;; amdgpu-corpus repo=ROCm/vllm kind=compiled arch=gfx1250 opt=O3
	.amdgcn_target "amdgcn-amd-amdhsa--gfx1250"
	.amdhsa_code_object_version 6
	.section	.text._ZN4vllm25paged_attention_v1_kernelIffLi32ELi8ELi128ELNS_18Fp8KVCacheDataTypeE0ELb1EEEvPT_PKS2_PKT0_S8_ifPKiSA_iPKfiiiSC_SC_iiiii,"axG",@progbits,_ZN4vllm25paged_attention_v1_kernelIffLi32ELi8ELi128ELNS_18Fp8KVCacheDataTypeE0ELb1EEEvPT_PKS2_PKT0_S8_ifPKiSA_iPKfiiiSC_SC_iiiii,comdat
	.protected	_ZN4vllm25paged_attention_v1_kernelIffLi32ELi8ELi128ELNS_18Fp8KVCacheDataTypeE0ELb1EEEvPT_PKS2_PKT0_S8_ifPKiSA_iPKfiiiSC_SC_iiiii ; -- Begin function _ZN4vllm25paged_attention_v1_kernelIffLi32ELi8ELi128ELNS_18Fp8KVCacheDataTypeE0ELb1EEEvPT_PKS2_PKT0_S8_ifPKiSA_iPKfiiiSC_SC_iiiii
	.globl	_ZN4vllm25paged_attention_v1_kernelIffLi32ELi8ELi128ELNS_18Fp8KVCacheDataTypeE0ELb1EEEvPT_PKS2_PKT0_S8_ifPKiSA_iPKfiiiSC_SC_iiiii
	.p2align	8
	.type	_ZN4vllm25paged_attention_v1_kernelIffLi32ELi8ELi128ELNS_18Fp8KVCacheDataTypeE0ELb1EEEvPT_PKS2_PKT0_S8_ifPKiSA_iPKfiiiSC_SC_iiiii,@function
_ZN4vllm25paged_attention_v1_kernelIffLi32ELi8ELi128ELNS_18Fp8KVCacheDataTypeE0ELb1EEEvPT_PKS2_PKT0_S8_ifPKiSA_iPKfiiiSC_SC_iiiii: ; @_ZN4vllm25paged_attention_v1_kernelIffLi32ELi8ELi128ELNS_18Fp8KVCacheDataTypeE0ELb1EEEvPT_PKS2_PKT0_S8_ifPKiSA_iPKfiiiSC_SC_iiiii
; %bb.0:
	s_load_b64 s[6:7], s[0:1], 0x20
	s_bfe_u32 s3, ttmp6, 0x4000c
	s_bfe_u32 s5, ttmp6, 0x40010
	s_and_b32 s4, ttmp7, 0xffff
	s_add_co_i32 s3, s3, 1
	s_add_co_i32 s5, s5, 1
	s_and_b32 s2, ttmp6, 15
	s_bfe_u32 s8, ttmp6, 0x40004
	s_mul_i32 s3, ttmp9, s3
	s_mul_i32 s5, s4, s5
	s_getreg_b32 s28, hwreg(HW_REG_IB_STS2, 6, 4)
	s_add_co_i32 s9, s2, s3
	s_add_co_i32 s8, s8, s5
	s_cmp_eq_u32 s28, 0
	s_clause 0x1
	s_load_b32 s29, s[0:1], 0x80
	s_load_b64 s[2:3], s[0:1], 0x30
	s_cselect_b32 s30, s4, s8
	s_cselect_b32 s4, ttmp9, s9
	s_mov_b32 s19, 0
	s_delay_alu instid0(SALU_CYCLE_1) | instskip(SKIP_2) | instid1(SALU_CYCLE_1)
	s_mov_b32 s35, s19
	s_wait_kmcnt 0x0
	s_abs_i32 s5, s6
	s_cvt_f32_u32 s8, s5
	s_sub_co_i32 s9, 0, s5
	s_delay_alu instid0(SALU_CYCLE_2) | instskip(SKIP_2) | instid1(TRANS32_DEP_1)
	v_rcp_iflag_f32_e32 v1, s8
	s_abs_i32 s10, s29
	v_nop
	v_readfirstlane_b32 s8, v1
	s_mul_f32 s8, s8, 0x4f7ffffe
	s_delay_alu instid0(SALU_CYCLE_3) | instskip(NEXT) | instid1(SALU_CYCLE_3)
	s_cvt_u32_f32 s8, s8
	s_mul_i32 s9, s9, s8
	s_delay_alu instid0(SALU_CYCLE_1) | instskip(NEXT) | instid1(SALU_CYCLE_1)
	s_mul_hi_u32 s9, s8, s9
	s_add_co_i32 s8, s8, s9
	s_xor_b32 s9, s29, s6
	s_mul_hi_u32 s8, s10, s8
	s_ashr_i32 s9, s9, 31
	s_mul_i32 s11, s8, s5
	s_delay_alu instid0(SALU_CYCLE_1)
	s_sub_co_i32 s10, s10, s11
	s_add_co_i32 s11, s8, 1
	s_sub_co_i32 s12, s10, s5
	s_cmp_ge_u32 s10, s5
	s_cselect_b32 s8, s11, s8
	s_cselect_b32 s10, s12, s10
	s_add_co_i32 s11, s8, 1
	s_cmp_ge_u32 s10, s5
	s_cselect_b32 s5, s11, s8
	s_load_b64 s[10:11], s[0:1], 0x40
	s_xor_b32 s5, s5, s9
	s_abs_i32 s18, s4
	s_sub_co_i32 s16, s5, s9
	s_mov_b32 s9, s19
	s_abs_i32 s15, s16
	s_delay_alu instid0(SALU_CYCLE_1) | instskip(SKIP_1) | instid1(SALU_CYCLE_2)
	s_cvt_f32_u32 s5, s15
	s_sub_co_i32 s8, 0, s15
	v_rcp_iflag_f32_e32 v1, s5
	v_nop
	s_delay_alu instid0(TRANS32_DEP_1) | instskip(SKIP_1) | instid1(SALU_CYCLE_3)
	v_readfirstlane_b32 s5, v1
	s_mul_f32 s5, s5, 0x4f7ffffe
	s_cvt_u32_f32 s5, s5
	s_delay_alu instid0(SALU_CYCLE_3) | instskip(NEXT) | instid1(SALU_CYCLE_1)
	s_mul_i32 s8, s8, s5
	s_mul_hi_u32 s8, s5, s8
	s_delay_alu instid0(SALU_CYCLE_1)
	s_add_co_i32 s8, s5, s8
	s_wait_kmcnt 0x0
	s_cmp_eq_u64 s[10:11], 0
	s_cbranch_scc1 .LBB0_2
; %bb.1:
	s_ashr_i32 s5, s4, 31
	s_delay_alu instid0(SALU_CYCLE_1) | instskip(NEXT) | instid1(SALU_CYCLE_1)
	s_lshl_b64 s[12:13], s[4:5], 2
	s_add_nc_u64 s[10:11], s[10:11], s[12:13]
	s_load_b32 s35, s[10:11], 0x0
.LBB0_2:
	s_load_b32 s31, s[2:3], s30 offset:0x0 scale_offset
	s_load_b96 s[12:14], s[0:1], 0x48
	v_and_b32_e32 v4, 3, v0
	s_wait_xcnt 0x0
	v_cmp_gt_u32_e64 s2, 32, v0
	s_ashr_i32 s3, s4, 31
	s_ashr_i32 s5, s16, 31
	s_mul_u64 s[20:21], s[18:19], s[8:9]
	s_lshl_b32 s16, s4, 5
	s_and_saveexec_b32 s8, s2
	s_cbranch_execz .LBB0_4
; %bb.3:
	s_load_b64 s[10:11], s[0:1], 0x8
	s_wait_kmcnt 0x0
	s_mul_i32 s22, s12, s30
	s_ashr_i32 s17, s16, 31
	s_ashr_i32 s23, s22, 31
	v_and_b32_e32 v2, 0x3fc, v0
	s_lshl_b64 s[22:23], s[22:23], 2
	s_delay_alu instid0(VALU_DEP_1) | instskip(SKIP_2) | instid1(SALU_CYCLE_1)
	v_lshl_add_u32 v2, v4, 5, v2
	s_add_nc_u64 s[10:11], s[10:11], s[22:23]
	s_lshl_b64 s[22:23], s[16:17], 2
	s_add_nc_u64 s[10:11], s[10:11], s[22:23]
	global_load_b32 v1, v0, s[10:11] scale_offset
	s_wait_loadcnt 0x0
	ds_store_b32 v2, v1
.LBB0_4:
	s_or_b32 exec_lo, exec_lo, s8
	s_load_b128 s[8:11], s[0:1], 0x68
	s_wait_kmcnt 0x0
	s_mul_i32 s12, s21, s15
	s_xor_b32 s5, s3, s5
	s_sub_co_i32 s3, s18, s12
	s_add_co_i32 s12, s21, 1
	s_sub_co_i32 s17, s3, s15
	s_cmp_ge_u32 s3, s15
	s_mov_b32 s22, -1
	s_cselect_b32 s12, s12, s21
	s_cselect_b32 s3, s17, s3
	s_add_co_i32 s17, s12, 1
	s_cmp_ge_u32 s3, s15
	s_load_b32 s3, s[0:1], 0x78
	s_cselect_b32 s15, s17, s12
	s_mov_b32 s21, 0
	s_xor_b32 s15, s15, s5
	s_mov_b32 s19, s21
	s_sub_co_i32 s5, s15, s5
	s_wait_dscnt 0x0
	s_barrier_signal -1
	s_abs_i32 s12, s11
	s_barrier_wait -1
	s_cvt_f32_u32 s17, s12
	s_sub_co_i32 s18, 0, s12
	s_delay_alu instid0(SALU_CYCLE_2) | instskip(SKIP_1) | instid1(TRANS32_DEP_1)
	v_rcp_iflag_f32_e32 v1, s17
	v_nop
	v_readfirstlane_b32 s17, v1
	s_mul_f32 s15, s17, 0x4f7ffffe
	s_delay_alu instid0(SALU_CYCLE_3) | instskip(SKIP_1) | instid1(SALU_CYCLE_1)
	s_cvt_u32_f32 s17, s15
	s_add_co_i32 s15, s31, -1
	s_abs_i32 s20, s15
	s_delay_alu instid0(SALU_CYCLE_1) | instskip(NEXT) | instid1(SALU_CYCLE_1)
	s_mul_i32 s18, s18, s17
	s_mul_hi_u32 s18, s17, s18
	s_delay_alu instid0(SALU_CYCLE_1)
	s_add_co_i32 s18, s17, s18
	s_wait_kmcnt 0x0
	s_cmp_lt_i32 s3, 0
                                        ; implicit-def: $sgpr17
	s_cbranch_scc0 .LBB0_6
; %bb.5:
	s_mul_i32 s6, s8, s6
	s_mov_b32 s22, s21
	s_add_co_i32 s6, s5, s6
	s_delay_alu instid0(SALU_CYCLE_1) | instskip(NEXT) | instid1(SALU_CYCLE_1)
	s_mul_i32 s6, s6, s3
	s_sub_co_i32 s17, 1, s6
.LBB0_6:
	s_ashr_i32 s6, s15, 31
	s_ashr_i32 s33, s11, 31
	s_and_not1_b32 vcc_lo, exec_lo, s22
	s_mul_u64 s[24:25], s[20:21], s[18:19]
	s_cbranch_vccnz .LBB0_8
; %bb.7:
	s_mul_i32 s8, s29, s8
	s_delay_alu instid0(SALU_CYCLE_1) | instskip(NEXT) | instid1(SALU_CYCLE_1)
	s_add_co_i32 s4, s8, s4
	s_mul_i32 s3, s4, s3
	s_delay_alu instid0(SALU_CYCLE_1)
	s_add_co_i32 s17, s3, 1
.LBB0_8:
	s_load_b32 s3, s[0:1], 0x38
	s_xor_b32 s4, s6, s33
	s_mul_i32 s6, s25, s12
	s_add_co_i32 s8, s25, 1
	s_sub_co_i32 s6, s20, s6
	s_clause 0x1
	s_load_b64 s[22:23], s[0:1], 0x28
	s_load_b32 s11, s[0:1], 0x88
	v_dual_mov_b32 v12, 0xff7fffff :: v_dual_lshrrev_b32 v1, 5, v0
	v_lshrrev_b32_e32 v8, 3, v0
	v_mbcnt_lo_u32_b32 v9, -1, 0
	s_mul_i32 s14, s5, s14
	s_delay_alu instid0(VALU_DEP_3)
	v_lshlrev_b32_e32 v14, 3, v1
	s_wait_kmcnt 0x0
	s_mul_i32 s20, s3, s30
	s_sub_co_i32 s3, s6, s12
	s_ashr_i32 s21, s20, 31
	s_cmp_ge_u32 s6, s12
	s_cselect_b32 s8, s8, s25
	s_cselect_b32 s3, s3, s6
	s_add_co_i32 s6, s8, 1
	s_cmp_ge_u32 s3, s12
	s_cselect_b32 s3, s6, s8
	s_add_co_i32 s6, s31, 7
	s_delay_alu instid0(SALU_CYCLE_1) | instskip(NEXT) | instid1(SALU_CYCLE_1)
	s_ashr_i32 s8, s6, 31
	s_lshr_b32 s8, s8, 29
	s_delay_alu instid0(SALU_CYCLE_1) | instskip(NEXT) | instid1(SALU_CYCLE_1)
	s_add_co_i32 s6, s6, s8
	s_ashr_i32 s34, s6, 3
	s_xor_b32 s6, s3, s4
	v_cmp_gt_i32_e64 s3, s34, v1
	s_sub_co_i32 s8, s6, s4
	s_and_saveexec_b32 s36, s3
	s_cbranch_execz .LBB0_20
; %bb.9:
	s_load_b64 s[38:39], s[0:1], 0x10
	s_ashr_i32 s15, s14, 31
	s_sub_co_i32 s37, s8, s9
	s_ashr_i32 s25, s13, 31
	s_lshl_b64 s[40:41], s[14:15], 2
	s_cmp_neq_f32 s35, 0
	v_bfe_u32 v10, v0, 2, 3
	v_dual_mov_b32 v3, 0 :: v_dual_lshlrev_b32 v11, 5, v4
	s_cselect_b32 vcc_lo, -1, 0
	s_abs_i32 s15, s10
	s_delay_alu instid0(VALU_DEP_2)
	v_lshlrev_b32_e32 v2, 4, v10
	s_cvt_f32_u32 s4, s15
	v_subrev_nc_u32_e32 v13, s31, v10
	v_lshlrev_b32_e32 v12, 2, v10
	s_sub_co_i32 s6, 0, s15
	v_rcp_iflag_f32_e32 v5, s4
	v_cmp_eq_u32_e64 s4, 0, v4
	v_mov_b32_e32 v16, 0xff7fffff
	v_lshl_or_b32 v12, v1, 5, v12
	s_wait_kmcnt 0x0
	s_add_nc_u64 s[38:39], s[38:39], s[40:41]
	v_xor_b32_e32 v17, 2, v9
	v_add_nc_u64_e32 v[6:7], s[38:39], v[2:3]
	v_readfirstlane_b32 s5, v5
	v_dual_lshlrev_b32 v2, 2, v4 :: v_dual_add_nc_u32 v13, 1, v13
	s_lshl_b64 s[38:39], s[20:21], 2
	v_add_nc_u32_e32 v15, 0xa0, v12
	s_mul_f32 s5, s5, 0x4f7ffffe
	s_delay_alu instid0(VALU_DEP_2)
	v_add_nc_u64_e32 v[4:5], v[6:7], v[2:3]
	v_and_b32_e32 v2, 0x7c, v8
	s_add_nc_u64 s[38:39], s[22:23], s[38:39]
	s_cvt_u32_f32 s5, s5
	v_xor_b32_e32 v18, 1, v9
	v_mov_b32_e32 v12, 0xff7fffff
	v_add_nc_u64_e32 v[6:7], s[38:39], v[2:3]
	s_mul_i32 s6, s6, s5
	v_dual_mov_b32 v19, v1 :: v_dual_lshlrev_b32 v2, 3, v1
	s_mov_b32 s27, 0
	s_mul_hi_u32 s6, s5, s6
	s_mov_b32 s24, s13
	s_add_co_i32 s26, s5, s6
	s_mov_b32 s38, s27
	s_branch .LBB0_12
.LBB0_10:                               ;   in Loop: Header=BB0_12 Depth=1
	s_or_b32 exec_lo, exec_lo, s39
.LBB0_11:                               ;   in Loop: Header=BB0_12 Depth=1
	s_delay_alu instid0(SALU_CYCLE_1) | instskip(SKIP_3) | instid1(VALU_DEP_3)
	s_or_b32 exec_lo, exec_lo, s6
	v_dual_add_nc_u32 v19, 4, v19 :: v_dual_add_nc_u32 v2, 32, v2
	v_add_nc_u64_e32 v[6:7], 16, v[6:7]
	v_add_nc_u32_e32 v15, 0x80, v15
	v_cmp_le_i32_e64 s5, s34, v19
	s_or_b32 s38, s5, s38
	s_delay_alu instid0(SALU_CYCLE_1)
	s_and_not1_b32 exec_lo, exec_lo, s38
	s_cbranch_execz .LBB0_19
.LBB0_12:                               ; =>This Inner Loop Header: Depth=1
	s_wait_dscnt 0x0
	v_mul_u64_e32 v[20:21], s[18:19], v[2:3]
	s_delay_alu instid0(VALU_DEP_1) | instskip(NEXT) | instid1(VALU_DEP_1)
	v_mul_lo_u32 v20, v21, s12
	v_dual_add_nc_u32 v22, 1, v21 :: v_dual_sub_nc_u32 v20, v2, v20
	s_delay_alu instid0(VALU_DEP_1) | instskip(SKIP_1) | instid1(VALU_DEP_1)
	v_subrev_nc_u32_e32 v23, s12, v20
	v_cmp_le_u32_e64 s5, s12, v20
	v_dual_cndmask_b32 v21, v21, v22, s5 :: v_dual_cndmask_b32 v20, v20, v23, s5
	s_delay_alu instid0(VALU_DEP_1) | instskip(NEXT) | instid1(VALU_DEP_2)
	v_add_nc_u32_e32 v22, 1, v21
	v_cmp_le_u32_e64 s5, s12, v20
	s_delay_alu instid0(VALU_DEP_1) | instskip(NEXT) | instid1(VALU_DEP_1)
	v_dual_cndmask_b32 v20, v21, v22, s5 :: v_dual_mov_b32 v21, v3
	v_xor_b32_e32 v20, s33, v20
	s_delay_alu instid0(VALU_DEP_1) | instskip(NEXT) | instid1(VALU_DEP_1)
	v_subrev_nc_u32_e32 v24, s33, v20
	v_add_nc_u32_e32 v25, s17, v24
	v_cmp_ge_i32_e64 s6, s37, v24
	s_delay_alu instid0(VALU_DEP_2) | instskip(NEXT) | instid1(VALU_DEP_1)
	v_sub_nc_u32_e32 v20, 0, v25
	v_max_i32_e32 v20, v25, v20
	s_delay_alu instid0(VALU_DEP_1) | instskip(SKIP_1) | instid1(VALU_DEP_2)
	v_mul_u64_e32 v[22:23], s[26:27], v[20:21]
	v_ashrrev_i32_e32 v22, 31, v25
	v_mul_lo_u32 v21, v23, s15
	s_delay_alu instid0(VALU_DEP_1) | instskip(NEXT) | instid1(VALU_DEP_1)
	v_sub_nc_u32_e32 v20, v20, v21
	v_subrev_nc_u32_e32 v21, s15, v20
	v_cmp_le_u32_e64 s5, s15, v20
	s_delay_alu instid0(VALU_DEP_1) | instskip(NEXT) | instid1(VALU_DEP_1)
	v_cndmask_b32_e64 v20, v20, v21, s5
	v_subrev_nc_u32_e32 v21, s15, v20
	v_cmp_le_u32_e64 s5, s15, v20
	s_delay_alu instid0(VALU_DEP_1) | instskip(NEXT) | instid1(VALU_DEP_1)
	v_cndmask_b32_e64 v20, v20, v21, s5
	v_xor_b32_e32 v20, v20, v22
	s_delay_alu instid0(VALU_DEP_1) | instskip(NEXT) | instid1(VALU_DEP_1)
	v_sub_nc_u32_e32 v20, v20, v22
	v_cmp_ne_u32_e64 s5, 0, v20
	s_and_b32 s5, s5, s6
	s_delay_alu instid0(SALU_CYCLE_1) | instskip(NEXT) | instid1(SALU_CYCLE_1)
	s_and_saveexec_b32 s6, s5
	s_xor_b32 s5, exec_lo, s6
	s_cbranch_execz .LBB0_16
; %bb.13:                               ;   in Loop: Header=BB0_12 Depth=1
	s_and_saveexec_b32 s6, s4
; %bb.14:                               ;   in Loop: Header=BB0_12 Depth=1
	ds_store_b32 v15, v16
; %bb.15:                               ;   in Loop: Header=BB0_12 Depth=1
	s_or_b32 exec_lo, exec_lo, s6
.LBB0_16:                               ;   in Loop: Header=BB0_12 Depth=1
	s_and_not1_saveexec_b32 s6, s5
	s_cbranch_execz .LBB0_11
; %bb.17:                               ;   in Loop: Header=BB0_12 Depth=1
	global_load_b32 v20, v[6:7], off
	v_cmp_gt_i32_e64 s5, 32, v17
	s_wait_loadcnt 0x0
	v_ashrrev_i32_e32 v21, 31, v20
	s_delay_alu instid0(VALU_DEP_1) | instskip(NEXT) | instid1(VALU_DEP_1)
	v_mul_u64_e32 v[20:21], s[24:25], v[20:21]
	v_lshl_add_u64 v[20:21], v[20:21], 2, v[4:5]
	s_clause 0x7
	global_load_b32 v28, v[20:21], off offset:128
	global_load_b32 v29, v[20:21], off
	global_load_b32 v30, v[20:21], off offset:256
	global_load_b32 v31, v[20:21], off offset:384
	;; [unrolled: 1-line block ×6, first 2 shown]
	s_wait_xcnt 0x0
	ds_load_b128 v[20:23], v11
	ds_load_b128 v[24:27], v11 offset:16
	s_wait_loadcnt_dscnt 0x701
	v_mul_f32_e32 v21, v21, v28
	s_wait_loadcnt 0x6
	s_delay_alu instid0(VALU_DEP_1) | instskip(SKIP_3) | instid1(VALU_DEP_2)
	v_fmac_f32_e32 v21, v20, v29
	v_cndmask_b32_e64 v20, v9, v17, s5
	v_cmp_gt_i32_e64 s5, 32, v18
	s_wait_loadcnt 0x5
	v_dual_fmac_f32 v21, v22, v30 :: v_dual_lshlrev_b32 v20, 2, v20
	s_wait_loadcnt 0x4
	s_delay_alu instid0(VALU_DEP_1) | instskip(SKIP_1) | instid1(VALU_DEP_1)
	v_dual_cndmask_b32 v22, v9, v18, s5 :: v_dual_fmac_f32 v21, v23, v31
	s_wait_loadcnt_dscnt 0x300
	v_dual_fmac_f32 v21, v24, v32 :: v_dual_lshlrev_b32 v22, 2, v22
	s_wait_loadcnt 0x2
	s_delay_alu instid0(VALU_DEP_1) | instskip(SKIP_1) | instid1(VALU_DEP_1)
	v_fmac_f32_e32 v21, v25, v33
	s_wait_loadcnt 0x1
	v_fmac_f32_e32 v21, v26, v34
	s_wait_loadcnt 0x0
	s_delay_alu instid0(VALU_DEP_1)
	v_fmac_f32_e32 v21, v27, v35
	ds_bpermute_b32 v20, v20, v21
	s_wait_dscnt 0x0
	v_add_f32_e32 v20, v21, v20
	ds_bpermute_b32 v21, v22, v20
	s_and_saveexec_b32 s39, s4
	s_cbranch_execz .LBB0_10
; %bb.18:                               ;   in Loop: Header=BB0_12 Depth=1
	s_wait_dscnt 0x0
	v_dual_add_nc_u32 v22, v13, v2 :: v_dual_add_f32 v20, v20, v21
	s_delay_alu instid0(VALU_DEP_1) | instskip(NEXT) | instid1(VALU_DEP_1)
	v_cvt_f32_i32_e32 v22, v22
	v_mul_f32_e32 v22, s35, v22
	s_delay_alu instid0(VALU_DEP_1) | instskip(NEXT) | instid1(VALU_DEP_1)
	v_dual_cndmask_b32 v21, 0, v22 :: v_dual_max_num_f32 v22, v12, v12
	v_dual_fmac_f32 v21, s7, v20 :: v_dual_add_nc_u32 v20, v10, v2
	s_delay_alu instid0(VALU_DEP_1) | instskip(NEXT) | instid1(VALU_DEP_1)
	v_cmp_gt_i32_e64 s5, s31, v20
	v_dual_max_num_f32 v22, v22, v21 :: v_dual_cndmask_b32 v20, 0, v21, s5
	s_delay_alu instid0(VALU_DEP_1)
	v_cndmask_b32_e64 v12, v12, v22, s5
	ds_store_b32 v15, v20
	s_branch .LBB0_10
.LBB0_19:
	s_or_b32 exec_lo, exec_lo, s38
.LBB0_20:
	s_delay_alu instid0(SALU_CYCLE_1)
	s_or_b32 exec_lo, exec_lo, s36
	v_dual_max_num_f32 v5, v12, v12 :: v_dual_bitop2_b32 v2, 16, v9 bitop3:0x14
	s_clause 0x1
	s_load_b64 s[6:7], s[0:1], 0x0
	s_load_b64 s[24:25], s[0:1], 0x18
	v_and_b32_e32 v22, 31, v0
	v_xor_b32_e32 v4, 8, v9
	v_cmp_gt_i32_e32 vcc_lo, 32, v2
	v_cndmask_b32_e32 v2, v9, v2, vcc_lo
	s_delay_alu instid0(VALU_DEP_3) | instskip(NEXT) | instid1(VALU_DEP_2)
	v_cmp_gt_i32_e32 vcc_lo, 32, v4
	v_dual_lshlrev_b32 v2, 2, v2 :: v_dual_cndmask_b32 v4, v9, v4, vcc_lo
	ds_bpermute_b32 v3, v2, v12
	s_wait_dscnt 0x0
	v_dual_max_num_f32 v6, v3, v3 :: v_dual_lshlrev_b32 v3, 2, v4
	s_delay_alu instid0(VALU_DEP_1) | instskip(SKIP_4) | instid1(VALU_DEP_1)
	v_dual_max_num_f32 v4, v5, v6 :: v_dual_bitop2_b32 v6, 4, v9 bitop3:0x14
	ds_bpermute_b32 v5, v3, v4
	v_cmp_gt_i32_e32 vcc_lo, 32, v6
	v_cndmask_b32_e32 v6, v9, v6, vcc_lo
	s_wait_dscnt 0x0
	v_dual_max_num_f32 v5, v5, v5 :: v_dual_lshlrev_b32 v6, 2, v6
	s_delay_alu instid0(VALU_DEP_1)
	v_max_num_f32_e32 v5, v4, v5
	v_lshlrev_b32_e32 v4, 2, v1
	v_cmp_eq_u32_e32 vcc_lo, 0, v22
	ds_bpermute_b32 v7, v6, v5
	s_wait_xcnt 0x0
	s_and_saveexec_b32 s0, vcc_lo
	s_cbranch_execz .LBB0_22
; %bb.21:
	s_wait_dscnt 0x0
	v_dual_max_num_f32 v7, v7, v7 :: v_dual_max_num_f32 v5, v5, v5
	s_delay_alu instid0(VALU_DEP_1)
	v_max_num_f32_e32 v5, v5, v7
	ds_store_b32 v4, v5 offset:128
.LBB0_22:
	s_or_b32 exec_lo, exec_lo, s0
	v_cmp_gt_u32_e64 s0, 4, v22
	v_dual_mov_b32 v10, 0xff7fffff :: v_dual_lshlrev_b32 v5, 2, v22
	s_wait_dscnt 0x0
	s_barrier_signal -1
	s_barrier_wait -1
	s_and_saveexec_b32 s1, s0
; %bb.23:
	ds_load_b32 v10, v5 offset:128
; %bb.24:
	s_or_b32 exec_lo, exec_lo, s1
	v_xor_b32_e32 v7, 2, v9
	v_xor_b32_e32 v12, 1, v9
	s_delay_alu instid0(VALU_DEP_2) | instskip(NEXT) | instid1(VALU_DEP_1)
	v_cmp_gt_i32_e64 s1, 32, v7
	v_cndmask_b32_e64 v7, v9, v7, s1
	s_delay_alu instid0(VALU_DEP_3) | instskip(NEXT) | instid1(VALU_DEP_1)
	v_cmp_gt_i32_e64 s1, 32, v12
	v_dual_lshlrev_b32 v7, 2, v7 :: v_dual_cndmask_b32 v9, v9, v12, s1
	s_lshl_b32 s1, s34, 3
	s_delay_alu instid0(SALU_CYCLE_1)
	s_min_i32 s5, s1, s31
	s_wait_dscnt 0x0
	ds_bpermute_b32 v11, v7, v10
	v_max_num_f32_e32 v10, v10, v10
	v_cmp_gt_i32_e64 s1, s5, v0
	s_wait_dscnt 0x0
	v_dual_lshlrev_b32 v23, 2, v9 :: v_dual_max_num_f32 v11, v11, v11
	s_delay_alu instid0(VALU_DEP_1) | instskip(SKIP_3) | instid1(VALU_DEP_1)
	v_max_num_f32_e32 v9, v10, v11
	ds_bpermute_b32 v10, v23, v9
	s_wait_dscnt 0x0
	v_max_num_f32_e32 v10, v10, v10
	v_dual_max_num_f32 v10, v9, v10 :: v_dual_mov_b32 v9, 0
	ds_bpermute_b32 v10, v9, v10
	s_and_saveexec_b32 s15, s1
	s_cbranch_execz .LBB0_28
; %bb.25:
	v_lshl_add_u32 v11, v0, 2, 0xa0
	v_dual_mov_b32 v9, 0 :: v_dual_mov_b32 v12, v0
	s_mov_b32 s26, 0
.LBB0_26:                               ; =>This Inner Loop Header: Depth=1
	ds_load_b32 v13, v11
	v_add_nc_u32_e32 v12, 0x80, v12
	s_delay_alu instid0(VALU_DEP_1) | instskip(SKIP_3) | instid1(VALU_DEP_1)
	v_cmp_le_i32_e64 s4, s5, v12
	s_or_b32 s26, s4, s26
	s_wait_dscnt 0x0
	v_sub_f32_e32 v13, v13, v10
	v_mul_f32_e32 v13, 0x3fb8aa3b, v13
	s_delay_alu instid0(VALU_DEP_1)
	v_exp_f32_e32 v13, v13
	ds_store_b32 v11, v13
	v_nop
	v_add_f32_e32 v9, v9, v13
	v_add_nc_u32_e32 v11, 0x200, v11
	s_and_not1_b32 exec_lo, exec_lo, s26
	s_cbranch_execnz .LBB0_26
; %bb.27:
	s_or_b32 exec_lo, exec_lo, s26
.LBB0_28:
	s_delay_alu instid0(SALU_CYCLE_1)
	s_or_b32 exec_lo, exec_lo, s15
	ds_bpermute_b32 v2, v2, v9
	s_wait_dscnt 0x0
	v_add_f32_e32 v2, v9, v2
	ds_bpermute_b32 v3, v3, v2
	s_wait_dscnt 0x0
	v_add_f32_e32 v2, v2, v3
	;; [unrolled: 3-line block ×5, first 2 shown]
	s_and_saveexec_b32 s4, vcc_lo
; %bb.29:
	ds_store_b32 v4, v2 offset:144
; %bb.30:
	s_or_b32 exec_lo, exec_lo, s4
	s_wait_dscnt 0x0
	s_barrier_signal -1
	s_barrier_wait -1
	s_and_saveexec_b32 s4, s0
; %bb.31:
	ds_load_b32 v2, v5 offset:144
; %bb.32:
	s_or_b32 exec_lo, exec_lo, s4
	s_wait_dscnt 0x0
	ds_bpermute_b32 v3, v7, v2
	s_wait_dscnt 0x0
	v_dual_mov_b32 v17, 0 :: v_dual_add_f32 v2, v2, v3
	ds_bpermute_b32 v3, v23, v2
	s_wait_dscnt 0x0
	v_add_f32_e32 v2, v2, v3
	ds_bpermute_b32 v2, v17, v2
	s_and_saveexec_b32 s0, s1
	s_cbranch_execz .LBB0_45
; %bb.33:
	s_wait_dscnt 0x0
	v_add_f32_e32 v2, 0x358637bd, v2
	s_mov_b32 s4, -1
	s_mov_b32 s1, exec_lo
	s_delay_alu instid0(VALU_DEP_1) | instskip(NEXT) | instid1(VALU_DEP_1)
	v_div_scale_f32 v3, null, v2, v2, 1.0
	v_rcp_f32_e32 v5, v3
	v_nop
	s_delay_alu instid0(TRANS32_DEP_1) | instskip(NEXT) | instid1(VALU_DEP_1)
	v_fma_f32 v4, -v3, v5, 1.0
	v_fmac_f32_e32 v5, v4, v5
	v_div_scale_f32 v6, vcc_lo, 1.0, v2, 1.0
	s_delay_alu instid0(VALU_DEP_1) | instskip(NEXT) | instid1(VALU_DEP_1)
	v_mul_f32_e32 v7, v6, v5
	v_fma_f32 v4, -v3, v7, v6
	s_delay_alu instid0(VALU_DEP_1) | instskip(SKIP_1) | instid1(VALU_DEP_2)
	v_fmac_f32_e32 v7, v4, v5
	v_xad_u32 v4, v0, -1, s5
	v_fma_f32 v3, -v3, v7, v6
	s_delay_alu instid0(VALU_DEP_1) | instskip(NEXT) | instid1(VALU_DEP_1)
	v_div_fmas_f32 v3, v3, v5, v7
	v_div_fixup_f32 v2, v3, v2, 1.0
	v_mov_b32_e32 v3, v0
	v_cmpx_lt_u32_e32 0x7f, v4
	s_cbranch_execz .LBB0_42
; %bb.34:
	s_delay_alu instid0(VALU_DEP_3) | instskip(NEXT) | instid1(VALU_DEP_1)
	v_dual_mov_b32 v3, v2 :: v_dual_lshrrev_b32 v4, 7, v4
	v_dual_mov_b32 v9, 0 :: v_dual_add_nc_u32 v5, -1, v4
	s_delay_alu instid0(VALU_DEP_1) | instskip(SKIP_1) | instid1(VALU_DEP_2)
	v_lshrrev_b32_e32 v6, 1, v5
	v_cmp_lt_u32_e32 vcc_lo, 13, v5
	v_add_nc_u32_e32 v5, 1, v6
	s_and_saveexec_b32 s4, vcc_lo
	s_cbranch_execz .LBB0_38
; %bb.35:
	s_delay_alu instid0(VALU_DEP_1)
	v_and_b32_e32 v6, -8, v5
	v_lshl_add_u32 v7, v0, 2, 0xa0
	s_mov_b32 s15, 0
	s_mov_b32 s26, 0
.LBB0_36:                               ; =>This Inner Loop Header: Depth=1
	ds_load_2addr_stride64_b32 v[10:11], v7 offset1:2
	ds_load_2addr_stride64_b32 v[12:13], v7 offset0:4 offset1:6
	ds_load_2addr_stride64_b32 v[18:19], v7 offset0:8 offset1:10
	;; [unrolled: 1-line block ×7, first 2 shown]
	s_add_co_i32 s26, s26, 16
	s_delay_alu instid0(SALU_CYCLE_1) | instskip(NEXT) | instid1(VALU_DEP_1)
	v_dual_mov_b32 v9, s26 :: v_dual_add_nc_u32 v6, -8, v6
	v_cmp_eq_u32_e32 vcc_lo, 0, v6
	s_or_b32 s15, vcc_lo, s15
	s_wait_dscnt 0x7
	v_pk_mul_f32 v[10:11], v[2:3], v[10:11]
	s_wait_dscnt 0x6
	v_pk_mul_f32 v[12:13], v[2:3], v[12:13]
	;; [unrolled: 2-line block ×8, first 2 shown]
	ds_store_2addr_stride64_b32 v7, v10, v11 offset1:2
	ds_store_2addr_stride64_b32 v7, v12, v13 offset0:4 offset1:6
	ds_store_2addr_stride64_b32 v7, v18, v19 offset0:8 offset1:10
	;; [unrolled: 1-line block ×7, first 2 shown]
	v_add_nc_u32_e32 v7, 0x2000, v7
	s_and_not1_b32 exec_lo, exec_lo, s15
	s_cbranch_execnz .LBB0_36
; %bb.37:
	s_or_b32 exec_lo, exec_lo, s15
.LBB0_38:
	s_delay_alu instid0(SALU_CYCLE_1) | instskip(NEXT) | instid1(VALU_DEP_1)
	s_or_b32 exec_lo, exec_lo, s4
	v_and_b32_e32 v5, 7, v5
	s_mov_b32 s15, 0
	s_mov_b32 s4, exec_lo
	s_delay_alu instid0(VALU_DEP_1)
	v_cmpx_ne_u32_e32 0, v5
	s_cbranch_execz .LBB0_41
; %bb.39:
	v_dual_lshlrev_b32 v6, 9, v9 :: v_dual_lshlrev_b32 v7, 2, v0
	s_delay_alu instid0(VALU_DEP_1)
	v_add3_u32 v6, v6, v7, 0xa0
.LBB0_40:                               ; =>This Inner Loop Header: Depth=1
	ds_load_2addr_stride64_b32 v[10:11], v6 offset1:2
	v_add_nc_u32_e32 v5, -1, v5
	s_delay_alu instid0(VALU_DEP_1)
	v_cmp_eq_u32_e32 vcc_lo, 0, v5
	s_or_b32 s15, vcc_lo, s15
	s_wait_dscnt 0x0
	v_pk_mul_f32 v[10:11], v[2:3], v[10:11]
	ds_store_2addr_stride64_b32 v6, v10, v11 offset1:2
	v_add_nc_u32_e32 v6, 0x400, v6
	s_and_not1_b32 exec_lo, exec_lo, s15
	s_cbranch_execnz .LBB0_40
.LBB0_41:
	s_or_b32 exec_lo, exec_lo, s4
	v_add_nc_u32_e32 v3, 1, v4
	s_delay_alu instid0(VALU_DEP_1) | instskip(NEXT) | instid1(VALU_DEP_1)
	v_and_b32_e32 v4, 0x3fffffe, v3
	v_cmp_ne_u32_e32 vcc_lo, v3, v4
	v_lshl_add_u32 v3, v4, 7, v0
	s_or_not1_b32 s4, vcc_lo, exec_lo
.LBB0_42:
	s_or_b32 exec_lo, exec_lo, s1
	s_delay_alu instid0(SALU_CYCLE_1)
	s_and_b32 exec_lo, exec_lo, s4
	s_cbranch_execz .LBB0_45
; %bb.43:
	v_lshl_add_u32 v4, v3, 2, 0xa0
	s_mov_b32 s1, 0
.LBB0_44:                               ; =>This Inner Loop Header: Depth=1
	ds_load_b32 v5, v4
	v_add_nc_u32_e32 v3, 0x80, v3
	s_delay_alu instid0(VALU_DEP_1)
	v_cmp_le_i32_e32 vcc_lo, s5, v3
	s_or_b32 s1, vcc_lo, s1
	s_wait_dscnt 0x0
	v_mul_f32_e32 v5, v2, v5
	ds_store_b32 v4, v5
	v_add_nc_u32_e32 v4, 0x200, v4
	s_and_not1_b32 exec_lo, exec_lo, s1
	s_cbranch_execnz .LBB0_44
.LBB0_45:
	s_or_b32 exec_lo, exec_lo, s0
	v_dual_mov_b32 v16, 0 :: v_dual_bitop2_b32 v24, 1, v0 bitop3:0x40
	s_wait_dscnt 0x0
	s_barrier_signal -1
	s_barrier_wait -1
	s_and_saveexec_b32 s1, s3
	s_cbranch_execz .LBB0_55
; %bb.46:
	s_abs_i32 s3, s10
	v_dual_lshlrev_b32 v4, 2, v0 :: v_dual_lshlrev_b32 v3, 4, v0
	s_cvt_f32_u32 s0, s3
	v_dual_mov_b32 v15, 0 :: v_dual_lshlrev_b32 v5, 4, v24
	s_ashr_i32 s15, s14, 31
	s_delay_alu instid0(SALU_CYCLE_1)
	v_rcp_iflag_f32_e32 v2, s0
	s_lshl_b64 s[14:15], s[14:15], 2
	s_sub_co_i32 s10, s8, s9
	s_wait_kmcnt 0x0
	s_add_nc_u64 s[14:15], s[24:25], s[14:15]
	s_sub_co_i32 s8, 0, s3
	v_dual_mov_b32 v16, v15 :: v_dual_mov_b32 v17, v15
	v_readfirstlane_b32 s0, v2
	v_and_b32_e32 v2, 0x1f0, v3
	v_dual_mov_b32 v3, v15 :: v_dual_bitop2_b32 v25, 4, v4 bitop3:0x40
	v_lshl_or_b32 v4, v1, 5, v5
	s_mul_f32 s0, s0, 0x4f7ffffe
	v_mov_b32_e32 v27, v1
	s_delay_alu instid0(VALU_DEP_3)
	v_add_nc_u64_e32 v[18:19], s[14:15], v[2:3]
	v_and_b32_e32 v2, 0x7c, v8
	s_lshl_b64 s[14:15], s[20:21], 2
	s_cvt_u32_f32 s0, s0
	s_add_nc_u64 s[14:15], s[22:23], s[14:15]
	v_add_nc_u32_e32 v26, 0xa0, v4
	v_add_nc_u64_e32 v[20:21], s[14:15], v[2:3]
	s_mul_i32 s8, s8, s0
	s_mov_b32 s9, 0
	s_mul_hi_u32 s8, s0, s8
	s_ashr_i32 s5, s13, 31
	s_mov_b32 s4, s13
	s_add_co_i32 s13, s34, -1
	s_mov_b32 s14, s31
	s_add_co_i32 s8, s0, s8
	s_mov_b32 s15, s9
	s_branch .LBB0_49
.LBB0_47:                               ;   in Loop: Header=BB0_49 Depth=1
	s_or_b32 exec_lo, exec_lo, s0
	s_wait_loadcnt_dscnt 0x0
	v_pk_mul_f32 v[10:11], v[6:7], v[10:11]
	v_pk_mul_f32 v[12:13], v[8:9], v[12:13]
	v_mul_f32_e32 v2, v6, v2
	s_delay_alu instid0(VALU_DEP_1) | instskip(NEXT) | instid1(VALU_DEP_4)
	v_fmac_f32_e32 v2, v7, v3
	v_add_f32_e32 v3, v11, v10
	s_delay_alu instid0(VALU_DEP_1) | instskip(NEXT) | instid1(VALU_DEP_1)
	v_add_f32_e32 v3, v12, v3
	v_dual_add_f32 v3, v13, v3 :: v_dual_fmac_f32 v2, v8, v4
	s_delay_alu instid0(VALU_DEP_1) | instskip(NEXT) | instid1(VALU_DEP_2)
	v_add_f32_e32 v17, v17, v3
	v_fmac_f32_e32 v2, v9, v5
	s_delay_alu instid0(VALU_DEP_1)
	v_add_f32_e32 v16, v16, v2
.LBB0_48:                               ;   in Loop: Header=BB0_49 Depth=1
	s_or_b32 exec_lo, exec_lo, s20
	v_dual_add_nc_u32 v27, 4, v27 :: v_dual_add_nc_u32 v14, 32, v14
	v_add_nc_u64_e32 v[20:21], 16, v[20:21]
	v_add_nc_u32_e32 v26, 0x80, v26
	s_delay_alu instid0(VALU_DEP_3) | instskip(SKIP_1) | instid1(SALU_CYCLE_1)
	v_cmp_le_i32_e32 vcc_lo, s34, v27
	s_or_b32 s15, vcc_lo, s15
	s_and_not1_b32 exec_lo, exec_lo, s15
	s_cbranch_execz .LBB0_54
.LBB0_49:                               ; =>This Inner Loop Header: Depth=1
	v_mul_u64_e32 v[2:3], s[18:19], v[14:15]
	s_delay_alu instid0(VALU_DEP_1) | instskip(NEXT) | instid1(VALU_DEP_1)
	v_mul_lo_u32 v2, v3, s12
	v_dual_add_nc_u32 v4, 1, v3 :: v_dual_sub_nc_u32 v2, v14, v2
	s_delay_alu instid0(VALU_DEP_1) | instskip(SKIP_1) | instid1(VALU_DEP_2)
	v_subrev_nc_u32_e32 v5, s12, v2
	v_cmp_le_u32_e32 vcc_lo, s12, v2
	v_dual_cndmask_b32 v3, v3, v4 :: v_dual_cndmask_b32 v2, v2, v5
	s_delay_alu instid0(VALU_DEP_1) | instskip(NEXT) | instid1(VALU_DEP_2)
	v_add_nc_u32_e32 v4, 1, v3
	v_cmp_le_u32_e32 vcc_lo, s12, v2
	s_delay_alu instid0(VALU_DEP_2) | instskip(NEXT) | instid1(VALU_DEP_1)
	v_cndmask_b32_e32 v2, v3, v4, vcc_lo
	v_dual_mov_b32 v3, v15 :: v_dual_bitop2_b32 v2, s33, v2 bitop3:0x14
	s_delay_alu instid0(VALU_DEP_1) | instskip(NEXT) | instid1(VALU_DEP_1)
	v_subrev_nc_u32_e32 v6, s33, v2
	v_add_nc_u32_e32 v7, s17, v6
	v_cmp_lt_i32_e64 s0, s10, v6
	s_delay_alu instid0(VALU_DEP_2) | instskip(NEXT) | instid1(VALU_DEP_1)
	v_sub_nc_u32_e32 v2, 0, v7
	v_max_i32_e32 v2, v7, v2
	s_delay_alu instid0(VALU_DEP_1) | instskip(SKIP_1) | instid1(VALU_DEP_2)
	v_mul_u64_e32 v[4:5], s[8:9], v[2:3]
	v_ashrrev_i32_e32 v4, 31, v7
	v_mul_lo_u32 v3, v5, s3
	s_delay_alu instid0(VALU_DEP_1) | instskip(NEXT) | instid1(VALU_DEP_1)
	v_sub_nc_u32_e32 v2, v2, v3
	v_subrev_nc_u32_e32 v3, s3, v2
	v_cmp_le_u32_e32 vcc_lo, s3, v2
	s_delay_alu instid0(VALU_DEP_2) | instskip(NEXT) | instid1(VALU_DEP_1)
	v_cndmask_b32_e32 v2, v2, v3, vcc_lo
	v_subrev_nc_u32_e32 v3, s3, v2
	v_cmp_le_u32_e32 vcc_lo, s3, v2
	s_delay_alu instid0(VALU_DEP_2) | instskip(NEXT) | instid1(VALU_DEP_1)
	v_cndmask_b32_e32 v2, v2, v3, vcc_lo
	v_xor_b32_e32 v2, v2, v4
	s_delay_alu instid0(VALU_DEP_1) | instskip(NEXT) | instid1(VALU_DEP_1)
	v_sub_nc_u32_e32 v2, v2, v4
	v_cmp_eq_u32_e32 vcc_lo, 0, v2
	s_or_b32 s0, vcc_lo, s0
	s_delay_alu instid0(SALU_CYCLE_1)
	s_and_saveexec_b32 s20, s0
	s_cbranch_execz .LBB0_48
; %bb.50:                               ;   in Loop: Header=BB0_49 Depth=1
	global_load_b32 v2, v[20:21], off
	v_add_nc_u32_e32 v28, v25, v14
	ds_load_b128 v[6:9], v26
	v_cmp_eq_u32_e32 vcc_lo, s13, v27
	v_or_b32_e32 v30, 3, v28
	v_dual_add_nc_u32 v31, 1, v28 :: v_dual_bitop2_b32 v29, 2, v28 bitop3:0x54
	s_wait_loadcnt 0x0
	v_ashrrev_i32_e32 v3, 31, v2
	s_delay_alu instid0(VALU_DEP_1) | instskip(NEXT) | instid1(VALU_DEP_1)
	v_mul_u64_e32 v[2:3], s[4:5], v[2:3]
	v_lshl_add_u64 v[10:11], v[2:3], 2, v[18:19]
	global_load_b128 v[2:5], v[10:11], off
	s_wait_xcnt 0x0
	s_and_saveexec_b32 s21, vcc_lo
	s_cbranch_execz .LBB0_52
; %bb.51:                               ;   in Loop: Header=BB0_49 Depth=1
	v_cmp_gt_i32_e64 s0, s14, v31
	s_wait_loadcnt 0x0
	s_delay_alu instid0(VALU_DEP_1) | instskip(SKIP_1) | instid1(VALU_DEP_1)
	v_cndmask_b32_e64 v3, 0, v3, s0
	v_cmp_gt_i32_e64 s0, s31, v28
	v_cndmask_b32_e64 v2, 0, v2, s0
	v_cmp_gt_i32_e64 s0, s14, v30
	s_delay_alu instid0(VALU_DEP_1) | instskip(SKIP_1) | instid1(VALU_DEP_1)
	v_cndmask_b32_e64 v5, 0, v5, s0
	v_cmp_gt_i32_e64 s0, s31, v29
	v_cndmask_b32_e64 v4, 0, v4, s0
.LBB0_52:                               ;   in Loop: Header=BB0_49 Depth=1
	s_or_b32 exec_lo, exec_lo, s21
	global_load_b128 v[10:13], v[10:11], off offset:512
	s_wait_xcnt 0x0
	s_and_saveexec_b32 s0, vcc_lo
	s_cbranch_execz .LBB0_47
; %bb.53:                               ;   in Loop: Header=BB0_49 Depth=1
	v_cmp_gt_i32_e32 vcc_lo, s14, v31
	s_wait_loadcnt 0x0
	v_cndmask_b32_e32 v11, 0, v11, vcc_lo
	v_cmp_gt_i32_e32 vcc_lo, s31, v28
	v_cndmask_b32_e32 v10, 0, v10, vcc_lo
	v_cmp_gt_i32_e32 vcc_lo, s14, v30
	;; [unrolled: 2-line block ×3, first 2 shown]
	v_cndmask_b32_e32 v12, 0, v12, vcc_lo
	s_branch .LBB0_47
.LBB0_54:
	s_or_b32 exec_lo, exec_lo, s15
.LBB0_55:
	s_delay_alu instid0(SALU_CYCLE_1)
	s_or_b32 exec_lo, exec_lo, s1
	ds_bpermute_b32 v2, v23, v16
	ds_bpermute_b32 v3, v23, v17
	v_lshrrev_b32_e32 v5, 1, v22
	v_and_b32_e32 v6, 0x3c1, v0
	s_mov_b32 s0, exec_lo
	s_wait_dscnt 0x0
	s_barrier_signal -1
	v_lshl_add_u32 v4, v5, 2, 0xa0
	s_barrier_wait -1
	v_pk_add_f32 v[2:3], v[16:17], v[2:3]
	v_cmpx_eq_u32_e32 64, v6
	s_cbranch_execz .LBB0_57
; %bb.56:
	v_lshl_add_u32 v1, v1, 7, v4
	s_delay_alu instid0(VALU_DEP_1)
	v_add_nc_u32_e32 v6, 0xffffff00, v1
	v_add_nc_u32_e32 v1, 0xffffff40, v1
	ds_store_b32 v6, v2
	ds_store_b32 v1, v3
.LBB0_57:
	s_or_b32 exec_lo, exec_lo, s0
	v_and_b32_e32 v1, 0x3e0, v0
	v_lshlrev_b32_e32 v5, 2, v5
	s_mov_b32 s1, exec_lo
	v_cmp_eq_u32_e32 vcc_lo, 0, v24
	s_wait_dscnt 0x0
	v_lshlrev_b32_e32 v1, 2, v1
	s_barrier_signal -1
	s_barrier_wait -1
	s_delay_alu instid0(VALU_DEP_1)
	v_add3_u32 v1, 0xa0, v1, v5
	v_cmpx_gt_u32_e32 64, v0
	s_cbranch_execz .LBB0_63
; %bb.58:
	s_and_saveexec_b32 s0, vcc_lo
	s_cbranch_execz .LBB0_60
; %bb.59:
	ds_load_b32 v5, v1
	s_wait_dscnt 0x0
	v_add_f32_e32 v2, v2, v5
.LBB0_60:
	s_or_b32 exec_lo, exec_lo, s0
	s_and_saveexec_b32 s0, vcc_lo
	s_cbranch_execz .LBB0_62
; %bb.61:
	ds_load_b32 v5, v1 offset:64
	s_wait_dscnt 0x0
	v_add_f32_e32 v3, v3, v5
.LBB0_62:
	s_or_b32 exec_lo, exec_lo, s0
.LBB0_63:
	s_delay_alu instid0(SALU_CYCLE_1) | instskip(SKIP_4) | instid1(VALU_DEP_1)
	s_or_b32 exec_lo, exec_lo, s1
	v_and_b32_e32 v5, 0x3e1, v0
	s_mov_b32 s1, exec_lo
	s_barrier_signal -1
	s_barrier_wait -1
	v_cmpx_eq_u32_e32 32, v5
; %bb.64:
	ds_store_2addr_b32 v4, v2, v3 offset1:16
; %bb.65:
	s_or_b32 exec_lo, exec_lo, s1
	s_wait_dscnt 0x0
	s_barrier_signal -1
	s_barrier_wait -1
	s_and_saveexec_b32 s0, s2
	s_cbranch_execz .LBB0_71
; %bb.66:
	s_and_saveexec_b32 s1, vcc_lo
	s_cbranch_execz .LBB0_68
; %bb.67:
	ds_load_b32 v4, v1
	s_wait_dscnt 0x0
	v_add_f32_e32 v2, v2, v4
.LBB0_68:
	s_or_b32 exec_lo, exec_lo, s1
	s_and_saveexec_b32 s1, vcc_lo
	s_cbranch_execz .LBB0_70
; %bb.69:
	ds_load_b32 v1, v1 offset:64
	s_wait_dscnt 0x0
	v_add_f32_e32 v3, v3, v1
.LBB0_70:
	s_or_b32 exec_lo, exec_lo, s1
.LBB0_71:
	s_delay_alu instid0(SALU_CYCLE_1)
	s_or_b32 exec_lo, exec_lo, s0
	s_mov_b32 s1, 0
	s_barrier_signal -1
	s_barrier_wait -1
	s_mov_b32 s0, exec_lo
	v_cmpx_eq_u32_e32 0, v5
	s_cbranch_execz .LBB0_73
; %bb.72:
	s_mul_i32 s0, s30, s11
	s_mul_i32 s2, s11, s16
	;; [unrolled: 1-line block ×3, first 2 shown]
	s_lshr_b32 s8, ttmp7, 16
	s_lshl_b32 s4, s0, 5
	s_bfe_u32 s0, ttmp6, 0x40014
	s_ashr_i32 s5, s4, 31
	s_add_co_i32 s0, s0, 1
	s_lshl_b64 s[4:5], s[4:5], 2
	s_ashr_i32 s3, s2, 31
	s_wait_kmcnt 0x0
	s_add_nc_u64 s[4:5], s[6:7], s[4:5]
	s_mul_i32 s0, s8, s0
	s_bfe_u32 s6, ttmp6, 0x40008
	s_lshl_b64 s[2:3], s[2:3], 2
	s_add_co_i32 s6, s6, s0
	s_cmp_eq_u32 s28, 0
	v_lshlrev_b32_e32 v0, 1, v0
	s_cselect_b32 s0, s8, s6
	s_add_nc_u64 s[2:3], s[4:5], s[2:3]
	s_lshl_b32 s0, s0, 7
	s_delay_alu instid0(SALU_CYCLE_1)
	s_add_nc_u64 s[0:1], s[2:3], s[0:1]
	s_clause 0x1
	global_store_b32 v0, v2, s[0:1]
	global_store_b32 v0, v3, s[0:1] offset:64
.LBB0_73:
	s_endpgm
	.section	.rodata,"a",@progbits
	.p2align	6, 0x0
	.amdhsa_kernel _ZN4vllm25paged_attention_v1_kernelIffLi32ELi8ELi128ELNS_18Fp8KVCacheDataTypeE0ELb1EEEvPT_PKS2_PKT0_S8_ifPKiSA_iPKfiiiSC_SC_iiiii
		.amdhsa_group_segment_fixed_size 160
		.amdhsa_private_segment_fixed_size 0
		.amdhsa_kernarg_size 384
		.amdhsa_user_sgpr_count 2
		.amdhsa_user_sgpr_dispatch_ptr 0
		.amdhsa_user_sgpr_queue_ptr 0
		.amdhsa_user_sgpr_kernarg_segment_ptr 1
		.amdhsa_user_sgpr_dispatch_id 0
		.amdhsa_user_sgpr_kernarg_preload_length 0
		.amdhsa_user_sgpr_kernarg_preload_offset 0
		.amdhsa_user_sgpr_private_segment_size 0
		.amdhsa_wavefront_size32 1
		.amdhsa_uses_dynamic_stack 0
		.amdhsa_enable_private_segment 0
		.amdhsa_system_sgpr_workgroup_id_x 1
		.amdhsa_system_sgpr_workgroup_id_y 1
		.amdhsa_system_sgpr_workgroup_id_z 1
		.amdhsa_system_sgpr_workgroup_info 0
		.amdhsa_system_vgpr_workitem_id 0
		.amdhsa_next_free_vgpr 36
		.amdhsa_next_free_sgpr 42
		.amdhsa_named_barrier_count 0
		.amdhsa_reserve_vcc 1
		.amdhsa_float_round_mode_32 0
		.amdhsa_float_round_mode_16_64 0
		.amdhsa_float_denorm_mode_32 3
		.amdhsa_float_denorm_mode_16_64 3
		.amdhsa_fp16_overflow 0
		.amdhsa_memory_ordered 1
		.amdhsa_forward_progress 1
		.amdhsa_inst_pref_size 37
		.amdhsa_round_robin_scheduling 0
		.amdhsa_exception_fp_ieee_invalid_op 0
		.amdhsa_exception_fp_denorm_src 0
		.amdhsa_exception_fp_ieee_div_zero 0
		.amdhsa_exception_fp_ieee_overflow 0
		.amdhsa_exception_fp_ieee_underflow 0
		.amdhsa_exception_fp_ieee_inexact 0
		.amdhsa_exception_int_div_zero 0
	.end_amdhsa_kernel
	.section	.text._ZN4vllm25paged_attention_v1_kernelIffLi32ELi8ELi128ELNS_18Fp8KVCacheDataTypeE0ELb1EEEvPT_PKS2_PKT0_S8_ifPKiSA_iPKfiiiSC_SC_iiiii,"axG",@progbits,_ZN4vllm25paged_attention_v1_kernelIffLi32ELi8ELi128ELNS_18Fp8KVCacheDataTypeE0ELb1EEEvPT_PKS2_PKT0_S8_ifPKiSA_iPKfiiiSC_SC_iiiii,comdat
.Lfunc_end0:
	.size	_ZN4vllm25paged_attention_v1_kernelIffLi32ELi8ELi128ELNS_18Fp8KVCacheDataTypeE0ELb1EEEvPT_PKS2_PKT0_S8_ifPKiSA_iPKfiiiSC_SC_iiiii, .Lfunc_end0-_ZN4vllm25paged_attention_v1_kernelIffLi32ELi8ELi128ELNS_18Fp8KVCacheDataTypeE0ELb1EEEvPT_PKS2_PKT0_S8_ifPKiSA_iPKfiiiSC_SC_iiiii
                                        ; -- End function
	.set _ZN4vllm25paged_attention_v1_kernelIffLi32ELi8ELi128ELNS_18Fp8KVCacheDataTypeE0ELb1EEEvPT_PKS2_PKT0_S8_ifPKiSA_iPKfiiiSC_SC_iiiii.num_vgpr, 36
	.set _ZN4vllm25paged_attention_v1_kernelIffLi32ELi8ELi128ELNS_18Fp8KVCacheDataTypeE0ELb1EEEvPT_PKS2_PKT0_S8_ifPKiSA_iPKfiiiSC_SC_iiiii.num_agpr, 0
	.set _ZN4vllm25paged_attention_v1_kernelIffLi32ELi8ELi128ELNS_18Fp8KVCacheDataTypeE0ELb1EEEvPT_PKS2_PKT0_S8_ifPKiSA_iPKfiiiSC_SC_iiiii.numbered_sgpr, 42
	.set _ZN4vllm25paged_attention_v1_kernelIffLi32ELi8ELi128ELNS_18Fp8KVCacheDataTypeE0ELb1EEEvPT_PKS2_PKT0_S8_ifPKiSA_iPKfiiiSC_SC_iiiii.num_named_barrier, 0
	.set _ZN4vllm25paged_attention_v1_kernelIffLi32ELi8ELi128ELNS_18Fp8KVCacheDataTypeE0ELb1EEEvPT_PKS2_PKT0_S8_ifPKiSA_iPKfiiiSC_SC_iiiii.private_seg_size, 0
	.set _ZN4vllm25paged_attention_v1_kernelIffLi32ELi8ELi128ELNS_18Fp8KVCacheDataTypeE0ELb1EEEvPT_PKS2_PKT0_S8_ifPKiSA_iPKfiiiSC_SC_iiiii.uses_vcc, 1
	.set _ZN4vllm25paged_attention_v1_kernelIffLi32ELi8ELi128ELNS_18Fp8KVCacheDataTypeE0ELb1EEEvPT_PKS2_PKT0_S8_ifPKiSA_iPKfiiiSC_SC_iiiii.uses_flat_scratch, 0
	.set _ZN4vllm25paged_attention_v1_kernelIffLi32ELi8ELi128ELNS_18Fp8KVCacheDataTypeE0ELb1EEEvPT_PKS2_PKT0_S8_ifPKiSA_iPKfiiiSC_SC_iiiii.has_dyn_sized_stack, 0
	.set _ZN4vllm25paged_attention_v1_kernelIffLi32ELi8ELi128ELNS_18Fp8KVCacheDataTypeE0ELb1EEEvPT_PKS2_PKT0_S8_ifPKiSA_iPKfiiiSC_SC_iiiii.has_recursion, 0
	.set _ZN4vllm25paged_attention_v1_kernelIffLi32ELi8ELi128ELNS_18Fp8KVCacheDataTypeE0ELb1EEEvPT_PKS2_PKT0_S8_ifPKiSA_iPKfiiiSC_SC_iiiii.has_indirect_call, 0
	.section	.AMDGPU.csdata,"",@progbits
; Kernel info:
; codeLenInByte = 4676
; TotalNumSgprs: 44
; NumVgprs: 36
; ScratchSize: 0
; MemoryBound: 0
; FloatMode: 240
; IeeeMode: 1
; LDSByteSize: 160 bytes/workgroup (compile time only)
; SGPRBlocks: 0
; VGPRBlocks: 2
; NumSGPRsForWavesPerEU: 44
; NumVGPRsForWavesPerEU: 36
; NamedBarCnt: 0
; Occupancy: 16
; WaveLimiterHint : 1
; COMPUTE_PGM_RSRC2:SCRATCH_EN: 0
; COMPUTE_PGM_RSRC2:USER_SGPR: 2
; COMPUTE_PGM_RSRC2:TRAP_HANDLER: 0
; COMPUTE_PGM_RSRC2:TGID_X_EN: 1
; COMPUTE_PGM_RSRC2:TGID_Y_EN: 1
; COMPUTE_PGM_RSRC2:TGID_Z_EN: 1
; COMPUTE_PGM_RSRC2:TIDIG_COMP_CNT: 0
	.section	.text._ZN4vllm25paged_attention_v1_kernelIffLi64ELi8ELi128ELNS_18Fp8KVCacheDataTypeE0ELb1EEEvPT_PKS2_PKT0_S8_ifPKiSA_iPKfiiiSC_SC_iiiii,"axG",@progbits,_ZN4vllm25paged_attention_v1_kernelIffLi64ELi8ELi128ELNS_18Fp8KVCacheDataTypeE0ELb1EEEvPT_PKS2_PKT0_S8_ifPKiSA_iPKfiiiSC_SC_iiiii,comdat
	.protected	_ZN4vllm25paged_attention_v1_kernelIffLi64ELi8ELi128ELNS_18Fp8KVCacheDataTypeE0ELb1EEEvPT_PKS2_PKT0_S8_ifPKiSA_iPKfiiiSC_SC_iiiii ; -- Begin function _ZN4vllm25paged_attention_v1_kernelIffLi64ELi8ELi128ELNS_18Fp8KVCacheDataTypeE0ELb1EEEvPT_PKS2_PKT0_S8_ifPKiSA_iPKfiiiSC_SC_iiiii
	.globl	_ZN4vllm25paged_attention_v1_kernelIffLi64ELi8ELi128ELNS_18Fp8KVCacheDataTypeE0ELb1EEEvPT_PKS2_PKT0_S8_ifPKiSA_iPKfiiiSC_SC_iiiii
	.p2align	8
	.type	_ZN4vllm25paged_attention_v1_kernelIffLi64ELi8ELi128ELNS_18Fp8KVCacheDataTypeE0ELb1EEEvPT_PKS2_PKT0_S8_ifPKiSA_iPKfiiiSC_SC_iiiii,@function
_ZN4vllm25paged_attention_v1_kernelIffLi64ELi8ELi128ELNS_18Fp8KVCacheDataTypeE0ELb1EEEvPT_PKS2_PKT0_S8_ifPKiSA_iPKfiiiSC_SC_iiiii: ; @_ZN4vllm25paged_attention_v1_kernelIffLi64ELi8ELi128ELNS_18Fp8KVCacheDataTypeE0ELb1EEEvPT_PKS2_PKT0_S8_ifPKiSA_iPKfiiiSC_SC_iiiii
; %bb.0:
	s_load_b64 s[6:7], s[0:1], 0x20
	s_bfe_u32 s3, ttmp6, 0x4000c
	s_bfe_u32 s5, ttmp6, 0x40010
	s_and_b32 s4, ttmp7, 0xffff
	s_add_co_i32 s3, s3, 1
	s_add_co_i32 s5, s5, 1
	s_and_b32 s2, ttmp6, 15
	s_bfe_u32 s8, ttmp6, 0x40004
	s_mul_i32 s3, ttmp9, s3
	s_mul_i32 s5, s4, s5
	s_getreg_b32 s28, hwreg(HW_REG_IB_STS2, 6, 4)
	s_add_co_i32 s9, s2, s3
	s_add_co_i32 s8, s8, s5
	s_cmp_eq_u32 s28, 0
	s_clause 0x1
	s_load_b32 s29, s[0:1], 0x80
	s_load_b64 s[2:3], s[0:1], 0x30
	s_cselect_b32 s30, s4, s8
	s_cselect_b32 s4, ttmp9, s9
	s_mov_b32 s19, 0
	s_delay_alu instid0(SALU_CYCLE_1) | instskip(SKIP_2) | instid1(SALU_CYCLE_1)
	s_mov_b32 s35, s19
	s_wait_kmcnt 0x0
	s_abs_i32 s5, s6
	s_cvt_f32_u32 s8, s5
	s_sub_co_i32 s9, 0, s5
	s_delay_alu instid0(SALU_CYCLE_2) | instskip(SKIP_2) | instid1(TRANS32_DEP_1)
	v_rcp_iflag_f32_e32 v1, s8
	s_abs_i32 s10, s29
	v_nop
	v_readfirstlane_b32 s8, v1
	s_mul_f32 s8, s8, 0x4f7ffffe
	s_delay_alu instid0(SALU_CYCLE_3) | instskip(NEXT) | instid1(SALU_CYCLE_3)
	s_cvt_u32_f32 s8, s8
	s_mul_i32 s9, s9, s8
	s_delay_alu instid0(SALU_CYCLE_1) | instskip(NEXT) | instid1(SALU_CYCLE_1)
	s_mul_hi_u32 s9, s8, s9
	s_add_co_i32 s8, s8, s9
	s_xor_b32 s9, s29, s6
	s_mul_hi_u32 s8, s10, s8
	s_ashr_i32 s9, s9, 31
	s_mul_i32 s11, s8, s5
	s_delay_alu instid0(SALU_CYCLE_1)
	s_sub_co_i32 s10, s10, s11
	s_add_co_i32 s11, s8, 1
	s_sub_co_i32 s12, s10, s5
	s_cmp_ge_u32 s10, s5
	s_cselect_b32 s8, s11, s8
	s_cselect_b32 s10, s12, s10
	s_add_co_i32 s11, s8, 1
	s_cmp_ge_u32 s10, s5
	s_cselect_b32 s5, s11, s8
	s_load_b64 s[10:11], s[0:1], 0x40
	s_xor_b32 s5, s5, s9
	s_abs_i32 s18, s4
	s_sub_co_i32 s16, s5, s9
	s_mov_b32 s9, s19
	s_abs_i32 s15, s16
	s_delay_alu instid0(SALU_CYCLE_1) | instskip(SKIP_1) | instid1(SALU_CYCLE_2)
	s_cvt_f32_u32 s5, s15
	s_sub_co_i32 s8, 0, s15
	v_rcp_iflag_f32_e32 v1, s5
	v_nop
	s_delay_alu instid0(TRANS32_DEP_1) | instskip(SKIP_1) | instid1(SALU_CYCLE_3)
	v_readfirstlane_b32 s5, v1
	s_mul_f32 s5, s5, 0x4f7ffffe
	s_cvt_u32_f32 s5, s5
	s_delay_alu instid0(SALU_CYCLE_3) | instskip(NEXT) | instid1(SALU_CYCLE_1)
	s_mul_i32 s8, s8, s5
	s_mul_hi_u32 s8, s5, s8
	s_delay_alu instid0(SALU_CYCLE_1)
	s_add_co_i32 s8, s5, s8
	s_wait_kmcnt 0x0
	s_cmp_eq_u64 s[10:11], 0
	s_cbranch_scc1 .LBB1_2
; %bb.1:
	s_ashr_i32 s5, s4, 31
	s_delay_alu instid0(SALU_CYCLE_1) | instskip(NEXT) | instid1(SALU_CYCLE_1)
	s_lshl_b64 s[12:13], s[4:5], 2
	s_add_nc_u64 s[10:11], s[10:11], s[12:13]
	s_load_b32 s35, s[10:11], 0x0
.LBB1_2:
	s_load_b32 s31, s[2:3], s30 offset:0x0 scale_offset
	s_load_b96 s[12:14], s[0:1], 0x48
	v_and_b32_e32 v4, 3, v0
	s_wait_xcnt 0x0
	v_cmp_gt_u32_e64 s2, 64, v0
	s_ashr_i32 s3, s4, 31
	s_ashr_i32 s5, s16, 31
	s_mul_u64 s[20:21], s[18:19], s[8:9]
	s_lshl_b32 s16, s4, 6
	s_and_saveexec_b32 s8, s2
	s_cbranch_execz .LBB1_4
; %bb.3:
	s_load_b64 s[10:11], s[0:1], 0x8
	s_wait_kmcnt 0x0
	s_mul_i32 s22, s12, s30
	s_ashr_i32 s17, s16, 31
	s_ashr_i32 s23, s22, 31
	v_and_b32_e32 v2, 0x3fc, v0
	s_lshl_b64 s[22:23], s[22:23], 2
	s_delay_alu instid0(VALU_DEP_1) | instskip(SKIP_2) | instid1(SALU_CYCLE_1)
	v_lshl_add_u32 v2, v4, 6, v2
	s_add_nc_u64 s[10:11], s[10:11], s[22:23]
	s_lshl_b64 s[22:23], s[16:17], 2
	s_add_nc_u64 s[10:11], s[10:11], s[22:23]
	global_load_b32 v1, v0, s[10:11] scale_offset
	s_wait_loadcnt 0x0
	ds_store_b32 v2, v1
.LBB1_4:
	s_or_b32 exec_lo, exec_lo, s8
	s_load_b128 s[8:11], s[0:1], 0x68
	s_wait_kmcnt 0x0
	s_mul_i32 s12, s21, s15
	s_xor_b32 s5, s3, s5
	s_sub_co_i32 s3, s18, s12
	s_add_co_i32 s12, s21, 1
	s_sub_co_i32 s17, s3, s15
	s_cmp_ge_u32 s3, s15
	s_mov_b32 s22, -1
	s_cselect_b32 s12, s12, s21
	s_cselect_b32 s3, s17, s3
	s_add_co_i32 s17, s12, 1
	s_cmp_ge_u32 s3, s15
	s_load_b32 s3, s[0:1], 0x78
	s_cselect_b32 s15, s17, s12
	s_mov_b32 s21, 0
	s_xor_b32 s15, s15, s5
	s_mov_b32 s19, s21
	s_sub_co_i32 s5, s15, s5
	s_wait_dscnt 0x0
	s_barrier_signal -1
	s_abs_i32 s12, s11
	s_barrier_wait -1
	s_cvt_f32_u32 s17, s12
	s_sub_co_i32 s18, 0, s12
	s_delay_alu instid0(SALU_CYCLE_2) | instskip(SKIP_1) | instid1(TRANS32_DEP_1)
	v_rcp_iflag_f32_e32 v1, s17
	v_nop
	v_readfirstlane_b32 s17, v1
	s_mul_f32 s15, s17, 0x4f7ffffe
	s_delay_alu instid0(SALU_CYCLE_3) | instskip(SKIP_1) | instid1(SALU_CYCLE_1)
	s_cvt_u32_f32 s17, s15
	s_add_co_i32 s15, s31, -1
	s_abs_i32 s20, s15
	s_delay_alu instid0(SALU_CYCLE_1) | instskip(NEXT) | instid1(SALU_CYCLE_1)
	s_mul_i32 s18, s18, s17
	s_mul_hi_u32 s18, s17, s18
	s_delay_alu instid0(SALU_CYCLE_1)
	s_add_co_i32 s18, s17, s18
	s_wait_kmcnt 0x0
	s_cmp_lt_i32 s3, 0
                                        ; implicit-def: $sgpr17
	s_cbranch_scc0 .LBB1_6
; %bb.5:
	s_mul_i32 s6, s8, s6
	s_mov_b32 s22, s21
	s_add_co_i32 s6, s5, s6
	s_delay_alu instid0(SALU_CYCLE_1) | instskip(NEXT) | instid1(SALU_CYCLE_1)
	s_mul_i32 s6, s6, s3
	s_sub_co_i32 s17, 1, s6
.LBB1_6:
	s_ashr_i32 s6, s15, 31
	s_ashr_i32 s33, s11, 31
	s_and_not1_b32 vcc_lo, exec_lo, s22
	s_mul_u64 s[24:25], s[20:21], s[18:19]
	s_cbranch_vccnz .LBB1_8
; %bb.7:
	s_mul_i32 s8, s29, s8
	s_delay_alu instid0(SALU_CYCLE_1) | instskip(NEXT) | instid1(SALU_CYCLE_1)
	s_add_co_i32 s4, s8, s4
	s_mul_i32 s3, s4, s3
	s_delay_alu instid0(SALU_CYCLE_1)
	s_add_co_i32 s17, s3, 1
.LBB1_8:
	s_load_b32 s3, s[0:1], 0x38
	s_xor_b32 s4, s6, s33
	s_mul_i32 s6, s25, s12
	s_add_co_i32 s8, s25, 1
	s_sub_co_i32 s6, s20, s6
	s_clause 0x1
	s_load_b64 s[22:23], s[0:1], 0x28
	s_load_b32 s11, s[0:1], 0x88
	v_dual_mov_b32 v12, 0xff7fffff :: v_dual_lshrrev_b32 v1, 5, v0
	v_lshrrev_b32_e32 v8, 3, v0
	v_mbcnt_lo_u32_b32 v9, -1, 0
	s_mul_i32 s14, s5, s14
	s_delay_alu instid0(VALU_DEP_3)
	v_lshlrev_b32_e32 v22, 3, v1
	s_wait_kmcnt 0x0
	s_mul_i32 s20, s3, s30
	s_sub_co_i32 s3, s6, s12
	s_ashr_i32 s21, s20, 31
	s_cmp_ge_u32 s6, s12
	s_cselect_b32 s8, s8, s25
	s_cselect_b32 s3, s3, s6
	s_add_co_i32 s6, s8, 1
	s_cmp_ge_u32 s3, s12
	s_cselect_b32 s3, s6, s8
	s_add_co_i32 s6, s31, 7
	s_delay_alu instid0(SALU_CYCLE_1) | instskip(NEXT) | instid1(SALU_CYCLE_1)
	s_ashr_i32 s8, s6, 31
	s_lshr_b32 s8, s8, 29
	s_delay_alu instid0(SALU_CYCLE_1) | instskip(NEXT) | instid1(SALU_CYCLE_1)
	s_add_co_i32 s6, s6, s8
	s_ashr_i32 s34, s6, 3
	s_xor_b32 s6, s3, s4
	v_cmp_gt_i32_e64 s3, s34, v1
	s_sub_co_i32 s8, s6, s4
	s_and_saveexec_b32 s36, s3
	s_cbranch_execz .LBB1_20
; %bb.9:
	s_load_b64 s[38:39], s[0:1], 0x10
	s_ashr_i32 s15, s14, 31
	s_sub_co_i32 s37, s8, s9
	s_ashr_i32 s25, s13, 31
	s_lshl_b64 s[40:41], s[14:15], 2
	s_cmp_neq_f32 s35, 0
	v_bfe_u32 v10, v0, 2, 3
	v_dual_mov_b32 v3, 0 :: v_dual_lshlrev_b32 v11, 6, v4
	s_cselect_b32 vcc_lo, -1, 0
	s_abs_i32 s15, s10
	s_delay_alu instid0(VALU_DEP_2)
	v_lshlrev_b32_e32 v2, 4, v10
	s_cvt_f32_u32 s4, s15
	v_subrev_nc_u32_e32 v13, s31, v10
	v_lshlrev_b32_e32 v12, 2, v10
	s_sub_co_i32 s6, 0, s15
	v_rcp_iflag_f32_e32 v5, s4
	v_cmp_eq_u32_e64 s4, 0, v4
	v_dual_mov_b32 v18, v1 :: v_dual_bitop2_b32 v16, 2, v9 bitop3:0x14
	s_wait_kmcnt 0x0
	s_add_nc_u64 s[38:39], s[38:39], s[40:41]
	v_lshl_or_b32 v12, v1, 5, v12
	v_add_nc_u64_e32 v[6:7], s[38:39], v[2:3]
	v_readfirstlane_b32 s5, v5
	v_dual_lshlrev_b32 v2, 2, v4 :: v_dual_add_nc_u32 v13, 1, v13
	s_lshl_b64 s[38:39], s[20:21], 2
	v_add_nc_u32_e32 v14, 0x120, v12
	s_mul_f32 s5, s5, 0x4f7ffffe
	s_delay_alu instid0(VALU_DEP_2)
	v_add_nc_u64_e32 v[4:5], v[6:7], v[2:3]
	v_and_b32_e32 v2, 0x7c, v8
	s_add_nc_u64 s[38:39], s[22:23], s[38:39]
	s_cvt_u32_f32 s5, s5
	v_xor_b32_e32 v17, 1, v9
	v_mov_b32_e32 v15, 0xff7fffff
	v_add_nc_u64_e32 v[6:7], s[38:39], v[2:3]
	s_mul_i32 s6, s6, s5
	v_lshlrev_b32_e32 v2, 3, v1
	v_mov_b32_e32 v12, 0xff7fffff
	s_mov_b32 s27, 0
	s_mul_hi_u32 s6, s5, s6
	s_mov_b32 s24, s13
	s_add_co_i32 s26, s5, s6
	s_mov_b32 s38, s27
	s_branch .LBB1_12
.LBB1_10:                               ;   in Loop: Header=BB1_12 Depth=1
	s_or_b32 exec_lo, exec_lo, s39
.LBB1_11:                               ;   in Loop: Header=BB1_12 Depth=1
	s_delay_alu instid0(SALU_CYCLE_1) | instskip(SKIP_4) | instid1(VALU_DEP_4)
	s_or_b32 exec_lo, exec_lo, s6
	v_add_nc_u32_e32 v18, 4, v18
	v_add_nc_u64_e32 v[6:7], 16, v[6:7]
	v_add_nc_u32_e32 v2, 32, v2
	v_add_nc_u32_e32 v14, 0x80, v14
	v_cmp_le_i32_e64 s5, s34, v18
	s_or_b32 s38, s5, s38
	s_delay_alu instid0(SALU_CYCLE_1)
	s_and_not1_b32 exec_lo, exec_lo, s38
	s_cbranch_execz .LBB1_19
.LBB1_12:                               ; =>This Inner Loop Header: Depth=1
	s_wait_dscnt 0x0
	v_mul_u64_e32 v[20:21], s[18:19], v[2:3]
	s_delay_alu instid0(VALU_DEP_1) | instskip(NEXT) | instid1(VALU_DEP_1)
	v_mul_lo_u32 v19, v21, s12
	v_dual_add_nc_u32 v20, 1, v21 :: v_dual_sub_nc_u32 v19, v2, v19
	s_delay_alu instid0(VALU_DEP_1) | instskip(SKIP_1) | instid1(VALU_DEP_1)
	v_subrev_nc_u32_e32 v23, s12, v19
	v_cmp_le_u32_e64 s5, s12, v19
	v_dual_cndmask_b32 v20, v21, v20, s5 :: v_dual_cndmask_b32 v19, v19, v23, s5
	s_delay_alu instid0(VALU_DEP_1) | instskip(NEXT) | instid1(VALU_DEP_2)
	v_add_nc_u32_e32 v21, 1, v20
	v_cmp_le_u32_e64 s5, s12, v19
	s_delay_alu instid0(VALU_DEP_1) | instskip(NEXT) | instid1(VALU_DEP_1)
	v_dual_cndmask_b32 v19, v20, v21, s5 :: v_dual_mov_b32 v21, v3
	v_xor_b32_e32 v19, s33, v19
	s_delay_alu instid0(VALU_DEP_1) | instskip(NEXT) | instid1(VALU_DEP_1)
	v_subrev_nc_u32_e32 v19, s33, v19
	v_add_nc_u32_e32 v23, s17, v19
	v_cmp_ge_i32_e64 s6, s37, v19
	s_delay_alu instid0(VALU_DEP_2) | instskip(NEXT) | instid1(VALU_DEP_1)
	v_sub_nc_u32_e32 v20, 0, v23
	v_dual_ashrrev_i32 v23, 31, v23 :: v_dual_max_i32 v20, v23, v20
	s_delay_alu instid0(VALU_DEP_1) | instskip(NEXT) | instid1(VALU_DEP_1)
	v_mul_u64_e32 v[24:25], s[26:27], v[20:21]
	v_mul_lo_u32 v21, v25, s15
	s_delay_alu instid0(VALU_DEP_1) | instskip(NEXT) | instid1(VALU_DEP_1)
	v_sub_nc_u32_e32 v20, v20, v21
	v_subrev_nc_u32_e32 v21, s15, v20
	v_cmp_le_u32_e64 s5, s15, v20
	s_delay_alu instid0(VALU_DEP_1) | instskip(NEXT) | instid1(VALU_DEP_1)
	v_cndmask_b32_e64 v20, v20, v21, s5
	v_subrev_nc_u32_e32 v21, s15, v20
	v_cmp_le_u32_e64 s5, s15, v20
	s_delay_alu instid0(VALU_DEP_1) | instskip(NEXT) | instid1(VALU_DEP_1)
	v_cndmask_b32_e64 v20, v20, v21, s5
	v_xor_b32_e32 v20, v20, v23
	s_delay_alu instid0(VALU_DEP_1) | instskip(NEXT) | instid1(VALU_DEP_1)
	v_sub_nc_u32_e32 v20, v20, v23
	v_cmp_ne_u32_e64 s5, 0, v20
	s_and_b32 s5, s5, s6
	s_delay_alu instid0(SALU_CYCLE_1) | instskip(NEXT) | instid1(SALU_CYCLE_1)
	s_and_saveexec_b32 s6, s5
	s_xor_b32 s5, exec_lo, s6
	s_cbranch_execz .LBB1_16
; %bb.13:                               ;   in Loop: Header=BB1_12 Depth=1
	s_and_saveexec_b32 s6, s4
; %bb.14:                               ;   in Loop: Header=BB1_12 Depth=1
	ds_store_b32 v14, v15
; %bb.15:                               ;   in Loop: Header=BB1_12 Depth=1
	s_or_b32 exec_lo, exec_lo, s6
.LBB1_16:                               ;   in Loop: Header=BB1_12 Depth=1
	s_and_not1_saveexec_b32 s6, s5
	s_cbranch_execz .LBB1_11
; %bb.17:                               ;   in Loop: Header=BB1_12 Depth=1
	global_load_b32 v20, v[6:7], off
	v_cmp_gt_i32_e64 s5, 32, v16
	s_wait_loadcnt 0x0
	v_ashrrev_i32_e32 v21, 31, v20
	s_delay_alu instid0(VALU_DEP_1) | instskip(NEXT) | instid1(VALU_DEP_1)
	v_mul_u64_e32 v[20:21], s[24:25], v[20:21]
	v_lshl_add_u64 v[20:21], v[20:21], 2, v[4:5]
	s_clause 0xf
	global_load_b32 v19, v[20:21], off offset:128
	global_load_b32 v23, v[20:21], off
	global_load_b32 v32, v[20:21], off offset:256
	global_load_b32 v33, v[20:21], off offset:384
	global_load_b32 v34, v[20:21], off offset:512
	global_load_b32 v35, v[20:21], off offset:640
	global_load_b32 v36, v[20:21], off offset:768
	global_load_b32 v37, v[20:21], off offset:896
	global_load_b32 v38, v[20:21], off offset:1024
	global_load_b32 v39, v[20:21], off offset:1152
	global_load_b32 v40, v[20:21], off offset:1280
	global_load_b32 v41, v[20:21], off offset:1408
	global_load_b32 v42, v[20:21], off offset:1536
	global_load_b32 v43, v[20:21], off offset:1664
	global_load_b32 v44, v[20:21], off offset:1792
	global_load_b32 v20, v[20:21], off offset:1920
	ds_load_b128 v[24:27], v11
	ds_load_b128 v[28:31], v11 offset:16
	s_wait_xcnt 0x0
	v_cndmask_b32_e64 v21, v9, v16, s5
	v_cmp_gt_i32_e64 s5, 32, v17
	s_wait_loadcnt_dscnt 0xf01
	s_delay_alu instid0(VALU_DEP_2) | instskip(SKIP_1) | instid1(VALU_DEP_1)
	v_dual_lshlrev_b32 v21, 2, v21 :: v_dual_mul_f32 v19, v25, v19
	s_wait_loadcnt 0xe
	v_fmac_f32_e32 v19, v24, v23
	s_wait_loadcnt 0xd
	s_delay_alu instid0(VALU_DEP_1) | instskip(SKIP_1) | instid1(VALU_DEP_1)
	v_fmac_f32_e32 v19, v26, v32
	s_wait_loadcnt 0xc
	v_fmac_f32_e32 v19, v27, v33
	ds_load_b128 v[24:27], v11 offset:32
	s_wait_loadcnt_dscnt 0xb01
	v_fmac_f32_e32 v19, v28, v34
	s_wait_loadcnt 0xa
	s_delay_alu instid0(VALU_DEP_1) | instskip(SKIP_1) | instid1(VALU_DEP_1)
	v_fmac_f32_e32 v19, v29, v35
	s_wait_loadcnt 0x9
	v_fmac_f32_e32 v19, v30, v36
	s_wait_loadcnt 0x8
	s_delay_alu instid0(VALU_DEP_1) | instskip(SKIP_4) | instid1(VALU_DEP_1)
	v_fmac_f32_e32 v19, v31, v37
	ds_load_b128 v[28:31], v11 offset:48
	s_wait_loadcnt_dscnt 0x701
	v_fmac_f32_e32 v19, v24, v38
	s_wait_loadcnt 0x6
	v_fmac_f32_e32 v19, v25, v39
	s_wait_loadcnt 0x5
	s_delay_alu instid0(VALU_DEP_1) | instskip(SKIP_1) | instid1(VALU_DEP_1)
	v_fmac_f32_e32 v19, v26, v40
	s_wait_loadcnt 0x4
	v_fmac_f32_e32 v19, v27, v41
	s_wait_loadcnt_dscnt 0x300
	s_delay_alu instid0(VALU_DEP_1) | instskip(SKIP_1) | instid1(VALU_DEP_1)
	v_fmac_f32_e32 v19, v28, v42
	s_wait_loadcnt 0x2
	v_fmac_f32_e32 v19, v29, v43
	s_wait_loadcnt 0x1
	s_delay_alu instid0(VALU_DEP_1) | instskip(SKIP_1) | instid1(VALU_DEP_1)
	v_fmac_f32_e32 v19, v30, v44
	s_wait_loadcnt 0x0
	v_fmac_f32_e32 v19, v31, v20
	ds_bpermute_b32 v20, v21, v19
	v_cndmask_b32_e64 v21, v9, v17, s5
	s_wait_dscnt 0x0
	s_delay_alu instid0(VALU_DEP_1)
	v_dual_lshlrev_b32 v21, 2, v21 :: v_dual_add_f32 v19, v19, v20
	ds_bpermute_b32 v20, v21, v19
	s_and_saveexec_b32 s39, s4
	s_cbranch_execz .LBB1_10
; %bb.18:                               ;   in Loop: Header=BB1_12 Depth=1
	s_wait_dscnt 0x0
	v_dual_add_nc_u32 v21, v13, v2 :: v_dual_add_f32 v19, v19, v20
	s_delay_alu instid0(VALU_DEP_1) | instskip(NEXT) | instid1(VALU_DEP_1)
	v_cvt_f32_i32_e32 v21, v21
	v_mul_f32_e32 v21, s35, v21
	s_delay_alu instid0(VALU_DEP_1) | instskip(NEXT) | instid1(VALU_DEP_1)
	v_dual_cndmask_b32 v20, 0, v21 :: v_dual_max_num_f32 v21, v12, v12
	v_dual_fmac_f32 v20, s7, v19 :: v_dual_add_nc_u32 v19, v10, v2
	s_delay_alu instid0(VALU_DEP_1) | instskip(NEXT) | instid1(VALU_DEP_2)
	v_max_num_f32_e32 v21, v21, v20
	v_cmp_gt_i32_e64 s5, s31, v19
	s_delay_alu instid0(VALU_DEP_1)
	v_dual_cndmask_b32 v19, 0, v20, s5 :: v_dual_cndmask_b32 v12, v12, v21, s5
	ds_store_b32 v14, v19
	s_branch .LBB1_10
.LBB1_19:
	s_or_b32 exec_lo, exec_lo, s38
.LBB1_20:
	s_delay_alu instid0(SALU_CYCLE_1)
	s_or_b32 exec_lo, exec_lo, s36
	v_dual_max_num_f32 v5, v12, v12 :: v_dual_bitop2_b32 v2, 16, v9 bitop3:0x14
	s_clause 0x1
	s_load_b64 s[6:7], s[0:1], 0x0
	s_load_b64 s[24:25], s[0:1], 0x18
	v_and_b32_e32 v32, 31, v0
	v_xor_b32_e32 v4, 8, v9
	v_cmp_gt_i32_e32 vcc_lo, 32, v2
	v_cndmask_b32_e32 v2, v9, v2, vcc_lo
	s_delay_alu instid0(VALU_DEP_3) | instskip(NEXT) | instid1(VALU_DEP_2)
	v_cmp_gt_i32_e32 vcc_lo, 32, v4
	v_dual_lshlrev_b32 v2, 2, v2 :: v_dual_cndmask_b32 v4, v9, v4, vcc_lo
	ds_bpermute_b32 v3, v2, v12
	s_wait_dscnt 0x0
	v_dual_max_num_f32 v6, v3, v3 :: v_dual_lshlrev_b32 v3, 2, v4
	s_delay_alu instid0(VALU_DEP_1) | instskip(SKIP_4) | instid1(VALU_DEP_1)
	v_dual_max_num_f32 v4, v5, v6 :: v_dual_bitop2_b32 v6, 4, v9 bitop3:0x14
	ds_bpermute_b32 v5, v3, v4
	v_cmp_gt_i32_e32 vcc_lo, 32, v6
	v_cndmask_b32_e32 v6, v9, v6, vcc_lo
	s_wait_dscnt 0x0
	v_dual_max_num_f32 v5, v5, v5 :: v_dual_lshlrev_b32 v6, 2, v6
	s_delay_alu instid0(VALU_DEP_1)
	v_max_num_f32_e32 v5, v4, v5
	v_lshlrev_b32_e32 v4, 2, v1
	v_cmp_eq_u32_e32 vcc_lo, 0, v32
	ds_bpermute_b32 v7, v6, v5
	s_wait_xcnt 0x0
	s_and_saveexec_b32 s0, vcc_lo
	s_cbranch_execz .LBB1_22
; %bb.21:
	s_wait_dscnt 0x0
	v_dual_max_num_f32 v7, v7, v7 :: v_dual_max_num_f32 v5, v5, v5
	s_delay_alu instid0(VALU_DEP_1)
	v_max_num_f32_e32 v5, v5, v7
	ds_store_b32 v4, v5 offset:256
.LBB1_22:
	s_or_b32 exec_lo, exec_lo, s0
	v_cmp_gt_u32_e64 s0, 4, v32
	v_dual_mov_b32 v10, 0xff7fffff :: v_dual_lshlrev_b32 v5, 2, v32
	s_wait_dscnt 0x0
	s_barrier_signal -1
	s_barrier_wait -1
	s_and_saveexec_b32 s1, s0
; %bb.23:
	ds_load_b32 v10, v5 offset:256
; %bb.24:
	s_or_b32 exec_lo, exec_lo, s1
	v_xor_b32_e32 v7, 2, v9
	v_xor_b32_e32 v12, 1, v9
	s_delay_alu instid0(VALU_DEP_2) | instskip(NEXT) | instid1(VALU_DEP_1)
	v_cmp_gt_i32_e64 s1, 32, v7
	v_cndmask_b32_e64 v7, v9, v7, s1
	s_delay_alu instid0(VALU_DEP_3) | instskip(NEXT) | instid1(VALU_DEP_1)
	v_cmp_gt_i32_e64 s1, 32, v12
	v_dual_lshlrev_b32 v7, 2, v7 :: v_dual_cndmask_b32 v9, v9, v12, s1
	s_lshl_b32 s1, s34, 3
	s_delay_alu instid0(SALU_CYCLE_1)
	s_min_i32 s5, s1, s31
	s_wait_dscnt 0x0
	ds_bpermute_b32 v11, v7, v10
	v_max_num_f32_e32 v10, v10, v10
	v_cmp_gt_i32_e64 s1, s5, v0
	s_wait_dscnt 0x0
	v_dual_lshlrev_b32 v33, 2, v9 :: v_dual_max_num_f32 v11, v11, v11
	s_delay_alu instid0(VALU_DEP_1) | instskip(SKIP_3) | instid1(VALU_DEP_1)
	v_max_num_f32_e32 v9, v10, v11
	ds_bpermute_b32 v10, v33, v9
	s_wait_dscnt 0x0
	v_max_num_f32_e32 v10, v10, v10
	v_dual_max_num_f32 v10, v9, v10 :: v_dual_mov_b32 v9, 0
	ds_bpermute_b32 v10, v9, v10
	s_and_saveexec_b32 s15, s1
	s_cbranch_execz .LBB1_28
; %bb.25:
	v_lshl_add_u32 v11, v0, 2, 0x120
	v_dual_mov_b32 v9, 0 :: v_dual_mov_b32 v12, v0
	s_mov_b32 s26, 0
.LBB1_26:                               ; =>This Inner Loop Header: Depth=1
	ds_load_b32 v13, v11
	v_add_nc_u32_e32 v12, 0x80, v12
	s_delay_alu instid0(VALU_DEP_1) | instskip(SKIP_3) | instid1(VALU_DEP_1)
	v_cmp_le_i32_e64 s4, s5, v12
	s_or_b32 s26, s4, s26
	s_wait_dscnt 0x0
	v_sub_f32_e32 v13, v13, v10
	v_mul_f32_e32 v13, 0x3fb8aa3b, v13
	s_delay_alu instid0(VALU_DEP_1)
	v_exp_f32_e32 v13, v13
	ds_store_b32 v11, v13
	v_nop
	v_add_f32_e32 v9, v9, v13
	v_add_nc_u32_e32 v11, 0x200, v11
	s_and_not1_b32 exec_lo, exec_lo, s26
	s_cbranch_execnz .LBB1_26
; %bb.27:
	s_or_b32 exec_lo, exec_lo, s26
.LBB1_28:
	s_delay_alu instid0(SALU_CYCLE_1)
	s_or_b32 exec_lo, exec_lo, s15
	ds_bpermute_b32 v2, v2, v9
	s_wait_dscnt 0x0
	v_add_f32_e32 v2, v9, v2
	ds_bpermute_b32 v3, v3, v2
	s_wait_dscnt 0x0
	v_add_f32_e32 v2, v2, v3
	;; [unrolled: 3-line block ×5, first 2 shown]
	s_and_saveexec_b32 s4, vcc_lo
; %bb.29:
	ds_store_b32 v4, v2 offset:272
; %bb.30:
	s_or_b32 exec_lo, exec_lo, s4
	s_wait_dscnt 0x0
	s_barrier_signal -1
	s_barrier_wait -1
	s_and_saveexec_b32 s4, s0
; %bb.31:
	ds_load_b32 v2, v5 offset:272
; %bb.32:
	s_or_b32 exec_lo, exec_lo, s4
	s_wait_dscnt 0x0
	ds_bpermute_b32 v3, v7, v2
	s_wait_dscnt 0x0
	v_dual_mov_b32 v25, 0 :: v_dual_add_f32 v2, v2, v3
	ds_bpermute_b32 v3, v33, v2
	s_wait_dscnt 0x0
	v_add_f32_e32 v2, v2, v3
	ds_bpermute_b32 v2, v25, v2
	s_and_saveexec_b32 s0, s1
	s_cbranch_execz .LBB1_45
; %bb.33:
	s_wait_dscnt 0x0
	v_add_f32_e32 v2, 0x358637bd, v2
	s_mov_b32 s4, -1
	s_mov_b32 s1, exec_lo
	s_delay_alu instid0(VALU_DEP_1) | instskip(NEXT) | instid1(VALU_DEP_1)
	v_div_scale_f32 v3, null, v2, v2, 1.0
	v_rcp_f32_e32 v5, v3
	v_nop
	s_delay_alu instid0(TRANS32_DEP_1) | instskip(NEXT) | instid1(VALU_DEP_1)
	v_fma_f32 v4, -v3, v5, 1.0
	v_fmac_f32_e32 v5, v4, v5
	v_div_scale_f32 v6, vcc_lo, 1.0, v2, 1.0
	s_delay_alu instid0(VALU_DEP_1) | instskip(NEXT) | instid1(VALU_DEP_1)
	v_mul_f32_e32 v7, v6, v5
	v_fma_f32 v4, -v3, v7, v6
	s_delay_alu instid0(VALU_DEP_1) | instskip(SKIP_1) | instid1(VALU_DEP_2)
	v_fmac_f32_e32 v7, v4, v5
	v_xad_u32 v4, v0, -1, s5
	v_fma_f32 v3, -v3, v7, v6
	s_delay_alu instid0(VALU_DEP_1) | instskip(NEXT) | instid1(VALU_DEP_1)
	v_div_fmas_f32 v3, v3, v5, v7
	v_div_fixup_f32 v2, v3, v2, 1.0
	v_mov_b32_e32 v3, v0
	v_cmpx_lt_u32_e32 0x7f, v4
	s_cbranch_execz .LBB1_42
; %bb.34:
	s_delay_alu instid0(VALU_DEP_3) | instskip(NEXT) | instid1(VALU_DEP_1)
	v_dual_mov_b32 v3, v2 :: v_dual_lshrrev_b32 v4, 7, v4
	v_dual_mov_b32 v9, 0 :: v_dual_add_nc_u32 v5, -1, v4
	s_delay_alu instid0(VALU_DEP_1) | instskip(SKIP_1) | instid1(VALU_DEP_2)
	v_lshrrev_b32_e32 v6, 1, v5
	v_cmp_lt_u32_e32 vcc_lo, 13, v5
	v_add_nc_u32_e32 v5, 1, v6
	s_and_saveexec_b32 s4, vcc_lo
	s_cbranch_execz .LBB1_38
; %bb.35:
	s_delay_alu instid0(VALU_DEP_1)
	v_and_b32_e32 v6, -8, v5
	v_lshl_add_u32 v7, v0, 2, 0x120
	s_mov_b32 s15, 0
	s_mov_b32 s26, 0
.LBB1_36:                               ; =>This Inner Loop Header: Depth=1
	ds_load_2addr_stride64_b32 v[10:11], v7 offset1:2
	ds_load_2addr_stride64_b32 v[12:13], v7 offset0:4 offset1:6
	ds_load_2addr_stride64_b32 v[14:15], v7 offset0:8 offset1:10
	;; [unrolled: 1-line block ×7, first 2 shown]
	s_add_co_i32 s26, s26, 16
	s_delay_alu instid0(SALU_CYCLE_1) | instskip(NEXT) | instid1(VALU_DEP_1)
	v_dual_mov_b32 v9, s26 :: v_dual_add_nc_u32 v6, -8, v6
	v_cmp_eq_u32_e32 vcc_lo, 0, v6
	s_or_b32 s15, vcc_lo, s15
	s_wait_dscnt 0x7
	v_pk_mul_f32 v[10:11], v[2:3], v[10:11]
	s_wait_dscnt 0x6
	v_pk_mul_f32 v[12:13], v[2:3], v[12:13]
	;; [unrolled: 2-line block ×8, first 2 shown]
	ds_store_2addr_stride64_b32 v7, v10, v11 offset1:2
	ds_store_2addr_stride64_b32 v7, v12, v13 offset0:4 offset1:6
	ds_store_2addr_stride64_b32 v7, v14, v15 offset0:8 offset1:10
	;; [unrolled: 1-line block ×7, first 2 shown]
	v_add_nc_u32_e32 v7, 0x2000, v7
	s_and_not1_b32 exec_lo, exec_lo, s15
	s_cbranch_execnz .LBB1_36
; %bb.37:
	s_or_b32 exec_lo, exec_lo, s15
.LBB1_38:
	s_delay_alu instid0(SALU_CYCLE_1) | instskip(NEXT) | instid1(VALU_DEP_1)
	s_or_b32 exec_lo, exec_lo, s4
	v_and_b32_e32 v5, 7, v5
	s_mov_b32 s15, 0
	s_mov_b32 s4, exec_lo
	s_delay_alu instid0(VALU_DEP_1)
	v_cmpx_ne_u32_e32 0, v5
	s_cbranch_execz .LBB1_41
; %bb.39:
	v_dual_lshlrev_b32 v6, 9, v9 :: v_dual_lshlrev_b32 v7, 2, v0
	s_delay_alu instid0(VALU_DEP_1)
	v_add3_u32 v6, v6, v7, 0x120
.LBB1_40:                               ; =>This Inner Loop Header: Depth=1
	ds_load_2addr_stride64_b32 v[10:11], v6 offset1:2
	v_add_nc_u32_e32 v5, -1, v5
	s_delay_alu instid0(VALU_DEP_1)
	v_cmp_eq_u32_e32 vcc_lo, 0, v5
	s_or_b32 s15, vcc_lo, s15
	s_wait_dscnt 0x0
	v_pk_mul_f32 v[10:11], v[2:3], v[10:11]
	ds_store_2addr_stride64_b32 v6, v10, v11 offset1:2
	v_add_nc_u32_e32 v6, 0x400, v6
	s_and_not1_b32 exec_lo, exec_lo, s15
	s_cbranch_execnz .LBB1_40
.LBB1_41:
	s_or_b32 exec_lo, exec_lo, s4
	v_add_nc_u32_e32 v3, 1, v4
	s_delay_alu instid0(VALU_DEP_1) | instskip(NEXT) | instid1(VALU_DEP_1)
	v_and_b32_e32 v4, 0x3fffffe, v3
	v_cmp_ne_u32_e32 vcc_lo, v3, v4
	v_lshl_add_u32 v3, v4, 7, v0
	s_or_not1_b32 s4, vcc_lo, exec_lo
.LBB1_42:
	s_or_b32 exec_lo, exec_lo, s1
	s_delay_alu instid0(SALU_CYCLE_1)
	s_and_b32 exec_lo, exec_lo, s4
	s_cbranch_execz .LBB1_45
; %bb.43:
	v_lshl_add_u32 v4, v3, 2, 0x120
	s_mov_b32 s1, 0
.LBB1_44:                               ; =>This Inner Loop Header: Depth=1
	ds_load_b32 v5, v4
	v_add_nc_u32_e32 v3, 0x80, v3
	s_delay_alu instid0(VALU_DEP_1)
	v_cmp_le_i32_e32 vcc_lo, s5, v3
	s_or_b32 s1, vcc_lo, s1
	s_wait_dscnt 0x0
	v_mul_f32_e32 v5, v2, v5
	ds_store_b32 v4, v5
	v_add_nc_u32_e32 v4, 0x200, v4
	s_and_not1_b32 exec_lo, exec_lo, s1
	s_cbranch_execnz .LBB1_44
.LBB1_45:
	s_or_b32 exec_lo, exec_lo, s0
	v_dual_mov_b32 v24, 0 :: v_dual_bitop2_b32 v34, 1, v0 bitop3:0x40
	v_dual_mov_b32 v27, 0 :: v_dual_mov_b32 v26, 0
	s_wait_dscnt 0x0
	s_barrier_signal -1
	s_barrier_wait -1
	s_and_saveexec_b32 s1, s3
	s_cbranch_execz .LBB1_59
; %bb.46:
	s_abs_i32 s3, s10
	v_dual_lshlrev_b32 v4, 2, v0 :: v_dual_lshlrev_b32 v3, 4, v0
	s_cvt_f32_u32 s0, s3
	v_dual_mov_b32 v23, 0 :: v_dual_lshlrev_b32 v5, 4, v34
	s_ashr_i32 s15, s14, 31
	s_delay_alu instid0(SALU_CYCLE_1)
	v_rcp_iflag_f32_e32 v2, s0
	s_lshl_b64 s[14:15], s[14:15], 2
	s_sub_co_i32 s10, s8, s9
	s_wait_kmcnt 0x0
	s_add_nc_u64 s[14:15], s[24:25], s[14:15]
	s_sub_co_i32 s8, 0, s3
	v_dual_mov_b32 v26, v23 :: v_dual_mov_b32 v27, v23
	v_readfirstlane_b32 s0, v2
	v_and_b32_e32 v2, 0x1f0, v3
	v_dual_mov_b32 v3, v23 :: v_dual_bitop2_b32 v35, 4, v4 bitop3:0x40
	v_lshl_or_b32 v4, v1, 5, v5
	s_mul_f32 s0, s0, 0x4f7ffffe
	v_mov_b32_e32 v37, v1
	s_delay_alu instid0(VALU_DEP_3)
	v_add_nc_u64_e32 v[28:29], s[14:15], v[2:3]
	v_and_b32_e32 v2, 0x7c, v8
	s_lshl_b64 s[14:15], s[20:21], 2
	s_cvt_u32_f32 s0, s0
	s_add_nc_u64 s[14:15], s[22:23], s[14:15]
	v_add_nc_u32_e32 v36, 0x120, v4
	v_add_nc_u64_e32 v[30:31], s[14:15], v[2:3]
	s_mul_i32 s8, s8, s0
	v_dual_mov_b32 v24, v23 :: v_dual_mov_b32 v25, v23
	s_mov_b32 s9, 0
	s_mul_hi_u32 s8, s0, s8
	s_ashr_i32 s5, s13, 31
	s_mov_b32 s4, s13
	s_add_co_i32 s13, s34, -1
	s_mov_b32 s14, s31
	s_add_co_i32 s8, s0, s8
	s_mov_b32 s15, s9
	s_branch .LBB1_49
.LBB1_47:                               ;   in Loop: Header=BB1_49 Depth=1
	s_or_b32 exec_lo, exec_lo, s0
	s_wait_loadcnt_dscnt 0x200
	v_mul_f32_e32 v10, v6, v10
	s_wait_loadcnt 0x1
	v_mul_f32_e32 v14, v6, v14
	s_wait_loadcnt 0x0
	v_pk_mul_f32 v[18:19], v[6:7], v[18:19]
	v_pk_mul_f32 v[20:21], v[8:9], v[20:21]
	v_fmac_f32_e32 v10, v7, v11
	v_dual_fmac_f32 v14, v7, v15 :: v_dual_mul_f32 v2, v6, v2
	s_delay_alu instid0(VALU_DEP_2) | instskip(NEXT) | instid1(VALU_DEP_2)
	v_fmac_f32_e32 v10, v8, v12
	v_fmac_f32_e32 v14, v8, v16
	s_delay_alu instid0(VALU_DEP_3) | instskip(NEXT) | instid1(VALU_DEP_3)
	v_fmac_f32_e32 v2, v7, v3
	v_dual_add_f32 v3, v19, v18 :: v_dual_fmac_f32 v10, v9, v13
	s_delay_alu instid0(VALU_DEP_1) | instskip(NEXT) | instid1(VALU_DEP_2)
	v_dual_fmac_f32 v14, v9, v17 :: v_dual_add_f32 v3, v20, v3
	v_dual_fmac_f32 v2, v8, v4 :: v_dual_add_f32 v27, v27, v10
	s_delay_alu instid0(VALU_DEP_2) | instskip(NEXT) | instid1(VALU_DEP_2)
	v_dual_add_f32 v24, v24, v14 :: v_dual_add_f32 v3, v21, v3
	v_fmac_f32_e32 v2, v9, v5
	s_delay_alu instid0(VALU_DEP_1)
	v_dual_add_f32 v25, v25, v3 :: v_dual_add_f32 v26, v26, v2
.LBB1_48:                               ;   in Loop: Header=BB1_49 Depth=1
	s_or_b32 exec_lo, exec_lo, s20
	v_dual_add_nc_u32 v37, 4, v37 :: v_dual_add_nc_u32 v22, 32, v22
	v_add_nc_u64_e32 v[30:31], 16, v[30:31]
	v_add_nc_u32_e32 v36, 0x80, v36
	s_delay_alu instid0(VALU_DEP_3) | instskip(SKIP_1) | instid1(SALU_CYCLE_1)
	v_cmp_le_i32_e32 vcc_lo, s34, v37
	s_or_b32 s15, vcc_lo, s15
	s_and_not1_b32 exec_lo, exec_lo, s15
	s_cbranch_execz .LBB1_58
.LBB1_49:                               ; =>This Inner Loop Header: Depth=1
	v_mul_u64_e32 v[2:3], s[18:19], v[22:23]
	s_delay_alu instid0(VALU_DEP_1) | instskip(NEXT) | instid1(VALU_DEP_1)
	v_mul_lo_u32 v2, v3, s12
	v_dual_add_nc_u32 v4, 1, v3 :: v_dual_sub_nc_u32 v2, v22, v2
	s_delay_alu instid0(VALU_DEP_1) | instskip(SKIP_1) | instid1(VALU_DEP_2)
	v_subrev_nc_u32_e32 v5, s12, v2
	v_cmp_le_u32_e32 vcc_lo, s12, v2
	v_dual_cndmask_b32 v3, v3, v4 :: v_dual_cndmask_b32 v2, v2, v5
	s_delay_alu instid0(VALU_DEP_1) | instskip(NEXT) | instid1(VALU_DEP_2)
	v_add_nc_u32_e32 v4, 1, v3
	v_cmp_le_u32_e32 vcc_lo, s12, v2
	s_delay_alu instid0(VALU_DEP_2) | instskip(NEXT) | instid1(VALU_DEP_1)
	v_cndmask_b32_e32 v2, v3, v4, vcc_lo
	v_dual_mov_b32 v3, v23 :: v_dual_bitop2_b32 v2, s33, v2 bitop3:0x14
	s_delay_alu instid0(VALU_DEP_1) | instskip(NEXT) | instid1(VALU_DEP_1)
	v_subrev_nc_u32_e32 v6, s33, v2
	v_add_nc_u32_e32 v7, s17, v6
	v_cmp_lt_i32_e64 s0, s10, v6
	s_delay_alu instid0(VALU_DEP_2) | instskip(NEXT) | instid1(VALU_DEP_1)
	v_sub_nc_u32_e32 v2, 0, v7
	v_max_i32_e32 v2, v7, v2
	s_delay_alu instid0(VALU_DEP_1) | instskip(SKIP_1) | instid1(VALU_DEP_2)
	v_mul_u64_e32 v[4:5], s[8:9], v[2:3]
	v_ashrrev_i32_e32 v4, 31, v7
	v_mul_lo_u32 v3, v5, s3
	s_delay_alu instid0(VALU_DEP_1) | instskip(NEXT) | instid1(VALU_DEP_1)
	v_sub_nc_u32_e32 v2, v2, v3
	v_subrev_nc_u32_e32 v3, s3, v2
	v_cmp_le_u32_e32 vcc_lo, s3, v2
	s_delay_alu instid0(VALU_DEP_2) | instskip(NEXT) | instid1(VALU_DEP_1)
	v_cndmask_b32_e32 v2, v2, v3, vcc_lo
	v_subrev_nc_u32_e32 v3, s3, v2
	v_cmp_le_u32_e32 vcc_lo, s3, v2
	s_delay_alu instid0(VALU_DEP_2) | instskip(NEXT) | instid1(VALU_DEP_1)
	v_cndmask_b32_e32 v2, v2, v3, vcc_lo
	v_xor_b32_e32 v2, v2, v4
	s_delay_alu instid0(VALU_DEP_1) | instskip(NEXT) | instid1(VALU_DEP_1)
	v_sub_nc_u32_e32 v2, v2, v4
	v_cmp_eq_u32_e32 vcc_lo, 0, v2
	s_or_b32 s0, vcc_lo, s0
	s_delay_alu instid0(SALU_CYCLE_1)
	s_and_saveexec_b32 s20, s0
	s_cbranch_execz .LBB1_48
; %bb.50:                               ;   in Loop: Header=BB1_49 Depth=1
	global_load_b32 v2, v[30:31], off
	ds_load_b128 v[6:9], v36
	v_add_nc_u32_e32 v38, v35, v22
	v_cmp_eq_u32_e32 vcc_lo, s13, v37
	s_delay_alu instid0(VALU_DEP_2) | instskip(SKIP_3) | instid1(VALU_DEP_1)
	v_dual_add_nc_u32 v41, 1, v38 :: v_dual_bitop2_b32 v40, 3, v38 bitop3:0x54
	v_or_b32_e32 v39, 2, v38
	s_wait_loadcnt 0x0
	v_ashrrev_i32_e32 v3, 31, v2
	v_mul_u64_e32 v[2:3], s[4:5], v[2:3]
	s_delay_alu instid0(VALU_DEP_1)
	v_lshl_add_u64 v[18:19], v[2:3], 2, v[28:29]
	global_load_b128 v[2:5], v[18:19], off
	s_wait_xcnt 0x0
	s_and_saveexec_b32 s21, vcc_lo
	s_cbranch_execnz .LBB1_54
; %bb.51:                               ;   in Loop: Header=BB1_49 Depth=1
	s_or_b32 exec_lo, exec_lo, s21
	global_load_b128 v[10:13], v[18:19], off offset:512
	s_wait_xcnt 0x0
	s_and_saveexec_b32 s21, vcc_lo
	s_cbranch_execnz .LBB1_55
.LBB1_52:                               ;   in Loop: Header=BB1_49 Depth=1
	s_or_b32 exec_lo, exec_lo, s21
	global_load_b128 v[14:17], v[18:19], off offset:1024
	s_wait_xcnt 0x0
	s_and_saveexec_b32 s21, vcc_lo
	s_cbranch_execnz .LBB1_56
.LBB1_53:                               ;   in Loop: Header=BB1_49 Depth=1
	s_or_b32 exec_lo, exec_lo, s21
	global_load_b128 v[18:21], v[18:19], off offset:1536
	s_wait_xcnt 0x0
	s_and_saveexec_b32 s0, vcc_lo
	s_cbranch_execz .LBB1_47
	s_branch .LBB1_57
.LBB1_54:                               ;   in Loop: Header=BB1_49 Depth=1
	v_cmp_gt_i32_e64 s0, s14, v41
	s_wait_loadcnt 0x0
	s_delay_alu instid0(VALU_DEP_1) | instskip(SKIP_1) | instid1(VALU_DEP_1)
	v_cndmask_b32_e64 v3, 0, v3, s0
	v_cmp_gt_i32_e64 s0, s31, v38
	v_cndmask_b32_e64 v2, 0, v2, s0
	v_cmp_gt_i32_e64 s0, s14, v40
	s_delay_alu instid0(VALU_DEP_1) | instskip(SKIP_1) | instid1(VALU_DEP_1)
	v_cndmask_b32_e64 v5, 0, v5, s0
	v_cmp_gt_i32_e64 s0, s31, v39
	v_cndmask_b32_e64 v4, 0, v4, s0
	s_or_b32 exec_lo, exec_lo, s21
	global_load_b128 v[10:13], v[18:19], off offset:512
	s_wait_xcnt 0x0
	s_and_saveexec_b32 s21, vcc_lo
	s_cbranch_execz .LBB1_52
.LBB1_55:                               ;   in Loop: Header=BB1_49 Depth=1
	v_cmp_gt_i32_e64 s0, s14, v41
	s_wait_loadcnt 0x0
	s_delay_alu instid0(VALU_DEP_1) | instskip(SKIP_1) | instid1(VALU_DEP_1)
	v_cndmask_b32_e64 v11, 0, v11, s0
	v_cmp_gt_i32_e64 s0, s31, v38
	v_cndmask_b32_e64 v10, 0, v10, s0
	v_cmp_gt_i32_e64 s0, s14, v40
	s_delay_alu instid0(VALU_DEP_1) | instskip(SKIP_1) | instid1(VALU_DEP_1)
	v_cndmask_b32_e64 v13, 0, v13, s0
	v_cmp_gt_i32_e64 s0, s31, v39
	v_cndmask_b32_e64 v12, 0, v12, s0
	s_or_b32 exec_lo, exec_lo, s21
	global_load_b128 v[14:17], v[18:19], off offset:1024
	s_wait_xcnt 0x0
	s_and_saveexec_b32 s21, vcc_lo
	s_cbranch_execz .LBB1_53
.LBB1_56:                               ;   in Loop: Header=BB1_49 Depth=1
	v_cmp_gt_i32_e64 s0, s14, v41
	s_wait_loadcnt 0x0
	s_delay_alu instid0(VALU_DEP_1) | instskip(SKIP_1) | instid1(VALU_DEP_1)
	v_cndmask_b32_e64 v15, 0, v15, s0
	v_cmp_gt_i32_e64 s0, s31, v38
	v_cndmask_b32_e64 v14, 0, v14, s0
	v_cmp_gt_i32_e64 s0, s14, v40
	s_delay_alu instid0(VALU_DEP_1) | instskip(SKIP_1) | instid1(VALU_DEP_1)
	v_cndmask_b32_e64 v17, 0, v17, s0
	v_cmp_gt_i32_e64 s0, s31, v39
	v_cndmask_b32_e64 v16, 0, v16, s0
	s_or_b32 exec_lo, exec_lo, s21
	global_load_b128 v[18:21], v[18:19], off offset:1536
	s_wait_xcnt 0x0
	s_and_saveexec_b32 s0, vcc_lo
	s_cbranch_execz .LBB1_47
.LBB1_57:                               ;   in Loop: Header=BB1_49 Depth=1
	v_cmp_gt_i32_e32 vcc_lo, s14, v41
	s_wait_loadcnt 0x0
	v_cndmask_b32_e32 v19, 0, v19, vcc_lo
	v_cmp_gt_i32_e32 vcc_lo, s31, v38
	v_cndmask_b32_e32 v18, 0, v18, vcc_lo
	v_cmp_gt_i32_e32 vcc_lo, s14, v40
	v_cndmask_b32_e32 v21, 0, v21, vcc_lo
	v_cmp_gt_i32_e32 vcc_lo, s31, v39
	v_cndmask_b32_e32 v20, 0, v20, vcc_lo
	s_branch .LBB1_47
.LBB1_58:
	s_or_b32 exec_lo, exec_lo, s15
.LBB1_59:
	s_delay_alu instid0(SALU_CYCLE_1)
	s_or_b32 exec_lo, exec_lo, s1
	ds_bpermute_b32 v2, v33, v26
	ds_bpermute_b32 v3, v33, v27
	;; [unrolled: 1-line block ×4, first 2 shown]
	v_and_b32_e32 v6, 0x3c1, v0
	v_lshrrev_b32_e32 v7, 1, v32
	s_mov_b32 s0, exec_lo
	s_wait_dscnt 0x0
	s_barrier_signal -1
	s_barrier_wait -1
	v_pk_add_f32 v[2:3], v[26:27], v[2:3]
	v_cmpx_ne_u32_e32 64, v6
	s_xor_b32 s0, exec_lo, s0
	s_delay_alu instid0(SALU_CYCLE_1)
	s_or_saveexec_b32 s0, s0
	v_pk_add_f32 v[4:5], v[24:25], v[4:5]
	v_lshl_add_u32 v6, v7, 2, 0x120
	v_lshlrev_b32_e32 v1, 8, v1
	s_xor_b32 exec_lo, exec_lo, s0
	s_cbranch_execz .LBB1_61
; %bb.60:
	s_delay_alu instid0(VALU_DEP_1) | instskip(NEXT) | instid1(VALU_DEP_1)
	v_add_nc_u32_e32 v8, v6, v1
	v_add_nc_u32_e32 v9, 0xfffffe00, v8
	;; [unrolled: 1-line block ×5, first 2 shown]
	ds_store_b32 v9, v2
	ds_store_b32 v10, v3
	;; [unrolled: 1-line block ×4, first 2 shown]
.LBB1_61:
	s_or_b32 exec_lo, exec_lo, s0
	v_lshlrev_b32_e32 v7, 2, v7
	v_cmp_eq_u32_e32 vcc_lo, 0, v34
	s_wait_dscnt 0x0
	s_barrier_signal -1
	s_barrier_wait -1
	v_add3_u32 v1, 0x120, v1, v7
	s_and_saveexec_b32 s0, s2
	s_cbranch_execz .LBB1_68
; %bb.62:
	s_and_saveexec_b32 s1, vcc_lo
	s_cbranch_execnz .LBB1_80
; %bb.63:
	s_or_b32 exec_lo, exec_lo, s1
	s_and_saveexec_b32 s1, vcc_lo
	s_cbranch_execnz .LBB1_81
.LBB1_64:
	s_or_b32 exec_lo, exec_lo, s1
	s_and_saveexec_b32 s1, vcc_lo
	s_cbranch_execnz .LBB1_82
.LBB1_65:
	s_or_b32 exec_lo, exec_lo, s1
	s_and_saveexec_b32 s1, vcc_lo
	s_cbranch_execz .LBB1_67
.LBB1_66:
	ds_load_b32 v7, v1 offset:192
	s_wait_dscnt 0x0
	v_add_f32_e32 v5, v5, v7
.LBB1_67:
	s_or_b32 exec_lo, exec_lo, s1
.LBB1_68:
	s_delay_alu instid0(SALU_CYCLE_1) | instskip(SKIP_4) | instid1(VALU_DEP_1)
	s_or_b32 exec_lo, exec_lo, s0
	v_and_b32_e32 v7, 0x3e1, v0
	s_mov_b32 s1, exec_lo
	s_barrier_signal -1
	s_barrier_wait -1
	v_cmpx_eq_u32_e32 32, v7
	s_cbranch_execz .LBB1_70
; %bb.69:
	ds_store_2addr_b32 v6, v2, v3 offset1:16
	ds_store_2addr_b32 v6, v4, v5 offset0:32 offset1:48
.LBB1_70:
	s_or_b32 exec_lo, exec_lo, s1
	s_delay_alu instid0(SALU_CYCLE_1)
	s_mov_b32 s1, exec_lo
	s_wait_dscnt 0x0
	s_barrier_signal -1
	s_barrier_wait -1
	v_cmpx_gt_u32_e32 32, v0
	s_cbranch_execz .LBB1_77
; %bb.71:
	s_and_saveexec_b32 s0, vcc_lo
	s_cbranch_execnz .LBB1_83
; %bb.72:
	s_or_b32 exec_lo, exec_lo, s0
	s_and_saveexec_b32 s0, vcc_lo
	s_cbranch_execnz .LBB1_84
.LBB1_73:
	s_or_b32 exec_lo, exec_lo, s0
	s_and_saveexec_b32 s0, vcc_lo
	s_cbranch_execnz .LBB1_85
.LBB1_74:
	s_or_b32 exec_lo, exec_lo, s0
	s_and_saveexec_b32 s0, vcc_lo
	s_cbranch_execz .LBB1_76
.LBB1_75:
	ds_load_b32 v1, v1 offset:192
	s_wait_dscnt 0x0
	v_add_f32_e32 v5, v5, v1
.LBB1_76:
	s_or_b32 exec_lo, exec_lo, s0
.LBB1_77:
	s_delay_alu instid0(SALU_CYCLE_1)
	s_or_b32 exec_lo, exec_lo, s1
	s_mov_b32 s1, 0
	s_barrier_signal -1
	s_barrier_wait -1
	s_mov_b32 s0, exec_lo
	v_cmpx_eq_u32_e32 0, v7
	s_cbranch_execz .LBB1_79
; %bb.78:
	s_mul_i32 s0, s30, s11
	s_mul_i32 s2, s11, s16
	;; [unrolled: 1-line block ×3, first 2 shown]
	s_lshr_b32 s8, ttmp7, 16
	s_lshl_b32 s4, s0, 6
	s_bfe_u32 s0, ttmp6, 0x40014
	s_ashr_i32 s5, s4, 31
	s_add_co_i32 s0, s0, 1
	s_lshl_b64 s[4:5], s[4:5], 2
	s_ashr_i32 s3, s2, 31
	s_wait_kmcnt 0x0
	s_add_nc_u64 s[4:5], s[6:7], s[4:5]
	s_mul_i32 s0, s8, s0
	s_bfe_u32 s6, ttmp6, 0x40008
	s_lshl_b64 s[2:3], s[2:3], 2
	s_add_co_i32 s6, s6, s0
	s_cmp_eq_u32 s28, 0
	v_lshlrev_b32_e32 v0, 1, v0
	s_cselect_b32 s0, s8, s6
	s_add_nc_u64 s[2:3], s[4:5], s[2:3]
	s_lshl_b32 s0, s0, 8
	s_delay_alu instid0(SALU_CYCLE_1)
	s_add_nc_u64 s[0:1], s[2:3], s[0:1]
	s_clause 0x3
	global_store_b32 v0, v2, s[0:1]
	global_store_b32 v0, v3, s[0:1] offset:64
	global_store_b32 v0, v4, s[0:1] offset:128
	;; [unrolled: 1-line block ×3, first 2 shown]
.LBB1_79:
	s_endpgm
.LBB1_80:
	ds_load_b32 v7, v1
	s_wait_dscnt 0x0
	v_add_f32_e32 v2, v2, v7
	s_or_b32 exec_lo, exec_lo, s1
	s_and_saveexec_b32 s1, vcc_lo
	s_cbranch_execz .LBB1_64
.LBB1_81:
	ds_load_b32 v7, v1 offset:64
	s_wait_dscnt 0x0
	v_add_f32_e32 v3, v3, v7
	s_or_b32 exec_lo, exec_lo, s1
	s_and_saveexec_b32 s1, vcc_lo
	s_cbranch_execz .LBB1_65
.LBB1_82:
	ds_load_b32 v7, v1 offset:128
	s_wait_dscnt 0x0
	v_add_f32_e32 v4, v4, v7
	s_or_b32 exec_lo, exec_lo, s1
	s_and_saveexec_b32 s1, vcc_lo
	s_cbranch_execnz .LBB1_66
	s_branch .LBB1_67
.LBB1_83:
	ds_load_b32 v6, v1
	s_wait_dscnt 0x0
	v_add_f32_e32 v2, v2, v6
	s_or_b32 exec_lo, exec_lo, s0
	s_and_saveexec_b32 s0, vcc_lo
	s_cbranch_execz .LBB1_73
.LBB1_84:
	ds_load_b32 v6, v1 offset:64
	s_wait_dscnt 0x0
	v_add_f32_e32 v3, v3, v6
	s_or_b32 exec_lo, exec_lo, s0
	s_and_saveexec_b32 s0, vcc_lo
	s_cbranch_execz .LBB1_74
.LBB1_85:
	ds_load_b32 v6, v1 offset:128
	s_wait_dscnt 0x0
	v_add_f32_e32 v4, v4, v6
	s_or_b32 exec_lo, exec_lo, s0
	s_and_saveexec_b32 s0, vcc_lo
	s_cbranch_execnz .LBB1_75
	s_branch .LBB1_76
	.section	.rodata,"a",@progbits
	.p2align	6, 0x0
	.amdhsa_kernel _ZN4vllm25paged_attention_v1_kernelIffLi64ELi8ELi128ELNS_18Fp8KVCacheDataTypeE0ELb1EEEvPT_PKS2_PKT0_S8_ifPKiSA_iPKfiiiSC_SC_iiiii
		.amdhsa_group_segment_fixed_size 288
		.amdhsa_private_segment_fixed_size 0
		.amdhsa_kernarg_size 384
		.amdhsa_user_sgpr_count 2
		.amdhsa_user_sgpr_dispatch_ptr 0
		.amdhsa_user_sgpr_queue_ptr 0
		.amdhsa_user_sgpr_kernarg_segment_ptr 1
		.amdhsa_user_sgpr_dispatch_id 0
		.amdhsa_user_sgpr_kernarg_preload_length 0
		.amdhsa_user_sgpr_kernarg_preload_offset 0
		.amdhsa_user_sgpr_private_segment_size 0
		.amdhsa_wavefront_size32 1
		.amdhsa_uses_dynamic_stack 0
		.amdhsa_enable_private_segment 0
		.amdhsa_system_sgpr_workgroup_id_x 1
		.amdhsa_system_sgpr_workgroup_id_y 1
		.amdhsa_system_sgpr_workgroup_id_z 1
		.amdhsa_system_sgpr_workgroup_info 0
		.amdhsa_system_vgpr_workitem_id 0
		.amdhsa_next_free_vgpr 45
		.amdhsa_next_free_sgpr 42
		.amdhsa_named_barrier_count 0
		.amdhsa_reserve_vcc 1
		.amdhsa_float_round_mode_32 0
		.amdhsa_float_round_mode_16_64 0
		.amdhsa_float_denorm_mode_32 3
		.amdhsa_float_denorm_mode_16_64 3
		.amdhsa_fp16_overflow 0
		.amdhsa_memory_ordered 1
		.amdhsa_forward_progress 1
		.amdhsa_inst_pref_size 44
		.amdhsa_round_robin_scheduling 0
		.amdhsa_exception_fp_ieee_invalid_op 0
		.amdhsa_exception_fp_denorm_src 0
		.amdhsa_exception_fp_ieee_div_zero 0
		.amdhsa_exception_fp_ieee_overflow 0
		.amdhsa_exception_fp_ieee_underflow 0
		.amdhsa_exception_fp_ieee_inexact 0
		.amdhsa_exception_int_div_zero 0
	.end_amdhsa_kernel
	.section	.text._ZN4vllm25paged_attention_v1_kernelIffLi64ELi8ELi128ELNS_18Fp8KVCacheDataTypeE0ELb1EEEvPT_PKS2_PKT0_S8_ifPKiSA_iPKfiiiSC_SC_iiiii,"axG",@progbits,_ZN4vllm25paged_attention_v1_kernelIffLi64ELi8ELi128ELNS_18Fp8KVCacheDataTypeE0ELb1EEEvPT_PKS2_PKT0_S8_ifPKiSA_iPKfiiiSC_SC_iiiii,comdat
.Lfunc_end1:
	.size	_ZN4vllm25paged_attention_v1_kernelIffLi64ELi8ELi128ELNS_18Fp8KVCacheDataTypeE0ELb1EEEvPT_PKS2_PKT0_S8_ifPKiSA_iPKfiiiSC_SC_iiiii, .Lfunc_end1-_ZN4vllm25paged_attention_v1_kernelIffLi64ELi8ELi128ELNS_18Fp8KVCacheDataTypeE0ELb1EEEvPT_PKS2_PKT0_S8_ifPKiSA_iPKfiiiSC_SC_iiiii
                                        ; -- End function
	.set _ZN4vllm25paged_attention_v1_kernelIffLi64ELi8ELi128ELNS_18Fp8KVCacheDataTypeE0ELb1EEEvPT_PKS2_PKT0_S8_ifPKiSA_iPKfiiiSC_SC_iiiii.num_vgpr, 45
	.set _ZN4vllm25paged_attention_v1_kernelIffLi64ELi8ELi128ELNS_18Fp8KVCacheDataTypeE0ELb1EEEvPT_PKS2_PKT0_S8_ifPKiSA_iPKfiiiSC_SC_iiiii.num_agpr, 0
	.set _ZN4vllm25paged_attention_v1_kernelIffLi64ELi8ELi128ELNS_18Fp8KVCacheDataTypeE0ELb1EEEvPT_PKS2_PKT0_S8_ifPKiSA_iPKfiiiSC_SC_iiiii.numbered_sgpr, 42
	.set _ZN4vllm25paged_attention_v1_kernelIffLi64ELi8ELi128ELNS_18Fp8KVCacheDataTypeE0ELb1EEEvPT_PKS2_PKT0_S8_ifPKiSA_iPKfiiiSC_SC_iiiii.num_named_barrier, 0
	.set _ZN4vllm25paged_attention_v1_kernelIffLi64ELi8ELi128ELNS_18Fp8KVCacheDataTypeE0ELb1EEEvPT_PKS2_PKT0_S8_ifPKiSA_iPKfiiiSC_SC_iiiii.private_seg_size, 0
	.set _ZN4vllm25paged_attention_v1_kernelIffLi64ELi8ELi128ELNS_18Fp8KVCacheDataTypeE0ELb1EEEvPT_PKS2_PKT0_S8_ifPKiSA_iPKfiiiSC_SC_iiiii.uses_vcc, 1
	.set _ZN4vllm25paged_attention_v1_kernelIffLi64ELi8ELi128ELNS_18Fp8KVCacheDataTypeE0ELb1EEEvPT_PKS2_PKT0_S8_ifPKiSA_iPKfiiiSC_SC_iiiii.uses_flat_scratch, 0
	.set _ZN4vllm25paged_attention_v1_kernelIffLi64ELi8ELi128ELNS_18Fp8KVCacheDataTypeE0ELb1EEEvPT_PKS2_PKT0_S8_ifPKiSA_iPKfiiiSC_SC_iiiii.has_dyn_sized_stack, 0
	.set _ZN4vllm25paged_attention_v1_kernelIffLi64ELi8ELi128ELNS_18Fp8KVCacheDataTypeE0ELb1EEEvPT_PKS2_PKT0_S8_ifPKiSA_iPKfiiiSC_SC_iiiii.has_recursion, 0
	.set _ZN4vllm25paged_attention_v1_kernelIffLi64ELi8ELi128ELNS_18Fp8KVCacheDataTypeE0ELb1EEEvPT_PKS2_PKT0_S8_ifPKiSA_iPKfiiiSC_SC_iiiii.has_indirect_call, 0
	.section	.AMDGPU.csdata,"",@progbits
; Kernel info:
; codeLenInByte = 5536
; TotalNumSgprs: 44
; NumVgprs: 45
; ScratchSize: 0
; MemoryBound: 0
; FloatMode: 240
; IeeeMode: 1
; LDSByteSize: 288 bytes/workgroup (compile time only)
; SGPRBlocks: 0
; VGPRBlocks: 2
; NumSGPRsForWavesPerEU: 44
; NumVGPRsForWavesPerEU: 45
; NamedBarCnt: 0
; Occupancy: 16
; WaveLimiterHint : 1
; COMPUTE_PGM_RSRC2:SCRATCH_EN: 0
; COMPUTE_PGM_RSRC2:USER_SGPR: 2
; COMPUTE_PGM_RSRC2:TRAP_HANDLER: 0
; COMPUTE_PGM_RSRC2:TGID_X_EN: 1
; COMPUTE_PGM_RSRC2:TGID_Y_EN: 1
; COMPUTE_PGM_RSRC2:TGID_Z_EN: 1
; COMPUTE_PGM_RSRC2:TIDIG_COMP_CNT: 0
	.section	.text._ZN4vllm25paged_attention_v1_kernelIffLi80ELi8ELi128ELNS_18Fp8KVCacheDataTypeE0ELb1EEEvPT_PKS2_PKT0_S8_ifPKiSA_iPKfiiiSC_SC_iiiii,"axG",@progbits,_ZN4vllm25paged_attention_v1_kernelIffLi80ELi8ELi128ELNS_18Fp8KVCacheDataTypeE0ELb1EEEvPT_PKS2_PKT0_S8_ifPKiSA_iPKfiiiSC_SC_iiiii,comdat
	.protected	_ZN4vllm25paged_attention_v1_kernelIffLi80ELi8ELi128ELNS_18Fp8KVCacheDataTypeE0ELb1EEEvPT_PKS2_PKT0_S8_ifPKiSA_iPKfiiiSC_SC_iiiii ; -- Begin function _ZN4vllm25paged_attention_v1_kernelIffLi80ELi8ELi128ELNS_18Fp8KVCacheDataTypeE0ELb1EEEvPT_PKS2_PKT0_S8_ifPKiSA_iPKfiiiSC_SC_iiiii
	.globl	_ZN4vllm25paged_attention_v1_kernelIffLi80ELi8ELi128ELNS_18Fp8KVCacheDataTypeE0ELb1EEEvPT_PKS2_PKT0_S8_ifPKiSA_iPKfiiiSC_SC_iiiii
	.p2align	8
	.type	_ZN4vllm25paged_attention_v1_kernelIffLi80ELi8ELi128ELNS_18Fp8KVCacheDataTypeE0ELb1EEEvPT_PKS2_PKT0_S8_ifPKiSA_iPKfiiiSC_SC_iiiii,@function
_ZN4vllm25paged_attention_v1_kernelIffLi80ELi8ELi128ELNS_18Fp8KVCacheDataTypeE0ELb1EEEvPT_PKS2_PKT0_S8_ifPKiSA_iPKfiiiSC_SC_iiiii: ; @_ZN4vllm25paged_attention_v1_kernelIffLi80ELi8ELi128ELNS_18Fp8KVCacheDataTypeE0ELb1EEEvPT_PKS2_PKT0_S8_ifPKiSA_iPKfiiiSC_SC_iiiii
; %bb.0:
	s_load_b64 s[22:23], s[0:1], 0x20
	s_bfe_u32 s3, ttmp6, 0x4000c
	s_bfe_u32 s4, ttmp6, 0x40010
	s_and_b32 s6, ttmp7, 0xffff
	s_add_co_i32 s3, s3, 1
	s_add_co_i32 s4, s4, 1
	s_and_b32 s2, ttmp6, 15
	s_bfe_u32 s5, ttmp6, 0x40004
	s_mul_i32 s3, ttmp9, s3
	s_mul_i32 s4, s6, s4
	s_getreg_b32 s28, hwreg(HW_REG_IB_STS2, 6, 4)
	s_add_co_i32 s2, s2, s3
	s_add_co_i32 s3, s5, s4
	s_cmp_eq_u32 s28, 0
	s_clause 0x1
	s_load_b32 s29, s[0:1], 0x80
	s_load_b64 s[4:5], s[0:1], 0x30
	s_cselect_b32 s30, s6, s3
	s_cselect_b32 s2, ttmp9, s2
	s_mov_b32 s17, 0
	s_delay_alu instid0(SALU_CYCLE_1) | instskip(SKIP_2) | instid1(SALU_CYCLE_1)
	s_mov_b32 s35, s17
	s_wait_kmcnt 0x0
	s_abs_i32 s3, s22
	s_cvt_f32_u32 s6, s3
	s_sub_co_i32 s7, 0, s3
	s_delay_alu instid0(SALU_CYCLE_2) | instskip(SKIP_2) | instid1(TRANS32_DEP_1)
	v_rcp_iflag_f32_e32 v1, s6
	s_abs_i32 s8, s29
	v_nop
	v_readfirstlane_b32 s6, v1
	s_mul_f32 s6, s6, 0x4f7ffffe
	s_delay_alu instid0(SALU_CYCLE_3) | instskip(NEXT) | instid1(SALU_CYCLE_3)
	s_cvt_u32_f32 s6, s6
	s_mul_i32 s7, s7, s6
	s_delay_alu instid0(SALU_CYCLE_1) | instskip(NEXT) | instid1(SALU_CYCLE_1)
	s_mul_hi_u32 s7, s6, s7
	s_add_co_i32 s6, s6, s7
	s_xor_b32 s7, s29, s22
	s_mul_hi_u32 s6, s8, s6
	s_ashr_i32 s7, s7, 31
	s_mul_i32 s9, s6, s3
	s_delay_alu instid0(SALU_CYCLE_1)
	s_sub_co_i32 s8, s8, s9
	s_add_co_i32 s9, s6, 1
	s_sub_co_i32 s10, s8, s3
	s_cmp_ge_u32 s8, s3
	s_cselect_b32 s6, s9, s6
	s_cselect_b32 s8, s10, s8
	s_add_co_i32 s9, s6, 1
	s_cmp_ge_u32 s8, s3
	s_cselect_b32 s3, s9, s6
	s_load_b64 s[8:9], s[0:1], 0x40
	s_xor_b32 s3, s3, s7
	s_abs_i32 s16, s2
	s_sub_co_i32 s10, s3, s7
	s_mov_b32 s7, s17
	s_abs_i32 s15, s10
	s_delay_alu instid0(SALU_CYCLE_1) | instskip(SKIP_1) | instid1(SALU_CYCLE_2)
	s_cvt_f32_u32 s3, s15
	s_sub_co_i32 s6, 0, s15
	v_rcp_iflag_f32_e32 v1, s3
	v_nop
	s_delay_alu instid0(TRANS32_DEP_1) | instskip(SKIP_1) | instid1(SALU_CYCLE_3)
	v_readfirstlane_b32 s3, v1
	s_mul_f32 s3, s3, 0x4f7ffffe
	s_cvt_u32_f32 s3, s3
	s_delay_alu instid0(SALU_CYCLE_3) | instskip(NEXT) | instid1(SALU_CYCLE_1)
	s_mul_i32 s6, s6, s3
	s_mul_hi_u32 s6, s3, s6
	s_delay_alu instid0(SALU_CYCLE_1)
	s_add_co_i32 s6, s3, s6
	s_wait_kmcnt 0x0
	s_cmp_eq_u64 s[8:9], 0
	s_cbranch_scc1 .LBB2_2
; %bb.1:
	s_ashr_i32 s3, s2, 31
	s_delay_alu instid0(SALU_CYCLE_1) | instskip(NEXT) | instid1(SALU_CYCLE_1)
	s_lshl_b64 s[12:13], s[2:3], 2
	s_add_nc_u64 s[8:9], s[8:9], s[12:13]
	s_load_b32 s35, s[8:9], 0x0
.LBB2_2:
	s_load_b32 s31, s[4:5], s30 offset:0x0 scale_offset
	s_load_b96 s[12:14], s[0:1], 0x48
	v_and_b32_e32 v4, 3, v0
	s_wait_xcnt 0x0
	s_mul_u64 s[4:5], s[16:17], s[6:7]
	s_ashr_i32 s3, s2, 31
	s_ashr_i32 s18, s10, 31
	s_mul_i32 s6, s2, 0x50
	s_mov_b32 s4, exec_lo
	v_cmpx_gt_u32_e32 0x50, v0
	s_cbranch_execz .LBB2_4
; %bb.3:
	s_load_b64 s[8:9], s[0:1], 0x8
	s_wait_kmcnt 0x0
	s_mul_i32 s10, s12, s30
	s_ashr_i32 s7, s6, 31
	s_ashr_i32 s11, s10, 31
	v_and_b32_e32 v2, 0x3fc, v0
	s_lshl_b64 s[10:11], s[10:11], 2
	s_delay_alu instid0(VALU_DEP_1) | instskip(SKIP_2) | instid1(SALU_CYCLE_1)
	v_mad_u32_u24 v2, 0x50, v4, v2
	s_add_nc_u64 s[8:9], s[8:9], s[10:11]
	s_lshl_b64 s[10:11], s[6:7], 2
	s_add_nc_u64 s[8:9], s[8:9], s[10:11]
	global_load_b32 v1, v0, s[8:9] scale_offset
	s_wait_loadcnt 0x0
	ds_store_b32 v2, v1
.LBB2_4:
	s_or_b32 exec_lo, exec_lo, s4
	s_load_b128 s[8:11], s[0:1], 0x68
	s_mul_i32 s4, s5, s15
	s_xor_b32 s3, s3, s18
	s_sub_co_i32 s4, s16, s4
	s_add_co_i32 s7, s5, 1
	s_wait_kmcnt 0x0
	s_sub_co_i32 s12, s4, s15
	s_cmp_ge_u32 s4, s15
	s_mov_b32 s18, -1
	s_cselect_b32 s5, s7, s5
	s_cselect_b32 s4, s12, s4
	s_add_co_i32 s12, s5, 1
	s_cmp_ge_u32 s4, s15
	s_load_b32 s7, s[0:1], 0x78
	s_cselect_b32 s4, s12, s5
	s_add_co_i32 s15, s31, -1
	s_xor_b32 s4, s4, s3
	s_wait_dscnt 0x0
	s_sub_co_i32 s3, s4, s3
	s_barrier_signal -1
	s_barrier_wait -1
	s_abs_i32 s12, s11
	s_delay_alu instid0(SALU_CYCLE_1) | instskip(NEXT) | instid1(SALU_CYCLE_3)
	s_cvt_f32_u32 s5, s12
                                        ; implicit-def: $sgpr33
	v_rcp_iflag_f32_e32 v1, s5
	v_nop
	s_delay_alu instid0(TRANS32_DEP_1) | instskip(SKIP_1) | instid1(SALU_CYCLE_3)
	v_readfirstlane_b32 s5, v1
	s_mul_f32 s4, s5, 0x4f7ffffe
	s_cvt_u32_f32 s16, s4
	s_sub_co_i32 s4, 0, s12
	s_delay_alu instid0(SALU_CYCLE_2)
	s_mul_i32 s5, s4, s16
	s_abs_i32 s4, s15
	s_mul_hi_u32 s17, s16, s5
	s_mov_b32 s5, 0
	s_add_co_i32 s16, s16, s17
	s_wait_kmcnt 0x0
	s_cmp_lt_i32 s7, 0
	s_mov_b32 s17, s5
	s_cbranch_scc0 .LBB2_6
; %bb.5:
	s_mul_i32 s18, s8, s22
	s_delay_alu instid0(SALU_CYCLE_1) | instskip(NEXT) | instid1(SALU_CYCLE_1)
	s_add_co_i32 s18, s3, s18
	s_mul_i32 s18, s18, s7
	s_delay_alu instid0(SALU_CYCLE_1)
	s_sub_co_i32 s33, 1, s18
	s_mov_b32 s18, s5
.LBB2_6:
	s_ashr_i32 s15, s15, 31
	s_ashr_i32 s11, s11, 31
	s_and_not1_b32 vcc_lo, exec_lo, s18
	s_mul_u64 s[24:25], s[4:5], s[16:17]
	s_cbranch_vccnz .LBB2_8
; %bb.7:
	s_mul_i32 s5, s29, s8
	s_delay_alu instid0(SALU_CYCLE_1) | instskip(NEXT) | instid1(SALU_CYCLE_1)
	s_add_co_i32 s2, s5, s2
	s_mul_i32 s2, s2, s7
	s_delay_alu instid0(SALU_CYCLE_1)
	s_add_co_i32 s33, s2, 1
.LBB2_8:
	s_load_b32 s2, s[0:1], 0x38
	s_mul_i32 s7, s25, s12
	s_xor_b32 s5, s15, s11
	s_sub_co_i32 s4, s4, s7
	s_add_co_i32 s8, s25, 1
	s_clause 0x1
	s_load_b64 s[20:21], s[0:1], 0x28
	s_load_b32 s7, s[0:1], 0x88
	v_dual_mov_b32 v12, 0xff7fffff :: v_dual_lshrrev_b32 v1, 5, v0
	v_lshrrev_b32_e32 v8, 3, v0
	v_mbcnt_lo_u32_b32 v9, -1, 0
	s_mul_i32 s14, s3, s14
	s_delay_alu instid0(VALU_DEP_3)
	v_lshlrev_b32_e32 v26, 3, v1
	s_wait_kmcnt 0x0
	s_mul_i32 s18, s2, s30
	s_sub_co_i32 s2, s4, s12
	s_ashr_i32 s19, s18, 31
	s_cmp_ge_u32 s4, s12
	s_cselect_b32 s8, s8, s25
	s_cselect_b32 s2, s2, s4
	s_add_co_i32 s4, s8, 1
	s_cmp_ge_u32 s2, s12
	s_cselect_b32 s2, s4, s8
	s_add_co_i32 s4, s31, 7
	s_delay_alu instid0(SALU_CYCLE_1) | instskip(NEXT) | instid1(SALU_CYCLE_1)
	s_ashr_i32 s8, s4, 31
	s_lshr_b32 s8, s8, 29
	s_delay_alu instid0(SALU_CYCLE_1) | instskip(NEXT) | instid1(SALU_CYCLE_1)
	s_add_co_i32 s4, s4, s8
	s_ashr_i32 s34, s4, 3
	s_xor_b32 s4, s2, s5
	v_cmp_gt_i32_e64 s2, s34, v1
	s_sub_co_i32 s8, s4, s5
	s_and_saveexec_b32 s22, s2
	s_cbranch_execz .LBB2_20
; %bb.9:
	s_load_b64 s[4:5], s[0:1], 0x10
	s_ashr_i32 s15, s14, 31
	s_sub_co_i32 s36, s8, s9
	s_ashr_i32 s25, s13, 31
	s_lshl_b64 s[38:39], s[14:15], 2
	s_cmp_neq_f32 s35, 0
	v_bfe_u32 v10, v0, 2, 3
	v_mov_b32_e32 v3, 0
	v_mul_u32_u24_e32 v11, 0x50, v4
	s_cselect_b32 vcc_lo, -1, 0
	s_abs_i32 s15, s10
	v_lshlrev_b32_e32 v2, 4, v10
	s_cvt_f32_u32 s3, s15
	v_lshlrev_b32_e32 v12, 2, v10
	v_subrev_nc_u32_e32 v13, s31, v10
	s_sub_co_i32 s26, 0, s15
	v_rcp_iflag_f32_e32 v5, s3
	v_cmp_eq_u32_e64 s3, 0, v4
	v_dual_mov_b32 v18, v1 :: v_dual_bitop2_b32 v16, 2, v9 bitop3:0x14
	s_wait_kmcnt 0x0
	s_add_nc_u64 s[4:5], s[4:5], s[38:39]
	v_add_nc_u32_e32 v13, 1, v13
	v_add_nc_u64_e32 v[6:7], s[4:5], v[2:3]
	v_readfirstlane_b32 s24, v5
	v_lshlrev_b32_e32 v2, 2, v4
	s_lshl_b64 s[4:5], s[18:19], 2
	v_lshl_or_b32 v12, v1, 5, v12
	s_add_nc_u64 s[4:5], s[20:21], s[4:5]
	s_mul_f32 s24, s24, 0x4f7ffffe
	v_add_nc_u64_e32 v[4:5], v[6:7], v[2:3]
	v_and_b32_e32 v2, 0x7c, v8
	v_add_nc_u32_e32 v14, 0x160, v12
	s_cvt_u32_f32 s37, s24
	v_xor_b32_e32 v17, 1, v9
	v_mov_b32_e32 v15, 0xff7fffff
	v_add_nc_u64_e32 v[6:7], s[4:5], v[2:3]
	s_mul_i32 s26, s26, s37
	v_lshlrev_b32_e32 v2, 3, v1
	v_mov_b32_e32 v12, 0xff7fffff
	s_mov_b32 s27, 0
	s_mul_hi_u32 s4, s37, s26
	s_mov_b32 s24, s13
	s_add_co_i32 s26, s37, s4
	s_mov_b32 s37, s27
	s_branch .LBB2_12
.LBB2_10:                               ;   in Loop: Header=BB2_12 Depth=1
	s_or_b32 exec_lo, exec_lo, s38
.LBB2_11:                               ;   in Loop: Header=BB2_12 Depth=1
	s_delay_alu instid0(SALU_CYCLE_1) | instskip(SKIP_4) | instid1(VALU_DEP_4)
	s_or_b32 exec_lo, exec_lo, s5
	v_add_nc_u32_e32 v18, 4, v18
	v_add_nc_u64_e32 v[6:7], 16, v[6:7]
	v_add_nc_u32_e32 v2, 32, v2
	v_add_nc_u32_e32 v14, 0x80, v14
	v_cmp_le_i32_e64 s4, s34, v18
	s_or_b32 s37, s4, s37
	s_delay_alu instid0(SALU_CYCLE_1)
	s_and_not1_b32 exec_lo, exec_lo, s37
	s_cbranch_execz .LBB2_19
.LBB2_12:                               ; =>This Inner Loop Header: Depth=1
	s_wait_dscnt 0x0
	v_mul_u64_e32 v[20:21], s[16:17], v[2:3]
	s_delay_alu instid0(VALU_DEP_1) | instskip(NEXT) | instid1(VALU_DEP_1)
	v_mul_lo_u32 v19, v21, s12
	v_dual_add_nc_u32 v20, 1, v21 :: v_dual_sub_nc_u32 v19, v2, v19
	s_delay_alu instid0(VALU_DEP_1) | instskip(SKIP_1) | instid1(VALU_DEP_1)
	v_subrev_nc_u32_e32 v22, s12, v19
	v_cmp_le_u32_e64 s4, s12, v19
	v_dual_cndmask_b32 v20, v21, v20, s4 :: v_dual_cndmask_b32 v19, v19, v22, s4
	s_delay_alu instid0(VALU_DEP_1) | instskip(NEXT) | instid1(VALU_DEP_2)
	v_add_nc_u32_e32 v21, 1, v20
	v_cmp_le_u32_e64 s4, s12, v19
	s_delay_alu instid0(VALU_DEP_1) | instskip(NEXT) | instid1(VALU_DEP_1)
	v_dual_cndmask_b32 v19, v20, v21, s4 :: v_dual_mov_b32 v21, v3
	v_xor_b32_e32 v19, s11, v19
	s_delay_alu instid0(VALU_DEP_1) | instskip(NEXT) | instid1(VALU_DEP_1)
	v_subrev_nc_u32_e32 v19, s11, v19
	v_add_nc_u32_e32 v24, s33, v19
	v_cmp_ge_i32_e64 s5, s36, v19
	s_delay_alu instid0(VALU_DEP_2) | instskip(NEXT) | instid1(VALU_DEP_1)
	v_sub_nc_u32_e32 v20, 0, v24
	v_max_i32_e32 v20, v24, v20
	s_delay_alu instid0(VALU_DEP_1) | instskip(SKIP_1) | instid1(VALU_DEP_2)
	v_mul_u64_e32 v[22:23], s[26:27], v[20:21]
	v_ashrrev_i32_e32 v22, 31, v24
	v_mul_lo_u32 v21, v23, s15
	s_delay_alu instid0(VALU_DEP_1) | instskip(NEXT) | instid1(VALU_DEP_1)
	v_sub_nc_u32_e32 v20, v20, v21
	v_subrev_nc_u32_e32 v21, s15, v20
	v_cmp_le_u32_e64 s4, s15, v20
	s_delay_alu instid0(VALU_DEP_1) | instskip(NEXT) | instid1(VALU_DEP_1)
	v_cndmask_b32_e64 v20, v20, v21, s4
	v_subrev_nc_u32_e32 v21, s15, v20
	v_cmp_le_u32_e64 s4, s15, v20
	s_delay_alu instid0(VALU_DEP_1) | instskip(NEXT) | instid1(VALU_DEP_1)
	v_cndmask_b32_e64 v20, v20, v21, s4
	v_xor_b32_e32 v20, v20, v22
	s_delay_alu instid0(VALU_DEP_1) | instskip(NEXT) | instid1(VALU_DEP_1)
	v_sub_nc_u32_e32 v20, v20, v22
	v_cmp_ne_u32_e64 s4, 0, v20
	s_and_b32 s4, s4, s5
	s_delay_alu instid0(SALU_CYCLE_1) | instskip(NEXT) | instid1(SALU_CYCLE_1)
	s_and_saveexec_b32 s5, s4
	s_xor_b32 s4, exec_lo, s5
	s_cbranch_execz .LBB2_16
; %bb.13:                               ;   in Loop: Header=BB2_12 Depth=1
	s_and_saveexec_b32 s5, s3
; %bb.14:                               ;   in Loop: Header=BB2_12 Depth=1
	ds_store_b32 v14, v15
; %bb.15:                               ;   in Loop: Header=BB2_12 Depth=1
	s_or_b32 exec_lo, exec_lo, s5
.LBB2_16:                               ;   in Loop: Header=BB2_12 Depth=1
	s_and_not1_saveexec_b32 s5, s4
	s_cbranch_execz .LBB2_11
; %bb.17:                               ;   in Loop: Header=BB2_12 Depth=1
	global_load_b32 v20, v[6:7], off
	v_cmp_gt_i32_e64 s4, 32, v16
	s_wait_loadcnt 0x0
	v_ashrrev_i32_e32 v21, 31, v20
	s_delay_alu instid0(VALU_DEP_1) | instskip(NEXT) | instid1(VALU_DEP_1)
	v_mul_u64_e32 v[20:21], s[24:25], v[20:21]
	v_lshl_add_u64 v[20:21], v[20:21], 2, v[4:5]
	s_clause 0x13
	global_load_b32 v19, v[20:21], off offset:128
	global_load_b32 v24, v[20:21], off
	global_load_b32 v25, v[20:21], off offset:256
	global_load_b32 v27, v[20:21], off offset:384
	;; [unrolled: 1-line block ×18, first 2 shown]
	s_wait_xcnt 0x0
	ds_load_b128 v[20:23], v11
	ds_load_b128 v[28:31], v11 offset:16
	s_wait_loadcnt_dscnt 0x1301
	v_mul_f32_e32 v19, v21, v19
	s_wait_loadcnt 0x12
	s_delay_alu instid0(VALU_DEP_1) | instskip(SKIP_1) | instid1(VALU_DEP_1)
	v_fmac_f32_e32 v19, v20, v24
	s_wait_loadcnt 0x11
	v_fmac_f32_e32 v19, v22, v25
	s_wait_loadcnt 0x10
	s_delay_alu instid0(VALU_DEP_1) | instskip(SKIP_4) | instid1(VALU_DEP_1)
	v_fmac_f32_e32 v19, v23, v27
	ds_load_b128 v[20:23], v11 offset:32
	s_wait_loadcnt_dscnt 0xf01
	v_fmac_f32_e32 v19, v28, v32
	s_wait_loadcnt 0xe
	v_fmac_f32_e32 v19, v29, v33
	s_wait_loadcnt 0xd
	s_delay_alu instid0(VALU_DEP_1) | instskip(SKIP_1) | instid1(VALU_DEP_1)
	v_fmac_f32_e32 v19, v30, v34
	s_wait_loadcnt 0xc
	v_fmac_f32_e32 v19, v31, v35
	ds_load_b128 v[28:31], v11 offset:48
	s_wait_loadcnt_dscnt 0xb01
	v_fmac_f32_e32 v19, v20, v36
	s_wait_loadcnt 0xa
	s_delay_alu instid0(VALU_DEP_1) | instskip(SKIP_1) | instid1(VALU_DEP_1)
	v_fmac_f32_e32 v19, v21, v37
	s_wait_loadcnt 0x9
	v_fmac_f32_e32 v19, v22, v38
	s_wait_loadcnt 0x8
	s_delay_alu instid0(VALU_DEP_1) | instskip(SKIP_4) | instid1(VALU_DEP_1)
	v_fmac_f32_e32 v19, v23, v39
	ds_load_b128 v[20:23], v11 offset:64
	s_wait_loadcnt_dscnt 0x701
	v_fmac_f32_e32 v19, v28, v40
	s_wait_loadcnt 0x6
	v_fmac_f32_e32 v19, v29, v41
	s_wait_loadcnt 0x5
	s_delay_alu instid0(VALU_DEP_1) | instskip(SKIP_1) | instid1(VALU_DEP_1)
	v_fmac_f32_e32 v19, v30, v42
	s_wait_loadcnt 0x4
	v_fmac_f32_e32 v19, v31, v43
	s_wait_loadcnt_dscnt 0x300
	s_delay_alu instid0(VALU_DEP_1) | instskip(SKIP_3) | instid1(VALU_DEP_2)
	v_fmac_f32_e32 v19, v20, v44
	v_cndmask_b32_e64 v20, v9, v16, s4
	v_cmp_gt_i32_e64 s4, 32, v17
	s_wait_loadcnt 0x2
	v_dual_fmac_f32 v19, v21, v45 :: v_dual_lshlrev_b32 v20, 2, v20
	s_wait_loadcnt 0x1
	s_delay_alu instid0(VALU_DEP_1) | instskip(SKIP_1) | instid1(VALU_DEP_1)
	v_dual_cndmask_b32 v21, v9, v17, s4 :: v_dual_fmac_f32 v19, v22, v46
	s_wait_loadcnt 0x0
	v_dual_lshlrev_b32 v21, 2, v21 :: v_dual_fmac_f32 v19, v23, v47
	ds_bpermute_b32 v20, v20, v19
	s_wait_dscnt 0x0
	v_add_f32_e32 v19, v19, v20
	ds_bpermute_b32 v20, v21, v19
	s_and_saveexec_b32 s38, s3
	s_cbranch_execz .LBB2_10
; %bb.18:                               ;   in Loop: Header=BB2_12 Depth=1
	s_wait_dscnt 0x0
	v_dual_add_nc_u32 v21, v13, v2 :: v_dual_add_f32 v19, v19, v20
	s_delay_alu instid0(VALU_DEP_1) | instskip(NEXT) | instid1(VALU_DEP_1)
	v_cvt_f32_i32_e32 v21, v21
	v_mul_f32_e32 v21, s35, v21
	s_delay_alu instid0(VALU_DEP_1) | instskip(NEXT) | instid1(VALU_DEP_1)
	v_dual_cndmask_b32 v20, 0, v21 :: v_dual_max_num_f32 v21, v12, v12
	v_dual_fmac_f32 v20, s23, v19 :: v_dual_add_nc_u32 v19, v10, v2
	s_delay_alu instid0(VALU_DEP_1) | instskip(NEXT) | instid1(VALU_DEP_2)
	v_max_num_f32_e32 v21, v21, v20
	v_cmp_gt_i32_e64 s4, s31, v19
	s_delay_alu instid0(VALU_DEP_1)
	v_dual_cndmask_b32 v19, 0, v20, s4 :: v_dual_cndmask_b32 v12, v12, v21, s4
	ds_store_b32 v14, v19
	s_branch .LBB2_10
.LBB2_19:
	s_or_b32 exec_lo, exec_lo, s37
.LBB2_20:
	s_delay_alu instid0(SALU_CYCLE_1)
	s_or_b32 exec_lo, exec_lo, s22
	v_dual_max_num_f32 v5, v12, v12 :: v_dual_bitop2_b32 v2, 16, v9 bitop3:0x14
	s_clause 0x1
	s_load_b64 s[4:5], s[0:1], 0x0
	s_load_b64 s[22:23], s[0:1], 0x18
	v_and_b32_e32 v36, 31, v0
	v_xor_b32_e32 v4, 8, v9
	v_cmp_gt_i32_e32 vcc_lo, 32, v2
	v_cndmask_b32_e32 v2, v9, v2, vcc_lo
	s_delay_alu instid0(VALU_DEP_3) | instskip(NEXT) | instid1(VALU_DEP_2)
	v_cmp_gt_i32_e32 vcc_lo, 32, v4
	v_dual_lshlrev_b32 v2, 2, v2 :: v_dual_cndmask_b32 v4, v9, v4, vcc_lo
	ds_bpermute_b32 v3, v2, v12
	s_wait_dscnt 0x0
	v_dual_max_num_f32 v6, v3, v3 :: v_dual_lshlrev_b32 v3, 2, v4
	s_delay_alu instid0(VALU_DEP_1) | instskip(SKIP_4) | instid1(VALU_DEP_1)
	v_dual_max_num_f32 v4, v5, v6 :: v_dual_bitop2_b32 v6, 4, v9 bitop3:0x14
	ds_bpermute_b32 v5, v3, v4
	v_cmp_gt_i32_e32 vcc_lo, 32, v6
	v_cndmask_b32_e32 v6, v9, v6, vcc_lo
	s_wait_dscnt 0x0
	v_dual_max_num_f32 v5, v5, v5 :: v_dual_lshlrev_b32 v6, 2, v6
	s_delay_alu instid0(VALU_DEP_1)
	v_max_num_f32_e32 v5, v4, v5
	v_lshlrev_b32_e32 v4, 2, v1
	v_cmp_eq_u32_e32 vcc_lo, 0, v36
	ds_bpermute_b32 v7, v6, v5
	s_wait_xcnt 0x0
	s_and_saveexec_b32 s0, vcc_lo
	s_cbranch_execz .LBB2_22
; %bb.21:
	s_wait_dscnt 0x0
	v_dual_max_num_f32 v7, v7, v7 :: v_dual_max_num_f32 v5, v5, v5
	s_delay_alu instid0(VALU_DEP_1)
	v_max_num_f32_e32 v5, v5, v7
	ds_store_b32 v4, v5 offset:320
.LBB2_22:
	s_or_b32 exec_lo, exec_lo, s0
	v_cmp_gt_u32_e64 s0, 4, v36
	v_dual_mov_b32 v10, 0xff7fffff :: v_dual_lshlrev_b32 v5, 2, v36
	s_wait_dscnt 0x0
	s_barrier_signal -1
	s_barrier_wait -1
	s_and_saveexec_b32 s1, s0
; %bb.23:
	ds_load_b32 v10, v5 offset:320
; %bb.24:
	s_or_b32 exec_lo, exec_lo, s1
	v_xor_b32_e32 v7, 2, v9
	v_xor_b32_e32 v12, 1, v9
	s_delay_alu instid0(VALU_DEP_2) | instskip(NEXT) | instid1(VALU_DEP_1)
	v_cmp_gt_i32_e64 s1, 32, v7
	v_cndmask_b32_e64 v7, v9, v7, s1
	s_delay_alu instid0(VALU_DEP_3) | instskip(NEXT) | instid1(VALU_DEP_1)
	v_cmp_gt_i32_e64 s1, 32, v12
	v_dual_lshlrev_b32 v7, 2, v7 :: v_dual_cndmask_b32 v9, v9, v12, s1
	s_lshl_b32 s1, s34, 3
	s_delay_alu instid0(SALU_CYCLE_1)
	s_min_i32 s15, s1, s31
	s_wait_dscnt 0x0
	ds_bpermute_b32 v11, v7, v10
	v_max_num_f32_e32 v10, v10, v10
	v_cmp_gt_i32_e64 s1, s15, v0
	s_wait_dscnt 0x0
	v_dual_lshlrev_b32 v37, 2, v9 :: v_dual_max_num_f32 v11, v11, v11
	s_delay_alu instid0(VALU_DEP_1) | instskip(SKIP_3) | instid1(VALU_DEP_1)
	v_max_num_f32_e32 v9, v10, v11
	ds_bpermute_b32 v10, v37, v9
	s_wait_dscnt 0x0
	v_max_num_f32_e32 v10, v10, v10
	v_dual_max_num_f32 v10, v9, v10 :: v_dual_mov_b32 v9, 0
	ds_bpermute_b32 v10, v9, v10
	s_and_saveexec_b32 s24, s1
	s_cbranch_execz .LBB2_28
; %bb.25:
	v_lshl_add_u32 v11, v0, 2, 0x160
	v_dual_mov_b32 v9, 0 :: v_dual_mov_b32 v12, v0
	s_mov_b32 s25, 0
.LBB2_26:                               ; =>This Inner Loop Header: Depth=1
	ds_load_b32 v13, v11
	v_add_nc_u32_e32 v12, 0x80, v12
	s_delay_alu instid0(VALU_DEP_1) | instskip(SKIP_3) | instid1(VALU_DEP_1)
	v_cmp_le_i32_e64 s3, s15, v12
	s_or_b32 s25, s3, s25
	s_wait_dscnt 0x0
	v_sub_f32_e32 v13, v13, v10
	v_mul_f32_e32 v13, 0x3fb8aa3b, v13
	s_delay_alu instid0(VALU_DEP_1)
	v_exp_f32_e32 v13, v13
	ds_store_b32 v11, v13
	v_nop
	v_add_f32_e32 v9, v9, v13
	v_add_nc_u32_e32 v11, 0x200, v11
	s_and_not1_b32 exec_lo, exec_lo, s25
	s_cbranch_execnz .LBB2_26
; %bb.27:
	s_or_b32 exec_lo, exec_lo, s25
.LBB2_28:
	s_delay_alu instid0(SALU_CYCLE_1)
	s_or_b32 exec_lo, exec_lo, s24
	ds_bpermute_b32 v2, v2, v9
	s_wait_dscnt 0x0
	v_add_f32_e32 v2, v9, v2
	ds_bpermute_b32 v3, v3, v2
	s_wait_dscnt 0x0
	v_add_f32_e32 v2, v2, v3
	;; [unrolled: 3-line block ×5, first 2 shown]
	s_and_saveexec_b32 s3, vcc_lo
; %bb.29:
	ds_store_b32 v4, v2 offset:336
; %bb.30:
	s_or_b32 exec_lo, exec_lo, s3
	s_wait_dscnt 0x0
	s_barrier_signal -1
	s_barrier_wait -1
	s_and_saveexec_b32 s3, s0
; %bb.31:
	ds_load_b32 v2, v5 offset:336
; %bb.32:
	s_or_b32 exec_lo, exec_lo, s3
	s_wait_dscnt 0x0
	ds_bpermute_b32 v3, v7, v2
	s_wait_dscnt 0x0
	v_dual_mov_b32 v29, 0 :: v_dual_add_f32 v2, v2, v3
	ds_bpermute_b32 v3, v37, v2
	s_wait_dscnt 0x0
	v_add_f32_e32 v2, v2, v3
	ds_bpermute_b32 v2, v29, v2
	s_and_saveexec_b32 s0, s1
	s_cbranch_execz .LBB2_45
; %bb.33:
	s_wait_dscnt 0x0
	v_add_f32_e32 v2, 0x358637bd, v2
	s_mov_b32 s3, -1
	s_mov_b32 s1, exec_lo
	s_delay_alu instid0(VALU_DEP_1) | instskip(NEXT) | instid1(VALU_DEP_1)
	v_div_scale_f32 v3, null, v2, v2, 1.0
	v_rcp_f32_e32 v5, v3
	v_nop
	s_delay_alu instid0(TRANS32_DEP_1) | instskip(NEXT) | instid1(VALU_DEP_1)
	v_fma_f32 v4, -v3, v5, 1.0
	v_fmac_f32_e32 v5, v4, v5
	v_div_scale_f32 v6, vcc_lo, 1.0, v2, 1.0
	s_delay_alu instid0(VALU_DEP_1) | instskip(NEXT) | instid1(VALU_DEP_1)
	v_mul_f32_e32 v7, v6, v5
	v_fma_f32 v4, -v3, v7, v6
	s_delay_alu instid0(VALU_DEP_1) | instskip(SKIP_1) | instid1(VALU_DEP_2)
	v_fmac_f32_e32 v7, v4, v5
	v_xad_u32 v4, v0, -1, s15
	v_fma_f32 v3, -v3, v7, v6
	s_delay_alu instid0(VALU_DEP_1) | instskip(NEXT) | instid1(VALU_DEP_1)
	v_div_fmas_f32 v3, v3, v5, v7
	v_div_fixup_f32 v2, v3, v2, 1.0
	v_mov_b32_e32 v3, v0
	v_cmpx_lt_u32_e32 0x7f, v4
	s_cbranch_execz .LBB2_42
; %bb.34:
	s_delay_alu instid0(VALU_DEP_3) | instskip(NEXT) | instid1(VALU_DEP_1)
	v_dual_mov_b32 v3, v2 :: v_dual_lshrrev_b32 v4, 7, v4
	v_dual_mov_b32 v9, 0 :: v_dual_add_nc_u32 v5, -1, v4
	s_delay_alu instid0(VALU_DEP_1) | instskip(SKIP_1) | instid1(VALU_DEP_2)
	v_lshrrev_b32_e32 v6, 1, v5
	v_cmp_lt_u32_e32 vcc_lo, 13, v5
	v_add_nc_u32_e32 v5, 1, v6
	s_and_saveexec_b32 s3, vcc_lo
	s_cbranch_execz .LBB2_38
; %bb.35:
	s_delay_alu instid0(VALU_DEP_1)
	v_and_b32_e32 v6, -8, v5
	v_lshl_add_u32 v7, v0, 2, 0x160
	s_mov_b32 s24, 0
	s_mov_b32 s25, 0
.LBB2_36:                               ; =>This Inner Loop Header: Depth=1
	ds_load_2addr_stride64_b32 v[10:11], v7 offset1:2
	ds_load_2addr_stride64_b32 v[12:13], v7 offset0:4 offset1:6
	ds_load_2addr_stride64_b32 v[14:15], v7 offset0:8 offset1:10
	;; [unrolled: 1-line block ×7, first 2 shown]
	s_add_co_i32 s25, s25, 16
	s_delay_alu instid0(SALU_CYCLE_1) | instskip(NEXT) | instid1(VALU_DEP_1)
	v_dual_mov_b32 v9, s25 :: v_dual_add_nc_u32 v6, -8, v6
	v_cmp_eq_u32_e32 vcc_lo, 0, v6
	s_or_b32 s24, vcc_lo, s24
	s_wait_dscnt 0x7
	v_pk_mul_f32 v[10:11], v[2:3], v[10:11]
	s_wait_dscnt 0x6
	v_pk_mul_f32 v[12:13], v[2:3], v[12:13]
	s_wait_dscnt 0x5
	v_pk_mul_f32 v[14:15], v[2:3], v[14:15]
	s_wait_dscnt 0x4
	v_pk_mul_f32 v[16:17], v[2:3], v[16:17]
	s_wait_dscnt 0x3
	v_pk_mul_f32 v[18:19], v[2:3], v[18:19]
	s_wait_dscnt 0x2
	v_pk_mul_f32 v[20:21], v[2:3], v[20:21]
	s_wait_dscnt 0x1
	v_pk_mul_f32 v[22:23], v[2:3], v[22:23]
	s_wait_dscnt 0x0
	v_pk_mul_f32 v[24:25], v[2:3], v[24:25]
	ds_store_2addr_stride64_b32 v7, v10, v11 offset1:2
	ds_store_2addr_stride64_b32 v7, v12, v13 offset0:4 offset1:6
	ds_store_2addr_stride64_b32 v7, v14, v15 offset0:8 offset1:10
	;; [unrolled: 1-line block ×7, first 2 shown]
	v_add_nc_u32_e32 v7, 0x2000, v7
	s_and_not1_b32 exec_lo, exec_lo, s24
	s_cbranch_execnz .LBB2_36
; %bb.37:
	s_or_b32 exec_lo, exec_lo, s24
.LBB2_38:
	s_delay_alu instid0(SALU_CYCLE_1) | instskip(NEXT) | instid1(VALU_DEP_1)
	s_or_b32 exec_lo, exec_lo, s3
	v_and_b32_e32 v5, 7, v5
	s_mov_b32 s24, 0
	s_mov_b32 s3, exec_lo
	s_delay_alu instid0(VALU_DEP_1)
	v_cmpx_ne_u32_e32 0, v5
	s_cbranch_execz .LBB2_41
; %bb.39:
	v_dual_lshlrev_b32 v6, 9, v9 :: v_dual_lshlrev_b32 v7, 2, v0
	s_delay_alu instid0(VALU_DEP_1)
	v_add3_u32 v6, v6, v7, 0x160
.LBB2_40:                               ; =>This Inner Loop Header: Depth=1
	ds_load_2addr_stride64_b32 v[10:11], v6 offset1:2
	v_add_nc_u32_e32 v5, -1, v5
	s_delay_alu instid0(VALU_DEP_1)
	v_cmp_eq_u32_e32 vcc_lo, 0, v5
	s_or_b32 s24, vcc_lo, s24
	s_wait_dscnt 0x0
	v_pk_mul_f32 v[10:11], v[2:3], v[10:11]
	ds_store_2addr_stride64_b32 v6, v10, v11 offset1:2
	v_add_nc_u32_e32 v6, 0x400, v6
	s_and_not1_b32 exec_lo, exec_lo, s24
	s_cbranch_execnz .LBB2_40
.LBB2_41:
	s_or_b32 exec_lo, exec_lo, s3
	v_add_nc_u32_e32 v3, 1, v4
	s_delay_alu instid0(VALU_DEP_1) | instskip(NEXT) | instid1(VALU_DEP_1)
	v_and_b32_e32 v4, 0x3fffffe, v3
	v_cmp_ne_u32_e32 vcc_lo, v3, v4
	v_lshl_add_u32 v3, v4, 7, v0
	s_or_not1_b32 s3, vcc_lo, exec_lo
.LBB2_42:
	s_or_b32 exec_lo, exec_lo, s1
	s_delay_alu instid0(SALU_CYCLE_1)
	s_and_b32 exec_lo, exec_lo, s3
	s_cbranch_execz .LBB2_45
; %bb.43:
	v_lshl_add_u32 v4, v3, 2, 0x160
	s_mov_b32 s1, 0
.LBB2_44:                               ; =>This Inner Loop Header: Depth=1
	ds_load_b32 v5, v4
	v_add_nc_u32_e32 v3, 0x80, v3
	s_delay_alu instid0(VALU_DEP_1)
	v_cmp_le_i32_e32 vcc_lo, s15, v3
	s_or_b32 s1, vcc_lo, s1
	s_wait_dscnt 0x0
	v_mul_f32_e32 v5, v2, v5
	ds_store_b32 v4, v5
	v_add_nc_u32_e32 v4, 0x200, v4
	s_and_not1_b32 exec_lo, exec_lo, s1
	s_cbranch_execnz .LBB2_44
.LBB2_45:
	s_or_b32 exec_lo, exec_lo, s0
	v_dual_mov_b32 v28, 0 :: v_dual_bitop2_b32 v38, 1, v0 bitop3:0x40
	v_dual_mov_b32 v31, 0 :: v_dual_mov_b32 v30, 0
	v_mov_b32_e32 v39, 0
	s_wait_dscnt 0x0
	s_barrier_signal -1
	s_barrier_wait -1
	s_and_saveexec_b32 s1, s2
	s_cbranch_execz .LBB2_61
; %bb.46:
	s_abs_i32 s10, s10
	v_dual_lshlrev_b32 v4, 2, v0 :: v_dual_lshlrev_b32 v3, 4, v0
	s_cvt_f32_u32 s0, s10
	v_dual_mov_b32 v27, 0 :: v_dual_lshlrev_b32 v5, 4, v38
	s_ashr_i32 s15, s14, 31
	s_delay_alu instid0(SALU_CYCLE_1)
	v_rcp_iflag_f32_e32 v2, s0
	s_lshl_b64 s[14:15], s[14:15], 2
	s_sub_co_i32 s24, s8, s9
	s_wait_kmcnt 0x0
	s_add_nc_u64 s[14:15], s[22:23], s[14:15]
	s_sub_co_i32 s8, 0, s10
	v_dual_mov_b32 v39, v27 :: v_dual_mov_b32 v30, v27
	v_readfirstlane_b32 s0, v2
	v_and_b32_e32 v2, 0x1f0, v3
	v_dual_mov_b32 v3, v27 :: v_dual_bitop2_b32 v40, 4, v4 bitop3:0x40
	v_lshl_or_b32 v4, v1, 5, v5
	s_mul_f32 s0, s0, 0x4f7ffffe
	v_mov_b32_e32 v42, v1
	s_delay_alu instid0(VALU_DEP_3)
	v_add_nc_u64_e32 v[32:33], s[14:15], v[2:3]
	v_and_b32_e32 v2, 0x7c, v8
	s_lshl_b64 s[14:15], s[18:19], 2
	s_cvt_u32_f32 s0, s0
	s_add_nc_u64 s[14:15], s[20:21], s[14:15]
	v_add_nc_u32_e32 v41, 0x160, v4
	v_add_nc_u64_e32 v[34:35], s[14:15], v[2:3]
	s_mul_i32 s8, s8, s0
	v_dual_mov_b32 v31, v27 :: v_dual_mov_b32 v28, v27
	v_mov_b32_e32 v29, v27
	s_mov_b32 s9, 0
	s_mul_hi_u32 s8, s0, s8
	s_ashr_i32 s3, s13, 31
	s_mov_b32 s2, s13
	s_add_co_i32 s13, s34, -1
	s_mov_b32 s14, s31
	s_add_co_i32 s8, s0, s8
	s_mov_b32 s15, s9
	s_branch .LBB2_49
.LBB2_47:                               ;   in Loop: Header=BB2_49 Depth=1
	s_or_b32 exec_lo, exec_lo, s0
	s_wait_loadcnt_dscnt 0x200
	v_mul_f32_e32 v14, v6, v14
	s_wait_loadcnt 0x1
	v_mul_f32_e32 v18, v6, v18
	v_mul_f32_e32 v43, v6, v2
	;; [unrolled: 1-line block ×3, first 2 shown]
	s_wait_loadcnt 0x0
	v_pk_mul_f32 v[22:23], v[6:7], v[22:23]
	v_fmac_f32_e32 v14, v7, v15
	v_fmac_f32_e32 v18, v7, v19
	;; [unrolled: 1-line block ×4, first 2 shown]
	v_pk_mul_f32 v[2:3], v[8:9], v[24:25]
	s_delay_alu instid0(VALU_DEP_4) | instskip(SKIP_1) | instid1(VALU_DEP_2)
	v_dual_add_f32 v6, v23, v22 :: v_dual_fmac_f32 v18, v8, v20
	v_fmac_f32_e32 v14, v8, v16
	v_dual_fmac_f32 v43, v8, v4 :: v_dual_add_f32 v2, v2, v6
	s_delay_alu instid0(VALU_DEP_3) | instskip(NEXT) | instid1(VALU_DEP_2)
	v_fmac_f32_e32 v18, v9, v21
	v_dual_fmac_f32 v10, v8, v12 :: v_dual_fmac_f32 v43, v9, v5
	s_delay_alu instid0(VALU_DEP_3) | instskip(NEXT) | instid1(VALU_DEP_3)
	v_dual_fmac_f32 v14, v9, v17 :: v_dual_add_f32 v2, v3, v2
	v_add_f32_e32 v29, v29, v18
	s_delay_alu instid0(VALU_DEP_3) | instskip(NEXT) | instid1(VALU_DEP_3)
	v_dual_fmac_f32 v10, v9, v13 :: v_dual_add_f32 v30, v30, v43
	v_add_f32_e32 v28, v28, v14
	s_delay_alu instid0(VALU_DEP_4) | instskip(NEXT) | instid1(VALU_DEP_3)
	v_add_f32_e32 v39, v39, v2
	v_add_f32_e32 v31, v31, v10
.LBB2_48:                               ;   in Loop: Header=BB2_49 Depth=1
	s_or_b32 exec_lo, exec_lo, s18
	v_add_nc_u32_e32 v42, 4, v42
	v_add_nc_u64_e32 v[34:35], 16, v[34:35]
	v_add_nc_u32_e32 v26, 32, v26
	v_add_nc_u32_e32 v41, 0x80, v41
	s_delay_alu instid0(VALU_DEP_4) | instskip(SKIP_1) | instid1(SALU_CYCLE_1)
	v_cmp_le_i32_e32 vcc_lo, s34, v42
	s_or_b32 s15, vcc_lo, s15
	s_and_not1_b32 exec_lo, exec_lo, s15
	s_cbranch_execz .LBB2_60
.LBB2_49:                               ; =>This Inner Loop Header: Depth=1
	v_mul_u64_e32 v[2:3], s[16:17], v[26:27]
	s_delay_alu instid0(VALU_DEP_1) | instskip(NEXT) | instid1(VALU_DEP_1)
	v_mul_lo_u32 v2, v3, s12
	v_dual_add_nc_u32 v4, 1, v3 :: v_dual_sub_nc_u32 v2, v26, v2
	s_delay_alu instid0(VALU_DEP_1) | instskip(SKIP_1) | instid1(VALU_DEP_2)
	v_subrev_nc_u32_e32 v5, s12, v2
	v_cmp_le_u32_e32 vcc_lo, s12, v2
	v_dual_cndmask_b32 v3, v3, v4 :: v_dual_cndmask_b32 v2, v2, v5
	s_delay_alu instid0(VALU_DEP_1) | instskip(NEXT) | instid1(VALU_DEP_2)
	v_add_nc_u32_e32 v4, 1, v3
	v_cmp_le_u32_e32 vcc_lo, s12, v2
	s_delay_alu instid0(VALU_DEP_2) | instskip(NEXT) | instid1(VALU_DEP_1)
	v_cndmask_b32_e32 v2, v3, v4, vcc_lo
	v_dual_mov_b32 v3, v27 :: v_dual_bitop2_b32 v2, s11, v2 bitop3:0x14
	s_delay_alu instid0(VALU_DEP_1) | instskip(NEXT) | instid1(VALU_DEP_1)
	v_subrev_nc_u32_e32 v6, s11, v2
	v_add_nc_u32_e32 v7, s33, v6
	v_cmp_lt_i32_e64 s0, s24, v6
	s_delay_alu instid0(VALU_DEP_2) | instskip(NEXT) | instid1(VALU_DEP_1)
	v_sub_nc_u32_e32 v2, 0, v7
	v_max_i32_e32 v2, v7, v2
	s_delay_alu instid0(VALU_DEP_1) | instskip(SKIP_1) | instid1(VALU_DEP_2)
	v_mul_u64_e32 v[4:5], s[8:9], v[2:3]
	v_ashrrev_i32_e32 v4, 31, v7
	v_mul_lo_u32 v3, v5, s10
	s_delay_alu instid0(VALU_DEP_1) | instskip(NEXT) | instid1(VALU_DEP_1)
	v_sub_nc_u32_e32 v2, v2, v3
	v_subrev_nc_u32_e32 v3, s10, v2
	v_cmp_le_u32_e32 vcc_lo, s10, v2
	s_delay_alu instid0(VALU_DEP_2) | instskip(NEXT) | instid1(VALU_DEP_1)
	v_cndmask_b32_e32 v2, v2, v3, vcc_lo
	v_subrev_nc_u32_e32 v3, s10, v2
	v_cmp_le_u32_e32 vcc_lo, s10, v2
	s_delay_alu instid0(VALU_DEP_2) | instskip(NEXT) | instid1(VALU_DEP_1)
	v_cndmask_b32_e32 v2, v2, v3, vcc_lo
	v_xor_b32_e32 v2, v2, v4
	s_delay_alu instid0(VALU_DEP_1) | instskip(NEXT) | instid1(VALU_DEP_1)
	v_sub_nc_u32_e32 v2, v2, v4
	v_cmp_eq_u32_e32 vcc_lo, 0, v2
	s_or_b32 s0, vcc_lo, s0
	s_delay_alu instid0(SALU_CYCLE_1)
	s_and_saveexec_b32 s18, s0
	s_cbranch_execz .LBB2_48
; %bb.50:                               ;   in Loop: Header=BB2_49 Depth=1
	global_load_b32 v2, v[34:35], off
	v_add_nc_u32_e32 v43, v40, v26
	ds_load_b128 v[6:9], v41
	v_cmp_eq_u32_e32 vcc_lo, s13, v42
	v_or_b32_e32 v45, 3, v43
	v_dual_add_nc_u32 v46, 1, v43 :: v_dual_bitop2_b32 v44, 2, v43 bitop3:0x54
	s_wait_loadcnt 0x0
	v_ashrrev_i32_e32 v3, 31, v2
	s_delay_alu instid0(VALU_DEP_1) | instskip(NEXT) | instid1(VALU_DEP_1)
	v_mul_u64_e32 v[2:3], s[2:3], v[2:3]
	v_lshl_add_u64 v[22:23], v[2:3], 2, v[32:33]
	global_load_b128 v[2:5], v[22:23], off
	s_wait_xcnt 0x0
	s_and_saveexec_b32 s19, vcc_lo
	s_cbranch_execnz .LBB2_55
; %bb.51:                               ;   in Loop: Header=BB2_49 Depth=1
	s_or_b32 exec_lo, exec_lo, s19
	global_load_b128 v[10:13], v[22:23], off offset:512
	s_wait_xcnt 0x0
	s_and_saveexec_b32 s19, vcc_lo
	s_cbranch_execnz .LBB2_56
.LBB2_52:                               ;   in Loop: Header=BB2_49 Depth=1
	s_or_b32 exec_lo, exec_lo, s19
	global_load_b128 v[14:17], v[22:23], off offset:1024
	s_wait_xcnt 0x0
	s_and_saveexec_b32 s19, vcc_lo
	s_cbranch_execnz .LBB2_57
.LBB2_53:                               ;   in Loop: Header=BB2_49 Depth=1
	s_or_b32 exec_lo, exec_lo, s19
	global_load_b128 v[18:21], v[22:23], off offset:1536
	s_wait_xcnt 0x0
	s_and_saveexec_b32 s19, vcc_lo
	s_cbranch_execnz .LBB2_58
.LBB2_54:                               ;   in Loop: Header=BB2_49 Depth=1
	s_or_b32 exec_lo, exec_lo, s19
	global_load_b128 v[22:25], v[22:23], off offset:2048
	s_wait_xcnt 0x0
	s_and_saveexec_b32 s0, vcc_lo
	s_cbranch_execz .LBB2_47
	s_branch .LBB2_59
.LBB2_55:                               ;   in Loop: Header=BB2_49 Depth=1
	v_cmp_gt_i32_e64 s0, s14, v46
	s_wait_loadcnt 0x0
	s_delay_alu instid0(VALU_DEP_1) | instskip(SKIP_1) | instid1(VALU_DEP_1)
	v_cndmask_b32_e64 v3, 0, v3, s0
	v_cmp_gt_i32_e64 s0, s31, v43
	v_cndmask_b32_e64 v2, 0, v2, s0
	v_cmp_gt_i32_e64 s0, s14, v45
	s_delay_alu instid0(VALU_DEP_1) | instskip(SKIP_1) | instid1(VALU_DEP_1)
	v_cndmask_b32_e64 v5, 0, v5, s0
	v_cmp_gt_i32_e64 s0, s31, v44
	v_cndmask_b32_e64 v4, 0, v4, s0
	s_or_b32 exec_lo, exec_lo, s19
	global_load_b128 v[10:13], v[22:23], off offset:512
	s_wait_xcnt 0x0
	s_and_saveexec_b32 s19, vcc_lo
	s_cbranch_execz .LBB2_52
.LBB2_56:                               ;   in Loop: Header=BB2_49 Depth=1
	v_cmp_gt_i32_e64 s0, s14, v46
	s_wait_loadcnt 0x0
	s_delay_alu instid0(VALU_DEP_1) | instskip(SKIP_1) | instid1(VALU_DEP_1)
	v_cndmask_b32_e64 v11, 0, v11, s0
	v_cmp_gt_i32_e64 s0, s31, v43
	v_cndmask_b32_e64 v10, 0, v10, s0
	v_cmp_gt_i32_e64 s0, s14, v45
	s_delay_alu instid0(VALU_DEP_1) | instskip(SKIP_1) | instid1(VALU_DEP_1)
	v_cndmask_b32_e64 v13, 0, v13, s0
	v_cmp_gt_i32_e64 s0, s31, v44
	v_cndmask_b32_e64 v12, 0, v12, s0
	s_or_b32 exec_lo, exec_lo, s19
	global_load_b128 v[14:17], v[22:23], off offset:1024
	s_wait_xcnt 0x0
	s_and_saveexec_b32 s19, vcc_lo
	s_cbranch_execz .LBB2_53
.LBB2_57:                               ;   in Loop: Header=BB2_49 Depth=1
	v_cmp_gt_i32_e64 s0, s14, v46
	s_wait_loadcnt 0x0
	s_delay_alu instid0(VALU_DEP_1) | instskip(SKIP_1) | instid1(VALU_DEP_1)
	v_cndmask_b32_e64 v15, 0, v15, s0
	v_cmp_gt_i32_e64 s0, s31, v43
	v_cndmask_b32_e64 v14, 0, v14, s0
	v_cmp_gt_i32_e64 s0, s14, v45
	s_delay_alu instid0(VALU_DEP_1) | instskip(SKIP_1) | instid1(VALU_DEP_1)
	v_cndmask_b32_e64 v17, 0, v17, s0
	v_cmp_gt_i32_e64 s0, s31, v44
	v_cndmask_b32_e64 v16, 0, v16, s0
	s_or_b32 exec_lo, exec_lo, s19
	global_load_b128 v[18:21], v[22:23], off offset:1536
	s_wait_xcnt 0x0
	s_and_saveexec_b32 s19, vcc_lo
	s_cbranch_execz .LBB2_54
.LBB2_58:                               ;   in Loop: Header=BB2_49 Depth=1
	v_cmp_gt_i32_e64 s0, s14, v46
	s_wait_loadcnt 0x0
	s_delay_alu instid0(VALU_DEP_1) | instskip(SKIP_1) | instid1(VALU_DEP_1)
	v_cndmask_b32_e64 v19, 0, v19, s0
	v_cmp_gt_i32_e64 s0, s31, v43
	v_cndmask_b32_e64 v18, 0, v18, s0
	v_cmp_gt_i32_e64 s0, s14, v45
	s_delay_alu instid0(VALU_DEP_1) | instskip(SKIP_1) | instid1(VALU_DEP_1)
	v_cndmask_b32_e64 v21, 0, v21, s0
	v_cmp_gt_i32_e64 s0, s31, v44
	v_cndmask_b32_e64 v20, 0, v20, s0
	s_or_b32 exec_lo, exec_lo, s19
	global_load_b128 v[22:25], v[22:23], off offset:2048
	s_wait_xcnt 0x0
	s_and_saveexec_b32 s0, vcc_lo
	s_cbranch_execz .LBB2_47
.LBB2_59:                               ;   in Loop: Header=BB2_49 Depth=1
	v_cmp_gt_i32_e32 vcc_lo, s14, v46
	s_wait_loadcnt 0x0
	v_cndmask_b32_e32 v23, 0, v23, vcc_lo
	v_cmp_gt_i32_e32 vcc_lo, s31, v43
	v_cndmask_b32_e32 v22, 0, v22, vcc_lo
	v_cmp_gt_i32_e32 vcc_lo, s14, v45
	;; [unrolled: 2-line block ×3, first 2 shown]
	v_cndmask_b32_e32 v24, 0, v24, vcc_lo
	s_branch .LBB2_47
.LBB2_60:
	s_or_b32 exec_lo, exec_lo, s15
.LBB2_61:
	s_delay_alu instid0(SALU_CYCLE_1)
	s_or_b32 exec_lo, exec_lo, s1
	ds_bpermute_b32 v2, v37, v30
	ds_bpermute_b32 v3, v37, v31
	;; [unrolled: 1-line block ×5, first 2 shown]
	v_and_b32_e32 v7, 0x3c1, v0
	v_lshrrev_b32_e32 v8, 1, v36
	s_mov_b32 s0, exec_lo
	s_wait_dscnt 0x0
	s_barrier_signal -1
	s_barrier_wait -1
	v_pk_add_f32 v[4:5], v[30:31], v[2:3]
	v_pk_add_f32 v[2:3], v[28:29], v[10:11]
	v_cmpx_ne_u32_e32 64, v7
	s_xor_b32 s0, exec_lo, s0
	s_delay_alu instid0(SALU_CYCLE_1)
	s_or_saveexec_b32 s0, s0
	v_add_f32_e32 v6, v39, v6
	v_lshl_add_u32 v7, v8, 2, 0x160
	v_mul_u32_u24_e32 v1, 0x140, v1
	s_xor_b32 exec_lo, exec_lo, s0
	s_cbranch_execz .LBB2_63
; %bb.62:
	s_delay_alu instid0(VALU_DEP_1) | instskip(NEXT) | instid1(VALU_DEP_1)
	v_add_nc_u32_e32 v9, v7, v1
	v_add_nc_u32_e32 v10, 0xfffffd80, v9
	;; [unrolled: 1-line block ×6, first 2 shown]
	ds_store_b32 v10, v4
	ds_store_b32 v11, v5
	;; [unrolled: 1-line block ×5, first 2 shown]
.LBB2_63:
	s_or_b32 exec_lo, exec_lo, s0
	v_lshlrev_b32_e32 v8, 2, v8
	s_mov_b32 s1, exec_lo
	v_cmp_eq_u32_e32 vcc_lo, 0, v38
	s_wait_dscnt 0x0
	s_barrier_signal -1
	v_add3_u32 v1, 0x160, v1, v8
	s_barrier_wait -1
	v_cmpx_gt_u32_e32 64, v0
	s_cbranch_execz .LBB2_71
; %bb.64:
	s_and_saveexec_b32 s0, vcc_lo
	s_cbranch_execnz .LBB2_84
; %bb.65:
	s_or_b32 exec_lo, exec_lo, s0
	s_and_saveexec_b32 s0, vcc_lo
	s_cbranch_execnz .LBB2_85
.LBB2_66:
	s_or_b32 exec_lo, exec_lo, s0
	s_and_saveexec_b32 s0, vcc_lo
	s_cbranch_execnz .LBB2_86
.LBB2_67:
	s_or_b32 exec_lo, exec_lo, s0
	s_and_saveexec_b32 s0, vcc_lo
	s_cbranch_execnz .LBB2_87
.LBB2_68:
	s_or_b32 exec_lo, exec_lo, s0
	s_and_saveexec_b32 s0, vcc_lo
	s_cbranch_execz .LBB2_70
.LBB2_69:
	ds_load_b32 v8, v1 offset:256
	s_wait_dscnt 0x0
	v_add_f32_e32 v6, v6, v8
.LBB2_70:
	s_or_b32 exec_lo, exec_lo, s0
.LBB2_71:
	s_delay_alu instid0(SALU_CYCLE_1) | instskip(SKIP_4) | instid1(VALU_DEP_1)
	s_or_b32 exec_lo, exec_lo, s1
	v_and_b32_e32 v8, 0x3e1, v0
	s_mov_b32 s1, exec_lo
	s_barrier_signal -1
	s_barrier_wait -1
	v_cmpx_eq_u32_e32 32, v8
	s_cbranch_execz .LBB2_73
; %bb.72:
	ds_store_2addr_b32 v7, v4, v5 offset1:16
	ds_store_2addr_b32 v7, v2, v3 offset0:32 offset1:48
	ds_store_b32 v7, v6 offset:256
.LBB2_73:
	s_or_b32 exec_lo, exec_lo, s1
	s_delay_alu instid0(SALU_CYCLE_1)
	s_mov_b32 s1, exec_lo
	s_wait_dscnt 0x0
	s_barrier_signal -1
	s_barrier_wait -1
	v_cmpx_gt_u32_e32 32, v0
	s_cbranch_execz .LBB2_81
; %bb.74:
	s_and_saveexec_b32 s0, vcc_lo
	s_cbranch_execnz .LBB2_88
; %bb.75:
	s_or_b32 exec_lo, exec_lo, s0
	s_and_saveexec_b32 s0, vcc_lo
	s_cbranch_execnz .LBB2_89
.LBB2_76:
	s_or_b32 exec_lo, exec_lo, s0
	s_and_saveexec_b32 s0, vcc_lo
	s_cbranch_execnz .LBB2_90
.LBB2_77:
	s_or_b32 exec_lo, exec_lo, s0
	s_and_saveexec_b32 s0, vcc_lo
	s_cbranch_execnz .LBB2_91
.LBB2_78:
	s_or_b32 exec_lo, exec_lo, s0
	s_and_saveexec_b32 s0, vcc_lo
	s_cbranch_execz .LBB2_80
.LBB2_79:
	ds_load_b32 v1, v1 offset:256
	s_wait_dscnt 0x0
	v_add_f32_e32 v6, v6, v1
.LBB2_80:
	s_or_b32 exec_lo, exec_lo, s0
.LBB2_81:
	s_delay_alu instid0(SALU_CYCLE_1)
	s_or_b32 exec_lo, exec_lo, s1
	s_mov_b32 s1, 0
	s_barrier_signal -1
	s_barrier_wait -1
	s_mov_b32 s0, exec_lo
	v_cmpx_eq_u32_e32 0, v8
	s_cbranch_execz .LBB2_83
; %bb.82:
	s_mul_i32 s0, s30, s7
	s_mul_i32 s2, s7, s6
	;; [unrolled: 1-line block ×3, first 2 shown]
	s_lshr_b32 s8, ttmp7, 16
	s_mul_i32 s6, s0, 0x50
	s_bfe_u32 s0, ttmp6, 0x40014
	s_ashr_i32 s7, s6, 31
	s_add_co_i32 s0, s0, 1
	s_lshl_b64 s[6:7], s[6:7], 2
	s_ashr_i32 s3, s2, 31
	s_wait_kmcnt 0x0
	s_add_nc_u64 s[4:5], s[4:5], s[6:7]
	s_mul_i32 s0, s8, s0
	s_bfe_u32 s6, ttmp6, 0x40008
	s_lshl_b64 s[2:3], s[2:3], 2
	s_add_co_i32 s6, s6, s0
	s_cmp_eq_u32 s28, 0
	v_lshlrev_b32_e32 v0, 1, v0
	s_cselect_b32 s0, s8, s6
	s_add_nc_u64 s[2:3], s[4:5], s[2:3]
	s_mulk_i32 s0, 0x140
	s_delay_alu instid0(SALU_CYCLE_1)
	s_add_nc_u64 s[0:1], s[2:3], s[0:1]
	s_clause 0x4
	global_store_b32 v0, v4, s[0:1]
	global_store_b32 v0, v5, s[0:1] offset:64
	global_store_b32 v0, v2, s[0:1] offset:128
	;; [unrolled: 1-line block ×4, first 2 shown]
.LBB2_83:
	s_endpgm
.LBB2_84:
	ds_load_b32 v8, v1
	s_wait_dscnt 0x0
	v_add_f32_e32 v4, v4, v8
	s_or_b32 exec_lo, exec_lo, s0
	s_and_saveexec_b32 s0, vcc_lo
	s_cbranch_execz .LBB2_66
.LBB2_85:
	ds_load_b32 v8, v1 offset:64
	s_wait_dscnt 0x0
	v_add_f32_e32 v5, v5, v8
	s_or_b32 exec_lo, exec_lo, s0
	s_and_saveexec_b32 s0, vcc_lo
	s_cbranch_execz .LBB2_67
.LBB2_86:
	ds_load_b32 v8, v1 offset:128
	s_wait_dscnt 0x0
	v_add_f32_e32 v2, v2, v8
	s_or_b32 exec_lo, exec_lo, s0
	s_and_saveexec_b32 s0, vcc_lo
	s_cbranch_execz .LBB2_68
.LBB2_87:
	ds_load_b32 v8, v1 offset:192
	s_wait_dscnt 0x0
	v_add_f32_e32 v3, v3, v8
	s_or_b32 exec_lo, exec_lo, s0
	s_and_saveexec_b32 s0, vcc_lo
	s_cbranch_execnz .LBB2_69
	s_branch .LBB2_70
.LBB2_88:
	ds_load_b32 v7, v1
	s_wait_dscnt 0x0
	v_add_f32_e32 v4, v4, v7
	s_or_b32 exec_lo, exec_lo, s0
	s_and_saveexec_b32 s0, vcc_lo
	s_cbranch_execz .LBB2_76
.LBB2_89:
	ds_load_b32 v7, v1 offset:64
	s_wait_dscnt 0x0
	v_add_f32_e32 v5, v5, v7
	s_or_b32 exec_lo, exec_lo, s0
	s_and_saveexec_b32 s0, vcc_lo
	s_cbranch_execz .LBB2_77
.LBB2_90:
	ds_load_b32 v7, v1 offset:128
	s_wait_dscnt 0x0
	v_add_f32_e32 v2, v2, v7
	s_or_b32 exec_lo, exec_lo, s0
	s_and_saveexec_b32 s0, vcc_lo
	s_cbranch_execz .LBB2_78
.LBB2_91:
	ds_load_b32 v7, v1 offset:192
	s_wait_dscnt 0x0
	v_add_f32_e32 v3, v3, v7
	s_or_b32 exec_lo, exec_lo, s0
	s_and_saveexec_b32 s0, vcc_lo
	s_cbranch_execnz .LBB2_79
	s_branch .LBB2_80
	.section	.rodata,"a",@progbits
	.p2align	6, 0x0
	.amdhsa_kernel _ZN4vllm25paged_attention_v1_kernelIffLi80ELi8ELi128ELNS_18Fp8KVCacheDataTypeE0ELb1EEEvPT_PKS2_PKT0_S8_ifPKiSA_iPKfiiiSC_SC_iiiii
		.amdhsa_group_segment_fixed_size 352
		.amdhsa_private_segment_fixed_size 0
		.amdhsa_kernarg_size 384
		.amdhsa_user_sgpr_count 2
		.amdhsa_user_sgpr_dispatch_ptr 0
		.amdhsa_user_sgpr_queue_ptr 0
		.amdhsa_user_sgpr_kernarg_segment_ptr 1
		.amdhsa_user_sgpr_dispatch_id 0
		.amdhsa_user_sgpr_kernarg_preload_length 0
		.amdhsa_user_sgpr_kernarg_preload_offset 0
		.amdhsa_user_sgpr_private_segment_size 0
		.amdhsa_wavefront_size32 1
		.amdhsa_uses_dynamic_stack 0
		.amdhsa_enable_private_segment 0
		.amdhsa_system_sgpr_workgroup_id_x 1
		.amdhsa_system_sgpr_workgroup_id_y 1
		.amdhsa_system_sgpr_workgroup_id_z 1
		.amdhsa_system_sgpr_workgroup_info 0
		.amdhsa_system_vgpr_workitem_id 0
		.amdhsa_next_free_vgpr 48
		.amdhsa_next_free_sgpr 40
		.amdhsa_named_barrier_count 0
		.amdhsa_reserve_vcc 1
		.amdhsa_float_round_mode_32 0
		.amdhsa_float_round_mode_16_64 0
		.amdhsa_float_denorm_mode_32 3
		.amdhsa_float_denorm_mode_16_64 3
		.amdhsa_fp16_overflow 0
		.amdhsa_memory_ordered 1
		.amdhsa_forward_progress 1
		.amdhsa_inst_pref_size 47
		.amdhsa_round_robin_scheduling 0
		.amdhsa_exception_fp_ieee_invalid_op 0
		.amdhsa_exception_fp_denorm_src 0
		.amdhsa_exception_fp_ieee_div_zero 0
		.amdhsa_exception_fp_ieee_overflow 0
		.amdhsa_exception_fp_ieee_underflow 0
		.amdhsa_exception_fp_ieee_inexact 0
		.amdhsa_exception_int_div_zero 0
	.end_amdhsa_kernel
	.section	.text._ZN4vllm25paged_attention_v1_kernelIffLi80ELi8ELi128ELNS_18Fp8KVCacheDataTypeE0ELb1EEEvPT_PKS2_PKT0_S8_ifPKiSA_iPKfiiiSC_SC_iiiii,"axG",@progbits,_ZN4vllm25paged_attention_v1_kernelIffLi80ELi8ELi128ELNS_18Fp8KVCacheDataTypeE0ELb1EEEvPT_PKS2_PKT0_S8_ifPKiSA_iPKfiiiSC_SC_iiiii,comdat
.Lfunc_end2:
	.size	_ZN4vllm25paged_attention_v1_kernelIffLi80ELi8ELi128ELNS_18Fp8KVCacheDataTypeE0ELb1EEEvPT_PKS2_PKT0_S8_ifPKiSA_iPKfiiiSC_SC_iiiii, .Lfunc_end2-_ZN4vllm25paged_attention_v1_kernelIffLi80ELi8ELi128ELNS_18Fp8KVCacheDataTypeE0ELb1EEEvPT_PKS2_PKT0_S8_ifPKiSA_iPKfiiiSC_SC_iiiii
                                        ; -- End function
	.set _ZN4vllm25paged_attention_v1_kernelIffLi80ELi8ELi128ELNS_18Fp8KVCacheDataTypeE0ELb1EEEvPT_PKS2_PKT0_S8_ifPKiSA_iPKfiiiSC_SC_iiiii.num_vgpr, 48
	.set _ZN4vllm25paged_attention_v1_kernelIffLi80ELi8ELi128ELNS_18Fp8KVCacheDataTypeE0ELb1EEEvPT_PKS2_PKT0_S8_ifPKiSA_iPKfiiiSC_SC_iiiii.num_agpr, 0
	.set _ZN4vllm25paged_attention_v1_kernelIffLi80ELi8ELi128ELNS_18Fp8KVCacheDataTypeE0ELb1EEEvPT_PKS2_PKT0_S8_ifPKiSA_iPKfiiiSC_SC_iiiii.numbered_sgpr, 40
	.set _ZN4vllm25paged_attention_v1_kernelIffLi80ELi8ELi128ELNS_18Fp8KVCacheDataTypeE0ELb1EEEvPT_PKS2_PKT0_S8_ifPKiSA_iPKfiiiSC_SC_iiiii.num_named_barrier, 0
	.set _ZN4vllm25paged_attention_v1_kernelIffLi80ELi8ELi128ELNS_18Fp8KVCacheDataTypeE0ELb1EEEvPT_PKS2_PKT0_S8_ifPKiSA_iPKfiiiSC_SC_iiiii.private_seg_size, 0
	.set _ZN4vllm25paged_attention_v1_kernelIffLi80ELi8ELi128ELNS_18Fp8KVCacheDataTypeE0ELb1EEEvPT_PKS2_PKT0_S8_ifPKiSA_iPKfiiiSC_SC_iiiii.uses_vcc, 1
	.set _ZN4vllm25paged_attention_v1_kernelIffLi80ELi8ELi128ELNS_18Fp8KVCacheDataTypeE0ELb1EEEvPT_PKS2_PKT0_S8_ifPKiSA_iPKfiiiSC_SC_iiiii.uses_flat_scratch, 0
	.set _ZN4vllm25paged_attention_v1_kernelIffLi80ELi8ELi128ELNS_18Fp8KVCacheDataTypeE0ELb1EEEvPT_PKS2_PKT0_S8_ifPKiSA_iPKfiiiSC_SC_iiiii.has_dyn_sized_stack, 0
	.set _ZN4vllm25paged_attention_v1_kernelIffLi80ELi8ELi128ELNS_18Fp8KVCacheDataTypeE0ELb1EEEvPT_PKS2_PKT0_S8_ifPKiSA_iPKfiiiSC_SC_iiiii.has_recursion, 0
	.set _ZN4vllm25paged_attention_v1_kernelIffLi80ELi8ELi128ELNS_18Fp8KVCacheDataTypeE0ELb1EEEvPT_PKS2_PKT0_S8_ifPKiSA_iPKfiiiSC_SC_iiiii.has_indirect_call, 0
	.section	.AMDGPU.csdata,"",@progbits
; Kernel info:
; codeLenInByte = 5912
; TotalNumSgprs: 42
; NumVgprs: 48
; ScratchSize: 0
; MemoryBound: 0
; FloatMode: 240
; IeeeMode: 1
; LDSByteSize: 352 bytes/workgroup (compile time only)
; SGPRBlocks: 0
; VGPRBlocks: 2
; NumSGPRsForWavesPerEU: 42
; NumVGPRsForWavesPerEU: 48
; NamedBarCnt: 0
; Occupancy: 16
; WaveLimiterHint : 1
; COMPUTE_PGM_RSRC2:SCRATCH_EN: 0
; COMPUTE_PGM_RSRC2:USER_SGPR: 2
; COMPUTE_PGM_RSRC2:TRAP_HANDLER: 0
; COMPUTE_PGM_RSRC2:TGID_X_EN: 1
; COMPUTE_PGM_RSRC2:TGID_Y_EN: 1
; COMPUTE_PGM_RSRC2:TGID_Z_EN: 1
; COMPUTE_PGM_RSRC2:TIDIG_COMP_CNT: 0
	.section	.text._ZN4vllm25paged_attention_v1_kernelIffLi96ELi8ELi128ELNS_18Fp8KVCacheDataTypeE0ELb1EEEvPT_PKS2_PKT0_S8_ifPKiSA_iPKfiiiSC_SC_iiiii,"axG",@progbits,_ZN4vllm25paged_attention_v1_kernelIffLi96ELi8ELi128ELNS_18Fp8KVCacheDataTypeE0ELb1EEEvPT_PKS2_PKT0_S8_ifPKiSA_iPKfiiiSC_SC_iiiii,comdat
	.protected	_ZN4vllm25paged_attention_v1_kernelIffLi96ELi8ELi128ELNS_18Fp8KVCacheDataTypeE0ELb1EEEvPT_PKS2_PKT0_S8_ifPKiSA_iPKfiiiSC_SC_iiiii ; -- Begin function _ZN4vllm25paged_attention_v1_kernelIffLi96ELi8ELi128ELNS_18Fp8KVCacheDataTypeE0ELb1EEEvPT_PKS2_PKT0_S8_ifPKiSA_iPKfiiiSC_SC_iiiii
	.globl	_ZN4vllm25paged_attention_v1_kernelIffLi96ELi8ELi128ELNS_18Fp8KVCacheDataTypeE0ELb1EEEvPT_PKS2_PKT0_S8_ifPKiSA_iPKfiiiSC_SC_iiiii
	.p2align	8
	.type	_ZN4vllm25paged_attention_v1_kernelIffLi96ELi8ELi128ELNS_18Fp8KVCacheDataTypeE0ELb1EEEvPT_PKS2_PKT0_S8_ifPKiSA_iPKfiiiSC_SC_iiiii,@function
_ZN4vllm25paged_attention_v1_kernelIffLi96ELi8ELi128ELNS_18Fp8KVCacheDataTypeE0ELb1EEEvPT_PKS2_PKT0_S8_ifPKiSA_iPKfiiiSC_SC_iiiii: ; @_ZN4vllm25paged_attention_v1_kernelIffLi96ELi8ELi128ELNS_18Fp8KVCacheDataTypeE0ELb1EEEvPT_PKS2_PKT0_S8_ifPKiSA_iPKfiiiSC_SC_iiiii
; %bb.0:
	s_load_b64 s[22:23], s[0:1], 0x20
	s_bfe_u32 s3, ttmp6, 0x4000c
	s_bfe_u32 s4, ttmp6, 0x40010
	s_and_b32 s6, ttmp7, 0xffff
	s_add_co_i32 s3, s3, 1
	s_add_co_i32 s4, s4, 1
	s_and_b32 s2, ttmp6, 15
	s_bfe_u32 s5, ttmp6, 0x40004
	s_mul_i32 s3, ttmp9, s3
	s_mul_i32 s4, s6, s4
	s_getreg_b32 s28, hwreg(HW_REG_IB_STS2, 6, 4)
	s_add_co_i32 s2, s2, s3
	s_add_co_i32 s3, s5, s4
	s_cmp_eq_u32 s28, 0
	s_clause 0x1
	s_load_b32 s29, s[0:1], 0x80
	s_load_b64 s[4:5], s[0:1], 0x30
	s_cselect_b32 s30, s6, s3
	s_cselect_b32 s2, ttmp9, s2
	s_mov_b32 s17, 0
	s_delay_alu instid0(SALU_CYCLE_1) | instskip(SKIP_2) | instid1(SALU_CYCLE_1)
	s_mov_b32 s35, s17
	s_wait_kmcnt 0x0
	s_abs_i32 s3, s22
	s_cvt_f32_u32 s6, s3
	s_sub_co_i32 s7, 0, s3
	s_delay_alu instid0(SALU_CYCLE_2) | instskip(SKIP_2) | instid1(TRANS32_DEP_1)
	v_rcp_iflag_f32_e32 v1, s6
	s_abs_i32 s8, s29
	v_nop
	v_readfirstlane_b32 s6, v1
	s_mul_f32 s6, s6, 0x4f7ffffe
	s_delay_alu instid0(SALU_CYCLE_3) | instskip(NEXT) | instid1(SALU_CYCLE_3)
	s_cvt_u32_f32 s6, s6
	s_mul_i32 s7, s7, s6
	s_delay_alu instid0(SALU_CYCLE_1) | instskip(NEXT) | instid1(SALU_CYCLE_1)
	s_mul_hi_u32 s7, s6, s7
	s_add_co_i32 s6, s6, s7
	s_xor_b32 s7, s29, s22
	s_mul_hi_u32 s6, s8, s6
	s_ashr_i32 s7, s7, 31
	s_mul_i32 s9, s6, s3
	s_delay_alu instid0(SALU_CYCLE_1)
	s_sub_co_i32 s8, s8, s9
	s_add_co_i32 s9, s6, 1
	s_sub_co_i32 s10, s8, s3
	s_cmp_ge_u32 s8, s3
	s_cselect_b32 s6, s9, s6
	s_cselect_b32 s8, s10, s8
	s_add_co_i32 s9, s6, 1
	s_cmp_ge_u32 s8, s3
	s_cselect_b32 s3, s9, s6
	s_load_b64 s[8:9], s[0:1], 0x40
	s_xor_b32 s3, s3, s7
	s_abs_i32 s16, s2
	s_sub_co_i32 s10, s3, s7
	s_mov_b32 s7, s17
	s_abs_i32 s15, s10
	s_delay_alu instid0(SALU_CYCLE_1) | instskip(SKIP_1) | instid1(SALU_CYCLE_2)
	s_cvt_f32_u32 s3, s15
	s_sub_co_i32 s6, 0, s15
	v_rcp_iflag_f32_e32 v1, s3
	v_nop
	s_delay_alu instid0(TRANS32_DEP_1) | instskip(SKIP_1) | instid1(SALU_CYCLE_3)
	v_readfirstlane_b32 s3, v1
	s_mul_f32 s3, s3, 0x4f7ffffe
	s_cvt_u32_f32 s3, s3
	s_delay_alu instid0(SALU_CYCLE_3) | instskip(NEXT) | instid1(SALU_CYCLE_1)
	s_mul_i32 s6, s6, s3
	s_mul_hi_u32 s6, s3, s6
	s_delay_alu instid0(SALU_CYCLE_1)
	s_add_co_i32 s6, s3, s6
	s_wait_kmcnt 0x0
	s_cmp_eq_u64 s[8:9], 0
	s_cbranch_scc1 .LBB3_2
; %bb.1:
	s_ashr_i32 s3, s2, 31
	s_delay_alu instid0(SALU_CYCLE_1) | instskip(NEXT) | instid1(SALU_CYCLE_1)
	s_lshl_b64 s[12:13], s[2:3], 2
	s_add_nc_u64 s[8:9], s[8:9], s[12:13]
	s_load_b32 s35, s[8:9], 0x0
.LBB3_2:
	s_load_b32 s31, s[4:5], s30 offset:0x0 scale_offset
	s_load_b96 s[12:14], s[0:1], 0x48
	v_and_b32_e32 v4, 3, v0
	s_wait_xcnt 0x0
	s_mul_u64 s[4:5], s[16:17], s[6:7]
	s_ashr_i32 s3, s2, 31
	s_ashr_i32 s18, s10, 31
	s_mul_i32 s6, s2, 0x60
	s_mov_b32 s4, exec_lo
	v_cmpx_gt_u32_e32 0x60, v0
	s_cbranch_execz .LBB3_4
; %bb.3:
	s_load_b64 s[8:9], s[0:1], 0x8
	s_wait_kmcnt 0x0
	s_mul_i32 s10, s12, s30
	s_ashr_i32 s7, s6, 31
	s_ashr_i32 s11, s10, 31
	v_and_b32_e32 v2, 0x3fc, v0
	s_lshl_b64 s[10:11], s[10:11], 2
	s_delay_alu instid0(VALU_DEP_1) | instskip(SKIP_2) | instid1(SALU_CYCLE_1)
	v_mad_u32_u24 v2, 0x60, v4, v2
	s_add_nc_u64 s[8:9], s[8:9], s[10:11]
	s_lshl_b64 s[10:11], s[6:7], 2
	s_add_nc_u64 s[8:9], s[8:9], s[10:11]
	global_load_b32 v1, v0, s[8:9] scale_offset
	s_wait_loadcnt 0x0
	ds_store_b32 v2, v1
.LBB3_4:
	s_or_b32 exec_lo, exec_lo, s4
	s_load_b128 s[8:11], s[0:1], 0x68
	s_mul_i32 s4, s5, s15
	s_xor_b32 s3, s3, s18
	s_sub_co_i32 s4, s16, s4
	s_add_co_i32 s7, s5, 1
	s_wait_kmcnt 0x0
	s_sub_co_i32 s12, s4, s15
	s_cmp_ge_u32 s4, s15
	s_mov_b32 s18, -1
	s_cselect_b32 s5, s7, s5
	s_cselect_b32 s4, s12, s4
	s_add_co_i32 s12, s5, 1
	s_cmp_ge_u32 s4, s15
	s_load_b32 s7, s[0:1], 0x78
	s_cselect_b32 s4, s12, s5
	s_add_co_i32 s15, s31, -1
	s_xor_b32 s4, s4, s3
	s_wait_dscnt 0x0
	s_sub_co_i32 s3, s4, s3
	s_barrier_signal -1
	s_barrier_wait -1
	s_abs_i32 s12, s11
	s_delay_alu instid0(SALU_CYCLE_1) | instskip(NEXT) | instid1(SALU_CYCLE_3)
	s_cvt_f32_u32 s5, s12
                                        ; implicit-def: $sgpr33
	v_rcp_iflag_f32_e32 v1, s5
	v_nop
	s_delay_alu instid0(TRANS32_DEP_1) | instskip(SKIP_1) | instid1(SALU_CYCLE_3)
	v_readfirstlane_b32 s5, v1
	s_mul_f32 s4, s5, 0x4f7ffffe
	s_cvt_u32_f32 s16, s4
	s_sub_co_i32 s4, 0, s12
	s_delay_alu instid0(SALU_CYCLE_2)
	s_mul_i32 s5, s4, s16
	s_abs_i32 s4, s15
	s_mul_hi_u32 s17, s16, s5
	s_mov_b32 s5, 0
	s_add_co_i32 s16, s16, s17
	s_wait_kmcnt 0x0
	s_cmp_lt_i32 s7, 0
	s_mov_b32 s17, s5
	s_cbranch_scc0 .LBB3_6
; %bb.5:
	s_mul_i32 s18, s8, s22
	s_delay_alu instid0(SALU_CYCLE_1) | instskip(NEXT) | instid1(SALU_CYCLE_1)
	s_add_co_i32 s18, s3, s18
	s_mul_i32 s18, s18, s7
	s_delay_alu instid0(SALU_CYCLE_1)
	s_sub_co_i32 s33, 1, s18
	s_mov_b32 s18, s5
.LBB3_6:
	s_ashr_i32 s15, s15, 31
	s_ashr_i32 s11, s11, 31
	s_and_not1_b32 vcc_lo, exec_lo, s18
	s_mul_u64 s[24:25], s[4:5], s[16:17]
	s_cbranch_vccnz .LBB3_8
; %bb.7:
	s_mul_i32 s5, s29, s8
	s_delay_alu instid0(SALU_CYCLE_1) | instskip(NEXT) | instid1(SALU_CYCLE_1)
	s_add_co_i32 s2, s5, s2
	s_mul_i32 s2, s2, s7
	s_delay_alu instid0(SALU_CYCLE_1)
	s_add_co_i32 s33, s2, 1
.LBB3_8:
	s_load_b32 s2, s[0:1], 0x38
	s_mul_i32 s7, s25, s12
	s_xor_b32 s5, s15, s11
	s_sub_co_i32 s4, s4, s7
	s_add_co_i32 s8, s25, 1
	s_clause 0x1
	s_load_b64 s[20:21], s[0:1], 0x28
	s_load_b32 s7, s[0:1], 0x88
	v_dual_mov_b32 v12, 0xff7fffff :: v_dual_lshrrev_b32 v1, 5, v0
	v_lshrrev_b32_e32 v8, 3, v0
	v_mbcnt_lo_u32_b32 v9, -1, 0
	s_mul_i32 s14, s3, s14
	s_delay_alu instid0(VALU_DEP_3)
	v_lshlrev_b32_e32 v30, 3, v1
	s_wait_kmcnt 0x0
	s_mul_i32 s18, s2, s30
	s_sub_co_i32 s2, s4, s12
	s_ashr_i32 s19, s18, 31
	s_cmp_ge_u32 s4, s12
	s_cselect_b32 s8, s8, s25
	s_cselect_b32 s2, s2, s4
	s_add_co_i32 s4, s8, 1
	s_cmp_ge_u32 s2, s12
	s_cselect_b32 s2, s4, s8
	s_add_co_i32 s4, s31, 7
	s_delay_alu instid0(SALU_CYCLE_1) | instskip(NEXT) | instid1(SALU_CYCLE_1)
	s_ashr_i32 s8, s4, 31
	s_lshr_b32 s8, s8, 29
	s_delay_alu instid0(SALU_CYCLE_1) | instskip(NEXT) | instid1(SALU_CYCLE_1)
	s_add_co_i32 s4, s4, s8
	s_ashr_i32 s34, s4, 3
	s_xor_b32 s4, s2, s5
	v_cmp_gt_i32_e64 s2, s34, v1
	s_sub_co_i32 s8, s4, s5
	s_and_saveexec_b32 s22, s2
	s_cbranch_execz .LBB3_20
; %bb.9:
	s_load_b64 s[4:5], s[0:1], 0x10
	s_ashr_i32 s15, s14, 31
	s_sub_co_i32 s36, s8, s9
	s_ashr_i32 s25, s13, 31
	s_lshl_b64 s[38:39], s[14:15], 2
	s_cmp_neq_f32 s35, 0
	v_bfe_u32 v10, v0, 2, 3
	v_mov_b32_e32 v3, 0
	v_mul_u32_u24_e32 v11, 0x60, v4
	s_cselect_b32 vcc_lo, -1, 0
	s_abs_i32 s15, s10
	v_lshlrev_b32_e32 v2, 4, v10
	s_cvt_f32_u32 s3, s15
	v_lshlrev_b32_e32 v12, 2, v10
	v_subrev_nc_u32_e32 v13, s31, v10
	s_sub_co_i32 s26, 0, s15
	v_rcp_iflag_f32_e32 v5, s3
	v_cmp_eq_u32_e64 s3, 0, v4
	v_dual_mov_b32 v18, v1 :: v_dual_bitop2_b32 v16, 2, v9 bitop3:0x14
	s_wait_kmcnt 0x0
	s_add_nc_u64 s[4:5], s[4:5], s[38:39]
	v_add_nc_u32_e32 v13, 1, v13
	v_add_nc_u64_e32 v[6:7], s[4:5], v[2:3]
	v_readfirstlane_b32 s24, v5
	v_lshlrev_b32_e32 v2, 2, v4
	s_lshl_b64 s[4:5], s[18:19], 2
	v_lshl_or_b32 v12, v1, 5, v12
	s_add_nc_u64 s[4:5], s[20:21], s[4:5]
	s_mul_f32 s24, s24, 0x4f7ffffe
	v_add_nc_u64_e32 v[4:5], v[6:7], v[2:3]
	v_and_b32_e32 v2, 0x7c, v8
	v_add_nc_u32_e32 v14, 0x1a0, v12
	s_cvt_u32_f32 s37, s24
	v_xor_b32_e32 v17, 1, v9
	v_mov_b32_e32 v15, 0xff7fffff
	v_add_nc_u64_e32 v[6:7], s[4:5], v[2:3]
	s_mul_i32 s26, s26, s37
	v_lshlrev_b32_e32 v2, 3, v1
	v_mov_b32_e32 v12, 0xff7fffff
	s_mov_b32 s27, 0
	s_mul_hi_u32 s4, s37, s26
	s_mov_b32 s24, s13
	s_add_co_i32 s26, s37, s4
	s_mov_b32 s37, s27
	s_branch .LBB3_12
.LBB3_10:                               ;   in Loop: Header=BB3_12 Depth=1
	s_or_b32 exec_lo, exec_lo, s38
.LBB3_11:                               ;   in Loop: Header=BB3_12 Depth=1
	s_delay_alu instid0(SALU_CYCLE_1) | instskip(SKIP_4) | instid1(VALU_DEP_4)
	s_or_b32 exec_lo, exec_lo, s5
	v_add_nc_u32_e32 v18, 4, v18
	v_add_nc_u64_e32 v[6:7], 16, v[6:7]
	v_add_nc_u32_e32 v2, 32, v2
	v_add_nc_u32_e32 v14, 0x80, v14
	v_cmp_le_i32_e64 s4, s34, v18
	s_or_b32 s37, s4, s37
	s_delay_alu instid0(SALU_CYCLE_1)
	s_and_not1_b32 exec_lo, exec_lo, s37
	s_cbranch_execz .LBB3_19
.LBB3_12:                               ; =>This Inner Loop Header: Depth=1
	s_wait_dscnt 0x0
	v_mul_u64_e32 v[20:21], s[16:17], v[2:3]
	s_delay_alu instid0(VALU_DEP_1) | instskip(NEXT) | instid1(VALU_DEP_1)
	v_mul_lo_u32 v19, v21, s12
	v_dual_add_nc_u32 v20, 1, v21 :: v_dual_sub_nc_u32 v19, v2, v19
	s_delay_alu instid0(VALU_DEP_1) | instskip(SKIP_1) | instid1(VALU_DEP_1)
	v_subrev_nc_u32_e32 v22, s12, v19
	v_cmp_le_u32_e64 s4, s12, v19
	v_dual_cndmask_b32 v20, v21, v20, s4 :: v_dual_cndmask_b32 v19, v19, v22, s4
	s_delay_alu instid0(VALU_DEP_1) | instskip(NEXT) | instid1(VALU_DEP_2)
	v_add_nc_u32_e32 v21, 1, v20
	v_cmp_le_u32_e64 s4, s12, v19
	s_delay_alu instid0(VALU_DEP_1) | instskip(NEXT) | instid1(VALU_DEP_1)
	v_dual_cndmask_b32 v19, v20, v21, s4 :: v_dual_mov_b32 v21, v3
	v_xor_b32_e32 v19, s11, v19
	s_delay_alu instid0(VALU_DEP_1) | instskip(NEXT) | instid1(VALU_DEP_1)
	v_subrev_nc_u32_e32 v19, s11, v19
	v_add_nc_u32_e32 v24, s33, v19
	v_cmp_ge_i32_e64 s5, s36, v19
	s_delay_alu instid0(VALU_DEP_2) | instskip(NEXT) | instid1(VALU_DEP_1)
	v_sub_nc_u32_e32 v20, 0, v24
	v_max_i32_e32 v20, v24, v20
	s_delay_alu instid0(VALU_DEP_1) | instskip(SKIP_1) | instid1(VALU_DEP_2)
	v_mul_u64_e32 v[22:23], s[26:27], v[20:21]
	v_ashrrev_i32_e32 v22, 31, v24
	v_mul_lo_u32 v21, v23, s15
	s_delay_alu instid0(VALU_DEP_1) | instskip(NEXT) | instid1(VALU_DEP_1)
	v_sub_nc_u32_e32 v20, v20, v21
	v_subrev_nc_u32_e32 v21, s15, v20
	v_cmp_le_u32_e64 s4, s15, v20
	s_delay_alu instid0(VALU_DEP_1) | instskip(NEXT) | instid1(VALU_DEP_1)
	v_cndmask_b32_e64 v20, v20, v21, s4
	v_subrev_nc_u32_e32 v21, s15, v20
	v_cmp_le_u32_e64 s4, s15, v20
	s_delay_alu instid0(VALU_DEP_1) | instskip(NEXT) | instid1(VALU_DEP_1)
	v_cndmask_b32_e64 v20, v20, v21, s4
	v_xor_b32_e32 v20, v20, v22
	s_delay_alu instid0(VALU_DEP_1) | instskip(NEXT) | instid1(VALU_DEP_1)
	v_sub_nc_u32_e32 v20, v20, v22
	v_cmp_ne_u32_e64 s4, 0, v20
	s_and_b32 s4, s4, s5
	s_delay_alu instid0(SALU_CYCLE_1) | instskip(NEXT) | instid1(SALU_CYCLE_1)
	s_and_saveexec_b32 s5, s4
	s_xor_b32 s4, exec_lo, s5
	s_cbranch_execz .LBB3_16
; %bb.13:                               ;   in Loop: Header=BB3_12 Depth=1
	s_and_saveexec_b32 s5, s3
; %bb.14:                               ;   in Loop: Header=BB3_12 Depth=1
	ds_store_b32 v14, v15
; %bb.15:                               ;   in Loop: Header=BB3_12 Depth=1
	s_or_b32 exec_lo, exec_lo, s5
.LBB3_16:                               ;   in Loop: Header=BB3_12 Depth=1
	s_and_not1_saveexec_b32 s5, s4
	s_cbranch_execz .LBB3_11
; %bb.17:                               ;   in Loop: Header=BB3_12 Depth=1
	global_load_b32 v20, v[6:7], off
	v_cmp_gt_i32_e64 s4, 32, v16
	s_wait_loadcnt 0x0
	v_ashrrev_i32_e32 v21, 31, v20
	s_delay_alu instid0(VALU_DEP_1) | instskip(NEXT) | instid1(VALU_DEP_1)
	v_mul_u64_e32 v[20:21], s[24:25], v[20:21]
	v_lshl_add_u64 v[20:21], v[20:21], 2, v[4:5]
	s_clause 0x17
	global_load_b32 v19, v[20:21], off offset:128
	global_load_b32 v28, v[20:21], off
	global_load_b32 v29, v[20:21], off offset:256
	global_load_b32 v31, v[20:21], off offset:384
	global_load_b32 v32, v[20:21], off offset:512
	global_load_b32 v33, v[20:21], off offset:640
	global_load_b32 v34, v[20:21], off offset:768
	global_load_b32 v35, v[20:21], off offset:896
	global_load_b32 v36, v[20:21], off offset:1024
	global_load_b32 v37, v[20:21], off offset:1152
	global_load_b32 v38, v[20:21], off offset:1280
	global_load_b32 v39, v[20:21], off offset:1408
	global_load_b32 v40, v[20:21], off offset:1536
	global_load_b32 v41, v[20:21], off offset:1664
	global_load_b32 v42, v[20:21], off offset:1792
	global_load_b32 v43, v[20:21], off offset:1920
	global_load_b32 v44, v[20:21], off offset:2048
	global_load_b32 v45, v[20:21], off offset:2176
	global_load_b32 v46, v[20:21], off offset:2304
	global_load_b32 v47, v[20:21], off offset:2432
	global_load_b32 v48, v[20:21], off offset:2560
	global_load_b32 v49, v[20:21], off offset:2688
	global_load_b32 v50, v[20:21], off offset:2816
	global_load_b32 v51, v[20:21], off offset:2944
	s_wait_xcnt 0x0
	ds_load_b128 v[20:23], v11
	ds_load_b128 v[24:27], v11 offset:16
	s_wait_loadcnt_dscnt 0x1701
	v_mul_f32_e32 v19, v21, v19
	s_wait_loadcnt 0x16
	s_delay_alu instid0(VALU_DEP_1) | instskip(SKIP_1) | instid1(VALU_DEP_1)
	v_fmac_f32_e32 v19, v20, v28
	s_wait_loadcnt 0x15
	v_fmac_f32_e32 v19, v22, v29
	s_wait_loadcnt 0x14
	s_delay_alu instid0(VALU_DEP_1) | instskip(SKIP_4) | instid1(VALU_DEP_1)
	v_fmac_f32_e32 v19, v23, v31
	ds_load_b128 v[20:23], v11 offset:32
	s_wait_loadcnt_dscnt 0x1301
	v_fmac_f32_e32 v19, v24, v32
	s_wait_loadcnt 0x12
	v_fmac_f32_e32 v19, v25, v33
	s_wait_loadcnt 0x11
	s_delay_alu instid0(VALU_DEP_1) | instskip(SKIP_1) | instid1(VALU_DEP_1)
	v_fmac_f32_e32 v19, v26, v34
	s_wait_loadcnt 0x10
	v_fmac_f32_e32 v19, v27, v35
	ds_load_b128 v[24:27], v11 offset:48
	s_wait_loadcnt_dscnt 0xf01
	v_fmac_f32_e32 v19, v20, v36
	s_wait_loadcnt 0xe
	s_delay_alu instid0(VALU_DEP_1) | instskip(SKIP_1) | instid1(VALU_DEP_1)
	v_fmac_f32_e32 v19, v21, v37
	s_wait_loadcnt 0xd
	v_fmac_f32_e32 v19, v22, v38
	s_wait_loadcnt 0xc
	s_delay_alu instid0(VALU_DEP_1) | instskip(SKIP_4) | instid1(VALU_DEP_1)
	v_fmac_f32_e32 v19, v23, v39
	ds_load_b128 v[20:23], v11 offset:64
	s_wait_loadcnt_dscnt 0xb01
	v_fmac_f32_e32 v19, v24, v40
	s_wait_loadcnt 0xa
	v_fmac_f32_e32 v19, v25, v41
	s_wait_loadcnt 0x9
	s_delay_alu instid0(VALU_DEP_1) | instskip(SKIP_1) | instid1(VALU_DEP_1)
	v_fmac_f32_e32 v19, v26, v42
	s_wait_loadcnt 0x8
	v_fmac_f32_e32 v19, v27, v43
	ds_load_b128 v[24:27], v11 offset:80
	s_wait_loadcnt_dscnt 0x701
	v_fmac_f32_e32 v19, v20, v44
	v_cndmask_b32_e64 v20, v9, v16, s4
	v_cmp_gt_i32_e64 s4, 32, v17
	s_wait_loadcnt 0x6
	s_delay_alu instid0(VALU_DEP_2) | instskip(SKIP_1) | instid1(VALU_DEP_1)
	v_dual_fmac_f32 v19, v21, v45 :: v_dual_lshlrev_b32 v20, 2, v20
	s_wait_loadcnt 0x5
	v_dual_cndmask_b32 v21, v9, v17, s4 :: v_dual_fmac_f32 v19, v22, v46
	s_wait_loadcnt 0x4
	s_delay_alu instid0(VALU_DEP_1) | instskip(SKIP_1) | instid1(VALU_DEP_1)
	v_dual_lshlrev_b32 v21, 2, v21 :: v_dual_fmac_f32 v19, v23, v47
	s_wait_loadcnt_dscnt 0x300
	v_fmac_f32_e32 v19, v24, v48
	s_wait_loadcnt 0x2
	s_delay_alu instid0(VALU_DEP_1) | instskip(SKIP_1) | instid1(VALU_DEP_1)
	v_fmac_f32_e32 v19, v25, v49
	s_wait_loadcnt 0x1
	v_fmac_f32_e32 v19, v26, v50
	s_wait_loadcnt 0x0
	s_delay_alu instid0(VALU_DEP_1)
	v_fmac_f32_e32 v19, v27, v51
	ds_bpermute_b32 v20, v20, v19
	s_wait_dscnt 0x0
	v_add_f32_e32 v19, v19, v20
	ds_bpermute_b32 v20, v21, v19
	s_and_saveexec_b32 s38, s3
	s_cbranch_execz .LBB3_10
; %bb.18:                               ;   in Loop: Header=BB3_12 Depth=1
	s_wait_dscnt 0x0
	v_dual_add_nc_u32 v21, v13, v2 :: v_dual_add_f32 v19, v19, v20
	s_delay_alu instid0(VALU_DEP_1) | instskip(NEXT) | instid1(VALU_DEP_1)
	v_cvt_f32_i32_e32 v21, v21
	v_mul_f32_e32 v21, s35, v21
	s_delay_alu instid0(VALU_DEP_1) | instskip(NEXT) | instid1(VALU_DEP_1)
	v_dual_cndmask_b32 v20, 0, v21 :: v_dual_max_num_f32 v21, v12, v12
	v_dual_fmac_f32 v20, s23, v19 :: v_dual_add_nc_u32 v19, v10, v2
	s_delay_alu instid0(VALU_DEP_1) | instskip(NEXT) | instid1(VALU_DEP_2)
	v_max_num_f32_e32 v21, v21, v20
	v_cmp_gt_i32_e64 s4, s31, v19
	s_delay_alu instid0(VALU_DEP_1)
	v_dual_cndmask_b32 v19, 0, v20, s4 :: v_dual_cndmask_b32 v12, v12, v21, s4
	ds_store_b32 v14, v19
	s_branch .LBB3_10
.LBB3_19:
	s_or_b32 exec_lo, exec_lo, s37
.LBB3_20:
	s_delay_alu instid0(SALU_CYCLE_1)
	s_or_b32 exec_lo, exec_lo, s22
	v_dual_max_num_f32 v5, v12, v12 :: v_dual_bitop2_b32 v2, 16, v9 bitop3:0x14
	s_clause 0x1
	s_load_b64 s[4:5], s[0:1], 0x0
	s_load_b64 s[22:23], s[0:1], 0x18
	v_and_b32_e32 v42, 31, v0
	v_xor_b32_e32 v4, 8, v9
	v_cmp_gt_i32_e32 vcc_lo, 32, v2
	v_cndmask_b32_e32 v2, v9, v2, vcc_lo
	s_delay_alu instid0(VALU_DEP_3) | instskip(NEXT) | instid1(VALU_DEP_2)
	v_cmp_gt_i32_e32 vcc_lo, 32, v4
	v_dual_lshlrev_b32 v2, 2, v2 :: v_dual_cndmask_b32 v4, v9, v4, vcc_lo
	ds_bpermute_b32 v3, v2, v12
	s_wait_dscnt 0x0
	v_dual_max_num_f32 v6, v3, v3 :: v_dual_lshlrev_b32 v3, 2, v4
	s_delay_alu instid0(VALU_DEP_1) | instskip(SKIP_4) | instid1(VALU_DEP_1)
	v_dual_max_num_f32 v4, v5, v6 :: v_dual_bitop2_b32 v6, 4, v9 bitop3:0x14
	ds_bpermute_b32 v5, v3, v4
	v_cmp_gt_i32_e32 vcc_lo, 32, v6
	v_cndmask_b32_e32 v6, v9, v6, vcc_lo
	s_wait_dscnt 0x0
	v_dual_max_num_f32 v5, v5, v5 :: v_dual_lshlrev_b32 v6, 2, v6
	s_delay_alu instid0(VALU_DEP_1)
	v_max_num_f32_e32 v5, v4, v5
	v_lshlrev_b32_e32 v4, 2, v1
	v_cmp_eq_u32_e32 vcc_lo, 0, v42
	ds_bpermute_b32 v7, v6, v5
	s_wait_xcnt 0x0
	s_and_saveexec_b32 s0, vcc_lo
	s_cbranch_execz .LBB3_22
; %bb.21:
	s_wait_dscnt 0x0
	v_dual_max_num_f32 v7, v7, v7 :: v_dual_max_num_f32 v5, v5, v5
	s_delay_alu instid0(VALU_DEP_1)
	v_max_num_f32_e32 v5, v5, v7
	ds_store_b32 v4, v5 offset:384
.LBB3_22:
	s_or_b32 exec_lo, exec_lo, s0
	v_cmp_gt_u32_e64 s0, 4, v42
	v_dual_mov_b32 v10, 0xff7fffff :: v_dual_lshlrev_b32 v5, 2, v42
	s_wait_dscnt 0x0
	s_barrier_signal -1
	s_barrier_wait -1
	s_and_saveexec_b32 s1, s0
; %bb.23:
	ds_load_b32 v10, v5 offset:384
; %bb.24:
	s_or_b32 exec_lo, exec_lo, s1
	v_xor_b32_e32 v7, 2, v9
	v_xor_b32_e32 v12, 1, v9
	s_delay_alu instid0(VALU_DEP_2) | instskip(NEXT) | instid1(VALU_DEP_1)
	v_cmp_gt_i32_e64 s1, 32, v7
	v_cndmask_b32_e64 v7, v9, v7, s1
	s_delay_alu instid0(VALU_DEP_3) | instskip(NEXT) | instid1(VALU_DEP_1)
	v_cmp_gt_i32_e64 s1, 32, v12
	v_dual_lshlrev_b32 v7, 2, v7 :: v_dual_cndmask_b32 v9, v9, v12, s1
	s_lshl_b32 s1, s34, 3
	s_delay_alu instid0(SALU_CYCLE_1)
	s_min_i32 s15, s1, s31
	s_wait_dscnt 0x0
	ds_bpermute_b32 v11, v7, v10
	v_max_num_f32_e32 v10, v10, v10
	v_cmp_gt_i32_e64 s1, s15, v0
	s_wait_dscnt 0x0
	v_dual_lshlrev_b32 v43, 2, v9 :: v_dual_max_num_f32 v11, v11, v11
	s_delay_alu instid0(VALU_DEP_1) | instskip(SKIP_3) | instid1(VALU_DEP_1)
	v_max_num_f32_e32 v9, v10, v11
	ds_bpermute_b32 v10, v43, v9
	s_wait_dscnt 0x0
	v_max_num_f32_e32 v10, v10, v10
	v_dual_max_num_f32 v10, v9, v10 :: v_dual_mov_b32 v9, 0
	ds_bpermute_b32 v10, v9, v10
	s_and_saveexec_b32 s24, s1
	s_cbranch_execz .LBB3_28
; %bb.25:
	v_lshl_add_u32 v11, v0, 2, 0x1a0
	v_dual_mov_b32 v9, 0 :: v_dual_mov_b32 v12, v0
	s_mov_b32 s25, 0
.LBB3_26:                               ; =>This Inner Loop Header: Depth=1
	ds_load_b32 v13, v11
	v_add_nc_u32_e32 v12, 0x80, v12
	s_delay_alu instid0(VALU_DEP_1) | instskip(SKIP_3) | instid1(VALU_DEP_1)
	v_cmp_le_i32_e64 s3, s15, v12
	s_or_b32 s25, s3, s25
	s_wait_dscnt 0x0
	v_sub_f32_e32 v13, v13, v10
	v_mul_f32_e32 v13, 0x3fb8aa3b, v13
	s_delay_alu instid0(VALU_DEP_1)
	v_exp_f32_e32 v13, v13
	ds_store_b32 v11, v13
	v_nop
	v_add_f32_e32 v9, v9, v13
	v_add_nc_u32_e32 v11, 0x200, v11
	s_and_not1_b32 exec_lo, exec_lo, s25
	s_cbranch_execnz .LBB3_26
; %bb.27:
	s_or_b32 exec_lo, exec_lo, s25
.LBB3_28:
	s_delay_alu instid0(SALU_CYCLE_1)
	s_or_b32 exec_lo, exec_lo, s24
	ds_bpermute_b32 v2, v2, v9
	s_wait_dscnt 0x0
	v_add_f32_e32 v2, v9, v2
	ds_bpermute_b32 v3, v3, v2
	s_wait_dscnt 0x0
	v_add_f32_e32 v2, v2, v3
	;; [unrolled: 3-line block ×5, first 2 shown]
	s_and_saveexec_b32 s3, vcc_lo
; %bb.29:
	ds_store_b32 v4, v2 offset:400
; %bb.30:
	s_or_b32 exec_lo, exec_lo, s3
	s_wait_dscnt 0x0
	s_barrier_signal -1
	s_barrier_wait -1
	s_and_saveexec_b32 s3, s0
; %bb.31:
	ds_load_b32 v2, v5 offset:400
; %bb.32:
	s_or_b32 exec_lo, exec_lo, s3
	s_wait_dscnt 0x0
	ds_bpermute_b32 v3, v7, v2
	s_wait_dscnt 0x0
	v_dual_mov_b32 v33, 0 :: v_dual_add_f32 v2, v2, v3
	ds_bpermute_b32 v3, v43, v2
	s_wait_dscnt 0x0
	v_add_f32_e32 v2, v2, v3
	ds_bpermute_b32 v2, v33, v2
	s_and_saveexec_b32 s0, s1
	s_cbranch_execz .LBB3_45
; %bb.33:
	s_wait_dscnt 0x0
	v_add_f32_e32 v2, 0x358637bd, v2
	s_mov_b32 s3, -1
	s_mov_b32 s1, exec_lo
	s_delay_alu instid0(VALU_DEP_1) | instskip(NEXT) | instid1(VALU_DEP_1)
	v_div_scale_f32 v3, null, v2, v2, 1.0
	v_rcp_f32_e32 v5, v3
	v_nop
	s_delay_alu instid0(TRANS32_DEP_1) | instskip(NEXT) | instid1(VALU_DEP_1)
	v_fma_f32 v4, -v3, v5, 1.0
	v_fmac_f32_e32 v5, v4, v5
	v_div_scale_f32 v6, vcc_lo, 1.0, v2, 1.0
	s_delay_alu instid0(VALU_DEP_1) | instskip(NEXT) | instid1(VALU_DEP_1)
	v_mul_f32_e32 v7, v6, v5
	v_fma_f32 v4, -v3, v7, v6
	s_delay_alu instid0(VALU_DEP_1) | instskip(SKIP_1) | instid1(VALU_DEP_2)
	v_fmac_f32_e32 v7, v4, v5
	v_xad_u32 v4, v0, -1, s15
	v_fma_f32 v3, -v3, v7, v6
	s_delay_alu instid0(VALU_DEP_1) | instskip(NEXT) | instid1(VALU_DEP_1)
	v_div_fmas_f32 v3, v3, v5, v7
	v_div_fixup_f32 v2, v3, v2, 1.0
	v_mov_b32_e32 v3, v0
	v_cmpx_lt_u32_e32 0x7f, v4
	s_cbranch_execz .LBB3_42
; %bb.34:
	s_delay_alu instid0(VALU_DEP_3) | instskip(NEXT) | instid1(VALU_DEP_1)
	v_dual_mov_b32 v3, v2 :: v_dual_lshrrev_b32 v4, 7, v4
	v_dual_mov_b32 v9, 0 :: v_dual_add_nc_u32 v5, -1, v4
	s_delay_alu instid0(VALU_DEP_1) | instskip(SKIP_1) | instid1(VALU_DEP_2)
	v_lshrrev_b32_e32 v6, 1, v5
	v_cmp_lt_u32_e32 vcc_lo, 13, v5
	v_add_nc_u32_e32 v5, 1, v6
	s_and_saveexec_b32 s3, vcc_lo
	s_cbranch_execz .LBB3_38
; %bb.35:
	s_delay_alu instid0(VALU_DEP_1)
	v_and_b32_e32 v6, -8, v5
	v_lshl_add_u32 v7, v0, 2, 0x1a0
	s_mov_b32 s24, 0
	s_mov_b32 s25, 0
.LBB3_36:                               ; =>This Inner Loop Header: Depth=1
	ds_load_2addr_stride64_b32 v[10:11], v7 offset1:2
	ds_load_2addr_stride64_b32 v[12:13], v7 offset0:4 offset1:6
	ds_load_2addr_stride64_b32 v[14:15], v7 offset0:8 offset1:10
	;; [unrolled: 1-line block ×7, first 2 shown]
	s_add_co_i32 s25, s25, 16
	s_delay_alu instid0(SALU_CYCLE_1) | instskip(NEXT) | instid1(VALU_DEP_1)
	v_dual_mov_b32 v9, s25 :: v_dual_add_nc_u32 v6, -8, v6
	v_cmp_eq_u32_e32 vcc_lo, 0, v6
	s_or_b32 s24, vcc_lo, s24
	s_wait_dscnt 0x7
	v_pk_mul_f32 v[10:11], v[2:3], v[10:11]
	s_wait_dscnt 0x6
	v_pk_mul_f32 v[12:13], v[2:3], v[12:13]
	;; [unrolled: 2-line block ×8, first 2 shown]
	ds_store_2addr_stride64_b32 v7, v10, v11 offset1:2
	ds_store_2addr_stride64_b32 v7, v12, v13 offset0:4 offset1:6
	ds_store_2addr_stride64_b32 v7, v14, v15 offset0:8 offset1:10
	;; [unrolled: 1-line block ×7, first 2 shown]
	v_add_nc_u32_e32 v7, 0x2000, v7
	s_and_not1_b32 exec_lo, exec_lo, s24
	s_cbranch_execnz .LBB3_36
; %bb.37:
	s_or_b32 exec_lo, exec_lo, s24
.LBB3_38:
	s_delay_alu instid0(SALU_CYCLE_1) | instskip(NEXT) | instid1(VALU_DEP_1)
	s_or_b32 exec_lo, exec_lo, s3
	v_and_b32_e32 v5, 7, v5
	s_mov_b32 s24, 0
	s_mov_b32 s3, exec_lo
	s_delay_alu instid0(VALU_DEP_1)
	v_cmpx_ne_u32_e32 0, v5
	s_cbranch_execz .LBB3_41
; %bb.39:
	v_dual_lshlrev_b32 v6, 9, v9 :: v_dual_lshlrev_b32 v7, 2, v0
	s_delay_alu instid0(VALU_DEP_1)
	v_add3_u32 v6, v6, v7, 0x1a0
.LBB3_40:                               ; =>This Inner Loop Header: Depth=1
	ds_load_2addr_stride64_b32 v[10:11], v6 offset1:2
	v_add_nc_u32_e32 v5, -1, v5
	s_delay_alu instid0(VALU_DEP_1)
	v_cmp_eq_u32_e32 vcc_lo, 0, v5
	s_or_b32 s24, vcc_lo, s24
	s_wait_dscnt 0x0
	v_pk_mul_f32 v[10:11], v[2:3], v[10:11]
	ds_store_2addr_stride64_b32 v6, v10, v11 offset1:2
	v_add_nc_u32_e32 v6, 0x400, v6
	s_and_not1_b32 exec_lo, exec_lo, s24
	s_cbranch_execnz .LBB3_40
.LBB3_41:
	s_or_b32 exec_lo, exec_lo, s3
	v_add_nc_u32_e32 v3, 1, v4
	s_delay_alu instid0(VALU_DEP_1) | instskip(NEXT) | instid1(VALU_DEP_1)
	v_and_b32_e32 v4, 0x3fffffe, v3
	v_cmp_ne_u32_e32 vcc_lo, v3, v4
	v_lshl_add_u32 v3, v4, 7, v0
	s_or_not1_b32 s3, vcc_lo, exec_lo
.LBB3_42:
	s_or_b32 exec_lo, exec_lo, s1
	s_delay_alu instid0(SALU_CYCLE_1)
	s_and_b32 exec_lo, exec_lo, s3
	s_cbranch_execz .LBB3_45
; %bb.43:
	v_lshl_add_u32 v4, v3, 2, 0x1a0
	s_mov_b32 s1, 0
.LBB3_44:                               ; =>This Inner Loop Header: Depth=1
	ds_load_b32 v5, v4
	v_add_nc_u32_e32 v3, 0x80, v3
	s_delay_alu instid0(VALU_DEP_1)
	v_cmp_le_i32_e32 vcc_lo, s15, v3
	s_or_b32 s1, vcc_lo, s1
	s_wait_dscnt 0x0
	v_mul_f32_e32 v5, v2, v5
	ds_store_b32 v4, v5
	v_add_nc_u32_e32 v4, 0x200, v4
	s_and_not1_b32 exec_lo, exec_lo, s1
	s_cbranch_execnz .LBB3_44
.LBB3_45:
	s_or_b32 exec_lo, exec_lo, s0
	v_dual_mov_b32 v32, 0 :: v_dual_bitop2_b32 v44, 1, v0 bitop3:0x40
	v_dual_mov_b32 v35, 0 :: v_dual_mov_b32 v34, 0
	v_dual_mov_b32 v37, 0 :: v_dual_mov_b32 v36, 0
	s_wait_dscnt 0x0
	s_barrier_signal -1
	s_barrier_wait -1
	s_and_saveexec_b32 s1, s2
	s_cbranch_execz .LBB3_63
; %bb.46:
	s_abs_i32 s10, s10
	v_dual_lshlrev_b32 v4, 2, v0 :: v_dual_lshlrev_b32 v3, 4, v0
	s_cvt_f32_u32 s0, s10
	v_dual_mov_b32 v31, 0 :: v_dual_lshlrev_b32 v5, 4, v44
	s_ashr_i32 s15, s14, 31
	s_delay_alu instid0(SALU_CYCLE_1)
	v_rcp_iflag_f32_e32 v2, s0
	s_lshl_b64 s[14:15], s[14:15], 2
	s_sub_co_i32 s24, s8, s9
	s_wait_kmcnt 0x0
	s_add_nc_u64 s[14:15], s[22:23], s[14:15]
	s_sub_co_i32 s8, 0, s10
	v_dual_mov_b32 v36, v31 :: v_dual_mov_b32 v37, v31
	v_readfirstlane_b32 s0, v2
	v_and_b32_e32 v2, 0x1f0, v3
	v_dual_mov_b32 v3, v31 :: v_dual_bitop2_b32 v45, 4, v4 bitop3:0x40
	v_lshl_or_b32 v4, v1, 5, v5
	s_mul_f32 s0, s0, 0x4f7ffffe
	v_mov_b32_e32 v47, v1
	s_delay_alu instid0(VALU_DEP_3)
	v_add_nc_u64_e32 v[38:39], s[14:15], v[2:3]
	v_and_b32_e32 v2, 0x7c, v8
	s_lshl_b64 s[14:15], s[18:19], 2
	s_cvt_u32_f32 s0, s0
	s_add_nc_u64 s[14:15], s[20:21], s[14:15]
	v_add_nc_u32_e32 v46, 0x1a0, v4
	v_add_nc_u64_e32 v[40:41], s[14:15], v[2:3]
	s_mul_i32 s8, s8, s0
	v_dual_mov_b32 v34, v31 :: v_dual_mov_b32 v35, v31
	v_dual_mov_b32 v32, v31 :: v_dual_mov_b32 v33, v31
	s_mov_b32 s9, 0
	s_mul_hi_u32 s8, s0, s8
	s_ashr_i32 s3, s13, 31
	s_mov_b32 s2, s13
	s_add_co_i32 s13, s34, -1
	s_mov_b32 s14, s31
	s_add_co_i32 s8, s0, s8
	s_mov_b32 s15, s9
	s_branch .LBB3_49
.LBB3_47:                               ;   in Loop: Header=BB3_49 Depth=1
	s_or_b32 exec_lo, exec_lo, s0
	s_wait_loadcnt_dscnt 0x200
	v_mul_f32_e32 v18, v6, v18
	s_wait_loadcnt 0x1
	s_delay_alu instid0(VALU_DEP_1) | instskip(NEXT) | instid1(VALU_DEP_1)
	v_dual_mul_f32 v48, v6, v22 :: v_dual_fmac_f32 v18, v7, v19
	v_dual_fmac_f32 v48, v7, v23 :: v_dual_mul_f32 v14, v6, v14
	s_wait_loadcnt 0x0
	v_pk_mul_f32 v[22:23], v[6:7], v[26:27]
	v_pk_mul_f32 v[26:27], v[8:9], v[28:29]
	v_fmac_f32_e32 v18, v8, v20
	v_dual_fmac_f32 v48, v8, v24 :: v_dual_mul_f32 v10, v6, v10
	v_dual_fmac_f32 v14, v7, v15 :: v_dual_mul_f32 v2, v6, v2
	s_delay_alu instid0(VALU_DEP_3) | instskip(NEXT) | instid1(VALU_DEP_3)
	v_fmac_f32_e32 v18, v9, v21
	v_dual_fmac_f32 v48, v9, v25 :: v_dual_fmac_f32 v10, v7, v11
	s_delay_alu instid0(VALU_DEP_3) | instskip(NEXT) | instid1(VALU_DEP_2)
	v_fmac_f32_e32 v2, v7, v3
	v_dual_add_f32 v3, v23, v22 :: v_dual_add_f32 v32, v32, v48
	s_delay_alu instid0(VALU_DEP_4) | instskip(NEXT) | instid1(VALU_DEP_2)
	v_dual_fmac_f32 v14, v8, v16 :: v_dual_add_f32 v35, v35, v18
	v_dual_fmac_f32 v2, v8, v4 :: v_dual_add_f32 v3, v26, v3
	v_fmac_f32_e32 v10, v8, v12
	s_delay_alu instid0(VALU_DEP_2) | instskip(NEXT) | instid1(VALU_DEP_3)
	v_fmac_f32_e32 v2, v9, v5
	v_dual_fmac_f32 v14, v9, v17 :: v_dual_add_f32 v3, v27, v3
	s_delay_alu instid0(VALU_DEP_2) | instskip(NEXT) | instid1(VALU_DEP_2)
	v_dual_add_f32 v36, v36, v2 :: v_dual_fmac_f32 v10, v9, v13
	v_dual_add_f32 v34, v34, v14 :: v_dual_add_f32 v33, v33, v3
	s_delay_alu instid0(VALU_DEP_2)
	v_add_f32_e32 v37, v37, v10
.LBB3_48:                               ;   in Loop: Header=BB3_49 Depth=1
	s_or_b32 exec_lo, exec_lo, s18
	v_dual_add_nc_u32 v47, 4, v47 :: v_dual_add_nc_u32 v30, 32, v30
	v_add_nc_u64_e32 v[40:41], 16, v[40:41]
	v_add_nc_u32_e32 v46, 0x80, v46
	s_delay_alu instid0(VALU_DEP_3) | instskip(SKIP_1) | instid1(SALU_CYCLE_1)
	v_cmp_le_i32_e32 vcc_lo, s34, v47
	s_or_b32 s15, vcc_lo, s15
	s_and_not1_b32 exec_lo, exec_lo, s15
	s_cbranch_execz .LBB3_62
.LBB3_49:                               ; =>This Inner Loop Header: Depth=1
	v_mul_u64_e32 v[2:3], s[16:17], v[30:31]
	s_delay_alu instid0(VALU_DEP_1) | instskip(NEXT) | instid1(VALU_DEP_1)
	v_mul_lo_u32 v2, v3, s12
	v_dual_add_nc_u32 v4, 1, v3 :: v_dual_sub_nc_u32 v2, v30, v2
	s_delay_alu instid0(VALU_DEP_1) | instskip(SKIP_1) | instid1(VALU_DEP_2)
	v_subrev_nc_u32_e32 v5, s12, v2
	v_cmp_le_u32_e32 vcc_lo, s12, v2
	v_dual_cndmask_b32 v3, v3, v4 :: v_dual_cndmask_b32 v2, v2, v5
	s_delay_alu instid0(VALU_DEP_1) | instskip(NEXT) | instid1(VALU_DEP_2)
	v_add_nc_u32_e32 v4, 1, v3
	v_cmp_le_u32_e32 vcc_lo, s12, v2
	s_delay_alu instid0(VALU_DEP_2) | instskip(NEXT) | instid1(VALU_DEP_1)
	v_cndmask_b32_e32 v2, v3, v4, vcc_lo
	v_dual_mov_b32 v3, v31 :: v_dual_bitop2_b32 v2, s11, v2 bitop3:0x14
	s_delay_alu instid0(VALU_DEP_1) | instskip(NEXT) | instid1(VALU_DEP_1)
	v_subrev_nc_u32_e32 v6, s11, v2
	v_add_nc_u32_e32 v7, s33, v6
	v_cmp_lt_i32_e64 s0, s24, v6
	s_delay_alu instid0(VALU_DEP_2) | instskip(NEXT) | instid1(VALU_DEP_1)
	v_sub_nc_u32_e32 v2, 0, v7
	v_max_i32_e32 v2, v7, v2
	s_delay_alu instid0(VALU_DEP_1) | instskip(SKIP_1) | instid1(VALU_DEP_2)
	v_mul_u64_e32 v[4:5], s[8:9], v[2:3]
	v_ashrrev_i32_e32 v4, 31, v7
	v_mul_lo_u32 v3, v5, s10
	s_delay_alu instid0(VALU_DEP_1) | instskip(NEXT) | instid1(VALU_DEP_1)
	v_sub_nc_u32_e32 v2, v2, v3
	v_subrev_nc_u32_e32 v3, s10, v2
	v_cmp_le_u32_e32 vcc_lo, s10, v2
	s_delay_alu instid0(VALU_DEP_2) | instskip(NEXT) | instid1(VALU_DEP_1)
	v_cndmask_b32_e32 v2, v2, v3, vcc_lo
	v_subrev_nc_u32_e32 v3, s10, v2
	v_cmp_le_u32_e32 vcc_lo, s10, v2
	s_delay_alu instid0(VALU_DEP_2) | instskip(NEXT) | instid1(VALU_DEP_1)
	v_cndmask_b32_e32 v2, v2, v3, vcc_lo
	v_xor_b32_e32 v2, v2, v4
	s_delay_alu instid0(VALU_DEP_1) | instskip(NEXT) | instid1(VALU_DEP_1)
	v_sub_nc_u32_e32 v2, v2, v4
	v_cmp_eq_u32_e32 vcc_lo, 0, v2
	s_or_b32 s0, vcc_lo, s0
	s_delay_alu instid0(SALU_CYCLE_1)
	s_and_saveexec_b32 s18, s0
	s_cbranch_execz .LBB3_48
; %bb.50:                               ;   in Loop: Header=BB3_49 Depth=1
	global_load_b32 v2, v[40:41], off
	v_add_nc_u32_e32 v48, v45, v30
	ds_load_b128 v[6:9], v46
	v_cmp_eq_u32_e32 vcc_lo, s13, v47
	v_or_b32_e32 v50, 3, v48
	v_dual_add_nc_u32 v51, 1, v48 :: v_dual_bitop2_b32 v49, 2, v48 bitop3:0x54
	s_wait_loadcnt 0x0
	v_ashrrev_i32_e32 v3, 31, v2
	s_delay_alu instid0(VALU_DEP_1) | instskip(NEXT) | instid1(VALU_DEP_1)
	v_mul_u64_e32 v[2:3], s[2:3], v[2:3]
	v_lshl_add_u64 v[26:27], v[2:3], 2, v[38:39]
	global_load_b128 v[2:5], v[26:27], off
	s_wait_xcnt 0x0
	s_and_saveexec_b32 s19, vcc_lo
	s_cbranch_execnz .LBB3_56
; %bb.51:                               ;   in Loop: Header=BB3_49 Depth=1
	s_or_b32 exec_lo, exec_lo, s19
	global_load_b128 v[10:13], v[26:27], off offset:512
	s_wait_xcnt 0x0
	s_and_saveexec_b32 s19, vcc_lo
	s_cbranch_execnz .LBB3_57
.LBB3_52:                               ;   in Loop: Header=BB3_49 Depth=1
	s_or_b32 exec_lo, exec_lo, s19
	global_load_b128 v[14:17], v[26:27], off offset:1024
	s_wait_xcnt 0x0
	s_and_saveexec_b32 s19, vcc_lo
	s_cbranch_execnz .LBB3_58
.LBB3_53:                               ;   in Loop: Header=BB3_49 Depth=1
	s_or_b32 exec_lo, exec_lo, s19
	global_load_b128 v[18:21], v[26:27], off offset:1536
	s_wait_xcnt 0x0
	s_and_saveexec_b32 s19, vcc_lo
	s_cbranch_execnz .LBB3_59
.LBB3_54:                               ;   in Loop: Header=BB3_49 Depth=1
	s_or_b32 exec_lo, exec_lo, s19
	global_load_b128 v[22:25], v[26:27], off offset:2048
	s_wait_xcnt 0x0
	s_and_saveexec_b32 s19, vcc_lo
	s_cbranch_execnz .LBB3_60
.LBB3_55:                               ;   in Loop: Header=BB3_49 Depth=1
	s_or_b32 exec_lo, exec_lo, s19
	global_load_b128 v[26:29], v[26:27], off offset:2560
	s_wait_xcnt 0x0
	s_and_saveexec_b32 s0, vcc_lo
	s_cbranch_execz .LBB3_47
	s_branch .LBB3_61
.LBB3_56:                               ;   in Loop: Header=BB3_49 Depth=1
	v_cmp_gt_i32_e64 s0, s14, v51
	s_wait_loadcnt 0x0
	s_delay_alu instid0(VALU_DEP_1) | instskip(SKIP_1) | instid1(VALU_DEP_1)
	v_cndmask_b32_e64 v3, 0, v3, s0
	v_cmp_gt_i32_e64 s0, s31, v48
	v_cndmask_b32_e64 v2, 0, v2, s0
	v_cmp_gt_i32_e64 s0, s14, v50
	s_delay_alu instid0(VALU_DEP_1) | instskip(SKIP_1) | instid1(VALU_DEP_1)
	v_cndmask_b32_e64 v5, 0, v5, s0
	v_cmp_gt_i32_e64 s0, s31, v49
	v_cndmask_b32_e64 v4, 0, v4, s0
	s_or_b32 exec_lo, exec_lo, s19
	global_load_b128 v[10:13], v[26:27], off offset:512
	s_wait_xcnt 0x0
	s_and_saveexec_b32 s19, vcc_lo
	s_cbranch_execz .LBB3_52
.LBB3_57:                               ;   in Loop: Header=BB3_49 Depth=1
	v_cmp_gt_i32_e64 s0, s14, v51
	s_wait_loadcnt 0x0
	s_delay_alu instid0(VALU_DEP_1) | instskip(SKIP_1) | instid1(VALU_DEP_1)
	v_cndmask_b32_e64 v11, 0, v11, s0
	v_cmp_gt_i32_e64 s0, s31, v48
	v_cndmask_b32_e64 v10, 0, v10, s0
	v_cmp_gt_i32_e64 s0, s14, v50
	s_delay_alu instid0(VALU_DEP_1) | instskip(SKIP_1) | instid1(VALU_DEP_1)
	v_cndmask_b32_e64 v13, 0, v13, s0
	v_cmp_gt_i32_e64 s0, s31, v49
	v_cndmask_b32_e64 v12, 0, v12, s0
	s_or_b32 exec_lo, exec_lo, s19
	global_load_b128 v[14:17], v[26:27], off offset:1024
	s_wait_xcnt 0x0
	s_and_saveexec_b32 s19, vcc_lo
	s_cbranch_execz .LBB3_53
.LBB3_58:                               ;   in Loop: Header=BB3_49 Depth=1
	v_cmp_gt_i32_e64 s0, s14, v51
	s_wait_loadcnt 0x0
	s_delay_alu instid0(VALU_DEP_1) | instskip(SKIP_1) | instid1(VALU_DEP_1)
	v_cndmask_b32_e64 v15, 0, v15, s0
	v_cmp_gt_i32_e64 s0, s31, v48
	v_cndmask_b32_e64 v14, 0, v14, s0
	v_cmp_gt_i32_e64 s0, s14, v50
	s_delay_alu instid0(VALU_DEP_1) | instskip(SKIP_1) | instid1(VALU_DEP_1)
	v_cndmask_b32_e64 v17, 0, v17, s0
	v_cmp_gt_i32_e64 s0, s31, v49
	v_cndmask_b32_e64 v16, 0, v16, s0
	s_or_b32 exec_lo, exec_lo, s19
	global_load_b128 v[18:21], v[26:27], off offset:1536
	s_wait_xcnt 0x0
	s_and_saveexec_b32 s19, vcc_lo
	s_cbranch_execz .LBB3_54
.LBB3_59:                               ;   in Loop: Header=BB3_49 Depth=1
	v_cmp_gt_i32_e64 s0, s14, v51
	s_wait_loadcnt 0x0
	s_delay_alu instid0(VALU_DEP_1) | instskip(SKIP_1) | instid1(VALU_DEP_1)
	v_cndmask_b32_e64 v19, 0, v19, s0
	v_cmp_gt_i32_e64 s0, s31, v48
	v_cndmask_b32_e64 v18, 0, v18, s0
	v_cmp_gt_i32_e64 s0, s14, v50
	s_delay_alu instid0(VALU_DEP_1) | instskip(SKIP_1) | instid1(VALU_DEP_1)
	v_cndmask_b32_e64 v21, 0, v21, s0
	v_cmp_gt_i32_e64 s0, s31, v49
	v_cndmask_b32_e64 v20, 0, v20, s0
	s_or_b32 exec_lo, exec_lo, s19
	global_load_b128 v[22:25], v[26:27], off offset:2048
	s_wait_xcnt 0x0
	s_and_saveexec_b32 s19, vcc_lo
	s_cbranch_execz .LBB3_55
.LBB3_60:                               ;   in Loop: Header=BB3_49 Depth=1
	v_cmp_gt_i32_e64 s0, s14, v51
	s_wait_loadcnt 0x0
	s_delay_alu instid0(VALU_DEP_1) | instskip(SKIP_1) | instid1(VALU_DEP_1)
	v_cndmask_b32_e64 v23, 0, v23, s0
	v_cmp_gt_i32_e64 s0, s31, v48
	v_cndmask_b32_e64 v22, 0, v22, s0
	v_cmp_gt_i32_e64 s0, s14, v50
	s_delay_alu instid0(VALU_DEP_1) | instskip(SKIP_1) | instid1(VALU_DEP_1)
	v_cndmask_b32_e64 v25, 0, v25, s0
	v_cmp_gt_i32_e64 s0, s31, v49
	v_cndmask_b32_e64 v24, 0, v24, s0
	s_or_b32 exec_lo, exec_lo, s19
	global_load_b128 v[26:29], v[26:27], off offset:2560
	s_wait_xcnt 0x0
	s_and_saveexec_b32 s0, vcc_lo
	s_cbranch_execz .LBB3_47
.LBB3_61:                               ;   in Loop: Header=BB3_49 Depth=1
	v_cmp_gt_i32_e32 vcc_lo, s14, v51
	s_wait_loadcnt 0x0
	v_cndmask_b32_e32 v27, 0, v27, vcc_lo
	v_cmp_gt_i32_e32 vcc_lo, s31, v48
	v_cndmask_b32_e32 v26, 0, v26, vcc_lo
	v_cmp_gt_i32_e32 vcc_lo, s14, v50
	;; [unrolled: 2-line block ×3, first 2 shown]
	v_cndmask_b32_e32 v28, 0, v28, vcc_lo
	s_branch .LBB3_47
.LBB3_62:
	s_or_b32 exec_lo, exec_lo, s15
.LBB3_63:
	s_delay_alu instid0(SALU_CYCLE_1)
	s_or_b32 exec_lo, exec_lo, s1
	ds_bpermute_b32 v2, v43, v36
	ds_bpermute_b32 v3, v43, v37
	;; [unrolled: 1-line block ×6, first 2 shown]
	v_and_b32_e32 v8, 0x3c1, v0
	v_lshrrev_b32_e32 v9, 1, v42
	s_mov_b32 s0, exec_lo
	s_wait_dscnt 0x0
	s_barrier_signal -1
	s_barrier_wait -1
	v_pk_add_f32 v[4:5], v[36:37], v[2:3]
	v_pk_add_f32 v[2:3], v[34:35], v[10:11]
	v_cmpx_ne_u32_e32 64, v8
	s_xor_b32 s0, exec_lo, s0
	s_delay_alu instid0(SALU_CYCLE_1)
	s_or_saveexec_b32 s0, s0
	v_pk_add_f32 v[6:7], v[32:33], v[6:7]
	v_lshl_add_u32 v8, v9, 2, 0x1a0
	v_mul_u32_u24_e32 v1, 0x180, v1
	s_xor_b32 exec_lo, exec_lo, s0
	s_cbranch_execz .LBB3_65
; %bb.64:
	s_delay_alu instid0(VALU_DEP_1) | instskip(NEXT) | instid1(VALU_DEP_1)
	v_add_nc_u32_e32 v10, v8, v1
	v_add_nc_u32_e32 v11, 0xfffffd00, v10
	;; [unrolled: 1-line block ×7, first 2 shown]
	ds_store_b32 v11, v4
	ds_store_b32 v12, v5
	ds_store_b32 v13, v2
	ds_store_b32 v14, v3
	ds_store_b32 v15, v6
	ds_store_b32 v10, v7
.LBB3_65:
	s_or_b32 exec_lo, exec_lo, s0
	v_lshlrev_b32_e32 v9, 2, v9
	s_mov_b32 s1, exec_lo
	v_cmp_eq_u32_e32 vcc_lo, 0, v44
	s_wait_dscnt 0x0
	s_barrier_signal -1
	v_add3_u32 v1, 0x1a0, v1, v9
	s_barrier_wait -1
	v_cmpx_gt_u32_e32 64, v0
	s_cbranch_execz .LBB3_74
; %bb.66:
	s_and_saveexec_b32 s0, vcc_lo
	s_cbranch_execnz .LBB3_88
; %bb.67:
	s_or_b32 exec_lo, exec_lo, s0
	s_and_saveexec_b32 s0, vcc_lo
	s_cbranch_execnz .LBB3_89
.LBB3_68:
	s_or_b32 exec_lo, exec_lo, s0
	s_and_saveexec_b32 s0, vcc_lo
	s_cbranch_execnz .LBB3_90
.LBB3_69:
	s_or_b32 exec_lo, exec_lo, s0
	s_and_saveexec_b32 s0, vcc_lo
	s_cbranch_execnz .LBB3_91
.LBB3_70:
	s_or_b32 exec_lo, exec_lo, s0
	s_and_saveexec_b32 s0, vcc_lo
	s_cbranch_execnz .LBB3_92
.LBB3_71:
	s_or_b32 exec_lo, exec_lo, s0
	s_and_saveexec_b32 s0, vcc_lo
	s_cbranch_execz .LBB3_73
.LBB3_72:
	ds_load_b32 v9, v1 offset:320
	s_wait_dscnt 0x0
	v_add_f32_e32 v7, v7, v9
.LBB3_73:
	s_or_b32 exec_lo, exec_lo, s0
.LBB3_74:
	s_delay_alu instid0(SALU_CYCLE_1) | instskip(SKIP_4) | instid1(VALU_DEP_1)
	s_or_b32 exec_lo, exec_lo, s1
	v_and_b32_e32 v9, 0x3e1, v0
	s_mov_b32 s1, exec_lo
	s_barrier_signal -1
	s_barrier_wait -1
	v_cmpx_eq_u32_e32 32, v9
	s_cbranch_execz .LBB3_76
; %bb.75:
	ds_store_2addr_b32 v8, v4, v5 offset1:16
	ds_store_2addr_b32 v8, v2, v3 offset0:32 offset1:48
	ds_store_2addr_b32 v8, v6, v7 offset0:64 offset1:80
.LBB3_76:
	s_or_b32 exec_lo, exec_lo, s1
	s_delay_alu instid0(SALU_CYCLE_1)
	s_mov_b32 s1, exec_lo
	s_wait_dscnt 0x0
	s_barrier_signal -1
	s_barrier_wait -1
	v_cmpx_gt_u32_e32 32, v0
	s_cbranch_execz .LBB3_85
; %bb.77:
	s_and_saveexec_b32 s0, vcc_lo
	s_cbranch_execnz .LBB3_93
; %bb.78:
	s_or_b32 exec_lo, exec_lo, s0
	s_and_saveexec_b32 s0, vcc_lo
	s_cbranch_execnz .LBB3_94
.LBB3_79:
	s_or_b32 exec_lo, exec_lo, s0
	s_and_saveexec_b32 s0, vcc_lo
	s_cbranch_execnz .LBB3_95
.LBB3_80:
	s_or_b32 exec_lo, exec_lo, s0
	s_and_saveexec_b32 s0, vcc_lo
	s_cbranch_execnz .LBB3_96
.LBB3_81:
	s_or_b32 exec_lo, exec_lo, s0
	s_and_saveexec_b32 s0, vcc_lo
	s_cbranch_execnz .LBB3_97
.LBB3_82:
	s_or_b32 exec_lo, exec_lo, s0
	s_and_saveexec_b32 s0, vcc_lo
	s_cbranch_execz .LBB3_84
.LBB3_83:
	ds_load_b32 v1, v1 offset:320
	s_wait_dscnt 0x0
	v_add_f32_e32 v7, v7, v1
.LBB3_84:
	s_or_b32 exec_lo, exec_lo, s0
.LBB3_85:
	s_delay_alu instid0(SALU_CYCLE_1)
	s_or_b32 exec_lo, exec_lo, s1
	s_mov_b32 s1, 0
	s_barrier_signal -1
	s_barrier_wait -1
	s_mov_b32 s0, exec_lo
	v_cmpx_eq_u32_e32 0, v9
	s_cbranch_execz .LBB3_87
; %bb.86:
	s_mul_i32 s0, s30, s7
	s_mul_i32 s2, s7, s6
	;; [unrolled: 1-line block ×3, first 2 shown]
	s_lshr_b32 s8, ttmp7, 16
	s_mul_i32 s6, s0, 0x60
	s_bfe_u32 s0, ttmp6, 0x40014
	s_ashr_i32 s7, s6, 31
	s_add_co_i32 s0, s0, 1
	s_lshl_b64 s[6:7], s[6:7], 2
	s_ashr_i32 s3, s2, 31
	s_wait_kmcnt 0x0
	s_add_nc_u64 s[4:5], s[4:5], s[6:7]
	s_mul_i32 s0, s8, s0
	s_bfe_u32 s6, ttmp6, 0x40008
	s_lshl_b64 s[2:3], s[2:3], 2
	s_add_co_i32 s6, s6, s0
	s_cmp_eq_u32 s28, 0
	v_lshlrev_b32_e32 v0, 1, v0
	s_cselect_b32 s0, s8, s6
	s_add_nc_u64 s[2:3], s[4:5], s[2:3]
	s_mulk_i32 s0, 0x180
	s_delay_alu instid0(SALU_CYCLE_1)
	s_add_nc_u64 s[0:1], s[2:3], s[0:1]
	s_clause 0x5
	global_store_b32 v0, v4, s[0:1]
	global_store_b32 v0, v5, s[0:1] offset:64
	global_store_b32 v0, v2, s[0:1] offset:128
	;; [unrolled: 1-line block ×5, first 2 shown]
.LBB3_87:
	s_endpgm
.LBB3_88:
	ds_load_b32 v9, v1
	s_wait_dscnt 0x0
	v_add_f32_e32 v4, v4, v9
	s_or_b32 exec_lo, exec_lo, s0
	s_and_saveexec_b32 s0, vcc_lo
	s_cbranch_execz .LBB3_68
.LBB3_89:
	ds_load_b32 v9, v1 offset:64
	s_wait_dscnt 0x0
	v_add_f32_e32 v5, v5, v9
	s_or_b32 exec_lo, exec_lo, s0
	s_and_saveexec_b32 s0, vcc_lo
	s_cbranch_execz .LBB3_69
.LBB3_90:
	ds_load_b32 v9, v1 offset:128
	s_wait_dscnt 0x0
	v_add_f32_e32 v2, v2, v9
	s_or_b32 exec_lo, exec_lo, s0
	s_and_saveexec_b32 s0, vcc_lo
	s_cbranch_execz .LBB3_70
.LBB3_91:
	ds_load_b32 v9, v1 offset:192
	s_wait_dscnt 0x0
	v_add_f32_e32 v3, v3, v9
	s_or_b32 exec_lo, exec_lo, s0
	s_and_saveexec_b32 s0, vcc_lo
	s_cbranch_execz .LBB3_71
.LBB3_92:
	ds_load_b32 v9, v1 offset:256
	s_wait_dscnt 0x0
	v_add_f32_e32 v6, v6, v9
	s_or_b32 exec_lo, exec_lo, s0
	s_and_saveexec_b32 s0, vcc_lo
	s_cbranch_execnz .LBB3_72
	s_branch .LBB3_73
.LBB3_93:
	ds_load_b32 v8, v1
	s_wait_dscnt 0x0
	v_add_f32_e32 v4, v4, v8
	s_or_b32 exec_lo, exec_lo, s0
	s_and_saveexec_b32 s0, vcc_lo
	s_cbranch_execz .LBB3_79
.LBB3_94:
	ds_load_b32 v8, v1 offset:64
	s_wait_dscnt 0x0
	v_add_f32_e32 v5, v5, v8
	s_or_b32 exec_lo, exec_lo, s0
	s_and_saveexec_b32 s0, vcc_lo
	s_cbranch_execz .LBB3_80
.LBB3_95:
	ds_load_b32 v8, v1 offset:128
	s_wait_dscnt 0x0
	v_add_f32_e32 v2, v2, v8
	s_or_b32 exec_lo, exec_lo, s0
	s_and_saveexec_b32 s0, vcc_lo
	s_cbranch_execz .LBB3_81
.LBB3_96:
	ds_load_b32 v8, v1 offset:192
	s_wait_dscnt 0x0
	v_add_f32_e32 v3, v3, v8
	s_or_b32 exec_lo, exec_lo, s0
	s_and_saveexec_b32 s0, vcc_lo
	s_cbranch_execz .LBB3_82
.LBB3_97:
	ds_load_b32 v8, v1 offset:256
	s_wait_dscnt 0x0
	v_add_f32_e32 v6, v6, v8
	s_or_b32 exec_lo, exec_lo, s0
	s_and_saveexec_b32 s0, vcc_lo
	s_cbranch_execnz .LBB3_83
	s_branch .LBB3_84
	.section	.rodata,"a",@progbits
	.p2align	6, 0x0
	.amdhsa_kernel _ZN4vllm25paged_attention_v1_kernelIffLi96ELi8ELi128ELNS_18Fp8KVCacheDataTypeE0ELb1EEEvPT_PKS2_PKT0_S8_ifPKiSA_iPKfiiiSC_SC_iiiii
		.amdhsa_group_segment_fixed_size 416
		.amdhsa_private_segment_fixed_size 0
		.amdhsa_kernarg_size 384
		.amdhsa_user_sgpr_count 2
		.amdhsa_user_sgpr_dispatch_ptr 0
		.amdhsa_user_sgpr_queue_ptr 0
		.amdhsa_user_sgpr_kernarg_segment_ptr 1
		.amdhsa_user_sgpr_dispatch_id 0
		.amdhsa_user_sgpr_kernarg_preload_length 0
		.amdhsa_user_sgpr_kernarg_preload_offset 0
		.amdhsa_user_sgpr_private_segment_size 0
		.amdhsa_wavefront_size32 1
		.amdhsa_uses_dynamic_stack 0
		.amdhsa_enable_private_segment 0
		.amdhsa_system_sgpr_workgroup_id_x 1
		.amdhsa_system_sgpr_workgroup_id_y 1
		.amdhsa_system_sgpr_workgroup_id_z 1
		.amdhsa_system_sgpr_workgroup_info 0
		.amdhsa_system_vgpr_workitem_id 0
		.amdhsa_next_free_vgpr 52
		.amdhsa_next_free_sgpr 40
		.amdhsa_named_barrier_count 0
		.amdhsa_reserve_vcc 1
		.amdhsa_float_round_mode_32 0
		.amdhsa_float_round_mode_16_64 0
		.amdhsa_float_denorm_mode_32 3
		.amdhsa_float_denorm_mode_16_64 3
		.amdhsa_fp16_overflow 0
		.amdhsa_memory_ordered 1
		.amdhsa_forward_progress 1
		.amdhsa_inst_pref_size 50
		.amdhsa_round_robin_scheduling 0
		.amdhsa_exception_fp_ieee_invalid_op 0
		.amdhsa_exception_fp_denorm_src 0
		.amdhsa_exception_fp_ieee_div_zero 0
		.amdhsa_exception_fp_ieee_overflow 0
		.amdhsa_exception_fp_ieee_underflow 0
		.amdhsa_exception_fp_ieee_inexact 0
		.amdhsa_exception_int_div_zero 0
	.end_amdhsa_kernel
	.section	.text._ZN4vllm25paged_attention_v1_kernelIffLi96ELi8ELi128ELNS_18Fp8KVCacheDataTypeE0ELb1EEEvPT_PKS2_PKT0_S8_ifPKiSA_iPKfiiiSC_SC_iiiii,"axG",@progbits,_ZN4vllm25paged_attention_v1_kernelIffLi96ELi8ELi128ELNS_18Fp8KVCacheDataTypeE0ELb1EEEvPT_PKS2_PKT0_S8_ifPKiSA_iPKfiiiSC_SC_iiiii,comdat
.Lfunc_end3:
	.size	_ZN4vllm25paged_attention_v1_kernelIffLi96ELi8ELi128ELNS_18Fp8KVCacheDataTypeE0ELb1EEEvPT_PKS2_PKT0_S8_ifPKiSA_iPKfiiiSC_SC_iiiii, .Lfunc_end3-_ZN4vllm25paged_attention_v1_kernelIffLi96ELi8ELi128ELNS_18Fp8KVCacheDataTypeE0ELb1EEEvPT_PKS2_PKT0_S8_ifPKiSA_iPKfiiiSC_SC_iiiii
                                        ; -- End function
	.set _ZN4vllm25paged_attention_v1_kernelIffLi96ELi8ELi128ELNS_18Fp8KVCacheDataTypeE0ELb1EEEvPT_PKS2_PKT0_S8_ifPKiSA_iPKfiiiSC_SC_iiiii.num_vgpr, 52
	.set _ZN4vllm25paged_attention_v1_kernelIffLi96ELi8ELi128ELNS_18Fp8KVCacheDataTypeE0ELb1EEEvPT_PKS2_PKT0_S8_ifPKiSA_iPKfiiiSC_SC_iiiii.num_agpr, 0
	.set _ZN4vllm25paged_attention_v1_kernelIffLi96ELi8ELi128ELNS_18Fp8KVCacheDataTypeE0ELb1EEEvPT_PKS2_PKT0_S8_ifPKiSA_iPKfiiiSC_SC_iiiii.numbered_sgpr, 40
	.set _ZN4vllm25paged_attention_v1_kernelIffLi96ELi8ELi128ELNS_18Fp8KVCacheDataTypeE0ELb1EEEvPT_PKS2_PKT0_S8_ifPKiSA_iPKfiiiSC_SC_iiiii.num_named_barrier, 0
	.set _ZN4vllm25paged_attention_v1_kernelIffLi96ELi8ELi128ELNS_18Fp8KVCacheDataTypeE0ELb1EEEvPT_PKS2_PKT0_S8_ifPKiSA_iPKfiiiSC_SC_iiiii.private_seg_size, 0
	.set _ZN4vllm25paged_attention_v1_kernelIffLi96ELi8ELi128ELNS_18Fp8KVCacheDataTypeE0ELb1EEEvPT_PKS2_PKT0_S8_ifPKiSA_iPKfiiiSC_SC_iiiii.uses_vcc, 1
	.set _ZN4vllm25paged_attention_v1_kernelIffLi96ELi8ELi128ELNS_18Fp8KVCacheDataTypeE0ELb1EEEvPT_PKS2_PKT0_S8_ifPKiSA_iPKfiiiSC_SC_iiiii.uses_flat_scratch, 0
	.set _ZN4vllm25paged_attention_v1_kernelIffLi96ELi8ELi128ELNS_18Fp8KVCacheDataTypeE0ELb1EEEvPT_PKS2_PKT0_S8_ifPKiSA_iPKfiiiSC_SC_iiiii.has_dyn_sized_stack, 0
	.set _ZN4vllm25paged_attention_v1_kernelIffLi96ELi8ELi128ELNS_18Fp8KVCacheDataTypeE0ELb1EEEvPT_PKS2_PKT0_S8_ifPKiSA_iPKfiiiSC_SC_iiiii.has_recursion, 0
	.set _ZN4vllm25paged_attention_v1_kernelIffLi96ELi8ELi128ELNS_18Fp8KVCacheDataTypeE0ELb1EEEvPT_PKS2_PKT0_S8_ifPKiSA_iPKfiiiSC_SC_iiiii.has_indirect_call, 0
	.section	.AMDGPU.csdata,"",@progbits
; Kernel info:
; codeLenInByte = 6312
; TotalNumSgprs: 42
; NumVgprs: 52
; ScratchSize: 0
; MemoryBound: 0
; FloatMode: 240
; IeeeMode: 1
; LDSByteSize: 416 bytes/workgroup (compile time only)
; SGPRBlocks: 0
; VGPRBlocks: 3
; NumSGPRsForWavesPerEU: 42
; NumVGPRsForWavesPerEU: 52
; NamedBarCnt: 0
; Occupancy: 16
; WaveLimiterHint : 1
; COMPUTE_PGM_RSRC2:SCRATCH_EN: 0
; COMPUTE_PGM_RSRC2:USER_SGPR: 2
; COMPUTE_PGM_RSRC2:TRAP_HANDLER: 0
; COMPUTE_PGM_RSRC2:TGID_X_EN: 1
; COMPUTE_PGM_RSRC2:TGID_Y_EN: 1
; COMPUTE_PGM_RSRC2:TGID_Z_EN: 1
; COMPUTE_PGM_RSRC2:TIDIG_COMP_CNT: 0
	.section	.text._ZN4vllm25paged_attention_v1_kernelIffLi112ELi8ELi128ELNS_18Fp8KVCacheDataTypeE0ELb1EEEvPT_PKS2_PKT0_S8_ifPKiSA_iPKfiiiSC_SC_iiiii,"axG",@progbits,_ZN4vllm25paged_attention_v1_kernelIffLi112ELi8ELi128ELNS_18Fp8KVCacheDataTypeE0ELb1EEEvPT_PKS2_PKT0_S8_ifPKiSA_iPKfiiiSC_SC_iiiii,comdat
	.protected	_ZN4vllm25paged_attention_v1_kernelIffLi112ELi8ELi128ELNS_18Fp8KVCacheDataTypeE0ELb1EEEvPT_PKS2_PKT0_S8_ifPKiSA_iPKfiiiSC_SC_iiiii ; -- Begin function _ZN4vllm25paged_attention_v1_kernelIffLi112ELi8ELi128ELNS_18Fp8KVCacheDataTypeE0ELb1EEEvPT_PKS2_PKT0_S8_ifPKiSA_iPKfiiiSC_SC_iiiii
	.globl	_ZN4vllm25paged_attention_v1_kernelIffLi112ELi8ELi128ELNS_18Fp8KVCacheDataTypeE0ELb1EEEvPT_PKS2_PKT0_S8_ifPKiSA_iPKfiiiSC_SC_iiiii
	.p2align	8
	.type	_ZN4vllm25paged_attention_v1_kernelIffLi112ELi8ELi128ELNS_18Fp8KVCacheDataTypeE0ELb1EEEvPT_PKS2_PKT0_S8_ifPKiSA_iPKfiiiSC_SC_iiiii,@function
_ZN4vllm25paged_attention_v1_kernelIffLi112ELi8ELi128ELNS_18Fp8KVCacheDataTypeE0ELb1EEEvPT_PKS2_PKT0_S8_ifPKiSA_iPKfiiiSC_SC_iiiii: ; @_ZN4vllm25paged_attention_v1_kernelIffLi112ELi8ELi128ELNS_18Fp8KVCacheDataTypeE0ELb1EEEvPT_PKS2_PKT0_S8_ifPKiSA_iPKfiiiSC_SC_iiiii
; %bb.0:
	s_load_b64 s[22:23], s[0:1], 0x20
	s_bfe_u32 s3, ttmp6, 0x4000c
	s_bfe_u32 s4, ttmp6, 0x40010
	s_and_b32 s6, ttmp7, 0xffff
	s_add_co_i32 s3, s3, 1
	s_add_co_i32 s4, s4, 1
	s_and_b32 s2, ttmp6, 15
	s_bfe_u32 s5, ttmp6, 0x40004
	s_mul_i32 s3, ttmp9, s3
	s_mul_i32 s4, s6, s4
	s_getreg_b32 s28, hwreg(HW_REG_IB_STS2, 6, 4)
	s_add_co_i32 s2, s2, s3
	s_add_co_i32 s3, s5, s4
	s_cmp_eq_u32 s28, 0
	s_clause 0x1
	s_load_b32 s29, s[0:1], 0x80
	s_load_b64 s[4:5], s[0:1], 0x30
	s_cselect_b32 s30, s6, s3
	s_cselect_b32 s2, ttmp9, s2
	s_mov_b32 s17, 0
	s_delay_alu instid0(SALU_CYCLE_1) | instskip(SKIP_2) | instid1(SALU_CYCLE_1)
	s_mov_b32 s35, s17
	s_wait_kmcnt 0x0
	s_abs_i32 s3, s22
	s_cvt_f32_u32 s6, s3
	s_sub_co_i32 s7, 0, s3
	s_delay_alu instid0(SALU_CYCLE_2) | instskip(SKIP_2) | instid1(TRANS32_DEP_1)
	v_rcp_iflag_f32_e32 v1, s6
	s_abs_i32 s8, s29
	v_nop
	v_readfirstlane_b32 s6, v1
	s_mul_f32 s6, s6, 0x4f7ffffe
	s_delay_alu instid0(SALU_CYCLE_3) | instskip(NEXT) | instid1(SALU_CYCLE_3)
	s_cvt_u32_f32 s6, s6
	s_mul_i32 s7, s7, s6
	s_delay_alu instid0(SALU_CYCLE_1) | instskip(NEXT) | instid1(SALU_CYCLE_1)
	s_mul_hi_u32 s7, s6, s7
	s_add_co_i32 s6, s6, s7
	s_xor_b32 s7, s29, s22
	s_mul_hi_u32 s6, s8, s6
	s_ashr_i32 s7, s7, 31
	s_mul_i32 s9, s6, s3
	s_delay_alu instid0(SALU_CYCLE_1)
	s_sub_co_i32 s8, s8, s9
	s_add_co_i32 s9, s6, 1
	s_sub_co_i32 s10, s8, s3
	s_cmp_ge_u32 s8, s3
	s_cselect_b32 s6, s9, s6
	s_cselect_b32 s8, s10, s8
	s_add_co_i32 s9, s6, 1
	s_cmp_ge_u32 s8, s3
	s_cselect_b32 s3, s9, s6
	s_load_b64 s[8:9], s[0:1], 0x40
	s_xor_b32 s3, s3, s7
	s_abs_i32 s16, s2
	s_sub_co_i32 s10, s3, s7
	s_mov_b32 s7, s17
	s_abs_i32 s15, s10
	s_delay_alu instid0(SALU_CYCLE_1) | instskip(SKIP_1) | instid1(SALU_CYCLE_2)
	s_cvt_f32_u32 s3, s15
	s_sub_co_i32 s6, 0, s15
	v_rcp_iflag_f32_e32 v1, s3
	v_nop
	s_delay_alu instid0(TRANS32_DEP_1) | instskip(SKIP_1) | instid1(SALU_CYCLE_3)
	v_readfirstlane_b32 s3, v1
	s_mul_f32 s3, s3, 0x4f7ffffe
	s_cvt_u32_f32 s3, s3
	s_delay_alu instid0(SALU_CYCLE_3) | instskip(NEXT) | instid1(SALU_CYCLE_1)
	s_mul_i32 s6, s6, s3
	s_mul_hi_u32 s6, s3, s6
	s_delay_alu instid0(SALU_CYCLE_1)
	s_add_co_i32 s6, s3, s6
	s_wait_kmcnt 0x0
	s_cmp_eq_u64 s[8:9], 0
	s_cbranch_scc1 .LBB4_2
; %bb.1:
	s_ashr_i32 s3, s2, 31
	s_delay_alu instid0(SALU_CYCLE_1) | instskip(NEXT) | instid1(SALU_CYCLE_1)
	s_lshl_b64 s[12:13], s[2:3], 2
	s_add_nc_u64 s[8:9], s[8:9], s[12:13]
	s_load_b32 s35, s[8:9], 0x0
.LBB4_2:
	s_load_b32 s31, s[4:5], s30 offset:0x0 scale_offset
	s_load_b96 s[12:14], s[0:1], 0x48
	v_and_b32_e32 v4, 3, v0
	s_wait_xcnt 0x0
	s_mul_u64 s[4:5], s[16:17], s[6:7]
	s_ashr_i32 s3, s2, 31
	s_ashr_i32 s18, s10, 31
	s_mul_i32 s6, s2, 0x70
	s_mov_b32 s4, exec_lo
	v_cmpx_gt_u32_e32 0x70, v0
	s_cbranch_execz .LBB4_4
; %bb.3:
	s_load_b64 s[8:9], s[0:1], 0x8
	s_wait_kmcnt 0x0
	s_mul_i32 s10, s12, s30
	s_ashr_i32 s7, s6, 31
	s_ashr_i32 s11, s10, 31
	v_and_b32_e32 v2, 0x3fc, v0
	s_lshl_b64 s[10:11], s[10:11], 2
	s_delay_alu instid0(VALU_DEP_1) | instskip(SKIP_2) | instid1(SALU_CYCLE_1)
	v_mad_u32_u24 v2, 0x70, v4, v2
	s_add_nc_u64 s[8:9], s[8:9], s[10:11]
	s_lshl_b64 s[10:11], s[6:7], 2
	s_add_nc_u64 s[8:9], s[8:9], s[10:11]
	global_load_b32 v1, v0, s[8:9] scale_offset
	s_wait_loadcnt 0x0
	ds_store_b32 v2, v1
.LBB4_4:
	s_or_b32 exec_lo, exec_lo, s4
	s_load_b128 s[8:11], s[0:1], 0x68
	s_mul_i32 s4, s5, s15
	s_xor_b32 s3, s3, s18
	s_sub_co_i32 s4, s16, s4
	s_add_co_i32 s7, s5, 1
	s_wait_kmcnt 0x0
	s_sub_co_i32 s12, s4, s15
	s_cmp_ge_u32 s4, s15
	s_mov_b32 s18, -1
	s_cselect_b32 s5, s7, s5
	s_cselect_b32 s4, s12, s4
	s_add_co_i32 s12, s5, 1
	s_cmp_ge_u32 s4, s15
	s_load_b32 s7, s[0:1], 0x78
	s_cselect_b32 s4, s12, s5
	s_add_co_i32 s15, s31, -1
	s_xor_b32 s4, s4, s3
	s_wait_dscnt 0x0
	s_sub_co_i32 s3, s4, s3
	s_barrier_signal -1
	s_barrier_wait -1
	s_abs_i32 s12, s11
	s_delay_alu instid0(SALU_CYCLE_1) | instskip(NEXT) | instid1(SALU_CYCLE_3)
	s_cvt_f32_u32 s5, s12
                                        ; implicit-def: $sgpr33
	v_rcp_iflag_f32_e32 v1, s5
	v_nop
	s_delay_alu instid0(TRANS32_DEP_1) | instskip(SKIP_1) | instid1(SALU_CYCLE_3)
	v_readfirstlane_b32 s5, v1
	s_mul_f32 s4, s5, 0x4f7ffffe
	s_cvt_u32_f32 s16, s4
	s_sub_co_i32 s4, 0, s12
	s_delay_alu instid0(SALU_CYCLE_2)
	s_mul_i32 s5, s4, s16
	s_abs_i32 s4, s15
	s_mul_hi_u32 s17, s16, s5
	s_mov_b32 s5, 0
	s_add_co_i32 s16, s16, s17
	s_wait_kmcnt 0x0
	s_cmp_lt_i32 s7, 0
	s_mov_b32 s17, s5
	s_cbranch_scc0 .LBB4_6
; %bb.5:
	s_mul_i32 s18, s8, s22
	s_delay_alu instid0(SALU_CYCLE_1) | instskip(NEXT) | instid1(SALU_CYCLE_1)
	s_add_co_i32 s18, s3, s18
	s_mul_i32 s18, s18, s7
	s_delay_alu instid0(SALU_CYCLE_1)
	s_sub_co_i32 s33, 1, s18
	s_mov_b32 s18, s5
.LBB4_6:
	s_ashr_i32 s15, s15, 31
	s_ashr_i32 s11, s11, 31
	s_and_not1_b32 vcc_lo, exec_lo, s18
	s_mul_u64 s[24:25], s[4:5], s[16:17]
	s_cbranch_vccnz .LBB4_8
; %bb.7:
	s_mul_i32 s5, s29, s8
	s_delay_alu instid0(SALU_CYCLE_1) | instskip(NEXT) | instid1(SALU_CYCLE_1)
	s_add_co_i32 s2, s5, s2
	s_mul_i32 s2, s2, s7
	s_delay_alu instid0(SALU_CYCLE_1)
	s_add_co_i32 s33, s2, 1
.LBB4_8:
	s_load_b32 s2, s[0:1], 0x38
	s_mul_i32 s7, s25, s12
	s_xor_b32 s5, s15, s11
	s_sub_co_i32 s4, s4, s7
	s_add_co_i32 s8, s25, 1
	s_clause 0x1
	s_load_b64 s[20:21], s[0:1], 0x28
	s_load_b32 s7, s[0:1], 0x88
	v_dual_mov_b32 v12, 0xff7fffff :: v_dual_lshrrev_b32 v1, 5, v0
	v_lshrrev_b32_e32 v8, 3, v0
	v_mbcnt_lo_u32_b32 v9, -1, 0
	s_mul_i32 s14, s3, s14
	s_delay_alu instid0(VALU_DEP_3)
	v_lshlrev_b32_e32 v34, 3, v1
	s_wait_kmcnt 0x0
	s_mul_i32 s18, s2, s30
	s_sub_co_i32 s2, s4, s12
	s_ashr_i32 s19, s18, 31
	s_cmp_ge_u32 s4, s12
	s_cselect_b32 s8, s8, s25
	s_cselect_b32 s2, s2, s4
	s_add_co_i32 s4, s8, 1
	s_cmp_ge_u32 s2, s12
	s_cselect_b32 s2, s4, s8
	s_add_co_i32 s4, s31, 7
	s_delay_alu instid0(SALU_CYCLE_1) | instskip(NEXT) | instid1(SALU_CYCLE_1)
	s_ashr_i32 s8, s4, 31
	s_lshr_b32 s8, s8, 29
	s_delay_alu instid0(SALU_CYCLE_1) | instskip(NEXT) | instid1(SALU_CYCLE_1)
	s_add_co_i32 s4, s4, s8
	s_ashr_i32 s34, s4, 3
	s_xor_b32 s4, s2, s5
	v_cmp_gt_i32_e64 s2, s34, v1
	s_sub_co_i32 s8, s4, s5
	s_and_saveexec_b32 s22, s2
	s_cbranch_execz .LBB4_20
; %bb.9:
	s_load_b64 s[4:5], s[0:1], 0x10
	s_ashr_i32 s15, s14, 31
	s_sub_co_i32 s36, s8, s9
	s_ashr_i32 s25, s13, 31
	s_lshl_b64 s[38:39], s[14:15], 2
	s_cmp_neq_f32 s35, 0
	v_bfe_u32 v10, v0, 2, 3
	v_mov_b32_e32 v3, 0
	v_mul_u32_u24_e32 v11, 0x70, v4
	s_cselect_b32 vcc_lo, -1, 0
	s_abs_i32 s15, s10
	v_lshlrev_b32_e32 v2, 4, v10
	s_cvt_f32_u32 s3, s15
	v_lshlrev_b32_e32 v12, 2, v10
	v_subrev_nc_u32_e32 v13, s31, v10
	s_sub_co_i32 s26, 0, s15
	v_rcp_iflag_f32_e32 v5, s3
	v_cmp_eq_u32_e64 s3, 0, v4
	v_dual_mov_b32 v18, v1 :: v_dual_bitop2_b32 v16, 2, v9 bitop3:0x14
	s_wait_kmcnt 0x0
	s_add_nc_u64 s[4:5], s[4:5], s[38:39]
	v_add_nc_u32_e32 v13, 1, v13
	v_add_nc_u64_e32 v[6:7], s[4:5], v[2:3]
	v_readfirstlane_b32 s24, v5
	v_lshlrev_b32_e32 v2, 2, v4
	s_lshl_b64 s[4:5], s[18:19], 2
	v_lshl_or_b32 v12, v1, 5, v12
	s_add_nc_u64 s[4:5], s[20:21], s[4:5]
	s_mul_f32 s24, s24, 0x4f7ffffe
	v_add_nc_u64_e32 v[4:5], v[6:7], v[2:3]
	v_and_b32_e32 v2, 0x7c, v8
	v_add_nc_u32_e32 v14, 0x1e0, v12
	s_cvt_u32_f32 s37, s24
	v_xor_b32_e32 v17, 1, v9
	v_mov_b32_e32 v15, 0xff7fffff
	v_add_nc_u64_e32 v[6:7], s[4:5], v[2:3]
	s_mul_i32 s26, s26, s37
	v_lshlrev_b32_e32 v2, 3, v1
	v_mov_b32_e32 v12, 0xff7fffff
	s_mov_b32 s27, 0
	s_mul_hi_u32 s4, s37, s26
	s_mov_b32 s24, s13
	s_add_co_i32 s26, s37, s4
	s_mov_b32 s37, s27
	s_branch .LBB4_12
.LBB4_10:                               ;   in Loop: Header=BB4_12 Depth=1
	s_or_b32 exec_lo, exec_lo, s38
.LBB4_11:                               ;   in Loop: Header=BB4_12 Depth=1
	s_delay_alu instid0(SALU_CYCLE_1) | instskip(SKIP_4) | instid1(VALU_DEP_4)
	s_or_b32 exec_lo, exec_lo, s5
	v_add_nc_u32_e32 v18, 4, v18
	v_add_nc_u64_e32 v[6:7], 16, v[6:7]
	v_add_nc_u32_e32 v2, 32, v2
	v_add_nc_u32_e32 v14, 0x80, v14
	v_cmp_le_i32_e64 s4, s34, v18
	s_or_b32 s37, s4, s37
	s_delay_alu instid0(SALU_CYCLE_1)
	s_and_not1_b32 exec_lo, exec_lo, s37
	s_cbranch_execz .LBB4_19
.LBB4_12:                               ; =>This Inner Loop Header: Depth=1
	s_wait_dscnt 0x0
	v_mul_u64_e32 v[20:21], s[16:17], v[2:3]
	s_delay_alu instid0(VALU_DEP_1) | instskip(NEXT) | instid1(VALU_DEP_1)
	v_mul_lo_u32 v19, v21, s12
	v_dual_add_nc_u32 v20, 1, v21 :: v_dual_sub_nc_u32 v19, v2, v19
	s_delay_alu instid0(VALU_DEP_1) | instskip(SKIP_1) | instid1(VALU_DEP_1)
	v_subrev_nc_u32_e32 v22, s12, v19
	v_cmp_le_u32_e64 s4, s12, v19
	v_dual_cndmask_b32 v20, v21, v20, s4 :: v_dual_cndmask_b32 v19, v19, v22, s4
	s_delay_alu instid0(VALU_DEP_1) | instskip(NEXT) | instid1(VALU_DEP_2)
	v_add_nc_u32_e32 v21, 1, v20
	v_cmp_le_u32_e64 s4, s12, v19
	s_delay_alu instid0(VALU_DEP_1) | instskip(NEXT) | instid1(VALU_DEP_1)
	v_dual_cndmask_b32 v19, v20, v21, s4 :: v_dual_mov_b32 v21, v3
	v_xor_b32_e32 v19, s11, v19
	s_delay_alu instid0(VALU_DEP_1) | instskip(NEXT) | instid1(VALU_DEP_1)
	v_subrev_nc_u32_e32 v19, s11, v19
	v_add_nc_u32_e32 v24, s33, v19
	v_cmp_ge_i32_e64 s5, s36, v19
	s_delay_alu instid0(VALU_DEP_2) | instskip(NEXT) | instid1(VALU_DEP_1)
	v_sub_nc_u32_e32 v20, 0, v24
	v_max_i32_e32 v20, v24, v20
	s_delay_alu instid0(VALU_DEP_1) | instskip(SKIP_1) | instid1(VALU_DEP_2)
	v_mul_u64_e32 v[22:23], s[26:27], v[20:21]
	v_ashrrev_i32_e32 v22, 31, v24
	v_mul_lo_u32 v21, v23, s15
	s_delay_alu instid0(VALU_DEP_1) | instskip(NEXT) | instid1(VALU_DEP_1)
	v_sub_nc_u32_e32 v20, v20, v21
	v_subrev_nc_u32_e32 v21, s15, v20
	v_cmp_le_u32_e64 s4, s15, v20
	s_delay_alu instid0(VALU_DEP_1) | instskip(NEXT) | instid1(VALU_DEP_1)
	v_cndmask_b32_e64 v20, v20, v21, s4
	v_subrev_nc_u32_e32 v21, s15, v20
	v_cmp_le_u32_e64 s4, s15, v20
	s_delay_alu instid0(VALU_DEP_1) | instskip(NEXT) | instid1(VALU_DEP_1)
	v_cndmask_b32_e64 v20, v20, v21, s4
	v_xor_b32_e32 v20, v20, v22
	s_delay_alu instid0(VALU_DEP_1) | instskip(NEXT) | instid1(VALU_DEP_1)
	v_sub_nc_u32_e32 v20, v20, v22
	v_cmp_ne_u32_e64 s4, 0, v20
	s_and_b32 s4, s4, s5
	s_delay_alu instid0(SALU_CYCLE_1) | instskip(NEXT) | instid1(SALU_CYCLE_1)
	s_and_saveexec_b32 s5, s4
	s_xor_b32 s4, exec_lo, s5
	s_cbranch_execz .LBB4_16
; %bb.13:                               ;   in Loop: Header=BB4_12 Depth=1
	s_and_saveexec_b32 s5, s3
; %bb.14:                               ;   in Loop: Header=BB4_12 Depth=1
	ds_store_b32 v14, v15
; %bb.15:                               ;   in Loop: Header=BB4_12 Depth=1
	s_or_b32 exec_lo, exec_lo, s5
.LBB4_16:                               ;   in Loop: Header=BB4_12 Depth=1
	s_and_not1_saveexec_b32 s5, s4
	s_cbranch_execz .LBB4_11
; %bb.17:                               ;   in Loop: Header=BB4_12 Depth=1
	global_load_b32 v20, v[6:7], off
	v_cmp_gt_i32_e64 s4, 32, v16
	s_wait_loadcnt 0x0
	v_ashrrev_i32_e32 v21, 31, v20
	s_delay_alu instid0(VALU_DEP_1) | instskip(NEXT) | instid1(VALU_DEP_1)
	v_mul_u64_e32 v[20:21], s[24:25], v[20:21]
	v_lshl_add_u64 v[20:21], v[20:21], 2, v[4:5]
	s_clause 0x1b
	global_load_b32 v19, v[20:21], off offset:128
	global_load_b32 v28, v[20:21], off
	global_load_b32 v29, v[20:21], off offset:256
	global_load_b32 v30, v[20:21], off offset:384
	;; [unrolled: 1-line block ×26, first 2 shown]
	s_wait_xcnt 0x0
	ds_load_b128 v[20:23], v11
	ds_load_b128 v[24:27], v11 offset:16
	s_wait_loadcnt_dscnt 0x1b01
	v_mul_f32_e32 v19, v21, v19
	s_wait_loadcnt 0x1a
	s_delay_alu instid0(VALU_DEP_1) | instskip(SKIP_1) | instid1(VALU_DEP_1)
	v_fmac_f32_e32 v19, v20, v28
	s_wait_loadcnt 0x19
	v_fmac_f32_e32 v19, v22, v29
	s_wait_loadcnt 0x18
	s_delay_alu instid0(VALU_DEP_1) | instskip(SKIP_4) | instid1(VALU_DEP_1)
	v_fmac_f32_e32 v19, v23, v30
	ds_load_b128 v[20:23], v11 offset:32
	s_wait_loadcnt_dscnt 0x1701
	v_fmac_f32_e32 v19, v24, v31
	s_wait_loadcnt 0x16
	v_fmac_f32_e32 v19, v25, v32
	s_wait_loadcnt 0x15
	s_delay_alu instid0(VALU_DEP_1) | instskip(SKIP_1) | instid1(VALU_DEP_1)
	v_fmac_f32_e32 v19, v26, v33
	s_wait_loadcnt 0x14
	v_fmac_f32_e32 v19, v27, v35
	ds_load_b128 v[24:27], v11 offset:48
	s_wait_loadcnt_dscnt 0x1301
	v_fmac_f32_e32 v19, v20, v36
	s_wait_loadcnt 0x12
	s_delay_alu instid0(VALU_DEP_1) | instskip(SKIP_1) | instid1(VALU_DEP_1)
	v_fmac_f32_e32 v19, v21, v37
	s_wait_loadcnt 0x11
	v_fmac_f32_e32 v19, v22, v38
	s_wait_loadcnt 0x10
	s_delay_alu instid0(VALU_DEP_1) | instskip(SKIP_4) | instid1(VALU_DEP_1)
	v_fmac_f32_e32 v19, v23, v39
	ds_load_b128 v[20:23], v11 offset:64
	s_wait_loadcnt_dscnt 0xf01
	v_fmac_f32_e32 v19, v24, v40
	s_wait_loadcnt 0xe
	v_fmac_f32_e32 v19, v25, v41
	s_wait_loadcnt 0xd
	s_delay_alu instid0(VALU_DEP_1) | instskip(SKIP_1) | instid1(VALU_DEP_1)
	v_fmac_f32_e32 v19, v26, v42
	s_wait_loadcnt 0xc
	v_fmac_f32_e32 v19, v27, v43
	ds_load_b128 v[24:27], v11 offset:80
	s_wait_loadcnt_dscnt 0xb01
	v_fmac_f32_e32 v19, v20, v44
	s_wait_loadcnt 0xa
	s_delay_alu instid0(VALU_DEP_1) | instskip(SKIP_1) | instid1(VALU_DEP_1)
	v_fmac_f32_e32 v19, v21, v45
	s_wait_loadcnt 0x9
	v_fmac_f32_e32 v19, v22, v46
	s_wait_loadcnt 0x8
	s_delay_alu instid0(VALU_DEP_1) | instskip(SKIP_4) | instid1(VALU_DEP_1)
	v_fmac_f32_e32 v19, v23, v47
	ds_load_b128 v[20:23], v11 offset:96
	s_wait_loadcnt_dscnt 0x701
	v_fmac_f32_e32 v19, v24, v48
	s_wait_loadcnt 0x6
	v_fmac_f32_e32 v19, v25, v49
	s_wait_loadcnt 0x5
	s_delay_alu instid0(VALU_DEP_1) | instskip(SKIP_1) | instid1(VALU_DEP_1)
	v_fmac_f32_e32 v19, v26, v50
	s_wait_loadcnt 0x4
	v_fmac_f32_e32 v19, v27, v51
	s_wait_loadcnt_dscnt 0x300
	s_delay_alu instid0(VALU_DEP_1) | instskip(SKIP_3) | instid1(VALU_DEP_2)
	v_fmac_f32_e32 v19, v20, v52
	v_cndmask_b32_e64 v20, v9, v16, s4
	v_cmp_gt_i32_e64 s4, 32, v17
	s_wait_loadcnt 0x2
	v_dual_fmac_f32 v19, v21, v53 :: v_dual_lshlrev_b32 v20, 2, v20
	s_wait_loadcnt 0x1
	s_delay_alu instid0(VALU_DEP_1) | instskip(SKIP_1) | instid1(VALU_DEP_1)
	v_dual_cndmask_b32 v21, v9, v17, s4 :: v_dual_fmac_f32 v19, v22, v54
	s_wait_loadcnt 0x0
	v_dual_lshlrev_b32 v21, 2, v21 :: v_dual_fmac_f32 v19, v23, v55
	ds_bpermute_b32 v20, v20, v19
	s_wait_dscnt 0x0
	v_add_f32_e32 v19, v19, v20
	ds_bpermute_b32 v20, v21, v19
	s_and_saveexec_b32 s38, s3
	s_cbranch_execz .LBB4_10
; %bb.18:                               ;   in Loop: Header=BB4_12 Depth=1
	s_wait_dscnt 0x0
	v_dual_add_nc_u32 v21, v13, v2 :: v_dual_add_f32 v19, v19, v20
	s_delay_alu instid0(VALU_DEP_1) | instskip(NEXT) | instid1(VALU_DEP_1)
	v_cvt_f32_i32_e32 v21, v21
	v_mul_f32_e32 v21, s35, v21
	s_delay_alu instid0(VALU_DEP_1) | instskip(NEXT) | instid1(VALU_DEP_1)
	v_dual_cndmask_b32 v20, 0, v21 :: v_dual_max_num_f32 v21, v12, v12
	v_dual_fmac_f32 v20, s23, v19 :: v_dual_add_nc_u32 v19, v10, v2
	s_delay_alu instid0(VALU_DEP_1) | instskip(NEXT) | instid1(VALU_DEP_2)
	v_max_num_f32_e32 v21, v21, v20
	v_cmp_gt_i32_e64 s4, s31, v19
	s_delay_alu instid0(VALU_DEP_1)
	v_dual_cndmask_b32 v19, 0, v20, s4 :: v_dual_cndmask_b32 v12, v12, v21, s4
	ds_store_b32 v14, v19
	s_branch .LBB4_10
.LBB4_19:
	s_or_b32 exec_lo, exec_lo, s37
.LBB4_20:
	s_delay_alu instid0(SALU_CYCLE_1)
	s_or_b32 exec_lo, exec_lo, s22
	v_dual_max_num_f32 v5, v12, v12 :: v_dual_bitop2_b32 v2, 16, v9 bitop3:0x14
	s_clause 0x1
	s_load_b64 s[4:5], s[0:1], 0x0
	s_load_b64 s[22:23], s[0:1], 0x18
	v_and_b32_e32 v46, 31, v0
	v_xor_b32_e32 v4, 8, v9
	v_cmp_gt_i32_e32 vcc_lo, 32, v2
	v_cndmask_b32_e32 v2, v9, v2, vcc_lo
	s_delay_alu instid0(VALU_DEP_3) | instskip(NEXT) | instid1(VALU_DEP_2)
	v_cmp_gt_i32_e32 vcc_lo, 32, v4
	v_dual_lshlrev_b32 v2, 2, v2 :: v_dual_cndmask_b32 v4, v9, v4, vcc_lo
	ds_bpermute_b32 v3, v2, v12
	s_wait_dscnt 0x0
	v_dual_max_num_f32 v6, v3, v3 :: v_dual_lshlrev_b32 v3, 2, v4
	s_delay_alu instid0(VALU_DEP_1) | instskip(SKIP_4) | instid1(VALU_DEP_1)
	v_dual_max_num_f32 v4, v5, v6 :: v_dual_bitop2_b32 v6, 4, v9 bitop3:0x14
	ds_bpermute_b32 v5, v3, v4
	v_cmp_gt_i32_e32 vcc_lo, 32, v6
	v_cndmask_b32_e32 v6, v9, v6, vcc_lo
	s_wait_dscnt 0x0
	v_dual_max_num_f32 v5, v5, v5 :: v_dual_lshlrev_b32 v6, 2, v6
	s_delay_alu instid0(VALU_DEP_1)
	v_max_num_f32_e32 v5, v4, v5
	v_lshlrev_b32_e32 v4, 2, v1
	v_cmp_eq_u32_e32 vcc_lo, 0, v46
	ds_bpermute_b32 v7, v6, v5
	s_wait_xcnt 0x0
	s_and_saveexec_b32 s0, vcc_lo
	s_cbranch_execz .LBB4_22
; %bb.21:
	s_wait_dscnt 0x0
	v_dual_max_num_f32 v7, v7, v7 :: v_dual_max_num_f32 v5, v5, v5
	s_delay_alu instid0(VALU_DEP_1)
	v_max_num_f32_e32 v5, v5, v7
	ds_store_b32 v4, v5 offset:448
.LBB4_22:
	s_or_b32 exec_lo, exec_lo, s0
	v_cmp_gt_u32_e64 s0, 4, v46
	v_dual_mov_b32 v10, 0xff7fffff :: v_dual_lshlrev_b32 v5, 2, v46
	s_wait_dscnt 0x0
	s_barrier_signal -1
	s_barrier_wait -1
	s_and_saveexec_b32 s1, s0
; %bb.23:
	ds_load_b32 v10, v5 offset:448
; %bb.24:
	s_or_b32 exec_lo, exec_lo, s1
	v_xor_b32_e32 v7, 2, v9
	v_xor_b32_e32 v12, 1, v9
	s_delay_alu instid0(VALU_DEP_2) | instskip(NEXT) | instid1(VALU_DEP_1)
	v_cmp_gt_i32_e64 s1, 32, v7
	v_cndmask_b32_e64 v7, v9, v7, s1
	s_delay_alu instid0(VALU_DEP_3) | instskip(NEXT) | instid1(VALU_DEP_1)
	v_cmp_gt_i32_e64 s1, 32, v12
	v_dual_lshlrev_b32 v7, 2, v7 :: v_dual_cndmask_b32 v9, v9, v12, s1
	s_lshl_b32 s1, s34, 3
	s_delay_alu instid0(SALU_CYCLE_1)
	s_min_i32 s15, s1, s31
	s_wait_dscnt 0x0
	ds_bpermute_b32 v11, v7, v10
	v_max_num_f32_e32 v10, v10, v10
	v_cmp_gt_i32_e64 s1, s15, v0
	s_wait_dscnt 0x0
	v_dual_lshlrev_b32 v47, 2, v9 :: v_dual_max_num_f32 v11, v11, v11
	s_delay_alu instid0(VALU_DEP_1) | instskip(SKIP_3) | instid1(VALU_DEP_1)
	v_max_num_f32_e32 v9, v10, v11
	ds_bpermute_b32 v10, v47, v9
	s_wait_dscnt 0x0
	v_max_num_f32_e32 v10, v10, v10
	v_dual_max_num_f32 v10, v9, v10 :: v_dual_mov_b32 v9, 0
	ds_bpermute_b32 v10, v9, v10
	s_and_saveexec_b32 s24, s1
	s_cbranch_execz .LBB4_28
; %bb.25:
	v_lshl_add_u32 v11, v0, 2, 0x1e0
	v_dual_mov_b32 v9, 0 :: v_dual_mov_b32 v12, v0
	s_mov_b32 s25, 0
.LBB4_26:                               ; =>This Inner Loop Header: Depth=1
	ds_load_b32 v13, v11
	v_add_nc_u32_e32 v12, 0x80, v12
	s_delay_alu instid0(VALU_DEP_1) | instskip(SKIP_3) | instid1(VALU_DEP_1)
	v_cmp_le_i32_e64 s3, s15, v12
	s_or_b32 s25, s3, s25
	s_wait_dscnt 0x0
	v_sub_f32_e32 v13, v13, v10
	v_mul_f32_e32 v13, 0x3fb8aa3b, v13
	s_delay_alu instid0(VALU_DEP_1)
	v_exp_f32_e32 v13, v13
	ds_store_b32 v11, v13
	v_nop
	v_add_f32_e32 v9, v9, v13
	v_add_nc_u32_e32 v11, 0x200, v11
	s_and_not1_b32 exec_lo, exec_lo, s25
	s_cbranch_execnz .LBB4_26
; %bb.27:
	s_or_b32 exec_lo, exec_lo, s25
.LBB4_28:
	s_delay_alu instid0(SALU_CYCLE_1)
	s_or_b32 exec_lo, exec_lo, s24
	ds_bpermute_b32 v2, v2, v9
	s_wait_dscnt 0x0
	v_add_f32_e32 v2, v9, v2
	ds_bpermute_b32 v3, v3, v2
	s_wait_dscnt 0x0
	v_add_f32_e32 v2, v2, v3
	;; [unrolled: 3-line block ×5, first 2 shown]
	s_and_saveexec_b32 s3, vcc_lo
; %bb.29:
	ds_store_b32 v4, v2 offset:464
; %bb.30:
	s_or_b32 exec_lo, exec_lo, s3
	s_wait_dscnt 0x0
	s_barrier_signal -1
	s_barrier_wait -1
	s_and_saveexec_b32 s3, s0
; %bb.31:
	ds_load_b32 v2, v5 offset:464
; %bb.32:
	s_or_b32 exec_lo, exec_lo, s3
	s_wait_dscnt 0x0
	ds_bpermute_b32 v3, v7, v2
	s_wait_dscnt 0x0
	v_dual_mov_b32 v37, 0 :: v_dual_add_f32 v2, v2, v3
	ds_bpermute_b32 v3, v47, v2
	s_wait_dscnt 0x0
	v_add_f32_e32 v2, v2, v3
	ds_bpermute_b32 v2, v37, v2
	s_and_saveexec_b32 s0, s1
	s_cbranch_execz .LBB4_45
; %bb.33:
	s_wait_dscnt 0x0
	v_add_f32_e32 v2, 0x358637bd, v2
	s_mov_b32 s3, -1
	s_mov_b32 s1, exec_lo
	s_delay_alu instid0(VALU_DEP_1) | instskip(NEXT) | instid1(VALU_DEP_1)
	v_div_scale_f32 v3, null, v2, v2, 1.0
	v_rcp_f32_e32 v5, v3
	v_nop
	s_delay_alu instid0(TRANS32_DEP_1) | instskip(NEXT) | instid1(VALU_DEP_1)
	v_fma_f32 v4, -v3, v5, 1.0
	v_fmac_f32_e32 v5, v4, v5
	v_div_scale_f32 v6, vcc_lo, 1.0, v2, 1.0
	s_delay_alu instid0(VALU_DEP_1) | instskip(NEXT) | instid1(VALU_DEP_1)
	v_mul_f32_e32 v7, v6, v5
	v_fma_f32 v4, -v3, v7, v6
	s_delay_alu instid0(VALU_DEP_1) | instskip(SKIP_1) | instid1(VALU_DEP_2)
	v_fmac_f32_e32 v7, v4, v5
	v_xad_u32 v4, v0, -1, s15
	v_fma_f32 v3, -v3, v7, v6
	s_delay_alu instid0(VALU_DEP_1) | instskip(NEXT) | instid1(VALU_DEP_1)
	v_div_fmas_f32 v3, v3, v5, v7
	v_div_fixup_f32 v2, v3, v2, 1.0
	v_mov_b32_e32 v3, v0
	v_cmpx_lt_u32_e32 0x7f, v4
	s_cbranch_execz .LBB4_42
; %bb.34:
	s_delay_alu instid0(VALU_DEP_3) | instskip(NEXT) | instid1(VALU_DEP_1)
	v_dual_mov_b32 v3, v2 :: v_dual_lshrrev_b32 v4, 7, v4
	v_dual_mov_b32 v9, 0 :: v_dual_add_nc_u32 v5, -1, v4
	s_delay_alu instid0(VALU_DEP_1) | instskip(SKIP_1) | instid1(VALU_DEP_2)
	v_lshrrev_b32_e32 v6, 1, v5
	v_cmp_lt_u32_e32 vcc_lo, 13, v5
	v_add_nc_u32_e32 v5, 1, v6
	s_and_saveexec_b32 s3, vcc_lo
	s_cbranch_execz .LBB4_38
; %bb.35:
	s_delay_alu instid0(VALU_DEP_1)
	v_and_b32_e32 v6, -8, v5
	v_lshl_add_u32 v7, v0, 2, 0x1e0
	s_mov_b32 s24, 0
	s_mov_b32 s25, 0
.LBB4_36:                               ; =>This Inner Loop Header: Depth=1
	ds_load_2addr_stride64_b32 v[10:11], v7 offset1:2
	ds_load_2addr_stride64_b32 v[12:13], v7 offset0:4 offset1:6
	ds_load_2addr_stride64_b32 v[14:15], v7 offset0:8 offset1:10
	;; [unrolled: 1-line block ×7, first 2 shown]
	s_add_co_i32 s25, s25, 16
	s_delay_alu instid0(SALU_CYCLE_1) | instskip(NEXT) | instid1(VALU_DEP_1)
	v_dual_mov_b32 v9, s25 :: v_dual_add_nc_u32 v6, -8, v6
	v_cmp_eq_u32_e32 vcc_lo, 0, v6
	s_or_b32 s24, vcc_lo, s24
	s_wait_dscnt 0x7
	v_pk_mul_f32 v[10:11], v[2:3], v[10:11]
	s_wait_dscnt 0x6
	v_pk_mul_f32 v[12:13], v[2:3], v[12:13]
	;; [unrolled: 2-line block ×8, first 2 shown]
	ds_store_2addr_stride64_b32 v7, v10, v11 offset1:2
	ds_store_2addr_stride64_b32 v7, v12, v13 offset0:4 offset1:6
	ds_store_2addr_stride64_b32 v7, v14, v15 offset0:8 offset1:10
	;; [unrolled: 1-line block ×7, first 2 shown]
	v_add_nc_u32_e32 v7, 0x2000, v7
	s_and_not1_b32 exec_lo, exec_lo, s24
	s_cbranch_execnz .LBB4_36
; %bb.37:
	s_or_b32 exec_lo, exec_lo, s24
.LBB4_38:
	s_delay_alu instid0(SALU_CYCLE_1) | instskip(NEXT) | instid1(VALU_DEP_1)
	s_or_b32 exec_lo, exec_lo, s3
	v_and_b32_e32 v5, 7, v5
	s_mov_b32 s24, 0
	s_mov_b32 s3, exec_lo
	s_delay_alu instid0(VALU_DEP_1)
	v_cmpx_ne_u32_e32 0, v5
	s_cbranch_execz .LBB4_41
; %bb.39:
	v_dual_lshlrev_b32 v6, 9, v9 :: v_dual_lshlrev_b32 v7, 2, v0
	s_delay_alu instid0(VALU_DEP_1)
	v_add3_u32 v6, v6, v7, 0x1e0
.LBB4_40:                               ; =>This Inner Loop Header: Depth=1
	ds_load_2addr_stride64_b32 v[10:11], v6 offset1:2
	v_add_nc_u32_e32 v5, -1, v5
	s_delay_alu instid0(VALU_DEP_1)
	v_cmp_eq_u32_e32 vcc_lo, 0, v5
	s_or_b32 s24, vcc_lo, s24
	s_wait_dscnt 0x0
	v_pk_mul_f32 v[10:11], v[2:3], v[10:11]
	ds_store_2addr_stride64_b32 v6, v10, v11 offset1:2
	v_add_nc_u32_e32 v6, 0x400, v6
	s_and_not1_b32 exec_lo, exec_lo, s24
	s_cbranch_execnz .LBB4_40
.LBB4_41:
	s_or_b32 exec_lo, exec_lo, s3
	v_add_nc_u32_e32 v3, 1, v4
	s_delay_alu instid0(VALU_DEP_1) | instskip(NEXT) | instid1(VALU_DEP_1)
	v_and_b32_e32 v4, 0x3fffffe, v3
	v_cmp_ne_u32_e32 vcc_lo, v3, v4
	v_lshl_add_u32 v3, v4, 7, v0
	s_or_not1_b32 s3, vcc_lo, exec_lo
.LBB4_42:
	s_or_b32 exec_lo, exec_lo, s1
	s_delay_alu instid0(SALU_CYCLE_1)
	s_and_b32 exec_lo, exec_lo, s3
	s_cbranch_execz .LBB4_45
; %bb.43:
	v_lshl_add_u32 v4, v3, 2, 0x1e0
	s_mov_b32 s1, 0
.LBB4_44:                               ; =>This Inner Loop Header: Depth=1
	ds_load_b32 v5, v4
	v_add_nc_u32_e32 v3, 0x80, v3
	s_delay_alu instid0(VALU_DEP_1)
	v_cmp_le_i32_e32 vcc_lo, s15, v3
	s_or_b32 s1, vcc_lo, s1
	s_wait_dscnt 0x0
	v_mul_f32_e32 v5, v2, v5
	ds_store_b32 v4, v5
	v_add_nc_u32_e32 v4, 0x200, v4
	s_and_not1_b32 exec_lo, exec_lo, s1
	s_cbranch_execnz .LBB4_44
.LBB4_45:
	s_or_b32 exec_lo, exec_lo, s0
	v_dual_mov_b32 v36, 0 :: v_dual_bitop2_b32 v48, 1, v0 bitop3:0x40
	v_dual_mov_b32 v39, 0 :: v_dual_mov_b32 v38, 0
	v_dual_mov_b32 v41, 0 :: v_dual_mov_b32 v40, 0
	v_mov_b32_e32 v49, 0
	s_wait_dscnt 0x0
	s_barrier_signal -1
	s_barrier_wait -1
	s_and_saveexec_b32 s1, s2
	s_cbranch_execz .LBB4_65
; %bb.46:
	s_abs_i32 s10, s10
	v_dual_lshlrev_b32 v4, 2, v0 :: v_dual_lshlrev_b32 v3, 4, v0
	s_cvt_f32_u32 s0, s10
	v_dual_mov_b32 v35, 0 :: v_dual_lshlrev_b32 v5, 4, v48
	s_ashr_i32 s15, s14, 31
	s_delay_alu instid0(SALU_CYCLE_1)
	v_rcp_iflag_f32_e32 v2, s0
	s_lshl_b64 s[14:15], s[14:15], 2
	s_sub_co_i32 s24, s8, s9
	s_wait_kmcnt 0x0
	s_add_nc_u64 s[14:15], s[22:23], s[14:15]
	s_sub_co_i32 s8, 0, s10
	v_dual_mov_b32 v49, v35 :: v_dual_mov_b32 v40, v35
	v_readfirstlane_b32 s0, v2
	v_and_b32_e32 v2, 0x1f0, v3
	v_dual_mov_b32 v3, v35 :: v_dual_bitop2_b32 v50, 4, v4 bitop3:0x40
	v_lshl_or_b32 v4, v1, 5, v5
	s_mul_f32 s0, s0, 0x4f7ffffe
	v_mov_b32_e32 v52, v1
	s_delay_alu instid0(VALU_DEP_3)
	v_add_nc_u64_e32 v[42:43], s[14:15], v[2:3]
	v_and_b32_e32 v2, 0x7c, v8
	s_lshl_b64 s[14:15], s[18:19], 2
	s_cvt_u32_f32 s0, s0
	s_add_nc_u64 s[14:15], s[20:21], s[14:15]
	v_add_nc_u32_e32 v51, 0x1e0, v4
	v_add_nc_u64_e32 v[44:45], s[14:15], v[2:3]
	s_mul_i32 s8, s8, s0
	v_dual_mov_b32 v41, v35 :: v_dual_mov_b32 v38, v35
	v_dual_mov_b32 v39, v35 :: v_dual_mov_b32 v36, v35
	v_mov_b32_e32 v37, v35
	s_mov_b32 s9, 0
	s_mul_hi_u32 s8, s0, s8
	s_ashr_i32 s3, s13, 31
	s_mov_b32 s2, s13
	s_add_co_i32 s13, s34, -1
	s_mov_b32 s14, s31
	s_add_co_i32 s8, s0, s8
	s_mov_b32 s15, s9
	s_branch .LBB4_49
.LBB4_47:                               ;   in Loop: Header=BB4_49 Depth=1
	s_or_b32 exec_lo, exec_lo, s0
	s_wait_loadcnt_dscnt 0x200
	v_mul_f32_e32 v54, v6, v22
	s_wait_loadcnt 0x1
	s_delay_alu instid0(VALU_DEP_1) | instskip(NEXT) | instid1(VALU_DEP_1)
	v_dual_mul_f32 v53, v6, v26 :: v_dual_fmac_f32 v54, v7, v23
	v_dual_fmac_f32 v53, v7, v27 :: v_dual_mul_f32 v18, v6, v18
	v_mul_f32_e32 v14, v6, v14
	s_wait_loadcnt 0x0
	v_pk_mul_f32 v[22:23], v[6:7], v[30:31]
	v_dual_fmac_f32 v54, v8, v24 :: v_dual_mul_f32 v2, v6, v2
	v_dual_fmac_f32 v53, v8, v28 :: v_dual_mul_f32 v10, v6, v10
	v_fmac_f32_e32 v18, v7, v19
	v_pk_mul_f32 v[26:27], v[8:9], v[32:33]
	s_delay_alu instid0(VALU_DEP_3) | instskip(NEXT) | instid1(VALU_DEP_4)
	v_dual_fmac_f32 v14, v7, v15 :: v_dual_fmac_f32 v53, v9, v29
	v_fmac_f32_e32 v10, v7, v11
	v_fmac_f32_e32 v54, v9, v25
	;; [unrolled: 1-line block ×3, first 2 shown]
	s_delay_alu instid0(VALU_DEP_4) | instskip(NEXT) | instid1(VALU_DEP_1)
	v_dual_add_f32 v3, v23, v22 :: v_dual_add_f32 v37, v37, v53
	v_dual_add_f32 v36, v36, v54 :: v_dual_add_f32 v3, v26, v3
	s_delay_alu instid0(VALU_DEP_1) | instskip(NEXT) | instid1(VALU_DEP_1)
	v_dual_fmac_f32 v18, v8, v20 :: v_dual_add_f32 v3, v27, v3
	v_fmac_f32_e32 v18, v9, v21
	s_delay_alu instid0(VALU_DEP_2) | instskip(NEXT) | instid1(VALU_DEP_1)
	v_dual_fmac_f32 v14, v8, v16 :: v_dual_add_f32 v49, v49, v3
	v_dual_add_f32 v39, v39, v18 :: v_dual_fmac_f32 v14, v9, v17
	s_delay_alu instid0(VALU_DEP_1) | instskip(NEXT) | instid1(VALU_DEP_1)
	v_dual_fmac_f32 v10, v8, v12 :: v_dual_add_f32 v38, v38, v14
	v_fmac_f32_e32 v10, v9, v13
	s_delay_alu instid0(VALU_DEP_1) | instskip(NEXT) | instid1(VALU_DEP_1)
	v_dual_fmac_f32 v2, v8, v4 :: v_dual_add_f32 v41, v41, v10
	v_fmac_f32_e32 v2, v9, v5
	s_delay_alu instid0(VALU_DEP_1)
	v_add_f32_e32 v40, v40, v2
.LBB4_48:                               ;   in Loop: Header=BB4_49 Depth=1
	s_or_b32 exec_lo, exec_lo, s18
	v_dual_add_nc_u32 v52, 4, v52 :: v_dual_add_nc_u32 v34, 32, v34
	v_add_nc_u64_e32 v[44:45], 16, v[44:45]
	v_add_nc_u32_e32 v51, 0x80, v51
	s_delay_alu instid0(VALU_DEP_3) | instskip(SKIP_1) | instid1(SALU_CYCLE_1)
	v_cmp_le_i32_e32 vcc_lo, s34, v52
	s_or_b32 s15, vcc_lo, s15
	s_and_not1_b32 exec_lo, exec_lo, s15
	s_cbranch_execz .LBB4_64
.LBB4_49:                               ; =>This Inner Loop Header: Depth=1
	v_mul_u64_e32 v[2:3], s[16:17], v[34:35]
	s_delay_alu instid0(VALU_DEP_1) | instskip(NEXT) | instid1(VALU_DEP_1)
	v_mul_lo_u32 v2, v3, s12
	v_dual_add_nc_u32 v4, 1, v3 :: v_dual_sub_nc_u32 v2, v34, v2
	s_delay_alu instid0(VALU_DEP_1) | instskip(SKIP_1) | instid1(VALU_DEP_2)
	v_subrev_nc_u32_e32 v5, s12, v2
	v_cmp_le_u32_e32 vcc_lo, s12, v2
	v_dual_cndmask_b32 v3, v3, v4 :: v_dual_cndmask_b32 v2, v2, v5
	s_delay_alu instid0(VALU_DEP_1) | instskip(NEXT) | instid1(VALU_DEP_2)
	v_add_nc_u32_e32 v4, 1, v3
	v_cmp_le_u32_e32 vcc_lo, s12, v2
	s_delay_alu instid0(VALU_DEP_2) | instskip(NEXT) | instid1(VALU_DEP_1)
	v_cndmask_b32_e32 v2, v3, v4, vcc_lo
	v_dual_mov_b32 v3, v35 :: v_dual_bitop2_b32 v2, s11, v2 bitop3:0x14
	s_delay_alu instid0(VALU_DEP_1) | instskip(NEXT) | instid1(VALU_DEP_1)
	v_subrev_nc_u32_e32 v6, s11, v2
	v_add_nc_u32_e32 v7, s33, v6
	v_cmp_lt_i32_e64 s0, s24, v6
	s_delay_alu instid0(VALU_DEP_2) | instskip(NEXT) | instid1(VALU_DEP_1)
	v_sub_nc_u32_e32 v2, 0, v7
	v_max_i32_e32 v2, v7, v2
	s_delay_alu instid0(VALU_DEP_1) | instskip(SKIP_1) | instid1(VALU_DEP_2)
	v_mul_u64_e32 v[4:5], s[8:9], v[2:3]
	v_ashrrev_i32_e32 v4, 31, v7
	v_mul_lo_u32 v3, v5, s10
	s_delay_alu instid0(VALU_DEP_1) | instskip(NEXT) | instid1(VALU_DEP_1)
	v_sub_nc_u32_e32 v2, v2, v3
	v_subrev_nc_u32_e32 v3, s10, v2
	v_cmp_le_u32_e32 vcc_lo, s10, v2
	s_delay_alu instid0(VALU_DEP_2) | instskip(NEXT) | instid1(VALU_DEP_1)
	v_cndmask_b32_e32 v2, v2, v3, vcc_lo
	v_subrev_nc_u32_e32 v3, s10, v2
	v_cmp_le_u32_e32 vcc_lo, s10, v2
	s_delay_alu instid0(VALU_DEP_2) | instskip(NEXT) | instid1(VALU_DEP_1)
	v_cndmask_b32_e32 v2, v2, v3, vcc_lo
	v_xor_b32_e32 v2, v2, v4
	s_delay_alu instid0(VALU_DEP_1) | instskip(NEXT) | instid1(VALU_DEP_1)
	v_sub_nc_u32_e32 v2, v2, v4
	v_cmp_eq_u32_e32 vcc_lo, 0, v2
	s_or_b32 s0, vcc_lo, s0
	s_delay_alu instid0(SALU_CYCLE_1)
	s_and_saveexec_b32 s18, s0
	s_cbranch_execz .LBB4_48
; %bb.50:                               ;   in Loop: Header=BB4_49 Depth=1
	global_load_b32 v2, v[44:45], off
	v_add_nc_u32_e32 v53, v50, v34
	ds_load_b128 v[6:9], v51
	v_cmp_eq_u32_e32 vcc_lo, s13, v52
	v_or_b32_e32 v55, 3, v53
	v_dual_add_nc_u32 v56, 1, v53 :: v_dual_bitop2_b32 v54, 2, v53 bitop3:0x54
	s_wait_loadcnt 0x0
	v_ashrrev_i32_e32 v3, 31, v2
	s_delay_alu instid0(VALU_DEP_1) | instskip(NEXT) | instid1(VALU_DEP_1)
	v_mul_u64_e32 v[2:3], s[2:3], v[2:3]
	v_lshl_add_u64 v[30:31], v[2:3], 2, v[42:43]
	global_load_b128 v[2:5], v[30:31], off
	s_wait_xcnt 0x0
	s_and_saveexec_b32 s19, vcc_lo
	s_cbranch_execnz .LBB4_57
; %bb.51:                               ;   in Loop: Header=BB4_49 Depth=1
	s_or_b32 exec_lo, exec_lo, s19
	global_load_b128 v[10:13], v[30:31], off offset:512
	s_wait_xcnt 0x0
	s_and_saveexec_b32 s19, vcc_lo
	s_cbranch_execnz .LBB4_58
.LBB4_52:                               ;   in Loop: Header=BB4_49 Depth=1
	s_or_b32 exec_lo, exec_lo, s19
	global_load_b128 v[14:17], v[30:31], off offset:1024
	s_wait_xcnt 0x0
	s_and_saveexec_b32 s19, vcc_lo
	s_cbranch_execnz .LBB4_59
.LBB4_53:                               ;   in Loop: Header=BB4_49 Depth=1
	s_or_b32 exec_lo, exec_lo, s19
	global_load_b128 v[18:21], v[30:31], off offset:1536
	s_wait_xcnt 0x0
	s_and_saveexec_b32 s19, vcc_lo
	s_cbranch_execnz .LBB4_60
.LBB4_54:                               ;   in Loop: Header=BB4_49 Depth=1
	s_or_b32 exec_lo, exec_lo, s19
	global_load_b128 v[22:25], v[30:31], off offset:2048
	s_wait_xcnt 0x0
	s_and_saveexec_b32 s19, vcc_lo
	s_cbranch_execnz .LBB4_61
.LBB4_55:                               ;   in Loop: Header=BB4_49 Depth=1
	s_or_b32 exec_lo, exec_lo, s19
	global_load_b128 v[26:29], v[30:31], off offset:2560
	s_wait_xcnt 0x0
	s_and_saveexec_b32 s19, vcc_lo
	s_cbranch_execnz .LBB4_62
.LBB4_56:                               ;   in Loop: Header=BB4_49 Depth=1
	s_or_b32 exec_lo, exec_lo, s19
	global_load_b128 v[30:33], v[30:31], off offset:3072
	s_wait_xcnt 0x0
	s_and_saveexec_b32 s0, vcc_lo
	s_cbranch_execz .LBB4_47
	s_branch .LBB4_63
.LBB4_57:                               ;   in Loop: Header=BB4_49 Depth=1
	v_cmp_gt_i32_e64 s0, s14, v56
	s_wait_loadcnt 0x0
	s_delay_alu instid0(VALU_DEP_1) | instskip(SKIP_1) | instid1(VALU_DEP_1)
	v_cndmask_b32_e64 v3, 0, v3, s0
	v_cmp_gt_i32_e64 s0, s31, v53
	v_cndmask_b32_e64 v2, 0, v2, s0
	v_cmp_gt_i32_e64 s0, s14, v55
	s_delay_alu instid0(VALU_DEP_1) | instskip(SKIP_1) | instid1(VALU_DEP_1)
	v_cndmask_b32_e64 v5, 0, v5, s0
	v_cmp_gt_i32_e64 s0, s31, v54
	v_cndmask_b32_e64 v4, 0, v4, s0
	s_or_b32 exec_lo, exec_lo, s19
	global_load_b128 v[10:13], v[30:31], off offset:512
	s_wait_xcnt 0x0
	s_and_saveexec_b32 s19, vcc_lo
	s_cbranch_execz .LBB4_52
.LBB4_58:                               ;   in Loop: Header=BB4_49 Depth=1
	v_cmp_gt_i32_e64 s0, s14, v56
	s_wait_loadcnt 0x0
	s_delay_alu instid0(VALU_DEP_1) | instskip(SKIP_1) | instid1(VALU_DEP_1)
	v_cndmask_b32_e64 v11, 0, v11, s0
	v_cmp_gt_i32_e64 s0, s31, v53
	v_cndmask_b32_e64 v10, 0, v10, s0
	v_cmp_gt_i32_e64 s0, s14, v55
	s_delay_alu instid0(VALU_DEP_1) | instskip(SKIP_1) | instid1(VALU_DEP_1)
	v_cndmask_b32_e64 v13, 0, v13, s0
	v_cmp_gt_i32_e64 s0, s31, v54
	v_cndmask_b32_e64 v12, 0, v12, s0
	s_or_b32 exec_lo, exec_lo, s19
	global_load_b128 v[14:17], v[30:31], off offset:1024
	s_wait_xcnt 0x0
	s_and_saveexec_b32 s19, vcc_lo
	s_cbranch_execz .LBB4_53
.LBB4_59:                               ;   in Loop: Header=BB4_49 Depth=1
	v_cmp_gt_i32_e64 s0, s14, v56
	s_wait_loadcnt 0x0
	s_delay_alu instid0(VALU_DEP_1) | instskip(SKIP_1) | instid1(VALU_DEP_1)
	v_cndmask_b32_e64 v15, 0, v15, s0
	v_cmp_gt_i32_e64 s0, s31, v53
	v_cndmask_b32_e64 v14, 0, v14, s0
	v_cmp_gt_i32_e64 s0, s14, v55
	s_delay_alu instid0(VALU_DEP_1) | instskip(SKIP_1) | instid1(VALU_DEP_1)
	v_cndmask_b32_e64 v17, 0, v17, s0
	v_cmp_gt_i32_e64 s0, s31, v54
	v_cndmask_b32_e64 v16, 0, v16, s0
	s_or_b32 exec_lo, exec_lo, s19
	global_load_b128 v[18:21], v[30:31], off offset:1536
	s_wait_xcnt 0x0
	s_and_saveexec_b32 s19, vcc_lo
	s_cbranch_execz .LBB4_54
.LBB4_60:                               ;   in Loop: Header=BB4_49 Depth=1
	v_cmp_gt_i32_e64 s0, s14, v56
	s_wait_loadcnt 0x0
	s_delay_alu instid0(VALU_DEP_1) | instskip(SKIP_1) | instid1(VALU_DEP_1)
	v_cndmask_b32_e64 v19, 0, v19, s0
	v_cmp_gt_i32_e64 s0, s31, v53
	v_cndmask_b32_e64 v18, 0, v18, s0
	v_cmp_gt_i32_e64 s0, s14, v55
	s_delay_alu instid0(VALU_DEP_1) | instskip(SKIP_1) | instid1(VALU_DEP_1)
	v_cndmask_b32_e64 v21, 0, v21, s0
	v_cmp_gt_i32_e64 s0, s31, v54
	v_cndmask_b32_e64 v20, 0, v20, s0
	s_or_b32 exec_lo, exec_lo, s19
	global_load_b128 v[22:25], v[30:31], off offset:2048
	s_wait_xcnt 0x0
	s_and_saveexec_b32 s19, vcc_lo
	s_cbranch_execz .LBB4_55
.LBB4_61:                               ;   in Loop: Header=BB4_49 Depth=1
	v_cmp_gt_i32_e64 s0, s14, v56
	s_wait_loadcnt 0x0
	s_delay_alu instid0(VALU_DEP_1) | instskip(SKIP_1) | instid1(VALU_DEP_1)
	v_cndmask_b32_e64 v23, 0, v23, s0
	v_cmp_gt_i32_e64 s0, s31, v53
	v_cndmask_b32_e64 v22, 0, v22, s0
	v_cmp_gt_i32_e64 s0, s14, v55
	s_delay_alu instid0(VALU_DEP_1) | instskip(SKIP_1) | instid1(VALU_DEP_1)
	v_cndmask_b32_e64 v25, 0, v25, s0
	v_cmp_gt_i32_e64 s0, s31, v54
	v_cndmask_b32_e64 v24, 0, v24, s0
	s_or_b32 exec_lo, exec_lo, s19
	global_load_b128 v[26:29], v[30:31], off offset:2560
	s_wait_xcnt 0x0
	s_and_saveexec_b32 s19, vcc_lo
	s_cbranch_execz .LBB4_56
.LBB4_62:                               ;   in Loop: Header=BB4_49 Depth=1
	v_cmp_gt_i32_e64 s0, s14, v56
	s_wait_loadcnt 0x0
	s_delay_alu instid0(VALU_DEP_1) | instskip(SKIP_1) | instid1(VALU_DEP_1)
	v_cndmask_b32_e64 v27, 0, v27, s0
	v_cmp_gt_i32_e64 s0, s31, v53
	v_cndmask_b32_e64 v26, 0, v26, s0
	v_cmp_gt_i32_e64 s0, s14, v55
	s_delay_alu instid0(VALU_DEP_1) | instskip(SKIP_1) | instid1(VALU_DEP_1)
	v_cndmask_b32_e64 v29, 0, v29, s0
	v_cmp_gt_i32_e64 s0, s31, v54
	v_cndmask_b32_e64 v28, 0, v28, s0
	s_or_b32 exec_lo, exec_lo, s19
	global_load_b128 v[30:33], v[30:31], off offset:3072
	s_wait_xcnt 0x0
	s_and_saveexec_b32 s0, vcc_lo
	s_cbranch_execz .LBB4_47
.LBB4_63:                               ;   in Loop: Header=BB4_49 Depth=1
	v_cmp_gt_i32_e32 vcc_lo, s14, v56
	s_wait_loadcnt 0x0
	v_cndmask_b32_e32 v31, 0, v31, vcc_lo
	v_cmp_gt_i32_e32 vcc_lo, s31, v53
	v_cndmask_b32_e32 v30, 0, v30, vcc_lo
	v_cmp_gt_i32_e32 vcc_lo, s14, v55
	;; [unrolled: 2-line block ×3, first 2 shown]
	v_cndmask_b32_e32 v32, 0, v32, vcc_lo
	s_branch .LBB4_47
.LBB4_64:
	s_or_b32 exec_lo, exec_lo, s15
.LBB4_65:
	s_delay_alu instid0(SALU_CYCLE_1)
	s_or_b32 exec_lo, exec_lo, s1
	ds_bpermute_b32 v2, v47, v40
	ds_bpermute_b32 v3, v47, v41
	;; [unrolled: 1-line block ×7, first 2 shown]
	v_and_b32_e32 v9, 0x3c1, v0
	v_lshrrev_b32_e32 v10, 1, v46
	s_mov_b32 s0, exec_lo
	s_wait_dscnt 0x0
	s_barrier_signal -1
	s_barrier_wait -1
	v_pk_add_f32 v[6:7], v[40:41], v[2:3]
	v_pk_add_f32 v[4:5], v[38:39], v[4:5]
	v_pk_add_f32 v[2:3], v[36:37], v[12:13]
	v_cmpx_ne_u32_e32 64, v9
	s_xor_b32 s0, exec_lo, s0
	s_delay_alu instid0(SALU_CYCLE_1)
	s_or_saveexec_b32 s0, s0
	v_add_f32_e32 v8, v49, v8
	v_lshl_add_u32 v9, v10, 2, 0x1e0
	v_mul_u32_u24_e32 v1, 0x1c0, v1
	s_xor_b32 exec_lo, exec_lo, s0
	s_cbranch_execz .LBB4_67
; %bb.66:
	s_delay_alu instid0(VALU_DEP_1) | instskip(NEXT) | instid1(VALU_DEP_1)
	v_add_nc_u32_e32 v11, v9, v1
	v_add_nc_u32_e32 v12, 0xfffffc80, v11
	;; [unrolled: 1-line block ×8, first 2 shown]
	ds_store_b32 v12, v6
	ds_store_b32 v13, v7
	ds_store_b32 v14, v4
	ds_store_b32 v15, v5
	ds_store_b32 v16, v2
	ds_store_b32 v17, v3
	ds_store_b32 v11, v8
.LBB4_67:
	s_or_b32 exec_lo, exec_lo, s0
	v_lshlrev_b32_e32 v10, 2, v10
	s_mov_b32 s1, exec_lo
	v_cmp_eq_u32_e32 vcc_lo, 0, v48
	s_wait_dscnt 0x0
	s_barrier_signal -1
	v_add3_u32 v1, 0x1e0, v1, v10
	s_barrier_wait -1
	v_cmpx_gt_u32_e32 64, v0
	s_cbranch_execz .LBB4_77
; %bb.68:
	s_and_saveexec_b32 s0, vcc_lo
	s_cbranch_execnz .LBB4_92
; %bb.69:
	s_or_b32 exec_lo, exec_lo, s0
	s_and_saveexec_b32 s0, vcc_lo
	s_cbranch_execnz .LBB4_93
.LBB4_70:
	s_or_b32 exec_lo, exec_lo, s0
	s_and_saveexec_b32 s0, vcc_lo
	s_cbranch_execnz .LBB4_94
.LBB4_71:
	s_or_b32 exec_lo, exec_lo, s0
	s_and_saveexec_b32 s0, vcc_lo
	s_cbranch_execnz .LBB4_95
.LBB4_72:
	s_or_b32 exec_lo, exec_lo, s0
	s_and_saveexec_b32 s0, vcc_lo
	s_cbranch_execnz .LBB4_96
.LBB4_73:
	s_or_b32 exec_lo, exec_lo, s0
	s_and_saveexec_b32 s0, vcc_lo
	s_cbranch_execnz .LBB4_97
.LBB4_74:
	s_or_b32 exec_lo, exec_lo, s0
	s_and_saveexec_b32 s0, vcc_lo
	s_cbranch_execz .LBB4_76
.LBB4_75:
	ds_load_b32 v10, v1 offset:384
	s_wait_dscnt 0x0
	v_add_f32_e32 v8, v8, v10
.LBB4_76:
	s_or_b32 exec_lo, exec_lo, s0
.LBB4_77:
	s_delay_alu instid0(SALU_CYCLE_1) | instskip(SKIP_4) | instid1(VALU_DEP_1)
	s_or_b32 exec_lo, exec_lo, s1
	v_and_b32_e32 v10, 0x3e1, v0
	s_mov_b32 s1, exec_lo
	s_barrier_signal -1
	s_barrier_wait -1
	v_cmpx_eq_u32_e32 32, v10
	s_cbranch_execz .LBB4_79
; %bb.78:
	ds_store_2addr_b32 v9, v6, v7 offset1:16
	ds_store_2addr_b32 v9, v4, v5 offset0:32 offset1:48
	ds_store_2addr_b32 v9, v2, v3 offset0:64 offset1:80
	ds_store_b32 v9, v8 offset:384
.LBB4_79:
	s_or_b32 exec_lo, exec_lo, s1
	s_delay_alu instid0(SALU_CYCLE_1)
	s_mov_b32 s1, exec_lo
	s_wait_dscnt 0x0
	s_barrier_signal -1
	s_barrier_wait -1
	v_cmpx_gt_u32_e32 32, v0
	s_cbranch_execz .LBB4_89
; %bb.80:
	s_and_saveexec_b32 s0, vcc_lo
	s_cbranch_execnz .LBB4_98
; %bb.81:
	s_or_b32 exec_lo, exec_lo, s0
	s_and_saveexec_b32 s0, vcc_lo
	s_cbranch_execnz .LBB4_99
.LBB4_82:
	s_or_b32 exec_lo, exec_lo, s0
	s_and_saveexec_b32 s0, vcc_lo
	s_cbranch_execnz .LBB4_100
.LBB4_83:
	s_or_b32 exec_lo, exec_lo, s0
	s_and_saveexec_b32 s0, vcc_lo
	s_cbranch_execnz .LBB4_101
.LBB4_84:
	s_or_b32 exec_lo, exec_lo, s0
	s_and_saveexec_b32 s0, vcc_lo
	s_cbranch_execnz .LBB4_102
.LBB4_85:
	s_or_b32 exec_lo, exec_lo, s0
	s_and_saveexec_b32 s0, vcc_lo
	s_cbranch_execnz .LBB4_103
.LBB4_86:
	s_or_b32 exec_lo, exec_lo, s0
	s_and_saveexec_b32 s0, vcc_lo
	s_cbranch_execz .LBB4_88
.LBB4_87:
	ds_load_b32 v1, v1 offset:384
	s_wait_dscnt 0x0
	v_add_f32_e32 v8, v8, v1
.LBB4_88:
	s_or_b32 exec_lo, exec_lo, s0
.LBB4_89:
	s_delay_alu instid0(SALU_CYCLE_1)
	s_or_b32 exec_lo, exec_lo, s1
	s_mov_b32 s1, 0
	s_barrier_signal -1
	s_barrier_wait -1
	s_mov_b32 s0, exec_lo
	v_cmpx_eq_u32_e32 0, v10
	s_cbranch_execz .LBB4_91
; %bb.90:
	s_mul_i32 s0, s30, s7
	s_mul_i32 s2, s7, s6
	s_mul_i32 s0, s0, s29
	s_lshr_b32 s8, ttmp7, 16
	s_mul_i32 s6, s0, 0x70
	s_bfe_u32 s0, ttmp6, 0x40014
	s_ashr_i32 s7, s6, 31
	s_add_co_i32 s0, s0, 1
	s_lshl_b64 s[6:7], s[6:7], 2
	s_ashr_i32 s3, s2, 31
	s_wait_kmcnt 0x0
	s_add_nc_u64 s[4:5], s[4:5], s[6:7]
	s_mul_i32 s0, s8, s0
	s_bfe_u32 s6, ttmp6, 0x40008
	s_lshl_b64 s[2:3], s[2:3], 2
	s_add_co_i32 s6, s6, s0
	s_cmp_eq_u32 s28, 0
	v_lshlrev_b32_e32 v0, 1, v0
	s_cselect_b32 s0, s8, s6
	s_add_nc_u64 s[2:3], s[4:5], s[2:3]
	s_mulk_i32 s0, 0x1c0
	s_delay_alu instid0(SALU_CYCLE_1)
	s_add_nc_u64 s[0:1], s[2:3], s[0:1]
	s_clause 0x6
	global_store_b32 v0, v6, s[0:1]
	global_store_b32 v0, v7, s[0:1] offset:64
	global_store_b32 v0, v4, s[0:1] offset:128
	;; [unrolled: 1-line block ×6, first 2 shown]
.LBB4_91:
	s_endpgm
.LBB4_92:
	ds_load_b32 v10, v1
	s_wait_dscnt 0x0
	v_add_f32_e32 v6, v6, v10
	s_or_b32 exec_lo, exec_lo, s0
	s_and_saveexec_b32 s0, vcc_lo
	s_cbranch_execz .LBB4_70
.LBB4_93:
	ds_load_b32 v10, v1 offset:64
	s_wait_dscnt 0x0
	v_add_f32_e32 v7, v7, v10
	s_or_b32 exec_lo, exec_lo, s0
	s_and_saveexec_b32 s0, vcc_lo
	s_cbranch_execz .LBB4_71
.LBB4_94:
	ds_load_b32 v10, v1 offset:128
	s_wait_dscnt 0x0
	v_add_f32_e32 v4, v4, v10
	s_or_b32 exec_lo, exec_lo, s0
	s_and_saveexec_b32 s0, vcc_lo
	s_cbranch_execz .LBB4_72
.LBB4_95:
	ds_load_b32 v10, v1 offset:192
	s_wait_dscnt 0x0
	v_add_f32_e32 v5, v5, v10
	s_or_b32 exec_lo, exec_lo, s0
	s_and_saveexec_b32 s0, vcc_lo
	s_cbranch_execz .LBB4_73
.LBB4_96:
	ds_load_b32 v10, v1 offset:256
	s_wait_dscnt 0x0
	v_add_f32_e32 v2, v2, v10
	s_or_b32 exec_lo, exec_lo, s0
	s_and_saveexec_b32 s0, vcc_lo
	s_cbranch_execz .LBB4_74
.LBB4_97:
	ds_load_b32 v10, v1 offset:320
	s_wait_dscnt 0x0
	v_add_f32_e32 v3, v3, v10
	s_or_b32 exec_lo, exec_lo, s0
	s_and_saveexec_b32 s0, vcc_lo
	s_cbranch_execnz .LBB4_75
	s_branch .LBB4_76
.LBB4_98:
	ds_load_b32 v9, v1
	s_wait_dscnt 0x0
	v_add_f32_e32 v6, v6, v9
	s_or_b32 exec_lo, exec_lo, s0
	s_and_saveexec_b32 s0, vcc_lo
	s_cbranch_execz .LBB4_82
.LBB4_99:
	ds_load_b32 v9, v1 offset:64
	s_wait_dscnt 0x0
	v_add_f32_e32 v7, v7, v9
	s_or_b32 exec_lo, exec_lo, s0
	s_and_saveexec_b32 s0, vcc_lo
	s_cbranch_execz .LBB4_83
.LBB4_100:
	ds_load_b32 v9, v1 offset:128
	s_wait_dscnt 0x0
	v_add_f32_e32 v4, v4, v9
	s_or_b32 exec_lo, exec_lo, s0
	s_and_saveexec_b32 s0, vcc_lo
	s_cbranch_execz .LBB4_84
.LBB4_101:
	ds_load_b32 v9, v1 offset:192
	s_wait_dscnt 0x0
	v_add_f32_e32 v5, v5, v9
	s_or_b32 exec_lo, exec_lo, s0
	s_and_saveexec_b32 s0, vcc_lo
	s_cbranch_execz .LBB4_85
.LBB4_102:
	ds_load_b32 v9, v1 offset:256
	s_wait_dscnt 0x0
	v_add_f32_e32 v2, v2, v9
	s_or_b32 exec_lo, exec_lo, s0
	s_and_saveexec_b32 s0, vcc_lo
	s_cbranch_execz .LBB4_86
.LBB4_103:
	ds_load_b32 v9, v1 offset:320
	s_wait_dscnt 0x0
	v_add_f32_e32 v3, v3, v9
	s_or_b32 exec_lo, exec_lo, s0
	s_and_saveexec_b32 s0, vcc_lo
	s_cbranch_execnz .LBB4_87
	s_branch .LBB4_88
	.section	.rodata,"a",@progbits
	.p2align	6, 0x0
	.amdhsa_kernel _ZN4vllm25paged_attention_v1_kernelIffLi112ELi8ELi128ELNS_18Fp8KVCacheDataTypeE0ELb1EEEvPT_PKS2_PKT0_S8_ifPKiSA_iPKfiiiSC_SC_iiiii
		.amdhsa_group_segment_fixed_size 480
		.amdhsa_private_segment_fixed_size 0
		.amdhsa_kernarg_size 384
		.amdhsa_user_sgpr_count 2
		.amdhsa_user_sgpr_dispatch_ptr 0
		.amdhsa_user_sgpr_queue_ptr 0
		.amdhsa_user_sgpr_kernarg_segment_ptr 1
		.amdhsa_user_sgpr_dispatch_id 0
		.amdhsa_user_sgpr_kernarg_preload_length 0
		.amdhsa_user_sgpr_kernarg_preload_offset 0
		.amdhsa_user_sgpr_private_segment_size 0
		.amdhsa_wavefront_size32 1
		.amdhsa_uses_dynamic_stack 0
		.amdhsa_enable_private_segment 0
		.amdhsa_system_sgpr_workgroup_id_x 1
		.amdhsa_system_sgpr_workgroup_id_y 1
		.amdhsa_system_sgpr_workgroup_id_z 1
		.amdhsa_system_sgpr_workgroup_info 0
		.amdhsa_system_vgpr_workitem_id 0
		.amdhsa_next_free_vgpr 57
		.amdhsa_next_free_sgpr 40
		.amdhsa_named_barrier_count 0
		.amdhsa_reserve_vcc 1
		.amdhsa_float_round_mode_32 0
		.amdhsa_float_round_mode_16_64 0
		.amdhsa_float_denorm_mode_32 3
		.amdhsa_float_denorm_mode_16_64 3
		.amdhsa_fp16_overflow 0
		.amdhsa_memory_ordered 1
		.amdhsa_forward_progress 1
		.amdhsa_inst_pref_size 53
		.amdhsa_round_robin_scheduling 0
		.amdhsa_exception_fp_ieee_invalid_op 0
		.amdhsa_exception_fp_denorm_src 0
		.amdhsa_exception_fp_ieee_div_zero 0
		.amdhsa_exception_fp_ieee_overflow 0
		.amdhsa_exception_fp_ieee_underflow 0
		.amdhsa_exception_fp_ieee_inexact 0
		.amdhsa_exception_int_div_zero 0
	.end_amdhsa_kernel
	.section	.text._ZN4vllm25paged_attention_v1_kernelIffLi112ELi8ELi128ELNS_18Fp8KVCacheDataTypeE0ELb1EEEvPT_PKS2_PKT0_S8_ifPKiSA_iPKfiiiSC_SC_iiiii,"axG",@progbits,_ZN4vllm25paged_attention_v1_kernelIffLi112ELi8ELi128ELNS_18Fp8KVCacheDataTypeE0ELb1EEEvPT_PKS2_PKT0_S8_ifPKiSA_iPKfiiiSC_SC_iiiii,comdat
.Lfunc_end4:
	.size	_ZN4vllm25paged_attention_v1_kernelIffLi112ELi8ELi128ELNS_18Fp8KVCacheDataTypeE0ELb1EEEvPT_PKS2_PKT0_S8_ifPKiSA_iPKfiiiSC_SC_iiiii, .Lfunc_end4-_ZN4vllm25paged_attention_v1_kernelIffLi112ELi8ELi128ELNS_18Fp8KVCacheDataTypeE0ELb1EEEvPT_PKS2_PKT0_S8_ifPKiSA_iPKfiiiSC_SC_iiiii
                                        ; -- End function
	.set _ZN4vllm25paged_attention_v1_kernelIffLi112ELi8ELi128ELNS_18Fp8KVCacheDataTypeE0ELb1EEEvPT_PKS2_PKT0_S8_ifPKiSA_iPKfiiiSC_SC_iiiii.num_vgpr, 57
	.set _ZN4vllm25paged_attention_v1_kernelIffLi112ELi8ELi128ELNS_18Fp8KVCacheDataTypeE0ELb1EEEvPT_PKS2_PKT0_S8_ifPKiSA_iPKfiiiSC_SC_iiiii.num_agpr, 0
	.set _ZN4vllm25paged_attention_v1_kernelIffLi112ELi8ELi128ELNS_18Fp8KVCacheDataTypeE0ELb1EEEvPT_PKS2_PKT0_S8_ifPKiSA_iPKfiiiSC_SC_iiiii.numbered_sgpr, 40
	.set _ZN4vllm25paged_attention_v1_kernelIffLi112ELi8ELi128ELNS_18Fp8KVCacheDataTypeE0ELb1EEEvPT_PKS2_PKT0_S8_ifPKiSA_iPKfiiiSC_SC_iiiii.num_named_barrier, 0
	.set _ZN4vllm25paged_attention_v1_kernelIffLi112ELi8ELi128ELNS_18Fp8KVCacheDataTypeE0ELb1EEEvPT_PKS2_PKT0_S8_ifPKiSA_iPKfiiiSC_SC_iiiii.private_seg_size, 0
	.set _ZN4vllm25paged_attention_v1_kernelIffLi112ELi8ELi128ELNS_18Fp8KVCacheDataTypeE0ELb1EEEvPT_PKS2_PKT0_S8_ifPKiSA_iPKfiiiSC_SC_iiiii.uses_vcc, 1
	.set _ZN4vllm25paged_attention_v1_kernelIffLi112ELi8ELi128ELNS_18Fp8KVCacheDataTypeE0ELb1EEEvPT_PKS2_PKT0_S8_ifPKiSA_iPKfiiiSC_SC_iiiii.uses_flat_scratch, 0
	.set _ZN4vllm25paged_attention_v1_kernelIffLi112ELi8ELi128ELNS_18Fp8KVCacheDataTypeE0ELb1EEEvPT_PKS2_PKT0_S8_ifPKiSA_iPKfiiiSC_SC_iiiii.has_dyn_sized_stack, 0
	.set _ZN4vllm25paged_attention_v1_kernelIffLi112ELi8ELi128ELNS_18Fp8KVCacheDataTypeE0ELb1EEEvPT_PKS2_PKT0_S8_ifPKiSA_iPKfiiiSC_SC_iiiii.has_recursion, 0
	.set _ZN4vllm25paged_attention_v1_kernelIffLi112ELi8ELi128ELNS_18Fp8KVCacheDataTypeE0ELb1EEEvPT_PKS2_PKT0_S8_ifPKiSA_iPKfiiiSC_SC_iiiii.has_indirect_call, 0
	.section	.AMDGPU.csdata,"",@progbits
; Kernel info:
; codeLenInByte = 6684
; TotalNumSgprs: 42
; NumVgprs: 57
; ScratchSize: 0
; MemoryBound: 0
; FloatMode: 240
; IeeeMode: 1
; LDSByteSize: 480 bytes/workgroup (compile time only)
; SGPRBlocks: 0
; VGPRBlocks: 3
; NumSGPRsForWavesPerEU: 42
; NumVGPRsForWavesPerEU: 57
; NamedBarCnt: 0
; Occupancy: 16
; WaveLimiterHint : 1
; COMPUTE_PGM_RSRC2:SCRATCH_EN: 0
; COMPUTE_PGM_RSRC2:USER_SGPR: 2
; COMPUTE_PGM_RSRC2:TRAP_HANDLER: 0
; COMPUTE_PGM_RSRC2:TGID_X_EN: 1
; COMPUTE_PGM_RSRC2:TGID_Y_EN: 1
; COMPUTE_PGM_RSRC2:TGID_Z_EN: 1
; COMPUTE_PGM_RSRC2:TIDIG_COMP_CNT: 0
	.section	.text._ZN4vllm25paged_attention_v1_kernelIffLi120ELi8ELi128ELNS_18Fp8KVCacheDataTypeE0ELb1EEEvPT_PKS2_PKT0_S8_ifPKiSA_iPKfiiiSC_SC_iiiii,"axG",@progbits,_ZN4vllm25paged_attention_v1_kernelIffLi120ELi8ELi128ELNS_18Fp8KVCacheDataTypeE0ELb1EEEvPT_PKS2_PKT0_S8_ifPKiSA_iPKfiiiSC_SC_iiiii,comdat
	.protected	_ZN4vllm25paged_attention_v1_kernelIffLi120ELi8ELi128ELNS_18Fp8KVCacheDataTypeE0ELb1EEEvPT_PKS2_PKT0_S8_ifPKiSA_iPKfiiiSC_SC_iiiii ; -- Begin function _ZN4vllm25paged_attention_v1_kernelIffLi120ELi8ELi128ELNS_18Fp8KVCacheDataTypeE0ELb1EEEvPT_PKS2_PKT0_S8_ifPKiSA_iPKfiiiSC_SC_iiiii
	.globl	_ZN4vllm25paged_attention_v1_kernelIffLi120ELi8ELi128ELNS_18Fp8KVCacheDataTypeE0ELb1EEEvPT_PKS2_PKT0_S8_ifPKiSA_iPKfiiiSC_SC_iiiii
	.p2align	8
	.type	_ZN4vllm25paged_attention_v1_kernelIffLi120ELi8ELi128ELNS_18Fp8KVCacheDataTypeE0ELb1EEEvPT_PKS2_PKT0_S8_ifPKiSA_iPKfiiiSC_SC_iiiii,@function
_ZN4vllm25paged_attention_v1_kernelIffLi120ELi8ELi128ELNS_18Fp8KVCacheDataTypeE0ELb1EEEvPT_PKS2_PKT0_S8_ifPKiSA_iPKfiiiSC_SC_iiiii: ; @_ZN4vllm25paged_attention_v1_kernelIffLi120ELi8ELi128ELNS_18Fp8KVCacheDataTypeE0ELb1EEEvPT_PKS2_PKT0_S8_ifPKiSA_iPKfiiiSC_SC_iiiii
; %bb.0:
	s_load_b64 s[22:23], s[0:1], 0x20
	s_bfe_u32 s3, ttmp6, 0x4000c
	s_bfe_u32 s4, ttmp6, 0x40010
	s_and_b32 s6, ttmp7, 0xffff
	s_add_co_i32 s3, s3, 1
	s_add_co_i32 s4, s4, 1
	s_and_b32 s2, ttmp6, 15
	s_bfe_u32 s5, ttmp6, 0x40004
	s_mul_i32 s3, ttmp9, s3
	s_mul_i32 s4, s6, s4
	s_getreg_b32 s28, hwreg(HW_REG_IB_STS2, 6, 4)
	s_add_co_i32 s2, s2, s3
	s_add_co_i32 s3, s5, s4
	s_cmp_eq_u32 s28, 0
	s_clause 0x1
	s_load_b32 s29, s[0:1], 0x80
	s_load_b64 s[4:5], s[0:1], 0x30
	s_cselect_b32 s30, s6, s3
	s_cselect_b32 s2, ttmp9, s2
	s_mov_b32 s17, 0
	s_delay_alu instid0(SALU_CYCLE_1) | instskip(SKIP_2) | instid1(SALU_CYCLE_1)
	s_mov_b32 s36, s17
	s_wait_kmcnt 0x0
	s_abs_i32 s3, s22
	s_cvt_f32_u32 s6, s3
	s_sub_co_i32 s7, 0, s3
	s_delay_alu instid0(SALU_CYCLE_2) | instskip(SKIP_2) | instid1(TRANS32_DEP_1)
	v_rcp_iflag_f32_e32 v1, s6
	s_abs_i32 s8, s29
	v_nop
	v_readfirstlane_b32 s6, v1
	s_mul_f32 s6, s6, 0x4f7ffffe
	s_delay_alu instid0(SALU_CYCLE_3) | instskip(NEXT) | instid1(SALU_CYCLE_3)
	s_cvt_u32_f32 s6, s6
	s_mul_i32 s7, s7, s6
	s_delay_alu instid0(SALU_CYCLE_1) | instskip(NEXT) | instid1(SALU_CYCLE_1)
	s_mul_hi_u32 s7, s6, s7
	s_add_co_i32 s6, s6, s7
	s_xor_b32 s7, s29, s22
	s_mul_hi_u32 s6, s8, s6
	s_ashr_i32 s7, s7, 31
	s_mul_i32 s9, s6, s3
	s_delay_alu instid0(SALU_CYCLE_1)
	s_sub_co_i32 s8, s8, s9
	s_add_co_i32 s9, s6, 1
	s_sub_co_i32 s10, s8, s3
	s_cmp_ge_u32 s8, s3
	s_cselect_b32 s6, s9, s6
	s_cselect_b32 s8, s10, s8
	s_add_co_i32 s9, s6, 1
	s_cmp_ge_u32 s8, s3
	s_cselect_b32 s3, s9, s6
	s_load_b64 s[8:9], s[0:1], 0x40
	s_xor_b32 s3, s3, s7
	s_abs_i32 s16, s2
	s_sub_co_i32 s10, s3, s7
	s_mov_b32 s7, s17
	s_abs_i32 s15, s10
	s_delay_alu instid0(SALU_CYCLE_1) | instskip(SKIP_1) | instid1(SALU_CYCLE_2)
	s_cvt_f32_u32 s3, s15
	s_sub_co_i32 s6, 0, s15
	v_rcp_iflag_f32_e32 v1, s3
	v_nop
	s_delay_alu instid0(TRANS32_DEP_1) | instskip(SKIP_1) | instid1(SALU_CYCLE_3)
	v_readfirstlane_b32 s3, v1
	s_mul_f32 s3, s3, 0x4f7ffffe
	s_cvt_u32_f32 s3, s3
	s_delay_alu instid0(SALU_CYCLE_3) | instskip(NEXT) | instid1(SALU_CYCLE_1)
	s_mul_i32 s6, s6, s3
	s_mul_hi_u32 s6, s3, s6
	s_delay_alu instid0(SALU_CYCLE_1)
	s_add_co_i32 s6, s3, s6
	s_wait_kmcnt 0x0
	s_cmp_eq_u64 s[8:9], 0
	s_cbranch_scc1 .LBB5_2
; %bb.1:
	s_ashr_i32 s3, s2, 31
	s_delay_alu instid0(SALU_CYCLE_1) | instskip(NEXT) | instid1(SALU_CYCLE_1)
	s_lshl_b64 s[12:13], s[2:3], 2
	s_add_nc_u64 s[8:9], s[8:9], s[12:13]
	s_load_b32 s36, s[8:9], 0x0
.LBB5_2:
	s_load_b32 s31, s[4:5], s30 offset:0x0 scale_offset
	s_load_b96 s[12:14], s[0:1], 0x48
	v_and_b32_e32 v4, 3, v0
	s_wait_xcnt 0x0
	s_mul_u64 s[4:5], s[16:17], s[6:7]
	s_ashr_i32 s3, s2, 31
	s_ashr_i32 s18, s10, 31
	s_mul_i32 s6, s2, 0x78
	s_mov_b32 s4, exec_lo
	v_cmpx_gt_u32_e32 0x78, v0
	s_cbranch_execz .LBB5_4
; %bb.3:
	s_load_b64 s[8:9], s[0:1], 0x8
	s_wait_kmcnt 0x0
	s_mul_i32 s10, s12, s30
	s_ashr_i32 s7, s6, 31
	s_ashr_i32 s11, s10, 31
	v_and_b32_e32 v2, 0x3fc, v0
	s_lshl_b64 s[10:11], s[10:11], 2
	s_delay_alu instid0(VALU_DEP_1) | instskip(SKIP_2) | instid1(SALU_CYCLE_1)
	v_mad_u32_u24 v2, 0x78, v4, v2
	s_add_nc_u64 s[8:9], s[8:9], s[10:11]
	s_lshl_b64 s[10:11], s[6:7], 2
	s_add_nc_u64 s[8:9], s[8:9], s[10:11]
	global_load_b32 v1, v0, s[8:9] scale_offset
	s_wait_loadcnt 0x0
	ds_store_b32 v2, v1
.LBB5_4:
	s_or_b32 exec_lo, exec_lo, s4
	s_load_b128 s[8:11], s[0:1], 0x68
	s_mul_i32 s4, s5, s15
	s_xor_b32 s3, s3, s18
	s_sub_co_i32 s4, s16, s4
	s_add_co_i32 s7, s5, 1
	s_wait_kmcnt 0x0
	s_sub_co_i32 s12, s4, s15
	s_cmp_ge_u32 s4, s15
	s_mov_b32 s18, -1
	s_cselect_b32 s5, s7, s5
	s_cselect_b32 s4, s12, s4
	s_add_co_i32 s12, s5, 1
	s_cmp_ge_u32 s4, s15
	s_load_b32 s7, s[0:1], 0x78
	s_cselect_b32 s4, s12, s5
	s_add_co_i32 s15, s31, -1
	s_xor_b32 s4, s4, s3
	s_wait_dscnt 0x0
	s_sub_co_i32 s3, s4, s3
	s_barrier_signal -1
	s_barrier_wait -1
	s_abs_i32 s12, s11
	s_delay_alu instid0(SALU_CYCLE_1) | instskip(NEXT) | instid1(SALU_CYCLE_3)
	s_cvt_f32_u32 s5, s12
                                        ; implicit-def: $sgpr33
	v_rcp_iflag_f32_e32 v1, s5
	v_nop
	s_delay_alu instid0(TRANS32_DEP_1) | instskip(SKIP_1) | instid1(SALU_CYCLE_3)
	v_readfirstlane_b32 s5, v1
	s_mul_f32 s4, s5, 0x4f7ffffe
	s_cvt_u32_f32 s16, s4
	s_sub_co_i32 s4, 0, s12
	s_delay_alu instid0(SALU_CYCLE_2)
	s_mul_i32 s5, s4, s16
	s_abs_i32 s4, s15
	s_mul_hi_u32 s17, s16, s5
	s_mov_b32 s5, 0
	s_add_co_i32 s16, s16, s17
	s_wait_kmcnt 0x0
	s_cmp_lt_i32 s7, 0
	s_mov_b32 s17, s5
	s_cbranch_scc0 .LBB5_6
; %bb.5:
	s_mul_i32 s18, s8, s22
	s_delay_alu instid0(SALU_CYCLE_1) | instskip(NEXT) | instid1(SALU_CYCLE_1)
	s_add_co_i32 s18, s3, s18
	s_mul_i32 s18, s18, s7
	s_delay_alu instid0(SALU_CYCLE_1)
	s_sub_co_i32 s33, 1, s18
	s_mov_b32 s18, s5
.LBB5_6:
	s_ashr_i32 s15, s15, 31
	s_ashr_i32 s34, s11, 31
	s_and_not1_b32 vcc_lo, exec_lo, s18
	s_mul_u64 s[24:25], s[4:5], s[16:17]
	s_cbranch_vccnz .LBB5_8
; %bb.7:
	s_mul_i32 s5, s29, s8
	s_delay_alu instid0(SALU_CYCLE_1) | instskip(NEXT) | instid1(SALU_CYCLE_1)
	s_add_co_i32 s2, s5, s2
	s_mul_i32 s2, s2, s7
	s_delay_alu instid0(SALU_CYCLE_1)
	s_add_co_i32 s33, s2, 1
.LBB5_8:
	s_load_b32 s2, s[0:1], 0x38
	s_mul_i32 s7, s25, s12
	s_xor_b32 s5, s15, s34
	s_sub_co_i32 s4, s4, s7
	s_add_co_i32 s8, s25, 1
	s_clause 0x1
	s_load_b64 s[20:21], s[0:1], 0x28
	s_load_b32 s7, s[0:1], 0x88
	v_dual_mov_b32 v12, 0xff7fffff :: v_dual_lshrrev_b32 v1, 5, v0
	v_lshrrev_b32_e32 v8, 3, v0
	v_mbcnt_lo_u32_b32 v9, -1, 0
	s_mul_i32 s14, s3, s14
	s_delay_alu instid0(VALU_DEP_3)
	v_lshlrev_b32_e32 v38, 3, v1
	s_mov_b32 s11, exec_lo
	s_wait_kmcnt 0x0
	s_mul_i32 s18, s2, s30
	s_sub_co_i32 s2, s4, s12
	s_ashr_i32 s19, s18, 31
	s_cmp_ge_u32 s4, s12
	s_cselect_b32 s8, s8, s25
	s_cselect_b32 s2, s2, s4
	s_add_co_i32 s4, s8, 1
	s_cmp_ge_u32 s2, s12
	s_cselect_b32 s2, s4, s8
	s_add_co_i32 s4, s31, 7
	s_delay_alu instid0(SALU_CYCLE_1) | instskip(NEXT) | instid1(SALU_CYCLE_1)
	s_ashr_i32 s8, s4, 31
	s_lshr_b32 s8, s8, 29
	s_delay_alu instid0(SALU_CYCLE_1) | instskip(NEXT) | instid1(SALU_CYCLE_1)
	s_add_co_i32 s4, s4, s8
	s_ashr_i32 s35, s4, 3
	s_xor_b32 s4, s2, s5
	v_cmp_le_i32_e64 s2, s35, v1
	s_sub_co_i32 s8, s4, s5
	v_cmpx_gt_i32_e64 s35, v1
	s_cbranch_execz .LBB5_20
; %bb.9:
	s_load_b64 s[4:5], s[0:1], 0x10
	s_ashr_i32 s15, s14, 31
	s_sub_co_i32 s22, s8, s9
	s_ashr_i32 s25, s13, 31
	s_lshl_b64 s[38:39], s[14:15], 2
	s_cmp_neq_f32 s36, 0
	v_bfe_u32 v10, v0, 2, 3
	v_mov_b32_e32 v3, 0
	v_mul_u32_u24_e32 v11, 0x78, v4
	s_cselect_b32 vcc_lo, -1, 0
	s_abs_i32 s15, s10
	v_lshlrev_b32_e32 v2, 4, v10
	s_cvt_f32_u32 s3, s15
	v_lshlrev_b32_e32 v12, 2, v10
	v_subrev_nc_u32_e32 v13, s31, v10
	s_sub_co_i32 s26, 0, s15
	v_rcp_iflag_f32_e32 v5, s3
	v_cmp_eq_u32_e64 s3, 0, v4
	v_dual_mov_b32 v18, v1 :: v_dual_bitop2_b32 v16, 2, v9 bitop3:0x14
	s_wait_kmcnt 0x0
	s_add_nc_u64 s[4:5], s[4:5], s[38:39]
	v_add_nc_u32_e32 v13, 1, v13
	v_add_nc_u64_e32 v[6:7], s[4:5], v[2:3]
	v_readfirstlane_b32 s24, v5
	v_lshlrev_b32_e32 v2, 2, v4
	s_lshl_b64 s[4:5], s[18:19], 2
	v_lshl_or_b32 v12, v1, 5, v12
	s_add_nc_u64 s[4:5], s[20:21], s[4:5]
	s_mul_f32 s24, s24, 0x4f7ffffe
	v_add_nc_u64_e32 v[4:5], v[6:7], v[2:3]
	v_and_b32_e32 v2, 0x7c, v8
	v_add_nc_u32_e32 v14, 0x200, v12
	s_cvt_u32_f32 s37, s24
	v_xor_b32_e32 v17, 1, v9
	v_mov_b32_e32 v15, 0xff7fffff
	v_add_nc_u64_e32 v[6:7], s[4:5], v[2:3]
	s_mul_i32 s26, s26, s37
	v_lshlrev_b32_e32 v2, 3, v1
	v_mov_b32_e32 v12, 0xff7fffff
	s_mov_b32 s27, 0
	s_mul_hi_u32 s4, s37, s26
	s_mov_b32 s24, s13
	s_add_co_i32 s26, s37, s4
	s_mov_b32 s37, s27
	s_branch .LBB5_12
.LBB5_10:                               ;   in Loop: Header=BB5_12 Depth=1
	s_or_b32 exec_lo, exec_lo, s38
.LBB5_11:                               ;   in Loop: Header=BB5_12 Depth=1
	s_delay_alu instid0(SALU_CYCLE_1) | instskip(SKIP_4) | instid1(VALU_DEP_4)
	s_or_b32 exec_lo, exec_lo, s5
	v_add_nc_u32_e32 v18, 4, v18
	v_add_nc_u64_e32 v[6:7], 16, v[6:7]
	v_add_nc_u32_e32 v2, 32, v2
	v_add_nc_u32_e32 v14, 0x80, v14
	v_cmp_le_i32_e64 s4, s35, v18
	s_or_b32 s37, s4, s37
	s_delay_alu instid0(SALU_CYCLE_1)
	s_and_not1_b32 exec_lo, exec_lo, s37
	s_cbranch_execz .LBB5_19
.LBB5_12:                               ; =>This Inner Loop Header: Depth=1
	s_wait_dscnt 0x0
	v_mul_u64_e32 v[20:21], s[16:17], v[2:3]
	s_delay_alu instid0(VALU_DEP_1) | instskip(NEXT) | instid1(VALU_DEP_1)
	v_mul_lo_u32 v19, v21, s12
	v_dual_add_nc_u32 v20, 1, v21 :: v_dual_sub_nc_u32 v19, v2, v19
	s_delay_alu instid0(VALU_DEP_1) | instskip(SKIP_1) | instid1(VALU_DEP_1)
	v_subrev_nc_u32_e32 v22, s12, v19
	v_cmp_le_u32_e64 s4, s12, v19
	v_dual_cndmask_b32 v20, v21, v20, s4 :: v_dual_cndmask_b32 v19, v19, v22, s4
	s_delay_alu instid0(VALU_DEP_1) | instskip(NEXT) | instid1(VALU_DEP_2)
	v_add_nc_u32_e32 v21, 1, v20
	v_cmp_le_u32_e64 s4, s12, v19
	s_delay_alu instid0(VALU_DEP_1) | instskip(NEXT) | instid1(VALU_DEP_1)
	v_dual_cndmask_b32 v19, v20, v21, s4 :: v_dual_mov_b32 v21, v3
	v_xor_b32_e32 v19, s34, v19
	s_delay_alu instid0(VALU_DEP_1) | instskip(NEXT) | instid1(VALU_DEP_1)
	v_subrev_nc_u32_e32 v19, s34, v19
	v_add_nc_u32_e32 v24, s33, v19
	v_cmp_ge_i32_e64 s5, s22, v19
	s_delay_alu instid0(VALU_DEP_2) | instskip(NEXT) | instid1(VALU_DEP_1)
	v_sub_nc_u32_e32 v20, 0, v24
	v_max_i32_e32 v20, v24, v20
	s_delay_alu instid0(VALU_DEP_1) | instskip(SKIP_1) | instid1(VALU_DEP_2)
	v_mul_u64_e32 v[22:23], s[26:27], v[20:21]
	v_ashrrev_i32_e32 v22, 31, v24
	v_mul_lo_u32 v21, v23, s15
	s_delay_alu instid0(VALU_DEP_1) | instskip(NEXT) | instid1(VALU_DEP_1)
	v_sub_nc_u32_e32 v20, v20, v21
	v_subrev_nc_u32_e32 v21, s15, v20
	v_cmp_le_u32_e64 s4, s15, v20
	s_delay_alu instid0(VALU_DEP_1) | instskip(NEXT) | instid1(VALU_DEP_1)
	v_cndmask_b32_e64 v20, v20, v21, s4
	v_subrev_nc_u32_e32 v21, s15, v20
	v_cmp_le_u32_e64 s4, s15, v20
	s_delay_alu instid0(VALU_DEP_1) | instskip(NEXT) | instid1(VALU_DEP_1)
	v_cndmask_b32_e64 v20, v20, v21, s4
	v_xor_b32_e32 v20, v20, v22
	s_delay_alu instid0(VALU_DEP_1) | instskip(NEXT) | instid1(VALU_DEP_1)
	v_sub_nc_u32_e32 v20, v20, v22
	v_cmp_ne_u32_e64 s4, 0, v20
	s_and_b32 s4, s4, s5
	s_delay_alu instid0(SALU_CYCLE_1) | instskip(NEXT) | instid1(SALU_CYCLE_1)
	s_and_saveexec_b32 s5, s4
	s_xor_b32 s4, exec_lo, s5
	s_cbranch_execz .LBB5_16
; %bb.13:                               ;   in Loop: Header=BB5_12 Depth=1
	s_and_saveexec_b32 s5, s3
; %bb.14:                               ;   in Loop: Header=BB5_12 Depth=1
	ds_store_b32 v14, v15
; %bb.15:                               ;   in Loop: Header=BB5_12 Depth=1
	s_or_b32 exec_lo, exec_lo, s5
.LBB5_16:                               ;   in Loop: Header=BB5_12 Depth=1
	s_and_not1_saveexec_b32 s5, s4
	s_cbranch_execz .LBB5_11
; %bb.17:                               ;   in Loop: Header=BB5_12 Depth=1
	global_load_b32 v20, v[6:7], off
	v_cmp_gt_i32_e64 s4, 32, v16
	s_wait_loadcnt 0x0
	v_ashrrev_i32_e32 v21, 31, v20
	s_delay_alu instid0(VALU_DEP_1) | instskip(NEXT) | instid1(VALU_DEP_1)
	v_mul_u64_e32 v[20:21], s[24:25], v[20:21]
	v_lshl_add_u64 v[20:21], v[20:21], 2, v[4:5]
	s_clause 0x1d
	global_load_b32 v19, v[20:21], off offset:128
	global_load_b32 v28, v[20:21], off
	global_load_b32 v29, v[20:21], off offset:256
	global_load_b32 v30, v[20:21], off offset:384
	;; [unrolled: 1-line block ×28, first 2 shown]
	s_wait_xcnt 0x0
	ds_load_2addr_b64 v[20:23], v11 offset1:1
	ds_load_2addr_b64 v[24:27], v11 offset0:2 offset1:3
	s_wait_loadcnt_dscnt 0x1d01
	v_mul_f32_e32 v19, v21, v19
	s_wait_loadcnt 0x1c
	s_delay_alu instid0(VALU_DEP_1) | instskip(SKIP_1) | instid1(VALU_DEP_1)
	v_fmac_f32_e32 v19, v20, v28
	s_wait_loadcnt 0x1b
	v_fmac_f32_e32 v19, v22, v29
	s_wait_loadcnt 0x1a
	s_delay_alu instid0(VALU_DEP_1) | instskip(SKIP_4) | instid1(VALU_DEP_1)
	v_fmac_f32_e32 v19, v23, v30
	ds_load_2addr_b64 v[20:23], v11 offset0:4 offset1:5
	s_wait_loadcnt_dscnt 0x1901
	v_fmac_f32_e32 v19, v24, v31
	s_wait_loadcnt 0x18
	v_fmac_f32_e32 v19, v25, v32
	s_wait_loadcnt 0x17
	s_delay_alu instid0(VALU_DEP_1) | instskip(SKIP_1) | instid1(VALU_DEP_1)
	v_fmac_f32_e32 v19, v26, v33
	s_wait_loadcnt 0x16
	v_fmac_f32_e32 v19, v27, v34
	ds_load_2addr_b64 v[24:27], v11 offset0:6 offset1:7
	s_wait_loadcnt_dscnt 0x1501
	v_fmac_f32_e32 v19, v20, v35
	s_wait_loadcnt 0x14
	s_delay_alu instid0(VALU_DEP_1) | instskip(SKIP_1) | instid1(VALU_DEP_1)
	v_fmac_f32_e32 v19, v21, v36
	s_wait_loadcnt 0x13
	v_fmac_f32_e32 v19, v22, v37
	s_wait_loadcnt 0x12
	s_delay_alu instid0(VALU_DEP_1) | instskip(SKIP_4) | instid1(VALU_DEP_1)
	v_fmac_f32_e32 v19, v23, v39
	ds_load_2addr_b64 v[20:23], v11 offset0:8 offset1:9
	s_wait_loadcnt_dscnt 0x1101
	v_fmac_f32_e32 v19, v24, v40
	s_wait_loadcnt 0x10
	v_fmac_f32_e32 v19, v25, v41
	s_wait_loadcnt 0xf
	s_delay_alu instid0(VALU_DEP_1) | instskip(SKIP_1) | instid1(VALU_DEP_1)
	v_fmac_f32_e32 v19, v26, v42
	s_wait_loadcnt 0xe
	v_fmac_f32_e32 v19, v27, v43
	ds_load_2addr_b64 v[24:27], v11 offset0:10 offset1:11
	s_wait_loadcnt_dscnt 0xd01
	v_fmac_f32_e32 v19, v20, v44
	s_wait_loadcnt 0xc
	s_delay_alu instid0(VALU_DEP_1) | instskip(SKIP_1) | instid1(VALU_DEP_1)
	v_fmac_f32_e32 v19, v21, v45
	s_wait_loadcnt 0xb
	v_fmac_f32_e32 v19, v22, v46
	s_wait_loadcnt 0xa
	s_delay_alu instid0(VALU_DEP_1) | instskip(SKIP_4) | instid1(VALU_DEP_1)
	v_fmac_f32_e32 v19, v23, v47
	ds_load_2addr_b64 v[20:23], v11 offset0:12 offset1:13
	s_wait_loadcnt_dscnt 0x901
	v_fmac_f32_e32 v19, v24, v48
	s_wait_loadcnt 0x8
	v_fmac_f32_e32 v19, v25, v49
	ds_load_b64 v[24:25], v11 offset:112
	s_wait_loadcnt 0x7
	v_fmac_f32_e32 v19, v26, v50
	s_wait_loadcnt 0x6
	s_delay_alu instid0(VALU_DEP_1) | instskip(SKIP_1) | instid1(VALU_DEP_1)
	v_fmac_f32_e32 v19, v27, v51
	s_wait_loadcnt_dscnt 0x501
	v_fmac_f32_e32 v19, v20, v52
	v_cndmask_b32_e64 v20, v9, v16, s4
	v_cmp_gt_i32_e64 s4, 32, v17
	s_wait_loadcnt 0x4
	s_delay_alu instid0(VALU_DEP_2) | instskip(SKIP_1) | instid1(VALU_DEP_1)
	v_dual_fmac_f32 v19, v21, v53 :: v_dual_lshlrev_b32 v20, 2, v20
	s_wait_loadcnt 0x3
	v_dual_cndmask_b32 v21, v9, v17, s4 :: v_dual_fmac_f32 v19, v22, v54
	s_wait_loadcnt 0x2
	s_delay_alu instid0(VALU_DEP_1) | instskip(SKIP_1) | instid1(VALU_DEP_1)
	v_dual_lshlrev_b32 v21, 2, v21 :: v_dual_fmac_f32 v19, v23, v55
	s_wait_loadcnt_dscnt 0x100
	v_fmac_f32_e32 v19, v24, v56
	s_wait_loadcnt 0x0
	s_delay_alu instid0(VALU_DEP_1)
	v_fmac_f32_e32 v19, v25, v57
	ds_bpermute_b32 v20, v20, v19
	s_wait_dscnt 0x0
	v_add_f32_e32 v19, v19, v20
	ds_bpermute_b32 v20, v21, v19
	s_and_saveexec_b32 s38, s3
	s_cbranch_execz .LBB5_10
; %bb.18:                               ;   in Loop: Header=BB5_12 Depth=1
	s_wait_dscnt 0x0
	v_dual_add_nc_u32 v21, v13, v2 :: v_dual_add_f32 v19, v19, v20
	s_delay_alu instid0(VALU_DEP_1) | instskip(NEXT) | instid1(VALU_DEP_1)
	v_cvt_f32_i32_e32 v21, v21
	v_mul_f32_e32 v21, s36, v21
	s_delay_alu instid0(VALU_DEP_1) | instskip(NEXT) | instid1(VALU_DEP_1)
	v_dual_cndmask_b32 v20, 0, v21 :: v_dual_max_num_f32 v21, v12, v12
	v_dual_fmac_f32 v20, s23, v19 :: v_dual_add_nc_u32 v19, v10, v2
	s_delay_alu instid0(VALU_DEP_1) | instskip(NEXT) | instid1(VALU_DEP_2)
	v_max_num_f32_e32 v21, v21, v20
	v_cmp_gt_i32_e64 s4, s31, v19
	s_delay_alu instid0(VALU_DEP_1)
	v_dual_cndmask_b32 v19, 0, v20, s4 :: v_dual_cndmask_b32 v12, v12, v21, s4
	ds_store_b32 v14, v19
	s_branch .LBB5_10
.LBB5_19:
	s_or_b32 exec_lo, exec_lo, s37
.LBB5_20:
	s_delay_alu instid0(SALU_CYCLE_1)
	s_or_b32 exec_lo, exec_lo, s11
	v_dual_max_num_f32 v5, v12, v12 :: v_dual_bitop2_b32 v2, 16, v9 bitop3:0x14
	s_clause 0x1
	s_load_b64 s[4:5], s[0:1], 0x0
	s_load_b64 s[22:23], s[0:1], 0x18
	v_xor_b32_e32 v4, 8, v9
	v_cmp_gt_i32_e32 vcc_lo, 32, v2
	v_cndmask_b32_e32 v2, v9, v2, vcc_lo
	s_delay_alu instid0(VALU_DEP_3) | instskip(NEXT) | instid1(VALU_DEP_2)
	v_cmp_gt_i32_e32 vcc_lo, 32, v4
	v_dual_lshlrev_b32 v2, 2, v2 :: v_dual_cndmask_b32 v4, v9, v4, vcc_lo
	ds_bpermute_b32 v3, v2, v12
	s_wait_dscnt 0x0
	v_dual_max_num_f32 v6, v3, v3 :: v_dual_lshlrev_b32 v3, 2, v4
	s_delay_alu instid0(VALU_DEP_1) | instskip(SKIP_4) | instid1(VALU_DEP_1)
	v_dual_max_num_f32 v4, v5, v6 :: v_dual_bitop2_b32 v6, 4, v9 bitop3:0x14
	ds_bpermute_b32 v5, v3, v4
	v_cmp_gt_i32_e32 vcc_lo, 32, v6
	v_cndmask_b32_e32 v7, v9, v6, vcc_lo
	s_wait_dscnt 0x0
	v_dual_lshlrev_b32 v7, 2, v7 :: v_dual_max_num_f32 v5, v5, v5
	s_delay_alu instid0(VALU_DEP_1)
	v_dual_max_num_f32 v6, v4, v5 :: v_dual_bitop2_b32 v4, 31, v0 bitop3:0x40
	v_lshlrev_b32_e32 v5, 2, v1
	ds_bpermute_b32 v10, v7, v6
	v_cmp_eq_u32_e32 vcc_lo, 0, v4
	s_wait_xcnt 0x0
	s_and_saveexec_b32 s0, vcc_lo
	s_cbranch_execz .LBB5_22
; %bb.21:
	s_wait_dscnt 0x0
	v_max_num_f32_e32 v10, v10, v10
	v_max_num_f32_e32 v6, v6, v6
	s_delay_alu instid0(VALU_DEP_1)
	v_max_num_f32_e32 v6, v6, v10
	ds_store_b32 v5, v6 offset:480
.LBB5_22:
	s_or_b32 exec_lo, exec_lo, s0
	v_cmp_gt_u32_e64 s0, 4, v4
	v_dual_mov_b32 v11, 0xff7fffff :: v_dual_lshlrev_b32 v6, 2, v4
	s_wait_dscnt 0x0
	s_barrier_signal -1
	s_barrier_wait -1
	s_and_saveexec_b32 s1, s0
; %bb.23:
	ds_load_b32 v11, v6 offset:480
; %bb.24:
	s_or_b32 exec_lo, exec_lo, s1
	v_xor_b32_e32 v10, 2, v9
	v_xor_b32_e32 v13, 1, v9
	s_delay_alu instid0(VALU_DEP_2) | instskip(NEXT) | instid1(VALU_DEP_1)
	v_cmp_gt_i32_e64 s1, 32, v10
	v_cndmask_b32_e64 v10, v9, v10, s1
	s_delay_alu instid0(VALU_DEP_3) | instskip(NEXT) | instid1(VALU_DEP_1)
	v_cmp_gt_i32_e64 s1, 32, v13
	v_dual_lshlrev_b32 v10, 2, v10 :: v_dual_cndmask_b32 v9, v9, v13, s1
	s_lshl_b32 s1, s35, 3
	s_delay_alu instid0(SALU_CYCLE_1)
	s_min_i32 s11, s1, s31
	s_wait_dscnt 0x0
	ds_bpermute_b32 v12, v10, v11
	v_max_num_f32_e32 v11, v11, v11
	v_cmp_gt_i32_e64 s1, s11, v0
	s_wait_dscnt 0x0
	v_dual_max_num_f32 v12, v12, v12 :: v_dual_lshlrev_b32 v55, 2, v9
	s_delay_alu instid0(VALU_DEP_1) | instskip(SKIP_3) | instid1(VALU_DEP_1)
	v_max_num_f32_e32 v9, v11, v12
	ds_bpermute_b32 v11, v55, v9
	s_wait_dscnt 0x0
	v_max_num_f32_e32 v11, v11, v11
	v_dual_max_num_f32 v11, v9, v11 :: v_dual_mov_b32 v9, 0
	ds_bpermute_b32 v11, v9, v11
	s_and_saveexec_b32 s15, s1
	s_cbranch_execz .LBB5_28
; %bb.25:
	v_lshl_add_u32 v12, v0, 2, 0x200
	v_dual_mov_b32 v9, 0 :: v_dual_mov_b32 v13, v0
	s_mov_b32 s24, 0
.LBB5_26:                               ; =>This Inner Loop Header: Depth=1
	ds_load_b32 v14, v12
	v_add_nc_u32_e32 v13, 0x80, v13
	s_delay_alu instid0(VALU_DEP_1) | instskip(SKIP_3) | instid1(VALU_DEP_1)
	v_cmp_le_i32_e64 s3, s11, v13
	s_or_b32 s24, s3, s24
	s_wait_dscnt 0x0
	v_sub_f32_e32 v14, v14, v11
	v_mul_f32_e32 v14, 0x3fb8aa3b, v14
	s_delay_alu instid0(VALU_DEP_1)
	v_exp_f32_e32 v14, v14
	ds_store_b32 v12, v14
	v_nop
	v_dual_add_f32 v9, v9, v14 :: v_dual_add_nc_u32 v12, 0x200, v12
	s_and_not1_b32 exec_lo, exec_lo, s24
	s_cbranch_execnz .LBB5_26
; %bb.27:
	s_or_b32 exec_lo, exec_lo, s24
.LBB5_28:
	s_delay_alu instid0(SALU_CYCLE_1)
	s_or_b32 exec_lo, exec_lo, s15
	ds_bpermute_b32 v2, v2, v9
	s_wait_dscnt 0x0
	v_add_f32_e32 v2, v9, v2
	ds_bpermute_b32 v3, v3, v2
	s_wait_dscnt 0x0
	v_add_f32_e32 v2, v2, v3
	;; [unrolled: 3-line block ×5, first 2 shown]
	s_and_saveexec_b32 s3, vcc_lo
; %bb.29:
	ds_store_b32 v5, v2 offset:496
; %bb.30:
	s_or_b32 exec_lo, exec_lo, s3
	s_wait_dscnt 0x0
	s_barrier_signal -1
	s_barrier_wait -1
	s_and_saveexec_b32 s3, s0
; %bb.31:
	ds_load_b32 v2, v6 offset:496
; %bb.32:
	s_or_b32 exec_lo, exec_lo, s3
	s_wait_dscnt 0x0
	ds_bpermute_b32 v3, v10, v2
	s_wait_dscnt 0x0
	v_add_f32_e32 v2, v2, v3
	ds_bpermute_b32 v3, v55, v2
	s_wait_dscnt 0x0
	v_dual_add_f32 v2, v2, v3 :: v_dual_mov_b32 v3, 0
	ds_bpermute_b32 v2, v3, v2
	s_and_saveexec_b32 s0, s1
	s_cbranch_execz .LBB5_45
; %bb.33:
	s_wait_dscnt 0x0
	v_add_f32_e32 v2, 0x358637bd, v2
	s_mov_b32 s3, -1
	s_mov_b32 s1, exec_lo
	s_delay_alu instid0(VALU_DEP_1) | instskip(SKIP_1) | instid1(VALU_DEP_2)
	v_div_scale_f32 v3, null, v2, v2, 1.0
	v_div_scale_f32 v7, vcc_lo, 1.0, v2, 1.0
	v_rcp_f32_e32 v6, v3
	v_nop
	s_delay_alu instid0(TRANS32_DEP_1) | instskip(NEXT) | instid1(VALU_DEP_1)
	v_fma_f32 v5, -v3, v6, 1.0
	v_fmac_f32_e32 v6, v5, v6
	s_delay_alu instid0(VALU_DEP_1) | instskip(NEXT) | instid1(VALU_DEP_1)
	v_mul_f32_e32 v9, v7, v6
	v_fma_f32 v5, -v3, v9, v7
	s_delay_alu instid0(VALU_DEP_1) | instskip(SKIP_1) | instid1(VALU_DEP_2)
	v_fmac_f32_e32 v9, v5, v6
	v_xad_u32 v5, v0, -1, s11
	v_fma_f32 v3, -v3, v9, v7
	s_delay_alu instid0(VALU_DEP_1) | instskip(NEXT) | instid1(VALU_DEP_1)
	v_div_fmas_f32 v3, v3, v6, v9
	v_div_fixup_f32 v2, v3, v2, 1.0
	v_mov_b32_e32 v3, v0
	v_cmpx_lt_u32_e32 0x7f, v5
	s_cbranch_execz .LBB5_42
; %bb.34:
	s_delay_alu instid0(VALU_DEP_3) | instskip(NEXT) | instid1(VALU_DEP_1)
	v_dual_lshrrev_b32 v5, 7, v5 :: v_dual_mov_b32 v3, v2
	v_dual_mov_b32 v10, 0 :: v_dual_add_nc_u32 v6, -1, v5
	s_delay_alu instid0(VALU_DEP_1) | instskip(SKIP_1) | instid1(VALU_DEP_2)
	v_lshrrev_b32_e32 v7, 1, v6
	v_cmp_lt_u32_e32 vcc_lo, 13, v6
	v_add_nc_u32_e32 v6, 1, v7
	s_and_saveexec_b32 s3, vcc_lo
	s_cbranch_execz .LBB5_38
; %bb.35:
	s_delay_alu instid0(VALU_DEP_1)
	v_and_b32_e32 v7, -8, v6
	v_lshl_add_u32 v9, v0, 2, 0x200
	s_mov_b32 s15, 0
	s_mov_b32 s24, 0
.LBB5_36:                               ; =>This Inner Loop Header: Depth=1
	ds_load_2addr_stride64_b32 v[10:11], v9 offset1:2
	ds_load_2addr_stride64_b32 v[12:13], v9 offset0:4 offset1:6
	ds_load_2addr_stride64_b32 v[14:15], v9 offset0:8 offset1:10
	;; [unrolled: 1-line block ×7, first 2 shown]
	s_add_co_i32 s24, s24, 16
	v_add_nc_u32_e32 v7, -8, v7
	s_wait_dscnt 0x7
	v_pk_mul_f32 v[10:11], v[2:3], v[10:11]
	s_wait_dscnt 0x6
	v_pk_mul_f32 v[12:13], v[2:3], v[12:13]
	;; [unrolled: 2-line block ×8, first 2 shown]
	ds_store_2addr_stride64_b32 v9, v10, v11 offset1:2
	ds_store_2addr_stride64_b32 v9, v12, v13 offset0:4 offset1:6
	ds_store_2addr_stride64_b32 v9, v14, v15 offset0:8 offset1:10
	;; [unrolled: 1-line block ×7, first 2 shown]
	v_mov_b32_e32 v10, s24
	v_cmp_eq_u32_e32 vcc_lo, 0, v7
	v_add_nc_u32_e32 v9, 0x2000, v9
	s_or_b32 s15, vcc_lo, s15
	s_delay_alu instid0(SALU_CYCLE_1)
	s_and_not1_b32 exec_lo, exec_lo, s15
	s_cbranch_execnz .LBB5_36
; %bb.37:
	s_or_b32 exec_lo, exec_lo, s15
.LBB5_38:
	s_delay_alu instid0(SALU_CYCLE_1) | instskip(NEXT) | instid1(VALU_DEP_1)
	s_or_b32 exec_lo, exec_lo, s3
	v_and_b32_e32 v6, 7, v6
	s_mov_b32 s15, 0
	s_mov_b32 s3, exec_lo
	s_delay_alu instid0(VALU_DEP_1)
	v_cmpx_ne_u32_e32 0, v6
	s_cbranch_execz .LBB5_41
; %bb.39:
	v_dual_lshlrev_b32 v7, 9, v10 :: v_dual_lshlrev_b32 v9, 2, v0
	s_delay_alu instid0(VALU_DEP_1)
	v_add3_u32 v7, v7, v9, 0x200
.LBB5_40:                               ; =>This Inner Loop Header: Depth=1
	ds_load_2addr_stride64_b32 v[10:11], v7 offset1:2
	v_add_nc_u32_e32 v6, -1, v6
	s_delay_alu instid0(VALU_DEP_1)
	v_cmp_eq_u32_e32 vcc_lo, 0, v6
	s_or_b32 s15, vcc_lo, s15
	s_wait_dscnt 0x0
	v_pk_mul_f32 v[10:11], v[2:3], v[10:11]
	ds_store_2addr_stride64_b32 v7, v10, v11 offset1:2
	v_add_nc_u32_e32 v7, 0x400, v7
	s_and_not1_b32 exec_lo, exec_lo, s15
	s_cbranch_execnz .LBB5_40
.LBB5_41:
	s_or_b32 exec_lo, exec_lo, s3
	v_add_nc_u32_e32 v3, 1, v5
	s_delay_alu instid0(VALU_DEP_1) | instskip(NEXT) | instid1(VALU_DEP_1)
	v_and_b32_e32 v5, 0x3fffffe, v3
	v_cmp_ne_u32_e32 vcc_lo, v3, v5
	v_lshl_add_u32 v3, v5, 7, v0
	s_or_not1_b32 s3, vcc_lo, exec_lo
.LBB5_42:
	s_or_b32 exec_lo, exec_lo, s1
	s_delay_alu instid0(SALU_CYCLE_1)
	s_and_b32 exec_lo, exec_lo, s3
	s_cbranch_execz .LBB5_45
; %bb.43:
	v_lshl_add_u32 v5, v3, 2, 0x200
	s_mov_b32 s1, 0
.LBB5_44:                               ; =>This Inner Loop Header: Depth=1
	ds_load_b32 v6, v5
	s_wait_dscnt 0x0
	v_dual_mul_f32 v6, v2, v6 :: v_dual_add_nc_u32 v3, 0x80, v3
	s_delay_alu instid0(VALU_DEP_1) | instskip(SKIP_3) | instid1(SALU_CYCLE_1)
	v_cmp_le_i32_e32 vcc_lo, s11, v3
	ds_store_b32 v5, v6
	v_add_nc_u32_e32 v5, 0x200, v5
	s_or_b32 s1, vcc_lo, s1
	s_and_not1_b32 exec_lo, exec_lo, s1
	s_cbranch_execnz .LBB5_44
.LBB5_45:
	s_or_b32 exec_lo, exec_lo, s0
	v_lshrrev_b32_e32 v54, 1, v4
	s_wait_dscnt 0x0
	s_barrier_signal -1
	s_barrier_wait -1
	s_and_saveexec_b32 s0, s2
	s_delay_alu instid0(SALU_CYCLE_1)
	s_xor_b32 s0, exec_lo, s0
; %bb.46:
	v_lshrrev_b32_e32 v54, 1, v4
                                        ; implicit-def: $vgpr38
                                        ; implicit-def: $vgpr8
; %bb.47:
	s_or_saveexec_b32 s24, s0
	v_dual_mov_b32 v41, 0 :: v_dual_bitop2_b32 v56, 1, v0 bitop3:0x40
	v_dual_mov_b32 v40, 0 :: v_dual_mov_b32 v43, 0
	v_dual_mov_b32 v42, 0 :: v_dual_mov_b32 v45, 0
	;; [unrolled: 1-line block ×3, first 2 shown]
	v_mov_b32_e32 v46, 0
	s_xor_b32 exec_lo, exec_lo, s24
	s_cbranch_execz .LBB5_71
; %bb.48:
	s_abs_i32 s25, s10
	s_sub_co_i32 s26, s8, s9
	s_cvt_f32_u32 s0, s25
	v_dual_mov_b32 v39, 0 :: v_dual_lshlrev_b32 v2, 2, v0
	s_ashr_i32 s15, s14, 31
	s_delay_alu instid0(SALU_CYCLE_1) | instskip(NEXT) | instid1(VALU_DEP_1)
	v_rcp_iflag_f32_e32 v3, s0
	v_dual_lshlrev_b32 v5, 4, v56 :: v_dual_bitop2_b32 v57, 4, v2 bitop3:0x40
	s_lshl_b64 s[0:1], s[14:15], 2
	v_or_b32_e32 v4, 0x70, v54
	s_wait_kmcnt 0x0
	s_add_nc_u64 s[10:11], s[22:23], s[0:1]
	v_and_b32_e32 v6, 0x7c, v8
	v_readfirstlane_b32 s8, v3
	v_lshl_or_b32 v3, v1, 5, v5
	v_mov_b32_e32 v7, v39
	v_cmp_gt_u32_e32 vcc_lo, 0x78, v4
	v_lshl_or_b32 v2, v54, 3, v57
	s_mul_f32 s0, s8, 0x4f7ffffe
	v_lshl_or_b32 v4, v4, 3, v57
	s_sub_co_i32 s14, 0, s25
	v_add_nc_u32_e32 v58, 0x200, v3
	s_cvt_u32_f32 s8, s0
	s_lshl_b64 s[0:1], s[18:19], 2
	v_dual_lshlrev_b32 v50, 2, v2 :: v_dual_lshlrev_b32 v52, 2, v4
	s_add_nc_u64 s[0:1], s[20:21], s[0:1]
	s_mul_i32 s14, s14, s8
	v_add_nc_u64_e32 v[48:49], s[0:1], v[6:7]
	v_dual_mov_b32 v59, v1 :: v_dual_mov_b32 v46, v39
	v_dual_mov_b32 v47, v39 :: v_dual_mov_b32 v44, v39
	;; [unrolled: 1-line block ×4, first 2 shown]
	v_mov_b32_e32 v41, v39
	s_mov_b32 s9, 0
	s_mul_hi_u32 s15, s8, s14
	s_ashr_i32 s3, s13, 31
	s_mov_b32 s2, s13
	s_add_co_i32 s13, s35, -1
	s_mov_b32 s14, s31
	s_add_co_i32 s8, s8, s15
	s_mov_b32 s15, s9
	s_branch .LBB5_52
.LBB5_49:                               ;   in Loop: Header=BB5_52 Depth=1
	s_or_b32 exec_lo, exec_lo, s19
	s_wait_loadcnt_dscnt 0x0
	v_pk_mul_f32 v[34:35], v[6:7], v[34:35]
	v_pk_mul_f32 v[36:37], v[8:9], v[36:37]
	s_delay_alu instid0(VALU_DEP_2) | instskip(NEXT) | instid1(VALU_DEP_1)
	v_add_f32_e32 v34, v35, v34
	v_add_f32_e32 v34, v36, v34
	s_delay_alu instid0(VALU_DEP_1) | instskip(NEXT) | instid1(VALU_DEP_1)
	v_add_f32_e32 v34, v37, v34
	v_add_f32_e32 v41, v41, v34
.LBB5_50:                               ;   in Loop: Header=BB5_52 Depth=1
	s_or_b32 exec_lo, exec_lo, s1
	s_wait_loadcnt_dscnt 0x100
	v_mul_f32_e32 v26, v6, v26
	s_wait_loadcnt 0x0
	s_delay_alu instid0(VALU_DEP_1) | instskip(NEXT) | instid1(VALU_DEP_1)
	v_dual_mul_f32 v30, v6, v30 :: v_dual_fmac_f32 v26, v7, v27
	v_dual_fmac_f32 v30, v7, v31 :: v_dual_mul_f32 v22, v6, v22
	s_delay_alu instid0(VALU_DEP_2) | instskip(NEXT) | instid1(VALU_DEP_2)
	v_dual_mul_f32 v18, v6, v18 :: v_dual_fmac_f32 v26, v8, v28
	v_dual_fmac_f32 v30, v8, v32 :: v_dual_mul_f32 v14, v6, v14
	s_delay_alu instid0(VALU_DEP_3) | instskip(NEXT) | instid1(VALU_DEP_3)
	v_dual_fmac_f32 v22, v7, v23 :: v_dual_mul_f32 v2, v6, v2
	v_dual_mul_f32 v10, v6, v10 :: v_dual_fmac_f32 v18, v7, v19
	s_delay_alu instid0(VALU_DEP_3) | instskip(NEXT) | instid1(VALU_DEP_3)
	v_fmac_f32_e32 v14, v7, v15
	v_fmac_f32_e32 v22, v8, v24
	;; [unrolled: 1-line block ×5, first 2 shown]
	s_delay_alu instid0(VALU_DEP_3) | instskip(NEXT) | instid1(VALU_DEP_2)
	v_dual_fmac_f32 v14, v8, v16 :: v_dual_add_f32 v43, v43, v26
	v_dual_add_f32 v40, v40, v30 :: v_dual_fmac_f32 v18, v9, v21
	s_delay_alu instid0(VALU_DEP_2) | instskip(SKIP_2) | instid1(VALU_DEP_4)
	v_fmac_f32_e32 v14, v9, v17
	v_fmac_f32_e32 v2, v7, v3
	v_fmac_f32_e32 v22, v9, v25
	v_add_f32_e32 v45, v45, v18
	s_delay_alu instid0(VALU_DEP_4) | instskip(NEXT) | instid1(VALU_DEP_3)
	v_dual_add_f32 v44, v44, v14 :: v_dual_fmac_f32 v10, v7, v11
	v_dual_add_f32 v42, v42, v22 :: v_dual_fmac_f32 v2, v8, v4
	s_delay_alu instid0(VALU_DEP_2) | instskip(NEXT) | instid1(VALU_DEP_2)
	v_fmac_f32_e32 v10, v8, v12
	v_fmac_f32_e32 v2, v9, v5
	s_delay_alu instid0(VALU_DEP_1) | instskip(NEXT) | instid1(VALU_DEP_1)
	v_dual_fmac_f32 v10, v9, v13 :: v_dual_add_f32 v46, v46, v2
	v_add_f32_e32 v47, v47, v10
.LBB5_51:                               ;   in Loop: Header=BB5_52 Depth=1
	s_or_b32 exec_lo, exec_lo, s18
	v_dual_add_nc_u32 v59, 4, v59 :: v_dual_add_nc_u32 v38, 32, v38
	v_add_nc_u64_e32 v[48:49], 16, v[48:49]
	v_add_nc_u32_e32 v58, 0x80, v58
	s_delay_alu instid0(VALU_DEP_3) | instskip(SKIP_1) | instid1(SALU_CYCLE_1)
	v_cmp_le_i32_e64 s0, s35, v59
	s_or_b32 s15, s0, s15
	s_and_not1_b32 exec_lo, exec_lo, s15
	s_cbranch_execz .LBB5_70
.LBB5_52:                               ; =>This Inner Loop Header: Depth=1
	v_mul_u64_e32 v[2:3], s[16:17], v[38:39]
	s_delay_alu instid0(VALU_DEP_1) | instskip(NEXT) | instid1(VALU_DEP_1)
	v_mul_lo_u32 v2, v3, s12
	v_dual_add_nc_u32 v4, 1, v3 :: v_dual_sub_nc_u32 v2, v38, v2
	s_delay_alu instid0(VALU_DEP_1) | instskip(SKIP_1) | instid1(VALU_DEP_1)
	v_subrev_nc_u32_e32 v5, s12, v2
	v_cmp_le_u32_e64 s0, s12, v2
	v_dual_cndmask_b32 v3, v3, v4, s0 :: v_dual_cndmask_b32 v2, v2, v5, s0
	s_delay_alu instid0(VALU_DEP_1) | instskip(NEXT) | instid1(VALU_DEP_2)
	v_add_nc_u32_e32 v4, 1, v3
	v_cmp_le_u32_e64 s0, s12, v2
	s_delay_alu instid0(VALU_DEP_1) | instskip(NEXT) | instid1(VALU_DEP_1)
	v_cndmask_b32_e64 v2, v3, v4, s0
	v_dual_mov_b32 v3, v39 :: v_dual_bitop2_b32 v2, s34, v2 bitop3:0x14
	s_delay_alu instid0(VALU_DEP_1) | instskip(NEXT) | instid1(VALU_DEP_1)
	v_subrev_nc_u32_e32 v6, s34, v2
	v_add_nc_u32_e32 v7, s33, v6
	v_cmp_lt_i32_e64 s1, s26, v6
	s_delay_alu instid0(VALU_DEP_2) | instskip(NEXT) | instid1(VALU_DEP_1)
	v_sub_nc_u32_e32 v2, 0, v7
	v_max_i32_e32 v2, v7, v2
	s_delay_alu instid0(VALU_DEP_1) | instskip(SKIP_1) | instid1(VALU_DEP_2)
	v_mul_u64_e32 v[4:5], s[8:9], v[2:3]
	v_ashrrev_i32_e32 v4, 31, v7
	v_mul_lo_u32 v3, v5, s25
	s_delay_alu instid0(VALU_DEP_1) | instskip(NEXT) | instid1(VALU_DEP_1)
	v_sub_nc_u32_e32 v2, v2, v3
	v_subrev_nc_u32_e32 v3, s25, v2
	v_cmp_le_u32_e64 s0, s25, v2
	s_delay_alu instid0(VALU_DEP_1) | instskip(NEXT) | instid1(VALU_DEP_1)
	v_cndmask_b32_e64 v2, v2, v3, s0
	v_subrev_nc_u32_e32 v3, s25, v2
	v_cmp_le_u32_e64 s0, s25, v2
	s_delay_alu instid0(VALU_DEP_1) | instskip(NEXT) | instid1(VALU_DEP_1)
	v_cndmask_b32_e64 v2, v2, v3, s0
	v_xor_b32_e32 v2, v2, v4
	s_delay_alu instid0(VALU_DEP_1) | instskip(NEXT) | instid1(VALU_DEP_1)
	v_sub_nc_u32_e32 v2, v2, v4
	v_cmp_eq_u32_e64 s0, 0, v2
	s_or_b32 s0, s0, s1
	s_delay_alu instid0(SALU_CYCLE_1)
	s_and_saveexec_b32 s18, s0
	s_cbranch_execz .LBB5_51
; %bb.53:                               ;   in Loop: Header=BB5_52 Depth=1
	global_load_b32 v2, v[48:49], off
	ds_load_b128 v[6:9], v58
	v_cmp_eq_u32_e64 s0, s13, v59
	s_wait_loadcnt 0x0
	v_dual_mov_b32 v51, v39 :: v_dual_ashrrev_i32 v3, 31, v2
	s_delay_alu instid0(VALU_DEP_1) | instskip(NEXT) | instid1(VALU_DEP_1)
	v_mul_u64_e32 v[2:3], s[2:3], v[2:3]
	v_lshl_add_u64 v[34:35], v[2:3], 2, s[10:11]
	s_delay_alu instid0(VALU_DEP_1)
	v_add_nc_u64_e32 v[30:31], v[34:35], v[50:51]
	v_add_nc_u32_e32 v51, v57, v38
	global_load_b128 v[2:5], v[30:31], off
	s_wait_xcnt 0x0
	s_and_saveexec_b32 s19, s0
	s_cbranch_execnz .LBB5_61
; %bb.54:                               ;   in Loop: Header=BB5_52 Depth=1
	s_or_b32 exec_lo, exec_lo, s19
	global_load_b128 v[10:13], v[30:31], off offset:512
	s_wait_xcnt 0x0
	s_and_saveexec_b32 s19, s0
	s_cbranch_execnz .LBB5_62
.LBB5_55:                               ;   in Loop: Header=BB5_52 Depth=1
	s_or_b32 exec_lo, exec_lo, s19
	global_load_b128 v[14:17], v[30:31], off offset:1024
	s_wait_xcnt 0x0
	s_and_saveexec_b32 s19, s0
	s_cbranch_execnz .LBB5_63
.LBB5_56:                               ;   in Loop: Header=BB5_52 Depth=1
	s_or_b32 exec_lo, exec_lo, s19
	global_load_b128 v[18:21], v[30:31], off offset:1536
	s_wait_xcnt 0x0
	s_and_saveexec_b32 s19, s0
	s_cbranch_execnz .LBB5_64
.LBB5_57:                               ;   in Loop: Header=BB5_52 Depth=1
	s_or_b32 exec_lo, exec_lo, s19
	global_load_b128 v[22:25], v[30:31], off offset:2048
	s_wait_xcnt 0x0
	s_and_saveexec_b32 s19, s0
	s_cbranch_execnz .LBB5_65
.LBB5_58:                               ;   in Loop: Header=BB5_52 Depth=1
	s_or_b32 exec_lo, exec_lo, s19
	global_load_b128 v[26:29], v[30:31], off offset:2560
	s_wait_xcnt 0x0
	s_and_saveexec_b32 s19, s0
	s_cbranch_execnz .LBB5_66
.LBB5_59:                               ;   in Loop: Header=BB5_52 Depth=1
	s_or_b32 exec_lo, exec_lo, s19
	global_load_b128 v[30:33], v[30:31], off offset:3072
	s_wait_xcnt 0x0
	s_and_saveexec_b32 s19, s0
	s_cbranch_execnz .LBB5_67
.LBB5_60:                               ;   in Loop: Header=BB5_52 Depth=1
	s_or_b32 exec_lo, exec_lo, s19
	s_and_saveexec_b32 s1, vcc_lo
	s_cbranch_execz .LBB5_50
	s_branch .LBB5_68
.LBB5_61:                               ;   in Loop: Header=BB5_52 Depth=1
	v_dual_add_nc_u32 v10, 1, v51 :: v_dual_bitop2_b32 v11, 3, v51 bitop3:0x54
	s_delay_alu instid0(VALU_DEP_1) | instskip(SKIP_1) | instid1(VALU_DEP_1)
	v_cmp_gt_i32_e64 s1, s14, v10
	s_wait_loadcnt 0x0
	v_cndmask_b32_e64 v3, 0, v3, s1
	v_cmp_gt_i32_e64 s1, s31, v51
	s_delay_alu instid0(VALU_DEP_1) | instskip(SKIP_1) | instid1(VALU_DEP_1)
	v_dual_cndmask_b32 v2, 0, v2, s1 :: v_dual_bitop2_b32 v12, 2, v51 bitop3:0x54
	v_cmp_gt_i32_e64 s1, s14, v11
	v_cndmask_b32_e64 v5, 0, v5, s1
	s_delay_alu instid0(VALU_DEP_3) | instskip(NEXT) | instid1(VALU_DEP_1)
	v_cmp_gt_i32_e64 s1, s31, v12
	v_cndmask_b32_e64 v4, 0, v4, s1
	s_or_b32 exec_lo, exec_lo, s19
	global_load_b128 v[10:13], v[30:31], off offset:512
	s_wait_xcnt 0x0
	s_and_saveexec_b32 s19, s0
	s_cbranch_execz .LBB5_55
.LBB5_62:                               ;   in Loop: Header=BB5_52 Depth=1
	v_dual_add_nc_u32 v14, 1, v51 :: v_dual_bitop2_b32 v15, 3, v51 bitop3:0x54
	s_delay_alu instid0(VALU_DEP_1) | instskip(SKIP_1) | instid1(VALU_DEP_1)
	v_cmp_gt_i32_e64 s1, s14, v14
	s_wait_loadcnt 0x0
	v_cndmask_b32_e64 v11, 0, v11, s1
	v_cmp_gt_i32_e64 s1, s31, v51
	s_delay_alu instid0(VALU_DEP_1) | instskip(SKIP_1) | instid1(VALU_DEP_1)
	v_dual_cndmask_b32 v10, 0, v10, s1 :: v_dual_bitop2_b32 v16, 2, v51 bitop3:0x54
	v_cmp_gt_i32_e64 s1, s14, v15
	v_cndmask_b32_e64 v13, 0, v13, s1
	s_delay_alu instid0(VALU_DEP_3) | instskip(NEXT) | instid1(VALU_DEP_1)
	v_cmp_gt_i32_e64 s1, s31, v16
	v_cndmask_b32_e64 v12, 0, v12, s1
	s_or_b32 exec_lo, exec_lo, s19
	global_load_b128 v[14:17], v[30:31], off offset:1024
	s_wait_xcnt 0x0
	s_and_saveexec_b32 s19, s0
	s_cbranch_execz .LBB5_56
.LBB5_63:                               ;   in Loop: Header=BB5_52 Depth=1
	v_dual_add_nc_u32 v18, 1, v51 :: v_dual_bitop2_b32 v19, 3, v51 bitop3:0x54
	s_delay_alu instid0(VALU_DEP_1) | instskip(SKIP_1) | instid1(VALU_DEP_1)
	v_cmp_gt_i32_e64 s1, s14, v18
	s_wait_loadcnt 0x0
	v_cndmask_b32_e64 v15, 0, v15, s1
	v_cmp_gt_i32_e64 s1, s31, v51
	s_delay_alu instid0(VALU_DEP_1) | instskip(SKIP_1) | instid1(VALU_DEP_1)
	v_dual_cndmask_b32 v14, 0, v14, s1 :: v_dual_bitop2_b32 v20, 2, v51 bitop3:0x54
	v_cmp_gt_i32_e64 s1, s14, v19
	v_cndmask_b32_e64 v17, 0, v17, s1
	s_delay_alu instid0(VALU_DEP_3) | instskip(NEXT) | instid1(VALU_DEP_1)
	v_cmp_gt_i32_e64 s1, s31, v20
	v_cndmask_b32_e64 v16, 0, v16, s1
	s_or_b32 exec_lo, exec_lo, s19
	global_load_b128 v[18:21], v[30:31], off offset:1536
	s_wait_xcnt 0x0
	s_and_saveexec_b32 s19, s0
	s_cbranch_execz .LBB5_57
.LBB5_64:                               ;   in Loop: Header=BB5_52 Depth=1
	v_dual_add_nc_u32 v22, 1, v51 :: v_dual_bitop2_b32 v23, 3, v51 bitop3:0x54
	s_delay_alu instid0(VALU_DEP_1) | instskip(SKIP_1) | instid1(VALU_DEP_1)
	v_cmp_gt_i32_e64 s1, s14, v22
	s_wait_loadcnt 0x0
	v_cndmask_b32_e64 v19, 0, v19, s1
	v_cmp_gt_i32_e64 s1, s31, v51
	s_delay_alu instid0(VALU_DEP_1) | instskip(SKIP_1) | instid1(VALU_DEP_1)
	v_dual_cndmask_b32 v18, 0, v18, s1 :: v_dual_bitop2_b32 v24, 2, v51 bitop3:0x54
	v_cmp_gt_i32_e64 s1, s14, v23
	v_cndmask_b32_e64 v21, 0, v21, s1
	s_delay_alu instid0(VALU_DEP_3) | instskip(NEXT) | instid1(VALU_DEP_1)
	v_cmp_gt_i32_e64 s1, s31, v24
	v_cndmask_b32_e64 v20, 0, v20, s1
	s_or_b32 exec_lo, exec_lo, s19
	global_load_b128 v[22:25], v[30:31], off offset:2048
	s_wait_xcnt 0x0
	s_and_saveexec_b32 s19, s0
	s_cbranch_execz .LBB5_58
.LBB5_65:                               ;   in Loop: Header=BB5_52 Depth=1
	v_dual_add_nc_u32 v26, 1, v51 :: v_dual_bitop2_b32 v27, 3, v51 bitop3:0x54
	s_delay_alu instid0(VALU_DEP_1) | instskip(SKIP_1) | instid1(VALU_DEP_1)
	v_cmp_gt_i32_e64 s1, s14, v26
	s_wait_loadcnt 0x0
	v_cndmask_b32_e64 v23, 0, v23, s1
	v_cmp_gt_i32_e64 s1, s31, v51
	s_delay_alu instid0(VALU_DEP_1) | instskip(SKIP_1) | instid1(VALU_DEP_1)
	v_dual_cndmask_b32 v22, 0, v22, s1 :: v_dual_bitop2_b32 v28, 2, v51 bitop3:0x54
	v_cmp_gt_i32_e64 s1, s14, v27
	v_cndmask_b32_e64 v25, 0, v25, s1
	s_delay_alu instid0(VALU_DEP_3) | instskip(NEXT) | instid1(VALU_DEP_1)
	v_cmp_gt_i32_e64 s1, s31, v28
	v_cndmask_b32_e64 v24, 0, v24, s1
	s_or_b32 exec_lo, exec_lo, s19
	global_load_b128 v[26:29], v[30:31], off offset:2560
	s_wait_xcnt 0x0
	s_and_saveexec_b32 s19, s0
	s_cbranch_execz .LBB5_59
.LBB5_66:                               ;   in Loop: Header=BB5_52 Depth=1
	v_dual_add_nc_u32 v32, 1, v51 :: v_dual_bitop2_b32 v33, 3, v51 bitop3:0x54
	s_delay_alu instid0(VALU_DEP_1) | instskip(SKIP_1) | instid1(VALU_DEP_1)
	v_cmp_gt_i32_e64 s1, s14, v32
	s_wait_loadcnt 0x0
	v_cndmask_b32_e64 v27, 0, v27, s1
	v_cmp_gt_i32_e64 s1, s31, v51
	s_delay_alu instid0(VALU_DEP_1) | instskip(SKIP_1) | instid1(VALU_DEP_1)
	v_dual_cndmask_b32 v26, 0, v26, s1 :: v_dual_bitop2_b32 v36, 2, v51 bitop3:0x54
	v_cmp_gt_i32_e64 s1, s14, v33
	v_cndmask_b32_e64 v29, 0, v29, s1
	s_delay_alu instid0(VALU_DEP_3) | instskip(NEXT) | instid1(VALU_DEP_1)
	v_cmp_gt_i32_e64 s1, s31, v36
	v_cndmask_b32_e64 v28, 0, v28, s1
	s_or_b32 exec_lo, exec_lo, s19
	global_load_b128 v[30:33], v[30:31], off offset:3072
	s_wait_xcnt 0x0
	s_and_saveexec_b32 s19, s0
	s_cbranch_execz .LBB5_60
.LBB5_67:                               ;   in Loop: Header=BB5_52 Depth=1
	v_dual_add_nc_u32 v36, 1, v51 :: v_dual_bitop2_b32 v37, 3, v51 bitop3:0x54
	s_delay_alu instid0(VALU_DEP_1) | instskip(SKIP_1) | instid1(VALU_DEP_1)
	v_cmp_gt_i32_e64 s1, s14, v36
	s_wait_loadcnt 0x0
	v_cndmask_b32_e64 v31, 0, v31, s1
	v_cmp_gt_i32_e64 s1, s31, v51
	s_delay_alu instid0(VALU_DEP_1) | instskip(SKIP_1) | instid1(VALU_DEP_1)
	v_dual_cndmask_b32 v30, 0, v30, s1 :: v_dual_bitop2_b32 v53, 2, v51 bitop3:0x54
	v_cmp_gt_i32_e64 s1, s14, v37
	v_cndmask_b32_e64 v33, 0, v33, s1
	s_delay_alu instid0(VALU_DEP_3) | instskip(NEXT) | instid1(VALU_DEP_1)
	v_cmp_gt_i32_e64 s1, s31, v53
	v_cndmask_b32_e64 v32, 0, v32, s1
	s_or_b32 exec_lo, exec_lo, s19
	s_and_saveexec_b32 s1, vcc_lo
	s_cbranch_execz .LBB5_50
.LBB5_68:                               ;   in Loop: Header=BB5_52 Depth=1
	v_mov_b32_e32 v53, v39
	s_delay_alu instid0(VALU_DEP_1)
	v_add_nc_u64_e32 v[34:35], v[34:35], v[52:53]
	global_load_b128 v[34:37], v[34:35], off
	s_wait_xcnt 0x0
	s_and_saveexec_b32 s19, s0
	s_cbranch_execz .LBB5_49
; %bb.69:                               ;   in Loop: Header=BB5_52 Depth=1
	v_dual_add_nc_u32 v53, 1, v51 :: v_dual_bitop2_b32 v60, 3, v51 bitop3:0x54
	s_delay_alu instid0(VALU_DEP_1) | instskip(SKIP_1) | instid1(VALU_DEP_1)
	v_cmp_gt_i32_e64 s0, s14, v53
	s_wait_loadcnt 0x0
	v_cndmask_b32_e64 v35, 0, v35, s0
	v_cmp_gt_i32_e64 s0, s31, v51
	s_delay_alu instid0(VALU_DEP_1) | instskip(SKIP_1) | instid1(VALU_DEP_1)
	v_dual_cndmask_b32 v34, 0, v34, s0 :: v_dual_bitop2_b32 v61, 2, v51 bitop3:0x54
	v_cmp_gt_i32_e64 s0, s14, v60
	v_cndmask_b32_e64 v37, 0, v37, s0
	s_delay_alu instid0(VALU_DEP_3) | instskip(NEXT) | instid1(VALU_DEP_1)
	v_cmp_gt_i32_e64 s0, s31, v61
	v_cndmask_b32_e64 v36, 0, v36, s0
	s_branch .LBB5_49
.LBB5_70:
	s_or_b32 exec_lo, exec_lo, s15
.LBB5_71:
	s_delay_alu instid0(SALU_CYCLE_1)
	s_or_b32 exec_lo, exec_lo, s24
	ds_bpermute_b32 v2, v55, v46
	ds_bpermute_b32 v3, v55, v47
	;; [unrolled: 1-line block ×8, first 2 shown]
	s_movk_i32 s0, 0x1e0
	v_and_b32_e32 v14, 0x3c0, v0
	v_mad_u32_u24 v1, v1, s0, 0x200
	s_mov_b32 s1, exec_lo
	v_cmp_eq_u32_e32 vcc_lo, 0, v56
	s_wait_dscnt 0x0
	s_barrier_signal -1
	s_barrier_wait -1
	v_pk_add_f32 v[8:9], v[46:47], v[2:3]
	v_pk_add_f32 v[6:7], v[44:45], v[4:5]
	;; [unrolled: 1-line block ×4, first 2 shown]
	v_cmpx_eq_u32_e32 64, v14
	s_cbranch_execz .LBB5_76
; %bb.72:
	v_add_nc_u32_e32 v10, 0xfffffc40, v1
	s_and_saveexec_b32 s0, vcc_lo
	s_cbranch_execz .LBB5_74
; %bb.73:
	s_delay_alu instid0(VALU_DEP_1)
	v_lshl_add_u32 v11, v54, 2, v10
	ds_store_2addr_b32 v11, v8, v9 offset1:16
	ds_store_2addr_b32 v11, v6, v7 offset0:32 offset1:48
	ds_store_2addr_b32 v11, v4, v5 offset0:64 offset1:80
	ds_store_b32 v11, v2 offset:384
.LBB5_74:
	s_or_b32 exec_lo, exec_lo, s0
	v_or_b32_e32 v11, 0x70, v54
	s_delay_alu instid0(VALU_DEP_1) | instskip(SKIP_1) | instid1(SALU_CYCLE_1)
	v_cmp_gt_u32_e64 s0, 0x78, v11
	s_and_b32 s0, vcc_lo, s0
	s_and_b32 exec_lo, exec_lo, s0
; %bb.75:
	v_lshl_add_u32 v10, v11, 2, v10
	ds_store_b32 v10, v3
.LBB5_76:
	s_or_b32 exec_lo, exec_lo, s1
	s_delay_alu instid0(SALU_CYCLE_1)
	s_mov_b32 s1, exec_lo
	s_wait_dscnt 0x0
	s_barrier_signal -1
	s_barrier_wait -1
	v_cmpx_gt_u32_e32 64, v0
	s_cbranch_execz .LBB5_88
; %bb.77:
	s_and_saveexec_b32 s0, vcc_lo
	s_cbranch_execnz .LBB5_111
; %bb.78:
	s_or_b32 exec_lo, exec_lo, s0
	s_and_saveexec_b32 s0, vcc_lo
	s_cbranch_execnz .LBB5_112
.LBB5_79:
	s_or_b32 exec_lo, exec_lo, s0
	s_and_saveexec_b32 s0, vcc_lo
	s_cbranch_execnz .LBB5_113
.LBB5_80:
	s_or_b32 exec_lo, exec_lo, s0
	s_and_saveexec_b32 s0, vcc_lo
	s_cbranch_execnz .LBB5_114
.LBB5_81:
	s_or_b32 exec_lo, exec_lo, s0
	s_and_saveexec_b32 s0, vcc_lo
	s_cbranch_execnz .LBB5_115
.LBB5_82:
	s_or_b32 exec_lo, exec_lo, s0
	s_and_saveexec_b32 s0, vcc_lo
	s_cbranch_execnz .LBB5_116
.LBB5_83:
	s_or_b32 exec_lo, exec_lo, s0
	s_and_saveexec_b32 s0, vcc_lo
	s_cbranch_execz .LBB5_85
.LBB5_84:
	v_lshl_add_u32 v10, v54, 2, v1
	ds_load_b32 v10, v10 offset:384
	s_wait_dscnt 0x0
	v_add_f32_e32 v2, v2, v10
.LBB5_85:
	s_or_b32 exec_lo, exec_lo, s0
	v_or_b32_e32 v10, 0x70, v54
	s_delay_alu instid0(VALU_DEP_1) | instskip(SKIP_1) | instid1(SALU_CYCLE_1)
	v_cmp_gt_u32_e64 s0, 0x78, v10
	s_and_b32 s2, vcc_lo, s0
	s_and_saveexec_b32 s0, s2
	s_cbranch_execz .LBB5_87
; %bb.86:
	v_lshl_add_u32 v10, v54, 2, v1
	ds_load_b32 v10, v10 offset:448
	s_wait_dscnt 0x0
	v_add_f32_e32 v3, v3, v10
.LBB5_87:
	s_or_b32 exec_lo, exec_lo, s0
.LBB5_88:
	s_delay_alu instid0(SALU_CYCLE_1) | instskip(SKIP_4) | instid1(VALU_DEP_1)
	s_or_b32 exec_lo, exec_lo, s1
	v_and_b32_e32 v10, 0x3e0, v0
	s_mov_b32 s1, exec_lo
	s_barrier_signal -1
	s_barrier_wait -1
	v_cmpx_eq_u32_e32 32, v10
	s_cbranch_execz .LBB5_93
; %bb.89:
	v_lshl_add_u32 v10, v54, 2, 0x200
	s_and_saveexec_b32 s0, vcc_lo
	s_cbranch_execz .LBB5_91
; %bb.90:
	ds_store_2addr_b32 v10, v8, v9 offset1:16
	ds_store_2addr_b32 v10, v6, v7 offset0:32 offset1:48
	ds_store_2addr_b32 v10, v4, v5 offset0:64 offset1:80
	ds_store_b32 v10, v2 offset:384
.LBB5_91:
	s_or_b32 exec_lo, exec_lo, s0
	v_or_b32_e32 v11, 0x70, v54
	s_delay_alu instid0(VALU_DEP_1) | instskip(SKIP_1) | instid1(SALU_CYCLE_1)
	v_cmp_gt_u32_e64 s0, 0x78, v11
	s_and_b32 s0, vcc_lo, s0
	s_and_b32 exec_lo, exec_lo, s0
; %bb.92:
	ds_store_b32 v10, v3 offset:448
.LBB5_93:
	s_or_b32 exec_lo, exec_lo, s1
	v_cmp_gt_u32_e64 s0, 32, v0
	s_wait_dscnt 0x0
	s_barrier_signal -1
	s_barrier_wait -1
	s_and_saveexec_b32 s2, s0
	s_cbranch_execz .LBB5_105
; %bb.94:
	v_lshl_add_u32 v1, v54, 2, v1
	s_and_saveexec_b32 s1, vcc_lo
	s_cbranch_execnz .LBB5_117
; %bb.95:
	s_or_b32 exec_lo, exec_lo, s1
	s_and_saveexec_b32 s1, vcc_lo
	s_cbranch_execnz .LBB5_118
.LBB5_96:
	s_or_b32 exec_lo, exec_lo, s1
	s_and_saveexec_b32 s1, vcc_lo
	s_cbranch_execnz .LBB5_119
.LBB5_97:
	s_or_b32 exec_lo, exec_lo, s1
	s_and_saveexec_b32 s1, vcc_lo
	s_cbranch_execnz .LBB5_120
.LBB5_98:
	s_or_b32 exec_lo, exec_lo, s1
	s_and_saveexec_b32 s1, vcc_lo
	s_cbranch_execnz .LBB5_121
.LBB5_99:
	s_or_b32 exec_lo, exec_lo, s1
	s_and_saveexec_b32 s1, vcc_lo
	s_cbranch_execnz .LBB5_122
.LBB5_100:
	s_or_b32 exec_lo, exec_lo, s1
	s_and_saveexec_b32 s1, vcc_lo
	s_cbranch_execz .LBB5_102
.LBB5_101:
	ds_load_b32 v10, v1 offset:384
	s_wait_dscnt 0x0
	v_add_f32_e32 v2, v2, v10
.LBB5_102:
	s_or_b32 exec_lo, exec_lo, s1
	v_or_b32_e32 v10, 0x70, v54
	s_delay_alu instid0(VALU_DEP_1) | instskip(SKIP_1) | instid1(SALU_CYCLE_1)
	v_cmp_gt_u32_e64 s1, 0x78, v10
	s_and_b32 s3, vcc_lo, s1
	s_and_saveexec_b32 s1, s3
	s_cbranch_execz .LBB5_104
; %bb.103:
	ds_load_b32 v1, v1 offset:448
	s_wait_dscnt 0x0
	v_add_f32_e32 v3, v3, v1
.LBB5_104:
	s_or_b32 exec_lo, exec_lo, s1
.LBB5_105:
	s_delay_alu instid0(SALU_CYCLE_1)
	s_or_b32 exec_lo, exec_lo, s2
	s_barrier_signal -1
	s_barrier_wait -1
	s_and_saveexec_b32 s1, s0
	s_cbranch_execz .LBB5_110
; %bb.106:
	s_mul_i32 s1, s30, s7
	s_mul_i32 s0, s7, s6
	;; [unrolled: 1-line block ×3, first 2 shown]
	s_bfe_u32 s7, ttmp6, 0x40014
	s_mul_i32 s2, s1, 0x78
	s_lshr_b32 s6, ttmp7, 16
	s_ashr_i32 s3, s2, 31
	s_add_co_i32 s7, s7, 1
	s_lshl_b64 s[2:3], s[2:3], 2
	s_ashr_i32 s1, s0, 31
	s_wait_kmcnt 0x0
	s_add_nc_u64 s[2:3], s[4:5], s[2:3]
	s_mul_i32 s4, s6, s7
	s_bfe_u32 s5, ttmp6, 0x40008
	s_lshl_b64 s[0:1], s[0:1], 2
	s_add_co_i32 s5, s5, s4
	s_cmp_eq_u32 s28, 0
	s_add_nc_u64 s[0:1], s[2:3], s[0:1]
	s_cselect_b32 s2, s6, s5
	v_lshrrev_b32_e32 v0, 1, v0
	s_mov_b32 s3, 0
	s_mulk_i32 s2, 0x1e0
	s_delay_alu instid0(SALU_CYCLE_1)
	s_add_nc_u64 s[2:3], s[0:1], s[2:3]
	s_and_saveexec_b32 s0, vcc_lo
	s_cbranch_execz .LBB5_108
; %bb.107:
	s_clause 0x6
	global_store_b32 v0, v8, s[2:3] scale_offset
	global_store_b32 v0, v9, s[2:3] offset:64 scale_offset
	global_store_b32 v0, v6, s[2:3] offset:128 scale_offset
	;; [unrolled: 1-line block ×6, first 2 shown]
.LBB5_108:
	s_wait_xcnt 0x0
	s_or_b32 exec_lo, exec_lo, s0
	v_or_b32_e32 v1, 0x70, v0
	s_delay_alu instid0(VALU_DEP_1) | instskip(SKIP_1) | instid1(SALU_CYCLE_1)
	v_cmp_gt_u32_e64 s0, 0x78, v1
	s_and_b32 s0, vcc_lo, s0
	s_and_b32 exec_lo, exec_lo, s0
	s_cbranch_execz .LBB5_110
; %bb.109:
	global_store_b32 v0, v3, s[2:3] offset:448 scale_offset
.LBB5_110:
	s_endpgm
.LBB5_111:
	v_lshl_add_u32 v10, v54, 2, v1
	ds_load_b32 v10, v10
	s_wait_dscnt 0x0
	v_add_f32_e32 v8, v8, v10
	s_or_b32 exec_lo, exec_lo, s0
	s_and_saveexec_b32 s0, vcc_lo
	s_cbranch_execz .LBB5_79
.LBB5_112:
	v_lshl_add_u32 v10, v54, 2, v1
	ds_load_b32 v10, v10 offset:64
	s_wait_dscnt 0x0
	v_add_f32_e32 v9, v9, v10
	s_or_b32 exec_lo, exec_lo, s0
	s_and_saveexec_b32 s0, vcc_lo
	s_cbranch_execz .LBB5_80
.LBB5_113:
	v_lshl_add_u32 v10, v54, 2, v1
	ds_load_b32 v10, v10 offset:128
	s_wait_dscnt 0x0
	v_add_f32_e32 v6, v6, v10
	s_or_b32 exec_lo, exec_lo, s0
	s_and_saveexec_b32 s0, vcc_lo
	s_cbranch_execz .LBB5_81
.LBB5_114:
	v_lshl_add_u32 v10, v54, 2, v1
	ds_load_b32 v10, v10 offset:192
	s_wait_dscnt 0x0
	v_add_f32_e32 v7, v7, v10
	s_or_b32 exec_lo, exec_lo, s0
	s_and_saveexec_b32 s0, vcc_lo
	s_cbranch_execz .LBB5_82
.LBB5_115:
	v_lshl_add_u32 v10, v54, 2, v1
	ds_load_b32 v10, v10 offset:256
	s_wait_dscnt 0x0
	v_add_f32_e32 v4, v4, v10
	s_or_b32 exec_lo, exec_lo, s0
	s_and_saveexec_b32 s0, vcc_lo
	s_cbranch_execz .LBB5_83
.LBB5_116:
	v_lshl_add_u32 v10, v54, 2, v1
	ds_load_b32 v10, v10 offset:320
	s_wait_dscnt 0x0
	v_add_f32_e32 v5, v5, v10
	s_or_b32 exec_lo, exec_lo, s0
	s_and_saveexec_b32 s0, vcc_lo
	s_cbranch_execnz .LBB5_84
	s_branch .LBB5_85
.LBB5_117:
	ds_load_b32 v10, v1
	s_wait_dscnt 0x0
	v_add_f32_e32 v8, v8, v10
	s_or_b32 exec_lo, exec_lo, s1
	s_and_saveexec_b32 s1, vcc_lo
	s_cbranch_execz .LBB5_96
.LBB5_118:
	ds_load_b32 v10, v1 offset:64
	s_wait_dscnt 0x0
	v_add_f32_e32 v9, v9, v10
	s_or_b32 exec_lo, exec_lo, s1
	s_and_saveexec_b32 s1, vcc_lo
	s_cbranch_execz .LBB5_97
.LBB5_119:
	ds_load_b32 v10, v1 offset:128
	s_wait_dscnt 0x0
	v_add_f32_e32 v6, v6, v10
	s_or_b32 exec_lo, exec_lo, s1
	s_and_saveexec_b32 s1, vcc_lo
	s_cbranch_execz .LBB5_98
.LBB5_120:
	ds_load_b32 v10, v1 offset:192
	s_wait_dscnt 0x0
	v_add_f32_e32 v7, v7, v10
	s_or_b32 exec_lo, exec_lo, s1
	s_and_saveexec_b32 s1, vcc_lo
	s_cbranch_execz .LBB5_99
.LBB5_121:
	ds_load_b32 v10, v1 offset:256
	s_wait_dscnt 0x0
	v_add_f32_e32 v4, v4, v10
	s_or_b32 exec_lo, exec_lo, s1
	s_and_saveexec_b32 s1, vcc_lo
	s_cbranch_execz .LBB5_100
.LBB5_122:
	ds_load_b32 v10, v1 offset:320
	s_wait_dscnt 0x0
	v_add_f32_e32 v5, v5, v10
	s_or_b32 exec_lo, exec_lo, s1
	s_and_saveexec_b32 s1, vcc_lo
	s_cbranch_execnz .LBB5_101
	s_branch .LBB5_102
	.section	.rodata,"a",@progbits
	.p2align	6, 0x0
	.amdhsa_kernel _ZN4vllm25paged_attention_v1_kernelIffLi120ELi8ELi128ELNS_18Fp8KVCacheDataTypeE0ELb1EEEvPT_PKS2_PKT0_S8_ifPKiSA_iPKfiiiSC_SC_iiiii
		.amdhsa_group_segment_fixed_size 512
		.amdhsa_private_segment_fixed_size 0
		.amdhsa_kernarg_size 384
		.amdhsa_user_sgpr_count 2
		.amdhsa_user_sgpr_dispatch_ptr 0
		.amdhsa_user_sgpr_queue_ptr 0
		.amdhsa_user_sgpr_kernarg_segment_ptr 1
		.amdhsa_user_sgpr_dispatch_id 0
		.amdhsa_user_sgpr_kernarg_preload_length 0
		.amdhsa_user_sgpr_kernarg_preload_offset 0
		.amdhsa_user_sgpr_private_segment_size 0
		.amdhsa_wavefront_size32 1
		.amdhsa_uses_dynamic_stack 0
		.amdhsa_enable_private_segment 0
		.amdhsa_system_sgpr_workgroup_id_x 1
		.amdhsa_system_sgpr_workgroup_id_y 1
		.amdhsa_system_sgpr_workgroup_id_z 1
		.amdhsa_system_sgpr_workgroup_info 0
		.amdhsa_system_vgpr_workitem_id 0
		.amdhsa_next_free_vgpr 62
		.amdhsa_next_free_sgpr 40
		.amdhsa_named_barrier_count 0
		.amdhsa_reserve_vcc 1
		.amdhsa_float_round_mode_32 0
		.amdhsa_float_round_mode_16_64 0
		.amdhsa_float_denorm_mode_32 3
		.amdhsa_float_denorm_mode_16_64 3
		.amdhsa_fp16_overflow 0
		.amdhsa_memory_ordered 1
		.amdhsa_forward_progress 1
		.amdhsa_inst_pref_size 59
		.amdhsa_round_robin_scheduling 0
		.amdhsa_exception_fp_ieee_invalid_op 0
		.amdhsa_exception_fp_denorm_src 0
		.amdhsa_exception_fp_ieee_div_zero 0
		.amdhsa_exception_fp_ieee_overflow 0
		.amdhsa_exception_fp_ieee_underflow 0
		.amdhsa_exception_fp_ieee_inexact 0
		.amdhsa_exception_int_div_zero 0
	.end_amdhsa_kernel
	.section	.text._ZN4vllm25paged_attention_v1_kernelIffLi120ELi8ELi128ELNS_18Fp8KVCacheDataTypeE0ELb1EEEvPT_PKS2_PKT0_S8_ifPKiSA_iPKfiiiSC_SC_iiiii,"axG",@progbits,_ZN4vllm25paged_attention_v1_kernelIffLi120ELi8ELi128ELNS_18Fp8KVCacheDataTypeE0ELb1EEEvPT_PKS2_PKT0_S8_ifPKiSA_iPKfiiiSC_SC_iiiii,comdat
.Lfunc_end5:
	.size	_ZN4vllm25paged_attention_v1_kernelIffLi120ELi8ELi128ELNS_18Fp8KVCacheDataTypeE0ELb1EEEvPT_PKS2_PKT0_S8_ifPKiSA_iPKfiiiSC_SC_iiiii, .Lfunc_end5-_ZN4vllm25paged_attention_v1_kernelIffLi120ELi8ELi128ELNS_18Fp8KVCacheDataTypeE0ELb1EEEvPT_PKS2_PKT0_S8_ifPKiSA_iPKfiiiSC_SC_iiiii
                                        ; -- End function
	.set _ZN4vllm25paged_attention_v1_kernelIffLi120ELi8ELi128ELNS_18Fp8KVCacheDataTypeE0ELb1EEEvPT_PKS2_PKT0_S8_ifPKiSA_iPKfiiiSC_SC_iiiii.num_vgpr, 62
	.set _ZN4vllm25paged_attention_v1_kernelIffLi120ELi8ELi128ELNS_18Fp8KVCacheDataTypeE0ELb1EEEvPT_PKS2_PKT0_S8_ifPKiSA_iPKfiiiSC_SC_iiiii.num_agpr, 0
	.set _ZN4vllm25paged_attention_v1_kernelIffLi120ELi8ELi128ELNS_18Fp8KVCacheDataTypeE0ELb1EEEvPT_PKS2_PKT0_S8_ifPKiSA_iPKfiiiSC_SC_iiiii.numbered_sgpr, 40
	.set _ZN4vllm25paged_attention_v1_kernelIffLi120ELi8ELi128ELNS_18Fp8KVCacheDataTypeE0ELb1EEEvPT_PKS2_PKT0_S8_ifPKiSA_iPKfiiiSC_SC_iiiii.num_named_barrier, 0
	.set _ZN4vllm25paged_attention_v1_kernelIffLi120ELi8ELi128ELNS_18Fp8KVCacheDataTypeE0ELb1EEEvPT_PKS2_PKT0_S8_ifPKiSA_iPKfiiiSC_SC_iiiii.private_seg_size, 0
	.set _ZN4vllm25paged_attention_v1_kernelIffLi120ELi8ELi128ELNS_18Fp8KVCacheDataTypeE0ELb1EEEvPT_PKS2_PKT0_S8_ifPKiSA_iPKfiiiSC_SC_iiiii.uses_vcc, 1
	.set _ZN4vllm25paged_attention_v1_kernelIffLi120ELi8ELi128ELNS_18Fp8KVCacheDataTypeE0ELb1EEEvPT_PKS2_PKT0_S8_ifPKiSA_iPKfiiiSC_SC_iiiii.uses_flat_scratch, 0
	.set _ZN4vllm25paged_attention_v1_kernelIffLi120ELi8ELi128ELNS_18Fp8KVCacheDataTypeE0ELb1EEEvPT_PKS2_PKT0_S8_ifPKiSA_iPKfiiiSC_SC_iiiii.has_dyn_sized_stack, 0
	.set _ZN4vllm25paged_attention_v1_kernelIffLi120ELi8ELi128ELNS_18Fp8KVCacheDataTypeE0ELb1EEEvPT_PKS2_PKT0_S8_ifPKiSA_iPKfiiiSC_SC_iiiii.has_recursion, 0
	.set _ZN4vllm25paged_attention_v1_kernelIffLi120ELi8ELi128ELNS_18Fp8KVCacheDataTypeE0ELb1EEEvPT_PKS2_PKT0_S8_ifPKiSA_iPKfiiiSC_SC_iiiii.has_indirect_call, 0
	.section	.AMDGPU.csdata,"",@progbits
; Kernel info:
; codeLenInByte = 7528
; TotalNumSgprs: 42
; NumVgprs: 62
; ScratchSize: 0
; MemoryBound: 0
; FloatMode: 240
; IeeeMode: 1
; LDSByteSize: 512 bytes/workgroup (compile time only)
; SGPRBlocks: 0
; VGPRBlocks: 3
; NumSGPRsForWavesPerEU: 42
; NumVGPRsForWavesPerEU: 62
; NamedBarCnt: 0
; Occupancy: 16
; WaveLimiterHint : 1
; COMPUTE_PGM_RSRC2:SCRATCH_EN: 0
; COMPUTE_PGM_RSRC2:USER_SGPR: 2
; COMPUTE_PGM_RSRC2:TRAP_HANDLER: 0
; COMPUTE_PGM_RSRC2:TGID_X_EN: 1
; COMPUTE_PGM_RSRC2:TGID_Y_EN: 1
; COMPUTE_PGM_RSRC2:TGID_Z_EN: 1
; COMPUTE_PGM_RSRC2:TIDIG_COMP_CNT: 0
	.section	.text._ZN4vllm25paged_attention_v1_kernelIffLi128ELi8ELi128ELNS_18Fp8KVCacheDataTypeE0ELb1EEEvPT_PKS2_PKT0_S8_ifPKiSA_iPKfiiiSC_SC_iiiii,"axG",@progbits,_ZN4vllm25paged_attention_v1_kernelIffLi128ELi8ELi128ELNS_18Fp8KVCacheDataTypeE0ELb1EEEvPT_PKS2_PKT0_S8_ifPKiSA_iPKfiiiSC_SC_iiiii,comdat
	.protected	_ZN4vllm25paged_attention_v1_kernelIffLi128ELi8ELi128ELNS_18Fp8KVCacheDataTypeE0ELb1EEEvPT_PKS2_PKT0_S8_ifPKiSA_iPKfiiiSC_SC_iiiii ; -- Begin function _ZN4vllm25paged_attention_v1_kernelIffLi128ELi8ELi128ELNS_18Fp8KVCacheDataTypeE0ELb1EEEvPT_PKS2_PKT0_S8_ifPKiSA_iPKfiiiSC_SC_iiiii
	.globl	_ZN4vllm25paged_attention_v1_kernelIffLi128ELi8ELi128ELNS_18Fp8KVCacheDataTypeE0ELb1EEEvPT_PKS2_PKT0_S8_ifPKiSA_iPKfiiiSC_SC_iiiii
	.p2align	8
	.type	_ZN4vllm25paged_attention_v1_kernelIffLi128ELi8ELi128ELNS_18Fp8KVCacheDataTypeE0ELb1EEEvPT_PKS2_PKT0_S8_ifPKiSA_iPKfiiiSC_SC_iiiii,@function
_ZN4vllm25paged_attention_v1_kernelIffLi128ELi8ELi128ELNS_18Fp8KVCacheDataTypeE0ELb1EEEvPT_PKS2_PKT0_S8_ifPKiSA_iPKfiiiSC_SC_iiiii: ; @_ZN4vllm25paged_attention_v1_kernelIffLi128ELi8ELi128ELNS_18Fp8KVCacheDataTypeE0ELb1EEEvPT_PKS2_PKT0_S8_ifPKiSA_iPKfiiiSC_SC_iiiii
; %bb.0:
	s_load_b64 s[22:23], s[0:1], 0x20
	s_bfe_u32 s3, ttmp6, 0x4000c
	s_bfe_u32 s4, ttmp6, 0x40010
	s_and_b32 s6, ttmp7, 0xffff
	s_add_co_i32 s3, s3, 1
	s_add_co_i32 s4, s4, 1
	s_and_b32 s2, ttmp6, 15
	s_bfe_u32 s5, ttmp6, 0x40004
	s_mul_i32 s3, ttmp9, s3
	s_mul_i32 s4, s6, s4
	s_getreg_b32 s28, hwreg(HW_REG_IB_STS2, 6, 4)
	s_add_co_i32 s2, s2, s3
	s_add_co_i32 s3, s5, s4
	s_cmp_eq_u32 s28, 0
	s_clause 0x1
	s_load_b32 s29, s[0:1], 0x80
	s_load_b64 s[4:5], s[0:1], 0x30
	s_cselect_b32 s30, s6, s3
	s_cselect_b32 s2, ttmp9, s2
	s_mov_b32 s17, 0
	s_delay_alu instid0(SALU_CYCLE_1) | instskip(SKIP_2) | instid1(SALU_CYCLE_1)
	s_mov_b32 s35, s17
	s_wait_kmcnt 0x0
	s_abs_i32 s3, s22
	s_cvt_f32_u32 s6, s3
	s_sub_co_i32 s7, 0, s3
	s_delay_alu instid0(SALU_CYCLE_2) | instskip(SKIP_2) | instid1(TRANS32_DEP_1)
	v_rcp_iflag_f32_e32 v1, s6
	s_abs_i32 s8, s29
	v_nop
	v_readfirstlane_b32 s6, v1
	s_mul_f32 s6, s6, 0x4f7ffffe
	s_delay_alu instid0(SALU_CYCLE_3) | instskip(NEXT) | instid1(SALU_CYCLE_3)
	s_cvt_u32_f32 s6, s6
	s_mul_i32 s7, s7, s6
	s_delay_alu instid0(SALU_CYCLE_1) | instskip(NEXT) | instid1(SALU_CYCLE_1)
	s_mul_hi_u32 s7, s6, s7
	s_add_co_i32 s6, s6, s7
	s_xor_b32 s7, s29, s22
	s_mul_hi_u32 s6, s8, s6
	s_ashr_i32 s7, s7, 31
	s_mul_i32 s9, s6, s3
	s_delay_alu instid0(SALU_CYCLE_1)
	s_sub_co_i32 s8, s8, s9
	s_add_co_i32 s9, s6, 1
	s_sub_co_i32 s10, s8, s3
	s_cmp_ge_u32 s8, s3
	s_cselect_b32 s6, s9, s6
	s_cselect_b32 s8, s10, s8
	s_add_co_i32 s9, s6, 1
	s_cmp_ge_u32 s8, s3
	s_cselect_b32 s3, s9, s6
	s_load_b64 s[8:9], s[0:1], 0x40
	s_xor_b32 s3, s3, s7
	s_abs_i32 s16, s2
	s_sub_co_i32 s10, s3, s7
	s_mov_b32 s7, s17
	s_abs_i32 s15, s10
	s_delay_alu instid0(SALU_CYCLE_1) | instskip(SKIP_1) | instid1(SALU_CYCLE_2)
	s_cvt_f32_u32 s3, s15
	s_sub_co_i32 s6, 0, s15
	v_rcp_iflag_f32_e32 v1, s3
	v_nop
	s_delay_alu instid0(TRANS32_DEP_1) | instskip(SKIP_1) | instid1(SALU_CYCLE_3)
	v_readfirstlane_b32 s3, v1
	s_mul_f32 s3, s3, 0x4f7ffffe
	s_cvt_u32_f32 s3, s3
	s_delay_alu instid0(SALU_CYCLE_3) | instskip(NEXT) | instid1(SALU_CYCLE_1)
	s_mul_i32 s6, s6, s3
	s_mul_hi_u32 s6, s3, s6
	s_delay_alu instid0(SALU_CYCLE_1)
	s_add_co_i32 s6, s3, s6
	s_wait_kmcnt 0x0
	s_cmp_eq_u64 s[8:9], 0
	s_cbranch_scc1 .LBB6_2
; %bb.1:
	s_ashr_i32 s3, s2, 31
	s_delay_alu instid0(SALU_CYCLE_1) | instskip(NEXT) | instid1(SALU_CYCLE_1)
	s_lshl_b64 s[12:13], s[2:3], 2
	s_add_nc_u64 s[8:9], s[8:9], s[12:13]
	s_load_b32 s35, s[8:9], 0x0
.LBB6_2:
	s_load_b32 s31, s[4:5], s30 offset:0x0 scale_offset
	s_load_b96 s[12:14], s[0:1], 0x48
	v_and_b32_e32 v4, 3, v0
	s_wait_xcnt 0x0
	s_mul_u64 s[4:5], s[16:17], s[6:7]
	s_ashr_i32 s3, s2, 31
	s_ashr_i32 s18, s10, 31
	s_lshl_b32 s6, s2, 7
	s_mov_b32 s4, exec_lo
	v_cmpx_gt_u32_e32 0x80, v0
	s_cbranch_execz .LBB6_4
; %bb.3:
	s_load_b64 s[8:9], s[0:1], 0x8
	s_wait_kmcnt 0x0
	s_mul_i32 s10, s12, s30
	s_ashr_i32 s7, s6, 31
	s_ashr_i32 s11, s10, 31
	v_and_b32_e32 v2, 0x3fc, v0
	s_lshl_b64 s[10:11], s[10:11], 2
	s_delay_alu instid0(VALU_DEP_1) | instskip(SKIP_2) | instid1(SALU_CYCLE_1)
	v_lshl_add_u32 v2, v4, 7, v2
	s_add_nc_u64 s[8:9], s[8:9], s[10:11]
	s_lshl_b64 s[10:11], s[6:7], 2
	s_add_nc_u64 s[8:9], s[8:9], s[10:11]
	global_load_b32 v1, v0, s[8:9] scale_offset
	s_wait_loadcnt 0x0
	ds_store_b32 v2, v1
.LBB6_4:
	s_or_b32 exec_lo, exec_lo, s4
	s_load_b128 s[8:11], s[0:1], 0x68
	s_mul_i32 s4, s5, s15
	s_xor_b32 s3, s3, s18
	s_sub_co_i32 s4, s16, s4
	s_add_co_i32 s7, s5, 1
	s_wait_kmcnt 0x0
	s_sub_co_i32 s12, s4, s15
	s_cmp_ge_u32 s4, s15
	s_mov_b32 s18, -1
	s_cselect_b32 s5, s7, s5
	s_cselect_b32 s4, s12, s4
	s_add_co_i32 s12, s5, 1
	s_cmp_ge_u32 s4, s15
	s_load_b32 s7, s[0:1], 0x78
	s_cselect_b32 s4, s12, s5
	s_add_co_i32 s15, s31, -1
	s_xor_b32 s4, s4, s3
	s_wait_dscnt 0x0
	s_sub_co_i32 s3, s4, s3
	s_barrier_signal -1
	s_barrier_wait -1
	s_abs_i32 s12, s11
	s_delay_alu instid0(SALU_CYCLE_1) | instskip(NEXT) | instid1(SALU_CYCLE_3)
	s_cvt_f32_u32 s5, s12
                                        ; implicit-def: $sgpr33
	v_rcp_iflag_f32_e32 v1, s5
	v_nop
	s_delay_alu instid0(TRANS32_DEP_1) | instskip(SKIP_1) | instid1(SALU_CYCLE_3)
	v_readfirstlane_b32 s5, v1
	s_mul_f32 s4, s5, 0x4f7ffffe
	s_cvt_u32_f32 s16, s4
	s_sub_co_i32 s4, 0, s12
	s_delay_alu instid0(SALU_CYCLE_2)
	s_mul_i32 s5, s4, s16
	s_abs_i32 s4, s15
	s_mul_hi_u32 s17, s16, s5
	s_mov_b32 s5, 0
	s_add_co_i32 s16, s16, s17
	s_wait_kmcnt 0x0
	s_cmp_lt_i32 s7, 0
	s_mov_b32 s17, s5
	s_cbranch_scc0 .LBB6_6
; %bb.5:
	s_mul_i32 s18, s8, s22
	s_delay_alu instid0(SALU_CYCLE_1) | instskip(NEXT) | instid1(SALU_CYCLE_1)
	s_add_co_i32 s18, s3, s18
	s_mul_i32 s18, s18, s7
	s_delay_alu instid0(SALU_CYCLE_1)
	s_sub_co_i32 s33, 1, s18
	s_mov_b32 s18, s5
.LBB6_6:
	s_ashr_i32 s15, s15, 31
	s_ashr_i32 s11, s11, 31
	s_and_not1_b32 vcc_lo, exec_lo, s18
	s_mul_u64 s[24:25], s[4:5], s[16:17]
	s_cbranch_vccnz .LBB6_8
; %bb.7:
	s_mul_i32 s5, s29, s8
	s_delay_alu instid0(SALU_CYCLE_1) | instskip(NEXT) | instid1(SALU_CYCLE_1)
	s_add_co_i32 s2, s5, s2
	s_mul_i32 s2, s2, s7
	s_delay_alu instid0(SALU_CYCLE_1)
	s_add_co_i32 s33, s2, 1
.LBB6_8:
	s_load_b32 s2, s[0:1], 0x38
	s_mul_i32 s7, s25, s12
	s_xor_b32 s5, s15, s11
	s_sub_co_i32 s4, s4, s7
	s_add_co_i32 s8, s25, 1
	s_clause 0x1
	s_load_b64 s[20:21], s[0:1], 0x28
	s_load_b32 s7, s[0:1], 0x88
	v_dual_mov_b32 v12, 0xff7fffff :: v_dual_lshrrev_b32 v1, 5, v0
	v_lshrrev_b32_e32 v8, 3, v0
	v_mbcnt_lo_u32_b32 v9, -1, 0
	s_mul_i32 s14, s3, s14
	s_delay_alu instid0(VALU_DEP_3)
	v_lshlrev_b32_e32 v38, 3, v1
	s_wait_kmcnt 0x0
	s_mul_i32 s18, s2, s30
	s_sub_co_i32 s2, s4, s12
	s_ashr_i32 s19, s18, 31
	s_cmp_ge_u32 s4, s12
	s_cselect_b32 s8, s8, s25
	s_cselect_b32 s2, s2, s4
	s_add_co_i32 s4, s8, 1
	s_cmp_ge_u32 s2, s12
	s_cselect_b32 s2, s4, s8
	s_add_co_i32 s4, s31, 7
	s_delay_alu instid0(SALU_CYCLE_1) | instskip(NEXT) | instid1(SALU_CYCLE_1)
	s_ashr_i32 s8, s4, 31
	s_lshr_b32 s8, s8, 29
	s_delay_alu instid0(SALU_CYCLE_1) | instskip(NEXT) | instid1(SALU_CYCLE_1)
	s_add_co_i32 s4, s4, s8
	s_ashr_i32 s34, s4, 3
	s_xor_b32 s4, s2, s5
	v_cmp_gt_i32_e64 s2, s34, v1
	s_sub_co_i32 s8, s4, s5
	s_and_saveexec_b32 s22, s2
	s_cbranch_execz .LBB6_20
; %bb.9:
	s_load_b64 s[4:5], s[0:1], 0x10
	s_ashr_i32 s15, s14, 31
	s_sub_co_i32 s36, s8, s9
	s_ashr_i32 s25, s13, 31
	s_lshl_b64 s[38:39], s[14:15], 2
	s_cmp_neq_f32 s35, 0
	v_bfe_u32 v10, v0, 2, 3
	v_dual_mov_b32 v3, 0 :: v_dual_lshlrev_b32 v11, 7, v4
	s_cselect_b32 vcc_lo, -1, 0
	s_abs_i32 s15, s10
	s_delay_alu instid0(VALU_DEP_2)
	v_lshlrev_b32_e32 v2, 4, v10
	s_cvt_f32_u32 s3, s15
	v_subrev_nc_u32_e32 v13, s31, v10
	v_lshlrev_b32_e32 v12, 2, v10
	s_sub_co_i32 s26, 0, s15
	v_rcp_iflag_f32_e32 v5, s3
	v_cmp_eq_u32_e64 s3, 0, v4
	v_dual_mov_b32 v18, v1 :: v_dual_bitop2_b32 v16, 2, v9 bitop3:0x14
	s_wait_kmcnt 0x0
	s_add_nc_u64 s[4:5], s[4:5], s[38:39]
	v_lshl_or_b32 v12, v1, 5, v12
	v_add_nc_u64_e32 v[6:7], s[4:5], v[2:3]
	v_readfirstlane_b32 s24, v5
	v_dual_lshlrev_b32 v2, 2, v4 :: v_dual_add_nc_u32 v13, 1, v13
	s_lshl_b64 s[4:5], s[18:19], 2
	v_add_nc_u32_e32 v14, 0x220, v12
	s_mul_f32 s24, s24, 0x4f7ffffe
	s_delay_alu instid0(VALU_DEP_2)
	v_add_nc_u64_e32 v[4:5], v[6:7], v[2:3]
	v_and_b32_e32 v2, 0x7c, v8
	s_add_nc_u64 s[4:5], s[20:21], s[4:5]
	s_cvt_u32_f32 s37, s24
	v_xor_b32_e32 v17, 1, v9
	v_mov_b32_e32 v15, 0xff7fffff
	v_add_nc_u64_e32 v[6:7], s[4:5], v[2:3]
	s_mul_i32 s26, s26, s37
	v_lshlrev_b32_e32 v2, 3, v1
	v_mov_b32_e32 v12, 0xff7fffff
	s_mov_b32 s27, 0
	s_mul_hi_u32 s4, s37, s26
	s_mov_b32 s24, s13
	s_add_co_i32 s26, s37, s4
	s_mov_b32 s37, s27
	s_branch .LBB6_12
.LBB6_10:                               ;   in Loop: Header=BB6_12 Depth=1
	s_or_b32 exec_lo, exec_lo, s38
.LBB6_11:                               ;   in Loop: Header=BB6_12 Depth=1
	s_delay_alu instid0(SALU_CYCLE_1) | instskip(SKIP_4) | instid1(VALU_DEP_4)
	s_or_b32 exec_lo, exec_lo, s5
	v_add_nc_u32_e32 v18, 4, v18
	v_add_nc_u64_e32 v[6:7], 16, v[6:7]
	v_add_nc_u32_e32 v2, 32, v2
	v_add_nc_u32_e32 v14, 0x80, v14
	v_cmp_le_i32_e64 s4, s34, v18
	s_or_b32 s37, s4, s37
	s_delay_alu instid0(SALU_CYCLE_1)
	s_and_not1_b32 exec_lo, exec_lo, s37
	s_cbranch_execz .LBB6_19
.LBB6_12:                               ; =>This Inner Loop Header: Depth=1
	s_wait_dscnt 0x0
	v_mul_u64_e32 v[20:21], s[16:17], v[2:3]
	s_delay_alu instid0(VALU_DEP_1) | instskip(NEXT) | instid1(VALU_DEP_1)
	v_mul_lo_u32 v19, v21, s12
	v_dual_add_nc_u32 v20, 1, v21 :: v_dual_sub_nc_u32 v19, v2, v19
	s_delay_alu instid0(VALU_DEP_1) | instskip(SKIP_1) | instid1(VALU_DEP_1)
	v_subrev_nc_u32_e32 v22, s12, v19
	v_cmp_le_u32_e64 s4, s12, v19
	v_dual_cndmask_b32 v20, v21, v20, s4 :: v_dual_cndmask_b32 v19, v19, v22, s4
	s_delay_alu instid0(VALU_DEP_1) | instskip(NEXT) | instid1(VALU_DEP_2)
	v_add_nc_u32_e32 v21, 1, v20
	v_cmp_le_u32_e64 s4, s12, v19
	s_delay_alu instid0(VALU_DEP_1) | instskip(NEXT) | instid1(VALU_DEP_1)
	v_dual_cndmask_b32 v19, v20, v21, s4 :: v_dual_mov_b32 v21, v3
	v_xor_b32_e32 v19, s11, v19
	s_delay_alu instid0(VALU_DEP_1) | instskip(NEXT) | instid1(VALU_DEP_1)
	v_subrev_nc_u32_e32 v19, s11, v19
	v_add_nc_u32_e32 v24, s33, v19
	v_cmp_ge_i32_e64 s5, s36, v19
	s_delay_alu instid0(VALU_DEP_2) | instskip(NEXT) | instid1(VALU_DEP_1)
	v_sub_nc_u32_e32 v20, 0, v24
	v_max_i32_e32 v20, v24, v20
	s_delay_alu instid0(VALU_DEP_1) | instskip(SKIP_1) | instid1(VALU_DEP_2)
	v_mul_u64_e32 v[22:23], s[26:27], v[20:21]
	v_ashrrev_i32_e32 v22, 31, v24
	v_mul_lo_u32 v21, v23, s15
	s_delay_alu instid0(VALU_DEP_1) | instskip(NEXT) | instid1(VALU_DEP_1)
	v_sub_nc_u32_e32 v20, v20, v21
	v_subrev_nc_u32_e32 v21, s15, v20
	v_cmp_le_u32_e64 s4, s15, v20
	s_delay_alu instid0(VALU_DEP_1) | instskip(NEXT) | instid1(VALU_DEP_1)
	v_cndmask_b32_e64 v20, v20, v21, s4
	v_subrev_nc_u32_e32 v21, s15, v20
	v_cmp_le_u32_e64 s4, s15, v20
	s_delay_alu instid0(VALU_DEP_1) | instskip(NEXT) | instid1(VALU_DEP_1)
	v_cndmask_b32_e64 v20, v20, v21, s4
	v_xor_b32_e32 v20, v20, v22
	s_delay_alu instid0(VALU_DEP_1) | instskip(NEXT) | instid1(VALU_DEP_1)
	v_sub_nc_u32_e32 v20, v20, v22
	v_cmp_ne_u32_e64 s4, 0, v20
	s_and_b32 s4, s4, s5
	s_delay_alu instid0(SALU_CYCLE_1) | instskip(NEXT) | instid1(SALU_CYCLE_1)
	s_and_saveexec_b32 s5, s4
	s_xor_b32 s4, exec_lo, s5
	s_cbranch_execz .LBB6_16
; %bb.13:                               ;   in Loop: Header=BB6_12 Depth=1
	s_and_saveexec_b32 s5, s3
; %bb.14:                               ;   in Loop: Header=BB6_12 Depth=1
	ds_store_b32 v14, v15
; %bb.15:                               ;   in Loop: Header=BB6_12 Depth=1
	s_or_b32 exec_lo, exec_lo, s5
.LBB6_16:                               ;   in Loop: Header=BB6_12 Depth=1
	s_and_not1_saveexec_b32 s5, s4
	s_cbranch_execz .LBB6_11
; %bb.17:                               ;   in Loop: Header=BB6_12 Depth=1
	global_load_b32 v20, v[6:7], off
	v_cmp_gt_i32_e64 s4, 32, v16
	s_wait_loadcnt 0x0
	v_ashrrev_i32_e32 v21, 31, v20
	s_delay_alu instid0(VALU_DEP_1) | instskip(NEXT) | instid1(VALU_DEP_1)
	v_mul_u64_e32 v[20:21], s[24:25], v[20:21]
	v_lshl_add_u64 v[20:21], v[20:21], 2, v[4:5]
	s_clause 0x1f
	global_load_b32 v19, v[20:21], off offset:128
	global_load_b32 v28, v[20:21], off
	global_load_b32 v29, v[20:21], off offset:256
	global_load_b32 v30, v[20:21], off offset:384
	;; [unrolled: 1-line block ×30, first 2 shown]
	s_wait_xcnt 0x0
	ds_load_b128 v[20:23], v11
	ds_load_b128 v[24:27], v11 offset:16
	s_wait_loadcnt_dscnt 0x1f01
	v_mul_f32_e32 v19, v21, v19
	s_wait_loadcnt 0x1e
	s_delay_alu instid0(VALU_DEP_1) | instskip(SKIP_1) | instid1(VALU_DEP_1)
	v_fmac_f32_e32 v19, v20, v28
	s_wait_loadcnt 0x1d
	v_fmac_f32_e32 v19, v22, v29
	s_wait_loadcnt 0x1c
	s_delay_alu instid0(VALU_DEP_1) | instskip(SKIP_4) | instid1(VALU_DEP_1)
	v_fmac_f32_e32 v19, v23, v30
	ds_load_b128 v[20:23], v11 offset:32
	s_wait_loadcnt_dscnt 0x1b01
	v_fmac_f32_e32 v19, v24, v31
	s_wait_loadcnt 0x1a
	v_fmac_f32_e32 v19, v25, v32
	s_wait_loadcnt 0x19
	s_delay_alu instid0(VALU_DEP_1) | instskip(SKIP_1) | instid1(VALU_DEP_1)
	v_fmac_f32_e32 v19, v26, v33
	s_wait_loadcnt 0x18
	v_fmac_f32_e32 v19, v27, v34
	ds_load_b128 v[24:27], v11 offset:48
	s_wait_loadcnt_dscnt 0x1701
	v_fmac_f32_e32 v19, v20, v35
	s_wait_loadcnt 0x16
	s_delay_alu instid0(VALU_DEP_1) | instskip(SKIP_1) | instid1(VALU_DEP_1)
	v_fmac_f32_e32 v19, v21, v36
	s_wait_loadcnt 0x15
	v_fmac_f32_e32 v19, v22, v37
	s_wait_loadcnt 0x14
	s_delay_alu instid0(VALU_DEP_1) | instskip(SKIP_4) | instid1(VALU_DEP_1)
	v_fmac_f32_e32 v19, v23, v39
	ds_load_b128 v[20:23], v11 offset:64
	s_wait_loadcnt_dscnt 0x1301
	v_fmac_f32_e32 v19, v24, v40
	s_wait_loadcnt 0x12
	v_fmac_f32_e32 v19, v25, v41
	s_wait_loadcnt 0x11
	s_delay_alu instid0(VALU_DEP_1) | instskip(SKIP_1) | instid1(VALU_DEP_1)
	v_fmac_f32_e32 v19, v26, v42
	s_wait_loadcnt 0x10
	v_fmac_f32_e32 v19, v27, v43
	ds_load_b128 v[24:27], v11 offset:80
	s_wait_loadcnt_dscnt 0xf01
	v_fmac_f32_e32 v19, v20, v44
	s_wait_loadcnt 0xe
	s_delay_alu instid0(VALU_DEP_1) | instskip(SKIP_1) | instid1(VALU_DEP_1)
	v_fmac_f32_e32 v19, v21, v45
	s_wait_loadcnt 0xd
	v_fmac_f32_e32 v19, v22, v46
	s_wait_loadcnt 0xc
	s_delay_alu instid0(VALU_DEP_1) | instskip(SKIP_4) | instid1(VALU_DEP_1)
	v_fmac_f32_e32 v19, v23, v47
	ds_load_b128 v[20:23], v11 offset:96
	s_wait_loadcnt_dscnt 0xb01
	v_fmac_f32_e32 v19, v24, v48
	s_wait_loadcnt 0xa
	v_fmac_f32_e32 v19, v25, v49
	s_wait_loadcnt 0x9
	s_delay_alu instid0(VALU_DEP_1) | instskip(SKIP_1) | instid1(VALU_DEP_1)
	v_fmac_f32_e32 v19, v26, v50
	s_wait_loadcnt 0x8
	v_fmac_f32_e32 v19, v27, v51
	ds_load_b128 v[24:27], v11 offset:112
	s_wait_loadcnt_dscnt 0x701
	v_fmac_f32_e32 v19, v20, v52
	v_cndmask_b32_e64 v20, v9, v16, s4
	v_cmp_gt_i32_e64 s4, 32, v17
	s_wait_loadcnt 0x6
	s_delay_alu instid0(VALU_DEP_2) | instskip(SKIP_1) | instid1(VALU_DEP_1)
	v_dual_fmac_f32 v19, v21, v53 :: v_dual_lshlrev_b32 v20, 2, v20
	s_wait_loadcnt 0x5
	v_dual_cndmask_b32 v21, v9, v17, s4 :: v_dual_fmac_f32 v19, v22, v54
	s_wait_loadcnt 0x4
	s_delay_alu instid0(VALU_DEP_1) | instskip(SKIP_1) | instid1(VALU_DEP_1)
	v_dual_lshlrev_b32 v21, 2, v21 :: v_dual_fmac_f32 v19, v23, v55
	s_wait_loadcnt_dscnt 0x300
	v_fmac_f32_e32 v19, v24, v56
	s_wait_loadcnt 0x2
	s_delay_alu instid0(VALU_DEP_1) | instskip(SKIP_1) | instid1(VALU_DEP_1)
	v_fmac_f32_e32 v19, v25, v57
	s_wait_loadcnt 0x1
	v_fmac_f32_e32 v19, v26, v58
	s_wait_loadcnt 0x0
	s_delay_alu instid0(VALU_DEP_1)
	v_fmac_f32_e32 v19, v27, v59
	ds_bpermute_b32 v20, v20, v19
	s_wait_dscnt 0x0
	v_add_f32_e32 v19, v19, v20
	ds_bpermute_b32 v20, v21, v19
	s_and_saveexec_b32 s38, s3
	s_cbranch_execz .LBB6_10
; %bb.18:                               ;   in Loop: Header=BB6_12 Depth=1
	s_wait_dscnt 0x0
	v_dual_add_nc_u32 v21, v13, v2 :: v_dual_add_f32 v19, v19, v20
	s_delay_alu instid0(VALU_DEP_1) | instskip(NEXT) | instid1(VALU_DEP_1)
	v_cvt_f32_i32_e32 v21, v21
	v_mul_f32_e32 v21, s35, v21
	s_delay_alu instid0(VALU_DEP_1) | instskip(NEXT) | instid1(VALU_DEP_1)
	v_dual_cndmask_b32 v20, 0, v21 :: v_dual_max_num_f32 v21, v12, v12
	v_dual_fmac_f32 v20, s23, v19 :: v_dual_add_nc_u32 v19, v10, v2
	s_delay_alu instid0(VALU_DEP_1) | instskip(NEXT) | instid1(VALU_DEP_2)
	v_max_num_f32_e32 v21, v21, v20
	v_cmp_gt_i32_e64 s4, s31, v19
	s_delay_alu instid0(VALU_DEP_1)
	v_dual_cndmask_b32 v19, 0, v20, s4 :: v_dual_cndmask_b32 v12, v12, v21, s4
	ds_store_b32 v14, v19
	s_branch .LBB6_10
.LBB6_19:
	s_or_b32 exec_lo, exec_lo, s37
.LBB6_20:
	s_delay_alu instid0(SALU_CYCLE_1)
	s_or_b32 exec_lo, exec_lo, s22
	v_dual_max_num_f32 v5, v12, v12 :: v_dual_bitop2_b32 v2, 16, v9 bitop3:0x14
	s_clause 0x1
	s_load_b64 s[4:5], s[0:1], 0x0
	s_load_b64 s[22:23], s[0:1], 0x18
	v_and_b32_e32 v52, 31, v0
	v_xor_b32_e32 v4, 8, v9
	v_cmp_gt_i32_e32 vcc_lo, 32, v2
	v_cndmask_b32_e32 v2, v9, v2, vcc_lo
	s_delay_alu instid0(VALU_DEP_3) | instskip(NEXT) | instid1(VALU_DEP_2)
	v_cmp_gt_i32_e32 vcc_lo, 32, v4
	v_dual_lshlrev_b32 v2, 2, v2 :: v_dual_cndmask_b32 v4, v9, v4, vcc_lo
	ds_bpermute_b32 v3, v2, v12
	s_wait_dscnt 0x0
	v_dual_max_num_f32 v6, v3, v3 :: v_dual_lshlrev_b32 v3, 2, v4
	s_delay_alu instid0(VALU_DEP_1) | instskip(SKIP_4) | instid1(VALU_DEP_1)
	v_dual_max_num_f32 v4, v5, v6 :: v_dual_bitop2_b32 v6, 4, v9 bitop3:0x14
	ds_bpermute_b32 v5, v3, v4
	v_cmp_gt_i32_e32 vcc_lo, 32, v6
	v_cndmask_b32_e32 v6, v9, v6, vcc_lo
	s_wait_dscnt 0x0
	v_dual_max_num_f32 v5, v5, v5 :: v_dual_lshlrev_b32 v6, 2, v6
	s_delay_alu instid0(VALU_DEP_1)
	v_max_num_f32_e32 v5, v4, v5
	v_lshlrev_b32_e32 v4, 2, v1
	v_cmp_eq_u32_e32 vcc_lo, 0, v52
	ds_bpermute_b32 v7, v6, v5
	s_wait_xcnt 0x0
	s_and_saveexec_b32 s0, vcc_lo
	s_cbranch_execz .LBB6_22
; %bb.21:
	s_wait_dscnt 0x0
	v_dual_max_num_f32 v7, v7, v7 :: v_dual_max_num_f32 v5, v5, v5
	s_delay_alu instid0(VALU_DEP_1)
	v_max_num_f32_e32 v5, v5, v7
	ds_store_b32 v4, v5 offset:512
.LBB6_22:
	s_or_b32 exec_lo, exec_lo, s0
	v_cmp_gt_u32_e64 s0, 4, v52
	v_dual_mov_b32 v10, 0xff7fffff :: v_dual_lshlrev_b32 v5, 2, v52
	s_wait_dscnt 0x0
	s_barrier_signal -1
	s_barrier_wait -1
	s_and_saveexec_b32 s1, s0
; %bb.23:
	ds_load_b32 v10, v5 offset:512
; %bb.24:
	s_or_b32 exec_lo, exec_lo, s1
	v_xor_b32_e32 v7, 2, v9
	v_xor_b32_e32 v12, 1, v9
	s_delay_alu instid0(VALU_DEP_2) | instskip(NEXT) | instid1(VALU_DEP_1)
	v_cmp_gt_i32_e64 s1, 32, v7
	v_cndmask_b32_e64 v7, v9, v7, s1
	s_delay_alu instid0(VALU_DEP_3) | instskip(NEXT) | instid1(VALU_DEP_1)
	v_cmp_gt_i32_e64 s1, 32, v12
	v_dual_lshlrev_b32 v7, 2, v7 :: v_dual_cndmask_b32 v9, v9, v12, s1
	s_lshl_b32 s1, s34, 3
	s_delay_alu instid0(SALU_CYCLE_1)
	s_min_i32 s15, s1, s31
	s_wait_dscnt 0x0
	ds_bpermute_b32 v11, v7, v10
	v_max_num_f32_e32 v10, v10, v10
	v_cmp_gt_i32_e64 s1, s15, v0
	s_wait_dscnt 0x0
	v_dual_lshlrev_b32 v53, 2, v9 :: v_dual_max_num_f32 v11, v11, v11
	s_delay_alu instid0(VALU_DEP_1) | instskip(SKIP_3) | instid1(VALU_DEP_1)
	v_max_num_f32_e32 v9, v10, v11
	ds_bpermute_b32 v10, v53, v9
	s_wait_dscnt 0x0
	v_max_num_f32_e32 v10, v10, v10
	v_dual_max_num_f32 v10, v9, v10 :: v_dual_mov_b32 v9, 0
	ds_bpermute_b32 v10, v9, v10
	s_and_saveexec_b32 s24, s1
	s_cbranch_execz .LBB6_28
; %bb.25:
	v_lshl_add_u32 v11, v0, 2, 0x220
	v_dual_mov_b32 v9, 0 :: v_dual_mov_b32 v12, v0
	s_mov_b32 s25, 0
.LBB6_26:                               ; =>This Inner Loop Header: Depth=1
	ds_load_b32 v13, v11
	v_add_nc_u32_e32 v12, 0x80, v12
	s_delay_alu instid0(VALU_DEP_1) | instskip(SKIP_3) | instid1(VALU_DEP_1)
	v_cmp_le_i32_e64 s3, s15, v12
	s_or_b32 s25, s3, s25
	s_wait_dscnt 0x0
	v_sub_f32_e32 v13, v13, v10
	v_mul_f32_e32 v13, 0x3fb8aa3b, v13
	s_delay_alu instid0(VALU_DEP_1)
	v_exp_f32_e32 v13, v13
	ds_store_b32 v11, v13
	v_nop
	v_add_f32_e32 v9, v9, v13
	v_add_nc_u32_e32 v11, 0x200, v11
	s_and_not1_b32 exec_lo, exec_lo, s25
	s_cbranch_execnz .LBB6_26
; %bb.27:
	s_or_b32 exec_lo, exec_lo, s25
.LBB6_28:
	s_delay_alu instid0(SALU_CYCLE_1)
	s_or_b32 exec_lo, exec_lo, s24
	ds_bpermute_b32 v2, v2, v9
	s_wait_dscnt 0x0
	v_add_f32_e32 v2, v9, v2
	ds_bpermute_b32 v3, v3, v2
	s_wait_dscnt 0x0
	v_add_f32_e32 v2, v2, v3
	;; [unrolled: 3-line block ×5, first 2 shown]
	s_and_saveexec_b32 s3, vcc_lo
; %bb.29:
	ds_store_b32 v4, v2 offset:528
; %bb.30:
	s_or_b32 exec_lo, exec_lo, s3
	s_wait_dscnt 0x0
	s_barrier_signal -1
	s_barrier_wait -1
	s_and_saveexec_b32 s3, s0
; %bb.31:
	ds_load_b32 v2, v5 offset:528
; %bb.32:
	s_or_b32 exec_lo, exec_lo, s3
	s_wait_dscnt 0x0
	ds_bpermute_b32 v3, v7, v2
	s_wait_dscnt 0x0
	v_dual_mov_b32 v41, 0 :: v_dual_add_f32 v2, v2, v3
	ds_bpermute_b32 v3, v53, v2
	s_wait_dscnt 0x0
	v_add_f32_e32 v2, v2, v3
	ds_bpermute_b32 v2, v41, v2
	s_and_saveexec_b32 s0, s1
	s_cbranch_execz .LBB6_45
; %bb.33:
	s_wait_dscnt 0x0
	v_add_f32_e32 v2, 0x358637bd, v2
	s_mov_b32 s3, -1
	s_mov_b32 s1, exec_lo
	s_delay_alu instid0(VALU_DEP_1) | instskip(NEXT) | instid1(VALU_DEP_1)
	v_div_scale_f32 v3, null, v2, v2, 1.0
	v_rcp_f32_e32 v5, v3
	v_nop
	s_delay_alu instid0(TRANS32_DEP_1) | instskip(NEXT) | instid1(VALU_DEP_1)
	v_fma_f32 v4, -v3, v5, 1.0
	v_fmac_f32_e32 v5, v4, v5
	v_div_scale_f32 v6, vcc_lo, 1.0, v2, 1.0
	s_delay_alu instid0(VALU_DEP_1) | instskip(NEXT) | instid1(VALU_DEP_1)
	v_mul_f32_e32 v7, v6, v5
	v_fma_f32 v4, -v3, v7, v6
	s_delay_alu instid0(VALU_DEP_1) | instskip(SKIP_1) | instid1(VALU_DEP_2)
	v_fmac_f32_e32 v7, v4, v5
	v_xad_u32 v4, v0, -1, s15
	v_fma_f32 v3, -v3, v7, v6
	s_delay_alu instid0(VALU_DEP_1) | instskip(NEXT) | instid1(VALU_DEP_1)
	v_div_fmas_f32 v3, v3, v5, v7
	v_div_fixup_f32 v2, v3, v2, 1.0
	v_mov_b32_e32 v3, v0
	v_cmpx_lt_u32_e32 0x7f, v4
	s_cbranch_execz .LBB6_42
; %bb.34:
	s_delay_alu instid0(VALU_DEP_3) | instskip(NEXT) | instid1(VALU_DEP_1)
	v_dual_mov_b32 v3, v2 :: v_dual_lshrrev_b32 v4, 7, v4
	v_dual_mov_b32 v9, 0 :: v_dual_add_nc_u32 v5, -1, v4
	s_delay_alu instid0(VALU_DEP_1) | instskip(SKIP_1) | instid1(VALU_DEP_2)
	v_lshrrev_b32_e32 v6, 1, v5
	v_cmp_lt_u32_e32 vcc_lo, 13, v5
	v_add_nc_u32_e32 v5, 1, v6
	s_and_saveexec_b32 s3, vcc_lo
	s_cbranch_execz .LBB6_38
; %bb.35:
	s_delay_alu instid0(VALU_DEP_1)
	v_and_b32_e32 v6, -8, v5
	v_lshl_add_u32 v7, v0, 2, 0x220
	s_mov_b32 s24, 0
	s_mov_b32 s25, 0
.LBB6_36:                               ; =>This Inner Loop Header: Depth=1
	ds_load_2addr_stride64_b32 v[10:11], v7 offset1:2
	ds_load_2addr_stride64_b32 v[12:13], v7 offset0:4 offset1:6
	ds_load_2addr_stride64_b32 v[14:15], v7 offset0:8 offset1:10
	;; [unrolled: 1-line block ×7, first 2 shown]
	s_add_co_i32 s25, s25, 16
	s_delay_alu instid0(SALU_CYCLE_1) | instskip(NEXT) | instid1(VALU_DEP_1)
	v_dual_mov_b32 v9, s25 :: v_dual_add_nc_u32 v6, -8, v6
	v_cmp_eq_u32_e32 vcc_lo, 0, v6
	s_or_b32 s24, vcc_lo, s24
	s_wait_dscnt 0x7
	v_pk_mul_f32 v[10:11], v[2:3], v[10:11]
	s_wait_dscnt 0x6
	v_pk_mul_f32 v[12:13], v[2:3], v[12:13]
	;; [unrolled: 2-line block ×8, first 2 shown]
	ds_store_2addr_stride64_b32 v7, v10, v11 offset1:2
	ds_store_2addr_stride64_b32 v7, v12, v13 offset0:4 offset1:6
	ds_store_2addr_stride64_b32 v7, v14, v15 offset0:8 offset1:10
	;; [unrolled: 1-line block ×7, first 2 shown]
	v_add_nc_u32_e32 v7, 0x2000, v7
	s_and_not1_b32 exec_lo, exec_lo, s24
	s_cbranch_execnz .LBB6_36
; %bb.37:
	s_or_b32 exec_lo, exec_lo, s24
.LBB6_38:
	s_delay_alu instid0(SALU_CYCLE_1) | instskip(NEXT) | instid1(VALU_DEP_1)
	s_or_b32 exec_lo, exec_lo, s3
	v_and_b32_e32 v5, 7, v5
	s_mov_b32 s24, 0
	s_mov_b32 s3, exec_lo
	s_delay_alu instid0(VALU_DEP_1)
	v_cmpx_ne_u32_e32 0, v5
	s_cbranch_execz .LBB6_41
; %bb.39:
	v_dual_lshlrev_b32 v6, 9, v9 :: v_dual_lshlrev_b32 v7, 2, v0
	s_delay_alu instid0(VALU_DEP_1)
	v_add3_u32 v6, v6, v7, 0x220
.LBB6_40:                               ; =>This Inner Loop Header: Depth=1
	ds_load_2addr_stride64_b32 v[10:11], v6 offset1:2
	v_add_nc_u32_e32 v5, -1, v5
	s_delay_alu instid0(VALU_DEP_1)
	v_cmp_eq_u32_e32 vcc_lo, 0, v5
	s_or_b32 s24, vcc_lo, s24
	s_wait_dscnt 0x0
	v_pk_mul_f32 v[10:11], v[2:3], v[10:11]
	ds_store_2addr_stride64_b32 v6, v10, v11 offset1:2
	v_add_nc_u32_e32 v6, 0x400, v6
	s_and_not1_b32 exec_lo, exec_lo, s24
	s_cbranch_execnz .LBB6_40
.LBB6_41:
	s_or_b32 exec_lo, exec_lo, s3
	v_add_nc_u32_e32 v3, 1, v4
	s_delay_alu instid0(VALU_DEP_1) | instskip(NEXT) | instid1(VALU_DEP_1)
	v_and_b32_e32 v4, 0x3fffffe, v3
	v_cmp_ne_u32_e32 vcc_lo, v3, v4
	v_lshl_add_u32 v3, v4, 7, v0
	s_or_not1_b32 s3, vcc_lo, exec_lo
.LBB6_42:
	s_or_b32 exec_lo, exec_lo, s1
	s_delay_alu instid0(SALU_CYCLE_1)
	s_and_b32 exec_lo, exec_lo, s3
	s_cbranch_execz .LBB6_45
; %bb.43:
	v_lshl_add_u32 v4, v3, 2, 0x220
	s_mov_b32 s1, 0
.LBB6_44:                               ; =>This Inner Loop Header: Depth=1
	ds_load_b32 v5, v4
	v_add_nc_u32_e32 v3, 0x80, v3
	s_delay_alu instid0(VALU_DEP_1)
	v_cmp_le_i32_e32 vcc_lo, s15, v3
	s_or_b32 s1, vcc_lo, s1
	s_wait_dscnt 0x0
	v_mul_f32_e32 v5, v2, v5
	ds_store_b32 v4, v5
	v_add_nc_u32_e32 v4, 0x200, v4
	s_and_not1_b32 exec_lo, exec_lo, s1
	s_cbranch_execnz .LBB6_44
.LBB6_45:
	s_or_b32 exec_lo, exec_lo, s0
	v_dual_mov_b32 v40, 0 :: v_dual_bitop2_b32 v54, 1, v0 bitop3:0x40
	v_dual_mov_b32 v43, 0 :: v_dual_mov_b32 v42, 0
	v_dual_mov_b32 v45, 0 :: v_dual_mov_b32 v44, 0
	v_dual_mov_b32 v47, 0 :: v_dual_mov_b32 v46, 0
	s_wait_dscnt 0x0
	s_barrier_signal -1
	s_barrier_wait -1
	s_and_saveexec_b32 s1, s2
	s_cbranch_execz .LBB6_67
; %bb.46:
	s_abs_i32 s10, s10
	v_dual_lshlrev_b32 v4, 2, v0 :: v_dual_lshlrev_b32 v3, 4, v0
	s_cvt_f32_u32 s0, s10
	v_dual_mov_b32 v39, 0 :: v_dual_lshlrev_b32 v5, 4, v54
	s_ashr_i32 s15, s14, 31
	s_delay_alu instid0(SALU_CYCLE_1)
	v_rcp_iflag_f32_e32 v2, s0
	s_lshl_b64 s[14:15], s[14:15], 2
	s_sub_co_i32 s24, s8, s9
	s_wait_kmcnt 0x0
	s_add_nc_u64 s[14:15], s[22:23], s[14:15]
	s_sub_co_i32 s8, 0, s10
	v_dual_mov_b32 v46, v39 :: v_dual_mov_b32 v47, v39
	v_readfirstlane_b32 s0, v2
	v_and_b32_e32 v2, 0x1f0, v3
	v_dual_mov_b32 v3, v39 :: v_dual_bitop2_b32 v55, 4, v4 bitop3:0x40
	v_lshl_or_b32 v4, v1, 5, v5
	s_mul_f32 s0, s0, 0x4f7ffffe
	v_mov_b32_e32 v57, v1
	s_delay_alu instid0(VALU_DEP_3)
	v_add_nc_u64_e32 v[48:49], s[14:15], v[2:3]
	v_and_b32_e32 v2, 0x7c, v8
	s_lshl_b64 s[14:15], s[18:19], 2
	s_cvt_u32_f32 s0, s0
	s_add_nc_u64 s[14:15], s[20:21], s[14:15]
	v_add_nc_u32_e32 v56, 0x220, v4
	v_add_nc_u64_e32 v[50:51], s[14:15], v[2:3]
	s_mul_i32 s8, s8, s0
	v_dual_mov_b32 v44, v39 :: v_dual_mov_b32 v45, v39
	v_dual_mov_b32 v42, v39 :: v_dual_mov_b32 v43, v39
	;; [unrolled: 1-line block ×3, first 2 shown]
	s_mov_b32 s9, 0
	s_mul_hi_u32 s8, s0, s8
	s_ashr_i32 s3, s13, 31
	s_mov_b32 s2, s13
	s_add_co_i32 s13, s34, -1
	s_mov_b32 s14, s31
	s_add_co_i32 s8, s0, s8
	s_mov_b32 s15, s9
	s_branch .LBB6_49
.LBB6_47:                               ;   in Loop: Header=BB6_49 Depth=1
	s_or_b32 exec_lo, exec_lo, s0
	s_wait_loadcnt_dscnt 0x200
	v_mul_f32_e32 v26, v6, v26
	s_wait_loadcnt 0x1
	v_mul_f32_e32 v30, v6, v30
	v_mul_f32_e32 v18, v6, v18
	s_delay_alu instid0(VALU_DEP_3) | instskip(NEXT) | instid1(VALU_DEP_3)
	v_dual_mul_f32 v10, v6, v10 :: v_dual_fmac_f32 v26, v7, v27
	v_dual_fmac_f32 v30, v7, v31 :: v_dual_mul_f32 v58, v6, v22
	s_delay_alu instid0(VALU_DEP_2) | instskip(NEXT) | instid1(VALU_DEP_2)
	v_dual_mul_f32 v14, v6, v14 :: v_dual_fmac_f32 v26, v8, v28
	v_fmac_f32_e32 v30, v8, v32
	s_delay_alu instid0(VALU_DEP_3) | instskip(SKIP_2) | instid1(VALU_DEP_3)
	v_fmac_f32_e32 v58, v7, v23
	s_wait_loadcnt 0x0
	v_pk_mul_f32 v[22:23], v[6:7], v[34:35]
	v_fmac_f32_e32 v30, v9, v33
	s_delay_alu instid0(VALU_DEP_3) | instskip(NEXT) | instid1(VALU_DEP_2)
	v_dual_fmac_f32 v58, v8, v24 :: v_dual_mul_f32 v24, v6, v2
	v_dual_fmac_f32 v26, v9, v29 :: v_dual_add_f32 v40, v40, v30
	s_delay_alu instid0(VALU_DEP_1) | instskip(NEXT) | instid1(VALU_DEP_1)
	v_dual_fmac_f32 v58, v9, v25 :: v_dual_add_f32 v43, v43, v26
	v_dual_fmac_f32 v18, v7, v19 :: v_dual_add_f32 v42, v42, v58
	s_delay_alu instid0(VALU_DEP_4) | instskip(SKIP_1) | instid1(VALU_DEP_3)
	v_fmac_f32_e32 v24, v7, v3
	v_pk_mul_f32 v[2:3], v[8:9], v[36:37]
	v_fmac_f32_e32 v18, v8, v20
	s_delay_alu instid0(VALU_DEP_3) | instskip(NEXT) | instid1(VALU_DEP_1)
	v_dual_fmac_f32 v14, v7, v15 :: v_dual_fmac_f32 v24, v8, v4
	v_dual_add_f32 v6, v23, v22 :: v_dual_fmac_f32 v14, v8, v16
	s_delay_alu instid0(VALU_DEP_2) | instskip(NEXT) | instid1(VALU_DEP_2)
	v_dual_fmac_f32 v10, v7, v11 :: v_dual_fmac_f32 v24, v9, v5
	v_dual_add_f32 v2, v2, v6 :: v_dual_fmac_f32 v18, v9, v21
	s_delay_alu instid0(VALU_DEP_2) | instskip(NEXT) | instid1(VALU_DEP_2)
	v_fmac_f32_e32 v10, v8, v12
	v_dual_add_f32 v46, v46, v24 :: v_dual_add_f32 v2, v3, v2
	s_delay_alu instid0(VALU_DEP_3) | instskip(NEXT) | instid1(VALU_DEP_3)
	v_add_f32_e32 v45, v45, v18
	v_fmac_f32_e32 v10, v9, v13
	v_fmac_f32_e32 v14, v9, v17
	s_delay_alu instid0(VALU_DEP_4) | instskip(NEXT) | instid1(VALU_DEP_3)
	v_add_f32_e32 v41, v41, v2
	v_add_f32_e32 v47, v47, v10
	s_delay_alu instid0(VALU_DEP_3)
	v_add_f32_e32 v44, v44, v14
.LBB6_48:                               ;   in Loop: Header=BB6_49 Depth=1
	s_or_b32 exec_lo, exec_lo, s18
	v_dual_add_nc_u32 v57, 4, v57 :: v_dual_add_nc_u32 v38, 32, v38
	v_add_nc_u64_e32 v[50:51], 16, v[50:51]
	v_add_nc_u32_e32 v56, 0x80, v56
	s_delay_alu instid0(VALU_DEP_3) | instskip(SKIP_1) | instid1(SALU_CYCLE_1)
	v_cmp_le_i32_e32 vcc_lo, s34, v57
	s_or_b32 s15, vcc_lo, s15
	s_and_not1_b32 exec_lo, exec_lo, s15
	s_cbranch_execz .LBB6_66
.LBB6_49:                               ; =>This Inner Loop Header: Depth=1
	v_mul_u64_e32 v[2:3], s[16:17], v[38:39]
	s_delay_alu instid0(VALU_DEP_1) | instskip(NEXT) | instid1(VALU_DEP_1)
	v_mul_lo_u32 v2, v3, s12
	v_dual_add_nc_u32 v4, 1, v3 :: v_dual_sub_nc_u32 v2, v38, v2
	s_delay_alu instid0(VALU_DEP_1) | instskip(SKIP_1) | instid1(VALU_DEP_2)
	v_subrev_nc_u32_e32 v5, s12, v2
	v_cmp_le_u32_e32 vcc_lo, s12, v2
	v_dual_cndmask_b32 v3, v3, v4 :: v_dual_cndmask_b32 v2, v2, v5
	s_delay_alu instid0(VALU_DEP_1) | instskip(NEXT) | instid1(VALU_DEP_2)
	v_add_nc_u32_e32 v4, 1, v3
	v_cmp_le_u32_e32 vcc_lo, s12, v2
	s_delay_alu instid0(VALU_DEP_2) | instskip(NEXT) | instid1(VALU_DEP_1)
	v_cndmask_b32_e32 v2, v3, v4, vcc_lo
	v_dual_mov_b32 v3, v39 :: v_dual_bitop2_b32 v2, s11, v2 bitop3:0x14
	s_delay_alu instid0(VALU_DEP_1) | instskip(NEXT) | instid1(VALU_DEP_1)
	v_subrev_nc_u32_e32 v6, s11, v2
	v_add_nc_u32_e32 v7, s33, v6
	v_cmp_lt_i32_e64 s0, s24, v6
	s_delay_alu instid0(VALU_DEP_2) | instskip(NEXT) | instid1(VALU_DEP_1)
	v_sub_nc_u32_e32 v2, 0, v7
	v_max_i32_e32 v2, v7, v2
	s_delay_alu instid0(VALU_DEP_1) | instskip(SKIP_1) | instid1(VALU_DEP_2)
	v_mul_u64_e32 v[4:5], s[8:9], v[2:3]
	v_ashrrev_i32_e32 v4, 31, v7
	v_mul_lo_u32 v3, v5, s10
	s_delay_alu instid0(VALU_DEP_1) | instskip(NEXT) | instid1(VALU_DEP_1)
	v_sub_nc_u32_e32 v2, v2, v3
	v_subrev_nc_u32_e32 v3, s10, v2
	v_cmp_le_u32_e32 vcc_lo, s10, v2
	s_delay_alu instid0(VALU_DEP_2) | instskip(NEXT) | instid1(VALU_DEP_1)
	v_cndmask_b32_e32 v2, v2, v3, vcc_lo
	v_subrev_nc_u32_e32 v3, s10, v2
	v_cmp_le_u32_e32 vcc_lo, s10, v2
	s_delay_alu instid0(VALU_DEP_2) | instskip(NEXT) | instid1(VALU_DEP_1)
	v_cndmask_b32_e32 v2, v2, v3, vcc_lo
	v_xor_b32_e32 v2, v2, v4
	s_delay_alu instid0(VALU_DEP_1) | instskip(NEXT) | instid1(VALU_DEP_1)
	v_sub_nc_u32_e32 v2, v2, v4
	v_cmp_eq_u32_e32 vcc_lo, 0, v2
	s_or_b32 s0, vcc_lo, s0
	s_delay_alu instid0(SALU_CYCLE_1)
	s_and_saveexec_b32 s18, s0
	s_cbranch_execz .LBB6_48
; %bb.50:                               ;   in Loop: Header=BB6_49 Depth=1
	global_load_b32 v2, v[50:51], off
	ds_load_b128 v[6:9], v56
	v_add_nc_u32_e32 v58, v55, v38
	v_cmp_eq_u32_e32 vcc_lo, s13, v57
	s_delay_alu instid0(VALU_DEP_2) | instskip(SKIP_3) | instid1(VALU_DEP_1)
	v_dual_add_nc_u32 v61, 1, v58 :: v_dual_bitop2_b32 v60, 3, v58 bitop3:0x54
	v_or_b32_e32 v59, 2, v58
	s_wait_loadcnt 0x0
	v_ashrrev_i32_e32 v3, 31, v2
	v_mul_u64_e32 v[2:3], s[2:3], v[2:3]
	s_delay_alu instid0(VALU_DEP_1)
	v_lshl_add_u64 v[34:35], v[2:3], 2, v[48:49]
	global_load_b128 v[2:5], v[34:35], off
	s_wait_xcnt 0x0
	s_and_saveexec_b32 s19, vcc_lo
	s_cbranch_execnz .LBB6_58
; %bb.51:                               ;   in Loop: Header=BB6_49 Depth=1
	s_or_b32 exec_lo, exec_lo, s19
	global_load_b128 v[10:13], v[34:35], off offset:512
	s_wait_xcnt 0x0
	s_and_saveexec_b32 s19, vcc_lo
	s_cbranch_execnz .LBB6_59
.LBB6_52:                               ;   in Loop: Header=BB6_49 Depth=1
	s_or_b32 exec_lo, exec_lo, s19
	global_load_b128 v[14:17], v[34:35], off offset:1024
	s_wait_xcnt 0x0
	s_and_saveexec_b32 s19, vcc_lo
	s_cbranch_execnz .LBB6_60
.LBB6_53:                               ;   in Loop: Header=BB6_49 Depth=1
	s_or_b32 exec_lo, exec_lo, s19
	global_load_b128 v[18:21], v[34:35], off offset:1536
	s_wait_xcnt 0x0
	s_and_saveexec_b32 s19, vcc_lo
	s_cbranch_execnz .LBB6_61
.LBB6_54:                               ;   in Loop: Header=BB6_49 Depth=1
	s_or_b32 exec_lo, exec_lo, s19
	global_load_b128 v[22:25], v[34:35], off offset:2048
	s_wait_xcnt 0x0
	s_and_saveexec_b32 s19, vcc_lo
	s_cbranch_execnz .LBB6_62
.LBB6_55:                               ;   in Loop: Header=BB6_49 Depth=1
	s_or_b32 exec_lo, exec_lo, s19
	global_load_b128 v[26:29], v[34:35], off offset:2560
	s_wait_xcnt 0x0
	s_and_saveexec_b32 s19, vcc_lo
	s_cbranch_execnz .LBB6_63
.LBB6_56:                               ;   in Loop: Header=BB6_49 Depth=1
	s_or_b32 exec_lo, exec_lo, s19
	global_load_b128 v[30:33], v[34:35], off offset:3072
	s_wait_xcnt 0x0
	s_and_saveexec_b32 s19, vcc_lo
	s_cbranch_execnz .LBB6_64
.LBB6_57:                               ;   in Loop: Header=BB6_49 Depth=1
	s_or_b32 exec_lo, exec_lo, s19
	global_load_b128 v[34:37], v[34:35], off offset:3584
	s_wait_xcnt 0x0
	s_and_saveexec_b32 s0, vcc_lo
	s_cbranch_execz .LBB6_47
	s_branch .LBB6_65
.LBB6_58:                               ;   in Loop: Header=BB6_49 Depth=1
	v_cmp_gt_i32_e64 s0, s14, v61
	s_wait_loadcnt 0x0
	s_delay_alu instid0(VALU_DEP_1) | instskip(SKIP_1) | instid1(VALU_DEP_1)
	v_cndmask_b32_e64 v3, 0, v3, s0
	v_cmp_gt_i32_e64 s0, s31, v58
	v_cndmask_b32_e64 v2, 0, v2, s0
	v_cmp_gt_i32_e64 s0, s14, v60
	s_delay_alu instid0(VALU_DEP_1) | instskip(SKIP_1) | instid1(VALU_DEP_1)
	v_cndmask_b32_e64 v5, 0, v5, s0
	v_cmp_gt_i32_e64 s0, s31, v59
	v_cndmask_b32_e64 v4, 0, v4, s0
	s_or_b32 exec_lo, exec_lo, s19
	global_load_b128 v[10:13], v[34:35], off offset:512
	s_wait_xcnt 0x0
	s_and_saveexec_b32 s19, vcc_lo
	s_cbranch_execz .LBB6_52
.LBB6_59:                               ;   in Loop: Header=BB6_49 Depth=1
	v_cmp_gt_i32_e64 s0, s14, v61
	s_wait_loadcnt 0x0
	s_delay_alu instid0(VALU_DEP_1) | instskip(SKIP_1) | instid1(VALU_DEP_1)
	v_cndmask_b32_e64 v11, 0, v11, s0
	v_cmp_gt_i32_e64 s0, s31, v58
	v_cndmask_b32_e64 v10, 0, v10, s0
	v_cmp_gt_i32_e64 s0, s14, v60
	s_delay_alu instid0(VALU_DEP_1) | instskip(SKIP_1) | instid1(VALU_DEP_1)
	v_cndmask_b32_e64 v13, 0, v13, s0
	v_cmp_gt_i32_e64 s0, s31, v59
	v_cndmask_b32_e64 v12, 0, v12, s0
	s_or_b32 exec_lo, exec_lo, s19
	global_load_b128 v[14:17], v[34:35], off offset:1024
	s_wait_xcnt 0x0
	s_and_saveexec_b32 s19, vcc_lo
	s_cbranch_execz .LBB6_53
.LBB6_60:                               ;   in Loop: Header=BB6_49 Depth=1
	v_cmp_gt_i32_e64 s0, s14, v61
	s_wait_loadcnt 0x0
	s_delay_alu instid0(VALU_DEP_1) | instskip(SKIP_1) | instid1(VALU_DEP_1)
	v_cndmask_b32_e64 v15, 0, v15, s0
	v_cmp_gt_i32_e64 s0, s31, v58
	v_cndmask_b32_e64 v14, 0, v14, s0
	v_cmp_gt_i32_e64 s0, s14, v60
	s_delay_alu instid0(VALU_DEP_1) | instskip(SKIP_1) | instid1(VALU_DEP_1)
	v_cndmask_b32_e64 v17, 0, v17, s0
	v_cmp_gt_i32_e64 s0, s31, v59
	v_cndmask_b32_e64 v16, 0, v16, s0
	s_or_b32 exec_lo, exec_lo, s19
	global_load_b128 v[18:21], v[34:35], off offset:1536
	s_wait_xcnt 0x0
	s_and_saveexec_b32 s19, vcc_lo
	s_cbranch_execz .LBB6_54
.LBB6_61:                               ;   in Loop: Header=BB6_49 Depth=1
	v_cmp_gt_i32_e64 s0, s14, v61
	s_wait_loadcnt 0x0
	s_delay_alu instid0(VALU_DEP_1) | instskip(SKIP_1) | instid1(VALU_DEP_1)
	v_cndmask_b32_e64 v19, 0, v19, s0
	v_cmp_gt_i32_e64 s0, s31, v58
	v_cndmask_b32_e64 v18, 0, v18, s0
	v_cmp_gt_i32_e64 s0, s14, v60
	s_delay_alu instid0(VALU_DEP_1) | instskip(SKIP_1) | instid1(VALU_DEP_1)
	v_cndmask_b32_e64 v21, 0, v21, s0
	v_cmp_gt_i32_e64 s0, s31, v59
	v_cndmask_b32_e64 v20, 0, v20, s0
	s_or_b32 exec_lo, exec_lo, s19
	global_load_b128 v[22:25], v[34:35], off offset:2048
	s_wait_xcnt 0x0
	s_and_saveexec_b32 s19, vcc_lo
	s_cbranch_execz .LBB6_55
.LBB6_62:                               ;   in Loop: Header=BB6_49 Depth=1
	v_cmp_gt_i32_e64 s0, s14, v61
	s_wait_loadcnt 0x0
	s_delay_alu instid0(VALU_DEP_1) | instskip(SKIP_1) | instid1(VALU_DEP_1)
	v_cndmask_b32_e64 v23, 0, v23, s0
	v_cmp_gt_i32_e64 s0, s31, v58
	v_cndmask_b32_e64 v22, 0, v22, s0
	v_cmp_gt_i32_e64 s0, s14, v60
	s_delay_alu instid0(VALU_DEP_1) | instskip(SKIP_1) | instid1(VALU_DEP_1)
	v_cndmask_b32_e64 v25, 0, v25, s0
	v_cmp_gt_i32_e64 s0, s31, v59
	v_cndmask_b32_e64 v24, 0, v24, s0
	s_or_b32 exec_lo, exec_lo, s19
	global_load_b128 v[26:29], v[34:35], off offset:2560
	s_wait_xcnt 0x0
	s_and_saveexec_b32 s19, vcc_lo
	s_cbranch_execz .LBB6_56
.LBB6_63:                               ;   in Loop: Header=BB6_49 Depth=1
	v_cmp_gt_i32_e64 s0, s14, v61
	s_wait_loadcnt 0x0
	s_delay_alu instid0(VALU_DEP_1) | instskip(SKIP_1) | instid1(VALU_DEP_1)
	v_cndmask_b32_e64 v27, 0, v27, s0
	v_cmp_gt_i32_e64 s0, s31, v58
	v_cndmask_b32_e64 v26, 0, v26, s0
	v_cmp_gt_i32_e64 s0, s14, v60
	s_delay_alu instid0(VALU_DEP_1) | instskip(SKIP_1) | instid1(VALU_DEP_1)
	v_cndmask_b32_e64 v29, 0, v29, s0
	v_cmp_gt_i32_e64 s0, s31, v59
	v_cndmask_b32_e64 v28, 0, v28, s0
	s_or_b32 exec_lo, exec_lo, s19
	global_load_b128 v[30:33], v[34:35], off offset:3072
	s_wait_xcnt 0x0
	s_and_saveexec_b32 s19, vcc_lo
	s_cbranch_execz .LBB6_57
.LBB6_64:                               ;   in Loop: Header=BB6_49 Depth=1
	v_cmp_gt_i32_e64 s0, s14, v61
	s_wait_loadcnt 0x0
	s_delay_alu instid0(VALU_DEP_1) | instskip(SKIP_1) | instid1(VALU_DEP_1)
	v_cndmask_b32_e64 v31, 0, v31, s0
	v_cmp_gt_i32_e64 s0, s31, v58
	v_cndmask_b32_e64 v30, 0, v30, s0
	v_cmp_gt_i32_e64 s0, s14, v60
	s_delay_alu instid0(VALU_DEP_1) | instskip(SKIP_1) | instid1(VALU_DEP_1)
	v_cndmask_b32_e64 v33, 0, v33, s0
	v_cmp_gt_i32_e64 s0, s31, v59
	v_cndmask_b32_e64 v32, 0, v32, s0
	s_or_b32 exec_lo, exec_lo, s19
	global_load_b128 v[34:37], v[34:35], off offset:3584
	s_wait_xcnt 0x0
	s_and_saveexec_b32 s0, vcc_lo
	s_cbranch_execz .LBB6_47
.LBB6_65:                               ;   in Loop: Header=BB6_49 Depth=1
	v_cmp_gt_i32_e32 vcc_lo, s14, v61
	s_wait_loadcnt 0x0
	v_cndmask_b32_e32 v35, 0, v35, vcc_lo
	v_cmp_gt_i32_e32 vcc_lo, s31, v58
	v_cndmask_b32_e32 v34, 0, v34, vcc_lo
	v_cmp_gt_i32_e32 vcc_lo, s14, v60
	;; [unrolled: 2-line block ×3, first 2 shown]
	v_cndmask_b32_e32 v36, 0, v36, vcc_lo
	s_branch .LBB6_47
.LBB6_66:
	s_or_b32 exec_lo, exec_lo, s15
.LBB6_67:
	s_delay_alu instid0(SALU_CYCLE_1)
	s_or_b32 exec_lo, exec_lo, s1
	ds_bpermute_b32 v2, v53, v46
	ds_bpermute_b32 v3, v53, v47
	;; [unrolled: 1-line block ×8, first 2 shown]
	v_and_b32_e32 v10, 0x3c1, v0
	v_lshrrev_b32_e32 v11, 1, v52
	s_mov_b32 s0, exec_lo
	s_wait_dscnt 0x0
	s_barrier_signal -1
	s_barrier_wait -1
	v_pk_add_f32 v[6:7], v[46:47], v[2:3]
	v_pk_add_f32 v[4:5], v[44:45], v[4:5]
	;; [unrolled: 1-line block ×3, first 2 shown]
	v_cmpx_ne_u32_e32 64, v10
	s_xor_b32 s0, exec_lo, s0
	s_delay_alu instid0(SALU_CYCLE_1)
	s_or_saveexec_b32 s0, s0
	v_pk_add_f32 v[8:9], v[40:41], v[8:9]
	v_lshl_add_u32 v10, v11, 2, 0x220
	v_lshlrev_b32_e32 v1, 9, v1
	s_xor_b32 exec_lo, exec_lo, s0
	s_cbranch_execz .LBB6_69
; %bb.68:
	s_delay_alu instid0(VALU_DEP_1) | instskip(NEXT) | instid1(VALU_DEP_1)
	v_add_nc_u32_e32 v12, v10, v1
	v_add_nc_u32_e32 v13, 0xfffffc00, v12
	;; [unrolled: 1-line block ×9, first 2 shown]
	ds_store_b32 v13, v6
	ds_store_b32 v14, v7
	;; [unrolled: 1-line block ×8, first 2 shown]
.LBB6_69:
	s_or_b32 exec_lo, exec_lo, s0
	v_lshlrev_b32_e32 v11, 2, v11
	s_mov_b32 s1, exec_lo
	v_cmp_eq_u32_e32 vcc_lo, 0, v54
	s_wait_dscnt 0x0
	s_barrier_signal -1
	v_add3_u32 v1, 0x220, v1, v11
	s_barrier_wait -1
	v_cmpx_gt_u32_e32 64, v0
	s_cbranch_execz .LBB6_80
; %bb.70:
	s_and_saveexec_b32 s0, vcc_lo
	s_cbranch_execnz .LBB6_96
; %bb.71:
	s_or_b32 exec_lo, exec_lo, s0
	s_and_saveexec_b32 s0, vcc_lo
	s_cbranch_execnz .LBB6_97
.LBB6_72:
	s_or_b32 exec_lo, exec_lo, s0
	s_and_saveexec_b32 s0, vcc_lo
	s_cbranch_execnz .LBB6_98
.LBB6_73:
	s_or_b32 exec_lo, exec_lo, s0
	s_and_saveexec_b32 s0, vcc_lo
	s_cbranch_execnz .LBB6_99
.LBB6_74:
	s_or_b32 exec_lo, exec_lo, s0
	s_and_saveexec_b32 s0, vcc_lo
	s_cbranch_execnz .LBB6_100
.LBB6_75:
	s_or_b32 exec_lo, exec_lo, s0
	s_and_saveexec_b32 s0, vcc_lo
	s_cbranch_execnz .LBB6_101
.LBB6_76:
	s_or_b32 exec_lo, exec_lo, s0
	s_and_saveexec_b32 s0, vcc_lo
	s_cbranch_execnz .LBB6_102
.LBB6_77:
	s_or_b32 exec_lo, exec_lo, s0
	s_and_saveexec_b32 s0, vcc_lo
	s_cbranch_execz .LBB6_79
.LBB6_78:
	ds_load_b32 v11, v1 offset:448
	s_wait_dscnt 0x0
	v_add_f32_e32 v9, v9, v11
.LBB6_79:
	s_or_b32 exec_lo, exec_lo, s0
.LBB6_80:
	s_delay_alu instid0(SALU_CYCLE_1) | instskip(SKIP_4) | instid1(VALU_DEP_1)
	s_or_b32 exec_lo, exec_lo, s1
	v_and_b32_e32 v11, 0x3e1, v0
	s_mov_b32 s1, exec_lo
	s_barrier_signal -1
	s_barrier_wait -1
	v_cmpx_eq_u32_e32 32, v11
	s_cbranch_execz .LBB6_82
; %bb.81:
	ds_store_2addr_b32 v10, v6, v7 offset1:16
	ds_store_2addr_b32 v10, v4, v5 offset0:32 offset1:48
	ds_store_2addr_b32 v10, v2, v3 offset0:64 offset1:80
	;; [unrolled: 1-line block ×3, first 2 shown]
.LBB6_82:
	s_or_b32 exec_lo, exec_lo, s1
	s_delay_alu instid0(SALU_CYCLE_1)
	s_mov_b32 s1, exec_lo
	s_wait_dscnt 0x0
	s_barrier_signal -1
	s_barrier_wait -1
	v_cmpx_gt_u32_e32 32, v0
	s_cbranch_execz .LBB6_93
; %bb.83:
	s_and_saveexec_b32 s0, vcc_lo
	s_cbranch_execnz .LBB6_103
; %bb.84:
	s_or_b32 exec_lo, exec_lo, s0
	s_and_saveexec_b32 s0, vcc_lo
	s_cbranch_execnz .LBB6_104
.LBB6_85:
	s_or_b32 exec_lo, exec_lo, s0
	s_and_saveexec_b32 s0, vcc_lo
	s_cbranch_execnz .LBB6_105
.LBB6_86:
	s_or_b32 exec_lo, exec_lo, s0
	s_and_saveexec_b32 s0, vcc_lo
	s_cbranch_execnz .LBB6_106
.LBB6_87:
	s_or_b32 exec_lo, exec_lo, s0
	s_and_saveexec_b32 s0, vcc_lo
	s_cbranch_execnz .LBB6_107
.LBB6_88:
	s_or_b32 exec_lo, exec_lo, s0
	s_and_saveexec_b32 s0, vcc_lo
	s_cbranch_execnz .LBB6_108
.LBB6_89:
	s_or_b32 exec_lo, exec_lo, s0
	s_and_saveexec_b32 s0, vcc_lo
	s_cbranch_execnz .LBB6_109
.LBB6_90:
	s_or_b32 exec_lo, exec_lo, s0
	s_and_saveexec_b32 s0, vcc_lo
	s_cbranch_execz .LBB6_92
.LBB6_91:
	ds_load_b32 v1, v1 offset:448
	s_wait_dscnt 0x0
	v_add_f32_e32 v9, v9, v1
.LBB6_92:
	s_or_b32 exec_lo, exec_lo, s0
.LBB6_93:
	s_delay_alu instid0(SALU_CYCLE_1)
	s_or_b32 exec_lo, exec_lo, s1
	s_mov_b32 s1, 0
	s_barrier_signal -1
	s_barrier_wait -1
	s_mov_b32 s0, exec_lo
	v_cmpx_eq_u32_e32 0, v11
	s_cbranch_execz .LBB6_95
; %bb.94:
	s_mul_i32 s0, s30, s7
	s_mul_i32 s2, s7, s6
	;; [unrolled: 1-line block ×3, first 2 shown]
	s_lshr_b32 s8, ttmp7, 16
	s_lshl_b32 s6, s0, 7
	s_bfe_u32 s0, ttmp6, 0x40014
	s_ashr_i32 s7, s6, 31
	s_add_co_i32 s0, s0, 1
	s_lshl_b64 s[6:7], s[6:7], 2
	s_ashr_i32 s3, s2, 31
	s_wait_kmcnt 0x0
	s_add_nc_u64 s[4:5], s[4:5], s[6:7]
	s_mul_i32 s0, s8, s0
	s_bfe_u32 s6, ttmp6, 0x40008
	s_lshl_b64 s[2:3], s[2:3], 2
	s_add_co_i32 s6, s6, s0
	s_cmp_eq_u32 s28, 0
	v_lshlrev_b32_e32 v0, 1, v0
	s_cselect_b32 s0, s8, s6
	s_add_nc_u64 s[2:3], s[4:5], s[2:3]
	s_lshl_b32 s0, s0, 9
	s_delay_alu instid0(SALU_CYCLE_1)
	s_add_nc_u64 s[0:1], s[2:3], s[0:1]
	s_clause 0x7
	global_store_b32 v0, v6, s[0:1]
	global_store_b32 v0, v7, s[0:1] offset:64
	global_store_b32 v0, v4, s[0:1] offset:128
	;; [unrolled: 1-line block ×7, first 2 shown]
.LBB6_95:
	s_endpgm
.LBB6_96:
	ds_load_b32 v11, v1
	s_wait_dscnt 0x0
	v_add_f32_e32 v6, v6, v11
	s_or_b32 exec_lo, exec_lo, s0
	s_and_saveexec_b32 s0, vcc_lo
	s_cbranch_execz .LBB6_72
.LBB6_97:
	ds_load_b32 v11, v1 offset:64
	s_wait_dscnt 0x0
	v_add_f32_e32 v7, v7, v11
	s_or_b32 exec_lo, exec_lo, s0
	s_and_saveexec_b32 s0, vcc_lo
	s_cbranch_execz .LBB6_73
.LBB6_98:
	ds_load_b32 v11, v1 offset:128
	s_wait_dscnt 0x0
	v_add_f32_e32 v4, v4, v11
	s_or_b32 exec_lo, exec_lo, s0
	s_and_saveexec_b32 s0, vcc_lo
	s_cbranch_execz .LBB6_74
.LBB6_99:
	ds_load_b32 v11, v1 offset:192
	s_wait_dscnt 0x0
	v_add_f32_e32 v5, v5, v11
	s_or_b32 exec_lo, exec_lo, s0
	s_and_saveexec_b32 s0, vcc_lo
	s_cbranch_execz .LBB6_75
.LBB6_100:
	ds_load_b32 v11, v1 offset:256
	s_wait_dscnt 0x0
	v_add_f32_e32 v2, v2, v11
	s_or_b32 exec_lo, exec_lo, s0
	s_and_saveexec_b32 s0, vcc_lo
	s_cbranch_execz .LBB6_76
.LBB6_101:
	ds_load_b32 v11, v1 offset:320
	s_wait_dscnt 0x0
	v_add_f32_e32 v3, v3, v11
	s_or_b32 exec_lo, exec_lo, s0
	s_and_saveexec_b32 s0, vcc_lo
	s_cbranch_execz .LBB6_77
.LBB6_102:
	ds_load_b32 v11, v1 offset:384
	s_wait_dscnt 0x0
	v_add_f32_e32 v8, v8, v11
	s_or_b32 exec_lo, exec_lo, s0
	s_and_saveexec_b32 s0, vcc_lo
	s_cbranch_execnz .LBB6_78
	s_branch .LBB6_79
.LBB6_103:
	ds_load_b32 v10, v1
	s_wait_dscnt 0x0
	v_add_f32_e32 v6, v6, v10
	s_or_b32 exec_lo, exec_lo, s0
	s_and_saveexec_b32 s0, vcc_lo
	s_cbranch_execz .LBB6_85
.LBB6_104:
	ds_load_b32 v10, v1 offset:64
	s_wait_dscnt 0x0
	v_add_f32_e32 v7, v7, v10
	s_or_b32 exec_lo, exec_lo, s0
	s_and_saveexec_b32 s0, vcc_lo
	s_cbranch_execz .LBB6_86
.LBB6_105:
	ds_load_b32 v10, v1 offset:128
	s_wait_dscnt 0x0
	v_add_f32_e32 v4, v4, v10
	s_or_b32 exec_lo, exec_lo, s0
	s_and_saveexec_b32 s0, vcc_lo
	s_cbranch_execz .LBB6_87
.LBB6_106:
	ds_load_b32 v10, v1 offset:192
	s_wait_dscnt 0x0
	v_add_f32_e32 v5, v5, v10
	s_or_b32 exec_lo, exec_lo, s0
	s_and_saveexec_b32 s0, vcc_lo
	s_cbranch_execz .LBB6_88
.LBB6_107:
	ds_load_b32 v10, v1 offset:256
	s_wait_dscnt 0x0
	v_add_f32_e32 v2, v2, v10
	s_or_b32 exec_lo, exec_lo, s0
	s_and_saveexec_b32 s0, vcc_lo
	s_cbranch_execz .LBB6_89
.LBB6_108:
	ds_load_b32 v10, v1 offset:320
	s_wait_dscnt 0x0
	v_add_f32_e32 v3, v3, v10
	s_or_b32 exec_lo, exec_lo, s0
	s_and_saveexec_b32 s0, vcc_lo
	s_cbranch_execz .LBB6_90
.LBB6_109:
	ds_load_b32 v10, v1 offset:384
	s_wait_dscnt 0x0
	v_add_f32_e32 v8, v8, v10
	s_or_b32 exec_lo, exec_lo, s0
	s_and_saveexec_b32 s0, vcc_lo
	s_cbranch_execnz .LBB6_91
	s_branch .LBB6_92
	.section	.rodata,"a",@progbits
	.p2align	6, 0x0
	.amdhsa_kernel _ZN4vllm25paged_attention_v1_kernelIffLi128ELi8ELi128ELNS_18Fp8KVCacheDataTypeE0ELb1EEEvPT_PKS2_PKT0_S8_ifPKiSA_iPKfiiiSC_SC_iiiii
		.amdhsa_group_segment_fixed_size 544
		.amdhsa_private_segment_fixed_size 0
		.amdhsa_kernarg_size 384
		.amdhsa_user_sgpr_count 2
		.amdhsa_user_sgpr_dispatch_ptr 0
		.amdhsa_user_sgpr_queue_ptr 0
		.amdhsa_user_sgpr_kernarg_segment_ptr 1
		.amdhsa_user_sgpr_dispatch_id 0
		.amdhsa_user_sgpr_kernarg_preload_length 0
		.amdhsa_user_sgpr_kernarg_preload_offset 0
		.amdhsa_user_sgpr_private_segment_size 0
		.amdhsa_wavefront_size32 1
		.amdhsa_uses_dynamic_stack 0
		.amdhsa_enable_private_segment 0
		.amdhsa_system_sgpr_workgroup_id_x 1
		.amdhsa_system_sgpr_workgroup_id_y 1
		.amdhsa_system_sgpr_workgroup_id_z 1
		.amdhsa_system_sgpr_workgroup_info 0
		.amdhsa_system_vgpr_workitem_id 0
		.amdhsa_next_free_vgpr 62
		.amdhsa_next_free_sgpr 40
		.amdhsa_named_barrier_count 0
		.amdhsa_reserve_vcc 1
		.amdhsa_float_round_mode_32 0
		.amdhsa_float_round_mode_16_64 0
		.amdhsa_float_denorm_mode_32 3
		.amdhsa_float_denorm_mode_16_64 3
		.amdhsa_fp16_overflow 0
		.amdhsa_memory_ordered 1
		.amdhsa_forward_progress 1
		.amdhsa_inst_pref_size 56
		.amdhsa_round_robin_scheduling 0
		.amdhsa_exception_fp_ieee_invalid_op 0
		.amdhsa_exception_fp_denorm_src 0
		.amdhsa_exception_fp_ieee_div_zero 0
		.amdhsa_exception_fp_ieee_overflow 0
		.amdhsa_exception_fp_ieee_underflow 0
		.amdhsa_exception_fp_ieee_inexact 0
		.amdhsa_exception_int_div_zero 0
	.end_amdhsa_kernel
	.section	.text._ZN4vllm25paged_attention_v1_kernelIffLi128ELi8ELi128ELNS_18Fp8KVCacheDataTypeE0ELb1EEEvPT_PKS2_PKT0_S8_ifPKiSA_iPKfiiiSC_SC_iiiii,"axG",@progbits,_ZN4vllm25paged_attention_v1_kernelIffLi128ELi8ELi128ELNS_18Fp8KVCacheDataTypeE0ELb1EEEvPT_PKS2_PKT0_S8_ifPKiSA_iPKfiiiSC_SC_iiiii,comdat
.Lfunc_end6:
	.size	_ZN4vllm25paged_attention_v1_kernelIffLi128ELi8ELi128ELNS_18Fp8KVCacheDataTypeE0ELb1EEEvPT_PKS2_PKT0_S8_ifPKiSA_iPKfiiiSC_SC_iiiii, .Lfunc_end6-_ZN4vllm25paged_attention_v1_kernelIffLi128ELi8ELi128ELNS_18Fp8KVCacheDataTypeE0ELb1EEEvPT_PKS2_PKT0_S8_ifPKiSA_iPKfiiiSC_SC_iiiii
                                        ; -- End function
	.set _ZN4vllm25paged_attention_v1_kernelIffLi128ELi8ELi128ELNS_18Fp8KVCacheDataTypeE0ELb1EEEvPT_PKS2_PKT0_S8_ifPKiSA_iPKfiiiSC_SC_iiiii.num_vgpr, 62
	.set _ZN4vllm25paged_attention_v1_kernelIffLi128ELi8ELi128ELNS_18Fp8KVCacheDataTypeE0ELb1EEEvPT_PKS2_PKT0_S8_ifPKiSA_iPKfiiiSC_SC_iiiii.num_agpr, 0
	.set _ZN4vllm25paged_attention_v1_kernelIffLi128ELi8ELi128ELNS_18Fp8KVCacheDataTypeE0ELb1EEEvPT_PKS2_PKT0_S8_ifPKiSA_iPKfiiiSC_SC_iiiii.numbered_sgpr, 40
	.set _ZN4vllm25paged_attention_v1_kernelIffLi128ELi8ELi128ELNS_18Fp8KVCacheDataTypeE0ELb1EEEvPT_PKS2_PKT0_S8_ifPKiSA_iPKfiiiSC_SC_iiiii.num_named_barrier, 0
	.set _ZN4vllm25paged_attention_v1_kernelIffLi128ELi8ELi128ELNS_18Fp8KVCacheDataTypeE0ELb1EEEvPT_PKS2_PKT0_S8_ifPKiSA_iPKfiiiSC_SC_iiiii.private_seg_size, 0
	.set _ZN4vllm25paged_attention_v1_kernelIffLi128ELi8ELi128ELNS_18Fp8KVCacheDataTypeE0ELb1EEEvPT_PKS2_PKT0_S8_ifPKiSA_iPKfiiiSC_SC_iiiii.uses_vcc, 1
	.set _ZN4vllm25paged_attention_v1_kernelIffLi128ELi8ELi128ELNS_18Fp8KVCacheDataTypeE0ELb1EEEvPT_PKS2_PKT0_S8_ifPKiSA_iPKfiiiSC_SC_iiiii.uses_flat_scratch, 0
	.set _ZN4vllm25paged_attention_v1_kernelIffLi128ELi8ELi128ELNS_18Fp8KVCacheDataTypeE0ELb1EEEvPT_PKS2_PKT0_S8_ifPKiSA_iPKfiiiSC_SC_iiiii.has_dyn_sized_stack, 0
	.set _ZN4vllm25paged_attention_v1_kernelIffLi128ELi8ELi128ELNS_18Fp8KVCacheDataTypeE0ELb1EEEvPT_PKS2_PKT0_S8_ifPKiSA_iPKfiiiSC_SC_iiiii.has_recursion, 0
	.set _ZN4vllm25paged_attention_v1_kernelIffLi128ELi8ELi128ELNS_18Fp8KVCacheDataTypeE0ELb1EEEvPT_PKS2_PKT0_S8_ifPKiSA_iPKfiiiSC_SC_iiiii.has_indirect_call, 0
	.section	.AMDGPU.csdata,"",@progbits
; Kernel info:
; codeLenInByte = 7108
; TotalNumSgprs: 42
; NumVgprs: 62
; ScratchSize: 0
; MemoryBound: 0
; FloatMode: 240
; IeeeMode: 1
; LDSByteSize: 544 bytes/workgroup (compile time only)
; SGPRBlocks: 0
; VGPRBlocks: 3
; NumSGPRsForWavesPerEU: 42
; NumVGPRsForWavesPerEU: 62
; NamedBarCnt: 0
; Occupancy: 16
; WaveLimiterHint : 1
; COMPUTE_PGM_RSRC2:SCRATCH_EN: 0
; COMPUTE_PGM_RSRC2:USER_SGPR: 2
; COMPUTE_PGM_RSRC2:TRAP_HANDLER: 0
; COMPUTE_PGM_RSRC2:TGID_X_EN: 1
; COMPUTE_PGM_RSRC2:TGID_Y_EN: 1
; COMPUTE_PGM_RSRC2:TGID_Z_EN: 1
; COMPUTE_PGM_RSRC2:TIDIG_COMP_CNT: 0
	.section	.text._ZN4vllm25paged_attention_v1_kernelIffLi192ELi8ELi128ELNS_18Fp8KVCacheDataTypeE0ELb1EEEvPT_PKS2_PKT0_S8_ifPKiSA_iPKfiiiSC_SC_iiiii,"axG",@progbits,_ZN4vllm25paged_attention_v1_kernelIffLi192ELi8ELi128ELNS_18Fp8KVCacheDataTypeE0ELb1EEEvPT_PKS2_PKT0_S8_ifPKiSA_iPKfiiiSC_SC_iiiii,comdat
	.protected	_ZN4vllm25paged_attention_v1_kernelIffLi192ELi8ELi128ELNS_18Fp8KVCacheDataTypeE0ELb1EEEvPT_PKS2_PKT0_S8_ifPKiSA_iPKfiiiSC_SC_iiiii ; -- Begin function _ZN4vllm25paged_attention_v1_kernelIffLi192ELi8ELi128ELNS_18Fp8KVCacheDataTypeE0ELb1EEEvPT_PKS2_PKT0_S8_ifPKiSA_iPKfiiiSC_SC_iiiii
	.globl	_ZN4vllm25paged_attention_v1_kernelIffLi192ELi8ELi128ELNS_18Fp8KVCacheDataTypeE0ELb1EEEvPT_PKS2_PKT0_S8_ifPKiSA_iPKfiiiSC_SC_iiiii
	.p2align	8
	.type	_ZN4vllm25paged_attention_v1_kernelIffLi192ELi8ELi128ELNS_18Fp8KVCacheDataTypeE0ELb1EEEvPT_PKS2_PKT0_S8_ifPKiSA_iPKfiiiSC_SC_iiiii,@function
_ZN4vllm25paged_attention_v1_kernelIffLi192ELi8ELi128ELNS_18Fp8KVCacheDataTypeE0ELb1EEEvPT_PKS2_PKT0_S8_ifPKiSA_iPKfiiiSC_SC_iiiii: ; @_ZN4vllm25paged_attention_v1_kernelIffLi192ELi8ELi128ELNS_18Fp8KVCacheDataTypeE0ELb1EEEvPT_PKS2_PKT0_S8_ifPKiSA_iPKfiiiSC_SC_iiiii
; %bb.0:
	s_load_b64 s[22:23], s[0:1], 0x20
	s_bfe_u32 s3, ttmp6, 0x4000c
	s_bfe_u32 s5, ttmp6, 0x40010
	s_and_b32 s4, ttmp7, 0xffff
	s_add_co_i32 s3, s3, 1
	s_add_co_i32 s5, s5, 1
	s_and_b32 s2, ttmp6, 15
	s_bfe_u32 s6, ttmp6, 0x40004
	s_mul_i32 s3, ttmp9, s3
	s_mul_i32 s5, s4, s5
	s_getreg_b32 s28, hwreg(HW_REG_IB_STS2, 6, 4)
	s_add_co_i32 s2, s2, s3
	s_add_co_i32 s3, s6, s5
	s_cmp_eq_u32 s28, 0
	s_clause 0x1
	s_load_b32 s29, s[0:1], 0x80
	s_load_b64 s[6:7], s[0:1], 0x30
	s_cselect_b32 s30, s4, s3
	s_cselect_b32 s2, ttmp9, s2
	s_wait_kmcnt 0x0
	s_abs_i32 s3, s22
	s_delay_alu instid0(SALU_CYCLE_1) | instskip(SKIP_1) | instid1(SALU_CYCLE_2)
	s_cvt_f32_u32 s4, s3
	s_sub_co_i32 s5, 0, s3
	v_rcp_iflag_f32_e32 v1, s4
	s_abs_i32 s8, s29
	v_nop
	s_delay_alu instid0(TRANS32_DEP_1) | instskip(SKIP_1) | instid1(SALU_CYCLE_3)
	v_readfirstlane_b32 s4, v1
	s_mul_f32 s4, s4, 0x4f7ffffe
	s_cvt_u32_f32 s4, s4
	s_delay_alu instid0(SALU_CYCLE_3) | instskip(NEXT) | instid1(SALU_CYCLE_1)
	s_mul_i32 s5, s5, s4
	s_mul_hi_u32 s5, s4, s5
	s_delay_alu instid0(SALU_CYCLE_1) | instskip(SKIP_4) | instid1(SALU_CYCLE_1)
	s_add_co_i32 s4, s4, s5
	s_xor_b32 s5, s29, s22
	s_mul_hi_u32 s4, s8, s4
	s_ashr_i32 s5, s5, 31
	s_mul_i32 s9, s4, s3
	s_sub_co_i32 s8, s8, s9
	s_add_co_i32 s9, s4, 1
	s_sub_co_i32 s10, s8, s3
	s_cmp_ge_u32 s8, s3
	s_cselect_b32 s4, s9, s4
	s_cselect_b32 s8, s10, s8
	s_add_co_i32 s9, s4, 1
	s_cmp_ge_u32 s8, s3
	s_load_b64 s[10:11], s[0:1], 0x40
	s_cselect_b32 s3, s9, s4
	s_delay_alu instid0(SALU_CYCLE_1) | instskip(NEXT) | instid1(SALU_CYCLE_1)
	s_xor_b32 s3, s3, s5
	s_sub_co_i32 s16, s3, s5
	s_mov_b32 s5, 0
	s_abs_i32 s15, s16
	s_mov_b32 s9, s5
	s_cvt_f32_u32 s3, s15
	s_sub_co_i32 s4, 0, s15
	s_mov_b32 s36, s5
	s_delay_alu instid0(SALU_CYCLE_1) | instskip(SKIP_1) | instid1(TRANS32_DEP_1)
	v_rcp_iflag_f32_e32 v1, s3
	v_nop
	v_readfirstlane_b32 s3, v1
	s_mul_f32 s3, s3, 0x4f7ffffe
	s_delay_alu instid0(SALU_CYCLE_3) | instskip(NEXT) | instid1(SALU_CYCLE_3)
	s_cvt_u32_f32 s3, s3
	s_mul_i32 s4, s4, s3
	s_delay_alu instid0(SALU_CYCLE_1)
	s_mul_hi_u32 s8, s3, s4
	s_abs_i32 s4, s2
	s_add_co_i32 s8, s3, s8
	s_wait_kmcnt 0x0
	s_cmp_eq_u64 s[10:11], 0
	s_cbranch_scc1 .LBB7_2
; %bb.1:
	s_ashr_i32 s3, s2, 31
	s_delay_alu instid0(SALU_CYCLE_1) | instskip(NEXT) | instid1(SALU_CYCLE_1)
	s_lshl_b64 s[12:13], s[2:3], 2
	s_add_nc_u64 s[10:11], s[10:11], s[12:13]
	s_load_b32 s36, s[10:11], 0x0
.LBB7_2:
	s_load_b32 s33, s[6:7], s30 offset:0x0 scale_offset
	s_clause 0x1
	s_load_b32 s31, s[0:1], 0x88
	s_load_b96 s[12:14], s[0:1], 0x48
	v_and_b32_e32 v4, 3, v0
	s_ashr_i32 s3, s2, 31
	s_ashr_i32 s18, s16, 31
	s_mul_u64 s[16:17], s[4:5], s[8:9]
	s_wait_xcnt 0x0
	s_mul_i32 s6, s2, 0xc0
	s_mov_b32 s5, exec_lo
	v_cmpx_gt_u32_e32 0xc0, v0
	s_cbranch_execz .LBB7_5
; %bb.3:
	s_load_b64 s[8:9], s[0:1], 0x8
	s_wait_kmcnt 0x0
	s_mul_i32 s10, s12, s30
	s_ashr_i32 s7, s6, 31
	s_ashr_i32 s11, s10, 31
	v_and_b32_e32 v1, 0x3fc, v0
	s_lshl_b64 s[10:11], s[10:11], 2
	v_cmp_gt_u32_e32 vcc_lo, 64, v0
	s_delay_alu instid0(VALU_DEP_2) | instskip(SKIP_2) | instid1(SALU_CYCLE_1)
	v_mad_u32_u24 v1, 0xc0, v4, v1
	s_add_nc_u64 s[8:9], s[8:9], s[10:11]
	s_lshl_b64 s[10:11], s[6:7], 2
	s_add_nc_u64 s[8:9], s[8:9], s[10:11]
	global_load_b32 v2, v0, s[8:9] scale_offset
	s_wait_loadcnt 0x0
	ds_store_b32 v1, v2
	s_and_b32 exec_lo, exec_lo, vcc_lo
	s_cbranch_execz .LBB7_5
; %bb.4:
	v_lshrrev_b32_e32 v2, 2, v0
	s_delay_alu instid0(VALU_DEP_1) | instskip(NEXT) | instid1(VALU_DEP_1)
	v_dual_lshlrev_b32 v3, 2, v4 :: v_dual_lshlrev_b32 v2, 4, v2
	v_or3_b32 v2, v2, v3, 0x200
	global_load_b32 v2, v2, s[8:9]
	s_wait_loadcnt 0x0
	ds_store_b32 v1, v2 offset:128
.LBB7_5:
	s_or_b32 exec_lo, exec_lo, s5
	s_load_b128 s[8:11], s[0:1], 0x68
	s_mul_i32 s5, s17, s15
	s_xor_b32 s3, s3, s18
	s_sub_co_i32 s4, s4, s5
	s_add_co_i32 s5, s17, 1
	s_sub_co_i32 s7, s4, s15
	s_cmp_ge_u32 s4, s15
	s_mov_b32 s19, -1
	s_cselect_b32 s5, s5, s17
	s_cselect_b32 s4, s7, s4
	s_add_co_i32 s7, s5, 1
	s_cmp_ge_u32 s4, s15
	s_load_b32 s15, s[0:1], 0x78
	s_cselect_b32 s4, s7, s5
	s_wait_kmcnt 0x0
	s_add_co_i32 s18, s33, -1
	s_xor_b32 s4, s4, s3
	s_wait_dscnt 0x0
	s_sub_co_i32 s3, s4, s3
	s_barrier_signal -1
	s_barrier_wait -1
	s_abs_i32 s7, s11
	s_delay_alu instid0(SALU_CYCLE_1) | instskip(NEXT) | instid1(SALU_CYCLE_3)
	s_cvt_f32_u32 s5, s7
	v_rcp_iflag_f32_e32 v1, s5
	v_nop
	s_delay_alu instid0(TRANS32_DEP_1) | instskip(SKIP_1) | instid1(SALU_CYCLE_3)
	v_readfirstlane_b32 s5, v1
	s_mul_f32 s4, s5, 0x4f7ffffe
	s_cvt_u32_f32 s12, s4
	s_sub_co_i32 s4, 0, s7
	s_delay_alu instid0(SALU_CYCLE_2)
	s_mul_i32 s5, s4, s12
	s_abs_i32 s4, s18
	s_mul_hi_u32 s16, s12, s5
	s_mov_b32 s5, 0
	s_add_co_i32 s16, s12, s16
	s_cmp_lt_i32 s15, 0
	s_mov_b32 s17, s5
                                        ; implicit-def: $sgpr12
	s_cbranch_scc0 .LBB7_7
; %bb.6:
	s_mul_i32 s12, s8, s22
	s_mov_b32 s19, s5
	s_add_co_i32 s12, s3, s12
	s_delay_alu instid0(SALU_CYCLE_1) | instskip(NEXT) | instid1(SALU_CYCLE_1)
	s_mul_i32 s12, s12, s15
	s_sub_co_i32 s12, 1, s12
.LBB7_7:
	s_ashr_i32 s18, s18, 31
	s_ashr_i32 s34, s11, 31
	s_and_not1_b32 vcc_lo, exec_lo, s19
	s_mul_u64 s[24:25], s[4:5], s[16:17]
	s_cbranch_vccnz .LBB7_9
; %bb.8:
	s_mul_i32 s5, s29, s8
	s_delay_alu instid0(SALU_CYCLE_1) | instskip(NEXT) | instid1(SALU_CYCLE_1)
	s_add_co_i32 s2, s5, s2
	s_mul_i32 s2, s2, s15
	s_delay_alu instid0(SALU_CYCLE_1)
	s_add_co_i32 s12, s2, 1
.LBB7_9:
	s_clause 0x1
	s_load_b32 s2, s[0:1], 0x38
	s_load_b64 s[20:21], s[0:1], 0x28
	s_mul_i32 s8, s25, s7
	s_xor_b32 s5, s18, s34
	s_sub_co_i32 s4, s4, s8
	s_add_co_i32 s11, s25, 1
	v_dual_mov_b32 v12, 0xff7fffff :: v_dual_lshrrev_b32 v1, 5, v0
	v_lshrrev_b32_e32 v8, 3, v0
	v_mbcnt_lo_u32_b32 v9, -1, 0
	s_mul_i32 s14, s3, s14
	s_delay_alu instid0(VALU_DEP_3)
	v_lshlrev_b32_e32 v54, 3, v1
	s_wait_kmcnt 0x0
	s_mul_i32 s18, s2, s30
	s_sub_co_i32 s2, s4, s7
	s_ashr_i32 s19, s18, 31
	s_cmp_ge_u32 s4, s7
	s_cselect_b32 s8, s11, s25
	s_cselect_b32 s2, s2, s4
	s_add_co_i32 s4, s8, 1
	s_cmp_ge_u32 s2, s7
	s_cselect_b32 s2, s4, s8
	s_add_co_i32 s4, s33, 7
	s_delay_alu instid0(SALU_CYCLE_1) | instskip(NEXT) | instid1(SALU_CYCLE_1)
	s_ashr_i32 s8, s4, 31
	s_lshr_b32 s8, s8, 29
	s_delay_alu instid0(SALU_CYCLE_1) | instskip(NEXT) | instid1(SALU_CYCLE_1)
	s_add_co_i32 s4, s4, s8
	s_ashr_i32 s35, s4, 3
	s_xor_b32 s4, s2, s5
	v_cmp_gt_i32_e64 s2, s35, v1
	s_sub_co_i32 s8, s4, s5
	s_and_saveexec_b32 s11, s2
	s_cbranch_execz .LBB7_21
; %bb.10:
	s_load_b64 s[4:5], s[0:1], 0x10
	s_ashr_i32 s15, s14, 31
	s_sub_co_i32 s22, s8, s9
	s_ashr_i32 s25, s13, 31
	s_lshl_b64 s[38:39], s[14:15], 2
	s_cmp_neq_f32 s36, 0
	v_bfe_u32 v10, v0, 2, 3
	v_mov_b32_e32 v3, 0
	v_mul_u32_u24_e32 v11, 0xc0, v4
	s_cselect_b32 vcc_lo, -1, 0
	s_abs_i32 s15, s10
	v_lshlrev_b32_e32 v2, 4, v10
	s_cvt_f32_u32 s3, s15
	v_lshlrev_b32_e32 v12, 2, v10
	v_subrev_nc_u32_e32 v13, s33, v10
	s_sub_co_i32 s26, 0, s15
	v_rcp_iflag_f32_e32 v5, s3
	v_cmp_eq_u32_e64 s3, 0, v4
	v_dual_mov_b32 v18, v1 :: v_dual_bitop2_b32 v16, 2, v9 bitop3:0x14
	s_wait_kmcnt 0x0
	s_add_nc_u64 s[4:5], s[4:5], s[38:39]
	v_add_nc_u32_e32 v13, 1, v13
	v_add_nc_u64_e32 v[6:7], s[4:5], v[2:3]
	v_readfirstlane_b32 s24, v5
	v_lshlrev_b32_e32 v2, 2, v4
	s_lshl_b64 s[4:5], s[18:19], 2
	v_lshl_or_b32 v12, v1, 5, v12
	s_add_nc_u64 s[4:5], s[20:21], s[4:5]
	s_mul_f32 s24, s24, 0x4f7ffffe
	v_add_nc_u64_e32 v[4:5], v[6:7], v[2:3]
	v_and_b32_e32 v2, 0x7c, v8
	v_add_nc_u32_e32 v14, 0x320, v12
	s_cvt_u32_f32 s37, s24
	v_xor_b32_e32 v17, 1, v9
	v_mov_b32_e32 v15, 0xff7fffff
	v_add_nc_u64_e32 v[6:7], s[4:5], v[2:3]
	s_mul_i32 s26, s26, s37
	v_lshlrev_b32_e32 v2, 3, v1
	v_mov_b32_e32 v12, 0xff7fffff
	s_mov_b32 s27, 0
	s_mul_hi_u32 s4, s37, s26
	s_mov_b32 s24, s13
	s_add_co_i32 s26, s37, s4
	s_mov_b32 s37, s27
	s_branch .LBB7_13
.LBB7_11:                               ;   in Loop: Header=BB7_13 Depth=1
	s_or_b32 exec_lo, exec_lo, s38
.LBB7_12:                               ;   in Loop: Header=BB7_13 Depth=1
	s_delay_alu instid0(SALU_CYCLE_1) | instskip(SKIP_4) | instid1(VALU_DEP_4)
	s_or_b32 exec_lo, exec_lo, s5
	v_add_nc_u32_e32 v18, 4, v18
	v_add_nc_u64_e32 v[6:7], 16, v[6:7]
	v_add_nc_u32_e32 v2, 32, v2
	v_add_nc_u32_e32 v14, 0x80, v14
	v_cmp_le_i32_e64 s4, s35, v18
	s_or_b32 s37, s4, s37
	s_delay_alu instid0(SALU_CYCLE_1)
	s_and_not1_b32 exec_lo, exec_lo, s37
	s_cbranch_execz .LBB7_20
.LBB7_13:                               ; =>This Inner Loop Header: Depth=1
	s_wait_dscnt 0x0
	v_mul_u64_e32 v[20:21], s[16:17], v[2:3]
	s_delay_alu instid0(VALU_DEP_1) | instskip(NEXT) | instid1(VALU_DEP_1)
	v_mul_lo_u32 v19, v21, s7
	v_dual_add_nc_u32 v20, 1, v21 :: v_dual_sub_nc_u32 v19, v2, v19
	s_delay_alu instid0(VALU_DEP_1) | instskip(SKIP_1) | instid1(VALU_DEP_1)
	v_subrev_nc_u32_e32 v22, s7, v19
	v_cmp_le_u32_e64 s4, s7, v19
	v_dual_cndmask_b32 v20, v21, v20, s4 :: v_dual_cndmask_b32 v19, v19, v22, s4
	s_delay_alu instid0(VALU_DEP_1) | instskip(NEXT) | instid1(VALU_DEP_2)
	v_add_nc_u32_e32 v21, 1, v20
	v_cmp_le_u32_e64 s4, s7, v19
	s_delay_alu instid0(VALU_DEP_1) | instskip(NEXT) | instid1(VALU_DEP_1)
	v_dual_cndmask_b32 v19, v20, v21, s4 :: v_dual_mov_b32 v21, v3
	v_xor_b32_e32 v19, s34, v19
	s_delay_alu instid0(VALU_DEP_1) | instskip(NEXT) | instid1(VALU_DEP_1)
	v_subrev_nc_u32_e32 v19, s34, v19
	v_add_nc_u32_e32 v24, s12, v19
	v_cmp_ge_i32_e64 s5, s22, v19
	s_delay_alu instid0(VALU_DEP_2) | instskip(NEXT) | instid1(VALU_DEP_1)
	v_sub_nc_u32_e32 v20, 0, v24
	v_max_i32_e32 v20, v24, v20
	s_delay_alu instid0(VALU_DEP_1) | instskip(SKIP_1) | instid1(VALU_DEP_2)
	v_mul_u64_e32 v[22:23], s[26:27], v[20:21]
	v_ashrrev_i32_e32 v22, 31, v24
	v_mul_lo_u32 v21, v23, s15
	s_delay_alu instid0(VALU_DEP_1) | instskip(NEXT) | instid1(VALU_DEP_1)
	v_sub_nc_u32_e32 v20, v20, v21
	v_subrev_nc_u32_e32 v21, s15, v20
	v_cmp_le_u32_e64 s4, s15, v20
	s_delay_alu instid0(VALU_DEP_1) | instskip(NEXT) | instid1(VALU_DEP_1)
	v_cndmask_b32_e64 v20, v20, v21, s4
	v_subrev_nc_u32_e32 v21, s15, v20
	v_cmp_le_u32_e64 s4, s15, v20
	s_delay_alu instid0(VALU_DEP_1) | instskip(NEXT) | instid1(VALU_DEP_1)
	v_cndmask_b32_e64 v20, v20, v21, s4
	v_xor_b32_e32 v20, v20, v22
	s_delay_alu instid0(VALU_DEP_1) | instskip(NEXT) | instid1(VALU_DEP_1)
	v_sub_nc_u32_e32 v20, v20, v22
	v_cmp_ne_u32_e64 s4, 0, v20
	s_and_b32 s4, s4, s5
	s_delay_alu instid0(SALU_CYCLE_1) | instskip(NEXT) | instid1(SALU_CYCLE_1)
	s_and_saveexec_b32 s5, s4
	s_xor_b32 s4, exec_lo, s5
	s_cbranch_execz .LBB7_17
; %bb.14:                               ;   in Loop: Header=BB7_13 Depth=1
	s_and_saveexec_b32 s5, s3
; %bb.15:                               ;   in Loop: Header=BB7_13 Depth=1
	ds_store_b32 v14, v15
; %bb.16:                               ;   in Loop: Header=BB7_13 Depth=1
	s_or_b32 exec_lo, exec_lo, s5
.LBB7_17:                               ;   in Loop: Header=BB7_13 Depth=1
	s_and_not1_saveexec_b32 s5, s4
	s_cbranch_execz .LBB7_12
; %bb.18:                               ;   in Loop: Header=BB7_13 Depth=1
	global_load_b32 v20, v[6:7], off
	v_cmp_gt_i32_e64 s4, 32, v16
	s_wait_loadcnt 0x0
	v_ashrrev_i32_e32 v21, 31, v20
	s_delay_alu instid0(VALU_DEP_1) | instskip(NEXT) | instid1(VALU_DEP_1)
	v_mul_u64_e32 v[20:21], s[24:25], v[20:21]
	v_lshl_add_u64 v[20:21], v[20:21], 2, v[4:5]
	s_clause 0x2f
	global_load_b32 v19, v[20:21], off offset:128
	global_load_b32 v28, v[20:21], off offset:256
	;; [unrolled: 1-line block ×7, first 2 shown]
	global_load_b32 v34, v[20:21], off
	global_load_b32 v35, v[20:21], off offset:1024
	global_load_b32 v36, v[20:21], off offset:1152
	;; [unrolled: 1-line block ×40, first 2 shown]
	s_wait_xcnt 0x0
	ds_load_b128 v[20:23], v11
	ds_load_b128 v[24:27], v11 offset:16
	s_wait_loadcnt_dscnt 0x2f01
	v_mul_f32_e32 v19, v21, v19
	s_wait_loadcnt 0x28
	s_delay_alu instid0(VALU_DEP_1) | instskip(NEXT) | instid1(VALU_DEP_1)
	v_fmac_f32_e32 v19, v20, v34
	v_fmac_f32_e32 v19, v22, v28
	s_delay_alu instid0(VALU_DEP_1) | instskip(SKIP_3) | instid1(VALU_DEP_1)
	v_fmac_f32_e32 v19, v23, v29
	ds_load_b128 v[20:23], v11 offset:32
	s_wait_dscnt 0x1
	v_fmac_f32_e32 v19, v24, v30
	v_fmac_f32_e32 v19, v25, v31
	s_delay_alu instid0(VALU_DEP_1) | instskip(NEXT) | instid1(VALU_DEP_1)
	v_fmac_f32_e32 v19, v26, v32
	v_fmac_f32_e32 v19, v27, v33
	ds_load_b128 v[24:27], v11 offset:48
	s_wait_loadcnt_dscnt 0x2701
	v_fmac_f32_e32 v19, v20, v35
	s_wait_loadcnt 0x26
	s_delay_alu instid0(VALU_DEP_1) | instskip(SKIP_1) | instid1(VALU_DEP_1)
	v_fmac_f32_e32 v19, v21, v36
	s_wait_loadcnt 0x25
	v_fmac_f32_e32 v19, v22, v37
	s_wait_loadcnt 0x24
	s_delay_alu instid0(VALU_DEP_1) | instskip(SKIP_4) | instid1(VALU_DEP_1)
	v_fmac_f32_e32 v19, v23, v38
	ds_load_b128 v[20:23], v11 offset:64
	s_wait_loadcnt_dscnt 0x2301
	v_fmac_f32_e32 v19, v24, v39
	s_wait_loadcnt 0x22
	v_fmac_f32_e32 v19, v25, v40
	s_wait_loadcnt 0x21
	s_delay_alu instid0(VALU_DEP_1) | instskip(SKIP_1) | instid1(VALU_DEP_1)
	v_fmac_f32_e32 v19, v26, v41
	s_wait_loadcnt 0x20
	v_fmac_f32_e32 v19, v27, v42
	ds_load_b128 v[24:27], v11 offset:80
	s_wait_loadcnt_dscnt 0x1f01
	v_fmac_f32_e32 v19, v20, v43
	s_wait_loadcnt 0x1e
	s_delay_alu instid0(VALU_DEP_1) | instskip(SKIP_1) | instid1(VALU_DEP_1)
	v_fmac_f32_e32 v19, v21, v44
	s_wait_loadcnt 0x1d
	v_fmac_f32_e32 v19, v22, v45
	s_wait_loadcnt 0x1c
	s_delay_alu instid0(VALU_DEP_1) | instskip(SKIP_4) | instid1(VALU_DEP_1)
	v_fmac_f32_e32 v19, v23, v46
	ds_load_b128 v[20:23], v11 offset:96
	s_wait_loadcnt_dscnt 0x1b01
	v_fmac_f32_e32 v19, v24, v47
	s_wait_loadcnt 0x1a
	v_fmac_f32_e32 v19, v25, v48
	s_wait_loadcnt 0x19
	s_delay_alu instid0(VALU_DEP_1) | instskip(SKIP_1) | instid1(VALU_DEP_1)
	v_fmac_f32_e32 v19, v26, v49
	s_wait_loadcnt 0x18
	;; [unrolled: 21-line block ×4, first 2 shown]
	v_fmac_f32_e32 v19, v27, v67
	ds_load_b128 v[24:27], v11 offset:176
	s_wait_loadcnt_dscnt 0x701
	v_fmac_f32_e32 v19, v20, v68
	v_cndmask_b32_e64 v20, v9, v16, s4
	v_cmp_gt_i32_e64 s4, 32, v17
	s_wait_loadcnt 0x6
	s_delay_alu instid0(VALU_DEP_2) | instskip(SKIP_1) | instid1(VALU_DEP_1)
	v_dual_fmac_f32 v19, v21, v69 :: v_dual_lshlrev_b32 v20, 2, v20
	s_wait_loadcnt 0x5
	v_dual_cndmask_b32 v21, v9, v17, s4 :: v_dual_fmac_f32 v19, v22, v70
	s_wait_loadcnt 0x4
	s_delay_alu instid0(VALU_DEP_1) | instskip(SKIP_1) | instid1(VALU_DEP_1)
	v_dual_lshlrev_b32 v21, 2, v21 :: v_dual_fmac_f32 v19, v23, v71
	s_wait_loadcnt_dscnt 0x300
	v_fmac_f32_e32 v19, v24, v72
	s_wait_loadcnt 0x2
	s_delay_alu instid0(VALU_DEP_1) | instskip(SKIP_1) | instid1(VALU_DEP_1)
	v_fmac_f32_e32 v19, v25, v73
	s_wait_loadcnt 0x1
	v_fmac_f32_e32 v19, v26, v74
	s_wait_loadcnt 0x0
	s_delay_alu instid0(VALU_DEP_1)
	v_fmac_f32_e32 v19, v27, v75
	ds_bpermute_b32 v20, v20, v19
	s_wait_dscnt 0x0
	v_add_f32_e32 v19, v19, v20
	ds_bpermute_b32 v20, v21, v19
	s_and_saveexec_b32 s38, s3
	s_cbranch_execz .LBB7_11
; %bb.19:                               ;   in Loop: Header=BB7_13 Depth=1
	s_wait_dscnt 0x0
	v_dual_add_nc_u32 v21, v13, v2 :: v_dual_add_f32 v19, v19, v20
	s_delay_alu instid0(VALU_DEP_1) | instskip(NEXT) | instid1(VALU_DEP_1)
	v_cvt_f32_i32_e32 v21, v21
	v_mul_f32_e32 v21, s36, v21
	s_delay_alu instid0(VALU_DEP_1) | instskip(NEXT) | instid1(VALU_DEP_1)
	v_dual_cndmask_b32 v20, 0, v21 :: v_dual_max_num_f32 v21, v12, v12
	v_dual_fmac_f32 v20, s23, v19 :: v_dual_add_nc_u32 v19, v10, v2
	s_delay_alu instid0(VALU_DEP_1) | instskip(NEXT) | instid1(VALU_DEP_2)
	v_max_num_f32_e32 v21, v21, v20
	v_cmp_gt_i32_e64 s4, s33, v19
	s_delay_alu instid0(VALU_DEP_1)
	v_dual_cndmask_b32 v19, 0, v20, s4 :: v_dual_cndmask_b32 v12, v12, v21, s4
	ds_store_b32 v14, v19
	s_branch .LBB7_11
.LBB7_20:
	s_or_b32 exec_lo, exec_lo, s37
.LBB7_21:
	s_delay_alu instid0(SALU_CYCLE_1)
	s_or_b32 exec_lo, exec_lo, s11
	v_dual_max_num_f32 v5, v12, v12 :: v_dual_bitop2_b32 v2, 16, v9 bitop3:0x14
	s_clause 0x1
	s_load_b64 s[4:5], s[0:1], 0x0
	s_load_b64 s[22:23], s[0:1], 0x18
	v_and_b32_e32 v72, 31, v0
	v_xor_b32_e32 v4, 8, v9
	v_cmp_gt_i32_e32 vcc_lo, 32, v2
	v_cndmask_b32_e32 v2, v9, v2, vcc_lo
	s_delay_alu instid0(VALU_DEP_3) | instskip(NEXT) | instid1(VALU_DEP_2)
	v_cmp_gt_i32_e32 vcc_lo, 32, v4
	v_dual_lshlrev_b32 v2, 2, v2 :: v_dual_cndmask_b32 v4, v9, v4, vcc_lo
	ds_bpermute_b32 v3, v2, v12
	s_wait_dscnt 0x0
	v_dual_max_num_f32 v6, v3, v3 :: v_dual_lshlrev_b32 v3, 2, v4
	s_delay_alu instid0(VALU_DEP_1) | instskip(SKIP_4) | instid1(VALU_DEP_1)
	v_dual_max_num_f32 v4, v5, v6 :: v_dual_bitop2_b32 v6, 4, v9 bitop3:0x14
	ds_bpermute_b32 v5, v3, v4
	v_cmp_gt_i32_e32 vcc_lo, 32, v6
	v_cndmask_b32_e32 v6, v9, v6, vcc_lo
	s_wait_dscnt 0x0
	v_dual_max_num_f32 v5, v5, v5 :: v_dual_lshlrev_b32 v6, 2, v6
	s_delay_alu instid0(VALU_DEP_1)
	v_max_num_f32_e32 v5, v4, v5
	v_lshlrev_b32_e32 v4, 2, v1
	v_cmp_eq_u32_e32 vcc_lo, 0, v72
	ds_bpermute_b32 v7, v6, v5
	s_wait_xcnt 0x0
	s_and_saveexec_b32 s0, vcc_lo
	s_cbranch_execz .LBB7_23
; %bb.22:
	s_wait_dscnt 0x0
	v_dual_max_num_f32 v7, v7, v7 :: v_dual_max_num_f32 v5, v5, v5
	s_delay_alu instid0(VALU_DEP_1)
	v_max_num_f32_e32 v5, v5, v7
	ds_store_b32 v4, v5 offset:768
.LBB7_23:
	s_or_b32 exec_lo, exec_lo, s0
	v_cmp_gt_u32_e64 s0, 4, v72
	v_dual_mov_b32 v10, 0xff7fffff :: v_dual_lshlrev_b32 v5, 2, v72
	s_wait_dscnt 0x0
	s_barrier_signal -1
	s_barrier_wait -1
	s_and_saveexec_b32 s1, s0
; %bb.24:
	ds_load_b32 v10, v5 offset:768
; %bb.25:
	s_or_b32 exec_lo, exec_lo, s1
	v_xor_b32_e32 v7, 2, v9
	v_xor_b32_e32 v12, 1, v9
	s_delay_alu instid0(VALU_DEP_2) | instskip(NEXT) | instid1(VALU_DEP_1)
	v_cmp_gt_i32_e64 s1, 32, v7
	v_cndmask_b32_e64 v7, v9, v7, s1
	s_delay_alu instid0(VALU_DEP_3) | instskip(NEXT) | instid1(VALU_DEP_1)
	v_cmp_gt_i32_e64 s1, 32, v12
	v_dual_lshlrev_b32 v7, 2, v7 :: v_dual_cndmask_b32 v9, v9, v12, s1
	s_lshl_b32 s1, s35, 3
	s_delay_alu instid0(SALU_CYCLE_1)
	s_min_i32 s11, s1, s33
	s_wait_dscnt 0x0
	ds_bpermute_b32 v11, v7, v10
	v_max_num_f32_e32 v10, v10, v10
	v_cmp_gt_i32_e64 s1, s11, v0
	s_wait_dscnt 0x0
	v_dual_lshlrev_b32 v73, 2, v9 :: v_dual_max_num_f32 v11, v11, v11
	s_delay_alu instid0(VALU_DEP_1) | instskip(SKIP_3) | instid1(VALU_DEP_1)
	v_max_num_f32_e32 v9, v10, v11
	ds_bpermute_b32 v10, v73, v9
	s_wait_dscnt 0x0
	v_max_num_f32_e32 v10, v10, v10
	v_dual_max_num_f32 v10, v9, v10 :: v_dual_mov_b32 v9, 0
	ds_bpermute_b32 v10, v9, v10
	s_and_saveexec_b32 s15, s1
	s_cbranch_execz .LBB7_29
; %bb.26:
	v_lshl_add_u32 v11, v0, 2, 0x320
	v_dual_mov_b32 v9, 0 :: v_dual_mov_b32 v12, v0
	s_mov_b32 s24, 0
.LBB7_27:                               ; =>This Inner Loop Header: Depth=1
	ds_load_b32 v13, v11
	v_add_nc_u32_e32 v12, 0x80, v12
	s_delay_alu instid0(VALU_DEP_1) | instskip(SKIP_3) | instid1(VALU_DEP_1)
	v_cmp_le_i32_e64 s3, s11, v12
	s_or_b32 s24, s3, s24
	s_wait_dscnt 0x0
	v_sub_f32_e32 v13, v13, v10
	v_mul_f32_e32 v13, 0x3fb8aa3b, v13
	s_delay_alu instid0(VALU_DEP_1)
	v_exp_f32_e32 v13, v13
	ds_store_b32 v11, v13
	v_nop
	v_add_f32_e32 v9, v9, v13
	v_add_nc_u32_e32 v11, 0x200, v11
	s_and_not1_b32 exec_lo, exec_lo, s24
	s_cbranch_execnz .LBB7_27
; %bb.28:
	s_or_b32 exec_lo, exec_lo, s24
.LBB7_29:
	s_delay_alu instid0(SALU_CYCLE_1)
	s_or_b32 exec_lo, exec_lo, s15
	ds_bpermute_b32 v2, v2, v9
	s_wait_dscnt 0x0
	v_add_f32_e32 v2, v9, v2
	ds_bpermute_b32 v3, v3, v2
	s_wait_dscnt 0x0
	v_add_f32_e32 v2, v2, v3
	;; [unrolled: 3-line block ×5, first 2 shown]
	s_and_saveexec_b32 s3, vcc_lo
; %bb.30:
	ds_store_b32 v4, v2 offset:784
; %bb.31:
	s_or_b32 exec_lo, exec_lo, s3
	s_wait_dscnt 0x0
	s_barrier_signal -1
	s_barrier_wait -1
	s_and_saveexec_b32 s3, s0
; %bb.32:
	ds_load_b32 v2, v5 offset:784
; %bb.33:
	s_or_b32 exec_lo, exec_lo, s3
	s_wait_dscnt 0x0
	ds_bpermute_b32 v3, v7, v2
	s_wait_dscnt 0x0
	v_dual_mov_b32 v57, 0 :: v_dual_add_f32 v2, v2, v3
	ds_bpermute_b32 v3, v73, v2
	s_wait_dscnt 0x0
	v_add_f32_e32 v2, v2, v3
	ds_bpermute_b32 v2, v57, v2
	s_and_saveexec_b32 s0, s1
	s_cbranch_execz .LBB7_46
; %bb.34:
	s_wait_dscnt 0x0
	v_add_f32_e32 v2, 0x358637bd, v2
	s_mov_b32 s3, -1
	s_mov_b32 s1, exec_lo
	s_delay_alu instid0(VALU_DEP_1) | instskip(NEXT) | instid1(VALU_DEP_1)
	v_div_scale_f32 v3, null, v2, v2, 1.0
	v_rcp_f32_e32 v5, v3
	v_nop
	s_delay_alu instid0(TRANS32_DEP_1) | instskip(NEXT) | instid1(VALU_DEP_1)
	v_fma_f32 v4, -v3, v5, 1.0
	v_fmac_f32_e32 v5, v4, v5
	v_div_scale_f32 v6, vcc_lo, 1.0, v2, 1.0
	s_delay_alu instid0(VALU_DEP_1) | instskip(NEXT) | instid1(VALU_DEP_1)
	v_mul_f32_e32 v7, v6, v5
	v_fma_f32 v4, -v3, v7, v6
	s_delay_alu instid0(VALU_DEP_1) | instskip(SKIP_1) | instid1(VALU_DEP_2)
	v_fmac_f32_e32 v7, v4, v5
	v_xad_u32 v4, v0, -1, s11
	v_fma_f32 v3, -v3, v7, v6
	s_delay_alu instid0(VALU_DEP_1) | instskip(NEXT) | instid1(VALU_DEP_1)
	v_div_fmas_f32 v3, v3, v5, v7
	v_div_fixup_f32 v2, v3, v2, 1.0
	v_mov_b32_e32 v3, v0
	v_cmpx_lt_u32_e32 0x7f, v4
	s_cbranch_execz .LBB7_43
; %bb.35:
	s_delay_alu instid0(VALU_DEP_3) | instskip(NEXT) | instid1(VALU_DEP_1)
	v_dual_mov_b32 v3, v2 :: v_dual_lshrrev_b32 v4, 7, v4
	v_dual_mov_b32 v9, 0 :: v_dual_add_nc_u32 v5, -1, v4
	s_delay_alu instid0(VALU_DEP_1) | instskip(SKIP_1) | instid1(VALU_DEP_2)
	v_lshrrev_b32_e32 v6, 1, v5
	v_cmp_lt_u32_e32 vcc_lo, 13, v5
	v_add_nc_u32_e32 v5, 1, v6
	s_and_saveexec_b32 s3, vcc_lo
	s_cbranch_execz .LBB7_39
; %bb.36:
	s_delay_alu instid0(VALU_DEP_1)
	v_and_b32_e32 v6, -8, v5
	v_lshl_add_u32 v7, v0, 2, 0x320
	s_mov_b32 s15, 0
	s_mov_b32 s24, 0
.LBB7_37:                               ; =>This Inner Loop Header: Depth=1
	ds_load_2addr_stride64_b32 v[10:11], v7 offset1:2
	ds_load_2addr_stride64_b32 v[12:13], v7 offset0:4 offset1:6
	ds_load_2addr_stride64_b32 v[14:15], v7 offset0:8 offset1:10
	ds_load_2addr_stride64_b32 v[16:17], v7 offset0:12 offset1:14
	ds_load_2addr_stride64_b32 v[18:19], v7 offset0:16 offset1:18
	ds_load_2addr_stride64_b32 v[20:21], v7 offset0:20 offset1:22
	ds_load_2addr_stride64_b32 v[22:23], v7 offset0:24 offset1:26
	ds_load_2addr_stride64_b32 v[24:25], v7 offset0:28 offset1:30
	s_add_co_i32 s24, s24, 16
	s_delay_alu instid0(SALU_CYCLE_1) | instskip(NEXT) | instid1(VALU_DEP_1)
	v_dual_mov_b32 v9, s24 :: v_dual_add_nc_u32 v6, -8, v6
	v_cmp_eq_u32_e32 vcc_lo, 0, v6
	s_or_b32 s15, vcc_lo, s15
	s_wait_dscnt 0x7
	v_pk_mul_f32 v[10:11], v[2:3], v[10:11]
	s_wait_dscnt 0x6
	v_pk_mul_f32 v[12:13], v[2:3], v[12:13]
	;; [unrolled: 2-line block ×8, first 2 shown]
	ds_store_2addr_stride64_b32 v7, v10, v11 offset1:2
	ds_store_2addr_stride64_b32 v7, v12, v13 offset0:4 offset1:6
	ds_store_2addr_stride64_b32 v7, v14, v15 offset0:8 offset1:10
	;; [unrolled: 1-line block ×7, first 2 shown]
	v_add_nc_u32_e32 v7, 0x2000, v7
	s_and_not1_b32 exec_lo, exec_lo, s15
	s_cbranch_execnz .LBB7_37
; %bb.38:
	s_or_b32 exec_lo, exec_lo, s15
.LBB7_39:
	s_delay_alu instid0(SALU_CYCLE_1) | instskip(NEXT) | instid1(VALU_DEP_1)
	s_or_b32 exec_lo, exec_lo, s3
	v_and_b32_e32 v5, 7, v5
	s_mov_b32 s15, 0
	s_mov_b32 s3, exec_lo
	s_delay_alu instid0(VALU_DEP_1)
	v_cmpx_ne_u32_e32 0, v5
	s_cbranch_execz .LBB7_42
; %bb.40:
	v_dual_lshlrev_b32 v6, 9, v9 :: v_dual_lshlrev_b32 v7, 2, v0
	s_delay_alu instid0(VALU_DEP_1)
	v_add3_u32 v6, v6, v7, 0x320
.LBB7_41:                               ; =>This Inner Loop Header: Depth=1
	ds_load_2addr_stride64_b32 v[10:11], v6 offset1:2
	v_add_nc_u32_e32 v5, -1, v5
	s_delay_alu instid0(VALU_DEP_1)
	v_cmp_eq_u32_e32 vcc_lo, 0, v5
	s_or_b32 s15, vcc_lo, s15
	s_wait_dscnt 0x0
	v_pk_mul_f32 v[10:11], v[2:3], v[10:11]
	ds_store_2addr_stride64_b32 v6, v10, v11 offset1:2
	v_add_nc_u32_e32 v6, 0x400, v6
	s_and_not1_b32 exec_lo, exec_lo, s15
	s_cbranch_execnz .LBB7_41
.LBB7_42:
	s_or_b32 exec_lo, exec_lo, s3
	v_add_nc_u32_e32 v3, 1, v4
	s_delay_alu instid0(VALU_DEP_1) | instskip(NEXT) | instid1(VALU_DEP_1)
	v_and_b32_e32 v4, 0x3fffffe, v3
	v_cmp_ne_u32_e32 vcc_lo, v3, v4
	v_lshl_add_u32 v3, v4, 7, v0
	s_or_not1_b32 s3, vcc_lo, exec_lo
.LBB7_43:
	s_or_b32 exec_lo, exec_lo, s1
	s_delay_alu instid0(SALU_CYCLE_1)
	s_and_b32 exec_lo, exec_lo, s3
	s_cbranch_execz .LBB7_46
; %bb.44:
	v_lshl_add_u32 v4, v3, 2, 0x320
	s_mov_b32 s1, 0
.LBB7_45:                               ; =>This Inner Loop Header: Depth=1
	ds_load_b32 v5, v4
	v_add_nc_u32_e32 v3, 0x80, v3
	s_delay_alu instid0(VALU_DEP_1)
	v_cmp_le_i32_e32 vcc_lo, s11, v3
	s_or_b32 s1, vcc_lo, s1
	s_wait_dscnt 0x0
	v_mul_f32_e32 v5, v2, v5
	ds_store_b32 v4, v5
	v_add_nc_u32_e32 v4, 0x200, v4
	s_and_not1_b32 exec_lo, exec_lo, s1
	s_cbranch_execnz .LBB7_45
.LBB7_46:
	s_or_b32 exec_lo, exec_lo, s0
	v_dual_mov_b32 v56, 0 :: v_dual_bitop2_b32 v74, 1, v0 bitop3:0x40
	v_dual_mov_b32 v59, 0 :: v_dual_mov_b32 v58, 0
	v_dual_mov_b32 v61, 0 :: v_dual_mov_b32 v60, 0
	;; [unrolled: 1-line block ×5, first 2 shown]
	s_wait_dscnt 0x0
	s_barrier_signal -1
	s_barrier_wait -1
	s_and_saveexec_b32 s3, s2
	s_cbranch_execz .LBB7_76
; %bb.47:
	s_abs_i32 s24, s10
	v_dual_lshlrev_b32 v4, 2, v0 :: v_dual_lshlrev_b32 v3, 4, v0
	s_cvt_f32_u32 s0, s24
	v_dual_mov_b32 v55, 0 :: v_dual_lshlrev_b32 v5, 4, v74
	s_ashr_i32 s15, s14, 31
	s_delay_alu instid0(SALU_CYCLE_1)
	v_rcp_iflag_f32_e32 v2, s0
	s_lshl_b64 s[0:1], s[14:15], 2
	s_sub_co_i32 s10, 0, s24
	s_wait_kmcnt 0x0
	s_add_nc_u64 s[0:1], s[22:23], s[0:1]
	v_dual_mov_b32 v66, v55 :: v_dual_mov_b32 v67, v55
	v_and_b32_e32 v75, 4, v4
	v_readfirstlane_b32 s2, v2
	v_and_b32_e32 v2, 0x1f0, v3
	v_mov_b32_e32 v3, v55
	v_lshl_or_b32 v4, v1, 5, v5
	v_mov_b32_e32 v77, v1
	s_mul_f32 s2, s2, 0x4f7ffffe
	v_dual_mov_b32 v64, v55 :: v_dual_mov_b32 v65, v55
	v_add_nc_u64_e32 v[68:69], s[0:1], v[2:3]
	v_and_b32_e32 v2, 0x7c, v8
	s_lshl_b64 s[0:1], s[18:19], 2
	s_cvt_u32_f32 s2, s2
	s_add_nc_u64 s[0:1], s[20:21], s[0:1]
	v_add_nc_u32_e32 v76, 0x320, v4
	v_add_nc_u64_e32 v[70:71], s[0:1], v[2:3]
	s_mul_i32 s10, s10, s2
	v_dual_mov_b32 v62, v55 :: v_dual_mov_b32 v63, v55
	v_dual_mov_b32 v60, v55 :: v_dual_mov_b32 v61, v55
	;; [unrolled: 1-line block ×4, first 2 shown]
	s_mov_b32 s11, 0
	s_mul_hi_u32 s10, s2, s10
	s_sub_co_i32 s25, s8, s9
	s_ashr_i32 s9, s13, 31
	s_mov_b32 s8, s13
	s_add_co_i32 s13, s35, -1
	s_mov_b32 s14, s33
	s_add_co_i32 s10, s2, s10
	s_mov_b32 s15, s11
	s_branch .LBB7_50
.LBB7_48:                               ;   in Loop: Header=BB7_50 Depth=1
	s_or_b32 exec_lo, exec_lo, s19
	s_wait_loadcnt_dscnt 0x200
	v_mul_f32_e32 v42, v6, v42
	s_wait_loadcnt 0x1
	v_mul_f32_e32 v50, v6, v50
	v_mul_f32_e32 v10, v6, v10
	s_delay_alu instid0(VALU_DEP_3) | instskip(NEXT) | instid1(VALU_DEP_3)
	v_dual_mul_f32 v14, v6, v14 :: v_dual_fmac_f32 v42, v7, v43
	v_dual_mul_f32 v34, v6, v34 :: v_dual_fmac_f32 v50, v7, v51
	s_delay_alu instid0(VALU_DEP_2) | instskip(NEXT) | instid1(VALU_DEP_2)
	v_dual_mul_f32 v38, v6, v38 :: v_dual_fmac_f32 v42, v8, v44
	v_dual_mul_f32 v26, v6, v26 :: v_dual_fmac_f32 v34, v7, v35
	s_delay_alu instid0(VALU_DEP_3) | instskip(NEXT) | instid1(VALU_DEP_3)
	v_dual_fmac_f32 v50, v8, v52 :: v_dual_mul_f32 v30, v6, v30
	v_dual_fmac_f32 v38, v7, v39 :: v_dual_mul_f32 v22, v6, v22
	s_delay_alu instid0(VALU_DEP_3) | instskip(SKIP_1) | instid1(VALU_DEP_4)
	v_fmac_f32_e32 v34, v8, v36
	v_fmac_f32_e32 v42, v9, v45
	;; [unrolled: 1-line block ×3, first 2 shown]
	s_delay_alu instid0(VALU_DEP_4) | instskip(SKIP_4) | instid1(VALU_DEP_4)
	v_fmac_f32_e32 v38, v8, v40
	v_fmac_f32_e32 v50, v9, v53
	;; [unrolled: 1-line block ×3, first 2 shown]
	v_dual_fmac_f32 v22, v7, v23 :: v_dual_mul_f32 v23, v6, v18
	v_add_f32_e32 v59, v59, v42
	v_add_f32_e32 v56, v56, v50
	s_delay_alu instid0(VALU_DEP_3) | instskip(NEXT) | instid1(VALU_DEP_4)
	v_dual_add_f32 v61, v61, v34 :: v_dual_fmac_f32 v22, v8, v24
	v_fmac_f32_e32 v23, v7, v19
	s_wait_loadcnt 0x0
	v_pk_mul_f32 v[18:19], v[6:7], v[46:47]
	s_delay_alu instid0(VALU_DEP_2) | instskip(SKIP_1) | instid1(VALU_DEP_2)
	v_dual_fmac_f32 v22, v9, v25 :: v_dual_fmac_f32 v23, v8, v20
	v_fmac_f32_e32 v30, v8, v32
	v_dual_fmac_f32 v10, v7, v11 :: v_dual_add_f32 v62, v62, v22
	s_delay_alu instid0(VALU_DEP_2) | instskip(SKIP_1) | instid1(VALU_DEP_3)
	v_dual_mul_f32 v22, v6, v2 :: v_dual_fmac_f32 v30, v9, v33
	v_fmac_f32_e32 v38, v9, v41
	v_dual_fmac_f32 v23, v9, v21 :: v_dual_fmac_f32 v10, v8, v12
	s_delay_alu instid0(VALU_DEP_3) | instskip(NEXT) | instid1(VALU_DEP_3)
	v_dual_fmac_f32 v22, v7, v3 :: v_dual_add_f32 v60, v60, v30
	v_dual_fmac_f32 v26, v7, v27 :: v_dual_add_f32 v58, v58, v38
	v_pk_mul_f32 v[2:3], v[8:9], v[48:49]
	v_add_f32_e32 v6, v19, v18
	v_fmac_f32_e32 v14, v7, v15
	s_delay_alu instid0(VALU_DEP_4) | instskip(NEXT) | instid1(VALU_DEP_3)
	v_dual_fmac_f32 v26, v8, v28 :: v_dual_add_f32 v65, v65, v23
	v_dual_fmac_f32 v10, v9, v13 :: v_dual_add_f32 v2, v2, v6
	s_delay_alu instid0(VALU_DEP_3) | instskip(NEXT) | instid1(VALU_DEP_2)
	v_fmac_f32_e32 v14, v8, v16
	v_dual_fmac_f32 v26, v9, v29 :: v_dual_add_f32 v67, v67, v10
	s_delay_alu instid0(VALU_DEP_2) | instskip(NEXT) | instid1(VALU_DEP_2)
	v_dual_add_f32 v2, v3, v2 :: v_dual_fmac_f32 v14, v9, v17
	v_add_f32_e32 v63, v63, v26
	s_delay_alu instid0(VALU_DEP_2) | instskip(NEXT) | instid1(VALU_DEP_3)
	v_add_f32_e32 v57, v57, v2
	v_add_f32_e32 v64, v64, v14
	v_fmac_f32_e32 v22, v8, v4
	s_delay_alu instid0(VALU_DEP_1) | instskip(NEXT) | instid1(VALU_DEP_1)
	v_fmac_f32_e32 v22, v9, v5
	v_add_f32_e32 v66, v66, v22
.LBB7_49:                               ;   in Loop: Header=BB7_50 Depth=1
	s_or_b32 exec_lo, exec_lo, s18
	v_dual_add_nc_u32 v77, 4, v77 :: v_dual_add_nc_u32 v54, 32, v54
	v_add_nc_u64_e32 v[70:71], 16, v[70:71]
	v_add_nc_u32_e32 v76, 0x80, v76
	s_delay_alu instid0(VALU_DEP_3) | instskip(SKIP_1) | instid1(SALU_CYCLE_1)
	v_cmp_le_i32_e32 vcc_lo, s35, v77
	s_or_b32 s15, vcc_lo, s15
	s_and_not1_b32 exec_lo, exec_lo, s15
	s_cbranch_execz .LBB7_75
.LBB7_50:                               ; =>This Inner Loop Header: Depth=1
	v_mul_u64_e32 v[2:3], s[16:17], v[54:55]
	s_delay_alu instid0(VALU_DEP_1) | instskip(NEXT) | instid1(VALU_DEP_1)
	v_mul_lo_u32 v2, v3, s7
	v_dual_add_nc_u32 v4, 1, v3 :: v_dual_sub_nc_u32 v2, v54, v2
	s_delay_alu instid0(VALU_DEP_1) | instskip(SKIP_1) | instid1(VALU_DEP_2)
	v_subrev_nc_u32_e32 v5, s7, v2
	v_cmp_le_u32_e32 vcc_lo, s7, v2
	v_dual_cndmask_b32 v3, v3, v4 :: v_dual_cndmask_b32 v2, v2, v5
	s_delay_alu instid0(VALU_DEP_1) | instskip(NEXT) | instid1(VALU_DEP_2)
	v_add_nc_u32_e32 v4, 1, v3
	v_cmp_le_u32_e32 vcc_lo, s7, v2
	s_delay_alu instid0(VALU_DEP_2) | instskip(NEXT) | instid1(VALU_DEP_1)
	v_cndmask_b32_e32 v2, v3, v4, vcc_lo
	v_dual_mov_b32 v3, v55 :: v_dual_bitop2_b32 v2, s34, v2 bitop3:0x14
	s_delay_alu instid0(VALU_DEP_1) | instskip(NEXT) | instid1(VALU_DEP_1)
	v_subrev_nc_u32_e32 v6, s34, v2
	v_add_nc_u32_e32 v7, s12, v6
	v_cmp_lt_i32_e64 s0, s25, v6
	s_delay_alu instid0(VALU_DEP_2) | instskip(NEXT) | instid1(VALU_DEP_1)
	v_sub_nc_u32_e32 v2, 0, v7
	v_max_i32_e32 v2, v7, v2
	s_delay_alu instid0(VALU_DEP_1) | instskip(SKIP_1) | instid1(VALU_DEP_2)
	v_mul_u64_e32 v[4:5], s[10:11], v[2:3]
	v_ashrrev_i32_e32 v4, 31, v7
	v_mul_lo_u32 v3, v5, s24
	s_delay_alu instid0(VALU_DEP_1) | instskip(NEXT) | instid1(VALU_DEP_1)
	v_sub_nc_u32_e32 v2, v2, v3
	v_subrev_nc_u32_e32 v3, s24, v2
	v_cmp_le_u32_e32 vcc_lo, s24, v2
	s_delay_alu instid0(VALU_DEP_2) | instskip(NEXT) | instid1(VALU_DEP_1)
	v_cndmask_b32_e32 v2, v2, v3, vcc_lo
	v_subrev_nc_u32_e32 v3, s24, v2
	v_cmp_le_u32_e32 vcc_lo, s24, v2
	s_delay_alu instid0(VALU_DEP_2) | instskip(NEXT) | instid1(VALU_DEP_1)
	v_cndmask_b32_e32 v2, v2, v3, vcc_lo
	v_xor_b32_e32 v2, v2, v4
	s_delay_alu instid0(VALU_DEP_1) | instskip(NEXT) | instid1(VALU_DEP_1)
	v_sub_nc_u32_e32 v2, v2, v4
	v_cmp_eq_u32_e32 vcc_lo, 0, v2
	s_or_b32 s0, vcc_lo, s0
	s_delay_alu instid0(SALU_CYCLE_1)
	s_and_saveexec_b32 s18, s0
	s_cbranch_execz .LBB7_49
; %bb.51:                               ;   in Loop: Header=BB7_50 Depth=1
	global_load_b32 v2, v[70:71], off
	ds_load_b128 v[6:9], v76
	v_add_nc_u32_e32 v78, v75, v54
	v_cmp_eq_u32_e32 vcc_lo, s13, v77
	s_delay_alu instid0(VALU_DEP_2) | instskip(SKIP_3) | instid1(VALU_DEP_1)
	v_dual_add_nc_u32 v81, 1, v78 :: v_dual_bitop2_b32 v80, 3, v78 bitop3:0x54
	v_or_b32_e32 v79, 2, v78
	s_wait_loadcnt 0x0
	v_ashrrev_i32_e32 v3, 31, v2
	v_mul_u64_e32 v[2:3], s[8:9], v[2:3]
	s_delay_alu instid0(VALU_DEP_1)
	v_lshl_add_u64 v[46:47], v[2:3], 2, v[68:69]
	global_load_b128 v[2:5], v[46:47], off
	s_wait_xcnt 0x0
	s_and_saveexec_b32 s1, vcc_lo
	s_cbranch_execnz .LBB7_63
; %bb.52:                               ;   in Loop: Header=BB7_50 Depth=1
	s_or_b32 exec_lo, exec_lo, s1
	global_load_b128 v[10:13], v[46:47], off offset:512
	s_wait_xcnt 0x0
	s_and_saveexec_b32 s1, vcc_lo
	s_cbranch_execnz .LBB7_64
.LBB7_53:                               ;   in Loop: Header=BB7_50 Depth=1
	s_or_b32 exec_lo, exec_lo, s1
	global_load_b128 v[14:17], v[46:47], off offset:1024
	s_wait_xcnt 0x0
	s_and_saveexec_b32 s1, vcc_lo
	s_cbranch_execnz .LBB7_65
.LBB7_54:                               ;   in Loop: Header=BB7_50 Depth=1
	s_or_b32 exec_lo, exec_lo, s1
	global_load_b128 v[18:21], v[46:47], off offset:1536
	s_wait_xcnt 0x0
	s_and_saveexec_b32 s1, vcc_lo
	s_cbranch_execnz .LBB7_66
.LBB7_55:                               ;   in Loop: Header=BB7_50 Depth=1
	s_or_b32 exec_lo, exec_lo, s1
	global_load_b128 v[22:25], v[46:47], off offset:2048
	s_wait_xcnt 0x0
	s_and_saveexec_b32 s1, vcc_lo
	s_cbranch_execnz .LBB7_67
.LBB7_56:                               ;   in Loop: Header=BB7_50 Depth=1
	s_or_b32 exec_lo, exec_lo, s1
	global_load_b128 v[26:29], v[46:47], off offset:2560
	s_wait_xcnt 0x0
	s_and_saveexec_b32 s1, vcc_lo
	s_cbranch_execnz .LBB7_68
.LBB7_57:                               ;   in Loop: Header=BB7_50 Depth=1
	s_or_b32 exec_lo, exec_lo, s1
	global_load_b128 v[30:33], v[46:47], off offset:3072
	s_wait_xcnt 0x0
	s_and_saveexec_b32 s1, vcc_lo
	s_cbranch_execnz .LBB7_69
.LBB7_58:                               ;   in Loop: Header=BB7_50 Depth=1
	s_or_b32 exec_lo, exec_lo, s1
	global_load_b128 v[34:37], v[46:47], off offset:3584
	s_wait_xcnt 0x0
	s_and_saveexec_b32 s1, vcc_lo
	s_cbranch_execnz .LBB7_70
.LBB7_59:                               ;   in Loop: Header=BB7_50 Depth=1
	s_or_b32 exec_lo, exec_lo, s1
	global_load_b128 v[38:41], v[46:47], off offset:4096
	s_wait_xcnt 0x0
	s_and_saveexec_b32 s1, vcc_lo
	s_cbranch_execnz .LBB7_71
.LBB7_60:                               ;   in Loop: Header=BB7_50 Depth=1
	s_or_b32 exec_lo, exec_lo, s1
	global_load_b128 v[42:45], v[46:47], off offset:4608
	s_wait_xcnt 0x0
	s_and_saveexec_b32 s1, vcc_lo
	s_cbranch_execnz .LBB7_72
.LBB7_61:                               ;   in Loop: Header=BB7_50 Depth=1
	s_or_b32 exec_lo, exec_lo, s1
	global_load_b128 v[50:53], v[46:47], off offset:5120
	s_wait_xcnt 0x0
	s_and_saveexec_b32 s1, vcc_lo
	s_cbranch_execnz .LBB7_73
.LBB7_62:                               ;   in Loop: Header=BB7_50 Depth=1
	s_or_b32 exec_lo, exec_lo, s1
	global_load_b128 v[46:49], v[46:47], off offset:5632
	s_wait_xcnt 0x0
	s_and_saveexec_b32 s19, vcc_lo
	s_cbranch_execz .LBB7_48
	s_branch .LBB7_74
.LBB7_63:                               ;   in Loop: Header=BB7_50 Depth=1
	v_cmp_gt_i32_e64 s0, s14, v81
	s_wait_loadcnt 0x0
	s_delay_alu instid0(VALU_DEP_1) | instskip(SKIP_1) | instid1(VALU_DEP_1)
	v_cndmask_b32_e64 v3, 0, v3, s0
	v_cmp_gt_i32_e64 s0, s33, v78
	v_cndmask_b32_e64 v2, 0, v2, s0
	v_cmp_gt_i32_e64 s0, s14, v80
	s_delay_alu instid0(VALU_DEP_1) | instskip(SKIP_1) | instid1(VALU_DEP_1)
	v_cndmask_b32_e64 v5, 0, v5, s0
	v_cmp_gt_i32_e64 s0, s33, v79
	v_cndmask_b32_e64 v4, 0, v4, s0
	s_or_b32 exec_lo, exec_lo, s1
	global_load_b128 v[10:13], v[46:47], off offset:512
	s_wait_xcnt 0x0
	s_and_saveexec_b32 s1, vcc_lo
	s_cbranch_execz .LBB7_53
.LBB7_64:                               ;   in Loop: Header=BB7_50 Depth=1
	v_cmp_gt_i32_e64 s0, s14, v81
	s_wait_loadcnt 0x0
	s_delay_alu instid0(VALU_DEP_1) | instskip(SKIP_1) | instid1(VALU_DEP_1)
	v_cndmask_b32_e64 v11, 0, v11, s0
	v_cmp_gt_i32_e64 s0, s33, v78
	v_cndmask_b32_e64 v10, 0, v10, s0
	v_cmp_gt_i32_e64 s0, s14, v80
	s_delay_alu instid0(VALU_DEP_1) | instskip(SKIP_1) | instid1(VALU_DEP_1)
	v_cndmask_b32_e64 v13, 0, v13, s0
	v_cmp_gt_i32_e64 s0, s33, v79
	v_cndmask_b32_e64 v12, 0, v12, s0
	s_or_b32 exec_lo, exec_lo, s1
	global_load_b128 v[14:17], v[46:47], off offset:1024
	s_wait_xcnt 0x0
	s_and_saveexec_b32 s1, vcc_lo
	s_cbranch_execz .LBB7_54
.LBB7_65:                               ;   in Loop: Header=BB7_50 Depth=1
	v_cmp_gt_i32_e64 s0, s14, v81
	s_wait_loadcnt 0x0
	s_delay_alu instid0(VALU_DEP_1) | instskip(SKIP_1) | instid1(VALU_DEP_1)
	v_cndmask_b32_e64 v15, 0, v15, s0
	v_cmp_gt_i32_e64 s0, s33, v78
	v_cndmask_b32_e64 v14, 0, v14, s0
	v_cmp_gt_i32_e64 s0, s14, v80
	s_delay_alu instid0(VALU_DEP_1) | instskip(SKIP_1) | instid1(VALU_DEP_1)
	v_cndmask_b32_e64 v17, 0, v17, s0
	v_cmp_gt_i32_e64 s0, s33, v79
	v_cndmask_b32_e64 v16, 0, v16, s0
	s_or_b32 exec_lo, exec_lo, s1
	global_load_b128 v[18:21], v[46:47], off offset:1536
	s_wait_xcnt 0x0
	s_and_saveexec_b32 s1, vcc_lo
	s_cbranch_execz .LBB7_55
.LBB7_66:                               ;   in Loop: Header=BB7_50 Depth=1
	v_cmp_gt_i32_e64 s0, s14, v81
	s_wait_loadcnt 0x0
	s_delay_alu instid0(VALU_DEP_1) | instskip(SKIP_1) | instid1(VALU_DEP_1)
	v_cndmask_b32_e64 v19, 0, v19, s0
	v_cmp_gt_i32_e64 s0, s33, v78
	v_cndmask_b32_e64 v18, 0, v18, s0
	v_cmp_gt_i32_e64 s0, s14, v80
	s_delay_alu instid0(VALU_DEP_1) | instskip(SKIP_1) | instid1(VALU_DEP_1)
	v_cndmask_b32_e64 v21, 0, v21, s0
	v_cmp_gt_i32_e64 s0, s33, v79
	v_cndmask_b32_e64 v20, 0, v20, s0
	s_or_b32 exec_lo, exec_lo, s1
	global_load_b128 v[22:25], v[46:47], off offset:2048
	s_wait_xcnt 0x0
	s_and_saveexec_b32 s1, vcc_lo
	s_cbranch_execz .LBB7_56
.LBB7_67:                               ;   in Loop: Header=BB7_50 Depth=1
	v_cmp_gt_i32_e64 s0, s14, v81
	s_wait_loadcnt 0x0
	s_delay_alu instid0(VALU_DEP_1) | instskip(SKIP_1) | instid1(VALU_DEP_1)
	v_cndmask_b32_e64 v23, 0, v23, s0
	v_cmp_gt_i32_e64 s0, s33, v78
	v_cndmask_b32_e64 v22, 0, v22, s0
	v_cmp_gt_i32_e64 s0, s14, v80
	s_delay_alu instid0(VALU_DEP_1) | instskip(SKIP_1) | instid1(VALU_DEP_1)
	v_cndmask_b32_e64 v25, 0, v25, s0
	v_cmp_gt_i32_e64 s0, s33, v79
	v_cndmask_b32_e64 v24, 0, v24, s0
	s_or_b32 exec_lo, exec_lo, s1
	global_load_b128 v[26:29], v[46:47], off offset:2560
	s_wait_xcnt 0x0
	s_and_saveexec_b32 s1, vcc_lo
	s_cbranch_execz .LBB7_57
.LBB7_68:                               ;   in Loop: Header=BB7_50 Depth=1
	v_cmp_gt_i32_e64 s0, s14, v81
	s_wait_loadcnt 0x0
	s_delay_alu instid0(VALU_DEP_1) | instskip(SKIP_1) | instid1(VALU_DEP_1)
	v_cndmask_b32_e64 v27, 0, v27, s0
	v_cmp_gt_i32_e64 s0, s33, v78
	v_cndmask_b32_e64 v26, 0, v26, s0
	v_cmp_gt_i32_e64 s0, s14, v80
	s_delay_alu instid0(VALU_DEP_1) | instskip(SKIP_1) | instid1(VALU_DEP_1)
	v_cndmask_b32_e64 v29, 0, v29, s0
	v_cmp_gt_i32_e64 s0, s33, v79
	v_cndmask_b32_e64 v28, 0, v28, s0
	s_or_b32 exec_lo, exec_lo, s1
	global_load_b128 v[30:33], v[46:47], off offset:3072
	s_wait_xcnt 0x0
	s_and_saveexec_b32 s1, vcc_lo
	s_cbranch_execz .LBB7_58
.LBB7_69:                               ;   in Loop: Header=BB7_50 Depth=1
	v_cmp_gt_i32_e64 s0, s14, v81
	s_wait_loadcnt 0x0
	s_delay_alu instid0(VALU_DEP_1) | instskip(SKIP_1) | instid1(VALU_DEP_1)
	v_cndmask_b32_e64 v31, 0, v31, s0
	v_cmp_gt_i32_e64 s0, s33, v78
	v_cndmask_b32_e64 v30, 0, v30, s0
	v_cmp_gt_i32_e64 s0, s14, v80
	s_delay_alu instid0(VALU_DEP_1) | instskip(SKIP_1) | instid1(VALU_DEP_1)
	v_cndmask_b32_e64 v33, 0, v33, s0
	v_cmp_gt_i32_e64 s0, s33, v79
	v_cndmask_b32_e64 v32, 0, v32, s0
	s_or_b32 exec_lo, exec_lo, s1
	global_load_b128 v[34:37], v[46:47], off offset:3584
	s_wait_xcnt 0x0
	s_and_saveexec_b32 s1, vcc_lo
	s_cbranch_execz .LBB7_59
.LBB7_70:                               ;   in Loop: Header=BB7_50 Depth=1
	v_cmp_gt_i32_e64 s0, s14, v81
	s_wait_loadcnt 0x0
	s_delay_alu instid0(VALU_DEP_1) | instskip(SKIP_1) | instid1(VALU_DEP_1)
	v_cndmask_b32_e64 v35, 0, v35, s0
	v_cmp_gt_i32_e64 s0, s33, v78
	v_cndmask_b32_e64 v34, 0, v34, s0
	v_cmp_gt_i32_e64 s0, s14, v80
	s_delay_alu instid0(VALU_DEP_1) | instskip(SKIP_1) | instid1(VALU_DEP_1)
	v_cndmask_b32_e64 v37, 0, v37, s0
	v_cmp_gt_i32_e64 s0, s33, v79
	v_cndmask_b32_e64 v36, 0, v36, s0
	s_or_b32 exec_lo, exec_lo, s1
	global_load_b128 v[38:41], v[46:47], off offset:4096
	s_wait_xcnt 0x0
	s_and_saveexec_b32 s1, vcc_lo
	s_cbranch_execz .LBB7_60
.LBB7_71:                               ;   in Loop: Header=BB7_50 Depth=1
	v_cmp_gt_i32_e64 s0, s14, v81
	s_wait_loadcnt 0x0
	s_delay_alu instid0(VALU_DEP_1) | instskip(SKIP_1) | instid1(VALU_DEP_1)
	v_cndmask_b32_e64 v39, 0, v39, s0
	v_cmp_gt_i32_e64 s0, s33, v78
	v_cndmask_b32_e64 v38, 0, v38, s0
	v_cmp_gt_i32_e64 s0, s14, v80
	s_delay_alu instid0(VALU_DEP_1) | instskip(SKIP_1) | instid1(VALU_DEP_1)
	v_cndmask_b32_e64 v41, 0, v41, s0
	v_cmp_gt_i32_e64 s0, s33, v79
	v_cndmask_b32_e64 v40, 0, v40, s0
	s_or_b32 exec_lo, exec_lo, s1
	global_load_b128 v[42:45], v[46:47], off offset:4608
	s_wait_xcnt 0x0
	s_and_saveexec_b32 s1, vcc_lo
	s_cbranch_execz .LBB7_61
.LBB7_72:                               ;   in Loop: Header=BB7_50 Depth=1
	v_cmp_gt_i32_e64 s0, s14, v81
	s_wait_loadcnt 0x0
	s_delay_alu instid0(VALU_DEP_1) | instskip(SKIP_1) | instid1(VALU_DEP_1)
	v_cndmask_b32_e64 v43, 0, v43, s0
	v_cmp_gt_i32_e64 s0, s33, v78
	v_cndmask_b32_e64 v42, 0, v42, s0
	v_cmp_gt_i32_e64 s0, s14, v80
	s_delay_alu instid0(VALU_DEP_1) | instskip(SKIP_1) | instid1(VALU_DEP_1)
	v_cndmask_b32_e64 v45, 0, v45, s0
	v_cmp_gt_i32_e64 s0, s33, v79
	v_cndmask_b32_e64 v44, 0, v44, s0
	s_or_b32 exec_lo, exec_lo, s1
	global_load_b128 v[50:53], v[46:47], off offset:5120
	s_wait_xcnt 0x0
	s_and_saveexec_b32 s1, vcc_lo
	s_cbranch_execz .LBB7_62
.LBB7_73:                               ;   in Loop: Header=BB7_50 Depth=1
	v_cmp_gt_i32_e64 s0, s14, v81
	s_wait_loadcnt 0x0
	s_delay_alu instid0(VALU_DEP_1) | instskip(SKIP_1) | instid1(VALU_DEP_1)
	v_cndmask_b32_e64 v51, 0, v51, s0
	v_cmp_gt_i32_e64 s0, s33, v78
	v_cndmask_b32_e64 v50, 0, v50, s0
	v_cmp_gt_i32_e64 s0, s14, v80
	s_delay_alu instid0(VALU_DEP_1) | instskip(SKIP_1) | instid1(VALU_DEP_1)
	v_cndmask_b32_e64 v53, 0, v53, s0
	v_cmp_gt_i32_e64 s0, s33, v79
	v_cndmask_b32_e64 v52, 0, v52, s0
	s_or_b32 exec_lo, exec_lo, s1
	global_load_b128 v[46:49], v[46:47], off offset:5632
	s_wait_xcnt 0x0
	s_and_saveexec_b32 s19, vcc_lo
	s_cbranch_execz .LBB7_48
.LBB7_74:                               ;   in Loop: Header=BB7_50 Depth=1
	v_cmp_gt_i32_e32 vcc_lo, s14, v81
	v_cmp_gt_i32_e64 s0, s33, v78
	v_cmp_gt_i32_e64 s1, s14, v80
	;; [unrolled: 1-line block ×3, first 2 shown]
	s_wait_loadcnt 0x0
	s_delay_alu instid0(VALU_DEP_3) | instskip(NEXT) | instid1(VALU_DEP_2)
	v_dual_cndmask_b32 v47, 0, v47, vcc_lo :: v_dual_cndmask_b32 v46, 0, v46, s0
	v_dual_cndmask_b32 v49, 0, v49, s1 :: v_dual_cndmask_b32 v48, 0, v48, s2
	s_branch .LBB7_48
.LBB7_75:
	s_or_b32 exec_lo, exec_lo, s15
.LBB7_76:
	s_delay_alu instid0(SALU_CYCLE_1)
	s_or_b32 exec_lo, exec_lo, s3
	ds_bpermute_b32 v2, v73, v66
	ds_bpermute_b32 v3, v73, v67
	;; [unrolled: 1-line block ×12, first 2 shown]
	v_lshrrev_b32_e32 v15, 1, v72
	v_and_b32_e32 v14, 0x3c1, v0
	s_mov_b32 s0, exec_lo
	s_wait_dscnt 0x0
	s_barrier_signal -1
	s_barrier_wait -1
	v_pk_add_f32 v[10:11], v[66:67], v[2:3]
	v_pk_add_f32 v[8:9], v[64:65], v[4:5]
	;; [unrolled: 1-line block ×5, first 2 shown]
	v_cmpx_ne_u32_e32 64, v14
	s_xor_b32 s0, exec_lo, s0
	s_delay_alu instid0(SALU_CYCLE_1)
	s_or_saveexec_b32 s0, s0
	v_pk_add_f32 v[12:13], v[56:57], v[12:13]
	v_lshl_add_u32 v14, v15, 2, 0x320
	v_mul_u32_u24_e32 v1, 0x300, v1
	s_xor_b32 exec_lo, exec_lo, s0
	s_cbranch_execz .LBB7_78
; %bb.77:
	s_delay_alu instid0(VALU_DEP_1) | instskip(NEXT) | instid1(VALU_DEP_1)
	v_add_nc_u32_e32 v16, v14, v1
	v_add_nc_u32_e32 v17, 0xfffffa00, v16
	;; [unrolled: 1-line block ×13, first 2 shown]
	ds_store_b32 v17, v10
	ds_store_b32 v18, v11
	;; [unrolled: 1-line block ×12, first 2 shown]
.LBB7_78:
	s_or_b32 exec_lo, exec_lo, s0
	v_lshlrev_b32_e32 v15, 2, v15
	s_mov_b32 s1, exec_lo
	v_cmp_eq_u32_e32 vcc_lo, 0, v74
	s_wait_dscnt 0x0
	s_barrier_signal -1
	v_add3_u32 v1, 0x320, v1, v15
	s_barrier_wait -1
	v_cmpx_gt_u32_e32 64, v0
	s_cbranch_execz .LBB7_93
; %bb.79:
	s_and_saveexec_b32 s0, vcc_lo
	s_cbranch_execnz .LBB7_113
; %bb.80:
	s_or_b32 exec_lo, exec_lo, s0
	s_and_saveexec_b32 s0, vcc_lo
	s_cbranch_execnz .LBB7_114
.LBB7_81:
	s_or_b32 exec_lo, exec_lo, s0
	s_and_saveexec_b32 s0, vcc_lo
	s_cbranch_execnz .LBB7_115
.LBB7_82:
	s_or_b32 exec_lo, exec_lo, s0
	s_and_saveexec_b32 s0, vcc_lo
	s_cbranch_execnz .LBB7_116
.LBB7_83:
	s_or_b32 exec_lo, exec_lo, s0
	s_and_saveexec_b32 s0, vcc_lo
	s_cbranch_execnz .LBB7_117
.LBB7_84:
	s_or_b32 exec_lo, exec_lo, s0
	s_and_saveexec_b32 s0, vcc_lo
	s_cbranch_execnz .LBB7_118
.LBB7_85:
	s_or_b32 exec_lo, exec_lo, s0
	s_and_saveexec_b32 s0, vcc_lo
	s_cbranch_execnz .LBB7_119
.LBB7_86:
	s_or_b32 exec_lo, exec_lo, s0
	s_and_saveexec_b32 s0, vcc_lo
	s_cbranch_execnz .LBB7_120
.LBB7_87:
	s_or_b32 exec_lo, exec_lo, s0
	s_and_saveexec_b32 s0, vcc_lo
	s_cbranch_execnz .LBB7_121
.LBB7_88:
	s_or_b32 exec_lo, exec_lo, s0
	s_and_saveexec_b32 s0, vcc_lo
	s_cbranch_execnz .LBB7_122
.LBB7_89:
	s_or_b32 exec_lo, exec_lo, s0
	s_and_saveexec_b32 s0, vcc_lo
	s_cbranch_execnz .LBB7_123
.LBB7_90:
	s_or_b32 exec_lo, exec_lo, s0
	s_and_saveexec_b32 s0, vcc_lo
	s_cbranch_execz .LBB7_92
.LBB7_91:
	ds_load_b32 v15, v1 offset:704
	s_wait_dscnt 0x0
	v_add_f32_e32 v13, v13, v15
.LBB7_92:
	s_or_b32 exec_lo, exec_lo, s0
.LBB7_93:
	s_delay_alu instid0(SALU_CYCLE_1) | instskip(SKIP_4) | instid1(VALU_DEP_1)
	s_or_b32 exec_lo, exec_lo, s1
	v_and_b32_e32 v15, 0x3e1, v0
	s_mov_b32 s1, exec_lo
	s_barrier_signal -1
	s_barrier_wait -1
	v_cmpx_eq_u32_e32 32, v15
	s_cbranch_execz .LBB7_95
; %bb.94:
	ds_store_2addr_b32 v14, v10, v11 offset1:16
	ds_store_2addr_b32 v14, v8, v9 offset0:32 offset1:48
	ds_store_2addr_b32 v14, v6, v7 offset0:64 offset1:80
	;; [unrolled: 1-line block ×5, first 2 shown]
.LBB7_95:
	s_or_b32 exec_lo, exec_lo, s1
	s_delay_alu instid0(SALU_CYCLE_1)
	s_mov_b32 s1, exec_lo
	s_wait_dscnt 0x0
	s_barrier_signal -1
	s_barrier_wait -1
	v_cmpx_gt_u32_e32 32, v0
	s_cbranch_execz .LBB7_110
; %bb.96:
	s_and_saveexec_b32 s0, vcc_lo
	s_cbranch_execnz .LBB7_124
; %bb.97:
	s_or_b32 exec_lo, exec_lo, s0
	s_and_saveexec_b32 s0, vcc_lo
	s_cbranch_execnz .LBB7_125
.LBB7_98:
	s_or_b32 exec_lo, exec_lo, s0
	s_and_saveexec_b32 s0, vcc_lo
	s_cbranch_execnz .LBB7_126
.LBB7_99:
	s_or_b32 exec_lo, exec_lo, s0
	s_and_saveexec_b32 s0, vcc_lo
	s_cbranch_execnz .LBB7_127
.LBB7_100:
	s_or_b32 exec_lo, exec_lo, s0
	s_and_saveexec_b32 s0, vcc_lo
	s_cbranch_execnz .LBB7_128
.LBB7_101:
	s_or_b32 exec_lo, exec_lo, s0
	s_and_saveexec_b32 s0, vcc_lo
	s_cbranch_execnz .LBB7_129
.LBB7_102:
	s_or_b32 exec_lo, exec_lo, s0
	s_and_saveexec_b32 s0, vcc_lo
	s_cbranch_execnz .LBB7_130
.LBB7_103:
	s_or_b32 exec_lo, exec_lo, s0
	s_and_saveexec_b32 s0, vcc_lo
	s_cbranch_execnz .LBB7_131
.LBB7_104:
	s_or_b32 exec_lo, exec_lo, s0
	s_and_saveexec_b32 s0, vcc_lo
	s_cbranch_execnz .LBB7_132
.LBB7_105:
	s_or_b32 exec_lo, exec_lo, s0
	s_and_saveexec_b32 s0, vcc_lo
	s_cbranch_execnz .LBB7_133
.LBB7_106:
	s_or_b32 exec_lo, exec_lo, s0
	s_and_saveexec_b32 s0, vcc_lo
	s_cbranch_execnz .LBB7_134
.LBB7_107:
	s_or_b32 exec_lo, exec_lo, s0
	s_and_saveexec_b32 s0, vcc_lo
	s_cbranch_execz .LBB7_109
.LBB7_108:
	ds_load_b32 v1, v1 offset:704
	s_wait_dscnt 0x0
	v_add_f32_e32 v13, v13, v1
.LBB7_109:
	s_or_b32 exec_lo, exec_lo, s0
.LBB7_110:
	s_delay_alu instid0(SALU_CYCLE_1)
	s_or_b32 exec_lo, exec_lo, s1
	s_mov_b32 s1, 0
	s_barrier_signal -1
	s_barrier_wait -1
	s_mov_b32 s0, exec_lo
	v_cmpx_eq_u32_e32 0, v15
	s_cbranch_execz .LBB7_112
; %bb.111:
	s_mul_i32 s0, s30, s31
	s_mul_i32 s2, s31, s6
	;; [unrolled: 1-line block ×3, first 2 shown]
	s_lshr_b32 s8, ttmp7, 16
	s_mul_i32 s6, s0, 0xc0
	s_bfe_u32 s0, ttmp6, 0x40014
	s_ashr_i32 s7, s6, 31
	s_add_co_i32 s0, s0, 1
	s_lshl_b64 s[6:7], s[6:7], 2
	s_ashr_i32 s3, s2, 31
	s_wait_kmcnt 0x0
	s_add_nc_u64 s[4:5], s[4:5], s[6:7]
	s_mul_i32 s0, s8, s0
	s_bfe_u32 s6, ttmp6, 0x40008
	s_lshl_b64 s[2:3], s[2:3], 2
	s_add_co_i32 s6, s6, s0
	s_cmp_eq_u32 s28, 0
	v_lshlrev_b32_e32 v0, 1, v0
	s_cselect_b32 s0, s8, s6
	s_add_nc_u64 s[2:3], s[4:5], s[2:3]
	s_mulk_i32 s0, 0x300
	s_delay_alu instid0(SALU_CYCLE_1)
	s_add_nc_u64 s[0:1], s[2:3], s[0:1]
	s_clause 0xb
	global_store_b32 v0, v10, s[0:1]
	global_store_b32 v0, v11, s[0:1] offset:64
	global_store_b32 v0, v8, s[0:1] offset:128
	global_store_b32 v0, v9, s[0:1] offset:192
	global_store_b32 v0, v6, s[0:1] offset:256
	global_store_b32 v0, v7, s[0:1] offset:320
	global_store_b32 v0, v4, s[0:1] offset:384
	global_store_b32 v0, v5, s[0:1] offset:448
	global_store_b32 v0, v2, s[0:1] offset:512
	global_store_b32 v0, v3, s[0:1] offset:576
	global_store_b32 v0, v12, s[0:1] offset:640
	global_store_b32 v0, v13, s[0:1] offset:704
.LBB7_112:
	s_sendmsg sendmsg(MSG_DEALLOC_VGPRS)
	s_endpgm
.LBB7_113:
	ds_load_b32 v15, v1
	s_wait_dscnt 0x0
	v_add_f32_e32 v10, v10, v15
	s_or_b32 exec_lo, exec_lo, s0
	s_and_saveexec_b32 s0, vcc_lo
	s_cbranch_execz .LBB7_81
.LBB7_114:
	ds_load_b32 v15, v1 offset:64
	s_wait_dscnt 0x0
	v_add_f32_e32 v11, v11, v15
	s_or_b32 exec_lo, exec_lo, s0
	s_and_saveexec_b32 s0, vcc_lo
	s_cbranch_execz .LBB7_82
.LBB7_115:
	ds_load_b32 v15, v1 offset:128
	s_wait_dscnt 0x0
	v_add_f32_e32 v8, v8, v15
	s_or_b32 exec_lo, exec_lo, s0
	s_and_saveexec_b32 s0, vcc_lo
	s_cbranch_execz .LBB7_83
.LBB7_116:
	ds_load_b32 v15, v1 offset:192
	s_wait_dscnt 0x0
	v_add_f32_e32 v9, v9, v15
	s_or_b32 exec_lo, exec_lo, s0
	s_and_saveexec_b32 s0, vcc_lo
	s_cbranch_execz .LBB7_84
.LBB7_117:
	ds_load_b32 v15, v1 offset:256
	s_wait_dscnt 0x0
	v_add_f32_e32 v6, v6, v15
	s_or_b32 exec_lo, exec_lo, s0
	s_and_saveexec_b32 s0, vcc_lo
	s_cbranch_execz .LBB7_85
.LBB7_118:
	ds_load_b32 v15, v1 offset:320
	s_wait_dscnt 0x0
	v_add_f32_e32 v7, v7, v15
	s_or_b32 exec_lo, exec_lo, s0
	s_and_saveexec_b32 s0, vcc_lo
	s_cbranch_execz .LBB7_86
.LBB7_119:
	ds_load_b32 v15, v1 offset:384
	s_wait_dscnt 0x0
	v_add_f32_e32 v4, v4, v15
	s_or_b32 exec_lo, exec_lo, s0
	s_and_saveexec_b32 s0, vcc_lo
	s_cbranch_execz .LBB7_87
.LBB7_120:
	ds_load_b32 v15, v1 offset:448
	s_wait_dscnt 0x0
	v_add_f32_e32 v5, v5, v15
	s_or_b32 exec_lo, exec_lo, s0
	s_and_saveexec_b32 s0, vcc_lo
	s_cbranch_execz .LBB7_88
.LBB7_121:
	ds_load_b32 v15, v1 offset:512
	s_wait_dscnt 0x0
	v_add_f32_e32 v2, v2, v15
	s_or_b32 exec_lo, exec_lo, s0
	s_and_saveexec_b32 s0, vcc_lo
	s_cbranch_execz .LBB7_89
.LBB7_122:
	ds_load_b32 v15, v1 offset:576
	s_wait_dscnt 0x0
	v_add_f32_e32 v3, v3, v15
	s_or_b32 exec_lo, exec_lo, s0
	s_and_saveexec_b32 s0, vcc_lo
	s_cbranch_execz .LBB7_90
.LBB7_123:
	ds_load_b32 v15, v1 offset:640
	s_wait_dscnt 0x0
	v_add_f32_e32 v12, v12, v15
	s_or_b32 exec_lo, exec_lo, s0
	s_and_saveexec_b32 s0, vcc_lo
	s_cbranch_execnz .LBB7_91
	s_branch .LBB7_92
.LBB7_124:
	ds_load_b32 v14, v1
	s_wait_dscnt 0x0
	v_add_f32_e32 v10, v10, v14
	s_or_b32 exec_lo, exec_lo, s0
	s_and_saveexec_b32 s0, vcc_lo
	s_cbranch_execz .LBB7_98
.LBB7_125:
	ds_load_b32 v14, v1 offset:64
	s_wait_dscnt 0x0
	v_add_f32_e32 v11, v11, v14
	s_or_b32 exec_lo, exec_lo, s0
	s_and_saveexec_b32 s0, vcc_lo
	s_cbranch_execz .LBB7_99
.LBB7_126:
	ds_load_b32 v14, v1 offset:128
	s_wait_dscnt 0x0
	v_add_f32_e32 v8, v8, v14
	s_or_b32 exec_lo, exec_lo, s0
	s_and_saveexec_b32 s0, vcc_lo
	s_cbranch_execz .LBB7_100
.LBB7_127:
	ds_load_b32 v14, v1 offset:192
	s_wait_dscnt 0x0
	v_add_f32_e32 v9, v9, v14
	s_or_b32 exec_lo, exec_lo, s0
	s_and_saveexec_b32 s0, vcc_lo
	s_cbranch_execz .LBB7_101
.LBB7_128:
	ds_load_b32 v14, v1 offset:256
	s_wait_dscnt 0x0
	v_add_f32_e32 v6, v6, v14
	s_or_b32 exec_lo, exec_lo, s0
	s_and_saveexec_b32 s0, vcc_lo
	s_cbranch_execz .LBB7_102
.LBB7_129:
	ds_load_b32 v14, v1 offset:320
	s_wait_dscnt 0x0
	v_add_f32_e32 v7, v7, v14
	s_or_b32 exec_lo, exec_lo, s0
	s_and_saveexec_b32 s0, vcc_lo
	s_cbranch_execz .LBB7_103
.LBB7_130:
	ds_load_b32 v14, v1 offset:384
	s_wait_dscnt 0x0
	v_add_f32_e32 v4, v4, v14
	s_or_b32 exec_lo, exec_lo, s0
	s_and_saveexec_b32 s0, vcc_lo
	s_cbranch_execz .LBB7_104
.LBB7_131:
	ds_load_b32 v14, v1 offset:448
	s_wait_dscnt 0x0
	v_add_f32_e32 v5, v5, v14
	s_or_b32 exec_lo, exec_lo, s0
	s_and_saveexec_b32 s0, vcc_lo
	s_cbranch_execz .LBB7_105
.LBB7_132:
	ds_load_b32 v14, v1 offset:512
	s_wait_dscnt 0x0
	v_add_f32_e32 v2, v2, v14
	s_or_b32 exec_lo, exec_lo, s0
	s_and_saveexec_b32 s0, vcc_lo
	s_cbranch_execz .LBB7_106
.LBB7_133:
	ds_load_b32 v14, v1 offset:576
	s_wait_dscnt 0x0
	v_add_f32_e32 v3, v3, v14
	s_or_b32 exec_lo, exec_lo, s0
	s_and_saveexec_b32 s0, vcc_lo
	s_cbranch_execz .LBB7_107
.LBB7_134:
	ds_load_b32 v14, v1 offset:640
	s_wait_dscnt 0x0
	v_add_f32_e32 v12, v12, v14
	s_or_b32 exec_lo, exec_lo, s0
	s_and_saveexec_b32 s0, vcc_lo
	s_cbranch_execnz .LBB7_108
	s_branch .LBB7_109
	.section	.rodata,"a",@progbits
	.p2align	6, 0x0
	.amdhsa_kernel _ZN4vllm25paged_attention_v1_kernelIffLi192ELi8ELi128ELNS_18Fp8KVCacheDataTypeE0ELb1EEEvPT_PKS2_PKT0_S8_ifPKiSA_iPKfiiiSC_SC_iiiii
		.amdhsa_group_segment_fixed_size 800
		.amdhsa_private_segment_fixed_size 0
		.amdhsa_kernarg_size 384
		.amdhsa_user_sgpr_count 2
		.amdhsa_user_sgpr_dispatch_ptr 0
		.amdhsa_user_sgpr_queue_ptr 0
		.amdhsa_user_sgpr_kernarg_segment_ptr 1
		.amdhsa_user_sgpr_dispatch_id 0
		.amdhsa_user_sgpr_kernarg_preload_length 0
		.amdhsa_user_sgpr_kernarg_preload_offset 0
		.amdhsa_user_sgpr_private_segment_size 0
		.amdhsa_wavefront_size32 1
		.amdhsa_uses_dynamic_stack 0
		.amdhsa_enable_private_segment 0
		.amdhsa_system_sgpr_workgroup_id_x 1
		.amdhsa_system_sgpr_workgroup_id_y 1
		.amdhsa_system_sgpr_workgroup_id_z 1
		.amdhsa_system_sgpr_workgroup_info 0
		.amdhsa_system_vgpr_workitem_id 0
		.amdhsa_next_free_vgpr 82
		.amdhsa_next_free_sgpr 40
		.amdhsa_named_barrier_count 0
		.amdhsa_reserve_vcc 1
		.amdhsa_float_round_mode_32 0
		.amdhsa_float_round_mode_16_64 0
		.amdhsa_float_denorm_mode_32 3
		.amdhsa_float_denorm_mode_16_64 3
		.amdhsa_fp16_overflow 0
		.amdhsa_memory_ordered 1
		.amdhsa_forward_progress 1
		.amdhsa_inst_pref_size 68
		.amdhsa_round_robin_scheduling 0
		.amdhsa_exception_fp_ieee_invalid_op 0
		.amdhsa_exception_fp_denorm_src 0
		.amdhsa_exception_fp_ieee_div_zero 0
		.amdhsa_exception_fp_ieee_overflow 0
		.amdhsa_exception_fp_ieee_underflow 0
		.amdhsa_exception_fp_ieee_inexact 0
		.amdhsa_exception_int_div_zero 0
	.end_amdhsa_kernel
	.section	.text._ZN4vllm25paged_attention_v1_kernelIffLi192ELi8ELi128ELNS_18Fp8KVCacheDataTypeE0ELb1EEEvPT_PKS2_PKT0_S8_ifPKiSA_iPKfiiiSC_SC_iiiii,"axG",@progbits,_ZN4vllm25paged_attention_v1_kernelIffLi192ELi8ELi128ELNS_18Fp8KVCacheDataTypeE0ELb1EEEvPT_PKS2_PKT0_S8_ifPKiSA_iPKfiiiSC_SC_iiiii,comdat
.Lfunc_end7:
	.size	_ZN4vllm25paged_attention_v1_kernelIffLi192ELi8ELi128ELNS_18Fp8KVCacheDataTypeE0ELb1EEEvPT_PKS2_PKT0_S8_ifPKiSA_iPKfiiiSC_SC_iiiii, .Lfunc_end7-_ZN4vllm25paged_attention_v1_kernelIffLi192ELi8ELi128ELNS_18Fp8KVCacheDataTypeE0ELb1EEEvPT_PKS2_PKT0_S8_ifPKiSA_iPKfiiiSC_SC_iiiii
                                        ; -- End function
	.set _ZN4vllm25paged_attention_v1_kernelIffLi192ELi8ELi128ELNS_18Fp8KVCacheDataTypeE0ELb1EEEvPT_PKS2_PKT0_S8_ifPKiSA_iPKfiiiSC_SC_iiiii.num_vgpr, 82
	.set _ZN4vllm25paged_attention_v1_kernelIffLi192ELi8ELi128ELNS_18Fp8KVCacheDataTypeE0ELb1EEEvPT_PKS2_PKT0_S8_ifPKiSA_iPKfiiiSC_SC_iiiii.num_agpr, 0
	.set _ZN4vllm25paged_attention_v1_kernelIffLi192ELi8ELi128ELNS_18Fp8KVCacheDataTypeE0ELb1EEEvPT_PKS2_PKT0_S8_ifPKiSA_iPKfiiiSC_SC_iiiii.numbered_sgpr, 40
	.set _ZN4vllm25paged_attention_v1_kernelIffLi192ELi8ELi128ELNS_18Fp8KVCacheDataTypeE0ELb1EEEvPT_PKS2_PKT0_S8_ifPKiSA_iPKfiiiSC_SC_iiiii.num_named_barrier, 0
	.set _ZN4vllm25paged_attention_v1_kernelIffLi192ELi8ELi128ELNS_18Fp8KVCacheDataTypeE0ELb1EEEvPT_PKS2_PKT0_S8_ifPKiSA_iPKfiiiSC_SC_iiiii.private_seg_size, 0
	.set _ZN4vllm25paged_attention_v1_kernelIffLi192ELi8ELi128ELNS_18Fp8KVCacheDataTypeE0ELb1EEEvPT_PKS2_PKT0_S8_ifPKiSA_iPKfiiiSC_SC_iiiii.uses_vcc, 1
	.set _ZN4vllm25paged_attention_v1_kernelIffLi192ELi8ELi128ELNS_18Fp8KVCacheDataTypeE0ELb1EEEvPT_PKS2_PKT0_S8_ifPKiSA_iPKfiiiSC_SC_iiiii.uses_flat_scratch, 0
	.set _ZN4vllm25paged_attention_v1_kernelIffLi192ELi8ELi128ELNS_18Fp8KVCacheDataTypeE0ELb1EEEvPT_PKS2_PKT0_S8_ifPKiSA_iPKfiiiSC_SC_iiiii.has_dyn_sized_stack, 0
	.set _ZN4vllm25paged_attention_v1_kernelIffLi192ELi8ELi128ELNS_18Fp8KVCacheDataTypeE0ELb1EEEvPT_PKS2_PKT0_S8_ifPKiSA_iPKfiiiSC_SC_iiiii.has_recursion, 0
	.set _ZN4vllm25paged_attention_v1_kernelIffLi192ELi8ELi128ELNS_18Fp8KVCacheDataTypeE0ELb1EEEvPT_PKS2_PKT0_S8_ifPKiSA_iPKfiiiSC_SC_iiiii.has_indirect_call, 0
	.section	.AMDGPU.csdata,"",@progbits
; Kernel info:
; codeLenInByte = 8696
; TotalNumSgprs: 42
; NumVgprs: 82
; ScratchSize: 0
; MemoryBound: 0
; FloatMode: 240
; IeeeMode: 1
; LDSByteSize: 800 bytes/workgroup (compile time only)
; SGPRBlocks: 0
; VGPRBlocks: 5
; NumSGPRsForWavesPerEU: 42
; NumVGPRsForWavesPerEU: 82
; NamedBarCnt: 0
; Occupancy: 10
; WaveLimiterHint : 1
; COMPUTE_PGM_RSRC2:SCRATCH_EN: 0
; COMPUTE_PGM_RSRC2:USER_SGPR: 2
; COMPUTE_PGM_RSRC2:TRAP_HANDLER: 0
; COMPUTE_PGM_RSRC2:TGID_X_EN: 1
; COMPUTE_PGM_RSRC2:TGID_Y_EN: 1
; COMPUTE_PGM_RSRC2:TGID_Z_EN: 1
; COMPUTE_PGM_RSRC2:TIDIG_COMP_CNT: 0
	.section	.text._ZN4vllm25paged_attention_v1_kernelIffLi256ELi8ELi128ELNS_18Fp8KVCacheDataTypeE0ELb1EEEvPT_PKS2_PKT0_S8_ifPKiSA_iPKfiiiSC_SC_iiiii,"axG",@progbits,_ZN4vllm25paged_attention_v1_kernelIffLi256ELi8ELi128ELNS_18Fp8KVCacheDataTypeE0ELb1EEEvPT_PKS2_PKT0_S8_ifPKiSA_iPKfiiiSC_SC_iiiii,comdat
	.protected	_ZN4vllm25paged_attention_v1_kernelIffLi256ELi8ELi128ELNS_18Fp8KVCacheDataTypeE0ELb1EEEvPT_PKS2_PKT0_S8_ifPKiSA_iPKfiiiSC_SC_iiiii ; -- Begin function _ZN4vllm25paged_attention_v1_kernelIffLi256ELi8ELi128ELNS_18Fp8KVCacheDataTypeE0ELb1EEEvPT_PKS2_PKT0_S8_ifPKiSA_iPKfiiiSC_SC_iiiii
	.globl	_ZN4vllm25paged_attention_v1_kernelIffLi256ELi8ELi128ELNS_18Fp8KVCacheDataTypeE0ELb1EEEvPT_PKS2_PKT0_S8_ifPKiSA_iPKfiiiSC_SC_iiiii
	.p2align	8
	.type	_ZN4vllm25paged_attention_v1_kernelIffLi256ELi8ELi128ELNS_18Fp8KVCacheDataTypeE0ELb1EEEvPT_PKS2_PKT0_S8_ifPKiSA_iPKfiiiSC_SC_iiiii,@function
_ZN4vllm25paged_attention_v1_kernelIffLi256ELi8ELi128ELNS_18Fp8KVCacheDataTypeE0ELb1EEEvPT_PKS2_PKT0_S8_ifPKiSA_iPKfiiiSC_SC_iiiii: ; @_ZN4vllm25paged_attention_v1_kernelIffLi256ELi8ELi128ELNS_18Fp8KVCacheDataTypeE0ELb1EEEvPT_PKS2_PKT0_S8_ifPKiSA_iPKfiiiSC_SC_iiiii
; %bb.0:
	s_load_b64 s[22:23], s[0:1], 0x20
	s_bfe_u32 s3, ttmp6, 0x4000c
	s_bfe_u32 s5, ttmp6, 0x40010
	s_and_b32 s4, ttmp7, 0xffff
	s_add_co_i32 s3, s3, 1
	s_add_co_i32 s5, s5, 1
	s_and_b32 s2, ttmp6, 15
	s_bfe_u32 s6, ttmp6, 0x40004
	s_mul_i32 s3, ttmp9, s3
	s_mul_i32 s5, s4, s5
	s_getreg_b32 s28, hwreg(HW_REG_IB_STS2, 6, 4)
	s_add_co_i32 s2, s2, s3
	s_add_co_i32 s3, s6, s5
	s_cmp_eq_u32 s28, 0
	s_clause 0x1
	s_load_b32 s29, s[0:1], 0x80
	s_load_b64 s[6:7], s[0:1], 0x30
	s_cselect_b32 s30, s4, s3
	s_cselect_b32 s2, ttmp9, s2
	s_wait_kmcnt 0x0
	s_abs_i32 s3, s22
	s_delay_alu instid0(SALU_CYCLE_1) | instskip(SKIP_1) | instid1(SALU_CYCLE_2)
	s_cvt_f32_u32 s4, s3
	s_sub_co_i32 s5, 0, s3
	v_rcp_iflag_f32_e32 v1, s4
	s_abs_i32 s8, s29
	v_nop
	s_delay_alu instid0(TRANS32_DEP_1) | instskip(SKIP_1) | instid1(SALU_CYCLE_3)
	v_readfirstlane_b32 s4, v1
	s_mul_f32 s4, s4, 0x4f7ffffe
	s_cvt_u32_f32 s4, s4
	s_delay_alu instid0(SALU_CYCLE_3) | instskip(NEXT) | instid1(SALU_CYCLE_1)
	s_mul_i32 s5, s5, s4
	s_mul_hi_u32 s5, s4, s5
	s_delay_alu instid0(SALU_CYCLE_1) | instskip(SKIP_4) | instid1(SALU_CYCLE_1)
	s_add_co_i32 s4, s4, s5
	s_xor_b32 s5, s29, s22
	s_mul_hi_u32 s4, s8, s4
	s_ashr_i32 s5, s5, 31
	s_mul_i32 s9, s4, s3
	s_sub_co_i32 s8, s8, s9
	s_add_co_i32 s9, s4, 1
	s_sub_co_i32 s10, s8, s3
	s_cmp_ge_u32 s8, s3
	s_cselect_b32 s4, s9, s4
	s_cselect_b32 s8, s10, s8
	s_add_co_i32 s9, s4, 1
	s_cmp_ge_u32 s8, s3
	s_load_b64 s[10:11], s[0:1], 0x40
	s_cselect_b32 s3, s9, s4
	s_delay_alu instid0(SALU_CYCLE_1) | instskip(NEXT) | instid1(SALU_CYCLE_1)
	s_xor_b32 s3, s3, s5
	s_sub_co_i32 s16, s3, s5
	s_mov_b32 s5, 0
	s_abs_i32 s15, s16
	s_mov_b32 s9, s5
	s_cvt_f32_u32 s3, s15
	s_sub_co_i32 s4, 0, s15
	s_mov_b32 s36, s5
	s_delay_alu instid0(SALU_CYCLE_1) | instskip(SKIP_1) | instid1(TRANS32_DEP_1)
	v_rcp_iflag_f32_e32 v1, s3
	v_nop
	v_readfirstlane_b32 s3, v1
	s_mul_f32 s3, s3, 0x4f7ffffe
	s_delay_alu instid0(SALU_CYCLE_3) | instskip(NEXT) | instid1(SALU_CYCLE_3)
	s_cvt_u32_f32 s3, s3
	s_mul_i32 s4, s4, s3
	s_delay_alu instid0(SALU_CYCLE_1)
	s_mul_hi_u32 s8, s3, s4
	s_abs_i32 s4, s2
	s_add_co_i32 s8, s3, s8
	s_wait_kmcnt 0x0
	s_cmp_eq_u64 s[10:11], 0
	s_cbranch_scc1 .LBB8_2
; %bb.1:
	s_ashr_i32 s3, s2, 31
	s_delay_alu instid0(SALU_CYCLE_1) | instskip(NEXT) | instid1(SALU_CYCLE_1)
	s_lshl_b64 s[12:13], s[2:3], 2
	s_add_nc_u64 s[10:11], s[10:11], s[12:13]
	s_load_b32 s36, s[10:11], 0x0
.LBB8_2:
	s_load_b32 s33, s[6:7], s30 offset:0x0 scale_offset
	s_clause 0x1
	s_load_b32 s31, s[0:1], 0x88
	s_load_b96 s[12:14], s[0:1], 0x48
	v_and_b32_e32 v4, 3, v0
	s_ashr_i32 s3, s2, 31
	s_ashr_i32 s18, s16, 31
	s_mul_u64 s[16:17], s[4:5], s[8:9]
	s_wait_xcnt 0x0
	s_lshl_b32 s6, s2, 8
	s_mov_b32 s5, exec_lo
	v_cmpx_gt_u32_e32 0x100, v0
	s_cbranch_execz .LBB8_5
; %bb.3:
	s_load_b64 s[8:9], s[0:1], 0x8
	s_wait_kmcnt 0x0
	s_mul_i32 s10, s12, s30
	s_ashr_i32 s7, s6, 31
	s_ashr_i32 s11, s10, 31
	v_and_b32_e32 v1, 0x3fc, v0
	s_lshl_b64 s[10:11], s[10:11], 2
	v_cmp_gt_u32_e32 vcc_lo, 0x80, v0
	s_delay_alu instid0(VALU_DEP_2) | instskip(SKIP_2) | instid1(SALU_CYCLE_1)
	v_lshl_add_u32 v1, v4, 8, v1
	s_add_nc_u64 s[8:9], s[8:9], s[10:11]
	s_lshl_b64 s[10:11], s[6:7], 2
	s_add_nc_u64 s[8:9], s[8:9], s[10:11]
	global_load_b32 v2, v0, s[8:9] scale_offset
	s_wait_loadcnt 0x0
	ds_store_b32 v1, v2
	s_and_b32 exec_lo, exec_lo, vcc_lo
	s_cbranch_execz .LBB8_5
; %bb.4:
	v_lshrrev_b32_e32 v2, 2, v0
	s_delay_alu instid0(VALU_DEP_1) | instskip(NEXT) | instid1(VALU_DEP_1)
	v_dual_lshlrev_b32 v3, 2, v4 :: v_dual_lshlrev_b32 v2, 4, v2
	v_or3_b32 v2, v2, v3, 0x200
	global_load_b32 v2, v2, s[8:9]
	s_wait_loadcnt 0x0
	ds_store_b32 v1, v2 offset:128
.LBB8_5:
	s_or_b32 exec_lo, exec_lo, s5
	s_load_b128 s[8:11], s[0:1], 0x68
	s_mul_i32 s5, s17, s15
	s_xor_b32 s3, s3, s18
	s_sub_co_i32 s4, s4, s5
	s_add_co_i32 s5, s17, 1
	s_sub_co_i32 s7, s4, s15
	s_cmp_ge_u32 s4, s15
	s_mov_b32 s19, -1
	s_cselect_b32 s5, s5, s17
	s_cselect_b32 s4, s7, s4
	s_add_co_i32 s7, s5, 1
	s_cmp_ge_u32 s4, s15
	s_load_b32 s15, s[0:1], 0x78
	s_cselect_b32 s4, s7, s5
	s_wait_kmcnt 0x0
	s_add_co_i32 s18, s33, -1
	s_xor_b32 s4, s4, s3
	s_wait_dscnt 0x0
	s_sub_co_i32 s3, s4, s3
	s_barrier_signal -1
	s_barrier_wait -1
	s_abs_i32 s7, s11
	s_delay_alu instid0(SALU_CYCLE_1) | instskip(NEXT) | instid1(SALU_CYCLE_3)
	s_cvt_f32_u32 s5, s7
	v_rcp_iflag_f32_e32 v1, s5
	v_nop
	s_delay_alu instid0(TRANS32_DEP_1) | instskip(SKIP_1) | instid1(SALU_CYCLE_3)
	v_readfirstlane_b32 s5, v1
	s_mul_f32 s4, s5, 0x4f7ffffe
	s_cvt_u32_f32 s12, s4
	s_sub_co_i32 s4, 0, s7
	s_delay_alu instid0(SALU_CYCLE_2)
	s_mul_i32 s5, s4, s12
	s_abs_i32 s4, s18
	s_mul_hi_u32 s16, s12, s5
	s_mov_b32 s5, 0
	s_add_co_i32 s16, s12, s16
	s_cmp_lt_i32 s15, 0
	s_mov_b32 s17, s5
                                        ; implicit-def: $sgpr12
	s_cbranch_scc0 .LBB8_7
; %bb.6:
	s_mul_i32 s12, s8, s22
	s_mov_b32 s19, s5
	s_add_co_i32 s12, s3, s12
	s_delay_alu instid0(SALU_CYCLE_1) | instskip(NEXT) | instid1(SALU_CYCLE_1)
	s_mul_i32 s12, s12, s15
	s_sub_co_i32 s12, 1, s12
.LBB8_7:
	s_ashr_i32 s18, s18, 31
	s_ashr_i32 s34, s11, 31
	s_and_not1_b32 vcc_lo, exec_lo, s19
	s_mul_u64 s[24:25], s[4:5], s[16:17]
	s_cbranch_vccnz .LBB8_9
; %bb.8:
	s_mul_i32 s5, s29, s8
	s_delay_alu instid0(SALU_CYCLE_1) | instskip(NEXT) | instid1(SALU_CYCLE_1)
	s_add_co_i32 s2, s5, s2
	s_mul_i32 s2, s2, s15
	s_delay_alu instid0(SALU_CYCLE_1)
	s_add_co_i32 s12, s2, 1
.LBB8_9:
	s_clause 0x1
	s_load_b32 s2, s[0:1], 0x38
	s_load_b64 s[20:21], s[0:1], 0x28
	s_mul_i32 s8, s25, s7
	s_xor_b32 s5, s18, s34
	s_sub_co_i32 s4, s4, s8
	s_add_co_i32 s11, s25, 1
	v_dual_mov_b32 v14, 0xff7fffff :: v_dual_lshrrev_b32 v1, 5, v0
	v_lshrrev_b32_e32 v10, 3, v0
	v_mbcnt_lo_u32_b32 v11, -1, 0
	s_mul_i32 s14, s3, s14
	s_delay_alu instid0(VALU_DEP_3)
	v_lshlrev_b32_e32 v70, 3, v1
	s_wait_kmcnt 0x0
	s_mul_i32 s18, s2, s30
	s_sub_co_i32 s2, s4, s7
	s_ashr_i32 s19, s18, 31
	s_cmp_ge_u32 s4, s7
	s_cselect_b32 s8, s11, s25
	s_cselect_b32 s2, s2, s4
	s_add_co_i32 s4, s8, 1
	s_cmp_ge_u32 s2, s7
	s_cselect_b32 s2, s4, s8
	s_add_co_i32 s4, s33, 7
	s_delay_alu instid0(SALU_CYCLE_1) | instskip(NEXT) | instid1(SALU_CYCLE_1)
	s_ashr_i32 s8, s4, 31
	s_lshr_b32 s8, s8, 29
	s_delay_alu instid0(SALU_CYCLE_1) | instskip(NEXT) | instid1(SALU_CYCLE_1)
	s_add_co_i32 s4, s4, s8
	s_ashr_i32 s35, s4, 3
	s_xor_b32 s4, s2, s5
	v_cmp_gt_i32_e64 s2, s35, v1
	s_sub_co_i32 s8, s4, s5
	s_and_saveexec_b32 s11, s2
	s_cbranch_execz .LBB8_21
; %bb.10:
	s_load_b64 s[4:5], s[0:1], 0x10
	s_ashr_i32 s15, s14, 31
	s_sub_co_i32 s22, s8, s9
	s_ashr_i32 s25, s13, 31
	s_lshl_b64 s[38:39], s[14:15], 2
	s_cmp_neq_f32 s36, 0
	v_bfe_u32 v12, v0, 2, 3
	v_dual_mov_b32 v3, 0 :: v_dual_lshlrev_b32 v13, 8, v4
	s_cselect_b32 vcc_lo, -1, 0
	s_abs_i32 s15, s10
	s_delay_alu instid0(VALU_DEP_2)
	v_lshlrev_b32_e32 v2, 4, v12
	s_cvt_f32_u32 s3, s15
	v_subrev_nc_u32_e32 v9, s33, v12
	v_lshlrev_b32_e32 v8, 2, v12
	s_sub_co_i32 s26, 0, s15
	v_rcp_iflag_f32_e32 v5, s3
	v_cmp_eq_u32_e64 s3, 0, v4
	v_add_nc_u32_e32 v15, 1, v9
	v_lshl_or_b32 v8, v1, 5, v8
	s_wait_kmcnt 0x0
	s_add_nc_u64 s[4:5], s[4:5], s[38:39]
	v_dual_mov_b32 v20, v1 :: v_dual_bitop2_b32 v18, 2, v11 bitop3:0x14
	v_readfirstlane_b32 s24, v5
	v_add_nc_u64_e32 v[6:7], s[4:5], v[2:3]
	v_lshlrev_b32_e32 v2, 2, v4
	s_lshl_b64 s[4:5], s[18:19], 2
	v_add_nc_u32_e32 v16, 0x420, v8
	s_mul_f32 s24, s24, 0x4f7ffffe
	s_add_nc_u64 s[4:5], s[20:21], s[4:5]
	v_xor_b32_e32 v19, 1, v11
	v_add_nc_u64_e32 v[4:5], v[6:7], v[2:3]
	v_and_b32_e32 v2, 0x7c, v10
	s_cvt_u32_f32 s37, s24
	v_dual_mov_b32 v17, 0xff7fffff :: v_dual_mov_b32 v14, 0xff7fffff
	s_mov_b32 s27, 0
	s_delay_alu instid0(VALU_DEP_2)
	v_add_nc_u64_e32 v[6:7], s[4:5], v[2:3]
	s_mul_i32 s26, s26, s37
	v_lshlrev_b32_e32 v2, 3, v1
	s_mul_hi_u32 s4, s37, s26
	s_mov_b32 s24, s13
	s_add_co_i32 s26, s37, s4
	s_mov_b32 s37, s27
	s_branch .LBB8_13
.LBB8_11:                               ;   in Loop: Header=BB8_13 Depth=1
	s_or_b32 exec_lo, exec_lo, s38
.LBB8_12:                               ;   in Loop: Header=BB8_13 Depth=1
	s_delay_alu instid0(SALU_CYCLE_1) | instskip(SKIP_3) | instid1(VALU_DEP_3)
	s_or_b32 exec_lo, exec_lo, s5
	v_dual_add_nc_u32 v20, 4, v20 :: v_dual_add_nc_u32 v2, 32, v2
	v_add_nc_u64_e32 v[6:7], 16, v[6:7]
	v_add_nc_u32_e32 v16, 0x80, v16
	v_cmp_le_i32_e64 s4, s35, v20
	s_or_b32 s37, s4, s37
	s_delay_alu instid0(SALU_CYCLE_1)
	s_and_not1_b32 exec_lo, exec_lo, s37
	s_cbranch_execz .LBB8_20
.LBB8_13:                               ; =>This Inner Loop Header: Depth=1
	s_wait_dscnt 0x0
	v_mul_u64_e32 v[8:9], s[16:17], v[2:3]
	s_delay_alu instid0(VALU_DEP_1) | instskip(NEXT) | instid1(VALU_DEP_1)
	v_mul_lo_u32 v8, v9, s7
	v_dual_add_nc_u32 v21, 1, v9 :: v_dual_sub_nc_u32 v8, v2, v8
	s_delay_alu instid0(VALU_DEP_1) | instskip(SKIP_1) | instid1(VALU_DEP_1)
	v_subrev_nc_u32_e32 v22, s7, v8
	v_cmp_le_u32_e64 s4, s7, v8
	v_dual_cndmask_b32 v9, v9, v21, s4 :: v_dual_cndmask_b32 v8, v8, v22, s4
	s_delay_alu instid0(VALU_DEP_1) | instskip(NEXT) | instid1(VALU_DEP_2)
	v_add_nc_u32_e32 v21, 1, v9
	v_cmp_le_u32_e64 s4, s7, v8
	s_delay_alu instid0(VALU_DEP_1) | instskip(NEXT) | instid1(VALU_DEP_1)
	v_dual_cndmask_b32 v8, v9, v21, s4 :: v_dual_mov_b32 v9, v3
	v_xor_b32_e32 v8, s34, v8
	s_delay_alu instid0(VALU_DEP_1) | instskip(NEXT) | instid1(VALU_DEP_1)
	v_subrev_nc_u32_e32 v21, s34, v8
	v_add_nc_u32_e32 v24, s12, v21
	v_cmp_ge_i32_e64 s5, s22, v21
	s_delay_alu instid0(VALU_DEP_2) | instskip(NEXT) | instid1(VALU_DEP_1)
	v_sub_nc_u32_e32 v8, 0, v24
	v_max_i32_e32 v8, v24, v8
	s_delay_alu instid0(VALU_DEP_1) | instskip(SKIP_1) | instid1(VALU_DEP_2)
	v_mul_u64_e32 v[22:23], s[26:27], v[8:9]
	v_ashrrev_i32_e32 v22, 31, v24
	v_mul_lo_u32 v9, v23, s15
	s_delay_alu instid0(VALU_DEP_1) | instskip(NEXT) | instid1(VALU_DEP_1)
	v_sub_nc_u32_e32 v8, v8, v9
	v_subrev_nc_u32_e32 v9, s15, v8
	v_cmp_le_u32_e64 s4, s15, v8
	s_delay_alu instid0(VALU_DEP_1) | instskip(NEXT) | instid1(VALU_DEP_1)
	v_cndmask_b32_e64 v8, v8, v9, s4
	v_subrev_nc_u32_e32 v9, s15, v8
	v_cmp_le_u32_e64 s4, s15, v8
	s_delay_alu instid0(VALU_DEP_1) | instskip(NEXT) | instid1(VALU_DEP_1)
	v_cndmask_b32_e64 v8, v8, v9, s4
	v_xor_b32_e32 v8, v8, v22
	s_delay_alu instid0(VALU_DEP_1) | instskip(NEXT) | instid1(VALU_DEP_1)
	v_sub_nc_u32_e32 v8, v8, v22
	v_cmp_ne_u32_e64 s4, 0, v8
	s_and_b32 s4, s4, s5
	s_delay_alu instid0(SALU_CYCLE_1) | instskip(NEXT) | instid1(SALU_CYCLE_1)
	s_and_saveexec_b32 s5, s4
	s_xor_b32 s4, exec_lo, s5
	s_cbranch_execz .LBB8_17
; %bb.14:                               ;   in Loop: Header=BB8_13 Depth=1
	s_and_saveexec_b32 s5, s3
; %bb.15:                               ;   in Loop: Header=BB8_13 Depth=1
	ds_store_b32 v16, v17
; %bb.16:                               ;   in Loop: Header=BB8_13 Depth=1
	s_or_b32 exec_lo, exec_lo, s5
.LBB8_17:                               ;   in Loop: Header=BB8_13 Depth=1
	s_and_not1_saveexec_b32 s5, s4
	s_cbranch_execz .LBB8_12
; %bb.18:                               ;   in Loop: Header=BB8_13 Depth=1
	global_load_b32 v8, v[6:7], off
	v_cmp_gt_i32_e64 s4, 32, v18
	s_wait_loadcnt 0x0
	v_ashrrev_i32_e32 v9, 31, v8
	s_delay_alu instid0(VALU_DEP_1) | instskip(NEXT) | instid1(VALU_DEP_1)
	v_mul_u64_e32 v[8:9], s[24:25], v[8:9]
	v_lshl_add_u64 v[8:9], v[8:9], 2, v[4:5]
	s_clause 0x3b
	global_load_b32 v21, v[8:9], off offset:128
	global_load_b32 v30, v[8:9], off offset:256
	;; [unrolled: 1-line block ×7, first 2 shown]
	global_load_b32 v36, v[8:9], off
	global_load_b32 v37, v[8:9], off offset:1024
	global_load_b32 v38, v[8:9], off offset:1152
	global_load_b32 v39, v[8:9], off offset:1280
	global_load_b32 v40, v[8:9], off offset:1408
	global_load_b32 v41, v[8:9], off offset:1536
	global_load_b32 v42, v[8:9], off offset:1664
	global_load_b32 v43, v[8:9], off offset:1792
	global_load_b32 v44, v[8:9], off offset:1920
	global_load_b32 v45, v[8:9], off offset:2048
	global_load_b32 v46, v[8:9], off offset:2176
	global_load_b32 v47, v[8:9], off offset:2304
	global_load_b32 v48, v[8:9], off offset:2432
	global_load_b32 v49, v[8:9], off offset:2560
	global_load_b32 v50, v[8:9], off offset:2688
	global_load_b32 v51, v[8:9], off offset:2816
	global_load_b32 v52, v[8:9], off offset:2944
	global_load_b32 v53, v[8:9], off offset:3072
	global_load_b32 v54, v[8:9], off offset:3200
	global_load_b32 v55, v[8:9], off offset:3328
	global_load_b32 v56, v[8:9], off offset:3456
	global_load_b32 v57, v[8:9], off offset:3584
	global_load_b32 v58, v[8:9], off offset:3712
	global_load_b32 v59, v[8:9], off offset:3840
	global_load_b32 v60, v[8:9], off offset:3968
	global_load_b32 v61, v[8:9], off offset:4096
	global_load_b32 v62, v[8:9], off offset:4224
	global_load_b32 v63, v[8:9], off offset:4352
	global_load_b32 v64, v[8:9], off offset:4480
	global_load_b32 v65, v[8:9], off offset:4608
	global_load_b32 v66, v[8:9], off offset:4736
	global_load_b32 v67, v[8:9], off offset:4864
	global_load_b32 v68, v[8:9], off offset:4992
	global_load_b32 v69, v[8:9], off offset:5120
	global_load_b32 v71, v[8:9], off offset:5248
	global_load_b32 v72, v[8:9], off offset:5376
	global_load_b32 v73, v[8:9], off offset:5504
	global_load_b32 v74, v[8:9], off offset:5632
	global_load_b32 v75, v[8:9], off offset:5760
	global_load_b32 v76, v[8:9], off offset:5888
	global_load_b32 v77, v[8:9], off offset:6016
	global_load_b32 v78, v[8:9], off offset:6144
	global_load_b32 v79, v[8:9], off offset:6272
	global_load_b32 v80, v[8:9], off offset:6400
	global_load_b32 v81, v[8:9], off offset:6528
	global_load_b32 v82, v[8:9], off offset:6656
	global_load_b32 v83, v[8:9], off offset:6784
	global_load_b32 v84, v[8:9], off offset:6912
	global_load_b32 v85, v[8:9], off offset:7040
	global_load_b32 v86, v[8:9], off offset:7168
	global_load_b32 v87, v[8:9], off offset:7296
	global_load_b32 v88, v[8:9], off offset:7424
	global_load_b32 v89, v[8:9], off offset:7552
	ds_load_b128 v[22:25], v13
	s_clause 0x3
	global_load_b32 v90, v[8:9], off offset:7680
	global_load_b32 v91, v[8:9], off offset:7808
	;; [unrolled: 1-line block ×4, first 2 shown]
	ds_load_b128 v[26:29], v13 offset:16
	s_wait_loadcnt_dscnt 0x3e01
	s_wait_xcnt 0x0
	v_mul_f32_e32 v9, v23, v21
	v_cndmask_b32_e64 v21, v11, v18, s4
	v_cmp_gt_i32_e64 s4, 32, v19
	s_wait_loadcnt 0x38
	s_delay_alu instid0(VALU_DEP_2) | instskip(NEXT) | instid1(VALU_DEP_1)
	v_dual_lshlrev_b32 v21, 2, v21 :: v_dual_fmac_f32 v9, v22, v36
	v_fmac_f32_e32 v9, v24, v30
	s_delay_alu instid0(VALU_DEP_1) | instskip(SKIP_3) | instid1(VALU_DEP_1)
	v_fmac_f32_e32 v9, v25, v31
	ds_load_b128 v[22:25], v13 offset:32
	s_wait_dscnt 0x1
	v_fmac_f32_e32 v9, v26, v32
	v_fmac_f32_e32 v9, v27, v33
	s_delay_alu instid0(VALU_DEP_1) | instskip(NEXT) | instid1(VALU_DEP_1)
	v_fmac_f32_e32 v9, v28, v34
	v_fmac_f32_e32 v9, v29, v35
	ds_load_b128 v[26:29], v13 offset:48
	s_wait_loadcnt_dscnt 0x3701
	v_fmac_f32_e32 v9, v22, v37
	s_wait_loadcnt 0x36
	s_delay_alu instid0(VALU_DEP_1) | instskip(SKIP_1) | instid1(VALU_DEP_1)
	v_fmac_f32_e32 v9, v23, v38
	s_wait_loadcnt 0x35
	v_fmac_f32_e32 v9, v24, v39
	s_wait_loadcnt 0x34
	s_delay_alu instid0(VALU_DEP_1) | instskip(SKIP_4) | instid1(VALU_DEP_1)
	v_fmac_f32_e32 v9, v25, v40
	ds_load_b128 v[22:25], v13 offset:64
	s_wait_loadcnt_dscnt 0x3301
	v_fmac_f32_e32 v9, v26, v41
	s_wait_loadcnt 0x32
	v_fmac_f32_e32 v9, v27, v42
	s_wait_loadcnt 0x31
	s_delay_alu instid0(VALU_DEP_1) | instskip(SKIP_1) | instid1(VALU_DEP_1)
	v_fmac_f32_e32 v9, v28, v43
	s_wait_loadcnt 0x30
	v_fmac_f32_e32 v9, v29, v44
	ds_load_b128 v[26:29], v13 offset:80
	s_wait_loadcnt_dscnt 0x2f01
	v_fmac_f32_e32 v9, v22, v45
	s_wait_loadcnt 0x2e
	s_delay_alu instid0(VALU_DEP_1) | instskip(SKIP_1) | instid1(VALU_DEP_1)
	v_fmac_f32_e32 v9, v23, v46
	s_wait_loadcnt 0x2d
	v_fmac_f32_e32 v9, v24, v47
	s_wait_loadcnt 0x2c
	s_delay_alu instid0(VALU_DEP_1) | instskip(SKIP_4) | instid1(VALU_DEP_1)
	v_fmac_f32_e32 v9, v25, v48
	ds_load_b128 v[22:25], v13 offset:96
	s_wait_loadcnt_dscnt 0x2b01
	v_fmac_f32_e32 v9, v26, v49
	s_wait_loadcnt 0x2a
	v_fmac_f32_e32 v9, v27, v50
	s_wait_loadcnt 0x29
	s_delay_alu instid0(VALU_DEP_1) | instskip(SKIP_1) | instid1(VALU_DEP_1)
	v_fmac_f32_e32 v9, v28, v51
	s_wait_loadcnt 0x28
	;; [unrolled: 21-line block ×6, first 2 shown]
	v_fmac_f32_e32 v9, v85, v29
	ds_load_b128 v[26:29], v13 offset:240
	s_wait_loadcnt_dscnt 0x701
	v_fmac_f32_e32 v9, v86, v22
	s_wait_loadcnt 0x6
	s_delay_alu instid0(VALU_DEP_1) | instskip(SKIP_1) | instid1(VALU_DEP_1)
	v_fmac_f32_e32 v9, v87, v23
	s_wait_loadcnt 0x5
	v_fmac_f32_e32 v9, v88, v24
	s_wait_loadcnt 0x4
	s_delay_alu instid0(VALU_DEP_1) | instskip(SKIP_1) | instid1(VALU_DEP_1)
	v_fmac_f32_e32 v9, v89, v25
	s_wait_loadcnt_dscnt 0x300
	v_fmac_f32_e32 v9, v90, v26
	s_wait_loadcnt 0x2
	s_delay_alu instid0(VALU_DEP_1) | instskip(SKIP_1) | instid1(VALU_DEP_1)
	v_fmac_f32_e32 v9, v91, v27
	s_wait_loadcnt 0x1
	v_fmac_f32_e32 v9, v92, v28
	s_wait_loadcnt 0x0
	s_delay_alu instid0(VALU_DEP_1) | instskip(SKIP_3) | instid1(VALU_DEP_1)
	v_fmac_f32_e32 v9, v8, v29
	ds_bpermute_b32 v8, v21, v9
	v_cndmask_b32_e64 v21, v11, v19, s4
	s_wait_dscnt 0x0
	v_dual_add_f32 v8, v9, v8 :: v_dual_lshlrev_b32 v21, 2, v21
	ds_bpermute_b32 v9, v21, v8
	s_and_saveexec_b32 s38, s3
	s_cbranch_execz .LBB8_11
; %bb.19:                               ;   in Loop: Header=BB8_13 Depth=1
	s_wait_dscnt 0x0
	v_dual_add_f32 v8, v8, v9 :: v_dual_add_nc_u32 v21, v15, v2
	s_delay_alu instid0(VALU_DEP_1) | instskip(NEXT) | instid1(VALU_DEP_1)
	v_cvt_f32_i32_e32 v21, v21
	v_mul_f32_e32 v21, s36, v21
	s_delay_alu instid0(VALU_DEP_1) | instskip(NEXT) | instid1(VALU_DEP_1)
	v_dual_cndmask_b32 v9, 0, v21, vcc_lo :: v_dual_max_num_f32 v21, v14, v14
	v_dual_fmac_f32 v9, s23, v8 :: v_dual_add_nc_u32 v8, v12, v2
	s_delay_alu instid0(VALU_DEP_1) | instskip(NEXT) | instid1(VALU_DEP_2)
	v_max_num_f32_e32 v21, v21, v9
	v_cmp_gt_i32_e64 s4, s33, v8
	s_delay_alu instid0(VALU_DEP_1) | instskip(NEXT) | instid1(VALU_DEP_3)
	v_cndmask_b32_e64 v8, 0, v9, s4
	v_cndmask_b32_e64 v14, v14, v21, s4
	ds_store_b32 v16, v8
	s_branch .LBB8_11
.LBB8_20:
	s_or_b32 exec_lo, exec_lo, s37
.LBB8_21:
	s_delay_alu instid0(SALU_CYCLE_1)
	s_or_b32 exec_lo, exec_lo, s11
	v_dual_max_num_f32 v5, v14, v14 :: v_dual_bitop2_b32 v2, 16, v11 bitop3:0x14
	s_clause 0x1
	s_load_b64 s[4:5], s[0:1], 0x0
	s_load_b64 s[22:23], s[0:1], 0x18
	v_and_b32_e32 v92, 31, v0
	v_xor_b32_e32 v4, 8, v11
	v_cmp_gt_i32_e32 vcc_lo, 32, v2
	v_cndmask_b32_e32 v2, v11, v2, vcc_lo
	s_delay_alu instid0(VALU_DEP_3) | instskip(NEXT) | instid1(VALU_DEP_2)
	v_cmp_gt_i32_e32 vcc_lo, 32, v4
	v_dual_lshlrev_b32 v2, 2, v2 :: v_dual_cndmask_b32 v4, v11, v4, vcc_lo
	ds_bpermute_b32 v3, v2, v14
	s_wait_dscnt 0x0
	v_dual_max_num_f32 v6, v3, v3 :: v_dual_lshlrev_b32 v3, 2, v4
	s_delay_alu instid0(VALU_DEP_1) | instskip(SKIP_4) | instid1(VALU_DEP_1)
	v_dual_max_num_f32 v4, v5, v6 :: v_dual_bitop2_b32 v6, 4, v11 bitop3:0x14
	ds_bpermute_b32 v5, v3, v4
	v_cmp_gt_i32_e32 vcc_lo, 32, v6
	v_cndmask_b32_e32 v6, v11, v6, vcc_lo
	s_wait_dscnt 0x0
	v_dual_max_num_f32 v5, v5, v5 :: v_dual_lshlrev_b32 v6, 2, v6
	s_delay_alu instid0(VALU_DEP_1)
	v_max_num_f32_e32 v5, v4, v5
	v_lshlrev_b32_e32 v4, 2, v1
	v_cmp_eq_u32_e32 vcc_lo, 0, v92
	ds_bpermute_b32 v7, v6, v5
	s_wait_xcnt 0x0
	s_and_saveexec_b32 s0, vcc_lo
	s_cbranch_execz .LBB8_23
; %bb.22:
	s_wait_dscnt 0x0
	v_dual_max_num_f32 v7, v7, v7 :: v_dual_max_num_f32 v5, v5, v5
	s_delay_alu instid0(VALU_DEP_1)
	v_max_num_f32_e32 v5, v5, v7
	ds_store_b32 v4, v5 offset:1024
.LBB8_23:
	s_or_b32 exec_lo, exec_lo, s0
	v_cmp_gt_u32_e64 s0, 4, v92
	v_dual_mov_b32 v8, 0xff7fffff :: v_dual_lshlrev_b32 v5, 2, v92
	s_wait_dscnt 0x0
	s_barrier_signal -1
	s_barrier_wait -1
	s_and_saveexec_b32 s1, s0
; %bb.24:
	ds_load_b32 v8, v5 offset:1024
; %bb.25:
	s_or_b32 exec_lo, exec_lo, s1
	v_xor_b32_e32 v7, 2, v11
	v_xor_b32_e32 v12, 1, v11
	s_delay_alu instid0(VALU_DEP_2) | instskip(NEXT) | instid1(VALU_DEP_1)
	v_cmp_gt_i32_e64 s1, 32, v7
	v_cndmask_b32_e64 v7, v11, v7, s1
	s_delay_alu instid0(VALU_DEP_3) | instskip(NEXT) | instid1(VALU_DEP_1)
	v_cmp_gt_i32_e64 s1, 32, v12
	v_dual_cndmask_b32 v11, v11, v12, s1 :: v_dual_lshlrev_b32 v7, 2, v7
	s_lshl_b32 s1, s35, 3
	s_delay_alu instid0(SALU_CYCLE_1) | instskip(NEXT) | instid1(VALU_DEP_1)
	s_min_i32 s11, s1, s33
	v_lshlrev_b32_e32 v93, 2, v11
	s_wait_dscnt 0x0
	ds_bpermute_b32 v9, v7, v8
	v_max_num_f32_e32 v8, v8, v8
	v_cmp_gt_i32_e64 s1, s11, v0
	s_wait_dscnt 0x0
	v_max_num_f32_e32 v9, v9, v9
	s_delay_alu instid0(VALU_DEP_1) | instskip(SKIP_3) | instid1(VALU_DEP_1)
	v_max_num_f32_e32 v8, v8, v9
	ds_bpermute_b32 v9, v93, v8
	s_wait_dscnt 0x0
	v_max_num_f32_e32 v9, v9, v9
	v_dual_max_num_f32 v9, v8, v9 :: v_dual_mov_b32 v8, 0
	ds_bpermute_b32 v9, v8, v9
	s_and_saveexec_b32 s15, s1
	s_cbranch_execz .LBB8_29
; %bb.26:
	v_lshl_add_u32 v11, v0, 2, 0x420
	v_dual_mov_b32 v8, 0 :: v_dual_mov_b32 v12, v0
	s_mov_b32 s24, 0
.LBB8_27:                               ; =>This Inner Loop Header: Depth=1
	ds_load_b32 v13, v11
	v_add_nc_u32_e32 v12, 0x80, v12
	s_delay_alu instid0(VALU_DEP_1) | instskip(SKIP_3) | instid1(VALU_DEP_1)
	v_cmp_le_i32_e64 s3, s11, v12
	s_or_b32 s24, s3, s24
	s_wait_dscnt 0x0
	v_sub_f32_e32 v13, v13, v9
	v_mul_f32_e32 v13, 0x3fb8aa3b, v13
	s_delay_alu instid0(VALU_DEP_1)
	v_exp_f32_e32 v13, v13
	ds_store_b32 v11, v13
	v_nop
	v_dual_add_f32 v8, v8, v13 :: v_dual_add_nc_u32 v11, 0x200, v11
	s_and_not1_b32 exec_lo, exec_lo, s24
	s_cbranch_execnz .LBB8_27
; %bb.28:
	s_or_b32 exec_lo, exec_lo, s24
.LBB8_29:
	s_delay_alu instid0(SALU_CYCLE_1)
	s_or_b32 exec_lo, exec_lo, s15
	ds_bpermute_b32 v2, v2, v8
	s_wait_dscnt 0x0
	v_add_f32_e32 v2, v8, v2
	ds_bpermute_b32 v3, v3, v2
	s_wait_dscnt 0x0
	v_add_f32_e32 v2, v2, v3
	;; [unrolled: 3-line block ×5, first 2 shown]
	s_and_saveexec_b32 s3, vcc_lo
; %bb.30:
	ds_store_b32 v4, v2 offset:1040
; %bb.31:
	s_or_b32 exec_lo, exec_lo, s3
	s_wait_dscnt 0x0
	s_barrier_signal -1
	s_barrier_wait -1
	s_and_saveexec_b32 s3, s0
; %bb.32:
	ds_load_b32 v2, v5 offset:1040
; %bb.33:
	s_or_b32 exec_lo, exec_lo, s3
	s_wait_dscnt 0x0
	ds_bpermute_b32 v3, v7, v2
	s_wait_dscnt 0x0
	v_dual_mov_b32 v73, 0 :: v_dual_add_f32 v2, v2, v3
	ds_bpermute_b32 v3, v93, v2
	s_wait_dscnt 0x0
	v_add_f32_e32 v2, v2, v3
	ds_bpermute_b32 v2, v73, v2
	s_and_saveexec_b32 s0, s1
	s_cbranch_execz .LBB8_46
; %bb.34:
	s_wait_dscnt 0x0
	v_add_f32_e32 v2, 0x358637bd, v2
	s_mov_b32 s3, -1
	s_mov_b32 s1, exec_lo
	s_delay_alu instid0(VALU_DEP_1) | instskip(NEXT) | instid1(VALU_DEP_1)
	v_div_scale_f32 v3, null, v2, v2, 1.0
	v_rcp_f32_e32 v5, v3
	v_nop
	s_delay_alu instid0(TRANS32_DEP_1) | instskip(NEXT) | instid1(VALU_DEP_1)
	v_fma_f32 v4, -v3, v5, 1.0
	v_fmac_f32_e32 v5, v4, v5
	v_div_scale_f32 v6, vcc_lo, 1.0, v2, 1.0
	s_delay_alu instid0(VALU_DEP_1) | instskip(NEXT) | instid1(VALU_DEP_1)
	v_mul_f32_e32 v7, v6, v5
	v_fma_f32 v4, -v3, v7, v6
	s_delay_alu instid0(VALU_DEP_1) | instskip(SKIP_1) | instid1(VALU_DEP_2)
	v_fmac_f32_e32 v7, v4, v5
	v_xad_u32 v4, v0, -1, s11
	v_fma_f32 v3, -v3, v7, v6
	s_delay_alu instid0(VALU_DEP_1) | instskip(NEXT) | instid1(VALU_DEP_1)
	v_div_fmas_f32 v3, v3, v5, v7
	v_div_fixup_f32 v2, v3, v2, 1.0
	v_mov_b32_e32 v3, v0
	v_cmpx_lt_u32_e32 0x7f, v4
	s_cbranch_execz .LBB8_43
; %bb.35:
	s_delay_alu instid0(VALU_DEP_3) | instskip(NEXT) | instid1(VALU_DEP_1)
	v_dual_mov_b32 v3, v2 :: v_dual_lshrrev_b32 v4, 7, v4
	v_dual_mov_b32 v8, 0 :: v_dual_add_nc_u32 v5, -1, v4
	s_delay_alu instid0(VALU_DEP_1) | instskip(SKIP_1) | instid1(VALU_DEP_2)
	v_lshrrev_b32_e32 v6, 1, v5
	v_cmp_lt_u32_e32 vcc_lo, 13, v5
	v_add_nc_u32_e32 v5, 1, v6
	s_and_saveexec_b32 s3, vcc_lo
	s_cbranch_execz .LBB8_39
; %bb.36:
	s_delay_alu instid0(VALU_DEP_1)
	v_and_b32_e32 v6, -8, v5
	v_lshl_add_u32 v7, v0, 2, 0x420
	s_mov_b32 s15, 0
	s_mov_b32 s24, 0
.LBB8_37:                               ; =>This Inner Loop Header: Depth=1
	ds_load_2addr_stride64_b32 v[8:9], v7 offset1:2
	ds_load_2addr_stride64_b32 v[12:13], v7 offset0:4 offset1:6
	ds_load_2addr_stride64_b32 v[14:15], v7 offset0:8 offset1:10
	;; [unrolled: 1-line block ×7, first 2 shown]
	s_add_co_i32 s24, s24, 16
	v_add_nc_u32_e32 v6, -8, v6
	s_wait_dscnt 0x7
	v_pk_mul_f32 v[8:9], v[2:3], v[8:9]
	s_wait_dscnt 0x6
	v_pk_mul_f32 v[12:13], v[2:3], v[12:13]
	;; [unrolled: 2-line block ×8, first 2 shown]
	ds_store_2addr_stride64_b32 v7, v8, v9 offset1:2
	ds_store_2addr_stride64_b32 v7, v12, v13 offset0:4 offset1:6
	ds_store_2addr_stride64_b32 v7, v14, v15 offset0:8 offset1:10
	;; [unrolled: 1-line block ×7, first 2 shown]
	v_mov_b32_e32 v8, s24
	v_cmp_eq_u32_e32 vcc_lo, 0, v6
	v_add_nc_u32_e32 v7, 0x2000, v7
	s_or_b32 s15, vcc_lo, s15
	s_delay_alu instid0(SALU_CYCLE_1)
	s_and_not1_b32 exec_lo, exec_lo, s15
	s_cbranch_execnz .LBB8_37
; %bb.38:
	s_or_b32 exec_lo, exec_lo, s15
.LBB8_39:
	s_delay_alu instid0(SALU_CYCLE_1) | instskip(NEXT) | instid1(VALU_DEP_1)
	s_or_b32 exec_lo, exec_lo, s3
	v_and_b32_e32 v5, 7, v5
	s_mov_b32 s15, 0
	s_mov_b32 s3, exec_lo
	s_delay_alu instid0(VALU_DEP_1)
	v_cmpx_ne_u32_e32 0, v5
	s_cbranch_execz .LBB8_42
; %bb.40:
	v_lshlrev_b32_e32 v6, 9, v8
	v_lshlrev_b32_e32 v7, 2, v0
	s_delay_alu instid0(VALU_DEP_1)
	v_add3_u32 v6, v6, v7, 0x420
.LBB8_41:                               ; =>This Inner Loop Header: Depth=1
	ds_load_2addr_stride64_b32 v[8:9], v6 offset1:2
	v_add_nc_u32_e32 v5, -1, v5
	s_delay_alu instid0(VALU_DEP_1)
	v_cmp_eq_u32_e32 vcc_lo, 0, v5
	s_or_b32 s15, vcc_lo, s15
	s_wait_dscnt 0x0
	v_pk_mul_f32 v[8:9], v[2:3], v[8:9]
	ds_store_2addr_stride64_b32 v6, v8, v9 offset1:2
	v_add_nc_u32_e32 v6, 0x400, v6
	s_and_not1_b32 exec_lo, exec_lo, s15
	s_cbranch_execnz .LBB8_41
.LBB8_42:
	s_or_b32 exec_lo, exec_lo, s3
	v_add_nc_u32_e32 v3, 1, v4
	s_delay_alu instid0(VALU_DEP_1) | instskip(NEXT) | instid1(VALU_DEP_1)
	v_and_b32_e32 v4, 0x3fffffe, v3
	v_cmp_ne_u32_e32 vcc_lo, v3, v4
	v_lshl_add_u32 v3, v4, 7, v0
	s_or_not1_b32 s3, vcc_lo, exec_lo
.LBB8_43:
	s_or_b32 exec_lo, exec_lo, s1
	s_delay_alu instid0(SALU_CYCLE_1)
	s_and_b32 exec_lo, exec_lo, s3
	s_cbranch_execz .LBB8_46
; %bb.44:
	v_lshl_add_u32 v4, v3, 2, 0x420
	s_mov_b32 s1, 0
.LBB8_45:                               ; =>This Inner Loop Header: Depth=1
	ds_load_b32 v5, v4
	v_add_nc_u32_e32 v3, 0x80, v3
	s_delay_alu instid0(VALU_DEP_1)
	v_cmp_le_i32_e32 vcc_lo, s11, v3
	s_or_b32 s1, vcc_lo, s1
	s_wait_dscnt 0x0
	v_mul_f32_e32 v5, v2, v5
	ds_store_b32 v4, v5
	v_add_nc_u32_e32 v4, 0x200, v4
	s_and_not1_b32 exec_lo, exec_lo, s1
	s_cbranch_execnz .LBB8_45
.LBB8_46:
	s_or_b32 exec_lo, exec_lo, s0
	v_dual_mov_b32 v72, 0 :: v_dual_bitop2_b32 v94, 1, v0 bitop3:0x40
	v_dual_mov_b32 v75, 0 :: v_dual_mov_b32 v74, 0
	v_dual_mov_b32 v77, 0 :: v_dual_mov_b32 v76, 0
	;; [unrolled: 1-line block ×7, first 2 shown]
	s_wait_dscnt 0x0
	s_barrier_signal -1
	s_barrier_wait -1
	s_and_saveexec_b32 s24, s2
	s_cbranch_execz .LBB8_84
; %bb.47:
	s_abs_i32 s25, s10
	v_dual_lshlrev_b32 v4, 2, v0 :: v_dual_lshlrev_b32 v3, 4, v0
	s_cvt_f32_u32 s0, s25
	v_dual_mov_b32 v71, 0 :: v_dual_lshlrev_b32 v5, 4, v94
	s_ashr_i32 s15, s14, 31
	s_delay_alu instid0(SALU_CYCLE_1)
	v_rcp_iflag_f32_e32 v2, s0
	s_lshl_b64 s[0:1], s[14:15], 2
	s_sub_co_i32 s3, 0, s25
	s_wait_kmcnt 0x0
	s_add_nc_u64 s[0:1], s[22:23], s[0:1]
	v_dual_mov_b32 v86, v71 :: v_dual_mov_b32 v87, v71
	v_and_b32_e32 v95, 4, v4
	v_readfirstlane_b32 s2, v2
	v_and_b32_e32 v2, 0x1f0, v3
	v_mov_b32_e32 v3, v71
	v_lshl_or_b32 v4, v1, 5, v5
	v_mov_b32_e32 v97, v1
	s_mul_f32 s2, s2, 0x4f7ffffe
	v_dual_mov_b32 v84, v71 :: v_dual_mov_b32 v85, v71
	v_add_nc_u64_e32 v[88:89], s[0:1], v[2:3]
	v_and_b32_e32 v2, 0x7c, v10
	s_lshl_b64 s[0:1], s[18:19], 2
	s_cvt_u32_f32 s2, s2
	s_add_nc_u64 s[0:1], s[20:21], s[0:1]
	v_add_nc_u32_e32 v96, 0x420, v4
	v_add_nc_u64_e32 v[90:91], s[0:1], v[2:3]
	s_mul_i32 s3, s3, s2
	v_dual_mov_b32 v82, v71 :: v_dual_mov_b32 v83, v71
	v_dual_mov_b32 v80, v71 :: v_dual_mov_b32 v81, v71
	v_dual_mov_b32 v78, v71 :: v_dual_mov_b32 v79, v71
	v_dual_mov_b32 v76, v71 :: v_dual_mov_b32 v77, v71
	v_dual_mov_b32 v74, v71 :: v_dual_mov_b32 v75, v71
	v_dual_mov_b32 v72, v71 :: v_dual_mov_b32 v73, v71
	s_mov_b32 s11, 0
	s_mul_hi_u32 s3, s2, s3
	s_sub_co_i32 s26, s8, s9
	s_ashr_i32 s9, s13, 31
	s_mov_b32 s8, s13
	s_add_co_i32 s13, s35, -1
	s_mov_b32 s14, s33
	s_add_co_i32 s10, s2, s3
	s_mov_b32 s15, s11
	s_branch .LBB8_50
.LBB8_48:                               ;   in Loop: Header=BB8_50 Depth=1
	s_or_b32 exec_lo, exec_lo, s0
	s_wait_loadcnt_dscnt 0x200
	v_mul_f32_e32 v62, v6, v62
	s_wait_loadcnt 0x1
	v_mul_f32_e32 v66, v6, v66
	v_mul_f32_e32 v50, v6, v50
	;; [unrolled: 1-line block ×3, first 2 shown]
	v_dual_mul_f32 v38, v6, v38 :: v_dual_fmac_f32 v62, v7, v63
	s_delay_alu instid0(VALU_DEP_4) | instskip(NEXT) | instid1(VALU_DEP_4)
	v_dual_fmac_f32 v66, v7, v67 :: v_dual_mul_f32 v46, v6, v46
	v_fmac_f32_e32 v50, v7, v51
	s_delay_alu instid0(VALU_DEP_4) | instskip(NEXT) | instid1(VALU_DEP_3)
	v_dual_fmac_f32 v54, v7, v55 :: v_dual_mul_f32 v26, v6, v26
	v_dual_fmac_f32 v66, v8, v68 :: v_dual_mul_f32 v42, v6, v42
	s_delay_alu instid0(VALU_DEP_4) | instskip(NEXT) | instid1(VALU_DEP_4)
	v_fmac_f32_e32 v46, v7, v47
	v_fmac_f32_e32 v50, v8, v52
	s_delay_alu instid0(VALU_DEP_4) | instskip(SKIP_1) | instid1(VALU_DEP_3)
	v_dual_fmac_f32 v54, v8, v56 :: v_dual_mul_f32 v30, v6, v30
	v_mul_f32_e32 v22, v6, v22
	v_dual_mul_f32 v14, v6, v14 :: v_dual_fmac_f32 v50, v9, v53
	v_fmac_f32_e32 v46, v8, v48
	s_delay_alu instid0(VALU_DEP_4) | instskip(NEXT) | instid1(VALU_DEP_4)
	v_fmac_f32_e32 v54, v9, v57
	v_fmac_f32_e32 v22, v7, v23
	v_dual_fmac_f32 v30, v7, v31 :: v_dual_mul_f32 v23, v6, v18
	v_add_f32_e32 v77, v77, v50
	v_fmac_f32_e32 v46, v9, v49
	v_fmac_f32_e32 v66, v9, v69
	s_delay_alu instid0(VALU_DEP_4) | instskip(SKIP_4) | instid1(VALU_DEP_3)
	v_fmac_f32_e32 v30, v8, v32
	v_dual_fmac_f32 v62, v8, v64 :: v_dual_add_f32 v74, v74, v54
	v_fmac_f32_e32 v22, v8, v24
	v_dual_add_f32 v76, v76, v46 :: v_dual_fmac_f32 v42, v7, v43
	v_add_f32_e32 v72, v72, v66
	v_dual_mul_f32 v34, v6, v34 :: v_dual_fmac_f32 v22, v9, v25
	v_fmac_f32_e32 v26, v7, v27
	s_delay_alu instid0(VALU_DEP_4)
	v_dual_fmac_f32 v42, v8, v44 :: v_dual_fmac_f32 v23, v7, v19
	s_wait_loadcnt 0x0
	v_pk_mul_f32 v[18:19], v[6:7], v[58:59]
	v_add_f32_e32 v82, v82, v22
	v_dual_mul_f32 v22, v6, v2 :: v_dual_fmac_f32 v26, v8, v28
	v_dual_mul_f32 v10, v6, v10 :: v_dual_fmac_f32 v23, v8, v20
	v_fmac_f32_e32 v14, v7, v15
	s_delay_alu instid0(VALU_DEP_3) | instskip(SKIP_4) | instid1(VALU_DEP_3)
	v_fmac_f32_e32 v22, v7, v3
	v_pk_mul_f32 v[2:3], v[8:9], v[60:61]
	v_fmac_f32_e32 v30, v9, v33
	v_dual_fmac_f32 v34, v7, v35 :: v_dual_fmac_f32 v23, v9, v21
	v_dual_fmac_f32 v14, v8, v16 :: v_dual_add_f32 v6, v19, v18
	v_add_f32_e32 v80, v80, v30
	s_delay_alu instid0(VALU_DEP_3) | instskip(NEXT) | instid1(VALU_DEP_3)
	v_dual_fmac_f32 v34, v8, v36 :: v_dual_add_f32 v85, v85, v23
	v_fmac_f32_e32 v14, v9, v17
	s_delay_alu instid0(VALU_DEP_4) | instskip(NEXT) | instid1(VALU_DEP_3)
	v_dual_fmac_f32 v26, v9, v29 :: v_dual_add_f32 v2, v2, v6
	v_fmac_f32_e32 v34, v9, v37
	s_delay_alu instid0(VALU_DEP_3) | instskip(NEXT) | instid1(VALU_DEP_3)
	v_dual_fmac_f32 v38, v7, v39 :: v_dual_add_f32 v84, v84, v14
	v_add_f32_e32 v83, v83, v26
	s_delay_alu instid0(VALU_DEP_4) | instskip(NEXT) | instid1(VALU_DEP_3)
	v_add_f32_e32 v2, v3, v2
	v_dual_add_f32 v81, v81, v34 :: v_dual_fmac_f32 v38, v8, v40
	s_delay_alu instid0(VALU_DEP_2) | instskip(NEXT) | instid1(VALU_DEP_2)
	v_dual_add_f32 v73, v73, v2 :: v_dual_fmac_f32 v22, v8, v4
	v_fmac_f32_e32 v38, v9, v41
	v_fmac_f32_e32 v42, v9, v45
	s_delay_alu instid0(VALU_DEP_3) | instskip(NEXT) | instid1(VALU_DEP_3)
	v_fmac_f32_e32 v22, v9, v5
	v_dual_fmac_f32 v10, v7, v11 :: v_dual_add_f32 v78, v78, v38
	s_delay_alu instid0(VALU_DEP_3) | instskip(NEXT) | instid1(VALU_DEP_2)
	v_dual_fmac_f32 v62, v9, v65 :: v_dual_add_f32 v79, v79, v42
	v_dual_add_f32 v86, v86, v22 :: v_dual_fmac_f32 v10, v8, v12
	s_delay_alu instid0(VALU_DEP_1) | instskip(NEXT) | instid1(VALU_DEP_1)
	v_dual_add_f32 v75, v75, v62 :: v_dual_fmac_f32 v10, v9, v13
	v_add_f32_e32 v87, v87, v10
.LBB8_49:                               ;   in Loop: Header=BB8_50 Depth=1
	s_or_b32 exec_lo, exec_lo, s18
	v_dual_add_nc_u32 v97, 4, v97 :: v_dual_add_nc_u32 v70, 32, v70
	v_add_nc_u64_e32 v[90:91], 16, v[90:91]
	v_add_nc_u32_e32 v96, 0x80, v96
	s_delay_alu instid0(VALU_DEP_3) | instskip(SKIP_1) | instid1(SALU_CYCLE_1)
	v_cmp_le_i32_e32 vcc_lo, s35, v97
	s_or_b32 s15, vcc_lo, s15
	s_and_not1_b32 exec_lo, exec_lo, s15
	s_cbranch_execz .LBB8_83
.LBB8_50:                               ; =>This Inner Loop Header: Depth=1
	v_mul_u64_e32 v[2:3], s[16:17], v[70:71]
	s_delay_alu instid0(VALU_DEP_1) | instskip(NEXT) | instid1(VALU_DEP_1)
	v_mul_lo_u32 v2, v3, s7
	v_dual_add_nc_u32 v4, 1, v3 :: v_dual_sub_nc_u32 v2, v70, v2
	s_delay_alu instid0(VALU_DEP_1) | instskip(SKIP_1) | instid1(VALU_DEP_2)
	v_subrev_nc_u32_e32 v5, s7, v2
	v_cmp_le_u32_e32 vcc_lo, s7, v2
	v_dual_cndmask_b32 v3, v3, v4 :: v_dual_cndmask_b32 v2, v2, v5
	s_delay_alu instid0(VALU_DEP_1) | instskip(NEXT) | instid1(VALU_DEP_2)
	v_add_nc_u32_e32 v4, 1, v3
	v_cmp_le_u32_e32 vcc_lo, s7, v2
	s_delay_alu instid0(VALU_DEP_2) | instskip(NEXT) | instid1(VALU_DEP_1)
	v_cndmask_b32_e32 v2, v3, v4, vcc_lo
	v_dual_mov_b32 v3, v71 :: v_dual_bitop2_b32 v2, s34, v2 bitop3:0x14
	s_delay_alu instid0(VALU_DEP_1) | instskip(NEXT) | instid1(VALU_DEP_1)
	v_subrev_nc_u32_e32 v6, s34, v2
	v_add_nc_u32_e32 v7, s12, v6
	v_cmp_lt_i32_e64 s0, s26, v6
	s_delay_alu instid0(VALU_DEP_2) | instskip(NEXT) | instid1(VALU_DEP_1)
	v_sub_nc_u32_e32 v2, 0, v7
	v_max_i32_e32 v2, v7, v2
	s_delay_alu instid0(VALU_DEP_1) | instskip(SKIP_1) | instid1(VALU_DEP_2)
	v_mul_u64_e32 v[4:5], s[10:11], v[2:3]
	v_ashrrev_i32_e32 v4, 31, v7
	v_mul_lo_u32 v3, v5, s25
	s_delay_alu instid0(VALU_DEP_1) | instskip(NEXT) | instid1(VALU_DEP_1)
	v_sub_nc_u32_e32 v2, v2, v3
	v_subrev_nc_u32_e32 v3, s25, v2
	v_cmp_le_u32_e32 vcc_lo, s25, v2
	s_delay_alu instid0(VALU_DEP_2) | instskip(NEXT) | instid1(VALU_DEP_1)
	v_cndmask_b32_e32 v2, v2, v3, vcc_lo
	v_subrev_nc_u32_e32 v3, s25, v2
	v_cmp_le_u32_e32 vcc_lo, s25, v2
	s_delay_alu instid0(VALU_DEP_2) | instskip(NEXT) | instid1(VALU_DEP_1)
	v_cndmask_b32_e32 v2, v2, v3, vcc_lo
	v_xor_b32_e32 v2, v2, v4
	s_delay_alu instid0(VALU_DEP_1) | instskip(NEXT) | instid1(VALU_DEP_1)
	v_sub_nc_u32_e32 v2, v2, v4
	v_cmp_eq_u32_e32 vcc_lo, 0, v2
	s_or_b32 s0, vcc_lo, s0
	s_delay_alu instid0(SALU_CYCLE_1)
	s_and_saveexec_b32 s18, s0
	s_cbranch_execz .LBB8_49
; %bb.51:                               ;   in Loop: Header=BB8_50 Depth=1
	global_load_b32 v2, v[90:91], off
	ds_load_b128 v[6:9], v96
	v_add_nc_u32_e32 v98, v95, v70
	v_cmp_eq_u32_e32 vcc_lo, s13, v97
	s_delay_alu instid0(VALU_DEP_2) | instskip(SKIP_3) | instid1(VALU_DEP_1)
	v_dual_add_nc_u32 v101, 1, v98 :: v_dual_bitop2_b32 v100, 3, v98 bitop3:0x54
	v_or_b32_e32 v99, 2, v98
	s_wait_loadcnt 0x0
	v_ashrrev_i32_e32 v3, 31, v2
	v_mul_u64_e32 v[2:3], s[8:9], v[2:3]
	s_delay_alu instid0(VALU_DEP_1)
	v_lshl_add_u64 v[58:59], v[2:3], 2, v[88:89]
	global_load_b128 v[2:5], v[58:59], off
	s_wait_xcnt 0x0
	s_and_saveexec_b32 s1, vcc_lo
	s_cbranch_execnz .LBB8_67
; %bb.52:                               ;   in Loop: Header=BB8_50 Depth=1
	s_or_b32 exec_lo, exec_lo, s1
	global_load_b128 v[10:13], v[58:59], off offset:512
	s_wait_xcnt 0x0
	s_and_saveexec_b32 s1, vcc_lo
	s_cbranch_execnz .LBB8_68
.LBB8_53:                               ;   in Loop: Header=BB8_50 Depth=1
	s_or_b32 exec_lo, exec_lo, s1
	global_load_b128 v[14:17], v[58:59], off offset:1024
	s_wait_xcnt 0x0
	s_and_saveexec_b32 s1, vcc_lo
	s_cbranch_execnz .LBB8_69
.LBB8_54:                               ;   in Loop: Header=BB8_50 Depth=1
	s_or_b32 exec_lo, exec_lo, s1
	global_load_b128 v[18:21], v[58:59], off offset:1536
	s_wait_xcnt 0x0
	s_and_saveexec_b32 s1, vcc_lo
	s_cbranch_execnz .LBB8_70
.LBB8_55:                               ;   in Loop: Header=BB8_50 Depth=1
	s_or_b32 exec_lo, exec_lo, s1
	global_load_b128 v[22:25], v[58:59], off offset:2048
	s_wait_xcnt 0x0
	s_and_saveexec_b32 s1, vcc_lo
	s_cbranch_execnz .LBB8_71
.LBB8_56:                               ;   in Loop: Header=BB8_50 Depth=1
	s_or_b32 exec_lo, exec_lo, s1
	global_load_b128 v[26:29], v[58:59], off offset:2560
	s_wait_xcnt 0x0
	s_and_saveexec_b32 s1, vcc_lo
	s_cbranch_execnz .LBB8_72
.LBB8_57:                               ;   in Loop: Header=BB8_50 Depth=1
	s_or_b32 exec_lo, exec_lo, s1
	global_load_b128 v[30:33], v[58:59], off offset:3072
	s_wait_xcnt 0x0
	s_and_saveexec_b32 s1, vcc_lo
	s_cbranch_execnz .LBB8_73
.LBB8_58:                               ;   in Loop: Header=BB8_50 Depth=1
	s_or_b32 exec_lo, exec_lo, s1
	global_load_b128 v[34:37], v[58:59], off offset:3584
	s_wait_xcnt 0x0
	s_and_saveexec_b32 s1, vcc_lo
	s_cbranch_execnz .LBB8_74
.LBB8_59:                               ;   in Loop: Header=BB8_50 Depth=1
	s_or_b32 exec_lo, exec_lo, s1
	global_load_b128 v[38:41], v[58:59], off offset:4096
	s_wait_xcnt 0x0
	s_and_saveexec_b32 s1, vcc_lo
	s_cbranch_execnz .LBB8_75
.LBB8_60:                               ;   in Loop: Header=BB8_50 Depth=1
	s_or_b32 exec_lo, exec_lo, s1
	global_load_b128 v[42:45], v[58:59], off offset:4608
	s_wait_xcnt 0x0
	s_and_saveexec_b32 s1, vcc_lo
	s_cbranch_execnz .LBB8_76
.LBB8_61:                               ;   in Loop: Header=BB8_50 Depth=1
	s_or_b32 exec_lo, exec_lo, s1
	global_load_b128 v[46:49], v[58:59], off offset:5120
	s_wait_xcnt 0x0
	s_and_saveexec_b32 s1, vcc_lo
	s_cbranch_execnz .LBB8_77
.LBB8_62:                               ;   in Loop: Header=BB8_50 Depth=1
	s_or_b32 exec_lo, exec_lo, s1
	global_load_b128 v[50:53], v[58:59], off offset:5632
	s_wait_xcnt 0x0
	s_and_saveexec_b32 s1, vcc_lo
	s_cbranch_execnz .LBB8_78
.LBB8_63:                               ;   in Loop: Header=BB8_50 Depth=1
	s_or_b32 exec_lo, exec_lo, s1
	global_load_b128 v[54:57], v[58:59], off offset:6144
	s_wait_xcnt 0x0
	s_and_saveexec_b32 s1, vcc_lo
	s_cbranch_execnz .LBB8_79
.LBB8_64:                               ;   in Loop: Header=BB8_50 Depth=1
	s_or_b32 exec_lo, exec_lo, s1
	global_load_b128 v[62:65], v[58:59], off offset:6656
	s_wait_xcnt 0x0
	s_and_saveexec_b32 s1, vcc_lo
	s_cbranch_execnz .LBB8_80
.LBB8_65:                               ;   in Loop: Header=BB8_50 Depth=1
	s_or_b32 exec_lo, exec_lo, s1
	global_load_b128 v[66:69], v[58:59], off offset:7168
	s_wait_xcnt 0x0
	s_and_saveexec_b32 s19, vcc_lo
	s_cbranch_execnz .LBB8_81
.LBB8_66:                               ;   in Loop: Header=BB8_50 Depth=1
	s_or_b32 exec_lo, exec_lo, s19
	global_load_b128 v[58:61], v[58:59], off offset:7680
	s_wait_xcnt 0x0
	s_and_saveexec_b32 s0, vcc_lo
	s_cbranch_execz .LBB8_48
	s_branch .LBB8_82
.LBB8_67:                               ;   in Loop: Header=BB8_50 Depth=1
	v_cmp_gt_i32_e64 s0, s14, v101
	s_wait_loadcnt 0x0
	s_delay_alu instid0(VALU_DEP_1) | instskip(SKIP_1) | instid1(VALU_DEP_1)
	v_cndmask_b32_e64 v3, 0, v3, s0
	v_cmp_gt_i32_e64 s0, s33, v98
	v_cndmask_b32_e64 v2, 0, v2, s0
	v_cmp_gt_i32_e64 s0, s14, v100
	s_delay_alu instid0(VALU_DEP_1) | instskip(SKIP_1) | instid1(VALU_DEP_1)
	v_cndmask_b32_e64 v5, 0, v5, s0
	v_cmp_gt_i32_e64 s0, s33, v99
	v_cndmask_b32_e64 v4, 0, v4, s0
	s_or_b32 exec_lo, exec_lo, s1
	global_load_b128 v[10:13], v[58:59], off offset:512
	s_wait_xcnt 0x0
	s_and_saveexec_b32 s1, vcc_lo
	s_cbranch_execz .LBB8_53
.LBB8_68:                               ;   in Loop: Header=BB8_50 Depth=1
	v_cmp_gt_i32_e64 s0, s14, v101
	s_wait_loadcnt 0x0
	s_delay_alu instid0(VALU_DEP_1) | instskip(SKIP_1) | instid1(VALU_DEP_1)
	v_cndmask_b32_e64 v11, 0, v11, s0
	v_cmp_gt_i32_e64 s0, s33, v98
	v_cndmask_b32_e64 v10, 0, v10, s0
	v_cmp_gt_i32_e64 s0, s14, v100
	s_delay_alu instid0(VALU_DEP_1) | instskip(SKIP_1) | instid1(VALU_DEP_1)
	v_cndmask_b32_e64 v13, 0, v13, s0
	v_cmp_gt_i32_e64 s0, s33, v99
	v_cndmask_b32_e64 v12, 0, v12, s0
	s_or_b32 exec_lo, exec_lo, s1
	global_load_b128 v[14:17], v[58:59], off offset:1024
	s_wait_xcnt 0x0
	s_and_saveexec_b32 s1, vcc_lo
	s_cbranch_execz .LBB8_54
.LBB8_69:                               ;   in Loop: Header=BB8_50 Depth=1
	v_cmp_gt_i32_e64 s0, s14, v101
	s_wait_loadcnt 0x0
	s_delay_alu instid0(VALU_DEP_1) | instskip(SKIP_1) | instid1(VALU_DEP_1)
	v_cndmask_b32_e64 v15, 0, v15, s0
	v_cmp_gt_i32_e64 s0, s33, v98
	v_cndmask_b32_e64 v14, 0, v14, s0
	v_cmp_gt_i32_e64 s0, s14, v100
	s_delay_alu instid0(VALU_DEP_1) | instskip(SKIP_1) | instid1(VALU_DEP_1)
	v_cndmask_b32_e64 v17, 0, v17, s0
	v_cmp_gt_i32_e64 s0, s33, v99
	v_cndmask_b32_e64 v16, 0, v16, s0
	s_or_b32 exec_lo, exec_lo, s1
	global_load_b128 v[18:21], v[58:59], off offset:1536
	s_wait_xcnt 0x0
	s_and_saveexec_b32 s1, vcc_lo
	s_cbranch_execz .LBB8_55
.LBB8_70:                               ;   in Loop: Header=BB8_50 Depth=1
	v_cmp_gt_i32_e64 s0, s14, v101
	s_wait_loadcnt 0x0
	s_delay_alu instid0(VALU_DEP_1) | instskip(SKIP_1) | instid1(VALU_DEP_1)
	v_cndmask_b32_e64 v19, 0, v19, s0
	v_cmp_gt_i32_e64 s0, s33, v98
	v_cndmask_b32_e64 v18, 0, v18, s0
	v_cmp_gt_i32_e64 s0, s14, v100
	s_delay_alu instid0(VALU_DEP_1) | instskip(SKIP_1) | instid1(VALU_DEP_1)
	v_cndmask_b32_e64 v21, 0, v21, s0
	v_cmp_gt_i32_e64 s0, s33, v99
	v_cndmask_b32_e64 v20, 0, v20, s0
	s_or_b32 exec_lo, exec_lo, s1
	global_load_b128 v[22:25], v[58:59], off offset:2048
	s_wait_xcnt 0x0
	s_and_saveexec_b32 s1, vcc_lo
	s_cbranch_execz .LBB8_56
.LBB8_71:                               ;   in Loop: Header=BB8_50 Depth=1
	v_cmp_gt_i32_e64 s0, s14, v101
	s_wait_loadcnt 0x0
	s_delay_alu instid0(VALU_DEP_1) | instskip(SKIP_1) | instid1(VALU_DEP_1)
	v_cndmask_b32_e64 v23, 0, v23, s0
	v_cmp_gt_i32_e64 s0, s33, v98
	v_cndmask_b32_e64 v22, 0, v22, s0
	v_cmp_gt_i32_e64 s0, s14, v100
	s_delay_alu instid0(VALU_DEP_1) | instskip(SKIP_1) | instid1(VALU_DEP_1)
	v_cndmask_b32_e64 v25, 0, v25, s0
	v_cmp_gt_i32_e64 s0, s33, v99
	v_cndmask_b32_e64 v24, 0, v24, s0
	s_or_b32 exec_lo, exec_lo, s1
	global_load_b128 v[26:29], v[58:59], off offset:2560
	s_wait_xcnt 0x0
	s_and_saveexec_b32 s1, vcc_lo
	s_cbranch_execz .LBB8_57
.LBB8_72:                               ;   in Loop: Header=BB8_50 Depth=1
	v_cmp_gt_i32_e64 s0, s14, v101
	s_wait_loadcnt 0x0
	s_delay_alu instid0(VALU_DEP_1) | instskip(SKIP_1) | instid1(VALU_DEP_1)
	v_cndmask_b32_e64 v27, 0, v27, s0
	v_cmp_gt_i32_e64 s0, s33, v98
	v_cndmask_b32_e64 v26, 0, v26, s0
	v_cmp_gt_i32_e64 s0, s14, v100
	s_delay_alu instid0(VALU_DEP_1) | instskip(SKIP_1) | instid1(VALU_DEP_1)
	v_cndmask_b32_e64 v29, 0, v29, s0
	v_cmp_gt_i32_e64 s0, s33, v99
	v_cndmask_b32_e64 v28, 0, v28, s0
	s_or_b32 exec_lo, exec_lo, s1
	global_load_b128 v[30:33], v[58:59], off offset:3072
	s_wait_xcnt 0x0
	s_and_saveexec_b32 s1, vcc_lo
	s_cbranch_execz .LBB8_58
.LBB8_73:                               ;   in Loop: Header=BB8_50 Depth=1
	v_cmp_gt_i32_e64 s0, s14, v101
	s_wait_loadcnt 0x0
	s_delay_alu instid0(VALU_DEP_1) | instskip(SKIP_1) | instid1(VALU_DEP_1)
	v_cndmask_b32_e64 v31, 0, v31, s0
	v_cmp_gt_i32_e64 s0, s33, v98
	v_cndmask_b32_e64 v30, 0, v30, s0
	v_cmp_gt_i32_e64 s0, s14, v100
	s_delay_alu instid0(VALU_DEP_1) | instskip(SKIP_1) | instid1(VALU_DEP_1)
	v_cndmask_b32_e64 v33, 0, v33, s0
	v_cmp_gt_i32_e64 s0, s33, v99
	v_cndmask_b32_e64 v32, 0, v32, s0
	s_or_b32 exec_lo, exec_lo, s1
	global_load_b128 v[34:37], v[58:59], off offset:3584
	s_wait_xcnt 0x0
	s_and_saveexec_b32 s1, vcc_lo
	s_cbranch_execz .LBB8_59
.LBB8_74:                               ;   in Loop: Header=BB8_50 Depth=1
	v_cmp_gt_i32_e64 s0, s14, v101
	s_wait_loadcnt 0x0
	s_delay_alu instid0(VALU_DEP_1) | instskip(SKIP_1) | instid1(VALU_DEP_1)
	v_cndmask_b32_e64 v35, 0, v35, s0
	v_cmp_gt_i32_e64 s0, s33, v98
	v_cndmask_b32_e64 v34, 0, v34, s0
	v_cmp_gt_i32_e64 s0, s14, v100
	s_delay_alu instid0(VALU_DEP_1) | instskip(SKIP_1) | instid1(VALU_DEP_1)
	v_cndmask_b32_e64 v37, 0, v37, s0
	v_cmp_gt_i32_e64 s0, s33, v99
	v_cndmask_b32_e64 v36, 0, v36, s0
	s_or_b32 exec_lo, exec_lo, s1
	global_load_b128 v[38:41], v[58:59], off offset:4096
	s_wait_xcnt 0x0
	s_and_saveexec_b32 s1, vcc_lo
	s_cbranch_execz .LBB8_60
.LBB8_75:                               ;   in Loop: Header=BB8_50 Depth=1
	v_cmp_gt_i32_e64 s0, s14, v101
	s_wait_loadcnt 0x0
	s_delay_alu instid0(VALU_DEP_1) | instskip(SKIP_1) | instid1(VALU_DEP_1)
	v_cndmask_b32_e64 v39, 0, v39, s0
	v_cmp_gt_i32_e64 s0, s33, v98
	v_cndmask_b32_e64 v38, 0, v38, s0
	v_cmp_gt_i32_e64 s0, s14, v100
	s_delay_alu instid0(VALU_DEP_1) | instskip(SKIP_1) | instid1(VALU_DEP_1)
	v_cndmask_b32_e64 v41, 0, v41, s0
	v_cmp_gt_i32_e64 s0, s33, v99
	v_cndmask_b32_e64 v40, 0, v40, s0
	s_or_b32 exec_lo, exec_lo, s1
	global_load_b128 v[42:45], v[58:59], off offset:4608
	s_wait_xcnt 0x0
	s_and_saveexec_b32 s1, vcc_lo
	s_cbranch_execz .LBB8_61
.LBB8_76:                               ;   in Loop: Header=BB8_50 Depth=1
	v_cmp_gt_i32_e64 s0, s14, v101
	s_wait_loadcnt 0x0
	s_delay_alu instid0(VALU_DEP_1) | instskip(SKIP_1) | instid1(VALU_DEP_1)
	v_cndmask_b32_e64 v43, 0, v43, s0
	v_cmp_gt_i32_e64 s0, s33, v98
	v_cndmask_b32_e64 v42, 0, v42, s0
	v_cmp_gt_i32_e64 s0, s14, v100
	s_delay_alu instid0(VALU_DEP_1) | instskip(SKIP_1) | instid1(VALU_DEP_1)
	v_cndmask_b32_e64 v45, 0, v45, s0
	v_cmp_gt_i32_e64 s0, s33, v99
	v_cndmask_b32_e64 v44, 0, v44, s0
	s_or_b32 exec_lo, exec_lo, s1
	global_load_b128 v[46:49], v[58:59], off offset:5120
	s_wait_xcnt 0x0
	s_and_saveexec_b32 s1, vcc_lo
	s_cbranch_execz .LBB8_62
.LBB8_77:                               ;   in Loop: Header=BB8_50 Depth=1
	v_cmp_gt_i32_e64 s0, s14, v101
	s_wait_loadcnt 0x0
	s_delay_alu instid0(VALU_DEP_1) | instskip(SKIP_1) | instid1(VALU_DEP_1)
	v_cndmask_b32_e64 v47, 0, v47, s0
	v_cmp_gt_i32_e64 s0, s33, v98
	v_cndmask_b32_e64 v46, 0, v46, s0
	v_cmp_gt_i32_e64 s0, s14, v100
	s_delay_alu instid0(VALU_DEP_1) | instskip(SKIP_1) | instid1(VALU_DEP_1)
	v_cndmask_b32_e64 v49, 0, v49, s0
	v_cmp_gt_i32_e64 s0, s33, v99
	v_cndmask_b32_e64 v48, 0, v48, s0
	s_or_b32 exec_lo, exec_lo, s1
	global_load_b128 v[50:53], v[58:59], off offset:5632
	s_wait_xcnt 0x0
	s_and_saveexec_b32 s1, vcc_lo
	s_cbranch_execz .LBB8_63
.LBB8_78:                               ;   in Loop: Header=BB8_50 Depth=1
	v_cmp_gt_i32_e64 s0, s14, v101
	s_wait_loadcnt 0x0
	s_delay_alu instid0(VALU_DEP_1) | instskip(SKIP_1) | instid1(VALU_DEP_1)
	v_cndmask_b32_e64 v51, 0, v51, s0
	v_cmp_gt_i32_e64 s0, s33, v98
	v_cndmask_b32_e64 v50, 0, v50, s0
	v_cmp_gt_i32_e64 s0, s14, v100
	s_delay_alu instid0(VALU_DEP_1) | instskip(SKIP_1) | instid1(VALU_DEP_1)
	v_cndmask_b32_e64 v53, 0, v53, s0
	v_cmp_gt_i32_e64 s0, s33, v99
	v_cndmask_b32_e64 v52, 0, v52, s0
	s_or_b32 exec_lo, exec_lo, s1
	global_load_b128 v[54:57], v[58:59], off offset:6144
	s_wait_xcnt 0x0
	s_and_saveexec_b32 s1, vcc_lo
	s_cbranch_execz .LBB8_64
.LBB8_79:                               ;   in Loop: Header=BB8_50 Depth=1
	v_cmp_gt_i32_e64 s0, s14, v101
	s_wait_loadcnt 0x0
	s_delay_alu instid0(VALU_DEP_1) | instskip(SKIP_1) | instid1(VALU_DEP_1)
	v_cndmask_b32_e64 v55, 0, v55, s0
	v_cmp_gt_i32_e64 s0, s33, v98
	v_cndmask_b32_e64 v54, 0, v54, s0
	v_cmp_gt_i32_e64 s0, s14, v100
	s_delay_alu instid0(VALU_DEP_1) | instskip(SKIP_1) | instid1(VALU_DEP_1)
	v_cndmask_b32_e64 v57, 0, v57, s0
	v_cmp_gt_i32_e64 s0, s33, v99
	v_cndmask_b32_e64 v56, 0, v56, s0
	s_or_b32 exec_lo, exec_lo, s1
	global_load_b128 v[62:65], v[58:59], off offset:6656
	s_wait_xcnt 0x0
	s_and_saveexec_b32 s1, vcc_lo
	s_cbranch_execz .LBB8_65
.LBB8_80:                               ;   in Loop: Header=BB8_50 Depth=1
	v_cmp_gt_i32_e64 s0, s14, v101
	s_wait_loadcnt 0x0
	s_delay_alu instid0(VALU_DEP_1) | instskip(SKIP_1) | instid1(VALU_DEP_1)
	v_cndmask_b32_e64 v63, 0, v63, s0
	v_cmp_gt_i32_e64 s0, s33, v98
	v_cndmask_b32_e64 v62, 0, v62, s0
	v_cmp_gt_i32_e64 s0, s14, v100
	s_delay_alu instid0(VALU_DEP_1) | instskip(SKIP_1) | instid1(VALU_DEP_1)
	v_cndmask_b32_e64 v65, 0, v65, s0
	v_cmp_gt_i32_e64 s0, s33, v99
	v_cndmask_b32_e64 v64, 0, v64, s0
	s_or_b32 exec_lo, exec_lo, s1
	global_load_b128 v[66:69], v[58:59], off offset:7168
	s_wait_xcnt 0x0
	s_and_saveexec_b32 s19, vcc_lo
	s_cbranch_execz .LBB8_66
.LBB8_81:                               ;   in Loop: Header=BB8_50 Depth=1
	v_cmp_gt_i32_e64 s0, s14, v101
	v_cmp_gt_i32_e64 s1, s33, v98
	;; [unrolled: 1-line block ×4, first 2 shown]
	s_wait_loadcnt 0x0
	s_delay_alu instid0(VALU_DEP_3) | instskip(NEXT) | instid1(VALU_DEP_2)
	v_dual_cndmask_b32 v67, 0, v67, s0 :: v_dual_cndmask_b32 v66, 0, v66, s1
	v_dual_cndmask_b32 v69, 0, v69, s2 :: v_dual_cndmask_b32 v68, 0, v68, s3
	s_or_b32 exec_lo, exec_lo, s19
	global_load_b128 v[58:61], v[58:59], off offset:7680
	s_wait_xcnt 0x0
	s_and_saveexec_b32 s0, vcc_lo
	s_cbranch_execz .LBB8_48
.LBB8_82:                               ;   in Loop: Header=BB8_50 Depth=1
	v_cmp_gt_i32_e32 vcc_lo, s14, v101
	s_wait_loadcnt 0x0
	v_cndmask_b32_e32 v59, 0, v59, vcc_lo
	v_cmp_gt_i32_e32 vcc_lo, s33, v98
	v_cndmask_b32_e32 v58, 0, v58, vcc_lo
	v_cmp_gt_i32_e32 vcc_lo, s14, v100
	;; [unrolled: 2-line block ×3, first 2 shown]
	v_cndmask_b32_e32 v60, 0, v60, vcc_lo
	s_branch .LBB8_48
.LBB8_83:
	s_or_b32 exec_lo, exec_lo, s15
.LBB8_84:
	s_delay_alu instid0(SALU_CYCLE_1)
	s_or_b32 exec_lo, exec_lo, s24
	ds_bpermute_b32 v2, v93, v86
	ds_bpermute_b32 v3, v93, v87
	;; [unrolled: 1-line block ×16, first 2 shown]
	v_and_b32_e32 v24, 0x3c1, v0
	s_mov_b32 s0, exec_lo
	s_wait_dscnt 0x0
	s_barrier_signal -1
	s_barrier_wait -1
	v_pk_add_f32 v[14:15], v[86:87], v[2:3]
	v_pk_add_f32 v[12:13], v[84:85], v[4:5]
	;; [unrolled: 1-line block ×5, first 2 shown]
	v_lshrrev_b32_e32 v19, 1, v92
	v_pk_add_f32 v[4:5], v[76:77], v[20:21]
	v_pk_add_f32 v[2:3], v[74:75], v[22:23]
	v_cmpx_ne_u32_e32 64, v24
	s_xor_b32 s0, exec_lo, s0
	s_delay_alu instid0(SALU_CYCLE_1)
	s_or_saveexec_b32 s0, s0
	v_pk_add_f32 v[16:17], v[72:73], v[16:17]
	v_lshl_add_u32 v18, v19, 2, 0x420
	v_lshlrev_b32_e32 v1, 10, v1
	s_xor_b32 exec_lo, exec_lo, s0
	s_cbranch_execz .LBB8_86
; %bb.85:
	s_delay_alu instid0(VALU_DEP_1) | instskip(NEXT) | instid1(VALU_DEP_1)
	v_add_nc_u32_e32 v20, v18, v1
	v_add_nc_u32_e32 v21, 0xfffff800, v20
	;; [unrolled: 1-line block ×9, first 2 shown]
	ds_store_b32 v21, v14
	ds_store_b32 v22, v15
	;; [unrolled: 1-line block ×8, first 2 shown]
	v_add_nc_u32_e32 v21, 0xfffffa00, v20
	v_add_nc_u32_e32 v22, 0xfffffa40, v20
	v_add_nc_u32_e32 v23, 0xfffffa80, v20
	v_add_nc_u32_e32 v24, 0xfffffac0, v20
	v_add_nc_u32_e32 v25, 0xfffffb00, v20
	v_add_nc_u32_e32 v26, 0xfffffb40, v20
	v_add_nc_u32_e32 v27, 0xfffffb80, v20
	v_add_nc_u32_e32 v20, 0xfffffbc0, v20
	ds_store_b32 v21, v6
	ds_store_b32 v22, v7
	;; [unrolled: 1-line block ×8, first 2 shown]
.LBB8_86:
	s_or_b32 exec_lo, exec_lo, s0
	v_lshlrev_b32_e32 v19, 2, v19
	s_mov_b32 s1, exec_lo
	v_cmp_eq_u32_e32 vcc_lo, 0, v94
	s_wait_dscnt 0x0
	s_barrier_signal -1
	v_add3_u32 v1, 0x420, v1, v19
	s_barrier_wait -1
	v_cmpx_gt_u32_e32 64, v0
	s_cbranch_execz .LBB8_105
; %bb.87:
	s_and_saveexec_b32 s0, vcc_lo
	s_cbranch_execnz .LBB8_129
; %bb.88:
	s_or_b32 exec_lo, exec_lo, s0
	s_and_saveexec_b32 s0, vcc_lo
	s_cbranch_execnz .LBB8_130
.LBB8_89:
	s_or_b32 exec_lo, exec_lo, s0
	s_and_saveexec_b32 s0, vcc_lo
	s_cbranch_execnz .LBB8_131
.LBB8_90:
	s_or_b32 exec_lo, exec_lo, s0
	s_and_saveexec_b32 s0, vcc_lo
	s_cbranch_execnz .LBB8_132
.LBB8_91:
	s_or_b32 exec_lo, exec_lo, s0
	s_and_saveexec_b32 s0, vcc_lo
	s_cbranch_execnz .LBB8_133
.LBB8_92:
	s_or_b32 exec_lo, exec_lo, s0
	s_and_saveexec_b32 s0, vcc_lo
	s_cbranch_execnz .LBB8_134
.LBB8_93:
	s_or_b32 exec_lo, exec_lo, s0
	s_and_saveexec_b32 s0, vcc_lo
	s_cbranch_execnz .LBB8_135
.LBB8_94:
	s_or_b32 exec_lo, exec_lo, s0
	s_and_saveexec_b32 s0, vcc_lo
	s_cbranch_execnz .LBB8_136
.LBB8_95:
	s_or_b32 exec_lo, exec_lo, s0
	s_and_saveexec_b32 s0, vcc_lo
	s_cbranch_execnz .LBB8_137
.LBB8_96:
	s_or_b32 exec_lo, exec_lo, s0
	s_and_saveexec_b32 s0, vcc_lo
	s_cbranch_execnz .LBB8_138
.LBB8_97:
	s_or_b32 exec_lo, exec_lo, s0
	s_and_saveexec_b32 s0, vcc_lo
	s_cbranch_execnz .LBB8_139
.LBB8_98:
	s_or_b32 exec_lo, exec_lo, s0
	s_and_saveexec_b32 s0, vcc_lo
	s_cbranch_execnz .LBB8_140
.LBB8_99:
	s_or_b32 exec_lo, exec_lo, s0
	s_and_saveexec_b32 s0, vcc_lo
	s_cbranch_execnz .LBB8_141
.LBB8_100:
	s_or_b32 exec_lo, exec_lo, s0
	s_and_saveexec_b32 s0, vcc_lo
	s_cbranch_execnz .LBB8_142
.LBB8_101:
	s_or_b32 exec_lo, exec_lo, s0
	s_and_saveexec_b32 s0, vcc_lo
	s_cbranch_execnz .LBB8_143
.LBB8_102:
	s_or_b32 exec_lo, exec_lo, s0
	s_and_saveexec_b32 s0, vcc_lo
	s_cbranch_execz .LBB8_104
.LBB8_103:
	ds_load_b32 v19, v1 offset:960
	s_wait_dscnt 0x0
	v_add_f32_e32 v17, v17, v19
.LBB8_104:
	s_or_b32 exec_lo, exec_lo, s0
.LBB8_105:
	s_delay_alu instid0(SALU_CYCLE_1) | instskip(SKIP_4) | instid1(VALU_DEP_1)
	s_or_b32 exec_lo, exec_lo, s1
	v_and_b32_e32 v19, 0x3e1, v0
	s_mov_b32 s1, exec_lo
	s_barrier_signal -1
	s_barrier_wait -1
	v_cmpx_eq_u32_e32 32, v19
	s_cbranch_execz .LBB8_107
; %bb.106:
	ds_store_2addr_b32 v18, v14, v15 offset1:16
	ds_store_2addr_b32 v18, v12, v13 offset0:32 offset1:48
	ds_store_2addr_b32 v18, v10, v11 offset0:64 offset1:80
	;; [unrolled: 1-line block ×7, first 2 shown]
.LBB8_107:
	s_or_b32 exec_lo, exec_lo, s1
	s_delay_alu instid0(SALU_CYCLE_1)
	s_mov_b32 s1, exec_lo
	s_wait_dscnt 0x0
	s_barrier_signal -1
	s_barrier_wait -1
	v_cmpx_gt_u32_e32 32, v0
	s_cbranch_execz .LBB8_126
; %bb.108:
	s_and_saveexec_b32 s0, vcc_lo
	s_cbranch_execnz .LBB8_144
; %bb.109:
	s_or_b32 exec_lo, exec_lo, s0
	s_and_saveexec_b32 s0, vcc_lo
	s_cbranch_execnz .LBB8_145
.LBB8_110:
	s_or_b32 exec_lo, exec_lo, s0
	s_and_saveexec_b32 s0, vcc_lo
	s_cbranch_execnz .LBB8_146
.LBB8_111:
	s_or_b32 exec_lo, exec_lo, s0
	s_and_saveexec_b32 s0, vcc_lo
	s_cbranch_execnz .LBB8_147
.LBB8_112:
	s_or_b32 exec_lo, exec_lo, s0
	s_and_saveexec_b32 s0, vcc_lo
	s_cbranch_execnz .LBB8_148
.LBB8_113:
	s_or_b32 exec_lo, exec_lo, s0
	s_and_saveexec_b32 s0, vcc_lo
	s_cbranch_execnz .LBB8_149
.LBB8_114:
	s_or_b32 exec_lo, exec_lo, s0
	s_and_saveexec_b32 s0, vcc_lo
	s_cbranch_execnz .LBB8_150
.LBB8_115:
	s_or_b32 exec_lo, exec_lo, s0
	s_and_saveexec_b32 s0, vcc_lo
	s_cbranch_execnz .LBB8_151
.LBB8_116:
	s_or_b32 exec_lo, exec_lo, s0
	s_and_saveexec_b32 s0, vcc_lo
	s_cbranch_execnz .LBB8_152
.LBB8_117:
	s_or_b32 exec_lo, exec_lo, s0
	s_and_saveexec_b32 s0, vcc_lo
	s_cbranch_execnz .LBB8_153
.LBB8_118:
	s_or_b32 exec_lo, exec_lo, s0
	s_and_saveexec_b32 s0, vcc_lo
	s_cbranch_execnz .LBB8_154
.LBB8_119:
	s_or_b32 exec_lo, exec_lo, s0
	s_and_saveexec_b32 s0, vcc_lo
	s_cbranch_execnz .LBB8_155
.LBB8_120:
	s_or_b32 exec_lo, exec_lo, s0
	s_and_saveexec_b32 s0, vcc_lo
	s_cbranch_execnz .LBB8_156
.LBB8_121:
	s_or_b32 exec_lo, exec_lo, s0
	s_and_saveexec_b32 s0, vcc_lo
	s_cbranch_execnz .LBB8_157
.LBB8_122:
	s_or_b32 exec_lo, exec_lo, s0
	s_and_saveexec_b32 s0, vcc_lo
	s_cbranch_execnz .LBB8_158
.LBB8_123:
	s_or_b32 exec_lo, exec_lo, s0
	s_and_saveexec_b32 s0, vcc_lo
	s_cbranch_execz .LBB8_125
.LBB8_124:
	ds_load_b32 v1, v1 offset:960
	s_wait_dscnt 0x0
	v_add_f32_e32 v17, v17, v1
.LBB8_125:
	s_or_b32 exec_lo, exec_lo, s0
.LBB8_126:
	s_delay_alu instid0(SALU_CYCLE_1)
	s_or_b32 exec_lo, exec_lo, s1
	s_mov_b32 s1, 0
	s_barrier_signal -1
	s_barrier_wait -1
	s_mov_b32 s0, exec_lo
	v_cmpx_eq_u32_e32 0, v19
	s_cbranch_execz .LBB8_128
; %bb.127:
	s_mul_i32 s0, s30, s31
	s_mul_i32 s2, s31, s6
	;; [unrolled: 1-line block ×3, first 2 shown]
	s_lshr_b32 s8, ttmp7, 16
	s_lshl_b32 s6, s0, 8
	s_bfe_u32 s0, ttmp6, 0x40014
	s_ashr_i32 s7, s6, 31
	s_add_co_i32 s0, s0, 1
	s_lshl_b64 s[6:7], s[6:7], 2
	s_ashr_i32 s3, s2, 31
	s_wait_kmcnt 0x0
	s_add_nc_u64 s[4:5], s[4:5], s[6:7]
	s_mul_i32 s0, s8, s0
	s_bfe_u32 s6, ttmp6, 0x40008
	s_lshl_b64 s[2:3], s[2:3], 2
	s_add_co_i32 s6, s6, s0
	s_cmp_eq_u32 s28, 0
	v_lshlrev_b32_e32 v0, 1, v0
	s_cselect_b32 s0, s8, s6
	s_add_nc_u64 s[2:3], s[4:5], s[2:3]
	s_lshl_b32 s0, s0, 10
	s_delay_alu instid0(SALU_CYCLE_1)
	s_add_nc_u64 s[0:1], s[2:3], s[0:1]
	s_clause 0xf
	global_store_b32 v0, v14, s[0:1]
	global_store_b32 v0, v15, s[0:1] offset:64
	global_store_b32 v0, v12, s[0:1] offset:128
	;; [unrolled: 1-line block ×15, first 2 shown]
.LBB8_128:
	s_sendmsg sendmsg(MSG_DEALLOC_VGPRS)
	s_endpgm
.LBB8_129:
	ds_load_b32 v19, v1
	s_wait_dscnt 0x0
	v_add_f32_e32 v14, v14, v19
	s_or_b32 exec_lo, exec_lo, s0
	s_and_saveexec_b32 s0, vcc_lo
	s_cbranch_execz .LBB8_89
.LBB8_130:
	ds_load_b32 v19, v1 offset:64
	s_wait_dscnt 0x0
	v_add_f32_e32 v15, v15, v19
	s_or_b32 exec_lo, exec_lo, s0
	s_and_saveexec_b32 s0, vcc_lo
	s_cbranch_execz .LBB8_90
.LBB8_131:
	ds_load_b32 v19, v1 offset:128
	s_wait_dscnt 0x0
	v_add_f32_e32 v12, v12, v19
	s_or_b32 exec_lo, exec_lo, s0
	s_and_saveexec_b32 s0, vcc_lo
	s_cbranch_execz .LBB8_91
.LBB8_132:
	ds_load_b32 v19, v1 offset:192
	s_wait_dscnt 0x0
	v_add_f32_e32 v13, v13, v19
	s_or_b32 exec_lo, exec_lo, s0
	s_and_saveexec_b32 s0, vcc_lo
	s_cbranch_execz .LBB8_92
.LBB8_133:
	ds_load_b32 v19, v1 offset:256
	s_wait_dscnt 0x0
	v_add_f32_e32 v10, v10, v19
	s_or_b32 exec_lo, exec_lo, s0
	s_and_saveexec_b32 s0, vcc_lo
	s_cbranch_execz .LBB8_93
.LBB8_134:
	ds_load_b32 v19, v1 offset:320
	s_wait_dscnt 0x0
	v_add_f32_e32 v11, v11, v19
	s_or_b32 exec_lo, exec_lo, s0
	s_and_saveexec_b32 s0, vcc_lo
	s_cbranch_execz .LBB8_94
.LBB8_135:
	ds_load_b32 v19, v1 offset:384
	s_wait_dscnt 0x0
	v_add_f32_e32 v8, v8, v19
	s_or_b32 exec_lo, exec_lo, s0
	s_and_saveexec_b32 s0, vcc_lo
	s_cbranch_execz .LBB8_95
.LBB8_136:
	ds_load_b32 v19, v1 offset:448
	s_wait_dscnt 0x0
	v_add_f32_e32 v9, v9, v19
	s_or_b32 exec_lo, exec_lo, s0
	s_and_saveexec_b32 s0, vcc_lo
	s_cbranch_execz .LBB8_96
.LBB8_137:
	ds_load_b32 v19, v1 offset:512
	s_wait_dscnt 0x0
	v_add_f32_e32 v6, v6, v19
	s_or_b32 exec_lo, exec_lo, s0
	s_and_saveexec_b32 s0, vcc_lo
	s_cbranch_execz .LBB8_97
.LBB8_138:
	ds_load_b32 v19, v1 offset:576
	s_wait_dscnt 0x0
	v_add_f32_e32 v7, v7, v19
	s_or_b32 exec_lo, exec_lo, s0
	s_and_saveexec_b32 s0, vcc_lo
	s_cbranch_execz .LBB8_98
.LBB8_139:
	ds_load_b32 v19, v1 offset:640
	s_wait_dscnt 0x0
	v_add_f32_e32 v4, v4, v19
	s_or_b32 exec_lo, exec_lo, s0
	s_and_saveexec_b32 s0, vcc_lo
	s_cbranch_execz .LBB8_99
.LBB8_140:
	ds_load_b32 v19, v1 offset:704
	s_wait_dscnt 0x0
	v_add_f32_e32 v5, v5, v19
	s_or_b32 exec_lo, exec_lo, s0
	s_and_saveexec_b32 s0, vcc_lo
	s_cbranch_execz .LBB8_100
.LBB8_141:
	ds_load_b32 v19, v1 offset:768
	s_wait_dscnt 0x0
	v_add_f32_e32 v2, v2, v19
	s_or_b32 exec_lo, exec_lo, s0
	s_and_saveexec_b32 s0, vcc_lo
	s_cbranch_execz .LBB8_101
.LBB8_142:
	ds_load_b32 v19, v1 offset:832
	s_wait_dscnt 0x0
	v_add_f32_e32 v3, v3, v19
	s_or_b32 exec_lo, exec_lo, s0
	s_and_saveexec_b32 s0, vcc_lo
	s_cbranch_execz .LBB8_102
.LBB8_143:
	ds_load_b32 v19, v1 offset:896
	s_wait_dscnt 0x0
	v_add_f32_e32 v16, v16, v19
	s_or_b32 exec_lo, exec_lo, s0
	s_and_saveexec_b32 s0, vcc_lo
	s_cbranch_execnz .LBB8_103
	s_branch .LBB8_104
.LBB8_144:
	ds_load_b32 v18, v1
	s_wait_dscnt 0x0
	v_add_f32_e32 v14, v14, v18
	s_or_b32 exec_lo, exec_lo, s0
	s_and_saveexec_b32 s0, vcc_lo
	s_cbranch_execz .LBB8_110
.LBB8_145:
	ds_load_b32 v18, v1 offset:64
	s_wait_dscnt 0x0
	v_add_f32_e32 v15, v15, v18
	s_or_b32 exec_lo, exec_lo, s0
	s_and_saveexec_b32 s0, vcc_lo
	s_cbranch_execz .LBB8_111
.LBB8_146:
	ds_load_b32 v18, v1 offset:128
	s_wait_dscnt 0x0
	v_add_f32_e32 v12, v12, v18
	s_or_b32 exec_lo, exec_lo, s0
	s_and_saveexec_b32 s0, vcc_lo
	s_cbranch_execz .LBB8_112
.LBB8_147:
	ds_load_b32 v18, v1 offset:192
	s_wait_dscnt 0x0
	v_add_f32_e32 v13, v13, v18
	s_or_b32 exec_lo, exec_lo, s0
	s_and_saveexec_b32 s0, vcc_lo
	s_cbranch_execz .LBB8_113
.LBB8_148:
	ds_load_b32 v18, v1 offset:256
	s_wait_dscnt 0x0
	v_add_f32_e32 v10, v10, v18
	s_or_b32 exec_lo, exec_lo, s0
	s_and_saveexec_b32 s0, vcc_lo
	s_cbranch_execz .LBB8_114
.LBB8_149:
	ds_load_b32 v18, v1 offset:320
	s_wait_dscnt 0x0
	v_add_f32_e32 v11, v11, v18
	s_or_b32 exec_lo, exec_lo, s0
	s_and_saveexec_b32 s0, vcc_lo
	s_cbranch_execz .LBB8_115
.LBB8_150:
	ds_load_b32 v18, v1 offset:384
	s_wait_dscnt 0x0
	v_add_f32_e32 v8, v8, v18
	s_or_b32 exec_lo, exec_lo, s0
	s_and_saveexec_b32 s0, vcc_lo
	s_cbranch_execz .LBB8_116
.LBB8_151:
	ds_load_b32 v18, v1 offset:448
	s_wait_dscnt 0x0
	v_add_f32_e32 v9, v9, v18
	s_or_b32 exec_lo, exec_lo, s0
	s_and_saveexec_b32 s0, vcc_lo
	s_cbranch_execz .LBB8_117
.LBB8_152:
	ds_load_b32 v18, v1 offset:512
	s_wait_dscnt 0x0
	v_add_f32_e32 v6, v6, v18
	s_or_b32 exec_lo, exec_lo, s0
	s_and_saveexec_b32 s0, vcc_lo
	s_cbranch_execz .LBB8_118
.LBB8_153:
	ds_load_b32 v18, v1 offset:576
	s_wait_dscnt 0x0
	v_add_f32_e32 v7, v7, v18
	s_or_b32 exec_lo, exec_lo, s0
	s_and_saveexec_b32 s0, vcc_lo
	s_cbranch_execz .LBB8_119
.LBB8_154:
	ds_load_b32 v18, v1 offset:640
	s_wait_dscnt 0x0
	v_add_f32_e32 v4, v4, v18
	s_or_b32 exec_lo, exec_lo, s0
	s_and_saveexec_b32 s0, vcc_lo
	s_cbranch_execz .LBB8_120
.LBB8_155:
	ds_load_b32 v18, v1 offset:704
	s_wait_dscnt 0x0
	v_add_f32_e32 v5, v5, v18
	s_or_b32 exec_lo, exec_lo, s0
	s_and_saveexec_b32 s0, vcc_lo
	s_cbranch_execz .LBB8_121
.LBB8_156:
	ds_load_b32 v18, v1 offset:768
	s_wait_dscnt 0x0
	v_add_f32_e32 v2, v2, v18
	s_or_b32 exec_lo, exec_lo, s0
	s_and_saveexec_b32 s0, vcc_lo
	s_cbranch_execz .LBB8_122
.LBB8_157:
	ds_load_b32 v18, v1 offset:832
	s_wait_dscnt 0x0
	v_add_f32_e32 v3, v3, v18
	s_or_b32 exec_lo, exec_lo, s0
	s_and_saveexec_b32 s0, vcc_lo
	s_cbranch_execz .LBB8_123
.LBB8_158:
	ds_load_b32 v18, v1 offset:896
	s_wait_dscnt 0x0
	v_add_f32_e32 v16, v16, v18
	s_or_b32 exec_lo, exec_lo, s0
	s_and_saveexec_b32 s0, vcc_lo
	s_cbranch_execnz .LBB8_124
	s_branch .LBB8_125
	.section	.rodata,"a",@progbits
	.p2align	6, 0x0
	.amdhsa_kernel _ZN4vllm25paged_attention_v1_kernelIffLi256ELi8ELi128ELNS_18Fp8KVCacheDataTypeE0ELb1EEEvPT_PKS2_PKT0_S8_ifPKiSA_iPKfiiiSC_SC_iiiii
		.amdhsa_group_segment_fixed_size 1056
		.amdhsa_private_segment_fixed_size 0
		.amdhsa_kernarg_size 384
		.amdhsa_user_sgpr_count 2
		.amdhsa_user_sgpr_dispatch_ptr 0
		.amdhsa_user_sgpr_queue_ptr 0
		.amdhsa_user_sgpr_kernarg_segment_ptr 1
		.amdhsa_user_sgpr_dispatch_id 0
		.amdhsa_user_sgpr_kernarg_preload_length 0
		.amdhsa_user_sgpr_kernarg_preload_offset 0
		.amdhsa_user_sgpr_private_segment_size 0
		.amdhsa_wavefront_size32 1
		.amdhsa_uses_dynamic_stack 0
		.amdhsa_enable_private_segment 0
		.amdhsa_system_sgpr_workgroup_id_x 1
		.amdhsa_system_sgpr_workgroup_id_y 1
		.amdhsa_system_sgpr_workgroup_id_z 1
		.amdhsa_system_sgpr_workgroup_info 0
		.amdhsa_system_vgpr_workitem_id 0
		.amdhsa_next_free_vgpr 102
		.amdhsa_next_free_sgpr 40
		.amdhsa_named_barrier_count 0
		.amdhsa_reserve_vcc 1
		.amdhsa_float_round_mode_32 0
		.amdhsa_float_round_mode_16_64 0
		.amdhsa_float_denorm_mode_32 3
		.amdhsa_float_denorm_mode_16_64 3
		.amdhsa_fp16_overflow 0
		.amdhsa_memory_ordered 1
		.amdhsa_forward_progress 1
		.amdhsa_inst_pref_size 80
		.amdhsa_round_robin_scheduling 0
		.amdhsa_exception_fp_ieee_invalid_op 0
		.amdhsa_exception_fp_denorm_src 0
		.amdhsa_exception_fp_ieee_div_zero 0
		.amdhsa_exception_fp_ieee_overflow 0
		.amdhsa_exception_fp_ieee_underflow 0
		.amdhsa_exception_fp_ieee_inexact 0
		.amdhsa_exception_int_div_zero 0
	.end_amdhsa_kernel
	.section	.text._ZN4vllm25paged_attention_v1_kernelIffLi256ELi8ELi128ELNS_18Fp8KVCacheDataTypeE0ELb1EEEvPT_PKS2_PKT0_S8_ifPKiSA_iPKfiiiSC_SC_iiiii,"axG",@progbits,_ZN4vllm25paged_attention_v1_kernelIffLi256ELi8ELi128ELNS_18Fp8KVCacheDataTypeE0ELb1EEEvPT_PKS2_PKT0_S8_ifPKiSA_iPKfiiiSC_SC_iiiii,comdat
.Lfunc_end8:
	.size	_ZN4vllm25paged_attention_v1_kernelIffLi256ELi8ELi128ELNS_18Fp8KVCacheDataTypeE0ELb1EEEvPT_PKS2_PKT0_S8_ifPKiSA_iPKfiiiSC_SC_iiiii, .Lfunc_end8-_ZN4vllm25paged_attention_v1_kernelIffLi256ELi8ELi128ELNS_18Fp8KVCacheDataTypeE0ELb1EEEvPT_PKS2_PKT0_S8_ifPKiSA_iPKfiiiSC_SC_iiiii
                                        ; -- End function
	.set _ZN4vllm25paged_attention_v1_kernelIffLi256ELi8ELi128ELNS_18Fp8KVCacheDataTypeE0ELb1EEEvPT_PKS2_PKT0_S8_ifPKiSA_iPKfiiiSC_SC_iiiii.num_vgpr, 102
	.set _ZN4vllm25paged_attention_v1_kernelIffLi256ELi8ELi128ELNS_18Fp8KVCacheDataTypeE0ELb1EEEvPT_PKS2_PKT0_S8_ifPKiSA_iPKfiiiSC_SC_iiiii.num_agpr, 0
	.set _ZN4vllm25paged_attention_v1_kernelIffLi256ELi8ELi128ELNS_18Fp8KVCacheDataTypeE0ELb1EEEvPT_PKS2_PKT0_S8_ifPKiSA_iPKfiiiSC_SC_iiiii.numbered_sgpr, 40
	.set _ZN4vllm25paged_attention_v1_kernelIffLi256ELi8ELi128ELNS_18Fp8KVCacheDataTypeE0ELb1EEEvPT_PKS2_PKT0_S8_ifPKiSA_iPKfiiiSC_SC_iiiii.num_named_barrier, 0
	.set _ZN4vllm25paged_attention_v1_kernelIffLi256ELi8ELi128ELNS_18Fp8KVCacheDataTypeE0ELb1EEEvPT_PKS2_PKT0_S8_ifPKiSA_iPKfiiiSC_SC_iiiii.private_seg_size, 0
	.set _ZN4vllm25paged_attention_v1_kernelIffLi256ELi8ELi128ELNS_18Fp8KVCacheDataTypeE0ELb1EEEvPT_PKS2_PKT0_S8_ifPKiSA_iPKfiiiSC_SC_iiiii.uses_vcc, 1
	.set _ZN4vllm25paged_attention_v1_kernelIffLi256ELi8ELi128ELNS_18Fp8KVCacheDataTypeE0ELb1EEEvPT_PKS2_PKT0_S8_ifPKiSA_iPKfiiiSC_SC_iiiii.uses_flat_scratch, 0
	.set _ZN4vllm25paged_attention_v1_kernelIffLi256ELi8ELi128ELNS_18Fp8KVCacheDataTypeE0ELb1EEEvPT_PKS2_PKT0_S8_ifPKiSA_iPKfiiiSC_SC_iiiii.has_dyn_sized_stack, 0
	.set _ZN4vllm25paged_attention_v1_kernelIffLi256ELi8ELi128ELNS_18Fp8KVCacheDataTypeE0ELb1EEEvPT_PKS2_PKT0_S8_ifPKiSA_iPKfiiiSC_SC_iiiii.has_recursion, 0
	.set _ZN4vllm25paged_attention_v1_kernelIffLi256ELi8ELi128ELNS_18Fp8KVCacheDataTypeE0ELb1EEEvPT_PKS2_PKT0_S8_ifPKiSA_iPKfiiiSC_SC_iiiii.has_indirect_call, 0
	.section	.AMDGPU.csdata,"",@progbits
; Kernel info:
; codeLenInByte = 10188
; TotalNumSgprs: 42
; NumVgprs: 102
; ScratchSize: 0
; MemoryBound: 0
; FloatMode: 240
; IeeeMode: 1
; LDSByteSize: 1056 bytes/workgroup (compile time only)
; SGPRBlocks: 0
; VGPRBlocks: 6
; NumSGPRsForWavesPerEU: 42
; NumVGPRsForWavesPerEU: 102
; NamedBarCnt: 0
; Occupancy: 9
; WaveLimiterHint : 1
; COMPUTE_PGM_RSRC2:SCRATCH_EN: 0
; COMPUTE_PGM_RSRC2:USER_SGPR: 2
; COMPUTE_PGM_RSRC2:TRAP_HANDLER: 0
; COMPUTE_PGM_RSRC2:TGID_X_EN: 1
; COMPUTE_PGM_RSRC2:TGID_Y_EN: 1
; COMPUTE_PGM_RSRC2:TGID_Z_EN: 1
; COMPUTE_PGM_RSRC2:TIDIG_COMP_CNT: 0
	.section	.text._ZN4vllm25paged_attention_v1_kernelIffLi32ELi8ELi128ELNS_18Fp8KVCacheDataTypeE0ELb0EEEvPT_PKS2_PKT0_S8_ifPKiSA_iPKfiiiSC_SC_iiiii,"axG",@progbits,_ZN4vllm25paged_attention_v1_kernelIffLi32ELi8ELi128ELNS_18Fp8KVCacheDataTypeE0ELb0EEEvPT_PKS2_PKT0_S8_ifPKiSA_iPKfiiiSC_SC_iiiii,comdat
	.protected	_ZN4vllm25paged_attention_v1_kernelIffLi32ELi8ELi128ELNS_18Fp8KVCacheDataTypeE0ELb0EEEvPT_PKS2_PKT0_S8_ifPKiSA_iPKfiiiSC_SC_iiiii ; -- Begin function _ZN4vllm25paged_attention_v1_kernelIffLi32ELi8ELi128ELNS_18Fp8KVCacheDataTypeE0ELb0EEEvPT_PKS2_PKT0_S8_ifPKiSA_iPKfiiiSC_SC_iiiii
	.globl	_ZN4vllm25paged_attention_v1_kernelIffLi32ELi8ELi128ELNS_18Fp8KVCacheDataTypeE0ELb0EEEvPT_PKS2_PKT0_S8_ifPKiSA_iPKfiiiSC_SC_iiiii
	.p2align	8
	.type	_ZN4vllm25paged_attention_v1_kernelIffLi32ELi8ELi128ELNS_18Fp8KVCacheDataTypeE0ELb0EEEvPT_PKS2_PKT0_S8_ifPKiSA_iPKfiiiSC_SC_iiiii,@function
_ZN4vllm25paged_attention_v1_kernelIffLi32ELi8ELi128ELNS_18Fp8KVCacheDataTypeE0ELb0EEEvPT_PKS2_PKT0_S8_ifPKiSA_iPKfiiiSC_SC_iiiii: ; @_ZN4vllm25paged_attention_v1_kernelIffLi32ELi8ELi128ELNS_18Fp8KVCacheDataTypeE0ELb0EEEvPT_PKS2_PKT0_S8_ifPKiSA_iPKfiiiSC_SC_iiiii
; %bb.0:
	s_load_b64 s[10:11], s[0:1], 0x20
	s_bfe_u32 s3, ttmp6, 0x4000c
	s_bfe_u32 s5, ttmp6, 0x40010
	s_and_b32 s4, ttmp7, 0xffff
	s_add_co_i32 s3, s3, 1
	s_add_co_i32 s5, s5, 1
	s_and_b32 s2, ttmp6, 15
	s_bfe_u32 s6, ttmp6, 0x40004
	s_mul_i32 s3, ttmp9, s3
	s_mul_i32 s5, s4, s5
	s_getreg_b32 s20, hwreg(HW_REG_IB_STS2, 6, 4)
	s_add_co_i32 s7, s2, s3
	s_add_co_i32 s6, s6, s5
	s_cmp_eq_u32 s20, 0
	s_clause 0x1
	s_load_b32 s21, s[0:1], 0x80
	s_load_b64 s[2:3], s[0:1], 0x30
	s_cselect_b32 s22, s4, s6
	s_cselect_b32 s4, ttmp9, s7
	s_mov_b32 s13, 0
	s_delay_alu instid0(SALU_CYCLE_1) | instskip(SKIP_2) | instid1(SALU_CYCLE_1)
	s_mov_b32 s24, s13
	s_wait_kmcnt 0x0
	s_abs_i32 s5, s10
	s_cvt_f32_u32 s6, s5
	s_sub_co_i32 s7, 0, s5
	s_delay_alu instid0(SALU_CYCLE_2) | instskip(SKIP_2) | instid1(TRANS32_DEP_1)
	v_rcp_iflag_f32_e32 v1, s6
	s_abs_i32 s8, s21
	v_nop
	v_readfirstlane_b32 s6, v1
	s_mul_f32 s6, s6, 0x4f7ffffe
	s_delay_alu instid0(SALU_CYCLE_3) | instskip(NEXT) | instid1(SALU_CYCLE_3)
	s_cvt_u32_f32 s6, s6
	s_mul_i32 s7, s7, s6
	s_delay_alu instid0(SALU_CYCLE_1) | instskip(NEXT) | instid1(SALU_CYCLE_1)
	s_mul_hi_u32 s7, s6, s7
	s_add_co_i32 s6, s6, s7
	s_xor_b32 s7, s21, s10
	s_mul_hi_u32 s6, s8, s6
	s_ashr_i32 s7, s7, 31
	s_mul_i32 s9, s6, s5
	s_delay_alu instid0(SALU_CYCLE_1)
	s_sub_co_i32 s8, s8, s9
	s_add_co_i32 s9, s6, 1
	s_sub_co_i32 s10, s8, s5
	s_cmp_ge_u32 s8, s5
	s_cselect_b32 s6, s9, s6
	s_cselect_b32 s8, s10, s8
	s_add_co_i32 s9, s6, 1
	s_cmp_ge_u32 s8, s5
	s_cselect_b32 s5, s9, s6
	s_load_b64 s[8:9], s[0:1], 0x40
	s_xor_b32 s5, s5, s7
	s_abs_i32 s12, s4
	s_sub_co_i32 s14, s5, s7
	s_mov_b32 s7, s13
	s_abs_i32 s16, s14
	s_delay_alu instid0(SALU_CYCLE_1) | instskip(SKIP_1) | instid1(SALU_CYCLE_2)
	s_cvt_f32_u32 s5, s16
	s_sub_co_i32 s6, 0, s16
	v_rcp_iflag_f32_e32 v1, s5
	v_nop
	s_delay_alu instid0(TRANS32_DEP_1) | instskip(SKIP_1) | instid1(SALU_CYCLE_3)
	v_readfirstlane_b32 s5, v1
	s_mul_f32 s5, s5, 0x4f7ffffe
	s_cvt_u32_f32 s5, s5
	s_delay_alu instid0(SALU_CYCLE_3) | instskip(NEXT) | instid1(SALU_CYCLE_1)
	s_mul_i32 s6, s6, s5
	s_mul_hi_u32 s6, s5, s6
	s_delay_alu instid0(SALU_CYCLE_1)
	s_add_co_i32 s6, s5, s6
	s_wait_kmcnt 0x0
	s_cmp_eq_u64 s[8:9], 0
	s_cbranch_scc1 .LBB9_2
; %bb.1:
	s_ashr_i32 s5, s4, 31
	s_delay_alu instid0(SALU_CYCLE_1) | instskip(NEXT) | instid1(SALU_CYCLE_1)
	s_lshl_b64 s[18:19], s[4:5], 2
	s_add_nc_u64 s[8:9], s[8:9], s[18:19]
	s_load_b32 s24, s[8:9], 0x0
.LBB9_2:
	s_load_b32 s23, s[2:3], s22 offset:0x0 scale_offset
	s_wait_xcnt 0x0
	s_load_b96 s[8:10], s[0:1], 0x48
	v_and_b32_e32 v12, 3, v0
	v_cmp_gt_u32_e64 s2, 32, v0
	s_ashr_i32 s3, s4, 31
	s_ashr_i32 s5, s14, 31
	s_mul_u64 s[14:15], s[12:13], s[6:7]
	s_lshl_b32 s6, s4, 5
	s_and_saveexec_b32 s4, s2
	s_cbranch_execz .LBB9_4
; %bb.3:
	s_load_b64 s[18:19], s[0:1], 0x8
	s_wait_kmcnt 0x0
	s_mul_i32 s26, s8, s22
	s_ashr_i32 s7, s6, 31
	s_ashr_i32 s27, s26, 31
	v_and_b32_e32 v2, 0x3fc, v0
	s_lshl_b64 s[26:27], s[26:27], 2
	s_delay_alu instid0(VALU_DEP_1) | instskip(SKIP_2) | instid1(SALU_CYCLE_1)
	v_lshl_add_u32 v2, v12, 5, v2
	s_add_nc_u64 s[18:19], s[18:19], s[26:27]
	s_lshl_b64 s[26:27], s[6:7], 2
	s_add_nc_u64 s[18:19], s[18:19], s[26:27]
	global_load_b32 v1, v0, s[18:19] scale_offset
	s_wait_loadcnt 0x0
	ds_store_b32 v2, v1
.LBB9_4:
	s_or_b32 exec_lo, exec_lo, s4
	s_wait_kmcnt 0x0
	s_add_co_i32 s4, s23, 7
	s_load_b32 s7, s[0:1], 0x38
	s_ashr_i32 s8, s4, 31
	s_xor_b32 s3, s3, s5
	s_lshr_b32 s5, s8, 29
	s_mul_i32 s8, s15, s16
	s_add_co_i32 s4, s4, s5
	s_sub_co_i32 s5, s12, s8
	s_ashr_i32 s8, s4, 3
	s_add_co_i32 s4, s15, 1
	s_sub_co_i32 s12, s5, s16
	s_cmp_ge_u32 s5, s16
	v_lshrrev_b32_e32 v1, 5, v0
	s_cselect_b32 s4, s4, s15
	s_cselect_b32 s5, s12, s5
	s_add_co_i32 s12, s4, 1
	s_cmp_ge_u32 s5, s16
	v_mbcnt_lo_u32_b32 v16, -1, 0
	s_cselect_b32 s4, s12, s4
	s_mov_b32 s5, exec_lo
	s_xor_b32 s4, s4, s3
	s_wait_kmcnt 0x0
	s_mul_i32 s12, s7, s22
	s_sub_co_i32 s4, s4, s3
	v_cmp_gt_i32_e64 s3, s8, v1
	s_ashr_i32 s13, s12, 31
	s_wait_dscnt 0x0
	s_barrier_signal -1
	s_barrier_wait -1
                                        ; implicit-def: $vgpr11
                                        ; implicit-def: $vgpr17
	v_cmpx_le_i32_e64 s8, v1
	s_xor_b32 s5, exec_lo, s5
; %bb.5:
	v_dual_mov_b32 v11, 0 :: v_dual_mov_b32 v17, 32
	v_mbcnt_lo_u32_b32 v16, -1, 0
                                        ; implicit-def: $vgpr12
; %bb.6:
	s_or_saveexec_b32 s25, s5
	s_clause 0x1
	s_load_b64 s[14:15], s[0:1], 0x28
	s_load_b32 s7, s[0:1], 0x88
	v_mov_b32_e32 v10, 0xff7fffff
	v_lshrrev_b32_e32 v18, 3, v0
	s_mul_i32 s16, s4, s10
	s_xor_b32 exec_lo, exec_lo, s25
	s_cbranch_execz .LBB9_12
; %bb.7:
	s_load_b64 s[26:27], s[0:1], 0x10
	v_dual_mov_b32 v17, 32 :: v_dual_bitop2_b32 v13, 2, v16 bitop3:0x14
	v_bfe_u32 v21, v0, 2, 3
	v_xor_b32_e32 v14, 1, v16
	s_ashr_i32 s17, s16, 31
	v_dual_mov_b32 v11, 0 :: v_dual_lshlrev_b32 v6, 5, v12
	v_cmp_gt_i32_e64 s4, 32, v13
	v_lshlrev_b32_e32 v10, 4, v21
	s_lshl_b64 s[28:29], s[16:17], 2
	ds_load_b128 v[2:5], v6
	ds_load_b128 v[6:9], v6 offset:16
	v_cndmask_b32_e64 v13, v16, v13, s4
	v_cmp_gt_i32_e64 s4, 32, v14
	v_lshlrev_b32_e32 v22, 2, v21
	s_ashr_i32 s19, s9, 31
	s_cmp_neq_f32 s24, 0
	v_cmp_eq_u32_e32 vcc_lo, 0, v12
	v_cndmask_b32_e64 v20, v16, v14, s4
	s_wait_kmcnt 0x0
	s_add_nc_u64 s[26:27], s[26:27], s[28:29]
	v_lshlrev_b32_e32 v19, 2, v13
	v_add_nc_u64_e32 v[14:15], s[26:27], v[10:11]
	v_lshlrev_b32_e32 v10, 2, v12
	s_cselect_b32 s4, -1, 0
	s_lshl_b64 s[26:27], s[12:13], 2
	v_lshl_or_b32 v22, v1, 5, v22
	s_add_nc_u64 s[26:27], s[14:15], s[26:27]
	v_lshlrev_b32_e32 v20, 2, v20
	v_add_nc_u64_e32 v[12:13], v[14:15], v[10:11]
	v_and_b32_e32 v10, 0x7c, v18
	v_lshl_or_b32 v21, v1, 3, v21
	v_dual_mov_b32 v23, v1 :: v_dual_add_nc_u32 v22, 0xa0, v22
	s_mov_b32 s18, s9
	s_delay_alu instid0(VALU_DEP_3)
	v_add_nc_u64_e32 v[14:15], s[26:27], v[10:11]
	v_mov_b32_e32 v10, 0xff7fffff
	s_mov_b32 s10, 0
	s_sub_co_i32 s17, 1, s23
	s_branch .LBB9_9
.LBB9_8:                                ;   in Loop: Header=BB9_9 Depth=1
	s_or_b32 exec_lo, exec_lo, s26
	v_dual_add_nc_u32 v23, 4, v23 :: v_dual_add_nc_u32 v21, 32, v21
	v_add_nc_u64_e32 v[14:15], 16, v[14:15]
	v_add_nc_u32_e32 v22, 0x80, v22
	s_delay_alu instid0(VALU_DEP_3) | instskip(SKIP_1) | instid1(SALU_CYCLE_1)
	v_cmp_le_i32_e64 s5, s8, v23
	s_or_b32 s10, s5, s10
	s_and_not1_b32 exec_lo, exec_lo, s10
	s_cbranch_execz .LBB9_11
.LBB9_9:                                ; =>This Inner Loop Header: Depth=1
	global_load_b32 v24, v[14:15], off
	s_wait_loadcnt_dscnt 0x0
	v_ashrrev_i32_e32 v25, 31, v24
	s_delay_alu instid0(VALU_DEP_1) | instskip(NEXT) | instid1(VALU_DEP_1)
	v_mul_u64_e32 v[24:25], s[18:19], v[24:25]
	v_lshl_add_u64 v[24:25], v[24:25], 2, v[12:13]
	s_clause 0x7
	global_load_b32 v26, v[24:25], off offset:128
	global_load_b32 v27, v[24:25], off
	global_load_b32 v28, v[24:25], off offset:256
	global_load_b32 v29, v[24:25], off offset:384
	;; [unrolled: 1-line block ×6, first 2 shown]
	s_wait_loadcnt_dscnt 0x701
	s_wait_xcnt 0x0
	v_mul_f32_e32 v24, v3, v26
	s_wait_loadcnt 0x6
	s_delay_alu instid0(VALU_DEP_1) | instskip(SKIP_1) | instid1(VALU_DEP_1)
	v_fmac_f32_e32 v24, v2, v27
	s_wait_loadcnt 0x5
	v_fmac_f32_e32 v24, v4, v28
	s_wait_loadcnt 0x4
	s_delay_alu instid0(VALU_DEP_1) | instskip(SKIP_1) | instid1(VALU_DEP_1)
	v_fmac_f32_e32 v24, v5, v29
	s_wait_loadcnt_dscnt 0x300
	v_fmac_f32_e32 v24, v6, v30
	s_wait_loadcnt 0x2
	s_delay_alu instid0(VALU_DEP_1) | instskip(SKIP_1) | instid1(VALU_DEP_1)
	v_fmac_f32_e32 v24, v7, v31
	s_wait_loadcnt 0x1
	v_fmac_f32_e32 v24, v8, v32
	s_wait_loadcnt 0x0
	s_delay_alu instid0(VALU_DEP_1)
	v_fmac_f32_e32 v24, v9, v33
	ds_bpermute_b32 v25, v19, v24
	s_wait_dscnt 0x0
	v_add_f32_e32 v24, v24, v25
	ds_bpermute_b32 v25, v20, v24
	s_and_saveexec_b32 s26, vcc_lo
	s_cbranch_execz .LBB9_8
; %bb.10:                               ;   in Loop: Header=BB9_9 Depth=1
	s_wait_dscnt 0x0
	v_add_f32_e32 v24, v24, v25
	v_add_nc_u32_e32 v26, s17, v21
	v_cmp_gt_i32_e64 s5, s23, v21
	s_delay_alu instid0(VALU_DEP_2) | instskip(NEXT) | instid1(VALU_DEP_1)
	v_cvt_f32_i32_e32 v26, v26
	v_mul_f32_e32 v26, s24, v26
	s_delay_alu instid0(VALU_DEP_1) | instskip(NEXT) | instid1(VALU_DEP_1)
	v_cndmask_b32_e64 v25, 0, v26, s4
	v_dual_max_num_f32 v26, v10, v10 :: v_dual_fmac_f32 v25, s11, v24
	s_delay_alu instid0(VALU_DEP_1) | instskip(NEXT) | instid1(VALU_DEP_1)
	v_dual_max_num_f32 v24, v26, v25 :: v_dual_cndmask_b32 v25, 0, v25, s5
	v_cndmask_b32_e64 v10, v10, v24, s5
	ds_store_b32 v22, v25
	s_branch .LBB9_8
.LBB9_11:
	s_or_b32 exec_lo, exec_lo, s10
.LBB9_12:
	s_delay_alu instid0(SALU_CYCLE_1)
	s_or_b32 exec_lo, exec_lo, s25
	v_dual_max_num_f32 v5, v10, v10 :: v_dual_bitop2_b32 v2, 16, v16 bitop3:0x14
	s_clause 0x1
	s_load_b64 s[10:11], s[0:1], 0x0
	s_load_b64 s[18:19], s[0:1], 0x18
	v_and_b32_e32 v20, 31, v0
	v_xor_b32_e32 v4, 8, v16
	v_cmp_lt_i32_e32 vcc_lo, v2, v17
	v_cndmask_b32_e32 v2, v16, v2, vcc_lo
	s_delay_alu instid0(VALU_DEP_3) | instskip(NEXT) | instid1(VALU_DEP_2)
	v_cmp_lt_i32_e32 vcc_lo, v4, v17
	v_dual_lshlrev_b32 v2, 2, v2 :: v_dual_cndmask_b32 v4, v16, v4, vcc_lo
	ds_bpermute_b32 v3, v2, v10
	s_wait_dscnt 0x0
	v_dual_max_num_f32 v6, v3, v3 :: v_dual_lshlrev_b32 v3, 2, v4
	s_delay_alu instid0(VALU_DEP_1) | instskip(SKIP_4) | instid1(VALU_DEP_1)
	v_dual_max_num_f32 v4, v5, v6 :: v_dual_bitop2_b32 v6, 4, v16 bitop3:0x14
	ds_bpermute_b32 v5, v3, v4
	v_cmp_lt_i32_e32 vcc_lo, v6, v17
	v_cndmask_b32_e32 v6, v16, v6, vcc_lo
	s_wait_dscnt 0x0
	v_dual_max_num_f32 v5, v5, v5 :: v_dual_lshlrev_b32 v6, 2, v6
	s_delay_alu instid0(VALU_DEP_1)
	v_max_num_f32_e32 v5, v4, v5
	v_lshlrev_b32_e32 v4, 2, v1
	v_cmp_eq_u32_e32 vcc_lo, 0, v20
	ds_bpermute_b32 v7, v6, v5
	s_wait_xcnt 0x0
	s_and_saveexec_b32 s0, vcc_lo
	s_cbranch_execz .LBB9_14
; %bb.13:
	s_wait_dscnt 0x0
	v_dual_max_num_f32 v7, v7, v7 :: v_dual_max_num_f32 v5, v5, v5
	s_delay_alu instid0(VALU_DEP_1)
	v_max_num_f32_e32 v5, v5, v7
	ds_store_b32 v4, v5 offset:128
.LBB9_14:
	s_or_b32 exec_lo, exec_lo, s0
	v_cmp_gt_u32_e64 s0, 4, v20
	v_dual_mov_b32 v8, 0xff7fffff :: v_dual_lshlrev_b32 v5, 2, v20
	s_wait_dscnt 0x0
	s_barrier_signal -1
	s_barrier_wait -1
	s_and_saveexec_b32 s1, s0
; %bb.15:
	ds_load_b32 v8, v5 offset:128
; %bb.16:
	s_or_b32 exec_lo, exec_lo, s1
	v_xor_b32_e32 v10, 1, v16
	v_xor_b32_e32 v7, 2, v16
	s_delay_alu instid0(VALU_DEP_1) | instskip(NEXT) | instid1(VALU_DEP_1)
	v_cmp_lt_i32_e64 s1, v7, v17
	v_cndmask_b32_e64 v7, v16, v7, s1
	s_delay_alu instid0(VALU_DEP_1) | instskip(SKIP_4) | instid1(VALU_DEP_1)
	v_lshlrev_b32_e32 v7, 2, v7
	s_wait_dscnt 0x0
	ds_bpermute_b32 v9, v7, v8
	s_wait_dscnt 0x0
	v_dual_max_num_f32 v8, v8, v8 :: v_dual_max_num_f32 v9, v9, v9
	v_max_num_f32_e32 v8, v8, v9
	v_cmp_lt_i32_e64 s1, v10, v17
	s_delay_alu instid0(VALU_DEP_1) | instskip(SKIP_1) | instid1(SALU_CYCLE_1)
	v_cndmask_b32_e64 v10, v16, v10, s1
	s_lshl_b32 s1, s8, 3
	s_min_i32 s5, s1, s23
	s_delay_alu instid0(VALU_DEP_1) | instskip(SKIP_4) | instid1(VALU_DEP_1)
	v_lshlrev_b32_e32 v21, 2, v10
	v_cmp_gt_i32_e64 s1, s5, v0
	ds_bpermute_b32 v9, v21, v8
	s_wait_dscnt 0x0
	v_max_num_f32_e32 v9, v9, v9
	v_dual_max_num_f32 v8, v8, v9 :: v_dual_lshlrev_b32 v9, 2, v11
	ds_bpermute_b32 v9, v9, v8
	v_mov_b32_e32 v8, 0
	s_and_saveexec_b32 s17, s1
	s_cbranch_execz .LBB9_20
; %bb.17:
	v_lshl_add_u32 v10, v0, 2, 0xa0
	v_dual_mov_b32 v8, 0 :: v_dual_mov_b32 v11, v0
	s_mov_b32 s24, 0
.LBB9_18:                               ; =>This Inner Loop Header: Depth=1
	ds_load_b32 v12, v10
	v_add_nc_u32_e32 v11, 0x80, v11
	s_delay_alu instid0(VALU_DEP_1) | instskip(SKIP_3) | instid1(VALU_DEP_1)
	v_cmp_le_i32_e64 s4, s5, v11
	s_or_b32 s24, s4, s24
	s_wait_dscnt 0x0
	v_sub_f32_e32 v12, v12, v9
	v_mul_f32_e32 v12, 0x3fb8aa3b, v12
	s_delay_alu instid0(VALU_DEP_1)
	v_exp_f32_e32 v12, v12
	ds_store_b32 v10, v12
	v_nop
	v_add_f32_e32 v8, v8, v12
	v_add_nc_u32_e32 v10, 0x200, v10
	s_and_not1_b32 exec_lo, exec_lo, s24
	s_cbranch_execnz .LBB9_18
; %bb.19:
	s_or_b32 exec_lo, exec_lo, s24
.LBB9_20:
	s_delay_alu instid0(SALU_CYCLE_1)
	s_or_b32 exec_lo, exec_lo, s17
	ds_bpermute_b32 v2, v2, v8
	s_wait_dscnt 0x0
	v_add_f32_e32 v2, v8, v2
	ds_bpermute_b32 v3, v3, v2
	s_wait_dscnt 0x0
	v_add_f32_e32 v2, v2, v3
	;; [unrolled: 3-line block ×5, first 2 shown]
	s_and_saveexec_b32 s4, vcc_lo
; %bb.21:
	ds_store_b32 v4, v2 offset:144
; %bb.22:
	s_or_b32 exec_lo, exec_lo, s4
	s_wait_dscnt 0x0
	s_barrier_signal -1
	s_barrier_wait -1
	s_and_saveexec_b32 s4, s0
; %bb.23:
	ds_load_b32 v2, v5 offset:144
; %bb.24:
	s_or_b32 exec_lo, exec_lo, s4
	s_wait_dscnt 0x0
	ds_bpermute_b32 v3, v7, v2
	s_wait_dscnt 0x0
	v_dual_lshlrev_b32 v4, 2, v16 :: v_dual_add_f32 v2, v2, v3
	ds_bpermute_b32 v3, v21, v2
	s_wait_dscnt 0x0
	v_add_f32_e32 v2, v2, v3
	v_and_b32_e32 v3, 0xffffff80, v4
	ds_bpermute_b32 v2, v3, v2
	s_and_saveexec_b32 s0, s1
	s_cbranch_execz .LBB9_37
; %bb.25:
	s_wait_dscnt 0x0
	v_add_f32_e32 v2, 0x358637bd, v2
	s_mov_b32 s4, -1
	s_mov_b32 s1, exec_lo
	s_delay_alu instid0(VALU_DEP_1) | instskip(NEXT) | instid1(VALU_DEP_1)
	v_div_scale_f32 v3, null, v2, v2, 1.0
	v_rcp_f32_e32 v5, v3
	v_nop
	s_delay_alu instid0(TRANS32_DEP_1) | instskip(NEXT) | instid1(VALU_DEP_1)
	v_fma_f32 v4, -v3, v5, 1.0
	v_fmac_f32_e32 v5, v4, v5
	v_div_scale_f32 v6, vcc_lo, 1.0, v2, 1.0
	s_delay_alu instid0(VALU_DEP_1) | instskip(NEXT) | instid1(VALU_DEP_1)
	v_mul_f32_e32 v7, v6, v5
	v_fma_f32 v4, -v3, v7, v6
	s_delay_alu instid0(VALU_DEP_1) | instskip(SKIP_1) | instid1(VALU_DEP_2)
	v_fmac_f32_e32 v7, v4, v5
	v_xad_u32 v4, v0, -1, s5
	v_fma_f32 v3, -v3, v7, v6
	s_delay_alu instid0(VALU_DEP_1) | instskip(NEXT) | instid1(VALU_DEP_1)
	v_div_fmas_f32 v3, v3, v5, v7
	v_div_fixup_f32 v2, v3, v2, 1.0
	v_mov_b32_e32 v3, v0
	v_cmpx_lt_u32_e32 0x7f, v4
	s_cbranch_execz .LBB9_34
; %bb.26:
	s_delay_alu instid0(VALU_DEP_3) | instskip(NEXT) | instid1(VALU_DEP_1)
	v_dual_mov_b32 v3, v2 :: v_dual_lshrrev_b32 v4, 7, v4
	v_dual_mov_b32 v8, 0 :: v_dual_add_nc_u32 v5, -1, v4
	s_delay_alu instid0(VALU_DEP_1) | instskip(SKIP_1) | instid1(VALU_DEP_2)
	v_lshrrev_b32_e32 v6, 1, v5
	v_cmp_lt_u32_e32 vcc_lo, 13, v5
	v_add_nc_u32_e32 v5, 1, v6
	s_and_saveexec_b32 s4, vcc_lo
	s_cbranch_execz .LBB9_30
; %bb.27:
	s_delay_alu instid0(VALU_DEP_1)
	v_and_b32_e32 v6, -8, v5
	v_lshl_add_u32 v7, v0, 2, 0xa0
	s_mov_b32 s17, 0
	s_mov_b32 s24, 0
.LBB9_28:                               ; =>This Inner Loop Header: Depth=1
	ds_load_2addr_stride64_b32 v[8:9], v7 offset1:2
	ds_load_2addr_stride64_b32 v[10:11], v7 offset0:4 offset1:6
	ds_load_2addr_stride64_b32 v[12:13], v7 offset0:8 offset1:10
	;; [unrolled: 1-line block ×7, first 2 shown]
	s_add_co_i32 s24, s24, 16
	v_add_nc_u32_e32 v6, -8, v6
	s_wait_dscnt 0x7
	v_pk_mul_f32 v[8:9], v[2:3], v[8:9]
	s_wait_dscnt 0x6
	v_pk_mul_f32 v[10:11], v[2:3], v[10:11]
	s_wait_dscnt 0x5
	v_pk_mul_f32 v[12:13], v[2:3], v[12:13]
	s_wait_dscnt 0x4
	v_pk_mul_f32 v[14:15], v[2:3], v[14:15]
	s_wait_dscnt 0x3
	v_pk_mul_f32 v[16:17], v[2:3], v[16:17]
	s_wait_dscnt 0x2
	v_pk_mul_f32 v[22:23], v[2:3], v[22:23]
	s_wait_dscnt 0x1
	v_pk_mul_f32 v[24:25], v[2:3], v[24:25]
	s_wait_dscnt 0x0
	v_pk_mul_f32 v[26:27], v[2:3], v[26:27]
	ds_store_2addr_stride64_b32 v7, v8, v9 offset1:2
	ds_store_2addr_stride64_b32 v7, v10, v11 offset0:4 offset1:6
	ds_store_2addr_stride64_b32 v7, v12, v13 offset0:8 offset1:10
	;; [unrolled: 1-line block ×7, first 2 shown]
	v_mov_b32_e32 v8, s24
	v_cmp_eq_u32_e32 vcc_lo, 0, v6
	v_add_nc_u32_e32 v7, 0x2000, v7
	s_or_b32 s17, vcc_lo, s17
	s_delay_alu instid0(SALU_CYCLE_1)
	s_and_not1_b32 exec_lo, exec_lo, s17
	s_cbranch_execnz .LBB9_28
; %bb.29:
	s_or_b32 exec_lo, exec_lo, s17
.LBB9_30:
	s_delay_alu instid0(SALU_CYCLE_1) | instskip(NEXT) | instid1(VALU_DEP_1)
	s_or_b32 exec_lo, exec_lo, s4
	v_and_b32_e32 v5, 7, v5
	s_mov_b32 s17, 0
	s_mov_b32 s4, exec_lo
	s_delay_alu instid0(VALU_DEP_1)
	v_cmpx_ne_u32_e32 0, v5
	s_cbranch_execz .LBB9_33
; %bb.31:
	v_lshlrev_b32_e32 v6, 9, v8
	v_lshlrev_b32_e32 v7, 2, v0
	s_delay_alu instid0(VALU_DEP_1)
	v_add3_u32 v6, v6, v7, 0xa0
.LBB9_32:                               ; =>This Inner Loop Header: Depth=1
	ds_load_2addr_stride64_b32 v[8:9], v6 offset1:2
	v_add_nc_u32_e32 v5, -1, v5
	s_delay_alu instid0(VALU_DEP_1)
	v_cmp_eq_u32_e32 vcc_lo, 0, v5
	s_or_b32 s17, vcc_lo, s17
	s_wait_dscnt 0x0
	v_pk_mul_f32 v[8:9], v[2:3], v[8:9]
	ds_store_2addr_stride64_b32 v6, v8, v9 offset1:2
	v_add_nc_u32_e32 v6, 0x400, v6
	s_and_not1_b32 exec_lo, exec_lo, s17
	s_cbranch_execnz .LBB9_32
.LBB9_33:
	s_or_b32 exec_lo, exec_lo, s4
	v_add_nc_u32_e32 v3, 1, v4
	s_delay_alu instid0(VALU_DEP_1) | instskip(NEXT) | instid1(VALU_DEP_1)
	v_and_b32_e32 v4, 0x3fffffe, v3
	v_cmp_ne_u32_e32 vcc_lo, v3, v4
	v_lshl_add_u32 v3, v4, 7, v0
	s_or_not1_b32 s4, vcc_lo, exec_lo
.LBB9_34:
	s_or_b32 exec_lo, exec_lo, s1
	s_delay_alu instid0(SALU_CYCLE_1)
	s_and_b32 exec_lo, exec_lo, s4
	s_cbranch_execz .LBB9_37
; %bb.35:
	v_lshl_add_u32 v4, v3, 2, 0xa0
	s_mov_b32 s1, 0
.LBB9_36:                               ; =>This Inner Loop Header: Depth=1
	ds_load_b32 v5, v4
	v_add_nc_u32_e32 v3, 0x80, v3
	s_delay_alu instid0(VALU_DEP_1)
	v_cmp_le_i32_e32 vcc_lo, s5, v3
	s_or_b32 s1, vcc_lo, s1
	s_wait_dscnt 0x0
	v_mul_f32_e32 v5, v2, v5
	ds_store_b32 v4, v5
	v_add_nc_u32_e32 v4, 0x200, v4
	s_and_not1_b32 exec_lo, exec_lo, s1
	s_cbranch_execnz .LBB9_36
.LBB9_37:
	s_or_b32 exec_lo, exec_lo, s0
	v_dual_mov_b32 v15, 0 :: v_dual_bitop2_b32 v22, 1, v0 bitop3:0x40
	v_mov_b32_e32 v14, 0
	s_wait_dscnt 0x0
	s_barrier_signal -1
	s_barrier_wait -1
	s_and_saveexec_b32 s1, s3
	s_cbranch_execz .LBB9_45
; %bb.38:
	v_dual_lshlrev_b32 v2, 2, v0 :: v_dual_lshlrev_b32 v3, 4, v0
	s_ashr_i32 s17, s16, 31
	s_lshl_b64 s[12:13], s[12:13], 2
	s_lshl_b64 s[16:17], s[16:17], 2
	s_delay_alu instid0(VALU_DEP_1)
	v_dual_mov_b32 v15, 0 :: v_dual_bitop2_b32 v2, 4, v2 bitop3:0x40
	v_and_b32_e32 v14, 0x1f0, v3
	s_wait_kmcnt 0x0
	s_add_nc_u64 s[16:17], s[18:19], s[16:17]
	v_lshlrev_b32_e32 v3, 4, v22
	s_add_nc_u64 s[12:13], s[14:15], s[12:13]
	v_lshl_or_b32 v23, v1, 3, v2
	v_add_nc_u64_e32 v[16:17], s[16:17], v[14:15]
	v_and_b32_e32 v14, 0x7c, v18
	s_ashr_i32 s5, s9, 31
	s_mov_b32 s4, s9
	s_add_co_i32 s3, s8, -1
	s_mov_b32 s9, 0
	v_add_nc_u64_e32 v[18:19], s[12:13], v[14:15]
	v_mov_b32_e32 v14, v15
	v_lshl_or_b32 v3, v1, 5, v3
	v_mov_b32_e32 v25, v1
	s_mov_b32 s12, s23
	s_delay_alu instid0(VALU_DEP_2)
	v_add_nc_u32_e32 v24, 0xa0, v3
	s_branch .LBB9_40
.LBB9_39:                               ;   in Loop: Header=BB9_40 Depth=1
	s_or_b32 exec_lo, exec_lo, s0
	s_wait_loadcnt_dscnt 0x0
	v_pk_mul_f32 v[10:11], v[6:7], v[10:11]
	v_pk_mul_f32 v[12:13], v[8:9], v[12:13]
	v_mul_f32_e32 v2, v6, v2
	v_add_nc_u64_e32 v[18:19], 16, v[18:19]
	v_dual_add_nc_u32 v25, 4, v25 :: v_dual_add_nc_u32 v23, 32, v23
	v_add_nc_u32_e32 v24, 0x80, v24
	s_delay_alu instid0(VALU_DEP_4) | instskip(SKIP_1) | instid1(VALU_DEP_4)
	v_fmac_f32_e32 v2, v7, v3
	v_add_f32_e32 v3, v11, v10
	v_cmp_le_i32_e32 vcc_lo, s8, v25
	s_delay_alu instid0(VALU_DEP_3) | instskip(NEXT) | instid1(VALU_DEP_3)
	v_fmac_f32_e32 v2, v8, v4
	v_add_f32_e32 v3, v12, v3
	s_or_b32 s9, vcc_lo, s9
	s_delay_alu instid0(VALU_DEP_2) | instskip(NEXT) | instid1(VALU_DEP_1)
	v_fmac_f32_e32 v2, v9, v5
	v_dual_add_f32 v3, v13, v3 :: v_dual_add_f32 v14, v14, v2
	s_delay_alu instid0(VALU_DEP_1)
	v_add_f32_e32 v15, v15, v3
	s_and_not1_b32 exec_lo, exec_lo, s9
	s_cbranch_execz .LBB9_44
.LBB9_40:                               ; =>This Inner Loop Header: Depth=1
	global_load_b32 v2, v[18:19], off
	ds_load_b128 v[6:9], v24
	v_cmp_eq_u32_e32 vcc_lo, s3, v25
	v_or_b32_e32 v27, 3, v23
	v_dual_add_nc_u32 v28, 1, v23 :: v_dual_bitop2_b32 v26, 2, v23 bitop3:0x54
	s_wait_loadcnt 0x0
	v_ashrrev_i32_e32 v3, 31, v2
	s_delay_alu instid0(VALU_DEP_1) | instskip(NEXT) | instid1(VALU_DEP_1)
	v_mul_u64_e32 v[2:3], s[4:5], v[2:3]
	v_lshl_add_u64 v[10:11], v[2:3], 2, v[16:17]
	global_load_b128 v[2:5], v[10:11], off
	s_wait_xcnt 0x0
	s_and_saveexec_b32 s13, vcc_lo
	s_cbranch_execz .LBB9_42
; %bb.41:                               ;   in Loop: Header=BB9_40 Depth=1
	v_cmp_gt_i32_e64 s0, s12, v28
	s_wait_loadcnt 0x0
	s_delay_alu instid0(VALU_DEP_1) | instskip(SKIP_1) | instid1(VALU_DEP_1)
	v_cndmask_b32_e64 v3, 0, v3, s0
	v_cmp_gt_i32_e64 s0, s23, v23
	v_cndmask_b32_e64 v2, 0, v2, s0
	v_cmp_gt_i32_e64 s0, s12, v27
	s_delay_alu instid0(VALU_DEP_1) | instskip(SKIP_1) | instid1(VALU_DEP_1)
	v_cndmask_b32_e64 v5, 0, v5, s0
	v_cmp_gt_i32_e64 s0, s23, v26
	v_cndmask_b32_e64 v4, 0, v4, s0
.LBB9_42:                               ;   in Loop: Header=BB9_40 Depth=1
	s_or_b32 exec_lo, exec_lo, s13
	global_load_b128 v[10:13], v[10:11], off offset:512
	s_wait_xcnt 0x0
	s_and_saveexec_b32 s0, vcc_lo
	s_cbranch_execz .LBB9_39
; %bb.43:                               ;   in Loop: Header=BB9_40 Depth=1
	v_cmp_gt_i32_e32 vcc_lo, s12, v28
	s_wait_loadcnt 0x0
	v_cndmask_b32_e32 v11, 0, v11, vcc_lo
	v_cmp_gt_i32_e32 vcc_lo, s23, v23
	v_cndmask_b32_e32 v10, 0, v10, vcc_lo
	v_cmp_gt_i32_e32 vcc_lo, s12, v27
	;; [unrolled: 2-line block ×3, first 2 shown]
	v_cndmask_b32_e32 v12, 0, v12, vcc_lo
	s_branch .LBB9_39
.LBB9_44:
	s_or_b32 exec_lo, exec_lo, s9
.LBB9_45:
	s_delay_alu instid0(SALU_CYCLE_1)
	s_or_b32 exec_lo, exec_lo, s1
	ds_bpermute_b32 v2, v21, v14
	ds_bpermute_b32 v3, v21, v15
	v_lshrrev_b32_e32 v5, 1, v20
	v_and_b32_e32 v6, 0x3c1, v0
	s_mov_b32 s0, exec_lo
	s_wait_dscnt 0x0
	s_barrier_signal -1
	v_lshl_add_u32 v4, v5, 2, 0xa0
	s_barrier_wait -1
	v_pk_add_f32 v[2:3], v[14:15], v[2:3]
	v_cmpx_eq_u32_e32 64, v6
	s_cbranch_execz .LBB9_47
; %bb.46:
	v_lshl_add_u32 v1, v1, 7, v4
	s_delay_alu instid0(VALU_DEP_1)
	v_add_nc_u32_e32 v6, 0xffffff00, v1
	v_add_nc_u32_e32 v1, 0xffffff40, v1
	ds_store_b32 v6, v2
	ds_store_b32 v1, v3
.LBB9_47:
	s_or_b32 exec_lo, exec_lo, s0
	v_and_b32_e32 v1, 0x3e0, v0
	v_lshlrev_b32_e32 v5, 2, v5
	s_mov_b32 s1, exec_lo
	v_cmp_eq_u32_e32 vcc_lo, 0, v22
	s_wait_dscnt 0x0
	v_lshlrev_b32_e32 v1, 2, v1
	s_barrier_signal -1
	s_barrier_wait -1
	s_delay_alu instid0(VALU_DEP_1)
	v_add3_u32 v1, 0xa0, v1, v5
	v_cmpx_gt_u32_e32 64, v0
	s_cbranch_execz .LBB9_53
; %bb.48:
	s_and_saveexec_b32 s0, vcc_lo
	s_cbranch_execz .LBB9_50
; %bb.49:
	ds_load_b32 v5, v1
	s_wait_dscnt 0x0
	v_add_f32_e32 v2, v2, v5
.LBB9_50:
	s_or_b32 exec_lo, exec_lo, s0
	s_and_saveexec_b32 s0, vcc_lo
	s_cbranch_execz .LBB9_52
; %bb.51:
	ds_load_b32 v5, v1 offset:64
	s_wait_dscnt 0x0
	v_add_f32_e32 v3, v3, v5
.LBB9_52:
	s_or_b32 exec_lo, exec_lo, s0
.LBB9_53:
	s_delay_alu instid0(SALU_CYCLE_1) | instskip(SKIP_4) | instid1(VALU_DEP_1)
	s_or_b32 exec_lo, exec_lo, s1
	v_and_b32_e32 v5, 0x3e1, v0
	s_mov_b32 s1, exec_lo
	s_barrier_signal -1
	s_barrier_wait -1
	v_cmpx_eq_u32_e32 32, v5
; %bb.54:
	ds_store_2addr_b32 v4, v2, v3 offset1:16
; %bb.55:
	s_or_b32 exec_lo, exec_lo, s1
	s_wait_dscnt 0x0
	s_barrier_signal -1
	s_barrier_wait -1
	s_and_saveexec_b32 s0, s2
	s_cbranch_execz .LBB9_61
; %bb.56:
	s_and_saveexec_b32 s1, vcc_lo
	s_cbranch_execz .LBB9_58
; %bb.57:
	ds_load_b32 v4, v1
	s_wait_dscnt 0x0
	v_add_f32_e32 v2, v2, v4
.LBB9_58:
	s_or_b32 exec_lo, exec_lo, s1
	s_and_saveexec_b32 s1, vcc_lo
	s_cbranch_execz .LBB9_60
; %bb.59:
	ds_load_b32 v1, v1 offset:64
	s_wait_dscnt 0x0
	v_add_f32_e32 v3, v3, v1
.LBB9_60:
	s_or_b32 exec_lo, exec_lo, s1
.LBB9_61:
	s_delay_alu instid0(SALU_CYCLE_1)
	s_or_b32 exec_lo, exec_lo, s0
	s_mov_b32 s1, 0
	s_barrier_signal -1
	s_barrier_wait -1
	s_mov_b32 s0, exec_lo
	v_cmpx_eq_u32_e32 0, v5
	s_cbranch_execz .LBB9_63
; %bb.62:
	s_wait_kmcnt 0x0
	s_mul_i32 s0, s22, s7
	s_mul_i32 s2, s7, s6
	;; [unrolled: 1-line block ×3, first 2 shown]
	s_lshr_b32 s6, ttmp7, 16
	s_lshl_b32 s4, s0, 5
	s_bfe_u32 s0, ttmp6, 0x40014
	s_ashr_i32 s5, s4, 31
	s_add_co_i32 s0, s0, 1
	s_ashr_i32 s3, s2, 31
	s_mul_i32 s0, s6, s0
	s_bfe_u32 s7, ttmp6, 0x40008
	s_lshl_b64 s[4:5], s[4:5], 2
	s_lshl_b64 s[2:3], s[2:3], 2
	s_add_co_i32 s7, s7, s0
	s_cmp_eq_u32 s20, 0
	s_add_nc_u64 s[4:5], s[10:11], s[4:5]
	s_cselect_b32 s0, s6, s7
	v_lshlrev_b32_e32 v0, 1, v0
	s_add_nc_u64 s[2:3], s[4:5], s[2:3]
	s_lshl_b32 s0, s0, 7
	s_delay_alu instid0(SALU_CYCLE_1)
	s_add_nc_u64 s[0:1], s[2:3], s[0:1]
	s_clause 0x1
	global_store_b32 v0, v2, s[0:1]
	global_store_b32 v0, v3, s[0:1] offset:64
.LBB9_63:
	s_endpgm
	.section	.rodata,"a",@progbits
	.p2align	6, 0x0
	.amdhsa_kernel _ZN4vllm25paged_attention_v1_kernelIffLi32ELi8ELi128ELNS_18Fp8KVCacheDataTypeE0ELb0EEEvPT_PKS2_PKT0_S8_ifPKiSA_iPKfiiiSC_SC_iiiii
		.amdhsa_group_segment_fixed_size 160
		.amdhsa_private_segment_fixed_size 0
		.amdhsa_kernarg_size 384
		.amdhsa_user_sgpr_count 2
		.amdhsa_user_sgpr_dispatch_ptr 0
		.amdhsa_user_sgpr_queue_ptr 0
		.amdhsa_user_sgpr_kernarg_segment_ptr 1
		.amdhsa_user_sgpr_dispatch_id 0
		.amdhsa_user_sgpr_kernarg_preload_length 0
		.amdhsa_user_sgpr_kernarg_preload_offset 0
		.amdhsa_user_sgpr_private_segment_size 0
		.amdhsa_wavefront_size32 1
		.amdhsa_uses_dynamic_stack 0
		.amdhsa_enable_private_segment 0
		.amdhsa_system_sgpr_workgroup_id_x 1
		.amdhsa_system_sgpr_workgroup_id_y 1
		.amdhsa_system_sgpr_workgroup_id_z 1
		.amdhsa_system_sgpr_workgroup_info 0
		.amdhsa_system_vgpr_workitem_id 0
		.amdhsa_next_free_vgpr 34
		.amdhsa_next_free_sgpr 30
		.amdhsa_named_barrier_count 0
		.amdhsa_reserve_vcc 1
		.amdhsa_float_round_mode_32 0
		.amdhsa_float_round_mode_16_64 0
		.amdhsa_float_denorm_mode_32 3
		.amdhsa_float_denorm_mode_16_64 3
		.amdhsa_fp16_overflow 0
		.amdhsa_memory_ordered 1
		.amdhsa_forward_progress 1
		.amdhsa_inst_pref_size 31
		.amdhsa_round_robin_scheduling 0
		.amdhsa_exception_fp_ieee_invalid_op 0
		.amdhsa_exception_fp_denorm_src 0
		.amdhsa_exception_fp_ieee_div_zero 0
		.amdhsa_exception_fp_ieee_overflow 0
		.amdhsa_exception_fp_ieee_underflow 0
		.amdhsa_exception_fp_ieee_inexact 0
		.amdhsa_exception_int_div_zero 0
	.end_amdhsa_kernel
	.section	.text._ZN4vllm25paged_attention_v1_kernelIffLi32ELi8ELi128ELNS_18Fp8KVCacheDataTypeE0ELb0EEEvPT_PKS2_PKT0_S8_ifPKiSA_iPKfiiiSC_SC_iiiii,"axG",@progbits,_ZN4vllm25paged_attention_v1_kernelIffLi32ELi8ELi128ELNS_18Fp8KVCacheDataTypeE0ELb0EEEvPT_PKS2_PKT0_S8_ifPKiSA_iPKfiiiSC_SC_iiiii,comdat
.Lfunc_end9:
	.size	_ZN4vllm25paged_attention_v1_kernelIffLi32ELi8ELi128ELNS_18Fp8KVCacheDataTypeE0ELb0EEEvPT_PKS2_PKT0_S8_ifPKiSA_iPKfiiiSC_SC_iiiii, .Lfunc_end9-_ZN4vllm25paged_attention_v1_kernelIffLi32ELi8ELi128ELNS_18Fp8KVCacheDataTypeE0ELb0EEEvPT_PKS2_PKT0_S8_ifPKiSA_iPKfiiiSC_SC_iiiii
                                        ; -- End function
	.set _ZN4vllm25paged_attention_v1_kernelIffLi32ELi8ELi128ELNS_18Fp8KVCacheDataTypeE0ELb0EEEvPT_PKS2_PKT0_S8_ifPKiSA_iPKfiiiSC_SC_iiiii.num_vgpr, 34
	.set _ZN4vllm25paged_attention_v1_kernelIffLi32ELi8ELi128ELNS_18Fp8KVCacheDataTypeE0ELb0EEEvPT_PKS2_PKT0_S8_ifPKiSA_iPKfiiiSC_SC_iiiii.num_agpr, 0
	.set _ZN4vllm25paged_attention_v1_kernelIffLi32ELi8ELi128ELNS_18Fp8KVCacheDataTypeE0ELb0EEEvPT_PKS2_PKT0_S8_ifPKiSA_iPKfiiiSC_SC_iiiii.numbered_sgpr, 30
	.set _ZN4vllm25paged_attention_v1_kernelIffLi32ELi8ELi128ELNS_18Fp8KVCacheDataTypeE0ELb0EEEvPT_PKS2_PKT0_S8_ifPKiSA_iPKfiiiSC_SC_iiiii.num_named_barrier, 0
	.set _ZN4vllm25paged_attention_v1_kernelIffLi32ELi8ELi128ELNS_18Fp8KVCacheDataTypeE0ELb0EEEvPT_PKS2_PKT0_S8_ifPKiSA_iPKfiiiSC_SC_iiiii.private_seg_size, 0
	.set _ZN4vllm25paged_attention_v1_kernelIffLi32ELi8ELi128ELNS_18Fp8KVCacheDataTypeE0ELb0EEEvPT_PKS2_PKT0_S8_ifPKiSA_iPKfiiiSC_SC_iiiii.uses_vcc, 1
	.set _ZN4vllm25paged_attention_v1_kernelIffLi32ELi8ELi128ELNS_18Fp8KVCacheDataTypeE0ELb0EEEvPT_PKS2_PKT0_S8_ifPKiSA_iPKfiiiSC_SC_iiiii.uses_flat_scratch, 0
	.set _ZN4vllm25paged_attention_v1_kernelIffLi32ELi8ELi128ELNS_18Fp8KVCacheDataTypeE0ELb0EEEvPT_PKS2_PKT0_S8_ifPKiSA_iPKfiiiSC_SC_iiiii.has_dyn_sized_stack, 0
	.set _ZN4vllm25paged_attention_v1_kernelIffLi32ELi8ELi128ELNS_18Fp8KVCacheDataTypeE0ELb0EEEvPT_PKS2_PKT0_S8_ifPKiSA_iPKfiiiSC_SC_iiiii.has_recursion, 0
	.set _ZN4vllm25paged_attention_v1_kernelIffLi32ELi8ELi128ELNS_18Fp8KVCacheDataTypeE0ELb0EEEvPT_PKS2_PKT0_S8_ifPKiSA_iPKfiiiSC_SC_iiiii.has_indirect_call, 0
	.section	.AMDGPU.csdata,"",@progbits
; Kernel info:
; codeLenInByte = 3852
; TotalNumSgprs: 32
; NumVgprs: 34
; ScratchSize: 0
; MemoryBound: 0
; FloatMode: 240
; IeeeMode: 1
; LDSByteSize: 160 bytes/workgroup (compile time only)
; SGPRBlocks: 0
; VGPRBlocks: 2
; NumSGPRsForWavesPerEU: 32
; NumVGPRsForWavesPerEU: 34
; NamedBarCnt: 0
; Occupancy: 16
; WaveLimiterHint : 1
; COMPUTE_PGM_RSRC2:SCRATCH_EN: 0
; COMPUTE_PGM_RSRC2:USER_SGPR: 2
; COMPUTE_PGM_RSRC2:TRAP_HANDLER: 0
; COMPUTE_PGM_RSRC2:TGID_X_EN: 1
; COMPUTE_PGM_RSRC2:TGID_Y_EN: 1
; COMPUTE_PGM_RSRC2:TGID_Z_EN: 1
; COMPUTE_PGM_RSRC2:TIDIG_COMP_CNT: 0
	.section	.text._ZN4vllm25paged_attention_v1_kernelIffLi64ELi8ELi128ELNS_18Fp8KVCacheDataTypeE0ELb0EEEvPT_PKS2_PKT0_S8_ifPKiSA_iPKfiiiSC_SC_iiiii,"axG",@progbits,_ZN4vllm25paged_attention_v1_kernelIffLi64ELi8ELi128ELNS_18Fp8KVCacheDataTypeE0ELb0EEEvPT_PKS2_PKT0_S8_ifPKiSA_iPKfiiiSC_SC_iiiii,comdat
	.protected	_ZN4vllm25paged_attention_v1_kernelIffLi64ELi8ELi128ELNS_18Fp8KVCacheDataTypeE0ELb0EEEvPT_PKS2_PKT0_S8_ifPKiSA_iPKfiiiSC_SC_iiiii ; -- Begin function _ZN4vllm25paged_attention_v1_kernelIffLi64ELi8ELi128ELNS_18Fp8KVCacheDataTypeE0ELb0EEEvPT_PKS2_PKT0_S8_ifPKiSA_iPKfiiiSC_SC_iiiii
	.globl	_ZN4vllm25paged_attention_v1_kernelIffLi64ELi8ELi128ELNS_18Fp8KVCacheDataTypeE0ELb0EEEvPT_PKS2_PKT0_S8_ifPKiSA_iPKfiiiSC_SC_iiiii
	.p2align	8
	.type	_ZN4vllm25paged_attention_v1_kernelIffLi64ELi8ELi128ELNS_18Fp8KVCacheDataTypeE0ELb0EEEvPT_PKS2_PKT0_S8_ifPKiSA_iPKfiiiSC_SC_iiiii,@function
_ZN4vllm25paged_attention_v1_kernelIffLi64ELi8ELi128ELNS_18Fp8KVCacheDataTypeE0ELb0EEEvPT_PKS2_PKT0_S8_ifPKiSA_iPKfiiiSC_SC_iiiii: ; @_ZN4vllm25paged_attention_v1_kernelIffLi64ELi8ELi128ELNS_18Fp8KVCacheDataTypeE0ELb0EEEvPT_PKS2_PKT0_S8_ifPKiSA_iPKfiiiSC_SC_iiiii
; %bb.0:
	s_load_b64 s[10:11], s[0:1], 0x20
	s_bfe_u32 s3, ttmp6, 0x4000c
	s_bfe_u32 s5, ttmp6, 0x40010
	s_and_b32 s4, ttmp7, 0xffff
	s_add_co_i32 s3, s3, 1
	s_add_co_i32 s5, s5, 1
	s_and_b32 s2, ttmp6, 15
	s_bfe_u32 s6, ttmp6, 0x40004
	s_mul_i32 s3, ttmp9, s3
	s_mul_i32 s5, s4, s5
	s_getreg_b32 s20, hwreg(HW_REG_IB_STS2, 6, 4)
	s_add_co_i32 s7, s2, s3
	s_add_co_i32 s6, s6, s5
	s_cmp_eq_u32 s20, 0
	s_clause 0x1
	s_load_b32 s21, s[0:1], 0x80
	s_load_b64 s[2:3], s[0:1], 0x30
	s_cselect_b32 s22, s4, s6
	s_cselect_b32 s4, ttmp9, s7
	s_mov_b32 s13, 0
	s_delay_alu instid0(SALU_CYCLE_1) | instskip(SKIP_2) | instid1(SALU_CYCLE_1)
	s_mov_b32 s24, s13
	s_wait_kmcnt 0x0
	s_abs_i32 s5, s10
	s_cvt_f32_u32 s6, s5
	s_sub_co_i32 s7, 0, s5
	s_delay_alu instid0(SALU_CYCLE_2) | instskip(SKIP_2) | instid1(TRANS32_DEP_1)
	v_rcp_iflag_f32_e32 v1, s6
	s_abs_i32 s8, s21
	v_nop
	v_readfirstlane_b32 s6, v1
	s_mul_f32 s6, s6, 0x4f7ffffe
	s_delay_alu instid0(SALU_CYCLE_3) | instskip(NEXT) | instid1(SALU_CYCLE_3)
	s_cvt_u32_f32 s6, s6
	s_mul_i32 s7, s7, s6
	s_delay_alu instid0(SALU_CYCLE_1) | instskip(NEXT) | instid1(SALU_CYCLE_1)
	s_mul_hi_u32 s7, s6, s7
	s_add_co_i32 s6, s6, s7
	s_xor_b32 s7, s21, s10
	s_mul_hi_u32 s6, s8, s6
	s_ashr_i32 s7, s7, 31
	s_mul_i32 s9, s6, s5
	s_delay_alu instid0(SALU_CYCLE_1)
	s_sub_co_i32 s8, s8, s9
	s_add_co_i32 s9, s6, 1
	s_sub_co_i32 s10, s8, s5
	s_cmp_ge_u32 s8, s5
	s_cselect_b32 s6, s9, s6
	s_cselect_b32 s8, s10, s8
	s_add_co_i32 s9, s6, 1
	s_cmp_ge_u32 s8, s5
	s_cselect_b32 s5, s9, s6
	s_load_b64 s[8:9], s[0:1], 0x40
	s_xor_b32 s5, s5, s7
	s_abs_i32 s12, s4
	s_sub_co_i32 s14, s5, s7
	s_mov_b32 s7, s13
	s_abs_i32 s16, s14
	s_delay_alu instid0(SALU_CYCLE_1) | instskip(SKIP_1) | instid1(SALU_CYCLE_2)
	s_cvt_f32_u32 s5, s16
	s_sub_co_i32 s6, 0, s16
	v_rcp_iflag_f32_e32 v1, s5
	v_nop
	s_delay_alu instid0(TRANS32_DEP_1) | instskip(SKIP_1) | instid1(SALU_CYCLE_3)
	v_readfirstlane_b32 s5, v1
	s_mul_f32 s5, s5, 0x4f7ffffe
	s_cvt_u32_f32 s5, s5
	s_delay_alu instid0(SALU_CYCLE_3) | instskip(NEXT) | instid1(SALU_CYCLE_1)
	s_mul_i32 s6, s6, s5
	s_mul_hi_u32 s6, s5, s6
	s_delay_alu instid0(SALU_CYCLE_1)
	s_add_co_i32 s6, s5, s6
	s_wait_kmcnt 0x0
	s_cmp_eq_u64 s[8:9], 0
	s_cbranch_scc1 .LBB10_2
; %bb.1:
	s_ashr_i32 s5, s4, 31
	s_delay_alu instid0(SALU_CYCLE_1) | instskip(NEXT) | instid1(SALU_CYCLE_1)
	s_lshl_b64 s[18:19], s[4:5], 2
	s_add_nc_u64 s[8:9], s[8:9], s[18:19]
	s_load_b32 s24, s[8:9], 0x0
.LBB10_2:
	s_load_b32 s23, s[2:3], s22 offset:0x0 scale_offset
	s_wait_xcnt 0x0
	s_load_b96 s[8:10], s[0:1], 0x48
	v_and_b32_e32 v20, 3, v0
	v_cmp_gt_u32_e64 s2, 64, v0
	s_ashr_i32 s3, s4, 31
	s_ashr_i32 s5, s14, 31
	s_mul_u64 s[14:15], s[12:13], s[6:7]
	s_lshl_b32 s6, s4, 6
	s_and_saveexec_b32 s4, s2
	s_cbranch_execz .LBB10_4
; %bb.3:
	s_load_b64 s[18:19], s[0:1], 0x8
	s_wait_kmcnt 0x0
	s_mul_i32 s26, s8, s22
	s_ashr_i32 s7, s6, 31
	s_ashr_i32 s27, s26, 31
	v_and_b32_e32 v2, 0x3fc, v0
	s_lshl_b64 s[26:27], s[26:27], 2
	s_delay_alu instid0(VALU_DEP_1) | instskip(SKIP_2) | instid1(SALU_CYCLE_1)
	v_lshl_add_u32 v2, v20, 6, v2
	s_add_nc_u64 s[18:19], s[18:19], s[26:27]
	s_lshl_b64 s[26:27], s[6:7], 2
	s_add_nc_u64 s[18:19], s[18:19], s[26:27]
	global_load_b32 v1, v0, s[18:19] scale_offset
	s_wait_loadcnt 0x0
	ds_store_b32 v2, v1
.LBB10_4:
	s_or_b32 exec_lo, exec_lo, s4
	s_wait_kmcnt 0x0
	s_add_co_i32 s4, s23, 7
	s_load_b32 s7, s[0:1], 0x38
	s_ashr_i32 s8, s4, 31
	s_xor_b32 s3, s3, s5
	s_lshr_b32 s5, s8, 29
	s_mul_i32 s8, s15, s16
	s_add_co_i32 s4, s4, s5
	s_sub_co_i32 s5, s12, s8
	s_ashr_i32 s8, s4, 3
	s_add_co_i32 s4, s15, 1
	s_sub_co_i32 s12, s5, s16
	s_cmp_ge_u32 s5, s16
	v_lshrrev_b32_e32 v1, 5, v0
	s_cselect_b32 s4, s4, s15
	s_cselect_b32 s5, s12, s5
	s_add_co_i32 s12, s4, 1
	s_cmp_ge_u32 s5, s16
	v_mbcnt_lo_u32_b32 v24, -1, 0
	s_cselect_b32 s4, s12, s4
	s_mov_b32 s5, exec_lo
	s_xor_b32 s4, s4, s3
	s_wait_kmcnt 0x0
	s_mul_i32 s12, s7, s22
	s_sub_co_i32 s4, s4, s3
	v_cmp_gt_i32_e64 s3, s8, v1
	s_ashr_i32 s13, s12, 31
	s_wait_dscnt 0x0
	s_barrier_signal -1
	s_barrier_wait -1
                                        ; implicit-def: $vgpr19
                                        ; implicit-def: $vgpr25
	v_cmpx_le_i32_e64 s8, v1
	s_xor_b32 s5, exec_lo, s5
; %bb.5:
	v_dual_mov_b32 v19, 0 :: v_dual_mov_b32 v25, 32
	v_mbcnt_lo_u32_b32 v24, -1, 0
                                        ; implicit-def: $vgpr20
; %bb.6:
	s_or_saveexec_b32 s25, s5
	s_clause 0x1
	s_load_b64 s[14:15], s[0:1], 0x28
	s_load_b32 s7, s[0:1], 0x88
	v_mov_b32_e32 v18, 0xff7fffff
	v_lshrrev_b32_e32 v28, 3, v0
	s_mul_i32 s16, s4, s10
	s_xor_b32 exec_lo, exec_lo, s25
	s_cbranch_execz .LBB10_12
; %bb.7:
	s_load_b64 s[26:27], s[0:1], 0x10
	v_dual_mov_b32 v25, 32 :: v_dual_bitop2_b32 v21, 2, v24 bitop3:0x14
	v_bfe_u32 v29, v0, 2, 3
	v_dual_mov_b32 v19, 0 :: v_dual_bitop2_b32 v22, 1, v24 bitop3:0x14
	v_lshlrev_b32_e32 v14, 6, v20
	s_delay_alu instid0(VALU_DEP_4)
	v_cmp_gt_i32_e64 s4, 32, v21
	s_ashr_i32 s17, s16, 31
	v_lshlrev_b32_e32 v18, 4, v29
	s_lshl_b64 s[28:29], s[16:17], 2
	ds_load_b128 v[2:5], v14
	ds_load_b128 v[6:9], v14 offset:16
	ds_load_b128 v[10:13], v14 offset:32
	;; [unrolled: 1-line block ×3, first 2 shown]
	v_cndmask_b32_e64 v21, v24, v21, s4
	v_cmp_gt_i32_e64 s4, 32, v22
	v_lshlrev_b32_e32 v30, 2, v29
	s_ashr_i32 s19, s9, 31
	s_cmp_neq_f32 s24, 0
	v_cmp_eq_u32_e32 vcc_lo, 0, v20
	v_dual_cndmask_b32 v27, v24, v22, s4 :: v_dual_lshlrev_b32 v26, 2, v21
	s_wait_kmcnt 0x0
	s_add_nc_u64 s[26:27], s[26:27], s[28:29]
	s_cselect_b32 s4, -1, 0
	v_add_nc_u64_e32 v[22:23], s[26:27], v[18:19]
	v_lshlrev_b32_e32 v18, 2, v20
	s_lshl_b64 s[26:27], s[12:13], 2
	v_lshl_or_b32 v30, v1, 5, v30
	s_add_nc_u64 s[26:27], s[14:15], s[26:27]
	v_lshlrev_b32_e32 v27, 2, v27
	v_lshl_or_b32 v29, v1, 3, v29
	v_add_nc_u64_e32 v[20:21], v[22:23], v[18:19]
	v_and_b32_e32 v18, 0x7c, v28
	v_dual_mov_b32 v31, v1 :: v_dual_add_nc_u32 v30, 0x120, v30
	s_mov_b32 s18, s9
	s_mov_b32 s10, 0
	s_delay_alu instid0(VALU_DEP_2)
	v_add_nc_u64_e32 v[22:23], s[26:27], v[18:19]
	v_mov_b32_e32 v18, 0xff7fffff
	s_sub_co_i32 s17, 1, s23
	s_branch .LBB10_9
.LBB10_8:                               ;   in Loop: Header=BB10_9 Depth=1
	s_or_b32 exec_lo, exec_lo, s26
	v_dual_add_nc_u32 v31, 4, v31 :: v_dual_add_nc_u32 v29, 32, v29
	v_add_nc_u64_e32 v[22:23], 16, v[22:23]
	v_add_nc_u32_e32 v30, 0x80, v30
	s_delay_alu instid0(VALU_DEP_3) | instskip(SKIP_1) | instid1(SALU_CYCLE_1)
	v_cmp_le_i32_e64 s5, s8, v31
	s_or_b32 s10, s5, s10
	s_and_not1_b32 exec_lo, exec_lo, s10
	s_cbranch_execz .LBB10_11
.LBB10_9:                               ; =>This Inner Loop Header: Depth=1
	global_load_b32 v32, v[22:23], off
	s_wait_loadcnt_dscnt 0x0
	v_ashrrev_i32_e32 v33, 31, v32
	s_delay_alu instid0(VALU_DEP_1) | instskip(NEXT) | instid1(VALU_DEP_1)
	v_mul_u64_e32 v[32:33], s[18:19], v[32:33]
	v_lshl_add_u64 v[32:33], v[32:33], 2, v[20:21]
	s_clause 0xf
	global_load_b32 v34, v[32:33], off offset:128
	global_load_b32 v35, v[32:33], off
	global_load_b32 v36, v[32:33], off offset:256
	global_load_b32 v37, v[32:33], off offset:384
	;; [unrolled: 1-line block ×14, first 2 shown]
	s_wait_loadcnt_dscnt 0xf03
	s_wait_xcnt 0x0
	v_mul_f32_e32 v33, v3, v34
	s_wait_loadcnt 0xe
	s_delay_alu instid0(VALU_DEP_1) | instskip(SKIP_1) | instid1(VALU_DEP_1)
	v_fmac_f32_e32 v33, v2, v35
	s_wait_loadcnt 0xd
	v_fmac_f32_e32 v33, v4, v36
	s_wait_loadcnt 0xc
	s_delay_alu instid0(VALU_DEP_1) | instskip(SKIP_1) | instid1(VALU_DEP_1)
	v_fmac_f32_e32 v33, v5, v37
	s_wait_loadcnt_dscnt 0xb02
	v_fmac_f32_e32 v33, v6, v38
	s_wait_loadcnt 0xa
	s_delay_alu instid0(VALU_DEP_1) | instskip(SKIP_1) | instid1(VALU_DEP_1)
	v_fmac_f32_e32 v33, v7, v39
	s_wait_loadcnt 0x9
	v_fmac_f32_e32 v33, v8, v40
	s_wait_loadcnt 0x8
	s_delay_alu instid0(VALU_DEP_1) | instskip(SKIP_1) | instid1(VALU_DEP_1)
	v_fmac_f32_e32 v33, v9, v41
	s_wait_loadcnt_dscnt 0x701
	v_fmac_f32_e32 v33, v10, v42
	;; [unrolled: 10-line block ×3, first 2 shown]
	s_wait_loadcnt 0x2
	s_delay_alu instid0(VALU_DEP_1) | instskip(SKIP_1) | instid1(VALU_DEP_1)
	v_fmac_f32_e32 v33, v15, v47
	s_wait_loadcnt 0x1
	v_fmac_f32_e32 v33, v16, v48
	s_wait_loadcnt 0x0
	s_delay_alu instid0(VALU_DEP_1)
	v_fmac_f32_e32 v33, v17, v32
	ds_bpermute_b32 v32, v26, v33
	s_wait_dscnt 0x0
	v_add_f32_e32 v32, v33, v32
	ds_bpermute_b32 v33, v27, v32
	s_and_saveexec_b32 s26, vcc_lo
	s_cbranch_execz .LBB10_8
; %bb.10:                               ;   in Loop: Header=BB10_9 Depth=1
	s_wait_dscnt 0x0
	v_add_f32_e32 v32, v32, v33
	v_add_nc_u32_e32 v34, s17, v29
	v_cmp_gt_i32_e64 s5, s23, v29
	s_delay_alu instid0(VALU_DEP_2) | instskip(NEXT) | instid1(VALU_DEP_1)
	v_cvt_f32_i32_e32 v34, v34
	v_mul_f32_e32 v34, s24, v34
	s_delay_alu instid0(VALU_DEP_1) | instskip(NEXT) | instid1(VALU_DEP_1)
	v_cndmask_b32_e64 v33, 0, v34, s4
	v_dual_max_num_f32 v34, v18, v18 :: v_dual_fmac_f32 v33, s11, v32
	s_delay_alu instid0(VALU_DEP_1) | instskip(NEXT) | instid1(VALU_DEP_1)
	v_dual_max_num_f32 v32, v34, v33 :: v_dual_cndmask_b32 v33, 0, v33, s5
	v_cndmask_b32_e64 v18, v18, v32, s5
	ds_store_b32 v30, v33
	s_branch .LBB10_8
.LBB10_11:
	s_or_b32 exec_lo, exec_lo, s10
.LBB10_12:
	s_delay_alu instid0(SALU_CYCLE_1)
	s_or_b32 exec_lo, exec_lo, s25
	v_dual_max_num_f32 v5, v18, v18 :: v_dual_bitop2_b32 v2, 16, v24 bitop3:0x14
	s_clause 0x1
	s_load_b64 s[10:11], s[0:1], 0x0
	s_load_b64 s[18:19], s[0:1], 0x18
	v_and_b32_e32 v30, 31, v0
	v_xor_b32_e32 v4, 8, v24
	v_cmp_lt_i32_e32 vcc_lo, v2, v25
	v_cndmask_b32_e32 v2, v24, v2, vcc_lo
	s_delay_alu instid0(VALU_DEP_3) | instskip(NEXT) | instid1(VALU_DEP_2)
	v_cmp_lt_i32_e32 vcc_lo, v4, v25
	v_dual_lshlrev_b32 v2, 2, v2 :: v_dual_cndmask_b32 v4, v24, v4, vcc_lo
	ds_bpermute_b32 v3, v2, v18
	s_wait_dscnt 0x0
	v_dual_max_num_f32 v6, v3, v3 :: v_dual_lshlrev_b32 v3, 2, v4
	s_delay_alu instid0(VALU_DEP_1) | instskip(SKIP_4) | instid1(VALU_DEP_1)
	v_dual_max_num_f32 v4, v5, v6 :: v_dual_bitop2_b32 v6, 4, v24 bitop3:0x14
	ds_bpermute_b32 v5, v3, v4
	v_cmp_lt_i32_e32 vcc_lo, v6, v25
	v_cndmask_b32_e32 v6, v24, v6, vcc_lo
	s_wait_dscnt 0x0
	v_dual_max_num_f32 v5, v5, v5 :: v_dual_lshlrev_b32 v6, 2, v6
	s_delay_alu instid0(VALU_DEP_1)
	v_max_num_f32_e32 v5, v4, v5
	v_lshlrev_b32_e32 v4, 2, v1
	v_cmp_eq_u32_e32 vcc_lo, 0, v30
	ds_bpermute_b32 v7, v6, v5
	s_wait_xcnt 0x0
	s_and_saveexec_b32 s0, vcc_lo
	s_cbranch_execz .LBB10_14
; %bb.13:
	s_wait_dscnt 0x0
	v_dual_max_num_f32 v7, v7, v7 :: v_dual_max_num_f32 v5, v5, v5
	s_delay_alu instid0(VALU_DEP_1)
	v_max_num_f32_e32 v5, v5, v7
	ds_store_b32 v4, v5 offset:256
.LBB10_14:
	s_or_b32 exec_lo, exec_lo, s0
	v_cmp_gt_u32_e64 s0, 4, v30
	v_dual_mov_b32 v8, 0xff7fffff :: v_dual_lshlrev_b32 v5, 2, v30
	s_wait_dscnt 0x0
	s_barrier_signal -1
	s_barrier_wait -1
	s_and_saveexec_b32 s1, s0
; %bb.15:
	ds_load_b32 v8, v5 offset:256
; %bb.16:
	s_or_b32 exec_lo, exec_lo, s1
	v_xor_b32_e32 v10, 1, v24
	v_xor_b32_e32 v7, 2, v24
	s_delay_alu instid0(VALU_DEP_1) | instskip(NEXT) | instid1(VALU_DEP_1)
	v_cmp_lt_i32_e64 s1, v7, v25
	v_cndmask_b32_e64 v7, v24, v7, s1
	s_delay_alu instid0(VALU_DEP_1) | instskip(SKIP_4) | instid1(VALU_DEP_1)
	v_lshlrev_b32_e32 v7, 2, v7
	s_wait_dscnt 0x0
	ds_bpermute_b32 v9, v7, v8
	s_wait_dscnt 0x0
	v_dual_max_num_f32 v8, v8, v8 :: v_dual_max_num_f32 v9, v9, v9
	v_max_num_f32_e32 v8, v8, v9
	v_cmp_lt_i32_e64 s1, v10, v25
	s_delay_alu instid0(VALU_DEP_1) | instskip(SKIP_1) | instid1(SALU_CYCLE_1)
	v_cndmask_b32_e64 v10, v24, v10, s1
	s_lshl_b32 s1, s8, 3
	s_min_i32 s5, s1, s23
	s_delay_alu instid0(VALU_DEP_1) | instskip(SKIP_4) | instid1(VALU_DEP_1)
	v_lshlrev_b32_e32 v31, 2, v10
	v_cmp_gt_i32_e64 s1, s5, v0
	ds_bpermute_b32 v9, v31, v8
	s_wait_dscnt 0x0
	v_max_num_f32_e32 v9, v9, v9
	v_dual_max_num_f32 v8, v8, v9 :: v_dual_lshlrev_b32 v9, 2, v19
	ds_bpermute_b32 v9, v9, v8
	v_mov_b32_e32 v8, 0
	s_and_saveexec_b32 s17, s1
	s_cbranch_execz .LBB10_20
; %bb.17:
	v_lshl_add_u32 v10, v0, 2, 0x120
	v_dual_mov_b32 v8, 0 :: v_dual_mov_b32 v11, v0
	s_mov_b32 s24, 0
.LBB10_18:                              ; =>This Inner Loop Header: Depth=1
	ds_load_b32 v12, v10
	v_add_nc_u32_e32 v11, 0x80, v11
	s_delay_alu instid0(VALU_DEP_1) | instskip(SKIP_3) | instid1(VALU_DEP_1)
	v_cmp_le_i32_e64 s4, s5, v11
	s_or_b32 s24, s4, s24
	s_wait_dscnt 0x0
	v_sub_f32_e32 v12, v12, v9
	v_mul_f32_e32 v12, 0x3fb8aa3b, v12
	s_delay_alu instid0(VALU_DEP_1)
	v_exp_f32_e32 v12, v12
	ds_store_b32 v10, v12
	v_nop
	v_add_f32_e32 v8, v8, v12
	v_add_nc_u32_e32 v10, 0x200, v10
	s_and_not1_b32 exec_lo, exec_lo, s24
	s_cbranch_execnz .LBB10_18
; %bb.19:
	s_or_b32 exec_lo, exec_lo, s24
.LBB10_20:
	s_delay_alu instid0(SALU_CYCLE_1)
	s_or_b32 exec_lo, exec_lo, s17
	ds_bpermute_b32 v2, v2, v8
	s_wait_dscnt 0x0
	v_add_f32_e32 v2, v8, v2
	ds_bpermute_b32 v3, v3, v2
	s_wait_dscnt 0x0
	v_add_f32_e32 v2, v2, v3
	;; [unrolled: 3-line block ×5, first 2 shown]
	s_and_saveexec_b32 s4, vcc_lo
; %bb.21:
	ds_store_b32 v4, v2 offset:272
; %bb.22:
	s_or_b32 exec_lo, exec_lo, s4
	s_wait_dscnt 0x0
	s_barrier_signal -1
	s_barrier_wait -1
	s_and_saveexec_b32 s4, s0
; %bb.23:
	ds_load_b32 v2, v5 offset:272
; %bb.24:
	s_or_b32 exec_lo, exec_lo, s4
	s_wait_dscnt 0x0
	ds_bpermute_b32 v3, v7, v2
	s_wait_dscnt 0x0
	v_dual_lshlrev_b32 v4, 2, v24 :: v_dual_add_f32 v2, v2, v3
	ds_bpermute_b32 v3, v31, v2
	s_wait_dscnt 0x0
	v_add_f32_e32 v2, v2, v3
	v_and_b32_e32 v3, 0xffffff80, v4
	ds_bpermute_b32 v2, v3, v2
	s_and_saveexec_b32 s0, s1
	s_cbranch_execz .LBB10_37
; %bb.25:
	s_wait_dscnt 0x0
	v_add_f32_e32 v2, 0x358637bd, v2
	s_mov_b32 s4, -1
	s_mov_b32 s1, exec_lo
	s_delay_alu instid0(VALU_DEP_1) | instskip(NEXT) | instid1(VALU_DEP_1)
	v_div_scale_f32 v3, null, v2, v2, 1.0
	v_rcp_f32_e32 v5, v3
	v_nop
	s_delay_alu instid0(TRANS32_DEP_1) | instskip(NEXT) | instid1(VALU_DEP_1)
	v_fma_f32 v4, -v3, v5, 1.0
	v_fmac_f32_e32 v5, v4, v5
	v_div_scale_f32 v6, vcc_lo, 1.0, v2, 1.0
	s_delay_alu instid0(VALU_DEP_1) | instskip(NEXT) | instid1(VALU_DEP_1)
	v_mul_f32_e32 v7, v6, v5
	v_fma_f32 v4, -v3, v7, v6
	s_delay_alu instid0(VALU_DEP_1) | instskip(SKIP_1) | instid1(VALU_DEP_2)
	v_fmac_f32_e32 v7, v4, v5
	v_xad_u32 v4, v0, -1, s5
	v_fma_f32 v3, -v3, v7, v6
	s_delay_alu instid0(VALU_DEP_1) | instskip(NEXT) | instid1(VALU_DEP_1)
	v_div_fmas_f32 v3, v3, v5, v7
	v_div_fixup_f32 v2, v3, v2, 1.0
	v_mov_b32_e32 v3, v0
	v_cmpx_lt_u32_e32 0x7f, v4
	s_cbranch_execz .LBB10_34
; %bb.26:
	s_delay_alu instid0(VALU_DEP_3) | instskip(NEXT) | instid1(VALU_DEP_1)
	v_dual_mov_b32 v3, v2 :: v_dual_lshrrev_b32 v4, 7, v4
	v_dual_mov_b32 v8, 0 :: v_dual_add_nc_u32 v5, -1, v4
	s_delay_alu instid0(VALU_DEP_1) | instskip(SKIP_1) | instid1(VALU_DEP_2)
	v_lshrrev_b32_e32 v6, 1, v5
	v_cmp_lt_u32_e32 vcc_lo, 13, v5
	v_add_nc_u32_e32 v5, 1, v6
	s_and_saveexec_b32 s4, vcc_lo
	s_cbranch_execz .LBB10_30
; %bb.27:
	s_delay_alu instid0(VALU_DEP_1)
	v_and_b32_e32 v6, -8, v5
	v_lshl_add_u32 v7, v0, 2, 0x120
	s_mov_b32 s17, 0
	s_mov_b32 s24, 0
.LBB10_28:                              ; =>This Inner Loop Header: Depth=1
	ds_load_2addr_stride64_b32 v[8:9], v7 offset1:2
	ds_load_2addr_stride64_b32 v[10:11], v7 offset0:4 offset1:6
	ds_load_2addr_stride64_b32 v[12:13], v7 offset0:8 offset1:10
	;; [unrolled: 1-line block ×7, first 2 shown]
	s_add_co_i32 s24, s24, 16
	v_add_nc_u32_e32 v6, -8, v6
	s_wait_dscnt 0x7
	v_pk_mul_f32 v[8:9], v[2:3], v[8:9]
	s_wait_dscnt 0x6
	v_pk_mul_f32 v[10:11], v[2:3], v[10:11]
	;; [unrolled: 2-line block ×8, first 2 shown]
	ds_store_2addr_stride64_b32 v7, v8, v9 offset1:2
	ds_store_2addr_stride64_b32 v7, v10, v11 offset0:4 offset1:6
	ds_store_2addr_stride64_b32 v7, v12, v13 offset0:8 offset1:10
	;; [unrolled: 1-line block ×7, first 2 shown]
	v_mov_b32_e32 v8, s24
	v_cmp_eq_u32_e32 vcc_lo, 0, v6
	v_add_nc_u32_e32 v7, 0x2000, v7
	s_or_b32 s17, vcc_lo, s17
	s_delay_alu instid0(SALU_CYCLE_1)
	s_and_not1_b32 exec_lo, exec_lo, s17
	s_cbranch_execnz .LBB10_28
; %bb.29:
	s_or_b32 exec_lo, exec_lo, s17
.LBB10_30:
	s_delay_alu instid0(SALU_CYCLE_1) | instskip(NEXT) | instid1(VALU_DEP_1)
	s_or_b32 exec_lo, exec_lo, s4
	v_and_b32_e32 v5, 7, v5
	s_mov_b32 s17, 0
	s_mov_b32 s4, exec_lo
	s_delay_alu instid0(VALU_DEP_1)
	v_cmpx_ne_u32_e32 0, v5
	s_cbranch_execz .LBB10_33
; %bb.31:
	v_lshlrev_b32_e32 v6, 9, v8
	v_lshlrev_b32_e32 v7, 2, v0
	s_delay_alu instid0(VALU_DEP_1)
	v_add3_u32 v6, v6, v7, 0x120
.LBB10_32:                              ; =>This Inner Loop Header: Depth=1
	ds_load_2addr_stride64_b32 v[8:9], v6 offset1:2
	v_add_nc_u32_e32 v5, -1, v5
	s_delay_alu instid0(VALU_DEP_1)
	v_cmp_eq_u32_e32 vcc_lo, 0, v5
	s_or_b32 s17, vcc_lo, s17
	s_wait_dscnt 0x0
	v_pk_mul_f32 v[8:9], v[2:3], v[8:9]
	ds_store_2addr_stride64_b32 v6, v8, v9 offset1:2
	v_add_nc_u32_e32 v6, 0x400, v6
	s_and_not1_b32 exec_lo, exec_lo, s17
	s_cbranch_execnz .LBB10_32
.LBB10_33:
	s_or_b32 exec_lo, exec_lo, s4
	v_add_nc_u32_e32 v3, 1, v4
	s_delay_alu instid0(VALU_DEP_1) | instskip(NEXT) | instid1(VALU_DEP_1)
	v_and_b32_e32 v4, 0x3fffffe, v3
	v_cmp_ne_u32_e32 vcc_lo, v3, v4
	v_lshl_add_u32 v3, v4, 7, v0
	s_or_not1_b32 s4, vcc_lo, exec_lo
.LBB10_34:
	s_or_b32 exec_lo, exec_lo, s1
	s_delay_alu instid0(SALU_CYCLE_1)
	s_and_b32 exec_lo, exec_lo, s4
	s_cbranch_execz .LBB10_37
; %bb.35:
	v_lshl_add_u32 v4, v3, 2, 0x120
	s_mov_b32 s1, 0
.LBB10_36:                              ; =>This Inner Loop Header: Depth=1
	ds_load_b32 v5, v4
	v_add_nc_u32_e32 v3, 0x80, v3
	s_delay_alu instid0(VALU_DEP_1)
	v_cmp_le_i32_e32 vcc_lo, s5, v3
	s_or_b32 s1, vcc_lo, s1
	s_wait_dscnt 0x0
	v_mul_f32_e32 v5, v2, v5
	ds_store_b32 v4, v5
	v_add_nc_u32_e32 v4, 0x200, v4
	s_and_not1_b32 exec_lo, exec_lo, s1
	s_cbranch_execnz .LBB10_36
.LBB10_37:
	s_or_b32 exec_lo, exec_lo, s0
	v_dual_mov_b32 v23, 0 :: v_dual_bitop2_b32 v32, 1, v0 bitop3:0x40
	s_wait_dscnt 0x0
	s_barrier_signal -1
	s_barrier_wait -1
	s_delay_alu instid0(VALU_DEP_1)
	v_dual_mov_b32 v22, v23 :: v_dual_mov_b32 v25, v23
	v_mov_b32_e32 v24, v23
	s_and_saveexec_b32 s1, s3
	s_cbranch_execz .LBB10_49
; %bb.38:
	v_dual_lshlrev_b32 v2, 2, v0 :: v_dual_lshlrev_b32 v3, 4, v0
	s_ashr_i32 s17, s16, 31
	s_lshl_b64 s[12:13], s[12:13], 2
	s_lshl_b64 s[16:17], s[16:17], 2
	s_delay_alu instid0(VALU_DEP_1)
	v_dual_mov_b32 v23, 0 :: v_dual_bitop2_b32 v2, 4, v2 bitop3:0x40
	v_and_b32_e32 v22, 0x1f0, v3
	s_wait_kmcnt 0x0
	s_add_nc_u64 s[16:17], s[18:19], s[16:17]
	v_lshlrev_b32_e32 v3, 4, v32
	s_add_nc_u64 s[12:13], s[14:15], s[12:13]
	v_lshl_or_b32 v33, v1, 3, v2
	v_add_nc_u64_e32 v[26:27], s[16:17], v[22:23]
	v_and_b32_e32 v22, 0x7c, v28
	v_dual_mov_b32 v24, v23 :: v_dual_mov_b32 v35, v1
	s_ashr_i32 s5, s9, 31
	s_mov_b32 s4, s9
	s_delay_alu instid0(VALU_DEP_2)
	v_add_nc_u64_e32 v[28:29], s[12:13], v[22:23]
	v_mov_b32_e32 v22, v23
	v_lshl_or_b32 v3, v1, 5, v3
	v_mov_b32_e32 v25, v23
	s_add_co_i32 s3, s8, -1
	s_mov_b32 s12, s23
	s_mov_b32 s9, 0
	v_add_nc_u32_e32 v34, 0x120, v3
	s_branch .LBB10_40
.LBB10_39:                              ;   in Loop: Header=BB10_40 Depth=1
	s_or_b32 exec_lo, exec_lo, s0
	s_wait_loadcnt_dscnt 0x200
	v_mul_f32_e32 v10, v6, v10
	s_wait_loadcnt 0x1
	v_mul_f32_e32 v14, v6, v14
	s_wait_loadcnt 0x0
	v_pk_mul_f32 v[18:19], v[6:7], v[18:19]
	v_pk_mul_f32 v[20:21], v[8:9], v[20:21]
	v_add_nc_u64_e32 v[28:29], 16, v[28:29]
	v_fmac_f32_e32 v10, v7, v11
	v_dual_fmac_f32 v14, v7, v15 :: v_dual_mul_f32 v2, v6, v2
	v_add_nc_u32_e32 v34, 0x80, v34
	s_delay_alu instid0(VALU_DEP_3) | instskip(NEXT) | instid1(VALU_DEP_3)
	v_dual_fmac_f32 v10, v8, v12 :: v_dual_add_nc_u32 v35, 4, v35
	v_fmac_f32_e32 v14, v8, v16
	s_delay_alu instid0(VALU_DEP_4) | instskip(SKIP_1) | instid1(VALU_DEP_4)
	v_fmac_f32_e32 v2, v7, v3
	v_add_f32_e32 v3, v19, v18
	v_cmp_le_i32_e32 vcc_lo, s8, v35
	v_add_nc_u32_e32 v33, 32, v33
	v_fmac_f32_e32 v14, v9, v17
	s_delay_alu instid0(VALU_DEP_4) | instskip(SKIP_2) | instid1(VALU_DEP_3)
	v_dual_fmac_f32 v10, v9, v13 :: v_dual_add_f32 v3, v20, v3
	v_fmac_f32_e32 v2, v8, v4
	s_or_b32 s9, vcc_lo, s9
	v_add_f32_e32 v22, v22, v14
	s_delay_alu instid0(VALU_DEP_3) | instskip(SKIP_1) | instid1(VALU_DEP_1)
	v_add_f32_e32 v25, v25, v10
	v_add_f32_e32 v3, v21, v3
	v_dual_fmac_f32 v2, v9, v5 :: v_dual_add_f32 v23, v23, v3
	s_delay_alu instid0(VALU_DEP_1)
	v_add_f32_e32 v24, v24, v2
	s_and_not1_b32 exec_lo, exec_lo, s9
	s_cbranch_execz .LBB10_48
.LBB10_40:                              ; =>This Inner Loop Header: Depth=1
	global_load_b32 v2, v[28:29], off
	ds_load_b128 v[6:9], v34
	v_cmp_eq_u32_e32 vcc_lo, s3, v35
	v_or_b32_e32 v37, 3, v33
	v_dual_add_nc_u32 v38, 1, v33 :: v_dual_bitop2_b32 v36, 2, v33 bitop3:0x54
	s_wait_loadcnt 0x0
	v_ashrrev_i32_e32 v3, 31, v2
	s_delay_alu instid0(VALU_DEP_1) | instskip(NEXT) | instid1(VALU_DEP_1)
	v_mul_u64_e32 v[2:3], s[4:5], v[2:3]
	v_lshl_add_u64 v[18:19], v[2:3], 2, v[26:27]
	global_load_b128 v[2:5], v[18:19], off
	s_wait_xcnt 0x0
	s_and_saveexec_b32 s13, vcc_lo
	s_cbranch_execnz .LBB10_44
; %bb.41:                               ;   in Loop: Header=BB10_40 Depth=1
	s_or_b32 exec_lo, exec_lo, s13
	global_load_b128 v[10:13], v[18:19], off offset:512
	s_wait_xcnt 0x0
	s_and_saveexec_b32 s13, vcc_lo
	s_cbranch_execnz .LBB10_45
.LBB10_42:                              ;   in Loop: Header=BB10_40 Depth=1
	s_or_b32 exec_lo, exec_lo, s13
	global_load_b128 v[14:17], v[18:19], off offset:1024
	s_wait_xcnt 0x0
	s_and_saveexec_b32 s13, vcc_lo
	s_cbranch_execnz .LBB10_46
.LBB10_43:                              ;   in Loop: Header=BB10_40 Depth=1
	s_or_b32 exec_lo, exec_lo, s13
	global_load_b128 v[18:21], v[18:19], off offset:1536
	s_wait_xcnt 0x0
	s_and_saveexec_b32 s0, vcc_lo
	s_cbranch_execz .LBB10_39
	s_branch .LBB10_47
.LBB10_44:                              ;   in Loop: Header=BB10_40 Depth=1
	v_cmp_gt_i32_e64 s0, s12, v38
	s_wait_loadcnt 0x0
	s_delay_alu instid0(VALU_DEP_1) | instskip(SKIP_1) | instid1(VALU_DEP_1)
	v_cndmask_b32_e64 v3, 0, v3, s0
	v_cmp_gt_i32_e64 s0, s23, v33
	v_cndmask_b32_e64 v2, 0, v2, s0
	v_cmp_gt_i32_e64 s0, s12, v37
	s_delay_alu instid0(VALU_DEP_1) | instskip(SKIP_1) | instid1(VALU_DEP_1)
	v_cndmask_b32_e64 v5, 0, v5, s0
	v_cmp_gt_i32_e64 s0, s23, v36
	v_cndmask_b32_e64 v4, 0, v4, s0
	s_or_b32 exec_lo, exec_lo, s13
	global_load_b128 v[10:13], v[18:19], off offset:512
	s_wait_xcnt 0x0
	s_and_saveexec_b32 s13, vcc_lo
	s_cbranch_execz .LBB10_42
.LBB10_45:                              ;   in Loop: Header=BB10_40 Depth=1
	v_cmp_gt_i32_e64 s0, s12, v38
	s_wait_loadcnt 0x0
	s_delay_alu instid0(VALU_DEP_1) | instskip(SKIP_1) | instid1(VALU_DEP_1)
	v_cndmask_b32_e64 v11, 0, v11, s0
	v_cmp_gt_i32_e64 s0, s23, v33
	v_cndmask_b32_e64 v10, 0, v10, s0
	v_cmp_gt_i32_e64 s0, s12, v37
	s_delay_alu instid0(VALU_DEP_1) | instskip(SKIP_1) | instid1(VALU_DEP_1)
	v_cndmask_b32_e64 v13, 0, v13, s0
	v_cmp_gt_i32_e64 s0, s23, v36
	v_cndmask_b32_e64 v12, 0, v12, s0
	s_or_b32 exec_lo, exec_lo, s13
	global_load_b128 v[14:17], v[18:19], off offset:1024
	s_wait_xcnt 0x0
	s_and_saveexec_b32 s13, vcc_lo
	s_cbranch_execz .LBB10_43
.LBB10_46:                              ;   in Loop: Header=BB10_40 Depth=1
	v_cmp_gt_i32_e64 s0, s12, v38
	s_wait_loadcnt 0x0
	s_delay_alu instid0(VALU_DEP_1) | instskip(SKIP_1) | instid1(VALU_DEP_1)
	v_cndmask_b32_e64 v15, 0, v15, s0
	v_cmp_gt_i32_e64 s0, s23, v33
	v_cndmask_b32_e64 v14, 0, v14, s0
	v_cmp_gt_i32_e64 s0, s12, v37
	s_delay_alu instid0(VALU_DEP_1) | instskip(SKIP_1) | instid1(VALU_DEP_1)
	v_cndmask_b32_e64 v17, 0, v17, s0
	v_cmp_gt_i32_e64 s0, s23, v36
	v_cndmask_b32_e64 v16, 0, v16, s0
	s_or_b32 exec_lo, exec_lo, s13
	global_load_b128 v[18:21], v[18:19], off offset:1536
	s_wait_xcnt 0x0
	s_and_saveexec_b32 s0, vcc_lo
	s_cbranch_execz .LBB10_39
.LBB10_47:                              ;   in Loop: Header=BB10_40 Depth=1
	v_cmp_gt_i32_e32 vcc_lo, s12, v38
	s_wait_loadcnt 0x0
	v_cndmask_b32_e32 v19, 0, v19, vcc_lo
	v_cmp_gt_i32_e32 vcc_lo, s23, v33
	v_cndmask_b32_e32 v18, 0, v18, vcc_lo
	v_cmp_gt_i32_e32 vcc_lo, s12, v37
	v_cndmask_b32_e32 v21, 0, v21, vcc_lo
	v_cmp_gt_i32_e32 vcc_lo, s23, v36
	v_cndmask_b32_e32 v20, 0, v20, vcc_lo
	s_branch .LBB10_39
.LBB10_48:
	s_or_b32 exec_lo, exec_lo, s9
.LBB10_49:
	s_delay_alu instid0(SALU_CYCLE_1)
	s_or_b32 exec_lo, exec_lo, s1
	ds_bpermute_b32 v2, v31, v24
	ds_bpermute_b32 v3, v31, v25
	ds_bpermute_b32 v4, v31, v22
	ds_bpermute_b32 v5, v31, v23
	v_and_b32_e32 v6, 0x3c1, v0
	v_lshrrev_b32_e32 v7, 1, v30
	s_mov_b32 s0, exec_lo
	s_wait_dscnt 0x0
	s_barrier_signal -1
	s_barrier_wait -1
	v_pk_add_f32 v[2:3], v[24:25], v[2:3]
	v_cmpx_ne_u32_e32 64, v6
	s_xor_b32 s0, exec_lo, s0
	s_delay_alu instid0(SALU_CYCLE_1)
	s_or_saveexec_b32 s0, s0
	v_pk_add_f32 v[4:5], v[22:23], v[4:5]
	v_lshl_add_u32 v6, v7, 2, 0x120
	v_lshlrev_b32_e32 v1, 8, v1
	s_xor_b32 exec_lo, exec_lo, s0
	s_cbranch_execz .LBB10_51
; %bb.50:
	s_delay_alu instid0(VALU_DEP_1) | instskip(NEXT) | instid1(VALU_DEP_1)
	v_add_nc_u32_e32 v8, v6, v1
	v_add_nc_u32_e32 v9, 0xfffffe00, v8
	;; [unrolled: 1-line block ×5, first 2 shown]
	ds_store_b32 v9, v2
	ds_store_b32 v10, v3
	;; [unrolled: 1-line block ×4, first 2 shown]
.LBB10_51:
	s_or_b32 exec_lo, exec_lo, s0
	v_lshlrev_b32_e32 v7, 2, v7
	v_cmp_eq_u32_e32 vcc_lo, 0, v32
	s_wait_dscnt 0x0
	s_barrier_signal -1
	s_barrier_wait -1
	v_add3_u32 v1, 0x120, v1, v7
	s_and_saveexec_b32 s0, s2
	s_cbranch_execz .LBB10_58
; %bb.52:
	s_and_saveexec_b32 s1, vcc_lo
	s_cbranch_execnz .LBB10_70
; %bb.53:
	s_or_b32 exec_lo, exec_lo, s1
	s_and_saveexec_b32 s1, vcc_lo
	s_cbranch_execnz .LBB10_71
.LBB10_54:
	s_or_b32 exec_lo, exec_lo, s1
	s_and_saveexec_b32 s1, vcc_lo
	s_cbranch_execnz .LBB10_72
.LBB10_55:
	s_or_b32 exec_lo, exec_lo, s1
	s_and_saveexec_b32 s1, vcc_lo
	s_cbranch_execz .LBB10_57
.LBB10_56:
	ds_load_b32 v7, v1 offset:192
	s_wait_dscnt 0x0
	v_add_f32_e32 v5, v5, v7
.LBB10_57:
	s_or_b32 exec_lo, exec_lo, s1
.LBB10_58:
	s_delay_alu instid0(SALU_CYCLE_1) | instskip(SKIP_4) | instid1(VALU_DEP_1)
	s_or_b32 exec_lo, exec_lo, s0
	v_and_b32_e32 v7, 0x3e1, v0
	s_mov_b32 s1, exec_lo
	s_barrier_signal -1
	s_barrier_wait -1
	v_cmpx_eq_u32_e32 32, v7
	s_cbranch_execz .LBB10_60
; %bb.59:
	ds_store_2addr_b32 v6, v2, v3 offset1:16
	ds_store_2addr_b32 v6, v4, v5 offset0:32 offset1:48
.LBB10_60:
	s_or_b32 exec_lo, exec_lo, s1
	s_delay_alu instid0(SALU_CYCLE_1)
	s_mov_b32 s1, exec_lo
	s_wait_dscnt 0x0
	s_barrier_signal -1
	s_barrier_wait -1
	v_cmpx_gt_u32_e32 32, v0
	s_cbranch_execz .LBB10_67
; %bb.61:
	s_and_saveexec_b32 s0, vcc_lo
	s_cbranch_execnz .LBB10_73
; %bb.62:
	s_or_b32 exec_lo, exec_lo, s0
	s_and_saveexec_b32 s0, vcc_lo
	s_cbranch_execnz .LBB10_74
.LBB10_63:
	s_or_b32 exec_lo, exec_lo, s0
	s_and_saveexec_b32 s0, vcc_lo
	s_cbranch_execnz .LBB10_75
.LBB10_64:
	s_or_b32 exec_lo, exec_lo, s0
	s_and_saveexec_b32 s0, vcc_lo
	s_cbranch_execz .LBB10_66
.LBB10_65:
	ds_load_b32 v1, v1 offset:192
	s_wait_dscnt 0x0
	v_add_f32_e32 v5, v5, v1
.LBB10_66:
	s_or_b32 exec_lo, exec_lo, s0
.LBB10_67:
	s_delay_alu instid0(SALU_CYCLE_1)
	s_or_b32 exec_lo, exec_lo, s1
	s_mov_b32 s1, 0
	s_barrier_signal -1
	s_barrier_wait -1
	s_mov_b32 s0, exec_lo
	v_cmpx_eq_u32_e32 0, v7
	s_cbranch_execz .LBB10_69
; %bb.68:
	s_wait_kmcnt 0x0
	s_mul_i32 s0, s22, s7
	s_mul_i32 s2, s7, s6
	s_mul_i32 s0, s0, s21
	s_lshr_b32 s6, ttmp7, 16
	s_lshl_b32 s4, s0, 6
	s_bfe_u32 s0, ttmp6, 0x40014
	s_ashr_i32 s5, s4, 31
	s_add_co_i32 s0, s0, 1
	s_ashr_i32 s3, s2, 31
	s_mul_i32 s0, s6, s0
	s_bfe_u32 s7, ttmp6, 0x40008
	s_lshl_b64 s[4:5], s[4:5], 2
	s_lshl_b64 s[2:3], s[2:3], 2
	s_add_co_i32 s7, s7, s0
	s_cmp_eq_u32 s20, 0
	s_add_nc_u64 s[4:5], s[10:11], s[4:5]
	s_cselect_b32 s0, s6, s7
	v_lshlrev_b32_e32 v0, 1, v0
	s_add_nc_u64 s[2:3], s[4:5], s[2:3]
	s_lshl_b32 s0, s0, 8
	s_delay_alu instid0(SALU_CYCLE_1)
	s_add_nc_u64 s[0:1], s[2:3], s[0:1]
	s_clause 0x3
	global_store_b32 v0, v2, s[0:1]
	global_store_b32 v0, v3, s[0:1] offset:64
	global_store_b32 v0, v4, s[0:1] offset:128
	;; [unrolled: 1-line block ×3, first 2 shown]
.LBB10_69:
	s_endpgm
.LBB10_70:
	ds_load_b32 v7, v1
	s_wait_dscnt 0x0
	v_add_f32_e32 v2, v2, v7
	s_or_b32 exec_lo, exec_lo, s1
	s_and_saveexec_b32 s1, vcc_lo
	s_cbranch_execz .LBB10_54
.LBB10_71:
	ds_load_b32 v7, v1 offset:64
	s_wait_dscnt 0x0
	v_add_f32_e32 v3, v3, v7
	s_or_b32 exec_lo, exec_lo, s1
	s_and_saveexec_b32 s1, vcc_lo
	s_cbranch_execz .LBB10_55
.LBB10_72:
	ds_load_b32 v7, v1 offset:128
	s_wait_dscnt 0x0
	v_add_f32_e32 v4, v4, v7
	s_or_b32 exec_lo, exec_lo, s1
	s_and_saveexec_b32 s1, vcc_lo
	s_cbranch_execnz .LBB10_56
	s_branch .LBB10_57
.LBB10_73:
	ds_load_b32 v6, v1
	s_wait_dscnt 0x0
	v_add_f32_e32 v2, v2, v6
	s_or_b32 exec_lo, exec_lo, s0
	s_and_saveexec_b32 s0, vcc_lo
	s_cbranch_execz .LBB10_63
.LBB10_74:
	ds_load_b32 v6, v1 offset:64
	s_wait_dscnt 0x0
	v_add_f32_e32 v3, v3, v6
	s_or_b32 exec_lo, exec_lo, s0
	s_and_saveexec_b32 s0, vcc_lo
	s_cbranch_execz .LBB10_64
.LBB10_75:
	ds_load_b32 v6, v1 offset:128
	s_wait_dscnt 0x0
	v_add_f32_e32 v4, v4, v6
	s_or_b32 exec_lo, exec_lo, s0
	s_and_saveexec_b32 s0, vcc_lo
	s_cbranch_execnz .LBB10_65
	s_branch .LBB10_66
	.section	.rodata,"a",@progbits
	.p2align	6, 0x0
	.amdhsa_kernel _ZN4vllm25paged_attention_v1_kernelIffLi64ELi8ELi128ELNS_18Fp8KVCacheDataTypeE0ELb0EEEvPT_PKS2_PKT0_S8_ifPKiSA_iPKfiiiSC_SC_iiiii
		.amdhsa_group_segment_fixed_size 288
		.amdhsa_private_segment_fixed_size 0
		.amdhsa_kernarg_size 384
		.amdhsa_user_sgpr_count 2
		.amdhsa_user_sgpr_dispatch_ptr 0
		.amdhsa_user_sgpr_queue_ptr 0
		.amdhsa_user_sgpr_kernarg_segment_ptr 1
		.amdhsa_user_sgpr_dispatch_id 0
		.amdhsa_user_sgpr_kernarg_preload_length 0
		.amdhsa_user_sgpr_kernarg_preload_offset 0
		.amdhsa_user_sgpr_private_segment_size 0
		.amdhsa_wavefront_size32 1
		.amdhsa_uses_dynamic_stack 0
		.amdhsa_enable_private_segment 0
		.amdhsa_system_sgpr_workgroup_id_x 1
		.amdhsa_system_sgpr_workgroup_id_y 1
		.amdhsa_system_sgpr_workgroup_id_z 1
		.amdhsa_system_sgpr_workgroup_info 0
		.amdhsa_system_vgpr_workitem_id 0
		.amdhsa_next_free_vgpr 49
		.amdhsa_next_free_sgpr 30
		.amdhsa_named_barrier_count 0
		.amdhsa_reserve_vcc 1
		.amdhsa_float_round_mode_32 0
		.amdhsa_float_round_mode_16_64 0
		.amdhsa_float_denorm_mode_32 3
		.amdhsa_float_denorm_mode_16_64 3
		.amdhsa_fp16_overflow 0
		.amdhsa_memory_ordered 1
		.amdhsa_forward_progress 1
		.amdhsa_inst_pref_size 37
		.amdhsa_round_robin_scheduling 0
		.amdhsa_exception_fp_ieee_invalid_op 0
		.amdhsa_exception_fp_denorm_src 0
		.amdhsa_exception_fp_ieee_div_zero 0
		.amdhsa_exception_fp_ieee_overflow 0
		.amdhsa_exception_fp_ieee_underflow 0
		.amdhsa_exception_fp_ieee_inexact 0
		.amdhsa_exception_int_div_zero 0
	.end_amdhsa_kernel
	.section	.text._ZN4vllm25paged_attention_v1_kernelIffLi64ELi8ELi128ELNS_18Fp8KVCacheDataTypeE0ELb0EEEvPT_PKS2_PKT0_S8_ifPKiSA_iPKfiiiSC_SC_iiiii,"axG",@progbits,_ZN4vllm25paged_attention_v1_kernelIffLi64ELi8ELi128ELNS_18Fp8KVCacheDataTypeE0ELb0EEEvPT_PKS2_PKT0_S8_ifPKiSA_iPKfiiiSC_SC_iiiii,comdat
.Lfunc_end10:
	.size	_ZN4vllm25paged_attention_v1_kernelIffLi64ELi8ELi128ELNS_18Fp8KVCacheDataTypeE0ELb0EEEvPT_PKS2_PKT0_S8_ifPKiSA_iPKfiiiSC_SC_iiiii, .Lfunc_end10-_ZN4vllm25paged_attention_v1_kernelIffLi64ELi8ELi128ELNS_18Fp8KVCacheDataTypeE0ELb0EEEvPT_PKS2_PKT0_S8_ifPKiSA_iPKfiiiSC_SC_iiiii
                                        ; -- End function
	.set _ZN4vllm25paged_attention_v1_kernelIffLi64ELi8ELi128ELNS_18Fp8KVCacheDataTypeE0ELb0EEEvPT_PKS2_PKT0_S8_ifPKiSA_iPKfiiiSC_SC_iiiii.num_vgpr, 49
	.set _ZN4vllm25paged_attention_v1_kernelIffLi64ELi8ELi128ELNS_18Fp8KVCacheDataTypeE0ELb0EEEvPT_PKS2_PKT0_S8_ifPKiSA_iPKfiiiSC_SC_iiiii.num_agpr, 0
	.set _ZN4vllm25paged_attention_v1_kernelIffLi64ELi8ELi128ELNS_18Fp8KVCacheDataTypeE0ELb0EEEvPT_PKS2_PKT0_S8_ifPKiSA_iPKfiiiSC_SC_iiiii.numbered_sgpr, 30
	.set _ZN4vllm25paged_attention_v1_kernelIffLi64ELi8ELi128ELNS_18Fp8KVCacheDataTypeE0ELb0EEEvPT_PKS2_PKT0_S8_ifPKiSA_iPKfiiiSC_SC_iiiii.num_named_barrier, 0
	.set _ZN4vllm25paged_attention_v1_kernelIffLi64ELi8ELi128ELNS_18Fp8KVCacheDataTypeE0ELb0EEEvPT_PKS2_PKT0_S8_ifPKiSA_iPKfiiiSC_SC_iiiii.private_seg_size, 0
	.set _ZN4vllm25paged_attention_v1_kernelIffLi64ELi8ELi128ELNS_18Fp8KVCacheDataTypeE0ELb0EEEvPT_PKS2_PKT0_S8_ifPKiSA_iPKfiiiSC_SC_iiiii.uses_vcc, 1
	.set _ZN4vllm25paged_attention_v1_kernelIffLi64ELi8ELi128ELNS_18Fp8KVCacheDataTypeE0ELb0EEEvPT_PKS2_PKT0_S8_ifPKiSA_iPKfiiiSC_SC_iiiii.uses_flat_scratch, 0
	.set _ZN4vllm25paged_attention_v1_kernelIffLi64ELi8ELi128ELNS_18Fp8KVCacheDataTypeE0ELb0EEEvPT_PKS2_PKT0_S8_ifPKiSA_iPKfiiiSC_SC_iiiii.has_dyn_sized_stack, 0
	.set _ZN4vllm25paged_attention_v1_kernelIffLi64ELi8ELi128ELNS_18Fp8KVCacheDataTypeE0ELb0EEEvPT_PKS2_PKT0_S8_ifPKiSA_iPKfiiiSC_SC_iiiii.has_recursion, 0
	.set _ZN4vllm25paged_attention_v1_kernelIffLi64ELi8ELi128ELNS_18Fp8KVCacheDataTypeE0ELb0EEEvPT_PKS2_PKT0_S8_ifPKiSA_iPKfiiiSC_SC_iiiii.has_indirect_call, 0
	.section	.AMDGPU.csdata,"",@progbits
; Kernel info:
; codeLenInByte = 4708
; TotalNumSgprs: 32
; NumVgprs: 49
; ScratchSize: 0
; MemoryBound: 0
; FloatMode: 240
; IeeeMode: 1
; LDSByteSize: 288 bytes/workgroup (compile time only)
; SGPRBlocks: 0
; VGPRBlocks: 3
; NumSGPRsForWavesPerEU: 32
; NumVGPRsForWavesPerEU: 49
; NamedBarCnt: 0
; Occupancy: 16
; WaveLimiterHint : 1
; COMPUTE_PGM_RSRC2:SCRATCH_EN: 0
; COMPUTE_PGM_RSRC2:USER_SGPR: 2
; COMPUTE_PGM_RSRC2:TRAP_HANDLER: 0
; COMPUTE_PGM_RSRC2:TGID_X_EN: 1
; COMPUTE_PGM_RSRC2:TGID_Y_EN: 1
; COMPUTE_PGM_RSRC2:TGID_Z_EN: 1
; COMPUTE_PGM_RSRC2:TIDIG_COMP_CNT: 0
	.section	.text._ZN4vllm25paged_attention_v1_kernelIffLi80ELi8ELi128ELNS_18Fp8KVCacheDataTypeE0ELb0EEEvPT_PKS2_PKT0_S8_ifPKiSA_iPKfiiiSC_SC_iiiii,"axG",@progbits,_ZN4vllm25paged_attention_v1_kernelIffLi80ELi8ELi128ELNS_18Fp8KVCacheDataTypeE0ELb0EEEvPT_PKS2_PKT0_S8_ifPKiSA_iPKfiiiSC_SC_iiiii,comdat
	.protected	_ZN4vllm25paged_attention_v1_kernelIffLi80ELi8ELi128ELNS_18Fp8KVCacheDataTypeE0ELb0EEEvPT_PKS2_PKT0_S8_ifPKiSA_iPKfiiiSC_SC_iiiii ; -- Begin function _ZN4vllm25paged_attention_v1_kernelIffLi80ELi8ELi128ELNS_18Fp8KVCacheDataTypeE0ELb0EEEvPT_PKS2_PKT0_S8_ifPKiSA_iPKfiiiSC_SC_iiiii
	.globl	_ZN4vllm25paged_attention_v1_kernelIffLi80ELi8ELi128ELNS_18Fp8KVCacheDataTypeE0ELb0EEEvPT_PKS2_PKT0_S8_ifPKiSA_iPKfiiiSC_SC_iiiii
	.p2align	8
	.type	_ZN4vllm25paged_attention_v1_kernelIffLi80ELi8ELi128ELNS_18Fp8KVCacheDataTypeE0ELb0EEEvPT_PKS2_PKT0_S8_ifPKiSA_iPKfiiiSC_SC_iiiii,@function
_ZN4vllm25paged_attention_v1_kernelIffLi80ELi8ELi128ELNS_18Fp8KVCacheDataTypeE0ELb0EEEvPT_PKS2_PKT0_S8_ifPKiSA_iPKfiiiSC_SC_iiiii: ; @_ZN4vllm25paged_attention_v1_kernelIffLi80ELi8ELi128ELNS_18Fp8KVCacheDataTypeE0ELb0EEEvPT_PKS2_PKT0_S8_ifPKiSA_iPKfiiiSC_SC_iiiii
; %bb.0:
	s_load_b64 s[6:7], s[0:1], 0x20
	s_bfe_u32 s3, ttmp6, 0x4000c
	s_bfe_u32 s5, ttmp6, 0x40010
	s_and_b32 s4, ttmp7, 0xffff
	s_add_co_i32 s3, s3, 1
	s_add_co_i32 s5, s5, 1
	s_and_b32 s2, ttmp6, 15
	s_bfe_u32 s8, ttmp6, 0x40004
	s_mul_i32 s3, ttmp9, s3
	s_mul_i32 s5, s4, s5
	s_getreg_b32 s18, hwreg(HW_REG_IB_STS2, 6, 4)
	s_add_co_i32 s2, s2, s3
	s_add_co_i32 s3, s8, s5
	s_cmp_eq_u32 s18, 0
	s_clause 0x1
	s_load_b32 s19, s[0:1], 0x80
	s_load_b64 s[8:9], s[0:1], 0x30
	s_cselect_b32 s20, s4, s3
	s_cselect_b32 s2, ttmp9, s2
	s_wait_kmcnt 0x0
	s_abs_i32 s3, s6
	s_delay_alu instid0(SALU_CYCLE_1) | instskip(SKIP_1) | instid1(SALU_CYCLE_2)
	s_cvt_f32_u32 s4, s3
	s_sub_co_i32 s5, 0, s3
	v_rcp_iflag_f32_e32 v1, s4
	s_abs_i32 s10, s19
	v_nop
	s_delay_alu instid0(TRANS32_DEP_1) | instskip(SKIP_1) | instid1(SALU_CYCLE_3)
	v_readfirstlane_b32 s4, v1
	s_mul_f32 s4, s4, 0x4f7ffffe
	s_cvt_u32_f32 s4, s4
	s_delay_alu instid0(SALU_CYCLE_3) | instskip(NEXT) | instid1(SALU_CYCLE_1)
	s_mul_i32 s5, s5, s4
	s_mul_hi_u32 s5, s4, s5
	s_delay_alu instid0(SALU_CYCLE_1) | instskip(SKIP_4) | instid1(SALU_CYCLE_1)
	s_add_co_i32 s4, s4, s5
	s_xor_b32 s5, s19, s6
	s_mul_hi_u32 s4, s10, s4
	s_ashr_i32 s5, s5, 31
	s_mul_i32 s6, s4, s3
	s_sub_co_i32 s6, s10, s6
	s_add_co_i32 s10, s4, 1
	s_sub_co_i32 s11, s6, s3
	s_cmp_ge_u32 s6, s3
	s_cselect_b32 s4, s10, s4
	s_cselect_b32 s6, s11, s6
	s_add_co_i32 s10, s4, 1
	s_cmp_ge_u32 s6, s3
	s_mov_b32 s11, 0
	s_cselect_b32 s3, s10, s4
	s_abs_i32 s10, s2
	s_xor_b32 s3, s3, s5
	s_mov_b32 s13, s11
	s_sub_co_i32 s15, s3, s5
	s_load_b64 s[4:5], s[0:1], 0x40
	s_abs_i32 s14, s15
	s_mov_b32 s23, s11
	s_cvt_f32_u32 s3, s14
	s_sub_co_i32 s6, 0, s14
	s_delay_alu instid0(SALU_CYCLE_2) | instskip(SKIP_1) | instid1(TRANS32_DEP_1)
	v_rcp_iflag_f32_e32 v1, s3
	v_nop
	v_readfirstlane_b32 s3, v1
	s_mul_f32 s3, s3, 0x4f7ffffe
	s_delay_alu instid0(SALU_CYCLE_3) | instskip(NEXT) | instid1(SALU_CYCLE_3)
	s_cvt_u32_f32 s3, s3
	s_mul_i32 s6, s6, s3
	s_delay_alu instid0(SALU_CYCLE_1) | instskip(NEXT) | instid1(SALU_CYCLE_1)
	s_mul_hi_u32 s6, s3, s6
	s_add_co_i32 s12, s3, s6
	s_wait_kmcnt 0x0
	s_cmp_eq_u64 s[4:5], 0
	s_cbranch_scc1 .LBB11_2
; %bb.1:
	s_ashr_i32 s3, s2, 31
	s_delay_alu instid0(SALU_CYCLE_1) | instskip(NEXT) | instid1(SALU_CYCLE_1)
	s_lshl_b64 s[16:17], s[2:3], 2
	s_add_nc_u64 s[4:5], s[4:5], s[16:17]
	s_load_b32 s23, s[4:5], 0x0
.LBB11_2:
	s_load_b32 s21, s[8:9], s20 offset:0x0 scale_offset
	s_wait_xcnt 0x0
	s_load_b96 s[4:6], s[0:1], 0x48
	v_and_b32_e32 v24, 3, v0
	s_ashr_i32 s3, s2, 31
	s_ashr_i32 s15, s15, 31
	s_mul_u64 s[12:13], s[10:11], s[12:13]
	s_mul_i32 s8, s2, 0x50
	s_mov_b32 s2, exec_lo
	v_cmpx_gt_u32_e32 0x50, v0
	s_cbranch_execz .LBB11_4
; %bb.3:
	s_load_b64 s[16:17], s[0:1], 0x8
	s_wait_kmcnt 0x0
	s_mul_i32 s24, s4, s20
	s_ashr_i32 s9, s8, 31
	s_ashr_i32 s25, s24, 31
	v_and_b32_e32 v2, 0x3fc, v0
	s_lshl_b64 s[24:25], s[24:25], 2
	s_delay_alu instid0(VALU_DEP_1) | instskip(SKIP_2) | instid1(SALU_CYCLE_1)
	v_mad_u32_u24 v2, 0x50, v24, v2
	s_add_nc_u64 s[16:17], s[16:17], s[24:25]
	s_lshl_b64 s[24:25], s[8:9], 2
	s_add_nc_u64 s[16:17], s[16:17], s[24:25]
	global_load_b32 v1, v0, s[16:17] scale_offset
	s_wait_loadcnt 0x0
	ds_store_b32 v2, v1
.LBB11_4:
	s_or_b32 exec_lo, exec_lo, s2
	s_wait_kmcnt 0x0
	s_add_co_i32 s2, s21, 7
	s_load_b32 s4, s[0:1], 0x38
	s_ashr_i32 s9, s2, 31
	s_mul_i32 s11, s13, s14
	s_lshr_b32 s9, s9, 29
	s_xor_b32 s3, s3, s15
	s_add_co_i32 s2, s2, s9
	s_sub_co_i32 s9, s10, s11
	s_ashr_i32 s22, s2, 3
	s_add_co_i32 s2, s13, 1
	s_sub_co_i32 s10, s9, s14
	s_cmp_ge_u32 s9, s14
	v_lshrrev_b32_e32 v1, 5, v0
	s_cselect_b32 s2, s2, s13
	s_cselect_b32 s9, s10, s9
	s_add_co_i32 s10, s2, 1
	s_cmp_ge_u32 s9, s14
	v_mbcnt_lo_u32_b32 v28, -1, 0
	s_cselect_b32 s2, s10, s2
	s_wait_dscnt 0x0
	s_xor_b32 s2, s2, s3
	s_wait_kmcnt 0x0
	s_mul_i32 s10, s4, s20
	s_sub_co_i32 s3, s2, s3
	v_cmp_gt_i32_e64 s2, s22, v1
	s_ashr_i32 s11, s10, 31
	s_mov_b32 s4, exec_lo
	s_barrier_signal -1
	s_barrier_wait -1
                                        ; implicit-def: $vgpr23
                                        ; implicit-def: $vgpr29
	v_cmpx_le_i32_e64 s22, v1
	s_xor_b32 s4, exec_lo, s4
; %bb.5:
	v_dual_mov_b32 v23, 0 :: v_dual_mov_b32 v29, 32
	v_mbcnt_lo_u32_b32 v28, -1, 0
                                        ; implicit-def: $vgpr24
; %bb.6:
	s_or_saveexec_b32 s24, s4
	s_clause 0x1
	s_load_b64 s[12:13], s[0:1], 0x28
	s_load_b32 s9, s[0:1], 0x88
	v_mov_b32_e32 v22, 0xff7fffff
	v_lshrrev_b32_e32 v34, 3, v0
	s_mul_i32 s14, s3, s6
	s_xor_b32 exec_lo, exec_lo, s24
	s_cbranch_execz .LBB11_12
; %bb.7:
	s_load_b64 s[26:27], s[0:1], 0x10
	v_bfe_u32 v32, v0, 2, 3
	v_mul_u32_u24_e32 v18, 0x50, v24
	v_xor_b32_e32 v30, 1, v28
	v_xor_b32_e32 v25, 2, v28
	s_ashr_i32 s15, s14, 31
	v_dual_mov_b32 v23, 0 :: v_dual_mov_b32 v29, 32
	v_dual_lshlrev_b32 v22, 4, v32 :: v_dual_lshlrev_b32 v33, 2, v32
	s_lshl_b64 s[28:29], s[14:15], 2
	ds_load_b128 v[2:5], v18
	ds_load_b128 v[6:9], v18 offset:16
	ds_load_b128 v[10:13], v18 offset:32
	;; [unrolled: 1-line block ×4, first 2 shown]
	v_cmp_gt_i32_e64 s3, 32, v25
	s_ashr_i32 s17, s5, 31
	s_cmp_neq_f32 s23, 0
	v_cmp_eq_u32_e32 vcc_lo, 0, v24
	v_lshl_or_b32 v32, v1, 3, v32
	v_cndmask_b32_e64 v25, v28, v25, s3
	v_cmp_gt_i32_e64 s3, 32, v30
	v_mov_b32_e32 v35, v1
	s_wait_kmcnt 0x0
	s_add_nc_u64 s[26:27], s[26:27], s[28:29]
	s_mov_b32 s16, s5
	v_add_nc_u64_e32 v[26:27], s[26:27], v[22:23]
	v_dual_lshlrev_b32 v22, 2, v24 :: v_dual_cndmask_b32 v31, v28, v30, s3
	v_lshlrev_b32_e32 v30, 2, v25
	s_cselect_b32 s3, -1, 0
	s_lshl_b64 s[26:27], s[10:11], 2
	s_mov_b32 s6, 0
	s_delay_alu instid0(VALU_DEP_3)
	v_add_nc_u64_e32 v[24:25], v[26:27], v[22:23]
	v_lshl_or_b32 v26, v1, 5, v33
	v_and_b32_e32 v22, 0x7c, v34
	s_add_nc_u64 s[26:27], s[12:13], s[26:27]
	v_lshlrev_b32_e32 v31, 2, v31
	s_sub_co_i32 s15, 1, s21
	v_add_nc_u32_e32 v33, 0x160, v26
	v_add_nc_u64_e32 v[26:27], s[26:27], v[22:23]
	v_mov_b32_e32 v22, 0xff7fffff
	s_branch .LBB11_9
.LBB11_8:                               ;   in Loop: Header=BB11_9 Depth=1
	s_or_b32 exec_lo, exec_lo, s25
	v_dual_add_nc_u32 v35, 4, v35 :: v_dual_add_nc_u32 v32, 32, v32
	v_add_nc_u64_e32 v[26:27], 16, v[26:27]
	v_add_nc_u32_e32 v33, 0x80, v33
	s_delay_alu instid0(VALU_DEP_3) | instskip(SKIP_1) | instid1(SALU_CYCLE_1)
	v_cmp_le_i32_e64 s4, s22, v35
	s_or_b32 s6, s4, s6
	s_and_not1_b32 exec_lo, exec_lo, s6
	s_cbranch_execz .LBB11_11
.LBB11_9:                               ; =>This Inner Loop Header: Depth=1
	global_load_b32 v36, v[26:27], off
	s_wait_loadcnt_dscnt 0x0
	v_ashrrev_i32_e32 v37, 31, v36
	s_delay_alu instid0(VALU_DEP_1) | instskip(NEXT) | instid1(VALU_DEP_1)
	v_mul_u64_e32 v[36:37], s[16:17], v[36:37]
	v_lshl_add_u64 v[36:37], v[36:37], 2, v[24:25]
	s_clause 0x13
	global_load_b32 v38, v[36:37], off offset:128
	global_load_b32 v39, v[36:37], off
	global_load_b32 v40, v[36:37], off offset:256
	global_load_b32 v41, v[36:37], off offset:384
	global_load_b32 v42, v[36:37], off offset:512
	global_load_b32 v43, v[36:37], off offset:640
	global_load_b32 v44, v[36:37], off offset:768
	global_load_b32 v45, v[36:37], off offset:896
	global_load_b32 v46, v[36:37], off offset:1024
	global_load_b32 v47, v[36:37], off offset:1152
	global_load_b32 v48, v[36:37], off offset:1280
	global_load_b32 v49, v[36:37], off offset:1408
	global_load_b32 v50, v[36:37], off offset:1536
	global_load_b32 v51, v[36:37], off offset:1664
	global_load_b32 v52, v[36:37], off offset:1792
	global_load_b32 v53, v[36:37], off offset:1920
	global_load_b32 v54, v[36:37], off offset:2048
	global_load_b32 v55, v[36:37], off offset:2176
	global_load_b32 v56, v[36:37], off offset:2304
	global_load_b32 v57, v[36:37], off offset:2432
	s_wait_loadcnt_dscnt 0x1304
	s_wait_xcnt 0x0
	v_mul_f32_e32 v36, v3, v38
	s_wait_loadcnt 0x12
	s_delay_alu instid0(VALU_DEP_1) | instskip(SKIP_1) | instid1(VALU_DEP_1)
	v_fmac_f32_e32 v36, v2, v39
	s_wait_loadcnt 0x11
	v_fmac_f32_e32 v36, v4, v40
	s_wait_loadcnt 0x10
	s_delay_alu instid0(VALU_DEP_1) | instskip(SKIP_1) | instid1(VALU_DEP_1)
	v_fmac_f32_e32 v36, v5, v41
	s_wait_loadcnt_dscnt 0xf03
	v_fmac_f32_e32 v36, v6, v42
	s_wait_loadcnt 0xe
	s_delay_alu instid0(VALU_DEP_1) | instskip(SKIP_1) | instid1(VALU_DEP_1)
	v_fmac_f32_e32 v36, v7, v43
	s_wait_loadcnt 0xd
	v_fmac_f32_e32 v36, v8, v44
	s_wait_loadcnt 0xc
	s_delay_alu instid0(VALU_DEP_1) | instskip(SKIP_1) | instid1(VALU_DEP_1)
	v_fmac_f32_e32 v36, v9, v45
	s_wait_loadcnt_dscnt 0xb02
	v_fmac_f32_e32 v36, v10, v46
	;; [unrolled: 10-line block ×4, first 2 shown]
	s_wait_loadcnt 0x2
	s_delay_alu instid0(VALU_DEP_1) | instskip(SKIP_1) | instid1(VALU_DEP_1)
	v_fmac_f32_e32 v36, v19, v55
	s_wait_loadcnt 0x1
	v_fmac_f32_e32 v36, v20, v56
	s_wait_loadcnt 0x0
	s_delay_alu instid0(VALU_DEP_1)
	v_fmac_f32_e32 v36, v21, v57
	ds_bpermute_b32 v37, v30, v36
	s_wait_dscnt 0x0
	v_add_f32_e32 v36, v36, v37
	ds_bpermute_b32 v37, v31, v36
	s_and_saveexec_b32 s25, vcc_lo
	s_cbranch_execz .LBB11_8
; %bb.10:                               ;   in Loop: Header=BB11_9 Depth=1
	s_wait_dscnt 0x0
	v_dual_add_nc_u32 v38, s15, v32 :: v_dual_add_f32 v36, v36, v37
	v_cmp_gt_i32_e64 s4, s21, v32
	s_delay_alu instid0(VALU_DEP_2) | instskip(NEXT) | instid1(VALU_DEP_1)
	v_cvt_f32_i32_e32 v38, v38
	v_mul_f32_e32 v38, s23, v38
	s_delay_alu instid0(VALU_DEP_1) | instskip(NEXT) | instid1(VALU_DEP_1)
	v_cndmask_b32_e64 v37, 0, v38, s3
	v_dual_fmac_f32 v37, s7, v36 :: v_dual_max_num_f32 v38, v22, v22
	s_delay_alu instid0(VALU_DEP_1) | instskip(NEXT) | instid1(VALU_DEP_1)
	v_dual_max_num_f32 v36, v38, v37 :: v_dual_cndmask_b32 v37, 0, v37, s4
	v_cndmask_b32_e64 v22, v22, v36, s4
	ds_store_b32 v33, v37
	s_branch .LBB11_8
.LBB11_11:
	s_or_b32 exec_lo, exec_lo, s6
.LBB11_12:
	s_delay_alu instid0(SALU_CYCLE_1)
	s_or_b32 exec_lo, exec_lo, s24
	v_dual_max_num_f32 v5, v22, v22 :: v_dual_bitop2_b32 v2, 16, v28 bitop3:0x14
	s_clause 0x1
	s_load_b64 s[6:7], s[0:1], 0x0
	s_load_b64 s[16:17], s[0:1], 0x18
	v_and_b32_e32 v36, 31, v0
	v_xor_b32_e32 v4, 8, v28
	v_cmp_lt_i32_e32 vcc_lo, v2, v29
	v_cndmask_b32_e32 v2, v28, v2, vcc_lo
	s_delay_alu instid0(VALU_DEP_3) | instskip(NEXT) | instid1(VALU_DEP_2)
	v_cmp_lt_i32_e32 vcc_lo, v4, v29
	v_dual_lshlrev_b32 v2, 2, v2 :: v_dual_cndmask_b32 v4, v28, v4, vcc_lo
	ds_bpermute_b32 v3, v2, v22
	s_wait_dscnt 0x0
	v_dual_max_num_f32 v6, v3, v3 :: v_dual_lshlrev_b32 v3, 2, v4
	s_delay_alu instid0(VALU_DEP_1) | instskip(SKIP_4) | instid1(VALU_DEP_1)
	v_dual_max_num_f32 v4, v5, v6 :: v_dual_bitop2_b32 v6, 4, v28 bitop3:0x14
	ds_bpermute_b32 v5, v3, v4
	v_cmp_lt_i32_e32 vcc_lo, v6, v29
	v_cndmask_b32_e32 v6, v28, v6, vcc_lo
	s_wait_dscnt 0x0
	v_dual_max_num_f32 v5, v5, v5 :: v_dual_lshlrev_b32 v6, 2, v6
	s_delay_alu instid0(VALU_DEP_1)
	v_max_num_f32_e32 v5, v4, v5
	v_lshlrev_b32_e32 v4, 2, v1
	v_cmp_eq_u32_e32 vcc_lo, 0, v36
	ds_bpermute_b32 v7, v6, v5
	s_wait_xcnt 0x0
	s_and_saveexec_b32 s0, vcc_lo
	s_cbranch_execz .LBB11_14
; %bb.13:
	s_wait_dscnt 0x0
	v_dual_max_num_f32 v7, v7, v7 :: v_dual_max_num_f32 v5, v5, v5
	s_delay_alu instid0(VALU_DEP_1)
	v_max_num_f32_e32 v5, v5, v7
	ds_store_b32 v4, v5 offset:320
.LBB11_14:
	s_or_b32 exec_lo, exec_lo, s0
	v_cmp_gt_u32_e64 s0, 4, v36
	v_dual_mov_b32 v8, 0xff7fffff :: v_dual_lshlrev_b32 v5, 2, v36
	s_wait_dscnt 0x0
	s_barrier_signal -1
	s_barrier_wait -1
	s_and_saveexec_b32 s1, s0
; %bb.15:
	ds_load_b32 v8, v5 offset:320
; %bb.16:
	s_or_b32 exec_lo, exec_lo, s1
	v_xor_b32_e32 v10, 1, v28
	v_xor_b32_e32 v7, 2, v28
	s_delay_alu instid0(VALU_DEP_1) | instskip(NEXT) | instid1(VALU_DEP_1)
	v_cmp_lt_i32_e64 s1, v7, v29
	v_cndmask_b32_e64 v7, v28, v7, s1
	s_delay_alu instid0(VALU_DEP_1) | instskip(SKIP_4) | instid1(VALU_DEP_1)
	v_lshlrev_b32_e32 v7, 2, v7
	s_wait_dscnt 0x0
	ds_bpermute_b32 v9, v7, v8
	s_wait_dscnt 0x0
	v_dual_max_num_f32 v8, v8, v8 :: v_dual_max_num_f32 v9, v9, v9
	v_max_num_f32_e32 v8, v8, v9
	v_cmp_lt_i32_e64 s1, v10, v29
	s_delay_alu instid0(VALU_DEP_1) | instskip(SKIP_1) | instid1(SALU_CYCLE_1)
	v_cndmask_b32_e64 v10, v28, v10, s1
	s_lshl_b32 s1, s22, 3
	s_min_i32 s4, s1, s21
	s_delay_alu instid0(VALU_DEP_1) | instskip(SKIP_4) | instid1(VALU_DEP_1)
	v_lshlrev_b32_e32 v37, 2, v10
	v_cmp_gt_i32_e64 s1, s4, v0
	ds_bpermute_b32 v9, v37, v8
	s_wait_dscnt 0x0
	v_max_num_f32_e32 v9, v9, v9
	v_dual_max_num_f32 v8, v8, v9 :: v_dual_lshlrev_b32 v9, 2, v23
	ds_bpermute_b32 v9, v9, v8
	v_mov_b32_e32 v8, 0
	s_and_saveexec_b32 s15, s1
	s_cbranch_execz .LBB11_20
; %bb.17:
	v_lshl_add_u32 v10, v0, 2, 0x160
	v_dual_mov_b32 v8, 0 :: v_dual_mov_b32 v11, v0
	s_mov_b32 s23, 0
.LBB11_18:                              ; =>This Inner Loop Header: Depth=1
	ds_load_b32 v12, v10
	v_add_nc_u32_e32 v11, 0x80, v11
	s_delay_alu instid0(VALU_DEP_1) | instskip(SKIP_3) | instid1(VALU_DEP_1)
	v_cmp_le_i32_e64 s3, s4, v11
	s_or_b32 s23, s3, s23
	s_wait_dscnt 0x0
	v_sub_f32_e32 v12, v12, v9
	v_mul_f32_e32 v12, 0x3fb8aa3b, v12
	s_delay_alu instid0(VALU_DEP_1)
	v_exp_f32_e32 v12, v12
	ds_store_b32 v10, v12
	v_nop
	v_add_f32_e32 v8, v8, v12
	v_add_nc_u32_e32 v10, 0x200, v10
	s_and_not1_b32 exec_lo, exec_lo, s23
	s_cbranch_execnz .LBB11_18
; %bb.19:
	s_or_b32 exec_lo, exec_lo, s23
.LBB11_20:
	s_delay_alu instid0(SALU_CYCLE_1)
	s_or_b32 exec_lo, exec_lo, s15
	ds_bpermute_b32 v2, v2, v8
	s_wait_dscnt 0x0
	v_add_f32_e32 v2, v8, v2
	ds_bpermute_b32 v3, v3, v2
	s_wait_dscnt 0x0
	v_add_f32_e32 v2, v2, v3
	;; [unrolled: 3-line block ×5, first 2 shown]
	s_and_saveexec_b32 s3, vcc_lo
; %bb.21:
	ds_store_b32 v4, v2 offset:336
; %bb.22:
	s_or_b32 exec_lo, exec_lo, s3
	s_wait_dscnt 0x0
	s_barrier_signal -1
	s_barrier_wait -1
	s_and_saveexec_b32 s3, s0
; %bb.23:
	ds_load_b32 v2, v5 offset:336
; %bb.24:
	s_or_b32 exec_lo, exec_lo, s3
	s_wait_dscnt 0x0
	ds_bpermute_b32 v3, v7, v2
	s_wait_dscnt 0x0
	v_dual_lshlrev_b32 v4, 2, v28 :: v_dual_add_f32 v2, v2, v3
	ds_bpermute_b32 v3, v37, v2
	s_wait_dscnt 0x0
	v_add_f32_e32 v2, v2, v3
	v_and_b32_e32 v3, 0xffffff80, v4
	ds_bpermute_b32 v2, v3, v2
	s_and_saveexec_b32 s0, s1
	s_cbranch_execz .LBB11_37
; %bb.25:
	s_wait_dscnt 0x0
	v_add_f32_e32 v2, 0x358637bd, v2
	s_mov_b32 s3, -1
	s_mov_b32 s1, exec_lo
	s_delay_alu instid0(VALU_DEP_1) | instskip(NEXT) | instid1(VALU_DEP_1)
	v_div_scale_f32 v3, null, v2, v2, 1.0
	v_rcp_f32_e32 v5, v3
	v_nop
	s_delay_alu instid0(TRANS32_DEP_1) | instskip(NEXT) | instid1(VALU_DEP_1)
	v_fma_f32 v4, -v3, v5, 1.0
	v_fmac_f32_e32 v5, v4, v5
	v_div_scale_f32 v6, vcc_lo, 1.0, v2, 1.0
	s_delay_alu instid0(VALU_DEP_1) | instskip(NEXT) | instid1(VALU_DEP_1)
	v_mul_f32_e32 v7, v6, v5
	v_fma_f32 v4, -v3, v7, v6
	s_delay_alu instid0(VALU_DEP_1) | instskip(SKIP_1) | instid1(VALU_DEP_2)
	v_fmac_f32_e32 v7, v4, v5
	v_xad_u32 v4, v0, -1, s4
	v_fma_f32 v3, -v3, v7, v6
	s_delay_alu instid0(VALU_DEP_1) | instskip(NEXT) | instid1(VALU_DEP_1)
	v_div_fmas_f32 v3, v3, v5, v7
	v_div_fixup_f32 v2, v3, v2, 1.0
	v_mov_b32_e32 v3, v0
	v_cmpx_lt_u32_e32 0x7f, v4
	s_cbranch_execz .LBB11_34
; %bb.26:
	s_delay_alu instid0(VALU_DEP_3) | instskip(NEXT) | instid1(VALU_DEP_1)
	v_dual_mov_b32 v3, v2 :: v_dual_lshrrev_b32 v4, 7, v4
	v_dual_mov_b32 v8, 0 :: v_dual_add_nc_u32 v5, -1, v4
	s_delay_alu instid0(VALU_DEP_1) | instskip(SKIP_1) | instid1(VALU_DEP_2)
	v_lshrrev_b32_e32 v6, 1, v5
	v_cmp_lt_u32_e32 vcc_lo, 13, v5
	v_add_nc_u32_e32 v5, 1, v6
	s_and_saveexec_b32 s3, vcc_lo
	s_cbranch_execz .LBB11_30
; %bb.27:
	s_delay_alu instid0(VALU_DEP_1)
	v_and_b32_e32 v6, -8, v5
	v_lshl_add_u32 v7, v0, 2, 0x160
	s_mov_b32 s15, 0
	s_mov_b32 s23, 0
.LBB11_28:                              ; =>This Inner Loop Header: Depth=1
	ds_load_2addr_stride64_b32 v[8:9], v7 offset1:2
	ds_load_2addr_stride64_b32 v[10:11], v7 offset0:4 offset1:6
	ds_load_2addr_stride64_b32 v[12:13], v7 offset0:8 offset1:10
	;; [unrolled: 1-line block ×7, first 2 shown]
	s_add_co_i32 s23, s23, 16
	v_add_nc_u32_e32 v6, -8, v6
	s_wait_dscnt 0x7
	v_pk_mul_f32 v[8:9], v[2:3], v[8:9]
	s_wait_dscnt 0x6
	v_pk_mul_f32 v[10:11], v[2:3], v[10:11]
	;; [unrolled: 2-line block ×8, first 2 shown]
	ds_store_2addr_stride64_b32 v7, v8, v9 offset1:2
	ds_store_2addr_stride64_b32 v7, v10, v11 offset0:4 offset1:6
	ds_store_2addr_stride64_b32 v7, v12, v13 offset0:8 offset1:10
	;; [unrolled: 1-line block ×7, first 2 shown]
	v_mov_b32_e32 v8, s23
	v_cmp_eq_u32_e32 vcc_lo, 0, v6
	v_add_nc_u32_e32 v7, 0x2000, v7
	s_or_b32 s15, vcc_lo, s15
	s_delay_alu instid0(SALU_CYCLE_1)
	s_and_not1_b32 exec_lo, exec_lo, s15
	s_cbranch_execnz .LBB11_28
; %bb.29:
	s_or_b32 exec_lo, exec_lo, s15
.LBB11_30:
	s_delay_alu instid0(SALU_CYCLE_1) | instskip(NEXT) | instid1(VALU_DEP_1)
	s_or_b32 exec_lo, exec_lo, s3
	v_and_b32_e32 v5, 7, v5
	s_mov_b32 s15, 0
	s_mov_b32 s3, exec_lo
	s_delay_alu instid0(VALU_DEP_1)
	v_cmpx_ne_u32_e32 0, v5
	s_cbranch_execz .LBB11_33
; %bb.31:
	v_lshlrev_b32_e32 v6, 9, v8
	v_lshlrev_b32_e32 v7, 2, v0
	s_delay_alu instid0(VALU_DEP_1)
	v_add3_u32 v6, v6, v7, 0x160
.LBB11_32:                              ; =>This Inner Loop Header: Depth=1
	ds_load_2addr_stride64_b32 v[8:9], v6 offset1:2
	v_add_nc_u32_e32 v5, -1, v5
	s_delay_alu instid0(VALU_DEP_1)
	v_cmp_eq_u32_e32 vcc_lo, 0, v5
	s_or_b32 s15, vcc_lo, s15
	s_wait_dscnt 0x0
	v_pk_mul_f32 v[8:9], v[2:3], v[8:9]
	ds_store_2addr_stride64_b32 v6, v8, v9 offset1:2
	v_add_nc_u32_e32 v6, 0x400, v6
	s_and_not1_b32 exec_lo, exec_lo, s15
	s_cbranch_execnz .LBB11_32
.LBB11_33:
	s_or_b32 exec_lo, exec_lo, s3
	v_add_nc_u32_e32 v3, 1, v4
	s_delay_alu instid0(VALU_DEP_1) | instskip(NEXT) | instid1(VALU_DEP_1)
	v_and_b32_e32 v4, 0x3fffffe, v3
	v_cmp_ne_u32_e32 vcc_lo, v3, v4
	v_lshl_add_u32 v3, v4, 7, v0
	s_or_not1_b32 s3, vcc_lo, exec_lo
.LBB11_34:
	s_or_b32 exec_lo, exec_lo, s1
	s_delay_alu instid0(SALU_CYCLE_1)
	s_and_b32 exec_lo, exec_lo, s3
	s_cbranch_execz .LBB11_37
; %bb.35:
	v_lshl_add_u32 v4, v3, 2, 0x160
	s_mov_b32 s1, 0
.LBB11_36:                              ; =>This Inner Loop Header: Depth=1
	ds_load_b32 v5, v4
	v_add_nc_u32_e32 v3, 0x80, v3
	s_delay_alu instid0(VALU_DEP_1)
	v_cmp_le_i32_e32 vcc_lo, s4, v3
	s_or_b32 s1, vcc_lo, s1
	s_wait_dscnt 0x0
	v_mul_f32_e32 v5, v2, v5
	ds_store_b32 v4, v5
	v_add_nc_u32_e32 v4, 0x200, v4
	s_and_not1_b32 exec_lo, exec_lo, s1
	s_cbranch_execnz .LBB11_36
.LBB11_37:
	s_or_b32 exec_lo, exec_lo, s0
	v_dual_mov_b32 v29, 0 :: v_dual_bitop2_b32 v38, 1, v0 bitop3:0x40
	v_dual_mov_b32 v28, 0 :: v_dual_mov_b32 v31, 0
	v_dual_mov_b32 v30, 0 :: v_dual_mov_b32 v27, 0
	s_wait_dscnt 0x0
	s_barrier_signal -1
	s_barrier_wait -1
	s_and_saveexec_b32 s1, s2
	s_cbranch_execz .LBB11_51
; %bb.38:
	v_dual_lshlrev_b32 v2, 2, v0 :: v_dual_lshlrev_b32 v3, 4, v0
	s_ashr_i32 s15, s14, 31
	s_ashr_i32 s3, s5, 31
	s_lshl_b64 s[14:15], s[14:15], 2
	s_delay_alu instid0(VALU_DEP_1)
	v_dual_mov_b32 v27, 0 :: v_dual_bitop2_b32 v2, 4, v2 bitop3:0x40
	v_and_b32_e32 v26, 0x1f0, v3
	v_lshlrev_b32_e32 v3, 4, v38
	s_wait_kmcnt 0x0
	s_add_nc_u64 s[14:15], s[16:17], s[14:15]
	s_mov_b32 s2, s5
	s_lshl_b64 s[4:5], s[10:11], 2
	v_add_nc_u64_e32 v[32:33], s[14:15], v[26:27]
	v_and_b32_e32 v26, 0x7c, v34
	v_mov_b32_e32 v29, v27
	v_lshl_or_b32 v3, v1, 5, v3
	s_add_nc_u64 s[4:5], s[12:13], s[4:5]
	v_lshl_or_b32 v39, v1, 3, v2
	v_add_nc_u64_e32 v[34:35], s[4:5], v[26:27]
	v_dual_mov_b32 v28, v27 :: v_dual_mov_b32 v30, v27
	v_dual_mov_b32 v31, v27 :: v_dual_add_nc_u32 v40, 0x160, v3
	v_mov_b32_e32 v26, v1
	s_add_co_i32 s4, s22, -1
	s_mov_b32 s10, s21
	s_mov_b32 s5, 0
	s_branch .LBB11_40
.LBB11_39:                              ;   in Loop: Header=BB11_40 Depth=1
	s_or_b32 exec_lo, exec_lo, s0
	s_wait_loadcnt_dscnt 0x200
	v_mul_f32_e32 v14, v6, v14
	s_wait_loadcnt 0x1
	v_mul_f32_e32 v41, v6, v18
	v_mul_f32_e32 v2, v6, v2
	;; [unrolled: 1-line block ×3, first 2 shown]
	s_wait_loadcnt 0x0
	v_pk_mul_f32 v[22:23], v[6:7], v[22:23]
	v_fmac_f32_e32 v14, v7, v15
	v_fmac_f32_e32 v41, v7, v19
	;; [unrolled: 1-line block ×4, first 2 shown]
	v_pk_mul_f32 v[18:19], v[8:9], v[24:25]
	s_delay_alu instid0(VALU_DEP_4) | instskip(SKIP_1) | instid1(VALU_DEP_4)
	v_dual_add_f32 v3, v23, v22 :: v_dual_fmac_f32 v41, v8, v20
	v_fmac_f32_e32 v14, v8, v16
	v_fmac_f32_e32 v10, v8, v12
	v_add_nc_u64_e32 v[34:35], 16, v[34:35]
	s_delay_alu instid0(VALU_DEP_4) | instskip(SKIP_1) | instid1(VALU_DEP_4)
	v_dual_add_f32 v3, v18, v3 :: v_dual_fmac_f32 v41, v9, v21
	v_fmac_f32_e32 v2, v8, v4
	v_dual_fmac_f32 v10, v9, v13 :: v_dual_add_nc_u32 v26, 4, v26
	s_delay_alu instid0(VALU_DEP_3) | instskip(NEXT) | instid1(VALU_DEP_4)
	v_dual_fmac_f32 v14, v9, v17 :: v_dual_add_f32 v3, v19, v3
	v_add_f32_e32 v29, v29, v41
	s_delay_alu instid0(VALU_DEP_4) | instskip(NEXT) | instid1(VALU_DEP_4)
	v_fmac_f32_e32 v2, v9, v5
	v_cmp_le_i32_e32 vcc_lo, s22, v26
	s_delay_alu instid0(VALU_DEP_4) | instskip(SKIP_1) | instid1(VALU_DEP_4)
	v_add_f32_e32 v28, v28, v14
	v_dual_add_f32 v31, v31, v10 :: v_dual_add_nc_u32 v39, 32, v39
	v_dual_add_f32 v30, v30, v2 :: v_dual_add_f32 v27, v27, v3
	v_add_nc_u32_e32 v40, 0x80, v40
	s_or_b32 s5, vcc_lo, s5
	s_delay_alu instid0(SALU_CYCLE_1)
	s_and_not1_b32 exec_lo, exec_lo, s5
	s_cbranch_execz .LBB11_50
.LBB11_40:                              ; =>This Inner Loop Header: Depth=1
	global_load_b32 v2, v[34:35], off
	ds_load_b128 v[6:9], v40
	v_cmp_eq_u32_e32 vcc_lo, s4, v26
	v_or_b32_e32 v42, 3, v39
	v_dual_add_nc_u32 v43, 1, v39 :: v_dual_bitop2_b32 v41, 2, v39 bitop3:0x54
	s_wait_loadcnt 0x0
	v_ashrrev_i32_e32 v3, 31, v2
	s_delay_alu instid0(VALU_DEP_1) | instskip(NEXT) | instid1(VALU_DEP_1)
	v_mul_u64_e32 v[2:3], s[2:3], v[2:3]
	v_lshl_add_u64 v[22:23], v[2:3], 2, v[32:33]
	global_load_b128 v[2:5], v[22:23], off
	s_wait_xcnt 0x0
	s_and_saveexec_b32 s11, vcc_lo
	s_cbranch_execnz .LBB11_45
; %bb.41:                               ;   in Loop: Header=BB11_40 Depth=1
	s_or_b32 exec_lo, exec_lo, s11
	global_load_b128 v[10:13], v[22:23], off offset:512
	s_wait_xcnt 0x0
	s_and_saveexec_b32 s11, vcc_lo
	s_cbranch_execnz .LBB11_46
.LBB11_42:                              ;   in Loop: Header=BB11_40 Depth=1
	s_or_b32 exec_lo, exec_lo, s11
	global_load_b128 v[14:17], v[22:23], off offset:1024
	s_wait_xcnt 0x0
	s_and_saveexec_b32 s11, vcc_lo
	s_cbranch_execnz .LBB11_47
.LBB11_43:                              ;   in Loop: Header=BB11_40 Depth=1
	s_or_b32 exec_lo, exec_lo, s11
	global_load_b128 v[18:21], v[22:23], off offset:1536
	s_wait_xcnt 0x0
	s_and_saveexec_b32 s11, vcc_lo
	s_cbranch_execnz .LBB11_48
.LBB11_44:                              ;   in Loop: Header=BB11_40 Depth=1
	s_or_b32 exec_lo, exec_lo, s11
	global_load_b128 v[22:25], v[22:23], off offset:2048
	s_wait_xcnt 0x0
	s_and_saveexec_b32 s0, vcc_lo
	s_cbranch_execz .LBB11_39
	s_branch .LBB11_49
.LBB11_45:                              ;   in Loop: Header=BB11_40 Depth=1
	v_cmp_gt_i32_e64 s0, s10, v43
	s_wait_loadcnt 0x0
	s_delay_alu instid0(VALU_DEP_1) | instskip(SKIP_1) | instid1(VALU_DEP_1)
	v_cndmask_b32_e64 v3, 0, v3, s0
	v_cmp_gt_i32_e64 s0, s21, v39
	v_cndmask_b32_e64 v2, 0, v2, s0
	v_cmp_gt_i32_e64 s0, s10, v42
	s_delay_alu instid0(VALU_DEP_1) | instskip(SKIP_1) | instid1(VALU_DEP_1)
	v_cndmask_b32_e64 v5, 0, v5, s0
	v_cmp_gt_i32_e64 s0, s21, v41
	v_cndmask_b32_e64 v4, 0, v4, s0
	s_or_b32 exec_lo, exec_lo, s11
	global_load_b128 v[10:13], v[22:23], off offset:512
	s_wait_xcnt 0x0
	s_and_saveexec_b32 s11, vcc_lo
	s_cbranch_execz .LBB11_42
.LBB11_46:                              ;   in Loop: Header=BB11_40 Depth=1
	v_cmp_gt_i32_e64 s0, s10, v43
	s_wait_loadcnt 0x0
	s_delay_alu instid0(VALU_DEP_1) | instskip(SKIP_1) | instid1(VALU_DEP_1)
	v_cndmask_b32_e64 v11, 0, v11, s0
	v_cmp_gt_i32_e64 s0, s21, v39
	v_cndmask_b32_e64 v10, 0, v10, s0
	v_cmp_gt_i32_e64 s0, s10, v42
	s_delay_alu instid0(VALU_DEP_1) | instskip(SKIP_1) | instid1(VALU_DEP_1)
	v_cndmask_b32_e64 v13, 0, v13, s0
	v_cmp_gt_i32_e64 s0, s21, v41
	v_cndmask_b32_e64 v12, 0, v12, s0
	s_or_b32 exec_lo, exec_lo, s11
	global_load_b128 v[14:17], v[22:23], off offset:1024
	s_wait_xcnt 0x0
	s_and_saveexec_b32 s11, vcc_lo
	s_cbranch_execz .LBB11_43
.LBB11_47:                              ;   in Loop: Header=BB11_40 Depth=1
	v_cmp_gt_i32_e64 s0, s10, v43
	s_wait_loadcnt 0x0
	s_delay_alu instid0(VALU_DEP_1) | instskip(SKIP_1) | instid1(VALU_DEP_1)
	v_cndmask_b32_e64 v15, 0, v15, s0
	v_cmp_gt_i32_e64 s0, s21, v39
	v_cndmask_b32_e64 v14, 0, v14, s0
	v_cmp_gt_i32_e64 s0, s10, v42
	s_delay_alu instid0(VALU_DEP_1) | instskip(SKIP_1) | instid1(VALU_DEP_1)
	v_cndmask_b32_e64 v17, 0, v17, s0
	v_cmp_gt_i32_e64 s0, s21, v41
	v_cndmask_b32_e64 v16, 0, v16, s0
	s_or_b32 exec_lo, exec_lo, s11
	global_load_b128 v[18:21], v[22:23], off offset:1536
	s_wait_xcnt 0x0
	s_and_saveexec_b32 s11, vcc_lo
	s_cbranch_execz .LBB11_44
.LBB11_48:                              ;   in Loop: Header=BB11_40 Depth=1
	v_cmp_gt_i32_e64 s0, s10, v43
	s_wait_loadcnt 0x0
	s_delay_alu instid0(VALU_DEP_1) | instskip(SKIP_1) | instid1(VALU_DEP_1)
	v_cndmask_b32_e64 v19, 0, v19, s0
	v_cmp_gt_i32_e64 s0, s21, v39
	v_cndmask_b32_e64 v18, 0, v18, s0
	v_cmp_gt_i32_e64 s0, s10, v42
	s_delay_alu instid0(VALU_DEP_1) | instskip(SKIP_1) | instid1(VALU_DEP_1)
	v_cndmask_b32_e64 v21, 0, v21, s0
	v_cmp_gt_i32_e64 s0, s21, v41
	v_cndmask_b32_e64 v20, 0, v20, s0
	s_or_b32 exec_lo, exec_lo, s11
	global_load_b128 v[22:25], v[22:23], off offset:2048
	s_wait_xcnt 0x0
	s_and_saveexec_b32 s0, vcc_lo
	s_cbranch_execz .LBB11_39
.LBB11_49:                              ;   in Loop: Header=BB11_40 Depth=1
	v_cmp_gt_i32_e32 vcc_lo, s10, v43
	s_wait_loadcnt 0x0
	v_cndmask_b32_e32 v23, 0, v23, vcc_lo
	v_cmp_gt_i32_e32 vcc_lo, s21, v39
	v_cndmask_b32_e32 v22, 0, v22, vcc_lo
	v_cmp_gt_i32_e32 vcc_lo, s10, v42
	;; [unrolled: 2-line block ×3, first 2 shown]
	v_cndmask_b32_e32 v24, 0, v24, vcc_lo
	s_branch .LBB11_39
.LBB11_50:
	s_or_b32 exec_lo, exec_lo, s5
.LBB11_51:
	s_delay_alu instid0(SALU_CYCLE_1)
	s_or_b32 exec_lo, exec_lo, s1
	ds_bpermute_b32 v2, v37, v30
	ds_bpermute_b32 v3, v37, v31
	ds_bpermute_b32 v10, v37, v28
	ds_bpermute_b32 v11, v37, v29
	ds_bpermute_b32 v6, v37, v27
	v_and_b32_e32 v7, 0x3c1, v0
	v_lshrrev_b32_e32 v8, 1, v36
	s_mov_b32 s0, exec_lo
	s_wait_dscnt 0x0
	s_barrier_signal -1
	s_barrier_wait -1
	v_pk_add_f32 v[4:5], v[30:31], v[2:3]
	v_pk_add_f32 v[2:3], v[28:29], v[10:11]
	v_cmpx_ne_u32_e32 64, v7
	s_xor_b32 s0, exec_lo, s0
	s_delay_alu instid0(SALU_CYCLE_1)
	s_or_saveexec_b32 s0, s0
	v_add_f32_e32 v6, v27, v6
	v_lshl_add_u32 v7, v8, 2, 0x160
	v_mul_u32_u24_e32 v1, 0x140, v1
	s_xor_b32 exec_lo, exec_lo, s0
	s_cbranch_execz .LBB11_53
; %bb.52:
	s_delay_alu instid0(VALU_DEP_1) | instskip(NEXT) | instid1(VALU_DEP_1)
	v_add_nc_u32_e32 v9, v7, v1
	v_add_nc_u32_e32 v10, 0xfffffd80, v9
	;; [unrolled: 1-line block ×6, first 2 shown]
	ds_store_b32 v10, v4
	ds_store_b32 v11, v5
	;; [unrolled: 1-line block ×5, first 2 shown]
.LBB11_53:
	s_or_b32 exec_lo, exec_lo, s0
	v_lshlrev_b32_e32 v8, 2, v8
	s_mov_b32 s1, exec_lo
	v_cmp_eq_u32_e32 vcc_lo, 0, v38
	s_wait_dscnt 0x0
	s_barrier_signal -1
	v_add3_u32 v1, 0x160, v1, v8
	s_barrier_wait -1
	v_cmpx_gt_u32_e32 64, v0
	s_cbranch_execz .LBB11_61
; %bb.54:
	s_and_saveexec_b32 s0, vcc_lo
	s_cbranch_execnz .LBB11_74
; %bb.55:
	s_or_b32 exec_lo, exec_lo, s0
	s_and_saveexec_b32 s0, vcc_lo
	s_cbranch_execnz .LBB11_75
.LBB11_56:
	s_or_b32 exec_lo, exec_lo, s0
	s_and_saveexec_b32 s0, vcc_lo
	s_cbranch_execnz .LBB11_76
.LBB11_57:
	s_or_b32 exec_lo, exec_lo, s0
	s_and_saveexec_b32 s0, vcc_lo
	s_cbranch_execnz .LBB11_77
.LBB11_58:
	s_or_b32 exec_lo, exec_lo, s0
	s_and_saveexec_b32 s0, vcc_lo
	s_cbranch_execz .LBB11_60
.LBB11_59:
	ds_load_b32 v8, v1 offset:256
	s_wait_dscnt 0x0
	v_add_f32_e32 v6, v6, v8
.LBB11_60:
	s_or_b32 exec_lo, exec_lo, s0
.LBB11_61:
	s_delay_alu instid0(SALU_CYCLE_1) | instskip(SKIP_4) | instid1(VALU_DEP_1)
	s_or_b32 exec_lo, exec_lo, s1
	v_and_b32_e32 v8, 0x3e1, v0
	s_mov_b32 s1, exec_lo
	s_barrier_signal -1
	s_barrier_wait -1
	v_cmpx_eq_u32_e32 32, v8
	s_cbranch_execz .LBB11_63
; %bb.62:
	ds_store_2addr_b32 v7, v4, v5 offset1:16
	ds_store_2addr_b32 v7, v2, v3 offset0:32 offset1:48
	ds_store_b32 v7, v6 offset:256
.LBB11_63:
	s_or_b32 exec_lo, exec_lo, s1
	s_delay_alu instid0(SALU_CYCLE_1)
	s_mov_b32 s1, exec_lo
	s_wait_dscnt 0x0
	s_barrier_signal -1
	s_barrier_wait -1
	v_cmpx_gt_u32_e32 32, v0
	s_cbranch_execz .LBB11_71
; %bb.64:
	s_and_saveexec_b32 s0, vcc_lo
	s_cbranch_execnz .LBB11_78
; %bb.65:
	s_or_b32 exec_lo, exec_lo, s0
	s_and_saveexec_b32 s0, vcc_lo
	s_cbranch_execnz .LBB11_79
.LBB11_66:
	s_or_b32 exec_lo, exec_lo, s0
	s_and_saveexec_b32 s0, vcc_lo
	s_cbranch_execnz .LBB11_80
.LBB11_67:
	s_or_b32 exec_lo, exec_lo, s0
	s_and_saveexec_b32 s0, vcc_lo
	s_cbranch_execnz .LBB11_81
.LBB11_68:
	s_or_b32 exec_lo, exec_lo, s0
	s_and_saveexec_b32 s0, vcc_lo
	s_cbranch_execz .LBB11_70
.LBB11_69:
	ds_load_b32 v1, v1 offset:256
	s_wait_dscnt 0x0
	v_add_f32_e32 v6, v6, v1
.LBB11_70:
	s_or_b32 exec_lo, exec_lo, s0
.LBB11_71:
	s_delay_alu instid0(SALU_CYCLE_1)
	s_or_b32 exec_lo, exec_lo, s1
	s_mov_b32 s1, 0
	s_barrier_signal -1
	s_barrier_wait -1
	s_mov_b32 s0, exec_lo
	v_cmpx_eq_u32_e32 0, v8
	s_cbranch_execz .LBB11_73
; %bb.72:
	s_wait_kmcnt 0x0
	s_mul_i32 s0, s20, s9
	s_mul_i32 s2, s9, s8
	;; [unrolled: 1-line block ×3, first 2 shown]
	s_lshr_b32 s8, ttmp7, 16
	s_mul_i32 s4, s0, 0x50
	s_bfe_u32 s0, ttmp6, 0x40014
	s_ashr_i32 s5, s4, 31
	s_add_co_i32 s0, s0, 1
	s_lshl_b64 s[4:5], s[4:5], 2
	s_ashr_i32 s3, s2, 31
	s_add_nc_u64 s[4:5], s[6:7], s[4:5]
	s_mul_i32 s0, s8, s0
	s_bfe_u32 s6, ttmp6, 0x40008
	s_lshl_b64 s[2:3], s[2:3], 2
	s_add_co_i32 s6, s6, s0
	s_cmp_eq_u32 s18, 0
	v_lshlrev_b32_e32 v0, 1, v0
	s_cselect_b32 s0, s8, s6
	s_add_nc_u64 s[2:3], s[4:5], s[2:3]
	s_mulk_i32 s0, 0x140
	s_delay_alu instid0(SALU_CYCLE_1)
	s_add_nc_u64 s[0:1], s[2:3], s[0:1]
	s_clause 0x4
	global_store_b32 v0, v4, s[0:1]
	global_store_b32 v0, v5, s[0:1] offset:64
	global_store_b32 v0, v2, s[0:1] offset:128
	;; [unrolled: 1-line block ×4, first 2 shown]
.LBB11_73:
	s_endpgm
.LBB11_74:
	ds_load_b32 v8, v1
	s_wait_dscnt 0x0
	v_add_f32_e32 v4, v4, v8
	s_or_b32 exec_lo, exec_lo, s0
	s_and_saveexec_b32 s0, vcc_lo
	s_cbranch_execz .LBB11_56
.LBB11_75:
	ds_load_b32 v8, v1 offset:64
	s_wait_dscnt 0x0
	v_add_f32_e32 v5, v5, v8
	s_or_b32 exec_lo, exec_lo, s0
	s_and_saveexec_b32 s0, vcc_lo
	s_cbranch_execz .LBB11_57
.LBB11_76:
	ds_load_b32 v8, v1 offset:128
	s_wait_dscnt 0x0
	v_add_f32_e32 v2, v2, v8
	s_or_b32 exec_lo, exec_lo, s0
	s_and_saveexec_b32 s0, vcc_lo
	s_cbranch_execz .LBB11_58
.LBB11_77:
	ds_load_b32 v8, v1 offset:192
	s_wait_dscnt 0x0
	v_add_f32_e32 v3, v3, v8
	s_or_b32 exec_lo, exec_lo, s0
	s_and_saveexec_b32 s0, vcc_lo
	s_cbranch_execnz .LBB11_59
	s_branch .LBB11_60
.LBB11_78:
	ds_load_b32 v7, v1
	s_wait_dscnt 0x0
	v_add_f32_e32 v4, v4, v7
	s_or_b32 exec_lo, exec_lo, s0
	s_and_saveexec_b32 s0, vcc_lo
	s_cbranch_execz .LBB11_66
.LBB11_79:
	ds_load_b32 v7, v1 offset:64
	s_wait_dscnt 0x0
	v_add_f32_e32 v5, v5, v7
	s_or_b32 exec_lo, exec_lo, s0
	s_and_saveexec_b32 s0, vcc_lo
	s_cbranch_execz .LBB11_67
.LBB11_80:
	ds_load_b32 v7, v1 offset:128
	s_wait_dscnt 0x0
	v_add_f32_e32 v2, v2, v7
	s_or_b32 exec_lo, exec_lo, s0
	s_and_saveexec_b32 s0, vcc_lo
	s_cbranch_execz .LBB11_68
.LBB11_81:
	ds_load_b32 v7, v1 offset:192
	s_wait_dscnt 0x0
	v_add_f32_e32 v3, v3, v7
	s_or_b32 exec_lo, exec_lo, s0
	s_and_saveexec_b32 s0, vcc_lo
	s_cbranch_execnz .LBB11_69
	s_branch .LBB11_70
	.section	.rodata,"a",@progbits
	.p2align	6, 0x0
	.amdhsa_kernel _ZN4vllm25paged_attention_v1_kernelIffLi80ELi8ELi128ELNS_18Fp8KVCacheDataTypeE0ELb0EEEvPT_PKS2_PKT0_S8_ifPKiSA_iPKfiiiSC_SC_iiiii
		.amdhsa_group_segment_fixed_size 352
		.amdhsa_private_segment_fixed_size 0
		.amdhsa_kernarg_size 384
		.amdhsa_user_sgpr_count 2
		.amdhsa_user_sgpr_dispatch_ptr 0
		.amdhsa_user_sgpr_queue_ptr 0
		.amdhsa_user_sgpr_kernarg_segment_ptr 1
		.amdhsa_user_sgpr_dispatch_id 0
		.amdhsa_user_sgpr_kernarg_preload_length 0
		.amdhsa_user_sgpr_kernarg_preload_offset 0
		.amdhsa_user_sgpr_private_segment_size 0
		.amdhsa_wavefront_size32 1
		.amdhsa_uses_dynamic_stack 0
		.amdhsa_enable_private_segment 0
		.amdhsa_system_sgpr_workgroup_id_x 1
		.amdhsa_system_sgpr_workgroup_id_y 1
		.amdhsa_system_sgpr_workgroup_id_z 1
		.amdhsa_system_sgpr_workgroup_info 0
		.amdhsa_system_vgpr_workitem_id 0
		.amdhsa_next_free_vgpr 58
		.amdhsa_next_free_sgpr 30
		.amdhsa_named_barrier_count 0
		.amdhsa_reserve_vcc 1
		.amdhsa_float_round_mode_32 0
		.amdhsa_float_round_mode_16_64 0
		.amdhsa_float_denorm_mode_32 3
		.amdhsa_float_denorm_mode_16_64 3
		.amdhsa_fp16_overflow 0
		.amdhsa_memory_ordered 1
		.amdhsa_forward_progress 1
		.amdhsa_inst_pref_size 40
		.amdhsa_round_robin_scheduling 0
		.amdhsa_exception_fp_ieee_invalid_op 0
		.amdhsa_exception_fp_denorm_src 0
		.amdhsa_exception_fp_ieee_div_zero 0
		.amdhsa_exception_fp_ieee_overflow 0
		.amdhsa_exception_fp_ieee_underflow 0
		.amdhsa_exception_fp_ieee_inexact 0
		.amdhsa_exception_int_div_zero 0
	.end_amdhsa_kernel
	.section	.text._ZN4vllm25paged_attention_v1_kernelIffLi80ELi8ELi128ELNS_18Fp8KVCacheDataTypeE0ELb0EEEvPT_PKS2_PKT0_S8_ifPKiSA_iPKfiiiSC_SC_iiiii,"axG",@progbits,_ZN4vllm25paged_attention_v1_kernelIffLi80ELi8ELi128ELNS_18Fp8KVCacheDataTypeE0ELb0EEEvPT_PKS2_PKT0_S8_ifPKiSA_iPKfiiiSC_SC_iiiii,comdat
.Lfunc_end11:
	.size	_ZN4vllm25paged_attention_v1_kernelIffLi80ELi8ELi128ELNS_18Fp8KVCacheDataTypeE0ELb0EEEvPT_PKS2_PKT0_S8_ifPKiSA_iPKfiiiSC_SC_iiiii, .Lfunc_end11-_ZN4vllm25paged_attention_v1_kernelIffLi80ELi8ELi128ELNS_18Fp8KVCacheDataTypeE0ELb0EEEvPT_PKS2_PKT0_S8_ifPKiSA_iPKfiiiSC_SC_iiiii
                                        ; -- End function
	.set _ZN4vllm25paged_attention_v1_kernelIffLi80ELi8ELi128ELNS_18Fp8KVCacheDataTypeE0ELb0EEEvPT_PKS2_PKT0_S8_ifPKiSA_iPKfiiiSC_SC_iiiii.num_vgpr, 58
	.set _ZN4vllm25paged_attention_v1_kernelIffLi80ELi8ELi128ELNS_18Fp8KVCacheDataTypeE0ELb0EEEvPT_PKS2_PKT0_S8_ifPKiSA_iPKfiiiSC_SC_iiiii.num_agpr, 0
	.set _ZN4vllm25paged_attention_v1_kernelIffLi80ELi8ELi128ELNS_18Fp8KVCacheDataTypeE0ELb0EEEvPT_PKS2_PKT0_S8_ifPKiSA_iPKfiiiSC_SC_iiiii.numbered_sgpr, 30
	.set _ZN4vllm25paged_attention_v1_kernelIffLi80ELi8ELi128ELNS_18Fp8KVCacheDataTypeE0ELb0EEEvPT_PKS2_PKT0_S8_ifPKiSA_iPKfiiiSC_SC_iiiii.num_named_barrier, 0
	.set _ZN4vllm25paged_attention_v1_kernelIffLi80ELi8ELi128ELNS_18Fp8KVCacheDataTypeE0ELb0EEEvPT_PKS2_PKT0_S8_ifPKiSA_iPKfiiiSC_SC_iiiii.private_seg_size, 0
	.set _ZN4vllm25paged_attention_v1_kernelIffLi80ELi8ELi128ELNS_18Fp8KVCacheDataTypeE0ELb0EEEvPT_PKS2_PKT0_S8_ifPKiSA_iPKfiiiSC_SC_iiiii.uses_vcc, 1
	.set _ZN4vllm25paged_attention_v1_kernelIffLi80ELi8ELi128ELNS_18Fp8KVCacheDataTypeE0ELb0EEEvPT_PKS2_PKT0_S8_ifPKiSA_iPKfiiiSC_SC_iiiii.uses_flat_scratch, 0
	.set _ZN4vllm25paged_attention_v1_kernelIffLi80ELi8ELi128ELNS_18Fp8KVCacheDataTypeE0ELb0EEEvPT_PKS2_PKT0_S8_ifPKiSA_iPKfiiiSC_SC_iiiii.has_dyn_sized_stack, 0
	.set _ZN4vllm25paged_attention_v1_kernelIffLi80ELi8ELi128ELNS_18Fp8KVCacheDataTypeE0ELb0EEEvPT_PKS2_PKT0_S8_ifPKiSA_iPKfiiiSC_SC_iiiii.has_recursion, 0
	.set _ZN4vllm25paged_attention_v1_kernelIffLi80ELi8ELi128ELNS_18Fp8KVCacheDataTypeE0ELb0EEEvPT_PKS2_PKT0_S8_ifPKiSA_iPKfiiiSC_SC_iiiii.has_indirect_call, 0
	.section	.AMDGPU.csdata,"",@progbits
; Kernel info:
; codeLenInByte = 5120
; TotalNumSgprs: 32
; NumVgprs: 58
; ScratchSize: 0
; MemoryBound: 0
; FloatMode: 240
; IeeeMode: 1
; LDSByteSize: 352 bytes/workgroup (compile time only)
; SGPRBlocks: 0
; VGPRBlocks: 3
; NumSGPRsForWavesPerEU: 32
; NumVGPRsForWavesPerEU: 58
; NamedBarCnt: 0
; Occupancy: 16
; WaveLimiterHint : 1
; COMPUTE_PGM_RSRC2:SCRATCH_EN: 0
; COMPUTE_PGM_RSRC2:USER_SGPR: 2
; COMPUTE_PGM_RSRC2:TRAP_HANDLER: 0
; COMPUTE_PGM_RSRC2:TGID_X_EN: 1
; COMPUTE_PGM_RSRC2:TGID_Y_EN: 1
; COMPUTE_PGM_RSRC2:TGID_Z_EN: 1
; COMPUTE_PGM_RSRC2:TIDIG_COMP_CNT: 0
	.section	.text._ZN4vllm25paged_attention_v1_kernelIffLi96ELi8ELi128ELNS_18Fp8KVCacheDataTypeE0ELb0EEEvPT_PKS2_PKT0_S8_ifPKiSA_iPKfiiiSC_SC_iiiii,"axG",@progbits,_ZN4vllm25paged_attention_v1_kernelIffLi96ELi8ELi128ELNS_18Fp8KVCacheDataTypeE0ELb0EEEvPT_PKS2_PKT0_S8_ifPKiSA_iPKfiiiSC_SC_iiiii,comdat
	.protected	_ZN4vllm25paged_attention_v1_kernelIffLi96ELi8ELi128ELNS_18Fp8KVCacheDataTypeE0ELb0EEEvPT_PKS2_PKT0_S8_ifPKiSA_iPKfiiiSC_SC_iiiii ; -- Begin function _ZN4vllm25paged_attention_v1_kernelIffLi96ELi8ELi128ELNS_18Fp8KVCacheDataTypeE0ELb0EEEvPT_PKS2_PKT0_S8_ifPKiSA_iPKfiiiSC_SC_iiiii
	.globl	_ZN4vllm25paged_attention_v1_kernelIffLi96ELi8ELi128ELNS_18Fp8KVCacheDataTypeE0ELb0EEEvPT_PKS2_PKT0_S8_ifPKiSA_iPKfiiiSC_SC_iiiii
	.p2align	8
	.type	_ZN4vllm25paged_attention_v1_kernelIffLi96ELi8ELi128ELNS_18Fp8KVCacheDataTypeE0ELb0EEEvPT_PKS2_PKT0_S8_ifPKiSA_iPKfiiiSC_SC_iiiii,@function
_ZN4vllm25paged_attention_v1_kernelIffLi96ELi8ELi128ELNS_18Fp8KVCacheDataTypeE0ELb0EEEvPT_PKS2_PKT0_S8_ifPKiSA_iPKfiiiSC_SC_iiiii: ; @_ZN4vllm25paged_attention_v1_kernelIffLi96ELi8ELi128ELNS_18Fp8KVCacheDataTypeE0ELb0EEEvPT_PKS2_PKT0_S8_ifPKiSA_iPKfiiiSC_SC_iiiii
; %bb.0:
	s_load_b64 s[6:7], s[0:1], 0x20
	s_bfe_u32 s3, ttmp6, 0x4000c
	s_bfe_u32 s5, ttmp6, 0x40010
	s_and_b32 s4, ttmp7, 0xffff
	s_add_co_i32 s3, s3, 1
	s_add_co_i32 s5, s5, 1
	s_and_b32 s2, ttmp6, 15
	s_bfe_u32 s8, ttmp6, 0x40004
	s_mul_i32 s3, ttmp9, s3
	s_mul_i32 s5, s4, s5
	s_getreg_b32 s18, hwreg(HW_REG_IB_STS2, 6, 4)
	s_add_co_i32 s2, s2, s3
	s_add_co_i32 s3, s8, s5
	s_cmp_eq_u32 s18, 0
	s_clause 0x1
	s_load_b32 s19, s[0:1], 0x80
	s_load_b64 s[8:9], s[0:1], 0x30
	s_cselect_b32 s20, s4, s3
	s_cselect_b32 s2, ttmp9, s2
	s_wait_kmcnt 0x0
	s_abs_i32 s3, s6
	s_delay_alu instid0(SALU_CYCLE_1) | instskip(SKIP_1) | instid1(SALU_CYCLE_2)
	s_cvt_f32_u32 s4, s3
	s_sub_co_i32 s5, 0, s3
	v_rcp_iflag_f32_e32 v1, s4
	s_abs_i32 s10, s19
	v_nop
	s_delay_alu instid0(TRANS32_DEP_1) | instskip(SKIP_1) | instid1(SALU_CYCLE_3)
	v_readfirstlane_b32 s4, v1
	s_mul_f32 s4, s4, 0x4f7ffffe
	s_cvt_u32_f32 s4, s4
	s_delay_alu instid0(SALU_CYCLE_3) | instskip(NEXT) | instid1(SALU_CYCLE_1)
	s_mul_i32 s5, s5, s4
	s_mul_hi_u32 s5, s4, s5
	s_delay_alu instid0(SALU_CYCLE_1) | instskip(SKIP_4) | instid1(SALU_CYCLE_1)
	s_add_co_i32 s4, s4, s5
	s_xor_b32 s5, s19, s6
	s_mul_hi_u32 s4, s10, s4
	s_ashr_i32 s5, s5, 31
	s_mul_i32 s6, s4, s3
	s_sub_co_i32 s6, s10, s6
	s_add_co_i32 s10, s4, 1
	s_sub_co_i32 s11, s6, s3
	s_cmp_ge_u32 s6, s3
	s_cselect_b32 s4, s10, s4
	s_cselect_b32 s6, s11, s6
	s_add_co_i32 s10, s4, 1
	s_cmp_ge_u32 s6, s3
	s_mov_b32 s11, 0
	s_cselect_b32 s3, s10, s4
	s_abs_i32 s10, s2
	s_xor_b32 s3, s3, s5
	s_mov_b32 s13, s11
	s_sub_co_i32 s15, s3, s5
	s_load_b64 s[4:5], s[0:1], 0x40
	s_abs_i32 s14, s15
	s_mov_b32 s23, s11
	s_cvt_f32_u32 s3, s14
	s_sub_co_i32 s6, 0, s14
	s_delay_alu instid0(SALU_CYCLE_2) | instskip(SKIP_1) | instid1(TRANS32_DEP_1)
	v_rcp_iflag_f32_e32 v1, s3
	v_nop
	v_readfirstlane_b32 s3, v1
	s_mul_f32 s3, s3, 0x4f7ffffe
	s_delay_alu instid0(SALU_CYCLE_3) | instskip(NEXT) | instid1(SALU_CYCLE_3)
	s_cvt_u32_f32 s3, s3
	s_mul_i32 s6, s6, s3
	s_delay_alu instid0(SALU_CYCLE_1) | instskip(NEXT) | instid1(SALU_CYCLE_1)
	s_mul_hi_u32 s6, s3, s6
	s_add_co_i32 s12, s3, s6
	s_wait_kmcnt 0x0
	s_cmp_eq_u64 s[4:5], 0
	s_cbranch_scc1 .LBB12_2
; %bb.1:
	s_ashr_i32 s3, s2, 31
	s_delay_alu instid0(SALU_CYCLE_1) | instskip(NEXT) | instid1(SALU_CYCLE_1)
	s_lshl_b64 s[16:17], s[2:3], 2
	s_add_nc_u64 s[4:5], s[4:5], s[16:17]
	s_load_b32 s23, s[4:5], 0x0
.LBB12_2:
	s_load_b32 s21, s[8:9], s20 offset:0x0 scale_offset
	s_wait_xcnt 0x0
	s_load_b96 s[4:6], s[0:1], 0x48
	v_and_b32_e32 v28, 3, v0
	s_ashr_i32 s3, s2, 31
	s_ashr_i32 s15, s15, 31
	s_mul_u64 s[12:13], s[10:11], s[12:13]
	s_mul_i32 s8, s2, 0x60
	s_mov_b32 s2, exec_lo
	v_cmpx_gt_u32_e32 0x60, v0
	s_cbranch_execz .LBB12_4
; %bb.3:
	s_load_b64 s[16:17], s[0:1], 0x8
	s_wait_kmcnt 0x0
	s_mul_i32 s24, s4, s20
	s_ashr_i32 s9, s8, 31
	s_ashr_i32 s25, s24, 31
	v_and_b32_e32 v2, 0x3fc, v0
	s_lshl_b64 s[24:25], s[24:25], 2
	s_delay_alu instid0(VALU_DEP_1) | instskip(SKIP_2) | instid1(SALU_CYCLE_1)
	v_mad_u32_u24 v2, 0x60, v28, v2
	s_add_nc_u64 s[16:17], s[16:17], s[24:25]
	s_lshl_b64 s[24:25], s[8:9], 2
	s_add_nc_u64 s[16:17], s[16:17], s[24:25]
	global_load_b32 v1, v0, s[16:17] scale_offset
	s_wait_loadcnt 0x0
	ds_store_b32 v2, v1
.LBB12_4:
	s_or_b32 exec_lo, exec_lo, s2
	s_wait_kmcnt 0x0
	s_add_co_i32 s2, s21, 7
	s_load_b32 s4, s[0:1], 0x38
	s_ashr_i32 s9, s2, 31
	s_mul_i32 s11, s13, s14
	s_lshr_b32 s9, s9, 29
	s_xor_b32 s3, s3, s15
	s_add_co_i32 s2, s2, s9
	s_sub_co_i32 s9, s10, s11
	s_ashr_i32 s22, s2, 3
	s_add_co_i32 s2, s13, 1
	s_sub_co_i32 s10, s9, s14
	s_cmp_ge_u32 s9, s14
	v_lshrrev_b32_e32 v1, 5, v0
	s_cselect_b32 s2, s2, s13
	s_cselect_b32 s9, s10, s9
	s_add_co_i32 s10, s2, 1
	s_cmp_ge_u32 s9, s14
	v_mbcnt_lo_u32_b32 v32, -1, 0
	s_cselect_b32 s2, s10, s2
	s_wait_dscnt 0x0
	s_xor_b32 s2, s2, s3
	s_wait_kmcnt 0x0
	s_mul_i32 s10, s4, s20
	s_sub_co_i32 s3, s2, s3
	v_cmp_gt_i32_e64 s2, s22, v1
	s_ashr_i32 s11, s10, 31
	s_mov_b32 s4, exec_lo
	s_barrier_signal -1
	s_barrier_wait -1
                                        ; implicit-def: $vgpr27
                                        ; implicit-def: $vgpr33
	v_cmpx_le_i32_e64 s22, v1
	s_xor_b32 s4, exec_lo, s4
; %bb.5:
	v_dual_mov_b32 v27, 0 :: v_dual_mov_b32 v33, 32
	v_mbcnt_lo_u32_b32 v32, -1, 0
                                        ; implicit-def: $vgpr28
; %bb.6:
	s_or_saveexec_b32 s24, s4
	s_clause 0x1
	s_load_b64 s[12:13], s[0:1], 0x28
	s_load_b32 s9, s[0:1], 0x88
	v_mov_b32_e32 v26, 0xff7fffff
	v_lshrrev_b32_e32 v38, 3, v0
	s_mul_i32 s14, s3, s6
	s_xor_b32 exec_lo, exec_lo, s24
	s_cbranch_execz .LBB12_12
; %bb.7:
	s_load_b64 s[26:27], s[0:1], 0x10
	v_bfe_u32 v36, v0, 2, 3
	v_mul_u32_u24_e32 v22, 0x60, v28
	v_xor_b32_e32 v34, 1, v32
	v_xor_b32_e32 v29, 2, v32
	s_ashr_i32 s15, s14, 31
	v_dual_mov_b32 v27, 0 :: v_dual_mov_b32 v33, 32
	v_dual_lshlrev_b32 v26, 4, v36 :: v_dual_lshlrev_b32 v37, 2, v36
	ds_load_b128 v[2:5], v22
	ds_load_b128 v[6:9], v22 offset:16
	ds_load_b128 v[10:13], v22 offset:32
	;; [unrolled: 1-line block ×5, first 2 shown]
	s_lshl_b64 s[28:29], s[14:15], 2
	v_cmp_gt_i32_e64 s3, 32, v29
	s_ashr_i32 s17, s5, 31
	s_cmp_neq_f32 s23, 0
	v_cmp_eq_u32_e32 vcc_lo, 0, v28
	v_lshl_or_b32 v36, v1, 3, v36
	v_cndmask_b32_e64 v29, v32, v29, s3
	v_cmp_gt_i32_e64 s3, 32, v34
	v_mov_b32_e32 v39, v1
	s_wait_kmcnt 0x0
	s_add_nc_u64 s[26:27], s[26:27], s[28:29]
	s_mov_b32 s16, s5
	v_add_nc_u64_e32 v[30:31], s[26:27], v[26:27]
	v_dual_lshlrev_b32 v26, 2, v28 :: v_dual_cndmask_b32 v35, v32, v34, s3
	v_lshlrev_b32_e32 v34, 2, v29
	s_cselect_b32 s3, -1, 0
	s_lshl_b64 s[26:27], s[10:11], 2
	s_mov_b32 s6, 0
	s_delay_alu instid0(VALU_DEP_3)
	v_add_nc_u64_e32 v[28:29], v[30:31], v[26:27]
	v_lshl_or_b32 v30, v1, 5, v37
	v_and_b32_e32 v26, 0x7c, v38
	s_add_nc_u64 s[26:27], s[12:13], s[26:27]
	v_lshlrev_b32_e32 v35, 2, v35
	s_sub_co_i32 s15, 1, s21
	v_add_nc_u32_e32 v37, 0x1a0, v30
	v_add_nc_u64_e32 v[30:31], s[26:27], v[26:27]
	v_mov_b32_e32 v26, 0xff7fffff
	s_branch .LBB12_9
.LBB12_8:                               ;   in Loop: Header=BB12_9 Depth=1
	s_or_b32 exec_lo, exec_lo, s25
	v_dual_add_nc_u32 v39, 4, v39 :: v_dual_add_nc_u32 v36, 32, v36
	v_add_nc_u64_e32 v[30:31], 16, v[30:31]
	v_add_nc_u32_e32 v37, 0x80, v37
	s_delay_alu instid0(VALU_DEP_3) | instskip(SKIP_1) | instid1(SALU_CYCLE_1)
	v_cmp_le_i32_e64 s4, s22, v39
	s_or_b32 s6, s4, s6
	s_and_not1_b32 exec_lo, exec_lo, s6
	s_cbranch_execz .LBB12_11
.LBB12_9:                               ; =>This Inner Loop Header: Depth=1
	global_load_b32 v40, v[30:31], off
	s_wait_loadcnt_dscnt 0x0
	v_ashrrev_i32_e32 v41, 31, v40
	s_delay_alu instid0(VALU_DEP_1) | instskip(NEXT) | instid1(VALU_DEP_1)
	v_mul_u64_e32 v[40:41], s[16:17], v[40:41]
	v_lshl_add_u64 v[40:41], v[40:41], 2, v[28:29]
	s_clause 0x17
	global_load_b32 v42, v[40:41], off offset:128
	global_load_b32 v43, v[40:41], off
	global_load_b32 v44, v[40:41], off offset:256
	global_load_b32 v45, v[40:41], off offset:384
	;; [unrolled: 1-line block ×22, first 2 shown]
	s_wait_loadcnt_dscnt 0x1705
	s_wait_xcnt 0x0
	v_mul_f32_e32 v41, v3, v42
	s_wait_loadcnt 0x16
	s_delay_alu instid0(VALU_DEP_1) | instskip(SKIP_1) | instid1(VALU_DEP_1)
	v_fmac_f32_e32 v41, v2, v43
	s_wait_loadcnt 0x15
	v_fmac_f32_e32 v41, v4, v44
	s_wait_loadcnt 0x14
	s_delay_alu instid0(VALU_DEP_1) | instskip(SKIP_1) | instid1(VALU_DEP_1)
	v_fmac_f32_e32 v41, v5, v45
	s_wait_loadcnt_dscnt 0x1304
	v_fmac_f32_e32 v41, v6, v46
	s_wait_loadcnt 0x12
	s_delay_alu instid0(VALU_DEP_1) | instskip(SKIP_1) | instid1(VALU_DEP_1)
	v_fmac_f32_e32 v41, v7, v47
	s_wait_loadcnt 0x11
	v_fmac_f32_e32 v41, v8, v48
	s_wait_loadcnt 0x10
	s_delay_alu instid0(VALU_DEP_1) | instskip(SKIP_1) | instid1(VALU_DEP_1)
	v_fmac_f32_e32 v41, v9, v49
	s_wait_loadcnt_dscnt 0xf03
	v_fmac_f32_e32 v41, v10, v50
	;; [unrolled: 10-line block ×5, first 2 shown]
	s_wait_loadcnt 0x2
	s_delay_alu instid0(VALU_DEP_1) | instskip(SKIP_1) | instid1(VALU_DEP_1)
	v_fmac_f32_e32 v41, v23, v63
	s_wait_loadcnt 0x1
	v_fmac_f32_e32 v41, v24, v64
	s_wait_loadcnt 0x0
	s_delay_alu instid0(VALU_DEP_1)
	v_fmac_f32_e32 v41, v25, v40
	ds_bpermute_b32 v40, v34, v41
	s_wait_dscnt 0x0
	v_add_f32_e32 v40, v41, v40
	ds_bpermute_b32 v41, v35, v40
	s_and_saveexec_b32 s25, vcc_lo
	s_cbranch_execz .LBB12_8
; %bb.10:                               ;   in Loop: Header=BB12_9 Depth=1
	s_wait_dscnt 0x0
	v_dual_add_nc_u32 v42, s15, v36 :: v_dual_add_f32 v40, v40, v41
	v_cmp_gt_i32_e64 s4, s21, v36
	s_delay_alu instid0(VALU_DEP_2) | instskip(NEXT) | instid1(VALU_DEP_1)
	v_cvt_f32_i32_e32 v42, v42
	v_mul_f32_e32 v42, s23, v42
	s_delay_alu instid0(VALU_DEP_1) | instskip(NEXT) | instid1(VALU_DEP_1)
	v_cndmask_b32_e64 v41, 0, v42, s3
	v_dual_fmac_f32 v41, s7, v40 :: v_dual_max_num_f32 v42, v26, v26
	s_delay_alu instid0(VALU_DEP_1) | instskip(NEXT) | instid1(VALU_DEP_1)
	v_dual_max_num_f32 v40, v42, v41 :: v_dual_cndmask_b32 v41, 0, v41, s4
	v_cndmask_b32_e64 v26, v26, v40, s4
	ds_store_b32 v37, v41
	s_branch .LBB12_8
.LBB12_11:
	s_or_b32 exec_lo, exec_lo, s6
.LBB12_12:
	s_delay_alu instid0(SALU_CYCLE_1)
	s_or_b32 exec_lo, exec_lo, s24
	v_dual_max_num_f32 v5, v26, v26 :: v_dual_bitop2_b32 v2, 16, v32 bitop3:0x14
	s_clause 0x1
	s_load_b64 s[6:7], s[0:1], 0x0
	s_load_b64 s[16:17], s[0:1], 0x18
	v_and_b32_e32 v40, 31, v0
	v_xor_b32_e32 v4, 8, v32
	v_cmp_lt_i32_e32 vcc_lo, v2, v33
	v_cndmask_b32_e32 v2, v32, v2, vcc_lo
	s_delay_alu instid0(VALU_DEP_3) | instskip(NEXT) | instid1(VALU_DEP_2)
	v_cmp_lt_i32_e32 vcc_lo, v4, v33
	v_dual_lshlrev_b32 v2, 2, v2 :: v_dual_cndmask_b32 v4, v32, v4, vcc_lo
	ds_bpermute_b32 v3, v2, v26
	s_wait_dscnt 0x0
	v_dual_max_num_f32 v6, v3, v3 :: v_dual_lshlrev_b32 v3, 2, v4
	s_delay_alu instid0(VALU_DEP_1) | instskip(SKIP_4) | instid1(VALU_DEP_1)
	v_dual_max_num_f32 v4, v5, v6 :: v_dual_bitop2_b32 v6, 4, v32 bitop3:0x14
	ds_bpermute_b32 v5, v3, v4
	v_cmp_lt_i32_e32 vcc_lo, v6, v33
	v_cndmask_b32_e32 v6, v32, v6, vcc_lo
	s_wait_dscnt 0x0
	v_dual_max_num_f32 v5, v5, v5 :: v_dual_lshlrev_b32 v6, 2, v6
	s_delay_alu instid0(VALU_DEP_1)
	v_max_num_f32_e32 v5, v4, v5
	v_lshlrev_b32_e32 v4, 2, v1
	v_cmp_eq_u32_e32 vcc_lo, 0, v40
	ds_bpermute_b32 v7, v6, v5
	s_wait_xcnt 0x0
	s_and_saveexec_b32 s0, vcc_lo
	s_cbranch_execz .LBB12_14
; %bb.13:
	s_wait_dscnt 0x0
	v_dual_max_num_f32 v7, v7, v7 :: v_dual_max_num_f32 v5, v5, v5
	s_delay_alu instid0(VALU_DEP_1)
	v_max_num_f32_e32 v5, v5, v7
	ds_store_b32 v4, v5 offset:384
.LBB12_14:
	s_or_b32 exec_lo, exec_lo, s0
	v_cmp_gt_u32_e64 s0, 4, v40
	v_dual_mov_b32 v8, 0xff7fffff :: v_dual_lshlrev_b32 v5, 2, v40
	s_wait_dscnt 0x0
	s_barrier_signal -1
	s_barrier_wait -1
	s_and_saveexec_b32 s1, s0
; %bb.15:
	ds_load_b32 v8, v5 offset:384
; %bb.16:
	s_or_b32 exec_lo, exec_lo, s1
	v_xor_b32_e32 v10, 1, v32
	v_xor_b32_e32 v7, 2, v32
	s_delay_alu instid0(VALU_DEP_1) | instskip(NEXT) | instid1(VALU_DEP_1)
	v_cmp_lt_i32_e64 s1, v7, v33
	v_cndmask_b32_e64 v7, v32, v7, s1
	s_delay_alu instid0(VALU_DEP_1) | instskip(SKIP_4) | instid1(VALU_DEP_1)
	v_lshlrev_b32_e32 v7, 2, v7
	s_wait_dscnt 0x0
	ds_bpermute_b32 v9, v7, v8
	s_wait_dscnt 0x0
	v_dual_max_num_f32 v8, v8, v8 :: v_dual_max_num_f32 v9, v9, v9
	v_max_num_f32_e32 v8, v8, v9
	v_cmp_lt_i32_e64 s1, v10, v33
	s_delay_alu instid0(VALU_DEP_1) | instskip(SKIP_1) | instid1(SALU_CYCLE_1)
	v_cndmask_b32_e64 v10, v32, v10, s1
	s_lshl_b32 s1, s22, 3
	s_min_i32 s4, s1, s21
	s_delay_alu instid0(VALU_DEP_1) | instskip(SKIP_4) | instid1(VALU_DEP_1)
	v_lshlrev_b32_e32 v41, 2, v10
	v_cmp_gt_i32_e64 s1, s4, v0
	ds_bpermute_b32 v9, v41, v8
	s_wait_dscnt 0x0
	v_max_num_f32_e32 v9, v9, v9
	v_dual_max_num_f32 v8, v8, v9 :: v_dual_lshlrev_b32 v9, 2, v27
	ds_bpermute_b32 v9, v9, v8
	v_mov_b32_e32 v8, 0
	s_and_saveexec_b32 s15, s1
	s_cbranch_execz .LBB12_20
; %bb.17:
	v_lshl_add_u32 v10, v0, 2, 0x1a0
	v_dual_mov_b32 v8, 0 :: v_dual_mov_b32 v11, v0
	s_mov_b32 s23, 0
.LBB12_18:                              ; =>This Inner Loop Header: Depth=1
	ds_load_b32 v12, v10
	v_add_nc_u32_e32 v11, 0x80, v11
	s_delay_alu instid0(VALU_DEP_1) | instskip(SKIP_3) | instid1(VALU_DEP_1)
	v_cmp_le_i32_e64 s3, s4, v11
	s_or_b32 s23, s3, s23
	s_wait_dscnt 0x0
	v_sub_f32_e32 v12, v12, v9
	v_mul_f32_e32 v12, 0x3fb8aa3b, v12
	s_delay_alu instid0(VALU_DEP_1)
	v_exp_f32_e32 v12, v12
	ds_store_b32 v10, v12
	v_nop
	v_add_f32_e32 v8, v8, v12
	v_add_nc_u32_e32 v10, 0x200, v10
	s_and_not1_b32 exec_lo, exec_lo, s23
	s_cbranch_execnz .LBB12_18
; %bb.19:
	s_or_b32 exec_lo, exec_lo, s23
.LBB12_20:
	s_delay_alu instid0(SALU_CYCLE_1)
	s_or_b32 exec_lo, exec_lo, s15
	ds_bpermute_b32 v2, v2, v8
	s_wait_dscnt 0x0
	v_add_f32_e32 v2, v8, v2
	ds_bpermute_b32 v3, v3, v2
	s_wait_dscnt 0x0
	v_add_f32_e32 v2, v2, v3
	;; [unrolled: 3-line block ×5, first 2 shown]
	s_and_saveexec_b32 s3, vcc_lo
; %bb.21:
	ds_store_b32 v4, v2 offset:400
; %bb.22:
	s_or_b32 exec_lo, exec_lo, s3
	s_wait_dscnt 0x0
	s_barrier_signal -1
	s_barrier_wait -1
	s_and_saveexec_b32 s3, s0
; %bb.23:
	ds_load_b32 v2, v5 offset:400
; %bb.24:
	s_or_b32 exec_lo, exec_lo, s3
	s_wait_dscnt 0x0
	ds_bpermute_b32 v3, v7, v2
	s_wait_dscnt 0x0
	v_dual_lshlrev_b32 v4, 2, v32 :: v_dual_add_f32 v2, v2, v3
	ds_bpermute_b32 v3, v41, v2
	s_wait_dscnt 0x0
	v_add_f32_e32 v2, v2, v3
	v_and_b32_e32 v3, 0xffffff80, v4
	ds_bpermute_b32 v2, v3, v2
	s_and_saveexec_b32 s0, s1
	s_cbranch_execz .LBB12_37
; %bb.25:
	s_wait_dscnt 0x0
	v_add_f32_e32 v2, 0x358637bd, v2
	s_mov_b32 s3, -1
	s_mov_b32 s1, exec_lo
	s_delay_alu instid0(VALU_DEP_1) | instskip(NEXT) | instid1(VALU_DEP_1)
	v_div_scale_f32 v3, null, v2, v2, 1.0
	v_rcp_f32_e32 v5, v3
	v_nop
	s_delay_alu instid0(TRANS32_DEP_1) | instskip(NEXT) | instid1(VALU_DEP_1)
	v_fma_f32 v4, -v3, v5, 1.0
	v_fmac_f32_e32 v5, v4, v5
	v_div_scale_f32 v6, vcc_lo, 1.0, v2, 1.0
	s_delay_alu instid0(VALU_DEP_1) | instskip(NEXT) | instid1(VALU_DEP_1)
	v_mul_f32_e32 v7, v6, v5
	v_fma_f32 v4, -v3, v7, v6
	s_delay_alu instid0(VALU_DEP_1) | instskip(SKIP_1) | instid1(VALU_DEP_2)
	v_fmac_f32_e32 v7, v4, v5
	v_xad_u32 v4, v0, -1, s4
	v_fma_f32 v3, -v3, v7, v6
	s_delay_alu instid0(VALU_DEP_1) | instskip(NEXT) | instid1(VALU_DEP_1)
	v_div_fmas_f32 v3, v3, v5, v7
	v_div_fixup_f32 v2, v3, v2, 1.0
	v_mov_b32_e32 v3, v0
	v_cmpx_lt_u32_e32 0x7f, v4
	s_cbranch_execz .LBB12_34
; %bb.26:
	s_delay_alu instid0(VALU_DEP_3) | instskip(NEXT) | instid1(VALU_DEP_1)
	v_dual_mov_b32 v3, v2 :: v_dual_lshrrev_b32 v4, 7, v4
	v_dual_mov_b32 v8, 0 :: v_dual_add_nc_u32 v5, -1, v4
	s_delay_alu instid0(VALU_DEP_1) | instskip(SKIP_1) | instid1(VALU_DEP_2)
	v_lshrrev_b32_e32 v6, 1, v5
	v_cmp_lt_u32_e32 vcc_lo, 13, v5
	v_add_nc_u32_e32 v5, 1, v6
	s_and_saveexec_b32 s3, vcc_lo
	s_cbranch_execz .LBB12_30
; %bb.27:
	s_delay_alu instid0(VALU_DEP_1)
	v_and_b32_e32 v6, -8, v5
	v_lshl_add_u32 v7, v0, 2, 0x1a0
	s_mov_b32 s15, 0
	s_mov_b32 s23, 0
.LBB12_28:                              ; =>This Inner Loop Header: Depth=1
	ds_load_2addr_stride64_b32 v[8:9], v7 offset1:2
	ds_load_2addr_stride64_b32 v[10:11], v7 offset0:4 offset1:6
	ds_load_2addr_stride64_b32 v[12:13], v7 offset0:8 offset1:10
	;; [unrolled: 1-line block ×7, first 2 shown]
	s_add_co_i32 s23, s23, 16
	v_add_nc_u32_e32 v6, -8, v6
	s_wait_dscnt 0x7
	v_pk_mul_f32 v[8:9], v[2:3], v[8:9]
	s_wait_dscnt 0x6
	v_pk_mul_f32 v[10:11], v[2:3], v[10:11]
	;; [unrolled: 2-line block ×8, first 2 shown]
	ds_store_2addr_stride64_b32 v7, v8, v9 offset1:2
	ds_store_2addr_stride64_b32 v7, v10, v11 offset0:4 offset1:6
	ds_store_2addr_stride64_b32 v7, v12, v13 offset0:8 offset1:10
	;; [unrolled: 1-line block ×7, first 2 shown]
	v_mov_b32_e32 v8, s23
	v_cmp_eq_u32_e32 vcc_lo, 0, v6
	v_add_nc_u32_e32 v7, 0x2000, v7
	s_or_b32 s15, vcc_lo, s15
	s_delay_alu instid0(SALU_CYCLE_1)
	s_and_not1_b32 exec_lo, exec_lo, s15
	s_cbranch_execnz .LBB12_28
; %bb.29:
	s_or_b32 exec_lo, exec_lo, s15
.LBB12_30:
	s_delay_alu instid0(SALU_CYCLE_1) | instskip(NEXT) | instid1(VALU_DEP_1)
	s_or_b32 exec_lo, exec_lo, s3
	v_and_b32_e32 v5, 7, v5
	s_mov_b32 s15, 0
	s_mov_b32 s3, exec_lo
	s_delay_alu instid0(VALU_DEP_1)
	v_cmpx_ne_u32_e32 0, v5
	s_cbranch_execz .LBB12_33
; %bb.31:
	v_lshlrev_b32_e32 v6, 9, v8
	v_lshlrev_b32_e32 v7, 2, v0
	s_delay_alu instid0(VALU_DEP_1)
	v_add3_u32 v6, v6, v7, 0x1a0
.LBB12_32:                              ; =>This Inner Loop Header: Depth=1
	ds_load_2addr_stride64_b32 v[8:9], v6 offset1:2
	v_add_nc_u32_e32 v5, -1, v5
	s_delay_alu instid0(VALU_DEP_1)
	v_cmp_eq_u32_e32 vcc_lo, 0, v5
	s_or_b32 s15, vcc_lo, s15
	s_wait_dscnt 0x0
	v_pk_mul_f32 v[8:9], v[2:3], v[8:9]
	ds_store_2addr_stride64_b32 v6, v8, v9 offset1:2
	v_add_nc_u32_e32 v6, 0x400, v6
	s_and_not1_b32 exec_lo, exec_lo, s15
	s_cbranch_execnz .LBB12_32
.LBB12_33:
	s_or_b32 exec_lo, exec_lo, s3
	v_add_nc_u32_e32 v3, 1, v4
	s_delay_alu instid0(VALU_DEP_1) | instskip(NEXT) | instid1(VALU_DEP_1)
	v_and_b32_e32 v4, 0x3fffffe, v3
	v_cmp_ne_u32_e32 vcc_lo, v3, v4
	v_lshl_add_u32 v3, v4, 7, v0
	s_or_not1_b32 s3, vcc_lo, exec_lo
.LBB12_34:
	s_or_b32 exec_lo, exec_lo, s1
	s_delay_alu instid0(SALU_CYCLE_1)
	s_and_b32 exec_lo, exec_lo, s3
	s_cbranch_execz .LBB12_37
; %bb.35:
	v_lshl_add_u32 v4, v3, 2, 0x1a0
	s_mov_b32 s1, 0
.LBB12_36:                              ; =>This Inner Loop Header: Depth=1
	ds_load_b32 v5, v4
	v_add_nc_u32_e32 v3, 0x80, v3
	s_delay_alu instid0(VALU_DEP_1)
	v_cmp_le_i32_e32 vcc_lo, s4, v3
	s_or_b32 s1, vcc_lo, s1
	s_wait_dscnt 0x0
	v_mul_f32_e32 v5, v2, v5
	ds_store_b32 v4, v5
	v_add_nc_u32_e32 v4, 0x200, v4
	s_and_not1_b32 exec_lo, exec_lo, s1
	s_cbranch_execnz .LBB12_36
.LBB12_37:
	s_or_b32 exec_lo, exec_lo, s0
	v_dual_mov_b32 v31, 0 :: v_dual_bitop2_b32 v42, 1, v0 bitop3:0x40
	s_wait_dscnt 0x0
	s_barrier_signal -1
	s_barrier_wait -1
	s_delay_alu instid0(VALU_DEP_1)
	v_dual_mov_b32 v30, v31 :: v_dual_mov_b32 v33, v31
	v_dual_mov_b32 v32, v31 :: v_dual_mov_b32 v35, v31
	v_mov_b32_e32 v34, v31
	s_and_saveexec_b32 s1, s2
	s_cbranch_execz .LBB12_53
; %bb.38:
	v_dual_lshlrev_b32 v2, 2, v0 :: v_dual_lshlrev_b32 v3, 4, v0
	s_ashr_i32 s15, s14, 31
	s_ashr_i32 s3, s5, 31
	s_lshl_b64 s[14:15], s[14:15], 2
	s_delay_alu instid0(VALU_DEP_1)
	v_dual_mov_b32 v31, 0 :: v_dual_bitop2_b32 v2, 4, v2 bitop3:0x40
	v_and_b32_e32 v30, 0x1f0, v3
	s_wait_kmcnt 0x0
	s_add_nc_u64 s[14:15], s[16:17], s[14:15]
	v_lshlrev_b32_e32 v3, 4, v42
	s_mov_b32 s2, s5
	s_lshl_b64 s[4:5], s[10:11], 2
	v_add_nc_u64_e32 v[36:37], s[14:15], v[30:31]
	v_and_b32_e32 v30, 0x7c, v38
	s_add_nc_u64 s[4:5], s[12:13], s[4:5]
	v_lshl_or_b32 v43, v1, 3, v2
	v_dual_mov_b32 v32, v31 :: v_dual_mov_b32 v35, v31
	s_delay_alu instid0(VALU_DEP_3)
	v_add_nc_u64_e32 v[38:39], s[4:5], v[30:31]
	v_mov_b32_e32 v30, v31
	v_lshl_or_b32 v3, v1, 5, v3
	v_dual_mov_b32 v33, v31 :: v_dual_mov_b32 v34, v31
	v_mov_b32_e32 v45, v1
	s_add_co_i32 s4, s22, -1
	s_delay_alu instid0(VALU_DEP_3)
	v_add_nc_u32_e32 v44, 0x1a0, v3
	s_mov_b32 s10, s21
	s_mov_b32 s5, 0
	s_branch .LBB12_40
.LBB12_39:                              ;   in Loop: Header=BB12_40 Depth=1
	s_or_b32 exec_lo, exec_lo, s0
	s_wait_loadcnt_dscnt 0x200
	v_mul_f32_e32 v47, v6, v18
	s_wait_loadcnt 0x1
	v_mul_f32_e32 v46, v6, v22
	v_add_nc_u64_e32 v[38:39], 16, v[38:39]
	v_add_nc_u32_e32 v43, 32, v43
	v_dual_fmac_f32 v47, v7, v19 :: v_dual_add_nc_u32 v44, 0x80, v44
	s_delay_alu instid0(VALU_DEP_4) | instskip(SKIP_3) | instid1(VALU_DEP_3)
	v_dual_fmac_f32 v46, v7, v23 :: v_dual_mul_f32 v14, v6, v14
	s_wait_loadcnt 0x0
	v_pk_mul_f32 v[22:23], v[6:7], v[26:27]
	v_pk_mul_f32 v[18:19], v[8:9], v[28:29]
	v_dual_fmac_f32 v46, v8, v24 :: v_dual_add_nc_u32 v45, 4, v45
	v_dual_mul_f32 v10, v6, v10 :: v_dual_fmac_f32 v14, v7, v15
	v_mul_f32_e32 v2, v6, v2
	s_delay_alu instid0(VALU_DEP_3) | instskip(NEXT) | instid1(VALU_DEP_4)
	v_cmp_le_i32_e32 vcc_lo, s22, v45
	v_fmac_f32_e32 v46, v9, v25
	s_delay_alu instid0(VALU_DEP_4) | instskip(NEXT) | instid1(VALU_DEP_4)
	v_dual_fmac_f32 v10, v7, v11 :: v_dual_fmac_f32 v47, v8, v20
	v_fmac_f32_e32 v2, v7, v3
	v_dual_add_f32 v3, v23, v22 :: v_dual_fmac_f32 v14, v8, v16
	s_delay_alu instid0(VALU_DEP_3) | instskip(NEXT) | instid1(VALU_DEP_3)
	v_dual_fmac_f32 v10, v8, v12 :: v_dual_add_f32 v30, v30, v46
	v_dual_fmac_f32 v47, v9, v21 :: v_dual_fmac_f32 v2, v8, v4
	s_delay_alu instid0(VALU_DEP_3) | instskip(SKIP_1) | instid1(VALU_DEP_2)
	v_dual_add_f32 v3, v18, v3 :: v_dual_fmac_f32 v14, v9, v17
	s_or_b32 s5, vcc_lo, s5
	v_add_f32_e32 v33, v33, v47
	s_delay_alu instid0(VALU_DEP_2) | instskip(NEXT) | instid1(VALU_DEP_3)
	v_dual_add_f32 v3, v19, v3 :: v_dual_fmac_f32 v10, v9, v13
	v_dual_add_f32 v32, v32, v14 :: v_dual_fmac_f32 v2, v9, v5
	s_delay_alu instid0(VALU_DEP_2) | instskip(NEXT) | instid1(VALU_DEP_3)
	v_add_f32_e32 v31, v31, v3
	v_add_f32_e32 v35, v35, v10
	s_delay_alu instid0(VALU_DEP_3)
	v_add_f32_e32 v34, v34, v2
	s_and_not1_b32 exec_lo, exec_lo, s5
	s_cbranch_execz .LBB12_52
.LBB12_40:                              ; =>This Inner Loop Header: Depth=1
	global_load_b32 v2, v[38:39], off
	ds_load_b128 v[6:9], v44
	v_cmp_eq_u32_e32 vcc_lo, s4, v45
	v_or_b32_e32 v47, 3, v43
	v_dual_add_nc_u32 v48, 1, v43 :: v_dual_bitop2_b32 v46, 2, v43 bitop3:0x54
	s_wait_loadcnt 0x0
	v_ashrrev_i32_e32 v3, 31, v2
	s_delay_alu instid0(VALU_DEP_1) | instskip(NEXT) | instid1(VALU_DEP_1)
	v_mul_u64_e32 v[2:3], s[2:3], v[2:3]
	v_lshl_add_u64 v[26:27], v[2:3], 2, v[36:37]
	global_load_b128 v[2:5], v[26:27], off
	s_wait_xcnt 0x0
	s_and_saveexec_b32 s11, vcc_lo
	s_cbranch_execnz .LBB12_46
; %bb.41:                               ;   in Loop: Header=BB12_40 Depth=1
	s_or_b32 exec_lo, exec_lo, s11
	global_load_b128 v[10:13], v[26:27], off offset:512
	s_wait_xcnt 0x0
	s_and_saveexec_b32 s11, vcc_lo
	s_cbranch_execnz .LBB12_47
.LBB12_42:                              ;   in Loop: Header=BB12_40 Depth=1
	s_or_b32 exec_lo, exec_lo, s11
	global_load_b128 v[14:17], v[26:27], off offset:1024
	s_wait_xcnt 0x0
	s_and_saveexec_b32 s11, vcc_lo
	s_cbranch_execnz .LBB12_48
.LBB12_43:                              ;   in Loop: Header=BB12_40 Depth=1
	s_or_b32 exec_lo, exec_lo, s11
	global_load_b128 v[18:21], v[26:27], off offset:1536
	s_wait_xcnt 0x0
	s_and_saveexec_b32 s11, vcc_lo
	s_cbranch_execnz .LBB12_49
.LBB12_44:                              ;   in Loop: Header=BB12_40 Depth=1
	s_or_b32 exec_lo, exec_lo, s11
	global_load_b128 v[22:25], v[26:27], off offset:2048
	s_wait_xcnt 0x0
	s_and_saveexec_b32 s11, vcc_lo
	s_cbranch_execnz .LBB12_50
.LBB12_45:                              ;   in Loop: Header=BB12_40 Depth=1
	s_or_b32 exec_lo, exec_lo, s11
	global_load_b128 v[26:29], v[26:27], off offset:2560
	s_wait_xcnt 0x0
	s_and_saveexec_b32 s0, vcc_lo
	s_cbranch_execz .LBB12_39
	s_branch .LBB12_51
.LBB12_46:                              ;   in Loop: Header=BB12_40 Depth=1
	v_cmp_gt_i32_e64 s0, s10, v48
	s_wait_loadcnt 0x0
	s_delay_alu instid0(VALU_DEP_1) | instskip(SKIP_1) | instid1(VALU_DEP_1)
	v_cndmask_b32_e64 v3, 0, v3, s0
	v_cmp_gt_i32_e64 s0, s21, v43
	v_cndmask_b32_e64 v2, 0, v2, s0
	v_cmp_gt_i32_e64 s0, s10, v47
	s_delay_alu instid0(VALU_DEP_1) | instskip(SKIP_1) | instid1(VALU_DEP_1)
	v_cndmask_b32_e64 v5, 0, v5, s0
	v_cmp_gt_i32_e64 s0, s21, v46
	v_cndmask_b32_e64 v4, 0, v4, s0
	s_or_b32 exec_lo, exec_lo, s11
	global_load_b128 v[10:13], v[26:27], off offset:512
	s_wait_xcnt 0x0
	s_and_saveexec_b32 s11, vcc_lo
	s_cbranch_execz .LBB12_42
.LBB12_47:                              ;   in Loop: Header=BB12_40 Depth=1
	v_cmp_gt_i32_e64 s0, s10, v48
	s_wait_loadcnt 0x0
	s_delay_alu instid0(VALU_DEP_1) | instskip(SKIP_1) | instid1(VALU_DEP_1)
	v_cndmask_b32_e64 v11, 0, v11, s0
	v_cmp_gt_i32_e64 s0, s21, v43
	v_cndmask_b32_e64 v10, 0, v10, s0
	v_cmp_gt_i32_e64 s0, s10, v47
	s_delay_alu instid0(VALU_DEP_1) | instskip(SKIP_1) | instid1(VALU_DEP_1)
	v_cndmask_b32_e64 v13, 0, v13, s0
	v_cmp_gt_i32_e64 s0, s21, v46
	v_cndmask_b32_e64 v12, 0, v12, s0
	s_or_b32 exec_lo, exec_lo, s11
	global_load_b128 v[14:17], v[26:27], off offset:1024
	s_wait_xcnt 0x0
	s_and_saveexec_b32 s11, vcc_lo
	s_cbranch_execz .LBB12_43
.LBB12_48:                              ;   in Loop: Header=BB12_40 Depth=1
	v_cmp_gt_i32_e64 s0, s10, v48
	s_wait_loadcnt 0x0
	s_delay_alu instid0(VALU_DEP_1) | instskip(SKIP_1) | instid1(VALU_DEP_1)
	v_cndmask_b32_e64 v15, 0, v15, s0
	v_cmp_gt_i32_e64 s0, s21, v43
	v_cndmask_b32_e64 v14, 0, v14, s0
	v_cmp_gt_i32_e64 s0, s10, v47
	s_delay_alu instid0(VALU_DEP_1) | instskip(SKIP_1) | instid1(VALU_DEP_1)
	v_cndmask_b32_e64 v17, 0, v17, s0
	v_cmp_gt_i32_e64 s0, s21, v46
	v_cndmask_b32_e64 v16, 0, v16, s0
	s_or_b32 exec_lo, exec_lo, s11
	global_load_b128 v[18:21], v[26:27], off offset:1536
	s_wait_xcnt 0x0
	s_and_saveexec_b32 s11, vcc_lo
	s_cbranch_execz .LBB12_44
.LBB12_49:                              ;   in Loop: Header=BB12_40 Depth=1
	v_cmp_gt_i32_e64 s0, s10, v48
	s_wait_loadcnt 0x0
	s_delay_alu instid0(VALU_DEP_1) | instskip(SKIP_1) | instid1(VALU_DEP_1)
	v_cndmask_b32_e64 v19, 0, v19, s0
	v_cmp_gt_i32_e64 s0, s21, v43
	v_cndmask_b32_e64 v18, 0, v18, s0
	v_cmp_gt_i32_e64 s0, s10, v47
	s_delay_alu instid0(VALU_DEP_1) | instskip(SKIP_1) | instid1(VALU_DEP_1)
	v_cndmask_b32_e64 v21, 0, v21, s0
	v_cmp_gt_i32_e64 s0, s21, v46
	v_cndmask_b32_e64 v20, 0, v20, s0
	s_or_b32 exec_lo, exec_lo, s11
	global_load_b128 v[22:25], v[26:27], off offset:2048
	s_wait_xcnt 0x0
	s_and_saveexec_b32 s11, vcc_lo
	s_cbranch_execz .LBB12_45
.LBB12_50:                              ;   in Loop: Header=BB12_40 Depth=1
	v_cmp_gt_i32_e64 s0, s10, v48
	s_wait_loadcnt 0x0
	s_delay_alu instid0(VALU_DEP_1) | instskip(SKIP_1) | instid1(VALU_DEP_1)
	v_cndmask_b32_e64 v23, 0, v23, s0
	v_cmp_gt_i32_e64 s0, s21, v43
	v_cndmask_b32_e64 v22, 0, v22, s0
	v_cmp_gt_i32_e64 s0, s10, v47
	s_delay_alu instid0(VALU_DEP_1) | instskip(SKIP_1) | instid1(VALU_DEP_1)
	v_cndmask_b32_e64 v25, 0, v25, s0
	v_cmp_gt_i32_e64 s0, s21, v46
	v_cndmask_b32_e64 v24, 0, v24, s0
	s_or_b32 exec_lo, exec_lo, s11
	global_load_b128 v[26:29], v[26:27], off offset:2560
	s_wait_xcnt 0x0
	s_and_saveexec_b32 s0, vcc_lo
	s_cbranch_execz .LBB12_39
.LBB12_51:                              ;   in Loop: Header=BB12_40 Depth=1
	v_cmp_gt_i32_e32 vcc_lo, s10, v48
	s_wait_loadcnt 0x0
	v_cndmask_b32_e32 v27, 0, v27, vcc_lo
	v_cmp_gt_i32_e32 vcc_lo, s21, v43
	v_cndmask_b32_e32 v26, 0, v26, vcc_lo
	v_cmp_gt_i32_e32 vcc_lo, s10, v47
	;; [unrolled: 2-line block ×3, first 2 shown]
	v_cndmask_b32_e32 v28, 0, v28, vcc_lo
	s_branch .LBB12_39
.LBB12_52:
	s_or_b32 exec_lo, exec_lo, s5
.LBB12_53:
	s_delay_alu instid0(SALU_CYCLE_1)
	s_or_b32 exec_lo, exec_lo, s1
	ds_bpermute_b32 v2, v41, v34
	ds_bpermute_b32 v3, v41, v35
	;; [unrolled: 1-line block ×6, first 2 shown]
	v_and_b32_e32 v8, 0x3c1, v0
	v_lshrrev_b32_e32 v9, 1, v40
	s_mov_b32 s0, exec_lo
	s_wait_dscnt 0x0
	s_barrier_signal -1
	s_barrier_wait -1
	v_pk_add_f32 v[4:5], v[34:35], v[2:3]
	v_pk_add_f32 v[2:3], v[32:33], v[10:11]
	v_cmpx_ne_u32_e32 64, v8
	s_xor_b32 s0, exec_lo, s0
	s_delay_alu instid0(SALU_CYCLE_1)
	s_or_saveexec_b32 s0, s0
	v_pk_add_f32 v[6:7], v[30:31], v[6:7]
	v_lshl_add_u32 v8, v9, 2, 0x1a0
	v_mul_u32_u24_e32 v1, 0x180, v1
	s_xor_b32 exec_lo, exec_lo, s0
	s_cbranch_execz .LBB12_55
; %bb.54:
	s_delay_alu instid0(VALU_DEP_1) | instskip(NEXT) | instid1(VALU_DEP_1)
	v_add_nc_u32_e32 v10, v8, v1
	v_add_nc_u32_e32 v11, 0xfffffd00, v10
	;; [unrolled: 1-line block ×7, first 2 shown]
	ds_store_b32 v11, v4
	ds_store_b32 v12, v5
	;; [unrolled: 1-line block ×6, first 2 shown]
.LBB12_55:
	s_or_b32 exec_lo, exec_lo, s0
	v_lshlrev_b32_e32 v9, 2, v9
	s_mov_b32 s1, exec_lo
	v_cmp_eq_u32_e32 vcc_lo, 0, v42
	s_wait_dscnt 0x0
	s_barrier_signal -1
	v_add3_u32 v1, 0x1a0, v1, v9
	s_barrier_wait -1
	v_cmpx_gt_u32_e32 64, v0
	s_cbranch_execz .LBB12_64
; %bb.56:
	s_and_saveexec_b32 s0, vcc_lo
	s_cbranch_execnz .LBB12_78
; %bb.57:
	s_or_b32 exec_lo, exec_lo, s0
	s_and_saveexec_b32 s0, vcc_lo
	s_cbranch_execnz .LBB12_79
.LBB12_58:
	s_or_b32 exec_lo, exec_lo, s0
	s_and_saveexec_b32 s0, vcc_lo
	s_cbranch_execnz .LBB12_80
.LBB12_59:
	s_or_b32 exec_lo, exec_lo, s0
	s_and_saveexec_b32 s0, vcc_lo
	s_cbranch_execnz .LBB12_81
.LBB12_60:
	s_or_b32 exec_lo, exec_lo, s0
	s_and_saveexec_b32 s0, vcc_lo
	s_cbranch_execnz .LBB12_82
.LBB12_61:
	s_or_b32 exec_lo, exec_lo, s0
	s_and_saveexec_b32 s0, vcc_lo
	s_cbranch_execz .LBB12_63
.LBB12_62:
	ds_load_b32 v9, v1 offset:320
	s_wait_dscnt 0x0
	v_add_f32_e32 v7, v7, v9
.LBB12_63:
	s_or_b32 exec_lo, exec_lo, s0
.LBB12_64:
	s_delay_alu instid0(SALU_CYCLE_1) | instskip(SKIP_4) | instid1(VALU_DEP_1)
	s_or_b32 exec_lo, exec_lo, s1
	v_and_b32_e32 v9, 0x3e1, v0
	s_mov_b32 s1, exec_lo
	s_barrier_signal -1
	s_barrier_wait -1
	v_cmpx_eq_u32_e32 32, v9
	s_cbranch_execz .LBB12_66
; %bb.65:
	ds_store_2addr_b32 v8, v4, v5 offset1:16
	ds_store_2addr_b32 v8, v2, v3 offset0:32 offset1:48
	ds_store_2addr_b32 v8, v6, v7 offset0:64 offset1:80
.LBB12_66:
	s_or_b32 exec_lo, exec_lo, s1
	s_delay_alu instid0(SALU_CYCLE_1)
	s_mov_b32 s1, exec_lo
	s_wait_dscnt 0x0
	s_barrier_signal -1
	s_barrier_wait -1
	v_cmpx_gt_u32_e32 32, v0
	s_cbranch_execz .LBB12_75
; %bb.67:
	s_and_saveexec_b32 s0, vcc_lo
	s_cbranch_execnz .LBB12_83
; %bb.68:
	s_or_b32 exec_lo, exec_lo, s0
	s_and_saveexec_b32 s0, vcc_lo
	s_cbranch_execnz .LBB12_84
.LBB12_69:
	s_or_b32 exec_lo, exec_lo, s0
	s_and_saveexec_b32 s0, vcc_lo
	s_cbranch_execnz .LBB12_85
.LBB12_70:
	s_or_b32 exec_lo, exec_lo, s0
	s_and_saveexec_b32 s0, vcc_lo
	s_cbranch_execnz .LBB12_86
.LBB12_71:
	s_or_b32 exec_lo, exec_lo, s0
	s_and_saveexec_b32 s0, vcc_lo
	s_cbranch_execnz .LBB12_87
.LBB12_72:
	s_or_b32 exec_lo, exec_lo, s0
	s_and_saveexec_b32 s0, vcc_lo
	s_cbranch_execz .LBB12_74
.LBB12_73:
	ds_load_b32 v1, v1 offset:320
	s_wait_dscnt 0x0
	v_add_f32_e32 v7, v7, v1
.LBB12_74:
	s_or_b32 exec_lo, exec_lo, s0
.LBB12_75:
	s_delay_alu instid0(SALU_CYCLE_1)
	s_or_b32 exec_lo, exec_lo, s1
	s_mov_b32 s1, 0
	s_barrier_signal -1
	s_barrier_wait -1
	s_mov_b32 s0, exec_lo
	v_cmpx_eq_u32_e32 0, v9
	s_cbranch_execz .LBB12_77
; %bb.76:
	s_wait_kmcnt 0x0
	s_mul_i32 s0, s20, s9
	s_mul_i32 s2, s9, s8
	;; [unrolled: 1-line block ×3, first 2 shown]
	s_lshr_b32 s8, ttmp7, 16
	s_mul_i32 s4, s0, 0x60
	s_bfe_u32 s0, ttmp6, 0x40014
	s_ashr_i32 s5, s4, 31
	s_add_co_i32 s0, s0, 1
	s_lshl_b64 s[4:5], s[4:5], 2
	s_ashr_i32 s3, s2, 31
	s_add_nc_u64 s[4:5], s[6:7], s[4:5]
	s_mul_i32 s0, s8, s0
	s_bfe_u32 s6, ttmp6, 0x40008
	s_lshl_b64 s[2:3], s[2:3], 2
	s_add_co_i32 s6, s6, s0
	s_cmp_eq_u32 s18, 0
	v_lshlrev_b32_e32 v0, 1, v0
	s_cselect_b32 s0, s8, s6
	s_add_nc_u64 s[2:3], s[4:5], s[2:3]
	s_mulk_i32 s0, 0x180
	s_delay_alu instid0(SALU_CYCLE_1)
	s_add_nc_u64 s[0:1], s[2:3], s[0:1]
	s_clause 0x5
	global_store_b32 v0, v4, s[0:1]
	global_store_b32 v0, v5, s[0:1] offset:64
	global_store_b32 v0, v2, s[0:1] offset:128
	;; [unrolled: 1-line block ×5, first 2 shown]
.LBB12_77:
	s_sendmsg sendmsg(MSG_DEALLOC_VGPRS)
	s_endpgm
.LBB12_78:
	ds_load_b32 v9, v1
	s_wait_dscnt 0x0
	v_add_f32_e32 v4, v4, v9
	s_or_b32 exec_lo, exec_lo, s0
	s_and_saveexec_b32 s0, vcc_lo
	s_cbranch_execz .LBB12_58
.LBB12_79:
	ds_load_b32 v9, v1 offset:64
	s_wait_dscnt 0x0
	v_add_f32_e32 v5, v5, v9
	s_or_b32 exec_lo, exec_lo, s0
	s_and_saveexec_b32 s0, vcc_lo
	s_cbranch_execz .LBB12_59
.LBB12_80:
	ds_load_b32 v9, v1 offset:128
	s_wait_dscnt 0x0
	v_add_f32_e32 v2, v2, v9
	s_or_b32 exec_lo, exec_lo, s0
	s_and_saveexec_b32 s0, vcc_lo
	s_cbranch_execz .LBB12_60
.LBB12_81:
	ds_load_b32 v9, v1 offset:192
	s_wait_dscnt 0x0
	v_add_f32_e32 v3, v3, v9
	s_or_b32 exec_lo, exec_lo, s0
	s_and_saveexec_b32 s0, vcc_lo
	s_cbranch_execz .LBB12_61
.LBB12_82:
	ds_load_b32 v9, v1 offset:256
	s_wait_dscnt 0x0
	v_add_f32_e32 v6, v6, v9
	s_or_b32 exec_lo, exec_lo, s0
	s_and_saveexec_b32 s0, vcc_lo
	s_cbranch_execnz .LBB12_62
	s_branch .LBB12_63
.LBB12_83:
	ds_load_b32 v8, v1
	s_wait_dscnt 0x0
	v_add_f32_e32 v4, v4, v8
	s_or_b32 exec_lo, exec_lo, s0
	s_and_saveexec_b32 s0, vcc_lo
	s_cbranch_execz .LBB12_69
.LBB12_84:
	ds_load_b32 v8, v1 offset:64
	s_wait_dscnt 0x0
	v_add_f32_e32 v5, v5, v8
	s_or_b32 exec_lo, exec_lo, s0
	s_and_saveexec_b32 s0, vcc_lo
	s_cbranch_execz .LBB12_70
.LBB12_85:
	ds_load_b32 v8, v1 offset:128
	s_wait_dscnt 0x0
	v_add_f32_e32 v2, v2, v8
	s_or_b32 exec_lo, exec_lo, s0
	s_and_saveexec_b32 s0, vcc_lo
	s_cbranch_execz .LBB12_71
.LBB12_86:
	ds_load_b32 v8, v1 offset:192
	s_wait_dscnt 0x0
	v_add_f32_e32 v3, v3, v8
	s_or_b32 exec_lo, exec_lo, s0
	s_and_saveexec_b32 s0, vcc_lo
	s_cbranch_execz .LBB12_72
.LBB12_87:
	ds_load_b32 v8, v1 offset:256
	s_wait_dscnt 0x0
	v_add_f32_e32 v6, v6, v8
	s_or_b32 exec_lo, exec_lo, s0
	s_and_saveexec_b32 s0, vcc_lo
	s_cbranch_execnz .LBB12_73
	s_branch .LBB12_74
	.section	.rodata,"a",@progbits
	.p2align	6, 0x0
	.amdhsa_kernel _ZN4vllm25paged_attention_v1_kernelIffLi96ELi8ELi128ELNS_18Fp8KVCacheDataTypeE0ELb0EEEvPT_PKS2_PKT0_S8_ifPKiSA_iPKfiiiSC_SC_iiiii
		.amdhsa_group_segment_fixed_size 416
		.amdhsa_private_segment_fixed_size 0
		.amdhsa_kernarg_size 384
		.amdhsa_user_sgpr_count 2
		.amdhsa_user_sgpr_dispatch_ptr 0
		.amdhsa_user_sgpr_queue_ptr 0
		.amdhsa_user_sgpr_kernarg_segment_ptr 1
		.amdhsa_user_sgpr_dispatch_id 0
		.amdhsa_user_sgpr_kernarg_preload_length 0
		.amdhsa_user_sgpr_kernarg_preload_offset 0
		.amdhsa_user_sgpr_private_segment_size 0
		.amdhsa_wavefront_size32 1
		.amdhsa_uses_dynamic_stack 0
		.amdhsa_enable_private_segment 0
		.amdhsa_system_sgpr_workgroup_id_x 1
		.amdhsa_system_sgpr_workgroup_id_y 1
		.amdhsa_system_sgpr_workgroup_id_z 1
		.amdhsa_system_sgpr_workgroup_info 0
		.amdhsa_system_vgpr_workitem_id 0
		.amdhsa_next_free_vgpr 65
		.amdhsa_next_free_sgpr 30
		.amdhsa_named_barrier_count 0
		.amdhsa_reserve_vcc 1
		.amdhsa_float_round_mode_32 0
		.amdhsa_float_round_mode_16_64 0
		.amdhsa_float_denorm_mode_32 3
		.amdhsa_float_denorm_mode_16_64 3
		.amdhsa_fp16_overflow 0
		.amdhsa_memory_ordered 1
		.amdhsa_forward_progress 1
		.amdhsa_inst_pref_size 44
		.amdhsa_round_robin_scheduling 0
		.amdhsa_exception_fp_ieee_invalid_op 0
		.amdhsa_exception_fp_denorm_src 0
		.amdhsa_exception_fp_ieee_div_zero 0
		.amdhsa_exception_fp_ieee_overflow 0
		.amdhsa_exception_fp_ieee_underflow 0
		.amdhsa_exception_fp_ieee_inexact 0
		.amdhsa_exception_int_div_zero 0
	.end_amdhsa_kernel
	.section	.text._ZN4vllm25paged_attention_v1_kernelIffLi96ELi8ELi128ELNS_18Fp8KVCacheDataTypeE0ELb0EEEvPT_PKS2_PKT0_S8_ifPKiSA_iPKfiiiSC_SC_iiiii,"axG",@progbits,_ZN4vllm25paged_attention_v1_kernelIffLi96ELi8ELi128ELNS_18Fp8KVCacheDataTypeE0ELb0EEEvPT_PKS2_PKT0_S8_ifPKiSA_iPKfiiiSC_SC_iiiii,comdat
.Lfunc_end12:
	.size	_ZN4vllm25paged_attention_v1_kernelIffLi96ELi8ELi128ELNS_18Fp8KVCacheDataTypeE0ELb0EEEvPT_PKS2_PKT0_S8_ifPKiSA_iPKfiiiSC_SC_iiiii, .Lfunc_end12-_ZN4vllm25paged_attention_v1_kernelIffLi96ELi8ELi128ELNS_18Fp8KVCacheDataTypeE0ELb0EEEvPT_PKS2_PKT0_S8_ifPKiSA_iPKfiiiSC_SC_iiiii
                                        ; -- End function
	.set _ZN4vllm25paged_attention_v1_kernelIffLi96ELi8ELi128ELNS_18Fp8KVCacheDataTypeE0ELb0EEEvPT_PKS2_PKT0_S8_ifPKiSA_iPKfiiiSC_SC_iiiii.num_vgpr, 65
	.set _ZN4vllm25paged_attention_v1_kernelIffLi96ELi8ELi128ELNS_18Fp8KVCacheDataTypeE0ELb0EEEvPT_PKS2_PKT0_S8_ifPKiSA_iPKfiiiSC_SC_iiiii.num_agpr, 0
	.set _ZN4vllm25paged_attention_v1_kernelIffLi96ELi8ELi128ELNS_18Fp8KVCacheDataTypeE0ELb0EEEvPT_PKS2_PKT0_S8_ifPKiSA_iPKfiiiSC_SC_iiiii.numbered_sgpr, 30
	.set _ZN4vllm25paged_attention_v1_kernelIffLi96ELi8ELi128ELNS_18Fp8KVCacheDataTypeE0ELb0EEEvPT_PKS2_PKT0_S8_ifPKiSA_iPKfiiiSC_SC_iiiii.num_named_barrier, 0
	.set _ZN4vllm25paged_attention_v1_kernelIffLi96ELi8ELi128ELNS_18Fp8KVCacheDataTypeE0ELb0EEEvPT_PKS2_PKT0_S8_ifPKiSA_iPKfiiiSC_SC_iiiii.private_seg_size, 0
	.set _ZN4vllm25paged_attention_v1_kernelIffLi96ELi8ELi128ELNS_18Fp8KVCacheDataTypeE0ELb0EEEvPT_PKS2_PKT0_S8_ifPKiSA_iPKfiiiSC_SC_iiiii.uses_vcc, 1
	.set _ZN4vllm25paged_attention_v1_kernelIffLi96ELi8ELi128ELNS_18Fp8KVCacheDataTypeE0ELb0EEEvPT_PKS2_PKT0_S8_ifPKiSA_iPKfiiiSC_SC_iiiii.uses_flat_scratch, 0
	.set _ZN4vllm25paged_attention_v1_kernelIffLi96ELi8ELi128ELNS_18Fp8KVCacheDataTypeE0ELb0EEEvPT_PKS2_PKT0_S8_ifPKiSA_iPKfiiiSC_SC_iiiii.has_dyn_sized_stack, 0
	.set _ZN4vllm25paged_attention_v1_kernelIffLi96ELi8ELi128ELNS_18Fp8KVCacheDataTypeE0ELb0EEEvPT_PKS2_PKT0_S8_ifPKiSA_iPKfiiiSC_SC_iiiii.has_recursion, 0
	.set _ZN4vllm25paged_attention_v1_kernelIffLi96ELi8ELi128ELNS_18Fp8KVCacheDataTypeE0ELb0EEEvPT_PKS2_PKT0_S8_ifPKiSA_iPKfiiiSC_SC_iiiii.has_indirect_call, 0
	.section	.AMDGPU.csdata,"",@progbits
; Kernel info:
; codeLenInByte = 5516
; TotalNumSgprs: 32
; NumVgprs: 65
; ScratchSize: 0
; MemoryBound: 0
; FloatMode: 240
; IeeeMode: 1
; LDSByteSize: 416 bytes/workgroup (compile time only)
; SGPRBlocks: 0
; VGPRBlocks: 4
; NumSGPRsForWavesPerEU: 32
; NumVGPRsForWavesPerEU: 65
; NamedBarCnt: 0
; Occupancy: 12
; WaveLimiterHint : 1
; COMPUTE_PGM_RSRC2:SCRATCH_EN: 0
; COMPUTE_PGM_RSRC2:USER_SGPR: 2
; COMPUTE_PGM_RSRC2:TRAP_HANDLER: 0
; COMPUTE_PGM_RSRC2:TGID_X_EN: 1
; COMPUTE_PGM_RSRC2:TGID_Y_EN: 1
; COMPUTE_PGM_RSRC2:TGID_Z_EN: 1
; COMPUTE_PGM_RSRC2:TIDIG_COMP_CNT: 0
	.section	.text._ZN4vllm25paged_attention_v1_kernelIffLi112ELi8ELi128ELNS_18Fp8KVCacheDataTypeE0ELb0EEEvPT_PKS2_PKT0_S8_ifPKiSA_iPKfiiiSC_SC_iiiii,"axG",@progbits,_ZN4vllm25paged_attention_v1_kernelIffLi112ELi8ELi128ELNS_18Fp8KVCacheDataTypeE0ELb0EEEvPT_PKS2_PKT0_S8_ifPKiSA_iPKfiiiSC_SC_iiiii,comdat
	.protected	_ZN4vllm25paged_attention_v1_kernelIffLi112ELi8ELi128ELNS_18Fp8KVCacheDataTypeE0ELb0EEEvPT_PKS2_PKT0_S8_ifPKiSA_iPKfiiiSC_SC_iiiii ; -- Begin function _ZN4vllm25paged_attention_v1_kernelIffLi112ELi8ELi128ELNS_18Fp8KVCacheDataTypeE0ELb0EEEvPT_PKS2_PKT0_S8_ifPKiSA_iPKfiiiSC_SC_iiiii
	.globl	_ZN4vllm25paged_attention_v1_kernelIffLi112ELi8ELi128ELNS_18Fp8KVCacheDataTypeE0ELb0EEEvPT_PKS2_PKT0_S8_ifPKiSA_iPKfiiiSC_SC_iiiii
	.p2align	8
	.type	_ZN4vllm25paged_attention_v1_kernelIffLi112ELi8ELi128ELNS_18Fp8KVCacheDataTypeE0ELb0EEEvPT_PKS2_PKT0_S8_ifPKiSA_iPKfiiiSC_SC_iiiii,@function
_ZN4vllm25paged_attention_v1_kernelIffLi112ELi8ELi128ELNS_18Fp8KVCacheDataTypeE0ELb0EEEvPT_PKS2_PKT0_S8_ifPKiSA_iPKfiiiSC_SC_iiiii: ; @_ZN4vllm25paged_attention_v1_kernelIffLi112ELi8ELi128ELNS_18Fp8KVCacheDataTypeE0ELb0EEEvPT_PKS2_PKT0_S8_ifPKiSA_iPKfiiiSC_SC_iiiii
; %bb.0:
	s_load_b64 s[6:7], s[0:1], 0x20
	s_bfe_u32 s3, ttmp6, 0x4000c
	s_bfe_u32 s5, ttmp6, 0x40010
	s_and_b32 s4, ttmp7, 0xffff
	s_add_co_i32 s3, s3, 1
	s_add_co_i32 s5, s5, 1
	s_and_b32 s2, ttmp6, 15
	s_bfe_u32 s8, ttmp6, 0x40004
	s_mul_i32 s3, ttmp9, s3
	s_mul_i32 s5, s4, s5
	s_getreg_b32 s18, hwreg(HW_REG_IB_STS2, 6, 4)
	s_add_co_i32 s2, s2, s3
	s_add_co_i32 s3, s8, s5
	s_cmp_eq_u32 s18, 0
	s_clause 0x1
	s_load_b32 s19, s[0:1], 0x80
	s_load_b64 s[8:9], s[0:1], 0x30
	s_cselect_b32 s20, s4, s3
	s_cselect_b32 s2, ttmp9, s2
	s_wait_kmcnt 0x0
	s_abs_i32 s3, s6
	s_delay_alu instid0(SALU_CYCLE_1) | instskip(SKIP_1) | instid1(SALU_CYCLE_2)
	s_cvt_f32_u32 s4, s3
	s_sub_co_i32 s5, 0, s3
	v_rcp_iflag_f32_e32 v1, s4
	s_abs_i32 s10, s19
	v_nop
	s_delay_alu instid0(TRANS32_DEP_1) | instskip(SKIP_1) | instid1(SALU_CYCLE_3)
	v_readfirstlane_b32 s4, v1
	s_mul_f32 s4, s4, 0x4f7ffffe
	s_cvt_u32_f32 s4, s4
	s_delay_alu instid0(SALU_CYCLE_3) | instskip(NEXT) | instid1(SALU_CYCLE_1)
	s_mul_i32 s5, s5, s4
	s_mul_hi_u32 s5, s4, s5
	s_delay_alu instid0(SALU_CYCLE_1) | instskip(SKIP_4) | instid1(SALU_CYCLE_1)
	s_add_co_i32 s4, s4, s5
	s_xor_b32 s5, s19, s6
	s_mul_hi_u32 s4, s10, s4
	s_ashr_i32 s5, s5, 31
	s_mul_i32 s6, s4, s3
	s_sub_co_i32 s6, s10, s6
	s_add_co_i32 s10, s4, 1
	s_sub_co_i32 s11, s6, s3
	s_cmp_ge_u32 s6, s3
	s_cselect_b32 s4, s10, s4
	s_cselect_b32 s6, s11, s6
	s_add_co_i32 s10, s4, 1
	s_cmp_ge_u32 s6, s3
	s_mov_b32 s11, 0
	s_cselect_b32 s3, s10, s4
	s_abs_i32 s10, s2
	s_xor_b32 s3, s3, s5
	s_mov_b32 s13, s11
	s_sub_co_i32 s15, s3, s5
	s_load_b64 s[4:5], s[0:1], 0x40
	s_abs_i32 s14, s15
	s_mov_b32 s23, s11
	s_cvt_f32_u32 s3, s14
	s_sub_co_i32 s6, 0, s14
	s_delay_alu instid0(SALU_CYCLE_2) | instskip(SKIP_1) | instid1(TRANS32_DEP_1)
	v_rcp_iflag_f32_e32 v1, s3
	v_nop
	v_readfirstlane_b32 s3, v1
	s_mul_f32 s3, s3, 0x4f7ffffe
	s_delay_alu instid0(SALU_CYCLE_3) | instskip(NEXT) | instid1(SALU_CYCLE_3)
	s_cvt_u32_f32 s3, s3
	s_mul_i32 s6, s6, s3
	s_delay_alu instid0(SALU_CYCLE_1) | instskip(NEXT) | instid1(SALU_CYCLE_1)
	s_mul_hi_u32 s6, s3, s6
	s_add_co_i32 s12, s3, s6
	s_wait_kmcnt 0x0
	s_cmp_eq_u64 s[4:5], 0
	s_cbranch_scc1 .LBB13_2
; %bb.1:
	s_ashr_i32 s3, s2, 31
	s_delay_alu instid0(SALU_CYCLE_1) | instskip(NEXT) | instid1(SALU_CYCLE_1)
	s_lshl_b64 s[16:17], s[2:3], 2
	s_add_nc_u64 s[4:5], s[4:5], s[16:17]
	s_load_b32 s23, s[4:5], 0x0
.LBB13_2:
	s_load_b32 s21, s[8:9], s20 offset:0x0 scale_offset
	s_wait_xcnt 0x0
	s_load_b96 s[4:6], s[0:1], 0x48
	v_and_b32_e32 v34, 3, v0
	s_ashr_i32 s3, s2, 31
	s_ashr_i32 s15, s15, 31
	s_mul_u64 s[12:13], s[10:11], s[12:13]
	s_mul_i32 s8, s2, 0x70
	s_mov_b32 s2, exec_lo
	v_cmpx_gt_u32_e32 0x70, v0
	s_cbranch_execz .LBB13_4
; %bb.3:
	s_load_b64 s[16:17], s[0:1], 0x8
	s_wait_kmcnt 0x0
	s_mul_i32 s24, s4, s20
	s_ashr_i32 s9, s8, 31
	s_ashr_i32 s25, s24, 31
	v_and_b32_e32 v2, 0x3fc, v0
	s_lshl_b64 s[24:25], s[24:25], 2
	s_delay_alu instid0(VALU_DEP_1) | instskip(SKIP_2) | instid1(SALU_CYCLE_1)
	v_mad_u32_u24 v2, 0x70, v34, v2
	s_add_nc_u64 s[16:17], s[16:17], s[24:25]
	s_lshl_b64 s[24:25], s[8:9], 2
	s_add_nc_u64 s[16:17], s[16:17], s[24:25]
	global_load_b32 v1, v0, s[16:17] scale_offset
	s_wait_loadcnt 0x0
	ds_store_b32 v2, v1
.LBB13_4:
	s_or_b32 exec_lo, exec_lo, s2
	s_wait_kmcnt 0x0
	s_add_co_i32 s2, s21, 7
	s_load_b32 s4, s[0:1], 0x38
	s_ashr_i32 s9, s2, 31
	s_mul_i32 s11, s13, s14
	s_lshr_b32 s9, s9, 29
	s_xor_b32 s3, s3, s15
	s_add_co_i32 s2, s2, s9
	s_sub_co_i32 s9, s10, s11
	s_ashr_i32 s22, s2, 3
	s_add_co_i32 s2, s13, 1
	s_sub_co_i32 s10, s9, s14
	s_cmp_ge_u32 s9, s14
	v_lshrrev_b32_e32 v1, 5, v0
	s_cselect_b32 s2, s2, s13
	s_cselect_b32 s9, s10, s9
	s_add_co_i32 s10, s2, 1
	s_cmp_ge_u32 s9, s14
	v_mbcnt_lo_u32_b32 v36, -1, 0
	s_cselect_b32 s2, s10, s2
	s_wait_dscnt 0x0
	s_xor_b32 s2, s2, s3
	s_wait_kmcnt 0x0
	s_mul_i32 s10, s4, s20
	s_sub_co_i32 s3, s2, s3
	v_cmp_gt_i32_e64 s2, s22, v1
	s_ashr_i32 s11, s10, 31
	s_mov_b32 s4, exec_lo
	s_barrier_signal -1
	s_barrier_wait -1
                                        ; implicit-def: $vgpr31
                                        ; implicit-def: $vgpr37
	v_cmpx_le_i32_e64 s22, v1
	s_xor_b32 s4, exec_lo, s4
; %bb.5:
	v_dual_mov_b32 v31, 0 :: v_dual_mov_b32 v37, 32
	v_mbcnt_lo_u32_b32 v36, -1, 0
                                        ; implicit-def: $vgpr34
; %bb.6:
	s_or_saveexec_b32 s24, s4
	s_clause 0x1
	s_load_b64 s[12:13], s[0:1], 0x28
	s_load_b32 s9, s[0:1], 0x88
	v_mov_b32_e32 v30, 0xff7fffff
	v_lshrrev_b32_e32 v44, 3, v0
	s_mul_i32 s14, s3, s6
	s_xor_b32 exec_lo, exec_lo, s24
	s_cbranch_execz .LBB13_12
; %bb.7:
	s_load_b64 s[26:27], s[0:1], 0x10
	v_bfe_u32 v35, v0, 2, 3
	v_xor_b32_e32 v27, 2, v36
	v_mul_u32_u24_e32 v26, 0x70, v34
	s_ashr_i32 s15, s14, 31
	v_dual_mov_b32 v31, 0 :: v_dual_mov_b32 v37, 32
	v_lshlrev_b32_e32 v30, 4, v35
	v_cmp_gt_i32_e32 vcc_lo, 32, v27
	v_xor_b32_e32 v28, 1, v36
	ds_load_b128 v[2:5], v26
	ds_load_b128 v[6:9], v26 offset:16
	ds_load_b128 v[10:13], v26 offset:32
	;; [unrolled: 1-line block ×5, first 2 shown]
	s_lshl_b64 s[28:29], s[14:15], 2
	s_ashr_i32 s17, s5, 31
	v_cndmask_b32_e32 v38, v36, v27, vcc_lo
	v_cmp_gt_i32_e32 vcc_lo, 32, v28
	v_lshlrev_b32_e32 v40, 2, v35
	s_cmp_neq_f32 s23, 0
	s_mov_b32 s16, s5
	v_dual_cndmask_b32 v39, v36, v28 :: v_dual_lshlrev_b32 v38, 2, v38
	s_wait_kmcnt 0x0
	s_add_nc_u64 s[26:27], s[26:27], s[28:29]
	ds_load_b128 v[26:29], v26 offset:96
	v_add_nc_u64_e32 v[32:33], s[26:27], v[30:31]
	v_lshlrev_b32_e32 v30, 2, v34
	v_cmp_eq_u32_e32 vcc_lo, 0, v34
	v_lshl_or_b32 v34, v1, 5, v40
	s_cselect_b32 s3, -1, 0
	s_lshl_b64 s[26:27], s[10:11], 2
	v_lshl_or_b32 v40, v1, 3, v35
	v_add_nc_u64_e32 v[32:33], v[32:33], v[30:31]
	v_and_b32_e32 v30, 0x7c, v44
	s_add_nc_u64 s[26:27], s[12:13], s[26:27]
	v_dual_mov_b32 v42, v1 :: v_dual_add_nc_u32 v41, 0x1e0, v34
	v_lshlrev_b32_e32 v39, 2, v39
	s_delay_alu instid0(VALU_DEP_3)
	v_add_nc_u64_e32 v[34:35], s[26:27], v[30:31]
	v_mov_b32_e32 v30, 0xff7fffff
	s_mov_b32 s6, 0
	s_sub_co_i32 s15, 1, s21
	s_branch .LBB13_9
.LBB13_8:                               ;   in Loop: Header=BB13_9 Depth=1
	s_or_b32 exec_lo, exec_lo, s25
	v_dual_add_nc_u32 v42, 4, v42 :: v_dual_add_nc_u32 v40, 32, v40
	v_add_nc_u64_e32 v[34:35], 16, v[34:35]
	v_add_nc_u32_e32 v41, 0x80, v41
	s_delay_alu instid0(VALU_DEP_3) | instskip(SKIP_1) | instid1(SALU_CYCLE_1)
	v_cmp_le_i32_e64 s4, s22, v42
	s_or_b32 s6, s4, s6
	s_and_not1_b32 exec_lo, exec_lo, s6
	s_cbranch_execz .LBB13_11
.LBB13_9:                               ; =>This Inner Loop Header: Depth=1
	global_load_b32 v46, v[34:35], off
	s_wait_loadcnt 0x0
	v_ashrrev_i32_e32 v47, 31, v46
	s_delay_alu instid0(VALU_DEP_1) | instskip(NEXT) | instid1(VALU_DEP_1)
	v_mul_u64_e32 v[46:47], s[16:17], v[46:47]
	v_lshl_add_u64 v[46:47], v[46:47], 2, v[32:33]
	global_load_b32 v43, v[46:47], off offset:128
	s_wait_dscnt 0x0
	s_clause 0x1a
	global_load_b32 v45, v[46:47], off offset:256
	global_load_b32 v48, v[46:47], off offset:384
	;; [unrolled: 1-line block ×6, first 2 shown]
	global_load_b32 v53, v[46:47], off
	global_load_b32 v54, v[46:47], off offset:1024
	global_load_b32 v55, v[46:47], off offset:1152
	;; [unrolled: 1-line block ×20, first 2 shown]
	s_wait_loadcnt_dscnt 0x1b06
	v_mul_f32_e32 v43, v3, v43
	s_wait_loadcnt 0x14
	s_delay_alu instid0(VALU_DEP_1) | instskip(NEXT) | instid1(VALU_DEP_1)
	v_fmac_f32_e32 v43, v2, v53
	v_fmac_f32_e32 v43, v4, v45
	s_delay_alu instid0(VALU_DEP_1) | instskip(SKIP_1) | instid1(VALU_DEP_1)
	v_fmac_f32_e32 v43, v5, v48
	s_wait_dscnt 0x5
	v_fmac_f32_e32 v43, v6, v49
	s_delay_alu instid0(VALU_DEP_1) | instskip(NEXT) | instid1(VALU_DEP_1)
	v_fmac_f32_e32 v43, v7, v50
	v_fmac_f32_e32 v43, v8, v51
	s_delay_alu instid0(VALU_DEP_1) | instskip(SKIP_1) | instid1(VALU_DEP_1)
	v_fmac_f32_e32 v43, v9, v52
	s_wait_loadcnt_dscnt 0x1304
	v_fmac_f32_e32 v43, v10, v54
	s_wait_loadcnt 0x12
	s_delay_alu instid0(VALU_DEP_1) | instskip(SKIP_1) | instid1(VALU_DEP_1)
	v_fmac_f32_e32 v43, v11, v55
	s_wait_loadcnt 0x11
	v_fmac_f32_e32 v43, v12, v56
	s_wait_loadcnt 0x10
	s_delay_alu instid0(VALU_DEP_1) | instskip(SKIP_1) | instid1(VALU_DEP_1)
	v_fmac_f32_e32 v43, v13, v57
	s_wait_loadcnt_dscnt 0xf03
	v_fmac_f32_e32 v43, v14, v58
	s_wait_loadcnt 0xe
	s_delay_alu instid0(VALU_DEP_1) | instskip(SKIP_1) | instid1(VALU_DEP_1)
	v_fmac_f32_e32 v43, v15, v59
	s_wait_loadcnt 0xd
	v_fmac_f32_e32 v43, v16, v60
	s_wait_loadcnt 0xc
	;; [unrolled: 10-line block ×5, first 2 shown]
	s_delay_alu instid0(VALU_DEP_1)
	v_fmac_f32_e32 v43, v29, v46
	ds_bpermute_b32 v45, v38, v43
	s_wait_dscnt 0x0
	v_add_f32_e32 v43, v43, v45
	ds_bpermute_b32 v45, v39, v43
	s_wait_xcnt 0x0
	s_and_saveexec_b32 s25, vcc_lo
	s_cbranch_execz .LBB13_8
; %bb.10:                               ;   in Loop: Header=BB13_9 Depth=1
	s_wait_dscnt 0x0
	v_dual_add_f32 v43, v43, v45 :: v_dual_add_nc_u32 v46, s15, v40
	v_cmp_gt_i32_e64 s4, s21, v40
	s_delay_alu instid0(VALU_DEP_2) | instskip(NEXT) | instid1(VALU_DEP_1)
	v_cvt_f32_i32_e32 v46, v46
	v_mul_f32_e32 v46, s23, v46
	s_delay_alu instid0(VALU_DEP_1) | instskip(NEXT) | instid1(VALU_DEP_1)
	v_cndmask_b32_e64 v45, 0, v46, s3
	v_dual_fmac_f32 v45, s7, v43 :: v_dual_max_num_f32 v46, v30, v30
	s_delay_alu instid0(VALU_DEP_1) | instskip(NEXT) | instid1(VALU_DEP_1)
	v_dual_max_num_f32 v43, v46, v45 :: v_dual_cndmask_b32 v45, 0, v45, s4
	v_cndmask_b32_e64 v30, v30, v43, s4
	ds_store_b32 v41, v45
	s_branch .LBB13_8
.LBB13_11:
	s_or_b32 exec_lo, exec_lo, s6
.LBB13_12:
	s_delay_alu instid0(SALU_CYCLE_1)
	s_or_b32 exec_lo, exec_lo, s24
	v_dual_max_num_f32 v5, v30, v30 :: v_dual_bitop2_b32 v2, 16, v36 bitop3:0x14
	s_clause 0x1
	s_load_b64 s[6:7], s[0:1], 0x0
	s_load_b64 s[16:17], s[0:1], 0x18
	v_and_b32_e32 v46, 31, v0
	v_xor_b32_e32 v4, 8, v36
	v_cmp_lt_i32_e32 vcc_lo, v2, v37
	v_cndmask_b32_e32 v2, v36, v2, vcc_lo
	s_delay_alu instid0(VALU_DEP_3) | instskip(NEXT) | instid1(VALU_DEP_2)
	v_cmp_lt_i32_e32 vcc_lo, v4, v37
	v_dual_lshlrev_b32 v2, 2, v2 :: v_dual_cndmask_b32 v4, v36, v4, vcc_lo
	ds_bpermute_b32 v3, v2, v30
	s_wait_dscnt 0x0
	v_dual_max_num_f32 v6, v3, v3 :: v_dual_lshlrev_b32 v3, 2, v4
	s_delay_alu instid0(VALU_DEP_1) | instskip(SKIP_4) | instid1(VALU_DEP_1)
	v_dual_max_num_f32 v4, v5, v6 :: v_dual_bitop2_b32 v6, 4, v36 bitop3:0x14
	ds_bpermute_b32 v5, v3, v4
	v_cmp_lt_i32_e32 vcc_lo, v6, v37
	v_cndmask_b32_e32 v6, v36, v6, vcc_lo
	s_wait_dscnt 0x0
	v_dual_max_num_f32 v5, v5, v5 :: v_dual_lshlrev_b32 v6, 2, v6
	s_delay_alu instid0(VALU_DEP_1)
	v_max_num_f32_e32 v5, v4, v5
	v_lshlrev_b32_e32 v4, 2, v1
	v_cmp_eq_u32_e32 vcc_lo, 0, v46
	ds_bpermute_b32 v7, v6, v5
	s_wait_xcnt 0x0
	s_and_saveexec_b32 s0, vcc_lo
	s_cbranch_execz .LBB13_14
; %bb.13:
	s_wait_dscnt 0x0
	v_dual_max_num_f32 v7, v7, v7 :: v_dual_max_num_f32 v5, v5, v5
	s_delay_alu instid0(VALU_DEP_1)
	v_max_num_f32_e32 v5, v5, v7
	ds_store_b32 v4, v5 offset:448
.LBB13_14:
	s_or_b32 exec_lo, exec_lo, s0
	v_cmp_gt_u32_e64 s0, 4, v46
	v_dual_mov_b32 v8, 0xff7fffff :: v_dual_lshlrev_b32 v5, 2, v46
	s_wait_dscnt 0x0
	s_barrier_signal -1
	s_barrier_wait -1
	s_and_saveexec_b32 s1, s0
; %bb.15:
	ds_load_b32 v8, v5 offset:448
; %bb.16:
	s_or_b32 exec_lo, exec_lo, s1
	v_xor_b32_e32 v10, 1, v36
	v_xor_b32_e32 v7, 2, v36
	s_delay_alu instid0(VALU_DEP_1) | instskip(NEXT) | instid1(VALU_DEP_1)
	v_cmp_lt_i32_e64 s1, v7, v37
	v_cndmask_b32_e64 v7, v36, v7, s1
	s_delay_alu instid0(VALU_DEP_1) | instskip(SKIP_4) | instid1(VALU_DEP_1)
	v_lshlrev_b32_e32 v7, 2, v7
	s_wait_dscnt 0x0
	ds_bpermute_b32 v9, v7, v8
	s_wait_dscnt 0x0
	v_dual_max_num_f32 v8, v8, v8 :: v_dual_max_num_f32 v9, v9, v9
	v_max_num_f32_e32 v8, v8, v9
	v_cmp_lt_i32_e64 s1, v10, v37
	s_delay_alu instid0(VALU_DEP_1) | instskip(SKIP_1) | instid1(SALU_CYCLE_1)
	v_cndmask_b32_e64 v10, v36, v10, s1
	s_lshl_b32 s1, s22, 3
	s_min_i32 s4, s1, s21
	s_delay_alu instid0(VALU_DEP_1) | instskip(SKIP_4) | instid1(VALU_DEP_1)
	v_lshlrev_b32_e32 v47, 2, v10
	v_cmp_gt_i32_e64 s1, s4, v0
	ds_bpermute_b32 v9, v47, v8
	s_wait_dscnt 0x0
	v_max_num_f32_e32 v9, v9, v9
	v_dual_max_num_f32 v8, v8, v9 :: v_dual_lshlrev_b32 v9, 2, v31
	ds_bpermute_b32 v9, v9, v8
	v_mov_b32_e32 v8, 0
	s_and_saveexec_b32 s15, s1
	s_cbranch_execz .LBB13_20
; %bb.17:
	v_lshl_add_u32 v10, v0, 2, 0x1e0
	v_dual_mov_b32 v8, 0 :: v_dual_mov_b32 v11, v0
	s_mov_b32 s23, 0
.LBB13_18:                              ; =>This Inner Loop Header: Depth=1
	ds_load_b32 v12, v10
	v_add_nc_u32_e32 v11, 0x80, v11
	s_delay_alu instid0(VALU_DEP_1) | instskip(SKIP_3) | instid1(VALU_DEP_1)
	v_cmp_le_i32_e64 s3, s4, v11
	s_or_b32 s23, s3, s23
	s_wait_dscnt 0x0
	v_sub_f32_e32 v12, v12, v9
	v_mul_f32_e32 v12, 0x3fb8aa3b, v12
	s_delay_alu instid0(VALU_DEP_1)
	v_exp_f32_e32 v12, v12
	ds_store_b32 v10, v12
	v_nop
	v_add_f32_e32 v8, v8, v12
	v_add_nc_u32_e32 v10, 0x200, v10
	s_and_not1_b32 exec_lo, exec_lo, s23
	s_cbranch_execnz .LBB13_18
; %bb.19:
	s_or_b32 exec_lo, exec_lo, s23
.LBB13_20:
	s_delay_alu instid0(SALU_CYCLE_1)
	s_or_b32 exec_lo, exec_lo, s15
	ds_bpermute_b32 v2, v2, v8
	s_wait_dscnt 0x0
	v_add_f32_e32 v2, v8, v2
	ds_bpermute_b32 v3, v3, v2
	s_wait_dscnt 0x0
	v_add_f32_e32 v2, v2, v3
	;; [unrolled: 3-line block ×5, first 2 shown]
	s_and_saveexec_b32 s3, vcc_lo
; %bb.21:
	ds_store_b32 v4, v2 offset:464
; %bb.22:
	s_or_b32 exec_lo, exec_lo, s3
	s_wait_dscnt 0x0
	s_barrier_signal -1
	s_barrier_wait -1
	s_and_saveexec_b32 s3, s0
; %bb.23:
	ds_load_b32 v2, v5 offset:464
; %bb.24:
	s_or_b32 exec_lo, exec_lo, s3
	s_wait_dscnt 0x0
	ds_bpermute_b32 v3, v7, v2
	s_wait_dscnt 0x0
	v_dual_lshlrev_b32 v4, 2, v36 :: v_dual_add_f32 v2, v2, v3
	ds_bpermute_b32 v3, v47, v2
	s_wait_dscnt 0x0
	v_add_f32_e32 v2, v2, v3
	v_and_b32_e32 v3, 0xffffff80, v4
	ds_bpermute_b32 v2, v3, v2
	s_and_saveexec_b32 s0, s1
	s_cbranch_execz .LBB13_37
; %bb.25:
	s_wait_dscnt 0x0
	v_add_f32_e32 v2, 0x358637bd, v2
	s_mov_b32 s3, -1
	s_mov_b32 s1, exec_lo
	s_delay_alu instid0(VALU_DEP_1) | instskip(NEXT) | instid1(VALU_DEP_1)
	v_div_scale_f32 v3, null, v2, v2, 1.0
	v_rcp_f32_e32 v5, v3
	v_nop
	s_delay_alu instid0(TRANS32_DEP_1) | instskip(NEXT) | instid1(VALU_DEP_1)
	v_fma_f32 v4, -v3, v5, 1.0
	v_fmac_f32_e32 v5, v4, v5
	v_div_scale_f32 v6, vcc_lo, 1.0, v2, 1.0
	s_delay_alu instid0(VALU_DEP_1) | instskip(NEXT) | instid1(VALU_DEP_1)
	v_mul_f32_e32 v7, v6, v5
	v_fma_f32 v4, -v3, v7, v6
	s_delay_alu instid0(VALU_DEP_1) | instskip(SKIP_1) | instid1(VALU_DEP_2)
	v_fmac_f32_e32 v7, v4, v5
	v_xad_u32 v4, v0, -1, s4
	v_fma_f32 v3, -v3, v7, v6
	s_delay_alu instid0(VALU_DEP_1) | instskip(NEXT) | instid1(VALU_DEP_1)
	v_div_fmas_f32 v3, v3, v5, v7
	v_div_fixup_f32 v2, v3, v2, 1.0
	v_mov_b32_e32 v3, v0
	v_cmpx_lt_u32_e32 0x7f, v4
	s_cbranch_execz .LBB13_34
; %bb.26:
	s_delay_alu instid0(VALU_DEP_3) | instskip(NEXT) | instid1(VALU_DEP_1)
	v_dual_mov_b32 v3, v2 :: v_dual_lshrrev_b32 v4, 7, v4
	v_dual_mov_b32 v8, 0 :: v_dual_add_nc_u32 v5, -1, v4
	s_delay_alu instid0(VALU_DEP_1) | instskip(SKIP_1) | instid1(VALU_DEP_2)
	v_lshrrev_b32_e32 v6, 1, v5
	v_cmp_lt_u32_e32 vcc_lo, 13, v5
	v_add_nc_u32_e32 v5, 1, v6
	s_and_saveexec_b32 s3, vcc_lo
	s_cbranch_execz .LBB13_30
; %bb.27:
	s_delay_alu instid0(VALU_DEP_1)
	v_and_b32_e32 v6, -8, v5
	v_lshl_add_u32 v7, v0, 2, 0x1e0
	s_mov_b32 s15, 0
	s_mov_b32 s23, 0
.LBB13_28:                              ; =>This Inner Loop Header: Depth=1
	ds_load_2addr_stride64_b32 v[8:9], v7 offset1:2
	ds_load_2addr_stride64_b32 v[10:11], v7 offset0:4 offset1:6
	ds_load_2addr_stride64_b32 v[12:13], v7 offset0:8 offset1:10
	;; [unrolled: 1-line block ×7, first 2 shown]
	s_add_co_i32 s23, s23, 16
	v_add_nc_u32_e32 v6, -8, v6
	s_wait_dscnt 0x7
	v_pk_mul_f32 v[8:9], v[2:3], v[8:9]
	s_wait_dscnt 0x6
	v_pk_mul_f32 v[10:11], v[2:3], v[10:11]
	;; [unrolled: 2-line block ×8, first 2 shown]
	ds_store_2addr_stride64_b32 v7, v8, v9 offset1:2
	ds_store_2addr_stride64_b32 v7, v10, v11 offset0:4 offset1:6
	ds_store_2addr_stride64_b32 v7, v12, v13 offset0:8 offset1:10
	;; [unrolled: 1-line block ×7, first 2 shown]
	v_mov_b32_e32 v8, s23
	v_cmp_eq_u32_e32 vcc_lo, 0, v6
	v_add_nc_u32_e32 v7, 0x2000, v7
	s_or_b32 s15, vcc_lo, s15
	s_delay_alu instid0(SALU_CYCLE_1)
	s_and_not1_b32 exec_lo, exec_lo, s15
	s_cbranch_execnz .LBB13_28
; %bb.29:
	s_or_b32 exec_lo, exec_lo, s15
.LBB13_30:
	s_delay_alu instid0(SALU_CYCLE_1) | instskip(NEXT) | instid1(VALU_DEP_1)
	s_or_b32 exec_lo, exec_lo, s3
	v_and_b32_e32 v5, 7, v5
	s_mov_b32 s15, 0
	s_mov_b32 s3, exec_lo
	s_delay_alu instid0(VALU_DEP_1)
	v_cmpx_ne_u32_e32 0, v5
	s_cbranch_execz .LBB13_33
; %bb.31:
	v_lshlrev_b32_e32 v6, 9, v8
	v_lshlrev_b32_e32 v7, 2, v0
	s_delay_alu instid0(VALU_DEP_1)
	v_add3_u32 v6, v6, v7, 0x1e0
.LBB13_32:                              ; =>This Inner Loop Header: Depth=1
	ds_load_2addr_stride64_b32 v[8:9], v6 offset1:2
	v_add_nc_u32_e32 v5, -1, v5
	s_delay_alu instid0(VALU_DEP_1)
	v_cmp_eq_u32_e32 vcc_lo, 0, v5
	s_or_b32 s15, vcc_lo, s15
	s_wait_dscnt 0x0
	v_pk_mul_f32 v[8:9], v[2:3], v[8:9]
	ds_store_2addr_stride64_b32 v6, v8, v9 offset1:2
	v_add_nc_u32_e32 v6, 0x400, v6
	s_and_not1_b32 exec_lo, exec_lo, s15
	s_cbranch_execnz .LBB13_32
.LBB13_33:
	s_or_b32 exec_lo, exec_lo, s3
	v_add_nc_u32_e32 v3, 1, v4
	s_delay_alu instid0(VALU_DEP_1) | instskip(NEXT) | instid1(VALU_DEP_1)
	v_and_b32_e32 v4, 0x3fffffe, v3
	v_cmp_ne_u32_e32 vcc_lo, v3, v4
	v_lshl_add_u32 v3, v4, 7, v0
	s_or_not1_b32 s3, vcc_lo, exec_lo
.LBB13_34:
	s_or_b32 exec_lo, exec_lo, s1
	s_delay_alu instid0(SALU_CYCLE_1)
	s_and_b32 exec_lo, exec_lo, s3
	s_cbranch_execz .LBB13_37
; %bb.35:
	v_lshl_add_u32 v4, v3, 2, 0x1e0
	s_mov_b32 s1, 0
.LBB13_36:                              ; =>This Inner Loop Header: Depth=1
	ds_load_b32 v5, v4
	v_add_nc_u32_e32 v3, 0x80, v3
	s_delay_alu instid0(VALU_DEP_1)
	v_cmp_le_i32_e32 vcc_lo, s4, v3
	s_or_b32 s1, vcc_lo, s1
	s_wait_dscnt 0x0
	v_mul_f32_e32 v5, v2, v5
	ds_store_b32 v4, v5
	v_add_nc_u32_e32 v4, 0x200, v4
	s_and_not1_b32 exec_lo, exec_lo, s1
	s_cbranch_execnz .LBB13_36
.LBB13_37:
	s_or_b32 exec_lo, exec_lo, s0
	v_dual_mov_b32 v37, 0 :: v_dual_bitop2_b32 v48, 1, v0 bitop3:0x40
	v_dual_mov_b32 v36, 0 :: v_dual_mov_b32 v39, 0
	v_dual_mov_b32 v38, 0 :: v_dual_mov_b32 v41, 0
	;; [unrolled: 1-line block ×3, first 2 shown]
	s_wait_dscnt 0x0
	s_barrier_signal -1
	s_barrier_wait -1
	s_and_saveexec_b32 s1, s2
	s_cbranch_execz .LBB13_55
; %bb.38:
	v_dual_lshlrev_b32 v2, 2, v0 :: v_dual_lshlrev_b32 v3, 4, v0
	s_ashr_i32 s15, s14, 31
	s_ashr_i32 s3, s5, 31
	s_lshl_b64 s[14:15], s[14:15], 2
	s_delay_alu instid0(VALU_DEP_1)
	v_dual_mov_b32 v35, 0 :: v_dual_bitop2_b32 v2, 4, v2 bitop3:0x40
	v_and_b32_e32 v34, 0x1f0, v3
	v_lshlrev_b32_e32 v3, 4, v48
	s_wait_kmcnt 0x0
	s_add_nc_u64 s[14:15], s[16:17], s[14:15]
	s_mov_b32 s2, s5
	s_lshl_b64 s[4:5], s[10:11], 2
	v_add_nc_u64_e32 v[42:43], s[14:15], v[34:35]
	v_and_b32_e32 v34, 0x7c, v44
	v_mov_b32_e32 v37, v35
	v_lshl_or_b32 v3, v1, 5, v3
	s_add_nc_u64 s[4:5], s[12:13], s[4:5]
	v_lshl_or_b32 v49, v1, 3, v2
	v_add_nc_u64_e32 v[44:45], s[4:5], v[34:35]
	v_dual_mov_b32 v36, v35 :: v_dual_mov_b32 v38, v35
	v_dual_mov_b32 v39, v35 :: v_dual_add_nc_u32 v50, 0x1e0, v3
	v_dual_mov_b32 v41, v35 :: v_dual_mov_b32 v40, v35
	v_mov_b32_e32 v34, v1
	s_add_co_i32 s4, s22, -1
	s_mov_b32 s10, s21
	s_mov_b32 s5, 0
	s_branch .LBB13_40
.LBB13_39:                              ;   in Loop: Header=BB13_40 Depth=1
	s_or_b32 exec_lo, exec_lo, s0
	s_wait_loadcnt_dscnt 0x200
	v_mul_f32_e32 v52, v6, v22
	s_wait_loadcnt 0x1
	v_mul_f32_e32 v51, v6, v26
	v_add_nc_u64_e32 v[44:45], 16, v[44:45]
	v_add_nc_u32_e32 v50, 0x80, v50
	v_dual_add_nc_u32 v34, 4, v34 :: v_dual_fmac_f32 v52, v7, v23
	s_delay_alu instid0(VALU_DEP_4)
	v_dual_fmac_f32 v51, v7, v27 :: v_dual_mul_f32 v18, v6, v18
	v_mul_f32_e32 v14, v6, v14
	s_wait_loadcnt 0x0
	v_pk_mul_f32 v[22:23], v[6:7], v[30:31]
	v_fmac_f32_e32 v52, v8, v24
	v_dual_fmac_f32 v51, v8, v28 :: v_dual_mul_f32 v10, v6, v10
	v_dual_fmac_f32 v18, v7, v19 :: v_dual_mul_f32 v2, v6, v2
	s_delay_alu instid0(VALU_DEP_2) | instskip(NEXT) | instid1(VALU_DEP_3)
	v_dual_fmac_f32 v14, v7, v15 :: v_dual_fmac_f32 v51, v9, v29
	v_fmac_f32_e32 v10, v7, v11
	v_pk_mul_f32 v[26:27], v[8:9], v[32:33]
	s_delay_alu instid0(VALU_DEP_4) | instskip(SKIP_2) | instid1(VALU_DEP_3)
	v_dual_fmac_f32 v52, v9, v25 :: v_dual_fmac_f32 v18, v8, v20
	v_fmac_f32_e32 v2, v7, v3
	v_dual_add_f32 v37, v37, v51 :: v_dual_add_f32 v3, v23, v22
	v_dual_add_f32 v36, v36, v52 :: v_dual_fmac_f32 v18, v9, v21
	s_delay_alu instid0(VALU_DEP_3) | instskip(SKIP_1) | instid1(VALU_DEP_4)
	v_fmac_f32_e32 v2, v8, v4
	v_cmp_le_i32_e32 vcc_lo, s22, v34
	v_dual_add_f32 v3, v26, v3 :: v_dual_fmac_f32 v14, v8, v16
	s_delay_alu instid0(VALU_DEP_4) | instskip(SKIP_1) | instid1(VALU_DEP_2)
	v_dual_add_f32 v39, v39, v18 :: v_dual_fmac_f32 v10, v8, v12
	s_or_b32 s5, vcc_lo, s5
	v_dual_add_f32 v3, v27, v3 :: v_dual_fmac_f32 v2, v9, v5
	s_delay_alu instid0(VALU_DEP_1) | instskip(NEXT) | instid1(VALU_DEP_2)
	v_dual_add_nc_u32 v49, 32, v49 :: v_dual_add_f32 v35, v35, v3
	v_dual_fmac_f32 v14, v9, v17 :: v_dual_add_f32 v40, v40, v2
	s_delay_alu instid0(VALU_DEP_1) | instskip(NEXT) | instid1(VALU_DEP_1)
	v_dual_fmac_f32 v10, v9, v13 :: v_dual_add_f32 v38, v38, v14
	v_add_f32_e32 v41, v41, v10
	s_and_not1_b32 exec_lo, exec_lo, s5
	s_cbranch_execz .LBB13_54
.LBB13_40:                              ; =>This Inner Loop Header: Depth=1
	global_load_b32 v2, v[44:45], off
	ds_load_b128 v[6:9], v50
	v_cmp_eq_u32_e32 vcc_lo, s4, v34
	v_or_b32_e32 v52, 3, v49
	v_dual_add_nc_u32 v53, 1, v49 :: v_dual_bitop2_b32 v51, 2, v49 bitop3:0x54
	s_wait_loadcnt 0x0
	v_ashrrev_i32_e32 v3, 31, v2
	s_delay_alu instid0(VALU_DEP_1) | instskip(NEXT) | instid1(VALU_DEP_1)
	v_mul_u64_e32 v[2:3], s[2:3], v[2:3]
	v_lshl_add_u64 v[30:31], v[2:3], 2, v[42:43]
	global_load_b128 v[2:5], v[30:31], off
	s_wait_xcnt 0x0
	s_and_saveexec_b32 s11, vcc_lo
	s_cbranch_execnz .LBB13_47
; %bb.41:                               ;   in Loop: Header=BB13_40 Depth=1
	s_or_b32 exec_lo, exec_lo, s11
	global_load_b128 v[10:13], v[30:31], off offset:512
	s_wait_xcnt 0x0
	s_and_saveexec_b32 s11, vcc_lo
	s_cbranch_execnz .LBB13_48
.LBB13_42:                              ;   in Loop: Header=BB13_40 Depth=1
	s_or_b32 exec_lo, exec_lo, s11
	global_load_b128 v[14:17], v[30:31], off offset:1024
	s_wait_xcnt 0x0
	s_and_saveexec_b32 s11, vcc_lo
	s_cbranch_execnz .LBB13_49
.LBB13_43:                              ;   in Loop: Header=BB13_40 Depth=1
	s_or_b32 exec_lo, exec_lo, s11
	global_load_b128 v[18:21], v[30:31], off offset:1536
	s_wait_xcnt 0x0
	s_and_saveexec_b32 s11, vcc_lo
	s_cbranch_execnz .LBB13_50
.LBB13_44:                              ;   in Loop: Header=BB13_40 Depth=1
	s_or_b32 exec_lo, exec_lo, s11
	global_load_b128 v[22:25], v[30:31], off offset:2048
	s_wait_xcnt 0x0
	s_and_saveexec_b32 s11, vcc_lo
	s_cbranch_execnz .LBB13_51
.LBB13_45:                              ;   in Loop: Header=BB13_40 Depth=1
	s_or_b32 exec_lo, exec_lo, s11
	global_load_b128 v[26:29], v[30:31], off offset:2560
	s_wait_xcnt 0x0
	s_and_saveexec_b32 s11, vcc_lo
	s_cbranch_execnz .LBB13_52
.LBB13_46:                              ;   in Loop: Header=BB13_40 Depth=1
	s_or_b32 exec_lo, exec_lo, s11
	global_load_b128 v[30:33], v[30:31], off offset:3072
	s_wait_xcnt 0x0
	s_and_saveexec_b32 s0, vcc_lo
	s_cbranch_execz .LBB13_39
	s_branch .LBB13_53
.LBB13_47:                              ;   in Loop: Header=BB13_40 Depth=1
	v_cmp_gt_i32_e64 s0, s10, v53
	s_wait_loadcnt 0x0
	s_delay_alu instid0(VALU_DEP_1) | instskip(SKIP_1) | instid1(VALU_DEP_1)
	v_cndmask_b32_e64 v3, 0, v3, s0
	v_cmp_gt_i32_e64 s0, s21, v49
	v_cndmask_b32_e64 v2, 0, v2, s0
	v_cmp_gt_i32_e64 s0, s10, v52
	s_delay_alu instid0(VALU_DEP_1) | instskip(SKIP_1) | instid1(VALU_DEP_1)
	v_cndmask_b32_e64 v5, 0, v5, s0
	v_cmp_gt_i32_e64 s0, s21, v51
	v_cndmask_b32_e64 v4, 0, v4, s0
	s_or_b32 exec_lo, exec_lo, s11
	global_load_b128 v[10:13], v[30:31], off offset:512
	s_wait_xcnt 0x0
	s_and_saveexec_b32 s11, vcc_lo
	s_cbranch_execz .LBB13_42
.LBB13_48:                              ;   in Loop: Header=BB13_40 Depth=1
	v_cmp_gt_i32_e64 s0, s10, v53
	s_wait_loadcnt 0x0
	s_delay_alu instid0(VALU_DEP_1) | instskip(SKIP_1) | instid1(VALU_DEP_1)
	v_cndmask_b32_e64 v11, 0, v11, s0
	v_cmp_gt_i32_e64 s0, s21, v49
	v_cndmask_b32_e64 v10, 0, v10, s0
	v_cmp_gt_i32_e64 s0, s10, v52
	s_delay_alu instid0(VALU_DEP_1) | instskip(SKIP_1) | instid1(VALU_DEP_1)
	v_cndmask_b32_e64 v13, 0, v13, s0
	v_cmp_gt_i32_e64 s0, s21, v51
	v_cndmask_b32_e64 v12, 0, v12, s0
	s_or_b32 exec_lo, exec_lo, s11
	global_load_b128 v[14:17], v[30:31], off offset:1024
	s_wait_xcnt 0x0
	s_and_saveexec_b32 s11, vcc_lo
	s_cbranch_execz .LBB13_43
.LBB13_49:                              ;   in Loop: Header=BB13_40 Depth=1
	v_cmp_gt_i32_e64 s0, s10, v53
	s_wait_loadcnt 0x0
	s_delay_alu instid0(VALU_DEP_1) | instskip(SKIP_1) | instid1(VALU_DEP_1)
	v_cndmask_b32_e64 v15, 0, v15, s0
	v_cmp_gt_i32_e64 s0, s21, v49
	v_cndmask_b32_e64 v14, 0, v14, s0
	v_cmp_gt_i32_e64 s0, s10, v52
	s_delay_alu instid0(VALU_DEP_1) | instskip(SKIP_1) | instid1(VALU_DEP_1)
	v_cndmask_b32_e64 v17, 0, v17, s0
	v_cmp_gt_i32_e64 s0, s21, v51
	v_cndmask_b32_e64 v16, 0, v16, s0
	s_or_b32 exec_lo, exec_lo, s11
	global_load_b128 v[18:21], v[30:31], off offset:1536
	s_wait_xcnt 0x0
	s_and_saveexec_b32 s11, vcc_lo
	s_cbranch_execz .LBB13_44
.LBB13_50:                              ;   in Loop: Header=BB13_40 Depth=1
	v_cmp_gt_i32_e64 s0, s10, v53
	s_wait_loadcnt 0x0
	s_delay_alu instid0(VALU_DEP_1) | instskip(SKIP_1) | instid1(VALU_DEP_1)
	v_cndmask_b32_e64 v19, 0, v19, s0
	v_cmp_gt_i32_e64 s0, s21, v49
	v_cndmask_b32_e64 v18, 0, v18, s0
	v_cmp_gt_i32_e64 s0, s10, v52
	s_delay_alu instid0(VALU_DEP_1) | instskip(SKIP_1) | instid1(VALU_DEP_1)
	v_cndmask_b32_e64 v21, 0, v21, s0
	v_cmp_gt_i32_e64 s0, s21, v51
	v_cndmask_b32_e64 v20, 0, v20, s0
	s_or_b32 exec_lo, exec_lo, s11
	global_load_b128 v[22:25], v[30:31], off offset:2048
	s_wait_xcnt 0x0
	s_and_saveexec_b32 s11, vcc_lo
	s_cbranch_execz .LBB13_45
.LBB13_51:                              ;   in Loop: Header=BB13_40 Depth=1
	v_cmp_gt_i32_e64 s0, s10, v53
	s_wait_loadcnt 0x0
	s_delay_alu instid0(VALU_DEP_1) | instskip(SKIP_1) | instid1(VALU_DEP_1)
	v_cndmask_b32_e64 v23, 0, v23, s0
	v_cmp_gt_i32_e64 s0, s21, v49
	v_cndmask_b32_e64 v22, 0, v22, s0
	v_cmp_gt_i32_e64 s0, s10, v52
	s_delay_alu instid0(VALU_DEP_1) | instskip(SKIP_1) | instid1(VALU_DEP_1)
	v_cndmask_b32_e64 v25, 0, v25, s0
	v_cmp_gt_i32_e64 s0, s21, v51
	v_cndmask_b32_e64 v24, 0, v24, s0
	s_or_b32 exec_lo, exec_lo, s11
	global_load_b128 v[26:29], v[30:31], off offset:2560
	s_wait_xcnt 0x0
	s_and_saveexec_b32 s11, vcc_lo
	s_cbranch_execz .LBB13_46
.LBB13_52:                              ;   in Loop: Header=BB13_40 Depth=1
	v_cmp_gt_i32_e64 s0, s10, v53
	s_wait_loadcnt 0x0
	s_delay_alu instid0(VALU_DEP_1) | instskip(SKIP_1) | instid1(VALU_DEP_1)
	v_cndmask_b32_e64 v27, 0, v27, s0
	v_cmp_gt_i32_e64 s0, s21, v49
	v_cndmask_b32_e64 v26, 0, v26, s0
	v_cmp_gt_i32_e64 s0, s10, v52
	s_delay_alu instid0(VALU_DEP_1) | instskip(SKIP_1) | instid1(VALU_DEP_1)
	v_cndmask_b32_e64 v29, 0, v29, s0
	v_cmp_gt_i32_e64 s0, s21, v51
	v_cndmask_b32_e64 v28, 0, v28, s0
	s_or_b32 exec_lo, exec_lo, s11
	global_load_b128 v[30:33], v[30:31], off offset:3072
	s_wait_xcnt 0x0
	s_and_saveexec_b32 s0, vcc_lo
	s_cbranch_execz .LBB13_39
.LBB13_53:                              ;   in Loop: Header=BB13_40 Depth=1
	v_cmp_gt_i32_e32 vcc_lo, s10, v53
	s_wait_loadcnt 0x0
	v_cndmask_b32_e32 v31, 0, v31, vcc_lo
	v_cmp_gt_i32_e32 vcc_lo, s21, v49
	v_cndmask_b32_e32 v30, 0, v30, vcc_lo
	v_cmp_gt_i32_e32 vcc_lo, s10, v52
	;; [unrolled: 2-line block ×3, first 2 shown]
	v_cndmask_b32_e32 v32, 0, v32, vcc_lo
	s_branch .LBB13_39
.LBB13_54:
	s_or_b32 exec_lo, exec_lo, s5
.LBB13_55:
	s_delay_alu instid0(SALU_CYCLE_1)
	s_or_b32 exec_lo, exec_lo, s1
	ds_bpermute_b32 v2, v47, v40
	ds_bpermute_b32 v3, v47, v41
	;; [unrolled: 1-line block ×7, first 2 shown]
	v_and_b32_e32 v9, 0x3c1, v0
	v_lshrrev_b32_e32 v10, 1, v46
	s_mov_b32 s0, exec_lo
	s_wait_dscnt 0x0
	s_barrier_signal -1
	s_barrier_wait -1
	v_pk_add_f32 v[6:7], v[40:41], v[2:3]
	v_pk_add_f32 v[4:5], v[38:39], v[4:5]
	;; [unrolled: 1-line block ×3, first 2 shown]
	v_cmpx_ne_u32_e32 64, v9
	s_xor_b32 s0, exec_lo, s0
	s_delay_alu instid0(SALU_CYCLE_1)
	s_or_saveexec_b32 s0, s0
	v_add_f32_e32 v8, v35, v8
	v_lshl_add_u32 v9, v10, 2, 0x1e0
	v_mul_u32_u24_e32 v1, 0x1c0, v1
	s_xor_b32 exec_lo, exec_lo, s0
	s_cbranch_execz .LBB13_57
; %bb.56:
	s_delay_alu instid0(VALU_DEP_1) | instskip(NEXT) | instid1(VALU_DEP_1)
	v_add_nc_u32_e32 v11, v9, v1
	v_add_nc_u32_e32 v12, 0xfffffc80, v11
	;; [unrolled: 1-line block ×8, first 2 shown]
	ds_store_b32 v12, v6
	ds_store_b32 v13, v7
	;; [unrolled: 1-line block ×7, first 2 shown]
.LBB13_57:
	s_or_b32 exec_lo, exec_lo, s0
	v_lshlrev_b32_e32 v10, 2, v10
	s_mov_b32 s1, exec_lo
	v_cmp_eq_u32_e32 vcc_lo, 0, v48
	s_wait_dscnt 0x0
	s_barrier_signal -1
	v_add3_u32 v1, 0x1e0, v1, v10
	s_barrier_wait -1
	v_cmpx_gt_u32_e32 64, v0
	s_cbranch_execz .LBB13_67
; %bb.58:
	s_and_saveexec_b32 s0, vcc_lo
	s_cbranch_execnz .LBB13_82
; %bb.59:
	s_or_b32 exec_lo, exec_lo, s0
	s_and_saveexec_b32 s0, vcc_lo
	s_cbranch_execnz .LBB13_83
.LBB13_60:
	s_or_b32 exec_lo, exec_lo, s0
	s_and_saveexec_b32 s0, vcc_lo
	s_cbranch_execnz .LBB13_84
.LBB13_61:
	s_or_b32 exec_lo, exec_lo, s0
	s_and_saveexec_b32 s0, vcc_lo
	s_cbranch_execnz .LBB13_85
.LBB13_62:
	s_or_b32 exec_lo, exec_lo, s0
	s_and_saveexec_b32 s0, vcc_lo
	s_cbranch_execnz .LBB13_86
.LBB13_63:
	s_or_b32 exec_lo, exec_lo, s0
	s_and_saveexec_b32 s0, vcc_lo
	s_cbranch_execnz .LBB13_87
.LBB13_64:
	s_or_b32 exec_lo, exec_lo, s0
	s_and_saveexec_b32 s0, vcc_lo
	s_cbranch_execz .LBB13_66
.LBB13_65:
	ds_load_b32 v10, v1 offset:384
	s_wait_dscnt 0x0
	v_add_f32_e32 v8, v8, v10
.LBB13_66:
	s_or_b32 exec_lo, exec_lo, s0
.LBB13_67:
	s_delay_alu instid0(SALU_CYCLE_1) | instskip(SKIP_4) | instid1(VALU_DEP_1)
	s_or_b32 exec_lo, exec_lo, s1
	v_and_b32_e32 v10, 0x3e1, v0
	s_mov_b32 s1, exec_lo
	s_barrier_signal -1
	s_barrier_wait -1
	v_cmpx_eq_u32_e32 32, v10
	s_cbranch_execz .LBB13_69
; %bb.68:
	ds_store_2addr_b32 v9, v6, v7 offset1:16
	ds_store_2addr_b32 v9, v4, v5 offset0:32 offset1:48
	ds_store_2addr_b32 v9, v2, v3 offset0:64 offset1:80
	ds_store_b32 v9, v8 offset:384
.LBB13_69:
	s_or_b32 exec_lo, exec_lo, s1
	s_delay_alu instid0(SALU_CYCLE_1)
	s_mov_b32 s1, exec_lo
	s_wait_dscnt 0x0
	s_barrier_signal -1
	s_barrier_wait -1
	v_cmpx_gt_u32_e32 32, v0
	s_cbranch_execz .LBB13_79
; %bb.70:
	s_and_saveexec_b32 s0, vcc_lo
	s_cbranch_execnz .LBB13_88
; %bb.71:
	s_or_b32 exec_lo, exec_lo, s0
	s_and_saveexec_b32 s0, vcc_lo
	s_cbranch_execnz .LBB13_89
.LBB13_72:
	s_or_b32 exec_lo, exec_lo, s0
	s_and_saveexec_b32 s0, vcc_lo
	s_cbranch_execnz .LBB13_90
.LBB13_73:
	s_or_b32 exec_lo, exec_lo, s0
	s_and_saveexec_b32 s0, vcc_lo
	s_cbranch_execnz .LBB13_91
.LBB13_74:
	s_or_b32 exec_lo, exec_lo, s0
	s_and_saveexec_b32 s0, vcc_lo
	s_cbranch_execnz .LBB13_92
.LBB13_75:
	s_or_b32 exec_lo, exec_lo, s0
	s_and_saveexec_b32 s0, vcc_lo
	s_cbranch_execnz .LBB13_93
.LBB13_76:
	s_or_b32 exec_lo, exec_lo, s0
	s_and_saveexec_b32 s0, vcc_lo
	s_cbranch_execz .LBB13_78
.LBB13_77:
	ds_load_b32 v1, v1 offset:384
	s_wait_dscnt 0x0
	v_add_f32_e32 v8, v8, v1
.LBB13_78:
	s_or_b32 exec_lo, exec_lo, s0
.LBB13_79:
	s_delay_alu instid0(SALU_CYCLE_1)
	s_or_b32 exec_lo, exec_lo, s1
	s_mov_b32 s1, 0
	s_barrier_signal -1
	s_barrier_wait -1
	s_mov_b32 s0, exec_lo
	v_cmpx_eq_u32_e32 0, v10
	s_cbranch_execz .LBB13_81
; %bb.80:
	s_wait_kmcnt 0x0
	s_mul_i32 s0, s20, s9
	s_mul_i32 s2, s9, s8
	;; [unrolled: 1-line block ×3, first 2 shown]
	s_lshr_b32 s8, ttmp7, 16
	s_mul_i32 s4, s0, 0x70
	s_bfe_u32 s0, ttmp6, 0x40014
	s_ashr_i32 s5, s4, 31
	s_add_co_i32 s0, s0, 1
	s_lshl_b64 s[4:5], s[4:5], 2
	s_ashr_i32 s3, s2, 31
	s_add_nc_u64 s[4:5], s[6:7], s[4:5]
	s_mul_i32 s0, s8, s0
	s_bfe_u32 s6, ttmp6, 0x40008
	s_lshl_b64 s[2:3], s[2:3], 2
	s_add_co_i32 s6, s6, s0
	s_cmp_eq_u32 s18, 0
	v_lshlrev_b32_e32 v0, 1, v0
	s_cselect_b32 s0, s8, s6
	s_add_nc_u64 s[2:3], s[4:5], s[2:3]
	s_mulk_i32 s0, 0x1c0
	s_delay_alu instid0(SALU_CYCLE_1)
	s_add_nc_u64 s[0:1], s[2:3], s[0:1]
	s_clause 0x6
	global_store_b32 v0, v6, s[0:1]
	global_store_b32 v0, v7, s[0:1] offset:64
	global_store_b32 v0, v4, s[0:1] offset:128
	;; [unrolled: 1-line block ×6, first 2 shown]
.LBB13_81:
	s_sendmsg sendmsg(MSG_DEALLOC_VGPRS)
	s_endpgm
.LBB13_82:
	ds_load_b32 v10, v1
	s_wait_dscnt 0x0
	v_add_f32_e32 v6, v6, v10
	s_or_b32 exec_lo, exec_lo, s0
	s_and_saveexec_b32 s0, vcc_lo
	s_cbranch_execz .LBB13_60
.LBB13_83:
	ds_load_b32 v10, v1 offset:64
	s_wait_dscnt 0x0
	v_add_f32_e32 v7, v7, v10
	s_or_b32 exec_lo, exec_lo, s0
	s_and_saveexec_b32 s0, vcc_lo
	s_cbranch_execz .LBB13_61
.LBB13_84:
	ds_load_b32 v10, v1 offset:128
	s_wait_dscnt 0x0
	v_add_f32_e32 v4, v4, v10
	s_or_b32 exec_lo, exec_lo, s0
	s_and_saveexec_b32 s0, vcc_lo
	s_cbranch_execz .LBB13_62
.LBB13_85:
	ds_load_b32 v10, v1 offset:192
	s_wait_dscnt 0x0
	v_add_f32_e32 v5, v5, v10
	s_or_b32 exec_lo, exec_lo, s0
	s_and_saveexec_b32 s0, vcc_lo
	s_cbranch_execz .LBB13_63
.LBB13_86:
	ds_load_b32 v10, v1 offset:256
	s_wait_dscnt 0x0
	v_add_f32_e32 v2, v2, v10
	s_or_b32 exec_lo, exec_lo, s0
	s_and_saveexec_b32 s0, vcc_lo
	s_cbranch_execz .LBB13_64
.LBB13_87:
	ds_load_b32 v10, v1 offset:320
	s_wait_dscnt 0x0
	v_add_f32_e32 v3, v3, v10
	s_or_b32 exec_lo, exec_lo, s0
	s_and_saveexec_b32 s0, vcc_lo
	s_cbranch_execnz .LBB13_65
	s_branch .LBB13_66
.LBB13_88:
	ds_load_b32 v9, v1
	s_wait_dscnt 0x0
	v_add_f32_e32 v6, v6, v9
	s_or_b32 exec_lo, exec_lo, s0
	s_and_saveexec_b32 s0, vcc_lo
	s_cbranch_execz .LBB13_72
.LBB13_89:
	ds_load_b32 v9, v1 offset:64
	s_wait_dscnt 0x0
	v_add_f32_e32 v7, v7, v9
	s_or_b32 exec_lo, exec_lo, s0
	s_and_saveexec_b32 s0, vcc_lo
	s_cbranch_execz .LBB13_73
.LBB13_90:
	ds_load_b32 v9, v1 offset:128
	s_wait_dscnt 0x0
	v_add_f32_e32 v4, v4, v9
	s_or_b32 exec_lo, exec_lo, s0
	s_and_saveexec_b32 s0, vcc_lo
	s_cbranch_execz .LBB13_74
.LBB13_91:
	ds_load_b32 v9, v1 offset:192
	s_wait_dscnt 0x0
	v_add_f32_e32 v5, v5, v9
	s_or_b32 exec_lo, exec_lo, s0
	s_and_saveexec_b32 s0, vcc_lo
	s_cbranch_execz .LBB13_75
.LBB13_92:
	ds_load_b32 v9, v1 offset:256
	s_wait_dscnt 0x0
	v_add_f32_e32 v2, v2, v9
	s_or_b32 exec_lo, exec_lo, s0
	s_and_saveexec_b32 s0, vcc_lo
	s_cbranch_execz .LBB13_76
.LBB13_93:
	ds_load_b32 v9, v1 offset:320
	s_wait_dscnt 0x0
	v_add_f32_e32 v3, v3, v9
	s_or_b32 exec_lo, exec_lo, s0
	s_and_saveexec_b32 s0, vcc_lo
	s_cbranch_execnz .LBB13_77
	s_branch .LBB13_78
	.section	.rodata,"a",@progbits
	.p2align	6, 0x0
	.amdhsa_kernel _ZN4vllm25paged_attention_v1_kernelIffLi112ELi8ELi128ELNS_18Fp8KVCacheDataTypeE0ELb0EEEvPT_PKS2_PKT0_S8_ifPKiSA_iPKfiiiSC_SC_iiiii
		.amdhsa_group_segment_fixed_size 480
		.amdhsa_private_segment_fixed_size 0
		.amdhsa_kernarg_size 384
		.amdhsa_user_sgpr_count 2
		.amdhsa_user_sgpr_dispatch_ptr 0
		.amdhsa_user_sgpr_queue_ptr 0
		.amdhsa_user_sgpr_kernarg_segment_ptr 1
		.amdhsa_user_sgpr_dispatch_id 0
		.amdhsa_user_sgpr_kernarg_preload_length 0
		.amdhsa_user_sgpr_kernarg_preload_offset 0
		.amdhsa_user_sgpr_private_segment_size 0
		.amdhsa_wavefront_size32 1
		.amdhsa_uses_dynamic_stack 0
		.amdhsa_enable_private_segment 0
		.amdhsa_system_sgpr_workgroup_id_x 1
		.amdhsa_system_sgpr_workgroup_id_y 1
		.amdhsa_system_sgpr_workgroup_id_z 1
		.amdhsa_system_sgpr_workgroup_info 0
		.amdhsa_system_vgpr_workitem_id 0
		.amdhsa_next_free_vgpr 73
		.amdhsa_next_free_sgpr 30
		.amdhsa_named_barrier_count 0
		.amdhsa_reserve_vcc 1
		.amdhsa_float_round_mode_32 0
		.amdhsa_float_round_mode_16_64 0
		.amdhsa_float_denorm_mode_32 3
		.amdhsa_float_denorm_mode_16_64 3
		.amdhsa_fp16_overflow 0
		.amdhsa_memory_ordered 1
		.amdhsa_forward_progress 1
		.amdhsa_inst_pref_size 46
		.amdhsa_round_robin_scheduling 0
		.amdhsa_exception_fp_ieee_invalid_op 0
		.amdhsa_exception_fp_denorm_src 0
		.amdhsa_exception_fp_ieee_div_zero 0
		.amdhsa_exception_fp_ieee_overflow 0
		.amdhsa_exception_fp_ieee_underflow 0
		.amdhsa_exception_fp_ieee_inexact 0
		.amdhsa_exception_int_div_zero 0
	.end_amdhsa_kernel
	.section	.text._ZN4vllm25paged_attention_v1_kernelIffLi112ELi8ELi128ELNS_18Fp8KVCacheDataTypeE0ELb0EEEvPT_PKS2_PKT0_S8_ifPKiSA_iPKfiiiSC_SC_iiiii,"axG",@progbits,_ZN4vllm25paged_attention_v1_kernelIffLi112ELi8ELi128ELNS_18Fp8KVCacheDataTypeE0ELb0EEEvPT_PKS2_PKT0_S8_ifPKiSA_iPKfiiiSC_SC_iiiii,comdat
.Lfunc_end13:
	.size	_ZN4vllm25paged_attention_v1_kernelIffLi112ELi8ELi128ELNS_18Fp8KVCacheDataTypeE0ELb0EEEvPT_PKS2_PKT0_S8_ifPKiSA_iPKfiiiSC_SC_iiiii, .Lfunc_end13-_ZN4vllm25paged_attention_v1_kernelIffLi112ELi8ELi128ELNS_18Fp8KVCacheDataTypeE0ELb0EEEvPT_PKS2_PKT0_S8_ifPKiSA_iPKfiiiSC_SC_iiiii
                                        ; -- End function
	.set _ZN4vllm25paged_attention_v1_kernelIffLi112ELi8ELi128ELNS_18Fp8KVCacheDataTypeE0ELb0EEEvPT_PKS2_PKT0_S8_ifPKiSA_iPKfiiiSC_SC_iiiii.num_vgpr, 73
	.set _ZN4vllm25paged_attention_v1_kernelIffLi112ELi8ELi128ELNS_18Fp8KVCacheDataTypeE0ELb0EEEvPT_PKS2_PKT0_S8_ifPKiSA_iPKfiiiSC_SC_iiiii.num_agpr, 0
	.set _ZN4vllm25paged_attention_v1_kernelIffLi112ELi8ELi128ELNS_18Fp8KVCacheDataTypeE0ELb0EEEvPT_PKS2_PKT0_S8_ifPKiSA_iPKfiiiSC_SC_iiiii.numbered_sgpr, 30
	.set _ZN4vllm25paged_attention_v1_kernelIffLi112ELi8ELi128ELNS_18Fp8KVCacheDataTypeE0ELb0EEEvPT_PKS2_PKT0_S8_ifPKiSA_iPKfiiiSC_SC_iiiii.num_named_barrier, 0
	.set _ZN4vllm25paged_attention_v1_kernelIffLi112ELi8ELi128ELNS_18Fp8KVCacheDataTypeE0ELb0EEEvPT_PKS2_PKT0_S8_ifPKiSA_iPKfiiiSC_SC_iiiii.private_seg_size, 0
	.set _ZN4vllm25paged_attention_v1_kernelIffLi112ELi8ELi128ELNS_18Fp8KVCacheDataTypeE0ELb0EEEvPT_PKS2_PKT0_S8_ifPKiSA_iPKfiiiSC_SC_iiiii.uses_vcc, 1
	.set _ZN4vllm25paged_attention_v1_kernelIffLi112ELi8ELi128ELNS_18Fp8KVCacheDataTypeE0ELb0EEEvPT_PKS2_PKT0_S8_ifPKiSA_iPKfiiiSC_SC_iiiii.uses_flat_scratch, 0
	.set _ZN4vllm25paged_attention_v1_kernelIffLi112ELi8ELi128ELNS_18Fp8KVCacheDataTypeE0ELb0EEEvPT_PKS2_PKT0_S8_ifPKiSA_iPKfiiiSC_SC_iiiii.has_dyn_sized_stack, 0
	.set _ZN4vllm25paged_attention_v1_kernelIffLi112ELi8ELi128ELNS_18Fp8KVCacheDataTypeE0ELb0EEEvPT_PKS2_PKT0_S8_ifPKiSA_iPKfiiiSC_SC_iiiii.has_recursion, 0
	.set _ZN4vllm25paged_attention_v1_kernelIffLi112ELi8ELi128ELNS_18Fp8KVCacheDataTypeE0ELb0EEEvPT_PKS2_PKT0_S8_ifPKiSA_iPKfiiiSC_SC_iiiii.has_indirect_call, 0
	.section	.AMDGPU.csdata,"",@progbits
; Kernel info:
; codeLenInByte = 5864
; TotalNumSgprs: 32
; NumVgprs: 73
; ScratchSize: 0
; MemoryBound: 0
; FloatMode: 240
; IeeeMode: 1
; LDSByteSize: 480 bytes/workgroup (compile time only)
; SGPRBlocks: 0
; VGPRBlocks: 4
; NumSGPRsForWavesPerEU: 32
; NumVGPRsForWavesPerEU: 73
; NamedBarCnt: 0
; Occupancy: 12
; WaveLimiterHint : 1
; COMPUTE_PGM_RSRC2:SCRATCH_EN: 0
; COMPUTE_PGM_RSRC2:USER_SGPR: 2
; COMPUTE_PGM_RSRC2:TRAP_HANDLER: 0
; COMPUTE_PGM_RSRC2:TGID_X_EN: 1
; COMPUTE_PGM_RSRC2:TGID_Y_EN: 1
; COMPUTE_PGM_RSRC2:TGID_Z_EN: 1
; COMPUTE_PGM_RSRC2:TIDIG_COMP_CNT: 0
	.section	.text._ZN4vllm25paged_attention_v1_kernelIffLi120ELi8ELi128ELNS_18Fp8KVCacheDataTypeE0ELb0EEEvPT_PKS2_PKT0_S8_ifPKiSA_iPKfiiiSC_SC_iiiii,"axG",@progbits,_ZN4vllm25paged_attention_v1_kernelIffLi120ELi8ELi128ELNS_18Fp8KVCacheDataTypeE0ELb0EEEvPT_PKS2_PKT0_S8_ifPKiSA_iPKfiiiSC_SC_iiiii,comdat
	.protected	_ZN4vllm25paged_attention_v1_kernelIffLi120ELi8ELi128ELNS_18Fp8KVCacheDataTypeE0ELb0EEEvPT_PKS2_PKT0_S8_ifPKiSA_iPKfiiiSC_SC_iiiii ; -- Begin function _ZN4vllm25paged_attention_v1_kernelIffLi120ELi8ELi128ELNS_18Fp8KVCacheDataTypeE0ELb0EEEvPT_PKS2_PKT0_S8_ifPKiSA_iPKfiiiSC_SC_iiiii
	.globl	_ZN4vllm25paged_attention_v1_kernelIffLi120ELi8ELi128ELNS_18Fp8KVCacheDataTypeE0ELb0EEEvPT_PKS2_PKT0_S8_ifPKiSA_iPKfiiiSC_SC_iiiii
	.p2align	8
	.type	_ZN4vllm25paged_attention_v1_kernelIffLi120ELi8ELi128ELNS_18Fp8KVCacheDataTypeE0ELb0EEEvPT_PKS2_PKT0_S8_ifPKiSA_iPKfiiiSC_SC_iiiii,@function
_ZN4vllm25paged_attention_v1_kernelIffLi120ELi8ELi128ELNS_18Fp8KVCacheDataTypeE0ELb0EEEvPT_PKS2_PKT0_S8_ifPKiSA_iPKfiiiSC_SC_iiiii: ; @_ZN4vllm25paged_attention_v1_kernelIffLi120ELi8ELi128ELNS_18Fp8KVCacheDataTypeE0ELb0EEEvPT_PKS2_PKT0_S8_ifPKiSA_iPKfiiiSC_SC_iiiii
; %bb.0:
	s_load_b64 s[6:7], s[0:1], 0x20
	s_bfe_u32 s3, ttmp6, 0x4000c
	s_bfe_u32 s5, ttmp6, 0x40010
	s_and_b32 s4, ttmp7, 0xffff
	s_add_co_i32 s3, s3, 1
	s_add_co_i32 s5, s5, 1
	s_and_b32 s2, ttmp6, 15
	s_bfe_u32 s8, ttmp6, 0x40004
	s_mul_i32 s3, ttmp9, s3
	s_mul_i32 s5, s4, s5
	s_getreg_b32 s18, hwreg(HW_REG_IB_STS2, 6, 4)
	s_add_co_i32 s2, s2, s3
	s_add_co_i32 s3, s8, s5
	s_cmp_eq_u32 s18, 0
	s_clause 0x1
	s_load_b32 s19, s[0:1], 0x80
	s_load_b64 s[8:9], s[0:1], 0x30
	s_cselect_b32 s20, s4, s3
	s_cselect_b32 s2, ttmp9, s2
	s_wait_kmcnt 0x0
	s_abs_i32 s3, s6
	s_delay_alu instid0(SALU_CYCLE_1) | instskip(SKIP_1) | instid1(SALU_CYCLE_2)
	s_cvt_f32_u32 s4, s3
	s_sub_co_i32 s5, 0, s3
	v_rcp_iflag_f32_e32 v1, s4
	s_abs_i32 s10, s19
	v_nop
	s_delay_alu instid0(TRANS32_DEP_1) | instskip(SKIP_1) | instid1(SALU_CYCLE_3)
	v_readfirstlane_b32 s4, v1
	s_mul_f32 s4, s4, 0x4f7ffffe
	s_cvt_u32_f32 s4, s4
	s_delay_alu instid0(SALU_CYCLE_3) | instskip(NEXT) | instid1(SALU_CYCLE_1)
	s_mul_i32 s5, s5, s4
	s_mul_hi_u32 s5, s4, s5
	s_delay_alu instid0(SALU_CYCLE_1) | instskip(SKIP_4) | instid1(SALU_CYCLE_1)
	s_add_co_i32 s4, s4, s5
	s_xor_b32 s5, s19, s6
	s_mul_hi_u32 s4, s10, s4
	s_ashr_i32 s5, s5, 31
	s_mul_i32 s6, s4, s3
	s_sub_co_i32 s6, s10, s6
	s_add_co_i32 s10, s4, 1
	s_sub_co_i32 s11, s6, s3
	s_cmp_ge_u32 s6, s3
	s_cselect_b32 s4, s10, s4
	s_cselect_b32 s6, s11, s6
	s_add_co_i32 s10, s4, 1
	s_cmp_ge_u32 s6, s3
	s_mov_b32 s11, 0
	s_cselect_b32 s3, s10, s4
	s_abs_i32 s10, s2
	s_xor_b32 s3, s3, s5
	s_mov_b32 s13, s11
	s_sub_co_i32 s15, s3, s5
	s_load_b64 s[4:5], s[0:1], 0x40
	s_abs_i32 s14, s15
	s_mov_b32 s23, s11
	s_cvt_f32_u32 s3, s14
	s_sub_co_i32 s6, 0, s14
	s_delay_alu instid0(SALU_CYCLE_2) | instskip(SKIP_1) | instid1(TRANS32_DEP_1)
	v_rcp_iflag_f32_e32 v1, s3
	v_nop
	v_readfirstlane_b32 s3, v1
	s_mul_f32 s3, s3, 0x4f7ffffe
	s_delay_alu instid0(SALU_CYCLE_3) | instskip(NEXT) | instid1(SALU_CYCLE_3)
	s_cvt_u32_f32 s3, s3
	s_mul_i32 s6, s6, s3
	s_delay_alu instid0(SALU_CYCLE_1) | instskip(NEXT) | instid1(SALU_CYCLE_1)
	s_mul_hi_u32 s6, s3, s6
	s_add_co_i32 s12, s3, s6
	s_wait_kmcnt 0x0
	s_cmp_eq_u64 s[4:5], 0
	s_cbranch_scc1 .LBB14_2
; %bb.1:
	s_ashr_i32 s3, s2, 31
	s_delay_alu instid0(SALU_CYCLE_1) | instskip(NEXT) | instid1(SALU_CYCLE_1)
	s_lshl_b64 s[16:17], s[2:3], 2
	s_add_nc_u64 s[4:5], s[4:5], s[16:17]
	s_load_b32 s23, s[4:5], 0x0
.LBB14_2:
	s_load_b32 s21, s[8:9], s20 offset:0x0 scale_offset
	s_wait_xcnt 0x0
	s_load_b96 s[4:6], s[0:1], 0x48
	v_and_b32_e32 v36, 3, v0
	s_ashr_i32 s3, s2, 31
	s_ashr_i32 s15, s15, 31
	s_mul_u64 s[12:13], s[10:11], s[12:13]
	s_mul_i32 s8, s2, 0x78
	s_mov_b32 s2, exec_lo
	v_cmpx_gt_u32_e32 0x78, v0
	s_cbranch_execz .LBB14_4
; %bb.3:
	s_load_b64 s[16:17], s[0:1], 0x8
	s_wait_kmcnt 0x0
	s_mul_i32 s24, s4, s20
	s_ashr_i32 s9, s8, 31
	s_ashr_i32 s25, s24, 31
	v_and_b32_e32 v2, 0x3fc, v0
	s_lshl_b64 s[24:25], s[24:25], 2
	s_delay_alu instid0(VALU_DEP_1) | instskip(SKIP_2) | instid1(SALU_CYCLE_1)
	v_mad_u32_u24 v2, 0x78, v36, v2
	s_add_nc_u64 s[16:17], s[16:17], s[24:25]
	s_lshl_b64 s[24:25], s[8:9], 2
	s_add_nc_u64 s[16:17], s[16:17], s[24:25]
	global_load_b32 v1, v0, s[16:17] scale_offset
	s_wait_loadcnt 0x0
	ds_store_b32 v2, v1
.LBB14_4:
	s_or_b32 exec_lo, exec_lo, s2
	s_wait_kmcnt 0x0
	s_add_co_i32 s2, s21, 7
	s_load_b32 s4, s[0:1], 0x38
	s_ashr_i32 s9, s2, 31
	s_mul_i32 s11, s13, s14
	s_lshr_b32 s9, s9, 29
	s_xor_b32 s3, s3, s15
	s_add_co_i32 s2, s2, s9
	s_sub_co_i32 s9, s10, s11
	s_ashr_i32 s22, s2, 3
	s_add_co_i32 s2, s13, 1
	s_sub_co_i32 s10, s9, s14
	s_cmp_ge_u32 s9, s14
	v_lshrrev_b32_e32 v1, 5, v0
	s_cselect_b32 s2, s2, s13
	s_cselect_b32 s9, s10, s9
	s_add_co_i32 s10, s2, 1
	s_cmp_ge_u32 s9, s14
	v_mbcnt_lo_u32_b32 v38, -1, 0
	s_cselect_b32 s2, s10, s2
	s_wait_dscnt 0x0
	s_xor_b32 s2, s2, s3
	s_wait_kmcnt 0x0
	s_mul_i32 s10, s4, s20
	s_sub_co_i32 s3, s2, s3
	v_cmp_le_i32_e64 s2, s22, v1
	s_ashr_i32 s11, s10, 31
	s_barrier_signal -1
	s_barrier_wait -1
                                        ; implicit-def: $vgpr31
                                        ; implicit-def: $vgpr39
	s_and_saveexec_b32 s4, s2
	s_delay_alu instid0(SALU_CYCLE_1)
	s_xor_b32 s4, exec_lo, s4
; %bb.5:
	v_dual_mov_b32 v31, 0 :: v_dual_mov_b32 v39, 32
	v_mbcnt_lo_u32_b32 v38, -1, 0
                                        ; implicit-def: $vgpr36
; %bb.6:
	s_or_saveexec_b32 s24, s4
	s_clause 0x1
	s_load_b64 s[12:13], s[0:1], 0x28
	s_load_b32 s9, s[0:1], 0x88
	v_mov_b32_e32 v30, 0xff7fffff
	v_lshrrev_b32_e32 v46, 3, v0
	s_mul_i32 s14, s3, s6
	s_xor_b32 exec_lo, exec_lo, s24
	s_cbranch_execz .LBB14_12
; %bb.7:
	s_load_b64 s[26:27], s[0:1], 0x10
	v_bfe_u32 v37, v0, 2, 3
	v_xor_b32_e32 v26, 2, v38
	s_ashr_i32 s15, s14, 31
	v_dual_mov_b32 v31, 0 :: v_dual_mov_b32 v39, 32
	s_delay_alu instid0(VALU_DEP_3) | instskip(NEXT) | instid1(VALU_DEP_3)
	v_dual_lshlrev_b32 v30, 4, v37 :: v_dual_bitop2_b32 v27, 1, v38 bitop3:0x14
	v_cmp_gt_i32_e32 vcc_lo, 32, v26
	v_mul_u32_u24_e32 v32, 0x78, v36
	s_lshl_b64 s[28:29], s[14:15], 2
	ds_load_2addr_b64 v[2:5], v32 offset1:1
	ds_load_2addr_b64 v[6:9], v32 offset0:2 offset1:3
	ds_load_2addr_b64 v[10:13], v32 offset0:4 offset1:5
	;; [unrolled: 1-line block ×5, first 2 shown]
	s_ashr_i32 s17, s5, 31
	s_cmp_neq_f32 s23, 0
	s_mov_b32 s16, s5
	s_mov_b32 s6, 0
	v_mov_b32_e32 v44, v1
	s_wait_kmcnt 0x0
	s_add_nc_u64 s[26:27], s[26:27], s[28:29]
	s_cselect_b32 s3, -1, 0
	v_add_nc_u64_e32 v[34:35], s[26:27], v[30:31]
	v_dual_lshlrev_b32 v30, 2, v36 :: v_dual_cndmask_b32 v40, v38, v26, vcc_lo
	v_cmp_gt_i32_e32 vcc_lo, 32, v27
	s_lshl_b64 s[26:27], s[10:11], 2
	s_sub_co_i32 s15, 1, s21
	s_add_nc_u64 s[26:27], s[12:13], s[26:27]
	s_delay_alu instid0(VALU_DEP_3)
	v_add_nc_u64_e32 v[34:35], v[34:35], v[30:31]
	v_cndmask_b32_e32 v41, v38, v27, vcc_lo
	ds_load_2addr_b64 v[26:29], v32 offset0:12 offset1:13
	ds_load_b64 v[32:33], v32 offset:112
	v_dual_lshlrev_b32 v42, 2, v37 :: v_dual_lshlrev_b32 v40, 2, v40
	v_cmp_eq_u32_e32 vcc_lo, 0, v36
	v_and_b32_e32 v30, 0x7c, v46
	v_lshlrev_b32_e32 v41, 2, v41
	s_delay_alu instid0(VALU_DEP_4) | instskip(SKIP_1) | instid1(VALU_DEP_2)
	v_lshl_or_b32 v36, v1, 5, v42
	v_lshl_or_b32 v42, v1, 3, v37
	v_add_nc_u32_e32 v43, 0x200, v36
	v_add_nc_u64_e32 v[36:37], s[26:27], v[30:31]
	v_mov_b32_e32 v30, 0xff7fffff
	s_branch .LBB14_9
.LBB14_8:                               ;   in Loop: Header=BB14_9 Depth=1
	s_or_b32 exec_lo, exec_lo, s25
	v_dual_add_nc_u32 v44, 4, v44 :: v_dual_add_nc_u32 v42, 32, v42
	v_add_nc_u64_e32 v[36:37], 16, v[36:37]
	v_add_nc_u32_e32 v43, 0x80, v43
	s_delay_alu instid0(VALU_DEP_3) | instskip(SKIP_1) | instid1(SALU_CYCLE_1)
	v_cmp_le_i32_e64 s4, s22, v44
	s_or_b32 s6, s4, s6
	s_and_not1_b32 exec_lo, exec_lo, s6
	s_cbranch_execz .LBB14_11
.LBB14_9:                               ; =>This Inner Loop Header: Depth=1
	global_load_b32 v48, v[36:37], off
	s_wait_loadcnt 0x0
	v_ashrrev_i32_e32 v49, 31, v48
	s_delay_alu instid0(VALU_DEP_1) | instskip(NEXT) | instid1(VALU_DEP_1)
	v_mul_u64_e32 v[48:49], s[16:17], v[48:49]
	v_lshl_add_u64 v[48:49], v[48:49], 2, v[34:35]
	global_load_b32 v45, v[48:49], off offset:128
	s_wait_dscnt 0x0
	s_clause 0x1c
	global_load_b32 v47, v[48:49], off offset:256
	global_load_b32 v50, v[48:49], off offset:384
	;; [unrolled: 1-line block ×6, first 2 shown]
	global_load_b32 v55, v[48:49], off
	global_load_b32 v56, v[48:49], off offset:1024
	global_load_b32 v57, v[48:49], off offset:1152
	;; [unrolled: 1-line block ×22, first 2 shown]
	s_wait_loadcnt_dscnt 0x1d07
	v_mul_f32_e32 v45, v3, v45
	s_wait_loadcnt 0x16
	s_delay_alu instid0(VALU_DEP_1) | instskip(NEXT) | instid1(VALU_DEP_1)
	v_fmac_f32_e32 v45, v2, v55
	v_fmac_f32_e32 v45, v4, v47
	s_delay_alu instid0(VALU_DEP_1) | instskip(SKIP_1) | instid1(VALU_DEP_1)
	v_fmac_f32_e32 v45, v5, v50
	s_wait_dscnt 0x6
	v_fmac_f32_e32 v45, v6, v51
	s_delay_alu instid0(VALU_DEP_1) | instskip(NEXT) | instid1(VALU_DEP_1)
	v_fmac_f32_e32 v45, v7, v52
	v_fmac_f32_e32 v45, v8, v53
	s_delay_alu instid0(VALU_DEP_1) | instskip(SKIP_1) | instid1(VALU_DEP_1)
	v_fmac_f32_e32 v45, v9, v54
	s_wait_loadcnt_dscnt 0x1505
	v_fmac_f32_e32 v45, v10, v56
	s_wait_loadcnt 0x14
	s_delay_alu instid0(VALU_DEP_1) | instskip(SKIP_1) | instid1(VALU_DEP_1)
	v_fmac_f32_e32 v45, v11, v57
	s_wait_loadcnt 0x13
	v_fmac_f32_e32 v45, v12, v58
	s_wait_loadcnt 0x12
	s_delay_alu instid0(VALU_DEP_1) | instskip(SKIP_1) | instid1(VALU_DEP_1)
	v_fmac_f32_e32 v45, v13, v59
	s_wait_loadcnt_dscnt 0x1104
	v_fmac_f32_e32 v45, v14, v60
	s_wait_loadcnt 0x10
	s_delay_alu instid0(VALU_DEP_1) | instskip(SKIP_1) | instid1(VALU_DEP_1)
	v_fmac_f32_e32 v45, v15, v61
	s_wait_loadcnt 0xf
	v_fmac_f32_e32 v45, v16, v62
	s_wait_loadcnt 0xe
	;; [unrolled: 10-line block ×5, first 2 shown]
	s_delay_alu instid0(VALU_DEP_1) | instskip(SKIP_1) | instid1(VALU_DEP_1)
	v_fmac_f32_e32 v45, v29, v75
	s_wait_loadcnt_dscnt 0x100
	v_fmac_f32_e32 v45, v32, v76
	s_wait_loadcnt 0x0
	s_delay_alu instid0(VALU_DEP_1)
	v_fmac_f32_e32 v45, v33, v48
	ds_bpermute_b32 v47, v40, v45
	s_wait_dscnt 0x0
	v_add_f32_e32 v45, v45, v47
	ds_bpermute_b32 v47, v41, v45
	s_wait_xcnt 0x0
	s_and_saveexec_b32 s25, vcc_lo
	s_cbranch_execz .LBB14_8
; %bb.10:                               ;   in Loop: Header=BB14_9 Depth=1
	s_wait_dscnt 0x0
	v_dual_add_f32 v45, v45, v47 :: v_dual_add_nc_u32 v48, s15, v42
	v_cmp_gt_i32_e64 s4, s21, v42
	s_delay_alu instid0(VALU_DEP_2) | instskip(NEXT) | instid1(VALU_DEP_1)
	v_cvt_f32_i32_e32 v48, v48
	v_mul_f32_e32 v48, s23, v48
	s_delay_alu instid0(VALU_DEP_1) | instskip(NEXT) | instid1(VALU_DEP_1)
	v_dual_cndmask_b32 v47, 0, v48, s3 :: v_dual_max_num_f32 v48, v30, v30
	v_fmac_f32_e32 v47, s7, v45
	s_delay_alu instid0(VALU_DEP_1) | instskip(NEXT) | instid1(VALU_DEP_1)
	v_dual_max_num_f32 v45, v48, v47 :: v_dual_cndmask_b32 v47, 0, v47, s4
	v_cndmask_b32_e64 v30, v30, v45, s4
	ds_store_b32 v43, v47
	s_branch .LBB14_8
.LBB14_11:
	s_or_b32 exec_lo, exec_lo, s6
.LBB14_12:
	s_delay_alu instid0(SALU_CYCLE_1)
	s_or_b32 exec_lo, exec_lo, s24
	v_xor_b32_e32 v4, 8, v38
	v_xor_b32_e32 v2, 16, v38
	v_max_num_f32_e32 v5, v30, v30
	s_clause 0x1
	s_load_b64 s[6:7], s[0:1], 0x0
	s_load_b64 s[16:17], s[0:1], 0x18
	v_cmp_lt_i32_e32 vcc_lo, v2, v39
	v_cndmask_b32_e32 v2, v38, v2, vcc_lo
	v_cmp_lt_i32_e32 vcc_lo, v4, v39
	s_delay_alu instid0(VALU_DEP_2) | instskip(SKIP_3) | instid1(VALU_DEP_1)
	v_dual_cndmask_b32 v4, v38, v4, vcc_lo :: v_dual_lshlrev_b32 v2, 2, v2
	ds_bpermute_b32 v3, v2, v30
	s_wait_dscnt 0x0
	v_dual_max_num_f32 v6, v3, v3 :: v_dual_lshlrev_b32 v3, 2, v4
	v_max_num_f32_e32 v4, v5, v6
	v_xor_b32_e32 v6, 4, v38
	s_delay_alu instid0(VALU_DEP_1) | instskip(SKIP_4) | instid1(VALU_DEP_1)
	v_cmp_lt_i32_e32 vcc_lo, v6, v39
	v_cndmask_b32_e32 v7, v38, v6, vcc_lo
	ds_bpermute_b32 v5, v3, v4
	s_wait_dscnt 0x0
	v_dual_lshlrev_b32 v7, 2, v7 :: v_dual_max_num_f32 v5, v5, v5
	v_dual_max_num_f32 v6, v4, v5 :: v_dual_bitop2_b32 v4, 31, v0 bitop3:0x40
	v_lshlrev_b32_e32 v5, 2, v1
	ds_bpermute_b32 v8, v7, v6
	v_cmp_eq_u32_e32 vcc_lo, 0, v4
	s_wait_xcnt 0x0
	s_and_saveexec_b32 s0, vcc_lo
	s_cbranch_execz .LBB14_14
; %bb.13:
	s_wait_dscnt 0x0
	v_dual_max_num_f32 v8, v8, v8 :: v_dual_max_num_f32 v6, v6, v6
	s_delay_alu instid0(VALU_DEP_1)
	v_max_num_f32_e32 v6, v6, v8
	ds_store_b32 v5, v6 offset:480
.LBB14_14:
	s_or_b32 exec_lo, exec_lo, s0
	v_cmp_gt_u32_e64 s0, 4, v4
	v_dual_mov_b32 v9, 0xff7fffff :: v_dual_lshlrev_b32 v6, 2, v4
	s_wait_dscnt 0x0
	s_barrier_signal -1
	s_barrier_wait -1
	s_and_saveexec_b32 s1, s0
; %bb.15:
	ds_load_b32 v9, v6 offset:480
; %bb.16:
	s_or_b32 exec_lo, exec_lo, s1
	v_xor_b32_e32 v8, 2, v38
	v_xor_b32_e32 v11, 1, v38
	s_delay_alu instid0(VALU_DEP_2) | instskip(NEXT) | instid1(VALU_DEP_1)
	v_cmp_lt_i32_e64 s1, v8, v39
	v_cndmask_b32_e64 v8, v38, v8, s1
	s_delay_alu instid0(VALU_DEP_3) | instskip(NEXT) | instid1(VALU_DEP_1)
	v_cmp_lt_i32_e64 s1, v11, v39
	v_dual_lshlrev_b32 v8, 2, v8 :: v_dual_cndmask_b32 v11, v38, v11, s1
	s_lshl_b32 s1, s22, 3
	s_delay_alu instid0(SALU_CYCLE_1)
	s_min_i32 s4, s1, s21
	s_wait_dscnt 0x0
	ds_bpermute_b32 v10, v8, v9
	v_max_num_f32_e32 v9, v9, v9
	v_cmp_gt_i32_e64 s1, s4, v0
	s_wait_dscnt 0x0
	v_dual_max_num_f32 v10, v10, v10 :: v_dual_lshlrev_b32 v53, 2, v11
	s_delay_alu instid0(VALU_DEP_1) | instskip(SKIP_3) | instid1(VALU_DEP_1)
	v_max_num_f32_e32 v9, v9, v10
	ds_bpermute_b32 v10, v53, v9
	s_wait_dscnt 0x0
	v_max_num_f32_e32 v10, v10, v10
	v_dual_max_num_f32 v9, v9, v10 :: v_dual_lshlrev_b32 v10, 2, v31
	ds_bpermute_b32 v10, v10, v9
	v_mov_b32_e32 v9, 0
	s_and_saveexec_b32 s15, s1
	s_cbranch_execz .LBB14_20
; %bb.17:
	v_lshl_add_u32 v11, v0, 2, 0x200
	v_dual_mov_b32 v9, 0 :: v_dual_mov_b32 v12, v0
	s_mov_b32 s23, 0
.LBB14_18:                              ; =>This Inner Loop Header: Depth=1
	ds_load_b32 v13, v11
	v_add_nc_u32_e32 v12, 0x80, v12
	s_delay_alu instid0(VALU_DEP_1) | instskip(SKIP_3) | instid1(VALU_DEP_1)
	v_cmp_le_i32_e64 s3, s4, v12
	s_or_b32 s23, s3, s23
	s_wait_dscnt 0x0
	v_sub_f32_e32 v13, v13, v10
	v_mul_f32_e32 v13, 0x3fb8aa3b, v13
	s_delay_alu instid0(VALU_DEP_1)
	v_exp_f32_e32 v13, v13
	ds_store_b32 v11, v13
	v_nop
	v_add_f32_e32 v9, v9, v13
	v_add_nc_u32_e32 v11, 0x200, v11
	s_and_not1_b32 exec_lo, exec_lo, s23
	s_cbranch_execnz .LBB14_18
; %bb.19:
	s_or_b32 exec_lo, exec_lo, s23
.LBB14_20:
	s_delay_alu instid0(SALU_CYCLE_1)
	s_or_b32 exec_lo, exec_lo, s15
	ds_bpermute_b32 v2, v2, v9
	s_wait_dscnt 0x0
	v_add_f32_e32 v2, v9, v2
	ds_bpermute_b32 v3, v3, v2
	s_wait_dscnt 0x0
	v_add_f32_e32 v2, v2, v3
	;; [unrolled: 3-line block ×5, first 2 shown]
	s_and_saveexec_b32 s3, vcc_lo
; %bb.21:
	ds_store_b32 v5, v2 offset:496
; %bb.22:
	s_or_b32 exec_lo, exec_lo, s3
	s_wait_dscnt 0x0
	s_barrier_signal -1
	s_barrier_wait -1
	s_and_saveexec_b32 s3, s0
; %bb.23:
	ds_load_b32 v2, v6 offset:496
; %bb.24:
	s_or_b32 exec_lo, exec_lo, s3
	s_wait_dscnt 0x0
	ds_bpermute_b32 v3, v8, v2
	s_wait_dscnt 0x0
	v_dual_add_f32 v2, v2, v3 :: v_dual_lshlrev_b32 v5, 2, v38
	ds_bpermute_b32 v3, v53, v2
	s_wait_dscnt 0x0
	v_add_f32_e32 v2, v2, v3
	v_and_b32_e32 v3, 0xffffff80, v5
	ds_bpermute_b32 v2, v3, v2
	s_and_saveexec_b32 s0, s1
	s_cbranch_execz .LBB14_37
; %bb.25:
	s_wait_dscnt 0x0
	v_add_f32_e32 v2, 0x358637bd, v2
	s_mov_b32 s3, -1
	s_mov_b32 s1, exec_lo
	s_delay_alu instid0(VALU_DEP_1) | instskip(SKIP_1) | instid1(VALU_DEP_2)
	v_div_scale_f32 v3, null, v2, v2, 1.0
	v_div_scale_f32 v7, vcc_lo, 1.0, v2, 1.0
	v_rcp_f32_e32 v6, v3
	v_nop
	s_delay_alu instid0(TRANS32_DEP_1) | instskip(NEXT) | instid1(VALU_DEP_1)
	v_fma_f32 v5, -v3, v6, 1.0
	v_fmac_f32_e32 v6, v5, v6
	s_delay_alu instid0(VALU_DEP_1) | instskip(NEXT) | instid1(VALU_DEP_1)
	v_mul_f32_e32 v8, v7, v6
	v_fma_f32 v5, -v3, v8, v7
	s_delay_alu instid0(VALU_DEP_1) | instskip(SKIP_1) | instid1(VALU_DEP_2)
	v_fmac_f32_e32 v8, v5, v6
	v_xad_u32 v5, v0, -1, s4
	v_fma_f32 v3, -v3, v8, v7
	s_delay_alu instid0(VALU_DEP_1) | instskip(NEXT) | instid1(VALU_DEP_1)
	v_div_fmas_f32 v3, v3, v6, v8
	v_div_fixup_f32 v2, v3, v2, 1.0
	v_mov_b32_e32 v3, v0
	v_cmpx_lt_u32_e32 0x7f, v5
	s_cbranch_execz .LBB14_34
; %bb.26:
	s_delay_alu instid0(VALU_DEP_3) | instskip(NEXT) | instid1(VALU_DEP_1)
	v_dual_lshrrev_b32 v5, 7, v5 :: v_dual_mov_b32 v3, v2
	v_dual_mov_b32 v9, 0 :: v_dual_add_nc_u32 v6, -1, v5
	s_delay_alu instid0(VALU_DEP_1) | instskip(SKIP_1) | instid1(VALU_DEP_2)
	v_lshrrev_b32_e32 v7, 1, v6
	v_cmp_lt_u32_e32 vcc_lo, 13, v6
	v_add_nc_u32_e32 v6, 1, v7
	s_and_saveexec_b32 s3, vcc_lo
	s_cbranch_execz .LBB14_30
; %bb.27:
	s_delay_alu instid0(VALU_DEP_1)
	v_and_b32_e32 v7, -8, v6
	v_lshl_add_u32 v8, v0, 2, 0x200
	s_mov_b32 s15, 0
	s_mov_b32 s23, 0
.LBB14_28:                              ; =>This Inner Loop Header: Depth=1
	ds_load_2addr_stride64_b32 v[10:11], v8 offset1:2
	ds_load_2addr_stride64_b32 v[12:13], v8 offset0:4 offset1:6
	ds_load_2addr_stride64_b32 v[14:15], v8 offset0:8 offset1:10
	;; [unrolled: 1-line block ×7, first 2 shown]
	s_add_co_i32 s23, s23, 16
	s_delay_alu instid0(SALU_CYCLE_1) | instskip(NEXT) | instid1(VALU_DEP_1)
	v_dual_add_nc_u32 v7, -8, v7 :: v_dual_mov_b32 v9, s23
	v_cmp_eq_u32_e32 vcc_lo, 0, v7
	s_or_b32 s15, vcc_lo, s15
	s_wait_dscnt 0x7
	v_pk_mul_f32 v[10:11], v[2:3], v[10:11]
	s_wait_dscnt 0x6
	v_pk_mul_f32 v[12:13], v[2:3], v[12:13]
	s_wait_dscnt 0x5
	v_pk_mul_f32 v[14:15], v[2:3], v[14:15]
	s_wait_dscnt 0x4
	v_pk_mul_f32 v[16:17], v[2:3], v[16:17]
	s_wait_dscnt 0x3
	v_pk_mul_f32 v[18:19], v[2:3], v[18:19]
	s_wait_dscnt 0x2
	v_pk_mul_f32 v[20:21], v[2:3], v[20:21]
	s_wait_dscnt 0x1
	v_pk_mul_f32 v[22:23], v[2:3], v[22:23]
	s_wait_dscnt 0x0
	v_pk_mul_f32 v[24:25], v[2:3], v[24:25]
	ds_store_2addr_stride64_b32 v8, v10, v11 offset1:2
	ds_store_2addr_stride64_b32 v8, v12, v13 offset0:4 offset1:6
	ds_store_2addr_stride64_b32 v8, v14, v15 offset0:8 offset1:10
	;; [unrolled: 1-line block ×7, first 2 shown]
	v_add_nc_u32_e32 v8, 0x2000, v8
	s_and_not1_b32 exec_lo, exec_lo, s15
	s_cbranch_execnz .LBB14_28
; %bb.29:
	s_or_b32 exec_lo, exec_lo, s15
.LBB14_30:
	s_delay_alu instid0(SALU_CYCLE_1) | instskip(NEXT) | instid1(VALU_DEP_1)
	s_or_b32 exec_lo, exec_lo, s3
	v_and_b32_e32 v6, 7, v6
	s_mov_b32 s15, 0
	s_mov_b32 s3, exec_lo
	s_delay_alu instid0(VALU_DEP_1)
	v_cmpx_ne_u32_e32 0, v6
	s_cbranch_execz .LBB14_33
; %bb.31:
	v_dual_lshlrev_b32 v7, 9, v9 :: v_dual_lshlrev_b32 v8, 2, v0
	s_delay_alu instid0(VALU_DEP_1)
	v_add3_u32 v7, v7, v8, 0x200
.LBB14_32:                              ; =>This Inner Loop Header: Depth=1
	ds_load_2addr_stride64_b32 v[8:9], v7 offset1:2
	v_add_nc_u32_e32 v6, -1, v6
	s_delay_alu instid0(VALU_DEP_1)
	v_cmp_eq_u32_e32 vcc_lo, 0, v6
	s_or_b32 s15, vcc_lo, s15
	s_wait_dscnt 0x0
	v_pk_mul_f32 v[8:9], v[2:3], v[8:9]
	ds_store_2addr_stride64_b32 v7, v8, v9 offset1:2
	v_add_nc_u32_e32 v7, 0x400, v7
	s_and_not1_b32 exec_lo, exec_lo, s15
	s_cbranch_execnz .LBB14_32
.LBB14_33:
	s_or_b32 exec_lo, exec_lo, s3
	v_add_nc_u32_e32 v3, 1, v5
	s_delay_alu instid0(VALU_DEP_1) | instskip(NEXT) | instid1(VALU_DEP_1)
	v_and_b32_e32 v5, 0x3fffffe, v3
	v_cmp_ne_u32_e32 vcc_lo, v3, v5
	v_lshl_add_u32 v3, v5, 7, v0
	s_or_not1_b32 s3, vcc_lo, exec_lo
.LBB14_34:
	s_or_b32 exec_lo, exec_lo, s1
	s_delay_alu instid0(SALU_CYCLE_1)
	s_and_b32 exec_lo, exec_lo, s3
	s_cbranch_execz .LBB14_37
; %bb.35:
	v_lshl_add_u32 v5, v3, 2, 0x200
	s_mov_b32 s1, 0
.LBB14_36:                              ; =>This Inner Loop Header: Depth=1
	ds_load_b32 v6, v5
	s_wait_dscnt 0x0
	v_dual_mul_f32 v6, v2, v6 :: v_dual_add_nc_u32 v3, 0x80, v3
	s_delay_alu instid0(VALU_DEP_1) | instskip(SKIP_3) | instid1(SALU_CYCLE_1)
	v_cmp_le_i32_e32 vcc_lo, s4, v3
	ds_store_b32 v5, v6
	v_add_nc_u32_e32 v5, 0x200, v5
	s_or_b32 s1, vcc_lo, s1
	s_and_not1_b32 exec_lo, exec_lo, s1
	s_cbranch_execnz .LBB14_36
.LBB14_37:
	s_or_b32 exec_lo, exec_lo, s0
	v_lshrrev_b32_e32 v52, 1, v4
	s_wait_dscnt 0x0
	s_barrier_signal -1
	s_barrier_wait -1
	s_and_saveexec_b32 s0, s2
	s_delay_alu instid0(SALU_CYCLE_1)
	s_xor_b32 s0, exec_lo, s0
; %bb.38:
	v_lshrrev_b32_e32 v52, 1, v4
                                        ; implicit-def: $vgpr46
; %bb.39:
	s_or_saveexec_b32 s23, s0
	v_dual_mov_b32 v39, 0 :: v_dual_bitop2_b32 v54, 1, v0 bitop3:0x40
	v_dual_mov_b32 v38, 0 :: v_dual_mov_b32 v41, 0
	v_dual_mov_b32 v40, 0 :: v_dual_mov_b32 v43, 0
	;; [unrolled: 1-line block ×3, first 2 shown]
	v_mov_b32_e32 v44, 0
	s_xor_b32 exec_lo, exec_lo, s23
	s_cbranch_execz .LBB14_61
; %bb.40:
	v_dual_mov_b32 v47, 0 :: v_dual_lshlrev_b32 v2, 2, v0
	s_ashr_i32 s15, s14, 31
	v_or_b32_e32 v4, 0x70, v52
	v_lshlrev_b32_e32 v5, 4, v54
	s_delay_alu instid0(VALU_DEP_3)
	v_and_b32_e32 v3, 4, v2
	s_lshl_b64 s[0:1], s[14:15], 2
	v_and_b32_e32 v46, 0x7c, v46
	s_ashr_i32 s3, s5, 31
	s_mov_b32 s2, s5
	v_lshl_or_b32 v2, v52, 3, v3
	s_wait_kmcnt 0x0
	s_add_nc_u64 s[4:5], s[16:17], s[0:1]
	s_lshl_b64 s[0:1], s[10:11], 2
	v_cmp_gt_u32_e32 vcc_lo, 0x78, v4
	v_mov_b32_e32 v51, v47
	v_lshl_or_b32 v5, v1, 5, v5
	v_lshlrev_b32_e32 v50, 2, v2
	v_lshl_or_b32 v4, v4, 3, v3
	s_add_nc_u64 s[0:1], s[12:13], s[0:1]
	v_lshl_or_b32 v55, v1, 3, v3
	v_add_nc_u64_e32 v[48:49], s[0:1], v[46:47]
	v_dual_mov_b32 v39, v47 :: v_dual_add_nc_u32 v56, 0x200, v5
	v_dual_lshlrev_b32 v46, 2, v4 :: v_dual_mov_b32 v38, v47
	v_dual_mov_b32 v41, v47 :: v_dual_mov_b32 v40, v47
	v_dual_mov_b32 v43, v47 :: v_dual_mov_b32 v42, v47
	;; [unrolled: 1-line block ×3, first 2 shown]
	v_mov_b32_e32 v57, v1
	s_add_co_i32 s10, s22, -1
	s_mov_b32 s12, s21
	s_mov_b32 s11, 0
	s_branch .LBB14_43
.LBB14_41:                              ;   in Loop: Header=BB14_43 Depth=1
	s_or_b32 exec_lo, exec_lo, s13
	s_wait_loadcnt_dscnt 0x0
	v_pk_mul_f32 v[34:35], v[6:7], v[34:35]
	v_pk_mul_f32 v[36:37], v[8:9], v[36:37]
	s_delay_alu instid0(VALU_DEP_2) | instskip(NEXT) | instid1(VALU_DEP_1)
	v_add_f32_e32 v34, v35, v34
	v_add_f32_e32 v34, v36, v34
	s_delay_alu instid0(VALU_DEP_1) | instskip(NEXT) | instid1(VALU_DEP_1)
	v_add_f32_e32 v34, v37, v34
	v_add_f32_e32 v39, v39, v34
.LBB14_42:                              ;   in Loop: Header=BB14_43 Depth=1
	s_or_b32 exec_lo, exec_lo, s1
	s_wait_loadcnt_dscnt 0x100
	v_mul_f32_e32 v26, v6, v26
	s_wait_loadcnt 0x0
	v_mul_f32_e32 v30, v6, v30
	v_add_nc_u64_e32 v[48:49], 16, v[48:49]
	v_add_nc_u32_e32 v56, 0x80, v56
	v_dual_fmac_f32 v26, v7, v27 :: v_dual_add_nc_u32 v57, 4, v57
	s_delay_alu instid0(VALU_DEP_4) | instskip(SKIP_1) | instid1(VALU_DEP_3)
	v_dual_fmac_f32 v30, v7, v31 :: v_dual_mul_f32 v22, v6, v22
	v_dual_mul_f32 v18, v6, v18 :: v_dual_add_nc_u32 v55, 32, v55
	v_fmac_f32_e32 v26, v8, v28
	s_delay_alu instid0(VALU_DEP_3) | instskip(NEXT) | instid1(VALU_DEP_4)
	v_dual_fmac_f32 v30, v8, v32 :: v_dual_mul_f32 v14, v6, v14
	v_dual_fmac_f32 v22, v7, v23 :: v_dual_mul_f32 v2, v6, v2
	s_delay_alu instid0(VALU_DEP_4) | instskip(NEXT) | instid1(VALU_DEP_3)
	v_dual_mul_f32 v10, v6, v10 :: v_dual_fmac_f32 v18, v7, v19
	v_fmac_f32_e32 v14, v7, v15
	s_delay_alu instid0(VALU_DEP_3) | instskip(SKIP_1) | instid1(VALU_DEP_4)
	v_fmac_f32_e32 v22, v8, v24
	v_cmp_le_i32_e64 s0, s22, v57
	v_fmac_f32_e32 v10, v7, v11
	s_delay_alu instid0(VALU_DEP_4) | instskip(SKIP_1) | instid1(VALU_DEP_2)
	v_fmac_f32_e32 v14, v8, v16
	s_or_b32 s11, s0, s11
	v_fmac_f32_e32 v10, v8, v12
	s_delay_alu instid0(VALU_DEP_2) | instskip(SKIP_1) | instid1(VALU_DEP_3)
	v_fmac_f32_e32 v14, v9, v17
	v_fmac_f32_e32 v2, v7, v3
	v_fmac_f32_e32 v10, v9, v13
	s_delay_alu instid0(VALU_DEP_3) | instskip(NEXT) | instid1(VALU_DEP_2)
	v_dual_fmac_f32 v18, v8, v20 :: v_dual_add_f32 v42, v42, v14
	v_dual_fmac_f32 v2, v8, v4 :: v_dual_add_f32 v45, v45, v10
	s_delay_alu instid0(VALU_DEP_1) | instskip(NEXT) | instid1(VALU_DEP_1)
	v_fmac_f32_e32 v2, v9, v5
	v_dual_fmac_f32 v18, v9, v21 :: v_dual_add_f32 v44, v44, v2
	s_delay_alu instid0(VALU_DEP_1) | instskip(NEXT) | instid1(VALU_DEP_1)
	v_dual_fmac_f32 v22, v9, v25 :: v_dual_add_f32 v43, v43, v18
	v_dual_fmac_f32 v30, v9, v33 :: v_dual_add_f32 v40, v40, v22
	s_delay_alu instid0(VALU_DEP_1) | instskip(NEXT) | instid1(VALU_DEP_1)
	v_dual_fmac_f32 v26, v9, v29 :: v_dual_add_f32 v38, v38, v30
	v_add_f32_e32 v41, v41, v26
	s_and_not1_b32 exec_lo, exec_lo, s11
	s_cbranch_execz .LBB14_60
.LBB14_43:                              ; =>This Inner Loop Header: Depth=1
	global_load_b32 v2, v[48:49], off
	ds_load_b128 v[6:9], v56
	v_cmp_eq_u32_e64 s0, s10, v57
	s_wait_loadcnt 0x0
	v_ashrrev_i32_e32 v3, 31, v2
	s_delay_alu instid0(VALU_DEP_1) | instskip(NEXT) | instid1(VALU_DEP_1)
	v_mul_u64_e32 v[2:3], s[2:3], v[2:3]
	v_lshl_add_u64 v[34:35], v[2:3], 2, s[4:5]
	s_delay_alu instid0(VALU_DEP_1)
	v_add_nc_u64_e32 v[30:31], v[34:35], v[50:51]
	global_load_b128 v[2:5], v[30:31], off
	s_wait_xcnt 0x0
	s_and_saveexec_b32 s13, s0
	s_cbranch_execnz .LBB14_51
; %bb.44:                               ;   in Loop: Header=BB14_43 Depth=1
	s_or_b32 exec_lo, exec_lo, s13
	global_load_b128 v[10:13], v[30:31], off offset:512
	s_wait_xcnt 0x0
	s_and_saveexec_b32 s13, s0
	s_cbranch_execnz .LBB14_52
.LBB14_45:                              ;   in Loop: Header=BB14_43 Depth=1
	s_or_b32 exec_lo, exec_lo, s13
	global_load_b128 v[14:17], v[30:31], off offset:1024
	s_wait_xcnt 0x0
	s_and_saveexec_b32 s13, s0
	s_cbranch_execnz .LBB14_53
.LBB14_46:                              ;   in Loop: Header=BB14_43 Depth=1
	s_or_b32 exec_lo, exec_lo, s13
	global_load_b128 v[18:21], v[30:31], off offset:1536
	s_wait_xcnt 0x0
	s_and_saveexec_b32 s13, s0
	s_cbranch_execnz .LBB14_54
.LBB14_47:                              ;   in Loop: Header=BB14_43 Depth=1
	s_or_b32 exec_lo, exec_lo, s13
	global_load_b128 v[22:25], v[30:31], off offset:2048
	s_wait_xcnt 0x0
	s_and_saveexec_b32 s13, s0
	s_cbranch_execnz .LBB14_55
.LBB14_48:                              ;   in Loop: Header=BB14_43 Depth=1
	s_or_b32 exec_lo, exec_lo, s13
	global_load_b128 v[26:29], v[30:31], off offset:2560
	s_wait_xcnt 0x0
	s_and_saveexec_b32 s13, s0
	s_cbranch_execnz .LBB14_56
.LBB14_49:                              ;   in Loop: Header=BB14_43 Depth=1
	s_or_b32 exec_lo, exec_lo, s13
	global_load_b128 v[30:33], v[30:31], off offset:3072
	s_wait_xcnt 0x0
	s_and_saveexec_b32 s13, s0
	s_cbranch_execnz .LBB14_57
.LBB14_50:                              ;   in Loop: Header=BB14_43 Depth=1
	s_or_b32 exec_lo, exec_lo, s13
	s_and_saveexec_b32 s1, vcc_lo
	s_cbranch_execz .LBB14_42
	s_branch .LBB14_58
.LBB14_51:                              ;   in Loop: Header=BB14_43 Depth=1
	v_dual_add_nc_u32 v10, 1, v55 :: v_dual_bitop2_b32 v11, 3, v55 bitop3:0x54
	s_delay_alu instid0(VALU_DEP_1) | instskip(SKIP_1) | instid1(VALU_DEP_1)
	v_cmp_gt_i32_e64 s1, s12, v10
	s_wait_loadcnt 0x0
	v_cndmask_b32_e64 v3, 0, v3, s1
	v_cmp_gt_i32_e64 s1, s21, v55
	s_delay_alu instid0(VALU_DEP_1) | instskip(SKIP_1) | instid1(VALU_DEP_1)
	v_dual_cndmask_b32 v2, 0, v2, s1 :: v_dual_bitop2_b32 v12, 2, v55 bitop3:0x54
	v_cmp_gt_i32_e64 s1, s12, v11
	v_cndmask_b32_e64 v5, 0, v5, s1
	s_delay_alu instid0(VALU_DEP_3) | instskip(NEXT) | instid1(VALU_DEP_1)
	v_cmp_gt_i32_e64 s1, s21, v12
	v_cndmask_b32_e64 v4, 0, v4, s1
	s_or_b32 exec_lo, exec_lo, s13
	global_load_b128 v[10:13], v[30:31], off offset:512
	s_wait_xcnt 0x0
	s_and_saveexec_b32 s13, s0
	s_cbranch_execz .LBB14_45
.LBB14_52:                              ;   in Loop: Header=BB14_43 Depth=1
	v_dual_add_nc_u32 v14, 1, v55 :: v_dual_bitop2_b32 v15, 3, v55 bitop3:0x54
	s_delay_alu instid0(VALU_DEP_1) | instskip(SKIP_1) | instid1(VALU_DEP_1)
	v_cmp_gt_i32_e64 s1, s12, v14
	s_wait_loadcnt 0x0
	v_cndmask_b32_e64 v11, 0, v11, s1
	v_cmp_gt_i32_e64 s1, s21, v55
	s_delay_alu instid0(VALU_DEP_1) | instskip(SKIP_1) | instid1(VALU_DEP_1)
	v_dual_cndmask_b32 v10, 0, v10, s1 :: v_dual_bitop2_b32 v16, 2, v55 bitop3:0x54
	v_cmp_gt_i32_e64 s1, s12, v15
	v_cndmask_b32_e64 v13, 0, v13, s1
	s_delay_alu instid0(VALU_DEP_3) | instskip(NEXT) | instid1(VALU_DEP_1)
	v_cmp_gt_i32_e64 s1, s21, v16
	v_cndmask_b32_e64 v12, 0, v12, s1
	s_or_b32 exec_lo, exec_lo, s13
	global_load_b128 v[14:17], v[30:31], off offset:1024
	s_wait_xcnt 0x0
	s_and_saveexec_b32 s13, s0
	s_cbranch_execz .LBB14_46
.LBB14_53:                              ;   in Loop: Header=BB14_43 Depth=1
	v_dual_add_nc_u32 v18, 1, v55 :: v_dual_bitop2_b32 v19, 3, v55 bitop3:0x54
	s_delay_alu instid0(VALU_DEP_1) | instskip(SKIP_1) | instid1(VALU_DEP_1)
	v_cmp_gt_i32_e64 s1, s12, v18
	s_wait_loadcnt 0x0
	v_cndmask_b32_e64 v15, 0, v15, s1
	v_cmp_gt_i32_e64 s1, s21, v55
	s_delay_alu instid0(VALU_DEP_1) | instskip(SKIP_1) | instid1(VALU_DEP_1)
	v_dual_cndmask_b32 v14, 0, v14, s1 :: v_dual_bitop2_b32 v20, 2, v55 bitop3:0x54
	v_cmp_gt_i32_e64 s1, s12, v19
	v_cndmask_b32_e64 v17, 0, v17, s1
	s_delay_alu instid0(VALU_DEP_3) | instskip(NEXT) | instid1(VALU_DEP_1)
	v_cmp_gt_i32_e64 s1, s21, v20
	v_cndmask_b32_e64 v16, 0, v16, s1
	s_or_b32 exec_lo, exec_lo, s13
	global_load_b128 v[18:21], v[30:31], off offset:1536
	s_wait_xcnt 0x0
	s_and_saveexec_b32 s13, s0
	s_cbranch_execz .LBB14_47
.LBB14_54:                              ;   in Loop: Header=BB14_43 Depth=1
	v_dual_add_nc_u32 v22, 1, v55 :: v_dual_bitop2_b32 v23, 3, v55 bitop3:0x54
	s_delay_alu instid0(VALU_DEP_1) | instskip(SKIP_1) | instid1(VALU_DEP_1)
	v_cmp_gt_i32_e64 s1, s12, v22
	s_wait_loadcnt 0x0
	v_cndmask_b32_e64 v19, 0, v19, s1
	v_cmp_gt_i32_e64 s1, s21, v55
	s_delay_alu instid0(VALU_DEP_1) | instskip(SKIP_1) | instid1(VALU_DEP_1)
	v_dual_cndmask_b32 v18, 0, v18, s1 :: v_dual_bitop2_b32 v24, 2, v55 bitop3:0x54
	v_cmp_gt_i32_e64 s1, s12, v23
	v_cndmask_b32_e64 v21, 0, v21, s1
	s_delay_alu instid0(VALU_DEP_3) | instskip(NEXT) | instid1(VALU_DEP_1)
	v_cmp_gt_i32_e64 s1, s21, v24
	v_cndmask_b32_e64 v20, 0, v20, s1
	s_or_b32 exec_lo, exec_lo, s13
	global_load_b128 v[22:25], v[30:31], off offset:2048
	s_wait_xcnt 0x0
	s_and_saveexec_b32 s13, s0
	s_cbranch_execz .LBB14_48
.LBB14_55:                              ;   in Loop: Header=BB14_43 Depth=1
	v_dual_add_nc_u32 v26, 1, v55 :: v_dual_bitop2_b32 v27, 3, v55 bitop3:0x54
	s_delay_alu instid0(VALU_DEP_1) | instskip(SKIP_1) | instid1(VALU_DEP_1)
	v_cmp_gt_i32_e64 s1, s12, v26
	s_wait_loadcnt 0x0
	v_cndmask_b32_e64 v23, 0, v23, s1
	v_cmp_gt_i32_e64 s1, s21, v55
	s_delay_alu instid0(VALU_DEP_1) | instskip(SKIP_1) | instid1(VALU_DEP_1)
	v_dual_cndmask_b32 v22, 0, v22, s1 :: v_dual_bitop2_b32 v28, 2, v55 bitop3:0x54
	v_cmp_gt_i32_e64 s1, s12, v27
	v_cndmask_b32_e64 v25, 0, v25, s1
	s_delay_alu instid0(VALU_DEP_3) | instskip(NEXT) | instid1(VALU_DEP_1)
	v_cmp_gt_i32_e64 s1, s21, v28
	v_cndmask_b32_e64 v24, 0, v24, s1
	s_or_b32 exec_lo, exec_lo, s13
	global_load_b128 v[26:29], v[30:31], off offset:2560
	s_wait_xcnt 0x0
	s_and_saveexec_b32 s13, s0
	s_cbranch_execz .LBB14_49
.LBB14_56:                              ;   in Loop: Header=BB14_43 Depth=1
	v_dual_add_nc_u32 v32, 1, v55 :: v_dual_bitop2_b32 v33, 3, v55 bitop3:0x54
	s_delay_alu instid0(VALU_DEP_1) | instskip(SKIP_1) | instid1(VALU_DEP_1)
	v_cmp_gt_i32_e64 s1, s12, v32
	s_wait_loadcnt 0x0
	v_cndmask_b32_e64 v27, 0, v27, s1
	v_cmp_gt_i32_e64 s1, s21, v55
	s_delay_alu instid0(VALU_DEP_1) | instskip(SKIP_1) | instid1(VALU_DEP_1)
	v_dual_cndmask_b32 v26, 0, v26, s1 :: v_dual_bitop2_b32 v36, 2, v55 bitop3:0x54
	v_cmp_gt_i32_e64 s1, s12, v33
	v_cndmask_b32_e64 v29, 0, v29, s1
	s_delay_alu instid0(VALU_DEP_3) | instskip(NEXT) | instid1(VALU_DEP_1)
	v_cmp_gt_i32_e64 s1, s21, v36
	v_cndmask_b32_e64 v28, 0, v28, s1
	s_or_b32 exec_lo, exec_lo, s13
	global_load_b128 v[30:33], v[30:31], off offset:3072
	s_wait_xcnt 0x0
	s_and_saveexec_b32 s13, s0
	s_cbranch_execz .LBB14_50
.LBB14_57:                              ;   in Loop: Header=BB14_43 Depth=1
	v_dual_add_nc_u32 v36, 1, v55 :: v_dual_bitop2_b32 v37, 3, v55 bitop3:0x54
	s_delay_alu instid0(VALU_DEP_1) | instskip(SKIP_1) | instid1(VALU_DEP_1)
	v_cmp_gt_i32_e64 s1, s12, v36
	s_wait_loadcnt 0x0
	v_cndmask_b32_e64 v31, 0, v31, s1
	v_cmp_gt_i32_e64 s1, s21, v55
	s_delay_alu instid0(VALU_DEP_1) | instskip(SKIP_1) | instid1(VALU_DEP_1)
	v_dual_cndmask_b32 v30, 0, v30, s1 :: v_dual_bitop2_b32 v58, 2, v55 bitop3:0x54
	v_cmp_gt_i32_e64 s1, s12, v37
	v_cndmask_b32_e64 v33, 0, v33, s1
	s_delay_alu instid0(VALU_DEP_3) | instskip(NEXT) | instid1(VALU_DEP_1)
	v_cmp_gt_i32_e64 s1, s21, v58
	v_cndmask_b32_e64 v32, 0, v32, s1
	s_or_b32 exec_lo, exec_lo, s13
	s_and_saveexec_b32 s1, vcc_lo
	s_cbranch_execz .LBB14_42
.LBB14_58:                              ;   in Loop: Header=BB14_43 Depth=1
	v_add_nc_u64_e32 v[34:35], v[34:35], v[46:47]
	global_load_b128 v[34:37], v[34:35], off
	s_wait_xcnt 0x0
	s_and_saveexec_b32 s13, s0
	s_cbranch_execz .LBB14_41
; %bb.59:                               ;   in Loop: Header=BB14_43 Depth=1
	v_dual_add_nc_u32 v58, 1, v55 :: v_dual_bitop2_b32 v59, 3, v55 bitop3:0x54
	s_delay_alu instid0(VALU_DEP_1) | instskip(SKIP_1) | instid1(VALU_DEP_1)
	v_cmp_gt_i32_e64 s0, s12, v58
	s_wait_loadcnt 0x0
	v_cndmask_b32_e64 v35, 0, v35, s0
	v_cmp_gt_i32_e64 s0, s21, v55
	s_delay_alu instid0(VALU_DEP_1) | instskip(SKIP_1) | instid1(VALU_DEP_1)
	v_dual_cndmask_b32 v34, 0, v34, s0 :: v_dual_bitop2_b32 v60, 2, v55 bitop3:0x54
	v_cmp_gt_i32_e64 s0, s12, v59
	v_cndmask_b32_e64 v37, 0, v37, s0
	s_delay_alu instid0(VALU_DEP_3) | instskip(NEXT) | instid1(VALU_DEP_1)
	v_cmp_gt_i32_e64 s0, s21, v60
	v_cndmask_b32_e64 v36, 0, v36, s0
	s_branch .LBB14_41
.LBB14_60:
	s_or_b32 exec_lo, exec_lo, s11
.LBB14_61:
	s_delay_alu instid0(SALU_CYCLE_1)
	s_or_b32 exec_lo, exec_lo, s23
	ds_bpermute_b32 v2, v53, v44
	ds_bpermute_b32 v3, v53, v45
	;; [unrolled: 1-line block ×8, first 2 shown]
	s_movk_i32 s0, 0x1e0
	v_and_b32_e32 v14, 0x3c0, v0
	v_mad_u32_u24 v1, v1, s0, 0x200
	s_mov_b32 s1, exec_lo
	v_cmp_eq_u32_e32 vcc_lo, 0, v54
	s_wait_dscnt 0x0
	s_barrier_signal -1
	s_barrier_wait -1
	v_pk_add_f32 v[8:9], v[44:45], v[2:3]
	v_pk_add_f32 v[6:7], v[42:43], v[4:5]
	;; [unrolled: 1-line block ×4, first 2 shown]
	v_cmpx_eq_u32_e32 64, v14
	s_cbranch_execz .LBB14_66
; %bb.62:
	v_add_nc_u32_e32 v10, 0xfffffc40, v1
	s_and_saveexec_b32 s0, vcc_lo
	s_cbranch_execz .LBB14_64
; %bb.63:
	s_delay_alu instid0(VALU_DEP_1)
	v_lshl_add_u32 v11, v52, 2, v10
	ds_store_2addr_b32 v11, v8, v9 offset1:16
	ds_store_2addr_b32 v11, v6, v7 offset0:32 offset1:48
	ds_store_2addr_b32 v11, v4, v5 offset0:64 offset1:80
	ds_store_b32 v11, v2 offset:384
.LBB14_64:
	s_or_b32 exec_lo, exec_lo, s0
	v_or_b32_e32 v11, 0x70, v52
	s_delay_alu instid0(VALU_DEP_1) | instskip(SKIP_1) | instid1(SALU_CYCLE_1)
	v_cmp_gt_u32_e64 s0, 0x78, v11
	s_and_b32 s0, vcc_lo, s0
	s_and_b32 exec_lo, exec_lo, s0
; %bb.65:
	v_lshl_add_u32 v10, v11, 2, v10
	ds_store_b32 v10, v3
.LBB14_66:
	s_or_b32 exec_lo, exec_lo, s1
	s_delay_alu instid0(SALU_CYCLE_1)
	s_mov_b32 s1, exec_lo
	s_wait_dscnt 0x0
	s_barrier_signal -1
	s_barrier_wait -1
	v_cmpx_gt_u32_e32 64, v0
	s_cbranch_execz .LBB14_78
; %bb.67:
	s_and_saveexec_b32 s0, vcc_lo
	s_cbranch_execnz .LBB14_101
; %bb.68:
	s_or_b32 exec_lo, exec_lo, s0
	s_and_saveexec_b32 s0, vcc_lo
	s_cbranch_execnz .LBB14_102
.LBB14_69:
	s_or_b32 exec_lo, exec_lo, s0
	s_and_saveexec_b32 s0, vcc_lo
	s_cbranch_execnz .LBB14_103
.LBB14_70:
	s_or_b32 exec_lo, exec_lo, s0
	s_and_saveexec_b32 s0, vcc_lo
	s_cbranch_execnz .LBB14_104
.LBB14_71:
	s_or_b32 exec_lo, exec_lo, s0
	s_and_saveexec_b32 s0, vcc_lo
	s_cbranch_execnz .LBB14_105
.LBB14_72:
	s_or_b32 exec_lo, exec_lo, s0
	s_and_saveexec_b32 s0, vcc_lo
	s_cbranch_execnz .LBB14_106
.LBB14_73:
	s_or_b32 exec_lo, exec_lo, s0
	s_and_saveexec_b32 s0, vcc_lo
	s_cbranch_execz .LBB14_75
.LBB14_74:
	v_lshl_add_u32 v10, v52, 2, v1
	ds_load_b32 v10, v10 offset:384
	s_wait_dscnt 0x0
	v_add_f32_e32 v2, v2, v10
.LBB14_75:
	s_or_b32 exec_lo, exec_lo, s0
	v_or_b32_e32 v10, 0x70, v52
	s_delay_alu instid0(VALU_DEP_1) | instskip(SKIP_1) | instid1(SALU_CYCLE_1)
	v_cmp_gt_u32_e64 s0, 0x78, v10
	s_and_b32 s2, vcc_lo, s0
	s_and_saveexec_b32 s0, s2
	s_cbranch_execz .LBB14_77
; %bb.76:
	v_lshl_add_u32 v10, v52, 2, v1
	ds_load_b32 v10, v10 offset:448
	s_wait_dscnt 0x0
	v_add_f32_e32 v3, v3, v10
.LBB14_77:
	s_or_b32 exec_lo, exec_lo, s0
.LBB14_78:
	s_delay_alu instid0(SALU_CYCLE_1) | instskip(SKIP_4) | instid1(VALU_DEP_1)
	s_or_b32 exec_lo, exec_lo, s1
	v_and_b32_e32 v10, 0x3e0, v0
	s_mov_b32 s1, exec_lo
	s_barrier_signal -1
	s_barrier_wait -1
	v_cmpx_eq_u32_e32 32, v10
	s_cbranch_execz .LBB14_83
; %bb.79:
	v_lshl_add_u32 v10, v52, 2, 0x200
	s_and_saveexec_b32 s0, vcc_lo
	s_cbranch_execz .LBB14_81
; %bb.80:
	ds_store_2addr_b32 v10, v8, v9 offset1:16
	ds_store_2addr_b32 v10, v6, v7 offset0:32 offset1:48
	ds_store_2addr_b32 v10, v4, v5 offset0:64 offset1:80
	ds_store_b32 v10, v2 offset:384
.LBB14_81:
	s_or_b32 exec_lo, exec_lo, s0
	v_or_b32_e32 v11, 0x70, v52
	s_delay_alu instid0(VALU_DEP_1) | instskip(SKIP_1) | instid1(SALU_CYCLE_1)
	v_cmp_gt_u32_e64 s0, 0x78, v11
	s_and_b32 s0, vcc_lo, s0
	s_and_b32 exec_lo, exec_lo, s0
; %bb.82:
	ds_store_b32 v10, v3 offset:448
.LBB14_83:
	s_or_b32 exec_lo, exec_lo, s1
	v_cmp_gt_u32_e64 s0, 32, v0
	s_wait_dscnt 0x0
	s_barrier_signal -1
	s_barrier_wait -1
	s_and_saveexec_b32 s2, s0
	s_cbranch_execz .LBB14_95
; %bb.84:
	v_lshl_add_u32 v1, v52, 2, v1
	s_and_saveexec_b32 s1, vcc_lo
	s_cbranch_execnz .LBB14_107
; %bb.85:
	s_or_b32 exec_lo, exec_lo, s1
	s_and_saveexec_b32 s1, vcc_lo
	s_cbranch_execnz .LBB14_108
.LBB14_86:
	s_or_b32 exec_lo, exec_lo, s1
	s_and_saveexec_b32 s1, vcc_lo
	s_cbranch_execnz .LBB14_109
.LBB14_87:
	s_or_b32 exec_lo, exec_lo, s1
	s_and_saveexec_b32 s1, vcc_lo
	s_cbranch_execnz .LBB14_110
.LBB14_88:
	s_or_b32 exec_lo, exec_lo, s1
	s_and_saveexec_b32 s1, vcc_lo
	s_cbranch_execnz .LBB14_111
.LBB14_89:
	s_or_b32 exec_lo, exec_lo, s1
	s_and_saveexec_b32 s1, vcc_lo
	s_cbranch_execnz .LBB14_112
.LBB14_90:
	s_or_b32 exec_lo, exec_lo, s1
	s_and_saveexec_b32 s1, vcc_lo
	s_cbranch_execz .LBB14_92
.LBB14_91:
	ds_load_b32 v10, v1 offset:384
	s_wait_dscnt 0x0
	v_add_f32_e32 v2, v2, v10
.LBB14_92:
	s_or_b32 exec_lo, exec_lo, s1
	v_or_b32_e32 v10, 0x70, v52
	s_delay_alu instid0(VALU_DEP_1) | instskip(SKIP_1) | instid1(SALU_CYCLE_1)
	v_cmp_gt_u32_e64 s1, 0x78, v10
	s_and_b32 s3, vcc_lo, s1
	s_and_saveexec_b32 s1, s3
	s_cbranch_execz .LBB14_94
; %bb.93:
	ds_load_b32 v1, v1 offset:448
	s_wait_dscnt 0x0
	v_add_f32_e32 v3, v3, v1
.LBB14_94:
	s_or_b32 exec_lo, exec_lo, s1
.LBB14_95:
	s_delay_alu instid0(SALU_CYCLE_1)
	s_or_b32 exec_lo, exec_lo, s2
	s_barrier_signal -1
	s_barrier_wait -1
	s_and_saveexec_b32 s1, s0
	s_cbranch_execz .LBB14_100
; %bb.96:
	s_wait_kmcnt 0x0
	s_mul_i32 s1, s20, s9
	s_bfe_u32 s5, ttmp6, 0x40014
	s_mul_i32 s1, s1, s19
	s_mul_i32 s0, s9, s8
	;; [unrolled: 1-line block ×3, first 2 shown]
	s_lshr_b32 s4, ttmp7, 16
	s_ashr_i32 s3, s2, 31
	s_add_co_i32 s5, s5, 1
	s_lshl_b64 s[2:3], s[2:3], 2
	s_ashr_i32 s1, s0, 31
	s_add_nc_u64 s[2:3], s[6:7], s[2:3]
	s_mul_i32 s5, s4, s5
	s_bfe_u32 s6, ttmp6, 0x40008
	s_lshl_b64 s[0:1], s[0:1], 2
	s_add_co_i32 s6, s6, s5
	s_cmp_eq_u32 s18, 0
	s_add_nc_u64 s[0:1], s[2:3], s[0:1]
	s_cselect_b32 s2, s4, s6
	v_lshrrev_b32_e32 v0, 1, v0
	s_mov_b32 s3, 0
	s_mulk_i32 s2, 0x1e0
	s_delay_alu instid0(SALU_CYCLE_1)
	s_add_nc_u64 s[2:3], s[0:1], s[2:3]
	s_and_saveexec_b32 s0, vcc_lo
	s_cbranch_execz .LBB14_98
; %bb.97:
	s_clause 0x6
	global_store_b32 v0, v8, s[2:3] scale_offset
	global_store_b32 v0, v9, s[2:3] offset:64 scale_offset
	global_store_b32 v0, v6, s[2:3] offset:128 scale_offset
	;; [unrolled: 1-line block ×6, first 2 shown]
.LBB14_98:
	s_wait_xcnt 0x0
	s_or_b32 exec_lo, exec_lo, s0
	v_or_b32_e32 v1, 0x70, v0
	s_delay_alu instid0(VALU_DEP_1) | instskip(SKIP_1) | instid1(SALU_CYCLE_1)
	v_cmp_gt_u32_e64 s0, 0x78, v1
	s_and_b32 s0, vcc_lo, s0
	s_and_b32 exec_lo, exec_lo, s0
	s_cbranch_execz .LBB14_100
; %bb.99:
	global_store_b32 v0, v3, s[2:3] offset:448 scale_offset
.LBB14_100:
	s_sendmsg sendmsg(MSG_DEALLOC_VGPRS)
	s_endpgm
.LBB14_101:
	v_lshl_add_u32 v10, v52, 2, v1
	ds_load_b32 v10, v10
	s_wait_dscnt 0x0
	v_add_f32_e32 v8, v8, v10
	s_or_b32 exec_lo, exec_lo, s0
	s_and_saveexec_b32 s0, vcc_lo
	s_cbranch_execz .LBB14_69
.LBB14_102:
	v_lshl_add_u32 v10, v52, 2, v1
	ds_load_b32 v10, v10 offset:64
	s_wait_dscnt 0x0
	v_add_f32_e32 v9, v9, v10
	s_or_b32 exec_lo, exec_lo, s0
	s_and_saveexec_b32 s0, vcc_lo
	s_cbranch_execz .LBB14_70
.LBB14_103:
	v_lshl_add_u32 v10, v52, 2, v1
	ds_load_b32 v10, v10 offset:128
	s_wait_dscnt 0x0
	v_add_f32_e32 v6, v6, v10
	s_or_b32 exec_lo, exec_lo, s0
	s_and_saveexec_b32 s0, vcc_lo
	s_cbranch_execz .LBB14_71
.LBB14_104:
	v_lshl_add_u32 v10, v52, 2, v1
	ds_load_b32 v10, v10 offset:192
	s_wait_dscnt 0x0
	v_add_f32_e32 v7, v7, v10
	s_or_b32 exec_lo, exec_lo, s0
	s_and_saveexec_b32 s0, vcc_lo
	s_cbranch_execz .LBB14_72
.LBB14_105:
	v_lshl_add_u32 v10, v52, 2, v1
	ds_load_b32 v10, v10 offset:256
	s_wait_dscnt 0x0
	v_add_f32_e32 v4, v4, v10
	s_or_b32 exec_lo, exec_lo, s0
	s_and_saveexec_b32 s0, vcc_lo
	s_cbranch_execz .LBB14_73
.LBB14_106:
	v_lshl_add_u32 v10, v52, 2, v1
	ds_load_b32 v10, v10 offset:320
	s_wait_dscnt 0x0
	v_add_f32_e32 v5, v5, v10
	s_or_b32 exec_lo, exec_lo, s0
	s_and_saveexec_b32 s0, vcc_lo
	s_cbranch_execnz .LBB14_74
	s_branch .LBB14_75
.LBB14_107:
	ds_load_b32 v10, v1
	s_wait_dscnt 0x0
	v_add_f32_e32 v8, v8, v10
	s_or_b32 exec_lo, exec_lo, s1
	s_and_saveexec_b32 s1, vcc_lo
	s_cbranch_execz .LBB14_86
.LBB14_108:
	ds_load_b32 v10, v1 offset:64
	s_wait_dscnt 0x0
	v_add_f32_e32 v9, v9, v10
	s_or_b32 exec_lo, exec_lo, s1
	s_and_saveexec_b32 s1, vcc_lo
	s_cbranch_execz .LBB14_87
.LBB14_109:
	ds_load_b32 v10, v1 offset:128
	s_wait_dscnt 0x0
	v_add_f32_e32 v6, v6, v10
	s_or_b32 exec_lo, exec_lo, s1
	s_and_saveexec_b32 s1, vcc_lo
	s_cbranch_execz .LBB14_88
.LBB14_110:
	ds_load_b32 v10, v1 offset:192
	s_wait_dscnt 0x0
	v_add_f32_e32 v7, v7, v10
	s_or_b32 exec_lo, exec_lo, s1
	s_and_saveexec_b32 s1, vcc_lo
	s_cbranch_execz .LBB14_89
.LBB14_111:
	ds_load_b32 v10, v1 offset:256
	s_wait_dscnt 0x0
	v_add_f32_e32 v4, v4, v10
	s_or_b32 exec_lo, exec_lo, s1
	s_and_saveexec_b32 s1, vcc_lo
	s_cbranch_execz .LBB14_90
.LBB14_112:
	ds_load_b32 v10, v1 offset:320
	s_wait_dscnt 0x0
	v_add_f32_e32 v5, v5, v10
	s_or_b32 exec_lo, exec_lo, s1
	s_and_saveexec_b32 s1, vcc_lo
	s_cbranch_execnz .LBB14_91
	s_branch .LBB14_92
	.section	.rodata,"a",@progbits
	.p2align	6, 0x0
	.amdhsa_kernel _ZN4vllm25paged_attention_v1_kernelIffLi120ELi8ELi128ELNS_18Fp8KVCacheDataTypeE0ELb0EEEvPT_PKS2_PKT0_S8_ifPKiSA_iPKfiiiSC_SC_iiiii
		.amdhsa_group_segment_fixed_size 512
		.amdhsa_private_segment_fixed_size 0
		.amdhsa_kernarg_size 384
		.amdhsa_user_sgpr_count 2
		.amdhsa_user_sgpr_dispatch_ptr 0
		.amdhsa_user_sgpr_queue_ptr 0
		.amdhsa_user_sgpr_kernarg_segment_ptr 1
		.amdhsa_user_sgpr_dispatch_id 0
		.amdhsa_user_sgpr_kernarg_preload_length 0
		.amdhsa_user_sgpr_kernarg_preload_offset 0
		.amdhsa_user_sgpr_private_segment_size 0
		.amdhsa_wavefront_size32 1
		.amdhsa_uses_dynamic_stack 0
		.amdhsa_enable_private_segment 0
		.amdhsa_system_sgpr_workgroup_id_x 1
		.amdhsa_system_sgpr_workgroup_id_y 1
		.amdhsa_system_sgpr_workgroup_id_z 1
		.amdhsa_system_sgpr_workgroup_info 0
		.amdhsa_system_vgpr_workitem_id 0
		.amdhsa_next_free_vgpr 77
		.amdhsa_next_free_sgpr 30
		.amdhsa_named_barrier_count 0
		.amdhsa_reserve_vcc 1
		.amdhsa_float_round_mode_32 0
		.amdhsa_float_round_mode_16_64 0
		.amdhsa_float_denorm_mode_32 3
		.amdhsa_float_denorm_mode_16_64 3
		.amdhsa_fp16_overflow 0
		.amdhsa_memory_ordered 1
		.amdhsa_forward_progress 1
		.amdhsa_inst_pref_size 52
		.amdhsa_round_robin_scheduling 0
		.amdhsa_exception_fp_ieee_invalid_op 0
		.amdhsa_exception_fp_denorm_src 0
		.amdhsa_exception_fp_ieee_div_zero 0
		.amdhsa_exception_fp_ieee_overflow 0
		.amdhsa_exception_fp_ieee_underflow 0
		.amdhsa_exception_fp_ieee_inexact 0
		.amdhsa_exception_int_div_zero 0
	.end_amdhsa_kernel
	.section	.text._ZN4vllm25paged_attention_v1_kernelIffLi120ELi8ELi128ELNS_18Fp8KVCacheDataTypeE0ELb0EEEvPT_PKS2_PKT0_S8_ifPKiSA_iPKfiiiSC_SC_iiiii,"axG",@progbits,_ZN4vllm25paged_attention_v1_kernelIffLi120ELi8ELi128ELNS_18Fp8KVCacheDataTypeE0ELb0EEEvPT_PKS2_PKT0_S8_ifPKiSA_iPKfiiiSC_SC_iiiii,comdat
.Lfunc_end14:
	.size	_ZN4vllm25paged_attention_v1_kernelIffLi120ELi8ELi128ELNS_18Fp8KVCacheDataTypeE0ELb0EEEvPT_PKS2_PKT0_S8_ifPKiSA_iPKfiiiSC_SC_iiiii, .Lfunc_end14-_ZN4vllm25paged_attention_v1_kernelIffLi120ELi8ELi128ELNS_18Fp8KVCacheDataTypeE0ELb0EEEvPT_PKS2_PKT0_S8_ifPKiSA_iPKfiiiSC_SC_iiiii
                                        ; -- End function
	.set _ZN4vllm25paged_attention_v1_kernelIffLi120ELi8ELi128ELNS_18Fp8KVCacheDataTypeE0ELb0EEEvPT_PKS2_PKT0_S8_ifPKiSA_iPKfiiiSC_SC_iiiii.num_vgpr, 77
	.set _ZN4vllm25paged_attention_v1_kernelIffLi120ELi8ELi128ELNS_18Fp8KVCacheDataTypeE0ELb0EEEvPT_PKS2_PKT0_S8_ifPKiSA_iPKfiiiSC_SC_iiiii.num_agpr, 0
	.set _ZN4vllm25paged_attention_v1_kernelIffLi120ELi8ELi128ELNS_18Fp8KVCacheDataTypeE0ELb0EEEvPT_PKS2_PKT0_S8_ifPKiSA_iPKfiiiSC_SC_iiiii.numbered_sgpr, 30
	.set _ZN4vllm25paged_attention_v1_kernelIffLi120ELi8ELi128ELNS_18Fp8KVCacheDataTypeE0ELb0EEEvPT_PKS2_PKT0_S8_ifPKiSA_iPKfiiiSC_SC_iiiii.num_named_barrier, 0
	.set _ZN4vllm25paged_attention_v1_kernelIffLi120ELi8ELi128ELNS_18Fp8KVCacheDataTypeE0ELb0EEEvPT_PKS2_PKT0_S8_ifPKiSA_iPKfiiiSC_SC_iiiii.private_seg_size, 0
	.set _ZN4vllm25paged_attention_v1_kernelIffLi120ELi8ELi128ELNS_18Fp8KVCacheDataTypeE0ELb0EEEvPT_PKS2_PKT0_S8_ifPKiSA_iPKfiiiSC_SC_iiiii.uses_vcc, 1
	.set _ZN4vllm25paged_attention_v1_kernelIffLi120ELi8ELi128ELNS_18Fp8KVCacheDataTypeE0ELb0EEEvPT_PKS2_PKT0_S8_ifPKiSA_iPKfiiiSC_SC_iiiii.uses_flat_scratch, 0
	.set _ZN4vllm25paged_attention_v1_kernelIffLi120ELi8ELi128ELNS_18Fp8KVCacheDataTypeE0ELb0EEEvPT_PKS2_PKT0_S8_ifPKiSA_iPKfiiiSC_SC_iiiii.has_dyn_sized_stack, 0
	.set _ZN4vllm25paged_attention_v1_kernelIffLi120ELi8ELi128ELNS_18Fp8KVCacheDataTypeE0ELb0EEEvPT_PKS2_PKT0_S8_ifPKiSA_iPKfiiiSC_SC_iiiii.has_recursion, 0
	.set _ZN4vllm25paged_attention_v1_kernelIffLi120ELi8ELi128ELNS_18Fp8KVCacheDataTypeE0ELb0EEEvPT_PKS2_PKT0_S8_ifPKiSA_iPKfiiiSC_SC_iiiii.has_indirect_call, 0
	.section	.AMDGPU.csdata,"",@progbits
; Kernel info:
; codeLenInByte = 6640
; TotalNumSgprs: 32
; NumVgprs: 77
; ScratchSize: 0
; MemoryBound: 0
; FloatMode: 240
; IeeeMode: 1
; LDSByteSize: 512 bytes/workgroup (compile time only)
; SGPRBlocks: 0
; VGPRBlocks: 4
; NumSGPRsForWavesPerEU: 32
; NumVGPRsForWavesPerEU: 77
; NamedBarCnt: 0
; Occupancy: 12
; WaveLimiterHint : 1
; COMPUTE_PGM_RSRC2:SCRATCH_EN: 0
; COMPUTE_PGM_RSRC2:USER_SGPR: 2
; COMPUTE_PGM_RSRC2:TRAP_HANDLER: 0
; COMPUTE_PGM_RSRC2:TGID_X_EN: 1
; COMPUTE_PGM_RSRC2:TGID_Y_EN: 1
; COMPUTE_PGM_RSRC2:TGID_Z_EN: 1
; COMPUTE_PGM_RSRC2:TIDIG_COMP_CNT: 0
	.section	.text._ZN4vllm25paged_attention_v1_kernelIffLi128ELi8ELi128ELNS_18Fp8KVCacheDataTypeE0ELb0EEEvPT_PKS2_PKT0_S8_ifPKiSA_iPKfiiiSC_SC_iiiii,"axG",@progbits,_ZN4vllm25paged_attention_v1_kernelIffLi128ELi8ELi128ELNS_18Fp8KVCacheDataTypeE0ELb0EEEvPT_PKS2_PKT0_S8_ifPKiSA_iPKfiiiSC_SC_iiiii,comdat
	.protected	_ZN4vllm25paged_attention_v1_kernelIffLi128ELi8ELi128ELNS_18Fp8KVCacheDataTypeE0ELb0EEEvPT_PKS2_PKT0_S8_ifPKiSA_iPKfiiiSC_SC_iiiii ; -- Begin function _ZN4vllm25paged_attention_v1_kernelIffLi128ELi8ELi128ELNS_18Fp8KVCacheDataTypeE0ELb0EEEvPT_PKS2_PKT0_S8_ifPKiSA_iPKfiiiSC_SC_iiiii
	.globl	_ZN4vllm25paged_attention_v1_kernelIffLi128ELi8ELi128ELNS_18Fp8KVCacheDataTypeE0ELb0EEEvPT_PKS2_PKT0_S8_ifPKiSA_iPKfiiiSC_SC_iiiii
	.p2align	8
	.type	_ZN4vllm25paged_attention_v1_kernelIffLi128ELi8ELi128ELNS_18Fp8KVCacheDataTypeE0ELb0EEEvPT_PKS2_PKT0_S8_ifPKiSA_iPKfiiiSC_SC_iiiii,@function
_ZN4vllm25paged_attention_v1_kernelIffLi128ELi8ELi128ELNS_18Fp8KVCacheDataTypeE0ELb0EEEvPT_PKS2_PKT0_S8_ifPKiSA_iPKfiiiSC_SC_iiiii: ; @_ZN4vllm25paged_attention_v1_kernelIffLi128ELi8ELi128ELNS_18Fp8KVCacheDataTypeE0ELb0EEEvPT_PKS2_PKT0_S8_ifPKiSA_iPKfiiiSC_SC_iiiii
; %bb.0:
	s_load_b64 s[6:7], s[0:1], 0x20
	s_bfe_u32 s3, ttmp6, 0x4000c
	s_bfe_u32 s5, ttmp6, 0x40010
	s_and_b32 s4, ttmp7, 0xffff
	s_add_co_i32 s3, s3, 1
	s_add_co_i32 s5, s5, 1
	s_and_b32 s2, ttmp6, 15
	s_bfe_u32 s8, ttmp6, 0x40004
	s_mul_i32 s3, ttmp9, s3
	s_mul_i32 s5, s4, s5
	s_getreg_b32 s18, hwreg(HW_REG_IB_STS2, 6, 4)
	s_add_co_i32 s2, s2, s3
	s_add_co_i32 s3, s8, s5
	s_cmp_eq_u32 s18, 0
	s_clause 0x1
	s_load_b32 s19, s[0:1], 0x80
	s_load_b64 s[8:9], s[0:1], 0x30
	s_cselect_b32 s20, s4, s3
	s_cselect_b32 s2, ttmp9, s2
	s_wait_kmcnt 0x0
	s_abs_i32 s3, s6
	s_delay_alu instid0(SALU_CYCLE_1) | instskip(SKIP_1) | instid1(SALU_CYCLE_2)
	s_cvt_f32_u32 s4, s3
	s_sub_co_i32 s5, 0, s3
	v_rcp_iflag_f32_e32 v1, s4
	s_abs_i32 s10, s19
	v_nop
	s_delay_alu instid0(TRANS32_DEP_1) | instskip(SKIP_1) | instid1(SALU_CYCLE_3)
	v_readfirstlane_b32 s4, v1
	s_mul_f32 s4, s4, 0x4f7ffffe
	s_cvt_u32_f32 s4, s4
	s_delay_alu instid0(SALU_CYCLE_3) | instskip(NEXT) | instid1(SALU_CYCLE_1)
	s_mul_i32 s5, s5, s4
	s_mul_hi_u32 s5, s4, s5
	s_delay_alu instid0(SALU_CYCLE_1) | instskip(SKIP_4) | instid1(SALU_CYCLE_1)
	s_add_co_i32 s4, s4, s5
	s_xor_b32 s5, s19, s6
	s_mul_hi_u32 s4, s10, s4
	s_ashr_i32 s5, s5, 31
	s_mul_i32 s6, s4, s3
	s_sub_co_i32 s6, s10, s6
	s_add_co_i32 s10, s4, 1
	s_sub_co_i32 s11, s6, s3
	s_cmp_ge_u32 s6, s3
	s_cselect_b32 s4, s10, s4
	s_cselect_b32 s6, s11, s6
	s_add_co_i32 s10, s4, 1
	s_cmp_ge_u32 s6, s3
	s_mov_b32 s11, 0
	s_cselect_b32 s3, s10, s4
	s_abs_i32 s10, s2
	s_xor_b32 s3, s3, s5
	s_mov_b32 s13, s11
	s_sub_co_i32 s15, s3, s5
	s_load_b64 s[4:5], s[0:1], 0x40
	s_abs_i32 s14, s15
	s_mov_b32 s23, s11
	s_cvt_f32_u32 s3, s14
	s_sub_co_i32 s6, 0, s14
	s_delay_alu instid0(SALU_CYCLE_2) | instskip(SKIP_1) | instid1(TRANS32_DEP_1)
	v_rcp_iflag_f32_e32 v1, s3
	v_nop
	v_readfirstlane_b32 s3, v1
	s_mul_f32 s3, s3, 0x4f7ffffe
	s_delay_alu instid0(SALU_CYCLE_3) | instskip(NEXT) | instid1(SALU_CYCLE_3)
	s_cvt_u32_f32 s3, s3
	s_mul_i32 s6, s6, s3
	s_delay_alu instid0(SALU_CYCLE_1) | instskip(NEXT) | instid1(SALU_CYCLE_1)
	s_mul_hi_u32 s6, s3, s6
	s_add_co_i32 s12, s3, s6
	s_wait_kmcnt 0x0
	s_cmp_eq_u64 s[4:5], 0
	s_cbranch_scc1 .LBB15_2
; %bb.1:
	s_ashr_i32 s3, s2, 31
	s_delay_alu instid0(SALU_CYCLE_1) | instskip(NEXT) | instid1(SALU_CYCLE_1)
	s_lshl_b64 s[16:17], s[2:3], 2
	s_add_nc_u64 s[4:5], s[4:5], s[16:17]
	s_load_b32 s23, s[4:5], 0x0
.LBB15_2:
	s_load_b32 s21, s[8:9], s20 offset:0x0 scale_offset
	s_wait_xcnt 0x0
	s_load_b96 s[4:6], s[0:1], 0x48
	v_and_b32_e32 v38, 3, v0
	s_ashr_i32 s3, s2, 31
	s_ashr_i32 s15, s15, 31
	s_mul_u64 s[12:13], s[10:11], s[12:13]
	s_lshl_b32 s8, s2, 7
	s_mov_b32 s2, exec_lo
	v_cmpx_gt_u32_e32 0x80, v0
	s_cbranch_execz .LBB15_4
; %bb.3:
	s_load_b64 s[16:17], s[0:1], 0x8
	s_wait_kmcnt 0x0
	s_mul_i32 s24, s4, s20
	s_ashr_i32 s9, s8, 31
	s_ashr_i32 s25, s24, 31
	v_and_b32_e32 v2, 0x3fc, v0
	s_lshl_b64 s[24:25], s[24:25], 2
	s_delay_alu instid0(VALU_DEP_1) | instskip(SKIP_2) | instid1(SALU_CYCLE_1)
	v_lshl_add_u32 v2, v38, 7, v2
	s_add_nc_u64 s[16:17], s[16:17], s[24:25]
	s_lshl_b64 s[24:25], s[8:9], 2
	s_add_nc_u64 s[16:17], s[16:17], s[24:25]
	global_load_b32 v1, v0, s[16:17] scale_offset
	s_wait_loadcnt 0x0
	ds_store_b32 v2, v1
.LBB15_4:
	s_or_b32 exec_lo, exec_lo, s2
	s_wait_kmcnt 0x0
	s_add_co_i32 s2, s21, 7
	s_load_b32 s4, s[0:1], 0x38
	s_ashr_i32 s9, s2, 31
	s_mul_i32 s11, s13, s14
	s_lshr_b32 s9, s9, 29
	s_xor_b32 s3, s3, s15
	s_add_co_i32 s2, s2, s9
	s_sub_co_i32 s9, s10, s11
	s_ashr_i32 s22, s2, 3
	s_add_co_i32 s2, s13, 1
	s_sub_co_i32 s10, s9, s14
	s_cmp_ge_u32 s9, s14
	v_lshrrev_b32_e32 v1, 5, v0
	s_cselect_b32 s2, s2, s13
	s_cselect_b32 s9, s10, s9
	s_add_co_i32 s10, s2, 1
	s_cmp_ge_u32 s9, s14
	v_mbcnt_lo_u32_b32 v40, -1, 0
	s_cselect_b32 s2, s10, s2
	s_wait_dscnt 0x0
	s_xor_b32 s2, s2, s3
	s_wait_kmcnt 0x0
	s_mul_i32 s10, s4, s20
	s_sub_co_i32 s3, s2, s3
	v_cmp_gt_i32_e64 s2, s22, v1
	s_ashr_i32 s11, s10, 31
	s_mov_b32 s4, exec_lo
	s_barrier_signal -1
	s_barrier_wait -1
                                        ; implicit-def: $vgpr35
                                        ; implicit-def: $vgpr41
	v_cmpx_le_i32_e64 s22, v1
	s_xor_b32 s4, exec_lo, s4
; %bb.5:
	v_dual_mov_b32 v35, 0 :: v_dual_mov_b32 v41, 32
	v_mbcnt_lo_u32_b32 v40, -1, 0
                                        ; implicit-def: $vgpr38
; %bb.6:
	s_or_saveexec_b32 s24, s4
	s_clause 0x1
	s_load_b64 s[12:13], s[0:1], 0x28
	s_load_b32 s9, s[0:1], 0x88
	v_mov_b32_e32 v34, 0xff7fffff
	v_lshrrev_b32_e32 v48, 3, v0
	s_mul_i32 s14, s3, s6
	s_xor_b32 exec_lo, exec_lo, s24
	s_cbranch_execz .LBB15_12
; %bb.7:
	s_load_b64 s[26:27], s[0:1], 0x10
	v_dual_mov_b32 v41, 32 :: v_dual_bitop2_b32 v26, 2, v40 bitop3:0x14
	v_bfe_u32 v39, v0, 2, 3
	v_dual_mov_b32 v35, 0 :: v_dual_bitop2_b32 v27, 1, v40 bitop3:0x14
	v_lshlrev_b32_e32 v30, 7, v38
	s_delay_alu instid0(VALU_DEP_4)
	v_cmp_gt_i32_e32 vcc_lo, 32, v26
	s_ashr_i32 s15, s14, 31
	v_lshlrev_b32_e32 v34, 4, v39
	ds_load_b128 v[2:5], v30
	ds_load_b128 v[6:9], v30 offset:16
	ds_load_b128 v[10:13], v30 offset:32
	;; [unrolled: 1-line block ×5, first 2 shown]
	v_cndmask_b32_e32 v42, v40, v26, vcc_lo
	v_cmp_gt_i32_e32 vcc_lo, 32, v27
	s_lshl_b64 s[28:29], s[14:15], 2
	s_ashr_i32 s17, s5, 31
	s_cmp_neq_f32 s23, 0
	s_mov_b32 s16, s5
	v_cndmask_b32_e32 v43, v40, v27, vcc_lo
	ds_load_b128 v[26:29], v30 offset:96
	ds_load_b128 v[30:33], v30 offset:112
	s_wait_kmcnt 0x0
	s_add_nc_u64 s[26:27], s[26:27], s[28:29]
	v_cmp_eq_u32_e32 vcc_lo, 0, v38
	v_add_nc_u64_e32 v[36:37], s[26:27], v[34:35]
	v_dual_lshlrev_b32 v34, 2, v38 :: v_dual_lshlrev_b32 v44, 2, v39
	s_cselect_b32 s3, -1, 0
	s_lshl_b64 s[26:27], s[10:11], 2
	v_dual_lshlrev_b32 v42, 2, v42 :: v_dual_lshlrev_b32 v43, 2, v43
	s_delay_alu instid0(VALU_DEP_2) | instskip(SKIP_4) | instid1(VALU_DEP_3)
	v_add_nc_u64_e32 v[36:37], v[36:37], v[34:35]
	v_lshl_or_b32 v38, v1, 5, v44
	v_and_b32_e32 v34, 0x7c, v48
	s_add_nc_u64 s[26:27], s[12:13], s[26:27]
	v_lshl_or_b32 v44, v1, 3, v39
	v_dual_mov_b32 v46, v1 :: v_dual_add_nc_u32 v45, 0x220, v38
	s_delay_alu instid0(VALU_DEP_3)
	v_add_nc_u64_e32 v[38:39], s[26:27], v[34:35]
	v_mov_b32_e32 v34, 0xff7fffff
	s_mov_b32 s6, 0
	s_sub_co_i32 s15, 1, s21
	s_branch .LBB15_9
.LBB15_8:                               ;   in Loop: Header=BB15_9 Depth=1
	s_or_b32 exec_lo, exec_lo, s25
	v_dual_add_nc_u32 v46, 4, v46 :: v_dual_add_nc_u32 v44, 32, v44
	v_add_nc_u64_e32 v[38:39], 16, v[38:39]
	v_add_nc_u32_e32 v45, 0x80, v45
	s_delay_alu instid0(VALU_DEP_3) | instskip(SKIP_1) | instid1(SALU_CYCLE_1)
	v_cmp_le_i32_e64 s4, s22, v46
	s_or_b32 s6, s4, s6
	s_and_not1_b32 exec_lo, exec_lo, s6
	s_cbranch_execz .LBB15_11
.LBB15_9:                               ; =>This Inner Loop Header: Depth=1
	global_load_b32 v50, v[38:39], off
	s_wait_loadcnt 0x0
	v_ashrrev_i32_e32 v51, 31, v50
	s_delay_alu instid0(VALU_DEP_1) | instskip(NEXT) | instid1(VALU_DEP_1)
	v_mul_u64_e32 v[50:51], s[16:17], v[50:51]
	v_lshl_add_u64 v[50:51], v[50:51], 2, v[36:37]
	global_load_b32 v47, v[50:51], off offset:128
	s_wait_dscnt 0x0
	s_clause 0x1e
	global_load_b32 v49, v[50:51], off offset:256
	global_load_b32 v52, v[50:51], off offset:384
	;; [unrolled: 1-line block ×6, first 2 shown]
	global_load_b32 v57, v[50:51], off
	global_load_b32 v58, v[50:51], off offset:1024
	global_load_b32 v59, v[50:51], off offset:1152
	;; [unrolled: 1-line block ×24, first 2 shown]
	s_wait_loadcnt_dscnt 0x1f07
	v_mul_f32_e32 v47, v3, v47
	s_wait_loadcnt 0x18
	s_delay_alu instid0(VALU_DEP_1) | instskip(NEXT) | instid1(VALU_DEP_1)
	v_fmac_f32_e32 v47, v2, v57
	v_fmac_f32_e32 v47, v4, v49
	s_delay_alu instid0(VALU_DEP_1) | instskip(SKIP_1) | instid1(VALU_DEP_1)
	v_fmac_f32_e32 v47, v5, v52
	s_wait_dscnt 0x6
	v_fmac_f32_e32 v47, v6, v53
	s_delay_alu instid0(VALU_DEP_1) | instskip(NEXT) | instid1(VALU_DEP_1)
	v_fmac_f32_e32 v47, v7, v54
	v_fmac_f32_e32 v47, v8, v55
	s_delay_alu instid0(VALU_DEP_1) | instskip(SKIP_1) | instid1(VALU_DEP_1)
	v_fmac_f32_e32 v47, v9, v56
	s_wait_loadcnt_dscnt 0x1705
	v_fmac_f32_e32 v47, v10, v58
	s_wait_loadcnt 0x16
	s_delay_alu instid0(VALU_DEP_1) | instskip(SKIP_1) | instid1(VALU_DEP_1)
	v_fmac_f32_e32 v47, v11, v59
	s_wait_loadcnt 0x15
	v_fmac_f32_e32 v47, v12, v60
	s_wait_loadcnt 0x14
	s_delay_alu instid0(VALU_DEP_1) | instskip(SKIP_1) | instid1(VALU_DEP_1)
	v_fmac_f32_e32 v47, v13, v61
	s_wait_loadcnt_dscnt 0x1304
	v_fmac_f32_e32 v47, v14, v62
	s_wait_loadcnt 0x12
	s_delay_alu instid0(VALU_DEP_1) | instskip(SKIP_1) | instid1(VALU_DEP_1)
	v_fmac_f32_e32 v47, v15, v63
	s_wait_loadcnt 0x11
	v_fmac_f32_e32 v47, v16, v64
	s_wait_loadcnt 0x10
	;; [unrolled: 10-line block ×6, first 2 shown]
	s_delay_alu instid0(VALU_DEP_1)
	v_fmac_f32_e32 v47, v33, v50
	ds_bpermute_b32 v49, v42, v47
	s_wait_dscnt 0x0
	v_add_f32_e32 v47, v47, v49
	ds_bpermute_b32 v49, v43, v47
	s_wait_xcnt 0x0
	s_and_saveexec_b32 s25, vcc_lo
	s_cbranch_execz .LBB15_8
; %bb.10:                               ;   in Loop: Header=BB15_9 Depth=1
	s_wait_dscnt 0x0
	v_dual_add_f32 v47, v47, v49 :: v_dual_add_nc_u32 v50, s15, v44
	v_cmp_gt_i32_e64 s4, s21, v44
	s_delay_alu instid0(VALU_DEP_2) | instskip(NEXT) | instid1(VALU_DEP_1)
	v_cvt_f32_i32_e32 v50, v50
	v_mul_f32_e32 v50, s23, v50
	s_delay_alu instid0(VALU_DEP_1) | instskip(NEXT) | instid1(VALU_DEP_1)
	v_cndmask_b32_e64 v49, 0, v50, s3
	v_dual_fmac_f32 v49, s7, v47 :: v_dual_max_num_f32 v50, v34, v34
	s_delay_alu instid0(VALU_DEP_1) | instskip(NEXT) | instid1(VALU_DEP_1)
	v_dual_max_num_f32 v47, v50, v49 :: v_dual_cndmask_b32 v49, 0, v49, s4
	v_cndmask_b32_e64 v34, v34, v47, s4
	ds_store_b32 v45, v49
	s_branch .LBB15_8
.LBB15_11:
	s_or_b32 exec_lo, exec_lo, s6
.LBB15_12:
	s_delay_alu instid0(SALU_CYCLE_1)
	s_or_b32 exec_lo, exec_lo, s24
	v_dual_max_num_f32 v5, v34, v34 :: v_dual_bitop2_b32 v2, 16, v40 bitop3:0x14
	s_clause 0x1
	s_load_b64 s[6:7], s[0:1], 0x0
	s_load_b64 s[16:17], s[0:1], 0x18
	v_and_b32_e32 v50, 31, v0
	v_xor_b32_e32 v4, 8, v40
	v_cmp_lt_i32_e32 vcc_lo, v2, v41
	v_cndmask_b32_e32 v2, v40, v2, vcc_lo
	s_delay_alu instid0(VALU_DEP_3) | instskip(NEXT) | instid1(VALU_DEP_2)
	v_cmp_lt_i32_e32 vcc_lo, v4, v41
	v_dual_lshlrev_b32 v2, 2, v2 :: v_dual_cndmask_b32 v4, v40, v4, vcc_lo
	ds_bpermute_b32 v3, v2, v34
	s_wait_dscnt 0x0
	v_dual_max_num_f32 v6, v3, v3 :: v_dual_lshlrev_b32 v3, 2, v4
	s_delay_alu instid0(VALU_DEP_1) | instskip(SKIP_4) | instid1(VALU_DEP_1)
	v_dual_max_num_f32 v4, v5, v6 :: v_dual_bitop2_b32 v6, 4, v40 bitop3:0x14
	ds_bpermute_b32 v5, v3, v4
	v_cmp_lt_i32_e32 vcc_lo, v6, v41
	v_cndmask_b32_e32 v6, v40, v6, vcc_lo
	s_wait_dscnt 0x0
	v_dual_max_num_f32 v5, v5, v5 :: v_dual_lshlrev_b32 v6, 2, v6
	s_delay_alu instid0(VALU_DEP_1)
	v_max_num_f32_e32 v5, v4, v5
	v_lshlrev_b32_e32 v4, 2, v1
	v_cmp_eq_u32_e32 vcc_lo, 0, v50
	ds_bpermute_b32 v7, v6, v5
	s_wait_xcnt 0x0
	s_and_saveexec_b32 s0, vcc_lo
	s_cbranch_execz .LBB15_14
; %bb.13:
	s_wait_dscnt 0x0
	v_dual_max_num_f32 v7, v7, v7 :: v_dual_max_num_f32 v5, v5, v5
	s_delay_alu instid0(VALU_DEP_1)
	v_max_num_f32_e32 v5, v5, v7
	ds_store_b32 v4, v5 offset:512
.LBB15_14:
	s_or_b32 exec_lo, exec_lo, s0
	v_cmp_gt_u32_e64 s0, 4, v50
	v_dual_mov_b32 v8, 0xff7fffff :: v_dual_lshlrev_b32 v5, 2, v50
	s_wait_dscnt 0x0
	s_barrier_signal -1
	s_barrier_wait -1
	s_and_saveexec_b32 s1, s0
; %bb.15:
	ds_load_b32 v8, v5 offset:512
; %bb.16:
	s_or_b32 exec_lo, exec_lo, s1
	v_xor_b32_e32 v10, 1, v40
	v_xor_b32_e32 v7, 2, v40
	s_delay_alu instid0(VALU_DEP_1) | instskip(NEXT) | instid1(VALU_DEP_1)
	v_cmp_lt_i32_e64 s1, v7, v41
	v_cndmask_b32_e64 v7, v40, v7, s1
	s_delay_alu instid0(VALU_DEP_1) | instskip(SKIP_4) | instid1(VALU_DEP_1)
	v_lshlrev_b32_e32 v7, 2, v7
	s_wait_dscnt 0x0
	ds_bpermute_b32 v9, v7, v8
	s_wait_dscnt 0x0
	v_dual_max_num_f32 v8, v8, v8 :: v_dual_max_num_f32 v9, v9, v9
	v_max_num_f32_e32 v8, v8, v9
	v_cmp_lt_i32_e64 s1, v10, v41
	s_delay_alu instid0(VALU_DEP_1) | instskip(SKIP_1) | instid1(SALU_CYCLE_1)
	v_cndmask_b32_e64 v10, v40, v10, s1
	s_lshl_b32 s1, s22, 3
	s_min_i32 s4, s1, s21
	s_delay_alu instid0(VALU_DEP_1) | instskip(SKIP_4) | instid1(VALU_DEP_1)
	v_lshlrev_b32_e32 v51, 2, v10
	v_cmp_gt_i32_e64 s1, s4, v0
	ds_bpermute_b32 v9, v51, v8
	s_wait_dscnt 0x0
	v_max_num_f32_e32 v9, v9, v9
	v_dual_max_num_f32 v8, v8, v9 :: v_dual_lshlrev_b32 v9, 2, v35
	ds_bpermute_b32 v9, v9, v8
	v_mov_b32_e32 v8, 0
	s_and_saveexec_b32 s15, s1
	s_cbranch_execz .LBB15_20
; %bb.17:
	v_lshl_add_u32 v10, v0, 2, 0x220
	v_dual_mov_b32 v8, 0 :: v_dual_mov_b32 v11, v0
	s_mov_b32 s23, 0
.LBB15_18:                              ; =>This Inner Loop Header: Depth=1
	ds_load_b32 v12, v10
	v_add_nc_u32_e32 v11, 0x80, v11
	s_delay_alu instid0(VALU_DEP_1) | instskip(SKIP_3) | instid1(VALU_DEP_1)
	v_cmp_le_i32_e64 s3, s4, v11
	s_or_b32 s23, s3, s23
	s_wait_dscnt 0x0
	v_sub_f32_e32 v12, v12, v9
	v_mul_f32_e32 v12, 0x3fb8aa3b, v12
	s_delay_alu instid0(VALU_DEP_1)
	v_exp_f32_e32 v12, v12
	ds_store_b32 v10, v12
	v_nop
	v_add_f32_e32 v8, v8, v12
	v_add_nc_u32_e32 v10, 0x200, v10
	s_and_not1_b32 exec_lo, exec_lo, s23
	s_cbranch_execnz .LBB15_18
; %bb.19:
	s_or_b32 exec_lo, exec_lo, s23
.LBB15_20:
	s_delay_alu instid0(SALU_CYCLE_1)
	s_or_b32 exec_lo, exec_lo, s15
	ds_bpermute_b32 v2, v2, v8
	s_wait_dscnt 0x0
	v_add_f32_e32 v2, v8, v2
	ds_bpermute_b32 v3, v3, v2
	s_wait_dscnt 0x0
	v_add_f32_e32 v2, v2, v3
	;; [unrolled: 3-line block ×5, first 2 shown]
	s_and_saveexec_b32 s3, vcc_lo
; %bb.21:
	ds_store_b32 v4, v2 offset:528
; %bb.22:
	s_or_b32 exec_lo, exec_lo, s3
	s_wait_dscnt 0x0
	s_barrier_signal -1
	s_barrier_wait -1
	s_and_saveexec_b32 s3, s0
; %bb.23:
	ds_load_b32 v2, v5 offset:528
; %bb.24:
	s_or_b32 exec_lo, exec_lo, s3
	s_wait_dscnt 0x0
	ds_bpermute_b32 v3, v7, v2
	s_wait_dscnt 0x0
	v_dual_lshlrev_b32 v4, 2, v40 :: v_dual_add_f32 v2, v2, v3
	ds_bpermute_b32 v3, v51, v2
	s_wait_dscnt 0x0
	v_add_f32_e32 v2, v2, v3
	v_and_b32_e32 v3, 0xffffff80, v4
	ds_bpermute_b32 v2, v3, v2
	s_and_saveexec_b32 s0, s1
	s_cbranch_execz .LBB15_37
; %bb.25:
	s_wait_dscnt 0x0
	v_add_f32_e32 v2, 0x358637bd, v2
	s_mov_b32 s3, -1
	s_mov_b32 s1, exec_lo
	s_delay_alu instid0(VALU_DEP_1) | instskip(NEXT) | instid1(VALU_DEP_1)
	v_div_scale_f32 v3, null, v2, v2, 1.0
	v_rcp_f32_e32 v5, v3
	v_nop
	s_delay_alu instid0(TRANS32_DEP_1) | instskip(NEXT) | instid1(VALU_DEP_1)
	v_fma_f32 v4, -v3, v5, 1.0
	v_fmac_f32_e32 v5, v4, v5
	v_div_scale_f32 v6, vcc_lo, 1.0, v2, 1.0
	s_delay_alu instid0(VALU_DEP_1) | instskip(NEXT) | instid1(VALU_DEP_1)
	v_mul_f32_e32 v7, v6, v5
	v_fma_f32 v4, -v3, v7, v6
	s_delay_alu instid0(VALU_DEP_1) | instskip(SKIP_1) | instid1(VALU_DEP_2)
	v_fmac_f32_e32 v7, v4, v5
	v_xad_u32 v4, v0, -1, s4
	v_fma_f32 v3, -v3, v7, v6
	s_delay_alu instid0(VALU_DEP_1) | instskip(NEXT) | instid1(VALU_DEP_1)
	v_div_fmas_f32 v3, v3, v5, v7
	v_div_fixup_f32 v2, v3, v2, 1.0
	v_mov_b32_e32 v3, v0
	v_cmpx_lt_u32_e32 0x7f, v4
	s_cbranch_execz .LBB15_34
; %bb.26:
	s_delay_alu instid0(VALU_DEP_3) | instskip(NEXT) | instid1(VALU_DEP_1)
	v_dual_mov_b32 v3, v2 :: v_dual_lshrrev_b32 v4, 7, v4
	v_dual_mov_b32 v8, 0 :: v_dual_add_nc_u32 v5, -1, v4
	s_delay_alu instid0(VALU_DEP_1) | instskip(SKIP_1) | instid1(VALU_DEP_2)
	v_lshrrev_b32_e32 v6, 1, v5
	v_cmp_lt_u32_e32 vcc_lo, 13, v5
	v_add_nc_u32_e32 v5, 1, v6
	s_and_saveexec_b32 s3, vcc_lo
	s_cbranch_execz .LBB15_30
; %bb.27:
	s_delay_alu instid0(VALU_DEP_1)
	v_and_b32_e32 v6, -8, v5
	v_lshl_add_u32 v7, v0, 2, 0x220
	s_mov_b32 s15, 0
	s_mov_b32 s23, 0
.LBB15_28:                              ; =>This Inner Loop Header: Depth=1
	ds_load_2addr_stride64_b32 v[8:9], v7 offset1:2
	ds_load_2addr_stride64_b32 v[10:11], v7 offset0:4 offset1:6
	ds_load_2addr_stride64_b32 v[12:13], v7 offset0:8 offset1:10
	;; [unrolled: 1-line block ×7, first 2 shown]
	s_add_co_i32 s23, s23, 16
	v_add_nc_u32_e32 v6, -8, v6
	s_wait_dscnt 0x7
	v_pk_mul_f32 v[8:9], v[2:3], v[8:9]
	s_wait_dscnt 0x6
	v_pk_mul_f32 v[10:11], v[2:3], v[10:11]
	;; [unrolled: 2-line block ×8, first 2 shown]
	ds_store_2addr_stride64_b32 v7, v8, v9 offset1:2
	ds_store_2addr_stride64_b32 v7, v10, v11 offset0:4 offset1:6
	ds_store_2addr_stride64_b32 v7, v12, v13 offset0:8 offset1:10
	;; [unrolled: 1-line block ×7, first 2 shown]
	v_mov_b32_e32 v8, s23
	v_cmp_eq_u32_e32 vcc_lo, 0, v6
	v_add_nc_u32_e32 v7, 0x2000, v7
	s_or_b32 s15, vcc_lo, s15
	s_delay_alu instid0(SALU_CYCLE_1)
	s_and_not1_b32 exec_lo, exec_lo, s15
	s_cbranch_execnz .LBB15_28
; %bb.29:
	s_or_b32 exec_lo, exec_lo, s15
.LBB15_30:
	s_delay_alu instid0(SALU_CYCLE_1) | instskip(NEXT) | instid1(VALU_DEP_1)
	s_or_b32 exec_lo, exec_lo, s3
	v_and_b32_e32 v5, 7, v5
	s_mov_b32 s15, 0
	s_mov_b32 s3, exec_lo
	s_delay_alu instid0(VALU_DEP_1)
	v_cmpx_ne_u32_e32 0, v5
	s_cbranch_execz .LBB15_33
; %bb.31:
	v_lshlrev_b32_e32 v6, 9, v8
	v_lshlrev_b32_e32 v7, 2, v0
	s_delay_alu instid0(VALU_DEP_1)
	v_add3_u32 v6, v6, v7, 0x220
.LBB15_32:                              ; =>This Inner Loop Header: Depth=1
	ds_load_2addr_stride64_b32 v[8:9], v6 offset1:2
	v_add_nc_u32_e32 v5, -1, v5
	s_delay_alu instid0(VALU_DEP_1)
	v_cmp_eq_u32_e32 vcc_lo, 0, v5
	s_or_b32 s15, vcc_lo, s15
	s_wait_dscnt 0x0
	v_pk_mul_f32 v[8:9], v[2:3], v[8:9]
	ds_store_2addr_stride64_b32 v6, v8, v9 offset1:2
	v_add_nc_u32_e32 v6, 0x400, v6
	s_and_not1_b32 exec_lo, exec_lo, s15
	s_cbranch_execnz .LBB15_32
.LBB15_33:
	s_or_b32 exec_lo, exec_lo, s3
	v_add_nc_u32_e32 v3, 1, v4
	s_delay_alu instid0(VALU_DEP_1) | instskip(NEXT) | instid1(VALU_DEP_1)
	v_and_b32_e32 v4, 0x3fffffe, v3
	v_cmp_ne_u32_e32 vcc_lo, v3, v4
	v_lshl_add_u32 v3, v4, 7, v0
	s_or_not1_b32 s3, vcc_lo, exec_lo
.LBB15_34:
	s_or_b32 exec_lo, exec_lo, s1
	s_delay_alu instid0(SALU_CYCLE_1)
	s_and_b32 exec_lo, exec_lo, s3
	s_cbranch_execz .LBB15_37
; %bb.35:
	v_lshl_add_u32 v4, v3, 2, 0x220
	s_mov_b32 s1, 0
.LBB15_36:                              ; =>This Inner Loop Header: Depth=1
	ds_load_b32 v5, v4
	v_add_nc_u32_e32 v3, 0x80, v3
	s_delay_alu instid0(VALU_DEP_1)
	v_cmp_le_i32_e32 vcc_lo, s4, v3
	s_or_b32 s1, vcc_lo, s1
	s_wait_dscnt 0x0
	v_mul_f32_e32 v5, v2, v5
	ds_store_b32 v4, v5
	v_add_nc_u32_e32 v4, 0x200, v4
	s_and_not1_b32 exec_lo, exec_lo, s1
	s_cbranch_execnz .LBB15_36
.LBB15_37:
	s_or_b32 exec_lo, exec_lo, s0
	v_dual_mov_b32 v39, 0 :: v_dual_bitop2_b32 v52, 1, v0 bitop3:0x40
	s_wait_dscnt 0x0
	s_barrier_signal -1
	s_barrier_wait -1
	s_delay_alu instid0(VALU_DEP_1)
	v_dual_mov_b32 v38, v39 :: v_dual_mov_b32 v41, v39
	v_dual_mov_b32 v40, v39 :: v_dual_mov_b32 v43, v39
	;; [unrolled: 1-line block ×3, first 2 shown]
	v_mov_b32_e32 v44, v39
	s_and_saveexec_b32 s1, s2
	s_cbranch_execz .LBB15_57
; %bb.38:
	v_dual_lshlrev_b32 v2, 2, v0 :: v_dual_lshlrev_b32 v3, 4, v0
	s_ashr_i32 s15, s14, 31
	s_ashr_i32 s3, s5, 31
	s_lshl_b64 s[14:15], s[14:15], 2
	s_delay_alu instid0(VALU_DEP_1)
	v_dual_mov_b32 v39, 0 :: v_dual_bitop2_b32 v2, 4, v2 bitop3:0x40
	v_and_b32_e32 v38, 0x1f0, v3
	s_wait_kmcnt 0x0
	s_add_nc_u64 s[14:15], s[16:17], s[14:15]
	v_lshlrev_b32_e32 v3, 4, v52
	s_mov_b32 s2, s5
	s_lshl_b64 s[4:5], s[10:11], 2
	v_add_nc_u64_e32 v[46:47], s[14:15], v[38:39]
	v_and_b32_e32 v38, 0x7c, v48
	s_add_nc_u64 s[4:5], s[12:13], s[4:5]
	v_lshl_or_b32 v53, v1, 3, v2
	v_dual_mov_b32 v40, v39 :: v_dual_mov_b32 v43, v39
	s_delay_alu instid0(VALU_DEP_3) | instskip(SKIP_4) | instid1(VALU_DEP_3)
	v_add_nc_u64_e32 v[48:49], s[4:5], v[38:39]
	v_mov_b32_e32 v38, v39
	v_lshl_or_b32 v3, v1, 5, v3
	v_dual_mov_b32 v41, v39 :: v_dual_mov_b32 v42, v39
	v_dual_mov_b32 v45, v39 :: v_dual_mov_b32 v44, v39
	v_dual_mov_b32 v55, v1 :: v_dual_add_nc_u32 v54, 0x220, v3
	s_add_co_i32 s4, s22, -1
	s_mov_b32 s10, s21
	s_mov_b32 s5, 0
	s_branch .LBB15_40
.LBB15_39:                              ;   in Loop: Header=BB15_40 Depth=1
	s_or_b32 exec_lo, exec_lo, s0
	s_wait_loadcnt_dscnt 0x200
	v_mul_f32_e32 v26, v6, v26
	s_wait_loadcnt 0x1
	v_mul_f32_e32 v30, v6, v30
	v_add_nc_u64_e32 v[48:49], 16, v[48:49]
	v_add_nc_u32_e32 v54, 0x80, v54
	v_dual_mul_f32 v10, v6, v10 :: v_dual_fmac_f32 v26, v7, v27
	s_delay_alu instid0(VALU_DEP_4) | instskip(NEXT) | instid1(VALU_DEP_2)
	v_dual_fmac_f32 v30, v7, v31 :: v_dual_mul_f32 v22, v6, v22
	v_dual_mul_f32 v14, v6, v14 :: v_dual_fmac_f32 v10, v7, v11
	s_delay_alu instid0(VALU_DEP_3) | instskip(NEXT) | instid1(VALU_DEP_3)
	v_fmac_f32_e32 v26, v8, v28
	v_fmac_f32_e32 v30, v8, v32
	s_delay_alu instid0(VALU_DEP_4) | instskip(NEXT) | instid1(VALU_DEP_4)
	v_dual_fmac_f32 v22, v7, v23 :: v_dual_mul_f32 v23, v6, v18
	v_fmac_f32_e32 v14, v7, v15
	s_delay_alu instid0(VALU_DEP_4) | instskip(NEXT) | instid1(VALU_DEP_4)
	v_fmac_f32_e32 v26, v9, v29
	v_fmac_f32_e32 v30, v9, v33
	s_delay_alu instid0(VALU_DEP_4) | instskip(SKIP_3) | instid1(VALU_DEP_3)
	v_dual_fmac_f32 v22, v8, v24 :: v_dual_fmac_f32 v23, v7, v19
	v_mul_f32_e32 v24, v6, v2
	s_wait_loadcnt 0x0
	v_pk_mul_f32 v[18:19], v[6:7], v[34:35]
	v_dual_add_f32 v38, v38, v30 :: v_dual_fmac_f32 v22, v9, v25
	v_dual_fmac_f32 v23, v8, v20 :: v_dual_add_f32 v41, v41, v26
	v_fmac_f32_e32 v24, v7, v3
	v_pk_mul_f32 v[2:3], v[8:9], v[36:37]
	s_delay_alu instid0(VALU_DEP_4) | instskip(NEXT) | instid1(VALU_DEP_4)
	v_add_f32_e32 v40, v40, v22
	v_dual_add_f32 v6, v19, v18 :: v_dual_fmac_f32 v23, v9, v21
	v_fmac_f32_e32 v14, v8, v16
	v_dual_fmac_f32 v10, v8, v12 :: v_dual_add_nc_u32 v55, 4, v55
	s_delay_alu instid0(VALU_DEP_3) | instskip(NEXT) | instid1(VALU_DEP_3)
	v_dual_add_f32 v2, v2, v6 :: v_dual_fmac_f32 v24, v8, v4
	v_dual_fmac_f32 v14, v9, v17 :: v_dual_add_f32 v43, v43, v23
	s_delay_alu instid0(VALU_DEP_2) | instskip(NEXT) | instid1(VALU_DEP_3)
	v_dual_fmac_f32 v10, v9, v13 :: v_dual_add_f32 v2, v3, v2
	v_fmac_f32_e32 v24, v9, v5
	v_cmp_le_i32_e32 vcc_lo, s22, v55
	s_delay_alu instid0(VALU_DEP_4) | instskip(NEXT) | instid1(VALU_DEP_4)
	v_add_f32_e32 v42, v42, v14
	v_dual_add_f32 v45, v45, v10 :: v_dual_add_nc_u32 v53, 32, v53
	s_delay_alu instid0(VALU_DEP_4) | instskip(SKIP_1) | instid1(SALU_CYCLE_1)
	v_dual_add_f32 v44, v44, v24 :: v_dual_add_f32 v39, v39, v2
	s_or_b32 s5, vcc_lo, s5
	s_and_not1_b32 exec_lo, exec_lo, s5
	s_cbranch_execz .LBB15_56
.LBB15_40:                              ; =>This Inner Loop Header: Depth=1
	global_load_b32 v2, v[48:49], off
	ds_load_b128 v[6:9], v54
	v_cmp_eq_u32_e32 vcc_lo, s4, v55
	v_or_b32_e32 v57, 3, v53
	v_dual_add_nc_u32 v58, 1, v53 :: v_dual_bitop2_b32 v56, 2, v53 bitop3:0x54
	s_wait_loadcnt 0x0
	v_ashrrev_i32_e32 v3, 31, v2
	s_delay_alu instid0(VALU_DEP_1) | instskip(NEXT) | instid1(VALU_DEP_1)
	v_mul_u64_e32 v[2:3], s[2:3], v[2:3]
	v_lshl_add_u64 v[34:35], v[2:3], 2, v[46:47]
	global_load_b128 v[2:5], v[34:35], off
	s_wait_xcnt 0x0
	s_and_saveexec_b32 s11, vcc_lo
	s_cbranch_execnz .LBB15_48
; %bb.41:                               ;   in Loop: Header=BB15_40 Depth=1
	s_or_b32 exec_lo, exec_lo, s11
	global_load_b128 v[10:13], v[34:35], off offset:512
	s_wait_xcnt 0x0
	s_and_saveexec_b32 s11, vcc_lo
	s_cbranch_execnz .LBB15_49
.LBB15_42:                              ;   in Loop: Header=BB15_40 Depth=1
	s_or_b32 exec_lo, exec_lo, s11
	global_load_b128 v[14:17], v[34:35], off offset:1024
	s_wait_xcnt 0x0
	s_and_saveexec_b32 s11, vcc_lo
	s_cbranch_execnz .LBB15_50
.LBB15_43:                              ;   in Loop: Header=BB15_40 Depth=1
	s_or_b32 exec_lo, exec_lo, s11
	global_load_b128 v[18:21], v[34:35], off offset:1536
	s_wait_xcnt 0x0
	s_and_saveexec_b32 s11, vcc_lo
	s_cbranch_execnz .LBB15_51
.LBB15_44:                              ;   in Loop: Header=BB15_40 Depth=1
	s_or_b32 exec_lo, exec_lo, s11
	global_load_b128 v[22:25], v[34:35], off offset:2048
	s_wait_xcnt 0x0
	s_and_saveexec_b32 s11, vcc_lo
	s_cbranch_execnz .LBB15_52
.LBB15_45:                              ;   in Loop: Header=BB15_40 Depth=1
	s_or_b32 exec_lo, exec_lo, s11
	global_load_b128 v[26:29], v[34:35], off offset:2560
	s_wait_xcnt 0x0
	s_and_saveexec_b32 s11, vcc_lo
	s_cbranch_execnz .LBB15_53
.LBB15_46:                              ;   in Loop: Header=BB15_40 Depth=1
	s_or_b32 exec_lo, exec_lo, s11
	global_load_b128 v[30:33], v[34:35], off offset:3072
	s_wait_xcnt 0x0
	s_and_saveexec_b32 s11, vcc_lo
	s_cbranch_execnz .LBB15_54
.LBB15_47:                              ;   in Loop: Header=BB15_40 Depth=1
	s_or_b32 exec_lo, exec_lo, s11
	global_load_b128 v[34:37], v[34:35], off offset:3584
	s_wait_xcnt 0x0
	s_and_saveexec_b32 s0, vcc_lo
	s_cbranch_execz .LBB15_39
	s_branch .LBB15_55
.LBB15_48:                              ;   in Loop: Header=BB15_40 Depth=1
	v_cmp_gt_i32_e64 s0, s10, v58
	s_wait_loadcnt 0x0
	s_delay_alu instid0(VALU_DEP_1) | instskip(SKIP_1) | instid1(VALU_DEP_1)
	v_cndmask_b32_e64 v3, 0, v3, s0
	v_cmp_gt_i32_e64 s0, s21, v53
	v_cndmask_b32_e64 v2, 0, v2, s0
	v_cmp_gt_i32_e64 s0, s10, v57
	s_delay_alu instid0(VALU_DEP_1) | instskip(SKIP_1) | instid1(VALU_DEP_1)
	v_cndmask_b32_e64 v5, 0, v5, s0
	v_cmp_gt_i32_e64 s0, s21, v56
	v_cndmask_b32_e64 v4, 0, v4, s0
	s_or_b32 exec_lo, exec_lo, s11
	global_load_b128 v[10:13], v[34:35], off offset:512
	s_wait_xcnt 0x0
	s_and_saveexec_b32 s11, vcc_lo
	s_cbranch_execz .LBB15_42
.LBB15_49:                              ;   in Loop: Header=BB15_40 Depth=1
	v_cmp_gt_i32_e64 s0, s10, v58
	s_wait_loadcnt 0x0
	s_delay_alu instid0(VALU_DEP_1) | instskip(SKIP_1) | instid1(VALU_DEP_1)
	v_cndmask_b32_e64 v11, 0, v11, s0
	v_cmp_gt_i32_e64 s0, s21, v53
	v_cndmask_b32_e64 v10, 0, v10, s0
	v_cmp_gt_i32_e64 s0, s10, v57
	s_delay_alu instid0(VALU_DEP_1) | instskip(SKIP_1) | instid1(VALU_DEP_1)
	v_cndmask_b32_e64 v13, 0, v13, s0
	v_cmp_gt_i32_e64 s0, s21, v56
	v_cndmask_b32_e64 v12, 0, v12, s0
	s_or_b32 exec_lo, exec_lo, s11
	global_load_b128 v[14:17], v[34:35], off offset:1024
	s_wait_xcnt 0x0
	s_and_saveexec_b32 s11, vcc_lo
	s_cbranch_execz .LBB15_43
.LBB15_50:                              ;   in Loop: Header=BB15_40 Depth=1
	v_cmp_gt_i32_e64 s0, s10, v58
	s_wait_loadcnt 0x0
	s_delay_alu instid0(VALU_DEP_1) | instskip(SKIP_1) | instid1(VALU_DEP_1)
	v_cndmask_b32_e64 v15, 0, v15, s0
	v_cmp_gt_i32_e64 s0, s21, v53
	v_cndmask_b32_e64 v14, 0, v14, s0
	v_cmp_gt_i32_e64 s0, s10, v57
	s_delay_alu instid0(VALU_DEP_1) | instskip(SKIP_1) | instid1(VALU_DEP_1)
	v_cndmask_b32_e64 v17, 0, v17, s0
	v_cmp_gt_i32_e64 s0, s21, v56
	v_cndmask_b32_e64 v16, 0, v16, s0
	s_or_b32 exec_lo, exec_lo, s11
	global_load_b128 v[18:21], v[34:35], off offset:1536
	s_wait_xcnt 0x0
	s_and_saveexec_b32 s11, vcc_lo
	s_cbranch_execz .LBB15_44
.LBB15_51:                              ;   in Loop: Header=BB15_40 Depth=1
	v_cmp_gt_i32_e64 s0, s10, v58
	s_wait_loadcnt 0x0
	s_delay_alu instid0(VALU_DEP_1) | instskip(SKIP_1) | instid1(VALU_DEP_1)
	v_cndmask_b32_e64 v19, 0, v19, s0
	v_cmp_gt_i32_e64 s0, s21, v53
	v_cndmask_b32_e64 v18, 0, v18, s0
	v_cmp_gt_i32_e64 s0, s10, v57
	s_delay_alu instid0(VALU_DEP_1) | instskip(SKIP_1) | instid1(VALU_DEP_1)
	v_cndmask_b32_e64 v21, 0, v21, s0
	v_cmp_gt_i32_e64 s0, s21, v56
	v_cndmask_b32_e64 v20, 0, v20, s0
	s_or_b32 exec_lo, exec_lo, s11
	global_load_b128 v[22:25], v[34:35], off offset:2048
	s_wait_xcnt 0x0
	s_and_saveexec_b32 s11, vcc_lo
	s_cbranch_execz .LBB15_45
.LBB15_52:                              ;   in Loop: Header=BB15_40 Depth=1
	v_cmp_gt_i32_e64 s0, s10, v58
	s_wait_loadcnt 0x0
	s_delay_alu instid0(VALU_DEP_1) | instskip(SKIP_1) | instid1(VALU_DEP_1)
	v_cndmask_b32_e64 v23, 0, v23, s0
	v_cmp_gt_i32_e64 s0, s21, v53
	v_cndmask_b32_e64 v22, 0, v22, s0
	v_cmp_gt_i32_e64 s0, s10, v57
	s_delay_alu instid0(VALU_DEP_1) | instskip(SKIP_1) | instid1(VALU_DEP_1)
	v_cndmask_b32_e64 v25, 0, v25, s0
	v_cmp_gt_i32_e64 s0, s21, v56
	v_cndmask_b32_e64 v24, 0, v24, s0
	s_or_b32 exec_lo, exec_lo, s11
	global_load_b128 v[26:29], v[34:35], off offset:2560
	s_wait_xcnt 0x0
	s_and_saveexec_b32 s11, vcc_lo
	s_cbranch_execz .LBB15_46
.LBB15_53:                              ;   in Loop: Header=BB15_40 Depth=1
	v_cmp_gt_i32_e64 s0, s10, v58
	s_wait_loadcnt 0x0
	s_delay_alu instid0(VALU_DEP_1) | instskip(SKIP_1) | instid1(VALU_DEP_1)
	v_cndmask_b32_e64 v27, 0, v27, s0
	v_cmp_gt_i32_e64 s0, s21, v53
	v_cndmask_b32_e64 v26, 0, v26, s0
	v_cmp_gt_i32_e64 s0, s10, v57
	s_delay_alu instid0(VALU_DEP_1) | instskip(SKIP_1) | instid1(VALU_DEP_1)
	v_cndmask_b32_e64 v29, 0, v29, s0
	v_cmp_gt_i32_e64 s0, s21, v56
	v_cndmask_b32_e64 v28, 0, v28, s0
	s_or_b32 exec_lo, exec_lo, s11
	global_load_b128 v[30:33], v[34:35], off offset:3072
	s_wait_xcnt 0x0
	s_and_saveexec_b32 s11, vcc_lo
	s_cbranch_execz .LBB15_47
.LBB15_54:                              ;   in Loop: Header=BB15_40 Depth=1
	v_cmp_gt_i32_e64 s0, s10, v58
	s_wait_loadcnt 0x0
	s_delay_alu instid0(VALU_DEP_1) | instskip(SKIP_1) | instid1(VALU_DEP_1)
	v_cndmask_b32_e64 v31, 0, v31, s0
	v_cmp_gt_i32_e64 s0, s21, v53
	v_cndmask_b32_e64 v30, 0, v30, s0
	v_cmp_gt_i32_e64 s0, s10, v57
	s_delay_alu instid0(VALU_DEP_1) | instskip(SKIP_1) | instid1(VALU_DEP_1)
	v_cndmask_b32_e64 v33, 0, v33, s0
	v_cmp_gt_i32_e64 s0, s21, v56
	v_cndmask_b32_e64 v32, 0, v32, s0
	s_or_b32 exec_lo, exec_lo, s11
	global_load_b128 v[34:37], v[34:35], off offset:3584
	s_wait_xcnt 0x0
	s_and_saveexec_b32 s0, vcc_lo
	s_cbranch_execz .LBB15_39
.LBB15_55:                              ;   in Loop: Header=BB15_40 Depth=1
	v_cmp_gt_i32_e32 vcc_lo, s10, v58
	s_wait_loadcnt 0x0
	v_cndmask_b32_e32 v35, 0, v35, vcc_lo
	v_cmp_gt_i32_e32 vcc_lo, s21, v53
	v_cndmask_b32_e32 v34, 0, v34, vcc_lo
	v_cmp_gt_i32_e32 vcc_lo, s10, v57
	;; [unrolled: 2-line block ×3, first 2 shown]
	v_cndmask_b32_e32 v36, 0, v36, vcc_lo
	s_branch .LBB15_39
.LBB15_56:
	s_or_b32 exec_lo, exec_lo, s5
.LBB15_57:
	s_delay_alu instid0(SALU_CYCLE_1)
	s_or_b32 exec_lo, exec_lo, s1
	ds_bpermute_b32 v2, v51, v44
	ds_bpermute_b32 v3, v51, v45
	;; [unrolled: 1-line block ×8, first 2 shown]
	v_and_b32_e32 v10, 0x3c1, v0
	v_lshrrev_b32_e32 v11, 1, v50
	s_mov_b32 s0, exec_lo
	s_wait_dscnt 0x0
	s_barrier_signal -1
	s_barrier_wait -1
	v_pk_add_f32 v[6:7], v[44:45], v[2:3]
	v_pk_add_f32 v[4:5], v[42:43], v[4:5]
	v_pk_add_f32 v[2:3], v[40:41], v[12:13]
	v_cmpx_ne_u32_e32 64, v10
	s_xor_b32 s0, exec_lo, s0
	s_delay_alu instid0(SALU_CYCLE_1)
	s_or_saveexec_b32 s0, s0
	v_pk_add_f32 v[8:9], v[38:39], v[8:9]
	v_lshl_add_u32 v10, v11, 2, 0x220
	v_lshlrev_b32_e32 v1, 9, v1
	s_xor_b32 exec_lo, exec_lo, s0
	s_cbranch_execz .LBB15_59
; %bb.58:
	s_delay_alu instid0(VALU_DEP_1) | instskip(NEXT) | instid1(VALU_DEP_1)
	v_add_nc_u32_e32 v12, v10, v1
	v_add_nc_u32_e32 v13, 0xfffffc00, v12
	;; [unrolled: 1-line block ×9, first 2 shown]
	ds_store_b32 v13, v6
	ds_store_b32 v14, v7
	;; [unrolled: 1-line block ×8, first 2 shown]
.LBB15_59:
	s_or_b32 exec_lo, exec_lo, s0
	v_lshlrev_b32_e32 v11, 2, v11
	s_mov_b32 s1, exec_lo
	v_cmp_eq_u32_e32 vcc_lo, 0, v52
	s_wait_dscnt 0x0
	s_barrier_signal -1
	v_add3_u32 v1, 0x220, v1, v11
	s_barrier_wait -1
	v_cmpx_gt_u32_e32 64, v0
	s_cbranch_execz .LBB15_70
; %bb.60:
	s_and_saveexec_b32 s0, vcc_lo
	s_cbranch_execnz .LBB15_86
; %bb.61:
	s_or_b32 exec_lo, exec_lo, s0
	s_and_saveexec_b32 s0, vcc_lo
	s_cbranch_execnz .LBB15_87
.LBB15_62:
	s_or_b32 exec_lo, exec_lo, s0
	s_and_saveexec_b32 s0, vcc_lo
	s_cbranch_execnz .LBB15_88
.LBB15_63:
	s_or_b32 exec_lo, exec_lo, s0
	s_and_saveexec_b32 s0, vcc_lo
	s_cbranch_execnz .LBB15_89
.LBB15_64:
	s_or_b32 exec_lo, exec_lo, s0
	s_and_saveexec_b32 s0, vcc_lo
	s_cbranch_execnz .LBB15_90
.LBB15_65:
	s_or_b32 exec_lo, exec_lo, s0
	s_and_saveexec_b32 s0, vcc_lo
	s_cbranch_execnz .LBB15_91
.LBB15_66:
	s_or_b32 exec_lo, exec_lo, s0
	s_and_saveexec_b32 s0, vcc_lo
	s_cbranch_execnz .LBB15_92
.LBB15_67:
	s_or_b32 exec_lo, exec_lo, s0
	s_and_saveexec_b32 s0, vcc_lo
	s_cbranch_execz .LBB15_69
.LBB15_68:
	ds_load_b32 v11, v1 offset:448
	s_wait_dscnt 0x0
	v_add_f32_e32 v9, v9, v11
.LBB15_69:
	s_or_b32 exec_lo, exec_lo, s0
.LBB15_70:
	s_delay_alu instid0(SALU_CYCLE_1) | instskip(SKIP_4) | instid1(VALU_DEP_1)
	s_or_b32 exec_lo, exec_lo, s1
	v_and_b32_e32 v11, 0x3e1, v0
	s_mov_b32 s1, exec_lo
	s_barrier_signal -1
	s_barrier_wait -1
	v_cmpx_eq_u32_e32 32, v11
	s_cbranch_execz .LBB15_72
; %bb.71:
	ds_store_2addr_b32 v10, v6, v7 offset1:16
	ds_store_2addr_b32 v10, v4, v5 offset0:32 offset1:48
	ds_store_2addr_b32 v10, v2, v3 offset0:64 offset1:80
	;; [unrolled: 1-line block ×3, first 2 shown]
.LBB15_72:
	s_or_b32 exec_lo, exec_lo, s1
	s_delay_alu instid0(SALU_CYCLE_1)
	s_mov_b32 s1, exec_lo
	s_wait_dscnt 0x0
	s_barrier_signal -1
	s_barrier_wait -1
	v_cmpx_gt_u32_e32 32, v0
	s_cbranch_execz .LBB15_83
; %bb.73:
	s_and_saveexec_b32 s0, vcc_lo
	s_cbranch_execnz .LBB15_93
; %bb.74:
	s_or_b32 exec_lo, exec_lo, s0
	s_and_saveexec_b32 s0, vcc_lo
	s_cbranch_execnz .LBB15_94
.LBB15_75:
	s_or_b32 exec_lo, exec_lo, s0
	s_and_saveexec_b32 s0, vcc_lo
	s_cbranch_execnz .LBB15_95
.LBB15_76:
	s_or_b32 exec_lo, exec_lo, s0
	s_and_saveexec_b32 s0, vcc_lo
	s_cbranch_execnz .LBB15_96
.LBB15_77:
	s_or_b32 exec_lo, exec_lo, s0
	s_and_saveexec_b32 s0, vcc_lo
	s_cbranch_execnz .LBB15_97
.LBB15_78:
	s_or_b32 exec_lo, exec_lo, s0
	s_and_saveexec_b32 s0, vcc_lo
	s_cbranch_execnz .LBB15_98
.LBB15_79:
	s_or_b32 exec_lo, exec_lo, s0
	s_and_saveexec_b32 s0, vcc_lo
	s_cbranch_execnz .LBB15_99
.LBB15_80:
	s_or_b32 exec_lo, exec_lo, s0
	s_and_saveexec_b32 s0, vcc_lo
	s_cbranch_execz .LBB15_82
.LBB15_81:
	ds_load_b32 v1, v1 offset:448
	s_wait_dscnt 0x0
	v_add_f32_e32 v9, v9, v1
.LBB15_82:
	s_or_b32 exec_lo, exec_lo, s0
.LBB15_83:
	s_delay_alu instid0(SALU_CYCLE_1)
	s_or_b32 exec_lo, exec_lo, s1
	s_mov_b32 s1, 0
	s_barrier_signal -1
	s_barrier_wait -1
	s_mov_b32 s0, exec_lo
	v_cmpx_eq_u32_e32 0, v11
	s_cbranch_execz .LBB15_85
; %bb.84:
	s_wait_kmcnt 0x0
	s_mul_i32 s0, s20, s9
	s_mul_i32 s2, s9, s8
	;; [unrolled: 1-line block ×3, first 2 shown]
	s_lshr_b32 s8, ttmp7, 16
	s_lshl_b32 s4, s0, 7
	s_bfe_u32 s0, ttmp6, 0x40014
	s_ashr_i32 s5, s4, 31
	s_add_co_i32 s0, s0, 1
	s_lshl_b64 s[4:5], s[4:5], 2
	s_ashr_i32 s3, s2, 31
	s_add_nc_u64 s[4:5], s[6:7], s[4:5]
	s_mul_i32 s0, s8, s0
	s_bfe_u32 s6, ttmp6, 0x40008
	s_lshl_b64 s[2:3], s[2:3], 2
	s_add_co_i32 s6, s6, s0
	s_cmp_eq_u32 s18, 0
	v_lshlrev_b32_e32 v0, 1, v0
	s_cselect_b32 s0, s8, s6
	s_add_nc_u64 s[2:3], s[4:5], s[2:3]
	s_lshl_b32 s0, s0, 9
	s_delay_alu instid0(SALU_CYCLE_1)
	s_add_nc_u64 s[0:1], s[2:3], s[0:1]
	s_clause 0x7
	global_store_b32 v0, v6, s[0:1]
	global_store_b32 v0, v7, s[0:1] offset:64
	global_store_b32 v0, v4, s[0:1] offset:128
	;; [unrolled: 1-line block ×7, first 2 shown]
.LBB15_85:
	s_sendmsg sendmsg(MSG_DEALLOC_VGPRS)
	s_endpgm
.LBB15_86:
	ds_load_b32 v11, v1
	s_wait_dscnt 0x0
	v_add_f32_e32 v6, v6, v11
	s_or_b32 exec_lo, exec_lo, s0
	s_and_saveexec_b32 s0, vcc_lo
	s_cbranch_execz .LBB15_62
.LBB15_87:
	ds_load_b32 v11, v1 offset:64
	s_wait_dscnt 0x0
	v_add_f32_e32 v7, v7, v11
	s_or_b32 exec_lo, exec_lo, s0
	s_and_saveexec_b32 s0, vcc_lo
	s_cbranch_execz .LBB15_63
.LBB15_88:
	ds_load_b32 v11, v1 offset:128
	s_wait_dscnt 0x0
	v_add_f32_e32 v4, v4, v11
	s_or_b32 exec_lo, exec_lo, s0
	s_and_saveexec_b32 s0, vcc_lo
	s_cbranch_execz .LBB15_64
.LBB15_89:
	ds_load_b32 v11, v1 offset:192
	s_wait_dscnt 0x0
	v_add_f32_e32 v5, v5, v11
	s_or_b32 exec_lo, exec_lo, s0
	s_and_saveexec_b32 s0, vcc_lo
	s_cbranch_execz .LBB15_65
.LBB15_90:
	ds_load_b32 v11, v1 offset:256
	s_wait_dscnt 0x0
	v_add_f32_e32 v2, v2, v11
	s_or_b32 exec_lo, exec_lo, s0
	s_and_saveexec_b32 s0, vcc_lo
	s_cbranch_execz .LBB15_66
.LBB15_91:
	ds_load_b32 v11, v1 offset:320
	s_wait_dscnt 0x0
	v_add_f32_e32 v3, v3, v11
	s_or_b32 exec_lo, exec_lo, s0
	s_and_saveexec_b32 s0, vcc_lo
	s_cbranch_execz .LBB15_67
.LBB15_92:
	ds_load_b32 v11, v1 offset:384
	s_wait_dscnt 0x0
	v_add_f32_e32 v8, v8, v11
	s_or_b32 exec_lo, exec_lo, s0
	s_and_saveexec_b32 s0, vcc_lo
	s_cbranch_execnz .LBB15_68
	s_branch .LBB15_69
.LBB15_93:
	ds_load_b32 v10, v1
	s_wait_dscnt 0x0
	v_add_f32_e32 v6, v6, v10
	s_or_b32 exec_lo, exec_lo, s0
	s_and_saveexec_b32 s0, vcc_lo
	s_cbranch_execz .LBB15_75
.LBB15_94:
	ds_load_b32 v10, v1 offset:64
	s_wait_dscnt 0x0
	v_add_f32_e32 v7, v7, v10
	s_or_b32 exec_lo, exec_lo, s0
	s_and_saveexec_b32 s0, vcc_lo
	s_cbranch_execz .LBB15_76
.LBB15_95:
	ds_load_b32 v10, v1 offset:128
	s_wait_dscnt 0x0
	v_add_f32_e32 v4, v4, v10
	s_or_b32 exec_lo, exec_lo, s0
	s_and_saveexec_b32 s0, vcc_lo
	s_cbranch_execz .LBB15_77
.LBB15_96:
	ds_load_b32 v10, v1 offset:192
	s_wait_dscnt 0x0
	v_add_f32_e32 v5, v5, v10
	s_or_b32 exec_lo, exec_lo, s0
	s_and_saveexec_b32 s0, vcc_lo
	s_cbranch_execz .LBB15_78
.LBB15_97:
	ds_load_b32 v10, v1 offset:256
	s_wait_dscnt 0x0
	v_add_f32_e32 v2, v2, v10
	s_or_b32 exec_lo, exec_lo, s0
	s_and_saveexec_b32 s0, vcc_lo
	s_cbranch_execz .LBB15_79
.LBB15_98:
	ds_load_b32 v10, v1 offset:320
	s_wait_dscnt 0x0
	v_add_f32_e32 v3, v3, v10
	s_or_b32 exec_lo, exec_lo, s0
	s_and_saveexec_b32 s0, vcc_lo
	s_cbranch_execz .LBB15_80
.LBB15_99:
	ds_load_b32 v10, v1 offset:384
	s_wait_dscnt 0x0
	v_add_f32_e32 v8, v8, v10
	s_or_b32 exec_lo, exec_lo, s0
	s_and_saveexec_b32 s0, vcc_lo
	s_cbranch_execnz .LBB15_81
	s_branch .LBB15_82
	.section	.rodata,"a",@progbits
	.p2align	6, 0x0
	.amdhsa_kernel _ZN4vllm25paged_attention_v1_kernelIffLi128ELi8ELi128ELNS_18Fp8KVCacheDataTypeE0ELb0EEEvPT_PKS2_PKT0_S8_ifPKiSA_iPKfiiiSC_SC_iiiii
		.amdhsa_group_segment_fixed_size 544
		.amdhsa_private_segment_fixed_size 0
		.amdhsa_kernarg_size 384
		.amdhsa_user_sgpr_count 2
		.amdhsa_user_sgpr_dispatch_ptr 0
		.amdhsa_user_sgpr_queue_ptr 0
		.amdhsa_user_sgpr_kernarg_segment_ptr 1
		.amdhsa_user_sgpr_dispatch_id 0
		.amdhsa_user_sgpr_kernarg_preload_length 0
		.amdhsa_user_sgpr_kernarg_preload_offset 0
		.amdhsa_user_sgpr_private_segment_size 0
		.amdhsa_wavefront_size32 1
		.amdhsa_uses_dynamic_stack 0
		.amdhsa_enable_private_segment 0
		.amdhsa_system_sgpr_workgroup_id_x 1
		.amdhsa_system_sgpr_workgroup_id_y 1
		.amdhsa_system_sgpr_workgroup_id_z 1
		.amdhsa_system_sgpr_workgroup_info 0
		.amdhsa_system_vgpr_workitem_id 0
		.amdhsa_next_free_vgpr 81
		.amdhsa_next_free_sgpr 30
		.amdhsa_named_barrier_count 0
		.amdhsa_reserve_vcc 1
		.amdhsa_float_round_mode_32 0
		.amdhsa_float_round_mode_16_64 0
		.amdhsa_float_denorm_mode_32 3
		.amdhsa_float_denorm_mode_16_64 3
		.amdhsa_fp16_overflow 0
		.amdhsa_memory_ordered 1
		.amdhsa_forward_progress 1
		.amdhsa_inst_pref_size 49
		.amdhsa_round_robin_scheduling 0
		.amdhsa_exception_fp_ieee_invalid_op 0
		.amdhsa_exception_fp_denorm_src 0
		.amdhsa_exception_fp_ieee_div_zero 0
		.amdhsa_exception_fp_ieee_overflow 0
		.amdhsa_exception_fp_ieee_underflow 0
		.amdhsa_exception_fp_ieee_inexact 0
		.amdhsa_exception_int_div_zero 0
	.end_amdhsa_kernel
	.section	.text._ZN4vllm25paged_attention_v1_kernelIffLi128ELi8ELi128ELNS_18Fp8KVCacheDataTypeE0ELb0EEEvPT_PKS2_PKT0_S8_ifPKiSA_iPKfiiiSC_SC_iiiii,"axG",@progbits,_ZN4vllm25paged_attention_v1_kernelIffLi128ELi8ELi128ELNS_18Fp8KVCacheDataTypeE0ELb0EEEvPT_PKS2_PKT0_S8_ifPKiSA_iPKfiiiSC_SC_iiiii,comdat
.Lfunc_end15:
	.size	_ZN4vllm25paged_attention_v1_kernelIffLi128ELi8ELi128ELNS_18Fp8KVCacheDataTypeE0ELb0EEEvPT_PKS2_PKT0_S8_ifPKiSA_iPKfiiiSC_SC_iiiii, .Lfunc_end15-_ZN4vllm25paged_attention_v1_kernelIffLi128ELi8ELi128ELNS_18Fp8KVCacheDataTypeE0ELb0EEEvPT_PKS2_PKT0_S8_ifPKiSA_iPKfiiiSC_SC_iiiii
                                        ; -- End function
	.set _ZN4vllm25paged_attention_v1_kernelIffLi128ELi8ELi128ELNS_18Fp8KVCacheDataTypeE0ELb0EEEvPT_PKS2_PKT0_S8_ifPKiSA_iPKfiiiSC_SC_iiiii.num_vgpr, 81
	.set _ZN4vllm25paged_attention_v1_kernelIffLi128ELi8ELi128ELNS_18Fp8KVCacheDataTypeE0ELb0EEEvPT_PKS2_PKT0_S8_ifPKiSA_iPKfiiiSC_SC_iiiii.num_agpr, 0
	.set _ZN4vllm25paged_attention_v1_kernelIffLi128ELi8ELi128ELNS_18Fp8KVCacheDataTypeE0ELb0EEEvPT_PKS2_PKT0_S8_ifPKiSA_iPKfiiiSC_SC_iiiii.numbered_sgpr, 30
	.set _ZN4vllm25paged_attention_v1_kernelIffLi128ELi8ELi128ELNS_18Fp8KVCacheDataTypeE0ELb0EEEvPT_PKS2_PKT0_S8_ifPKiSA_iPKfiiiSC_SC_iiiii.num_named_barrier, 0
	.set _ZN4vllm25paged_attention_v1_kernelIffLi128ELi8ELi128ELNS_18Fp8KVCacheDataTypeE0ELb0EEEvPT_PKS2_PKT0_S8_ifPKiSA_iPKfiiiSC_SC_iiiii.private_seg_size, 0
	.set _ZN4vllm25paged_attention_v1_kernelIffLi128ELi8ELi128ELNS_18Fp8KVCacheDataTypeE0ELb0EEEvPT_PKS2_PKT0_S8_ifPKiSA_iPKfiiiSC_SC_iiiii.uses_vcc, 1
	.set _ZN4vllm25paged_attention_v1_kernelIffLi128ELi8ELi128ELNS_18Fp8KVCacheDataTypeE0ELb0EEEvPT_PKS2_PKT0_S8_ifPKiSA_iPKfiiiSC_SC_iiiii.uses_flat_scratch, 0
	.set _ZN4vllm25paged_attention_v1_kernelIffLi128ELi8ELi128ELNS_18Fp8KVCacheDataTypeE0ELb0EEEvPT_PKS2_PKT0_S8_ifPKiSA_iPKfiiiSC_SC_iiiii.has_dyn_sized_stack, 0
	.set _ZN4vllm25paged_attention_v1_kernelIffLi128ELi8ELi128ELNS_18Fp8KVCacheDataTypeE0ELb0EEEvPT_PKS2_PKT0_S8_ifPKiSA_iPKfiiiSC_SC_iiiii.has_recursion, 0
	.set _ZN4vllm25paged_attention_v1_kernelIffLi128ELi8ELi128ELNS_18Fp8KVCacheDataTypeE0ELb0EEEvPT_PKS2_PKT0_S8_ifPKiSA_iPKfiiiSC_SC_iiiii.has_indirect_call, 0
	.section	.AMDGPU.csdata,"",@progbits
; Kernel info:
; codeLenInByte = 6256
; TotalNumSgprs: 32
; NumVgprs: 81
; ScratchSize: 0
; MemoryBound: 0
; FloatMode: 240
; IeeeMode: 1
; LDSByteSize: 544 bytes/workgroup (compile time only)
; SGPRBlocks: 0
; VGPRBlocks: 5
; NumSGPRsForWavesPerEU: 32
; NumVGPRsForWavesPerEU: 81
; NamedBarCnt: 0
; Occupancy: 10
; WaveLimiterHint : 1
; COMPUTE_PGM_RSRC2:SCRATCH_EN: 0
; COMPUTE_PGM_RSRC2:USER_SGPR: 2
; COMPUTE_PGM_RSRC2:TRAP_HANDLER: 0
; COMPUTE_PGM_RSRC2:TGID_X_EN: 1
; COMPUTE_PGM_RSRC2:TGID_Y_EN: 1
; COMPUTE_PGM_RSRC2:TGID_Z_EN: 1
; COMPUTE_PGM_RSRC2:TIDIG_COMP_CNT: 0
	.section	.text._ZN4vllm25paged_attention_v1_kernelIffLi192ELi8ELi128ELNS_18Fp8KVCacheDataTypeE0ELb0EEEvPT_PKS2_PKT0_S8_ifPKiSA_iPKfiiiSC_SC_iiiii,"axG",@progbits,_ZN4vllm25paged_attention_v1_kernelIffLi192ELi8ELi128ELNS_18Fp8KVCacheDataTypeE0ELb0EEEvPT_PKS2_PKT0_S8_ifPKiSA_iPKfiiiSC_SC_iiiii,comdat
	.protected	_ZN4vllm25paged_attention_v1_kernelIffLi192ELi8ELi128ELNS_18Fp8KVCacheDataTypeE0ELb0EEEvPT_PKS2_PKT0_S8_ifPKiSA_iPKfiiiSC_SC_iiiii ; -- Begin function _ZN4vllm25paged_attention_v1_kernelIffLi192ELi8ELi128ELNS_18Fp8KVCacheDataTypeE0ELb0EEEvPT_PKS2_PKT0_S8_ifPKiSA_iPKfiiiSC_SC_iiiii
	.globl	_ZN4vllm25paged_attention_v1_kernelIffLi192ELi8ELi128ELNS_18Fp8KVCacheDataTypeE0ELb0EEEvPT_PKS2_PKT0_S8_ifPKiSA_iPKfiiiSC_SC_iiiii
	.p2align	8
	.type	_ZN4vllm25paged_attention_v1_kernelIffLi192ELi8ELi128ELNS_18Fp8KVCacheDataTypeE0ELb0EEEvPT_PKS2_PKT0_S8_ifPKiSA_iPKfiiiSC_SC_iiiii,@function
_ZN4vllm25paged_attention_v1_kernelIffLi192ELi8ELi128ELNS_18Fp8KVCacheDataTypeE0ELb0EEEvPT_PKS2_PKT0_S8_ifPKiSA_iPKfiiiSC_SC_iiiii: ; @_ZN4vllm25paged_attention_v1_kernelIffLi192ELi8ELi128ELNS_18Fp8KVCacheDataTypeE0ELb0EEEvPT_PKS2_PKT0_S8_ifPKiSA_iPKfiiiSC_SC_iiiii
; %bb.0:
	s_load_b64 s[6:7], s[0:1], 0x20
	s_bfe_u32 s3, ttmp6, 0x4000c
	s_bfe_u32 s5, ttmp6, 0x40010
	s_and_b32 s4, ttmp7, 0xffff
	s_add_co_i32 s3, s3, 1
	s_add_co_i32 s5, s5, 1
	s_and_b32 s2, ttmp6, 15
	s_bfe_u32 s8, ttmp6, 0x40004
	s_mul_i32 s3, ttmp9, s3
	s_mul_i32 s5, s4, s5
	s_getreg_b32 s18, hwreg(HW_REG_IB_STS2, 6, 4)
	s_add_co_i32 s2, s2, s3
	s_add_co_i32 s8, s8, s5
	s_cmp_eq_u32 s18, 0
	s_clause 0x1
	s_load_b32 s19, s[0:1], 0x80
	s_load_b64 s[10:11], s[0:1], 0x30
	s_cselect_b32 s20, s4, s8
	s_cselect_b32 s8, ttmp9, s2
	s_wait_kmcnt 0x0
	s_abs_i32 s2, s6
	s_delay_alu instid0(SALU_CYCLE_1) | instskip(SKIP_1) | instid1(SALU_CYCLE_2)
	s_cvt_f32_u32 s3, s2
	s_sub_co_i32 s4, 0, s2
	v_rcp_iflag_f32_e32 v1, s3
	s_abs_i32 s5, s19
	v_nop
	s_delay_alu instid0(TRANS32_DEP_1) | instskip(SKIP_1) | instid1(SALU_CYCLE_3)
	v_readfirstlane_b32 s3, v1
	s_mul_f32 s3, s3, 0x4f7ffffe
	s_cvt_u32_f32 s3, s3
	s_delay_alu instid0(SALU_CYCLE_3) | instskip(NEXT) | instid1(SALU_CYCLE_1)
	s_mul_i32 s4, s4, s3
	s_mul_hi_u32 s4, s3, s4
	s_delay_alu instid0(SALU_CYCLE_1) | instskip(SKIP_4) | instid1(SALU_CYCLE_1)
	s_add_co_i32 s3, s3, s4
	s_xor_b32 s4, s19, s6
	s_mul_hi_u32 s3, s5, s3
	s_ashr_i32 s4, s4, 31
	s_mul_i32 s6, s3, s2
	s_sub_co_i32 s5, s5, s6
	s_add_co_i32 s6, s3, 1
	s_sub_co_i32 s9, s5, s2
	s_cmp_ge_u32 s5, s2
	s_cselect_b32 s3, s6, s3
	s_cselect_b32 s5, s9, s5
	s_add_co_i32 s6, s3, 1
	s_cmp_ge_u32 s5, s2
	s_cselect_b32 s2, s6, s3
	s_mov_b32 s3, 0
	s_xor_b32 s2, s2, s4
	s_mov_b32 s13, s3
	s_sub_co_i32 s16, s2, s4
	s_load_b64 s[4:5], s[0:1], 0x40
	s_abs_i32 s14, s16
	s_mov_b32 s23, s3
	s_cvt_f32_u32 s2, s14
	s_delay_alu instid0(SALU_CYCLE_3) | instskip(SKIP_1) | instid1(TRANS32_DEP_1)
	v_rcp_iflag_f32_e32 v1, s2
	v_nop
	v_readfirstlane_b32 s2, v1
	s_mul_f32 s2, s2, 0x4f7ffffe
	s_delay_alu instid0(SALU_CYCLE_3) | instskip(SKIP_1) | instid1(SALU_CYCLE_2)
	s_cvt_u32_f32 s6, s2
	s_sub_co_i32 s2, 0, s14
	s_mul_i32 s2, s2, s6
	s_delay_alu instid0(SALU_CYCLE_1)
	s_mul_hi_u32 s9, s6, s2
	s_abs_i32 s2, s8
	s_add_co_i32 s12, s6, s9
	s_wait_kmcnt 0x0
	s_cmp_eq_u64 s[4:5], 0
	s_cbranch_scc1 .LBB16_2
; %bb.1:
	s_ashr_i32 s9, s8, 31
	s_delay_alu instid0(SALU_CYCLE_1) | instskip(NEXT) | instid1(SALU_CYCLE_1)
	s_lshl_b64 s[22:23], s[8:9], 2
	s_add_nc_u64 s[4:5], s[4:5], s[22:23]
	s_load_b32 s23, s[4:5], 0x0
.LBB16_2:
	s_load_b32 s22, s[10:11], s20 offset:0x0 scale_offset
	s_load_b32 s21, s[0:1], 0x88
	s_wait_xcnt 0x0
	s_load_b96 s[4:6], s[0:1], 0x48
	v_and_b32_e32 v54, 3, v0
	s_ashr_i32 s15, s8, 31
	s_ashr_i32 s16, s16, 31
	s_mul_u64 s[10:11], s[2:3], s[12:13]
	s_mulk_i32 s8, 0xc0
	s_mov_b32 s3, exec_lo
	v_cmpx_gt_u32_e32 0xc0, v0
	s_cbranch_execz .LBB16_5
; %bb.3:
	s_load_b64 s[12:13], s[0:1], 0x8
	s_wait_kmcnt 0x0
	s_mul_i32 s24, s4, s20
	s_ashr_i32 s9, s8, 31
	s_ashr_i32 s25, s24, 31
	v_and_b32_e32 v1, 0x3fc, v0
	s_lshl_b64 s[24:25], s[24:25], 2
	v_cmp_gt_u32_e32 vcc_lo, 64, v0
	s_delay_alu instid0(VALU_DEP_2) | instskip(SKIP_2) | instid1(SALU_CYCLE_1)
	v_mad_u32_u24 v1, 0xc0, v54, v1
	s_add_nc_u64 s[12:13], s[12:13], s[24:25]
	s_lshl_b64 s[24:25], s[8:9], 2
	s_add_nc_u64 s[12:13], s[12:13], s[24:25]
	global_load_b32 v2, v0, s[12:13] scale_offset
	s_wait_loadcnt 0x0
	ds_store_b32 v1, v2
	s_and_b32 exec_lo, exec_lo, vcc_lo
	s_cbranch_execz .LBB16_5
; %bb.4:
	v_dual_lshrrev_b32 v2, 2, v0 :: v_dual_lshlrev_b32 v3, 2, v54
	s_delay_alu instid0(VALU_DEP_1) | instskip(NEXT) | instid1(VALU_DEP_1)
	v_lshlrev_b32_e32 v2, 4, v2
	v_or3_b32 v2, v2, v3, 0x200
	global_load_b32 v2, v2, s[12:13]
	s_wait_loadcnt 0x0
	ds_store_b32 v1, v2 offset:128
.LBB16_5:
	s_or_b32 exec_lo, exec_lo, s3
	s_wait_kmcnt 0x0
	s_add_co_i32 s3, s22, 7
	s_load_b32 s4, s[0:1], 0x38
	s_ashr_i32 s9, s3, 31
	s_mul_i32 s12, s11, s14
	s_lshr_b32 s9, s9, 29
	s_sub_co_i32 s2, s2, s12
	s_add_co_i32 s3, s3, s9
	s_xor_b32 s10, s15, s16
	s_ashr_i32 s9, s3, 3
	s_add_co_i32 s3, s11, 1
	s_sub_co_i32 s12, s2, s14
	s_cmp_ge_u32 s2, s14
	v_lshrrev_b32_e32 v1, 5, v0
	s_cselect_b32 s3, s3, s11
	s_cselect_b32 s2, s12, s2
	s_add_co_i32 s11, s3, 1
	s_cmp_ge_u32 s2, s14
	v_mbcnt_lo_u32_b32 v56, -1, 0
	s_cselect_b32 s2, s11, s3
	s_wait_dscnt 0x0
	s_xor_b32 s2, s2, s10
	s_barrier_signal -1
	s_sub_co_i32 s3, s2, s10
	v_cmp_gt_i32_e64 s2, s9, v1
	s_wait_kmcnt 0x0
	s_mul_i32 s10, s4, s20
	s_mov_b32 s4, exec_lo
	s_ashr_i32 s11, s10, 31
	s_barrier_wait -1
                                        ; implicit-def: $vgpr51
                                        ; implicit-def: $vgpr57
	v_cmpx_le_i32_e64 s9, v1
	s_xor_b32 s4, exec_lo, s4
; %bb.6:
	v_dual_mov_b32 v51, 0 :: v_dual_mov_b32 v57, 32
	v_mbcnt_lo_u32_b32 v56, -1, 0
                                        ; implicit-def: $vgpr54
; %bb.7:
	s_or_saveexec_b32 s24, s4
	s_load_b64 s[12:13], s[0:1], 0x28
	v_mov_b32_e32 v50, 0xff7fffff
	v_lshrrev_b32_e32 v68, 3, v0
	s_mul_i32 s14, s3, s6
	s_xor_b32 exec_lo, exec_lo, s24
	s_cbranch_execz .LBB16_13
; %bb.8:
	s_load_b64 s[26:27], s[0:1], 0x10
	v_bfe_u32 v55, v0, 2, 3
	v_dual_mov_b32 v51, 0 :: v_dual_bitop2_b32 v44, 2, v56 bitop3:0x14
	s_ashr_i32 s15, s14, 31
	s_delay_alu instid0(VALU_DEP_2) | instskip(SKIP_1) | instid1(VALU_DEP_2)
	v_dual_lshlrev_b32 v60, 2, v55 :: v_dual_bitop2_b32 v45, 1, v56 bitop3:0x14
	s_lshl_b64 s[28:29], s[14:15], 2
	v_cmp_gt_i32_e32 vcc_lo, 32, v44
	v_lshlrev_b32_e32 v50, 4, v55
	v_mul_u32_u24_e32 v46, 0xc0, v54
	ds_load_b128 v[2:5], v46
	ds_load_b128 v[6:9], v46 offset:16
	ds_load_b128 v[10:13], v46 offset:32
	;; [unrolled: 1-line block ×5, first 2 shown]
	v_cndmask_b32_e32 v58, v56, v44, vcc_lo
	v_cmp_gt_i32_e32 vcc_lo, 32, v45
	ds_load_b128 v[26:29], v46 offset:96
	ds_load_b128 v[30:33], v46 offset:112
	;; [unrolled: 1-line block ×4, first 2 shown]
	s_wait_kmcnt 0x0
	s_add_nc_u64 s[26:27], s[26:27], s[28:29]
	s_ashr_i32 s17, s5, 31
	v_add_nc_u64_e32 v[42:43], s[26:27], v[50:51]
	v_dual_cndmask_b32 v59, v56, v45 :: v_dual_lshlrev_b32 v50, 2, v54
	s_cmp_neq_f32 s23, 0
	v_cmp_eq_u32_e32 vcc_lo, 0, v54
	v_lshl_or_b32 v54, v1, 5, v60
	v_lshl_or_b32 v60, v1, 3, v55
	v_add_nc_u64_e32 v[52:53], v[42:43], v[50:51]
	ds_load_b128 v[42:45], v46 offset:160
	ds_load_b128 v[46:49], v46 offset:176
	v_and_b32_e32 v50, 0x7c, v68
	s_cselect_b32 s3, -1, 0
	s_lshl_b64 s[26:27], s[10:11], 2
	v_dual_mov_b32 v62, v1 :: v_dual_add_nc_u32 v61, 0x320, v54
	s_add_nc_u64 s[26:27], s[12:13], s[26:27]
	v_dual_mov_b32 v57, 32 :: v_dual_lshlrev_b32 v58, 2, v58
	v_add_nc_u64_e32 v[54:55], s[26:27], v[50:51]
	v_dual_mov_b32 v50, 0xff7fffff :: v_dual_lshlrev_b32 v59, 2, v59
	s_mov_b32 s16, s5
	s_mov_b32 s6, 0
	s_sub_co_i32 s15, 1, s22
	s_branch .LBB16_10
.LBB16_9:                               ;   in Loop: Header=BB16_10 Depth=1
	s_or_b32 exec_lo, exec_lo, s25
	v_dual_add_nc_u32 v62, 4, v62 :: v_dual_add_nc_u32 v60, 32, v60
	v_add_nc_u64_e32 v[54:55], 16, v[54:55]
	v_add_nc_u32_e32 v61, 0x80, v61
	s_delay_alu instid0(VALU_DEP_3) | instskip(SKIP_1) | instid1(SALU_CYCLE_1)
	v_cmp_le_i32_e64 s4, s9, v62
	s_or_b32 s6, s4, s6
	s_and_not1_b32 exec_lo, exec_lo, s6
	s_cbranch_execz .LBB16_12
.LBB16_10:                              ; =>This Inner Loop Header: Depth=1
	s_wait_dscnt 0x0
	global_load_b32 v64, v[54:55], off
	s_wait_loadcnt 0x0
	v_ashrrev_i32_e32 v65, 31, v64
	s_delay_alu instid0(VALU_DEP_1) | instskip(NEXT) | instid1(VALU_DEP_1)
	v_mul_u64_e32 v[64:65], s[16:17], v[64:65]
	v_lshl_add_u64 v[64:65], v[64:65], 2, v[52:53]
	s_clause 0x2f
	global_load_b32 v63, v[64:65], off offset:128
	global_load_b32 v66, v[64:65], off offset:256
	;; [unrolled: 1-line block ×7, first 2 shown]
	global_load_b32 v73, v[64:65], off
	global_load_b32 v74, v[64:65], off offset:1024
	global_load_b32 v75, v[64:65], off offset:1152
	;; [unrolled: 1-line block ×40, first 2 shown]
	s_wait_loadcnt_dscnt 0x2f0b
	v_mul_f32_e32 v63, v3, v63
	s_wait_loadcnt 0x28
	s_delay_alu instid0(VALU_DEP_1) | instskip(NEXT) | instid1(VALU_DEP_1)
	v_fmac_f32_e32 v63, v2, v73
	v_fmac_f32_e32 v63, v4, v66
	s_delay_alu instid0(VALU_DEP_1) | instskip(SKIP_1) | instid1(VALU_DEP_1)
	v_fmac_f32_e32 v63, v5, v67
	s_wait_dscnt 0xa
	v_fmac_f32_e32 v63, v6, v69
	s_delay_alu instid0(VALU_DEP_1) | instskip(NEXT) | instid1(VALU_DEP_1)
	v_fmac_f32_e32 v63, v7, v70
	v_fmac_f32_e32 v63, v8, v71
	s_delay_alu instid0(VALU_DEP_1) | instskip(SKIP_1) | instid1(VALU_DEP_1)
	v_fmac_f32_e32 v63, v9, v72
	s_wait_loadcnt_dscnt 0x2709
	v_fmac_f32_e32 v63, v10, v74
	s_wait_loadcnt 0x26
	s_delay_alu instid0(VALU_DEP_1) | instskip(SKIP_1) | instid1(VALU_DEP_1)
	v_fmac_f32_e32 v63, v11, v75
	s_wait_loadcnt 0x25
	v_fmac_f32_e32 v63, v12, v76
	s_wait_loadcnt 0x24
	s_delay_alu instid0(VALU_DEP_1) | instskip(SKIP_1) | instid1(VALU_DEP_1)
	v_fmac_f32_e32 v63, v13, v77
	s_wait_loadcnt_dscnt 0x2308
	v_fmac_f32_e32 v63, v14, v78
	s_wait_loadcnt 0x22
	s_delay_alu instid0(VALU_DEP_1) | instskip(SKIP_1) | instid1(VALU_DEP_1)
	v_fmac_f32_e32 v63, v15, v79
	s_wait_loadcnt 0x21
	v_fmac_f32_e32 v63, v16, v80
	s_wait_loadcnt 0x20
	;; [unrolled: 10-line block ×10, first 2 shown]
	s_delay_alu instid0(VALU_DEP_1)
	v_fmac_f32_e32 v63, v49, v64
	s_wait_xcnt 0x0
	ds_bpermute_b32 v64, v58, v63
	s_wait_dscnt 0x0
	v_add_f32_e32 v63, v63, v64
	ds_bpermute_b32 v64, v59, v63
	s_and_saveexec_b32 s25, vcc_lo
	s_cbranch_execz .LBB16_9
; %bb.11:                               ;   in Loop: Header=BB16_10 Depth=1
	s_wait_dscnt 0x0
	v_add_f32_e32 v63, v63, v64
	v_add_nc_u32_e32 v65, s15, v60
	v_cmp_gt_i32_e64 s4, s22, v60
	s_delay_alu instid0(VALU_DEP_2) | instskip(NEXT) | instid1(VALU_DEP_1)
	v_cvt_f32_i32_e32 v65, v65
	v_mul_f32_e32 v65, s23, v65
	s_delay_alu instid0(VALU_DEP_1) | instskip(NEXT) | instid1(VALU_DEP_1)
	v_dual_cndmask_b32 v64, 0, v65, s3 :: v_dual_max_num_f32 v65, v50, v50
	v_fmac_f32_e32 v64, s7, v63
	s_delay_alu instid0(VALU_DEP_1) | instskip(NEXT) | instid1(VALU_DEP_1)
	v_dual_max_num_f32 v63, v65, v64 :: v_dual_cndmask_b32 v64, 0, v64, s4
	v_cndmask_b32_e64 v50, v50, v63, s4
	ds_store_b32 v61, v64
	s_branch .LBB16_9
.LBB16_12:
	s_or_b32 exec_lo, exec_lo, s6
.LBB16_13:
	s_delay_alu instid0(SALU_CYCLE_1)
	s_or_b32 exec_lo, exec_lo, s24
	v_dual_max_num_f32 v5, v50, v50 :: v_dual_bitop2_b32 v2, 16, v56 bitop3:0x14
	s_clause 0x1
	s_load_b64 s[6:7], s[0:1], 0x0
	s_load_b64 s[16:17], s[0:1], 0x18
	v_and_b32_e32 v70, 31, v0
	v_xor_b32_e32 v4, 8, v56
	v_cmp_lt_i32_e32 vcc_lo, v2, v57
	v_cndmask_b32_e32 v2, v56, v2, vcc_lo
	s_delay_alu instid0(VALU_DEP_3) | instskip(NEXT) | instid1(VALU_DEP_2)
	v_cmp_lt_i32_e32 vcc_lo, v4, v57
	v_dual_lshlrev_b32 v2, 2, v2 :: v_dual_cndmask_b32 v4, v56, v4, vcc_lo
	ds_bpermute_b32 v3, v2, v50
	s_wait_dscnt 0x0
	v_dual_max_num_f32 v6, v3, v3 :: v_dual_lshlrev_b32 v3, 2, v4
	s_delay_alu instid0(VALU_DEP_1) | instskip(SKIP_4) | instid1(VALU_DEP_1)
	v_dual_max_num_f32 v4, v5, v6 :: v_dual_bitop2_b32 v6, 4, v56 bitop3:0x14
	ds_bpermute_b32 v5, v3, v4
	v_cmp_lt_i32_e32 vcc_lo, v6, v57
	v_cndmask_b32_e32 v6, v56, v6, vcc_lo
	s_wait_dscnt 0x0
	v_dual_max_num_f32 v5, v5, v5 :: v_dual_lshlrev_b32 v6, 2, v6
	s_delay_alu instid0(VALU_DEP_1)
	v_max_num_f32_e32 v5, v4, v5
	v_lshlrev_b32_e32 v4, 2, v1
	v_cmp_eq_u32_e32 vcc_lo, 0, v70
	ds_bpermute_b32 v7, v6, v5
	s_wait_xcnt 0x0
	s_and_saveexec_b32 s0, vcc_lo
	s_cbranch_execz .LBB16_15
; %bb.14:
	s_wait_dscnt 0x0
	v_dual_max_num_f32 v7, v7, v7 :: v_dual_max_num_f32 v5, v5, v5
	s_delay_alu instid0(VALU_DEP_1)
	v_max_num_f32_e32 v5, v5, v7
	ds_store_b32 v4, v5 offset:768
.LBB16_15:
	s_or_b32 exec_lo, exec_lo, s0
	v_cmp_gt_u32_e64 s0, 4, v70
	v_dual_mov_b32 v8, 0xff7fffff :: v_dual_lshlrev_b32 v5, 2, v70
	s_wait_dscnt 0x0
	s_barrier_signal -1
	s_barrier_wait -1
	s_and_saveexec_b32 s1, s0
; %bb.16:
	ds_load_b32 v8, v5 offset:768
; %bb.17:
	s_or_b32 exec_lo, exec_lo, s1
	v_xor_b32_e32 v10, 1, v56
	v_xor_b32_e32 v7, 2, v56
	s_delay_alu instid0(VALU_DEP_1) | instskip(NEXT) | instid1(VALU_DEP_1)
	v_cmp_lt_i32_e64 s1, v7, v57
	v_cndmask_b32_e64 v7, v56, v7, s1
	s_delay_alu instid0(VALU_DEP_1) | instskip(SKIP_4) | instid1(VALU_DEP_1)
	v_lshlrev_b32_e32 v7, 2, v7
	s_wait_dscnt 0x0
	ds_bpermute_b32 v9, v7, v8
	s_wait_dscnt 0x0
	v_dual_max_num_f32 v8, v8, v8 :: v_dual_max_num_f32 v9, v9, v9
	v_max_num_f32_e32 v8, v8, v9
	v_cmp_lt_i32_e64 s1, v10, v57
	s_delay_alu instid0(VALU_DEP_1) | instskip(SKIP_1) | instid1(SALU_CYCLE_1)
	v_cndmask_b32_e64 v10, v56, v10, s1
	s_lshl_b32 s1, s9, 3
	s_min_i32 s4, s1, s22
	s_delay_alu instid0(VALU_DEP_1) | instskip(SKIP_4) | instid1(VALU_DEP_1)
	v_lshlrev_b32_e32 v71, 2, v10
	v_cmp_gt_i32_e64 s1, s4, v0
	ds_bpermute_b32 v9, v71, v8
	s_wait_dscnt 0x0
	v_max_num_f32_e32 v9, v9, v9
	v_dual_max_num_f32 v8, v8, v9 :: v_dual_lshlrev_b32 v9, 2, v51
	ds_bpermute_b32 v9, v9, v8
	v_mov_b32_e32 v8, 0
	s_and_saveexec_b32 s15, s1
	s_cbranch_execz .LBB16_21
; %bb.18:
	v_lshl_add_u32 v10, v0, 2, 0x320
	v_dual_mov_b32 v8, 0 :: v_dual_mov_b32 v11, v0
	s_mov_b32 s23, 0
.LBB16_19:                              ; =>This Inner Loop Header: Depth=1
	ds_load_b32 v12, v10
	v_add_nc_u32_e32 v11, 0x80, v11
	s_delay_alu instid0(VALU_DEP_1) | instskip(SKIP_3) | instid1(VALU_DEP_1)
	v_cmp_le_i32_e64 s3, s4, v11
	s_or_b32 s23, s3, s23
	s_wait_dscnt 0x0
	v_sub_f32_e32 v12, v12, v9
	v_mul_f32_e32 v12, 0x3fb8aa3b, v12
	s_delay_alu instid0(VALU_DEP_1)
	v_exp_f32_e32 v12, v12
	ds_store_b32 v10, v12
	v_nop
	v_add_f32_e32 v8, v8, v12
	v_add_nc_u32_e32 v10, 0x200, v10
	s_and_not1_b32 exec_lo, exec_lo, s23
	s_cbranch_execnz .LBB16_19
; %bb.20:
	s_or_b32 exec_lo, exec_lo, s23
.LBB16_21:
	s_delay_alu instid0(SALU_CYCLE_1)
	s_or_b32 exec_lo, exec_lo, s15
	ds_bpermute_b32 v2, v2, v8
	s_wait_dscnt 0x0
	v_add_f32_e32 v2, v8, v2
	ds_bpermute_b32 v3, v3, v2
	s_wait_dscnt 0x0
	v_add_f32_e32 v2, v2, v3
	;; [unrolled: 3-line block ×5, first 2 shown]
	s_and_saveexec_b32 s3, vcc_lo
; %bb.22:
	ds_store_b32 v4, v2 offset:784
; %bb.23:
	s_or_b32 exec_lo, exec_lo, s3
	s_wait_dscnt 0x0
	s_barrier_signal -1
	s_barrier_wait -1
	s_and_saveexec_b32 s3, s0
; %bb.24:
	ds_load_b32 v2, v5 offset:784
; %bb.25:
	s_or_b32 exec_lo, exec_lo, s3
	s_wait_dscnt 0x0
	ds_bpermute_b32 v3, v7, v2
	s_wait_dscnt 0x0
	v_dual_lshlrev_b32 v4, 2, v56 :: v_dual_add_f32 v2, v2, v3
	ds_bpermute_b32 v3, v71, v2
	s_wait_dscnt 0x0
	v_add_f32_e32 v2, v2, v3
	v_and_b32_e32 v3, 0xffffff80, v4
	ds_bpermute_b32 v2, v3, v2
	s_and_saveexec_b32 s0, s1
	s_cbranch_execz .LBB16_38
; %bb.26:
	s_wait_dscnt 0x0
	v_add_f32_e32 v2, 0x358637bd, v2
	s_mov_b32 s3, -1
	s_mov_b32 s1, exec_lo
	s_delay_alu instid0(VALU_DEP_1) | instskip(NEXT) | instid1(VALU_DEP_1)
	v_div_scale_f32 v3, null, v2, v2, 1.0
	v_rcp_f32_e32 v5, v3
	v_nop
	s_delay_alu instid0(TRANS32_DEP_1) | instskip(NEXT) | instid1(VALU_DEP_1)
	v_fma_f32 v4, -v3, v5, 1.0
	v_fmac_f32_e32 v5, v4, v5
	v_div_scale_f32 v6, vcc_lo, 1.0, v2, 1.0
	s_delay_alu instid0(VALU_DEP_1) | instskip(NEXT) | instid1(VALU_DEP_1)
	v_mul_f32_e32 v7, v6, v5
	v_fma_f32 v4, -v3, v7, v6
	s_delay_alu instid0(VALU_DEP_1) | instskip(SKIP_1) | instid1(VALU_DEP_2)
	v_fmac_f32_e32 v7, v4, v5
	v_xad_u32 v4, v0, -1, s4
	v_fma_f32 v3, -v3, v7, v6
	s_delay_alu instid0(VALU_DEP_1) | instskip(NEXT) | instid1(VALU_DEP_1)
	v_div_fmas_f32 v3, v3, v5, v7
	v_div_fixup_f32 v2, v3, v2, 1.0
	v_mov_b32_e32 v3, v0
	v_cmpx_lt_u32_e32 0x7f, v4
	s_cbranch_execz .LBB16_35
; %bb.27:
	s_delay_alu instid0(VALU_DEP_3) | instskip(NEXT) | instid1(VALU_DEP_1)
	v_dual_mov_b32 v3, v2 :: v_dual_lshrrev_b32 v4, 7, v4
	v_dual_mov_b32 v8, 0 :: v_dual_add_nc_u32 v5, -1, v4
	s_delay_alu instid0(VALU_DEP_1) | instskip(SKIP_1) | instid1(VALU_DEP_2)
	v_lshrrev_b32_e32 v6, 1, v5
	v_cmp_lt_u32_e32 vcc_lo, 13, v5
	v_add_nc_u32_e32 v5, 1, v6
	s_and_saveexec_b32 s3, vcc_lo
	s_cbranch_execz .LBB16_31
; %bb.28:
	s_delay_alu instid0(VALU_DEP_1)
	v_and_b32_e32 v6, -8, v5
	v_lshl_add_u32 v7, v0, 2, 0x320
	s_mov_b32 s15, 0
	s_mov_b32 s23, 0
.LBB16_29:                              ; =>This Inner Loop Header: Depth=1
	ds_load_2addr_stride64_b32 v[8:9], v7 offset1:2
	ds_load_2addr_stride64_b32 v[10:11], v7 offset0:4 offset1:6
	ds_load_2addr_stride64_b32 v[12:13], v7 offset0:8 offset1:10
	;; [unrolled: 1-line block ×7, first 2 shown]
	s_add_co_i32 s23, s23, 16
	v_add_nc_u32_e32 v6, -8, v6
	s_wait_dscnt 0x7
	v_pk_mul_f32 v[8:9], v[2:3], v[8:9]
	s_wait_dscnt 0x6
	v_pk_mul_f32 v[10:11], v[2:3], v[10:11]
	;; [unrolled: 2-line block ×8, first 2 shown]
	ds_store_2addr_stride64_b32 v7, v8, v9 offset1:2
	ds_store_2addr_stride64_b32 v7, v10, v11 offset0:4 offset1:6
	ds_store_2addr_stride64_b32 v7, v12, v13 offset0:8 offset1:10
	;; [unrolled: 1-line block ×7, first 2 shown]
	v_mov_b32_e32 v8, s23
	v_cmp_eq_u32_e32 vcc_lo, 0, v6
	v_add_nc_u32_e32 v7, 0x2000, v7
	s_or_b32 s15, vcc_lo, s15
	s_delay_alu instid0(SALU_CYCLE_1)
	s_and_not1_b32 exec_lo, exec_lo, s15
	s_cbranch_execnz .LBB16_29
; %bb.30:
	s_or_b32 exec_lo, exec_lo, s15
.LBB16_31:
	s_delay_alu instid0(SALU_CYCLE_1) | instskip(NEXT) | instid1(VALU_DEP_1)
	s_or_b32 exec_lo, exec_lo, s3
	v_and_b32_e32 v5, 7, v5
	s_mov_b32 s15, 0
	s_mov_b32 s3, exec_lo
	s_delay_alu instid0(VALU_DEP_1)
	v_cmpx_ne_u32_e32 0, v5
	s_cbranch_execz .LBB16_34
; %bb.32:
	v_lshlrev_b32_e32 v6, 9, v8
	v_lshlrev_b32_e32 v7, 2, v0
	s_delay_alu instid0(VALU_DEP_1)
	v_add3_u32 v6, v6, v7, 0x320
.LBB16_33:                              ; =>This Inner Loop Header: Depth=1
	ds_load_2addr_stride64_b32 v[8:9], v6 offset1:2
	v_add_nc_u32_e32 v5, -1, v5
	s_delay_alu instid0(VALU_DEP_1)
	v_cmp_eq_u32_e32 vcc_lo, 0, v5
	s_or_b32 s15, vcc_lo, s15
	s_wait_dscnt 0x0
	v_pk_mul_f32 v[8:9], v[2:3], v[8:9]
	ds_store_2addr_stride64_b32 v6, v8, v9 offset1:2
	v_add_nc_u32_e32 v6, 0x400, v6
	s_and_not1_b32 exec_lo, exec_lo, s15
	s_cbranch_execnz .LBB16_33
.LBB16_34:
	s_or_b32 exec_lo, exec_lo, s3
	v_add_nc_u32_e32 v3, 1, v4
	s_delay_alu instid0(VALU_DEP_1) | instskip(NEXT) | instid1(VALU_DEP_1)
	v_and_b32_e32 v4, 0x3fffffe, v3
	v_cmp_ne_u32_e32 vcc_lo, v3, v4
	v_lshl_add_u32 v3, v4, 7, v0
	s_or_not1_b32 s3, vcc_lo, exec_lo
.LBB16_35:
	s_or_b32 exec_lo, exec_lo, s1
	s_delay_alu instid0(SALU_CYCLE_1)
	s_and_b32 exec_lo, exec_lo, s3
	s_cbranch_execz .LBB16_38
; %bb.36:
	v_lshl_add_u32 v4, v3, 2, 0x320
	s_mov_b32 s1, 0
.LBB16_37:                              ; =>This Inner Loop Header: Depth=1
	ds_load_b32 v5, v4
	v_add_nc_u32_e32 v3, 0x80, v3
	s_delay_alu instid0(VALU_DEP_1)
	v_cmp_le_i32_e32 vcc_lo, s4, v3
	s_or_b32 s1, vcc_lo, s1
	s_wait_dscnt 0x0
	v_mul_f32_e32 v5, v2, v5
	ds_store_b32 v4, v5
	v_add_nc_u32_e32 v4, 0x200, v4
	s_and_not1_b32 exec_lo, exec_lo, s1
	s_cbranch_execnz .LBB16_37
.LBB16_38:
	s_or_b32 exec_lo, exec_lo, s0
	v_dual_mov_b32 v55, 0 :: v_dual_bitop2_b32 v72, 1, v0 bitop3:0x40
	s_wait_dscnt 0x0
	s_barrier_signal -1
	s_barrier_wait -1
	s_delay_alu instid0(VALU_DEP_1)
	v_dual_mov_b32 v54, v55 :: v_dual_mov_b32 v57, v55
	v_dual_mov_b32 v56, v55 :: v_dual_mov_b32 v59, v55
	;; [unrolled: 1-line block ×5, first 2 shown]
	v_mov_b32_e32 v64, v55
	s_and_saveexec_b32 s1, s2
	s_cbranch_execz .LBB16_66
; %bb.39:
	v_dual_lshlrev_b32 v2, 2, v0 :: v_dual_lshlrev_b32 v3, 4, v0
	s_ashr_i32 s15, s14, 31
	s_ashr_i32 s3, s5, 31
	s_lshl_b64 s[14:15], s[14:15], 2
	s_delay_alu instid0(VALU_DEP_1)
	v_dual_mov_b32 v55, 0 :: v_dual_bitop2_b32 v2, 4, v2 bitop3:0x40
	v_and_b32_e32 v54, 0x1f0, v3
	s_wait_kmcnt 0x0
	s_add_nc_u64 s[14:15], s[16:17], s[14:15]
	v_lshlrev_b32_e32 v3, 4, v72
	s_mov_b32 s2, s5
	s_lshl_b64 s[4:5], s[10:11], 2
	v_add_nc_u64_e32 v[66:67], s[14:15], v[54:55]
	v_and_b32_e32 v54, 0x7c, v68
	s_add_nc_u64 s[4:5], s[12:13], s[4:5]
	v_lshl_or_b32 v73, v1, 3, v2
	v_dual_mov_b32 v56, v55 :: v_dual_mov_b32 v59, v55
	s_delay_alu instid0(VALU_DEP_3) | instskip(SKIP_4) | instid1(VALU_DEP_3)
	v_add_nc_u64_e32 v[68:69], s[4:5], v[54:55]
	v_mov_b32_e32 v54, v55
	v_lshl_or_b32 v3, v1, 5, v3
	v_dual_mov_b32 v57, v55 :: v_dual_mov_b32 v58, v55
	v_dual_mov_b32 v61, v55 :: v_dual_mov_b32 v60, v55
	v_dual_mov_b32 v63, v55 :: v_dual_add_nc_u32 v74, 0x320, v3
	v_dual_mov_b32 v62, v55 :: v_dual_mov_b32 v65, v55
	v_dual_mov_b32 v64, v55 :: v_dual_mov_b32 v75, v1
	s_add_co_i32 s4, s9, -1
	s_mov_b32 s10, s22
	s_mov_b32 s5, 0
	s_branch .LBB16_41
.LBB16_40:                              ;   in Loop: Header=BB16_41 Depth=1
	s_or_b32 exec_lo, exec_lo, s0
	s_wait_loadcnt_dscnt 0x200
	v_mul_f32_e32 v42, v6, v42
	s_wait_loadcnt 0x1
	v_mul_f32_e32 v50, v6, v50
	v_add_nc_u64_e32 v[68:69], 16, v[68:69]
	v_add_nc_u32_e32 v74, 0x80, v74
	v_dual_mul_f32 v14, v6, v14 :: v_dual_fmac_f32 v42, v7, v43
	s_delay_alu instid0(VALU_DEP_4) | instskip(SKIP_1) | instid1(VALU_DEP_3)
	v_dual_fmac_f32 v50, v7, v51 :: v_dual_mul_f32 v38, v6, v38
	v_mul_f32_e32 v30, v6, v30
	v_dual_mul_f32 v10, v6, v10 :: v_dual_fmac_f32 v42, v8, v44
	s_delay_alu instid0(VALU_DEP_3) | instskip(NEXT) | instid1(VALU_DEP_4)
	v_dual_fmac_f32 v50, v8, v52 :: v_dual_mul_f32 v34, v6, v34
	v_dual_fmac_f32 v38, v7, v39 :: v_dual_mul_f32 v26, v6, v26
	v_dual_mul_f32 v22, v6, v22 :: v_dual_add_nc_u32 v75, 4, v75
	s_delay_alu instid0(VALU_DEP_3) | instskip(NEXT) | instid1(VALU_DEP_3)
	v_fmac_f32_e32 v34, v7, v35
	v_fmac_f32_e32 v38, v8, v40
	s_delay_alu instid0(VALU_DEP_4) | instskip(NEXT) | instid1(VALU_DEP_4)
	v_dual_fmac_f32 v26, v7, v27 :: v_dual_add_nc_u32 v73, 32, v73
	v_cmp_le_i32_e32 vcc_lo, s9, v75
	s_delay_alu instid0(VALU_DEP_4) | instskip(SKIP_1) | instid1(VALU_DEP_1)
	v_fmac_f32_e32 v34, v8, v36
	s_or_b32 s5, vcc_lo, s5
	v_fmac_f32_e32 v34, v9, v37
	s_delay_alu instid0(VALU_DEP_1) | instskip(NEXT) | instid1(VALU_DEP_1)
	v_dual_fmac_f32 v38, v9, v41 :: v_dual_add_f32 v59, v59, v34
	v_dual_fmac_f32 v50, v9, v53 :: v_dual_add_f32 v56, v56, v38
	s_delay_alu instid0(VALU_DEP_1) | instskip(NEXT) | instid1(VALU_DEP_1)
	v_dual_fmac_f32 v42, v9, v45 :: v_dual_add_f32 v54, v54, v50
	v_dual_fmac_f32 v30, v7, v31 :: v_dual_add_f32 v57, v57, v42
	s_delay_alu instid0(VALU_DEP_1) | instskip(NEXT) | instid1(VALU_DEP_1)
	v_fmac_f32_e32 v30, v8, v32
	v_fmac_f32_e32 v30, v9, v33
	v_dual_fmac_f32 v22, v7, v23 :: v_dual_mul_f32 v23, v6, v18
	s_delay_alu instid0(VALU_DEP_2) | instskip(NEXT) | instid1(VALU_DEP_2)
	v_dual_fmac_f32 v26, v8, v28 :: v_dual_add_f32 v58, v58, v30
	v_dual_fmac_f32 v22, v8, v24 :: v_dual_fmac_f32 v23, v7, v19
	s_delay_alu instid0(VALU_DEP_2) | instskip(SKIP_2) | instid1(VALU_DEP_3)
	v_fmac_f32_e32 v26, v9, v29
	s_wait_loadcnt 0x0
	v_pk_mul_f32 v[18:19], v[6:7], v[46:47]
	v_dual_fmac_f32 v22, v9, v25 :: v_dual_fmac_f32 v23, v8, v20
	s_delay_alu instid0(VALU_DEP_3) | instskip(NEXT) | instid1(VALU_DEP_2)
	v_dual_fmac_f32 v14, v7, v15 :: v_dual_add_f32 v61, v61, v26
	v_add_f32_e32 v60, v60, v22
	s_delay_alu instid0(VALU_DEP_3) | instskip(NEXT) | instid1(VALU_DEP_3)
	v_dual_mul_f32 v22, v6, v2 :: v_dual_fmac_f32 v23, v9, v21
	v_dual_fmac_f32 v14, v8, v16 :: v_dual_add_f32 v6, v19, v18
	s_delay_alu instid0(VALU_DEP_1) | instskip(NEXT) | instid1(VALU_DEP_3)
	v_dual_add_f32 v63, v63, v23 :: v_dual_fmac_f32 v14, v9, v17
	v_fmac_f32_e32 v22, v7, v3
	v_pk_mul_f32 v[2:3], v[8:9], v[48:49]
	s_delay_alu instid0(VALU_DEP_3) | instskip(NEXT) | instid1(VALU_DEP_2)
	v_dual_fmac_f32 v10, v7, v11 :: v_dual_add_f32 v62, v62, v14
	v_dual_fmac_f32 v22, v8, v4 :: v_dual_add_f32 v2, v2, v6
	s_delay_alu instid0(VALU_DEP_2) | instskip(NEXT) | instid1(VALU_DEP_2)
	v_fmac_f32_e32 v10, v8, v12
	v_dual_fmac_f32 v22, v9, v5 :: v_dual_add_f32 v2, v3, v2
	s_delay_alu instid0(VALU_DEP_1) | instskip(NEXT) | instid1(VALU_DEP_2)
	v_dual_fmac_f32 v10, v9, v13 :: v_dual_add_f32 v64, v64, v22
	v_add_f32_e32 v55, v55, v2
	s_delay_alu instid0(VALU_DEP_2)
	v_add_f32_e32 v65, v65, v10
	s_and_not1_b32 exec_lo, exec_lo, s5
	s_cbranch_execz .LBB16_65
.LBB16_41:                              ; =>This Inner Loop Header: Depth=1
	global_load_b32 v2, v[68:69], off
	ds_load_b128 v[6:9], v74
	v_cmp_eq_u32_e32 vcc_lo, s4, v75
	v_or_b32_e32 v77, 3, v73
	v_dual_add_nc_u32 v78, 1, v73 :: v_dual_bitop2_b32 v76, 2, v73 bitop3:0x54
	s_wait_loadcnt 0x0
	v_ashrrev_i32_e32 v3, 31, v2
	s_delay_alu instid0(VALU_DEP_1) | instskip(NEXT) | instid1(VALU_DEP_1)
	v_mul_u64_e32 v[2:3], s[2:3], v[2:3]
	v_lshl_add_u64 v[46:47], v[2:3], 2, v[66:67]
	global_load_b128 v[2:5], v[46:47], off
	s_wait_xcnt 0x0
	s_and_saveexec_b32 s11, vcc_lo
	s_cbranch_execnz .LBB16_53
; %bb.42:                               ;   in Loop: Header=BB16_41 Depth=1
	s_or_b32 exec_lo, exec_lo, s11
	global_load_b128 v[10:13], v[46:47], off offset:512
	s_wait_xcnt 0x0
	s_and_saveexec_b32 s11, vcc_lo
	s_cbranch_execnz .LBB16_54
.LBB16_43:                              ;   in Loop: Header=BB16_41 Depth=1
	s_or_b32 exec_lo, exec_lo, s11
	global_load_b128 v[14:17], v[46:47], off offset:1024
	s_wait_xcnt 0x0
	s_and_saveexec_b32 s11, vcc_lo
	s_cbranch_execnz .LBB16_55
.LBB16_44:                              ;   in Loop: Header=BB16_41 Depth=1
	s_or_b32 exec_lo, exec_lo, s11
	global_load_b128 v[18:21], v[46:47], off offset:1536
	s_wait_xcnt 0x0
	s_and_saveexec_b32 s11, vcc_lo
	s_cbranch_execnz .LBB16_56
.LBB16_45:                              ;   in Loop: Header=BB16_41 Depth=1
	s_or_b32 exec_lo, exec_lo, s11
	global_load_b128 v[22:25], v[46:47], off offset:2048
	s_wait_xcnt 0x0
	s_and_saveexec_b32 s11, vcc_lo
	s_cbranch_execnz .LBB16_57
.LBB16_46:                              ;   in Loop: Header=BB16_41 Depth=1
	s_or_b32 exec_lo, exec_lo, s11
	global_load_b128 v[26:29], v[46:47], off offset:2560
	s_wait_xcnt 0x0
	s_and_saveexec_b32 s11, vcc_lo
	s_cbranch_execnz .LBB16_58
.LBB16_47:                              ;   in Loop: Header=BB16_41 Depth=1
	s_or_b32 exec_lo, exec_lo, s11
	global_load_b128 v[30:33], v[46:47], off offset:3072
	s_wait_xcnt 0x0
	s_and_saveexec_b32 s11, vcc_lo
	s_cbranch_execnz .LBB16_59
.LBB16_48:                              ;   in Loop: Header=BB16_41 Depth=1
	s_or_b32 exec_lo, exec_lo, s11
	global_load_b128 v[34:37], v[46:47], off offset:3584
	s_wait_xcnt 0x0
	s_and_saveexec_b32 s11, vcc_lo
	s_cbranch_execnz .LBB16_60
.LBB16_49:                              ;   in Loop: Header=BB16_41 Depth=1
	s_or_b32 exec_lo, exec_lo, s11
	global_load_b128 v[38:41], v[46:47], off offset:4096
	s_wait_xcnt 0x0
	s_and_saveexec_b32 s11, vcc_lo
	s_cbranch_execnz .LBB16_61
.LBB16_50:                              ;   in Loop: Header=BB16_41 Depth=1
	s_or_b32 exec_lo, exec_lo, s11
	global_load_b128 v[42:45], v[46:47], off offset:4608
	s_wait_xcnt 0x0
	s_and_saveexec_b32 s11, vcc_lo
	s_cbranch_execnz .LBB16_62
.LBB16_51:                              ;   in Loop: Header=BB16_41 Depth=1
	s_or_b32 exec_lo, exec_lo, s11
	global_load_b128 v[50:53], v[46:47], off offset:5120
	s_wait_xcnt 0x0
	s_and_saveexec_b32 s11, vcc_lo
	s_cbranch_execnz .LBB16_63
.LBB16_52:                              ;   in Loop: Header=BB16_41 Depth=1
	s_or_b32 exec_lo, exec_lo, s11
	global_load_b128 v[46:49], v[46:47], off offset:5632
	s_wait_xcnt 0x0
	s_and_saveexec_b32 s0, vcc_lo
	s_cbranch_execz .LBB16_40
	s_branch .LBB16_64
.LBB16_53:                              ;   in Loop: Header=BB16_41 Depth=1
	v_cmp_gt_i32_e64 s0, s10, v78
	s_wait_loadcnt 0x0
	s_delay_alu instid0(VALU_DEP_1) | instskip(SKIP_1) | instid1(VALU_DEP_1)
	v_cndmask_b32_e64 v3, 0, v3, s0
	v_cmp_gt_i32_e64 s0, s22, v73
	v_cndmask_b32_e64 v2, 0, v2, s0
	v_cmp_gt_i32_e64 s0, s10, v77
	s_delay_alu instid0(VALU_DEP_1) | instskip(SKIP_1) | instid1(VALU_DEP_1)
	v_cndmask_b32_e64 v5, 0, v5, s0
	v_cmp_gt_i32_e64 s0, s22, v76
	v_cndmask_b32_e64 v4, 0, v4, s0
	s_or_b32 exec_lo, exec_lo, s11
	global_load_b128 v[10:13], v[46:47], off offset:512
	s_wait_xcnt 0x0
	s_and_saveexec_b32 s11, vcc_lo
	s_cbranch_execz .LBB16_43
.LBB16_54:                              ;   in Loop: Header=BB16_41 Depth=1
	v_cmp_gt_i32_e64 s0, s10, v78
	s_wait_loadcnt 0x0
	s_delay_alu instid0(VALU_DEP_1) | instskip(SKIP_1) | instid1(VALU_DEP_1)
	v_cndmask_b32_e64 v11, 0, v11, s0
	v_cmp_gt_i32_e64 s0, s22, v73
	v_cndmask_b32_e64 v10, 0, v10, s0
	v_cmp_gt_i32_e64 s0, s10, v77
	s_delay_alu instid0(VALU_DEP_1) | instskip(SKIP_1) | instid1(VALU_DEP_1)
	v_cndmask_b32_e64 v13, 0, v13, s0
	v_cmp_gt_i32_e64 s0, s22, v76
	v_cndmask_b32_e64 v12, 0, v12, s0
	s_or_b32 exec_lo, exec_lo, s11
	global_load_b128 v[14:17], v[46:47], off offset:1024
	s_wait_xcnt 0x0
	s_and_saveexec_b32 s11, vcc_lo
	s_cbranch_execz .LBB16_44
.LBB16_55:                              ;   in Loop: Header=BB16_41 Depth=1
	v_cmp_gt_i32_e64 s0, s10, v78
	s_wait_loadcnt 0x0
	s_delay_alu instid0(VALU_DEP_1) | instskip(SKIP_1) | instid1(VALU_DEP_1)
	v_cndmask_b32_e64 v15, 0, v15, s0
	v_cmp_gt_i32_e64 s0, s22, v73
	v_cndmask_b32_e64 v14, 0, v14, s0
	v_cmp_gt_i32_e64 s0, s10, v77
	s_delay_alu instid0(VALU_DEP_1) | instskip(SKIP_1) | instid1(VALU_DEP_1)
	v_cndmask_b32_e64 v17, 0, v17, s0
	v_cmp_gt_i32_e64 s0, s22, v76
	v_cndmask_b32_e64 v16, 0, v16, s0
	s_or_b32 exec_lo, exec_lo, s11
	global_load_b128 v[18:21], v[46:47], off offset:1536
	s_wait_xcnt 0x0
	s_and_saveexec_b32 s11, vcc_lo
	s_cbranch_execz .LBB16_45
.LBB16_56:                              ;   in Loop: Header=BB16_41 Depth=1
	v_cmp_gt_i32_e64 s0, s10, v78
	s_wait_loadcnt 0x0
	s_delay_alu instid0(VALU_DEP_1) | instskip(SKIP_1) | instid1(VALU_DEP_1)
	v_cndmask_b32_e64 v19, 0, v19, s0
	v_cmp_gt_i32_e64 s0, s22, v73
	v_cndmask_b32_e64 v18, 0, v18, s0
	v_cmp_gt_i32_e64 s0, s10, v77
	s_delay_alu instid0(VALU_DEP_1) | instskip(SKIP_1) | instid1(VALU_DEP_1)
	v_cndmask_b32_e64 v21, 0, v21, s0
	v_cmp_gt_i32_e64 s0, s22, v76
	v_cndmask_b32_e64 v20, 0, v20, s0
	s_or_b32 exec_lo, exec_lo, s11
	global_load_b128 v[22:25], v[46:47], off offset:2048
	s_wait_xcnt 0x0
	s_and_saveexec_b32 s11, vcc_lo
	s_cbranch_execz .LBB16_46
.LBB16_57:                              ;   in Loop: Header=BB16_41 Depth=1
	v_cmp_gt_i32_e64 s0, s10, v78
	s_wait_loadcnt 0x0
	s_delay_alu instid0(VALU_DEP_1) | instskip(SKIP_1) | instid1(VALU_DEP_1)
	v_cndmask_b32_e64 v23, 0, v23, s0
	v_cmp_gt_i32_e64 s0, s22, v73
	v_cndmask_b32_e64 v22, 0, v22, s0
	v_cmp_gt_i32_e64 s0, s10, v77
	s_delay_alu instid0(VALU_DEP_1) | instskip(SKIP_1) | instid1(VALU_DEP_1)
	v_cndmask_b32_e64 v25, 0, v25, s0
	v_cmp_gt_i32_e64 s0, s22, v76
	v_cndmask_b32_e64 v24, 0, v24, s0
	s_or_b32 exec_lo, exec_lo, s11
	global_load_b128 v[26:29], v[46:47], off offset:2560
	s_wait_xcnt 0x0
	s_and_saveexec_b32 s11, vcc_lo
	s_cbranch_execz .LBB16_47
.LBB16_58:                              ;   in Loop: Header=BB16_41 Depth=1
	v_cmp_gt_i32_e64 s0, s10, v78
	s_wait_loadcnt 0x0
	s_delay_alu instid0(VALU_DEP_1) | instskip(SKIP_1) | instid1(VALU_DEP_1)
	v_cndmask_b32_e64 v27, 0, v27, s0
	v_cmp_gt_i32_e64 s0, s22, v73
	v_cndmask_b32_e64 v26, 0, v26, s0
	v_cmp_gt_i32_e64 s0, s10, v77
	s_delay_alu instid0(VALU_DEP_1) | instskip(SKIP_1) | instid1(VALU_DEP_1)
	v_cndmask_b32_e64 v29, 0, v29, s0
	v_cmp_gt_i32_e64 s0, s22, v76
	v_cndmask_b32_e64 v28, 0, v28, s0
	s_or_b32 exec_lo, exec_lo, s11
	global_load_b128 v[30:33], v[46:47], off offset:3072
	s_wait_xcnt 0x0
	s_and_saveexec_b32 s11, vcc_lo
	s_cbranch_execz .LBB16_48
.LBB16_59:                              ;   in Loop: Header=BB16_41 Depth=1
	v_cmp_gt_i32_e64 s0, s10, v78
	s_wait_loadcnt 0x0
	s_delay_alu instid0(VALU_DEP_1) | instskip(SKIP_1) | instid1(VALU_DEP_1)
	v_cndmask_b32_e64 v31, 0, v31, s0
	v_cmp_gt_i32_e64 s0, s22, v73
	v_cndmask_b32_e64 v30, 0, v30, s0
	v_cmp_gt_i32_e64 s0, s10, v77
	s_delay_alu instid0(VALU_DEP_1) | instskip(SKIP_1) | instid1(VALU_DEP_1)
	v_cndmask_b32_e64 v33, 0, v33, s0
	v_cmp_gt_i32_e64 s0, s22, v76
	v_cndmask_b32_e64 v32, 0, v32, s0
	s_or_b32 exec_lo, exec_lo, s11
	global_load_b128 v[34:37], v[46:47], off offset:3584
	s_wait_xcnt 0x0
	s_and_saveexec_b32 s11, vcc_lo
	s_cbranch_execz .LBB16_49
.LBB16_60:                              ;   in Loop: Header=BB16_41 Depth=1
	v_cmp_gt_i32_e64 s0, s10, v78
	s_wait_loadcnt 0x0
	s_delay_alu instid0(VALU_DEP_1) | instskip(SKIP_1) | instid1(VALU_DEP_1)
	v_cndmask_b32_e64 v35, 0, v35, s0
	v_cmp_gt_i32_e64 s0, s22, v73
	v_cndmask_b32_e64 v34, 0, v34, s0
	v_cmp_gt_i32_e64 s0, s10, v77
	s_delay_alu instid0(VALU_DEP_1) | instskip(SKIP_1) | instid1(VALU_DEP_1)
	v_cndmask_b32_e64 v37, 0, v37, s0
	v_cmp_gt_i32_e64 s0, s22, v76
	v_cndmask_b32_e64 v36, 0, v36, s0
	s_or_b32 exec_lo, exec_lo, s11
	global_load_b128 v[38:41], v[46:47], off offset:4096
	s_wait_xcnt 0x0
	s_and_saveexec_b32 s11, vcc_lo
	s_cbranch_execz .LBB16_50
.LBB16_61:                              ;   in Loop: Header=BB16_41 Depth=1
	v_cmp_gt_i32_e64 s0, s10, v78
	s_wait_loadcnt 0x0
	s_delay_alu instid0(VALU_DEP_1) | instskip(SKIP_1) | instid1(VALU_DEP_1)
	v_cndmask_b32_e64 v39, 0, v39, s0
	v_cmp_gt_i32_e64 s0, s22, v73
	v_cndmask_b32_e64 v38, 0, v38, s0
	v_cmp_gt_i32_e64 s0, s10, v77
	s_delay_alu instid0(VALU_DEP_1) | instskip(SKIP_1) | instid1(VALU_DEP_1)
	v_cndmask_b32_e64 v41, 0, v41, s0
	v_cmp_gt_i32_e64 s0, s22, v76
	v_cndmask_b32_e64 v40, 0, v40, s0
	s_or_b32 exec_lo, exec_lo, s11
	global_load_b128 v[42:45], v[46:47], off offset:4608
	s_wait_xcnt 0x0
	s_and_saveexec_b32 s11, vcc_lo
	s_cbranch_execz .LBB16_51
.LBB16_62:                              ;   in Loop: Header=BB16_41 Depth=1
	v_cmp_gt_i32_e64 s0, s10, v78
	s_wait_loadcnt 0x0
	s_delay_alu instid0(VALU_DEP_1) | instskip(SKIP_1) | instid1(VALU_DEP_1)
	v_cndmask_b32_e64 v43, 0, v43, s0
	v_cmp_gt_i32_e64 s0, s22, v73
	v_cndmask_b32_e64 v42, 0, v42, s0
	v_cmp_gt_i32_e64 s0, s10, v77
	s_delay_alu instid0(VALU_DEP_1) | instskip(SKIP_1) | instid1(VALU_DEP_1)
	v_cndmask_b32_e64 v45, 0, v45, s0
	v_cmp_gt_i32_e64 s0, s22, v76
	v_cndmask_b32_e64 v44, 0, v44, s0
	s_or_b32 exec_lo, exec_lo, s11
	global_load_b128 v[50:53], v[46:47], off offset:5120
	s_wait_xcnt 0x0
	s_and_saveexec_b32 s11, vcc_lo
	s_cbranch_execz .LBB16_52
.LBB16_63:                              ;   in Loop: Header=BB16_41 Depth=1
	v_cmp_gt_i32_e64 s0, s10, v78
	s_wait_loadcnt 0x0
	s_delay_alu instid0(VALU_DEP_1) | instskip(SKIP_1) | instid1(VALU_DEP_1)
	v_cndmask_b32_e64 v51, 0, v51, s0
	v_cmp_gt_i32_e64 s0, s22, v73
	v_cndmask_b32_e64 v50, 0, v50, s0
	v_cmp_gt_i32_e64 s0, s10, v77
	s_delay_alu instid0(VALU_DEP_1) | instskip(SKIP_1) | instid1(VALU_DEP_1)
	v_cndmask_b32_e64 v53, 0, v53, s0
	v_cmp_gt_i32_e64 s0, s22, v76
	v_cndmask_b32_e64 v52, 0, v52, s0
	s_or_b32 exec_lo, exec_lo, s11
	global_load_b128 v[46:49], v[46:47], off offset:5632
	s_wait_xcnt 0x0
	s_and_saveexec_b32 s0, vcc_lo
	s_cbranch_execz .LBB16_40
.LBB16_64:                              ;   in Loop: Header=BB16_41 Depth=1
	v_cmp_gt_i32_e32 vcc_lo, s10, v78
	s_wait_loadcnt 0x0
	v_cndmask_b32_e32 v47, 0, v47, vcc_lo
	v_cmp_gt_i32_e32 vcc_lo, s22, v73
	v_cndmask_b32_e32 v46, 0, v46, vcc_lo
	v_cmp_gt_i32_e32 vcc_lo, s10, v77
	;; [unrolled: 2-line block ×3, first 2 shown]
	v_cndmask_b32_e32 v48, 0, v48, vcc_lo
	s_branch .LBB16_40
.LBB16_65:
	s_or_b32 exec_lo, exec_lo, s5
.LBB16_66:
	s_delay_alu instid0(SALU_CYCLE_1)
	s_or_b32 exec_lo, exec_lo, s1
	ds_bpermute_b32 v2, v71, v64
	ds_bpermute_b32 v3, v71, v65
	;; [unrolled: 1-line block ×12, first 2 shown]
	v_lshrrev_b32_e32 v15, 1, v70
	v_and_b32_e32 v14, 0x3c1, v0
	s_mov_b32 s0, exec_lo
	s_wait_dscnt 0x0
	s_barrier_signal -1
	s_barrier_wait -1
	v_pk_add_f32 v[10:11], v[64:65], v[2:3]
	v_pk_add_f32 v[8:9], v[62:63], v[4:5]
	;; [unrolled: 1-line block ×5, first 2 shown]
	v_cmpx_ne_u32_e32 64, v14
	s_xor_b32 s0, exec_lo, s0
	s_delay_alu instid0(SALU_CYCLE_1)
	s_or_saveexec_b32 s0, s0
	v_pk_add_f32 v[12:13], v[54:55], v[12:13]
	v_lshl_add_u32 v14, v15, 2, 0x320
	v_mul_u32_u24_e32 v1, 0x300, v1
	s_xor_b32 exec_lo, exec_lo, s0
	s_cbranch_execz .LBB16_68
; %bb.67:
	s_delay_alu instid0(VALU_DEP_1) | instskip(NEXT) | instid1(VALU_DEP_1)
	v_add_nc_u32_e32 v16, v14, v1
	v_add_nc_u32_e32 v17, 0xfffffa00, v16
	;; [unrolled: 1-line block ×13, first 2 shown]
	ds_store_b32 v17, v10
	ds_store_b32 v18, v11
	;; [unrolled: 1-line block ×12, first 2 shown]
.LBB16_68:
	s_or_b32 exec_lo, exec_lo, s0
	v_lshlrev_b32_e32 v15, 2, v15
	s_mov_b32 s1, exec_lo
	v_cmp_eq_u32_e32 vcc_lo, 0, v72
	s_wait_dscnt 0x0
	s_barrier_signal -1
	v_add3_u32 v1, 0x320, v1, v15
	s_barrier_wait -1
	v_cmpx_gt_u32_e32 64, v0
	s_cbranch_execz .LBB16_83
; %bb.69:
	s_and_saveexec_b32 s0, vcc_lo
	s_cbranch_execnz .LBB16_103
; %bb.70:
	s_or_b32 exec_lo, exec_lo, s0
	s_and_saveexec_b32 s0, vcc_lo
	s_cbranch_execnz .LBB16_104
.LBB16_71:
	s_or_b32 exec_lo, exec_lo, s0
	s_and_saveexec_b32 s0, vcc_lo
	s_cbranch_execnz .LBB16_105
.LBB16_72:
	s_or_b32 exec_lo, exec_lo, s0
	s_and_saveexec_b32 s0, vcc_lo
	s_cbranch_execnz .LBB16_106
.LBB16_73:
	s_or_b32 exec_lo, exec_lo, s0
	s_and_saveexec_b32 s0, vcc_lo
	s_cbranch_execnz .LBB16_107
.LBB16_74:
	s_or_b32 exec_lo, exec_lo, s0
	s_and_saveexec_b32 s0, vcc_lo
	s_cbranch_execnz .LBB16_108
.LBB16_75:
	s_or_b32 exec_lo, exec_lo, s0
	s_and_saveexec_b32 s0, vcc_lo
	s_cbranch_execnz .LBB16_109
.LBB16_76:
	s_or_b32 exec_lo, exec_lo, s0
	s_and_saveexec_b32 s0, vcc_lo
	s_cbranch_execnz .LBB16_110
.LBB16_77:
	s_or_b32 exec_lo, exec_lo, s0
	s_and_saveexec_b32 s0, vcc_lo
	s_cbranch_execnz .LBB16_111
.LBB16_78:
	s_or_b32 exec_lo, exec_lo, s0
	s_and_saveexec_b32 s0, vcc_lo
	s_cbranch_execnz .LBB16_112
.LBB16_79:
	s_or_b32 exec_lo, exec_lo, s0
	s_and_saveexec_b32 s0, vcc_lo
	s_cbranch_execnz .LBB16_113
.LBB16_80:
	s_or_b32 exec_lo, exec_lo, s0
	s_and_saveexec_b32 s0, vcc_lo
	s_cbranch_execz .LBB16_82
.LBB16_81:
	ds_load_b32 v15, v1 offset:704
	s_wait_dscnt 0x0
	v_add_f32_e32 v13, v13, v15
.LBB16_82:
	s_or_b32 exec_lo, exec_lo, s0
.LBB16_83:
	s_delay_alu instid0(SALU_CYCLE_1) | instskip(SKIP_4) | instid1(VALU_DEP_1)
	s_or_b32 exec_lo, exec_lo, s1
	v_and_b32_e32 v15, 0x3e1, v0
	s_mov_b32 s1, exec_lo
	s_barrier_signal -1
	s_barrier_wait -1
	v_cmpx_eq_u32_e32 32, v15
	s_cbranch_execz .LBB16_85
; %bb.84:
	ds_store_2addr_b32 v14, v10, v11 offset1:16
	ds_store_2addr_b32 v14, v8, v9 offset0:32 offset1:48
	ds_store_2addr_b32 v14, v6, v7 offset0:64 offset1:80
	;; [unrolled: 1-line block ×5, first 2 shown]
.LBB16_85:
	s_or_b32 exec_lo, exec_lo, s1
	s_delay_alu instid0(SALU_CYCLE_1)
	s_mov_b32 s1, exec_lo
	s_wait_dscnt 0x0
	s_barrier_signal -1
	s_barrier_wait -1
	v_cmpx_gt_u32_e32 32, v0
	s_cbranch_execz .LBB16_100
; %bb.86:
	s_and_saveexec_b32 s0, vcc_lo
	s_cbranch_execnz .LBB16_114
; %bb.87:
	s_or_b32 exec_lo, exec_lo, s0
	s_and_saveexec_b32 s0, vcc_lo
	s_cbranch_execnz .LBB16_115
.LBB16_88:
	s_or_b32 exec_lo, exec_lo, s0
	s_and_saveexec_b32 s0, vcc_lo
	s_cbranch_execnz .LBB16_116
.LBB16_89:
	s_or_b32 exec_lo, exec_lo, s0
	s_and_saveexec_b32 s0, vcc_lo
	s_cbranch_execnz .LBB16_117
.LBB16_90:
	s_or_b32 exec_lo, exec_lo, s0
	s_and_saveexec_b32 s0, vcc_lo
	s_cbranch_execnz .LBB16_118
.LBB16_91:
	s_or_b32 exec_lo, exec_lo, s0
	s_and_saveexec_b32 s0, vcc_lo
	s_cbranch_execnz .LBB16_119
.LBB16_92:
	s_or_b32 exec_lo, exec_lo, s0
	s_and_saveexec_b32 s0, vcc_lo
	s_cbranch_execnz .LBB16_120
.LBB16_93:
	s_or_b32 exec_lo, exec_lo, s0
	s_and_saveexec_b32 s0, vcc_lo
	s_cbranch_execnz .LBB16_121
.LBB16_94:
	s_or_b32 exec_lo, exec_lo, s0
	s_and_saveexec_b32 s0, vcc_lo
	s_cbranch_execnz .LBB16_122
.LBB16_95:
	s_or_b32 exec_lo, exec_lo, s0
	s_and_saveexec_b32 s0, vcc_lo
	s_cbranch_execnz .LBB16_123
.LBB16_96:
	s_or_b32 exec_lo, exec_lo, s0
	s_and_saveexec_b32 s0, vcc_lo
	s_cbranch_execnz .LBB16_124
.LBB16_97:
	s_or_b32 exec_lo, exec_lo, s0
	s_and_saveexec_b32 s0, vcc_lo
	s_cbranch_execz .LBB16_99
.LBB16_98:
	ds_load_b32 v1, v1 offset:704
	s_wait_dscnt 0x0
	v_add_f32_e32 v13, v13, v1
.LBB16_99:
	s_or_b32 exec_lo, exec_lo, s0
.LBB16_100:
	s_delay_alu instid0(SALU_CYCLE_1)
	s_or_b32 exec_lo, exec_lo, s1
	s_mov_b32 s1, 0
	s_barrier_signal -1
	s_barrier_wait -1
	s_mov_b32 s0, exec_lo
	v_cmpx_eq_u32_e32 0, v15
	s_cbranch_execz .LBB16_102
; %bb.101:
	s_mul_i32 s0, s20, s21
	s_mul_i32 s2, s21, s8
	;; [unrolled: 1-line block ×3, first 2 shown]
	s_lshr_b32 s8, ttmp7, 16
	s_mul_i32 s4, s0, 0xc0
	s_bfe_u32 s0, ttmp6, 0x40014
	s_ashr_i32 s5, s4, 31
	s_add_co_i32 s0, s0, 1
	s_lshl_b64 s[4:5], s[4:5], 2
	s_ashr_i32 s3, s2, 31
	s_wait_kmcnt 0x0
	s_add_nc_u64 s[4:5], s[6:7], s[4:5]
	s_mul_i32 s0, s8, s0
	s_bfe_u32 s6, ttmp6, 0x40008
	s_lshl_b64 s[2:3], s[2:3], 2
	s_add_co_i32 s6, s6, s0
	s_cmp_eq_u32 s18, 0
	v_lshlrev_b32_e32 v0, 1, v0
	s_cselect_b32 s0, s8, s6
	s_add_nc_u64 s[2:3], s[4:5], s[2:3]
	s_mulk_i32 s0, 0x300
	s_delay_alu instid0(SALU_CYCLE_1)
	s_add_nc_u64 s[0:1], s[2:3], s[0:1]
	s_clause 0xb
	global_store_b32 v0, v10, s[0:1]
	global_store_b32 v0, v11, s[0:1] offset:64
	global_store_b32 v0, v8, s[0:1] offset:128
	;; [unrolled: 1-line block ×11, first 2 shown]
.LBB16_102:
	s_sendmsg sendmsg(MSG_DEALLOC_VGPRS)
	s_endpgm
.LBB16_103:
	ds_load_b32 v15, v1
	s_wait_dscnt 0x0
	v_add_f32_e32 v10, v10, v15
	s_or_b32 exec_lo, exec_lo, s0
	s_and_saveexec_b32 s0, vcc_lo
	s_cbranch_execz .LBB16_71
.LBB16_104:
	ds_load_b32 v15, v1 offset:64
	s_wait_dscnt 0x0
	v_add_f32_e32 v11, v11, v15
	s_or_b32 exec_lo, exec_lo, s0
	s_and_saveexec_b32 s0, vcc_lo
	s_cbranch_execz .LBB16_72
.LBB16_105:
	ds_load_b32 v15, v1 offset:128
	s_wait_dscnt 0x0
	v_add_f32_e32 v8, v8, v15
	s_or_b32 exec_lo, exec_lo, s0
	s_and_saveexec_b32 s0, vcc_lo
	s_cbranch_execz .LBB16_73
.LBB16_106:
	ds_load_b32 v15, v1 offset:192
	s_wait_dscnt 0x0
	v_add_f32_e32 v9, v9, v15
	s_or_b32 exec_lo, exec_lo, s0
	s_and_saveexec_b32 s0, vcc_lo
	s_cbranch_execz .LBB16_74
.LBB16_107:
	ds_load_b32 v15, v1 offset:256
	s_wait_dscnt 0x0
	v_add_f32_e32 v6, v6, v15
	s_or_b32 exec_lo, exec_lo, s0
	s_and_saveexec_b32 s0, vcc_lo
	s_cbranch_execz .LBB16_75
.LBB16_108:
	ds_load_b32 v15, v1 offset:320
	s_wait_dscnt 0x0
	v_add_f32_e32 v7, v7, v15
	s_or_b32 exec_lo, exec_lo, s0
	s_and_saveexec_b32 s0, vcc_lo
	s_cbranch_execz .LBB16_76
.LBB16_109:
	ds_load_b32 v15, v1 offset:384
	s_wait_dscnt 0x0
	v_add_f32_e32 v4, v4, v15
	s_or_b32 exec_lo, exec_lo, s0
	s_and_saveexec_b32 s0, vcc_lo
	s_cbranch_execz .LBB16_77
.LBB16_110:
	ds_load_b32 v15, v1 offset:448
	s_wait_dscnt 0x0
	v_add_f32_e32 v5, v5, v15
	s_or_b32 exec_lo, exec_lo, s0
	s_and_saveexec_b32 s0, vcc_lo
	s_cbranch_execz .LBB16_78
.LBB16_111:
	ds_load_b32 v15, v1 offset:512
	s_wait_dscnt 0x0
	v_add_f32_e32 v2, v2, v15
	s_or_b32 exec_lo, exec_lo, s0
	s_and_saveexec_b32 s0, vcc_lo
	s_cbranch_execz .LBB16_79
.LBB16_112:
	ds_load_b32 v15, v1 offset:576
	s_wait_dscnt 0x0
	v_add_f32_e32 v3, v3, v15
	s_or_b32 exec_lo, exec_lo, s0
	s_and_saveexec_b32 s0, vcc_lo
	s_cbranch_execz .LBB16_80
.LBB16_113:
	ds_load_b32 v15, v1 offset:640
	s_wait_dscnt 0x0
	v_add_f32_e32 v12, v12, v15
	s_or_b32 exec_lo, exec_lo, s0
	s_and_saveexec_b32 s0, vcc_lo
	s_cbranch_execnz .LBB16_81
	s_branch .LBB16_82
.LBB16_114:
	ds_load_b32 v14, v1
	s_wait_dscnt 0x0
	v_add_f32_e32 v10, v10, v14
	s_or_b32 exec_lo, exec_lo, s0
	s_and_saveexec_b32 s0, vcc_lo
	s_cbranch_execz .LBB16_88
.LBB16_115:
	ds_load_b32 v14, v1 offset:64
	s_wait_dscnt 0x0
	v_add_f32_e32 v11, v11, v14
	s_or_b32 exec_lo, exec_lo, s0
	s_and_saveexec_b32 s0, vcc_lo
	s_cbranch_execz .LBB16_89
.LBB16_116:
	ds_load_b32 v14, v1 offset:128
	s_wait_dscnt 0x0
	v_add_f32_e32 v8, v8, v14
	s_or_b32 exec_lo, exec_lo, s0
	s_and_saveexec_b32 s0, vcc_lo
	s_cbranch_execz .LBB16_90
.LBB16_117:
	ds_load_b32 v14, v1 offset:192
	s_wait_dscnt 0x0
	v_add_f32_e32 v9, v9, v14
	s_or_b32 exec_lo, exec_lo, s0
	s_and_saveexec_b32 s0, vcc_lo
	s_cbranch_execz .LBB16_91
.LBB16_118:
	ds_load_b32 v14, v1 offset:256
	s_wait_dscnt 0x0
	v_add_f32_e32 v6, v6, v14
	s_or_b32 exec_lo, exec_lo, s0
	s_and_saveexec_b32 s0, vcc_lo
	s_cbranch_execz .LBB16_92
.LBB16_119:
	ds_load_b32 v14, v1 offset:320
	s_wait_dscnt 0x0
	v_add_f32_e32 v7, v7, v14
	s_or_b32 exec_lo, exec_lo, s0
	s_and_saveexec_b32 s0, vcc_lo
	s_cbranch_execz .LBB16_93
.LBB16_120:
	ds_load_b32 v14, v1 offset:384
	s_wait_dscnt 0x0
	v_add_f32_e32 v4, v4, v14
	s_or_b32 exec_lo, exec_lo, s0
	s_and_saveexec_b32 s0, vcc_lo
	s_cbranch_execz .LBB16_94
.LBB16_121:
	ds_load_b32 v14, v1 offset:448
	s_wait_dscnt 0x0
	v_add_f32_e32 v5, v5, v14
	s_or_b32 exec_lo, exec_lo, s0
	s_and_saveexec_b32 s0, vcc_lo
	s_cbranch_execz .LBB16_95
.LBB16_122:
	ds_load_b32 v14, v1 offset:512
	s_wait_dscnt 0x0
	v_add_f32_e32 v2, v2, v14
	s_or_b32 exec_lo, exec_lo, s0
	s_and_saveexec_b32 s0, vcc_lo
	s_cbranch_execz .LBB16_96
.LBB16_123:
	ds_load_b32 v14, v1 offset:576
	s_wait_dscnt 0x0
	v_add_f32_e32 v3, v3, v14
	s_or_b32 exec_lo, exec_lo, s0
	s_and_saveexec_b32 s0, vcc_lo
	s_cbranch_execz .LBB16_97
.LBB16_124:
	ds_load_b32 v14, v1 offset:640
	s_wait_dscnt 0x0
	v_add_f32_e32 v12, v12, v14
	s_or_b32 exec_lo, exec_lo, s0
	s_and_saveexec_b32 s0, vcc_lo
	s_cbranch_execnz .LBB16_98
	s_branch .LBB16_99
	.section	.rodata,"a",@progbits
	.p2align	6, 0x0
	.amdhsa_kernel _ZN4vllm25paged_attention_v1_kernelIffLi192ELi8ELi128ELNS_18Fp8KVCacheDataTypeE0ELb0EEEvPT_PKS2_PKT0_S8_ifPKiSA_iPKfiiiSC_SC_iiiii
		.amdhsa_group_segment_fixed_size 800
		.amdhsa_private_segment_fixed_size 0
		.amdhsa_kernarg_size 384
		.amdhsa_user_sgpr_count 2
		.amdhsa_user_sgpr_dispatch_ptr 0
		.amdhsa_user_sgpr_queue_ptr 0
		.amdhsa_user_sgpr_kernarg_segment_ptr 1
		.amdhsa_user_sgpr_dispatch_id 0
		.amdhsa_user_sgpr_kernarg_preload_length 0
		.amdhsa_user_sgpr_kernarg_preload_offset 0
		.amdhsa_user_sgpr_private_segment_size 0
		.amdhsa_wavefront_size32 1
		.amdhsa_uses_dynamic_stack 0
		.amdhsa_enable_private_segment 0
		.amdhsa_system_sgpr_workgroup_id_x 1
		.amdhsa_system_sgpr_workgroup_id_y 1
		.amdhsa_system_sgpr_workgroup_id_z 1
		.amdhsa_system_sgpr_workgroup_info 0
		.amdhsa_system_vgpr_workitem_id 0
		.amdhsa_next_free_vgpr 113
		.amdhsa_next_free_sgpr 30
		.amdhsa_named_barrier_count 0
		.amdhsa_reserve_vcc 1
		.amdhsa_float_round_mode_32 0
		.amdhsa_float_round_mode_16_64 0
		.amdhsa_float_denorm_mode_32 3
		.amdhsa_float_denorm_mode_16_64 3
		.amdhsa_fp16_overflow 0
		.amdhsa_memory_ordered 1
		.amdhsa_forward_progress 1
		.amdhsa_inst_pref_size 62
		.amdhsa_round_robin_scheduling 0
		.amdhsa_exception_fp_ieee_invalid_op 0
		.amdhsa_exception_fp_denorm_src 0
		.amdhsa_exception_fp_ieee_div_zero 0
		.amdhsa_exception_fp_ieee_overflow 0
		.amdhsa_exception_fp_ieee_underflow 0
		.amdhsa_exception_fp_ieee_inexact 0
		.amdhsa_exception_int_div_zero 0
	.end_amdhsa_kernel
	.section	.text._ZN4vllm25paged_attention_v1_kernelIffLi192ELi8ELi128ELNS_18Fp8KVCacheDataTypeE0ELb0EEEvPT_PKS2_PKT0_S8_ifPKiSA_iPKfiiiSC_SC_iiiii,"axG",@progbits,_ZN4vllm25paged_attention_v1_kernelIffLi192ELi8ELi128ELNS_18Fp8KVCacheDataTypeE0ELb0EEEvPT_PKS2_PKT0_S8_ifPKiSA_iPKfiiiSC_SC_iiiii,comdat
.Lfunc_end16:
	.size	_ZN4vllm25paged_attention_v1_kernelIffLi192ELi8ELi128ELNS_18Fp8KVCacheDataTypeE0ELb0EEEvPT_PKS2_PKT0_S8_ifPKiSA_iPKfiiiSC_SC_iiiii, .Lfunc_end16-_ZN4vllm25paged_attention_v1_kernelIffLi192ELi8ELi128ELNS_18Fp8KVCacheDataTypeE0ELb0EEEvPT_PKS2_PKT0_S8_ifPKiSA_iPKfiiiSC_SC_iiiii
                                        ; -- End function
	.set _ZN4vllm25paged_attention_v1_kernelIffLi192ELi8ELi128ELNS_18Fp8KVCacheDataTypeE0ELb0EEEvPT_PKS2_PKT0_S8_ifPKiSA_iPKfiiiSC_SC_iiiii.num_vgpr, 113
	.set _ZN4vllm25paged_attention_v1_kernelIffLi192ELi8ELi128ELNS_18Fp8KVCacheDataTypeE0ELb0EEEvPT_PKS2_PKT0_S8_ifPKiSA_iPKfiiiSC_SC_iiiii.num_agpr, 0
	.set _ZN4vllm25paged_attention_v1_kernelIffLi192ELi8ELi128ELNS_18Fp8KVCacheDataTypeE0ELb0EEEvPT_PKS2_PKT0_S8_ifPKiSA_iPKfiiiSC_SC_iiiii.numbered_sgpr, 30
	.set _ZN4vllm25paged_attention_v1_kernelIffLi192ELi8ELi128ELNS_18Fp8KVCacheDataTypeE0ELb0EEEvPT_PKS2_PKT0_S8_ifPKiSA_iPKfiiiSC_SC_iiiii.num_named_barrier, 0
	.set _ZN4vllm25paged_attention_v1_kernelIffLi192ELi8ELi128ELNS_18Fp8KVCacheDataTypeE0ELb0EEEvPT_PKS2_PKT0_S8_ifPKiSA_iPKfiiiSC_SC_iiiii.private_seg_size, 0
	.set _ZN4vllm25paged_attention_v1_kernelIffLi192ELi8ELi128ELNS_18Fp8KVCacheDataTypeE0ELb0EEEvPT_PKS2_PKT0_S8_ifPKiSA_iPKfiiiSC_SC_iiiii.uses_vcc, 1
	.set _ZN4vllm25paged_attention_v1_kernelIffLi192ELi8ELi128ELNS_18Fp8KVCacheDataTypeE0ELb0EEEvPT_PKS2_PKT0_S8_ifPKiSA_iPKfiiiSC_SC_iiiii.uses_flat_scratch, 0
	.set _ZN4vllm25paged_attention_v1_kernelIffLi192ELi8ELi128ELNS_18Fp8KVCacheDataTypeE0ELb0EEEvPT_PKS2_PKT0_S8_ifPKiSA_iPKfiiiSC_SC_iiiii.has_dyn_sized_stack, 0
	.set _ZN4vllm25paged_attention_v1_kernelIffLi192ELi8ELi128ELNS_18Fp8KVCacheDataTypeE0ELb0EEEvPT_PKS2_PKT0_S8_ifPKiSA_iPKfiiiSC_SC_iiiii.has_recursion, 0
	.set _ZN4vllm25paged_attention_v1_kernelIffLi192ELi8ELi128ELNS_18Fp8KVCacheDataTypeE0ELb0EEEvPT_PKS2_PKT0_S8_ifPKiSA_iPKfiiiSC_SC_iiiii.has_indirect_call, 0
	.section	.AMDGPU.csdata,"",@progbits
; Kernel info:
; codeLenInByte = 7888
; TotalNumSgprs: 32
; NumVgprs: 113
; ScratchSize: 0
; MemoryBound: 0
; FloatMode: 240
; IeeeMode: 1
; LDSByteSize: 800 bytes/workgroup (compile time only)
; SGPRBlocks: 0
; VGPRBlocks: 7
; NumSGPRsForWavesPerEU: 32
; NumVGPRsForWavesPerEU: 113
; NamedBarCnt: 0
; Occupancy: 8
; WaveLimiterHint : 1
; COMPUTE_PGM_RSRC2:SCRATCH_EN: 0
; COMPUTE_PGM_RSRC2:USER_SGPR: 2
; COMPUTE_PGM_RSRC2:TRAP_HANDLER: 0
; COMPUTE_PGM_RSRC2:TGID_X_EN: 1
; COMPUTE_PGM_RSRC2:TGID_Y_EN: 1
; COMPUTE_PGM_RSRC2:TGID_Z_EN: 1
; COMPUTE_PGM_RSRC2:TIDIG_COMP_CNT: 0
	.section	.text._ZN4vllm25paged_attention_v1_kernelIffLi256ELi8ELi128ELNS_18Fp8KVCacheDataTypeE0ELb0EEEvPT_PKS2_PKT0_S8_ifPKiSA_iPKfiiiSC_SC_iiiii,"axG",@progbits,_ZN4vllm25paged_attention_v1_kernelIffLi256ELi8ELi128ELNS_18Fp8KVCacheDataTypeE0ELb0EEEvPT_PKS2_PKT0_S8_ifPKiSA_iPKfiiiSC_SC_iiiii,comdat
	.protected	_ZN4vllm25paged_attention_v1_kernelIffLi256ELi8ELi128ELNS_18Fp8KVCacheDataTypeE0ELb0EEEvPT_PKS2_PKT0_S8_ifPKiSA_iPKfiiiSC_SC_iiiii ; -- Begin function _ZN4vllm25paged_attention_v1_kernelIffLi256ELi8ELi128ELNS_18Fp8KVCacheDataTypeE0ELb0EEEvPT_PKS2_PKT0_S8_ifPKiSA_iPKfiiiSC_SC_iiiii
	.globl	_ZN4vllm25paged_attention_v1_kernelIffLi256ELi8ELi128ELNS_18Fp8KVCacheDataTypeE0ELb0EEEvPT_PKS2_PKT0_S8_ifPKiSA_iPKfiiiSC_SC_iiiii
	.p2align	8
	.type	_ZN4vllm25paged_attention_v1_kernelIffLi256ELi8ELi128ELNS_18Fp8KVCacheDataTypeE0ELb0EEEvPT_PKS2_PKT0_S8_ifPKiSA_iPKfiiiSC_SC_iiiii,@function
_ZN4vllm25paged_attention_v1_kernelIffLi256ELi8ELi128ELNS_18Fp8KVCacheDataTypeE0ELb0EEEvPT_PKS2_PKT0_S8_ifPKiSA_iPKfiiiSC_SC_iiiii: ; @_ZN4vllm25paged_attention_v1_kernelIffLi256ELi8ELi128ELNS_18Fp8KVCacheDataTypeE0ELb0EEEvPT_PKS2_PKT0_S8_ifPKiSA_iPKfiiiSC_SC_iiiii
; %bb.0:
	s_load_b64 s[6:7], s[0:1], 0x20
	s_bfe_u32 s3, ttmp6, 0x4000c
	s_bfe_u32 s5, ttmp6, 0x40010
	s_and_b32 s4, ttmp7, 0xffff
	s_add_co_i32 s3, s3, 1
	s_add_co_i32 s5, s5, 1
	s_and_b32 s2, ttmp6, 15
	s_bfe_u32 s8, ttmp6, 0x40004
	s_mul_i32 s3, ttmp9, s3
	s_mul_i32 s5, s4, s5
	s_getreg_b32 s18, hwreg(HW_REG_IB_STS2, 6, 4)
	s_add_co_i32 s2, s2, s3
	s_add_co_i32 s8, s8, s5
	s_cmp_eq_u32 s18, 0
	s_clause 0x1
	s_load_b32 s19, s[0:1], 0x80
	s_load_b64 s[10:11], s[0:1], 0x30
	s_cselect_b32 s20, s4, s8
	s_cselect_b32 s8, ttmp9, s2
	v_mov_b32_e32 v99, v0
	s_wait_kmcnt 0x0
	s_abs_i32 s2, s6
	s_delay_alu instid0(SALU_CYCLE_1) | instskip(SKIP_1) | instid1(SALU_CYCLE_2)
	s_cvt_f32_u32 s3, s2
	s_sub_co_i32 s4, 0, s2
	v_rcp_iflag_f32_e32 v1, s3
	s_abs_i32 s5, s19
	v_nop
	s_delay_alu instid0(TRANS32_DEP_1) | instskip(SKIP_1) | instid1(SALU_CYCLE_3)
	v_readfirstlane_b32 s3, v1
	s_mul_f32 s3, s3, 0x4f7ffffe
	s_cvt_u32_f32 s3, s3
	s_delay_alu instid0(SALU_CYCLE_3) | instskip(NEXT) | instid1(SALU_CYCLE_1)
	s_mul_i32 s4, s4, s3
	s_mul_hi_u32 s4, s3, s4
	s_delay_alu instid0(SALU_CYCLE_1) | instskip(SKIP_4) | instid1(SALU_CYCLE_1)
	s_add_co_i32 s3, s3, s4
	s_xor_b32 s4, s19, s6
	s_mul_hi_u32 s3, s5, s3
	s_ashr_i32 s4, s4, 31
	s_mul_i32 s6, s3, s2
	s_sub_co_i32 s5, s5, s6
	s_add_co_i32 s6, s3, 1
	s_sub_co_i32 s9, s5, s2
	s_cmp_ge_u32 s5, s2
	s_cselect_b32 s3, s6, s3
	s_cselect_b32 s5, s9, s5
	s_add_co_i32 s6, s3, 1
	s_cmp_ge_u32 s5, s2
	s_cselect_b32 s2, s6, s3
	s_mov_b32 s3, 0
	s_xor_b32 s2, s2, s4
	s_mov_b32 s13, s3
	s_sub_co_i32 s16, s2, s4
	s_load_b64 s[4:5], s[0:1], 0x40
	s_abs_i32 s14, s16
	s_mov_b32 s23, s3
	s_cvt_f32_u32 s2, s14
	s_delay_alu instid0(SALU_CYCLE_3) | instskip(SKIP_1) | instid1(TRANS32_DEP_1)
	v_rcp_iflag_f32_e32 v1, s2
	v_nop
	v_readfirstlane_b32 s2, v1
	s_mul_f32 s2, s2, 0x4f7ffffe
	s_delay_alu instid0(SALU_CYCLE_3) | instskip(SKIP_1) | instid1(SALU_CYCLE_2)
	s_cvt_u32_f32 s6, s2
	s_sub_co_i32 s2, 0, s14
	s_mul_i32 s2, s2, s6
	s_delay_alu instid0(SALU_CYCLE_1)
	s_mul_hi_u32 s9, s6, s2
	s_abs_i32 s2, s8
	s_add_co_i32 s12, s6, s9
	s_wait_kmcnt 0x0
	s_cmp_eq_u64 s[4:5], 0
	s_cbranch_scc1 .LBB17_2
; %bb.1:
	s_ashr_i32 s9, s8, 31
	s_delay_alu instid0(SALU_CYCLE_1) | instskip(NEXT) | instid1(SALU_CYCLE_1)
	s_lshl_b64 s[22:23], s[8:9], 2
	s_add_nc_u64 s[4:5], s[4:5], s[22:23]
	s_load_b32 s23, s[4:5], 0x0
.LBB17_2:
	s_load_b32 s22, s[10:11], s20 offset:0x0 scale_offset
	s_load_b32 s21, s[0:1], 0x88
	s_wait_xcnt 0x0
	s_load_b96 s[4:6], s[0:1], 0x48
	v_and_b32_e32 v70, 3, v99
	s_ashr_i32 s15, s8, 31
	s_ashr_i32 s16, s16, 31
	s_mul_u64 s[10:11], s[2:3], s[12:13]
	s_lshl_b32 s8, s8, 8
	s_mov_b32 s3, exec_lo
	v_cmpx_gt_u32_e32 0x100, v99
	s_cbranch_execz .LBB17_5
; %bb.3:
	s_load_b64 s[12:13], s[0:1], 0x8
	s_wait_kmcnt 0x0
	s_mul_i32 s24, s4, s20
	s_ashr_i32 s9, s8, 31
	s_ashr_i32 s25, s24, 31
	v_and_b32_e32 v1, 0x3fc, v99
	s_lshl_b64 s[24:25], s[24:25], 2
	v_cmp_gt_u32_e32 vcc_lo, 0x80, v99
	s_delay_alu instid0(VALU_DEP_2) | instskip(SKIP_2) | instid1(SALU_CYCLE_1)
	v_lshl_add_u32 v1, v70, 8, v1
	s_add_nc_u64 s[12:13], s[12:13], s[24:25]
	s_lshl_b64 s[24:25], s[8:9], 2
	s_add_nc_u64 s[12:13], s[12:13], s[24:25]
	global_load_b32 v2, v99, s[12:13] scale_offset
	s_wait_loadcnt 0x0
	ds_store_b32 v1, v2
	s_and_b32 exec_lo, exec_lo, vcc_lo
	s_cbranch_execz .LBB17_5
; %bb.4:
	v_dual_lshrrev_b32 v2, 2, v99 :: v_dual_lshlrev_b32 v3, 2, v70
	s_delay_alu instid0(VALU_DEP_1) | instskip(NEXT) | instid1(VALU_DEP_1)
	v_lshlrev_b32_e32 v2, 4, v2
	v_or3_b32 v2, v2, v3, 0x200
	global_load_b32 v2, v2, s[12:13]
	s_wait_loadcnt 0x0
	ds_store_b32 v1, v2 offset:128
.LBB17_5:
	s_or_b32 exec_lo, exec_lo, s3
	s_wait_kmcnt 0x0
	s_add_co_i32 s3, s22, 7
	s_load_b32 s4, s[0:1], 0x38
	s_ashr_i32 s9, s3, 31
	s_mul_i32 s12, s11, s14
	s_lshr_b32 s9, s9, 29
	s_sub_co_i32 s2, s2, s12
	s_add_co_i32 s3, s3, s9
	s_xor_b32 s10, s15, s16
	s_ashr_i32 s9, s3, 3
	s_add_co_i32 s3, s11, 1
	s_sub_co_i32 s12, s2, s14
	s_cmp_ge_u32 s2, s14
	v_lshrrev_b32_e32 v100, 5, v99
	s_cselect_b32 s3, s3, s11
	s_cselect_b32 s2, s12, s2
	s_add_co_i32 s11, s3, 1
	s_cmp_ge_u32 s2, s14
	v_mbcnt_lo_u32_b32 v46, -1, 0
	s_cselect_b32 s2, s11, s3
	s_wait_dscnt 0x0
	s_xor_b32 s2, s2, s10
	s_barrier_signal -1
	s_sub_co_i32 s3, s2, s10
	v_cmp_gt_i32_e64 s2, s9, v100
	s_wait_kmcnt 0x0
	s_mul_i32 s10, s4, s20
	s_mov_b32 s4, exec_lo
	s_ashr_i32 s11, s10, 31
	s_barrier_wait -1
                                        ; implicit-def: $vgpr9
                                        ; implicit-def: $vgpr10
	v_cmpx_le_i32_e64 s9, v100
	s_xor_b32 s4, exec_lo, s4
; %bb.6:
	v_dual_mov_b32 v9, 0 :: v_dual_mov_b32 v10, 32
	v_mbcnt_lo_u32_b32 v46, -1, 0
                                        ; implicit-def: $vgpr70
; %bb.7:
	s_or_saveexec_b32 s24, s4
	s_load_b64 s[12:13], s[0:1], 0x28
	v_mov_b32_e32 v0, 0xff7fffff
	v_lshrrev_b32_e32 v66, 3, v99
	s_mul_i32 s14, s3, s6
	s_xor_b32 exec_lo, exec_lo, s24
	s_cbranch_execz .LBB17_13
; %bb.8:
	v_dual_mov_b32 v3, 0 :: v_dual_lshlrev_b32 v62, 8, v70
	s_load_b64 s[26:27], s[0:1], 0x10
	v_bfe_u32 v71, v99, 2, 3
	s_ashr_i32 s15, s14, 31
	v_xor_b32_e32 v45, 1, v46
	ds_load_b128 v[4:7], v62
	scratch_store_b32 off, v99, off offset:68 ; 4-byte Folded Spill
	v_lshlrev_b32_e32 v2, 4, v71
	s_lshl_b64 s[28:29], s[14:15], 2
	v_dual_lshlrev_b32 v76, 2, v71 :: v_dual_bitop2_b32 v44, 2, v46 bitop3:0x14
	s_ashr_i32 s17, s5, 31
	s_cmp_neq_f32 s23, 0
	s_mov_b32 s16, s5
	s_delay_alu instid0(VALU_DEP_1)
	v_cmp_gt_i32_e32 vcc_lo, 32, v44
	s_mov_b32 s6, 0
	s_cselect_b32 s3, -1, 0
	s_sub_co_i32 s15, 1, s22
	v_dual_mov_b32 v78, v100 :: v_dual_cndmask_b32 v74, v46, v44, vcc_lo
	v_cmp_gt_i32_e32 vcc_lo, 32, v45
	s_wait_kmcnt 0x0
	s_add_nc_u64 s[26:27], s[26:27], s[28:29]
	s_delay_alu instid0(SALU_CYCLE_1)
	v_add_nc_u64_e32 v[42:43], s[26:27], v[2:3]
	v_lshlrev_b32_e32 v2, 2, v70
	s_wait_dscnt 0x0
	scratch_store_b128 off, v[4:7], off offset:4 ; 16-byte Folded Spill
	s_wait_xcnt 0x0
	ds_load_b128 v[4:7], v62 offset:16
	v_cndmask_b32_e32 v75, v46, v45, vcc_lo
	v_cmp_eq_u32_e32 vcc_lo, 0, v70
	v_lshl_or_b32 v70, v100, 5, v76
	v_add_nc_u64_e32 v[0:1], v[42:43], v[2:3]
	v_and_b32_e32 v2, 0x7c, v66
	s_lshl_b64 s[26:27], s[10:11], 2
	v_lshl_or_b32 v76, v100, 3, v71
	s_add_nc_u64 s[26:27], s[12:13], s[26:27]
	v_add_nc_u32_e32 v77, 0x420, v70
	v_add_nc_u64_e32 v[70:71], s[26:27], v[2:3]
	s_wait_dscnt 0x0
	scratch_store_b128 off, v[4:7], off offset:20 ; 16-byte Folded Spill
	s_wait_xcnt 0x0
	ds_load_b128 v[4:7], v62 offset:32
	s_wait_dscnt 0x0
	scratch_store_b128 off, v[4:7], off offset:36 ; 16-byte Folded Spill
	ds_load_b128 v[14:17], v62 offset:48
	ds_load_b128 v[18:21], v62 offset:64
	;; [unrolled: 1-line block ×7, first 2 shown]
	s_clause 0x1
	scratch_store_b32 off, v46, off offset:80
	scratch_store_b64 off, v[0:1], off offset:52
	ds_load_b128 v[42:45], v62 offset:160
	s_wait_xcnt 0x1
	ds_load_b128 v[46:49], v62 offset:176
	ds_load_b128 v[50:53], v62 offset:192
	;; [unrolled: 1-line block ×5, first 2 shown]
	s_wait_xcnt 0x0
	v_dual_mov_b32 v1, v3 :: v_dual_lshlrev_b32 v0, 2, v74
	s_clause 0x1
	scratch_store_b32 off, v66, off offset:76
	scratch_store_b32 off, v0, off offset:60
	s_wait_xcnt 0x0
	v_lshlrev_b32_e32 v0, 2, v75
	s_clause 0x1
	scratch_store_b32 off, v0, off offset:64
	scratch_store_b64 off, v[0:1], off offset:84
	s_wait_xcnt 0x0
	v_mov_b32_e32 v0, 0xff7fffff
	s_clause 0x1
	scratch_store_b32 off, v0, off
	scratch_store_b32 off, v100, off offset:72
	s_branch .LBB17_10
.LBB17_9:                               ;   in Loop: Header=BB17_10 Depth=1
	s_wait_xcnt 0x0
	s_or_b32 exec_lo, exec_lo, s25
	v_dual_add_nc_u32 v78, 4, v78 :: v_dual_add_nc_u32 v76, 32, v76
	v_add_nc_u64_e32 v[70:71], 16, v[70:71]
	v_add_nc_u32_e32 v77, 0x80, v77
	s_delay_alu instid0(VALU_DEP_3) | instskip(SKIP_1) | instid1(SALU_CYCLE_1)
	v_cmp_le_i32_e64 s4, s9, v78
	s_or_b32 s6, s4, s6
	s_and_not1_b32 exec_lo, exec_lo, s6
	s_cbranch_execz .LBB17_12
.LBB17_10:                              ; =>This Inner Loop Header: Depth=1
	s_wait_dscnt 0x0
	global_load_b32 v80, v[70:71], off
	scratch_load_b64 v[0:1], off, off offset:52 ; 8-byte Folded Reload
	s_wait_loadcnt 0x1
	v_ashrrev_i32_e32 v81, 31, v80
	s_delay_alu instid0(VALU_DEP_1) | instskip(SKIP_1) | instid1(VALU_DEP_1)
	v_mul_u64_e32 v[80:81], s[16:17], v[80:81]
	s_wait_loadcnt 0x0
	v_lshl_add_u64 v[80:81], v[80:81], 2, v[0:1]
	s_clause 0x3e
	global_load_b32 v79, v[80:81], off offset:128
	global_load_b32 v82, v[80:81], off offset:256
	;; [unrolled: 1-line block ×7, first 2 shown]
	global_load_b32 v89, v[80:81], off
	global_load_b32 v90, v[80:81], off offset:1024
	global_load_b32 v91, v[80:81], off offset:1152
	;; [unrolled: 1-line block ×56, first 2 shown]
	scratch_load_b128 v[10:13], off, off offset:4 ; 16-byte Folded Reload
	s_wait_loadcnt 0x0
	v_mul_f32_e32 v9, v11, v79
	s_delay_alu instid0(VALU_DEP_1) | instskip(NEXT) | instid1(VALU_DEP_1)
	v_fmac_f32_e32 v9, v10, v89
	v_fmac_f32_e32 v9, v12, v82
	s_delay_alu instid0(VALU_DEP_1) | instskip(SKIP_3) | instid1(VALU_DEP_1)
	v_fmac_f32_e32 v9, v13, v83
	scratch_load_b128 v[10:13], off, off offset:20 ; 16-byte Folded Reload
	s_wait_loadcnt 0x0
	v_fmac_f32_e32 v9, v10, v84
	v_fmac_f32_e32 v9, v11, v85
	s_delay_alu instid0(VALU_DEP_1) | instskip(NEXT) | instid1(VALU_DEP_1)
	v_fmac_f32_e32 v9, v12, v86
	v_fmac_f32_e32 v9, v13, v87
	scratch_load_b128 v[10:13], off, off offset:36 ; 16-byte Folded Reload
	s_wait_loadcnt 0x0
	v_fmac_f32_e32 v9, v10, v90
	s_delay_alu instid0(VALU_DEP_1) | instskip(NEXT) | instid1(VALU_DEP_1)
	v_fmac_f32_e32 v9, v11, v91
	v_fmac_f32_e32 v9, v12, v92
	s_delay_alu instid0(VALU_DEP_1) | instskip(SKIP_1) | instid1(VALU_DEP_1)
	v_fmac_f32_e32 v9, v13, v93
	s_wait_dscnt 0xc
	v_fmac_f32_e32 v9, v14, v94
	s_delay_alu instid0(VALU_DEP_1) | instskip(NEXT) | instid1(VALU_DEP_1)
	v_fmac_f32_e32 v9, v15, v95
	v_fmac_f32_e32 v9, v16, v96
	s_delay_alu instid0(VALU_DEP_1) | instskip(SKIP_1) | instid1(VALU_DEP_1)
	v_fmac_f32_e32 v9, v17, v97
	s_wait_dscnt 0xb
	;; [unrolled: 7-line block ×10, first 2 shown]
	v_fmac_f32_e32 v9, v50, v67
	s_delay_alu instid0(VALU_DEP_1) | instskip(NEXT) | instid1(VALU_DEP_1)
	v_fmac_f32_e32 v9, v51, v73
	v_fmac_f32_e32 v9, v52, v0
	scratch_load_b32 v0, off, off offset:60 ; 4-byte Folded Reload
	v_fmac_f32_e32 v9, v53, v72
	s_wait_dscnt 0x2
	s_delay_alu instid0(VALU_DEP_1) | instskip(NEXT) | instid1(VALU_DEP_1)
	v_fmac_f32_e32 v9, v54, v68
	v_fmac_f32_e32 v9, v55, v69
	s_delay_alu instid0(VALU_DEP_1) | instskip(NEXT) | instid1(VALU_DEP_1)
	v_fmac_f32_e32 v9, v56, v74
	v_fmac_f32_e32 v9, v57, v75
	s_wait_dscnt 0x1
	s_delay_alu instid0(VALU_DEP_1) | instskip(NEXT) | instid1(VALU_DEP_1)
	v_fmac_f32_e32 v9, v58, v66
	v_fmac_f32_e32 v9, v59, v2
	s_delay_alu instid0(VALU_DEP_1) | instskip(NEXT) | instid1(VALU_DEP_1)
	v_fmac_f32_e32 v9, v60, v3
	;; [unrolled: 7-line block ×3, first 2 shown]
	v_fmac_f32_e32 v9, v65, v8
	s_wait_loadcnt 0x0
	ds_bpermute_b32 v0, v0, v9
	s_wait_dscnt 0x0
	v_add_f32_e32 v79, v9, v0
	scratch_load_b32 v0, off, off offset:64 ; 4-byte Folded Reload
	s_wait_loadcnt 0x0
	s_wait_xcnt 0x5
	ds_bpermute_b32 v80, v0, v79
	s_wait_xcnt 0x0
	s_and_saveexec_b32 s25, vcc_lo
	s_cbranch_execz .LBB17_9
; %bb.11:                               ;   in Loop: Header=BB17_10 Depth=1
	scratch_load_b32 v3, off, off           ; 4-byte Folded Reload
	v_add_nc_u32_e32 v0, s15, v76
	v_cmp_gt_i32_e64 s4, s22, v76
	s_wait_dscnt 0x0
	v_add_f32_e32 v1, v79, v80
	s_wait_loadcnt 0x0
	v_max_num_f32_e32 v2, v3, v3
	v_cvt_f32_i32_e32 v0, v0
	s_delay_alu instid0(VALU_DEP_1) | instskip(NEXT) | instid1(VALU_DEP_1)
	v_mul_f32_e32 v0, s23, v0
	v_cndmask_b32_e64 v0, 0, v0, s3
	s_delay_alu instid0(VALU_DEP_1) | instskip(NEXT) | instid1(VALU_DEP_1)
	v_fmac_f32_e32 v0, s7, v1
	v_dual_max_num_f32 v1, v2, v0 :: v_dual_cndmask_b32 v0, 0, v0, s4
	s_delay_alu instid0(VALU_DEP_1)
	v_cndmask_b32_e64 v3, v3, v1, s4
	ds_store_b32 v77, v0
	scratch_store_b32 off, v3, off          ; 4-byte Folded Spill
	s_branch .LBB17_9
.LBB17_12:
	s_or_b32 exec_lo, exec_lo, s6
	s_clause 0x5
	scratch_load_b32 v99, off, off offset:68
	scratch_load_b32 v100, off, off offset:72
	;; [unrolled: 1-line block ×4, first 2 shown]
	scratch_load_b64 v[8:9], off, off offset:84
	scratch_load_b32 v0, off, off
	v_mov_b32_e32 v10, 32
.LBB17_13:
	s_wait_xcnt 0x0
	s_or_b32 exec_lo, exec_lo, s24
	s_wait_loadcnt 0x0
	v_dual_max_num_f32 v5, v0, v0 :: v_dual_bitop2_b32 v2, 16, v46 bitop3:0x14
	v_xor_b32_e32 v4, 8, v46
	s_clause 0x1
	s_load_b64 s[6:7], s[0:1], 0x0
	s_load_b64 s[16:17], s[0:1], 0x18
	v_and_b32_e32 v90, 31, v99
	v_cmp_lt_i32_e32 vcc_lo, v2, v10
	v_cndmask_b32_e32 v2, v46, v2, vcc_lo
	v_cmp_lt_i32_e32 vcc_lo, v4, v10
	s_delay_alu instid0(VALU_DEP_2) | instskip(SKIP_3) | instid1(VALU_DEP_1)
	v_dual_cndmask_b32 v4, v46, v4, vcc_lo :: v_dual_lshlrev_b32 v2, 2, v2
	ds_bpermute_b32 v3, v2, v0
	s_wait_dscnt 0x0
	v_dual_max_num_f32 v6, v3, v3 :: v_dual_lshlrev_b32 v3, 2, v4
	v_max_num_f32_e32 v4, v5, v6
	ds_bpermute_b32 v5, v3, v4
	s_wait_dscnt 0x0
	v_dual_max_num_f32 v5, v5, v5 :: v_dual_bitop2_b32 v6, 4, v46 bitop3:0x14
	s_delay_alu instid0(VALU_DEP_1) | instskip(NEXT) | instid1(VALU_DEP_2)
	v_max_num_f32_e32 v5, v4, v5
	v_cmp_lt_i32_e32 vcc_lo, v6, v10
	v_dual_lshlrev_b32 v4, 2, v100 :: v_dual_cndmask_b32 v6, v46, v6, vcc_lo
	v_cmp_eq_u32_e32 vcc_lo, 0, v90
	s_delay_alu instid0(VALU_DEP_2)
	v_lshlrev_b32_e32 v6, 2, v6
	ds_bpermute_b32 v7, v6, v5
	s_wait_xcnt 0x0
	s_and_saveexec_b32 s0, vcc_lo
	s_cbranch_execz .LBB17_15
; %bb.14:
	s_wait_dscnt 0x0
	v_dual_max_num_f32 v0, v7, v7 :: v_dual_max_num_f32 v1, v5, v5
	s_delay_alu instid0(VALU_DEP_1)
	v_max_num_f32_e32 v0, v1, v0
	ds_store_b32 v4, v0 offset:1024
.LBB17_15:
	s_or_b32 exec_lo, exec_lo, s0
	v_cmp_gt_u32_e64 s0, 4, v90
	v_dual_mov_b32 v8, 0xff7fffff :: v_dual_lshlrev_b32 v5, 2, v90
	s_wait_storecnt_dscnt 0x0
	s_barrier_signal -1
	s_barrier_wait -1
	s_and_saveexec_b32 s1, s0
; %bb.16:
	ds_load_b32 v8, v5 offset:1024
; %bb.17:
	s_or_b32 exec_lo, exec_lo, s1
	v_xor_b32_e32 v0, 2, v46
	v_xor_b32_e32 v1, 1, v46
	s_delay_alu instid0(VALU_DEP_2) | instskip(NEXT) | instid1(VALU_DEP_1)
	v_cmp_lt_i32_e64 s1, v0, v10
	v_cndmask_b32_e64 v0, v46, v0, s1
	s_delay_alu instid0(VALU_DEP_3) | instskip(NEXT) | instid1(VALU_DEP_1)
	v_cmp_lt_i32_e64 s1, v1, v10
	v_dual_lshlrev_b32 v7, 2, v0 :: v_dual_cndmask_b32 v1, v46, v1, s1
	s_lshl_b32 s1, s9, 3
	s_delay_alu instid0(SALU_CYCLE_1)
	s_min_i32 s4, s1, s22
	s_wait_dscnt 0x0
	ds_bpermute_b32 v0, v7, v8
	v_max_num_f32_e32 v8, v8, v8
	v_cmp_gt_i32_e64 s1, s4, v99
	s_wait_dscnt 0x0
	v_dual_max_num_f32 v0, v0, v0 :: v_dual_lshlrev_b32 v91, 2, v1
	s_delay_alu instid0(VALU_DEP_1) | instskip(SKIP_3) | instid1(VALU_DEP_1)
	v_dual_max_num_f32 v0, v8, v0 :: v_dual_mov_b32 v8, 0
	ds_bpermute_b32 v1, v91, v0
	s_wait_dscnt 0x0
	v_max_num_f32_e32 v1, v1, v1
	v_max_num_f32_e32 v0, v0, v1
	v_lshlrev_b32_e32 v1, 2, v9
	ds_bpermute_b32 v9, v1, v0
	s_and_saveexec_b32 s15, s1
	s_cbranch_execz .LBB17_21
; %bb.18:
	v_lshl_add_u32 v10, v99, 2, 0x420
	v_dual_mov_b32 v8, 0 :: v_dual_mov_b32 v11, v99
	s_mov_b32 s23, 0
.LBB17_19:                              ; =>This Inner Loop Header: Depth=1
	ds_load_b32 v0, v10
	v_add_nc_u32_e32 v11, 0x80, v11
	s_delay_alu instid0(VALU_DEP_1) | instskip(SKIP_3) | instid1(VALU_DEP_1)
	v_cmp_le_i32_e64 s3, s4, v11
	s_or_b32 s23, s3, s23
	s_wait_dscnt 0x0
	v_sub_f32_e32 v0, v0, v9
	v_mul_f32_e32 v0, 0x3fb8aa3b, v0
	s_delay_alu instid0(VALU_DEP_1)
	v_exp_f32_e32 v0, v0
	ds_store_b32 v10, v0
	v_nop
	v_add_f32_e32 v8, v8, v0
	v_add_nc_u32_e32 v10, 0x200, v10
	s_and_not1_b32 exec_lo, exec_lo, s23
	s_cbranch_execnz .LBB17_19
; %bb.20:
	s_or_b32 exec_lo, exec_lo, s23
.LBB17_21:
	s_delay_alu instid0(SALU_CYCLE_1)
	s_or_b32 exec_lo, exec_lo, s15
	ds_bpermute_b32 v0, v2, v8
	s_wait_dscnt 0x0
	v_add_f32_e32 v0, v8, v0
	ds_bpermute_b32 v1, v3, v0
	s_wait_dscnt 0x0
	v_add_f32_e32 v0, v0, v1
	;; [unrolled: 3-line block ×5, first 2 shown]
	s_and_saveexec_b32 s3, vcc_lo
; %bb.22:
	ds_store_b32 v4, v2 offset:1040
; %bb.23:
	s_or_b32 exec_lo, exec_lo, s3
	s_wait_dscnt 0x0
	s_barrier_signal -1
	s_barrier_wait -1
	s_and_saveexec_b32 s3, s0
; %bb.24:
	ds_load_b32 v2, v5 offset:1040
; %bb.25:
	s_or_b32 exec_lo, exec_lo, s3
	s_wait_dscnt 0x0
	ds_bpermute_b32 v0, v7, v2
	s_wait_dscnt 0x0
	v_dual_add_f32 v0, v2, v0 :: v_dual_lshlrev_b32 v2, 2, v46
	ds_bpermute_b32 v1, v91, v0
	s_wait_dscnt 0x0
	v_add_f32_e32 v0, v0, v1
	v_and_b32_e32 v1, 0xffffff80, v2
	ds_bpermute_b32 v2, v1, v0
	s_and_saveexec_b32 s0, s1
	s_cbranch_execz .LBB17_38
; %bb.26:
	s_wait_dscnt 0x0
	v_add_f32_e32 v0, 0x358637bd, v2
	s_mov_b32 s3, -1
	s_mov_b32 s1, exec_lo
	s_delay_alu instid0(VALU_DEP_1) | instskip(SKIP_1) | instid1(VALU_DEP_2)
	v_div_scale_f32 v1, null, v0, v0, 1.0
	v_div_scale_f32 v4, vcc_lo, 1.0, v0, 1.0
	v_rcp_f32_e32 v2, v1
	v_nop
	s_delay_alu instid0(TRANS32_DEP_1) | instskip(NEXT) | instid1(VALU_DEP_1)
	v_fma_f32 v3, -v1, v2, 1.0
	v_fmac_f32_e32 v2, v3, v2
	s_delay_alu instid0(VALU_DEP_1) | instskip(NEXT) | instid1(VALU_DEP_1)
	v_mul_f32_e32 v3, v4, v2
	v_fma_f32 v5, -v1, v3, v4
	s_delay_alu instid0(VALU_DEP_1) | instskip(NEXT) | instid1(VALU_DEP_1)
	v_fmac_f32_e32 v3, v5, v2
	v_fma_f32 v1, -v1, v3, v4
	v_xad_u32 v4, v99, -1, s4
	s_delay_alu instid0(VALU_DEP_2) | instskip(SKIP_1) | instid1(VALU_DEP_2)
	v_div_fmas_f32 v1, v1, v2, v3
	v_mov_b32_e32 v3, v99
	v_div_fixup_f32 v2, v1, v0, 1.0
	s_delay_alu instid0(VALU_DEP_4)
	v_cmpx_lt_u32_e32 0x7f, v4
	s_cbranch_execz .LBB17_35
; %bb.27:
	s_delay_alu instid0(VALU_DEP_2) | instskip(SKIP_1) | instid1(VALU_DEP_1)
	v_dual_mov_b32 v3, v2 :: v_dual_lshrrev_b32 v4, 7, v4
	s_mov_b32 s3, exec_lo
	v_dual_mov_b32 v8, 0 :: v_dual_add_nc_u32 v0, -1, v4
	s_delay_alu instid0(VALU_DEP_1) | instskip(NEXT) | instid1(VALU_DEP_1)
	v_lshrrev_b32_e32 v1, 1, v0
	v_add_nc_u32_e32 v5, 1, v1
	v_cmpx_lt_u32_e32 13, v0
	s_cbranch_execz .LBB17_31
; %bb.28:
	s_delay_alu instid0(VALU_DEP_2)
	v_and_b32_e32 v6, -8, v5
	v_lshl_add_u32 v7, v99, 2, 0x420
	s_mov_b32 s15, 0
	s_mov_b32 s23, 0
.LBB17_29:                              ; =>This Inner Loop Header: Depth=1
	ds_load_2addr_stride64_b32 v[8:9], v7 offset1:2
	ds_load_2addr_stride64_b32 v[10:11], v7 offset0:4 offset1:6
	ds_load_2addr_stride64_b32 v[12:13], v7 offset0:8 offset1:10
	;; [unrolled: 1-line block ×7, first 2 shown]
	s_add_co_i32 s23, s23, 16
	v_add_nc_u32_e32 v6, -8, v6
	s_wait_dscnt 0x7
	v_pk_mul_f32 v[8:9], v[2:3], v[8:9]
	s_wait_dscnt 0x6
	v_pk_mul_f32 v[10:11], v[2:3], v[10:11]
	s_wait_dscnt 0x5
	v_pk_mul_f32 v[12:13], v[2:3], v[12:13]
	s_wait_dscnt 0x4
	v_pk_mul_f32 v[14:15], v[2:3], v[14:15]
	s_wait_dscnt 0x3
	v_pk_mul_f32 v[16:17], v[2:3], v[16:17]
	s_wait_dscnt 0x2
	v_pk_mul_f32 v[18:19], v[2:3], v[18:19]
	s_wait_dscnt 0x1
	v_pk_mul_f32 v[20:21], v[2:3], v[20:21]
	s_wait_dscnt 0x0
	v_pk_mul_f32 v[22:23], v[2:3], v[22:23]
	ds_store_2addr_stride64_b32 v7, v8, v9 offset1:2
	ds_store_2addr_stride64_b32 v7, v10, v11 offset0:4 offset1:6
	ds_store_2addr_stride64_b32 v7, v12, v13 offset0:8 offset1:10
	;; [unrolled: 1-line block ×7, first 2 shown]
	v_mov_b32_e32 v8, s23
	v_cmp_eq_u32_e32 vcc_lo, 0, v6
	v_add_nc_u32_e32 v7, 0x2000, v7
	s_or_b32 s15, vcc_lo, s15
	s_delay_alu instid0(SALU_CYCLE_1)
	s_and_not1_b32 exec_lo, exec_lo, s15
	s_cbranch_execnz .LBB17_29
; %bb.30:
	s_or_b32 exec_lo, exec_lo, s15
.LBB17_31:
	s_delay_alu instid0(SALU_CYCLE_1) | instskip(NEXT) | instid1(VALU_DEP_2)
	s_or_b32 exec_lo, exec_lo, s3
	v_and_b32_e32 v5, 7, v5
	s_mov_b32 s15, 0
	s_mov_b32 s3, exec_lo
	s_delay_alu instid0(VALU_DEP_1)
	v_cmpx_ne_u32_e32 0, v5
	s_cbranch_execz .LBB17_34
; %bb.32:
	v_dual_lshlrev_b32 v0, 9, v8 :: v_dual_lshlrev_b32 v1, 2, v99
	s_delay_alu instid0(VALU_DEP_1)
	v_add3_u32 v6, v0, v1, 0x420
.LBB17_33:                              ; =>This Inner Loop Header: Depth=1
	ds_load_2addr_stride64_b32 v[8:9], v6 offset1:2
	v_add_nc_u32_e32 v5, -1, v5
	s_delay_alu instid0(VALU_DEP_1)
	v_cmp_eq_u32_e32 vcc_lo, 0, v5
	s_or_b32 s15, vcc_lo, s15
	s_wait_dscnt 0x0
	v_pk_mul_f32 v[8:9], v[2:3], v[8:9]
	ds_store_2addr_stride64_b32 v6, v8, v9 offset1:2
	v_add_nc_u32_e32 v6, 0x400, v6
	s_and_not1_b32 exec_lo, exec_lo, s15
	s_cbranch_execnz .LBB17_33
.LBB17_34:
	s_or_b32 exec_lo, exec_lo, s3
	v_add_nc_u32_e32 v0, 1, v4
	s_delay_alu instid0(VALU_DEP_1) | instskip(NEXT) | instid1(VALU_DEP_1)
	v_and_b32_e32 v1, 0x3fffffe, v0
	v_cmp_ne_u32_e32 vcc_lo, v0, v1
	v_lshl_add_u32 v3, v1, 7, v99
	s_or_not1_b32 s3, vcc_lo, exec_lo
.LBB17_35:
	s_or_b32 exec_lo, exec_lo, s1
	s_delay_alu instid0(SALU_CYCLE_1)
	s_and_b32 exec_lo, exec_lo, s3
	s_cbranch_execz .LBB17_38
; %bb.36:
	v_lshl_add_u32 v4, v3, 2, 0x420
	s_mov_b32 s1, 0
.LBB17_37:                              ; =>This Inner Loop Header: Depth=1
	ds_load_b32 v0, v4
	s_wait_dscnt 0x0
	v_dual_mul_f32 v0, v2, v0 :: v_dual_add_nc_u32 v3, 0x80, v3
	s_delay_alu instid0(VALU_DEP_1) | instskip(SKIP_3) | instid1(SALU_CYCLE_1)
	v_cmp_le_i32_e32 vcc_lo, s4, v3
	ds_store_b32 v4, v0
	v_add_nc_u32_e32 v4, 0x200, v4
	s_or_b32 s1, vcc_lo, s1
	s_and_not1_b32 exec_lo, exec_lo, s1
	s_cbranch_execnz .LBB17_37
.LBB17_38:
	s_or_b32 exec_lo, exec_lo, s0
	v_dual_mov_b32 v71, 0 :: v_dual_bitop2_b32 v92, 1, v99 bitop3:0x40
	s_wait_dscnt 0x0
	s_barrier_signal -1
	s_barrier_wait -1
	s_delay_alu instid0(VALU_DEP_1)
	v_dual_mov_b32 v70, v71 :: v_dual_mov_b32 v73, v71
	v_dual_mov_b32 v72, v71 :: v_dual_mov_b32 v75, v71
	;; [unrolled: 1-line block ×7, first 2 shown]
	v_mov_b32_e32 v84, v71
	s_and_saveexec_b32 s1, s2
	s_cbranch_execz .LBB17_74
; %bb.39:
	v_dual_lshlrev_b32 v0, 2, v99 :: v_dual_lshlrev_b32 v1, 4, v99
	s_ashr_i32 s15, s14, 31
	s_ashr_i32 s3, s5, 31
	s_lshl_b64 s[14:15], s[14:15], 2
	s_delay_alu instid0(VALU_DEP_1)
	v_dual_mov_b32 v71, 0 :: v_dual_bitop2_b32 v0, 4, v0 bitop3:0x40
	v_and_b32_e32 v70, 0x1f0, v1
	s_wait_kmcnt 0x0
	s_add_nc_u64 s[14:15], s[16:17], s[14:15]
	v_lshlrev_b32_e32 v1, 4, v92
	s_mov_b32 s2, s5
	s_lshl_b64 s[4:5], s[10:11], 2
	v_add_nc_u64_e32 v[86:87], s[14:15], v[70:71]
	v_and_b32_e32 v70, 0x7c, v66
	s_add_nc_u64 s[4:5], s[12:13], s[4:5]
	v_lshl_or_b32 v93, v100, 3, v0
	v_dual_mov_b32 v72, v71 :: v_dual_mov_b32 v75, v71
	s_delay_alu instid0(VALU_DEP_3) | instskip(SKIP_4) | instid1(VALU_DEP_3)
	v_add_nc_u64_e32 v[88:89], s[4:5], v[70:71]
	v_mov_b32_e32 v70, v71
	v_lshl_or_b32 v1, v100, 5, v1
	v_dual_mov_b32 v73, v71 :: v_dual_mov_b32 v74, v71
	v_dual_mov_b32 v77, v71 :: v_dual_mov_b32 v76, v71
	v_dual_mov_b32 v79, v71 :: v_dual_add_nc_u32 v94, 0x420, v1
	v_dual_mov_b32 v78, v71 :: v_dual_mov_b32 v81, v71
	v_dual_mov_b32 v80, v71 :: v_dual_mov_b32 v83, v71
	;; [unrolled: 1-line block ×4, first 2 shown]
	s_add_co_i32 s4, s9, -1
	s_mov_b32 s10, s22
	s_mov_b32 s5, 0
	s_branch .LBB17_41
.LBB17_40:                              ;   in Loop: Header=BB17_41 Depth=1
	s_or_b32 exec_lo, exec_lo, s0
	s_wait_loadcnt_dscnt 0x200
	v_mul_f32_e32 v1, v6, v62
	s_wait_loadcnt 0x1
	v_mul_f32_e32 v0, v6, v66
	v_add_nc_u64_e32 v[88:89], 16, v[88:89]
	v_add_nc_u32_e32 v93, 32, v93
	v_dual_fmac_f32 v1, v7, v63 :: v_dual_add_nc_u32 v94, 0x80, v94
	s_delay_alu instid0(VALU_DEP_4) | instskip(SKIP_1) | instid1(VALU_DEP_3)
	v_dual_fmac_f32 v0, v7, v67 :: v_dual_mul_f32 v54, v6, v54
	v_dual_mul_f32 v46, v6, v46 :: v_dual_add_nc_u32 v95, 4, v95
	v_fmac_f32_e32 v1, v8, v64
	s_delay_alu instid0(VALU_DEP_3) | instskip(NEXT) | instid1(VALU_DEP_4)
	v_dual_fmac_f32 v0, v8, v68 :: v_dual_mul_f32 v50, v6, v50
	v_dual_fmac_f32 v54, v7, v55 :: v_dual_mul_f32 v42, v6, v42
	s_delay_alu instid0(VALU_DEP_2) | instskip(NEXT) | instid1(VALU_DEP_3)
	v_dual_fmac_f32 v46, v7, v47 :: v_dual_fmac_f32 v0, v9, v69
	v_dual_fmac_f32 v50, v7, v51 :: v_dual_fmac_f32 v1, v9, v65
	s_delay_alu instid0(VALU_DEP_3) | instskip(NEXT) | instid1(VALU_DEP_4)
	v_fmac_f32_e32 v42, v7, v43
	v_fmac_f32_e32 v54, v8, v56
	v_cmp_le_i32_e32 vcc_lo, s9, v95
	s_delay_alu instid0(VALU_DEP_4) | instskip(NEXT) | instid1(VALU_DEP_3)
	v_dual_fmac_f32 v50, v8, v52 :: v_dual_add_f32 v73, v73, v1
	v_dual_add_f32 v70, v70, v0 :: v_dual_fmac_f32 v54, v9, v57
	s_delay_alu instid0(VALU_DEP_2) | instskip(SKIP_2) | instid1(VALU_DEP_4)
	v_dual_mul_f32 v0, v6, v38 :: v_dual_fmac_f32 v50, v9, v53
	v_mul_f32_e32 v1, v6, v34
	v_mul_f32_e32 v30, v6, v30
	v_add_f32_e32 v72, v72, v54
	s_delay_alu instid0(VALU_DEP_4) | instskip(SKIP_3) | instid1(VALU_DEP_4)
	v_dual_fmac_f32 v46, v8, v48 :: v_dual_add_f32 v75, v75, v50
	v_fmac_f32_e32 v0, v7, v39
	v_dual_fmac_f32 v1, v7, v35 :: v_dual_mul_f32 v26, v6, v26
	v_fmac_f32_e32 v30, v7, v31
	v_fmac_f32_e32 v46, v9, v49
	;; [unrolled: 1-line block ×3, first 2 shown]
	v_dual_fmac_f32 v0, v8, v40 :: v_dual_mul_f32 v22, v6, v22
	s_delay_alu instid0(VALU_DEP_3) | instskip(NEXT) | instid1(VALU_DEP_3)
	v_dual_fmac_f32 v26, v7, v27 :: v_dual_add_f32 v74, v74, v46
	v_fmac_f32_e32 v42, v9, v45
	s_delay_alu instid0(VALU_DEP_3) | instskip(SKIP_1) | instid1(VALU_DEP_3)
	v_dual_fmac_f32 v0, v9, v41 :: v_dual_fmac_f32 v22, v7, v23
	v_fmac_f32_e32 v30, v8, v32
	v_dual_fmac_f32 v1, v8, v36 :: v_dual_add_f32 v77, v77, v42
	v_fmac_f32_e32 v26, v8, v28
	s_delay_alu instid0(VALU_DEP_3) | instskip(NEXT) | instid1(VALU_DEP_3)
	v_dual_add_f32 v76, v76, v0 :: v_dual_fmac_f32 v30, v9, v33
	v_dual_fmac_f32 v1, v9, v37 :: v_dual_fmac_f32 v22, v8, v24
	s_delay_alu instid0(VALU_DEP_3) | instskip(NEXT) | instid1(VALU_DEP_2)
	v_dual_mul_f32 v0, v6, v18 :: v_dual_fmac_f32 v26, v9, v29
	v_dual_add_f32 v78, v78, v30 :: v_dual_add_f32 v79, v79, v1
	s_delay_alu instid0(VALU_DEP_2) | instskip(NEXT) | instid1(VALU_DEP_3)
	v_dual_fmac_f32 v22, v9, v25 :: v_dual_fmac_f32 v0, v7, v19
	v_add_f32_e32 v81, v81, v26
	v_mul_f32_e32 v1, v6, v14
	v_mul_f32_e32 v14, v6, v2
	s_wait_loadcnt 0x0
	v_pk_mul_f32 v[18:19], v[6:7], v[58:59]
	v_dual_mul_f32 v10, v6, v10 :: v_dual_fmac_f32 v0, v8, v20
	v_dual_add_f32 v80, v80, v22 :: v_dual_fmac_f32 v1, v7, v15
	v_fmac_f32_e32 v14, v7, v3
	v_pk_mul_f32 v[2:3], v[8:9], v[60:61]
	s_delay_alu instid0(VALU_DEP_4) | instskip(NEXT) | instid1(VALU_DEP_4)
	v_dual_add_f32 v6, v19, v18 :: v_dual_fmac_f32 v0, v9, v21
	v_dual_fmac_f32 v10, v7, v11 :: v_dual_fmac_f32 v1, v8, v16
	s_or_b32 s5, vcc_lo, s5
	s_delay_alu instid0(VALU_DEP_2) | instskip(NEXT) | instid1(VALU_DEP_2)
	v_dual_add_f32 v2, v2, v6 :: v_dual_fmac_f32 v14, v8, v4
	v_dual_fmac_f32 v10, v8, v12 :: v_dual_fmac_f32 v1, v9, v17
	v_add_f32_e32 v83, v83, v0
	s_delay_alu instid0(VALU_DEP_3) | instskip(NEXT) | instid1(VALU_DEP_3)
	v_dual_add_f32 v0, v3, v2 :: v_dual_fmac_f32 v14, v9, v5
	v_fmac_f32_e32 v10, v9, v13
	s_delay_alu instid0(VALU_DEP_2) | instskip(NEXT) | instid1(VALU_DEP_3)
	v_dual_add_f32 v82, v82, v1 :: v_dual_add_f32 v71, v71, v0
	v_add_f32_e32 v84, v84, v14
	s_delay_alu instid0(VALU_DEP_3)
	v_add_f32_e32 v85, v85, v10
	s_and_not1_b32 exec_lo, exec_lo, s5
	s_cbranch_execz .LBB17_73
.LBB17_41:                              ; =>This Inner Loop Header: Depth=1
	global_load_b32 v2, v[88:89], off
	ds_load_b128 v[6:9], v94
	v_cmp_eq_u32_e32 vcc_lo, s4, v95
	v_or_b32_e32 v97, 3, v93
	v_dual_add_nc_u32 v98, 1, v93 :: v_dual_bitop2_b32 v96, 2, v93 bitop3:0x54
	s_wait_loadcnt 0x0
	v_ashrrev_i32_e32 v3, 31, v2
	s_delay_alu instid0(VALU_DEP_1) | instskip(NEXT) | instid1(VALU_DEP_1)
	v_mul_u64_e32 v[2:3], s[2:3], v[2:3]
	v_lshl_add_u64 v[58:59], v[2:3], 2, v[86:87]
	global_load_b128 v[2:5], v[58:59], off
	s_wait_xcnt 0x0
	s_and_saveexec_b32 s11, vcc_lo
	s_cbranch_execnz .LBB17_57
; %bb.42:                               ;   in Loop: Header=BB17_41 Depth=1
	s_or_b32 exec_lo, exec_lo, s11
	global_load_b128 v[10:13], v[58:59], off offset:512
	s_wait_xcnt 0x0
	s_and_saveexec_b32 s11, vcc_lo
	s_cbranch_execnz .LBB17_58
.LBB17_43:                              ;   in Loop: Header=BB17_41 Depth=1
	s_or_b32 exec_lo, exec_lo, s11
	global_load_b128 v[14:17], v[58:59], off offset:1024
	s_wait_xcnt 0x0
	s_and_saveexec_b32 s11, vcc_lo
	s_cbranch_execnz .LBB17_59
.LBB17_44:                              ;   in Loop: Header=BB17_41 Depth=1
	s_or_b32 exec_lo, exec_lo, s11
	global_load_b128 v[18:21], v[58:59], off offset:1536
	s_wait_xcnt 0x0
	s_and_saveexec_b32 s11, vcc_lo
	s_cbranch_execnz .LBB17_60
.LBB17_45:                              ;   in Loop: Header=BB17_41 Depth=1
	s_or_b32 exec_lo, exec_lo, s11
	global_load_b128 v[22:25], v[58:59], off offset:2048
	s_wait_xcnt 0x0
	s_and_saveexec_b32 s11, vcc_lo
	s_cbranch_execnz .LBB17_61
.LBB17_46:                              ;   in Loop: Header=BB17_41 Depth=1
	s_or_b32 exec_lo, exec_lo, s11
	global_load_b128 v[26:29], v[58:59], off offset:2560
	s_wait_xcnt 0x0
	s_and_saveexec_b32 s11, vcc_lo
	s_cbranch_execnz .LBB17_62
.LBB17_47:                              ;   in Loop: Header=BB17_41 Depth=1
	s_or_b32 exec_lo, exec_lo, s11
	global_load_b128 v[30:33], v[58:59], off offset:3072
	s_wait_xcnt 0x0
	s_and_saveexec_b32 s11, vcc_lo
	s_cbranch_execnz .LBB17_63
.LBB17_48:                              ;   in Loop: Header=BB17_41 Depth=1
	s_or_b32 exec_lo, exec_lo, s11
	global_load_b128 v[34:37], v[58:59], off offset:3584
	s_wait_xcnt 0x0
	s_and_saveexec_b32 s11, vcc_lo
	s_cbranch_execnz .LBB17_64
.LBB17_49:                              ;   in Loop: Header=BB17_41 Depth=1
	s_or_b32 exec_lo, exec_lo, s11
	global_load_b128 v[38:41], v[58:59], off offset:4096
	s_wait_xcnt 0x0
	s_and_saveexec_b32 s11, vcc_lo
	s_cbranch_execnz .LBB17_65
.LBB17_50:                              ;   in Loop: Header=BB17_41 Depth=1
	s_or_b32 exec_lo, exec_lo, s11
	global_load_b128 v[42:45], v[58:59], off offset:4608
	s_wait_xcnt 0x0
	s_and_saveexec_b32 s11, vcc_lo
	s_cbranch_execnz .LBB17_66
.LBB17_51:                              ;   in Loop: Header=BB17_41 Depth=1
	s_or_b32 exec_lo, exec_lo, s11
	global_load_b128 v[46:49], v[58:59], off offset:5120
	s_wait_xcnt 0x0
	s_and_saveexec_b32 s11, vcc_lo
	s_cbranch_execnz .LBB17_67
.LBB17_52:                              ;   in Loop: Header=BB17_41 Depth=1
	s_or_b32 exec_lo, exec_lo, s11
	global_load_b128 v[50:53], v[58:59], off offset:5632
	s_wait_xcnt 0x0
	s_and_saveexec_b32 s11, vcc_lo
	s_cbranch_execnz .LBB17_68
.LBB17_53:                              ;   in Loop: Header=BB17_41 Depth=1
	s_or_b32 exec_lo, exec_lo, s11
	global_load_b128 v[54:57], v[58:59], off offset:6144
	s_wait_xcnt 0x0
	s_and_saveexec_b32 s11, vcc_lo
	s_cbranch_execnz .LBB17_69
.LBB17_54:                              ;   in Loop: Header=BB17_41 Depth=1
	s_or_b32 exec_lo, exec_lo, s11
	global_load_b128 v[62:65], v[58:59], off offset:6656
	s_wait_xcnt 0x0
	s_and_saveexec_b32 s11, vcc_lo
	s_cbranch_execnz .LBB17_70
.LBB17_55:                              ;   in Loop: Header=BB17_41 Depth=1
	s_or_b32 exec_lo, exec_lo, s11
	global_load_b128 v[66:69], v[58:59], off offset:7168
	s_wait_xcnt 0x0
	s_and_saveexec_b32 s11, vcc_lo
	s_cbranch_execnz .LBB17_71
.LBB17_56:                              ;   in Loop: Header=BB17_41 Depth=1
	s_or_b32 exec_lo, exec_lo, s11
	global_load_b128 v[58:61], v[58:59], off offset:7680
	s_wait_xcnt 0x0
	s_and_saveexec_b32 s0, vcc_lo
	s_cbranch_execz .LBB17_40
	s_branch .LBB17_72
.LBB17_57:                              ;   in Loop: Header=BB17_41 Depth=1
	v_cmp_gt_i32_e64 s0, s10, v98
	s_wait_loadcnt 0x0
	s_delay_alu instid0(VALU_DEP_1) | instskip(SKIP_1) | instid1(VALU_DEP_1)
	v_cndmask_b32_e64 v3, 0, v3, s0
	v_cmp_gt_i32_e64 s0, s22, v93
	v_cndmask_b32_e64 v2, 0, v2, s0
	v_cmp_gt_i32_e64 s0, s10, v97
	s_delay_alu instid0(VALU_DEP_1) | instskip(SKIP_1) | instid1(VALU_DEP_1)
	v_cndmask_b32_e64 v5, 0, v5, s0
	v_cmp_gt_i32_e64 s0, s22, v96
	v_cndmask_b32_e64 v4, 0, v4, s0
	s_or_b32 exec_lo, exec_lo, s11
	global_load_b128 v[10:13], v[58:59], off offset:512
	s_wait_xcnt 0x0
	s_and_saveexec_b32 s11, vcc_lo
	s_cbranch_execz .LBB17_43
.LBB17_58:                              ;   in Loop: Header=BB17_41 Depth=1
	v_cmp_gt_i32_e64 s0, s10, v98
	s_wait_loadcnt 0x0
	s_delay_alu instid0(VALU_DEP_1) | instskip(SKIP_1) | instid1(VALU_DEP_1)
	v_cndmask_b32_e64 v11, 0, v11, s0
	v_cmp_gt_i32_e64 s0, s22, v93
	v_cndmask_b32_e64 v10, 0, v10, s0
	v_cmp_gt_i32_e64 s0, s10, v97
	s_delay_alu instid0(VALU_DEP_1) | instskip(SKIP_1) | instid1(VALU_DEP_1)
	v_cndmask_b32_e64 v13, 0, v13, s0
	v_cmp_gt_i32_e64 s0, s22, v96
	v_cndmask_b32_e64 v12, 0, v12, s0
	s_or_b32 exec_lo, exec_lo, s11
	global_load_b128 v[14:17], v[58:59], off offset:1024
	s_wait_xcnt 0x0
	s_and_saveexec_b32 s11, vcc_lo
	s_cbranch_execz .LBB17_44
.LBB17_59:                              ;   in Loop: Header=BB17_41 Depth=1
	v_cmp_gt_i32_e64 s0, s10, v98
	s_wait_loadcnt 0x0
	s_delay_alu instid0(VALU_DEP_1) | instskip(SKIP_1) | instid1(VALU_DEP_1)
	v_cndmask_b32_e64 v15, 0, v15, s0
	v_cmp_gt_i32_e64 s0, s22, v93
	v_cndmask_b32_e64 v14, 0, v14, s0
	v_cmp_gt_i32_e64 s0, s10, v97
	s_delay_alu instid0(VALU_DEP_1) | instskip(SKIP_1) | instid1(VALU_DEP_1)
	v_cndmask_b32_e64 v17, 0, v17, s0
	v_cmp_gt_i32_e64 s0, s22, v96
	v_cndmask_b32_e64 v16, 0, v16, s0
	s_or_b32 exec_lo, exec_lo, s11
	global_load_b128 v[18:21], v[58:59], off offset:1536
	s_wait_xcnt 0x0
	s_and_saveexec_b32 s11, vcc_lo
	s_cbranch_execz .LBB17_45
.LBB17_60:                              ;   in Loop: Header=BB17_41 Depth=1
	v_cmp_gt_i32_e64 s0, s10, v98
	s_wait_loadcnt 0x0
	s_delay_alu instid0(VALU_DEP_1) | instskip(SKIP_1) | instid1(VALU_DEP_1)
	v_cndmask_b32_e64 v19, 0, v19, s0
	v_cmp_gt_i32_e64 s0, s22, v93
	v_cndmask_b32_e64 v18, 0, v18, s0
	v_cmp_gt_i32_e64 s0, s10, v97
	s_delay_alu instid0(VALU_DEP_1) | instskip(SKIP_1) | instid1(VALU_DEP_1)
	v_cndmask_b32_e64 v21, 0, v21, s0
	v_cmp_gt_i32_e64 s0, s22, v96
	v_cndmask_b32_e64 v20, 0, v20, s0
	s_or_b32 exec_lo, exec_lo, s11
	global_load_b128 v[22:25], v[58:59], off offset:2048
	s_wait_xcnt 0x0
	s_and_saveexec_b32 s11, vcc_lo
	s_cbranch_execz .LBB17_46
.LBB17_61:                              ;   in Loop: Header=BB17_41 Depth=1
	v_cmp_gt_i32_e64 s0, s10, v98
	s_wait_loadcnt 0x0
	s_delay_alu instid0(VALU_DEP_1) | instskip(SKIP_1) | instid1(VALU_DEP_1)
	v_cndmask_b32_e64 v23, 0, v23, s0
	v_cmp_gt_i32_e64 s0, s22, v93
	v_cndmask_b32_e64 v22, 0, v22, s0
	v_cmp_gt_i32_e64 s0, s10, v97
	s_delay_alu instid0(VALU_DEP_1) | instskip(SKIP_1) | instid1(VALU_DEP_1)
	v_cndmask_b32_e64 v25, 0, v25, s0
	v_cmp_gt_i32_e64 s0, s22, v96
	v_cndmask_b32_e64 v24, 0, v24, s0
	s_or_b32 exec_lo, exec_lo, s11
	global_load_b128 v[26:29], v[58:59], off offset:2560
	s_wait_xcnt 0x0
	s_and_saveexec_b32 s11, vcc_lo
	s_cbranch_execz .LBB17_47
.LBB17_62:                              ;   in Loop: Header=BB17_41 Depth=1
	v_cmp_gt_i32_e64 s0, s10, v98
	s_wait_loadcnt 0x0
	s_delay_alu instid0(VALU_DEP_1) | instskip(SKIP_1) | instid1(VALU_DEP_1)
	v_cndmask_b32_e64 v27, 0, v27, s0
	v_cmp_gt_i32_e64 s0, s22, v93
	v_cndmask_b32_e64 v26, 0, v26, s0
	v_cmp_gt_i32_e64 s0, s10, v97
	s_delay_alu instid0(VALU_DEP_1) | instskip(SKIP_1) | instid1(VALU_DEP_1)
	v_cndmask_b32_e64 v29, 0, v29, s0
	v_cmp_gt_i32_e64 s0, s22, v96
	v_cndmask_b32_e64 v28, 0, v28, s0
	s_or_b32 exec_lo, exec_lo, s11
	global_load_b128 v[30:33], v[58:59], off offset:3072
	s_wait_xcnt 0x0
	s_and_saveexec_b32 s11, vcc_lo
	s_cbranch_execz .LBB17_48
.LBB17_63:                              ;   in Loop: Header=BB17_41 Depth=1
	v_cmp_gt_i32_e64 s0, s10, v98
	s_wait_loadcnt 0x0
	s_delay_alu instid0(VALU_DEP_1) | instskip(SKIP_1) | instid1(VALU_DEP_1)
	v_cndmask_b32_e64 v31, 0, v31, s0
	v_cmp_gt_i32_e64 s0, s22, v93
	v_cndmask_b32_e64 v30, 0, v30, s0
	v_cmp_gt_i32_e64 s0, s10, v97
	s_delay_alu instid0(VALU_DEP_1) | instskip(SKIP_1) | instid1(VALU_DEP_1)
	v_cndmask_b32_e64 v33, 0, v33, s0
	v_cmp_gt_i32_e64 s0, s22, v96
	v_cndmask_b32_e64 v32, 0, v32, s0
	s_or_b32 exec_lo, exec_lo, s11
	global_load_b128 v[34:37], v[58:59], off offset:3584
	s_wait_xcnt 0x0
	s_and_saveexec_b32 s11, vcc_lo
	s_cbranch_execz .LBB17_49
.LBB17_64:                              ;   in Loop: Header=BB17_41 Depth=1
	v_cmp_gt_i32_e64 s0, s10, v98
	s_wait_loadcnt 0x0
	s_delay_alu instid0(VALU_DEP_1) | instskip(SKIP_1) | instid1(VALU_DEP_1)
	v_cndmask_b32_e64 v35, 0, v35, s0
	v_cmp_gt_i32_e64 s0, s22, v93
	v_cndmask_b32_e64 v34, 0, v34, s0
	v_cmp_gt_i32_e64 s0, s10, v97
	s_delay_alu instid0(VALU_DEP_1) | instskip(SKIP_1) | instid1(VALU_DEP_1)
	v_cndmask_b32_e64 v37, 0, v37, s0
	v_cmp_gt_i32_e64 s0, s22, v96
	v_cndmask_b32_e64 v36, 0, v36, s0
	s_or_b32 exec_lo, exec_lo, s11
	global_load_b128 v[38:41], v[58:59], off offset:4096
	s_wait_xcnt 0x0
	s_and_saveexec_b32 s11, vcc_lo
	s_cbranch_execz .LBB17_50
.LBB17_65:                              ;   in Loop: Header=BB17_41 Depth=1
	v_cmp_gt_i32_e64 s0, s10, v98
	s_wait_loadcnt 0x0
	s_delay_alu instid0(VALU_DEP_1) | instskip(SKIP_1) | instid1(VALU_DEP_1)
	v_cndmask_b32_e64 v39, 0, v39, s0
	v_cmp_gt_i32_e64 s0, s22, v93
	v_cndmask_b32_e64 v38, 0, v38, s0
	v_cmp_gt_i32_e64 s0, s10, v97
	s_delay_alu instid0(VALU_DEP_1) | instskip(SKIP_1) | instid1(VALU_DEP_1)
	v_cndmask_b32_e64 v41, 0, v41, s0
	v_cmp_gt_i32_e64 s0, s22, v96
	v_cndmask_b32_e64 v40, 0, v40, s0
	s_or_b32 exec_lo, exec_lo, s11
	global_load_b128 v[42:45], v[58:59], off offset:4608
	s_wait_xcnt 0x0
	s_and_saveexec_b32 s11, vcc_lo
	s_cbranch_execz .LBB17_51
.LBB17_66:                              ;   in Loop: Header=BB17_41 Depth=1
	v_cmp_gt_i32_e64 s0, s10, v98
	s_wait_loadcnt 0x0
	s_delay_alu instid0(VALU_DEP_1) | instskip(SKIP_1) | instid1(VALU_DEP_1)
	v_cndmask_b32_e64 v43, 0, v43, s0
	v_cmp_gt_i32_e64 s0, s22, v93
	v_cndmask_b32_e64 v42, 0, v42, s0
	v_cmp_gt_i32_e64 s0, s10, v97
	s_delay_alu instid0(VALU_DEP_1) | instskip(SKIP_1) | instid1(VALU_DEP_1)
	v_cndmask_b32_e64 v45, 0, v45, s0
	v_cmp_gt_i32_e64 s0, s22, v96
	v_cndmask_b32_e64 v44, 0, v44, s0
	s_or_b32 exec_lo, exec_lo, s11
	global_load_b128 v[46:49], v[58:59], off offset:5120
	s_wait_xcnt 0x0
	s_and_saveexec_b32 s11, vcc_lo
	s_cbranch_execz .LBB17_52
.LBB17_67:                              ;   in Loop: Header=BB17_41 Depth=1
	v_cmp_gt_i32_e64 s0, s10, v98
	s_wait_loadcnt 0x0
	s_delay_alu instid0(VALU_DEP_1) | instskip(SKIP_1) | instid1(VALU_DEP_1)
	v_cndmask_b32_e64 v47, 0, v47, s0
	v_cmp_gt_i32_e64 s0, s22, v93
	v_cndmask_b32_e64 v46, 0, v46, s0
	v_cmp_gt_i32_e64 s0, s10, v97
	s_delay_alu instid0(VALU_DEP_1) | instskip(SKIP_1) | instid1(VALU_DEP_1)
	v_cndmask_b32_e64 v49, 0, v49, s0
	v_cmp_gt_i32_e64 s0, s22, v96
	v_cndmask_b32_e64 v48, 0, v48, s0
	s_or_b32 exec_lo, exec_lo, s11
	global_load_b128 v[50:53], v[58:59], off offset:5632
	s_wait_xcnt 0x0
	s_and_saveexec_b32 s11, vcc_lo
	s_cbranch_execz .LBB17_53
.LBB17_68:                              ;   in Loop: Header=BB17_41 Depth=1
	v_cmp_gt_i32_e64 s0, s10, v98
	s_wait_loadcnt 0x0
	s_delay_alu instid0(VALU_DEP_1) | instskip(SKIP_1) | instid1(VALU_DEP_1)
	v_cndmask_b32_e64 v51, 0, v51, s0
	v_cmp_gt_i32_e64 s0, s22, v93
	v_cndmask_b32_e64 v50, 0, v50, s0
	v_cmp_gt_i32_e64 s0, s10, v97
	s_delay_alu instid0(VALU_DEP_1) | instskip(SKIP_1) | instid1(VALU_DEP_1)
	v_cndmask_b32_e64 v53, 0, v53, s0
	v_cmp_gt_i32_e64 s0, s22, v96
	v_cndmask_b32_e64 v52, 0, v52, s0
	s_or_b32 exec_lo, exec_lo, s11
	global_load_b128 v[54:57], v[58:59], off offset:6144
	s_wait_xcnt 0x0
	s_and_saveexec_b32 s11, vcc_lo
	s_cbranch_execz .LBB17_54
.LBB17_69:                              ;   in Loop: Header=BB17_41 Depth=1
	v_cmp_gt_i32_e64 s0, s10, v98
	s_wait_loadcnt 0x0
	s_delay_alu instid0(VALU_DEP_1) | instskip(SKIP_1) | instid1(VALU_DEP_1)
	v_cndmask_b32_e64 v55, 0, v55, s0
	v_cmp_gt_i32_e64 s0, s22, v93
	v_cndmask_b32_e64 v54, 0, v54, s0
	v_cmp_gt_i32_e64 s0, s10, v97
	s_delay_alu instid0(VALU_DEP_1) | instskip(SKIP_1) | instid1(VALU_DEP_1)
	v_cndmask_b32_e64 v57, 0, v57, s0
	v_cmp_gt_i32_e64 s0, s22, v96
	v_cndmask_b32_e64 v56, 0, v56, s0
	s_or_b32 exec_lo, exec_lo, s11
	global_load_b128 v[62:65], v[58:59], off offset:6656
	s_wait_xcnt 0x0
	s_and_saveexec_b32 s11, vcc_lo
	s_cbranch_execz .LBB17_55
.LBB17_70:                              ;   in Loop: Header=BB17_41 Depth=1
	v_cmp_gt_i32_e64 s0, s10, v98
	s_wait_loadcnt 0x0
	s_delay_alu instid0(VALU_DEP_1) | instskip(SKIP_1) | instid1(VALU_DEP_1)
	v_cndmask_b32_e64 v63, 0, v63, s0
	v_cmp_gt_i32_e64 s0, s22, v93
	v_cndmask_b32_e64 v62, 0, v62, s0
	v_cmp_gt_i32_e64 s0, s10, v97
	s_delay_alu instid0(VALU_DEP_1) | instskip(SKIP_1) | instid1(VALU_DEP_1)
	v_cndmask_b32_e64 v65, 0, v65, s0
	v_cmp_gt_i32_e64 s0, s22, v96
	v_cndmask_b32_e64 v64, 0, v64, s0
	s_or_b32 exec_lo, exec_lo, s11
	global_load_b128 v[66:69], v[58:59], off offset:7168
	s_wait_xcnt 0x0
	s_and_saveexec_b32 s11, vcc_lo
	s_cbranch_execz .LBB17_56
.LBB17_71:                              ;   in Loop: Header=BB17_41 Depth=1
	v_cmp_gt_i32_e64 s0, s10, v98
	s_wait_loadcnt 0x0
	s_delay_alu instid0(VALU_DEP_1) | instskip(SKIP_1) | instid1(VALU_DEP_1)
	v_cndmask_b32_e64 v67, 0, v67, s0
	v_cmp_gt_i32_e64 s0, s22, v93
	v_cndmask_b32_e64 v66, 0, v66, s0
	v_cmp_gt_i32_e64 s0, s10, v97
	s_delay_alu instid0(VALU_DEP_1) | instskip(SKIP_1) | instid1(VALU_DEP_1)
	v_cndmask_b32_e64 v69, 0, v69, s0
	v_cmp_gt_i32_e64 s0, s22, v96
	v_cndmask_b32_e64 v68, 0, v68, s0
	s_or_b32 exec_lo, exec_lo, s11
	global_load_b128 v[58:61], v[58:59], off offset:7680
	s_wait_xcnt 0x0
	s_and_saveexec_b32 s0, vcc_lo
	s_cbranch_execz .LBB17_40
.LBB17_72:                              ;   in Loop: Header=BB17_41 Depth=1
	v_cmp_gt_i32_e32 vcc_lo, s10, v98
	s_wait_loadcnt 0x0
	v_cndmask_b32_e32 v59, 0, v59, vcc_lo
	v_cmp_gt_i32_e32 vcc_lo, s22, v93
	v_cndmask_b32_e32 v58, 0, v58, vcc_lo
	v_cmp_gt_i32_e32 vcc_lo, s10, v97
	;; [unrolled: 2-line block ×3, first 2 shown]
	v_cndmask_b32_e32 v60, 0, v60, vcc_lo
	s_branch .LBB17_40
.LBB17_73:
	s_or_b32 exec_lo, exec_lo, s5
.LBB17_74:
	s_delay_alu instid0(SALU_CYCLE_1)
	s_or_b32 exec_lo, exec_lo, s1
	ds_bpermute_b32 v2, v91, v84
	ds_bpermute_b32 v3, v91, v85
	;; [unrolled: 1-line block ×16, first 2 shown]
	v_and_b32_e32 v0, 0x3c1, v99
	s_mov_b32 s0, exec_lo
	s_wait_dscnt 0x0
	s_barrier_signal -1
	s_barrier_wait -1
	v_pk_add_f32 v[14:15], v[84:85], v[2:3]
	v_pk_add_f32 v[12:13], v[82:83], v[4:5]
	;; [unrolled: 1-line block ×5, first 2 shown]
	v_lshrrev_b32_e32 v19, 1, v90
	v_pk_add_f32 v[4:5], v[74:75], v[20:21]
	v_pk_add_f32 v[2:3], v[72:73], v[22:23]
	v_cmpx_ne_u32_e32 64, v0
	s_xor_b32 s0, exec_lo, s0
	s_delay_alu instid0(SALU_CYCLE_1)
	s_or_saveexec_b32 s0, s0
	v_pk_add_f32 v[16:17], v[70:71], v[16:17]
	v_lshl_add_u32 v18, v19, 2, 0x420
	v_lshlrev_b32_e32 v1, 10, v100
	s_xor_b32 exec_lo, exec_lo, s0
	s_cbranch_execz .LBB17_76
; %bb.75:
	s_delay_alu instid0(VALU_DEP_1) | instskip(NEXT) | instid1(VALU_DEP_1)
	v_add_nc_u32_e32 v0, v18, v1
	v_add_nc_u32_e32 v20, 0xfffff800, v0
	;; [unrolled: 1-line block ×9, first 2 shown]
	ds_store_b32 v20, v14
	ds_store_b32 v21, v15
	ds_store_b32 v22, v12
	ds_store_b32 v23, v13
	ds_store_b32 v24, v10
	ds_store_b32 v25, v11
	ds_store_b32 v26, v8
	ds_store_b32 v27, v9
	v_add_nc_u32_e32 v20, 0xfffffa00, v0
	v_add_nc_u32_e32 v21, 0xfffffa40, v0
	v_add_nc_u32_e32 v22, 0xfffffa80, v0
	v_add_nc_u32_e32 v23, 0xfffffac0, v0
	v_add_nc_u32_e32 v24, 0xfffffb00, v0
	v_add_nc_u32_e32 v25, 0xfffffb40, v0
	v_add_nc_u32_e32 v26, 0xfffffb80, v0
	v_add_nc_u32_e32 v0, 0xfffffbc0, v0
	ds_store_b32 v20, v6
	ds_store_b32 v21, v7
	;; [unrolled: 1-line block ×8, first 2 shown]
.LBB17_76:
	s_or_b32 exec_lo, exec_lo, s0
	v_lshlrev_b32_e32 v0, 2, v19
	s_mov_b32 s1, exec_lo
	v_cmp_eq_u32_e32 vcc_lo, 0, v92
	s_wait_dscnt 0x0
	s_barrier_signal -1
	v_add3_u32 v1, 0x420, v1, v0
	s_barrier_wait -1
	v_cmpx_gt_u32_e32 64, v99
	s_cbranch_execz .LBB17_95
; %bb.77:
	s_and_saveexec_b32 s0, vcc_lo
	s_cbranch_execnz .LBB17_119
; %bb.78:
	s_or_b32 exec_lo, exec_lo, s0
	s_and_saveexec_b32 s0, vcc_lo
	s_cbranch_execnz .LBB17_120
.LBB17_79:
	s_or_b32 exec_lo, exec_lo, s0
	s_and_saveexec_b32 s0, vcc_lo
	s_cbranch_execnz .LBB17_121
.LBB17_80:
	s_or_b32 exec_lo, exec_lo, s0
	s_and_saveexec_b32 s0, vcc_lo
	s_cbranch_execnz .LBB17_122
.LBB17_81:
	s_or_b32 exec_lo, exec_lo, s0
	s_and_saveexec_b32 s0, vcc_lo
	s_cbranch_execnz .LBB17_123
.LBB17_82:
	s_or_b32 exec_lo, exec_lo, s0
	s_and_saveexec_b32 s0, vcc_lo
	s_cbranch_execnz .LBB17_124
.LBB17_83:
	s_or_b32 exec_lo, exec_lo, s0
	s_and_saveexec_b32 s0, vcc_lo
	s_cbranch_execnz .LBB17_125
.LBB17_84:
	s_or_b32 exec_lo, exec_lo, s0
	s_and_saveexec_b32 s0, vcc_lo
	s_cbranch_execnz .LBB17_126
.LBB17_85:
	s_or_b32 exec_lo, exec_lo, s0
	s_and_saveexec_b32 s0, vcc_lo
	s_cbranch_execnz .LBB17_127
.LBB17_86:
	s_or_b32 exec_lo, exec_lo, s0
	s_and_saveexec_b32 s0, vcc_lo
	s_cbranch_execnz .LBB17_128
.LBB17_87:
	s_or_b32 exec_lo, exec_lo, s0
	s_and_saveexec_b32 s0, vcc_lo
	s_cbranch_execnz .LBB17_129
.LBB17_88:
	s_or_b32 exec_lo, exec_lo, s0
	s_and_saveexec_b32 s0, vcc_lo
	s_cbranch_execnz .LBB17_130
.LBB17_89:
	s_or_b32 exec_lo, exec_lo, s0
	s_and_saveexec_b32 s0, vcc_lo
	s_cbranch_execnz .LBB17_131
.LBB17_90:
	s_or_b32 exec_lo, exec_lo, s0
	s_and_saveexec_b32 s0, vcc_lo
	s_cbranch_execnz .LBB17_132
.LBB17_91:
	s_or_b32 exec_lo, exec_lo, s0
	s_and_saveexec_b32 s0, vcc_lo
	s_cbranch_execnz .LBB17_133
.LBB17_92:
	s_or_b32 exec_lo, exec_lo, s0
	s_and_saveexec_b32 s0, vcc_lo
	s_cbranch_execz .LBB17_94
.LBB17_93:
	ds_load_b32 v0, v1 offset:960
	s_wait_dscnt 0x0
	v_add_f32_e32 v17, v17, v0
.LBB17_94:
	s_or_b32 exec_lo, exec_lo, s0
.LBB17_95:
	s_delay_alu instid0(SALU_CYCLE_1) | instskip(SKIP_4) | instid1(VALU_DEP_1)
	s_or_b32 exec_lo, exec_lo, s1
	v_and_b32_e32 v19, 0x3e1, v99
	s_mov_b32 s1, exec_lo
	s_barrier_signal -1
	s_barrier_wait -1
	v_cmpx_eq_u32_e32 32, v19
	s_cbranch_execz .LBB17_97
; %bb.96:
	ds_store_2addr_b32 v18, v14, v15 offset1:16
	ds_store_2addr_b32 v18, v12, v13 offset0:32 offset1:48
	ds_store_2addr_b32 v18, v10, v11 offset0:64 offset1:80
	;; [unrolled: 1-line block ×7, first 2 shown]
.LBB17_97:
	s_or_b32 exec_lo, exec_lo, s1
	s_delay_alu instid0(SALU_CYCLE_1)
	s_mov_b32 s1, exec_lo
	s_wait_dscnt 0x0
	s_barrier_signal -1
	s_barrier_wait -1
	v_cmpx_gt_u32_e32 32, v99
	s_cbranch_execz .LBB17_116
; %bb.98:
	s_and_saveexec_b32 s0, vcc_lo
	s_cbranch_execnz .LBB17_134
; %bb.99:
	s_or_b32 exec_lo, exec_lo, s0
	s_and_saveexec_b32 s0, vcc_lo
	s_cbranch_execnz .LBB17_135
.LBB17_100:
	s_or_b32 exec_lo, exec_lo, s0
	s_and_saveexec_b32 s0, vcc_lo
	s_cbranch_execnz .LBB17_136
.LBB17_101:
	s_or_b32 exec_lo, exec_lo, s0
	s_and_saveexec_b32 s0, vcc_lo
	s_cbranch_execnz .LBB17_137
.LBB17_102:
	s_or_b32 exec_lo, exec_lo, s0
	s_and_saveexec_b32 s0, vcc_lo
	s_cbranch_execnz .LBB17_138
.LBB17_103:
	s_or_b32 exec_lo, exec_lo, s0
	s_and_saveexec_b32 s0, vcc_lo
	s_cbranch_execnz .LBB17_139
.LBB17_104:
	s_or_b32 exec_lo, exec_lo, s0
	s_and_saveexec_b32 s0, vcc_lo
	s_cbranch_execnz .LBB17_140
.LBB17_105:
	s_or_b32 exec_lo, exec_lo, s0
	s_and_saveexec_b32 s0, vcc_lo
	s_cbranch_execnz .LBB17_141
.LBB17_106:
	s_or_b32 exec_lo, exec_lo, s0
	s_and_saveexec_b32 s0, vcc_lo
	s_cbranch_execnz .LBB17_142
.LBB17_107:
	s_or_b32 exec_lo, exec_lo, s0
	s_and_saveexec_b32 s0, vcc_lo
	s_cbranch_execnz .LBB17_143
.LBB17_108:
	s_or_b32 exec_lo, exec_lo, s0
	s_and_saveexec_b32 s0, vcc_lo
	s_cbranch_execnz .LBB17_144
.LBB17_109:
	s_or_b32 exec_lo, exec_lo, s0
	s_and_saveexec_b32 s0, vcc_lo
	s_cbranch_execnz .LBB17_145
.LBB17_110:
	s_or_b32 exec_lo, exec_lo, s0
	s_and_saveexec_b32 s0, vcc_lo
	s_cbranch_execnz .LBB17_146
.LBB17_111:
	s_or_b32 exec_lo, exec_lo, s0
	s_and_saveexec_b32 s0, vcc_lo
	s_cbranch_execnz .LBB17_147
.LBB17_112:
	s_or_b32 exec_lo, exec_lo, s0
	s_and_saveexec_b32 s0, vcc_lo
	s_cbranch_execnz .LBB17_148
.LBB17_113:
	s_or_b32 exec_lo, exec_lo, s0
	s_and_saveexec_b32 s0, vcc_lo
	s_cbranch_execz .LBB17_115
.LBB17_114:
	ds_load_b32 v0, v1 offset:960
	s_wait_dscnt 0x0
	v_add_f32_e32 v17, v17, v0
.LBB17_115:
	s_or_b32 exec_lo, exec_lo, s0
.LBB17_116:
	s_delay_alu instid0(SALU_CYCLE_1)
	s_or_b32 exec_lo, exec_lo, s1
	s_mov_b32 s1, 0
	s_barrier_signal -1
	s_barrier_wait -1
	s_mov_b32 s0, exec_lo
	v_cmpx_eq_u32_e32 0, v19
	s_cbranch_execz .LBB17_118
; %bb.117:
	s_mul_i32 s0, s20, s21
	s_mul_i32 s2, s21, s8
	;; [unrolled: 1-line block ×3, first 2 shown]
	s_lshr_b32 s8, ttmp7, 16
	s_lshl_b32 s4, s0, 8
	s_bfe_u32 s0, ttmp6, 0x40014
	s_ashr_i32 s5, s4, 31
	s_add_co_i32 s0, s0, 1
	s_lshl_b64 s[4:5], s[4:5], 2
	s_ashr_i32 s3, s2, 31
	s_wait_kmcnt 0x0
	s_add_nc_u64 s[4:5], s[6:7], s[4:5]
	s_mul_i32 s0, s8, s0
	s_bfe_u32 s6, ttmp6, 0x40008
	s_lshl_b64 s[2:3], s[2:3], 2
	s_add_co_i32 s6, s6, s0
	s_cmp_eq_u32 s18, 0
	v_lshlrev_b32_e32 v0, 1, v99
	s_cselect_b32 s0, s8, s6
	s_add_nc_u64 s[2:3], s[4:5], s[2:3]
	s_lshl_b32 s0, s0, 10
	s_delay_alu instid0(SALU_CYCLE_1)
	s_add_nc_u64 s[0:1], s[2:3], s[0:1]
	s_clause 0xf
	global_store_b32 v0, v14, s[0:1]
	global_store_b32 v0, v15, s[0:1] offset:64
	global_store_b32 v0, v12, s[0:1] offset:128
	;; [unrolled: 1-line block ×15, first 2 shown]
.LBB17_118:
	s_sendmsg sendmsg(MSG_DEALLOC_VGPRS)
	s_endpgm
.LBB17_119:
	ds_load_b32 v0, v1
	s_wait_dscnt 0x0
	v_add_f32_e32 v14, v14, v0
	s_or_b32 exec_lo, exec_lo, s0
	s_and_saveexec_b32 s0, vcc_lo
	s_cbranch_execz .LBB17_79
.LBB17_120:
	ds_load_b32 v0, v1 offset:64
	s_wait_dscnt 0x0
	v_add_f32_e32 v15, v15, v0
	s_or_b32 exec_lo, exec_lo, s0
	s_and_saveexec_b32 s0, vcc_lo
	s_cbranch_execz .LBB17_80
.LBB17_121:
	ds_load_b32 v0, v1 offset:128
	s_wait_dscnt 0x0
	v_add_f32_e32 v12, v12, v0
	s_or_b32 exec_lo, exec_lo, s0
	s_and_saveexec_b32 s0, vcc_lo
	s_cbranch_execz .LBB17_81
.LBB17_122:
	ds_load_b32 v0, v1 offset:192
	s_wait_dscnt 0x0
	v_add_f32_e32 v13, v13, v0
	s_or_b32 exec_lo, exec_lo, s0
	s_and_saveexec_b32 s0, vcc_lo
	s_cbranch_execz .LBB17_82
.LBB17_123:
	ds_load_b32 v0, v1 offset:256
	s_wait_dscnt 0x0
	v_add_f32_e32 v10, v10, v0
	s_or_b32 exec_lo, exec_lo, s0
	s_and_saveexec_b32 s0, vcc_lo
	s_cbranch_execz .LBB17_83
.LBB17_124:
	ds_load_b32 v0, v1 offset:320
	s_wait_dscnt 0x0
	v_add_f32_e32 v11, v11, v0
	s_or_b32 exec_lo, exec_lo, s0
	s_and_saveexec_b32 s0, vcc_lo
	s_cbranch_execz .LBB17_84
.LBB17_125:
	ds_load_b32 v0, v1 offset:384
	s_wait_dscnt 0x0
	v_add_f32_e32 v8, v8, v0
	s_or_b32 exec_lo, exec_lo, s0
	s_and_saveexec_b32 s0, vcc_lo
	s_cbranch_execz .LBB17_85
.LBB17_126:
	ds_load_b32 v0, v1 offset:448
	s_wait_dscnt 0x0
	v_add_f32_e32 v9, v9, v0
	s_or_b32 exec_lo, exec_lo, s0
	s_and_saveexec_b32 s0, vcc_lo
	s_cbranch_execz .LBB17_86
.LBB17_127:
	ds_load_b32 v0, v1 offset:512
	s_wait_dscnt 0x0
	v_add_f32_e32 v6, v6, v0
	s_or_b32 exec_lo, exec_lo, s0
	s_and_saveexec_b32 s0, vcc_lo
	s_cbranch_execz .LBB17_87
.LBB17_128:
	ds_load_b32 v0, v1 offset:576
	s_wait_dscnt 0x0
	v_add_f32_e32 v7, v7, v0
	s_or_b32 exec_lo, exec_lo, s0
	s_and_saveexec_b32 s0, vcc_lo
	s_cbranch_execz .LBB17_88
.LBB17_129:
	ds_load_b32 v0, v1 offset:640
	s_wait_dscnt 0x0
	v_add_f32_e32 v4, v4, v0
	s_or_b32 exec_lo, exec_lo, s0
	s_and_saveexec_b32 s0, vcc_lo
	s_cbranch_execz .LBB17_89
.LBB17_130:
	ds_load_b32 v0, v1 offset:704
	s_wait_dscnt 0x0
	v_add_f32_e32 v5, v5, v0
	s_or_b32 exec_lo, exec_lo, s0
	s_and_saveexec_b32 s0, vcc_lo
	s_cbranch_execz .LBB17_90
.LBB17_131:
	ds_load_b32 v0, v1 offset:768
	s_wait_dscnt 0x0
	v_add_f32_e32 v2, v2, v0
	s_or_b32 exec_lo, exec_lo, s0
	s_and_saveexec_b32 s0, vcc_lo
	s_cbranch_execz .LBB17_91
.LBB17_132:
	ds_load_b32 v0, v1 offset:832
	s_wait_dscnt 0x0
	v_add_f32_e32 v3, v3, v0
	s_or_b32 exec_lo, exec_lo, s0
	s_and_saveexec_b32 s0, vcc_lo
	s_cbranch_execz .LBB17_92
.LBB17_133:
	ds_load_b32 v0, v1 offset:896
	s_wait_dscnt 0x0
	v_add_f32_e32 v16, v16, v0
	s_or_b32 exec_lo, exec_lo, s0
	s_and_saveexec_b32 s0, vcc_lo
	s_cbranch_execnz .LBB17_93
	s_branch .LBB17_94
.LBB17_134:
	ds_load_b32 v0, v1
	s_wait_dscnt 0x0
	v_add_f32_e32 v14, v14, v0
	s_or_b32 exec_lo, exec_lo, s0
	s_and_saveexec_b32 s0, vcc_lo
	s_cbranch_execz .LBB17_100
.LBB17_135:
	ds_load_b32 v0, v1 offset:64
	s_wait_dscnt 0x0
	v_add_f32_e32 v15, v15, v0
	s_or_b32 exec_lo, exec_lo, s0
	s_and_saveexec_b32 s0, vcc_lo
	s_cbranch_execz .LBB17_101
.LBB17_136:
	ds_load_b32 v0, v1 offset:128
	s_wait_dscnt 0x0
	v_add_f32_e32 v12, v12, v0
	s_or_b32 exec_lo, exec_lo, s0
	s_and_saveexec_b32 s0, vcc_lo
	s_cbranch_execz .LBB17_102
.LBB17_137:
	ds_load_b32 v0, v1 offset:192
	s_wait_dscnt 0x0
	v_add_f32_e32 v13, v13, v0
	s_or_b32 exec_lo, exec_lo, s0
	s_and_saveexec_b32 s0, vcc_lo
	s_cbranch_execz .LBB17_103
.LBB17_138:
	ds_load_b32 v0, v1 offset:256
	s_wait_dscnt 0x0
	v_add_f32_e32 v10, v10, v0
	s_or_b32 exec_lo, exec_lo, s0
	s_and_saveexec_b32 s0, vcc_lo
	s_cbranch_execz .LBB17_104
.LBB17_139:
	ds_load_b32 v0, v1 offset:320
	s_wait_dscnt 0x0
	v_add_f32_e32 v11, v11, v0
	s_or_b32 exec_lo, exec_lo, s0
	s_and_saveexec_b32 s0, vcc_lo
	s_cbranch_execz .LBB17_105
.LBB17_140:
	ds_load_b32 v0, v1 offset:384
	s_wait_dscnt 0x0
	v_add_f32_e32 v8, v8, v0
	s_or_b32 exec_lo, exec_lo, s0
	s_and_saveexec_b32 s0, vcc_lo
	s_cbranch_execz .LBB17_106
.LBB17_141:
	ds_load_b32 v0, v1 offset:448
	s_wait_dscnt 0x0
	v_add_f32_e32 v9, v9, v0
	s_or_b32 exec_lo, exec_lo, s0
	s_and_saveexec_b32 s0, vcc_lo
	s_cbranch_execz .LBB17_107
.LBB17_142:
	ds_load_b32 v0, v1 offset:512
	s_wait_dscnt 0x0
	v_add_f32_e32 v6, v6, v0
	s_or_b32 exec_lo, exec_lo, s0
	s_and_saveexec_b32 s0, vcc_lo
	s_cbranch_execz .LBB17_108
.LBB17_143:
	ds_load_b32 v0, v1 offset:576
	s_wait_dscnt 0x0
	v_add_f32_e32 v7, v7, v0
	s_or_b32 exec_lo, exec_lo, s0
	s_and_saveexec_b32 s0, vcc_lo
	s_cbranch_execz .LBB17_109
.LBB17_144:
	ds_load_b32 v0, v1 offset:640
	s_wait_dscnt 0x0
	v_add_f32_e32 v4, v4, v0
	s_or_b32 exec_lo, exec_lo, s0
	s_and_saveexec_b32 s0, vcc_lo
	s_cbranch_execz .LBB17_110
.LBB17_145:
	ds_load_b32 v0, v1 offset:704
	s_wait_dscnt 0x0
	v_add_f32_e32 v5, v5, v0
	s_or_b32 exec_lo, exec_lo, s0
	s_and_saveexec_b32 s0, vcc_lo
	s_cbranch_execz .LBB17_111
.LBB17_146:
	ds_load_b32 v0, v1 offset:768
	s_wait_dscnt 0x0
	v_add_f32_e32 v2, v2, v0
	s_or_b32 exec_lo, exec_lo, s0
	s_and_saveexec_b32 s0, vcc_lo
	s_cbranch_execz .LBB17_112
.LBB17_147:
	ds_load_b32 v0, v1 offset:832
	s_wait_dscnt 0x0
	v_add_f32_e32 v3, v3, v0
	s_or_b32 exec_lo, exec_lo, s0
	s_and_saveexec_b32 s0, vcc_lo
	s_cbranch_execz .LBB17_113
.LBB17_148:
	ds_load_b32 v0, v1 offset:896
	s_wait_dscnt 0x0
	v_add_f32_e32 v16, v16, v0
	s_or_b32 exec_lo, exec_lo, s0
	s_and_saveexec_b32 s0, vcc_lo
	s_cbranch_execnz .LBB17_114
	s_branch .LBB17_115
	.section	.rodata,"a",@progbits
	.p2align	6, 0x0
	.amdhsa_kernel _ZN4vllm25paged_attention_v1_kernelIffLi256ELi8ELi128ELNS_18Fp8KVCacheDataTypeE0ELb0EEEvPT_PKS2_PKT0_S8_ifPKiSA_iPKfiiiSC_SC_iiiii
		.amdhsa_group_segment_fixed_size 1056
		.amdhsa_private_segment_fixed_size 96
		.amdhsa_kernarg_size 384
		.amdhsa_user_sgpr_count 2
		.amdhsa_user_sgpr_dispatch_ptr 0
		.amdhsa_user_sgpr_queue_ptr 0
		.amdhsa_user_sgpr_kernarg_segment_ptr 1
		.amdhsa_user_sgpr_dispatch_id 0
		.amdhsa_user_sgpr_kernarg_preload_length 0
		.amdhsa_user_sgpr_kernarg_preload_offset 0
		.amdhsa_user_sgpr_private_segment_size 0
		.amdhsa_wavefront_size32 1
		.amdhsa_uses_dynamic_stack 0
		.amdhsa_enable_private_segment 1
		.amdhsa_system_sgpr_workgroup_id_x 1
		.amdhsa_system_sgpr_workgroup_id_y 1
		.amdhsa_system_sgpr_workgroup_id_z 1
		.amdhsa_system_sgpr_workgroup_info 0
		.amdhsa_system_vgpr_workitem_id 0
		.amdhsa_next_free_vgpr 128
		.amdhsa_next_free_sgpr 30
		.amdhsa_named_barrier_count 0
		.amdhsa_reserve_vcc 1
		.amdhsa_float_round_mode_32 0
		.amdhsa_float_round_mode_16_64 0
		.amdhsa_float_denorm_mode_32 3
		.amdhsa_float_denorm_mode_16_64 3
		.amdhsa_fp16_overflow 0
		.amdhsa_memory_ordered 1
		.amdhsa_forward_progress 1
		.amdhsa_inst_pref_size 76
		.amdhsa_round_robin_scheduling 0
		.amdhsa_exception_fp_ieee_invalid_op 0
		.amdhsa_exception_fp_denorm_src 0
		.amdhsa_exception_fp_ieee_div_zero 0
		.amdhsa_exception_fp_ieee_overflow 0
		.amdhsa_exception_fp_ieee_underflow 0
		.amdhsa_exception_fp_ieee_inexact 0
		.amdhsa_exception_int_div_zero 0
	.end_amdhsa_kernel
	.section	.text._ZN4vllm25paged_attention_v1_kernelIffLi256ELi8ELi128ELNS_18Fp8KVCacheDataTypeE0ELb0EEEvPT_PKS2_PKT0_S8_ifPKiSA_iPKfiiiSC_SC_iiiii,"axG",@progbits,_ZN4vllm25paged_attention_v1_kernelIffLi256ELi8ELi128ELNS_18Fp8KVCacheDataTypeE0ELb0EEEvPT_PKS2_PKT0_S8_ifPKiSA_iPKfiiiSC_SC_iiiii,comdat
.Lfunc_end17:
	.size	_ZN4vllm25paged_attention_v1_kernelIffLi256ELi8ELi128ELNS_18Fp8KVCacheDataTypeE0ELb0EEEvPT_PKS2_PKT0_S8_ifPKiSA_iPKfiiiSC_SC_iiiii, .Lfunc_end17-_ZN4vllm25paged_attention_v1_kernelIffLi256ELi8ELi128ELNS_18Fp8KVCacheDataTypeE0ELb0EEEvPT_PKS2_PKT0_S8_ifPKiSA_iPKfiiiSC_SC_iiiii
                                        ; -- End function
	.set _ZN4vllm25paged_attention_v1_kernelIffLi256ELi8ELi128ELNS_18Fp8KVCacheDataTypeE0ELb0EEEvPT_PKS2_PKT0_S8_ifPKiSA_iPKfiiiSC_SC_iiiii.num_vgpr, 128
	.set _ZN4vllm25paged_attention_v1_kernelIffLi256ELi8ELi128ELNS_18Fp8KVCacheDataTypeE0ELb0EEEvPT_PKS2_PKT0_S8_ifPKiSA_iPKfiiiSC_SC_iiiii.num_agpr, 0
	.set _ZN4vllm25paged_attention_v1_kernelIffLi256ELi8ELi128ELNS_18Fp8KVCacheDataTypeE0ELb0EEEvPT_PKS2_PKT0_S8_ifPKiSA_iPKfiiiSC_SC_iiiii.numbered_sgpr, 30
	.set _ZN4vllm25paged_attention_v1_kernelIffLi256ELi8ELi128ELNS_18Fp8KVCacheDataTypeE0ELb0EEEvPT_PKS2_PKT0_S8_ifPKiSA_iPKfiiiSC_SC_iiiii.num_named_barrier, 0
	.set _ZN4vllm25paged_attention_v1_kernelIffLi256ELi8ELi128ELNS_18Fp8KVCacheDataTypeE0ELb0EEEvPT_PKS2_PKT0_S8_ifPKiSA_iPKfiiiSC_SC_iiiii.private_seg_size, 96
	.set _ZN4vllm25paged_attention_v1_kernelIffLi256ELi8ELi128ELNS_18Fp8KVCacheDataTypeE0ELb0EEEvPT_PKS2_PKT0_S8_ifPKiSA_iPKfiiiSC_SC_iiiii.uses_vcc, 1
	.set _ZN4vllm25paged_attention_v1_kernelIffLi256ELi8ELi128ELNS_18Fp8KVCacheDataTypeE0ELb0EEEvPT_PKS2_PKT0_S8_ifPKiSA_iPKfiiiSC_SC_iiiii.uses_flat_scratch, 1
	.set _ZN4vllm25paged_attention_v1_kernelIffLi256ELi8ELi128ELNS_18Fp8KVCacheDataTypeE0ELb0EEEvPT_PKS2_PKT0_S8_ifPKiSA_iPKfiiiSC_SC_iiiii.has_dyn_sized_stack, 0
	.set _ZN4vllm25paged_attention_v1_kernelIffLi256ELi8ELi128ELNS_18Fp8KVCacheDataTypeE0ELb0EEEvPT_PKS2_PKT0_S8_ifPKiSA_iPKfiiiSC_SC_iiiii.has_recursion, 0
	.set _ZN4vllm25paged_attention_v1_kernelIffLi256ELi8ELi128ELNS_18Fp8KVCacheDataTypeE0ELb0EEEvPT_PKS2_PKT0_S8_ifPKiSA_iPKfiiiSC_SC_iiiii.has_indirect_call, 0
	.section	.AMDGPU.csdata,"",@progbits
; Kernel info:
; codeLenInByte = 9652
; TotalNumSgprs: 32
; NumVgprs: 128
; ScratchSize: 96
; MemoryBound: 0
; FloatMode: 240
; IeeeMode: 1
; LDSByteSize: 1056 bytes/workgroup (compile time only)
; SGPRBlocks: 0
; VGPRBlocks: 7
; NumSGPRsForWavesPerEU: 32
; NumVGPRsForWavesPerEU: 128
; NamedBarCnt: 0
; Occupancy: 8
; WaveLimiterHint : 1
; COMPUTE_PGM_RSRC2:SCRATCH_EN: 1
; COMPUTE_PGM_RSRC2:USER_SGPR: 2
; COMPUTE_PGM_RSRC2:TRAP_HANDLER: 0
; COMPUTE_PGM_RSRC2:TGID_X_EN: 1
; COMPUTE_PGM_RSRC2:TGID_Y_EN: 1
; COMPUTE_PGM_RSRC2:TGID_Z_EN: 1
; COMPUTE_PGM_RSRC2:TIDIG_COMP_CNT: 0
	.section	.text._ZN4vllm25paged_attention_v1_kernelIffLi32ELi16ELi128ELNS_18Fp8KVCacheDataTypeE0ELb1EEEvPT_PKS2_PKT0_S8_ifPKiSA_iPKfiiiSC_SC_iiiii,"axG",@progbits,_ZN4vllm25paged_attention_v1_kernelIffLi32ELi16ELi128ELNS_18Fp8KVCacheDataTypeE0ELb1EEEvPT_PKS2_PKT0_S8_ifPKiSA_iPKfiiiSC_SC_iiiii,comdat
	.protected	_ZN4vllm25paged_attention_v1_kernelIffLi32ELi16ELi128ELNS_18Fp8KVCacheDataTypeE0ELb1EEEvPT_PKS2_PKT0_S8_ifPKiSA_iPKfiiiSC_SC_iiiii ; -- Begin function _ZN4vllm25paged_attention_v1_kernelIffLi32ELi16ELi128ELNS_18Fp8KVCacheDataTypeE0ELb1EEEvPT_PKS2_PKT0_S8_ifPKiSA_iPKfiiiSC_SC_iiiii
	.globl	_ZN4vllm25paged_attention_v1_kernelIffLi32ELi16ELi128ELNS_18Fp8KVCacheDataTypeE0ELb1EEEvPT_PKS2_PKT0_S8_ifPKiSA_iPKfiiiSC_SC_iiiii
	.p2align	8
	.type	_ZN4vllm25paged_attention_v1_kernelIffLi32ELi16ELi128ELNS_18Fp8KVCacheDataTypeE0ELb1EEEvPT_PKS2_PKT0_S8_ifPKiSA_iPKfiiiSC_SC_iiiii,@function
_ZN4vllm25paged_attention_v1_kernelIffLi32ELi16ELi128ELNS_18Fp8KVCacheDataTypeE0ELb1EEEvPT_PKS2_PKT0_S8_ifPKiSA_iPKfiiiSC_SC_iiiii: ; @_ZN4vllm25paged_attention_v1_kernelIffLi32ELi16ELi128ELNS_18Fp8KVCacheDataTypeE0ELb1EEEvPT_PKS2_PKT0_S8_ifPKiSA_iPKfiiiSC_SC_iiiii
; %bb.0:
	s_load_b64 s[22:23], s[0:1], 0x20
	s_bfe_u32 s3, ttmp6, 0x4000c
	s_bfe_u32 s4, ttmp6, 0x40010
	s_and_b32 s6, ttmp7, 0xffff
	s_add_co_i32 s3, s3, 1
	s_add_co_i32 s4, s4, 1
	s_and_b32 s2, ttmp6, 15
	s_bfe_u32 s5, ttmp6, 0x40004
	s_mul_i32 s3, ttmp9, s3
	s_mul_i32 s4, s6, s4
	s_getreg_b32 s28, hwreg(HW_REG_IB_STS2, 6, 4)
	s_add_co_i32 s2, s2, s3
	s_add_co_i32 s3, s5, s4
	s_cmp_eq_u32 s28, 0
	s_clause 0x1
	s_load_b32 s29, s[0:1], 0x80
	s_load_b64 s[4:5], s[0:1], 0x30
	s_cselect_b32 s30, s6, s3
	s_cselect_b32 s2, ttmp9, s2
	s_mov_b32 s17, 0
	s_delay_alu instid0(SALU_CYCLE_1) | instskip(SKIP_2) | instid1(SALU_CYCLE_1)
	s_mov_b32 s35, s17
	s_wait_kmcnt 0x0
	s_abs_i32 s3, s22
	s_cvt_f32_u32 s6, s3
	s_sub_co_i32 s7, 0, s3
	s_delay_alu instid0(SALU_CYCLE_2) | instskip(SKIP_2) | instid1(TRANS32_DEP_1)
	v_rcp_iflag_f32_e32 v1, s6
	s_abs_i32 s8, s29
	v_nop
	v_readfirstlane_b32 s6, v1
	s_mul_f32 s6, s6, 0x4f7ffffe
	s_delay_alu instid0(SALU_CYCLE_3) | instskip(NEXT) | instid1(SALU_CYCLE_3)
	s_cvt_u32_f32 s6, s6
	s_mul_i32 s7, s7, s6
	s_delay_alu instid0(SALU_CYCLE_1) | instskip(NEXT) | instid1(SALU_CYCLE_1)
	s_mul_hi_u32 s7, s6, s7
	s_add_co_i32 s6, s6, s7
	s_xor_b32 s7, s29, s22
	s_mul_hi_u32 s6, s8, s6
	s_ashr_i32 s7, s7, 31
	s_mul_i32 s9, s6, s3
	s_delay_alu instid0(SALU_CYCLE_1)
	s_sub_co_i32 s8, s8, s9
	s_add_co_i32 s9, s6, 1
	s_sub_co_i32 s10, s8, s3
	s_cmp_ge_u32 s8, s3
	s_cselect_b32 s6, s9, s6
	s_cselect_b32 s8, s10, s8
	s_add_co_i32 s9, s6, 1
	s_cmp_ge_u32 s8, s3
	s_cselect_b32 s3, s9, s6
	s_load_b64 s[8:9], s[0:1], 0x40
	s_xor_b32 s3, s3, s7
	s_abs_i32 s16, s2
	s_sub_co_i32 s10, s3, s7
	s_mov_b32 s7, s17
	s_abs_i32 s15, s10
	s_delay_alu instid0(SALU_CYCLE_1) | instskip(SKIP_1) | instid1(SALU_CYCLE_2)
	s_cvt_f32_u32 s3, s15
	s_sub_co_i32 s6, 0, s15
	v_rcp_iflag_f32_e32 v1, s3
	v_nop
	s_delay_alu instid0(TRANS32_DEP_1) | instskip(SKIP_1) | instid1(SALU_CYCLE_3)
	v_readfirstlane_b32 s3, v1
	s_mul_f32 s3, s3, 0x4f7ffffe
	s_cvt_u32_f32 s3, s3
	s_delay_alu instid0(SALU_CYCLE_3) | instskip(NEXT) | instid1(SALU_CYCLE_1)
	s_mul_i32 s6, s6, s3
	s_mul_hi_u32 s6, s3, s6
	s_delay_alu instid0(SALU_CYCLE_1)
	s_add_co_i32 s6, s3, s6
	s_wait_kmcnt 0x0
	s_cmp_eq_u64 s[8:9], 0
	s_cbranch_scc1 .LBB18_2
; %bb.1:
	s_ashr_i32 s3, s2, 31
	s_delay_alu instid0(SALU_CYCLE_1) | instskip(NEXT) | instid1(SALU_CYCLE_1)
	s_lshl_b64 s[12:13], s[2:3], 2
	s_add_nc_u64 s[8:9], s[8:9], s[12:13]
	s_load_b32 s35, s[8:9], 0x0
.LBB18_2:
	s_load_b32 s31, s[4:5], s30 offset:0x0 scale_offset
	s_load_b96 s[12:14], s[0:1], 0x48
	v_dual_lshlrev_b32 v8, 2, v0 :: v_dual_bitop2_b32 v4, 1, v0 bitop3:0x40
	s_wait_xcnt 0x0
	s_mul_u64 s[4:5], s[16:17], s[6:7]
	s_ashr_i32 s3, s2, 31
	s_ashr_i32 s18, s10, 31
	s_lshl_b32 s6, s2, 5
	s_mov_b32 s4, exec_lo
	v_cmpx_gt_u32_e32 16, v0
	s_cbranch_execz .LBB18_4
; %bb.3:
	s_load_b64 s[8:9], s[0:1], 0x8
	s_wait_kmcnt 0x0
	s_mul_i32 s10, s12, s30
	s_ashr_i32 s7, s6, 31
	s_ashr_i32 s11, s10, 31
	v_and_b32_e32 v1, 0xff8, v8
	s_lshl_b64 s[10:11], s[10:11], 2
	s_delay_alu instid0(VALU_DEP_1) | instskip(SKIP_2) | instid1(SALU_CYCLE_1)
	v_lshl_add_u32 v1, v4, 6, v1
	s_add_nc_u64 s[8:9], s[8:9], s[10:11]
	s_lshl_b64 s[10:11], s[6:7], 2
	s_add_nc_u64 s[8:9], s[8:9], s[10:11]
	global_load_b64 v[2:3], v0, s[8:9] scale_offset
	s_wait_loadcnt 0x0
	ds_store_b64 v1, v[2:3]
.LBB18_4:
	s_or_b32 exec_lo, exec_lo, s4
	s_load_b128 s[8:11], s[0:1], 0x68
	s_mul_i32 s4, s5, s15
	s_xor_b32 s3, s3, s18
	s_sub_co_i32 s4, s16, s4
	s_add_co_i32 s7, s5, 1
	s_wait_kmcnt 0x0
	s_sub_co_i32 s12, s4, s15
	s_cmp_ge_u32 s4, s15
	s_mov_b32 s18, -1
	s_cselect_b32 s5, s7, s5
	s_cselect_b32 s4, s12, s4
	s_add_co_i32 s12, s5, 1
	s_cmp_ge_u32 s4, s15
	s_load_b32 s7, s[0:1], 0x78
	s_cselect_b32 s4, s12, s5
	s_add_co_i32 s15, s31, -1
	s_xor_b32 s4, s4, s3
	s_wait_dscnt 0x0
	s_sub_co_i32 s3, s4, s3
	s_barrier_signal -1
	s_barrier_wait -1
	s_abs_i32 s12, s11
	s_delay_alu instid0(SALU_CYCLE_1) | instskip(NEXT) | instid1(SALU_CYCLE_3)
	s_cvt_f32_u32 s5, s12
                                        ; implicit-def: $sgpr33
	v_rcp_iflag_f32_e32 v1, s5
	v_nop
	s_delay_alu instid0(TRANS32_DEP_1) | instskip(SKIP_1) | instid1(SALU_CYCLE_3)
	v_readfirstlane_b32 s5, v1
	s_mul_f32 s4, s5, 0x4f7ffffe
	s_cvt_u32_f32 s16, s4
	s_sub_co_i32 s4, 0, s12
	s_delay_alu instid0(SALU_CYCLE_2)
	s_mul_i32 s5, s4, s16
	s_abs_i32 s4, s15
	s_mul_hi_u32 s17, s16, s5
	s_mov_b32 s5, 0
	s_add_co_i32 s16, s16, s17
	s_wait_kmcnt 0x0
	s_cmp_lt_i32 s7, 0
	s_mov_b32 s17, s5
	s_cbranch_scc0 .LBB18_6
; %bb.5:
	s_mul_i32 s18, s8, s22
	s_delay_alu instid0(SALU_CYCLE_1) | instskip(NEXT) | instid1(SALU_CYCLE_1)
	s_add_co_i32 s18, s3, s18
	s_mul_i32 s18, s18, s7
	s_delay_alu instid0(SALU_CYCLE_1)
	s_sub_co_i32 s33, 1, s18
	s_mov_b32 s18, s5
.LBB18_6:
	s_ashr_i32 s15, s15, 31
	s_ashr_i32 s11, s11, 31
	s_and_not1_b32 vcc_lo, exec_lo, s18
	s_mul_u64 s[24:25], s[4:5], s[16:17]
	s_cbranch_vccnz .LBB18_8
; %bb.7:
	s_mul_i32 s5, s29, s8
	s_delay_alu instid0(SALU_CYCLE_1) | instskip(NEXT) | instid1(SALU_CYCLE_1)
	s_add_co_i32 s2, s5, s2
	s_mul_i32 s2, s2, s7
	s_delay_alu instid0(SALU_CYCLE_1)
	s_add_co_i32 s33, s2, 1
.LBB18_8:
	s_load_b32 s2, s[0:1], 0x38
	s_mul_i32 s7, s25, s12
	s_xor_b32 s5, s15, s11
	s_sub_co_i32 s4, s4, s7
	s_add_co_i32 s8, s25, 1
	s_clause 0x1
	s_load_b64 s[18:19], s[0:1], 0x28
	s_load_b32 s7, s[0:1], 0x88
	v_dual_lshrrev_b32 v1, 5, v0 :: v_dual_lshrrev_b32 v9, 3, v0
	v_mov_b32_e32 v13, 0xff7fffff
	v_mbcnt_lo_u32_b32 v10, -1, 0
	s_mul_i32 s14, s3, s14
	s_delay_alu instid0(VALU_DEP_3)
	v_lshlrev_b32_e32 v22, 4, v1
	s_wait_kmcnt 0x0
	s_mul_i32 s20, s2, s30
	s_sub_co_i32 s2, s4, s12
	s_ashr_i32 s21, s20, 31
	s_cmp_ge_u32 s4, s12
	s_cselect_b32 s8, s8, s25
	s_cselect_b32 s2, s2, s4
	s_add_co_i32 s4, s8, 1
	s_cmp_ge_u32 s2, s12
	s_cselect_b32 s2, s4, s8
	s_add_co_i32 s4, s31, 15
	s_delay_alu instid0(SALU_CYCLE_1) | instskip(NEXT) | instid1(SALU_CYCLE_1)
	s_ashr_i32 s8, s4, 31
	s_lshr_b32 s8, s8, 28
	s_delay_alu instid0(SALU_CYCLE_1) | instskip(NEXT) | instid1(SALU_CYCLE_1)
	s_add_co_i32 s4, s4, s8
	s_ashr_i32 s34, s4, 4
	s_xor_b32 s4, s2, s5
	v_cmp_gt_i32_e64 s2, s34, v1
	s_sub_co_i32 s8, s4, s5
	s_and_saveexec_b32 s22, s2
	s_cbranch_execz .LBB18_20
; %bb.9:
	s_load_b64 s[4:5], s[0:1], 0x10
	s_ashr_i32 s15, s14, 31
	s_sub_co_i32 s36, s8, s9
	s_ashr_i32 s25, s13, 31
	s_lshl_b64 s[38:39], s[14:15], 2
	s_cmp_neq_f32 s35, 0
	v_bfe_u32 v11, v0, 1, 4
	v_dual_mov_b32 v3, 0 :: v_dual_lshlrev_b32 v6, 3, v0
	s_cselect_b32 vcc_lo, -1, 0
	s_abs_i32 s15, s10
	s_delay_alu instid0(VALU_DEP_2) | instskip(SKIP_3) | instid1(SALU_CYCLE_1)
	v_lshlrev_b32_e32 v2, 4, v11
	s_cvt_f32_u32 s3, s15
	v_dual_lshlrev_b32 v7, 2, v11 :: v_dual_lshlrev_b32 v12, 6, v4
	s_sub_co_i32 s26, 0, s15
	v_rcp_iflag_f32_e32 v5, s3
	v_cmp_eq_u32_e64 s3, 0, v4
	s_delay_alu instid0(VALU_DEP_2)
	v_lshl_or_b32 v13, v1, 6, v7
	v_mov_b32_e32 v16, 0xff7fffff
	s_wait_kmcnt 0x0
	s_add_nc_u64 s[4:5], s[4:5], s[38:39]
	v_dual_mov_b32 v18, v1 :: v_dual_bitop2_b32 v17, 1, v10 bitop3:0x14
	v_add_nc_u32_e32 v15, 0xa0, v13
	v_readfirstlane_b32 s24, v5
	v_add_nc_u64_e32 v[4:5], s[4:5], v[2:3]
	v_and_b32_e32 v2, 8, v6
	v_subrev_nc_u32_e32 v6, s31, v11
	s_lshl_b64 s[4:5], s[20:21], 2
	s_mul_f32 s24, s24, 0x4f7ffffe
	s_add_nc_u64 s[4:5], s[18:19], s[4:5]
	v_mov_b32_e32 v13, 0xff7fffff
	v_add_nc_u64_e32 v[4:5], v[4:5], v[2:3]
	v_and_b32_e32 v2, 0x7c, v9
	s_cvt_u32_f32 s37, s24
	v_add_nc_u32_e32 v14, 1, v6
	s_mov_b32 s27, 0
	s_mov_b32 s24, s13
	v_add_nc_u64_e32 v[6:7], s[4:5], v[2:3]
	s_mul_i32 s26, s26, s37
	v_lshlrev_b32_e32 v2, 4, v1
	s_mul_hi_u32 s4, s37, s26
	s_delay_alu instid0(SALU_CYCLE_1)
	s_add_co_i32 s26, s37, s4
	s_mov_b32 s37, s27
	s_branch .LBB18_12
.LBB18_10:                              ;   in Loop: Header=BB18_12 Depth=1
	s_or_b32 exec_lo, exec_lo, s38
.LBB18_11:                              ;   in Loop: Header=BB18_12 Depth=1
	s_delay_alu instid0(SALU_CYCLE_1) | instskip(SKIP_4) | instid1(VALU_DEP_4)
	s_or_b32 exec_lo, exec_lo, s5
	v_add_nc_u32_e32 v18, 4, v18
	v_add_nc_u64_e32 v[6:7], 16, v[6:7]
	v_add_nc_u32_e32 v2, 64, v2
	v_add_nc_u32_e32 v15, 0x100, v15
	v_cmp_le_i32_e64 s4, s34, v18
	s_or_b32 s37, s4, s37
	s_delay_alu instid0(SALU_CYCLE_1)
	s_and_not1_b32 exec_lo, exec_lo, s37
	s_cbranch_execz .LBB18_19
.LBB18_12:                              ; =>This Inner Loop Header: Depth=1
	s_wait_dscnt 0x0
	v_mul_u64_e32 v[20:21], s[16:17], v[2:3]
	s_delay_alu instid0(VALU_DEP_1) | instskip(NEXT) | instid1(VALU_DEP_1)
	v_mul_lo_u32 v19, v21, s12
	v_dual_add_nc_u32 v20, 1, v21 :: v_dual_sub_nc_u32 v19, v2, v19
	s_delay_alu instid0(VALU_DEP_1) | instskip(SKIP_1) | instid1(VALU_DEP_1)
	v_subrev_nc_u32_e32 v23, s12, v19
	v_cmp_le_u32_e64 s4, s12, v19
	v_dual_cndmask_b32 v20, v21, v20, s4 :: v_dual_cndmask_b32 v19, v19, v23, s4
	s_delay_alu instid0(VALU_DEP_1) | instskip(NEXT) | instid1(VALU_DEP_2)
	v_add_nc_u32_e32 v21, 1, v20
	v_cmp_le_u32_e64 s4, s12, v19
	s_delay_alu instid0(VALU_DEP_1) | instskip(NEXT) | instid1(VALU_DEP_1)
	v_dual_cndmask_b32 v19, v20, v21, s4 :: v_dual_mov_b32 v21, v3
	v_xor_b32_e32 v19, s11, v19
	s_delay_alu instid0(VALU_DEP_1) | instskip(NEXT) | instid1(VALU_DEP_1)
	v_subrev_nc_u32_e32 v19, s11, v19
	v_add_nc_u32_e32 v23, s33, v19
	v_cmp_ge_i32_e64 s5, s36, v19
	s_delay_alu instid0(VALU_DEP_2) | instskip(NEXT) | instid1(VALU_DEP_1)
	v_sub_nc_u32_e32 v20, 0, v23
	v_dual_ashrrev_i32 v23, 31, v23 :: v_dual_max_i32 v20, v23, v20
	s_delay_alu instid0(VALU_DEP_1) | instskip(NEXT) | instid1(VALU_DEP_1)
	v_mul_u64_e32 v[24:25], s[26:27], v[20:21]
	v_mul_lo_u32 v21, v25, s15
	s_delay_alu instid0(VALU_DEP_1) | instskip(NEXT) | instid1(VALU_DEP_1)
	v_sub_nc_u32_e32 v20, v20, v21
	v_subrev_nc_u32_e32 v21, s15, v20
	v_cmp_le_u32_e64 s4, s15, v20
	s_delay_alu instid0(VALU_DEP_1) | instskip(NEXT) | instid1(VALU_DEP_1)
	v_cndmask_b32_e64 v20, v20, v21, s4
	v_subrev_nc_u32_e32 v21, s15, v20
	v_cmp_le_u32_e64 s4, s15, v20
	s_delay_alu instid0(VALU_DEP_1) | instskip(NEXT) | instid1(VALU_DEP_1)
	v_cndmask_b32_e64 v20, v20, v21, s4
	v_xor_b32_e32 v20, v20, v23
	s_delay_alu instid0(VALU_DEP_1) | instskip(NEXT) | instid1(VALU_DEP_1)
	v_sub_nc_u32_e32 v20, v20, v23
	v_cmp_ne_u32_e64 s4, 0, v20
	s_and_b32 s4, s4, s5
	s_delay_alu instid0(SALU_CYCLE_1) | instskip(NEXT) | instid1(SALU_CYCLE_1)
	s_and_saveexec_b32 s5, s4
	s_xor_b32 s4, exec_lo, s5
	s_cbranch_execz .LBB18_16
; %bb.13:                               ;   in Loop: Header=BB18_12 Depth=1
	s_and_saveexec_b32 s5, s3
; %bb.14:                               ;   in Loop: Header=BB18_12 Depth=1
	ds_store_b32 v15, v16
; %bb.15:                               ;   in Loop: Header=BB18_12 Depth=1
	s_or_b32 exec_lo, exec_lo, s5
.LBB18_16:                              ;   in Loop: Header=BB18_12 Depth=1
	s_and_not1_saveexec_b32 s5, s4
	s_cbranch_execz .LBB18_11
; %bb.17:                               ;   in Loop: Header=BB18_12 Depth=1
	global_load_b32 v20, v[6:7], off
	v_cmp_gt_i32_e64 s4, 32, v17
	s_wait_loadcnt 0x0
	v_ashrrev_i32_e32 v21, 31, v20
	s_delay_alu instid0(VALU_DEP_1) | instskip(NEXT) | instid1(VALU_DEP_1)
	v_mul_u64_e32 v[20:21], s[24:25], v[20:21]
	v_lshl_add_u64 v[20:21], v[20:21], 2, v[4:5]
	s_clause 0x7
	global_load_b64 v[36:37], v[20:21], off offset:256
	global_load_b64 v[38:39], v[20:21], off
	global_load_b64 v[40:41], v[20:21], off offset:512
	global_load_b64 v[42:43], v[20:21], off offset:768
	;; [unrolled: 1-line block ×6, first 2 shown]
	ds_load_b128 v[24:27], v12
	ds_load_b128 v[28:31], v12 offset:16
	ds_load_b128 v[32:35], v12 offset:32
	s_wait_xcnt 0x0
	v_cndmask_b32_e64 v21, v10, v17, s4
	s_wait_loadcnt_dscnt 0x702
	v_dual_mul_f32 v20, v27, v37 :: v_dual_mul_f32 v19, v26, v36
	s_wait_loadcnt 0x6
	s_delay_alu instid0(VALU_DEP_1) | instskip(SKIP_4) | instid1(VALU_DEP_1)
	v_dual_fmac_f32 v20, v25, v39 :: v_dual_fmac_f32 v19, v24, v38
	ds_load_b128 v[24:27], v12 offset:48
	s_wait_loadcnt_dscnt 0x502
	v_dual_fmac_f32 v20, v29, v41 :: v_dual_fmac_f32 v19, v28, v40
	s_wait_loadcnt 0x4
	v_dual_fmac_f32 v20, v31, v43 :: v_dual_fmac_f32 v19, v30, v42
	s_wait_loadcnt_dscnt 0x301
	s_delay_alu instid0(VALU_DEP_1) | instskip(SKIP_1) | instid1(VALU_DEP_1)
	v_dual_fmac_f32 v20, v33, v45 :: v_dual_fmac_f32 v19, v32, v44
	s_wait_loadcnt 0x2
	v_dual_fmac_f32 v20, v35, v47 :: v_dual_fmac_f32 v19, v34, v46
	s_wait_loadcnt_dscnt 0x100
	s_delay_alu instid0(VALU_DEP_1) | instskip(SKIP_1) | instid1(VALU_DEP_1)
	v_dual_fmac_f32 v20, v25, v49 :: v_dual_fmac_f32 v19, v24, v48
	s_wait_loadcnt 0x0
	v_dual_fmac_f32 v20, v27, v51 :: v_dual_fmac_f32 v19, v26, v50
	s_delay_alu instid0(VALU_DEP_1)
	v_dual_lshlrev_b32 v21, 2, v21 :: v_dual_add_f32 v19, v19, v20
	ds_bpermute_b32 v20, v21, v19
	s_and_saveexec_b32 s38, s3
	s_cbranch_execz .LBB18_10
; %bb.18:                               ;   in Loop: Header=BB18_12 Depth=1
	s_wait_dscnt 0x0
	v_dual_add_nc_u32 v21, v14, v2 :: v_dual_add_f32 v19, v19, v20
	s_delay_alu instid0(VALU_DEP_1) | instskip(NEXT) | instid1(VALU_DEP_1)
	v_cvt_f32_i32_e32 v21, v21
	v_mul_f32_e32 v21, s35, v21
	s_delay_alu instid0(VALU_DEP_1) | instskip(NEXT) | instid1(VALU_DEP_1)
	v_cndmask_b32_e32 v20, 0, v21, vcc_lo
	v_dual_fmac_f32 v20, s23, v19 :: v_dual_add_nc_u32 v19, v11, v2
	s_delay_alu instid0(VALU_DEP_1) | instskip(NEXT) | instid1(VALU_DEP_1)
	v_cmp_gt_i32_e64 s4, s31, v19
	v_dual_max_num_f32 v21, v13, v13 :: v_dual_cndmask_b32 v19, 0, v20, s4
	s_delay_alu instid0(VALU_DEP_1)
	v_max_num_f32_e32 v21, v21, v20
	ds_store_b32 v15, v19
	v_cndmask_b32_e64 v13, v13, v21, s4
	s_branch .LBB18_10
.LBB18_19:
	s_or_b32 exec_lo, exec_lo, s37
.LBB18_20:
	s_delay_alu instid0(SALU_CYCLE_1)
	s_or_b32 exec_lo, exec_lo, s22
	v_dual_max_num_f32 v5, v13, v13 :: v_dual_bitop2_b32 v2, 16, v10 bitop3:0x14
	v_xor_b32_e32 v4, 8, v10
	s_clause 0x1
	s_load_b64 s[4:5], s[0:1], 0x0
	s_load_b64 s[22:23], s[0:1], 0x18
	v_and_b32_e32 v32, 31, v0
	v_cmp_gt_i32_e32 vcc_lo, 32, v2
	v_cndmask_b32_e32 v2, v10, v2, vcc_lo
	v_cmp_gt_i32_e32 vcc_lo, 32, v4
	s_delay_alu instid0(VALU_DEP_2) | instskip(SKIP_3) | instid1(VALU_DEP_1)
	v_dual_cndmask_b32 v4, v10, v4, vcc_lo :: v_dual_lshlrev_b32 v2, 2, v2
	ds_bpermute_b32 v3, v2, v13
	s_wait_dscnt 0x0
	v_dual_max_num_f32 v6, v3, v3 :: v_dual_lshlrev_b32 v3, 2, v4
	v_max_num_f32_e32 v5, v5, v6
	ds_bpermute_b32 v4, v3, v5
	s_wait_dscnt 0x0
	v_dual_max_num_f32 v7, v4, v4 :: v_dual_bitop2_b32 v6, 4, v10 bitop3:0x14
	s_delay_alu instid0(VALU_DEP_1) | instskip(NEXT) | instid1(VALU_DEP_2)
	v_cmp_gt_i32_e32 vcc_lo, 32, v6
	v_dual_max_num_f32 v5, v5, v7 :: v_dual_bitop2_b32 v7, 2, v10 bitop3:0x14
	v_cndmask_b32_e32 v6, v10, v6, vcc_lo
	s_delay_alu instid0(VALU_DEP_2) | instskip(NEXT) | instid1(VALU_DEP_2)
	v_cmp_gt_i32_e32 vcc_lo, 32, v7
	v_dual_cndmask_b32 v7, v10, v7 :: v_dual_lshlrev_b32 v4, 2, v6
	v_cmp_eq_u32_e32 vcc_lo, 0, v32
	s_delay_alu instid0(VALU_DEP_2) | instskip(SKIP_3) | instid1(VALU_DEP_1)
	v_lshlrev_b32_e32 v33, 2, v7
	ds_bpermute_b32 v6, v4, v5
	s_wait_dscnt 0x0
	v_max_num_f32_e32 v6, v6, v6
	v_dual_max_num_f32 v6, v5, v6 :: v_dual_lshlrev_b32 v5, 2, v1
	ds_bpermute_b32 v7, v33, v6
	s_wait_xcnt 0x0
	s_and_saveexec_b32 s0, vcc_lo
	s_cbranch_execz .LBB18_22
; %bb.21:
	s_wait_dscnt 0x0
	v_dual_max_num_f32 v7, v7, v7 :: v_dual_max_num_f32 v6, v6, v6
	s_delay_alu instid0(VALU_DEP_1)
	v_max_num_f32_e32 v6, v6, v7
	ds_store_b32 v5, v6 offset:128
.LBB18_22:
	s_or_b32 exec_lo, exec_lo, s0
	v_cmp_gt_u32_e64 s0, 4, v32
	s_wait_dscnt 0x0
	v_dual_mov_b32 v7, 0xff7fffff :: v_dual_lshlrev_b32 v6, 2, v32
	s_barrier_signal -1
	s_barrier_wait -1
	s_and_saveexec_b32 s1, s0
; %bb.23:
	ds_load_b32 v7, v6 offset:128
; %bb.24:
	s_or_b32 exec_lo, exec_lo, s1
	s_wait_dscnt 0x0
	ds_bpermute_b32 v11, v33, v7
	v_dual_max_num_f32 v7, v7, v7 :: v_dual_bitop2_b32 v12, 1, v10 bitop3:0x14
	s_delay_alu instid0(VALU_DEP_1) | instskip(NEXT) | instid1(VALU_DEP_1)
	v_cmp_gt_i32_e64 s1, 32, v12
	v_cndmask_b32_e64 v10, v10, v12, s1
	s_lshl_b32 s1, s34, 4
	s_delay_alu instid0(SALU_CYCLE_1) | instskip(NEXT) | instid1(SALU_CYCLE_1)
	s_min_i32 s15, s1, s31
	v_cmp_gt_i32_e64 s1, s15, v0
	s_wait_dscnt 0x0
	v_dual_max_num_f32 v11, v11, v11 :: v_dual_lshlrev_b32 v34, 2, v10
	s_delay_alu instid0(VALU_DEP_1) | instskip(SKIP_3) | instid1(VALU_DEP_1)
	v_max_num_f32_e32 v7, v7, v11
	ds_bpermute_b32 v10, v34, v7
	s_wait_dscnt 0x0
	v_max_num_f32_e32 v10, v10, v10
	v_dual_max_num_f32 v10, v7, v10 :: v_dual_mov_b32 v7, 0
	ds_bpermute_b32 v10, v7, v10
	s_and_saveexec_b32 s24, s1
	s_cbranch_execz .LBB18_28
; %bb.25:
	v_lshl_add_u32 v11, v0, 2, 0xa0
	v_dual_mov_b32 v7, 0 :: v_dual_mov_b32 v12, v0
	s_mov_b32 s25, 0
.LBB18_26:                              ; =>This Inner Loop Header: Depth=1
	ds_load_b32 v13, v11
	v_add_nc_u32_e32 v12, 0x80, v12
	s_delay_alu instid0(VALU_DEP_1) | instskip(SKIP_3) | instid1(VALU_DEP_1)
	v_cmp_le_i32_e64 s3, s15, v12
	s_or_b32 s25, s3, s25
	s_wait_dscnt 0x0
	v_sub_f32_e32 v13, v13, v10
	v_mul_f32_e32 v13, 0x3fb8aa3b, v13
	s_delay_alu instid0(VALU_DEP_1)
	v_exp_f32_e32 v13, v13
	ds_store_b32 v11, v13
	v_nop
	v_add_f32_e32 v7, v7, v13
	v_add_nc_u32_e32 v11, 0x200, v11
	s_and_not1_b32 exec_lo, exec_lo, s25
	s_cbranch_execnz .LBB18_26
; %bb.27:
	s_or_b32 exec_lo, exec_lo, s25
.LBB18_28:
	s_delay_alu instid0(SALU_CYCLE_1)
	s_or_b32 exec_lo, exec_lo, s24
	ds_bpermute_b32 v2, v2, v7
	s_wait_dscnt 0x0
	v_add_f32_e32 v2, v7, v2
	ds_bpermute_b32 v3, v3, v2
	s_wait_dscnt 0x0
	v_add_f32_e32 v2, v2, v3
	;; [unrolled: 3-line block ×5, first 2 shown]
	s_and_saveexec_b32 s3, vcc_lo
; %bb.29:
	ds_store_b32 v5, v2 offset:144
; %bb.30:
	s_or_b32 exec_lo, exec_lo, s3
	s_wait_dscnt 0x0
	s_barrier_signal -1
	s_barrier_wait -1
	s_and_saveexec_b32 s3, s0
; %bb.31:
	ds_load_b32 v2, v6 offset:144
; %bb.32:
	s_or_b32 exec_lo, exec_lo, s3
	s_wait_dscnt 0x0
	ds_bpermute_b32 v3, v33, v2
	s_wait_dscnt 0x0
	v_dual_mov_b32 v25, 0 :: v_dual_add_f32 v2, v2, v3
	ds_bpermute_b32 v3, v34, v2
	s_wait_dscnt 0x0
	v_add_f32_e32 v2, v2, v3
	ds_bpermute_b32 v2, v25, v2
	s_and_saveexec_b32 s0, s1
	s_cbranch_execz .LBB18_45
; %bb.33:
	s_wait_dscnt 0x0
	v_add_f32_e32 v2, 0x358637bd, v2
	s_mov_b32 s3, -1
	s_mov_b32 s1, exec_lo
	s_delay_alu instid0(VALU_DEP_1) | instskip(NEXT) | instid1(VALU_DEP_1)
	v_div_scale_f32 v3, null, v2, v2, 1.0
	v_rcp_f32_e32 v5, v3
	v_nop
	s_delay_alu instid0(TRANS32_DEP_1) | instskip(NEXT) | instid1(VALU_DEP_1)
	v_fma_f32 v4, -v3, v5, 1.0
	v_fmac_f32_e32 v5, v4, v5
	v_div_scale_f32 v6, vcc_lo, 1.0, v2, 1.0
	s_delay_alu instid0(VALU_DEP_1) | instskip(NEXT) | instid1(VALU_DEP_1)
	v_mul_f32_e32 v7, v6, v5
	v_fma_f32 v4, -v3, v7, v6
	s_delay_alu instid0(VALU_DEP_1) | instskip(SKIP_1) | instid1(VALU_DEP_2)
	v_fmac_f32_e32 v7, v4, v5
	v_xad_u32 v4, v0, -1, s15
	v_fma_f32 v3, -v3, v7, v6
	s_delay_alu instid0(VALU_DEP_1) | instskip(NEXT) | instid1(VALU_DEP_1)
	v_div_fmas_f32 v3, v3, v5, v7
	v_div_fixup_f32 v2, v3, v2, 1.0
	v_mov_b32_e32 v3, v0
	v_cmpx_lt_u32_e32 0x7f, v4
	s_cbranch_execz .LBB18_42
; %bb.34:
	s_delay_alu instid0(VALU_DEP_3) | instskip(NEXT) | instid1(VALU_DEP_1)
	v_dual_mov_b32 v3, v2 :: v_dual_lshrrev_b32 v4, 7, v4
	v_dual_mov_b32 v10, 0 :: v_dual_add_nc_u32 v5, -1, v4
	s_delay_alu instid0(VALU_DEP_1) | instskip(SKIP_1) | instid1(VALU_DEP_2)
	v_lshrrev_b32_e32 v6, 1, v5
	v_cmp_lt_u32_e32 vcc_lo, 13, v5
	v_add_nc_u32_e32 v5, 1, v6
	s_and_saveexec_b32 s3, vcc_lo
	s_cbranch_execz .LBB18_38
; %bb.35:
	s_delay_alu instid0(VALU_DEP_1)
	v_and_b32_e32 v6, -8, v5
	v_lshl_add_u32 v7, v0, 2, 0xa0
	s_mov_b32 s24, 0
	s_mov_b32 s25, 0
.LBB18_36:                              ; =>This Inner Loop Header: Depth=1
	ds_load_2addr_stride64_b32 v[10:11], v7 offset1:2
	ds_load_2addr_stride64_b32 v[12:13], v7 offset0:4 offset1:6
	ds_load_2addr_stride64_b32 v[14:15], v7 offset0:8 offset1:10
	;; [unrolled: 1-line block ×7, first 2 shown]
	s_add_co_i32 s25, s25, 16
	v_add_nc_u32_e32 v6, -8, v6
	s_wait_dscnt 0x7
	v_pk_mul_f32 v[10:11], v[2:3], v[10:11]
	s_wait_dscnt 0x6
	v_pk_mul_f32 v[12:13], v[2:3], v[12:13]
	;; [unrolled: 2-line block ×8, first 2 shown]
	ds_store_2addr_stride64_b32 v7, v10, v11 offset1:2
	ds_store_2addr_stride64_b32 v7, v12, v13 offset0:4 offset1:6
	ds_store_2addr_stride64_b32 v7, v14, v15 offset0:8 offset1:10
	;; [unrolled: 1-line block ×7, first 2 shown]
	v_mov_b32_e32 v10, s25
	v_cmp_eq_u32_e32 vcc_lo, 0, v6
	v_add_nc_u32_e32 v7, 0x2000, v7
	s_or_b32 s24, vcc_lo, s24
	s_delay_alu instid0(SALU_CYCLE_1)
	s_and_not1_b32 exec_lo, exec_lo, s24
	s_cbranch_execnz .LBB18_36
; %bb.37:
	s_or_b32 exec_lo, exec_lo, s24
.LBB18_38:
	s_delay_alu instid0(SALU_CYCLE_1) | instskip(NEXT) | instid1(VALU_DEP_1)
	s_or_b32 exec_lo, exec_lo, s3
	v_and_b32_e32 v5, 7, v5
	s_mov_b32 s24, 0
	s_mov_b32 s3, exec_lo
	s_delay_alu instid0(VALU_DEP_1)
	v_cmpx_ne_u32_e32 0, v5
	s_cbranch_execz .LBB18_41
; %bb.39:
	v_lshlrev_b32_e32 v6, 9, v10
	s_delay_alu instid0(VALU_DEP_1)
	v_add3_u32 v6, v6, v8, 0xa0
.LBB18_40:                              ; =>This Inner Loop Header: Depth=1
	ds_load_2addr_stride64_b32 v[10:11], v6 offset1:2
	v_add_nc_u32_e32 v5, -1, v5
	s_delay_alu instid0(VALU_DEP_1)
	v_cmp_eq_u32_e32 vcc_lo, 0, v5
	s_or_b32 s24, vcc_lo, s24
	s_wait_dscnt 0x0
	v_pk_mul_f32 v[10:11], v[2:3], v[10:11]
	ds_store_2addr_stride64_b32 v6, v10, v11 offset1:2
	v_add_nc_u32_e32 v6, 0x400, v6
	s_and_not1_b32 exec_lo, exec_lo, s24
	s_cbranch_execnz .LBB18_40
.LBB18_41:
	s_or_b32 exec_lo, exec_lo, s3
	v_add_nc_u32_e32 v3, 1, v4
	s_delay_alu instid0(VALU_DEP_1) | instskip(NEXT) | instid1(VALU_DEP_1)
	v_and_b32_e32 v4, 0x3fffffe, v3
	v_cmp_ne_u32_e32 vcc_lo, v3, v4
	v_lshl_add_u32 v3, v4, 7, v0
	s_or_not1_b32 s3, vcc_lo, exec_lo
.LBB18_42:
	s_or_b32 exec_lo, exec_lo, s1
	s_delay_alu instid0(SALU_CYCLE_1)
	s_and_b32 exec_lo, exec_lo, s3
	s_cbranch_execz .LBB18_45
; %bb.43:
	v_lshl_add_u32 v4, v3, 2, 0xa0
	s_mov_b32 s1, 0
.LBB18_44:                              ; =>This Inner Loop Header: Depth=1
	ds_load_b32 v5, v4
	v_add_nc_u32_e32 v3, 0x80, v3
	s_delay_alu instid0(VALU_DEP_1)
	v_cmp_le_i32_e32 vcc_lo, s15, v3
	s_or_b32 s1, vcc_lo, s1
	s_wait_dscnt 0x0
	v_mul_f32_e32 v5, v2, v5
	ds_store_b32 v4, v5
	v_add_nc_u32_e32 v4, 0x200, v4
	s_and_not1_b32 exec_lo, exec_lo, s1
	s_cbranch_execnz .LBB18_44
.LBB18_45:
	s_or_b32 exec_lo, exec_lo, s0
	v_dual_mov_b32 v24, 0 :: v_dual_bitop2_b32 v35, 3, v0 bitop3:0x40
	v_dual_mov_b32 v27, 0 :: v_dual_mov_b32 v26, 0
	s_wait_dscnt 0x0
	s_barrier_signal -1
	s_barrier_wait -1
	s_and_saveexec_b32 s1, s2
	s_cbranch_execz .LBB18_59
; %bb.46:
	s_abs_i32 s10, s10
	v_dual_mov_b32 v23, 0 :: v_dual_bitop2_b32 v36, 12, v8 bitop3:0x40
	s_cvt_f32_u32 s0, s10
	v_dual_lshlrev_b32 v4, 4, v0 :: v_dual_lshlrev_b32 v6, 4, v35
	s_ashr_i32 s15, s14, 31
	s_delay_alu instid0(SALU_CYCLE_1) | instskip(SKIP_1) | instid1(VALU_DEP_2)
	v_rcp_iflag_f32_e32 v3, s0
	v_and_b32_e32 v2, 0x7c, v9
	v_and_b32_e32 v4, 0x1f0, v4
	v_mov_b32_e32 v5, v23
	s_lshl_b64 s[20:21], s[20:21], 2
	s_lshl_b64 s[14:15], s[14:15], 2
	v_lshl_or_b32 v6, v1, 6, v6
	v_readfirstlane_b32 s0, v3
	v_mov_b32_e32 v3, v23
	s_add_nc_u64 s[18:19], s[18:19], s[20:21]
	s_wait_kmcnt 0x0
	s_add_nc_u64 s[14:15], s[22:23], s[14:15]
	s_sub_co_i32 s24, s8, s9
	s_mul_f32 s0, s0, 0x4f7ffffe
	s_sub_co_i32 s8, 0, s10
	v_add_nc_u64_e32 v[28:29], s[14:15], v[4:5]
	v_add_nc_u64_e32 v[30:31], s[18:19], v[2:3]
	s_cvt_u32_f32 s0, s0
	v_dual_mov_b32 v38, v1 :: v_dual_add_nc_u32 v37, 0xa0, v6
	v_dual_mov_b32 v26, v23 :: v_dual_mov_b32 v27, v23
	s_delay_alu instid0(SALU_CYCLE_1)
	s_mul_i32 s8, s8, s0
	v_dual_mov_b32 v24, v23 :: v_dual_mov_b32 v25, v23
	s_mov_b32 s9, 0
	s_mul_hi_u32 s8, s0, s8
	s_ashr_i32 s3, s13, 31
	s_mov_b32 s2, s13
	s_add_co_i32 s13, s34, -1
	s_mov_b32 s14, s31
	s_add_co_i32 s8, s0, s8
	s_mov_b32 s15, s9
	s_branch .LBB18_49
.LBB18_47:                              ;   in Loop: Header=BB18_49 Depth=1
	s_or_b32 exec_lo, exec_lo, s0
	s_wait_loadcnt_dscnt 0x200
	v_mul_f32_e32 v10, v6, v10
	s_wait_loadcnt 0x1
	v_mul_f32_e32 v14, v6, v14
	s_wait_loadcnt 0x0
	v_pk_mul_f32 v[18:19], v[6:7], v[18:19]
	v_pk_mul_f32 v[20:21], v[8:9], v[20:21]
	v_fmac_f32_e32 v10, v7, v11
	v_dual_fmac_f32 v14, v7, v15 :: v_dual_mul_f32 v2, v6, v2
	s_delay_alu instid0(VALU_DEP_2) | instskip(NEXT) | instid1(VALU_DEP_2)
	v_fmac_f32_e32 v10, v8, v12
	v_fmac_f32_e32 v14, v8, v16
	s_delay_alu instid0(VALU_DEP_3) | instskip(NEXT) | instid1(VALU_DEP_3)
	v_fmac_f32_e32 v2, v7, v3
	v_dual_add_f32 v3, v19, v18 :: v_dual_fmac_f32 v10, v9, v13
	s_delay_alu instid0(VALU_DEP_1) | instskip(NEXT) | instid1(VALU_DEP_2)
	v_dual_fmac_f32 v14, v9, v17 :: v_dual_add_f32 v3, v20, v3
	v_dual_fmac_f32 v2, v8, v4 :: v_dual_add_f32 v27, v27, v10
	s_delay_alu instid0(VALU_DEP_2) | instskip(NEXT) | instid1(VALU_DEP_2)
	v_dual_add_f32 v24, v24, v14 :: v_dual_add_f32 v3, v21, v3
	v_fmac_f32_e32 v2, v9, v5
	s_delay_alu instid0(VALU_DEP_1)
	v_dual_add_f32 v25, v25, v3 :: v_dual_add_f32 v26, v26, v2
.LBB18_48:                              ;   in Loop: Header=BB18_49 Depth=1
	s_or_b32 exec_lo, exec_lo, s18
	v_add_nc_u32_e32 v38, 4, v38
	v_add_nc_u64_e32 v[30:31], 16, v[30:31]
	v_add_nc_u32_e32 v22, 64, v22
	v_add_nc_u32_e32 v37, 0x100, v37
	s_delay_alu instid0(VALU_DEP_4) | instskip(SKIP_1) | instid1(SALU_CYCLE_1)
	v_cmp_le_i32_e32 vcc_lo, s34, v38
	s_or_b32 s15, vcc_lo, s15
	s_and_not1_b32 exec_lo, exec_lo, s15
	s_cbranch_execz .LBB18_58
.LBB18_49:                              ; =>This Inner Loop Header: Depth=1
	v_mul_u64_e32 v[2:3], s[16:17], v[22:23]
	s_delay_alu instid0(VALU_DEP_1) | instskip(NEXT) | instid1(VALU_DEP_1)
	v_mul_lo_u32 v2, v3, s12
	v_dual_add_nc_u32 v4, 1, v3 :: v_dual_sub_nc_u32 v2, v22, v2
	s_delay_alu instid0(VALU_DEP_1) | instskip(SKIP_1) | instid1(VALU_DEP_2)
	v_subrev_nc_u32_e32 v5, s12, v2
	v_cmp_le_u32_e32 vcc_lo, s12, v2
	v_dual_cndmask_b32 v3, v3, v4 :: v_dual_cndmask_b32 v2, v2, v5
	s_delay_alu instid0(VALU_DEP_1) | instskip(NEXT) | instid1(VALU_DEP_2)
	v_add_nc_u32_e32 v4, 1, v3
	v_cmp_le_u32_e32 vcc_lo, s12, v2
	s_delay_alu instid0(VALU_DEP_2) | instskip(NEXT) | instid1(VALU_DEP_1)
	v_cndmask_b32_e32 v2, v3, v4, vcc_lo
	v_dual_mov_b32 v3, v23 :: v_dual_bitop2_b32 v2, s11, v2 bitop3:0x14
	s_delay_alu instid0(VALU_DEP_1) | instskip(NEXT) | instid1(VALU_DEP_1)
	v_subrev_nc_u32_e32 v6, s11, v2
	v_add_nc_u32_e32 v7, s33, v6
	v_cmp_lt_i32_e64 s0, s24, v6
	s_delay_alu instid0(VALU_DEP_2) | instskip(NEXT) | instid1(VALU_DEP_1)
	v_sub_nc_u32_e32 v2, 0, v7
	v_max_i32_e32 v2, v7, v2
	s_delay_alu instid0(VALU_DEP_1) | instskip(SKIP_1) | instid1(VALU_DEP_2)
	v_mul_u64_e32 v[4:5], s[8:9], v[2:3]
	v_ashrrev_i32_e32 v4, 31, v7
	v_mul_lo_u32 v3, v5, s10
	s_delay_alu instid0(VALU_DEP_1) | instskip(NEXT) | instid1(VALU_DEP_1)
	v_sub_nc_u32_e32 v2, v2, v3
	v_subrev_nc_u32_e32 v3, s10, v2
	v_cmp_le_u32_e32 vcc_lo, s10, v2
	s_delay_alu instid0(VALU_DEP_2) | instskip(NEXT) | instid1(VALU_DEP_1)
	v_cndmask_b32_e32 v2, v2, v3, vcc_lo
	v_subrev_nc_u32_e32 v3, s10, v2
	v_cmp_le_u32_e32 vcc_lo, s10, v2
	s_delay_alu instid0(VALU_DEP_2) | instskip(NEXT) | instid1(VALU_DEP_1)
	v_cndmask_b32_e32 v2, v2, v3, vcc_lo
	v_xor_b32_e32 v2, v2, v4
	s_delay_alu instid0(VALU_DEP_1) | instskip(NEXT) | instid1(VALU_DEP_1)
	v_sub_nc_u32_e32 v2, v2, v4
	v_cmp_eq_u32_e32 vcc_lo, 0, v2
	s_or_b32 s0, vcc_lo, s0
	s_delay_alu instid0(SALU_CYCLE_1)
	s_and_saveexec_b32 s18, s0
	s_cbranch_execz .LBB18_48
; %bb.50:                               ;   in Loop: Header=BB18_49 Depth=1
	global_load_b32 v2, v[30:31], off
	v_add_nc_u32_e32 v39, v36, v22
	ds_load_b128 v[6:9], v37
	v_cmp_eq_u32_e32 vcc_lo, s13, v38
	v_or_b32_e32 v41, 3, v39
	v_dual_add_nc_u32 v42, 1, v39 :: v_dual_bitop2_b32 v40, 2, v39 bitop3:0x54
	s_wait_loadcnt 0x0
	v_ashrrev_i32_e32 v3, 31, v2
	s_delay_alu instid0(VALU_DEP_1) | instskip(NEXT) | instid1(VALU_DEP_1)
	v_mul_u64_e32 v[2:3], s[2:3], v[2:3]
	v_lshl_add_u64 v[18:19], v[2:3], 2, v[28:29]
	global_load_b128 v[2:5], v[18:19], off
	s_wait_xcnt 0x0
	s_and_saveexec_b32 s19, vcc_lo
	s_cbranch_execnz .LBB18_54
; %bb.51:                               ;   in Loop: Header=BB18_49 Depth=1
	s_or_b32 exec_lo, exec_lo, s19
	global_load_b128 v[10:13], v[18:19], off offset:512
	s_wait_xcnt 0x0
	s_and_saveexec_b32 s19, vcc_lo
	s_cbranch_execnz .LBB18_55
.LBB18_52:                              ;   in Loop: Header=BB18_49 Depth=1
	s_or_b32 exec_lo, exec_lo, s19
	global_load_b128 v[14:17], v[18:19], off offset:1024
	s_wait_xcnt 0x0
	s_and_saveexec_b32 s19, vcc_lo
	s_cbranch_execnz .LBB18_56
.LBB18_53:                              ;   in Loop: Header=BB18_49 Depth=1
	s_or_b32 exec_lo, exec_lo, s19
	global_load_b128 v[18:21], v[18:19], off offset:1536
	s_wait_xcnt 0x0
	s_and_saveexec_b32 s0, vcc_lo
	s_cbranch_execz .LBB18_47
	s_branch .LBB18_57
.LBB18_54:                              ;   in Loop: Header=BB18_49 Depth=1
	v_cmp_gt_i32_e64 s0, s14, v42
	s_wait_loadcnt 0x0
	s_delay_alu instid0(VALU_DEP_1) | instskip(SKIP_1) | instid1(VALU_DEP_1)
	v_cndmask_b32_e64 v3, 0, v3, s0
	v_cmp_gt_i32_e64 s0, s31, v39
	v_cndmask_b32_e64 v2, 0, v2, s0
	v_cmp_gt_i32_e64 s0, s14, v41
	s_delay_alu instid0(VALU_DEP_1) | instskip(SKIP_1) | instid1(VALU_DEP_1)
	v_cndmask_b32_e64 v5, 0, v5, s0
	v_cmp_gt_i32_e64 s0, s31, v40
	v_cndmask_b32_e64 v4, 0, v4, s0
	s_or_b32 exec_lo, exec_lo, s19
	global_load_b128 v[10:13], v[18:19], off offset:512
	s_wait_xcnt 0x0
	s_and_saveexec_b32 s19, vcc_lo
	s_cbranch_execz .LBB18_52
.LBB18_55:                              ;   in Loop: Header=BB18_49 Depth=1
	v_cmp_gt_i32_e64 s0, s14, v42
	s_wait_loadcnt 0x0
	s_delay_alu instid0(VALU_DEP_1) | instskip(SKIP_1) | instid1(VALU_DEP_1)
	v_cndmask_b32_e64 v11, 0, v11, s0
	v_cmp_gt_i32_e64 s0, s31, v39
	v_cndmask_b32_e64 v10, 0, v10, s0
	v_cmp_gt_i32_e64 s0, s14, v41
	s_delay_alu instid0(VALU_DEP_1) | instskip(SKIP_1) | instid1(VALU_DEP_1)
	v_cndmask_b32_e64 v13, 0, v13, s0
	v_cmp_gt_i32_e64 s0, s31, v40
	v_cndmask_b32_e64 v12, 0, v12, s0
	s_or_b32 exec_lo, exec_lo, s19
	global_load_b128 v[14:17], v[18:19], off offset:1024
	s_wait_xcnt 0x0
	s_and_saveexec_b32 s19, vcc_lo
	s_cbranch_execz .LBB18_53
.LBB18_56:                              ;   in Loop: Header=BB18_49 Depth=1
	v_cmp_gt_i32_e64 s0, s14, v42
	s_wait_loadcnt 0x0
	s_delay_alu instid0(VALU_DEP_1) | instskip(SKIP_1) | instid1(VALU_DEP_1)
	v_cndmask_b32_e64 v15, 0, v15, s0
	v_cmp_gt_i32_e64 s0, s31, v39
	v_cndmask_b32_e64 v14, 0, v14, s0
	v_cmp_gt_i32_e64 s0, s14, v41
	s_delay_alu instid0(VALU_DEP_1) | instskip(SKIP_1) | instid1(VALU_DEP_1)
	v_cndmask_b32_e64 v17, 0, v17, s0
	v_cmp_gt_i32_e64 s0, s31, v40
	v_cndmask_b32_e64 v16, 0, v16, s0
	s_or_b32 exec_lo, exec_lo, s19
	global_load_b128 v[18:21], v[18:19], off offset:1536
	s_wait_xcnt 0x0
	s_and_saveexec_b32 s0, vcc_lo
	s_cbranch_execz .LBB18_47
.LBB18_57:                              ;   in Loop: Header=BB18_49 Depth=1
	v_cmp_gt_i32_e32 vcc_lo, s14, v42
	s_wait_loadcnt 0x0
	v_cndmask_b32_e32 v19, 0, v19, vcc_lo
	v_cmp_gt_i32_e32 vcc_lo, s31, v39
	v_cndmask_b32_e32 v18, 0, v18, vcc_lo
	v_cmp_gt_i32_e32 vcc_lo, s14, v41
	v_cndmask_b32_e32 v21, 0, v21, vcc_lo
	v_cmp_gt_i32_e32 vcc_lo, s31, v40
	v_cndmask_b32_e32 v20, 0, v20, vcc_lo
	s_branch .LBB18_47
.LBB18_58:
	s_or_b32 exec_lo, exec_lo, s15
.LBB18_59:
	s_delay_alu instid0(SALU_CYCLE_1)
	s_or_b32 exec_lo, exec_lo, s1
	ds_bpermute_b32 v2, v33, v26
	ds_bpermute_b32 v3, v33, v27
	;; [unrolled: 1-line block ×4, first 2 shown]
	v_and_b32_e32 v9, 0x3c3, v0
	v_and_b32_e32 v8, 28, v32
	s_mov_b32 s0, exec_lo
	s_wait_dscnt 0x0
	s_barrier_signal -1
	s_barrier_wait -1
	v_pk_add_f32 v[2:3], v[26:27], v[2:3]
	v_pk_add_f32 v[4:5], v[24:25], v[4:5]
	ds_bpermute_b32 v10, v34, v2
	ds_bpermute_b32 v11, v34, v3
	;; [unrolled: 1-line block ×4, first 2 shown]
	s_wait_dscnt 0x2
	v_pk_add_f32 v[2:3], v[2:3], v[10:11]
	v_cmpx_ne_u32_e32 64, v9
	s_xor_b32 s0, exec_lo, s0
; %bb.60:
                                        ; implicit-def: $vgpr1
; %bb.61:
	s_delay_alu instid0(SALU_CYCLE_1)
	s_or_saveexec_b32 s0, s0
	s_wait_dscnt 0x0
	v_pk_add_f32 v[4:5], v[4:5], v[6:7]
	v_lshrrev_b32_e32 v7, 2, v32
	v_add_nc_u32_e32 v6, 0xa0, v8
	s_xor_b32 exec_lo, exec_lo, s0
	s_cbranch_execz .LBB18_63
; %bb.62:
	s_delay_alu instid0(VALU_DEP_1) | instskip(NEXT) | instid1(VALU_DEP_1)
	v_lshl_add_u32 v1, v1, 7, v6
	v_add_nc_u32_e32 v8, 0xffffff00, v1
	v_add_nc_u32_e32 v9, 0xffffff20, v1
	;; [unrolled: 1-line block ×4, first 2 shown]
	ds_store_b32 v8, v2
	ds_store_b32 v9, v3
	;; [unrolled: 1-line block ×4, first 2 shown]
.LBB18_63:
	s_or_b32 exec_lo, exec_lo, s0
	v_and_b32_e32 v1, 0x3e0, v0
	v_lshlrev_b32_e32 v7, 2, v7
	s_mov_b32 s1, exec_lo
	v_cmp_eq_u32_e32 vcc_lo, 0, v35
	s_wait_dscnt 0x0
	v_lshlrev_b32_e32 v1, 2, v1
	s_barrier_signal -1
	s_barrier_wait -1
	s_delay_alu instid0(VALU_DEP_1)
	v_add3_u32 v1, 0xa0, v1, v7
	v_cmpx_gt_u32_e32 64, v0
	s_cbranch_execz .LBB18_70
; %bb.64:
	s_and_saveexec_b32 s0, vcc_lo
	s_cbranch_execnz .LBB18_82
; %bb.65:
	s_or_b32 exec_lo, exec_lo, s0
	s_and_saveexec_b32 s0, vcc_lo
	s_cbranch_execnz .LBB18_83
.LBB18_66:
	s_or_b32 exec_lo, exec_lo, s0
	s_and_saveexec_b32 s0, vcc_lo
	s_cbranch_execnz .LBB18_84
.LBB18_67:
	s_or_b32 exec_lo, exec_lo, s0
	s_and_saveexec_b32 s0, vcc_lo
	s_cbranch_execz .LBB18_69
.LBB18_68:
	ds_load_b32 v7, v1 offset:96
	s_wait_dscnt 0x0
	v_add_f32_e32 v5, v5, v7
.LBB18_69:
	s_or_b32 exec_lo, exec_lo, s0
.LBB18_70:
	s_delay_alu instid0(SALU_CYCLE_1) | instskip(SKIP_4) | instid1(VALU_DEP_1)
	s_or_b32 exec_lo, exec_lo, s1
	v_and_b32_e32 v7, 0x3e3, v0
	s_mov_b32 s1, exec_lo
	s_barrier_signal -1
	s_barrier_wait -1
	v_cmpx_eq_u32_e32 32, v7
	s_cbranch_execz .LBB18_72
; %bb.71:
	ds_store_2addr_b32 v6, v2, v3 offset1:8
	ds_store_2addr_b32 v6, v4, v5 offset0:16 offset1:24
.LBB18_72:
	s_or_b32 exec_lo, exec_lo, s1
	s_delay_alu instid0(SALU_CYCLE_1)
	s_mov_b32 s1, exec_lo
	s_wait_dscnt 0x0
	s_barrier_signal -1
	s_barrier_wait -1
	v_cmpx_gt_u32_e32 32, v0
	s_cbranch_execz .LBB18_79
; %bb.73:
	s_and_saveexec_b32 s0, vcc_lo
	s_cbranch_execnz .LBB18_85
; %bb.74:
	s_or_b32 exec_lo, exec_lo, s0
	s_and_saveexec_b32 s0, vcc_lo
	s_cbranch_execnz .LBB18_86
.LBB18_75:
	s_or_b32 exec_lo, exec_lo, s0
	s_and_saveexec_b32 s0, vcc_lo
	s_cbranch_execnz .LBB18_87
.LBB18_76:
	s_or_b32 exec_lo, exec_lo, s0
	s_and_saveexec_b32 s0, vcc_lo
	s_cbranch_execz .LBB18_78
.LBB18_77:
	ds_load_b32 v1, v1 offset:96
	s_wait_dscnt 0x0
	v_add_f32_e32 v5, v5, v1
.LBB18_78:
	s_or_b32 exec_lo, exec_lo, s0
.LBB18_79:
	s_delay_alu instid0(SALU_CYCLE_1)
	s_or_b32 exec_lo, exec_lo, s1
	s_mov_b32 s1, 0
	s_barrier_signal -1
	s_barrier_wait -1
	s_mov_b32 s0, exec_lo
	v_cmpx_eq_u32_e32 0, v7
	s_cbranch_execz .LBB18_81
; %bb.80:
	s_mul_i32 s0, s30, s7
	s_mul_i32 s2, s7, s6
	;; [unrolled: 1-line block ×3, first 2 shown]
	s_lshr_b32 s8, ttmp7, 16
	s_lshl_b32 s6, s0, 5
	s_bfe_u32 s0, ttmp6, 0x40014
	s_ashr_i32 s7, s6, 31
	s_add_co_i32 s0, s0, 1
	s_ashr_i32 s3, s2, 31
	s_mul_i32 s0, s8, s0
	s_bfe_u32 s9, ttmp6, 0x40008
	s_lshl_b64 s[6:7], s[6:7], 2
	s_lshl_b64 s[2:3], s[2:3], 2
	s_add_co_i32 s9, s9, s0
	s_cmp_eq_u32 s28, 0
	s_wait_kmcnt 0x0
	s_add_nc_u64 s[4:5], s[4:5], s[6:7]
	s_cselect_b32 s0, s8, s9
	s_add_nc_u64 s[2:3], s[4:5], s[2:3]
	s_lshl_b32 s0, s0, 7
	s_delay_alu instid0(SALU_CYCLE_1)
	s_add_nc_u64 s[0:1], s[2:3], s[0:1]
	s_clause 0x3
	global_store_b32 v0, v2, s[0:1]
	global_store_b32 v0, v3, s[0:1] offset:32
	global_store_b32 v0, v4, s[0:1] offset:64
	;; [unrolled: 1-line block ×3, first 2 shown]
.LBB18_81:
	s_endpgm
.LBB18_82:
	ds_load_b32 v7, v1
	s_wait_dscnt 0x0
	v_add_f32_e32 v2, v2, v7
	s_or_b32 exec_lo, exec_lo, s0
	s_and_saveexec_b32 s0, vcc_lo
	s_cbranch_execz .LBB18_66
.LBB18_83:
	ds_load_b32 v7, v1 offset:32
	s_wait_dscnt 0x0
	v_add_f32_e32 v3, v3, v7
	s_or_b32 exec_lo, exec_lo, s0
	s_and_saveexec_b32 s0, vcc_lo
	s_cbranch_execz .LBB18_67
.LBB18_84:
	ds_load_b32 v7, v1 offset:64
	s_wait_dscnt 0x0
	v_add_f32_e32 v4, v4, v7
	s_or_b32 exec_lo, exec_lo, s0
	s_and_saveexec_b32 s0, vcc_lo
	s_cbranch_execnz .LBB18_68
	s_branch .LBB18_69
.LBB18_85:
	ds_load_b32 v6, v1
	s_wait_dscnt 0x0
	v_add_f32_e32 v2, v2, v6
	s_or_b32 exec_lo, exec_lo, s0
	s_and_saveexec_b32 s0, vcc_lo
	s_cbranch_execz .LBB18_75
.LBB18_86:
	ds_load_b32 v6, v1 offset:32
	s_wait_dscnt 0x0
	v_add_f32_e32 v3, v3, v6
	s_or_b32 exec_lo, exec_lo, s0
	s_and_saveexec_b32 s0, vcc_lo
	s_cbranch_execz .LBB18_76
.LBB18_87:
	ds_load_b32 v6, v1 offset:64
	s_wait_dscnt 0x0
	v_add_f32_e32 v4, v4, v6
	s_or_b32 exec_lo, exec_lo, s0
	s_and_saveexec_b32 s0, vcc_lo
	s_cbranch_execnz .LBB18_77
	s_branch .LBB18_78
	.section	.rodata,"a",@progbits
	.p2align	6, 0x0
	.amdhsa_kernel _ZN4vllm25paged_attention_v1_kernelIffLi32ELi16ELi128ELNS_18Fp8KVCacheDataTypeE0ELb1EEEvPT_PKS2_PKT0_S8_ifPKiSA_iPKfiiiSC_SC_iiiii
		.amdhsa_group_segment_fixed_size 160
		.amdhsa_private_segment_fixed_size 0
		.amdhsa_kernarg_size 384
		.amdhsa_user_sgpr_count 2
		.amdhsa_user_sgpr_dispatch_ptr 0
		.amdhsa_user_sgpr_queue_ptr 0
		.amdhsa_user_sgpr_kernarg_segment_ptr 1
		.amdhsa_user_sgpr_dispatch_id 0
		.amdhsa_user_sgpr_kernarg_preload_length 0
		.amdhsa_user_sgpr_kernarg_preload_offset 0
		.amdhsa_user_sgpr_private_segment_size 0
		.amdhsa_wavefront_size32 1
		.amdhsa_uses_dynamic_stack 0
		.amdhsa_enable_private_segment 0
		.amdhsa_system_sgpr_workgroup_id_x 1
		.amdhsa_system_sgpr_workgroup_id_y 1
		.amdhsa_system_sgpr_workgroup_id_z 1
		.amdhsa_system_sgpr_workgroup_info 0
		.amdhsa_system_vgpr_workitem_id 0
		.amdhsa_next_free_vgpr 52
		.amdhsa_next_free_sgpr 40
		.amdhsa_named_barrier_count 0
		.amdhsa_reserve_vcc 1
		.amdhsa_float_round_mode_32 0
		.amdhsa_float_round_mode_16_64 0
		.amdhsa_float_denorm_mode_32 3
		.amdhsa_float_denorm_mode_16_64 3
		.amdhsa_fp16_overflow 0
		.amdhsa_memory_ordered 1
		.amdhsa_forward_progress 1
		.amdhsa_inst_pref_size 43
		.amdhsa_round_robin_scheduling 0
		.amdhsa_exception_fp_ieee_invalid_op 0
		.amdhsa_exception_fp_denorm_src 0
		.amdhsa_exception_fp_ieee_div_zero 0
		.amdhsa_exception_fp_ieee_overflow 0
		.amdhsa_exception_fp_ieee_underflow 0
		.amdhsa_exception_fp_ieee_inexact 0
		.amdhsa_exception_int_div_zero 0
	.end_amdhsa_kernel
	.section	.text._ZN4vllm25paged_attention_v1_kernelIffLi32ELi16ELi128ELNS_18Fp8KVCacheDataTypeE0ELb1EEEvPT_PKS2_PKT0_S8_ifPKiSA_iPKfiiiSC_SC_iiiii,"axG",@progbits,_ZN4vllm25paged_attention_v1_kernelIffLi32ELi16ELi128ELNS_18Fp8KVCacheDataTypeE0ELb1EEEvPT_PKS2_PKT0_S8_ifPKiSA_iPKfiiiSC_SC_iiiii,comdat
.Lfunc_end18:
	.size	_ZN4vllm25paged_attention_v1_kernelIffLi32ELi16ELi128ELNS_18Fp8KVCacheDataTypeE0ELb1EEEvPT_PKS2_PKT0_S8_ifPKiSA_iPKfiiiSC_SC_iiiii, .Lfunc_end18-_ZN4vllm25paged_attention_v1_kernelIffLi32ELi16ELi128ELNS_18Fp8KVCacheDataTypeE0ELb1EEEvPT_PKS2_PKT0_S8_ifPKiSA_iPKfiiiSC_SC_iiiii
                                        ; -- End function
	.set _ZN4vllm25paged_attention_v1_kernelIffLi32ELi16ELi128ELNS_18Fp8KVCacheDataTypeE0ELb1EEEvPT_PKS2_PKT0_S8_ifPKiSA_iPKfiiiSC_SC_iiiii.num_vgpr, 52
	.set _ZN4vllm25paged_attention_v1_kernelIffLi32ELi16ELi128ELNS_18Fp8KVCacheDataTypeE0ELb1EEEvPT_PKS2_PKT0_S8_ifPKiSA_iPKfiiiSC_SC_iiiii.num_agpr, 0
	.set _ZN4vllm25paged_attention_v1_kernelIffLi32ELi16ELi128ELNS_18Fp8KVCacheDataTypeE0ELb1EEEvPT_PKS2_PKT0_S8_ifPKiSA_iPKfiiiSC_SC_iiiii.numbered_sgpr, 40
	.set _ZN4vllm25paged_attention_v1_kernelIffLi32ELi16ELi128ELNS_18Fp8KVCacheDataTypeE0ELb1EEEvPT_PKS2_PKT0_S8_ifPKiSA_iPKfiiiSC_SC_iiiii.num_named_barrier, 0
	.set _ZN4vllm25paged_attention_v1_kernelIffLi32ELi16ELi128ELNS_18Fp8KVCacheDataTypeE0ELb1EEEvPT_PKS2_PKT0_S8_ifPKiSA_iPKfiiiSC_SC_iiiii.private_seg_size, 0
	.set _ZN4vllm25paged_attention_v1_kernelIffLi32ELi16ELi128ELNS_18Fp8KVCacheDataTypeE0ELb1EEEvPT_PKS2_PKT0_S8_ifPKiSA_iPKfiiiSC_SC_iiiii.uses_vcc, 1
	.set _ZN4vllm25paged_attention_v1_kernelIffLi32ELi16ELi128ELNS_18Fp8KVCacheDataTypeE0ELb1EEEvPT_PKS2_PKT0_S8_ifPKiSA_iPKfiiiSC_SC_iiiii.uses_flat_scratch, 0
	.set _ZN4vllm25paged_attention_v1_kernelIffLi32ELi16ELi128ELNS_18Fp8KVCacheDataTypeE0ELb1EEEvPT_PKS2_PKT0_S8_ifPKiSA_iPKfiiiSC_SC_iiiii.has_dyn_sized_stack, 0
	.set _ZN4vllm25paged_attention_v1_kernelIffLi32ELi16ELi128ELNS_18Fp8KVCacheDataTypeE0ELb1EEEvPT_PKS2_PKT0_S8_ifPKiSA_iPKfiiiSC_SC_iiiii.has_recursion, 0
	.set _ZN4vllm25paged_attention_v1_kernelIffLi32ELi16ELi128ELNS_18Fp8KVCacheDataTypeE0ELb1EEEvPT_PKS2_PKT0_S8_ifPKiSA_iPKfiiiSC_SC_iiiii.has_indirect_call, 0
	.section	.AMDGPU.csdata,"",@progbits
; Kernel info:
; codeLenInByte = 5428
; TotalNumSgprs: 42
; NumVgprs: 52
; ScratchSize: 0
; MemoryBound: 0
; FloatMode: 240
; IeeeMode: 1
; LDSByteSize: 160 bytes/workgroup (compile time only)
; SGPRBlocks: 0
; VGPRBlocks: 3
; NumSGPRsForWavesPerEU: 42
; NumVGPRsForWavesPerEU: 52
; NamedBarCnt: 0
; Occupancy: 16
; WaveLimiterHint : 1
; COMPUTE_PGM_RSRC2:SCRATCH_EN: 0
; COMPUTE_PGM_RSRC2:USER_SGPR: 2
; COMPUTE_PGM_RSRC2:TRAP_HANDLER: 0
; COMPUTE_PGM_RSRC2:TGID_X_EN: 1
; COMPUTE_PGM_RSRC2:TGID_Y_EN: 1
; COMPUTE_PGM_RSRC2:TGID_Z_EN: 1
; COMPUTE_PGM_RSRC2:TIDIG_COMP_CNT: 0
	.section	.text._ZN4vllm25paged_attention_v1_kernelIffLi64ELi16ELi128ELNS_18Fp8KVCacheDataTypeE0ELb1EEEvPT_PKS2_PKT0_S8_ifPKiSA_iPKfiiiSC_SC_iiiii,"axG",@progbits,_ZN4vllm25paged_attention_v1_kernelIffLi64ELi16ELi128ELNS_18Fp8KVCacheDataTypeE0ELb1EEEvPT_PKS2_PKT0_S8_ifPKiSA_iPKfiiiSC_SC_iiiii,comdat
	.protected	_ZN4vllm25paged_attention_v1_kernelIffLi64ELi16ELi128ELNS_18Fp8KVCacheDataTypeE0ELb1EEEvPT_PKS2_PKT0_S8_ifPKiSA_iPKfiiiSC_SC_iiiii ; -- Begin function _ZN4vllm25paged_attention_v1_kernelIffLi64ELi16ELi128ELNS_18Fp8KVCacheDataTypeE0ELb1EEEvPT_PKS2_PKT0_S8_ifPKiSA_iPKfiiiSC_SC_iiiii
	.globl	_ZN4vllm25paged_attention_v1_kernelIffLi64ELi16ELi128ELNS_18Fp8KVCacheDataTypeE0ELb1EEEvPT_PKS2_PKT0_S8_ifPKiSA_iPKfiiiSC_SC_iiiii
	.p2align	8
	.type	_ZN4vllm25paged_attention_v1_kernelIffLi64ELi16ELi128ELNS_18Fp8KVCacheDataTypeE0ELb1EEEvPT_PKS2_PKT0_S8_ifPKiSA_iPKfiiiSC_SC_iiiii,@function
_ZN4vllm25paged_attention_v1_kernelIffLi64ELi16ELi128ELNS_18Fp8KVCacheDataTypeE0ELb1EEEvPT_PKS2_PKT0_S8_ifPKiSA_iPKfiiiSC_SC_iiiii: ; @_ZN4vllm25paged_attention_v1_kernelIffLi64ELi16ELi128ELNS_18Fp8KVCacheDataTypeE0ELb1EEEvPT_PKS2_PKT0_S8_ifPKiSA_iPKfiiiSC_SC_iiiii
; %bb.0:
	s_load_b64 s[6:7], s[0:1], 0x20
	s_bfe_u32 s3, ttmp6, 0x4000c
	s_bfe_u32 s5, ttmp6, 0x40010
	s_and_b32 s4, ttmp7, 0xffff
	s_add_co_i32 s3, s3, 1
	s_add_co_i32 s5, s5, 1
	s_and_b32 s2, ttmp6, 15
	s_bfe_u32 s8, ttmp6, 0x40004
	s_mul_i32 s3, ttmp9, s3
	s_mul_i32 s5, s4, s5
	s_getreg_b32 s28, hwreg(HW_REG_IB_STS2, 6, 4)
	s_add_co_i32 s9, s2, s3
	s_add_co_i32 s8, s8, s5
	s_cmp_eq_u32 s28, 0
	s_clause 0x1
	s_load_b32 s29, s[0:1], 0x80
	s_load_b64 s[2:3], s[0:1], 0x30
	s_cselect_b32 s30, s4, s8
	s_cselect_b32 s4, ttmp9, s9
	s_mov_b32 s19, 0
	s_delay_alu instid0(SALU_CYCLE_1) | instskip(SKIP_2) | instid1(SALU_CYCLE_1)
	s_mov_b32 s35, s19
	s_wait_kmcnt 0x0
	s_abs_i32 s5, s6
	s_cvt_f32_u32 s8, s5
	s_sub_co_i32 s9, 0, s5
	s_delay_alu instid0(SALU_CYCLE_2) | instskip(SKIP_2) | instid1(TRANS32_DEP_1)
	v_rcp_iflag_f32_e32 v1, s8
	s_abs_i32 s10, s29
	v_nop
	v_readfirstlane_b32 s8, v1
	s_mul_f32 s8, s8, 0x4f7ffffe
	s_delay_alu instid0(SALU_CYCLE_3) | instskip(NEXT) | instid1(SALU_CYCLE_3)
	s_cvt_u32_f32 s8, s8
	s_mul_i32 s9, s9, s8
	s_delay_alu instid0(SALU_CYCLE_1) | instskip(NEXT) | instid1(SALU_CYCLE_1)
	s_mul_hi_u32 s9, s8, s9
	s_add_co_i32 s8, s8, s9
	s_xor_b32 s9, s29, s6
	s_mul_hi_u32 s8, s10, s8
	s_ashr_i32 s9, s9, 31
	s_mul_i32 s11, s8, s5
	s_delay_alu instid0(SALU_CYCLE_1)
	s_sub_co_i32 s10, s10, s11
	s_add_co_i32 s11, s8, 1
	s_sub_co_i32 s12, s10, s5
	s_cmp_ge_u32 s10, s5
	s_cselect_b32 s8, s11, s8
	s_cselect_b32 s10, s12, s10
	s_add_co_i32 s11, s8, 1
	s_cmp_ge_u32 s10, s5
	s_cselect_b32 s5, s11, s8
	s_load_b64 s[10:11], s[0:1], 0x40
	s_xor_b32 s5, s5, s9
	s_abs_i32 s18, s4
	s_sub_co_i32 s16, s5, s9
	s_mov_b32 s9, s19
	s_abs_i32 s15, s16
	s_delay_alu instid0(SALU_CYCLE_1) | instskip(SKIP_1) | instid1(SALU_CYCLE_2)
	s_cvt_f32_u32 s5, s15
	s_sub_co_i32 s8, 0, s15
	v_rcp_iflag_f32_e32 v1, s5
	v_nop
	s_delay_alu instid0(TRANS32_DEP_1) | instskip(SKIP_1) | instid1(SALU_CYCLE_3)
	v_readfirstlane_b32 s5, v1
	s_mul_f32 s5, s5, 0x4f7ffffe
	s_cvt_u32_f32 s5, s5
	s_delay_alu instid0(SALU_CYCLE_3) | instskip(NEXT) | instid1(SALU_CYCLE_1)
	s_mul_i32 s8, s8, s5
	s_mul_hi_u32 s8, s5, s8
	s_delay_alu instid0(SALU_CYCLE_1)
	s_add_co_i32 s8, s5, s8
	s_wait_kmcnt 0x0
	s_cmp_eq_u64 s[10:11], 0
	s_cbranch_scc1 .LBB19_2
; %bb.1:
	s_ashr_i32 s5, s4, 31
	s_delay_alu instid0(SALU_CYCLE_1) | instskip(NEXT) | instid1(SALU_CYCLE_1)
	s_lshl_b64 s[12:13], s[4:5], 2
	s_add_nc_u64 s[10:11], s[10:11], s[12:13]
	s_load_b32 s35, s[10:11], 0x0
.LBB19_2:
	s_load_b32 s31, s[2:3], s30 offset:0x0 scale_offset
	s_load_b96 s[12:14], s[0:1], 0x48
	v_dual_lshlrev_b32 v8, 2, v0 :: v_dual_bitop2_b32 v4, 1, v0 bitop3:0x40
	s_wait_xcnt 0x0
	v_cmp_gt_u32_e64 s2, 32, v0
	s_ashr_i32 s3, s4, 31
	s_ashr_i32 s5, s16, 31
	s_mul_u64 s[20:21], s[18:19], s[8:9]
	s_lshl_b32 s16, s4, 6
	s_and_saveexec_b32 s8, s2
	s_cbranch_execz .LBB19_4
; %bb.3:
	s_load_b64 s[10:11], s[0:1], 0x8
	s_wait_kmcnt 0x0
	s_mul_i32 s22, s12, s30
	s_ashr_i32 s17, s16, 31
	s_ashr_i32 s23, s22, 31
	v_and_b32_e32 v1, 0xff8, v8
	s_lshl_b64 s[22:23], s[22:23], 2
	s_delay_alu instid0(VALU_DEP_1) | instskip(SKIP_2) | instid1(SALU_CYCLE_1)
	v_lshl_add_u32 v1, v4, 7, v1
	s_add_nc_u64 s[10:11], s[10:11], s[22:23]
	s_lshl_b64 s[22:23], s[16:17], 2
	s_add_nc_u64 s[10:11], s[10:11], s[22:23]
	global_load_b64 v[2:3], v0, s[10:11] scale_offset
	s_wait_loadcnt 0x0
	ds_store_b64 v1, v[2:3]
.LBB19_4:
	s_or_b32 exec_lo, exec_lo, s8
	s_load_b128 s[8:11], s[0:1], 0x68
	s_wait_kmcnt 0x0
	s_mul_i32 s12, s21, s15
	s_xor_b32 s5, s3, s5
	s_sub_co_i32 s3, s18, s12
	s_add_co_i32 s12, s21, 1
	s_sub_co_i32 s17, s3, s15
	s_cmp_ge_u32 s3, s15
	s_mov_b32 s22, -1
	s_cselect_b32 s12, s12, s21
	s_cselect_b32 s3, s17, s3
	s_add_co_i32 s17, s12, 1
	s_cmp_ge_u32 s3, s15
	s_load_b32 s3, s[0:1], 0x78
	s_cselect_b32 s15, s17, s12
	s_mov_b32 s21, 0
	s_xor_b32 s15, s15, s5
	s_mov_b32 s19, s21
	s_sub_co_i32 s5, s15, s5
	s_wait_dscnt 0x0
	s_barrier_signal -1
	s_abs_i32 s12, s11
	s_barrier_wait -1
	s_cvt_f32_u32 s17, s12
	s_sub_co_i32 s18, 0, s12
	s_delay_alu instid0(SALU_CYCLE_2) | instskip(SKIP_1) | instid1(TRANS32_DEP_1)
	v_rcp_iflag_f32_e32 v1, s17
	v_nop
	v_readfirstlane_b32 s17, v1
	s_mul_f32 s15, s17, 0x4f7ffffe
	s_delay_alu instid0(SALU_CYCLE_3) | instskip(SKIP_1) | instid1(SALU_CYCLE_1)
	s_cvt_u32_f32 s17, s15
	s_add_co_i32 s15, s31, -1
	s_abs_i32 s20, s15
	s_delay_alu instid0(SALU_CYCLE_1) | instskip(NEXT) | instid1(SALU_CYCLE_1)
	s_mul_i32 s18, s18, s17
	s_mul_hi_u32 s18, s17, s18
	s_delay_alu instid0(SALU_CYCLE_1)
	s_add_co_i32 s18, s17, s18
	s_wait_kmcnt 0x0
	s_cmp_lt_i32 s3, 0
                                        ; implicit-def: $sgpr17
	s_cbranch_scc0 .LBB19_6
; %bb.5:
	s_mul_i32 s6, s8, s6
	s_mov_b32 s22, s21
	s_add_co_i32 s6, s5, s6
	s_delay_alu instid0(SALU_CYCLE_1) | instskip(NEXT) | instid1(SALU_CYCLE_1)
	s_mul_i32 s6, s6, s3
	s_sub_co_i32 s17, 1, s6
.LBB19_6:
	s_ashr_i32 s6, s15, 31
	s_ashr_i32 s33, s11, 31
	s_and_not1_b32 vcc_lo, exec_lo, s22
	s_mul_u64 s[24:25], s[20:21], s[18:19]
	s_cbranch_vccnz .LBB19_8
; %bb.7:
	s_mul_i32 s8, s29, s8
	s_delay_alu instid0(SALU_CYCLE_1) | instskip(NEXT) | instid1(SALU_CYCLE_1)
	s_add_co_i32 s4, s8, s4
	s_mul_i32 s3, s4, s3
	s_delay_alu instid0(SALU_CYCLE_1)
	s_add_co_i32 s17, s3, 1
.LBB19_8:
	s_load_b32 s3, s[0:1], 0x38
	s_xor_b32 s4, s6, s33
	s_mul_i32 s6, s25, s12
	s_add_co_i32 s8, s25, 1
	s_sub_co_i32 s6, s20, s6
	s_clause 0x1
	s_load_b64 s[20:21], s[0:1], 0x28
	s_load_b32 s11, s[0:1], 0x88
	v_dual_lshrrev_b32 v1, 5, v0 :: v_dual_lshrrev_b32 v9, 3, v0
	v_mov_b32_e32 v13, 0xff7fffff
	v_mbcnt_lo_u32_b32 v10, -1, 0
	s_mul_i32 s14, s5, s14
	s_delay_alu instid0(VALU_DEP_3)
	v_lshlrev_b32_e32 v38, 4, v1
	s_wait_kmcnt 0x0
	s_mul_i32 s22, s3, s30
	s_sub_co_i32 s3, s6, s12
	s_ashr_i32 s23, s22, 31
	s_cmp_ge_u32 s6, s12
	s_cselect_b32 s8, s8, s25
	s_cselect_b32 s3, s3, s6
	s_add_co_i32 s6, s8, 1
	s_cmp_ge_u32 s3, s12
	s_cselect_b32 s3, s6, s8
	s_add_co_i32 s6, s31, 15
	s_delay_alu instid0(SALU_CYCLE_1) | instskip(NEXT) | instid1(SALU_CYCLE_1)
	s_ashr_i32 s8, s6, 31
	s_lshr_b32 s8, s8, 28
	s_delay_alu instid0(SALU_CYCLE_1) | instskip(NEXT) | instid1(SALU_CYCLE_1)
	s_add_co_i32 s6, s6, s8
	s_ashr_i32 s34, s6, 4
	s_xor_b32 s6, s3, s4
	v_cmp_gt_i32_e64 s3, s34, v1
	s_sub_co_i32 s8, s6, s4
	s_and_saveexec_b32 s36, s3
	s_cbranch_execz .LBB19_20
; %bb.9:
	s_load_b64 s[38:39], s[0:1], 0x10
	s_ashr_i32 s15, s14, 31
	s_sub_co_i32 s37, s8, s9
	s_ashr_i32 s25, s13, 31
	s_lshl_b64 s[40:41], s[14:15], 2
	s_cmp_neq_f32 s35, 0
	v_bfe_u32 v11, v0, 1, 4
	v_dual_mov_b32 v3, 0 :: v_dual_lshlrev_b32 v6, 3, v0
	s_cselect_b32 vcc_lo, -1, 0
	s_abs_i32 s15, s10
	s_delay_alu instid0(VALU_DEP_2) | instskip(SKIP_3) | instid1(SALU_CYCLE_1)
	v_lshlrev_b32_e32 v2, 4, v11
	s_cvt_f32_u32 s4, s15
	v_dual_lshlrev_b32 v7, 2, v11 :: v_dual_lshlrev_b32 v12, 7, v4
	s_sub_co_i32 s6, 0, s15
	v_rcp_iflag_f32_e32 v5, s4
	v_cmp_eq_u32_e64 s4, 0, v4
	s_delay_alu instid0(VALU_DEP_2)
	v_lshl_or_b32 v13, v1, 6, v7
	v_mov_b32_e32 v16, 0xff7fffff
	s_wait_kmcnt 0x0
	s_add_nc_u64 s[38:39], s[38:39], s[40:41]
	v_dual_mov_b32 v18, v1 :: v_dual_bitop2_b32 v17, 1, v10 bitop3:0x14
	v_add_nc_u32_e32 v15, 0x120, v13
	v_readfirstlane_b32 s5, v5
	v_add_nc_u64_e32 v[4:5], s[38:39], v[2:3]
	v_and_b32_e32 v2, 8, v6
	v_subrev_nc_u32_e32 v6, s31, v11
	s_lshl_b64 s[38:39], s[22:23], 2
	s_mul_f32 s5, s5, 0x4f7ffffe
	s_add_nc_u64 s[38:39], s[20:21], s[38:39]
	v_mov_b32_e32 v13, 0xff7fffff
	v_add_nc_u64_e32 v[4:5], v[4:5], v[2:3]
	v_and_b32_e32 v2, 0x7c, v9
	s_cvt_u32_f32 s5, s5
	v_add_nc_u32_e32 v14, 1, v6
	s_mov_b32 s27, 0
	s_mov_b32 s24, s13
	v_add_nc_u64_e32 v[6:7], s[38:39], v[2:3]
	s_mul_i32 s6, s6, s5
	v_lshlrev_b32_e32 v2, 4, v1
	s_mul_hi_u32 s6, s5, s6
	s_mov_b32 s38, s27
	s_add_co_i32 s26, s5, s6
	s_branch .LBB19_12
.LBB19_10:                              ;   in Loop: Header=BB19_12 Depth=1
	s_or_b32 exec_lo, exec_lo, s39
.LBB19_11:                              ;   in Loop: Header=BB19_12 Depth=1
	s_delay_alu instid0(SALU_CYCLE_1) | instskip(SKIP_4) | instid1(VALU_DEP_4)
	s_or_b32 exec_lo, exec_lo, s6
	v_add_nc_u32_e32 v18, 4, v18
	v_add_nc_u64_e32 v[6:7], 16, v[6:7]
	v_add_nc_u32_e32 v2, 64, v2
	v_add_nc_u32_e32 v15, 0x100, v15
	v_cmp_le_i32_e64 s5, s34, v18
	s_or_b32 s38, s5, s38
	s_delay_alu instid0(SALU_CYCLE_1)
	s_and_not1_b32 exec_lo, exec_lo, s38
	s_cbranch_execz .LBB19_19
.LBB19_12:                              ; =>This Inner Loop Header: Depth=1
	s_wait_dscnt 0x0
	v_mul_u64_e32 v[20:21], s[18:19], v[2:3]
	s_delay_alu instid0(VALU_DEP_1) | instskip(NEXT) | instid1(VALU_DEP_1)
	v_mul_lo_u32 v19, v21, s12
	v_dual_add_nc_u32 v20, 1, v21 :: v_dual_sub_nc_u32 v19, v2, v19
	s_delay_alu instid0(VALU_DEP_1) | instskip(SKIP_1) | instid1(VALU_DEP_1)
	v_subrev_nc_u32_e32 v22, s12, v19
	v_cmp_le_u32_e64 s5, s12, v19
	v_dual_cndmask_b32 v20, v21, v20, s5 :: v_dual_cndmask_b32 v19, v19, v22, s5
	s_delay_alu instid0(VALU_DEP_1) | instskip(NEXT) | instid1(VALU_DEP_2)
	v_add_nc_u32_e32 v21, 1, v20
	v_cmp_le_u32_e64 s5, s12, v19
	s_delay_alu instid0(VALU_DEP_1) | instskip(NEXT) | instid1(VALU_DEP_1)
	v_dual_cndmask_b32 v19, v20, v21, s5 :: v_dual_mov_b32 v21, v3
	v_xor_b32_e32 v19, s33, v19
	s_delay_alu instid0(VALU_DEP_1) | instskip(NEXT) | instid1(VALU_DEP_1)
	v_subrev_nc_u32_e32 v19, s33, v19
	v_add_nc_u32_e32 v24, s17, v19
	v_cmp_ge_i32_e64 s6, s37, v19
	s_delay_alu instid0(VALU_DEP_2) | instskip(NEXT) | instid1(VALU_DEP_1)
	v_sub_nc_u32_e32 v20, 0, v24
	v_max_i32_e32 v20, v24, v20
	s_delay_alu instid0(VALU_DEP_1) | instskip(SKIP_1) | instid1(VALU_DEP_2)
	v_mul_u64_e32 v[22:23], s[26:27], v[20:21]
	v_ashrrev_i32_e32 v22, 31, v24
	v_mul_lo_u32 v21, v23, s15
	s_delay_alu instid0(VALU_DEP_1) | instskip(NEXT) | instid1(VALU_DEP_1)
	v_sub_nc_u32_e32 v20, v20, v21
	v_subrev_nc_u32_e32 v21, s15, v20
	v_cmp_le_u32_e64 s5, s15, v20
	s_delay_alu instid0(VALU_DEP_1) | instskip(NEXT) | instid1(VALU_DEP_1)
	v_cndmask_b32_e64 v20, v20, v21, s5
	v_subrev_nc_u32_e32 v21, s15, v20
	v_cmp_le_u32_e64 s5, s15, v20
	s_delay_alu instid0(VALU_DEP_1) | instskip(NEXT) | instid1(VALU_DEP_1)
	v_cndmask_b32_e64 v20, v20, v21, s5
	v_xor_b32_e32 v20, v20, v22
	s_delay_alu instid0(VALU_DEP_1) | instskip(NEXT) | instid1(VALU_DEP_1)
	v_sub_nc_u32_e32 v20, v20, v22
	v_cmp_ne_u32_e64 s5, 0, v20
	s_and_b32 s5, s5, s6
	s_delay_alu instid0(SALU_CYCLE_1) | instskip(NEXT) | instid1(SALU_CYCLE_1)
	s_and_saveexec_b32 s6, s5
	s_xor_b32 s5, exec_lo, s6
	s_cbranch_execz .LBB19_16
; %bb.13:                               ;   in Loop: Header=BB19_12 Depth=1
	s_and_saveexec_b32 s6, s4
; %bb.14:                               ;   in Loop: Header=BB19_12 Depth=1
	ds_store_b32 v15, v16
; %bb.15:                               ;   in Loop: Header=BB19_12 Depth=1
	s_or_b32 exec_lo, exec_lo, s6
.LBB19_16:                              ;   in Loop: Header=BB19_12 Depth=1
	s_and_not1_saveexec_b32 s6, s5
	s_cbranch_execz .LBB19_11
; %bb.17:                               ;   in Loop: Header=BB19_12 Depth=1
	global_load_b32 v20, v[6:7], off
	v_cmp_gt_i32_e64 s5, 32, v17
	s_wait_loadcnt 0x0
	v_ashrrev_i32_e32 v21, 31, v20
	s_delay_alu instid0(VALU_DEP_1) | instskip(NEXT) | instid1(VALU_DEP_1)
	v_mul_u64_e32 v[20:21], s[24:25], v[20:21]
	v_lshl_add_u64 v[20:21], v[20:21], 2, v[4:5]
	s_clause 0xf
	global_load_b64 v[32:33], v[20:21], off offset:256
	global_load_b64 v[34:35], v[20:21], off
	global_load_b64 v[36:37], v[20:21], off offset:512
	global_load_b64 v[40:41], v[20:21], off offset:768
	;; [unrolled: 1-line block ×14, first 2 shown]
	s_wait_xcnt 0x0
	ds_load_b128 v[20:23], v12
	ds_load_b128 v[24:27], v12 offset:16
	ds_load_b128 v[28:31], v12 offset:32
	s_wait_loadcnt_dscnt 0xf02
	v_dual_mul_f32 v19, v22, v32 :: v_dual_mul_f32 v32, v23, v33
	s_wait_loadcnt 0xe
	s_delay_alu instid0(VALU_DEP_1) | instskip(SKIP_4) | instid1(VALU_DEP_1)
	v_dual_fmac_f32 v32, v21, v35 :: v_dual_fmac_f32 v19, v20, v34
	ds_load_b128 v[20:23], v12 offset:48
	s_wait_loadcnt_dscnt 0xd02
	v_dual_fmac_f32 v32, v25, v37 :: v_dual_fmac_f32 v19, v24, v36
	s_wait_loadcnt 0xc
	v_dual_fmac_f32 v32, v27, v41 :: v_dual_fmac_f32 v19, v26, v40
	ds_load_b128 v[24:27], v12 offset:64
	s_wait_loadcnt_dscnt 0xb02
	v_dual_fmac_f32 v32, v29, v43 :: v_dual_fmac_f32 v19, v28, v42
	s_wait_loadcnt 0xa
	s_delay_alu instid0(VALU_DEP_1) | instskip(SKIP_4) | instid1(VALU_DEP_1)
	v_dual_fmac_f32 v32, v31, v45 :: v_dual_fmac_f32 v19, v30, v44
	ds_load_b128 v[28:31], v12 offset:80
	s_wait_loadcnt_dscnt 0x902
	v_dual_fmac_f32 v32, v21, v47 :: v_dual_fmac_f32 v19, v20, v46
	s_wait_loadcnt 0x8
	v_dual_fmac_f32 v32, v23, v49 :: v_dual_fmac_f32 v19, v22, v48
	ds_load_b128 v[20:23], v12 offset:96
	s_wait_loadcnt_dscnt 0x702
	v_dual_fmac_f32 v32, v25, v51 :: v_dual_fmac_f32 v19, v24, v50
	s_wait_loadcnt 0x6
	s_delay_alu instid0(VALU_DEP_1) | instskip(SKIP_4) | instid1(VALU_DEP_1)
	v_dual_fmac_f32 v32, v27, v53 :: v_dual_fmac_f32 v19, v26, v52
	ds_load_b128 v[24:27], v12 offset:112
	s_wait_loadcnt_dscnt 0x502
	v_dual_fmac_f32 v32, v29, v55 :: v_dual_fmac_f32 v19, v28, v54
	s_wait_loadcnt 0x4
	v_dual_fmac_f32 v32, v31, v57 :: v_dual_fmac_f32 v19, v30, v56
	s_wait_loadcnt_dscnt 0x301
	s_delay_alu instid0(VALU_DEP_1) | instskip(SKIP_2) | instid1(VALU_DEP_2)
	v_dual_fmac_f32 v32, v21, v59 :: v_dual_fmac_f32 v19, v20, v58
	v_cndmask_b32_e64 v20, v10, v17, s5
	s_wait_loadcnt 0x2
	v_dual_fmac_f32 v32, v23, v61 :: v_dual_fmac_f32 v19, v22, v60
	s_wait_loadcnt_dscnt 0x100
	s_delay_alu instid0(VALU_DEP_1) | instskip(SKIP_1) | instid1(VALU_DEP_1)
	v_dual_lshlrev_b32 v20, 2, v20 :: v_dual_fmac_f32 v32, v25, v63
	s_wait_loadcnt 0x0
	v_dual_fmac_f32 v19, v24, v62 :: v_dual_fmac_f32 v32, v27, v65
	s_delay_alu instid0(VALU_DEP_1) | instskip(NEXT) | instid1(VALU_DEP_1)
	v_fmac_f32_e32 v19, v26, v64
	v_add_f32_e32 v19, v19, v32
	ds_bpermute_b32 v20, v20, v19
	s_and_saveexec_b32 s39, s4
	s_cbranch_execz .LBB19_10
; %bb.18:                               ;   in Loop: Header=BB19_12 Depth=1
	s_wait_dscnt 0x0
	v_dual_add_nc_u32 v21, v14, v2 :: v_dual_add_f32 v19, v19, v20
	s_delay_alu instid0(VALU_DEP_1) | instskip(NEXT) | instid1(VALU_DEP_1)
	v_cvt_f32_i32_e32 v21, v21
	v_mul_f32_e32 v21, s35, v21
	s_delay_alu instid0(VALU_DEP_1) | instskip(NEXT) | instid1(VALU_DEP_1)
	v_cndmask_b32_e32 v20, 0, v21, vcc_lo
	v_dual_fmac_f32 v20, s7, v19 :: v_dual_add_nc_u32 v19, v11, v2
	s_delay_alu instid0(VALU_DEP_1) | instskip(NEXT) | instid1(VALU_DEP_1)
	v_cmp_gt_i32_e64 s5, s31, v19
	v_dual_max_num_f32 v21, v13, v13 :: v_dual_cndmask_b32 v19, 0, v20, s5
	s_delay_alu instid0(VALU_DEP_1)
	v_max_num_f32_e32 v21, v21, v20
	ds_store_b32 v15, v19
	v_cndmask_b32_e64 v13, v13, v21, s5
	s_branch .LBB19_10
.LBB19_19:
	s_or_b32 exec_lo, exec_lo, s38
.LBB19_20:
	s_delay_alu instid0(SALU_CYCLE_1)
	s_or_b32 exec_lo, exec_lo, s36
	v_dual_max_num_f32 v5, v13, v13 :: v_dual_bitop2_b32 v2, 16, v10 bitop3:0x14
	v_xor_b32_e32 v4, 8, v10
	s_clause 0x1
	s_load_b64 s[6:7], s[0:1], 0x0
	s_load_b64 s[24:25], s[0:1], 0x18
	v_and_b32_e32 v52, 31, v0
	v_cmp_gt_i32_e32 vcc_lo, 32, v2
	v_cndmask_b32_e32 v2, v10, v2, vcc_lo
	v_cmp_gt_i32_e32 vcc_lo, 32, v4
	s_delay_alu instid0(VALU_DEP_2) | instskip(SKIP_3) | instid1(VALU_DEP_1)
	v_dual_cndmask_b32 v4, v10, v4, vcc_lo :: v_dual_lshlrev_b32 v2, 2, v2
	ds_bpermute_b32 v3, v2, v13
	s_wait_dscnt 0x0
	v_dual_max_num_f32 v6, v3, v3 :: v_dual_lshlrev_b32 v3, 2, v4
	v_max_num_f32_e32 v5, v5, v6
	ds_bpermute_b32 v4, v3, v5
	s_wait_dscnt 0x0
	v_dual_max_num_f32 v7, v4, v4 :: v_dual_bitop2_b32 v6, 4, v10 bitop3:0x14
	s_delay_alu instid0(VALU_DEP_1) | instskip(NEXT) | instid1(VALU_DEP_2)
	v_cmp_gt_i32_e32 vcc_lo, 32, v6
	v_dual_max_num_f32 v5, v5, v7 :: v_dual_bitop2_b32 v7, 2, v10 bitop3:0x14
	v_cndmask_b32_e32 v6, v10, v6, vcc_lo
	s_delay_alu instid0(VALU_DEP_2) | instskip(NEXT) | instid1(VALU_DEP_2)
	v_cmp_gt_i32_e32 vcc_lo, 32, v7
	v_dual_cndmask_b32 v7, v10, v7 :: v_dual_lshlrev_b32 v4, 2, v6
	v_cmp_eq_u32_e32 vcc_lo, 0, v52
	s_delay_alu instid0(VALU_DEP_2) | instskip(SKIP_3) | instid1(VALU_DEP_1)
	v_lshlrev_b32_e32 v53, 2, v7
	ds_bpermute_b32 v6, v4, v5
	s_wait_dscnt 0x0
	v_max_num_f32_e32 v6, v6, v6
	v_dual_max_num_f32 v6, v5, v6 :: v_dual_lshlrev_b32 v5, 2, v1
	ds_bpermute_b32 v7, v53, v6
	s_wait_xcnt 0x0
	s_and_saveexec_b32 s0, vcc_lo
	s_cbranch_execz .LBB19_22
; %bb.21:
	s_wait_dscnt 0x0
	v_dual_max_num_f32 v7, v7, v7 :: v_dual_max_num_f32 v6, v6, v6
	s_delay_alu instid0(VALU_DEP_1)
	v_max_num_f32_e32 v6, v6, v7
	ds_store_b32 v5, v6 offset:256
.LBB19_22:
	s_or_b32 exec_lo, exec_lo, s0
	v_cmp_gt_u32_e64 s0, 4, v52
	s_wait_dscnt 0x0
	v_dual_mov_b32 v7, 0xff7fffff :: v_dual_lshlrev_b32 v6, 2, v52
	s_barrier_signal -1
	s_barrier_wait -1
	s_and_saveexec_b32 s1, s0
; %bb.23:
	ds_load_b32 v7, v6 offset:256
; %bb.24:
	s_or_b32 exec_lo, exec_lo, s1
	s_wait_dscnt 0x0
	ds_bpermute_b32 v11, v53, v7
	v_dual_max_num_f32 v7, v7, v7 :: v_dual_bitop2_b32 v12, 1, v10 bitop3:0x14
	s_delay_alu instid0(VALU_DEP_1) | instskip(NEXT) | instid1(VALU_DEP_1)
	v_cmp_gt_i32_e64 s1, 32, v12
	v_cndmask_b32_e64 v10, v10, v12, s1
	s_lshl_b32 s1, s34, 4
	s_delay_alu instid0(SALU_CYCLE_1) | instskip(NEXT) | instid1(SALU_CYCLE_1)
	s_min_i32 s5, s1, s31
	v_cmp_gt_i32_e64 s1, s5, v0
	s_wait_dscnt 0x0
	v_dual_max_num_f32 v11, v11, v11 :: v_dual_lshlrev_b32 v54, 2, v10
	s_delay_alu instid0(VALU_DEP_1) | instskip(SKIP_3) | instid1(VALU_DEP_1)
	v_max_num_f32_e32 v7, v7, v11
	ds_bpermute_b32 v10, v54, v7
	s_wait_dscnt 0x0
	v_max_num_f32_e32 v10, v10, v10
	v_dual_max_num_f32 v10, v7, v10 :: v_dual_mov_b32 v7, 0
	ds_bpermute_b32 v10, v7, v10
	s_and_saveexec_b32 s15, s1
	s_cbranch_execz .LBB19_28
; %bb.25:
	v_lshl_add_u32 v11, v0, 2, 0x120
	v_dual_mov_b32 v7, 0 :: v_dual_mov_b32 v12, v0
	s_mov_b32 s26, 0
.LBB19_26:                              ; =>This Inner Loop Header: Depth=1
	ds_load_b32 v13, v11
	v_add_nc_u32_e32 v12, 0x80, v12
	s_delay_alu instid0(VALU_DEP_1) | instskip(SKIP_3) | instid1(VALU_DEP_1)
	v_cmp_le_i32_e64 s4, s5, v12
	s_or_b32 s26, s4, s26
	s_wait_dscnt 0x0
	v_sub_f32_e32 v13, v13, v10
	v_mul_f32_e32 v13, 0x3fb8aa3b, v13
	s_delay_alu instid0(VALU_DEP_1)
	v_exp_f32_e32 v13, v13
	ds_store_b32 v11, v13
	v_nop
	v_add_f32_e32 v7, v7, v13
	v_add_nc_u32_e32 v11, 0x200, v11
	s_and_not1_b32 exec_lo, exec_lo, s26
	s_cbranch_execnz .LBB19_26
; %bb.27:
	s_or_b32 exec_lo, exec_lo, s26
.LBB19_28:
	s_delay_alu instid0(SALU_CYCLE_1)
	s_or_b32 exec_lo, exec_lo, s15
	ds_bpermute_b32 v2, v2, v7
	s_wait_dscnt 0x0
	v_add_f32_e32 v2, v7, v2
	ds_bpermute_b32 v3, v3, v2
	s_wait_dscnt 0x0
	v_add_f32_e32 v2, v2, v3
	;; [unrolled: 3-line block ×5, first 2 shown]
	s_and_saveexec_b32 s4, vcc_lo
; %bb.29:
	ds_store_b32 v5, v2 offset:272
; %bb.30:
	s_or_b32 exec_lo, exec_lo, s4
	s_wait_dscnt 0x0
	s_barrier_signal -1
	s_barrier_wait -1
	s_and_saveexec_b32 s4, s0
; %bb.31:
	ds_load_b32 v2, v6 offset:272
; %bb.32:
	s_or_b32 exec_lo, exec_lo, s4
	s_wait_dscnt 0x0
	ds_bpermute_b32 v3, v53, v2
	s_wait_dscnt 0x0
	v_dual_mov_b32 v41, 0 :: v_dual_add_f32 v2, v2, v3
	ds_bpermute_b32 v3, v54, v2
	s_wait_dscnt 0x0
	v_add_f32_e32 v2, v2, v3
	ds_bpermute_b32 v2, v41, v2
	s_and_saveexec_b32 s0, s1
	s_cbranch_execz .LBB19_45
; %bb.33:
	s_wait_dscnt 0x0
	v_add_f32_e32 v2, 0x358637bd, v2
	s_mov_b32 s4, -1
	s_mov_b32 s1, exec_lo
	s_delay_alu instid0(VALU_DEP_1) | instskip(NEXT) | instid1(VALU_DEP_1)
	v_div_scale_f32 v3, null, v2, v2, 1.0
	v_rcp_f32_e32 v5, v3
	v_nop
	s_delay_alu instid0(TRANS32_DEP_1) | instskip(NEXT) | instid1(VALU_DEP_1)
	v_fma_f32 v4, -v3, v5, 1.0
	v_fmac_f32_e32 v5, v4, v5
	v_div_scale_f32 v6, vcc_lo, 1.0, v2, 1.0
	s_delay_alu instid0(VALU_DEP_1) | instskip(NEXT) | instid1(VALU_DEP_1)
	v_mul_f32_e32 v7, v6, v5
	v_fma_f32 v4, -v3, v7, v6
	s_delay_alu instid0(VALU_DEP_1) | instskip(SKIP_1) | instid1(VALU_DEP_2)
	v_fmac_f32_e32 v7, v4, v5
	v_xad_u32 v4, v0, -1, s5
	v_fma_f32 v3, -v3, v7, v6
	s_delay_alu instid0(VALU_DEP_1) | instskip(NEXT) | instid1(VALU_DEP_1)
	v_div_fmas_f32 v3, v3, v5, v7
	v_div_fixup_f32 v2, v3, v2, 1.0
	v_mov_b32_e32 v3, v0
	v_cmpx_lt_u32_e32 0x7f, v4
	s_cbranch_execz .LBB19_42
; %bb.34:
	s_delay_alu instid0(VALU_DEP_3) | instskip(NEXT) | instid1(VALU_DEP_1)
	v_dual_mov_b32 v3, v2 :: v_dual_lshrrev_b32 v4, 7, v4
	v_dual_mov_b32 v10, 0 :: v_dual_add_nc_u32 v5, -1, v4
	s_delay_alu instid0(VALU_DEP_1) | instskip(SKIP_1) | instid1(VALU_DEP_2)
	v_lshrrev_b32_e32 v6, 1, v5
	v_cmp_lt_u32_e32 vcc_lo, 13, v5
	v_add_nc_u32_e32 v5, 1, v6
	s_and_saveexec_b32 s4, vcc_lo
	s_cbranch_execz .LBB19_38
; %bb.35:
	s_delay_alu instid0(VALU_DEP_1)
	v_and_b32_e32 v6, -8, v5
	v_lshl_add_u32 v7, v0, 2, 0x120
	s_mov_b32 s15, 0
	s_mov_b32 s26, 0
.LBB19_36:                              ; =>This Inner Loop Header: Depth=1
	ds_load_2addr_stride64_b32 v[10:11], v7 offset1:2
	ds_load_2addr_stride64_b32 v[12:13], v7 offset0:4 offset1:6
	ds_load_2addr_stride64_b32 v[14:15], v7 offset0:8 offset1:10
	;; [unrolled: 1-line block ×7, first 2 shown]
	s_add_co_i32 s26, s26, 16
	v_add_nc_u32_e32 v6, -8, v6
	s_wait_dscnt 0x7
	v_pk_mul_f32 v[10:11], v[2:3], v[10:11]
	s_wait_dscnt 0x6
	v_pk_mul_f32 v[12:13], v[2:3], v[12:13]
	;; [unrolled: 2-line block ×8, first 2 shown]
	ds_store_2addr_stride64_b32 v7, v10, v11 offset1:2
	ds_store_2addr_stride64_b32 v7, v12, v13 offset0:4 offset1:6
	ds_store_2addr_stride64_b32 v7, v14, v15 offset0:8 offset1:10
	;; [unrolled: 1-line block ×7, first 2 shown]
	v_mov_b32_e32 v10, s26
	v_cmp_eq_u32_e32 vcc_lo, 0, v6
	v_add_nc_u32_e32 v7, 0x2000, v7
	s_or_b32 s15, vcc_lo, s15
	s_delay_alu instid0(SALU_CYCLE_1)
	s_and_not1_b32 exec_lo, exec_lo, s15
	s_cbranch_execnz .LBB19_36
; %bb.37:
	s_or_b32 exec_lo, exec_lo, s15
.LBB19_38:
	s_delay_alu instid0(SALU_CYCLE_1) | instskip(NEXT) | instid1(VALU_DEP_1)
	s_or_b32 exec_lo, exec_lo, s4
	v_and_b32_e32 v5, 7, v5
	s_mov_b32 s15, 0
	s_mov_b32 s4, exec_lo
	s_delay_alu instid0(VALU_DEP_1)
	v_cmpx_ne_u32_e32 0, v5
	s_cbranch_execz .LBB19_41
; %bb.39:
	v_lshlrev_b32_e32 v6, 9, v10
	s_delay_alu instid0(VALU_DEP_1)
	v_add3_u32 v6, v6, v8, 0x120
.LBB19_40:                              ; =>This Inner Loop Header: Depth=1
	ds_load_2addr_stride64_b32 v[10:11], v6 offset1:2
	v_add_nc_u32_e32 v5, -1, v5
	s_delay_alu instid0(VALU_DEP_1)
	v_cmp_eq_u32_e32 vcc_lo, 0, v5
	s_or_b32 s15, vcc_lo, s15
	s_wait_dscnt 0x0
	v_pk_mul_f32 v[10:11], v[2:3], v[10:11]
	ds_store_2addr_stride64_b32 v6, v10, v11 offset1:2
	v_add_nc_u32_e32 v6, 0x400, v6
	s_and_not1_b32 exec_lo, exec_lo, s15
	s_cbranch_execnz .LBB19_40
.LBB19_41:
	s_or_b32 exec_lo, exec_lo, s4
	v_add_nc_u32_e32 v3, 1, v4
	s_delay_alu instid0(VALU_DEP_1) | instskip(NEXT) | instid1(VALU_DEP_1)
	v_and_b32_e32 v4, 0x3fffffe, v3
	v_cmp_ne_u32_e32 vcc_lo, v3, v4
	v_lshl_add_u32 v3, v4, 7, v0
	s_or_not1_b32 s4, vcc_lo, exec_lo
.LBB19_42:
	s_or_b32 exec_lo, exec_lo, s1
	s_delay_alu instid0(SALU_CYCLE_1)
	s_and_b32 exec_lo, exec_lo, s4
	s_cbranch_execz .LBB19_45
; %bb.43:
	v_lshl_add_u32 v4, v3, 2, 0x120
	s_mov_b32 s1, 0
.LBB19_44:                              ; =>This Inner Loop Header: Depth=1
	ds_load_b32 v5, v4
	v_add_nc_u32_e32 v3, 0x80, v3
	s_delay_alu instid0(VALU_DEP_1)
	v_cmp_le_i32_e32 vcc_lo, s5, v3
	s_or_b32 s1, vcc_lo, s1
	s_wait_dscnt 0x0
	v_mul_f32_e32 v5, v2, v5
	ds_store_b32 v4, v5
	v_add_nc_u32_e32 v4, 0x200, v4
	s_and_not1_b32 exec_lo, exec_lo, s1
	s_cbranch_execnz .LBB19_44
.LBB19_45:
	s_or_b32 exec_lo, exec_lo, s0
	v_dual_mov_b32 v40, 0 :: v_dual_bitop2_b32 v55, 3, v0 bitop3:0x40
	v_dual_mov_b32 v43, 0 :: v_dual_mov_b32 v42, 0
	v_dual_mov_b32 v45, 0 :: v_dual_mov_b32 v44, 0
	v_dual_mov_b32 v47, 0 :: v_dual_mov_b32 v46, 0
	s_wait_dscnt 0x0
	s_barrier_signal -1
	s_barrier_wait -1
	s_and_saveexec_b32 s1, s3
	s_cbranch_execz .LBB19_67
; %bb.46:
	s_abs_i32 s3, s10
	v_dual_mov_b32 v39, 0 :: v_dual_bitop2_b32 v56, 12, v8 bitop3:0x40
	s_cvt_f32_u32 s0, s3
	v_dual_lshlrev_b32 v4, 4, v0 :: v_dual_lshlrev_b32 v6, 4, v55
	s_ashr_i32 s15, s14, 31
	s_delay_alu instid0(SALU_CYCLE_1) | instskip(SKIP_1) | instid1(VALU_DEP_2)
	v_rcp_iflag_f32_e32 v3, s0
	v_and_b32_e32 v2, 0x7c, v9
	v_and_b32_e32 v4, 0x1f0, v4
	v_mov_b32_e32 v5, v39
	s_lshl_b64 s[22:23], s[22:23], 2
	s_lshl_b64 s[14:15], s[14:15], 2
	v_lshl_or_b32 v6, v1, 6, v6
	v_readfirstlane_b32 s0, v3
	v_mov_b32_e32 v3, v39
	s_add_nc_u64 s[20:21], s[20:21], s[22:23]
	s_wait_kmcnt 0x0
	s_add_nc_u64 s[14:15], s[24:25], s[14:15]
	s_sub_co_i32 s10, s8, s9
	s_mul_f32 s0, s0, 0x4f7ffffe
	s_sub_co_i32 s8, 0, s3
	v_add_nc_u64_e32 v[48:49], s[14:15], v[4:5]
	v_add_nc_u64_e32 v[50:51], s[20:21], v[2:3]
	s_cvt_u32_f32 s0, s0
	v_dual_mov_b32 v58, v1 :: v_dual_add_nc_u32 v57, 0x120, v6
	v_dual_mov_b32 v46, v39 :: v_dual_mov_b32 v47, v39
	s_delay_alu instid0(SALU_CYCLE_1)
	s_mul_i32 s8, s8, s0
	v_dual_mov_b32 v44, v39 :: v_dual_mov_b32 v45, v39
	v_dual_mov_b32 v42, v39 :: v_dual_mov_b32 v43, v39
	;; [unrolled: 1-line block ×3, first 2 shown]
	s_mov_b32 s9, 0
	s_mul_hi_u32 s8, s0, s8
	s_ashr_i32 s5, s13, 31
	s_mov_b32 s4, s13
	s_add_co_i32 s13, s34, -1
	s_mov_b32 s14, s31
	s_add_co_i32 s8, s0, s8
	s_mov_b32 s15, s9
	s_branch .LBB19_49
.LBB19_47:                              ;   in Loop: Header=BB19_49 Depth=1
	s_or_b32 exec_lo, exec_lo, s0
	s_wait_loadcnt_dscnt 0x200
	v_mul_f32_e32 v26, v6, v26
	s_wait_loadcnt 0x1
	v_mul_f32_e32 v30, v6, v30
	v_mul_f32_e32 v18, v6, v18
	s_delay_alu instid0(VALU_DEP_3) | instskip(NEXT) | instid1(VALU_DEP_3)
	v_dual_mul_f32 v10, v6, v10 :: v_dual_fmac_f32 v26, v7, v27
	v_dual_fmac_f32 v30, v7, v31 :: v_dual_mul_f32 v59, v6, v22
	s_delay_alu instid0(VALU_DEP_3) | instskip(NEXT) | instid1(VALU_DEP_3)
	v_dual_mul_f32 v14, v6, v14 :: v_dual_fmac_f32 v18, v7, v19
	v_fmac_f32_e32 v26, v8, v28
	s_delay_alu instid0(VALU_DEP_3) | instskip(SKIP_3) | instid1(VALU_DEP_3)
	v_dual_fmac_f32 v30, v8, v32 :: v_dual_fmac_f32 v59, v7, v23
	s_wait_loadcnt 0x0
	v_pk_mul_f32 v[22:23], v[6:7], v[34:35]
	v_fmac_f32_e32 v18, v8, v20
	v_dual_fmac_f32 v30, v9, v33 :: v_dual_fmac_f32 v59, v8, v24
	v_dual_mul_f32 v24, v6, v2 :: v_dual_fmac_f32 v26, v9, v29
	s_delay_alu instid0(VALU_DEP_2) | instskip(NEXT) | instid1(VALU_DEP_2)
	v_dual_add_f32 v40, v40, v30 :: v_dual_fmac_f32 v59, v9, v25
	v_fmac_f32_e32 v24, v7, v3
	v_fmac_f32_e32 v14, v7, v15
	v_pk_mul_f32 v[2:3], v[8:9], v[36:37]
	s_delay_alu instid0(VALU_DEP_4) | instskip(NEXT) | instid1(VALU_DEP_4)
	v_dual_add_f32 v43, v43, v26 :: v_dual_add_f32 v42, v42, v59
	v_dual_fmac_f32 v24, v8, v4 :: v_dual_add_f32 v6, v23, v22
	s_delay_alu instid0(VALU_DEP_4) | instskip(NEXT) | instid1(VALU_DEP_2)
	v_fmac_f32_e32 v14, v8, v16
	v_dual_fmac_f32 v10, v7, v11 :: v_dual_fmac_f32 v24, v9, v5
	s_delay_alu instid0(VALU_DEP_3) | instskip(NEXT) | instid1(VALU_DEP_2)
	v_dual_add_f32 v2, v2, v6 :: v_dual_fmac_f32 v18, v9, v21
	v_fmac_f32_e32 v10, v8, v12
	s_delay_alu instid0(VALU_DEP_2) | instskip(NEXT) | instid1(VALU_DEP_3)
	v_dual_add_f32 v46, v46, v24 :: v_dual_add_f32 v2, v3, v2
	v_add_f32_e32 v45, v45, v18
	s_delay_alu instid0(VALU_DEP_3) | instskip(SKIP_1) | instid1(VALU_DEP_4)
	v_fmac_f32_e32 v10, v9, v13
	v_fmac_f32_e32 v14, v9, v17
	v_add_f32_e32 v41, v41, v2
	s_delay_alu instid0(VALU_DEP_3) | instskip(NEXT) | instid1(VALU_DEP_3)
	v_add_f32_e32 v47, v47, v10
	v_add_f32_e32 v44, v44, v14
.LBB19_48:                              ;   in Loop: Header=BB19_49 Depth=1
	s_or_b32 exec_lo, exec_lo, s20
	v_add_nc_u32_e32 v58, 4, v58
	v_add_nc_u64_e32 v[50:51], 16, v[50:51]
	v_add_nc_u32_e32 v38, 64, v38
	v_add_nc_u32_e32 v57, 0x100, v57
	s_delay_alu instid0(VALU_DEP_4) | instskip(SKIP_1) | instid1(SALU_CYCLE_1)
	v_cmp_le_i32_e32 vcc_lo, s34, v58
	s_or_b32 s15, vcc_lo, s15
	s_and_not1_b32 exec_lo, exec_lo, s15
	s_cbranch_execz .LBB19_66
.LBB19_49:                              ; =>This Inner Loop Header: Depth=1
	v_mul_u64_e32 v[2:3], s[18:19], v[38:39]
	s_delay_alu instid0(VALU_DEP_1) | instskip(NEXT) | instid1(VALU_DEP_1)
	v_mul_lo_u32 v2, v3, s12
	v_dual_add_nc_u32 v4, 1, v3 :: v_dual_sub_nc_u32 v2, v38, v2
	s_delay_alu instid0(VALU_DEP_1) | instskip(SKIP_1) | instid1(VALU_DEP_2)
	v_subrev_nc_u32_e32 v5, s12, v2
	v_cmp_le_u32_e32 vcc_lo, s12, v2
	v_dual_cndmask_b32 v3, v3, v4 :: v_dual_cndmask_b32 v2, v2, v5
	s_delay_alu instid0(VALU_DEP_1) | instskip(NEXT) | instid1(VALU_DEP_2)
	v_add_nc_u32_e32 v4, 1, v3
	v_cmp_le_u32_e32 vcc_lo, s12, v2
	s_delay_alu instid0(VALU_DEP_2) | instskip(NEXT) | instid1(VALU_DEP_1)
	v_cndmask_b32_e32 v2, v3, v4, vcc_lo
	v_dual_mov_b32 v3, v39 :: v_dual_bitop2_b32 v2, s33, v2 bitop3:0x14
	s_delay_alu instid0(VALU_DEP_1) | instskip(NEXT) | instid1(VALU_DEP_1)
	v_subrev_nc_u32_e32 v6, s33, v2
	v_add_nc_u32_e32 v7, s17, v6
	v_cmp_lt_i32_e64 s0, s10, v6
	s_delay_alu instid0(VALU_DEP_2) | instskip(NEXT) | instid1(VALU_DEP_1)
	v_sub_nc_u32_e32 v2, 0, v7
	v_max_i32_e32 v2, v7, v2
	s_delay_alu instid0(VALU_DEP_1) | instskip(SKIP_1) | instid1(VALU_DEP_2)
	v_mul_u64_e32 v[4:5], s[8:9], v[2:3]
	v_ashrrev_i32_e32 v4, 31, v7
	v_mul_lo_u32 v3, v5, s3
	s_delay_alu instid0(VALU_DEP_1) | instskip(NEXT) | instid1(VALU_DEP_1)
	v_sub_nc_u32_e32 v2, v2, v3
	v_subrev_nc_u32_e32 v3, s3, v2
	v_cmp_le_u32_e32 vcc_lo, s3, v2
	s_delay_alu instid0(VALU_DEP_2) | instskip(NEXT) | instid1(VALU_DEP_1)
	v_cndmask_b32_e32 v2, v2, v3, vcc_lo
	v_subrev_nc_u32_e32 v3, s3, v2
	v_cmp_le_u32_e32 vcc_lo, s3, v2
	s_delay_alu instid0(VALU_DEP_2) | instskip(NEXT) | instid1(VALU_DEP_1)
	v_cndmask_b32_e32 v2, v2, v3, vcc_lo
	v_xor_b32_e32 v2, v2, v4
	s_delay_alu instid0(VALU_DEP_1) | instskip(NEXT) | instid1(VALU_DEP_1)
	v_sub_nc_u32_e32 v2, v2, v4
	v_cmp_eq_u32_e32 vcc_lo, 0, v2
	s_or_b32 s0, vcc_lo, s0
	s_delay_alu instid0(SALU_CYCLE_1)
	s_and_saveexec_b32 s20, s0
	s_cbranch_execz .LBB19_48
; %bb.50:                               ;   in Loop: Header=BB19_49 Depth=1
	global_load_b32 v2, v[50:51], off
	v_add_nc_u32_e32 v59, v56, v38
	ds_load_b128 v[6:9], v57
	v_cmp_eq_u32_e32 vcc_lo, s13, v58
	v_or_b32_e32 v61, 3, v59
	v_dual_add_nc_u32 v62, 1, v59 :: v_dual_bitop2_b32 v60, 2, v59 bitop3:0x54
	s_wait_loadcnt 0x0
	v_ashrrev_i32_e32 v3, 31, v2
	s_delay_alu instid0(VALU_DEP_1) | instskip(NEXT) | instid1(VALU_DEP_1)
	v_mul_u64_e32 v[2:3], s[4:5], v[2:3]
	v_lshl_add_u64 v[34:35], v[2:3], 2, v[48:49]
	global_load_b128 v[2:5], v[34:35], off
	s_wait_xcnt 0x0
	s_and_saveexec_b32 s21, vcc_lo
	s_cbranch_execnz .LBB19_58
; %bb.51:                               ;   in Loop: Header=BB19_49 Depth=1
	s_or_b32 exec_lo, exec_lo, s21
	global_load_b128 v[10:13], v[34:35], off offset:512
	s_wait_xcnt 0x0
	s_and_saveexec_b32 s21, vcc_lo
	s_cbranch_execnz .LBB19_59
.LBB19_52:                              ;   in Loop: Header=BB19_49 Depth=1
	s_or_b32 exec_lo, exec_lo, s21
	global_load_b128 v[14:17], v[34:35], off offset:1024
	s_wait_xcnt 0x0
	s_and_saveexec_b32 s21, vcc_lo
	s_cbranch_execnz .LBB19_60
.LBB19_53:                              ;   in Loop: Header=BB19_49 Depth=1
	s_or_b32 exec_lo, exec_lo, s21
	global_load_b128 v[18:21], v[34:35], off offset:1536
	s_wait_xcnt 0x0
	s_and_saveexec_b32 s21, vcc_lo
	s_cbranch_execnz .LBB19_61
.LBB19_54:                              ;   in Loop: Header=BB19_49 Depth=1
	s_or_b32 exec_lo, exec_lo, s21
	global_load_b128 v[22:25], v[34:35], off offset:2048
	s_wait_xcnt 0x0
	s_and_saveexec_b32 s21, vcc_lo
	s_cbranch_execnz .LBB19_62
.LBB19_55:                              ;   in Loop: Header=BB19_49 Depth=1
	s_or_b32 exec_lo, exec_lo, s21
	global_load_b128 v[26:29], v[34:35], off offset:2560
	s_wait_xcnt 0x0
	s_and_saveexec_b32 s21, vcc_lo
	s_cbranch_execnz .LBB19_63
.LBB19_56:                              ;   in Loop: Header=BB19_49 Depth=1
	s_or_b32 exec_lo, exec_lo, s21
	global_load_b128 v[30:33], v[34:35], off offset:3072
	s_wait_xcnt 0x0
	s_and_saveexec_b32 s21, vcc_lo
	s_cbranch_execnz .LBB19_64
.LBB19_57:                              ;   in Loop: Header=BB19_49 Depth=1
	s_or_b32 exec_lo, exec_lo, s21
	global_load_b128 v[34:37], v[34:35], off offset:3584
	s_wait_xcnt 0x0
	s_and_saveexec_b32 s0, vcc_lo
	s_cbranch_execz .LBB19_47
	s_branch .LBB19_65
.LBB19_58:                              ;   in Loop: Header=BB19_49 Depth=1
	v_cmp_gt_i32_e64 s0, s14, v62
	s_wait_loadcnt 0x0
	s_delay_alu instid0(VALU_DEP_1) | instskip(SKIP_1) | instid1(VALU_DEP_1)
	v_cndmask_b32_e64 v3, 0, v3, s0
	v_cmp_gt_i32_e64 s0, s31, v59
	v_cndmask_b32_e64 v2, 0, v2, s0
	v_cmp_gt_i32_e64 s0, s14, v61
	s_delay_alu instid0(VALU_DEP_1) | instskip(SKIP_1) | instid1(VALU_DEP_1)
	v_cndmask_b32_e64 v5, 0, v5, s0
	v_cmp_gt_i32_e64 s0, s31, v60
	v_cndmask_b32_e64 v4, 0, v4, s0
	s_or_b32 exec_lo, exec_lo, s21
	global_load_b128 v[10:13], v[34:35], off offset:512
	s_wait_xcnt 0x0
	s_and_saveexec_b32 s21, vcc_lo
	s_cbranch_execz .LBB19_52
.LBB19_59:                              ;   in Loop: Header=BB19_49 Depth=1
	v_cmp_gt_i32_e64 s0, s14, v62
	s_wait_loadcnt 0x0
	s_delay_alu instid0(VALU_DEP_1) | instskip(SKIP_1) | instid1(VALU_DEP_1)
	v_cndmask_b32_e64 v11, 0, v11, s0
	v_cmp_gt_i32_e64 s0, s31, v59
	v_cndmask_b32_e64 v10, 0, v10, s0
	v_cmp_gt_i32_e64 s0, s14, v61
	s_delay_alu instid0(VALU_DEP_1) | instskip(SKIP_1) | instid1(VALU_DEP_1)
	v_cndmask_b32_e64 v13, 0, v13, s0
	v_cmp_gt_i32_e64 s0, s31, v60
	v_cndmask_b32_e64 v12, 0, v12, s0
	s_or_b32 exec_lo, exec_lo, s21
	global_load_b128 v[14:17], v[34:35], off offset:1024
	s_wait_xcnt 0x0
	s_and_saveexec_b32 s21, vcc_lo
	s_cbranch_execz .LBB19_53
.LBB19_60:                              ;   in Loop: Header=BB19_49 Depth=1
	v_cmp_gt_i32_e64 s0, s14, v62
	s_wait_loadcnt 0x0
	s_delay_alu instid0(VALU_DEP_1) | instskip(SKIP_1) | instid1(VALU_DEP_1)
	v_cndmask_b32_e64 v15, 0, v15, s0
	v_cmp_gt_i32_e64 s0, s31, v59
	v_cndmask_b32_e64 v14, 0, v14, s0
	v_cmp_gt_i32_e64 s0, s14, v61
	s_delay_alu instid0(VALU_DEP_1) | instskip(SKIP_1) | instid1(VALU_DEP_1)
	v_cndmask_b32_e64 v17, 0, v17, s0
	v_cmp_gt_i32_e64 s0, s31, v60
	v_cndmask_b32_e64 v16, 0, v16, s0
	s_or_b32 exec_lo, exec_lo, s21
	global_load_b128 v[18:21], v[34:35], off offset:1536
	s_wait_xcnt 0x0
	s_and_saveexec_b32 s21, vcc_lo
	s_cbranch_execz .LBB19_54
.LBB19_61:                              ;   in Loop: Header=BB19_49 Depth=1
	v_cmp_gt_i32_e64 s0, s14, v62
	s_wait_loadcnt 0x0
	s_delay_alu instid0(VALU_DEP_1) | instskip(SKIP_1) | instid1(VALU_DEP_1)
	v_cndmask_b32_e64 v19, 0, v19, s0
	v_cmp_gt_i32_e64 s0, s31, v59
	v_cndmask_b32_e64 v18, 0, v18, s0
	v_cmp_gt_i32_e64 s0, s14, v61
	s_delay_alu instid0(VALU_DEP_1) | instskip(SKIP_1) | instid1(VALU_DEP_1)
	v_cndmask_b32_e64 v21, 0, v21, s0
	v_cmp_gt_i32_e64 s0, s31, v60
	v_cndmask_b32_e64 v20, 0, v20, s0
	s_or_b32 exec_lo, exec_lo, s21
	global_load_b128 v[22:25], v[34:35], off offset:2048
	s_wait_xcnt 0x0
	s_and_saveexec_b32 s21, vcc_lo
	s_cbranch_execz .LBB19_55
.LBB19_62:                              ;   in Loop: Header=BB19_49 Depth=1
	v_cmp_gt_i32_e64 s0, s14, v62
	s_wait_loadcnt 0x0
	s_delay_alu instid0(VALU_DEP_1) | instskip(SKIP_1) | instid1(VALU_DEP_1)
	v_cndmask_b32_e64 v23, 0, v23, s0
	v_cmp_gt_i32_e64 s0, s31, v59
	v_cndmask_b32_e64 v22, 0, v22, s0
	v_cmp_gt_i32_e64 s0, s14, v61
	s_delay_alu instid0(VALU_DEP_1) | instskip(SKIP_1) | instid1(VALU_DEP_1)
	v_cndmask_b32_e64 v25, 0, v25, s0
	v_cmp_gt_i32_e64 s0, s31, v60
	v_cndmask_b32_e64 v24, 0, v24, s0
	s_or_b32 exec_lo, exec_lo, s21
	global_load_b128 v[26:29], v[34:35], off offset:2560
	s_wait_xcnt 0x0
	s_and_saveexec_b32 s21, vcc_lo
	s_cbranch_execz .LBB19_56
.LBB19_63:                              ;   in Loop: Header=BB19_49 Depth=1
	v_cmp_gt_i32_e64 s0, s14, v62
	s_wait_loadcnt 0x0
	s_delay_alu instid0(VALU_DEP_1) | instskip(SKIP_1) | instid1(VALU_DEP_1)
	v_cndmask_b32_e64 v27, 0, v27, s0
	v_cmp_gt_i32_e64 s0, s31, v59
	v_cndmask_b32_e64 v26, 0, v26, s0
	v_cmp_gt_i32_e64 s0, s14, v61
	s_delay_alu instid0(VALU_DEP_1) | instskip(SKIP_1) | instid1(VALU_DEP_1)
	v_cndmask_b32_e64 v29, 0, v29, s0
	v_cmp_gt_i32_e64 s0, s31, v60
	v_cndmask_b32_e64 v28, 0, v28, s0
	s_or_b32 exec_lo, exec_lo, s21
	global_load_b128 v[30:33], v[34:35], off offset:3072
	s_wait_xcnt 0x0
	s_and_saveexec_b32 s21, vcc_lo
	s_cbranch_execz .LBB19_57
.LBB19_64:                              ;   in Loop: Header=BB19_49 Depth=1
	v_cmp_gt_i32_e64 s0, s14, v62
	s_wait_loadcnt 0x0
	s_delay_alu instid0(VALU_DEP_1) | instskip(SKIP_1) | instid1(VALU_DEP_1)
	v_cndmask_b32_e64 v31, 0, v31, s0
	v_cmp_gt_i32_e64 s0, s31, v59
	v_cndmask_b32_e64 v30, 0, v30, s0
	v_cmp_gt_i32_e64 s0, s14, v61
	s_delay_alu instid0(VALU_DEP_1) | instskip(SKIP_1) | instid1(VALU_DEP_1)
	v_cndmask_b32_e64 v33, 0, v33, s0
	v_cmp_gt_i32_e64 s0, s31, v60
	v_cndmask_b32_e64 v32, 0, v32, s0
	s_or_b32 exec_lo, exec_lo, s21
	global_load_b128 v[34:37], v[34:35], off offset:3584
	s_wait_xcnt 0x0
	s_and_saveexec_b32 s0, vcc_lo
	s_cbranch_execz .LBB19_47
.LBB19_65:                              ;   in Loop: Header=BB19_49 Depth=1
	v_cmp_gt_i32_e32 vcc_lo, s14, v62
	s_wait_loadcnt 0x0
	v_cndmask_b32_e32 v35, 0, v35, vcc_lo
	v_cmp_gt_i32_e32 vcc_lo, s31, v59
	v_cndmask_b32_e32 v34, 0, v34, vcc_lo
	v_cmp_gt_i32_e32 vcc_lo, s14, v61
	;; [unrolled: 2-line block ×3, first 2 shown]
	v_cndmask_b32_e32 v36, 0, v36, vcc_lo
	s_branch .LBB19_47
.LBB19_66:
	s_or_b32 exec_lo, exec_lo, s15
.LBB19_67:
	s_delay_alu instid0(SALU_CYCLE_1)
	s_or_b32 exec_lo, exec_lo, s1
	ds_bpermute_b32 v2, v53, v46
	ds_bpermute_b32 v3, v53, v47
	;; [unrolled: 1-line block ×8, first 2 shown]
	v_and_b32_e32 v13, 0x3c3, v0
	s_mov_b32 s0, exec_lo
	v_and_b32_e32 v12, 28, v52
	s_wait_dscnt 0x0
	s_barrier_signal -1
	s_barrier_wait -1
	v_pk_add_f32 v[2:3], v[46:47], v[2:3]
	v_pk_add_f32 v[4:5], v[44:45], v[4:5]
	;; [unrolled: 1-line block ×3, first 2 shown]
	ds_bpermute_b32 v6, v54, v2
	v_pk_add_f32 v[8:9], v[40:41], v[8:9]
	ds_bpermute_b32 v7, v54, v3
	ds_bpermute_b32 v16, v54, v4
	;; [unrolled: 1-line block ×7, first 2 shown]
	s_wait_dscnt 0x6
	v_pk_add_f32 v[6:7], v[2:3], v[6:7]
	s_wait_dscnt 0x4
	v_pk_add_f32 v[4:5], v[4:5], v[16:17]
	;; [unrolled: 2-line block ×3, first 2 shown]
	v_cmpx_ne_u32_e32 64, v13
	s_xor_b32 s0, exec_lo, s0
	s_delay_alu instid0(SALU_CYCLE_1)
	s_or_saveexec_b32 s0, s0
	s_wait_dscnt 0x0
	v_pk_add_f32 v[8:9], v[8:9], v[10:11]
	v_dual_lshrrev_b32 v11, 2, v52 :: v_dual_lshlrev_b32 v1, 8, v1
	v_add_nc_u32_e32 v10, 0x120, v12
	s_xor_b32 exec_lo, exec_lo, s0
	s_cbranch_execz .LBB19_69
; %bb.68:
	s_delay_alu instid0(VALU_DEP_1) | instskip(NEXT) | instid1(VALU_DEP_1)
	v_add_nc_u32_e32 v12, v10, v1
	v_add_nc_u32_e32 v13, 0xfffffe00, v12
	;; [unrolled: 1-line block ×9, first 2 shown]
	ds_store_b32 v13, v6
	ds_store_b32 v14, v7
	;; [unrolled: 1-line block ×8, first 2 shown]
.LBB19_69:
	s_or_b32 exec_lo, exec_lo, s0
	v_lshlrev_b32_e32 v11, 2, v11
	s_mov_b32 s1, exec_lo
	v_cmp_eq_u32_e32 vcc_lo, 0, v55
	s_wait_dscnt 0x0
	s_barrier_signal -1
	v_add3_u32 v1, 0x120, v1, v11
	s_barrier_wait -1
	v_cmpx_gt_u32_e32 64, v0
	s_cbranch_execz .LBB19_80
; %bb.70:
	s_and_saveexec_b32 s0, vcc_lo
	s_cbranch_execnz .LBB19_96
; %bb.71:
	s_or_b32 exec_lo, exec_lo, s0
	s_and_saveexec_b32 s0, vcc_lo
	s_cbranch_execnz .LBB19_97
.LBB19_72:
	s_or_b32 exec_lo, exec_lo, s0
	s_and_saveexec_b32 s0, vcc_lo
	s_cbranch_execnz .LBB19_98
.LBB19_73:
	s_or_b32 exec_lo, exec_lo, s0
	s_and_saveexec_b32 s0, vcc_lo
	s_cbranch_execnz .LBB19_99
.LBB19_74:
	s_or_b32 exec_lo, exec_lo, s0
	s_and_saveexec_b32 s0, vcc_lo
	s_cbranch_execnz .LBB19_100
.LBB19_75:
	s_or_b32 exec_lo, exec_lo, s0
	s_and_saveexec_b32 s0, vcc_lo
	s_cbranch_execnz .LBB19_101
.LBB19_76:
	s_or_b32 exec_lo, exec_lo, s0
	s_and_saveexec_b32 s0, vcc_lo
	s_cbranch_execnz .LBB19_102
.LBB19_77:
	s_or_b32 exec_lo, exec_lo, s0
	s_and_saveexec_b32 s0, vcc_lo
	s_cbranch_execz .LBB19_79
.LBB19_78:
	ds_load_b32 v11, v1 offset:224
	s_wait_dscnt 0x0
	v_add_f32_e32 v9, v9, v11
.LBB19_79:
	s_or_b32 exec_lo, exec_lo, s0
.LBB19_80:
	s_delay_alu instid0(SALU_CYCLE_1) | instskip(SKIP_4) | instid1(VALU_DEP_1)
	s_or_b32 exec_lo, exec_lo, s1
	v_and_b32_e32 v11, 0x3e3, v0
	s_mov_b32 s1, exec_lo
	s_barrier_signal -1
	s_barrier_wait -1
	v_cmpx_eq_u32_e32 32, v11
	s_cbranch_execz .LBB19_82
; %bb.81:
	ds_store_2addr_b32 v10, v6, v7 offset1:8
	ds_store_2addr_b32 v10, v4, v5 offset0:16 offset1:24
	ds_store_2addr_b32 v10, v2, v3 offset0:32 offset1:40
	ds_store_2addr_b32 v10, v8, v9 offset0:48 offset1:56
.LBB19_82:
	s_or_b32 exec_lo, exec_lo, s1
	s_wait_dscnt 0x0
	s_barrier_signal -1
	s_barrier_wait -1
	s_and_saveexec_b32 s0, s2
	s_cbranch_execz .LBB19_93
; %bb.83:
	s_and_saveexec_b32 s1, vcc_lo
	s_cbranch_execnz .LBB19_103
; %bb.84:
	s_or_b32 exec_lo, exec_lo, s1
	s_and_saveexec_b32 s1, vcc_lo
	s_cbranch_execnz .LBB19_104
.LBB19_85:
	s_or_b32 exec_lo, exec_lo, s1
	s_and_saveexec_b32 s1, vcc_lo
	s_cbranch_execnz .LBB19_105
.LBB19_86:
	s_or_b32 exec_lo, exec_lo, s1
	s_and_saveexec_b32 s1, vcc_lo
	s_cbranch_execnz .LBB19_106
.LBB19_87:
	s_or_b32 exec_lo, exec_lo, s1
	s_and_saveexec_b32 s1, vcc_lo
	s_cbranch_execnz .LBB19_107
.LBB19_88:
	s_or_b32 exec_lo, exec_lo, s1
	s_and_saveexec_b32 s1, vcc_lo
	s_cbranch_execnz .LBB19_108
.LBB19_89:
	s_or_b32 exec_lo, exec_lo, s1
	s_and_saveexec_b32 s1, vcc_lo
	s_cbranch_execnz .LBB19_109
.LBB19_90:
	s_or_b32 exec_lo, exec_lo, s1
	s_and_saveexec_b32 s1, vcc_lo
	s_cbranch_execz .LBB19_92
.LBB19_91:
	ds_load_b32 v1, v1 offset:224
	s_wait_dscnt 0x0
	v_add_f32_e32 v9, v9, v1
.LBB19_92:
	s_or_b32 exec_lo, exec_lo, s1
.LBB19_93:
	s_delay_alu instid0(SALU_CYCLE_1)
	s_or_b32 exec_lo, exec_lo, s0
	s_mov_b32 s1, 0
	s_barrier_signal -1
	s_barrier_wait -1
	s_mov_b32 s0, exec_lo
	v_cmpx_eq_u32_e32 0, v11
	s_cbranch_execz .LBB19_95
; %bb.94:
	s_mul_i32 s0, s30, s11
	s_mul_i32 s2, s11, s16
	;; [unrolled: 1-line block ×3, first 2 shown]
	s_lshr_b32 s8, ttmp7, 16
	s_lshl_b32 s4, s0, 6
	s_bfe_u32 s0, ttmp6, 0x40014
	s_ashr_i32 s5, s4, 31
	s_add_co_i32 s0, s0, 1
	s_ashr_i32 s3, s2, 31
	s_mul_i32 s0, s8, s0
	s_bfe_u32 s9, ttmp6, 0x40008
	s_lshl_b64 s[4:5], s[4:5], 2
	s_lshl_b64 s[2:3], s[2:3], 2
	s_add_co_i32 s9, s9, s0
	s_cmp_eq_u32 s28, 0
	s_wait_kmcnt 0x0
	s_add_nc_u64 s[4:5], s[6:7], s[4:5]
	s_cselect_b32 s0, s8, s9
	s_add_nc_u64 s[2:3], s[4:5], s[2:3]
	s_lshl_b32 s0, s0, 8
	s_delay_alu instid0(SALU_CYCLE_1)
	s_add_nc_u64 s[0:1], s[2:3], s[0:1]
	s_clause 0x7
	global_store_b32 v0, v6, s[0:1]
	global_store_b32 v0, v7, s[0:1] offset:32
	global_store_b32 v0, v4, s[0:1] offset:64
	;; [unrolled: 1-line block ×7, first 2 shown]
.LBB19_95:
	s_sendmsg sendmsg(MSG_DEALLOC_VGPRS)
	s_endpgm
.LBB19_96:
	ds_load_b32 v11, v1
	s_wait_dscnt 0x0
	v_add_f32_e32 v6, v6, v11
	s_or_b32 exec_lo, exec_lo, s0
	s_and_saveexec_b32 s0, vcc_lo
	s_cbranch_execz .LBB19_72
.LBB19_97:
	ds_load_b32 v11, v1 offset:32
	s_wait_dscnt 0x0
	v_add_f32_e32 v7, v7, v11
	s_or_b32 exec_lo, exec_lo, s0
	s_and_saveexec_b32 s0, vcc_lo
	s_cbranch_execz .LBB19_73
.LBB19_98:
	ds_load_b32 v11, v1 offset:64
	s_wait_dscnt 0x0
	v_add_f32_e32 v4, v4, v11
	s_or_b32 exec_lo, exec_lo, s0
	s_and_saveexec_b32 s0, vcc_lo
	s_cbranch_execz .LBB19_74
.LBB19_99:
	ds_load_b32 v11, v1 offset:96
	s_wait_dscnt 0x0
	v_add_f32_e32 v5, v5, v11
	s_or_b32 exec_lo, exec_lo, s0
	s_and_saveexec_b32 s0, vcc_lo
	s_cbranch_execz .LBB19_75
.LBB19_100:
	ds_load_b32 v11, v1 offset:128
	s_wait_dscnt 0x0
	v_add_f32_e32 v2, v2, v11
	s_or_b32 exec_lo, exec_lo, s0
	s_and_saveexec_b32 s0, vcc_lo
	s_cbranch_execz .LBB19_76
.LBB19_101:
	ds_load_b32 v11, v1 offset:160
	s_wait_dscnt 0x0
	v_add_f32_e32 v3, v3, v11
	s_or_b32 exec_lo, exec_lo, s0
	s_and_saveexec_b32 s0, vcc_lo
	s_cbranch_execz .LBB19_77
.LBB19_102:
	ds_load_b32 v11, v1 offset:192
	s_wait_dscnt 0x0
	v_add_f32_e32 v8, v8, v11
	s_or_b32 exec_lo, exec_lo, s0
	s_and_saveexec_b32 s0, vcc_lo
	s_cbranch_execnz .LBB19_78
	s_branch .LBB19_79
.LBB19_103:
	ds_load_b32 v10, v1
	s_wait_dscnt 0x0
	v_add_f32_e32 v6, v6, v10
	s_or_b32 exec_lo, exec_lo, s1
	s_and_saveexec_b32 s1, vcc_lo
	s_cbranch_execz .LBB19_85
.LBB19_104:
	ds_load_b32 v10, v1 offset:32
	s_wait_dscnt 0x0
	v_add_f32_e32 v7, v7, v10
	s_or_b32 exec_lo, exec_lo, s1
	s_and_saveexec_b32 s1, vcc_lo
	s_cbranch_execz .LBB19_86
.LBB19_105:
	ds_load_b32 v10, v1 offset:64
	s_wait_dscnt 0x0
	v_add_f32_e32 v4, v4, v10
	s_or_b32 exec_lo, exec_lo, s1
	s_and_saveexec_b32 s1, vcc_lo
	s_cbranch_execz .LBB19_87
.LBB19_106:
	ds_load_b32 v10, v1 offset:96
	s_wait_dscnt 0x0
	v_add_f32_e32 v5, v5, v10
	s_or_b32 exec_lo, exec_lo, s1
	s_and_saveexec_b32 s1, vcc_lo
	s_cbranch_execz .LBB19_88
.LBB19_107:
	ds_load_b32 v10, v1 offset:128
	s_wait_dscnt 0x0
	v_add_f32_e32 v2, v2, v10
	s_or_b32 exec_lo, exec_lo, s1
	s_and_saveexec_b32 s1, vcc_lo
	s_cbranch_execz .LBB19_89
.LBB19_108:
	ds_load_b32 v10, v1 offset:160
	s_wait_dscnt 0x0
	v_add_f32_e32 v3, v3, v10
	s_or_b32 exec_lo, exec_lo, s1
	s_and_saveexec_b32 s1, vcc_lo
	s_cbranch_execz .LBB19_90
.LBB19_109:
	ds_load_b32 v10, v1 offset:192
	s_wait_dscnt 0x0
	v_add_f32_e32 v8, v8, v10
	s_or_b32 exec_lo, exec_lo, s1
	s_and_saveexec_b32 s1, vcc_lo
	s_cbranch_execnz .LBB19_91
	s_branch .LBB19_92
	.section	.rodata,"a",@progbits
	.p2align	6, 0x0
	.amdhsa_kernel _ZN4vllm25paged_attention_v1_kernelIffLi64ELi16ELi128ELNS_18Fp8KVCacheDataTypeE0ELb1EEEvPT_PKS2_PKT0_S8_ifPKiSA_iPKfiiiSC_SC_iiiii
		.amdhsa_group_segment_fixed_size 288
		.amdhsa_private_segment_fixed_size 0
		.amdhsa_kernarg_size 384
		.amdhsa_user_sgpr_count 2
		.amdhsa_user_sgpr_dispatch_ptr 0
		.amdhsa_user_sgpr_queue_ptr 0
		.amdhsa_user_sgpr_kernarg_segment_ptr 1
		.amdhsa_user_sgpr_dispatch_id 0
		.amdhsa_user_sgpr_kernarg_preload_length 0
		.amdhsa_user_sgpr_kernarg_preload_offset 0
		.amdhsa_user_sgpr_private_segment_size 0
		.amdhsa_wavefront_size32 1
		.amdhsa_uses_dynamic_stack 0
		.amdhsa_enable_private_segment 0
		.amdhsa_system_sgpr_workgroup_id_x 1
		.amdhsa_system_sgpr_workgroup_id_y 1
		.amdhsa_system_sgpr_workgroup_id_z 1
		.amdhsa_system_sgpr_workgroup_info 0
		.amdhsa_system_vgpr_workitem_id 0
		.amdhsa_next_free_vgpr 66
		.amdhsa_next_free_sgpr 42
		.amdhsa_named_barrier_count 0
		.amdhsa_reserve_vcc 1
		.amdhsa_float_round_mode_32 0
		.amdhsa_float_round_mode_16_64 0
		.amdhsa_float_denorm_mode_32 3
		.amdhsa_float_denorm_mode_16_64 3
		.amdhsa_fp16_overflow 0
		.amdhsa_memory_ordered 1
		.amdhsa_forward_progress 1
		.amdhsa_inst_pref_size 54
		.amdhsa_round_robin_scheduling 0
		.amdhsa_exception_fp_ieee_invalid_op 0
		.amdhsa_exception_fp_denorm_src 0
		.amdhsa_exception_fp_ieee_div_zero 0
		.amdhsa_exception_fp_ieee_overflow 0
		.amdhsa_exception_fp_ieee_underflow 0
		.amdhsa_exception_fp_ieee_inexact 0
		.amdhsa_exception_int_div_zero 0
	.end_amdhsa_kernel
	.section	.text._ZN4vllm25paged_attention_v1_kernelIffLi64ELi16ELi128ELNS_18Fp8KVCacheDataTypeE0ELb1EEEvPT_PKS2_PKT0_S8_ifPKiSA_iPKfiiiSC_SC_iiiii,"axG",@progbits,_ZN4vllm25paged_attention_v1_kernelIffLi64ELi16ELi128ELNS_18Fp8KVCacheDataTypeE0ELb1EEEvPT_PKS2_PKT0_S8_ifPKiSA_iPKfiiiSC_SC_iiiii,comdat
.Lfunc_end19:
	.size	_ZN4vllm25paged_attention_v1_kernelIffLi64ELi16ELi128ELNS_18Fp8KVCacheDataTypeE0ELb1EEEvPT_PKS2_PKT0_S8_ifPKiSA_iPKfiiiSC_SC_iiiii, .Lfunc_end19-_ZN4vllm25paged_attention_v1_kernelIffLi64ELi16ELi128ELNS_18Fp8KVCacheDataTypeE0ELb1EEEvPT_PKS2_PKT0_S8_ifPKiSA_iPKfiiiSC_SC_iiiii
                                        ; -- End function
	.set _ZN4vllm25paged_attention_v1_kernelIffLi64ELi16ELi128ELNS_18Fp8KVCacheDataTypeE0ELb1EEEvPT_PKS2_PKT0_S8_ifPKiSA_iPKfiiiSC_SC_iiiii.num_vgpr, 66
	.set _ZN4vllm25paged_attention_v1_kernelIffLi64ELi16ELi128ELNS_18Fp8KVCacheDataTypeE0ELb1EEEvPT_PKS2_PKT0_S8_ifPKiSA_iPKfiiiSC_SC_iiiii.num_agpr, 0
	.set _ZN4vllm25paged_attention_v1_kernelIffLi64ELi16ELi128ELNS_18Fp8KVCacheDataTypeE0ELb1EEEvPT_PKS2_PKT0_S8_ifPKiSA_iPKfiiiSC_SC_iiiii.numbered_sgpr, 42
	.set _ZN4vllm25paged_attention_v1_kernelIffLi64ELi16ELi128ELNS_18Fp8KVCacheDataTypeE0ELb1EEEvPT_PKS2_PKT0_S8_ifPKiSA_iPKfiiiSC_SC_iiiii.num_named_barrier, 0
	.set _ZN4vllm25paged_attention_v1_kernelIffLi64ELi16ELi128ELNS_18Fp8KVCacheDataTypeE0ELb1EEEvPT_PKS2_PKT0_S8_ifPKiSA_iPKfiiiSC_SC_iiiii.private_seg_size, 0
	.set _ZN4vllm25paged_attention_v1_kernelIffLi64ELi16ELi128ELNS_18Fp8KVCacheDataTypeE0ELb1EEEvPT_PKS2_PKT0_S8_ifPKiSA_iPKfiiiSC_SC_iiiii.uses_vcc, 1
	.set _ZN4vllm25paged_attention_v1_kernelIffLi64ELi16ELi128ELNS_18Fp8KVCacheDataTypeE0ELb1EEEvPT_PKS2_PKT0_S8_ifPKiSA_iPKfiiiSC_SC_iiiii.uses_flat_scratch, 0
	.set _ZN4vllm25paged_attention_v1_kernelIffLi64ELi16ELi128ELNS_18Fp8KVCacheDataTypeE0ELb1EEEvPT_PKS2_PKT0_S8_ifPKiSA_iPKfiiiSC_SC_iiiii.has_dyn_sized_stack, 0
	.set _ZN4vllm25paged_attention_v1_kernelIffLi64ELi16ELi128ELNS_18Fp8KVCacheDataTypeE0ELb1EEEvPT_PKS2_PKT0_S8_ifPKiSA_iPKfiiiSC_SC_iiiii.has_recursion, 0
	.set _ZN4vllm25paged_attention_v1_kernelIffLi64ELi16ELi128ELNS_18Fp8KVCacheDataTypeE0ELb1EEEvPT_PKS2_PKT0_S8_ifPKiSA_iPKfiiiSC_SC_iiiii.has_indirect_call, 0
	.section	.AMDGPU.csdata,"",@progbits
; Kernel info:
; codeLenInByte = 6876
; TotalNumSgprs: 44
; NumVgprs: 66
; ScratchSize: 0
; MemoryBound: 0
; FloatMode: 240
; IeeeMode: 1
; LDSByteSize: 288 bytes/workgroup (compile time only)
; SGPRBlocks: 0
; VGPRBlocks: 4
; NumSGPRsForWavesPerEU: 44
; NumVGPRsForWavesPerEU: 66
; NamedBarCnt: 0
; Occupancy: 12
; WaveLimiterHint : 1
; COMPUTE_PGM_RSRC2:SCRATCH_EN: 0
; COMPUTE_PGM_RSRC2:USER_SGPR: 2
; COMPUTE_PGM_RSRC2:TRAP_HANDLER: 0
; COMPUTE_PGM_RSRC2:TGID_X_EN: 1
; COMPUTE_PGM_RSRC2:TGID_Y_EN: 1
; COMPUTE_PGM_RSRC2:TGID_Z_EN: 1
; COMPUTE_PGM_RSRC2:TIDIG_COMP_CNT: 0
	.section	.text._ZN4vllm25paged_attention_v1_kernelIffLi80ELi16ELi128ELNS_18Fp8KVCacheDataTypeE0ELb1EEEvPT_PKS2_PKT0_S8_ifPKiSA_iPKfiiiSC_SC_iiiii,"axG",@progbits,_ZN4vllm25paged_attention_v1_kernelIffLi80ELi16ELi128ELNS_18Fp8KVCacheDataTypeE0ELb1EEEvPT_PKS2_PKT0_S8_ifPKiSA_iPKfiiiSC_SC_iiiii,comdat
	.protected	_ZN4vllm25paged_attention_v1_kernelIffLi80ELi16ELi128ELNS_18Fp8KVCacheDataTypeE0ELb1EEEvPT_PKS2_PKT0_S8_ifPKiSA_iPKfiiiSC_SC_iiiii ; -- Begin function _ZN4vllm25paged_attention_v1_kernelIffLi80ELi16ELi128ELNS_18Fp8KVCacheDataTypeE0ELb1EEEvPT_PKS2_PKT0_S8_ifPKiSA_iPKfiiiSC_SC_iiiii
	.globl	_ZN4vllm25paged_attention_v1_kernelIffLi80ELi16ELi128ELNS_18Fp8KVCacheDataTypeE0ELb1EEEvPT_PKS2_PKT0_S8_ifPKiSA_iPKfiiiSC_SC_iiiii
	.p2align	8
	.type	_ZN4vllm25paged_attention_v1_kernelIffLi80ELi16ELi128ELNS_18Fp8KVCacheDataTypeE0ELb1EEEvPT_PKS2_PKT0_S8_ifPKiSA_iPKfiiiSC_SC_iiiii,@function
_ZN4vllm25paged_attention_v1_kernelIffLi80ELi16ELi128ELNS_18Fp8KVCacheDataTypeE0ELb1EEEvPT_PKS2_PKT0_S8_ifPKiSA_iPKfiiiSC_SC_iiiii: ; @_ZN4vllm25paged_attention_v1_kernelIffLi80ELi16ELi128ELNS_18Fp8KVCacheDataTypeE0ELb1EEEvPT_PKS2_PKT0_S8_ifPKiSA_iPKfiiiSC_SC_iiiii
; %bb.0:
	s_load_b64 s[22:23], s[0:1], 0x20
	s_bfe_u32 s3, ttmp6, 0x4000c
	s_bfe_u32 s4, ttmp6, 0x40010
	s_and_b32 s6, ttmp7, 0xffff
	s_add_co_i32 s3, s3, 1
	s_add_co_i32 s4, s4, 1
	s_and_b32 s2, ttmp6, 15
	s_bfe_u32 s5, ttmp6, 0x40004
	s_mul_i32 s3, ttmp9, s3
	s_mul_i32 s4, s6, s4
	s_getreg_b32 s28, hwreg(HW_REG_IB_STS2, 6, 4)
	s_add_co_i32 s2, s2, s3
	s_add_co_i32 s3, s5, s4
	s_cmp_eq_u32 s28, 0
	s_clause 0x1
	s_load_b32 s29, s[0:1], 0x80
	s_load_b64 s[4:5], s[0:1], 0x30
	s_cselect_b32 s30, s6, s3
	s_cselect_b32 s2, ttmp9, s2
	s_mov_b32 s17, 0
	s_delay_alu instid0(SALU_CYCLE_1) | instskip(SKIP_2) | instid1(SALU_CYCLE_1)
	s_mov_b32 s35, s17
	s_wait_kmcnt 0x0
	s_abs_i32 s3, s22
	s_cvt_f32_u32 s6, s3
	s_sub_co_i32 s7, 0, s3
	s_delay_alu instid0(SALU_CYCLE_2) | instskip(SKIP_2) | instid1(TRANS32_DEP_1)
	v_rcp_iflag_f32_e32 v1, s6
	s_abs_i32 s8, s29
	v_nop
	v_readfirstlane_b32 s6, v1
	s_mul_f32 s6, s6, 0x4f7ffffe
	s_delay_alu instid0(SALU_CYCLE_3) | instskip(NEXT) | instid1(SALU_CYCLE_3)
	s_cvt_u32_f32 s6, s6
	s_mul_i32 s7, s7, s6
	s_delay_alu instid0(SALU_CYCLE_1) | instskip(NEXT) | instid1(SALU_CYCLE_1)
	s_mul_hi_u32 s7, s6, s7
	s_add_co_i32 s6, s6, s7
	s_xor_b32 s7, s29, s22
	s_mul_hi_u32 s6, s8, s6
	s_ashr_i32 s7, s7, 31
	s_mul_i32 s9, s6, s3
	s_delay_alu instid0(SALU_CYCLE_1)
	s_sub_co_i32 s8, s8, s9
	s_add_co_i32 s9, s6, 1
	s_sub_co_i32 s10, s8, s3
	s_cmp_ge_u32 s8, s3
	s_cselect_b32 s6, s9, s6
	s_cselect_b32 s8, s10, s8
	s_add_co_i32 s9, s6, 1
	s_cmp_ge_u32 s8, s3
	s_cselect_b32 s3, s9, s6
	s_load_b64 s[8:9], s[0:1], 0x40
	s_xor_b32 s3, s3, s7
	s_abs_i32 s16, s2
	s_sub_co_i32 s10, s3, s7
	s_mov_b32 s7, s17
	s_abs_i32 s15, s10
	s_delay_alu instid0(SALU_CYCLE_1) | instskip(SKIP_1) | instid1(SALU_CYCLE_2)
	s_cvt_f32_u32 s3, s15
	s_sub_co_i32 s6, 0, s15
	v_rcp_iflag_f32_e32 v1, s3
	v_nop
	s_delay_alu instid0(TRANS32_DEP_1) | instskip(SKIP_1) | instid1(SALU_CYCLE_3)
	v_readfirstlane_b32 s3, v1
	s_mul_f32 s3, s3, 0x4f7ffffe
	s_cvt_u32_f32 s3, s3
	s_delay_alu instid0(SALU_CYCLE_3) | instskip(NEXT) | instid1(SALU_CYCLE_1)
	s_mul_i32 s6, s6, s3
	s_mul_hi_u32 s6, s3, s6
	s_delay_alu instid0(SALU_CYCLE_1)
	s_add_co_i32 s6, s3, s6
	s_wait_kmcnt 0x0
	s_cmp_eq_u64 s[8:9], 0
	s_cbranch_scc1 .LBB20_2
; %bb.1:
	s_ashr_i32 s3, s2, 31
	s_delay_alu instid0(SALU_CYCLE_1) | instskip(NEXT) | instid1(SALU_CYCLE_1)
	s_lshl_b64 s[12:13], s[2:3], 2
	s_add_nc_u64 s[8:9], s[8:9], s[12:13]
	s_load_b32 s35, s[8:9], 0x0
.LBB20_2:
	s_load_b32 s31, s[4:5], s30 offset:0x0 scale_offset
	s_load_b96 s[12:14], s[0:1], 0x48
	v_dual_lshlrev_b32 v8, 2, v0 :: v_dual_bitop2_b32 v4, 1, v0 bitop3:0x40
	s_wait_xcnt 0x0
	s_mul_u64 s[4:5], s[16:17], s[6:7]
	s_ashr_i32 s3, s2, 31
	s_ashr_i32 s18, s10, 31
	s_mul_i32 s6, s2, 0x50
	s_mov_b32 s4, exec_lo
	v_cmpx_gt_u32_e32 40, v0
	s_cbranch_execz .LBB20_4
; %bb.3:
	s_load_b64 s[8:9], s[0:1], 0x8
	s_wait_kmcnt 0x0
	s_mul_i32 s10, s12, s30
	s_ashr_i32 s7, s6, 31
	s_ashr_i32 s11, s10, 31
	v_and_b32_e32 v1, 0xff8, v8
	s_lshl_b64 s[10:11], s[10:11], 2
	s_delay_alu instid0(VALU_DEP_1) | instskip(SKIP_2) | instid1(SALU_CYCLE_1)
	v_mad_u32_u24 v1, 0xa0, v4, v1
	s_add_nc_u64 s[8:9], s[8:9], s[10:11]
	s_lshl_b64 s[10:11], s[6:7], 2
	s_add_nc_u64 s[8:9], s[8:9], s[10:11]
	global_load_b64 v[2:3], v0, s[8:9] scale_offset
	s_wait_loadcnt 0x0
	ds_store_b64 v1, v[2:3]
.LBB20_4:
	s_or_b32 exec_lo, exec_lo, s4
	s_load_b128 s[8:11], s[0:1], 0x68
	s_mul_i32 s4, s5, s15
	s_xor_b32 s3, s3, s18
	s_sub_co_i32 s4, s16, s4
	s_add_co_i32 s7, s5, 1
	s_wait_kmcnt 0x0
	s_sub_co_i32 s12, s4, s15
	s_cmp_ge_u32 s4, s15
	s_mov_b32 s18, -1
	s_cselect_b32 s5, s7, s5
	s_cselect_b32 s4, s12, s4
	s_add_co_i32 s12, s5, 1
	s_cmp_ge_u32 s4, s15
	s_load_b32 s7, s[0:1], 0x78
	s_cselect_b32 s4, s12, s5
	s_add_co_i32 s15, s31, -1
	s_xor_b32 s4, s4, s3
	s_wait_dscnt 0x0
	s_sub_co_i32 s3, s4, s3
	s_barrier_signal -1
	s_barrier_wait -1
	s_abs_i32 s12, s11
	s_delay_alu instid0(SALU_CYCLE_1) | instskip(NEXT) | instid1(SALU_CYCLE_3)
	s_cvt_f32_u32 s5, s12
                                        ; implicit-def: $sgpr33
	v_rcp_iflag_f32_e32 v1, s5
	v_nop
	s_delay_alu instid0(TRANS32_DEP_1) | instskip(SKIP_1) | instid1(SALU_CYCLE_3)
	v_readfirstlane_b32 s5, v1
	s_mul_f32 s4, s5, 0x4f7ffffe
	s_cvt_u32_f32 s16, s4
	s_sub_co_i32 s4, 0, s12
	s_delay_alu instid0(SALU_CYCLE_2)
	s_mul_i32 s5, s4, s16
	s_abs_i32 s4, s15
	s_mul_hi_u32 s17, s16, s5
	s_mov_b32 s5, 0
	s_add_co_i32 s16, s16, s17
	s_wait_kmcnt 0x0
	s_cmp_lt_i32 s7, 0
	s_mov_b32 s17, s5
	s_cbranch_scc0 .LBB20_6
; %bb.5:
	s_mul_i32 s18, s8, s22
	s_delay_alu instid0(SALU_CYCLE_1) | instskip(NEXT) | instid1(SALU_CYCLE_1)
	s_add_co_i32 s18, s3, s18
	s_mul_i32 s18, s18, s7
	s_delay_alu instid0(SALU_CYCLE_1)
	s_sub_co_i32 s33, 1, s18
	s_mov_b32 s18, s5
.LBB20_6:
	s_ashr_i32 s15, s15, 31
	s_ashr_i32 s11, s11, 31
	s_and_not1_b32 vcc_lo, exec_lo, s18
	s_mul_u64 s[24:25], s[4:5], s[16:17]
	s_cbranch_vccnz .LBB20_8
; %bb.7:
	s_mul_i32 s5, s29, s8
	s_delay_alu instid0(SALU_CYCLE_1) | instskip(NEXT) | instid1(SALU_CYCLE_1)
	s_add_co_i32 s2, s5, s2
	s_mul_i32 s2, s2, s7
	s_delay_alu instid0(SALU_CYCLE_1)
	s_add_co_i32 s33, s2, 1
.LBB20_8:
	s_load_b32 s2, s[0:1], 0x38
	s_mul_i32 s7, s25, s12
	s_xor_b32 s5, s15, s11
	s_sub_co_i32 s4, s4, s7
	s_add_co_i32 s8, s25, 1
	s_clause 0x1
	s_load_b64 s[18:19], s[0:1], 0x28
	s_load_b32 s7, s[0:1], 0x88
	v_dual_lshrrev_b32 v1, 5, v0 :: v_dual_lshrrev_b32 v9, 3, v0
	v_mov_b32_e32 v13, 0xff7fffff
	v_mbcnt_lo_u32_b32 v10, -1, 0
	s_mul_i32 s14, s3, s14
	s_delay_alu instid0(VALU_DEP_3)
	v_lshlrev_b32_e32 v46, 4, v1
	s_wait_kmcnt 0x0
	s_mul_i32 s20, s2, s30
	s_sub_co_i32 s2, s4, s12
	s_ashr_i32 s21, s20, 31
	s_cmp_ge_u32 s4, s12
	s_cselect_b32 s8, s8, s25
	s_cselect_b32 s2, s2, s4
	s_add_co_i32 s4, s8, 1
	s_cmp_ge_u32 s2, s12
	s_cselect_b32 s2, s4, s8
	s_add_co_i32 s4, s31, 15
	s_delay_alu instid0(SALU_CYCLE_1) | instskip(NEXT) | instid1(SALU_CYCLE_1)
	s_ashr_i32 s8, s4, 31
	s_lshr_b32 s8, s8, 28
	s_delay_alu instid0(SALU_CYCLE_1) | instskip(NEXT) | instid1(SALU_CYCLE_1)
	s_add_co_i32 s4, s4, s8
	s_ashr_i32 s34, s4, 4
	s_xor_b32 s4, s2, s5
	v_cmp_gt_i32_e64 s2, s34, v1
	s_sub_co_i32 s8, s4, s5
	s_and_saveexec_b32 s22, s2
	s_cbranch_execz .LBB20_20
; %bb.9:
	s_load_b64 s[4:5], s[0:1], 0x10
	s_ashr_i32 s15, s14, 31
	s_sub_co_i32 s36, s8, s9
	s_ashr_i32 s25, s13, 31
	s_lshl_b64 s[38:39], s[14:15], 2
	s_cmp_neq_f32 s35, 0
	v_bfe_u32 v11, v0, 1, 4
	v_dual_mov_b32 v3, 0 :: v_dual_lshlrev_b32 v6, 3, v0
	s_cselect_b32 vcc_lo, -1, 0
	s_abs_i32 s15, s10
	s_delay_alu instid0(VALU_DEP_2)
	v_lshlrev_b32_e32 v2, 4, v11
	s_cvt_f32_u32 s3, s15
	v_mul_u32_u24_e32 v12, 0xa0, v4
	v_lshlrev_b32_e32 v7, 2, v11
	s_sub_co_i32 s26, 0, s15
	v_rcp_iflag_f32_e32 v5, s3
	v_cmp_eq_u32_e64 s3, 0, v4
	v_mov_b32_e32 v16, 0xff7fffff
	v_lshl_or_b32 v13, v1, 6, v7
	s_wait_kmcnt 0x0
	s_add_nc_u64 s[4:5], s[4:5], s[38:39]
	v_mov_b32_e32 v18, v1
	s_mov_b32 s27, 0
	v_readfirstlane_b32 s24, v5
	v_add_nc_u64_e32 v[4:5], s[4:5], v[2:3]
	v_and_b32_e32 v2, 8, v6
	v_subrev_nc_u32_e32 v6, s31, v11
	s_lshl_b64 s[4:5], s[20:21], 2
	s_mul_f32 s24, s24, 0x4f7ffffe
	s_add_nc_u64 s[4:5], s[18:19], s[4:5]
	v_add_nc_u32_e32 v15, 0x160, v13
	v_add_nc_u32_e32 v14, 1, v6
	v_add_nc_u64_e32 v[4:5], v[4:5], v[2:3]
	v_and_b32_e32 v2, 0x7c, v9
	s_cvt_u32_f32 s37, s24
	v_xor_b32_e32 v17, 1, v10
	v_mov_b32_e32 v13, 0xff7fffff
	s_mov_b32 s24, s13
	v_add_nc_u64_e32 v[6:7], s[4:5], v[2:3]
	s_mul_i32 s26, s26, s37
	v_lshlrev_b32_e32 v2, 4, v1
	s_mul_hi_u32 s4, s37, s26
	s_delay_alu instid0(SALU_CYCLE_1)
	s_add_co_i32 s26, s37, s4
	s_mov_b32 s37, s27
	s_branch .LBB20_12
.LBB20_10:                              ;   in Loop: Header=BB20_12 Depth=1
	s_or_b32 exec_lo, exec_lo, s38
.LBB20_11:                              ;   in Loop: Header=BB20_12 Depth=1
	s_delay_alu instid0(SALU_CYCLE_1) | instskip(SKIP_4) | instid1(VALU_DEP_4)
	s_or_b32 exec_lo, exec_lo, s5
	v_add_nc_u32_e32 v18, 4, v18
	v_add_nc_u64_e32 v[6:7], 16, v[6:7]
	v_add_nc_u32_e32 v2, 64, v2
	v_add_nc_u32_e32 v15, 0x100, v15
	v_cmp_le_i32_e64 s4, s34, v18
	s_or_b32 s37, s4, s37
	s_delay_alu instid0(SALU_CYCLE_1)
	s_and_not1_b32 exec_lo, exec_lo, s37
	s_cbranch_execz .LBB20_19
.LBB20_12:                              ; =>This Inner Loop Header: Depth=1
	s_wait_dscnt 0x0
	v_mul_u64_e32 v[20:21], s[16:17], v[2:3]
	s_delay_alu instid0(VALU_DEP_1) | instskip(NEXT) | instid1(VALU_DEP_1)
	v_mul_lo_u32 v19, v21, s12
	v_dual_add_nc_u32 v20, 1, v21 :: v_dual_sub_nc_u32 v19, v2, v19
	s_delay_alu instid0(VALU_DEP_1) | instskip(SKIP_1) | instid1(VALU_DEP_1)
	v_subrev_nc_u32_e32 v22, s12, v19
	v_cmp_le_u32_e64 s4, s12, v19
	v_dual_cndmask_b32 v20, v21, v20, s4 :: v_dual_cndmask_b32 v19, v19, v22, s4
	s_delay_alu instid0(VALU_DEP_1) | instskip(NEXT) | instid1(VALU_DEP_2)
	v_add_nc_u32_e32 v21, 1, v20
	v_cmp_le_u32_e64 s4, s12, v19
	s_delay_alu instid0(VALU_DEP_1) | instskip(NEXT) | instid1(VALU_DEP_1)
	v_dual_cndmask_b32 v19, v20, v21, s4 :: v_dual_mov_b32 v21, v3
	v_xor_b32_e32 v19, s11, v19
	s_delay_alu instid0(VALU_DEP_1) | instskip(NEXT) | instid1(VALU_DEP_1)
	v_subrev_nc_u32_e32 v19, s11, v19
	v_add_nc_u32_e32 v24, s33, v19
	v_cmp_ge_i32_e64 s5, s36, v19
	s_delay_alu instid0(VALU_DEP_2) | instskip(NEXT) | instid1(VALU_DEP_1)
	v_sub_nc_u32_e32 v20, 0, v24
	v_max_i32_e32 v20, v24, v20
	s_delay_alu instid0(VALU_DEP_1) | instskip(SKIP_1) | instid1(VALU_DEP_2)
	v_mul_u64_e32 v[22:23], s[26:27], v[20:21]
	v_ashrrev_i32_e32 v22, 31, v24
	v_mul_lo_u32 v21, v23, s15
	s_delay_alu instid0(VALU_DEP_1) | instskip(NEXT) | instid1(VALU_DEP_1)
	v_sub_nc_u32_e32 v20, v20, v21
	v_subrev_nc_u32_e32 v21, s15, v20
	v_cmp_le_u32_e64 s4, s15, v20
	s_delay_alu instid0(VALU_DEP_1) | instskip(NEXT) | instid1(VALU_DEP_1)
	v_cndmask_b32_e64 v20, v20, v21, s4
	v_subrev_nc_u32_e32 v21, s15, v20
	v_cmp_le_u32_e64 s4, s15, v20
	s_delay_alu instid0(VALU_DEP_1) | instskip(NEXT) | instid1(VALU_DEP_1)
	v_cndmask_b32_e64 v20, v20, v21, s4
	v_xor_b32_e32 v20, v20, v22
	s_delay_alu instid0(VALU_DEP_1) | instskip(NEXT) | instid1(VALU_DEP_1)
	v_sub_nc_u32_e32 v20, v20, v22
	v_cmp_ne_u32_e64 s4, 0, v20
	s_and_b32 s4, s4, s5
	s_delay_alu instid0(SALU_CYCLE_1) | instskip(NEXT) | instid1(SALU_CYCLE_1)
	s_and_saveexec_b32 s5, s4
	s_xor_b32 s4, exec_lo, s5
	s_cbranch_execz .LBB20_16
; %bb.13:                               ;   in Loop: Header=BB20_12 Depth=1
	s_and_saveexec_b32 s5, s3
; %bb.14:                               ;   in Loop: Header=BB20_12 Depth=1
	ds_store_b32 v15, v16
; %bb.15:                               ;   in Loop: Header=BB20_12 Depth=1
	s_or_b32 exec_lo, exec_lo, s5
.LBB20_16:                              ;   in Loop: Header=BB20_12 Depth=1
	s_and_not1_saveexec_b32 s5, s4
	s_cbranch_execz .LBB20_11
; %bb.17:                               ;   in Loop: Header=BB20_12 Depth=1
	global_load_b32 v20, v[6:7], off
	v_cmp_gt_i32_e64 s4, 32, v17
	s_wait_loadcnt 0x0
	v_ashrrev_i32_e32 v21, 31, v20
	s_delay_alu instid0(VALU_DEP_1) | instskip(NEXT) | instid1(VALU_DEP_1)
	v_mul_u64_e32 v[20:21], s[24:25], v[20:21]
	v_lshl_add_u64 v[20:21], v[20:21], 2, v[4:5]
	s_clause 0x13
	global_load_b64 v[32:33], v[20:21], off offset:256
	global_load_b64 v[34:35], v[20:21], off offset:512
	;; [unrolled: 1-line block ×3, first 2 shown]
	global_load_b64 v[38:39], v[20:21], off
	global_load_b64 v[40:41], v[20:21], off offset:1024
	global_load_b64 v[42:43], v[20:21], off offset:1280
	;; [unrolled: 1-line block ×16, first 2 shown]
	s_wait_xcnt 0x0
	ds_load_b128 v[20:23], v12
	ds_load_b128 v[24:27], v12 offset:16
	ds_load_b128 v[28:31], v12 offset:32
	s_wait_loadcnt_dscnt 0x1302
	v_dual_mul_f32 v19, v22, v32 :: v_dual_mul_f32 v32, v23, v33
	s_wait_loadcnt 0x10
	s_delay_alu instid0(VALU_DEP_1) | instskip(SKIP_3) | instid1(VALU_DEP_1)
	v_dual_fmac_f32 v32, v21, v39 :: v_dual_fmac_f32 v19, v20, v38
	ds_load_b128 v[20:23], v12 offset:48
	s_wait_dscnt 0x2
	v_dual_fmac_f32 v32, v25, v35 :: v_dual_fmac_f32 v19, v24, v34
	v_dual_fmac_f32 v32, v27, v37 :: v_dual_fmac_f32 v19, v26, v36
	ds_load_b128 v[24:27], v12 offset:64
	s_wait_loadcnt_dscnt 0xf02
	v_dual_fmac_f32 v32, v29, v41 :: v_dual_fmac_f32 v19, v28, v40
	s_wait_loadcnt 0xe
	s_delay_alu instid0(VALU_DEP_1) | instskip(SKIP_4) | instid1(VALU_DEP_1)
	v_dual_fmac_f32 v32, v31, v43 :: v_dual_fmac_f32 v19, v30, v42
	ds_load_b128 v[28:31], v12 offset:80
	s_wait_loadcnt_dscnt 0xd02
	v_dual_fmac_f32 v32, v21, v45 :: v_dual_fmac_f32 v19, v20, v44
	s_wait_loadcnt 0xc
	v_dual_fmac_f32 v32, v23, v49 :: v_dual_fmac_f32 v19, v22, v48
	ds_load_b128 v[20:23], v12 offset:96
	s_wait_loadcnt_dscnt 0xb02
	v_dual_fmac_f32 v32, v25, v51 :: v_dual_fmac_f32 v19, v24, v50
	s_wait_loadcnt 0xa
	s_delay_alu instid0(VALU_DEP_1) | instskip(SKIP_4) | instid1(VALU_DEP_1)
	v_dual_fmac_f32 v32, v27, v53 :: v_dual_fmac_f32 v19, v26, v52
	ds_load_b128 v[24:27], v12 offset:112
	s_wait_loadcnt_dscnt 0x902
	v_dual_fmac_f32 v32, v29, v55 :: v_dual_fmac_f32 v19, v28, v54
	s_wait_loadcnt 0x8
	v_dual_fmac_f32 v32, v31, v57 :: v_dual_fmac_f32 v19, v30, v56
	ds_load_b128 v[28:31], v12 offset:128
	s_wait_loadcnt_dscnt 0x702
	v_dual_fmac_f32 v32, v21, v59 :: v_dual_fmac_f32 v19, v20, v58
	s_wait_loadcnt 0x6
	s_delay_alu instid0(VALU_DEP_1) | instskip(SKIP_4) | instid1(VALU_DEP_1)
	v_dual_fmac_f32 v32, v23, v61 :: v_dual_fmac_f32 v19, v22, v60
	ds_load_b128 v[20:23], v12 offset:144
	s_wait_loadcnt_dscnt 0x502
	v_dual_fmac_f32 v32, v25, v63 :: v_dual_fmac_f32 v19, v24, v62
	s_wait_loadcnt 0x4
	v_dual_fmac_f32 v32, v27, v65 :: v_dual_fmac_f32 v19, v26, v64
	s_wait_loadcnt_dscnt 0x301
	s_delay_alu instid0(VALU_DEP_1) | instskip(SKIP_1) | instid1(VALU_DEP_1)
	v_dual_fmac_f32 v32, v29, v67 :: v_dual_fmac_f32 v19, v28, v66
	s_wait_loadcnt 0x2
	v_dual_fmac_f32 v32, v31, v69 :: v_dual_fmac_f32 v19, v30, v68
	s_wait_loadcnt_dscnt 0x100
	s_delay_alu instid0(VALU_DEP_1) | instskip(SKIP_2) | instid1(VALU_DEP_2)
	v_dual_fmac_f32 v32, v21, v71 :: v_dual_fmac_f32 v19, v20, v70
	v_cndmask_b32_e64 v20, v10, v17, s4
	s_wait_loadcnt 0x0
	v_dual_fmac_f32 v32, v23, v73 :: v_dual_fmac_f32 v19, v22, v72
	s_delay_alu instid0(VALU_DEP_2) | instskip(NEXT) | instid1(VALU_DEP_2)
	v_lshlrev_b32_e32 v20, 2, v20
	v_add_f32_e32 v19, v19, v32
	ds_bpermute_b32 v20, v20, v19
	s_and_saveexec_b32 s38, s3
	s_cbranch_execz .LBB20_10
; %bb.18:                               ;   in Loop: Header=BB20_12 Depth=1
	s_wait_dscnt 0x0
	v_dual_add_nc_u32 v21, v14, v2 :: v_dual_add_f32 v19, v19, v20
	s_delay_alu instid0(VALU_DEP_1) | instskip(NEXT) | instid1(VALU_DEP_1)
	v_cvt_f32_i32_e32 v21, v21
	v_mul_f32_e32 v21, s35, v21
	s_delay_alu instid0(VALU_DEP_1) | instskip(NEXT) | instid1(VALU_DEP_1)
	v_cndmask_b32_e32 v20, 0, v21, vcc_lo
	v_dual_fmac_f32 v20, s23, v19 :: v_dual_add_nc_u32 v19, v11, v2
	s_delay_alu instid0(VALU_DEP_1) | instskip(NEXT) | instid1(VALU_DEP_1)
	v_cmp_gt_i32_e64 s4, s31, v19
	v_dual_max_num_f32 v21, v13, v13 :: v_dual_cndmask_b32 v19, 0, v20, s4
	s_delay_alu instid0(VALU_DEP_1)
	v_max_num_f32_e32 v21, v21, v20
	ds_store_b32 v15, v19
	v_cndmask_b32_e64 v13, v13, v21, s4
	s_branch .LBB20_10
.LBB20_19:
	s_or_b32 exec_lo, exec_lo, s37
.LBB20_20:
	s_delay_alu instid0(SALU_CYCLE_1)
	s_or_b32 exec_lo, exec_lo, s22
	v_dual_max_num_f32 v5, v13, v13 :: v_dual_bitop2_b32 v2, 16, v10 bitop3:0x14
	v_xor_b32_e32 v4, 8, v10
	s_clause 0x1
	s_load_b64 s[4:5], s[0:1], 0x0
	s_load_b64 s[22:23], s[0:1], 0x18
	v_and_b32_e32 v62, 31, v0
	v_cmp_gt_i32_e32 vcc_lo, 32, v2
	v_cndmask_b32_e32 v2, v10, v2, vcc_lo
	v_cmp_gt_i32_e32 vcc_lo, 32, v4
	s_delay_alu instid0(VALU_DEP_2) | instskip(SKIP_3) | instid1(VALU_DEP_1)
	v_dual_cndmask_b32 v4, v10, v4, vcc_lo :: v_dual_lshlrev_b32 v2, 2, v2
	ds_bpermute_b32 v3, v2, v13
	s_wait_dscnt 0x0
	v_dual_max_num_f32 v6, v3, v3 :: v_dual_lshlrev_b32 v3, 2, v4
	v_max_num_f32_e32 v5, v5, v6
	ds_bpermute_b32 v4, v3, v5
	s_wait_dscnt 0x0
	v_dual_max_num_f32 v7, v4, v4 :: v_dual_bitop2_b32 v6, 4, v10 bitop3:0x14
	s_delay_alu instid0(VALU_DEP_1) | instskip(NEXT) | instid1(VALU_DEP_2)
	v_cmp_gt_i32_e32 vcc_lo, 32, v6
	v_dual_max_num_f32 v5, v5, v7 :: v_dual_bitop2_b32 v7, 2, v10 bitop3:0x14
	v_cndmask_b32_e32 v6, v10, v6, vcc_lo
	s_delay_alu instid0(VALU_DEP_2) | instskip(NEXT) | instid1(VALU_DEP_2)
	v_cmp_gt_i32_e32 vcc_lo, 32, v7
	v_dual_cndmask_b32 v7, v10, v7 :: v_dual_lshlrev_b32 v4, 2, v6
	v_cmp_eq_u32_e32 vcc_lo, 0, v62
	s_delay_alu instid0(VALU_DEP_2) | instskip(SKIP_3) | instid1(VALU_DEP_1)
	v_lshlrev_b32_e32 v63, 2, v7
	ds_bpermute_b32 v6, v4, v5
	s_wait_dscnt 0x0
	v_max_num_f32_e32 v6, v6, v6
	v_dual_max_num_f32 v6, v5, v6 :: v_dual_lshlrev_b32 v5, 2, v1
	ds_bpermute_b32 v7, v63, v6
	s_wait_xcnt 0x0
	s_and_saveexec_b32 s0, vcc_lo
	s_cbranch_execz .LBB20_22
; %bb.21:
	s_wait_dscnt 0x0
	v_dual_max_num_f32 v7, v7, v7 :: v_dual_max_num_f32 v6, v6, v6
	s_delay_alu instid0(VALU_DEP_1)
	v_max_num_f32_e32 v6, v6, v7
	ds_store_b32 v5, v6 offset:320
.LBB20_22:
	s_or_b32 exec_lo, exec_lo, s0
	v_cmp_gt_u32_e64 s0, 4, v62
	s_wait_dscnt 0x0
	v_dual_mov_b32 v7, 0xff7fffff :: v_dual_lshlrev_b32 v6, 2, v62
	s_barrier_signal -1
	s_barrier_wait -1
	s_and_saveexec_b32 s1, s0
; %bb.23:
	ds_load_b32 v7, v6 offset:320
; %bb.24:
	s_or_b32 exec_lo, exec_lo, s1
	s_wait_dscnt 0x0
	ds_bpermute_b32 v11, v63, v7
	v_dual_max_num_f32 v7, v7, v7 :: v_dual_bitop2_b32 v12, 1, v10 bitop3:0x14
	s_delay_alu instid0(VALU_DEP_1) | instskip(NEXT) | instid1(VALU_DEP_1)
	v_cmp_gt_i32_e64 s1, 32, v12
	v_cndmask_b32_e64 v10, v10, v12, s1
	s_lshl_b32 s1, s34, 4
	s_delay_alu instid0(SALU_CYCLE_1) | instskip(NEXT) | instid1(SALU_CYCLE_1)
	s_min_i32 s15, s1, s31
	v_cmp_gt_i32_e64 s1, s15, v0
	s_wait_dscnt 0x0
	v_dual_max_num_f32 v11, v11, v11 :: v_dual_lshlrev_b32 v64, 2, v10
	s_delay_alu instid0(VALU_DEP_1) | instskip(SKIP_3) | instid1(VALU_DEP_1)
	v_max_num_f32_e32 v7, v7, v11
	ds_bpermute_b32 v10, v64, v7
	s_wait_dscnt 0x0
	v_max_num_f32_e32 v10, v10, v10
	v_dual_max_num_f32 v10, v7, v10 :: v_dual_mov_b32 v7, 0
	ds_bpermute_b32 v10, v7, v10
	s_and_saveexec_b32 s24, s1
	s_cbranch_execz .LBB20_28
; %bb.25:
	v_lshl_add_u32 v11, v0, 2, 0x160
	v_dual_mov_b32 v7, 0 :: v_dual_mov_b32 v12, v0
	s_mov_b32 s25, 0
.LBB20_26:                              ; =>This Inner Loop Header: Depth=1
	ds_load_b32 v13, v11
	v_add_nc_u32_e32 v12, 0x80, v12
	s_delay_alu instid0(VALU_DEP_1) | instskip(SKIP_3) | instid1(VALU_DEP_1)
	v_cmp_le_i32_e64 s3, s15, v12
	s_or_b32 s25, s3, s25
	s_wait_dscnt 0x0
	v_sub_f32_e32 v13, v13, v10
	v_mul_f32_e32 v13, 0x3fb8aa3b, v13
	s_delay_alu instid0(VALU_DEP_1)
	v_exp_f32_e32 v13, v13
	ds_store_b32 v11, v13
	v_nop
	v_add_f32_e32 v7, v7, v13
	v_add_nc_u32_e32 v11, 0x200, v11
	s_and_not1_b32 exec_lo, exec_lo, s25
	s_cbranch_execnz .LBB20_26
; %bb.27:
	s_or_b32 exec_lo, exec_lo, s25
.LBB20_28:
	s_delay_alu instid0(SALU_CYCLE_1)
	s_or_b32 exec_lo, exec_lo, s24
	ds_bpermute_b32 v2, v2, v7
	s_wait_dscnt 0x0
	v_add_f32_e32 v2, v7, v2
	ds_bpermute_b32 v3, v3, v2
	s_wait_dscnt 0x0
	v_add_f32_e32 v2, v2, v3
	;; [unrolled: 3-line block ×5, first 2 shown]
	s_and_saveexec_b32 s3, vcc_lo
; %bb.29:
	ds_store_b32 v5, v2 offset:336
; %bb.30:
	s_or_b32 exec_lo, exec_lo, s3
	s_wait_dscnt 0x0
	s_barrier_signal -1
	s_barrier_wait -1
	s_and_saveexec_b32 s3, s0
; %bb.31:
	ds_load_b32 v2, v6 offset:336
; %bb.32:
	s_or_b32 exec_lo, exec_lo, s3
	s_wait_dscnt 0x0
	ds_bpermute_b32 v3, v63, v2
	s_wait_dscnt 0x0
	v_dual_mov_b32 v49, 0 :: v_dual_add_f32 v2, v2, v3
	ds_bpermute_b32 v3, v64, v2
	s_wait_dscnt 0x0
	v_add_f32_e32 v2, v2, v3
	ds_bpermute_b32 v2, v49, v2
	s_and_saveexec_b32 s0, s1
	s_cbranch_execz .LBB20_45
; %bb.33:
	s_wait_dscnt 0x0
	v_add_f32_e32 v2, 0x358637bd, v2
	s_mov_b32 s3, -1
	s_mov_b32 s1, exec_lo
	s_delay_alu instid0(VALU_DEP_1) | instskip(NEXT) | instid1(VALU_DEP_1)
	v_div_scale_f32 v3, null, v2, v2, 1.0
	v_rcp_f32_e32 v5, v3
	v_nop
	s_delay_alu instid0(TRANS32_DEP_1) | instskip(NEXT) | instid1(VALU_DEP_1)
	v_fma_f32 v4, -v3, v5, 1.0
	v_fmac_f32_e32 v5, v4, v5
	v_div_scale_f32 v6, vcc_lo, 1.0, v2, 1.0
	s_delay_alu instid0(VALU_DEP_1) | instskip(NEXT) | instid1(VALU_DEP_1)
	v_mul_f32_e32 v7, v6, v5
	v_fma_f32 v4, -v3, v7, v6
	s_delay_alu instid0(VALU_DEP_1) | instskip(SKIP_1) | instid1(VALU_DEP_2)
	v_fmac_f32_e32 v7, v4, v5
	v_xad_u32 v4, v0, -1, s15
	v_fma_f32 v3, -v3, v7, v6
	s_delay_alu instid0(VALU_DEP_1) | instskip(NEXT) | instid1(VALU_DEP_1)
	v_div_fmas_f32 v3, v3, v5, v7
	v_div_fixup_f32 v2, v3, v2, 1.0
	v_mov_b32_e32 v3, v0
	v_cmpx_lt_u32_e32 0x7f, v4
	s_cbranch_execz .LBB20_42
; %bb.34:
	s_delay_alu instid0(VALU_DEP_3) | instskip(NEXT) | instid1(VALU_DEP_1)
	v_dual_mov_b32 v3, v2 :: v_dual_lshrrev_b32 v4, 7, v4
	v_dual_mov_b32 v10, 0 :: v_dual_add_nc_u32 v5, -1, v4
	s_delay_alu instid0(VALU_DEP_1) | instskip(SKIP_1) | instid1(VALU_DEP_2)
	v_lshrrev_b32_e32 v6, 1, v5
	v_cmp_lt_u32_e32 vcc_lo, 13, v5
	v_add_nc_u32_e32 v5, 1, v6
	s_and_saveexec_b32 s3, vcc_lo
	s_cbranch_execz .LBB20_38
; %bb.35:
	s_delay_alu instid0(VALU_DEP_1)
	v_and_b32_e32 v6, -8, v5
	v_lshl_add_u32 v7, v0, 2, 0x160
	s_mov_b32 s24, 0
	s_mov_b32 s25, 0
.LBB20_36:                              ; =>This Inner Loop Header: Depth=1
	ds_load_2addr_stride64_b32 v[10:11], v7 offset1:2
	ds_load_2addr_stride64_b32 v[12:13], v7 offset0:4 offset1:6
	ds_load_2addr_stride64_b32 v[14:15], v7 offset0:8 offset1:10
	;; [unrolled: 1-line block ×7, first 2 shown]
	s_add_co_i32 s25, s25, 16
	v_add_nc_u32_e32 v6, -8, v6
	s_wait_dscnt 0x7
	v_pk_mul_f32 v[10:11], v[2:3], v[10:11]
	s_wait_dscnt 0x6
	v_pk_mul_f32 v[12:13], v[2:3], v[12:13]
	;; [unrolled: 2-line block ×8, first 2 shown]
	ds_store_2addr_stride64_b32 v7, v10, v11 offset1:2
	ds_store_2addr_stride64_b32 v7, v12, v13 offset0:4 offset1:6
	ds_store_2addr_stride64_b32 v7, v14, v15 offset0:8 offset1:10
	;; [unrolled: 1-line block ×7, first 2 shown]
	v_mov_b32_e32 v10, s25
	v_cmp_eq_u32_e32 vcc_lo, 0, v6
	v_add_nc_u32_e32 v7, 0x2000, v7
	s_or_b32 s24, vcc_lo, s24
	s_delay_alu instid0(SALU_CYCLE_1)
	s_and_not1_b32 exec_lo, exec_lo, s24
	s_cbranch_execnz .LBB20_36
; %bb.37:
	s_or_b32 exec_lo, exec_lo, s24
.LBB20_38:
	s_delay_alu instid0(SALU_CYCLE_1) | instskip(NEXT) | instid1(VALU_DEP_1)
	s_or_b32 exec_lo, exec_lo, s3
	v_and_b32_e32 v5, 7, v5
	s_mov_b32 s24, 0
	s_mov_b32 s3, exec_lo
	s_delay_alu instid0(VALU_DEP_1)
	v_cmpx_ne_u32_e32 0, v5
	s_cbranch_execz .LBB20_41
; %bb.39:
	v_lshlrev_b32_e32 v6, 9, v10
	s_delay_alu instid0(VALU_DEP_1)
	v_add3_u32 v6, v6, v8, 0x160
.LBB20_40:                              ; =>This Inner Loop Header: Depth=1
	ds_load_2addr_stride64_b32 v[10:11], v6 offset1:2
	v_add_nc_u32_e32 v5, -1, v5
	s_delay_alu instid0(VALU_DEP_1)
	v_cmp_eq_u32_e32 vcc_lo, 0, v5
	s_or_b32 s24, vcc_lo, s24
	s_wait_dscnt 0x0
	v_pk_mul_f32 v[10:11], v[2:3], v[10:11]
	ds_store_2addr_stride64_b32 v6, v10, v11 offset1:2
	v_add_nc_u32_e32 v6, 0x400, v6
	s_and_not1_b32 exec_lo, exec_lo, s24
	s_cbranch_execnz .LBB20_40
.LBB20_41:
	s_or_b32 exec_lo, exec_lo, s3
	v_add_nc_u32_e32 v3, 1, v4
	s_delay_alu instid0(VALU_DEP_1) | instskip(NEXT) | instid1(VALU_DEP_1)
	v_and_b32_e32 v4, 0x3fffffe, v3
	v_cmp_ne_u32_e32 vcc_lo, v3, v4
	v_lshl_add_u32 v3, v4, 7, v0
	s_or_not1_b32 s3, vcc_lo, exec_lo
.LBB20_42:
	s_or_b32 exec_lo, exec_lo, s1
	s_delay_alu instid0(SALU_CYCLE_1)
	s_and_b32 exec_lo, exec_lo, s3
	s_cbranch_execz .LBB20_45
; %bb.43:
	v_lshl_add_u32 v4, v3, 2, 0x160
	s_mov_b32 s1, 0
.LBB20_44:                              ; =>This Inner Loop Header: Depth=1
	ds_load_b32 v5, v4
	v_add_nc_u32_e32 v3, 0x80, v3
	s_delay_alu instid0(VALU_DEP_1)
	v_cmp_le_i32_e32 vcc_lo, s15, v3
	s_or_b32 s1, vcc_lo, s1
	s_wait_dscnt 0x0
	v_mul_f32_e32 v5, v2, v5
	ds_store_b32 v4, v5
	v_add_nc_u32_e32 v4, 0x200, v4
	s_and_not1_b32 exec_lo, exec_lo, s1
	s_cbranch_execnz .LBB20_44
.LBB20_45:
	s_or_b32 exec_lo, exec_lo, s0
	v_dual_mov_b32 v48, 0 :: v_dual_bitop2_b32 v65, 3, v0 bitop3:0x40
	v_dual_mov_b32 v51, 0 :: v_dual_mov_b32 v50, 0
	v_dual_mov_b32 v53, 0 :: v_dual_mov_b32 v52, 0
	;; [unrolled: 1-line block ×4, first 2 shown]
	s_wait_dscnt 0x0
	s_barrier_signal -1
	s_barrier_wait -1
	s_and_saveexec_b32 s1, s2
	s_cbranch_execz .LBB20_71
; %bb.46:
	s_abs_i32 s10, s10
	v_dual_mov_b32 v47, 0 :: v_dual_bitop2_b32 v66, 12, v8 bitop3:0x40
	s_cvt_f32_u32 s0, s10
	v_dual_lshlrev_b32 v4, 4, v0 :: v_dual_lshlrev_b32 v6, 4, v65
	s_ashr_i32 s15, s14, 31
	s_delay_alu instid0(SALU_CYCLE_1) | instskip(SKIP_1) | instid1(VALU_DEP_2)
	v_rcp_iflag_f32_e32 v3, s0
	v_and_b32_e32 v2, 0x7c, v9
	v_and_b32_e32 v4, 0x1f0, v4
	v_mov_b32_e32 v5, v47
	s_lshl_b64 s[20:21], s[20:21], 2
	s_lshl_b64 s[14:15], s[14:15], 2
	v_lshl_or_b32 v6, v1, 6, v6
	v_readfirstlane_b32 s0, v3
	v_mov_b32_e32 v3, v47
	s_add_nc_u64 s[18:19], s[18:19], s[20:21]
	s_wait_kmcnt 0x0
	s_add_nc_u64 s[14:15], s[22:23], s[14:15]
	s_sub_co_i32 s24, s8, s9
	s_mul_f32 s0, s0, 0x4f7ffffe
	s_sub_co_i32 s8, 0, s10
	v_add_nc_u64_e32 v[58:59], s[14:15], v[4:5]
	v_add_nc_u64_e32 v[60:61], s[18:19], v[2:3]
	s_cvt_u32_f32 s0, s0
	v_dual_mov_b32 v68, v1 :: v_dual_add_nc_u32 v67, 0x160, v6
	v_dual_mov_b32 v56, v47 :: v_dual_mov_b32 v57, v47
	s_delay_alu instid0(SALU_CYCLE_1)
	s_mul_i32 s8, s8, s0
	v_dual_mov_b32 v54, v47 :: v_dual_mov_b32 v55, v47
	v_dual_mov_b32 v52, v47 :: v_dual_mov_b32 v53, v47
	;; [unrolled: 1-line block ×4, first 2 shown]
	s_mov_b32 s9, 0
	s_mul_hi_u32 s8, s0, s8
	s_ashr_i32 s3, s13, 31
	s_mov_b32 s2, s13
	s_add_co_i32 s13, s34, -1
	s_mov_b32 s14, s31
	s_add_co_i32 s8, s0, s8
	s_mov_b32 s15, s9
	s_branch .LBB20_49
.LBB20_47:                              ;   in Loop: Header=BB20_49 Depth=1
	s_or_b32 exec_lo, exec_lo, s0
	s_wait_loadcnt_dscnt 0x200
	v_mul_f32_e32 v34, v6, v34
	s_wait_loadcnt 0x1
	v_mul_f32_e32 v42, v6, v42
	v_mul_f32_e32 v26, v6, v26
	;; [unrolled: 1-line block ×3, first 2 shown]
	v_dual_mul_f32 v10, v6, v10 :: v_dual_fmac_f32 v34, v7, v35
	s_delay_alu instid0(VALU_DEP_4) | instskip(NEXT) | instid1(VALU_DEP_4)
	v_dual_fmac_f32 v42, v7, v43 :: v_dual_mul_f32 v22, v6, v22
	v_fmac_f32_e32 v26, v7, v27
	s_delay_alu instid0(VALU_DEP_4) | instskip(NEXT) | instid1(VALU_DEP_3)
	v_dual_fmac_f32 v30, v7, v31 :: v_dual_mul_f32 v14, v6, v14
	v_fmac_f32_e32 v42, v8, v44
	s_delay_alu instid0(VALU_DEP_3) | instskip(NEXT) | instid1(VALU_DEP_3)
	v_fmac_f32_e32 v26, v8, v28
	v_fmac_f32_e32 v30, v8, v32
	s_delay_alu instid0(VALU_DEP_3) | instskip(SKIP_1) | instid1(VALU_DEP_4)
	v_fmac_f32_e32 v42, v9, v45
	v_dual_fmac_f32 v22, v7, v23 :: v_dual_mul_f32 v23, v6, v18
	v_fmac_f32_e32 v26, v9, v29
	s_delay_alu instid0(VALU_DEP_3) | instskip(NEXT) | instid1(VALU_DEP_3)
	v_dual_fmac_f32 v30, v9, v33 :: v_dual_add_f32 v48, v48, v42
	v_fmac_f32_e32 v22, v8, v24
	s_delay_alu instid0(VALU_DEP_3) | instskip(NEXT) | instid1(VALU_DEP_3)
	v_dual_fmac_f32 v34, v8, v36 :: v_dual_add_f32 v53, v53, v26
	v_dual_add_f32 v50, v50, v30 :: v_dual_fmac_f32 v23, v7, v19
	s_delay_alu instid0(VALU_DEP_3) | instskip(NEXT) | instid1(VALU_DEP_3)
	v_fmac_f32_e32 v22, v9, v25
	v_fmac_f32_e32 v34, v9, v37
	s_wait_loadcnt 0x0
	v_pk_mul_f32 v[18:19], v[6:7], v[38:39]
	v_dual_fmac_f32 v14, v7, v15 :: v_dual_fmac_f32 v23, v8, v20
	v_add_f32_e32 v52, v52, v22
	v_mul_f32_e32 v22, v6, v2
	s_delay_alu instid0(VALU_DEP_3) | instskip(NEXT) | instid1(VALU_DEP_4)
	v_dual_add_f32 v6, v19, v18 :: v_dual_fmac_f32 v14, v8, v16
	v_dual_fmac_f32 v23, v9, v21 :: v_dual_add_f32 v51, v51, v34
	s_delay_alu instid0(VALU_DEP_3) | instskip(SKIP_2) | instid1(VALU_DEP_3)
	v_fmac_f32_e32 v22, v7, v3
	v_pk_mul_f32 v[2:3], v[8:9], v[40:41]
	v_fmac_f32_e32 v10, v7, v11
	v_dual_add_f32 v55, v55, v23 :: v_dual_fmac_f32 v22, v8, v4
	s_delay_alu instid0(VALU_DEP_2) | instskip(NEXT) | instid1(VALU_DEP_2)
	v_dual_add_f32 v2, v2, v6 :: v_dual_fmac_f32 v10, v8, v12
	v_fmac_f32_e32 v22, v9, v5
	s_delay_alu instid0(VALU_DEP_2) | instskip(NEXT) | instid1(VALU_DEP_2)
	v_dual_fmac_f32 v14, v9, v17 :: v_dual_add_f32 v2, v3, v2
	v_dual_add_f32 v56, v56, v22 :: v_dual_fmac_f32 v10, v9, v13
	s_delay_alu instid0(VALU_DEP_2) | instskip(NEXT) | instid1(VALU_DEP_3)
	v_add_f32_e32 v54, v54, v14
	v_add_f32_e32 v49, v49, v2
	s_delay_alu instid0(VALU_DEP_3)
	v_add_f32_e32 v57, v57, v10
.LBB20_48:                              ;   in Loop: Header=BB20_49 Depth=1
	s_or_b32 exec_lo, exec_lo, s18
	v_dual_add_nc_u32 v68, 4, v68 :: v_dual_add_nc_u32 v46, 64, v46
	v_add_nc_u64_e32 v[60:61], 16, v[60:61]
	v_add_nc_u32_e32 v67, 0x100, v67
	s_delay_alu instid0(VALU_DEP_3) | instskip(SKIP_1) | instid1(SALU_CYCLE_1)
	v_cmp_le_i32_e32 vcc_lo, s34, v68
	s_or_b32 s15, vcc_lo, s15
	s_and_not1_b32 exec_lo, exec_lo, s15
	s_cbranch_execz .LBB20_70
.LBB20_49:                              ; =>This Inner Loop Header: Depth=1
	v_mul_u64_e32 v[2:3], s[16:17], v[46:47]
	s_delay_alu instid0(VALU_DEP_1) | instskip(NEXT) | instid1(VALU_DEP_1)
	v_mul_lo_u32 v2, v3, s12
	v_dual_add_nc_u32 v4, 1, v3 :: v_dual_sub_nc_u32 v2, v46, v2
	s_delay_alu instid0(VALU_DEP_1) | instskip(SKIP_1) | instid1(VALU_DEP_2)
	v_subrev_nc_u32_e32 v5, s12, v2
	v_cmp_le_u32_e32 vcc_lo, s12, v2
	v_dual_cndmask_b32 v3, v3, v4 :: v_dual_cndmask_b32 v2, v2, v5
	s_delay_alu instid0(VALU_DEP_1) | instskip(NEXT) | instid1(VALU_DEP_2)
	v_add_nc_u32_e32 v4, 1, v3
	v_cmp_le_u32_e32 vcc_lo, s12, v2
	s_delay_alu instid0(VALU_DEP_2) | instskip(NEXT) | instid1(VALU_DEP_1)
	v_cndmask_b32_e32 v2, v3, v4, vcc_lo
	v_dual_mov_b32 v3, v47 :: v_dual_bitop2_b32 v2, s11, v2 bitop3:0x14
	s_delay_alu instid0(VALU_DEP_1) | instskip(NEXT) | instid1(VALU_DEP_1)
	v_subrev_nc_u32_e32 v6, s11, v2
	v_add_nc_u32_e32 v7, s33, v6
	v_cmp_lt_i32_e64 s0, s24, v6
	s_delay_alu instid0(VALU_DEP_2) | instskip(NEXT) | instid1(VALU_DEP_1)
	v_sub_nc_u32_e32 v2, 0, v7
	v_max_i32_e32 v2, v7, v2
	s_delay_alu instid0(VALU_DEP_1) | instskip(SKIP_1) | instid1(VALU_DEP_2)
	v_mul_u64_e32 v[4:5], s[8:9], v[2:3]
	v_ashrrev_i32_e32 v4, 31, v7
	v_mul_lo_u32 v3, v5, s10
	s_delay_alu instid0(VALU_DEP_1) | instskip(NEXT) | instid1(VALU_DEP_1)
	v_sub_nc_u32_e32 v2, v2, v3
	v_subrev_nc_u32_e32 v3, s10, v2
	v_cmp_le_u32_e32 vcc_lo, s10, v2
	s_delay_alu instid0(VALU_DEP_2) | instskip(NEXT) | instid1(VALU_DEP_1)
	v_cndmask_b32_e32 v2, v2, v3, vcc_lo
	v_subrev_nc_u32_e32 v3, s10, v2
	v_cmp_le_u32_e32 vcc_lo, s10, v2
	s_delay_alu instid0(VALU_DEP_2) | instskip(NEXT) | instid1(VALU_DEP_1)
	v_cndmask_b32_e32 v2, v2, v3, vcc_lo
	v_xor_b32_e32 v2, v2, v4
	s_delay_alu instid0(VALU_DEP_1) | instskip(NEXT) | instid1(VALU_DEP_1)
	v_sub_nc_u32_e32 v2, v2, v4
	v_cmp_eq_u32_e32 vcc_lo, 0, v2
	s_or_b32 s0, vcc_lo, s0
	s_delay_alu instid0(SALU_CYCLE_1)
	s_and_saveexec_b32 s18, s0
	s_cbranch_execz .LBB20_48
; %bb.50:                               ;   in Loop: Header=BB20_49 Depth=1
	global_load_b32 v2, v[60:61], off
	v_add_nc_u32_e32 v69, v66, v46
	ds_load_b128 v[6:9], v67
	v_cmp_eq_u32_e32 vcc_lo, s13, v68
	v_or_b32_e32 v71, 3, v69
	v_dual_add_nc_u32 v72, 1, v69 :: v_dual_bitop2_b32 v70, 2, v69 bitop3:0x54
	s_wait_loadcnt 0x0
	v_ashrrev_i32_e32 v3, 31, v2
	s_delay_alu instid0(VALU_DEP_1) | instskip(NEXT) | instid1(VALU_DEP_1)
	v_mul_u64_e32 v[2:3], s[2:3], v[2:3]
	v_lshl_add_u64 v[38:39], v[2:3], 2, v[58:59]
	global_load_b128 v[2:5], v[38:39], off
	s_wait_xcnt 0x0
	s_and_saveexec_b32 s19, vcc_lo
	s_cbranch_execnz .LBB20_60
; %bb.51:                               ;   in Loop: Header=BB20_49 Depth=1
	s_or_b32 exec_lo, exec_lo, s19
	global_load_b128 v[10:13], v[38:39], off offset:512
	s_wait_xcnt 0x0
	s_and_saveexec_b32 s19, vcc_lo
	s_cbranch_execnz .LBB20_61
.LBB20_52:                              ;   in Loop: Header=BB20_49 Depth=1
	s_or_b32 exec_lo, exec_lo, s19
	global_load_b128 v[14:17], v[38:39], off offset:1024
	s_wait_xcnt 0x0
	s_and_saveexec_b32 s19, vcc_lo
	s_cbranch_execnz .LBB20_62
.LBB20_53:                              ;   in Loop: Header=BB20_49 Depth=1
	s_or_b32 exec_lo, exec_lo, s19
	global_load_b128 v[18:21], v[38:39], off offset:1536
	s_wait_xcnt 0x0
	s_and_saveexec_b32 s19, vcc_lo
	s_cbranch_execnz .LBB20_63
.LBB20_54:                              ;   in Loop: Header=BB20_49 Depth=1
	s_or_b32 exec_lo, exec_lo, s19
	global_load_b128 v[22:25], v[38:39], off offset:2048
	s_wait_xcnt 0x0
	s_and_saveexec_b32 s19, vcc_lo
	s_cbranch_execnz .LBB20_64
.LBB20_55:                              ;   in Loop: Header=BB20_49 Depth=1
	s_or_b32 exec_lo, exec_lo, s19
	global_load_b128 v[26:29], v[38:39], off offset:2560
	s_wait_xcnt 0x0
	s_and_saveexec_b32 s19, vcc_lo
	s_cbranch_execnz .LBB20_65
.LBB20_56:                              ;   in Loop: Header=BB20_49 Depth=1
	s_or_b32 exec_lo, exec_lo, s19
	global_load_b128 v[30:33], v[38:39], off offset:3072
	s_wait_xcnt 0x0
	s_and_saveexec_b32 s19, vcc_lo
	s_cbranch_execnz .LBB20_66
.LBB20_57:                              ;   in Loop: Header=BB20_49 Depth=1
	s_or_b32 exec_lo, exec_lo, s19
	global_load_b128 v[34:37], v[38:39], off offset:3584
	s_wait_xcnt 0x0
	s_and_saveexec_b32 s19, vcc_lo
	s_cbranch_execnz .LBB20_67
.LBB20_58:                              ;   in Loop: Header=BB20_49 Depth=1
	s_or_b32 exec_lo, exec_lo, s19
	global_load_b128 v[42:45], v[38:39], off offset:4096
	s_wait_xcnt 0x0
	s_and_saveexec_b32 s19, vcc_lo
	s_cbranch_execnz .LBB20_68
.LBB20_59:                              ;   in Loop: Header=BB20_49 Depth=1
	s_or_b32 exec_lo, exec_lo, s19
	global_load_b128 v[38:41], v[38:39], off offset:4608
	s_wait_xcnt 0x0
	s_and_saveexec_b32 s0, vcc_lo
	s_cbranch_execz .LBB20_47
	s_branch .LBB20_69
.LBB20_60:                              ;   in Loop: Header=BB20_49 Depth=1
	v_cmp_gt_i32_e64 s0, s14, v72
	s_wait_loadcnt 0x0
	s_delay_alu instid0(VALU_DEP_1) | instskip(SKIP_1) | instid1(VALU_DEP_1)
	v_cndmask_b32_e64 v3, 0, v3, s0
	v_cmp_gt_i32_e64 s0, s31, v69
	v_cndmask_b32_e64 v2, 0, v2, s0
	v_cmp_gt_i32_e64 s0, s14, v71
	s_delay_alu instid0(VALU_DEP_1) | instskip(SKIP_1) | instid1(VALU_DEP_1)
	v_cndmask_b32_e64 v5, 0, v5, s0
	v_cmp_gt_i32_e64 s0, s31, v70
	v_cndmask_b32_e64 v4, 0, v4, s0
	s_or_b32 exec_lo, exec_lo, s19
	global_load_b128 v[10:13], v[38:39], off offset:512
	s_wait_xcnt 0x0
	s_and_saveexec_b32 s19, vcc_lo
	s_cbranch_execz .LBB20_52
.LBB20_61:                              ;   in Loop: Header=BB20_49 Depth=1
	v_cmp_gt_i32_e64 s0, s14, v72
	s_wait_loadcnt 0x0
	s_delay_alu instid0(VALU_DEP_1) | instskip(SKIP_1) | instid1(VALU_DEP_1)
	v_cndmask_b32_e64 v11, 0, v11, s0
	v_cmp_gt_i32_e64 s0, s31, v69
	v_cndmask_b32_e64 v10, 0, v10, s0
	v_cmp_gt_i32_e64 s0, s14, v71
	s_delay_alu instid0(VALU_DEP_1) | instskip(SKIP_1) | instid1(VALU_DEP_1)
	v_cndmask_b32_e64 v13, 0, v13, s0
	v_cmp_gt_i32_e64 s0, s31, v70
	v_cndmask_b32_e64 v12, 0, v12, s0
	s_or_b32 exec_lo, exec_lo, s19
	global_load_b128 v[14:17], v[38:39], off offset:1024
	s_wait_xcnt 0x0
	s_and_saveexec_b32 s19, vcc_lo
	s_cbranch_execz .LBB20_53
.LBB20_62:                              ;   in Loop: Header=BB20_49 Depth=1
	v_cmp_gt_i32_e64 s0, s14, v72
	s_wait_loadcnt 0x0
	s_delay_alu instid0(VALU_DEP_1) | instskip(SKIP_1) | instid1(VALU_DEP_1)
	v_cndmask_b32_e64 v15, 0, v15, s0
	v_cmp_gt_i32_e64 s0, s31, v69
	v_cndmask_b32_e64 v14, 0, v14, s0
	v_cmp_gt_i32_e64 s0, s14, v71
	s_delay_alu instid0(VALU_DEP_1) | instskip(SKIP_1) | instid1(VALU_DEP_1)
	v_cndmask_b32_e64 v17, 0, v17, s0
	v_cmp_gt_i32_e64 s0, s31, v70
	v_cndmask_b32_e64 v16, 0, v16, s0
	s_or_b32 exec_lo, exec_lo, s19
	global_load_b128 v[18:21], v[38:39], off offset:1536
	s_wait_xcnt 0x0
	s_and_saveexec_b32 s19, vcc_lo
	s_cbranch_execz .LBB20_54
.LBB20_63:                              ;   in Loop: Header=BB20_49 Depth=1
	v_cmp_gt_i32_e64 s0, s14, v72
	s_wait_loadcnt 0x0
	s_delay_alu instid0(VALU_DEP_1) | instskip(SKIP_1) | instid1(VALU_DEP_1)
	v_cndmask_b32_e64 v19, 0, v19, s0
	v_cmp_gt_i32_e64 s0, s31, v69
	v_cndmask_b32_e64 v18, 0, v18, s0
	v_cmp_gt_i32_e64 s0, s14, v71
	s_delay_alu instid0(VALU_DEP_1) | instskip(SKIP_1) | instid1(VALU_DEP_1)
	v_cndmask_b32_e64 v21, 0, v21, s0
	v_cmp_gt_i32_e64 s0, s31, v70
	v_cndmask_b32_e64 v20, 0, v20, s0
	s_or_b32 exec_lo, exec_lo, s19
	global_load_b128 v[22:25], v[38:39], off offset:2048
	s_wait_xcnt 0x0
	s_and_saveexec_b32 s19, vcc_lo
	s_cbranch_execz .LBB20_55
.LBB20_64:                              ;   in Loop: Header=BB20_49 Depth=1
	v_cmp_gt_i32_e64 s0, s14, v72
	s_wait_loadcnt 0x0
	s_delay_alu instid0(VALU_DEP_1) | instskip(SKIP_1) | instid1(VALU_DEP_1)
	v_cndmask_b32_e64 v23, 0, v23, s0
	v_cmp_gt_i32_e64 s0, s31, v69
	v_cndmask_b32_e64 v22, 0, v22, s0
	v_cmp_gt_i32_e64 s0, s14, v71
	s_delay_alu instid0(VALU_DEP_1) | instskip(SKIP_1) | instid1(VALU_DEP_1)
	v_cndmask_b32_e64 v25, 0, v25, s0
	v_cmp_gt_i32_e64 s0, s31, v70
	v_cndmask_b32_e64 v24, 0, v24, s0
	s_or_b32 exec_lo, exec_lo, s19
	global_load_b128 v[26:29], v[38:39], off offset:2560
	s_wait_xcnt 0x0
	s_and_saveexec_b32 s19, vcc_lo
	s_cbranch_execz .LBB20_56
.LBB20_65:                              ;   in Loop: Header=BB20_49 Depth=1
	v_cmp_gt_i32_e64 s0, s14, v72
	s_wait_loadcnt 0x0
	s_delay_alu instid0(VALU_DEP_1) | instskip(SKIP_1) | instid1(VALU_DEP_1)
	v_cndmask_b32_e64 v27, 0, v27, s0
	v_cmp_gt_i32_e64 s0, s31, v69
	v_cndmask_b32_e64 v26, 0, v26, s0
	v_cmp_gt_i32_e64 s0, s14, v71
	s_delay_alu instid0(VALU_DEP_1) | instskip(SKIP_1) | instid1(VALU_DEP_1)
	v_cndmask_b32_e64 v29, 0, v29, s0
	v_cmp_gt_i32_e64 s0, s31, v70
	v_cndmask_b32_e64 v28, 0, v28, s0
	s_or_b32 exec_lo, exec_lo, s19
	global_load_b128 v[30:33], v[38:39], off offset:3072
	s_wait_xcnt 0x0
	s_and_saveexec_b32 s19, vcc_lo
	s_cbranch_execz .LBB20_57
.LBB20_66:                              ;   in Loop: Header=BB20_49 Depth=1
	v_cmp_gt_i32_e64 s0, s14, v72
	s_wait_loadcnt 0x0
	s_delay_alu instid0(VALU_DEP_1) | instskip(SKIP_1) | instid1(VALU_DEP_1)
	v_cndmask_b32_e64 v31, 0, v31, s0
	v_cmp_gt_i32_e64 s0, s31, v69
	v_cndmask_b32_e64 v30, 0, v30, s0
	v_cmp_gt_i32_e64 s0, s14, v71
	s_delay_alu instid0(VALU_DEP_1) | instskip(SKIP_1) | instid1(VALU_DEP_1)
	v_cndmask_b32_e64 v33, 0, v33, s0
	v_cmp_gt_i32_e64 s0, s31, v70
	v_cndmask_b32_e64 v32, 0, v32, s0
	s_or_b32 exec_lo, exec_lo, s19
	global_load_b128 v[34:37], v[38:39], off offset:3584
	s_wait_xcnt 0x0
	s_and_saveexec_b32 s19, vcc_lo
	s_cbranch_execz .LBB20_58
.LBB20_67:                              ;   in Loop: Header=BB20_49 Depth=1
	v_cmp_gt_i32_e64 s0, s14, v72
	s_wait_loadcnt 0x0
	s_delay_alu instid0(VALU_DEP_1) | instskip(SKIP_1) | instid1(VALU_DEP_1)
	v_cndmask_b32_e64 v35, 0, v35, s0
	v_cmp_gt_i32_e64 s0, s31, v69
	v_cndmask_b32_e64 v34, 0, v34, s0
	v_cmp_gt_i32_e64 s0, s14, v71
	s_delay_alu instid0(VALU_DEP_1) | instskip(SKIP_1) | instid1(VALU_DEP_1)
	v_cndmask_b32_e64 v37, 0, v37, s0
	v_cmp_gt_i32_e64 s0, s31, v70
	v_cndmask_b32_e64 v36, 0, v36, s0
	s_or_b32 exec_lo, exec_lo, s19
	global_load_b128 v[42:45], v[38:39], off offset:4096
	s_wait_xcnt 0x0
	s_and_saveexec_b32 s19, vcc_lo
	s_cbranch_execz .LBB20_59
.LBB20_68:                              ;   in Loop: Header=BB20_49 Depth=1
	v_cmp_gt_i32_e64 s0, s14, v72
	s_wait_loadcnt 0x0
	s_delay_alu instid0(VALU_DEP_1) | instskip(SKIP_1) | instid1(VALU_DEP_1)
	v_cndmask_b32_e64 v43, 0, v43, s0
	v_cmp_gt_i32_e64 s0, s31, v69
	v_cndmask_b32_e64 v42, 0, v42, s0
	v_cmp_gt_i32_e64 s0, s14, v71
	s_delay_alu instid0(VALU_DEP_1) | instskip(SKIP_1) | instid1(VALU_DEP_1)
	v_cndmask_b32_e64 v45, 0, v45, s0
	v_cmp_gt_i32_e64 s0, s31, v70
	v_cndmask_b32_e64 v44, 0, v44, s0
	s_or_b32 exec_lo, exec_lo, s19
	global_load_b128 v[38:41], v[38:39], off offset:4608
	s_wait_xcnt 0x0
	s_and_saveexec_b32 s0, vcc_lo
	s_cbranch_execz .LBB20_47
.LBB20_69:                              ;   in Loop: Header=BB20_49 Depth=1
	v_cmp_gt_i32_e32 vcc_lo, s14, v72
	s_wait_loadcnt 0x0
	v_cndmask_b32_e32 v39, 0, v39, vcc_lo
	v_cmp_gt_i32_e32 vcc_lo, s31, v69
	v_cndmask_b32_e32 v38, 0, v38, vcc_lo
	v_cmp_gt_i32_e32 vcc_lo, s14, v71
	;; [unrolled: 2-line block ×3, first 2 shown]
	v_cndmask_b32_e32 v40, 0, v40, vcc_lo
	s_branch .LBB20_47
.LBB20_70:
	s_or_b32 exec_lo, exec_lo, s15
.LBB20_71:
	s_delay_alu instid0(SALU_CYCLE_1)
	s_or_b32 exec_lo, exec_lo, s1
	ds_bpermute_b32 v2, v63, v56
	ds_bpermute_b32 v3, v63, v57
	;; [unrolled: 1-line block ×10, first 2 shown]
	v_and_b32_e32 v15, 0x3c3, v0
	s_mov_b32 s0, exec_lo
	v_and_b32_e32 v14, 28, v62
	s_wait_dscnt 0x0
	s_barrier_signal -1
	s_barrier_wait -1
	v_pk_add_f32 v[2:3], v[56:57], v[2:3]
	v_pk_add_f32 v[4:5], v[54:55], v[4:5]
	;; [unrolled: 1-line block ×3, first 2 shown]
	ds_bpermute_b32 v6, v64, v2
	v_pk_add_f32 v[18:19], v[50:51], v[8:9]
	ds_bpermute_b32 v7, v64, v3
	v_pk_add_f32 v[10:11], v[48:49], v[10:11]
	ds_bpermute_b32 v20, v64, v4
	ds_bpermute_b32 v21, v64, v5
	;; [unrolled: 1-line block ×8, first 2 shown]
	s_wait_dscnt 0x8
	v_pk_add_f32 v[8:9], v[2:3], v[6:7]
	s_wait_dscnt 0x6
	v_pk_add_f32 v[6:7], v[4:5], v[20:21]
	;; [unrolled: 2-line block ×4, first 2 shown]
	v_cmpx_ne_u32_e32 64, v15
	s_xor_b32 s0, exec_lo, s0
	s_delay_alu instid0(SALU_CYCLE_1)
	s_or_saveexec_b32 s0, s0
	s_wait_dscnt 0x0
	v_pk_add_f32 v[10:11], v[10:11], v[12:13]
	v_lshrrev_b32_e32 v13, 2, v62
	v_add_nc_u32_e32 v12, 0x160, v14
	v_mul_u32_u24_e32 v1, 0x140, v1
	s_xor_b32 exec_lo, exec_lo, s0
	s_cbranch_execz .LBB20_73
; %bb.72:
	s_delay_alu instid0(VALU_DEP_1) | instskip(NEXT) | instid1(VALU_DEP_1)
	v_add_nc_u32_e32 v14, v12, v1
	v_add_nc_u32_e32 v15, 0xfffffd80, v14
	;; [unrolled: 1-line block ×11, first 2 shown]
	ds_store_b32 v15, v8
	ds_store_b32 v16, v9
	;; [unrolled: 1-line block ×10, first 2 shown]
.LBB20_73:
	s_or_b32 exec_lo, exec_lo, s0
	v_lshlrev_b32_e32 v13, 2, v13
	s_mov_b32 s1, exec_lo
	v_cmp_eq_u32_e32 vcc_lo, 0, v65
	s_wait_dscnt 0x0
	s_barrier_signal -1
	v_add3_u32 v1, 0x160, v1, v13
	s_barrier_wait -1
	v_cmpx_gt_u32_e32 64, v0
	s_cbranch_execz .LBB20_86
; %bb.74:
	s_and_saveexec_b32 s0, vcc_lo
	s_cbranch_execnz .LBB20_104
; %bb.75:
	s_or_b32 exec_lo, exec_lo, s0
	s_and_saveexec_b32 s0, vcc_lo
	s_cbranch_execnz .LBB20_105
.LBB20_76:
	s_or_b32 exec_lo, exec_lo, s0
	s_and_saveexec_b32 s0, vcc_lo
	s_cbranch_execnz .LBB20_106
.LBB20_77:
	s_or_b32 exec_lo, exec_lo, s0
	s_and_saveexec_b32 s0, vcc_lo
	s_cbranch_execnz .LBB20_107
.LBB20_78:
	s_or_b32 exec_lo, exec_lo, s0
	s_and_saveexec_b32 s0, vcc_lo
	s_cbranch_execnz .LBB20_108
.LBB20_79:
	s_or_b32 exec_lo, exec_lo, s0
	s_and_saveexec_b32 s0, vcc_lo
	s_cbranch_execnz .LBB20_109
.LBB20_80:
	s_or_b32 exec_lo, exec_lo, s0
	s_and_saveexec_b32 s0, vcc_lo
	s_cbranch_execnz .LBB20_110
.LBB20_81:
	s_or_b32 exec_lo, exec_lo, s0
	s_and_saveexec_b32 s0, vcc_lo
	s_cbranch_execnz .LBB20_111
.LBB20_82:
	s_or_b32 exec_lo, exec_lo, s0
	s_and_saveexec_b32 s0, vcc_lo
	s_cbranch_execnz .LBB20_112
.LBB20_83:
	s_or_b32 exec_lo, exec_lo, s0
	s_and_saveexec_b32 s0, vcc_lo
	s_cbranch_execz .LBB20_85
.LBB20_84:
	ds_load_b32 v13, v1 offset:288
	s_wait_dscnt 0x0
	v_add_f32_e32 v11, v11, v13
.LBB20_85:
	s_or_b32 exec_lo, exec_lo, s0
.LBB20_86:
	s_delay_alu instid0(SALU_CYCLE_1) | instskip(SKIP_4) | instid1(VALU_DEP_1)
	s_or_b32 exec_lo, exec_lo, s1
	v_and_b32_e32 v13, 0x3e3, v0
	s_mov_b32 s1, exec_lo
	s_barrier_signal -1
	s_barrier_wait -1
	v_cmpx_eq_u32_e32 32, v13
	s_cbranch_execz .LBB20_88
; %bb.87:
	ds_store_2addr_b32 v12, v8, v9 offset1:8
	ds_store_2addr_b32 v12, v6, v7 offset0:16 offset1:24
	ds_store_2addr_b32 v12, v4, v5 offset0:32 offset1:40
	;; [unrolled: 1-line block ×4, first 2 shown]
.LBB20_88:
	s_or_b32 exec_lo, exec_lo, s1
	s_delay_alu instid0(SALU_CYCLE_1)
	s_mov_b32 s1, exec_lo
	s_wait_dscnt 0x0
	s_barrier_signal -1
	s_barrier_wait -1
	v_cmpx_gt_u32_e32 32, v0
	s_cbranch_execz .LBB20_101
; %bb.89:
	s_and_saveexec_b32 s0, vcc_lo
	s_cbranch_execnz .LBB20_113
; %bb.90:
	s_or_b32 exec_lo, exec_lo, s0
	s_and_saveexec_b32 s0, vcc_lo
	s_cbranch_execnz .LBB20_114
.LBB20_91:
	s_or_b32 exec_lo, exec_lo, s0
	s_and_saveexec_b32 s0, vcc_lo
	s_cbranch_execnz .LBB20_115
.LBB20_92:
	s_or_b32 exec_lo, exec_lo, s0
	s_and_saveexec_b32 s0, vcc_lo
	s_cbranch_execnz .LBB20_116
.LBB20_93:
	s_or_b32 exec_lo, exec_lo, s0
	s_and_saveexec_b32 s0, vcc_lo
	s_cbranch_execnz .LBB20_117
.LBB20_94:
	s_or_b32 exec_lo, exec_lo, s0
	s_and_saveexec_b32 s0, vcc_lo
	s_cbranch_execnz .LBB20_118
.LBB20_95:
	s_or_b32 exec_lo, exec_lo, s0
	s_and_saveexec_b32 s0, vcc_lo
	s_cbranch_execnz .LBB20_119
.LBB20_96:
	s_or_b32 exec_lo, exec_lo, s0
	s_and_saveexec_b32 s0, vcc_lo
	s_cbranch_execnz .LBB20_120
.LBB20_97:
	s_or_b32 exec_lo, exec_lo, s0
	s_and_saveexec_b32 s0, vcc_lo
	s_cbranch_execnz .LBB20_121
.LBB20_98:
	s_or_b32 exec_lo, exec_lo, s0
	s_and_saveexec_b32 s0, vcc_lo
	s_cbranch_execz .LBB20_100
.LBB20_99:
	ds_load_b32 v1, v1 offset:288
	s_wait_dscnt 0x0
	v_add_f32_e32 v11, v11, v1
.LBB20_100:
	s_or_b32 exec_lo, exec_lo, s0
.LBB20_101:
	s_delay_alu instid0(SALU_CYCLE_1)
	s_or_b32 exec_lo, exec_lo, s1
	s_mov_b32 s1, 0
	s_barrier_signal -1
	s_barrier_wait -1
	s_mov_b32 s0, exec_lo
	v_cmpx_eq_u32_e32 0, v13
	s_cbranch_execz .LBB20_103
; %bb.102:
	s_mul_i32 s0, s30, s7
	s_mul_i32 s2, s7, s6
	;; [unrolled: 1-line block ×3, first 2 shown]
	s_lshr_b32 s8, ttmp7, 16
	s_mul_i32 s6, s0, 0x50
	s_bfe_u32 s0, ttmp6, 0x40014
	s_ashr_i32 s7, s6, 31
	s_add_co_i32 s0, s0, 1
	s_ashr_i32 s3, s2, 31
	s_mul_i32 s0, s8, s0
	s_bfe_u32 s9, ttmp6, 0x40008
	s_lshl_b64 s[6:7], s[6:7], 2
	s_lshl_b64 s[2:3], s[2:3], 2
	s_add_co_i32 s9, s9, s0
	s_cmp_eq_u32 s28, 0
	s_wait_kmcnt 0x0
	s_add_nc_u64 s[4:5], s[4:5], s[6:7]
	s_cselect_b32 s0, s8, s9
	s_add_nc_u64 s[2:3], s[4:5], s[2:3]
	s_mulk_i32 s0, 0x140
	s_delay_alu instid0(SALU_CYCLE_1)
	s_add_nc_u64 s[0:1], s[2:3], s[0:1]
	s_clause 0x9
	global_store_b32 v0, v8, s[0:1]
	global_store_b32 v0, v9, s[0:1] offset:32
	global_store_b32 v0, v6, s[0:1] offset:64
	;; [unrolled: 1-line block ×9, first 2 shown]
.LBB20_103:
	s_sendmsg sendmsg(MSG_DEALLOC_VGPRS)
	s_endpgm
.LBB20_104:
	ds_load_b32 v13, v1
	s_wait_dscnt 0x0
	v_add_f32_e32 v8, v8, v13
	s_or_b32 exec_lo, exec_lo, s0
	s_and_saveexec_b32 s0, vcc_lo
	s_cbranch_execz .LBB20_76
.LBB20_105:
	ds_load_b32 v13, v1 offset:32
	s_wait_dscnt 0x0
	v_add_f32_e32 v9, v9, v13
	s_or_b32 exec_lo, exec_lo, s0
	s_and_saveexec_b32 s0, vcc_lo
	s_cbranch_execz .LBB20_77
.LBB20_106:
	ds_load_b32 v13, v1 offset:64
	s_wait_dscnt 0x0
	v_add_f32_e32 v6, v6, v13
	s_or_b32 exec_lo, exec_lo, s0
	s_and_saveexec_b32 s0, vcc_lo
	s_cbranch_execz .LBB20_78
.LBB20_107:
	ds_load_b32 v13, v1 offset:96
	s_wait_dscnt 0x0
	v_add_f32_e32 v7, v7, v13
	s_or_b32 exec_lo, exec_lo, s0
	s_and_saveexec_b32 s0, vcc_lo
	s_cbranch_execz .LBB20_79
.LBB20_108:
	ds_load_b32 v13, v1 offset:128
	s_wait_dscnt 0x0
	v_add_f32_e32 v4, v4, v13
	s_or_b32 exec_lo, exec_lo, s0
	s_and_saveexec_b32 s0, vcc_lo
	s_cbranch_execz .LBB20_80
.LBB20_109:
	ds_load_b32 v13, v1 offset:160
	s_wait_dscnt 0x0
	v_add_f32_e32 v5, v5, v13
	s_or_b32 exec_lo, exec_lo, s0
	s_and_saveexec_b32 s0, vcc_lo
	s_cbranch_execz .LBB20_81
.LBB20_110:
	ds_load_b32 v13, v1 offset:192
	s_wait_dscnt 0x0
	v_add_f32_e32 v2, v2, v13
	s_or_b32 exec_lo, exec_lo, s0
	s_and_saveexec_b32 s0, vcc_lo
	s_cbranch_execz .LBB20_82
.LBB20_111:
	ds_load_b32 v13, v1 offset:224
	s_wait_dscnt 0x0
	v_add_f32_e32 v3, v3, v13
	s_or_b32 exec_lo, exec_lo, s0
	s_and_saveexec_b32 s0, vcc_lo
	s_cbranch_execz .LBB20_83
.LBB20_112:
	ds_load_b32 v13, v1 offset:256
	s_wait_dscnt 0x0
	v_add_f32_e32 v10, v10, v13
	s_or_b32 exec_lo, exec_lo, s0
	s_and_saveexec_b32 s0, vcc_lo
	s_cbranch_execnz .LBB20_84
	s_branch .LBB20_85
.LBB20_113:
	ds_load_b32 v12, v1
	s_wait_dscnt 0x0
	v_add_f32_e32 v8, v8, v12
	s_or_b32 exec_lo, exec_lo, s0
	s_and_saveexec_b32 s0, vcc_lo
	s_cbranch_execz .LBB20_91
.LBB20_114:
	ds_load_b32 v12, v1 offset:32
	s_wait_dscnt 0x0
	v_add_f32_e32 v9, v9, v12
	s_or_b32 exec_lo, exec_lo, s0
	s_and_saveexec_b32 s0, vcc_lo
	s_cbranch_execz .LBB20_92
.LBB20_115:
	ds_load_b32 v12, v1 offset:64
	s_wait_dscnt 0x0
	v_add_f32_e32 v6, v6, v12
	s_or_b32 exec_lo, exec_lo, s0
	s_and_saveexec_b32 s0, vcc_lo
	s_cbranch_execz .LBB20_93
.LBB20_116:
	ds_load_b32 v12, v1 offset:96
	s_wait_dscnt 0x0
	v_add_f32_e32 v7, v7, v12
	s_or_b32 exec_lo, exec_lo, s0
	s_and_saveexec_b32 s0, vcc_lo
	s_cbranch_execz .LBB20_94
.LBB20_117:
	ds_load_b32 v12, v1 offset:128
	s_wait_dscnt 0x0
	v_add_f32_e32 v4, v4, v12
	s_or_b32 exec_lo, exec_lo, s0
	s_and_saveexec_b32 s0, vcc_lo
	s_cbranch_execz .LBB20_95
.LBB20_118:
	ds_load_b32 v12, v1 offset:160
	s_wait_dscnt 0x0
	v_add_f32_e32 v5, v5, v12
	s_or_b32 exec_lo, exec_lo, s0
	s_and_saveexec_b32 s0, vcc_lo
	s_cbranch_execz .LBB20_96
.LBB20_119:
	ds_load_b32 v12, v1 offset:192
	s_wait_dscnt 0x0
	v_add_f32_e32 v2, v2, v12
	s_or_b32 exec_lo, exec_lo, s0
	s_and_saveexec_b32 s0, vcc_lo
	s_cbranch_execz .LBB20_97
.LBB20_120:
	ds_load_b32 v12, v1 offset:224
	s_wait_dscnt 0x0
	v_add_f32_e32 v3, v3, v12
	s_or_b32 exec_lo, exec_lo, s0
	s_and_saveexec_b32 s0, vcc_lo
	s_cbranch_execz .LBB20_98
.LBB20_121:
	ds_load_b32 v12, v1 offset:256
	s_wait_dscnt 0x0
	v_add_f32_e32 v10, v10, v12
	s_or_b32 exec_lo, exec_lo, s0
	s_and_saveexec_b32 s0, vcc_lo
	s_cbranch_execnz .LBB20_99
	s_branch .LBB20_100
	.section	.rodata,"a",@progbits
	.p2align	6, 0x0
	.amdhsa_kernel _ZN4vllm25paged_attention_v1_kernelIffLi80ELi16ELi128ELNS_18Fp8KVCacheDataTypeE0ELb1EEEvPT_PKS2_PKT0_S8_ifPKiSA_iPKfiiiSC_SC_iiiii
		.amdhsa_group_segment_fixed_size 352
		.amdhsa_private_segment_fixed_size 0
		.amdhsa_kernarg_size 384
		.amdhsa_user_sgpr_count 2
		.amdhsa_user_sgpr_dispatch_ptr 0
		.amdhsa_user_sgpr_queue_ptr 0
		.amdhsa_user_sgpr_kernarg_segment_ptr 1
		.amdhsa_user_sgpr_dispatch_id 0
		.amdhsa_user_sgpr_kernarg_preload_length 0
		.amdhsa_user_sgpr_kernarg_preload_offset 0
		.amdhsa_user_sgpr_private_segment_size 0
		.amdhsa_wavefront_size32 1
		.amdhsa_uses_dynamic_stack 0
		.amdhsa_enable_private_segment 0
		.amdhsa_system_sgpr_workgroup_id_x 1
		.amdhsa_system_sgpr_workgroup_id_y 1
		.amdhsa_system_sgpr_workgroup_id_z 1
		.amdhsa_system_sgpr_workgroup_info 0
		.amdhsa_system_vgpr_workitem_id 0
		.amdhsa_next_free_vgpr 74
		.amdhsa_next_free_sgpr 40
		.amdhsa_named_barrier_count 0
		.amdhsa_reserve_vcc 1
		.amdhsa_float_round_mode_32 0
		.amdhsa_float_round_mode_16_64 0
		.amdhsa_float_denorm_mode_32 3
		.amdhsa_float_denorm_mode_16_64 3
		.amdhsa_fp16_overflow 0
		.amdhsa_memory_ordered 1
		.amdhsa_forward_progress 1
		.amdhsa_inst_pref_size 60
		.amdhsa_round_robin_scheduling 0
		.amdhsa_exception_fp_ieee_invalid_op 0
		.amdhsa_exception_fp_denorm_src 0
		.amdhsa_exception_fp_ieee_div_zero 0
		.amdhsa_exception_fp_ieee_overflow 0
		.amdhsa_exception_fp_ieee_underflow 0
		.amdhsa_exception_fp_ieee_inexact 0
		.amdhsa_exception_int_div_zero 0
	.end_amdhsa_kernel
	.section	.text._ZN4vllm25paged_attention_v1_kernelIffLi80ELi16ELi128ELNS_18Fp8KVCacheDataTypeE0ELb1EEEvPT_PKS2_PKT0_S8_ifPKiSA_iPKfiiiSC_SC_iiiii,"axG",@progbits,_ZN4vllm25paged_attention_v1_kernelIffLi80ELi16ELi128ELNS_18Fp8KVCacheDataTypeE0ELb1EEEvPT_PKS2_PKT0_S8_ifPKiSA_iPKfiiiSC_SC_iiiii,comdat
.Lfunc_end20:
	.size	_ZN4vllm25paged_attention_v1_kernelIffLi80ELi16ELi128ELNS_18Fp8KVCacheDataTypeE0ELb1EEEvPT_PKS2_PKT0_S8_ifPKiSA_iPKfiiiSC_SC_iiiii, .Lfunc_end20-_ZN4vllm25paged_attention_v1_kernelIffLi80ELi16ELi128ELNS_18Fp8KVCacheDataTypeE0ELb1EEEvPT_PKS2_PKT0_S8_ifPKiSA_iPKfiiiSC_SC_iiiii
                                        ; -- End function
	.set _ZN4vllm25paged_attention_v1_kernelIffLi80ELi16ELi128ELNS_18Fp8KVCacheDataTypeE0ELb1EEEvPT_PKS2_PKT0_S8_ifPKiSA_iPKfiiiSC_SC_iiiii.num_vgpr, 74
	.set _ZN4vllm25paged_attention_v1_kernelIffLi80ELi16ELi128ELNS_18Fp8KVCacheDataTypeE0ELb1EEEvPT_PKS2_PKT0_S8_ifPKiSA_iPKfiiiSC_SC_iiiii.num_agpr, 0
	.set _ZN4vllm25paged_attention_v1_kernelIffLi80ELi16ELi128ELNS_18Fp8KVCacheDataTypeE0ELb1EEEvPT_PKS2_PKT0_S8_ifPKiSA_iPKfiiiSC_SC_iiiii.numbered_sgpr, 40
	.set _ZN4vllm25paged_attention_v1_kernelIffLi80ELi16ELi128ELNS_18Fp8KVCacheDataTypeE0ELb1EEEvPT_PKS2_PKT0_S8_ifPKiSA_iPKfiiiSC_SC_iiiii.num_named_barrier, 0
	.set _ZN4vllm25paged_attention_v1_kernelIffLi80ELi16ELi128ELNS_18Fp8KVCacheDataTypeE0ELb1EEEvPT_PKS2_PKT0_S8_ifPKiSA_iPKfiiiSC_SC_iiiii.private_seg_size, 0
	.set _ZN4vllm25paged_attention_v1_kernelIffLi80ELi16ELi128ELNS_18Fp8KVCacheDataTypeE0ELb1EEEvPT_PKS2_PKT0_S8_ifPKiSA_iPKfiiiSC_SC_iiiii.uses_vcc, 1
	.set _ZN4vllm25paged_attention_v1_kernelIffLi80ELi16ELi128ELNS_18Fp8KVCacheDataTypeE0ELb1EEEvPT_PKS2_PKT0_S8_ifPKiSA_iPKfiiiSC_SC_iiiii.uses_flat_scratch, 0
	.set _ZN4vllm25paged_attention_v1_kernelIffLi80ELi16ELi128ELNS_18Fp8KVCacheDataTypeE0ELb1EEEvPT_PKS2_PKT0_S8_ifPKiSA_iPKfiiiSC_SC_iiiii.has_dyn_sized_stack, 0
	.set _ZN4vllm25paged_attention_v1_kernelIffLi80ELi16ELi128ELNS_18Fp8KVCacheDataTypeE0ELb1EEEvPT_PKS2_PKT0_S8_ifPKiSA_iPKfiiiSC_SC_iiiii.has_recursion, 0
	.set _ZN4vllm25paged_attention_v1_kernelIffLi80ELi16ELi128ELNS_18Fp8KVCacheDataTypeE0ELb1EEEvPT_PKS2_PKT0_S8_ifPKiSA_iPKfiiiSC_SC_iiiii.has_indirect_call, 0
	.section	.AMDGPU.csdata,"",@progbits
; Kernel info:
; codeLenInByte = 7616
; TotalNumSgprs: 42
; NumVgprs: 74
; ScratchSize: 0
; MemoryBound: 0
; FloatMode: 240
; IeeeMode: 1
; LDSByteSize: 352 bytes/workgroup (compile time only)
; SGPRBlocks: 0
; VGPRBlocks: 4
; NumSGPRsForWavesPerEU: 42
; NumVGPRsForWavesPerEU: 74
; NamedBarCnt: 0
; Occupancy: 12
; WaveLimiterHint : 1
; COMPUTE_PGM_RSRC2:SCRATCH_EN: 0
; COMPUTE_PGM_RSRC2:USER_SGPR: 2
; COMPUTE_PGM_RSRC2:TRAP_HANDLER: 0
; COMPUTE_PGM_RSRC2:TGID_X_EN: 1
; COMPUTE_PGM_RSRC2:TGID_Y_EN: 1
; COMPUTE_PGM_RSRC2:TGID_Z_EN: 1
; COMPUTE_PGM_RSRC2:TIDIG_COMP_CNT: 0
	.section	.text._ZN4vllm25paged_attention_v1_kernelIffLi96ELi16ELi128ELNS_18Fp8KVCacheDataTypeE0ELb1EEEvPT_PKS2_PKT0_S8_ifPKiSA_iPKfiiiSC_SC_iiiii,"axG",@progbits,_ZN4vllm25paged_attention_v1_kernelIffLi96ELi16ELi128ELNS_18Fp8KVCacheDataTypeE0ELb1EEEvPT_PKS2_PKT0_S8_ifPKiSA_iPKfiiiSC_SC_iiiii,comdat
	.protected	_ZN4vllm25paged_attention_v1_kernelIffLi96ELi16ELi128ELNS_18Fp8KVCacheDataTypeE0ELb1EEEvPT_PKS2_PKT0_S8_ifPKiSA_iPKfiiiSC_SC_iiiii ; -- Begin function _ZN4vllm25paged_attention_v1_kernelIffLi96ELi16ELi128ELNS_18Fp8KVCacheDataTypeE0ELb1EEEvPT_PKS2_PKT0_S8_ifPKiSA_iPKfiiiSC_SC_iiiii
	.globl	_ZN4vllm25paged_attention_v1_kernelIffLi96ELi16ELi128ELNS_18Fp8KVCacheDataTypeE0ELb1EEEvPT_PKS2_PKT0_S8_ifPKiSA_iPKfiiiSC_SC_iiiii
	.p2align	8
	.type	_ZN4vllm25paged_attention_v1_kernelIffLi96ELi16ELi128ELNS_18Fp8KVCacheDataTypeE0ELb1EEEvPT_PKS2_PKT0_S8_ifPKiSA_iPKfiiiSC_SC_iiiii,@function
_ZN4vllm25paged_attention_v1_kernelIffLi96ELi16ELi128ELNS_18Fp8KVCacheDataTypeE0ELb1EEEvPT_PKS2_PKT0_S8_ifPKiSA_iPKfiiiSC_SC_iiiii: ; @_ZN4vllm25paged_attention_v1_kernelIffLi96ELi16ELi128ELNS_18Fp8KVCacheDataTypeE0ELb1EEEvPT_PKS2_PKT0_S8_ifPKiSA_iPKfiiiSC_SC_iiiii
; %bb.0:
	s_load_b64 s[22:23], s[0:1], 0x20
	s_bfe_u32 s3, ttmp6, 0x4000c
	s_bfe_u32 s4, ttmp6, 0x40010
	s_and_b32 s6, ttmp7, 0xffff
	s_add_co_i32 s3, s3, 1
	s_add_co_i32 s4, s4, 1
	s_and_b32 s2, ttmp6, 15
	s_bfe_u32 s5, ttmp6, 0x40004
	s_mul_i32 s3, ttmp9, s3
	s_mul_i32 s4, s6, s4
	s_getreg_b32 s28, hwreg(HW_REG_IB_STS2, 6, 4)
	s_add_co_i32 s2, s2, s3
	s_add_co_i32 s3, s5, s4
	s_cmp_eq_u32 s28, 0
	s_clause 0x1
	s_load_b32 s29, s[0:1], 0x80
	s_load_b64 s[4:5], s[0:1], 0x30
	s_cselect_b32 s30, s6, s3
	s_cselect_b32 s2, ttmp9, s2
	s_mov_b32 s17, 0
	s_delay_alu instid0(SALU_CYCLE_1) | instskip(SKIP_2) | instid1(SALU_CYCLE_1)
	s_mov_b32 s36, s17
	s_wait_kmcnt 0x0
	s_abs_i32 s3, s22
	s_cvt_f32_u32 s6, s3
	s_sub_co_i32 s7, 0, s3
	s_delay_alu instid0(SALU_CYCLE_2) | instskip(SKIP_2) | instid1(TRANS32_DEP_1)
	v_rcp_iflag_f32_e32 v1, s6
	s_abs_i32 s8, s29
	v_nop
	v_readfirstlane_b32 s6, v1
	s_mul_f32 s6, s6, 0x4f7ffffe
	s_delay_alu instid0(SALU_CYCLE_3) | instskip(NEXT) | instid1(SALU_CYCLE_3)
	s_cvt_u32_f32 s6, s6
	s_mul_i32 s7, s7, s6
	s_delay_alu instid0(SALU_CYCLE_1) | instskip(NEXT) | instid1(SALU_CYCLE_1)
	s_mul_hi_u32 s7, s6, s7
	s_add_co_i32 s6, s6, s7
	s_xor_b32 s7, s29, s22
	s_mul_hi_u32 s6, s8, s6
	s_ashr_i32 s7, s7, 31
	s_mul_i32 s9, s6, s3
	s_delay_alu instid0(SALU_CYCLE_1)
	s_sub_co_i32 s8, s8, s9
	s_add_co_i32 s9, s6, 1
	s_sub_co_i32 s10, s8, s3
	s_cmp_ge_u32 s8, s3
	s_cselect_b32 s6, s9, s6
	s_cselect_b32 s8, s10, s8
	s_add_co_i32 s9, s6, 1
	s_cmp_ge_u32 s8, s3
	s_cselect_b32 s3, s9, s6
	s_load_b64 s[8:9], s[0:1], 0x40
	s_xor_b32 s3, s3, s7
	s_abs_i32 s16, s2
	s_sub_co_i32 s10, s3, s7
	s_mov_b32 s7, s17
	s_abs_i32 s15, s10
	s_delay_alu instid0(SALU_CYCLE_1) | instskip(SKIP_1) | instid1(SALU_CYCLE_2)
	s_cvt_f32_u32 s3, s15
	s_sub_co_i32 s6, 0, s15
	v_rcp_iflag_f32_e32 v1, s3
	v_nop
	s_delay_alu instid0(TRANS32_DEP_1) | instskip(SKIP_1) | instid1(SALU_CYCLE_3)
	v_readfirstlane_b32 s3, v1
	s_mul_f32 s3, s3, 0x4f7ffffe
	s_cvt_u32_f32 s3, s3
	s_delay_alu instid0(SALU_CYCLE_3) | instskip(NEXT) | instid1(SALU_CYCLE_1)
	s_mul_i32 s6, s6, s3
	s_mul_hi_u32 s6, s3, s6
	s_delay_alu instid0(SALU_CYCLE_1)
	s_add_co_i32 s6, s3, s6
	s_wait_kmcnt 0x0
	s_cmp_eq_u64 s[8:9], 0
	s_cbranch_scc1 .LBB21_2
; %bb.1:
	s_ashr_i32 s3, s2, 31
	s_delay_alu instid0(SALU_CYCLE_1) | instskip(NEXT) | instid1(SALU_CYCLE_1)
	s_lshl_b64 s[12:13], s[2:3], 2
	s_add_nc_u64 s[8:9], s[8:9], s[12:13]
	s_load_b32 s36, s[8:9], 0x0
.LBB21_2:
	s_load_b32 s31, s[4:5], s30 offset:0x0 scale_offset
	s_load_b96 s[12:14], s[0:1], 0x48
	v_dual_lshlrev_b32 v8, 2, v0 :: v_dual_bitop2_b32 v4, 1, v0 bitop3:0x40
	s_wait_xcnt 0x0
	s_mul_u64 s[4:5], s[16:17], s[6:7]
	s_ashr_i32 s3, s2, 31
	s_ashr_i32 s18, s10, 31
	s_mul_i32 s6, s2, 0x60
	s_mov_b32 s4, exec_lo
	v_cmpx_gt_u32_e32 48, v0
	s_cbranch_execz .LBB21_4
; %bb.3:
	s_load_b64 s[8:9], s[0:1], 0x8
	s_wait_kmcnt 0x0
	s_mul_i32 s10, s12, s30
	s_ashr_i32 s7, s6, 31
	s_ashr_i32 s11, s10, 31
	v_and_b32_e32 v1, 0xff8, v8
	s_lshl_b64 s[10:11], s[10:11], 2
	s_delay_alu instid0(VALU_DEP_1) | instskip(SKIP_2) | instid1(SALU_CYCLE_1)
	v_mad_u32_u24 v1, 0xc0, v4, v1
	s_add_nc_u64 s[8:9], s[8:9], s[10:11]
	s_lshl_b64 s[10:11], s[6:7], 2
	s_add_nc_u64 s[8:9], s[8:9], s[10:11]
	global_load_b64 v[2:3], v0, s[8:9] scale_offset
	s_wait_loadcnt 0x0
	ds_store_b64 v1, v[2:3]
.LBB21_4:
	s_or_b32 exec_lo, exec_lo, s4
	s_load_b128 s[8:11], s[0:1], 0x68
	s_mul_i32 s4, s5, s15
	s_xor_b32 s3, s3, s18
	s_sub_co_i32 s4, s16, s4
	s_add_co_i32 s7, s5, 1
	s_wait_kmcnt 0x0
	s_sub_co_i32 s12, s4, s15
	s_cmp_ge_u32 s4, s15
	s_mov_b32 s18, -1
	s_cselect_b32 s5, s7, s5
	s_cselect_b32 s4, s12, s4
	s_add_co_i32 s12, s5, 1
	s_cmp_ge_u32 s4, s15
	s_load_b32 s7, s[0:1], 0x78
	s_cselect_b32 s4, s12, s5
	s_add_co_i32 s15, s31, -1
	s_xor_b32 s4, s4, s3
	s_wait_dscnt 0x0
	s_sub_co_i32 s3, s4, s3
	s_barrier_signal -1
	s_barrier_wait -1
	s_abs_i32 s12, s11
	s_delay_alu instid0(SALU_CYCLE_1) | instskip(NEXT) | instid1(SALU_CYCLE_3)
	s_cvt_f32_u32 s5, s12
                                        ; implicit-def: $sgpr33
	v_rcp_iflag_f32_e32 v1, s5
	v_nop
	s_delay_alu instid0(TRANS32_DEP_1) | instskip(SKIP_1) | instid1(SALU_CYCLE_3)
	v_readfirstlane_b32 s5, v1
	s_mul_f32 s4, s5, 0x4f7ffffe
	s_cvt_u32_f32 s16, s4
	s_sub_co_i32 s4, 0, s12
	s_delay_alu instid0(SALU_CYCLE_2)
	s_mul_i32 s5, s4, s16
	s_abs_i32 s4, s15
	s_mul_hi_u32 s17, s16, s5
	s_mov_b32 s5, 0
	s_add_co_i32 s16, s16, s17
	s_wait_kmcnt 0x0
	s_cmp_lt_i32 s7, 0
	s_mov_b32 s17, s5
	s_cbranch_scc0 .LBB21_6
; %bb.5:
	s_mul_i32 s18, s8, s22
	s_delay_alu instid0(SALU_CYCLE_1) | instskip(NEXT) | instid1(SALU_CYCLE_1)
	s_add_co_i32 s18, s3, s18
	s_mul_i32 s18, s18, s7
	s_delay_alu instid0(SALU_CYCLE_1)
	s_sub_co_i32 s33, 1, s18
	s_mov_b32 s18, s5
.LBB21_6:
	s_ashr_i32 s15, s15, 31
	s_ashr_i32 s34, s11, 31
	s_and_not1_b32 vcc_lo, exec_lo, s18
	s_mul_u64 s[24:25], s[4:5], s[16:17]
	s_cbranch_vccnz .LBB21_8
; %bb.7:
	s_mul_i32 s5, s29, s8
	s_delay_alu instid0(SALU_CYCLE_1) | instskip(NEXT) | instid1(SALU_CYCLE_1)
	s_add_co_i32 s2, s5, s2
	s_mul_i32 s2, s2, s7
	s_delay_alu instid0(SALU_CYCLE_1)
	s_add_co_i32 s33, s2, 1
.LBB21_8:
	s_load_b32 s2, s[0:1], 0x38
	s_mul_i32 s7, s25, s12
	s_xor_b32 s5, s15, s34
	s_sub_co_i32 s4, s4, s7
	s_add_co_i32 s8, s25, 1
	s_clause 0x1
	s_load_b64 s[18:19], s[0:1], 0x28
	s_load_b32 s7, s[0:1], 0x88
	v_dual_lshrrev_b32 v1, 5, v0 :: v_dual_lshrrev_b32 v9, 3, v0
	v_mov_b32_e32 v13, 0xff7fffff
	v_mbcnt_lo_u32_b32 v10, -1, 0
	s_mul_i32 s14, s3, s14
	s_delay_alu instid0(VALU_DEP_3)
	v_lshlrev_b32_e32 v54, 4, v1
	s_wait_kmcnt 0x0
	s_mul_i32 s20, s2, s30
	s_sub_co_i32 s2, s4, s12
	s_ashr_i32 s21, s20, 31
	s_cmp_ge_u32 s4, s12
	s_cselect_b32 s8, s8, s25
	s_cselect_b32 s2, s2, s4
	s_add_co_i32 s4, s8, 1
	s_cmp_ge_u32 s2, s12
	s_cselect_b32 s2, s4, s8
	s_add_co_i32 s4, s31, 15
	s_delay_alu instid0(SALU_CYCLE_1) | instskip(NEXT) | instid1(SALU_CYCLE_1)
	s_ashr_i32 s8, s4, 31
	s_lshr_b32 s8, s8, 28
	s_delay_alu instid0(SALU_CYCLE_1) | instskip(NEXT) | instid1(SALU_CYCLE_1)
	s_add_co_i32 s4, s4, s8
	s_ashr_i32 s35, s4, 4
	s_xor_b32 s4, s2, s5
	v_cmp_gt_i32_e64 s2, s35, v1
	s_sub_co_i32 s8, s4, s5
	s_and_saveexec_b32 s11, s2
	s_cbranch_execz .LBB21_20
; %bb.9:
	s_load_b64 s[4:5], s[0:1], 0x10
	s_ashr_i32 s15, s14, 31
	s_sub_co_i32 s22, s8, s9
	s_ashr_i32 s25, s13, 31
	s_lshl_b64 s[38:39], s[14:15], 2
	s_cmp_neq_f32 s36, 0
	v_bfe_u32 v11, v0, 1, 4
	v_dual_mov_b32 v3, 0 :: v_dual_lshlrev_b32 v6, 3, v0
	s_cselect_b32 vcc_lo, -1, 0
	s_abs_i32 s15, s10
	s_delay_alu instid0(VALU_DEP_2)
	v_lshlrev_b32_e32 v2, 4, v11
	s_cvt_f32_u32 s3, s15
	v_mul_u32_u24_e32 v12, 0xc0, v4
	v_lshlrev_b32_e32 v7, 2, v11
	s_sub_co_i32 s26, 0, s15
	v_rcp_iflag_f32_e32 v5, s3
	v_cmp_eq_u32_e64 s3, 0, v4
	v_mov_b32_e32 v16, 0xff7fffff
	v_lshl_or_b32 v13, v1, 6, v7
	s_wait_kmcnt 0x0
	s_add_nc_u64 s[4:5], s[4:5], s[38:39]
	v_mov_b32_e32 v18, v1
	s_mov_b32 s27, 0
	v_readfirstlane_b32 s24, v5
	v_add_nc_u64_e32 v[4:5], s[4:5], v[2:3]
	v_and_b32_e32 v2, 8, v6
	v_subrev_nc_u32_e32 v6, s31, v11
	s_lshl_b64 s[4:5], s[20:21], 2
	s_mul_f32 s24, s24, 0x4f7ffffe
	s_add_nc_u64 s[4:5], s[18:19], s[4:5]
	v_add_nc_u32_e32 v15, 0x1a0, v13
	v_add_nc_u32_e32 v14, 1, v6
	v_add_nc_u64_e32 v[4:5], v[4:5], v[2:3]
	v_and_b32_e32 v2, 0x7c, v9
	s_cvt_u32_f32 s37, s24
	v_xor_b32_e32 v17, 1, v10
	v_mov_b32_e32 v13, 0xff7fffff
	s_mov_b32 s24, s13
	v_add_nc_u64_e32 v[6:7], s[4:5], v[2:3]
	s_mul_i32 s26, s26, s37
	v_lshlrev_b32_e32 v2, 4, v1
	s_mul_hi_u32 s4, s37, s26
	s_delay_alu instid0(SALU_CYCLE_1)
	s_add_co_i32 s26, s37, s4
	s_mov_b32 s37, s27
	s_branch .LBB21_12
.LBB21_10:                              ;   in Loop: Header=BB21_12 Depth=1
	s_or_b32 exec_lo, exec_lo, s38
.LBB21_11:                              ;   in Loop: Header=BB21_12 Depth=1
	s_delay_alu instid0(SALU_CYCLE_1) | instskip(SKIP_4) | instid1(VALU_DEP_4)
	s_or_b32 exec_lo, exec_lo, s5
	v_add_nc_u32_e32 v18, 4, v18
	v_add_nc_u64_e32 v[6:7], 16, v[6:7]
	v_add_nc_u32_e32 v2, 64, v2
	v_add_nc_u32_e32 v15, 0x100, v15
	v_cmp_le_i32_e64 s4, s35, v18
	s_or_b32 s37, s4, s37
	s_delay_alu instid0(SALU_CYCLE_1)
	s_and_not1_b32 exec_lo, exec_lo, s37
	s_cbranch_execz .LBB21_19
.LBB21_12:                              ; =>This Inner Loop Header: Depth=1
	s_wait_dscnt 0x0
	v_mul_u64_e32 v[20:21], s[16:17], v[2:3]
	s_delay_alu instid0(VALU_DEP_1) | instskip(NEXT) | instid1(VALU_DEP_1)
	v_mul_lo_u32 v19, v21, s12
	v_dual_add_nc_u32 v20, 1, v21 :: v_dual_sub_nc_u32 v19, v2, v19
	s_delay_alu instid0(VALU_DEP_1) | instskip(SKIP_1) | instid1(VALU_DEP_1)
	v_subrev_nc_u32_e32 v22, s12, v19
	v_cmp_le_u32_e64 s4, s12, v19
	v_dual_cndmask_b32 v20, v21, v20, s4 :: v_dual_cndmask_b32 v19, v19, v22, s4
	s_delay_alu instid0(VALU_DEP_1) | instskip(NEXT) | instid1(VALU_DEP_2)
	v_add_nc_u32_e32 v21, 1, v20
	v_cmp_le_u32_e64 s4, s12, v19
	s_delay_alu instid0(VALU_DEP_1) | instskip(NEXT) | instid1(VALU_DEP_1)
	v_dual_cndmask_b32 v19, v20, v21, s4 :: v_dual_mov_b32 v21, v3
	v_xor_b32_e32 v19, s34, v19
	s_delay_alu instid0(VALU_DEP_1) | instskip(NEXT) | instid1(VALU_DEP_1)
	v_subrev_nc_u32_e32 v19, s34, v19
	v_add_nc_u32_e32 v24, s33, v19
	v_cmp_ge_i32_e64 s5, s22, v19
	s_delay_alu instid0(VALU_DEP_2) | instskip(NEXT) | instid1(VALU_DEP_1)
	v_sub_nc_u32_e32 v20, 0, v24
	v_max_i32_e32 v20, v24, v20
	s_delay_alu instid0(VALU_DEP_1) | instskip(SKIP_1) | instid1(VALU_DEP_2)
	v_mul_u64_e32 v[22:23], s[26:27], v[20:21]
	v_ashrrev_i32_e32 v22, 31, v24
	v_mul_lo_u32 v21, v23, s15
	s_delay_alu instid0(VALU_DEP_1) | instskip(NEXT) | instid1(VALU_DEP_1)
	v_sub_nc_u32_e32 v20, v20, v21
	v_subrev_nc_u32_e32 v21, s15, v20
	v_cmp_le_u32_e64 s4, s15, v20
	s_delay_alu instid0(VALU_DEP_1) | instskip(NEXT) | instid1(VALU_DEP_1)
	v_cndmask_b32_e64 v20, v20, v21, s4
	v_subrev_nc_u32_e32 v21, s15, v20
	v_cmp_le_u32_e64 s4, s15, v20
	s_delay_alu instid0(VALU_DEP_1) | instskip(NEXT) | instid1(VALU_DEP_1)
	v_cndmask_b32_e64 v20, v20, v21, s4
	v_xor_b32_e32 v20, v20, v22
	s_delay_alu instid0(VALU_DEP_1) | instskip(NEXT) | instid1(VALU_DEP_1)
	v_sub_nc_u32_e32 v20, v20, v22
	v_cmp_ne_u32_e64 s4, 0, v20
	s_and_b32 s4, s4, s5
	s_delay_alu instid0(SALU_CYCLE_1) | instskip(NEXT) | instid1(SALU_CYCLE_1)
	s_and_saveexec_b32 s5, s4
	s_xor_b32 s4, exec_lo, s5
	s_cbranch_execz .LBB21_16
; %bb.13:                               ;   in Loop: Header=BB21_12 Depth=1
	s_and_saveexec_b32 s5, s3
; %bb.14:                               ;   in Loop: Header=BB21_12 Depth=1
	ds_store_b32 v15, v16
; %bb.15:                               ;   in Loop: Header=BB21_12 Depth=1
	s_or_b32 exec_lo, exec_lo, s5
.LBB21_16:                              ;   in Loop: Header=BB21_12 Depth=1
	s_and_not1_saveexec_b32 s5, s4
	s_cbranch_execz .LBB21_11
; %bb.17:                               ;   in Loop: Header=BB21_12 Depth=1
	global_load_b32 v20, v[6:7], off
	v_cmp_gt_i32_e64 s4, 32, v17
	s_wait_loadcnt 0x0
	v_ashrrev_i32_e32 v21, 31, v20
	s_delay_alu instid0(VALU_DEP_1) | instskip(NEXT) | instid1(VALU_DEP_1)
	v_mul_u64_e32 v[20:21], s[24:25], v[20:21]
	v_lshl_add_u64 v[20:21], v[20:21], 2, v[4:5]
	s_clause 0x17
	global_load_b64 v[32:33], v[20:21], off offset:256
	global_load_b64 v[34:35], v[20:21], off offset:512
	;; [unrolled: 1-line block ×3, first 2 shown]
	global_load_b64 v[38:39], v[20:21], off
	global_load_b64 v[40:41], v[20:21], off offset:1024
	global_load_b64 v[42:43], v[20:21], off offset:1280
	;; [unrolled: 1-line block ×20, first 2 shown]
	s_wait_xcnt 0x0
	ds_load_b128 v[20:23], v12
	ds_load_b128 v[24:27], v12 offset:16
	ds_load_b128 v[28:31], v12 offset:32
	s_wait_loadcnt_dscnt 0x1702
	v_dual_mul_f32 v19, v22, v32 :: v_dual_mul_f32 v32, v23, v33
	s_wait_loadcnt 0x14
	s_delay_alu instid0(VALU_DEP_1) | instskip(SKIP_3) | instid1(VALU_DEP_1)
	v_dual_fmac_f32 v32, v21, v39 :: v_dual_fmac_f32 v19, v20, v38
	ds_load_b128 v[20:23], v12 offset:48
	s_wait_dscnt 0x2
	v_dual_fmac_f32 v32, v25, v35 :: v_dual_fmac_f32 v19, v24, v34
	v_dual_fmac_f32 v32, v27, v37 :: v_dual_fmac_f32 v19, v26, v36
	ds_load_b128 v[24:27], v12 offset:64
	s_wait_loadcnt_dscnt 0x1302
	v_dual_fmac_f32 v32, v29, v41 :: v_dual_fmac_f32 v19, v28, v40
	s_wait_loadcnt 0x12
	s_delay_alu instid0(VALU_DEP_1) | instskip(SKIP_4) | instid1(VALU_DEP_1)
	v_dual_fmac_f32 v32, v31, v43 :: v_dual_fmac_f32 v19, v30, v42
	ds_load_b128 v[28:31], v12 offset:80
	s_wait_loadcnt_dscnt 0x1102
	v_dual_fmac_f32 v32, v21, v45 :: v_dual_fmac_f32 v19, v20, v44
	s_wait_loadcnt 0x10
	v_dual_fmac_f32 v32, v23, v47 :: v_dual_fmac_f32 v19, v22, v46
	ds_load_b128 v[20:23], v12 offset:96
	s_wait_loadcnt_dscnt 0xf02
	v_dual_fmac_f32 v32, v25, v49 :: v_dual_fmac_f32 v19, v24, v48
	s_wait_loadcnt 0xe
	s_delay_alu instid0(VALU_DEP_1) | instskip(SKIP_4) | instid1(VALU_DEP_1)
	v_dual_fmac_f32 v32, v27, v51 :: v_dual_fmac_f32 v19, v26, v50
	ds_load_b128 v[24:27], v12 offset:112
	s_wait_loadcnt_dscnt 0xd02
	v_dual_fmac_f32 v32, v29, v53 :: v_dual_fmac_f32 v19, v28, v52
	s_wait_loadcnt 0xc
	;; [unrolled: 11-line block ×3, first 2 shown]
	v_dual_fmac_f32 v32, v27, v65 :: v_dual_fmac_f32 v19, v26, v64
	ds_load_b128 v[24:27], v12 offset:160
	s_wait_loadcnt_dscnt 0x702
	v_dual_fmac_f32 v32, v29, v67 :: v_dual_fmac_f32 v19, v28, v66
	s_wait_loadcnt 0x6
	s_delay_alu instid0(VALU_DEP_1)
	v_dual_fmac_f32 v32, v31, v69 :: v_dual_fmac_f32 v19, v30, v68
	ds_load_b128 v[28:31], v12 offset:176
	s_wait_loadcnt_dscnt 0x502
	v_dual_fmac_f32 v32, v21, v71 :: v_dual_fmac_f32 v19, v20, v70
	v_cndmask_b32_e64 v20, v10, v17, s4
	s_wait_loadcnt 0x4
	s_delay_alu instid0(VALU_DEP_2) | instskip(SKIP_1) | instid1(VALU_DEP_1)
	v_dual_fmac_f32 v32, v23, v73 :: v_dual_fmac_f32 v19, v22, v72
	s_wait_loadcnt_dscnt 0x301
	v_dual_lshlrev_b32 v20, 2, v20 :: v_dual_fmac_f32 v32, v25, v75
	s_wait_loadcnt 0x2
	s_delay_alu instid0(VALU_DEP_1) | instskip(SKIP_1) | instid1(VALU_DEP_1)
	v_dual_fmac_f32 v19, v24, v74 :: v_dual_fmac_f32 v32, v27, v77
	s_wait_loadcnt_dscnt 0x100
	v_dual_fmac_f32 v19, v26, v76 :: v_dual_fmac_f32 v32, v29, v79
	s_wait_loadcnt 0x0
	s_delay_alu instid0(VALU_DEP_1) | instskip(NEXT) | instid1(VALU_DEP_1)
	v_dual_fmac_f32 v19, v28, v78 :: v_dual_fmac_f32 v32, v31, v81
	v_fmac_f32_e32 v19, v30, v80
	s_delay_alu instid0(VALU_DEP_1)
	v_add_f32_e32 v19, v19, v32
	ds_bpermute_b32 v20, v20, v19
	s_and_saveexec_b32 s38, s3
	s_cbranch_execz .LBB21_10
; %bb.18:                               ;   in Loop: Header=BB21_12 Depth=1
	s_wait_dscnt 0x0
	v_dual_add_nc_u32 v21, v14, v2 :: v_dual_add_f32 v19, v19, v20
	s_delay_alu instid0(VALU_DEP_1) | instskip(NEXT) | instid1(VALU_DEP_1)
	v_cvt_f32_i32_e32 v21, v21
	v_mul_f32_e32 v21, s36, v21
	s_delay_alu instid0(VALU_DEP_1) | instskip(NEXT) | instid1(VALU_DEP_1)
	v_cndmask_b32_e32 v20, 0, v21, vcc_lo
	v_dual_fmac_f32 v20, s23, v19 :: v_dual_add_nc_u32 v19, v11, v2
	s_delay_alu instid0(VALU_DEP_1) | instskip(NEXT) | instid1(VALU_DEP_1)
	v_cmp_gt_i32_e64 s4, s31, v19
	v_dual_max_num_f32 v21, v13, v13 :: v_dual_cndmask_b32 v19, 0, v20, s4
	s_delay_alu instid0(VALU_DEP_1)
	v_max_num_f32_e32 v21, v21, v20
	ds_store_b32 v15, v19
	v_cndmask_b32_e64 v13, v13, v21, s4
	s_branch .LBB21_10
.LBB21_19:
	s_or_b32 exec_lo, exec_lo, s37
.LBB21_20:
	s_delay_alu instid0(SALU_CYCLE_1)
	s_or_b32 exec_lo, exec_lo, s11
	v_dual_max_num_f32 v5, v13, v13 :: v_dual_bitop2_b32 v2, 16, v10 bitop3:0x14
	v_xor_b32_e32 v4, 8, v10
	s_clause 0x1
	s_load_b64 s[4:5], s[0:1], 0x0
	s_load_b64 s[22:23], s[0:1], 0x18
	v_and_b32_e32 v72, 31, v0
	v_cmp_gt_i32_e32 vcc_lo, 32, v2
	v_cndmask_b32_e32 v2, v10, v2, vcc_lo
	v_cmp_gt_i32_e32 vcc_lo, 32, v4
	s_delay_alu instid0(VALU_DEP_2) | instskip(SKIP_3) | instid1(VALU_DEP_1)
	v_dual_cndmask_b32 v4, v10, v4, vcc_lo :: v_dual_lshlrev_b32 v2, 2, v2
	ds_bpermute_b32 v3, v2, v13
	s_wait_dscnt 0x0
	v_dual_max_num_f32 v6, v3, v3 :: v_dual_lshlrev_b32 v3, 2, v4
	v_max_num_f32_e32 v5, v5, v6
	ds_bpermute_b32 v4, v3, v5
	s_wait_dscnt 0x0
	v_dual_max_num_f32 v7, v4, v4 :: v_dual_bitop2_b32 v6, 4, v10 bitop3:0x14
	s_delay_alu instid0(VALU_DEP_1) | instskip(NEXT) | instid1(VALU_DEP_2)
	v_cmp_gt_i32_e32 vcc_lo, 32, v6
	v_dual_max_num_f32 v5, v5, v7 :: v_dual_bitop2_b32 v7, 2, v10 bitop3:0x14
	v_cndmask_b32_e32 v6, v10, v6, vcc_lo
	s_delay_alu instid0(VALU_DEP_2) | instskip(NEXT) | instid1(VALU_DEP_2)
	v_cmp_gt_i32_e32 vcc_lo, 32, v7
	v_dual_cndmask_b32 v7, v10, v7 :: v_dual_lshlrev_b32 v4, 2, v6
	v_cmp_eq_u32_e32 vcc_lo, 0, v72
	s_delay_alu instid0(VALU_DEP_2) | instskip(SKIP_3) | instid1(VALU_DEP_1)
	v_lshlrev_b32_e32 v73, 2, v7
	ds_bpermute_b32 v6, v4, v5
	s_wait_dscnt 0x0
	v_max_num_f32_e32 v6, v6, v6
	v_dual_max_num_f32 v6, v5, v6 :: v_dual_lshlrev_b32 v5, 2, v1
	ds_bpermute_b32 v7, v73, v6
	s_wait_xcnt 0x0
	s_and_saveexec_b32 s0, vcc_lo
	s_cbranch_execz .LBB21_22
; %bb.21:
	s_wait_dscnt 0x0
	v_dual_max_num_f32 v7, v7, v7 :: v_dual_max_num_f32 v6, v6, v6
	s_delay_alu instid0(VALU_DEP_1)
	v_max_num_f32_e32 v6, v6, v7
	ds_store_b32 v5, v6 offset:384
.LBB21_22:
	s_or_b32 exec_lo, exec_lo, s0
	v_cmp_gt_u32_e64 s0, 4, v72
	s_wait_dscnt 0x0
	v_dual_mov_b32 v7, 0xff7fffff :: v_dual_lshlrev_b32 v6, 2, v72
	s_barrier_signal -1
	s_barrier_wait -1
	s_and_saveexec_b32 s1, s0
; %bb.23:
	ds_load_b32 v7, v6 offset:384
; %bb.24:
	s_or_b32 exec_lo, exec_lo, s1
	s_wait_dscnt 0x0
	ds_bpermute_b32 v11, v73, v7
	v_dual_max_num_f32 v7, v7, v7 :: v_dual_bitop2_b32 v12, 1, v10 bitop3:0x14
	s_delay_alu instid0(VALU_DEP_1) | instskip(NEXT) | instid1(VALU_DEP_1)
	v_cmp_gt_i32_e64 s1, 32, v12
	v_cndmask_b32_e64 v10, v10, v12, s1
	s_lshl_b32 s1, s35, 4
	s_delay_alu instid0(SALU_CYCLE_1) | instskip(NEXT) | instid1(SALU_CYCLE_1)
	s_min_i32 s11, s1, s31
	v_cmp_gt_i32_e64 s1, s11, v0
	s_wait_dscnt 0x0
	v_dual_max_num_f32 v11, v11, v11 :: v_dual_lshlrev_b32 v74, 2, v10
	s_delay_alu instid0(VALU_DEP_1) | instskip(SKIP_3) | instid1(VALU_DEP_1)
	v_max_num_f32_e32 v7, v7, v11
	ds_bpermute_b32 v10, v74, v7
	s_wait_dscnt 0x0
	v_max_num_f32_e32 v10, v10, v10
	v_dual_max_num_f32 v10, v7, v10 :: v_dual_mov_b32 v7, 0
	ds_bpermute_b32 v10, v7, v10
	s_and_saveexec_b32 s15, s1
	s_cbranch_execz .LBB21_28
; %bb.25:
	v_lshl_add_u32 v11, v0, 2, 0x1a0
	v_dual_mov_b32 v7, 0 :: v_dual_mov_b32 v12, v0
	s_mov_b32 s24, 0
.LBB21_26:                              ; =>This Inner Loop Header: Depth=1
	ds_load_b32 v13, v11
	v_add_nc_u32_e32 v12, 0x80, v12
	s_delay_alu instid0(VALU_DEP_1) | instskip(SKIP_3) | instid1(VALU_DEP_1)
	v_cmp_le_i32_e64 s3, s11, v12
	s_or_b32 s24, s3, s24
	s_wait_dscnt 0x0
	v_sub_f32_e32 v13, v13, v10
	v_mul_f32_e32 v13, 0x3fb8aa3b, v13
	s_delay_alu instid0(VALU_DEP_1)
	v_exp_f32_e32 v13, v13
	ds_store_b32 v11, v13
	v_nop
	v_add_f32_e32 v7, v7, v13
	v_add_nc_u32_e32 v11, 0x200, v11
	s_and_not1_b32 exec_lo, exec_lo, s24
	s_cbranch_execnz .LBB21_26
; %bb.27:
	s_or_b32 exec_lo, exec_lo, s24
.LBB21_28:
	s_delay_alu instid0(SALU_CYCLE_1)
	s_or_b32 exec_lo, exec_lo, s15
	ds_bpermute_b32 v2, v2, v7
	s_wait_dscnt 0x0
	v_add_f32_e32 v2, v7, v2
	ds_bpermute_b32 v3, v3, v2
	s_wait_dscnt 0x0
	v_add_f32_e32 v2, v2, v3
	;; [unrolled: 3-line block ×5, first 2 shown]
	s_and_saveexec_b32 s3, vcc_lo
; %bb.29:
	ds_store_b32 v5, v2 offset:400
; %bb.30:
	s_or_b32 exec_lo, exec_lo, s3
	s_wait_dscnt 0x0
	s_barrier_signal -1
	s_barrier_wait -1
	s_and_saveexec_b32 s3, s0
; %bb.31:
	ds_load_b32 v2, v6 offset:400
; %bb.32:
	s_or_b32 exec_lo, exec_lo, s3
	s_wait_dscnt 0x0
	ds_bpermute_b32 v3, v73, v2
	s_wait_dscnt 0x0
	v_dual_mov_b32 v57, 0 :: v_dual_add_f32 v2, v2, v3
	ds_bpermute_b32 v3, v74, v2
	s_wait_dscnt 0x0
	v_add_f32_e32 v2, v2, v3
	ds_bpermute_b32 v2, v57, v2
	s_and_saveexec_b32 s0, s1
	s_cbranch_execz .LBB21_45
; %bb.33:
	s_wait_dscnt 0x0
	v_add_f32_e32 v2, 0x358637bd, v2
	s_mov_b32 s3, -1
	s_mov_b32 s1, exec_lo
	s_delay_alu instid0(VALU_DEP_1) | instskip(NEXT) | instid1(VALU_DEP_1)
	v_div_scale_f32 v3, null, v2, v2, 1.0
	v_rcp_f32_e32 v5, v3
	v_nop
	s_delay_alu instid0(TRANS32_DEP_1) | instskip(NEXT) | instid1(VALU_DEP_1)
	v_fma_f32 v4, -v3, v5, 1.0
	v_fmac_f32_e32 v5, v4, v5
	v_div_scale_f32 v6, vcc_lo, 1.0, v2, 1.0
	s_delay_alu instid0(VALU_DEP_1) | instskip(NEXT) | instid1(VALU_DEP_1)
	v_mul_f32_e32 v7, v6, v5
	v_fma_f32 v4, -v3, v7, v6
	s_delay_alu instid0(VALU_DEP_1) | instskip(SKIP_1) | instid1(VALU_DEP_2)
	v_fmac_f32_e32 v7, v4, v5
	v_xad_u32 v4, v0, -1, s11
	v_fma_f32 v3, -v3, v7, v6
	s_delay_alu instid0(VALU_DEP_1) | instskip(NEXT) | instid1(VALU_DEP_1)
	v_div_fmas_f32 v3, v3, v5, v7
	v_div_fixup_f32 v2, v3, v2, 1.0
	v_mov_b32_e32 v3, v0
	v_cmpx_lt_u32_e32 0x7f, v4
	s_cbranch_execz .LBB21_42
; %bb.34:
	s_delay_alu instid0(VALU_DEP_3) | instskip(NEXT) | instid1(VALU_DEP_1)
	v_dual_mov_b32 v3, v2 :: v_dual_lshrrev_b32 v4, 7, v4
	v_dual_mov_b32 v10, 0 :: v_dual_add_nc_u32 v5, -1, v4
	s_delay_alu instid0(VALU_DEP_1) | instskip(SKIP_1) | instid1(VALU_DEP_2)
	v_lshrrev_b32_e32 v6, 1, v5
	v_cmp_lt_u32_e32 vcc_lo, 13, v5
	v_add_nc_u32_e32 v5, 1, v6
	s_and_saveexec_b32 s3, vcc_lo
	s_cbranch_execz .LBB21_38
; %bb.35:
	s_delay_alu instid0(VALU_DEP_1)
	v_and_b32_e32 v6, -8, v5
	v_lshl_add_u32 v7, v0, 2, 0x1a0
	s_mov_b32 s15, 0
	s_mov_b32 s24, 0
.LBB21_36:                              ; =>This Inner Loop Header: Depth=1
	ds_load_2addr_stride64_b32 v[10:11], v7 offset1:2
	ds_load_2addr_stride64_b32 v[12:13], v7 offset0:4 offset1:6
	ds_load_2addr_stride64_b32 v[14:15], v7 offset0:8 offset1:10
	;; [unrolled: 1-line block ×7, first 2 shown]
	s_add_co_i32 s24, s24, 16
	v_add_nc_u32_e32 v6, -8, v6
	s_wait_dscnt 0x7
	v_pk_mul_f32 v[10:11], v[2:3], v[10:11]
	s_wait_dscnt 0x6
	v_pk_mul_f32 v[12:13], v[2:3], v[12:13]
	;; [unrolled: 2-line block ×8, first 2 shown]
	ds_store_2addr_stride64_b32 v7, v10, v11 offset1:2
	ds_store_2addr_stride64_b32 v7, v12, v13 offset0:4 offset1:6
	ds_store_2addr_stride64_b32 v7, v14, v15 offset0:8 offset1:10
	;; [unrolled: 1-line block ×7, first 2 shown]
	v_mov_b32_e32 v10, s24
	v_cmp_eq_u32_e32 vcc_lo, 0, v6
	v_add_nc_u32_e32 v7, 0x2000, v7
	s_or_b32 s15, vcc_lo, s15
	s_delay_alu instid0(SALU_CYCLE_1)
	s_and_not1_b32 exec_lo, exec_lo, s15
	s_cbranch_execnz .LBB21_36
; %bb.37:
	s_or_b32 exec_lo, exec_lo, s15
.LBB21_38:
	s_delay_alu instid0(SALU_CYCLE_1) | instskip(NEXT) | instid1(VALU_DEP_1)
	s_or_b32 exec_lo, exec_lo, s3
	v_and_b32_e32 v5, 7, v5
	s_mov_b32 s15, 0
	s_mov_b32 s3, exec_lo
	s_delay_alu instid0(VALU_DEP_1)
	v_cmpx_ne_u32_e32 0, v5
	s_cbranch_execz .LBB21_41
; %bb.39:
	v_lshlrev_b32_e32 v6, 9, v10
	s_delay_alu instid0(VALU_DEP_1)
	v_add3_u32 v6, v6, v8, 0x1a0
.LBB21_40:                              ; =>This Inner Loop Header: Depth=1
	ds_load_2addr_stride64_b32 v[10:11], v6 offset1:2
	v_add_nc_u32_e32 v5, -1, v5
	s_delay_alu instid0(VALU_DEP_1)
	v_cmp_eq_u32_e32 vcc_lo, 0, v5
	s_or_b32 s15, vcc_lo, s15
	s_wait_dscnt 0x0
	v_pk_mul_f32 v[10:11], v[2:3], v[10:11]
	ds_store_2addr_stride64_b32 v6, v10, v11 offset1:2
	v_add_nc_u32_e32 v6, 0x400, v6
	s_and_not1_b32 exec_lo, exec_lo, s15
	s_cbranch_execnz .LBB21_40
.LBB21_41:
	s_or_b32 exec_lo, exec_lo, s3
	v_add_nc_u32_e32 v3, 1, v4
	s_delay_alu instid0(VALU_DEP_1) | instskip(NEXT) | instid1(VALU_DEP_1)
	v_and_b32_e32 v4, 0x3fffffe, v3
	v_cmp_ne_u32_e32 vcc_lo, v3, v4
	v_lshl_add_u32 v3, v4, 7, v0
	s_or_not1_b32 s3, vcc_lo, exec_lo
.LBB21_42:
	s_or_b32 exec_lo, exec_lo, s1
	s_delay_alu instid0(SALU_CYCLE_1)
	s_and_b32 exec_lo, exec_lo, s3
	s_cbranch_execz .LBB21_45
; %bb.43:
	v_lshl_add_u32 v4, v3, 2, 0x1a0
	s_mov_b32 s1, 0
.LBB21_44:                              ; =>This Inner Loop Header: Depth=1
	ds_load_b32 v5, v4
	v_add_nc_u32_e32 v3, 0x80, v3
	s_delay_alu instid0(VALU_DEP_1)
	v_cmp_le_i32_e32 vcc_lo, s11, v3
	s_or_b32 s1, vcc_lo, s1
	s_wait_dscnt 0x0
	v_mul_f32_e32 v5, v2, v5
	ds_store_b32 v4, v5
	v_add_nc_u32_e32 v4, 0x200, v4
	s_and_not1_b32 exec_lo, exec_lo, s1
	s_cbranch_execnz .LBB21_44
.LBB21_45:
	s_or_b32 exec_lo, exec_lo, s0
	v_dual_mov_b32 v56, 0 :: v_dual_bitop2_b32 v75, 3, v0 bitop3:0x40
	v_dual_mov_b32 v59, 0 :: v_dual_mov_b32 v58, 0
	v_dual_mov_b32 v61, 0 :: v_dual_mov_b32 v60, 0
	;; [unrolled: 1-line block ×5, first 2 shown]
	s_wait_dscnt 0x0
	s_barrier_signal -1
	s_barrier_wait -1
	s_and_saveexec_b32 s24, s2
	s_cbranch_execz .LBB21_75
; %bb.46:
	s_abs_i32 s25, s10
	v_dual_mov_b32 v55, 0 :: v_dual_bitop2_b32 v76, 12, v8 bitop3:0x40
	s_cvt_f32_u32 s0, s25
	v_dual_lshlrev_b32 v4, 4, v0 :: v_dual_lshlrev_b32 v6, 4, v75
	s_ashr_i32 s15, s14, 31
	s_delay_alu instid0(SALU_CYCLE_1) | instskip(SKIP_1) | instid1(VALU_DEP_2)
	v_rcp_iflag_f32_e32 v3, s0
	v_and_b32_e32 v2, 0x7c, v9
	v_and_b32_e32 v4, 0x1f0, v4
	v_mov_b32_e32 v5, v55
	s_lshl_b64 s[0:1], s[20:21], 2
	s_lshl_b64 s[2:3], s[14:15], 2
	v_lshl_or_b32 v6, v1, 6, v6
	v_readfirstlane_b32 s10, v3
	v_mov_b32_e32 v3, v55
	s_add_nc_u64 s[0:1], s[18:19], s[0:1]
	s_wait_kmcnt 0x0
	s_add_nc_u64 s[2:3], s[22:23], s[2:3]
	s_sub_co_i32 s14, 0, s25
	s_mul_f32 s10, s10, 0x4f7ffffe
	v_add_nc_u64_e32 v[68:69], s[2:3], v[4:5]
	v_add_nc_u64_e32 v[70:71], s[0:1], v[2:3]
	v_dual_mov_b32 v78, v1 :: v_dual_add_nc_u32 v77, 0x1a0, v6
	s_cvt_u32_f32 s10, s10
	v_dual_mov_b32 v66, v55 :: v_dual_mov_b32 v67, v55
	v_dual_mov_b32 v64, v55 :: v_dual_mov_b32 v65, v55
	s_delay_alu instid0(SALU_CYCLE_1)
	s_mul_i32 s14, s14, s10
	v_dual_mov_b32 v62, v55 :: v_dual_mov_b32 v63, v55
	v_dual_mov_b32 v60, v55 :: v_dual_mov_b32 v61, v55
	;; [unrolled: 1-line block ×4, first 2 shown]
	s_mov_b32 s11, 0
	s_mul_hi_u32 s2, s10, s14
	s_sub_co_i32 s26, s8, s9
	s_ashr_i32 s9, s13, 31
	s_mov_b32 s8, s13
	s_add_co_i32 s13, s35, -1
	s_mov_b32 s14, s31
	s_add_co_i32 s10, s10, s2
	s_mov_b32 s15, s11
	s_branch .LBB21_49
.LBB21_47:                              ;   in Loop: Header=BB21_49 Depth=1
	s_or_b32 exec_lo, exec_lo, s0
	s_wait_loadcnt_dscnt 0x200
	v_mul_f32_e32 v42, v6, v42
	s_wait_loadcnt 0x1
	v_mul_f32_e32 v50, v6, v50
	v_mul_f32_e32 v10, v6, v10
	s_delay_alu instid0(VALU_DEP_3) | instskip(NEXT) | instid1(VALU_DEP_3)
	v_dual_mul_f32 v14, v6, v14 :: v_dual_fmac_f32 v42, v7, v43
	v_dual_mul_f32 v34, v6, v34 :: v_dual_fmac_f32 v50, v7, v51
	s_delay_alu instid0(VALU_DEP_2) | instskip(NEXT) | instid1(VALU_DEP_2)
	v_dual_mul_f32 v38, v6, v38 :: v_dual_fmac_f32 v42, v8, v44
	v_dual_mul_f32 v26, v6, v26 :: v_dual_fmac_f32 v34, v7, v35
	s_delay_alu instid0(VALU_DEP_3) | instskip(NEXT) | instid1(VALU_DEP_3)
	v_dual_fmac_f32 v50, v8, v52 :: v_dual_mul_f32 v30, v6, v30
	v_dual_fmac_f32 v38, v7, v39 :: v_dual_mul_f32 v22, v6, v22
	s_delay_alu instid0(VALU_DEP_3) | instskip(SKIP_1) | instid1(VALU_DEP_4)
	v_fmac_f32_e32 v34, v8, v36
	v_fmac_f32_e32 v42, v9, v45
	;; [unrolled: 1-line block ×3, first 2 shown]
	s_delay_alu instid0(VALU_DEP_4) | instskip(SKIP_4) | instid1(VALU_DEP_4)
	v_fmac_f32_e32 v38, v8, v40
	v_fmac_f32_e32 v50, v9, v53
	;; [unrolled: 1-line block ×3, first 2 shown]
	v_dual_fmac_f32 v22, v7, v23 :: v_dual_mul_f32 v23, v6, v18
	v_add_f32_e32 v59, v59, v42
	v_add_f32_e32 v56, v56, v50
	s_delay_alu instid0(VALU_DEP_3) | instskip(NEXT) | instid1(VALU_DEP_4)
	v_dual_add_f32 v61, v61, v34 :: v_dual_fmac_f32 v22, v8, v24
	v_fmac_f32_e32 v23, v7, v19
	s_wait_loadcnt 0x0
	v_pk_mul_f32 v[18:19], v[6:7], v[46:47]
	s_delay_alu instid0(VALU_DEP_2) | instskip(SKIP_1) | instid1(VALU_DEP_2)
	v_dual_fmac_f32 v22, v9, v25 :: v_dual_fmac_f32 v23, v8, v20
	v_fmac_f32_e32 v30, v8, v32
	v_dual_fmac_f32 v10, v7, v11 :: v_dual_add_f32 v62, v62, v22
	s_delay_alu instid0(VALU_DEP_2) | instskip(SKIP_1) | instid1(VALU_DEP_3)
	v_dual_mul_f32 v22, v6, v2 :: v_dual_fmac_f32 v30, v9, v33
	v_fmac_f32_e32 v38, v9, v41
	v_dual_fmac_f32 v23, v9, v21 :: v_dual_fmac_f32 v10, v8, v12
	s_delay_alu instid0(VALU_DEP_3) | instskip(NEXT) | instid1(VALU_DEP_3)
	v_dual_fmac_f32 v22, v7, v3 :: v_dual_add_f32 v60, v60, v30
	v_dual_fmac_f32 v26, v7, v27 :: v_dual_add_f32 v58, v58, v38
	v_pk_mul_f32 v[2:3], v[8:9], v[48:49]
	v_add_f32_e32 v6, v19, v18
	v_fmac_f32_e32 v14, v7, v15
	s_delay_alu instid0(VALU_DEP_4) | instskip(NEXT) | instid1(VALU_DEP_3)
	v_dual_fmac_f32 v26, v8, v28 :: v_dual_add_f32 v65, v65, v23
	v_dual_fmac_f32 v10, v9, v13 :: v_dual_add_f32 v2, v2, v6
	s_delay_alu instid0(VALU_DEP_3) | instskip(NEXT) | instid1(VALU_DEP_2)
	v_fmac_f32_e32 v14, v8, v16
	v_dual_fmac_f32 v26, v9, v29 :: v_dual_add_f32 v67, v67, v10
	s_delay_alu instid0(VALU_DEP_2) | instskip(NEXT) | instid1(VALU_DEP_2)
	v_dual_add_f32 v2, v3, v2 :: v_dual_fmac_f32 v14, v9, v17
	v_add_f32_e32 v63, v63, v26
	s_delay_alu instid0(VALU_DEP_2) | instskip(NEXT) | instid1(VALU_DEP_3)
	v_add_f32_e32 v57, v57, v2
	v_add_f32_e32 v64, v64, v14
	v_fmac_f32_e32 v22, v8, v4
	s_delay_alu instid0(VALU_DEP_1) | instskip(NEXT) | instid1(VALU_DEP_1)
	v_fmac_f32_e32 v22, v9, v5
	v_add_f32_e32 v66, v66, v22
.LBB21_48:                              ;   in Loop: Header=BB21_49 Depth=1
	s_or_b32 exec_lo, exec_lo, s18
	v_add_nc_u32_e32 v78, 4, v78
	v_add_nc_u64_e32 v[70:71], 16, v[70:71]
	v_add_nc_u32_e32 v54, 64, v54
	v_add_nc_u32_e32 v77, 0x100, v77
	s_delay_alu instid0(VALU_DEP_4) | instskip(SKIP_1) | instid1(SALU_CYCLE_1)
	v_cmp_le_i32_e32 vcc_lo, s35, v78
	s_or_b32 s15, vcc_lo, s15
	s_and_not1_b32 exec_lo, exec_lo, s15
	s_cbranch_execz .LBB21_74
.LBB21_49:                              ; =>This Inner Loop Header: Depth=1
	v_mul_u64_e32 v[2:3], s[16:17], v[54:55]
	s_delay_alu instid0(VALU_DEP_1) | instskip(NEXT) | instid1(VALU_DEP_1)
	v_mul_lo_u32 v2, v3, s12
	v_dual_add_nc_u32 v4, 1, v3 :: v_dual_sub_nc_u32 v2, v54, v2
	s_delay_alu instid0(VALU_DEP_1) | instskip(SKIP_1) | instid1(VALU_DEP_2)
	v_subrev_nc_u32_e32 v5, s12, v2
	v_cmp_le_u32_e32 vcc_lo, s12, v2
	v_dual_cndmask_b32 v3, v3, v4 :: v_dual_cndmask_b32 v2, v2, v5
	s_delay_alu instid0(VALU_DEP_1) | instskip(NEXT) | instid1(VALU_DEP_2)
	v_add_nc_u32_e32 v4, 1, v3
	v_cmp_le_u32_e32 vcc_lo, s12, v2
	s_delay_alu instid0(VALU_DEP_2) | instskip(NEXT) | instid1(VALU_DEP_1)
	v_cndmask_b32_e32 v2, v3, v4, vcc_lo
	v_dual_mov_b32 v3, v55 :: v_dual_bitop2_b32 v2, s34, v2 bitop3:0x14
	s_delay_alu instid0(VALU_DEP_1) | instskip(NEXT) | instid1(VALU_DEP_1)
	v_subrev_nc_u32_e32 v6, s34, v2
	v_add_nc_u32_e32 v7, s33, v6
	v_cmp_lt_i32_e64 s0, s26, v6
	s_delay_alu instid0(VALU_DEP_2) | instskip(NEXT) | instid1(VALU_DEP_1)
	v_sub_nc_u32_e32 v2, 0, v7
	v_max_i32_e32 v2, v7, v2
	s_delay_alu instid0(VALU_DEP_1) | instskip(SKIP_1) | instid1(VALU_DEP_2)
	v_mul_u64_e32 v[4:5], s[10:11], v[2:3]
	v_ashrrev_i32_e32 v4, 31, v7
	v_mul_lo_u32 v3, v5, s25
	s_delay_alu instid0(VALU_DEP_1) | instskip(NEXT) | instid1(VALU_DEP_1)
	v_sub_nc_u32_e32 v2, v2, v3
	v_subrev_nc_u32_e32 v3, s25, v2
	v_cmp_le_u32_e32 vcc_lo, s25, v2
	s_delay_alu instid0(VALU_DEP_2) | instskip(NEXT) | instid1(VALU_DEP_1)
	v_cndmask_b32_e32 v2, v2, v3, vcc_lo
	v_subrev_nc_u32_e32 v3, s25, v2
	v_cmp_le_u32_e32 vcc_lo, s25, v2
	s_delay_alu instid0(VALU_DEP_2) | instskip(NEXT) | instid1(VALU_DEP_1)
	v_cndmask_b32_e32 v2, v2, v3, vcc_lo
	v_xor_b32_e32 v2, v2, v4
	s_delay_alu instid0(VALU_DEP_1) | instskip(NEXT) | instid1(VALU_DEP_1)
	v_sub_nc_u32_e32 v2, v2, v4
	v_cmp_eq_u32_e32 vcc_lo, 0, v2
	s_or_b32 s0, vcc_lo, s0
	s_delay_alu instid0(SALU_CYCLE_1)
	s_and_saveexec_b32 s18, s0
	s_cbranch_execz .LBB21_48
; %bb.50:                               ;   in Loop: Header=BB21_49 Depth=1
	global_load_b32 v2, v[70:71], off
	v_add_nc_u32_e32 v79, v76, v54
	ds_load_b128 v[6:9], v77
	v_cmp_eq_u32_e32 vcc_lo, s13, v78
	v_or_b32_e32 v81, 3, v79
	v_dual_add_nc_u32 v82, 1, v79 :: v_dual_bitop2_b32 v80, 2, v79 bitop3:0x54
	s_wait_loadcnt 0x0
	v_ashrrev_i32_e32 v3, 31, v2
	s_delay_alu instid0(VALU_DEP_1) | instskip(NEXT) | instid1(VALU_DEP_1)
	v_mul_u64_e32 v[2:3], s[8:9], v[2:3]
	v_lshl_add_u64 v[46:47], v[2:3], 2, v[68:69]
	global_load_b128 v[2:5], v[46:47], off
	s_wait_xcnt 0x0
	s_and_saveexec_b32 s1, vcc_lo
	s_cbranch_execnz .LBB21_62
; %bb.51:                               ;   in Loop: Header=BB21_49 Depth=1
	s_or_b32 exec_lo, exec_lo, s1
	global_load_b128 v[10:13], v[46:47], off offset:512
	s_wait_xcnt 0x0
	s_and_saveexec_b32 s1, vcc_lo
	s_cbranch_execnz .LBB21_63
.LBB21_52:                              ;   in Loop: Header=BB21_49 Depth=1
	s_or_b32 exec_lo, exec_lo, s1
	global_load_b128 v[14:17], v[46:47], off offset:1024
	s_wait_xcnt 0x0
	s_and_saveexec_b32 s1, vcc_lo
	s_cbranch_execnz .LBB21_64
.LBB21_53:                              ;   in Loop: Header=BB21_49 Depth=1
	s_or_b32 exec_lo, exec_lo, s1
	global_load_b128 v[18:21], v[46:47], off offset:1536
	s_wait_xcnt 0x0
	s_and_saveexec_b32 s1, vcc_lo
	s_cbranch_execnz .LBB21_65
.LBB21_54:                              ;   in Loop: Header=BB21_49 Depth=1
	s_or_b32 exec_lo, exec_lo, s1
	global_load_b128 v[22:25], v[46:47], off offset:2048
	s_wait_xcnt 0x0
	s_and_saveexec_b32 s1, vcc_lo
	s_cbranch_execnz .LBB21_66
.LBB21_55:                              ;   in Loop: Header=BB21_49 Depth=1
	s_or_b32 exec_lo, exec_lo, s1
	global_load_b128 v[26:29], v[46:47], off offset:2560
	s_wait_xcnt 0x0
	s_and_saveexec_b32 s1, vcc_lo
	s_cbranch_execnz .LBB21_67
.LBB21_56:                              ;   in Loop: Header=BB21_49 Depth=1
	s_or_b32 exec_lo, exec_lo, s1
	global_load_b128 v[30:33], v[46:47], off offset:3072
	s_wait_xcnt 0x0
	s_and_saveexec_b32 s1, vcc_lo
	s_cbranch_execnz .LBB21_68
.LBB21_57:                              ;   in Loop: Header=BB21_49 Depth=1
	s_or_b32 exec_lo, exec_lo, s1
	global_load_b128 v[34:37], v[46:47], off offset:3584
	s_wait_xcnt 0x0
	s_and_saveexec_b32 s1, vcc_lo
	s_cbranch_execnz .LBB21_69
.LBB21_58:                              ;   in Loop: Header=BB21_49 Depth=1
	s_or_b32 exec_lo, exec_lo, s1
	global_load_b128 v[38:41], v[46:47], off offset:4096
	s_wait_xcnt 0x0
	s_and_saveexec_b32 s1, vcc_lo
	s_cbranch_execnz .LBB21_70
.LBB21_59:                              ;   in Loop: Header=BB21_49 Depth=1
	s_or_b32 exec_lo, exec_lo, s1
	global_load_b128 v[42:45], v[46:47], off offset:4608
	s_wait_xcnt 0x0
	s_and_saveexec_b32 s1, vcc_lo
	s_cbranch_execnz .LBB21_71
.LBB21_60:                              ;   in Loop: Header=BB21_49 Depth=1
	s_or_b32 exec_lo, exec_lo, s1
	global_load_b128 v[50:53], v[46:47], off offset:5120
	s_wait_xcnt 0x0
	s_and_saveexec_b32 s19, vcc_lo
	s_cbranch_execnz .LBB21_72
.LBB21_61:                              ;   in Loop: Header=BB21_49 Depth=1
	s_or_b32 exec_lo, exec_lo, s19
	global_load_b128 v[46:49], v[46:47], off offset:5632
	s_wait_xcnt 0x0
	s_and_saveexec_b32 s0, vcc_lo
	s_cbranch_execz .LBB21_47
	s_branch .LBB21_73
.LBB21_62:                              ;   in Loop: Header=BB21_49 Depth=1
	v_cmp_gt_i32_e64 s0, s14, v82
	s_wait_loadcnt 0x0
	s_delay_alu instid0(VALU_DEP_1) | instskip(SKIP_1) | instid1(VALU_DEP_1)
	v_cndmask_b32_e64 v3, 0, v3, s0
	v_cmp_gt_i32_e64 s0, s31, v79
	v_cndmask_b32_e64 v2, 0, v2, s0
	v_cmp_gt_i32_e64 s0, s14, v81
	s_delay_alu instid0(VALU_DEP_1) | instskip(SKIP_1) | instid1(VALU_DEP_1)
	v_cndmask_b32_e64 v5, 0, v5, s0
	v_cmp_gt_i32_e64 s0, s31, v80
	v_cndmask_b32_e64 v4, 0, v4, s0
	s_or_b32 exec_lo, exec_lo, s1
	global_load_b128 v[10:13], v[46:47], off offset:512
	s_wait_xcnt 0x0
	s_and_saveexec_b32 s1, vcc_lo
	s_cbranch_execz .LBB21_52
.LBB21_63:                              ;   in Loop: Header=BB21_49 Depth=1
	v_cmp_gt_i32_e64 s0, s14, v82
	s_wait_loadcnt 0x0
	s_delay_alu instid0(VALU_DEP_1) | instskip(SKIP_1) | instid1(VALU_DEP_1)
	v_cndmask_b32_e64 v11, 0, v11, s0
	v_cmp_gt_i32_e64 s0, s31, v79
	v_cndmask_b32_e64 v10, 0, v10, s0
	v_cmp_gt_i32_e64 s0, s14, v81
	s_delay_alu instid0(VALU_DEP_1) | instskip(SKIP_1) | instid1(VALU_DEP_1)
	v_cndmask_b32_e64 v13, 0, v13, s0
	v_cmp_gt_i32_e64 s0, s31, v80
	v_cndmask_b32_e64 v12, 0, v12, s0
	s_or_b32 exec_lo, exec_lo, s1
	global_load_b128 v[14:17], v[46:47], off offset:1024
	s_wait_xcnt 0x0
	s_and_saveexec_b32 s1, vcc_lo
	s_cbranch_execz .LBB21_53
.LBB21_64:                              ;   in Loop: Header=BB21_49 Depth=1
	v_cmp_gt_i32_e64 s0, s14, v82
	s_wait_loadcnt 0x0
	s_delay_alu instid0(VALU_DEP_1) | instskip(SKIP_1) | instid1(VALU_DEP_1)
	v_cndmask_b32_e64 v15, 0, v15, s0
	v_cmp_gt_i32_e64 s0, s31, v79
	v_cndmask_b32_e64 v14, 0, v14, s0
	v_cmp_gt_i32_e64 s0, s14, v81
	s_delay_alu instid0(VALU_DEP_1) | instskip(SKIP_1) | instid1(VALU_DEP_1)
	v_cndmask_b32_e64 v17, 0, v17, s0
	v_cmp_gt_i32_e64 s0, s31, v80
	v_cndmask_b32_e64 v16, 0, v16, s0
	s_or_b32 exec_lo, exec_lo, s1
	global_load_b128 v[18:21], v[46:47], off offset:1536
	s_wait_xcnt 0x0
	s_and_saveexec_b32 s1, vcc_lo
	s_cbranch_execz .LBB21_54
.LBB21_65:                              ;   in Loop: Header=BB21_49 Depth=1
	v_cmp_gt_i32_e64 s0, s14, v82
	s_wait_loadcnt 0x0
	s_delay_alu instid0(VALU_DEP_1) | instskip(SKIP_1) | instid1(VALU_DEP_1)
	v_cndmask_b32_e64 v19, 0, v19, s0
	v_cmp_gt_i32_e64 s0, s31, v79
	v_cndmask_b32_e64 v18, 0, v18, s0
	v_cmp_gt_i32_e64 s0, s14, v81
	s_delay_alu instid0(VALU_DEP_1) | instskip(SKIP_1) | instid1(VALU_DEP_1)
	v_cndmask_b32_e64 v21, 0, v21, s0
	v_cmp_gt_i32_e64 s0, s31, v80
	v_cndmask_b32_e64 v20, 0, v20, s0
	s_or_b32 exec_lo, exec_lo, s1
	global_load_b128 v[22:25], v[46:47], off offset:2048
	s_wait_xcnt 0x0
	s_and_saveexec_b32 s1, vcc_lo
	s_cbranch_execz .LBB21_55
.LBB21_66:                              ;   in Loop: Header=BB21_49 Depth=1
	v_cmp_gt_i32_e64 s0, s14, v82
	s_wait_loadcnt 0x0
	s_delay_alu instid0(VALU_DEP_1) | instskip(SKIP_1) | instid1(VALU_DEP_1)
	v_cndmask_b32_e64 v23, 0, v23, s0
	v_cmp_gt_i32_e64 s0, s31, v79
	v_cndmask_b32_e64 v22, 0, v22, s0
	v_cmp_gt_i32_e64 s0, s14, v81
	s_delay_alu instid0(VALU_DEP_1) | instskip(SKIP_1) | instid1(VALU_DEP_1)
	v_cndmask_b32_e64 v25, 0, v25, s0
	v_cmp_gt_i32_e64 s0, s31, v80
	v_cndmask_b32_e64 v24, 0, v24, s0
	s_or_b32 exec_lo, exec_lo, s1
	global_load_b128 v[26:29], v[46:47], off offset:2560
	s_wait_xcnt 0x0
	s_and_saveexec_b32 s1, vcc_lo
	s_cbranch_execz .LBB21_56
.LBB21_67:                              ;   in Loop: Header=BB21_49 Depth=1
	v_cmp_gt_i32_e64 s0, s14, v82
	s_wait_loadcnt 0x0
	s_delay_alu instid0(VALU_DEP_1) | instskip(SKIP_1) | instid1(VALU_DEP_1)
	v_cndmask_b32_e64 v27, 0, v27, s0
	v_cmp_gt_i32_e64 s0, s31, v79
	v_cndmask_b32_e64 v26, 0, v26, s0
	v_cmp_gt_i32_e64 s0, s14, v81
	s_delay_alu instid0(VALU_DEP_1) | instskip(SKIP_1) | instid1(VALU_DEP_1)
	v_cndmask_b32_e64 v29, 0, v29, s0
	v_cmp_gt_i32_e64 s0, s31, v80
	v_cndmask_b32_e64 v28, 0, v28, s0
	s_or_b32 exec_lo, exec_lo, s1
	global_load_b128 v[30:33], v[46:47], off offset:3072
	s_wait_xcnt 0x0
	s_and_saveexec_b32 s1, vcc_lo
	s_cbranch_execz .LBB21_57
.LBB21_68:                              ;   in Loop: Header=BB21_49 Depth=1
	v_cmp_gt_i32_e64 s0, s14, v82
	s_wait_loadcnt 0x0
	s_delay_alu instid0(VALU_DEP_1) | instskip(SKIP_1) | instid1(VALU_DEP_1)
	v_cndmask_b32_e64 v31, 0, v31, s0
	v_cmp_gt_i32_e64 s0, s31, v79
	v_cndmask_b32_e64 v30, 0, v30, s0
	v_cmp_gt_i32_e64 s0, s14, v81
	s_delay_alu instid0(VALU_DEP_1) | instskip(SKIP_1) | instid1(VALU_DEP_1)
	v_cndmask_b32_e64 v33, 0, v33, s0
	v_cmp_gt_i32_e64 s0, s31, v80
	v_cndmask_b32_e64 v32, 0, v32, s0
	s_or_b32 exec_lo, exec_lo, s1
	global_load_b128 v[34:37], v[46:47], off offset:3584
	s_wait_xcnt 0x0
	s_and_saveexec_b32 s1, vcc_lo
	s_cbranch_execz .LBB21_58
.LBB21_69:                              ;   in Loop: Header=BB21_49 Depth=1
	v_cmp_gt_i32_e64 s0, s14, v82
	s_wait_loadcnt 0x0
	s_delay_alu instid0(VALU_DEP_1) | instskip(SKIP_1) | instid1(VALU_DEP_1)
	v_cndmask_b32_e64 v35, 0, v35, s0
	v_cmp_gt_i32_e64 s0, s31, v79
	v_cndmask_b32_e64 v34, 0, v34, s0
	v_cmp_gt_i32_e64 s0, s14, v81
	s_delay_alu instid0(VALU_DEP_1) | instskip(SKIP_1) | instid1(VALU_DEP_1)
	v_cndmask_b32_e64 v37, 0, v37, s0
	v_cmp_gt_i32_e64 s0, s31, v80
	v_cndmask_b32_e64 v36, 0, v36, s0
	s_or_b32 exec_lo, exec_lo, s1
	global_load_b128 v[38:41], v[46:47], off offset:4096
	s_wait_xcnt 0x0
	s_and_saveexec_b32 s1, vcc_lo
	s_cbranch_execz .LBB21_59
.LBB21_70:                              ;   in Loop: Header=BB21_49 Depth=1
	v_cmp_gt_i32_e64 s0, s14, v82
	s_wait_loadcnt 0x0
	s_delay_alu instid0(VALU_DEP_1) | instskip(SKIP_1) | instid1(VALU_DEP_1)
	v_cndmask_b32_e64 v39, 0, v39, s0
	v_cmp_gt_i32_e64 s0, s31, v79
	v_cndmask_b32_e64 v38, 0, v38, s0
	v_cmp_gt_i32_e64 s0, s14, v81
	s_delay_alu instid0(VALU_DEP_1) | instskip(SKIP_1) | instid1(VALU_DEP_1)
	v_cndmask_b32_e64 v41, 0, v41, s0
	v_cmp_gt_i32_e64 s0, s31, v80
	v_cndmask_b32_e64 v40, 0, v40, s0
	s_or_b32 exec_lo, exec_lo, s1
	global_load_b128 v[42:45], v[46:47], off offset:4608
	s_wait_xcnt 0x0
	s_and_saveexec_b32 s1, vcc_lo
	s_cbranch_execz .LBB21_60
.LBB21_71:                              ;   in Loop: Header=BB21_49 Depth=1
	v_cmp_gt_i32_e64 s0, s14, v82
	s_wait_loadcnt 0x0
	s_delay_alu instid0(VALU_DEP_1) | instskip(SKIP_1) | instid1(VALU_DEP_1)
	v_cndmask_b32_e64 v43, 0, v43, s0
	v_cmp_gt_i32_e64 s0, s31, v79
	v_cndmask_b32_e64 v42, 0, v42, s0
	v_cmp_gt_i32_e64 s0, s14, v81
	s_delay_alu instid0(VALU_DEP_1) | instskip(SKIP_1) | instid1(VALU_DEP_1)
	v_cndmask_b32_e64 v45, 0, v45, s0
	v_cmp_gt_i32_e64 s0, s31, v80
	v_cndmask_b32_e64 v44, 0, v44, s0
	s_or_b32 exec_lo, exec_lo, s1
	global_load_b128 v[50:53], v[46:47], off offset:5120
	s_wait_xcnt 0x0
	s_and_saveexec_b32 s19, vcc_lo
	s_cbranch_execz .LBB21_61
.LBB21_72:                              ;   in Loop: Header=BB21_49 Depth=1
	v_cmp_gt_i32_e64 s0, s14, v82
	v_cmp_gt_i32_e64 s1, s31, v79
	;; [unrolled: 1-line block ×4, first 2 shown]
	s_wait_loadcnt 0x0
	s_delay_alu instid0(VALU_DEP_3) | instskip(NEXT) | instid1(VALU_DEP_2)
	v_dual_cndmask_b32 v51, 0, v51, s0 :: v_dual_cndmask_b32 v50, 0, v50, s1
	v_dual_cndmask_b32 v53, 0, v53, s2 :: v_dual_cndmask_b32 v52, 0, v52, s3
	s_or_b32 exec_lo, exec_lo, s19
	global_load_b128 v[46:49], v[46:47], off offset:5632
	s_wait_xcnt 0x0
	s_and_saveexec_b32 s0, vcc_lo
	s_cbranch_execz .LBB21_47
.LBB21_73:                              ;   in Loop: Header=BB21_49 Depth=1
	v_cmp_gt_i32_e32 vcc_lo, s14, v82
	s_wait_loadcnt 0x0
	v_cndmask_b32_e32 v47, 0, v47, vcc_lo
	v_cmp_gt_i32_e32 vcc_lo, s31, v79
	v_cndmask_b32_e32 v46, 0, v46, vcc_lo
	v_cmp_gt_i32_e32 vcc_lo, s14, v81
	;; [unrolled: 2-line block ×3, first 2 shown]
	v_cndmask_b32_e32 v48, 0, v48, vcc_lo
	s_branch .LBB21_47
.LBB21_74:
	s_or_b32 exec_lo, exec_lo, s15
.LBB21_75:
	s_delay_alu instid0(SALU_CYCLE_1)
	s_or_b32 exec_lo, exec_lo, s24
	ds_bpermute_b32 v2, v73, v66
	ds_bpermute_b32 v3, v73, v67
	;; [unrolled: 1-line block ×12, first 2 shown]
	v_and_b32_e32 v17, 0x3c3, v0
	s_mov_b32 s0, exec_lo
	v_and_b32_e32 v16, 28, v72
	s_wait_dscnt 0x0
	s_barrier_signal -1
	s_barrier_wait -1
	v_pk_add_f32 v[2:3], v[66:67], v[2:3]
	v_pk_add_f32 v[4:5], v[64:65], v[4:5]
	;; [unrolled: 1-line block ×4, first 2 shown]
	ds_bpermute_b32 v8, v74, v2
	v_pk_add_f32 v[20:21], v[58:59], v[10:11]
	ds_bpermute_b32 v9, v74, v3
	v_pk_add_f32 v[12:13], v[56:57], v[12:13]
	ds_bpermute_b32 v22, v74, v4
	ds_bpermute_b32 v23, v74, v5
	;; [unrolled: 1-line block ×10, first 2 shown]
	s_wait_dscnt 0xa
	v_pk_add_f32 v[10:11], v[2:3], v[8:9]
	s_wait_dscnt 0x8
	v_pk_add_f32 v[8:9], v[4:5], v[22:23]
	;; [unrolled: 2-line block ×5, first 2 shown]
	v_cmpx_ne_u32_e32 64, v17
	s_xor_b32 s0, exec_lo, s0
	s_delay_alu instid0(SALU_CYCLE_1)
	s_or_saveexec_b32 s0, s0
	s_wait_dscnt 0x0
	v_pk_add_f32 v[12:13], v[12:13], v[14:15]
	v_lshrrev_b32_e32 v15, 2, v72
	v_add_nc_u32_e32 v14, 0x1a0, v16
	v_mul_u32_u24_e32 v1, 0x180, v1
	s_xor_b32 exec_lo, exec_lo, s0
	s_cbranch_execz .LBB21_77
; %bb.76:
	s_delay_alu instid0(VALU_DEP_1) | instskip(NEXT) | instid1(VALU_DEP_1)
	v_add_nc_u32_e32 v16, v14, v1
	v_add_nc_u32_e32 v17, 0xfffffd00, v16
	;; [unrolled: 1-line block ×13, first 2 shown]
	ds_store_b32 v17, v10
	ds_store_b32 v18, v11
	;; [unrolled: 1-line block ×12, first 2 shown]
.LBB21_77:
	s_or_b32 exec_lo, exec_lo, s0
	v_lshlrev_b32_e32 v15, 2, v15
	s_mov_b32 s1, exec_lo
	v_cmp_eq_u32_e32 vcc_lo, 0, v75
	s_wait_dscnt 0x0
	s_barrier_signal -1
	v_add3_u32 v1, 0x1a0, v1, v15
	s_barrier_wait -1
	v_cmpx_gt_u32_e32 64, v0
	s_cbranch_execz .LBB21_92
; %bb.78:
	s_and_saveexec_b32 s0, vcc_lo
	s_cbranch_execnz .LBB21_112
; %bb.79:
	s_or_b32 exec_lo, exec_lo, s0
	s_and_saveexec_b32 s0, vcc_lo
	s_cbranch_execnz .LBB21_113
.LBB21_80:
	s_or_b32 exec_lo, exec_lo, s0
	s_and_saveexec_b32 s0, vcc_lo
	s_cbranch_execnz .LBB21_114
.LBB21_81:
	s_or_b32 exec_lo, exec_lo, s0
	s_and_saveexec_b32 s0, vcc_lo
	s_cbranch_execnz .LBB21_115
.LBB21_82:
	s_or_b32 exec_lo, exec_lo, s0
	s_and_saveexec_b32 s0, vcc_lo
	s_cbranch_execnz .LBB21_116
.LBB21_83:
	s_or_b32 exec_lo, exec_lo, s0
	s_and_saveexec_b32 s0, vcc_lo
	s_cbranch_execnz .LBB21_117
.LBB21_84:
	s_or_b32 exec_lo, exec_lo, s0
	s_and_saveexec_b32 s0, vcc_lo
	s_cbranch_execnz .LBB21_118
.LBB21_85:
	s_or_b32 exec_lo, exec_lo, s0
	s_and_saveexec_b32 s0, vcc_lo
	s_cbranch_execnz .LBB21_119
.LBB21_86:
	s_or_b32 exec_lo, exec_lo, s0
	s_and_saveexec_b32 s0, vcc_lo
	s_cbranch_execnz .LBB21_120
.LBB21_87:
	s_or_b32 exec_lo, exec_lo, s0
	s_and_saveexec_b32 s0, vcc_lo
	s_cbranch_execnz .LBB21_121
.LBB21_88:
	s_or_b32 exec_lo, exec_lo, s0
	s_and_saveexec_b32 s0, vcc_lo
	s_cbranch_execnz .LBB21_122
.LBB21_89:
	s_or_b32 exec_lo, exec_lo, s0
	s_and_saveexec_b32 s0, vcc_lo
	s_cbranch_execz .LBB21_91
.LBB21_90:
	ds_load_b32 v15, v1 offset:352
	s_wait_dscnt 0x0
	v_add_f32_e32 v13, v13, v15
.LBB21_91:
	s_or_b32 exec_lo, exec_lo, s0
.LBB21_92:
	s_delay_alu instid0(SALU_CYCLE_1) | instskip(SKIP_4) | instid1(VALU_DEP_1)
	s_or_b32 exec_lo, exec_lo, s1
	v_and_b32_e32 v15, 0x3e3, v0
	s_mov_b32 s1, exec_lo
	s_barrier_signal -1
	s_barrier_wait -1
	v_cmpx_eq_u32_e32 32, v15
	s_cbranch_execz .LBB21_94
; %bb.93:
	ds_store_2addr_b32 v14, v10, v11 offset1:8
	ds_store_2addr_b32 v14, v8, v9 offset0:16 offset1:24
	ds_store_2addr_b32 v14, v6, v7 offset0:32 offset1:40
	;; [unrolled: 1-line block ×5, first 2 shown]
.LBB21_94:
	s_or_b32 exec_lo, exec_lo, s1
	s_delay_alu instid0(SALU_CYCLE_1)
	s_mov_b32 s1, exec_lo
	s_wait_dscnt 0x0
	s_barrier_signal -1
	s_barrier_wait -1
	v_cmpx_gt_u32_e32 32, v0
	s_cbranch_execz .LBB21_109
; %bb.95:
	s_and_saveexec_b32 s0, vcc_lo
	s_cbranch_execnz .LBB21_123
; %bb.96:
	s_or_b32 exec_lo, exec_lo, s0
	s_and_saveexec_b32 s0, vcc_lo
	s_cbranch_execnz .LBB21_124
.LBB21_97:
	s_or_b32 exec_lo, exec_lo, s0
	s_and_saveexec_b32 s0, vcc_lo
	s_cbranch_execnz .LBB21_125
.LBB21_98:
	s_or_b32 exec_lo, exec_lo, s0
	s_and_saveexec_b32 s0, vcc_lo
	s_cbranch_execnz .LBB21_126
.LBB21_99:
	s_or_b32 exec_lo, exec_lo, s0
	s_and_saveexec_b32 s0, vcc_lo
	s_cbranch_execnz .LBB21_127
.LBB21_100:
	s_or_b32 exec_lo, exec_lo, s0
	s_and_saveexec_b32 s0, vcc_lo
	s_cbranch_execnz .LBB21_128
.LBB21_101:
	s_or_b32 exec_lo, exec_lo, s0
	s_and_saveexec_b32 s0, vcc_lo
	s_cbranch_execnz .LBB21_129
.LBB21_102:
	s_or_b32 exec_lo, exec_lo, s0
	s_and_saveexec_b32 s0, vcc_lo
	s_cbranch_execnz .LBB21_130
.LBB21_103:
	s_or_b32 exec_lo, exec_lo, s0
	s_and_saveexec_b32 s0, vcc_lo
	s_cbranch_execnz .LBB21_131
.LBB21_104:
	s_or_b32 exec_lo, exec_lo, s0
	s_and_saveexec_b32 s0, vcc_lo
	s_cbranch_execnz .LBB21_132
.LBB21_105:
	s_or_b32 exec_lo, exec_lo, s0
	s_and_saveexec_b32 s0, vcc_lo
	s_cbranch_execnz .LBB21_133
.LBB21_106:
	s_or_b32 exec_lo, exec_lo, s0
	s_and_saveexec_b32 s0, vcc_lo
	s_cbranch_execz .LBB21_108
.LBB21_107:
	ds_load_b32 v1, v1 offset:352
	s_wait_dscnt 0x0
	v_add_f32_e32 v13, v13, v1
.LBB21_108:
	s_or_b32 exec_lo, exec_lo, s0
.LBB21_109:
	s_delay_alu instid0(SALU_CYCLE_1)
	s_or_b32 exec_lo, exec_lo, s1
	s_mov_b32 s1, 0
	s_barrier_signal -1
	s_barrier_wait -1
	s_mov_b32 s0, exec_lo
	v_cmpx_eq_u32_e32 0, v15
	s_cbranch_execz .LBB21_111
; %bb.110:
	s_mul_i32 s0, s30, s7
	s_mul_i32 s2, s7, s6
	;; [unrolled: 1-line block ×3, first 2 shown]
	s_lshr_b32 s8, ttmp7, 16
	s_mul_i32 s6, s0, 0x60
	s_bfe_u32 s0, ttmp6, 0x40014
	s_ashr_i32 s7, s6, 31
	s_add_co_i32 s0, s0, 1
	s_ashr_i32 s3, s2, 31
	s_mul_i32 s0, s8, s0
	s_bfe_u32 s9, ttmp6, 0x40008
	s_lshl_b64 s[6:7], s[6:7], 2
	s_lshl_b64 s[2:3], s[2:3], 2
	s_add_co_i32 s9, s9, s0
	s_cmp_eq_u32 s28, 0
	s_wait_kmcnt 0x0
	s_add_nc_u64 s[4:5], s[4:5], s[6:7]
	s_cselect_b32 s0, s8, s9
	s_add_nc_u64 s[2:3], s[4:5], s[2:3]
	s_mulk_i32 s0, 0x180
	s_delay_alu instid0(SALU_CYCLE_1)
	s_add_nc_u64 s[0:1], s[2:3], s[0:1]
	s_clause 0xb
	global_store_b32 v0, v10, s[0:1]
	global_store_b32 v0, v11, s[0:1] offset:32
	global_store_b32 v0, v8, s[0:1] offset:64
	global_store_b32 v0, v9, s[0:1] offset:96
	global_store_b32 v0, v6, s[0:1] offset:128
	global_store_b32 v0, v7, s[0:1] offset:160
	global_store_b32 v0, v4, s[0:1] offset:192
	global_store_b32 v0, v5, s[0:1] offset:224
	global_store_b32 v0, v2, s[0:1] offset:256
	global_store_b32 v0, v3, s[0:1] offset:288
	global_store_b32 v0, v12, s[0:1] offset:320
	global_store_b32 v0, v13, s[0:1] offset:352
.LBB21_111:
	s_sendmsg sendmsg(MSG_DEALLOC_VGPRS)
	s_endpgm
.LBB21_112:
	ds_load_b32 v15, v1
	s_wait_dscnt 0x0
	v_add_f32_e32 v10, v10, v15
	s_or_b32 exec_lo, exec_lo, s0
	s_and_saveexec_b32 s0, vcc_lo
	s_cbranch_execz .LBB21_80
.LBB21_113:
	ds_load_b32 v15, v1 offset:32
	s_wait_dscnt 0x0
	v_add_f32_e32 v11, v11, v15
	s_or_b32 exec_lo, exec_lo, s0
	s_and_saveexec_b32 s0, vcc_lo
	s_cbranch_execz .LBB21_81
.LBB21_114:
	ds_load_b32 v15, v1 offset:64
	s_wait_dscnt 0x0
	v_add_f32_e32 v8, v8, v15
	s_or_b32 exec_lo, exec_lo, s0
	s_and_saveexec_b32 s0, vcc_lo
	s_cbranch_execz .LBB21_82
.LBB21_115:
	ds_load_b32 v15, v1 offset:96
	s_wait_dscnt 0x0
	v_add_f32_e32 v9, v9, v15
	s_or_b32 exec_lo, exec_lo, s0
	s_and_saveexec_b32 s0, vcc_lo
	s_cbranch_execz .LBB21_83
.LBB21_116:
	ds_load_b32 v15, v1 offset:128
	s_wait_dscnt 0x0
	v_add_f32_e32 v6, v6, v15
	s_or_b32 exec_lo, exec_lo, s0
	s_and_saveexec_b32 s0, vcc_lo
	s_cbranch_execz .LBB21_84
.LBB21_117:
	ds_load_b32 v15, v1 offset:160
	s_wait_dscnt 0x0
	v_add_f32_e32 v7, v7, v15
	s_or_b32 exec_lo, exec_lo, s0
	s_and_saveexec_b32 s0, vcc_lo
	s_cbranch_execz .LBB21_85
.LBB21_118:
	ds_load_b32 v15, v1 offset:192
	s_wait_dscnt 0x0
	v_add_f32_e32 v4, v4, v15
	s_or_b32 exec_lo, exec_lo, s0
	s_and_saveexec_b32 s0, vcc_lo
	s_cbranch_execz .LBB21_86
.LBB21_119:
	ds_load_b32 v15, v1 offset:224
	s_wait_dscnt 0x0
	v_add_f32_e32 v5, v5, v15
	s_or_b32 exec_lo, exec_lo, s0
	s_and_saveexec_b32 s0, vcc_lo
	s_cbranch_execz .LBB21_87
.LBB21_120:
	ds_load_b32 v15, v1 offset:256
	s_wait_dscnt 0x0
	v_add_f32_e32 v2, v2, v15
	s_or_b32 exec_lo, exec_lo, s0
	s_and_saveexec_b32 s0, vcc_lo
	s_cbranch_execz .LBB21_88
.LBB21_121:
	ds_load_b32 v15, v1 offset:288
	s_wait_dscnt 0x0
	v_add_f32_e32 v3, v3, v15
	s_or_b32 exec_lo, exec_lo, s0
	s_and_saveexec_b32 s0, vcc_lo
	s_cbranch_execz .LBB21_89
.LBB21_122:
	ds_load_b32 v15, v1 offset:320
	s_wait_dscnt 0x0
	v_add_f32_e32 v12, v12, v15
	s_or_b32 exec_lo, exec_lo, s0
	s_and_saveexec_b32 s0, vcc_lo
	s_cbranch_execnz .LBB21_90
	s_branch .LBB21_91
.LBB21_123:
	ds_load_b32 v14, v1
	s_wait_dscnt 0x0
	v_add_f32_e32 v10, v10, v14
	s_or_b32 exec_lo, exec_lo, s0
	s_and_saveexec_b32 s0, vcc_lo
	s_cbranch_execz .LBB21_97
.LBB21_124:
	ds_load_b32 v14, v1 offset:32
	s_wait_dscnt 0x0
	v_add_f32_e32 v11, v11, v14
	s_or_b32 exec_lo, exec_lo, s0
	s_and_saveexec_b32 s0, vcc_lo
	s_cbranch_execz .LBB21_98
.LBB21_125:
	ds_load_b32 v14, v1 offset:64
	s_wait_dscnt 0x0
	v_add_f32_e32 v8, v8, v14
	s_or_b32 exec_lo, exec_lo, s0
	s_and_saveexec_b32 s0, vcc_lo
	s_cbranch_execz .LBB21_99
.LBB21_126:
	ds_load_b32 v14, v1 offset:96
	s_wait_dscnt 0x0
	v_add_f32_e32 v9, v9, v14
	s_or_b32 exec_lo, exec_lo, s0
	s_and_saveexec_b32 s0, vcc_lo
	s_cbranch_execz .LBB21_100
.LBB21_127:
	ds_load_b32 v14, v1 offset:128
	s_wait_dscnt 0x0
	v_add_f32_e32 v6, v6, v14
	s_or_b32 exec_lo, exec_lo, s0
	s_and_saveexec_b32 s0, vcc_lo
	s_cbranch_execz .LBB21_101
.LBB21_128:
	ds_load_b32 v14, v1 offset:160
	s_wait_dscnt 0x0
	v_add_f32_e32 v7, v7, v14
	s_or_b32 exec_lo, exec_lo, s0
	s_and_saveexec_b32 s0, vcc_lo
	s_cbranch_execz .LBB21_102
.LBB21_129:
	ds_load_b32 v14, v1 offset:192
	s_wait_dscnt 0x0
	v_add_f32_e32 v4, v4, v14
	s_or_b32 exec_lo, exec_lo, s0
	s_and_saveexec_b32 s0, vcc_lo
	s_cbranch_execz .LBB21_103
.LBB21_130:
	ds_load_b32 v14, v1 offset:224
	s_wait_dscnt 0x0
	v_add_f32_e32 v5, v5, v14
	s_or_b32 exec_lo, exec_lo, s0
	s_and_saveexec_b32 s0, vcc_lo
	s_cbranch_execz .LBB21_104
.LBB21_131:
	ds_load_b32 v14, v1 offset:256
	s_wait_dscnt 0x0
	v_add_f32_e32 v2, v2, v14
	s_or_b32 exec_lo, exec_lo, s0
	s_and_saveexec_b32 s0, vcc_lo
	s_cbranch_execz .LBB21_105
.LBB21_132:
	ds_load_b32 v14, v1 offset:288
	s_wait_dscnt 0x0
	v_add_f32_e32 v3, v3, v14
	s_or_b32 exec_lo, exec_lo, s0
	s_and_saveexec_b32 s0, vcc_lo
	s_cbranch_execz .LBB21_106
.LBB21_133:
	ds_load_b32 v14, v1 offset:320
	s_wait_dscnt 0x0
	v_add_f32_e32 v12, v12, v14
	s_or_b32 exec_lo, exec_lo, s0
	s_and_saveexec_b32 s0, vcc_lo
	s_cbranch_execnz .LBB21_107
	s_branch .LBB21_108
	.section	.rodata,"a",@progbits
	.p2align	6, 0x0
	.amdhsa_kernel _ZN4vllm25paged_attention_v1_kernelIffLi96ELi16ELi128ELNS_18Fp8KVCacheDataTypeE0ELb1EEEvPT_PKS2_PKT0_S8_ifPKiSA_iPKfiiiSC_SC_iiiii
		.amdhsa_group_segment_fixed_size 416
		.amdhsa_private_segment_fixed_size 0
		.amdhsa_kernarg_size 384
		.amdhsa_user_sgpr_count 2
		.amdhsa_user_sgpr_dispatch_ptr 0
		.amdhsa_user_sgpr_queue_ptr 0
		.amdhsa_user_sgpr_kernarg_segment_ptr 1
		.amdhsa_user_sgpr_dispatch_id 0
		.amdhsa_user_sgpr_kernarg_preload_length 0
		.amdhsa_user_sgpr_kernarg_preload_offset 0
		.amdhsa_user_sgpr_private_segment_size 0
		.amdhsa_wavefront_size32 1
		.amdhsa_uses_dynamic_stack 0
		.amdhsa_enable_private_segment 0
		.amdhsa_system_sgpr_workgroup_id_x 1
		.amdhsa_system_sgpr_workgroup_id_y 1
		.amdhsa_system_sgpr_workgroup_id_z 1
		.amdhsa_system_sgpr_workgroup_info 0
		.amdhsa_system_vgpr_workitem_id 0
		.amdhsa_next_free_vgpr 83
		.amdhsa_next_free_sgpr 40
		.amdhsa_named_barrier_count 0
		.amdhsa_reserve_vcc 1
		.amdhsa_float_round_mode_32 0
		.amdhsa_float_round_mode_16_64 0
		.amdhsa_float_denorm_mode_32 3
		.amdhsa_float_denorm_mode_16_64 3
		.amdhsa_fp16_overflow 0
		.amdhsa_memory_ordered 1
		.amdhsa_forward_progress 1
		.amdhsa_inst_pref_size 66
		.amdhsa_round_robin_scheduling 0
		.amdhsa_exception_fp_ieee_invalid_op 0
		.amdhsa_exception_fp_denorm_src 0
		.amdhsa_exception_fp_ieee_div_zero 0
		.amdhsa_exception_fp_ieee_overflow 0
		.amdhsa_exception_fp_ieee_underflow 0
		.amdhsa_exception_fp_ieee_inexact 0
		.amdhsa_exception_int_div_zero 0
	.end_amdhsa_kernel
	.section	.text._ZN4vllm25paged_attention_v1_kernelIffLi96ELi16ELi128ELNS_18Fp8KVCacheDataTypeE0ELb1EEEvPT_PKS2_PKT0_S8_ifPKiSA_iPKfiiiSC_SC_iiiii,"axG",@progbits,_ZN4vllm25paged_attention_v1_kernelIffLi96ELi16ELi128ELNS_18Fp8KVCacheDataTypeE0ELb1EEEvPT_PKS2_PKT0_S8_ifPKiSA_iPKfiiiSC_SC_iiiii,comdat
.Lfunc_end21:
	.size	_ZN4vllm25paged_attention_v1_kernelIffLi96ELi16ELi128ELNS_18Fp8KVCacheDataTypeE0ELb1EEEvPT_PKS2_PKT0_S8_ifPKiSA_iPKfiiiSC_SC_iiiii, .Lfunc_end21-_ZN4vllm25paged_attention_v1_kernelIffLi96ELi16ELi128ELNS_18Fp8KVCacheDataTypeE0ELb1EEEvPT_PKS2_PKT0_S8_ifPKiSA_iPKfiiiSC_SC_iiiii
                                        ; -- End function
	.set _ZN4vllm25paged_attention_v1_kernelIffLi96ELi16ELi128ELNS_18Fp8KVCacheDataTypeE0ELb1EEEvPT_PKS2_PKT0_S8_ifPKiSA_iPKfiiiSC_SC_iiiii.num_vgpr, 83
	.set _ZN4vllm25paged_attention_v1_kernelIffLi96ELi16ELi128ELNS_18Fp8KVCacheDataTypeE0ELb1EEEvPT_PKS2_PKT0_S8_ifPKiSA_iPKfiiiSC_SC_iiiii.num_agpr, 0
	.set _ZN4vllm25paged_attention_v1_kernelIffLi96ELi16ELi128ELNS_18Fp8KVCacheDataTypeE0ELb1EEEvPT_PKS2_PKT0_S8_ifPKiSA_iPKfiiiSC_SC_iiiii.numbered_sgpr, 40
	.set _ZN4vllm25paged_attention_v1_kernelIffLi96ELi16ELi128ELNS_18Fp8KVCacheDataTypeE0ELb1EEEvPT_PKS2_PKT0_S8_ifPKiSA_iPKfiiiSC_SC_iiiii.num_named_barrier, 0
	.set _ZN4vllm25paged_attention_v1_kernelIffLi96ELi16ELi128ELNS_18Fp8KVCacheDataTypeE0ELb1EEEvPT_PKS2_PKT0_S8_ifPKiSA_iPKfiiiSC_SC_iiiii.private_seg_size, 0
	.set _ZN4vllm25paged_attention_v1_kernelIffLi96ELi16ELi128ELNS_18Fp8KVCacheDataTypeE0ELb1EEEvPT_PKS2_PKT0_S8_ifPKiSA_iPKfiiiSC_SC_iiiii.uses_vcc, 1
	.set _ZN4vllm25paged_attention_v1_kernelIffLi96ELi16ELi128ELNS_18Fp8KVCacheDataTypeE0ELb1EEEvPT_PKS2_PKT0_S8_ifPKiSA_iPKfiiiSC_SC_iiiii.uses_flat_scratch, 0
	.set _ZN4vllm25paged_attention_v1_kernelIffLi96ELi16ELi128ELNS_18Fp8KVCacheDataTypeE0ELb1EEEvPT_PKS2_PKT0_S8_ifPKiSA_iPKfiiiSC_SC_iiiii.has_dyn_sized_stack, 0
	.set _ZN4vllm25paged_attention_v1_kernelIffLi96ELi16ELi128ELNS_18Fp8KVCacheDataTypeE0ELb1EEEvPT_PKS2_PKT0_S8_ifPKiSA_iPKfiiiSC_SC_iiiii.has_recursion, 0
	.set _ZN4vllm25paged_attention_v1_kernelIffLi96ELi16ELi128ELNS_18Fp8KVCacheDataTypeE0ELb1EEEvPT_PKS2_PKT0_S8_ifPKiSA_iPKfiiiSC_SC_iiiii.has_indirect_call, 0
	.section	.AMDGPU.csdata,"",@progbits
; Kernel info:
; codeLenInByte = 8336
; TotalNumSgprs: 42
; NumVgprs: 83
; ScratchSize: 0
; MemoryBound: 0
; FloatMode: 240
; IeeeMode: 1
; LDSByteSize: 416 bytes/workgroup (compile time only)
; SGPRBlocks: 0
; VGPRBlocks: 5
; NumSGPRsForWavesPerEU: 42
; NumVGPRsForWavesPerEU: 83
; NamedBarCnt: 0
; Occupancy: 10
; WaveLimiterHint : 1
; COMPUTE_PGM_RSRC2:SCRATCH_EN: 0
; COMPUTE_PGM_RSRC2:USER_SGPR: 2
; COMPUTE_PGM_RSRC2:TRAP_HANDLER: 0
; COMPUTE_PGM_RSRC2:TGID_X_EN: 1
; COMPUTE_PGM_RSRC2:TGID_Y_EN: 1
; COMPUTE_PGM_RSRC2:TGID_Z_EN: 1
; COMPUTE_PGM_RSRC2:TIDIG_COMP_CNT: 0
	.section	.text._ZN4vllm25paged_attention_v1_kernelIffLi112ELi16ELi128ELNS_18Fp8KVCacheDataTypeE0ELb1EEEvPT_PKS2_PKT0_S8_ifPKiSA_iPKfiiiSC_SC_iiiii,"axG",@progbits,_ZN4vllm25paged_attention_v1_kernelIffLi112ELi16ELi128ELNS_18Fp8KVCacheDataTypeE0ELb1EEEvPT_PKS2_PKT0_S8_ifPKiSA_iPKfiiiSC_SC_iiiii,comdat
	.protected	_ZN4vllm25paged_attention_v1_kernelIffLi112ELi16ELi128ELNS_18Fp8KVCacheDataTypeE0ELb1EEEvPT_PKS2_PKT0_S8_ifPKiSA_iPKfiiiSC_SC_iiiii ; -- Begin function _ZN4vllm25paged_attention_v1_kernelIffLi112ELi16ELi128ELNS_18Fp8KVCacheDataTypeE0ELb1EEEvPT_PKS2_PKT0_S8_ifPKiSA_iPKfiiiSC_SC_iiiii
	.globl	_ZN4vllm25paged_attention_v1_kernelIffLi112ELi16ELi128ELNS_18Fp8KVCacheDataTypeE0ELb1EEEvPT_PKS2_PKT0_S8_ifPKiSA_iPKfiiiSC_SC_iiiii
	.p2align	8
	.type	_ZN4vllm25paged_attention_v1_kernelIffLi112ELi16ELi128ELNS_18Fp8KVCacheDataTypeE0ELb1EEEvPT_PKS2_PKT0_S8_ifPKiSA_iPKfiiiSC_SC_iiiii,@function
_ZN4vllm25paged_attention_v1_kernelIffLi112ELi16ELi128ELNS_18Fp8KVCacheDataTypeE0ELb1EEEvPT_PKS2_PKT0_S8_ifPKiSA_iPKfiiiSC_SC_iiiii: ; @_ZN4vllm25paged_attention_v1_kernelIffLi112ELi16ELi128ELNS_18Fp8KVCacheDataTypeE0ELb1EEEvPT_PKS2_PKT0_S8_ifPKiSA_iPKfiiiSC_SC_iiiii
; %bb.0:
	s_load_b64 s[22:23], s[0:1], 0x20
	s_bfe_u32 s3, ttmp6, 0x4000c
	s_bfe_u32 s4, ttmp6, 0x40010
	s_and_b32 s6, ttmp7, 0xffff
	s_add_co_i32 s3, s3, 1
	s_add_co_i32 s4, s4, 1
	s_and_b32 s2, ttmp6, 15
	s_bfe_u32 s5, ttmp6, 0x40004
	s_mul_i32 s3, ttmp9, s3
	s_mul_i32 s4, s6, s4
	s_getreg_b32 s28, hwreg(HW_REG_IB_STS2, 6, 4)
	s_add_co_i32 s2, s2, s3
	s_add_co_i32 s3, s5, s4
	s_cmp_eq_u32 s28, 0
	s_clause 0x1
	s_load_b32 s29, s[0:1], 0x80
	s_load_b64 s[4:5], s[0:1], 0x30
	s_cselect_b32 s30, s6, s3
	s_cselect_b32 s2, ttmp9, s2
	s_mov_b32 s17, 0
	s_delay_alu instid0(SALU_CYCLE_1) | instskip(SKIP_2) | instid1(SALU_CYCLE_1)
	s_mov_b32 s36, s17
	s_wait_kmcnt 0x0
	s_abs_i32 s3, s22
	s_cvt_f32_u32 s6, s3
	s_sub_co_i32 s7, 0, s3
	s_delay_alu instid0(SALU_CYCLE_2) | instskip(SKIP_2) | instid1(TRANS32_DEP_1)
	v_rcp_iflag_f32_e32 v1, s6
	s_abs_i32 s8, s29
	v_nop
	v_readfirstlane_b32 s6, v1
	s_mul_f32 s6, s6, 0x4f7ffffe
	s_delay_alu instid0(SALU_CYCLE_3) | instskip(NEXT) | instid1(SALU_CYCLE_3)
	s_cvt_u32_f32 s6, s6
	s_mul_i32 s7, s7, s6
	s_delay_alu instid0(SALU_CYCLE_1) | instskip(NEXT) | instid1(SALU_CYCLE_1)
	s_mul_hi_u32 s7, s6, s7
	s_add_co_i32 s6, s6, s7
	s_xor_b32 s7, s29, s22
	s_mul_hi_u32 s6, s8, s6
	s_ashr_i32 s7, s7, 31
	s_mul_i32 s9, s6, s3
	s_delay_alu instid0(SALU_CYCLE_1)
	s_sub_co_i32 s8, s8, s9
	s_add_co_i32 s9, s6, 1
	s_sub_co_i32 s10, s8, s3
	s_cmp_ge_u32 s8, s3
	s_cselect_b32 s6, s9, s6
	s_cselect_b32 s8, s10, s8
	s_add_co_i32 s9, s6, 1
	s_cmp_ge_u32 s8, s3
	s_cselect_b32 s3, s9, s6
	s_load_b64 s[8:9], s[0:1], 0x40
	s_xor_b32 s3, s3, s7
	s_abs_i32 s16, s2
	s_sub_co_i32 s10, s3, s7
	s_mov_b32 s7, s17
	s_abs_i32 s15, s10
	s_delay_alu instid0(SALU_CYCLE_1) | instskip(SKIP_1) | instid1(SALU_CYCLE_2)
	s_cvt_f32_u32 s3, s15
	s_sub_co_i32 s6, 0, s15
	v_rcp_iflag_f32_e32 v1, s3
	v_nop
	s_delay_alu instid0(TRANS32_DEP_1) | instskip(SKIP_1) | instid1(SALU_CYCLE_3)
	v_readfirstlane_b32 s3, v1
	s_mul_f32 s3, s3, 0x4f7ffffe
	s_cvt_u32_f32 s3, s3
	s_delay_alu instid0(SALU_CYCLE_3) | instskip(NEXT) | instid1(SALU_CYCLE_1)
	s_mul_i32 s6, s6, s3
	s_mul_hi_u32 s6, s3, s6
	s_delay_alu instid0(SALU_CYCLE_1)
	s_add_co_i32 s6, s3, s6
	s_wait_kmcnt 0x0
	s_cmp_eq_u64 s[8:9], 0
	s_cbranch_scc1 .LBB22_2
; %bb.1:
	s_ashr_i32 s3, s2, 31
	s_delay_alu instid0(SALU_CYCLE_1) | instskip(NEXT) | instid1(SALU_CYCLE_1)
	s_lshl_b64 s[12:13], s[2:3], 2
	s_add_nc_u64 s[8:9], s[8:9], s[12:13]
	s_load_b32 s36, s[8:9], 0x0
.LBB22_2:
	s_load_b32 s31, s[4:5], s30 offset:0x0 scale_offset
	s_load_b96 s[12:14], s[0:1], 0x48
	v_dual_lshlrev_b32 v14, 2, v0 :: v_dual_bitop2_b32 v4, 1, v0 bitop3:0x40
	s_wait_xcnt 0x0
	s_mul_u64 s[4:5], s[16:17], s[6:7]
	s_ashr_i32 s3, s2, 31
	s_ashr_i32 s18, s10, 31
	s_mul_i32 s6, s2, 0x70
	s_mov_b32 s4, exec_lo
	v_cmpx_gt_u32_e32 56, v0
	s_cbranch_execz .LBB22_4
; %bb.3:
	s_load_b64 s[8:9], s[0:1], 0x8
	s_wait_kmcnt 0x0
	s_mul_i32 s10, s12, s30
	s_ashr_i32 s7, s6, 31
	s_ashr_i32 s11, s10, 31
	v_and_b32_e32 v1, 0xff8, v14
	s_lshl_b64 s[10:11], s[10:11], 2
	s_delay_alu instid0(VALU_DEP_1) | instskip(SKIP_2) | instid1(SALU_CYCLE_1)
	v_mad_u32_u24 v1, 0xe0, v4, v1
	s_add_nc_u64 s[8:9], s[8:9], s[10:11]
	s_lshl_b64 s[10:11], s[6:7], 2
	s_add_nc_u64 s[8:9], s[8:9], s[10:11]
	global_load_b64 v[2:3], v0, s[8:9] scale_offset
	s_wait_loadcnt 0x0
	ds_store_b64 v1, v[2:3]
.LBB22_4:
	s_or_b32 exec_lo, exec_lo, s4
	s_load_b128 s[8:11], s[0:1], 0x68
	s_mul_i32 s4, s5, s15
	s_xor_b32 s3, s3, s18
	s_sub_co_i32 s4, s16, s4
	s_add_co_i32 s7, s5, 1
	s_wait_kmcnt 0x0
	s_sub_co_i32 s12, s4, s15
	s_cmp_ge_u32 s4, s15
	s_mov_b32 s18, -1
	s_cselect_b32 s5, s7, s5
	s_cselect_b32 s4, s12, s4
	s_add_co_i32 s12, s5, 1
	s_cmp_ge_u32 s4, s15
	s_load_b32 s7, s[0:1], 0x78
	s_cselect_b32 s4, s12, s5
	s_add_co_i32 s15, s31, -1
	s_xor_b32 s4, s4, s3
	s_wait_dscnt 0x0
	s_sub_co_i32 s3, s4, s3
	s_barrier_signal -1
	s_barrier_wait -1
	s_abs_i32 s12, s11
	s_delay_alu instid0(SALU_CYCLE_1) | instskip(NEXT) | instid1(SALU_CYCLE_3)
	s_cvt_f32_u32 s5, s12
                                        ; implicit-def: $sgpr33
	v_rcp_iflag_f32_e32 v1, s5
	v_nop
	s_delay_alu instid0(TRANS32_DEP_1) | instskip(SKIP_1) | instid1(SALU_CYCLE_3)
	v_readfirstlane_b32 s5, v1
	s_mul_f32 s4, s5, 0x4f7ffffe
	s_cvt_u32_f32 s16, s4
	s_sub_co_i32 s4, 0, s12
	s_delay_alu instid0(SALU_CYCLE_2)
	s_mul_i32 s5, s4, s16
	s_abs_i32 s4, s15
	s_mul_hi_u32 s17, s16, s5
	s_mov_b32 s5, 0
	s_add_co_i32 s16, s16, s17
	s_wait_kmcnt 0x0
	s_cmp_lt_i32 s7, 0
	s_mov_b32 s17, s5
	s_cbranch_scc0 .LBB22_6
; %bb.5:
	s_mul_i32 s18, s8, s22
	s_delay_alu instid0(SALU_CYCLE_1) | instskip(NEXT) | instid1(SALU_CYCLE_1)
	s_add_co_i32 s18, s3, s18
	s_mul_i32 s18, s18, s7
	s_delay_alu instid0(SALU_CYCLE_1)
	s_sub_co_i32 s33, 1, s18
	s_mov_b32 s18, s5
.LBB22_6:
	s_ashr_i32 s15, s15, 31
	s_ashr_i32 s34, s11, 31
	s_and_not1_b32 vcc_lo, exec_lo, s18
	s_mul_u64 s[24:25], s[4:5], s[16:17]
	s_cbranch_vccnz .LBB22_8
; %bb.7:
	s_mul_i32 s5, s29, s8
	s_delay_alu instid0(SALU_CYCLE_1) | instskip(NEXT) | instid1(SALU_CYCLE_1)
	s_add_co_i32 s2, s5, s2
	s_mul_i32 s2, s2, s7
	s_delay_alu instid0(SALU_CYCLE_1)
	s_add_co_i32 s33, s2, 1
.LBB22_8:
	s_load_b32 s2, s[0:1], 0x38
	s_mul_i32 s7, s25, s12
	s_xor_b32 s5, s15, s34
	s_sub_co_i32 s4, s4, s7
	s_add_co_i32 s8, s25, 1
	s_clause 0x1
	s_load_b64 s[18:19], s[0:1], 0x28
	s_load_b32 s7, s[0:1], 0x88
	v_dual_lshrrev_b32 v1, 5, v0 :: v_dual_lshrrev_b32 v15, 3, v0
	v_mov_b32_e32 v19, 0xff7fffff
	v_mbcnt_lo_u32_b32 v16, -1, 0
	s_mul_i32 s14, s3, s14
	s_delay_alu instid0(VALU_DEP_3)
	v_lshlrev_b32_e32 v62, 4, v1
	s_wait_kmcnt 0x0
	s_mul_i32 s20, s2, s30
	s_sub_co_i32 s2, s4, s12
	s_ashr_i32 s21, s20, 31
	s_cmp_ge_u32 s4, s12
	s_cselect_b32 s8, s8, s25
	s_cselect_b32 s2, s2, s4
	s_add_co_i32 s4, s8, 1
	s_cmp_ge_u32 s2, s12
	s_cselect_b32 s2, s4, s8
	s_add_co_i32 s4, s31, 15
	s_delay_alu instid0(SALU_CYCLE_1) | instskip(NEXT) | instid1(SALU_CYCLE_1)
	s_ashr_i32 s8, s4, 31
	s_lshr_b32 s8, s8, 28
	s_delay_alu instid0(SALU_CYCLE_1) | instskip(NEXT) | instid1(SALU_CYCLE_1)
	s_add_co_i32 s4, s4, s8
	s_ashr_i32 s35, s4, 4
	s_xor_b32 s4, s2, s5
	v_cmp_gt_i32_e64 s2, s35, v1
	s_sub_co_i32 s8, s4, s5
	s_and_saveexec_b32 s11, s2
	s_cbranch_execz .LBB22_20
; %bb.9:
	s_load_b64 s[4:5], s[0:1], 0x10
	s_ashr_i32 s15, s14, 31
	s_sub_co_i32 s22, s8, s9
	s_ashr_i32 s25, s13, 31
	s_lshl_b64 s[38:39], s[14:15], 2
	s_cmp_neq_f32 s36, 0
	v_bfe_u32 v17, v0, 1, 4
	v_dual_mov_b32 v3, 0 :: v_dual_lshlrev_b32 v6, 3, v0
	s_cselect_b32 vcc_lo, -1, 0
	s_abs_i32 s15, s10
	s_delay_alu instid0(VALU_DEP_2)
	v_lshlrev_b32_e32 v2, 4, v17
	s_cvt_f32_u32 s3, s15
	v_mul_u32_u24_e32 v18, 0xe0, v4
	v_lshlrev_b32_e32 v7, 2, v17
	s_sub_co_i32 s26, 0, s15
	v_rcp_iflag_f32_e32 v5, s3
	v_cmp_eq_u32_e64 s3, 0, v4
	v_dual_mov_b32 v22, 0xff7fffff :: v_dual_mov_b32 v19, 0xff7fffff
	s_wait_kmcnt 0x0
	s_add_nc_u64 s[4:5], s[4:5], s[38:39]
	v_lshl_or_b32 v8, v1, 6, v7
	v_mov_b32_e32 v24, v1
	v_readfirstlane_b32 s24, v5
	v_add_nc_u64_e32 v[4:5], s[4:5], v[2:3]
	v_and_b32_e32 v2, 8, v6
	v_subrev_nc_u32_e32 v6, s31, v17
	s_lshl_b64 s[4:5], s[20:21], 2
	s_mul_f32 s24, s24, 0x4f7ffffe
	s_add_nc_u64 s[4:5], s[18:19], s[4:5]
	v_add_nc_u32_e32 v21, 0x1e0, v8
	v_add_nc_u32_e32 v20, 1, v6
	v_add_nc_u64_e32 v[4:5], v[4:5], v[2:3]
	v_and_b32_e32 v2, 0x7c, v15
	s_cvt_u32_f32 s37, s24
	v_xor_b32_e32 v23, 1, v16
	s_mov_b32 s27, 0
	s_mov_b32 s24, s13
	v_add_nc_u64_e32 v[6:7], s[4:5], v[2:3]
	s_mul_i32 s26, s26, s37
	v_lshlrev_b32_e32 v2, 4, v1
	s_mul_hi_u32 s4, s37, s26
	s_delay_alu instid0(SALU_CYCLE_1)
	s_add_co_i32 s26, s37, s4
	s_mov_b32 s37, s27
	s_branch .LBB22_12
.LBB22_10:                              ;   in Loop: Header=BB22_12 Depth=1
	s_or_b32 exec_lo, exec_lo, s38
.LBB22_11:                              ;   in Loop: Header=BB22_12 Depth=1
	s_delay_alu instid0(SALU_CYCLE_1) | instskip(SKIP_3) | instid1(VALU_DEP_3)
	s_or_b32 exec_lo, exec_lo, s5
	v_dual_add_nc_u32 v24, 4, v24 :: v_dual_add_nc_u32 v2, 64, v2
	v_add_nc_u64_e32 v[6:7], 16, v[6:7]
	v_add_nc_u32_e32 v21, 0x100, v21
	v_cmp_le_i32_e64 s4, s35, v24
	s_or_b32 s37, s4, s37
	s_delay_alu instid0(SALU_CYCLE_1)
	s_and_not1_b32 exec_lo, exec_lo, s37
	s_cbranch_execz .LBB22_19
.LBB22_12:                              ; =>This Inner Loop Header: Depth=1
	s_wait_dscnt 0x0
	v_mul_u64_e32 v[8:9], s[16:17], v[2:3]
	s_delay_alu instid0(VALU_DEP_1) | instskip(NEXT) | instid1(VALU_DEP_1)
	v_mul_lo_u32 v8, v9, s12
	v_dual_add_nc_u32 v10, 1, v9 :: v_dual_sub_nc_u32 v8, v2, v8
	s_delay_alu instid0(VALU_DEP_1) | instskip(SKIP_1) | instid1(VALU_DEP_1)
	v_subrev_nc_u32_e32 v11, s12, v8
	v_cmp_le_u32_e64 s4, s12, v8
	v_dual_cndmask_b32 v9, v9, v10, s4 :: v_dual_cndmask_b32 v8, v8, v11, s4
	s_delay_alu instid0(VALU_DEP_1) | instskip(NEXT) | instid1(VALU_DEP_2)
	v_add_nc_u32_e32 v10, 1, v9
	v_cmp_le_u32_e64 s4, s12, v8
	s_delay_alu instid0(VALU_DEP_1) | instskip(NEXT) | instid1(VALU_DEP_1)
	v_dual_cndmask_b32 v8, v9, v10, s4 :: v_dual_mov_b32 v9, v3
	v_xor_b32_e32 v8, s34, v8
	s_delay_alu instid0(VALU_DEP_1) | instskip(NEXT) | instid1(VALU_DEP_1)
	v_subrev_nc_u32_e32 v12, s34, v8
	v_add_nc_u32_e32 v13, s33, v12
	v_cmp_ge_i32_e64 s5, s22, v12
	s_delay_alu instid0(VALU_DEP_2) | instskip(NEXT) | instid1(VALU_DEP_1)
	v_sub_nc_u32_e32 v8, 0, v13
	v_max_i32_e32 v8, v13, v8
	s_delay_alu instid0(VALU_DEP_1) | instskip(SKIP_1) | instid1(VALU_DEP_2)
	v_mul_u64_e32 v[10:11], s[26:27], v[8:9]
	v_ashrrev_i32_e32 v10, 31, v13
	v_mul_lo_u32 v9, v11, s15
	s_delay_alu instid0(VALU_DEP_1) | instskip(NEXT) | instid1(VALU_DEP_1)
	v_sub_nc_u32_e32 v8, v8, v9
	v_subrev_nc_u32_e32 v9, s15, v8
	v_cmp_le_u32_e64 s4, s15, v8
	s_delay_alu instid0(VALU_DEP_1) | instskip(NEXT) | instid1(VALU_DEP_1)
	v_cndmask_b32_e64 v8, v8, v9, s4
	v_subrev_nc_u32_e32 v9, s15, v8
	v_cmp_le_u32_e64 s4, s15, v8
	s_delay_alu instid0(VALU_DEP_1) | instskip(NEXT) | instid1(VALU_DEP_1)
	v_cndmask_b32_e64 v8, v8, v9, s4
	v_xor_b32_e32 v8, v8, v10
	s_delay_alu instid0(VALU_DEP_1) | instskip(NEXT) | instid1(VALU_DEP_1)
	v_sub_nc_u32_e32 v8, v8, v10
	v_cmp_ne_u32_e64 s4, 0, v8
	s_and_b32 s4, s4, s5
	s_delay_alu instid0(SALU_CYCLE_1) | instskip(NEXT) | instid1(SALU_CYCLE_1)
	s_and_saveexec_b32 s5, s4
	s_xor_b32 s4, exec_lo, s5
	s_cbranch_execz .LBB22_16
; %bb.13:                               ;   in Loop: Header=BB22_12 Depth=1
	s_and_saveexec_b32 s5, s3
; %bb.14:                               ;   in Loop: Header=BB22_12 Depth=1
	ds_store_b32 v21, v22
; %bb.15:                               ;   in Loop: Header=BB22_12 Depth=1
	s_or_b32 exec_lo, exec_lo, s5
.LBB22_16:                              ;   in Loop: Header=BB22_12 Depth=1
	s_and_not1_saveexec_b32 s5, s4
	s_cbranch_execz .LBB22_11
; %bb.17:                               ;   in Loop: Header=BB22_12 Depth=1
	global_load_b32 v8, v[6:7], off
	v_cmp_gt_i32_e64 s4, 32, v23
	s_wait_loadcnt 0x0
	v_ashrrev_i32_e32 v9, 31, v8
	s_delay_alu instid0(VALU_DEP_1) | instskip(NEXT) | instid1(VALU_DEP_1)
	v_mul_u64_e32 v[8:9], s[24:25], v[8:9]
	v_lshl_add_u64 v[10:11], v[8:9], 2, v[4:5]
	s_clause 0x1b
	global_load_b64 v[38:39], v[10:11], off offset:256
	global_load_b64 v[40:41], v[10:11], off offset:512
	;; [unrolled: 1-line block ×3, first 2 shown]
	global_load_b64 v[44:45], v[10:11], off
	global_load_b64 v[46:47], v[10:11], off offset:1024
	global_load_b64 v[48:49], v[10:11], off offset:1280
	;; [unrolled: 1-line block ×24, first 2 shown]
	ds_load_b128 v[26:29], v18
	ds_load_b128 v[30:33], v18 offset:16
	ds_load_b128 v[34:37], v18 offset:32
	s_wait_loadcnt_dscnt 0x1b02
	v_dual_mul_f32 v25, v28, v38 :: v_dual_mul_f32 v38, v29, v39
	s_wait_loadcnt 0x18
	s_delay_alu instid0(VALU_DEP_1) | instskip(SKIP_3) | instid1(VALU_DEP_1)
	v_dual_fmac_f32 v25, v26, v44 :: v_dual_fmac_f32 v38, v27, v45
	ds_load_b128 v[26:29], v18 offset:48
	s_wait_dscnt 0x2
	v_dual_fmac_f32 v25, v30, v40 :: v_dual_fmac_f32 v38, v31, v41
	v_dual_fmac_f32 v25, v32, v42 :: v_dual_fmac_f32 v38, v33, v43
	ds_load_b128 v[30:33], v18 offset:64
	s_wait_loadcnt_dscnt 0x1702
	v_dual_fmac_f32 v25, v34, v46 :: v_dual_fmac_f32 v38, v35, v47
	s_wait_loadcnt 0x16
	s_delay_alu instid0(VALU_DEP_1) | instskip(SKIP_4) | instid1(VALU_DEP_1)
	v_dual_fmac_f32 v25, v36, v48 :: v_dual_fmac_f32 v38, v37, v49
	ds_load_b128 v[34:37], v18 offset:80
	s_wait_loadcnt_dscnt 0x1502
	v_dual_fmac_f32 v25, v26, v50 :: v_dual_fmac_f32 v38, v27, v51
	s_wait_loadcnt 0x14
	v_dual_fmac_f32 v25, v28, v52 :: v_dual_fmac_f32 v38, v29, v53
	ds_load_b128 v[26:29], v18 offset:96
	s_wait_loadcnt_dscnt 0x1302
	v_dual_fmac_f32 v25, v30, v54 :: v_dual_fmac_f32 v38, v31, v55
	s_wait_loadcnt 0x12
	s_delay_alu instid0(VALU_DEP_1) | instskip(SKIP_4) | instid1(VALU_DEP_1)
	v_dual_fmac_f32 v25, v32, v56 :: v_dual_fmac_f32 v38, v33, v57
	ds_load_b128 v[30:33], v18 offset:112
	s_wait_loadcnt_dscnt 0x1102
	v_dual_fmac_f32 v25, v34, v58 :: v_dual_fmac_f32 v38, v35, v59
	s_wait_loadcnt 0x10
	v_dual_fmac_f32 v25, v36, v60 :: v_dual_fmac_f32 v38, v37, v61
	ds_load_b128 v[34:37], v18 offset:128
	s_wait_loadcnt_dscnt 0xf02
	v_dual_fmac_f32 v25, v26, v64 :: v_dual_fmac_f32 v38, v27, v65
	s_wait_loadcnt 0xe
	s_delay_alu instid0(VALU_DEP_1) | instskip(SKIP_4) | instid1(VALU_DEP_1)
	v_dual_fmac_f32 v25, v28, v66 :: v_dual_fmac_f32 v38, v29, v67
	ds_load_b128 v[26:29], v18 offset:144
	s_wait_loadcnt_dscnt 0xd02
	v_dual_fmac_f32 v25, v30, v68 :: v_dual_fmac_f32 v38, v31, v69
	s_wait_loadcnt 0xc
	v_dual_fmac_f32 v25, v32, v70 :: v_dual_fmac_f32 v38, v33, v71
	ds_load_b128 v[30:33], v18 offset:160
	s_wait_loadcnt_dscnt 0xb02
	v_dual_fmac_f32 v25, v34, v72 :: v_dual_fmac_f32 v38, v35, v73
	s_wait_loadcnt 0xa
	s_delay_alu instid0(VALU_DEP_1) | instskip(SKIP_4) | instid1(VALU_DEP_1)
	v_dual_fmac_f32 v25, v36, v74 :: v_dual_fmac_f32 v38, v37, v75
	ds_load_b128 v[34:37], v18 offset:176
	s_wait_loadcnt_dscnt 0x902
	v_dual_fmac_f32 v25, v26, v76 :: v_dual_fmac_f32 v38, v27, v77
	s_wait_loadcnt 0x8
	v_dual_fmac_f32 v25, v28, v78 :: v_dual_fmac_f32 v38, v29, v79
	ds_load_b128 v[26:29], v18 offset:192
	s_wait_loadcnt_dscnt 0x702
	v_dual_fmac_f32 v25, v30, v80 :: v_dual_fmac_f32 v38, v31, v81
	s_wait_loadcnt 0x6
	s_delay_alu instid0(VALU_DEP_1) | instskip(SKIP_4) | instid1(VALU_DEP_1)
	v_dual_fmac_f32 v25, v32, v82 :: v_dual_fmac_f32 v38, v33, v83
	ds_load_b128 v[30:33], v18 offset:208
	s_wait_loadcnt_dscnt 0x502
	v_dual_fmac_f32 v25, v34, v8 :: v_dual_fmac_f32 v38, v35, v9
	s_wait_loadcnt 0x4
	v_dual_fmac_f32 v25, v36, v12 :: v_dual_fmac_f32 v38, v37, v13
	s_wait_loadcnt_dscnt 0x301
	s_delay_alu instid0(VALU_DEP_1) | instskip(SKIP_1) | instid1(VALU_DEP_1)
	v_dual_fmac_f32 v25, v26, v84 :: v_dual_fmac_f32 v38, v27, v85
	s_wait_loadcnt 0x2
	v_dual_fmac_f32 v25, v86, v28 :: v_dual_fmac_f32 v38, v87, v29
	s_wait_loadcnt_dscnt 0x100
	s_delay_alu instid0(VALU_DEP_1) | instskip(SKIP_1) | instid1(VALU_DEP_1)
	v_dual_fmac_f32 v25, v88, v30 :: v_dual_fmac_f32 v38, v89, v31
	s_wait_loadcnt 0x0
	v_dual_fmac_f32 v25, v10, v32 :: v_dual_cndmask_b32 v8, v16, v23, s4
	s_delay_alu instid0(VALU_DEP_1) | instskip(NEXT) | instid1(VALU_DEP_1)
	v_dual_fmac_f32 v38, v11, v33 :: v_dual_lshlrev_b32 v9, 2, v8
	v_add_f32_e32 v8, v25, v38
	ds_bpermute_b32 v9, v9, v8
	s_and_saveexec_b32 s38, s3
	s_cbranch_execz .LBB22_10
; %bb.18:                               ;   in Loop: Header=BB22_12 Depth=1
	s_wait_dscnt 0x0
	v_add_f32_e32 v8, v8, v9
	v_add_nc_u32_e32 v10, v20, v2
	s_delay_alu instid0(VALU_DEP_1) | instskip(NEXT) | instid1(VALU_DEP_1)
	v_cvt_f32_i32_e32 v10, v10
	v_mul_f32_e32 v10, s36, v10
	s_delay_alu instid0(VALU_DEP_1) | instskip(NEXT) | instid1(VALU_DEP_1)
	v_dual_cndmask_b32 v9, 0, v10 :: v_dual_max_num_f32 v10, v19, v19
	v_dual_fmac_f32 v9, s23, v8 :: v_dual_add_nc_u32 v8, v17, v2
	s_delay_alu instid0(VALU_DEP_1) | instskip(NEXT) | instid1(VALU_DEP_2)
	v_max_num_f32_e32 v10, v10, v9
	v_cmp_gt_i32_e64 s4, s31, v8
	s_delay_alu instid0(VALU_DEP_1)
	v_dual_cndmask_b32 v8, 0, v9, s4 :: v_dual_cndmask_b32 v19, v19, v10, s4
	ds_store_b32 v21, v8
	s_branch .LBB22_10
.LBB22_19:
	s_or_b32 exec_lo, exec_lo, s37
.LBB22_20:
	s_delay_alu instid0(SALU_CYCLE_1)
	s_or_b32 exec_lo, exec_lo, s11
	v_dual_max_num_f32 v5, v19, v19 :: v_dual_bitop2_b32 v2, 16, v16 bitop3:0x14
	s_clause 0x1
	s_load_b64 s[4:5], s[0:1], 0x0
	s_load_b64 s[22:23], s[0:1], 0x18
	v_xor_b32_e32 v4, 8, v16
	v_and_b32_e32 v82, 31, v0
	v_cmp_gt_i32_e32 vcc_lo, 32, v2
	v_cndmask_b32_e32 v2, v16, v2, vcc_lo
	s_delay_alu instid0(VALU_DEP_4) | instskip(NEXT) | instid1(VALU_DEP_2)
	v_cmp_gt_i32_e32 vcc_lo, 32, v4
	v_dual_lshlrev_b32 v2, 2, v2 :: v_dual_cndmask_b32 v4, v16, v4, vcc_lo
	ds_bpermute_b32 v3, v2, v19
	s_wait_dscnt 0x0
	v_dual_max_num_f32 v6, v3, v3 :: v_dual_lshlrev_b32 v3, 2, v4
	s_delay_alu instid0(VALU_DEP_1) | instskip(SKIP_4) | instid1(VALU_DEP_1)
	v_dual_max_num_f32 v5, v5, v6 :: v_dual_bitop2_b32 v6, 4, v16 bitop3:0x14
	ds_bpermute_b32 v4, v3, v5
	v_cmp_gt_i32_e32 vcc_lo, 32, v6
	s_wait_dscnt 0x0
	v_max_num_f32_e32 v7, v4, v4
	v_dual_cndmask_b32 v6, v16, v6 :: v_dual_max_num_f32 v5, v5, v7
	s_delay_alu instid0(VALU_DEP_1) | instskip(SKIP_3) | instid1(VALU_DEP_1)
	v_lshlrev_b32_e32 v4, 2, v6
	ds_bpermute_b32 v6, v4, v5
	s_wait_dscnt 0x0
	v_dual_max_num_f32 v6, v6, v6 :: v_dual_bitop2_b32 v7, 2, v16 bitop3:0x14
	v_cmp_gt_i32_e32 vcc_lo, 32, v7
	s_delay_alu instid0(VALU_DEP_2) | instskip(SKIP_2) | instid1(VALU_DEP_3)
	v_dual_max_num_f32 v6, v5, v6 :: v_dual_cndmask_b32 v7, v16, v7
	v_lshlrev_b32_e32 v5, 2, v1
	v_cmp_eq_u32_e32 vcc_lo, 0, v82
	v_lshlrev_b32_e32 v83, 2, v7
	ds_bpermute_b32 v7, v83, v6
	s_wait_xcnt 0x0
	s_and_saveexec_b32 s0, vcc_lo
	s_cbranch_execz .LBB22_22
; %bb.21:
	s_wait_dscnt 0x0
	v_dual_max_num_f32 v7, v7, v7 :: v_dual_max_num_f32 v6, v6, v6
	s_delay_alu instid0(VALU_DEP_1)
	v_max_num_f32_e32 v6, v6, v7
	ds_store_b32 v5, v6 offset:448
.LBB22_22:
	s_or_b32 exec_lo, exec_lo, s0
	v_cmp_gt_u32_e64 s0, 4, v82
	s_wait_dscnt 0x0
	v_dual_mov_b32 v7, 0xff7fffff :: v_dual_lshlrev_b32 v6, 2, v82
	s_barrier_signal -1
	s_barrier_wait -1
	s_and_saveexec_b32 s1, s0
; %bb.23:
	ds_load_b32 v7, v6 offset:448
; %bb.24:
	s_or_b32 exec_lo, exec_lo, s1
	s_wait_dscnt 0x0
	ds_bpermute_b32 v8, v83, v7
	v_dual_max_num_f32 v7, v7, v7 :: v_dual_bitop2_b32 v9, 1, v16 bitop3:0x14
	s_delay_alu instid0(VALU_DEP_1) | instskip(SKIP_2) | instid1(VALU_DEP_2)
	v_cmp_gt_i32_e64 s1, 32, v9
	s_wait_dscnt 0x0
	v_max_num_f32_e32 v8, v8, v8
	v_cndmask_b32_e64 v9, v16, v9, s1
	s_lshl_b32 s1, s35, 4
	s_delay_alu instid0(SALU_CYCLE_1) | instskip(NEXT) | instid1(VALU_DEP_1)
	s_min_i32 s11, s1, s31
	v_dual_max_num_f32 v7, v7, v8 :: v_dual_lshlrev_b32 v84, 2, v9
	v_cmp_gt_i32_e64 s1, s11, v0
	ds_bpermute_b32 v8, v84, v7
	s_wait_dscnt 0x0
	v_max_num_f32_e32 v8, v8, v8
	s_delay_alu instid0(VALU_DEP_1)
	v_dual_max_num_f32 v8, v7, v8 :: v_dual_mov_b32 v7, 0
	ds_bpermute_b32 v8, v7, v8
	s_and_saveexec_b32 s15, s1
	s_cbranch_execz .LBB22_28
; %bb.25:
	v_lshl_add_u32 v9, v0, 2, 0x1e0
	v_dual_mov_b32 v7, 0 :: v_dual_mov_b32 v10, v0
	s_mov_b32 s24, 0
.LBB22_26:                              ; =>This Inner Loop Header: Depth=1
	ds_load_b32 v11, v9
	v_add_nc_u32_e32 v10, 0x80, v10
	s_delay_alu instid0(VALU_DEP_1) | instskip(SKIP_3) | instid1(VALU_DEP_1)
	v_cmp_le_i32_e64 s3, s11, v10
	s_or_b32 s24, s3, s24
	s_wait_dscnt 0x0
	v_sub_f32_e32 v11, v11, v8
	v_mul_f32_e32 v11, 0x3fb8aa3b, v11
	s_delay_alu instid0(VALU_DEP_1)
	v_exp_f32_e32 v11, v11
	ds_store_b32 v9, v11
	v_nop
	v_add_f32_e32 v7, v7, v11
	v_add_nc_u32_e32 v9, 0x200, v9
	s_and_not1_b32 exec_lo, exec_lo, s24
	s_cbranch_execnz .LBB22_26
; %bb.27:
	s_or_b32 exec_lo, exec_lo, s24
.LBB22_28:
	s_delay_alu instid0(SALU_CYCLE_1)
	s_or_b32 exec_lo, exec_lo, s15
	ds_bpermute_b32 v2, v2, v7
	s_wait_dscnt 0x0
	v_add_f32_e32 v2, v7, v2
	ds_bpermute_b32 v3, v3, v2
	s_wait_dscnt 0x0
	v_add_f32_e32 v2, v2, v3
	;; [unrolled: 3-line block ×5, first 2 shown]
	s_and_saveexec_b32 s3, vcc_lo
; %bb.29:
	ds_store_b32 v5, v2 offset:464
; %bb.30:
	s_or_b32 exec_lo, exec_lo, s3
	s_wait_dscnt 0x0
	s_barrier_signal -1
	s_barrier_wait -1
	s_and_saveexec_b32 s3, s0
; %bb.31:
	ds_load_b32 v2, v6 offset:464
; %bb.32:
	s_or_b32 exec_lo, exec_lo, s3
	s_wait_dscnt 0x0
	ds_bpermute_b32 v3, v83, v2
	s_wait_dscnt 0x0
	v_dual_mov_b32 v65, 0 :: v_dual_add_f32 v2, v2, v3
	ds_bpermute_b32 v3, v84, v2
	s_wait_dscnt 0x0
	v_add_f32_e32 v2, v2, v3
	ds_bpermute_b32 v2, v65, v2
	s_and_saveexec_b32 s0, s1
	s_cbranch_execz .LBB22_45
; %bb.33:
	s_wait_dscnt 0x0
	v_add_f32_e32 v2, 0x358637bd, v2
	s_mov_b32 s3, -1
	s_mov_b32 s1, exec_lo
	s_delay_alu instid0(VALU_DEP_1) | instskip(NEXT) | instid1(VALU_DEP_1)
	v_div_scale_f32 v3, null, v2, v2, 1.0
	v_rcp_f32_e32 v5, v3
	v_nop
	s_delay_alu instid0(TRANS32_DEP_1) | instskip(NEXT) | instid1(VALU_DEP_1)
	v_fma_f32 v4, -v3, v5, 1.0
	v_fmac_f32_e32 v5, v4, v5
	v_div_scale_f32 v6, vcc_lo, 1.0, v2, 1.0
	s_delay_alu instid0(VALU_DEP_1) | instskip(NEXT) | instid1(VALU_DEP_1)
	v_mul_f32_e32 v7, v6, v5
	v_fma_f32 v4, -v3, v7, v6
	s_delay_alu instid0(VALU_DEP_1) | instskip(SKIP_1) | instid1(VALU_DEP_2)
	v_fmac_f32_e32 v7, v4, v5
	v_xad_u32 v4, v0, -1, s11
	v_fma_f32 v3, -v3, v7, v6
	s_delay_alu instid0(VALU_DEP_1) | instskip(NEXT) | instid1(VALU_DEP_1)
	v_div_fmas_f32 v3, v3, v5, v7
	v_div_fixup_f32 v2, v3, v2, 1.0
	v_mov_b32_e32 v3, v0
	v_cmpx_lt_u32_e32 0x7f, v4
	s_cbranch_execz .LBB22_42
; %bb.34:
	s_delay_alu instid0(VALU_DEP_3) | instskip(NEXT) | instid1(VALU_DEP_1)
	v_dual_mov_b32 v3, v2 :: v_dual_lshrrev_b32 v4, 7, v4
	v_dual_mov_b32 v8, 0 :: v_dual_add_nc_u32 v5, -1, v4
	s_delay_alu instid0(VALU_DEP_1) | instskip(SKIP_1) | instid1(VALU_DEP_2)
	v_lshrrev_b32_e32 v6, 1, v5
	v_cmp_lt_u32_e32 vcc_lo, 13, v5
	v_add_nc_u32_e32 v5, 1, v6
	s_and_saveexec_b32 s3, vcc_lo
	s_cbranch_execz .LBB22_38
; %bb.35:
	s_delay_alu instid0(VALU_DEP_1)
	v_and_b32_e32 v6, -8, v5
	v_lshl_add_u32 v7, v0, 2, 0x1e0
	s_mov_b32 s15, 0
	s_mov_b32 s24, 0
.LBB22_36:                              ; =>This Inner Loop Header: Depth=1
	ds_load_2addr_stride64_b32 v[8:9], v7 offset1:2
	ds_load_2addr_stride64_b32 v[10:11], v7 offset0:4 offset1:6
	ds_load_2addr_stride64_b32 v[12:13], v7 offset0:8 offset1:10
	;; [unrolled: 1-line block ×7, first 2 shown]
	s_add_co_i32 s24, s24, 16
	v_add_nc_u32_e32 v6, -8, v6
	s_wait_dscnt 0x7
	v_pk_mul_f32 v[8:9], v[2:3], v[8:9]
	s_wait_dscnt 0x6
	v_pk_mul_f32 v[10:11], v[2:3], v[10:11]
	;; [unrolled: 2-line block ×8, first 2 shown]
	ds_store_2addr_stride64_b32 v7, v8, v9 offset1:2
	ds_store_2addr_stride64_b32 v7, v10, v11 offset0:4 offset1:6
	ds_store_2addr_stride64_b32 v7, v12, v13 offset0:8 offset1:10
	ds_store_2addr_stride64_b32 v7, v16, v17 offset0:12 offset1:14
	ds_store_2addr_stride64_b32 v7, v18, v19 offset0:16 offset1:18
	ds_store_2addr_stride64_b32 v7, v20, v21 offset0:20 offset1:22
	ds_store_2addr_stride64_b32 v7, v22, v23 offset0:24 offset1:26
	ds_store_2addr_stride64_b32 v7, v24, v25 offset0:28 offset1:30
	v_mov_b32_e32 v8, s24
	v_cmp_eq_u32_e32 vcc_lo, 0, v6
	v_add_nc_u32_e32 v7, 0x2000, v7
	s_or_b32 s15, vcc_lo, s15
	s_delay_alu instid0(SALU_CYCLE_1)
	s_and_not1_b32 exec_lo, exec_lo, s15
	s_cbranch_execnz .LBB22_36
; %bb.37:
	s_or_b32 exec_lo, exec_lo, s15
.LBB22_38:
	s_delay_alu instid0(SALU_CYCLE_1) | instskip(NEXT) | instid1(VALU_DEP_1)
	s_or_b32 exec_lo, exec_lo, s3
	v_and_b32_e32 v5, 7, v5
	s_mov_b32 s15, 0
	s_mov_b32 s3, exec_lo
	s_delay_alu instid0(VALU_DEP_1)
	v_cmpx_ne_u32_e32 0, v5
	s_cbranch_execz .LBB22_41
; %bb.39:
	v_lshlrev_b32_e32 v6, 9, v8
	s_delay_alu instid0(VALU_DEP_1)
	v_add3_u32 v6, v6, v14, 0x1e0
.LBB22_40:                              ; =>This Inner Loop Header: Depth=1
	ds_load_2addr_stride64_b32 v[8:9], v6 offset1:2
	v_add_nc_u32_e32 v5, -1, v5
	s_delay_alu instid0(VALU_DEP_1)
	v_cmp_eq_u32_e32 vcc_lo, 0, v5
	s_or_b32 s15, vcc_lo, s15
	s_wait_dscnt 0x0
	v_pk_mul_f32 v[8:9], v[2:3], v[8:9]
	ds_store_2addr_stride64_b32 v6, v8, v9 offset1:2
	v_add_nc_u32_e32 v6, 0x400, v6
	s_and_not1_b32 exec_lo, exec_lo, s15
	s_cbranch_execnz .LBB22_40
.LBB22_41:
	s_or_b32 exec_lo, exec_lo, s3
	v_add_nc_u32_e32 v3, 1, v4
	s_delay_alu instid0(VALU_DEP_1) | instskip(NEXT) | instid1(VALU_DEP_1)
	v_and_b32_e32 v4, 0x3fffffe, v3
	v_cmp_ne_u32_e32 vcc_lo, v3, v4
	v_lshl_add_u32 v3, v4, 7, v0
	s_or_not1_b32 s3, vcc_lo, exec_lo
.LBB22_42:
	s_or_b32 exec_lo, exec_lo, s1
	s_delay_alu instid0(SALU_CYCLE_1)
	s_and_b32 exec_lo, exec_lo, s3
	s_cbranch_execz .LBB22_45
; %bb.43:
	v_lshl_add_u32 v4, v3, 2, 0x1e0
	s_mov_b32 s1, 0
.LBB22_44:                              ; =>This Inner Loop Header: Depth=1
	ds_load_b32 v5, v4
	v_add_nc_u32_e32 v3, 0x80, v3
	s_delay_alu instid0(VALU_DEP_1)
	v_cmp_le_i32_e32 vcc_lo, s11, v3
	s_or_b32 s1, vcc_lo, s1
	s_wait_dscnt 0x0
	v_mul_f32_e32 v5, v2, v5
	ds_store_b32 v4, v5
	v_add_nc_u32_e32 v4, 0x200, v4
	s_and_not1_b32 exec_lo, exec_lo, s1
	s_cbranch_execnz .LBB22_44
.LBB22_45:
	s_or_b32 exec_lo, exec_lo, s0
	v_dual_mov_b32 v64, 0 :: v_dual_bitop2_b32 v85, 3, v0 bitop3:0x40
	v_dual_mov_b32 v67, 0 :: v_dual_mov_b32 v66, 0
	v_dual_mov_b32 v69, 0 :: v_dual_mov_b32 v68, 0
	;; [unrolled: 1-line block ×6, first 2 shown]
	s_wait_dscnt 0x0
	s_barrier_signal -1
	s_barrier_wait -1
	s_and_saveexec_b32 s24, s2
	s_cbranch_execz .LBB22_79
; %bb.46:
	s_abs_i32 s25, s10
	v_dual_lshlrev_b32 v4, 4, v0 :: v_dual_bitop2_b32 v86, 12, v14 bitop3:0x40
	s_cvt_f32_u32 s0, s25
	v_dual_mov_b32 v63, 0 :: v_dual_lshlrev_b32 v6, 4, v85
	s_ashr_i32 s15, s14, 31
	s_delay_alu instid0(SALU_CYCLE_1)
	v_rcp_iflag_f32_e32 v3, s0
	v_and_b32_e32 v2, 0x7c, v15
	v_and_b32_e32 v4, 0x1f0, v4
	v_mov_b32_e32 v5, v63
	s_lshl_b64 s[0:1], s[20:21], 2
	s_lshl_b64 s[2:3], s[14:15], 2
	v_lshl_or_b32 v6, v1, 6, v6
	v_readfirstlane_b32 s10, v3
	v_mov_b32_e32 v3, v63
	s_add_nc_u64 s[0:1], s[18:19], s[0:1]
	s_wait_kmcnt 0x0
	s_add_nc_u64 s[2:3], s[22:23], s[2:3]
	s_sub_co_i32 s14, 0, s25
	s_mul_f32 s10, s10, 0x4f7ffffe
	v_add_nc_u64_e32 v[78:79], s[2:3], v[4:5]
	v_add_nc_u64_e32 v[80:81], s[0:1], v[2:3]
	v_dual_mov_b32 v88, v1 :: v_dual_add_nc_u32 v87, 0x1e0, v6
	s_cvt_u32_f32 s10, s10
	v_dual_mov_b32 v76, v63 :: v_dual_mov_b32 v77, v63
	v_dual_mov_b32 v74, v63 :: v_dual_mov_b32 v75, v63
	s_delay_alu instid0(SALU_CYCLE_1)
	s_mul_i32 s14, s14, s10
	v_dual_mov_b32 v72, v63 :: v_dual_mov_b32 v73, v63
	v_dual_mov_b32 v70, v63 :: v_dual_mov_b32 v71, v63
	v_dual_mov_b32 v68, v63 :: v_dual_mov_b32 v69, v63
	v_dual_mov_b32 v66, v63 :: v_dual_mov_b32 v67, v63
	v_dual_mov_b32 v64, v63 :: v_dual_mov_b32 v65, v63
	s_mov_b32 s11, 0
	s_mul_hi_u32 s2, s10, s14
	s_sub_co_i32 s26, s8, s9
	s_ashr_i32 s9, s13, 31
	s_mov_b32 s8, s13
	s_add_co_i32 s13, s35, -1
	s_mov_b32 s14, s31
	s_add_co_i32 s10, s10, s2
	s_mov_b32 s15, s11
	s_branch .LBB22_49
.LBB22_47:                              ;   in Loop: Header=BB22_49 Depth=1
	s_or_b32 exec_lo, exec_lo, s0
	s_wait_loadcnt_dscnt 0x400
	v_mul_f32_e32 v42, v6, v42
	s_wait_loadcnt 0x3
	v_mul_f32_e32 v46, v6, v46
	s_wait_loadcnt 0x2
	v_mul_f32_e32 v54, v6, v54
	s_wait_loadcnt 0x1
	v_mul_f32_e32 v58, v6, v58
	v_dual_mul_f32 v34, v6, v34 :: v_dual_fmac_f32 v42, v7, v43
	v_fmac_f32_e32 v46, v7, v47
	v_fmac_f32_e32 v54, v7, v55
	s_delay_alu instid0(VALU_DEP_4) | instskip(NEXT) | instid1(VALU_DEP_4)
	v_dual_fmac_f32 v58, v7, v59 :: v_dual_mul_f32 v38, v6, v38
	v_fmac_f32_e32 v42, v8, v44
	s_delay_alu instid0(VALU_DEP_4) | instskip(NEXT) | instid1(VALU_DEP_3)
	v_dual_fmac_f32 v46, v8, v48 :: v_dual_mul_f32 v22, v6, v22
	v_dual_fmac_f32 v58, v8, v60 :: v_dual_mul_f32 v26, v6, v26
	s_delay_alu instid0(VALU_DEP_3) | instskip(NEXT) | instid1(VALU_DEP_3)
	v_fmac_f32_e32 v42, v9, v45
	v_dual_fmac_f32 v46, v9, v49 :: v_dual_mul_f32 v30, v6, v30
	s_delay_alu instid0(VALU_DEP_3) | instskip(SKIP_4) | instid1(VALU_DEP_3)
	v_fmac_f32_e32 v58, v9, v61
	v_fmac_f32_e32 v54, v8, v56
	v_dual_fmac_f32 v22, v7, v23 :: v_dual_mul_f32 v23, v6, v18
	v_dual_add_f32 v69, v69, v42 :: v_dual_fmac_f32 v38, v7, v39
	v_fmac_f32_e32 v26, v7, v27
	v_dual_fmac_f32 v22, v8, v24 :: v_dual_fmac_f32 v23, v7, v19
	s_wait_loadcnt 0x0
	v_pk_mul_f32 v[18:19], v[6:7], v[50:51]
	v_fmac_f32_e32 v38, v8, v40
	v_fmac_f32_e32 v26, v8, v28
	v_dual_fmac_f32 v22, v9, v25 :: v_dual_add_f32 v66, v66, v46
	v_dual_fmac_f32 v54, v9, v57 :: v_dual_add_f32 v64, v64, v58
	s_delay_alu instid0(VALU_DEP_2) | instskip(SKIP_1) | instid1(VALU_DEP_3)
	v_dual_fmac_f32 v38, v9, v41 :: v_dual_add_f32 v72, v72, v22
	v_dual_mul_f32 v22, v6, v2 :: v_dual_fmac_f32 v34, v7, v35
	v_add_f32_e32 v67, v67, v54
	s_delay_alu instid0(VALU_DEP_3) | instskip(NEXT) | instid1(VALU_DEP_3)
	v_add_f32_e32 v68, v68, v38
	v_dual_mul_f32 v14, v6, v14 :: v_dual_fmac_f32 v22, v7, v3
	v_pk_mul_f32 v[2:3], v[8:9], v[52:53]
	v_fmac_f32_e32 v26, v9, v29
	v_fmac_f32_e32 v30, v7, v31
	v_dual_fmac_f32 v34, v8, v36 :: v_dual_mul_f32 v10, v6, v10
	v_add_f32_e32 v6, v19, v18
	s_delay_alu instid0(VALU_DEP_3) | instskip(SKIP_1) | instid1(VALU_DEP_3)
	v_dual_add_f32 v73, v73, v26 :: v_dual_fmac_f32 v30, v8, v32
	v_dual_fmac_f32 v23, v8, v20 :: v_dual_fmac_f32 v14, v7, v15
	v_dual_fmac_f32 v34, v9, v37 :: v_dual_add_f32 v2, v2, v6
	s_delay_alu instid0(VALU_DEP_3) | instskip(NEXT) | instid1(VALU_DEP_3)
	v_fmac_f32_e32 v30, v9, v33
	v_dual_fmac_f32 v23, v9, v21 :: v_dual_fmac_f32 v14, v8, v16
	s_delay_alu instid0(VALU_DEP_3) | instskip(NEXT) | instid1(VALU_DEP_4)
	v_add_f32_e32 v71, v71, v34
	v_add_f32_e32 v2, v3, v2
	s_delay_alu instid0(VALU_DEP_3) | instskip(NEXT) | instid1(VALU_DEP_4)
	v_dual_add_f32 v70, v70, v30 :: v_dual_add_f32 v75, v75, v23
	v_fmac_f32_e32 v14, v9, v17
	s_delay_alu instid0(VALU_DEP_3) | instskip(NEXT) | instid1(VALU_DEP_1)
	v_dual_fmac_f32 v10, v7, v11 :: v_dual_add_f32 v65, v65, v2
	v_dual_add_f32 v74, v74, v14 :: v_dual_fmac_f32 v10, v8, v12
	s_delay_alu instid0(VALU_DEP_1) | instskip(NEXT) | instid1(VALU_DEP_1)
	v_fmac_f32_e32 v10, v9, v13
	v_dual_add_f32 v77, v77, v10 :: v_dual_fmac_f32 v22, v8, v4
	s_delay_alu instid0(VALU_DEP_1) | instskip(NEXT) | instid1(VALU_DEP_1)
	v_fmac_f32_e32 v22, v9, v5
	v_add_f32_e32 v76, v76, v22
.LBB22_48:                              ;   in Loop: Header=BB22_49 Depth=1
	s_or_b32 exec_lo, exec_lo, s18
	v_dual_add_nc_u32 v88, 4, v88 :: v_dual_add_nc_u32 v62, 64, v62
	v_add_nc_u64_e32 v[80:81], 16, v[80:81]
	v_add_nc_u32_e32 v87, 0x100, v87
	s_delay_alu instid0(VALU_DEP_3) | instskip(SKIP_1) | instid1(SALU_CYCLE_1)
	v_cmp_le_i32_e32 vcc_lo, s35, v88
	s_or_b32 s15, vcc_lo, s15
	s_and_not1_b32 exec_lo, exec_lo, s15
	s_cbranch_execz .LBB22_78
.LBB22_49:                              ; =>This Inner Loop Header: Depth=1
	v_mul_u64_e32 v[2:3], s[16:17], v[62:63]
	s_delay_alu instid0(VALU_DEP_1) | instskip(NEXT) | instid1(VALU_DEP_1)
	v_mul_lo_u32 v2, v3, s12
	v_dual_add_nc_u32 v4, 1, v3 :: v_dual_sub_nc_u32 v2, v62, v2
	s_delay_alu instid0(VALU_DEP_1) | instskip(SKIP_1) | instid1(VALU_DEP_2)
	v_subrev_nc_u32_e32 v5, s12, v2
	v_cmp_le_u32_e32 vcc_lo, s12, v2
	v_dual_cndmask_b32 v3, v3, v4 :: v_dual_cndmask_b32 v2, v2, v5
	s_delay_alu instid0(VALU_DEP_1) | instskip(NEXT) | instid1(VALU_DEP_2)
	v_add_nc_u32_e32 v4, 1, v3
	v_cmp_le_u32_e32 vcc_lo, s12, v2
	s_delay_alu instid0(VALU_DEP_2) | instskip(NEXT) | instid1(VALU_DEP_1)
	v_cndmask_b32_e32 v2, v3, v4, vcc_lo
	v_dual_mov_b32 v3, v63 :: v_dual_bitop2_b32 v2, s34, v2 bitop3:0x14
	s_delay_alu instid0(VALU_DEP_1) | instskip(NEXT) | instid1(VALU_DEP_1)
	v_subrev_nc_u32_e32 v6, s34, v2
	v_add_nc_u32_e32 v7, s33, v6
	v_cmp_lt_i32_e64 s0, s26, v6
	s_delay_alu instid0(VALU_DEP_2) | instskip(NEXT) | instid1(VALU_DEP_1)
	v_sub_nc_u32_e32 v2, 0, v7
	v_max_i32_e32 v2, v7, v2
	s_delay_alu instid0(VALU_DEP_1) | instskip(SKIP_1) | instid1(VALU_DEP_2)
	v_mul_u64_e32 v[4:5], s[10:11], v[2:3]
	v_ashrrev_i32_e32 v4, 31, v7
	v_mul_lo_u32 v3, v5, s25
	s_delay_alu instid0(VALU_DEP_1) | instskip(NEXT) | instid1(VALU_DEP_1)
	v_sub_nc_u32_e32 v2, v2, v3
	v_subrev_nc_u32_e32 v3, s25, v2
	v_cmp_le_u32_e32 vcc_lo, s25, v2
	s_delay_alu instid0(VALU_DEP_2) | instskip(NEXT) | instid1(VALU_DEP_1)
	v_cndmask_b32_e32 v2, v2, v3, vcc_lo
	v_subrev_nc_u32_e32 v3, s25, v2
	v_cmp_le_u32_e32 vcc_lo, s25, v2
	s_delay_alu instid0(VALU_DEP_2) | instskip(NEXT) | instid1(VALU_DEP_1)
	v_cndmask_b32_e32 v2, v2, v3, vcc_lo
	v_xor_b32_e32 v2, v2, v4
	s_delay_alu instid0(VALU_DEP_1) | instskip(NEXT) | instid1(VALU_DEP_1)
	v_sub_nc_u32_e32 v2, v2, v4
	v_cmp_eq_u32_e32 vcc_lo, 0, v2
	s_or_b32 s0, vcc_lo, s0
	s_delay_alu instid0(SALU_CYCLE_1)
	s_and_saveexec_b32 s18, s0
	s_cbranch_execz .LBB22_48
; %bb.50:                               ;   in Loop: Header=BB22_49 Depth=1
	global_load_b32 v2, v[80:81], off
	v_add_nc_u32_e32 v89, v86, v62
	ds_load_b128 v[6:9], v87
	v_cmp_eq_u32_e32 vcc_lo, s13, v88
	v_or_b32_e32 v91, 3, v89
	v_dual_add_nc_u32 v92, 1, v89 :: v_dual_bitop2_b32 v90, 2, v89 bitop3:0x54
	s_wait_loadcnt 0x0
	v_ashrrev_i32_e32 v3, 31, v2
	s_delay_alu instid0(VALU_DEP_1) | instskip(NEXT) | instid1(VALU_DEP_1)
	v_mul_u64_e32 v[2:3], s[8:9], v[2:3]
	v_lshl_add_u64 v[50:51], v[2:3], 2, v[78:79]
	global_load_b128 v[2:5], v[50:51], off
	s_wait_xcnt 0x0
	s_and_saveexec_b32 s1, vcc_lo
	s_cbranch_execnz .LBB22_64
; %bb.51:                               ;   in Loop: Header=BB22_49 Depth=1
	s_or_b32 exec_lo, exec_lo, s1
	global_load_b128 v[10:13], v[50:51], off offset:512
	s_wait_xcnt 0x0
	s_and_saveexec_b32 s1, vcc_lo
	s_cbranch_execnz .LBB22_65
.LBB22_52:                              ;   in Loop: Header=BB22_49 Depth=1
	s_or_b32 exec_lo, exec_lo, s1
	global_load_b128 v[14:17], v[50:51], off offset:1024
	s_wait_xcnt 0x0
	s_and_saveexec_b32 s1, vcc_lo
	s_cbranch_execnz .LBB22_66
.LBB22_53:                              ;   in Loop: Header=BB22_49 Depth=1
	s_or_b32 exec_lo, exec_lo, s1
	global_load_b128 v[18:21], v[50:51], off offset:1536
	s_wait_xcnt 0x0
	s_and_saveexec_b32 s1, vcc_lo
	s_cbranch_execnz .LBB22_67
.LBB22_54:                              ;   in Loop: Header=BB22_49 Depth=1
	s_or_b32 exec_lo, exec_lo, s1
	global_load_b128 v[22:25], v[50:51], off offset:2048
	s_wait_xcnt 0x0
	s_and_saveexec_b32 s1, vcc_lo
	s_cbranch_execnz .LBB22_68
.LBB22_55:                              ;   in Loop: Header=BB22_49 Depth=1
	s_or_b32 exec_lo, exec_lo, s1
	global_load_b128 v[26:29], v[50:51], off offset:2560
	s_wait_xcnt 0x0
	s_and_saveexec_b32 s1, vcc_lo
	s_cbranch_execnz .LBB22_69
.LBB22_56:                              ;   in Loop: Header=BB22_49 Depth=1
	s_or_b32 exec_lo, exec_lo, s1
	global_load_b128 v[30:33], v[50:51], off offset:3072
	s_wait_xcnt 0x0
	s_and_saveexec_b32 s1, vcc_lo
	s_cbranch_execnz .LBB22_70
.LBB22_57:                              ;   in Loop: Header=BB22_49 Depth=1
	s_or_b32 exec_lo, exec_lo, s1
	global_load_b128 v[34:37], v[50:51], off offset:3584
	s_wait_xcnt 0x0
	s_and_saveexec_b32 s1, vcc_lo
	s_cbranch_execnz .LBB22_71
.LBB22_58:                              ;   in Loop: Header=BB22_49 Depth=1
	s_or_b32 exec_lo, exec_lo, s1
	global_load_b128 v[38:41], v[50:51], off offset:4096
	s_wait_xcnt 0x0
	s_and_saveexec_b32 s1, vcc_lo
	s_cbranch_execnz .LBB22_72
.LBB22_59:                              ;   in Loop: Header=BB22_49 Depth=1
	s_or_b32 exec_lo, exec_lo, s1
	global_load_b128 v[42:45], v[50:51], off offset:4608
	s_wait_xcnt 0x0
	s_and_saveexec_b32 s1, vcc_lo
	s_cbranch_execnz .LBB22_73
.LBB22_60:                              ;   in Loop: Header=BB22_49 Depth=1
	s_or_b32 exec_lo, exec_lo, s1
	global_load_b128 v[46:49], v[50:51], off offset:5120
	s_wait_xcnt 0x0
	s_and_saveexec_b32 s19, vcc_lo
	s_cbranch_execnz .LBB22_74
.LBB22_61:                              ;   in Loop: Header=BB22_49 Depth=1
	s_or_b32 exec_lo, exec_lo, s19
	global_load_b128 v[54:57], v[50:51], off offset:5632
	s_wait_xcnt 0x0
	s_and_saveexec_b32 s1, vcc_lo
	s_cbranch_execnz .LBB22_75
.LBB22_62:                              ;   in Loop: Header=BB22_49 Depth=1
	s_or_b32 exec_lo, exec_lo, s1
	global_load_b128 v[58:61], v[50:51], off offset:6144
	s_wait_xcnt 0x0
	s_and_saveexec_b32 s1, vcc_lo
	s_cbranch_execnz .LBB22_76
.LBB22_63:                              ;   in Loop: Header=BB22_49 Depth=1
	s_or_b32 exec_lo, exec_lo, s1
	global_load_b128 v[50:53], v[50:51], off offset:6656
	s_wait_xcnt 0x0
	s_and_saveexec_b32 s0, vcc_lo
	s_cbranch_execz .LBB22_47
	s_branch .LBB22_77
.LBB22_64:                              ;   in Loop: Header=BB22_49 Depth=1
	v_cmp_gt_i32_e64 s0, s14, v92
	s_wait_loadcnt 0x0
	s_delay_alu instid0(VALU_DEP_1) | instskip(SKIP_1) | instid1(VALU_DEP_1)
	v_cndmask_b32_e64 v3, 0, v3, s0
	v_cmp_gt_i32_e64 s0, s31, v89
	v_cndmask_b32_e64 v2, 0, v2, s0
	v_cmp_gt_i32_e64 s0, s14, v91
	s_delay_alu instid0(VALU_DEP_1) | instskip(SKIP_1) | instid1(VALU_DEP_1)
	v_cndmask_b32_e64 v5, 0, v5, s0
	v_cmp_gt_i32_e64 s0, s31, v90
	v_cndmask_b32_e64 v4, 0, v4, s0
	s_or_b32 exec_lo, exec_lo, s1
	global_load_b128 v[10:13], v[50:51], off offset:512
	s_wait_xcnt 0x0
	s_and_saveexec_b32 s1, vcc_lo
	s_cbranch_execz .LBB22_52
.LBB22_65:                              ;   in Loop: Header=BB22_49 Depth=1
	v_cmp_gt_i32_e64 s0, s14, v92
	s_wait_loadcnt 0x0
	s_delay_alu instid0(VALU_DEP_1) | instskip(SKIP_1) | instid1(VALU_DEP_1)
	v_cndmask_b32_e64 v11, 0, v11, s0
	v_cmp_gt_i32_e64 s0, s31, v89
	v_cndmask_b32_e64 v10, 0, v10, s0
	v_cmp_gt_i32_e64 s0, s14, v91
	s_delay_alu instid0(VALU_DEP_1) | instskip(SKIP_1) | instid1(VALU_DEP_1)
	v_cndmask_b32_e64 v13, 0, v13, s0
	v_cmp_gt_i32_e64 s0, s31, v90
	v_cndmask_b32_e64 v12, 0, v12, s0
	s_or_b32 exec_lo, exec_lo, s1
	global_load_b128 v[14:17], v[50:51], off offset:1024
	s_wait_xcnt 0x0
	s_and_saveexec_b32 s1, vcc_lo
	s_cbranch_execz .LBB22_53
.LBB22_66:                              ;   in Loop: Header=BB22_49 Depth=1
	v_cmp_gt_i32_e64 s0, s14, v92
	s_wait_loadcnt 0x0
	s_delay_alu instid0(VALU_DEP_1) | instskip(SKIP_1) | instid1(VALU_DEP_1)
	v_cndmask_b32_e64 v15, 0, v15, s0
	v_cmp_gt_i32_e64 s0, s31, v89
	v_cndmask_b32_e64 v14, 0, v14, s0
	v_cmp_gt_i32_e64 s0, s14, v91
	s_delay_alu instid0(VALU_DEP_1) | instskip(SKIP_1) | instid1(VALU_DEP_1)
	v_cndmask_b32_e64 v17, 0, v17, s0
	v_cmp_gt_i32_e64 s0, s31, v90
	v_cndmask_b32_e64 v16, 0, v16, s0
	s_or_b32 exec_lo, exec_lo, s1
	global_load_b128 v[18:21], v[50:51], off offset:1536
	s_wait_xcnt 0x0
	s_and_saveexec_b32 s1, vcc_lo
	s_cbranch_execz .LBB22_54
.LBB22_67:                              ;   in Loop: Header=BB22_49 Depth=1
	v_cmp_gt_i32_e64 s0, s14, v92
	s_wait_loadcnt 0x0
	s_delay_alu instid0(VALU_DEP_1) | instskip(SKIP_1) | instid1(VALU_DEP_1)
	v_cndmask_b32_e64 v19, 0, v19, s0
	v_cmp_gt_i32_e64 s0, s31, v89
	v_cndmask_b32_e64 v18, 0, v18, s0
	v_cmp_gt_i32_e64 s0, s14, v91
	s_delay_alu instid0(VALU_DEP_1) | instskip(SKIP_1) | instid1(VALU_DEP_1)
	v_cndmask_b32_e64 v21, 0, v21, s0
	v_cmp_gt_i32_e64 s0, s31, v90
	v_cndmask_b32_e64 v20, 0, v20, s0
	s_or_b32 exec_lo, exec_lo, s1
	global_load_b128 v[22:25], v[50:51], off offset:2048
	s_wait_xcnt 0x0
	s_and_saveexec_b32 s1, vcc_lo
	s_cbranch_execz .LBB22_55
.LBB22_68:                              ;   in Loop: Header=BB22_49 Depth=1
	v_cmp_gt_i32_e64 s0, s14, v92
	s_wait_loadcnt 0x0
	s_delay_alu instid0(VALU_DEP_1) | instskip(SKIP_1) | instid1(VALU_DEP_1)
	v_cndmask_b32_e64 v23, 0, v23, s0
	v_cmp_gt_i32_e64 s0, s31, v89
	v_cndmask_b32_e64 v22, 0, v22, s0
	v_cmp_gt_i32_e64 s0, s14, v91
	s_delay_alu instid0(VALU_DEP_1) | instskip(SKIP_1) | instid1(VALU_DEP_1)
	v_cndmask_b32_e64 v25, 0, v25, s0
	v_cmp_gt_i32_e64 s0, s31, v90
	v_cndmask_b32_e64 v24, 0, v24, s0
	s_or_b32 exec_lo, exec_lo, s1
	global_load_b128 v[26:29], v[50:51], off offset:2560
	s_wait_xcnt 0x0
	s_and_saveexec_b32 s1, vcc_lo
	s_cbranch_execz .LBB22_56
.LBB22_69:                              ;   in Loop: Header=BB22_49 Depth=1
	v_cmp_gt_i32_e64 s0, s14, v92
	s_wait_loadcnt 0x0
	s_delay_alu instid0(VALU_DEP_1) | instskip(SKIP_1) | instid1(VALU_DEP_1)
	v_cndmask_b32_e64 v27, 0, v27, s0
	v_cmp_gt_i32_e64 s0, s31, v89
	v_cndmask_b32_e64 v26, 0, v26, s0
	v_cmp_gt_i32_e64 s0, s14, v91
	s_delay_alu instid0(VALU_DEP_1) | instskip(SKIP_1) | instid1(VALU_DEP_1)
	v_cndmask_b32_e64 v29, 0, v29, s0
	v_cmp_gt_i32_e64 s0, s31, v90
	v_cndmask_b32_e64 v28, 0, v28, s0
	s_or_b32 exec_lo, exec_lo, s1
	global_load_b128 v[30:33], v[50:51], off offset:3072
	s_wait_xcnt 0x0
	s_and_saveexec_b32 s1, vcc_lo
	s_cbranch_execz .LBB22_57
.LBB22_70:                              ;   in Loop: Header=BB22_49 Depth=1
	v_cmp_gt_i32_e64 s0, s14, v92
	s_wait_loadcnt 0x0
	s_delay_alu instid0(VALU_DEP_1) | instskip(SKIP_1) | instid1(VALU_DEP_1)
	v_cndmask_b32_e64 v31, 0, v31, s0
	v_cmp_gt_i32_e64 s0, s31, v89
	v_cndmask_b32_e64 v30, 0, v30, s0
	v_cmp_gt_i32_e64 s0, s14, v91
	s_delay_alu instid0(VALU_DEP_1) | instskip(SKIP_1) | instid1(VALU_DEP_1)
	v_cndmask_b32_e64 v33, 0, v33, s0
	v_cmp_gt_i32_e64 s0, s31, v90
	v_cndmask_b32_e64 v32, 0, v32, s0
	s_or_b32 exec_lo, exec_lo, s1
	global_load_b128 v[34:37], v[50:51], off offset:3584
	s_wait_xcnt 0x0
	s_and_saveexec_b32 s1, vcc_lo
	s_cbranch_execz .LBB22_58
.LBB22_71:                              ;   in Loop: Header=BB22_49 Depth=1
	v_cmp_gt_i32_e64 s0, s14, v92
	s_wait_loadcnt 0x0
	s_delay_alu instid0(VALU_DEP_1) | instskip(SKIP_1) | instid1(VALU_DEP_1)
	v_cndmask_b32_e64 v35, 0, v35, s0
	v_cmp_gt_i32_e64 s0, s31, v89
	v_cndmask_b32_e64 v34, 0, v34, s0
	v_cmp_gt_i32_e64 s0, s14, v91
	s_delay_alu instid0(VALU_DEP_1) | instskip(SKIP_1) | instid1(VALU_DEP_1)
	v_cndmask_b32_e64 v37, 0, v37, s0
	v_cmp_gt_i32_e64 s0, s31, v90
	v_cndmask_b32_e64 v36, 0, v36, s0
	s_or_b32 exec_lo, exec_lo, s1
	global_load_b128 v[38:41], v[50:51], off offset:4096
	s_wait_xcnt 0x0
	s_and_saveexec_b32 s1, vcc_lo
	s_cbranch_execz .LBB22_59
.LBB22_72:                              ;   in Loop: Header=BB22_49 Depth=1
	v_cmp_gt_i32_e64 s0, s14, v92
	s_wait_loadcnt 0x0
	s_delay_alu instid0(VALU_DEP_1) | instskip(SKIP_1) | instid1(VALU_DEP_1)
	v_cndmask_b32_e64 v39, 0, v39, s0
	v_cmp_gt_i32_e64 s0, s31, v89
	v_cndmask_b32_e64 v38, 0, v38, s0
	v_cmp_gt_i32_e64 s0, s14, v91
	s_delay_alu instid0(VALU_DEP_1) | instskip(SKIP_1) | instid1(VALU_DEP_1)
	v_cndmask_b32_e64 v41, 0, v41, s0
	v_cmp_gt_i32_e64 s0, s31, v90
	v_cndmask_b32_e64 v40, 0, v40, s0
	s_or_b32 exec_lo, exec_lo, s1
	global_load_b128 v[42:45], v[50:51], off offset:4608
	s_wait_xcnt 0x0
	s_and_saveexec_b32 s1, vcc_lo
	s_cbranch_execz .LBB22_60
.LBB22_73:                              ;   in Loop: Header=BB22_49 Depth=1
	v_cmp_gt_i32_e64 s0, s14, v92
	s_wait_loadcnt 0x0
	s_delay_alu instid0(VALU_DEP_1) | instskip(SKIP_1) | instid1(VALU_DEP_1)
	v_cndmask_b32_e64 v43, 0, v43, s0
	v_cmp_gt_i32_e64 s0, s31, v89
	v_cndmask_b32_e64 v42, 0, v42, s0
	v_cmp_gt_i32_e64 s0, s14, v91
	s_delay_alu instid0(VALU_DEP_1) | instskip(SKIP_1) | instid1(VALU_DEP_1)
	v_cndmask_b32_e64 v45, 0, v45, s0
	v_cmp_gt_i32_e64 s0, s31, v90
	v_cndmask_b32_e64 v44, 0, v44, s0
	s_or_b32 exec_lo, exec_lo, s1
	global_load_b128 v[46:49], v[50:51], off offset:5120
	s_wait_xcnt 0x0
	s_and_saveexec_b32 s19, vcc_lo
	s_cbranch_execz .LBB22_61
.LBB22_74:                              ;   in Loop: Header=BB22_49 Depth=1
	v_cmp_gt_i32_e64 s0, s14, v92
	v_cmp_gt_i32_e64 s1, s31, v89
	v_cmp_gt_i32_e64 s2, s14, v91
	v_cmp_gt_i32_e64 s3, s31, v90
	s_wait_loadcnt 0x0
	s_delay_alu instid0(VALU_DEP_3) | instskip(NEXT) | instid1(VALU_DEP_2)
	v_dual_cndmask_b32 v47, 0, v47, s0 :: v_dual_cndmask_b32 v46, 0, v46, s1
	v_dual_cndmask_b32 v49, 0, v49, s2 :: v_dual_cndmask_b32 v48, 0, v48, s3
	s_or_b32 exec_lo, exec_lo, s19
	global_load_b128 v[54:57], v[50:51], off offset:5632
	s_wait_xcnt 0x0
	s_and_saveexec_b32 s1, vcc_lo
	s_cbranch_execz .LBB22_62
.LBB22_75:                              ;   in Loop: Header=BB22_49 Depth=1
	v_cmp_gt_i32_e64 s0, s14, v92
	s_wait_loadcnt 0x0
	s_delay_alu instid0(VALU_DEP_1) | instskip(SKIP_1) | instid1(VALU_DEP_1)
	v_cndmask_b32_e64 v55, 0, v55, s0
	v_cmp_gt_i32_e64 s0, s31, v89
	v_cndmask_b32_e64 v54, 0, v54, s0
	v_cmp_gt_i32_e64 s0, s14, v91
	s_delay_alu instid0(VALU_DEP_1) | instskip(SKIP_1) | instid1(VALU_DEP_1)
	v_cndmask_b32_e64 v57, 0, v57, s0
	v_cmp_gt_i32_e64 s0, s31, v90
	v_cndmask_b32_e64 v56, 0, v56, s0
	s_or_b32 exec_lo, exec_lo, s1
	global_load_b128 v[58:61], v[50:51], off offset:6144
	s_wait_xcnt 0x0
	s_and_saveexec_b32 s1, vcc_lo
	s_cbranch_execz .LBB22_63
.LBB22_76:                              ;   in Loop: Header=BB22_49 Depth=1
	v_cmp_gt_i32_e64 s0, s14, v92
	s_wait_loadcnt 0x0
	s_delay_alu instid0(VALU_DEP_1) | instskip(SKIP_1) | instid1(VALU_DEP_1)
	v_cndmask_b32_e64 v59, 0, v59, s0
	v_cmp_gt_i32_e64 s0, s31, v89
	v_cndmask_b32_e64 v58, 0, v58, s0
	v_cmp_gt_i32_e64 s0, s14, v91
	s_delay_alu instid0(VALU_DEP_1) | instskip(SKIP_1) | instid1(VALU_DEP_1)
	v_cndmask_b32_e64 v61, 0, v61, s0
	v_cmp_gt_i32_e64 s0, s31, v90
	v_cndmask_b32_e64 v60, 0, v60, s0
	s_or_b32 exec_lo, exec_lo, s1
	global_load_b128 v[50:53], v[50:51], off offset:6656
	s_wait_xcnt 0x0
	s_and_saveexec_b32 s0, vcc_lo
	s_cbranch_execz .LBB22_47
.LBB22_77:                              ;   in Loop: Header=BB22_49 Depth=1
	v_cmp_gt_i32_e32 vcc_lo, s14, v92
	s_wait_loadcnt 0x0
	v_cndmask_b32_e32 v51, 0, v51, vcc_lo
	v_cmp_gt_i32_e32 vcc_lo, s31, v89
	v_cndmask_b32_e32 v50, 0, v50, vcc_lo
	v_cmp_gt_i32_e32 vcc_lo, s14, v91
	;; [unrolled: 2-line block ×3, first 2 shown]
	v_cndmask_b32_e32 v52, 0, v52, vcc_lo
	s_branch .LBB22_47
.LBB22_78:
	s_or_b32 exec_lo, exec_lo, s15
.LBB22_79:
	s_delay_alu instid0(SALU_CYCLE_1)
	s_or_b32 exec_lo, exec_lo, s24
	ds_bpermute_b32 v2, v83, v76
	ds_bpermute_b32 v3, v83, v77
	;; [unrolled: 1-line block ×14, first 2 shown]
	v_and_b32_e32 v19, 0x3c3, v0
	s_mov_b32 s0, exec_lo
	v_and_b32_e32 v18, 28, v82
	s_wait_dscnt 0x0
	s_barrier_signal -1
	s_barrier_wait -1
	v_pk_add_f32 v[2:3], v[76:77], v[2:3]
	v_pk_add_f32 v[4:5], v[74:75], v[4:5]
	;; [unrolled: 1-line block ×4, first 2 shown]
	ds_bpermute_b32 v8, v84, v2
	v_pk_add_f32 v[22:23], v[68:69], v[10:11]
	ds_bpermute_b32 v9, v84, v3
	v_pk_add_f32 v[24:25], v[66:67], v[12:13]
	ds_bpermute_b32 v10, v84, v4
	ds_bpermute_b32 v11, v84, v5
	;; [unrolled: 1-line block ×9, first 2 shown]
	v_pk_add_f32 v[14:15], v[64:65], v[14:15]
	ds_bpermute_b32 v33, v84, v25
	ds_bpermute_b32 v16, v84, v14
	;; [unrolled: 1-line block ×3, first 2 shown]
	s_wait_dscnt 0xc
	v_pk_add_f32 v[12:13], v[2:3], v[8:9]
	s_wait_dscnt 0xa
	v_pk_add_f32 v[10:11], v[4:5], v[10:11]
	;; [unrolled: 2-line block ×6, first 2 shown]
	v_cmpx_ne_u32_e32 64, v19
	s_xor_b32 s0, exec_lo, s0
	s_delay_alu instid0(SALU_CYCLE_1)
	s_or_saveexec_b32 s0, s0
	s_wait_dscnt 0x0
	v_pk_add_f32 v[14:15], v[14:15], v[16:17]
	v_lshrrev_b32_e32 v17, 2, v82
	v_add_nc_u32_e32 v16, 0x1e0, v18
	v_mul_u32_u24_e32 v1, 0x1c0, v1
	s_xor_b32 exec_lo, exec_lo, s0
	s_cbranch_execz .LBB22_81
; %bb.80:
	s_delay_alu instid0(VALU_DEP_1) | instskip(NEXT) | instid1(VALU_DEP_1)
	v_add_nc_u32_e32 v18, v16, v1
	v_add_nc_u32_e32 v19, 0xfffffc80, v18
	;; [unrolled: 1-line block ×9, first 2 shown]
	ds_store_b32 v19, v12
	ds_store_b32 v20, v13
	;; [unrolled: 1-line block ×8, first 2 shown]
	v_add_nc_u32_e32 v19, 0xfffffd80, v18
	v_add_nc_u32_e32 v20, 0xfffffda0, v18
	v_add_nc_u32_e32 v21, 0xfffffdc0, v18
	v_add_nc_u32_e32 v22, 0xfffffde0, v18
	v_add_nc_u32_e32 v23, 0xfffffe00, v18
	v_add_nc_u32_e32 v18, 0xfffffe20, v18
	ds_store_b32 v19, v4
	ds_store_b32 v20, v5
	;; [unrolled: 1-line block ×6, first 2 shown]
.LBB22_81:
	s_or_b32 exec_lo, exec_lo, s0
	v_lshlrev_b32_e32 v17, 2, v17
	s_mov_b32 s1, exec_lo
	v_cmp_eq_u32_e32 vcc_lo, 0, v85
	s_wait_dscnt 0x0
	s_barrier_signal -1
	v_add3_u32 v1, 0x1e0, v1, v17
	s_barrier_wait -1
	v_cmpx_gt_u32_e32 64, v0
	s_cbranch_execz .LBB22_98
; %bb.82:
	s_and_saveexec_b32 s0, vcc_lo
	s_cbranch_execnz .LBB22_120
; %bb.83:
	s_or_b32 exec_lo, exec_lo, s0
	s_and_saveexec_b32 s0, vcc_lo
	s_cbranch_execnz .LBB22_121
.LBB22_84:
	s_or_b32 exec_lo, exec_lo, s0
	s_and_saveexec_b32 s0, vcc_lo
	s_cbranch_execnz .LBB22_122
.LBB22_85:
	s_or_b32 exec_lo, exec_lo, s0
	s_and_saveexec_b32 s0, vcc_lo
	s_cbranch_execnz .LBB22_123
.LBB22_86:
	s_or_b32 exec_lo, exec_lo, s0
	s_and_saveexec_b32 s0, vcc_lo
	s_cbranch_execnz .LBB22_124
.LBB22_87:
	s_or_b32 exec_lo, exec_lo, s0
	s_and_saveexec_b32 s0, vcc_lo
	s_cbranch_execnz .LBB22_125
.LBB22_88:
	s_or_b32 exec_lo, exec_lo, s0
	s_and_saveexec_b32 s0, vcc_lo
	s_cbranch_execnz .LBB22_126
.LBB22_89:
	s_or_b32 exec_lo, exec_lo, s0
	s_and_saveexec_b32 s0, vcc_lo
	s_cbranch_execnz .LBB22_127
.LBB22_90:
	s_or_b32 exec_lo, exec_lo, s0
	s_and_saveexec_b32 s0, vcc_lo
	s_cbranch_execnz .LBB22_128
.LBB22_91:
	s_or_b32 exec_lo, exec_lo, s0
	s_and_saveexec_b32 s0, vcc_lo
	s_cbranch_execnz .LBB22_129
.LBB22_92:
	s_or_b32 exec_lo, exec_lo, s0
	s_and_saveexec_b32 s0, vcc_lo
	s_cbranch_execnz .LBB22_130
.LBB22_93:
	s_or_b32 exec_lo, exec_lo, s0
	s_and_saveexec_b32 s0, vcc_lo
	s_cbranch_execnz .LBB22_131
.LBB22_94:
	s_or_b32 exec_lo, exec_lo, s0
	s_and_saveexec_b32 s0, vcc_lo
	s_cbranch_execnz .LBB22_132
.LBB22_95:
	s_or_b32 exec_lo, exec_lo, s0
	s_and_saveexec_b32 s0, vcc_lo
	s_cbranch_execz .LBB22_97
.LBB22_96:
	ds_load_b32 v17, v1 offset:416
	s_wait_dscnt 0x0
	v_add_f32_e32 v15, v15, v17
.LBB22_97:
	s_or_b32 exec_lo, exec_lo, s0
.LBB22_98:
	s_delay_alu instid0(SALU_CYCLE_1) | instskip(SKIP_4) | instid1(VALU_DEP_1)
	s_or_b32 exec_lo, exec_lo, s1
	v_and_b32_e32 v17, 0x3e3, v0
	s_mov_b32 s1, exec_lo
	s_barrier_signal -1
	s_barrier_wait -1
	v_cmpx_eq_u32_e32 32, v17
	s_cbranch_execz .LBB22_100
; %bb.99:
	ds_store_2addr_b32 v16, v12, v13 offset1:8
	ds_store_2addr_b32 v16, v10, v11 offset0:16 offset1:24
	ds_store_2addr_b32 v16, v8, v9 offset0:32 offset1:40
	;; [unrolled: 1-line block ×6, first 2 shown]
.LBB22_100:
	s_or_b32 exec_lo, exec_lo, s1
	s_delay_alu instid0(SALU_CYCLE_1)
	s_mov_b32 s1, exec_lo
	s_wait_dscnt 0x0
	s_barrier_signal -1
	s_barrier_wait -1
	v_cmpx_gt_u32_e32 32, v0
	s_cbranch_execz .LBB22_117
; %bb.101:
	s_and_saveexec_b32 s0, vcc_lo
	s_cbranch_execnz .LBB22_133
; %bb.102:
	s_or_b32 exec_lo, exec_lo, s0
	s_and_saveexec_b32 s0, vcc_lo
	s_cbranch_execnz .LBB22_134
.LBB22_103:
	s_or_b32 exec_lo, exec_lo, s0
	s_and_saveexec_b32 s0, vcc_lo
	s_cbranch_execnz .LBB22_135
.LBB22_104:
	s_or_b32 exec_lo, exec_lo, s0
	s_and_saveexec_b32 s0, vcc_lo
	s_cbranch_execnz .LBB22_136
.LBB22_105:
	s_or_b32 exec_lo, exec_lo, s0
	s_and_saveexec_b32 s0, vcc_lo
	s_cbranch_execnz .LBB22_137
.LBB22_106:
	s_or_b32 exec_lo, exec_lo, s0
	s_and_saveexec_b32 s0, vcc_lo
	s_cbranch_execnz .LBB22_138
.LBB22_107:
	s_or_b32 exec_lo, exec_lo, s0
	s_and_saveexec_b32 s0, vcc_lo
	s_cbranch_execnz .LBB22_139
.LBB22_108:
	s_or_b32 exec_lo, exec_lo, s0
	s_and_saveexec_b32 s0, vcc_lo
	s_cbranch_execnz .LBB22_140
.LBB22_109:
	s_or_b32 exec_lo, exec_lo, s0
	s_and_saveexec_b32 s0, vcc_lo
	s_cbranch_execnz .LBB22_141
.LBB22_110:
	s_or_b32 exec_lo, exec_lo, s0
	s_and_saveexec_b32 s0, vcc_lo
	s_cbranch_execnz .LBB22_142
.LBB22_111:
	s_or_b32 exec_lo, exec_lo, s0
	s_and_saveexec_b32 s0, vcc_lo
	s_cbranch_execnz .LBB22_143
.LBB22_112:
	s_or_b32 exec_lo, exec_lo, s0
	s_and_saveexec_b32 s0, vcc_lo
	s_cbranch_execnz .LBB22_144
.LBB22_113:
	s_or_b32 exec_lo, exec_lo, s0
	s_and_saveexec_b32 s0, vcc_lo
	s_cbranch_execnz .LBB22_145
.LBB22_114:
	s_or_b32 exec_lo, exec_lo, s0
	s_and_saveexec_b32 s0, vcc_lo
	s_cbranch_execz .LBB22_116
.LBB22_115:
	ds_load_b32 v1, v1 offset:416
	s_wait_dscnt 0x0
	v_add_f32_e32 v15, v15, v1
.LBB22_116:
	s_or_b32 exec_lo, exec_lo, s0
.LBB22_117:
	s_delay_alu instid0(SALU_CYCLE_1)
	s_or_b32 exec_lo, exec_lo, s1
	s_mov_b32 s1, 0
	s_barrier_signal -1
	s_barrier_wait -1
	s_mov_b32 s0, exec_lo
	v_cmpx_eq_u32_e32 0, v17
	s_cbranch_execz .LBB22_119
; %bb.118:
	s_mul_i32 s0, s30, s7
	s_mul_i32 s2, s7, s6
	;; [unrolled: 1-line block ×3, first 2 shown]
	s_lshr_b32 s8, ttmp7, 16
	s_mul_i32 s6, s0, 0x70
	s_bfe_u32 s0, ttmp6, 0x40014
	s_ashr_i32 s7, s6, 31
	s_add_co_i32 s0, s0, 1
	s_ashr_i32 s3, s2, 31
	s_mul_i32 s0, s8, s0
	s_bfe_u32 s9, ttmp6, 0x40008
	s_lshl_b64 s[6:7], s[6:7], 2
	s_lshl_b64 s[2:3], s[2:3], 2
	s_add_co_i32 s9, s9, s0
	s_cmp_eq_u32 s28, 0
	s_wait_kmcnt 0x0
	s_add_nc_u64 s[4:5], s[4:5], s[6:7]
	s_cselect_b32 s0, s8, s9
	s_add_nc_u64 s[2:3], s[4:5], s[2:3]
	s_mulk_i32 s0, 0x1c0
	s_delay_alu instid0(SALU_CYCLE_1)
	s_add_nc_u64 s[0:1], s[2:3], s[0:1]
	s_clause 0xd
	global_store_b32 v0, v12, s[0:1]
	global_store_b32 v0, v13, s[0:1] offset:32
	global_store_b32 v0, v10, s[0:1] offset:64
	;; [unrolled: 1-line block ×13, first 2 shown]
.LBB22_119:
	s_sendmsg sendmsg(MSG_DEALLOC_VGPRS)
	s_endpgm
.LBB22_120:
	ds_load_b32 v17, v1
	s_wait_dscnt 0x0
	v_add_f32_e32 v12, v12, v17
	s_or_b32 exec_lo, exec_lo, s0
	s_and_saveexec_b32 s0, vcc_lo
	s_cbranch_execz .LBB22_84
.LBB22_121:
	ds_load_b32 v17, v1 offset:32
	s_wait_dscnt 0x0
	v_add_f32_e32 v13, v13, v17
	s_or_b32 exec_lo, exec_lo, s0
	s_and_saveexec_b32 s0, vcc_lo
	s_cbranch_execz .LBB22_85
.LBB22_122:
	ds_load_b32 v17, v1 offset:64
	s_wait_dscnt 0x0
	v_add_f32_e32 v10, v10, v17
	s_or_b32 exec_lo, exec_lo, s0
	s_and_saveexec_b32 s0, vcc_lo
	s_cbranch_execz .LBB22_86
.LBB22_123:
	ds_load_b32 v17, v1 offset:96
	s_wait_dscnt 0x0
	v_add_f32_e32 v11, v11, v17
	s_or_b32 exec_lo, exec_lo, s0
	s_and_saveexec_b32 s0, vcc_lo
	s_cbranch_execz .LBB22_87
.LBB22_124:
	ds_load_b32 v17, v1 offset:128
	s_wait_dscnt 0x0
	v_add_f32_e32 v8, v8, v17
	s_or_b32 exec_lo, exec_lo, s0
	s_and_saveexec_b32 s0, vcc_lo
	s_cbranch_execz .LBB22_88
.LBB22_125:
	ds_load_b32 v17, v1 offset:160
	s_wait_dscnt 0x0
	v_add_f32_e32 v9, v9, v17
	s_or_b32 exec_lo, exec_lo, s0
	s_and_saveexec_b32 s0, vcc_lo
	s_cbranch_execz .LBB22_89
.LBB22_126:
	ds_load_b32 v17, v1 offset:192
	s_wait_dscnt 0x0
	v_add_f32_e32 v6, v6, v17
	s_or_b32 exec_lo, exec_lo, s0
	s_and_saveexec_b32 s0, vcc_lo
	s_cbranch_execz .LBB22_90
.LBB22_127:
	ds_load_b32 v17, v1 offset:224
	s_wait_dscnt 0x0
	v_add_f32_e32 v7, v7, v17
	s_or_b32 exec_lo, exec_lo, s0
	s_and_saveexec_b32 s0, vcc_lo
	s_cbranch_execz .LBB22_91
.LBB22_128:
	ds_load_b32 v17, v1 offset:256
	s_wait_dscnt 0x0
	v_add_f32_e32 v4, v4, v17
	s_or_b32 exec_lo, exec_lo, s0
	s_and_saveexec_b32 s0, vcc_lo
	s_cbranch_execz .LBB22_92
.LBB22_129:
	ds_load_b32 v17, v1 offset:288
	s_wait_dscnt 0x0
	v_add_f32_e32 v5, v5, v17
	s_or_b32 exec_lo, exec_lo, s0
	s_and_saveexec_b32 s0, vcc_lo
	s_cbranch_execz .LBB22_93
.LBB22_130:
	ds_load_b32 v17, v1 offset:320
	s_wait_dscnt 0x0
	v_add_f32_e32 v2, v2, v17
	s_or_b32 exec_lo, exec_lo, s0
	s_and_saveexec_b32 s0, vcc_lo
	s_cbranch_execz .LBB22_94
.LBB22_131:
	ds_load_b32 v17, v1 offset:352
	s_wait_dscnt 0x0
	v_add_f32_e32 v3, v3, v17
	s_or_b32 exec_lo, exec_lo, s0
	s_and_saveexec_b32 s0, vcc_lo
	s_cbranch_execz .LBB22_95
.LBB22_132:
	ds_load_b32 v17, v1 offset:384
	s_wait_dscnt 0x0
	v_add_f32_e32 v14, v14, v17
	s_or_b32 exec_lo, exec_lo, s0
	s_and_saveexec_b32 s0, vcc_lo
	s_cbranch_execnz .LBB22_96
	s_branch .LBB22_97
.LBB22_133:
	ds_load_b32 v16, v1
	s_wait_dscnt 0x0
	v_add_f32_e32 v12, v12, v16
	s_or_b32 exec_lo, exec_lo, s0
	s_and_saveexec_b32 s0, vcc_lo
	s_cbranch_execz .LBB22_103
.LBB22_134:
	ds_load_b32 v16, v1 offset:32
	s_wait_dscnt 0x0
	v_add_f32_e32 v13, v13, v16
	s_or_b32 exec_lo, exec_lo, s0
	s_and_saveexec_b32 s0, vcc_lo
	s_cbranch_execz .LBB22_104
.LBB22_135:
	ds_load_b32 v16, v1 offset:64
	s_wait_dscnt 0x0
	v_add_f32_e32 v10, v10, v16
	s_or_b32 exec_lo, exec_lo, s0
	s_and_saveexec_b32 s0, vcc_lo
	s_cbranch_execz .LBB22_105
.LBB22_136:
	ds_load_b32 v16, v1 offset:96
	s_wait_dscnt 0x0
	v_add_f32_e32 v11, v11, v16
	s_or_b32 exec_lo, exec_lo, s0
	s_and_saveexec_b32 s0, vcc_lo
	s_cbranch_execz .LBB22_106
.LBB22_137:
	ds_load_b32 v16, v1 offset:128
	s_wait_dscnt 0x0
	v_add_f32_e32 v8, v8, v16
	s_or_b32 exec_lo, exec_lo, s0
	s_and_saveexec_b32 s0, vcc_lo
	s_cbranch_execz .LBB22_107
.LBB22_138:
	ds_load_b32 v16, v1 offset:160
	s_wait_dscnt 0x0
	v_add_f32_e32 v9, v9, v16
	s_or_b32 exec_lo, exec_lo, s0
	s_and_saveexec_b32 s0, vcc_lo
	s_cbranch_execz .LBB22_108
.LBB22_139:
	ds_load_b32 v16, v1 offset:192
	s_wait_dscnt 0x0
	v_add_f32_e32 v6, v6, v16
	s_or_b32 exec_lo, exec_lo, s0
	s_and_saveexec_b32 s0, vcc_lo
	s_cbranch_execz .LBB22_109
.LBB22_140:
	ds_load_b32 v16, v1 offset:224
	s_wait_dscnt 0x0
	v_add_f32_e32 v7, v7, v16
	s_or_b32 exec_lo, exec_lo, s0
	s_and_saveexec_b32 s0, vcc_lo
	s_cbranch_execz .LBB22_110
.LBB22_141:
	ds_load_b32 v16, v1 offset:256
	s_wait_dscnt 0x0
	v_add_f32_e32 v4, v4, v16
	s_or_b32 exec_lo, exec_lo, s0
	s_and_saveexec_b32 s0, vcc_lo
	s_cbranch_execz .LBB22_111
.LBB22_142:
	ds_load_b32 v16, v1 offset:288
	s_wait_dscnt 0x0
	v_add_f32_e32 v5, v5, v16
	s_or_b32 exec_lo, exec_lo, s0
	s_and_saveexec_b32 s0, vcc_lo
	s_cbranch_execz .LBB22_112
.LBB22_143:
	ds_load_b32 v16, v1 offset:320
	s_wait_dscnt 0x0
	v_add_f32_e32 v2, v2, v16
	s_or_b32 exec_lo, exec_lo, s0
	s_and_saveexec_b32 s0, vcc_lo
	s_cbranch_execz .LBB22_113
.LBB22_144:
	ds_load_b32 v16, v1 offset:352
	s_wait_dscnt 0x0
	v_add_f32_e32 v3, v3, v16
	s_or_b32 exec_lo, exec_lo, s0
	s_and_saveexec_b32 s0, vcc_lo
	s_cbranch_execz .LBB22_114
.LBB22_145:
	ds_load_b32 v16, v1 offset:384
	s_wait_dscnt 0x0
	v_add_f32_e32 v14, v14, v16
	s_or_b32 exec_lo, exec_lo, s0
	s_and_saveexec_b32 s0, vcc_lo
	s_cbranch_execnz .LBB22_115
	s_branch .LBB22_116
	.section	.rodata,"a",@progbits
	.p2align	6, 0x0
	.amdhsa_kernel _ZN4vllm25paged_attention_v1_kernelIffLi112ELi16ELi128ELNS_18Fp8KVCacheDataTypeE0ELb1EEEvPT_PKS2_PKT0_S8_ifPKiSA_iPKfiiiSC_SC_iiiii
		.amdhsa_group_segment_fixed_size 480
		.amdhsa_private_segment_fixed_size 0
		.amdhsa_kernarg_size 384
		.amdhsa_user_sgpr_count 2
		.amdhsa_user_sgpr_dispatch_ptr 0
		.amdhsa_user_sgpr_queue_ptr 0
		.amdhsa_user_sgpr_kernarg_segment_ptr 1
		.amdhsa_user_sgpr_dispatch_id 0
		.amdhsa_user_sgpr_kernarg_preload_length 0
		.amdhsa_user_sgpr_kernarg_preload_offset 0
		.amdhsa_user_sgpr_private_segment_size 0
		.amdhsa_wavefront_size32 1
		.amdhsa_uses_dynamic_stack 0
		.amdhsa_enable_private_segment 0
		.amdhsa_system_sgpr_workgroup_id_x 1
		.amdhsa_system_sgpr_workgroup_id_y 1
		.amdhsa_system_sgpr_workgroup_id_z 1
		.amdhsa_system_sgpr_workgroup_info 0
		.amdhsa_system_vgpr_workitem_id 0
		.amdhsa_next_free_vgpr 93
		.amdhsa_next_free_sgpr 40
		.amdhsa_named_barrier_count 0
		.amdhsa_reserve_vcc 1
		.amdhsa_float_round_mode_32 0
		.amdhsa_float_round_mode_16_64 0
		.amdhsa_float_denorm_mode_32 3
		.amdhsa_float_denorm_mode_16_64 3
		.amdhsa_fp16_overflow 0
		.amdhsa_memory_ordered 1
		.amdhsa_forward_progress 1
		.amdhsa_inst_pref_size 71
		.amdhsa_round_robin_scheduling 0
		.amdhsa_exception_fp_ieee_invalid_op 0
		.amdhsa_exception_fp_denorm_src 0
		.amdhsa_exception_fp_ieee_div_zero 0
		.amdhsa_exception_fp_ieee_overflow 0
		.amdhsa_exception_fp_ieee_underflow 0
		.amdhsa_exception_fp_ieee_inexact 0
		.amdhsa_exception_int_div_zero 0
	.end_amdhsa_kernel
	.section	.text._ZN4vllm25paged_attention_v1_kernelIffLi112ELi16ELi128ELNS_18Fp8KVCacheDataTypeE0ELb1EEEvPT_PKS2_PKT0_S8_ifPKiSA_iPKfiiiSC_SC_iiiii,"axG",@progbits,_ZN4vllm25paged_attention_v1_kernelIffLi112ELi16ELi128ELNS_18Fp8KVCacheDataTypeE0ELb1EEEvPT_PKS2_PKT0_S8_ifPKiSA_iPKfiiiSC_SC_iiiii,comdat
.Lfunc_end22:
	.size	_ZN4vllm25paged_attention_v1_kernelIffLi112ELi16ELi128ELNS_18Fp8KVCacheDataTypeE0ELb1EEEvPT_PKS2_PKT0_S8_ifPKiSA_iPKfiiiSC_SC_iiiii, .Lfunc_end22-_ZN4vllm25paged_attention_v1_kernelIffLi112ELi16ELi128ELNS_18Fp8KVCacheDataTypeE0ELb1EEEvPT_PKS2_PKT0_S8_ifPKiSA_iPKfiiiSC_SC_iiiii
                                        ; -- End function
	.set _ZN4vllm25paged_attention_v1_kernelIffLi112ELi16ELi128ELNS_18Fp8KVCacheDataTypeE0ELb1EEEvPT_PKS2_PKT0_S8_ifPKiSA_iPKfiiiSC_SC_iiiii.num_vgpr, 93
	.set _ZN4vllm25paged_attention_v1_kernelIffLi112ELi16ELi128ELNS_18Fp8KVCacheDataTypeE0ELb1EEEvPT_PKS2_PKT0_S8_ifPKiSA_iPKfiiiSC_SC_iiiii.num_agpr, 0
	.set _ZN4vllm25paged_attention_v1_kernelIffLi112ELi16ELi128ELNS_18Fp8KVCacheDataTypeE0ELb1EEEvPT_PKS2_PKT0_S8_ifPKiSA_iPKfiiiSC_SC_iiiii.numbered_sgpr, 40
	.set _ZN4vllm25paged_attention_v1_kernelIffLi112ELi16ELi128ELNS_18Fp8KVCacheDataTypeE0ELb1EEEvPT_PKS2_PKT0_S8_ifPKiSA_iPKfiiiSC_SC_iiiii.num_named_barrier, 0
	.set _ZN4vllm25paged_attention_v1_kernelIffLi112ELi16ELi128ELNS_18Fp8KVCacheDataTypeE0ELb1EEEvPT_PKS2_PKT0_S8_ifPKiSA_iPKfiiiSC_SC_iiiii.private_seg_size, 0
	.set _ZN4vllm25paged_attention_v1_kernelIffLi112ELi16ELi128ELNS_18Fp8KVCacheDataTypeE0ELb1EEEvPT_PKS2_PKT0_S8_ifPKiSA_iPKfiiiSC_SC_iiiii.uses_vcc, 1
	.set _ZN4vllm25paged_attention_v1_kernelIffLi112ELi16ELi128ELNS_18Fp8KVCacheDataTypeE0ELb1EEEvPT_PKS2_PKT0_S8_ifPKiSA_iPKfiiiSC_SC_iiiii.uses_flat_scratch, 0
	.set _ZN4vllm25paged_attention_v1_kernelIffLi112ELi16ELi128ELNS_18Fp8KVCacheDataTypeE0ELb1EEEvPT_PKS2_PKT0_S8_ifPKiSA_iPKfiiiSC_SC_iiiii.has_dyn_sized_stack, 0
	.set _ZN4vllm25paged_attention_v1_kernelIffLi112ELi16ELi128ELNS_18Fp8KVCacheDataTypeE0ELb1EEEvPT_PKS2_PKT0_S8_ifPKiSA_iPKfiiiSC_SC_iiiii.has_recursion, 0
	.set _ZN4vllm25paged_attention_v1_kernelIffLi112ELi16ELi128ELNS_18Fp8KVCacheDataTypeE0ELb1EEEvPT_PKS2_PKT0_S8_ifPKiSA_iPKfiiiSC_SC_iiiii.has_indirect_call, 0
	.section	.AMDGPU.csdata,"",@progbits
; Kernel info:
; codeLenInByte = 9036
; TotalNumSgprs: 42
; NumVgprs: 93
; ScratchSize: 0
; MemoryBound: 0
; FloatMode: 240
; IeeeMode: 1
; LDSByteSize: 480 bytes/workgroup (compile time only)
; SGPRBlocks: 0
; VGPRBlocks: 5
; NumSGPRsForWavesPerEU: 42
; NumVGPRsForWavesPerEU: 93
; NamedBarCnt: 0
; Occupancy: 10
; WaveLimiterHint : 1
; COMPUTE_PGM_RSRC2:SCRATCH_EN: 0
; COMPUTE_PGM_RSRC2:USER_SGPR: 2
; COMPUTE_PGM_RSRC2:TRAP_HANDLER: 0
; COMPUTE_PGM_RSRC2:TGID_X_EN: 1
; COMPUTE_PGM_RSRC2:TGID_Y_EN: 1
; COMPUTE_PGM_RSRC2:TGID_Z_EN: 1
; COMPUTE_PGM_RSRC2:TIDIG_COMP_CNT: 0
	.section	.text._ZN4vllm25paged_attention_v1_kernelIffLi120ELi16ELi128ELNS_18Fp8KVCacheDataTypeE0ELb1EEEvPT_PKS2_PKT0_S8_ifPKiSA_iPKfiiiSC_SC_iiiii,"axG",@progbits,_ZN4vllm25paged_attention_v1_kernelIffLi120ELi16ELi128ELNS_18Fp8KVCacheDataTypeE0ELb1EEEvPT_PKS2_PKT0_S8_ifPKiSA_iPKfiiiSC_SC_iiiii,comdat
	.protected	_ZN4vllm25paged_attention_v1_kernelIffLi120ELi16ELi128ELNS_18Fp8KVCacheDataTypeE0ELb1EEEvPT_PKS2_PKT0_S8_ifPKiSA_iPKfiiiSC_SC_iiiii ; -- Begin function _ZN4vllm25paged_attention_v1_kernelIffLi120ELi16ELi128ELNS_18Fp8KVCacheDataTypeE0ELb1EEEvPT_PKS2_PKT0_S8_ifPKiSA_iPKfiiiSC_SC_iiiii
	.globl	_ZN4vllm25paged_attention_v1_kernelIffLi120ELi16ELi128ELNS_18Fp8KVCacheDataTypeE0ELb1EEEvPT_PKS2_PKT0_S8_ifPKiSA_iPKfiiiSC_SC_iiiii
	.p2align	8
	.type	_ZN4vllm25paged_attention_v1_kernelIffLi120ELi16ELi128ELNS_18Fp8KVCacheDataTypeE0ELb1EEEvPT_PKS2_PKT0_S8_ifPKiSA_iPKfiiiSC_SC_iiiii,@function
_ZN4vllm25paged_attention_v1_kernelIffLi120ELi16ELi128ELNS_18Fp8KVCacheDataTypeE0ELb1EEEvPT_PKS2_PKT0_S8_ifPKiSA_iPKfiiiSC_SC_iiiii: ; @_ZN4vllm25paged_attention_v1_kernelIffLi120ELi16ELi128ELNS_18Fp8KVCacheDataTypeE0ELb1EEEvPT_PKS2_PKT0_S8_ifPKiSA_iPKfiiiSC_SC_iiiii
; %bb.0:
	s_load_b64 s[22:23], s[0:1], 0x20
	s_bfe_u32 s3, ttmp6, 0x4000c
	s_bfe_u32 s4, ttmp6, 0x40010
	s_and_b32 s6, ttmp7, 0xffff
	s_add_co_i32 s3, s3, 1
	s_add_co_i32 s4, s4, 1
	s_and_b32 s2, ttmp6, 15
	s_bfe_u32 s5, ttmp6, 0x40004
	s_mul_i32 s3, ttmp9, s3
	s_mul_i32 s4, s6, s4
	s_getreg_b32 s28, hwreg(HW_REG_IB_STS2, 6, 4)
	s_add_co_i32 s2, s2, s3
	s_add_co_i32 s3, s5, s4
	s_cmp_eq_u32 s28, 0
	s_clause 0x1
	s_load_b32 s29, s[0:1], 0x80
	s_load_b64 s[4:5], s[0:1], 0x30
	s_cselect_b32 s30, s6, s3
	s_cselect_b32 s2, ttmp9, s2
	s_mov_b32 s17, 0
	s_delay_alu instid0(SALU_CYCLE_1) | instskip(SKIP_2) | instid1(SALU_CYCLE_1)
	s_mov_b32 s36, s17
	s_wait_kmcnt 0x0
	s_abs_i32 s3, s22
	s_cvt_f32_u32 s6, s3
	s_sub_co_i32 s7, 0, s3
	s_delay_alu instid0(SALU_CYCLE_2) | instskip(SKIP_2) | instid1(TRANS32_DEP_1)
	v_rcp_iflag_f32_e32 v1, s6
	s_abs_i32 s8, s29
	v_nop
	v_readfirstlane_b32 s6, v1
	s_mul_f32 s6, s6, 0x4f7ffffe
	s_delay_alu instid0(SALU_CYCLE_3) | instskip(NEXT) | instid1(SALU_CYCLE_3)
	s_cvt_u32_f32 s6, s6
	s_mul_i32 s7, s7, s6
	s_delay_alu instid0(SALU_CYCLE_1) | instskip(NEXT) | instid1(SALU_CYCLE_1)
	s_mul_hi_u32 s7, s6, s7
	s_add_co_i32 s6, s6, s7
	s_xor_b32 s7, s29, s22
	s_mul_hi_u32 s6, s8, s6
	s_ashr_i32 s7, s7, 31
	s_mul_i32 s9, s6, s3
	s_delay_alu instid0(SALU_CYCLE_1)
	s_sub_co_i32 s8, s8, s9
	s_add_co_i32 s9, s6, 1
	s_sub_co_i32 s10, s8, s3
	s_cmp_ge_u32 s8, s3
	s_cselect_b32 s6, s9, s6
	s_cselect_b32 s8, s10, s8
	s_add_co_i32 s9, s6, 1
	s_cmp_ge_u32 s8, s3
	s_cselect_b32 s3, s9, s6
	s_load_b64 s[8:9], s[0:1], 0x40
	s_xor_b32 s3, s3, s7
	s_abs_i32 s16, s2
	s_sub_co_i32 s10, s3, s7
	s_mov_b32 s7, s17
	s_abs_i32 s15, s10
	s_delay_alu instid0(SALU_CYCLE_1) | instskip(SKIP_1) | instid1(SALU_CYCLE_2)
	s_cvt_f32_u32 s3, s15
	s_sub_co_i32 s6, 0, s15
	v_rcp_iflag_f32_e32 v1, s3
	v_nop
	s_delay_alu instid0(TRANS32_DEP_1) | instskip(SKIP_1) | instid1(SALU_CYCLE_3)
	v_readfirstlane_b32 s3, v1
	s_mul_f32 s3, s3, 0x4f7ffffe
	s_cvt_u32_f32 s3, s3
	s_delay_alu instid0(SALU_CYCLE_3) | instskip(NEXT) | instid1(SALU_CYCLE_1)
	s_mul_i32 s6, s6, s3
	s_mul_hi_u32 s6, s3, s6
	s_delay_alu instid0(SALU_CYCLE_1)
	s_add_co_i32 s6, s3, s6
	s_wait_kmcnt 0x0
	s_cmp_eq_u64 s[8:9], 0
	s_cbranch_scc1 .LBB23_2
; %bb.1:
	s_ashr_i32 s3, s2, 31
	s_delay_alu instid0(SALU_CYCLE_1) | instskip(NEXT) | instid1(SALU_CYCLE_1)
	s_lshl_b64 s[12:13], s[2:3], 2
	s_add_nc_u64 s[8:9], s[8:9], s[12:13]
	s_load_b32 s36, s[8:9], 0x0
.LBB23_2:
	s_load_b32 s31, s[4:5], s30 offset:0x0 scale_offset
	s_load_b96 s[12:14], s[0:1], 0x48
	v_dual_lshlrev_b32 v28, 2, v0 :: v_dual_bitop2_b32 v4, 1, v0 bitop3:0x40
	s_wait_xcnt 0x0
	s_mul_u64 s[4:5], s[16:17], s[6:7]
	s_ashr_i32 s3, s2, 31
	s_ashr_i32 s18, s10, 31
	s_mul_i32 s6, s2, 0x78
	s_mov_b32 s4, exec_lo
	v_cmpx_gt_u32_e32 60, v0
	s_cbranch_execz .LBB23_4
; %bb.3:
	s_load_b64 s[8:9], s[0:1], 0x8
	s_wait_kmcnt 0x0
	s_mul_i32 s10, s12, s30
	s_ashr_i32 s7, s6, 31
	s_ashr_i32 s11, s10, 31
	v_and_b32_e32 v1, 0xff8, v28
	s_lshl_b64 s[10:11], s[10:11], 2
	s_delay_alu instid0(VALU_DEP_1) | instskip(SKIP_2) | instid1(SALU_CYCLE_1)
	v_mad_u32_u24 v1, 0xf0, v4, v1
	s_add_nc_u64 s[8:9], s[8:9], s[10:11]
	s_lshl_b64 s[10:11], s[6:7], 2
	s_add_nc_u64 s[8:9], s[8:9], s[10:11]
	global_load_b64 v[2:3], v0, s[8:9] scale_offset
	s_wait_loadcnt 0x0
	ds_store_b64 v1, v[2:3]
.LBB23_4:
	s_or_b32 exec_lo, exec_lo, s4
	s_load_b128 s[8:11], s[0:1], 0x68
	s_mul_i32 s4, s5, s15
	s_xor_b32 s3, s3, s18
	s_sub_co_i32 s4, s16, s4
	s_add_co_i32 s7, s5, 1
	s_wait_kmcnt 0x0
	s_sub_co_i32 s12, s4, s15
	s_cmp_ge_u32 s4, s15
	s_mov_b32 s18, -1
	s_cselect_b32 s5, s7, s5
	s_cselect_b32 s4, s12, s4
	s_add_co_i32 s12, s5, 1
	s_cmp_ge_u32 s4, s15
	s_load_b32 s7, s[0:1], 0x78
	s_cselect_b32 s4, s12, s5
	s_add_co_i32 s15, s31, -1
	s_xor_b32 s4, s4, s3
	s_wait_dscnt 0x0
	s_sub_co_i32 s3, s4, s3
	s_barrier_signal -1
	s_barrier_wait -1
	s_abs_i32 s12, s11
	s_delay_alu instid0(SALU_CYCLE_1) | instskip(NEXT) | instid1(SALU_CYCLE_3)
	s_cvt_f32_u32 s5, s12
                                        ; implicit-def: $sgpr33
	v_rcp_iflag_f32_e32 v1, s5
	v_nop
	s_delay_alu instid0(TRANS32_DEP_1) | instskip(SKIP_1) | instid1(SALU_CYCLE_3)
	v_readfirstlane_b32 s5, v1
	s_mul_f32 s4, s5, 0x4f7ffffe
	s_cvt_u32_f32 s16, s4
	s_sub_co_i32 s4, 0, s12
	s_delay_alu instid0(SALU_CYCLE_2)
	s_mul_i32 s5, s4, s16
	s_abs_i32 s4, s15
	s_mul_hi_u32 s17, s16, s5
	s_mov_b32 s5, 0
	s_add_co_i32 s16, s16, s17
	s_wait_kmcnt 0x0
	s_cmp_lt_i32 s7, 0
	s_mov_b32 s17, s5
	s_cbranch_scc0 .LBB23_6
; %bb.5:
	s_mul_i32 s18, s8, s22
	s_delay_alu instid0(SALU_CYCLE_1) | instskip(NEXT) | instid1(SALU_CYCLE_1)
	s_add_co_i32 s18, s3, s18
	s_mul_i32 s18, s18, s7
	s_delay_alu instid0(SALU_CYCLE_1)
	s_sub_co_i32 s33, 1, s18
	s_mov_b32 s18, s5
.LBB23_6:
	s_ashr_i32 s15, s15, 31
	s_ashr_i32 s34, s11, 31
	s_and_not1_b32 vcc_lo, exec_lo, s18
	s_mul_u64 s[24:25], s[4:5], s[16:17]
	s_cbranch_vccnz .LBB23_8
; %bb.7:
	s_mul_i32 s5, s29, s8
	s_delay_alu instid0(SALU_CYCLE_1) | instskip(NEXT) | instid1(SALU_CYCLE_1)
	s_add_co_i32 s2, s5, s2
	s_mul_i32 s2, s2, s7
	s_delay_alu instid0(SALU_CYCLE_1)
	s_add_co_i32 s33, s2, 1
.LBB23_8:
	s_load_b32 s2, s[0:1], 0x38
	s_mul_i32 s7, s25, s12
	s_xor_b32 s5, s15, s34
	s_sub_co_i32 s4, s4, s7
	s_add_co_i32 s8, s25, 1
	s_clause 0x1
	s_load_b64 s[18:19], s[0:1], 0x28
	s_load_b32 s7, s[0:1], 0x88
	v_dual_lshrrev_b32 v1, 5, v0 :: v_dual_lshrrev_b32 v29, 3, v0
	v_mov_b32_e32 v33, 0xff7fffff
	v_mbcnt_lo_u32_b32 v30, -1, 0
	s_mul_i32 s14, s3, s14
	s_delay_alu instid0(VALU_DEP_3)
	v_lshlrev_b32_e32 v66, 4, v1
	s_wait_kmcnt 0x0
	s_mul_i32 s20, s2, s30
	s_sub_co_i32 s2, s4, s12
	s_ashr_i32 s21, s20, 31
	s_cmp_ge_u32 s4, s12
	s_cselect_b32 s8, s8, s25
	s_cselect_b32 s2, s2, s4
	s_add_co_i32 s4, s8, 1
	s_cmp_ge_u32 s2, s12
	s_cselect_b32 s2, s4, s8
	s_add_co_i32 s4, s31, 15
	s_delay_alu instid0(SALU_CYCLE_1) | instskip(NEXT) | instid1(SALU_CYCLE_1)
	s_ashr_i32 s8, s4, 31
	s_lshr_b32 s8, s8, 28
	s_delay_alu instid0(SALU_CYCLE_1) | instskip(NEXT) | instid1(SALU_CYCLE_1)
	s_add_co_i32 s4, s4, s8
	s_ashr_i32 s35, s4, 4
	s_xor_b32 s4, s2, s5
	v_cmp_gt_i32_e64 s2, s35, v1
	s_sub_co_i32 s8, s4, s5
	s_and_saveexec_b32 s11, s2
	s_cbranch_execz .LBB23_20
; %bb.9:
	s_load_b64 s[4:5], s[0:1], 0x10
	s_ashr_i32 s15, s14, 31
	s_sub_co_i32 s22, s8, s9
	s_ashr_i32 s25, s13, 31
	s_lshl_b64 s[38:39], s[14:15], 2
	s_cmp_neq_f32 s36, 0
	v_bfe_u32 v31, v0, 1, 4
	v_dual_mov_b32 v3, 0 :: v_dual_lshlrev_b32 v6, 3, v0
	s_cselect_b32 vcc_lo, -1, 0
	s_abs_i32 s15, s10
	s_delay_alu instid0(VALU_DEP_2)
	v_lshlrev_b32_e32 v2, 4, v31
	s_cvt_f32_u32 s3, s15
	v_mul_u32_u24_e32 v32, 0xf0, v4
	v_lshlrev_b32_e32 v7, 2, v31
	s_sub_co_i32 s26, 0, s15
	v_rcp_iflag_f32_e32 v5, s3
	v_cmp_eq_u32_e64 s3, 0, v4
	v_dual_mov_b32 v36, 0xff7fffff :: v_dual_mov_b32 v33, 0xff7fffff
	s_wait_kmcnt 0x0
	s_add_nc_u64 s[4:5], s[4:5], s[38:39]
	v_lshl_or_b32 v8, v1, 6, v7
	v_mov_b32_e32 v38, v1
	v_readfirstlane_b32 s24, v5
	v_add_nc_u64_e32 v[4:5], s[4:5], v[2:3]
	v_and_b32_e32 v2, 8, v6
	v_subrev_nc_u32_e32 v6, s31, v31
	s_lshl_b64 s[4:5], s[20:21], 2
	s_mul_f32 s24, s24, 0x4f7ffffe
	s_add_nc_u64 s[4:5], s[18:19], s[4:5]
	v_add_nc_u32_e32 v35, 0x200, v8
	v_add_nc_u32_e32 v34, 1, v6
	v_add_nc_u64_e32 v[4:5], v[4:5], v[2:3]
	v_and_b32_e32 v2, 0x7c, v29
	s_cvt_u32_f32 s37, s24
	v_xor_b32_e32 v37, 1, v30
	s_mov_b32 s27, 0
	s_mov_b32 s24, s13
	v_add_nc_u64_e32 v[6:7], s[4:5], v[2:3]
	s_mul_i32 s26, s26, s37
	v_lshlrev_b32_e32 v2, 4, v1
	s_mul_hi_u32 s4, s37, s26
	s_delay_alu instid0(SALU_CYCLE_1)
	s_add_co_i32 s26, s37, s4
	s_mov_b32 s37, s27
	s_branch .LBB23_12
.LBB23_10:                              ;   in Loop: Header=BB23_12 Depth=1
	s_or_b32 exec_lo, exec_lo, s38
.LBB23_11:                              ;   in Loop: Header=BB23_12 Depth=1
	s_delay_alu instid0(SALU_CYCLE_1) | instskip(SKIP_4) | instid1(VALU_DEP_4)
	s_or_b32 exec_lo, exec_lo, s5
	v_add_nc_u32_e32 v38, 4, v38
	v_add_nc_u64_e32 v[6:7], 16, v[6:7]
	v_add_nc_u32_e32 v2, 64, v2
	v_add_nc_u32_e32 v35, 0x100, v35
	v_cmp_le_i32_e64 s4, s35, v38
	s_or_b32 s37, s4, s37
	s_delay_alu instid0(SALU_CYCLE_1)
	s_and_not1_b32 exec_lo, exec_lo, s37
	s_cbranch_execz .LBB23_19
.LBB23_12:                              ; =>This Inner Loop Header: Depth=1
	s_wait_dscnt 0x0
	v_mul_u64_e32 v[8:9], s[16:17], v[2:3]
	s_delay_alu instid0(VALU_DEP_1) | instskip(NEXT) | instid1(VALU_DEP_1)
	v_mul_lo_u32 v8, v9, s12
	v_dual_add_nc_u32 v10, 1, v9 :: v_dual_sub_nc_u32 v8, v2, v8
	s_delay_alu instid0(VALU_DEP_1) | instskip(SKIP_1) | instid1(VALU_DEP_1)
	v_subrev_nc_u32_e32 v11, s12, v8
	v_cmp_le_u32_e64 s4, s12, v8
	v_dual_cndmask_b32 v9, v9, v10, s4 :: v_dual_cndmask_b32 v8, v8, v11, s4
	s_delay_alu instid0(VALU_DEP_1) | instskip(NEXT) | instid1(VALU_DEP_2)
	v_add_nc_u32_e32 v10, 1, v9
	v_cmp_le_u32_e64 s4, s12, v8
	s_delay_alu instid0(VALU_DEP_1) | instskip(NEXT) | instid1(VALU_DEP_1)
	v_dual_cndmask_b32 v8, v9, v10, s4 :: v_dual_mov_b32 v9, v3
	v_xor_b32_e32 v8, s34, v8
	s_delay_alu instid0(VALU_DEP_1) | instskip(NEXT) | instid1(VALU_DEP_1)
	v_subrev_nc_u32_e32 v12, s34, v8
	v_add_nc_u32_e32 v13, s33, v12
	v_cmp_ge_i32_e64 s5, s22, v12
	s_delay_alu instid0(VALU_DEP_2) | instskip(NEXT) | instid1(VALU_DEP_1)
	v_sub_nc_u32_e32 v8, 0, v13
	v_max_i32_e32 v8, v13, v8
	s_delay_alu instid0(VALU_DEP_1) | instskip(SKIP_1) | instid1(VALU_DEP_2)
	v_mul_u64_e32 v[10:11], s[26:27], v[8:9]
	v_ashrrev_i32_e32 v10, 31, v13
	v_mul_lo_u32 v9, v11, s15
	s_delay_alu instid0(VALU_DEP_1) | instskip(NEXT) | instid1(VALU_DEP_1)
	v_sub_nc_u32_e32 v8, v8, v9
	v_subrev_nc_u32_e32 v9, s15, v8
	v_cmp_le_u32_e64 s4, s15, v8
	s_delay_alu instid0(VALU_DEP_1) | instskip(NEXT) | instid1(VALU_DEP_1)
	v_cndmask_b32_e64 v8, v8, v9, s4
	v_subrev_nc_u32_e32 v9, s15, v8
	v_cmp_le_u32_e64 s4, s15, v8
	s_delay_alu instid0(VALU_DEP_1) | instskip(NEXT) | instid1(VALU_DEP_1)
	v_cndmask_b32_e64 v8, v8, v9, s4
	v_xor_b32_e32 v8, v8, v10
	s_delay_alu instid0(VALU_DEP_1) | instskip(NEXT) | instid1(VALU_DEP_1)
	v_sub_nc_u32_e32 v8, v8, v10
	v_cmp_ne_u32_e64 s4, 0, v8
	s_and_b32 s4, s4, s5
	s_delay_alu instid0(SALU_CYCLE_1) | instskip(NEXT) | instid1(SALU_CYCLE_1)
	s_and_saveexec_b32 s5, s4
	s_xor_b32 s4, exec_lo, s5
	s_cbranch_execz .LBB23_16
; %bb.13:                               ;   in Loop: Header=BB23_12 Depth=1
	s_and_saveexec_b32 s5, s3
; %bb.14:                               ;   in Loop: Header=BB23_12 Depth=1
	ds_store_b32 v35, v36
; %bb.15:                               ;   in Loop: Header=BB23_12 Depth=1
	s_or_b32 exec_lo, exec_lo, s5
.LBB23_16:                              ;   in Loop: Header=BB23_12 Depth=1
	s_and_not1_saveexec_b32 s5, s4
	s_cbranch_execz .LBB23_11
; %bb.17:                               ;   in Loop: Header=BB23_12 Depth=1
	global_load_b32 v8, v[6:7], off
	v_cmp_gt_i32_e64 s4, 32, v37
	s_wait_loadcnt 0x0
	v_ashrrev_i32_e32 v9, 31, v8
	s_delay_alu instid0(VALU_DEP_1) | instskip(NEXT) | instid1(VALU_DEP_1)
	v_mul_u64_e32 v[8:9], s[24:25], v[8:9]
	v_lshl_add_u64 v[16:17], v[8:9], 2, v[4:5]
	s_clause 0x1d
	global_load_b64 v[52:53], v[16:17], off offset:256
	global_load_b64 v[54:55], v[16:17], off offset:512
	;; [unrolled: 1-line block ×3, first 2 shown]
	global_load_b64 v[58:59], v[16:17], off
	global_load_b64 v[60:61], v[16:17], off offset:1024
	global_load_b64 v[62:63], v[16:17], off offset:1280
	;; [unrolled: 1-line block ×26, first 2 shown]
	ds_load_b128 v[40:43], v32
	ds_load_b128 v[44:47], v32 offset:16
	ds_load_b128 v[48:51], v32 offset:32
	s_wait_loadcnt_dscnt 0x1d02
	v_dual_mul_f32 v39, v42, v52 :: v_dual_mul_f32 v52, v43, v53
	s_wait_loadcnt 0x1a
	s_delay_alu instid0(VALU_DEP_1) | instskip(SKIP_3) | instid1(VALU_DEP_1)
	v_dual_fmac_f32 v52, v41, v59 :: v_dual_fmac_f32 v39, v40, v58
	ds_load_b128 v[40:43], v32 offset:48
	s_wait_dscnt 0x2
	v_dual_fmac_f32 v52, v45, v55 :: v_dual_fmac_f32 v39, v44, v54
	v_dual_fmac_f32 v52, v47, v57 :: v_dual_fmac_f32 v39, v46, v56
	ds_load_b128 v[44:47], v32 offset:64
	s_wait_loadcnt_dscnt 0x1902
	v_dual_fmac_f32 v52, v49, v61 :: v_dual_fmac_f32 v39, v48, v60
	s_wait_loadcnt 0x18
	s_delay_alu instid0(VALU_DEP_1) | instskip(SKIP_4) | instid1(VALU_DEP_1)
	v_dual_fmac_f32 v52, v51, v63 :: v_dual_fmac_f32 v39, v50, v62
	ds_load_b128 v[48:51], v32 offset:80
	s_wait_loadcnt_dscnt 0x1702
	v_dual_fmac_f32 v52, v41, v65 :: v_dual_fmac_f32 v39, v40, v64
	s_wait_loadcnt 0x16
	v_dual_fmac_f32 v52, v43, v69 :: v_dual_fmac_f32 v39, v42, v68
	ds_load_b128 v[40:43], v32 offset:96
	s_wait_loadcnt_dscnt 0x1502
	v_dual_fmac_f32 v52, v45, v71 :: v_dual_fmac_f32 v39, v44, v70
	s_wait_loadcnt 0x14
	s_delay_alu instid0(VALU_DEP_1) | instskip(SKIP_4) | instid1(VALU_DEP_1)
	v_dual_fmac_f32 v52, v47, v73 :: v_dual_fmac_f32 v39, v46, v72
	ds_load_b128 v[44:47], v32 offset:112
	s_wait_loadcnt_dscnt 0x1302
	v_dual_fmac_f32 v52, v49, v75 :: v_dual_fmac_f32 v39, v48, v74
	s_wait_loadcnt 0x12
	;; [unrolled: 11-line block ×5, first 2 shown]
	v_dual_fmac_f32 v52, v51, v21 :: v_dual_fmac_f32 v39, v50, v20
	ds_load_b128 v[18:21], v32 offset:224
	s_wait_loadcnt_dscnt 0x502
	v_dual_fmac_f32 v52, v41, v11 :: v_dual_fmac_f32 v39, v40, v10
	s_wait_loadcnt 0x4
	s_delay_alu instid0(VALU_DEP_1) | instskip(SKIP_1) | instid1(VALU_DEP_1)
	v_dual_fmac_f32 v52, v9, v43 :: v_dual_fmac_f32 v39, v8, v42
	s_wait_loadcnt_dscnt 0x301
	v_dual_fmac_f32 v52, v15, v45 :: v_dual_fmac_f32 v39, v14, v44
	s_wait_loadcnt 0x2
	s_delay_alu instid0(VALU_DEP_1) | instskip(SKIP_1) | instid1(VALU_DEP_1)
	v_dual_fmac_f32 v52, v23, v47 :: v_dual_fmac_f32 v39, v22, v46
	s_wait_loadcnt_dscnt 0x100
	v_dual_fmac_f32 v52, v27, v19 :: v_dual_fmac_f32 v39, v26, v18
	s_wait_loadcnt 0x0
	s_delay_alu instid0(VALU_DEP_1) | instskip(NEXT) | instid1(VALU_DEP_2)
	v_fmac_f32_e32 v52, v17, v21
	v_dual_cndmask_b32 v8, v30, v37, s4 :: v_dual_fmac_f32 v39, v16, v20
	s_delay_alu instid0(VALU_DEP_1) | instskip(NEXT) | instid1(VALU_DEP_2)
	v_lshlrev_b32_e32 v9, 2, v8
	v_add_f32_e32 v8, v39, v52
	ds_bpermute_b32 v9, v9, v8
	s_and_saveexec_b32 s38, s3
	s_cbranch_execz .LBB23_10
; %bb.18:                               ;   in Loop: Header=BB23_12 Depth=1
	s_wait_dscnt 0x0
	v_dual_add_nc_u32 v10, v34, v2 :: v_dual_add_f32 v8, v8, v9
	s_delay_alu instid0(VALU_DEP_1) | instskip(NEXT) | instid1(VALU_DEP_1)
	v_cvt_f32_i32_e32 v10, v10
	v_mul_f32_e32 v10, s36, v10
	s_delay_alu instid0(VALU_DEP_1) | instskip(NEXT) | instid1(VALU_DEP_1)
	v_dual_cndmask_b32 v9, 0, v10 :: v_dual_max_num_f32 v10, v33, v33
	v_dual_fmac_f32 v9, s23, v8 :: v_dual_add_nc_u32 v8, v31, v2
	s_delay_alu instid0(VALU_DEP_1) | instskip(NEXT) | instid1(VALU_DEP_2)
	v_max_num_f32_e32 v10, v10, v9
	v_cmp_gt_i32_e64 s4, s31, v8
	s_delay_alu instid0(VALU_DEP_1)
	v_dual_cndmask_b32 v8, 0, v9, s4 :: v_dual_cndmask_b32 v33, v33, v10, s4
	ds_store_b32 v35, v8
	s_branch .LBB23_10
.LBB23_19:
	s_or_b32 exec_lo, exec_lo, s37
.LBB23_20:
	s_delay_alu instid0(SALU_CYCLE_1)
	s_or_b32 exec_lo, exec_lo, s11
	v_dual_max_num_f32 v5, v33, v33 :: v_dual_bitop2_b32 v2, 16, v30 bitop3:0x14
	v_xor_b32_e32 v4, 8, v30
	s_clause 0x1
	s_load_b64 s[4:5], s[0:1], 0x0
	s_load_b64 s[22:23], s[0:1], 0x18
	v_and_b32_e32 v86, 31, v0
	v_cmp_gt_i32_e32 vcc_lo, 32, v2
	v_cndmask_b32_e32 v2, v30, v2, vcc_lo
	v_cmp_gt_i32_e32 vcc_lo, 32, v4
	s_delay_alu instid0(VALU_DEP_2) | instskip(SKIP_3) | instid1(VALU_DEP_1)
	v_dual_cndmask_b32 v4, v30, v4, vcc_lo :: v_dual_lshlrev_b32 v2, 2, v2
	ds_bpermute_b32 v3, v2, v33
	s_wait_dscnt 0x0
	v_dual_max_num_f32 v6, v3, v3 :: v_dual_lshlrev_b32 v3, 2, v4
	v_max_num_f32_e32 v5, v5, v6
	ds_bpermute_b32 v4, v3, v5
	s_wait_dscnt 0x0
	v_dual_max_num_f32 v7, v4, v4 :: v_dual_bitop2_b32 v6, 4, v30 bitop3:0x14
	s_delay_alu instid0(VALU_DEP_1) | instskip(NEXT) | instid1(VALU_DEP_2)
	v_cmp_gt_i32_e32 vcc_lo, 32, v6
	v_dual_max_num_f32 v5, v5, v7 :: v_dual_bitop2_b32 v7, 2, v30 bitop3:0x14
	v_cndmask_b32_e32 v6, v30, v6, vcc_lo
	s_delay_alu instid0(VALU_DEP_2) | instskip(NEXT) | instid1(VALU_DEP_2)
	v_cmp_gt_i32_e32 vcc_lo, 32, v7
	v_dual_cndmask_b32 v7, v30, v7 :: v_dual_lshlrev_b32 v4, 2, v6
	v_cmp_eq_u32_e32 vcc_lo, 0, v86
	s_delay_alu instid0(VALU_DEP_2) | instskip(SKIP_3) | instid1(VALU_DEP_1)
	v_lshlrev_b32_e32 v87, 2, v7
	ds_bpermute_b32 v6, v4, v5
	s_wait_dscnt 0x0
	v_max_num_f32_e32 v6, v6, v6
	v_dual_max_num_f32 v6, v5, v6 :: v_dual_lshlrev_b32 v5, 2, v1
	ds_bpermute_b32 v7, v87, v6
	s_wait_xcnt 0x0
	s_and_saveexec_b32 s0, vcc_lo
	s_cbranch_execz .LBB23_22
; %bb.21:
	s_wait_dscnt 0x0
	v_dual_max_num_f32 v7, v7, v7 :: v_dual_max_num_f32 v6, v6, v6
	s_delay_alu instid0(VALU_DEP_1)
	v_max_num_f32_e32 v6, v6, v7
	ds_store_b32 v5, v6 offset:480
.LBB23_22:
	s_or_b32 exec_lo, exec_lo, s0
	v_cmp_gt_u32_e64 s0, 4, v86
	s_wait_dscnt 0x0
	v_dual_mov_b32 v7, 0xff7fffff :: v_dual_lshlrev_b32 v6, 2, v86
	s_barrier_signal -1
	s_barrier_wait -1
	s_and_saveexec_b32 s1, s0
; %bb.23:
	ds_load_b32 v7, v6 offset:480
; %bb.24:
	s_or_b32 exec_lo, exec_lo, s1
	s_wait_dscnt 0x0
	ds_bpermute_b32 v8, v87, v7
	v_dual_max_num_f32 v7, v7, v7 :: v_dual_bitop2_b32 v9, 1, v30 bitop3:0x14
	s_delay_alu instid0(VALU_DEP_1) | instskip(NEXT) | instid1(VALU_DEP_1)
	v_cmp_gt_i32_e64 s1, 32, v9
	v_cndmask_b32_e64 v9, v30, v9, s1
	s_lshl_b32 s1, s35, 4
	s_delay_alu instid0(SALU_CYCLE_1) | instskip(NEXT) | instid1(SALU_CYCLE_1)
	s_min_i32 s11, s1, s31
	v_cmp_gt_i32_e64 s1, s11, v0
	s_wait_dscnt 0x0
	v_dual_max_num_f32 v8, v8, v8 :: v_dual_lshlrev_b32 v88, 2, v9
	s_delay_alu instid0(VALU_DEP_1) | instskip(SKIP_3) | instid1(VALU_DEP_1)
	v_max_num_f32_e32 v7, v7, v8
	ds_bpermute_b32 v8, v88, v7
	s_wait_dscnt 0x0
	v_max_num_f32_e32 v8, v8, v8
	v_dual_max_num_f32 v8, v7, v8 :: v_dual_mov_b32 v7, 0
	ds_bpermute_b32 v8, v7, v8
	s_and_saveexec_b32 s15, s1
	s_cbranch_execz .LBB23_28
; %bb.25:
	v_lshl_add_u32 v9, v0, 2, 0x200
	v_dual_mov_b32 v7, 0 :: v_dual_mov_b32 v10, v0
	s_mov_b32 s24, 0
.LBB23_26:                              ; =>This Inner Loop Header: Depth=1
	ds_load_b32 v11, v9
	v_add_nc_u32_e32 v10, 0x80, v10
	s_delay_alu instid0(VALU_DEP_1) | instskip(SKIP_3) | instid1(VALU_DEP_1)
	v_cmp_le_i32_e64 s3, s11, v10
	s_or_b32 s24, s3, s24
	s_wait_dscnt 0x0
	v_sub_f32_e32 v11, v11, v8
	v_mul_f32_e32 v11, 0x3fb8aa3b, v11
	s_delay_alu instid0(VALU_DEP_1)
	v_exp_f32_e32 v11, v11
	ds_store_b32 v9, v11
	v_nop
	v_add_f32_e32 v7, v7, v11
	v_add_nc_u32_e32 v9, 0x200, v9
	s_and_not1_b32 exec_lo, exec_lo, s24
	s_cbranch_execnz .LBB23_26
; %bb.27:
	s_or_b32 exec_lo, exec_lo, s24
.LBB23_28:
	s_delay_alu instid0(SALU_CYCLE_1)
	s_or_b32 exec_lo, exec_lo, s15
	ds_bpermute_b32 v2, v2, v7
	s_wait_dscnt 0x0
	v_add_f32_e32 v2, v7, v2
	ds_bpermute_b32 v3, v3, v2
	s_wait_dscnt 0x0
	v_add_f32_e32 v2, v2, v3
	;; [unrolled: 3-line block ×5, first 2 shown]
	s_and_saveexec_b32 s3, vcc_lo
; %bb.29:
	ds_store_b32 v5, v2 offset:496
; %bb.30:
	s_or_b32 exec_lo, exec_lo, s3
	s_wait_dscnt 0x0
	s_barrier_signal -1
	s_barrier_wait -1
	s_and_saveexec_b32 s3, s0
; %bb.31:
	ds_load_b32 v2, v6 offset:496
; %bb.32:
	s_or_b32 exec_lo, exec_lo, s3
	s_wait_dscnt 0x0
	ds_bpermute_b32 v3, v87, v2
	s_wait_dscnt 0x0
	v_dual_mov_b32 v69, 0 :: v_dual_add_f32 v2, v2, v3
	ds_bpermute_b32 v3, v88, v2
	s_wait_dscnt 0x0
	v_add_f32_e32 v2, v2, v3
	ds_bpermute_b32 v2, v69, v2
	s_and_saveexec_b32 s0, s1
	s_cbranch_execz .LBB23_45
; %bb.33:
	s_wait_dscnt 0x0
	v_add_f32_e32 v2, 0x358637bd, v2
	s_mov_b32 s3, -1
	s_mov_b32 s1, exec_lo
	s_delay_alu instid0(VALU_DEP_1) | instskip(NEXT) | instid1(VALU_DEP_1)
	v_div_scale_f32 v3, null, v2, v2, 1.0
	v_rcp_f32_e32 v5, v3
	v_nop
	s_delay_alu instid0(TRANS32_DEP_1) | instskip(NEXT) | instid1(VALU_DEP_1)
	v_fma_f32 v4, -v3, v5, 1.0
	v_fmac_f32_e32 v5, v4, v5
	v_div_scale_f32 v6, vcc_lo, 1.0, v2, 1.0
	s_delay_alu instid0(VALU_DEP_1) | instskip(NEXT) | instid1(VALU_DEP_1)
	v_mul_f32_e32 v7, v6, v5
	v_fma_f32 v4, -v3, v7, v6
	s_delay_alu instid0(VALU_DEP_1) | instskip(SKIP_1) | instid1(VALU_DEP_2)
	v_fmac_f32_e32 v7, v4, v5
	v_xad_u32 v4, v0, -1, s11
	v_fma_f32 v3, -v3, v7, v6
	s_delay_alu instid0(VALU_DEP_1) | instskip(NEXT) | instid1(VALU_DEP_1)
	v_div_fmas_f32 v3, v3, v5, v7
	v_div_fixup_f32 v2, v3, v2, 1.0
	v_mov_b32_e32 v3, v0
	v_cmpx_lt_u32_e32 0x7f, v4
	s_cbranch_execz .LBB23_42
; %bb.34:
	s_delay_alu instid0(VALU_DEP_3) | instskip(NEXT) | instid1(VALU_DEP_1)
	v_dual_mov_b32 v3, v2 :: v_dual_lshrrev_b32 v4, 7, v4
	v_dual_mov_b32 v8, 0 :: v_dual_add_nc_u32 v5, -1, v4
	s_delay_alu instid0(VALU_DEP_1) | instskip(SKIP_1) | instid1(VALU_DEP_2)
	v_lshrrev_b32_e32 v6, 1, v5
	v_cmp_lt_u32_e32 vcc_lo, 13, v5
	v_add_nc_u32_e32 v5, 1, v6
	s_and_saveexec_b32 s3, vcc_lo
	s_cbranch_execz .LBB23_38
; %bb.35:
	s_delay_alu instid0(VALU_DEP_1)
	v_and_b32_e32 v6, -8, v5
	v_lshl_add_u32 v7, v0, 2, 0x200
	s_mov_b32 s15, 0
	s_mov_b32 s24, 0
.LBB23_36:                              ; =>This Inner Loop Header: Depth=1
	ds_load_2addr_stride64_b32 v[8:9], v7 offset1:2
	ds_load_2addr_stride64_b32 v[10:11], v7 offset0:4 offset1:6
	ds_load_2addr_stride64_b32 v[12:13], v7 offset0:8 offset1:10
	;; [unrolled: 1-line block ×7, first 2 shown]
	s_add_co_i32 s24, s24, 16
	v_add_nc_u32_e32 v6, -8, v6
	s_wait_dscnt 0x7
	v_pk_mul_f32 v[8:9], v[2:3], v[8:9]
	s_wait_dscnt 0x6
	v_pk_mul_f32 v[10:11], v[2:3], v[10:11]
	;; [unrolled: 2-line block ×8, first 2 shown]
	ds_store_2addr_stride64_b32 v7, v8, v9 offset1:2
	ds_store_2addr_stride64_b32 v7, v10, v11 offset0:4 offset1:6
	ds_store_2addr_stride64_b32 v7, v12, v13 offset0:8 offset1:10
	;; [unrolled: 1-line block ×7, first 2 shown]
	v_mov_b32_e32 v8, s24
	v_cmp_eq_u32_e32 vcc_lo, 0, v6
	v_add_nc_u32_e32 v7, 0x2000, v7
	s_or_b32 s15, vcc_lo, s15
	s_delay_alu instid0(SALU_CYCLE_1)
	s_and_not1_b32 exec_lo, exec_lo, s15
	s_cbranch_execnz .LBB23_36
; %bb.37:
	s_or_b32 exec_lo, exec_lo, s15
.LBB23_38:
	s_delay_alu instid0(SALU_CYCLE_1) | instskip(NEXT) | instid1(VALU_DEP_1)
	s_or_b32 exec_lo, exec_lo, s3
	v_and_b32_e32 v5, 7, v5
	s_mov_b32 s15, 0
	s_mov_b32 s3, exec_lo
	s_delay_alu instid0(VALU_DEP_1)
	v_cmpx_ne_u32_e32 0, v5
	s_cbranch_execz .LBB23_41
; %bb.39:
	v_lshlrev_b32_e32 v6, 9, v8
	s_delay_alu instid0(VALU_DEP_1)
	v_add3_u32 v6, v6, v28, 0x200
.LBB23_40:                              ; =>This Inner Loop Header: Depth=1
	ds_load_2addr_stride64_b32 v[8:9], v6 offset1:2
	v_add_nc_u32_e32 v5, -1, v5
	s_delay_alu instid0(VALU_DEP_1)
	v_cmp_eq_u32_e32 vcc_lo, 0, v5
	s_or_b32 s15, vcc_lo, s15
	s_wait_dscnt 0x0
	v_pk_mul_f32 v[8:9], v[2:3], v[8:9]
	ds_store_2addr_stride64_b32 v6, v8, v9 offset1:2
	v_add_nc_u32_e32 v6, 0x400, v6
	s_and_not1_b32 exec_lo, exec_lo, s15
	s_cbranch_execnz .LBB23_40
.LBB23_41:
	s_or_b32 exec_lo, exec_lo, s3
	v_add_nc_u32_e32 v3, 1, v4
	s_delay_alu instid0(VALU_DEP_1) | instskip(NEXT) | instid1(VALU_DEP_1)
	v_and_b32_e32 v4, 0x3fffffe, v3
	v_cmp_ne_u32_e32 vcc_lo, v3, v4
	v_lshl_add_u32 v3, v4, 7, v0
	s_or_not1_b32 s3, vcc_lo, exec_lo
.LBB23_42:
	s_or_b32 exec_lo, exec_lo, s1
	s_delay_alu instid0(SALU_CYCLE_1)
	s_and_b32 exec_lo, exec_lo, s3
	s_cbranch_execz .LBB23_45
; %bb.43:
	v_lshl_add_u32 v4, v3, 2, 0x200
	s_mov_b32 s1, 0
.LBB23_44:                              ; =>This Inner Loop Header: Depth=1
	ds_load_b32 v5, v4
	v_add_nc_u32_e32 v3, 0x80, v3
	s_delay_alu instid0(VALU_DEP_1)
	v_cmp_le_i32_e32 vcc_lo, s11, v3
	s_or_b32 s1, vcc_lo, s1
	s_wait_dscnt 0x0
	v_mul_f32_e32 v5, v2, v5
	ds_store_b32 v4, v5
	v_add_nc_u32_e32 v4, 0x200, v4
	s_and_not1_b32 exec_lo, exec_lo, s1
	s_cbranch_execnz .LBB23_44
.LBB23_45:
	s_or_b32 exec_lo, exec_lo, s0
	v_dual_mov_b32 v68, 0 :: v_dual_bitop2_b32 v89, 3, v0 bitop3:0x40
	v_dual_mov_b32 v71, 0 :: v_dual_mov_b32 v70, 0
	v_dual_mov_b32 v73, 0 :: v_dual_mov_b32 v72, 0
	;; [unrolled: 1-line block ×6, first 2 shown]
	v_mov_b32_e32 v90, 0
	s_wait_dscnt 0x0
	s_barrier_signal -1
	s_barrier_wait -1
	s_and_saveexec_b32 s3, s2
	s_cbranch_execz .LBB23_81
; %bb.46:
	s_abs_i32 s24, s10
	v_dual_mov_b32 v67, 0 :: v_dual_bitop2_b32 v91, 12, v28 bitop3:0x40
	s_cvt_f32_u32 s0, s24
	v_dual_lshlrev_b32 v4, 4, v0 :: v_dual_lshlrev_b32 v6, 4, v89
	s_ashr_i32 s15, s14, 31
	s_delay_alu instid0(SALU_CYCLE_1) | instskip(SKIP_1) | instid1(VALU_DEP_2)
	v_rcp_iflag_f32_e32 v3, s0
	v_and_b32_e32 v2, 0x7c, v29
	v_and_b32_e32 v4, 0x1f0, v4
	v_mov_b32_e32 v5, v67
	s_lshl_b64 s[0:1], s[20:21], 2
	s_lshl_b64 s[14:15], s[14:15], 2
	v_lshl_or_b32 v6, v1, 6, v6
	v_readfirstlane_b32 s2, v3
	v_mov_b32_e32 v3, v67
	s_add_nc_u64 s[0:1], s[18:19], s[0:1]
	s_wait_kmcnt 0x0
	s_add_nc_u64 s[14:15], s[22:23], s[14:15]
	s_sub_co_i32 s10, 0, s24
	s_mul_f32 s2, s2, 0x4f7ffffe
	v_add_nc_u64_e32 v[82:83], s[14:15], v[4:5]
	v_add_nc_u64_e32 v[84:85], s[0:1], v[2:3]
	v_dual_mov_b32 v93, v1 :: v_dual_add_nc_u32 v92, 0x200, v6
	s_cvt_u32_f32 s2, s2
	v_dual_mov_b32 v90, v67 :: v_dual_mov_b32 v80, v67
	v_dual_mov_b32 v81, v67 :: v_dual_mov_b32 v78, v67
	s_delay_alu instid0(SALU_CYCLE_1)
	s_mul_i32 s10, s10, s2
	v_dual_mov_b32 v79, v67 :: v_dual_mov_b32 v76, v67
	v_dual_mov_b32 v77, v67 :: v_dual_mov_b32 v74, v67
	;; [unrolled: 1-line block ×5, first 2 shown]
	v_mov_b32_e32 v69, v67
	s_mov_b32 s11, 0
	s_mul_hi_u32 s10, s2, s10
	s_sub_co_i32 s25, s8, s9
	s_ashr_i32 s9, s13, 31
	s_mov_b32 s8, s13
	s_add_co_i32 s13, s35, -1
	s_mov_b32 s14, s31
	s_add_co_i32 s10, s2, s10
	s_mov_b32 s15, s11
	s_branch .LBB23_49
.LBB23_47:                              ;   in Loop: Header=BB23_49 Depth=1
	s_or_b32 exec_lo, exec_lo, s19
	s_wait_loadcnt_dscnt 0x400
	v_mul_f32_e32 v46, v6, v46
	s_wait_loadcnt 0x3
	v_mul_f32_e32 v50, v6, v50
	s_wait_loadcnt 0x2
	;; [unrolled: 2-line block ×3, first 2 shown]
	v_mul_f32_e32 v62, v6, v62
	v_dual_mul_f32 v38, v6, v38 :: v_dual_fmac_f32 v46, v7, v47
	v_fmac_f32_e32 v50, v7, v51
	v_fmac_f32_e32 v58, v7, v59
	s_delay_alu instid0(VALU_DEP_4) | instskip(NEXT) | instid1(VALU_DEP_4)
	v_dual_fmac_f32 v62, v7, v63 :: v_dual_mul_f32 v42, v6, v42
	v_dual_fmac_f32 v46, v8, v48 :: v_dual_mul_f32 v22, v6, v22
	v_mul_f32_e32 v26, v6, v26
	s_delay_alu instid0(VALU_DEP_3) | instskip(NEXT) | instid1(VALU_DEP_3)
	v_dual_mul_f32 v14, v6, v14 :: v_dual_fmac_f32 v62, v8, v64
	v_fmac_f32_e32 v46, v9, v49
	v_fmac_f32_e32 v50, v8, v52
	;; [unrolled: 1-line block ×3, first 2 shown]
	v_dual_fmac_f32 v26, v7, v27 :: v_dual_mul_f32 v23, v6, v18
	s_delay_alu instid0(VALU_DEP_3) | instskip(SKIP_1) | instid1(VALU_DEP_4)
	v_dual_add_f32 v70, v70, v46 :: v_dual_fmac_f32 v50, v9, v53
	v_fmac_f32_e32 v58, v8, v60
	v_dual_fmac_f32 v22, v8, v24 :: v_dual_mul_f32 v30, v6, v30
	s_delay_alu instid0(VALU_DEP_4) | instskip(NEXT) | instid1(VALU_DEP_3)
	v_dual_fmac_f32 v26, v8, v28 :: v_dual_fmac_f32 v23, v7, v19
	v_dual_add_f32 v71, v71, v50 :: v_dual_fmac_f32 v58, v9, v61
	s_delay_alu instid0(VALU_DEP_3)
	v_fmac_f32_e32 v22, v9, v25
	v_fmac_f32_e32 v62, v9, v65
	s_wait_loadcnt 0x0
	v_pk_mul_f32 v[18:19], v[6:7], v[54:55]
	v_dual_fmac_f32 v26, v9, v29 :: v_dual_add_f32 v68, v68, v58
	v_dual_add_f32 v76, v76, v22 :: v_dual_fmac_f32 v30, v7, v31
	v_dual_fmac_f32 v42, v7, v43 :: v_dual_add_f32 v69, v69, v62
	v_mul_f32_e32 v34, v6, v34
	s_delay_alu instid0(VALU_DEP_3) | instskip(NEXT) | instid1(VALU_DEP_3)
	v_dual_add_f32 v77, v77, v26 :: v_dual_fmac_f32 v30, v8, v32
	v_dual_mul_f32 v22, v6, v2 :: v_dual_fmac_f32 v42, v8, v44
	s_delay_alu instid0(VALU_DEP_3) | instskip(SKIP_1) | instid1(VALU_DEP_3)
	v_dual_fmac_f32 v34, v7, v35 :: v_dual_mul_f32 v10, v6, v10
	v_add_f32_e32 v6, v19, v18
	v_fmac_f32_e32 v22, v7, v3
	v_pk_mul_f32 v[2:3], v[8:9], v[56:57]
	v_fmac_f32_e32 v30, v9, v33
	v_fmac_f32_e32 v38, v7, v39
	;; [unrolled: 1-line block ×3, first 2 shown]
	v_dual_fmac_f32 v23, v8, v20 :: v_dual_fmac_f32 v14, v7, v15
	s_delay_alu instid0(VALU_DEP_3) | instskip(NEXT) | instid1(VALU_DEP_3)
	v_dual_add_f32 v74, v74, v30 :: v_dual_fmac_f32 v38, v8, v40
	v_dual_fmac_f32 v34, v9, v37 :: v_dual_add_f32 v2, v2, v6
	s_delay_alu instid0(VALU_DEP_3) | instskip(NEXT) | instid1(VALU_DEP_3)
	v_fmac_f32_e32 v23, v9, v21
	v_fmac_f32_e32 v38, v9, v41
	s_delay_alu instid0(VALU_DEP_3) | instskip(NEXT) | instid1(VALU_DEP_4)
	v_dual_fmac_f32 v42, v9, v45 :: v_dual_add_f32 v2, v3, v2
	v_dual_fmac_f32 v14, v8, v16 :: v_dual_add_f32 v75, v75, v34
	s_delay_alu instid0(VALU_DEP_3) | instskip(NEXT) | instid1(VALU_DEP_3)
	v_add_f32_e32 v72, v72, v38
	v_add_f32_e32 v73, v73, v42
	s_delay_alu instid0(VALU_DEP_3) | instskip(SKIP_1) | instid1(VALU_DEP_2)
	v_dual_add_f32 v90, v90, v2 :: v_dual_fmac_f32 v14, v9, v17
	v_fmac_f32_e32 v10, v7, v11
	v_dual_add_f32 v79, v79, v23 :: v_dual_add_f32 v78, v78, v14
	s_delay_alu instid0(VALU_DEP_2) | instskip(NEXT) | instid1(VALU_DEP_1)
	v_fmac_f32_e32 v10, v8, v12
	v_fmac_f32_e32 v10, v9, v13
	s_delay_alu instid0(VALU_DEP_1) | instskip(NEXT) | instid1(VALU_DEP_1)
	v_dual_add_f32 v81, v81, v10 :: v_dual_fmac_f32 v22, v8, v4
	v_fmac_f32_e32 v22, v9, v5
	s_delay_alu instid0(VALU_DEP_1)
	v_add_f32_e32 v80, v80, v22
.LBB23_48:                              ;   in Loop: Header=BB23_49 Depth=1
	s_or_b32 exec_lo, exec_lo, s18
	v_dual_add_nc_u32 v93, 4, v93 :: v_dual_add_nc_u32 v66, 64, v66
	v_add_nc_u64_e32 v[84:85], 16, v[84:85]
	v_add_nc_u32_e32 v92, 0x100, v92
	s_delay_alu instid0(VALU_DEP_3) | instskip(SKIP_1) | instid1(SALU_CYCLE_1)
	v_cmp_le_i32_e32 vcc_lo, s35, v93
	s_or_b32 s15, vcc_lo, s15
	s_and_not1_b32 exec_lo, exec_lo, s15
	s_cbranch_execz .LBB23_80
.LBB23_49:                              ; =>This Inner Loop Header: Depth=1
	v_mul_u64_e32 v[2:3], s[16:17], v[66:67]
	s_delay_alu instid0(VALU_DEP_1) | instskip(NEXT) | instid1(VALU_DEP_1)
	v_mul_lo_u32 v2, v3, s12
	v_dual_add_nc_u32 v4, 1, v3 :: v_dual_sub_nc_u32 v2, v66, v2
	s_delay_alu instid0(VALU_DEP_1) | instskip(SKIP_1) | instid1(VALU_DEP_2)
	v_subrev_nc_u32_e32 v5, s12, v2
	v_cmp_le_u32_e32 vcc_lo, s12, v2
	v_dual_cndmask_b32 v3, v3, v4 :: v_dual_cndmask_b32 v2, v2, v5
	s_delay_alu instid0(VALU_DEP_1) | instskip(NEXT) | instid1(VALU_DEP_2)
	v_add_nc_u32_e32 v4, 1, v3
	v_cmp_le_u32_e32 vcc_lo, s12, v2
	s_delay_alu instid0(VALU_DEP_2) | instskip(NEXT) | instid1(VALU_DEP_1)
	v_cndmask_b32_e32 v2, v3, v4, vcc_lo
	v_dual_mov_b32 v3, v67 :: v_dual_bitop2_b32 v2, s34, v2 bitop3:0x14
	s_delay_alu instid0(VALU_DEP_1) | instskip(NEXT) | instid1(VALU_DEP_1)
	v_subrev_nc_u32_e32 v6, s34, v2
	v_add_nc_u32_e32 v7, s33, v6
	v_cmp_lt_i32_e64 s0, s25, v6
	s_delay_alu instid0(VALU_DEP_2) | instskip(NEXT) | instid1(VALU_DEP_1)
	v_sub_nc_u32_e32 v2, 0, v7
	v_max_i32_e32 v2, v7, v2
	s_delay_alu instid0(VALU_DEP_1) | instskip(SKIP_1) | instid1(VALU_DEP_2)
	v_mul_u64_e32 v[4:5], s[10:11], v[2:3]
	v_ashrrev_i32_e32 v4, 31, v7
	v_mul_lo_u32 v3, v5, s24
	s_delay_alu instid0(VALU_DEP_1) | instskip(NEXT) | instid1(VALU_DEP_1)
	v_sub_nc_u32_e32 v2, v2, v3
	v_subrev_nc_u32_e32 v3, s24, v2
	v_cmp_le_u32_e32 vcc_lo, s24, v2
	s_delay_alu instid0(VALU_DEP_2) | instskip(NEXT) | instid1(VALU_DEP_1)
	v_cndmask_b32_e32 v2, v2, v3, vcc_lo
	v_subrev_nc_u32_e32 v3, s24, v2
	v_cmp_le_u32_e32 vcc_lo, s24, v2
	s_delay_alu instid0(VALU_DEP_2) | instskip(NEXT) | instid1(VALU_DEP_1)
	v_cndmask_b32_e32 v2, v2, v3, vcc_lo
	v_xor_b32_e32 v2, v2, v4
	s_delay_alu instid0(VALU_DEP_1) | instskip(NEXT) | instid1(VALU_DEP_1)
	v_sub_nc_u32_e32 v2, v2, v4
	v_cmp_eq_u32_e32 vcc_lo, 0, v2
	s_or_b32 s0, vcc_lo, s0
	s_delay_alu instid0(SALU_CYCLE_1)
	s_and_saveexec_b32 s18, s0
	s_cbranch_execz .LBB23_48
; %bb.50:                               ;   in Loop: Header=BB23_49 Depth=1
	global_load_b32 v2, v[84:85], off
	ds_load_b128 v[6:9], v92
	v_add_nc_u32_e32 v94, v91, v66
	v_cmp_eq_u32_e32 vcc_lo, s13, v93
	s_delay_alu instid0(VALU_DEP_2) | instskip(SKIP_3) | instid1(VALU_DEP_1)
	v_dual_add_nc_u32 v97, 1, v94 :: v_dual_bitop2_b32 v96, 3, v94 bitop3:0x54
	v_or_b32_e32 v95, 2, v94
	s_wait_loadcnt 0x0
	v_ashrrev_i32_e32 v3, 31, v2
	v_mul_u64_e32 v[2:3], s[8:9], v[2:3]
	s_delay_alu instid0(VALU_DEP_1)
	v_lshl_add_u64 v[54:55], v[2:3], 2, v[82:83]
	global_load_b128 v[2:5], v[54:55], off
	s_wait_xcnt 0x0
	s_and_saveexec_b32 s1, vcc_lo
	s_cbranch_execnz .LBB23_65
; %bb.51:                               ;   in Loop: Header=BB23_49 Depth=1
	s_or_b32 exec_lo, exec_lo, s1
	global_load_b128 v[10:13], v[54:55], off offset:512
	s_wait_xcnt 0x0
	s_and_saveexec_b32 s1, vcc_lo
	s_cbranch_execnz .LBB23_66
.LBB23_52:                              ;   in Loop: Header=BB23_49 Depth=1
	s_or_b32 exec_lo, exec_lo, s1
	global_load_b128 v[14:17], v[54:55], off offset:1024
	s_wait_xcnt 0x0
	s_and_saveexec_b32 s1, vcc_lo
	s_cbranch_execnz .LBB23_67
.LBB23_53:                              ;   in Loop: Header=BB23_49 Depth=1
	s_or_b32 exec_lo, exec_lo, s1
	global_load_b128 v[18:21], v[54:55], off offset:1536
	s_wait_xcnt 0x0
	s_and_saveexec_b32 s1, vcc_lo
	s_cbranch_execnz .LBB23_68
.LBB23_54:                              ;   in Loop: Header=BB23_49 Depth=1
	s_or_b32 exec_lo, exec_lo, s1
	global_load_b128 v[22:25], v[54:55], off offset:2048
	s_wait_xcnt 0x0
	s_and_saveexec_b32 s1, vcc_lo
	s_cbranch_execnz .LBB23_69
.LBB23_55:                              ;   in Loop: Header=BB23_49 Depth=1
	s_or_b32 exec_lo, exec_lo, s1
	global_load_b128 v[26:29], v[54:55], off offset:2560
	s_wait_xcnt 0x0
	s_and_saveexec_b32 s1, vcc_lo
	s_cbranch_execnz .LBB23_70
.LBB23_56:                              ;   in Loop: Header=BB23_49 Depth=1
	s_or_b32 exec_lo, exec_lo, s1
	global_load_b128 v[30:33], v[54:55], off offset:3072
	s_wait_xcnt 0x0
	s_and_saveexec_b32 s1, vcc_lo
	s_cbranch_execnz .LBB23_71
.LBB23_57:                              ;   in Loop: Header=BB23_49 Depth=1
	s_or_b32 exec_lo, exec_lo, s1
	global_load_b128 v[34:37], v[54:55], off offset:3584
	s_wait_xcnt 0x0
	s_and_saveexec_b32 s1, vcc_lo
	s_cbranch_execnz .LBB23_72
.LBB23_58:                              ;   in Loop: Header=BB23_49 Depth=1
	s_or_b32 exec_lo, exec_lo, s1
	global_load_b128 v[38:41], v[54:55], off offset:4096
	s_wait_xcnt 0x0
	s_and_saveexec_b32 s1, vcc_lo
	s_cbranch_execnz .LBB23_73
.LBB23_59:                              ;   in Loop: Header=BB23_49 Depth=1
	s_or_b32 exec_lo, exec_lo, s1
	global_load_b128 v[42:45], v[54:55], off offset:4608
	s_wait_xcnt 0x0
	s_and_saveexec_b32 s1, vcc_lo
	s_cbranch_execnz .LBB23_74
.LBB23_60:                              ;   in Loop: Header=BB23_49 Depth=1
	s_or_b32 exec_lo, exec_lo, s1
	global_load_b128 v[46:49], v[54:55], off offset:5120
	s_wait_xcnt 0x0
	s_and_saveexec_b32 s1, vcc_lo
	s_cbranch_execnz .LBB23_75
.LBB23_61:                              ;   in Loop: Header=BB23_49 Depth=1
	s_or_b32 exec_lo, exec_lo, s1
	global_load_b128 v[50:53], v[54:55], off offset:5632
	s_wait_xcnt 0x0
	s_and_saveexec_b32 s1, vcc_lo
	s_cbranch_execnz .LBB23_76
.LBB23_62:                              ;   in Loop: Header=BB23_49 Depth=1
	s_or_b32 exec_lo, exec_lo, s1
	global_load_b128 v[58:61], v[54:55], off offset:6144
	s_wait_xcnt 0x0
	s_and_saveexec_b32 s1, vcc_lo
	s_cbranch_execnz .LBB23_77
.LBB23_63:                              ;   in Loop: Header=BB23_49 Depth=1
	s_or_b32 exec_lo, exec_lo, s1
	global_load_b128 v[62:65], v[54:55], off offset:6656
	s_wait_xcnt 0x0
	s_and_saveexec_b32 s1, vcc_lo
	s_cbranch_execnz .LBB23_78
.LBB23_64:                              ;   in Loop: Header=BB23_49 Depth=1
	s_or_b32 exec_lo, exec_lo, s1
	global_load_b128 v[54:57], v[54:55], off offset:7168
	s_wait_xcnt 0x0
	s_and_saveexec_b32 s19, vcc_lo
	s_cbranch_execz .LBB23_47
	s_branch .LBB23_79
.LBB23_65:                              ;   in Loop: Header=BB23_49 Depth=1
	v_cmp_gt_i32_e64 s0, s14, v97
	s_wait_loadcnt 0x0
	s_delay_alu instid0(VALU_DEP_1) | instskip(SKIP_1) | instid1(VALU_DEP_1)
	v_cndmask_b32_e64 v3, 0, v3, s0
	v_cmp_gt_i32_e64 s0, s31, v94
	v_cndmask_b32_e64 v2, 0, v2, s0
	v_cmp_gt_i32_e64 s0, s14, v96
	s_delay_alu instid0(VALU_DEP_1) | instskip(SKIP_1) | instid1(VALU_DEP_1)
	v_cndmask_b32_e64 v5, 0, v5, s0
	v_cmp_gt_i32_e64 s0, s31, v95
	v_cndmask_b32_e64 v4, 0, v4, s0
	s_or_b32 exec_lo, exec_lo, s1
	global_load_b128 v[10:13], v[54:55], off offset:512
	s_wait_xcnt 0x0
	s_and_saveexec_b32 s1, vcc_lo
	s_cbranch_execz .LBB23_52
.LBB23_66:                              ;   in Loop: Header=BB23_49 Depth=1
	v_cmp_gt_i32_e64 s0, s14, v97
	s_wait_loadcnt 0x0
	s_delay_alu instid0(VALU_DEP_1) | instskip(SKIP_1) | instid1(VALU_DEP_1)
	v_cndmask_b32_e64 v11, 0, v11, s0
	v_cmp_gt_i32_e64 s0, s31, v94
	v_cndmask_b32_e64 v10, 0, v10, s0
	v_cmp_gt_i32_e64 s0, s14, v96
	s_delay_alu instid0(VALU_DEP_1) | instskip(SKIP_1) | instid1(VALU_DEP_1)
	v_cndmask_b32_e64 v13, 0, v13, s0
	v_cmp_gt_i32_e64 s0, s31, v95
	v_cndmask_b32_e64 v12, 0, v12, s0
	s_or_b32 exec_lo, exec_lo, s1
	global_load_b128 v[14:17], v[54:55], off offset:1024
	s_wait_xcnt 0x0
	s_and_saveexec_b32 s1, vcc_lo
	s_cbranch_execz .LBB23_53
.LBB23_67:                              ;   in Loop: Header=BB23_49 Depth=1
	v_cmp_gt_i32_e64 s0, s14, v97
	s_wait_loadcnt 0x0
	s_delay_alu instid0(VALU_DEP_1) | instskip(SKIP_1) | instid1(VALU_DEP_1)
	v_cndmask_b32_e64 v15, 0, v15, s0
	v_cmp_gt_i32_e64 s0, s31, v94
	v_cndmask_b32_e64 v14, 0, v14, s0
	v_cmp_gt_i32_e64 s0, s14, v96
	s_delay_alu instid0(VALU_DEP_1) | instskip(SKIP_1) | instid1(VALU_DEP_1)
	v_cndmask_b32_e64 v17, 0, v17, s0
	v_cmp_gt_i32_e64 s0, s31, v95
	v_cndmask_b32_e64 v16, 0, v16, s0
	s_or_b32 exec_lo, exec_lo, s1
	global_load_b128 v[18:21], v[54:55], off offset:1536
	s_wait_xcnt 0x0
	s_and_saveexec_b32 s1, vcc_lo
	s_cbranch_execz .LBB23_54
.LBB23_68:                              ;   in Loop: Header=BB23_49 Depth=1
	v_cmp_gt_i32_e64 s0, s14, v97
	s_wait_loadcnt 0x0
	s_delay_alu instid0(VALU_DEP_1) | instskip(SKIP_1) | instid1(VALU_DEP_1)
	v_cndmask_b32_e64 v19, 0, v19, s0
	v_cmp_gt_i32_e64 s0, s31, v94
	v_cndmask_b32_e64 v18, 0, v18, s0
	v_cmp_gt_i32_e64 s0, s14, v96
	s_delay_alu instid0(VALU_DEP_1) | instskip(SKIP_1) | instid1(VALU_DEP_1)
	v_cndmask_b32_e64 v21, 0, v21, s0
	v_cmp_gt_i32_e64 s0, s31, v95
	v_cndmask_b32_e64 v20, 0, v20, s0
	s_or_b32 exec_lo, exec_lo, s1
	global_load_b128 v[22:25], v[54:55], off offset:2048
	s_wait_xcnt 0x0
	s_and_saveexec_b32 s1, vcc_lo
	s_cbranch_execz .LBB23_55
.LBB23_69:                              ;   in Loop: Header=BB23_49 Depth=1
	v_cmp_gt_i32_e64 s0, s14, v97
	s_wait_loadcnt 0x0
	s_delay_alu instid0(VALU_DEP_1) | instskip(SKIP_1) | instid1(VALU_DEP_1)
	v_cndmask_b32_e64 v23, 0, v23, s0
	v_cmp_gt_i32_e64 s0, s31, v94
	v_cndmask_b32_e64 v22, 0, v22, s0
	v_cmp_gt_i32_e64 s0, s14, v96
	s_delay_alu instid0(VALU_DEP_1) | instskip(SKIP_1) | instid1(VALU_DEP_1)
	v_cndmask_b32_e64 v25, 0, v25, s0
	v_cmp_gt_i32_e64 s0, s31, v95
	v_cndmask_b32_e64 v24, 0, v24, s0
	s_or_b32 exec_lo, exec_lo, s1
	global_load_b128 v[26:29], v[54:55], off offset:2560
	s_wait_xcnt 0x0
	s_and_saveexec_b32 s1, vcc_lo
	s_cbranch_execz .LBB23_56
.LBB23_70:                              ;   in Loop: Header=BB23_49 Depth=1
	v_cmp_gt_i32_e64 s0, s14, v97
	s_wait_loadcnt 0x0
	s_delay_alu instid0(VALU_DEP_1) | instskip(SKIP_1) | instid1(VALU_DEP_1)
	v_cndmask_b32_e64 v27, 0, v27, s0
	v_cmp_gt_i32_e64 s0, s31, v94
	v_cndmask_b32_e64 v26, 0, v26, s0
	v_cmp_gt_i32_e64 s0, s14, v96
	s_delay_alu instid0(VALU_DEP_1) | instskip(SKIP_1) | instid1(VALU_DEP_1)
	v_cndmask_b32_e64 v29, 0, v29, s0
	v_cmp_gt_i32_e64 s0, s31, v95
	v_cndmask_b32_e64 v28, 0, v28, s0
	s_or_b32 exec_lo, exec_lo, s1
	global_load_b128 v[30:33], v[54:55], off offset:3072
	s_wait_xcnt 0x0
	s_and_saveexec_b32 s1, vcc_lo
	s_cbranch_execz .LBB23_57
.LBB23_71:                              ;   in Loop: Header=BB23_49 Depth=1
	v_cmp_gt_i32_e64 s0, s14, v97
	s_wait_loadcnt 0x0
	s_delay_alu instid0(VALU_DEP_1) | instskip(SKIP_1) | instid1(VALU_DEP_1)
	v_cndmask_b32_e64 v31, 0, v31, s0
	v_cmp_gt_i32_e64 s0, s31, v94
	v_cndmask_b32_e64 v30, 0, v30, s0
	v_cmp_gt_i32_e64 s0, s14, v96
	s_delay_alu instid0(VALU_DEP_1) | instskip(SKIP_1) | instid1(VALU_DEP_1)
	v_cndmask_b32_e64 v33, 0, v33, s0
	v_cmp_gt_i32_e64 s0, s31, v95
	v_cndmask_b32_e64 v32, 0, v32, s0
	s_or_b32 exec_lo, exec_lo, s1
	global_load_b128 v[34:37], v[54:55], off offset:3584
	s_wait_xcnt 0x0
	s_and_saveexec_b32 s1, vcc_lo
	s_cbranch_execz .LBB23_58
.LBB23_72:                              ;   in Loop: Header=BB23_49 Depth=1
	v_cmp_gt_i32_e64 s0, s14, v97
	s_wait_loadcnt 0x0
	s_delay_alu instid0(VALU_DEP_1) | instskip(SKIP_1) | instid1(VALU_DEP_1)
	v_cndmask_b32_e64 v35, 0, v35, s0
	v_cmp_gt_i32_e64 s0, s31, v94
	v_cndmask_b32_e64 v34, 0, v34, s0
	v_cmp_gt_i32_e64 s0, s14, v96
	s_delay_alu instid0(VALU_DEP_1) | instskip(SKIP_1) | instid1(VALU_DEP_1)
	v_cndmask_b32_e64 v37, 0, v37, s0
	v_cmp_gt_i32_e64 s0, s31, v95
	v_cndmask_b32_e64 v36, 0, v36, s0
	s_or_b32 exec_lo, exec_lo, s1
	global_load_b128 v[38:41], v[54:55], off offset:4096
	s_wait_xcnt 0x0
	s_and_saveexec_b32 s1, vcc_lo
	s_cbranch_execz .LBB23_59
.LBB23_73:                              ;   in Loop: Header=BB23_49 Depth=1
	v_cmp_gt_i32_e64 s0, s14, v97
	s_wait_loadcnt 0x0
	s_delay_alu instid0(VALU_DEP_1) | instskip(SKIP_1) | instid1(VALU_DEP_1)
	v_cndmask_b32_e64 v39, 0, v39, s0
	v_cmp_gt_i32_e64 s0, s31, v94
	v_cndmask_b32_e64 v38, 0, v38, s0
	v_cmp_gt_i32_e64 s0, s14, v96
	s_delay_alu instid0(VALU_DEP_1) | instskip(SKIP_1) | instid1(VALU_DEP_1)
	v_cndmask_b32_e64 v41, 0, v41, s0
	v_cmp_gt_i32_e64 s0, s31, v95
	v_cndmask_b32_e64 v40, 0, v40, s0
	s_or_b32 exec_lo, exec_lo, s1
	global_load_b128 v[42:45], v[54:55], off offset:4608
	s_wait_xcnt 0x0
	s_and_saveexec_b32 s1, vcc_lo
	s_cbranch_execz .LBB23_60
.LBB23_74:                              ;   in Loop: Header=BB23_49 Depth=1
	v_cmp_gt_i32_e64 s0, s14, v97
	s_wait_loadcnt 0x0
	s_delay_alu instid0(VALU_DEP_1) | instskip(SKIP_1) | instid1(VALU_DEP_1)
	v_cndmask_b32_e64 v43, 0, v43, s0
	v_cmp_gt_i32_e64 s0, s31, v94
	v_cndmask_b32_e64 v42, 0, v42, s0
	v_cmp_gt_i32_e64 s0, s14, v96
	s_delay_alu instid0(VALU_DEP_1) | instskip(SKIP_1) | instid1(VALU_DEP_1)
	v_cndmask_b32_e64 v45, 0, v45, s0
	v_cmp_gt_i32_e64 s0, s31, v95
	v_cndmask_b32_e64 v44, 0, v44, s0
	s_or_b32 exec_lo, exec_lo, s1
	global_load_b128 v[46:49], v[54:55], off offset:5120
	s_wait_xcnt 0x0
	s_and_saveexec_b32 s1, vcc_lo
	s_cbranch_execz .LBB23_61
.LBB23_75:                              ;   in Loop: Header=BB23_49 Depth=1
	v_cmp_gt_i32_e64 s0, s14, v97
	s_wait_loadcnt 0x0
	s_delay_alu instid0(VALU_DEP_1) | instskip(SKIP_1) | instid1(VALU_DEP_1)
	v_cndmask_b32_e64 v47, 0, v47, s0
	v_cmp_gt_i32_e64 s0, s31, v94
	v_cndmask_b32_e64 v46, 0, v46, s0
	v_cmp_gt_i32_e64 s0, s14, v96
	s_delay_alu instid0(VALU_DEP_1) | instskip(SKIP_1) | instid1(VALU_DEP_1)
	v_cndmask_b32_e64 v49, 0, v49, s0
	v_cmp_gt_i32_e64 s0, s31, v95
	v_cndmask_b32_e64 v48, 0, v48, s0
	s_or_b32 exec_lo, exec_lo, s1
	global_load_b128 v[50:53], v[54:55], off offset:5632
	s_wait_xcnt 0x0
	s_and_saveexec_b32 s1, vcc_lo
	s_cbranch_execz .LBB23_62
.LBB23_76:                              ;   in Loop: Header=BB23_49 Depth=1
	v_cmp_gt_i32_e64 s0, s14, v97
	s_wait_loadcnt 0x0
	s_delay_alu instid0(VALU_DEP_1) | instskip(SKIP_1) | instid1(VALU_DEP_1)
	v_cndmask_b32_e64 v51, 0, v51, s0
	v_cmp_gt_i32_e64 s0, s31, v94
	v_cndmask_b32_e64 v50, 0, v50, s0
	v_cmp_gt_i32_e64 s0, s14, v96
	s_delay_alu instid0(VALU_DEP_1) | instskip(SKIP_1) | instid1(VALU_DEP_1)
	v_cndmask_b32_e64 v53, 0, v53, s0
	v_cmp_gt_i32_e64 s0, s31, v95
	v_cndmask_b32_e64 v52, 0, v52, s0
	s_or_b32 exec_lo, exec_lo, s1
	global_load_b128 v[58:61], v[54:55], off offset:6144
	s_wait_xcnt 0x0
	s_and_saveexec_b32 s1, vcc_lo
	s_cbranch_execz .LBB23_63
.LBB23_77:                              ;   in Loop: Header=BB23_49 Depth=1
	v_cmp_gt_i32_e64 s0, s14, v97
	s_wait_loadcnt 0x0
	s_delay_alu instid0(VALU_DEP_1) | instskip(SKIP_1) | instid1(VALU_DEP_1)
	v_cndmask_b32_e64 v59, 0, v59, s0
	v_cmp_gt_i32_e64 s0, s31, v94
	v_cndmask_b32_e64 v58, 0, v58, s0
	v_cmp_gt_i32_e64 s0, s14, v96
	s_delay_alu instid0(VALU_DEP_1) | instskip(SKIP_1) | instid1(VALU_DEP_1)
	v_cndmask_b32_e64 v61, 0, v61, s0
	v_cmp_gt_i32_e64 s0, s31, v95
	v_cndmask_b32_e64 v60, 0, v60, s0
	s_or_b32 exec_lo, exec_lo, s1
	global_load_b128 v[62:65], v[54:55], off offset:6656
	s_wait_xcnt 0x0
	s_and_saveexec_b32 s1, vcc_lo
	s_cbranch_execz .LBB23_64
.LBB23_78:                              ;   in Loop: Header=BB23_49 Depth=1
	v_cmp_gt_i32_e64 s0, s14, v97
	s_wait_loadcnt 0x0
	s_delay_alu instid0(VALU_DEP_1) | instskip(SKIP_1) | instid1(VALU_DEP_1)
	v_cndmask_b32_e64 v63, 0, v63, s0
	v_cmp_gt_i32_e64 s0, s31, v94
	v_cndmask_b32_e64 v62, 0, v62, s0
	v_cmp_gt_i32_e64 s0, s14, v96
	s_delay_alu instid0(VALU_DEP_1) | instskip(SKIP_1) | instid1(VALU_DEP_1)
	v_cndmask_b32_e64 v65, 0, v65, s0
	v_cmp_gt_i32_e64 s0, s31, v95
	v_cndmask_b32_e64 v64, 0, v64, s0
	s_or_b32 exec_lo, exec_lo, s1
	global_load_b128 v[54:57], v[54:55], off offset:7168
	s_wait_xcnt 0x0
	s_and_saveexec_b32 s19, vcc_lo
	s_cbranch_execz .LBB23_47
.LBB23_79:                              ;   in Loop: Header=BB23_49 Depth=1
	v_cmp_gt_i32_e32 vcc_lo, s14, v97
	v_cmp_gt_i32_e64 s0, s31, v94
	v_cmp_gt_i32_e64 s1, s14, v96
	;; [unrolled: 1-line block ×3, first 2 shown]
	s_wait_loadcnt 0x0
	s_delay_alu instid0(VALU_DEP_3) | instskip(NEXT) | instid1(VALU_DEP_2)
	v_dual_cndmask_b32 v55, 0, v55, vcc_lo :: v_dual_cndmask_b32 v54, 0, v54, s0
	v_dual_cndmask_b32 v57, 0, v57, s1 :: v_dual_cndmask_b32 v56, 0, v56, s2
	s_branch .LBB23_47
.LBB23_80:
	s_or_b32 exec_lo, exec_lo, s15
.LBB23_81:
	s_delay_alu instid0(SALU_CYCLE_1)
	s_or_b32 exec_lo, exec_lo, s3
	ds_bpermute_b32 v2, v87, v80
	ds_bpermute_b32 v3, v87, v81
	;; [unrolled: 1-line block ×15, first 2 shown]
	v_and_b32_e32 v36, 0x3c3, v0
	s_mov_b32 s0, exec_lo
	s_wait_dscnt 0x0
	s_barrier_signal -1
	s_barrier_wait -1
	v_pk_add_f32 v[2:3], v[80:81], v[2:3]
	v_pk_add_f32 v[6:7], v[76:77], v[6:7]
	;; [unrolled: 1-line block ×3, first 2 shown]
	ds_bpermute_b32 v10, v88, v2
	ds_bpermute_b32 v11, v88, v3
	ds_bpermute_b32 v22, v88, v6
	ds_bpermute_b32 v23, v88, v7
	ds_bpermute_b32 v30, v88, v18
	ds_bpermute_b32 v31, v88, v19
	v_pk_add_f32 v[4:5], v[78:79], v[4:5]
	v_pk_add_f32 v[8:9], v[74:75], v[8:9]
	;; [unrolled: 1-line block ×4, first 2 shown]
	v_add_f32_e32 v16, v90, v16
	ds_bpermute_b32 v20, v88, v4
	ds_bpermute_b32 v21, v88, v5
	;; [unrolled: 1-line block ×8, first 2 shown]
	s_wait_dscnt 0xc
	v_pk_add_f32 v[14:15], v[2:3], v[10:11]
	s_wait_dscnt 0xa
	v_pk_add_f32 v[10:11], v[6:7], v[22:23]
	;; [unrolled: 2-line block ×3, first 2 shown]
	v_and_b32_e32 v18, 28, v86
	ds_bpermute_b32 v17, v88, v16
	s_wait_dscnt 0x7
	v_pk_add_f32 v[12:13], v[4:5], v[20:21]
	s_wait_dscnt 0x5
	v_pk_add_f32 v[8:9], v[8:9], v[24:25]
	;; [unrolled: 2-line block ×4, first 2 shown]
	v_cmpx_ne_u32_e32 64, v36
	s_xor_b32 s0, exec_lo, s0
	s_delay_alu instid0(SALU_CYCLE_1)
	s_or_saveexec_b32 s0, s0
	s_wait_dscnt 0x0
	v_dual_add_f32 v16, v16, v17 :: v_dual_lshrrev_b32 v19, 2, v86
	v_add_nc_u32_e32 v17, 0x200, v18
	v_mul_u32_u24_e32 v1, 0x1e0, v1
	s_xor_b32 exec_lo, exec_lo, s0
	s_cbranch_execz .LBB23_83
; %bb.82:
	s_delay_alu instid0(VALU_DEP_1) | instskip(NEXT) | instid1(VALU_DEP_1)
	v_add_nc_u32_e32 v18, v17, v1
	v_add_nc_u32_e32 v20, 0xfffffc40, v18
	;; [unrolled: 1-line block ×9, first 2 shown]
	ds_store_b32 v20, v14
	ds_store_b32 v21, v15
	;; [unrolled: 1-line block ×8, first 2 shown]
	v_add_nc_u32_e32 v20, 0xfffffd40, v18
	v_add_nc_u32_e32 v21, 0xfffffd60, v18
	;; [unrolled: 1-line block ×7, first 2 shown]
	ds_store_b32 v20, v6
	ds_store_b32 v21, v7
	;; [unrolled: 1-line block ×7, first 2 shown]
.LBB23_83:
	s_or_b32 exec_lo, exec_lo, s0
	v_lshlrev_b32_e32 v18, 2, v19
	s_mov_b32 s1, exec_lo
	v_cmp_eq_u32_e32 vcc_lo, 0, v89
	s_wait_dscnt 0x0
	s_barrier_signal -1
	v_add3_u32 v1, 0x200, v1, v18
	s_barrier_wait -1
	v_cmpx_gt_u32_e32 64, v0
	s_cbranch_execz .LBB23_101
; %bb.84:
	s_and_saveexec_b32 s0, vcc_lo
	s_cbranch_execnz .LBB23_124
; %bb.85:
	s_or_b32 exec_lo, exec_lo, s0
	s_and_saveexec_b32 s0, vcc_lo
	s_cbranch_execnz .LBB23_125
.LBB23_86:
	s_or_b32 exec_lo, exec_lo, s0
	s_and_saveexec_b32 s0, vcc_lo
	s_cbranch_execnz .LBB23_126
.LBB23_87:
	s_or_b32 exec_lo, exec_lo, s0
	s_and_saveexec_b32 s0, vcc_lo
	s_cbranch_execnz .LBB23_127
.LBB23_88:
	s_or_b32 exec_lo, exec_lo, s0
	s_and_saveexec_b32 s0, vcc_lo
	s_cbranch_execnz .LBB23_128
.LBB23_89:
	s_or_b32 exec_lo, exec_lo, s0
	s_and_saveexec_b32 s0, vcc_lo
	s_cbranch_execnz .LBB23_129
.LBB23_90:
	s_or_b32 exec_lo, exec_lo, s0
	s_and_saveexec_b32 s0, vcc_lo
	s_cbranch_execnz .LBB23_130
.LBB23_91:
	s_or_b32 exec_lo, exec_lo, s0
	s_and_saveexec_b32 s0, vcc_lo
	s_cbranch_execnz .LBB23_131
.LBB23_92:
	s_or_b32 exec_lo, exec_lo, s0
	s_and_saveexec_b32 s0, vcc_lo
	s_cbranch_execnz .LBB23_132
.LBB23_93:
	s_or_b32 exec_lo, exec_lo, s0
	s_and_saveexec_b32 s0, vcc_lo
	s_cbranch_execnz .LBB23_133
.LBB23_94:
	s_or_b32 exec_lo, exec_lo, s0
	s_and_saveexec_b32 s0, vcc_lo
	s_cbranch_execnz .LBB23_134
.LBB23_95:
	s_or_b32 exec_lo, exec_lo, s0
	s_and_saveexec_b32 s0, vcc_lo
	s_cbranch_execnz .LBB23_135
.LBB23_96:
	s_or_b32 exec_lo, exec_lo, s0
	s_and_saveexec_b32 s0, vcc_lo
	s_cbranch_execnz .LBB23_136
.LBB23_97:
	s_or_b32 exec_lo, exec_lo, s0
	s_and_saveexec_b32 s0, vcc_lo
	s_cbranch_execnz .LBB23_137
.LBB23_98:
	s_or_b32 exec_lo, exec_lo, s0
	s_and_saveexec_b32 s0, vcc_lo
	s_cbranch_execz .LBB23_100
.LBB23_99:
	ds_load_b32 v18, v1 offset:448
	s_wait_dscnt 0x0
	v_add_f32_e32 v16, v16, v18
.LBB23_100:
	s_or_b32 exec_lo, exec_lo, s0
.LBB23_101:
	s_delay_alu instid0(SALU_CYCLE_1) | instskip(SKIP_4) | instid1(VALU_DEP_1)
	s_or_b32 exec_lo, exec_lo, s1
	v_and_b32_e32 v18, 0x3e3, v0
	s_mov_b32 s1, exec_lo
	s_barrier_signal -1
	s_barrier_wait -1
	v_cmpx_eq_u32_e32 32, v18
	s_cbranch_execz .LBB23_103
; %bb.102:
	ds_store_2addr_b32 v17, v14, v15 offset1:8
	ds_store_2addr_b32 v17, v12, v13 offset0:16 offset1:24
	ds_store_2addr_b32 v17, v10, v11 offset0:32 offset1:40
	;; [unrolled: 1-line block ×6, first 2 shown]
	ds_store_b32 v17, v16 offset:448
.LBB23_103:
	s_or_b32 exec_lo, exec_lo, s1
	s_delay_alu instid0(SALU_CYCLE_1)
	s_mov_b32 s1, exec_lo
	s_wait_dscnt 0x0
	s_barrier_signal -1
	s_barrier_wait -1
	v_cmpx_gt_u32_e32 32, v0
	s_cbranch_execz .LBB23_121
; %bb.104:
	s_and_saveexec_b32 s0, vcc_lo
	s_cbranch_execnz .LBB23_138
; %bb.105:
	s_or_b32 exec_lo, exec_lo, s0
	s_and_saveexec_b32 s0, vcc_lo
	s_cbranch_execnz .LBB23_139
.LBB23_106:
	s_or_b32 exec_lo, exec_lo, s0
	s_and_saveexec_b32 s0, vcc_lo
	s_cbranch_execnz .LBB23_140
.LBB23_107:
	s_or_b32 exec_lo, exec_lo, s0
	s_and_saveexec_b32 s0, vcc_lo
	s_cbranch_execnz .LBB23_141
.LBB23_108:
	s_or_b32 exec_lo, exec_lo, s0
	s_and_saveexec_b32 s0, vcc_lo
	s_cbranch_execnz .LBB23_142
.LBB23_109:
	s_or_b32 exec_lo, exec_lo, s0
	s_and_saveexec_b32 s0, vcc_lo
	s_cbranch_execnz .LBB23_143
.LBB23_110:
	s_or_b32 exec_lo, exec_lo, s0
	s_and_saveexec_b32 s0, vcc_lo
	s_cbranch_execnz .LBB23_144
.LBB23_111:
	s_or_b32 exec_lo, exec_lo, s0
	s_and_saveexec_b32 s0, vcc_lo
	s_cbranch_execnz .LBB23_145
.LBB23_112:
	s_or_b32 exec_lo, exec_lo, s0
	s_and_saveexec_b32 s0, vcc_lo
	s_cbranch_execnz .LBB23_146
.LBB23_113:
	s_or_b32 exec_lo, exec_lo, s0
	s_and_saveexec_b32 s0, vcc_lo
	s_cbranch_execnz .LBB23_147
.LBB23_114:
	s_or_b32 exec_lo, exec_lo, s0
	s_and_saveexec_b32 s0, vcc_lo
	s_cbranch_execnz .LBB23_148
.LBB23_115:
	s_or_b32 exec_lo, exec_lo, s0
	s_and_saveexec_b32 s0, vcc_lo
	s_cbranch_execnz .LBB23_149
.LBB23_116:
	s_or_b32 exec_lo, exec_lo, s0
	s_and_saveexec_b32 s0, vcc_lo
	s_cbranch_execnz .LBB23_150
.LBB23_117:
	s_or_b32 exec_lo, exec_lo, s0
	s_and_saveexec_b32 s0, vcc_lo
	s_cbranch_execnz .LBB23_151
.LBB23_118:
	s_or_b32 exec_lo, exec_lo, s0
	s_and_saveexec_b32 s0, vcc_lo
	s_cbranch_execz .LBB23_120
.LBB23_119:
	ds_load_b32 v1, v1 offset:448
	s_wait_dscnt 0x0
	v_add_f32_e32 v16, v16, v1
.LBB23_120:
	s_or_b32 exec_lo, exec_lo, s0
.LBB23_121:
	s_delay_alu instid0(SALU_CYCLE_1)
	s_or_b32 exec_lo, exec_lo, s1
	s_mov_b32 s1, 0
	s_barrier_signal -1
	s_barrier_wait -1
	s_mov_b32 s0, exec_lo
	v_cmpx_eq_u32_e32 0, v18
	s_cbranch_execz .LBB23_123
; %bb.122:
	s_mul_i32 s0, s30, s7
	s_mul_i32 s2, s7, s6
	;; [unrolled: 1-line block ×3, first 2 shown]
	s_lshr_b32 s8, ttmp7, 16
	s_mul_i32 s6, s0, 0x78
	s_bfe_u32 s0, ttmp6, 0x40014
	s_ashr_i32 s7, s6, 31
	s_add_co_i32 s0, s0, 1
	s_ashr_i32 s3, s2, 31
	s_mul_i32 s0, s8, s0
	s_bfe_u32 s9, ttmp6, 0x40008
	s_lshl_b64 s[6:7], s[6:7], 2
	s_lshl_b64 s[2:3], s[2:3], 2
	s_add_co_i32 s9, s9, s0
	s_cmp_eq_u32 s28, 0
	s_wait_kmcnt 0x0
	s_add_nc_u64 s[4:5], s[4:5], s[6:7]
	s_cselect_b32 s0, s8, s9
	s_add_nc_u64 s[2:3], s[4:5], s[2:3]
	s_mulk_i32 s0, 0x1e0
	s_delay_alu instid0(SALU_CYCLE_1)
	s_add_nc_u64 s[0:1], s[2:3], s[0:1]
	s_clause 0xe
	global_store_b32 v0, v14, s[0:1]
	global_store_b32 v0, v15, s[0:1] offset:32
	global_store_b32 v0, v12, s[0:1] offset:64
	;; [unrolled: 1-line block ×14, first 2 shown]
.LBB23_123:
	s_sendmsg sendmsg(MSG_DEALLOC_VGPRS)
	s_endpgm
.LBB23_124:
	ds_load_b32 v18, v1
	s_wait_dscnt 0x0
	v_add_f32_e32 v14, v14, v18
	s_or_b32 exec_lo, exec_lo, s0
	s_and_saveexec_b32 s0, vcc_lo
	s_cbranch_execz .LBB23_86
.LBB23_125:
	ds_load_b32 v18, v1 offset:32
	s_wait_dscnt 0x0
	v_add_f32_e32 v15, v15, v18
	s_or_b32 exec_lo, exec_lo, s0
	s_and_saveexec_b32 s0, vcc_lo
	s_cbranch_execz .LBB23_87
.LBB23_126:
	ds_load_b32 v18, v1 offset:64
	s_wait_dscnt 0x0
	v_add_f32_e32 v12, v12, v18
	s_or_b32 exec_lo, exec_lo, s0
	s_and_saveexec_b32 s0, vcc_lo
	s_cbranch_execz .LBB23_88
.LBB23_127:
	ds_load_b32 v18, v1 offset:96
	s_wait_dscnt 0x0
	v_add_f32_e32 v13, v13, v18
	s_or_b32 exec_lo, exec_lo, s0
	s_and_saveexec_b32 s0, vcc_lo
	s_cbranch_execz .LBB23_89
.LBB23_128:
	ds_load_b32 v18, v1 offset:128
	s_wait_dscnt 0x0
	v_add_f32_e32 v10, v10, v18
	s_or_b32 exec_lo, exec_lo, s0
	s_and_saveexec_b32 s0, vcc_lo
	s_cbranch_execz .LBB23_90
.LBB23_129:
	ds_load_b32 v18, v1 offset:160
	s_wait_dscnt 0x0
	v_add_f32_e32 v11, v11, v18
	s_or_b32 exec_lo, exec_lo, s0
	s_and_saveexec_b32 s0, vcc_lo
	s_cbranch_execz .LBB23_91
.LBB23_130:
	ds_load_b32 v18, v1 offset:192
	s_wait_dscnt 0x0
	v_add_f32_e32 v8, v8, v18
	s_or_b32 exec_lo, exec_lo, s0
	s_and_saveexec_b32 s0, vcc_lo
	s_cbranch_execz .LBB23_92
.LBB23_131:
	ds_load_b32 v18, v1 offset:224
	s_wait_dscnt 0x0
	v_add_f32_e32 v9, v9, v18
	s_or_b32 exec_lo, exec_lo, s0
	s_and_saveexec_b32 s0, vcc_lo
	s_cbranch_execz .LBB23_93
.LBB23_132:
	ds_load_b32 v18, v1 offset:256
	s_wait_dscnt 0x0
	v_add_f32_e32 v6, v6, v18
	s_or_b32 exec_lo, exec_lo, s0
	s_and_saveexec_b32 s0, vcc_lo
	s_cbranch_execz .LBB23_94
.LBB23_133:
	ds_load_b32 v18, v1 offset:288
	s_wait_dscnt 0x0
	v_add_f32_e32 v7, v7, v18
	s_or_b32 exec_lo, exec_lo, s0
	s_and_saveexec_b32 s0, vcc_lo
	s_cbranch_execz .LBB23_95
.LBB23_134:
	ds_load_b32 v18, v1 offset:320
	s_wait_dscnt 0x0
	v_add_f32_e32 v4, v4, v18
	s_or_b32 exec_lo, exec_lo, s0
	s_and_saveexec_b32 s0, vcc_lo
	s_cbranch_execz .LBB23_96
.LBB23_135:
	ds_load_b32 v18, v1 offset:352
	s_wait_dscnt 0x0
	v_add_f32_e32 v5, v5, v18
	s_or_b32 exec_lo, exec_lo, s0
	s_and_saveexec_b32 s0, vcc_lo
	s_cbranch_execz .LBB23_97
.LBB23_136:
	ds_load_b32 v18, v1 offset:384
	s_wait_dscnt 0x0
	v_add_f32_e32 v2, v2, v18
	s_or_b32 exec_lo, exec_lo, s0
	s_and_saveexec_b32 s0, vcc_lo
	s_cbranch_execz .LBB23_98
.LBB23_137:
	ds_load_b32 v18, v1 offset:416
	s_wait_dscnt 0x0
	v_add_f32_e32 v3, v3, v18
	s_or_b32 exec_lo, exec_lo, s0
	s_and_saveexec_b32 s0, vcc_lo
	s_cbranch_execnz .LBB23_99
	s_branch .LBB23_100
.LBB23_138:
	ds_load_b32 v17, v1
	s_wait_dscnt 0x0
	v_add_f32_e32 v14, v14, v17
	s_or_b32 exec_lo, exec_lo, s0
	s_and_saveexec_b32 s0, vcc_lo
	s_cbranch_execz .LBB23_106
.LBB23_139:
	ds_load_b32 v17, v1 offset:32
	s_wait_dscnt 0x0
	v_add_f32_e32 v15, v15, v17
	s_or_b32 exec_lo, exec_lo, s0
	s_and_saveexec_b32 s0, vcc_lo
	s_cbranch_execz .LBB23_107
.LBB23_140:
	ds_load_b32 v17, v1 offset:64
	s_wait_dscnt 0x0
	v_add_f32_e32 v12, v12, v17
	s_or_b32 exec_lo, exec_lo, s0
	s_and_saveexec_b32 s0, vcc_lo
	s_cbranch_execz .LBB23_108
.LBB23_141:
	ds_load_b32 v17, v1 offset:96
	s_wait_dscnt 0x0
	v_add_f32_e32 v13, v13, v17
	s_or_b32 exec_lo, exec_lo, s0
	s_and_saveexec_b32 s0, vcc_lo
	s_cbranch_execz .LBB23_109
.LBB23_142:
	ds_load_b32 v17, v1 offset:128
	s_wait_dscnt 0x0
	v_add_f32_e32 v10, v10, v17
	s_or_b32 exec_lo, exec_lo, s0
	s_and_saveexec_b32 s0, vcc_lo
	s_cbranch_execz .LBB23_110
.LBB23_143:
	ds_load_b32 v17, v1 offset:160
	s_wait_dscnt 0x0
	v_add_f32_e32 v11, v11, v17
	s_or_b32 exec_lo, exec_lo, s0
	s_and_saveexec_b32 s0, vcc_lo
	s_cbranch_execz .LBB23_111
.LBB23_144:
	ds_load_b32 v17, v1 offset:192
	s_wait_dscnt 0x0
	v_add_f32_e32 v8, v8, v17
	s_or_b32 exec_lo, exec_lo, s0
	s_and_saveexec_b32 s0, vcc_lo
	s_cbranch_execz .LBB23_112
.LBB23_145:
	ds_load_b32 v17, v1 offset:224
	s_wait_dscnt 0x0
	v_add_f32_e32 v9, v9, v17
	s_or_b32 exec_lo, exec_lo, s0
	s_and_saveexec_b32 s0, vcc_lo
	s_cbranch_execz .LBB23_113
.LBB23_146:
	ds_load_b32 v17, v1 offset:256
	s_wait_dscnt 0x0
	v_add_f32_e32 v6, v6, v17
	s_or_b32 exec_lo, exec_lo, s0
	s_and_saveexec_b32 s0, vcc_lo
	s_cbranch_execz .LBB23_114
.LBB23_147:
	ds_load_b32 v17, v1 offset:288
	s_wait_dscnt 0x0
	v_add_f32_e32 v7, v7, v17
	s_or_b32 exec_lo, exec_lo, s0
	s_and_saveexec_b32 s0, vcc_lo
	s_cbranch_execz .LBB23_115
.LBB23_148:
	ds_load_b32 v17, v1 offset:320
	s_wait_dscnt 0x0
	v_add_f32_e32 v4, v4, v17
	s_or_b32 exec_lo, exec_lo, s0
	s_and_saveexec_b32 s0, vcc_lo
	s_cbranch_execz .LBB23_116
.LBB23_149:
	ds_load_b32 v17, v1 offset:352
	s_wait_dscnt 0x0
	v_add_f32_e32 v5, v5, v17
	s_or_b32 exec_lo, exec_lo, s0
	s_and_saveexec_b32 s0, vcc_lo
	s_cbranch_execz .LBB23_117
.LBB23_150:
	ds_load_b32 v17, v1 offset:384
	s_wait_dscnt 0x0
	v_add_f32_e32 v2, v2, v17
	s_or_b32 exec_lo, exec_lo, s0
	s_and_saveexec_b32 s0, vcc_lo
	s_cbranch_execz .LBB23_118
.LBB23_151:
	ds_load_b32 v17, v1 offset:416
	s_wait_dscnt 0x0
	v_add_f32_e32 v3, v3, v17
	s_or_b32 exec_lo, exec_lo, s0
	s_and_saveexec_b32 s0, vcc_lo
	s_cbranch_execnz .LBB23_119
	s_branch .LBB23_120
	.section	.rodata,"a",@progbits
	.p2align	6, 0x0
	.amdhsa_kernel _ZN4vllm25paged_attention_v1_kernelIffLi120ELi16ELi128ELNS_18Fp8KVCacheDataTypeE0ELb1EEEvPT_PKS2_PKT0_S8_ifPKiSA_iPKfiiiSC_SC_iiiii
		.amdhsa_group_segment_fixed_size 512
		.amdhsa_private_segment_fixed_size 0
		.amdhsa_kernarg_size 384
		.amdhsa_user_sgpr_count 2
		.amdhsa_user_sgpr_dispatch_ptr 0
		.amdhsa_user_sgpr_queue_ptr 0
		.amdhsa_user_sgpr_kernarg_segment_ptr 1
		.amdhsa_user_sgpr_dispatch_id 0
		.amdhsa_user_sgpr_kernarg_preload_length 0
		.amdhsa_user_sgpr_kernarg_preload_offset 0
		.amdhsa_user_sgpr_private_segment_size 0
		.amdhsa_wavefront_size32 1
		.amdhsa_uses_dynamic_stack 0
		.amdhsa_enable_private_segment 0
		.amdhsa_system_sgpr_workgroup_id_x 1
		.amdhsa_system_sgpr_workgroup_id_y 1
		.amdhsa_system_sgpr_workgroup_id_z 1
		.amdhsa_system_sgpr_workgroup_info 0
		.amdhsa_system_vgpr_workitem_id 0
		.amdhsa_next_free_vgpr 98
		.amdhsa_next_free_sgpr 40
		.amdhsa_named_barrier_count 0
		.amdhsa_reserve_vcc 1
		.amdhsa_float_round_mode_32 0
		.amdhsa_float_round_mode_16_64 0
		.amdhsa_float_denorm_mode_32 3
		.amdhsa_float_denorm_mode_16_64 3
		.amdhsa_fp16_overflow 0
		.amdhsa_memory_ordered 1
		.amdhsa_forward_progress 1
		.amdhsa_inst_pref_size 74
		.amdhsa_round_robin_scheduling 0
		.amdhsa_exception_fp_ieee_invalid_op 0
		.amdhsa_exception_fp_denorm_src 0
		.amdhsa_exception_fp_ieee_div_zero 0
		.amdhsa_exception_fp_ieee_overflow 0
		.amdhsa_exception_fp_ieee_underflow 0
		.amdhsa_exception_fp_ieee_inexact 0
		.amdhsa_exception_int_div_zero 0
	.end_amdhsa_kernel
	.section	.text._ZN4vllm25paged_attention_v1_kernelIffLi120ELi16ELi128ELNS_18Fp8KVCacheDataTypeE0ELb1EEEvPT_PKS2_PKT0_S8_ifPKiSA_iPKfiiiSC_SC_iiiii,"axG",@progbits,_ZN4vllm25paged_attention_v1_kernelIffLi120ELi16ELi128ELNS_18Fp8KVCacheDataTypeE0ELb1EEEvPT_PKS2_PKT0_S8_ifPKiSA_iPKfiiiSC_SC_iiiii,comdat
.Lfunc_end23:
	.size	_ZN4vllm25paged_attention_v1_kernelIffLi120ELi16ELi128ELNS_18Fp8KVCacheDataTypeE0ELb1EEEvPT_PKS2_PKT0_S8_ifPKiSA_iPKfiiiSC_SC_iiiii, .Lfunc_end23-_ZN4vllm25paged_attention_v1_kernelIffLi120ELi16ELi128ELNS_18Fp8KVCacheDataTypeE0ELb1EEEvPT_PKS2_PKT0_S8_ifPKiSA_iPKfiiiSC_SC_iiiii
                                        ; -- End function
	.set _ZN4vllm25paged_attention_v1_kernelIffLi120ELi16ELi128ELNS_18Fp8KVCacheDataTypeE0ELb1EEEvPT_PKS2_PKT0_S8_ifPKiSA_iPKfiiiSC_SC_iiiii.num_vgpr, 98
	.set _ZN4vllm25paged_attention_v1_kernelIffLi120ELi16ELi128ELNS_18Fp8KVCacheDataTypeE0ELb1EEEvPT_PKS2_PKT0_S8_ifPKiSA_iPKfiiiSC_SC_iiiii.num_agpr, 0
	.set _ZN4vllm25paged_attention_v1_kernelIffLi120ELi16ELi128ELNS_18Fp8KVCacheDataTypeE0ELb1EEEvPT_PKS2_PKT0_S8_ifPKiSA_iPKfiiiSC_SC_iiiii.numbered_sgpr, 40
	.set _ZN4vllm25paged_attention_v1_kernelIffLi120ELi16ELi128ELNS_18Fp8KVCacheDataTypeE0ELb1EEEvPT_PKS2_PKT0_S8_ifPKiSA_iPKfiiiSC_SC_iiiii.num_named_barrier, 0
	.set _ZN4vllm25paged_attention_v1_kernelIffLi120ELi16ELi128ELNS_18Fp8KVCacheDataTypeE0ELb1EEEvPT_PKS2_PKT0_S8_ifPKiSA_iPKfiiiSC_SC_iiiii.private_seg_size, 0
	.set _ZN4vllm25paged_attention_v1_kernelIffLi120ELi16ELi128ELNS_18Fp8KVCacheDataTypeE0ELb1EEEvPT_PKS2_PKT0_S8_ifPKiSA_iPKfiiiSC_SC_iiiii.uses_vcc, 1
	.set _ZN4vllm25paged_attention_v1_kernelIffLi120ELi16ELi128ELNS_18Fp8KVCacheDataTypeE0ELb1EEEvPT_PKS2_PKT0_S8_ifPKiSA_iPKfiiiSC_SC_iiiii.uses_flat_scratch, 0
	.set _ZN4vllm25paged_attention_v1_kernelIffLi120ELi16ELi128ELNS_18Fp8KVCacheDataTypeE0ELb1EEEvPT_PKS2_PKT0_S8_ifPKiSA_iPKfiiiSC_SC_iiiii.has_dyn_sized_stack, 0
	.set _ZN4vllm25paged_attention_v1_kernelIffLi120ELi16ELi128ELNS_18Fp8KVCacheDataTypeE0ELb1EEEvPT_PKS2_PKT0_S8_ifPKiSA_iPKfiiiSC_SC_iiiii.has_recursion, 0
	.set _ZN4vllm25paged_attention_v1_kernelIffLi120ELi16ELi128ELNS_18Fp8KVCacheDataTypeE0ELb1EEEvPT_PKS2_PKT0_S8_ifPKiSA_iPKfiiiSC_SC_iiiii.has_indirect_call, 0
	.section	.AMDGPU.csdata,"",@progbits
; Kernel info:
; codeLenInByte = 9464
; TotalNumSgprs: 42
; NumVgprs: 98
; ScratchSize: 0
; MemoryBound: 0
; FloatMode: 240
; IeeeMode: 1
; LDSByteSize: 512 bytes/workgroup (compile time only)
; SGPRBlocks: 0
; VGPRBlocks: 6
; NumSGPRsForWavesPerEU: 42
; NumVGPRsForWavesPerEU: 98
; NamedBarCnt: 0
; Occupancy: 9
; WaveLimiterHint : 1
; COMPUTE_PGM_RSRC2:SCRATCH_EN: 0
; COMPUTE_PGM_RSRC2:USER_SGPR: 2
; COMPUTE_PGM_RSRC2:TRAP_HANDLER: 0
; COMPUTE_PGM_RSRC2:TGID_X_EN: 1
; COMPUTE_PGM_RSRC2:TGID_Y_EN: 1
; COMPUTE_PGM_RSRC2:TGID_Z_EN: 1
; COMPUTE_PGM_RSRC2:TIDIG_COMP_CNT: 0
	.section	.text._ZN4vllm25paged_attention_v1_kernelIffLi128ELi16ELi128ELNS_18Fp8KVCacheDataTypeE0ELb1EEEvPT_PKS2_PKT0_S8_ifPKiSA_iPKfiiiSC_SC_iiiii,"axG",@progbits,_ZN4vllm25paged_attention_v1_kernelIffLi128ELi16ELi128ELNS_18Fp8KVCacheDataTypeE0ELb1EEEvPT_PKS2_PKT0_S8_ifPKiSA_iPKfiiiSC_SC_iiiii,comdat
	.protected	_ZN4vllm25paged_attention_v1_kernelIffLi128ELi16ELi128ELNS_18Fp8KVCacheDataTypeE0ELb1EEEvPT_PKS2_PKT0_S8_ifPKiSA_iPKfiiiSC_SC_iiiii ; -- Begin function _ZN4vllm25paged_attention_v1_kernelIffLi128ELi16ELi128ELNS_18Fp8KVCacheDataTypeE0ELb1EEEvPT_PKS2_PKT0_S8_ifPKiSA_iPKfiiiSC_SC_iiiii
	.globl	_ZN4vllm25paged_attention_v1_kernelIffLi128ELi16ELi128ELNS_18Fp8KVCacheDataTypeE0ELb1EEEvPT_PKS2_PKT0_S8_ifPKiSA_iPKfiiiSC_SC_iiiii
	.p2align	8
	.type	_ZN4vllm25paged_attention_v1_kernelIffLi128ELi16ELi128ELNS_18Fp8KVCacheDataTypeE0ELb1EEEvPT_PKS2_PKT0_S8_ifPKiSA_iPKfiiiSC_SC_iiiii,@function
_ZN4vllm25paged_attention_v1_kernelIffLi128ELi16ELi128ELNS_18Fp8KVCacheDataTypeE0ELb1EEEvPT_PKS2_PKT0_S8_ifPKiSA_iPKfiiiSC_SC_iiiii: ; @_ZN4vllm25paged_attention_v1_kernelIffLi128ELi16ELi128ELNS_18Fp8KVCacheDataTypeE0ELb1EEEvPT_PKS2_PKT0_S8_ifPKiSA_iPKfiiiSC_SC_iiiii
; %bb.0:
	s_load_b64 s[6:7], s[0:1], 0x20
	s_bfe_u32 s3, ttmp6, 0x4000c
	s_bfe_u32 s5, ttmp6, 0x40010
	s_and_b32 s4, ttmp7, 0xffff
	s_add_co_i32 s3, s3, 1
	s_add_co_i32 s5, s5, 1
	s_and_b32 s2, ttmp6, 15
	s_bfe_u32 s8, ttmp6, 0x40004
	s_mul_i32 s3, ttmp9, s3
	s_mul_i32 s5, s4, s5
	s_getreg_b32 s28, hwreg(HW_REG_IB_STS2, 6, 4)
	s_add_co_i32 s9, s2, s3
	s_add_co_i32 s8, s8, s5
	s_cmp_eq_u32 s28, 0
	s_clause 0x1
	s_load_b32 s29, s[0:1], 0x80
	s_load_b64 s[2:3], s[0:1], 0x30
	s_cselect_b32 s30, s4, s8
	s_cselect_b32 s4, ttmp9, s9
	s_mov_b32 s19, 0
	s_delay_alu instid0(SALU_CYCLE_1) | instskip(SKIP_2) | instid1(SALU_CYCLE_1)
	s_mov_b32 s36, s19
	s_wait_kmcnt 0x0
	s_abs_i32 s5, s6
	s_cvt_f32_u32 s8, s5
	s_sub_co_i32 s9, 0, s5
	s_delay_alu instid0(SALU_CYCLE_2) | instskip(SKIP_2) | instid1(TRANS32_DEP_1)
	v_rcp_iflag_f32_e32 v1, s8
	s_abs_i32 s10, s29
	v_nop
	v_readfirstlane_b32 s8, v1
	s_mul_f32 s8, s8, 0x4f7ffffe
	s_delay_alu instid0(SALU_CYCLE_3) | instskip(NEXT) | instid1(SALU_CYCLE_3)
	s_cvt_u32_f32 s8, s8
	s_mul_i32 s9, s9, s8
	s_delay_alu instid0(SALU_CYCLE_1) | instskip(NEXT) | instid1(SALU_CYCLE_1)
	s_mul_hi_u32 s9, s8, s9
	s_add_co_i32 s8, s8, s9
	s_xor_b32 s9, s29, s6
	s_mul_hi_u32 s8, s10, s8
	s_ashr_i32 s9, s9, 31
	s_mul_i32 s11, s8, s5
	s_delay_alu instid0(SALU_CYCLE_1)
	s_sub_co_i32 s10, s10, s11
	s_add_co_i32 s11, s8, 1
	s_sub_co_i32 s12, s10, s5
	s_cmp_ge_u32 s10, s5
	s_cselect_b32 s8, s11, s8
	s_cselect_b32 s10, s12, s10
	s_add_co_i32 s11, s8, 1
	s_cmp_ge_u32 s10, s5
	s_cselect_b32 s5, s11, s8
	s_load_b64 s[10:11], s[0:1], 0x40
	s_xor_b32 s5, s5, s9
	s_abs_i32 s18, s4
	s_sub_co_i32 s16, s5, s9
	s_mov_b32 s9, s19
	s_abs_i32 s15, s16
	s_delay_alu instid0(SALU_CYCLE_1) | instskip(SKIP_1) | instid1(SALU_CYCLE_2)
	s_cvt_f32_u32 s5, s15
	s_sub_co_i32 s8, 0, s15
	v_rcp_iflag_f32_e32 v1, s5
	v_nop
	s_delay_alu instid0(TRANS32_DEP_1) | instskip(SKIP_1) | instid1(SALU_CYCLE_3)
	v_readfirstlane_b32 s5, v1
	s_mul_f32 s5, s5, 0x4f7ffffe
	s_cvt_u32_f32 s5, s5
	s_delay_alu instid0(SALU_CYCLE_3) | instskip(NEXT) | instid1(SALU_CYCLE_1)
	s_mul_i32 s8, s8, s5
	s_mul_hi_u32 s8, s5, s8
	s_delay_alu instid0(SALU_CYCLE_1)
	s_add_co_i32 s8, s5, s8
	s_wait_kmcnt 0x0
	s_cmp_eq_u64 s[10:11], 0
	s_cbranch_scc1 .LBB24_2
; %bb.1:
	s_ashr_i32 s5, s4, 31
	s_delay_alu instid0(SALU_CYCLE_1) | instskip(NEXT) | instid1(SALU_CYCLE_1)
	s_lshl_b64 s[12:13], s[4:5], 2
	s_add_nc_u64 s[10:11], s[10:11], s[12:13]
	s_load_b32 s36, s[10:11], 0x0
.LBB24_2:
	s_load_b32 s31, s[2:3], s30 offset:0x0 scale_offset
	s_load_b96 s[12:14], s[0:1], 0x48
	v_dual_lshlrev_b32 v40, 2, v0 :: v_dual_bitop2_b32 v4, 1, v0 bitop3:0x40
	s_wait_xcnt 0x0
	v_cmp_gt_u32_e64 s2, 64, v0
	s_ashr_i32 s3, s4, 31
	s_ashr_i32 s5, s16, 31
	s_mul_u64 s[20:21], s[18:19], s[8:9]
	s_lshl_b32 s16, s4, 7
	s_and_saveexec_b32 s8, s2
	s_cbranch_execz .LBB24_4
; %bb.3:
	s_load_b64 s[10:11], s[0:1], 0x8
	s_wait_kmcnt 0x0
	s_mul_i32 s22, s12, s30
	s_ashr_i32 s17, s16, 31
	s_ashr_i32 s23, s22, 31
	v_and_b32_e32 v1, 0xff8, v40
	s_lshl_b64 s[22:23], s[22:23], 2
	s_delay_alu instid0(VALU_DEP_1) | instskip(SKIP_2) | instid1(SALU_CYCLE_1)
	v_lshl_add_u32 v1, v4, 8, v1
	s_add_nc_u64 s[10:11], s[10:11], s[22:23]
	s_lshl_b64 s[22:23], s[16:17], 2
	s_add_nc_u64 s[10:11], s[10:11], s[22:23]
	global_load_b64 v[2:3], v0, s[10:11] scale_offset
	s_wait_loadcnt 0x0
	ds_store_b64 v1, v[2:3]
.LBB24_4:
	s_or_b32 exec_lo, exec_lo, s8
	s_load_b128 s[8:11], s[0:1], 0x68
	s_wait_kmcnt 0x0
	s_mul_i32 s12, s21, s15
	s_xor_b32 s5, s3, s5
	s_sub_co_i32 s3, s18, s12
	s_add_co_i32 s12, s21, 1
	s_sub_co_i32 s17, s3, s15
	s_cmp_ge_u32 s3, s15
	s_wait_dscnt 0x0
	s_cselect_b32 s12, s12, s21
	s_cselect_b32 s3, s17, s3
	s_add_co_i32 s17, s12, 1
	s_cmp_ge_u32 s3, s15
	s_load_b32 s3, s[0:1], 0x78
	s_cselect_b32 s12, s17, s12
	s_mov_b32 s21, 0
	s_xor_b32 s12, s12, s5
	s_barrier_signal -1
	s_sub_co_i32 s5, s12, s5
	s_barrier_wait -1
	s_abs_i32 s17, s11
                                        ; implicit-def: $sgpr33
	s_delay_alu instid0(SALU_CYCLE_1) | instskip(SKIP_1) | instid1(SALU_CYCLE_2)
	s_cvt_f32_u32 s15, s17
	s_sub_co_i32 s19, 0, s17
	v_rcp_iflag_f32_e32 v1, s15
	v_nop
	s_delay_alu instid0(TRANS32_DEP_1) | instskip(SKIP_2) | instid1(SALU_CYCLE_2)
	v_readfirstlane_b32 s15, v1
	s_mul_f32 s12, s15, 0x4f7ffffe
	s_mov_b32 s15, -1
	s_cvt_u32_f32 s18, s12
	s_add_co_i32 s12, s31, -1
	s_delay_alu instid0(SALU_CYCLE_1) | instskip(NEXT) | instid1(SALU_CYCLE_1)
	s_abs_i32 s20, s12
	s_mul_i32 s19, s19, s18
	s_delay_alu instid0(SALU_CYCLE_1) | instskip(NEXT) | instid1(SALU_CYCLE_1)
	s_mul_hi_u32 s19, s18, s19
	s_add_co_i32 s18, s18, s19
	s_wait_kmcnt 0x0
	s_cmp_lt_i32 s3, 0
	s_mov_b32 s19, s21
	s_cbranch_scc0 .LBB24_6
; %bb.5:
	s_mul_i32 s6, s8, s6
	s_mov_b32 s15, s21
	s_add_co_i32 s6, s5, s6
	s_delay_alu instid0(SALU_CYCLE_1) | instskip(NEXT) | instid1(SALU_CYCLE_1)
	s_mul_i32 s6, s6, s3
	s_sub_co_i32 s33, 1, s6
.LBB24_6:
	s_ashr_i32 s6, s12, 31
	s_ashr_i32 s34, s11, 31
	s_and_not1_b32 vcc_lo, exec_lo, s15
	s_mul_u64 s[24:25], s[20:21], s[18:19]
	s_cbranch_vccnz .LBB24_8
; %bb.7:
	s_mul_i32 s8, s29, s8
	s_delay_alu instid0(SALU_CYCLE_1) | instskip(NEXT) | instid1(SALU_CYCLE_1)
	s_add_co_i32 s4, s8, s4
	s_mul_i32 s3, s4, s3
	s_delay_alu instid0(SALU_CYCLE_1)
	s_add_co_i32 s33, s3, 1
.LBB24_8:
	s_load_b32 s3, s[0:1], 0x38
	s_xor_b32 s4, s6, s34
	s_mul_i32 s6, s25, s17
	s_add_co_i32 s8, s25, 1
	s_sub_co_i32 s6, s20, s6
	s_clause 0x1
	s_load_b64 s[20:21], s[0:1], 0x28
	s_load_b32 s12, s[0:1], 0x88
	v_dual_lshrrev_b32 v1, 5, v0 :: v_dual_lshrrev_b32 v41, 3, v0
	v_mov_b32_e32 v45, 0xff7fffff
	v_mbcnt_lo_u32_b32 v42, -1, 0
	s_mul_i32 s14, s5, s14
	s_delay_alu instid0(VALU_DEP_3)
	v_lshlrev_b32_e32 v70, 4, v1
	s_wait_kmcnt 0x0
	s_mul_i32 s22, s3, s30
	s_sub_co_i32 s3, s6, s17
	s_ashr_i32 s23, s22, 31
	s_cmp_ge_u32 s6, s17
	s_cselect_b32 s8, s8, s25
	s_cselect_b32 s3, s3, s6
	s_add_co_i32 s6, s8, 1
	s_cmp_ge_u32 s3, s17
	s_cselect_b32 s3, s6, s8
	s_add_co_i32 s6, s31, 15
	s_delay_alu instid0(SALU_CYCLE_1) | instskip(NEXT) | instid1(SALU_CYCLE_1)
	s_ashr_i32 s8, s6, 31
	s_lshr_b32 s8, s8, 28
	s_delay_alu instid0(SALU_CYCLE_1) | instskip(NEXT) | instid1(SALU_CYCLE_1)
	s_add_co_i32 s6, s6, s8
	s_ashr_i32 s35, s6, 4
	s_xor_b32 s6, s3, s4
	v_cmp_gt_i32_e64 s3, s35, v1
	s_sub_co_i32 s8, s6, s4
	s_and_saveexec_b32 s11, s3
	s_cbranch_execz .LBB24_20
; %bb.9:
	s_load_b64 s[38:39], s[0:1], 0x10
	s_ashr_i32 s15, s14, 31
	s_sub_co_i32 s37, s8, s9
	s_ashr_i32 s25, s13, 31
	s_lshl_b64 s[40:41], s[14:15], 2
	s_cmp_neq_f32 s36, 0
	v_bfe_u32 v43, v0, 1, 4
	v_dual_mov_b32 v3, 0 :: v_dual_lshlrev_b32 v6, 3, v0
	s_cselect_b32 vcc_lo, -1, 0
	s_abs_i32 s15, s10
	s_delay_alu instid0(VALU_DEP_2) | instskip(SKIP_3) | instid1(SALU_CYCLE_1)
	v_lshlrev_b32_e32 v2, 4, v43
	s_cvt_f32_u32 s4, s15
	v_dual_lshlrev_b32 v7, 2, v43 :: v_dual_lshlrev_b32 v44, 8, v4
	s_sub_co_i32 s6, 0, s15
	v_rcp_iflag_f32_e32 v5, s4
	v_cmp_eq_u32_e64 s4, 0, v4
	s_delay_alu instid0(VALU_DEP_2)
	v_lshl_or_b32 v8, v1, 6, v7
	v_dual_mov_b32 v48, 0xff7fffff :: v_dual_mov_b32 v45, 0xff7fffff
	s_wait_kmcnt 0x0
	s_add_nc_u64 s[38:39], s[38:39], s[40:41]
	v_xor_b32_e32 v49, 1, v42
	v_readfirstlane_b32 s5, v5
	v_add_nc_u64_e32 v[4:5], s[38:39], v[2:3]
	v_and_b32_e32 v2, 8, v6
	v_subrev_nc_u32_e32 v6, s31, v43
	s_lshl_b64 s[38:39], s[22:23], 2
	s_mul_f32 s5, s5, 0x4f7ffffe
	s_add_nc_u64 s[38:39], s[20:21], s[38:39]
	v_dual_mov_b32 v50, v1 :: v_dual_add_nc_u32 v47, 0x220, v8
	v_add_nc_u64_e32 v[4:5], v[4:5], v[2:3]
	v_and_b32_e32 v2, 0x7c, v41
	s_cvt_u32_f32 s5, s5
	v_add_nc_u32_e32 v46, 1, v6
	s_mov_b32 s27, 0
	s_mov_b32 s24, s13
	v_add_nc_u64_e32 v[6:7], s[38:39], v[2:3]
	s_mul_i32 s6, s6, s5
	v_lshlrev_b32_e32 v2, 4, v1
	s_mul_hi_u32 s6, s5, s6
	s_mov_b32 s38, s27
	s_add_co_i32 s26, s5, s6
	s_branch .LBB24_12
.LBB24_10:                              ;   in Loop: Header=BB24_12 Depth=1
	s_or_b32 exec_lo, exec_lo, s39
.LBB24_11:                              ;   in Loop: Header=BB24_12 Depth=1
	s_delay_alu instid0(SALU_CYCLE_1) | instskip(SKIP_4) | instid1(VALU_DEP_4)
	s_or_b32 exec_lo, exec_lo, s6
	v_add_nc_u32_e32 v50, 4, v50
	v_add_nc_u64_e32 v[6:7], 16, v[6:7]
	v_add_nc_u32_e32 v2, 64, v2
	v_add_nc_u32_e32 v47, 0x100, v47
	v_cmp_le_i32_e64 s5, s35, v50
	s_or_b32 s38, s5, s38
	s_delay_alu instid0(SALU_CYCLE_1)
	s_and_not1_b32 exec_lo, exec_lo, s38
	s_cbranch_execz .LBB24_19
.LBB24_12:                              ; =>This Inner Loop Header: Depth=1
	s_wait_dscnt 0x0
	v_mul_u64_e32 v[8:9], s[18:19], v[2:3]
	s_delay_alu instid0(VALU_DEP_1) | instskip(NEXT) | instid1(VALU_DEP_1)
	v_mul_lo_u32 v8, v9, s17
	v_dual_add_nc_u32 v10, 1, v9 :: v_dual_sub_nc_u32 v8, v2, v8
	s_delay_alu instid0(VALU_DEP_1) | instskip(SKIP_1) | instid1(VALU_DEP_1)
	v_subrev_nc_u32_e32 v11, s17, v8
	v_cmp_le_u32_e64 s5, s17, v8
	v_dual_cndmask_b32 v9, v9, v10, s5 :: v_dual_cndmask_b32 v8, v8, v11, s5
	s_delay_alu instid0(VALU_DEP_1) | instskip(NEXT) | instid1(VALU_DEP_2)
	v_add_nc_u32_e32 v10, 1, v9
	v_cmp_le_u32_e64 s5, s17, v8
	s_delay_alu instid0(VALU_DEP_1) | instskip(NEXT) | instid1(VALU_DEP_1)
	v_dual_cndmask_b32 v8, v9, v10, s5 :: v_dual_mov_b32 v9, v3
	v_xor_b32_e32 v8, s34, v8
	s_delay_alu instid0(VALU_DEP_1) | instskip(NEXT) | instid1(VALU_DEP_1)
	v_subrev_nc_u32_e32 v12, s34, v8
	v_add_nc_u32_e32 v13, s33, v12
	v_cmp_ge_i32_e64 s6, s37, v12
	s_delay_alu instid0(VALU_DEP_2) | instskip(NEXT) | instid1(VALU_DEP_1)
	v_sub_nc_u32_e32 v8, 0, v13
	v_max_i32_e32 v8, v13, v8
	s_delay_alu instid0(VALU_DEP_1) | instskip(SKIP_1) | instid1(VALU_DEP_2)
	v_mul_u64_e32 v[10:11], s[26:27], v[8:9]
	v_ashrrev_i32_e32 v10, 31, v13
	v_mul_lo_u32 v9, v11, s15
	s_delay_alu instid0(VALU_DEP_1) | instskip(NEXT) | instid1(VALU_DEP_1)
	v_sub_nc_u32_e32 v8, v8, v9
	v_subrev_nc_u32_e32 v9, s15, v8
	v_cmp_le_u32_e64 s5, s15, v8
	s_delay_alu instid0(VALU_DEP_1) | instskip(NEXT) | instid1(VALU_DEP_1)
	v_cndmask_b32_e64 v8, v8, v9, s5
	v_subrev_nc_u32_e32 v9, s15, v8
	v_cmp_le_u32_e64 s5, s15, v8
	s_delay_alu instid0(VALU_DEP_1) | instskip(NEXT) | instid1(VALU_DEP_1)
	v_cndmask_b32_e64 v8, v8, v9, s5
	v_xor_b32_e32 v8, v8, v10
	s_delay_alu instid0(VALU_DEP_1) | instskip(NEXT) | instid1(VALU_DEP_1)
	v_sub_nc_u32_e32 v8, v8, v10
	v_cmp_ne_u32_e64 s5, 0, v8
	s_and_b32 s5, s5, s6
	s_delay_alu instid0(SALU_CYCLE_1) | instskip(NEXT) | instid1(SALU_CYCLE_1)
	s_and_saveexec_b32 s6, s5
	s_xor_b32 s5, exec_lo, s6
	s_cbranch_execz .LBB24_16
; %bb.13:                               ;   in Loop: Header=BB24_12 Depth=1
	s_and_saveexec_b32 s6, s4
; %bb.14:                               ;   in Loop: Header=BB24_12 Depth=1
	ds_store_b32 v47, v48
; %bb.15:                               ;   in Loop: Header=BB24_12 Depth=1
	s_or_b32 exec_lo, exec_lo, s6
.LBB24_16:                              ;   in Loop: Header=BB24_12 Depth=1
	s_and_not1_saveexec_b32 s6, s5
	s_cbranch_execz .LBB24_11
; %bb.17:                               ;   in Loop: Header=BB24_12 Depth=1
	global_load_b32 v8, v[6:7], off
	v_cmp_gt_i32_e64 s5, 32, v49
	s_wait_loadcnt 0x0
	v_ashrrev_i32_e32 v9, 31, v8
	s_delay_alu instid0(VALU_DEP_1) | instskip(NEXT) | instid1(VALU_DEP_1)
	v_mul_u64_e32 v[8:9], s[24:25], v[8:9]
	v_lshl_add_u64 v[10:11], v[8:9], 2, v[4:5]
	s_clause 0x1f
	global_load_b64 v[64:65], v[10:11], off offset:256
	global_load_b64 v[66:67], v[10:11], off offset:512
	;; [unrolled: 1-line block ×3, first 2 shown]
	global_load_b64 v[72:73], v[10:11], off
	global_load_b64 v[74:75], v[10:11], off offset:1024
	global_load_b64 v[76:77], v[10:11], off offset:1280
	;; [unrolled: 1-line block ×28, first 2 shown]
	ds_load_b128 v[52:55], v44
	ds_load_b128 v[56:59], v44 offset:16
	ds_load_b128 v[60:63], v44 offset:32
	s_wait_loadcnt_dscnt 0x1f02
	v_dual_mul_f32 v51, v54, v64 :: v_dual_mul_f32 v64, v55, v65
	s_wait_loadcnt 0x1c
	s_delay_alu instid0(VALU_DEP_1) | instskip(SKIP_3) | instid1(VALU_DEP_1)
	v_dual_fmac_f32 v64, v53, v73 :: v_dual_fmac_f32 v51, v52, v72
	ds_load_b128 v[52:55], v44 offset:48
	s_wait_dscnt 0x2
	v_dual_fmac_f32 v64, v57, v67 :: v_dual_fmac_f32 v51, v56, v66
	v_dual_fmac_f32 v64, v59, v69 :: v_dual_fmac_f32 v51, v58, v68
	ds_load_b128 v[56:59], v44 offset:64
	s_wait_loadcnt_dscnt 0x1b02
	v_dual_fmac_f32 v64, v61, v75 :: v_dual_fmac_f32 v51, v60, v74
	s_wait_loadcnt 0x1a
	s_delay_alu instid0(VALU_DEP_1) | instskip(SKIP_4) | instid1(VALU_DEP_1)
	v_dual_fmac_f32 v64, v63, v77 :: v_dual_fmac_f32 v51, v62, v76
	ds_load_b128 v[60:63], v44 offset:80
	s_wait_loadcnt_dscnt 0x1902
	v_dual_fmac_f32 v64, v53, v79 :: v_dual_fmac_f32 v51, v52, v78
	s_wait_loadcnt 0x18
	v_dual_fmac_f32 v64, v55, v81 :: v_dual_fmac_f32 v51, v54, v80
	ds_load_b128 v[52:55], v44 offset:96
	s_wait_loadcnt_dscnt 0x1702
	v_dual_fmac_f32 v64, v57, v83 :: v_dual_fmac_f32 v51, v56, v82
	s_wait_loadcnt 0x16
	s_delay_alu instid0(VALU_DEP_1) | instskip(SKIP_4) | instid1(VALU_DEP_1)
	v_dual_fmac_f32 v64, v59, v85 :: v_dual_fmac_f32 v51, v58, v84
	ds_load_b128 v[56:59], v44 offset:112
	s_wait_loadcnt_dscnt 0x1502
	v_dual_fmac_f32 v64, v61, v87 :: v_dual_fmac_f32 v51, v60, v86
	s_wait_loadcnt 0x14
	;; [unrolled: 11-line block ×3, first 2 shown]
	v_dual_fmac_f32 v64, v59, v33 :: v_dual_fmac_f32 v51, v58, v32
	ds_load_b128 v[32:35], v44 offset:160
	ds_load_b128 v[56:59], v44 offset:176
	s_wait_loadcnt_dscnt 0xf03
	v_dual_fmac_f32 v64, v61, v29 :: v_dual_fmac_f32 v51, v60, v28
	s_wait_loadcnt 0xe
	s_delay_alu instid0(VALU_DEP_1) | instskip(SKIP_1) | instid1(VALU_DEP_1)
	v_dual_fmac_f32 v64, v63, v23 :: v_dual_fmac_f32 v51, v62, v22
	s_wait_loadcnt_dscnt 0xd02
	v_dual_fmac_f32 v64, v53, v93 :: v_dual_fmac_f32 v51, v52, v92
	s_wait_loadcnt 0xc
	s_delay_alu instid0(VALU_DEP_1) | instskip(SKIP_4) | instid1(VALU_DEP_1)
	v_dual_fmac_f32 v64, v55, v95 :: v_dual_fmac_f32 v51, v54, v94
	ds_load_b128 v[52:55], v44 offset:192
	s_wait_loadcnt_dscnt 0xb02
	v_dual_fmac_f32 v64, v33, v39 :: v_dual_fmac_f32 v51, v32, v38
	s_wait_loadcnt 0xa
	v_dual_fmac_f32 v64, v35, v97 :: v_dual_fmac_f32 v51, v34, v96
	ds_load_b128 v[32:35], v44 offset:208
	s_wait_loadcnt_dscnt 0x902
	v_dual_fmac_f32 v64, v57, v25 :: v_dual_fmac_f32 v51, v56, v24
	ds_load_b128 v[22:25], v44 offset:224
	s_wait_loadcnt 0x8
	v_dual_fmac_f32 v64, v59, v31 :: v_dual_fmac_f32 v51, v58, v30
	s_wait_loadcnt_dscnt 0x702
	s_delay_alu instid0(VALU_DEP_1) | instskip(SKIP_1) | instid1(VALU_DEP_1)
	v_dual_fmac_f32 v64, v53, v17 :: v_dual_fmac_f32 v51, v52, v16
	s_wait_loadcnt 0x6
	v_dual_fmac_f32 v64, v15, v55 :: v_dual_fmac_f32 v51, v14, v54
	ds_load_b128 v[14:17], v44 offset:240
	s_wait_loadcnt_dscnt 0x502
	v_dual_fmac_f32 v64, v9, v33 :: v_dual_fmac_f32 v51, v8, v32
	s_wait_loadcnt 0x4
	s_delay_alu instid0(VALU_DEP_1) | instskip(NEXT) | instid1(VALU_DEP_1)
	v_dual_cndmask_b32 v8, v42, v49, s5 :: v_dual_fmac_f32 v64, v13, v35
	v_dual_fmac_f32 v51, v12, v34 :: v_dual_lshlrev_b32 v9, 2, v8
	s_wait_loadcnt_dscnt 0x301
	s_delay_alu instid0(VALU_DEP_1) | instskip(SKIP_1) | instid1(VALU_DEP_1)
	v_dual_fmac_f32 v64, v19, v23 :: v_dual_fmac_f32 v51, v18, v22
	s_wait_loadcnt 0x2
	v_dual_fmac_f32 v64, v27, v25 :: v_dual_fmac_f32 v51, v26, v24
	s_wait_loadcnt_dscnt 0x100
	s_delay_alu instid0(VALU_DEP_1) | instskip(SKIP_1) | instid1(VALU_DEP_1)
	v_dual_fmac_f32 v64, v21, v15 :: v_dual_fmac_f32 v51, v20, v14
	s_wait_loadcnt 0x0
	v_dual_fmac_f32 v64, v11, v17 :: v_dual_fmac_f32 v51, v10, v16
	s_delay_alu instid0(VALU_DEP_1)
	v_add_f32_e32 v8, v51, v64
	ds_bpermute_b32 v9, v9, v8
	s_and_saveexec_b32 s39, s4
	s_cbranch_execz .LBB24_10
; %bb.18:                               ;   in Loop: Header=BB24_12 Depth=1
	s_wait_dscnt 0x0
	v_dual_add_nc_u32 v10, v46, v2 :: v_dual_add_f32 v8, v8, v9
	s_delay_alu instid0(VALU_DEP_1) | instskip(NEXT) | instid1(VALU_DEP_1)
	v_cvt_f32_i32_e32 v10, v10
	v_mul_f32_e32 v10, s36, v10
	s_delay_alu instid0(VALU_DEP_1) | instskip(NEXT) | instid1(VALU_DEP_1)
	v_dual_cndmask_b32 v9, 0, v10 :: v_dual_max_num_f32 v10, v45, v45
	v_dual_fmac_f32 v9, s7, v8 :: v_dual_add_nc_u32 v8, v43, v2
	s_delay_alu instid0(VALU_DEP_1) | instskip(NEXT) | instid1(VALU_DEP_2)
	v_max_num_f32_e32 v10, v10, v9
	v_cmp_gt_i32_e64 s5, s31, v8
	s_delay_alu instid0(VALU_DEP_1)
	v_dual_cndmask_b32 v8, 0, v9, s5 :: v_dual_cndmask_b32 v45, v45, v10, s5
	ds_store_b32 v47, v8
	s_branch .LBB24_10
.LBB24_19:
	s_or_b32 exec_lo, exec_lo, s38
.LBB24_20:
	s_delay_alu instid0(SALU_CYCLE_1)
	s_or_b32 exec_lo, exec_lo, s11
	v_dual_max_num_f32 v5, v45, v45 :: v_dual_bitop2_b32 v2, 16, v42 bitop3:0x14
	v_xor_b32_e32 v4, 8, v42
	s_clause 0x1
	s_load_b64 s[6:7], s[0:1], 0x0
	s_load_b64 s[24:25], s[0:1], 0x18
	v_and_b32_e32 v92, 31, v0
	v_cmp_gt_i32_e32 vcc_lo, 32, v2
	v_cndmask_b32_e32 v2, v42, v2, vcc_lo
	v_cmp_gt_i32_e32 vcc_lo, 32, v4
	s_delay_alu instid0(VALU_DEP_2) | instskip(SKIP_3) | instid1(VALU_DEP_1)
	v_dual_cndmask_b32 v4, v42, v4, vcc_lo :: v_dual_lshlrev_b32 v2, 2, v2
	ds_bpermute_b32 v3, v2, v45
	s_wait_dscnt 0x0
	v_dual_max_num_f32 v6, v3, v3 :: v_dual_lshlrev_b32 v3, 2, v4
	v_max_num_f32_e32 v5, v5, v6
	ds_bpermute_b32 v4, v3, v5
	s_wait_dscnt 0x0
	v_dual_max_num_f32 v7, v4, v4 :: v_dual_bitop2_b32 v6, 4, v42 bitop3:0x14
	s_delay_alu instid0(VALU_DEP_1) | instskip(NEXT) | instid1(VALU_DEP_2)
	v_cmp_gt_i32_e32 vcc_lo, 32, v6
	v_dual_max_num_f32 v5, v5, v7 :: v_dual_bitop2_b32 v7, 2, v42 bitop3:0x14
	v_cndmask_b32_e32 v6, v42, v6, vcc_lo
	s_delay_alu instid0(VALU_DEP_2) | instskip(NEXT) | instid1(VALU_DEP_2)
	v_cmp_gt_i32_e32 vcc_lo, 32, v7
	v_dual_cndmask_b32 v7, v42, v7 :: v_dual_lshlrev_b32 v4, 2, v6
	v_cmp_eq_u32_e32 vcc_lo, 0, v92
	s_delay_alu instid0(VALU_DEP_2) | instskip(SKIP_3) | instid1(VALU_DEP_1)
	v_lshlrev_b32_e32 v93, 2, v7
	ds_bpermute_b32 v6, v4, v5
	s_wait_dscnt 0x0
	v_max_num_f32_e32 v6, v6, v6
	v_dual_max_num_f32 v6, v5, v6 :: v_dual_lshlrev_b32 v5, 2, v1
	ds_bpermute_b32 v7, v93, v6
	s_wait_xcnt 0x0
	s_and_saveexec_b32 s0, vcc_lo
	s_cbranch_execz .LBB24_22
; %bb.21:
	s_wait_dscnt 0x0
	v_dual_max_num_f32 v7, v7, v7 :: v_dual_max_num_f32 v6, v6, v6
	s_delay_alu instid0(VALU_DEP_1)
	v_max_num_f32_e32 v6, v6, v7
	ds_store_b32 v5, v6 offset:512
.LBB24_22:
	s_or_b32 exec_lo, exec_lo, s0
	v_cmp_gt_u32_e64 s0, 4, v92
	s_wait_dscnt 0x0
	v_dual_mov_b32 v7, 0xff7fffff :: v_dual_lshlrev_b32 v6, 2, v92
	s_barrier_signal -1
	s_barrier_wait -1
	s_and_saveexec_b32 s1, s0
; %bb.23:
	ds_load_b32 v7, v6 offset:512
; %bb.24:
	s_or_b32 exec_lo, exec_lo, s1
	s_wait_dscnt 0x0
	ds_bpermute_b32 v8, v93, v7
	v_dual_max_num_f32 v7, v7, v7 :: v_dual_bitop2_b32 v9, 1, v42 bitop3:0x14
	s_delay_alu instid0(VALU_DEP_1) | instskip(NEXT) | instid1(VALU_DEP_1)
	v_cmp_gt_i32_e64 s1, 32, v9
	v_cndmask_b32_e64 v9, v42, v9, s1
	s_lshl_b32 s1, s35, 4
	s_delay_alu instid0(SALU_CYCLE_1) | instskip(NEXT) | instid1(SALU_CYCLE_1)
	s_min_i32 s5, s1, s31
	v_cmp_gt_i32_e64 s1, s5, v0
	s_wait_dscnt 0x0
	v_dual_max_num_f32 v8, v8, v8 :: v_dual_lshlrev_b32 v94, 2, v9
	s_delay_alu instid0(VALU_DEP_1) | instskip(SKIP_3) | instid1(VALU_DEP_1)
	v_max_num_f32_e32 v7, v7, v8
	ds_bpermute_b32 v8, v94, v7
	s_wait_dscnt 0x0
	v_max_num_f32_e32 v8, v8, v8
	v_dual_max_num_f32 v8, v7, v8 :: v_dual_mov_b32 v7, 0
	ds_bpermute_b32 v8, v7, v8
	s_and_saveexec_b32 s11, s1
	s_cbranch_execz .LBB24_28
; %bb.25:
	v_lshl_add_u32 v9, v0, 2, 0x220
	v_dual_mov_b32 v7, 0 :: v_dual_mov_b32 v10, v0
	s_mov_b32 s15, 0
.LBB24_26:                              ; =>This Inner Loop Header: Depth=1
	ds_load_b32 v11, v9
	v_add_nc_u32_e32 v10, 0x80, v10
	s_delay_alu instid0(VALU_DEP_1) | instskip(SKIP_3) | instid1(VALU_DEP_1)
	v_cmp_le_i32_e64 s4, s5, v10
	s_or_b32 s15, s4, s15
	s_wait_dscnt 0x0
	v_sub_f32_e32 v11, v11, v8
	v_mul_f32_e32 v11, 0x3fb8aa3b, v11
	s_delay_alu instid0(VALU_DEP_1)
	v_exp_f32_e32 v11, v11
	ds_store_b32 v9, v11
	v_nop
	v_add_f32_e32 v7, v7, v11
	v_add_nc_u32_e32 v9, 0x200, v9
	s_and_not1_b32 exec_lo, exec_lo, s15
	s_cbranch_execnz .LBB24_26
; %bb.27:
	s_or_b32 exec_lo, exec_lo, s15
.LBB24_28:
	s_delay_alu instid0(SALU_CYCLE_1)
	s_or_b32 exec_lo, exec_lo, s11
	ds_bpermute_b32 v2, v2, v7
	s_wait_dscnt 0x0
	v_add_f32_e32 v2, v7, v2
	ds_bpermute_b32 v3, v3, v2
	s_wait_dscnt 0x0
	v_add_f32_e32 v2, v2, v3
	;; [unrolled: 3-line block ×5, first 2 shown]
	s_and_saveexec_b32 s4, vcc_lo
; %bb.29:
	ds_store_b32 v5, v2 offset:528
; %bb.30:
	s_or_b32 exec_lo, exec_lo, s4
	s_wait_dscnt 0x0
	s_barrier_signal -1
	s_barrier_wait -1
	s_and_saveexec_b32 s4, s0
; %bb.31:
	ds_load_b32 v2, v6 offset:528
; %bb.32:
	s_or_b32 exec_lo, exec_lo, s4
	s_wait_dscnt 0x0
	ds_bpermute_b32 v3, v93, v2
	s_wait_dscnt 0x0
	v_dual_mov_b32 v73, 0 :: v_dual_add_f32 v2, v2, v3
	ds_bpermute_b32 v3, v94, v2
	s_wait_dscnt 0x0
	v_add_f32_e32 v2, v2, v3
	ds_bpermute_b32 v2, v73, v2
	s_and_saveexec_b32 s0, s1
	s_cbranch_execz .LBB24_45
; %bb.33:
	s_wait_dscnt 0x0
	v_add_f32_e32 v2, 0x358637bd, v2
	s_mov_b32 s4, -1
	s_mov_b32 s1, exec_lo
	s_delay_alu instid0(VALU_DEP_1) | instskip(NEXT) | instid1(VALU_DEP_1)
	v_div_scale_f32 v3, null, v2, v2, 1.0
	v_rcp_f32_e32 v5, v3
	v_nop
	s_delay_alu instid0(TRANS32_DEP_1) | instskip(NEXT) | instid1(VALU_DEP_1)
	v_fma_f32 v4, -v3, v5, 1.0
	v_fmac_f32_e32 v5, v4, v5
	v_div_scale_f32 v6, vcc_lo, 1.0, v2, 1.0
	s_delay_alu instid0(VALU_DEP_1) | instskip(NEXT) | instid1(VALU_DEP_1)
	v_mul_f32_e32 v7, v6, v5
	v_fma_f32 v4, -v3, v7, v6
	s_delay_alu instid0(VALU_DEP_1) | instskip(SKIP_1) | instid1(VALU_DEP_2)
	v_fmac_f32_e32 v7, v4, v5
	v_xad_u32 v4, v0, -1, s5
	v_fma_f32 v3, -v3, v7, v6
	s_delay_alu instid0(VALU_DEP_1) | instskip(NEXT) | instid1(VALU_DEP_1)
	v_div_fmas_f32 v3, v3, v5, v7
	v_div_fixup_f32 v2, v3, v2, 1.0
	v_mov_b32_e32 v3, v0
	v_cmpx_lt_u32_e32 0x7f, v4
	s_cbranch_execz .LBB24_42
; %bb.34:
	s_delay_alu instid0(VALU_DEP_3) | instskip(NEXT) | instid1(VALU_DEP_1)
	v_dual_mov_b32 v3, v2 :: v_dual_lshrrev_b32 v4, 7, v4
	v_dual_mov_b32 v8, 0 :: v_dual_add_nc_u32 v5, -1, v4
	s_delay_alu instid0(VALU_DEP_1) | instskip(SKIP_1) | instid1(VALU_DEP_2)
	v_lshrrev_b32_e32 v6, 1, v5
	v_cmp_lt_u32_e32 vcc_lo, 13, v5
	v_add_nc_u32_e32 v5, 1, v6
	s_and_saveexec_b32 s4, vcc_lo
	s_cbranch_execz .LBB24_38
; %bb.35:
	s_delay_alu instid0(VALU_DEP_1)
	v_and_b32_e32 v6, -8, v5
	v_lshl_add_u32 v7, v0, 2, 0x220
	s_mov_b32 s11, 0
	s_mov_b32 s15, 0
.LBB24_36:                              ; =>This Inner Loop Header: Depth=1
	ds_load_2addr_stride64_b32 v[8:9], v7 offset1:2
	ds_load_2addr_stride64_b32 v[10:11], v7 offset0:4 offset1:6
	ds_load_2addr_stride64_b32 v[12:13], v7 offset0:8 offset1:10
	;; [unrolled: 1-line block ×7, first 2 shown]
	s_add_co_i32 s15, s15, 16
	v_add_nc_u32_e32 v6, -8, v6
	s_wait_dscnt 0x7
	v_pk_mul_f32 v[8:9], v[2:3], v[8:9]
	s_wait_dscnt 0x6
	v_pk_mul_f32 v[10:11], v[2:3], v[10:11]
	;; [unrolled: 2-line block ×8, first 2 shown]
	ds_store_2addr_stride64_b32 v7, v8, v9 offset1:2
	ds_store_2addr_stride64_b32 v7, v10, v11 offset0:4 offset1:6
	ds_store_2addr_stride64_b32 v7, v12, v13 offset0:8 offset1:10
	;; [unrolled: 1-line block ×7, first 2 shown]
	v_mov_b32_e32 v8, s15
	v_cmp_eq_u32_e32 vcc_lo, 0, v6
	v_add_nc_u32_e32 v7, 0x2000, v7
	s_or_b32 s11, vcc_lo, s11
	s_delay_alu instid0(SALU_CYCLE_1)
	s_and_not1_b32 exec_lo, exec_lo, s11
	s_cbranch_execnz .LBB24_36
; %bb.37:
	s_or_b32 exec_lo, exec_lo, s11
.LBB24_38:
	s_delay_alu instid0(SALU_CYCLE_1) | instskip(NEXT) | instid1(VALU_DEP_1)
	s_or_b32 exec_lo, exec_lo, s4
	v_and_b32_e32 v5, 7, v5
	s_mov_b32 s11, 0
	s_mov_b32 s4, exec_lo
	s_delay_alu instid0(VALU_DEP_1)
	v_cmpx_ne_u32_e32 0, v5
	s_cbranch_execz .LBB24_41
; %bb.39:
	v_lshlrev_b32_e32 v6, 9, v8
	s_delay_alu instid0(VALU_DEP_1)
	v_add3_u32 v6, v6, v40, 0x220
.LBB24_40:                              ; =>This Inner Loop Header: Depth=1
	ds_load_2addr_stride64_b32 v[8:9], v6 offset1:2
	v_add_nc_u32_e32 v5, -1, v5
	s_delay_alu instid0(VALU_DEP_1)
	v_cmp_eq_u32_e32 vcc_lo, 0, v5
	s_or_b32 s11, vcc_lo, s11
	s_wait_dscnt 0x0
	v_pk_mul_f32 v[8:9], v[2:3], v[8:9]
	ds_store_2addr_stride64_b32 v6, v8, v9 offset1:2
	v_add_nc_u32_e32 v6, 0x400, v6
	s_and_not1_b32 exec_lo, exec_lo, s11
	s_cbranch_execnz .LBB24_40
.LBB24_41:
	s_or_b32 exec_lo, exec_lo, s4
	v_add_nc_u32_e32 v3, 1, v4
	s_delay_alu instid0(VALU_DEP_1) | instskip(NEXT) | instid1(VALU_DEP_1)
	v_and_b32_e32 v4, 0x3fffffe, v3
	v_cmp_ne_u32_e32 vcc_lo, v3, v4
	v_lshl_add_u32 v3, v4, 7, v0
	s_or_not1_b32 s4, vcc_lo, exec_lo
.LBB24_42:
	s_or_b32 exec_lo, exec_lo, s1
	s_delay_alu instid0(SALU_CYCLE_1)
	s_and_b32 exec_lo, exec_lo, s4
	s_cbranch_execz .LBB24_45
; %bb.43:
	v_lshl_add_u32 v4, v3, 2, 0x220
	s_mov_b32 s1, 0
.LBB24_44:                              ; =>This Inner Loop Header: Depth=1
	ds_load_b32 v5, v4
	v_add_nc_u32_e32 v3, 0x80, v3
	s_delay_alu instid0(VALU_DEP_1)
	v_cmp_le_i32_e32 vcc_lo, s5, v3
	s_or_b32 s1, vcc_lo, s1
	s_wait_dscnt 0x0
	v_mul_f32_e32 v5, v2, v5
	ds_store_b32 v4, v5
	v_add_nc_u32_e32 v4, 0x200, v4
	s_and_not1_b32 exec_lo, exec_lo, s1
	s_cbranch_execnz .LBB24_44
.LBB24_45:
	s_or_b32 exec_lo, exec_lo, s0
	v_dual_mov_b32 v72, 0 :: v_dual_bitop2_b32 v95, 3, v0 bitop3:0x40
	v_dual_mov_b32 v75, 0 :: v_dual_mov_b32 v74, 0
	v_dual_mov_b32 v77, 0 :: v_dual_mov_b32 v76, 0
	;; [unrolled: 1-line block ×7, first 2 shown]
	s_wait_dscnt 0x0
	s_barrier_signal -1
	s_barrier_wait -1
	s_and_saveexec_b32 s5, s3
	s_cbranch_execz .LBB24_83
; %bb.46:
	s_abs_i32 s26, s10
	v_dual_mov_b32 v71, 0 :: v_dual_bitop2_b32 v96, 12, v40 bitop3:0x40
	s_cvt_f32_u32 s0, s26
	v_dual_lshlrev_b32 v4, 4, v0 :: v_dual_lshlrev_b32 v6, 4, v95
	s_ashr_i32 s15, s14, 31
	s_delay_alu instid0(SALU_CYCLE_1) | instskip(SKIP_1) | instid1(VALU_DEP_2)
	v_rcp_iflag_f32_e32 v3, s0
	v_and_b32_e32 v2, 0x7c, v41
	v_and_b32_e32 v4, 0x1f0, v4
	v_mov_b32_e32 v5, v71
	s_lshl_b64 s[0:1], s[22:23], 2
	s_lshl_b64 s[14:15], s[14:15], 2
	v_lshl_or_b32 v6, v1, 6, v6
	v_readfirstlane_b32 s3, v3
	v_mov_b32_e32 v3, v71
	s_add_nc_u64 s[0:1], s[20:21], s[0:1]
	s_wait_kmcnt 0x0
	s_add_nc_u64 s[14:15], s[24:25], s[14:15]
	s_sub_co_i32 s4, 0, s26
	s_mul_f32 s3, s3, 0x4f7ffffe
	v_add_nc_u64_e32 v[88:89], s[14:15], v[4:5]
	v_add_nc_u64_e32 v[90:91], s[0:1], v[2:3]
	v_dual_mov_b32 v98, v1 :: v_dual_add_nc_u32 v97, 0x220, v6
	s_cvt_u32_f32 s3, s3
	v_dual_mov_b32 v86, v71 :: v_dual_mov_b32 v87, v71
	v_dual_mov_b32 v84, v71 :: v_dual_mov_b32 v85, v71
	s_delay_alu instid0(SALU_CYCLE_1)
	s_mul_i32 s4, s4, s3
	v_dual_mov_b32 v82, v71 :: v_dual_mov_b32 v83, v71
	v_dual_mov_b32 v80, v71 :: v_dual_mov_b32 v81, v71
	;; [unrolled: 1-line block ×6, first 2 shown]
	s_mov_b32 s11, 0
	s_mul_hi_u32 s4, s3, s4
	s_sub_co_i32 s27, s8, s9
	s_ashr_i32 s9, s13, 31
	s_mov_b32 s8, s13
	s_add_co_i32 s13, s35, -1
	s_mov_b32 s14, s31
	s_add_co_i32 s10, s3, s4
	s_mov_b32 s15, s11
	s_branch .LBB24_49
.LBB24_47:                              ;   in Loop: Header=BB24_49 Depth=1
	s_or_b32 exec_lo, exec_lo, s0
	s_wait_loadcnt_dscnt 0x200
	v_mul_f32_e32 v62, v6, v62
	s_wait_loadcnt 0x1
	v_mul_f32_e32 v66, v6, v66
	v_mul_f32_e32 v50, v6, v50
	;; [unrolled: 1-line block ×3, first 2 shown]
	v_dual_mul_f32 v38, v6, v38 :: v_dual_fmac_f32 v62, v7, v63
	s_delay_alu instid0(VALU_DEP_4) | instskip(NEXT) | instid1(VALU_DEP_4)
	v_dual_fmac_f32 v66, v7, v67 :: v_dual_mul_f32 v46, v6, v46
	v_fmac_f32_e32 v50, v7, v51
	s_delay_alu instid0(VALU_DEP_4) | instskip(NEXT) | instid1(VALU_DEP_3)
	v_dual_fmac_f32 v54, v7, v55 :: v_dual_mul_f32 v26, v6, v26
	v_dual_fmac_f32 v66, v8, v68 :: v_dual_mul_f32 v42, v6, v42
	s_delay_alu instid0(VALU_DEP_4) | instskip(NEXT) | instid1(VALU_DEP_4)
	v_fmac_f32_e32 v46, v7, v47
	v_fmac_f32_e32 v50, v8, v52
	s_delay_alu instid0(VALU_DEP_4) | instskip(SKIP_1) | instid1(VALU_DEP_3)
	v_dual_fmac_f32 v54, v8, v56 :: v_dual_mul_f32 v30, v6, v30
	v_mul_f32_e32 v22, v6, v22
	v_dual_mul_f32 v14, v6, v14 :: v_dual_fmac_f32 v50, v9, v53
	v_fmac_f32_e32 v46, v8, v48
	s_delay_alu instid0(VALU_DEP_4) | instskip(NEXT) | instid1(VALU_DEP_4)
	v_fmac_f32_e32 v54, v9, v57
	v_fmac_f32_e32 v22, v7, v23
	v_dual_fmac_f32 v30, v7, v31 :: v_dual_mul_f32 v23, v6, v18
	v_add_f32_e32 v77, v77, v50
	v_fmac_f32_e32 v46, v9, v49
	v_fmac_f32_e32 v66, v9, v69
	s_delay_alu instid0(VALU_DEP_4) | instskip(SKIP_4) | instid1(VALU_DEP_3)
	v_fmac_f32_e32 v30, v8, v32
	v_dual_fmac_f32 v62, v8, v64 :: v_dual_add_f32 v74, v74, v54
	v_fmac_f32_e32 v22, v8, v24
	v_dual_add_f32 v76, v76, v46 :: v_dual_fmac_f32 v42, v7, v43
	v_add_f32_e32 v72, v72, v66
	v_dual_mul_f32 v34, v6, v34 :: v_dual_fmac_f32 v22, v9, v25
	v_fmac_f32_e32 v26, v7, v27
	s_delay_alu instid0(VALU_DEP_4)
	v_dual_fmac_f32 v42, v8, v44 :: v_dual_fmac_f32 v23, v7, v19
	s_wait_loadcnt 0x0
	v_pk_mul_f32 v[18:19], v[6:7], v[58:59]
	v_add_f32_e32 v82, v82, v22
	v_dual_mul_f32 v22, v6, v2 :: v_dual_fmac_f32 v26, v8, v28
	v_dual_mul_f32 v10, v6, v10 :: v_dual_fmac_f32 v23, v8, v20
	v_fmac_f32_e32 v14, v7, v15
	s_delay_alu instid0(VALU_DEP_3) | instskip(SKIP_4) | instid1(VALU_DEP_3)
	v_fmac_f32_e32 v22, v7, v3
	v_pk_mul_f32 v[2:3], v[8:9], v[60:61]
	v_fmac_f32_e32 v30, v9, v33
	v_dual_fmac_f32 v34, v7, v35 :: v_dual_fmac_f32 v23, v9, v21
	v_dual_fmac_f32 v14, v8, v16 :: v_dual_add_f32 v6, v19, v18
	v_add_f32_e32 v80, v80, v30
	s_delay_alu instid0(VALU_DEP_3) | instskip(NEXT) | instid1(VALU_DEP_3)
	v_dual_fmac_f32 v34, v8, v36 :: v_dual_add_f32 v85, v85, v23
	v_fmac_f32_e32 v14, v9, v17
	s_delay_alu instid0(VALU_DEP_4) | instskip(NEXT) | instid1(VALU_DEP_3)
	v_dual_fmac_f32 v26, v9, v29 :: v_dual_add_f32 v2, v2, v6
	v_fmac_f32_e32 v34, v9, v37
	s_delay_alu instid0(VALU_DEP_3) | instskip(NEXT) | instid1(VALU_DEP_3)
	v_dual_fmac_f32 v38, v7, v39 :: v_dual_add_f32 v84, v84, v14
	v_add_f32_e32 v83, v83, v26
	s_delay_alu instid0(VALU_DEP_4) | instskip(NEXT) | instid1(VALU_DEP_3)
	v_add_f32_e32 v2, v3, v2
	v_dual_add_f32 v81, v81, v34 :: v_dual_fmac_f32 v38, v8, v40
	s_delay_alu instid0(VALU_DEP_2) | instskip(NEXT) | instid1(VALU_DEP_2)
	v_dual_add_f32 v73, v73, v2 :: v_dual_fmac_f32 v22, v8, v4
	v_fmac_f32_e32 v38, v9, v41
	v_fmac_f32_e32 v42, v9, v45
	s_delay_alu instid0(VALU_DEP_3) | instskip(NEXT) | instid1(VALU_DEP_3)
	v_fmac_f32_e32 v22, v9, v5
	v_dual_fmac_f32 v10, v7, v11 :: v_dual_add_f32 v78, v78, v38
	s_delay_alu instid0(VALU_DEP_3) | instskip(NEXT) | instid1(VALU_DEP_2)
	v_dual_fmac_f32 v62, v9, v65 :: v_dual_add_f32 v79, v79, v42
	v_dual_add_f32 v86, v86, v22 :: v_dual_fmac_f32 v10, v8, v12
	s_delay_alu instid0(VALU_DEP_1) | instskip(NEXT) | instid1(VALU_DEP_1)
	v_dual_add_f32 v75, v75, v62 :: v_dual_fmac_f32 v10, v9, v13
	v_add_f32_e32 v87, v87, v10
.LBB24_48:                              ;   in Loop: Header=BB24_49 Depth=1
	s_or_b32 exec_lo, exec_lo, s20
	v_add_nc_u32_e32 v98, 4, v98
	v_add_nc_u64_e32 v[90:91], 16, v[90:91]
	v_add_nc_u32_e32 v70, 64, v70
	v_add_nc_u32_e32 v97, 0x100, v97
	s_delay_alu instid0(VALU_DEP_4) | instskip(SKIP_1) | instid1(SALU_CYCLE_1)
	v_cmp_le_i32_e32 vcc_lo, s35, v98
	s_or_b32 s15, vcc_lo, s15
	s_and_not1_b32 exec_lo, exec_lo, s15
	s_cbranch_execz .LBB24_82
.LBB24_49:                              ; =>This Inner Loop Header: Depth=1
	v_mul_u64_e32 v[2:3], s[18:19], v[70:71]
	s_delay_alu instid0(VALU_DEP_1) | instskip(NEXT) | instid1(VALU_DEP_1)
	v_mul_lo_u32 v2, v3, s17
	v_dual_add_nc_u32 v4, 1, v3 :: v_dual_sub_nc_u32 v2, v70, v2
	s_delay_alu instid0(VALU_DEP_1) | instskip(SKIP_1) | instid1(VALU_DEP_2)
	v_subrev_nc_u32_e32 v5, s17, v2
	v_cmp_le_u32_e32 vcc_lo, s17, v2
	v_dual_cndmask_b32 v3, v3, v4 :: v_dual_cndmask_b32 v2, v2, v5
	s_delay_alu instid0(VALU_DEP_1) | instskip(NEXT) | instid1(VALU_DEP_2)
	v_add_nc_u32_e32 v4, 1, v3
	v_cmp_le_u32_e32 vcc_lo, s17, v2
	s_delay_alu instid0(VALU_DEP_2) | instskip(NEXT) | instid1(VALU_DEP_1)
	v_cndmask_b32_e32 v2, v3, v4, vcc_lo
	v_dual_mov_b32 v3, v71 :: v_dual_bitop2_b32 v2, s34, v2 bitop3:0x14
	s_delay_alu instid0(VALU_DEP_1) | instskip(NEXT) | instid1(VALU_DEP_1)
	v_subrev_nc_u32_e32 v6, s34, v2
	v_add_nc_u32_e32 v7, s33, v6
	v_cmp_lt_i32_e64 s0, s27, v6
	s_delay_alu instid0(VALU_DEP_2) | instskip(NEXT) | instid1(VALU_DEP_1)
	v_sub_nc_u32_e32 v2, 0, v7
	v_max_i32_e32 v2, v7, v2
	s_delay_alu instid0(VALU_DEP_1) | instskip(SKIP_1) | instid1(VALU_DEP_2)
	v_mul_u64_e32 v[4:5], s[10:11], v[2:3]
	v_ashrrev_i32_e32 v4, 31, v7
	v_mul_lo_u32 v3, v5, s26
	s_delay_alu instid0(VALU_DEP_1) | instskip(NEXT) | instid1(VALU_DEP_1)
	v_sub_nc_u32_e32 v2, v2, v3
	v_subrev_nc_u32_e32 v3, s26, v2
	v_cmp_le_u32_e32 vcc_lo, s26, v2
	s_delay_alu instid0(VALU_DEP_2) | instskip(NEXT) | instid1(VALU_DEP_1)
	v_cndmask_b32_e32 v2, v2, v3, vcc_lo
	v_subrev_nc_u32_e32 v3, s26, v2
	v_cmp_le_u32_e32 vcc_lo, s26, v2
	s_delay_alu instid0(VALU_DEP_2) | instskip(NEXT) | instid1(VALU_DEP_1)
	v_cndmask_b32_e32 v2, v2, v3, vcc_lo
	v_xor_b32_e32 v2, v2, v4
	s_delay_alu instid0(VALU_DEP_1) | instskip(NEXT) | instid1(VALU_DEP_1)
	v_sub_nc_u32_e32 v2, v2, v4
	v_cmp_eq_u32_e32 vcc_lo, 0, v2
	s_or_b32 s0, vcc_lo, s0
	s_delay_alu instid0(SALU_CYCLE_1)
	s_and_saveexec_b32 s20, s0
	s_cbranch_execz .LBB24_48
; %bb.50:                               ;   in Loop: Header=BB24_49 Depth=1
	global_load_b32 v2, v[90:91], off
	v_add_nc_u32_e32 v99, v96, v70
	ds_load_b128 v[6:9], v97
	v_cmp_eq_u32_e32 vcc_lo, s13, v98
	v_or_b32_e32 v101, 3, v99
	v_dual_add_nc_u32 v102, 1, v99 :: v_dual_bitop2_b32 v100, 2, v99 bitop3:0x54
	s_wait_loadcnt 0x0
	v_ashrrev_i32_e32 v3, 31, v2
	s_delay_alu instid0(VALU_DEP_1) | instskip(NEXT) | instid1(VALU_DEP_1)
	v_mul_u64_e32 v[2:3], s[8:9], v[2:3]
	v_lshl_add_u64 v[58:59], v[2:3], 2, v[88:89]
	global_load_b128 v[2:5], v[58:59], off
	s_wait_xcnt 0x0
	s_and_saveexec_b32 s1, vcc_lo
	s_cbranch_execnz .LBB24_66
; %bb.51:                               ;   in Loop: Header=BB24_49 Depth=1
	s_or_b32 exec_lo, exec_lo, s1
	global_load_b128 v[10:13], v[58:59], off offset:512
	s_wait_xcnt 0x0
	s_and_saveexec_b32 s1, vcc_lo
	s_cbranch_execnz .LBB24_67
.LBB24_52:                              ;   in Loop: Header=BB24_49 Depth=1
	s_or_b32 exec_lo, exec_lo, s1
	global_load_b128 v[14:17], v[58:59], off offset:1024
	s_wait_xcnt 0x0
	s_and_saveexec_b32 s1, vcc_lo
	s_cbranch_execnz .LBB24_68
.LBB24_53:                              ;   in Loop: Header=BB24_49 Depth=1
	s_or_b32 exec_lo, exec_lo, s1
	global_load_b128 v[18:21], v[58:59], off offset:1536
	s_wait_xcnt 0x0
	s_and_saveexec_b32 s1, vcc_lo
	s_cbranch_execnz .LBB24_69
.LBB24_54:                              ;   in Loop: Header=BB24_49 Depth=1
	s_or_b32 exec_lo, exec_lo, s1
	global_load_b128 v[22:25], v[58:59], off offset:2048
	s_wait_xcnt 0x0
	s_and_saveexec_b32 s1, vcc_lo
	s_cbranch_execnz .LBB24_70
.LBB24_55:                              ;   in Loop: Header=BB24_49 Depth=1
	s_or_b32 exec_lo, exec_lo, s1
	global_load_b128 v[26:29], v[58:59], off offset:2560
	s_wait_xcnt 0x0
	s_and_saveexec_b32 s1, vcc_lo
	s_cbranch_execnz .LBB24_71
.LBB24_56:                              ;   in Loop: Header=BB24_49 Depth=1
	s_or_b32 exec_lo, exec_lo, s1
	global_load_b128 v[30:33], v[58:59], off offset:3072
	s_wait_xcnt 0x0
	s_and_saveexec_b32 s1, vcc_lo
	s_cbranch_execnz .LBB24_72
.LBB24_57:                              ;   in Loop: Header=BB24_49 Depth=1
	s_or_b32 exec_lo, exec_lo, s1
	global_load_b128 v[34:37], v[58:59], off offset:3584
	s_wait_xcnt 0x0
	s_and_saveexec_b32 s1, vcc_lo
	s_cbranch_execnz .LBB24_73
.LBB24_58:                              ;   in Loop: Header=BB24_49 Depth=1
	s_or_b32 exec_lo, exec_lo, s1
	global_load_b128 v[38:41], v[58:59], off offset:4096
	s_wait_xcnt 0x0
	s_and_saveexec_b32 s1, vcc_lo
	s_cbranch_execnz .LBB24_74
.LBB24_59:                              ;   in Loop: Header=BB24_49 Depth=1
	s_or_b32 exec_lo, exec_lo, s1
	global_load_b128 v[42:45], v[58:59], off offset:4608
	s_wait_xcnt 0x0
	s_and_saveexec_b32 s1, vcc_lo
	s_cbranch_execnz .LBB24_75
.LBB24_60:                              ;   in Loop: Header=BB24_49 Depth=1
	s_or_b32 exec_lo, exec_lo, s1
	global_load_b128 v[46:49], v[58:59], off offset:5120
	s_wait_xcnt 0x0
	s_and_saveexec_b32 s1, vcc_lo
	s_cbranch_execnz .LBB24_76
.LBB24_61:                              ;   in Loop: Header=BB24_49 Depth=1
	s_or_b32 exec_lo, exec_lo, s1
	global_load_b128 v[50:53], v[58:59], off offset:5632
	s_wait_xcnt 0x0
	s_and_saveexec_b32 s1, vcc_lo
	s_cbranch_execnz .LBB24_77
.LBB24_62:                              ;   in Loop: Header=BB24_49 Depth=1
	s_or_b32 exec_lo, exec_lo, s1
	global_load_b128 v[54:57], v[58:59], off offset:6144
	s_wait_xcnt 0x0
	s_and_saveexec_b32 s1, vcc_lo
	s_cbranch_execnz .LBB24_78
.LBB24_63:                              ;   in Loop: Header=BB24_49 Depth=1
	s_or_b32 exec_lo, exec_lo, s1
	global_load_b128 v[62:65], v[58:59], off offset:6656
	s_wait_xcnt 0x0
	s_and_saveexec_b32 s21, vcc_lo
	s_cbranch_execnz .LBB24_79
.LBB24_64:                              ;   in Loop: Header=BB24_49 Depth=1
	s_or_b32 exec_lo, exec_lo, s21
	global_load_b128 v[66:69], v[58:59], off offset:7168
	s_wait_xcnt 0x0
	s_and_saveexec_b32 s1, vcc_lo
	s_cbranch_execnz .LBB24_80
.LBB24_65:                              ;   in Loop: Header=BB24_49 Depth=1
	s_or_b32 exec_lo, exec_lo, s1
	global_load_b128 v[58:61], v[58:59], off offset:7680
	s_wait_xcnt 0x0
	s_and_saveexec_b32 s0, vcc_lo
	s_cbranch_execz .LBB24_47
	s_branch .LBB24_81
.LBB24_66:                              ;   in Loop: Header=BB24_49 Depth=1
	v_cmp_gt_i32_e64 s0, s14, v102
	s_wait_loadcnt 0x0
	s_delay_alu instid0(VALU_DEP_1) | instskip(SKIP_1) | instid1(VALU_DEP_1)
	v_cndmask_b32_e64 v3, 0, v3, s0
	v_cmp_gt_i32_e64 s0, s31, v99
	v_cndmask_b32_e64 v2, 0, v2, s0
	v_cmp_gt_i32_e64 s0, s14, v101
	s_delay_alu instid0(VALU_DEP_1) | instskip(SKIP_1) | instid1(VALU_DEP_1)
	v_cndmask_b32_e64 v5, 0, v5, s0
	v_cmp_gt_i32_e64 s0, s31, v100
	v_cndmask_b32_e64 v4, 0, v4, s0
	s_or_b32 exec_lo, exec_lo, s1
	global_load_b128 v[10:13], v[58:59], off offset:512
	s_wait_xcnt 0x0
	s_and_saveexec_b32 s1, vcc_lo
	s_cbranch_execz .LBB24_52
.LBB24_67:                              ;   in Loop: Header=BB24_49 Depth=1
	v_cmp_gt_i32_e64 s0, s14, v102
	s_wait_loadcnt 0x0
	s_delay_alu instid0(VALU_DEP_1) | instskip(SKIP_1) | instid1(VALU_DEP_1)
	v_cndmask_b32_e64 v11, 0, v11, s0
	v_cmp_gt_i32_e64 s0, s31, v99
	v_cndmask_b32_e64 v10, 0, v10, s0
	v_cmp_gt_i32_e64 s0, s14, v101
	s_delay_alu instid0(VALU_DEP_1) | instskip(SKIP_1) | instid1(VALU_DEP_1)
	v_cndmask_b32_e64 v13, 0, v13, s0
	v_cmp_gt_i32_e64 s0, s31, v100
	v_cndmask_b32_e64 v12, 0, v12, s0
	s_or_b32 exec_lo, exec_lo, s1
	global_load_b128 v[14:17], v[58:59], off offset:1024
	s_wait_xcnt 0x0
	s_and_saveexec_b32 s1, vcc_lo
	s_cbranch_execz .LBB24_53
.LBB24_68:                              ;   in Loop: Header=BB24_49 Depth=1
	v_cmp_gt_i32_e64 s0, s14, v102
	s_wait_loadcnt 0x0
	s_delay_alu instid0(VALU_DEP_1) | instskip(SKIP_1) | instid1(VALU_DEP_1)
	v_cndmask_b32_e64 v15, 0, v15, s0
	v_cmp_gt_i32_e64 s0, s31, v99
	v_cndmask_b32_e64 v14, 0, v14, s0
	v_cmp_gt_i32_e64 s0, s14, v101
	s_delay_alu instid0(VALU_DEP_1) | instskip(SKIP_1) | instid1(VALU_DEP_1)
	v_cndmask_b32_e64 v17, 0, v17, s0
	v_cmp_gt_i32_e64 s0, s31, v100
	v_cndmask_b32_e64 v16, 0, v16, s0
	s_or_b32 exec_lo, exec_lo, s1
	global_load_b128 v[18:21], v[58:59], off offset:1536
	s_wait_xcnt 0x0
	s_and_saveexec_b32 s1, vcc_lo
	s_cbranch_execz .LBB24_54
.LBB24_69:                              ;   in Loop: Header=BB24_49 Depth=1
	v_cmp_gt_i32_e64 s0, s14, v102
	s_wait_loadcnt 0x0
	s_delay_alu instid0(VALU_DEP_1) | instskip(SKIP_1) | instid1(VALU_DEP_1)
	v_cndmask_b32_e64 v19, 0, v19, s0
	v_cmp_gt_i32_e64 s0, s31, v99
	v_cndmask_b32_e64 v18, 0, v18, s0
	v_cmp_gt_i32_e64 s0, s14, v101
	s_delay_alu instid0(VALU_DEP_1) | instskip(SKIP_1) | instid1(VALU_DEP_1)
	v_cndmask_b32_e64 v21, 0, v21, s0
	v_cmp_gt_i32_e64 s0, s31, v100
	v_cndmask_b32_e64 v20, 0, v20, s0
	s_or_b32 exec_lo, exec_lo, s1
	global_load_b128 v[22:25], v[58:59], off offset:2048
	s_wait_xcnt 0x0
	s_and_saveexec_b32 s1, vcc_lo
	s_cbranch_execz .LBB24_55
.LBB24_70:                              ;   in Loop: Header=BB24_49 Depth=1
	v_cmp_gt_i32_e64 s0, s14, v102
	s_wait_loadcnt 0x0
	s_delay_alu instid0(VALU_DEP_1) | instskip(SKIP_1) | instid1(VALU_DEP_1)
	v_cndmask_b32_e64 v23, 0, v23, s0
	v_cmp_gt_i32_e64 s0, s31, v99
	v_cndmask_b32_e64 v22, 0, v22, s0
	v_cmp_gt_i32_e64 s0, s14, v101
	s_delay_alu instid0(VALU_DEP_1) | instskip(SKIP_1) | instid1(VALU_DEP_1)
	v_cndmask_b32_e64 v25, 0, v25, s0
	v_cmp_gt_i32_e64 s0, s31, v100
	v_cndmask_b32_e64 v24, 0, v24, s0
	s_or_b32 exec_lo, exec_lo, s1
	global_load_b128 v[26:29], v[58:59], off offset:2560
	s_wait_xcnt 0x0
	s_and_saveexec_b32 s1, vcc_lo
	s_cbranch_execz .LBB24_56
.LBB24_71:                              ;   in Loop: Header=BB24_49 Depth=1
	v_cmp_gt_i32_e64 s0, s14, v102
	s_wait_loadcnt 0x0
	s_delay_alu instid0(VALU_DEP_1) | instskip(SKIP_1) | instid1(VALU_DEP_1)
	v_cndmask_b32_e64 v27, 0, v27, s0
	v_cmp_gt_i32_e64 s0, s31, v99
	v_cndmask_b32_e64 v26, 0, v26, s0
	v_cmp_gt_i32_e64 s0, s14, v101
	s_delay_alu instid0(VALU_DEP_1) | instskip(SKIP_1) | instid1(VALU_DEP_1)
	v_cndmask_b32_e64 v29, 0, v29, s0
	v_cmp_gt_i32_e64 s0, s31, v100
	v_cndmask_b32_e64 v28, 0, v28, s0
	s_or_b32 exec_lo, exec_lo, s1
	global_load_b128 v[30:33], v[58:59], off offset:3072
	s_wait_xcnt 0x0
	s_and_saveexec_b32 s1, vcc_lo
	s_cbranch_execz .LBB24_57
.LBB24_72:                              ;   in Loop: Header=BB24_49 Depth=1
	v_cmp_gt_i32_e64 s0, s14, v102
	s_wait_loadcnt 0x0
	s_delay_alu instid0(VALU_DEP_1) | instskip(SKIP_1) | instid1(VALU_DEP_1)
	v_cndmask_b32_e64 v31, 0, v31, s0
	v_cmp_gt_i32_e64 s0, s31, v99
	v_cndmask_b32_e64 v30, 0, v30, s0
	v_cmp_gt_i32_e64 s0, s14, v101
	s_delay_alu instid0(VALU_DEP_1) | instskip(SKIP_1) | instid1(VALU_DEP_1)
	v_cndmask_b32_e64 v33, 0, v33, s0
	v_cmp_gt_i32_e64 s0, s31, v100
	v_cndmask_b32_e64 v32, 0, v32, s0
	s_or_b32 exec_lo, exec_lo, s1
	global_load_b128 v[34:37], v[58:59], off offset:3584
	s_wait_xcnt 0x0
	s_and_saveexec_b32 s1, vcc_lo
	s_cbranch_execz .LBB24_58
.LBB24_73:                              ;   in Loop: Header=BB24_49 Depth=1
	v_cmp_gt_i32_e64 s0, s14, v102
	s_wait_loadcnt 0x0
	s_delay_alu instid0(VALU_DEP_1) | instskip(SKIP_1) | instid1(VALU_DEP_1)
	v_cndmask_b32_e64 v35, 0, v35, s0
	v_cmp_gt_i32_e64 s0, s31, v99
	v_cndmask_b32_e64 v34, 0, v34, s0
	v_cmp_gt_i32_e64 s0, s14, v101
	s_delay_alu instid0(VALU_DEP_1) | instskip(SKIP_1) | instid1(VALU_DEP_1)
	v_cndmask_b32_e64 v37, 0, v37, s0
	v_cmp_gt_i32_e64 s0, s31, v100
	v_cndmask_b32_e64 v36, 0, v36, s0
	s_or_b32 exec_lo, exec_lo, s1
	global_load_b128 v[38:41], v[58:59], off offset:4096
	s_wait_xcnt 0x0
	s_and_saveexec_b32 s1, vcc_lo
	s_cbranch_execz .LBB24_59
.LBB24_74:                              ;   in Loop: Header=BB24_49 Depth=1
	v_cmp_gt_i32_e64 s0, s14, v102
	s_wait_loadcnt 0x0
	s_delay_alu instid0(VALU_DEP_1) | instskip(SKIP_1) | instid1(VALU_DEP_1)
	v_cndmask_b32_e64 v39, 0, v39, s0
	v_cmp_gt_i32_e64 s0, s31, v99
	v_cndmask_b32_e64 v38, 0, v38, s0
	v_cmp_gt_i32_e64 s0, s14, v101
	s_delay_alu instid0(VALU_DEP_1) | instskip(SKIP_1) | instid1(VALU_DEP_1)
	v_cndmask_b32_e64 v41, 0, v41, s0
	v_cmp_gt_i32_e64 s0, s31, v100
	v_cndmask_b32_e64 v40, 0, v40, s0
	s_or_b32 exec_lo, exec_lo, s1
	global_load_b128 v[42:45], v[58:59], off offset:4608
	s_wait_xcnt 0x0
	s_and_saveexec_b32 s1, vcc_lo
	s_cbranch_execz .LBB24_60
.LBB24_75:                              ;   in Loop: Header=BB24_49 Depth=1
	v_cmp_gt_i32_e64 s0, s14, v102
	s_wait_loadcnt 0x0
	s_delay_alu instid0(VALU_DEP_1) | instskip(SKIP_1) | instid1(VALU_DEP_1)
	v_cndmask_b32_e64 v43, 0, v43, s0
	v_cmp_gt_i32_e64 s0, s31, v99
	v_cndmask_b32_e64 v42, 0, v42, s0
	v_cmp_gt_i32_e64 s0, s14, v101
	s_delay_alu instid0(VALU_DEP_1) | instskip(SKIP_1) | instid1(VALU_DEP_1)
	v_cndmask_b32_e64 v45, 0, v45, s0
	v_cmp_gt_i32_e64 s0, s31, v100
	v_cndmask_b32_e64 v44, 0, v44, s0
	s_or_b32 exec_lo, exec_lo, s1
	global_load_b128 v[46:49], v[58:59], off offset:5120
	s_wait_xcnt 0x0
	s_and_saveexec_b32 s1, vcc_lo
	s_cbranch_execz .LBB24_61
.LBB24_76:                              ;   in Loop: Header=BB24_49 Depth=1
	v_cmp_gt_i32_e64 s0, s14, v102
	s_wait_loadcnt 0x0
	s_delay_alu instid0(VALU_DEP_1) | instskip(SKIP_1) | instid1(VALU_DEP_1)
	v_cndmask_b32_e64 v47, 0, v47, s0
	v_cmp_gt_i32_e64 s0, s31, v99
	v_cndmask_b32_e64 v46, 0, v46, s0
	v_cmp_gt_i32_e64 s0, s14, v101
	s_delay_alu instid0(VALU_DEP_1) | instskip(SKIP_1) | instid1(VALU_DEP_1)
	v_cndmask_b32_e64 v49, 0, v49, s0
	v_cmp_gt_i32_e64 s0, s31, v100
	v_cndmask_b32_e64 v48, 0, v48, s0
	s_or_b32 exec_lo, exec_lo, s1
	global_load_b128 v[50:53], v[58:59], off offset:5632
	s_wait_xcnt 0x0
	s_and_saveexec_b32 s1, vcc_lo
	s_cbranch_execz .LBB24_62
.LBB24_77:                              ;   in Loop: Header=BB24_49 Depth=1
	v_cmp_gt_i32_e64 s0, s14, v102
	s_wait_loadcnt 0x0
	s_delay_alu instid0(VALU_DEP_1) | instskip(SKIP_1) | instid1(VALU_DEP_1)
	v_cndmask_b32_e64 v51, 0, v51, s0
	v_cmp_gt_i32_e64 s0, s31, v99
	v_cndmask_b32_e64 v50, 0, v50, s0
	v_cmp_gt_i32_e64 s0, s14, v101
	s_delay_alu instid0(VALU_DEP_1) | instskip(SKIP_1) | instid1(VALU_DEP_1)
	v_cndmask_b32_e64 v53, 0, v53, s0
	v_cmp_gt_i32_e64 s0, s31, v100
	v_cndmask_b32_e64 v52, 0, v52, s0
	s_or_b32 exec_lo, exec_lo, s1
	global_load_b128 v[54:57], v[58:59], off offset:6144
	s_wait_xcnt 0x0
	s_and_saveexec_b32 s1, vcc_lo
	s_cbranch_execz .LBB24_63
.LBB24_78:                              ;   in Loop: Header=BB24_49 Depth=1
	v_cmp_gt_i32_e64 s0, s14, v102
	s_wait_loadcnt 0x0
	s_delay_alu instid0(VALU_DEP_1) | instskip(SKIP_1) | instid1(VALU_DEP_1)
	v_cndmask_b32_e64 v55, 0, v55, s0
	v_cmp_gt_i32_e64 s0, s31, v99
	v_cndmask_b32_e64 v54, 0, v54, s0
	v_cmp_gt_i32_e64 s0, s14, v101
	s_delay_alu instid0(VALU_DEP_1) | instskip(SKIP_1) | instid1(VALU_DEP_1)
	v_cndmask_b32_e64 v57, 0, v57, s0
	v_cmp_gt_i32_e64 s0, s31, v100
	v_cndmask_b32_e64 v56, 0, v56, s0
	s_or_b32 exec_lo, exec_lo, s1
	global_load_b128 v[62:65], v[58:59], off offset:6656
	s_wait_xcnt 0x0
	s_and_saveexec_b32 s21, vcc_lo
	s_cbranch_execz .LBB24_64
.LBB24_79:                              ;   in Loop: Header=BB24_49 Depth=1
	v_cmp_gt_i32_e64 s0, s14, v102
	v_cmp_gt_i32_e64 s1, s31, v99
	;; [unrolled: 1-line block ×4, first 2 shown]
	s_wait_loadcnt 0x0
	s_delay_alu instid0(VALU_DEP_3) | instskip(NEXT) | instid1(VALU_DEP_2)
	v_dual_cndmask_b32 v63, 0, v63, s0 :: v_dual_cndmask_b32 v62, 0, v62, s1
	v_dual_cndmask_b32 v65, 0, v65, s3 :: v_dual_cndmask_b32 v64, 0, v64, s4
	s_or_b32 exec_lo, exec_lo, s21
	global_load_b128 v[66:69], v[58:59], off offset:7168
	s_wait_xcnt 0x0
	s_and_saveexec_b32 s1, vcc_lo
	s_cbranch_execz .LBB24_65
.LBB24_80:                              ;   in Loop: Header=BB24_49 Depth=1
	v_cmp_gt_i32_e64 s0, s14, v102
	s_wait_loadcnt 0x0
	s_delay_alu instid0(VALU_DEP_1) | instskip(SKIP_1) | instid1(VALU_DEP_1)
	v_cndmask_b32_e64 v67, 0, v67, s0
	v_cmp_gt_i32_e64 s0, s31, v99
	v_cndmask_b32_e64 v66, 0, v66, s0
	v_cmp_gt_i32_e64 s0, s14, v101
	s_delay_alu instid0(VALU_DEP_1) | instskip(SKIP_1) | instid1(VALU_DEP_1)
	v_cndmask_b32_e64 v69, 0, v69, s0
	v_cmp_gt_i32_e64 s0, s31, v100
	v_cndmask_b32_e64 v68, 0, v68, s0
	s_or_b32 exec_lo, exec_lo, s1
	global_load_b128 v[58:61], v[58:59], off offset:7680
	s_wait_xcnt 0x0
	s_and_saveexec_b32 s0, vcc_lo
	s_cbranch_execz .LBB24_47
.LBB24_81:                              ;   in Loop: Header=BB24_49 Depth=1
	v_cmp_gt_i32_e32 vcc_lo, s14, v102
	s_wait_loadcnt 0x0
	v_cndmask_b32_e32 v59, 0, v59, vcc_lo
	v_cmp_gt_i32_e32 vcc_lo, s31, v99
	v_cndmask_b32_e32 v58, 0, v58, vcc_lo
	v_cmp_gt_i32_e32 vcc_lo, s14, v101
	;; [unrolled: 2-line block ×3, first 2 shown]
	v_cndmask_b32_e32 v60, 0, v60, vcc_lo
	s_branch .LBB24_47
.LBB24_82:
	s_or_b32 exec_lo, exec_lo, s15
.LBB24_83:
	s_delay_alu instid0(SALU_CYCLE_1)
	s_or_b32 exec_lo, exec_lo, s5
	ds_bpermute_b32 v2, v93, v86
	ds_bpermute_b32 v3, v93, v87
	;; [unrolled: 1-line block ×16, first 2 shown]
	v_and_b32_e32 v40, 0x3c3, v0
	s_mov_b32 s0, exec_lo
	s_wait_dscnt 0x0
	s_barrier_signal -1
	s_barrier_wait -1
	v_pk_add_f32 v[2:3], v[86:87], v[2:3]
	v_pk_add_f32 v[4:5], v[84:85], v[4:5]
	;; [unrolled: 1-line block ×3, first 2 shown]
	ds_bpermute_b32 v20, v94, v2
	v_pk_add_f32 v[8:9], v[80:81], v[8:9]
	ds_bpermute_b32 v21, v94, v3
	v_pk_add_f32 v[26:27], v[78:79], v[10:11]
	;; [unrolled: 2-line block ×4, first 2 shown]
	ds_bpermute_b32 v24, v94, v6
	ds_bpermute_b32 v25, v94, v7
	;; [unrolled: 1-line block ×10, first 2 shown]
	v_pk_add_f32 v[16:17], v[72:73], v[16:17]
	s_wait_dscnt 0xc
	v_pk_add_f32 v[14:15], v[2:3], v[20:21]
	ds_bpermute_b32 v18, v94, v16
	ds_bpermute_b32 v19, v94, v17
	v_and_b32_e32 v20, 28, v92
	s_wait_dscnt 0xc
	v_pk_add_f32 v[12:13], v[4:5], v[22:23]
	s_wait_dscnt 0xa
	v_pk_add_f32 v[10:11], v[6:7], v[24:25]
	;; [unrolled: 2-line block ×6, first 2 shown]
	v_cmpx_ne_u32_e32 64, v40
	s_xor_b32 s0, exec_lo, s0
	s_delay_alu instid0(SALU_CYCLE_1)
	s_or_saveexec_b32 s0, s0
	s_wait_dscnt 0x0
	v_pk_add_f32 v[16:17], v[16:17], v[18:19]
	v_dual_lshrrev_b32 v19, 2, v92 :: v_dual_lshlrev_b32 v1, 9, v1
	v_add_nc_u32_e32 v18, 0x220, v20
	s_xor_b32 exec_lo, exec_lo, s0
	s_cbranch_execz .LBB24_85
; %bb.84:
	s_delay_alu instid0(VALU_DEP_1) | instskip(NEXT) | instid1(VALU_DEP_1)
	v_add_nc_u32_e32 v20, v18, v1
	v_add_nc_u32_e32 v21, 0xfffffc00, v20
	;; [unrolled: 1-line block ×9, first 2 shown]
	ds_store_b32 v21, v14
	ds_store_b32 v22, v15
	;; [unrolled: 1-line block ×8, first 2 shown]
	v_add_nc_u32_e32 v21, 0xfffffd00, v20
	v_add_nc_u32_e32 v22, 0xfffffd20, v20
	;; [unrolled: 1-line block ×8, first 2 shown]
	ds_store_b32 v21, v6
	ds_store_b32 v22, v7
	;; [unrolled: 1-line block ×8, first 2 shown]
.LBB24_85:
	s_or_b32 exec_lo, exec_lo, s0
	v_lshlrev_b32_e32 v19, 2, v19
	v_cmp_eq_u32_e32 vcc_lo, 0, v95
	s_wait_dscnt 0x0
	s_barrier_signal -1
	s_barrier_wait -1
	v_add3_u32 v1, 0x220, v1, v19
	s_and_saveexec_b32 s0, s2
	s_cbranch_execz .LBB24_104
; %bb.86:
	s_and_saveexec_b32 s1, vcc_lo
	s_cbranch_execnz .LBB24_128
; %bb.87:
	s_or_b32 exec_lo, exec_lo, s1
	s_and_saveexec_b32 s1, vcc_lo
	s_cbranch_execnz .LBB24_129
.LBB24_88:
	s_or_b32 exec_lo, exec_lo, s1
	s_and_saveexec_b32 s1, vcc_lo
	s_cbranch_execnz .LBB24_130
.LBB24_89:
	s_or_b32 exec_lo, exec_lo, s1
	s_and_saveexec_b32 s1, vcc_lo
	s_cbranch_execnz .LBB24_131
.LBB24_90:
	s_or_b32 exec_lo, exec_lo, s1
	s_and_saveexec_b32 s1, vcc_lo
	s_cbranch_execnz .LBB24_132
.LBB24_91:
	s_or_b32 exec_lo, exec_lo, s1
	s_and_saveexec_b32 s1, vcc_lo
	s_cbranch_execnz .LBB24_133
.LBB24_92:
	s_or_b32 exec_lo, exec_lo, s1
	s_and_saveexec_b32 s1, vcc_lo
	s_cbranch_execnz .LBB24_134
.LBB24_93:
	s_or_b32 exec_lo, exec_lo, s1
	s_and_saveexec_b32 s1, vcc_lo
	s_cbranch_execnz .LBB24_135
.LBB24_94:
	s_or_b32 exec_lo, exec_lo, s1
	s_and_saveexec_b32 s1, vcc_lo
	s_cbranch_execnz .LBB24_136
.LBB24_95:
	s_or_b32 exec_lo, exec_lo, s1
	s_and_saveexec_b32 s1, vcc_lo
	s_cbranch_execnz .LBB24_137
.LBB24_96:
	s_or_b32 exec_lo, exec_lo, s1
	s_and_saveexec_b32 s1, vcc_lo
	s_cbranch_execnz .LBB24_138
.LBB24_97:
	s_or_b32 exec_lo, exec_lo, s1
	s_and_saveexec_b32 s1, vcc_lo
	s_cbranch_execnz .LBB24_139
.LBB24_98:
	s_or_b32 exec_lo, exec_lo, s1
	s_and_saveexec_b32 s1, vcc_lo
	s_cbranch_execnz .LBB24_140
.LBB24_99:
	s_or_b32 exec_lo, exec_lo, s1
	s_and_saveexec_b32 s1, vcc_lo
	s_cbranch_execnz .LBB24_141
.LBB24_100:
	s_or_b32 exec_lo, exec_lo, s1
	s_and_saveexec_b32 s1, vcc_lo
	s_cbranch_execnz .LBB24_142
.LBB24_101:
	s_or_b32 exec_lo, exec_lo, s1
	s_and_saveexec_b32 s1, vcc_lo
	s_cbranch_execz .LBB24_103
.LBB24_102:
	ds_load_b32 v19, v1 offset:480
	s_wait_dscnt 0x0
	v_add_f32_e32 v17, v17, v19
.LBB24_103:
	s_or_b32 exec_lo, exec_lo, s1
.LBB24_104:
	s_delay_alu instid0(SALU_CYCLE_1) | instskip(SKIP_4) | instid1(VALU_DEP_1)
	s_or_b32 exec_lo, exec_lo, s0
	v_and_b32_e32 v19, 0x3e3, v0
	s_mov_b32 s1, exec_lo
	s_barrier_signal -1
	s_barrier_wait -1
	v_cmpx_eq_u32_e32 32, v19
	s_cbranch_execz .LBB24_106
; %bb.105:
	ds_store_2addr_b32 v18, v14, v15 offset1:8
	ds_store_2addr_b32 v18, v12, v13 offset0:16 offset1:24
	ds_store_2addr_b32 v18, v10, v11 offset0:32 offset1:40
	;; [unrolled: 1-line block ×7, first 2 shown]
.LBB24_106:
	s_or_b32 exec_lo, exec_lo, s1
	s_delay_alu instid0(SALU_CYCLE_1)
	s_mov_b32 s1, exec_lo
	s_wait_dscnt 0x0
	s_barrier_signal -1
	s_barrier_wait -1
	v_cmpx_gt_u32_e32 32, v0
	s_cbranch_execz .LBB24_125
; %bb.107:
	s_and_saveexec_b32 s0, vcc_lo
	s_cbranch_execnz .LBB24_143
; %bb.108:
	s_or_b32 exec_lo, exec_lo, s0
	s_and_saveexec_b32 s0, vcc_lo
	s_cbranch_execnz .LBB24_144
.LBB24_109:
	s_or_b32 exec_lo, exec_lo, s0
	s_and_saveexec_b32 s0, vcc_lo
	s_cbranch_execnz .LBB24_145
.LBB24_110:
	s_or_b32 exec_lo, exec_lo, s0
	s_and_saveexec_b32 s0, vcc_lo
	s_cbranch_execnz .LBB24_146
.LBB24_111:
	s_or_b32 exec_lo, exec_lo, s0
	s_and_saveexec_b32 s0, vcc_lo
	s_cbranch_execnz .LBB24_147
.LBB24_112:
	s_or_b32 exec_lo, exec_lo, s0
	s_and_saveexec_b32 s0, vcc_lo
	s_cbranch_execnz .LBB24_148
.LBB24_113:
	s_or_b32 exec_lo, exec_lo, s0
	s_and_saveexec_b32 s0, vcc_lo
	s_cbranch_execnz .LBB24_149
.LBB24_114:
	s_or_b32 exec_lo, exec_lo, s0
	s_and_saveexec_b32 s0, vcc_lo
	s_cbranch_execnz .LBB24_150
.LBB24_115:
	s_or_b32 exec_lo, exec_lo, s0
	s_and_saveexec_b32 s0, vcc_lo
	s_cbranch_execnz .LBB24_151
.LBB24_116:
	s_or_b32 exec_lo, exec_lo, s0
	s_and_saveexec_b32 s0, vcc_lo
	s_cbranch_execnz .LBB24_152
.LBB24_117:
	s_or_b32 exec_lo, exec_lo, s0
	s_and_saveexec_b32 s0, vcc_lo
	s_cbranch_execnz .LBB24_153
.LBB24_118:
	s_or_b32 exec_lo, exec_lo, s0
	s_and_saveexec_b32 s0, vcc_lo
	s_cbranch_execnz .LBB24_154
.LBB24_119:
	s_or_b32 exec_lo, exec_lo, s0
	s_and_saveexec_b32 s0, vcc_lo
	s_cbranch_execnz .LBB24_155
.LBB24_120:
	s_or_b32 exec_lo, exec_lo, s0
	s_and_saveexec_b32 s0, vcc_lo
	s_cbranch_execnz .LBB24_156
.LBB24_121:
	s_or_b32 exec_lo, exec_lo, s0
	s_and_saveexec_b32 s0, vcc_lo
	s_cbranch_execnz .LBB24_157
.LBB24_122:
	s_or_b32 exec_lo, exec_lo, s0
	s_and_saveexec_b32 s0, vcc_lo
	s_cbranch_execz .LBB24_124
.LBB24_123:
	ds_load_b32 v1, v1 offset:480
	s_wait_dscnt 0x0
	v_add_f32_e32 v17, v17, v1
.LBB24_124:
	s_or_b32 exec_lo, exec_lo, s0
.LBB24_125:
	s_delay_alu instid0(SALU_CYCLE_1)
	s_or_b32 exec_lo, exec_lo, s1
	s_mov_b32 s1, 0
	s_barrier_signal -1
	s_barrier_wait -1
	s_mov_b32 s0, exec_lo
	v_cmpx_eq_u32_e32 0, v19
	s_cbranch_execz .LBB24_127
; %bb.126:
	s_mul_i32 s0, s30, s12
	s_mul_i32 s2, s12, s16
	;; [unrolled: 1-line block ×3, first 2 shown]
	s_lshr_b32 s8, ttmp7, 16
	s_lshl_b32 s4, s0, 7
	s_bfe_u32 s0, ttmp6, 0x40014
	s_ashr_i32 s5, s4, 31
	s_add_co_i32 s0, s0, 1
	s_ashr_i32 s3, s2, 31
	s_mul_i32 s0, s8, s0
	s_bfe_u32 s9, ttmp6, 0x40008
	s_lshl_b64 s[4:5], s[4:5], 2
	s_lshl_b64 s[2:3], s[2:3], 2
	s_add_co_i32 s9, s9, s0
	s_cmp_eq_u32 s28, 0
	s_wait_kmcnt 0x0
	s_add_nc_u64 s[4:5], s[6:7], s[4:5]
	s_cselect_b32 s0, s8, s9
	s_add_nc_u64 s[2:3], s[4:5], s[2:3]
	s_lshl_b32 s0, s0, 9
	s_delay_alu instid0(SALU_CYCLE_1)
	s_add_nc_u64 s[0:1], s[2:3], s[0:1]
	s_clause 0xf
	global_store_b32 v0, v14, s[0:1]
	global_store_b32 v0, v15, s[0:1] offset:32
	global_store_b32 v0, v12, s[0:1] offset:64
	;; [unrolled: 1-line block ×15, first 2 shown]
.LBB24_127:
	s_sendmsg sendmsg(MSG_DEALLOC_VGPRS)
	s_endpgm
.LBB24_128:
	ds_load_b32 v19, v1
	s_wait_dscnt 0x0
	v_add_f32_e32 v14, v14, v19
	s_or_b32 exec_lo, exec_lo, s1
	s_and_saveexec_b32 s1, vcc_lo
	s_cbranch_execz .LBB24_88
.LBB24_129:
	ds_load_b32 v19, v1 offset:32
	s_wait_dscnt 0x0
	v_add_f32_e32 v15, v15, v19
	s_or_b32 exec_lo, exec_lo, s1
	s_and_saveexec_b32 s1, vcc_lo
	s_cbranch_execz .LBB24_89
.LBB24_130:
	ds_load_b32 v19, v1 offset:64
	s_wait_dscnt 0x0
	v_add_f32_e32 v12, v12, v19
	s_or_b32 exec_lo, exec_lo, s1
	s_and_saveexec_b32 s1, vcc_lo
	s_cbranch_execz .LBB24_90
.LBB24_131:
	ds_load_b32 v19, v1 offset:96
	s_wait_dscnt 0x0
	v_add_f32_e32 v13, v13, v19
	s_or_b32 exec_lo, exec_lo, s1
	s_and_saveexec_b32 s1, vcc_lo
	s_cbranch_execz .LBB24_91
.LBB24_132:
	ds_load_b32 v19, v1 offset:128
	s_wait_dscnt 0x0
	v_add_f32_e32 v10, v10, v19
	s_or_b32 exec_lo, exec_lo, s1
	s_and_saveexec_b32 s1, vcc_lo
	s_cbranch_execz .LBB24_92
.LBB24_133:
	ds_load_b32 v19, v1 offset:160
	s_wait_dscnt 0x0
	v_add_f32_e32 v11, v11, v19
	s_or_b32 exec_lo, exec_lo, s1
	s_and_saveexec_b32 s1, vcc_lo
	s_cbranch_execz .LBB24_93
.LBB24_134:
	ds_load_b32 v19, v1 offset:192
	s_wait_dscnt 0x0
	v_add_f32_e32 v8, v8, v19
	s_or_b32 exec_lo, exec_lo, s1
	s_and_saveexec_b32 s1, vcc_lo
	s_cbranch_execz .LBB24_94
.LBB24_135:
	ds_load_b32 v19, v1 offset:224
	s_wait_dscnt 0x0
	v_add_f32_e32 v9, v9, v19
	s_or_b32 exec_lo, exec_lo, s1
	s_and_saveexec_b32 s1, vcc_lo
	s_cbranch_execz .LBB24_95
.LBB24_136:
	ds_load_b32 v19, v1 offset:256
	s_wait_dscnt 0x0
	v_add_f32_e32 v6, v6, v19
	s_or_b32 exec_lo, exec_lo, s1
	s_and_saveexec_b32 s1, vcc_lo
	s_cbranch_execz .LBB24_96
.LBB24_137:
	ds_load_b32 v19, v1 offset:288
	s_wait_dscnt 0x0
	v_add_f32_e32 v7, v7, v19
	s_or_b32 exec_lo, exec_lo, s1
	s_and_saveexec_b32 s1, vcc_lo
	s_cbranch_execz .LBB24_97
.LBB24_138:
	ds_load_b32 v19, v1 offset:320
	s_wait_dscnt 0x0
	v_add_f32_e32 v4, v4, v19
	s_or_b32 exec_lo, exec_lo, s1
	s_and_saveexec_b32 s1, vcc_lo
	s_cbranch_execz .LBB24_98
.LBB24_139:
	ds_load_b32 v19, v1 offset:352
	s_wait_dscnt 0x0
	v_add_f32_e32 v5, v5, v19
	s_or_b32 exec_lo, exec_lo, s1
	s_and_saveexec_b32 s1, vcc_lo
	s_cbranch_execz .LBB24_99
.LBB24_140:
	ds_load_b32 v19, v1 offset:384
	s_wait_dscnt 0x0
	v_add_f32_e32 v2, v2, v19
	s_or_b32 exec_lo, exec_lo, s1
	s_and_saveexec_b32 s1, vcc_lo
	s_cbranch_execz .LBB24_100
.LBB24_141:
	ds_load_b32 v19, v1 offset:416
	s_wait_dscnt 0x0
	v_add_f32_e32 v3, v3, v19
	s_or_b32 exec_lo, exec_lo, s1
	s_and_saveexec_b32 s1, vcc_lo
	s_cbranch_execz .LBB24_101
.LBB24_142:
	ds_load_b32 v19, v1 offset:448
	s_wait_dscnt 0x0
	v_add_f32_e32 v16, v16, v19
	s_or_b32 exec_lo, exec_lo, s1
	s_and_saveexec_b32 s1, vcc_lo
	s_cbranch_execnz .LBB24_102
	s_branch .LBB24_103
.LBB24_143:
	ds_load_b32 v18, v1
	s_wait_dscnt 0x0
	v_add_f32_e32 v14, v14, v18
	s_or_b32 exec_lo, exec_lo, s0
	s_and_saveexec_b32 s0, vcc_lo
	s_cbranch_execz .LBB24_109
.LBB24_144:
	ds_load_b32 v18, v1 offset:32
	s_wait_dscnt 0x0
	v_add_f32_e32 v15, v15, v18
	s_or_b32 exec_lo, exec_lo, s0
	s_and_saveexec_b32 s0, vcc_lo
	s_cbranch_execz .LBB24_110
.LBB24_145:
	ds_load_b32 v18, v1 offset:64
	s_wait_dscnt 0x0
	v_add_f32_e32 v12, v12, v18
	s_or_b32 exec_lo, exec_lo, s0
	s_and_saveexec_b32 s0, vcc_lo
	s_cbranch_execz .LBB24_111
.LBB24_146:
	ds_load_b32 v18, v1 offset:96
	s_wait_dscnt 0x0
	v_add_f32_e32 v13, v13, v18
	s_or_b32 exec_lo, exec_lo, s0
	s_and_saveexec_b32 s0, vcc_lo
	s_cbranch_execz .LBB24_112
.LBB24_147:
	ds_load_b32 v18, v1 offset:128
	s_wait_dscnt 0x0
	v_add_f32_e32 v10, v10, v18
	s_or_b32 exec_lo, exec_lo, s0
	s_and_saveexec_b32 s0, vcc_lo
	s_cbranch_execz .LBB24_113
.LBB24_148:
	ds_load_b32 v18, v1 offset:160
	s_wait_dscnt 0x0
	v_add_f32_e32 v11, v11, v18
	s_or_b32 exec_lo, exec_lo, s0
	s_and_saveexec_b32 s0, vcc_lo
	s_cbranch_execz .LBB24_114
.LBB24_149:
	ds_load_b32 v18, v1 offset:192
	s_wait_dscnt 0x0
	v_add_f32_e32 v8, v8, v18
	s_or_b32 exec_lo, exec_lo, s0
	s_and_saveexec_b32 s0, vcc_lo
	s_cbranch_execz .LBB24_115
.LBB24_150:
	ds_load_b32 v18, v1 offset:224
	s_wait_dscnt 0x0
	v_add_f32_e32 v9, v9, v18
	s_or_b32 exec_lo, exec_lo, s0
	s_and_saveexec_b32 s0, vcc_lo
	s_cbranch_execz .LBB24_116
.LBB24_151:
	ds_load_b32 v18, v1 offset:256
	s_wait_dscnt 0x0
	v_add_f32_e32 v6, v6, v18
	s_or_b32 exec_lo, exec_lo, s0
	s_and_saveexec_b32 s0, vcc_lo
	s_cbranch_execz .LBB24_117
.LBB24_152:
	ds_load_b32 v18, v1 offset:288
	s_wait_dscnt 0x0
	v_add_f32_e32 v7, v7, v18
	s_or_b32 exec_lo, exec_lo, s0
	s_and_saveexec_b32 s0, vcc_lo
	s_cbranch_execz .LBB24_118
.LBB24_153:
	ds_load_b32 v18, v1 offset:320
	s_wait_dscnt 0x0
	v_add_f32_e32 v4, v4, v18
	s_or_b32 exec_lo, exec_lo, s0
	s_and_saveexec_b32 s0, vcc_lo
	s_cbranch_execz .LBB24_119
.LBB24_154:
	ds_load_b32 v18, v1 offset:352
	s_wait_dscnt 0x0
	v_add_f32_e32 v5, v5, v18
	s_or_b32 exec_lo, exec_lo, s0
	s_and_saveexec_b32 s0, vcc_lo
	s_cbranch_execz .LBB24_120
.LBB24_155:
	ds_load_b32 v18, v1 offset:384
	s_wait_dscnt 0x0
	v_add_f32_e32 v2, v2, v18
	s_or_b32 exec_lo, exec_lo, s0
	s_and_saveexec_b32 s0, vcc_lo
	s_cbranch_execz .LBB24_121
.LBB24_156:
	ds_load_b32 v18, v1 offset:416
	s_wait_dscnt 0x0
	v_add_f32_e32 v3, v3, v18
	s_or_b32 exec_lo, exec_lo, s0
	s_and_saveexec_b32 s0, vcc_lo
	s_cbranch_execz .LBB24_122
.LBB24_157:
	ds_load_b32 v18, v1 offset:448
	s_wait_dscnt 0x0
	v_add_f32_e32 v16, v16, v18
	s_or_b32 exec_lo, exec_lo, s0
	s_and_saveexec_b32 s0, vcc_lo
	s_cbranch_execnz .LBB24_123
	s_branch .LBB24_124
	.section	.rodata,"a",@progbits
	.p2align	6, 0x0
	.amdhsa_kernel _ZN4vllm25paged_attention_v1_kernelIffLi128ELi16ELi128ELNS_18Fp8KVCacheDataTypeE0ELb1EEEvPT_PKS2_PKT0_S8_ifPKiSA_iPKfiiiSC_SC_iiiii
		.amdhsa_group_segment_fixed_size 544
		.amdhsa_private_segment_fixed_size 0
		.amdhsa_kernarg_size 384
		.amdhsa_user_sgpr_count 2
		.amdhsa_user_sgpr_dispatch_ptr 0
		.amdhsa_user_sgpr_queue_ptr 0
		.amdhsa_user_sgpr_kernarg_segment_ptr 1
		.amdhsa_user_sgpr_dispatch_id 0
		.amdhsa_user_sgpr_kernarg_preload_length 0
		.amdhsa_user_sgpr_kernarg_preload_offset 0
		.amdhsa_user_sgpr_private_segment_size 0
		.amdhsa_wavefront_size32 1
		.amdhsa_uses_dynamic_stack 0
		.amdhsa_enable_private_segment 0
		.amdhsa_system_sgpr_workgroup_id_x 1
		.amdhsa_system_sgpr_workgroup_id_y 1
		.amdhsa_system_sgpr_workgroup_id_z 1
		.amdhsa_system_sgpr_workgroup_info 0
		.amdhsa_system_vgpr_workitem_id 0
		.amdhsa_next_free_vgpr 103
		.amdhsa_next_free_sgpr 42
		.amdhsa_named_barrier_count 0
		.amdhsa_reserve_vcc 1
		.amdhsa_float_round_mode_32 0
		.amdhsa_float_round_mode_16_64 0
		.amdhsa_float_denorm_mode_32 3
		.amdhsa_float_denorm_mode_16_64 3
		.amdhsa_fp16_overflow 0
		.amdhsa_memory_ordered 1
		.amdhsa_forward_progress 1
		.amdhsa_inst_pref_size 77
		.amdhsa_round_robin_scheduling 0
		.amdhsa_exception_fp_ieee_invalid_op 0
		.amdhsa_exception_fp_denorm_src 0
		.amdhsa_exception_fp_ieee_div_zero 0
		.amdhsa_exception_fp_ieee_overflow 0
		.amdhsa_exception_fp_ieee_underflow 0
		.amdhsa_exception_fp_ieee_inexact 0
		.amdhsa_exception_int_div_zero 0
	.end_amdhsa_kernel
	.section	.text._ZN4vllm25paged_attention_v1_kernelIffLi128ELi16ELi128ELNS_18Fp8KVCacheDataTypeE0ELb1EEEvPT_PKS2_PKT0_S8_ifPKiSA_iPKfiiiSC_SC_iiiii,"axG",@progbits,_ZN4vllm25paged_attention_v1_kernelIffLi128ELi16ELi128ELNS_18Fp8KVCacheDataTypeE0ELb1EEEvPT_PKS2_PKT0_S8_ifPKiSA_iPKfiiiSC_SC_iiiii,comdat
.Lfunc_end24:
	.size	_ZN4vllm25paged_attention_v1_kernelIffLi128ELi16ELi128ELNS_18Fp8KVCacheDataTypeE0ELb1EEEvPT_PKS2_PKT0_S8_ifPKiSA_iPKfiiiSC_SC_iiiii, .Lfunc_end24-_ZN4vllm25paged_attention_v1_kernelIffLi128ELi16ELi128ELNS_18Fp8KVCacheDataTypeE0ELb1EEEvPT_PKS2_PKT0_S8_ifPKiSA_iPKfiiiSC_SC_iiiii
                                        ; -- End function
	.set _ZN4vllm25paged_attention_v1_kernelIffLi128ELi16ELi128ELNS_18Fp8KVCacheDataTypeE0ELb1EEEvPT_PKS2_PKT0_S8_ifPKiSA_iPKfiiiSC_SC_iiiii.num_vgpr, 103
	.set _ZN4vllm25paged_attention_v1_kernelIffLi128ELi16ELi128ELNS_18Fp8KVCacheDataTypeE0ELb1EEEvPT_PKS2_PKT0_S8_ifPKiSA_iPKfiiiSC_SC_iiiii.num_agpr, 0
	.set _ZN4vllm25paged_attention_v1_kernelIffLi128ELi16ELi128ELNS_18Fp8KVCacheDataTypeE0ELb1EEEvPT_PKS2_PKT0_S8_ifPKiSA_iPKfiiiSC_SC_iiiii.numbered_sgpr, 42
	.set _ZN4vllm25paged_attention_v1_kernelIffLi128ELi16ELi128ELNS_18Fp8KVCacheDataTypeE0ELb1EEEvPT_PKS2_PKT0_S8_ifPKiSA_iPKfiiiSC_SC_iiiii.num_named_barrier, 0
	.set _ZN4vllm25paged_attention_v1_kernelIffLi128ELi16ELi128ELNS_18Fp8KVCacheDataTypeE0ELb1EEEvPT_PKS2_PKT0_S8_ifPKiSA_iPKfiiiSC_SC_iiiii.private_seg_size, 0
	.set _ZN4vllm25paged_attention_v1_kernelIffLi128ELi16ELi128ELNS_18Fp8KVCacheDataTypeE0ELb1EEEvPT_PKS2_PKT0_S8_ifPKiSA_iPKfiiiSC_SC_iiiii.uses_vcc, 1
	.set _ZN4vllm25paged_attention_v1_kernelIffLi128ELi16ELi128ELNS_18Fp8KVCacheDataTypeE0ELb1EEEvPT_PKS2_PKT0_S8_ifPKiSA_iPKfiiiSC_SC_iiiii.uses_flat_scratch, 0
	.set _ZN4vllm25paged_attention_v1_kernelIffLi128ELi16ELi128ELNS_18Fp8KVCacheDataTypeE0ELb1EEEvPT_PKS2_PKT0_S8_ifPKiSA_iPKfiiiSC_SC_iiiii.has_dyn_sized_stack, 0
	.set _ZN4vllm25paged_attention_v1_kernelIffLi128ELi16ELi128ELNS_18Fp8KVCacheDataTypeE0ELb1EEEvPT_PKS2_PKT0_S8_ifPKiSA_iPKfiiiSC_SC_iiiii.has_recursion, 0
	.set _ZN4vllm25paged_attention_v1_kernelIffLi128ELi16ELi128ELNS_18Fp8KVCacheDataTypeE0ELb1EEEvPT_PKS2_PKT0_S8_ifPKiSA_iPKfiiiSC_SC_iiiii.has_indirect_call, 0
	.section	.AMDGPU.csdata,"",@progbits
; Kernel info:
; codeLenInByte = 9760
; TotalNumSgprs: 44
; NumVgprs: 103
; ScratchSize: 0
; MemoryBound: 0
; FloatMode: 240
; IeeeMode: 1
; LDSByteSize: 544 bytes/workgroup (compile time only)
; SGPRBlocks: 0
; VGPRBlocks: 6
; NumSGPRsForWavesPerEU: 44
; NumVGPRsForWavesPerEU: 103
; NamedBarCnt: 0
; Occupancy: 9
; WaveLimiterHint : 1
; COMPUTE_PGM_RSRC2:SCRATCH_EN: 0
; COMPUTE_PGM_RSRC2:USER_SGPR: 2
; COMPUTE_PGM_RSRC2:TRAP_HANDLER: 0
; COMPUTE_PGM_RSRC2:TGID_X_EN: 1
; COMPUTE_PGM_RSRC2:TGID_Y_EN: 1
; COMPUTE_PGM_RSRC2:TGID_Z_EN: 1
; COMPUTE_PGM_RSRC2:TIDIG_COMP_CNT: 0
	.section	.text._ZN4vllm25paged_attention_v1_kernelIffLi192ELi16ELi128ELNS_18Fp8KVCacheDataTypeE0ELb1EEEvPT_PKS2_PKT0_S8_ifPKiSA_iPKfiiiSC_SC_iiiii,"axG",@progbits,_ZN4vllm25paged_attention_v1_kernelIffLi192ELi16ELi128ELNS_18Fp8KVCacheDataTypeE0ELb1EEEvPT_PKS2_PKT0_S8_ifPKiSA_iPKfiiiSC_SC_iiiii,comdat
	.protected	_ZN4vllm25paged_attention_v1_kernelIffLi192ELi16ELi128ELNS_18Fp8KVCacheDataTypeE0ELb1EEEvPT_PKS2_PKT0_S8_ifPKiSA_iPKfiiiSC_SC_iiiii ; -- Begin function _ZN4vllm25paged_attention_v1_kernelIffLi192ELi16ELi128ELNS_18Fp8KVCacheDataTypeE0ELb1EEEvPT_PKS2_PKT0_S8_ifPKiSA_iPKfiiiSC_SC_iiiii
	.globl	_ZN4vllm25paged_attention_v1_kernelIffLi192ELi16ELi128ELNS_18Fp8KVCacheDataTypeE0ELb1EEEvPT_PKS2_PKT0_S8_ifPKiSA_iPKfiiiSC_SC_iiiii
	.p2align	8
	.type	_ZN4vllm25paged_attention_v1_kernelIffLi192ELi16ELi128ELNS_18Fp8KVCacheDataTypeE0ELb1EEEvPT_PKS2_PKT0_S8_ifPKiSA_iPKfiiiSC_SC_iiiii,@function
_ZN4vllm25paged_attention_v1_kernelIffLi192ELi16ELi128ELNS_18Fp8KVCacheDataTypeE0ELb1EEEvPT_PKS2_PKT0_S8_ifPKiSA_iPKfiiiSC_SC_iiiii: ; @_ZN4vllm25paged_attention_v1_kernelIffLi192ELi16ELi128ELNS_18Fp8KVCacheDataTypeE0ELb1EEEvPT_PKS2_PKT0_S8_ifPKiSA_iPKfiiiSC_SC_iiiii
; %bb.0:
	s_load_b64 s[22:23], s[0:1], 0x20
	s_bfe_u32 s3, ttmp6, 0x4000c
	s_bfe_u32 s4, ttmp6, 0x40010
	s_and_b32 s6, ttmp7, 0xffff
	s_add_co_i32 s3, s3, 1
	s_add_co_i32 s4, s4, 1
	s_and_b32 s2, ttmp6, 15
	s_bfe_u32 s5, ttmp6, 0x40004
	s_mul_i32 s3, ttmp9, s3
	s_mul_i32 s4, s6, s4
	s_getreg_b32 s28, hwreg(HW_REG_IB_STS2, 6, 4)
	s_add_co_i32 s2, s2, s3
	s_add_co_i32 s3, s5, s4
	s_cmp_eq_u32 s28, 0
	v_mov_b32_e32 v63, v0
	s_cselect_b32 s30, s6, s3
	s_cselect_b32 s2, ttmp9, s2
	s_clause 0x1
	s_load_b32 s29, s[0:1], 0x80
	s_load_b64 s[4:5], s[0:1], 0x30
	s_mov_b32 s17, 0
	s_delay_alu instid0(SALU_CYCLE_1) | instskip(SKIP_2) | instid1(SALU_CYCLE_1)
	s_mov_b32 s35, s17
	s_wait_kmcnt 0x0
	s_abs_i32 s3, s22
	s_cvt_f32_u32 s6, s3
	s_sub_co_i32 s7, 0, s3
	s_delay_alu instid0(SALU_CYCLE_2) | instskip(SKIP_1) | instid1(TRANS32_DEP_1)
	v_rcp_iflag_f32_e32 v0, s6
	v_nop
	v_readfirstlane_b32 s6, v0
	s_abs_i32 s8, s29
	s_mul_f32 s6, s6, 0x4f7ffffe
	s_delay_alu instid0(SALU_CYCLE_3) | instskip(NEXT) | instid1(SALU_CYCLE_3)
	s_cvt_u32_f32 s6, s6
	s_mul_i32 s7, s7, s6
	s_delay_alu instid0(SALU_CYCLE_1) | instskip(NEXT) | instid1(SALU_CYCLE_1)
	s_mul_hi_u32 s7, s6, s7
	s_add_co_i32 s6, s6, s7
	s_xor_b32 s7, s29, s22
	s_mul_hi_u32 s6, s8, s6
	s_ashr_i32 s7, s7, 31
	s_mul_i32 s9, s6, s3
	s_delay_alu instid0(SALU_CYCLE_1)
	s_sub_co_i32 s8, s8, s9
	s_add_co_i32 s9, s6, 1
	s_sub_co_i32 s10, s8, s3
	s_cmp_ge_u32 s8, s3
	s_cselect_b32 s6, s9, s6
	s_cselect_b32 s8, s10, s8
	s_add_co_i32 s9, s6, 1
	s_cmp_ge_u32 s8, s3
	s_cselect_b32 s3, s9, s6
	s_load_b64 s[8:9], s[0:1], 0x40
	s_xor_b32 s3, s3, s7
	s_abs_i32 s16, s2
	s_sub_co_i32 s10, s3, s7
	s_mov_b32 s7, s17
	s_abs_i32 s15, s10
	s_delay_alu instid0(SALU_CYCLE_1) | instskip(SKIP_1) | instid1(SALU_CYCLE_2)
	s_cvt_f32_u32 s3, s15
	s_sub_co_i32 s6, 0, s15
	v_rcp_iflag_f32_e32 v0, s3
	v_nop
	s_delay_alu instid0(TRANS32_DEP_1) | instskip(SKIP_1) | instid1(SALU_CYCLE_3)
	v_readfirstlane_b32 s3, v0
	s_mul_f32 s3, s3, 0x4f7ffffe
	s_cvt_u32_f32 s3, s3
	s_delay_alu instid0(SALU_CYCLE_3) | instskip(NEXT) | instid1(SALU_CYCLE_1)
	s_mul_i32 s6, s6, s3
	s_mul_hi_u32 s6, s3, s6
	s_delay_alu instid0(SALU_CYCLE_1)
	s_add_co_i32 s6, s3, s6
	s_wait_kmcnt 0x0
	s_cmp_eq_u64 s[8:9], 0
	s_cbranch_scc1 .LBB25_2
; %bb.1:
	s_ashr_i32 s3, s2, 31
	s_delay_alu instid0(SALU_CYCLE_1) | instskip(NEXT) | instid1(SALU_CYCLE_1)
	s_lshl_b64 s[12:13], s[2:3], 2
	s_add_nc_u64 s[8:9], s[8:9], s[12:13]
	s_load_b32 s35, s[8:9], 0x0
.LBB25_2:
	s_load_b32 s31, s[4:5], s30 offset:0x0 scale_offset
	s_load_b96 s[12:14], s[0:1], 0x48
	v_dual_lshlrev_b32 v50, 2, v63 :: v_dual_bitop2_b32 v2, 1, v63 bitop3:0x40
	s_wait_xcnt 0x0
	s_mul_u64 s[4:5], s[16:17], s[6:7]
	s_ashr_i32 s3, s2, 31
	s_ashr_i32 s18, s10, 31
	s_mul_i32 s6, s2, 0xc0
	s_mov_b32 s4, exec_lo
	v_cmpx_gt_u32_e32 0x60, v63
	s_cbranch_execz .LBB25_4
; %bb.3:
	s_load_b64 s[8:9], s[0:1], 0x8
	s_wait_kmcnt 0x0
	s_mul_i32 s10, s12, s30
	s_ashr_i32 s7, s6, 31
	s_ashr_i32 s11, s10, 31
	v_and_b32_e32 v3, 0xff8, v50
	s_lshl_b64 s[10:11], s[10:11], 2
	s_delay_alu instid0(VALU_DEP_1) | instskip(SKIP_2) | instid1(SALU_CYCLE_1)
	v_mad_u32_u24 v3, 0x180, v2, v3
	s_add_nc_u64 s[8:9], s[8:9], s[10:11]
	s_lshl_b64 s[10:11], s[6:7], 2
	s_add_nc_u64 s[8:9], s[8:9], s[10:11]
	global_load_b64 v[0:1], v63, s[8:9] scale_offset
	s_wait_loadcnt 0x0
	ds_store_b64 v3, v[0:1]
.LBB25_4:
	s_or_b32 exec_lo, exec_lo, s4
	s_load_b128 s[8:11], s[0:1], 0x68
	s_mul_i32 s4, s5, s15
	s_xor_b32 s3, s3, s18
	s_sub_co_i32 s4, s16, s4
	s_add_co_i32 s7, s5, 1
	s_wait_kmcnt 0x0
	s_sub_co_i32 s12, s4, s15
	s_cmp_ge_u32 s4, s15
	s_mov_b32 s18, -1
	s_cselect_b32 s5, s7, s5
	s_cselect_b32 s4, s12, s4
	s_add_co_i32 s12, s5, 1
	s_cmp_ge_u32 s4, s15
	s_load_b32 s7, s[0:1], 0x78
	s_cselect_b32 s4, s12, s5
	s_add_co_i32 s15, s31, -1
	s_xor_b32 s4, s4, s3
	s_wait_dscnt 0x0
	s_sub_co_i32 s3, s4, s3
	s_barrier_signal -1
	s_barrier_wait -1
	s_abs_i32 s12, s11
	s_delay_alu instid0(SALU_CYCLE_1) | instskip(NEXT) | instid1(SALU_CYCLE_3)
	s_cvt_f32_u32 s5, s12
                                        ; implicit-def: $sgpr33
	v_rcp_iflag_f32_e32 v0, s5
	v_nop
	s_delay_alu instid0(TRANS32_DEP_1) | instskip(SKIP_1) | instid1(SALU_CYCLE_3)
	v_readfirstlane_b32 s5, v0
	s_mul_f32 s4, s5, 0x4f7ffffe
	s_cvt_u32_f32 s16, s4
	s_sub_co_i32 s4, 0, s12
	s_delay_alu instid0(SALU_CYCLE_2)
	s_mul_i32 s5, s4, s16
	s_abs_i32 s4, s15
	s_mul_hi_u32 s17, s16, s5
	s_mov_b32 s5, 0
	s_add_co_i32 s16, s16, s17
	s_wait_kmcnt 0x0
	s_cmp_lt_i32 s7, 0
	s_mov_b32 s17, s5
	s_cbranch_scc0 .LBB25_6
; %bb.5:
	s_mul_i32 s18, s8, s22
	s_delay_alu instid0(SALU_CYCLE_1) | instskip(NEXT) | instid1(SALU_CYCLE_1)
	s_add_co_i32 s18, s3, s18
	s_mul_i32 s18, s18, s7
	s_delay_alu instid0(SALU_CYCLE_1)
	s_sub_co_i32 s33, 1, s18
	s_mov_b32 s18, s5
.LBB25_6:
	s_ashr_i32 s15, s15, 31
	s_ashr_i32 s11, s11, 31
	s_and_not1_b32 vcc_lo, exec_lo, s18
	s_mul_u64 s[24:25], s[4:5], s[16:17]
	s_cbranch_vccnz .LBB25_8
; %bb.7:
	s_mul_i32 s5, s29, s8
	s_delay_alu instid0(SALU_CYCLE_1) | instskip(NEXT) | instid1(SALU_CYCLE_1)
	s_add_co_i32 s2, s5, s2
	s_mul_i32 s2, s2, s7
	s_delay_alu instid0(SALU_CYCLE_1)
	s_add_co_i32 s33, s2, 1
.LBB25_8:
	s_load_b32 s2, s[0:1], 0x38
	s_mul_i32 s7, s25, s12
	s_xor_b32 s5, s15, s11
	s_sub_co_i32 s4, s4, s7
	s_add_co_i32 s8, s25, 1
	s_clause 0x1
	s_load_b64 s[18:19], s[0:1], 0x28
	s_load_b32 s7, s[0:1], 0x88
	v_dual_mov_b32 v55, 0xff7fffff :: v_dual_lshrrev_b32 v80, 5, v63
	v_lshrrev_b32_e32 v51, 3, v63
	v_mbcnt_lo_u32_b32 v52, -1, 0
	s_mul_i32 s14, s3, s14
	s_delay_alu instid0(VALU_DEP_3)
	v_lshlrev_b32_e32 v102, 4, v80
	s_wait_kmcnt 0x0
	s_mul_i32 s20, s2, s30
	s_sub_co_i32 s2, s4, s12
	s_ashr_i32 s21, s20, 31
	s_cmp_ge_u32 s4, s12
	s_cselect_b32 s8, s8, s25
	s_cselect_b32 s2, s2, s4
	s_add_co_i32 s4, s8, 1
	s_cmp_ge_u32 s2, s12
	s_cselect_b32 s2, s4, s8
	s_add_co_i32 s4, s31, 15
	s_delay_alu instid0(SALU_CYCLE_1) | instskip(NEXT) | instid1(SALU_CYCLE_1)
	s_ashr_i32 s8, s4, 31
	s_lshr_b32 s8, s8, 28
	s_delay_alu instid0(SALU_CYCLE_1) | instskip(NEXT) | instid1(SALU_CYCLE_1)
	s_add_co_i32 s4, s4, s8
	s_ashr_i32 s34, s4, 4
	s_xor_b32 s4, s2, s5
	v_cmp_gt_i32_e64 s2, s34, v80
	s_sub_co_i32 s8, s4, s5
	s_and_saveexec_b32 s22, s2
	s_cbranch_execz .LBB25_20
; %bb.9:
	s_load_b64 s[4:5], s[0:1], 0x10
	s_ashr_i32 s15, s14, 31
	s_sub_co_i32 s36, s8, s9
	s_ashr_i32 s25, s13, 31
	s_lshl_b64 s[38:39], s[14:15], 2
	s_cmp_neq_f32 s35, 0
	v_bfe_u32 v53, v63, 1, 4
	v_dual_mov_b32 v1, 0 :: v_dual_lshlrev_b32 v4, 3, v63
	s_cselect_b32 vcc_lo, -1, 0
	s_abs_i32 s15, s10
	s_delay_alu instid0(VALU_DEP_2)
	v_lshlrev_b32_e32 v0, 4, v53
	s_cvt_f32_u32 s3, s15
	v_mul_u32_u24_e32 v54, 0x180, v2
	v_lshlrev_b32_e32 v5, 2, v53
	s_sub_co_i32 s26, 0, s15
	v_rcp_iflag_f32_e32 v3, s3
	v_cmp_eq_u32_e64 s3, 0, v2
	v_mov_b32_e32 v58, 0xff7fffff
	v_lshl_or_b32 v6, v80, 6, v5
	s_wait_kmcnt 0x0
	s_add_nc_u64 s[4:5], s[4:5], s[38:39]
	v_dual_mov_b32 v60, v80 :: v_dual_bitop2_b32 v59, 1, v52 bitop3:0x14
	v_readfirstlane_b32 s24, v3
	v_add_nc_u64_e32 v[2:3], s[4:5], v[0:1]
	v_and_b32_e32 v0, 8, v4
	v_subrev_nc_u32_e32 v4, s31, v53
	s_lshl_b64 s[4:5], s[20:21], 2
	s_mul_f32 s24, s24, 0x4f7ffffe
	s_add_nc_u64 s[4:5], s[18:19], s[4:5]
	v_add_nc_u32_e32 v57, 0x320, v6
	v_add_nc_u32_e32 v56, 1, v4
	v_add_nc_u64_e32 v[2:3], v[2:3], v[0:1]
	v_and_b32_e32 v0, 0x7c, v51
	s_cvt_u32_f32 s37, s24
	v_mov_b32_e32 v55, 0xff7fffff
	s_mov_b32 s27, 0
	s_mov_b32 s24, s13
	v_add_nc_u64_e32 v[4:5], s[4:5], v[0:1]
	s_mul_i32 s26, s26, s37
	v_lshlrev_b32_e32 v0, 4, v80
	s_mul_hi_u32 s4, s37, s26
	s_delay_alu instid0(SALU_CYCLE_1)
	s_add_co_i32 s26, s37, s4
	s_mov_b32 s37, s27
	s_branch .LBB25_12
.LBB25_10:                              ;   in Loop: Header=BB25_12 Depth=1
	s_or_b32 exec_lo, exec_lo, s38
.LBB25_11:                              ;   in Loop: Header=BB25_12 Depth=1
	s_delay_alu instid0(SALU_CYCLE_1) | instskip(SKIP_4) | instid1(VALU_DEP_4)
	s_or_b32 exec_lo, exec_lo, s5
	v_add_nc_u32_e32 v60, 4, v60
	v_add_nc_u64_e32 v[4:5], 16, v[4:5]
	v_add_nc_u32_e32 v0, 64, v0
	v_add_nc_u32_e32 v57, 0x100, v57
	v_cmp_le_i32_e64 s4, s34, v60
	s_or_b32 s37, s4, s37
	s_delay_alu instid0(SALU_CYCLE_1)
	s_and_not1_b32 exec_lo, exec_lo, s37
	s_cbranch_execz .LBB25_19
.LBB25_12:                              ; =>This Inner Loop Header: Depth=1
	s_wait_dscnt 0x0
	v_mul_u64_e32 v[6:7], s[16:17], v[0:1]
	s_delay_alu instid0(VALU_DEP_1) | instskip(NEXT) | instid1(VALU_DEP_1)
	v_mul_lo_u32 v6, v7, s12
	v_dual_add_nc_u32 v8, 1, v7 :: v_dual_sub_nc_u32 v6, v0, v6
	s_delay_alu instid0(VALU_DEP_1) | instskip(SKIP_1) | instid1(VALU_DEP_1)
	v_subrev_nc_u32_e32 v9, s12, v6
	v_cmp_le_u32_e64 s4, s12, v6
	v_dual_cndmask_b32 v7, v7, v8, s4 :: v_dual_cndmask_b32 v6, v6, v9, s4
	s_delay_alu instid0(VALU_DEP_1) | instskip(NEXT) | instid1(VALU_DEP_2)
	v_add_nc_u32_e32 v8, 1, v7
	v_cmp_le_u32_e64 s4, s12, v6
	s_delay_alu instid0(VALU_DEP_1) | instskip(NEXT) | instid1(VALU_DEP_1)
	v_dual_cndmask_b32 v6, v7, v8, s4 :: v_dual_mov_b32 v7, v1
	v_xor_b32_e32 v6, s11, v6
	s_delay_alu instid0(VALU_DEP_1) | instskip(NEXT) | instid1(VALU_DEP_1)
	v_subrev_nc_u32_e32 v10, s11, v6
	v_add_nc_u32_e32 v11, s33, v10
	v_cmp_ge_i32_e64 s5, s36, v10
	s_delay_alu instid0(VALU_DEP_2) | instskip(NEXT) | instid1(VALU_DEP_1)
	v_sub_nc_u32_e32 v6, 0, v11
	v_max_i32_e32 v6, v11, v6
	s_delay_alu instid0(VALU_DEP_1) | instskip(SKIP_1) | instid1(VALU_DEP_2)
	v_mul_u64_e32 v[8:9], s[26:27], v[6:7]
	v_ashrrev_i32_e32 v8, 31, v11
	v_mul_lo_u32 v7, v9, s15
	s_delay_alu instid0(VALU_DEP_1) | instskip(NEXT) | instid1(VALU_DEP_1)
	v_sub_nc_u32_e32 v6, v6, v7
	v_subrev_nc_u32_e32 v7, s15, v6
	v_cmp_le_u32_e64 s4, s15, v6
	s_delay_alu instid0(VALU_DEP_1) | instskip(NEXT) | instid1(VALU_DEP_1)
	v_cndmask_b32_e64 v6, v6, v7, s4
	v_subrev_nc_u32_e32 v7, s15, v6
	v_cmp_le_u32_e64 s4, s15, v6
	s_delay_alu instid0(VALU_DEP_1) | instskip(NEXT) | instid1(VALU_DEP_1)
	v_cndmask_b32_e64 v6, v6, v7, s4
	v_xor_b32_e32 v6, v6, v8
	s_delay_alu instid0(VALU_DEP_1) | instskip(NEXT) | instid1(VALU_DEP_1)
	v_sub_nc_u32_e32 v6, v6, v8
	v_cmp_ne_u32_e64 s4, 0, v6
	s_and_b32 s4, s4, s5
	s_delay_alu instid0(SALU_CYCLE_1) | instskip(NEXT) | instid1(SALU_CYCLE_1)
	s_and_saveexec_b32 s5, s4
	s_xor_b32 s4, exec_lo, s5
	s_cbranch_execz .LBB25_16
; %bb.13:                               ;   in Loop: Header=BB25_12 Depth=1
	s_and_saveexec_b32 s5, s3
; %bb.14:                               ;   in Loop: Header=BB25_12 Depth=1
	ds_store_b32 v57, v58
; %bb.15:                               ;   in Loop: Header=BB25_12 Depth=1
	s_or_b32 exec_lo, exec_lo, s5
.LBB25_16:                              ;   in Loop: Header=BB25_12 Depth=1
	s_and_not1_saveexec_b32 s5, s4
	s_cbranch_execz .LBB25_11
; %bb.17:                               ;   in Loop: Header=BB25_12 Depth=1
	global_load_b32 v6, v[4:5], off
	v_cmp_gt_i32_e64 s4, 32, v59
	s_wait_loadcnt 0x0
	v_ashrrev_i32_e32 v7, 31, v6
	s_delay_alu instid0(VALU_DEP_1) | instskip(NEXT) | instid1(VALU_DEP_1)
	v_mul_u64_e32 v[6:7], s[24:25], v[6:7]
	v_lshl_add_u64 v[6:7], v[6:7], 2, v[2:3]
	s_clause 0xf
	global_load_b64 v[14:15], v[6:7], off offset:256
	global_load_b64 v[24:25], v[6:7], off
	global_load_b64 v[38:39], v[6:7], off offset:512
	global_load_b64 v[40:41], v[6:7], off offset:768
	global_load_b64 v[46:47], v[6:7], off offset:1024
	global_load_b64 v[48:49], v[6:7], off offset:1280
	global_load_b64 v[68:69], v[6:7], off offset:1536
	global_load_b64 v[70:71], v[6:7], off offset:1792
	global_load_b64 v[72:73], v[6:7], off offset:2048
	global_load_b64 v[74:75], v[6:7], off offset:2304
	global_load_b64 v[76:77], v[6:7], off offset:2560
	global_load_b64 v[78:79], v[6:7], off offset:2816
	global_load_b64 v[8:9], v[6:7], off offset:3072
	global_load_b64 v[22:23], v[6:7], off offset:3328
	global_load_b64 v[10:11], v[6:7], off offset:3584
	global_load_b64 v[26:27], v[6:7], off offset:3840
	ds_load_b128 v[30:33], v54
	s_clause 0x4
	global_load_b64 v[18:19], v[6:7], off offset:4096
	global_load_b64 v[12:13], v[6:7], off offset:4352
	;; [unrolled: 1-line block ×5, first 2 shown]
	ds_load_b128 v[34:37], v54 offset:16
	ds_load_b128 v[42:45], v54 offset:32
	;; [unrolled: 1-line block ×3, first 2 shown]
	s_wait_loadcnt_dscnt 0x1403
	v_dual_mul_f32 v62, v33, v15 :: v_dual_mul_f32 v61, v32, v14
	global_load_b64 v[32:33], v[6:7], off offset:5632
	s_wait_loadcnt 0x14
	v_dual_fmac_f32 v62, v31, v25 :: v_dual_fmac_f32 v61, v30, v24
	global_load_b64 v[30:31], v[6:7], off offset:5376
	s_wait_loadcnt_dscnt 0x1402
	v_dual_fmac_f32 v62, v35, v39 :: v_dual_fmac_f32 v61, v34, v38
	s_wait_loadcnt 0x13
	s_delay_alu instid0(VALU_DEP_1)
	v_dual_fmac_f32 v62, v37, v41 :: v_dual_fmac_f32 v61, v36, v40
	global_load_b64 v[40:41], v[6:7], off offset:5888
	ds_load_b128 v[34:37], v54 offset:48
	s_wait_loadcnt_dscnt 0x1302
	v_dual_fmac_f32 v62, v43, v47 :: v_dual_fmac_f32 v61, v42, v46
	s_clause 0x1
	global_load_b64 v[46:47], v[6:7], off offset:6144
	global_load_b64 v[42:43], v[6:7], off offset:6400
	s_wait_loadcnt 0x14
	v_dual_fmac_f32 v62, v45, v49 :: v_dual_fmac_f32 v61, v44, v48
	global_load_b64 v[48:49], v[6:7], off offset:6656
	s_wait_loadcnt_dscnt 0x1400
	v_dual_fmac_f32 v62, v35, v69 :: v_dual_fmac_f32 v61, v34, v68
	s_wait_loadcnt 0x13
	s_delay_alu instid0(VALU_DEP_1)
	v_dual_fmac_f32 v62, v37, v71 :: v_dual_fmac_f32 v61, v36, v70
	ds_load_b128 v[34:37], v54 offset:80
	ds_load_b128 v[68:71], v54 offset:96
	s_clause 0x1
	global_load_b64 v[44:45], v[6:7], off offset:6912
	global_load_b64 v[24:25], v[6:7], off offset:7168
	s_wait_loadcnt 0x14
	v_dual_fmac_f32 v62, v65, v73 :: v_dual_fmac_f32 v61, v64, v72
	global_load_b64 v[14:15], v[6:7], off offset:7424
	s_wait_loadcnt 0x14
	v_dual_fmac_f32 v62, v67, v75 :: v_dual_fmac_f32 v61, v66, v74
	ds_load_b128 v[64:67], v54 offset:112
	s_wait_loadcnt_dscnt 0x1302
	v_dual_fmac_f32 v62, v35, v77 :: v_dual_fmac_f32 v61, v34, v76
	global_load_b64 v[34:35], v[6:7], off offset:8448
	s_wait_loadcnt 0x13
	v_dual_fmac_f32 v62, v37, v79 :: v_dual_fmac_f32 v61, v36, v78
	ds_load_b128 v[36:39], v54 offset:128
	s_wait_loadcnt_dscnt 0x1202
	v_dual_fmac_f32 v62, v69, v9 :: v_dual_fmac_f32 v61, v68, v8
	global_load_b64 v[8:9], v[6:7], off offset:7680
	s_wait_loadcnt 0x12
	v_dual_fmac_f32 v62, v71, v23 :: v_dual_fmac_f32 v61, v70, v22
	global_load_b64 v[22:23], v[6:7], off offset:7936
	ds_load_b128 v[68:71], v54 offset:144
	s_wait_loadcnt_dscnt 0x1202
	v_dual_fmac_f32 v62, v65, v11 :: v_dual_fmac_f32 v61, v64, v10
	global_load_b64 v[10:11], v[6:7], off offset:8192
	s_wait_loadcnt 0x12
	v_dual_fmac_f32 v62, v67, v27 :: v_dual_fmac_f32 v61, v66, v26
	ds_load_b128 v[64:67], v54 offset:160
	s_wait_loadcnt_dscnt 0x1102
	v_dual_fmac_f32 v62, v37, v19 :: v_dual_fmac_f32 v61, v36, v18
	global_load_b64 v[18:19], v[6:7], off offset:8704
	s_wait_loadcnt 0x11
	v_dual_fmac_f32 v62, v39, v13 :: v_dual_fmac_f32 v61, v38, v12
	s_clause 0x3
	global_load_b64 v[38:39], v[6:7], off offset:8960
	global_load_b64 v[12:13], v[6:7], off offset:9216
	;; [unrolled: 1-line block ×4, first 2 shown]
	s_wait_loadcnt_dscnt 0x1401
	v_dual_fmac_f32 v62, v69, v21 :: v_dual_fmac_f32 v61, v68, v20
	global_load_b64 v[20:21], v[6:7], off offset:9728
	s_wait_loadcnt 0x14
	v_dual_fmac_f32 v62, v71, v17 :: v_dual_fmac_f32 v61, v70, v16
	ds_load_b128 v[68:71], v54 offset:176
	s_wait_loadcnt_dscnt 0x1301
	v_dual_fmac_f32 v62, v65, v29 :: v_dual_fmac_f32 v61, v64, v28
	s_wait_loadcnt 0x11
	s_delay_alu instid0(VALU_DEP_1)
	v_dual_fmac_f32 v62, v67, v31 :: v_dual_fmac_f32 v61, v66, v30
	ds_load_b128 v[64:67], v54 offset:192
	s_clause 0x2
	global_load_b64 v[30:31], v[6:7], off offset:10240
	global_load_b64 v[28:29], v[6:7], off offset:10496
	;; [unrolled: 1-line block ×3, first 2 shown]
	s_wait_dscnt 0x1
	v_dual_fmac_f32 v62, v69, v33 :: v_dual_fmac_f32 v61, v68, v32
	global_load_b64 v[32:33], v[6:7], off offset:11008
	s_wait_loadcnt 0x14
	v_dual_fmac_f32 v62, v71, v41 :: v_dual_fmac_f32 v61, v70, v40
	global_load_b64 v[40:41], v[6:7], off offset:11264
	ds_load_b128 v[68:71], v54 offset:208
	s_wait_loadcnt_dscnt 0x1401
	v_dual_fmac_f32 v62, v65, v47 :: v_dual_fmac_f32 v61, v64, v46
	s_wait_loadcnt 0x13
	s_delay_alu instid0(VALU_DEP_1)
	v_dual_fmac_f32 v62, v43, v67 :: v_dual_fmac_f32 v61, v42, v66
	s_clause 0x2
	global_load_b64 v[46:47], v[6:7], off offset:11520
	global_load_b64 v[42:43], v[6:7], off offset:11776
	;; [unrolled: 1-line block ×3, first 2 shown]
	ds_load_b128 v[64:67], v54 offset:224
	ds_load_b128 v[72:75], v54 offset:256
	s_wait_loadcnt_dscnt 0x1502
	v_dual_fmac_f32 v62, v49, v69 :: v_dual_fmac_f32 v61, v48, v68
	s_wait_loadcnt 0x14
	s_delay_alu instid0(VALU_DEP_1) | instskip(SKIP_4) | instid1(VALU_DEP_1)
	v_dual_fmac_f32 v62, v45, v71 :: v_dual_fmac_f32 v61, v44, v70
	ds_load_b128 v[68:71], v54 offset:240
	s_wait_loadcnt_dscnt 0x1302
	v_dual_fmac_f32 v62, v25, v65 :: v_dual_fmac_f32 v61, v24, v64
	s_wait_loadcnt 0x12
	v_dual_fmac_f32 v62, v15, v67 :: v_dual_fmac_f32 v61, v14, v66
	ds_load_b128 v[64:67], v54 offset:272
	s_wait_loadcnt_dscnt 0x1001
	v_dual_fmac_f32 v62, v9, v69 :: v_dual_fmac_f32 v61, v8, v68
	s_wait_loadcnt 0xf
	s_delay_alu instid0(VALU_DEP_1)
	v_dual_fmac_f32 v62, v23, v71 :: v_dual_fmac_f32 v61, v22, v70
	ds_load_b128 v[22:25], v54 offset:288
	s_wait_loadcnt 0xe
	v_dual_fmac_f32 v62, v11, v73 :: v_dual_fmac_f32 v61, v10, v72
	ds_load_b128 v[8:11], v54 offset:304
	v_dual_fmac_f32 v62, v35, v75 :: v_dual_fmac_f32 v61, v34, v74
	s_wait_loadcnt_dscnt 0xd02
	s_delay_alu instid0(VALU_DEP_1) | instskip(SKIP_1) | instid1(VALU_DEP_1)
	v_dual_fmac_f32 v62, v19, v65 :: v_dual_fmac_f32 v61, v18, v64
	s_wait_loadcnt 0xc
	v_dual_fmac_f32 v62, v39, v67 :: v_dual_fmac_f32 v61, v38, v66
	ds_load_b128 v[64:67], v54 offset:320
	s_wait_loadcnt_dscnt 0xb02
	v_dual_fmac_f32 v62, v13, v23 :: v_dual_fmac_f32 v61, v12, v22
	ds_load_b128 v[12:15], v54 offset:336
	s_wait_loadcnt 0xa
	v_dual_fmac_f32 v62, v27, v25 :: v_dual_fmac_f32 v61, v26, v24
	s_wait_loadcnt_dscnt 0x802
	s_delay_alu instid0(VALU_DEP_1)
	v_dual_fmac_f32 v62, v21, v9 :: v_dual_fmac_f32 v61, v20, v8
	ds_load_b128 v[18:21], v54 offset:368
	v_dual_fmac_f32 v62, v37, v11 :: v_dual_fmac_f32 v61, v36, v10
	ds_load_b128 v[8:11], v54 offset:352
	s_wait_loadcnt_dscnt 0x703
	v_dual_fmac_f32 v62, v31, v65 :: v_dual_fmac_f32 v61, v30, v64
	s_wait_loadcnt 0x6
	s_delay_alu instid0(VALU_DEP_1) | instskip(SKIP_1) | instid1(VALU_DEP_1)
	v_dual_fmac_f32 v62, v29, v67 :: v_dual_fmac_f32 v61, v28, v66
	s_wait_loadcnt_dscnt 0x502
	v_dual_fmac_f32 v62, v17, v13 :: v_dual_fmac_f32 v61, v16, v12
	s_wait_loadcnt 0x4
	s_delay_alu instid0(VALU_DEP_1) | instskip(SKIP_1) | instid1(VALU_DEP_1)
	v_dual_fmac_f32 v62, v33, v15 :: v_dual_fmac_f32 v61, v32, v14
	s_wait_loadcnt_dscnt 0x300
	v_dual_fmac_f32 v62, v41, v9 :: v_dual_fmac_f32 v61, v40, v8
	v_cndmask_b32_e64 v8, v52, v59, s4
	s_wait_loadcnt 0x2
	s_delay_alu instid0(VALU_DEP_2) | instskip(SKIP_1) | instid1(VALU_DEP_1)
	v_dual_fmac_f32 v62, v47, v11 :: v_dual_fmac_f32 v61, v46, v10
	s_wait_loadcnt 0x1
	v_dual_fmac_f32 v62, v43, v19 :: v_dual_fmac_f32 v61, v42, v18
	s_wait_loadcnt 0x0
	s_delay_alu instid0(VALU_DEP_1) | instskip(NEXT) | instid1(VALU_DEP_1)
	v_dual_fmac_f32 v62, v7, v21 :: v_dual_fmac_f32 v61, v6, v20
	v_dual_add_f32 v6, v61, v62 :: v_dual_lshlrev_b32 v7, 2, v8
	ds_bpermute_b32 v7, v7, v6
	s_and_saveexec_b32 s38, s3
	s_cbranch_execz .LBB25_10
; %bb.18:                               ;   in Loop: Header=BB25_12 Depth=1
	s_wait_dscnt 0x0
	v_dual_add_nc_u32 v8, v56, v0 :: v_dual_add_f32 v6, v6, v7
	s_delay_alu instid0(VALU_DEP_1) | instskip(NEXT) | instid1(VALU_DEP_1)
	v_cvt_f32_i32_e32 v8, v8
	v_mul_f32_e32 v8, s35, v8
	s_delay_alu instid0(VALU_DEP_1) | instskip(NEXT) | instid1(VALU_DEP_1)
	v_dual_cndmask_b32 v7, 0, v8 :: v_dual_max_num_f32 v8, v55, v55
	v_dual_fmac_f32 v7, s23, v6 :: v_dual_add_nc_u32 v6, v53, v0
	s_delay_alu instid0(VALU_DEP_1) | instskip(NEXT) | instid1(VALU_DEP_2)
	v_max_num_f32_e32 v8, v8, v7
	v_cmp_gt_i32_e64 s4, s31, v6
	s_delay_alu instid0(VALU_DEP_1)
	v_dual_cndmask_b32 v6, 0, v7, s4 :: v_dual_cndmask_b32 v55, v55, v8, s4
	ds_store_b32 v57, v6
	s_branch .LBB25_10
.LBB25_19:
	s_or_b32 exec_lo, exec_lo, s37
.LBB25_20:
	s_delay_alu instid0(SALU_CYCLE_1)
	s_or_b32 exec_lo, exec_lo, s22
	v_dual_max_num_f32 v3, v55, v55 :: v_dual_bitop2_b32 v0, 16, v52 bitop3:0x14
	v_xor_b32_e32 v2, 8, v52
	s_clause 0x1
	s_load_b64 s[4:5], s[0:1], 0x0
	s_load_b64 s[22:23], s[0:1], 0x18
	v_and_b32_e32 v54, 31, v63
	v_cmp_gt_i32_e32 vcc_lo, 32, v0
	v_cndmask_b32_e32 v0, v52, v0, vcc_lo
	v_cmp_gt_i32_e32 vcc_lo, 32, v2
	s_delay_alu instid0(VALU_DEP_2) | instskip(SKIP_3) | instid1(VALU_DEP_1)
	v_dual_cndmask_b32 v2, v52, v2, vcc_lo :: v_dual_lshlrev_b32 v0, 2, v0
	ds_bpermute_b32 v1, v0, v55
	s_wait_dscnt 0x0
	v_dual_max_num_f32 v4, v1, v1 :: v_dual_lshlrev_b32 v1, 2, v2
	v_max_num_f32_e32 v3, v3, v4
	ds_bpermute_b32 v2, v1, v3
	s_wait_dscnt 0x0
	v_dual_max_num_f32 v5, v2, v2 :: v_dual_bitop2_b32 v4, 4, v52 bitop3:0x14
	s_delay_alu instid0(VALU_DEP_1) | instskip(NEXT) | instid1(VALU_DEP_2)
	v_cmp_gt_i32_e32 vcc_lo, 32, v4
	v_dual_max_num_f32 v3, v3, v5 :: v_dual_bitop2_b32 v5, 2, v52 bitop3:0x14
	v_cndmask_b32_e32 v4, v52, v4, vcc_lo
	s_delay_alu instid0(VALU_DEP_2) | instskip(NEXT) | instid1(VALU_DEP_2)
	v_cmp_gt_i32_e32 vcc_lo, 32, v5
	v_dual_cndmask_b32 v5, v52, v5 :: v_dual_lshlrev_b32 v2, 2, v4
	s_delay_alu instid0(VALU_DEP_1) | instskip(SKIP_3) | instid1(VALU_DEP_1)
	v_lshlrev_b32_e32 v34, 2, v5
	ds_bpermute_b32 v4, v2, v3
	s_wait_dscnt 0x0
	v_max_num_f32_e32 v4, v4, v4
	v_max_num_f32_e32 v4, v3, v4
	v_lshlrev_b32_e32 v3, 2, v80
	v_cmp_eq_u32_e32 vcc_lo, 0, v54
	ds_bpermute_b32 v5, v34, v4
	s_wait_xcnt 0x0
	s_and_saveexec_b32 s0, vcc_lo
	s_cbranch_execz .LBB25_22
; %bb.21:
	s_wait_dscnt 0x0
	v_dual_max_num_f32 v5, v5, v5 :: v_dual_max_num_f32 v4, v4, v4
	s_delay_alu instid0(VALU_DEP_1)
	v_max_num_f32_e32 v4, v4, v5
	ds_store_b32 v3, v4 offset:768
.LBB25_22:
	s_or_b32 exec_lo, exec_lo, s0
	v_cmp_gt_u32_e64 s0, 4, v54
	s_wait_dscnt 0x0
	v_dual_mov_b32 v5, 0xff7fffff :: v_dual_lshlrev_b32 v4, 2, v54
	s_barrier_signal -1
	s_barrier_wait -1
	s_and_saveexec_b32 s1, s0
; %bb.23:
	ds_load_b32 v5, v4 offset:768
; %bb.24:
	s_or_b32 exec_lo, exec_lo, s1
	s_wait_dscnt 0x0
	ds_bpermute_b32 v6, v34, v5
	v_dual_max_num_f32 v5, v5, v5 :: v_dual_bitop2_b32 v7, 1, v52 bitop3:0x14
	s_delay_alu instid0(VALU_DEP_1) | instskip(NEXT) | instid1(VALU_DEP_1)
	v_cmp_gt_i32_e64 s1, 32, v7
	v_cndmask_b32_e64 v7, v52, v7, s1
	s_lshl_b32 s1, s34, 4
	s_delay_alu instid0(SALU_CYCLE_1) | instskip(NEXT) | instid1(SALU_CYCLE_1)
	s_min_i32 s15, s1, s31
	v_cmp_gt_i32_e64 s1, s15, v63
	s_wait_dscnt 0x0
	v_dual_max_num_f32 v6, v6, v6 :: v_dual_lshlrev_b32 v55, 2, v7
	s_delay_alu instid0(VALU_DEP_1) | instskip(SKIP_3) | instid1(VALU_DEP_1)
	v_max_num_f32_e32 v5, v5, v6
	ds_bpermute_b32 v6, v55, v5
	s_wait_dscnt 0x0
	v_max_num_f32_e32 v6, v6, v6
	v_dual_max_num_f32 v6, v5, v6 :: v_dual_mov_b32 v5, 0
	ds_bpermute_b32 v6, v5, v6
	s_and_saveexec_b32 s24, s1
	s_cbranch_execz .LBB25_28
; %bb.25:
	v_lshl_add_u32 v7, v63, 2, 0x320
	v_dual_mov_b32 v5, 0 :: v_dual_mov_b32 v8, v63
	s_mov_b32 s25, 0
.LBB25_26:                              ; =>This Inner Loop Header: Depth=1
	ds_load_b32 v9, v7
	v_add_nc_u32_e32 v8, 0x80, v8
	s_delay_alu instid0(VALU_DEP_1) | instskip(SKIP_3) | instid1(VALU_DEP_1)
	v_cmp_le_i32_e64 s3, s15, v8
	s_or_b32 s25, s3, s25
	s_wait_dscnt 0x0
	v_sub_f32_e32 v9, v9, v6
	v_mul_f32_e32 v9, 0x3fb8aa3b, v9
	s_delay_alu instid0(VALU_DEP_1)
	v_exp_f32_e32 v9, v9
	ds_store_b32 v7, v9
	v_nop
	v_add_f32_e32 v5, v5, v9
	v_add_nc_u32_e32 v7, 0x200, v7
	s_and_not1_b32 exec_lo, exec_lo, s25
	s_cbranch_execnz .LBB25_26
; %bb.27:
	s_or_b32 exec_lo, exec_lo, s25
.LBB25_28:
	s_delay_alu instid0(SALU_CYCLE_1)
	s_or_b32 exec_lo, exec_lo, s24
	ds_bpermute_b32 v0, v0, v5
	s_wait_dscnt 0x0
	v_add_f32_e32 v0, v5, v0
	ds_bpermute_b32 v1, v1, v0
	s_wait_dscnt 0x0
	v_add_f32_e32 v0, v0, v1
	;; [unrolled: 3-line block ×5, first 2 shown]
	s_and_saveexec_b32 s3, vcc_lo
; %bb.29:
	ds_store_b32 v3, v0 offset:784
; %bb.30:
	s_or_b32 exec_lo, exec_lo, s3
	s_wait_dscnt 0x0
	s_barrier_signal -1
	s_barrier_wait -1
	s_and_saveexec_b32 s3, s0
; %bb.31:
	ds_load_b32 v0, v4 offset:784
; %bb.32:
	s_or_b32 exec_lo, exec_lo, s3
	s_wait_dscnt 0x0
	ds_bpermute_b32 v1, v34, v0
	s_wait_dscnt 0x0
	v_dual_mov_b32 v59, 0 :: v_dual_add_f32 v0, v0, v1
	ds_bpermute_b32 v1, v55, v0
	s_wait_dscnt 0x0
	v_add_f32_e32 v0, v0, v1
	ds_bpermute_b32 v0, v59, v0
	s_and_saveexec_b32 s0, s1
	s_cbranch_execz .LBB25_45
; %bb.33:
	s_wait_dscnt 0x0
	v_add_f32_e32 v0, 0x358637bd, v0
	s_mov_b32 s3, -1
	s_mov_b32 s1, exec_lo
	s_delay_alu instid0(VALU_DEP_1) | instskip(SKIP_1) | instid1(VALU_DEP_2)
	v_div_scale_f32 v1, null, v0, v0, 1.0
	v_div_scale_f32 v4, vcc_lo, 1.0, v0, 1.0
	v_rcp_f32_e32 v2, v1
	v_nop
	s_delay_alu instid0(TRANS32_DEP_1) | instskip(NEXT) | instid1(VALU_DEP_1)
	v_fma_f32 v3, -v1, v2, 1.0
	v_fmac_f32_e32 v2, v3, v2
	s_delay_alu instid0(VALU_DEP_1) | instskip(NEXT) | instid1(VALU_DEP_1)
	v_mul_f32_e32 v3, v4, v2
	v_fma_f32 v5, -v1, v3, v4
	s_delay_alu instid0(VALU_DEP_1) | instskip(NEXT) | instid1(VALU_DEP_1)
	v_fmac_f32_e32 v3, v5, v2
	v_fma_f32 v4, -v1, v3, v4
	v_xad_u32 v1, v63, -1, s15
	s_delay_alu instid0(VALU_DEP_2) | instskip(NEXT) | instid1(VALU_DEP_1)
	v_div_fmas_f32 v2, v4, v2, v3
	v_div_fixup_f32 v2, v2, v0, 1.0
	v_mov_b32_e32 v0, v63
	s_delay_alu instid0(VALU_DEP_4)
	v_cmpx_lt_u32_e32 0x7f, v1
	s_cbranch_execz .LBB25_42
; %bb.34:
	s_delay_alu instid0(VALU_DEP_3) | instskip(NEXT) | instid1(VALU_DEP_1)
	v_dual_mov_b32 v3, v2 :: v_dual_lshrrev_b32 v0, 7, v1
	v_dual_mov_b32 v6, 0 :: v_dual_add_nc_u32 v1, -1, v0
	s_delay_alu instid0(VALU_DEP_1) | instskip(SKIP_1) | instid1(VALU_DEP_2)
	v_lshrrev_b32_e32 v4, 1, v1
	v_cmp_lt_u32_e32 vcc_lo, 13, v1
	v_add_nc_u32_e32 v1, 1, v4
	s_and_saveexec_b32 s3, vcc_lo
	s_cbranch_execz .LBB25_38
; %bb.35:
	s_delay_alu instid0(VALU_DEP_1)
	v_and_b32_e32 v4, -8, v1
	v_lshl_add_u32 v5, v63, 2, 0x320
	s_mov_b32 s24, 0
	s_mov_b32 s25, 0
.LBB25_36:                              ; =>This Inner Loop Header: Depth=1
	ds_load_2addr_stride64_b32 v[6:7], v5 offset1:2
	ds_load_2addr_stride64_b32 v[8:9], v5 offset0:4 offset1:6
	ds_load_2addr_stride64_b32 v[10:11], v5 offset0:8 offset1:10
	;; [unrolled: 1-line block ×7, first 2 shown]
	s_add_co_i32 s25, s25, 16
	v_add_nc_u32_e32 v4, -8, v4
	s_wait_dscnt 0x7
	v_pk_mul_f32 v[6:7], v[2:3], v[6:7]
	s_wait_dscnt 0x6
	v_pk_mul_f32 v[8:9], v[2:3], v[8:9]
	;; [unrolled: 2-line block ×8, first 2 shown]
	ds_store_2addr_stride64_b32 v5, v6, v7 offset1:2
	ds_store_2addr_stride64_b32 v5, v8, v9 offset0:4 offset1:6
	ds_store_2addr_stride64_b32 v5, v10, v11 offset0:8 offset1:10
	;; [unrolled: 1-line block ×7, first 2 shown]
	v_mov_b32_e32 v6, s25
	v_cmp_eq_u32_e32 vcc_lo, 0, v4
	v_add_nc_u32_e32 v5, 0x2000, v5
	s_or_b32 s24, vcc_lo, s24
	s_delay_alu instid0(SALU_CYCLE_1)
	s_and_not1_b32 exec_lo, exec_lo, s24
	s_cbranch_execnz .LBB25_36
; %bb.37:
	s_or_b32 exec_lo, exec_lo, s24
.LBB25_38:
	s_delay_alu instid0(SALU_CYCLE_1) | instskip(NEXT) | instid1(VALU_DEP_1)
	s_or_b32 exec_lo, exec_lo, s3
	v_and_b32_e32 v1, 7, v1
	s_mov_b32 s24, 0
	s_mov_b32 s3, exec_lo
	s_delay_alu instid0(VALU_DEP_1)
	v_cmpx_ne_u32_e32 0, v1
	s_cbranch_execz .LBB25_41
; %bb.39:
	v_lshlrev_b32_e32 v4, 9, v6
	s_delay_alu instid0(VALU_DEP_1)
	v_add3_u32 v4, v4, v50, 0x320
.LBB25_40:                              ; =>This Inner Loop Header: Depth=1
	ds_load_2addr_stride64_b32 v[6:7], v4 offset1:2
	v_add_nc_u32_e32 v1, -1, v1
	s_delay_alu instid0(VALU_DEP_1)
	v_cmp_eq_u32_e32 vcc_lo, 0, v1
	s_or_b32 s24, vcc_lo, s24
	s_wait_dscnt 0x0
	v_pk_mul_f32 v[6:7], v[2:3], v[6:7]
	ds_store_2addr_stride64_b32 v4, v6, v7 offset1:2
	v_add_nc_u32_e32 v4, 0x400, v4
	s_and_not1_b32 exec_lo, exec_lo, s24
	s_cbranch_execnz .LBB25_40
.LBB25_41:
	s_or_b32 exec_lo, exec_lo, s3
	v_add_nc_u32_e32 v0, 1, v0
	s_delay_alu instid0(VALU_DEP_1) | instskip(NEXT) | instid1(VALU_DEP_1)
	v_and_b32_e32 v1, 0x3fffffe, v0
	v_cmp_ne_u32_e32 vcc_lo, v0, v1
	v_lshl_add_u32 v0, v1, 7, v63
	s_or_not1_b32 s3, vcc_lo, exec_lo
.LBB25_42:
	s_or_b32 exec_lo, exec_lo, s1
	s_delay_alu instid0(SALU_CYCLE_1)
	s_and_b32 exec_lo, exec_lo, s3
	s_cbranch_execz .LBB25_45
; %bb.43:
	v_lshl_add_u32 v1, v0, 2, 0x320
	s_mov_b32 s1, 0
.LBB25_44:                              ; =>This Inner Loop Header: Depth=1
	ds_load_b32 v3, v1
	s_wait_dscnt 0x0
	v_dual_mul_f32 v3, v2, v3 :: v_dual_add_nc_u32 v0, 0x80, v0
	s_delay_alu instid0(VALU_DEP_1) | instskip(SKIP_3) | instid1(SALU_CYCLE_1)
	v_cmp_le_i32_e32 vcc_lo, s15, v0
	ds_store_b32 v1, v3
	v_add_nc_u32_e32 v1, 0x200, v1
	s_or_b32 s1, vcc_lo, s1
	s_and_not1_b32 exec_lo, exec_lo, s1
	s_cbranch_execnz .LBB25_44
.LBB25_45:
	s_or_b32 exec_lo, exec_lo, s0
	v_dual_mov_b32 v58, 0 :: v_dual_bitop2_b32 v56, 3, v63 bitop3:0x40
	v_dual_mov_b32 v47, 0 :: v_dual_mov_b32 v46, 0
	v_dual_mov_b32 v45, 0 :: v_dual_mov_b32 v44, 0
	;; [unrolled: 1-line block ×11, first 2 shown]
	s_wait_dscnt 0x0
	s_barrier_signal -1
	s_barrier_wait -1
	s_and_saveexec_b32 s24, s2
	s_cbranch_execz .LBB25_99
; %bb.46:
	s_abs_i32 s10, s10
	v_dual_lshlrev_b32 v2, 4, v63 :: v_dual_bitop2_b32 v0, 12, v50 bitop3:0x40
	s_cvt_f32_u32 s0, s10
	v_dual_mov_b32 v103, 0 :: v_dual_lshlrev_b32 v4, 4, v56
	s_sub_co_i32 s25, s8, s9
	s_delay_alu instid0(SALU_CYCLE_1)
	v_rcp_iflag_f32_e32 v1, s0
	s_ashr_i32 s15, s14, 31
	v_and_b32_e32 v2, 0x1f0, v2
	v_mov_b32_e32 v3, v103
	s_lshl_b64 s[14:15], s[14:15], 2
	s_clause 0x2
	scratch_store_b32 off, v55, off offset:52
	scratch_store_b32 off, v34, off offset:48
	;; [unrolled: 1-line block ×3, first 2 shown]
	s_wait_kmcnt 0x0
	s_add_nc_u64 s[14:15], s[22:23], s[14:15]
	v_readfirstlane_b32 s8, v1
	v_mov_b32_e32 v1, v103
	v_add_nc_u64_e32 v[2:3], s[14:15], v[2:3]
	s_clause 0x3
	scratch_store_b32 off, v0, off offset:24
	scratch_store_b32 off, v63, off offset:36
	;; [unrolled: 1-line block ×4, first 2 shown]
	s_mul_f32 s8, s8, 0x4f7ffffe
	s_wait_xcnt 0x3
	v_and_b32_e32 v0, 0x7c, v51
	s_lshl_b64 s[0:1], s[20:21], 2
	v_lshl_or_b32 v4, v80, 6, v4
	s_cvt_u32_f32 s8, s8
	s_add_nc_u64 s[0:1], s[18:19], s[0:1]
	s_sub_co_i32 s20, 0, s10
	v_add_nc_u64_e32 v[104:105], s[0:1], v[0:1]
	s_mul_i32 s20, s20, s8
	scratch_store_b64 off, v[2:3], off offset:28 ; 8-byte Folded Spill
	v_dual_mov_b32 v1, v80 :: v_dual_add_nc_u32 v0, 0x320, v4
	v_dual_mov_b32 v126, v103 :: v_dual_mov_b32 v127, v103
	v_dual_mov_b32 v124, v103 :: v_dual_mov_b32 v125, v103
	;; [unrolled: 1-line block ×9, first 2 shown]
	s_wait_xcnt 0x0
	v_dual_mov_b32 v2, v103 :: v_dual_mov_b32 v3, v103
	s_mov_b32 s9, 0
	s_mul_hi_u32 s15, s8, s20
	s_ashr_i32 s3, s13, 31
	s_mov_b32 s2, s13
	s_add_co_i32 s13, s34, -1
	s_mov_b32 s14, s31
	s_add_co_i32 s8, s8, s15
	s_mov_b32 s15, s9
	s_clause 0x2
	scratch_store_b64 off, v[2:3], off offset:16
	scratch_store_b64 off, v[2:3], off offset:8
	scratch_store_b64 off, v[2:3], off
	s_branch .LBB25_49
.LBB25_47:                              ;   in Loop: Header=BB25_49 Depth=1
	s_or_b32 exec_lo, exec_lo, s1
	s_wait_loadcnt_dscnt 0x200
	v_mul_f32_e32 v94, v6, v94
	s_wait_loadcnt 0x1
	v_mul_f32_e32 v98, v6, v98
	v_mul_f32_e32 v90, v6, v90
	;; [unrolled: 1-line block ×3, first 2 shown]
	v_dual_mul_f32 v78, v6, v78 :: v_dual_fmac_f32 v94, v7, v95
	s_delay_alu instid0(VALU_DEP_4) | instskip(NEXT) | instid1(VALU_DEP_4)
	v_fmac_f32_e32 v98, v7, v99
	v_dual_fmac_f32 v90, v7, v91 :: v_dual_mul_f32 v74, v6, v74
	s_delay_alu instid0(VALU_DEP_3) | instskip(NEXT) | instid1(VALU_DEP_3)
	v_dual_mul_f32 v66, v6, v66 :: v_dual_fmac_f32 v78, v7, v79
	v_dual_mul_f32 v62, v6, v62 :: v_dual_fmac_f32 v98, v8, v100
	s_delay_alu instid0(VALU_DEP_3) | instskip(NEXT) | instid1(VALU_DEP_3)
	v_fmac_f32_e32 v90, v8, v92
	v_dual_fmac_f32 v66, v7, v67 :: v_dual_mul_f32 v58, v6, v58
	s_delay_alu instid0(VALU_DEP_3) | instskip(NEXT) | instid1(VALU_DEP_4)
	v_fmac_f32_e32 v62, v7, v63
	v_fmac_f32_e32 v98, v9, v101
	;; [unrolled: 1-line block ×4, first 2 shown]
	scratch_load_b64 v[92:93], off, off offset:8 th:TH_LOAD_LU ; 8-byte Folded Reload
	v_fmac_f32_e32 v78, v8, v80
	v_dual_fmac_f32 v66, v8, v68 :: v_dual_mul_f32 v46, v6, v46
	v_fmac_f32_e32 v86, v8, v88
	v_dual_fmac_f32 v62, v8, v64 :: v_dual_mul_f32 v42, v6, v42
	s_delay_alu instid0(VALU_DEP_3) | instskip(NEXT) | instid1(VALU_DEP_3)
	v_dual_mul_f32 v26, v6, v26 :: v_dual_fmac_f32 v46, v7, v47
	v_fmac_f32_e32 v86, v9, v89
	scratch_load_b64 v[88:89], off, off th:TH_LOAD_LU ; 8-byte Folded Reload
	v_dual_fmac_f32 v42, v7, v43 :: v_dual_mul_f32 v22, v6, v22
	v_dual_fmac_f32 v62, v9, v65 :: v_dual_mul_f32 v38, v6, v38
	v_fmac_f32_e32 v78, v9, v81
	v_fmac_f32_e32 v26, v7, v27
	s_delay_alu instid0(VALU_DEP_4) | instskip(SKIP_2) | instid1(VALU_DEP_4)
	v_fmac_f32_e32 v42, v8, v44
	v_dual_fmac_f32 v22, v7, v23 :: v_dual_mul_f32 v23, v6, v18
	v_add_f32_e32 v112, v112, v62
	v_fmac_f32_e32 v26, v8, v28
	s_delay_alu instid0(VALU_DEP_4) | instskip(NEXT) | instid1(VALU_DEP_4)
	v_dual_fmac_f32 v42, v9, v45 :: v_dual_mul_f32 v10, v6, v10
	v_fmac_f32_e32 v23, v7, v19
	v_fmac_f32_e32 v38, v7, v39
	s_delay_alu instid0(VALU_DEP_4)
	v_fmac_f32_e32 v26, v9, v29
	v_fmac_f32_e32 v46, v8, v48
	s_wait_loadcnt 0x2
	v_pk_mul_f32 v[18:19], v[6:7], v[82:83]
	v_fmac_f32_e32 v23, v8, v20
	v_dual_fmac_f32 v38, v8, v40 :: v_dual_add_f32 v123, v123, v26
	v_fmac_f32_e32 v46, v9, v49
	v_fmac_f32_e32 v66, v9, v69
	;; [unrolled: 1-line block ×3, first 2 shown]
	s_delay_alu instid0(VALU_DEP_4) | instskip(NEXT) | instid1(VALU_DEP_4)
	v_dual_fmac_f32 v38, v9, v41 :: v_dual_mul_f32 v70, v6, v70
	v_add_f32_e32 v116, v116, v46
	s_delay_alu instid0(VALU_DEP_3) | instskip(NEXT) | instid1(VALU_DEP_3)
	v_dual_mul_f32 v54, v6, v54 :: v_dual_fmac_f32 v10, v8, v12
	v_dual_add_f32 v113, v113, v66 :: v_dual_fmac_f32 v70, v7, v71
	s_delay_alu instid0(VALU_DEP_2) | instskip(NEXT) | instid1(VALU_DEP_3)
	v_dual_mul_f32 v34, v6, v34 :: v_dual_fmac_f32 v54, v7, v55
	v_dual_fmac_f32 v10, v9, v13 :: v_dual_mul_f32 v50, v6, v50
	s_delay_alu instid0(VALU_DEP_3) | instskip(NEXT) | instid1(VALU_DEP_3)
	v_dual_fmac_f32 v70, v8, v72 :: v_dual_add_f32 v118, v118, v38
	v_dual_fmac_f32 v54, v8, v56 :: v_dual_mul_f32 v30, v6, v30
	s_delay_alu instid0(VALU_DEP_3) | instskip(NEXT) | instid1(VALU_DEP_4)
	v_dual_fmac_f32 v50, v7, v51 :: v_dual_fmac_f32 v23, v9, v21
	v_add_f32_e32 v127, v127, v10
	s_delay_alu instid0(VALU_DEP_3) | instskip(NEXT) | instid1(VALU_DEP_3)
	v_dual_mul_f32 v14, v6, v14 :: v_dual_fmac_f32 v30, v7, v31
	v_dual_add_f32 v125, v125, v23 :: v_dual_fmac_f32 v22, v8, v24
	s_delay_alu instid0(VALU_DEP_2) | instskip(NEXT) | instid1(VALU_DEP_3)
	v_fmac_f32_e32 v14, v7, v15
	v_fmac_f32_e32 v30, v8, v32
	s_delay_alu instid0(VALU_DEP_3) | instskip(SKIP_1) | instid1(VALU_DEP_3)
	v_fmac_f32_e32 v22, v9, v25
	v_fmac_f32_e32 v54, v9, v57
	;; [unrolled: 1-line block ×3, first 2 shown]
	s_delay_alu instid0(VALU_DEP_3) | instskip(SKIP_4) | instid1(VALU_DEP_4)
	v_dual_fmac_f32 v14, v8, v16 :: v_dual_add_f32 v122, v122, v22
	v_mul_f32_e32 v22, v6, v2
	v_dual_add_f32 v6, v19, v18 :: v_dual_fmac_f32 v70, v9, v73
	v_add_f32_e32 v114, v114, v54
	v_add_f32_e32 v119, v119, v42
	v_fmac_f32_e32 v22, v7, v3
	v_pk_mul_f32 v[2:3], v[8:9], v[84:85]
	v_dual_fmac_f32 v34, v7, v35 :: v_dual_add_f32 v120, v120, v30
	s_delay_alu instid0(VALU_DEP_3) | instskip(NEXT) | instid1(VALU_DEP_2)
	v_dual_add_f32 v110, v110, v70 :: v_dual_fmac_f32 v22, v8, v4
	v_dual_add_f32 v2, v2, v6 :: v_dual_fmac_f32 v34, v8, v36
	v_fmac_f32_e32 v14, v9, v17
	s_delay_alu instid0(VALU_DEP_2) | instskip(NEXT) | instid1(VALU_DEP_3)
	v_dual_fmac_f32 v22, v9, v5 :: v_dual_add_f32 v2, v3, v2
	v_fmac_f32_e32 v34, v9, v37
	v_fmac_f32_e32 v50, v8, v52
	s_delay_alu instid0(VALU_DEP_4) | instskip(NEXT) | instid1(VALU_DEP_4)
	v_add_f32_e32 v124, v124, v14
	v_add_f32_e32 v126, v126, v22
	s_delay_alu instid0(VALU_DEP_4) | instskip(NEXT) | instid1(VALU_DEP_4)
	v_add_f32_e32 v121, v121, v34
	v_fmac_f32_e32 v50, v9, v53
	s_delay_alu instid0(VALU_DEP_1) | instskip(NEXT) | instid1(VALU_DEP_1)
	v_dual_fmac_f32 v58, v7, v59 :: v_dual_add_f32 v117, v117, v50
	v_fmac_f32_e32 v58, v8, v60
	s_delay_alu instid0(VALU_DEP_1) | instskip(NEXT) | instid1(VALU_DEP_1)
	v_fmac_f32_e32 v58, v9, v61
	v_add_f32_e32 v115, v115, v58
	s_wait_loadcnt 0x1
	v_add_f32_e32 v92, v92, v90
	scratch_load_b64 v[90:91], off, off offset:16 th:TH_LOAD_LU ; 8-byte Folded Reload
	v_fmac_f32_e32 v94, v8, v96
	s_wait_loadcnt 0x1
	v_dual_fmac_f32 v74, v7, v75 :: v_dual_add_f32 v88, v88, v98
	v_add_f32_e32 v89, v89, v2
	scratch_store_b64 off, v[88:89], off    ; 8-byte Folded Spill
	s_wait_loadcnt 0x0
	v_dual_add_f32 v91, v91, v86 :: v_dual_fmac_f32 v94, v9, v97
	v_dual_add_f32 v90, v90, v78 :: v_dual_fmac_f32 v74, v8, v76
	s_delay_alu instid0(VALU_DEP_2)
	v_add_f32_e32 v93, v93, v94
	scratch_store_b64 off, v[90:91], off offset:16 ; 8-byte Folded Spill
	v_fmac_f32_e32 v74, v9, v77
	scratch_store_b64 off, v[92:93], off offset:8 ; 8-byte Folded Spill
	v_add_f32_e32 v111, v111, v74
.LBB25_48:                              ;   in Loop: Header=BB25_49 Depth=1
	s_wait_xcnt 0x0
	s_or_b32 exec_lo, exec_lo, s18
	v_dual_add_nc_u32 v1, 4, v1 :: v_dual_add_nc_u32 v102, 64, v102
	v_add_nc_u64_e32 v[104:105], 16, v[104:105]
	v_add_nc_u32_e32 v0, 0x100, v0
	s_delay_alu instid0(VALU_DEP_3) | instskip(SKIP_1) | instid1(SALU_CYCLE_1)
	v_cmp_le_i32_e32 vcc_lo, s34, v1
	s_or_b32 s15, vcc_lo, s15
	s_and_not1_b32 exec_lo, exec_lo, s15
	s_cbranch_execz .LBB25_98
.LBB25_49:                              ; =>This Inner Loop Header: Depth=1
	s_wait_xcnt 0x0
	v_mul_u64_e32 v[2:3], s[16:17], v[102:103]
	s_delay_alu instid0(VALU_DEP_1) | instskip(NEXT) | instid1(VALU_DEP_1)
	v_mul_lo_u32 v2, v3, s12
	v_dual_add_nc_u32 v4, 1, v3 :: v_dual_sub_nc_u32 v2, v102, v2
	s_delay_alu instid0(VALU_DEP_1) | instskip(SKIP_1) | instid1(VALU_DEP_2)
	v_subrev_nc_u32_e32 v5, s12, v2
	v_cmp_le_u32_e32 vcc_lo, s12, v2
	v_dual_cndmask_b32 v3, v3, v4 :: v_dual_cndmask_b32 v2, v2, v5
	s_delay_alu instid0(VALU_DEP_1) | instskip(NEXT) | instid1(VALU_DEP_2)
	v_add_nc_u32_e32 v4, 1, v3
	v_cmp_le_u32_e32 vcc_lo, s12, v2
	s_delay_alu instid0(VALU_DEP_2) | instskip(NEXT) | instid1(VALU_DEP_1)
	v_cndmask_b32_e32 v2, v3, v4, vcc_lo
	v_dual_mov_b32 v3, v103 :: v_dual_bitop2_b32 v2, s11, v2 bitop3:0x14
	s_delay_alu instid0(VALU_DEP_1) | instskip(NEXT) | instid1(VALU_DEP_1)
	v_subrev_nc_u32_e32 v6, s11, v2
	v_add_nc_u32_e32 v7, s33, v6
	v_cmp_lt_i32_e64 s0, s25, v6
	s_delay_alu instid0(VALU_DEP_2) | instskip(NEXT) | instid1(VALU_DEP_1)
	v_sub_nc_u32_e32 v2, 0, v7
	v_max_i32_e32 v2, v7, v2
	s_delay_alu instid0(VALU_DEP_1) | instskip(SKIP_1) | instid1(VALU_DEP_2)
	v_mul_u64_e32 v[4:5], s[8:9], v[2:3]
	v_ashrrev_i32_e32 v4, 31, v7
	v_mul_lo_u32 v3, v5, s10
	s_delay_alu instid0(VALU_DEP_1) | instskip(NEXT) | instid1(VALU_DEP_1)
	v_sub_nc_u32_e32 v2, v2, v3
	v_subrev_nc_u32_e32 v3, s10, v2
	v_cmp_le_u32_e32 vcc_lo, s10, v2
	s_delay_alu instid0(VALU_DEP_2) | instskip(NEXT) | instid1(VALU_DEP_1)
	v_cndmask_b32_e32 v2, v2, v3, vcc_lo
	v_subrev_nc_u32_e32 v3, s10, v2
	v_cmp_le_u32_e32 vcc_lo, s10, v2
	s_delay_alu instid0(VALU_DEP_2) | instskip(NEXT) | instid1(VALU_DEP_1)
	v_cndmask_b32_e32 v2, v2, v3, vcc_lo
	v_xor_b32_e32 v2, v2, v4
	s_delay_alu instid0(VALU_DEP_1) | instskip(NEXT) | instid1(VALU_DEP_1)
	v_sub_nc_u32_e32 v2, v2, v4
	v_cmp_eq_u32_e32 vcc_lo, 0, v2
	s_or_b32 s0, vcc_lo, s0
	s_delay_alu instid0(SALU_CYCLE_1)
	s_and_saveexec_b32 s18, s0
	s_cbranch_execz .LBB25_48
; %bb.50:                               ;   in Loop: Header=BB25_49 Depth=1
	global_load_b32 v2, v[104:105], off
	s_clause 0x1
	scratch_load_b64 v[4:5], off, off offset:28
	scratch_load_b32 v10, off, off offset:24
	ds_load_b128 v[6:9], v0
	v_cmp_eq_u32_e32 vcc_lo, s13, v1
	s_wait_loadcnt 0x0
	v_add_nc_u32_e32 v107, v10, v102
	s_delay_alu instid0(VALU_DEP_1) | instskip(NEXT) | instid1(VALU_DEP_1)
	v_dual_ashrrev_i32 v3, 31, v2 :: v_dual_add_nc_u32 v109, 1, v107
	v_mul_u64_e32 v[2:3], s[2:3], v[2:3]
	v_or_b32_e32 v106, 3, v107
	v_or_b32_e32 v108, 2, v107
	s_delay_alu instid0(VALU_DEP_3)
	v_lshl_add_u64 v[82:83], v[2:3], 2, v[4:5]
	global_load_b128 v[2:5], v[82:83], off
	s_wait_xcnt 0x0
	s_and_saveexec_b32 s1, vcc_lo
	s_cbranch_execnz .LBB25_74
; %bb.51:                               ;   in Loop: Header=BB25_49 Depth=1
	s_or_b32 exec_lo, exec_lo, s1
	global_load_b128 v[10:13], v[82:83], off offset:512
	s_wait_xcnt 0x0
	s_and_saveexec_b32 s1, vcc_lo
	s_cbranch_execnz .LBB25_75
.LBB25_52:                              ;   in Loop: Header=BB25_49 Depth=1
	s_or_b32 exec_lo, exec_lo, s1
	global_load_b128 v[14:17], v[82:83], off offset:1024
	s_wait_xcnt 0x0
	s_and_saveexec_b32 s1, vcc_lo
	s_cbranch_execnz .LBB25_76
.LBB25_53:                              ;   in Loop: Header=BB25_49 Depth=1
	s_or_b32 exec_lo, exec_lo, s1
	global_load_b128 v[18:21], v[82:83], off offset:1536
	s_wait_xcnt 0x0
	s_and_saveexec_b32 s1, vcc_lo
	s_cbranch_execnz .LBB25_77
.LBB25_54:                              ;   in Loop: Header=BB25_49 Depth=1
	s_or_b32 exec_lo, exec_lo, s1
	global_load_b128 v[22:25], v[82:83], off offset:2048
	s_wait_xcnt 0x0
	s_and_saveexec_b32 s1, vcc_lo
	s_cbranch_execnz .LBB25_78
.LBB25_55:                              ;   in Loop: Header=BB25_49 Depth=1
	s_or_b32 exec_lo, exec_lo, s1
	global_load_b128 v[26:29], v[82:83], off offset:2560
	s_wait_xcnt 0x0
	s_and_saveexec_b32 s1, vcc_lo
	s_cbranch_execnz .LBB25_79
.LBB25_56:                              ;   in Loop: Header=BB25_49 Depth=1
	s_or_b32 exec_lo, exec_lo, s1
	global_load_b128 v[30:33], v[82:83], off offset:3072
	s_wait_xcnt 0x0
	s_and_saveexec_b32 s1, vcc_lo
	s_cbranch_execnz .LBB25_80
.LBB25_57:                              ;   in Loop: Header=BB25_49 Depth=1
	s_or_b32 exec_lo, exec_lo, s1
	global_load_b128 v[34:37], v[82:83], off offset:3584
	s_wait_xcnt 0x0
	s_and_saveexec_b32 s1, vcc_lo
	s_cbranch_execnz .LBB25_81
.LBB25_58:                              ;   in Loop: Header=BB25_49 Depth=1
	s_or_b32 exec_lo, exec_lo, s1
	global_load_b128 v[38:41], v[82:83], off offset:4096
	s_wait_xcnt 0x0
	s_and_saveexec_b32 s1, vcc_lo
	s_cbranch_execnz .LBB25_82
.LBB25_59:                              ;   in Loop: Header=BB25_49 Depth=1
	s_or_b32 exec_lo, exec_lo, s1
	global_load_b128 v[42:45], v[82:83], off offset:4608
	s_wait_xcnt 0x0
	s_and_saveexec_b32 s1, vcc_lo
	s_cbranch_execnz .LBB25_83
.LBB25_60:                              ;   in Loop: Header=BB25_49 Depth=1
	s_or_b32 exec_lo, exec_lo, s1
	global_load_b128 v[46:49], v[82:83], off offset:5120
	s_wait_xcnt 0x0
	s_and_saveexec_b32 s1, vcc_lo
	s_cbranch_execnz .LBB25_84
.LBB25_61:                              ;   in Loop: Header=BB25_49 Depth=1
	s_or_b32 exec_lo, exec_lo, s1
	global_load_b128 v[50:53], v[82:83], off offset:5632
	s_wait_xcnt 0x0
	s_and_saveexec_b32 s1, vcc_lo
	s_cbranch_execnz .LBB25_85
.LBB25_62:                              ;   in Loop: Header=BB25_49 Depth=1
	s_or_b32 exec_lo, exec_lo, s1
	global_load_b128 v[54:57], v[82:83], off offset:6144
	s_wait_xcnt 0x0
	s_and_saveexec_b32 s1, vcc_lo
	s_cbranch_execnz .LBB25_86
.LBB25_63:                              ;   in Loop: Header=BB25_49 Depth=1
	s_or_b32 exec_lo, exec_lo, s1
	global_load_b128 v[58:61], v[82:83], off offset:6656
	s_wait_xcnt 0x0
	s_and_saveexec_b32 s1, vcc_lo
	s_cbranch_execnz .LBB25_87
.LBB25_64:                              ;   in Loop: Header=BB25_49 Depth=1
	s_or_b32 exec_lo, exec_lo, s1
	global_load_b128 v[62:65], v[82:83], off offset:7168
	s_wait_xcnt 0x0
	s_and_saveexec_b32 s1, vcc_lo
	s_cbranch_execnz .LBB25_88
.LBB25_65:                              ;   in Loop: Header=BB25_49 Depth=1
	s_or_b32 exec_lo, exec_lo, s1
	global_load_b128 v[66:69], v[82:83], off offset:7680
	s_wait_xcnt 0x0
	s_and_saveexec_b32 s1, vcc_lo
	s_cbranch_execnz .LBB25_89
.LBB25_66:                              ;   in Loop: Header=BB25_49 Depth=1
	s_or_b32 exec_lo, exec_lo, s1
	global_load_b128 v[70:73], v[82:83], off offset:8192
	s_wait_xcnt 0x0
	s_and_saveexec_b32 s1, vcc_lo
	s_cbranch_execnz .LBB25_90
.LBB25_67:                              ;   in Loop: Header=BB25_49 Depth=1
	s_or_b32 exec_lo, exec_lo, s1
	global_load_b128 v[74:77], v[82:83], off offset:8704
	s_wait_xcnt 0x0
	s_and_saveexec_b32 s1, vcc_lo
	s_cbranch_execnz .LBB25_91
.LBB25_68:                              ;   in Loop: Header=BB25_49 Depth=1
	s_or_b32 exec_lo, exec_lo, s1
	global_load_b128 v[78:81], v[82:83], off offset:9216
	s_wait_xcnt 0x0
	s_and_saveexec_b32 s1, vcc_lo
	s_cbranch_execnz .LBB25_92
.LBB25_69:                              ;   in Loop: Header=BB25_49 Depth=1
	s_or_b32 exec_lo, exec_lo, s1
	global_load_b128 v[86:89], v[82:83], off offset:9728
	s_wait_xcnt 0x0
	s_and_saveexec_b32 s19, vcc_lo
	s_cbranch_execnz .LBB25_93
.LBB25_70:                              ;   in Loop: Header=BB25_49 Depth=1
	s_or_b32 exec_lo, exec_lo, s19
	global_load_b128 v[90:93], v[82:83], off offset:10240
	s_wait_xcnt 0x0
	s_and_saveexec_b32 s19, vcc_lo
	s_cbranch_execnz .LBB25_94
.LBB25_71:                              ;   in Loop: Header=BB25_49 Depth=1
	s_or_b32 exec_lo, exec_lo, s19
	global_load_b128 v[94:97], v[82:83], off offset:10752
	s_wait_xcnt 0x0
	s_and_saveexec_b32 s19, vcc_lo
	s_cbranch_execnz .LBB25_95
.LBB25_72:                              ;   in Loop: Header=BB25_49 Depth=1
	s_or_b32 exec_lo, exec_lo, s19
	global_load_b128 v[98:101], v[82:83], off offset:11264
	s_wait_xcnt 0x0
	s_and_saveexec_b32 s19, vcc_lo
	s_cbranch_execnz .LBB25_96
.LBB25_73:                              ;   in Loop: Header=BB25_49 Depth=1
	s_or_b32 exec_lo, exec_lo, s19
	global_load_b128 v[82:85], v[82:83], off offset:11776
	s_wait_xcnt 0x0
	s_and_saveexec_b32 s1, vcc_lo
	s_cbranch_execz .LBB25_47
	s_branch .LBB25_97
.LBB25_74:                              ;   in Loop: Header=BB25_49 Depth=1
	v_cmp_gt_i32_e64 s0, s14, v109
	s_wait_loadcnt 0x0
	s_delay_alu instid0(VALU_DEP_1) | instskip(SKIP_1) | instid1(VALU_DEP_1)
	v_cndmask_b32_e64 v3, 0, v3, s0
	v_cmp_gt_i32_e64 s0, s31, v107
	v_cndmask_b32_e64 v2, 0, v2, s0
	v_cmp_gt_i32_e64 s0, s14, v106
	s_delay_alu instid0(VALU_DEP_1) | instskip(SKIP_1) | instid1(VALU_DEP_1)
	v_cndmask_b32_e64 v5, 0, v5, s0
	v_cmp_gt_i32_e64 s0, s31, v108
	v_cndmask_b32_e64 v4, 0, v4, s0
	s_or_b32 exec_lo, exec_lo, s1
	global_load_b128 v[10:13], v[82:83], off offset:512
	s_wait_xcnt 0x0
	s_and_saveexec_b32 s1, vcc_lo
	s_cbranch_execz .LBB25_52
.LBB25_75:                              ;   in Loop: Header=BB25_49 Depth=1
	v_cmp_gt_i32_e64 s0, s14, v109
	s_wait_loadcnt 0x0
	s_delay_alu instid0(VALU_DEP_1) | instskip(SKIP_1) | instid1(VALU_DEP_1)
	v_cndmask_b32_e64 v11, 0, v11, s0
	v_cmp_gt_i32_e64 s0, s31, v107
	v_cndmask_b32_e64 v10, 0, v10, s0
	v_cmp_gt_i32_e64 s0, s14, v106
	s_delay_alu instid0(VALU_DEP_1) | instskip(SKIP_1) | instid1(VALU_DEP_1)
	v_cndmask_b32_e64 v13, 0, v13, s0
	v_cmp_gt_i32_e64 s0, s31, v108
	v_cndmask_b32_e64 v12, 0, v12, s0
	s_or_b32 exec_lo, exec_lo, s1
	global_load_b128 v[14:17], v[82:83], off offset:1024
	s_wait_xcnt 0x0
	s_and_saveexec_b32 s1, vcc_lo
	s_cbranch_execz .LBB25_53
.LBB25_76:                              ;   in Loop: Header=BB25_49 Depth=1
	v_cmp_gt_i32_e64 s0, s14, v109
	s_wait_loadcnt 0x0
	s_delay_alu instid0(VALU_DEP_1) | instskip(SKIP_1) | instid1(VALU_DEP_1)
	v_cndmask_b32_e64 v15, 0, v15, s0
	v_cmp_gt_i32_e64 s0, s31, v107
	v_cndmask_b32_e64 v14, 0, v14, s0
	v_cmp_gt_i32_e64 s0, s14, v106
	s_delay_alu instid0(VALU_DEP_1) | instskip(SKIP_1) | instid1(VALU_DEP_1)
	v_cndmask_b32_e64 v17, 0, v17, s0
	v_cmp_gt_i32_e64 s0, s31, v108
	v_cndmask_b32_e64 v16, 0, v16, s0
	s_or_b32 exec_lo, exec_lo, s1
	global_load_b128 v[18:21], v[82:83], off offset:1536
	s_wait_xcnt 0x0
	s_and_saveexec_b32 s1, vcc_lo
	s_cbranch_execz .LBB25_54
.LBB25_77:                              ;   in Loop: Header=BB25_49 Depth=1
	v_cmp_gt_i32_e64 s0, s14, v109
	s_wait_loadcnt 0x0
	s_delay_alu instid0(VALU_DEP_1) | instskip(SKIP_1) | instid1(VALU_DEP_1)
	v_cndmask_b32_e64 v19, 0, v19, s0
	v_cmp_gt_i32_e64 s0, s31, v107
	v_cndmask_b32_e64 v18, 0, v18, s0
	v_cmp_gt_i32_e64 s0, s14, v106
	s_delay_alu instid0(VALU_DEP_1) | instskip(SKIP_1) | instid1(VALU_DEP_1)
	v_cndmask_b32_e64 v21, 0, v21, s0
	v_cmp_gt_i32_e64 s0, s31, v108
	v_cndmask_b32_e64 v20, 0, v20, s0
	s_or_b32 exec_lo, exec_lo, s1
	global_load_b128 v[22:25], v[82:83], off offset:2048
	s_wait_xcnt 0x0
	s_and_saveexec_b32 s1, vcc_lo
	s_cbranch_execz .LBB25_55
.LBB25_78:                              ;   in Loop: Header=BB25_49 Depth=1
	v_cmp_gt_i32_e64 s0, s14, v109
	s_wait_loadcnt 0x0
	s_delay_alu instid0(VALU_DEP_1) | instskip(SKIP_1) | instid1(VALU_DEP_1)
	v_cndmask_b32_e64 v23, 0, v23, s0
	v_cmp_gt_i32_e64 s0, s31, v107
	v_cndmask_b32_e64 v22, 0, v22, s0
	v_cmp_gt_i32_e64 s0, s14, v106
	s_delay_alu instid0(VALU_DEP_1) | instskip(SKIP_1) | instid1(VALU_DEP_1)
	v_cndmask_b32_e64 v25, 0, v25, s0
	v_cmp_gt_i32_e64 s0, s31, v108
	v_cndmask_b32_e64 v24, 0, v24, s0
	s_or_b32 exec_lo, exec_lo, s1
	global_load_b128 v[26:29], v[82:83], off offset:2560
	s_wait_xcnt 0x0
	s_and_saveexec_b32 s1, vcc_lo
	s_cbranch_execz .LBB25_56
.LBB25_79:                              ;   in Loop: Header=BB25_49 Depth=1
	v_cmp_gt_i32_e64 s0, s14, v109
	s_wait_loadcnt 0x0
	s_delay_alu instid0(VALU_DEP_1) | instskip(SKIP_1) | instid1(VALU_DEP_1)
	v_cndmask_b32_e64 v27, 0, v27, s0
	v_cmp_gt_i32_e64 s0, s31, v107
	v_cndmask_b32_e64 v26, 0, v26, s0
	v_cmp_gt_i32_e64 s0, s14, v106
	s_delay_alu instid0(VALU_DEP_1) | instskip(SKIP_1) | instid1(VALU_DEP_1)
	v_cndmask_b32_e64 v29, 0, v29, s0
	v_cmp_gt_i32_e64 s0, s31, v108
	v_cndmask_b32_e64 v28, 0, v28, s0
	s_or_b32 exec_lo, exec_lo, s1
	global_load_b128 v[30:33], v[82:83], off offset:3072
	s_wait_xcnt 0x0
	s_and_saveexec_b32 s1, vcc_lo
	s_cbranch_execz .LBB25_57
.LBB25_80:                              ;   in Loop: Header=BB25_49 Depth=1
	v_cmp_gt_i32_e64 s0, s14, v109
	s_wait_loadcnt 0x0
	s_delay_alu instid0(VALU_DEP_1) | instskip(SKIP_1) | instid1(VALU_DEP_1)
	v_cndmask_b32_e64 v31, 0, v31, s0
	v_cmp_gt_i32_e64 s0, s31, v107
	v_cndmask_b32_e64 v30, 0, v30, s0
	v_cmp_gt_i32_e64 s0, s14, v106
	s_delay_alu instid0(VALU_DEP_1) | instskip(SKIP_1) | instid1(VALU_DEP_1)
	v_cndmask_b32_e64 v33, 0, v33, s0
	v_cmp_gt_i32_e64 s0, s31, v108
	v_cndmask_b32_e64 v32, 0, v32, s0
	s_or_b32 exec_lo, exec_lo, s1
	global_load_b128 v[34:37], v[82:83], off offset:3584
	s_wait_xcnt 0x0
	s_and_saveexec_b32 s1, vcc_lo
	s_cbranch_execz .LBB25_58
.LBB25_81:                              ;   in Loop: Header=BB25_49 Depth=1
	v_cmp_gt_i32_e64 s0, s14, v109
	s_wait_loadcnt 0x0
	s_delay_alu instid0(VALU_DEP_1) | instskip(SKIP_1) | instid1(VALU_DEP_1)
	v_cndmask_b32_e64 v35, 0, v35, s0
	v_cmp_gt_i32_e64 s0, s31, v107
	v_cndmask_b32_e64 v34, 0, v34, s0
	v_cmp_gt_i32_e64 s0, s14, v106
	s_delay_alu instid0(VALU_DEP_1) | instskip(SKIP_1) | instid1(VALU_DEP_1)
	v_cndmask_b32_e64 v37, 0, v37, s0
	v_cmp_gt_i32_e64 s0, s31, v108
	v_cndmask_b32_e64 v36, 0, v36, s0
	s_or_b32 exec_lo, exec_lo, s1
	global_load_b128 v[38:41], v[82:83], off offset:4096
	s_wait_xcnt 0x0
	s_and_saveexec_b32 s1, vcc_lo
	s_cbranch_execz .LBB25_59
.LBB25_82:                              ;   in Loop: Header=BB25_49 Depth=1
	v_cmp_gt_i32_e64 s0, s14, v109
	s_wait_loadcnt 0x0
	s_delay_alu instid0(VALU_DEP_1) | instskip(SKIP_1) | instid1(VALU_DEP_1)
	v_cndmask_b32_e64 v39, 0, v39, s0
	v_cmp_gt_i32_e64 s0, s31, v107
	v_cndmask_b32_e64 v38, 0, v38, s0
	v_cmp_gt_i32_e64 s0, s14, v106
	s_delay_alu instid0(VALU_DEP_1) | instskip(SKIP_1) | instid1(VALU_DEP_1)
	v_cndmask_b32_e64 v41, 0, v41, s0
	v_cmp_gt_i32_e64 s0, s31, v108
	v_cndmask_b32_e64 v40, 0, v40, s0
	s_or_b32 exec_lo, exec_lo, s1
	global_load_b128 v[42:45], v[82:83], off offset:4608
	s_wait_xcnt 0x0
	s_and_saveexec_b32 s1, vcc_lo
	s_cbranch_execz .LBB25_60
.LBB25_83:                              ;   in Loop: Header=BB25_49 Depth=1
	v_cmp_gt_i32_e64 s0, s14, v109
	s_wait_loadcnt 0x0
	s_delay_alu instid0(VALU_DEP_1) | instskip(SKIP_1) | instid1(VALU_DEP_1)
	v_cndmask_b32_e64 v43, 0, v43, s0
	v_cmp_gt_i32_e64 s0, s31, v107
	v_cndmask_b32_e64 v42, 0, v42, s0
	v_cmp_gt_i32_e64 s0, s14, v106
	s_delay_alu instid0(VALU_DEP_1) | instskip(SKIP_1) | instid1(VALU_DEP_1)
	v_cndmask_b32_e64 v45, 0, v45, s0
	v_cmp_gt_i32_e64 s0, s31, v108
	v_cndmask_b32_e64 v44, 0, v44, s0
	s_or_b32 exec_lo, exec_lo, s1
	global_load_b128 v[46:49], v[82:83], off offset:5120
	s_wait_xcnt 0x0
	s_and_saveexec_b32 s1, vcc_lo
	s_cbranch_execz .LBB25_61
.LBB25_84:                              ;   in Loop: Header=BB25_49 Depth=1
	v_cmp_gt_i32_e64 s0, s14, v109
	s_wait_loadcnt 0x0
	s_delay_alu instid0(VALU_DEP_1) | instskip(SKIP_1) | instid1(VALU_DEP_1)
	v_cndmask_b32_e64 v47, 0, v47, s0
	v_cmp_gt_i32_e64 s0, s31, v107
	v_cndmask_b32_e64 v46, 0, v46, s0
	v_cmp_gt_i32_e64 s0, s14, v106
	s_delay_alu instid0(VALU_DEP_1) | instskip(SKIP_1) | instid1(VALU_DEP_1)
	v_cndmask_b32_e64 v49, 0, v49, s0
	v_cmp_gt_i32_e64 s0, s31, v108
	v_cndmask_b32_e64 v48, 0, v48, s0
	s_or_b32 exec_lo, exec_lo, s1
	global_load_b128 v[50:53], v[82:83], off offset:5632
	s_wait_xcnt 0x0
	s_and_saveexec_b32 s1, vcc_lo
	s_cbranch_execz .LBB25_62
.LBB25_85:                              ;   in Loop: Header=BB25_49 Depth=1
	v_cmp_gt_i32_e64 s0, s14, v109
	s_wait_loadcnt 0x0
	s_delay_alu instid0(VALU_DEP_1) | instskip(SKIP_1) | instid1(VALU_DEP_1)
	v_cndmask_b32_e64 v51, 0, v51, s0
	v_cmp_gt_i32_e64 s0, s31, v107
	v_cndmask_b32_e64 v50, 0, v50, s0
	v_cmp_gt_i32_e64 s0, s14, v106
	s_delay_alu instid0(VALU_DEP_1) | instskip(SKIP_1) | instid1(VALU_DEP_1)
	v_cndmask_b32_e64 v53, 0, v53, s0
	v_cmp_gt_i32_e64 s0, s31, v108
	v_cndmask_b32_e64 v52, 0, v52, s0
	s_or_b32 exec_lo, exec_lo, s1
	global_load_b128 v[54:57], v[82:83], off offset:6144
	s_wait_xcnt 0x0
	s_and_saveexec_b32 s1, vcc_lo
	s_cbranch_execz .LBB25_63
.LBB25_86:                              ;   in Loop: Header=BB25_49 Depth=1
	v_cmp_gt_i32_e64 s0, s14, v109
	s_wait_loadcnt 0x0
	s_delay_alu instid0(VALU_DEP_1) | instskip(SKIP_1) | instid1(VALU_DEP_1)
	v_cndmask_b32_e64 v55, 0, v55, s0
	v_cmp_gt_i32_e64 s0, s31, v107
	v_cndmask_b32_e64 v54, 0, v54, s0
	v_cmp_gt_i32_e64 s0, s14, v106
	s_delay_alu instid0(VALU_DEP_1) | instskip(SKIP_1) | instid1(VALU_DEP_1)
	v_cndmask_b32_e64 v57, 0, v57, s0
	v_cmp_gt_i32_e64 s0, s31, v108
	v_cndmask_b32_e64 v56, 0, v56, s0
	s_or_b32 exec_lo, exec_lo, s1
	global_load_b128 v[58:61], v[82:83], off offset:6656
	s_wait_xcnt 0x0
	s_and_saveexec_b32 s1, vcc_lo
	s_cbranch_execz .LBB25_64
.LBB25_87:                              ;   in Loop: Header=BB25_49 Depth=1
	v_cmp_gt_i32_e64 s0, s14, v109
	s_wait_loadcnt 0x0
	s_delay_alu instid0(VALU_DEP_1) | instskip(SKIP_1) | instid1(VALU_DEP_1)
	v_cndmask_b32_e64 v59, 0, v59, s0
	v_cmp_gt_i32_e64 s0, s31, v107
	v_cndmask_b32_e64 v58, 0, v58, s0
	v_cmp_gt_i32_e64 s0, s14, v106
	s_delay_alu instid0(VALU_DEP_1) | instskip(SKIP_1) | instid1(VALU_DEP_1)
	v_cndmask_b32_e64 v61, 0, v61, s0
	v_cmp_gt_i32_e64 s0, s31, v108
	v_cndmask_b32_e64 v60, 0, v60, s0
	s_or_b32 exec_lo, exec_lo, s1
	global_load_b128 v[62:65], v[82:83], off offset:7168
	s_wait_xcnt 0x0
	s_and_saveexec_b32 s1, vcc_lo
	s_cbranch_execz .LBB25_65
.LBB25_88:                              ;   in Loop: Header=BB25_49 Depth=1
	v_cmp_gt_i32_e64 s0, s14, v109
	s_wait_loadcnt 0x0
	s_delay_alu instid0(VALU_DEP_1) | instskip(SKIP_1) | instid1(VALU_DEP_1)
	v_cndmask_b32_e64 v63, 0, v63, s0
	v_cmp_gt_i32_e64 s0, s31, v107
	v_cndmask_b32_e64 v62, 0, v62, s0
	v_cmp_gt_i32_e64 s0, s14, v106
	s_delay_alu instid0(VALU_DEP_1) | instskip(SKIP_1) | instid1(VALU_DEP_1)
	v_cndmask_b32_e64 v65, 0, v65, s0
	v_cmp_gt_i32_e64 s0, s31, v108
	v_cndmask_b32_e64 v64, 0, v64, s0
	s_or_b32 exec_lo, exec_lo, s1
	global_load_b128 v[66:69], v[82:83], off offset:7680
	s_wait_xcnt 0x0
	s_and_saveexec_b32 s1, vcc_lo
	s_cbranch_execz .LBB25_66
.LBB25_89:                              ;   in Loop: Header=BB25_49 Depth=1
	v_cmp_gt_i32_e64 s0, s14, v109
	s_wait_loadcnt 0x0
	s_delay_alu instid0(VALU_DEP_1) | instskip(SKIP_1) | instid1(VALU_DEP_1)
	v_cndmask_b32_e64 v67, 0, v67, s0
	v_cmp_gt_i32_e64 s0, s31, v107
	v_cndmask_b32_e64 v66, 0, v66, s0
	v_cmp_gt_i32_e64 s0, s14, v106
	s_delay_alu instid0(VALU_DEP_1) | instskip(SKIP_1) | instid1(VALU_DEP_1)
	v_cndmask_b32_e64 v69, 0, v69, s0
	v_cmp_gt_i32_e64 s0, s31, v108
	v_cndmask_b32_e64 v68, 0, v68, s0
	s_or_b32 exec_lo, exec_lo, s1
	global_load_b128 v[70:73], v[82:83], off offset:8192
	s_wait_xcnt 0x0
	s_and_saveexec_b32 s1, vcc_lo
	s_cbranch_execz .LBB25_67
.LBB25_90:                              ;   in Loop: Header=BB25_49 Depth=1
	v_cmp_gt_i32_e64 s0, s14, v109
	s_wait_loadcnt 0x0
	s_delay_alu instid0(VALU_DEP_1) | instskip(SKIP_1) | instid1(VALU_DEP_1)
	v_cndmask_b32_e64 v71, 0, v71, s0
	v_cmp_gt_i32_e64 s0, s31, v107
	v_cndmask_b32_e64 v70, 0, v70, s0
	v_cmp_gt_i32_e64 s0, s14, v106
	s_delay_alu instid0(VALU_DEP_1) | instskip(SKIP_1) | instid1(VALU_DEP_1)
	v_cndmask_b32_e64 v73, 0, v73, s0
	v_cmp_gt_i32_e64 s0, s31, v108
	v_cndmask_b32_e64 v72, 0, v72, s0
	s_or_b32 exec_lo, exec_lo, s1
	global_load_b128 v[74:77], v[82:83], off offset:8704
	s_wait_xcnt 0x0
	s_and_saveexec_b32 s1, vcc_lo
	s_cbranch_execz .LBB25_68
.LBB25_91:                              ;   in Loop: Header=BB25_49 Depth=1
	v_cmp_gt_i32_e64 s0, s14, v109
	s_wait_loadcnt 0x0
	s_delay_alu instid0(VALU_DEP_1) | instskip(SKIP_1) | instid1(VALU_DEP_1)
	v_cndmask_b32_e64 v75, 0, v75, s0
	v_cmp_gt_i32_e64 s0, s31, v107
	v_cndmask_b32_e64 v74, 0, v74, s0
	v_cmp_gt_i32_e64 s0, s14, v106
	s_delay_alu instid0(VALU_DEP_1) | instskip(SKIP_1) | instid1(VALU_DEP_1)
	v_cndmask_b32_e64 v77, 0, v77, s0
	v_cmp_gt_i32_e64 s0, s31, v108
	v_cndmask_b32_e64 v76, 0, v76, s0
	s_or_b32 exec_lo, exec_lo, s1
	global_load_b128 v[78:81], v[82:83], off offset:9216
	s_wait_xcnt 0x0
	s_and_saveexec_b32 s1, vcc_lo
	s_cbranch_execz .LBB25_69
.LBB25_92:                              ;   in Loop: Header=BB25_49 Depth=1
	v_cmp_gt_i32_e64 s0, s14, v109
	s_wait_loadcnt 0x0
	s_delay_alu instid0(VALU_DEP_1) | instskip(SKIP_1) | instid1(VALU_DEP_1)
	v_cndmask_b32_e64 v79, 0, v79, s0
	v_cmp_gt_i32_e64 s0, s31, v107
	v_cndmask_b32_e64 v78, 0, v78, s0
	v_cmp_gt_i32_e64 s0, s14, v106
	s_delay_alu instid0(VALU_DEP_1) | instskip(SKIP_1) | instid1(VALU_DEP_1)
	v_cndmask_b32_e64 v81, 0, v81, s0
	v_cmp_gt_i32_e64 s0, s31, v108
	v_cndmask_b32_e64 v80, 0, v80, s0
	s_or_b32 exec_lo, exec_lo, s1
	global_load_b128 v[86:89], v[82:83], off offset:9728
	s_wait_xcnt 0x0
	s_and_saveexec_b32 s19, vcc_lo
	s_cbranch_execz .LBB25_70
.LBB25_93:                              ;   in Loop: Header=BB25_49 Depth=1
	v_cmp_gt_i32_e64 s0, s31, v107
	v_cmp_gt_i32_e64 s1, s14, v109
	s_wait_loadcnt 0x0
	s_delay_alu instid0(VALU_DEP_1) | instskip(SKIP_2) | instid1(VALU_DEP_1)
	v_dual_cndmask_b32 v86, 0, v86, s0 :: v_dual_cndmask_b32 v87, 0, v87, s1
	v_cmp_gt_i32_e64 s0, s31, v108
	v_cmp_gt_i32_e64 s1, s14, v106
	v_dual_cndmask_b32 v88, 0, v88, s0 :: v_dual_cndmask_b32 v89, 0, v89, s1
	s_or_b32 exec_lo, exec_lo, s19
	global_load_b128 v[90:93], v[82:83], off offset:10240
	s_wait_xcnt 0x0
	s_and_saveexec_b32 s19, vcc_lo
	s_cbranch_execz .LBB25_71
.LBB25_94:                              ;   in Loop: Header=BB25_49 Depth=1
	v_cmp_gt_i32_e64 s0, s31, v107
	v_cmp_gt_i32_e64 s1, s14, v109
	s_wait_loadcnt 0x0
	s_delay_alu instid0(VALU_DEP_1) | instskip(SKIP_2) | instid1(VALU_DEP_1)
	v_dual_cndmask_b32 v90, 0, v90, s0 :: v_dual_cndmask_b32 v91, 0, v91, s1
	v_cmp_gt_i32_e64 s0, s31, v108
	v_cmp_gt_i32_e64 s1, s14, v106
	v_dual_cndmask_b32 v92, 0, v92, s0 :: v_dual_cndmask_b32 v93, 0, v93, s1
	s_or_b32 exec_lo, exec_lo, s19
	global_load_b128 v[94:97], v[82:83], off offset:10752
	s_wait_xcnt 0x0
	s_and_saveexec_b32 s19, vcc_lo
	s_cbranch_execz .LBB25_72
.LBB25_95:                              ;   in Loop: Header=BB25_49 Depth=1
	v_cmp_gt_i32_e64 s0, s31, v107
	v_cmp_gt_i32_e64 s1, s14, v109
	s_wait_loadcnt 0x0
	s_delay_alu instid0(VALU_DEP_1) | instskip(SKIP_2) | instid1(VALU_DEP_1)
	v_dual_cndmask_b32 v94, 0, v94, s0 :: v_dual_cndmask_b32 v95, 0, v95, s1
	v_cmp_gt_i32_e64 s0, s31, v108
	v_cmp_gt_i32_e64 s1, s14, v106
	v_dual_cndmask_b32 v96, 0, v96, s0 :: v_dual_cndmask_b32 v97, 0, v97, s1
	s_or_b32 exec_lo, exec_lo, s19
	global_load_b128 v[98:101], v[82:83], off offset:11264
	s_wait_xcnt 0x0
	s_and_saveexec_b32 s19, vcc_lo
	s_cbranch_execz .LBB25_73
.LBB25_96:                              ;   in Loop: Header=BB25_49 Depth=1
	v_cmp_gt_i32_e64 s0, s31, v107
	v_cmp_gt_i32_e64 s1, s14, v109
	s_wait_loadcnt 0x0
	s_delay_alu instid0(VALU_DEP_1) | instskip(SKIP_2) | instid1(VALU_DEP_1)
	v_dual_cndmask_b32 v98, 0, v98, s0 :: v_dual_cndmask_b32 v99, 0, v99, s1
	v_cmp_gt_i32_e64 s0, s31, v108
	v_cmp_gt_i32_e64 s1, s14, v106
	v_dual_cndmask_b32 v100, 0, v100, s0 :: v_dual_cndmask_b32 v101, 0, v101, s1
	s_or_b32 exec_lo, exec_lo, s19
	global_load_b128 v[82:85], v[82:83], off offset:11776
	s_wait_xcnt 0x0
	s_and_saveexec_b32 s1, vcc_lo
	s_cbranch_execz .LBB25_47
.LBB25_97:                              ;   in Loop: Header=BB25_49 Depth=1
	v_cmp_gt_i32_e32 vcc_lo, s31, v107
	v_cmp_gt_i32_e64 s0, s14, v109
	s_wait_loadcnt 0x0
	s_delay_alu instid0(VALU_DEP_1) | instskip(SKIP_2) | instid1(VALU_DEP_1)
	v_dual_cndmask_b32 v82, 0, v82, vcc_lo :: v_dual_cndmask_b32 v83, 0, v83, s0
	v_cmp_gt_i32_e32 vcc_lo, s31, v108
	v_cmp_gt_i32_e64 s0, s14, v106
	v_dual_cndmask_b32 v84, 0, v84, vcc_lo :: v_dual_cndmask_b32 v85, 0, v85, s0
	s_branch .LBB25_47
.LBB25_98:
	s_or_b32 exec_lo, exec_lo, s15
	s_clause 0x8
	scratch_load_b32 v63, off, off offset:36
	scratch_load_b32 v80, off, off offset:40
	;; [unrolled: 1-line block ×6, first 2 shown]
	scratch_load_b64 v[58:59], off, off
	scratch_load_b64 v[46:47], off, off offset:8
	scratch_load_b64 v[44:45], off, off offset:16
.LBB25_99:
	s_wait_xcnt 0x0
	s_or_b32 exec_lo, exec_lo, s24
	s_wait_loadcnt 0x5
	ds_bpermute_b32 v8, v34, v118
	ds_bpermute_b32 v9, v34, v119
	;; [unrolled: 1-line block ×18, first 2 shown]
	s_wait_loadcnt 0x0
	ds_bpermute_b32 v22, v34, v44
	ds_bpermute_b32 v23, v34, v45
	;; [unrolled: 1-line block ×4, first 2 shown]
	s_wait_dscnt 0x14
	v_pk_add_f32 v[30:31], v[118:119], v[8:9]
	ds_bpermute_b32 v8, v34, v58
	ds_bpermute_b32 v9, v34, v59
	s_wait_dscnt 0x14
	v_pk_add_f32 v[0:1], v[126:127], v[0:1]
	s_wait_dscnt 0x12
	v_pk_add_f32 v[2:3], v[124:125], v[2:3]
	;; [unrolled: 2-line block ×3, first 2 shown]
	ds_bpermute_b32 v34, v55, v30
	s_wait_dscnt 0xf
	v_pk_add_f32 v[6:7], v[120:121], v[6:7]
	ds_bpermute_b32 v18, v55, v0
	s_wait_dscnt 0xe
	v_pk_add_f32 v[32:33], v[116:117], v[10:11]
	;; [unrolled: 3-line block ×7, first 2 shown]
	ds_bpermute_b32 v28, v55, v6
	ds_bpermute_b32 v29, v55, v7
	ds_bpermute_b32 v35, v55, v31
	ds_bpermute_b32 v36, v55, v32
	ds_bpermute_b32 v37, v55, v33
	ds_bpermute_b32 v40, v55, v12
	ds_bpermute_b32 v41, v55, v13
	ds_bpermute_b32 v42, v55, v38
	ds_bpermute_b32 v43, v55, v39
	ds_bpermute_b32 v48, v55, v16
	ds_bpermute_b32 v49, v55, v17
	ds_bpermute_b32 v50, v55, v44
	ds_bpermute_b32 v51, v55, v45
	ds_bpermute_b32 v52, v55, v46
	ds_bpermute_b32 v53, v55, v47
	s_wait_dscnt 0x16
	v_pk_add_f32 v[22:23], v[58:59], v[8:9]
	s_wait_dscnt 0x13
	v_pk_add_f32 v[18:19], v[0:1], v[18:19]
	;; [unrolled: 2-line block ×4, first 2 shown]
	v_and_b32_e32 v27, 0x3c3, v63
	ds_bpermute_b32 v24, v55, v22
	ds_bpermute_b32 v25, v55, v23
	s_wait_dscnt 0xf
	v_pk_add_f32 v[8:9], v[6:7], v[28:29]
	s_wait_dscnt 0xe
	v_pk_add_f32 v[6:7], v[30:31], v[34:35]
	;; [unrolled: 2-line block ×3, first 2 shown]
	v_and_b32_e32 v26, 28, v54
	s_wait_dscnt 0xa
	v_pk_add_f32 v[2:3], v[12:13], v[40:41]
	s_mov_b32 s0, exec_lo
	s_wait_dscnt 0x8
	v_pk_add_f32 v[0:1], v[38:39], v[42:43]
	s_wait_storecnt_dscnt 0x0
	v_pk_add_f32 v[20:21], v[16:17], v[48:49]
	s_barrier_signal -1
	v_pk_add_f32 v[16:17], v[44:45], v[50:51]
	s_barrier_wait -1
	v_pk_add_f32 v[12:13], v[46:47], v[52:53]
	v_cmpx_ne_u32_e32 64, v27
	s_xor_b32 s0, exec_lo, s0
	s_delay_alu instid0(SALU_CYCLE_1)
	s_or_saveexec_b32 s0, s0
	v_pk_add_f32 v[22:23], v[22:23], v[24:25]
	v_lshrrev_b32_e32 v24, 2, v54
	v_add_nc_u32_e32 v25, 0x320, v26
	v_mul_u32_u24_e32 v26, 0x300, v80
	s_xor_b32 exec_lo, exec_lo, s0
	s_cbranch_execz .LBB25_101
; %bb.100:
	s_delay_alu instid0(VALU_DEP_1) | instskip(NEXT) | instid1(VALU_DEP_1)
	v_add_nc_u32_e32 v27, v25, v26
	v_add_nc_u32_e32 v28, 0xfffffa00, v27
	;; [unrolled: 1-line block ×9, first 2 shown]
	ds_store_b32 v28, v18
	ds_store_b32 v29, v19
	;; [unrolled: 1-line block ×8, first 2 shown]
	v_add_nc_u32_e32 v28, 0xfffffb00, v27
	v_add_nc_u32_e32 v29, 0xfffffb20, v27
	;; [unrolled: 1-line block ×8, first 2 shown]
	ds_store_b32 v28, v6
	ds_store_b32 v29, v7
	;; [unrolled: 1-line block ×8, first 2 shown]
	v_add_nc_u32_e32 v28, 0xfffffc00, v27
	v_add_nc_u32_e32 v29, 0xfffffc20, v27
	;; [unrolled: 1-line block ×8, first 2 shown]
	ds_store_b32 v28, v20
	ds_store_b32 v29, v21
	;; [unrolled: 1-line block ×8, first 2 shown]
.LBB25_101:
	s_or_b32 exec_lo, exec_lo, s0
	v_lshlrev_b32_e32 v24, 2, v24
	s_mov_b32 s1, exec_lo
	v_cmp_eq_u32_e32 vcc_lo, 0, v56
	s_wait_dscnt 0x0
	s_barrier_signal -1
	v_add3_u32 v24, 0x320, v26, v24
	s_barrier_wait -1
	v_cmpx_gt_u32_e32 64, v63
	s_cbranch_execz .LBB25_128
; %bb.102:
	s_and_saveexec_b32 s0, vcc_lo
	s_cbranch_execnz .LBB25_160
; %bb.103:
	s_or_b32 exec_lo, exec_lo, s0
	s_and_saveexec_b32 s0, vcc_lo
	s_cbranch_execnz .LBB25_161
.LBB25_104:
	s_or_b32 exec_lo, exec_lo, s0
	s_and_saveexec_b32 s0, vcc_lo
	s_cbranch_execnz .LBB25_162
.LBB25_105:
	s_or_b32 exec_lo, exec_lo, s0
	s_and_saveexec_b32 s0, vcc_lo
	s_cbranch_execnz .LBB25_163
.LBB25_106:
	s_or_b32 exec_lo, exec_lo, s0
	s_and_saveexec_b32 s0, vcc_lo
	s_cbranch_execnz .LBB25_164
.LBB25_107:
	s_or_b32 exec_lo, exec_lo, s0
	s_and_saveexec_b32 s0, vcc_lo
	s_cbranch_execnz .LBB25_165
.LBB25_108:
	s_or_b32 exec_lo, exec_lo, s0
	s_and_saveexec_b32 s0, vcc_lo
	s_cbranch_execnz .LBB25_166
.LBB25_109:
	s_or_b32 exec_lo, exec_lo, s0
	s_and_saveexec_b32 s0, vcc_lo
	s_cbranch_execnz .LBB25_167
.LBB25_110:
	s_or_b32 exec_lo, exec_lo, s0
	s_and_saveexec_b32 s0, vcc_lo
	s_cbranch_execnz .LBB25_168
.LBB25_111:
	s_or_b32 exec_lo, exec_lo, s0
	s_and_saveexec_b32 s0, vcc_lo
	s_cbranch_execnz .LBB25_169
.LBB25_112:
	s_or_b32 exec_lo, exec_lo, s0
	s_and_saveexec_b32 s0, vcc_lo
	s_cbranch_execnz .LBB25_170
.LBB25_113:
	s_or_b32 exec_lo, exec_lo, s0
	s_and_saveexec_b32 s0, vcc_lo
	s_cbranch_execnz .LBB25_171
.LBB25_114:
	s_or_b32 exec_lo, exec_lo, s0
	s_and_saveexec_b32 s0, vcc_lo
	s_cbranch_execnz .LBB25_172
.LBB25_115:
	s_or_b32 exec_lo, exec_lo, s0
	s_and_saveexec_b32 s0, vcc_lo
	s_cbranch_execnz .LBB25_173
.LBB25_116:
	s_or_b32 exec_lo, exec_lo, s0
	s_and_saveexec_b32 s0, vcc_lo
	s_cbranch_execnz .LBB25_174
.LBB25_117:
	s_or_b32 exec_lo, exec_lo, s0
	s_and_saveexec_b32 s0, vcc_lo
	s_cbranch_execnz .LBB25_175
.LBB25_118:
	s_or_b32 exec_lo, exec_lo, s0
	s_and_saveexec_b32 s0, vcc_lo
	s_cbranch_execnz .LBB25_176
.LBB25_119:
	s_or_b32 exec_lo, exec_lo, s0
	s_and_saveexec_b32 s0, vcc_lo
	s_cbranch_execnz .LBB25_177
.LBB25_120:
	s_or_b32 exec_lo, exec_lo, s0
	s_and_saveexec_b32 s0, vcc_lo
	s_cbranch_execnz .LBB25_178
.LBB25_121:
	s_or_b32 exec_lo, exec_lo, s0
	s_and_saveexec_b32 s0, vcc_lo
	s_cbranch_execnz .LBB25_179
.LBB25_122:
	s_or_b32 exec_lo, exec_lo, s0
	s_and_saveexec_b32 s0, vcc_lo
	s_cbranch_execnz .LBB25_180
.LBB25_123:
	s_or_b32 exec_lo, exec_lo, s0
	s_and_saveexec_b32 s0, vcc_lo
	s_cbranch_execnz .LBB25_181
.LBB25_124:
	s_or_b32 exec_lo, exec_lo, s0
	s_and_saveexec_b32 s0, vcc_lo
	s_cbranch_execnz .LBB25_182
.LBB25_125:
	s_or_b32 exec_lo, exec_lo, s0
	s_and_saveexec_b32 s0, vcc_lo
	s_cbranch_execz .LBB25_127
.LBB25_126:
	ds_load_b32 v26, v24 offset:736
	s_wait_dscnt 0x0
	v_add_f32_e32 v23, v23, v26
.LBB25_127:
	s_or_b32 exec_lo, exec_lo, s0
.LBB25_128:
	s_delay_alu instid0(SALU_CYCLE_1) | instskip(SKIP_4) | instid1(VALU_DEP_1)
	s_or_b32 exec_lo, exec_lo, s1
	v_and_b32_e32 v26, 0x3e3, v63
	s_mov_b32 s1, exec_lo
	s_barrier_signal -1
	s_barrier_wait -1
	v_cmpx_eq_u32_e32 32, v26
	s_cbranch_execz .LBB25_130
; %bb.129:
	ds_store_2addr_b32 v25, v18, v19 offset1:8
	ds_store_2addr_b32 v25, v14, v15 offset0:16 offset1:24
	ds_store_2addr_b32 v25, v10, v11 offset0:32 offset1:40
	;; [unrolled: 1-line block ×11, first 2 shown]
.LBB25_130:
	s_or_b32 exec_lo, exec_lo, s1
	s_delay_alu instid0(SALU_CYCLE_1)
	s_mov_b32 s1, exec_lo
	s_wait_dscnt 0x0
	s_barrier_signal -1
	s_barrier_wait -1
	v_cmpx_gt_u32_e32 32, v63
	s_cbranch_execz .LBB25_157
; %bb.131:
	s_and_saveexec_b32 s0, vcc_lo
	s_cbranch_execnz .LBB25_183
; %bb.132:
	s_or_b32 exec_lo, exec_lo, s0
	s_and_saveexec_b32 s0, vcc_lo
	s_cbranch_execnz .LBB25_184
.LBB25_133:
	s_or_b32 exec_lo, exec_lo, s0
	s_and_saveexec_b32 s0, vcc_lo
	s_cbranch_execnz .LBB25_185
.LBB25_134:
	s_or_b32 exec_lo, exec_lo, s0
	s_and_saveexec_b32 s0, vcc_lo
	s_cbranch_execnz .LBB25_186
.LBB25_135:
	s_or_b32 exec_lo, exec_lo, s0
	s_and_saveexec_b32 s0, vcc_lo
	s_cbranch_execnz .LBB25_187
.LBB25_136:
	s_or_b32 exec_lo, exec_lo, s0
	s_and_saveexec_b32 s0, vcc_lo
	s_cbranch_execnz .LBB25_188
.LBB25_137:
	s_or_b32 exec_lo, exec_lo, s0
	s_and_saveexec_b32 s0, vcc_lo
	s_cbranch_execnz .LBB25_189
.LBB25_138:
	s_or_b32 exec_lo, exec_lo, s0
	s_and_saveexec_b32 s0, vcc_lo
	s_cbranch_execnz .LBB25_190
.LBB25_139:
	s_or_b32 exec_lo, exec_lo, s0
	s_and_saveexec_b32 s0, vcc_lo
	s_cbranch_execnz .LBB25_191
.LBB25_140:
	s_or_b32 exec_lo, exec_lo, s0
	s_and_saveexec_b32 s0, vcc_lo
	s_cbranch_execnz .LBB25_192
.LBB25_141:
	s_or_b32 exec_lo, exec_lo, s0
	s_and_saveexec_b32 s0, vcc_lo
	s_cbranch_execnz .LBB25_193
.LBB25_142:
	s_or_b32 exec_lo, exec_lo, s0
	s_and_saveexec_b32 s0, vcc_lo
	s_cbranch_execnz .LBB25_194
.LBB25_143:
	s_or_b32 exec_lo, exec_lo, s0
	s_and_saveexec_b32 s0, vcc_lo
	s_cbranch_execnz .LBB25_195
.LBB25_144:
	s_or_b32 exec_lo, exec_lo, s0
	s_and_saveexec_b32 s0, vcc_lo
	s_cbranch_execnz .LBB25_196
.LBB25_145:
	s_or_b32 exec_lo, exec_lo, s0
	s_and_saveexec_b32 s0, vcc_lo
	s_cbranch_execnz .LBB25_197
.LBB25_146:
	s_or_b32 exec_lo, exec_lo, s0
	s_and_saveexec_b32 s0, vcc_lo
	s_cbranch_execnz .LBB25_198
.LBB25_147:
	s_or_b32 exec_lo, exec_lo, s0
	s_and_saveexec_b32 s0, vcc_lo
	s_cbranch_execnz .LBB25_199
.LBB25_148:
	s_or_b32 exec_lo, exec_lo, s0
	s_and_saveexec_b32 s0, vcc_lo
	s_cbranch_execnz .LBB25_200
.LBB25_149:
	s_or_b32 exec_lo, exec_lo, s0
	s_and_saveexec_b32 s0, vcc_lo
	s_cbranch_execnz .LBB25_201
.LBB25_150:
	s_or_b32 exec_lo, exec_lo, s0
	s_and_saveexec_b32 s0, vcc_lo
	s_cbranch_execnz .LBB25_202
.LBB25_151:
	s_or_b32 exec_lo, exec_lo, s0
	s_and_saveexec_b32 s0, vcc_lo
	s_cbranch_execnz .LBB25_203
.LBB25_152:
	s_or_b32 exec_lo, exec_lo, s0
	s_and_saveexec_b32 s0, vcc_lo
	s_cbranch_execnz .LBB25_204
.LBB25_153:
	s_or_b32 exec_lo, exec_lo, s0
	s_and_saveexec_b32 s0, vcc_lo
	s_cbranch_execnz .LBB25_205
.LBB25_154:
	s_or_b32 exec_lo, exec_lo, s0
	s_and_saveexec_b32 s0, vcc_lo
	s_cbranch_execz .LBB25_156
.LBB25_155:
	ds_load_b32 v24, v24 offset:736
	s_wait_dscnt 0x0
	v_add_f32_e32 v23, v23, v24
.LBB25_156:
	s_or_b32 exec_lo, exec_lo, s0
.LBB25_157:
	s_delay_alu instid0(SALU_CYCLE_1)
	s_or_b32 exec_lo, exec_lo, s1
	s_mov_b32 s1, 0
	s_barrier_signal -1
	s_barrier_wait -1
	s_mov_b32 s0, exec_lo
	v_cmpx_eq_u32_e32 0, v26
	s_cbranch_execz .LBB25_159
; %bb.158:
	s_mul_i32 s0, s30, s7
	s_mul_i32 s2, s7, s6
	;; [unrolled: 1-line block ×3, first 2 shown]
	s_lshr_b32 s8, ttmp7, 16
	s_mul_i32 s6, s0, 0xc0
	s_bfe_u32 s0, ttmp6, 0x40014
	s_ashr_i32 s7, s6, 31
	s_add_co_i32 s0, s0, 1
	s_ashr_i32 s3, s2, 31
	s_mul_i32 s0, s8, s0
	s_bfe_u32 s9, ttmp6, 0x40008
	s_lshl_b64 s[6:7], s[6:7], 2
	s_lshl_b64 s[2:3], s[2:3], 2
	s_add_co_i32 s9, s9, s0
	s_cmp_eq_u32 s28, 0
	s_wait_kmcnt 0x0
	s_add_nc_u64 s[4:5], s[4:5], s[6:7]
	s_cselect_b32 s0, s8, s9
	s_add_nc_u64 s[2:3], s[4:5], s[2:3]
	s_mulk_i32 s0, 0x300
	s_delay_alu instid0(SALU_CYCLE_1)
	s_add_nc_u64 s[0:1], s[2:3], s[0:1]
	s_clause 0x17
	global_store_b32 v63, v18, s[0:1]
	global_store_b32 v63, v19, s[0:1] offset:32
	global_store_b32 v63, v14, s[0:1] offset:64
	;; [unrolled: 1-line block ×23, first 2 shown]
.LBB25_159:
	s_sendmsg sendmsg(MSG_DEALLOC_VGPRS)
	s_endpgm
.LBB25_160:
	ds_load_b32 v26, v24
	s_wait_dscnt 0x0
	v_add_f32_e32 v18, v18, v26
	s_or_b32 exec_lo, exec_lo, s0
	s_and_saveexec_b32 s0, vcc_lo
	s_cbranch_execz .LBB25_104
.LBB25_161:
	ds_load_b32 v26, v24 offset:32
	s_wait_dscnt 0x0
	v_add_f32_e32 v19, v19, v26
	s_or_b32 exec_lo, exec_lo, s0
	s_and_saveexec_b32 s0, vcc_lo
	s_cbranch_execz .LBB25_105
.LBB25_162:
	ds_load_b32 v26, v24 offset:64
	s_wait_dscnt 0x0
	v_add_f32_e32 v14, v14, v26
	s_or_b32 exec_lo, exec_lo, s0
	s_and_saveexec_b32 s0, vcc_lo
	s_cbranch_execz .LBB25_106
.LBB25_163:
	ds_load_b32 v26, v24 offset:96
	s_wait_dscnt 0x0
	v_add_f32_e32 v15, v15, v26
	s_or_b32 exec_lo, exec_lo, s0
	s_and_saveexec_b32 s0, vcc_lo
	s_cbranch_execz .LBB25_107
.LBB25_164:
	ds_load_b32 v26, v24 offset:128
	s_wait_dscnt 0x0
	v_add_f32_e32 v10, v10, v26
	s_or_b32 exec_lo, exec_lo, s0
	s_and_saveexec_b32 s0, vcc_lo
	s_cbranch_execz .LBB25_108
.LBB25_165:
	ds_load_b32 v26, v24 offset:160
	s_wait_dscnt 0x0
	v_add_f32_e32 v11, v11, v26
	s_or_b32 exec_lo, exec_lo, s0
	s_and_saveexec_b32 s0, vcc_lo
	s_cbranch_execz .LBB25_109
.LBB25_166:
	ds_load_b32 v26, v24 offset:192
	s_wait_dscnt 0x0
	v_add_f32_e32 v8, v8, v26
	s_or_b32 exec_lo, exec_lo, s0
	s_and_saveexec_b32 s0, vcc_lo
	s_cbranch_execz .LBB25_110
.LBB25_167:
	ds_load_b32 v26, v24 offset:224
	s_wait_dscnt 0x0
	v_add_f32_e32 v9, v9, v26
	s_or_b32 exec_lo, exec_lo, s0
	s_and_saveexec_b32 s0, vcc_lo
	s_cbranch_execz .LBB25_111
.LBB25_168:
	ds_load_b32 v26, v24 offset:256
	s_wait_dscnt 0x0
	v_add_f32_e32 v6, v6, v26
	s_or_b32 exec_lo, exec_lo, s0
	s_and_saveexec_b32 s0, vcc_lo
	s_cbranch_execz .LBB25_112
.LBB25_169:
	ds_load_b32 v26, v24 offset:288
	s_wait_dscnt 0x0
	v_add_f32_e32 v7, v7, v26
	s_or_b32 exec_lo, exec_lo, s0
	s_and_saveexec_b32 s0, vcc_lo
	s_cbranch_execz .LBB25_113
.LBB25_170:
	ds_load_b32 v26, v24 offset:320
	s_wait_dscnt 0x0
	v_add_f32_e32 v4, v4, v26
	s_or_b32 exec_lo, exec_lo, s0
	s_and_saveexec_b32 s0, vcc_lo
	s_cbranch_execz .LBB25_114
.LBB25_171:
	ds_load_b32 v26, v24 offset:352
	s_wait_dscnt 0x0
	v_add_f32_e32 v5, v5, v26
	s_or_b32 exec_lo, exec_lo, s0
	s_and_saveexec_b32 s0, vcc_lo
	s_cbranch_execz .LBB25_115
.LBB25_172:
	ds_load_b32 v26, v24 offset:384
	s_wait_dscnt 0x0
	v_add_f32_e32 v2, v2, v26
	s_or_b32 exec_lo, exec_lo, s0
	s_and_saveexec_b32 s0, vcc_lo
	s_cbranch_execz .LBB25_116
.LBB25_173:
	ds_load_b32 v26, v24 offset:416
	s_wait_dscnt 0x0
	v_add_f32_e32 v3, v3, v26
	s_or_b32 exec_lo, exec_lo, s0
	s_and_saveexec_b32 s0, vcc_lo
	s_cbranch_execz .LBB25_117
.LBB25_174:
	ds_load_b32 v26, v24 offset:448
	s_wait_dscnt 0x0
	v_add_f32_e32 v0, v0, v26
	s_or_b32 exec_lo, exec_lo, s0
	s_and_saveexec_b32 s0, vcc_lo
	s_cbranch_execz .LBB25_118
.LBB25_175:
	ds_load_b32 v26, v24 offset:480
	s_wait_dscnt 0x0
	v_add_f32_e32 v1, v1, v26
	s_or_b32 exec_lo, exec_lo, s0
	s_and_saveexec_b32 s0, vcc_lo
	s_cbranch_execz .LBB25_119
.LBB25_176:
	ds_load_b32 v26, v24 offset:512
	s_wait_dscnt 0x0
	v_add_f32_e32 v20, v20, v26
	s_or_b32 exec_lo, exec_lo, s0
	s_and_saveexec_b32 s0, vcc_lo
	s_cbranch_execz .LBB25_120
.LBB25_177:
	ds_load_b32 v26, v24 offset:544
	s_wait_dscnt 0x0
	v_add_f32_e32 v21, v21, v26
	s_or_b32 exec_lo, exec_lo, s0
	s_and_saveexec_b32 s0, vcc_lo
	s_cbranch_execz .LBB25_121
.LBB25_178:
	ds_load_b32 v26, v24 offset:576
	s_wait_dscnt 0x0
	v_add_f32_e32 v16, v16, v26
	s_or_b32 exec_lo, exec_lo, s0
	s_and_saveexec_b32 s0, vcc_lo
	s_cbranch_execz .LBB25_122
.LBB25_179:
	ds_load_b32 v26, v24 offset:608
	s_wait_dscnt 0x0
	v_add_f32_e32 v17, v17, v26
	s_or_b32 exec_lo, exec_lo, s0
	s_and_saveexec_b32 s0, vcc_lo
	s_cbranch_execz .LBB25_123
.LBB25_180:
	ds_load_b32 v26, v24 offset:640
	s_wait_dscnt 0x0
	v_add_f32_e32 v12, v12, v26
	s_or_b32 exec_lo, exec_lo, s0
	s_and_saveexec_b32 s0, vcc_lo
	s_cbranch_execz .LBB25_124
.LBB25_181:
	ds_load_b32 v26, v24 offset:672
	s_wait_dscnt 0x0
	v_add_f32_e32 v13, v13, v26
	s_or_b32 exec_lo, exec_lo, s0
	s_and_saveexec_b32 s0, vcc_lo
	s_cbranch_execz .LBB25_125
.LBB25_182:
	ds_load_b32 v26, v24 offset:704
	s_wait_dscnt 0x0
	v_add_f32_e32 v22, v22, v26
	s_or_b32 exec_lo, exec_lo, s0
	s_and_saveexec_b32 s0, vcc_lo
	s_cbranch_execnz .LBB25_126
	s_branch .LBB25_127
.LBB25_183:
	ds_load_b32 v25, v24
	s_wait_dscnt 0x0
	v_add_f32_e32 v18, v18, v25
	s_or_b32 exec_lo, exec_lo, s0
	s_and_saveexec_b32 s0, vcc_lo
	s_cbranch_execz .LBB25_133
.LBB25_184:
	ds_load_b32 v25, v24 offset:32
	s_wait_dscnt 0x0
	v_add_f32_e32 v19, v19, v25
	s_or_b32 exec_lo, exec_lo, s0
	s_and_saveexec_b32 s0, vcc_lo
	s_cbranch_execz .LBB25_134
.LBB25_185:
	ds_load_b32 v25, v24 offset:64
	s_wait_dscnt 0x0
	v_add_f32_e32 v14, v14, v25
	s_or_b32 exec_lo, exec_lo, s0
	s_and_saveexec_b32 s0, vcc_lo
	s_cbranch_execz .LBB25_135
.LBB25_186:
	ds_load_b32 v25, v24 offset:96
	s_wait_dscnt 0x0
	v_add_f32_e32 v15, v15, v25
	s_or_b32 exec_lo, exec_lo, s0
	s_and_saveexec_b32 s0, vcc_lo
	s_cbranch_execz .LBB25_136
.LBB25_187:
	ds_load_b32 v25, v24 offset:128
	s_wait_dscnt 0x0
	v_add_f32_e32 v10, v10, v25
	s_or_b32 exec_lo, exec_lo, s0
	s_and_saveexec_b32 s0, vcc_lo
	s_cbranch_execz .LBB25_137
.LBB25_188:
	ds_load_b32 v25, v24 offset:160
	s_wait_dscnt 0x0
	v_add_f32_e32 v11, v11, v25
	s_or_b32 exec_lo, exec_lo, s0
	s_and_saveexec_b32 s0, vcc_lo
	s_cbranch_execz .LBB25_138
.LBB25_189:
	ds_load_b32 v25, v24 offset:192
	s_wait_dscnt 0x0
	v_add_f32_e32 v8, v8, v25
	s_or_b32 exec_lo, exec_lo, s0
	s_and_saveexec_b32 s0, vcc_lo
	s_cbranch_execz .LBB25_139
.LBB25_190:
	ds_load_b32 v25, v24 offset:224
	s_wait_dscnt 0x0
	v_add_f32_e32 v9, v9, v25
	s_or_b32 exec_lo, exec_lo, s0
	s_and_saveexec_b32 s0, vcc_lo
	s_cbranch_execz .LBB25_140
.LBB25_191:
	ds_load_b32 v25, v24 offset:256
	s_wait_dscnt 0x0
	v_add_f32_e32 v6, v6, v25
	s_or_b32 exec_lo, exec_lo, s0
	s_and_saveexec_b32 s0, vcc_lo
	s_cbranch_execz .LBB25_141
.LBB25_192:
	ds_load_b32 v25, v24 offset:288
	s_wait_dscnt 0x0
	v_add_f32_e32 v7, v7, v25
	s_or_b32 exec_lo, exec_lo, s0
	s_and_saveexec_b32 s0, vcc_lo
	s_cbranch_execz .LBB25_142
.LBB25_193:
	ds_load_b32 v25, v24 offset:320
	s_wait_dscnt 0x0
	v_add_f32_e32 v4, v4, v25
	s_or_b32 exec_lo, exec_lo, s0
	s_and_saveexec_b32 s0, vcc_lo
	s_cbranch_execz .LBB25_143
.LBB25_194:
	ds_load_b32 v25, v24 offset:352
	s_wait_dscnt 0x0
	v_add_f32_e32 v5, v5, v25
	s_or_b32 exec_lo, exec_lo, s0
	s_and_saveexec_b32 s0, vcc_lo
	s_cbranch_execz .LBB25_144
.LBB25_195:
	ds_load_b32 v25, v24 offset:384
	s_wait_dscnt 0x0
	v_add_f32_e32 v2, v2, v25
	s_or_b32 exec_lo, exec_lo, s0
	s_and_saveexec_b32 s0, vcc_lo
	s_cbranch_execz .LBB25_145
.LBB25_196:
	ds_load_b32 v25, v24 offset:416
	s_wait_dscnt 0x0
	v_add_f32_e32 v3, v3, v25
	s_or_b32 exec_lo, exec_lo, s0
	s_and_saveexec_b32 s0, vcc_lo
	s_cbranch_execz .LBB25_146
.LBB25_197:
	ds_load_b32 v25, v24 offset:448
	s_wait_dscnt 0x0
	v_add_f32_e32 v0, v0, v25
	s_or_b32 exec_lo, exec_lo, s0
	s_and_saveexec_b32 s0, vcc_lo
	s_cbranch_execz .LBB25_147
.LBB25_198:
	ds_load_b32 v25, v24 offset:480
	s_wait_dscnt 0x0
	v_add_f32_e32 v1, v1, v25
	s_or_b32 exec_lo, exec_lo, s0
	s_and_saveexec_b32 s0, vcc_lo
	s_cbranch_execz .LBB25_148
.LBB25_199:
	ds_load_b32 v25, v24 offset:512
	s_wait_dscnt 0x0
	v_add_f32_e32 v20, v20, v25
	s_or_b32 exec_lo, exec_lo, s0
	s_and_saveexec_b32 s0, vcc_lo
	s_cbranch_execz .LBB25_149
.LBB25_200:
	ds_load_b32 v25, v24 offset:544
	s_wait_dscnt 0x0
	v_add_f32_e32 v21, v21, v25
	s_or_b32 exec_lo, exec_lo, s0
	s_and_saveexec_b32 s0, vcc_lo
	s_cbranch_execz .LBB25_150
.LBB25_201:
	ds_load_b32 v25, v24 offset:576
	s_wait_dscnt 0x0
	v_add_f32_e32 v16, v16, v25
	s_or_b32 exec_lo, exec_lo, s0
	s_and_saveexec_b32 s0, vcc_lo
	s_cbranch_execz .LBB25_151
.LBB25_202:
	ds_load_b32 v25, v24 offset:608
	s_wait_dscnt 0x0
	v_add_f32_e32 v17, v17, v25
	s_or_b32 exec_lo, exec_lo, s0
	s_and_saveexec_b32 s0, vcc_lo
	s_cbranch_execz .LBB25_152
.LBB25_203:
	ds_load_b32 v25, v24 offset:640
	s_wait_dscnt 0x0
	v_add_f32_e32 v12, v12, v25
	s_or_b32 exec_lo, exec_lo, s0
	s_and_saveexec_b32 s0, vcc_lo
	s_cbranch_execz .LBB25_153
.LBB25_204:
	ds_load_b32 v25, v24 offset:672
	s_wait_dscnt 0x0
	v_add_f32_e32 v13, v13, v25
	s_or_b32 exec_lo, exec_lo, s0
	s_and_saveexec_b32 s0, vcc_lo
	s_cbranch_execz .LBB25_154
.LBB25_205:
	ds_load_b32 v25, v24 offset:704
	s_wait_dscnt 0x0
	v_add_f32_e32 v22, v22, v25
	s_or_b32 exec_lo, exec_lo, s0
	s_and_saveexec_b32 s0, vcc_lo
	s_cbranch_execnz .LBB25_155
	s_branch .LBB25_156
	.section	.rodata,"a",@progbits
	.p2align	6, 0x0
	.amdhsa_kernel _ZN4vllm25paged_attention_v1_kernelIffLi192ELi16ELi128ELNS_18Fp8KVCacheDataTypeE0ELb1EEEvPT_PKS2_PKT0_S8_ifPKiSA_iPKfiiiSC_SC_iiiii
		.amdhsa_group_segment_fixed_size 800
		.amdhsa_private_segment_fixed_size 64
		.amdhsa_kernarg_size 384
		.amdhsa_user_sgpr_count 2
		.amdhsa_user_sgpr_dispatch_ptr 0
		.amdhsa_user_sgpr_queue_ptr 0
		.amdhsa_user_sgpr_kernarg_segment_ptr 1
		.amdhsa_user_sgpr_dispatch_id 0
		.amdhsa_user_sgpr_kernarg_preload_length 0
		.amdhsa_user_sgpr_kernarg_preload_offset 0
		.amdhsa_user_sgpr_private_segment_size 0
		.amdhsa_wavefront_size32 1
		.amdhsa_uses_dynamic_stack 0
		.amdhsa_enable_private_segment 1
		.amdhsa_system_sgpr_workgroup_id_x 1
		.amdhsa_system_sgpr_workgroup_id_y 1
		.amdhsa_system_sgpr_workgroup_id_z 1
		.amdhsa_system_sgpr_workgroup_info 0
		.amdhsa_system_vgpr_workitem_id 0
		.amdhsa_next_free_vgpr 128
		.amdhsa_next_free_sgpr 40
		.amdhsa_named_barrier_count 0
		.amdhsa_reserve_vcc 1
		.amdhsa_float_round_mode_32 0
		.amdhsa_float_round_mode_16_64 0
		.amdhsa_float_denorm_mode_32 3
		.amdhsa_float_denorm_mode_16_64 3
		.amdhsa_fp16_overflow 0
		.amdhsa_memory_ordered 1
		.amdhsa_forward_progress 1
		.amdhsa_inst_pref_size 103
		.amdhsa_round_robin_scheduling 0
		.amdhsa_exception_fp_ieee_invalid_op 0
		.amdhsa_exception_fp_denorm_src 0
		.amdhsa_exception_fp_ieee_div_zero 0
		.amdhsa_exception_fp_ieee_overflow 0
		.amdhsa_exception_fp_ieee_underflow 0
		.amdhsa_exception_fp_ieee_inexact 0
		.amdhsa_exception_int_div_zero 0
	.end_amdhsa_kernel
	.section	.text._ZN4vllm25paged_attention_v1_kernelIffLi192ELi16ELi128ELNS_18Fp8KVCacheDataTypeE0ELb1EEEvPT_PKS2_PKT0_S8_ifPKiSA_iPKfiiiSC_SC_iiiii,"axG",@progbits,_ZN4vllm25paged_attention_v1_kernelIffLi192ELi16ELi128ELNS_18Fp8KVCacheDataTypeE0ELb1EEEvPT_PKS2_PKT0_S8_ifPKiSA_iPKfiiiSC_SC_iiiii,comdat
.Lfunc_end25:
	.size	_ZN4vllm25paged_attention_v1_kernelIffLi192ELi16ELi128ELNS_18Fp8KVCacheDataTypeE0ELb1EEEvPT_PKS2_PKT0_S8_ifPKiSA_iPKfiiiSC_SC_iiiii, .Lfunc_end25-_ZN4vllm25paged_attention_v1_kernelIffLi192ELi16ELi128ELNS_18Fp8KVCacheDataTypeE0ELb1EEEvPT_PKS2_PKT0_S8_ifPKiSA_iPKfiiiSC_SC_iiiii
                                        ; -- End function
	.set _ZN4vllm25paged_attention_v1_kernelIffLi192ELi16ELi128ELNS_18Fp8KVCacheDataTypeE0ELb1EEEvPT_PKS2_PKT0_S8_ifPKiSA_iPKfiiiSC_SC_iiiii.num_vgpr, 128
	.set _ZN4vllm25paged_attention_v1_kernelIffLi192ELi16ELi128ELNS_18Fp8KVCacheDataTypeE0ELb1EEEvPT_PKS2_PKT0_S8_ifPKiSA_iPKfiiiSC_SC_iiiii.num_agpr, 0
	.set _ZN4vllm25paged_attention_v1_kernelIffLi192ELi16ELi128ELNS_18Fp8KVCacheDataTypeE0ELb1EEEvPT_PKS2_PKT0_S8_ifPKiSA_iPKfiiiSC_SC_iiiii.numbered_sgpr, 40
	.set _ZN4vllm25paged_attention_v1_kernelIffLi192ELi16ELi128ELNS_18Fp8KVCacheDataTypeE0ELb1EEEvPT_PKS2_PKT0_S8_ifPKiSA_iPKfiiiSC_SC_iiiii.num_named_barrier, 0
	.set _ZN4vllm25paged_attention_v1_kernelIffLi192ELi16ELi128ELNS_18Fp8KVCacheDataTypeE0ELb1EEEvPT_PKS2_PKT0_S8_ifPKiSA_iPKfiiiSC_SC_iiiii.private_seg_size, 64
	.set _ZN4vllm25paged_attention_v1_kernelIffLi192ELi16ELi128ELNS_18Fp8KVCacheDataTypeE0ELb1EEEvPT_PKS2_PKT0_S8_ifPKiSA_iPKfiiiSC_SC_iiiii.uses_vcc, 1
	.set _ZN4vllm25paged_attention_v1_kernelIffLi192ELi16ELi128ELNS_18Fp8KVCacheDataTypeE0ELb1EEEvPT_PKS2_PKT0_S8_ifPKiSA_iPKfiiiSC_SC_iiiii.uses_flat_scratch, 1
	.set _ZN4vllm25paged_attention_v1_kernelIffLi192ELi16ELi128ELNS_18Fp8KVCacheDataTypeE0ELb1EEEvPT_PKS2_PKT0_S8_ifPKiSA_iPKfiiiSC_SC_iiiii.has_dyn_sized_stack, 0
	.set _ZN4vllm25paged_attention_v1_kernelIffLi192ELi16ELi128ELNS_18Fp8KVCacheDataTypeE0ELb1EEEvPT_PKS2_PKT0_S8_ifPKiSA_iPKfiiiSC_SC_iiiii.has_recursion, 0
	.set _ZN4vllm25paged_attention_v1_kernelIffLi192ELi16ELi128ELNS_18Fp8KVCacheDataTypeE0ELb1EEEvPT_PKS2_PKT0_S8_ifPKiSA_iPKfiiiSC_SC_iiiii.has_indirect_call, 0
	.section	.AMDGPU.csdata,"",@progbits
; Kernel info:
; codeLenInByte = 13104
; TotalNumSgprs: 42
; NumVgprs: 128
; ScratchSize: 64
; MemoryBound: 0
; FloatMode: 240
; IeeeMode: 1
; LDSByteSize: 800 bytes/workgroup (compile time only)
; SGPRBlocks: 0
; VGPRBlocks: 7
; NumSGPRsForWavesPerEU: 42
; NumVGPRsForWavesPerEU: 128
; NamedBarCnt: 0
; Occupancy: 8
; WaveLimiterHint : 1
; COMPUTE_PGM_RSRC2:SCRATCH_EN: 1
; COMPUTE_PGM_RSRC2:USER_SGPR: 2
; COMPUTE_PGM_RSRC2:TRAP_HANDLER: 0
; COMPUTE_PGM_RSRC2:TGID_X_EN: 1
; COMPUTE_PGM_RSRC2:TGID_Y_EN: 1
; COMPUTE_PGM_RSRC2:TGID_Z_EN: 1
; COMPUTE_PGM_RSRC2:TIDIG_COMP_CNT: 0
	.section	.text._ZN4vllm25paged_attention_v1_kernelIffLi256ELi16ELi128ELNS_18Fp8KVCacheDataTypeE0ELb1EEEvPT_PKS2_PKT0_S8_ifPKiSA_iPKfiiiSC_SC_iiiii,"axG",@progbits,_ZN4vllm25paged_attention_v1_kernelIffLi256ELi16ELi128ELNS_18Fp8KVCacheDataTypeE0ELb1EEEvPT_PKS2_PKT0_S8_ifPKiSA_iPKfiiiSC_SC_iiiii,comdat
	.protected	_ZN4vllm25paged_attention_v1_kernelIffLi256ELi16ELi128ELNS_18Fp8KVCacheDataTypeE0ELb1EEEvPT_PKS2_PKT0_S8_ifPKiSA_iPKfiiiSC_SC_iiiii ; -- Begin function _ZN4vllm25paged_attention_v1_kernelIffLi256ELi16ELi128ELNS_18Fp8KVCacheDataTypeE0ELb1EEEvPT_PKS2_PKT0_S8_ifPKiSA_iPKfiiiSC_SC_iiiii
	.globl	_ZN4vllm25paged_attention_v1_kernelIffLi256ELi16ELi128ELNS_18Fp8KVCacheDataTypeE0ELb1EEEvPT_PKS2_PKT0_S8_ifPKiSA_iPKfiiiSC_SC_iiiii
	.p2align	8
	.type	_ZN4vllm25paged_attention_v1_kernelIffLi256ELi16ELi128ELNS_18Fp8KVCacheDataTypeE0ELb1EEEvPT_PKS2_PKT0_S8_ifPKiSA_iPKfiiiSC_SC_iiiii,@function
_ZN4vllm25paged_attention_v1_kernelIffLi256ELi16ELi128ELNS_18Fp8KVCacheDataTypeE0ELb1EEEvPT_PKS2_PKT0_S8_ifPKiSA_iPKfiiiSC_SC_iiiii: ; @_ZN4vllm25paged_attention_v1_kernelIffLi256ELi16ELi128ELNS_18Fp8KVCacheDataTypeE0ELb1EEEvPT_PKS2_PKT0_S8_ifPKiSA_iPKfiiiSC_SC_iiiii
; %bb.0:
	s_load_b64 s[22:23], s[0:1], 0x20
	s_bfe_u32 s3, ttmp6, 0x4000c
	s_bfe_u32 s4, ttmp6, 0x40010
	s_and_b32 s6, ttmp7, 0xffff
	s_add_co_i32 s3, s3, 1
	s_add_co_i32 s4, s4, 1
	s_and_b32 s2, ttmp6, 15
	s_bfe_u32 s5, ttmp6, 0x40004
	s_mul_i32 s3, ttmp9, s3
	s_mul_i32 s4, s6, s4
	s_getreg_b32 s28, hwreg(HW_REG_IB_STS2, 6, 4)
	s_add_co_i32 s2, s2, s3
	s_add_co_i32 s3, s5, s4
	s_cmp_eq_u32 s28, 0
	v_mov_b32_e32 v73, v0
	s_cselect_b32 s30, s6, s3
	s_cselect_b32 s2, ttmp9, s2
	s_clause 0x1
	s_load_b32 s29, s[0:1], 0x80
	s_load_b64 s[4:5], s[0:1], 0x30
	s_mov_b32 s17, 0
	s_delay_alu instid0(SALU_CYCLE_1) | instskip(SKIP_2) | instid1(SALU_CYCLE_1)
	s_mov_b32 s36, s17
	s_wait_kmcnt 0x0
	s_abs_i32 s3, s22
	s_cvt_f32_u32 s6, s3
	s_sub_co_i32 s7, 0, s3
	s_delay_alu instid0(SALU_CYCLE_2) | instskip(SKIP_1) | instid1(TRANS32_DEP_1)
	v_rcp_iflag_f32_e32 v0, s6
	v_nop
	v_readfirstlane_b32 s6, v0
	s_abs_i32 s8, s29
	s_mul_f32 s6, s6, 0x4f7ffffe
	s_delay_alu instid0(SALU_CYCLE_3) | instskip(NEXT) | instid1(SALU_CYCLE_3)
	s_cvt_u32_f32 s6, s6
	s_mul_i32 s7, s7, s6
	s_delay_alu instid0(SALU_CYCLE_1) | instskip(NEXT) | instid1(SALU_CYCLE_1)
	s_mul_hi_u32 s7, s6, s7
	s_add_co_i32 s6, s6, s7
	s_xor_b32 s7, s29, s22
	s_mul_hi_u32 s6, s8, s6
	s_ashr_i32 s7, s7, 31
	s_mul_i32 s9, s6, s3
	s_delay_alu instid0(SALU_CYCLE_1)
	s_sub_co_i32 s8, s8, s9
	s_add_co_i32 s9, s6, 1
	s_sub_co_i32 s10, s8, s3
	s_cmp_ge_u32 s8, s3
	s_cselect_b32 s6, s9, s6
	s_cselect_b32 s8, s10, s8
	s_add_co_i32 s9, s6, 1
	s_cmp_ge_u32 s8, s3
	s_cselect_b32 s3, s9, s6
	s_load_b64 s[8:9], s[0:1], 0x40
	s_xor_b32 s3, s3, s7
	s_abs_i32 s16, s2
	s_sub_co_i32 s10, s3, s7
	s_mov_b32 s7, s17
	s_abs_i32 s15, s10
	s_delay_alu instid0(SALU_CYCLE_1) | instskip(SKIP_1) | instid1(SALU_CYCLE_2)
	s_cvt_f32_u32 s3, s15
	s_sub_co_i32 s6, 0, s15
	v_rcp_iflag_f32_e32 v0, s3
	v_nop
	s_delay_alu instid0(TRANS32_DEP_1) | instskip(SKIP_1) | instid1(SALU_CYCLE_3)
	v_readfirstlane_b32 s3, v0
	s_mul_f32 s3, s3, 0x4f7ffffe
	s_cvt_u32_f32 s3, s3
	s_delay_alu instid0(SALU_CYCLE_3) | instskip(NEXT) | instid1(SALU_CYCLE_1)
	s_mul_i32 s6, s6, s3
	s_mul_hi_u32 s6, s3, s6
	s_delay_alu instid0(SALU_CYCLE_1)
	s_add_co_i32 s6, s3, s6
	s_wait_kmcnt 0x0
	s_cmp_eq_u64 s[8:9], 0
	s_cbranch_scc1 .LBB26_2
; %bb.1:
	s_ashr_i32 s3, s2, 31
	s_delay_alu instid0(SALU_CYCLE_1) | instskip(NEXT) | instid1(SALU_CYCLE_1)
	s_lshl_b64 s[12:13], s[2:3], 2
	s_add_nc_u64 s[8:9], s[8:9], s[12:13]
	s_load_b32 s36, s[8:9], 0x0
.LBB26_2:
	s_load_b32 s31, s[4:5], s30 offset:0x0 scale_offset
	s_load_b96 s[12:14], s[0:1], 0x48
	v_dual_lshlrev_b32 v60, 2, v73 :: v_dual_bitop2_b32 v2, 1, v73 bitop3:0x40
	s_wait_xcnt 0x0
	s_mul_u64 s[4:5], s[16:17], s[6:7]
	s_ashr_i32 s3, s2, 31
	s_ashr_i32 s18, s10, 31
	s_lshl_b32 s6, s2, 8
	s_mov_b32 s4, exec_lo
	v_cmpx_gt_u32_e32 0x80, v73
	s_cbranch_execz .LBB26_4
; %bb.3:
	s_load_b64 s[8:9], s[0:1], 0x8
	s_wait_kmcnt 0x0
	s_mul_i32 s10, s12, s30
	s_ashr_i32 s7, s6, 31
	s_ashr_i32 s11, s10, 31
	v_and_b32_e32 v3, 0xff8, v60
	s_lshl_b64 s[10:11], s[10:11], 2
	s_delay_alu instid0(VALU_DEP_1) | instskip(SKIP_2) | instid1(SALU_CYCLE_1)
	v_lshl_add_u32 v3, v2, 9, v3
	s_add_nc_u64 s[8:9], s[8:9], s[10:11]
	s_lshl_b64 s[10:11], s[6:7], 2
	s_add_nc_u64 s[8:9], s[8:9], s[10:11]
	global_load_b64 v[0:1], v73, s[8:9] scale_offset
	s_wait_loadcnt 0x0
	ds_store_b64 v3, v[0:1]
.LBB26_4:
	s_or_b32 exec_lo, exec_lo, s4
	s_load_b128 s[8:11], s[0:1], 0x68
	s_mul_i32 s4, s5, s15
	s_xor_b32 s3, s3, s18
	s_sub_co_i32 s4, s16, s4
	s_add_co_i32 s7, s5, 1
	s_wait_kmcnt 0x0
	s_sub_co_i32 s12, s4, s15
	s_cmp_ge_u32 s4, s15
	s_mov_b32 s18, -1
	s_cselect_b32 s5, s7, s5
	s_cselect_b32 s4, s12, s4
	s_add_co_i32 s12, s5, 1
	s_cmp_ge_u32 s4, s15
	s_load_b32 s7, s[0:1], 0x78
	s_cselect_b32 s4, s12, s5
	s_add_co_i32 s15, s31, -1
	s_xor_b32 s4, s4, s3
	s_wait_dscnt 0x0
	s_sub_co_i32 s3, s4, s3
	s_barrier_signal -1
	s_barrier_wait -1
	s_abs_i32 s12, s11
	s_delay_alu instid0(SALU_CYCLE_1) | instskip(NEXT) | instid1(SALU_CYCLE_3)
	s_cvt_f32_u32 s5, s12
                                        ; implicit-def: $sgpr33
	v_rcp_iflag_f32_e32 v0, s5
	v_nop
	s_delay_alu instid0(TRANS32_DEP_1) | instskip(SKIP_1) | instid1(SALU_CYCLE_3)
	v_readfirstlane_b32 s5, v0
	s_mul_f32 s4, s5, 0x4f7ffffe
	s_cvt_u32_f32 s16, s4
	s_sub_co_i32 s4, 0, s12
	s_delay_alu instid0(SALU_CYCLE_2)
	s_mul_i32 s5, s4, s16
	s_abs_i32 s4, s15
	s_mul_hi_u32 s17, s16, s5
	s_mov_b32 s5, 0
	s_add_co_i32 s16, s16, s17
	s_wait_kmcnt 0x0
	s_cmp_lt_i32 s7, 0
	s_mov_b32 s17, s5
	s_cbranch_scc0 .LBB26_6
; %bb.5:
	s_mul_i32 s18, s8, s22
	s_delay_alu instid0(SALU_CYCLE_1) | instskip(NEXT) | instid1(SALU_CYCLE_1)
	s_add_co_i32 s18, s3, s18
	s_mul_i32 s18, s18, s7
	s_delay_alu instid0(SALU_CYCLE_1)
	s_sub_co_i32 s33, 1, s18
	s_mov_b32 s18, s5
.LBB26_6:
	s_ashr_i32 s15, s15, 31
	s_ashr_i32 s34, s11, 31
	s_and_not1_b32 vcc_lo, exec_lo, s18
	s_mul_u64 s[24:25], s[4:5], s[16:17]
	s_cbranch_vccnz .LBB26_8
; %bb.7:
	s_mul_i32 s5, s29, s8
	s_delay_alu instid0(SALU_CYCLE_1) | instskip(NEXT) | instid1(SALU_CYCLE_1)
	s_add_co_i32 s2, s5, s2
	s_mul_i32 s2, s2, s7
	s_delay_alu instid0(SALU_CYCLE_1)
	s_add_co_i32 s33, s2, 1
.LBB26_8:
	s_load_b32 s2, s[0:1], 0x38
	s_mul_i32 s7, s25, s12
	s_xor_b32 s5, s15, s34
	s_sub_co_i32 s4, s4, s7
	s_add_co_i32 s8, s25, 1
	s_clause 0x1
	s_load_b64 s[18:19], s[0:1], 0x28
	s_load_b32 s7, s[0:1], 0x88
	v_dual_mov_b32 v65, 0xff7fffff :: v_dual_lshrrev_b32 v82, 5, v73
	v_lshrrev_b32_e32 v61, 3, v73
	v_mbcnt_lo_u32_b32 v62, -1, 0
	s_mul_i32 s14, s3, s14
	s_delay_alu instid0(VALU_DEP_3)
	v_lshlrev_b32_e32 v126, 4, v82
	s_wait_kmcnt 0x0
	s_mul_i32 s20, s2, s30
	s_sub_co_i32 s2, s4, s12
	s_ashr_i32 s21, s20, 31
	s_cmp_ge_u32 s4, s12
	s_cselect_b32 s8, s8, s25
	s_cselect_b32 s2, s2, s4
	s_add_co_i32 s4, s8, 1
	s_cmp_ge_u32 s2, s12
	s_cselect_b32 s2, s4, s8
	s_add_co_i32 s4, s31, 15
	s_delay_alu instid0(SALU_CYCLE_1) | instskip(NEXT) | instid1(SALU_CYCLE_1)
	s_ashr_i32 s8, s4, 31
	s_lshr_b32 s8, s8, 28
	s_delay_alu instid0(SALU_CYCLE_1) | instskip(NEXT) | instid1(SALU_CYCLE_1)
	s_add_co_i32 s4, s4, s8
	s_ashr_i32 s35, s4, 4
	s_xor_b32 s4, s2, s5
	v_cmp_gt_i32_e64 s2, s35, v82
	s_sub_co_i32 s8, s4, s5
	s_and_saveexec_b32 s11, s2
	s_cbranch_execz .LBB26_20
; %bb.9:
	s_load_b64 s[4:5], s[0:1], 0x10
	s_ashr_i32 s15, s14, 31
	s_sub_co_i32 s22, s8, s9
	s_ashr_i32 s25, s13, 31
	s_lshl_b64 s[38:39], s[14:15], 2
	s_cmp_neq_f32 s36, 0
	v_bfe_u32 v63, v73, 1, 4
	v_dual_mov_b32 v1, 0 :: v_dual_lshlrev_b32 v4, 3, v73
	v_lshlrev_b32_e32 v64, 9, v2
	s_cselect_b32 vcc_lo, -1, 0
	s_abs_i32 s15, s10
	v_lshlrev_b32_e32 v0, 4, v63
	s_cvt_f32_u32 s3, s15
	v_lshlrev_b32_e32 v5, 2, v63
	s_sub_co_i32 s26, 0, s15
	v_dual_mov_b32 v68, 0xff7fffff :: v_dual_mov_b32 v65, 0xff7fffff
	v_rcp_iflag_f32_e32 v3, s3
	v_cmp_eq_u32_e64 s3, 0, v2
	s_wait_kmcnt 0x0
	s_add_nc_u64 s[4:5], s[4:5], s[38:39]
	v_xor_b32_e32 v69, 1, v62
	s_mov_b32 s27, 0
	v_mov_b32_e32 v70, v82
	v_readfirstlane_b32 s24, v3
	v_add_nc_u64_e32 v[2:3], s[4:5], v[0:1]
	v_and_b32_e32 v0, 8, v4
	v_subrev_nc_u32_e32 v4, s31, v63
	s_lshl_b64 s[4:5], s[20:21], 2
	s_mul_f32 s24, s24, 0x4f7ffffe
	v_lshl_or_b32 v6, v82, 6, v5
	s_add_nc_u64 s[4:5], s[18:19], s[4:5]
	v_add_nc_u64_e32 v[2:3], v[2:3], v[0:1]
	v_and_b32_e32 v0, 0x7c, v61
	s_cvt_u32_f32 s37, s24
	v_add_nc_u32_e32 v66, 1, v4
	v_add_nc_u32_e32 v67, 0x420, v6
	s_mov_b32 s24, s13
	v_add_nc_u64_e32 v[4:5], s[4:5], v[0:1]
	s_mul_i32 s26, s26, s37
	v_lshlrev_b32_e32 v0, 4, v82
	s_mul_hi_u32 s4, s37, s26
	s_delay_alu instid0(SALU_CYCLE_1)
	s_add_co_i32 s26, s37, s4
	s_mov_b32 s37, s27
	s_branch .LBB26_12
.LBB26_10:                              ;   in Loop: Header=BB26_12 Depth=1
	s_or_b32 exec_lo, exec_lo, s38
.LBB26_11:                              ;   in Loop: Header=BB26_12 Depth=1
	s_delay_alu instid0(SALU_CYCLE_1) | instskip(SKIP_3) | instid1(VALU_DEP_3)
	s_or_b32 exec_lo, exec_lo, s5
	v_dual_add_nc_u32 v70, 4, v70 :: v_dual_add_nc_u32 v0, 64, v0
	v_add_nc_u64_e32 v[4:5], 16, v[4:5]
	v_add_nc_u32_e32 v67, 0x100, v67
	v_cmp_le_i32_e64 s4, s35, v70
	s_or_b32 s37, s4, s37
	s_delay_alu instid0(SALU_CYCLE_1)
	s_and_not1_b32 exec_lo, exec_lo, s37
	s_cbranch_execz .LBB26_19
.LBB26_12:                              ; =>This Inner Loop Header: Depth=1
	s_wait_dscnt 0x0
	v_mul_u64_e32 v[6:7], s[16:17], v[0:1]
	s_delay_alu instid0(VALU_DEP_1) | instskip(NEXT) | instid1(VALU_DEP_1)
	v_mul_lo_u32 v6, v7, s12
	v_dual_add_nc_u32 v8, 1, v7 :: v_dual_sub_nc_u32 v6, v0, v6
	s_delay_alu instid0(VALU_DEP_1) | instskip(SKIP_1) | instid1(VALU_DEP_1)
	v_subrev_nc_u32_e32 v9, s12, v6
	v_cmp_le_u32_e64 s4, s12, v6
	v_dual_cndmask_b32 v7, v7, v8, s4 :: v_dual_cndmask_b32 v6, v6, v9, s4
	s_delay_alu instid0(VALU_DEP_1) | instskip(NEXT) | instid1(VALU_DEP_2)
	v_add_nc_u32_e32 v8, 1, v7
	v_cmp_le_u32_e64 s4, s12, v6
	s_delay_alu instid0(VALU_DEP_1) | instskip(NEXT) | instid1(VALU_DEP_1)
	v_dual_cndmask_b32 v6, v7, v8, s4 :: v_dual_mov_b32 v7, v1
	v_xor_b32_e32 v6, s34, v6
	s_delay_alu instid0(VALU_DEP_1) | instskip(NEXT) | instid1(VALU_DEP_1)
	v_subrev_nc_u32_e32 v10, s34, v6
	v_add_nc_u32_e32 v11, s33, v10
	v_cmp_ge_i32_e64 s5, s22, v10
	s_delay_alu instid0(VALU_DEP_2) | instskip(NEXT) | instid1(VALU_DEP_1)
	v_sub_nc_u32_e32 v6, 0, v11
	v_max_i32_e32 v6, v11, v6
	s_delay_alu instid0(VALU_DEP_1) | instskip(SKIP_1) | instid1(VALU_DEP_2)
	v_mul_u64_e32 v[8:9], s[26:27], v[6:7]
	v_ashrrev_i32_e32 v8, 31, v11
	v_mul_lo_u32 v7, v9, s15
	s_delay_alu instid0(VALU_DEP_1) | instskip(NEXT) | instid1(VALU_DEP_1)
	v_sub_nc_u32_e32 v6, v6, v7
	v_subrev_nc_u32_e32 v7, s15, v6
	v_cmp_le_u32_e64 s4, s15, v6
	s_delay_alu instid0(VALU_DEP_1) | instskip(NEXT) | instid1(VALU_DEP_1)
	v_cndmask_b32_e64 v6, v6, v7, s4
	v_subrev_nc_u32_e32 v7, s15, v6
	v_cmp_le_u32_e64 s4, s15, v6
	s_delay_alu instid0(VALU_DEP_1) | instskip(NEXT) | instid1(VALU_DEP_1)
	v_cndmask_b32_e64 v6, v6, v7, s4
	v_xor_b32_e32 v6, v6, v8
	s_delay_alu instid0(VALU_DEP_1) | instskip(NEXT) | instid1(VALU_DEP_1)
	v_sub_nc_u32_e32 v6, v6, v8
	v_cmp_ne_u32_e64 s4, 0, v6
	s_and_b32 s4, s4, s5
	s_delay_alu instid0(SALU_CYCLE_1) | instskip(NEXT) | instid1(SALU_CYCLE_1)
	s_and_saveexec_b32 s5, s4
	s_xor_b32 s4, exec_lo, s5
	s_cbranch_execz .LBB26_16
; %bb.13:                               ;   in Loop: Header=BB26_12 Depth=1
	s_and_saveexec_b32 s5, s3
; %bb.14:                               ;   in Loop: Header=BB26_12 Depth=1
	ds_store_b32 v67, v68
; %bb.15:                               ;   in Loop: Header=BB26_12 Depth=1
	s_or_b32 exec_lo, exec_lo, s5
.LBB26_16:                              ;   in Loop: Header=BB26_12 Depth=1
	s_and_not1_saveexec_b32 s5, s4
	s_cbranch_execz .LBB26_11
; %bb.17:                               ;   in Loop: Header=BB26_12 Depth=1
	global_load_b32 v6, v[4:5], off
	v_cmp_gt_i32_e64 s4, 32, v69
	s_wait_loadcnt 0x0
	v_ashrrev_i32_e32 v7, 31, v6
	s_delay_alu instid0(VALU_DEP_1) | instskip(NEXT) | instid1(VALU_DEP_1)
	v_mul_u64_e32 v[6:7], s[24:25], v[6:7]
	v_lshl_add_u64 v[6:7], v[6:7], 2, v[2:3]
	s_clause 0x11
	global_load_b64 v[36:37], v[6:7], off offset:256
	global_load_b64 v[38:39], v[6:7], off
	global_load_b64 v[40:41], v[6:7], off offset:512
	global_load_b64 v[46:47], v[6:7], off offset:768
	;; [unrolled: 1-line block ×16, first 2 shown]
	ds_load_b128 v[28:31], v64
	s_clause 0x5
	global_load_b64 v[10:11], v[6:7], off offset:4608
	global_load_b64 v[8:9], v[6:7], off offset:4864
	;; [unrolled: 1-line block ×6, first 2 shown]
	ds_load_b128 v[32:35], v64 offset:16
	s_wait_loadcnt_dscnt 0x1701
	v_dual_mul_f32 v71, v30, v36 :: v_dual_mul_f32 v72, v31, v37
	s_wait_loadcnt 0x16
	s_delay_alu instid0(VALU_DEP_1)
	v_dual_fmac_f32 v71, v28, v38 :: v_dual_fmac_f32 v72, v29, v39
	ds_load_b128 v[28:31], v64 offset:32
	s_wait_loadcnt_dscnt 0x1501
	v_dual_fmac_f32 v71, v32, v40 :: v_dual_fmac_f32 v72, v33, v41
	ds_load_b128 v[38:41], v64 offset:96
	s_wait_loadcnt 0x14
	v_dual_fmac_f32 v71, v34, v46 :: v_dual_fmac_f32 v72, v35, v47
	ds_load_b128 v[32:35], v64 offset:48
	s_wait_loadcnt_dscnt 0x1302
	v_dual_fmac_f32 v71, v28, v50 :: v_dual_fmac_f32 v72, v29, v51
	global_load_b64 v[50:51], v[6:7], off offset:6656
	s_wait_loadcnt 0x13
	v_dual_fmac_f32 v71, v30, v52 :: v_dual_fmac_f32 v72, v31, v53
	ds_load_b128 v[28:31], v64 offset:64
	global_load_b64 v[52:53], v[6:7], off offset:6144
	s_wait_loadcnt_dscnt 0x1301
	v_dual_fmac_f32 v71, v32, v54 :: v_dual_fmac_f32 v72, v33, v55
	global_load_b64 v[54:55], v[6:7], off offset:6400
	s_wait_loadcnt 0x13
	v_dual_fmac_f32 v71, v34, v56 :: v_dual_fmac_f32 v72, v35, v57
	ds_load_b128 v[32:35], v64 offset:80
	s_clause 0x1
	global_load_b64 v[56:57], v[6:7], off offset:6912
	global_load_b64 v[46:47], v[6:7], off offset:7168
	s_wait_loadcnt_dscnt 0x1401
	v_dual_fmac_f32 v71, v28, v74 :: v_dual_fmac_f32 v72, v29, v75
	global_load_b64 v[28:29], v[6:7], off offset:7680
	s_wait_loadcnt 0x14
	v_dual_fmac_f32 v71, v30, v76 :: v_dual_fmac_f32 v72, v31, v77
	s_wait_loadcnt_dscnt 0x1300
	s_delay_alu instid0(VALU_DEP_1)
	v_dual_fmac_f32 v71, v32, v22 :: v_dual_fmac_f32 v72, v33, v23
	global_load_b64 v[22:23], v[6:7], off offset:7424
	ds_load_b128 v[30:33], v64 offset:112
	s_wait_loadcnt 0x13
	v_dual_fmac_f32 v71, v34, v26 :: v_dual_fmac_f32 v72, v35, v27
	ds_load_b128 v[34:37], v64 offset:128
	s_wait_loadcnt 0x12
	v_dual_fmac_f32 v71, v38, v24 :: v_dual_fmac_f32 v72, v39, v25
	global_load_b64 v[38:39], v[6:7], off offset:7936
	s_wait_loadcnt 0x12
	v_dual_fmac_f32 v71, v40, v18 :: v_dual_fmac_f32 v72, v41, v19
	s_clause 0x2
	global_load_b64 v[18:19], v[6:7], off offset:8192
	global_load_b64 v[24:25], v[6:7], off offset:8448
	;; [unrolled: 1-line block ×3, first 2 shown]
	ds_load_b128 v[74:77], v64 offset:144
	global_load_b64 v[40:41], v[6:7], off offset:9984
	ds_load_b128 v[78:81], v64 offset:224
	s_wait_loadcnt_dscnt 0x1503
	v_dual_fmac_f32 v71, v30, v20 :: v_dual_fmac_f32 v72, v31, v21
	global_load_b64 v[30:31], v[6:7], off offset:8960
	s_wait_loadcnt 0x15
	v_dual_fmac_f32 v71, v32, v16 :: v_dual_fmac_f32 v72, v33, v17
	global_load_b64 v[32:33], v[6:7], off offset:9216
	s_wait_loadcnt_dscnt 0x1502
	v_dual_fmac_f32 v71, v34, v14 :: v_dual_fmac_f32 v72, v35, v15
	global_load_b64 v[34:35], v[6:7], off offset:9728
	s_wait_loadcnt 0x15
	v_dual_fmac_f32 v71, v36, v12 :: v_dual_fmac_f32 v72, v37, v13
	ds_load_b128 v[12:15], v64 offset:160
	global_load_b64 v[36:37], v[6:7], off offset:9472
	s_wait_loadcnt_dscnt 0x1502
	v_dual_fmac_f32 v71, v74, v10 :: v_dual_fmac_f32 v72, v75, v11
	s_wait_loadcnt 0x14
	s_delay_alu instid0(VALU_DEP_1)
	v_dual_fmac_f32 v71, v76, v8 :: v_dual_fmac_f32 v72, v77, v9
	ds_load_b128 v[8:11], v64 offset:176
	ds_load_b128 v[74:77], v64 offset:208
	s_wait_loadcnt_dscnt 0x1302
	v_dual_fmac_f32 v71, v12, v42 :: v_dual_fmac_f32 v72, v13, v43
	global_load_b64 v[42:43], v[6:7], off offset:10240
	s_wait_loadcnt 0x13
	v_dual_fmac_f32 v71, v14, v44 :: v_dual_fmac_f32 v72, v15, v45
	global_load_b64 v[44:45], v[6:7], off offset:10496
	ds_load_b128 v[12:15], v64 offset:192
	s_wait_loadcnt_dscnt 0x1302
	v_dual_fmac_f32 v71, v8, v48 :: v_dual_fmac_f32 v72, v9, v49
	s_clause 0x3
	global_load_b64 v[48:49], v[6:7], off offset:10752
	global_load_b64 v[20:21], v[6:7], off offset:11008
	;; [unrolled: 1-line block ×4, first 2 shown]
	s_wait_loadcnt 0x16
	v_dual_fmac_f32 v71, v10, v58 :: v_dual_fmac_f32 v72, v11, v59
	global_load_b64 v[10:11], v[6:7], off offset:11520
	s_wait_loadcnt_dscnt 0x1500
	v_dual_fmac_f32 v71, v12, v52 :: v_dual_fmac_f32 v72, v13, v53
	global_load_b64 v[12:13], v[6:7], off offset:12288
	s_wait_loadcnt 0x15
	v_dual_fmac_f32 v71, v54, v14 :: v_dual_fmac_f32 v72, v55, v15
	global_load_b64 v[14:15], v[6:7], off offset:11776
	v_dual_fmac_f32 v71, v50, v74 :: v_dual_fmac_f32 v72, v51, v75
	ds_load_b128 v[50:53], v64 offset:240
	s_wait_loadcnt 0x15
	v_dual_fmac_f32 v71, v56, v76 :: v_dual_fmac_f32 v72, v57, v77
	ds_load_b128 v[54:57], v64 offset:256
	ds_load_b128 v[74:77], v64 offset:272
	s_wait_loadcnt 0x14
	v_dual_fmac_f32 v71, v46, v78 :: v_dual_fmac_f32 v72, v47, v79
	s_wait_loadcnt 0x12
	s_delay_alu instid0(VALU_DEP_1) | instskip(SKIP_4) | instid1(VALU_DEP_1)
	v_dual_fmac_f32 v71, v22, v80 :: v_dual_fmac_f32 v72, v23, v81
	global_load_b64 v[22:23], v[6:7], off offset:12544
	s_wait_dscnt 0x2
	v_dual_fmac_f32 v71, v28, v50 :: v_dual_fmac_f32 v72, v29, v51
	s_wait_loadcnt 0x12
	v_dual_fmac_f32 v71, v38, v52 :: v_dual_fmac_f32 v72, v39, v53
	ds_load_b128 v[50:53], v64 offset:288
	s_wait_loadcnt_dscnt 0x1102
	v_dual_fmac_f32 v71, v18, v54 :: v_dual_fmac_f32 v72, v19, v55
	global_load_b64 v[18:19], v[6:7], off offset:12800
	s_wait_loadcnt 0x11
	v_dual_fmac_f32 v71, v24, v56 :: v_dual_fmac_f32 v72, v25, v57
	s_clause 0x1
	global_load_b64 v[28:29], v[6:7], off offset:13056
	global_load_b64 v[24:25], v[6:7], off offset:13312
	ds_load_b128 v[54:57], v64 offset:304
	s_wait_loadcnt_dscnt 0x1202
	v_dual_fmac_f32 v71, v26, v74 :: v_dual_fmac_f32 v72, v27, v75
	global_load_b64 v[26:27], v[6:7], off offset:13568
	s_wait_loadcnt 0x11
	v_dual_fmac_f32 v71, v30, v76 :: v_dual_fmac_f32 v72, v31, v77
	global_load_b64 v[30:31], v[6:7], off offset:13824
	s_wait_loadcnt_dscnt 0x1101
	v_dual_fmac_f32 v71, v32, v50 :: v_dual_fmac_f32 v72, v33, v51
	global_load_b64 v[32:33], v[6:7], off offset:14080
	s_wait_loadcnt 0x10
	v_dual_fmac_f32 v71, v36, v52 :: v_dual_fmac_f32 v72, v37, v53
	ds_load_b128 v[50:53], v64 offset:320
	s_clause 0x1
	global_load_b64 v[38:39], v[6:7], off offset:14336
	global_load_b64 v[36:37], v[6:7], off offset:14592
	s_wait_dscnt 0x1
	v_dual_fmac_f32 v71, v34, v54 :: v_dual_fmac_f32 v72, v35, v55
	global_load_b64 v[34:35], v[6:7], off offset:14848
	v_dual_fmac_f32 v71, v40, v56 :: v_dual_fmac_f32 v72, v41, v57
	global_load_b64 v[40:41], v[6:7], off offset:15104
	ds_load_b128 v[54:57], v64 offset:336
	s_wait_loadcnt_dscnt 0x1301
	v_dual_fmac_f32 v71, v42, v50 :: v_dual_fmac_f32 v72, v43, v51
	global_load_b64 v[42:43], v[6:7], off offset:15360
	s_wait_loadcnt 0x13
	v_dual_fmac_f32 v71, v44, v52 :: v_dual_fmac_f32 v72, v45, v53
	s_clause 0x2
	global_load_b64 v[46:47], v[6:7], off offset:15616
	global_load_b64 v[44:45], v[6:7], off offset:15872
	;; [unrolled: 1-line block ×3, first 2 shown]
	s_wait_loadcnt_dscnt 0x1500
	v_dual_fmac_f32 v71, v48, v54 :: v_dual_fmac_f32 v72, v49, v55
	ds_load_b128 v[48:51], v64 offset:352
	ds_load_b128 v[52:55], v64 offset:368
	s_wait_loadcnt 0x14
	v_dual_fmac_f32 v71, v20, v56 :: v_dual_fmac_f32 v72, v21, v57
	ds_load_b128 v[56:59], v64 offset:384
	s_wait_loadcnt_dscnt 0x1302
	v_dual_fmac_f32 v71, v8, v48 :: v_dual_fmac_f32 v72, v9, v49
	s_wait_loadcnt 0x11
	s_delay_alu instid0(VALU_DEP_1) | instskip(SKIP_3) | instid1(VALU_DEP_1)
	v_dual_fmac_f32 v71, v10, v50 :: v_dual_fmac_f32 v72, v11, v51
	ds_load_b128 v[8:11], v64 offset:400
	s_wait_loadcnt_dscnt 0xf02
	v_dual_fmac_f32 v71, v14, v52 :: v_dual_fmac_f32 v72, v15, v53
	v_dual_fmac_f32 v71, v16, v54 :: v_dual_fmac_f32 v72, v17, v55
	ds_load_b128 v[14:17], v64 offset:416
	s_wait_dscnt 0x2
	v_dual_fmac_f32 v71, v12, v56 :: v_dual_fmac_f32 v72, v13, v57
	s_wait_loadcnt 0xe
	s_delay_alu instid0(VALU_DEP_1) | instskip(SKIP_4) | instid1(VALU_DEP_1)
	v_dual_fmac_f32 v71, v22, v58 :: v_dual_fmac_f32 v72, v23, v59
	ds_load_b128 v[20:23], v64 offset:432
	s_wait_loadcnt_dscnt 0xd02
	v_dual_fmac_f32 v71, v18, v8 :: v_dual_fmac_f32 v72, v19, v9
	s_wait_loadcnt 0xc
	v_dual_fmac_f32 v71, v28, v10 :: v_dual_fmac_f32 v72, v29, v11
	ds_load_b128 v[8:11], v64 offset:448
	s_wait_loadcnt_dscnt 0xb02
	v_dual_fmac_f32 v71, v24, v14 :: v_dual_fmac_f32 v72, v25, v15
	ds_load_b128 v[12:15], v64 offset:464
	s_wait_loadcnt 0xa
	v_dual_fmac_f32 v71, v26, v16 :: v_dual_fmac_f32 v72, v27, v17
	ds_load_b128 v[16:19], v64 offset:480
	s_wait_loadcnt_dscnt 0x903
	v_dual_fmac_f32 v71, v30, v20 :: v_dual_fmac_f32 v72, v31, v21
	s_wait_loadcnt 0x8
	s_delay_alu instid0(VALU_DEP_1) | instskip(SKIP_1) | instid1(VALU_DEP_1)
	v_dual_fmac_f32 v71, v32, v22 :: v_dual_fmac_f32 v72, v33, v23
	s_wait_loadcnt_dscnt 0x702
	v_dual_fmac_f32 v71, v38, v8 :: v_dual_fmac_f32 v72, v39, v9
	s_wait_loadcnt 0x6
	s_delay_alu instid0(VALU_DEP_1) | instskip(SKIP_4) | instid1(VALU_DEP_1)
	v_dual_fmac_f32 v71, v36, v10 :: v_dual_fmac_f32 v72, v37, v11
	ds_load_b128 v[8:11], v64 offset:496
	s_wait_loadcnt_dscnt 0x502
	v_dual_fmac_f32 v71, v34, v12 :: v_dual_fmac_f32 v72, v35, v13
	s_wait_loadcnt 0x4
	v_dual_fmac_f32 v71, v40, v14 :: v_dual_fmac_f32 v72, v41, v15
	s_wait_loadcnt_dscnt 0x301
	s_delay_alu instid0(VALU_DEP_1) | instskip(SKIP_1) | instid1(VALU_DEP_1)
	v_dual_fmac_f32 v71, v42, v16 :: v_dual_fmac_f32 v72, v43, v17
	s_wait_loadcnt 0x2
	v_dual_fmac_f32 v71, v46, v18 :: v_dual_fmac_f32 v72, v47, v19
	s_wait_loadcnt_dscnt 0x100
	s_delay_alu instid0(VALU_DEP_1) | instskip(SKIP_1) | instid1(VALU_DEP_1)
	v_dual_fmac_f32 v71, v44, v8 :: v_dual_fmac_f32 v72, v45, v9
	s_wait_loadcnt 0x0
	v_fmac_f32_e32 v71, v6, v10
	s_delay_alu instid0(VALU_DEP_2) | instskip(NEXT) | instid1(VALU_DEP_1)
	v_dual_cndmask_b32 v8, v62, v69, s4 :: v_dual_fmac_f32 v72, v7, v11
	v_lshlrev_b32_e32 v7, 2, v8
	s_delay_alu instid0(VALU_DEP_2)
	v_add_f32_e32 v6, v71, v72
	ds_bpermute_b32 v7, v7, v6
	s_and_saveexec_b32 s38, s3
	s_cbranch_execz .LBB26_10
; %bb.18:                               ;   in Loop: Header=BB26_12 Depth=1
	s_wait_dscnt 0x0
	v_add_f32_e32 v6, v6, v7
	v_add_nc_u32_e32 v8, v66, v0
	s_delay_alu instid0(VALU_DEP_1) | instskip(NEXT) | instid1(VALU_DEP_1)
	v_cvt_f32_i32_e32 v8, v8
	v_mul_f32_e32 v8, s36, v8
	s_delay_alu instid0(VALU_DEP_1) | instskip(NEXT) | instid1(VALU_DEP_1)
	v_dual_cndmask_b32 v7, 0, v8 :: v_dual_max_num_f32 v8, v65, v65
	v_dual_fmac_f32 v7, s23, v6 :: v_dual_add_nc_u32 v6, v63, v0
	s_delay_alu instid0(VALU_DEP_1) | instskip(NEXT) | instid1(VALU_DEP_2)
	v_max_num_f32_e32 v8, v8, v7
	v_cmp_gt_i32_e64 s4, s31, v6
	s_delay_alu instid0(VALU_DEP_1)
	v_dual_cndmask_b32 v6, 0, v7, s4 :: v_dual_cndmask_b32 v65, v65, v8, s4
	ds_store_b32 v67, v6
	s_branch .LBB26_10
.LBB26_19:
	s_or_b32 exec_lo, exec_lo, s37
.LBB26_20:
	s_delay_alu instid0(SALU_CYCLE_1)
	s_or_b32 exec_lo, exec_lo, s11
	v_dual_max_num_f32 v3, v65, v65 :: v_dual_bitop2_b32 v0, 16, v62 bitop3:0x14
	s_clause 0x1
	s_load_b64 s[4:5], s[0:1], 0x0
	s_load_b64 s[22:23], s[0:1], 0x18
	v_and_b32_e32 v72, 31, v73
	v_xor_b32_e32 v2, 8, v62
	v_cmp_gt_i32_e32 vcc_lo, 32, v0
	v_cndmask_b32_e32 v0, v62, v0, vcc_lo
	s_delay_alu instid0(VALU_DEP_3) | instskip(NEXT) | instid1(VALU_DEP_2)
	v_cmp_gt_i32_e32 vcc_lo, 32, v2
	v_dual_lshlrev_b32 v0, 2, v0 :: v_dual_cndmask_b32 v2, v62, v2, vcc_lo
	ds_bpermute_b32 v1, v0, v65
	s_wait_dscnt 0x0
	v_dual_max_num_f32 v4, v1, v1 :: v_dual_lshlrev_b32 v1, 2, v2
	s_delay_alu instid0(VALU_DEP_1) | instskip(SKIP_4) | instid1(VALU_DEP_1)
	v_dual_max_num_f32 v3, v3, v4 :: v_dual_bitop2_b32 v4, 4, v62 bitop3:0x14
	ds_bpermute_b32 v2, v1, v3
	v_cmp_gt_i32_e32 vcc_lo, 32, v4
	s_wait_dscnt 0x0
	v_max_num_f32_e32 v5, v2, v2
	v_dual_cndmask_b32 v4, v62, v4 :: v_dual_max_num_f32 v3, v3, v5
	s_delay_alu instid0(VALU_DEP_1) | instskip(SKIP_3) | instid1(VALU_DEP_1)
	v_lshlrev_b32_e32 v2, 2, v4
	ds_bpermute_b32 v4, v2, v3
	s_wait_dscnt 0x0
	v_dual_max_num_f32 v4, v4, v4 :: v_dual_bitop2_b32 v5, 2, v62 bitop3:0x14
	v_cmp_gt_i32_e32 vcc_lo, 32, v5
	s_delay_alu instid0(VALU_DEP_2) | instskip(SKIP_1) | instid1(VALU_DEP_2)
	v_dual_max_num_f32 v4, v3, v4 :: v_dual_cndmask_b32 v5, v62, v5
	v_cmp_eq_u32_e32 vcc_lo, 0, v72
	v_dual_lshlrev_b32 v3, 2, v82 :: v_dual_lshlrev_b32 v50, 2, v5
	ds_bpermute_b32 v5, v50, v4
	s_wait_xcnt 0x0
	s_and_saveexec_b32 s0, vcc_lo
	s_cbranch_execz .LBB26_22
; %bb.21:
	s_wait_dscnt 0x0
	v_dual_max_num_f32 v5, v5, v5 :: v_dual_max_num_f32 v4, v4, v4
	s_delay_alu instid0(VALU_DEP_1)
	v_max_num_f32_e32 v4, v4, v5
	ds_store_b32 v3, v4 offset:1024
.LBB26_22:
	s_or_b32 exec_lo, exec_lo, s0
	v_cmp_gt_u32_e64 s0, 4, v72
	s_wait_dscnt 0x0
	v_dual_mov_b32 v5, 0xff7fffff :: v_dual_lshlrev_b32 v4, 2, v72
	s_barrier_signal -1
	s_barrier_wait -1
	s_and_saveexec_b32 s1, s0
; %bb.23:
	ds_load_b32 v5, v4 offset:1024
; %bb.24:
	s_or_b32 exec_lo, exec_lo, s1
	s_wait_dscnt 0x0
	ds_bpermute_b32 v6, v50, v5
	v_dual_max_num_f32 v5, v5, v5 :: v_dual_bitop2_b32 v7, 1, v62 bitop3:0x14
	s_delay_alu instid0(VALU_DEP_1) | instskip(SKIP_2) | instid1(VALU_DEP_2)
	v_cmp_gt_i32_e64 s1, 32, v7
	s_wait_dscnt 0x0
	v_max_num_f32_e32 v6, v6, v6
	v_cndmask_b32_e64 v7, v62, v7, s1
	s_lshl_b32 s1, s35, 4
	s_delay_alu instid0(SALU_CYCLE_1) | instskip(NEXT) | instid1(VALU_DEP_1)
	s_min_i32 s11, s1, s31
	v_dual_max_num_f32 v5, v5, v6 :: v_dual_lshlrev_b32 v74, 2, v7
	v_cmp_gt_i32_e64 s1, s11, v73
	ds_bpermute_b32 v6, v74, v5
	s_wait_dscnt 0x0
	v_max_num_f32_e32 v6, v6, v6
	s_delay_alu instid0(VALU_DEP_1)
	v_dual_max_num_f32 v6, v5, v6 :: v_dual_mov_b32 v5, 0
	ds_bpermute_b32 v6, v5, v6
	s_and_saveexec_b32 s15, s1
	s_cbranch_execz .LBB26_28
; %bb.25:
	v_lshl_add_u32 v7, v73, 2, 0x420
	v_dual_mov_b32 v5, 0 :: v_dual_mov_b32 v8, v73
	s_mov_b32 s24, 0
.LBB26_26:                              ; =>This Inner Loop Header: Depth=1
	ds_load_b32 v9, v7
	v_add_nc_u32_e32 v8, 0x80, v8
	s_delay_alu instid0(VALU_DEP_1) | instskip(SKIP_3) | instid1(VALU_DEP_1)
	v_cmp_le_i32_e64 s3, s11, v8
	s_or_b32 s24, s3, s24
	s_wait_dscnt 0x0
	v_sub_f32_e32 v9, v9, v6
	v_mul_f32_e32 v9, 0x3fb8aa3b, v9
	s_delay_alu instid0(VALU_DEP_1)
	v_exp_f32_e32 v9, v9
	ds_store_b32 v7, v9
	v_nop
	v_add_f32_e32 v5, v5, v9
	v_add_nc_u32_e32 v7, 0x200, v7
	s_and_not1_b32 exec_lo, exec_lo, s24
	s_cbranch_execnz .LBB26_26
; %bb.27:
	s_or_b32 exec_lo, exec_lo, s24
.LBB26_28:
	s_delay_alu instid0(SALU_CYCLE_1)
	s_or_b32 exec_lo, exec_lo, s15
	ds_bpermute_b32 v0, v0, v5
	s_wait_dscnt 0x0
	v_add_f32_e32 v0, v5, v0
	ds_bpermute_b32 v1, v1, v0
	s_wait_dscnt 0x0
	v_add_f32_e32 v0, v0, v1
	;; [unrolled: 3-line block ×5, first 2 shown]
	s_and_saveexec_b32 s3, vcc_lo
; %bb.29:
	ds_store_b32 v3, v0 offset:1040
; %bb.30:
	s_or_b32 exec_lo, exec_lo, s3
	s_wait_dscnt 0x0
	s_barrier_signal -1
	s_barrier_wait -1
	s_and_saveexec_b32 s3, s0
; %bb.31:
	ds_load_b32 v0, v4 offset:1040
; %bb.32:
	s_or_b32 exec_lo, exec_lo, s3
	s_wait_dscnt 0x0
	ds_bpermute_b32 v1, v50, v0
	s_wait_dscnt 0x0
	v_dual_mov_b32 v53, 0 :: v_dual_add_f32 v0, v0, v1
	ds_bpermute_b32 v1, v74, v0
	s_wait_dscnt 0x0
	v_add_f32_e32 v0, v0, v1
	ds_bpermute_b32 v0, v53, v0
	s_and_saveexec_b32 s0, s1
	s_cbranch_execz .LBB26_45
; %bb.33:
	s_wait_dscnt 0x0
	v_add_f32_e32 v0, 0x358637bd, v0
	s_mov_b32 s3, -1
	s_mov_b32 s1, exec_lo
	s_delay_alu instid0(VALU_DEP_1) | instskip(NEXT) | instid1(VALU_DEP_1)
	v_div_scale_f32 v1, null, v0, v0, 1.0
	v_rcp_f32_e32 v3, v1
	v_nop
	s_delay_alu instid0(TRANS32_DEP_1) | instskip(NEXT) | instid1(VALU_DEP_1)
	v_fma_f32 v2, -v1, v3, 1.0
	v_fmac_f32_e32 v3, v2, v3
	v_div_scale_f32 v4, vcc_lo, 1.0, v0, 1.0
	s_delay_alu instid0(VALU_DEP_1) | instskip(NEXT) | instid1(VALU_DEP_1)
	v_mul_f32_e32 v5, v4, v3
	v_fma_f32 v2, -v1, v5, v4
	s_delay_alu instid0(VALU_DEP_1) | instskip(SKIP_1) | instid1(VALU_DEP_2)
	v_fmac_f32_e32 v5, v2, v3
	v_xad_u32 v2, v73, -1, s11
	v_fma_f32 v1, -v1, v5, v4
	s_delay_alu instid0(VALU_DEP_1) | instskip(NEXT) | instid1(VALU_DEP_1)
	v_div_fmas_f32 v1, v1, v3, v5
	v_div_fixup_f32 v0, v1, v0, 1.0
	v_mov_b32_e32 v1, v73
	v_cmpx_lt_u32_e32 0x7f, v2
	s_cbranch_execz .LBB26_42
; %bb.34:
	s_delay_alu instid0(VALU_DEP_3) | instskip(NEXT) | instid1(VALU_DEP_1)
	v_dual_mov_b32 v1, v0 :: v_dual_lshrrev_b32 v2, 7, v2
	v_dual_mov_b32 v6, 0 :: v_dual_add_nc_u32 v3, -1, v2
	s_delay_alu instid0(VALU_DEP_1) | instskip(SKIP_1) | instid1(VALU_DEP_2)
	v_lshrrev_b32_e32 v4, 1, v3
	v_cmp_lt_u32_e32 vcc_lo, 13, v3
	v_add_nc_u32_e32 v3, 1, v4
	s_and_saveexec_b32 s3, vcc_lo
	s_cbranch_execz .LBB26_38
; %bb.35:
	s_delay_alu instid0(VALU_DEP_1)
	v_and_b32_e32 v4, -8, v3
	v_lshl_add_u32 v5, v73, 2, 0x420
	s_mov_b32 s15, 0
	s_mov_b32 s24, 0
.LBB26_36:                              ; =>This Inner Loop Header: Depth=1
	ds_load_2addr_stride64_b32 v[6:7], v5 offset1:2
	ds_load_2addr_stride64_b32 v[8:9], v5 offset0:4 offset1:6
	ds_load_2addr_stride64_b32 v[10:11], v5 offset0:8 offset1:10
	;; [unrolled: 1-line block ×7, first 2 shown]
	s_add_co_i32 s24, s24, 16
	v_add_nc_u32_e32 v4, -8, v4
	s_wait_dscnt 0x7
	v_pk_mul_f32 v[6:7], v[0:1], v[6:7]
	s_wait_dscnt 0x6
	v_pk_mul_f32 v[8:9], v[0:1], v[8:9]
	;; [unrolled: 2-line block ×8, first 2 shown]
	ds_store_2addr_stride64_b32 v5, v6, v7 offset1:2
	ds_store_2addr_stride64_b32 v5, v8, v9 offset0:4 offset1:6
	ds_store_2addr_stride64_b32 v5, v10, v11 offset0:8 offset1:10
	;; [unrolled: 1-line block ×7, first 2 shown]
	v_mov_b32_e32 v6, s24
	v_cmp_eq_u32_e32 vcc_lo, 0, v4
	v_add_nc_u32_e32 v5, 0x2000, v5
	s_or_b32 s15, vcc_lo, s15
	s_delay_alu instid0(SALU_CYCLE_1)
	s_and_not1_b32 exec_lo, exec_lo, s15
	s_cbranch_execnz .LBB26_36
; %bb.37:
	s_or_b32 exec_lo, exec_lo, s15
	v_mov_b32_e32 v53, 0
.LBB26_38:
	s_or_b32 exec_lo, exec_lo, s3
	s_delay_alu instid0(VALU_DEP_1) | instskip(SKIP_2) | instid1(VALU_DEP_1)
	v_and_b32_e32 v3, 7, v3
	s_mov_b32 s15, 0
	s_mov_b32 s3, exec_lo
	v_cmpx_ne_u32_e32 0, v3
	s_cbranch_execz .LBB26_41
; %bb.39:
	v_lshlrev_b32_e32 v4, 9, v6
	s_delay_alu instid0(VALU_DEP_1)
	v_add3_u32 v4, v4, v60, 0x420
.LBB26_40:                              ; =>This Inner Loop Header: Depth=1
	ds_load_2addr_stride64_b32 v[6:7], v4 offset1:2
	v_add_nc_u32_e32 v3, -1, v3
	s_delay_alu instid0(VALU_DEP_1)
	v_cmp_eq_u32_e32 vcc_lo, 0, v3
	s_or_b32 s15, vcc_lo, s15
	s_wait_dscnt 0x0
	v_pk_mul_f32 v[6:7], v[0:1], v[6:7]
	ds_store_2addr_stride64_b32 v4, v6, v7 offset1:2
	v_add_nc_u32_e32 v4, 0x400, v4
	s_and_not1_b32 exec_lo, exec_lo, s15
	s_cbranch_execnz .LBB26_40
.LBB26_41:
	s_or_b32 exec_lo, exec_lo, s3
	v_add_nc_u32_e32 v1, 1, v2
	s_delay_alu instid0(VALU_DEP_1) | instskip(NEXT) | instid1(VALU_DEP_1)
	v_and_b32_e32 v2, 0x3fffffe, v1
	v_cmp_ne_u32_e32 vcc_lo, v1, v2
	v_lshl_add_u32 v1, v2, 7, v73
	s_or_not1_b32 s3, vcc_lo, exec_lo
.LBB26_42:
	s_or_b32 exec_lo, exec_lo, s1
	s_delay_alu instid0(SALU_CYCLE_1)
	s_and_b32 exec_lo, exec_lo, s3
	s_cbranch_execz .LBB26_45
; %bb.43:
	v_lshl_add_u32 v2, v1, 2, 0x420
	s_mov_b32 s1, 0
.LBB26_44:                              ; =>This Inner Loop Header: Depth=1
	ds_load_b32 v3, v2
	v_add_nc_u32_e32 v1, 0x80, v1
	s_delay_alu instid0(VALU_DEP_1)
	v_cmp_le_i32_e32 vcc_lo, s11, v1
	s_or_b32 s1, vcc_lo, s1
	s_wait_dscnt 0x0
	v_mul_f32_e32 v3, v0, v3
	ds_store_b32 v2, v3
	v_add_nc_u32_e32 v2, 0x200, v2
	s_and_not1_b32 exec_lo, exec_lo, s1
	s_cbranch_execnz .LBB26_44
.LBB26_45:
	s_or_b32 exec_lo, exec_lo, s0
	s_wait_dscnt 0x0
	v_dual_mov_b32 v1, 0 :: v_dual_mov_b32 v0, 0
	v_dual_mov_b32 v52, 0 :: v_dual_bitop2_b32 v75, 3, v73 bitop3:0x40
	v_dual_mov_b32 v17, 0 :: v_dual_mov_b32 v16, 0
	scratch_store_b64 off, v[0:1], off offset:64 ; 8-byte Folded Spill
	s_wait_xcnt 0x0
	v_dual_mov_b32 v1, 0 :: v_dual_mov_b32 v0, 0
	v_dual_mov_b32 v19, 0 :: v_dual_mov_b32 v18, 0
	v_dual_mov_b32 v15, 0 :: v_dual_mov_b32 v14, 0
	scratch_store_b64 off, v[0:1], off offset:72 ; 8-byte Folded Spill
	s_wait_xcnt 0x0
	v_dual_mov_b32 v1, 0 :: v_dual_mov_b32 v0, 0
	v_dual_mov_b32 v7, 0 :: v_dual_mov_b32 v6, 0
	;; [unrolled: 5-line block ×3, first 2 shown]
	v_dual_mov_b32 v39, 0 :: v_dual_mov_b32 v38, 0
	scratch_store_b64 off, v[0:1], off offset:88 ; 8-byte Folded Spill
	s_wait_xcnt 0x0
	v_dual_mov_b32 v1, 0 :: v_dual_mov_b32 v0, 0
	scratch_store_b64 off, v[0:1], off offset:96 ; 8-byte Folded Spill
	s_wait_xcnt 0x0
	;; [unrolled: 3-line block ×4, first 2 shown]
	v_dual_mov_b32 v1, 0 :: v_dual_mov_b32 v0, 0
	scratch_store_b64 off, v[0:1], off offset:120 ; 8-byte Folded Spill
	s_wait_storecnt 0x0
	s_barrier_signal -1
	s_barrier_wait -1
	s_wait_xcnt 0x0
	s_and_saveexec_b32 s24, s2
	s_cbranch_execz .LBB26_115
; %bb.46:
	s_abs_i32 s25, s10
	v_dual_mov_b32 v15, v82 :: v_dual_bitop2_b32 v0, 12, v60 bitop3:0x40
	v_and_b32_e32 v2, 0x7c, v60
	v_dual_mov_b32 v127, 0 :: v_dual_lshlrev_b32 v3, 4, v75
	s_cvt_f32_u32 s0, s25
	s_clause 0x3
	scratch_store_b32 off, v74, off offset:228
	scratch_store_b32 off, v50, off offset:224
	;; [unrolled: 1-line block ×4, first 2 shown]
	v_dual_lshlrev_b32 v2, 2, v2 :: v_dual_mov_b32 v38, v127
	v_lshl_or_b32 v3, v15, 6, v3
	s_clause 0x1
	scratch_store_b32 off, v0, off offset:208
	scratch_store_b32 off, v75, off offset:232
	s_wait_xcnt 0x1
	v_rcp_iflag_f32_e32 v0, s0
	s_sub_co_i32 s26, s8, s9
	v_or_b32_e32 v4, 0xf80, v60
	v_dual_mov_b32 v1, v127 :: v_dual_add_nc_u32 v14, 0x420, v3
	s_lshl_b64 s[0:1], s[20:21], 2
	s_ashr_i32 s15, s14, 31
	s_delay_alu instid0(TRANS32_DEP_1)
	v_readfirstlane_b32 s8, v0
	v_and_b32_e32 v0, 0x7c, v61
	scratch_store_b64 off, v[2:3], off offset:160 ; 8-byte Folded Spill
	s_wait_xcnt 0x0
	v_dual_mov_b32 v39, v127 :: v_dual_lshlrev_b32 v2, 2, v4
	s_mul_f32 s8, s8, 0x4f7ffffe
	s_add_nc_u64 s[0:1], s[18:19], s[0:1]
	s_lshl_b64 s[10:11], s[14:15], 2
	s_sub_co_i32 s14, 0, s25
	s_cvt_u32_f32 s8, s8
	v_add_nc_u64_e32 v[0:1], s[0:1], v[0:1]
	s_clause 0x1
	scratch_store_b64 off, v[2:3], off offset:168
	scratch_store_b32 off, v15, off offset:216
	v_dual_mov_b32 v36, v127 :: v_dual_mov_b32 v37, v127
	s_mul_i32 s14, s14, s8
	s_wait_xcnt 0x1
	v_dual_mov_b32 v2, v127 :: v_dual_mov_b32 v3, v127
	v_dual_mov_b32 v18, v127 :: v_dual_mov_b32 v19, v127
	;; [unrolled: 1-line block ×3, first 2 shown]
	s_mov_b32 s9, 0
	s_mul_hi_u32 s0, s8, s14
	s_ashr_i32 s3, s13, 31
	s_mov_b32 s2, s13
	s_add_co_i32 s13, s35, -1
	s_wait_kmcnt 0x0
	s_add_nc_u64 s[10:11], s[22:23], s[10:11]
	s_mov_b32 s14, s31
	s_add_co_i32 s8, s8, s0
	s_mov_b32 s15, s9
	s_clause 0xb
	scratch_store_b64 off, v[2:3], off offset:152
	scratch_store_b64 off, v[2:3], off offset:144
	;; [unrolled: 1-line block ×12, first 2 shown]
	s_branch .LBB26_49
.LBB26_47:                              ;   in Loop: Header=BB26_49 Depth=1
	s_or_b32 exec_lo, exec_lo, s1
	s_wait_dscnt 0x0
	v_mul_f32_e32 v2, v6, v2
	v_mul_f32_e32 v10, v6, v10
	scratch_load_b64 v[20:21], off, off offset:128 th:TH_LOAD_LU ; 8-byte Folded Reload
	v_mul_f32_e32 v16, v6, v94
	v_dual_mul_f32 v17, v6, v90 :: v_dual_fmac_f32 v2, v7, v3
	v_dual_fmac_f32 v10, v7, v11 :: v_dual_mul_f32 v3, v6, v122
	s_delay_alu instid0(VALU_DEP_3) | instskip(NEXT) | instid1(VALU_DEP_3)
	v_dual_mul_f32 v11, v6, v110 :: v_dual_fmac_f32 v16, v7, v95
	v_dual_fmac_f32 v2, v8, v4 :: v_dual_mul_f32 v4, v6, v118
	s_delay_alu instid0(VALU_DEP_3) | instskip(NEXT) | instid1(VALU_DEP_2)
	v_dual_fmac_f32 v10, v8, v12 :: v_dual_fmac_f32 v3, v7, v123
	v_dual_fmac_f32 v11, v7, v111 :: v_dual_fmac_f32 v2, v9, v5
	s_delay_alu instid0(VALU_DEP_3) | instskip(NEXT) | instid1(VALU_DEP_2)
	v_dual_fmac_f32 v4, v7, v119 :: v_dual_mul_f32 v5, v6, v114
	v_dual_mul_f32 v12, v6, v102 :: v_dual_fmac_f32 v11, v8, v112
	s_delay_alu instid0(VALU_DEP_4) | instskip(NEXT) | instid1(VALU_DEP_3)
	v_dual_fmac_f32 v10, v9, v13 :: v_dual_fmac_f32 v3, v8, v124
	v_dual_fmac_f32 v4, v8, v120 :: v_dual_fmac_f32 v5, v7, v115
	s_delay_alu instid0(VALU_DEP_3) | instskip(NEXT) | instid1(VALU_DEP_2)
	v_dual_fmac_f32 v11, v9, v113 :: v_dual_fmac_f32 v12, v7, v103
	v_dual_mul_f32 v13, v6, v98 :: v_dual_fmac_f32 v4, v9, v121
	s_delay_alu instid0(VALU_DEP_3) | instskip(SKIP_1) | instid1(VALU_DEP_3)
	v_fmac_f32_e32 v5, v8, v116
	v_fmac_f32_e32 v16, v8, v96
	v_dual_fmac_f32 v12, v8, v104 :: v_dual_fmac_f32 v13, v7, v99
	v_fmac_f32_e32 v3, v9, v125
	s_delay_alu instid0(VALU_DEP_4) | instskip(NEXT) | instid1(VALU_DEP_4)
	v_fmac_f32_e32 v5, v9, v117
	v_dual_fmac_f32 v16, v9, v97 :: v_dual_fmac_f32 v17, v7, v91
	s_delay_alu instid0(VALU_DEP_4) | instskip(NEXT) | instid1(VALU_DEP_2)
	v_dual_fmac_f32 v12, v9, v105 :: v_dual_fmac_f32 v13, v8, v100
	v_dual_mul_f32 v18, v6, v86 :: v_dual_fmac_f32 v17, v8, v92
	s_delay_alu instid0(VALU_DEP_1)
	v_dual_fmac_f32 v13, v9, v101 :: v_dual_fmac_f32 v18, v7, v87
	scratch_load_b64 v[86:87], off, off offset:64 th:TH_LOAD_LU ; 8-byte Folded Reload
	v_dual_fmac_f32 v17, v9, v93 :: v_dual_fmac_f32 v18, v8, v88
	s_wait_loadcnt 0x1
	v_add_f32_e32 v20, v20, v10
	s_wait_loadcnt 0x0
	v_dual_add_f32 v87, v87, v2 :: v_dual_add_f32 v86, v86, v3
	scratch_load_b64 v[2:3], off, off offset:72 th:TH_LOAD_LU ; 8-byte Folded Reload
	s_wait_loadcnt 0x0
	v_dual_fmac_f32 v18, v9, v89 :: v_dual_add_f32 v3, v3, v4
	v_add_f32_e32 v2, v2, v5
	s_clause 0x3
	scratch_store_b64 off, v[86:87], off offset:64
	scratch_load_b64 v[4:5], off, off offset:88 th:TH_LOAD_LU
	scratch_store_b64 off, v[2:3], off offset:72
	scratch_load_b64 v[2:3], off, off offset:80 th:TH_LOAD_LU
	s_wait_loadcnt 0x1
	v_dual_add_f32 v5, v5, v13 :: v_dual_add_f32 v4, v4, v16
	s_wait_loadcnt 0x0
	v_dual_add_f32 v3, v3, v11 :: v_dual_add_f32 v2, v2, v12
	s_clause 0x3
	scratch_store_b64 off, v[4:5], off offset:88
	scratch_load_b64 v[4:5], off, off offset:176 th:TH_LOAD_LU
	scratch_load_b64 v[12:13], off, off offset:96 th:TH_LOAD_LU
	scratch_store_b64 off, v[2:3], off offset:80
	s_wait_xcnt 0x0
	v_mul_f32_e32 v2, v6, v82
	v_mul_f32_e32 v3, v6, v78
	s_delay_alu instid0(VALU_DEP_1) | instskip(NEXT) | instid1(VALU_DEP_1)
	v_fmac_f32_e32 v3, v7, v79
	v_fmac_f32_e32 v3, v8, v80
	s_delay_alu instid0(VALU_DEP_1) | instskip(SKIP_2) | instid1(VALU_DEP_1)
	v_fmac_f32_e32 v3, v9, v81
	s_wait_loadcnt 0x1
	v_add_f32_e32 v5, v5, v17
	v_mov_b64_e32 v[16:17], v[4:5]
	v_dual_fmac_f32 v2, v7, v83 :: v_dual_mul_f32 v4, v6, v70
	s_delay_alu instid0(VALU_DEP_1) | instskip(NEXT) | instid1(VALU_DEP_3)
	v_dual_mul_f32 v10, v6, v62 :: v_dual_fmac_f32 v4, v7, v71
	v_add_f32_e32 v16, v16, v18
	scratch_load_b64 v[18:19], off, off offset:184 th:TH_LOAD_LU ; 8-byte Folded Reload
	v_fmac_f32_e32 v2, v8, v84
	v_dual_fmac_f32 v10, v7, v63 :: v_dual_fmac_f32 v4, v8, v72
	s_delay_alu instid0(VALU_DEP_2) | instskip(NEXT) | instid1(VALU_DEP_2)
	v_fmac_f32_e32 v2, v9, v85
	v_dual_fmac_f32 v10, v8, v64 :: v_dual_fmac_f32 v4, v9, v73
	s_wait_loadcnt 0x1
	s_delay_alu instid0(VALU_DEP_1) | instskip(SKIP_1) | instid1(VALU_DEP_1)
	v_dual_fmac_f32 v10, v9, v65 :: v_dual_add_f32 v12, v12, v4
	v_mul_f32_e32 v4, v6, v50
	v_fmac_f32_e32 v4, v7, v51
	s_wait_loadcnt 0x0
	s_delay_alu instid0(VALU_DEP_1) | instskip(SKIP_3) | instid1(VALU_DEP_3)
	v_dual_fmac_f32 v4, v8, v52 :: v_dual_add_f32 v19, v19, v2
	v_mul_f32_e32 v2, v6, v74
	v_mul_f32_e32 v5, v6, v66
	v_add_f32_e32 v18, v18, v3
	v_dual_mul_f32 v3, v6, v54 :: v_dual_fmac_f32 v2, v7, v75
	s_delay_alu instid0(VALU_DEP_3) | instskip(NEXT) | instid1(VALU_DEP_2)
	v_fmac_f32_e32 v5, v7, v67
	v_dual_fmac_f32 v3, v7, v55 :: v_dual_fmac_f32 v2, v8, v76
	s_delay_alu instid0(VALU_DEP_2) | instskip(NEXT) | instid1(VALU_DEP_2)
	v_fmac_f32_e32 v5, v8, v68
	v_dual_fmac_f32 v3, v8, v56 :: v_dual_fmac_f32 v2, v9, v77
	s_delay_alu instid0(VALU_DEP_2) | instskip(NEXT) | instid1(VALU_DEP_2)
	v_fmac_f32_e32 v5, v9, v69
	v_fmac_f32_e32 v3, v9, v57
	s_delay_alu instid0(VALU_DEP_3) | instskip(SKIP_1) | instid1(VALU_DEP_1)
	v_add_f32_e32 v13, v13, v2
	v_mul_f32_e32 v2, v6, v58
	v_fmac_f32_e32 v2, v7, v59
	s_clause 0x1
	scratch_store_b64 off, v[12:13], off offset:96
	scratch_load_b64 v[12:13], off, off offset:136 th:TH_LOAD_LU
	v_fmac_f32_e32 v2, v8, v60
	s_delay_alu instid0(VALU_DEP_1)
	v_fmac_f32_e32 v2, v9, v61
	s_wait_loadcnt 0x0
	v_dual_add_f32 v13, v13, v5 :: v_dual_add_f32 v12, v12, v10
	v_mul_f32_e32 v5, v6, v46
	v_mul_f32_e32 v10, v6, v42
	s_clause 0x1
	scratch_store_b64 off, v[12:13], off offset:136
	scratch_load_b64 v[12:13], off, off offset:104 th:TH_LOAD_LU
	v_fmac_f32_e32 v5, v7, v47
	v_dual_fmac_f32 v10, v7, v43 :: v_dual_fmac_f32 v4, v9, v53
	s_delay_alu instid0(VALU_DEP_2) | instskip(NEXT) | instid1(VALU_DEP_2)
	v_fmac_f32_e32 v5, v8, v48
	v_fmac_f32_e32 v10, v8, v44
	s_delay_alu instid0(VALU_DEP_1)
	v_fmac_f32_e32 v10, v9, v45
	s_wait_loadcnt 0x0
	v_dual_add_f32 v13, v13, v2 :: v_dual_add_f32 v12, v12, v3
	s_clause 0x2
	scratch_load_b64 v[2:3], off, off offset:112 th:TH_LOAD_LU
	scratch_store_b64 off, v[12:13], off offset:104
	scratch_load_b64 v[12:13], off, off offset:120 th:TH_LOAD_LU
	s_wait_loadcnt 0x1
	v_dual_fmac_f32 v5, v9, v49 :: v_dual_add_f32 v3, v3, v4
	s_delay_alu instid0(VALU_DEP_1)
	v_add_f32_e32 v2, v2, v5
	v_mul_f32_e32 v4, v6, v30
	scratch_store_b64 off, v[2:3], off offset:112 ; 8-byte Folded Spill
	s_wait_xcnt 0x0
	v_mul_f32_e32 v2, v6, v38
	s_wait_loadcnt 0x0
	v_add_f32_e32 v13, v13, v10
	v_dual_mul_f32 v3, v6, v34 :: v_dual_fmac_f32 v4, v7, v31
	s_delay_alu instid0(VALU_DEP_3) | instskip(NEXT) | instid1(VALU_DEP_2)
	v_dual_fmac_f32 v2, v7, v39 :: v_dual_mul_f32 v5, v6, v26
	v_fmac_f32_e32 v3, v7, v35
	scratch_load_b64 v[38:39], off, off offset:200 th:TH_LOAD_LU ; 8-byte Folded Reload
	v_dual_fmac_f32 v2, v8, v40 :: v_dual_mul_f32 v10, v6, v22
	v_dual_fmac_f32 v5, v7, v27 :: v_dual_fmac_f32 v3, v8, v36
	s_delay_alu instid0(VALU_DEP_2) | instskip(NEXT) | instid1(VALU_DEP_2)
	v_dual_fmac_f32 v4, v8, v32 :: v_dual_fmac_f32 v2, v9, v41
	v_dual_fmac_f32 v10, v7, v23 :: v_dual_fmac_f32 v5, v8, v28
	s_delay_alu instid0(VALU_DEP_3)
	v_fmac_f32_e32 v3, v9, v37
	scratch_load_b128 v[34:37], off, off offset:48 th:TH_LOAD_LU ; 16-byte Folded Reload
	v_add_f32_e32 v12, v12, v2
	v_dual_fmac_f32 v10, v8, v24 :: v_dual_fmac_f32 v4, v9, v33
	v_fmac_f32_e32 v5, v9, v29
	s_clause 0x3
	scratch_load_b128 v[30:33], off, off offset:32 th:TH_LOAD_LU
	scratch_store_b64 off, v[12:13], off offset:120
	scratch_load_b64 v[12:13], off, off offset:144 th:TH_LOAD_LU
	scratch_load_b128 v[26:29], off, off offset:16 th:TH_LOAD_LU
	s_wait_loadcnt 0x3
	v_mul_f32_e32 v11, v6, v34
	s_delay_alu instid0(VALU_DEP_1) | instskip(NEXT) | instid1(VALU_DEP_1)
	v_fmac_f32_e32 v11, v7, v35
	v_fmac_f32_e32 v11, v8, v36
	s_delay_alu instid0(VALU_DEP_1)
	v_fmac_f32_e32 v11, v9, v37
	scratch_load_b64 v[36:37], off, off offset:192 th:TH_LOAD_LU ; 8-byte Folded Reload
	s_wait_loadcnt 0x2
	v_add_f32_e32 v13, v13, v3
	scratch_load_b64 v[2:3], off, off offset:152 th:TH_LOAD_LU ; 8-byte Folded Reload
	v_dual_fmac_f32 v10, v9, v25 :: v_dual_add_f32 v12, v12, v4
	scratch_load_b128 v[22:25], off, off th:TH_LOAD_LU ; 16-byte Folded Reload
	s_wait_loadcnt 0x1
	v_dual_add_f32 v3, v3, v5 :: v_dual_add_f32 v2, v2, v10
	v_pk_mul_f32 v[4:5], v[8:9], v[108:109]
	scratch_store_b64 off, v[2:3], off offset:152 ; 8-byte Folded Spill
	s_wait_xcnt 0x0
	v_pk_mul_f32 v[2:3], v[6:7], v[106:107]
	s_delay_alu instid0(VALU_DEP_1) | instskip(NEXT) | instid1(VALU_DEP_1)
	v_add_f32_e32 v2, v3, v2
	v_add_f32_e32 v2, v4, v2
	s_delay_alu instid0(VALU_DEP_1) | instskip(NEXT) | instid1(VALU_DEP_1)
	v_add_f32_e32 v2, v5, v2
	v_add_f32_e32 v21, v21, v2
	scratch_store_b64 off, v[12:13], off offset:144 ; 8-byte Folded Spill
	s_wait_loadcnt 0x0
	v_mul_f32_e32 v13, v6, v22
	v_mul_f32_e32 v10, v6, v30
	scratch_store_b64 off, v[20:21], off offset:128 ; 8-byte Folded Spill
	v_fmac_f32_e32 v13, v7, v23
	v_dual_fmac_f32 v10, v7, v31 :: v_dual_mul_f32 v12, v6, v26
	s_delay_alu instid0(VALU_DEP_2) | instskip(NEXT) | instid1(VALU_DEP_2)
	v_fmac_f32_e32 v13, v8, v24
	v_dual_fmac_f32 v10, v8, v32 :: v_dual_fmac_f32 v12, v7, v27
	s_delay_alu instid0(VALU_DEP_2) | instskip(NEXT) | instid1(VALU_DEP_2)
	v_fmac_f32_e32 v13, v9, v25
	v_dual_fmac_f32 v10, v9, v33 :: v_dual_fmac_f32 v12, v8, v28
	s_delay_alu instid0(VALU_DEP_1) | instskip(NEXT) | instid1(VALU_DEP_2)
	v_dual_add_f32 v38, v38, v13 :: v_dual_add_f32 v36, v36, v10
	v_fmac_f32_e32 v12, v9, v29
	s_delay_alu instid0(VALU_DEP_1)
	v_dual_add_f32 v37, v37, v11 :: v_dual_add_f32 v39, v39, v12
.LBB26_48:                              ;   in Loop: Header=BB26_49 Depth=1
	s_wait_xcnt 0x0
	s_or_b32 exec_lo, exec_lo, s18
	v_dual_add_nc_u32 v15, 4, v15 :: v_dual_add_nc_u32 v126, 64, v126
	v_add_nc_u64_e32 v[0:1], 16, v[0:1]
	v_add_nc_u32_e32 v14, 0x100, v14
	s_delay_alu instid0(VALU_DEP_3) | instskip(SKIP_1) | instid1(SALU_CYCLE_1)
	v_cmp_le_i32_e32 vcc_lo, s35, v15
	s_or_b32 s15, vcc_lo, s15
	s_and_not1_b32 exec_lo, exec_lo, s15
	s_cbranch_execz .LBB26_114
.LBB26_49:                              ; =>This Inner Loop Header: Depth=1
	s_wait_xcnt 0x0
	v_mul_u64_e32 v[2:3], s[16:17], v[126:127]
	s_delay_alu instid0(VALU_DEP_1) | instskip(NEXT) | instid1(VALU_DEP_1)
	v_mul_lo_u32 v2, v3, s12
	v_dual_add_nc_u32 v4, 1, v3 :: v_dual_sub_nc_u32 v2, v126, v2
	s_delay_alu instid0(VALU_DEP_1) | instskip(SKIP_1) | instid1(VALU_DEP_2)
	v_subrev_nc_u32_e32 v5, s12, v2
	v_cmp_le_u32_e32 vcc_lo, s12, v2
	v_dual_cndmask_b32 v3, v3, v4 :: v_dual_cndmask_b32 v2, v2, v5
	s_delay_alu instid0(VALU_DEP_1) | instskip(NEXT) | instid1(VALU_DEP_2)
	v_add_nc_u32_e32 v4, 1, v3
	v_cmp_le_u32_e32 vcc_lo, s12, v2
	s_delay_alu instid0(VALU_DEP_2) | instskip(NEXT) | instid1(VALU_DEP_1)
	v_cndmask_b32_e32 v2, v3, v4, vcc_lo
	v_dual_mov_b32 v3, v127 :: v_dual_bitop2_b32 v2, s34, v2 bitop3:0x14
	s_delay_alu instid0(VALU_DEP_1) | instskip(NEXT) | instid1(VALU_DEP_1)
	v_subrev_nc_u32_e32 v6, s34, v2
	v_add_nc_u32_e32 v7, s33, v6
	v_cmp_lt_i32_e64 s0, s26, v6
	s_delay_alu instid0(VALU_DEP_2) | instskip(NEXT) | instid1(VALU_DEP_1)
	v_sub_nc_u32_e32 v2, 0, v7
	v_max_i32_e32 v2, v7, v2
	s_delay_alu instid0(VALU_DEP_1) | instskip(SKIP_1) | instid1(VALU_DEP_2)
	v_mul_u64_e32 v[4:5], s[8:9], v[2:3]
	v_ashrrev_i32_e32 v4, 31, v7
	v_mul_lo_u32 v3, v5, s25
	s_delay_alu instid0(VALU_DEP_1) | instskip(NEXT) | instid1(VALU_DEP_1)
	v_sub_nc_u32_e32 v2, v2, v3
	v_subrev_nc_u32_e32 v3, s25, v2
	v_cmp_le_u32_e32 vcc_lo, s25, v2
	s_delay_alu instid0(VALU_DEP_2) | instskip(NEXT) | instid1(VALU_DEP_1)
	v_cndmask_b32_e32 v2, v2, v3, vcc_lo
	v_subrev_nc_u32_e32 v3, s25, v2
	v_cmp_le_u32_e32 vcc_lo, s25, v2
	s_delay_alu instid0(VALU_DEP_2) | instskip(NEXT) | instid1(VALU_DEP_1)
	v_cndmask_b32_e32 v2, v2, v3, vcc_lo
	v_xor_b32_e32 v2, v2, v4
	s_delay_alu instid0(VALU_DEP_1) | instskip(NEXT) | instid1(VALU_DEP_1)
	v_sub_nc_u32_e32 v2, v2, v4
	v_cmp_eq_u32_e32 vcc_lo, 0, v2
	s_or_b32 s0, vcc_lo, s0
	s_delay_alu instid0(SALU_CYCLE_1)
	s_and_saveexec_b32 s18, s0
	s_cbranch_execz .LBB26_48
; %bb.50:                               ;   in Loop: Header=BB26_49 Depth=1
	s_clause 0x3
	scratch_store_b64 off, v[38:39], off offset:200
	scratch_store_b64 off, v[36:37], off offset:192
	;; [unrolled: 1-line block ×4, first 2 shown]
	global_load_b32 v2, v[0:1], off
	ds_load_b128 v[6:9], v14
	v_cmp_eq_u32_e32 vcc_lo, s13, v15
	s_wait_loadcnt 0x0
	v_ashrrev_i32_e32 v3, 31, v2
	s_delay_alu instid0(VALU_DEP_1) | instskip(NEXT) | instid1(VALU_DEP_1)
	v_mul_u64_e32 v[2:3], s[2:3], v[2:3]
	v_lshl_add_u64 v[106:107], v[2:3], 2, s[10:11]
	scratch_load_b64 v[2:3], off, off offset:160 th:TH_LOAD_LU ; 8-byte Folded Reload
	s_wait_loadcnt 0x0
	v_mov_b32_e32 v3, v127
	s_delay_alu instid0(VALU_DEP_1)
	v_add_nc_u64_e32 v[10:11], v[106:107], v[2:3]
	v_mov_b32_e32 v4, v2
	scratch_store_b64 off, v[4:5], off offset:160 ; 8-byte Folded Spill
	global_load_b128 v[2:5], v[10:11], off
	s_wait_loadcnt 0x0
	s_clause 0x1
	scratch_store_b128 off, v[2:5], off
	scratch_load_b32 v2, off, off offset:208
	s_wait_loadcnt 0x0
	v_add_nc_u32_e32 v17, v2, v126
	s_delay_alu instid0(VALU_DEP_1)
	v_dual_add_nc_u32 v19, 1, v17 :: v_dual_bitop2_b32 v16, 3, v17 bitop3:0x54
	v_or_b32_e32 v18, 2, v17
	s_wait_xcnt 0x0
	s_and_saveexec_b32 s1, vcc_lo
	s_cbranch_execz .LBB26_52
; %bb.51:                               ;   in Loop: Header=BB26_49 Depth=1
	scratch_load_b128 v[2:5], off, off th:TH_LOAD_LU ; 16-byte Folded Reload
	v_cmp_gt_i32_e64 s0, s14, v19
	s_wait_loadcnt 0x0
	s_delay_alu instid0(VALU_DEP_1) | instskip(SKIP_1) | instid1(VALU_DEP_1)
	v_cndmask_b32_e64 v3, 0, v3, s0
	v_cmp_gt_i32_e64 s0, s31, v17
	v_cndmask_b32_e64 v2, 0, v2, s0
	v_cmp_gt_i32_e64 s0, s14, v16
	s_delay_alu instid0(VALU_DEP_1) | instskip(SKIP_1) | instid1(VALU_DEP_1)
	v_cndmask_b32_e64 v5, 0, v5, s0
	v_cmp_gt_i32_e64 s0, s31, v18
	v_cndmask_b32_e64 v4, 0, v4, s0
	scratch_store_b128 off, v[2:5], off     ; 16-byte Folded Spill
.LBB26_52:                              ;   in Loop: Header=BB26_49 Depth=1
	s_wait_xcnt 0x0
	s_or_b32 exec_lo, exec_lo, s1
	global_load_b128 v[2:5], v[10:11], off offset:512
	s_wait_loadcnt 0x0
	scratch_store_b128 off, v[2:5], off offset:16 ; 16-byte Folded Spill
	s_wait_xcnt 0x0
	s_and_saveexec_b32 s1, vcc_lo
	s_cbranch_execz .LBB26_54
; %bb.53:                               ;   in Loop: Header=BB26_49 Depth=1
	scratch_load_b128 v[2:5], off, off offset:16 th:TH_LOAD_LU ; 16-byte Folded Reload
	v_cmp_gt_i32_e64 s0, s14, v19
	s_wait_loadcnt 0x0
	s_delay_alu instid0(VALU_DEP_1) | instskip(SKIP_1) | instid1(VALU_DEP_1)
	v_cndmask_b32_e64 v3, 0, v3, s0
	v_cmp_gt_i32_e64 s0, s31, v17
	v_cndmask_b32_e64 v2, 0, v2, s0
	v_cmp_gt_i32_e64 s0, s14, v16
	s_delay_alu instid0(VALU_DEP_1) | instskip(SKIP_1) | instid1(VALU_DEP_1)
	v_cndmask_b32_e64 v5, 0, v5, s0
	v_cmp_gt_i32_e64 s0, s31, v18
	v_cndmask_b32_e64 v4, 0, v4, s0
	scratch_store_b128 off, v[2:5], off offset:16 ; 16-byte Folded Spill
.LBB26_54:                              ;   in Loop: Header=BB26_49 Depth=1
	s_wait_xcnt 0x0
	s_or_b32 exec_lo, exec_lo, s1
	global_load_b128 v[2:5], v[10:11], off offset:1024
	s_wait_loadcnt 0x0
	scratch_store_b128 off, v[2:5], off offset:32 ; 16-byte Folded Spill
	s_wait_xcnt 0x0
	s_and_saveexec_b32 s1, vcc_lo
	s_cbranch_execz .LBB26_56
; %bb.55:                               ;   in Loop: Header=BB26_49 Depth=1
	scratch_load_b128 v[2:5], off, off offset:32 th:TH_LOAD_LU ; 16-byte Folded Reload
	v_cmp_gt_i32_e64 s0, s14, v19
	s_wait_loadcnt 0x0
	s_delay_alu instid0(VALU_DEP_1) | instskip(SKIP_1) | instid1(VALU_DEP_1)
	v_cndmask_b32_e64 v3, 0, v3, s0
	v_cmp_gt_i32_e64 s0, s31, v17
	v_cndmask_b32_e64 v2, 0, v2, s0
	v_cmp_gt_i32_e64 s0, s14, v16
	s_delay_alu instid0(VALU_DEP_1) | instskip(SKIP_1) | instid1(VALU_DEP_1)
	v_cndmask_b32_e64 v5, 0, v5, s0
	v_cmp_gt_i32_e64 s0, s31, v18
	v_cndmask_b32_e64 v4, 0, v4, s0
	scratch_store_b128 off, v[2:5], off offset:32 ; 16-byte Folded Spill
.LBB26_56:                              ;   in Loop: Header=BB26_49 Depth=1
	s_wait_xcnt 0x0
	s_or_b32 exec_lo, exec_lo, s1
	global_load_b128 v[2:5], v[10:11], off offset:1536
	s_wait_loadcnt 0x0
	scratch_store_b128 off, v[2:5], off offset:48 ; 16-byte Folded Spill
	s_wait_xcnt 0x0
	s_and_saveexec_b32 s1, vcc_lo
	s_cbranch_execnz .LBB26_87
; %bb.57:                               ;   in Loop: Header=BB26_49 Depth=1
	s_or_b32 exec_lo, exec_lo, s1
	global_load_b128 v[22:25], v[10:11], off offset:2048
	s_wait_xcnt 0x0
	s_and_saveexec_b32 s1, vcc_lo
	s_cbranch_execnz .LBB26_88
.LBB26_58:                              ;   in Loop: Header=BB26_49 Depth=1
	s_or_b32 exec_lo, exec_lo, s1
	global_load_b128 v[26:29], v[10:11], off offset:2560
	s_wait_xcnt 0x0
	s_and_saveexec_b32 s1, vcc_lo
	s_cbranch_execnz .LBB26_89
.LBB26_59:                              ;   in Loop: Header=BB26_49 Depth=1
	s_or_b32 exec_lo, exec_lo, s1
	global_load_b128 v[30:33], v[10:11], off offset:3072
	s_wait_xcnt 0x0
	s_and_saveexec_b32 s1, vcc_lo
	s_cbranch_execnz .LBB26_90
.LBB26_60:                              ;   in Loop: Header=BB26_49 Depth=1
	s_or_b32 exec_lo, exec_lo, s1
	global_load_b128 v[34:37], v[10:11], off offset:3584
	s_wait_xcnt 0x0
	s_and_saveexec_b32 s1, vcc_lo
	s_cbranch_execnz .LBB26_91
.LBB26_61:                              ;   in Loop: Header=BB26_49 Depth=1
	s_or_b32 exec_lo, exec_lo, s1
	global_load_b128 v[38:41], v[10:11], off offset:4096
	s_wait_xcnt 0x0
	s_and_saveexec_b32 s1, vcc_lo
	s_cbranch_execnz .LBB26_92
.LBB26_62:                              ;   in Loop: Header=BB26_49 Depth=1
	s_or_b32 exec_lo, exec_lo, s1
	global_load_b128 v[42:45], v[10:11], off offset:4608
	s_wait_xcnt 0x0
	s_and_saveexec_b32 s1, vcc_lo
	s_cbranch_execnz .LBB26_93
.LBB26_63:                              ;   in Loop: Header=BB26_49 Depth=1
	s_or_b32 exec_lo, exec_lo, s1
	global_load_b128 v[46:49], v[10:11], off offset:5120
	s_wait_xcnt 0x0
	s_and_saveexec_b32 s1, vcc_lo
	s_cbranch_execnz .LBB26_94
.LBB26_64:                              ;   in Loop: Header=BB26_49 Depth=1
	s_or_b32 exec_lo, exec_lo, s1
	global_load_b128 v[50:53], v[10:11], off offset:5632
	s_wait_xcnt 0x0
	s_and_saveexec_b32 s1, vcc_lo
	s_cbranch_execnz .LBB26_95
.LBB26_65:                              ;   in Loop: Header=BB26_49 Depth=1
	s_or_b32 exec_lo, exec_lo, s1
	global_load_b128 v[54:57], v[10:11], off offset:6144
	s_wait_xcnt 0x0
	s_and_saveexec_b32 s1, vcc_lo
	s_cbranch_execnz .LBB26_96
.LBB26_66:                              ;   in Loop: Header=BB26_49 Depth=1
	s_or_b32 exec_lo, exec_lo, s1
	global_load_b128 v[58:61], v[10:11], off offset:6656
	s_wait_xcnt 0x0
	s_and_saveexec_b32 s1, vcc_lo
	s_cbranch_execnz .LBB26_97
.LBB26_67:                              ;   in Loop: Header=BB26_49 Depth=1
	s_or_b32 exec_lo, exec_lo, s1
	global_load_b128 v[62:65], v[10:11], off offset:7168
	s_wait_xcnt 0x0
	s_and_saveexec_b32 s1, vcc_lo
	s_cbranch_execnz .LBB26_98
.LBB26_68:                              ;   in Loop: Header=BB26_49 Depth=1
	s_or_b32 exec_lo, exec_lo, s1
	global_load_b128 v[66:69], v[10:11], off offset:7680
	s_wait_xcnt 0x0
	s_and_saveexec_b32 s1, vcc_lo
	s_cbranch_execnz .LBB26_99
.LBB26_69:                              ;   in Loop: Header=BB26_49 Depth=1
	s_or_b32 exec_lo, exec_lo, s1
	global_load_b128 v[70:73], v[10:11], off offset:8192
	s_wait_xcnt 0x0
	s_and_saveexec_b32 s1, vcc_lo
	s_cbranch_execnz .LBB26_100
.LBB26_70:                              ;   in Loop: Header=BB26_49 Depth=1
	s_or_b32 exec_lo, exec_lo, s1
	global_load_b128 v[74:77], v[10:11], off offset:8704
	s_wait_xcnt 0x0
	s_and_saveexec_b32 s19, vcc_lo
	s_cbranch_execnz .LBB26_101
.LBB26_71:                              ;   in Loop: Header=BB26_49 Depth=1
	s_or_b32 exec_lo, exec_lo, s19
	global_load_b128 v[78:81], v[10:11], off offset:9216
	s_wait_xcnt 0x0
	s_and_saveexec_b32 s19, vcc_lo
	s_cbranch_execnz .LBB26_102
.LBB26_72:                              ;   in Loop: Header=BB26_49 Depth=1
	s_or_b32 exec_lo, exec_lo, s19
	global_load_b128 v[82:85], v[10:11], off offset:9728
	s_wait_xcnt 0x0
	s_and_saveexec_b32 s19, vcc_lo
	s_cbranch_execnz .LBB26_103
.LBB26_73:                              ;   in Loop: Header=BB26_49 Depth=1
	s_or_b32 exec_lo, exec_lo, s19
	global_load_b128 v[86:89], v[10:11], off offset:10240
	s_wait_xcnt 0x0
	s_and_saveexec_b32 s19, vcc_lo
	s_cbranch_execnz .LBB26_104
.LBB26_74:                              ;   in Loop: Header=BB26_49 Depth=1
	s_or_b32 exec_lo, exec_lo, s19
	global_load_b128 v[90:93], v[10:11], off offset:10752
	s_wait_xcnt 0x0
	s_and_saveexec_b32 s19, vcc_lo
	s_cbranch_execnz .LBB26_105
.LBB26_75:                              ;   in Loop: Header=BB26_49 Depth=1
	s_or_b32 exec_lo, exec_lo, s19
	global_load_b128 v[94:97], v[10:11], off offset:11264
	s_wait_xcnt 0x0
	s_and_saveexec_b32 s19, vcc_lo
	s_cbranch_execnz .LBB26_106
.LBB26_76:                              ;   in Loop: Header=BB26_49 Depth=1
	s_or_b32 exec_lo, exec_lo, s19
	global_load_b128 v[98:101], v[10:11], off offset:11776
	s_wait_xcnt 0x0
	s_and_saveexec_b32 s19, vcc_lo
	s_cbranch_execnz .LBB26_107
.LBB26_77:                              ;   in Loop: Header=BB26_49 Depth=1
	s_or_b32 exec_lo, exec_lo, s19
	global_load_b128 v[102:105], v[10:11], off offset:12288
	s_wait_xcnt 0x0
	s_and_saveexec_b32 s19, vcc_lo
	s_cbranch_execnz .LBB26_108
.LBB26_78:                              ;   in Loop: Header=BB26_49 Depth=1
	s_or_b32 exec_lo, exec_lo, s19
	global_load_b128 v[110:113], v[10:11], off offset:12800
	s_wait_xcnt 0x0
	s_and_saveexec_b32 s19, vcc_lo
	s_cbranch_execnz .LBB26_109
.LBB26_79:                              ;   in Loop: Header=BB26_49 Depth=1
	s_or_b32 exec_lo, exec_lo, s19
	global_load_b128 v[114:117], v[10:11], off offset:13312
	s_wait_xcnt 0x0
	s_and_saveexec_b32 s19, vcc_lo
	s_cbranch_execnz .LBB26_110
.LBB26_80:                              ;   in Loop: Header=BB26_49 Depth=1
	s_or_b32 exec_lo, exec_lo, s19
	global_load_b128 v[118:121], v[10:11], off offset:13824
	s_wait_xcnt 0x0
	s_and_saveexec_b32 s19, vcc_lo
	s_cbranch_execnz .LBB26_111
.LBB26_81:                              ;   in Loop: Header=BB26_49 Depth=1
	s_or_b32 exec_lo, exec_lo, s19
	global_load_b128 v[122:125], v[10:11], off offset:14336
	s_wait_xcnt 0x0
	s_and_saveexec_b32 s19, vcc_lo
	s_cbranch_execnz .LBB26_112
.LBB26_82:                              ;   in Loop: Header=BB26_49 Depth=1
	s_or_b32 exec_lo, exec_lo, s19
	global_load_b128 v[2:5], v[10:11], off offset:14848
	s_wait_xcnt 0x0
	s_and_saveexec_b32 s19, vcc_lo
	s_cbranch_execnz .LBB26_113
.LBB26_83:                              ;   in Loop: Header=BB26_49 Depth=1
	s_or_b32 exec_lo, exec_lo, s19
	global_load_b128 v[10:13], v[10:11], off offset:15360
	s_wait_xcnt 0x0
	s_and_saveexec_b32 s19, vcc_lo
	s_cbranch_execz .LBB26_85
.LBB26_84:                              ;   in Loop: Header=BB26_49 Depth=1
	v_cmp_gt_i32_e64 s0, s31, v17
	v_cmp_gt_i32_e64 s1, s14, v19
	s_wait_loadcnt 0x0
	s_delay_alu instid0(VALU_DEP_1) | instskip(SKIP_2) | instid1(VALU_DEP_1)
	v_dual_cndmask_b32 v10, 0, v10, s0 :: v_dual_cndmask_b32 v11, 0, v11, s1
	v_cmp_gt_i32_e64 s0, s31, v18
	v_cmp_gt_i32_e64 s1, s14, v16
	v_dual_cndmask_b32 v12, 0, v12, s0 :: v_dual_cndmask_b32 v13, 0, v13, s1
.LBB26_85:                              ;   in Loop: Header=BB26_49 Depth=1
	s_or_b32 exec_lo, exec_lo, s19
	scratch_load_b64 v[20:21], off, off offset:168 th:TH_LOAD_LU ; 8-byte Folded Reload
	s_wait_loadcnt 0x0
	v_dual_mov_b32 v21, v127 :: v_dual_mov_b32 v108, v20
	s_delay_alu instid0(VALU_DEP_1)
	v_add_nc_u64_e32 v[20:21], v[106:107], v[20:21]
	scratch_store_b64 off, v[108:109], off offset:168 ; 8-byte Folded Spill
	global_load_b128 v[106:109], v[20:21], off
	s_wait_xcnt 0x0
	s_and_saveexec_b32 s1, vcc_lo
	s_cbranch_execz .LBB26_47
; %bb.86:                               ;   in Loop: Header=BB26_49 Depth=1
	v_cmp_gt_i32_e32 vcc_lo, s31, v17
	v_cmp_gt_i32_e64 s0, s14, v19
	s_wait_loadcnt 0x0
	s_delay_alu instid0(VALU_DEP_1) | instskip(SKIP_2) | instid1(VALU_DEP_1)
	v_dual_cndmask_b32 v106, 0, v106, vcc_lo :: v_dual_cndmask_b32 v107, 0, v107, s0
	v_cmp_gt_i32_e32 vcc_lo, s31, v18
	v_cmp_gt_i32_e64 s0, s14, v16
	v_dual_cndmask_b32 v108, 0, v108, vcc_lo :: v_dual_cndmask_b32 v109, 0, v109, s0
	s_branch .LBB26_47
.LBB26_87:                              ;   in Loop: Header=BB26_49 Depth=1
	scratch_load_b128 v[2:5], off, off offset:48 th:TH_LOAD_LU ; 16-byte Folded Reload
	v_cmp_gt_i32_e64 s0, s14, v19
	s_wait_loadcnt 0x0
	s_delay_alu instid0(VALU_DEP_1) | instskip(SKIP_1) | instid1(VALU_DEP_1)
	v_cndmask_b32_e64 v3, 0, v3, s0
	v_cmp_gt_i32_e64 s0, s31, v17
	v_cndmask_b32_e64 v2, 0, v2, s0
	v_cmp_gt_i32_e64 s0, s14, v16
	s_delay_alu instid0(VALU_DEP_1) | instskip(SKIP_1) | instid1(VALU_DEP_1)
	v_cndmask_b32_e64 v5, 0, v5, s0
	v_cmp_gt_i32_e64 s0, s31, v18
	v_cndmask_b32_e64 v4, 0, v4, s0
	scratch_store_b128 off, v[2:5], off offset:48 ; 16-byte Folded Spill
	s_wait_xcnt 0x0
	s_or_b32 exec_lo, exec_lo, s1
	global_load_b128 v[22:25], v[10:11], off offset:2048
	s_wait_xcnt 0x0
	s_and_saveexec_b32 s1, vcc_lo
	s_cbranch_execz .LBB26_58
.LBB26_88:                              ;   in Loop: Header=BB26_49 Depth=1
	v_cmp_gt_i32_e64 s0, s14, v19
	s_wait_loadcnt 0x0
	s_delay_alu instid0(VALU_DEP_1) | instskip(SKIP_1) | instid1(VALU_DEP_1)
	v_cndmask_b32_e64 v23, 0, v23, s0
	v_cmp_gt_i32_e64 s0, s31, v17
	v_cndmask_b32_e64 v22, 0, v22, s0
	v_cmp_gt_i32_e64 s0, s14, v16
	s_delay_alu instid0(VALU_DEP_1) | instskip(SKIP_1) | instid1(VALU_DEP_1)
	v_cndmask_b32_e64 v25, 0, v25, s0
	v_cmp_gt_i32_e64 s0, s31, v18
	v_cndmask_b32_e64 v24, 0, v24, s0
	s_or_b32 exec_lo, exec_lo, s1
	global_load_b128 v[26:29], v[10:11], off offset:2560
	s_wait_xcnt 0x0
	s_and_saveexec_b32 s1, vcc_lo
	s_cbranch_execz .LBB26_59
.LBB26_89:                              ;   in Loop: Header=BB26_49 Depth=1
	v_cmp_gt_i32_e64 s0, s14, v19
	s_wait_loadcnt 0x0
	s_delay_alu instid0(VALU_DEP_1) | instskip(SKIP_1) | instid1(VALU_DEP_1)
	v_cndmask_b32_e64 v27, 0, v27, s0
	v_cmp_gt_i32_e64 s0, s31, v17
	v_cndmask_b32_e64 v26, 0, v26, s0
	v_cmp_gt_i32_e64 s0, s14, v16
	s_delay_alu instid0(VALU_DEP_1) | instskip(SKIP_1) | instid1(VALU_DEP_1)
	v_cndmask_b32_e64 v29, 0, v29, s0
	v_cmp_gt_i32_e64 s0, s31, v18
	v_cndmask_b32_e64 v28, 0, v28, s0
	s_or_b32 exec_lo, exec_lo, s1
	global_load_b128 v[30:33], v[10:11], off offset:3072
	s_wait_xcnt 0x0
	s_and_saveexec_b32 s1, vcc_lo
	s_cbranch_execz .LBB26_60
.LBB26_90:                              ;   in Loop: Header=BB26_49 Depth=1
	v_cmp_gt_i32_e64 s0, s14, v19
	s_wait_loadcnt 0x0
	s_delay_alu instid0(VALU_DEP_1) | instskip(SKIP_1) | instid1(VALU_DEP_1)
	v_cndmask_b32_e64 v31, 0, v31, s0
	v_cmp_gt_i32_e64 s0, s31, v17
	v_cndmask_b32_e64 v30, 0, v30, s0
	v_cmp_gt_i32_e64 s0, s14, v16
	s_delay_alu instid0(VALU_DEP_1) | instskip(SKIP_1) | instid1(VALU_DEP_1)
	v_cndmask_b32_e64 v33, 0, v33, s0
	v_cmp_gt_i32_e64 s0, s31, v18
	v_cndmask_b32_e64 v32, 0, v32, s0
	s_or_b32 exec_lo, exec_lo, s1
	global_load_b128 v[34:37], v[10:11], off offset:3584
	s_wait_xcnt 0x0
	s_and_saveexec_b32 s1, vcc_lo
	s_cbranch_execz .LBB26_61
.LBB26_91:                              ;   in Loop: Header=BB26_49 Depth=1
	v_cmp_gt_i32_e64 s0, s14, v19
	s_wait_loadcnt 0x0
	s_delay_alu instid0(VALU_DEP_1) | instskip(SKIP_1) | instid1(VALU_DEP_1)
	v_cndmask_b32_e64 v35, 0, v35, s0
	v_cmp_gt_i32_e64 s0, s31, v17
	v_cndmask_b32_e64 v34, 0, v34, s0
	v_cmp_gt_i32_e64 s0, s14, v16
	s_delay_alu instid0(VALU_DEP_1) | instskip(SKIP_1) | instid1(VALU_DEP_1)
	v_cndmask_b32_e64 v37, 0, v37, s0
	v_cmp_gt_i32_e64 s0, s31, v18
	v_cndmask_b32_e64 v36, 0, v36, s0
	s_or_b32 exec_lo, exec_lo, s1
	global_load_b128 v[38:41], v[10:11], off offset:4096
	s_wait_xcnt 0x0
	s_and_saveexec_b32 s1, vcc_lo
	s_cbranch_execz .LBB26_62
.LBB26_92:                              ;   in Loop: Header=BB26_49 Depth=1
	v_cmp_gt_i32_e64 s0, s14, v19
	s_wait_loadcnt 0x0
	s_delay_alu instid0(VALU_DEP_1) | instskip(SKIP_1) | instid1(VALU_DEP_1)
	v_cndmask_b32_e64 v39, 0, v39, s0
	v_cmp_gt_i32_e64 s0, s31, v17
	v_cndmask_b32_e64 v38, 0, v38, s0
	v_cmp_gt_i32_e64 s0, s14, v16
	s_delay_alu instid0(VALU_DEP_1) | instskip(SKIP_1) | instid1(VALU_DEP_1)
	v_cndmask_b32_e64 v41, 0, v41, s0
	v_cmp_gt_i32_e64 s0, s31, v18
	v_cndmask_b32_e64 v40, 0, v40, s0
	s_or_b32 exec_lo, exec_lo, s1
	global_load_b128 v[42:45], v[10:11], off offset:4608
	s_wait_xcnt 0x0
	s_and_saveexec_b32 s1, vcc_lo
	s_cbranch_execz .LBB26_63
.LBB26_93:                              ;   in Loop: Header=BB26_49 Depth=1
	v_cmp_gt_i32_e64 s0, s14, v19
	s_wait_loadcnt 0x0
	s_delay_alu instid0(VALU_DEP_1) | instskip(SKIP_1) | instid1(VALU_DEP_1)
	v_cndmask_b32_e64 v43, 0, v43, s0
	v_cmp_gt_i32_e64 s0, s31, v17
	v_cndmask_b32_e64 v42, 0, v42, s0
	v_cmp_gt_i32_e64 s0, s14, v16
	s_delay_alu instid0(VALU_DEP_1) | instskip(SKIP_1) | instid1(VALU_DEP_1)
	v_cndmask_b32_e64 v45, 0, v45, s0
	v_cmp_gt_i32_e64 s0, s31, v18
	v_cndmask_b32_e64 v44, 0, v44, s0
	s_or_b32 exec_lo, exec_lo, s1
	global_load_b128 v[46:49], v[10:11], off offset:5120
	s_wait_xcnt 0x0
	s_and_saveexec_b32 s1, vcc_lo
	s_cbranch_execz .LBB26_64
.LBB26_94:                              ;   in Loop: Header=BB26_49 Depth=1
	v_cmp_gt_i32_e64 s0, s14, v19
	s_wait_loadcnt 0x0
	s_delay_alu instid0(VALU_DEP_1) | instskip(SKIP_1) | instid1(VALU_DEP_1)
	v_cndmask_b32_e64 v47, 0, v47, s0
	v_cmp_gt_i32_e64 s0, s31, v17
	v_cndmask_b32_e64 v46, 0, v46, s0
	v_cmp_gt_i32_e64 s0, s14, v16
	s_delay_alu instid0(VALU_DEP_1) | instskip(SKIP_1) | instid1(VALU_DEP_1)
	v_cndmask_b32_e64 v49, 0, v49, s0
	v_cmp_gt_i32_e64 s0, s31, v18
	v_cndmask_b32_e64 v48, 0, v48, s0
	s_or_b32 exec_lo, exec_lo, s1
	global_load_b128 v[50:53], v[10:11], off offset:5632
	s_wait_xcnt 0x0
	s_and_saveexec_b32 s1, vcc_lo
	s_cbranch_execz .LBB26_65
.LBB26_95:                              ;   in Loop: Header=BB26_49 Depth=1
	v_cmp_gt_i32_e64 s0, s14, v19
	s_wait_loadcnt 0x0
	s_delay_alu instid0(VALU_DEP_1) | instskip(SKIP_1) | instid1(VALU_DEP_1)
	v_cndmask_b32_e64 v51, 0, v51, s0
	v_cmp_gt_i32_e64 s0, s31, v17
	v_cndmask_b32_e64 v50, 0, v50, s0
	v_cmp_gt_i32_e64 s0, s14, v16
	s_delay_alu instid0(VALU_DEP_1) | instskip(SKIP_1) | instid1(VALU_DEP_1)
	v_cndmask_b32_e64 v53, 0, v53, s0
	v_cmp_gt_i32_e64 s0, s31, v18
	v_cndmask_b32_e64 v52, 0, v52, s0
	s_or_b32 exec_lo, exec_lo, s1
	global_load_b128 v[54:57], v[10:11], off offset:6144
	s_wait_xcnt 0x0
	s_and_saveexec_b32 s1, vcc_lo
	s_cbranch_execz .LBB26_66
.LBB26_96:                              ;   in Loop: Header=BB26_49 Depth=1
	v_cmp_gt_i32_e64 s0, s14, v19
	s_wait_loadcnt 0x0
	s_delay_alu instid0(VALU_DEP_1) | instskip(SKIP_1) | instid1(VALU_DEP_1)
	v_cndmask_b32_e64 v55, 0, v55, s0
	v_cmp_gt_i32_e64 s0, s31, v17
	v_cndmask_b32_e64 v54, 0, v54, s0
	v_cmp_gt_i32_e64 s0, s14, v16
	s_delay_alu instid0(VALU_DEP_1) | instskip(SKIP_1) | instid1(VALU_DEP_1)
	v_cndmask_b32_e64 v57, 0, v57, s0
	v_cmp_gt_i32_e64 s0, s31, v18
	v_cndmask_b32_e64 v56, 0, v56, s0
	s_or_b32 exec_lo, exec_lo, s1
	global_load_b128 v[58:61], v[10:11], off offset:6656
	s_wait_xcnt 0x0
	s_and_saveexec_b32 s1, vcc_lo
	s_cbranch_execz .LBB26_67
.LBB26_97:                              ;   in Loop: Header=BB26_49 Depth=1
	v_cmp_gt_i32_e64 s0, s14, v19
	s_wait_loadcnt 0x0
	s_delay_alu instid0(VALU_DEP_1) | instskip(SKIP_1) | instid1(VALU_DEP_1)
	v_cndmask_b32_e64 v59, 0, v59, s0
	v_cmp_gt_i32_e64 s0, s31, v17
	v_cndmask_b32_e64 v58, 0, v58, s0
	v_cmp_gt_i32_e64 s0, s14, v16
	s_delay_alu instid0(VALU_DEP_1) | instskip(SKIP_1) | instid1(VALU_DEP_1)
	v_cndmask_b32_e64 v61, 0, v61, s0
	v_cmp_gt_i32_e64 s0, s31, v18
	v_cndmask_b32_e64 v60, 0, v60, s0
	s_or_b32 exec_lo, exec_lo, s1
	global_load_b128 v[62:65], v[10:11], off offset:7168
	s_wait_xcnt 0x0
	s_and_saveexec_b32 s1, vcc_lo
	s_cbranch_execz .LBB26_68
.LBB26_98:                              ;   in Loop: Header=BB26_49 Depth=1
	v_cmp_gt_i32_e64 s0, s14, v19
	s_wait_loadcnt 0x0
	s_delay_alu instid0(VALU_DEP_1) | instskip(SKIP_1) | instid1(VALU_DEP_1)
	v_cndmask_b32_e64 v63, 0, v63, s0
	v_cmp_gt_i32_e64 s0, s31, v17
	v_cndmask_b32_e64 v62, 0, v62, s0
	v_cmp_gt_i32_e64 s0, s14, v16
	s_delay_alu instid0(VALU_DEP_1) | instskip(SKIP_1) | instid1(VALU_DEP_1)
	v_cndmask_b32_e64 v65, 0, v65, s0
	v_cmp_gt_i32_e64 s0, s31, v18
	v_cndmask_b32_e64 v64, 0, v64, s0
	s_or_b32 exec_lo, exec_lo, s1
	global_load_b128 v[66:69], v[10:11], off offset:7680
	s_wait_xcnt 0x0
	s_and_saveexec_b32 s1, vcc_lo
	s_cbranch_execz .LBB26_69
.LBB26_99:                              ;   in Loop: Header=BB26_49 Depth=1
	v_cmp_gt_i32_e64 s0, s14, v19
	s_wait_loadcnt 0x0
	s_delay_alu instid0(VALU_DEP_1) | instskip(SKIP_1) | instid1(VALU_DEP_1)
	v_cndmask_b32_e64 v67, 0, v67, s0
	v_cmp_gt_i32_e64 s0, s31, v17
	v_cndmask_b32_e64 v66, 0, v66, s0
	v_cmp_gt_i32_e64 s0, s14, v16
	s_delay_alu instid0(VALU_DEP_1) | instskip(SKIP_1) | instid1(VALU_DEP_1)
	v_cndmask_b32_e64 v69, 0, v69, s0
	v_cmp_gt_i32_e64 s0, s31, v18
	v_cndmask_b32_e64 v68, 0, v68, s0
	s_or_b32 exec_lo, exec_lo, s1
	global_load_b128 v[70:73], v[10:11], off offset:8192
	s_wait_xcnt 0x0
	s_and_saveexec_b32 s1, vcc_lo
	s_cbranch_execz .LBB26_70
.LBB26_100:                             ;   in Loop: Header=BB26_49 Depth=1
	v_cmp_gt_i32_e64 s0, s14, v19
	s_wait_loadcnt 0x0
	s_delay_alu instid0(VALU_DEP_1) | instskip(SKIP_1) | instid1(VALU_DEP_1)
	v_cndmask_b32_e64 v71, 0, v71, s0
	v_cmp_gt_i32_e64 s0, s31, v17
	v_cndmask_b32_e64 v70, 0, v70, s0
	v_cmp_gt_i32_e64 s0, s14, v16
	s_delay_alu instid0(VALU_DEP_1) | instskip(SKIP_1) | instid1(VALU_DEP_1)
	v_cndmask_b32_e64 v73, 0, v73, s0
	v_cmp_gt_i32_e64 s0, s31, v18
	v_cndmask_b32_e64 v72, 0, v72, s0
	s_or_b32 exec_lo, exec_lo, s1
	global_load_b128 v[74:77], v[10:11], off offset:8704
	s_wait_xcnt 0x0
	s_and_saveexec_b32 s19, vcc_lo
	s_cbranch_execz .LBB26_71
.LBB26_101:                             ;   in Loop: Header=BB26_49 Depth=1
	v_cmp_gt_i32_e64 s0, s31, v17
	v_cmp_gt_i32_e64 s1, s14, v19
	s_wait_loadcnt 0x0
	s_delay_alu instid0(VALU_DEP_1) | instskip(SKIP_2) | instid1(VALU_DEP_1)
	v_dual_cndmask_b32 v74, 0, v74, s0 :: v_dual_cndmask_b32 v75, 0, v75, s1
	v_cmp_gt_i32_e64 s0, s31, v18
	v_cmp_gt_i32_e64 s1, s14, v16
	v_dual_cndmask_b32 v76, 0, v76, s0 :: v_dual_cndmask_b32 v77, 0, v77, s1
	s_or_b32 exec_lo, exec_lo, s19
	global_load_b128 v[78:81], v[10:11], off offset:9216
	s_wait_xcnt 0x0
	s_and_saveexec_b32 s19, vcc_lo
	s_cbranch_execz .LBB26_72
.LBB26_102:                             ;   in Loop: Header=BB26_49 Depth=1
	v_cmp_gt_i32_e64 s0, s31, v17
	v_cmp_gt_i32_e64 s1, s14, v19
	s_wait_loadcnt 0x0
	s_delay_alu instid0(VALU_DEP_1) | instskip(SKIP_2) | instid1(VALU_DEP_1)
	v_dual_cndmask_b32 v78, 0, v78, s0 :: v_dual_cndmask_b32 v79, 0, v79, s1
	v_cmp_gt_i32_e64 s0, s31, v18
	v_cmp_gt_i32_e64 s1, s14, v16
	v_dual_cndmask_b32 v80, 0, v80, s0 :: v_dual_cndmask_b32 v81, 0, v81, s1
	s_or_b32 exec_lo, exec_lo, s19
	global_load_b128 v[82:85], v[10:11], off offset:9728
	s_wait_xcnt 0x0
	s_and_saveexec_b32 s19, vcc_lo
	s_cbranch_execz .LBB26_73
.LBB26_103:                             ;   in Loop: Header=BB26_49 Depth=1
	v_cmp_gt_i32_e64 s0, s31, v17
	v_cmp_gt_i32_e64 s1, s14, v19
	s_wait_loadcnt 0x0
	s_delay_alu instid0(VALU_DEP_1) | instskip(SKIP_2) | instid1(VALU_DEP_1)
	v_dual_cndmask_b32 v82, 0, v82, s0 :: v_dual_cndmask_b32 v83, 0, v83, s1
	v_cmp_gt_i32_e64 s0, s31, v18
	v_cmp_gt_i32_e64 s1, s14, v16
	v_dual_cndmask_b32 v84, 0, v84, s0 :: v_dual_cndmask_b32 v85, 0, v85, s1
	s_or_b32 exec_lo, exec_lo, s19
	global_load_b128 v[86:89], v[10:11], off offset:10240
	s_wait_xcnt 0x0
	s_and_saveexec_b32 s19, vcc_lo
	s_cbranch_execz .LBB26_74
.LBB26_104:                             ;   in Loop: Header=BB26_49 Depth=1
	v_cmp_gt_i32_e64 s0, s31, v17
	v_cmp_gt_i32_e64 s1, s14, v19
	s_wait_loadcnt 0x0
	s_delay_alu instid0(VALU_DEP_1) | instskip(SKIP_2) | instid1(VALU_DEP_1)
	v_dual_cndmask_b32 v86, 0, v86, s0 :: v_dual_cndmask_b32 v87, 0, v87, s1
	v_cmp_gt_i32_e64 s0, s31, v18
	v_cmp_gt_i32_e64 s1, s14, v16
	v_dual_cndmask_b32 v88, 0, v88, s0 :: v_dual_cndmask_b32 v89, 0, v89, s1
	s_or_b32 exec_lo, exec_lo, s19
	global_load_b128 v[90:93], v[10:11], off offset:10752
	s_wait_xcnt 0x0
	s_and_saveexec_b32 s19, vcc_lo
	s_cbranch_execz .LBB26_75
.LBB26_105:                             ;   in Loop: Header=BB26_49 Depth=1
	v_cmp_gt_i32_e64 s0, s31, v17
	v_cmp_gt_i32_e64 s1, s14, v19
	s_wait_loadcnt 0x0
	s_delay_alu instid0(VALU_DEP_1) | instskip(SKIP_2) | instid1(VALU_DEP_1)
	v_dual_cndmask_b32 v90, 0, v90, s0 :: v_dual_cndmask_b32 v91, 0, v91, s1
	v_cmp_gt_i32_e64 s0, s31, v18
	v_cmp_gt_i32_e64 s1, s14, v16
	v_dual_cndmask_b32 v92, 0, v92, s0 :: v_dual_cndmask_b32 v93, 0, v93, s1
	s_or_b32 exec_lo, exec_lo, s19
	global_load_b128 v[94:97], v[10:11], off offset:11264
	s_wait_xcnt 0x0
	s_and_saveexec_b32 s19, vcc_lo
	s_cbranch_execz .LBB26_76
.LBB26_106:                             ;   in Loop: Header=BB26_49 Depth=1
	v_cmp_gt_i32_e64 s0, s31, v17
	v_cmp_gt_i32_e64 s1, s14, v19
	s_wait_loadcnt 0x0
	s_delay_alu instid0(VALU_DEP_1) | instskip(SKIP_2) | instid1(VALU_DEP_1)
	v_dual_cndmask_b32 v94, 0, v94, s0 :: v_dual_cndmask_b32 v95, 0, v95, s1
	v_cmp_gt_i32_e64 s0, s31, v18
	v_cmp_gt_i32_e64 s1, s14, v16
	v_dual_cndmask_b32 v96, 0, v96, s0 :: v_dual_cndmask_b32 v97, 0, v97, s1
	s_or_b32 exec_lo, exec_lo, s19
	global_load_b128 v[98:101], v[10:11], off offset:11776
	s_wait_xcnt 0x0
	s_and_saveexec_b32 s19, vcc_lo
	s_cbranch_execz .LBB26_77
.LBB26_107:                             ;   in Loop: Header=BB26_49 Depth=1
	v_cmp_gt_i32_e64 s0, s31, v17
	v_cmp_gt_i32_e64 s1, s14, v19
	s_wait_loadcnt 0x0
	s_delay_alu instid0(VALU_DEP_1) | instskip(SKIP_2) | instid1(VALU_DEP_1)
	v_dual_cndmask_b32 v98, 0, v98, s0 :: v_dual_cndmask_b32 v99, 0, v99, s1
	v_cmp_gt_i32_e64 s0, s31, v18
	v_cmp_gt_i32_e64 s1, s14, v16
	v_dual_cndmask_b32 v100, 0, v100, s0 :: v_dual_cndmask_b32 v101, 0, v101, s1
	s_or_b32 exec_lo, exec_lo, s19
	global_load_b128 v[102:105], v[10:11], off offset:12288
	s_wait_xcnt 0x0
	s_and_saveexec_b32 s19, vcc_lo
	s_cbranch_execz .LBB26_78
.LBB26_108:                             ;   in Loop: Header=BB26_49 Depth=1
	v_cmp_gt_i32_e64 s0, s31, v17
	v_cmp_gt_i32_e64 s1, s14, v19
	s_wait_loadcnt 0x0
	s_delay_alu instid0(VALU_DEP_1) | instskip(SKIP_2) | instid1(VALU_DEP_1)
	v_dual_cndmask_b32 v102, 0, v102, s0 :: v_dual_cndmask_b32 v103, 0, v103, s1
	v_cmp_gt_i32_e64 s0, s31, v18
	v_cmp_gt_i32_e64 s1, s14, v16
	v_dual_cndmask_b32 v104, 0, v104, s0 :: v_dual_cndmask_b32 v105, 0, v105, s1
	s_or_b32 exec_lo, exec_lo, s19
	global_load_b128 v[110:113], v[10:11], off offset:12800
	s_wait_xcnt 0x0
	s_and_saveexec_b32 s19, vcc_lo
	s_cbranch_execz .LBB26_79
.LBB26_109:                             ;   in Loop: Header=BB26_49 Depth=1
	v_cmp_gt_i32_e64 s0, s31, v17
	v_cmp_gt_i32_e64 s1, s14, v19
	s_wait_loadcnt 0x0
	s_delay_alu instid0(VALU_DEP_1) | instskip(SKIP_2) | instid1(VALU_DEP_1)
	v_dual_cndmask_b32 v110, 0, v110, s0 :: v_dual_cndmask_b32 v111, 0, v111, s1
	v_cmp_gt_i32_e64 s0, s31, v18
	v_cmp_gt_i32_e64 s1, s14, v16
	v_dual_cndmask_b32 v112, 0, v112, s0 :: v_dual_cndmask_b32 v113, 0, v113, s1
	s_or_b32 exec_lo, exec_lo, s19
	global_load_b128 v[114:117], v[10:11], off offset:13312
	s_wait_xcnt 0x0
	s_and_saveexec_b32 s19, vcc_lo
	s_cbranch_execz .LBB26_80
.LBB26_110:                             ;   in Loop: Header=BB26_49 Depth=1
	v_cmp_gt_i32_e64 s0, s31, v17
	v_cmp_gt_i32_e64 s1, s14, v19
	s_wait_loadcnt 0x0
	s_delay_alu instid0(VALU_DEP_1) | instskip(SKIP_2) | instid1(VALU_DEP_1)
	v_dual_cndmask_b32 v114, 0, v114, s0 :: v_dual_cndmask_b32 v115, 0, v115, s1
	v_cmp_gt_i32_e64 s0, s31, v18
	v_cmp_gt_i32_e64 s1, s14, v16
	v_dual_cndmask_b32 v116, 0, v116, s0 :: v_dual_cndmask_b32 v117, 0, v117, s1
	s_or_b32 exec_lo, exec_lo, s19
	global_load_b128 v[118:121], v[10:11], off offset:13824
	s_wait_xcnt 0x0
	s_and_saveexec_b32 s19, vcc_lo
	s_cbranch_execz .LBB26_81
.LBB26_111:                             ;   in Loop: Header=BB26_49 Depth=1
	v_cmp_gt_i32_e64 s0, s31, v17
	v_cmp_gt_i32_e64 s1, s14, v19
	s_wait_loadcnt 0x0
	s_delay_alu instid0(VALU_DEP_1) | instskip(SKIP_2) | instid1(VALU_DEP_1)
	v_dual_cndmask_b32 v118, 0, v118, s0 :: v_dual_cndmask_b32 v119, 0, v119, s1
	v_cmp_gt_i32_e64 s0, s31, v18
	v_cmp_gt_i32_e64 s1, s14, v16
	v_dual_cndmask_b32 v120, 0, v120, s0 :: v_dual_cndmask_b32 v121, 0, v121, s1
	s_or_b32 exec_lo, exec_lo, s19
	global_load_b128 v[122:125], v[10:11], off offset:14336
	s_wait_xcnt 0x0
	s_and_saveexec_b32 s19, vcc_lo
	s_cbranch_execz .LBB26_82
.LBB26_112:                             ;   in Loop: Header=BB26_49 Depth=1
	v_cmp_gt_i32_e64 s0, s31, v17
	v_cmp_gt_i32_e64 s1, s14, v19
	s_wait_loadcnt 0x0
	s_delay_alu instid0(VALU_DEP_1) | instskip(SKIP_2) | instid1(VALU_DEP_1)
	v_dual_cndmask_b32 v122, 0, v122, s0 :: v_dual_cndmask_b32 v123, 0, v123, s1
	v_cmp_gt_i32_e64 s0, s31, v18
	v_cmp_gt_i32_e64 s1, s14, v16
	v_dual_cndmask_b32 v124, 0, v124, s0 :: v_dual_cndmask_b32 v125, 0, v125, s1
	s_or_b32 exec_lo, exec_lo, s19
	global_load_b128 v[2:5], v[10:11], off offset:14848
	s_wait_xcnt 0x0
	s_and_saveexec_b32 s19, vcc_lo
	s_cbranch_execz .LBB26_83
.LBB26_113:                             ;   in Loop: Header=BB26_49 Depth=1
	v_cmp_gt_i32_e64 s0, s31, v17
	v_cmp_gt_i32_e64 s1, s14, v19
	s_wait_loadcnt 0x0
	s_delay_alu instid0(VALU_DEP_1) | instskip(SKIP_2) | instid1(VALU_DEP_1)
	v_dual_cndmask_b32 v2, 0, v2, s0 :: v_dual_cndmask_b32 v3, 0, v3, s1
	v_cmp_gt_i32_e64 s0, s31, v18
	v_cmp_gt_i32_e64 s1, s14, v16
	v_dual_cndmask_b32 v4, 0, v4, s0 :: v_dual_cndmask_b32 v5, 0, v5, s1
	s_or_b32 exec_lo, exec_lo, s19
	global_load_b128 v[10:13], v[10:11], off offset:15360
	s_wait_xcnt 0x0
	s_and_saveexec_b32 s19, vcc_lo
	s_cbranch_execnz .LBB26_84
	s_branch .LBB26_85
.LBB26_114:
	s_or_b32 exec_lo, exec_lo, s15
	s_clause 0x9
	scratch_load_b32 v73, off, off offset:212
	scratch_load_b32 v82, off, off offset:216
	;; [unrolled: 1-line block ×6, first 2 shown]
	scratch_load_b64 v[52:53], off, off offset:128
	scratch_load_b64 v[14:15], off, off offset:136
	;; [unrolled: 1-line block ×4, first 2 shown]
.LBB26_115:
	s_wait_xcnt 0x0
	s_or_b32 exec_lo, exec_lo, s24
	s_clause 0x7
	scratch_load_b64 v[20:21], off, off offset:120 th:TH_LOAD_LU
	scratch_load_b64 v[24:25], off, off offset:112 th:TH_LOAD_LU
	;; [unrolled: 1-line block ×8, first 2 shown]
	v_mov_b64_e32 v[26:27], v[18:19]
	s_wait_loadcnt 0xa
	v_mov_b64_e32 v[32:33], v[14:15]
	v_mov_b64_e32 v[28:29], v[16:17]
	s_wait_loadcnt 0x8
	v_mov_b64_e32 v[34:35], v[4:5]
	v_mov_b64_e32 v[22:23], v[6:7]
	ds_bpermute_b32 v0, v50, v38
	ds_bpermute_b32 v1, v50, v39
	v_mov_b64_e32 v[48:49], v[26:27]
	ds_bpermute_b32 v14, v50, v32
	ds_bpermute_b32 v15, v50, v33
	v_mov_b64_e32 v[54:55], v[28:29]
	ds_bpermute_b32 v2, v50, v36
	ds_bpermute_b32 v3, v50, v37
	ds_bpermute_b32 v4, v50, v34
	ds_bpermute_b32 v26, v50, v48
	;; [unrolled: 1-line block ×8, first 2 shown]
	s_mov_b32 s0, exec_lo
	s_wait_storecnt 0x0
	s_wait_loadcnt_dscnt 0x0
	s_barrier_signal -1
	s_barrier_wait -1
	v_pk_add_f32 v[16:17], v[38:39], v[0:1]
	v_pk_add_f32 v[40:41], v[32:33], v[14:15]
	;; [unrolled: 1-line block ×3, first 2 shown]
	ds_bpermute_b32 v44, v74, v40
	v_pk_add_f32 v[48:49], v[48:49], v[26:27]
	v_mov_b64_e32 v[26:27], v[52:53]
	v_pk_add_f32 v[4:5], v[34:35], v[4:5]
	v_pk_add_f32 v[0:1], v[22:23], v[6:7]
	ds_bpermute_b32 v6, v74, v16
	v_pk_add_f32 v[52:53], v[54:55], v[28:29]
	ds_bpermute_b32 v7, v74, v17
	ds_bpermute_b32 v45, v74, v41
	;; [unrolled: 1-line block ×8, first 2 shown]
	s_wait_dscnt 0x7
	v_pk_add_f32 v[28:29], v[16:17], v[6:7]
	ds_bpermute_b32 v8, v50, v20
	ds_bpermute_b32 v10, v50, v24
	;; [unrolled: 1-line block ×12, first 2 shown]
	s_wait_dscnt 0x9
	v_pk_add_f32 v[10:11], v[24:25], v[10:11]
	ds_bpermute_b32 v24, v50, v46
	ds_bpermute_b32 v25, v50, v47
	s_wait_dscnt 0x9
	v_pk_add_f32 v[12:13], v[30:31], v[12:13]
	ds_bpermute_b32 v30, v50, v56
	ds_bpermute_b32 v31, v50, v57
	s_wait_dscnt 0xa
	v_pk_add_f32 v[2:3], v[20:21], v[8:9]
	s_wait_dscnt 0x8
	v_pk_add_f32 v[60:61], v[60:61], v[14:15]
	;; [unrolled: 2-line block ×4, first 2 shown]
	ds_bpermute_b32 v8, v74, v18
	ds_bpermute_b32 v9, v74, v19
	;; [unrolled: 1-line block ×12, first 2 shown]
	s_wait_dscnt 0xe
	v_pk_add_f32 v[46:47], v[46:47], v[24:25]
	ds_bpermute_b32 v24, v50, v26
	ds_bpermute_b32 v25, v50, v27
	s_wait_dscnt 0xe
	v_pk_add_f32 v[56:57], v[56:57], v[30:31]
	ds_bpermute_b32 v68, v74, v64
	ds_bpermute_b32 v50, v74, v46
	;; [unrolled: 1-line block ×8, first 2 shown]
	s_wait_dscnt 0xe
	v_pk_add_f32 v[14:15], v[10:11], v[36:37]
	s_wait_dscnt 0xc
	v_pk_add_f32 v[10:11], v[12:13], v[38:39]
	;; [unrolled: 2-line block ×3, first 2 shown]
	v_pk_add_f32 v[24:25], v[18:19], v[8:9]
	v_pk_add_f32 v[18:19], v[4:5], v[20:21]
	;; [unrolled: 1-line block ×4, first 2 shown]
	ds_bpermute_b32 v32, v74, v30
	ds_bpermute_b32 v33, v74, v31
	v_pk_add_f32 v[8:9], v[40:41], v[44:45]
	s_wait_dscnt 0x7
	v_pk_add_f32 v[6:7], v[46:47], v[50:51]
	v_pk_add_f32 v[4:5], v[48:49], v[54:55]
	;; [unrolled: 1-line block ×3, first 2 shown]
	s_wait_dscnt 0x4
	v_pk_add_f32 v[0:1], v[56:57], v[62:63]
	v_and_b32_e32 v35, 0x3c3, v73
	v_pk_add_f32 v[22:23], v[60:61], v[66:67]
	v_pk_add_f32 v[16:17], v[64:65], v[68:69]
	s_wait_dscnt 0x2
	v_pk_add_f32 v[12:13], v[42:43], v[70:71]
	v_and_b32_e32 v34, 28, v72
	v_cmpx_ne_u32_e32 64, v35
	s_xor_b32 s0, exec_lo, s0
	s_delay_alu instid0(SALU_CYCLE_1)
	s_or_saveexec_b32 s0, s0
	s_wait_dscnt 0x0
	v_pk_add_f32 v[30:31], v[30:31], v[32:33]
	v_lshrrev_b32_e32 v32, 2, v72
	v_add_nc_u32_e32 v33, 0x420, v34
	v_lshlrev_b32_e32 v34, 10, v82
	s_xor_b32 exec_lo, exec_lo, s0
	s_cbranch_execz .LBB26_117
; %bb.116:
	s_delay_alu instid0(VALU_DEP_1) | instskip(NEXT) | instid1(VALU_DEP_1)
	v_add_nc_u32_e32 v35, v33, v34
	v_add_nc_u32_e32 v36, 0xfffff800, v35
	;; [unrolled: 1-line block ×9, first 2 shown]
	ds_store_b32 v36, v28
	ds_store_b32 v37, v29
	ds_store_b32 v38, v24
	ds_store_b32 v39, v25
	ds_store_b32 v40, v18
	ds_store_b32 v41, v19
	ds_store_b32 v42, v26
	ds_store_b32 v43, v27
	v_add_nc_u32_e32 v36, 0xfffff900, v35
	v_add_nc_u32_e32 v37, 0xfffff920, v35
	v_add_nc_u32_e32 v38, 0xfffff940, v35
	v_add_nc_u32_e32 v39, 0xfffff960, v35
	v_add_nc_u32_e32 v40, 0xfffff980, v35
	v_add_nc_u32_e32 v41, 0xfffff9a0, v35
	v_add_nc_u32_e32 v42, 0xfffff9c0, v35
	v_add_nc_u32_e32 v43, 0xfffff9e0, v35
	ds_store_b32 v36, v20
	ds_store_b32 v37, v21
	ds_store_b32 v38, v14
	ds_store_b32 v39, v15
	ds_store_b32 v40, v10
	ds_store_b32 v41, v11
	ds_store_b32 v42, v8
	ds_store_b32 v43, v9
	v_add_nc_u32_e32 v36, 0xfffffa00, v35
	v_add_nc_u32_e32 v37, 0xfffffa20, v35
	v_add_nc_u32_e32 v38, 0xfffffa40, v35
	v_add_nc_u32_e32 v39, 0xfffffa60, v35
	v_add_nc_u32_e32 v40, 0xfffffa80, v35
	v_add_nc_u32_e32 v41, 0xfffffaa0, v35
	v_add_nc_u32_e32 v42, 0xfffffac0, v35
	v_add_nc_u32_e32 v43, 0xfffffae0, v35
	ds_store_b32 v36, v6
	ds_store_b32 v37, v7
	ds_store_b32 v38, v4
	ds_store_b32 v39, v5
	ds_store_b32 v40, v2
	ds_store_b32 v41, v3
	ds_store_b32 v42, v0
	ds_store_b32 v43, v1
	v_add_nc_u32_e32 v36, 0xfffffb00, v35
	v_add_nc_u32_e32 v37, 0xfffffb20, v35
	v_add_nc_u32_e32 v38, 0xfffffb40, v35
	v_add_nc_u32_e32 v39, 0xfffffb60, v35
	v_add_nc_u32_e32 v40, 0xfffffb80, v35
	v_add_nc_u32_e32 v41, 0xfffffba0, v35
	v_add_nc_u32_e32 v42, 0xfffffbc0, v35
	v_add_nc_u32_e32 v35, 0xfffffbe0, v35
	ds_store_b32 v36, v22
	ds_store_b32 v37, v23
	;; [unrolled: 1-line block ×8, first 2 shown]
.LBB26_117:
	s_or_b32 exec_lo, exec_lo, s0
	v_lshlrev_b32_e32 v32, 2, v32
	s_mov_b32 s1, exec_lo
	v_cmp_eq_u32_e32 vcc_lo, 0, v75
	s_wait_dscnt 0x0
	s_barrier_signal -1
	v_add3_u32 v32, 0x420, v34, v32
	s_barrier_wait -1
	v_cmpx_gt_u32_e32 64, v73
	s_cbranch_execz .LBB26_152
; %bb.118:
	s_and_saveexec_b32 s0, vcc_lo
	s_cbranch_execnz .LBB26_192
; %bb.119:
	s_or_b32 exec_lo, exec_lo, s0
	s_and_saveexec_b32 s0, vcc_lo
	s_cbranch_execnz .LBB26_193
.LBB26_120:
	s_or_b32 exec_lo, exec_lo, s0
	s_and_saveexec_b32 s0, vcc_lo
	s_cbranch_execnz .LBB26_194
.LBB26_121:
	s_or_b32 exec_lo, exec_lo, s0
	s_and_saveexec_b32 s0, vcc_lo
	s_cbranch_execnz .LBB26_195
.LBB26_122:
	s_or_b32 exec_lo, exec_lo, s0
	s_and_saveexec_b32 s0, vcc_lo
	s_cbranch_execnz .LBB26_196
.LBB26_123:
	s_or_b32 exec_lo, exec_lo, s0
	s_and_saveexec_b32 s0, vcc_lo
	s_cbranch_execnz .LBB26_197
.LBB26_124:
	s_or_b32 exec_lo, exec_lo, s0
	s_and_saveexec_b32 s0, vcc_lo
	s_cbranch_execnz .LBB26_198
.LBB26_125:
	s_or_b32 exec_lo, exec_lo, s0
	s_and_saveexec_b32 s0, vcc_lo
	s_cbranch_execnz .LBB26_199
.LBB26_126:
	s_or_b32 exec_lo, exec_lo, s0
	s_and_saveexec_b32 s0, vcc_lo
	s_cbranch_execnz .LBB26_200
.LBB26_127:
	s_or_b32 exec_lo, exec_lo, s0
	s_and_saveexec_b32 s0, vcc_lo
	s_cbranch_execnz .LBB26_201
.LBB26_128:
	s_or_b32 exec_lo, exec_lo, s0
	s_and_saveexec_b32 s0, vcc_lo
	s_cbranch_execnz .LBB26_202
.LBB26_129:
	s_or_b32 exec_lo, exec_lo, s0
	s_and_saveexec_b32 s0, vcc_lo
	s_cbranch_execnz .LBB26_203
.LBB26_130:
	s_or_b32 exec_lo, exec_lo, s0
	s_and_saveexec_b32 s0, vcc_lo
	s_cbranch_execnz .LBB26_204
.LBB26_131:
	s_or_b32 exec_lo, exec_lo, s0
	s_and_saveexec_b32 s0, vcc_lo
	s_cbranch_execnz .LBB26_205
.LBB26_132:
	s_or_b32 exec_lo, exec_lo, s0
	s_and_saveexec_b32 s0, vcc_lo
	s_cbranch_execnz .LBB26_206
.LBB26_133:
	s_or_b32 exec_lo, exec_lo, s0
	s_and_saveexec_b32 s0, vcc_lo
	s_cbranch_execnz .LBB26_207
.LBB26_134:
	s_or_b32 exec_lo, exec_lo, s0
	s_and_saveexec_b32 s0, vcc_lo
	s_cbranch_execnz .LBB26_208
.LBB26_135:
	s_or_b32 exec_lo, exec_lo, s0
	s_and_saveexec_b32 s0, vcc_lo
	s_cbranch_execnz .LBB26_209
.LBB26_136:
	s_or_b32 exec_lo, exec_lo, s0
	s_and_saveexec_b32 s0, vcc_lo
	s_cbranch_execnz .LBB26_210
.LBB26_137:
	s_or_b32 exec_lo, exec_lo, s0
	s_and_saveexec_b32 s0, vcc_lo
	s_cbranch_execnz .LBB26_211
.LBB26_138:
	s_or_b32 exec_lo, exec_lo, s0
	s_and_saveexec_b32 s0, vcc_lo
	s_cbranch_execnz .LBB26_212
.LBB26_139:
	s_or_b32 exec_lo, exec_lo, s0
	s_and_saveexec_b32 s0, vcc_lo
	s_cbranch_execnz .LBB26_213
.LBB26_140:
	s_or_b32 exec_lo, exec_lo, s0
	s_and_saveexec_b32 s0, vcc_lo
	s_cbranch_execnz .LBB26_214
.LBB26_141:
	s_or_b32 exec_lo, exec_lo, s0
	s_and_saveexec_b32 s0, vcc_lo
	s_cbranch_execnz .LBB26_215
.LBB26_142:
	s_or_b32 exec_lo, exec_lo, s0
	s_and_saveexec_b32 s0, vcc_lo
	s_cbranch_execnz .LBB26_216
.LBB26_143:
	s_or_b32 exec_lo, exec_lo, s0
	s_and_saveexec_b32 s0, vcc_lo
	s_cbranch_execnz .LBB26_217
.LBB26_144:
	s_or_b32 exec_lo, exec_lo, s0
	s_and_saveexec_b32 s0, vcc_lo
	s_cbranch_execnz .LBB26_218
.LBB26_145:
	s_or_b32 exec_lo, exec_lo, s0
	s_and_saveexec_b32 s0, vcc_lo
	s_cbranch_execnz .LBB26_219
.LBB26_146:
	s_or_b32 exec_lo, exec_lo, s0
	s_and_saveexec_b32 s0, vcc_lo
	s_cbranch_execnz .LBB26_220
.LBB26_147:
	s_or_b32 exec_lo, exec_lo, s0
	s_and_saveexec_b32 s0, vcc_lo
	s_cbranch_execnz .LBB26_221
.LBB26_148:
	s_or_b32 exec_lo, exec_lo, s0
	s_and_saveexec_b32 s0, vcc_lo
	s_cbranch_execnz .LBB26_222
.LBB26_149:
	s_or_b32 exec_lo, exec_lo, s0
	s_and_saveexec_b32 s0, vcc_lo
	s_cbranch_execz .LBB26_151
.LBB26_150:
	ds_load_b32 v34, v32 offset:992
	s_wait_dscnt 0x0
	v_add_f32_e32 v31, v31, v34
.LBB26_151:
	s_or_b32 exec_lo, exec_lo, s0
.LBB26_152:
	s_delay_alu instid0(SALU_CYCLE_1) | instskip(SKIP_4) | instid1(VALU_DEP_1)
	s_or_b32 exec_lo, exec_lo, s1
	v_and_b32_e32 v34, 0x3e3, v73
	s_mov_b32 s1, exec_lo
	s_barrier_signal -1
	s_barrier_wait -1
	v_cmpx_eq_u32_e32 32, v34
	s_cbranch_execz .LBB26_154
; %bb.153:
	ds_store_2addr_b32 v33, v28, v29 offset1:8
	ds_store_2addr_b32 v33, v24, v25 offset0:16 offset1:24
	ds_store_2addr_b32 v33, v18, v19 offset0:32 offset1:40
	;; [unrolled: 1-line block ×15, first 2 shown]
.LBB26_154:
	s_or_b32 exec_lo, exec_lo, s1
	s_delay_alu instid0(SALU_CYCLE_1)
	s_mov_b32 s1, exec_lo
	s_wait_dscnt 0x0
	s_barrier_signal -1
	s_barrier_wait -1
	v_cmpx_gt_u32_e32 32, v73
	s_cbranch_execz .LBB26_189
; %bb.155:
	s_and_saveexec_b32 s0, vcc_lo
	s_cbranch_execnz .LBB26_223
; %bb.156:
	s_or_b32 exec_lo, exec_lo, s0
	s_and_saveexec_b32 s0, vcc_lo
	s_cbranch_execnz .LBB26_224
.LBB26_157:
	s_or_b32 exec_lo, exec_lo, s0
	s_and_saveexec_b32 s0, vcc_lo
	s_cbranch_execnz .LBB26_225
.LBB26_158:
	s_or_b32 exec_lo, exec_lo, s0
	s_and_saveexec_b32 s0, vcc_lo
	s_cbranch_execnz .LBB26_226
.LBB26_159:
	s_or_b32 exec_lo, exec_lo, s0
	s_and_saveexec_b32 s0, vcc_lo
	s_cbranch_execnz .LBB26_227
.LBB26_160:
	s_or_b32 exec_lo, exec_lo, s0
	s_and_saveexec_b32 s0, vcc_lo
	s_cbranch_execnz .LBB26_228
.LBB26_161:
	s_or_b32 exec_lo, exec_lo, s0
	s_and_saveexec_b32 s0, vcc_lo
	s_cbranch_execnz .LBB26_229
.LBB26_162:
	s_or_b32 exec_lo, exec_lo, s0
	s_and_saveexec_b32 s0, vcc_lo
	s_cbranch_execnz .LBB26_230
.LBB26_163:
	s_or_b32 exec_lo, exec_lo, s0
	s_and_saveexec_b32 s0, vcc_lo
	s_cbranch_execnz .LBB26_231
.LBB26_164:
	s_or_b32 exec_lo, exec_lo, s0
	s_and_saveexec_b32 s0, vcc_lo
	s_cbranch_execnz .LBB26_232
.LBB26_165:
	s_or_b32 exec_lo, exec_lo, s0
	s_and_saveexec_b32 s0, vcc_lo
	s_cbranch_execnz .LBB26_233
.LBB26_166:
	s_or_b32 exec_lo, exec_lo, s0
	s_and_saveexec_b32 s0, vcc_lo
	s_cbranch_execnz .LBB26_234
.LBB26_167:
	s_or_b32 exec_lo, exec_lo, s0
	s_and_saveexec_b32 s0, vcc_lo
	s_cbranch_execnz .LBB26_235
.LBB26_168:
	s_or_b32 exec_lo, exec_lo, s0
	s_and_saveexec_b32 s0, vcc_lo
	s_cbranch_execnz .LBB26_236
.LBB26_169:
	s_or_b32 exec_lo, exec_lo, s0
	s_and_saveexec_b32 s0, vcc_lo
	s_cbranch_execnz .LBB26_237
.LBB26_170:
	s_or_b32 exec_lo, exec_lo, s0
	s_and_saveexec_b32 s0, vcc_lo
	s_cbranch_execnz .LBB26_238
.LBB26_171:
	s_or_b32 exec_lo, exec_lo, s0
	s_and_saveexec_b32 s0, vcc_lo
	s_cbranch_execnz .LBB26_239
.LBB26_172:
	s_or_b32 exec_lo, exec_lo, s0
	s_and_saveexec_b32 s0, vcc_lo
	s_cbranch_execnz .LBB26_240
.LBB26_173:
	s_or_b32 exec_lo, exec_lo, s0
	s_and_saveexec_b32 s0, vcc_lo
	s_cbranch_execnz .LBB26_241
.LBB26_174:
	s_or_b32 exec_lo, exec_lo, s0
	s_and_saveexec_b32 s0, vcc_lo
	s_cbranch_execnz .LBB26_242
.LBB26_175:
	s_or_b32 exec_lo, exec_lo, s0
	s_and_saveexec_b32 s0, vcc_lo
	s_cbranch_execnz .LBB26_243
.LBB26_176:
	s_or_b32 exec_lo, exec_lo, s0
	s_and_saveexec_b32 s0, vcc_lo
	s_cbranch_execnz .LBB26_244
.LBB26_177:
	s_or_b32 exec_lo, exec_lo, s0
	s_and_saveexec_b32 s0, vcc_lo
	s_cbranch_execnz .LBB26_245
.LBB26_178:
	s_or_b32 exec_lo, exec_lo, s0
	s_and_saveexec_b32 s0, vcc_lo
	s_cbranch_execnz .LBB26_246
.LBB26_179:
	s_or_b32 exec_lo, exec_lo, s0
	s_and_saveexec_b32 s0, vcc_lo
	s_cbranch_execnz .LBB26_247
.LBB26_180:
	s_or_b32 exec_lo, exec_lo, s0
	s_and_saveexec_b32 s0, vcc_lo
	s_cbranch_execnz .LBB26_248
.LBB26_181:
	s_or_b32 exec_lo, exec_lo, s0
	s_and_saveexec_b32 s0, vcc_lo
	s_cbranch_execnz .LBB26_249
.LBB26_182:
	s_or_b32 exec_lo, exec_lo, s0
	s_and_saveexec_b32 s0, vcc_lo
	s_cbranch_execnz .LBB26_250
.LBB26_183:
	s_or_b32 exec_lo, exec_lo, s0
	s_and_saveexec_b32 s0, vcc_lo
	s_cbranch_execnz .LBB26_251
.LBB26_184:
	s_or_b32 exec_lo, exec_lo, s0
	s_and_saveexec_b32 s0, vcc_lo
	s_cbranch_execnz .LBB26_252
.LBB26_185:
	s_or_b32 exec_lo, exec_lo, s0
	s_and_saveexec_b32 s0, vcc_lo
	s_cbranch_execnz .LBB26_253
.LBB26_186:
	s_or_b32 exec_lo, exec_lo, s0
	s_and_saveexec_b32 s0, vcc_lo
	s_cbranch_execz .LBB26_188
.LBB26_187:
	ds_load_b32 v32, v32 offset:992
	s_wait_dscnt 0x0
	v_add_f32_e32 v31, v31, v32
.LBB26_188:
	s_or_b32 exec_lo, exec_lo, s0
.LBB26_189:
	s_delay_alu instid0(SALU_CYCLE_1)
	s_or_b32 exec_lo, exec_lo, s1
	s_mov_b32 s1, 0
	s_barrier_signal -1
	s_barrier_wait -1
	s_mov_b32 s0, exec_lo
	v_cmpx_eq_u32_e32 0, v34
	s_cbranch_execz .LBB26_191
; %bb.190:
	s_mul_i32 s0, s30, s7
	s_mul_i32 s2, s7, s6
	;; [unrolled: 1-line block ×3, first 2 shown]
	s_lshr_b32 s8, ttmp7, 16
	s_lshl_b32 s6, s0, 8
	s_bfe_u32 s0, ttmp6, 0x40014
	s_ashr_i32 s7, s6, 31
	s_add_co_i32 s0, s0, 1
	s_ashr_i32 s3, s2, 31
	s_mul_i32 s0, s8, s0
	s_bfe_u32 s9, ttmp6, 0x40008
	s_lshl_b64 s[6:7], s[6:7], 2
	s_lshl_b64 s[2:3], s[2:3], 2
	s_add_co_i32 s9, s9, s0
	s_cmp_eq_u32 s28, 0
	s_wait_kmcnt 0x0
	s_add_nc_u64 s[4:5], s[4:5], s[6:7]
	s_cselect_b32 s0, s8, s9
	s_add_nc_u64 s[2:3], s[4:5], s[2:3]
	s_lshl_b32 s0, s0, 10
	s_delay_alu instid0(SALU_CYCLE_1)
	s_add_nc_u64 s[0:1], s[2:3], s[0:1]
	s_clause 0x1f
	global_store_b32 v73, v28, s[0:1]
	global_store_b32 v73, v29, s[0:1] offset:32
	global_store_b32 v73, v24, s[0:1] offset:64
	;; [unrolled: 1-line block ×31, first 2 shown]
.LBB26_191:
	s_sendmsg sendmsg(MSG_DEALLOC_VGPRS)
	s_endpgm
.LBB26_192:
	ds_load_b32 v34, v32
	s_wait_dscnt 0x0
	v_add_f32_e32 v28, v28, v34
	s_or_b32 exec_lo, exec_lo, s0
	s_and_saveexec_b32 s0, vcc_lo
	s_cbranch_execz .LBB26_120
.LBB26_193:
	ds_load_b32 v34, v32 offset:32
	s_wait_dscnt 0x0
	v_add_f32_e32 v29, v29, v34
	s_or_b32 exec_lo, exec_lo, s0
	s_and_saveexec_b32 s0, vcc_lo
	s_cbranch_execz .LBB26_121
.LBB26_194:
	ds_load_b32 v34, v32 offset:64
	s_wait_dscnt 0x0
	v_add_f32_e32 v24, v24, v34
	s_or_b32 exec_lo, exec_lo, s0
	s_and_saveexec_b32 s0, vcc_lo
	s_cbranch_execz .LBB26_122
.LBB26_195:
	ds_load_b32 v34, v32 offset:96
	s_wait_dscnt 0x0
	v_add_f32_e32 v25, v25, v34
	s_or_b32 exec_lo, exec_lo, s0
	s_and_saveexec_b32 s0, vcc_lo
	s_cbranch_execz .LBB26_123
.LBB26_196:
	ds_load_b32 v34, v32 offset:128
	s_wait_dscnt 0x0
	v_add_f32_e32 v18, v18, v34
	s_or_b32 exec_lo, exec_lo, s0
	s_and_saveexec_b32 s0, vcc_lo
	s_cbranch_execz .LBB26_124
.LBB26_197:
	ds_load_b32 v34, v32 offset:160
	s_wait_dscnt 0x0
	v_add_f32_e32 v19, v19, v34
	s_or_b32 exec_lo, exec_lo, s0
	s_and_saveexec_b32 s0, vcc_lo
	s_cbranch_execz .LBB26_125
.LBB26_198:
	ds_load_b32 v34, v32 offset:192
	s_wait_dscnt 0x0
	v_add_f32_e32 v26, v26, v34
	s_or_b32 exec_lo, exec_lo, s0
	s_and_saveexec_b32 s0, vcc_lo
	s_cbranch_execz .LBB26_126
.LBB26_199:
	ds_load_b32 v34, v32 offset:224
	s_wait_dscnt 0x0
	v_add_f32_e32 v27, v27, v34
	s_or_b32 exec_lo, exec_lo, s0
	s_and_saveexec_b32 s0, vcc_lo
	s_cbranch_execz .LBB26_127
.LBB26_200:
	ds_load_b32 v34, v32 offset:256
	s_wait_dscnt 0x0
	v_add_f32_e32 v20, v20, v34
	s_or_b32 exec_lo, exec_lo, s0
	s_and_saveexec_b32 s0, vcc_lo
	s_cbranch_execz .LBB26_128
.LBB26_201:
	ds_load_b32 v34, v32 offset:288
	s_wait_dscnt 0x0
	v_add_f32_e32 v21, v21, v34
	s_or_b32 exec_lo, exec_lo, s0
	s_and_saveexec_b32 s0, vcc_lo
	s_cbranch_execz .LBB26_129
.LBB26_202:
	ds_load_b32 v34, v32 offset:320
	s_wait_dscnt 0x0
	v_add_f32_e32 v14, v14, v34
	s_or_b32 exec_lo, exec_lo, s0
	s_and_saveexec_b32 s0, vcc_lo
	s_cbranch_execz .LBB26_130
.LBB26_203:
	ds_load_b32 v34, v32 offset:352
	s_wait_dscnt 0x0
	v_add_f32_e32 v15, v15, v34
	s_or_b32 exec_lo, exec_lo, s0
	s_and_saveexec_b32 s0, vcc_lo
	s_cbranch_execz .LBB26_131
.LBB26_204:
	ds_load_b32 v34, v32 offset:384
	s_wait_dscnt 0x0
	v_add_f32_e32 v10, v10, v34
	s_or_b32 exec_lo, exec_lo, s0
	s_and_saveexec_b32 s0, vcc_lo
	s_cbranch_execz .LBB26_132
.LBB26_205:
	ds_load_b32 v34, v32 offset:416
	s_wait_dscnt 0x0
	v_add_f32_e32 v11, v11, v34
	s_or_b32 exec_lo, exec_lo, s0
	s_and_saveexec_b32 s0, vcc_lo
	s_cbranch_execz .LBB26_133
.LBB26_206:
	ds_load_b32 v34, v32 offset:448
	s_wait_dscnt 0x0
	v_add_f32_e32 v8, v8, v34
	s_or_b32 exec_lo, exec_lo, s0
	s_and_saveexec_b32 s0, vcc_lo
	s_cbranch_execz .LBB26_134
.LBB26_207:
	ds_load_b32 v34, v32 offset:480
	s_wait_dscnt 0x0
	v_add_f32_e32 v9, v9, v34
	s_or_b32 exec_lo, exec_lo, s0
	s_and_saveexec_b32 s0, vcc_lo
	s_cbranch_execz .LBB26_135
.LBB26_208:
	ds_load_b32 v34, v32 offset:512
	s_wait_dscnt 0x0
	v_add_f32_e32 v6, v6, v34
	s_or_b32 exec_lo, exec_lo, s0
	s_and_saveexec_b32 s0, vcc_lo
	s_cbranch_execz .LBB26_136
.LBB26_209:
	ds_load_b32 v34, v32 offset:544
	s_wait_dscnt 0x0
	v_add_f32_e32 v7, v7, v34
	s_or_b32 exec_lo, exec_lo, s0
	s_and_saveexec_b32 s0, vcc_lo
	s_cbranch_execz .LBB26_137
.LBB26_210:
	ds_load_b32 v34, v32 offset:576
	s_wait_dscnt 0x0
	v_add_f32_e32 v4, v4, v34
	s_or_b32 exec_lo, exec_lo, s0
	s_and_saveexec_b32 s0, vcc_lo
	s_cbranch_execz .LBB26_138
.LBB26_211:
	ds_load_b32 v34, v32 offset:608
	s_wait_dscnt 0x0
	v_add_f32_e32 v5, v5, v34
	s_or_b32 exec_lo, exec_lo, s0
	s_and_saveexec_b32 s0, vcc_lo
	s_cbranch_execz .LBB26_139
.LBB26_212:
	ds_load_b32 v34, v32 offset:640
	s_wait_dscnt 0x0
	v_add_f32_e32 v2, v2, v34
	s_or_b32 exec_lo, exec_lo, s0
	s_and_saveexec_b32 s0, vcc_lo
	s_cbranch_execz .LBB26_140
.LBB26_213:
	ds_load_b32 v34, v32 offset:672
	s_wait_dscnt 0x0
	v_add_f32_e32 v3, v3, v34
	s_or_b32 exec_lo, exec_lo, s0
	s_and_saveexec_b32 s0, vcc_lo
	s_cbranch_execz .LBB26_141
.LBB26_214:
	ds_load_b32 v34, v32 offset:704
	s_wait_dscnt 0x0
	v_add_f32_e32 v0, v0, v34
	s_or_b32 exec_lo, exec_lo, s0
	s_and_saveexec_b32 s0, vcc_lo
	s_cbranch_execz .LBB26_142
.LBB26_215:
	ds_load_b32 v34, v32 offset:736
	s_wait_dscnt 0x0
	v_add_f32_e32 v1, v1, v34
	s_or_b32 exec_lo, exec_lo, s0
	s_and_saveexec_b32 s0, vcc_lo
	s_cbranch_execz .LBB26_143
.LBB26_216:
	ds_load_b32 v34, v32 offset:768
	s_wait_dscnt 0x0
	v_add_f32_e32 v22, v22, v34
	s_or_b32 exec_lo, exec_lo, s0
	s_and_saveexec_b32 s0, vcc_lo
	s_cbranch_execz .LBB26_144
.LBB26_217:
	ds_load_b32 v34, v32 offset:800
	s_wait_dscnt 0x0
	v_add_f32_e32 v23, v23, v34
	s_or_b32 exec_lo, exec_lo, s0
	s_and_saveexec_b32 s0, vcc_lo
	s_cbranch_execz .LBB26_145
.LBB26_218:
	ds_load_b32 v34, v32 offset:832
	s_wait_dscnt 0x0
	v_add_f32_e32 v16, v16, v34
	s_or_b32 exec_lo, exec_lo, s0
	s_and_saveexec_b32 s0, vcc_lo
	s_cbranch_execz .LBB26_146
.LBB26_219:
	ds_load_b32 v34, v32 offset:864
	s_wait_dscnt 0x0
	v_add_f32_e32 v17, v17, v34
	s_or_b32 exec_lo, exec_lo, s0
	s_and_saveexec_b32 s0, vcc_lo
	s_cbranch_execz .LBB26_147
.LBB26_220:
	ds_load_b32 v34, v32 offset:896
	s_wait_dscnt 0x0
	v_add_f32_e32 v12, v12, v34
	s_or_b32 exec_lo, exec_lo, s0
	s_and_saveexec_b32 s0, vcc_lo
	s_cbranch_execz .LBB26_148
.LBB26_221:
	ds_load_b32 v34, v32 offset:928
	s_wait_dscnt 0x0
	v_add_f32_e32 v13, v13, v34
	s_or_b32 exec_lo, exec_lo, s0
	s_and_saveexec_b32 s0, vcc_lo
	s_cbranch_execz .LBB26_149
.LBB26_222:
	ds_load_b32 v34, v32 offset:960
	s_wait_dscnt 0x0
	v_add_f32_e32 v30, v30, v34
	s_or_b32 exec_lo, exec_lo, s0
	s_and_saveexec_b32 s0, vcc_lo
	s_cbranch_execnz .LBB26_150
	s_branch .LBB26_151
.LBB26_223:
	ds_load_b32 v33, v32
	s_wait_dscnt 0x0
	v_add_f32_e32 v28, v28, v33
	s_or_b32 exec_lo, exec_lo, s0
	s_and_saveexec_b32 s0, vcc_lo
	s_cbranch_execz .LBB26_157
.LBB26_224:
	ds_load_b32 v33, v32 offset:32
	s_wait_dscnt 0x0
	v_add_f32_e32 v29, v29, v33
	s_or_b32 exec_lo, exec_lo, s0
	s_and_saveexec_b32 s0, vcc_lo
	s_cbranch_execz .LBB26_158
.LBB26_225:
	ds_load_b32 v33, v32 offset:64
	s_wait_dscnt 0x0
	v_add_f32_e32 v24, v24, v33
	s_or_b32 exec_lo, exec_lo, s0
	s_and_saveexec_b32 s0, vcc_lo
	s_cbranch_execz .LBB26_159
.LBB26_226:
	ds_load_b32 v33, v32 offset:96
	s_wait_dscnt 0x0
	v_add_f32_e32 v25, v25, v33
	s_or_b32 exec_lo, exec_lo, s0
	s_and_saveexec_b32 s0, vcc_lo
	s_cbranch_execz .LBB26_160
.LBB26_227:
	ds_load_b32 v33, v32 offset:128
	s_wait_dscnt 0x0
	v_add_f32_e32 v18, v18, v33
	s_or_b32 exec_lo, exec_lo, s0
	s_and_saveexec_b32 s0, vcc_lo
	s_cbranch_execz .LBB26_161
.LBB26_228:
	ds_load_b32 v33, v32 offset:160
	s_wait_dscnt 0x0
	v_add_f32_e32 v19, v19, v33
	s_or_b32 exec_lo, exec_lo, s0
	s_and_saveexec_b32 s0, vcc_lo
	s_cbranch_execz .LBB26_162
.LBB26_229:
	ds_load_b32 v33, v32 offset:192
	s_wait_dscnt 0x0
	v_add_f32_e32 v26, v26, v33
	s_or_b32 exec_lo, exec_lo, s0
	s_and_saveexec_b32 s0, vcc_lo
	s_cbranch_execz .LBB26_163
.LBB26_230:
	ds_load_b32 v33, v32 offset:224
	s_wait_dscnt 0x0
	v_add_f32_e32 v27, v27, v33
	s_or_b32 exec_lo, exec_lo, s0
	s_and_saveexec_b32 s0, vcc_lo
	s_cbranch_execz .LBB26_164
.LBB26_231:
	ds_load_b32 v33, v32 offset:256
	s_wait_dscnt 0x0
	v_add_f32_e32 v20, v20, v33
	s_or_b32 exec_lo, exec_lo, s0
	s_and_saveexec_b32 s0, vcc_lo
	s_cbranch_execz .LBB26_165
.LBB26_232:
	ds_load_b32 v33, v32 offset:288
	s_wait_dscnt 0x0
	v_add_f32_e32 v21, v21, v33
	s_or_b32 exec_lo, exec_lo, s0
	s_and_saveexec_b32 s0, vcc_lo
	s_cbranch_execz .LBB26_166
.LBB26_233:
	ds_load_b32 v33, v32 offset:320
	s_wait_dscnt 0x0
	v_add_f32_e32 v14, v14, v33
	s_or_b32 exec_lo, exec_lo, s0
	s_and_saveexec_b32 s0, vcc_lo
	s_cbranch_execz .LBB26_167
.LBB26_234:
	ds_load_b32 v33, v32 offset:352
	s_wait_dscnt 0x0
	v_add_f32_e32 v15, v15, v33
	s_or_b32 exec_lo, exec_lo, s0
	s_and_saveexec_b32 s0, vcc_lo
	s_cbranch_execz .LBB26_168
.LBB26_235:
	ds_load_b32 v33, v32 offset:384
	s_wait_dscnt 0x0
	v_add_f32_e32 v10, v10, v33
	s_or_b32 exec_lo, exec_lo, s0
	s_and_saveexec_b32 s0, vcc_lo
	s_cbranch_execz .LBB26_169
.LBB26_236:
	ds_load_b32 v33, v32 offset:416
	s_wait_dscnt 0x0
	v_add_f32_e32 v11, v11, v33
	s_or_b32 exec_lo, exec_lo, s0
	s_and_saveexec_b32 s0, vcc_lo
	s_cbranch_execz .LBB26_170
.LBB26_237:
	ds_load_b32 v33, v32 offset:448
	s_wait_dscnt 0x0
	v_add_f32_e32 v8, v8, v33
	s_or_b32 exec_lo, exec_lo, s0
	s_and_saveexec_b32 s0, vcc_lo
	s_cbranch_execz .LBB26_171
.LBB26_238:
	ds_load_b32 v33, v32 offset:480
	s_wait_dscnt 0x0
	v_add_f32_e32 v9, v9, v33
	s_or_b32 exec_lo, exec_lo, s0
	s_and_saveexec_b32 s0, vcc_lo
	s_cbranch_execz .LBB26_172
.LBB26_239:
	ds_load_b32 v33, v32 offset:512
	s_wait_dscnt 0x0
	v_add_f32_e32 v6, v6, v33
	s_or_b32 exec_lo, exec_lo, s0
	s_and_saveexec_b32 s0, vcc_lo
	s_cbranch_execz .LBB26_173
.LBB26_240:
	ds_load_b32 v33, v32 offset:544
	s_wait_dscnt 0x0
	v_add_f32_e32 v7, v7, v33
	s_or_b32 exec_lo, exec_lo, s0
	s_and_saveexec_b32 s0, vcc_lo
	s_cbranch_execz .LBB26_174
.LBB26_241:
	ds_load_b32 v33, v32 offset:576
	s_wait_dscnt 0x0
	v_add_f32_e32 v4, v4, v33
	s_or_b32 exec_lo, exec_lo, s0
	s_and_saveexec_b32 s0, vcc_lo
	s_cbranch_execz .LBB26_175
.LBB26_242:
	ds_load_b32 v33, v32 offset:608
	s_wait_dscnt 0x0
	v_add_f32_e32 v5, v5, v33
	s_or_b32 exec_lo, exec_lo, s0
	s_and_saveexec_b32 s0, vcc_lo
	s_cbranch_execz .LBB26_176
.LBB26_243:
	ds_load_b32 v33, v32 offset:640
	s_wait_dscnt 0x0
	v_add_f32_e32 v2, v2, v33
	s_or_b32 exec_lo, exec_lo, s0
	s_and_saveexec_b32 s0, vcc_lo
	s_cbranch_execz .LBB26_177
.LBB26_244:
	ds_load_b32 v33, v32 offset:672
	s_wait_dscnt 0x0
	v_add_f32_e32 v3, v3, v33
	s_or_b32 exec_lo, exec_lo, s0
	s_and_saveexec_b32 s0, vcc_lo
	s_cbranch_execz .LBB26_178
.LBB26_245:
	ds_load_b32 v33, v32 offset:704
	s_wait_dscnt 0x0
	v_add_f32_e32 v0, v0, v33
	s_or_b32 exec_lo, exec_lo, s0
	s_and_saveexec_b32 s0, vcc_lo
	s_cbranch_execz .LBB26_179
.LBB26_246:
	ds_load_b32 v33, v32 offset:736
	s_wait_dscnt 0x0
	v_add_f32_e32 v1, v1, v33
	s_or_b32 exec_lo, exec_lo, s0
	s_and_saveexec_b32 s0, vcc_lo
	s_cbranch_execz .LBB26_180
.LBB26_247:
	ds_load_b32 v33, v32 offset:768
	s_wait_dscnt 0x0
	v_add_f32_e32 v22, v22, v33
	s_or_b32 exec_lo, exec_lo, s0
	s_and_saveexec_b32 s0, vcc_lo
	s_cbranch_execz .LBB26_181
.LBB26_248:
	ds_load_b32 v33, v32 offset:800
	s_wait_dscnt 0x0
	v_add_f32_e32 v23, v23, v33
	s_or_b32 exec_lo, exec_lo, s0
	s_and_saveexec_b32 s0, vcc_lo
	s_cbranch_execz .LBB26_182
.LBB26_249:
	ds_load_b32 v33, v32 offset:832
	s_wait_dscnt 0x0
	v_add_f32_e32 v16, v16, v33
	s_or_b32 exec_lo, exec_lo, s0
	s_and_saveexec_b32 s0, vcc_lo
	s_cbranch_execz .LBB26_183
.LBB26_250:
	ds_load_b32 v33, v32 offset:864
	s_wait_dscnt 0x0
	v_add_f32_e32 v17, v17, v33
	s_or_b32 exec_lo, exec_lo, s0
	s_and_saveexec_b32 s0, vcc_lo
	s_cbranch_execz .LBB26_184
.LBB26_251:
	ds_load_b32 v33, v32 offset:896
	s_wait_dscnt 0x0
	v_add_f32_e32 v12, v12, v33
	s_or_b32 exec_lo, exec_lo, s0
	s_and_saveexec_b32 s0, vcc_lo
	s_cbranch_execz .LBB26_185
.LBB26_252:
	ds_load_b32 v33, v32 offset:928
	s_wait_dscnt 0x0
	v_add_f32_e32 v13, v13, v33
	s_or_b32 exec_lo, exec_lo, s0
	s_and_saveexec_b32 s0, vcc_lo
	s_cbranch_execz .LBB26_186
.LBB26_253:
	ds_load_b32 v33, v32 offset:960
	s_wait_dscnt 0x0
	v_add_f32_e32 v30, v30, v33
	s_or_b32 exec_lo, exec_lo, s0
	s_and_saveexec_b32 s0, vcc_lo
	s_cbranch_execnz .LBB26_187
	s_branch .LBB26_188
	.section	.rodata,"a",@progbits
	.p2align	6, 0x0
	.amdhsa_kernel _ZN4vllm25paged_attention_v1_kernelIffLi256ELi16ELi128ELNS_18Fp8KVCacheDataTypeE0ELb1EEEvPT_PKS2_PKT0_S8_ifPKiSA_iPKfiiiSC_SC_iiiii
		.amdhsa_group_segment_fixed_size 1056
		.amdhsa_private_segment_fixed_size 240
		.amdhsa_kernarg_size 384
		.amdhsa_user_sgpr_count 2
		.amdhsa_user_sgpr_dispatch_ptr 0
		.amdhsa_user_sgpr_queue_ptr 0
		.amdhsa_user_sgpr_kernarg_segment_ptr 1
		.amdhsa_user_sgpr_dispatch_id 0
		.amdhsa_user_sgpr_kernarg_preload_length 0
		.amdhsa_user_sgpr_kernarg_preload_offset 0
		.amdhsa_user_sgpr_private_segment_size 0
		.amdhsa_wavefront_size32 1
		.amdhsa_uses_dynamic_stack 0
		.amdhsa_enable_private_segment 1
		.amdhsa_system_sgpr_workgroup_id_x 1
		.amdhsa_system_sgpr_workgroup_id_y 1
		.amdhsa_system_sgpr_workgroup_id_z 1
		.amdhsa_system_sgpr_workgroup_info 0
		.amdhsa_system_vgpr_workitem_id 0
		.amdhsa_next_free_vgpr 128
		.amdhsa_next_free_sgpr 40
		.amdhsa_named_barrier_count 0
		.amdhsa_reserve_vcc 1
		.amdhsa_float_round_mode_32 0
		.amdhsa_float_round_mode_16_64 0
		.amdhsa_float_denorm_mode_32 3
		.amdhsa_float_denorm_mode_16_64 3
		.amdhsa_fp16_overflow 0
		.amdhsa_memory_ordered 1
		.amdhsa_forward_progress 1
		.amdhsa_inst_pref_size 131
		.amdhsa_round_robin_scheduling 0
		.amdhsa_exception_fp_ieee_invalid_op 0
		.amdhsa_exception_fp_denorm_src 0
		.amdhsa_exception_fp_ieee_div_zero 0
		.amdhsa_exception_fp_ieee_overflow 0
		.amdhsa_exception_fp_ieee_underflow 0
		.amdhsa_exception_fp_ieee_inexact 0
		.amdhsa_exception_int_div_zero 0
	.end_amdhsa_kernel
	.section	.text._ZN4vllm25paged_attention_v1_kernelIffLi256ELi16ELi128ELNS_18Fp8KVCacheDataTypeE0ELb1EEEvPT_PKS2_PKT0_S8_ifPKiSA_iPKfiiiSC_SC_iiiii,"axG",@progbits,_ZN4vllm25paged_attention_v1_kernelIffLi256ELi16ELi128ELNS_18Fp8KVCacheDataTypeE0ELb1EEEvPT_PKS2_PKT0_S8_ifPKiSA_iPKfiiiSC_SC_iiiii,comdat
.Lfunc_end26:
	.size	_ZN4vllm25paged_attention_v1_kernelIffLi256ELi16ELi128ELNS_18Fp8KVCacheDataTypeE0ELb1EEEvPT_PKS2_PKT0_S8_ifPKiSA_iPKfiiiSC_SC_iiiii, .Lfunc_end26-_ZN4vllm25paged_attention_v1_kernelIffLi256ELi16ELi128ELNS_18Fp8KVCacheDataTypeE0ELb1EEEvPT_PKS2_PKT0_S8_ifPKiSA_iPKfiiiSC_SC_iiiii
                                        ; -- End function
	.set _ZN4vllm25paged_attention_v1_kernelIffLi256ELi16ELi128ELNS_18Fp8KVCacheDataTypeE0ELb1EEEvPT_PKS2_PKT0_S8_ifPKiSA_iPKfiiiSC_SC_iiiii.num_vgpr, 128
	.set _ZN4vllm25paged_attention_v1_kernelIffLi256ELi16ELi128ELNS_18Fp8KVCacheDataTypeE0ELb1EEEvPT_PKS2_PKT0_S8_ifPKiSA_iPKfiiiSC_SC_iiiii.num_agpr, 0
	.set _ZN4vllm25paged_attention_v1_kernelIffLi256ELi16ELi128ELNS_18Fp8KVCacheDataTypeE0ELb1EEEvPT_PKS2_PKT0_S8_ifPKiSA_iPKfiiiSC_SC_iiiii.numbered_sgpr, 40
	.set _ZN4vllm25paged_attention_v1_kernelIffLi256ELi16ELi128ELNS_18Fp8KVCacheDataTypeE0ELb1EEEvPT_PKS2_PKT0_S8_ifPKiSA_iPKfiiiSC_SC_iiiii.num_named_barrier, 0
	.set _ZN4vllm25paged_attention_v1_kernelIffLi256ELi16ELi128ELNS_18Fp8KVCacheDataTypeE0ELb1EEEvPT_PKS2_PKT0_S8_ifPKiSA_iPKfiiiSC_SC_iiiii.private_seg_size, 240
	.set _ZN4vllm25paged_attention_v1_kernelIffLi256ELi16ELi128ELNS_18Fp8KVCacheDataTypeE0ELb1EEEvPT_PKS2_PKT0_S8_ifPKiSA_iPKfiiiSC_SC_iiiii.uses_vcc, 1
	.set _ZN4vllm25paged_attention_v1_kernelIffLi256ELi16ELi128ELNS_18Fp8KVCacheDataTypeE0ELb1EEEvPT_PKS2_PKT0_S8_ifPKiSA_iPKfiiiSC_SC_iiiii.uses_flat_scratch, 1
	.set _ZN4vllm25paged_attention_v1_kernelIffLi256ELi16ELi128ELNS_18Fp8KVCacheDataTypeE0ELb1EEEvPT_PKS2_PKT0_S8_ifPKiSA_iPKfiiiSC_SC_iiiii.has_dyn_sized_stack, 0
	.set _ZN4vllm25paged_attention_v1_kernelIffLi256ELi16ELi128ELNS_18Fp8KVCacheDataTypeE0ELb1EEEvPT_PKS2_PKT0_S8_ifPKiSA_iPKfiiiSC_SC_iiiii.has_recursion, 0
	.set _ZN4vllm25paged_attention_v1_kernelIffLi256ELi16ELi128ELNS_18Fp8KVCacheDataTypeE0ELb1EEEvPT_PKS2_PKT0_S8_ifPKiSA_iPKfiiiSC_SC_iiiii.has_indirect_call, 0
	.section	.AMDGPU.csdata,"",@progbits
; Kernel info:
; codeLenInByte = 16700
; TotalNumSgprs: 42
; NumVgprs: 128
; ScratchSize: 240
; MemoryBound: 0
; FloatMode: 240
; IeeeMode: 1
; LDSByteSize: 1056 bytes/workgroup (compile time only)
; SGPRBlocks: 0
; VGPRBlocks: 7
; NumSGPRsForWavesPerEU: 42
; NumVGPRsForWavesPerEU: 128
; NamedBarCnt: 0
; Occupancy: 8
; WaveLimiterHint : 1
; COMPUTE_PGM_RSRC2:SCRATCH_EN: 1
; COMPUTE_PGM_RSRC2:USER_SGPR: 2
; COMPUTE_PGM_RSRC2:TRAP_HANDLER: 0
; COMPUTE_PGM_RSRC2:TGID_X_EN: 1
; COMPUTE_PGM_RSRC2:TGID_Y_EN: 1
; COMPUTE_PGM_RSRC2:TGID_Z_EN: 1
; COMPUTE_PGM_RSRC2:TIDIG_COMP_CNT: 0
	.section	.text._ZN4vllm25paged_attention_v1_kernelIffLi32ELi16ELi128ELNS_18Fp8KVCacheDataTypeE0ELb0EEEvPT_PKS2_PKT0_S8_ifPKiSA_iPKfiiiSC_SC_iiiii,"axG",@progbits,_ZN4vllm25paged_attention_v1_kernelIffLi32ELi16ELi128ELNS_18Fp8KVCacheDataTypeE0ELb0EEEvPT_PKS2_PKT0_S8_ifPKiSA_iPKfiiiSC_SC_iiiii,comdat
	.protected	_ZN4vllm25paged_attention_v1_kernelIffLi32ELi16ELi128ELNS_18Fp8KVCacheDataTypeE0ELb0EEEvPT_PKS2_PKT0_S8_ifPKiSA_iPKfiiiSC_SC_iiiii ; -- Begin function _ZN4vllm25paged_attention_v1_kernelIffLi32ELi16ELi128ELNS_18Fp8KVCacheDataTypeE0ELb0EEEvPT_PKS2_PKT0_S8_ifPKiSA_iPKfiiiSC_SC_iiiii
	.globl	_ZN4vllm25paged_attention_v1_kernelIffLi32ELi16ELi128ELNS_18Fp8KVCacheDataTypeE0ELb0EEEvPT_PKS2_PKT0_S8_ifPKiSA_iPKfiiiSC_SC_iiiii
	.p2align	8
	.type	_ZN4vllm25paged_attention_v1_kernelIffLi32ELi16ELi128ELNS_18Fp8KVCacheDataTypeE0ELb0EEEvPT_PKS2_PKT0_S8_ifPKiSA_iPKfiiiSC_SC_iiiii,@function
_ZN4vllm25paged_attention_v1_kernelIffLi32ELi16ELi128ELNS_18Fp8KVCacheDataTypeE0ELb0EEEvPT_PKS2_PKT0_S8_ifPKiSA_iPKfiiiSC_SC_iiiii: ; @_ZN4vllm25paged_attention_v1_kernelIffLi32ELi16ELi128ELNS_18Fp8KVCacheDataTypeE0ELb0EEEvPT_PKS2_PKT0_S8_ifPKiSA_iPKfiiiSC_SC_iiiii
; %bb.0:
	s_load_b64 s[6:7], s[0:1], 0x20
	s_bfe_u32 s3, ttmp6, 0x4000c
	s_bfe_u32 s5, ttmp6, 0x40010
	s_and_b32 s4, ttmp7, 0xffff
	s_add_co_i32 s3, s3, 1
	s_add_co_i32 s5, s5, 1
	s_and_b32 s2, ttmp6, 15
	s_bfe_u32 s8, ttmp6, 0x40004
	s_mul_i32 s3, ttmp9, s3
	s_mul_i32 s5, s4, s5
	s_getreg_b32 s18, hwreg(HW_REG_IB_STS2, 6, 4)
	s_add_co_i32 s2, s2, s3
	s_add_co_i32 s8, s8, s5
	s_cmp_eq_u32 s18, 0
	s_clause 0x1
	s_load_b32 s19, s[0:1], 0x80
	s_load_b64 s[10:11], s[0:1], 0x30
	s_cselect_b32 s20, s4, s8
	s_cselect_b32 s8, ttmp9, s2
	s_wait_kmcnt 0x0
	s_abs_i32 s2, s6
	s_delay_alu instid0(SALU_CYCLE_1) | instskip(SKIP_1) | instid1(SALU_CYCLE_2)
	s_cvt_f32_u32 s3, s2
	s_sub_co_i32 s4, 0, s2
	v_rcp_iflag_f32_e32 v1, s3
	s_abs_i32 s5, s19
	v_nop
	s_delay_alu instid0(TRANS32_DEP_1) | instskip(SKIP_1) | instid1(SALU_CYCLE_3)
	v_readfirstlane_b32 s3, v1
	s_mul_f32 s3, s3, 0x4f7ffffe
	s_cvt_u32_f32 s3, s3
	s_delay_alu instid0(SALU_CYCLE_3) | instskip(NEXT) | instid1(SALU_CYCLE_1)
	s_mul_i32 s4, s4, s3
	s_mul_hi_u32 s4, s3, s4
	s_delay_alu instid0(SALU_CYCLE_1) | instskip(SKIP_4) | instid1(SALU_CYCLE_1)
	s_add_co_i32 s3, s3, s4
	s_xor_b32 s4, s19, s6
	s_mul_hi_u32 s3, s5, s3
	s_ashr_i32 s4, s4, 31
	s_mul_i32 s6, s3, s2
	s_sub_co_i32 s5, s5, s6
	s_add_co_i32 s6, s3, 1
	s_sub_co_i32 s9, s5, s2
	s_cmp_ge_u32 s5, s2
	s_cselect_b32 s3, s6, s3
	s_cselect_b32 s5, s9, s5
	s_add_co_i32 s6, s3, 1
	s_cmp_ge_u32 s5, s2
	s_cselect_b32 s2, s6, s3
	s_mov_b32 s3, 0
	s_xor_b32 s2, s2, s4
	s_mov_b32 s13, s3
	s_sub_co_i32 s15, s2, s4
	s_load_b64 s[4:5], s[0:1], 0x40
	s_abs_i32 s14, s15
	s_mov_b32 s23, s3
	s_cvt_f32_u32 s2, s14
	s_delay_alu instid0(SALU_CYCLE_3) | instskip(SKIP_1) | instid1(TRANS32_DEP_1)
	v_rcp_iflag_f32_e32 v1, s2
	v_nop
	v_readfirstlane_b32 s2, v1
	s_mul_f32 s2, s2, 0x4f7ffffe
	s_delay_alu instid0(SALU_CYCLE_3) | instskip(SKIP_1) | instid1(SALU_CYCLE_2)
	s_cvt_u32_f32 s6, s2
	s_sub_co_i32 s2, 0, s14
	s_mul_i32 s2, s2, s6
	s_delay_alu instid0(SALU_CYCLE_1)
	s_mul_hi_u32 s9, s6, s2
	s_abs_i32 s2, s8
	s_add_co_i32 s12, s6, s9
	s_wait_kmcnt 0x0
	s_cmp_eq_u64 s[4:5], 0
	s_cbranch_scc1 .LBB27_2
; %bb.1:
	s_ashr_i32 s9, s8, 31
	s_delay_alu instid0(SALU_CYCLE_1) | instskip(NEXT) | instid1(SALU_CYCLE_1)
	s_lshl_b64 s[16:17], s[8:9], 2
	s_add_nc_u64 s[4:5], s[4:5], s[16:17]
	s_load_b32 s23, s[4:5], 0x0
.LBB27_2:
	s_load_b32 s21, s[10:11], s20 offset:0x0 scale_offset
	s_wait_xcnt 0x0
	s_load_b96 s[4:6], s[0:1], 0x48
	v_dual_lshlrev_b32 v26, 2, v0 :: v_dual_bitop2_b32 v20, 1, v0 bitop3:0x40
	s_ashr_i32 s16, s8, 31
	s_ashr_i32 s15, s15, 31
	s_mul_u64 s[10:11], s[2:3], s[12:13]
	s_lshl_b32 s8, s8, 5
	s_mov_b32 s3, exec_lo
	v_cmpx_gt_u32_e32 16, v0
	s_cbranch_execz .LBB27_4
; %bb.3:
	s_load_b64 s[12:13], s[0:1], 0x8
	s_wait_kmcnt 0x0
	s_mul_i32 s24, s4, s20
	s_ashr_i32 s9, s8, 31
	s_ashr_i32 s25, s24, 31
	v_and_b32_e32 v1, 0xff8, v26
	s_lshl_b64 s[24:25], s[24:25], 2
	s_delay_alu instid0(VALU_DEP_1) | instskip(SKIP_2) | instid1(SALU_CYCLE_1)
	v_lshl_add_u32 v1, v20, 6, v1
	s_add_nc_u64 s[12:13], s[12:13], s[24:25]
	s_lshl_b64 s[24:25], s[8:9], 2
	s_add_nc_u64 s[12:13], s[12:13], s[24:25]
	global_load_b64 v[2:3], v0, s[12:13] scale_offset
	s_wait_loadcnt 0x0
	ds_store_b64 v1, v[2:3]
.LBB27_4:
	s_or_b32 exec_lo, exec_lo, s3
	s_wait_kmcnt 0x0
	s_add_co_i32 s3, s21, 15
	s_load_b32 s4, s[0:1], 0x38
	s_ashr_i32 s9, s3, 31
	s_mul_i32 s12, s11, s14
	s_lshr_b32 s9, s9, 28
	s_sub_co_i32 s2, s2, s12
	s_add_co_i32 s3, s3, s9
	s_xor_b32 s10, s16, s15
	s_ashr_i32 s22, s3, 4
	s_add_co_i32 s3, s11, 1
	s_sub_co_i32 s9, s2, s14
	s_cmp_ge_u32 s2, s14
	v_lshrrev_b32_e32 v1, 5, v0
	s_cselect_b32 s3, s3, s11
	s_cselect_b32 s2, s9, s2
	s_add_co_i32 s9, s3, 1
	s_cmp_ge_u32 s2, s14
	v_mbcnt_lo_u32_b32 v24, -1, 0
	s_cselect_b32 s2, s9, s3
	s_wait_dscnt 0x0
	s_xor_b32 s2, s2, s10
	s_barrier_signal -1
	s_sub_co_i32 s3, s2, s10
	v_cmp_gt_i32_e64 s2, s22, v1
	s_wait_kmcnt 0x0
	s_mul_i32 s10, s4, s20
	s_mov_b32 s4, exec_lo
	s_ashr_i32 s11, s10, 31
	s_barrier_wait -1
                                        ; implicit-def: $vgpr19
                                        ; implicit-def: $vgpr25
	v_cmpx_le_i32_e64 s22, v1
	s_xor_b32 s4, exec_lo, s4
; %bb.5:
	v_dual_mov_b32 v19, 0 :: v_dual_mov_b32 v25, 32
	v_mbcnt_lo_u32_b32 v24, -1, 0
                                        ; implicit-def: $vgpr20
; %bb.6:
	s_or_saveexec_b32 s24, s4
	s_clause 0x1
	s_load_b64 s[12:13], s[0:1], 0x28
	s_load_b32 s9, s[0:1], 0x88
	v_mov_b32_e32 v18, 0xff7fffff
	v_lshrrev_b32_e32 v28, 3, v0
	s_mul_i32 s14, s3, s6
	s_xor_b32 exec_lo, exec_lo, s24
	s_cbranch_execz .LBB27_12
; %bb.7:
	s_load_b64 s[26:27], s[0:1], 0x10
	v_bfe_u32 v29, v0, 1, 4
	v_xor_b32_e32 v22, 1, v24
	v_dual_mov_b32 v25, 32 :: v_dual_lshlrev_b32 v14, 6, v20
	s_ashr_i32 s15, s14, 31
	v_dual_mov_b32 v19, 0 :: v_dual_lshlrev_b32 v21, 3, v0
	v_lshlrev_b32_e32 v18, 4, v29
	v_cmp_gt_i32_e32 vcc_lo, 32, v22
	s_lshl_b64 s[28:29], s[14:15], 2
	ds_load_b128 v[2:5], v14
	ds_load_b128 v[6:9], v14 offset:16
	ds_load_b128 v[10:13], v14 offset:32
	;; [unrolled: 1-line block ×3, first 2 shown]
	v_lshlrev_b32_e32 v30, 2, v29
	s_ashr_i32 s17, s5, 31
	v_cndmask_b32_e32 v27, v24, v22, vcc_lo
	s_cmp_neq_f32 s23, 0
	v_cmp_eq_u32_e32 vcc_lo, 0, v20
	v_lshl_or_b32 v30, v1, 6, v30
	v_lshl_or_b32 v29, v1, 4, v29
	s_cselect_b32 s3, -1, 0
	s_wait_kmcnt 0x0
	s_add_nc_u64 s[26:27], s[26:27], s[28:29]
	v_dual_mov_b32 v31, v1 :: v_dual_add_nc_u32 v30, 0xa0, v30
	v_add_nc_u64_e32 v[22:23], s[26:27], v[18:19]
	v_dual_lshlrev_b32 v27, 2, v27 :: v_dual_bitop2_b32 v18, 8, v21 bitop3:0x40
	s_lshl_b64 s[26:27], s[10:11], 2
	s_mov_b32 s16, s5
	s_add_nc_u64 s[26:27], s[12:13], s[26:27]
	s_mov_b32 s6, 0
	s_delay_alu instid0(VALU_DEP_2) | instskip(SKIP_2) | instid1(VALU_DEP_1)
	v_add_nc_u64_e32 v[20:21], v[22:23], v[18:19]
	v_and_b32_e32 v18, 0x7c, v28
	s_sub_co_i32 s15, 1, s21
	v_add_nc_u64_e32 v[22:23], s[26:27], v[18:19]
	v_mov_b32_e32 v18, 0xff7fffff
	s_branch .LBB27_9
.LBB27_8:                               ;   in Loop: Header=BB27_9 Depth=1
	s_or_b32 exec_lo, exec_lo, s25
	v_dual_add_nc_u32 v31, 4, v31 :: v_dual_add_nc_u32 v29, 64, v29
	v_add_nc_u64_e32 v[22:23], 16, v[22:23]
	v_add_nc_u32_e32 v30, 0x100, v30
	s_delay_alu instid0(VALU_DEP_3) | instskip(SKIP_1) | instid1(SALU_CYCLE_1)
	v_cmp_le_i32_e64 s4, s22, v31
	s_or_b32 s6, s4, s6
	s_and_not1_b32 exec_lo, exec_lo, s6
	s_cbranch_execz .LBB27_11
.LBB27_9:                               ; =>This Inner Loop Header: Depth=1
	global_load_b32 v32, v[22:23], off
	s_wait_loadcnt_dscnt 0x0
	v_ashrrev_i32_e32 v33, 31, v32
	s_delay_alu instid0(VALU_DEP_1) | instskip(NEXT) | instid1(VALU_DEP_1)
	v_mul_u64_e32 v[32:33], s[16:17], v[32:33]
	v_lshl_add_u64 v[32:33], v[32:33], 2, v[20:21]
	s_clause 0x7
	global_load_b64 v[34:35], v[32:33], off offset:256
	global_load_b64 v[36:37], v[32:33], off
	global_load_b64 v[38:39], v[32:33], off offset:512
	global_load_b64 v[40:41], v[32:33], off offset:768
	;; [unrolled: 1-line block ×6, first 2 shown]
	s_wait_loadcnt_dscnt 0x703
	s_wait_xcnt 0x0
	v_dual_mul_f32 v32, v4, v34 :: v_dual_mul_f32 v33, v5, v35
	s_wait_loadcnt 0x6
	s_delay_alu instid0(VALU_DEP_1) | instskip(SKIP_1) | instid1(VALU_DEP_1)
	v_dual_fmac_f32 v32, v2, v36 :: v_dual_fmac_f32 v33, v3, v37
	s_wait_loadcnt_dscnt 0x502
	v_dual_fmac_f32 v32, v6, v38 :: v_dual_fmac_f32 v33, v7, v39
	s_wait_loadcnt 0x4
	s_delay_alu instid0(VALU_DEP_1) | instskip(SKIP_1) | instid1(VALU_DEP_1)
	v_dual_fmac_f32 v32, v8, v40 :: v_dual_fmac_f32 v33, v9, v41
	s_wait_loadcnt_dscnt 0x301
	v_dual_fmac_f32 v32, v10, v42 :: v_dual_fmac_f32 v33, v11, v43
	;; [unrolled: 5-line block ×3, first 2 shown]
	s_wait_loadcnt 0x0
	s_delay_alu instid0(VALU_DEP_1) | instskip(NEXT) | instid1(VALU_DEP_1)
	v_dual_fmac_f32 v32, v16, v48 :: v_dual_fmac_f32 v33, v17, v49
	v_add_f32_e32 v32, v32, v33
	ds_bpermute_b32 v33, v27, v32
	s_and_saveexec_b32 s25, vcc_lo
	s_cbranch_execz .LBB27_8
; %bb.10:                               ;   in Loop: Header=BB27_9 Depth=1
	s_wait_dscnt 0x0
	v_add_f32_e32 v32, v32, v33
	v_add_nc_u32_e32 v34, s15, v29
	v_cmp_gt_i32_e64 s4, s21, v29
	s_delay_alu instid0(VALU_DEP_2) | instskip(NEXT) | instid1(VALU_DEP_1)
	v_cvt_f32_i32_e32 v34, v34
	v_mul_f32_e32 v34, s23, v34
	s_delay_alu instid0(VALU_DEP_1) | instskip(NEXT) | instid1(VALU_DEP_1)
	v_cndmask_b32_e64 v33, 0, v34, s3
	v_dual_max_num_f32 v34, v18, v18 :: v_dual_fmac_f32 v33, s7, v32
	s_delay_alu instid0(VALU_DEP_1) | instskip(NEXT) | instid1(VALU_DEP_1)
	v_dual_max_num_f32 v32, v34, v33 :: v_dual_cndmask_b32 v33, 0, v33, s4
	v_cndmask_b32_e64 v18, v18, v32, s4
	ds_store_b32 v30, v33
	s_branch .LBB27_8
.LBB27_11:
	s_or_b32 exec_lo, exec_lo, s6
.LBB27_12:
	s_delay_alu instid0(SALU_CYCLE_1)
	s_or_b32 exec_lo, exec_lo, s24
	v_dual_max_num_f32 v5, v18, v18 :: v_dual_bitop2_b32 v2, 16, v24 bitop3:0x14
	s_clause 0x1
	s_load_b64 s[6:7], s[0:1], 0x0
	s_load_b64 s[16:17], s[0:1], 0x18
	v_xor_b32_e32 v4, 8, v24
	v_and_b32_e32 v30, 31, v0
	v_cmp_lt_i32_e32 vcc_lo, v2, v25
	v_cndmask_b32_e32 v2, v24, v2, vcc_lo
	s_delay_alu instid0(VALU_DEP_4) | instskip(NEXT) | instid1(VALU_DEP_2)
	v_cmp_lt_i32_e32 vcc_lo, v4, v25
	v_dual_lshlrev_b32 v2, 2, v2 :: v_dual_cndmask_b32 v4, v24, v4, vcc_lo
	ds_bpermute_b32 v3, v2, v18
	s_wait_dscnt 0x0
	v_dual_max_num_f32 v6, v3, v3 :: v_dual_lshlrev_b32 v3, 2, v4
	s_delay_alu instid0(VALU_DEP_1) | instskip(SKIP_4) | instid1(VALU_DEP_1)
	v_dual_max_num_f32 v5, v5, v6 :: v_dual_bitop2_b32 v6, 4, v24 bitop3:0x14
	ds_bpermute_b32 v4, v3, v5
	v_cmp_lt_i32_e32 vcc_lo, v6, v25
	s_wait_dscnt 0x0
	v_max_num_f32_e32 v7, v4, v4
	v_dual_cndmask_b32 v6, v24, v6 :: v_dual_max_num_f32 v5, v5, v7
	s_delay_alu instid0(VALU_DEP_1) | instskip(SKIP_3) | instid1(VALU_DEP_1)
	v_lshlrev_b32_e32 v4, 2, v6
	ds_bpermute_b32 v6, v4, v5
	s_wait_dscnt 0x0
	v_dual_max_num_f32 v6, v6, v6 :: v_dual_bitop2_b32 v7, 2, v24 bitop3:0x14
	v_cmp_lt_i32_e32 vcc_lo, v7, v25
	s_delay_alu instid0(VALU_DEP_2) | instskip(SKIP_2) | instid1(VALU_DEP_3)
	v_dual_max_num_f32 v6, v5, v6 :: v_dual_cndmask_b32 v7, v24, v7
	v_lshlrev_b32_e32 v5, 2, v1
	v_cmp_eq_u32_e32 vcc_lo, 0, v30
	v_lshlrev_b32_e32 v31, 2, v7
	ds_bpermute_b32 v7, v31, v6
	s_wait_xcnt 0x0
	s_and_saveexec_b32 s0, vcc_lo
	s_cbranch_execz .LBB27_14
; %bb.13:
	s_wait_dscnt 0x0
	v_dual_max_num_f32 v7, v7, v7 :: v_dual_max_num_f32 v6, v6, v6
	s_delay_alu instid0(VALU_DEP_1)
	v_max_num_f32_e32 v6, v6, v7
	ds_store_b32 v5, v6 offset:128
.LBB27_14:
	s_or_b32 exec_lo, exec_lo, s0
	v_cmp_gt_u32_e64 s0, 4, v30
	s_wait_dscnt 0x0
	v_dual_mov_b32 v7, 0xff7fffff :: v_dual_lshlrev_b32 v6, 2, v30
	s_barrier_signal -1
	s_barrier_wait -1
	s_and_saveexec_b32 s1, s0
; %bb.15:
	ds_load_b32 v7, v6 offset:128
; %bb.16:
	s_or_b32 exec_lo, exec_lo, s1
	s_wait_dscnt 0x0
	ds_bpermute_b32 v8, v31, v7
	v_dual_max_num_f32 v7, v7, v7 :: v_dual_bitop2_b32 v9, 1, v24 bitop3:0x14
	s_delay_alu instid0(VALU_DEP_1) | instskip(SKIP_2) | instid1(VALU_DEP_2)
	v_cmp_lt_i32_e64 s1, v9, v25
	s_wait_dscnt 0x0
	v_max_num_f32_e32 v8, v8, v8
	v_cndmask_b32_e64 v9, v24, v9, s1
	s_lshl_b32 s1, s22, 4
	s_delay_alu instid0(SALU_CYCLE_1) | instskip(NEXT) | instid1(VALU_DEP_1)
	s_min_i32 s4, s1, s21
	v_dual_max_num_f32 v7, v7, v8 :: v_dual_lshlrev_b32 v32, 2, v9
	v_cmp_gt_i32_e64 s1, s4, v0
	ds_bpermute_b32 v8, v32, v7
	s_wait_dscnt 0x0
	v_max_num_f32_e32 v8, v8, v8
	s_delay_alu instid0(VALU_DEP_1)
	v_dual_max_num_f32 v7, v7, v8 :: v_dual_lshlrev_b32 v8, 2, v19
	ds_bpermute_b32 v8, v8, v7
	v_mov_b32_e32 v7, 0
	s_and_saveexec_b32 s15, s1
	s_cbranch_execz .LBB27_20
; %bb.17:
	v_lshl_add_u32 v9, v0, 2, 0xa0
	v_dual_mov_b32 v7, 0 :: v_dual_mov_b32 v10, v0
	s_mov_b32 s23, 0
.LBB27_18:                              ; =>This Inner Loop Header: Depth=1
	ds_load_b32 v11, v9
	v_add_nc_u32_e32 v10, 0x80, v10
	s_delay_alu instid0(VALU_DEP_1) | instskip(SKIP_3) | instid1(VALU_DEP_1)
	v_cmp_le_i32_e64 s3, s4, v10
	s_or_b32 s23, s3, s23
	s_wait_dscnt 0x0
	v_sub_f32_e32 v11, v11, v8
	v_mul_f32_e32 v11, 0x3fb8aa3b, v11
	s_delay_alu instid0(VALU_DEP_1)
	v_exp_f32_e32 v11, v11
	ds_store_b32 v9, v11
	v_nop
	v_add_f32_e32 v7, v7, v11
	v_add_nc_u32_e32 v9, 0x200, v9
	s_and_not1_b32 exec_lo, exec_lo, s23
	s_cbranch_execnz .LBB27_18
; %bb.19:
	s_or_b32 exec_lo, exec_lo, s23
.LBB27_20:
	s_delay_alu instid0(SALU_CYCLE_1)
	s_or_b32 exec_lo, exec_lo, s15
	ds_bpermute_b32 v2, v2, v7
	s_wait_dscnt 0x0
	v_add_f32_e32 v2, v7, v2
	ds_bpermute_b32 v3, v3, v2
	s_wait_dscnt 0x0
	v_add_f32_e32 v2, v2, v3
	;; [unrolled: 3-line block ×5, first 2 shown]
	s_and_saveexec_b32 s3, vcc_lo
; %bb.21:
	ds_store_b32 v5, v2 offset:144
; %bb.22:
	s_or_b32 exec_lo, exec_lo, s3
	s_wait_dscnt 0x0
	s_barrier_signal -1
	s_barrier_wait -1
	s_and_saveexec_b32 s3, s0
; %bb.23:
	ds_load_b32 v2, v6 offset:144
; %bb.24:
	s_or_b32 exec_lo, exec_lo, s3
	s_wait_dscnt 0x0
	ds_bpermute_b32 v3, v31, v2
	s_wait_dscnt 0x0
	v_dual_lshlrev_b32 v4, 2, v24 :: v_dual_add_f32 v2, v2, v3
	ds_bpermute_b32 v3, v32, v2
	s_wait_dscnt 0x0
	v_add_f32_e32 v2, v2, v3
	v_and_b32_e32 v3, 0xffffff80, v4
	ds_bpermute_b32 v2, v3, v2
	s_and_saveexec_b32 s0, s1
	s_cbranch_execz .LBB27_37
; %bb.25:
	s_wait_dscnt 0x0
	v_add_f32_e32 v2, 0x358637bd, v2
	s_mov_b32 s3, -1
	s_mov_b32 s1, exec_lo
	s_delay_alu instid0(VALU_DEP_1) | instskip(NEXT) | instid1(VALU_DEP_1)
	v_div_scale_f32 v3, null, v2, v2, 1.0
	v_rcp_f32_e32 v5, v3
	v_nop
	s_delay_alu instid0(TRANS32_DEP_1) | instskip(NEXT) | instid1(VALU_DEP_1)
	v_fma_f32 v4, -v3, v5, 1.0
	v_fmac_f32_e32 v5, v4, v5
	v_div_scale_f32 v6, vcc_lo, 1.0, v2, 1.0
	s_delay_alu instid0(VALU_DEP_1) | instskip(NEXT) | instid1(VALU_DEP_1)
	v_mul_f32_e32 v7, v6, v5
	v_fma_f32 v4, -v3, v7, v6
	s_delay_alu instid0(VALU_DEP_1) | instskip(SKIP_1) | instid1(VALU_DEP_2)
	v_fmac_f32_e32 v7, v4, v5
	v_xad_u32 v4, v0, -1, s4
	v_fma_f32 v3, -v3, v7, v6
	s_delay_alu instid0(VALU_DEP_1) | instskip(NEXT) | instid1(VALU_DEP_1)
	v_div_fmas_f32 v3, v3, v5, v7
	v_div_fixup_f32 v2, v3, v2, 1.0
	v_mov_b32_e32 v3, v0
	v_cmpx_lt_u32_e32 0x7f, v4
	s_cbranch_execz .LBB27_34
; %bb.26:
	s_delay_alu instid0(VALU_DEP_3) | instskip(NEXT) | instid1(VALU_DEP_1)
	v_dual_mov_b32 v3, v2 :: v_dual_lshrrev_b32 v4, 7, v4
	v_dual_mov_b32 v8, 0 :: v_dual_add_nc_u32 v5, -1, v4
	s_delay_alu instid0(VALU_DEP_1) | instskip(SKIP_1) | instid1(VALU_DEP_2)
	v_lshrrev_b32_e32 v6, 1, v5
	v_cmp_lt_u32_e32 vcc_lo, 13, v5
	v_add_nc_u32_e32 v5, 1, v6
	s_and_saveexec_b32 s3, vcc_lo
	s_cbranch_execz .LBB27_30
; %bb.27:
	s_delay_alu instid0(VALU_DEP_1)
	v_and_b32_e32 v6, -8, v5
	v_lshl_add_u32 v7, v0, 2, 0xa0
	s_mov_b32 s15, 0
	s_mov_b32 s23, 0
.LBB27_28:                              ; =>This Inner Loop Header: Depth=1
	ds_load_2addr_stride64_b32 v[8:9], v7 offset1:2
	ds_load_2addr_stride64_b32 v[10:11], v7 offset0:4 offset1:6
	ds_load_2addr_stride64_b32 v[12:13], v7 offset0:8 offset1:10
	;; [unrolled: 1-line block ×7, first 2 shown]
	s_add_co_i32 s23, s23, 16
	v_add_nc_u32_e32 v6, -8, v6
	s_wait_dscnt 0x7
	v_pk_mul_f32 v[8:9], v[2:3], v[8:9]
	s_wait_dscnt 0x6
	v_pk_mul_f32 v[10:11], v[2:3], v[10:11]
	;; [unrolled: 2-line block ×8, first 2 shown]
	ds_store_2addr_stride64_b32 v7, v8, v9 offset1:2
	ds_store_2addr_stride64_b32 v7, v10, v11 offset0:4 offset1:6
	ds_store_2addr_stride64_b32 v7, v12, v13 offset0:8 offset1:10
	;; [unrolled: 1-line block ×7, first 2 shown]
	v_mov_b32_e32 v8, s23
	v_cmp_eq_u32_e32 vcc_lo, 0, v6
	v_add_nc_u32_e32 v7, 0x2000, v7
	s_or_b32 s15, vcc_lo, s15
	s_delay_alu instid0(SALU_CYCLE_1)
	s_and_not1_b32 exec_lo, exec_lo, s15
	s_cbranch_execnz .LBB27_28
; %bb.29:
	s_or_b32 exec_lo, exec_lo, s15
.LBB27_30:
	s_delay_alu instid0(SALU_CYCLE_1) | instskip(NEXT) | instid1(VALU_DEP_1)
	s_or_b32 exec_lo, exec_lo, s3
	v_and_b32_e32 v5, 7, v5
	s_mov_b32 s15, 0
	s_mov_b32 s3, exec_lo
	s_delay_alu instid0(VALU_DEP_1)
	v_cmpx_ne_u32_e32 0, v5
	s_cbranch_execz .LBB27_33
; %bb.31:
	v_lshlrev_b32_e32 v6, 9, v8
	s_delay_alu instid0(VALU_DEP_1)
	v_add3_u32 v6, v6, v26, 0xa0
.LBB27_32:                              ; =>This Inner Loop Header: Depth=1
	ds_load_2addr_stride64_b32 v[8:9], v6 offset1:2
	v_add_nc_u32_e32 v5, -1, v5
	s_delay_alu instid0(VALU_DEP_1)
	v_cmp_eq_u32_e32 vcc_lo, 0, v5
	s_or_b32 s15, vcc_lo, s15
	s_wait_dscnt 0x0
	v_pk_mul_f32 v[8:9], v[2:3], v[8:9]
	ds_store_2addr_stride64_b32 v6, v8, v9 offset1:2
	v_add_nc_u32_e32 v6, 0x400, v6
	s_and_not1_b32 exec_lo, exec_lo, s15
	s_cbranch_execnz .LBB27_32
.LBB27_33:
	s_or_b32 exec_lo, exec_lo, s3
	v_add_nc_u32_e32 v3, 1, v4
	s_delay_alu instid0(VALU_DEP_1) | instskip(NEXT) | instid1(VALU_DEP_1)
	v_and_b32_e32 v4, 0x3fffffe, v3
	v_cmp_ne_u32_e32 vcc_lo, v3, v4
	v_lshl_add_u32 v3, v4, 7, v0
	s_or_not1_b32 s3, vcc_lo, exec_lo
.LBB27_34:
	s_or_b32 exec_lo, exec_lo, s1
	s_delay_alu instid0(SALU_CYCLE_1)
	s_and_b32 exec_lo, exec_lo, s3
	s_cbranch_execz .LBB27_37
; %bb.35:
	v_lshl_add_u32 v4, v3, 2, 0xa0
	s_mov_b32 s1, 0
.LBB27_36:                              ; =>This Inner Loop Header: Depth=1
	ds_load_b32 v5, v4
	v_add_nc_u32_e32 v3, 0x80, v3
	s_delay_alu instid0(VALU_DEP_1)
	v_cmp_le_i32_e32 vcc_lo, s4, v3
	s_or_b32 s1, vcc_lo, s1
	s_wait_dscnt 0x0
	v_mul_f32_e32 v5, v2, v5
	ds_store_b32 v4, v5
	v_add_nc_u32_e32 v4, 0x200, v4
	s_and_not1_b32 exec_lo, exec_lo, s1
	s_cbranch_execnz .LBB27_36
.LBB27_37:
	s_or_b32 exec_lo, exec_lo, s0
	v_dual_mov_b32 v23, 0 :: v_dual_bitop2_b32 v33, 3, v0 bitop3:0x40
	v_dual_mov_b32 v22, 0 :: v_dual_mov_b32 v25, 0
	v_mov_b32_e32 v24, 0
	s_wait_dscnt 0x0
	s_barrier_signal -1
	s_barrier_wait -1
	s_and_saveexec_b32 s1, s2
	s_cbranch_execz .LBB27_49
; %bb.38:
	v_dual_lshlrev_b32 v2, 4, v0 :: v_dual_bitop2_b32 v3, 12, v26 bitop3:0x40
	s_ashr_i32 s15, s14, 31
	v_dual_mov_b32 v23, 0 :: v_dual_lshlrev_b32 v4, 4, v33
	s_delay_alu instid0(VALU_DEP_2)
	v_and_b32_e32 v22, 0x1f0, v2
	s_lshl_b64 s[14:15], s[14:15], 2
	s_ashr_i32 s3, s5, 31
	s_wait_kmcnt 0x0
	s_add_nc_u64 s[14:15], s[16:17], s[14:15]
	s_mov_b32 s2, s5
	v_add_nc_u64_e32 v[26:27], s[14:15], v[22:23]
	v_and_b32_e32 v22, 0x7c, v28
	s_lshl_b64 s[4:5], s[10:11], 2
	v_lshl_or_b32 v2, v1, 6, v4
	s_add_nc_u64 s[4:5], s[12:13], s[4:5]
	v_lshl_or_b32 v34, v1, 4, v3
	v_add_nc_u64_e32 v[28:29], s[4:5], v[22:23]
	s_delay_alu instid0(VALU_DEP_3)
	v_dual_mov_b32 v22, v23 :: v_dual_add_nc_u32 v35, 0xa0, v2
	v_dual_mov_b32 v25, v23 :: v_dual_mov_b32 v24, v23
	v_mov_b32_e32 v36, v1
	s_add_co_i32 s4, s22, -1
	s_mov_b32 s10, s21
	s_mov_b32 s5, 0
	s_branch .LBB27_40
.LBB27_39:                              ;   in Loop: Header=BB27_40 Depth=1
	s_or_b32 exec_lo, exec_lo, s0
	s_wait_loadcnt_dscnt 0x200
	v_mul_f32_e32 v10, v6, v10
	s_wait_loadcnt 0x1
	v_mul_f32_e32 v14, v6, v14
	s_wait_loadcnt 0x0
	v_pk_mul_f32 v[18:19], v[6:7], v[18:19]
	v_pk_mul_f32 v[20:21], v[8:9], v[20:21]
	v_add_nc_u64_e32 v[28:29], 16, v[28:29]
	v_fmac_f32_e32 v10, v7, v11
	v_dual_fmac_f32 v14, v7, v15 :: v_dual_mul_f32 v2, v6, v2
	v_dual_add_nc_u32 v34, 64, v34 :: v_dual_add_nc_u32 v36, 4, v36
	s_delay_alu instid0(VALU_DEP_3) | instskip(NEXT) | instid1(VALU_DEP_3)
	v_fmac_f32_e32 v10, v8, v12
	v_fmac_f32_e32 v14, v8, v16
	s_delay_alu instid0(VALU_DEP_4) | instskip(SKIP_2) | instid1(VALU_DEP_4)
	v_fmac_f32_e32 v2, v7, v3
	v_add_f32_e32 v3, v19, v18
	v_cmp_le_i32_e32 vcc_lo, s22, v36
	v_dual_fmac_f32 v14, v9, v17 :: v_dual_add_nc_u32 v35, 0x100, v35
	s_delay_alu instid0(VALU_DEP_3) | instskip(SKIP_2) | instid1(VALU_DEP_3)
	v_dual_fmac_f32 v10, v9, v13 :: v_dual_add_f32 v3, v20, v3
	v_fmac_f32_e32 v2, v8, v4
	s_or_b32 s5, vcc_lo, s5
	v_add_f32_e32 v22, v22, v14
	s_delay_alu instid0(VALU_DEP_3) | instskip(SKIP_1) | instid1(VALU_DEP_1)
	v_add_f32_e32 v25, v25, v10
	v_add_f32_e32 v3, v21, v3
	v_dual_fmac_f32 v2, v9, v5 :: v_dual_add_f32 v23, v23, v3
	s_delay_alu instid0(VALU_DEP_1)
	v_add_f32_e32 v24, v24, v2
	s_and_not1_b32 exec_lo, exec_lo, s5
	s_cbranch_execz .LBB27_48
.LBB27_40:                              ; =>This Inner Loop Header: Depth=1
	global_load_b32 v2, v[28:29], off
	ds_load_b128 v[6:9], v35
	v_cmp_eq_u32_e32 vcc_lo, s4, v36
	v_dual_add_nc_u32 v39, 1, v34 :: v_dual_bitop2_b32 v38, 3, v34 bitop3:0x54
	v_or_b32_e32 v37, 2, v34
	s_wait_loadcnt 0x0
	v_ashrrev_i32_e32 v3, 31, v2
	s_delay_alu instid0(VALU_DEP_1) | instskip(NEXT) | instid1(VALU_DEP_1)
	v_mul_u64_e32 v[2:3], s[2:3], v[2:3]
	v_lshl_add_u64 v[18:19], v[2:3], 2, v[26:27]
	global_load_b128 v[2:5], v[18:19], off
	s_wait_xcnt 0x0
	s_and_saveexec_b32 s11, vcc_lo
	s_cbranch_execnz .LBB27_44
; %bb.41:                               ;   in Loop: Header=BB27_40 Depth=1
	s_or_b32 exec_lo, exec_lo, s11
	global_load_b128 v[10:13], v[18:19], off offset:512
	s_wait_xcnt 0x0
	s_and_saveexec_b32 s11, vcc_lo
	s_cbranch_execnz .LBB27_45
.LBB27_42:                              ;   in Loop: Header=BB27_40 Depth=1
	s_or_b32 exec_lo, exec_lo, s11
	global_load_b128 v[14:17], v[18:19], off offset:1024
	s_wait_xcnt 0x0
	s_and_saveexec_b32 s11, vcc_lo
	s_cbranch_execnz .LBB27_46
.LBB27_43:                              ;   in Loop: Header=BB27_40 Depth=1
	s_or_b32 exec_lo, exec_lo, s11
	global_load_b128 v[18:21], v[18:19], off offset:1536
	s_wait_xcnt 0x0
	s_and_saveexec_b32 s0, vcc_lo
	s_cbranch_execz .LBB27_39
	s_branch .LBB27_47
.LBB27_44:                              ;   in Loop: Header=BB27_40 Depth=1
	v_cmp_gt_i32_e64 s0, s10, v39
	s_wait_loadcnt 0x0
	s_delay_alu instid0(VALU_DEP_1) | instskip(SKIP_1) | instid1(VALU_DEP_1)
	v_cndmask_b32_e64 v3, 0, v3, s0
	v_cmp_gt_i32_e64 s0, s21, v34
	v_cndmask_b32_e64 v2, 0, v2, s0
	v_cmp_gt_i32_e64 s0, s10, v38
	s_delay_alu instid0(VALU_DEP_1) | instskip(SKIP_1) | instid1(VALU_DEP_1)
	v_cndmask_b32_e64 v5, 0, v5, s0
	v_cmp_gt_i32_e64 s0, s21, v37
	v_cndmask_b32_e64 v4, 0, v4, s0
	s_or_b32 exec_lo, exec_lo, s11
	global_load_b128 v[10:13], v[18:19], off offset:512
	s_wait_xcnt 0x0
	s_and_saveexec_b32 s11, vcc_lo
	s_cbranch_execz .LBB27_42
.LBB27_45:                              ;   in Loop: Header=BB27_40 Depth=1
	v_cmp_gt_i32_e64 s0, s10, v39
	s_wait_loadcnt 0x0
	s_delay_alu instid0(VALU_DEP_1) | instskip(SKIP_1) | instid1(VALU_DEP_1)
	v_cndmask_b32_e64 v11, 0, v11, s0
	v_cmp_gt_i32_e64 s0, s21, v34
	v_cndmask_b32_e64 v10, 0, v10, s0
	v_cmp_gt_i32_e64 s0, s10, v38
	s_delay_alu instid0(VALU_DEP_1) | instskip(SKIP_1) | instid1(VALU_DEP_1)
	v_cndmask_b32_e64 v13, 0, v13, s0
	v_cmp_gt_i32_e64 s0, s21, v37
	v_cndmask_b32_e64 v12, 0, v12, s0
	s_or_b32 exec_lo, exec_lo, s11
	global_load_b128 v[14:17], v[18:19], off offset:1024
	s_wait_xcnt 0x0
	s_and_saveexec_b32 s11, vcc_lo
	s_cbranch_execz .LBB27_43
.LBB27_46:                              ;   in Loop: Header=BB27_40 Depth=1
	v_cmp_gt_i32_e64 s0, s10, v39
	s_wait_loadcnt 0x0
	s_delay_alu instid0(VALU_DEP_1) | instskip(SKIP_1) | instid1(VALU_DEP_1)
	v_cndmask_b32_e64 v15, 0, v15, s0
	v_cmp_gt_i32_e64 s0, s21, v34
	v_cndmask_b32_e64 v14, 0, v14, s0
	v_cmp_gt_i32_e64 s0, s10, v38
	s_delay_alu instid0(VALU_DEP_1) | instskip(SKIP_1) | instid1(VALU_DEP_1)
	v_cndmask_b32_e64 v17, 0, v17, s0
	v_cmp_gt_i32_e64 s0, s21, v37
	v_cndmask_b32_e64 v16, 0, v16, s0
	s_or_b32 exec_lo, exec_lo, s11
	global_load_b128 v[18:21], v[18:19], off offset:1536
	s_wait_xcnt 0x0
	s_and_saveexec_b32 s0, vcc_lo
	s_cbranch_execz .LBB27_39
.LBB27_47:                              ;   in Loop: Header=BB27_40 Depth=1
	v_cmp_gt_i32_e32 vcc_lo, s10, v39
	s_wait_loadcnt 0x0
	v_cndmask_b32_e32 v19, 0, v19, vcc_lo
	v_cmp_gt_i32_e32 vcc_lo, s21, v34
	v_cndmask_b32_e32 v18, 0, v18, vcc_lo
	v_cmp_gt_i32_e32 vcc_lo, s10, v38
	v_cndmask_b32_e32 v21, 0, v21, vcc_lo
	v_cmp_gt_i32_e32 vcc_lo, s21, v37
	v_cndmask_b32_e32 v20, 0, v20, vcc_lo
	s_branch .LBB27_39
.LBB27_48:
	s_or_b32 exec_lo, exec_lo, s5
.LBB27_49:
	s_delay_alu instid0(SALU_CYCLE_1)
	s_or_b32 exec_lo, exec_lo, s1
	ds_bpermute_b32 v2, v31, v24
	ds_bpermute_b32 v3, v31, v25
	;; [unrolled: 1-line block ×4, first 2 shown]
	v_and_b32_e32 v9, 0x3c3, v0
	v_and_b32_e32 v8, 28, v30
	s_mov_b32 s0, exec_lo
	s_wait_dscnt 0x0
	s_barrier_signal -1
	s_barrier_wait -1
	v_pk_add_f32 v[2:3], v[24:25], v[2:3]
	v_pk_add_f32 v[4:5], v[22:23], v[4:5]
	ds_bpermute_b32 v10, v32, v2
	ds_bpermute_b32 v11, v32, v3
	;; [unrolled: 1-line block ×4, first 2 shown]
	s_wait_dscnt 0x2
	v_pk_add_f32 v[2:3], v[2:3], v[10:11]
	v_cmpx_ne_u32_e32 64, v9
	s_xor_b32 s0, exec_lo, s0
; %bb.50:
                                        ; implicit-def: $vgpr1
; %bb.51:
	s_delay_alu instid0(SALU_CYCLE_1)
	s_or_saveexec_b32 s0, s0
	s_wait_dscnt 0x0
	v_pk_add_f32 v[4:5], v[4:5], v[6:7]
	v_lshrrev_b32_e32 v7, 2, v30
	v_add_nc_u32_e32 v6, 0xa0, v8
	s_xor_b32 exec_lo, exec_lo, s0
	s_cbranch_execz .LBB27_53
; %bb.52:
	s_delay_alu instid0(VALU_DEP_1) | instskip(NEXT) | instid1(VALU_DEP_1)
	v_lshl_add_u32 v1, v1, 7, v6
	v_add_nc_u32_e32 v8, 0xffffff00, v1
	v_add_nc_u32_e32 v9, 0xffffff20, v1
	;; [unrolled: 1-line block ×4, first 2 shown]
	ds_store_b32 v8, v2
	ds_store_b32 v9, v3
	;; [unrolled: 1-line block ×4, first 2 shown]
.LBB27_53:
	s_or_b32 exec_lo, exec_lo, s0
	v_and_b32_e32 v1, 0x3e0, v0
	v_lshlrev_b32_e32 v7, 2, v7
	s_mov_b32 s1, exec_lo
	v_cmp_eq_u32_e32 vcc_lo, 0, v33
	s_wait_dscnt 0x0
	v_lshlrev_b32_e32 v1, 2, v1
	s_barrier_signal -1
	s_barrier_wait -1
	s_delay_alu instid0(VALU_DEP_1)
	v_add3_u32 v1, 0xa0, v1, v7
	v_cmpx_gt_u32_e32 64, v0
	s_cbranch_execz .LBB27_60
; %bb.54:
	s_and_saveexec_b32 s0, vcc_lo
	s_cbranch_execnz .LBB27_72
; %bb.55:
	s_or_b32 exec_lo, exec_lo, s0
	s_and_saveexec_b32 s0, vcc_lo
	s_cbranch_execnz .LBB27_73
.LBB27_56:
	s_or_b32 exec_lo, exec_lo, s0
	s_and_saveexec_b32 s0, vcc_lo
	s_cbranch_execnz .LBB27_74
.LBB27_57:
	s_or_b32 exec_lo, exec_lo, s0
	s_and_saveexec_b32 s0, vcc_lo
	s_cbranch_execz .LBB27_59
.LBB27_58:
	ds_load_b32 v7, v1 offset:96
	s_wait_dscnt 0x0
	v_add_f32_e32 v5, v5, v7
.LBB27_59:
	s_or_b32 exec_lo, exec_lo, s0
.LBB27_60:
	s_delay_alu instid0(SALU_CYCLE_1) | instskip(SKIP_4) | instid1(VALU_DEP_1)
	s_or_b32 exec_lo, exec_lo, s1
	v_and_b32_e32 v7, 0x3e3, v0
	s_mov_b32 s1, exec_lo
	s_barrier_signal -1
	s_barrier_wait -1
	v_cmpx_eq_u32_e32 32, v7
	s_cbranch_execz .LBB27_62
; %bb.61:
	ds_store_2addr_b32 v6, v2, v3 offset1:8
	ds_store_2addr_b32 v6, v4, v5 offset0:16 offset1:24
.LBB27_62:
	s_or_b32 exec_lo, exec_lo, s1
	s_delay_alu instid0(SALU_CYCLE_1)
	s_mov_b32 s1, exec_lo
	s_wait_dscnt 0x0
	s_barrier_signal -1
	s_barrier_wait -1
	v_cmpx_gt_u32_e32 32, v0
	s_cbranch_execz .LBB27_69
; %bb.63:
	s_and_saveexec_b32 s0, vcc_lo
	s_cbranch_execnz .LBB27_75
; %bb.64:
	s_or_b32 exec_lo, exec_lo, s0
	s_and_saveexec_b32 s0, vcc_lo
	s_cbranch_execnz .LBB27_76
.LBB27_65:
	s_or_b32 exec_lo, exec_lo, s0
	s_and_saveexec_b32 s0, vcc_lo
	s_cbranch_execnz .LBB27_77
.LBB27_66:
	s_or_b32 exec_lo, exec_lo, s0
	s_and_saveexec_b32 s0, vcc_lo
	s_cbranch_execz .LBB27_68
.LBB27_67:
	ds_load_b32 v1, v1 offset:96
	s_wait_dscnt 0x0
	v_add_f32_e32 v5, v5, v1
.LBB27_68:
	s_or_b32 exec_lo, exec_lo, s0
.LBB27_69:
	s_delay_alu instid0(SALU_CYCLE_1)
	s_or_b32 exec_lo, exec_lo, s1
	s_mov_b32 s1, 0
	s_barrier_signal -1
	s_barrier_wait -1
	s_mov_b32 s0, exec_lo
	v_cmpx_eq_u32_e32 0, v7
	s_cbranch_execz .LBB27_71
; %bb.70:
	s_wait_kmcnt 0x0
	s_mul_i32 s0, s20, s9
	s_mul_i32 s2, s9, s8
	;; [unrolled: 1-line block ×3, first 2 shown]
	s_lshr_b32 s8, ttmp7, 16
	s_lshl_b32 s4, s0, 5
	s_bfe_u32 s0, ttmp6, 0x40014
	s_ashr_i32 s5, s4, 31
	s_add_co_i32 s0, s0, 1
	s_ashr_i32 s3, s2, 31
	s_mul_i32 s0, s8, s0
	s_bfe_u32 s9, ttmp6, 0x40008
	s_lshl_b64 s[4:5], s[4:5], 2
	s_lshl_b64 s[2:3], s[2:3], 2
	s_add_co_i32 s9, s9, s0
	s_cmp_eq_u32 s18, 0
	s_add_nc_u64 s[4:5], s[6:7], s[4:5]
	s_cselect_b32 s0, s8, s9
	s_add_nc_u64 s[2:3], s[4:5], s[2:3]
	s_lshl_b32 s0, s0, 7
	s_delay_alu instid0(SALU_CYCLE_1)
	s_add_nc_u64 s[0:1], s[2:3], s[0:1]
	s_clause 0x3
	global_store_b32 v0, v2, s[0:1]
	global_store_b32 v0, v3, s[0:1] offset:32
	global_store_b32 v0, v4, s[0:1] offset:64
	;; [unrolled: 1-line block ×3, first 2 shown]
.LBB27_71:
	s_endpgm
.LBB27_72:
	ds_load_b32 v7, v1
	s_wait_dscnt 0x0
	v_add_f32_e32 v2, v2, v7
	s_or_b32 exec_lo, exec_lo, s0
	s_and_saveexec_b32 s0, vcc_lo
	s_cbranch_execz .LBB27_56
.LBB27_73:
	ds_load_b32 v7, v1 offset:32
	s_wait_dscnt 0x0
	v_add_f32_e32 v3, v3, v7
	s_or_b32 exec_lo, exec_lo, s0
	s_and_saveexec_b32 s0, vcc_lo
	s_cbranch_execz .LBB27_57
.LBB27_74:
	ds_load_b32 v7, v1 offset:64
	s_wait_dscnt 0x0
	v_add_f32_e32 v4, v4, v7
	s_or_b32 exec_lo, exec_lo, s0
	s_and_saveexec_b32 s0, vcc_lo
	s_cbranch_execnz .LBB27_58
	s_branch .LBB27_59
.LBB27_75:
	ds_load_b32 v6, v1
	s_wait_dscnt 0x0
	v_add_f32_e32 v2, v2, v6
	s_or_b32 exec_lo, exec_lo, s0
	s_and_saveexec_b32 s0, vcc_lo
	s_cbranch_execz .LBB27_65
.LBB27_76:
	ds_load_b32 v6, v1 offset:32
	s_wait_dscnt 0x0
	v_add_f32_e32 v3, v3, v6
	s_or_b32 exec_lo, exec_lo, s0
	s_and_saveexec_b32 s0, vcc_lo
	s_cbranch_execz .LBB27_66
.LBB27_77:
	ds_load_b32 v6, v1 offset:64
	s_wait_dscnt 0x0
	v_add_f32_e32 v4, v4, v6
	s_or_b32 exec_lo, exec_lo, s0
	s_and_saveexec_b32 s0, vcc_lo
	s_cbranch_execnz .LBB27_67
	s_branch .LBB27_68
	.section	.rodata,"a",@progbits
	.p2align	6, 0x0
	.amdhsa_kernel _ZN4vllm25paged_attention_v1_kernelIffLi32ELi16ELi128ELNS_18Fp8KVCacheDataTypeE0ELb0EEEvPT_PKS2_PKT0_S8_ifPKiSA_iPKfiiiSC_SC_iiiii
		.amdhsa_group_segment_fixed_size 160
		.amdhsa_private_segment_fixed_size 0
		.amdhsa_kernarg_size 384
		.amdhsa_user_sgpr_count 2
		.amdhsa_user_sgpr_dispatch_ptr 0
		.amdhsa_user_sgpr_queue_ptr 0
		.amdhsa_user_sgpr_kernarg_segment_ptr 1
		.amdhsa_user_sgpr_dispatch_id 0
		.amdhsa_user_sgpr_kernarg_preload_length 0
		.amdhsa_user_sgpr_kernarg_preload_offset 0
		.amdhsa_user_sgpr_private_segment_size 0
		.amdhsa_wavefront_size32 1
		.amdhsa_uses_dynamic_stack 0
		.amdhsa_enable_private_segment 0
		.amdhsa_system_sgpr_workgroup_id_x 1
		.amdhsa_system_sgpr_workgroup_id_y 1
		.amdhsa_system_sgpr_workgroup_id_z 1
		.amdhsa_system_sgpr_workgroup_info 0
		.amdhsa_system_vgpr_workitem_id 0
		.amdhsa_next_free_vgpr 50
		.amdhsa_next_free_sgpr 30
		.amdhsa_named_barrier_count 0
		.amdhsa_reserve_vcc 1
		.amdhsa_float_round_mode_32 0
		.amdhsa_float_round_mode_16_64 0
		.amdhsa_float_denorm_mode_32 3
		.amdhsa_float_denorm_mode_16_64 3
		.amdhsa_fp16_overflow 0
		.amdhsa_memory_ordered 1
		.amdhsa_forward_progress 1
		.amdhsa_inst_pref_size 36
		.amdhsa_round_robin_scheduling 0
		.amdhsa_exception_fp_ieee_invalid_op 0
		.amdhsa_exception_fp_denorm_src 0
		.amdhsa_exception_fp_ieee_div_zero 0
		.amdhsa_exception_fp_ieee_overflow 0
		.amdhsa_exception_fp_ieee_underflow 0
		.amdhsa_exception_fp_ieee_inexact 0
		.amdhsa_exception_int_div_zero 0
	.end_amdhsa_kernel
	.section	.text._ZN4vllm25paged_attention_v1_kernelIffLi32ELi16ELi128ELNS_18Fp8KVCacheDataTypeE0ELb0EEEvPT_PKS2_PKT0_S8_ifPKiSA_iPKfiiiSC_SC_iiiii,"axG",@progbits,_ZN4vllm25paged_attention_v1_kernelIffLi32ELi16ELi128ELNS_18Fp8KVCacheDataTypeE0ELb0EEEvPT_PKS2_PKT0_S8_ifPKiSA_iPKfiiiSC_SC_iiiii,comdat
.Lfunc_end27:
	.size	_ZN4vllm25paged_attention_v1_kernelIffLi32ELi16ELi128ELNS_18Fp8KVCacheDataTypeE0ELb0EEEvPT_PKS2_PKT0_S8_ifPKiSA_iPKfiiiSC_SC_iiiii, .Lfunc_end27-_ZN4vllm25paged_attention_v1_kernelIffLi32ELi16ELi128ELNS_18Fp8KVCacheDataTypeE0ELb0EEEvPT_PKS2_PKT0_S8_ifPKiSA_iPKfiiiSC_SC_iiiii
                                        ; -- End function
	.set _ZN4vllm25paged_attention_v1_kernelIffLi32ELi16ELi128ELNS_18Fp8KVCacheDataTypeE0ELb0EEEvPT_PKS2_PKT0_S8_ifPKiSA_iPKfiiiSC_SC_iiiii.num_vgpr, 50
	.set _ZN4vllm25paged_attention_v1_kernelIffLi32ELi16ELi128ELNS_18Fp8KVCacheDataTypeE0ELb0EEEvPT_PKS2_PKT0_S8_ifPKiSA_iPKfiiiSC_SC_iiiii.num_agpr, 0
	.set _ZN4vllm25paged_attention_v1_kernelIffLi32ELi16ELi128ELNS_18Fp8KVCacheDataTypeE0ELb0EEEvPT_PKS2_PKT0_S8_ifPKiSA_iPKfiiiSC_SC_iiiii.numbered_sgpr, 30
	.set _ZN4vllm25paged_attention_v1_kernelIffLi32ELi16ELi128ELNS_18Fp8KVCacheDataTypeE0ELb0EEEvPT_PKS2_PKT0_S8_ifPKiSA_iPKfiiiSC_SC_iiiii.num_named_barrier, 0
	.set _ZN4vllm25paged_attention_v1_kernelIffLi32ELi16ELi128ELNS_18Fp8KVCacheDataTypeE0ELb0EEEvPT_PKS2_PKT0_S8_ifPKiSA_iPKfiiiSC_SC_iiiii.private_seg_size, 0
	.set _ZN4vllm25paged_attention_v1_kernelIffLi32ELi16ELi128ELNS_18Fp8KVCacheDataTypeE0ELb0EEEvPT_PKS2_PKT0_S8_ifPKiSA_iPKfiiiSC_SC_iiiii.uses_vcc, 1
	.set _ZN4vllm25paged_attention_v1_kernelIffLi32ELi16ELi128ELNS_18Fp8KVCacheDataTypeE0ELb0EEEvPT_PKS2_PKT0_S8_ifPKiSA_iPKfiiiSC_SC_iiiii.uses_flat_scratch, 0
	.set _ZN4vllm25paged_attention_v1_kernelIffLi32ELi16ELi128ELNS_18Fp8KVCacheDataTypeE0ELb0EEEvPT_PKS2_PKT0_S8_ifPKiSA_iPKfiiiSC_SC_iiiii.has_dyn_sized_stack, 0
	.set _ZN4vllm25paged_attention_v1_kernelIffLi32ELi16ELi128ELNS_18Fp8KVCacheDataTypeE0ELb0EEEvPT_PKS2_PKT0_S8_ifPKiSA_iPKfiiiSC_SC_iiiii.has_recursion, 0
	.set _ZN4vllm25paged_attention_v1_kernelIffLi32ELi16ELi128ELNS_18Fp8KVCacheDataTypeE0ELb0EEEvPT_PKS2_PKT0_S8_ifPKiSA_iPKfiiiSC_SC_iiiii.has_indirect_call, 0
	.section	.AMDGPU.csdata,"",@progbits
; Kernel info:
; codeLenInByte = 4592
; TotalNumSgprs: 32
; NumVgprs: 50
; ScratchSize: 0
; MemoryBound: 0
; FloatMode: 240
; IeeeMode: 1
; LDSByteSize: 160 bytes/workgroup (compile time only)
; SGPRBlocks: 0
; VGPRBlocks: 3
; NumSGPRsForWavesPerEU: 32
; NumVGPRsForWavesPerEU: 50
; NamedBarCnt: 0
; Occupancy: 16
; WaveLimiterHint : 1
; COMPUTE_PGM_RSRC2:SCRATCH_EN: 0
; COMPUTE_PGM_RSRC2:USER_SGPR: 2
; COMPUTE_PGM_RSRC2:TRAP_HANDLER: 0
; COMPUTE_PGM_RSRC2:TGID_X_EN: 1
; COMPUTE_PGM_RSRC2:TGID_Y_EN: 1
; COMPUTE_PGM_RSRC2:TGID_Z_EN: 1
; COMPUTE_PGM_RSRC2:TIDIG_COMP_CNT: 0
	.section	.text._ZN4vllm25paged_attention_v1_kernelIffLi64ELi16ELi128ELNS_18Fp8KVCacheDataTypeE0ELb0EEEvPT_PKS2_PKT0_S8_ifPKiSA_iPKfiiiSC_SC_iiiii,"axG",@progbits,_ZN4vllm25paged_attention_v1_kernelIffLi64ELi16ELi128ELNS_18Fp8KVCacheDataTypeE0ELb0EEEvPT_PKS2_PKT0_S8_ifPKiSA_iPKfiiiSC_SC_iiiii,comdat
	.protected	_ZN4vllm25paged_attention_v1_kernelIffLi64ELi16ELi128ELNS_18Fp8KVCacheDataTypeE0ELb0EEEvPT_PKS2_PKT0_S8_ifPKiSA_iPKfiiiSC_SC_iiiii ; -- Begin function _ZN4vllm25paged_attention_v1_kernelIffLi64ELi16ELi128ELNS_18Fp8KVCacheDataTypeE0ELb0EEEvPT_PKS2_PKT0_S8_ifPKiSA_iPKfiiiSC_SC_iiiii
	.globl	_ZN4vllm25paged_attention_v1_kernelIffLi64ELi16ELi128ELNS_18Fp8KVCacheDataTypeE0ELb0EEEvPT_PKS2_PKT0_S8_ifPKiSA_iPKfiiiSC_SC_iiiii
	.p2align	8
	.type	_ZN4vllm25paged_attention_v1_kernelIffLi64ELi16ELi128ELNS_18Fp8KVCacheDataTypeE0ELb0EEEvPT_PKS2_PKT0_S8_ifPKiSA_iPKfiiiSC_SC_iiiii,@function
_ZN4vllm25paged_attention_v1_kernelIffLi64ELi16ELi128ELNS_18Fp8KVCacheDataTypeE0ELb0EEEvPT_PKS2_PKT0_S8_ifPKiSA_iPKfiiiSC_SC_iiiii: ; @_ZN4vllm25paged_attention_v1_kernelIffLi64ELi16ELi128ELNS_18Fp8KVCacheDataTypeE0ELb0EEEvPT_PKS2_PKT0_S8_ifPKiSA_iPKfiiiSC_SC_iiiii
; %bb.0:
	s_load_b64 s[10:11], s[0:1], 0x20
	s_bfe_u32 s3, ttmp6, 0x4000c
	s_bfe_u32 s5, ttmp6, 0x40010
	s_and_b32 s4, ttmp7, 0xffff
	s_add_co_i32 s3, s3, 1
	s_add_co_i32 s5, s5, 1
	s_and_b32 s2, ttmp6, 15
	s_bfe_u32 s6, ttmp6, 0x40004
	s_mul_i32 s3, ttmp9, s3
	s_mul_i32 s5, s4, s5
	s_getreg_b32 s20, hwreg(HW_REG_IB_STS2, 6, 4)
	s_add_co_i32 s7, s2, s3
	s_add_co_i32 s6, s6, s5
	s_cmp_eq_u32 s20, 0
	s_clause 0x1
	s_load_b32 s21, s[0:1], 0x80
	s_load_b64 s[2:3], s[0:1], 0x30
	s_cselect_b32 s22, s4, s6
	s_cselect_b32 s6, ttmp9, s7
	s_wait_kmcnt 0x0
	s_abs_i32 s4, s10
	s_delay_alu instid0(SALU_CYCLE_1) | instskip(SKIP_1) | instid1(SALU_CYCLE_2)
	s_cvt_f32_u32 s5, s4
	s_sub_co_i32 s7, 0, s4
	v_rcp_iflag_f32_e32 v1, s5
	s_abs_i32 s8, s21
	v_nop
	s_delay_alu instid0(TRANS32_DEP_1) | instskip(SKIP_1) | instid1(SALU_CYCLE_3)
	v_readfirstlane_b32 s5, v1
	s_mul_f32 s5, s5, 0x4f7ffffe
	s_cvt_u32_f32 s5, s5
	s_delay_alu instid0(SALU_CYCLE_3) | instskip(NEXT) | instid1(SALU_CYCLE_1)
	s_mul_i32 s7, s7, s5
	s_mul_hi_u32 s7, s5, s7
	s_delay_alu instid0(SALU_CYCLE_1) | instskip(SKIP_4) | instid1(SALU_CYCLE_1)
	s_add_co_i32 s5, s5, s7
	s_xor_b32 s7, s21, s10
	s_mul_hi_u32 s5, s8, s5
	s_ashr_i32 s7, s7, 31
	s_mul_i32 s9, s5, s4
	s_sub_co_i32 s8, s8, s9
	s_add_co_i32 s9, s5, 1
	s_sub_co_i32 s10, s8, s4
	s_cmp_ge_u32 s8, s4
	s_cselect_b32 s5, s9, s5
	s_cselect_b32 s8, s10, s8
	s_add_co_i32 s9, s5, 1
	s_cmp_ge_u32 s8, s4
	s_cselect_b32 s4, s9, s5
	s_load_b64 s[8:9], s[0:1], 0x40
	s_xor_b32 s4, s4, s7
	s_mov_b32 s5, 0
	s_sub_co_i32 s15, s4, s7
	s_mov_b32 s13, s5
	s_abs_i32 s14, s15
	s_mov_b32 s24, s5
	s_cvt_f32_u32 s4, s14
	s_delay_alu instid0(SALU_CYCLE_3) | instskip(SKIP_1) | instid1(TRANS32_DEP_1)
	v_rcp_iflag_f32_e32 v1, s4
	v_nop
	v_readfirstlane_b32 s4, v1
	s_mul_f32 s4, s4, 0x4f7ffffe
	s_delay_alu instid0(SALU_CYCLE_3) | instskip(SKIP_1) | instid1(SALU_CYCLE_2)
	s_cvt_u32_f32 s7, s4
	s_sub_co_i32 s4, 0, s14
	s_mul_i32 s4, s4, s7
	s_delay_alu instid0(SALU_CYCLE_1)
	s_mul_hi_u32 s10, s7, s4
	s_abs_i32 s4, s6
	s_add_co_i32 s12, s7, s10
	s_wait_kmcnt 0x0
	s_cmp_eq_u64 s[8:9], 0
	s_cbranch_scc1 .LBB28_2
; %bb.1:
	s_ashr_i32 s7, s6, 31
	s_delay_alu instid0(SALU_CYCLE_1) | instskip(NEXT) | instid1(SALU_CYCLE_1)
	s_lshl_b64 s[16:17], s[6:7], 2
	s_add_nc_u64 s[8:9], s[8:9], s[16:17]
	s_load_b32 s24, s[8:9], 0x0
.LBB28_2:
	s_load_b32 s23, s[2:3], s22 offset:0x0 scale_offset
	s_wait_xcnt 0x0
	s_load_b96 s[8:10], s[0:1], 0x48
	v_dual_lshlrev_b32 v46, 2, v0 :: v_dual_bitop2_b32 v36, 1, v0 bitop3:0x40
	v_cmp_gt_u32_e64 s2, 32, v0
	s_ashr_i32 s3, s6, 31
	s_ashr_i32 s15, s15, 31
	s_mul_u64 s[12:13], s[4:5], s[12:13]
	s_lshl_b32 s6, s6, 6
	s_and_saveexec_b32 s5, s2
	s_cbranch_execz .LBB28_4
; %bb.3:
	s_load_b64 s[16:17], s[0:1], 0x8
	s_wait_kmcnt 0x0
	s_mul_i32 s18, s8, s22
	s_ashr_i32 s7, s6, 31
	s_ashr_i32 s19, s18, 31
	v_and_b32_e32 v1, 0xff8, v46
	s_lshl_b64 s[18:19], s[18:19], 2
	s_delay_alu instid0(VALU_DEP_1) | instskip(SKIP_2) | instid1(SALU_CYCLE_1)
	v_lshl_add_u32 v1, v36, 7, v1
	s_add_nc_u64 s[16:17], s[16:17], s[18:19]
	s_lshl_b64 s[18:19], s[6:7], 2
	s_add_nc_u64 s[16:17], s[16:17], s[18:19]
	global_load_b64 v[2:3], v0, s[16:17] scale_offset
	s_wait_loadcnt 0x0
	ds_store_b64 v1, v[2:3]
.LBB28_4:
	s_or_b32 exec_lo, exec_lo, s5
	s_wait_kmcnt 0x0
	s_add_co_i32 s5, s23, 15
	s_load_b32 s7, s[0:1], 0x38
	s_ashr_i32 s8, s5, 31
	s_mul_i32 s12, s13, s14
	s_lshr_b32 s8, s8, 28
	s_sub_co_i32 s4, s4, s12
	s_add_co_i32 s5, s5, s8
	s_xor_b32 s3, s3, s15
	s_ashr_i32 s8, s5, 4
	s_add_co_i32 s5, s13, 1
	s_sub_co_i32 s12, s4, s14
	s_cmp_ge_u32 s4, s14
	v_lshrrev_b32_e32 v1, 5, v0
	s_cselect_b32 s5, s5, s13
	s_cselect_b32 s4, s12, s4
	s_add_co_i32 s12, s5, 1
	s_cmp_ge_u32 s4, s14
	v_mbcnt_lo_u32_b32 v40, -1, 0
	s_cselect_b32 s4, s12, s5
	s_mov_b32 s5, exec_lo
	s_xor_b32 s4, s4, s3
	s_wait_kmcnt 0x0
	s_mul_i32 s12, s7, s22
	s_sub_co_i32 s4, s4, s3
	v_cmp_gt_i32_e64 s3, s8, v1
	s_ashr_i32 s13, s12, 31
	s_wait_dscnt 0x0
	s_barrier_signal -1
	s_barrier_wait -1
                                        ; implicit-def: $vgpr35
                                        ; implicit-def: $vgpr41
	v_cmpx_le_i32_e64 s8, v1
	s_xor_b32 s5, exec_lo, s5
; %bb.5:
	v_dual_mov_b32 v35, 0 :: v_dual_mov_b32 v41, 32
	v_mbcnt_lo_u32_b32 v40, -1, 0
                                        ; implicit-def: $vgpr36
; %bb.6:
	s_or_saveexec_b32 s25, s5
	s_clause 0x1
	s_load_b64 s[14:15], s[0:1], 0x28
	s_load_b32 s7, s[0:1], 0x88
	v_mov_b32_e32 v34, 0xff7fffff
	v_lshrrev_b32_e32 v48, 3, v0
	s_mul_i32 s16, s4, s10
	s_xor_b32 exec_lo, exec_lo, s25
	s_cbranch_execz .LBB28_12
; %bb.7:
	s_load_b64 s[4:5], s[0:1], 0x10
	v_bfe_u32 v43, v0, 1, 4
	v_dual_mov_b32 v41, 32 :: v_dual_lshlrev_b32 v30, 7, v36
	v_xor_b32_e32 v42, 1, v40
	s_ashr_i32 s17, s16, 31
	v_dual_mov_b32 v35, 0 :: v_dual_lshlrev_b32 v37, 3, v0
	v_lshlrev_b32_e32 v34, 4, v43
	ds_load_b128 v[2:5], v30
	ds_load_b128 v[6:9], v30 offset:16
	ds_load_b128 v[10:13], v30 offset:32
	;; [unrolled: 1-line block ×5, first 2 shown]
	s_lshl_b64 s[26:27], s[16:17], 2
	v_cmp_gt_i32_e32 vcc_lo, 32, v42
	ds_load_b128 v[26:29], v30 offset:96
	ds_load_b128 v[30:33], v30 offset:112
	s_ashr_i32 s19, s9, 31
	s_cmp_neq_f32 s24, 0
	s_mov_b32 s18, s9
	v_cndmask_b32_e32 v42, v40, v42, vcc_lo
	v_cmp_eq_u32_e32 vcc_lo, 0, v36
	s_mov_b32 s10, 0
	v_mov_b32_e32 v45, v1
	s_wait_kmcnt 0x0
	s_add_nc_u64 s[4:5], s[4:5], s[26:27]
	s_delay_alu instid0(SALU_CYCLE_1)
	v_add_nc_u64_e32 v[38:39], s[4:5], v[34:35]
	v_dual_lshlrev_b32 v44, 2, v43 :: v_dual_bitop2_b32 v34, 8, v37 bitop3:0x40
	v_lshlrev_b32_e32 v42, 2, v42
	s_cselect_b32 s4, -1, 0
	s_lshl_b64 s[26:27], s[12:13], 2
	v_lshl_or_b32 v43, v1, 4, v43
	s_delay_alu instid0(VALU_DEP_4) | instskip(SKIP_4) | instid1(VALU_DEP_2)
	v_add_nc_u64_e32 v[36:37], v[38:39], v[34:35]
	v_lshl_or_b32 v38, v1, 6, v44
	v_and_b32_e32 v34, 0x7c, v48
	s_add_nc_u64 s[26:27], s[14:15], s[26:27]
	s_sub_co_i32 s17, 1, s23
	v_add_nc_u32_e32 v44, 0x120, v38
	s_delay_alu instid0(VALU_DEP_2)
	v_add_nc_u64_e32 v[38:39], s[26:27], v[34:35]
	v_mov_b32_e32 v34, 0xff7fffff
	s_branch .LBB28_9
.LBB28_8:                               ;   in Loop: Header=BB28_9 Depth=1
	s_or_b32 exec_lo, exec_lo, s26
	v_dual_add_nc_u32 v45, 4, v45 :: v_dual_add_nc_u32 v43, 64, v43
	v_add_nc_u64_e32 v[38:39], 16, v[38:39]
	v_add_nc_u32_e32 v44, 0x100, v44
	s_delay_alu instid0(VALU_DEP_3) | instskip(SKIP_1) | instid1(SALU_CYCLE_1)
	v_cmp_le_i32_e64 s5, s8, v45
	s_or_b32 s10, s5, s10
	s_and_not1_b32 exec_lo, exec_lo, s10
	s_cbranch_execz .LBB28_11
.LBB28_9:                               ; =>This Inner Loop Header: Depth=1
	global_load_b32 v50, v[38:39], off
	s_wait_loadcnt 0x0
	v_ashrrev_i32_e32 v51, 31, v50
	s_delay_alu instid0(VALU_DEP_1) | instskip(NEXT) | instid1(VALU_DEP_1)
	v_mul_u64_e32 v[50:51], s[18:19], v[50:51]
	v_lshl_add_u64 v[50:51], v[50:51], 2, v[36:37]
	s_clause 0xf
	global_load_b64 v[52:53], v[50:51], off offset:256
	global_load_b64 v[54:55], v[50:51], off offset:512
	global_load_b64 v[56:57], v[50:51], off offset:768
	global_load_b64 v[58:59], v[50:51], off
	global_load_b64 v[60:61], v[50:51], off offset:1024
	global_load_b64 v[62:63], v[50:51], off offset:1280
	;; [unrolled: 1-line block ×12, first 2 shown]
	s_wait_loadcnt_dscnt 0xf00
	v_dual_mul_f32 v47, v4, v52 :: v_dual_mul_f32 v49, v5, v53
	s_wait_loadcnt 0xc
	s_delay_alu instid0(VALU_DEP_1) | instskip(SKIP_1) | instid1(VALU_DEP_1)
	v_dual_fmac_f32 v47, v2, v58 :: v_dual_fmac_f32 v49, v3, v59
	s_wait_dscnt 0x6
	v_dual_fmac_f32 v47, v6, v54 :: v_dual_fmac_f32 v49, v7, v55
	s_delay_alu instid0(VALU_DEP_1) | instskip(SKIP_1) | instid1(VALU_DEP_1)
	v_dual_fmac_f32 v47, v8, v56 :: v_dual_fmac_f32 v49, v9, v57
	s_wait_loadcnt_dscnt 0xb05
	v_dual_fmac_f32 v47, v10, v60 :: v_dual_fmac_f32 v49, v11, v61
	s_wait_loadcnt 0xa
	s_delay_alu instid0(VALU_DEP_1) | instskip(SKIP_1) | instid1(VALU_DEP_1)
	v_dual_fmac_f32 v47, v12, v62 :: v_dual_fmac_f32 v49, v13, v63
	s_wait_loadcnt_dscnt 0x904
	v_dual_fmac_f32 v47, v14, v64 :: v_dual_fmac_f32 v49, v15, v65
	s_wait_loadcnt 0x8
	;; [unrolled: 5-line block ×6, first 2 shown]
	s_delay_alu instid0(VALU_DEP_1) | instskip(NEXT) | instid1(VALU_DEP_1)
	v_dual_fmac_f32 v47, v32, v50 :: v_dual_fmac_f32 v49, v33, v51
	v_add_f32_e32 v47, v47, v49
	ds_bpermute_b32 v49, v42, v47
	s_wait_xcnt 0x0
	s_and_saveexec_b32 s26, vcc_lo
	s_cbranch_execz .LBB28_8
; %bb.10:                               ;   in Loop: Header=BB28_9 Depth=1
	s_wait_dscnt 0x0
	v_dual_add_f32 v47, v47, v49 :: v_dual_add_nc_u32 v50, s17, v43
	v_cmp_gt_i32_e64 s5, s23, v43
	s_delay_alu instid0(VALU_DEP_2) | instskip(NEXT) | instid1(VALU_DEP_1)
	v_cvt_f32_i32_e32 v50, v50
	v_mul_f32_e32 v50, s24, v50
	s_delay_alu instid0(VALU_DEP_1) | instskip(NEXT) | instid1(VALU_DEP_1)
	v_cndmask_b32_e64 v49, 0, v50, s4
	v_dual_fmac_f32 v49, s11, v47 :: v_dual_max_num_f32 v50, v34, v34
	s_delay_alu instid0(VALU_DEP_1) | instskip(NEXT) | instid1(VALU_DEP_1)
	v_dual_max_num_f32 v47, v50, v49 :: v_dual_cndmask_b32 v49, 0, v49, s5
	v_cndmask_b32_e64 v34, v34, v47, s5
	ds_store_b32 v44, v49
	s_branch .LBB28_8
.LBB28_11:
	s_or_b32 exec_lo, exec_lo, s10
.LBB28_12:
	s_delay_alu instid0(SALU_CYCLE_1)
	s_or_b32 exec_lo, exec_lo, s25
	v_dual_max_num_f32 v5, v34, v34 :: v_dual_bitop2_b32 v2, 16, v40 bitop3:0x14
	s_clause 0x1
	s_load_b64 s[10:11], s[0:1], 0x0
	s_load_b64 s[18:19], s[0:1], 0x18
	v_xor_b32_e32 v4, 8, v40
	v_and_b32_e32 v50, 31, v0
	v_cmp_lt_i32_e32 vcc_lo, v2, v41
	v_cndmask_b32_e32 v2, v40, v2, vcc_lo
	s_delay_alu instid0(VALU_DEP_4) | instskip(NEXT) | instid1(VALU_DEP_2)
	v_cmp_lt_i32_e32 vcc_lo, v4, v41
	v_dual_lshlrev_b32 v2, 2, v2 :: v_dual_cndmask_b32 v4, v40, v4, vcc_lo
	ds_bpermute_b32 v3, v2, v34
	s_wait_dscnt 0x0
	v_dual_max_num_f32 v6, v3, v3 :: v_dual_lshlrev_b32 v3, 2, v4
	s_delay_alu instid0(VALU_DEP_1) | instskip(SKIP_4) | instid1(VALU_DEP_1)
	v_dual_max_num_f32 v5, v5, v6 :: v_dual_bitop2_b32 v6, 4, v40 bitop3:0x14
	ds_bpermute_b32 v4, v3, v5
	v_cmp_lt_i32_e32 vcc_lo, v6, v41
	s_wait_dscnt 0x0
	v_max_num_f32_e32 v7, v4, v4
	v_dual_cndmask_b32 v6, v40, v6 :: v_dual_max_num_f32 v5, v5, v7
	s_delay_alu instid0(VALU_DEP_1) | instskip(SKIP_3) | instid1(VALU_DEP_1)
	v_lshlrev_b32_e32 v4, 2, v6
	ds_bpermute_b32 v6, v4, v5
	s_wait_dscnt 0x0
	v_dual_max_num_f32 v6, v6, v6 :: v_dual_bitop2_b32 v7, 2, v40 bitop3:0x14
	v_cmp_lt_i32_e32 vcc_lo, v7, v41
	s_delay_alu instid0(VALU_DEP_2) | instskip(SKIP_2) | instid1(VALU_DEP_3)
	v_dual_max_num_f32 v6, v5, v6 :: v_dual_cndmask_b32 v7, v40, v7
	v_lshlrev_b32_e32 v5, 2, v1
	v_cmp_eq_u32_e32 vcc_lo, 0, v50
	v_lshlrev_b32_e32 v51, 2, v7
	ds_bpermute_b32 v7, v51, v6
	s_wait_xcnt 0x0
	s_and_saveexec_b32 s0, vcc_lo
	s_cbranch_execz .LBB28_14
; %bb.13:
	s_wait_dscnt 0x0
	v_dual_max_num_f32 v7, v7, v7 :: v_dual_max_num_f32 v6, v6, v6
	s_delay_alu instid0(VALU_DEP_1)
	v_max_num_f32_e32 v6, v6, v7
	ds_store_b32 v5, v6 offset:256
.LBB28_14:
	s_or_b32 exec_lo, exec_lo, s0
	v_cmp_gt_u32_e64 s0, 4, v50
	s_wait_dscnt 0x0
	v_dual_mov_b32 v7, 0xff7fffff :: v_dual_lshlrev_b32 v6, 2, v50
	s_barrier_signal -1
	s_barrier_wait -1
	s_and_saveexec_b32 s1, s0
; %bb.15:
	ds_load_b32 v7, v6 offset:256
; %bb.16:
	s_or_b32 exec_lo, exec_lo, s1
	s_wait_dscnt 0x0
	ds_bpermute_b32 v8, v51, v7
	v_dual_max_num_f32 v7, v7, v7 :: v_dual_bitop2_b32 v9, 1, v40 bitop3:0x14
	s_delay_alu instid0(VALU_DEP_1) | instskip(SKIP_2) | instid1(VALU_DEP_2)
	v_cmp_lt_i32_e64 s1, v9, v41
	s_wait_dscnt 0x0
	v_max_num_f32_e32 v8, v8, v8
	v_cndmask_b32_e64 v9, v40, v9, s1
	s_lshl_b32 s1, s8, 4
	s_delay_alu instid0(SALU_CYCLE_1) | instskip(NEXT) | instid1(VALU_DEP_1)
	s_min_i32 s5, s1, s23
	v_dual_max_num_f32 v7, v7, v8 :: v_dual_lshlrev_b32 v52, 2, v9
	v_cmp_gt_i32_e64 s1, s5, v0
	ds_bpermute_b32 v8, v52, v7
	s_wait_dscnt 0x0
	v_max_num_f32_e32 v8, v8, v8
	s_delay_alu instid0(VALU_DEP_1)
	v_dual_max_num_f32 v7, v7, v8 :: v_dual_lshlrev_b32 v8, 2, v35
	ds_bpermute_b32 v8, v8, v7
	v_mov_b32_e32 v7, 0
	s_and_saveexec_b32 s17, s1
	s_cbranch_execz .LBB28_20
; %bb.17:
	v_lshl_add_u32 v9, v0, 2, 0x120
	v_dual_mov_b32 v7, 0 :: v_dual_mov_b32 v10, v0
	s_mov_b32 s24, 0
.LBB28_18:                              ; =>This Inner Loop Header: Depth=1
	ds_load_b32 v11, v9
	v_add_nc_u32_e32 v10, 0x80, v10
	s_delay_alu instid0(VALU_DEP_1) | instskip(SKIP_3) | instid1(VALU_DEP_1)
	v_cmp_le_i32_e64 s4, s5, v10
	s_or_b32 s24, s4, s24
	s_wait_dscnt 0x0
	v_sub_f32_e32 v11, v11, v8
	v_mul_f32_e32 v11, 0x3fb8aa3b, v11
	s_delay_alu instid0(VALU_DEP_1)
	v_exp_f32_e32 v11, v11
	ds_store_b32 v9, v11
	v_nop
	v_add_f32_e32 v7, v7, v11
	v_add_nc_u32_e32 v9, 0x200, v9
	s_and_not1_b32 exec_lo, exec_lo, s24
	s_cbranch_execnz .LBB28_18
; %bb.19:
	s_or_b32 exec_lo, exec_lo, s24
.LBB28_20:
	s_delay_alu instid0(SALU_CYCLE_1)
	s_or_b32 exec_lo, exec_lo, s17
	ds_bpermute_b32 v2, v2, v7
	s_wait_dscnt 0x0
	v_add_f32_e32 v2, v7, v2
	ds_bpermute_b32 v3, v3, v2
	s_wait_dscnt 0x0
	v_add_f32_e32 v2, v2, v3
	;; [unrolled: 3-line block ×5, first 2 shown]
	s_and_saveexec_b32 s4, vcc_lo
; %bb.21:
	ds_store_b32 v5, v2 offset:272
; %bb.22:
	s_or_b32 exec_lo, exec_lo, s4
	s_wait_dscnt 0x0
	s_barrier_signal -1
	s_barrier_wait -1
	s_and_saveexec_b32 s4, s0
; %bb.23:
	ds_load_b32 v2, v6 offset:272
; %bb.24:
	s_or_b32 exec_lo, exec_lo, s4
	s_wait_dscnt 0x0
	ds_bpermute_b32 v3, v51, v2
	s_wait_dscnt 0x0
	v_dual_lshlrev_b32 v4, 2, v40 :: v_dual_add_f32 v2, v2, v3
	ds_bpermute_b32 v3, v52, v2
	s_wait_dscnt 0x0
	v_add_f32_e32 v2, v2, v3
	v_and_b32_e32 v3, 0xffffff80, v4
	ds_bpermute_b32 v2, v3, v2
	s_and_saveexec_b32 s0, s1
	s_cbranch_execz .LBB28_37
; %bb.25:
	s_wait_dscnt 0x0
	v_add_f32_e32 v2, 0x358637bd, v2
	s_mov_b32 s4, -1
	s_mov_b32 s1, exec_lo
	s_delay_alu instid0(VALU_DEP_1) | instskip(NEXT) | instid1(VALU_DEP_1)
	v_div_scale_f32 v3, null, v2, v2, 1.0
	v_rcp_f32_e32 v5, v3
	v_nop
	s_delay_alu instid0(TRANS32_DEP_1) | instskip(NEXT) | instid1(VALU_DEP_1)
	v_fma_f32 v4, -v3, v5, 1.0
	v_fmac_f32_e32 v5, v4, v5
	v_div_scale_f32 v6, vcc_lo, 1.0, v2, 1.0
	s_delay_alu instid0(VALU_DEP_1) | instskip(NEXT) | instid1(VALU_DEP_1)
	v_mul_f32_e32 v7, v6, v5
	v_fma_f32 v4, -v3, v7, v6
	s_delay_alu instid0(VALU_DEP_1) | instskip(SKIP_1) | instid1(VALU_DEP_2)
	v_fmac_f32_e32 v7, v4, v5
	v_xad_u32 v4, v0, -1, s5
	v_fma_f32 v3, -v3, v7, v6
	s_delay_alu instid0(VALU_DEP_1) | instskip(NEXT) | instid1(VALU_DEP_1)
	v_div_fmas_f32 v3, v3, v5, v7
	v_div_fixup_f32 v2, v3, v2, 1.0
	v_mov_b32_e32 v3, v0
	v_cmpx_lt_u32_e32 0x7f, v4
	s_cbranch_execz .LBB28_34
; %bb.26:
	s_delay_alu instid0(VALU_DEP_3) | instskip(NEXT) | instid1(VALU_DEP_1)
	v_dual_mov_b32 v3, v2 :: v_dual_lshrrev_b32 v4, 7, v4
	v_dual_mov_b32 v8, 0 :: v_dual_add_nc_u32 v5, -1, v4
	s_delay_alu instid0(VALU_DEP_1) | instskip(SKIP_1) | instid1(VALU_DEP_2)
	v_lshrrev_b32_e32 v6, 1, v5
	v_cmp_lt_u32_e32 vcc_lo, 13, v5
	v_add_nc_u32_e32 v5, 1, v6
	s_and_saveexec_b32 s4, vcc_lo
	s_cbranch_execz .LBB28_30
; %bb.27:
	s_delay_alu instid0(VALU_DEP_1)
	v_and_b32_e32 v6, -8, v5
	v_lshl_add_u32 v7, v0, 2, 0x120
	s_mov_b32 s17, 0
	s_mov_b32 s24, 0
.LBB28_28:                              ; =>This Inner Loop Header: Depth=1
	ds_load_2addr_stride64_b32 v[8:9], v7 offset1:2
	ds_load_2addr_stride64_b32 v[10:11], v7 offset0:4 offset1:6
	ds_load_2addr_stride64_b32 v[12:13], v7 offset0:8 offset1:10
	;; [unrolled: 1-line block ×7, first 2 shown]
	s_add_co_i32 s24, s24, 16
	v_add_nc_u32_e32 v6, -8, v6
	s_wait_dscnt 0x7
	v_pk_mul_f32 v[8:9], v[2:3], v[8:9]
	s_wait_dscnt 0x6
	v_pk_mul_f32 v[10:11], v[2:3], v[10:11]
	;; [unrolled: 2-line block ×8, first 2 shown]
	ds_store_2addr_stride64_b32 v7, v8, v9 offset1:2
	ds_store_2addr_stride64_b32 v7, v10, v11 offset0:4 offset1:6
	ds_store_2addr_stride64_b32 v7, v12, v13 offset0:8 offset1:10
	;; [unrolled: 1-line block ×7, first 2 shown]
	v_mov_b32_e32 v8, s24
	v_cmp_eq_u32_e32 vcc_lo, 0, v6
	v_add_nc_u32_e32 v7, 0x2000, v7
	s_or_b32 s17, vcc_lo, s17
	s_delay_alu instid0(SALU_CYCLE_1)
	s_and_not1_b32 exec_lo, exec_lo, s17
	s_cbranch_execnz .LBB28_28
; %bb.29:
	s_or_b32 exec_lo, exec_lo, s17
.LBB28_30:
	s_delay_alu instid0(SALU_CYCLE_1) | instskip(NEXT) | instid1(VALU_DEP_1)
	s_or_b32 exec_lo, exec_lo, s4
	v_and_b32_e32 v5, 7, v5
	s_mov_b32 s17, 0
	s_mov_b32 s4, exec_lo
	s_delay_alu instid0(VALU_DEP_1)
	v_cmpx_ne_u32_e32 0, v5
	s_cbranch_execz .LBB28_33
; %bb.31:
	v_lshlrev_b32_e32 v6, 9, v8
	s_delay_alu instid0(VALU_DEP_1)
	v_add3_u32 v6, v6, v46, 0x120
.LBB28_32:                              ; =>This Inner Loop Header: Depth=1
	ds_load_2addr_stride64_b32 v[8:9], v6 offset1:2
	v_add_nc_u32_e32 v5, -1, v5
	s_delay_alu instid0(VALU_DEP_1)
	v_cmp_eq_u32_e32 vcc_lo, 0, v5
	s_or_b32 s17, vcc_lo, s17
	s_wait_dscnt 0x0
	v_pk_mul_f32 v[8:9], v[2:3], v[8:9]
	ds_store_2addr_stride64_b32 v6, v8, v9 offset1:2
	v_add_nc_u32_e32 v6, 0x400, v6
	s_and_not1_b32 exec_lo, exec_lo, s17
	s_cbranch_execnz .LBB28_32
.LBB28_33:
	s_or_b32 exec_lo, exec_lo, s4
	v_add_nc_u32_e32 v3, 1, v4
	s_delay_alu instid0(VALU_DEP_1) | instskip(NEXT) | instid1(VALU_DEP_1)
	v_and_b32_e32 v4, 0x3fffffe, v3
	v_cmp_ne_u32_e32 vcc_lo, v3, v4
	v_lshl_add_u32 v3, v4, 7, v0
	s_or_not1_b32 s4, vcc_lo, exec_lo
.LBB28_34:
	s_or_b32 exec_lo, exec_lo, s1
	s_delay_alu instid0(SALU_CYCLE_1)
	s_and_b32 exec_lo, exec_lo, s4
	s_cbranch_execz .LBB28_37
; %bb.35:
	v_lshl_add_u32 v4, v3, 2, 0x120
	s_mov_b32 s1, 0
.LBB28_36:                              ; =>This Inner Loop Header: Depth=1
	ds_load_b32 v5, v4
	v_add_nc_u32_e32 v3, 0x80, v3
	s_delay_alu instid0(VALU_DEP_1)
	v_cmp_le_i32_e32 vcc_lo, s5, v3
	s_or_b32 s1, vcc_lo, s1
	s_wait_dscnt 0x0
	v_mul_f32_e32 v5, v2, v5
	ds_store_b32 v4, v5
	v_add_nc_u32_e32 v4, 0x200, v4
	s_and_not1_b32 exec_lo, exec_lo, s1
	s_cbranch_execnz .LBB28_36
.LBB28_37:
	s_or_b32 exec_lo, exec_lo, s0
	v_dual_mov_b32 v39, 0 :: v_dual_bitop2_b32 v53, 3, v0 bitop3:0x40
	v_dual_mov_b32 v38, 0 :: v_dual_mov_b32 v41, 0
	v_dual_mov_b32 v40, 0 :: v_dual_mov_b32 v43, 0
	;; [unrolled: 1-line block ×3, first 2 shown]
	v_mov_b32_e32 v44, 0
	s_wait_dscnt 0x0
	s_barrier_signal -1
	s_barrier_wait -1
	s_and_saveexec_b32 s1, s3
	s_cbranch_execz .LBB28_57
; %bb.38:
	v_dual_lshlrev_b32 v2, 4, v0 :: v_dual_bitop2_b32 v3, 12, v46 bitop3:0x40
	s_ashr_i32 s17, s16, 31
	v_dual_mov_b32 v39, 0 :: v_dual_lshlrev_b32 v4, 4, v53
	s_delay_alu instid0(VALU_DEP_2)
	v_and_b32_e32 v38, 0x1f0, v2
	s_lshl_b64 s[16:17], s[16:17], 2
	s_lshl_b64 s[12:13], s[12:13], 2
	s_wait_kmcnt 0x0
	s_add_nc_u64 s[16:17], s[18:19], s[16:17]
	v_lshl_or_b32 v2, v1, 6, v4
	v_add_nc_u64_e32 v[46:47], s[16:17], v[38:39]
	v_and_b32_e32 v38, 0x7c, v48
	s_add_nc_u64 s[12:13], s[14:15], s[12:13]
	v_lshl_or_b32 v54, v1, 4, v3
	v_add_nc_u32_e32 v55, 0x120, v2
	v_dual_mov_b32 v41, v39 :: v_dual_mov_b32 v40, v39
	v_add_nc_u64_e32 v[48:49], s[12:13], v[38:39]
	v_dual_mov_b32 v38, v39 :: v_dual_mov_b32 v43, v39
	v_dual_mov_b32 v42, v39 :: v_dual_mov_b32 v45, v39
	;; [unrolled: 1-line block ×3, first 2 shown]
	s_ashr_i32 s5, s9, 31
	s_mov_b32 s4, s9
	s_add_co_i32 s3, s8, -1
	s_mov_b32 s12, s23
	s_mov_b32 s9, 0
	s_branch .LBB28_40
.LBB28_39:                              ;   in Loop: Header=BB28_40 Depth=1
	s_or_b32 exec_lo, exec_lo, s0
	s_wait_loadcnt_dscnt 0x200
	v_mul_f32_e32 v26, v6, v26
	s_wait_loadcnt 0x1
	v_mul_f32_e32 v30, v6, v30
	v_add_nc_u64_e32 v[48:49], 16, v[48:49]
	v_add_nc_u32_e32 v54, 64, v54
	v_add_nc_u32_e32 v55, 0x100, v55
	v_fmac_f32_e32 v26, v7, v27
	v_dual_fmac_f32 v30, v7, v31 :: v_dual_mul_f32 v22, v6, v22
	v_mul_f32_e32 v14, v6, v14
	s_delay_alu instid0(VALU_DEP_3) | instskip(NEXT) | instid1(VALU_DEP_3)
	v_dual_mul_f32 v10, v6, v10 :: v_dual_fmac_f32 v26, v8, v28
	v_fmac_f32_e32 v30, v8, v32
	s_delay_alu instid0(VALU_DEP_4) | instskip(NEXT) | instid1(VALU_DEP_4)
	v_dual_fmac_f32 v22, v7, v23 :: v_dual_mul_f32 v23, v6, v18
	v_fmac_f32_e32 v14, v7, v15
	s_delay_alu instid0(VALU_DEP_4) | instskip(NEXT) | instid1(VALU_DEP_4)
	v_fmac_f32_e32 v26, v9, v29
	v_fmac_f32_e32 v30, v9, v33
	s_delay_alu instid0(VALU_DEP_4) | instskip(SKIP_3) | instid1(VALU_DEP_3)
	v_dual_fmac_f32 v22, v8, v24 :: v_dual_fmac_f32 v23, v7, v19
	v_mul_f32_e32 v24, v6, v2
	s_wait_loadcnt 0x0
	v_pk_mul_f32 v[18:19], v[6:7], v[34:35]
	v_dual_add_f32 v38, v38, v30 :: v_dual_fmac_f32 v22, v9, v25
	v_dual_fmac_f32 v23, v8, v20 :: v_dual_add_f32 v41, v41, v26
	v_fmac_f32_e32 v10, v7, v11
	s_delay_alu instid0(VALU_DEP_3) | instskip(SKIP_1) | instid1(VALU_DEP_4)
	v_dual_fmac_f32 v24, v7, v3 :: v_dual_add_f32 v40, v40, v22
	v_pk_mul_f32 v[2:3], v[8:9], v[36:37]
	v_dual_add_f32 v6, v19, v18 :: v_dual_fmac_f32 v23, v9, v21
	v_fmac_f32_e32 v14, v8, v16
	v_fmac_f32_e32 v10, v8, v12
	s_delay_alu instid0(VALU_DEP_3) | instskip(NEXT) | instid1(VALU_DEP_3)
	v_dual_add_nc_u32 v56, 4, v56 :: v_dual_add_f32 v2, v2, v6
	v_dual_fmac_f32 v24, v8, v4 :: v_dual_fmac_f32 v14, v9, v17
	s_delay_alu instid0(VALU_DEP_3) | instskip(NEXT) | instid1(VALU_DEP_2)
	v_dual_add_f32 v43, v43, v23 :: v_dual_fmac_f32 v10, v9, v13
	v_dual_add_f32 v2, v3, v2 :: v_dual_fmac_f32 v24, v9, v5
	s_delay_alu instid0(VALU_DEP_4) | instskip(NEXT) | instid1(VALU_DEP_4)
	v_cmp_le_i32_e32 vcc_lo, s8, v56
	v_add_f32_e32 v42, v42, v14
	s_delay_alu instid0(VALU_DEP_4) | instskip(NEXT) | instid1(VALU_DEP_4)
	v_add_f32_e32 v45, v45, v10
	v_dual_add_f32 v39, v39, v2 :: v_dual_add_f32 v44, v44, v24
	s_or_b32 s9, vcc_lo, s9
	s_delay_alu instid0(SALU_CYCLE_1)
	s_and_not1_b32 exec_lo, exec_lo, s9
	s_cbranch_execz .LBB28_56
.LBB28_40:                              ; =>This Inner Loop Header: Depth=1
	global_load_b32 v2, v[48:49], off
	ds_load_b128 v[6:9], v55
	v_cmp_eq_u32_e32 vcc_lo, s3, v56
	v_dual_add_nc_u32 v59, 1, v54 :: v_dual_bitop2_b32 v58, 3, v54 bitop3:0x54
	v_or_b32_e32 v57, 2, v54
	s_wait_loadcnt 0x0
	v_ashrrev_i32_e32 v3, 31, v2
	s_delay_alu instid0(VALU_DEP_1) | instskip(NEXT) | instid1(VALU_DEP_1)
	v_mul_u64_e32 v[2:3], s[4:5], v[2:3]
	v_lshl_add_u64 v[34:35], v[2:3], 2, v[46:47]
	global_load_b128 v[2:5], v[34:35], off
	s_wait_xcnt 0x0
	s_and_saveexec_b32 s13, vcc_lo
	s_cbranch_execnz .LBB28_48
; %bb.41:                               ;   in Loop: Header=BB28_40 Depth=1
	s_or_b32 exec_lo, exec_lo, s13
	global_load_b128 v[10:13], v[34:35], off offset:512
	s_wait_xcnt 0x0
	s_and_saveexec_b32 s13, vcc_lo
	s_cbranch_execnz .LBB28_49
.LBB28_42:                              ;   in Loop: Header=BB28_40 Depth=1
	s_or_b32 exec_lo, exec_lo, s13
	global_load_b128 v[14:17], v[34:35], off offset:1024
	s_wait_xcnt 0x0
	s_and_saveexec_b32 s13, vcc_lo
	s_cbranch_execnz .LBB28_50
.LBB28_43:                              ;   in Loop: Header=BB28_40 Depth=1
	s_or_b32 exec_lo, exec_lo, s13
	global_load_b128 v[18:21], v[34:35], off offset:1536
	s_wait_xcnt 0x0
	s_and_saveexec_b32 s13, vcc_lo
	s_cbranch_execnz .LBB28_51
.LBB28_44:                              ;   in Loop: Header=BB28_40 Depth=1
	s_or_b32 exec_lo, exec_lo, s13
	global_load_b128 v[22:25], v[34:35], off offset:2048
	s_wait_xcnt 0x0
	s_and_saveexec_b32 s13, vcc_lo
	s_cbranch_execnz .LBB28_52
.LBB28_45:                              ;   in Loop: Header=BB28_40 Depth=1
	s_or_b32 exec_lo, exec_lo, s13
	global_load_b128 v[26:29], v[34:35], off offset:2560
	s_wait_xcnt 0x0
	s_and_saveexec_b32 s13, vcc_lo
	s_cbranch_execnz .LBB28_53
.LBB28_46:                              ;   in Loop: Header=BB28_40 Depth=1
	s_or_b32 exec_lo, exec_lo, s13
	global_load_b128 v[30:33], v[34:35], off offset:3072
	s_wait_xcnt 0x0
	s_and_saveexec_b32 s13, vcc_lo
	s_cbranch_execnz .LBB28_54
.LBB28_47:                              ;   in Loop: Header=BB28_40 Depth=1
	s_or_b32 exec_lo, exec_lo, s13
	global_load_b128 v[34:37], v[34:35], off offset:3584
	s_wait_xcnt 0x0
	s_and_saveexec_b32 s0, vcc_lo
	s_cbranch_execz .LBB28_39
	s_branch .LBB28_55
.LBB28_48:                              ;   in Loop: Header=BB28_40 Depth=1
	v_cmp_gt_i32_e64 s0, s12, v59
	s_wait_loadcnt 0x0
	s_delay_alu instid0(VALU_DEP_1) | instskip(SKIP_1) | instid1(VALU_DEP_1)
	v_cndmask_b32_e64 v3, 0, v3, s0
	v_cmp_gt_i32_e64 s0, s23, v54
	v_cndmask_b32_e64 v2, 0, v2, s0
	v_cmp_gt_i32_e64 s0, s12, v58
	s_delay_alu instid0(VALU_DEP_1) | instskip(SKIP_1) | instid1(VALU_DEP_1)
	v_cndmask_b32_e64 v5, 0, v5, s0
	v_cmp_gt_i32_e64 s0, s23, v57
	v_cndmask_b32_e64 v4, 0, v4, s0
	s_or_b32 exec_lo, exec_lo, s13
	global_load_b128 v[10:13], v[34:35], off offset:512
	s_wait_xcnt 0x0
	s_and_saveexec_b32 s13, vcc_lo
	s_cbranch_execz .LBB28_42
.LBB28_49:                              ;   in Loop: Header=BB28_40 Depth=1
	v_cmp_gt_i32_e64 s0, s12, v59
	s_wait_loadcnt 0x0
	s_delay_alu instid0(VALU_DEP_1) | instskip(SKIP_1) | instid1(VALU_DEP_1)
	v_cndmask_b32_e64 v11, 0, v11, s0
	v_cmp_gt_i32_e64 s0, s23, v54
	v_cndmask_b32_e64 v10, 0, v10, s0
	v_cmp_gt_i32_e64 s0, s12, v58
	s_delay_alu instid0(VALU_DEP_1) | instskip(SKIP_1) | instid1(VALU_DEP_1)
	v_cndmask_b32_e64 v13, 0, v13, s0
	v_cmp_gt_i32_e64 s0, s23, v57
	v_cndmask_b32_e64 v12, 0, v12, s0
	s_or_b32 exec_lo, exec_lo, s13
	global_load_b128 v[14:17], v[34:35], off offset:1024
	s_wait_xcnt 0x0
	s_and_saveexec_b32 s13, vcc_lo
	s_cbranch_execz .LBB28_43
.LBB28_50:                              ;   in Loop: Header=BB28_40 Depth=1
	v_cmp_gt_i32_e64 s0, s12, v59
	s_wait_loadcnt 0x0
	s_delay_alu instid0(VALU_DEP_1) | instskip(SKIP_1) | instid1(VALU_DEP_1)
	v_cndmask_b32_e64 v15, 0, v15, s0
	v_cmp_gt_i32_e64 s0, s23, v54
	v_cndmask_b32_e64 v14, 0, v14, s0
	v_cmp_gt_i32_e64 s0, s12, v58
	s_delay_alu instid0(VALU_DEP_1) | instskip(SKIP_1) | instid1(VALU_DEP_1)
	v_cndmask_b32_e64 v17, 0, v17, s0
	v_cmp_gt_i32_e64 s0, s23, v57
	v_cndmask_b32_e64 v16, 0, v16, s0
	s_or_b32 exec_lo, exec_lo, s13
	global_load_b128 v[18:21], v[34:35], off offset:1536
	s_wait_xcnt 0x0
	s_and_saveexec_b32 s13, vcc_lo
	s_cbranch_execz .LBB28_44
.LBB28_51:                              ;   in Loop: Header=BB28_40 Depth=1
	v_cmp_gt_i32_e64 s0, s12, v59
	s_wait_loadcnt 0x0
	s_delay_alu instid0(VALU_DEP_1) | instskip(SKIP_1) | instid1(VALU_DEP_1)
	v_cndmask_b32_e64 v19, 0, v19, s0
	v_cmp_gt_i32_e64 s0, s23, v54
	v_cndmask_b32_e64 v18, 0, v18, s0
	v_cmp_gt_i32_e64 s0, s12, v58
	s_delay_alu instid0(VALU_DEP_1) | instskip(SKIP_1) | instid1(VALU_DEP_1)
	v_cndmask_b32_e64 v21, 0, v21, s0
	v_cmp_gt_i32_e64 s0, s23, v57
	v_cndmask_b32_e64 v20, 0, v20, s0
	s_or_b32 exec_lo, exec_lo, s13
	global_load_b128 v[22:25], v[34:35], off offset:2048
	s_wait_xcnt 0x0
	s_and_saveexec_b32 s13, vcc_lo
	s_cbranch_execz .LBB28_45
.LBB28_52:                              ;   in Loop: Header=BB28_40 Depth=1
	v_cmp_gt_i32_e64 s0, s12, v59
	s_wait_loadcnt 0x0
	s_delay_alu instid0(VALU_DEP_1) | instskip(SKIP_1) | instid1(VALU_DEP_1)
	v_cndmask_b32_e64 v23, 0, v23, s0
	v_cmp_gt_i32_e64 s0, s23, v54
	v_cndmask_b32_e64 v22, 0, v22, s0
	v_cmp_gt_i32_e64 s0, s12, v58
	s_delay_alu instid0(VALU_DEP_1) | instskip(SKIP_1) | instid1(VALU_DEP_1)
	v_cndmask_b32_e64 v25, 0, v25, s0
	v_cmp_gt_i32_e64 s0, s23, v57
	v_cndmask_b32_e64 v24, 0, v24, s0
	s_or_b32 exec_lo, exec_lo, s13
	global_load_b128 v[26:29], v[34:35], off offset:2560
	s_wait_xcnt 0x0
	s_and_saveexec_b32 s13, vcc_lo
	s_cbranch_execz .LBB28_46
.LBB28_53:                              ;   in Loop: Header=BB28_40 Depth=1
	v_cmp_gt_i32_e64 s0, s12, v59
	s_wait_loadcnt 0x0
	s_delay_alu instid0(VALU_DEP_1) | instskip(SKIP_1) | instid1(VALU_DEP_1)
	v_cndmask_b32_e64 v27, 0, v27, s0
	v_cmp_gt_i32_e64 s0, s23, v54
	v_cndmask_b32_e64 v26, 0, v26, s0
	v_cmp_gt_i32_e64 s0, s12, v58
	s_delay_alu instid0(VALU_DEP_1) | instskip(SKIP_1) | instid1(VALU_DEP_1)
	v_cndmask_b32_e64 v29, 0, v29, s0
	v_cmp_gt_i32_e64 s0, s23, v57
	v_cndmask_b32_e64 v28, 0, v28, s0
	s_or_b32 exec_lo, exec_lo, s13
	global_load_b128 v[30:33], v[34:35], off offset:3072
	s_wait_xcnt 0x0
	s_and_saveexec_b32 s13, vcc_lo
	s_cbranch_execz .LBB28_47
.LBB28_54:                              ;   in Loop: Header=BB28_40 Depth=1
	v_cmp_gt_i32_e64 s0, s12, v59
	s_wait_loadcnt 0x0
	s_delay_alu instid0(VALU_DEP_1) | instskip(SKIP_1) | instid1(VALU_DEP_1)
	v_cndmask_b32_e64 v31, 0, v31, s0
	v_cmp_gt_i32_e64 s0, s23, v54
	v_cndmask_b32_e64 v30, 0, v30, s0
	v_cmp_gt_i32_e64 s0, s12, v58
	s_delay_alu instid0(VALU_DEP_1) | instskip(SKIP_1) | instid1(VALU_DEP_1)
	v_cndmask_b32_e64 v33, 0, v33, s0
	v_cmp_gt_i32_e64 s0, s23, v57
	v_cndmask_b32_e64 v32, 0, v32, s0
	s_or_b32 exec_lo, exec_lo, s13
	global_load_b128 v[34:37], v[34:35], off offset:3584
	s_wait_xcnt 0x0
	s_and_saveexec_b32 s0, vcc_lo
	s_cbranch_execz .LBB28_39
.LBB28_55:                              ;   in Loop: Header=BB28_40 Depth=1
	v_cmp_gt_i32_e32 vcc_lo, s12, v59
	s_wait_loadcnt 0x0
	v_cndmask_b32_e32 v35, 0, v35, vcc_lo
	v_cmp_gt_i32_e32 vcc_lo, s23, v54
	v_cndmask_b32_e32 v34, 0, v34, vcc_lo
	v_cmp_gt_i32_e32 vcc_lo, s12, v58
	;; [unrolled: 2-line block ×3, first 2 shown]
	v_cndmask_b32_e32 v36, 0, v36, vcc_lo
	s_branch .LBB28_39
.LBB28_56:
	s_or_b32 exec_lo, exec_lo, s9
.LBB28_57:
	s_delay_alu instid0(SALU_CYCLE_1)
	s_or_b32 exec_lo, exec_lo, s1
	ds_bpermute_b32 v2, v51, v44
	ds_bpermute_b32 v3, v51, v45
	;; [unrolled: 1-line block ×8, first 2 shown]
	v_and_b32_e32 v13, 0x3c3, v0
	s_mov_b32 s0, exec_lo
	v_and_b32_e32 v12, 28, v50
	s_wait_dscnt 0x0
	s_barrier_signal -1
	s_barrier_wait -1
	v_pk_add_f32 v[2:3], v[44:45], v[2:3]
	v_pk_add_f32 v[4:5], v[42:43], v[4:5]
	;; [unrolled: 1-line block ×3, first 2 shown]
	ds_bpermute_b32 v6, v52, v2
	v_pk_add_f32 v[8:9], v[38:39], v[8:9]
	ds_bpermute_b32 v7, v52, v3
	ds_bpermute_b32 v16, v52, v4
	;; [unrolled: 1-line block ×7, first 2 shown]
	s_wait_dscnt 0x6
	v_pk_add_f32 v[6:7], v[2:3], v[6:7]
	s_wait_dscnt 0x4
	v_pk_add_f32 v[4:5], v[4:5], v[16:17]
	;; [unrolled: 2-line block ×3, first 2 shown]
	v_cmpx_ne_u32_e32 64, v13
	s_xor_b32 s0, exec_lo, s0
	s_delay_alu instid0(SALU_CYCLE_1)
	s_or_saveexec_b32 s0, s0
	s_wait_dscnt 0x0
	v_pk_add_f32 v[8:9], v[8:9], v[10:11]
	v_dual_lshrrev_b32 v11, 2, v50 :: v_dual_lshlrev_b32 v1, 8, v1
	v_add_nc_u32_e32 v10, 0x120, v12
	s_xor_b32 exec_lo, exec_lo, s0
	s_cbranch_execz .LBB28_59
; %bb.58:
	s_delay_alu instid0(VALU_DEP_1) | instskip(NEXT) | instid1(VALU_DEP_1)
	v_add_nc_u32_e32 v12, v10, v1
	v_add_nc_u32_e32 v13, 0xfffffe00, v12
	;; [unrolled: 1-line block ×9, first 2 shown]
	ds_store_b32 v13, v6
	ds_store_b32 v14, v7
	;; [unrolled: 1-line block ×8, first 2 shown]
.LBB28_59:
	s_or_b32 exec_lo, exec_lo, s0
	v_lshlrev_b32_e32 v11, 2, v11
	s_mov_b32 s1, exec_lo
	v_cmp_eq_u32_e32 vcc_lo, 0, v53
	s_wait_dscnt 0x0
	s_barrier_signal -1
	v_add3_u32 v1, 0x120, v1, v11
	s_barrier_wait -1
	v_cmpx_gt_u32_e32 64, v0
	s_cbranch_execz .LBB28_70
; %bb.60:
	s_and_saveexec_b32 s0, vcc_lo
	s_cbranch_execnz .LBB28_86
; %bb.61:
	s_or_b32 exec_lo, exec_lo, s0
	s_and_saveexec_b32 s0, vcc_lo
	s_cbranch_execnz .LBB28_87
.LBB28_62:
	s_or_b32 exec_lo, exec_lo, s0
	s_and_saveexec_b32 s0, vcc_lo
	s_cbranch_execnz .LBB28_88
.LBB28_63:
	s_or_b32 exec_lo, exec_lo, s0
	s_and_saveexec_b32 s0, vcc_lo
	s_cbranch_execnz .LBB28_89
.LBB28_64:
	s_or_b32 exec_lo, exec_lo, s0
	s_and_saveexec_b32 s0, vcc_lo
	s_cbranch_execnz .LBB28_90
.LBB28_65:
	s_or_b32 exec_lo, exec_lo, s0
	s_and_saveexec_b32 s0, vcc_lo
	s_cbranch_execnz .LBB28_91
.LBB28_66:
	s_or_b32 exec_lo, exec_lo, s0
	s_and_saveexec_b32 s0, vcc_lo
	s_cbranch_execnz .LBB28_92
.LBB28_67:
	s_or_b32 exec_lo, exec_lo, s0
	s_and_saveexec_b32 s0, vcc_lo
	s_cbranch_execz .LBB28_69
.LBB28_68:
	ds_load_b32 v11, v1 offset:224
	s_wait_dscnt 0x0
	v_add_f32_e32 v9, v9, v11
.LBB28_69:
	s_or_b32 exec_lo, exec_lo, s0
.LBB28_70:
	s_delay_alu instid0(SALU_CYCLE_1) | instskip(SKIP_4) | instid1(VALU_DEP_1)
	s_or_b32 exec_lo, exec_lo, s1
	v_and_b32_e32 v11, 0x3e3, v0
	s_mov_b32 s1, exec_lo
	s_barrier_signal -1
	s_barrier_wait -1
	v_cmpx_eq_u32_e32 32, v11
	s_cbranch_execz .LBB28_72
; %bb.71:
	ds_store_2addr_b32 v10, v6, v7 offset1:8
	ds_store_2addr_b32 v10, v4, v5 offset0:16 offset1:24
	ds_store_2addr_b32 v10, v2, v3 offset0:32 offset1:40
	;; [unrolled: 1-line block ×3, first 2 shown]
.LBB28_72:
	s_or_b32 exec_lo, exec_lo, s1
	s_wait_dscnt 0x0
	s_barrier_signal -1
	s_barrier_wait -1
	s_and_saveexec_b32 s0, s2
	s_cbranch_execz .LBB28_83
; %bb.73:
	s_and_saveexec_b32 s1, vcc_lo
	s_cbranch_execnz .LBB28_93
; %bb.74:
	s_or_b32 exec_lo, exec_lo, s1
	s_and_saveexec_b32 s1, vcc_lo
	s_cbranch_execnz .LBB28_94
.LBB28_75:
	s_or_b32 exec_lo, exec_lo, s1
	s_and_saveexec_b32 s1, vcc_lo
	s_cbranch_execnz .LBB28_95
.LBB28_76:
	s_or_b32 exec_lo, exec_lo, s1
	s_and_saveexec_b32 s1, vcc_lo
	s_cbranch_execnz .LBB28_96
.LBB28_77:
	s_or_b32 exec_lo, exec_lo, s1
	s_and_saveexec_b32 s1, vcc_lo
	s_cbranch_execnz .LBB28_97
.LBB28_78:
	s_or_b32 exec_lo, exec_lo, s1
	s_and_saveexec_b32 s1, vcc_lo
	s_cbranch_execnz .LBB28_98
.LBB28_79:
	s_or_b32 exec_lo, exec_lo, s1
	s_and_saveexec_b32 s1, vcc_lo
	s_cbranch_execnz .LBB28_99
.LBB28_80:
	s_or_b32 exec_lo, exec_lo, s1
	s_and_saveexec_b32 s1, vcc_lo
	s_cbranch_execz .LBB28_82
.LBB28_81:
	ds_load_b32 v1, v1 offset:224
	s_wait_dscnt 0x0
	v_add_f32_e32 v9, v9, v1
.LBB28_82:
	s_or_b32 exec_lo, exec_lo, s1
.LBB28_83:
	s_delay_alu instid0(SALU_CYCLE_1)
	s_or_b32 exec_lo, exec_lo, s0
	s_mov_b32 s1, 0
	s_barrier_signal -1
	s_barrier_wait -1
	s_mov_b32 s0, exec_lo
	v_cmpx_eq_u32_e32 0, v11
	s_cbranch_execz .LBB28_85
; %bb.84:
	s_wait_kmcnt 0x0
	s_mul_i32 s0, s22, s7
	s_mul_i32 s2, s7, s6
	;; [unrolled: 1-line block ×3, first 2 shown]
	s_lshr_b32 s6, ttmp7, 16
	s_lshl_b32 s4, s0, 6
	s_bfe_u32 s0, ttmp6, 0x40014
	s_ashr_i32 s5, s4, 31
	s_add_co_i32 s0, s0, 1
	s_ashr_i32 s3, s2, 31
	s_mul_i32 s0, s6, s0
	s_bfe_u32 s7, ttmp6, 0x40008
	s_lshl_b64 s[4:5], s[4:5], 2
	s_lshl_b64 s[2:3], s[2:3], 2
	s_add_co_i32 s7, s7, s0
	s_cmp_eq_u32 s20, 0
	s_add_nc_u64 s[4:5], s[10:11], s[4:5]
	s_cselect_b32 s0, s6, s7
	s_add_nc_u64 s[2:3], s[4:5], s[2:3]
	s_lshl_b32 s0, s0, 8
	s_delay_alu instid0(SALU_CYCLE_1)
	s_add_nc_u64 s[0:1], s[2:3], s[0:1]
	s_clause 0x7
	global_store_b32 v0, v6, s[0:1]
	global_store_b32 v0, v7, s[0:1] offset:32
	global_store_b32 v0, v4, s[0:1] offset:64
	;; [unrolled: 1-line block ×7, first 2 shown]
.LBB28_85:
	s_sendmsg sendmsg(MSG_DEALLOC_VGPRS)
	s_endpgm
.LBB28_86:
	ds_load_b32 v11, v1
	s_wait_dscnt 0x0
	v_add_f32_e32 v6, v6, v11
	s_or_b32 exec_lo, exec_lo, s0
	s_and_saveexec_b32 s0, vcc_lo
	s_cbranch_execz .LBB28_62
.LBB28_87:
	ds_load_b32 v11, v1 offset:32
	s_wait_dscnt 0x0
	v_add_f32_e32 v7, v7, v11
	s_or_b32 exec_lo, exec_lo, s0
	s_and_saveexec_b32 s0, vcc_lo
	s_cbranch_execz .LBB28_63
.LBB28_88:
	ds_load_b32 v11, v1 offset:64
	s_wait_dscnt 0x0
	v_add_f32_e32 v4, v4, v11
	s_or_b32 exec_lo, exec_lo, s0
	s_and_saveexec_b32 s0, vcc_lo
	s_cbranch_execz .LBB28_64
.LBB28_89:
	ds_load_b32 v11, v1 offset:96
	s_wait_dscnt 0x0
	v_add_f32_e32 v5, v5, v11
	s_or_b32 exec_lo, exec_lo, s0
	s_and_saveexec_b32 s0, vcc_lo
	s_cbranch_execz .LBB28_65
.LBB28_90:
	ds_load_b32 v11, v1 offset:128
	s_wait_dscnt 0x0
	v_add_f32_e32 v2, v2, v11
	s_or_b32 exec_lo, exec_lo, s0
	s_and_saveexec_b32 s0, vcc_lo
	s_cbranch_execz .LBB28_66
.LBB28_91:
	ds_load_b32 v11, v1 offset:160
	s_wait_dscnt 0x0
	v_add_f32_e32 v3, v3, v11
	s_or_b32 exec_lo, exec_lo, s0
	s_and_saveexec_b32 s0, vcc_lo
	s_cbranch_execz .LBB28_67
.LBB28_92:
	ds_load_b32 v11, v1 offset:192
	s_wait_dscnt 0x0
	v_add_f32_e32 v8, v8, v11
	s_or_b32 exec_lo, exec_lo, s0
	s_and_saveexec_b32 s0, vcc_lo
	s_cbranch_execnz .LBB28_68
	s_branch .LBB28_69
.LBB28_93:
	ds_load_b32 v10, v1
	s_wait_dscnt 0x0
	v_add_f32_e32 v6, v6, v10
	s_or_b32 exec_lo, exec_lo, s1
	s_and_saveexec_b32 s1, vcc_lo
	s_cbranch_execz .LBB28_75
.LBB28_94:
	ds_load_b32 v10, v1 offset:32
	s_wait_dscnt 0x0
	v_add_f32_e32 v7, v7, v10
	s_or_b32 exec_lo, exec_lo, s1
	s_and_saveexec_b32 s1, vcc_lo
	s_cbranch_execz .LBB28_76
.LBB28_95:
	ds_load_b32 v10, v1 offset:64
	s_wait_dscnt 0x0
	v_add_f32_e32 v4, v4, v10
	s_or_b32 exec_lo, exec_lo, s1
	s_and_saveexec_b32 s1, vcc_lo
	s_cbranch_execz .LBB28_77
.LBB28_96:
	ds_load_b32 v10, v1 offset:96
	s_wait_dscnt 0x0
	v_add_f32_e32 v5, v5, v10
	s_or_b32 exec_lo, exec_lo, s1
	s_and_saveexec_b32 s1, vcc_lo
	s_cbranch_execz .LBB28_78
.LBB28_97:
	ds_load_b32 v10, v1 offset:128
	s_wait_dscnt 0x0
	v_add_f32_e32 v2, v2, v10
	s_or_b32 exec_lo, exec_lo, s1
	s_and_saveexec_b32 s1, vcc_lo
	s_cbranch_execz .LBB28_79
.LBB28_98:
	ds_load_b32 v10, v1 offset:160
	s_wait_dscnt 0x0
	v_add_f32_e32 v3, v3, v10
	s_or_b32 exec_lo, exec_lo, s1
	s_and_saveexec_b32 s1, vcc_lo
	s_cbranch_execz .LBB28_80
.LBB28_99:
	ds_load_b32 v10, v1 offset:192
	s_wait_dscnt 0x0
	v_add_f32_e32 v8, v8, v10
	s_or_b32 exec_lo, exec_lo, s1
	s_and_saveexec_b32 s1, vcc_lo
	s_cbranch_execnz .LBB28_81
	s_branch .LBB28_82
	.section	.rodata,"a",@progbits
	.p2align	6, 0x0
	.amdhsa_kernel _ZN4vllm25paged_attention_v1_kernelIffLi64ELi16ELi128ELNS_18Fp8KVCacheDataTypeE0ELb0EEEvPT_PKS2_PKT0_S8_ifPKiSA_iPKfiiiSC_SC_iiiii
		.amdhsa_group_segment_fixed_size 288
		.amdhsa_private_segment_fixed_size 0
		.amdhsa_kernarg_size 384
		.amdhsa_user_sgpr_count 2
		.amdhsa_user_sgpr_dispatch_ptr 0
		.amdhsa_user_sgpr_queue_ptr 0
		.amdhsa_user_sgpr_kernarg_segment_ptr 1
		.amdhsa_user_sgpr_dispatch_id 0
		.amdhsa_user_sgpr_kernarg_preload_length 0
		.amdhsa_user_sgpr_kernarg_preload_offset 0
		.amdhsa_user_sgpr_private_segment_size 0
		.amdhsa_wavefront_size32 1
		.amdhsa_uses_dynamic_stack 0
		.amdhsa_enable_private_segment 0
		.amdhsa_system_sgpr_workgroup_id_x 1
		.amdhsa_system_sgpr_workgroup_id_y 1
		.amdhsa_system_sgpr_workgroup_id_z 1
		.amdhsa_system_sgpr_workgroup_info 0
		.amdhsa_system_vgpr_workitem_id 0
		.amdhsa_next_free_vgpr 82
		.amdhsa_next_free_sgpr 28
		.amdhsa_named_barrier_count 0
		.amdhsa_reserve_vcc 1
		.amdhsa_float_round_mode_32 0
		.amdhsa_float_round_mode_16_64 0
		.amdhsa_float_denorm_mode_32 3
		.amdhsa_float_denorm_mode_16_64 3
		.amdhsa_fp16_overflow 0
		.amdhsa_memory_ordered 1
		.amdhsa_forward_progress 1
		.amdhsa_inst_pref_size 48
		.amdhsa_round_robin_scheduling 0
		.amdhsa_exception_fp_ieee_invalid_op 0
		.amdhsa_exception_fp_denorm_src 0
		.amdhsa_exception_fp_ieee_div_zero 0
		.amdhsa_exception_fp_ieee_overflow 0
		.amdhsa_exception_fp_ieee_underflow 0
		.amdhsa_exception_fp_ieee_inexact 0
		.amdhsa_exception_int_div_zero 0
	.end_amdhsa_kernel
	.section	.text._ZN4vllm25paged_attention_v1_kernelIffLi64ELi16ELi128ELNS_18Fp8KVCacheDataTypeE0ELb0EEEvPT_PKS2_PKT0_S8_ifPKiSA_iPKfiiiSC_SC_iiiii,"axG",@progbits,_ZN4vllm25paged_attention_v1_kernelIffLi64ELi16ELi128ELNS_18Fp8KVCacheDataTypeE0ELb0EEEvPT_PKS2_PKT0_S8_ifPKiSA_iPKfiiiSC_SC_iiiii,comdat
.Lfunc_end28:
	.size	_ZN4vllm25paged_attention_v1_kernelIffLi64ELi16ELi128ELNS_18Fp8KVCacheDataTypeE0ELb0EEEvPT_PKS2_PKT0_S8_ifPKiSA_iPKfiiiSC_SC_iiiii, .Lfunc_end28-_ZN4vllm25paged_attention_v1_kernelIffLi64ELi16ELi128ELNS_18Fp8KVCacheDataTypeE0ELb0EEEvPT_PKS2_PKT0_S8_ifPKiSA_iPKfiiiSC_SC_iiiii
                                        ; -- End function
	.set _ZN4vllm25paged_attention_v1_kernelIffLi64ELi16ELi128ELNS_18Fp8KVCacheDataTypeE0ELb0EEEvPT_PKS2_PKT0_S8_ifPKiSA_iPKfiiiSC_SC_iiiii.num_vgpr, 82
	.set _ZN4vllm25paged_attention_v1_kernelIffLi64ELi16ELi128ELNS_18Fp8KVCacheDataTypeE0ELb0EEEvPT_PKS2_PKT0_S8_ifPKiSA_iPKfiiiSC_SC_iiiii.num_agpr, 0
	.set _ZN4vllm25paged_attention_v1_kernelIffLi64ELi16ELi128ELNS_18Fp8KVCacheDataTypeE0ELb0EEEvPT_PKS2_PKT0_S8_ifPKiSA_iPKfiiiSC_SC_iiiii.numbered_sgpr, 28
	.set _ZN4vllm25paged_attention_v1_kernelIffLi64ELi16ELi128ELNS_18Fp8KVCacheDataTypeE0ELb0EEEvPT_PKS2_PKT0_S8_ifPKiSA_iPKfiiiSC_SC_iiiii.num_named_barrier, 0
	.set _ZN4vllm25paged_attention_v1_kernelIffLi64ELi16ELi128ELNS_18Fp8KVCacheDataTypeE0ELb0EEEvPT_PKS2_PKT0_S8_ifPKiSA_iPKfiiiSC_SC_iiiii.private_seg_size, 0
	.set _ZN4vllm25paged_attention_v1_kernelIffLi64ELi16ELi128ELNS_18Fp8KVCacheDataTypeE0ELb0EEEvPT_PKS2_PKT0_S8_ifPKiSA_iPKfiiiSC_SC_iiiii.uses_vcc, 1
	.set _ZN4vllm25paged_attention_v1_kernelIffLi64ELi16ELi128ELNS_18Fp8KVCacheDataTypeE0ELb0EEEvPT_PKS2_PKT0_S8_ifPKiSA_iPKfiiiSC_SC_iiiii.uses_flat_scratch, 0
	.set _ZN4vllm25paged_attention_v1_kernelIffLi64ELi16ELi128ELNS_18Fp8KVCacheDataTypeE0ELb0EEEvPT_PKS2_PKT0_S8_ifPKiSA_iPKfiiiSC_SC_iiiii.has_dyn_sized_stack, 0
	.set _ZN4vllm25paged_attention_v1_kernelIffLi64ELi16ELi128ELNS_18Fp8KVCacheDataTypeE0ELb0EEEvPT_PKS2_PKT0_S8_ifPKiSA_iPKfiiiSC_SC_iiiii.has_recursion, 0
	.set _ZN4vllm25paged_attention_v1_kernelIffLi64ELi16ELi128ELNS_18Fp8KVCacheDataTypeE0ELb0EEEvPT_PKS2_PKT0_S8_ifPKiSA_iPKfiiiSC_SC_iiiii.has_indirect_call, 0
	.section	.AMDGPU.csdata,"",@progbits
; Kernel info:
; codeLenInByte = 6124
; TotalNumSgprs: 30
; NumVgprs: 82
; ScratchSize: 0
; MemoryBound: 0
; FloatMode: 240
; IeeeMode: 1
; LDSByteSize: 288 bytes/workgroup (compile time only)
; SGPRBlocks: 0
; VGPRBlocks: 5
; NumSGPRsForWavesPerEU: 30
; NumVGPRsForWavesPerEU: 82
; NamedBarCnt: 0
; Occupancy: 10
; WaveLimiterHint : 1
; COMPUTE_PGM_RSRC2:SCRATCH_EN: 0
; COMPUTE_PGM_RSRC2:USER_SGPR: 2
; COMPUTE_PGM_RSRC2:TRAP_HANDLER: 0
; COMPUTE_PGM_RSRC2:TGID_X_EN: 1
; COMPUTE_PGM_RSRC2:TGID_Y_EN: 1
; COMPUTE_PGM_RSRC2:TGID_Z_EN: 1
; COMPUTE_PGM_RSRC2:TIDIG_COMP_CNT: 0
	.section	.text._ZN4vllm25paged_attention_v1_kernelIffLi80ELi16ELi128ELNS_18Fp8KVCacheDataTypeE0ELb0EEEvPT_PKS2_PKT0_S8_ifPKiSA_iPKfiiiSC_SC_iiiii,"axG",@progbits,_ZN4vllm25paged_attention_v1_kernelIffLi80ELi16ELi128ELNS_18Fp8KVCacheDataTypeE0ELb0EEEvPT_PKS2_PKT0_S8_ifPKiSA_iPKfiiiSC_SC_iiiii,comdat
	.protected	_ZN4vllm25paged_attention_v1_kernelIffLi80ELi16ELi128ELNS_18Fp8KVCacheDataTypeE0ELb0EEEvPT_PKS2_PKT0_S8_ifPKiSA_iPKfiiiSC_SC_iiiii ; -- Begin function _ZN4vllm25paged_attention_v1_kernelIffLi80ELi16ELi128ELNS_18Fp8KVCacheDataTypeE0ELb0EEEvPT_PKS2_PKT0_S8_ifPKiSA_iPKfiiiSC_SC_iiiii
	.globl	_ZN4vllm25paged_attention_v1_kernelIffLi80ELi16ELi128ELNS_18Fp8KVCacheDataTypeE0ELb0EEEvPT_PKS2_PKT0_S8_ifPKiSA_iPKfiiiSC_SC_iiiii
	.p2align	8
	.type	_ZN4vllm25paged_attention_v1_kernelIffLi80ELi16ELi128ELNS_18Fp8KVCacheDataTypeE0ELb0EEEvPT_PKS2_PKT0_S8_ifPKiSA_iPKfiiiSC_SC_iiiii,@function
_ZN4vllm25paged_attention_v1_kernelIffLi80ELi16ELi128ELNS_18Fp8KVCacheDataTypeE0ELb0EEEvPT_PKS2_PKT0_S8_ifPKiSA_iPKfiiiSC_SC_iiiii: ; @_ZN4vllm25paged_attention_v1_kernelIffLi80ELi16ELi128ELNS_18Fp8KVCacheDataTypeE0ELb0EEEvPT_PKS2_PKT0_S8_ifPKiSA_iPKfiiiSC_SC_iiiii
; %bb.0:
	s_load_b64 s[6:7], s[0:1], 0x20
	s_bfe_u32 s3, ttmp6, 0x4000c
	s_bfe_u32 s5, ttmp6, 0x40010
	s_and_b32 s4, ttmp7, 0xffff
	s_add_co_i32 s3, s3, 1
	s_add_co_i32 s5, s5, 1
	s_and_b32 s2, ttmp6, 15
	s_bfe_u32 s8, ttmp6, 0x40004
	s_mul_i32 s3, ttmp9, s3
	s_mul_i32 s5, s4, s5
	s_getreg_b32 s18, hwreg(HW_REG_IB_STS2, 6, 4)
	s_add_co_i32 s2, s2, s3
	s_add_co_i32 s8, s8, s5
	s_cmp_eq_u32 s18, 0
	s_clause 0x1
	s_load_b32 s19, s[0:1], 0x80
	s_load_b64 s[10:11], s[0:1], 0x30
	s_cselect_b32 s20, s4, s8
	s_cselect_b32 s8, ttmp9, s2
	s_wait_kmcnt 0x0
	s_abs_i32 s2, s6
	s_delay_alu instid0(SALU_CYCLE_1) | instskip(SKIP_1) | instid1(SALU_CYCLE_2)
	s_cvt_f32_u32 s3, s2
	s_sub_co_i32 s4, 0, s2
	v_rcp_iflag_f32_e32 v1, s3
	s_abs_i32 s5, s19
	v_nop
	s_delay_alu instid0(TRANS32_DEP_1) | instskip(SKIP_1) | instid1(SALU_CYCLE_3)
	v_readfirstlane_b32 s3, v1
	s_mul_f32 s3, s3, 0x4f7ffffe
	s_cvt_u32_f32 s3, s3
	s_delay_alu instid0(SALU_CYCLE_3) | instskip(NEXT) | instid1(SALU_CYCLE_1)
	s_mul_i32 s4, s4, s3
	s_mul_hi_u32 s4, s3, s4
	s_delay_alu instid0(SALU_CYCLE_1) | instskip(SKIP_4) | instid1(SALU_CYCLE_1)
	s_add_co_i32 s3, s3, s4
	s_xor_b32 s4, s19, s6
	s_mul_hi_u32 s3, s5, s3
	s_ashr_i32 s4, s4, 31
	s_mul_i32 s6, s3, s2
	s_sub_co_i32 s5, s5, s6
	s_add_co_i32 s6, s3, 1
	s_sub_co_i32 s9, s5, s2
	s_cmp_ge_u32 s5, s2
	s_cselect_b32 s3, s6, s3
	s_cselect_b32 s5, s9, s5
	s_add_co_i32 s6, s3, 1
	s_cmp_ge_u32 s5, s2
	s_cselect_b32 s2, s6, s3
	s_mov_b32 s3, 0
	s_xor_b32 s2, s2, s4
	s_mov_b32 s13, s3
	s_sub_co_i32 s15, s2, s4
	s_load_b64 s[4:5], s[0:1], 0x40
	s_abs_i32 s14, s15
	s_mov_b32 s23, s3
	s_cvt_f32_u32 s2, s14
	s_delay_alu instid0(SALU_CYCLE_3) | instskip(SKIP_1) | instid1(TRANS32_DEP_1)
	v_rcp_iflag_f32_e32 v1, s2
	v_nop
	v_readfirstlane_b32 s2, v1
	s_mul_f32 s2, s2, 0x4f7ffffe
	s_delay_alu instid0(SALU_CYCLE_3) | instskip(SKIP_1) | instid1(SALU_CYCLE_2)
	s_cvt_u32_f32 s6, s2
	s_sub_co_i32 s2, 0, s14
	s_mul_i32 s2, s2, s6
	s_delay_alu instid0(SALU_CYCLE_1)
	s_mul_hi_u32 s9, s6, s2
	s_abs_i32 s2, s8
	s_add_co_i32 s12, s6, s9
	s_wait_kmcnt 0x0
	s_cmp_eq_u64 s[4:5], 0
	s_cbranch_scc1 .LBB29_2
; %bb.1:
	s_ashr_i32 s9, s8, 31
	s_delay_alu instid0(SALU_CYCLE_1) | instskip(NEXT) | instid1(SALU_CYCLE_1)
	s_lshl_b64 s[16:17], s[8:9], 2
	s_add_nc_u64 s[4:5], s[4:5], s[16:17]
	s_load_b32 s23, s[4:5], 0x0
.LBB29_2:
	s_load_b32 s21, s[10:11], s20 offset:0x0 scale_offset
	s_wait_xcnt 0x0
	s_load_b96 s[4:6], s[0:1], 0x48
	v_dual_lshlrev_b32 v56, 2, v0 :: v_dual_bitop2_b32 v46, 1, v0 bitop3:0x40
	s_ashr_i32 s16, s8, 31
	s_ashr_i32 s15, s15, 31
	s_mul_u64 s[10:11], s[2:3], s[12:13]
	s_mulk_i32 s8, 0x50
	s_mov_b32 s3, exec_lo
	v_cmpx_gt_u32_e32 40, v0
	s_cbranch_execz .LBB29_4
; %bb.3:
	s_load_b64 s[12:13], s[0:1], 0x8
	s_wait_kmcnt 0x0
	s_mul_i32 s24, s4, s20
	s_ashr_i32 s9, s8, 31
	s_ashr_i32 s25, s24, 31
	v_and_b32_e32 v1, 0xff8, v56
	s_lshl_b64 s[24:25], s[24:25], 2
	s_delay_alu instid0(VALU_DEP_1) | instskip(SKIP_2) | instid1(SALU_CYCLE_1)
	v_mad_u32_u24 v1, 0xa0, v46, v1
	s_add_nc_u64 s[12:13], s[12:13], s[24:25]
	s_lshl_b64 s[24:25], s[8:9], 2
	s_add_nc_u64 s[12:13], s[12:13], s[24:25]
	global_load_b64 v[2:3], v0, s[12:13] scale_offset
	s_wait_loadcnt 0x0
	ds_store_b64 v1, v[2:3]
.LBB29_4:
	s_or_b32 exec_lo, exec_lo, s3
	s_wait_kmcnt 0x0
	s_add_co_i32 s3, s21, 15
	s_load_b32 s4, s[0:1], 0x38
	s_ashr_i32 s9, s3, 31
	s_mul_i32 s12, s11, s14
	s_lshr_b32 s9, s9, 28
	s_sub_co_i32 s2, s2, s12
	s_add_co_i32 s3, s3, s9
	s_xor_b32 s10, s16, s15
	s_ashr_i32 s22, s3, 4
	s_add_co_i32 s3, s11, 1
	s_sub_co_i32 s9, s2, s14
	s_cmp_ge_u32 s2, s14
	v_lshrrev_b32_e32 v1, 5, v0
	s_cselect_b32 s3, s3, s11
	s_cselect_b32 s2, s9, s2
	s_add_co_i32 s9, s3, 1
	s_cmp_ge_u32 s2, s14
	v_mbcnt_lo_u32_b32 v50, -1, 0
	s_cselect_b32 s2, s9, s3
	s_wait_dscnt 0x0
	s_xor_b32 s2, s2, s10
	s_barrier_signal -1
	s_sub_co_i32 s3, s2, s10
	v_cmp_gt_i32_e64 s2, s22, v1
	s_wait_kmcnt 0x0
	s_mul_i32 s10, s4, s20
	s_mov_b32 s4, exec_lo
	s_ashr_i32 s11, s10, 31
	s_barrier_wait -1
                                        ; implicit-def: $vgpr43
                                        ; implicit-def: $vgpr51
	v_cmpx_le_i32_e64 s22, v1
	s_xor_b32 s4, exec_lo, s4
; %bb.5:
	v_dual_mov_b32 v43, 0 :: v_dual_mov_b32 v51, 32
	v_mbcnt_lo_u32_b32 v50, -1, 0
                                        ; implicit-def: $vgpr46
; %bb.6:
	s_or_saveexec_b32 s24, s4
	s_clause 0x1
	s_load_b64 s[12:13], s[0:1], 0x28
	s_load_b32 s9, s[0:1], 0x88
	v_mov_b32_e32 v42, 0xff7fffff
	v_lshrrev_b32_e32 v58, 3, v0
	s_mul_i32 s14, s3, s6
	s_xor_b32 exec_lo, exec_lo, s24
	s_cbranch_execz .LBB29_12
; %bb.7:
	s_load_b64 s[26:27], s[0:1], 0x10
	v_mul_u32_u24_e32 v38, 0xa0, v46
	v_bfe_u32 v47, v0, 1, 4
	v_dual_mov_b32 v51, 32 :: v_dual_bitop2_b32 v35, 1, v50 bitop3:0x14
	s_ashr_i32 s15, s14, 31
	ds_load_b128 v[2:5], v38
	ds_load_b128 v[6:9], v38 offset:16
	ds_load_b128 v[10:13], v38 offset:32
	;; [unrolled: 1-line block ×7, first 2 shown]
	v_dual_mov_b32 v43, 0 :: v_dual_lshlrev_b32 v34, 3, v0
	v_dual_lshlrev_b32 v42, 4, v47 :: v_dual_lshlrev_b32 v49, 2, v47
	v_cmp_gt_i32_e32 vcc_lo, 32, v35
	s_lshl_b64 s[28:29], s[14:15], 2
	s_ashr_i32 s17, s5, 31
	s_cmp_neq_f32 s23, 0
	v_lshl_or_b32 v53, v1, 4, v47
	v_cndmask_b32_e32 v48, v50, v35, vcc_lo
	v_cmp_eq_u32_e32 vcc_lo, 0, v46
	v_lshl_or_b32 v46, v1, 6, v49
	s_cselect_b32 s3, -1, 0
	s_wait_kmcnt 0x0
	s_add_nc_u64 s[26:27], s[26:27], s[28:29]
	s_mov_b32 s16, s5
	v_add_nc_u64_e32 v[44:45], s[26:27], v[42:43]
	v_and_b32_e32 v42, 8, v34
	ds_load_b128 v[34:37], v38 offset:128
	ds_load_b128 v[38:41], v38 offset:144
	s_lshl_b64 s[26:27], s[10:11], 2
	v_add_nc_u32_e32 v54, 0x160, v46
	s_add_nc_u64 s[26:27], s[12:13], s[26:27]
	v_dual_mov_b32 v55, v1 :: v_dual_lshlrev_b32 v52, 2, v48
	v_add_nc_u64_e32 v[44:45], v[44:45], v[42:43]
	v_and_b32_e32 v42, 0x7c, v58
	s_mov_b32 s6, 0
	s_sub_co_i32 s15, 1, s21
	s_delay_alu instid0(VALU_DEP_1)
	v_add_nc_u64_e32 v[46:47], s[26:27], v[42:43]
	v_mov_b32_e32 v42, 0xff7fffff
	s_branch .LBB29_9
.LBB29_8:                               ;   in Loop: Header=BB29_9 Depth=1
	s_or_b32 exec_lo, exec_lo, s25
	v_dual_add_nc_u32 v55, 4, v55 :: v_dual_add_nc_u32 v53, 64, v53
	v_add_nc_u64_e32 v[46:47], 16, v[46:47]
	v_add_nc_u32_e32 v54, 0x100, v54
	s_delay_alu instid0(VALU_DEP_3) | instskip(SKIP_1) | instid1(SALU_CYCLE_1)
	v_cmp_le_i32_e64 s4, s22, v55
	s_or_b32 s6, s4, s6
	s_and_not1_b32 exec_lo, exec_lo, s6
	s_cbranch_execz .LBB29_11
.LBB29_9:                               ; =>This Inner Loop Header: Depth=1
	global_load_b32 v48, v[46:47], off
	s_wait_loadcnt_dscnt 0x0
	v_ashrrev_i32_e32 v49, 31, v48
	s_delay_alu instid0(VALU_DEP_1) | instskip(NEXT) | instid1(VALU_DEP_1)
	v_mul_u64_e32 v[48:49], s[16:17], v[48:49]
	v_lshl_add_u64 v[48:49], v[48:49], 2, v[44:45]
	s_clause 0xc
	global_load_b64 v[60:61], v[48:49], off offset:256
	global_load_b64 v[62:63], v[48:49], off offset:512
	;; [unrolled: 1-line block ×3, first 2 shown]
	global_load_b64 v[66:67], v[48:49], off
	global_load_b64 v[68:69], v[48:49], off offset:1024
	global_load_b64 v[70:71], v[48:49], off offset:1280
	;; [unrolled: 1-line block ×9, first 2 shown]
	s_wait_loadcnt_dscnt 0xc09
	v_dual_mul_f32 v59, v5, v61 :: v_dual_mul_f32 v57, v4, v60
	global_load_b64 v[60:61], v[48:49], off offset:3328
	s_wait_loadcnt 0xa
	v_dual_fmac_f32 v59, v3, v67 :: v_dual_fmac_f32 v57, v2, v66
	global_load_b64 v[66:67], v[48:49], off offset:3584
	s_wait_dscnt 0x8
	v_dual_fmac_f32 v59, v7, v63 :: v_dual_fmac_f32 v57, v6, v62
	global_load_b64 v[62:63], v[48:49], off offset:3840
	v_dual_fmac_f32 v59, v9, v65 :: v_dual_fmac_f32 v57, v8, v64
	global_load_b64 v[64:65], v[48:49], off offset:4096
	s_wait_loadcnt_dscnt 0xc07
	v_dual_fmac_f32 v59, v11, v69 :: v_dual_fmac_f32 v57, v10, v68
	global_load_b64 v[68:69], v[48:49], off offset:4352
	s_wait_loadcnt 0xc
	v_dual_fmac_f32 v59, v13, v71 :: v_dual_fmac_f32 v57, v12, v70
	s_clause 0x1
	global_load_b64 v[70:71], v[48:49], off offset:4608
	global_load_b64 v[48:49], v[48:49], off offset:4864
	s_wait_loadcnt_dscnt 0xd06
	v_dual_fmac_f32 v59, v15, v73 :: v_dual_fmac_f32 v57, v14, v72
	s_wait_loadcnt 0xc
	s_delay_alu instid0(VALU_DEP_1) | instskip(SKIP_1) | instid1(VALU_DEP_1)
	v_dual_fmac_f32 v59, v17, v75 :: v_dual_fmac_f32 v57, v16, v74
	s_wait_loadcnt_dscnt 0xb05
	v_dual_fmac_f32 v59, v19, v77 :: v_dual_fmac_f32 v57, v18, v76
	s_wait_loadcnt 0xa
	s_delay_alu instid0(VALU_DEP_1) | instskip(SKIP_1) | instid1(VALU_DEP_1)
	v_dual_fmac_f32 v59, v21, v79 :: v_dual_fmac_f32 v57, v20, v78
	;; [unrolled: 5-line block ×7, first 2 shown]
	s_wait_xcnt 0x0
	v_add_f32_e32 v48, v57, v59
	ds_bpermute_b32 v49, v52, v48
	s_and_saveexec_b32 s25, vcc_lo
	s_cbranch_execz .LBB29_8
; %bb.10:                               ;   in Loop: Header=BB29_9 Depth=1
	s_wait_dscnt 0x0
	v_add_f32_e32 v48, v48, v49
	v_add_nc_u32_e32 v57, s15, v53
	v_cmp_gt_i32_e64 s4, s21, v53
	s_delay_alu instid0(VALU_DEP_2) | instskip(NEXT) | instid1(VALU_DEP_1)
	v_cvt_f32_i32_e32 v57, v57
	v_mul_f32_e32 v57, s23, v57
	s_delay_alu instid0(VALU_DEP_1) | instskip(NEXT) | instid1(VALU_DEP_1)
	v_dual_cndmask_b32 v49, 0, v57, s3 :: v_dual_max_num_f32 v57, v42, v42
	v_fmac_f32_e32 v49, s7, v48
	s_delay_alu instid0(VALU_DEP_1) | instskip(NEXT) | instid1(VALU_DEP_1)
	v_dual_max_num_f32 v48, v57, v49 :: v_dual_cndmask_b32 v49, 0, v49, s4
	v_cndmask_b32_e64 v42, v42, v48, s4
	ds_store_b32 v54, v49
	s_branch .LBB29_8
.LBB29_11:
	s_or_b32 exec_lo, exec_lo, s6
.LBB29_12:
	s_delay_alu instid0(SALU_CYCLE_1)
	s_or_b32 exec_lo, exec_lo, s24
	v_xor_b32_e32 v4, 8, v50
	v_xor_b32_e32 v2, 16, v50
	v_max_num_f32_e32 v5, v42, v42
	s_clause 0x1
	s_load_b64 s[6:7], s[0:1], 0x0
	s_load_b64 s[16:17], s[0:1], 0x18
	v_and_b32_e32 v60, 31, v0
	v_cmp_lt_i32_e32 vcc_lo, v2, v51
	v_cndmask_b32_e32 v2, v50, v2, vcc_lo
	v_cmp_lt_i32_e32 vcc_lo, v4, v51
	s_delay_alu instid0(VALU_DEP_2) | instskip(SKIP_3) | instid1(VALU_DEP_1)
	v_dual_cndmask_b32 v4, v50, v4, vcc_lo :: v_dual_lshlrev_b32 v2, 2, v2
	ds_bpermute_b32 v3, v2, v42
	s_wait_dscnt 0x0
	v_dual_max_num_f32 v6, v3, v3 :: v_dual_lshlrev_b32 v3, 2, v4
	v_max_num_f32_e32 v5, v5, v6
	v_xor_b32_e32 v6, 4, v50
	s_delay_alu instid0(VALU_DEP_1) | instskip(SKIP_4) | instid1(VALU_DEP_1)
	v_cmp_lt_i32_e32 vcc_lo, v6, v51
	v_cndmask_b32_e32 v6, v50, v6, vcc_lo
	ds_bpermute_b32 v4, v3, v5
	s_wait_dscnt 0x0
	v_dual_max_num_f32 v7, v4, v4 :: v_dual_lshlrev_b32 v4, 2, v6
	v_dual_max_num_f32 v5, v5, v7 :: v_dual_bitop2_b32 v7, 2, v50 bitop3:0x14
	ds_bpermute_b32 v6, v4, v5
	s_wait_dscnt 0x0
	v_max_num_f32_e32 v6, v6, v6
	s_delay_alu instid0(VALU_DEP_1) | instskip(SKIP_3) | instid1(VALU_DEP_2)
	v_dual_max_num_f32 v6, v5, v6 :: v_dual_lshlrev_b32 v5, 2, v1
	v_cmp_lt_i32_e32 vcc_lo, v7, v51
	v_cndmask_b32_e32 v7, v50, v7, vcc_lo
	v_cmp_eq_u32_e32 vcc_lo, 0, v60
	v_lshlrev_b32_e32 v61, 2, v7
	ds_bpermute_b32 v7, v61, v6
	s_wait_xcnt 0x0
	s_and_saveexec_b32 s0, vcc_lo
	s_cbranch_execz .LBB29_14
; %bb.13:
	s_wait_dscnt 0x0
	v_dual_max_num_f32 v7, v7, v7 :: v_dual_max_num_f32 v6, v6, v6
	s_delay_alu instid0(VALU_DEP_1)
	v_max_num_f32_e32 v6, v6, v7
	ds_store_b32 v5, v6 offset:320
.LBB29_14:
	s_or_b32 exec_lo, exec_lo, s0
	v_cmp_gt_u32_e64 s0, 4, v60
	s_wait_dscnt 0x0
	v_dual_mov_b32 v7, 0xff7fffff :: v_dual_lshlrev_b32 v6, 2, v60
	s_barrier_signal -1
	s_barrier_wait -1
	s_and_saveexec_b32 s1, s0
; %bb.15:
	ds_load_b32 v7, v6 offset:320
; %bb.16:
	s_or_b32 exec_lo, exec_lo, s1
	s_wait_dscnt 0x0
	ds_bpermute_b32 v8, v61, v7
	v_dual_max_num_f32 v7, v7, v7 :: v_dual_bitop2_b32 v9, 1, v50 bitop3:0x14
	s_delay_alu instid0(VALU_DEP_1) | instskip(NEXT) | instid1(VALU_DEP_1)
	v_cmp_lt_i32_e64 s1, v9, v51
	v_cndmask_b32_e64 v9, v50, v9, s1
	s_lshl_b32 s1, s22, 4
	s_delay_alu instid0(SALU_CYCLE_1) | instskip(NEXT) | instid1(SALU_CYCLE_1)
	s_min_i32 s4, s1, s21
	v_cmp_gt_i32_e64 s1, s4, v0
	s_wait_dscnt 0x0
	v_dual_max_num_f32 v8, v8, v8 :: v_dual_lshlrev_b32 v62, 2, v9
	s_delay_alu instid0(VALU_DEP_1) | instskip(SKIP_3) | instid1(VALU_DEP_1)
	v_max_num_f32_e32 v7, v7, v8
	ds_bpermute_b32 v8, v62, v7
	s_wait_dscnt 0x0
	v_max_num_f32_e32 v8, v8, v8
	v_dual_max_num_f32 v7, v7, v8 :: v_dual_lshlrev_b32 v8, 2, v43
	ds_bpermute_b32 v8, v8, v7
	v_mov_b32_e32 v7, 0
	s_and_saveexec_b32 s15, s1
	s_cbranch_execz .LBB29_20
; %bb.17:
	v_lshl_add_u32 v9, v0, 2, 0x160
	v_dual_mov_b32 v7, 0 :: v_dual_mov_b32 v10, v0
	s_mov_b32 s23, 0
.LBB29_18:                              ; =>This Inner Loop Header: Depth=1
	ds_load_b32 v11, v9
	v_add_nc_u32_e32 v10, 0x80, v10
	s_delay_alu instid0(VALU_DEP_1) | instskip(SKIP_3) | instid1(VALU_DEP_1)
	v_cmp_le_i32_e64 s3, s4, v10
	s_or_b32 s23, s3, s23
	s_wait_dscnt 0x0
	v_sub_f32_e32 v11, v11, v8
	v_mul_f32_e32 v11, 0x3fb8aa3b, v11
	s_delay_alu instid0(VALU_DEP_1)
	v_exp_f32_e32 v11, v11
	ds_store_b32 v9, v11
	v_nop
	v_add_f32_e32 v7, v7, v11
	v_add_nc_u32_e32 v9, 0x200, v9
	s_and_not1_b32 exec_lo, exec_lo, s23
	s_cbranch_execnz .LBB29_18
; %bb.19:
	s_or_b32 exec_lo, exec_lo, s23
.LBB29_20:
	s_delay_alu instid0(SALU_CYCLE_1)
	s_or_b32 exec_lo, exec_lo, s15
	ds_bpermute_b32 v2, v2, v7
	s_wait_dscnt 0x0
	v_add_f32_e32 v2, v7, v2
	ds_bpermute_b32 v3, v3, v2
	s_wait_dscnt 0x0
	v_add_f32_e32 v2, v2, v3
	;; [unrolled: 3-line block ×5, first 2 shown]
	s_and_saveexec_b32 s3, vcc_lo
; %bb.21:
	ds_store_b32 v5, v2 offset:336
; %bb.22:
	s_or_b32 exec_lo, exec_lo, s3
	s_wait_dscnt 0x0
	s_barrier_signal -1
	s_barrier_wait -1
	s_and_saveexec_b32 s3, s0
; %bb.23:
	ds_load_b32 v2, v6 offset:336
; %bb.24:
	s_or_b32 exec_lo, exec_lo, s3
	s_wait_dscnt 0x0
	ds_bpermute_b32 v3, v61, v2
	s_wait_dscnt 0x0
	v_dual_lshlrev_b32 v4, 2, v50 :: v_dual_add_f32 v2, v2, v3
	ds_bpermute_b32 v3, v62, v2
	s_wait_dscnt 0x0
	v_add_f32_e32 v2, v2, v3
	v_and_b32_e32 v3, 0xffffff80, v4
	ds_bpermute_b32 v2, v3, v2
	s_and_saveexec_b32 s0, s1
	s_cbranch_execz .LBB29_37
; %bb.25:
	s_wait_dscnt 0x0
	v_add_f32_e32 v2, 0x358637bd, v2
	s_mov_b32 s3, -1
	s_mov_b32 s1, exec_lo
	s_delay_alu instid0(VALU_DEP_1) | instskip(NEXT) | instid1(VALU_DEP_1)
	v_div_scale_f32 v3, null, v2, v2, 1.0
	v_rcp_f32_e32 v5, v3
	v_nop
	s_delay_alu instid0(TRANS32_DEP_1) | instskip(NEXT) | instid1(VALU_DEP_1)
	v_fma_f32 v4, -v3, v5, 1.0
	v_fmac_f32_e32 v5, v4, v5
	v_div_scale_f32 v6, vcc_lo, 1.0, v2, 1.0
	s_delay_alu instid0(VALU_DEP_1) | instskip(NEXT) | instid1(VALU_DEP_1)
	v_mul_f32_e32 v7, v6, v5
	v_fma_f32 v4, -v3, v7, v6
	s_delay_alu instid0(VALU_DEP_1) | instskip(SKIP_1) | instid1(VALU_DEP_2)
	v_fmac_f32_e32 v7, v4, v5
	v_xad_u32 v4, v0, -1, s4
	v_fma_f32 v3, -v3, v7, v6
	s_delay_alu instid0(VALU_DEP_1) | instskip(NEXT) | instid1(VALU_DEP_1)
	v_div_fmas_f32 v3, v3, v5, v7
	v_div_fixup_f32 v2, v3, v2, 1.0
	v_mov_b32_e32 v3, v0
	v_cmpx_lt_u32_e32 0x7f, v4
	s_cbranch_execz .LBB29_34
; %bb.26:
	s_delay_alu instid0(VALU_DEP_3) | instskip(NEXT) | instid1(VALU_DEP_1)
	v_dual_mov_b32 v3, v2 :: v_dual_lshrrev_b32 v4, 7, v4
	v_dual_mov_b32 v8, 0 :: v_dual_add_nc_u32 v5, -1, v4
	s_delay_alu instid0(VALU_DEP_1) | instskip(SKIP_1) | instid1(VALU_DEP_2)
	v_lshrrev_b32_e32 v6, 1, v5
	v_cmp_lt_u32_e32 vcc_lo, 13, v5
	v_add_nc_u32_e32 v5, 1, v6
	s_and_saveexec_b32 s3, vcc_lo
	s_cbranch_execz .LBB29_30
; %bb.27:
	s_delay_alu instid0(VALU_DEP_1)
	v_and_b32_e32 v6, -8, v5
	v_lshl_add_u32 v7, v0, 2, 0x160
	s_mov_b32 s15, 0
	s_mov_b32 s23, 0
.LBB29_28:                              ; =>This Inner Loop Header: Depth=1
	ds_load_2addr_stride64_b32 v[8:9], v7 offset1:2
	ds_load_2addr_stride64_b32 v[10:11], v7 offset0:4 offset1:6
	ds_load_2addr_stride64_b32 v[12:13], v7 offset0:8 offset1:10
	;; [unrolled: 1-line block ×7, first 2 shown]
	s_add_co_i32 s23, s23, 16
	v_add_nc_u32_e32 v6, -8, v6
	s_wait_dscnt 0x7
	v_pk_mul_f32 v[8:9], v[2:3], v[8:9]
	s_wait_dscnt 0x6
	v_pk_mul_f32 v[10:11], v[2:3], v[10:11]
	;; [unrolled: 2-line block ×8, first 2 shown]
	ds_store_2addr_stride64_b32 v7, v8, v9 offset1:2
	ds_store_2addr_stride64_b32 v7, v10, v11 offset0:4 offset1:6
	ds_store_2addr_stride64_b32 v7, v12, v13 offset0:8 offset1:10
	;; [unrolled: 1-line block ×7, first 2 shown]
	v_mov_b32_e32 v8, s23
	v_cmp_eq_u32_e32 vcc_lo, 0, v6
	v_add_nc_u32_e32 v7, 0x2000, v7
	s_or_b32 s15, vcc_lo, s15
	s_delay_alu instid0(SALU_CYCLE_1)
	s_and_not1_b32 exec_lo, exec_lo, s15
	s_cbranch_execnz .LBB29_28
; %bb.29:
	s_or_b32 exec_lo, exec_lo, s15
.LBB29_30:
	s_delay_alu instid0(SALU_CYCLE_1) | instskip(NEXT) | instid1(VALU_DEP_1)
	s_or_b32 exec_lo, exec_lo, s3
	v_and_b32_e32 v5, 7, v5
	s_mov_b32 s15, 0
	s_mov_b32 s3, exec_lo
	s_delay_alu instid0(VALU_DEP_1)
	v_cmpx_ne_u32_e32 0, v5
	s_cbranch_execz .LBB29_33
; %bb.31:
	v_lshlrev_b32_e32 v6, 9, v8
	s_delay_alu instid0(VALU_DEP_1)
	v_add3_u32 v6, v6, v56, 0x160
.LBB29_32:                              ; =>This Inner Loop Header: Depth=1
	ds_load_2addr_stride64_b32 v[8:9], v6 offset1:2
	v_add_nc_u32_e32 v5, -1, v5
	s_delay_alu instid0(VALU_DEP_1)
	v_cmp_eq_u32_e32 vcc_lo, 0, v5
	s_or_b32 s15, vcc_lo, s15
	s_wait_dscnt 0x0
	v_pk_mul_f32 v[8:9], v[2:3], v[8:9]
	ds_store_2addr_stride64_b32 v6, v8, v9 offset1:2
	v_add_nc_u32_e32 v6, 0x400, v6
	s_and_not1_b32 exec_lo, exec_lo, s15
	s_cbranch_execnz .LBB29_32
.LBB29_33:
	s_or_b32 exec_lo, exec_lo, s3
	v_add_nc_u32_e32 v3, 1, v4
	s_delay_alu instid0(VALU_DEP_1) | instskip(NEXT) | instid1(VALU_DEP_1)
	v_and_b32_e32 v4, 0x3fffffe, v3
	v_cmp_ne_u32_e32 vcc_lo, v3, v4
	v_lshl_add_u32 v3, v4, 7, v0
	s_or_not1_b32 s3, vcc_lo, exec_lo
.LBB29_34:
	s_or_b32 exec_lo, exec_lo, s1
	s_delay_alu instid0(SALU_CYCLE_1)
	s_and_b32 exec_lo, exec_lo, s3
	s_cbranch_execz .LBB29_37
; %bb.35:
	v_lshl_add_u32 v4, v3, 2, 0x160
	s_mov_b32 s1, 0
.LBB29_36:                              ; =>This Inner Loop Header: Depth=1
	ds_load_b32 v5, v4
	v_add_nc_u32_e32 v3, 0x80, v3
	s_delay_alu instid0(VALU_DEP_1)
	v_cmp_le_i32_e32 vcc_lo, s4, v3
	s_or_b32 s1, vcc_lo, s1
	s_wait_dscnt 0x0
	v_mul_f32_e32 v5, v2, v5
	ds_store_b32 v4, v5
	v_add_nc_u32_e32 v4, 0x200, v4
	s_and_not1_b32 exec_lo, exec_lo, s1
	s_cbranch_execnz .LBB29_36
.LBB29_37:
	s_or_b32 exec_lo, exec_lo, s0
	v_dual_mov_b32 v47, 0 :: v_dual_bitop2_b32 v63, 3, v0 bitop3:0x40
	v_dual_mov_b32 v46, 0 :: v_dual_mov_b32 v49, 0
	v_dual_mov_b32 v48, 0 :: v_dual_mov_b32 v51, 0
	;; [unrolled: 1-line block ×4, first 2 shown]
	v_mov_b32_e32 v54, 0
	s_wait_dscnt 0x0
	s_barrier_signal -1
	s_barrier_wait -1
	s_and_saveexec_b32 s1, s2
	s_cbranch_execz .LBB29_61
; %bb.38:
	v_dual_mov_b32 v47, 0 :: v_dual_lshlrev_b32 v2, 4, v0
	s_ashr_i32 s15, s14, 31
	v_dual_lshlrev_b32 v4, 4, v63 :: v_dual_bitop2_b32 v3, 12, v56 bitop3:0x40
	s_delay_alu instid0(VALU_DEP_2)
	v_and_b32_e32 v46, 0x1f0, v2
	s_lshl_b64 s[14:15], s[14:15], 2
	s_ashr_i32 s3, s5, 31
	s_wait_kmcnt 0x0
	s_add_nc_u64 s[14:15], s[16:17], s[14:15]
	s_mov_b32 s2, s5
	v_add_nc_u64_e32 v[56:57], s[14:15], v[46:47]
	v_and_b32_e32 v46, 0x7c, v58
	s_lshl_b64 s[4:5], s[10:11], 2
	v_lshl_or_b32 v2, v1, 6, v4
	s_add_nc_u64 s[4:5], s[12:13], s[4:5]
	v_lshl_or_b32 v64, v1, 4, v3
	v_add_nc_u64_e32 v[58:59], s[4:5], v[46:47]
	s_delay_alu instid0(VALU_DEP_3)
	v_dual_mov_b32 v46, v47 :: v_dual_add_nc_u32 v65, 0x160, v2
	v_dual_mov_b32 v49, v47 :: v_dual_mov_b32 v48, v47
	v_dual_mov_b32 v51, v47 :: v_dual_mov_b32 v50, v47
	;; [unrolled: 1-line block ×4, first 2 shown]
	v_mov_b32_e32 v66, v1
	s_add_co_i32 s4, s22, -1
	s_mov_b32 s10, s21
	s_mov_b32 s5, 0
	s_branch .LBB29_40
.LBB29_39:                              ;   in Loop: Header=BB29_40 Depth=1
	s_or_b32 exec_lo, exec_lo, s0
	s_wait_loadcnt_dscnt 0x200
	v_mul_f32_e32 v34, v6, v34
	s_wait_loadcnt 0x1
	v_mul_f32_e32 v42, v6, v42
	v_mul_f32_e32 v26, v6, v26
	v_mul_f32_e32 v30, v6, v30
	v_add_nc_u64_e32 v[58:59], 16, v[58:59]
	v_fmac_f32_e32 v34, v7, v35
	v_dual_fmac_f32 v42, v7, v43 :: v_dual_mul_f32 v22, v6, v22
	v_fmac_f32_e32 v26, v7, v27
	v_dual_fmac_f32 v30, v7, v31 :: v_dual_add_nc_u32 v65, 0x100, v65
	s_delay_alu instid0(VALU_DEP_3) | instskip(NEXT) | instid1(VALU_DEP_4)
	v_dual_fmac_f32 v42, v8, v44 :: v_dual_mul_f32 v43, v6, v18
	v_fmac_f32_e32 v22, v7, v23
	s_delay_alu instid0(VALU_DEP_4) | instskip(NEXT) | instid1(VALU_DEP_3)
	v_dual_fmac_f32 v26, v8, v28 :: v_dual_mul_f32 v10, v6, v10
	v_dual_fmac_f32 v42, v9, v45 :: v_dual_fmac_f32 v43, v7, v19
	v_fmac_f32_e32 v34, v8, v36
	s_delay_alu instid0(VALU_DEP_3) | instskip(NEXT) | instid1(VALU_DEP_3)
	v_fmac_f32_e32 v26, v9, v29
	v_dual_fmac_f32 v22, v8, v24 :: v_dual_add_f32 v46, v46, v42
	s_delay_alu instid0(VALU_DEP_4) | instskip(SKIP_2) | instid1(VALU_DEP_3)
	v_fmac_f32_e32 v43, v8, v20
	s_wait_loadcnt 0x0
	v_pk_mul_f32 v[18:19], v[6:7], v[38:39]
	v_dual_add_f32 v51, v51, v26 :: v_dual_fmac_f32 v22, v9, v25
	v_fmac_f32_e32 v34, v9, v37
	v_dual_fmac_f32 v10, v7, v11 :: v_dual_fmac_f32 v43, v9, v21
	v_mul_f32_e32 v14, v6, v14
	s_delay_alu instid0(VALU_DEP_4) | instskip(NEXT) | instid1(VALU_DEP_4)
	v_dual_add_f32 v50, v50, v22 :: v_dual_fmac_f32 v30, v8, v32
	v_add_f32_e32 v49, v49, v34
	s_delay_alu instid0(VALU_DEP_3) | instskip(NEXT) | instid1(VALU_DEP_3)
	v_dual_mul_f32 v22, v6, v2 :: v_dual_fmac_f32 v14, v7, v15
	v_dual_add_f32 v6, v19, v18 :: v_dual_fmac_f32 v30, v9, v33
	v_dual_fmac_f32 v10, v8, v12 :: v_dual_add_f32 v53, v53, v43
	s_delay_alu instid0(VALU_DEP_3) | instskip(NEXT) | instid1(VALU_DEP_4)
	v_fmac_f32_e32 v14, v8, v16
	v_fmac_f32_e32 v22, v7, v3
	v_pk_mul_f32 v[2:3], v[8:9], v[40:41]
	v_add_f32_e32 v48, v48, v30
	s_delay_alu instid0(VALU_DEP_4) | instskip(NEXT) | instid1(VALU_DEP_3)
	v_dual_add_nc_u32 v66, 4, v66 :: v_dual_fmac_f32 v14, v9, v17
	v_dual_fmac_f32 v10, v9, v13 :: v_dual_add_f32 v2, v2, v6
	v_fmac_f32_e32 v22, v8, v4
	s_delay_alu instid0(VALU_DEP_3) | instskip(NEXT) | instid1(VALU_DEP_4)
	v_cmp_le_i32_e32 vcc_lo, s22, v66
	v_add_f32_e32 v52, v52, v14
	s_delay_alu instid0(VALU_DEP_4) | instskip(NEXT) | instid1(VALU_DEP_4)
	v_add_f32_e32 v55, v55, v10
	v_dual_add_f32 v2, v3, v2 :: v_dual_fmac_f32 v22, v9, v5
	v_add_nc_u32_e32 v64, 64, v64
	s_or_b32 s5, vcc_lo, s5
	s_delay_alu instid0(VALU_DEP_2) | instskip(NEXT) | instid1(VALU_DEP_3)
	v_add_f32_e32 v47, v47, v2
	v_add_f32_e32 v54, v54, v22
	s_and_not1_b32 exec_lo, exec_lo, s5
	s_cbranch_execz .LBB29_60
.LBB29_40:                              ; =>This Inner Loop Header: Depth=1
	global_load_b32 v2, v[58:59], off
	ds_load_b128 v[6:9], v65
	v_cmp_eq_u32_e32 vcc_lo, s4, v66
	v_or_b32_e32 v68, 3, v64
	v_dual_add_nc_u32 v69, 1, v64 :: v_dual_bitop2_b32 v67, 2, v64 bitop3:0x54
	s_wait_loadcnt 0x0
	v_ashrrev_i32_e32 v3, 31, v2
	s_delay_alu instid0(VALU_DEP_1) | instskip(NEXT) | instid1(VALU_DEP_1)
	v_mul_u64_e32 v[2:3], s[2:3], v[2:3]
	v_lshl_add_u64 v[38:39], v[2:3], 2, v[56:57]
	global_load_b128 v[2:5], v[38:39], off
	s_wait_xcnt 0x0
	s_and_saveexec_b32 s11, vcc_lo
	s_cbranch_execnz .LBB29_50
; %bb.41:                               ;   in Loop: Header=BB29_40 Depth=1
	s_or_b32 exec_lo, exec_lo, s11
	global_load_b128 v[10:13], v[38:39], off offset:512
	s_wait_xcnt 0x0
	s_and_saveexec_b32 s11, vcc_lo
	s_cbranch_execnz .LBB29_51
.LBB29_42:                              ;   in Loop: Header=BB29_40 Depth=1
	s_or_b32 exec_lo, exec_lo, s11
	global_load_b128 v[14:17], v[38:39], off offset:1024
	s_wait_xcnt 0x0
	s_and_saveexec_b32 s11, vcc_lo
	s_cbranch_execnz .LBB29_52
.LBB29_43:                              ;   in Loop: Header=BB29_40 Depth=1
	s_or_b32 exec_lo, exec_lo, s11
	global_load_b128 v[18:21], v[38:39], off offset:1536
	s_wait_xcnt 0x0
	s_and_saveexec_b32 s11, vcc_lo
	s_cbranch_execnz .LBB29_53
.LBB29_44:                              ;   in Loop: Header=BB29_40 Depth=1
	s_or_b32 exec_lo, exec_lo, s11
	global_load_b128 v[22:25], v[38:39], off offset:2048
	s_wait_xcnt 0x0
	s_and_saveexec_b32 s11, vcc_lo
	s_cbranch_execnz .LBB29_54
.LBB29_45:                              ;   in Loop: Header=BB29_40 Depth=1
	s_or_b32 exec_lo, exec_lo, s11
	global_load_b128 v[26:29], v[38:39], off offset:2560
	s_wait_xcnt 0x0
	s_and_saveexec_b32 s11, vcc_lo
	s_cbranch_execnz .LBB29_55
.LBB29_46:                              ;   in Loop: Header=BB29_40 Depth=1
	s_or_b32 exec_lo, exec_lo, s11
	global_load_b128 v[30:33], v[38:39], off offset:3072
	s_wait_xcnt 0x0
	s_and_saveexec_b32 s11, vcc_lo
	s_cbranch_execnz .LBB29_56
.LBB29_47:                              ;   in Loop: Header=BB29_40 Depth=1
	s_or_b32 exec_lo, exec_lo, s11
	global_load_b128 v[34:37], v[38:39], off offset:3584
	s_wait_xcnt 0x0
	s_and_saveexec_b32 s11, vcc_lo
	s_cbranch_execnz .LBB29_57
.LBB29_48:                              ;   in Loop: Header=BB29_40 Depth=1
	s_or_b32 exec_lo, exec_lo, s11
	global_load_b128 v[42:45], v[38:39], off offset:4096
	s_wait_xcnt 0x0
	s_and_saveexec_b32 s11, vcc_lo
	s_cbranch_execnz .LBB29_58
.LBB29_49:                              ;   in Loop: Header=BB29_40 Depth=1
	s_or_b32 exec_lo, exec_lo, s11
	global_load_b128 v[38:41], v[38:39], off offset:4608
	s_wait_xcnt 0x0
	s_and_saveexec_b32 s0, vcc_lo
	s_cbranch_execz .LBB29_39
	s_branch .LBB29_59
.LBB29_50:                              ;   in Loop: Header=BB29_40 Depth=1
	v_cmp_gt_i32_e64 s0, s10, v69
	s_wait_loadcnt 0x0
	s_delay_alu instid0(VALU_DEP_1) | instskip(SKIP_1) | instid1(VALU_DEP_1)
	v_cndmask_b32_e64 v3, 0, v3, s0
	v_cmp_gt_i32_e64 s0, s21, v64
	v_cndmask_b32_e64 v2, 0, v2, s0
	v_cmp_gt_i32_e64 s0, s10, v68
	s_delay_alu instid0(VALU_DEP_1) | instskip(SKIP_1) | instid1(VALU_DEP_1)
	v_cndmask_b32_e64 v5, 0, v5, s0
	v_cmp_gt_i32_e64 s0, s21, v67
	v_cndmask_b32_e64 v4, 0, v4, s0
	s_or_b32 exec_lo, exec_lo, s11
	global_load_b128 v[10:13], v[38:39], off offset:512
	s_wait_xcnt 0x0
	s_and_saveexec_b32 s11, vcc_lo
	s_cbranch_execz .LBB29_42
.LBB29_51:                              ;   in Loop: Header=BB29_40 Depth=1
	v_cmp_gt_i32_e64 s0, s10, v69
	s_wait_loadcnt 0x0
	s_delay_alu instid0(VALU_DEP_1) | instskip(SKIP_1) | instid1(VALU_DEP_1)
	v_cndmask_b32_e64 v11, 0, v11, s0
	v_cmp_gt_i32_e64 s0, s21, v64
	v_cndmask_b32_e64 v10, 0, v10, s0
	v_cmp_gt_i32_e64 s0, s10, v68
	s_delay_alu instid0(VALU_DEP_1) | instskip(SKIP_1) | instid1(VALU_DEP_1)
	v_cndmask_b32_e64 v13, 0, v13, s0
	v_cmp_gt_i32_e64 s0, s21, v67
	v_cndmask_b32_e64 v12, 0, v12, s0
	s_or_b32 exec_lo, exec_lo, s11
	global_load_b128 v[14:17], v[38:39], off offset:1024
	s_wait_xcnt 0x0
	s_and_saveexec_b32 s11, vcc_lo
	s_cbranch_execz .LBB29_43
.LBB29_52:                              ;   in Loop: Header=BB29_40 Depth=1
	v_cmp_gt_i32_e64 s0, s10, v69
	s_wait_loadcnt 0x0
	s_delay_alu instid0(VALU_DEP_1) | instskip(SKIP_1) | instid1(VALU_DEP_1)
	v_cndmask_b32_e64 v15, 0, v15, s0
	v_cmp_gt_i32_e64 s0, s21, v64
	v_cndmask_b32_e64 v14, 0, v14, s0
	v_cmp_gt_i32_e64 s0, s10, v68
	s_delay_alu instid0(VALU_DEP_1) | instskip(SKIP_1) | instid1(VALU_DEP_1)
	v_cndmask_b32_e64 v17, 0, v17, s0
	v_cmp_gt_i32_e64 s0, s21, v67
	v_cndmask_b32_e64 v16, 0, v16, s0
	s_or_b32 exec_lo, exec_lo, s11
	global_load_b128 v[18:21], v[38:39], off offset:1536
	s_wait_xcnt 0x0
	s_and_saveexec_b32 s11, vcc_lo
	s_cbranch_execz .LBB29_44
.LBB29_53:                              ;   in Loop: Header=BB29_40 Depth=1
	v_cmp_gt_i32_e64 s0, s10, v69
	s_wait_loadcnt 0x0
	s_delay_alu instid0(VALU_DEP_1) | instskip(SKIP_1) | instid1(VALU_DEP_1)
	v_cndmask_b32_e64 v19, 0, v19, s0
	v_cmp_gt_i32_e64 s0, s21, v64
	v_cndmask_b32_e64 v18, 0, v18, s0
	v_cmp_gt_i32_e64 s0, s10, v68
	s_delay_alu instid0(VALU_DEP_1) | instskip(SKIP_1) | instid1(VALU_DEP_1)
	v_cndmask_b32_e64 v21, 0, v21, s0
	v_cmp_gt_i32_e64 s0, s21, v67
	v_cndmask_b32_e64 v20, 0, v20, s0
	s_or_b32 exec_lo, exec_lo, s11
	global_load_b128 v[22:25], v[38:39], off offset:2048
	s_wait_xcnt 0x0
	s_and_saveexec_b32 s11, vcc_lo
	s_cbranch_execz .LBB29_45
.LBB29_54:                              ;   in Loop: Header=BB29_40 Depth=1
	v_cmp_gt_i32_e64 s0, s10, v69
	s_wait_loadcnt 0x0
	s_delay_alu instid0(VALU_DEP_1) | instskip(SKIP_1) | instid1(VALU_DEP_1)
	v_cndmask_b32_e64 v23, 0, v23, s0
	v_cmp_gt_i32_e64 s0, s21, v64
	v_cndmask_b32_e64 v22, 0, v22, s0
	v_cmp_gt_i32_e64 s0, s10, v68
	s_delay_alu instid0(VALU_DEP_1) | instskip(SKIP_1) | instid1(VALU_DEP_1)
	v_cndmask_b32_e64 v25, 0, v25, s0
	v_cmp_gt_i32_e64 s0, s21, v67
	v_cndmask_b32_e64 v24, 0, v24, s0
	s_or_b32 exec_lo, exec_lo, s11
	global_load_b128 v[26:29], v[38:39], off offset:2560
	s_wait_xcnt 0x0
	s_and_saveexec_b32 s11, vcc_lo
	s_cbranch_execz .LBB29_46
.LBB29_55:                              ;   in Loop: Header=BB29_40 Depth=1
	v_cmp_gt_i32_e64 s0, s10, v69
	s_wait_loadcnt 0x0
	s_delay_alu instid0(VALU_DEP_1) | instskip(SKIP_1) | instid1(VALU_DEP_1)
	v_cndmask_b32_e64 v27, 0, v27, s0
	v_cmp_gt_i32_e64 s0, s21, v64
	v_cndmask_b32_e64 v26, 0, v26, s0
	v_cmp_gt_i32_e64 s0, s10, v68
	s_delay_alu instid0(VALU_DEP_1) | instskip(SKIP_1) | instid1(VALU_DEP_1)
	v_cndmask_b32_e64 v29, 0, v29, s0
	v_cmp_gt_i32_e64 s0, s21, v67
	v_cndmask_b32_e64 v28, 0, v28, s0
	s_or_b32 exec_lo, exec_lo, s11
	global_load_b128 v[30:33], v[38:39], off offset:3072
	s_wait_xcnt 0x0
	s_and_saveexec_b32 s11, vcc_lo
	s_cbranch_execz .LBB29_47
.LBB29_56:                              ;   in Loop: Header=BB29_40 Depth=1
	v_cmp_gt_i32_e64 s0, s10, v69
	s_wait_loadcnt 0x0
	s_delay_alu instid0(VALU_DEP_1) | instskip(SKIP_1) | instid1(VALU_DEP_1)
	v_cndmask_b32_e64 v31, 0, v31, s0
	v_cmp_gt_i32_e64 s0, s21, v64
	v_cndmask_b32_e64 v30, 0, v30, s0
	v_cmp_gt_i32_e64 s0, s10, v68
	s_delay_alu instid0(VALU_DEP_1) | instskip(SKIP_1) | instid1(VALU_DEP_1)
	v_cndmask_b32_e64 v33, 0, v33, s0
	v_cmp_gt_i32_e64 s0, s21, v67
	v_cndmask_b32_e64 v32, 0, v32, s0
	s_or_b32 exec_lo, exec_lo, s11
	global_load_b128 v[34:37], v[38:39], off offset:3584
	s_wait_xcnt 0x0
	s_and_saveexec_b32 s11, vcc_lo
	s_cbranch_execz .LBB29_48
.LBB29_57:                              ;   in Loop: Header=BB29_40 Depth=1
	v_cmp_gt_i32_e64 s0, s10, v69
	s_wait_loadcnt 0x0
	s_delay_alu instid0(VALU_DEP_1) | instskip(SKIP_1) | instid1(VALU_DEP_1)
	v_cndmask_b32_e64 v35, 0, v35, s0
	v_cmp_gt_i32_e64 s0, s21, v64
	v_cndmask_b32_e64 v34, 0, v34, s0
	v_cmp_gt_i32_e64 s0, s10, v68
	s_delay_alu instid0(VALU_DEP_1) | instskip(SKIP_1) | instid1(VALU_DEP_1)
	v_cndmask_b32_e64 v37, 0, v37, s0
	v_cmp_gt_i32_e64 s0, s21, v67
	v_cndmask_b32_e64 v36, 0, v36, s0
	s_or_b32 exec_lo, exec_lo, s11
	global_load_b128 v[42:45], v[38:39], off offset:4096
	s_wait_xcnt 0x0
	s_and_saveexec_b32 s11, vcc_lo
	s_cbranch_execz .LBB29_49
.LBB29_58:                              ;   in Loop: Header=BB29_40 Depth=1
	v_cmp_gt_i32_e64 s0, s10, v69
	s_wait_loadcnt 0x0
	s_delay_alu instid0(VALU_DEP_1) | instskip(SKIP_1) | instid1(VALU_DEP_1)
	v_cndmask_b32_e64 v43, 0, v43, s0
	v_cmp_gt_i32_e64 s0, s21, v64
	v_cndmask_b32_e64 v42, 0, v42, s0
	v_cmp_gt_i32_e64 s0, s10, v68
	s_delay_alu instid0(VALU_DEP_1) | instskip(SKIP_1) | instid1(VALU_DEP_1)
	v_cndmask_b32_e64 v45, 0, v45, s0
	v_cmp_gt_i32_e64 s0, s21, v67
	v_cndmask_b32_e64 v44, 0, v44, s0
	s_or_b32 exec_lo, exec_lo, s11
	global_load_b128 v[38:41], v[38:39], off offset:4608
	s_wait_xcnt 0x0
	s_and_saveexec_b32 s0, vcc_lo
	s_cbranch_execz .LBB29_39
.LBB29_59:                              ;   in Loop: Header=BB29_40 Depth=1
	v_cmp_gt_i32_e32 vcc_lo, s10, v69
	s_wait_loadcnt 0x0
	v_cndmask_b32_e32 v39, 0, v39, vcc_lo
	v_cmp_gt_i32_e32 vcc_lo, s21, v64
	v_cndmask_b32_e32 v38, 0, v38, vcc_lo
	v_cmp_gt_i32_e32 vcc_lo, s10, v68
	;; [unrolled: 2-line block ×3, first 2 shown]
	v_cndmask_b32_e32 v40, 0, v40, vcc_lo
	s_branch .LBB29_39
.LBB29_60:
	s_or_b32 exec_lo, exec_lo, s5
.LBB29_61:
	s_delay_alu instid0(SALU_CYCLE_1)
	s_or_b32 exec_lo, exec_lo, s1
	ds_bpermute_b32 v2, v61, v54
	ds_bpermute_b32 v3, v61, v55
	;; [unrolled: 1-line block ×10, first 2 shown]
	v_and_b32_e32 v15, 0x3c3, v0
	s_mov_b32 s0, exec_lo
	v_and_b32_e32 v14, 28, v60
	s_wait_dscnt 0x0
	s_barrier_signal -1
	s_barrier_wait -1
	v_pk_add_f32 v[2:3], v[54:55], v[2:3]
	v_pk_add_f32 v[4:5], v[52:53], v[4:5]
	;; [unrolled: 1-line block ×3, first 2 shown]
	ds_bpermute_b32 v6, v62, v2
	v_pk_add_f32 v[18:19], v[48:49], v[8:9]
	ds_bpermute_b32 v7, v62, v3
	v_pk_add_f32 v[10:11], v[46:47], v[10:11]
	ds_bpermute_b32 v20, v62, v4
	ds_bpermute_b32 v21, v62, v5
	;; [unrolled: 1-line block ×8, first 2 shown]
	s_wait_dscnt 0x8
	v_pk_add_f32 v[8:9], v[2:3], v[6:7]
	s_wait_dscnt 0x6
	v_pk_add_f32 v[6:7], v[4:5], v[20:21]
	;; [unrolled: 2-line block ×4, first 2 shown]
	v_cmpx_ne_u32_e32 64, v15
	s_xor_b32 s0, exec_lo, s0
	s_delay_alu instid0(SALU_CYCLE_1)
	s_or_saveexec_b32 s0, s0
	s_wait_dscnt 0x0
	v_pk_add_f32 v[10:11], v[10:11], v[12:13]
	v_lshrrev_b32_e32 v13, 2, v60
	v_add_nc_u32_e32 v12, 0x160, v14
	v_mul_u32_u24_e32 v1, 0x140, v1
	s_xor_b32 exec_lo, exec_lo, s0
	s_cbranch_execz .LBB29_63
; %bb.62:
	s_delay_alu instid0(VALU_DEP_1) | instskip(NEXT) | instid1(VALU_DEP_1)
	v_add_nc_u32_e32 v14, v12, v1
	v_add_nc_u32_e32 v15, 0xfffffd80, v14
	;; [unrolled: 1-line block ×11, first 2 shown]
	ds_store_b32 v15, v8
	ds_store_b32 v16, v9
	;; [unrolled: 1-line block ×10, first 2 shown]
.LBB29_63:
	s_or_b32 exec_lo, exec_lo, s0
	v_lshlrev_b32_e32 v13, 2, v13
	s_mov_b32 s1, exec_lo
	v_cmp_eq_u32_e32 vcc_lo, 0, v63
	s_wait_dscnt 0x0
	s_barrier_signal -1
	v_add3_u32 v1, 0x160, v1, v13
	s_barrier_wait -1
	v_cmpx_gt_u32_e32 64, v0
	s_cbranch_execz .LBB29_76
; %bb.64:
	s_and_saveexec_b32 s0, vcc_lo
	s_cbranch_execnz .LBB29_94
; %bb.65:
	s_or_b32 exec_lo, exec_lo, s0
	s_and_saveexec_b32 s0, vcc_lo
	s_cbranch_execnz .LBB29_95
.LBB29_66:
	s_or_b32 exec_lo, exec_lo, s0
	s_and_saveexec_b32 s0, vcc_lo
	s_cbranch_execnz .LBB29_96
.LBB29_67:
	s_or_b32 exec_lo, exec_lo, s0
	s_and_saveexec_b32 s0, vcc_lo
	s_cbranch_execnz .LBB29_97
.LBB29_68:
	s_or_b32 exec_lo, exec_lo, s0
	s_and_saveexec_b32 s0, vcc_lo
	s_cbranch_execnz .LBB29_98
.LBB29_69:
	s_or_b32 exec_lo, exec_lo, s0
	s_and_saveexec_b32 s0, vcc_lo
	s_cbranch_execnz .LBB29_99
.LBB29_70:
	s_or_b32 exec_lo, exec_lo, s0
	s_and_saveexec_b32 s0, vcc_lo
	s_cbranch_execnz .LBB29_100
.LBB29_71:
	s_or_b32 exec_lo, exec_lo, s0
	s_and_saveexec_b32 s0, vcc_lo
	s_cbranch_execnz .LBB29_101
.LBB29_72:
	s_or_b32 exec_lo, exec_lo, s0
	s_and_saveexec_b32 s0, vcc_lo
	s_cbranch_execnz .LBB29_102
.LBB29_73:
	s_or_b32 exec_lo, exec_lo, s0
	s_and_saveexec_b32 s0, vcc_lo
	s_cbranch_execz .LBB29_75
.LBB29_74:
	ds_load_b32 v13, v1 offset:288
	s_wait_dscnt 0x0
	v_add_f32_e32 v11, v11, v13
.LBB29_75:
	s_or_b32 exec_lo, exec_lo, s0
.LBB29_76:
	s_delay_alu instid0(SALU_CYCLE_1) | instskip(SKIP_4) | instid1(VALU_DEP_1)
	s_or_b32 exec_lo, exec_lo, s1
	v_and_b32_e32 v13, 0x3e3, v0
	s_mov_b32 s1, exec_lo
	s_barrier_signal -1
	s_barrier_wait -1
	v_cmpx_eq_u32_e32 32, v13
	s_cbranch_execz .LBB29_78
; %bb.77:
	ds_store_2addr_b32 v12, v8, v9 offset1:8
	ds_store_2addr_b32 v12, v6, v7 offset0:16 offset1:24
	ds_store_2addr_b32 v12, v4, v5 offset0:32 offset1:40
	;; [unrolled: 1-line block ×4, first 2 shown]
.LBB29_78:
	s_or_b32 exec_lo, exec_lo, s1
	s_delay_alu instid0(SALU_CYCLE_1)
	s_mov_b32 s1, exec_lo
	s_wait_dscnt 0x0
	s_barrier_signal -1
	s_barrier_wait -1
	v_cmpx_gt_u32_e32 32, v0
	s_cbranch_execz .LBB29_91
; %bb.79:
	s_and_saveexec_b32 s0, vcc_lo
	s_cbranch_execnz .LBB29_103
; %bb.80:
	s_or_b32 exec_lo, exec_lo, s0
	s_and_saveexec_b32 s0, vcc_lo
	s_cbranch_execnz .LBB29_104
.LBB29_81:
	s_or_b32 exec_lo, exec_lo, s0
	s_and_saveexec_b32 s0, vcc_lo
	s_cbranch_execnz .LBB29_105
.LBB29_82:
	s_or_b32 exec_lo, exec_lo, s0
	s_and_saveexec_b32 s0, vcc_lo
	s_cbranch_execnz .LBB29_106
.LBB29_83:
	s_or_b32 exec_lo, exec_lo, s0
	s_and_saveexec_b32 s0, vcc_lo
	s_cbranch_execnz .LBB29_107
.LBB29_84:
	s_or_b32 exec_lo, exec_lo, s0
	s_and_saveexec_b32 s0, vcc_lo
	s_cbranch_execnz .LBB29_108
.LBB29_85:
	s_or_b32 exec_lo, exec_lo, s0
	s_and_saveexec_b32 s0, vcc_lo
	s_cbranch_execnz .LBB29_109
.LBB29_86:
	s_or_b32 exec_lo, exec_lo, s0
	s_and_saveexec_b32 s0, vcc_lo
	s_cbranch_execnz .LBB29_110
.LBB29_87:
	s_or_b32 exec_lo, exec_lo, s0
	s_and_saveexec_b32 s0, vcc_lo
	s_cbranch_execnz .LBB29_111
.LBB29_88:
	s_or_b32 exec_lo, exec_lo, s0
	s_and_saveexec_b32 s0, vcc_lo
	s_cbranch_execz .LBB29_90
.LBB29_89:
	ds_load_b32 v1, v1 offset:288
	s_wait_dscnt 0x0
	v_add_f32_e32 v11, v11, v1
.LBB29_90:
	s_or_b32 exec_lo, exec_lo, s0
.LBB29_91:
	s_delay_alu instid0(SALU_CYCLE_1)
	s_or_b32 exec_lo, exec_lo, s1
	s_mov_b32 s1, 0
	s_barrier_signal -1
	s_barrier_wait -1
	s_mov_b32 s0, exec_lo
	v_cmpx_eq_u32_e32 0, v13
	s_cbranch_execz .LBB29_93
; %bb.92:
	s_wait_kmcnt 0x0
	s_mul_i32 s0, s20, s9
	s_mul_i32 s2, s9, s8
	;; [unrolled: 1-line block ×3, first 2 shown]
	s_lshr_b32 s8, ttmp7, 16
	s_mul_i32 s4, s0, 0x50
	s_bfe_u32 s0, ttmp6, 0x40014
	s_ashr_i32 s5, s4, 31
	s_add_co_i32 s0, s0, 1
	s_ashr_i32 s3, s2, 31
	s_mul_i32 s0, s8, s0
	s_bfe_u32 s9, ttmp6, 0x40008
	s_lshl_b64 s[4:5], s[4:5], 2
	s_lshl_b64 s[2:3], s[2:3], 2
	s_add_co_i32 s9, s9, s0
	s_cmp_eq_u32 s18, 0
	s_add_nc_u64 s[4:5], s[6:7], s[4:5]
	s_cselect_b32 s0, s8, s9
	s_add_nc_u64 s[2:3], s[4:5], s[2:3]
	s_mulk_i32 s0, 0x140
	s_delay_alu instid0(SALU_CYCLE_1)
	s_add_nc_u64 s[0:1], s[2:3], s[0:1]
	s_clause 0x9
	global_store_b32 v0, v8, s[0:1]
	global_store_b32 v0, v9, s[0:1] offset:32
	global_store_b32 v0, v6, s[0:1] offset:64
	;; [unrolled: 1-line block ×9, first 2 shown]
.LBB29_93:
	s_sendmsg sendmsg(MSG_DEALLOC_VGPRS)
	s_endpgm
.LBB29_94:
	ds_load_b32 v13, v1
	s_wait_dscnt 0x0
	v_add_f32_e32 v8, v8, v13
	s_or_b32 exec_lo, exec_lo, s0
	s_and_saveexec_b32 s0, vcc_lo
	s_cbranch_execz .LBB29_66
.LBB29_95:
	ds_load_b32 v13, v1 offset:32
	s_wait_dscnt 0x0
	v_add_f32_e32 v9, v9, v13
	s_or_b32 exec_lo, exec_lo, s0
	s_and_saveexec_b32 s0, vcc_lo
	s_cbranch_execz .LBB29_67
.LBB29_96:
	ds_load_b32 v13, v1 offset:64
	s_wait_dscnt 0x0
	v_add_f32_e32 v6, v6, v13
	s_or_b32 exec_lo, exec_lo, s0
	s_and_saveexec_b32 s0, vcc_lo
	s_cbranch_execz .LBB29_68
.LBB29_97:
	ds_load_b32 v13, v1 offset:96
	s_wait_dscnt 0x0
	v_add_f32_e32 v7, v7, v13
	s_or_b32 exec_lo, exec_lo, s0
	s_and_saveexec_b32 s0, vcc_lo
	s_cbranch_execz .LBB29_69
.LBB29_98:
	ds_load_b32 v13, v1 offset:128
	s_wait_dscnt 0x0
	v_add_f32_e32 v4, v4, v13
	s_or_b32 exec_lo, exec_lo, s0
	s_and_saveexec_b32 s0, vcc_lo
	s_cbranch_execz .LBB29_70
.LBB29_99:
	ds_load_b32 v13, v1 offset:160
	s_wait_dscnt 0x0
	v_add_f32_e32 v5, v5, v13
	s_or_b32 exec_lo, exec_lo, s0
	s_and_saveexec_b32 s0, vcc_lo
	s_cbranch_execz .LBB29_71
.LBB29_100:
	ds_load_b32 v13, v1 offset:192
	s_wait_dscnt 0x0
	v_add_f32_e32 v2, v2, v13
	s_or_b32 exec_lo, exec_lo, s0
	s_and_saveexec_b32 s0, vcc_lo
	s_cbranch_execz .LBB29_72
.LBB29_101:
	ds_load_b32 v13, v1 offset:224
	s_wait_dscnt 0x0
	v_add_f32_e32 v3, v3, v13
	s_or_b32 exec_lo, exec_lo, s0
	s_and_saveexec_b32 s0, vcc_lo
	s_cbranch_execz .LBB29_73
.LBB29_102:
	ds_load_b32 v13, v1 offset:256
	s_wait_dscnt 0x0
	v_add_f32_e32 v10, v10, v13
	s_or_b32 exec_lo, exec_lo, s0
	s_and_saveexec_b32 s0, vcc_lo
	s_cbranch_execnz .LBB29_74
	s_branch .LBB29_75
.LBB29_103:
	ds_load_b32 v12, v1
	s_wait_dscnt 0x0
	v_add_f32_e32 v8, v8, v12
	s_or_b32 exec_lo, exec_lo, s0
	s_and_saveexec_b32 s0, vcc_lo
	s_cbranch_execz .LBB29_81
.LBB29_104:
	ds_load_b32 v12, v1 offset:32
	s_wait_dscnt 0x0
	v_add_f32_e32 v9, v9, v12
	s_or_b32 exec_lo, exec_lo, s0
	s_and_saveexec_b32 s0, vcc_lo
	s_cbranch_execz .LBB29_82
.LBB29_105:
	ds_load_b32 v12, v1 offset:64
	s_wait_dscnt 0x0
	v_add_f32_e32 v6, v6, v12
	s_or_b32 exec_lo, exec_lo, s0
	s_and_saveexec_b32 s0, vcc_lo
	s_cbranch_execz .LBB29_83
.LBB29_106:
	ds_load_b32 v12, v1 offset:96
	s_wait_dscnt 0x0
	v_add_f32_e32 v7, v7, v12
	s_or_b32 exec_lo, exec_lo, s0
	s_and_saveexec_b32 s0, vcc_lo
	s_cbranch_execz .LBB29_84
.LBB29_107:
	ds_load_b32 v12, v1 offset:128
	s_wait_dscnt 0x0
	v_add_f32_e32 v4, v4, v12
	s_or_b32 exec_lo, exec_lo, s0
	s_and_saveexec_b32 s0, vcc_lo
	s_cbranch_execz .LBB29_85
.LBB29_108:
	ds_load_b32 v12, v1 offset:160
	s_wait_dscnt 0x0
	v_add_f32_e32 v5, v5, v12
	s_or_b32 exec_lo, exec_lo, s0
	s_and_saveexec_b32 s0, vcc_lo
	s_cbranch_execz .LBB29_86
.LBB29_109:
	ds_load_b32 v12, v1 offset:192
	s_wait_dscnt 0x0
	v_add_f32_e32 v2, v2, v12
	s_or_b32 exec_lo, exec_lo, s0
	s_and_saveexec_b32 s0, vcc_lo
	s_cbranch_execz .LBB29_87
.LBB29_110:
	ds_load_b32 v12, v1 offset:224
	s_wait_dscnt 0x0
	v_add_f32_e32 v3, v3, v12
	s_or_b32 exec_lo, exec_lo, s0
	s_and_saveexec_b32 s0, vcc_lo
	s_cbranch_execz .LBB29_88
.LBB29_111:
	ds_load_b32 v12, v1 offset:256
	s_wait_dscnt 0x0
	v_add_f32_e32 v10, v10, v12
	s_or_b32 exec_lo, exec_lo, s0
	s_and_saveexec_b32 s0, vcc_lo
	s_cbranch_execnz .LBB29_89
	s_branch .LBB29_90
	.section	.rodata,"a",@progbits
	.p2align	6, 0x0
	.amdhsa_kernel _ZN4vllm25paged_attention_v1_kernelIffLi80ELi16ELi128ELNS_18Fp8KVCacheDataTypeE0ELb0EEEvPT_PKS2_PKT0_S8_ifPKiSA_iPKfiiiSC_SC_iiiii
		.amdhsa_group_segment_fixed_size 352
		.amdhsa_private_segment_fixed_size 0
		.amdhsa_kernarg_size 384
		.amdhsa_user_sgpr_count 2
		.amdhsa_user_sgpr_dispatch_ptr 0
		.amdhsa_user_sgpr_queue_ptr 0
		.amdhsa_user_sgpr_kernarg_segment_ptr 1
		.amdhsa_user_sgpr_dispatch_id 0
		.amdhsa_user_sgpr_kernarg_preload_length 0
		.amdhsa_user_sgpr_kernarg_preload_offset 0
		.amdhsa_user_sgpr_private_segment_size 0
		.amdhsa_wavefront_size32 1
		.amdhsa_uses_dynamic_stack 0
		.amdhsa_enable_private_segment 0
		.amdhsa_system_sgpr_workgroup_id_x 1
		.amdhsa_system_sgpr_workgroup_id_y 1
		.amdhsa_system_sgpr_workgroup_id_z 1
		.amdhsa_system_sgpr_workgroup_info 0
		.amdhsa_system_vgpr_workitem_id 0
		.amdhsa_next_free_vgpr 86
		.amdhsa_next_free_sgpr 30
		.amdhsa_named_barrier_count 0
		.amdhsa_reserve_vcc 1
		.amdhsa_float_round_mode_32 0
		.amdhsa_float_round_mode_16_64 0
		.amdhsa_float_denorm_mode_32 3
		.amdhsa_float_denorm_mode_16_64 3
		.amdhsa_fp16_overflow 0
		.amdhsa_memory_ordered 1
		.amdhsa_forward_progress 1
		.amdhsa_inst_pref_size 54
		.amdhsa_round_robin_scheduling 0
		.amdhsa_exception_fp_ieee_invalid_op 0
		.amdhsa_exception_fp_denorm_src 0
		.amdhsa_exception_fp_ieee_div_zero 0
		.amdhsa_exception_fp_ieee_overflow 0
		.amdhsa_exception_fp_ieee_underflow 0
		.amdhsa_exception_fp_ieee_inexact 0
		.amdhsa_exception_int_div_zero 0
	.end_amdhsa_kernel
	.section	.text._ZN4vllm25paged_attention_v1_kernelIffLi80ELi16ELi128ELNS_18Fp8KVCacheDataTypeE0ELb0EEEvPT_PKS2_PKT0_S8_ifPKiSA_iPKfiiiSC_SC_iiiii,"axG",@progbits,_ZN4vllm25paged_attention_v1_kernelIffLi80ELi16ELi128ELNS_18Fp8KVCacheDataTypeE0ELb0EEEvPT_PKS2_PKT0_S8_ifPKiSA_iPKfiiiSC_SC_iiiii,comdat
.Lfunc_end29:
	.size	_ZN4vllm25paged_attention_v1_kernelIffLi80ELi16ELi128ELNS_18Fp8KVCacheDataTypeE0ELb0EEEvPT_PKS2_PKT0_S8_ifPKiSA_iPKfiiiSC_SC_iiiii, .Lfunc_end29-_ZN4vllm25paged_attention_v1_kernelIffLi80ELi16ELi128ELNS_18Fp8KVCacheDataTypeE0ELb0EEEvPT_PKS2_PKT0_S8_ifPKiSA_iPKfiiiSC_SC_iiiii
                                        ; -- End function
	.set _ZN4vllm25paged_attention_v1_kernelIffLi80ELi16ELi128ELNS_18Fp8KVCacheDataTypeE0ELb0EEEvPT_PKS2_PKT0_S8_ifPKiSA_iPKfiiiSC_SC_iiiii.num_vgpr, 86
	.set _ZN4vllm25paged_attention_v1_kernelIffLi80ELi16ELi128ELNS_18Fp8KVCacheDataTypeE0ELb0EEEvPT_PKS2_PKT0_S8_ifPKiSA_iPKfiiiSC_SC_iiiii.num_agpr, 0
	.set _ZN4vllm25paged_attention_v1_kernelIffLi80ELi16ELi128ELNS_18Fp8KVCacheDataTypeE0ELb0EEEvPT_PKS2_PKT0_S8_ifPKiSA_iPKfiiiSC_SC_iiiii.numbered_sgpr, 30
	.set _ZN4vllm25paged_attention_v1_kernelIffLi80ELi16ELi128ELNS_18Fp8KVCacheDataTypeE0ELb0EEEvPT_PKS2_PKT0_S8_ifPKiSA_iPKfiiiSC_SC_iiiii.num_named_barrier, 0
	.set _ZN4vllm25paged_attention_v1_kernelIffLi80ELi16ELi128ELNS_18Fp8KVCacheDataTypeE0ELb0EEEvPT_PKS2_PKT0_S8_ifPKiSA_iPKfiiiSC_SC_iiiii.private_seg_size, 0
	.set _ZN4vllm25paged_attention_v1_kernelIffLi80ELi16ELi128ELNS_18Fp8KVCacheDataTypeE0ELb0EEEvPT_PKS2_PKT0_S8_ifPKiSA_iPKfiiiSC_SC_iiiii.uses_vcc, 1
	.set _ZN4vllm25paged_attention_v1_kernelIffLi80ELi16ELi128ELNS_18Fp8KVCacheDataTypeE0ELb0EEEvPT_PKS2_PKT0_S8_ifPKiSA_iPKfiiiSC_SC_iiiii.uses_flat_scratch, 0
	.set _ZN4vllm25paged_attention_v1_kernelIffLi80ELi16ELi128ELNS_18Fp8KVCacheDataTypeE0ELb0EEEvPT_PKS2_PKT0_S8_ifPKiSA_iPKfiiiSC_SC_iiiii.has_dyn_sized_stack, 0
	.set _ZN4vllm25paged_attention_v1_kernelIffLi80ELi16ELi128ELNS_18Fp8KVCacheDataTypeE0ELb0EEEvPT_PKS2_PKT0_S8_ifPKiSA_iPKfiiiSC_SC_iiiii.has_recursion, 0
	.set _ZN4vllm25paged_attention_v1_kernelIffLi80ELi16ELi128ELNS_18Fp8KVCacheDataTypeE0ELb0EEEvPT_PKS2_PKT0_S8_ifPKiSA_iPKfiiiSC_SC_iiiii.has_indirect_call, 0
	.section	.AMDGPU.csdata,"",@progbits
; Kernel info:
; codeLenInByte = 6856
; TotalNumSgprs: 32
; NumVgprs: 86
; ScratchSize: 0
; MemoryBound: 0
; FloatMode: 240
; IeeeMode: 1
; LDSByteSize: 352 bytes/workgroup (compile time only)
; SGPRBlocks: 0
; VGPRBlocks: 5
; NumSGPRsForWavesPerEU: 32
; NumVGPRsForWavesPerEU: 86
; NamedBarCnt: 0
; Occupancy: 10
; WaveLimiterHint : 1
; COMPUTE_PGM_RSRC2:SCRATCH_EN: 0
; COMPUTE_PGM_RSRC2:USER_SGPR: 2
; COMPUTE_PGM_RSRC2:TRAP_HANDLER: 0
; COMPUTE_PGM_RSRC2:TGID_X_EN: 1
; COMPUTE_PGM_RSRC2:TGID_Y_EN: 1
; COMPUTE_PGM_RSRC2:TGID_Z_EN: 1
; COMPUTE_PGM_RSRC2:TIDIG_COMP_CNT: 0
	.section	.text._ZN4vllm25paged_attention_v1_kernelIffLi96ELi16ELi128ELNS_18Fp8KVCacheDataTypeE0ELb0EEEvPT_PKS2_PKT0_S8_ifPKiSA_iPKfiiiSC_SC_iiiii,"axG",@progbits,_ZN4vllm25paged_attention_v1_kernelIffLi96ELi16ELi128ELNS_18Fp8KVCacheDataTypeE0ELb0EEEvPT_PKS2_PKT0_S8_ifPKiSA_iPKfiiiSC_SC_iiiii,comdat
	.protected	_ZN4vllm25paged_attention_v1_kernelIffLi96ELi16ELi128ELNS_18Fp8KVCacheDataTypeE0ELb0EEEvPT_PKS2_PKT0_S8_ifPKiSA_iPKfiiiSC_SC_iiiii ; -- Begin function _ZN4vllm25paged_attention_v1_kernelIffLi96ELi16ELi128ELNS_18Fp8KVCacheDataTypeE0ELb0EEEvPT_PKS2_PKT0_S8_ifPKiSA_iPKfiiiSC_SC_iiiii
	.globl	_ZN4vllm25paged_attention_v1_kernelIffLi96ELi16ELi128ELNS_18Fp8KVCacheDataTypeE0ELb0EEEvPT_PKS2_PKT0_S8_ifPKiSA_iPKfiiiSC_SC_iiiii
	.p2align	8
	.type	_ZN4vllm25paged_attention_v1_kernelIffLi96ELi16ELi128ELNS_18Fp8KVCacheDataTypeE0ELb0EEEvPT_PKS2_PKT0_S8_ifPKiSA_iPKfiiiSC_SC_iiiii,@function
_ZN4vllm25paged_attention_v1_kernelIffLi96ELi16ELi128ELNS_18Fp8KVCacheDataTypeE0ELb0EEEvPT_PKS2_PKT0_S8_ifPKiSA_iPKfiiiSC_SC_iiiii: ; @_ZN4vllm25paged_attention_v1_kernelIffLi96ELi16ELi128ELNS_18Fp8KVCacheDataTypeE0ELb0EEEvPT_PKS2_PKT0_S8_ifPKiSA_iPKfiiiSC_SC_iiiii
; %bb.0:
	s_load_b64 s[6:7], s[0:1], 0x20
	s_bfe_u32 s3, ttmp6, 0x4000c
	s_bfe_u32 s5, ttmp6, 0x40010
	s_and_b32 s4, ttmp7, 0xffff
	s_add_co_i32 s3, s3, 1
	s_add_co_i32 s5, s5, 1
	s_and_b32 s2, ttmp6, 15
	s_bfe_u32 s8, ttmp6, 0x40004
	s_mul_i32 s3, ttmp9, s3
	s_mul_i32 s5, s4, s5
	s_getreg_b32 s18, hwreg(HW_REG_IB_STS2, 6, 4)
	s_add_co_i32 s2, s2, s3
	s_add_co_i32 s8, s8, s5
	s_cmp_eq_u32 s18, 0
	s_clause 0x1
	s_load_b32 s19, s[0:1], 0x80
	s_load_b64 s[10:11], s[0:1], 0x30
	s_cselect_b32 s20, s4, s8
	s_cselect_b32 s8, ttmp9, s2
	s_wait_kmcnt 0x0
	s_abs_i32 s2, s6
	s_delay_alu instid0(SALU_CYCLE_1) | instskip(SKIP_1) | instid1(SALU_CYCLE_2)
	s_cvt_f32_u32 s3, s2
	s_sub_co_i32 s4, 0, s2
	v_rcp_iflag_f32_e32 v1, s3
	s_abs_i32 s5, s19
	v_nop
	s_delay_alu instid0(TRANS32_DEP_1) | instskip(SKIP_1) | instid1(SALU_CYCLE_3)
	v_readfirstlane_b32 s3, v1
	s_mul_f32 s3, s3, 0x4f7ffffe
	s_cvt_u32_f32 s3, s3
	s_delay_alu instid0(SALU_CYCLE_3) | instskip(NEXT) | instid1(SALU_CYCLE_1)
	s_mul_i32 s4, s4, s3
	s_mul_hi_u32 s4, s3, s4
	s_delay_alu instid0(SALU_CYCLE_1) | instskip(SKIP_4) | instid1(SALU_CYCLE_1)
	s_add_co_i32 s3, s3, s4
	s_xor_b32 s4, s19, s6
	s_mul_hi_u32 s3, s5, s3
	s_ashr_i32 s4, s4, 31
	s_mul_i32 s6, s3, s2
	s_sub_co_i32 s5, s5, s6
	s_add_co_i32 s6, s3, 1
	s_sub_co_i32 s9, s5, s2
	s_cmp_ge_u32 s5, s2
	s_cselect_b32 s3, s6, s3
	s_cselect_b32 s5, s9, s5
	s_add_co_i32 s6, s3, 1
	s_cmp_ge_u32 s5, s2
	s_cselect_b32 s2, s6, s3
	s_mov_b32 s3, 0
	s_xor_b32 s2, s2, s4
	s_mov_b32 s13, s3
	s_sub_co_i32 s15, s2, s4
	s_load_b64 s[4:5], s[0:1], 0x40
	s_abs_i32 s14, s15
	s_mov_b32 s23, s3
	s_cvt_f32_u32 s2, s14
	s_delay_alu instid0(SALU_CYCLE_3) | instskip(SKIP_1) | instid1(TRANS32_DEP_1)
	v_rcp_iflag_f32_e32 v1, s2
	v_nop
	v_readfirstlane_b32 s2, v1
	s_mul_f32 s2, s2, 0x4f7ffffe
	s_delay_alu instid0(SALU_CYCLE_3) | instskip(SKIP_1) | instid1(SALU_CYCLE_2)
	s_cvt_u32_f32 s6, s2
	s_sub_co_i32 s2, 0, s14
	s_mul_i32 s2, s2, s6
	s_delay_alu instid0(SALU_CYCLE_1)
	s_mul_hi_u32 s9, s6, s2
	s_abs_i32 s2, s8
	s_add_co_i32 s12, s6, s9
	s_wait_kmcnt 0x0
	s_cmp_eq_u64 s[4:5], 0
	s_cbranch_scc1 .LBB30_2
; %bb.1:
	s_ashr_i32 s9, s8, 31
	s_delay_alu instid0(SALU_CYCLE_1) | instskip(NEXT) | instid1(SALU_CYCLE_1)
	s_lshl_b64 s[16:17], s[8:9], 2
	s_add_nc_u64 s[4:5], s[4:5], s[16:17]
	s_load_b32 s23, s[4:5], 0x0
.LBB30_2:
	s_load_b32 s21, s[10:11], s20 offset:0x0 scale_offset
	s_wait_xcnt 0x0
	s_load_b96 s[4:6], s[0:1], 0x48
	v_dual_lshlrev_b32 v66, 2, v0 :: v_dual_bitop2_b32 v54, 1, v0 bitop3:0x40
	s_ashr_i32 s16, s8, 31
	s_ashr_i32 s15, s15, 31
	s_mul_u64 s[10:11], s[2:3], s[12:13]
	s_mulk_i32 s8, 0x60
	s_mov_b32 s3, exec_lo
	v_cmpx_gt_u32_e32 48, v0
	s_cbranch_execz .LBB30_4
; %bb.3:
	s_load_b64 s[12:13], s[0:1], 0x8
	s_wait_kmcnt 0x0
	s_mul_i32 s24, s4, s20
	s_ashr_i32 s9, s8, 31
	s_ashr_i32 s25, s24, 31
	v_and_b32_e32 v1, 0xff8, v66
	s_lshl_b64 s[24:25], s[24:25], 2
	s_delay_alu instid0(VALU_DEP_1) | instskip(SKIP_2) | instid1(SALU_CYCLE_1)
	v_mad_u32_u24 v1, 0xc0, v54, v1
	s_add_nc_u64 s[12:13], s[12:13], s[24:25]
	s_lshl_b64 s[24:25], s[8:9], 2
	s_add_nc_u64 s[12:13], s[12:13], s[24:25]
	global_load_b64 v[2:3], v0, s[12:13] scale_offset
	s_wait_loadcnt 0x0
	ds_store_b64 v1, v[2:3]
.LBB30_4:
	s_or_b32 exec_lo, exec_lo, s3
	s_wait_kmcnt 0x0
	s_add_co_i32 s3, s21, 15
	s_load_b32 s4, s[0:1], 0x38
	s_ashr_i32 s9, s3, 31
	s_mul_i32 s12, s11, s14
	s_lshr_b32 s9, s9, 28
	s_sub_co_i32 s2, s2, s12
	s_add_co_i32 s3, s3, s9
	s_xor_b32 s10, s16, s15
	s_ashr_i32 s22, s3, 4
	s_add_co_i32 s3, s11, 1
	s_sub_co_i32 s9, s2, s14
	s_cmp_ge_u32 s2, s14
	v_lshrrev_b32_e32 v1, 5, v0
	s_cselect_b32 s3, s3, s11
	s_cselect_b32 s2, s9, s2
	s_add_co_i32 s9, s3, 1
	s_cmp_ge_u32 s2, s14
	v_mbcnt_lo_u32_b32 v58, -1, 0
	s_cselect_b32 s2, s9, s3
	s_wait_dscnt 0x0
	s_xor_b32 s2, s2, s10
	s_barrier_signal -1
	s_sub_co_i32 s3, s2, s10
	v_cmp_gt_i32_e64 s2, s22, v1
	s_wait_kmcnt 0x0
	s_mul_i32 s10, s4, s20
	s_mov_b32 s4, exec_lo
	s_ashr_i32 s11, s10, 31
	s_barrier_wait -1
                                        ; implicit-def: $vgpr51
                                        ; implicit-def: $vgpr59
	v_cmpx_le_i32_e64 s22, v1
	s_xor_b32 s4, exec_lo, s4
; %bb.5:
	v_dual_mov_b32 v51, 0 :: v_dual_mov_b32 v59, 32
	v_mbcnt_lo_u32_b32 v58, -1, 0
                                        ; implicit-def: $vgpr54
; %bb.6:
	s_or_saveexec_b32 s24, s4
	s_clause 0x1
	s_load_b64 s[12:13], s[0:1], 0x28
	s_load_b32 s9, s[0:1], 0x88
	v_mov_b32_e32 v50, 0xff7fffff
	v_lshrrev_b32_e32 v68, 3, v0
	s_mul_i32 s14, s3, s6
	s_xor_b32 exec_lo, exec_lo, s24
	s_cbranch_execz .LBB30_12
; %bb.7:
	s_load_b64 s[26:27], s[0:1], 0x10
	v_bfe_u32 v55, v0, 1, 4
	v_dual_mov_b32 v59, 32 :: v_dual_bitop2_b32 v27, 1, v58 bitop3:0x14
	s_ashr_i32 s15, s14, 31
	v_dual_mov_b32 v51, 0 :: v_dual_lshlrev_b32 v26, 3, v0
	v_mul_u32_u24_e32 v46, 0xc0, v54
	v_dual_lshlrev_b32 v50, 4, v55 :: v_dual_lshlrev_b32 v57, 2, v55
	v_cmp_gt_i32_e32 vcc_lo, 32, v27
	s_lshl_b64 s[28:29], s[14:15], 2
	ds_load_b128 v[2:5], v46
	ds_load_b128 v[6:9], v46 offset:16
	ds_load_b128 v[10:13], v46 offset:32
	;; [unrolled: 1-line block ×5, first 2 shown]
	s_ashr_i32 s17, s5, 31
	s_cmp_neq_f32 s23, 0
	v_cndmask_b32_e32 v56, v58, v27, vcc_lo
	v_cmp_eq_u32_e32 vcc_lo, 0, v54
	v_lshl_or_b32 v54, v1, 6, v57
	s_cselect_b32 s3, -1, 0
	v_lshl_or_b32 v61, v1, 4, v55
	s_wait_kmcnt 0x0
	s_add_nc_u64 s[26:27], s[26:27], s[28:29]
	s_mov_b32 s16, s5
	v_add_nc_u64_e32 v[52:53], s[26:27], v[50:51]
	v_and_b32_e32 v50, 8, v26
	ds_load_b128 v[26:29], v46 offset:96
	ds_load_b128 v[30:33], v46 offset:112
	;; [unrolled: 1-line block ×6, first 2 shown]
	s_lshl_b64 s[26:27], s[10:11], 2
	v_add_nc_u32_e32 v62, 0x1a0, v54
	s_add_nc_u64 s[26:27], s[12:13], s[26:27]
	v_dual_mov_b32 v63, v1 :: v_dual_lshlrev_b32 v60, 2, v56
	v_add_nc_u64_e32 v[52:53], v[52:53], v[50:51]
	v_and_b32_e32 v50, 0x7c, v68
	s_mov_b32 s6, 0
	s_sub_co_i32 s15, 1, s21
	s_delay_alu instid0(VALU_DEP_1)
	v_add_nc_u64_e32 v[54:55], s[26:27], v[50:51]
	v_mov_b32_e32 v50, 0xff7fffff
	s_branch .LBB30_9
.LBB30_8:                               ;   in Loop: Header=BB30_9 Depth=1
	s_or_b32 exec_lo, exec_lo, s25
	v_dual_add_nc_u32 v63, 4, v63 :: v_dual_add_nc_u32 v61, 64, v61
	v_add_nc_u64_e32 v[54:55], 16, v[54:55]
	v_add_nc_u32_e32 v62, 0x100, v62
	s_delay_alu instid0(VALU_DEP_3) | instskip(SKIP_1) | instid1(SALU_CYCLE_1)
	v_cmp_le_i32_e64 s4, s22, v63
	s_or_b32 s6, s4, s6
	s_and_not1_b32 exec_lo, exec_lo, s6
	s_cbranch_execz .LBB30_11
.LBB30_9:                               ; =>This Inner Loop Header: Depth=1
	global_load_b32 v56, v[54:55], off
	s_wait_loadcnt_dscnt 0x0
	v_ashrrev_i32_e32 v57, 31, v56
	s_delay_alu instid0(VALU_DEP_1) | instskip(NEXT) | instid1(VALU_DEP_1)
	v_mul_u64_e32 v[56:57], s[16:17], v[56:57]
	v_lshl_add_u64 v[56:57], v[56:57], 2, v[52:53]
	s_clause 0x10
	global_load_b64 v[64:65], v[56:57], off offset:256
	global_load_b64 v[70:71], v[56:57], off offset:512
	;; [unrolled: 1-line block ×3, first 2 shown]
	global_load_b64 v[74:75], v[56:57], off
	global_load_b64 v[76:77], v[56:57], off offset:1024
	global_load_b64 v[78:79], v[56:57], off offset:1280
	;; [unrolled: 1-line block ×13, first 2 shown]
	s_wait_loadcnt_dscnt 0x100b
	v_dual_mul_f32 v69, v5, v65 :: v_dual_mul_f32 v67, v4, v64
	global_load_b64 v[64:65], v[56:57], off offset:4352
	s_wait_loadcnt 0xe
	v_dual_fmac_f32 v69, v3, v75 :: v_dual_fmac_f32 v67, v2, v74
	global_load_b64 v[74:75], v[56:57], off offset:4608
	s_wait_dscnt 0xa
	v_dual_fmac_f32 v69, v7, v71 :: v_dual_fmac_f32 v67, v6, v70
	global_load_b64 v[70:71], v[56:57], off offset:4864
	v_dual_fmac_f32 v69, v9, v73 :: v_dual_fmac_f32 v67, v8, v72
	global_load_b64 v[72:73], v[56:57], off offset:5120
	s_wait_loadcnt_dscnt 0x1009
	v_dual_fmac_f32 v69, v11, v77 :: v_dual_fmac_f32 v67, v10, v76
	global_load_b64 v[76:77], v[56:57], off offset:5376
	s_wait_loadcnt 0x10
	v_dual_fmac_f32 v69, v13, v79 :: v_dual_fmac_f32 v67, v12, v78
	s_clause 0x1
	global_load_b64 v[78:79], v[56:57], off offset:5632
	global_load_b64 v[56:57], v[56:57], off offset:5888
	s_wait_loadcnt_dscnt 0x1108
	v_dual_fmac_f32 v69, v15, v81 :: v_dual_fmac_f32 v67, v14, v80
	s_wait_loadcnt 0x10
	s_delay_alu instid0(VALU_DEP_1) | instskip(SKIP_1) | instid1(VALU_DEP_1)
	v_dual_fmac_f32 v69, v17, v83 :: v_dual_fmac_f32 v67, v16, v82
	s_wait_loadcnt_dscnt 0xf07
	v_dual_fmac_f32 v69, v19, v85 :: v_dual_fmac_f32 v67, v18, v84
	s_wait_loadcnt 0xe
	s_delay_alu instid0(VALU_DEP_1) | instskip(SKIP_1) | instid1(VALU_DEP_1)
	v_dual_fmac_f32 v69, v21, v87 :: v_dual_fmac_f32 v67, v20, v86
	;; [unrolled: 5-line block ×9, first 2 shown]
	s_wait_xcnt 0x0
	v_add_f32_e32 v56, v67, v69
	ds_bpermute_b32 v57, v60, v56
	s_and_saveexec_b32 s25, vcc_lo
	s_cbranch_execz .LBB30_8
; %bb.10:                               ;   in Loop: Header=BB30_9 Depth=1
	s_wait_dscnt 0x0
	v_add_f32_e32 v56, v56, v57
	v_add_nc_u32_e32 v64, s15, v61
	v_cmp_gt_i32_e64 s4, s21, v61
	s_delay_alu instid0(VALU_DEP_2) | instskip(NEXT) | instid1(VALU_DEP_1)
	v_cvt_f32_i32_e32 v64, v64
	v_mul_f32_e32 v64, s23, v64
	s_delay_alu instid0(VALU_DEP_1) | instskip(NEXT) | instid1(VALU_DEP_1)
	v_dual_cndmask_b32 v57, 0, v64, s3 :: v_dual_max_num_f32 v64, v50, v50
	v_fmac_f32_e32 v57, s7, v56
	s_delay_alu instid0(VALU_DEP_1) | instskip(NEXT) | instid1(VALU_DEP_1)
	v_dual_max_num_f32 v56, v64, v57 :: v_dual_cndmask_b32 v57, 0, v57, s4
	v_cndmask_b32_e64 v50, v50, v56, s4
	ds_store_b32 v62, v57
	s_branch .LBB30_8
.LBB30_11:
	s_or_b32 exec_lo, exec_lo, s6
.LBB30_12:
	s_delay_alu instid0(SALU_CYCLE_1)
	s_or_b32 exec_lo, exec_lo, s24
	v_xor_b32_e32 v4, 8, v58
	v_xor_b32_e32 v2, 16, v58
	v_max_num_f32_e32 v5, v50, v50
	s_clause 0x1
	s_load_b64 s[6:7], s[0:1], 0x0
	s_load_b64 s[16:17], s[0:1], 0x18
	v_and_b32_e32 v70, 31, v0
	v_cmp_lt_i32_e32 vcc_lo, v2, v59
	v_cndmask_b32_e32 v2, v58, v2, vcc_lo
	v_cmp_lt_i32_e32 vcc_lo, v4, v59
	s_delay_alu instid0(VALU_DEP_2) | instskip(SKIP_3) | instid1(VALU_DEP_1)
	v_dual_cndmask_b32 v4, v58, v4, vcc_lo :: v_dual_lshlrev_b32 v2, 2, v2
	ds_bpermute_b32 v3, v2, v50
	s_wait_dscnt 0x0
	v_dual_max_num_f32 v6, v3, v3 :: v_dual_lshlrev_b32 v3, 2, v4
	v_max_num_f32_e32 v5, v5, v6
	v_xor_b32_e32 v6, 4, v58
	s_delay_alu instid0(VALU_DEP_1) | instskip(SKIP_4) | instid1(VALU_DEP_1)
	v_cmp_lt_i32_e32 vcc_lo, v6, v59
	v_cndmask_b32_e32 v6, v58, v6, vcc_lo
	ds_bpermute_b32 v4, v3, v5
	s_wait_dscnt 0x0
	v_dual_max_num_f32 v7, v4, v4 :: v_dual_lshlrev_b32 v4, 2, v6
	v_dual_max_num_f32 v5, v5, v7 :: v_dual_bitop2_b32 v7, 2, v58 bitop3:0x14
	ds_bpermute_b32 v6, v4, v5
	s_wait_dscnt 0x0
	v_max_num_f32_e32 v6, v6, v6
	s_delay_alu instid0(VALU_DEP_1) | instskip(SKIP_3) | instid1(VALU_DEP_2)
	v_dual_max_num_f32 v6, v5, v6 :: v_dual_lshlrev_b32 v5, 2, v1
	v_cmp_lt_i32_e32 vcc_lo, v7, v59
	v_cndmask_b32_e32 v7, v58, v7, vcc_lo
	v_cmp_eq_u32_e32 vcc_lo, 0, v70
	v_lshlrev_b32_e32 v71, 2, v7
	ds_bpermute_b32 v7, v71, v6
	s_wait_xcnt 0x0
	s_and_saveexec_b32 s0, vcc_lo
	s_cbranch_execz .LBB30_14
; %bb.13:
	s_wait_dscnt 0x0
	v_dual_max_num_f32 v7, v7, v7 :: v_dual_max_num_f32 v6, v6, v6
	s_delay_alu instid0(VALU_DEP_1)
	v_max_num_f32_e32 v6, v6, v7
	ds_store_b32 v5, v6 offset:384
.LBB30_14:
	s_or_b32 exec_lo, exec_lo, s0
	v_cmp_gt_u32_e64 s0, 4, v70
	s_wait_dscnt 0x0
	v_dual_mov_b32 v7, 0xff7fffff :: v_dual_lshlrev_b32 v6, 2, v70
	s_barrier_signal -1
	s_barrier_wait -1
	s_and_saveexec_b32 s1, s0
; %bb.15:
	ds_load_b32 v7, v6 offset:384
; %bb.16:
	s_or_b32 exec_lo, exec_lo, s1
	s_wait_dscnt 0x0
	ds_bpermute_b32 v8, v71, v7
	v_dual_max_num_f32 v7, v7, v7 :: v_dual_bitop2_b32 v9, 1, v58 bitop3:0x14
	s_delay_alu instid0(VALU_DEP_1) | instskip(NEXT) | instid1(VALU_DEP_1)
	v_cmp_lt_i32_e64 s1, v9, v59
	v_cndmask_b32_e64 v9, v58, v9, s1
	s_lshl_b32 s1, s22, 4
	s_delay_alu instid0(SALU_CYCLE_1) | instskip(NEXT) | instid1(SALU_CYCLE_1)
	s_min_i32 s4, s1, s21
	v_cmp_gt_i32_e64 s1, s4, v0
	s_wait_dscnt 0x0
	v_dual_max_num_f32 v8, v8, v8 :: v_dual_lshlrev_b32 v72, 2, v9
	s_delay_alu instid0(VALU_DEP_1) | instskip(SKIP_3) | instid1(VALU_DEP_1)
	v_max_num_f32_e32 v7, v7, v8
	ds_bpermute_b32 v8, v72, v7
	s_wait_dscnt 0x0
	v_max_num_f32_e32 v8, v8, v8
	v_dual_max_num_f32 v7, v7, v8 :: v_dual_lshlrev_b32 v8, 2, v51
	ds_bpermute_b32 v8, v8, v7
	v_mov_b32_e32 v7, 0
	s_and_saveexec_b32 s15, s1
	s_cbranch_execz .LBB30_20
; %bb.17:
	v_lshl_add_u32 v9, v0, 2, 0x1a0
	v_dual_mov_b32 v7, 0 :: v_dual_mov_b32 v10, v0
	s_mov_b32 s23, 0
.LBB30_18:                              ; =>This Inner Loop Header: Depth=1
	ds_load_b32 v11, v9
	v_add_nc_u32_e32 v10, 0x80, v10
	s_delay_alu instid0(VALU_DEP_1) | instskip(SKIP_3) | instid1(VALU_DEP_1)
	v_cmp_le_i32_e64 s3, s4, v10
	s_or_b32 s23, s3, s23
	s_wait_dscnt 0x0
	v_sub_f32_e32 v11, v11, v8
	v_mul_f32_e32 v11, 0x3fb8aa3b, v11
	s_delay_alu instid0(VALU_DEP_1)
	v_exp_f32_e32 v11, v11
	ds_store_b32 v9, v11
	v_nop
	v_add_f32_e32 v7, v7, v11
	v_add_nc_u32_e32 v9, 0x200, v9
	s_and_not1_b32 exec_lo, exec_lo, s23
	s_cbranch_execnz .LBB30_18
; %bb.19:
	s_or_b32 exec_lo, exec_lo, s23
.LBB30_20:
	s_delay_alu instid0(SALU_CYCLE_1)
	s_or_b32 exec_lo, exec_lo, s15
	ds_bpermute_b32 v2, v2, v7
	s_wait_dscnt 0x0
	v_add_f32_e32 v2, v7, v2
	ds_bpermute_b32 v3, v3, v2
	s_wait_dscnt 0x0
	v_add_f32_e32 v2, v2, v3
	;; [unrolled: 3-line block ×5, first 2 shown]
	s_and_saveexec_b32 s3, vcc_lo
; %bb.21:
	ds_store_b32 v5, v2 offset:400
; %bb.22:
	s_or_b32 exec_lo, exec_lo, s3
	s_wait_dscnt 0x0
	s_barrier_signal -1
	s_barrier_wait -1
	s_and_saveexec_b32 s3, s0
; %bb.23:
	ds_load_b32 v2, v6 offset:400
; %bb.24:
	s_or_b32 exec_lo, exec_lo, s3
	s_wait_dscnt 0x0
	ds_bpermute_b32 v3, v71, v2
	s_wait_dscnt 0x0
	v_dual_lshlrev_b32 v4, 2, v58 :: v_dual_add_f32 v2, v2, v3
	ds_bpermute_b32 v3, v72, v2
	s_wait_dscnt 0x0
	v_add_f32_e32 v2, v2, v3
	v_and_b32_e32 v3, 0xffffff80, v4
	ds_bpermute_b32 v2, v3, v2
	s_and_saveexec_b32 s0, s1
	s_cbranch_execz .LBB30_37
; %bb.25:
	s_wait_dscnt 0x0
	v_add_f32_e32 v2, 0x358637bd, v2
	s_mov_b32 s3, -1
	s_mov_b32 s1, exec_lo
	s_delay_alu instid0(VALU_DEP_1) | instskip(NEXT) | instid1(VALU_DEP_1)
	v_div_scale_f32 v3, null, v2, v2, 1.0
	v_rcp_f32_e32 v5, v3
	v_nop
	s_delay_alu instid0(TRANS32_DEP_1) | instskip(NEXT) | instid1(VALU_DEP_1)
	v_fma_f32 v4, -v3, v5, 1.0
	v_fmac_f32_e32 v5, v4, v5
	v_div_scale_f32 v6, vcc_lo, 1.0, v2, 1.0
	s_delay_alu instid0(VALU_DEP_1) | instskip(NEXT) | instid1(VALU_DEP_1)
	v_mul_f32_e32 v7, v6, v5
	v_fma_f32 v4, -v3, v7, v6
	s_delay_alu instid0(VALU_DEP_1) | instskip(SKIP_1) | instid1(VALU_DEP_2)
	v_fmac_f32_e32 v7, v4, v5
	v_xad_u32 v4, v0, -1, s4
	v_fma_f32 v3, -v3, v7, v6
	s_delay_alu instid0(VALU_DEP_1) | instskip(NEXT) | instid1(VALU_DEP_1)
	v_div_fmas_f32 v3, v3, v5, v7
	v_div_fixup_f32 v2, v3, v2, 1.0
	v_mov_b32_e32 v3, v0
	v_cmpx_lt_u32_e32 0x7f, v4
	s_cbranch_execz .LBB30_34
; %bb.26:
	s_delay_alu instid0(VALU_DEP_3) | instskip(NEXT) | instid1(VALU_DEP_1)
	v_dual_mov_b32 v3, v2 :: v_dual_lshrrev_b32 v4, 7, v4
	v_dual_mov_b32 v8, 0 :: v_dual_add_nc_u32 v5, -1, v4
	s_delay_alu instid0(VALU_DEP_1) | instskip(SKIP_1) | instid1(VALU_DEP_2)
	v_lshrrev_b32_e32 v6, 1, v5
	v_cmp_lt_u32_e32 vcc_lo, 13, v5
	v_add_nc_u32_e32 v5, 1, v6
	s_and_saveexec_b32 s3, vcc_lo
	s_cbranch_execz .LBB30_30
; %bb.27:
	s_delay_alu instid0(VALU_DEP_1)
	v_and_b32_e32 v6, -8, v5
	v_lshl_add_u32 v7, v0, 2, 0x1a0
	s_mov_b32 s15, 0
	s_mov_b32 s23, 0
.LBB30_28:                              ; =>This Inner Loop Header: Depth=1
	ds_load_2addr_stride64_b32 v[8:9], v7 offset1:2
	ds_load_2addr_stride64_b32 v[10:11], v7 offset0:4 offset1:6
	ds_load_2addr_stride64_b32 v[12:13], v7 offset0:8 offset1:10
	;; [unrolled: 1-line block ×7, first 2 shown]
	s_add_co_i32 s23, s23, 16
	v_add_nc_u32_e32 v6, -8, v6
	s_wait_dscnt 0x7
	v_pk_mul_f32 v[8:9], v[2:3], v[8:9]
	s_wait_dscnt 0x6
	v_pk_mul_f32 v[10:11], v[2:3], v[10:11]
	;; [unrolled: 2-line block ×8, first 2 shown]
	ds_store_2addr_stride64_b32 v7, v8, v9 offset1:2
	ds_store_2addr_stride64_b32 v7, v10, v11 offset0:4 offset1:6
	ds_store_2addr_stride64_b32 v7, v12, v13 offset0:8 offset1:10
	;; [unrolled: 1-line block ×7, first 2 shown]
	v_mov_b32_e32 v8, s23
	v_cmp_eq_u32_e32 vcc_lo, 0, v6
	v_add_nc_u32_e32 v7, 0x2000, v7
	s_or_b32 s15, vcc_lo, s15
	s_delay_alu instid0(SALU_CYCLE_1)
	s_and_not1_b32 exec_lo, exec_lo, s15
	s_cbranch_execnz .LBB30_28
; %bb.29:
	s_or_b32 exec_lo, exec_lo, s15
.LBB30_30:
	s_delay_alu instid0(SALU_CYCLE_1) | instskip(NEXT) | instid1(VALU_DEP_1)
	s_or_b32 exec_lo, exec_lo, s3
	v_and_b32_e32 v5, 7, v5
	s_mov_b32 s15, 0
	s_mov_b32 s3, exec_lo
	s_delay_alu instid0(VALU_DEP_1)
	v_cmpx_ne_u32_e32 0, v5
	s_cbranch_execz .LBB30_33
; %bb.31:
	v_lshlrev_b32_e32 v6, 9, v8
	s_delay_alu instid0(VALU_DEP_1)
	v_add3_u32 v6, v6, v66, 0x1a0
.LBB30_32:                              ; =>This Inner Loop Header: Depth=1
	ds_load_2addr_stride64_b32 v[8:9], v6 offset1:2
	v_add_nc_u32_e32 v5, -1, v5
	s_delay_alu instid0(VALU_DEP_1)
	v_cmp_eq_u32_e32 vcc_lo, 0, v5
	s_or_b32 s15, vcc_lo, s15
	s_wait_dscnt 0x0
	v_pk_mul_f32 v[8:9], v[2:3], v[8:9]
	ds_store_2addr_stride64_b32 v6, v8, v9 offset1:2
	v_add_nc_u32_e32 v6, 0x400, v6
	s_and_not1_b32 exec_lo, exec_lo, s15
	s_cbranch_execnz .LBB30_32
.LBB30_33:
	s_or_b32 exec_lo, exec_lo, s3
	v_add_nc_u32_e32 v3, 1, v4
	s_delay_alu instid0(VALU_DEP_1) | instskip(NEXT) | instid1(VALU_DEP_1)
	v_and_b32_e32 v4, 0x3fffffe, v3
	v_cmp_ne_u32_e32 vcc_lo, v3, v4
	v_lshl_add_u32 v3, v4, 7, v0
	s_or_not1_b32 s3, vcc_lo, exec_lo
.LBB30_34:
	s_or_b32 exec_lo, exec_lo, s1
	s_delay_alu instid0(SALU_CYCLE_1)
	s_and_b32 exec_lo, exec_lo, s3
	s_cbranch_execz .LBB30_37
; %bb.35:
	v_lshl_add_u32 v4, v3, 2, 0x1a0
	s_mov_b32 s1, 0
.LBB30_36:                              ; =>This Inner Loop Header: Depth=1
	ds_load_b32 v5, v4
	v_add_nc_u32_e32 v3, 0x80, v3
	s_delay_alu instid0(VALU_DEP_1)
	v_cmp_le_i32_e32 vcc_lo, s4, v3
	s_or_b32 s1, vcc_lo, s1
	s_wait_dscnt 0x0
	v_mul_f32_e32 v5, v2, v5
	ds_store_b32 v4, v5
	v_add_nc_u32_e32 v4, 0x200, v4
	s_and_not1_b32 exec_lo, exec_lo, s1
	s_cbranch_execnz .LBB30_36
.LBB30_37:
	s_or_b32 exec_lo, exec_lo, s0
	v_dual_mov_b32 v55, 0 :: v_dual_bitop2_b32 v73, 3, v0 bitop3:0x40
	v_dual_mov_b32 v54, 0 :: v_dual_mov_b32 v57, 0
	v_dual_mov_b32 v56, 0 :: v_dual_mov_b32 v59, 0
	;; [unrolled: 1-line block ×5, first 2 shown]
	v_mov_b32_e32 v64, 0
	s_wait_dscnt 0x0
	s_barrier_signal -1
	s_barrier_wait -1
	s_and_saveexec_b32 s1, s2
	s_cbranch_execz .LBB30_65
; %bb.38:
	v_dual_lshlrev_b32 v2, 4, v0 :: v_dual_bitop2_b32 v3, 12, v66 bitop3:0x40
	s_ashr_i32 s15, s14, 31
	v_dual_mov_b32 v55, 0 :: v_dual_lshlrev_b32 v4, 4, v73
	s_delay_alu instid0(VALU_DEP_2)
	v_and_b32_e32 v54, 0x1f0, v2
	s_lshl_b64 s[14:15], s[14:15], 2
	s_ashr_i32 s3, s5, 31
	s_wait_kmcnt 0x0
	s_add_nc_u64 s[14:15], s[16:17], s[14:15]
	s_mov_b32 s2, s5
	v_add_nc_u64_e32 v[66:67], s[14:15], v[54:55]
	v_and_b32_e32 v54, 0x7c, v68
	s_lshl_b64 s[4:5], s[10:11], 2
	v_lshl_or_b32 v2, v1, 6, v4
	s_add_nc_u64 s[4:5], s[12:13], s[4:5]
	v_lshl_or_b32 v74, v1, 4, v3
	v_add_nc_u64_e32 v[68:69], s[4:5], v[54:55]
	s_delay_alu instid0(VALU_DEP_3)
	v_dual_mov_b32 v54, v55 :: v_dual_add_nc_u32 v75, 0x1a0, v2
	v_dual_mov_b32 v57, v55 :: v_dual_mov_b32 v56, v55
	v_dual_mov_b32 v59, v55 :: v_dual_mov_b32 v58, v55
	;; [unrolled: 1-line block ×5, first 2 shown]
	v_mov_b32_e32 v76, v1
	s_add_co_i32 s4, s22, -1
	s_mov_b32 s10, s21
	s_mov_b32 s5, 0
	s_branch .LBB30_40
.LBB30_39:                              ;   in Loop: Header=BB30_40 Depth=1
	s_or_b32 exec_lo, exec_lo, s0
	s_wait_loadcnt_dscnt 0x200
	v_mul_f32_e32 v42, v6, v42
	s_wait_loadcnt 0x1
	v_mul_f32_e32 v50, v6, v50
	v_add_nc_u64_e32 v[68:69], 16, v[68:69]
	v_dual_mul_f32 v14, v6, v14 :: v_dual_add_nc_u32 v75, 0x100, v75
	v_fmac_f32_e32 v42, v7, v43
	s_delay_alu instid0(VALU_DEP_4) | instskip(SKIP_1) | instid1(VALU_DEP_3)
	v_dual_fmac_f32 v50, v7, v51 :: v_dual_mul_f32 v38, v6, v38
	v_mul_f32_e32 v30, v6, v30
	v_dual_mul_f32 v10, v6, v10 :: v_dual_fmac_f32 v42, v8, v44
	s_delay_alu instid0(VALU_DEP_3) | instskip(NEXT) | instid1(VALU_DEP_4)
	v_dual_fmac_f32 v50, v8, v52 :: v_dual_mul_f32 v34, v6, v34
	v_dual_fmac_f32 v38, v7, v39 :: v_dual_mul_f32 v26, v6, v26
	v_dual_mul_f32 v22, v6, v22 :: v_dual_add_nc_u32 v76, 4, v76
	s_delay_alu instid0(VALU_DEP_3) | instskip(NEXT) | instid1(VALU_DEP_3)
	v_fmac_f32_e32 v34, v7, v35
	v_fmac_f32_e32 v38, v8, v40
	s_delay_alu instid0(VALU_DEP_4) | instskip(NEXT) | instid1(VALU_DEP_4)
	v_dual_fmac_f32 v26, v7, v27 :: v_dual_add_nc_u32 v74, 64, v74
	v_cmp_le_i32_e32 vcc_lo, s22, v76
	s_delay_alu instid0(VALU_DEP_4) | instskip(SKIP_1) | instid1(VALU_DEP_1)
	v_fmac_f32_e32 v34, v8, v36
	s_or_b32 s5, vcc_lo, s5
	v_fmac_f32_e32 v34, v9, v37
	s_delay_alu instid0(VALU_DEP_1) | instskip(NEXT) | instid1(VALU_DEP_1)
	v_dual_fmac_f32 v38, v9, v41 :: v_dual_add_f32 v59, v59, v34
	v_dual_fmac_f32 v50, v9, v53 :: v_dual_add_f32 v56, v56, v38
	s_delay_alu instid0(VALU_DEP_1) | instskip(NEXT) | instid1(VALU_DEP_1)
	v_dual_fmac_f32 v42, v9, v45 :: v_dual_add_f32 v54, v54, v50
	v_dual_fmac_f32 v30, v7, v31 :: v_dual_add_f32 v57, v57, v42
	s_delay_alu instid0(VALU_DEP_1) | instskip(NEXT) | instid1(VALU_DEP_1)
	v_fmac_f32_e32 v30, v8, v32
	v_fmac_f32_e32 v30, v9, v33
	v_dual_fmac_f32 v22, v7, v23 :: v_dual_mul_f32 v23, v6, v18
	s_delay_alu instid0(VALU_DEP_2) | instskip(NEXT) | instid1(VALU_DEP_2)
	v_dual_fmac_f32 v26, v8, v28 :: v_dual_add_f32 v58, v58, v30
	v_dual_fmac_f32 v22, v8, v24 :: v_dual_fmac_f32 v23, v7, v19
	s_wait_loadcnt 0x0
	v_pk_mul_f32 v[18:19], v[6:7], v[46:47]
	s_delay_alu instid0(VALU_DEP_3) | instskip(NEXT) | instid1(VALU_DEP_3)
	v_fmac_f32_e32 v26, v9, v29
	v_dual_fmac_f32 v22, v9, v25 :: v_dual_fmac_f32 v23, v8, v20
	s_delay_alu instid0(VALU_DEP_2) | instskip(NEXT) | instid1(VALU_DEP_2)
	v_dual_fmac_f32 v14, v7, v15 :: v_dual_add_f32 v61, v61, v26
	v_add_f32_e32 v60, v60, v22
	v_mul_f32_e32 v22, v6, v2
	s_delay_alu instid0(VALU_DEP_4) | instskip(NEXT) | instid1(VALU_DEP_4)
	v_dual_add_f32 v6, v19, v18 :: v_dual_fmac_f32 v23, v9, v21
	v_fmac_f32_e32 v14, v8, v16
	s_delay_alu instid0(VALU_DEP_3) | instskip(SKIP_2) | instid1(VALU_DEP_4)
	v_fmac_f32_e32 v22, v7, v3
	v_pk_mul_f32 v[2:3], v[8:9], v[48:49]
	v_fmac_f32_e32 v10, v7, v11
	v_dual_add_f32 v63, v63, v23 :: v_dual_fmac_f32 v14, v9, v17
	s_delay_alu instid0(VALU_DEP_3) | instskip(NEXT) | instid1(VALU_DEP_2)
	v_dual_fmac_f32 v22, v8, v4 :: v_dual_add_f32 v2, v2, v6
	v_dual_fmac_f32 v10, v8, v12 :: v_dual_add_f32 v62, v62, v14
	s_delay_alu instid0(VALU_DEP_2) | instskip(NEXT) | instid1(VALU_DEP_1)
	v_dual_fmac_f32 v22, v9, v5 :: v_dual_add_f32 v2, v3, v2
	v_dual_fmac_f32 v10, v9, v13 :: v_dual_add_f32 v64, v64, v22
	s_delay_alu instid0(VALU_DEP_2) | instskip(NEXT) | instid1(VALU_DEP_2)
	v_add_f32_e32 v55, v55, v2
	v_add_f32_e32 v65, v65, v10
	s_and_not1_b32 exec_lo, exec_lo, s5
	s_cbranch_execz .LBB30_64
.LBB30_40:                              ; =>This Inner Loop Header: Depth=1
	global_load_b32 v2, v[68:69], off
	ds_load_b128 v[6:9], v75
	v_cmp_eq_u32_e32 vcc_lo, s4, v76
	v_dual_add_nc_u32 v79, 1, v74 :: v_dual_bitop2_b32 v78, 3, v74 bitop3:0x54
	v_or_b32_e32 v77, 2, v74
	s_wait_loadcnt 0x0
	v_ashrrev_i32_e32 v3, 31, v2
	s_delay_alu instid0(VALU_DEP_1) | instskip(NEXT) | instid1(VALU_DEP_1)
	v_mul_u64_e32 v[2:3], s[2:3], v[2:3]
	v_lshl_add_u64 v[46:47], v[2:3], 2, v[66:67]
	global_load_b128 v[2:5], v[46:47], off
	s_wait_xcnt 0x0
	s_and_saveexec_b32 s11, vcc_lo
	s_cbranch_execnz .LBB30_52
; %bb.41:                               ;   in Loop: Header=BB30_40 Depth=1
	s_or_b32 exec_lo, exec_lo, s11
	global_load_b128 v[10:13], v[46:47], off offset:512
	s_wait_xcnt 0x0
	s_and_saveexec_b32 s11, vcc_lo
	s_cbranch_execnz .LBB30_53
.LBB30_42:                              ;   in Loop: Header=BB30_40 Depth=1
	s_or_b32 exec_lo, exec_lo, s11
	global_load_b128 v[14:17], v[46:47], off offset:1024
	s_wait_xcnt 0x0
	s_and_saveexec_b32 s11, vcc_lo
	s_cbranch_execnz .LBB30_54
.LBB30_43:                              ;   in Loop: Header=BB30_40 Depth=1
	s_or_b32 exec_lo, exec_lo, s11
	global_load_b128 v[18:21], v[46:47], off offset:1536
	s_wait_xcnt 0x0
	s_and_saveexec_b32 s11, vcc_lo
	s_cbranch_execnz .LBB30_55
.LBB30_44:                              ;   in Loop: Header=BB30_40 Depth=1
	s_or_b32 exec_lo, exec_lo, s11
	global_load_b128 v[22:25], v[46:47], off offset:2048
	s_wait_xcnt 0x0
	s_and_saveexec_b32 s11, vcc_lo
	s_cbranch_execnz .LBB30_56
.LBB30_45:                              ;   in Loop: Header=BB30_40 Depth=1
	s_or_b32 exec_lo, exec_lo, s11
	global_load_b128 v[26:29], v[46:47], off offset:2560
	s_wait_xcnt 0x0
	s_and_saveexec_b32 s11, vcc_lo
	s_cbranch_execnz .LBB30_57
.LBB30_46:                              ;   in Loop: Header=BB30_40 Depth=1
	s_or_b32 exec_lo, exec_lo, s11
	global_load_b128 v[30:33], v[46:47], off offset:3072
	s_wait_xcnt 0x0
	s_and_saveexec_b32 s11, vcc_lo
	s_cbranch_execnz .LBB30_58
.LBB30_47:                              ;   in Loop: Header=BB30_40 Depth=1
	s_or_b32 exec_lo, exec_lo, s11
	global_load_b128 v[34:37], v[46:47], off offset:3584
	s_wait_xcnt 0x0
	s_and_saveexec_b32 s11, vcc_lo
	s_cbranch_execnz .LBB30_59
.LBB30_48:                              ;   in Loop: Header=BB30_40 Depth=1
	s_or_b32 exec_lo, exec_lo, s11
	global_load_b128 v[38:41], v[46:47], off offset:4096
	s_wait_xcnt 0x0
	s_and_saveexec_b32 s11, vcc_lo
	s_cbranch_execnz .LBB30_60
.LBB30_49:                              ;   in Loop: Header=BB30_40 Depth=1
	s_or_b32 exec_lo, exec_lo, s11
	global_load_b128 v[42:45], v[46:47], off offset:4608
	s_wait_xcnt 0x0
	s_and_saveexec_b32 s11, vcc_lo
	s_cbranch_execnz .LBB30_61
.LBB30_50:                              ;   in Loop: Header=BB30_40 Depth=1
	s_or_b32 exec_lo, exec_lo, s11
	global_load_b128 v[50:53], v[46:47], off offset:5120
	s_wait_xcnt 0x0
	s_and_saveexec_b32 s11, vcc_lo
	s_cbranch_execnz .LBB30_62
.LBB30_51:                              ;   in Loop: Header=BB30_40 Depth=1
	s_or_b32 exec_lo, exec_lo, s11
	global_load_b128 v[46:49], v[46:47], off offset:5632
	s_wait_xcnt 0x0
	s_and_saveexec_b32 s0, vcc_lo
	s_cbranch_execz .LBB30_39
	s_branch .LBB30_63
.LBB30_52:                              ;   in Loop: Header=BB30_40 Depth=1
	v_cmp_gt_i32_e64 s0, s10, v79
	s_wait_loadcnt 0x0
	s_delay_alu instid0(VALU_DEP_1) | instskip(SKIP_1) | instid1(VALU_DEP_1)
	v_cndmask_b32_e64 v3, 0, v3, s0
	v_cmp_gt_i32_e64 s0, s21, v74
	v_cndmask_b32_e64 v2, 0, v2, s0
	v_cmp_gt_i32_e64 s0, s10, v78
	s_delay_alu instid0(VALU_DEP_1) | instskip(SKIP_1) | instid1(VALU_DEP_1)
	v_cndmask_b32_e64 v5, 0, v5, s0
	v_cmp_gt_i32_e64 s0, s21, v77
	v_cndmask_b32_e64 v4, 0, v4, s0
	s_or_b32 exec_lo, exec_lo, s11
	global_load_b128 v[10:13], v[46:47], off offset:512
	s_wait_xcnt 0x0
	s_and_saveexec_b32 s11, vcc_lo
	s_cbranch_execz .LBB30_42
.LBB30_53:                              ;   in Loop: Header=BB30_40 Depth=1
	v_cmp_gt_i32_e64 s0, s10, v79
	s_wait_loadcnt 0x0
	s_delay_alu instid0(VALU_DEP_1) | instskip(SKIP_1) | instid1(VALU_DEP_1)
	v_cndmask_b32_e64 v11, 0, v11, s0
	v_cmp_gt_i32_e64 s0, s21, v74
	v_cndmask_b32_e64 v10, 0, v10, s0
	v_cmp_gt_i32_e64 s0, s10, v78
	s_delay_alu instid0(VALU_DEP_1) | instskip(SKIP_1) | instid1(VALU_DEP_1)
	v_cndmask_b32_e64 v13, 0, v13, s0
	v_cmp_gt_i32_e64 s0, s21, v77
	v_cndmask_b32_e64 v12, 0, v12, s0
	s_or_b32 exec_lo, exec_lo, s11
	global_load_b128 v[14:17], v[46:47], off offset:1024
	s_wait_xcnt 0x0
	s_and_saveexec_b32 s11, vcc_lo
	s_cbranch_execz .LBB30_43
.LBB30_54:                              ;   in Loop: Header=BB30_40 Depth=1
	v_cmp_gt_i32_e64 s0, s10, v79
	s_wait_loadcnt 0x0
	s_delay_alu instid0(VALU_DEP_1) | instskip(SKIP_1) | instid1(VALU_DEP_1)
	v_cndmask_b32_e64 v15, 0, v15, s0
	v_cmp_gt_i32_e64 s0, s21, v74
	v_cndmask_b32_e64 v14, 0, v14, s0
	v_cmp_gt_i32_e64 s0, s10, v78
	s_delay_alu instid0(VALU_DEP_1) | instskip(SKIP_1) | instid1(VALU_DEP_1)
	v_cndmask_b32_e64 v17, 0, v17, s0
	v_cmp_gt_i32_e64 s0, s21, v77
	v_cndmask_b32_e64 v16, 0, v16, s0
	s_or_b32 exec_lo, exec_lo, s11
	global_load_b128 v[18:21], v[46:47], off offset:1536
	s_wait_xcnt 0x0
	s_and_saveexec_b32 s11, vcc_lo
	s_cbranch_execz .LBB30_44
.LBB30_55:                              ;   in Loop: Header=BB30_40 Depth=1
	v_cmp_gt_i32_e64 s0, s10, v79
	s_wait_loadcnt 0x0
	s_delay_alu instid0(VALU_DEP_1) | instskip(SKIP_1) | instid1(VALU_DEP_1)
	v_cndmask_b32_e64 v19, 0, v19, s0
	v_cmp_gt_i32_e64 s0, s21, v74
	v_cndmask_b32_e64 v18, 0, v18, s0
	v_cmp_gt_i32_e64 s0, s10, v78
	s_delay_alu instid0(VALU_DEP_1) | instskip(SKIP_1) | instid1(VALU_DEP_1)
	v_cndmask_b32_e64 v21, 0, v21, s0
	v_cmp_gt_i32_e64 s0, s21, v77
	v_cndmask_b32_e64 v20, 0, v20, s0
	s_or_b32 exec_lo, exec_lo, s11
	global_load_b128 v[22:25], v[46:47], off offset:2048
	s_wait_xcnt 0x0
	s_and_saveexec_b32 s11, vcc_lo
	s_cbranch_execz .LBB30_45
.LBB30_56:                              ;   in Loop: Header=BB30_40 Depth=1
	v_cmp_gt_i32_e64 s0, s10, v79
	s_wait_loadcnt 0x0
	s_delay_alu instid0(VALU_DEP_1) | instskip(SKIP_1) | instid1(VALU_DEP_1)
	v_cndmask_b32_e64 v23, 0, v23, s0
	v_cmp_gt_i32_e64 s0, s21, v74
	v_cndmask_b32_e64 v22, 0, v22, s0
	v_cmp_gt_i32_e64 s0, s10, v78
	s_delay_alu instid0(VALU_DEP_1) | instskip(SKIP_1) | instid1(VALU_DEP_1)
	v_cndmask_b32_e64 v25, 0, v25, s0
	v_cmp_gt_i32_e64 s0, s21, v77
	v_cndmask_b32_e64 v24, 0, v24, s0
	s_or_b32 exec_lo, exec_lo, s11
	global_load_b128 v[26:29], v[46:47], off offset:2560
	s_wait_xcnt 0x0
	s_and_saveexec_b32 s11, vcc_lo
	s_cbranch_execz .LBB30_46
.LBB30_57:                              ;   in Loop: Header=BB30_40 Depth=1
	v_cmp_gt_i32_e64 s0, s10, v79
	s_wait_loadcnt 0x0
	s_delay_alu instid0(VALU_DEP_1) | instskip(SKIP_1) | instid1(VALU_DEP_1)
	v_cndmask_b32_e64 v27, 0, v27, s0
	v_cmp_gt_i32_e64 s0, s21, v74
	v_cndmask_b32_e64 v26, 0, v26, s0
	v_cmp_gt_i32_e64 s0, s10, v78
	s_delay_alu instid0(VALU_DEP_1) | instskip(SKIP_1) | instid1(VALU_DEP_1)
	v_cndmask_b32_e64 v29, 0, v29, s0
	v_cmp_gt_i32_e64 s0, s21, v77
	v_cndmask_b32_e64 v28, 0, v28, s0
	s_or_b32 exec_lo, exec_lo, s11
	global_load_b128 v[30:33], v[46:47], off offset:3072
	s_wait_xcnt 0x0
	s_and_saveexec_b32 s11, vcc_lo
	s_cbranch_execz .LBB30_47
.LBB30_58:                              ;   in Loop: Header=BB30_40 Depth=1
	v_cmp_gt_i32_e64 s0, s10, v79
	s_wait_loadcnt 0x0
	s_delay_alu instid0(VALU_DEP_1) | instskip(SKIP_1) | instid1(VALU_DEP_1)
	v_cndmask_b32_e64 v31, 0, v31, s0
	v_cmp_gt_i32_e64 s0, s21, v74
	v_cndmask_b32_e64 v30, 0, v30, s0
	v_cmp_gt_i32_e64 s0, s10, v78
	s_delay_alu instid0(VALU_DEP_1) | instskip(SKIP_1) | instid1(VALU_DEP_1)
	v_cndmask_b32_e64 v33, 0, v33, s0
	v_cmp_gt_i32_e64 s0, s21, v77
	v_cndmask_b32_e64 v32, 0, v32, s0
	s_or_b32 exec_lo, exec_lo, s11
	global_load_b128 v[34:37], v[46:47], off offset:3584
	s_wait_xcnt 0x0
	s_and_saveexec_b32 s11, vcc_lo
	s_cbranch_execz .LBB30_48
.LBB30_59:                              ;   in Loop: Header=BB30_40 Depth=1
	v_cmp_gt_i32_e64 s0, s10, v79
	s_wait_loadcnt 0x0
	s_delay_alu instid0(VALU_DEP_1) | instskip(SKIP_1) | instid1(VALU_DEP_1)
	v_cndmask_b32_e64 v35, 0, v35, s0
	v_cmp_gt_i32_e64 s0, s21, v74
	v_cndmask_b32_e64 v34, 0, v34, s0
	v_cmp_gt_i32_e64 s0, s10, v78
	s_delay_alu instid0(VALU_DEP_1) | instskip(SKIP_1) | instid1(VALU_DEP_1)
	v_cndmask_b32_e64 v37, 0, v37, s0
	v_cmp_gt_i32_e64 s0, s21, v77
	v_cndmask_b32_e64 v36, 0, v36, s0
	s_or_b32 exec_lo, exec_lo, s11
	global_load_b128 v[38:41], v[46:47], off offset:4096
	s_wait_xcnt 0x0
	s_and_saveexec_b32 s11, vcc_lo
	s_cbranch_execz .LBB30_49
.LBB30_60:                              ;   in Loop: Header=BB30_40 Depth=1
	v_cmp_gt_i32_e64 s0, s10, v79
	s_wait_loadcnt 0x0
	s_delay_alu instid0(VALU_DEP_1) | instskip(SKIP_1) | instid1(VALU_DEP_1)
	v_cndmask_b32_e64 v39, 0, v39, s0
	v_cmp_gt_i32_e64 s0, s21, v74
	v_cndmask_b32_e64 v38, 0, v38, s0
	v_cmp_gt_i32_e64 s0, s10, v78
	s_delay_alu instid0(VALU_DEP_1) | instskip(SKIP_1) | instid1(VALU_DEP_1)
	v_cndmask_b32_e64 v41, 0, v41, s0
	v_cmp_gt_i32_e64 s0, s21, v77
	v_cndmask_b32_e64 v40, 0, v40, s0
	s_or_b32 exec_lo, exec_lo, s11
	global_load_b128 v[42:45], v[46:47], off offset:4608
	s_wait_xcnt 0x0
	s_and_saveexec_b32 s11, vcc_lo
	s_cbranch_execz .LBB30_50
.LBB30_61:                              ;   in Loop: Header=BB30_40 Depth=1
	v_cmp_gt_i32_e64 s0, s10, v79
	s_wait_loadcnt 0x0
	s_delay_alu instid0(VALU_DEP_1) | instskip(SKIP_1) | instid1(VALU_DEP_1)
	v_cndmask_b32_e64 v43, 0, v43, s0
	v_cmp_gt_i32_e64 s0, s21, v74
	v_cndmask_b32_e64 v42, 0, v42, s0
	v_cmp_gt_i32_e64 s0, s10, v78
	s_delay_alu instid0(VALU_DEP_1) | instskip(SKIP_1) | instid1(VALU_DEP_1)
	v_cndmask_b32_e64 v45, 0, v45, s0
	v_cmp_gt_i32_e64 s0, s21, v77
	v_cndmask_b32_e64 v44, 0, v44, s0
	s_or_b32 exec_lo, exec_lo, s11
	global_load_b128 v[50:53], v[46:47], off offset:5120
	s_wait_xcnt 0x0
	s_and_saveexec_b32 s11, vcc_lo
	s_cbranch_execz .LBB30_51
.LBB30_62:                              ;   in Loop: Header=BB30_40 Depth=1
	v_cmp_gt_i32_e64 s0, s10, v79
	s_wait_loadcnt 0x0
	s_delay_alu instid0(VALU_DEP_1) | instskip(SKIP_1) | instid1(VALU_DEP_1)
	v_cndmask_b32_e64 v51, 0, v51, s0
	v_cmp_gt_i32_e64 s0, s21, v74
	v_cndmask_b32_e64 v50, 0, v50, s0
	v_cmp_gt_i32_e64 s0, s10, v78
	s_delay_alu instid0(VALU_DEP_1) | instskip(SKIP_1) | instid1(VALU_DEP_1)
	v_cndmask_b32_e64 v53, 0, v53, s0
	v_cmp_gt_i32_e64 s0, s21, v77
	v_cndmask_b32_e64 v52, 0, v52, s0
	s_or_b32 exec_lo, exec_lo, s11
	global_load_b128 v[46:49], v[46:47], off offset:5632
	s_wait_xcnt 0x0
	s_and_saveexec_b32 s0, vcc_lo
	s_cbranch_execz .LBB30_39
.LBB30_63:                              ;   in Loop: Header=BB30_40 Depth=1
	v_cmp_gt_i32_e32 vcc_lo, s10, v79
	s_wait_loadcnt 0x0
	v_cndmask_b32_e32 v47, 0, v47, vcc_lo
	v_cmp_gt_i32_e32 vcc_lo, s21, v74
	v_cndmask_b32_e32 v46, 0, v46, vcc_lo
	v_cmp_gt_i32_e32 vcc_lo, s10, v78
	;; [unrolled: 2-line block ×3, first 2 shown]
	v_cndmask_b32_e32 v48, 0, v48, vcc_lo
	s_branch .LBB30_39
.LBB30_64:
	s_or_b32 exec_lo, exec_lo, s5
.LBB30_65:
	s_delay_alu instid0(SALU_CYCLE_1)
	s_or_b32 exec_lo, exec_lo, s1
	ds_bpermute_b32 v2, v71, v64
	ds_bpermute_b32 v3, v71, v65
	ds_bpermute_b32 v4, v71, v62
	ds_bpermute_b32 v5, v71, v63
	ds_bpermute_b32 v6, v71, v60
	ds_bpermute_b32 v7, v71, v61
	ds_bpermute_b32 v8, v71, v58
	ds_bpermute_b32 v9, v71, v59
	ds_bpermute_b32 v10, v71, v56
	ds_bpermute_b32 v11, v71, v57
	ds_bpermute_b32 v12, v71, v54
	ds_bpermute_b32 v13, v71, v55
	v_and_b32_e32 v17, 0x3c3, v0
	s_mov_b32 s0, exec_lo
	v_and_b32_e32 v16, 28, v70
	s_wait_dscnt 0x0
	s_barrier_signal -1
	s_barrier_wait -1
	v_pk_add_f32 v[2:3], v[64:65], v[2:3]
	v_pk_add_f32 v[4:5], v[62:63], v[4:5]
	;; [unrolled: 1-line block ×4, first 2 shown]
	ds_bpermute_b32 v8, v72, v2
	v_pk_add_f32 v[20:21], v[56:57], v[10:11]
	ds_bpermute_b32 v9, v72, v3
	v_pk_add_f32 v[12:13], v[54:55], v[12:13]
	ds_bpermute_b32 v22, v72, v4
	ds_bpermute_b32 v23, v72, v5
	;; [unrolled: 1-line block ×10, first 2 shown]
	s_wait_dscnt 0xa
	v_pk_add_f32 v[10:11], v[2:3], v[8:9]
	s_wait_dscnt 0x8
	v_pk_add_f32 v[8:9], v[4:5], v[22:23]
	;; [unrolled: 2-line block ×5, first 2 shown]
	v_cmpx_ne_u32_e32 64, v17
	s_xor_b32 s0, exec_lo, s0
	s_delay_alu instid0(SALU_CYCLE_1)
	s_or_saveexec_b32 s0, s0
	s_wait_dscnt 0x0
	v_pk_add_f32 v[12:13], v[12:13], v[14:15]
	v_lshrrev_b32_e32 v15, 2, v70
	v_add_nc_u32_e32 v14, 0x1a0, v16
	v_mul_u32_u24_e32 v1, 0x180, v1
	s_xor_b32 exec_lo, exec_lo, s0
	s_cbranch_execz .LBB30_67
; %bb.66:
	s_delay_alu instid0(VALU_DEP_1) | instskip(NEXT) | instid1(VALU_DEP_1)
	v_add_nc_u32_e32 v16, v14, v1
	v_add_nc_u32_e32 v17, 0xfffffd00, v16
	;; [unrolled: 1-line block ×13, first 2 shown]
	ds_store_b32 v17, v10
	ds_store_b32 v18, v11
	;; [unrolled: 1-line block ×12, first 2 shown]
.LBB30_67:
	s_or_b32 exec_lo, exec_lo, s0
	v_lshlrev_b32_e32 v15, 2, v15
	s_mov_b32 s1, exec_lo
	v_cmp_eq_u32_e32 vcc_lo, 0, v73
	s_wait_dscnt 0x0
	s_barrier_signal -1
	v_add3_u32 v1, 0x1a0, v1, v15
	s_barrier_wait -1
	v_cmpx_gt_u32_e32 64, v0
	s_cbranch_execz .LBB30_82
; %bb.68:
	s_and_saveexec_b32 s0, vcc_lo
	s_cbranch_execnz .LBB30_102
; %bb.69:
	s_or_b32 exec_lo, exec_lo, s0
	s_and_saveexec_b32 s0, vcc_lo
	s_cbranch_execnz .LBB30_103
.LBB30_70:
	s_or_b32 exec_lo, exec_lo, s0
	s_and_saveexec_b32 s0, vcc_lo
	s_cbranch_execnz .LBB30_104
.LBB30_71:
	s_or_b32 exec_lo, exec_lo, s0
	s_and_saveexec_b32 s0, vcc_lo
	s_cbranch_execnz .LBB30_105
.LBB30_72:
	s_or_b32 exec_lo, exec_lo, s0
	s_and_saveexec_b32 s0, vcc_lo
	s_cbranch_execnz .LBB30_106
.LBB30_73:
	s_or_b32 exec_lo, exec_lo, s0
	s_and_saveexec_b32 s0, vcc_lo
	s_cbranch_execnz .LBB30_107
.LBB30_74:
	s_or_b32 exec_lo, exec_lo, s0
	s_and_saveexec_b32 s0, vcc_lo
	s_cbranch_execnz .LBB30_108
.LBB30_75:
	s_or_b32 exec_lo, exec_lo, s0
	s_and_saveexec_b32 s0, vcc_lo
	s_cbranch_execnz .LBB30_109
.LBB30_76:
	s_or_b32 exec_lo, exec_lo, s0
	s_and_saveexec_b32 s0, vcc_lo
	s_cbranch_execnz .LBB30_110
.LBB30_77:
	s_or_b32 exec_lo, exec_lo, s0
	s_and_saveexec_b32 s0, vcc_lo
	s_cbranch_execnz .LBB30_111
.LBB30_78:
	s_or_b32 exec_lo, exec_lo, s0
	s_and_saveexec_b32 s0, vcc_lo
	s_cbranch_execnz .LBB30_112
.LBB30_79:
	s_or_b32 exec_lo, exec_lo, s0
	s_and_saveexec_b32 s0, vcc_lo
	s_cbranch_execz .LBB30_81
.LBB30_80:
	ds_load_b32 v15, v1 offset:352
	s_wait_dscnt 0x0
	v_add_f32_e32 v13, v13, v15
.LBB30_81:
	s_or_b32 exec_lo, exec_lo, s0
.LBB30_82:
	s_delay_alu instid0(SALU_CYCLE_1) | instskip(SKIP_4) | instid1(VALU_DEP_1)
	s_or_b32 exec_lo, exec_lo, s1
	v_and_b32_e32 v15, 0x3e3, v0
	s_mov_b32 s1, exec_lo
	s_barrier_signal -1
	s_barrier_wait -1
	v_cmpx_eq_u32_e32 32, v15
	s_cbranch_execz .LBB30_84
; %bb.83:
	ds_store_2addr_b32 v14, v10, v11 offset1:8
	ds_store_2addr_b32 v14, v8, v9 offset0:16 offset1:24
	ds_store_2addr_b32 v14, v6, v7 offset0:32 offset1:40
	;; [unrolled: 1-line block ×5, first 2 shown]
.LBB30_84:
	s_or_b32 exec_lo, exec_lo, s1
	s_delay_alu instid0(SALU_CYCLE_1)
	s_mov_b32 s1, exec_lo
	s_wait_dscnt 0x0
	s_barrier_signal -1
	s_barrier_wait -1
	v_cmpx_gt_u32_e32 32, v0
	s_cbranch_execz .LBB30_99
; %bb.85:
	s_and_saveexec_b32 s0, vcc_lo
	s_cbranch_execnz .LBB30_113
; %bb.86:
	s_or_b32 exec_lo, exec_lo, s0
	s_and_saveexec_b32 s0, vcc_lo
	s_cbranch_execnz .LBB30_114
.LBB30_87:
	s_or_b32 exec_lo, exec_lo, s0
	s_and_saveexec_b32 s0, vcc_lo
	s_cbranch_execnz .LBB30_115
.LBB30_88:
	s_or_b32 exec_lo, exec_lo, s0
	s_and_saveexec_b32 s0, vcc_lo
	s_cbranch_execnz .LBB30_116
.LBB30_89:
	s_or_b32 exec_lo, exec_lo, s0
	s_and_saveexec_b32 s0, vcc_lo
	s_cbranch_execnz .LBB30_117
.LBB30_90:
	s_or_b32 exec_lo, exec_lo, s0
	s_and_saveexec_b32 s0, vcc_lo
	s_cbranch_execnz .LBB30_118
.LBB30_91:
	s_or_b32 exec_lo, exec_lo, s0
	s_and_saveexec_b32 s0, vcc_lo
	s_cbranch_execnz .LBB30_119
.LBB30_92:
	s_or_b32 exec_lo, exec_lo, s0
	s_and_saveexec_b32 s0, vcc_lo
	s_cbranch_execnz .LBB30_120
.LBB30_93:
	s_or_b32 exec_lo, exec_lo, s0
	s_and_saveexec_b32 s0, vcc_lo
	s_cbranch_execnz .LBB30_121
.LBB30_94:
	s_or_b32 exec_lo, exec_lo, s0
	s_and_saveexec_b32 s0, vcc_lo
	s_cbranch_execnz .LBB30_122
.LBB30_95:
	s_or_b32 exec_lo, exec_lo, s0
	s_and_saveexec_b32 s0, vcc_lo
	s_cbranch_execnz .LBB30_123
.LBB30_96:
	s_or_b32 exec_lo, exec_lo, s0
	s_and_saveexec_b32 s0, vcc_lo
	s_cbranch_execz .LBB30_98
.LBB30_97:
	ds_load_b32 v1, v1 offset:352
	s_wait_dscnt 0x0
	v_add_f32_e32 v13, v13, v1
.LBB30_98:
	s_or_b32 exec_lo, exec_lo, s0
.LBB30_99:
	s_delay_alu instid0(SALU_CYCLE_1)
	s_or_b32 exec_lo, exec_lo, s1
	s_mov_b32 s1, 0
	s_barrier_signal -1
	s_barrier_wait -1
	s_mov_b32 s0, exec_lo
	v_cmpx_eq_u32_e32 0, v15
	s_cbranch_execz .LBB30_101
; %bb.100:
	s_wait_kmcnt 0x0
	s_mul_i32 s0, s20, s9
	s_mul_i32 s2, s9, s8
	;; [unrolled: 1-line block ×3, first 2 shown]
	s_lshr_b32 s8, ttmp7, 16
	s_mul_i32 s4, s0, 0x60
	s_bfe_u32 s0, ttmp6, 0x40014
	s_ashr_i32 s5, s4, 31
	s_add_co_i32 s0, s0, 1
	s_ashr_i32 s3, s2, 31
	s_mul_i32 s0, s8, s0
	s_bfe_u32 s9, ttmp6, 0x40008
	s_lshl_b64 s[4:5], s[4:5], 2
	s_lshl_b64 s[2:3], s[2:3], 2
	s_add_co_i32 s9, s9, s0
	s_cmp_eq_u32 s18, 0
	s_add_nc_u64 s[4:5], s[6:7], s[4:5]
	s_cselect_b32 s0, s8, s9
	s_add_nc_u64 s[2:3], s[4:5], s[2:3]
	s_mulk_i32 s0, 0x180
	s_delay_alu instid0(SALU_CYCLE_1)
	s_add_nc_u64 s[0:1], s[2:3], s[0:1]
	s_clause 0xb
	global_store_b32 v0, v10, s[0:1]
	global_store_b32 v0, v11, s[0:1] offset:32
	global_store_b32 v0, v8, s[0:1] offset:64
	;; [unrolled: 1-line block ×11, first 2 shown]
.LBB30_101:
	s_sendmsg sendmsg(MSG_DEALLOC_VGPRS)
	s_endpgm
.LBB30_102:
	ds_load_b32 v15, v1
	s_wait_dscnt 0x0
	v_add_f32_e32 v10, v10, v15
	s_or_b32 exec_lo, exec_lo, s0
	s_and_saveexec_b32 s0, vcc_lo
	s_cbranch_execz .LBB30_70
.LBB30_103:
	ds_load_b32 v15, v1 offset:32
	s_wait_dscnt 0x0
	v_add_f32_e32 v11, v11, v15
	s_or_b32 exec_lo, exec_lo, s0
	s_and_saveexec_b32 s0, vcc_lo
	s_cbranch_execz .LBB30_71
.LBB30_104:
	ds_load_b32 v15, v1 offset:64
	s_wait_dscnt 0x0
	v_add_f32_e32 v8, v8, v15
	s_or_b32 exec_lo, exec_lo, s0
	s_and_saveexec_b32 s0, vcc_lo
	s_cbranch_execz .LBB30_72
.LBB30_105:
	ds_load_b32 v15, v1 offset:96
	s_wait_dscnt 0x0
	v_add_f32_e32 v9, v9, v15
	s_or_b32 exec_lo, exec_lo, s0
	s_and_saveexec_b32 s0, vcc_lo
	s_cbranch_execz .LBB30_73
.LBB30_106:
	ds_load_b32 v15, v1 offset:128
	s_wait_dscnt 0x0
	v_add_f32_e32 v6, v6, v15
	s_or_b32 exec_lo, exec_lo, s0
	s_and_saveexec_b32 s0, vcc_lo
	s_cbranch_execz .LBB30_74
.LBB30_107:
	ds_load_b32 v15, v1 offset:160
	s_wait_dscnt 0x0
	v_add_f32_e32 v7, v7, v15
	s_or_b32 exec_lo, exec_lo, s0
	s_and_saveexec_b32 s0, vcc_lo
	s_cbranch_execz .LBB30_75
.LBB30_108:
	ds_load_b32 v15, v1 offset:192
	s_wait_dscnt 0x0
	v_add_f32_e32 v4, v4, v15
	s_or_b32 exec_lo, exec_lo, s0
	s_and_saveexec_b32 s0, vcc_lo
	s_cbranch_execz .LBB30_76
.LBB30_109:
	ds_load_b32 v15, v1 offset:224
	s_wait_dscnt 0x0
	v_add_f32_e32 v5, v5, v15
	s_or_b32 exec_lo, exec_lo, s0
	s_and_saveexec_b32 s0, vcc_lo
	s_cbranch_execz .LBB30_77
.LBB30_110:
	ds_load_b32 v15, v1 offset:256
	s_wait_dscnt 0x0
	v_add_f32_e32 v2, v2, v15
	s_or_b32 exec_lo, exec_lo, s0
	s_and_saveexec_b32 s0, vcc_lo
	s_cbranch_execz .LBB30_78
.LBB30_111:
	ds_load_b32 v15, v1 offset:288
	s_wait_dscnt 0x0
	v_add_f32_e32 v3, v3, v15
	s_or_b32 exec_lo, exec_lo, s0
	s_and_saveexec_b32 s0, vcc_lo
	s_cbranch_execz .LBB30_79
.LBB30_112:
	ds_load_b32 v15, v1 offset:320
	s_wait_dscnt 0x0
	v_add_f32_e32 v12, v12, v15
	s_or_b32 exec_lo, exec_lo, s0
	s_and_saveexec_b32 s0, vcc_lo
	s_cbranch_execnz .LBB30_80
	s_branch .LBB30_81
.LBB30_113:
	ds_load_b32 v14, v1
	s_wait_dscnt 0x0
	v_add_f32_e32 v10, v10, v14
	s_or_b32 exec_lo, exec_lo, s0
	s_and_saveexec_b32 s0, vcc_lo
	s_cbranch_execz .LBB30_87
.LBB30_114:
	ds_load_b32 v14, v1 offset:32
	s_wait_dscnt 0x0
	v_add_f32_e32 v11, v11, v14
	s_or_b32 exec_lo, exec_lo, s0
	s_and_saveexec_b32 s0, vcc_lo
	s_cbranch_execz .LBB30_88
.LBB30_115:
	ds_load_b32 v14, v1 offset:64
	s_wait_dscnt 0x0
	v_add_f32_e32 v8, v8, v14
	s_or_b32 exec_lo, exec_lo, s0
	s_and_saveexec_b32 s0, vcc_lo
	s_cbranch_execz .LBB30_89
.LBB30_116:
	ds_load_b32 v14, v1 offset:96
	s_wait_dscnt 0x0
	v_add_f32_e32 v9, v9, v14
	s_or_b32 exec_lo, exec_lo, s0
	s_and_saveexec_b32 s0, vcc_lo
	s_cbranch_execz .LBB30_90
.LBB30_117:
	ds_load_b32 v14, v1 offset:128
	s_wait_dscnt 0x0
	v_add_f32_e32 v6, v6, v14
	s_or_b32 exec_lo, exec_lo, s0
	s_and_saveexec_b32 s0, vcc_lo
	s_cbranch_execz .LBB30_91
.LBB30_118:
	ds_load_b32 v14, v1 offset:160
	s_wait_dscnt 0x0
	v_add_f32_e32 v7, v7, v14
	s_or_b32 exec_lo, exec_lo, s0
	s_and_saveexec_b32 s0, vcc_lo
	s_cbranch_execz .LBB30_92
.LBB30_119:
	ds_load_b32 v14, v1 offset:192
	s_wait_dscnt 0x0
	v_add_f32_e32 v4, v4, v14
	s_or_b32 exec_lo, exec_lo, s0
	s_and_saveexec_b32 s0, vcc_lo
	s_cbranch_execz .LBB30_93
.LBB30_120:
	ds_load_b32 v14, v1 offset:224
	s_wait_dscnt 0x0
	v_add_f32_e32 v5, v5, v14
	s_or_b32 exec_lo, exec_lo, s0
	s_and_saveexec_b32 s0, vcc_lo
	s_cbranch_execz .LBB30_94
.LBB30_121:
	ds_load_b32 v14, v1 offset:256
	s_wait_dscnt 0x0
	v_add_f32_e32 v2, v2, v14
	s_or_b32 exec_lo, exec_lo, s0
	s_and_saveexec_b32 s0, vcc_lo
	s_cbranch_execz .LBB30_95
.LBB30_122:
	ds_load_b32 v14, v1 offset:288
	s_wait_dscnt 0x0
	v_add_f32_e32 v3, v3, v14
	s_or_b32 exec_lo, exec_lo, s0
	s_and_saveexec_b32 s0, vcc_lo
	s_cbranch_execz .LBB30_96
.LBB30_123:
	ds_load_b32 v14, v1 offset:320
	s_wait_dscnt 0x0
	v_add_f32_e32 v12, v12, v14
	s_or_b32 exec_lo, exec_lo, s0
	s_and_saveexec_b32 s0, vcc_lo
	s_cbranch_execnz .LBB30_97
	s_branch .LBB30_98
	.section	.rodata,"a",@progbits
	.p2align	6, 0x0
	.amdhsa_kernel _ZN4vllm25paged_attention_v1_kernelIffLi96ELi16ELi128ELNS_18Fp8KVCacheDataTypeE0ELb0EEEvPT_PKS2_PKT0_S8_ifPKiSA_iPKfiiiSC_SC_iiiii
		.amdhsa_group_segment_fixed_size 416
		.amdhsa_private_segment_fixed_size 0
		.amdhsa_kernarg_size 384
		.amdhsa_user_sgpr_count 2
		.amdhsa_user_sgpr_dispatch_ptr 0
		.amdhsa_user_sgpr_queue_ptr 0
		.amdhsa_user_sgpr_kernarg_segment_ptr 1
		.amdhsa_user_sgpr_dispatch_id 0
		.amdhsa_user_sgpr_kernarg_preload_length 0
		.amdhsa_user_sgpr_kernarg_preload_offset 0
		.amdhsa_user_sgpr_private_segment_size 0
		.amdhsa_wavefront_size32 1
		.amdhsa_uses_dynamic_stack 0
		.amdhsa_enable_private_segment 0
		.amdhsa_system_sgpr_workgroup_id_x 1
		.amdhsa_system_sgpr_workgroup_id_y 1
		.amdhsa_system_sgpr_workgroup_id_z 1
		.amdhsa_system_sgpr_workgroup_info 0
		.amdhsa_system_vgpr_workitem_id 0
		.amdhsa_next_free_vgpr 102
		.amdhsa_next_free_sgpr 30
		.amdhsa_named_barrier_count 0
		.amdhsa_reserve_vcc 1
		.amdhsa_float_round_mode_32 0
		.amdhsa_float_round_mode_16_64 0
		.amdhsa_float_denorm_mode_32 3
		.amdhsa_float_denorm_mode_16_64 3
		.amdhsa_fp16_overflow 0
		.amdhsa_memory_ordered 1
		.amdhsa_forward_progress 1
		.amdhsa_inst_pref_size 60
		.amdhsa_round_robin_scheduling 0
		.amdhsa_exception_fp_ieee_invalid_op 0
		.amdhsa_exception_fp_denorm_src 0
		.amdhsa_exception_fp_ieee_div_zero 0
		.amdhsa_exception_fp_ieee_overflow 0
		.amdhsa_exception_fp_ieee_underflow 0
		.amdhsa_exception_fp_ieee_inexact 0
		.amdhsa_exception_int_div_zero 0
	.end_amdhsa_kernel
	.section	.text._ZN4vllm25paged_attention_v1_kernelIffLi96ELi16ELi128ELNS_18Fp8KVCacheDataTypeE0ELb0EEEvPT_PKS2_PKT0_S8_ifPKiSA_iPKfiiiSC_SC_iiiii,"axG",@progbits,_ZN4vllm25paged_attention_v1_kernelIffLi96ELi16ELi128ELNS_18Fp8KVCacheDataTypeE0ELb0EEEvPT_PKS2_PKT0_S8_ifPKiSA_iPKfiiiSC_SC_iiiii,comdat
.Lfunc_end30:
	.size	_ZN4vllm25paged_attention_v1_kernelIffLi96ELi16ELi128ELNS_18Fp8KVCacheDataTypeE0ELb0EEEvPT_PKS2_PKT0_S8_ifPKiSA_iPKfiiiSC_SC_iiiii, .Lfunc_end30-_ZN4vllm25paged_attention_v1_kernelIffLi96ELi16ELi128ELNS_18Fp8KVCacheDataTypeE0ELb0EEEvPT_PKS2_PKT0_S8_ifPKiSA_iPKfiiiSC_SC_iiiii
                                        ; -- End function
	.set _ZN4vllm25paged_attention_v1_kernelIffLi96ELi16ELi128ELNS_18Fp8KVCacheDataTypeE0ELb0EEEvPT_PKS2_PKT0_S8_ifPKiSA_iPKfiiiSC_SC_iiiii.num_vgpr, 102
	.set _ZN4vllm25paged_attention_v1_kernelIffLi96ELi16ELi128ELNS_18Fp8KVCacheDataTypeE0ELb0EEEvPT_PKS2_PKT0_S8_ifPKiSA_iPKfiiiSC_SC_iiiii.num_agpr, 0
	.set _ZN4vllm25paged_attention_v1_kernelIffLi96ELi16ELi128ELNS_18Fp8KVCacheDataTypeE0ELb0EEEvPT_PKS2_PKT0_S8_ifPKiSA_iPKfiiiSC_SC_iiiii.numbered_sgpr, 30
	.set _ZN4vllm25paged_attention_v1_kernelIffLi96ELi16ELi128ELNS_18Fp8KVCacheDataTypeE0ELb0EEEvPT_PKS2_PKT0_S8_ifPKiSA_iPKfiiiSC_SC_iiiii.num_named_barrier, 0
	.set _ZN4vllm25paged_attention_v1_kernelIffLi96ELi16ELi128ELNS_18Fp8KVCacheDataTypeE0ELb0EEEvPT_PKS2_PKT0_S8_ifPKiSA_iPKfiiiSC_SC_iiiii.private_seg_size, 0
	.set _ZN4vllm25paged_attention_v1_kernelIffLi96ELi16ELi128ELNS_18Fp8KVCacheDataTypeE0ELb0EEEvPT_PKS2_PKT0_S8_ifPKiSA_iPKfiiiSC_SC_iiiii.uses_vcc, 1
	.set _ZN4vllm25paged_attention_v1_kernelIffLi96ELi16ELi128ELNS_18Fp8KVCacheDataTypeE0ELb0EEEvPT_PKS2_PKT0_S8_ifPKiSA_iPKfiiiSC_SC_iiiii.uses_flat_scratch, 0
	.set _ZN4vllm25paged_attention_v1_kernelIffLi96ELi16ELi128ELNS_18Fp8KVCacheDataTypeE0ELb0EEEvPT_PKS2_PKT0_S8_ifPKiSA_iPKfiiiSC_SC_iiiii.has_dyn_sized_stack, 0
	.set _ZN4vllm25paged_attention_v1_kernelIffLi96ELi16ELi128ELNS_18Fp8KVCacheDataTypeE0ELb0EEEvPT_PKS2_PKT0_S8_ifPKiSA_iPKfiiiSC_SC_iiiii.has_recursion, 0
	.set _ZN4vllm25paged_attention_v1_kernelIffLi96ELi16ELi128ELNS_18Fp8KVCacheDataTypeE0ELb0EEEvPT_PKS2_PKT0_S8_ifPKiSA_iPKfiiiSC_SC_iiiii.has_indirect_call, 0
	.section	.AMDGPU.csdata,"",@progbits
; Kernel info:
; codeLenInByte = 7624
; TotalNumSgprs: 32
; NumVgprs: 102
; ScratchSize: 0
; MemoryBound: 0
; FloatMode: 240
; IeeeMode: 1
; LDSByteSize: 416 bytes/workgroup (compile time only)
; SGPRBlocks: 0
; VGPRBlocks: 6
; NumSGPRsForWavesPerEU: 32
; NumVGPRsForWavesPerEU: 102
; NamedBarCnt: 0
; Occupancy: 9
; WaveLimiterHint : 1
; COMPUTE_PGM_RSRC2:SCRATCH_EN: 0
; COMPUTE_PGM_RSRC2:USER_SGPR: 2
; COMPUTE_PGM_RSRC2:TRAP_HANDLER: 0
; COMPUTE_PGM_RSRC2:TGID_X_EN: 1
; COMPUTE_PGM_RSRC2:TGID_Y_EN: 1
; COMPUTE_PGM_RSRC2:TGID_Z_EN: 1
; COMPUTE_PGM_RSRC2:TIDIG_COMP_CNT: 0
	.section	.text._ZN4vllm25paged_attention_v1_kernelIffLi112ELi16ELi128ELNS_18Fp8KVCacheDataTypeE0ELb0EEEvPT_PKS2_PKT0_S8_ifPKiSA_iPKfiiiSC_SC_iiiii,"axG",@progbits,_ZN4vllm25paged_attention_v1_kernelIffLi112ELi16ELi128ELNS_18Fp8KVCacheDataTypeE0ELb0EEEvPT_PKS2_PKT0_S8_ifPKiSA_iPKfiiiSC_SC_iiiii,comdat
	.protected	_ZN4vllm25paged_attention_v1_kernelIffLi112ELi16ELi128ELNS_18Fp8KVCacheDataTypeE0ELb0EEEvPT_PKS2_PKT0_S8_ifPKiSA_iPKfiiiSC_SC_iiiii ; -- Begin function _ZN4vllm25paged_attention_v1_kernelIffLi112ELi16ELi128ELNS_18Fp8KVCacheDataTypeE0ELb0EEEvPT_PKS2_PKT0_S8_ifPKiSA_iPKfiiiSC_SC_iiiii
	.globl	_ZN4vllm25paged_attention_v1_kernelIffLi112ELi16ELi128ELNS_18Fp8KVCacheDataTypeE0ELb0EEEvPT_PKS2_PKT0_S8_ifPKiSA_iPKfiiiSC_SC_iiiii
	.p2align	8
	.type	_ZN4vllm25paged_attention_v1_kernelIffLi112ELi16ELi128ELNS_18Fp8KVCacheDataTypeE0ELb0EEEvPT_PKS2_PKT0_S8_ifPKiSA_iPKfiiiSC_SC_iiiii,@function
_ZN4vllm25paged_attention_v1_kernelIffLi112ELi16ELi128ELNS_18Fp8KVCacheDataTypeE0ELb0EEEvPT_PKS2_PKT0_S8_ifPKiSA_iPKfiiiSC_SC_iiiii: ; @_ZN4vllm25paged_attention_v1_kernelIffLi112ELi16ELi128ELNS_18Fp8KVCacheDataTypeE0ELb0EEEvPT_PKS2_PKT0_S8_ifPKiSA_iPKfiiiSC_SC_iiiii
; %bb.0:
	s_load_b64 s[6:7], s[0:1], 0x20
	s_bfe_u32 s3, ttmp6, 0x4000c
	s_bfe_u32 s5, ttmp6, 0x40010
	s_and_b32 s4, ttmp7, 0xffff
	s_add_co_i32 s3, s3, 1
	s_add_co_i32 s5, s5, 1
	s_and_b32 s2, ttmp6, 15
	s_bfe_u32 s8, ttmp6, 0x40004
	s_mul_i32 s3, ttmp9, s3
	s_mul_i32 s5, s4, s5
	s_getreg_b32 s18, hwreg(HW_REG_IB_STS2, 6, 4)
	s_add_co_i32 s2, s2, s3
	s_add_co_i32 s8, s8, s5
	s_cmp_eq_u32 s18, 0
	s_clause 0x1
	s_load_b32 s19, s[0:1], 0x80
	s_load_b64 s[10:11], s[0:1], 0x30
	s_cselect_b32 s20, s4, s8
	s_cselect_b32 s8, ttmp9, s2
	s_wait_kmcnt 0x0
	s_abs_i32 s2, s6
	s_delay_alu instid0(SALU_CYCLE_1) | instskip(SKIP_1) | instid1(SALU_CYCLE_2)
	s_cvt_f32_u32 s3, s2
	s_sub_co_i32 s4, 0, s2
	v_rcp_iflag_f32_e32 v1, s3
	s_abs_i32 s5, s19
	v_nop
	s_delay_alu instid0(TRANS32_DEP_1) | instskip(SKIP_1) | instid1(SALU_CYCLE_3)
	v_readfirstlane_b32 s3, v1
	s_mul_f32 s3, s3, 0x4f7ffffe
	s_cvt_u32_f32 s3, s3
	s_delay_alu instid0(SALU_CYCLE_3) | instskip(NEXT) | instid1(SALU_CYCLE_1)
	s_mul_i32 s4, s4, s3
	s_mul_hi_u32 s4, s3, s4
	s_delay_alu instid0(SALU_CYCLE_1) | instskip(SKIP_4) | instid1(SALU_CYCLE_1)
	s_add_co_i32 s3, s3, s4
	s_xor_b32 s4, s19, s6
	s_mul_hi_u32 s3, s5, s3
	s_ashr_i32 s4, s4, 31
	s_mul_i32 s6, s3, s2
	s_sub_co_i32 s5, s5, s6
	s_add_co_i32 s6, s3, 1
	s_sub_co_i32 s9, s5, s2
	s_cmp_ge_u32 s5, s2
	s_cselect_b32 s3, s6, s3
	s_cselect_b32 s5, s9, s5
	s_add_co_i32 s6, s3, 1
	s_cmp_ge_u32 s5, s2
	s_cselect_b32 s2, s6, s3
	s_mov_b32 s3, 0
	s_xor_b32 s2, s2, s4
	s_mov_b32 s13, s3
	s_sub_co_i32 s15, s2, s4
	s_load_b64 s[4:5], s[0:1], 0x40
	s_abs_i32 s14, s15
	s_mov_b32 s23, s3
	s_cvt_f32_u32 s2, s14
	s_delay_alu instid0(SALU_CYCLE_3) | instskip(SKIP_1) | instid1(TRANS32_DEP_1)
	v_rcp_iflag_f32_e32 v1, s2
	v_nop
	v_readfirstlane_b32 s2, v1
	s_mul_f32 s2, s2, 0x4f7ffffe
	s_delay_alu instid0(SALU_CYCLE_3) | instskip(SKIP_1) | instid1(SALU_CYCLE_2)
	s_cvt_u32_f32 s6, s2
	s_sub_co_i32 s2, 0, s14
	s_mul_i32 s2, s2, s6
	s_delay_alu instid0(SALU_CYCLE_1)
	s_mul_hi_u32 s9, s6, s2
	s_abs_i32 s2, s8
	s_add_co_i32 s12, s6, s9
	s_wait_kmcnt 0x0
	s_cmp_eq_u64 s[4:5], 0
	s_cbranch_scc1 .LBB31_2
; %bb.1:
	s_ashr_i32 s9, s8, 31
	s_delay_alu instid0(SALU_CYCLE_1) | instskip(NEXT) | instid1(SALU_CYCLE_1)
	s_lshl_b64 s[16:17], s[8:9], 2
	s_add_nc_u64 s[4:5], s[4:5], s[16:17]
	s_load_b32 s23, s[4:5], 0x0
.LBB31_2:
	s_load_b32 s21, s[10:11], s20 offset:0x0 scale_offset
	s_wait_xcnt 0x0
	s_load_b96 s[4:6], s[0:1], 0x48
	v_dual_lshlrev_b32 v76, 2, v0 :: v_dual_bitop2_b32 v62, 1, v0 bitop3:0x40
	s_ashr_i32 s16, s8, 31
	s_ashr_i32 s15, s15, 31
	s_mul_u64 s[10:11], s[2:3], s[12:13]
	s_mulk_i32 s8, 0x70
	s_mov_b32 s3, exec_lo
	v_cmpx_gt_u32_e32 56, v0
	s_cbranch_execz .LBB31_4
; %bb.3:
	s_load_b64 s[12:13], s[0:1], 0x8
	s_wait_kmcnt 0x0
	s_mul_i32 s24, s4, s20
	s_ashr_i32 s9, s8, 31
	s_ashr_i32 s25, s24, 31
	v_and_b32_e32 v1, 0xff8, v76
	s_lshl_b64 s[24:25], s[24:25], 2
	s_delay_alu instid0(VALU_DEP_1) | instskip(SKIP_2) | instid1(SALU_CYCLE_1)
	v_mad_u32_u24 v1, 0xe0, v62, v1
	s_add_nc_u64 s[12:13], s[12:13], s[24:25]
	s_lshl_b64 s[24:25], s[8:9], 2
	s_add_nc_u64 s[12:13], s[12:13], s[24:25]
	global_load_b64 v[2:3], v0, s[12:13] scale_offset
	s_wait_loadcnt 0x0
	ds_store_b64 v1, v[2:3]
.LBB31_4:
	s_or_b32 exec_lo, exec_lo, s3
	s_wait_kmcnt 0x0
	s_add_co_i32 s3, s21, 15
	s_load_b32 s4, s[0:1], 0x38
	s_ashr_i32 s9, s3, 31
	s_mul_i32 s12, s11, s14
	s_lshr_b32 s9, s9, 28
	s_sub_co_i32 s2, s2, s12
	s_add_co_i32 s3, s3, s9
	s_xor_b32 s10, s16, s15
	s_ashr_i32 s22, s3, 4
	s_add_co_i32 s3, s11, 1
	s_sub_co_i32 s9, s2, s14
	s_cmp_ge_u32 s2, s14
	v_lshrrev_b32_e32 v1, 5, v0
	s_cselect_b32 s3, s3, s11
	s_cselect_b32 s2, s9, s2
	s_add_co_i32 s9, s3, 1
	s_cmp_ge_u32 s2, s14
	v_mbcnt_lo_u32_b32 v66, -1, 0
	s_cselect_b32 s2, s9, s3
	s_wait_dscnt 0x0
	s_xor_b32 s2, s2, s10
	s_barrier_signal -1
	s_sub_co_i32 s3, s2, s10
	v_cmp_gt_i32_e64 s2, s22, v1
	s_wait_kmcnt 0x0
	s_mul_i32 s10, s4, s20
	s_mov_b32 s4, exec_lo
	s_ashr_i32 s11, s10, 31
	s_barrier_wait -1
                                        ; implicit-def: $vgpr59
                                        ; implicit-def: $vgpr67
	v_cmpx_le_i32_e64 s22, v1
	s_xor_b32 s4, exec_lo, s4
; %bb.5:
	v_dual_mov_b32 v59, 0 :: v_dual_mov_b32 v67, 32
	v_mbcnt_lo_u32_b32 v66, -1, 0
                                        ; implicit-def: $vgpr62
; %bb.6:
	s_or_saveexec_b32 s24, s4
	s_clause 0x1
	s_load_b64 s[12:13], s[0:1], 0x28
	s_load_b32 s9, s[0:1], 0x88
	v_mov_b32_e32 v58, 0xff7fffff
	v_lshrrev_b32_e32 v78, 3, v0
	s_mul_i32 s14, s3, s6
	s_xor_b32 exec_lo, exec_lo, s24
	s_cbranch_execz .LBB31_12
; %bb.7:
	s_load_b64 s[26:27], s[0:1], 0x10
	v_bfe_u32 v63, v0, 1, 4
	v_dual_mov_b32 v67, 32 :: v_dual_bitop2_b32 v27, 1, v66 bitop3:0x14
	s_ashr_i32 s15, s14, 31
	v_dual_mov_b32 v59, 0 :: v_dual_lshlrev_b32 v26, 3, v0
	v_mul_u32_u24_e32 v54, 0xe0, v62
	v_dual_lshlrev_b32 v58, 4, v63 :: v_dual_lshlrev_b32 v65, 2, v63
	v_cmp_gt_i32_e32 vcc_lo, 32, v27
	s_lshl_b64 s[28:29], s[14:15], 2
	ds_load_b128 v[2:5], v54
	ds_load_b128 v[6:9], v54 offset:16
	ds_load_b128 v[10:13], v54 offset:32
	;; [unrolled: 1-line block ×5, first 2 shown]
	s_ashr_i32 s17, s5, 31
	s_cmp_neq_f32 s23, 0
	v_cndmask_b32_e32 v64, v66, v27, vcc_lo
	v_cmp_eq_u32_e32 vcc_lo, 0, v62
	v_lshl_or_b32 v62, v1, 6, v65
	s_cselect_b32 s3, -1, 0
	v_lshl_or_b32 v69, v1, 4, v63
	s_wait_kmcnt 0x0
	s_add_nc_u64 s[26:27], s[26:27], s[28:29]
	s_mov_b32 s16, s5
	v_add_nc_u64_e32 v[60:61], s[26:27], v[58:59]
	v_and_b32_e32 v58, 8, v26
	ds_load_b128 v[26:29], v54 offset:96
	ds_load_b128 v[30:33], v54 offset:112
	ds_load_b128 v[34:37], v54 offset:128
	ds_load_b128 v[38:41], v54 offset:144
	ds_load_b128 v[42:45], v54 offset:160
	ds_load_b128 v[46:49], v54 offset:176
	ds_load_b128 v[50:53], v54 offset:192
	ds_load_b128 v[54:57], v54 offset:208
	s_lshl_b64 s[26:27], s[10:11], 2
	v_add_nc_u32_e32 v70, 0x1e0, v62
	s_add_nc_u64 s[26:27], s[12:13], s[26:27]
	v_dual_mov_b32 v71, v1 :: v_dual_lshlrev_b32 v68, 2, v64
	v_add_nc_u64_e32 v[60:61], v[60:61], v[58:59]
	v_and_b32_e32 v58, 0x7c, v78
	s_mov_b32 s6, 0
	s_sub_co_i32 s15, 1, s21
	s_delay_alu instid0(VALU_DEP_1)
	v_add_nc_u64_e32 v[62:63], s[26:27], v[58:59]
	v_mov_b32_e32 v58, 0xff7fffff
	s_branch .LBB31_9
.LBB31_8:                               ;   in Loop: Header=BB31_9 Depth=1
	s_or_b32 exec_lo, exec_lo, s25
	v_dual_add_nc_u32 v71, 4, v71 :: v_dual_add_nc_u32 v69, 64, v69
	v_add_nc_u64_e32 v[62:63], 16, v[62:63]
	v_add_nc_u32_e32 v70, 0x100, v70
	s_delay_alu instid0(VALU_DEP_3) | instskip(SKIP_1) | instid1(SALU_CYCLE_1)
	v_cmp_le_i32_e64 s4, s22, v71
	s_or_b32 s6, s4, s6
	s_and_not1_b32 exec_lo, exec_lo, s6
	s_cbranch_execz .LBB31_11
.LBB31_9:                               ; =>This Inner Loop Header: Depth=1
	global_load_b32 v64, v[62:63], off
	s_wait_loadcnt_dscnt 0x0
	v_ashrrev_i32_e32 v65, 31, v64
	s_delay_alu instid0(VALU_DEP_1) | instskip(NEXT) | instid1(VALU_DEP_1)
	v_mul_u64_e32 v[64:65], s[16:17], v[64:65]
	v_lshl_add_u64 v[64:65], v[64:65], 2, v[60:61]
	s_clause 0xd
	global_load_b64 v[72:73], v[64:65], off offset:256
	global_load_b64 v[74:75], v[64:65], off offset:512
	;; [unrolled: 1-line block ×3, first 2 shown]
	global_load_b64 v[82:83], v[64:65], off
	global_load_b64 v[84:85], v[64:65], off offset:1024
	global_load_b64 v[86:87], v[64:65], off offset:1280
	;; [unrolled: 1-line block ×10, first 2 shown]
	s_wait_loadcnt_dscnt 0xd0d
	v_dual_mul_f32 v79, v5, v73 :: v_dual_mul_f32 v77, v4, v72
	global_load_b64 v[72:73], v[64:65], off offset:3584
	s_wait_loadcnt 0xb
	v_dual_fmac_f32 v79, v3, v83 :: v_dual_fmac_f32 v77, v2, v82
	global_load_b64 v[82:83], v[64:65], off offset:4352
	s_wait_dscnt 0xc
	v_dual_fmac_f32 v79, v7, v75 :: v_dual_fmac_f32 v77, v6, v74
	global_load_b64 v[74:75], v[64:65], off offset:3840
	v_dual_fmac_f32 v79, v9, v81 :: v_dual_fmac_f32 v77, v8, v80
	global_load_b64 v[80:81], v[64:65], off offset:4096
	s_wait_loadcnt_dscnt 0xd0b
	v_dual_fmac_f32 v79, v11, v85 :: v_dual_fmac_f32 v77, v10, v84
	global_load_b64 v[84:85], v[64:65], off offset:4608
	s_wait_loadcnt 0xd
	v_dual_fmac_f32 v79, v13, v87 :: v_dual_fmac_f32 v77, v12, v86
	global_load_b64 v[86:87], v[64:65], off offset:4864
	s_wait_loadcnt_dscnt 0xd0a
	v_dual_fmac_f32 v79, v15, v89 :: v_dual_fmac_f32 v77, v14, v88
	global_load_b64 v[88:89], v[64:65], off offset:5120
	s_wait_loadcnt 0xd
	;; [unrolled: 6-line block ×4, first 2 shown]
	v_dual_fmac_f32 v79, v25, v99 :: v_dual_fmac_f32 v77, v24, v98
	global_load_b64 v[98:99], v[64:65], off offset:6400
	s_wait_loadcnt_dscnt 0xd07
	v_dual_fmac_f32 v79, v27, v101 :: v_dual_fmac_f32 v77, v26, v100
	s_clause 0x1
	global_load_b64 v[100:101], v[64:65], off offset:6656
	global_load_b64 v[64:65], v[64:65], off offset:6912
	s_wait_loadcnt 0xe
	v_dual_fmac_f32 v79, v29, v103 :: v_dual_fmac_f32 v77, v28, v102
	s_wait_loadcnt_dscnt 0xd06
	s_delay_alu instid0(VALU_DEP_1) | instskip(SKIP_1) | instid1(VALU_DEP_1)
	v_dual_fmac_f32 v79, v31, v73 :: v_dual_fmac_f32 v77, v30, v72
	s_wait_loadcnt 0xb
	v_dual_fmac_f32 v79, v33, v75 :: v_dual_fmac_f32 v77, v32, v74
	s_wait_loadcnt_dscnt 0xa05
	s_delay_alu instid0(VALU_DEP_1) | instskip(NEXT) | instid1(VALU_DEP_1)
	v_dual_fmac_f32 v79, v35, v81 :: v_dual_fmac_f32 v77, v34, v80
	v_dual_fmac_f32 v79, v37, v83 :: v_dual_fmac_f32 v77, v36, v82
	s_wait_loadcnt_dscnt 0x904
	s_delay_alu instid0(VALU_DEP_1) | instskip(SKIP_1) | instid1(VALU_DEP_1)
	v_dual_fmac_f32 v79, v39, v85 :: v_dual_fmac_f32 v77, v38, v84
	s_wait_loadcnt 0x8
	v_dual_fmac_f32 v79, v41, v87 :: v_dual_fmac_f32 v77, v40, v86
	s_wait_loadcnt_dscnt 0x703
	s_delay_alu instid0(VALU_DEP_1) | instskip(SKIP_1) | instid1(VALU_DEP_1)
	v_dual_fmac_f32 v79, v43, v89 :: v_dual_fmac_f32 v77, v42, v88
	s_wait_loadcnt 0x6
	;; [unrolled: 5-line block ×5, first 2 shown]
	v_dual_fmac_f32 v79, v57, v65 :: v_dual_fmac_f32 v77, v56, v64
	s_wait_xcnt 0x0
	s_delay_alu instid0(VALU_DEP_1)
	v_add_f32_e32 v64, v77, v79
	ds_bpermute_b32 v65, v68, v64
	s_and_saveexec_b32 s25, vcc_lo
	s_cbranch_execz .LBB31_8
; %bb.10:                               ;   in Loop: Header=BB31_9 Depth=1
	s_wait_dscnt 0x0
	v_add_f32_e32 v64, v64, v65
	v_add_nc_u32_e32 v72, s15, v69
	v_cmp_gt_i32_e64 s4, s21, v69
	s_delay_alu instid0(VALU_DEP_2) | instskip(NEXT) | instid1(VALU_DEP_1)
	v_cvt_f32_i32_e32 v72, v72
	v_mul_f32_e32 v72, s23, v72
	s_delay_alu instid0(VALU_DEP_1) | instskip(NEXT) | instid1(VALU_DEP_1)
	v_dual_cndmask_b32 v65, 0, v72, s3 :: v_dual_max_num_f32 v72, v58, v58
	v_fmac_f32_e32 v65, s7, v64
	s_delay_alu instid0(VALU_DEP_1) | instskip(NEXT) | instid1(VALU_DEP_1)
	v_dual_max_num_f32 v64, v72, v65 :: v_dual_cndmask_b32 v65, 0, v65, s4
	v_cndmask_b32_e64 v58, v58, v64, s4
	ds_store_b32 v70, v65
	s_branch .LBB31_8
.LBB31_11:
	s_or_b32 exec_lo, exec_lo, s6
.LBB31_12:
	s_delay_alu instid0(SALU_CYCLE_1)
	s_or_b32 exec_lo, exec_lo, s24
	v_xor_b32_e32 v4, 8, v66
	v_xor_b32_e32 v2, 16, v66
	v_max_num_f32_e32 v5, v58, v58
	s_clause 0x1
	s_load_b64 s[6:7], s[0:1], 0x0
	s_load_b64 s[16:17], s[0:1], 0x18
	v_and_b32_e32 v80, 31, v0
	v_cmp_lt_i32_e32 vcc_lo, v2, v67
	v_cndmask_b32_e32 v2, v66, v2, vcc_lo
	v_cmp_lt_i32_e32 vcc_lo, v4, v67
	s_delay_alu instid0(VALU_DEP_2) | instskip(SKIP_3) | instid1(VALU_DEP_1)
	v_dual_cndmask_b32 v4, v66, v4, vcc_lo :: v_dual_lshlrev_b32 v2, 2, v2
	ds_bpermute_b32 v3, v2, v58
	s_wait_dscnt 0x0
	v_dual_max_num_f32 v6, v3, v3 :: v_dual_lshlrev_b32 v3, 2, v4
	v_max_num_f32_e32 v5, v5, v6
	v_xor_b32_e32 v6, 4, v66
	s_delay_alu instid0(VALU_DEP_1) | instskip(SKIP_4) | instid1(VALU_DEP_1)
	v_cmp_lt_i32_e32 vcc_lo, v6, v67
	v_cndmask_b32_e32 v6, v66, v6, vcc_lo
	ds_bpermute_b32 v4, v3, v5
	s_wait_dscnt 0x0
	v_dual_max_num_f32 v7, v4, v4 :: v_dual_lshlrev_b32 v4, 2, v6
	v_dual_max_num_f32 v5, v5, v7 :: v_dual_bitop2_b32 v7, 2, v66 bitop3:0x14
	ds_bpermute_b32 v6, v4, v5
	s_wait_dscnt 0x0
	v_max_num_f32_e32 v6, v6, v6
	s_delay_alu instid0(VALU_DEP_1) | instskip(SKIP_3) | instid1(VALU_DEP_2)
	v_dual_max_num_f32 v6, v5, v6 :: v_dual_lshlrev_b32 v5, 2, v1
	v_cmp_lt_i32_e32 vcc_lo, v7, v67
	v_cndmask_b32_e32 v7, v66, v7, vcc_lo
	v_cmp_eq_u32_e32 vcc_lo, 0, v80
	v_lshlrev_b32_e32 v81, 2, v7
	ds_bpermute_b32 v7, v81, v6
	s_wait_xcnt 0x0
	s_and_saveexec_b32 s0, vcc_lo
	s_cbranch_execz .LBB31_14
; %bb.13:
	s_wait_dscnt 0x0
	v_dual_max_num_f32 v7, v7, v7 :: v_dual_max_num_f32 v6, v6, v6
	s_delay_alu instid0(VALU_DEP_1)
	v_max_num_f32_e32 v6, v6, v7
	ds_store_b32 v5, v6 offset:448
.LBB31_14:
	s_or_b32 exec_lo, exec_lo, s0
	v_cmp_gt_u32_e64 s0, 4, v80
	s_wait_dscnt 0x0
	v_dual_mov_b32 v7, 0xff7fffff :: v_dual_lshlrev_b32 v6, 2, v80
	s_barrier_signal -1
	s_barrier_wait -1
	s_and_saveexec_b32 s1, s0
; %bb.15:
	ds_load_b32 v7, v6 offset:448
; %bb.16:
	s_or_b32 exec_lo, exec_lo, s1
	s_wait_dscnt 0x0
	ds_bpermute_b32 v8, v81, v7
	v_dual_max_num_f32 v7, v7, v7 :: v_dual_bitop2_b32 v9, 1, v66 bitop3:0x14
	s_delay_alu instid0(VALU_DEP_1) | instskip(NEXT) | instid1(VALU_DEP_1)
	v_cmp_lt_i32_e64 s1, v9, v67
	v_cndmask_b32_e64 v9, v66, v9, s1
	s_lshl_b32 s1, s22, 4
	s_delay_alu instid0(SALU_CYCLE_1) | instskip(NEXT) | instid1(SALU_CYCLE_1)
	s_min_i32 s4, s1, s21
	v_cmp_gt_i32_e64 s1, s4, v0
	s_wait_dscnt 0x0
	v_dual_max_num_f32 v8, v8, v8 :: v_dual_lshlrev_b32 v82, 2, v9
	s_delay_alu instid0(VALU_DEP_1) | instskip(SKIP_3) | instid1(VALU_DEP_1)
	v_max_num_f32_e32 v7, v7, v8
	ds_bpermute_b32 v8, v82, v7
	s_wait_dscnt 0x0
	v_max_num_f32_e32 v8, v8, v8
	v_dual_max_num_f32 v7, v7, v8 :: v_dual_lshlrev_b32 v8, 2, v59
	ds_bpermute_b32 v8, v8, v7
	v_mov_b32_e32 v7, 0
	s_and_saveexec_b32 s15, s1
	s_cbranch_execz .LBB31_20
; %bb.17:
	v_lshl_add_u32 v9, v0, 2, 0x1e0
	v_dual_mov_b32 v7, 0 :: v_dual_mov_b32 v10, v0
	s_mov_b32 s23, 0
.LBB31_18:                              ; =>This Inner Loop Header: Depth=1
	ds_load_b32 v11, v9
	v_add_nc_u32_e32 v10, 0x80, v10
	s_delay_alu instid0(VALU_DEP_1) | instskip(SKIP_3) | instid1(VALU_DEP_1)
	v_cmp_le_i32_e64 s3, s4, v10
	s_or_b32 s23, s3, s23
	s_wait_dscnt 0x0
	v_sub_f32_e32 v11, v11, v8
	v_mul_f32_e32 v11, 0x3fb8aa3b, v11
	s_delay_alu instid0(VALU_DEP_1)
	v_exp_f32_e32 v11, v11
	ds_store_b32 v9, v11
	v_nop
	v_add_f32_e32 v7, v7, v11
	v_add_nc_u32_e32 v9, 0x200, v9
	s_and_not1_b32 exec_lo, exec_lo, s23
	s_cbranch_execnz .LBB31_18
; %bb.19:
	s_or_b32 exec_lo, exec_lo, s23
.LBB31_20:
	s_delay_alu instid0(SALU_CYCLE_1)
	s_or_b32 exec_lo, exec_lo, s15
	ds_bpermute_b32 v2, v2, v7
	s_wait_dscnt 0x0
	v_add_f32_e32 v2, v7, v2
	ds_bpermute_b32 v3, v3, v2
	s_wait_dscnt 0x0
	v_add_f32_e32 v2, v2, v3
	ds_bpermute_b32 v3, v4, v2
	s_wait_dscnt 0x0
	v_add_f32_e32 v2, v2, v3
	ds_bpermute_b32 v3, v81, v2
	s_wait_dscnt 0x0
	v_add_f32_e32 v2, v2, v3
	ds_bpermute_b32 v3, v82, v2
	s_wait_dscnt 0x0
	v_add_f32_e32 v2, v2, v3
	s_and_saveexec_b32 s3, vcc_lo
; %bb.21:
	ds_store_b32 v5, v2 offset:464
; %bb.22:
	s_or_b32 exec_lo, exec_lo, s3
	s_wait_dscnt 0x0
	s_barrier_signal -1
	s_barrier_wait -1
	s_and_saveexec_b32 s3, s0
; %bb.23:
	ds_load_b32 v2, v6 offset:464
; %bb.24:
	s_or_b32 exec_lo, exec_lo, s3
	s_wait_dscnt 0x0
	ds_bpermute_b32 v3, v81, v2
	s_wait_dscnt 0x0
	v_dual_lshlrev_b32 v4, 2, v66 :: v_dual_add_f32 v2, v2, v3
	ds_bpermute_b32 v3, v82, v2
	s_wait_dscnt 0x0
	v_add_f32_e32 v2, v2, v3
	v_and_b32_e32 v3, 0xffffff80, v4
	ds_bpermute_b32 v2, v3, v2
	s_and_saveexec_b32 s0, s1
	s_cbranch_execz .LBB31_37
; %bb.25:
	s_wait_dscnt 0x0
	v_add_f32_e32 v2, 0x358637bd, v2
	s_mov_b32 s3, -1
	s_mov_b32 s1, exec_lo
	s_delay_alu instid0(VALU_DEP_1) | instskip(NEXT) | instid1(VALU_DEP_1)
	v_div_scale_f32 v3, null, v2, v2, 1.0
	v_rcp_f32_e32 v5, v3
	v_nop
	s_delay_alu instid0(TRANS32_DEP_1) | instskip(NEXT) | instid1(VALU_DEP_1)
	v_fma_f32 v4, -v3, v5, 1.0
	v_fmac_f32_e32 v5, v4, v5
	v_div_scale_f32 v6, vcc_lo, 1.0, v2, 1.0
	s_delay_alu instid0(VALU_DEP_1) | instskip(NEXT) | instid1(VALU_DEP_1)
	v_mul_f32_e32 v7, v6, v5
	v_fma_f32 v4, -v3, v7, v6
	s_delay_alu instid0(VALU_DEP_1) | instskip(SKIP_1) | instid1(VALU_DEP_2)
	v_fmac_f32_e32 v7, v4, v5
	v_xad_u32 v4, v0, -1, s4
	v_fma_f32 v3, -v3, v7, v6
	s_delay_alu instid0(VALU_DEP_1) | instskip(NEXT) | instid1(VALU_DEP_1)
	v_div_fmas_f32 v3, v3, v5, v7
	v_div_fixup_f32 v2, v3, v2, 1.0
	v_mov_b32_e32 v3, v0
	v_cmpx_lt_u32_e32 0x7f, v4
	s_cbranch_execz .LBB31_34
; %bb.26:
	s_delay_alu instid0(VALU_DEP_3) | instskip(NEXT) | instid1(VALU_DEP_1)
	v_dual_mov_b32 v3, v2 :: v_dual_lshrrev_b32 v4, 7, v4
	v_dual_mov_b32 v8, 0 :: v_dual_add_nc_u32 v5, -1, v4
	s_delay_alu instid0(VALU_DEP_1) | instskip(SKIP_1) | instid1(VALU_DEP_2)
	v_lshrrev_b32_e32 v6, 1, v5
	v_cmp_lt_u32_e32 vcc_lo, 13, v5
	v_add_nc_u32_e32 v5, 1, v6
	s_and_saveexec_b32 s3, vcc_lo
	s_cbranch_execz .LBB31_30
; %bb.27:
	s_delay_alu instid0(VALU_DEP_1)
	v_and_b32_e32 v6, -8, v5
	v_lshl_add_u32 v7, v0, 2, 0x1e0
	s_mov_b32 s15, 0
	s_mov_b32 s23, 0
.LBB31_28:                              ; =>This Inner Loop Header: Depth=1
	ds_load_2addr_stride64_b32 v[8:9], v7 offset1:2
	ds_load_2addr_stride64_b32 v[10:11], v7 offset0:4 offset1:6
	ds_load_2addr_stride64_b32 v[12:13], v7 offset0:8 offset1:10
	;; [unrolled: 1-line block ×7, first 2 shown]
	s_add_co_i32 s23, s23, 16
	v_add_nc_u32_e32 v6, -8, v6
	s_wait_dscnt 0x7
	v_pk_mul_f32 v[8:9], v[2:3], v[8:9]
	s_wait_dscnt 0x6
	v_pk_mul_f32 v[10:11], v[2:3], v[10:11]
	;; [unrolled: 2-line block ×8, first 2 shown]
	ds_store_2addr_stride64_b32 v7, v8, v9 offset1:2
	ds_store_2addr_stride64_b32 v7, v10, v11 offset0:4 offset1:6
	ds_store_2addr_stride64_b32 v7, v12, v13 offset0:8 offset1:10
	;; [unrolled: 1-line block ×7, first 2 shown]
	v_mov_b32_e32 v8, s23
	v_cmp_eq_u32_e32 vcc_lo, 0, v6
	v_add_nc_u32_e32 v7, 0x2000, v7
	s_or_b32 s15, vcc_lo, s15
	s_delay_alu instid0(SALU_CYCLE_1)
	s_and_not1_b32 exec_lo, exec_lo, s15
	s_cbranch_execnz .LBB31_28
; %bb.29:
	s_or_b32 exec_lo, exec_lo, s15
.LBB31_30:
	s_delay_alu instid0(SALU_CYCLE_1) | instskip(NEXT) | instid1(VALU_DEP_1)
	s_or_b32 exec_lo, exec_lo, s3
	v_and_b32_e32 v5, 7, v5
	s_mov_b32 s15, 0
	s_mov_b32 s3, exec_lo
	s_delay_alu instid0(VALU_DEP_1)
	v_cmpx_ne_u32_e32 0, v5
	s_cbranch_execz .LBB31_33
; %bb.31:
	v_lshlrev_b32_e32 v6, 9, v8
	s_delay_alu instid0(VALU_DEP_1)
	v_add3_u32 v6, v6, v76, 0x1e0
.LBB31_32:                              ; =>This Inner Loop Header: Depth=1
	ds_load_2addr_stride64_b32 v[8:9], v6 offset1:2
	v_add_nc_u32_e32 v5, -1, v5
	s_delay_alu instid0(VALU_DEP_1)
	v_cmp_eq_u32_e32 vcc_lo, 0, v5
	s_or_b32 s15, vcc_lo, s15
	s_wait_dscnt 0x0
	v_pk_mul_f32 v[8:9], v[2:3], v[8:9]
	ds_store_2addr_stride64_b32 v6, v8, v9 offset1:2
	v_add_nc_u32_e32 v6, 0x400, v6
	s_and_not1_b32 exec_lo, exec_lo, s15
	s_cbranch_execnz .LBB31_32
.LBB31_33:
	s_or_b32 exec_lo, exec_lo, s3
	v_add_nc_u32_e32 v3, 1, v4
	s_delay_alu instid0(VALU_DEP_1) | instskip(NEXT) | instid1(VALU_DEP_1)
	v_and_b32_e32 v4, 0x3fffffe, v3
	v_cmp_ne_u32_e32 vcc_lo, v3, v4
	v_lshl_add_u32 v3, v4, 7, v0
	s_or_not1_b32 s3, vcc_lo, exec_lo
.LBB31_34:
	s_or_b32 exec_lo, exec_lo, s1
	s_delay_alu instid0(SALU_CYCLE_1)
	s_and_b32 exec_lo, exec_lo, s3
	s_cbranch_execz .LBB31_37
; %bb.35:
	v_lshl_add_u32 v4, v3, 2, 0x1e0
	s_mov_b32 s1, 0
.LBB31_36:                              ; =>This Inner Loop Header: Depth=1
	ds_load_b32 v5, v4
	v_add_nc_u32_e32 v3, 0x80, v3
	s_delay_alu instid0(VALU_DEP_1)
	v_cmp_le_i32_e32 vcc_lo, s4, v3
	s_or_b32 s1, vcc_lo, s1
	s_wait_dscnt 0x0
	v_mul_f32_e32 v5, v2, v5
	ds_store_b32 v4, v5
	v_add_nc_u32_e32 v4, 0x200, v4
	s_and_not1_b32 exec_lo, exec_lo, s1
	s_cbranch_execnz .LBB31_36
.LBB31_37:
	s_or_b32 exec_lo, exec_lo, s0
	v_dual_mov_b32 v63, 0 :: v_dual_bitop2_b32 v83, 3, v0 bitop3:0x40
	v_dual_mov_b32 v62, 0 :: v_dual_mov_b32 v65, 0
	v_dual_mov_b32 v64, 0 :: v_dual_mov_b32 v67, 0
	;; [unrolled: 1-line block ×6, first 2 shown]
	v_mov_b32_e32 v74, 0
	s_wait_dscnt 0x0
	s_barrier_signal -1
	s_barrier_wait -1
	s_and_saveexec_b32 s1, s2
	s_cbranch_execz .LBB31_69
; %bb.38:
	v_dual_mov_b32 v63, 0 :: v_dual_lshlrev_b32 v2, 4, v0
	s_ashr_i32 s15, s14, 31
	v_dual_lshlrev_b32 v4, 4, v83 :: v_dual_bitop2_b32 v3, 12, v76 bitop3:0x40
	s_delay_alu instid0(VALU_DEP_2)
	v_and_b32_e32 v62, 0x1f0, v2
	s_lshl_b64 s[14:15], s[14:15], 2
	s_ashr_i32 s3, s5, 31
	s_wait_kmcnt 0x0
	s_add_nc_u64 s[14:15], s[16:17], s[14:15]
	s_mov_b32 s2, s5
	v_add_nc_u64_e32 v[76:77], s[14:15], v[62:63]
	v_and_b32_e32 v62, 0x7c, v78
	s_lshl_b64 s[4:5], s[10:11], 2
	v_lshl_or_b32 v2, v1, 6, v4
	s_add_nc_u64 s[4:5], s[12:13], s[4:5]
	v_lshl_or_b32 v84, v1, 4, v3
	v_add_nc_u64_e32 v[78:79], s[4:5], v[62:63]
	s_delay_alu instid0(VALU_DEP_3)
	v_dual_mov_b32 v62, v63 :: v_dual_add_nc_u32 v85, 0x1e0, v2
	v_dual_mov_b32 v65, v63 :: v_dual_mov_b32 v64, v63
	v_dual_mov_b32 v67, v63 :: v_dual_mov_b32 v66, v63
	;; [unrolled: 1-line block ×6, first 2 shown]
	v_mov_b32_e32 v86, v1
	s_add_co_i32 s4, s22, -1
	s_mov_b32 s10, s21
	s_mov_b32 s5, 0
	s_branch .LBB31_40
.LBB31_39:                              ;   in Loop: Header=BB31_40 Depth=1
	s_or_b32 exec_lo, exec_lo, s0
	s_wait_loadcnt_dscnt 0x200
	v_mul_f32_e32 v54, v6, v54
	s_wait_loadcnt 0x1
	v_mul_f32_e32 v58, v6, v58
	v_mul_f32_e32 v42, v6, v42
	;; [unrolled: 1-line block ×3, first 2 shown]
	v_add_nc_u64_e32 v[78:79], 16, v[78:79]
	v_fmac_f32_e32 v54, v7, v55
	v_fmac_f32_e32 v58, v7, v59
	;; [unrolled: 1-line block ×3, first 2 shown]
	v_dual_fmac_f32 v46, v7, v47 :: v_dual_add_nc_u32 v85, 0x100, v85
	s_delay_alu instid0(VALU_DEP_3) | instskip(NEXT) | instid1(VALU_DEP_3)
	v_dual_mul_f32 v38, v6, v38 :: v_dual_fmac_f32 v58, v8, v60
	v_dual_fmac_f32 v42, v8, v44 :: v_dual_mul_f32 v34, v6, v34
	s_delay_alu instid0(VALU_DEP_2) | instskip(NEXT) | instid1(VALU_DEP_3)
	v_dual_mul_f32 v22, v6, v22 :: v_dual_fmac_f32 v38, v7, v39
	v_fmac_f32_e32 v58, v9, v61
	v_fmac_f32_e32 v54, v8, v56
	s_delay_alu instid0(VALU_DEP_4) | instskip(NEXT) | instid1(VALU_DEP_3)
	v_dual_fmac_f32 v42, v9, v45 :: v_dual_mul_f32 v26, v6, v26
	v_dual_fmac_f32 v38, v8, v40 :: v_dual_add_f32 v62, v62, v58
	s_delay_alu instid0(VALU_DEP_2) | instskip(SKIP_2) | instid1(VALU_DEP_4)
	v_dual_fmac_f32 v54, v9, v57 :: v_dual_add_f32 v67, v67, v42
	v_fmac_f32_e32 v46, v8, v48
	v_dual_fmac_f32 v22, v7, v23 :: v_dual_mul_f32 v14, v6, v14
	v_dual_mul_f32 v23, v6, v18 :: v_dual_fmac_f32 v38, v9, v41
	s_delay_alu instid0(VALU_DEP_4) | instskip(NEXT) | instid1(VALU_DEP_4)
	v_dual_fmac_f32 v34, v7, v35 :: v_dual_add_f32 v65, v65, v54
	v_dual_fmac_f32 v46, v9, v49 :: v_dual_mul_f32 v30, v6, v30
	s_delay_alu instid0(VALU_DEP_2) | instskip(NEXT) | instid1(VALU_DEP_4)
	v_dual_add_f32 v66, v66, v38 :: v_dual_fmac_f32 v34, v8, v36
	v_fmac_f32_e32 v23, v7, v19
	s_wait_loadcnt 0x0
	v_pk_mul_f32 v[18:19], v[6:7], v[50:51]
	v_fmac_f32_e32 v22, v8, v24
	v_dual_add_f32 v64, v64, v46 :: v_dual_fmac_f32 v34, v9, v37
	v_dual_fmac_f32 v30, v7, v31 :: v_dual_fmac_f32 v23, v8, v20
	s_delay_alu instid0(VALU_DEP_3) | instskip(NEXT) | instid1(VALU_DEP_3)
	v_fmac_f32_e32 v22, v9, v25
	v_dual_fmac_f32 v14, v7, v15 :: v_dual_add_f32 v69, v69, v34
	s_delay_alu instid0(VALU_DEP_3) | instskip(NEXT) | instid1(VALU_DEP_3)
	v_dual_fmac_f32 v30, v8, v32 :: v_dual_fmac_f32 v23, v9, v21
	v_add_f32_e32 v70, v70, v22
	s_delay_alu instid0(VALU_DEP_3) | instskip(NEXT) | instid1(VALU_DEP_3)
	v_dual_mul_f32 v22, v6, v2 :: v_dual_fmac_f32 v14, v8, v16
	v_fmac_f32_e32 v30, v9, v33
	v_dual_fmac_f32 v26, v7, v27 :: v_dual_mul_f32 v10, v6, v10
	v_dual_add_f32 v6, v19, v18 :: v_dual_add_f32 v73, v73, v23
	s_delay_alu instid0(VALU_DEP_3) | instskip(NEXT) | instid1(VALU_DEP_3)
	v_add_f32_e32 v68, v68, v30
	v_fmac_f32_e32 v26, v8, v28
	v_fmac_f32_e32 v14, v9, v17
	;; [unrolled: 1-line block ×3, first 2 shown]
	v_pk_mul_f32 v[2:3], v[8:9], v[52:53]
	v_dual_fmac_f32 v10, v7, v11 :: v_dual_add_nc_u32 v86, 4, v86
	v_dual_fmac_f32 v26, v9, v29 :: v_dual_add_nc_u32 v84, 64, v84
	s_delay_alu instid0(VALU_DEP_3) | instskip(NEXT) | instid1(VALU_DEP_3)
	v_add_f32_e32 v2, v2, v6
	v_cmp_le_i32_e32 vcc_lo, s22, v86
	s_delay_alu instid0(VALU_DEP_3) | instskip(NEXT) | instid1(VALU_DEP_3)
	v_add_f32_e32 v71, v71, v26
	v_add_f32_e32 v2, v3, v2
	s_or_b32 s5, vcc_lo, s5
	s_delay_alu instid0(VALU_DEP_1) | instskip(SKIP_2) | instid1(VALU_DEP_1)
	v_add_f32_e32 v63, v63, v2
	v_add_f32_e32 v72, v72, v14
	v_fmac_f32_e32 v22, v8, v4
	v_fmac_f32_e32 v22, v9, v5
	s_delay_alu instid0(VALU_DEP_1) | instskip(NEXT) | instid1(VALU_DEP_1)
	v_dual_fmac_f32 v10, v8, v12 :: v_dual_add_f32 v74, v74, v22
	v_fmac_f32_e32 v10, v9, v13
	s_delay_alu instid0(VALU_DEP_1)
	v_add_f32_e32 v75, v75, v10
	s_and_not1_b32 exec_lo, exec_lo, s5
	s_cbranch_execz .LBB31_68
.LBB31_40:                              ; =>This Inner Loop Header: Depth=1
	global_load_b32 v2, v[78:79], off
	ds_load_b128 v[6:9], v85
	v_cmp_eq_u32_e32 vcc_lo, s4, v86
	v_or_b32_e32 v88, 3, v84
	v_dual_add_nc_u32 v89, 1, v84 :: v_dual_bitop2_b32 v87, 2, v84 bitop3:0x54
	s_wait_loadcnt 0x0
	v_ashrrev_i32_e32 v3, 31, v2
	s_delay_alu instid0(VALU_DEP_1) | instskip(NEXT) | instid1(VALU_DEP_1)
	v_mul_u64_e32 v[2:3], s[2:3], v[2:3]
	v_lshl_add_u64 v[50:51], v[2:3], 2, v[76:77]
	global_load_b128 v[2:5], v[50:51], off
	s_wait_xcnt 0x0
	s_and_saveexec_b32 s11, vcc_lo
	s_cbranch_execnz .LBB31_54
; %bb.41:                               ;   in Loop: Header=BB31_40 Depth=1
	s_or_b32 exec_lo, exec_lo, s11
	global_load_b128 v[10:13], v[50:51], off offset:512
	s_wait_xcnt 0x0
	s_and_saveexec_b32 s11, vcc_lo
	s_cbranch_execnz .LBB31_55
.LBB31_42:                              ;   in Loop: Header=BB31_40 Depth=1
	s_or_b32 exec_lo, exec_lo, s11
	global_load_b128 v[14:17], v[50:51], off offset:1024
	s_wait_xcnt 0x0
	s_and_saveexec_b32 s11, vcc_lo
	s_cbranch_execnz .LBB31_56
.LBB31_43:                              ;   in Loop: Header=BB31_40 Depth=1
	s_or_b32 exec_lo, exec_lo, s11
	global_load_b128 v[18:21], v[50:51], off offset:1536
	s_wait_xcnt 0x0
	s_and_saveexec_b32 s11, vcc_lo
	s_cbranch_execnz .LBB31_57
.LBB31_44:                              ;   in Loop: Header=BB31_40 Depth=1
	s_or_b32 exec_lo, exec_lo, s11
	global_load_b128 v[22:25], v[50:51], off offset:2048
	s_wait_xcnt 0x0
	s_and_saveexec_b32 s11, vcc_lo
	s_cbranch_execnz .LBB31_58
.LBB31_45:                              ;   in Loop: Header=BB31_40 Depth=1
	s_or_b32 exec_lo, exec_lo, s11
	global_load_b128 v[26:29], v[50:51], off offset:2560
	s_wait_xcnt 0x0
	s_and_saveexec_b32 s11, vcc_lo
	s_cbranch_execnz .LBB31_59
.LBB31_46:                              ;   in Loop: Header=BB31_40 Depth=1
	s_or_b32 exec_lo, exec_lo, s11
	global_load_b128 v[30:33], v[50:51], off offset:3072
	s_wait_xcnt 0x0
	s_and_saveexec_b32 s11, vcc_lo
	s_cbranch_execnz .LBB31_60
.LBB31_47:                              ;   in Loop: Header=BB31_40 Depth=1
	s_or_b32 exec_lo, exec_lo, s11
	global_load_b128 v[34:37], v[50:51], off offset:3584
	s_wait_xcnt 0x0
	s_and_saveexec_b32 s11, vcc_lo
	s_cbranch_execnz .LBB31_61
.LBB31_48:                              ;   in Loop: Header=BB31_40 Depth=1
	s_or_b32 exec_lo, exec_lo, s11
	global_load_b128 v[38:41], v[50:51], off offset:4096
	s_wait_xcnt 0x0
	s_and_saveexec_b32 s11, vcc_lo
	s_cbranch_execnz .LBB31_62
.LBB31_49:                              ;   in Loop: Header=BB31_40 Depth=1
	s_or_b32 exec_lo, exec_lo, s11
	global_load_b128 v[42:45], v[50:51], off offset:4608
	s_wait_xcnt 0x0
	s_and_saveexec_b32 s11, vcc_lo
	s_cbranch_execnz .LBB31_63
.LBB31_50:                              ;   in Loop: Header=BB31_40 Depth=1
	s_or_b32 exec_lo, exec_lo, s11
	global_load_b128 v[46:49], v[50:51], off offset:5120
	s_wait_xcnt 0x0
	s_and_saveexec_b32 s11, vcc_lo
	s_cbranch_execnz .LBB31_64
.LBB31_51:                              ;   in Loop: Header=BB31_40 Depth=1
	s_or_b32 exec_lo, exec_lo, s11
	global_load_b128 v[54:57], v[50:51], off offset:5632
	s_wait_xcnt 0x0
	s_and_saveexec_b32 s11, vcc_lo
	s_cbranch_execnz .LBB31_65
.LBB31_52:                              ;   in Loop: Header=BB31_40 Depth=1
	s_or_b32 exec_lo, exec_lo, s11
	global_load_b128 v[58:61], v[50:51], off offset:6144
	s_wait_xcnt 0x0
	s_and_saveexec_b32 s11, vcc_lo
	s_cbranch_execnz .LBB31_66
.LBB31_53:                              ;   in Loop: Header=BB31_40 Depth=1
	s_or_b32 exec_lo, exec_lo, s11
	global_load_b128 v[50:53], v[50:51], off offset:6656
	s_wait_xcnt 0x0
	s_and_saveexec_b32 s0, vcc_lo
	s_cbranch_execz .LBB31_39
	s_branch .LBB31_67
.LBB31_54:                              ;   in Loop: Header=BB31_40 Depth=1
	v_cmp_gt_i32_e64 s0, s10, v89
	s_wait_loadcnt 0x0
	s_delay_alu instid0(VALU_DEP_1) | instskip(SKIP_1) | instid1(VALU_DEP_1)
	v_cndmask_b32_e64 v3, 0, v3, s0
	v_cmp_gt_i32_e64 s0, s21, v84
	v_cndmask_b32_e64 v2, 0, v2, s0
	v_cmp_gt_i32_e64 s0, s10, v88
	s_delay_alu instid0(VALU_DEP_1) | instskip(SKIP_1) | instid1(VALU_DEP_1)
	v_cndmask_b32_e64 v5, 0, v5, s0
	v_cmp_gt_i32_e64 s0, s21, v87
	v_cndmask_b32_e64 v4, 0, v4, s0
	s_or_b32 exec_lo, exec_lo, s11
	global_load_b128 v[10:13], v[50:51], off offset:512
	s_wait_xcnt 0x0
	s_and_saveexec_b32 s11, vcc_lo
	s_cbranch_execz .LBB31_42
.LBB31_55:                              ;   in Loop: Header=BB31_40 Depth=1
	v_cmp_gt_i32_e64 s0, s10, v89
	s_wait_loadcnt 0x0
	s_delay_alu instid0(VALU_DEP_1) | instskip(SKIP_1) | instid1(VALU_DEP_1)
	v_cndmask_b32_e64 v11, 0, v11, s0
	v_cmp_gt_i32_e64 s0, s21, v84
	v_cndmask_b32_e64 v10, 0, v10, s0
	v_cmp_gt_i32_e64 s0, s10, v88
	s_delay_alu instid0(VALU_DEP_1) | instskip(SKIP_1) | instid1(VALU_DEP_1)
	v_cndmask_b32_e64 v13, 0, v13, s0
	v_cmp_gt_i32_e64 s0, s21, v87
	v_cndmask_b32_e64 v12, 0, v12, s0
	s_or_b32 exec_lo, exec_lo, s11
	global_load_b128 v[14:17], v[50:51], off offset:1024
	s_wait_xcnt 0x0
	s_and_saveexec_b32 s11, vcc_lo
	s_cbranch_execz .LBB31_43
.LBB31_56:                              ;   in Loop: Header=BB31_40 Depth=1
	v_cmp_gt_i32_e64 s0, s10, v89
	s_wait_loadcnt 0x0
	s_delay_alu instid0(VALU_DEP_1) | instskip(SKIP_1) | instid1(VALU_DEP_1)
	v_cndmask_b32_e64 v15, 0, v15, s0
	v_cmp_gt_i32_e64 s0, s21, v84
	v_cndmask_b32_e64 v14, 0, v14, s0
	v_cmp_gt_i32_e64 s0, s10, v88
	s_delay_alu instid0(VALU_DEP_1) | instskip(SKIP_1) | instid1(VALU_DEP_1)
	v_cndmask_b32_e64 v17, 0, v17, s0
	v_cmp_gt_i32_e64 s0, s21, v87
	v_cndmask_b32_e64 v16, 0, v16, s0
	s_or_b32 exec_lo, exec_lo, s11
	global_load_b128 v[18:21], v[50:51], off offset:1536
	s_wait_xcnt 0x0
	s_and_saveexec_b32 s11, vcc_lo
	s_cbranch_execz .LBB31_44
.LBB31_57:                              ;   in Loop: Header=BB31_40 Depth=1
	v_cmp_gt_i32_e64 s0, s10, v89
	s_wait_loadcnt 0x0
	s_delay_alu instid0(VALU_DEP_1) | instskip(SKIP_1) | instid1(VALU_DEP_1)
	v_cndmask_b32_e64 v19, 0, v19, s0
	v_cmp_gt_i32_e64 s0, s21, v84
	v_cndmask_b32_e64 v18, 0, v18, s0
	v_cmp_gt_i32_e64 s0, s10, v88
	s_delay_alu instid0(VALU_DEP_1) | instskip(SKIP_1) | instid1(VALU_DEP_1)
	v_cndmask_b32_e64 v21, 0, v21, s0
	v_cmp_gt_i32_e64 s0, s21, v87
	v_cndmask_b32_e64 v20, 0, v20, s0
	s_or_b32 exec_lo, exec_lo, s11
	global_load_b128 v[22:25], v[50:51], off offset:2048
	s_wait_xcnt 0x0
	s_and_saveexec_b32 s11, vcc_lo
	s_cbranch_execz .LBB31_45
.LBB31_58:                              ;   in Loop: Header=BB31_40 Depth=1
	v_cmp_gt_i32_e64 s0, s10, v89
	s_wait_loadcnt 0x0
	s_delay_alu instid0(VALU_DEP_1) | instskip(SKIP_1) | instid1(VALU_DEP_1)
	v_cndmask_b32_e64 v23, 0, v23, s0
	v_cmp_gt_i32_e64 s0, s21, v84
	v_cndmask_b32_e64 v22, 0, v22, s0
	v_cmp_gt_i32_e64 s0, s10, v88
	s_delay_alu instid0(VALU_DEP_1) | instskip(SKIP_1) | instid1(VALU_DEP_1)
	v_cndmask_b32_e64 v25, 0, v25, s0
	v_cmp_gt_i32_e64 s0, s21, v87
	v_cndmask_b32_e64 v24, 0, v24, s0
	s_or_b32 exec_lo, exec_lo, s11
	global_load_b128 v[26:29], v[50:51], off offset:2560
	s_wait_xcnt 0x0
	s_and_saveexec_b32 s11, vcc_lo
	s_cbranch_execz .LBB31_46
.LBB31_59:                              ;   in Loop: Header=BB31_40 Depth=1
	v_cmp_gt_i32_e64 s0, s10, v89
	s_wait_loadcnt 0x0
	s_delay_alu instid0(VALU_DEP_1) | instskip(SKIP_1) | instid1(VALU_DEP_1)
	v_cndmask_b32_e64 v27, 0, v27, s0
	v_cmp_gt_i32_e64 s0, s21, v84
	v_cndmask_b32_e64 v26, 0, v26, s0
	v_cmp_gt_i32_e64 s0, s10, v88
	s_delay_alu instid0(VALU_DEP_1) | instskip(SKIP_1) | instid1(VALU_DEP_1)
	v_cndmask_b32_e64 v29, 0, v29, s0
	v_cmp_gt_i32_e64 s0, s21, v87
	v_cndmask_b32_e64 v28, 0, v28, s0
	s_or_b32 exec_lo, exec_lo, s11
	global_load_b128 v[30:33], v[50:51], off offset:3072
	s_wait_xcnt 0x0
	s_and_saveexec_b32 s11, vcc_lo
	s_cbranch_execz .LBB31_47
.LBB31_60:                              ;   in Loop: Header=BB31_40 Depth=1
	v_cmp_gt_i32_e64 s0, s10, v89
	s_wait_loadcnt 0x0
	s_delay_alu instid0(VALU_DEP_1) | instskip(SKIP_1) | instid1(VALU_DEP_1)
	v_cndmask_b32_e64 v31, 0, v31, s0
	v_cmp_gt_i32_e64 s0, s21, v84
	v_cndmask_b32_e64 v30, 0, v30, s0
	v_cmp_gt_i32_e64 s0, s10, v88
	s_delay_alu instid0(VALU_DEP_1) | instskip(SKIP_1) | instid1(VALU_DEP_1)
	v_cndmask_b32_e64 v33, 0, v33, s0
	v_cmp_gt_i32_e64 s0, s21, v87
	v_cndmask_b32_e64 v32, 0, v32, s0
	s_or_b32 exec_lo, exec_lo, s11
	global_load_b128 v[34:37], v[50:51], off offset:3584
	s_wait_xcnt 0x0
	s_and_saveexec_b32 s11, vcc_lo
	s_cbranch_execz .LBB31_48
.LBB31_61:                              ;   in Loop: Header=BB31_40 Depth=1
	v_cmp_gt_i32_e64 s0, s10, v89
	s_wait_loadcnt 0x0
	s_delay_alu instid0(VALU_DEP_1) | instskip(SKIP_1) | instid1(VALU_DEP_1)
	v_cndmask_b32_e64 v35, 0, v35, s0
	v_cmp_gt_i32_e64 s0, s21, v84
	v_cndmask_b32_e64 v34, 0, v34, s0
	v_cmp_gt_i32_e64 s0, s10, v88
	s_delay_alu instid0(VALU_DEP_1) | instskip(SKIP_1) | instid1(VALU_DEP_1)
	v_cndmask_b32_e64 v37, 0, v37, s0
	v_cmp_gt_i32_e64 s0, s21, v87
	v_cndmask_b32_e64 v36, 0, v36, s0
	s_or_b32 exec_lo, exec_lo, s11
	global_load_b128 v[38:41], v[50:51], off offset:4096
	s_wait_xcnt 0x0
	s_and_saveexec_b32 s11, vcc_lo
	s_cbranch_execz .LBB31_49
.LBB31_62:                              ;   in Loop: Header=BB31_40 Depth=1
	v_cmp_gt_i32_e64 s0, s10, v89
	s_wait_loadcnt 0x0
	s_delay_alu instid0(VALU_DEP_1) | instskip(SKIP_1) | instid1(VALU_DEP_1)
	v_cndmask_b32_e64 v39, 0, v39, s0
	v_cmp_gt_i32_e64 s0, s21, v84
	v_cndmask_b32_e64 v38, 0, v38, s0
	v_cmp_gt_i32_e64 s0, s10, v88
	s_delay_alu instid0(VALU_DEP_1) | instskip(SKIP_1) | instid1(VALU_DEP_1)
	v_cndmask_b32_e64 v41, 0, v41, s0
	v_cmp_gt_i32_e64 s0, s21, v87
	v_cndmask_b32_e64 v40, 0, v40, s0
	s_or_b32 exec_lo, exec_lo, s11
	global_load_b128 v[42:45], v[50:51], off offset:4608
	s_wait_xcnt 0x0
	s_and_saveexec_b32 s11, vcc_lo
	s_cbranch_execz .LBB31_50
.LBB31_63:                              ;   in Loop: Header=BB31_40 Depth=1
	v_cmp_gt_i32_e64 s0, s10, v89
	s_wait_loadcnt 0x0
	s_delay_alu instid0(VALU_DEP_1) | instskip(SKIP_1) | instid1(VALU_DEP_1)
	v_cndmask_b32_e64 v43, 0, v43, s0
	v_cmp_gt_i32_e64 s0, s21, v84
	v_cndmask_b32_e64 v42, 0, v42, s0
	v_cmp_gt_i32_e64 s0, s10, v88
	s_delay_alu instid0(VALU_DEP_1) | instskip(SKIP_1) | instid1(VALU_DEP_1)
	v_cndmask_b32_e64 v45, 0, v45, s0
	v_cmp_gt_i32_e64 s0, s21, v87
	v_cndmask_b32_e64 v44, 0, v44, s0
	s_or_b32 exec_lo, exec_lo, s11
	global_load_b128 v[46:49], v[50:51], off offset:5120
	s_wait_xcnt 0x0
	s_and_saveexec_b32 s11, vcc_lo
	s_cbranch_execz .LBB31_51
.LBB31_64:                              ;   in Loop: Header=BB31_40 Depth=1
	v_cmp_gt_i32_e64 s0, s10, v89
	s_wait_loadcnt 0x0
	s_delay_alu instid0(VALU_DEP_1) | instskip(SKIP_1) | instid1(VALU_DEP_1)
	v_cndmask_b32_e64 v47, 0, v47, s0
	v_cmp_gt_i32_e64 s0, s21, v84
	v_cndmask_b32_e64 v46, 0, v46, s0
	v_cmp_gt_i32_e64 s0, s10, v88
	s_delay_alu instid0(VALU_DEP_1) | instskip(SKIP_1) | instid1(VALU_DEP_1)
	v_cndmask_b32_e64 v49, 0, v49, s0
	v_cmp_gt_i32_e64 s0, s21, v87
	v_cndmask_b32_e64 v48, 0, v48, s0
	s_or_b32 exec_lo, exec_lo, s11
	global_load_b128 v[54:57], v[50:51], off offset:5632
	s_wait_xcnt 0x0
	s_and_saveexec_b32 s11, vcc_lo
	s_cbranch_execz .LBB31_52
.LBB31_65:                              ;   in Loop: Header=BB31_40 Depth=1
	v_cmp_gt_i32_e64 s0, s10, v89
	s_wait_loadcnt 0x0
	s_delay_alu instid0(VALU_DEP_1) | instskip(SKIP_1) | instid1(VALU_DEP_1)
	v_cndmask_b32_e64 v55, 0, v55, s0
	v_cmp_gt_i32_e64 s0, s21, v84
	v_cndmask_b32_e64 v54, 0, v54, s0
	v_cmp_gt_i32_e64 s0, s10, v88
	s_delay_alu instid0(VALU_DEP_1) | instskip(SKIP_1) | instid1(VALU_DEP_1)
	v_cndmask_b32_e64 v57, 0, v57, s0
	v_cmp_gt_i32_e64 s0, s21, v87
	v_cndmask_b32_e64 v56, 0, v56, s0
	s_or_b32 exec_lo, exec_lo, s11
	global_load_b128 v[58:61], v[50:51], off offset:6144
	s_wait_xcnt 0x0
	s_and_saveexec_b32 s11, vcc_lo
	s_cbranch_execz .LBB31_53
.LBB31_66:                              ;   in Loop: Header=BB31_40 Depth=1
	v_cmp_gt_i32_e64 s0, s10, v89
	s_wait_loadcnt 0x0
	s_delay_alu instid0(VALU_DEP_1) | instskip(SKIP_1) | instid1(VALU_DEP_1)
	v_cndmask_b32_e64 v59, 0, v59, s0
	v_cmp_gt_i32_e64 s0, s21, v84
	v_cndmask_b32_e64 v58, 0, v58, s0
	v_cmp_gt_i32_e64 s0, s10, v88
	s_delay_alu instid0(VALU_DEP_1) | instskip(SKIP_1) | instid1(VALU_DEP_1)
	v_cndmask_b32_e64 v61, 0, v61, s0
	v_cmp_gt_i32_e64 s0, s21, v87
	v_cndmask_b32_e64 v60, 0, v60, s0
	s_or_b32 exec_lo, exec_lo, s11
	global_load_b128 v[50:53], v[50:51], off offset:6656
	s_wait_xcnt 0x0
	s_and_saveexec_b32 s0, vcc_lo
	s_cbranch_execz .LBB31_39
.LBB31_67:                              ;   in Loop: Header=BB31_40 Depth=1
	v_cmp_gt_i32_e32 vcc_lo, s10, v89
	s_wait_loadcnt 0x0
	v_cndmask_b32_e32 v51, 0, v51, vcc_lo
	v_cmp_gt_i32_e32 vcc_lo, s21, v84
	v_cndmask_b32_e32 v50, 0, v50, vcc_lo
	v_cmp_gt_i32_e32 vcc_lo, s10, v88
	;; [unrolled: 2-line block ×3, first 2 shown]
	v_cndmask_b32_e32 v52, 0, v52, vcc_lo
	s_branch .LBB31_39
.LBB31_68:
	s_or_b32 exec_lo, exec_lo, s5
.LBB31_69:
	s_delay_alu instid0(SALU_CYCLE_1)
	s_or_b32 exec_lo, exec_lo, s1
	ds_bpermute_b32 v2, v81, v74
	ds_bpermute_b32 v3, v81, v75
	;; [unrolled: 1-line block ×14, first 2 shown]
	v_and_b32_e32 v19, 0x3c3, v0
	s_mov_b32 s0, exec_lo
	v_and_b32_e32 v18, 28, v80
	s_wait_dscnt 0x0
	s_barrier_signal -1
	s_barrier_wait -1
	v_pk_add_f32 v[2:3], v[74:75], v[2:3]
	v_pk_add_f32 v[4:5], v[72:73], v[4:5]
	;; [unrolled: 1-line block ×4, first 2 shown]
	ds_bpermute_b32 v8, v82, v2
	v_pk_add_f32 v[22:23], v[66:67], v[10:11]
	ds_bpermute_b32 v9, v82, v3
	v_pk_add_f32 v[24:25], v[64:65], v[12:13]
	ds_bpermute_b32 v10, v82, v4
	ds_bpermute_b32 v11, v82, v5
	;; [unrolled: 1-line block ×9, first 2 shown]
	v_pk_add_f32 v[14:15], v[62:63], v[14:15]
	ds_bpermute_b32 v33, v82, v25
	ds_bpermute_b32 v16, v82, v14
	;; [unrolled: 1-line block ×3, first 2 shown]
	s_wait_dscnt 0xc
	v_pk_add_f32 v[12:13], v[2:3], v[8:9]
	s_wait_dscnt 0xa
	v_pk_add_f32 v[10:11], v[4:5], v[10:11]
	;; [unrolled: 2-line block ×6, first 2 shown]
	v_cmpx_ne_u32_e32 64, v19
	s_xor_b32 s0, exec_lo, s0
	s_delay_alu instid0(SALU_CYCLE_1)
	s_or_saveexec_b32 s0, s0
	s_wait_dscnt 0x0
	v_pk_add_f32 v[14:15], v[14:15], v[16:17]
	v_lshrrev_b32_e32 v17, 2, v80
	v_add_nc_u32_e32 v16, 0x1e0, v18
	v_mul_u32_u24_e32 v1, 0x1c0, v1
	s_xor_b32 exec_lo, exec_lo, s0
	s_cbranch_execz .LBB31_71
; %bb.70:
	s_delay_alu instid0(VALU_DEP_1) | instskip(NEXT) | instid1(VALU_DEP_1)
	v_add_nc_u32_e32 v18, v16, v1
	v_add_nc_u32_e32 v19, 0xfffffc80, v18
	;; [unrolled: 1-line block ×9, first 2 shown]
	ds_store_b32 v19, v12
	ds_store_b32 v20, v13
	;; [unrolled: 1-line block ×8, first 2 shown]
	v_add_nc_u32_e32 v19, 0xfffffd80, v18
	v_add_nc_u32_e32 v20, 0xfffffda0, v18
	;; [unrolled: 1-line block ×6, first 2 shown]
	ds_store_b32 v19, v4
	ds_store_b32 v20, v5
	;; [unrolled: 1-line block ×6, first 2 shown]
.LBB31_71:
	s_or_b32 exec_lo, exec_lo, s0
	v_lshlrev_b32_e32 v17, 2, v17
	s_mov_b32 s1, exec_lo
	v_cmp_eq_u32_e32 vcc_lo, 0, v83
	s_wait_dscnt 0x0
	s_barrier_signal -1
	v_add3_u32 v1, 0x1e0, v1, v17
	s_barrier_wait -1
	v_cmpx_gt_u32_e32 64, v0
	s_cbranch_execz .LBB31_88
; %bb.72:
	s_and_saveexec_b32 s0, vcc_lo
	s_cbranch_execnz .LBB31_110
; %bb.73:
	s_or_b32 exec_lo, exec_lo, s0
	s_and_saveexec_b32 s0, vcc_lo
	s_cbranch_execnz .LBB31_111
.LBB31_74:
	s_or_b32 exec_lo, exec_lo, s0
	s_and_saveexec_b32 s0, vcc_lo
	s_cbranch_execnz .LBB31_112
.LBB31_75:
	s_or_b32 exec_lo, exec_lo, s0
	s_and_saveexec_b32 s0, vcc_lo
	s_cbranch_execnz .LBB31_113
.LBB31_76:
	s_or_b32 exec_lo, exec_lo, s0
	s_and_saveexec_b32 s0, vcc_lo
	s_cbranch_execnz .LBB31_114
.LBB31_77:
	s_or_b32 exec_lo, exec_lo, s0
	s_and_saveexec_b32 s0, vcc_lo
	s_cbranch_execnz .LBB31_115
.LBB31_78:
	s_or_b32 exec_lo, exec_lo, s0
	s_and_saveexec_b32 s0, vcc_lo
	s_cbranch_execnz .LBB31_116
.LBB31_79:
	s_or_b32 exec_lo, exec_lo, s0
	s_and_saveexec_b32 s0, vcc_lo
	s_cbranch_execnz .LBB31_117
.LBB31_80:
	s_or_b32 exec_lo, exec_lo, s0
	s_and_saveexec_b32 s0, vcc_lo
	s_cbranch_execnz .LBB31_118
.LBB31_81:
	s_or_b32 exec_lo, exec_lo, s0
	s_and_saveexec_b32 s0, vcc_lo
	s_cbranch_execnz .LBB31_119
.LBB31_82:
	s_or_b32 exec_lo, exec_lo, s0
	s_and_saveexec_b32 s0, vcc_lo
	s_cbranch_execnz .LBB31_120
.LBB31_83:
	s_or_b32 exec_lo, exec_lo, s0
	s_and_saveexec_b32 s0, vcc_lo
	s_cbranch_execnz .LBB31_121
.LBB31_84:
	s_or_b32 exec_lo, exec_lo, s0
	s_and_saveexec_b32 s0, vcc_lo
	s_cbranch_execnz .LBB31_122
.LBB31_85:
	s_or_b32 exec_lo, exec_lo, s0
	s_and_saveexec_b32 s0, vcc_lo
	s_cbranch_execz .LBB31_87
.LBB31_86:
	ds_load_b32 v17, v1 offset:416
	s_wait_dscnt 0x0
	v_add_f32_e32 v15, v15, v17
.LBB31_87:
	s_or_b32 exec_lo, exec_lo, s0
.LBB31_88:
	s_delay_alu instid0(SALU_CYCLE_1) | instskip(SKIP_4) | instid1(VALU_DEP_1)
	s_or_b32 exec_lo, exec_lo, s1
	v_and_b32_e32 v17, 0x3e3, v0
	s_mov_b32 s1, exec_lo
	s_barrier_signal -1
	s_barrier_wait -1
	v_cmpx_eq_u32_e32 32, v17
	s_cbranch_execz .LBB31_90
; %bb.89:
	ds_store_2addr_b32 v16, v12, v13 offset1:8
	ds_store_2addr_b32 v16, v10, v11 offset0:16 offset1:24
	ds_store_2addr_b32 v16, v8, v9 offset0:32 offset1:40
	;; [unrolled: 1-line block ×6, first 2 shown]
.LBB31_90:
	s_or_b32 exec_lo, exec_lo, s1
	s_delay_alu instid0(SALU_CYCLE_1)
	s_mov_b32 s1, exec_lo
	s_wait_dscnt 0x0
	s_barrier_signal -1
	s_barrier_wait -1
	v_cmpx_gt_u32_e32 32, v0
	s_cbranch_execz .LBB31_107
; %bb.91:
	s_and_saveexec_b32 s0, vcc_lo
	s_cbranch_execnz .LBB31_123
; %bb.92:
	s_or_b32 exec_lo, exec_lo, s0
	s_and_saveexec_b32 s0, vcc_lo
	s_cbranch_execnz .LBB31_124
.LBB31_93:
	s_or_b32 exec_lo, exec_lo, s0
	s_and_saveexec_b32 s0, vcc_lo
	s_cbranch_execnz .LBB31_125
.LBB31_94:
	s_or_b32 exec_lo, exec_lo, s0
	s_and_saveexec_b32 s0, vcc_lo
	s_cbranch_execnz .LBB31_126
.LBB31_95:
	s_or_b32 exec_lo, exec_lo, s0
	s_and_saveexec_b32 s0, vcc_lo
	s_cbranch_execnz .LBB31_127
.LBB31_96:
	s_or_b32 exec_lo, exec_lo, s0
	s_and_saveexec_b32 s0, vcc_lo
	s_cbranch_execnz .LBB31_128
.LBB31_97:
	s_or_b32 exec_lo, exec_lo, s0
	s_and_saveexec_b32 s0, vcc_lo
	s_cbranch_execnz .LBB31_129
.LBB31_98:
	s_or_b32 exec_lo, exec_lo, s0
	s_and_saveexec_b32 s0, vcc_lo
	s_cbranch_execnz .LBB31_130
.LBB31_99:
	s_or_b32 exec_lo, exec_lo, s0
	s_and_saveexec_b32 s0, vcc_lo
	s_cbranch_execnz .LBB31_131
.LBB31_100:
	s_or_b32 exec_lo, exec_lo, s0
	s_and_saveexec_b32 s0, vcc_lo
	s_cbranch_execnz .LBB31_132
.LBB31_101:
	s_or_b32 exec_lo, exec_lo, s0
	s_and_saveexec_b32 s0, vcc_lo
	s_cbranch_execnz .LBB31_133
.LBB31_102:
	s_or_b32 exec_lo, exec_lo, s0
	s_and_saveexec_b32 s0, vcc_lo
	s_cbranch_execnz .LBB31_134
.LBB31_103:
	s_or_b32 exec_lo, exec_lo, s0
	s_and_saveexec_b32 s0, vcc_lo
	s_cbranch_execnz .LBB31_135
.LBB31_104:
	s_or_b32 exec_lo, exec_lo, s0
	s_and_saveexec_b32 s0, vcc_lo
	s_cbranch_execz .LBB31_106
.LBB31_105:
	ds_load_b32 v1, v1 offset:416
	s_wait_dscnt 0x0
	v_add_f32_e32 v15, v15, v1
.LBB31_106:
	s_or_b32 exec_lo, exec_lo, s0
.LBB31_107:
	s_delay_alu instid0(SALU_CYCLE_1)
	s_or_b32 exec_lo, exec_lo, s1
	s_mov_b32 s1, 0
	s_barrier_signal -1
	s_barrier_wait -1
	s_mov_b32 s0, exec_lo
	v_cmpx_eq_u32_e32 0, v17
	s_cbranch_execz .LBB31_109
; %bb.108:
	s_wait_kmcnt 0x0
	s_mul_i32 s0, s20, s9
	s_mul_i32 s2, s9, s8
	;; [unrolled: 1-line block ×3, first 2 shown]
	s_lshr_b32 s8, ttmp7, 16
	s_mul_i32 s4, s0, 0x70
	s_bfe_u32 s0, ttmp6, 0x40014
	s_ashr_i32 s5, s4, 31
	s_add_co_i32 s0, s0, 1
	s_ashr_i32 s3, s2, 31
	s_mul_i32 s0, s8, s0
	s_bfe_u32 s9, ttmp6, 0x40008
	s_lshl_b64 s[4:5], s[4:5], 2
	s_lshl_b64 s[2:3], s[2:3], 2
	s_add_co_i32 s9, s9, s0
	s_cmp_eq_u32 s18, 0
	s_add_nc_u64 s[4:5], s[6:7], s[4:5]
	s_cselect_b32 s0, s8, s9
	s_add_nc_u64 s[2:3], s[4:5], s[2:3]
	s_mulk_i32 s0, 0x1c0
	s_delay_alu instid0(SALU_CYCLE_1)
	s_add_nc_u64 s[0:1], s[2:3], s[0:1]
	s_clause 0xd
	global_store_b32 v0, v12, s[0:1]
	global_store_b32 v0, v13, s[0:1] offset:32
	global_store_b32 v0, v10, s[0:1] offset:64
	;; [unrolled: 1-line block ×13, first 2 shown]
.LBB31_109:
	s_sendmsg sendmsg(MSG_DEALLOC_VGPRS)
	s_endpgm
.LBB31_110:
	ds_load_b32 v17, v1
	s_wait_dscnt 0x0
	v_add_f32_e32 v12, v12, v17
	s_or_b32 exec_lo, exec_lo, s0
	s_and_saveexec_b32 s0, vcc_lo
	s_cbranch_execz .LBB31_74
.LBB31_111:
	ds_load_b32 v17, v1 offset:32
	s_wait_dscnt 0x0
	v_add_f32_e32 v13, v13, v17
	s_or_b32 exec_lo, exec_lo, s0
	s_and_saveexec_b32 s0, vcc_lo
	s_cbranch_execz .LBB31_75
.LBB31_112:
	ds_load_b32 v17, v1 offset:64
	s_wait_dscnt 0x0
	v_add_f32_e32 v10, v10, v17
	s_or_b32 exec_lo, exec_lo, s0
	s_and_saveexec_b32 s0, vcc_lo
	s_cbranch_execz .LBB31_76
.LBB31_113:
	ds_load_b32 v17, v1 offset:96
	s_wait_dscnt 0x0
	v_add_f32_e32 v11, v11, v17
	s_or_b32 exec_lo, exec_lo, s0
	s_and_saveexec_b32 s0, vcc_lo
	s_cbranch_execz .LBB31_77
.LBB31_114:
	ds_load_b32 v17, v1 offset:128
	s_wait_dscnt 0x0
	v_add_f32_e32 v8, v8, v17
	s_or_b32 exec_lo, exec_lo, s0
	s_and_saveexec_b32 s0, vcc_lo
	s_cbranch_execz .LBB31_78
.LBB31_115:
	ds_load_b32 v17, v1 offset:160
	s_wait_dscnt 0x0
	v_add_f32_e32 v9, v9, v17
	s_or_b32 exec_lo, exec_lo, s0
	s_and_saveexec_b32 s0, vcc_lo
	s_cbranch_execz .LBB31_79
.LBB31_116:
	ds_load_b32 v17, v1 offset:192
	s_wait_dscnt 0x0
	v_add_f32_e32 v6, v6, v17
	s_or_b32 exec_lo, exec_lo, s0
	s_and_saveexec_b32 s0, vcc_lo
	s_cbranch_execz .LBB31_80
.LBB31_117:
	ds_load_b32 v17, v1 offset:224
	s_wait_dscnt 0x0
	v_add_f32_e32 v7, v7, v17
	s_or_b32 exec_lo, exec_lo, s0
	s_and_saveexec_b32 s0, vcc_lo
	s_cbranch_execz .LBB31_81
.LBB31_118:
	ds_load_b32 v17, v1 offset:256
	s_wait_dscnt 0x0
	v_add_f32_e32 v4, v4, v17
	s_or_b32 exec_lo, exec_lo, s0
	s_and_saveexec_b32 s0, vcc_lo
	s_cbranch_execz .LBB31_82
.LBB31_119:
	ds_load_b32 v17, v1 offset:288
	s_wait_dscnt 0x0
	v_add_f32_e32 v5, v5, v17
	s_or_b32 exec_lo, exec_lo, s0
	s_and_saveexec_b32 s0, vcc_lo
	s_cbranch_execz .LBB31_83
.LBB31_120:
	ds_load_b32 v17, v1 offset:320
	s_wait_dscnt 0x0
	v_add_f32_e32 v2, v2, v17
	s_or_b32 exec_lo, exec_lo, s0
	s_and_saveexec_b32 s0, vcc_lo
	s_cbranch_execz .LBB31_84
.LBB31_121:
	ds_load_b32 v17, v1 offset:352
	s_wait_dscnt 0x0
	v_add_f32_e32 v3, v3, v17
	s_or_b32 exec_lo, exec_lo, s0
	s_and_saveexec_b32 s0, vcc_lo
	s_cbranch_execz .LBB31_85
.LBB31_122:
	ds_load_b32 v17, v1 offset:384
	s_wait_dscnt 0x0
	v_add_f32_e32 v14, v14, v17
	s_or_b32 exec_lo, exec_lo, s0
	s_and_saveexec_b32 s0, vcc_lo
	s_cbranch_execnz .LBB31_86
	s_branch .LBB31_87
.LBB31_123:
	ds_load_b32 v16, v1
	s_wait_dscnt 0x0
	v_add_f32_e32 v12, v12, v16
	s_or_b32 exec_lo, exec_lo, s0
	s_and_saveexec_b32 s0, vcc_lo
	s_cbranch_execz .LBB31_93
.LBB31_124:
	ds_load_b32 v16, v1 offset:32
	s_wait_dscnt 0x0
	v_add_f32_e32 v13, v13, v16
	s_or_b32 exec_lo, exec_lo, s0
	s_and_saveexec_b32 s0, vcc_lo
	s_cbranch_execz .LBB31_94
.LBB31_125:
	ds_load_b32 v16, v1 offset:64
	s_wait_dscnt 0x0
	v_add_f32_e32 v10, v10, v16
	s_or_b32 exec_lo, exec_lo, s0
	s_and_saveexec_b32 s0, vcc_lo
	s_cbranch_execz .LBB31_95
.LBB31_126:
	ds_load_b32 v16, v1 offset:96
	s_wait_dscnt 0x0
	v_add_f32_e32 v11, v11, v16
	s_or_b32 exec_lo, exec_lo, s0
	s_and_saveexec_b32 s0, vcc_lo
	s_cbranch_execz .LBB31_96
.LBB31_127:
	ds_load_b32 v16, v1 offset:128
	s_wait_dscnt 0x0
	v_add_f32_e32 v8, v8, v16
	s_or_b32 exec_lo, exec_lo, s0
	s_and_saveexec_b32 s0, vcc_lo
	s_cbranch_execz .LBB31_97
.LBB31_128:
	ds_load_b32 v16, v1 offset:160
	s_wait_dscnt 0x0
	v_add_f32_e32 v9, v9, v16
	s_or_b32 exec_lo, exec_lo, s0
	s_and_saveexec_b32 s0, vcc_lo
	s_cbranch_execz .LBB31_98
.LBB31_129:
	ds_load_b32 v16, v1 offset:192
	s_wait_dscnt 0x0
	v_add_f32_e32 v6, v6, v16
	s_or_b32 exec_lo, exec_lo, s0
	s_and_saveexec_b32 s0, vcc_lo
	s_cbranch_execz .LBB31_99
.LBB31_130:
	ds_load_b32 v16, v1 offset:224
	s_wait_dscnt 0x0
	v_add_f32_e32 v7, v7, v16
	s_or_b32 exec_lo, exec_lo, s0
	s_and_saveexec_b32 s0, vcc_lo
	s_cbranch_execz .LBB31_100
.LBB31_131:
	ds_load_b32 v16, v1 offset:256
	s_wait_dscnt 0x0
	v_add_f32_e32 v4, v4, v16
	s_or_b32 exec_lo, exec_lo, s0
	s_and_saveexec_b32 s0, vcc_lo
	s_cbranch_execz .LBB31_101
.LBB31_132:
	ds_load_b32 v16, v1 offset:288
	s_wait_dscnt 0x0
	v_add_f32_e32 v5, v5, v16
	s_or_b32 exec_lo, exec_lo, s0
	s_and_saveexec_b32 s0, vcc_lo
	s_cbranch_execz .LBB31_102
.LBB31_133:
	ds_load_b32 v16, v1 offset:320
	s_wait_dscnt 0x0
	v_add_f32_e32 v2, v2, v16
	s_or_b32 exec_lo, exec_lo, s0
	s_and_saveexec_b32 s0, vcc_lo
	s_cbranch_execz .LBB31_103
.LBB31_134:
	ds_load_b32 v16, v1 offset:352
	s_wait_dscnt 0x0
	v_add_f32_e32 v3, v3, v16
	s_or_b32 exec_lo, exec_lo, s0
	s_and_saveexec_b32 s0, vcc_lo
	s_cbranch_execz .LBB31_104
.LBB31_135:
	ds_load_b32 v16, v1 offset:384
	s_wait_dscnt 0x0
	v_add_f32_e32 v14, v14, v16
	s_or_b32 exec_lo, exec_lo, s0
	s_and_saveexec_b32 s0, vcc_lo
	s_cbranch_execnz .LBB31_105
	s_branch .LBB31_106
	.section	.rodata,"a",@progbits
	.p2align	6, 0x0
	.amdhsa_kernel _ZN4vllm25paged_attention_v1_kernelIffLi112ELi16ELi128ELNS_18Fp8KVCacheDataTypeE0ELb0EEEvPT_PKS2_PKT0_S8_ifPKiSA_iPKfiiiSC_SC_iiiii
		.amdhsa_group_segment_fixed_size 480
		.amdhsa_private_segment_fixed_size 0
		.amdhsa_kernarg_size 384
		.amdhsa_user_sgpr_count 2
		.amdhsa_user_sgpr_dispatch_ptr 0
		.amdhsa_user_sgpr_queue_ptr 0
		.amdhsa_user_sgpr_kernarg_segment_ptr 1
		.amdhsa_user_sgpr_dispatch_id 0
		.amdhsa_user_sgpr_kernarg_preload_length 0
		.amdhsa_user_sgpr_kernarg_preload_offset 0
		.amdhsa_user_sgpr_private_segment_size 0
		.amdhsa_wavefront_size32 1
		.amdhsa_uses_dynamic_stack 0
		.amdhsa_enable_private_segment 0
		.amdhsa_system_sgpr_workgroup_id_x 1
		.amdhsa_system_sgpr_workgroup_id_y 1
		.amdhsa_system_sgpr_workgroup_id_z 1
		.amdhsa_system_sgpr_workgroup_info 0
		.amdhsa_system_vgpr_workitem_id 0
		.amdhsa_next_free_vgpr 104
		.amdhsa_next_free_sgpr 30
		.amdhsa_named_barrier_count 0
		.amdhsa_reserve_vcc 1
		.amdhsa_float_round_mode_32 0
		.amdhsa_float_round_mode_16_64 0
		.amdhsa_float_denorm_mode_32 3
		.amdhsa_float_denorm_mode_16_64 3
		.amdhsa_fp16_overflow 0
		.amdhsa_memory_ordered 1
		.amdhsa_forward_progress 1
		.amdhsa_inst_pref_size 66
		.amdhsa_round_robin_scheduling 0
		.amdhsa_exception_fp_ieee_invalid_op 0
		.amdhsa_exception_fp_denorm_src 0
		.amdhsa_exception_fp_ieee_div_zero 0
		.amdhsa_exception_fp_ieee_overflow 0
		.amdhsa_exception_fp_ieee_underflow 0
		.amdhsa_exception_fp_ieee_inexact 0
		.amdhsa_exception_int_div_zero 0
	.end_amdhsa_kernel
	.section	.text._ZN4vllm25paged_attention_v1_kernelIffLi112ELi16ELi128ELNS_18Fp8KVCacheDataTypeE0ELb0EEEvPT_PKS2_PKT0_S8_ifPKiSA_iPKfiiiSC_SC_iiiii,"axG",@progbits,_ZN4vllm25paged_attention_v1_kernelIffLi112ELi16ELi128ELNS_18Fp8KVCacheDataTypeE0ELb0EEEvPT_PKS2_PKT0_S8_ifPKiSA_iPKfiiiSC_SC_iiiii,comdat
.Lfunc_end31:
	.size	_ZN4vllm25paged_attention_v1_kernelIffLi112ELi16ELi128ELNS_18Fp8KVCacheDataTypeE0ELb0EEEvPT_PKS2_PKT0_S8_ifPKiSA_iPKfiiiSC_SC_iiiii, .Lfunc_end31-_ZN4vllm25paged_attention_v1_kernelIffLi112ELi16ELi128ELNS_18Fp8KVCacheDataTypeE0ELb0EEEvPT_PKS2_PKT0_S8_ifPKiSA_iPKfiiiSC_SC_iiiii
                                        ; -- End function
	.set _ZN4vllm25paged_attention_v1_kernelIffLi112ELi16ELi128ELNS_18Fp8KVCacheDataTypeE0ELb0EEEvPT_PKS2_PKT0_S8_ifPKiSA_iPKfiiiSC_SC_iiiii.num_vgpr, 104
	.set _ZN4vllm25paged_attention_v1_kernelIffLi112ELi16ELi128ELNS_18Fp8KVCacheDataTypeE0ELb0EEEvPT_PKS2_PKT0_S8_ifPKiSA_iPKfiiiSC_SC_iiiii.num_agpr, 0
	.set _ZN4vllm25paged_attention_v1_kernelIffLi112ELi16ELi128ELNS_18Fp8KVCacheDataTypeE0ELb0EEEvPT_PKS2_PKT0_S8_ifPKiSA_iPKfiiiSC_SC_iiiii.numbered_sgpr, 30
	.set _ZN4vllm25paged_attention_v1_kernelIffLi112ELi16ELi128ELNS_18Fp8KVCacheDataTypeE0ELb0EEEvPT_PKS2_PKT0_S8_ifPKiSA_iPKfiiiSC_SC_iiiii.num_named_barrier, 0
	.set _ZN4vllm25paged_attention_v1_kernelIffLi112ELi16ELi128ELNS_18Fp8KVCacheDataTypeE0ELb0EEEvPT_PKS2_PKT0_S8_ifPKiSA_iPKfiiiSC_SC_iiiii.private_seg_size, 0
	.set _ZN4vllm25paged_attention_v1_kernelIffLi112ELi16ELi128ELNS_18Fp8KVCacheDataTypeE0ELb0EEEvPT_PKS2_PKT0_S8_ifPKiSA_iPKfiiiSC_SC_iiiii.uses_vcc, 1
	.set _ZN4vllm25paged_attention_v1_kernelIffLi112ELi16ELi128ELNS_18Fp8KVCacheDataTypeE0ELb0EEEvPT_PKS2_PKT0_S8_ifPKiSA_iPKfiiiSC_SC_iiiii.uses_flat_scratch, 0
	.set _ZN4vllm25paged_attention_v1_kernelIffLi112ELi16ELi128ELNS_18Fp8KVCacheDataTypeE0ELb0EEEvPT_PKS2_PKT0_S8_ifPKiSA_iPKfiiiSC_SC_iiiii.has_dyn_sized_stack, 0
	.set _ZN4vllm25paged_attention_v1_kernelIffLi112ELi16ELi128ELNS_18Fp8KVCacheDataTypeE0ELb0EEEvPT_PKS2_PKT0_S8_ifPKiSA_iPKfiiiSC_SC_iiiii.has_recursion, 0
	.set _ZN4vllm25paged_attention_v1_kernelIffLi112ELi16ELi128ELNS_18Fp8KVCacheDataTypeE0ELb0EEEvPT_PKS2_PKT0_S8_ifPKiSA_iPKfiiiSC_SC_iiiii.has_indirect_call, 0
	.section	.AMDGPU.csdata,"",@progbits
; Kernel info:
; codeLenInByte = 8340
; TotalNumSgprs: 32
; NumVgprs: 104
; ScratchSize: 0
; MemoryBound: 0
; FloatMode: 240
; IeeeMode: 1
; LDSByteSize: 480 bytes/workgroup (compile time only)
; SGPRBlocks: 0
; VGPRBlocks: 6
; NumSGPRsForWavesPerEU: 32
; NumVGPRsForWavesPerEU: 104
; NamedBarCnt: 0
; Occupancy: 9
; WaveLimiterHint : 1
; COMPUTE_PGM_RSRC2:SCRATCH_EN: 0
; COMPUTE_PGM_RSRC2:USER_SGPR: 2
; COMPUTE_PGM_RSRC2:TRAP_HANDLER: 0
; COMPUTE_PGM_RSRC2:TGID_X_EN: 1
; COMPUTE_PGM_RSRC2:TGID_Y_EN: 1
; COMPUTE_PGM_RSRC2:TGID_Z_EN: 1
; COMPUTE_PGM_RSRC2:TIDIG_COMP_CNT: 0
	.section	.text._ZN4vllm25paged_attention_v1_kernelIffLi120ELi16ELi128ELNS_18Fp8KVCacheDataTypeE0ELb0EEEvPT_PKS2_PKT0_S8_ifPKiSA_iPKfiiiSC_SC_iiiii,"axG",@progbits,_ZN4vllm25paged_attention_v1_kernelIffLi120ELi16ELi128ELNS_18Fp8KVCacheDataTypeE0ELb0EEEvPT_PKS2_PKT0_S8_ifPKiSA_iPKfiiiSC_SC_iiiii,comdat
	.protected	_ZN4vllm25paged_attention_v1_kernelIffLi120ELi16ELi128ELNS_18Fp8KVCacheDataTypeE0ELb0EEEvPT_PKS2_PKT0_S8_ifPKiSA_iPKfiiiSC_SC_iiiii ; -- Begin function _ZN4vllm25paged_attention_v1_kernelIffLi120ELi16ELi128ELNS_18Fp8KVCacheDataTypeE0ELb0EEEvPT_PKS2_PKT0_S8_ifPKiSA_iPKfiiiSC_SC_iiiii
	.globl	_ZN4vllm25paged_attention_v1_kernelIffLi120ELi16ELi128ELNS_18Fp8KVCacheDataTypeE0ELb0EEEvPT_PKS2_PKT0_S8_ifPKiSA_iPKfiiiSC_SC_iiiii
	.p2align	8
	.type	_ZN4vllm25paged_attention_v1_kernelIffLi120ELi16ELi128ELNS_18Fp8KVCacheDataTypeE0ELb0EEEvPT_PKS2_PKT0_S8_ifPKiSA_iPKfiiiSC_SC_iiiii,@function
_ZN4vllm25paged_attention_v1_kernelIffLi120ELi16ELi128ELNS_18Fp8KVCacheDataTypeE0ELb0EEEvPT_PKS2_PKT0_S8_ifPKiSA_iPKfiiiSC_SC_iiiii: ; @_ZN4vllm25paged_attention_v1_kernelIffLi120ELi16ELi128ELNS_18Fp8KVCacheDataTypeE0ELb0EEEvPT_PKS2_PKT0_S8_ifPKiSA_iPKfiiiSC_SC_iiiii
; %bb.0:
	s_load_b64 s[6:7], s[0:1], 0x20
	s_bfe_u32 s3, ttmp6, 0x4000c
	s_bfe_u32 s5, ttmp6, 0x40010
	s_and_b32 s4, ttmp7, 0xffff
	s_add_co_i32 s3, s3, 1
	s_add_co_i32 s5, s5, 1
	s_and_b32 s2, ttmp6, 15
	s_bfe_u32 s8, ttmp6, 0x40004
	s_mul_i32 s3, ttmp9, s3
	s_mul_i32 s5, s4, s5
	s_getreg_b32 s18, hwreg(HW_REG_IB_STS2, 6, 4)
	s_add_co_i32 s2, s2, s3
	s_add_co_i32 s8, s8, s5
	s_cmp_eq_u32 s18, 0
	s_clause 0x1
	s_load_b32 s19, s[0:1], 0x80
	s_load_b64 s[10:11], s[0:1], 0x30
	s_cselect_b32 s20, s4, s8
	s_cselect_b32 s8, ttmp9, s2
	s_wait_kmcnt 0x0
	s_abs_i32 s2, s6
	s_delay_alu instid0(SALU_CYCLE_1) | instskip(SKIP_1) | instid1(SALU_CYCLE_2)
	s_cvt_f32_u32 s3, s2
	s_sub_co_i32 s4, 0, s2
	v_rcp_iflag_f32_e32 v1, s3
	s_abs_i32 s5, s19
	v_nop
	s_delay_alu instid0(TRANS32_DEP_1) | instskip(SKIP_1) | instid1(SALU_CYCLE_3)
	v_readfirstlane_b32 s3, v1
	s_mul_f32 s3, s3, 0x4f7ffffe
	s_cvt_u32_f32 s3, s3
	s_delay_alu instid0(SALU_CYCLE_3) | instskip(NEXT) | instid1(SALU_CYCLE_1)
	s_mul_i32 s4, s4, s3
	s_mul_hi_u32 s4, s3, s4
	s_delay_alu instid0(SALU_CYCLE_1) | instskip(SKIP_4) | instid1(SALU_CYCLE_1)
	s_add_co_i32 s3, s3, s4
	s_xor_b32 s4, s19, s6
	s_mul_hi_u32 s3, s5, s3
	s_ashr_i32 s4, s4, 31
	s_mul_i32 s6, s3, s2
	s_sub_co_i32 s5, s5, s6
	s_add_co_i32 s6, s3, 1
	s_sub_co_i32 s9, s5, s2
	s_cmp_ge_u32 s5, s2
	s_cselect_b32 s3, s6, s3
	s_cselect_b32 s5, s9, s5
	s_add_co_i32 s6, s3, 1
	s_cmp_ge_u32 s5, s2
	s_cselect_b32 s2, s6, s3
	s_mov_b32 s3, 0
	s_xor_b32 s2, s2, s4
	s_mov_b32 s13, s3
	s_sub_co_i32 s15, s2, s4
	s_load_b64 s[4:5], s[0:1], 0x40
	s_abs_i32 s14, s15
	s_mov_b32 s23, s3
	s_cvt_f32_u32 s2, s14
	s_delay_alu instid0(SALU_CYCLE_3) | instskip(SKIP_1) | instid1(TRANS32_DEP_1)
	v_rcp_iflag_f32_e32 v1, s2
	v_nop
	v_readfirstlane_b32 s2, v1
	s_mul_f32 s2, s2, 0x4f7ffffe
	s_delay_alu instid0(SALU_CYCLE_3) | instskip(SKIP_1) | instid1(SALU_CYCLE_2)
	s_cvt_u32_f32 s6, s2
	s_sub_co_i32 s2, 0, s14
	s_mul_i32 s2, s2, s6
	s_delay_alu instid0(SALU_CYCLE_1)
	s_mul_hi_u32 s9, s6, s2
	s_abs_i32 s2, s8
	s_add_co_i32 s12, s6, s9
	s_wait_kmcnt 0x0
	s_cmp_eq_u64 s[4:5], 0
	s_cbranch_scc1 .LBB32_2
; %bb.1:
	s_ashr_i32 s9, s8, 31
	s_delay_alu instid0(SALU_CYCLE_1) | instskip(NEXT) | instid1(SALU_CYCLE_1)
	s_lshl_b64 s[16:17], s[8:9], 2
	s_add_nc_u64 s[4:5], s[4:5], s[16:17]
	s_load_b32 s23, s[4:5], 0x0
.LBB32_2:
	s_load_b32 s21, s[10:11], s20 offset:0x0 scale_offset
	s_wait_xcnt 0x0
	s_load_b96 s[4:6], s[0:1], 0x48
	v_dual_lshlrev_b32 v82, 2, v0 :: v_dual_bitop2_b32 v66, 1, v0 bitop3:0x40
	s_ashr_i32 s16, s8, 31
	s_ashr_i32 s15, s15, 31
	s_mul_u64 s[10:11], s[2:3], s[12:13]
	s_mulk_i32 s8, 0x78
	s_mov_b32 s3, exec_lo
	v_cmpx_gt_u32_e32 60, v0
	s_cbranch_execz .LBB32_4
; %bb.3:
	s_load_b64 s[12:13], s[0:1], 0x8
	s_wait_kmcnt 0x0
	s_mul_i32 s24, s4, s20
	s_ashr_i32 s9, s8, 31
	s_ashr_i32 s25, s24, 31
	v_and_b32_e32 v1, 0xff8, v82
	s_lshl_b64 s[24:25], s[24:25], 2
	s_delay_alu instid0(VALU_DEP_1) | instskip(SKIP_2) | instid1(SALU_CYCLE_1)
	v_mad_u32_u24 v1, 0xf0, v66, v1
	s_add_nc_u64 s[12:13], s[12:13], s[24:25]
	s_lshl_b64 s[24:25], s[8:9], 2
	s_add_nc_u64 s[12:13], s[12:13], s[24:25]
	global_load_b64 v[2:3], v0, s[12:13] scale_offset
	s_wait_loadcnt 0x0
	ds_store_b64 v1, v[2:3]
.LBB32_4:
	s_or_b32 exec_lo, exec_lo, s3
	s_wait_kmcnt 0x0
	s_add_co_i32 s3, s21, 15
	s_load_b32 s4, s[0:1], 0x38
	s_ashr_i32 s9, s3, 31
	s_mul_i32 s12, s11, s14
	s_lshr_b32 s9, s9, 28
	s_sub_co_i32 s2, s2, s12
	s_add_co_i32 s3, s3, s9
	s_xor_b32 s10, s16, s15
	s_ashr_i32 s22, s3, 4
	s_add_co_i32 s3, s11, 1
	s_sub_co_i32 s9, s2, s14
	s_cmp_ge_u32 s2, s14
	v_lshrrev_b32_e32 v1, 5, v0
	s_cselect_b32 s3, s3, s11
	s_cselect_b32 s2, s9, s2
	s_add_co_i32 s9, s3, 1
	s_cmp_ge_u32 s2, s14
	v_mbcnt_lo_u32_b32 v70, -1, 0
	s_cselect_b32 s2, s9, s3
	s_wait_dscnt 0x0
	s_xor_b32 s2, s2, s10
	s_barrier_signal -1
	s_sub_co_i32 s3, s2, s10
	v_cmp_gt_i32_e64 s2, s22, v1
	s_wait_kmcnt 0x0
	s_mul_i32 s10, s4, s20
	s_mov_b32 s4, exec_lo
	s_ashr_i32 s11, s10, 31
	s_barrier_wait -1
                                        ; implicit-def: $vgpr63
                                        ; implicit-def: $vgpr71
	v_cmpx_le_i32_e64 s22, v1
	s_xor_b32 s4, exec_lo, s4
; %bb.5:
	v_dual_mov_b32 v63, 0 :: v_dual_mov_b32 v71, 32
	v_mbcnt_lo_u32_b32 v70, -1, 0
                                        ; implicit-def: $vgpr66
; %bb.6:
	s_or_saveexec_b32 s24, s4
	s_clause 0x1
	s_load_b64 s[12:13], s[0:1], 0x28
	s_load_b32 s9, s[0:1], 0x88
	v_mov_b32_e32 v62, 0xff7fffff
	v_lshrrev_b32_e32 v84, 3, v0
	s_mul_i32 s14, s3, s6
	s_xor_b32 exec_lo, exec_lo, s24
	s_cbranch_execz .LBB32_12
; %bb.7:
	s_load_b64 s[26:27], s[0:1], 0x10
	v_bfe_u32 v67, v0, 1, 4
	v_dual_mov_b32 v71, 32 :: v_dual_bitop2_b32 v27, 1, v70 bitop3:0x14
	s_ashr_i32 s15, s14, 31
	v_dual_mov_b32 v63, 0 :: v_dual_lshlrev_b32 v26, 3, v0
	v_mul_u32_u24_e32 v58, 0xf0, v66
	v_dual_lshlrev_b32 v62, 4, v67 :: v_dual_lshlrev_b32 v69, 2, v67
	v_cmp_gt_i32_e32 vcc_lo, 32, v27
	s_lshl_b64 s[28:29], s[14:15], 2
	ds_load_b128 v[2:5], v58
	ds_load_b128 v[6:9], v58 offset:16
	ds_load_b128 v[10:13], v58 offset:32
	;; [unrolled: 1-line block ×5, first 2 shown]
	s_ashr_i32 s17, s5, 31
	s_cmp_neq_f32 s23, 0
	v_cndmask_b32_e32 v68, v70, v27, vcc_lo
	v_cmp_eq_u32_e32 vcc_lo, 0, v66
	v_lshl_or_b32 v66, v1, 6, v69
	s_cselect_b32 s3, -1, 0
	v_lshl_or_b32 v73, v1, 4, v67
	s_wait_kmcnt 0x0
	s_add_nc_u64 s[26:27], s[26:27], s[28:29]
	s_mov_b32 s16, s5
	v_add_nc_u64_e32 v[64:65], s[26:27], v[62:63]
	v_and_b32_e32 v62, 8, v26
	ds_load_b128 v[26:29], v58 offset:96
	ds_load_b128 v[30:33], v58 offset:112
	;; [unrolled: 1-line block ×9, first 2 shown]
	s_lshl_b64 s[26:27], s[10:11], 2
	v_add_nc_u32_e32 v74, 0x200, v66
	s_add_nc_u64 s[26:27], s[12:13], s[26:27]
	v_dual_mov_b32 v75, v1 :: v_dual_lshlrev_b32 v72, 2, v68
	v_add_nc_u64_e32 v[64:65], v[64:65], v[62:63]
	v_and_b32_e32 v62, 0x7c, v84
	s_mov_b32 s6, 0
	s_sub_co_i32 s15, 1, s21
	s_delay_alu instid0(VALU_DEP_1)
	v_add_nc_u64_e32 v[66:67], s[26:27], v[62:63]
	v_mov_b32_e32 v62, 0xff7fffff
	s_branch .LBB32_9
.LBB32_8:                               ;   in Loop: Header=BB32_9 Depth=1
	s_or_b32 exec_lo, exec_lo, s25
	v_dual_add_nc_u32 v75, 4, v75 :: v_dual_add_nc_u32 v73, 64, v73
	v_add_nc_u64_e32 v[66:67], 16, v[66:67]
	v_add_nc_u32_e32 v74, 0x100, v74
	s_delay_alu instid0(VALU_DEP_3) | instskip(SKIP_1) | instid1(SALU_CYCLE_1)
	v_cmp_le_i32_e64 s4, s22, v75
	s_or_b32 s6, s4, s6
	s_and_not1_b32 exec_lo, exec_lo, s6
	s_cbranch_execz .LBB32_11
.LBB32_9:                               ; =>This Inner Loop Header: Depth=1
	global_load_b32 v68, v[66:67], off
	s_wait_loadcnt_dscnt 0x0
	v_ashrrev_i32_e32 v69, 31, v68
	s_delay_alu instid0(VALU_DEP_1) | instskip(NEXT) | instid1(VALU_DEP_1)
	v_mul_u64_e32 v[68:69], s[16:17], v[68:69]
	v_lshl_add_u64 v[68:69], v[68:69], 2, v[64:65]
	s_clause 0xa
	global_load_b64 v[76:77], v[68:69], off offset:256
	global_load_b64 v[78:79], v[68:69], off offset:512
	;; [unrolled: 1-line block ×3, first 2 shown]
	global_load_b64 v[86:87], v[68:69], off
	global_load_b64 v[88:89], v[68:69], off offset:1024
	global_load_b64 v[90:91], v[68:69], off offset:1280
	global_load_b64 v[92:93], v[68:69], off offset:1536
	global_load_b64 v[94:95], v[68:69], off offset:1792
	global_load_b64 v[96:97], v[68:69], off offset:2048
	global_load_b64 v[98:99], v[68:69], off offset:2304
	global_load_b64 v[100:101], v[68:69], off offset:2560
	s_wait_loadcnt_dscnt 0xa0e
	v_dual_mul_f32 v85, v5, v77 :: v_dual_mul_f32 v83, v4, v76
	global_load_b64 v[76:77], v[68:69], off offset:2816
	s_wait_loadcnt 0x8
	v_dual_fmac_f32 v85, v3, v87 :: v_dual_fmac_f32 v83, v2, v86
	global_load_b64 v[86:87], v[68:69], off offset:3072
	s_wait_dscnt 0xd
	v_dual_fmac_f32 v85, v7, v79 :: v_dual_fmac_f32 v83, v6, v78
	global_load_b64 v[78:79], v[68:69], off offset:3328
	v_dual_fmac_f32 v85, v9, v81 :: v_dual_fmac_f32 v83, v8, v80
	global_load_b64 v[80:81], v[68:69], off offset:3584
	s_wait_loadcnt_dscnt 0xa0c
	v_dual_fmac_f32 v85, v11, v89 :: v_dual_fmac_f32 v83, v10, v88
	global_load_b64 v[88:89], v[68:69], off offset:3840
	s_wait_loadcnt 0xa
	v_dual_fmac_f32 v85, v13, v91 :: v_dual_fmac_f32 v83, v12, v90
	global_load_b64 v[90:91], v[68:69], off offset:4096
	s_wait_loadcnt_dscnt 0xa0b
	v_dual_fmac_f32 v85, v15, v93 :: v_dual_fmac_f32 v83, v14, v92
	global_load_b64 v[92:93], v[68:69], off offset:4352
	s_wait_loadcnt 0xa
	;; [unrolled: 6-line block ×7, first 2 shown]
	v_dual_fmac_f32 v85, v37, v93 :: v_dual_fmac_f32 v83, v36, v92
	s_clause 0x1
	global_load_b64 v[92:93], v[68:69], off offset:7168
	global_load_b64 v[68:69], v[68:69], off offset:7424
	s_wait_loadcnt_dscnt 0xb05
	v_dual_fmac_f32 v85, v39, v95 :: v_dual_fmac_f32 v83, v38, v94
	s_wait_loadcnt 0xa
	s_delay_alu instid0(VALU_DEP_1) | instskip(SKIP_1) | instid1(VALU_DEP_1)
	v_dual_fmac_f32 v85, v41, v97 :: v_dual_fmac_f32 v83, v40, v96
	s_wait_loadcnt_dscnt 0x904
	v_dual_fmac_f32 v85, v43, v99 :: v_dual_fmac_f32 v83, v42, v98
	s_wait_loadcnt 0x8
	s_delay_alu instid0(VALU_DEP_1) | instskip(SKIP_1) | instid1(VALU_DEP_1)
	v_dual_fmac_f32 v85, v45, v101 :: v_dual_fmac_f32 v83, v44, v100
	;; [unrolled: 5-line block ×6, first 2 shown]
	s_wait_xcnt 0x0
	v_add_f32_e32 v68, v83, v85
	ds_bpermute_b32 v69, v72, v68
	s_and_saveexec_b32 s25, vcc_lo
	s_cbranch_execz .LBB32_8
; %bb.10:                               ;   in Loop: Header=BB32_9 Depth=1
	s_wait_dscnt 0x0
	v_add_f32_e32 v68, v68, v69
	v_add_nc_u32_e32 v76, s15, v73
	v_cmp_gt_i32_e64 s4, s21, v73
	s_delay_alu instid0(VALU_DEP_2) | instskip(NEXT) | instid1(VALU_DEP_1)
	v_cvt_f32_i32_e32 v76, v76
	v_mul_f32_e32 v76, s23, v76
	s_delay_alu instid0(VALU_DEP_1) | instskip(NEXT) | instid1(VALU_DEP_1)
	v_dual_cndmask_b32 v69, 0, v76, s3 :: v_dual_max_num_f32 v76, v62, v62
	v_fmac_f32_e32 v69, s7, v68
	s_delay_alu instid0(VALU_DEP_1) | instskip(NEXT) | instid1(VALU_DEP_1)
	v_dual_max_num_f32 v68, v76, v69 :: v_dual_cndmask_b32 v69, 0, v69, s4
	v_cndmask_b32_e64 v62, v62, v68, s4
	ds_store_b32 v74, v69
	s_branch .LBB32_8
.LBB32_11:
	s_or_b32 exec_lo, exec_lo, s6
.LBB32_12:
	s_delay_alu instid0(SALU_CYCLE_1)
	s_or_b32 exec_lo, exec_lo, s24
	v_xor_b32_e32 v4, 8, v70
	v_xor_b32_e32 v2, 16, v70
	v_max_num_f32_e32 v5, v62, v62
	s_clause 0x1
	s_load_b64 s[6:7], s[0:1], 0x0
	s_load_b64 s[16:17], s[0:1], 0x18
	v_and_b32_e32 v86, 31, v0
	v_cmp_lt_i32_e32 vcc_lo, v2, v71
	v_cndmask_b32_e32 v2, v70, v2, vcc_lo
	v_cmp_lt_i32_e32 vcc_lo, v4, v71
	s_delay_alu instid0(VALU_DEP_2) | instskip(SKIP_3) | instid1(VALU_DEP_1)
	v_dual_cndmask_b32 v4, v70, v4, vcc_lo :: v_dual_lshlrev_b32 v2, 2, v2
	ds_bpermute_b32 v3, v2, v62
	s_wait_dscnt 0x0
	v_dual_max_num_f32 v6, v3, v3 :: v_dual_lshlrev_b32 v3, 2, v4
	v_max_num_f32_e32 v5, v5, v6
	v_xor_b32_e32 v6, 4, v70
	s_delay_alu instid0(VALU_DEP_1) | instskip(SKIP_4) | instid1(VALU_DEP_1)
	v_cmp_lt_i32_e32 vcc_lo, v6, v71
	v_cndmask_b32_e32 v6, v70, v6, vcc_lo
	ds_bpermute_b32 v4, v3, v5
	s_wait_dscnt 0x0
	v_dual_max_num_f32 v7, v4, v4 :: v_dual_lshlrev_b32 v4, 2, v6
	v_dual_max_num_f32 v5, v5, v7 :: v_dual_bitop2_b32 v7, 2, v70 bitop3:0x14
	ds_bpermute_b32 v6, v4, v5
	s_wait_dscnt 0x0
	v_max_num_f32_e32 v6, v6, v6
	s_delay_alu instid0(VALU_DEP_1) | instskip(SKIP_3) | instid1(VALU_DEP_2)
	v_dual_max_num_f32 v6, v5, v6 :: v_dual_lshlrev_b32 v5, 2, v1
	v_cmp_lt_i32_e32 vcc_lo, v7, v71
	v_cndmask_b32_e32 v7, v70, v7, vcc_lo
	v_cmp_eq_u32_e32 vcc_lo, 0, v86
	v_lshlrev_b32_e32 v87, 2, v7
	ds_bpermute_b32 v7, v87, v6
	s_wait_xcnt 0x0
	s_and_saveexec_b32 s0, vcc_lo
	s_cbranch_execz .LBB32_14
; %bb.13:
	s_wait_dscnt 0x0
	v_dual_max_num_f32 v7, v7, v7 :: v_dual_max_num_f32 v6, v6, v6
	s_delay_alu instid0(VALU_DEP_1)
	v_max_num_f32_e32 v6, v6, v7
	ds_store_b32 v5, v6 offset:480
.LBB32_14:
	s_or_b32 exec_lo, exec_lo, s0
	v_cmp_gt_u32_e64 s0, 4, v86
	s_wait_dscnt 0x0
	v_dual_mov_b32 v7, 0xff7fffff :: v_dual_lshlrev_b32 v6, 2, v86
	s_barrier_signal -1
	s_barrier_wait -1
	s_and_saveexec_b32 s1, s0
; %bb.15:
	ds_load_b32 v7, v6 offset:480
; %bb.16:
	s_or_b32 exec_lo, exec_lo, s1
	s_wait_dscnt 0x0
	ds_bpermute_b32 v8, v87, v7
	v_dual_max_num_f32 v7, v7, v7 :: v_dual_bitop2_b32 v9, 1, v70 bitop3:0x14
	s_delay_alu instid0(VALU_DEP_1) | instskip(NEXT) | instid1(VALU_DEP_1)
	v_cmp_lt_i32_e64 s1, v9, v71
	v_cndmask_b32_e64 v9, v70, v9, s1
	s_lshl_b32 s1, s22, 4
	s_delay_alu instid0(SALU_CYCLE_1) | instskip(NEXT) | instid1(SALU_CYCLE_1)
	s_min_i32 s4, s1, s21
	v_cmp_gt_i32_e64 s1, s4, v0
	s_wait_dscnt 0x0
	v_dual_max_num_f32 v8, v8, v8 :: v_dual_lshlrev_b32 v88, 2, v9
	s_delay_alu instid0(VALU_DEP_1) | instskip(SKIP_3) | instid1(VALU_DEP_1)
	v_max_num_f32_e32 v7, v7, v8
	ds_bpermute_b32 v8, v88, v7
	s_wait_dscnt 0x0
	v_max_num_f32_e32 v8, v8, v8
	v_dual_max_num_f32 v7, v7, v8 :: v_dual_lshlrev_b32 v8, 2, v63
	ds_bpermute_b32 v8, v8, v7
	v_mov_b32_e32 v7, 0
	s_and_saveexec_b32 s15, s1
	s_cbranch_execz .LBB32_20
; %bb.17:
	v_lshl_add_u32 v9, v0, 2, 0x200
	v_dual_mov_b32 v7, 0 :: v_dual_mov_b32 v10, v0
	s_mov_b32 s23, 0
.LBB32_18:                              ; =>This Inner Loop Header: Depth=1
	ds_load_b32 v11, v9
	v_add_nc_u32_e32 v10, 0x80, v10
	s_delay_alu instid0(VALU_DEP_1) | instskip(SKIP_3) | instid1(VALU_DEP_1)
	v_cmp_le_i32_e64 s3, s4, v10
	s_or_b32 s23, s3, s23
	s_wait_dscnt 0x0
	v_sub_f32_e32 v11, v11, v8
	v_mul_f32_e32 v11, 0x3fb8aa3b, v11
	s_delay_alu instid0(VALU_DEP_1)
	v_exp_f32_e32 v11, v11
	ds_store_b32 v9, v11
	v_nop
	v_add_f32_e32 v7, v7, v11
	v_add_nc_u32_e32 v9, 0x200, v9
	s_and_not1_b32 exec_lo, exec_lo, s23
	s_cbranch_execnz .LBB32_18
; %bb.19:
	s_or_b32 exec_lo, exec_lo, s23
.LBB32_20:
	s_delay_alu instid0(SALU_CYCLE_1)
	s_or_b32 exec_lo, exec_lo, s15
	ds_bpermute_b32 v2, v2, v7
	s_wait_dscnt 0x0
	v_add_f32_e32 v2, v7, v2
	ds_bpermute_b32 v3, v3, v2
	s_wait_dscnt 0x0
	v_add_f32_e32 v2, v2, v3
	;; [unrolled: 3-line block ×5, first 2 shown]
	s_and_saveexec_b32 s3, vcc_lo
; %bb.21:
	ds_store_b32 v5, v2 offset:496
; %bb.22:
	s_or_b32 exec_lo, exec_lo, s3
	s_wait_dscnt 0x0
	s_barrier_signal -1
	s_barrier_wait -1
	s_and_saveexec_b32 s3, s0
; %bb.23:
	ds_load_b32 v2, v6 offset:496
; %bb.24:
	s_or_b32 exec_lo, exec_lo, s3
	s_wait_dscnt 0x0
	ds_bpermute_b32 v3, v87, v2
	s_wait_dscnt 0x0
	v_dual_lshlrev_b32 v4, 2, v70 :: v_dual_add_f32 v2, v2, v3
	ds_bpermute_b32 v3, v88, v2
	s_wait_dscnt 0x0
	v_add_f32_e32 v2, v2, v3
	v_and_b32_e32 v3, 0xffffff80, v4
	ds_bpermute_b32 v2, v3, v2
	s_and_saveexec_b32 s0, s1
	s_cbranch_execz .LBB32_37
; %bb.25:
	s_wait_dscnt 0x0
	v_add_f32_e32 v2, 0x358637bd, v2
	s_mov_b32 s3, -1
	s_mov_b32 s1, exec_lo
	s_delay_alu instid0(VALU_DEP_1) | instskip(NEXT) | instid1(VALU_DEP_1)
	v_div_scale_f32 v3, null, v2, v2, 1.0
	v_rcp_f32_e32 v5, v3
	v_nop
	s_delay_alu instid0(TRANS32_DEP_1) | instskip(NEXT) | instid1(VALU_DEP_1)
	v_fma_f32 v4, -v3, v5, 1.0
	v_fmac_f32_e32 v5, v4, v5
	v_div_scale_f32 v6, vcc_lo, 1.0, v2, 1.0
	s_delay_alu instid0(VALU_DEP_1) | instskip(NEXT) | instid1(VALU_DEP_1)
	v_mul_f32_e32 v7, v6, v5
	v_fma_f32 v4, -v3, v7, v6
	s_delay_alu instid0(VALU_DEP_1) | instskip(SKIP_1) | instid1(VALU_DEP_2)
	v_fmac_f32_e32 v7, v4, v5
	v_xad_u32 v4, v0, -1, s4
	v_fma_f32 v3, -v3, v7, v6
	s_delay_alu instid0(VALU_DEP_1) | instskip(NEXT) | instid1(VALU_DEP_1)
	v_div_fmas_f32 v3, v3, v5, v7
	v_div_fixup_f32 v2, v3, v2, 1.0
	v_mov_b32_e32 v3, v0
	v_cmpx_lt_u32_e32 0x7f, v4
	s_cbranch_execz .LBB32_34
; %bb.26:
	s_delay_alu instid0(VALU_DEP_3) | instskip(NEXT) | instid1(VALU_DEP_1)
	v_dual_mov_b32 v3, v2 :: v_dual_lshrrev_b32 v4, 7, v4
	v_dual_mov_b32 v8, 0 :: v_dual_add_nc_u32 v5, -1, v4
	s_delay_alu instid0(VALU_DEP_1) | instskip(SKIP_1) | instid1(VALU_DEP_2)
	v_lshrrev_b32_e32 v6, 1, v5
	v_cmp_lt_u32_e32 vcc_lo, 13, v5
	v_add_nc_u32_e32 v5, 1, v6
	s_and_saveexec_b32 s3, vcc_lo
	s_cbranch_execz .LBB32_30
; %bb.27:
	s_delay_alu instid0(VALU_DEP_1)
	v_and_b32_e32 v6, -8, v5
	v_lshl_add_u32 v7, v0, 2, 0x200
	s_mov_b32 s15, 0
	s_mov_b32 s23, 0
.LBB32_28:                              ; =>This Inner Loop Header: Depth=1
	ds_load_2addr_stride64_b32 v[8:9], v7 offset1:2
	ds_load_2addr_stride64_b32 v[10:11], v7 offset0:4 offset1:6
	ds_load_2addr_stride64_b32 v[12:13], v7 offset0:8 offset1:10
	;; [unrolled: 1-line block ×7, first 2 shown]
	s_add_co_i32 s23, s23, 16
	v_add_nc_u32_e32 v6, -8, v6
	s_wait_dscnt 0x7
	v_pk_mul_f32 v[8:9], v[2:3], v[8:9]
	s_wait_dscnt 0x6
	v_pk_mul_f32 v[10:11], v[2:3], v[10:11]
	;; [unrolled: 2-line block ×8, first 2 shown]
	ds_store_2addr_stride64_b32 v7, v8, v9 offset1:2
	ds_store_2addr_stride64_b32 v7, v10, v11 offset0:4 offset1:6
	ds_store_2addr_stride64_b32 v7, v12, v13 offset0:8 offset1:10
	;; [unrolled: 1-line block ×7, first 2 shown]
	v_mov_b32_e32 v8, s23
	v_cmp_eq_u32_e32 vcc_lo, 0, v6
	v_add_nc_u32_e32 v7, 0x2000, v7
	s_or_b32 s15, vcc_lo, s15
	s_delay_alu instid0(SALU_CYCLE_1)
	s_and_not1_b32 exec_lo, exec_lo, s15
	s_cbranch_execnz .LBB32_28
; %bb.29:
	s_or_b32 exec_lo, exec_lo, s15
.LBB32_30:
	s_delay_alu instid0(SALU_CYCLE_1) | instskip(NEXT) | instid1(VALU_DEP_1)
	s_or_b32 exec_lo, exec_lo, s3
	v_and_b32_e32 v5, 7, v5
	s_mov_b32 s15, 0
	s_mov_b32 s3, exec_lo
	s_delay_alu instid0(VALU_DEP_1)
	v_cmpx_ne_u32_e32 0, v5
	s_cbranch_execz .LBB32_33
; %bb.31:
	v_lshlrev_b32_e32 v6, 9, v8
	s_delay_alu instid0(VALU_DEP_1)
	v_add3_u32 v6, v6, v82, 0x200
.LBB32_32:                              ; =>This Inner Loop Header: Depth=1
	ds_load_2addr_stride64_b32 v[8:9], v6 offset1:2
	v_add_nc_u32_e32 v5, -1, v5
	s_delay_alu instid0(VALU_DEP_1)
	v_cmp_eq_u32_e32 vcc_lo, 0, v5
	s_or_b32 s15, vcc_lo, s15
	s_wait_dscnt 0x0
	v_pk_mul_f32 v[8:9], v[2:3], v[8:9]
	ds_store_2addr_stride64_b32 v6, v8, v9 offset1:2
	v_add_nc_u32_e32 v6, 0x400, v6
	s_and_not1_b32 exec_lo, exec_lo, s15
	s_cbranch_execnz .LBB32_32
.LBB32_33:
	s_or_b32 exec_lo, exec_lo, s3
	v_add_nc_u32_e32 v3, 1, v4
	s_delay_alu instid0(VALU_DEP_1) | instskip(NEXT) | instid1(VALU_DEP_1)
	v_and_b32_e32 v4, 0x3fffffe, v3
	v_cmp_ne_u32_e32 vcc_lo, v3, v4
	v_lshl_add_u32 v3, v4, 7, v0
	s_or_not1_b32 s3, vcc_lo, exec_lo
.LBB32_34:
	s_or_b32 exec_lo, exec_lo, s1
	s_delay_alu instid0(SALU_CYCLE_1)
	s_and_b32 exec_lo, exec_lo, s3
	s_cbranch_execz .LBB32_37
; %bb.35:
	v_lshl_add_u32 v4, v3, 2, 0x200
	s_mov_b32 s1, 0
.LBB32_36:                              ; =>This Inner Loop Header: Depth=1
	ds_load_b32 v5, v4
	v_add_nc_u32_e32 v3, 0x80, v3
	s_delay_alu instid0(VALU_DEP_1)
	v_cmp_le_i32_e32 vcc_lo, s4, v3
	s_or_b32 s1, vcc_lo, s1
	s_wait_dscnt 0x0
	v_mul_f32_e32 v5, v2, v5
	ds_store_b32 v4, v5
	v_add_nc_u32_e32 v4, 0x200, v4
	s_and_not1_b32 exec_lo, exec_lo, s1
	s_cbranch_execnz .LBB32_36
.LBB32_37:
	s_or_b32 exec_lo, exec_lo, s0
	v_dual_mov_b32 v69, 0 :: v_dual_bitop2_b32 v89, 3, v0 bitop3:0x40
	v_dual_mov_b32 v68, 0 :: v_dual_mov_b32 v71, 0
	v_dual_mov_b32 v70, 0 :: v_dual_mov_b32 v73, 0
	;; [unrolled: 1-line block ×7, first 2 shown]
	s_wait_dscnt 0x0
	s_barrier_signal -1
	s_barrier_wait -1
	s_and_saveexec_b32 s1, s2
	s_cbranch_execz .LBB32_71
; %bb.38:
	v_dual_lshlrev_b32 v2, 4, v0 :: v_dual_bitop2_b32 v3, 12, v82 bitop3:0x40
	s_ashr_i32 s15, s14, 31
	v_dual_mov_b32 v67, 0 :: v_dual_lshlrev_b32 v4, 4, v89
	s_delay_alu instid0(VALU_DEP_2)
	v_and_b32_e32 v66, 0x1f0, v2
	s_lshl_b64 s[14:15], s[14:15], 2
	s_ashr_i32 s3, s5, 31
	s_wait_kmcnt 0x0
	s_add_nc_u64 s[14:15], s[16:17], s[14:15]
	s_mov_b32 s2, s5
	v_add_nc_u64_e32 v[82:83], s[14:15], v[66:67]
	v_and_b32_e32 v66, 0x7c, v84
	s_lshl_b64 s[4:5], s[10:11], 2
	v_lshl_or_b32 v2, v1, 6, v4
	s_add_nc_u64 s[4:5], s[12:13], s[4:5]
	v_lshl_or_b32 v90, v1, 4, v3
	v_add_nc_u64_e32 v[84:85], s[4:5], v[66:67]
	v_dual_mov_b32 v69, v67 :: v_dual_mov_b32 v71, v67
	v_dual_mov_b32 v68, v67 :: v_dual_add_nc_u32 v91, 0x200, v2
	v_dual_mov_b32 v70, v67 :: v_dual_mov_b32 v73, v67
	v_dual_mov_b32 v72, v67 :: v_dual_mov_b32 v75, v67
	;; [unrolled: 1-line block ×6, first 2 shown]
	s_add_co_i32 s4, s22, -1
	s_mov_b32 s10, s21
	s_mov_b32 s5, 0
	s_branch .LBB32_40
.LBB32_39:                              ;   in Loop: Header=BB32_40 Depth=1
	s_or_b32 exec_lo, exec_lo, s0
	s_wait_loadcnt_dscnt 0x400
	v_mul_f32_e32 v46, v6, v46
	s_wait_loadcnt 0x3
	v_mul_f32_e32 v50, v6, v50
	s_wait_loadcnt 0x2
	;; [unrolled: 2-line block ×3, first 2 shown]
	v_mul_f32_e32 v62, v6, v62
	v_add_nc_u64_e32 v[84:85], 16, v[84:85]
	v_fmac_f32_e32 v46, v7, v47
	v_fmac_f32_e32 v50, v7, v51
	;; [unrolled: 1-line block ×3, first 2 shown]
	v_dual_fmac_f32 v62, v7, v63 :: v_dual_mul_f32 v42, v6, v42
	s_delay_alu instid0(VALU_DEP_4) | instskip(NEXT) | instid1(VALU_DEP_2)
	v_dual_fmac_f32 v46, v8, v48 :: v_dual_mul_f32 v22, v6, v22
	v_dual_mul_f32 v34, v6, v34 :: v_dual_fmac_f32 v62, v8, v64
	s_delay_alu instid0(VALU_DEP_3) | instskip(NEXT) | instid1(VALU_DEP_3)
	v_dual_mul_f32 v38, v6, v38 :: v_dual_fmac_f32 v42, v7, v43
	v_fmac_f32_e32 v46, v9, v49
	v_fmac_f32_e32 v50, v8, v52
	s_delay_alu instid0(VALU_DEP_4) | instskip(SKIP_2) | instid1(VALU_DEP_4)
	v_fmac_f32_e32 v62, v9, v65
	v_fmac_f32_e32 v58, v8, v60
	v_dual_fmac_f32 v22, v7, v23 :: v_dual_mul_f32 v14, v6, v14
	v_dual_add_f32 v70, v70, v46 :: v_dual_fmac_f32 v50, v9, v53
	s_delay_alu instid0(VALU_DEP_2) | instskip(SKIP_3) | instid1(VALU_DEP_4)
	v_dual_mul_f32 v26, v6, v26 :: v_dual_fmac_f32 v22, v8, v24
	v_add_f32_e32 v69, v69, v62
	v_dual_fmac_f32 v58, v9, v61 :: v_dual_mul_f32 v30, v6, v30
	v_fmac_f32_e32 v42, v8, v44
	v_fmac_f32_e32 v22, v9, v25
	;; [unrolled: 1-line block ×3, first 2 shown]
	v_dual_fmac_f32 v38, v7, v39 :: v_dual_mul_f32 v23, v6, v18
	v_add_f32_e32 v68, v68, v58
	s_delay_alu instid0(VALU_DEP_4) | instskip(NEXT) | instid1(VALU_DEP_4)
	v_add_f32_e32 v76, v76, v22
	v_dual_fmac_f32 v26, v8, v28 :: v_dual_mul_f32 v22, v6, v2
	s_delay_alu instid0(VALU_DEP_4) | instskip(NEXT) | instid1(VALU_DEP_2)
	v_dual_fmac_f32 v38, v8, v40 :: v_dual_add_f32 v71, v71, v50
	v_dual_mul_f32 v10, v6, v10 :: v_dual_fmac_f32 v26, v9, v29
	v_fmac_f32_e32 v30, v7, v31
	s_delay_alu instid0(VALU_DEP_4)
	v_fmac_f32_e32 v22, v7, v3
	s_wait_loadcnt 0x0
	v_pk_mul_f32 v[2:3], v[8:9], v[56:57]
	v_dual_fmac_f32 v10, v7, v11 :: v_dual_add_nc_u32 v66, 4, v66
	v_dual_add_f32 v77, v77, v26 :: v_dual_fmac_f32 v30, v8, v32
	v_fmac_f32_e32 v23, v7, v19
	v_pk_mul_f32 v[18:19], v[6:7], v[54:55]
	s_delay_alu instid0(VALU_DEP_4) | instskip(NEXT) | instid1(VALU_DEP_4)
	v_cmp_le_i32_e32 vcc_lo, s22, v66
	v_dual_fmac_f32 v30, v9, v33 :: v_dual_add_nc_u32 v91, 0x100, v91
	v_fmac_f32_e32 v34, v7, v35
	s_delay_alu instid0(VALU_DEP_4) | instskip(NEXT) | instid1(VALU_DEP_3)
	v_dual_add_f32 v6, v19, v18 :: v_dual_fmac_f32 v23, v8, v20
	v_dual_fmac_f32 v14, v7, v15 :: v_dual_add_f32 v74, v74, v30
	s_delay_alu instid0(VALU_DEP_2) | instskip(NEXT) | instid1(VALU_DEP_3)
	v_dual_fmac_f32 v34, v8, v36 :: v_dual_add_f32 v2, v2, v6
	v_fmac_f32_e32 v23, v9, v21
	s_or_b32 s5, vcc_lo, s5
	s_delay_alu instid0(VALU_DEP_2) | instskip(NEXT) | instid1(VALU_DEP_3)
	v_dual_add_nc_u32 v90, 64, v90 :: v_dual_fmac_f32 v34, v9, v37
	v_dual_add_f32 v2, v3, v2 :: v_dual_fmac_f32 v10, v8, v12
	s_delay_alu instid0(VALU_DEP_3) | instskip(NEXT) | instid1(VALU_DEP_3)
	v_dual_fmac_f32 v38, v9, v41 :: v_dual_add_f32 v79, v79, v23
	v_add_f32_e32 v75, v75, v34
	s_delay_alu instid0(VALU_DEP_3) | instskip(SKIP_1) | instid1(VALU_DEP_4)
	v_dual_add_f32 v67, v67, v2 :: v_dual_fmac_f32 v10, v9, v13
	v_fmac_f32_e32 v14, v8, v16
	v_dual_fmac_f32 v42, v9, v45 :: v_dual_add_f32 v72, v72, v38
	s_delay_alu instid0(VALU_DEP_3) | instskip(NEXT) | instid1(VALU_DEP_3)
	v_add_f32_e32 v81, v81, v10
	v_fmac_f32_e32 v14, v9, v17
	s_delay_alu instid0(VALU_DEP_3) | instskip(NEXT) | instid1(VALU_DEP_2)
	v_add_f32_e32 v73, v73, v42
	v_dual_add_f32 v78, v78, v14 :: v_dual_fmac_f32 v22, v8, v4
	s_delay_alu instid0(VALU_DEP_1) | instskip(NEXT) | instid1(VALU_DEP_1)
	v_fmac_f32_e32 v22, v9, v5
	v_add_f32_e32 v80, v80, v22
	s_and_not1_b32 exec_lo, exec_lo, s5
	s_cbranch_execz .LBB32_70
.LBB32_40:                              ; =>This Inner Loop Header: Depth=1
	global_load_b32 v2, v[84:85], off
	ds_load_b128 v[6:9], v91
	v_cmp_eq_u32_e32 vcc_lo, s4, v66
	v_dual_add_nc_u32 v94, 1, v90 :: v_dual_bitop2_b32 v93, 3, v90 bitop3:0x54
	v_or_b32_e32 v92, 2, v90
	s_wait_loadcnt 0x0
	v_ashrrev_i32_e32 v3, 31, v2
	s_delay_alu instid0(VALU_DEP_1) | instskip(NEXT) | instid1(VALU_DEP_1)
	v_mul_u64_e32 v[2:3], s[2:3], v[2:3]
	v_lshl_add_u64 v[54:55], v[2:3], 2, v[82:83]
	global_load_b128 v[2:5], v[54:55], off
	s_wait_xcnt 0x0
	s_and_saveexec_b32 s11, vcc_lo
	s_cbranch_execnz .LBB32_55
; %bb.41:                               ;   in Loop: Header=BB32_40 Depth=1
	s_or_b32 exec_lo, exec_lo, s11
	global_load_b128 v[10:13], v[54:55], off offset:512
	s_wait_xcnt 0x0
	s_and_saveexec_b32 s11, vcc_lo
	s_cbranch_execnz .LBB32_56
.LBB32_42:                              ;   in Loop: Header=BB32_40 Depth=1
	s_or_b32 exec_lo, exec_lo, s11
	global_load_b128 v[14:17], v[54:55], off offset:1024
	s_wait_xcnt 0x0
	s_and_saveexec_b32 s11, vcc_lo
	s_cbranch_execnz .LBB32_57
.LBB32_43:                              ;   in Loop: Header=BB32_40 Depth=1
	s_or_b32 exec_lo, exec_lo, s11
	global_load_b128 v[18:21], v[54:55], off offset:1536
	s_wait_xcnt 0x0
	s_and_saveexec_b32 s11, vcc_lo
	s_cbranch_execnz .LBB32_58
.LBB32_44:                              ;   in Loop: Header=BB32_40 Depth=1
	s_or_b32 exec_lo, exec_lo, s11
	global_load_b128 v[22:25], v[54:55], off offset:2048
	s_wait_xcnt 0x0
	s_and_saveexec_b32 s11, vcc_lo
	s_cbranch_execnz .LBB32_59
.LBB32_45:                              ;   in Loop: Header=BB32_40 Depth=1
	s_or_b32 exec_lo, exec_lo, s11
	global_load_b128 v[26:29], v[54:55], off offset:2560
	s_wait_xcnt 0x0
	s_and_saveexec_b32 s11, vcc_lo
	s_cbranch_execnz .LBB32_60
.LBB32_46:                              ;   in Loop: Header=BB32_40 Depth=1
	s_or_b32 exec_lo, exec_lo, s11
	global_load_b128 v[30:33], v[54:55], off offset:3072
	s_wait_xcnt 0x0
	s_and_saveexec_b32 s11, vcc_lo
	s_cbranch_execnz .LBB32_61
.LBB32_47:                              ;   in Loop: Header=BB32_40 Depth=1
	s_or_b32 exec_lo, exec_lo, s11
	global_load_b128 v[34:37], v[54:55], off offset:3584
	s_wait_xcnt 0x0
	s_and_saveexec_b32 s11, vcc_lo
	s_cbranch_execnz .LBB32_62
.LBB32_48:                              ;   in Loop: Header=BB32_40 Depth=1
	s_or_b32 exec_lo, exec_lo, s11
	global_load_b128 v[38:41], v[54:55], off offset:4096
	s_wait_xcnt 0x0
	s_and_saveexec_b32 s11, vcc_lo
	s_cbranch_execnz .LBB32_63
.LBB32_49:                              ;   in Loop: Header=BB32_40 Depth=1
	s_or_b32 exec_lo, exec_lo, s11
	global_load_b128 v[42:45], v[54:55], off offset:4608
	s_wait_xcnt 0x0
	s_and_saveexec_b32 s11, vcc_lo
	s_cbranch_execnz .LBB32_64
.LBB32_50:                              ;   in Loop: Header=BB32_40 Depth=1
	s_or_b32 exec_lo, exec_lo, s11
	global_load_b128 v[46:49], v[54:55], off offset:5120
	s_wait_xcnt 0x0
	s_and_saveexec_b32 s11, vcc_lo
	s_cbranch_execnz .LBB32_65
.LBB32_51:                              ;   in Loop: Header=BB32_40 Depth=1
	s_or_b32 exec_lo, exec_lo, s11
	global_load_b128 v[50:53], v[54:55], off offset:5632
	s_wait_xcnt 0x0
	s_and_saveexec_b32 s11, vcc_lo
	s_cbranch_execnz .LBB32_66
.LBB32_52:                              ;   in Loop: Header=BB32_40 Depth=1
	s_or_b32 exec_lo, exec_lo, s11
	global_load_b128 v[58:61], v[54:55], off offset:6144
	s_wait_xcnt 0x0
	s_and_saveexec_b32 s11, vcc_lo
	s_cbranch_execnz .LBB32_67
.LBB32_53:                              ;   in Loop: Header=BB32_40 Depth=1
	s_or_b32 exec_lo, exec_lo, s11
	global_load_b128 v[62:65], v[54:55], off offset:6656
	s_wait_xcnt 0x0
	s_and_saveexec_b32 s11, vcc_lo
	s_cbranch_execnz .LBB32_68
.LBB32_54:                              ;   in Loop: Header=BB32_40 Depth=1
	s_or_b32 exec_lo, exec_lo, s11
	global_load_b128 v[54:57], v[54:55], off offset:7168
	s_wait_xcnt 0x0
	s_and_saveexec_b32 s0, vcc_lo
	s_cbranch_execz .LBB32_39
	s_branch .LBB32_69
.LBB32_55:                              ;   in Loop: Header=BB32_40 Depth=1
	v_cmp_gt_i32_e64 s0, s10, v94
	s_wait_loadcnt 0x0
	s_delay_alu instid0(VALU_DEP_1) | instskip(SKIP_1) | instid1(VALU_DEP_1)
	v_cndmask_b32_e64 v3, 0, v3, s0
	v_cmp_gt_i32_e64 s0, s21, v90
	v_cndmask_b32_e64 v2, 0, v2, s0
	v_cmp_gt_i32_e64 s0, s10, v93
	s_delay_alu instid0(VALU_DEP_1) | instskip(SKIP_1) | instid1(VALU_DEP_1)
	v_cndmask_b32_e64 v5, 0, v5, s0
	v_cmp_gt_i32_e64 s0, s21, v92
	v_cndmask_b32_e64 v4, 0, v4, s0
	s_or_b32 exec_lo, exec_lo, s11
	global_load_b128 v[10:13], v[54:55], off offset:512
	s_wait_xcnt 0x0
	s_and_saveexec_b32 s11, vcc_lo
	s_cbranch_execz .LBB32_42
.LBB32_56:                              ;   in Loop: Header=BB32_40 Depth=1
	v_cmp_gt_i32_e64 s0, s10, v94
	s_wait_loadcnt 0x0
	s_delay_alu instid0(VALU_DEP_1) | instskip(SKIP_1) | instid1(VALU_DEP_1)
	v_cndmask_b32_e64 v11, 0, v11, s0
	v_cmp_gt_i32_e64 s0, s21, v90
	v_cndmask_b32_e64 v10, 0, v10, s0
	v_cmp_gt_i32_e64 s0, s10, v93
	s_delay_alu instid0(VALU_DEP_1) | instskip(SKIP_1) | instid1(VALU_DEP_1)
	v_cndmask_b32_e64 v13, 0, v13, s0
	v_cmp_gt_i32_e64 s0, s21, v92
	v_cndmask_b32_e64 v12, 0, v12, s0
	s_or_b32 exec_lo, exec_lo, s11
	global_load_b128 v[14:17], v[54:55], off offset:1024
	s_wait_xcnt 0x0
	s_and_saveexec_b32 s11, vcc_lo
	s_cbranch_execz .LBB32_43
.LBB32_57:                              ;   in Loop: Header=BB32_40 Depth=1
	v_cmp_gt_i32_e64 s0, s10, v94
	s_wait_loadcnt 0x0
	s_delay_alu instid0(VALU_DEP_1) | instskip(SKIP_1) | instid1(VALU_DEP_1)
	v_cndmask_b32_e64 v15, 0, v15, s0
	v_cmp_gt_i32_e64 s0, s21, v90
	v_cndmask_b32_e64 v14, 0, v14, s0
	v_cmp_gt_i32_e64 s0, s10, v93
	s_delay_alu instid0(VALU_DEP_1) | instskip(SKIP_1) | instid1(VALU_DEP_1)
	v_cndmask_b32_e64 v17, 0, v17, s0
	v_cmp_gt_i32_e64 s0, s21, v92
	v_cndmask_b32_e64 v16, 0, v16, s0
	s_or_b32 exec_lo, exec_lo, s11
	global_load_b128 v[18:21], v[54:55], off offset:1536
	s_wait_xcnt 0x0
	s_and_saveexec_b32 s11, vcc_lo
	s_cbranch_execz .LBB32_44
.LBB32_58:                              ;   in Loop: Header=BB32_40 Depth=1
	v_cmp_gt_i32_e64 s0, s10, v94
	s_wait_loadcnt 0x0
	s_delay_alu instid0(VALU_DEP_1) | instskip(SKIP_1) | instid1(VALU_DEP_1)
	v_cndmask_b32_e64 v19, 0, v19, s0
	v_cmp_gt_i32_e64 s0, s21, v90
	v_cndmask_b32_e64 v18, 0, v18, s0
	v_cmp_gt_i32_e64 s0, s10, v93
	s_delay_alu instid0(VALU_DEP_1) | instskip(SKIP_1) | instid1(VALU_DEP_1)
	v_cndmask_b32_e64 v21, 0, v21, s0
	v_cmp_gt_i32_e64 s0, s21, v92
	v_cndmask_b32_e64 v20, 0, v20, s0
	s_or_b32 exec_lo, exec_lo, s11
	global_load_b128 v[22:25], v[54:55], off offset:2048
	s_wait_xcnt 0x0
	s_and_saveexec_b32 s11, vcc_lo
	s_cbranch_execz .LBB32_45
.LBB32_59:                              ;   in Loop: Header=BB32_40 Depth=1
	v_cmp_gt_i32_e64 s0, s10, v94
	s_wait_loadcnt 0x0
	s_delay_alu instid0(VALU_DEP_1) | instskip(SKIP_1) | instid1(VALU_DEP_1)
	v_cndmask_b32_e64 v23, 0, v23, s0
	v_cmp_gt_i32_e64 s0, s21, v90
	v_cndmask_b32_e64 v22, 0, v22, s0
	v_cmp_gt_i32_e64 s0, s10, v93
	s_delay_alu instid0(VALU_DEP_1) | instskip(SKIP_1) | instid1(VALU_DEP_1)
	v_cndmask_b32_e64 v25, 0, v25, s0
	v_cmp_gt_i32_e64 s0, s21, v92
	v_cndmask_b32_e64 v24, 0, v24, s0
	s_or_b32 exec_lo, exec_lo, s11
	global_load_b128 v[26:29], v[54:55], off offset:2560
	s_wait_xcnt 0x0
	s_and_saveexec_b32 s11, vcc_lo
	s_cbranch_execz .LBB32_46
.LBB32_60:                              ;   in Loop: Header=BB32_40 Depth=1
	v_cmp_gt_i32_e64 s0, s10, v94
	s_wait_loadcnt 0x0
	s_delay_alu instid0(VALU_DEP_1) | instskip(SKIP_1) | instid1(VALU_DEP_1)
	v_cndmask_b32_e64 v27, 0, v27, s0
	v_cmp_gt_i32_e64 s0, s21, v90
	v_cndmask_b32_e64 v26, 0, v26, s0
	v_cmp_gt_i32_e64 s0, s10, v93
	s_delay_alu instid0(VALU_DEP_1) | instskip(SKIP_1) | instid1(VALU_DEP_1)
	v_cndmask_b32_e64 v29, 0, v29, s0
	v_cmp_gt_i32_e64 s0, s21, v92
	v_cndmask_b32_e64 v28, 0, v28, s0
	s_or_b32 exec_lo, exec_lo, s11
	global_load_b128 v[30:33], v[54:55], off offset:3072
	s_wait_xcnt 0x0
	s_and_saveexec_b32 s11, vcc_lo
	s_cbranch_execz .LBB32_47
.LBB32_61:                              ;   in Loop: Header=BB32_40 Depth=1
	v_cmp_gt_i32_e64 s0, s10, v94
	s_wait_loadcnt 0x0
	s_delay_alu instid0(VALU_DEP_1) | instskip(SKIP_1) | instid1(VALU_DEP_1)
	v_cndmask_b32_e64 v31, 0, v31, s0
	v_cmp_gt_i32_e64 s0, s21, v90
	v_cndmask_b32_e64 v30, 0, v30, s0
	v_cmp_gt_i32_e64 s0, s10, v93
	s_delay_alu instid0(VALU_DEP_1) | instskip(SKIP_1) | instid1(VALU_DEP_1)
	v_cndmask_b32_e64 v33, 0, v33, s0
	v_cmp_gt_i32_e64 s0, s21, v92
	v_cndmask_b32_e64 v32, 0, v32, s0
	s_or_b32 exec_lo, exec_lo, s11
	global_load_b128 v[34:37], v[54:55], off offset:3584
	s_wait_xcnt 0x0
	s_and_saveexec_b32 s11, vcc_lo
	s_cbranch_execz .LBB32_48
.LBB32_62:                              ;   in Loop: Header=BB32_40 Depth=1
	v_cmp_gt_i32_e64 s0, s10, v94
	s_wait_loadcnt 0x0
	s_delay_alu instid0(VALU_DEP_1) | instskip(SKIP_1) | instid1(VALU_DEP_1)
	v_cndmask_b32_e64 v35, 0, v35, s0
	v_cmp_gt_i32_e64 s0, s21, v90
	v_cndmask_b32_e64 v34, 0, v34, s0
	v_cmp_gt_i32_e64 s0, s10, v93
	s_delay_alu instid0(VALU_DEP_1) | instskip(SKIP_1) | instid1(VALU_DEP_1)
	v_cndmask_b32_e64 v37, 0, v37, s0
	v_cmp_gt_i32_e64 s0, s21, v92
	v_cndmask_b32_e64 v36, 0, v36, s0
	s_or_b32 exec_lo, exec_lo, s11
	global_load_b128 v[38:41], v[54:55], off offset:4096
	s_wait_xcnt 0x0
	s_and_saveexec_b32 s11, vcc_lo
	s_cbranch_execz .LBB32_49
.LBB32_63:                              ;   in Loop: Header=BB32_40 Depth=1
	v_cmp_gt_i32_e64 s0, s10, v94
	s_wait_loadcnt 0x0
	s_delay_alu instid0(VALU_DEP_1) | instskip(SKIP_1) | instid1(VALU_DEP_1)
	v_cndmask_b32_e64 v39, 0, v39, s0
	v_cmp_gt_i32_e64 s0, s21, v90
	v_cndmask_b32_e64 v38, 0, v38, s0
	v_cmp_gt_i32_e64 s0, s10, v93
	s_delay_alu instid0(VALU_DEP_1) | instskip(SKIP_1) | instid1(VALU_DEP_1)
	v_cndmask_b32_e64 v41, 0, v41, s0
	v_cmp_gt_i32_e64 s0, s21, v92
	v_cndmask_b32_e64 v40, 0, v40, s0
	s_or_b32 exec_lo, exec_lo, s11
	global_load_b128 v[42:45], v[54:55], off offset:4608
	s_wait_xcnt 0x0
	s_and_saveexec_b32 s11, vcc_lo
	s_cbranch_execz .LBB32_50
.LBB32_64:                              ;   in Loop: Header=BB32_40 Depth=1
	v_cmp_gt_i32_e64 s0, s10, v94
	s_wait_loadcnt 0x0
	s_delay_alu instid0(VALU_DEP_1) | instskip(SKIP_1) | instid1(VALU_DEP_1)
	v_cndmask_b32_e64 v43, 0, v43, s0
	v_cmp_gt_i32_e64 s0, s21, v90
	v_cndmask_b32_e64 v42, 0, v42, s0
	v_cmp_gt_i32_e64 s0, s10, v93
	s_delay_alu instid0(VALU_DEP_1) | instskip(SKIP_1) | instid1(VALU_DEP_1)
	v_cndmask_b32_e64 v45, 0, v45, s0
	v_cmp_gt_i32_e64 s0, s21, v92
	v_cndmask_b32_e64 v44, 0, v44, s0
	s_or_b32 exec_lo, exec_lo, s11
	global_load_b128 v[46:49], v[54:55], off offset:5120
	s_wait_xcnt 0x0
	s_and_saveexec_b32 s11, vcc_lo
	s_cbranch_execz .LBB32_51
.LBB32_65:                              ;   in Loop: Header=BB32_40 Depth=1
	v_cmp_gt_i32_e64 s0, s10, v94
	s_wait_loadcnt 0x0
	s_delay_alu instid0(VALU_DEP_1) | instskip(SKIP_1) | instid1(VALU_DEP_1)
	v_cndmask_b32_e64 v47, 0, v47, s0
	v_cmp_gt_i32_e64 s0, s21, v90
	v_cndmask_b32_e64 v46, 0, v46, s0
	v_cmp_gt_i32_e64 s0, s10, v93
	s_delay_alu instid0(VALU_DEP_1) | instskip(SKIP_1) | instid1(VALU_DEP_1)
	v_cndmask_b32_e64 v49, 0, v49, s0
	v_cmp_gt_i32_e64 s0, s21, v92
	v_cndmask_b32_e64 v48, 0, v48, s0
	s_or_b32 exec_lo, exec_lo, s11
	global_load_b128 v[50:53], v[54:55], off offset:5632
	s_wait_xcnt 0x0
	s_and_saveexec_b32 s11, vcc_lo
	s_cbranch_execz .LBB32_52
.LBB32_66:                              ;   in Loop: Header=BB32_40 Depth=1
	v_cmp_gt_i32_e64 s0, s10, v94
	s_wait_loadcnt 0x0
	s_delay_alu instid0(VALU_DEP_1) | instskip(SKIP_1) | instid1(VALU_DEP_1)
	v_cndmask_b32_e64 v51, 0, v51, s0
	v_cmp_gt_i32_e64 s0, s21, v90
	v_cndmask_b32_e64 v50, 0, v50, s0
	v_cmp_gt_i32_e64 s0, s10, v93
	s_delay_alu instid0(VALU_DEP_1) | instskip(SKIP_1) | instid1(VALU_DEP_1)
	v_cndmask_b32_e64 v53, 0, v53, s0
	v_cmp_gt_i32_e64 s0, s21, v92
	v_cndmask_b32_e64 v52, 0, v52, s0
	s_or_b32 exec_lo, exec_lo, s11
	global_load_b128 v[58:61], v[54:55], off offset:6144
	s_wait_xcnt 0x0
	s_and_saveexec_b32 s11, vcc_lo
	s_cbranch_execz .LBB32_53
.LBB32_67:                              ;   in Loop: Header=BB32_40 Depth=1
	v_cmp_gt_i32_e64 s0, s10, v94
	s_wait_loadcnt 0x0
	s_delay_alu instid0(VALU_DEP_1) | instskip(SKIP_1) | instid1(VALU_DEP_1)
	v_cndmask_b32_e64 v59, 0, v59, s0
	v_cmp_gt_i32_e64 s0, s21, v90
	v_cndmask_b32_e64 v58, 0, v58, s0
	v_cmp_gt_i32_e64 s0, s10, v93
	s_delay_alu instid0(VALU_DEP_1) | instskip(SKIP_1) | instid1(VALU_DEP_1)
	v_cndmask_b32_e64 v61, 0, v61, s0
	v_cmp_gt_i32_e64 s0, s21, v92
	v_cndmask_b32_e64 v60, 0, v60, s0
	s_or_b32 exec_lo, exec_lo, s11
	global_load_b128 v[62:65], v[54:55], off offset:6656
	s_wait_xcnt 0x0
	s_and_saveexec_b32 s11, vcc_lo
	s_cbranch_execz .LBB32_54
.LBB32_68:                              ;   in Loop: Header=BB32_40 Depth=1
	v_cmp_gt_i32_e64 s0, s10, v94
	s_wait_loadcnt 0x0
	s_delay_alu instid0(VALU_DEP_1) | instskip(SKIP_1) | instid1(VALU_DEP_1)
	v_cndmask_b32_e64 v63, 0, v63, s0
	v_cmp_gt_i32_e64 s0, s21, v90
	v_cndmask_b32_e64 v62, 0, v62, s0
	v_cmp_gt_i32_e64 s0, s10, v93
	s_delay_alu instid0(VALU_DEP_1) | instskip(SKIP_1) | instid1(VALU_DEP_1)
	v_cndmask_b32_e64 v65, 0, v65, s0
	v_cmp_gt_i32_e64 s0, s21, v92
	v_cndmask_b32_e64 v64, 0, v64, s0
	s_or_b32 exec_lo, exec_lo, s11
	global_load_b128 v[54:57], v[54:55], off offset:7168
	s_wait_xcnt 0x0
	s_and_saveexec_b32 s0, vcc_lo
	s_cbranch_execz .LBB32_39
.LBB32_69:                              ;   in Loop: Header=BB32_40 Depth=1
	v_cmp_gt_i32_e32 vcc_lo, s10, v94
	s_wait_loadcnt 0x0
	v_cndmask_b32_e32 v55, 0, v55, vcc_lo
	v_cmp_gt_i32_e32 vcc_lo, s21, v90
	v_cndmask_b32_e32 v54, 0, v54, vcc_lo
	v_cmp_gt_i32_e32 vcc_lo, s10, v93
	;; [unrolled: 2-line block ×3, first 2 shown]
	v_cndmask_b32_e32 v56, 0, v56, vcc_lo
	s_branch .LBB32_39
.LBB32_70:
	s_or_b32 exec_lo, exec_lo, s5
.LBB32_71:
	s_delay_alu instid0(SALU_CYCLE_1)
	s_or_b32 exec_lo, exec_lo, s1
	ds_bpermute_b32 v2, v87, v80
	ds_bpermute_b32 v3, v87, v81
	ds_bpermute_b32 v6, v87, v76
	ds_bpermute_b32 v7, v87, v77
	ds_bpermute_b32 v10, v87, v72
	ds_bpermute_b32 v11, v87, v73
	ds_bpermute_b32 v4, v87, v78
	ds_bpermute_b32 v5, v87, v79
	ds_bpermute_b32 v8, v87, v74
	ds_bpermute_b32 v9, v87, v75
	ds_bpermute_b32 v12, v87, v70
	ds_bpermute_b32 v13, v87, v71
	ds_bpermute_b32 v14, v87, v68
	ds_bpermute_b32 v15, v87, v69
	ds_bpermute_b32 v16, v87, v67
	v_and_b32_e32 v36, 0x3c3, v0
	s_mov_b32 s0, exec_lo
	s_wait_dscnt 0x0
	s_barrier_signal -1
	s_barrier_wait -1
	v_pk_add_f32 v[2:3], v[80:81], v[2:3]
	v_pk_add_f32 v[6:7], v[76:77], v[6:7]
	;; [unrolled: 1-line block ×3, first 2 shown]
	ds_bpermute_b32 v10, v88, v2
	ds_bpermute_b32 v11, v88, v3
	;; [unrolled: 1-line block ×6, first 2 shown]
	v_pk_add_f32 v[4:5], v[78:79], v[4:5]
	v_pk_add_f32 v[8:9], v[74:75], v[8:9]
	;; [unrolled: 1-line block ×4, first 2 shown]
	v_add_f32_e32 v16, v67, v16
	ds_bpermute_b32 v20, v88, v4
	ds_bpermute_b32 v21, v88, v5
	;; [unrolled: 1-line block ×8, first 2 shown]
	s_wait_dscnt 0xc
	v_pk_add_f32 v[14:15], v[2:3], v[10:11]
	s_wait_dscnt 0xa
	v_pk_add_f32 v[10:11], v[6:7], v[22:23]
	;; [unrolled: 2-line block ×3, first 2 shown]
	v_and_b32_e32 v18, 28, v86
	ds_bpermute_b32 v17, v88, v16
	s_wait_dscnt 0x7
	v_pk_add_f32 v[12:13], v[4:5], v[20:21]
	s_wait_dscnt 0x5
	v_pk_add_f32 v[8:9], v[8:9], v[24:25]
	s_wait_dscnt 0x3
	v_pk_add_f32 v[4:5], v[26:27], v[32:33]
	s_wait_dscnt 0x1
	v_pk_add_f32 v[2:3], v[28:29], v[34:35]
	v_cmpx_ne_u32_e32 64, v36
	s_xor_b32 s0, exec_lo, s0
	s_delay_alu instid0(SALU_CYCLE_1)
	s_or_saveexec_b32 s0, s0
	s_wait_dscnt 0x0
	v_dual_add_f32 v16, v16, v17 :: v_dual_lshrrev_b32 v19, 2, v86
	v_add_nc_u32_e32 v17, 0x200, v18
	v_mul_u32_u24_e32 v1, 0x1e0, v1
	s_xor_b32 exec_lo, exec_lo, s0
	s_cbranch_execz .LBB32_73
; %bb.72:
	s_delay_alu instid0(VALU_DEP_1) | instskip(NEXT) | instid1(VALU_DEP_1)
	v_add_nc_u32_e32 v18, v17, v1
	v_add_nc_u32_e32 v20, 0xfffffc40, v18
	;; [unrolled: 1-line block ×9, first 2 shown]
	ds_store_b32 v20, v14
	ds_store_b32 v21, v15
	;; [unrolled: 1-line block ×8, first 2 shown]
	v_add_nc_u32_e32 v20, 0xfffffd40, v18
	v_add_nc_u32_e32 v21, 0xfffffd60, v18
	;; [unrolled: 1-line block ×7, first 2 shown]
	ds_store_b32 v20, v6
	ds_store_b32 v21, v7
	ds_store_b32 v22, v4
	ds_store_b32 v23, v5
	ds_store_b32 v24, v2
	ds_store_b32 v25, v3
	ds_store_b32 v18, v16
.LBB32_73:
	s_or_b32 exec_lo, exec_lo, s0
	v_lshlrev_b32_e32 v18, 2, v19
	s_mov_b32 s1, exec_lo
	v_cmp_eq_u32_e32 vcc_lo, 0, v89
	s_wait_dscnt 0x0
	s_barrier_signal -1
	v_add3_u32 v1, 0x200, v1, v18
	s_barrier_wait -1
	v_cmpx_gt_u32_e32 64, v0
	s_cbranch_execz .LBB32_91
; %bb.74:
	s_and_saveexec_b32 s0, vcc_lo
	s_cbranch_execnz .LBB32_114
; %bb.75:
	s_or_b32 exec_lo, exec_lo, s0
	s_and_saveexec_b32 s0, vcc_lo
	s_cbranch_execnz .LBB32_115
.LBB32_76:
	s_or_b32 exec_lo, exec_lo, s0
	s_and_saveexec_b32 s0, vcc_lo
	s_cbranch_execnz .LBB32_116
.LBB32_77:
	s_or_b32 exec_lo, exec_lo, s0
	s_and_saveexec_b32 s0, vcc_lo
	s_cbranch_execnz .LBB32_117
.LBB32_78:
	s_or_b32 exec_lo, exec_lo, s0
	s_and_saveexec_b32 s0, vcc_lo
	s_cbranch_execnz .LBB32_118
.LBB32_79:
	s_or_b32 exec_lo, exec_lo, s0
	s_and_saveexec_b32 s0, vcc_lo
	s_cbranch_execnz .LBB32_119
.LBB32_80:
	s_or_b32 exec_lo, exec_lo, s0
	s_and_saveexec_b32 s0, vcc_lo
	s_cbranch_execnz .LBB32_120
.LBB32_81:
	s_or_b32 exec_lo, exec_lo, s0
	s_and_saveexec_b32 s0, vcc_lo
	s_cbranch_execnz .LBB32_121
.LBB32_82:
	s_or_b32 exec_lo, exec_lo, s0
	s_and_saveexec_b32 s0, vcc_lo
	s_cbranch_execnz .LBB32_122
.LBB32_83:
	s_or_b32 exec_lo, exec_lo, s0
	s_and_saveexec_b32 s0, vcc_lo
	s_cbranch_execnz .LBB32_123
.LBB32_84:
	s_or_b32 exec_lo, exec_lo, s0
	s_and_saveexec_b32 s0, vcc_lo
	s_cbranch_execnz .LBB32_124
.LBB32_85:
	s_or_b32 exec_lo, exec_lo, s0
	s_and_saveexec_b32 s0, vcc_lo
	s_cbranch_execnz .LBB32_125
.LBB32_86:
	s_or_b32 exec_lo, exec_lo, s0
	s_and_saveexec_b32 s0, vcc_lo
	s_cbranch_execnz .LBB32_126
.LBB32_87:
	s_or_b32 exec_lo, exec_lo, s0
	s_and_saveexec_b32 s0, vcc_lo
	s_cbranch_execnz .LBB32_127
.LBB32_88:
	s_or_b32 exec_lo, exec_lo, s0
	s_and_saveexec_b32 s0, vcc_lo
	s_cbranch_execz .LBB32_90
.LBB32_89:
	ds_load_b32 v18, v1 offset:448
	s_wait_dscnt 0x0
	v_add_f32_e32 v16, v16, v18
.LBB32_90:
	s_or_b32 exec_lo, exec_lo, s0
.LBB32_91:
	s_delay_alu instid0(SALU_CYCLE_1) | instskip(SKIP_4) | instid1(VALU_DEP_1)
	s_or_b32 exec_lo, exec_lo, s1
	v_and_b32_e32 v18, 0x3e3, v0
	s_mov_b32 s1, exec_lo
	s_barrier_signal -1
	s_barrier_wait -1
	v_cmpx_eq_u32_e32 32, v18
	s_cbranch_execz .LBB32_93
; %bb.92:
	ds_store_2addr_b32 v17, v14, v15 offset1:8
	ds_store_2addr_b32 v17, v12, v13 offset0:16 offset1:24
	ds_store_2addr_b32 v17, v10, v11 offset0:32 offset1:40
	;; [unrolled: 1-line block ×6, first 2 shown]
	ds_store_b32 v17, v16 offset:448
.LBB32_93:
	s_or_b32 exec_lo, exec_lo, s1
	s_delay_alu instid0(SALU_CYCLE_1)
	s_mov_b32 s1, exec_lo
	s_wait_dscnt 0x0
	s_barrier_signal -1
	s_barrier_wait -1
	v_cmpx_gt_u32_e32 32, v0
	s_cbranch_execz .LBB32_111
; %bb.94:
	s_and_saveexec_b32 s0, vcc_lo
	s_cbranch_execnz .LBB32_128
; %bb.95:
	s_or_b32 exec_lo, exec_lo, s0
	s_and_saveexec_b32 s0, vcc_lo
	s_cbranch_execnz .LBB32_129
.LBB32_96:
	s_or_b32 exec_lo, exec_lo, s0
	s_and_saveexec_b32 s0, vcc_lo
	s_cbranch_execnz .LBB32_130
.LBB32_97:
	s_or_b32 exec_lo, exec_lo, s0
	s_and_saveexec_b32 s0, vcc_lo
	s_cbranch_execnz .LBB32_131
.LBB32_98:
	s_or_b32 exec_lo, exec_lo, s0
	s_and_saveexec_b32 s0, vcc_lo
	s_cbranch_execnz .LBB32_132
.LBB32_99:
	s_or_b32 exec_lo, exec_lo, s0
	s_and_saveexec_b32 s0, vcc_lo
	s_cbranch_execnz .LBB32_133
.LBB32_100:
	s_or_b32 exec_lo, exec_lo, s0
	s_and_saveexec_b32 s0, vcc_lo
	s_cbranch_execnz .LBB32_134
.LBB32_101:
	s_or_b32 exec_lo, exec_lo, s0
	s_and_saveexec_b32 s0, vcc_lo
	s_cbranch_execnz .LBB32_135
.LBB32_102:
	s_or_b32 exec_lo, exec_lo, s0
	s_and_saveexec_b32 s0, vcc_lo
	s_cbranch_execnz .LBB32_136
.LBB32_103:
	s_or_b32 exec_lo, exec_lo, s0
	s_and_saveexec_b32 s0, vcc_lo
	s_cbranch_execnz .LBB32_137
.LBB32_104:
	s_or_b32 exec_lo, exec_lo, s0
	s_and_saveexec_b32 s0, vcc_lo
	s_cbranch_execnz .LBB32_138
.LBB32_105:
	s_or_b32 exec_lo, exec_lo, s0
	s_and_saveexec_b32 s0, vcc_lo
	s_cbranch_execnz .LBB32_139
.LBB32_106:
	s_or_b32 exec_lo, exec_lo, s0
	s_and_saveexec_b32 s0, vcc_lo
	s_cbranch_execnz .LBB32_140
.LBB32_107:
	s_or_b32 exec_lo, exec_lo, s0
	s_and_saveexec_b32 s0, vcc_lo
	s_cbranch_execnz .LBB32_141
.LBB32_108:
	s_or_b32 exec_lo, exec_lo, s0
	s_and_saveexec_b32 s0, vcc_lo
	s_cbranch_execz .LBB32_110
.LBB32_109:
	ds_load_b32 v1, v1 offset:448
	s_wait_dscnt 0x0
	v_add_f32_e32 v16, v16, v1
.LBB32_110:
	s_or_b32 exec_lo, exec_lo, s0
.LBB32_111:
	s_delay_alu instid0(SALU_CYCLE_1)
	s_or_b32 exec_lo, exec_lo, s1
	s_mov_b32 s1, 0
	s_barrier_signal -1
	s_barrier_wait -1
	s_mov_b32 s0, exec_lo
	v_cmpx_eq_u32_e32 0, v18
	s_cbranch_execz .LBB32_113
; %bb.112:
	s_wait_kmcnt 0x0
	s_mul_i32 s0, s20, s9
	s_mul_i32 s2, s9, s8
	;; [unrolled: 1-line block ×3, first 2 shown]
	s_lshr_b32 s8, ttmp7, 16
	s_mul_i32 s4, s0, 0x78
	s_bfe_u32 s0, ttmp6, 0x40014
	s_ashr_i32 s5, s4, 31
	s_add_co_i32 s0, s0, 1
	s_ashr_i32 s3, s2, 31
	s_mul_i32 s0, s8, s0
	s_bfe_u32 s9, ttmp6, 0x40008
	s_lshl_b64 s[4:5], s[4:5], 2
	s_lshl_b64 s[2:3], s[2:3], 2
	s_add_co_i32 s9, s9, s0
	s_cmp_eq_u32 s18, 0
	s_add_nc_u64 s[4:5], s[6:7], s[4:5]
	s_cselect_b32 s0, s8, s9
	s_add_nc_u64 s[2:3], s[4:5], s[2:3]
	s_mulk_i32 s0, 0x1e0
	s_delay_alu instid0(SALU_CYCLE_1)
	s_add_nc_u64 s[0:1], s[2:3], s[0:1]
	s_clause 0xe
	global_store_b32 v0, v14, s[0:1]
	global_store_b32 v0, v15, s[0:1] offset:32
	global_store_b32 v0, v12, s[0:1] offset:64
	;; [unrolled: 1-line block ×14, first 2 shown]
.LBB32_113:
	s_sendmsg sendmsg(MSG_DEALLOC_VGPRS)
	s_endpgm
.LBB32_114:
	ds_load_b32 v18, v1
	s_wait_dscnt 0x0
	v_add_f32_e32 v14, v14, v18
	s_or_b32 exec_lo, exec_lo, s0
	s_and_saveexec_b32 s0, vcc_lo
	s_cbranch_execz .LBB32_76
.LBB32_115:
	ds_load_b32 v18, v1 offset:32
	s_wait_dscnt 0x0
	v_add_f32_e32 v15, v15, v18
	s_or_b32 exec_lo, exec_lo, s0
	s_and_saveexec_b32 s0, vcc_lo
	s_cbranch_execz .LBB32_77
.LBB32_116:
	ds_load_b32 v18, v1 offset:64
	s_wait_dscnt 0x0
	v_add_f32_e32 v12, v12, v18
	s_or_b32 exec_lo, exec_lo, s0
	s_and_saveexec_b32 s0, vcc_lo
	s_cbranch_execz .LBB32_78
.LBB32_117:
	ds_load_b32 v18, v1 offset:96
	s_wait_dscnt 0x0
	v_add_f32_e32 v13, v13, v18
	s_or_b32 exec_lo, exec_lo, s0
	s_and_saveexec_b32 s0, vcc_lo
	s_cbranch_execz .LBB32_79
.LBB32_118:
	ds_load_b32 v18, v1 offset:128
	s_wait_dscnt 0x0
	v_add_f32_e32 v10, v10, v18
	s_or_b32 exec_lo, exec_lo, s0
	s_and_saveexec_b32 s0, vcc_lo
	s_cbranch_execz .LBB32_80
.LBB32_119:
	ds_load_b32 v18, v1 offset:160
	s_wait_dscnt 0x0
	v_add_f32_e32 v11, v11, v18
	s_or_b32 exec_lo, exec_lo, s0
	s_and_saveexec_b32 s0, vcc_lo
	s_cbranch_execz .LBB32_81
.LBB32_120:
	ds_load_b32 v18, v1 offset:192
	s_wait_dscnt 0x0
	v_add_f32_e32 v8, v8, v18
	s_or_b32 exec_lo, exec_lo, s0
	s_and_saveexec_b32 s0, vcc_lo
	s_cbranch_execz .LBB32_82
.LBB32_121:
	ds_load_b32 v18, v1 offset:224
	s_wait_dscnt 0x0
	v_add_f32_e32 v9, v9, v18
	s_or_b32 exec_lo, exec_lo, s0
	s_and_saveexec_b32 s0, vcc_lo
	s_cbranch_execz .LBB32_83
.LBB32_122:
	ds_load_b32 v18, v1 offset:256
	s_wait_dscnt 0x0
	v_add_f32_e32 v6, v6, v18
	s_or_b32 exec_lo, exec_lo, s0
	s_and_saveexec_b32 s0, vcc_lo
	s_cbranch_execz .LBB32_84
.LBB32_123:
	ds_load_b32 v18, v1 offset:288
	s_wait_dscnt 0x0
	v_add_f32_e32 v7, v7, v18
	s_or_b32 exec_lo, exec_lo, s0
	s_and_saveexec_b32 s0, vcc_lo
	s_cbranch_execz .LBB32_85
.LBB32_124:
	ds_load_b32 v18, v1 offset:320
	s_wait_dscnt 0x0
	v_add_f32_e32 v4, v4, v18
	s_or_b32 exec_lo, exec_lo, s0
	s_and_saveexec_b32 s0, vcc_lo
	s_cbranch_execz .LBB32_86
.LBB32_125:
	ds_load_b32 v18, v1 offset:352
	s_wait_dscnt 0x0
	v_add_f32_e32 v5, v5, v18
	s_or_b32 exec_lo, exec_lo, s0
	s_and_saveexec_b32 s0, vcc_lo
	s_cbranch_execz .LBB32_87
.LBB32_126:
	ds_load_b32 v18, v1 offset:384
	s_wait_dscnt 0x0
	v_add_f32_e32 v2, v2, v18
	s_or_b32 exec_lo, exec_lo, s0
	s_and_saveexec_b32 s0, vcc_lo
	s_cbranch_execz .LBB32_88
.LBB32_127:
	ds_load_b32 v18, v1 offset:416
	s_wait_dscnt 0x0
	v_add_f32_e32 v3, v3, v18
	s_or_b32 exec_lo, exec_lo, s0
	s_and_saveexec_b32 s0, vcc_lo
	s_cbranch_execnz .LBB32_89
	s_branch .LBB32_90
.LBB32_128:
	ds_load_b32 v17, v1
	s_wait_dscnt 0x0
	v_add_f32_e32 v14, v14, v17
	s_or_b32 exec_lo, exec_lo, s0
	s_and_saveexec_b32 s0, vcc_lo
	s_cbranch_execz .LBB32_96
.LBB32_129:
	ds_load_b32 v17, v1 offset:32
	s_wait_dscnt 0x0
	v_add_f32_e32 v15, v15, v17
	s_or_b32 exec_lo, exec_lo, s0
	s_and_saveexec_b32 s0, vcc_lo
	s_cbranch_execz .LBB32_97
.LBB32_130:
	ds_load_b32 v17, v1 offset:64
	s_wait_dscnt 0x0
	v_add_f32_e32 v12, v12, v17
	s_or_b32 exec_lo, exec_lo, s0
	s_and_saveexec_b32 s0, vcc_lo
	s_cbranch_execz .LBB32_98
.LBB32_131:
	ds_load_b32 v17, v1 offset:96
	s_wait_dscnt 0x0
	v_add_f32_e32 v13, v13, v17
	s_or_b32 exec_lo, exec_lo, s0
	s_and_saveexec_b32 s0, vcc_lo
	s_cbranch_execz .LBB32_99
.LBB32_132:
	ds_load_b32 v17, v1 offset:128
	s_wait_dscnt 0x0
	v_add_f32_e32 v10, v10, v17
	s_or_b32 exec_lo, exec_lo, s0
	s_and_saveexec_b32 s0, vcc_lo
	s_cbranch_execz .LBB32_100
.LBB32_133:
	ds_load_b32 v17, v1 offset:160
	s_wait_dscnt 0x0
	v_add_f32_e32 v11, v11, v17
	s_or_b32 exec_lo, exec_lo, s0
	s_and_saveexec_b32 s0, vcc_lo
	s_cbranch_execz .LBB32_101
.LBB32_134:
	ds_load_b32 v17, v1 offset:192
	s_wait_dscnt 0x0
	v_add_f32_e32 v8, v8, v17
	s_or_b32 exec_lo, exec_lo, s0
	s_and_saveexec_b32 s0, vcc_lo
	s_cbranch_execz .LBB32_102
.LBB32_135:
	ds_load_b32 v17, v1 offset:224
	s_wait_dscnt 0x0
	v_add_f32_e32 v9, v9, v17
	s_or_b32 exec_lo, exec_lo, s0
	s_and_saveexec_b32 s0, vcc_lo
	s_cbranch_execz .LBB32_103
.LBB32_136:
	ds_load_b32 v17, v1 offset:256
	s_wait_dscnt 0x0
	v_add_f32_e32 v6, v6, v17
	s_or_b32 exec_lo, exec_lo, s0
	s_and_saveexec_b32 s0, vcc_lo
	s_cbranch_execz .LBB32_104
.LBB32_137:
	ds_load_b32 v17, v1 offset:288
	s_wait_dscnt 0x0
	v_add_f32_e32 v7, v7, v17
	s_or_b32 exec_lo, exec_lo, s0
	s_and_saveexec_b32 s0, vcc_lo
	s_cbranch_execz .LBB32_105
.LBB32_138:
	ds_load_b32 v17, v1 offset:320
	s_wait_dscnt 0x0
	v_add_f32_e32 v4, v4, v17
	s_or_b32 exec_lo, exec_lo, s0
	s_and_saveexec_b32 s0, vcc_lo
	s_cbranch_execz .LBB32_106
.LBB32_139:
	ds_load_b32 v17, v1 offset:352
	s_wait_dscnt 0x0
	v_add_f32_e32 v5, v5, v17
	s_or_b32 exec_lo, exec_lo, s0
	s_and_saveexec_b32 s0, vcc_lo
	s_cbranch_execz .LBB32_107
.LBB32_140:
	ds_load_b32 v17, v1 offset:384
	s_wait_dscnt 0x0
	v_add_f32_e32 v2, v2, v17
	s_or_b32 exec_lo, exec_lo, s0
	s_and_saveexec_b32 s0, vcc_lo
	s_cbranch_execz .LBB32_108
.LBB32_141:
	ds_load_b32 v17, v1 offset:416
	s_wait_dscnt 0x0
	v_add_f32_e32 v3, v3, v17
	s_or_b32 exec_lo, exec_lo, s0
	s_and_saveexec_b32 s0, vcc_lo
	s_cbranch_execnz .LBB32_109
	s_branch .LBB32_110
	.section	.rodata,"a",@progbits
	.p2align	6, 0x0
	.amdhsa_kernel _ZN4vllm25paged_attention_v1_kernelIffLi120ELi16ELi128ELNS_18Fp8KVCacheDataTypeE0ELb0EEEvPT_PKS2_PKT0_S8_ifPKiSA_iPKfiiiSC_SC_iiiii
		.amdhsa_group_segment_fixed_size 512
		.amdhsa_private_segment_fixed_size 0
		.amdhsa_kernarg_size 384
		.amdhsa_user_sgpr_count 2
		.amdhsa_user_sgpr_dispatch_ptr 0
		.amdhsa_user_sgpr_queue_ptr 0
		.amdhsa_user_sgpr_kernarg_segment_ptr 1
		.amdhsa_user_sgpr_dispatch_id 0
		.amdhsa_user_sgpr_kernarg_preload_length 0
		.amdhsa_user_sgpr_kernarg_preload_offset 0
		.amdhsa_user_sgpr_private_segment_size 0
		.amdhsa_wavefront_size32 1
		.amdhsa_uses_dynamic_stack 0
		.amdhsa_enable_private_segment 0
		.amdhsa_system_sgpr_workgroup_id_x 1
		.amdhsa_system_sgpr_workgroup_id_y 1
		.amdhsa_system_sgpr_workgroup_id_z 1
		.amdhsa_system_sgpr_workgroup_info 0
		.amdhsa_system_vgpr_workitem_id 0
		.amdhsa_next_free_vgpr 102
		.amdhsa_next_free_sgpr 30
		.amdhsa_named_barrier_count 0
		.amdhsa_reserve_vcc 1
		.amdhsa_float_round_mode_32 0
		.amdhsa_float_round_mode_16_64 0
		.amdhsa_float_denorm_mode_32 3
		.amdhsa_float_denorm_mode_16_64 3
		.amdhsa_fp16_overflow 0
		.amdhsa_memory_ordered 1
		.amdhsa_forward_progress 1
		.amdhsa_inst_pref_size 69
		.amdhsa_round_robin_scheduling 0
		.amdhsa_exception_fp_ieee_invalid_op 0
		.amdhsa_exception_fp_denorm_src 0
		.amdhsa_exception_fp_ieee_div_zero 0
		.amdhsa_exception_fp_ieee_overflow 0
		.amdhsa_exception_fp_ieee_underflow 0
		.amdhsa_exception_fp_ieee_inexact 0
		.amdhsa_exception_int_div_zero 0
	.end_amdhsa_kernel
	.section	.text._ZN4vllm25paged_attention_v1_kernelIffLi120ELi16ELi128ELNS_18Fp8KVCacheDataTypeE0ELb0EEEvPT_PKS2_PKT0_S8_ifPKiSA_iPKfiiiSC_SC_iiiii,"axG",@progbits,_ZN4vllm25paged_attention_v1_kernelIffLi120ELi16ELi128ELNS_18Fp8KVCacheDataTypeE0ELb0EEEvPT_PKS2_PKT0_S8_ifPKiSA_iPKfiiiSC_SC_iiiii,comdat
.Lfunc_end32:
	.size	_ZN4vllm25paged_attention_v1_kernelIffLi120ELi16ELi128ELNS_18Fp8KVCacheDataTypeE0ELb0EEEvPT_PKS2_PKT0_S8_ifPKiSA_iPKfiiiSC_SC_iiiii, .Lfunc_end32-_ZN4vllm25paged_attention_v1_kernelIffLi120ELi16ELi128ELNS_18Fp8KVCacheDataTypeE0ELb0EEEvPT_PKS2_PKT0_S8_ifPKiSA_iPKfiiiSC_SC_iiiii
                                        ; -- End function
	.set _ZN4vllm25paged_attention_v1_kernelIffLi120ELi16ELi128ELNS_18Fp8KVCacheDataTypeE0ELb0EEEvPT_PKS2_PKT0_S8_ifPKiSA_iPKfiiiSC_SC_iiiii.num_vgpr, 102
	.set _ZN4vllm25paged_attention_v1_kernelIffLi120ELi16ELi128ELNS_18Fp8KVCacheDataTypeE0ELb0EEEvPT_PKS2_PKT0_S8_ifPKiSA_iPKfiiiSC_SC_iiiii.num_agpr, 0
	.set _ZN4vllm25paged_attention_v1_kernelIffLi120ELi16ELi128ELNS_18Fp8KVCacheDataTypeE0ELb0EEEvPT_PKS2_PKT0_S8_ifPKiSA_iPKfiiiSC_SC_iiiii.numbered_sgpr, 30
	.set _ZN4vllm25paged_attention_v1_kernelIffLi120ELi16ELi128ELNS_18Fp8KVCacheDataTypeE0ELb0EEEvPT_PKS2_PKT0_S8_ifPKiSA_iPKfiiiSC_SC_iiiii.num_named_barrier, 0
	.set _ZN4vllm25paged_attention_v1_kernelIffLi120ELi16ELi128ELNS_18Fp8KVCacheDataTypeE0ELb0EEEvPT_PKS2_PKT0_S8_ifPKiSA_iPKfiiiSC_SC_iiiii.private_seg_size, 0
	.set _ZN4vllm25paged_attention_v1_kernelIffLi120ELi16ELi128ELNS_18Fp8KVCacheDataTypeE0ELb0EEEvPT_PKS2_PKT0_S8_ifPKiSA_iPKfiiiSC_SC_iiiii.uses_vcc, 1
	.set _ZN4vllm25paged_attention_v1_kernelIffLi120ELi16ELi128ELNS_18Fp8KVCacheDataTypeE0ELb0EEEvPT_PKS2_PKT0_S8_ifPKiSA_iPKfiiiSC_SC_iiiii.uses_flat_scratch, 0
	.set _ZN4vllm25paged_attention_v1_kernelIffLi120ELi16ELi128ELNS_18Fp8KVCacheDataTypeE0ELb0EEEvPT_PKS2_PKT0_S8_ifPKiSA_iPKfiiiSC_SC_iiiii.has_dyn_sized_stack, 0
	.set _ZN4vllm25paged_attention_v1_kernelIffLi120ELi16ELi128ELNS_18Fp8KVCacheDataTypeE0ELb0EEEvPT_PKS2_PKT0_S8_ifPKiSA_iPKfiiiSC_SC_iiiii.has_recursion, 0
	.set _ZN4vllm25paged_attention_v1_kernelIffLi120ELi16ELi128ELNS_18Fp8KVCacheDataTypeE0ELb0EEEvPT_PKS2_PKT0_S8_ifPKiSA_iPKfiiiSC_SC_iiiii.has_indirect_call, 0
	.section	.AMDGPU.csdata,"",@progbits
; Kernel info:
; codeLenInByte = 8732
; TotalNumSgprs: 32
; NumVgprs: 102
; ScratchSize: 0
; MemoryBound: 0
; FloatMode: 240
; IeeeMode: 1
; LDSByteSize: 512 bytes/workgroup (compile time only)
; SGPRBlocks: 0
; VGPRBlocks: 6
; NumSGPRsForWavesPerEU: 32
; NumVGPRsForWavesPerEU: 102
; NamedBarCnt: 0
; Occupancy: 9
; WaveLimiterHint : 1
; COMPUTE_PGM_RSRC2:SCRATCH_EN: 0
; COMPUTE_PGM_RSRC2:USER_SGPR: 2
; COMPUTE_PGM_RSRC2:TRAP_HANDLER: 0
; COMPUTE_PGM_RSRC2:TGID_X_EN: 1
; COMPUTE_PGM_RSRC2:TGID_Y_EN: 1
; COMPUTE_PGM_RSRC2:TGID_Z_EN: 1
; COMPUTE_PGM_RSRC2:TIDIG_COMP_CNT: 0
	.section	.text._ZN4vllm25paged_attention_v1_kernelIffLi128ELi16ELi128ELNS_18Fp8KVCacheDataTypeE0ELb0EEEvPT_PKS2_PKT0_S8_ifPKiSA_iPKfiiiSC_SC_iiiii,"axG",@progbits,_ZN4vllm25paged_attention_v1_kernelIffLi128ELi16ELi128ELNS_18Fp8KVCacheDataTypeE0ELb0EEEvPT_PKS2_PKT0_S8_ifPKiSA_iPKfiiiSC_SC_iiiii,comdat
	.protected	_ZN4vllm25paged_attention_v1_kernelIffLi128ELi16ELi128ELNS_18Fp8KVCacheDataTypeE0ELb0EEEvPT_PKS2_PKT0_S8_ifPKiSA_iPKfiiiSC_SC_iiiii ; -- Begin function _ZN4vllm25paged_attention_v1_kernelIffLi128ELi16ELi128ELNS_18Fp8KVCacheDataTypeE0ELb0EEEvPT_PKS2_PKT0_S8_ifPKiSA_iPKfiiiSC_SC_iiiii
	.globl	_ZN4vllm25paged_attention_v1_kernelIffLi128ELi16ELi128ELNS_18Fp8KVCacheDataTypeE0ELb0EEEvPT_PKS2_PKT0_S8_ifPKiSA_iPKfiiiSC_SC_iiiii
	.p2align	8
	.type	_ZN4vllm25paged_attention_v1_kernelIffLi128ELi16ELi128ELNS_18Fp8KVCacheDataTypeE0ELb0EEEvPT_PKS2_PKT0_S8_ifPKiSA_iPKfiiiSC_SC_iiiii,@function
_ZN4vllm25paged_attention_v1_kernelIffLi128ELi16ELi128ELNS_18Fp8KVCacheDataTypeE0ELb0EEEvPT_PKS2_PKT0_S8_ifPKiSA_iPKfiiiSC_SC_iiiii: ; @_ZN4vllm25paged_attention_v1_kernelIffLi128ELi16ELi128ELNS_18Fp8KVCacheDataTypeE0ELb0EEEvPT_PKS2_PKT0_S8_ifPKiSA_iPKfiiiSC_SC_iiiii
; %bb.0:
	s_load_b64 s[10:11], s[0:1], 0x20
	s_bfe_u32 s3, ttmp6, 0x4000c
	s_bfe_u32 s5, ttmp6, 0x40010
	s_and_b32 s4, ttmp7, 0xffff
	s_add_co_i32 s3, s3, 1
	s_add_co_i32 s5, s5, 1
	s_and_b32 s2, ttmp6, 15
	s_bfe_u32 s6, ttmp6, 0x40004
	s_mul_i32 s3, ttmp9, s3
	s_mul_i32 s5, s4, s5
	s_getreg_b32 s20, hwreg(HW_REG_IB_STS2, 6, 4)
	s_add_co_i32 s7, s2, s3
	s_add_co_i32 s6, s6, s5
	s_cmp_eq_u32 s20, 0
	s_clause 0x1
	s_load_b32 s21, s[0:1], 0x80
	s_load_b64 s[2:3], s[0:1], 0x30
	s_cselect_b32 s22, s4, s6
	s_cselect_b32 s6, ttmp9, s7
	s_wait_kmcnt 0x0
	s_abs_i32 s4, s10
	s_delay_alu instid0(SALU_CYCLE_1) | instskip(SKIP_1) | instid1(SALU_CYCLE_2)
	s_cvt_f32_u32 s5, s4
	s_sub_co_i32 s7, 0, s4
	v_rcp_iflag_f32_e32 v1, s5
	s_abs_i32 s8, s21
	v_nop
	s_delay_alu instid0(TRANS32_DEP_1) | instskip(SKIP_1) | instid1(SALU_CYCLE_3)
	v_readfirstlane_b32 s5, v1
	s_mul_f32 s5, s5, 0x4f7ffffe
	s_cvt_u32_f32 s5, s5
	s_delay_alu instid0(SALU_CYCLE_3) | instskip(NEXT) | instid1(SALU_CYCLE_1)
	s_mul_i32 s7, s7, s5
	s_mul_hi_u32 s7, s5, s7
	s_delay_alu instid0(SALU_CYCLE_1) | instskip(SKIP_4) | instid1(SALU_CYCLE_1)
	s_add_co_i32 s5, s5, s7
	s_xor_b32 s7, s21, s10
	s_mul_hi_u32 s5, s8, s5
	s_ashr_i32 s7, s7, 31
	s_mul_i32 s9, s5, s4
	s_sub_co_i32 s8, s8, s9
	s_add_co_i32 s9, s5, 1
	s_sub_co_i32 s10, s8, s4
	s_cmp_ge_u32 s8, s4
	s_cselect_b32 s5, s9, s5
	s_cselect_b32 s8, s10, s8
	s_add_co_i32 s9, s5, 1
	s_cmp_ge_u32 s8, s4
	s_cselect_b32 s4, s9, s5
	s_load_b64 s[8:9], s[0:1], 0x40
	s_xor_b32 s4, s4, s7
	s_mov_b32 s5, 0
	s_sub_co_i32 s15, s4, s7
	s_mov_b32 s13, s5
	s_abs_i32 s14, s15
	s_mov_b32 s24, s5
	s_cvt_f32_u32 s4, s14
	s_delay_alu instid0(SALU_CYCLE_3) | instskip(SKIP_1) | instid1(TRANS32_DEP_1)
	v_rcp_iflag_f32_e32 v1, s4
	v_nop
	v_readfirstlane_b32 s4, v1
	s_mul_f32 s4, s4, 0x4f7ffffe
	s_delay_alu instid0(SALU_CYCLE_3) | instskip(SKIP_1) | instid1(SALU_CYCLE_2)
	s_cvt_u32_f32 s7, s4
	s_sub_co_i32 s4, 0, s14
	s_mul_i32 s4, s4, s7
	s_delay_alu instid0(SALU_CYCLE_1)
	s_mul_hi_u32 s10, s7, s4
	s_abs_i32 s4, s6
	s_add_co_i32 s12, s7, s10
	s_wait_kmcnt 0x0
	s_cmp_eq_u64 s[8:9], 0
	s_cbranch_scc1 .LBB33_2
; %bb.1:
	s_ashr_i32 s7, s6, 31
	s_delay_alu instid0(SALU_CYCLE_1) | instskip(NEXT) | instid1(SALU_CYCLE_1)
	s_lshl_b64 s[16:17], s[6:7], 2
	s_add_nc_u64 s[8:9], s[8:9], s[16:17]
	s_load_b32 s24, s[8:9], 0x0
.LBB33_2:
	s_load_b32 s23, s[2:3], s22 offset:0x0 scale_offset
	s_wait_xcnt 0x0
	s_load_b96 s[8:10], s[0:1], 0x48
	v_dual_lshlrev_b32 v86, 2, v0 :: v_dual_bitop2_b32 v70, 1, v0 bitop3:0x40
	v_cmp_gt_u32_e64 s2, 64, v0
	s_ashr_i32 s3, s6, 31
	s_ashr_i32 s15, s15, 31
	s_mul_u64 s[12:13], s[4:5], s[12:13]
	s_lshl_b32 s6, s6, 7
	s_and_saveexec_b32 s5, s2
	s_cbranch_execz .LBB33_4
; %bb.3:
	s_load_b64 s[16:17], s[0:1], 0x8
	s_wait_kmcnt 0x0
	s_mul_i32 s18, s8, s22
	s_ashr_i32 s7, s6, 31
	s_ashr_i32 s19, s18, 31
	v_and_b32_e32 v1, 0xff8, v86
	s_lshl_b64 s[18:19], s[18:19], 2
	s_delay_alu instid0(VALU_DEP_1) | instskip(SKIP_2) | instid1(SALU_CYCLE_1)
	v_lshl_add_u32 v1, v70, 8, v1
	s_add_nc_u64 s[16:17], s[16:17], s[18:19]
	s_lshl_b64 s[18:19], s[6:7], 2
	s_add_nc_u64 s[16:17], s[16:17], s[18:19]
	global_load_b64 v[2:3], v0, s[16:17] scale_offset
	s_wait_loadcnt 0x0
	ds_store_b64 v1, v[2:3]
.LBB33_4:
	s_or_b32 exec_lo, exec_lo, s5
	s_wait_kmcnt 0x0
	s_add_co_i32 s5, s23, 15
	s_load_b32 s7, s[0:1], 0x38
	s_ashr_i32 s8, s5, 31
	s_mul_i32 s12, s13, s14
	s_lshr_b32 s8, s8, 28
	s_sub_co_i32 s4, s4, s12
	s_add_co_i32 s5, s5, s8
	s_xor_b32 s3, s3, s15
	s_ashr_i32 s8, s5, 4
	s_add_co_i32 s5, s13, 1
	s_sub_co_i32 s12, s4, s14
	s_cmp_ge_u32 s4, s14
	v_lshrrev_b32_e32 v1, 5, v0
	s_cselect_b32 s5, s5, s13
	s_cselect_b32 s4, s12, s4
	s_add_co_i32 s12, s5, 1
	s_cmp_ge_u32 s4, s14
	v_mbcnt_lo_u32_b32 v76, -1, 0
	s_cselect_b32 s4, s12, s5
	s_mov_b32 s5, exec_lo
	s_xor_b32 s4, s4, s3
	s_wait_kmcnt 0x0
	s_mul_i32 s12, s7, s22
	s_sub_co_i32 s4, s4, s3
	v_cmp_gt_i32_e64 s3, s8, v1
	s_ashr_i32 s13, s12, 31
	s_wait_dscnt 0x0
	s_barrier_signal -1
	s_barrier_wait -1
                                        ; implicit-def: $vgpr67
                                        ; implicit-def: $vgpr77
	v_cmpx_le_i32_e64 s8, v1
	s_xor_b32 s5, exec_lo, s5
; %bb.5:
	v_dual_mov_b32 v67, 0 :: v_dual_mov_b32 v77, 32
	v_mbcnt_lo_u32_b32 v76, -1, 0
                                        ; implicit-def: $vgpr70
; %bb.6:
	s_or_saveexec_b32 s25, s5
	s_clause 0x1
	s_load_b64 s[14:15], s[0:1], 0x28
	s_load_b32 s7, s[0:1], 0x88
	v_mov_b32_e32 v66, 0xff7fffff
	v_lshrrev_b32_e32 v88, 3, v0
	s_mul_i32 s16, s4, s10
	s_xor_b32 exec_lo, exec_lo, s25
	s_cbranch_execz .LBB33_12
; %bb.7:
	s_load_b64 s[4:5], s[0:1], 0x10
	v_bfe_u32 v71, v0, 1, 4
	v_dual_lshlrev_b32 v62, 8, v70 :: v_dual_bitop2_b32 v27, 1, v76 bitop3:0x14
	s_ashr_i32 s17, s16, 31
	v_dual_mov_b32 v67, 0 :: v_dual_lshlrev_b32 v26, 3, v0
	s_delay_alu instid0(VALU_DEP_3) | instskip(NEXT) | instid1(VALU_DEP_3)
	v_dual_mov_b32 v77, 32 :: v_dual_lshlrev_b32 v66, 4, v71
	v_cmp_gt_i32_e32 vcc_lo, 32, v27
	s_lshl_b64 s[26:27], s[16:17], 2
	ds_load_b128 v[2:5], v62
	ds_load_b128 v[6:9], v62 offset:16
	ds_load_b128 v[10:13], v62 offset:32
	;; [unrolled: 1-line block ×5, first 2 shown]
	s_ashr_i32 s19, s9, 31
	s_cmp_neq_f32 s24, 0
	v_cndmask_b32_e32 v72, v76, v27, vcc_lo
	v_cmp_eq_u32_e32 vcc_lo, 0, v70
	v_lshl_or_b32 v79, v1, 4, v71
	s_mov_b32 s18, s9
	s_mov_b32 s10, 0
	v_mov_b32_e32 v81, v1
	s_wait_kmcnt 0x0
	s_add_nc_u64 s[4:5], s[4:5], s[26:27]
	s_delay_alu instid0(SALU_CYCLE_1)
	v_add_nc_u64_e32 v[68:69], s[4:5], v[66:67]
	v_and_b32_e32 v66, 8, v26
	ds_load_b128 v[26:29], v62 offset:96
	ds_load_b128 v[30:33], v62 offset:112
	;; [unrolled: 1-line block ×10, first 2 shown]
	v_dual_lshlrev_b32 v73, 2, v71 :: v_dual_lshlrev_b32 v78, 2, v72
	s_cselect_b32 s4, -1, 0
	s_lshl_b64 s[26:27], s[12:13], 2
	v_add_nc_u64_e32 v[68:69], v[68:69], v[66:67]
	s_delay_alu instid0(VALU_DEP_2) | instskip(SKIP_3) | instid1(VALU_DEP_2)
	v_lshl_or_b32 v70, v1, 6, v73
	v_and_b32_e32 v66, 0x7c, v88
	s_add_nc_u64 s[26:27], s[14:15], s[26:27]
	s_sub_co_i32 s17, 1, s23
	v_add_nc_u32_e32 v80, 0x220, v70
	s_delay_alu instid0(VALU_DEP_2)
	v_add_nc_u64_e32 v[70:71], s[26:27], v[66:67]
	v_mov_b32_e32 v66, 0xff7fffff
	s_branch .LBB33_9
.LBB33_8:                               ;   in Loop: Header=BB33_9 Depth=1
	s_or_b32 exec_lo, exec_lo, s26
	v_dual_add_nc_u32 v81, 4, v81 :: v_dual_add_nc_u32 v79, 64, v79
	v_add_nc_u64_e32 v[70:71], 16, v[70:71]
	v_add_nc_u32_e32 v80, 0x100, v80
	s_delay_alu instid0(VALU_DEP_3) | instskip(SKIP_1) | instid1(SALU_CYCLE_1)
	v_cmp_le_i32_e64 s5, s8, v81
	s_or_b32 s10, s5, s10
	s_and_not1_b32 exec_lo, exec_lo, s10
	s_cbranch_execz .LBB33_11
.LBB33_9:                               ; =>This Inner Loop Header: Depth=1
	global_load_b32 v72, v[70:71], off
	s_wait_loadcnt_dscnt 0x0
	v_ashrrev_i32_e32 v73, 31, v72
	s_delay_alu instid0(VALU_DEP_1) | instskip(NEXT) | instid1(VALU_DEP_1)
	v_mul_u64_e32 v[72:73], s[18:19], v[72:73]
	v_lshl_add_u64 v[72:73], v[72:73], 2, v[68:69]
	s_clause 0x10
	global_load_b64 v[82:83], v[72:73], off offset:256
	global_load_b64 v[84:85], v[72:73], off offset:512
	;; [unrolled: 1-line block ×3, first 2 shown]
	global_load_b64 v[92:93], v[72:73], off
	global_load_b64 v[94:95], v[72:73], off offset:1024
	global_load_b64 v[74:75], v[72:73], off offset:1280
	;; [unrolled: 1-line block ×13, first 2 shown]
	s_wait_loadcnt_dscnt 0x100f
	v_dual_mul_f32 v87, v4, v82 :: v_dual_mul_f32 v89, v5, v83
	global_load_b64 v[82:83], v[72:73], off offset:4352
	s_wait_loadcnt 0xe
	v_dual_fmac_f32 v87, v2, v92 :: v_dual_fmac_f32 v89, v3, v93
	global_load_b64 v[92:93], v[72:73], off offset:4608
	s_wait_dscnt 0xe
	v_dual_fmac_f32 v87, v6, v84 :: v_dual_fmac_f32 v89, v7, v85
	global_load_b64 v[84:85], v[72:73], off offset:4864
	v_dual_fmac_f32 v87, v8, v90 :: v_dual_fmac_f32 v89, v9, v91
	global_load_b64 v[90:91], v[72:73], off offset:5120
	s_wait_loadcnt_dscnt 0x100d
	v_dual_fmac_f32 v87, v10, v94 :: v_dual_fmac_f32 v89, v11, v95
	global_load_b64 v[94:95], v[72:73], off offset:5376
	s_wait_loadcnt 0x10
	v_dual_fmac_f32 v87, v12, v74 :: v_dual_fmac_f32 v89, v13, v75
	global_load_b64 v[74:75], v[72:73], off offset:5632
	s_wait_loadcnt_dscnt 0x100c
	v_dual_fmac_f32 v87, v14, v96 :: v_dual_fmac_f32 v89, v15, v97
	global_load_b64 v[96:97], v[72:73], off offset:5888
	s_wait_loadcnt 0x10
	;; [unrolled: 6-line block ×5, first 2 shown]
	v_dual_fmac_f32 v87, v28, v110 :: v_dual_fmac_f32 v89, v29, v111
	s_clause 0x1
	global_load_b64 v[110:111], v[72:73], off offset:7680
	global_load_b64 v[72:73], v[72:73], off offset:7936
	s_wait_loadcnt_dscnt 0x1108
	v_dual_fmac_f32 v87, v30, v112 :: v_dual_fmac_f32 v89, v31, v113
	s_wait_loadcnt 0x10
	s_delay_alu instid0(VALU_DEP_1) | instskip(SKIP_1) | instid1(VALU_DEP_1)
	v_dual_fmac_f32 v87, v32, v114 :: v_dual_fmac_f32 v89, v33, v115
	s_wait_loadcnt_dscnt 0xf07
	v_dual_fmac_f32 v87, v34, v116 :: v_dual_fmac_f32 v89, v35, v117
	s_wait_loadcnt 0xe
	s_delay_alu instid0(VALU_DEP_1) | instskip(SKIP_1) | instid1(VALU_DEP_1)
	v_dual_fmac_f32 v87, v36, v82 :: v_dual_fmac_f32 v89, v37, v83
	;; [unrolled: 5-line block ×9, first 2 shown]
	s_wait_xcnt 0x0
	v_add_f32_e32 v72, v87, v89
	ds_bpermute_b32 v73, v78, v72
	s_and_saveexec_b32 s26, vcc_lo
	s_cbranch_execz .LBB33_8
; %bb.10:                               ;   in Loop: Header=BB33_9 Depth=1
	s_wait_dscnt 0x0
	v_dual_add_nc_u32 v74, s17, v79 :: v_dual_add_f32 v72, v72, v73
	v_cmp_gt_i32_e64 s5, s23, v79
	s_delay_alu instid0(VALU_DEP_2) | instskip(NEXT) | instid1(VALU_DEP_1)
	v_cvt_f32_i32_e32 v74, v74
	v_mul_f32_e32 v74, s24, v74
	s_delay_alu instid0(VALU_DEP_1) | instskip(NEXT) | instid1(VALU_DEP_1)
	v_cndmask_b32_e64 v73, 0, v74, s4
	v_dual_fmac_f32 v73, s11, v72 :: v_dual_max_num_f32 v74, v66, v66
	s_delay_alu instid0(VALU_DEP_1) | instskip(NEXT) | instid1(VALU_DEP_1)
	v_dual_max_num_f32 v72, v74, v73 :: v_dual_cndmask_b32 v73, 0, v73, s5
	v_cndmask_b32_e64 v66, v66, v72, s5
	ds_store_b32 v80, v73
	s_branch .LBB33_8
.LBB33_11:
	s_or_b32 exec_lo, exec_lo, s10
.LBB33_12:
	s_delay_alu instid0(SALU_CYCLE_1)
	s_or_b32 exec_lo, exec_lo, s25
	v_dual_max_num_f32 v5, v66, v66 :: v_dual_bitop2_b32 v2, 16, v76 bitop3:0x14
	s_clause 0x1
	s_load_b64 s[10:11], s[0:1], 0x0
	s_load_b64 s[18:19], s[0:1], 0x18
	v_xor_b32_e32 v4, 8, v76
	v_and_b32_e32 v90, 31, v0
	v_cmp_lt_i32_e32 vcc_lo, v2, v77
	v_cndmask_b32_e32 v2, v76, v2, vcc_lo
	s_delay_alu instid0(VALU_DEP_4) | instskip(NEXT) | instid1(VALU_DEP_2)
	v_cmp_lt_i32_e32 vcc_lo, v4, v77
	v_dual_lshlrev_b32 v2, 2, v2 :: v_dual_cndmask_b32 v4, v76, v4, vcc_lo
	ds_bpermute_b32 v3, v2, v66
	s_wait_dscnt 0x0
	v_dual_max_num_f32 v6, v3, v3 :: v_dual_lshlrev_b32 v3, 2, v4
	s_delay_alu instid0(VALU_DEP_1) | instskip(SKIP_4) | instid1(VALU_DEP_1)
	v_dual_max_num_f32 v5, v5, v6 :: v_dual_bitop2_b32 v6, 4, v76 bitop3:0x14
	ds_bpermute_b32 v4, v3, v5
	v_cmp_lt_i32_e32 vcc_lo, v6, v77
	s_wait_dscnt 0x0
	v_max_num_f32_e32 v7, v4, v4
	v_dual_cndmask_b32 v6, v76, v6 :: v_dual_max_num_f32 v5, v5, v7
	s_delay_alu instid0(VALU_DEP_1) | instskip(SKIP_3) | instid1(VALU_DEP_1)
	v_lshlrev_b32_e32 v4, 2, v6
	ds_bpermute_b32 v6, v4, v5
	s_wait_dscnt 0x0
	v_dual_max_num_f32 v6, v6, v6 :: v_dual_bitop2_b32 v7, 2, v76 bitop3:0x14
	v_cmp_lt_i32_e32 vcc_lo, v7, v77
	s_delay_alu instid0(VALU_DEP_2) | instskip(SKIP_2) | instid1(VALU_DEP_3)
	v_dual_max_num_f32 v6, v5, v6 :: v_dual_cndmask_b32 v7, v76, v7
	v_lshlrev_b32_e32 v5, 2, v1
	v_cmp_eq_u32_e32 vcc_lo, 0, v90
	v_lshlrev_b32_e32 v91, 2, v7
	ds_bpermute_b32 v7, v91, v6
	s_wait_xcnt 0x0
	s_and_saveexec_b32 s0, vcc_lo
	s_cbranch_execz .LBB33_14
; %bb.13:
	s_wait_dscnt 0x0
	v_dual_max_num_f32 v7, v7, v7 :: v_dual_max_num_f32 v6, v6, v6
	s_delay_alu instid0(VALU_DEP_1)
	v_max_num_f32_e32 v6, v6, v7
	ds_store_b32 v5, v6 offset:512
.LBB33_14:
	s_or_b32 exec_lo, exec_lo, s0
	v_cmp_gt_u32_e64 s0, 4, v90
	s_wait_dscnt 0x0
	v_dual_mov_b32 v7, 0xff7fffff :: v_dual_lshlrev_b32 v6, 2, v90
	s_barrier_signal -1
	s_barrier_wait -1
	s_and_saveexec_b32 s1, s0
; %bb.15:
	ds_load_b32 v7, v6 offset:512
; %bb.16:
	s_or_b32 exec_lo, exec_lo, s1
	s_wait_dscnt 0x0
	ds_bpermute_b32 v8, v91, v7
	v_dual_max_num_f32 v7, v7, v7 :: v_dual_bitop2_b32 v9, 1, v76 bitop3:0x14
	s_delay_alu instid0(VALU_DEP_1) | instskip(SKIP_2) | instid1(VALU_DEP_2)
	v_cmp_lt_i32_e64 s1, v9, v77
	s_wait_dscnt 0x0
	v_max_num_f32_e32 v8, v8, v8
	v_cndmask_b32_e64 v9, v76, v9, s1
	s_lshl_b32 s1, s8, 4
	s_delay_alu instid0(SALU_CYCLE_1) | instskip(NEXT) | instid1(VALU_DEP_1)
	s_min_i32 s5, s1, s23
	v_dual_max_num_f32 v7, v7, v8 :: v_dual_lshlrev_b32 v92, 2, v9
	v_cmp_gt_i32_e64 s1, s5, v0
	ds_bpermute_b32 v8, v92, v7
	s_wait_dscnt 0x0
	v_max_num_f32_e32 v8, v8, v8
	s_delay_alu instid0(VALU_DEP_1)
	v_dual_max_num_f32 v7, v7, v8 :: v_dual_lshlrev_b32 v8, 2, v67
	ds_bpermute_b32 v8, v8, v7
	v_mov_b32_e32 v7, 0
	s_and_saveexec_b32 s17, s1
	s_cbranch_execz .LBB33_20
; %bb.17:
	v_lshl_add_u32 v9, v0, 2, 0x220
	v_dual_mov_b32 v7, 0 :: v_dual_mov_b32 v10, v0
	s_mov_b32 s24, 0
.LBB33_18:                              ; =>This Inner Loop Header: Depth=1
	ds_load_b32 v11, v9
	v_add_nc_u32_e32 v10, 0x80, v10
	s_delay_alu instid0(VALU_DEP_1) | instskip(SKIP_3) | instid1(VALU_DEP_1)
	v_cmp_le_i32_e64 s4, s5, v10
	s_or_b32 s24, s4, s24
	s_wait_dscnt 0x0
	v_sub_f32_e32 v11, v11, v8
	v_mul_f32_e32 v11, 0x3fb8aa3b, v11
	s_delay_alu instid0(VALU_DEP_1)
	v_exp_f32_e32 v11, v11
	ds_store_b32 v9, v11
	v_nop
	v_add_f32_e32 v7, v7, v11
	v_add_nc_u32_e32 v9, 0x200, v9
	s_and_not1_b32 exec_lo, exec_lo, s24
	s_cbranch_execnz .LBB33_18
; %bb.19:
	s_or_b32 exec_lo, exec_lo, s24
.LBB33_20:
	s_delay_alu instid0(SALU_CYCLE_1)
	s_or_b32 exec_lo, exec_lo, s17
	ds_bpermute_b32 v2, v2, v7
	s_wait_dscnt 0x0
	v_add_f32_e32 v2, v7, v2
	ds_bpermute_b32 v3, v3, v2
	s_wait_dscnt 0x0
	v_add_f32_e32 v2, v2, v3
	;; [unrolled: 3-line block ×5, first 2 shown]
	s_and_saveexec_b32 s4, vcc_lo
; %bb.21:
	ds_store_b32 v5, v2 offset:528
; %bb.22:
	s_or_b32 exec_lo, exec_lo, s4
	s_wait_dscnt 0x0
	s_barrier_signal -1
	s_barrier_wait -1
	s_and_saveexec_b32 s4, s0
; %bb.23:
	ds_load_b32 v2, v6 offset:528
; %bb.24:
	s_or_b32 exec_lo, exec_lo, s4
	s_wait_dscnt 0x0
	ds_bpermute_b32 v3, v91, v2
	s_wait_dscnt 0x0
	v_dual_lshlrev_b32 v4, 2, v76 :: v_dual_add_f32 v2, v2, v3
	ds_bpermute_b32 v3, v92, v2
	s_wait_dscnt 0x0
	v_add_f32_e32 v2, v2, v3
	v_and_b32_e32 v3, 0xffffff80, v4
	ds_bpermute_b32 v2, v3, v2
	s_and_saveexec_b32 s0, s1
	s_cbranch_execz .LBB33_37
; %bb.25:
	s_wait_dscnt 0x0
	v_add_f32_e32 v2, 0x358637bd, v2
	s_mov_b32 s4, -1
	s_mov_b32 s1, exec_lo
	s_delay_alu instid0(VALU_DEP_1) | instskip(NEXT) | instid1(VALU_DEP_1)
	v_div_scale_f32 v3, null, v2, v2, 1.0
	v_rcp_f32_e32 v5, v3
	v_nop
	s_delay_alu instid0(TRANS32_DEP_1) | instskip(NEXT) | instid1(VALU_DEP_1)
	v_fma_f32 v4, -v3, v5, 1.0
	v_fmac_f32_e32 v5, v4, v5
	v_div_scale_f32 v6, vcc_lo, 1.0, v2, 1.0
	s_delay_alu instid0(VALU_DEP_1) | instskip(NEXT) | instid1(VALU_DEP_1)
	v_mul_f32_e32 v7, v6, v5
	v_fma_f32 v4, -v3, v7, v6
	s_delay_alu instid0(VALU_DEP_1) | instskip(SKIP_1) | instid1(VALU_DEP_2)
	v_fmac_f32_e32 v7, v4, v5
	v_xad_u32 v4, v0, -1, s5
	v_fma_f32 v3, -v3, v7, v6
	s_delay_alu instid0(VALU_DEP_1) | instskip(NEXT) | instid1(VALU_DEP_1)
	v_div_fmas_f32 v3, v3, v5, v7
	v_div_fixup_f32 v2, v3, v2, 1.0
	v_mov_b32_e32 v3, v0
	v_cmpx_lt_u32_e32 0x7f, v4
	s_cbranch_execz .LBB33_34
; %bb.26:
	s_delay_alu instid0(VALU_DEP_3) | instskip(NEXT) | instid1(VALU_DEP_1)
	v_dual_mov_b32 v3, v2 :: v_dual_lshrrev_b32 v4, 7, v4
	v_dual_mov_b32 v8, 0 :: v_dual_add_nc_u32 v5, -1, v4
	s_delay_alu instid0(VALU_DEP_1) | instskip(SKIP_1) | instid1(VALU_DEP_2)
	v_lshrrev_b32_e32 v6, 1, v5
	v_cmp_lt_u32_e32 vcc_lo, 13, v5
	v_add_nc_u32_e32 v5, 1, v6
	s_and_saveexec_b32 s4, vcc_lo
	s_cbranch_execz .LBB33_30
; %bb.27:
	s_delay_alu instid0(VALU_DEP_1)
	v_and_b32_e32 v6, -8, v5
	v_lshl_add_u32 v7, v0, 2, 0x220
	s_mov_b32 s17, 0
	s_mov_b32 s24, 0
.LBB33_28:                              ; =>This Inner Loop Header: Depth=1
	ds_load_2addr_stride64_b32 v[8:9], v7 offset1:2
	ds_load_2addr_stride64_b32 v[10:11], v7 offset0:4 offset1:6
	ds_load_2addr_stride64_b32 v[12:13], v7 offset0:8 offset1:10
	;; [unrolled: 1-line block ×7, first 2 shown]
	s_add_co_i32 s24, s24, 16
	v_add_nc_u32_e32 v6, -8, v6
	s_wait_dscnt 0x7
	v_pk_mul_f32 v[8:9], v[2:3], v[8:9]
	s_wait_dscnt 0x6
	v_pk_mul_f32 v[10:11], v[2:3], v[10:11]
	;; [unrolled: 2-line block ×8, first 2 shown]
	ds_store_2addr_stride64_b32 v7, v8, v9 offset1:2
	ds_store_2addr_stride64_b32 v7, v10, v11 offset0:4 offset1:6
	ds_store_2addr_stride64_b32 v7, v12, v13 offset0:8 offset1:10
	;; [unrolled: 1-line block ×7, first 2 shown]
	v_mov_b32_e32 v8, s24
	v_cmp_eq_u32_e32 vcc_lo, 0, v6
	v_add_nc_u32_e32 v7, 0x2000, v7
	s_or_b32 s17, vcc_lo, s17
	s_delay_alu instid0(SALU_CYCLE_1)
	s_and_not1_b32 exec_lo, exec_lo, s17
	s_cbranch_execnz .LBB33_28
; %bb.29:
	s_or_b32 exec_lo, exec_lo, s17
.LBB33_30:
	s_delay_alu instid0(SALU_CYCLE_1) | instskip(NEXT) | instid1(VALU_DEP_1)
	s_or_b32 exec_lo, exec_lo, s4
	v_and_b32_e32 v5, 7, v5
	s_mov_b32 s17, 0
	s_mov_b32 s4, exec_lo
	s_delay_alu instid0(VALU_DEP_1)
	v_cmpx_ne_u32_e32 0, v5
	s_cbranch_execz .LBB33_33
; %bb.31:
	v_lshlrev_b32_e32 v6, 9, v8
	s_delay_alu instid0(VALU_DEP_1)
	v_add3_u32 v6, v6, v86, 0x220
.LBB33_32:                              ; =>This Inner Loop Header: Depth=1
	ds_load_2addr_stride64_b32 v[8:9], v6 offset1:2
	v_add_nc_u32_e32 v5, -1, v5
	s_delay_alu instid0(VALU_DEP_1)
	v_cmp_eq_u32_e32 vcc_lo, 0, v5
	s_or_b32 s17, vcc_lo, s17
	s_wait_dscnt 0x0
	v_pk_mul_f32 v[8:9], v[2:3], v[8:9]
	ds_store_2addr_stride64_b32 v6, v8, v9 offset1:2
	v_add_nc_u32_e32 v6, 0x400, v6
	s_and_not1_b32 exec_lo, exec_lo, s17
	s_cbranch_execnz .LBB33_32
.LBB33_33:
	s_or_b32 exec_lo, exec_lo, s4
	v_add_nc_u32_e32 v3, 1, v4
	s_delay_alu instid0(VALU_DEP_1) | instskip(NEXT) | instid1(VALU_DEP_1)
	v_and_b32_e32 v4, 0x3fffffe, v3
	v_cmp_ne_u32_e32 vcc_lo, v3, v4
	v_lshl_add_u32 v3, v4, 7, v0
	s_or_not1_b32 s4, vcc_lo, exec_lo
.LBB33_34:
	s_or_b32 exec_lo, exec_lo, s1
	s_delay_alu instid0(SALU_CYCLE_1)
	s_and_b32 exec_lo, exec_lo, s4
	s_cbranch_execz .LBB33_37
; %bb.35:
	v_lshl_add_u32 v4, v3, 2, 0x220
	s_mov_b32 s1, 0
.LBB33_36:                              ; =>This Inner Loop Header: Depth=1
	ds_load_b32 v5, v4
	v_add_nc_u32_e32 v3, 0x80, v3
	s_delay_alu instid0(VALU_DEP_1)
	v_cmp_le_i32_e32 vcc_lo, s5, v3
	s_or_b32 s1, vcc_lo, s1
	s_wait_dscnt 0x0
	v_mul_f32_e32 v5, v2, v5
	ds_store_b32 v4, v5
	v_add_nc_u32_e32 v4, 0x200, v4
	s_and_not1_b32 exec_lo, exec_lo, s1
	s_cbranch_execnz .LBB33_36
.LBB33_37:
	s_or_b32 exec_lo, exec_lo, s0
	v_dual_mov_b32 v71, 0 :: v_dual_bitop2_b32 v93, 3, v0 bitop3:0x40
	v_dual_mov_b32 v70, 0 :: v_dual_mov_b32 v73, 0
	v_dual_mov_b32 v72, 0 :: v_dual_mov_b32 v75, 0
	;; [unrolled: 1-line block ×7, first 2 shown]
	v_mov_b32_e32 v84, 0
	s_wait_dscnt 0x0
	s_barrier_signal -1
	s_barrier_wait -1
	s_and_saveexec_b32 s1, s3
	s_cbranch_execz .LBB33_73
; %bb.38:
	v_dual_lshlrev_b32 v2, 4, v0 :: v_dual_bitop2_b32 v3, 12, v86 bitop3:0x40
	s_ashr_i32 s17, s16, 31
	v_dual_mov_b32 v71, 0 :: v_dual_lshlrev_b32 v4, 4, v93
	s_delay_alu instid0(VALU_DEP_2)
	v_and_b32_e32 v70, 0x1f0, v2
	s_lshl_b64 s[16:17], s[16:17], 2
	s_lshl_b64 s[12:13], s[12:13], 2
	s_wait_kmcnt 0x0
	s_add_nc_u64 s[16:17], s[18:19], s[16:17]
	v_lshl_or_b32 v2, v1, 6, v4
	v_add_nc_u64_e32 v[86:87], s[16:17], v[70:71]
	v_and_b32_e32 v70, 0x7c, v88
	s_add_nc_u64 s[12:13], s[14:15], s[12:13]
	v_lshl_or_b32 v94, v1, 4, v3
	v_add_nc_u32_e32 v95, 0x220, v2
	v_dual_mov_b32 v73, v71 :: v_dual_mov_b32 v72, v71
	v_add_nc_u64_e32 v[88:89], s[12:13], v[70:71]
	v_dual_mov_b32 v70, v71 :: v_dual_mov_b32 v75, v71
	v_dual_mov_b32 v74, v71 :: v_dual_mov_b32 v77, v71
	;; [unrolled: 1-line block ×7, first 2 shown]
	s_ashr_i32 s5, s9, 31
	s_mov_b32 s4, s9
	s_add_co_i32 s3, s8, -1
	s_mov_b32 s12, s23
	s_mov_b32 s9, 0
	s_branch .LBB33_40
.LBB33_39:                              ;   in Loop: Header=BB33_40 Depth=1
	s_or_b32 exec_lo, exec_lo, s0
	s_wait_loadcnt_dscnt 0x200
	v_mul_f32_e32 v62, v6, v62
	s_wait_loadcnt 0x1
	v_mul_f32_e32 v66, v6, v66
	v_add_nc_u64_e32 v[88:89], 16, v[88:89]
	v_mul_f32_e32 v38, v6, v38
	v_dual_mul_f32 v22, v6, v22 :: v_dual_fmac_f32 v62, v7, v63
	s_delay_alu instid0(VALU_DEP_4) | instskip(NEXT) | instid1(VALU_DEP_3)
	v_dual_fmac_f32 v66, v7, v67 :: v_dual_mul_f32 v54, v6, v54
	v_dual_mul_f32 v46, v6, v46 :: v_dual_fmac_f32 v38, v7, v39
	s_delay_alu instid0(VALU_DEP_3) | instskip(NEXT) | instid1(VALU_DEP_3)
	v_fmac_f32_e32 v62, v8, v64
	v_dual_fmac_f32 v66, v8, v68 :: v_dual_mul_f32 v50, v6, v50
	s_delay_alu instid0(VALU_DEP_4) | instskip(SKIP_1) | instid1(VALU_DEP_3)
	v_dual_fmac_f32 v54, v7, v55 :: v_dual_mul_f32 v42, v6, v42
	v_dual_fmac_f32 v22, v7, v23 :: v_dual_mul_f32 v14, v6, v14
	v_fmac_f32_e32 v66, v9, v69
	v_fmac_f32_e32 v46, v7, v47
	v_dual_fmac_f32 v50, v7, v51 :: v_dual_mul_f32 v26, v6, v26
	v_mul_f32_e32 v23, v6, v18
	s_delay_alu instid0(VALU_DEP_3) | instskip(SKIP_2) | instid1(VALU_DEP_3)
	v_dual_add_f32 v70, v70, v66 :: v_dual_fmac_f32 v46, v8, v48
	v_dual_fmac_f32 v22, v8, v24 :: v_dual_mul_f32 v30, v6, v30
	v_dual_fmac_f32 v14, v7, v15 :: v_dual_add_nc_u32 v96, 4, v96
	v_fmac_f32_e32 v46, v9, v49
	v_fmac_f32_e32 v50, v8, v52
	s_delay_alu instid0(VALU_DEP_4) | instskip(SKIP_2) | instid1(VALU_DEP_4)
	v_fmac_f32_e32 v22, v9, v25
	v_fmac_f32_e32 v26, v7, v27
	v_cmp_le_i32_e32 vcc_lo, s8, v96
	v_dual_add_f32 v74, v74, v46 :: v_dual_fmac_f32 v50, v9, v53
	v_fmac_f32_e32 v54, v8, v56
	v_add_f32_e32 v80, v80, v22
	v_dual_fmac_f32 v26, v8, v28 :: v_dual_mul_f32 v34, v6, v34
	s_delay_alu instid0(VALU_DEP_3) | instskip(SKIP_2) | instid1(VALU_DEP_3)
	v_dual_add_f32 v75, v75, v50 :: v_dual_fmac_f32 v54, v9, v57
	v_fmac_f32_e32 v62, v9, v65
	s_or_b32 s9, vcc_lo, s9
	v_fmac_f32_e32 v26, v9, v29
	s_delay_alu instid0(VALU_DEP_3) | instskip(NEXT) | instid1(VALU_DEP_3)
	v_dual_fmac_f32 v30, v7, v31 :: v_dual_add_f32 v72, v72, v54
	v_dual_fmac_f32 v42, v7, v43 :: v_dual_add_f32 v73, v73, v62
	s_delay_alu instid0(VALU_DEP_2) | instskip(NEXT) | instid1(VALU_DEP_2)
	v_dual_add_f32 v81, v81, v26 :: v_dual_fmac_f32 v30, v8, v32
	v_dual_mul_f32 v22, v6, v2 :: v_dual_fmac_f32 v42, v8, v44
	v_dual_mul_f32 v10, v6, v10 :: v_dual_fmac_f32 v23, v7, v19
	s_wait_loadcnt 0x0
	v_pk_mul_f32 v[18:19], v[6:7], v[58:59]
	s_delay_alu instid0(VALU_DEP_3)
	v_fmac_f32_e32 v22, v7, v3
	v_pk_mul_f32 v[2:3], v[8:9], v[60:61]
	v_fmac_f32_e32 v30, v9, v33
	v_fmac_f32_e32 v34, v7, v35
	v_dual_add_f32 v6, v19, v18 :: v_dual_fmac_f32 v23, v8, v20
	v_add_nc_u32_e32 v94, 64, v94
	s_delay_alu instid0(VALU_DEP_3) | instskip(NEXT) | instid1(VALU_DEP_3)
	v_dual_add_f32 v78, v78, v30 :: v_dual_fmac_f32 v34, v8, v36
	v_dual_add_f32 v2, v2, v6 :: v_dual_fmac_f32 v23, v9, v21
	s_delay_alu instid0(VALU_DEP_2) | instskip(NEXT) | instid1(VALU_DEP_2)
	v_dual_fmac_f32 v34, v9, v37 :: v_dual_add_nc_u32 v95, 0x100, v95
	v_dual_fmac_f32 v38, v8, v40 :: v_dual_add_f32 v2, v3, v2
	s_delay_alu instid0(VALU_DEP_3) | instskip(NEXT) | instid1(VALU_DEP_2)
	v_dual_fmac_f32 v14, v8, v16 :: v_dual_add_f32 v83, v83, v23
	v_dual_add_f32 v79, v79, v34 :: v_dual_fmac_f32 v38, v9, v41
	s_delay_alu instid0(VALU_DEP_2) | instskip(SKIP_1) | instid1(VALU_DEP_3)
	v_dual_add_f32 v71, v71, v2 :: v_dual_fmac_f32 v14, v9, v17
	v_fmac_f32_e32 v10, v7, v11
	v_dual_fmac_f32 v42, v9, v45 :: v_dual_add_f32 v76, v76, v38
	s_delay_alu instid0(VALU_DEP_2) | instskip(NEXT) | instid1(VALU_DEP_2)
	v_dual_add_f32 v82, v82, v14 :: v_dual_fmac_f32 v10, v8, v12
	v_add_f32_e32 v77, v77, v42
	s_delay_alu instid0(VALU_DEP_2) | instskip(NEXT) | instid1(VALU_DEP_1)
	v_fmac_f32_e32 v10, v9, v13
	v_dual_add_f32 v85, v85, v10 :: v_dual_fmac_f32 v22, v8, v4
	s_delay_alu instid0(VALU_DEP_1) | instskip(NEXT) | instid1(VALU_DEP_1)
	v_fmac_f32_e32 v22, v9, v5
	v_add_f32_e32 v84, v84, v22
	s_and_not1_b32 exec_lo, exec_lo, s9
	s_cbranch_execz .LBB33_72
.LBB33_40:                              ; =>This Inner Loop Header: Depth=1
	global_load_b32 v2, v[88:89], off
	ds_load_b128 v[6:9], v95
	v_cmp_eq_u32_e32 vcc_lo, s3, v96
	v_dual_add_nc_u32 v99, 1, v94 :: v_dual_bitop2_b32 v98, 3, v94 bitop3:0x54
	v_or_b32_e32 v97, 2, v94
	s_wait_loadcnt 0x0
	v_ashrrev_i32_e32 v3, 31, v2
	s_delay_alu instid0(VALU_DEP_1) | instskip(NEXT) | instid1(VALU_DEP_1)
	v_mul_u64_e32 v[2:3], s[4:5], v[2:3]
	v_lshl_add_u64 v[58:59], v[2:3], 2, v[86:87]
	global_load_b128 v[2:5], v[58:59], off
	s_wait_xcnt 0x0
	s_and_saveexec_b32 s13, vcc_lo
	s_cbranch_execnz .LBB33_56
; %bb.41:                               ;   in Loop: Header=BB33_40 Depth=1
	s_or_b32 exec_lo, exec_lo, s13
	global_load_b128 v[10:13], v[58:59], off offset:512
	s_wait_xcnt 0x0
	s_and_saveexec_b32 s13, vcc_lo
	s_cbranch_execnz .LBB33_57
.LBB33_42:                              ;   in Loop: Header=BB33_40 Depth=1
	s_or_b32 exec_lo, exec_lo, s13
	global_load_b128 v[14:17], v[58:59], off offset:1024
	s_wait_xcnt 0x0
	s_and_saveexec_b32 s13, vcc_lo
	s_cbranch_execnz .LBB33_58
.LBB33_43:                              ;   in Loop: Header=BB33_40 Depth=1
	s_or_b32 exec_lo, exec_lo, s13
	global_load_b128 v[18:21], v[58:59], off offset:1536
	s_wait_xcnt 0x0
	s_and_saveexec_b32 s13, vcc_lo
	s_cbranch_execnz .LBB33_59
.LBB33_44:                              ;   in Loop: Header=BB33_40 Depth=1
	s_or_b32 exec_lo, exec_lo, s13
	global_load_b128 v[22:25], v[58:59], off offset:2048
	s_wait_xcnt 0x0
	s_and_saveexec_b32 s13, vcc_lo
	s_cbranch_execnz .LBB33_60
.LBB33_45:                              ;   in Loop: Header=BB33_40 Depth=1
	s_or_b32 exec_lo, exec_lo, s13
	global_load_b128 v[26:29], v[58:59], off offset:2560
	s_wait_xcnt 0x0
	s_and_saveexec_b32 s13, vcc_lo
	s_cbranch_execnz .LBB33_61
.LBB33_46:                              ;   in Loop: Header=BB33_40 Depth=1
	s_or_b32 exec_lo, exec_lo, s13
	global_load_b128 v[30:33], v[58:59], off offset:3072
	s_wait_xcnt 0x0
	s_and_saveexec_b32 s13, vcc_lo
	s_cbranch_execnz .LBB33_62
.LBB33_47:                              ;   in Loop: Header=BB33_40 Depth=1
	s_or_b32 exec_lo, exec_lo, s13
	global_load_b128 v[34:37], v[58:59], off offset:3584
	s_wait_xcnt 0x0
	s_and_saveexec_b32 s13, vcc_lo
	s_cbranch_execnz .LBB33_63
.LBB33_48:                              ;   in Loop: Header=BB33_40 Depth=1
	s_or_b32 exec_lo, exec_lo, s13
	global_load_b128 v[38:41], v[58:59], off offset:4096
	s_wait_xcnt 0x0
	s_and_saveexec_b32 s13, vcc_lo
	s_cbranch_execnz .LBB33_64
.LBB33_49:                              ;   in Loop: Header=BB33_40 Depth=1
	s_or_b32 exec_lo, exec_lo, s13
	global_load_b128 v[42:45], v[58:59], off offset:4608
	s_wait_xcnt 0x0
	s_and_saveexec_b32 s13, vcc_lo
	s_cbranch_execnz .LBB33_65
.LBB33_50:                              ;   in Loop: Header=BB33_40 Depth=1
	s_or_b32 exec_lo, exec_lo, s13
	global_load_b128 v[46:49], v[58:59], off offset:5120
	s_wait_xcnt 0x0
	s_and_saveexec_b32 s13, vcc_lo
	s_cbranch_execnz .LBB33_66
.LBB33_51:                              ;   in Loop: Header=BB33_40 Depth=1
	s_or_b32 exec_lo, exec_lo, s13
	global_load_b128 v[50:53], v[58:59], off offset:5632
	s_wait_xcnt 0x0
	s_and_saveexec_b32 s13, vcc_lo
	s_cbranch_execnz .LBB33_67
.LBB33_52:                              ;   in Loop: Header=BB33_40 Depth=1
	s_or_b32 exec_lo, exec_lo, s13
	global_load_b128 v[54:57], v[58:59], off offset:6144
	s_wait_xcnt 0x0
	s_and_saveexec_b32 s13, vcc_lo
	s_cbranch_execnz .LBB33_68
.LBB33_53:                              ;   in Loop: Header=BB33_40 Depth=1
	s_or_b32 exec_lo, exec_lo, s13
	global_load_b128 v[62:65], v[58:59], off offset:6656
	s_wait_xcnt 0x0
	s_and_saveexec_b32 s13, vcc_lo
	s_cbranch_execnz .LBB33_69
.LBB33_54:                              ;   in Loop: Header=BB33_40 Depth=1
	s_or_b32 exec_lo, exec_lo, s13
	global_load_b128 v[66:69], v[58:59], off offset:7168
	s_wait_xcnt 0x0
	s_and_saveexec_b32 s13, vcc_lo
	s_cbranch_execnz .LBB33_70
.LBB33_55:                              ;   in Loop: Header=BB33_40 Depth=1
	s_or_b32 exec_lo, exec_lo, s13
	global_load_b128 v[58:61], v[58:59], off offset:7680
	s_wait_xcnt 0x0
	s_and_saveexec_b32 s0, vcc_lo
	s_cbranch_execz .LBB33_39
	s_branch .LBB33_71
.LBB33_56:                              ;   in Loop: Header=BB33_40 Depth=1
	v_cmp_gt_i32_e64 s0, s12, v99
	s_wait_loadcnt 0x0
	s_delay_alu instid0(VALU_DEP_1) | instskip(SKIP_1) | instid1(VALU_DEP_1)
	v_cndmask_b32_e64 v3, 0, v3, s0
	v_cmp_gt_i32_e64 s0, s23, v94
	v_cndmask_b32_e64 v2, 0, v2, s0
	v_cmp_gt_i32_e64 s0, s12, v98
	s_delay_alu instid0(VALU_DEP_1) | instskip(SKIP_1) | instid1(VALU_DEP_1)
	v_cndmask_b32_e64 v5, 0, v5, s0
	v_cmp_gt_i32_e64 s0, s23, v97
	v_cndmask_b32_e64 v4, 0, v4, s0
	s_or_b32 exec_lo, exec_lo, s13
	global_load_b128 v[10:13], v[58:59], off offset:512
	s_wait_xcnt 0x0
	s_and_saveexec_b32 s13, vcc_lo
	s_cbranch_execz .LBB33_42
.LBB33_57:                              ;   in Loop: Header=BB33_40 Depth=1
	v_cmp_gt_i32_e64 s0, s12, v99
	s_wait_loadcnt 0x0
	s_delay_alu instid0(VALU_DEP_1) | instskip(SKIP_1) | instid1(VALU_DEP_1)
	v_cndmask_b32_e64 v11, 0, v11, s0
	v_cmp_gt_i32_e64 s0, s23, v94
	v_cndmask_b32_e64 v10, 0, v10, s0
	v_cmp_gt_i32_e64 s0, s12, v98
	s_delay_alu instid0(VALU_DEP_1) | instskip(SKIP_1) | instid1(VALU_DEP_1)
	v_cndmask_b32_e64 v13, 0, v13, s0
	v_cmp_gt_i32_e64 s0, s23, v97
	v_cndmask_b32_e64 v12, 0, v12, s0
	s_or_b32 exec_lo, exec_lo, s13
	global_load_b128 v[14:17], v[58:59], off offset:1024
	s_wait_xcnt 0x0
	s_and_saveexec_b32 s13, vcc_lo
	s_cbranch_execz .LBB33_43
.LBB33_58:                              ;   in Loop: Header=BB33_40 Depth=1
	v_cmp_gt_i32_e64 s0, s12, v99
	s_wait_loadcnt 0x0
	s_delay_alu instid0(VALU_DEP_1) | instskip(SKIP_1) | instid1(VALU_DEP_1)
	v_cndmask_b32_e64 v15, 0, v15, s0
	v_cmp_gt_i32_e64 s0, s23, v94
	v_cndmask_b32_e64 v14, 0, v14, s0
	v_cmp_gt_i32_e64 s0, s12, v98
	s_delay_alu instid0(VALU_DEP_1) | instskip(SKIP_1) | instid1(VALU_DEP_1)
	v_cndmask_b32_e64 v17, 0, v17, s0
	v_cmp_gt_i32_e64 s0, s23, v97
	v_cndmask_b32_e64 v16, 0, v16, s0
	s_or_b32 exec_lo, exec_lo, s13
	global_load_b128 v[18:21], v[58:59], off offset:1536
	s_wait_xcnt 0x0
	s_and_saveexec_b32 s13, vcc_lo
	s_cbranch_execz .LBB33_44
.LBB33_59:                              ;   in Loop: Header=BB33_40 Depth=1
	v_cmp_gt_i32_e64 s0, s12, v99
	s_wait_loadcnt 0x0
	s_delay_alu instid0(VALU_DEP_1) | instskip(SKIP_1) | instid1(VALU_DEP_1)
	v_cndmask_b32_e64 v19, 0, v19, s0
	v_cmp_gt_i32_e64 s0, s23, v94
	v_cndmask_b32_e64 v18, 0, v18, s0
	v_cmp_gt_i32_e64 s0, s12, v98
	s_delay_alu instid0(VALU_DEP_1) | instskip(SKIP_1) | instid1(VALU_DEP_1)
	v_cndmask_b32_e64 v21, 0, v21, s0
	v_cmp_gt_i32_e64 s0, s23, v97
	v_cndmask_b32_e64 v20, 0, v20, s0
	s_or_b32 exec_lo, exec_lo, s13
	global_load_b128 v[22:25], v[58:59], off offset:2048
	s_wait_xcnt 0x0
	s_and_saveexec_b32 s13, vcc_lo
	s_cbranch_execz .LBB33_45
.LBB33_60:                              ;   in Loop: Header=BB33_40 Depth=1
	v_cmp_gt_i32_e64 s0, s12, v99
	s_wait_loadcnt 0x0
	s_delay_alu instid0(VALU_DEP_1) | instskip(SKIP_1) | instid1(VALU_DEP_1)
	v_cndmask_b32_e64 v23, 0, v23, s0
	v_cmp_gt_i32_e64 s0, s23, v94
	v_cndmask_b32_e64 v22, 0, v22, s0
	v_cmp_gt_i32_e64 s0, s12, v98
	s_delay_alu instid0(VALU_DEP_1) | instskip(SKIP_1) | instid1(VALU_DEP_1)
	v_cndmask_b32_e64 v25, 0, v25, s0
	v_cmp_gt_i32_e64 s0, s23, v97
	v_cndmask_b32_e64 v24, 0, v24, s0
	s_or_b32 exec_lo, exec_lo, s13
	global_load_b128 v[26:29], v[58:59], off offset:2560
	s_wait_xcnt 0x0
	s_and_saveexec_b32 s13, vcc_lo
	s_cbranch_execz .LBB33_46
.LBB33_61:                              ;   in Loop: Header=BB33_40 Depth=1
	v_cmp_gt_i32_e64 s0, s12, v99
	s_wait_loadcnt 0x0
	s_delay_alu instid0(VALU_DEP_1) | instskip(SKIP_1) | instid1(VALU_DEP_1)
	v_cndmask_b32_e64 v27, 0, v27, s0
	v_cmp_gt_i32_e64 s0, s23, v94
	v_cndmask_b32_e64 v26, 0, v26, s0
	v_cmp_gt_i32_e64 s0, s12, v98
	s_delay_alu instid0(VALU_DEP_1) | instskip(SKIP_1) | instid1(VALU_DEP_1)
	v_cndmask_b32_e64 v29, 0, v29, s0
	v_cmp_gt_i32_e64 s0, s23, v97
	v_cndmask_b32_e64 v28, 0, v28, s0
	s_or_b32 exec_lo, exec_lo, s13
	global_load_b128 v[30:33], v[58:59], off offset:3072
	s_wait_xcnt 0x0
	s_and_saveexec_b32 s13, vcc_lo
	s_cbranch_execz .LBB33_47
.LBB33_62:                              ;   in Loop: Header=BB33_40 Depth=1
	v_cmp_gt_i32_e64 s0, s12, v99
	s_wait_loadcnt 0x0
	s_delay_alu instid0(VALU_DEP_1) | instskip(SKIP_1) | instid1(VALU_DEP_1)
	v_cndmask_b32_e64 v31, 0, v31, s0
	v_cmp_gt_i32_e64 s0, s23, v94
	v_cndmask_b32_e64 v30, 0, v30, s0
	v_cmp_gt_i32_e64 s0, s12, v98
	s_delay_alu instid0(VALU_DEP_1) | instskip(SKIP_1) | instid1(VALU_DEP_1)
	v_cndmask_b32_e64 v33, 0, v33, s0
	v_cmp_gt_i32_e64 s0, s23, v97
	v_cndmask_b32_e64 v32, 0, v32, s0
	s_or_b32 exec_lo, exec_lo, s13
	global_load_b128 v[34:37], v[58:59], off offset:3584
	s_wait_xcnt 0x0
	s_and_saveexec_b32 s13, vcc_lo
	s_cbranch_execz .LBB33_48
.LBB33_63:                              ;   in Loop: Header=BB33_40 Depth=1
	v_cmp_gt_i32_e64 s0, s12, v99
	s_wait_loadcnt 0x0
	s_delay_alu instid0(VALU_DEP_1) | instskip(SKIP_1) | instid1(VALU_DEP_1)
	v_cndmask_b32_e64 v35, 0, v35, s0
	v_cmp_gt_i32_e64 s0, s23, v94
	v_cndmask_b32_e64 v34, 0, v34, s0
	v_cmp_gt_i32_e64 s0, s12, v98
	s_delay_alu instid0(VALU_DEP_1) | instskip(SKIP_1) | instid1(VALU_DEP_1)
	v_cndmask_b32_e64 v37, 0, v37, s0
	v_cmp_gt_i32_e64 s0, s23, v97
	v_cndmask_b32_e64 v36, 0, v36, s0
	s_or_b32 exec_lo, exec_lo, s13
	global_load_b128 v[38:41], v[58:59], off offset:4096
	s_wait_xcnt 0x0
	s_and_saveexec_b32 s13, vcc_lo
	s_cbranch_execz .LBB33_49
.LBB33_64:                              ;   in Loop: Header=BB33_40 Depth=1
	v_cmp_gt_i32_e64 s0, s12, v99
	s_wait_loadcnt 0x0
	s_delay_alu instid0(VALU_DEP_1) | instskip(SKIP_1) | instid1(VALU_DEP_1)
	v_cndmask_b32_e64 v39, 0, v39, s0
	v_cmp_gt_i32_e64 s0, s23, v94
	v_cndmask_b32_e64 v38, 0, v38, s0
	v_cmp_gt_i32_e64 s0, s12, v98
	s_delay_alu instid0(VALU_DEP_1) | instskip(SKIP_1) | instid1(VALU_DEP_1)
	v_cndmask_b32_e64 v41, 0, v41, s0
	v_cmp_gt_i32_e64 s0, s23, v97
	v_cndmask_b32_e64 v40, 0, v40, s0
	s_or_b32 exec_lo, exec_lo, s13
	global_load_b128 v[42:45], v[58:59], off offset:4608
	s_wait_xcnt 0x0
	s_and_saveexec_b32 s13, vcc_lo
	s_cbranch_execz .LBB33_50
.LBB33_65:                              ;   in Loop: Header=BB33_40 Depth=1
	v_cmp_gt_i32_e64 s0, s12, v99
	s_wait_loadcnt 0x0
	s_delay_alu instid0(VALU_DEP_1) | instskip(SKIP_1) | instid1(VALU_DEP_1)
	v_cndmask_b32_e64 v43, 0, v43, s0
	v_cmp_gt_i32_e64 s0, s23, v94
	v_cndmask_b32_e64 v42, 0, v42, s0
	v_cmp_gt_i32_e64 s0, s12, v98
	s_delay_alu instid0(VALU_DEP_1) | instskip(SKIP_1) | instid1(VALU_DEP_1)
	v_cndmask_b32_e64 v45, 0, v45, s0
	v_cmp_gt_i32_e64 s0, s23, v97
	v_cndmask_b32_e64 v44, 0, v44, s0
	s_or_b32 exec_lo, exec_lo, s13
	global_load_b128 v[46:49], v[58:59], off offset:5120
	s_wait_xcnt 0x0
	s_and_saveexec_b32 s13, vcc_lo
	s_cbranch_execz .LBB33_51
.LBB33_66:                              ;   in Loop: Header=BB33_40 Depth=1
	v_cmp_gt_i32_e64 s0, s12, v99
	s_wait_loadcnt 0x0
	s_delay_alu instid0(VALU_DEP_1) | instskip(SKIP_1) | instid1(VALU_DEP_1)
	v_cndmask_b32_e64 v47, 0, v47, s0
	v_cmp_gt_i32_e64 s0, s23, v94
	v_cndmask_b32_e64 v46, 0, v46, s0
	v_cmp_gt_i32_e64 s0, s12, v98
	s_delay_alu instid0(VALU_DEP_1) | instskip(SKIP_1) | instid1(VALU_DEP_1)
	v_cndmask_b32_e64 v49, 0, v49, s0
	v_cmp_gt_i32_e64 s0, s23, v97
	v_cndmask_b32_e64 v48, 0, v48, s0
	s_or_b32 exec_lo, exec_lo, s13
	global_load_b128 v[50:53], v[58:59], off offset:5632
	s_wait_xcnt 0x0
	s_and_saveexec_b32 s13, vcc_lo
	s_cbranch_execz .LBB33_52
.LBB33_67:                              ;   in Loop: Header=BB33_40 Depth=1
	v_cmp_gt_i32_e64 s0, s12, v99
	s_wait_loadcnt 0x0
	s_delay_alu instid0(VALU_DEP_1) | instskip(SKIP_1) | instid1(VALU_DEP_1)
	v_cndmask_b32_e64 v51, 0, v51, s0
	v_cmp_gt_i32_e64 s0, s23, v94
	v_cndmask_b32_e64 v50, 0, v50, s0
	v_cmp_gt_i32_e64 s0, s12, v98
	s_delay_alu instid0(VALU_DEP_1) | instskip(SKIP_1) | instid1(VALU_DEP_1)
	v_cndmask_b32_e64 v53, 0, v53, s0
	v_cmp_gt_i32_e64 s0, s23, v97
	v_cndmask_b32_e64 v52, 0, v52, s0
	s_or_b32 exec_lo, exec_lo, s13
	global_load_b128 v[54:57], v[58:59], off offset:6144
	s_wait_xcnt 0x0
	s_and_saveexec_b32 s13, vcc_lo
	s_cbranch_execz .LBB33_53
.LBB33_68:                              ;   in Loop: Header=BB33_40 Depth=1
	v_cmp_gt_i32_e64 s0, s12, v99
	s_wait_loadcnt 0x0
	s_delay_alu instid0(VALU_DEP_1) | instskip(SKIP_1) | instid1(VALU_DEP_1)
	v_cndmask_b32_e64 v55, 0, v55, s0
	v_cmp_gt_i32_e64 s0, s23, v94
	v_cndmask_b32_e64 v54, 0, v54, s0
	v_cmp_gt_i32_e64 s0, s12, v98
	s_delay_alu instid0(VALU_DEP_1) | instskip(SKIP_1) | instid1(VALU_DEP_1)
	v_cndmask_b32_e64 v57, 0, v57, s0
	v_cmp_gt_i32_e64 s0, s23, v97
	v_cndmask_b32_e64 v56, 0, v56, s0
	s_or_b32 exec_lo, exec_lo, s13
	global_load_b128 v[62:65], v[58:59], off offset:6656
	s_wait_xcnt 0x0
	s_and_saveexec_b32 s13, vcc_lo
	s_cbranch_execz .LBB33_54
.LBB33_69:                              ;   in Loop: Header=BB33_40 Depth=1
	v_cmp_gt_i32_e64 s0, s12, v99
	s_wait_loadcnt 0x0
	s_delay_alu instid0(VALU_DEP_1) | instskip(SKIP_1) | instid1(VALU_DEP_1)
	v_cndmask_b32_e64 v63, 0, v63, s0
	v_cmp_gt_i32_e64 s0, s23, v94
	v_cndmask_b32_e64 v62, 0, v62, s0
	v_cmp_gt_i32_e64 s0, s12, v98
	s_delay_alu instid0(VALU_DEP_1) | instskip(SKIP_1) | instid1(VALU_DEP_1)
	v_cndmask_b32_e64 v65, 0, v65, s0
	v_cmp_gt_i32_e64 s0, s23, v97
	v_cndmask_b32_e64 v64, 0, v64, s0
	s_or_b32 exec_lo, exec_lo, s13
	global_load_b128 v[66:69], v[58:59], off offset:7168
	s_wait_xcnt 0x0
	s_and_saveexec_b32 s13, vcc_lo
	s_cbranch_execz .LBB33_55
.LBB33_70:                              ;   in Loop: Header=BB33_40 Depth=1
	v_cmp_gt_i32_e64 s0, s12, v99
	s_wait_loadcnt 0x0
	s_delay_alu instid0(VALU_DEP_1) | instskip(SKIP_1) | instid1(VALU_DEP_1)
	v_cndmask_b32_e64 v67, 0, v67, s0
	v_cmp_gt_i32_e64 s0, s23, v94
	v_cndmask_b32_e64 v66, 0, v66, s0
	v_cmp_gt_i32_e64 s0, s12, v98
	s_delay_alu instid0(VALU_DEP_1) | instskip(SKIP_1) | instid1(VALU_DEP_1)
	v_cndmask_b32_e64 v69, 0, v69, s0
	v_cmp_gt_i32_e64 s0, s23, v97
	v_cndmask_b32_e64 v68, 0, v68, s0
	s_or_b32 exec_lo, exec_lo, s13
	global_load_b128 v[58:61], v[58:59], off offset:7680
	s_wait_xcnt 0x0
	s_and_saveexec_b32 s0, vcc_lo
	s_cbranch_execz .LBB33_39
.LBB33_71:                              ;   in Loop: Header=BB33_40 Depth=1
	v_cmp_gt_i32_e32 vcc_lo, s12, v99
	s_wait_loadcnt 0x0
	v_cndmask_b32_e32 v59, 0, v59, vcc_lo
	v_cmp_gt_i32_e32 vcc_lo, s23, v94
	v_cndmask_b32_e32 v58, 0, v58, vcc_lo
	v_cmp_gt_i32_e32 vcc_lo, s12, v98
	v_cndmask_b32_e32 v61, 0, v61, vcc_lo
	v_cmp_gt_i32_e32 vcc_lo, s23, v97
	v_cndmask_b32_e32 v60, 0, v60, vcc_lo
	s_branch .LBB33_39
.LBB33_72:
	s_or_b32 exec_lo, exec_lo, s9
.LBB33_73:
	s_delay_alu instid0(SALU_CYCLE_1)
	s_or_b32 exec_lo, exec_lo, s1
	ds_bpermute_b32 v2, v91, v84
	ds_bpermute_b32 v3, v91, v85
	;; [unrolled: 1-line block ×16, first 2 shown]
	v_and_b32_e32 v40, 0x3c3, v0
	s_mov_b32 s0, exec_lo
	s_wait_dscnt 0x0
	s_barrier_signal -1
	s_barrier_wait -1
	v_pk_add_f32 v[2:3], v[84:85], v[2:3]
	v_pk_add_f32 v[4:5], v[82:83], v[4:5]
	;; [unrolled: 1-line block ×3, first 2 shown]
	ds_bpermute_b32 v20, v92, v2
	v_pk_add_f32 v[8:9], v[78:79], v[8:9]
	ds_bpermute_b32 v21, v92, v3
	v_pk_add_f32 v[26:27], v[76:77], v[10:11]
	;; [unrolled: 2-line block ×4, first 2 shown]
	ds_bpermute_b32 v24, v92, v6
	ds_bpermute_b32 v25, v92, v7
	;; [unrolled: 1-line block ×10, first 2 shown]
	v_pk_add_f32 v[16:17], v[70:71], v[16:17]
	s_wait_dscnt 0xc
	v_pk_add_f32 v[14:15], v[2:3], v[20:21]
	ds_bpermute_b32 v18, v92, v16
	ds_bpermute_b32 v19, v92, v17
	v_and_b32_e32 v20, 28, v90
	s_wait_dscnt 0xc
	v_pk_add_f32 v[12:13], v[4:5], v[22:23]
	s_wait_dscnt 0xa
	v_pk_add_f32 v[10:11], v[6:7], v[24:25]
	;; [unrolled: 2-line block ×6, first 2 shown]
	v_cmpx_ne_u32_e32 64, v40
	s_xor_b32 s0, exec_lo, s0
	s_delay_alu instid0(SALU_CYCLE_1)
	s_or_saveexec_b32 s0, s0
	s_wait_dscnt 0x0
	v_pk_add_f32 v[16:17], v[16:17], v[18:19]
	v_dual_lshrrev_b32 v19, 2, v90 :: v_dual_lshlrev_b32 v1, 9, v1
	v_add_nc_u32_e32 v18, 0x220, v20
	s_xor_b32 exec_lo, exec_lo, s0
	s_cbranch_execz .LBB33_75
; %bb.74:
	s_delay_alu instid0(VALU_DEP_1) | instskip(NEXT) | instid1(VALU_DEP_1)
	v_add_nc_u32_e32 v20, v18, v1
	v_add_nc_u32_e32 v21, 0xfffffc00, v20
	;; [unrolled: 1-line block ×9, first 2 shown]
	ds_store_b32 v21, v14
	ds_store_b32 v22, v15
	ds_store_b32 v23, v12
	ds_store_b32 v24, v13
	ds_store_b32 v25, v10
	ds_store_b32 v26, v11
	ds_store_b32 v27, v8
	ds_store_b32 v28, v9
	v_add_nc_u32_e32 v21, 0xfffffd00, v20
	v_add_nc_u32_e32 v22, 0xfffffd20, v20
	;; [unrolled: 1-line block ×8, first 2 shown]
	ds_store_b32 v21, v6
	ds_store_b32 v22, v7
	;; [unrolled: 1-line block ×8, first 2 shown]
.LBB33_75:
	s_or_b32 exec_lo, exec_lo, s0
	v_lshlrev_b32_e32 v19, 2, v19
	v_cmp_eq_u32_e32 vcc_lo, 0, v93
	s_wait_dscnt 0x0
	s_barrier_signal -1
	s_barrier_wait -1
	v_add3_u32 v1, 0x220, v1, v19
	s_and_saveexec_b32 s0, s2
	s_cbranch_execz .LBB33_94
; %bb.76:
	s_and_saveexec_b32 s1, vcc_lo
	s_cbranch_execnz .LBB33_118
; %bb.77:
	s_or_b32 exec_lo, exec_lo, s1
	s_and_saveexec_b32 s1, vcc_lo
	s_cbranch_execnz .LBB33_119
.LBB33_78:
	s_or_b32 exec_lo, exec_lo, s1
	s_and_saveexec_b32 s1, vcc_lo
	s_cbranch_execnz .LBB33_120
.LBB33_79:
	s_or_b32 exec_lo, exec_lo, s1
	s_and_saveexec_b32 s1, vcc_lo
	s_cbranch_execnz .LBB33_121
.LBB33_80:
	s_or_b32 exec_lo, exec_lo, s1
	s_and_saveexec_b32 s1, vcc_lo
	s_cbranch_execnz .LBB33_122
.LBB33_81:
	s_or_b32 exec_lo, exec_lo, s1
	s_and_saveexec_b32 s1, vcc_lo
	s_cbranch_execnz .LBB33_123
.LBB33_82:
	s_or_b32 exec_lo, exec_lo, s1
	s_and_saveexec_b32 s1, vcc_lo
	s_cbranch_execnz .LBB33_124
.LBB33_83:
	s_or_b32 exec_lo, exec_lo, s1
	s_and_saveexec_b32 s1, vcc_lo
	s_cbranch_execnz .LBB33_125
.LBB33_84:
	s_or_b32 exec_lo, exec_lo, s1
	s_and_saveexec_b32 s1, vcc_lo
	s_cbranch_execnz .LBB33_126
.LBB33_85:
	s_or_b32 exec_lo, exec_lo, s1
	s_and_saveexec_b32 s1, vcc_lo
	s_cbranch_execnz .LBB33_127
.LBB33_86:
	s_or_b32 exec_lo, exec_lo, s1
	s_and_saveexec_b32 s1, vcc_lo
	s_cbranch_execnz .LBB33_128
.LBB33_87:
	s_or_b32 exec_lo, exec_lo, s1
	s_and_saveexec_b32 s1, vcc_lo
	s_cbranch_execnz .LBB33_129
.LBB33_88:
	s_or_b32 exec_lo, exec_lo, s1
	s_and_saveexec_b32 s1, vcc_lo
	s_cbranch_execnz .LBB33_130
.LBB33_89:
	s_or_b32 exec_lo, exec_lo, s1
	s_and_saveexec_b32 s1, vcc_lo
	s_cbranch_execnz .LBB33_131
.LBB33_90:
	s_or_b32 exec_lo, exec_lo, s1
	s_and_saveexec_b32 s1, vcc_lo
	s_cbranch_execnz .LBB33_132
.LBB33_91:
	s_or_b32 exec_lo, exec_lo, s1
	s_and_saveexec_b32 s1, vcc_lo
	s_cbranch_execz .LBB33_93
.LBB33_92:
	ds_load_b32 v19, v1 offset:480
	s_wait_dscnt 0x0
	v_add_f32_e32 v17, v17, v19
.LBB33_93:
	s_or_b32 exec_lo, exec_lo, s1
.LBB33_94:
	s_delay_alu instid0(SALU_CYCLE_1) | instskip(SKIP_4) | instid1(VALU_DEP_1)
	s_or_b32 exec_lo, exec_lo, s0
	v_and_b32_e32 v19, 0x3e3, v0
	s_mov_b32 s1, exec_lo
	s_barrier_signal -1
	s_barrier_wait -1
	v_cmpx_eq_u32_e32 32, v19
	s_cbranch_execz .LBB33_96
; %bb.95:
	ds_store_2addr_b32 v18, v14, v15 offset1:8
	ds_store_2addr_b32 v18, v12, v13 offset0:16 offset1:24
	ds_store_2addr_b32 v18, v10, v11 offset0:32 offset1:40
	;; [unrolled: 1-line block ×7, first 2 shown]
.LBB33_96:
	s_or_b32 exec_lo, exec_lo, s1
	s_delay_alu instid0(SALU_CYCLE_1)
	s_mov_b32 s1, exec_lo
	s_wait_dscnt 0x0
	s_barrier_signal -1
	s_barrier_wait -1
	v_cmpx_gt_u32_e32 32, v0
	s_cbranch_execz .LBB33_115
; %bb.97:
	s_and_saveexec_b32 s0, vcc_lo
	s_cbranch_execnz .LBB33_133
; %bb.98:
	s_or_b32 exec_lo, exec_lo, s0
	s_and_saveexec_b32 s0, vcc_lo
	s_cbranch_execnz .LBB33_134
.LBB33_99:
	s_or_b32 exec_lo, exec_lo, s0
	s_and_saveexec_b32 s0, vcc_lo
	s_cbranch_execnz .LBB33_135
.LBB33_100:
	s_or_b32 exec_lo, exec_lo, s0
	s_and_saveexec_b32 s0, vcc_lo
	s_cbranch_execnz .LBB33_136
.LBB33_101:
	s_or_b32 exec_lo, exec_lo, s0
	s_and_saveexec_b32 s0, vcc_lo
	s_cbranch_execnz .LBB33_137
.LBB33_102:
	s_or_b32 exec_lo, exec_lo, s0
	s_and_saveexec_b32 s0, vcc_lo
	s_cbranch_execnz .LBB33_138
.LBB33_103:
	s_or_b32 exec_lo, exec_lo, s0
	s_and_saveexec_b32 s0, vcc_lo
	s_cbranch_execnz .LBB33_139
.LBB33_104:
	s_or_b32 exec_lo, exec_lo, s0
	s_and_saveexec_b32 s0, vcc_lo
	s_cbranch_execnz .LBB33_140
.LBB33_105:
	s_or_b32 exec_lo, exec_lo, s0
	s_and_saveexec_b32 s0, vcc_lo
	s_cbranch_execnz .LBB33_141
.LBB33_106:
	s_or_b32 exec_lo, exec_lo, s0
	s_and_saveexec_b32 s0, vcc_lo
	s_cbranch_execnz .LBB33_142
.LBB33_107:
	s_or_b32 exec_lo, exec_lo, s0
	s_and_saveexec_b32 s0, vcc_lo
	s_cbranch_execnz .LBB33_143
.LBB33_108:
	s_or_b32 exec_lo, exec_lo, s0
	s_and_saveexec_b32 s0, vcc_lo
	s_cbranch_execnz .LBB33_144
.LBB33_109:
	s_or_b32 exec_lo, exec_lo, s0
	s_and_saveexec_b32 s0, vcc_lo
	s_cbranch_execnz .LBB33_145
.LBB33_110:
	s_or_b32 exec_lo, exec_lo, s0
	s_and_saveexec_b32 s0, vcc_lo
	s_cbranch_execnz .LBB33_146
.LBB33_111:
	s_or_b32 exec_lo, exec_lo, s0
	s_and_saveexec_b32 s0, vcc_lo
	s_cbranch_execnz .LBB33_147
.LBB33_112:
	s_or_b32 exec_lo, exec_lo, s0
	s_and_saveexec_b32 s0, vcc_lo
	s_cbranch_execz .LBB33_114
.LBB33_113:
	ds_load_b32 v1, v1 offset:480
	s_wait_dscnt 0x0
	v_add_f32_e32 v17, v17, v1
.LBB33_114:
	s_or_b32 exec_lo, exec_lo, s0
.LBB33_115:
	s_delay_alu instid0(SALU_CYCLE_1)
	s_or_b32 exec_lo, exec_lo, s1
	s_mov_b32 s1, 0
	s_barrier_signal -1
	s_barrier_wait -1
	s_mov_b32 s0, exec_lo
	v_cmpx_eq_u32_e32 0, v19
	s_cbranch_execz .LBB33_117
; %bb.116:
	s_wait_kmcnt 0x0
	s_mul_i32 s0, s22, s7
	s_mul_i32 s2, s7, s6
	;; [unrolled: 1-line block ×3, first 2 shown]
	s_lshr_b32 s6, ttmp7, 16
	s_lshl_b32 s4, s0, 7
	s_bfe_u32 s0, ttmp6, 0x40014
	s_ashr_i32 s5, s4, 31
	s_add_co_i32 s0, s0, 1
	s_ashr_i32 s3, s2, 31
	s_mul_i32 s0, s6, s0
	s_bfe_u32 s7, ttmp6, 0x40008
	s_lshl_b64 s[4:5], s[4:5], 2
	s_lshl_b64 s[2:3], s[2:3], 2
	s_add_co_i32 s7, s7, s0
	s_cmp_eq_u32 s20, 0
	s_add_nc_u64 s[4:5], s[10:11], s[4:5]
	s_cselect_b32 s0, s6, s7
	s_add_nc_u64 s[2:3], s[4:5], s[2:3]
	s_lshl_b32 s0, s0, 9
	s_delay_alu instid0(SALU_CYCLE_1)
	s_add_nc_u64 s[0:1], s[2:3], s[0:1]
	s_clause 0xf
	global_store_b32 v0, v14, s[0:1]
	global_store_b32 v0, v15, s[0:1] offset:32
	global_store_b32 v0, v12, s[0:1] offset:64
	;; [unrolled: 1-line block ×15, first 2 shown]
.LBB33_117:
	s_sendmsg sendmsg(MSG_DEALLOC_VGPRS)
	s_endpgm
.LBB33_118:
	ds_load_b32 v19, v1
	s_wait_dscnt 0x0
	v_add_f32_e32 v14, v14, v19
	s_or_b32 exec_lo, exec_lo, s1
	s_and_saveexec_b32 s1, vcc_lo
	s_cbranch_execz .LBB33_78
.LBB33_119:
	ds_load_b32 v19, v1 offset:32
	s_wait_dscnt 0x0
	v_add_f32_e32 v15, v15, v19
	s_or_b32 exec_lo, exec_lo, s1
	s_and_saveexec_b32 s1, vcc_lo
	s_cbranch_execz .LBB33_79
.LBB33_120:
	ds_load_b32 v19, v1 offset:64
	s_wait_dscnt 0x0
	v_add_f32_e32 v12, v12, v19
	s_or_b32 exec_lo, exec_lo, s1
	s_and_saveexec_b32 s1, vcc_lo
	s_cbranch_execz .LBB33_80
.LBB33_121:
	ds_load_b32 v19, v1 offset:96
	s_wait_dscnt 0x0
	v_add_f32_e32 v13, v13, v19
	s_or_b32 exec_lo, exec_lo, s1
	s_and_saveexec_b32 s1, vcc_lo
	s_cbranch_execz .LBB33_81
.LBB33_122:
	ds_load_b32 v19, v1 offset:128
	s_wait_dscnt 0x0
	v_add_f32_e32 v10, v10, v19
	s_or_b32 exec_lo, exec_lo, s1
	s_and_saveexec_b32 s1, vcc_lo
	s_cbranch_execz .LBB33_82
.LBB33_123:
	ds_load_b32 v19, v1 offset:160
	s_wait_dscnt 0x0
	v_add_f32_e32 v11, v11, v19
	s_or_b32 exec_lo, exec_lo, s1
	s_and_saveexec_b32 s1, vcc_lo
	s_cbranch_execz .LBB33_83
.LBB33_124:
	ds_load_b32 v19, v1 offset:192
	s_wait_dscnt 0x0
	v_add_f32_e32 v8, v8, v19
	s_or_b32 exec_lo, exec_lo, s1
	s_and_saveexec_b32 s1, vcc_lo
	s_cbranch_execz .LBB33_84
.LBB33_125:
	ds_load_b32 v19, v1 offset:224
	s_wait_dscnt 0x0
	v_add_f32_e32 v9, v9, v19
	s_or_b32 exec_lo, exec_lo, s1
	s_and_saveexec_b32 s1, vcc_lo
	s_cbranch_execz .LBB33_85
.LBB33_126:
	ds_load_b32 v19, v1 offset:256
	s_wait_dscnt 0x0
	v_add_f32_e32 v6, v6, v19
	s_or_b32 exec_lo, exec_lo, s1
	s_and_saveexec_b32 s1, vcc_lo
	s_cbranch_execz .LBB33_86
.LBB33_127:
	ds_load_b32 v19, v1 offset:288
	s_wait_dscnt 0x0
	v_add_f32_e32 v7, v7, v19
	s_or_b32 exec_lo, exec_lo, s1
	s_and_saveexec_b32 s1, vcc_lo
	s_cbranch_execz .LBB33_87
.LBB33_128:
	ds_load_b32 v19, v1 offset:320
	s_wait_dscnt 0x0
	v_add_f32_e32 v4, v4, v19
	s_or_b32 exec_lo, exec_lo, s1
	s_and_saveexec_b32 s1, vcc_lo
	s_cbranch_execz .LBB33_88
.LBB33_129:
	ds_load_b32 v19, v1 offset:352
	s_wait_dscnt 0x0
	v_add_f32_e32 v5, v5, v19
	s_or_b32 exec_lo, exec_lo, s1
	s_and_saveexec_b32 s1, vcc_lo
	s_cbranch_execz .LBB33_89
.LBB33_130:
	ds_load_b32 v19, v1 offset:384
	s_wait_dscnt 0x0
	v_add_f32_e32 v2, v2, v19
	s_or_b32 exec_lo, exec_lo, s1
	s_and_saveexec_b32 s1, vcc_lo
	s_cbranch_execz .LBB33_90
.LBB33_131:
	ds_load_b32 v19, v1 offset:416
	s_wait_dscnt 0x0
	v_add_f32_e32 v3, v3, v19
	s_or_b32 exec_lo, exec_lo, s1
	s_and_saveexec_b32 s1, vcc_lo
	s_cbranch_execz .LBB33_91
.LBB33_132:
	ds_load_b32 v19, v1 offset:448
	s_wait_dscnt 0x0
	v_add_f32_e32 v16, v16, v19
	s_or_b32 exec_lo, exec_lo, s1
	s_and_saveexec_b32 s1, vcc_lo
	s_cbranch_execnz .LBB33_92
	s_branch .LBB33_93
.LBB33_133:
	ds_load_b32 v18, v1
	s_wait_dscnt 0x0
	v_add_f32_e32 v14, v14, v18
	s_or_b32 exec_lo, exec_lo, s0
	s_and_saveexec_b32 s0, vcc_lo
	s_cbranch_execz .LBB33_99
.LBB33_134:
	ds_load_b32 v18, v1 offset:32
	s_wait_dscnt 0x0
	v_add_f32_e32 v15, v15, v18
	s_or_b32 exec_lo, exec_lo, s0
	s_and_saveexec_b32 s0, vcc_lo
	s_cbranch_execz .LBB33_100
.LBB33_135:
	ds_load_b32 v18, v1 offset:64
	s_wait_dscnt 0x0
	v_add_f32_e32 v12, v12, v18
	s_or_b32 exec_lo, exec_lo, s0
	s_and_saveexec_b32 s0, vcc_lo
	s_cbranch_execz .LBB33_101
.LBB33_136:
	ds_load_b32 v18, v1 offset:96
	s_wait_dscnt 0x0
	v_add_f32_e32 v13, v13, v18
	s_or_b32 exec_lo, exec_lo, s0
	s_and_saveexec_b32 s0, vcc_lo
	s_cbranch_execz .LBB33_102
.LBB33_137:
	ds_load_b32 v18, v1 offset:128
	s_wait_dscnt 0x0
	v_add_f32_e32 v10, v10, v18
	s_or_b32 exec_lo, exec_lo, s0
	s_and_saveexec_b32 s0, vcc_lo
	s_cbranch_execz .LBB33_103
.LBB33_138:
	ds_load_b32 v18, v1 offset:160
	s_wait_dscnt 0x0
	v_add_f32_e32 v11, v11, v18
	s_or_b32 exec_lo, exec_lo, s0
	s_and_saveexec_b32 s0, vcc_lo
	s_cbranch_execz .LBB33_104
.LBB33_139:
	ds_load_b32 v18, v1 offset:192
	s_wait_dscnt 0x0
	v_add_f32_e32 v8, v8, v18
	s_or_b32 exec_lo, exec_lo, s0
	s_and_saveexec_b32 s0, vcc_lo
	s_cbranch_execz .LBB33_105
.LBB33_140:
	ds_load_b32 v18, v1 offset:224
	s_wait_dscnt 0x0
	v_add_f32_e32 v9, v9, v18
	s_or_b32 exec_lo, exec_lo, s0
	s_and_saveexec_b32 s0, vcc_lo
	s_cbranch_execz .LBB33_106
.LBB33_141:
	ds_load_b32 v18, v1 offset:256
	s_wait_dscnt 0x0
	v_add_f32_e32 v6, v6, v18
	s_or_b32 exec_lo, exec_lo, s0
	s_and_saveexec_b32 s0, vcc_lo
	s_cbranch_execz .LBB33_107
.LBB33_142:
	ds_load_b32 v18, v1 offset:288
	s_wait_dscnt 0x0
	v_add_f32_e32 v7, v7, v18
	s_or_b32 exec_lo, exec_lo, s0
	s_and_saveexec_b32 s0, vcc_lo
	s_cbranch_execz .LBB33_108
.LBB33_143:
	ds_load_b32 v18, v1 offset:320
	s_wait_dscnt 0x0
	v_add_f32_e32 v4, v4, v18
	s_or_b32 exec_lo, exec_lo, s0
	s_and_saveexec_b32 s0, vcc_lo
	s_cbranch_execz .LBB33_109
.LBB33_144:
	ds_load_b32 v18, v1 offset:352
	s_wait_dscnt 0x0
	v_add_f32_e32 v5, v5, v18
	s_or_b32 exec_lo, exec_lo, s0
	s_and_saveexec_b32 s0, vcc_lo
	s_cbranch_execz .LBB33_110
.LBB33_145:
	ds_load_b32 v18, v1 offset:384
	s_wait_dscnt 0x0
	v_add_f32_e32 v2, v2, v18
	s_or_b32 exec_lo, exec_lo, s0
	s_and_saveexec_b32 s0, vcc_lo
	s_cbranch_execz .LBB33_111
.LBB33_146:
	ds_load_b32 v18, v1 offset:416
	s_wait_dscnt 0x0
	v_add_f32_e32 v3, v3, v18
	s_or_b32 exec_lo, exec_lo, s0
	s_and_saveexec_b32 s0, vcc_lo
	s_cbranch_execz .LBB33_112
.LBB33_147:
	ds_load_b32 v18, v1 offset:448
	s_wait_dscnt 0x0
	v_add_f32_e32 v16, v16, v18
	s_or_b32 exec_lo, exec_lo, s0
	s_and_saveexec_b32 s0, vcc_lo
	s_cbranch_execnz .LBB33_113
	s_branch .LBB33_114
	.section	.rodata,"a",@progbits
	.p2align	6, 0x0
	.amdhsa_kernel _ZN4vllm25paged_attention_v1_kernelIffLi128ELi16ELi128ELNS_18Fp8KVCacheDataTypeE0ELb0EEEvPT_PKS2_PKT0_S8_ifPKiSA_iPKfiiiSC_SC_iiiii
		.amdhsa_group_segment_fixed_size 544
		.amdhsa_private_segment_fixed_size 0
		.amdhsa_kernarg_size 384
		.amdhsa_user_sgpr_count 2
		.amdhsa_user_sgpr_dispatch_ptr 0
		.amdhsa_user_sgpr_queue_ptr 0
		.amdhsa_user_sgpr_kernarg_segment_ptr 1
		.amdhsa_user_sgpr_dispatch_id 0
		.amdhsa_user_sgpr_kernarg_preload_length 0
		.amdhsa_user_sgpr_kernarg_preload_offset 0
		.amdhsa_user_sgpr_private_segment_size 0
		.amdhsa_wavefront_size32 1
		.amdhsa_uses_dynamic_stack 0
		.amdhsa_enable_private_segment 0
		.amdhsa_system_sgpr_workgroup_id_x 1
		.amdhsa_system_sgpr_workgroup_id_y 1
		.amdhsa_system_sgpr_workgroup_id_z 1
		.amdhsa_system_sgpr_workgroup_info 0
		.amdhsa_system_vgpr_workitem_id 0
		.amdhsa_next_free_vgpr 118
		.amdhsa_next_free_sgpr 28
		.amdhsa_named_barrier_count 0
		.amdhsa_reserve_vcc 1
		.amdhsa_float_round_mode_32 0
		.amdhsa_float_round_mode_16_64 0
		.amdhsa_float_denorm_mode_32 3
		.amdhsa_float_denorm_mode_16_64 3
		.amdhsa_fp16_overflow 0
		.amdhsa_memory_ordered 1
		.amdhsa_forward_progress 1
		.amdhsa_inst_pref_size 72
		.amdhsa_round_robin_scheduling 0
		.amdhsa_exception_fp_ieee_invalid_op 0
		.amdhsa_exception_fp_denorm_src 0
		.amdhsa_exception_fp_ieee_div_zero 0
		.amdhsa_exception_fp_ieee_overflow 0
		.amdhsa_exception_fp_ieee_underflow 0
		.amdhsa_exception_fp_ieee_inexact 0
		.amdhsa_exception_int_div_zero 0
	.end_amdhsa_kernel
	.section	.text._ZN4vllm25paged_attention_v1_kernelIffLi128ELi16ELi128ELNS_18Fp8KVCacheDataTypeE0ELb0EEEvPT_PKS2_PKT0_S8_ifPKiSA_iPKfiiiSC_SC_iiiii,"axG",@progbits,_ZN4vllm25paged_attention_v1_kernelIffLi128ELi16ELi128ELNS_18Fp8KVCacheDataTypeE0ELb0EEEvPT_PKS2_PKT0_S8_ifPKiSA_iPKfiiiSC_SC_iiiii,comdat
.Lfunc_end33:
	.size	_ZN4vllm25paged_attention_v1_kernelIffLi128ELi16ELi128ELNS_18Fp8KVCacheDataTypeE0ELb0EEEvPT_PKS2_PKT0_S8_ifPKiSA_iPKfiiiSC_SC_iiiii, .Lfunc_end33-_ZN4vllm25paged_attention_v1_kernelIffLi128ELi16ELi128ELNS_18Fp8KVCacheDataTypeE0ELb0EEEvPT_PKS2_PKT0_S8_ifPKiSA_iPKfiiiSC_SC_iiiii
                                        ; -- End function
	.set _ZN4vllm25paged_attention_v1_kernelIffLi128ELi16ELi128ELNS_18Fp8KVCacheDataTypeE0ELb0EEEvPT_PKS2_PKT0_S8_ifPKiSA_iPKfiiiSC_SC_iiiii.num_vgpr, 118
	.set _ZN4vllm25paged_attention_v1_kernelIffLi128ELi16ELi128ELNS_18Fp8KVCacheDataTypeE0ELb0EEEvPT_PKS2_PKT0_S8_ifPKiSA_iPKfiiiSC_SC_iiiii.num_agpr, 0
	.set _ZN4vllm25paged_attention_v1_kernelIffLi128ELi16ELi128ELNS_18Fp8KVCacheDataTypeE0ELb0EEEvPT_PKS2_PKT0_S8_ifPKiSA_iPKfiiiSC_SC_iiiii.numbered_sgpr, 28
	.set _ZN4vllm25paged_attention_v1_kernelIffLi128ELi16ELi128ELNS_18Fp8KVCacheDataTypeE0ELb0EEEvPT_PKS2_PKT0_S8_ifPKiSA_iPKfiiiSC_SC_iiiii.num_named_barrier, 0
	.set _ZN4vllm25paged_attention_v1_kernelIffLi128ELi16ELi128ELNS_18Fp8KVCacheDataTypeE0ELb0EEEvPT_PKS2_PKT0_S8_ifPKiSA_iPKfiiiSC_SC_iiiii.private_seg_size, 0
	.set _ZN4vllm25paged_attention_v1_kernelIffLi128ELi16ELi128ELNS_18Fp8KVCacheDataTypeE0ELb0EEEvPT_PKS2_PKT0_S8_ifPKiSA_iPKfiiiSC_SC_iiiii.uses_vcc, 1
	.set _ZN4vllm25paged_attention_v1_kernelIffLi128ELi16ELi128ELNS_18Fp8KVCacheDataTypeE0ELb0EEEvPT_PKS2_PKT0_S8_ifPKiSA_iPKfiiiSC_SC_iiiii.uses_flat_scratch, 0
	.set _ZN4vllm25paged_attention_v1_kernelIffLi128ELi16ELi128ELNS_18Fp8KVCacheDataTypeE0ELb0EEEvPT_PKS2_PKT0_S8_ifPKiSA_iPKfiiiSC_SC_iiiii.has_dyn_sized_stack, 0
	.set _ZN4vllm25paged_attention_v1_kernelIffLi128ELi16ELi128ELNS_18Fp8KVCacheDataTypeE0ELb0EEEvPT_PKS2_PKT0_S8_ifPKiSA_iPKfiiiSC_SC_iiiii.has_recursion, 0
	.set _ZN4vllm25paged_attention_v1_kernelIffLi128ELi16ELi128ELNS_18Fp8KVCacheDataTypeE0ELb0EEEvPT_PKS2_PKT0_S8_ifPKiSA_iPKfiiiSC_SC_iiiii.has_indirect_call, 0
	.section	.AMDGPU.csdata,"",@progbits
; Kernel info:
; codeLenInByte = 9104
; TotalNumSgprs: 30
; NumVgprs: 118
; ScratchSize: 0
; MemoryBound: 0
; FloatMode: 240
; IeeeMode: 1
; LDSByteSize: 544 bytes/workgroup (compile time only)
; SGPRBlocks: 0
; VGPRBlocks: 7
; NumSGPRsForWavesPerEU: 30
; NumVGPRsForWavesPerEU: 118
; NamedBarCnt: 0
; Occupancy: 8
; WaveLimiterHint : 1
; COMPUTE_PGM_RSRC2:SCRATCH_EN: 0
; COMPUTE_PGM_RSRC2:USER_SGPR: 2
; COMPUTE_PGM_RSRC2:TRAP_HANDLER: 0
; COMPUTE_PGM_RSRC2:TGID_X_EN: 1
; COMPUTE_PGM_RSRC2:TGID_Y_EN: 1
; COMPUTE_PGM_RSRC2:TGID_Z_EN: 1
; COMPUTE_PGM_RSRC2:TIDIG_COMP_CNT: 0
	.section	.text._ZN4vllm25paged_attention_v1_kernelIffLi192ELi16ELi128ELNS_18Fp8KVCacheDataTypeE0ELb0EEEvPT_PKS2_PKT0_S8_ifPKiSA_iPKfiiiSC_SC_iiiii,"axG",@progbits,_ZN4vllm25paged_attention_v1_kernelIffLi192ELi16ELi128ELNS_18Fp8KVCacheDataTypeE0ELb0EEEvPT_PKS2_PKT0_S8_ifPKiSA_iPKfiiiSC_SC_iiiii,comdat
	.protected	_ZN4vllm25paged_attention_v1_kernelIffLi192ELi16ELi128ELNS_18Fp8KVCacheDataTypeE0ELb0EEEvPT_PKS2_PKT0_S8_ifPKiSA_iPKfiiiSC_SC_iiiii ; -- Begin function _ZN4vllm25paged_attention_v1_kernelIffLi192ELi16ELi128ELNS_18Fp8KVCacheDataTypeE0ELb0EEEvPT_PKS2_PKT0_S8_ifPKiSA_iPKfiiiSC_SC_iiiii
	.globl	_ZN4vllm25paged_attention_v1_kernelIffLi192ELi16ELi128ELNS_18Fp8KVCacheDataTypeE0ELb0EEEvPT_PKS2_PKT0_S8_ifPKiSA_iPKfiiiSC_SC_iiiii
	.p2align	8
	.type	_ZN4vllm25paged_attention_v1_kernelIffLi192ELi16ELi128ELNS_18Fp8KVCacheDataTypeE0ELb0EEEvPT_PKS2_PKT0_S8_ifPKiSA_iPKfiiiSC_SC_iiiii,@function
_ZN4vllm25paged_attention_v1_kernelIffLi192ELi16ELi128ELNS_18Fp8KVCacheDataTypeE0ELb0EEEvPT_PKS2_PKT0_S8_ifPKiSA_iPKfiiiSC_SC_iiiii: ; @_ZN4vllm25paged_attention_v1_kernelIffLi192ELi16ELi128ELNS_18Fp8KVCacheDataTypeE0ELb0EEEvPT_PKS2_PKT0_S8_ifPKiSA_iPKfiiiSC_SC_iiiii
; %bb.0:
	s_load_b64 s[6:7], s[0:1], 0x20
	s_bfe_u32 s3, ttmp6, 0x4000c
	s_bfe_u32 s5, ttmp6, 0x40010
	s_and_b32 s4, ttmp7, 0xffff
	s_add_co_i32 s3, s3, 1
	s_add_co_i32 s5, s5, 1
	s_and_b32 s2, ttmp6, 15
	s_bfe_u32 s8, ttmp6, 0x40004
	s_mul_i32 s3, ttmp9, s3
	s_mul_i32 s5, s4, s5
	s_getreg_b32 s18, hwreg(HW_REG_IB_STS2, 6, 4)
	s_add_co_i32 s2, s2, s3
	s_add_co_i32 s8, s8, s5
	s_cmp_eq_u32 s18, 0
	v_mov_b32_e32 v124, v0
	s_cselect_b32 s20, s4, s8
	s_cselect_b32 s8, ttmp9, s2
	s_clause 0x1
	s_load_b32 s19, s[0:1], 0x80
	s_load_b64 s[10:11], s[0:1], 0x30
	s_wait_kmcnt 0x0
	s_abs_i32 s2, s6
	s_delay_alu instid0(SALU_CYCLE_1) | instskip(SKIP_1) | instid1(SALU_CYCLE_2)
	s_cvt_f32_u32 s3, s2
	s_sub_co_i32 s4, 0, s2
	v_rcp_iflag_f32_e32 v0, s3
	v_nop
	s_delay_alu instid0(TRANS32_DEP_1) | instskip(SKIP_2) | instid1(SALU_CYCLE_3)
	v_readfirstlane_b32 s3, v0
	s_abs_i32 s5, s19
	s_mul_f32 s3, s3, 0x4f7ffffe
	s_cvt_u32_f32 s3, s3
	s_delay_alu instid0(SALU_CYCLE_3) | instskip(NEXT) | instid1(SALU_CYCLE_1)
	s_mul_i32 s4, s4, s3
	s_mul_hi_u32 s4, s3, s4
	s_delay_alu instid0(SALU_CYCLE_1) | instskip(SKIP_4) | instid1(SALU_CYCLE_1)
	s_add_co_i32 s3, s3, s4
	s_xor_b32 s4, s19, s6
	s_mul_hi_u32 s3, s5, s3
	s_ashr_i32 s4, s4, 31
	s_mul_i32 s6, s3, s2
	s_sub_co_i32 s5, s5, s6
	s_add_co_i32 s6, s3, 1
	s_sub_co_i32 s9, s5, s2
	s_cmp_ge_u32 s5, s2
	s_cselect_b32 s3, s6, s3
	s_cselect_b32 s5, s9, s5
	s_add_co_i32 s6, s3, 1
	s_cmp_ge_u32 s5, s2
	s_cselect_b32 s2, s6, s3
	s_mov_b32 s3, 0
	s_xor_b32 s2, s2, s4
	s_mov_b32 s13, s3
	s_sub_co_i32 s15, s2, s4
	s_load_b64 s[4:5], s[0:1], 0x40
	s_abs_i32 s14, s15
	s_mov_b32 s23, s3
	s_cvt_f32_u32 s2, s14
	s_delay_alu instid0(SALU_CYCLE_3) | instskip(SKIP_1) | instid1(TRANS32_DEP_1)
	v_rcp_iflag_f32_e32 v0, s2
	v_nop
	v_readfirstlane_b32 s2, v0
	s_mul_f32 s2, s2, 0x4f7ffffe
	s_delay_alu instid0(SALU_CYCLE_3) | instskip(SKIP_1) | instid1(SALU_CYCLE_2)
	s_cvt_u32_f32 s6, s2
	s_sub_co_i32 s2, 0, s14
	s_mul_i32 s2, s2, s6
	s_delay_alu instid0(SALU_CYCLE_1)
	s_mul_hi_u32 s9, s6, s2
	s_abs_i32 s2, s8
	s_add_co_i32 s12, s6, s9
	s_wait_kmcnt 0x0
	s_cmp_eq_u64 s[4:5], 0
	s_cbranch_scc1 .LBB34_2
; %bb.1:
	s_ashr_i32 s9, s8, 31
	s_delay_alu instid0(SALU_CYCLE_1) | instskip(NEXT) | instid1(SALU_CYCLE_1)
	s_lshl_b64 s[16:17], s[8:9], 2
	s_add_nc_u64 s[4:5], s[4:5], s[16:17]
	s_load_b32 s23, s[4:5], 0x0
.LBB34_2:
	s_load_b32 s21, s[10:11], s20 offset:0x0 scale_offset
	s_wait_xcnt 0x0
	s_load_b96 s[4:6], s[0:1], 0x48
	v_dual_lshlrev_b32 v126, 2, v124 :: v_dual_bitop2_b32 v100, 1, v124 bitop3:0x40
	s_ashr_i32 s16, s8, 31
	s_ashr_i32 s15, s15, 31
	s_mul_u64 s[10:11], s[2:3], s[12:13]
	s_mulk_i32 s8, 0xc0
	s_mov_b32 s3, exec_lo
	v_cmpx_gt_u32_e32 0x60, v124
	s_cbranch_execz .LBB34_4
; %bb.3:
	s_load_b64 s[12:13], s[0:1], 0x8
	s_wait_kmcnt 0x0
	s_mul_i32 s24, s4, s20
	s_ashr_i32 s9, s8, 31
	s_ashr_i32 s25, s24, 31
	v_and_b32_e32 v2, 0xff8, v126
	s_lshl_b64 s[24:25], s[24:25], 2
	s_delay_alu instid0(VALU_DEP_1) | instskip(SKIP_2) | instid1(SALU_CYCLE_1)
	v_mad_u32_u24 v2, 0x180, v100, v2
	s_add_nc_u64 s[12:13], s[12:13], s[24:25]
	s_lshl_b64 s[24:25], s[8:9], 2
	s_add_nc_u64 s[12:13], s[12:13], s[24:25]
	global_load_b64 v[0:1], v124, s[12:13] scale_offset
	s_wait_loadcnt 0x0
	ds_store_b64 v2, v[0:1]
.LBB34_4:
	s_or_b32 exec_lo, exec_lo, s3
	s_wait_kmcnt 0x0
	s_add_co_i32 s3, s21, 15
	s_load_b32 s4, s[0:1], 0x38
	s_ashr_i32 s9, s3, 31
	s_mul_i32 s12, s11, s14
	s_lshr_b32 s9, s9, 28
	s_sub_co_i32 s2, s2, s12
	s_add_co_i32 s3, s3, s9
	s_xor_b32 s10, s16, s15
	s_ashr_i32 s22, s3, 4
	s_add_co_i32 s3, s11, 1
	s_sub_co_i32 s9, s2, s14
	s_cmp_ge_u32 s2, s14
	v_lshrrev_b32_e32 v0, 5, v124
	s_cselect_b32 s3, s3, s11
	s_cselect_b32 s2, s9, s2
	s_add_co_i32 s9, s3, 1
	s_cmp_ge_u32 s2, s14
	v_mbcnt_lo_u32_b32 v104, -1, 0
	s_cselect_b32 s2, s9, s3
	s_wait_dscnt 0x0
	s_xor_b32 s2, s2, s10
	s_barrier_signal -1
	s_sub_co_i32 s3, s2, s10
	v_cmp_gt_i32_e64 s2, s22, v0
	s_wait_kmcnt 0x0
	s_mul_i32 s10, s4, s20
	s_mov_b32 s4, exec_lo
	s_ashr_i32 s11, s10, 31
	scratch_store_b32 off, v0, off offset:40 ; 4-byte Folded Spill
	s_barrier_wait -1
	s_wait_storecnt 0x0
                                        ; implicit-def: $vgpr1
                                        ; implicit-def: $vgpr105
	s_wait_xcnt 0x0
	v_cmpx_le_i32_e64 s22, v0
	s_xor_b32 s4, exec_lo, s4
; %bb.5:
	v_dual_mov_b32 v1, 0 :: v_dual_mov_b32 v105, 32
	v_mbcnt_lo_u32_b32 v104, -1, 0
                                        ; implicit-def: $vgpr100
; %bb.6:
	s_or_saveexec_b32 s24, s4
	s_clause 0x1
	s_load_b64 s[12:13], s[0:1], 0x28
	s_load_b32 s9, s[0:1], 0x88
	v_dual_mov_b32 v0, 0xff7fffff :: v_dual_lshrrev_b32 v127, 3, v124
	s_mul_i32 s14, s3, s6
	s_xor_b32 exec_lo, exec_lo, s24
	s_cbranch_execz .LBB34_12
; %bb.7:
	s_load_b64 s[26:27], s[0:1], 0x10
	v_bfe_u32 v101, v124, 1, 4
	v_dual_mov_b32 v105, 32 :: v_dual_bitop2_b32 v27, 1, v104 bitop3:0x14
	s_ashr_i32 s15, s14, 31
	v_dual_mov_b32 v1, 0 :: v_dual_lshlrev_b32 v26, 3, v124
	v_mul_u32_u24_e32 v94, 0x180, v100
	s_delay_alu instid0(VALU_DEP_3)
	v_cmp_gt_i32_e32 vcc_lo, 32, v27
	v_lshlrev_b32_e32 v0, 4, v101
	s_lshl_b64 s[28:29], s[14:15], 2
	ds_load_b128 v[2:5], v94
	ds_load_b128 v[6:9], v94 offset:16
	ds_load_b128 v[10:13], v94 offset:32
	;; [unrolled: 1-line block ×5, first 2 shown]
	v_cndmask_b32_e32 v102, v104, v27, vcc_lo
	s_ashr_i32 s17, s5, 31
	v_lshrrev_b32_e32 v109, 5, v124
	s_cmp_neq_f32 s23, 0
	v_cmp_eq_u32_e32 vcc_lo, 0, v100
	v_lshlrev_b32_e32 v106, 2, v102
	s_mov_b32 s16, s5
	s_wait_kmcnt 0x0
	s_add_nc_u64 s[26:27], s[26:27], s[28:29]
	s_cselect_b32 s3, -1, 0
	v_add_nc_u64_e32 v[98:99], s[26:27], v[0:1]
	v_dual_lshlrev_b32 v103, 2, v101 :: v_dual_bitop2_b32 v0, 8, v26 bitop3:0x40
	ds_load_b128 v[26:29], v94 offset:96
	ds_load_b128 v[30:33], v94 offset:112
	ds_load_b128 v[34:37], v94 offset:128
	ds_load_b128 v[38:41], v94 offset:144
	ds_load_b128 v[42:45], v94 offset:160
	ds_load_b128 v[46:49], v94 offset:176
	ds_load_b128 v[50:53], v94 offset:192
	ds_load_b128 v[54:57], v94 offset:208
	ds_load_b128 v[58:61], v94 offset:224
	ds_load_b128 v[62:65], v94 offset:240
	ds_load_b128 v[66:69], v94 offset:256
	ds_load_b128 v[70:73], v94 offset:272
	ds_load_b128 v[74:77], v94 offset:288
	ds_load_b128 v[78:81], v94 offset:304
	ds_load_b128 v[82:85], v94 offset:320
	ds_load_b128 v[86:89], v94 offset:336
	ds_load_b128 v[90:93], v94 offset:352
	ds_load_b128 v[94:97], v94 offset:368
	s_lshl_b64 s[26:27], s[10:11], 2
	v_lshl_or_b32 v107, v109, 4, v101
	s_add_nc_u64 s[26:27], s[12:13], s[26:27]
	v_add_nc_u64_e32 v[98:99], v[98:99], v[0:1]
	v_lshl_or_b32 v100, v109, 6, v103
	v_and_b32_e32 v0, 0x7c, v127
	s_mov_b32 s6, 0
	s_sub_co_i32 s15, 1, s21
	s_delay_alu instid0(VALU_DEP_2) | instskip(NEXT) | instid1(VALU_DEP_2)
	v_add_nc_u32_e32 v108, 0x320, v100
	v_add_nc_u64_e32 v[100:101], s[26:27], v[0:1]
	v_mov_b32_e32 v0, 0xff7fffff
	s_branch .LBB34_9
.LBB34_8:                               ;   in Loop: Header=BB34_9 Depth=1
	s_or_b32 exec_lo, exec_lo, s25
	v_dual_add_nc_u32 v109, 4, v109 :: v_dual_add_nc_u32 v107, 64, v107
	v_add_nc_u64_e32 v[100:101], 16, v[100:101]
	v_add_nc_u32_e32 v108, 0x100, v108
	s_delay_alu instid0(VALU_DEP_3) | instskip(SKIP_1) | instid1(SALU_CYCLE_1)
	v_cmp_le_i32_e64 s4, s22, v109
	s_or_b32 s6, s4, s6
	s_and_not1_b32 exec_lo, exec_lo, s6
	s_cbranch_execz .LBB34_11
.LBB34_9:                               ; =>This Inner Loop Header: Depth=1
	global_load_b32 v102, v[100:101], off
	s_wait_loadcnt_dscnt 0x0
	v_ashrrev_i32_e32 v103, 31, v102
	s_delay_alu instid0(VALU_DEP_1) | instskip(NEXT) | instid1(VALU_DEP_1)
	v_mul_u64_e32 v[102:103], s[16:17], v[102:103]
	v_lshl_add_u64 v[102:103], v[102:103], 2, v[98:99]
	s_clause 0x6
	global_load_b64 v[110:111], v[102:103], off offset:256
	global_load_b64 v[112:113], v[102:103], off
	global_load_b64 v[114:115], v[102:103], off offset:512
	global_load_b64 v[116:117], v[102:103], off offset:768
	;; [unrolled: 1-line block ×5, first 2 shown]
	s_wait_loadcnt_dscnt 0x617
	v_dual_mul_f32 v111, v5, v111 :: v_dual_mul_f32 v110, v4, v110
	s_wait_loadcnt 0x5
	s_delay_alu instid0(VALU_DEP_1)
	v_dual_fmac_f32 v111, v3, v113 :: v_dual_fmac_f32 v110, v2, v112
	global_load_b64 v[112:113], v[102:103], off offset:1792
	s_wait_loadcnt_dscnt 0x516
	v_dual_fmac_f32 v111, v7, v115 :: v_dual_fmac_f32 v110, v6, v114
	global_load_b64 v[114:115], v[102:103], off offset:2048
	s_wait_loadcnt 0x5
	v_dual_fmac_f32 v111, v9, v117 :: v_dual_fmac_f32 v110, v8, v116
	global_load_b64 v[116:117], v[102:103], off offset:2304
	s_wait_loadcnt_dscnt 0x515
	v_dual_fmac_f32 v111, v11, v119 :: v_dual_fmac_f32 v110, v10, v118
	global_load_b64 v[118:119], v[102:103], off offset:2560
	s_wait_loadcnt 0x5
	v_dual_fmac_f32 v111, v13, v121 :: v_dual_fmac_f32 v110, v12, v120
	global_load_b64 v[120:121], v[102:103], off offset:2816
	s_wait_loadcnt_dscnt 0x514
	v_dual_fmac_f32 v111, v15, v123 :: v_dual_fmac_f32 v110, v14, v122
	global_load_b64 v[122:123], v[102:103], off offset:3072
	s_wait_loadcnt 0x5
	v_dual_fmac_f32 v111, v17, v113 :: v_dual_fmac_f32 v110, v16, v112
	global_load_b64 v[112:113], v[102:103], off offset:3328
	s_wait_loadcnt_dscnt 0x513
	v_dual_fmac_f32 v111, v19, v115 :: v_dual_fmac_f32 v110, v18, v114
	global_load_b64 v[114:115], v[102:103], off offset:3584
	s_wait_loadcnt 0x5
	v_dual_fmac_f32 v111, v21, v117 :: v_dual_fmac_f32 v110, v20, v116
	global_load_b64 v[116:117], v[102:103], off offset:3840
	s_wait_loadcnt_dscnt 0x512
	v_dual_fmac_f32 v111, v23, v119 :: v_dual_fmac_f32 v110, v22, v118
	global_load_b64 v[118:119], v[102:103], off offset:4096
	s_wait_loadcnt 0x5
	v_dual_fmac_f32 v111, v25, v121 :: v_dual_fmac_f32 v110, v24, v120
	global_load_b64 v[120:121], v[102:103], off offset:4352
	s_wait_loadcnt_dscnt 0x511
	v_dual_fmac_f32 v111, v27, v123 :: v_dual_fmac_f32 v110, v26, v122
	global_load_b64 v[122:123], v[102:103], off offset:4608
	s_wait_loadcnt 0x5
	v_dual_fmac_f32 v111, v29, v113 :: v_dual_fmac_f32 v110, v28, v112
	global_load_b64 v[112:113], v[102:103], off offset:4864
	s_wait_loadcnt_dscnt 0x510
	v_dual_fmac_f32 v111, v31, v115 :: v_dual_fmac_f32 v110, v30, v114
	global_load_b64 v[114:115], v[102:103], off offset:5120
	s_wait_loadcnt 0x5
	v_dual_fmac_f32 v111, v33, v117 :: v_dual_fmac_f32 v110, v32, v116
	global_load_b64 v[116:117], v[102:103], off offset:5376
	s_wait_loadcnt_dscnt 0x50f
	v_dual_fmac_f32 v111, v35, v119 :: v_dual_fmac_f32 v110, v34, v118
	global_load_b64 v[118:119], v[102:103], off offset:5632
	s_wait_loadcnt 0x5
	v_dual_fmac_f32 v111, v37, v121 :: v_dual_fmac_f32 v110, v36, v120
	global_load_b64 v[120:121], v[102:103], off offset:5888
	s_wait_loadcnt_dscnt 0x50e
	v_dual_fmac_f32 v111, v39, v123 :: v_dual_fmac_f32 v110, v38, v122
	global_load_b64 v[122:123], v[102:103], off offset:6144
	s_wait_loadcnt 0x5
	v_dual_fmac_f32 v111, v41, v113 :: v_dual_fmac_f32 v110, v40, v112
	global_load_b64 v[112:113], v[102:103], off offset:6400
	s_wait_loadcnt_dscnt 0x50d
	v_dual_fmac_f32 v111, v43, v115 :: v_dual_fmac_f32 v110, v42, v114
	global_load_b64 v[114:115], v[102:103], off offset:6656
	s_wait_loadcnt 0x5
	v_dual_fmac_f32 v111, v45, v117 :: v_dual_fmac_f32 v110, v44, v116
	global_load_b64 v[116:117], v[102:103], off offset:6912
	s_wait_loadcnt_dscnt 0x50c
	v_dual_fmac_f32 v111, v47, v119 :: v_dual_fmac_f32 v110, v46, v118
	global_load_b64 v[118:119], v[102:103], off offset:7168
	s_wait_loadcnt 0x5
	v_dual_fmac_f32 v111, v49, v121 :: v_dual_fmac_f32 v110, v48, v120
	global_load_b64 v[120:121], v[102:103], off offset:7424
	s_wait_loadcnt_dscnt 0x50b
	v_dual_fmac_f32 v111, v51, v123 :: v_dual_fmac_f32 v110, v50, v122
	global_load_b64 v[122:123], v[102:103], off offset:7680
	s_wait_loadcnt 0x5
	v_dual_fmac_f32 v111, v53, v113 :: v_dual_fmac_f32 v110, v52, v112
	global_load_b64 v[112:113], v[102:103], off offset:7936
	s_wait_loadcnt_dscnt 0x50a
	v_dual_fmac_f32 v111, v55, v115 :: v_dual_fmac_f32 v110, v54, v114
	global_load_b64 v[114:115], v[102:103], off offset:8192
	s_wait_loadcnt 0x5
	v_dual_fmac_f32 v111, v57, v117 :: v_dual_fmac_f32 v110, v56, v116
	global_load_b64 v[116:117], v[102:103], off offset:8448
	s_wait_loadcnt_dscnt 0x509
	v_dual_fmac_f32 v111, v59, v119 :: v_dual_fmac_f32 v110, v58, v118
	global_load_b64 v[118:119], v[102:103], off offset:8704
	s_wait_loadcnt 0x5
	v_dual_fmac_f32 v111, v61, v121 :: v_dual_fmac_f32 v110, v60, v120
	global_load_b64 v[120:121], v[102:103], off offset:8960
	s_wait_loadcnt_dscnt 0x508
	v_dual_fmac_f32 v111, v63, v123 :: v_dual_fmac_f32 v110, v62, v122
	global_load_b64 v[122:123], v[102:103], off offset:9216
	s_wait_loadcnt 0x5
	v_dual_fmac_f32 v111, v65, v113 :: v_dual_fmac_f32 v110, v64, v112
	global_load_b64 v[112:113], v[102:103], off offset:9472
	s_wait_loadcnt_dscnt 0x507
	v_dual_fmac_f32 v111, v67, v115 :: v_dual_fmac_f32 v110, v66, v114
	global_load_b64 v[114:115], v[102:103], off offset:9728
	s_wait_loadcnt 0x5
	v_dual_fmac_f32 v111, v69, v117 :: v_dual_fmac_f32 v110, v68, v116
	global_load_b64 v[116:117], v[102:103], off offset:9984
	s_wait_loadcnt_dscnt 0x506
	v_dual_fmac_f32 v111, v71, v119 :: v_dual_fmac_f32 v110, v70, v118
	global_load_b64 v[118:119], v[102:103], off offset:10240
	s_wait_loadcnt 0x5
	v_dual_fmac_f32 v111, v73, v121 :: v_dual_fmac_f32 v110, v72, v120
	global_load_b64 v[120:121], v[102:103], off offset:10496
	s_wait_loadcnt_dscnt 0x505
	v_dual_fmac_f32 v111, v75, v123 :: v_dual_fmac_f32 v110, v74, v122
	global_load_b64 v[122:123], v[102:103], off offset:10752
	s_wait_loadcnt 0x5
	v_dual_fmac_f32 v111, v77, v113 :: v_dual_fmac_f32 v110, v76, v112
	global_load_b64 v[112:113], v[102:103], off offset:11008
	s_wait_loadcnt_dscnt 0x504
	v_dual_fmac_f32 v111, v79, v115 :: v_dual_fmac_f32 v110, v78, v114
	global_load_b64 v[114:115], v[102:103], off offset:11264
	s_wait_loadcnt 0x5
	v_dual_fmac_f32 v111, v81, v117 :: v_dual_fmac_f32 v110, v80, v116
	global_load_b64 v[116:117], v[102:103], off offset:11520
	s_wait_loadcnt_dscnt 0x503
	v_dual_fmac_f32 v111, v83, v119 :: v_dual_fmac_f32 v110, v82, v118
	s_clause 0x1
	global_load_b64 v[118:119], v[102:103], off offset:11776
	global_load_b64 v[102:103], v[102:103], off offset:12032
	s_wait_loadcnt 0x6
	v_dual_fmac_f32 v111, v85, v121 :: v_dual_fmac_f32 v110, v84, v120
	s_wait_loadcnt_dscnt 0x502
	s_delay_alu instid0(VALU_DEP_1) | instskip(SKIP_1) | instid1(VALU_DEP_1)
	v_dual_fmac_f32 v111, v87, v123 :: v_dual_fmac_f32 v110, v86, v122
	s_wait_loadcnt 0x4
	v_dual_fmac_f32 v111, v89, v113 :: v_dual_fmac_f32 v110, v88, v112
	s_wait_loadcnt_dscnt 0x301
	s_delay_alu instid0(VALU_DEP_1) | instskip(SKIP_1) | instid1(VALU_DEP_1)
	v_dual_fmac_f32 v111, v91, v115 :: v_dual_fmac_f32 v110, v90, v114
	s_wait_loadcnt 0x2
	v_dual_fmac_f32 v111, v93, v117 :: v_dual_fmac_f32 v110, v92, v116
	s_wait_loadcnt_dscnt 0x100
	s_delay_alu instid0(VALU_DEP_1) | instskip(SKIP_1) | instid1(VALU_DEP_1)
	v_dual_fmac_f32 v111, v95, v119 :: v_dual_fmac_f32 v110, v94, v118
	s_wait_loadcnt 0x0
	v_dual_fmac_f32 v111, v97, v103 :: v_dual_fmac_f32 v110, v96, v102
	s_wait_xcnt 0x0
	s_delay_alu instid0(VALU_DEP_1)
	v_add_f32_e32 v102, v110, v111
	ds_bpermute_b32 v103, v106, v102
	s_and_saveexec_b32 s25, vcc_lo
	s_cbranch_execz .LBB34_8
; %bb.10:                               ;   in Loop: Header=BB34_9 Depth=1
	s_wait_dscnt 0x0
	v_add_f32_e32 v102, v102, v103
	v_add_nc_u32_e32 v110, s15, v107
	v_cmp_gt_i32_e64 s4, s21, v107
	s_delay_alu instid0(VALU_DEP_2) | instskip(NEXT) | instid1(VALU_DEP_1)
	v_cvt_f32_i32_e32 v110, v110
	v_mul_f32_e32 v110, s23, v110
	s_delay_alu instid0(VALU_DEP_1) | instskip(NEXT) | instid1(VALU_DEP_1)
	v_dual_cndmask_b32 v103, 0, v110, s3 :: v_dual_max_num_f32 v110, v0, v0
	v_fmac_f32_e32 v103, s7, v102
	s_delay_alu instid0(VALU_DEP_1) | instskip(NEXT) | instid1(VALU_DEP_1)
	v_dual_max_num_f32 v102, v110, v103 :: v_dual_cndmask_b32 v103, 0, v103, s4
	v_cndmask_b32_e64 v0, v0, v102, s4
	ds_store_b32 v108, v103
	s_branch .LBB34_8
.LBB34_11:
	s_or_b32 exec_lo, exec_lo, s6
.LBB34_12:
	s_delay_alu instid0(SALU_CYCLE_1)
	s_or_b32 exec_lo, exec_lo, s24
	v_xor_b32_e32 v2, 16, v104
	s_clause 0x1
	s_load_b64 s[6:7], s[0:1], 0x0
	s_load_b64 s[16:17], s[0:1], 0x18
	v_xor_b32_e32 v4, 8, v104
	v_max_num_f32_e32 v5, v0, v0
	v_cmp_lt_i32_e32 vcc_lo, v2, v105
	v_cndmask_b32_e32 v2, v104, v2, vcc_lo
	s_delay_alu instid0(VALU_DEP_4) | instskip(NEXT) | instid1(VALU_DEP_2)
	v_cmp_lt_i32_e32 vcc_lo, v4, v105
	v_lshlrev_b32_e32 v2, 2, v2
	ds_bpermute_b32 v3, v2, v0
	s_wait_dscnt 0x0
	v_dual_max_num_f32 v3, v3, v3 :: v_dual_cndmask_b32 v0, v104, v4
	s_delay_alu instid0(VALU_DEP_1) | instskip(NEXT) | instid1(VALU_DEP_1)
	v_dual_max_num_f32 v4, v5, v3 :: v_dual_bitop2_b32 v5, 4, v104 bitop3:0x14
	v_cmp_lt_i32_e32 vcc_lo, v5, v105
	s_delay_alu instid0(VALU_DEP_3) | instskip(SKIP_3) | instid1(VALU_DEP_1)
	v_dual_cndmask_b32 v5, v104, v5 :: v_dual_lshlrev_b32 v0, 2, v0
	ds_bpermute_b32 v3, v0, v4
	s_wait_dscnt 0x0
	v_dual_max_num_f32 v6, v3, v3 :: v_dual_lshlrev_b32 v3, 2, v5
	v_max_num_f32_e32 v4, v4, v6
	ds_bpermute_b32 v5, v3, v4
	s_wait_dscnt 0x0
	v_dual_max_num_f32 v5, v5, v5 :: v_dual_bitop2_b32 v6, 2, v104 bitop3:0x14
	s_delay_alu instid0(VALU_DEP_1) | instskip(SKIP_1) | instid1(VALU_DEP_1)
	v_cmp_lt_i32_e32 vcc_lo, v6, v105
	v_cndmask_b32_e32 v6, v104, v6, vcc_lo
	v_dual_max_num_f32 v5, v4, v5 :: v_dual_lshlrev_b32 v4, 2, v6
	ds_bpermute_b32 v6, v4, v5
	scratch_store_b32 off, v4, off offset:24 ; 4-byte Folded Spill
	s_wait_xcnt 0x0
	v_and_b32_e32 v4, 31, v124
	scratch_store_b32 off, v4, off offset:32 ; 4-byte Folded Spill
	v_cmp_eq_u32_e32 vcc_lo, 0, v4
	s_wait_xcnt 0x0
	v_lshrrev_b32_e32 v4, 5, v124
	s_delay_alu instid0(VALU_DEP_1)
	v_lshlrev_b32_e32 v4, 2, v4
	s_and_saveexec_b32 s0, vcc_lo
	s_cbranch_execz .LBB34_14
; %bb.13:
	s_wait_dscnt 0x0
	v_dual_max_num_f32 v6, v6, v6 :: v_dual_max_num_f32 v5, v5, v5
	s_delay_alu instid0(VALU_DEP_1)
	v_max_num_f32_e32 v5, v5, v6
	ds_store_b32 v4, v5 offset:768
.LBB34_14:
	s_or_b32 exec_lo, exec_lo, s0
	v_and_b32_e32 v5, 31, v124
	s_wait_dscnt 0x0
	v_mov_b32_e32 v6, 0xff7fffff
	s_wait_storecnt 0x0
	s_barrier_signal -1
	s_barrier_wait -1
	v_cmp_gt_u32_e64 s0, 4, v5
	v_lshlrev_b32_e32 v5, 2, v5
	s_and_saveexec_b32 s1, s0
; %bb.15:
	ds_load_b32 v6, v5 offset:768
; %bb.16:
	s_or_b32 exec_lo, exec_lo, s1
	scratch_load_b32 v7, off, off offset:24 ; 4-byte Folded Reload
	v_dual_lshlrev_b32 v1, 2, v1 :: v_dual_bitop2_b32 v8, 1, v104 bitop3:0x14
	s_wait_loadcnt_dscnt 0x0
	ds_bpermute_b32 v7, v7, v6
	v_max_num_f32_e32 v6, v6, v6
	v_cmp_lt_i32_e64 s1, v8, v105
	s_delay_alu instid0(VALU_DEP_1) | instskip(SKIP_1) | instid1(SALU_CYCLE_1)
	v_cndmask_b32_e64 v8, v104, v8, s1
	s_lshl_b32 s1, s22, 4
	s_min_i32 s4, s1, s21
	s_delay_alu instid0(SALU_CYCLE_1) | instskip(SKIP_2) | instid1(VALU_DEP_1)
	v_cmp_gt_i32_e64 s1, s4, v124
	s_wait_dscnt 0x0
	v_dual_max_num_f32 v7, v7, v7 :: v_dual_lshlrev_b32 v8, 2, v8
	v_max_num_f32_e32 v6, v6, v7
	scratch_store_b32 off, v8, off offset:28 ; 4-byte Folded Spill
	ds_bpermute_b32 v7, v8, v6
	s_wait_dscnt 0x0
	v_max_num_f32_e32 v7, v7, v7
	s_delay_alu instid0(VALU_DEP_1)
	v_max_num_f32_e32 v6, v6, v7
	ds_bpermute_b32 v6, v1, v6
	v_mov_b32_e32 v1, 0
	s_wait_xcnt 0x0
	s_and_saveexec_b32 s15, s1
	s_cbranch_execz .LBB34_20
; %bb.17:
	v_lshl_add_u32 v7, v124, 2, 0x320
	v_dual_mov_b32 v1, 0 :: v_dual_mov_b32 v8, v124
	s_mov_b32 s23, 0
.LBB34_18:                              ; =>This Inner Loop Header: Depth=1
	ds_load_b32 v9, v7
	v_add_nc_u32_e32 v8, 0x80, v8
	s_delay_alu instid0(VALU_DEP_1) | instskip(SKIP_3) | instid1(VALU_DEP_1)
	v_cmp_le_i32_e64 s3, s4, v8
	s_or_b32 s23, s3, s23
	s_wait_dscnt 0x0
	v_sub_f32_e32 v9, v9, v6
	v_mul_f32_e32 v9, 0x3fb8aa3b, v9
	s_delay_alu instid0(VALU_DEP_1)
	v_exp_f32_e32 v9, v9
	ds_store_b32 v7, v9
	v_nop
	v_add_f32_e32 v1, v1, v9
	v_add_nc_u32_e32 v7, 0x200, v7
	s_and_not1_b32 exec_lo, exec_lo, s23
	s_cbranch_execnz .LBB34_18
; %bb.19:
	s_or_b32 exec_lo, exec_lo, s23
.LBB34_20:
	s_delay_alu instid0(SALU_CYCLE_1)
	s_or_b32 exec_lo, exec_lo, s15
	ds_bpermute_b32 v2, v2, v1
	s_wait_dscnt 0x0
	v_add_f32_e32 v1, v1, v2
	ds_bpermute_b32 v0, v0, v1
	s_wait_dscnt 0x0
	v_add_f32_e32 v0, v1, v0
	ds_bpermute_b32 v1, v3, v0
	s_wait_dscnt 0x0
	v_add_f32_e32 v0, v0, v1
	scratch_load_b32 v1, off, off offset:24 ; 4-byte Folded Reload
	s_wait_loadcnt 0x0
	ds_bpermute_b32 v1, v1, v0
	s_wait_dscnt 0x0
	v_add_f32_e32 v0, v0, v1
	scratch_load_b32 v1, off, off offset:28 ; 4-byte Folded Reload
	s_wait_loadcnt 0x0
	ds_bpermute_b32 v1, v1, v0
	s_wait_dscnt 0x0
	v_add_f32_e32 v0, v0, v1
	s_wait_xcnt 0x0
	s_and_saveexec_b32 s3, vcc_lo
; %bb.21:
	ds_store_b32 v4, v0 offset:784
; %bb.22:
	s_or_b32 exec_lo, exec_lo, s3
	s_wait_storecnt_dscnt 0x0
	s_barrier_signal -1
	s_barrier_wait -1
	s_and_saveexec_b32 s3, s0
; %bb.23:
	ds_load_b32 v0, v5 offset:784
; %bb.24:
	s_or_b32 exec_lo, exec_lo, s3
	scratch_load_b32 v1, off, off offset:24 ; 4-byte Folded Reload
	v_lshlrev_b32_e32 v2, 2, v104
	s_wait_loadcnt_dscnt 0x0
	ds_bpermute_b32 v1, v1, v0
	s_wait_dscnt 0x0
	v_add_f32_e32 v0, v0, v1
	scratch_load_b32 v1, off, off offset:28 ; 4-byte Folded Reload
	s_wait_loadcnt 0x0
	ds_bpermute_b32 v1, v1, v0
	s_wait_dscnt 0x0
	v_add_f32_e32 v0, v0, v1
	v_and_b32_e32 v1, 0xffffff80, v2
	ds_bpermute_b32 v0, v1, v0
	s_and_saveexec_b32 s0, s1
	s_cbranch_execz .LBB34_37
; %bb.25:
	s_wait_dscnt 0x0
	v_add_f32_e32 v0, 0x358637bd, v0
	s_mov_b32 s3, -1
	s_mov_b32 s1, exec_lo
	s_delay_alu instid0(VALU_DEP_1) | instskip(NEXT) | instid1(VALU_DEP_1)
	v_div_scale_f32 v1, null, v0, v0, 1.0
	v_rcp_f32_e32 v3, v1
	v_nop
	s_delay_alu instid0(TRANS32_DEP_1) | instskip(NEXT) | instid1(VALU_DEP_1)
	v_fma_f32 v2, -v1, v3, 1.0
	v_fmac_f32_e32 v3, v2, v3
	v_div_scale_f32 v4, vcc_lo, 1.0, v0, 1.0
	s_delay_alu instid0(VALU_DEP_1) | instskip(NEXT) | instid1(VALU_DEP_1)
	v_mul_f32_e32 v5, v4, v3
	v_fma_f32 v2, -v1, v5, v4
	s_delay_alu instid0(VALU_DEP_1) | instskip(SKIP_1) | instid1(VALU_DEP_2)
	v_fmac_f32_e32 v5, v2, v3
	v_xad_u32 v2, v124, -1, s4
	v_fma_f32 v1, -v1, v5, v4
	s_delay_alu instid0(VALU_DEP_1) | instskip(NEXT) | instid1(VALU_DEP_1)
	v_div_fmas_f32 v1, v1, v3, v5
	v_div_fixup_f32 v0, v1, v0, 1.0
	v_mov_b32_e32 v1, v124
	v_cmpx_lt_u32_e32 0x7f, v2
	s_cbranch_execz .LBB34_34
; %bb.26:
	s_delay_alu instid0(VALU_DEP_3) | instskip(NEXT) | instid1(VALU_DEP_1)
	v_dual_mov_b32 v1, v0 :: v_dual_lshrrev_b32 v2, 7, v2
	v_dual_mov_b32 v6, 0 :: v_dual_add_nc_u32 v3, -1, v2
	s_delay_alu instid0(VALU_DEP_1) | instskip(SKIP_1) | instid1(VALU_DEP_2)
	v_lshrrev_b32_e32 v4, 1, v3
	v_cmp_lt_u32_e32 vcc_lo, 13, v3
	v_add_nc_u32_e32 v3, 1, v4
	s_and_saveexec_b32 s3, vcc_lo
	s_cbranch_execz .LBB34_30
; %bb.27:
	s_delay_alu instid0(VALU_DEP_1)
	v_and_b32_e32 v4, -8, v3
	v_lshl_add_u32 v5, v124, 2, 0x320
	s_mov_b32 s15, 0
	s_mov_b32 s23, 0
.LBB34_28:                              ; =>This Inner Loop Header: Depth=1
	ds_load_2addr_stride64_b32 v[6:7], v5 offset1:2
	ds_load_2addr_stride64_b32 v[8:9], v5 offset0:4 offset1:6
	ds_load_2addr_stride64_b32 v[10:11], v5 offset0:8 offset1:10
	;; [unrolled: 1-line block ×7, first 2 shown]
	s_add_co_i32 s23, s23, 16
	v_add_nc_u32_e32 v4, -8, v4
	s_wait_dscnt 0x7
	v_pk_mul_f32 v[6:7], v[0:1], v[6:7]
	s_wait_dscnt 0x6
	v_pk_mul_f32 v[8:9], v[0:1], v[8:9]
	;; [unrolled: 2-line block ×8, first 2 shown]
	ds_store_2addr_stride64_b32 v5, v6, v7 offset1:2
	ds_store_2addr_stride64_b32 v5, v8, v9 offset0:4 offset1:6
	ds_store_2addr_stride64_b32 v5, v10, v11 offset0:8 offset1:10
	;; [unrolled: 1-line block ×7, first 2 shown]
	v_mov_b32_e32 v6, s23
	v_cmp_eq_u32_e32 vcc_lo, 0, v4
	v_add_nc_u32_e32 v5, 0x2000, v5
	s_or_b32 s15, vcc_lo, s15
	s_delay_alu instid0(SALU_CYCLE_1)
	s_and_not1_b32 exec_lo, exec_lo, s15
	s_cbranch_execnz .LBB34_28
; %bb.29:
	s_or_b32 exec_lo, exec_lo, s15
.LBB34_30:
	s_delay_alu instid0(SALU_CYCLE_1) | instskip(NEXT) | instid1(VALU_DEP_1)
	s_or_b32 exec_lo, exec_lo, s3
	v_and_b32_e32 v3, 7, v3
	s_mov_b32 s15, 0
	s_mov_b32 s3, exec_lo
	s_delay_alu instid0(VALU_DEP_1)
	v_cmpx_ne_u32_e32 0, v3
	s_cbranch_execz .LBB34_33
; %bb.31:
	v_lshlrev_b32_e32 v4, 9, v6
	s_delay_alu instid0(VALU_DEP_1)
	v_add3_u32 v4, v4, v126, 0x320
.LBB34_32:                              ; =>This Inner Loop Header: Depth=1
	ds_load_2addr_stride64_b32 v[6:7], v4 offset1:2
	v_add_nc_u32_e32 v3, -1, v3
	s_delay_alu instid0(VALU_DEP_1)
	v_cmp_eq_u32_e32 vcc_lo, 0, v3
	s_or_b32 s15, vcc_lo, s15
	s_wait_dscnt 0x0
	v_pk_mul_f32 v[6:7], v[0:1], v[6:7]
	ds_store_2addr_stride64_b32 v4, v6, v7 offset1:2
	v_add_nc_u32_e32 v4, 0x400, v4
	s_and_not1_b32 exec_lo, exec_lo, s15
	s_cbranch_execnz .LBB34_32
.LBB34_33:
	s_or_b32 exec_lo, exec_lo, s3
	v_add_nc_u32_e32 v1, 1, v2
	s_delay_alu instid0(VALU_DEP_1) | instskip(NEXT) | instid1(VALU_DEP_1)
	v_and_b32_e32 v2, 0x3fffffe, v1
	v_cmp_ne_u32_e32 vcc_lo, v1, v2
	v_lshl_add_u32 v1, v2, 7, v124
	s_or_not1_b32 s3, vcc_lo, exec_lo
.LBB34_34:
	s_or_b32 exec_lo, exec_lo, s1
	s_delay_alu instid0(SALU_CYCLE_1)
	s_and_b32 exec_lo, exec_lo, s3
	s_cbranch_execz .LBB34_37
; %bb.35:
	v_lshl_add_u32 v2, v1, 2, 0x320
	s_mov_b32 s1, 0
.LBB34_36:                              ; =>This Inner Loop Header: Depth=1
	ds_load_b32 v3, v2
	v_add_nc_u32_e32 v1, 0x80, v1
	s_delay_alu instid0(VALU_DEP_1)
	v_cmp_le_i32_e32 vcc_lo, s4, v1
	s_or_b32 s1, vcc_lo, s1
	s_wait_dscnt 0x0
	v_mul_f32_e32 v3, v0, v3
	ds_store_b32 v2, v3
	v_add_nc_u32_e32 v2, 0x200, v2
	s_and_not1_b32 exec_lo, exec_lo, s1
	s_cbranch_execnz .LBB34_36
.LBB34_37:
	s_or_b32 exec_lo, exec_lo, s0
	s_wait_dscnt 0x0
	v_dual_mov_b32 v103, 0 :: v_dual_bitop2_b32 v0, 3, v124 bitop3:0x40
	scratch_store_b32 off, v124, off offset:36 ; 4-byte Folded Spill
	v_dual_mov_b32 v102, 0 :: v_dual_mov_b32 v105, 0
	v_dual_mov_b32 v104, 0 :: v_dual_mov_b32 v107, 0
	;; [unrolled: 1-line block ×11, first 2 shown]
	s_wait_xcnt 0x0
	v_mov_b32_e32 v124, 0
	scratch_store_b32 off, v0, off offset:44 ; 4-byte Folded Spill
	s_wait_storecnt 0x0
	s_barrier_signal -1
	s_barrier_wait -1
	s_wait_xcnt 0x0
	s_and_saveexec_b32 s4, s2
	s_cbranch_execz .LBB34_89
; %bb.38:
	s_clause 0x2
	scratch_load_b32 v0, off, off offset:36
	scratch_load_b32 v2, off, off offset:44
	scratch_load_b32 v3, off, off offset:40
	s_ashr_i32 s15, s14, 31
	v_mov_b32_e32 v103, 0
	s_lshl_b64 s[0:1], s[14:15], 2
	s_ashr_i32 s3, s5, 31
	s_wait_kmcnt 0x0
	s_add_nc_u64 s[0:1], s[16:17], s[0:1]
	s_mov_b32 s2, s5
	s_add_co_i32 s5, s22, -1
	s_wait_loadcnt 0x2
	v_dual_lshlrev_b32 v0, 4, v0 :: v_dual_bitop2_b32 v1, 12, v126 bitop3:0x40
	s_wait_loadcnt 0x1
	v_dual_mov_b32 v105, v103 :: v_dual_lshlrev_b32 v2, 4, v2
	v_dual_mov_b32 v104, v103 :: v_dual_mov_b32 v107, v103
	v_mov_b32_e32 v106, v103
	v_and_b32_e32 v102, 0x1f0, v0
	s_wait_loadcnt 0x0
	v_lshl_or_b32 v2, v3, 6, v2
	v_lshl_or_b32 v0, v3, 4, v1
	v_dual_mov_b32 v109, v103 :: v_dual_mov_b32 v108, v103
	v_add_nc_u64_e32 v[4:5], s[0:1], v[102:103]
	v_and_b32_e32 v102, 0x7c, v127
	s_lshl_b64 s[0:1], s[10:11], 2
	v_add_nc_u32_e32 v1, 0x320, v2
	s_add_nc_u64 s[0:1], s[12:13], s[0:1]
	v_dual_mov_b32 v111, v103 :: v_dual_mov_b32 v110, v103
	scratch_store_b64 off, v[4:5], off offset:16 ; 8-byte Folded Spill
	s_wait_xcnt 0x0
	v_add_nc_u64_e32 v[4:5], s[0:1], v[102:103]
	v_dual_mov_b32 v102, v103 :: v_dual_mov_b32 v113, v103
	v_dual_mov_b32 v112, v103 :: v_dual_mov_b32 v115, v103
	;; [unrolled: 1-line block ×7, first 2 shown]
	v_mov_b32_e32 v124, v103
	s_mov_b32 s11, s21
	s_mov_b32 s10, 0
	s_branch .LBB34_40
.LBB34_39:                              ;   in Loop: Header=BB34_40 Depth=1
	s_or_b32 exec_lo, exec_lo, s1
	s_wait_loadcnt_dscnt 0x200
	v_mul_f32_e32 v94, v6, v94
	s_wait_loadcnt 0x1
	v_mul_f32_e32 v1, v6, v98
	v_mul_f32_e32 v90, v6, v90
	;; [unrolled: 1-line block ×3, first 2 shown]
	v_dual_mul_f32 v78, v6, v78 :: v_dual_fmac_f32 v94, v7, v95
	s_delay_alu instid0(VALU_DEP_4) | instskip(NEXT) | instid1(VALU_DEP_4)
	v_fmac_f32_e32 v1, v7, v99
	v_dual_fmac_f32 v90, v7, v91 :: v_dual_mul_f32 v58, v6, v58
	s_delay_alu instid0(VALU_DEP_3) | instskip(NEXT) | instid1(VALU_DEP_4)
	v_fmac_f32_e32 v78, v7, v79
	v_fmac_f32_e32 v94, v8, v96
	s_delay_alu instid0(VALU_DEP_4) | instskip(NEXT) | instid1(VALU_DEP_4)
	v_fmac_f32_e32 v1, v8, v100
	v_dual_fmac_f32 v90, v8, v92 :: v_dual_mul_f32 v38, v6, v38
	s_delay_alu instid0(VALU_DEP_3) | instskip(NEXT) | instid1(VALU_DEP_3)
	v_dual_mul_f32 v30, v6, v30 :: v_dual_fmac_f32 v94, v9, v97
	v_dual_fmac_f32 v1, v9, v101 :: v_dual_fmac_f32 v86, v7, v87
	s_delay_alu instid0(VALU_DEP_3) | instskip(NEXT) | instid1(VALU_DEP_3)
	v_fmac_f32_e32 v90, v9, v93
	v_dual_fmac_f32 v38, v7, v39 :: v_dual_add_f32 v105, v105, v94
	s_delay_alu instid0(VALU_DEP_3) | instskip(SKIP_4) | instid1(VALU_DEP_4)
	v_dual_add_f32 v102, v102, v1 :: v_dual_fmac_f32 v86, v8, v88
	v_mul_f32_e32 v1, v6, v74
	v_mul_f32_e32 v70, v6, v70
	v_add_f32_e32 v104, v104, v90
	v_fmac_f32_e32 v78, v8, v80
	v_dual_fmac_f32 v86, v9, v89 :: v_dual_fmac_f32 v1, v7, v75
	s_delay_alu instid0(VALU_DEP_4) | instskip(SKIP_1) | instid1(VALU_DEP_3)
	v_dual_mul_f32 v66, v6, v66 :: v_dual_fmac_f32 v70, v7, v71
	v_mul_f32_e32 v62, v6, v62
	v_dual_add_f32 v107, v107, v86 :: v_dual_fmac_f32 v78, v9, v81
	s_delay_alu instid0(VALU_DEP_3) | instskip(NEXT) | instid1(VALU_DEP_3)
	v_dual_fmac_f32 v1, v8, v76 :: v_dual_fmac_f32 v66, v7, v67
	v_fmac_f32_e32 v62, v7, v63
	s_delay_alu instid0(VALU_DEP_3) | instskip(NEXT) | instid1(VALU_DEP_3)
	v_dual_fmac_f32 v70, v8, v72 :: v_dual_add_f32 v106, v106, v78
	v_dual_fmac_f32 v1, v9, v77 :: v_dual_fmac_f32 v66, v8, v68
	s_delay_alu instid0(VALU_DEP_3) | instskip(NEXT) | instid1(VALU_DEP_2)
	v_dual_fmac_f32 v62, v8, v64 :: v_dual_mul_f32 v26, v6, v26
	v_dual_fmac_f32 v38, v8, v40 :: v_dual_add_f32 v109, v109, v1
	s_delay_alu instid0(VALU_DEP_2) | instskip(SKIP_1) | instid1(VALU_DEP_2)
	v_dual_mul_f32 v1, v6, v54 :: v_dual_fmac_f32 v62, v9, v65
	v_dual_fmac_f32 v58, v7, v59 :: v_dual_mul_f32 v46, v6, v46
	v_dual_fmac_f32 v66, v9, v69 :: v_dual_fmac_f32 v1, v7, v55
	s_delay_alu instid0(VALU_DEP_3) | instskip(NEXT) | instid1(VALU_DEP_3)
	v_add_f32_e32 v110, v110, v62
	v_dual_mul_f32 v50, v6, v50 :: v_dual_fmac_f32 v58, v8, v60
	s_delay_alu instid0(VALU_DEP_4) | instskip(NEXT) | instid1(VALU_DEP_2)
	v_dual_mul_f32 v42, v6, v42 :: v_dual_fmac_f32 v46, v7, v47
	v_dual_fmac_f32 v1, v8, v56 :: v_dual_fmac_f32 v50, v7, v51
	s_delay_alu instid0(VALU_DEP_3) | instskip(NEXT) | instid1(VALU_DEP_3)
	v_fmac_f32_e32 v58, v9, v61
	v_fmac_f32_e32 v42, v7, v43
	v_dual_fmac_f32 v70, v9, v73 :: v_dual_add_f32 v111, v111, v66
	s_delay_alu instid0(VALU_DEP_4) | instskip(NEXT) | instid1(VALU_DEP_4)
	v_dual_fmac_f32 v50, v8, v52 :: v_dual_fmac_f32 v1, v9, v57
	v_add_f32_e32 v113, v113, v58
	s_delay_alu instid0(VALU_DEP_3) | instskip(NEXT) | instid1(VALU_DEP_3)
	v_dual_add_f32 v108, v108, v70 :: v_dual_fmac_f32 v38, v9, v41
	v_fmac_f32_e32 v50, v9, v53
	s_delay_alu instid0(VALU_DEP_4) | instskip(SKIP_1) | instid1(VALU_DEP_3)
	v_dual_add_f32 v112, v112, v1 :: v_dual_mul_f32 v1, v6, v34
	v_dual_fmac_f32 v46, v8, v48 :: v_dual_mul_f32 v22, v6, v22
	v_dual_add_f32 v115, v115, v50 :: v_dual_add_nc_u32 v0, 64, v0
	s_delay_alu instid0(VALU_DEP_2) | instskip(SKIP_1) | instid1(VALU_DEP_2)
	v_dual_fmac_f32 v1, v7, v35 :: v_dual_fmac_f32 v46, v9, v49
	v_fmac_f32_e32 v42, v8, v44
	v_dual_fmac_f32 v30, v7, v31 :: v_dual_fmac_f32 v1, v8, v36
	s_delay_alu instid0(VALU_DEP_2) | instskip(SKIP_2) | instid1(VALU_DEP_3)
	v_dual_add_f32 v114, v114, v46 :: v_dual_fmac_f32 v42, v9, v45
	v_dual_fmac_f32 v22, v7, v23 :: v_dual_mul_f32 v23, v6, v18
	v_dual_fmac_f32 v26, v7, v27 :: v_dual_add_f32 v116, v116, v38
	v_add_f32_e32 v117, v117, v42
	v_dual_fmac_f32 v1, v9, v37 :: v_dual_fmac_f32 v30, v8, v32
	s_delay_alu instid0(VALU_DEP_4) | instskip(SKIP_2) | instid1(VALU_DEP_3)
	v_dual_fmac_f32 v23, v7, v19 :: v_dual_mul_f32 v10, v6, v10
	s_wait_loadcnt 0x0
	v_pk_mul_f32 v[18:19], v[6:7], v[82:83]
	v_add_f32_e32 v119, v119, v1
	v_fmac_f32_e32 v30, v9, v33
	v_dual_fmac_f32 v26, v8, v28 :: v_dual_mul_f32 v1, v6, v14
	v_dual_mul_f32 v14, v6, v2 :: v_dual_fmac_f32 v23, v8, v20
	s_delay_alu instid0(VALU_DEP_2) | instskip(NEXT) | instid1(VALU_DEP_3)
	v_dual_add_f32 v118, v118, v30 :: v_dual_fmac_f32 v26, v9, v29
	v_dual_fmac_f32 v22, v8, v24 :: v_dual_fmac_f32 v1, v7, v15
	s_delay_alu instid0(VALU_DEP_3) | instskip(NEXT) | instid1(VALU_DEP_3)
	v_dual_fmac_f32 v10, v7, v11 :: v_dual_fmac_f32 v23, v9, v21
	v_add_f32_e32 v121, v121, v26
	s_delay_alu instid0(VALU_DEP_3) | instskip(NEXT) | instid1(VALU_DEP_4)
	v_fmac_f32_e32 v22, v9, v25
	v_dual_fmac_f32 v14, v7, v3 :: v_dual_fmac_f32 v1, v8, v16
	v_pk_mul_f32 v[2:3], v[8:9], v[84:85]
	v_dual_add_f32 v6, v19, v18 :: v_dual_fmac_f32 v10, v8, v12
	s_delay_alu instid0(VALU_DEP_3) | instskip(NEXT) | instid1(VALU_DEP_2)
	v_dual_fmac_f32 v14, v8, v4 :: v_dual_add_f32 v123, v123, v23
	v_dual_fmac_f32 v1, v9, v17 :: v_dual_add_f32 v2, v2, v6
	s_delay_alu instid0(VALU_DEP_3) | instskip(NEXT) | instid1(VALU_DEP_2)
	v_dual_fmac_f32 v10, v9, v13 :: v_dual_add_f32 v120, v120, v22
	v_add_f32_e32 v2, v3, v2
	scratch_load_b32 v3, off, off offset:12 th:TH_LOAD_LU ; 4-byte Folded Reload
	v_fmac_f32_e32 v14, v9, v5
	scratch_load_b64 v[4:5], off, off offset:4 th:TH_LOAD_LU ; 8-byte Folded Reload
	v_dual_add_f32 v122, v122, v1 :: v_dual_add_f32 v125, v125, v10
	scratch_load_b32 v1, off, off th:TH_LOAD_LU ; 4-byte Folded Reload
	s_wait_loadcnt 0x2
	v_dual_add_f32 v103, v103, v2 :: v_dual_add_nc_u32 v3, 4, v3
	v_add_f32_e32 v124, v124, v14
	s_wait_loadcnt 0x1
	v_add_nc_u64_e32 v[4:5], 16, v[4:5]
	s_delay_alu instid0(VALU_DEP_3)
	v_cmp_le_i32_e32 vcc_lo, s22, v3
	s_wait_loadcnt 0x0
	v_add_nc_u32_e32 v1, 0x100, v1
	s_or_b32 s10, vcc_lo, s10
	s_wait_xcnt 0x0
	s_and_not1_b32 exec_lo, exec_lo, s10
	s_cbranch_execz .LBB34_88
.LBB34_40:                              ; =>This Inner Loop Header: Depth=1
	global_load_b32 v2, v[4:5], off
	v_mov_b32_e32 v10, v3
	ds_load_b128 v[6:9], v1
	v_or_b32_e32 v127, 2, v0
	scratch_store_b32 off, v1, off          ; 4-byte Folded Spill
	s_wait_xcnt 0x0
	v_dual_add_nc_u32 v1, 1, v0 :: v_dual_bitop2_b32 v126, 3, v0 bitop3:0x54
	s_wait_loadcnt 0x0
	v_ashrrev_i32_e32 v3, 31, v2
	s_clause 0x2
	scratch_store_b64 off, v[4:5], off offset:4
	scratch_store_b32 off, v10, off offset:12
	scratch_load_b64 v[4:5], off, off offset:16
	v_cmp_eq_u32_e32 vcc_lo, s5, v10
	v_mul_u64_e32 v[2:3], s[2:3], v[2:3]
	s_wait_loadcnt 0x0
	s_delay_alu instid0(VALU_DEP_1)
	v_lshl_add_u64 v[82:83], v[2:3], 2, v[4:5]
	global_load_b128 v[2:5], v[82:83], off
	s_wait_xcnt 0x0
	s_and_saveexec_b32 s1, vcc_lo
	s_cbranch_execnz .LBB34_64
; %bb.41:                               ;   in Loop: Header=BB34_40 Depth=1
	s_or_b32 exec_lo, exec_lo, s1
	global_load_b128 v[10:13], v[82:83], off offset:512
	s_wait_xcnt 0x0
	s_and_saveexec_b32 s1, vcc_lo
	s_cbranch_execnz .LBB34_65
.LBB34_42:                              ;   in Loop: Header=BB34_40 Depth=1
	s_or_b32 exec_lo, exec_lo, s1
	global_load_b128 v[14:17], v[82:83], off offset:1024
	s_wait_xcnt 0x0
	s_and_saveexec_b32 s1, vcc_lo
	s_cbranch_execnz .LBB34_66
.LBB34_43:                              ;   in Loop: Header=BB34_40 Depth=1
	s_or_b32 exec_lo, exec_lo, s1
	global_load_b128 v[18:21], v[82:83], off offset:1536
	s_wait_xcnt 0x0
	s_and_saveexec_b32 s1, vcc_lo
	s_cbranch_execnz .LBB34_67
.LBB34_44:                              ;   in Loop: Header=BB34_40 Depth=1
	s_or_b32 exec_lo, exec_lo, s1
	global_load_b128 v[22:25], v[82:83], off offset:2048
	s_wait_xcnt 0x0
	s_and_saveexec_b32 s1, vcc_lo
	s_cbranch_execnz .LBB34_68
.LBB34_45:                              ;   in Loop: Header=BB34_40 Depth=1
	s_or_b32 exec_lo, exec_lo, s1
	global_load_b128 v[26:29], v[82:83], off offset:2560
	s_wait_xcnt 0x0
	s_and_saveexec_b32 s1, vcc_lo
	s_cbranch_execnz .LBB34_69
.LBB34_46:                              ;   in Loop: Header=BB34_40 Depth=1
	s_or_b32 exec_lo, exec_lo, s1
	global_load_b128 v[30:33], v[82:83], off offset:3072
	s_wait_xcnt 0x0
	s_and_saveexec_b32 s1, vcc_lo
	s_cbranch_execnz .LBB34_70
.LBB34_47:                              ;   in Loop: Header=BB34_40 Depth=1
	s_or_b32 exec_lo, exec_lo, s1
	global_load_b128 v[34:37], v[82:83], off offset:3584
	s_wait_xcnt 0x0
	s_and_saveexec_b32 s1, vcc_lo
	s_cbranch_execnz .LBB34_71
.LBB34_48:                              ;   in Loop: Header=BB34_40 Depth=1
	s_or_b32 exec_lo, exec_lo, s1
	global_load_b128 v[38:41], v[82:83], off offset:4096
	s_wait_xcnt 0x0
	s_and_saveexec_b32 s1, vcc_lo
	s_cbranch_execnz .LBB34_72
.LBB34_49:                              ;   in Loop: Header=BB34_40 Depth=1
	s_or_b32 exec_lo, exec_lo, s1
	global_load_b128 v[42:45], v[82:83], off offset:4608
	s_wait_xcnt 0x0
	s_and_saveexec_b32 s1, vcc_lo
	s_cbranch_execnz .LBB34_73
.LBB34_50:                              ;   in Loop: Header=BB34_40 Depth=1
	s_or_b32 exec_lo, exec_lo, s1
	global_load_b128 v[46:49], v[82:83], off offset:5120
	s_wait_xcnt 0x0
	s_and_saveexec_b32 s1, vcc_lo
	s_cbranch_execnz .LBB34_74
.LBB34_51:                              ;   in Loop: Header=BB34_40 Depth=1
	s_or_b32 exec_lo, exec_lo, s1
	global_load_b128 v[50:53], v[82:83], off offset:5632
	s_wait_xcnt 0x0
	s_and_saveexec_b32 s1, vcc_lo
	s_cbranch_execnz .LBB34_75
.LBB34_52:                              ;   in Loop: Header=BB34_40 Depth=1
	s_or_b32 exec_lo, exec_lo, s1
	global_load_b128 v[54:57], v[82:83], off offset:6144
	s_wait_xcnt 0x0
	s_and_saveexec_b32 s1, vcc_lo
	s_cbranch_execnz .LBB34_76
.LBB34_53:                              ;   in Loop: Header=BB34_40 Depth=1
	s_or_b32 exec_lo, exec_lo, s1
	global_load_b128 v[58:61], v[82:83], off offset:6656
	s_wait_xcnt 0x0
	s_and_saveexec_b32 s1, vcc_lo
	s_cbranch_execnz .LBB34_77
.LBB34_54:                              ;   in Loop: Header=BB34_40 Depth=1
	s_or_b32 exec_lo, exec_lo, s1
	global_load_b128 v[62:65], v[82:83], off offset:7168
	s_wait_xcnt 0x0
	s_and_saveexec_b32 s1, vcc_lo
	s_cbranch_execnz .LBB34_78
.LBB34_55:                              ;   in Loop: Header=BB34_40 Depth=1
	s_or_b32 exec_lo, exec_lo, s1
	global_load_b128 v[66:69], v[82:83], off offset:7680
	s_wait_xcnt 0x0
	s_and_saveexec_b32 s1, vcc_lo
	s_cbranch_execnz .LBB34_79
.LBB34_56:                              ;   in Loop: Header=BB34_40 Depth=1
	s_or_b32 exec_lo, exec_lo, s1
	global_load_b128 v[70:73], v[82:83], off offset:8192
	s_wait_xcnt 0x0
	s_and_saveexec_b32 s1, vcc_lo
	s_cbranch_execnz .LBB34_80
.LBB34_57:                              ;   in Loop: Header=BB34_40 Depth=1
	s_or_b32 exec_lo, exec_lo, s1
	global_load_b128 v[74:77], v[82:83], off offset:8704
	s_wait_xcnt 0x0
	s_and_saveexec_b32 s1, vcc_lo
	s_cbranch_execnz .LBB34_81
.LBB34_58:                              ;   in Loop: Header=BB34_40 Depth=1
	s_or_b32 exec_lo, exec_lo, s1
	global_load_b128 v[78:81], v[82:83], off offset:9216
	s_wait_xcnt 0x0
	s_and_saveexec_b32 s1, vcc_lo
	s_cbranch_execnz .LBB34_82
.LBB34_59:                              ;   in Loop: Header=BB34_40 Depth=1
	s_or_b32 exec_lo, exec_lo, s1
	global_load_b128 v[86:89], v[82:83], off offset:9728
	s_wait_xcnt 0x0
	s_and_saveexec_b32 s1, vcc_lo
	s_cbranch_execnz .LBB34_83
.LBB34_60:                              ;   in Loop: Header=BB34_40 Depth=1
	s_or_b32 exec_lo, exec_lo, s1
	global_load_b128 v[90:93], v[82:83], off offset:10240
	s_wait_xcnt 0x0
	s_and_saveexec_b32 s12, vcc_lo
	s_cbranch_execnz .LBB34_84
.LBB34_61:                              ;   in Loop: Header=BB34_40 Depth=1
	s_or_b32 exec_lo, exec_lo, s12
	global_load_b128 v[94:97], v[82:83], off offset:10752
	s_wait_xcnt 0x0
	s_and_saveexec_b32 s12, vcc_lo
	s_cbranch_execnz .LBB34_85
.LBB34_62:                              ;   in Loop: Header=BB34_40 Depth=1
	s_or_b32 exec_lo, exec_lo, s12
	global_load_b128 v[98:101], v[82:83], off offset:11264
	s_wait_xcnt 0x0
	s_and_saveexec_b32 s12, vcc_lo
	s_cbranch_execnz .LBB34_86
.LBB34_63:                              ;   in Loop: Header=BB34_40 Depth=1
	s_or_b32 exec_lo, exec_lo, s12
	global_load_b128 v[82:85], v[82:83], off offset:11776
	s_wait_xcnt 0x0
	s_and_saveexec_b32 s1, vcc_lo
	s_cbranch_execz .LBB34_39
	s_branch .LBB34_87
.LBB34_64:                              ;   in Loop: Header=BB34_40 Depth=1
	v_cmp_gt_i32_e64 s0, s11, v1
	s_wait_loadcnt 0x0
	s_delay_alu instid0(VALU_DEP_1) | instskip(SKIP_1) | instid1(VALU_DEP_1)
	v_cndmask_b32_e64 v3, 0, v3, s0
	v_cmp_gt_i32_e64 s0, s21, v0
	v_cndmask_b32_e64 v2, 0, v2, s0
	v_cmp_gt_i32_e64 s0, s11, v126
	s_delay_alu instid0(VALU_DEP_1) | instskip(SKIP_1) | instid1(VALU_DEP_1)
	v_cndmask_b32_e64 v5, 0, v5, s0
	v_cmp_gt_i32_e64 s0, s21, v127
	v_cndmask_b32_e64 v4, 0, v4, s0
	s_or_b32 exec_lo, exec_lo, s1
	global_load_b128 v[10:13], v[82:83], off offset:512
	s_wait_xcnt 0x0
	s_and_saveexec_b32 s1, vcc_lo
	s_cbranch_execz .LBB34_42
.LBB34_65:                              ;   in Loop: Header=BB34_40 Depth=1
	v_cmp_gt_i32_e64 s0, s11, v1
	s_wait_loadcnt 0x0
	s_delay_alu instid0(VALU_DEP_1) | instskip(SKIP_1) | instid1(VALU_DEP_1)
	v_cndmask_b32_e64 v11, 0, v11, s0
	v_cmp_gt_i32_e64 s0, s21, v0
	v_cndmask_b32_e64 v10, 0, v10, s0
	v_cmp_gt_i32_e64 s0, s11, v126
	s_delay_alu instid0(VALU_DEP_1) | instskip(SKIP_1) | instid1(VALU_DEP_1)
	v_cndmask_b32_e64 v13, 0, v13, s0
	v_cmp_gt_i32_e64 s0, s21, v127
	v_cndmask_b32_e64 v12, 0, v12, s0
	s_or_b32 exec_lo, exec_lo, s1
	global_load_b128 v[14:17], v[82:83], off offset:1024
	s_wait_xcnt 0x0
	s_and_saveexec_b32 s1, vcc_lo
	s_cbranch_execz .LBB34_43
.LBB34_66:                              ;   in Loop: Header=BB34_40 Depth=1
	v_cmp_gt_i32_e64 s0, s11, v1
	s_wait_loadcnt 0x0
	s_delay_alu instid0(VALU_DEP_1) | instskip(SKIP_1) | instid1(VALU_DEP_1)
	v_cndmask_b32_e64 v15, 0, v15, s0
	v_cmp_gt_i32_e64 s0, s21, v0
	v_cndmask_b32_e64 v14, 0, v14, s0
	v_cmp_gt_i32_e64 s0, s11, v126
	s_delay_alu instid0(VALU_DEP_1) | instskip(SKIP_1) | instid1(VALU_DEP_1)
	v_cndmask_b32_e64 v17, 0, v17, s0
	v_cmp_gt_i32_e64 s0, s21, v127
	v_cndmask_b32_e64 v16, 0, v16, s0
	s_or_b32 exec_lo, exec_lo, s1
	global_load_b128 v[18:21], v[82:83], off offset:1536
	s_wait_xcnt 0x0
	s_and_saveexec_b32 s1, vcc_lo
	s_cbranch_execz .LBB34_44
.LBB34_67:                              ;   in Loop: Header=BB34_40 Depth=1
	v_cmp_gt_i32_e64 s0, s11, v1
	s_wait_loadcnt 0x0
	s_delay_alu instid0(VALU_DEP_1) | instskip(SKIP_1) | instid1(VALU_DEP_1)
	v_cndmask_b32_e64 v19, 0, v19, s0
	v_cmp_gt_i32_e64 s0, s21, v0
	v_cndmask_b32_e64 v18, 0, v18, s0
	v_cmp_gt_i32_e64 s0, s11, v126
	s_delay_alu instid0(VALU_DEP_1) | instskip(SKIP_1) | instid1(VALU_DEP_1)
	v_cndmask_b32_e64 v21, 0, v21, s0
	v_cmp_gt_i32_e64 s0, s21, v127
	v_cndmask_b32_e64 v20, 0, v20, s0
	s_or_b32 exec_lo, exec_lo, s1
	global_load_b128 v[22:25], v[82:83], off offset:2048
	s_wait_xcnt 0x0
	s_and_saveexec_b32 s1, vcc_lo
	s_cbranch_execz .LBB34_45
.LBB34_68:                              ;   in Loop: Header=BB34_40 Depth=1
	v_cmp_gt_i32_e64 s0, s11, v1
	s_wait_loadcnt 0x0
	s_delay_alu instid0(VALU_DEP_1) | instskip(SKIP_1) | instid1(VALU_DEP_1)
	v_cndmask_b32_e64 v23, 0, v23, s0
	v_cmp_gt_i32_e64 s0, s21, v0
	v_cndmask_b32_e64 v22, 0, v22, s0
	v_cmp_gt_i32_e64 s0, s11, v126
	s_delay_alu instid0(VALU_DEP_1) | instskip(SKIP_1) | instid1(VALU_DEP_1)
	v_cndmask_b32_e64 v25, 0, v25, s0
	v_cmp_gt_i32_e64 s0, s21, v127
	v_cndmask_b32_e64 v24, 0, v24, s0
	s_or_b32 exec_lo, exec_lo, s1
	global_load_b128 v[26:29], v[82:83], off offset:2560
	s_wait_xcnt 0x0
	s_and_saveexec_b32 s1, vcc_lo
	s_cbranch_execz .LBB34_46
.LBB34_69:                              ;   in Loop: Header=BB34_40 Depth=1
	v_cmp_gt_i32_e64 s0, s11, v1
	s_wait_loadcnt 0x0
	s_delay_alu instid0(VALU_DEP_1) | instskip(SKIP_1) | instid1(VALU_DEP_1)
	v_cndmask_b32_e64 v27, 0, v27, s0
	v_cmp_gt_i32_e64 s0, s21, v0
	v_cndmask_b32_e64 v26, 0, v26, s0
	v_cmp_gt_i32_e64 s0, s11, v126
	s_delay_alu instid0(VALU_DEP_1) | instskip(SKIP_1) | instid1(VALU_DEP_1)
	v_cndmask_b32_e64 v29, 0, v29, s0
	v_cmp_gt_i32_e64 s0, s21, v127
	v_cndmask_b32_e64 v28, 0, v28, s0
	s_or_b32 exec_lo, exec_lo, s1
	global_load_b128 v[30:33], v[82:83], off offset:3072
	s_wait_xcnt 0x0
	s_and_saveexec_b32 s1, vcc_lo
	s_cbranch_execz .LBB34_47
.LBB34_70:                              ;   in Loop: Header=BB34_40 Depth=1
	v_cmp_gt_i32_e64 s0, s11, v1
	s_wait_loadcnt 0x0
	s_delay_alu instid0(VALU_DEP_1) | instskip(SKIP_1) | instid1(VALU_DEP_1)
	v_cndmask_b32_e64 v31, 0, v31, s0
	v_cmp_gt_i32_e64 s0, s21, v0
	v_cndmask_b32_e64 v30, 0, v30, s0
	v_cmp_gt_i32_e64 s0, s11, v126
	s_delay_alu instid0(VALU_DEP_1) | instskip(SKIP_1) | instid1(VALU_DEP_1)
	v_cndmask_b32_e64 v33, 0, v33, s0
	v_cmp_gt_i32_e64 s0, s21, v127
	v_cndmask_b32_e64 v32, 0, v32, s0
	s_or_b32 exec_lo, exec_lo, s1
	global_load_b128 v[34:37], v[82:83], off offset:3584
	s_wait_xcnt 0x0
	s_and_saveexec_b32 s1, vcc_lo
	s_cbranch_execz .LBB34_48
.LBB34_71:                              ;   in Loop: Header=BB34_40 Depth=1
	v_cmp_gt_i32_e64 s0, s11, v1
	s_wait_loadcnt 0x0
	s_delay_alu instid0(VALU_DEP_1) | instskip(SKIP_1) | instid1(VALU_DEP_1)
	v_cndmask_b32_e64 v35, 0, v35, s0
	v_cmp_gt_i32_e64 s0, s21, v0
	v_cndmask_b32_e64 v34, 0, v34, s0
	v_cmp_gt_i32_e64 s0, s11, v126
	s_delay_alu instid0(VALU_DEP_1) | instskip(SKIP_1) | instid1(VALU_DEP_1)
	v_cndmask_b32_e64 v37, 0, v37, s0
	v_cmp_gt_i32_e64 s0, s21, v127
	v_cndmask_b32_e64 v36, 0, v36, s0
	s_or_b32 exec_lo, exec_lo, s1
	global_load_b128 v[38:41], v[82:83], off offset:4096
	s_wait_xcnt 0x0
	s_and_saveexec_b32 s1, vcc_lo
	s_cbranch_execz .LBB34_49
.LBB34_72:                              ;   in Loop: Header=BB34_40 Depth=1
	v_cmp_gt_i32_e64 s0, s11, v1
	s_wait_loadcnt 0x0
	s_delay_alu instid0(VALU_DEP_1) | instskip(SKIP_1) | instid1(VALU_DEP_1)
	v_cndmask_b32_e64 v39, 0, v39, s0
	v_cmp_gt_i32_e64 s0, s21, v0
	v_cndmask_b32_e64 v38, 0, v38, s0
	v_cmp_gt_i32_e64 s0, s11, v126
	s_delay_alu instid0(VALU_DEP_1) | instskip(SKIP_1) | instid1(VALU_DEP_1)
	v_cndmask_b32_e64 v41, 0, v41, s0
	v_cmp_gt_i32_e64 s0, s21, v127
	v_cndmask_b32_e64 v40, 0, v40, s0
	s_or_b32 exec_lo, exec_lo, s1
	global_load_b128 v[42:45], v[82:83], off offset:4608
	s_wait_xcnt 0x0
	s_and_saveexec_b32 s1, vcc_lo
	s_cbranch_execz .LBB34_50
.LBB34_73:                              ;   in Loop: Header=BB34_40 Depth=1
	v_cmp_gt_i32_e64 s0, s11, v1
	s_wait_loadcnt 0x0
	s_delay_alu instid0(VALU_DEP_1) | instskip(SKIP_1) | instid1(VALU_DEP_1)
	v_cndmask_b32_e64 v43, 0, v43, s0
	v_cmp_gt_i32_e64 s0, s21, v0
	v_cndmask_b32_e64 v42, 0, v42, s0
	v_cmp_gt_i32_e64 s0, s11, v126
	s_delay_alu instid0(VALU_DEP_1) | instskip(SKIP_1) | instid1(VALU_DEP_1)
	v_cndmask_b32_e64 v45, 0, v45, s0
	v_cmp_gt_i32_e64 s0, s21, v127
	v_cndmask_b32_e64 v44, 0, v44, s0
	s_or_b32 exec_lo, exec_lo, s1
	global_load_b128 v[46:49], v[82:83], off offset:5120
	s_wait_xcnt 0x0
	s_and_saveexec_b32 s1, vcc_lo
	s_cbranch_execz .LBB34_51
.LBB34_74:                              ;   in Loop: Header=BB34_40 Depth=1
	v_cmp_gt_i32_e64 s0, s11, v1
	s_wait_loadcnt 0x0
	s_delay_alu instid0(VALU_DEP_1) | instskip(SKIP_1) | instid1(VALU_DEP_1)
	v_cndmask_b32_e64 v47, 0, v47, s0
	v_cmp_gt_i32_e64 s0, s21, v0
	v_cndmask_b32_e64 v46, 0, v46, s0
	v_cmp_gt_i32_e64 s0, s11, v126
	s_delay_alu instid0(VALU_DEP_1) | instskip(SKIP_1) | instid1(VALU_DEP_1)
	v_cndmask_b32_e64 v49, 0, v49, s0
	v_cmp_gt_i32_e64 s0, s21, v127
	v_cndmask_b32_e64 v48, 0, v48, s0
	s_or_b32 exec_lo, exec_lo, s1
	global_load_b128 v[50:53], v[82:83], off offset:5632
	s_wait_xcnt 0x0
	s_and_saveexec_b32 s1, vcc_lo
	s_cbranch_execz .LBB34_52
.LBB34_75:                              ;   in Loop: Header=BB34_40 Depth=1
	v_cmp_gt_i32_e64 s0, s11, v1
	s_wait_loadcnt 0x0
	s_delay_alu instid0(VALU_DEP_1) | instskip(SKIP_1) | instid1(VALU_DEP_1)
	v_cndmask_b32_e64 v51, 0, v51, s0
	v_cmp_gt_i32_e64 s0, s21, v0
	v_cndmask_b32_e64 v50, 0, v50, s0
	v_cmp_gt_i32_e64 s0, s11, v126
	s_delay_alu instid0(VALU_DEP_1) | instskip(SKIP_1) | instid1(VALU_DEP_1)
	v_cndmask_b32_e64 v53, 0, v53, s0
	v_cmp_gt_i32_e64 s0, s21, v127
	v_cndmask_b32_e64 v52, 0, v52, s0
	s_or_b32 exec_lo, exec_lo, s1
	global_load_b128 v[54:57], v[82:83], off offset:6144
	s_wait_xcnt 0x0
	s_and_saveexec_b32 s1, vcc_lo
	s_cbranch_execz .LBB34_53
.LBB34_76:                              ;   in Loop: Header=BB34_40 Depth=1
	v_cmp_gt_i32_e64 s0, s11, v1
	s_wait_loadcnt 0x0
	s_delay_alu instid0(VALU_DEP_1) | instskip(SKIP_1) | instid1(VALU_DEP_1)
	v_cndmask_b32_e64 v55, 0, v55, s0
	v_cmp_gt_i32_e64 s0, s21, v0
	v_cndmask_b32_e64 v54, 0, v54, s0
	v_cmp_gt_i32_e64 s0, s11, v126
	s_delay_alu instid0(VALU_DEP_1) | instskip(SKIP_1) | instid1(VALU_DEP_1)
	v_cndmask_b32_e64 v57, 0, v57, s0
	v_cmp_gt_i32_e64 s0, s21, v127
	v_cndmask_b32_e64 v56, 0, v56, s0
	s_or_b32 exec_lo, exec_lo, s1
	global_load_b128 v[58:61], v[82:83], off offset:6656
	s_wait_xcnt 0x0
	s_and_saveexec_b32 s1, vcc_lo
	s_cbranch_execz .LBB34_54
.LBB34_77:                              ;   in Loop: Header=BB34_40 Depth=1
	v_cmp_gt_i32_e64 s0, s11, v1
	s_wait_loadcnt 0x0
	s_delay_alu instid0(VALU_DEP_1) | instskip(SKIP_1) | instid1(VALU_DEP_1)
	v_cndmask_b32_e64 v59, 0, v59, s0
	v_cmp_gt_i32_e64 s0, s21, v0
	v_cndmask_b32_e64 v58, 0, v58, s0
	v_cmp_gt_i32_e64 s0, s11, v126
	s_delay_alu instid0(VALU_DEP_1) | instskip(SKIP_1) | instid1(VALU_DEP_1)
	v_cndmask_b32_e64 v61, 0, v61, s0
	v_cmp_gt_i32_e64 s0, s21, v127
	v_cndmask_b32_e64 v60, 0, v60, s0
	s_or_b32 exec_lo, exec_lo, s1
	global_load_b128 v[62:65], v[82:83], off offset:7168
	s_wait_xcnt 0x0
	s_and_saveexec_b32 s1, vcc_lo
	s_cbranch_execz .LBB34_55
.LBB34_78:                              ;   in Loop: Header=BB34_40 Depth=1
	v_cmp_gt_i32_e64 s0, s11, v1
	s_wait_loadcnt 0x0
	s_delay_alu instid0(VALU_DEP_1) | instskip(SKIP_1) | instid1(VALU_DEP_1)
	v_cndmask_b32_e64 v63, 0, v63, s0
	v_cmp_gt_i32_e64 s0, s21, v0
	v_cndmask_b32_e64 v62, 0, v62, s0
	v_cmp_gt_i32_e64 s0, s11, v126
	s_delay_alu instid0(VALU_DEP_1) | instskip(SKIP_1) | instid1(VALU_DEP_1)
	v_cndmask_b32_e64 v65, 0, v65, s0
	v_cmp_gt_i32_e64 s0, s21, v127
	v_cndmask_b32_e64 v64, 0, v64, s0
	s_or_b32 exec_lo, exec_lo, s1
	global_load_b128 v[66:69], v[82:83], off offset:7680
	s_wait_xcnt 0x0
	s_and_saveexec_b32 s1, vcc_lo
	s_cbranch_execz .LBB34_56
.LBB34_79:                              ;   in Loop: Header=BB34_40 Depth=1
	v_cmp_gt_i32_e64 s0, s11, v1
	s_wait_loadcnt 0x0
	s_delay_alu instid0(VALU_DEP_1) | instskip(SKIP_1) | instid1(VALU_DEP_1)
	v_cndmask_b32_e64 v67, 0, v67, s0
	v_cmp_gt_i32_e64 s0, s21, v0
	v_cndmask_b32_e64 v66, 0, v66, s0
	v_cmp_gt_i32_e64 s0, s11, v126
	s_delay_alu instid0(VALU_DEP_1) | instskip(SKIP_1) | instid1(VALU_DEP_1)
	v_cndmask_b32_e64 v69, 0, v69, s0
	v_cmp_gt_i32_e64 s0, s21, v127
	v_cndmask_b32_e64 v68, 0, v68, s0
	s_or_b32 exec_lo, exec_lo, s1
	global_load_b128 v[70:73], v[82:83], off offset:8192
	s_wait_xcnt 0x0
	s_and_saveexec_b32 s1, vcc_lo
	s_cbranch_execz .LBB34_57
.LBB34_80:                              ;   in Loop: Header=BB34_40 Depth=1
	v_cmp_gt_i32_e64 s0, s11, v1
	s_wait_loadcnt 0x0
	s_delay_alu instid0(VALU_DEP_1) | instskip(SKIP_1) | instid1(VALU_DEP_1)
	v_cndmask_b32_e64 v71, 0, v71, s0
	v_cmp_gt_i32_e64 s0, s21, v0
	v_cndmask_b32_e64 v70, 0, v70, s0
	v_cmp_gt_i32_e64 s0, s11, v126
	s_delay_alu instid0(VALU_DEP_1) | instskip(SKIP_1) | instid1(VALU_DEP_1)
	v_cndmask_b32_e64 v73, 0, v73, s0
	v_cmp_gt_i32_e64 s0, s21, v127
	v_cndmask_b32_e64 v72, 0, v72, s0
	s_or_b32 exec_lo, exec_lo, s1
	global_load_b128 v[74:77], v[82:83], off offset:8704
	s_wait_xcnt 0x0
	s_and_saveexec_b32 s1, vcc_lo
	s_cbranch_execz .LBB34_58
.LBB34_81:                              ;   in Loop: Header=BB34_40 Depth=1
	v_cmp_gt_i32_e64 s0, s11, v1
	s_wait_loadcnt 0x0
	s_delay_alu instid0(VALU_DEP_1) | instskip(SKIP_1) | instid1(VALU_DEP_1)
	v_cndmask_b32_e64 v75, 0, v75, s0
	v_cmp_gt_i32_e64 s0, s21, v0
	v_cndmask_b32_e64 v74, 0, v74, s0
	v_cmp_gt_i32_e64 s0, s11, v126
	s_delay_alu instid0(VALU_DEP_1) | instskip(SKIP_1) | instid1(VALU_DEP_1)
	v_cndmask_b32_e64 v77, 0, v77, s0
	v_cmp_gt_i32_e64 s0, s21, v127
	v_cndmask_b32_e64 v76, 0, v76, s0
	s_or_b32 exec_lo, exec_lo, s1
	global_load_b128 v[78:81], v[82:83], off offset:9216
	s_wait_xcnt 0x0
	s_and_saveexec_b32 s1, vcc_lo
	s_cbranch_execz .LBB34_59
.LBB34_82:                              ;   in Loop: Header=BB34_40 Depth=1
	v_cmp_gt_i32_e64 s0, s11, v1
	s_wait_loadcnt 0x0
	s_delay_alu instid0(VALU_DEP_1) | instskip(SKIP_1) | instid1(VALU_DEP_1)
	v_cndmask_b32_e64 v79, 0, v79, s0
	v_cmp_gt_i32_e64 s0, s21, v0
	v_cndmask_b32_e64 v78, 0, v78, s0
	v_cmp_gt_i32_e64 s0, s11, v126
	s_delay_alu instid0(VALU_DEP_1) | instskip(SKIP_1) | instid1(VALU_DEP_1)
	v_cndmask_b32_e64 v81, 0, v81, s0
	v_cmp_gt_i32_e64 s0, s21, v127
	v_cndmask_b32_e64 v80, 0, v80, s0
	s_or_b32 exec_lo, exec_lo, s1
	global_load_b128 v[86:89], v[82:83], off offset:9728
	s_wait_xcnt 0x0
	s_and_saveexec_b32 s1, vcc_lo
	s_cbranch_execz .LBB34_60
.LBB34_83:                              ;   in Loop: Header=BB34_40 Depth=1
	v_cmp_gt_i32_e64 s0, s11, v1
	s_wait_loadcnt 0x0
	s_delay_alu instid0(VALU_DEP_1) | instskip(SKIP_1) | instid1(VALU_DEP_1)
	v_cndmask_b32_e64 v87, 0, v87, s0
	v_cmp_gt_i32_e64 s0, s21, v0
	v_cndmask_b32_e64 v86, 0, v86, s0
	v_cmp_gt_i32_e64 s0, s11, v126
	s_delay_alu instid0(VALU_DEP_1) | instskip(SKIP_1) | instid1(VALU_DEP_1)
	v_cndmask_b32_e64 v89, 0, v89, s0
	v_cmp_gt_i32_e64 s0, s21, v127
	v_cndmask_b32_e64 v88, 0, v88, s0
	s_or_b32 exec_lo, exec_lo, s1
	global_load_b128 v[90:93], v[82:83], off offset:10240
	s_wait_xcnt 0x0
	s_and_saveexec_b32 s12, vcc_lo
	s_cbranch_execz .LBB34_61
.LBB34_84:                              ;   in Loop: Header=BB34_40 Depth=1
	v_cmp_gt_i32_e64 s0, s21, v0
	v_cmp_gt_i32_e64 s1, s11, v1
	s_wait_loadcnt 0x0
	s_delay_alu instid0(VALU_DEP_1) | instskip(SKIP_2) | instid1(VALU_DEP_1)
	v_dual_cndmask_b32 v90, 0, v90, s0 :: v_dual_cndmask_b32 v91, 0, v91, s1
	v_cmp_gt_i32_e64 s0, s21, v127
	v_cmp_gt_i32_e64 s1, s11, v126
	v_dual_cndmask_b32 v92, 0, v92, s0 :: v_dual_cndmask_b32 v93, 0, v93, s1
	s_or_b32 exec_lo, exec_lo, s12
	global_load_b128 v[94:97], v[82:83], off offset:10752
	s_wait_xcnt 0x0
	s_and_saveexec_b32 s12, vcc_lo
	s_cbranch_execz .LBB34_62
.LBB34_85:                              ;   in Loop: Header=BB34_40 Depth=1
	v_cmp_gt_i32_e64 s0, s21, v0
	v_cmp_gt_i32_e64 s1, s11, v1
	s_wait_loadcnt 0x0
	s_delay_alu instid0(VALU_DEP_1) | instskip(SKIP_2) | instid1(VALU_DEP_1)
	v_dual_cndmask_b32 v94, 0, v94, s0 :: v_dual_cndmask_b32 v95, 0, v95, s1
	v_cmp_gt_i32_e64 s0, s21, v127
	v_cmp_gt_i32_e64 s1, s11, v126
	v_dual_cndmask_b32 v96, 0, v96, s0 :: v_dual_cndmask_b32 v97, 0, v97, s1
	s_or_b32 exec_lo, exec_lo, s12
	global_load_b128 v[98:101], v[82:83], off offset:11264
	s_wait_xcnt 0x0
	s_and_saveexec_b32 s12, vcc_lo
	s_cbranch_execz .LBB34_63
.LBB34_86:                              ;   in Loop: Header=BB34_40 Depth=1
	v_cmp_gt_i32_e64 s0, s21, v0
	v_cmp_gt_i32_e64 s1, s11, v1
	s_wait_loadcnt 0x0
	s_delay_alu instid0(VALU_DEP_1) | instskip(SKIP_2) | instid1(VALU_DEP_1)
	v_dual_cndmask_b32 v98, 0, v98, s0 :: v_dual_cndmask_b32 v99, 0, v99, s1
	v_cmp_gt_i32_e64 s0, s21, v127
	v_cmp_gt_i32_e64 s1, s11, v126
	v_dual_cndmask_b32 v100, 0, v100, s0 :: v_dual_cndmask_b32 v101, 0, v101, s1
	s_or_b32 exec_lo, exec_lo, s12
	global_load_b128 v[82:85], v[82:83], off offset:11776
	s_wait_xcnt 0x0
	s_and_saveexec_b32 s1, vcc_lo
	s_cbranch_execz .LBB34_39
.LBB34_87:                              ;   in Loop: Header=BB34_40 Depth=1
	v_cmp_gt_i32_e32 vcc_lo, s21, v0
	v_cmp_gt_i32_e64 s0, s11, v1
	s_wait_loadcnt 0x0
	s_delay_alu instid0(VALU_DEP_1) | instskip(SKIP_2) | instid1(VALU_DEP_1)
	v_dual_cndmask_b32 v82, 0, v82, vcc_lo :: v_dual_cndmask_b32 v83, 0, v83, s0
	v_cmp_gt_i32_e32 vcc_lo, s21, v127
	v_cmp_gt_i32_e64 s0, s11, v126
	v_dual_cndmask_b32 v84, 0, v84, vcc_lo :: v_dual_cndmask_b32 v85, 0, v85, s0
	s_branch .LBB34_39
.LBB34_88:
	s_or_b32 exec_lo, exec_lo, s10
.LBB34_89:
	s_delay_alu instid0(SALU_CYCLE_1)
	s_or_b32 exec_lo, exec_lo, s4
	s_clause 0x1
	scratch_load_b32 v34, off, off offset:24 th:TH_LOAD_LU
	scratch_load_b32 v54, off, off offset:28 th:TH_LOAD_LU
	s_mov_b32 s0, exec_lo
	s_wait_loadcnt 0x1
	ds_bpermute_b32 v4, v34, v120
	ds_bpermute_b32 v5, v34, v121
	;; [unrolled: 1-line block ×21, first 2 shown]
	s_wait_dscnt 0x13
	v_pk_add_f32 v[4:5], v[120:121], v[4:5]
	ds_bpermute_b32 v25, v34, v105
	s_wait_dscnt 0x12
	v_pk_add_f32 v[32:33], v[114:115], v[10:11]
	s_wait_dscnt 0x10
	v_pk_add_f32 v[30:31], v[116:117], v[8:9]
	s_wait_loadcnt 0x0
	ds_bpermute_b32 v26, v54, v4
	ds_bpermute_b32 v27, v54, v5
	ds_bpermute_b32 v36, v54, v32
	ds_bpermute_b32 v37, v54, v33
	ds_bpermute_b32 v8, v34, v102
	ds_bpermute_b32 v9, v34, v103
	s_wait_dscnt 0x14
	v_pk_add_f32 v[0:1], v[124:125], v[0:1]
	s_wait_dscnt 0x12
	v_pk_add_f32 v[2:3], v[122:123], v[2:3]
	;; [unrolled: 2-line block ×6, first 2 shown]
	ds_bpermute_b32 v18, v54, v0
	s_wait_dscnt 0x9
	v_pk_add_f32 v[44:45], v[106:107], v[22:23]
	ds_bpermute_b32 v19, v54, v1
	ds_bpermute_b32 v20, v54, v2
	s_wait_dscnt 0x9
	v_pk_add_f32 v[46:47], v[104:105], v[24:25]
	ds_bpermute_b32 v21, v54, v3
	ds_bpermute_b32 v28, v54, v6
	;; [unrolled: 1-line block ×4, first 2 shown]
	s_wait_dscnt 0xb
	v_pk_add_f32 v[10:11], v[4:5], v[26:27]
	scratch_load_b32 v26, off, off offset:32 ; 4-byte Folded Reload
	s_wait_dscnt 0x9
	v_pk_add_f32 v[4:5], v[32:33], v[36:37]
	scratch_load_b32 v36, off, off offset:36 ; 4-byte Folded Reload
	ds_bpermute_b32 v35, v54, v31
	ds_bpermute_b32 v40, v54, v12
	;; [unrolled: 1-line block ×11, first 2 shown]
	s_wait_dscnt 0x12
	v_pk_add_f32 v[22:23], v[102:103], v[8:9]
	s_wait_dscnt 0x10
	v_pk_add_f32 v[18:19], v[0:1], v[18:19]
	;; [unrolled: 2-line block ×4, first 2 shown]
	s_wait_storecnt 0x0
	s_wait_loadcnt_dscnt 0x0
	ds_bpermute_b32 v24, v54, v22
	ds_bpermute_b32 v25, v54, v23
	s_barrier_signal -1
	s_barrier_wait -1
	v_pk_add_f32 v[6:7], v[30:31], v[34:35]
	s_wait_dscnt 0x0
	v_pk_add_f32 v[2:3], v[12:13], v[40:41]
	v_pk_add_f32 v[0:1], v[38:39], v[42:43]
	;; [unrolled: 1-line block ×5, first 2 shown]
	v_and_b32_e32 v26, 28, v26
	v_and_b32_e32 v27, 0x3c3, v36
	s_delay_alu instid0(VALU_DEP_1) | instskip(SKIP_1) | instid1(SALU_CYCLE_1)
	v_cmpx_ne_u32_e32 64, v27
	s_xor_b32 s0, exec_lo, s0
	s_or_saveexec_b32 s0, s0
	v_pk_add_f32 v[22:23], v[22:23], v[24:25]
	scratch_load_b32 v24, off, off offset:32 th:TH_LOAD_LU ; 4-byte Folded Reload
	v_add_nc_u32_e32 v25, 0x320, v26
	scratch_load_b32 v26, off, off offset:40 th:TH_LOAD_LU ; 4-byte Folded Reload
	s_wait_loadcnt 0x1
	v_lshrrev_b32_e32 v24, 2, v24
	s_wait_loadcnt 0x0
	v_mul_u32_u24_e32 v26, 0x300, v26
	s_xor_b32 exec_lo, exec_lo, s0
	s_cbranch_execz .LBB34_91
; %bb.90:
	s_delay_alu instid0(VALU_DEP_1) | instskip(NEXT) | instid1(VALU_DEP_1)
	v_add_nc_u32_e32 v27, v25, v26
	v_add_nc_u32_e32 v28, 0xfffffa00, v27
	;; [unrolled: 1-line block ×9, first 2 shown]
	ds_store_b32 v28, v18
	ds_store_b32 v29, v19
	;; [unrolled: 1-line block ×8, first 2 shown]
	v_add_nc_u32_e32 v28, 0xfffffb00, v27
	v_add_nc_u32_e32 v29, 0xfffffb20, v27
	;; [unrolled: 1-line block ×8, first 2 shown]
	ds_store_b32 v28, v6
	ds_store_b32 v29, v7
	;; [unrolled: 1-line block ×8, first 2 shown]
	v_add_nc_u32_e32 v28, 0xfffffc00, v27
	v_add_nc_u32_e32 v29, 0xfffffc20, v27
	;; [unrolled: 1-line block ×8, first 2 shown]
	ds_store_b32 v28, v20
	ds_store_b32 v29, v21
	;; [unrolled: 1-line block ×8, first 2 shown]
.LBB34_91:
	s_or_b32 exec_lo, exec_lo, s0
	scratch_load_b32 v27, off, off offset:44 th:TH_LOAD_LU ; 4-byte Folded Reload
	v_lshlrev_b32_e32 v24, 2, v24
	s_mov_b32 s1, exec_lo
	s_wait_loadcnt_dscnt 0x0
	s_barrier_signal -1
	s_barrier_wait -1
	v_add3_u32 v24, 0x320, v26, v24
	v_cmp_eq_u32_e32 vcc_lo, 0, v27
	v_cmpx_gt_u32_e32 64, v36
	s_cbranch_execz .LBB34_118
; %bb.92:
	s_and_saveexec_b32 s0, vcc_lo
	s_cbranch_execnz .LBB34_150
; %bb.93:
	s_or_b32 exec_lo, exec_lo, s0
	s_and_saveexec_b32 s0, vcc_lo
	s_cbranch_execnz .LBB34_151
.LBB34_94:
	s_or_b32 exec_lo, exec_lo, s0
	s_and_saveexec_b32 s0, vcc_lo
	s_cbranch_execnz .LBB34_152
.LBB34_95:
	s_or_b32 exec_lo, exec_lo, s0
	s_and_saveexec_b32 s0, vcc_lo
	s_cbranch_execnz .LBB34_153
.LBB34_96:
	s_or_b32 exec_lo, exec_lo, s0
	s_and_saveexec_b32 s0, vcc_lo
	s_cbranch_execnz .LBB34_154
.LBB34_97:
	s_or_b32 exec_lo, exec_lo, s0
	s_and_saveexec_b32 s0, vcc_lo
	s_cbranch_execnz .LBB34_155
.LBB34_98:
	s_or_b32 exec_lo, exec_lo, s0
	s_and_saveexec_b32 s0, vcc_lo
	s_cbranch_execnz .LBB34_156
.LBB34_99:
	s_or_b32 exec_lo, exec_lo, s0
	s_and_saveexec_b32 s0, vcc_lo
	s_cbranch_execnz .LBB34_157
.LBB34_100:
	s_or_b32 exec_lo, exec_lo, s0
	s_and_saveexec_b32 s0, vcc_lo
	s_cbranch_execnz .LBB34_158
.LBB34_101:
	s_or_b32 exec_lo, exec_lo, s0
	s_and_saveexec_b32 s0, vcc_lo
	s_cbranch_execnz .LBB34_159
.LBB34_102:
	s_or_b32 exec_lo, exec_lo, s0
	s_and_saveexec_b32 s0, vcc_lo
	s_cbranch_execnz .LBB34_160
.LBB34_103:
	s_or_b32 exec_lo, exec_lo, s0
	s_and_saveexec_b32 s0, vcc_lo
	s_cbranch_execnz .LBB34_161
.LBB34_104:
	s_or_b32 exec_lo, exec_lo, s0
	s_and_saveexec_b32 s0, vcc_lo
	s_cbranch_execnz .LBB34_162
.LBB34_105:
	s_or_b32 exec_lo, exec_lo, s0
	s_and_saveexec_b32 s0, vcc_lo
	s_cbranch_execnz .LBB34_163
.LBB34_106:
	s_or_b32 exec_lo, exec_lo, s0
	s_and_saveexec_b32 s0, vcc_lo
	s_cbranch_execnz .LBB34_164
.LBB34_107:
	s_or_b32 exec_lo, exec_lo, s0
	s_and_saveexec_b32 s0, vcc_lo
	s_cbranch_execnz .LBB34_165
.LBB34_108:
	s_or_b32 exec_lo, exec_lo, s0
	s_and_saveexec_b32 s0, vcc_lo
	s_cbranch_execnz .LBB34_166
.LBB34_109:
	s_or_b32 exec_lo, exec_lo, s0
	s_and_saveexec_b32 s0, vcc_lo
	s_cbranch_execnz .LBB34_167
.LBB34_110:
	s_or_b32 exec_lo, exec_lo, s0
	s_and_saveexec_b32 s0, vcc_lo
	s_cbranch_execnz .LBB34_168
.LBB34_111:
	s_or_b32 exec_lo, exec_lo, s0
	s_and_saveexec_b32 s0, vcc_lo
	s_cbranch_execnz .LBB34_169
.LBB34_112:
	s_or_b32 exec_lo, exec_lo, s0
	s_and_saveexec_b32 s0, vcc_lo
	s_cbranch_execnz .LBB34_170
.LBB34_113:
	s_or_b32 exec_lo, exec_lo, s0
	s_and_saveexec_b32 s0, vcc_lo
	s_cbranch_execnz .LBB34_171
.LBB34_114:
	s_or_b32 exec_lo, exec_lo, s0
	s_and_saveexec_b32 s0, vcc_lo
	s_cbranch_execnz .LBB34_172
.LBB34_115:
	s_or_b32 exec_lo, exec_lo, s0
	s_and_saveexec_b32 s0, vcc_lo
	s_cbranch_execz .LBB34_117
.LBB34_116:
	ds_load_b32 v26, v24 offset:736
	s_wait_dscnt 0x0
	v_add_f32_e32 v23, v23, v26
.LBB34_117:
	s_or_b32 exec_lo, exec_lo, s0
.LBB34_118:
	s_delay_alu instid0(SALU_CYCLE_1) | instskip(SKIP_4) | instid1(VALU_DEP_1)
	s_or_b32 exec_lo, exec_lo, s1
	v_and_b32_e32 v26, 0x3e3, v36
	s_mov_b32 s1, exec_lo
	s_barrier_signal -1
	s_barrier_wait -1
	v_cmpx_eq_u32_e32 32, v26
	s_cbranch_execz .LBB34_120
; %bb.119:
	ds_store_2addr_b32 v25, v18, v19 offset1:8
	ds_store_2addr_b32 v25, v14, v15 offset0:16 offset1:24
	ds_store_2addr_b32 v25, v10, v11 offset0:32 offset1:40
	;; [unrolled: 1-line block ×11, first 2 shown]
.LBB34_120:
	s_or_b32 exec_lo, exec_lo, s1
	s_delay_alu instid0(SALU_CYCLE_1)
	s_mov_b32 s1, exec_lo
	s_wait_dscnt 0x0
	s_barrier_signal -1
	s_barrier_wait -1
	v_cmpx_gt_u32_e32 32, v36
	s_cbranch_execz .LBB34_147
; %bb.121:
	s_and_saveexec_b32 s0, vcc_lo
	s_cbranch_execnz .LBB34_173
; %bb.122:
	s_or_b32 exec_lo, exec_lo, s0
	s_and_saveexec_b32 s0, vcc_lo
	s_cbranch_execnz .LBB34_174
.LBB34_123:
	s_or_b32 exec_lo, exec_lo, s0
	s_and_saveexec_b32 s0, vcc_lo
	s_cbranch_execnz .LBB34_175
.LBB34_124:
	s_or_b32 exec_lo, exec_lo, s0
	s_and_saveexec_b32 s0, vcc_lo
	s_cbranch_execnz .LBB34_176
.LBB34_125:
	s_or_b32 exec_lo, exec_lo, s0
	s_and_saveexec_b32 s0, vcc_lo
	s_cbranch_execnz .LBB34_177
.LBB34_126:
	s_or_b32 exec_lo, exec_lo, s0
	s_and_saveexec_b32 s0, vcc_lo
	s_cbranch_execnz .LBB34_178
.LBB34_127:
	s_or_b32 exec_lo, exec_lo, s0
	s_and_saveexec_b32 s0, vcc_lo
	s_cbranch_execnz .LBB34_179
.LBB34_128:
	s_or_b32 exec_lo, exec_lo, s0
	s_and_saveexec_b32 s0, vcc_lo
	s_cbranch_execnz .LBB34_180
.LBB34_129:
	s_or_b32 exec_lo, exec_lo, s0
	s_and_saveexec_b32 s0, vcc_lo
	s_cbranch_execnz .LBB34_181
.LBB34_130:
	s_or_b32 exec_lo, exec_lo, s0
	s_and_saveexec_b32 s0, vcc_lo
	s_cbranch_execnz .LBB34_182
.LBB34_131:
	s_or_b32 exec_lo, exec_lo, s0
	s_and_saveexec_b32 s0, vcc_lo
	s_cbranch_execnz .LBB34_183
.LBB34_132:
	s_or_b32 exec_lo, exec_lo, s0
	s_and_saveexec_b32 s0, vcc_lo
	s_cbranch_execnz .LBB34_184
.LBB34_133:
	s_or_b32 exec_lo, exec_lo, s0
	s_and_saveexec_b32 s0, vcc_lo
	s_cbranch_execnz .LBB34_185
.LBB34_134:
	s_or_b32 exec_lo, exec_lo, s0
	s_and_saveexec_b32 s0, vcc_lo
	s_cbranch_execnz .LBB34_186
.LBB34_135:
	s_or_b32 exec_lo, exec_lo, s0
	s_and_saveexec_b32 s0, vcc_lo
	s_cbranch_execnz .LBB34_187
.LBB34_136:
	s_or_b32 exec_lo, exec_lo, s0
	s_and_saveexec_b32 s0, vcc_lo
	s_cbranch_execnz .LBB34_188
.LBB34_137:
	s_or_b32 exec_lo, exec_lo, s0
	s_and_saveexec_b32 s0, vcc_lo
	s_cbranch_execnz .LBB34_189
.LBB34_138:
	s_or_b32 exec_lo, exec_lo, s0
	s_and_saveexec_b32 s0, vcc_lo
	s_cbranch_execnz .LBB34_190
.LBB34_139:
	s_or_b32 exec_lo, exec_lo, s0
	s_and_saveexec_b32 s0, vcc_lo
	s_cbranch_execnz .LBB34_191
.LBB34_140:
	s_or_b32 exec_lo, exec_lo, s0
	s_and_saveexec_b32 s0, vcc_lo
	s_cbranch_execnz .LBB34_192
.LBB34_141:
	s_or_b32 exec_lo, exec_lo, s0
	s_and_saveexec_b32 s0, vcc_lo
	s_cbranch_execnz .LBB34_193
.LBB34_142:
	s_or_b32 exec_lo, exec_lo, s0
	s_and_saveexec_b32 s0, vcc_lo
	s_cbranch_execnz .LBB34_194
.LBB34_143:
	s_or_b32 exec_lo, exec_lo, s0
	s_and_saveexec_b32 s0, vcc_lo
	s_cbranch_execnz .LBB34_195
.LBB34_144:
	s_or_b32 exec_lo, exec_lo, s0
	s_and_saveexec_b32 s0, vcc_lo
	s_cbranch_execz .LBB34_146
.LBB34_145:
	ds_load_b32 v24, v24 offset:736
	s_wait_dscnt 0x0
	v_add_f32_e32 v23, v23, v24
.LBB34_146:
	s_or_b32 exec_lo, exec_lo, s0
.LBB34_147:
	s_delay_alu instid0(SALU_CYCLE_1)
	s_or_b32 exec_lo, exec_lo, s1
	s_mov_b32 s1, 0
	s_barrier_signal -1
	s_barrier_wait -1
	s_mov_b32 s0, exec_lo
	v_cmpx_eq_u32_e32 0, v26
	s_cbranch_execz .LBB34_149
; %bb.148:
	s_wait_kmcnt 0x0
	s_mul_i32 s0, s20, s9
	s_mul_i32 s2, s9, s8
	;; [unrolled: 1-line block ×3, first 2 shown]
	s_lshr_b32 s8, ttmp7, 16
	s_mul_i32 s4, s0, 0xc0
	s_bfe_u32 s0, ttmp6, 0x40014
	s_ashr_i32 s5, s4, 31
	s_add_co_i32 s0, s0, 1
	s_ashr_i32 s3, s2, 31
	s_mul_i32 s0, s8, s0
	s_bfe_u32 s9, ttmp6, 0x40008
	s_lshl_b64 s[4:5], s[4:5], 2
	s_lshl_b64 s[2:3], s[2:3], 2
	s_add_co_i32 s9, s9, s0
	s_cmp_eq_u32 s18, 0
	s_add_nc_u64 s[4:5], s[6:7], s[4:5]
	s_cselect_b32 s0, s8, s9
	s_add_nc_u64 s[2:3], s[4:5], s[2:3]
	s_mulk_i32 s0, 0x300
	s_delay_alu instid0(SALU_CYCLE_1)
	s_add_nc_u64 s[0:1], s[2:3], s[0:1]
	s_clause 0x17
	global_store_b32 v36, v18, s[0:1]
	global_store_b32 v36, v19, s[0:1] offset:32
	global_store_b32 v36, v14, s[0:1] offset:64
	;; [unrolled: 1-line block ×23, first 2 shown]
.LBB34_149:
	s_sendmsg sendmsg(MSG_DEALLOC_VGPRS)
	s_endpgm
.LBB34_150:
	ds_load_b32 v26, v24
	s_wait_dscnt 0x0
	v_add_f32_e32 v18, v18, v26
	s_or_b32 exec_lo, exec_lo, s0
	s_and_saveexec_b32 s0, vcc_lo
	s_cbranch_execz .LBB34_94
.LBB34_151:
	ds_load_b32 v26, v24 offset:32
	s_wait_dscnt 0x0
	v_add_f32_e32 v19, v19, v26
	s_or_b32 exec_lo, exec_lo, s0
	s_and_saveexec_b32 s0, vcc_lo
	s_cbranch_execz .LBB34_95
.LBB34_152:
	ds_load_b32 v26, v24 offset:64
	s_wait_dscnt 0x0
	v_add_f32_e32 v14, v14, v26
	s_or_b32 exec_lo, exec_lo, s0
	s_and_saveexec_b32 s0, vcc_lo
	s_cbranch_execz .LBB34_96
.LBB34_153:
	ds_load_b32 v26, v24 offset:96
	s_wait_dscnt 0x0
	v_add_f32_e32 v15, v15, v26
	s_or_b32 exec_lo, exec_lo, s0
	s_and_saveexec_b32 s0, vcc_lo
	s_cbranch_execz .LBB34_97
.LBB34_154:
	ds_load_b32 v26, v24 offset:128
	s_wait_dscnt 0x0
	v_add_f32_e32 v10, v10, v26
	s_or_b32 exec_lo, exec_lo, s0
	s_and_saveexec_b32 s0, vcc_lo
	s_cbranch_execz .LBB34_98
.LBB34_155:
	ds_load_b32 v26, v24 offset:160
	s_wait_dscnt 0x0
	v_add_f32_e32 v11, v11, v26
	s_or_b32 exec_lo, exec_lo, s0
	s_and_saveexec_b32 s0, vcc_lo
	s_cbranch_execz .LBB34_99
.LBB34_156:
	ds_load_b32 v26, v24 offset:192
	s_wait_dscnt 0x0
	v_add_f32_e32 v8, v8, v26
	s_or_b32 exec_lo, exec_lo, s0
	s_and_saveexec_b32 s0, vcc_lo
	s_cbranch_execz .LBB34_100
.LBB34_157:
	ds_load_b32 v26, v24 offset:224
	s_wait_dscnt 0x0
	v_add_f32_e32 v9, v9, v26
	s_or_b32 exec_lo, exec_lo, s0
	s_and_saveexec_b32 s0, vcc_lo
	s_cbranch_execz .LBB34_101
.LBB34_158:
	ds_load_b32 v26, v24 offset:256
	s_wait_dscnt 0x0
	v_add_f32_e32 v6, v6, v26
	s_or_b32 exec_lo, exec_lo, s0
	s_and_saveexec_b32 s0, vcc_lo
	s_cbranch_execz .LBB34_102
.LBB34_159:
	ds_load_b32 v26, v24 offset:288
	s_wait_dscnt 0x0
	v_add_f32_e32 v7, v7, v26
	s_or_b32 exec_lo, exec_lo, s0
	s_and_saveexec_b32 s0, vcc_lo
	s_cbranch_execz .LBB34_103
.LBB34_160:
	ds_load_b32 v26, v24 offset:320
	s_wait_dscnt 0x0
	v_add_f32_e32 v4, v4, v26
	s_or_b32 exec_lo, exec_lo, s0
	s_and_saveexec_b32 s0, vcc_lo
	s_cbranch_execz .LBB34_104
.LBB34_161:
	ds_load_b32 v26, v24 offset:352
	s_wait_dscnt 0x0
	v_add_f32_e32 v5, v5, v26
	s_or_b32 exec_lo, exec_lo, s0
	s_and_saveexec_b32 s0, vcc_lo
	s_cbranch_execz .LBB34_105
.LBB34_162:
	ds_load_b32 v26, v24 offset:384
	s_wait_dscnt 0x0
	v_add_f32_e32 v2, v2, v26
	s_or_b32 exec_lo, exec_lo, s0
	s_and_saveexec_b32 s0, vcc_lo
	s_cbranch_execz .LBB34_106
.LBB34_163:
	ds_load_b32 v26, v24 offset:416
	s_wait_dscnt 0x0
	v_add_f32_e32 v3, v3, v26
	s_or_b32 exec_lo, exec_lo, s0
	s_and_saveexec_b32 s0, vcc_lo
	s_cbranch_execz .LBB34_107
.LBB34_164:
	ds_load_b32 v26, v24 offset:448
	s_wait_dscnt 0x0
	v_add_f32_e32 v0, v0, v26
	s_or_b32 exec_lo, exec_lo, s0
	s_and_saveexec_b32 s0, vcc_lo
	s_cbranch_execz .LBB34_108
.LBB34_165:
	ds_load_b32 v26, v24 offset:480
	s_wait_dscnt 0x0
	v_add_f32_e32 v1, v1, v26
	s_or_b32 exec_lo, exec_lo, s0
	s_and_saveexec_b32 s0, vcc_lo
	s_cbranch_execz .LBB34_109
.LBB34_166:
	ds_load_b32 v26, v24 offset:512
	s_wait_dscnt 0x0
	v_add_f32_e32 v20, v20, v26
	s_or_b32 exec_lo, exec_lo, s0
	s_and_saveexec_b32 s0, vcc_lo
	s_cbranch_execz .LBB34_110
.LBB34_167:
	ds_load_b32 v26, v24 offset:544
	s_wait_dscnt 0x0
	v_add_f32_e32 v21, v21, v26
	s_or_b32 exec_lo, exec_lo, s0
	s_and_saveexec_b32 s0, vcc_lo
	s_cbranch_execz .LBB34_111
.LBB34_168:
	ds_load_b32 v26, v24 offset:576
	s_wait_dscnt 0x0
	v_add_f32_e32 v16, v16, v26
	s_or_b32 exec_lo, exec_lo, s0
	s_and_saveexec_b32 s0, vcc_lo
	s_cbranch_execz .LBB34_112
.LBB34_169:
	ds_load_b32 v26, v24 offset:608
	s_wait_dscnt 0x0
	v_add_f32_e32 v17, v17, v26
	s_or_b32 exec_lo, exec_lo, s0
	s_and_saveexec_b32 s0, vcc_lo
	s_cbranch_execz .LBB34_113
.LBB34_170:
	ds_load_b32 v26, v24 offset:640
	s_wait_dscnt 0x0
	v_add_f32_e32 v12, v12, v26
	s_or_b32 exec_lo, exec_lo, s0
	s_and_saveexec_b32 s0, vcc_lo
	s_cbranch_execz .LBB34_114
.LBB34_171:
	ds_load_b32 v26, v24 offset:672
	s_wait_dscnt 0x0
	v_add_f32_e32 v13, v13, v26
	s_or_b32 exec_lo, exec_lo, s0
	s_and_saveexec_b32 s0, vcc_lo
	s_cbranch_execz .LBB34_115
.LBB34_172:
	ds_load_b32 v26, v24 offset:704
	s_wait_dscnt 0x0
	v_add_f32_e32 v22, v22, v26
	s_or_b32 exec_lo, exec_lo, s0
	s_and_saveexec_b32 s0, vcc_lo
	s_cbranch_execnz .LBB34_116
	s_branch .LBB34_117
.LBB34_173:
	ds_load_b32 v25, v24
	s_wait_dscnt 0x0
	v_add_f32_e32 v18, v18, v25
	s_or_b32 exec_lo, exec_lo, s0
	s_and_saveexec_b32 s0, vcc_lo
	s_cbranch_execz .LBB34_123
.LBB34_174:
	ds_load_b32 v25, v24 offset:32
	s_wait_dscnt 0x0
	v_add_f32_e32 v19, v19, v25
	s_or_b32 exec_lo, exec_lo, s0
	s_and_saveexec_b32 s0, vcc_lo
	s_cbranch_execz .LBB34_124
.LBB34_175:
	ds_load_b32 v25, v24 offset:64
	s_wait_dscnt 0x0
	v_add_f32_e32 v14, v14, v25
	s_or_b32 exec_lo, exec_lo, s0
	s_and_saveexec_b32 s0, vcc_lo
	s_cbranch_execz .LBB34_125
.LBB34_176:
	ds_load_b32 v25, v24 offset:96
	s_wait_dscnt 0x0
	v_add_f32_e32 v15, v15, v25
	s_or_b32 exec_lo, exec_lo, s0
	s_and_saveexec_b32 s0, vcc_lo
	s_cbranch_execz .LBB34_126
.LBB34_177:
	ds_load_b32 v25, v24 offset:128
	s_wait_dscnt 0x0
	v_add_f32_e32 v10, v10, v25
	s_or_b32 exec_lo, exec_lo, s0
	s_and_saveexec_b32 s0, vcc_lo
	s_cbranch_execz .LBB34_127
.LBB34_178:
	ds_load_b32 v25, v24 offset:160
	s_wait_dscnt 0x0
	v_add_f32_e32 v11, v11, v25
	s_or_b32 exec_lo, exec_lo, s0
	s_and_saveexec_b32 s0, vcc_lo
	s_cbranch_execz .LBB34_128
.LBB34_179:
	ds_load_b32 v25, v24 offset:192
	s_wait_dscnt 0x0
	v_add_f32_e32 v8, v8, v25
	s_or_b32 exec_lo, exec_lo, s0
	s_and_saveexec_b32 s0, vcc_lo
	s_cbranch_execz .LBB34_129
.LBB34_180:
	ds_load_b32 v25, v24 offset:224
	s_wait_dscnt 0x0
	v_add_f32_e32 v9, v9, v25
	s_or_b32 exec_lo, exec_lo, s0
	s_and_saveexec_b32 s0, vcc_lo
	s_cbranch_execz .LBB34_130
.LBB34_181:
	ds_load_b32 v25, v24 offset:256
	s_wait_dscnt 0x0
	v_add_f32_e32 v6, v6, v25
	s_or_b32 exec_lo, exec_lo, s0
	s_and_saveexec_b32 s0, vcc_lo
	s_cbranch_execz .LBB34_131
.LBB34_182:
	ds_load_b32 v25, v24 offset:288
	s_wait_dscnt 0x0
	v_add_f32_e32 v7, v7, v25
	s_or_b32 exec_lo, exec_lo, s0
	s_and_saveexec_b32 s0, vcc_lo
	s_cbranch_execz .LBB34_132
.LBB34_183:
	ds_load_b32 v25, v24 offset:320
	s_wait_dscnt 0x0
	v_add_f32_e32 v4, v4, v25
	s_or_b32 exec_lo, exec_lo, s0
	s_and_saveexec_b32 s0, vcc_lo
	s_cbranch_execz .LBB34_133
.LBB34_184:
	ds_load_b32 v25, v24 offset:352
	s_wait_dscnt 0x0
	v_add_f32_e32 v5, v5, v25
	s_or_b32 exec_lo, exec_lo, s0
	s_and_saveexec_b32 s0, vcc_lo
	s_cbranch_execz .LBB34_134
.LBB34_185:
	ds_load_b32 v25, v24 offset:384
	s_wait_dscnt 0x0
	v_add_f32_e32 v2, v2, v25
	s_or_b32 exec_lo, exec_lo, s0
	s_and_saveexec_b32 s0, vcc_lo
	s_cbranch_execz .LBB34_135
.LBB34_186:
	ds_load_b32 v25, v24 offset:416
	s_wait_dscnt 0x0
	v_add_f32_e32 v3, v3, v25
	s_or_b32 exec_lo, exec_lo, s0
	s_and_saveexec_b32 s0, vcc_lo
	s_cbranch_execz .LBB34_136
.LBB34_187:
	ds_load_b32 v25, v24 offset:448
	s_wait_dscnt 0x0
	v_add_f32_e32 v0, v0, v25
	s_or_b32 exec_lo, exec_lo, s0
	s_and_saveexec_b32 s0, vcc_lo
	s_cbranch_execz .LBB34_137
.LBB34_188:
	ds_load_b32 v25, v24 offset:480
	s_wait_dscnt 0x0
	v_add_f32_e32 v1, v1, v25
	s_or_b32 exec_lo, exec_lo, s0
	s_and_saveexec_b32 s0, vcc_lo
	s_cbranch_execz .LBB34_138
.LBB34_189:
	ds_load_b32 v25, v24 offset:512
	s_wait_dscnt 0x0
	v_add_f32_e32 v20, v20, v25
	s_or_b32 exec_lo, exec_lo, s0
	s_and_saveexec_b32 s0, vcc_lo
	s_cbranch_execz .LBB34_139
.LBB34_190:
	ds_load_b32 v25, v24 offset:544
	s_wait_dscnt 0x0
	v_add_f32_e32 v21, v21, v25
	s_or_b32 exec_lo, exec_lo, s0
	s_and_saveexec_b32 s0, vcc_lo
	s_cbranch_execz .LBB34_140
.LBB34_191:
	ds_load_b32 v25, v24 offset:576
	s_wait_dscnt 0x0
	v_add_f32_e32 v16, v16, v25
	s_or_b32 exec_lo, exec_lo, s0
	s_and_saveexec_b32 s0, vcc_lo
	s_cbranch_execz .LBB34_141
.LBB34_192:
	ds_load_b32 v25, v24 offset:608
	s_wait_dscnt 0x0
	v_add_f32_e32 v17, v17, v25
	s_or_b32 exec_lo, exec_lo, s0
	s_and_saveexec_b32 s0, vcc_lo
	s_cbranch_execz .LBB34_142
.LBB34_193:
	ds_load_b32 v25, v24 offset:640
	s_wait_dscnt 0x0
	v_add_f32_e32 v12, v12, v25
	s_or_b32 exec_lo, exec_lo, s0
	s_and_saveexec_b32 s0, vcc_lo
	s_cbranch_execz .LBB34_143
.LBB34_194:
	ds_load_b32 v25, v24 offset:672
	s_wait_dscnt 0x0
	v_add_f32_e32 v13, v13, v25
	s_or_b32 exec_lo, exec_lo, s0
	s_and_saveexec_b32 s0, vcc_lo
	s_cbranch_execz .LBB34_144
.LBB34_195:
	ds_load_b32 v25, v24 offset:704
	s_wait_dscnt 0x0
	v_add_f32_e32 v22, v22, v25
	s_or_b32 exec_lo, exec_lo, s0
	s_and_saveexec_b32 s0, vcc_lo
	s_cbranch_execnz .LBB34_145
	s_branch .LBB34_146
	.section	.rodata,"a",@progbits
	.p2align	6, 0x0
	.amdhsa_kernel _ZN4vllm25paged_attention_v1_kernelIffLi192ELi16ELi128ELNS_18Fp8KVCacheDataTypeE0ELb0EEEvPT_PKS2_PKT0_S8_ifPKiSA_iPKfiiiSC_SC_iiiii
		.amdhsa_group_segment_fixed_size 800
		.amdhsa_private_segment_fixed_size 52
		.amdhsa_kernarg_size 384
		.amdhsa_user_sgpr_count 2
		.amdhsa_user_sgpr_dispatch_ptr 0
		.amdhsa_user_sgpr_queue_ptr 0
		.amdhsa_user_sgpr_kernarg_segment_ptr 1
		.amdhsa_user_sgpr_dispatch_id 0
		.amdhsa_user_sgpr_kernarg_preload_length 0
		.amdhsa_user_sgpr_kernarg_preload_offset 0
		.amdhsa_user_sgpr_private_segment_size 0
		.amdhsa_wavefront_size32 1
		.amdhsa_uses_dynamic_stack 0
		.amdhsa_enable_private_segment 1
		.amdhsa_system_sgpr_workgroup_id_x 1
		.amdhsa_system_sgpr_workgroup_id_y 1
		.amdhsa_system_sgpr_workgroup_id_z 1
		.amdhsa_system_sgpr_workgroup_info 0
		.amdhsa_system_vgpr_workitem_id 0
		.amdhsa_next_free_vgpr 128
		.amdhsa_next_free_sgpr 30
		.amdhsa_named_barrier_count 0
		.amdhsa_reserve_vcc 1
		.amdhsa_float_round_mode_32 0
		.amdhsa_float_round_mode_16_64 0
		.amdhsa_float_denorm_mode_32 3
		.amdhsa_float_denorm_mode_16_64 3
		.amdhsa_fp16_overflow 0
		.amdhsa_memory_ordered 1
		.amdhsa_forward_progress 1
		.amdhsa_inst_pref_size 97
		.amdhsa_round_robin_scheduling 0
		.amdhsa_exception_fp_ieee_invalid_op 0
		.amdhsa_exception_fp_denorm_src 0
		.amdhsa_exception_fp_ieee_div_zero 0
		.amdhsa_exception_fp_ieee_overflow 0
		.amdhsa_exception_fp_ieee_underflow 0
		.amdhsa_exception_fp_ieee_inexact 0
		.amdhsa_exception_int_div_zero 0
	.end_amdhsa_kernel
	.section	.text._ZN4vllm25paged_attention_v1_kernelIffLi192ELi16ELi128ELNS_18Fp8KVCacheDataTypeE0ELb0EEEvPT_PKS2_PKT0_S8_ifPKiSA_iPKfiiiSC_SC_iiiii,"axG",@progbits,_ZN4vllm25paged_attention_v1_kernelIffLi192ELi16ELi128ELNS_18Fp8KVCacheDataTypeE0ELb0EEEvPT_PKS2_PKT0_S8_ifPKiSA_iPKfiiiSC_SC_iiiii,comdat
.Lfunc_end34:
	.size	_ZN4vllm25paged_attention_v1_kernelIffLi192ELi16ELi128ELNS_18Fp8KVCacheDataTypeE0ELb0EEEvPT_PKS2_PKT0_S8_ifPKiSA_iPKfiiiSC_SC_iiiii, .Lfunc_end34-_ZN4vllm25paged_attention_v1_kernelIffLi192ELi16ELi128ELNS_18Fp8KVCacheDataTypeE0ELb0EEEvPT_PKS2_PKT0_S8_ifPKiSA_iPKfiiiSC_SC_iiiii
                                        ; -- End function
	.set _ZN4vllm25paged_attention_v1_kernelIffLi192ELi16ELi128ELNS_18Fp8KVCacheDataTypeE0ELb0EEEvPT_PKS2_PKT0_S8_ifPKiSA_iPKfiiiSC_SC_iiiii.num_vgpr, 128
	.set _ZN4vllm25paged_attention_v1_kernelIffLi192ELi16ELi128ELNS_18Fp8KVCacheDataTypeE0ELb0EEEvPT_PKS2_PKT0_S8_ifPKiSA_iPKfiiiSC_SC_iiiii.num_agpr, 0
	.set _ZN4vllm25paged_attention_v1_kernelIffLi192ELi16ELi128ELNS_18Fp8KVCacheDataTypeE0ELb0EEEvPT_PKS2_PKT0_S8_ifPKiSA_iPKfiiiSC_SC_iiiii.numbered_sgpr, 30
	.set _ZN4vllm25paged_attention_v1_kernelIffLi192ELi16ELi128ELNS_18Fp8KVCacheDataTypeE0ELb0EEEvPT_PKS2_PKT0_S8_ifPKiSA_iPKfiiiSC_SC_iiiii.num_named_barrier, 0
	.set _ZN4vllm25paged_attention_v1_kernelIffLi192ELi16ELi128ELNS_18Fp8KVCacheDataTypeE0ELb0EEEvPT_PKS2_PKT0_S8_ifPKiSA_iPKfiiiSC_SC_iiiii.private_seg_size, 52
	.set _ZN4vllm25paged_attention_v1_kernelIffLi192ELi16ELi128ELNS_18Fp8KVCacheDataTypeE0ELb0EEEvPT_PKS2_PKT0_S8_ifPKiSA_iPKfiiiSC_SC_iiiii.uses_vcc, 1
	.set _ZN4vllm25paged_attention_v1_kernelIffLi192ELi16ELi128ELNS_18Fp8KVCacheDataTypeE0ELb0EEEvPT_PKS2_PKT0_S8_ifPKiSA_iPKfiiiSC_SC_iiiii.uses_flat_scratch, 1
	.set _ZN4vllm25paged_attention_v1_kernelIffLi192ELi16ELi128ELNS_18Fp8KVCacheDataTypeE0ELb0EEEvPT_PKS2_PKT0_S8_ifPKiSA_iPKfiiiSC_SC_iiiii.has_dyn_sized_stack, 0
	.set _ZN4vllm25paged_attention_v1_kernelIffLi192ELi16ELi128ELNS_18Fp8KVCacheDataTypeE0ELb0EEEvPT_PKS2_PKT0_S8_ifPKiSA_iPKfiiiSC_SC_iiiii.has_recursion, 0
	.set _ZN4vllm25paged_attention_v1_kernelIffLi192ELi16ELi128ELNS_18Fp8KVCacheDataTypeE0ELb0EEEvPT_PKS2_PKT0_S8_ifPKiSA_iPKfiiiSC_SC_iiiii.has_indirect_call, 0
	.section	.AMDGPU.csdata,"",@progbits
; Kernel info:
; codeLenInByte = 12316
; TotalNumSgprs: 32
; NumVgprs: 128
; ScratchSize: 52
; MemoryBound: 0
; FloatMode: 240
; IeeeMode: 1
; LDSByteSize: 800 bytes/workgroup (compile time only)
; SGPRBlocks: 0
; VGPRBlocks: 7
; NumSGPRsForWavesPerEU: 32
; NumVGPRsForWavesPerEU: 128
; NamedBarCnt: 0
; Occupancy: 8
; WaveLimiterHint : 1
; COMPUTE_PGM_RSRC2:SCRATCH_EN: 1
; COMPUTE_PGM_RSRC2:USER_SGPR: 2
; COMPUTE_PGM_RSRC2:TRAP_HANDLER: 0
; COMPUTE_PGM_RSRC2:TGID_X_EN: 1
; COMPUTE_PGM_RSRC2:TGID_Y_EN: 1
; COMPUTE_PGM_RSRC2:TGID_Z_EN: 1
; COMPUTE_PGM_RSRC2:TIDIG_COMP_CNT: 0
	.section	.text._ZN4vllm25paged_attention_v1_kernelIffLi256ELi16ELi128ELNS_18Fp8KVCacheDataTypeE0ELb0EEEvPT_PKS2_PKT0_S8_ifPKiSA_iPKfiiiSC_SC_iiiii,"axG",@progbits,_ZN4vllm25paged_attention_v1_kernelIffLi256ELi16ELi128ELNS_18Fp8KVCacheDataTypeE0ELb0EEEvPT_PKS2_PKT0_S8_ifPKiSA_iPKfiiiSC_SC_iiiii,comdat
	.protected	_ZN4vllm25paged_attention_v1_kernelIffLi256ELi16ELi128ELNS_18Fp8KVCacheDataTypeE0ELb0EEEvPT_PKS2_PKT0_S8_ifPKiSA_iPKfiiiSC_SC_iiiii ; -- Begin function _ZN4vllm25paged_attention_v1_kernelIffLi256ELi16ELi128ELNS_18Fp8KVCacheDataTypeE0ELb0EEEvPT_PKS2_PKT0_S8_ifPKiSA_iPKfiiiSC_SC_iiiii
	.globl	_ZN4vllm25paged_attention_v1_kernelIffLi256ELi16ELi128ELNS_18Fp8KVCacheDataTypeE0ELb0EEEvPT_PKS2_PKT0_S8_ifPKiSA_iPKfiiiSC_SC_iiiii
	.p2align	8
	.type	_ZN4vllm25paged_attention_v1_kernelIffLi256ELi16ELi128ELNS_18Fp8KVCacheDataTypeE0ELb0EEEvPT_PKS2_PKT0_S8_ifPKiSA_iPKfiiiSC_SC_iiiii,@function
_ZN4vllm25paged_attention_v1_kernelIffLi256ELi16ELi128ELNS_18Fp8KVCacheDataTypeE0ELb0EEEvPT_PKS2_PKT0_S8_ifPKiSA_iPKfiiiSC_SC_iiiii: ; @_ZN4vllm25paged_attention_v1_kernelIffLi256ELi16ELi128ELNS_18Fp8KVCacheDataTypeE0ELb0EEEvPT_PKS2_PKT0_S8_ifPKiSA_iPKfiiiSC_SC_iiiii
; %bb.0:
	s_load_b64 s[6:7], s[0:1], 0x20
	s_bfe_u32 s3, ttmp6, 0x4000c
	s_bfe_u32 s5, ttmp6, 0x40010
	s_and_b32 s4, ttmp7, 0xffff
	s_add_co_i32 s3, s3, 1
	s_add_co_i32 s5, s5, 1
	s_and_b32 s2, ttmp6, 15
	s_bfe_u32 s8, ttmp6, 0x40004
	s_mul_i32 s3, ttmp9, s3
	s_mul_i32 s5, s4, s5
	s_getreg_b32 s18, hwreg(HW_REG_IB_STS2, 6, 4)
	s_add_co_i32 s2, s2, s3
	s_add_co_i32 s8, s8, s5
	s_cmp_eq_u32 s18, 0
	v_mov_b32_e32 v22, v0
	s_cselect_b32 s20, s4, s8
	s_cselect_b32 s8, ttmp9, s2
	s_clause 0x1
	s_load_b32 s19, s[0:1], 0x80
	s_load_b64 s[10:11], s[0:1], 0x30
	s_wait_kmcnt 0x0
	s_abs_i32 s2, s6
	s_delay_alu instid0(SALU_CYCLE_1) | instskip(SKIP_1) | instid1(SALU_CYCLE_2)
	s_cvt_f32_u32 s3, s2
	s_sub_co_i32 s4, 0, s2
	v_rcp_iflag_f32_e32 v0, s3
	v_nop
	s_delay_alu instid0(TRANS32_DEP_1) | instskip(SKIP_2) | instid1(SALU_CYCLE_3)
	v_readfirstlane_b32 s3, v0
	s_abs_i32 s5, s19
	s_mul_f32 s3, s3, 0x4f7ffffe
	s_cvt_u32_f32 s3, s3
	s_delay_alu instid0(SALU_CYCLE_3) | instskip(NEXT) | instid1(SALU_CYCLE_1)
	s_mul_i32 s4, s4, s3
	s_mul_hi_u32 s4, s3, s4
	s_delay_alu instid0(SALU_CYCLE_1) | instskip(SKIP_4) | instid1(SALU_CYCLE_1)
	s_add_co_i32 s3, s3, s4
	s_xor_b32 s4, s19, s6
	s_mul_hi_u32 s3, s5, s3
	s_ashr_i32 s4, s4, 31
	s_mul_i32 s6, s3, s2
	s_sub_co_i32 s5, s5, s6
	s_add_co_i32 s6, s3, 1
	s_sub_co_i32 s9, s5, s2
	s_cmp_ge_u32 s5, s2
	s_cselect_b32 s3, s6, s3
	s_cselect_b32 s5, s9, s5
	s_add_co_i32 s6, s3, 1
	s_cmp_ge_u32 s5, s2
	s_cselect_b32 s2, s6, s3
	s_mov_b32 s3, 0
	s_xor_b32 s2, s2, s4
	s_mov_b32 s13, s3
	s_sub_co_i32 s15, s2, s4
	s_load_b64 s[4:5], s[0:1], 0x40
	s_abs_i32 s14, s15
	s_mov_b32 s23, s3
	s_cvt_f32_u32 s2, s14
	s_delay_alu instid0(SALU_CYCLE_3) | instskip(SKIP_1) | instid1(TRANS32_DEP_1)
	v_rcp_iflag_f32_e32 v0, s2
	v_nop
	v_readfirstlane_b32 s2, v0
	s_mul_f32 s2, s2, 0x4f7ffffe
	s_delay_alu instid0(SALU_CYCLE_3) | instskip(SKIP_1) | instid1(SALU_CYCLE_2)
	s_cvt_u32_f32 s6, s2
	s_sub_co_i32 s2, 0, s14
	s_mul_i32 s2, s2, s6
	s_delay_alu instid0(SALU_CYCLE_1)
	s_mul_hi_u32 s9, s6, s2
	s_abs_i32 s2, s8
	s_add_co_i32 s12, s6, s9
	s_wait_kmcnt 0x0
	s_cmp_eq_u64 s[4:5], 0
	s_cbranch_scc1 .LBB35_2
; %bb.1:
	s_ashr_i32 s9, s8, 31
	s_delay_alu instid0(SALU_CYCLE_1) | instskip(NEXT) | instid1(SALU_CYCLE_1)
	s_lshl_b64 s[16:17], s[8:9], 2
	s_add_nc_u64 s[4:5], s[4:5], s[16:17]
	s_load_b32 s23, s[4:5], 0x0
.LBB35_2:
	s_load_b32 s21, s[10:11], s20 offset:0x0 scale_offset
	s_wait_xcnt 0x0
	s_load_b96 s[4:6], s[0:1], 0x48
	v_dual_lshlrev_b32 v28, 2, v22 :: v_dual_bitop2_b32 v0, 1, v22 bitop3:0x40
	s_ashr_i32 s16, s8, 31
	s_ashr_i32 s15, s15, 31
	s_mul_u64 s[10:11], s[2:3], s[12:13]
	s_lshl_b32 s8, s8, 8
	s_mov_b32 s3, exec_lo
	v_cmpx_gt_u32_e32 0x80, v22
	s_cbranch_execz .LBB35_4
; %bb.3:
	s_load_b64 s[12:13], s[0:1], 0x8
	s_wait_kmcnt 0x0
	s_mul_i32 s24, s4, s20
	s_ashr_i32 s9, s8, 31
	s_ashr_i32 s25, s24, 31
	v_and_b32_e32 v1, 0xff8, v28
	s_lshl_b64 s[24:25], s[24:25], 2
	s_delay_alu instid0(VALU_DEP_1) | instskip(SKIP_2) | instid1(SALU_CYCLE_1)
	v_lshl_add_u32 v1, v0, 9, v1
	s_add_nc_u64 s[12:13], s[12:13], s[24:25]
	s_lshl_b64 s[24:25], s[8:9], 2
	s_add_nc_u64 s[12:13], s[12:13], s[24:25]
	global_load_b64 v[2:3], v22, s[12:13] scale_offset
	s_wait_loadcnt 0x0
	ds_store_b64 v1, v[2:3]
.LBB35_4:
	s_or_b32 exec_lo, exec_lo, s3
	s_wait_kmcnt 0x0
	s_add_co_i32 s3, s21, 15
	s_load_b32 s4, s[0:1], 0x38
	s_ashr_i32 s9, s3, 31
	s_mul_i32 s12, s11, s14
	s_lshr_b32 s9, s9, 28
	s_sub_co_i32 s2, s2, s12
	s_add_co_i32 s3, s3, s9
	s_xor_b32 s10, s16, s15
	s_ashr_i32 s22, s3, 4
	s_add_co_i32 s3, s11, 1
	s_sub_co_i32 s9, s2, s14
	s_cmp_ge_u32 s2, s14
	v_lshrrev_b32_e32 v1, 5, v22
	s_cselect_b32 s3, s3, s11
	s_cselect_b32 s2, s9, s2
	s_add_co_i32 s9, s3, 1
	s_cmp_ge_u32 s2, s14
	v_mbcnt_lo_u32_b32 v11, -1, 0
	s_cselect_b32 s2, s9, s3
	s_wait_dscnt 0x0
	s_xor_b32 s2, s2, s10
	s_barrier_signal -1
	s_sub_co_i32 s3, s2, s10
	v_cmp_gt_i32_e64 s2, s22, v1
	s_wait_kmcnt 0x0
	s_mul_i32 s10, s4, s20
	s_mov_b32 s4, exec_lo
	s_ashr_i32 s11, s10, 31
	scratch_store_b32 off, v1, off offset:200 ; 4-byte Folded Spill
	s_barrier_wait -1
	s_wait_storecnt 0x0
                                        ; implicit-def: $vgpr9
                                        ; implicit-def: $vgpr8
	s_wait_xcnt 0x0
	v_cmpx_le_i32_e64 s22, v1
	s_xor_b32 s4, exec_lo, s4
; %bb.5:
	v_dual_mov_b32 v9, 0 :: v_dual_mov_b32 v8, 32
	v_mbcnt_lo_u32_b32 v11, -1, 0
                                        ; implicit-def: $vgpr0
; %bb.6:
	s_or_saveexec_b32 s24, s4
	s_clause 0x1
	s_load_b64 s[12:13], s[0:1], 0x28
	s_load_b32 s9, s[0:1], 0x88
	v_dual_mov_b32 v3, 0xff7fffff :: v_dual_lshrrev_b32 v10, 3, v22
	s_mul_i32 s14, s3, s6
	scratch_store_b32 off, v22, off offset:212 ; 4-byte Folded Spill
	s_wait_xcnt 0x0
	s_xor_b32 exec_lo, exec_lo, s24
	s_cbranch_execz .LBB35_12
; %bb.7:
	s_load_b64 s[26:27], s[0:1], 0x10
	v_bfe_u32 v1, v22, 1, 4
	s_ashr_i32 s15, s14, 31
	v_dual_mov_b32 v13, 0 :: v_dual_lshlrev_b32 v4, 3, v22
	s_lshl_b64 s[28:29], s[14:15], 2
	s_delay_alu instid0(VALU_DEP_2)
	v_dual_lshlrev_b32 v7, 2, v1 :: v_dual_lshlrev_b32 v12, 4, v1
	s_ashr_i32 s17, s5, 31
	s_cmp_neq_f32 s23, 0
	v_mov_b32_e32 v9, 0xff7fffff
	s_mov_b32 s16, s5
	s_mov_b32 s6, 0
	s_cselect_b32 s3, -1, 0
	s_sub_co_i32 s15, 1, s21
	s_wait_kmcnt 0x0
	s_add_nc_u64 s[26:27], s[26:27], s[28:29]
	s_delay_alu instid0(SALU_CYCLE_1) | instskip(SKIP_2) | instid1(SALU_CYCLE_1)
	v_add_nc_u64_e32 v[2:3], s[26:27], v[12:13]
	v_and_b32_e32 v12, 8, v4
	s_lshl_b64 s[26:27], s[10:11], 2
	s_add_nc_u64 s[26:27], s[12:13], s[26:27]
	s_delay_alu instid0(VALU_DEP_1)
	v_add_nc_u64_e32 v[2:3], v[2:3], v[12:13]
	scratch_store_b32 off, v28, off offset:104 ; 4-byte Folded Spill
	v_and_b32_e32 v12, 0x7c, v10
	scratch_store_b64 off, v[2:3], off offset:16 ; 8-byte Folded Spill
	s_wait_xcnt 0x0
	v_dual_lshlrev_b32 v2, 9, v0 :: v_dual_bitop2_b32 v3, 1, v11 bitop3:0x14
	ds_load_b128 v[14:17], v2
	v_cmp_gt_i32_e32 vcc_lo, 32, v3
	v_cndmask_b32_e32 v3, v11, v3, vcc_lo
	v_cmp_eq_u32_e32 vcc_lo, 0, v0
	s_delay_alu instid0(VALU_DEP_2)
	v_lshlrev_b32_e32 v3, 2, v3
	s_wait_dscnt 0x0
	scratch_store_b128 off, v[14:17], off offset:32 ; 16-byte Folded Spill
	s_wait_xcnt 0x0
	ds_load_b128 v[14:17], v2 offset:16
	s_wait_dscnt 0x0
	scratch_store_b128 off, v[14:17], off offset:48 ; 16-byte Folded Spill
	s_wait_xcnt 0x0
	ds_load_b128 v[14:17], v2 offset:32
	;; [unrolled: 4-line block ×3, first 2 shown]
	s_wait_dscnt 0x0
	scratch_store_b128 off, v[14:17], off offset:80 ; 16-byte Folded Spill
	ds_load_b128 v[18:21], v2 offset:64
	ds_load_b128 v[22:25], v2 offset:80
	;; [unrolled: 1-line block ×9, first 2 shown]
	s_clause 0x1
	scratch_store_b32 off, v11, off offset:120
	scratch_store_b32 off, v3, off offset:96
	ds_load_b128 v[54:57], v2 offset:208
	ds_load_b128 v[58:61], v2 offset:224
	;; [unrolled: 1-line block ×18, first 2 shown]
	s_wait_xcnt 0x0
	ds_load_b128 v[2:5], v2 offset:496
	s_clause 0x1
	scratch_load_b32 v8, off, off offset:200
	scratch_store_b32 off, v9, off
	s_wait_loadcnt 0x0
	v_lshl_or_b32 v6, v8, 4, v1
	v_lshl_or_b32 v0, v8, 6, v7
	v_mov_b32_e32 v1, v13
	scratch_store_b32 off, v10, off offset:112 ; 4-byte Folded Spill
	v_add_nc_u32_e32 v7, 0x420, v0
	scratch_store_b64 off, v[0:1], off offset:128 ; 8-byte Folded Spill
	s_wait_xcnt 0x0
	v_add_nc_u64_e32 v[0:1], s[26:27], v[12:13]
	s_branch .LBB35_9
.LBB35_8:                               ;   in Loop: Header=BB35_9 Depth=1
	s_wait_xcnt 0x0
	s_or_b32 exec_lo, exec_lo, s25
	v_dual_add_nc_u32 v8, 4, v8 :: v_dual_add_nc_u32 v6, 64, v6
	v_add_nc_u64_e32 v[0:1], 16, v[0:1]
	v_add_nc_u32_e32 v7, 0x100, v7
	s_delay_alu instid0(VALU_DEP_3) | instskip(SKIP_1) | instid1(SALU_CYCLE_1)
	v_cmp_le_i32_e64 s4, s22, v8
	s_or_b32 s6, s4, s6
	s_and_not1_b32 exec_lo, exec_lo, s6
	s_cbranch_execz .LBB35_11
.LBB35_9:                               ; =>This Inner Loop Header: Depth=1
	s_wait_dscnt 0x0
	global_load_b32 v10, v[0:1], off
	scratch_load_b64 v[12:13], off, off offset:16 ; 8-byte Folded Reload
	s_wait_loadcnt 0x1
	v_ashrrev_i32_e32 v11, 31, v10
	s_delay_alu instid0(VALU_DEP_1) | instskip(SKIP_1) | instid1(VALU_DEP_1)
	v_mul_u64_e32 v[10:11], s[16:17], v[10:11]
	s_wait_loadcnt 0x0
	v_lshl_add_u64 v[126:127], v[10:11], 2, v[12:13]
	global_load_b64 v[10:11], v[126:127], off offset:256
	scratch_load_b128 v[14:17], off, off offset:32 ; 16-byte Folded Reload
	global_load_b64 v[12:13], v[126:127], off
	s_wait_loadcnt 0x1
	v_dual_mul_f32 v9, v16, v10 :: v_dual_mul_f32 v10, v17, v11
	s_wait_loadcnt 0x0
	s_delay_alu instid0(VALU_DEP_1)
	v_dual_fmac_f32 v9, v14, v12 :: v_dual_fmac_f32 v10, v15, v13
	global_load_b64 v[12:13], v[126:127], off offset:512
	scratch_load_b128 v[14:17], off, off offset:48 ; 16-byte Folded Reload
	s_wait_loadcnt 0x0
	v_dual_fmac_f32 v9, v14, v12 :: v_dual_fmac_f32 v10, v15, v13
	global_load_b64 v[12:13], v[126:127], off offset:768
	s_wait_loadcnt 0x0
	v_dual_fmac_f32 v9, v16, v12 :: v_dual_fmac_f32 v10, v17, v13
	global_load_b64 v[12:13], v[126:127], off offset:1024
	scratch_load_b128 v[14:17], off, off offset:64 ; 16-byte Folded Reload
	s_wait_loadcnt 0x0
	v_dual_fmac_f32 v9, v14, v12 :: v_dual_fmac_f32 v10, v15, v13
	global_load_b64 v[12:13], v[126:127], off offset:1280
	s_wait_loadcnt 0x0
	;; [unrolled: 7-line block ×3, first 2 shown]
	v_dual_fmac_f32 v9, v16, v12 :: v_dual_fmac_f32 v10, v17, v13
	global_load_b64 v[12:13], v[126:127], off offset:2048
	s_wait_loadcnt_dscnt 0x1b
	v_dual_fmac_f32 v9, v18, v12 :: v_dual_fmac_f32 v10, v19, v13
	global_load_b64 v[12:13], v[126:127], off offset:2304
	s_wait_loadcnt 0x0
	v_dual_fmac_f32 v9, v20, v12 :: v_dual_fmac_f32 v10, v21, v13
	global_load_b64 v[12:13], v[126:127], off offset:2560
	s_wait_loadcnt_dscnt 0x1a
	v_dual_fmac_f32 v9, v22, v12 :: v_dual_fmac_f32 v10, v23, v13
	global_load_b64 v[12:13], v[126:127], off offset:2816
	s_wait_loadcnt 0x0
	;; [unrolled: 6-line block ×28, first 2 shown]
	v_dual_fmac_f32 v9, v4, v12 :: v_dual_fmac_f32 v10, v5, v13
	s_delay_alu instid0(VALU_DEP_1)
	v_add_f32_e32 v9, v9, v10
	scratch_load_b32 v10, off, off offset:96 ; 4-byte Folded Reload
	s_wait_loadcnt 0x0
	ds_bpermute_b32 v10, v10, v9
	s_wait_xcnt 0x0
	s_and_saveexec_b32 s25, vcc_lo
	s_cbranch_execz .LBB35_8
; %bb.10:                               ;   in Loop: Header=BB35_9 Depth=1
	scratch_load_b32 v12, off, off          ; 4-byte Folded Reload
	s_wait_dscnt 0x0
	v_add_f32_e32 v9, v9, v10
	v_add_nc_u32_e32 v11, s15, v6
	v_cmp_gt_i32_e64 s4, s21, v6
	s_delay_alu instid0(VALU_DEP_2) | instskip(NEXT) | instid1(VALU_DEP_1)
	v_cvt_f32_i32_e32 v11, v11
	v_mul_f32_e32 v11, s23, v11
	s_delay_alu instid0(VALU_DEP_1) | instskip(SKIP_1) | instid1(VALU_DEP_1)
	v_cndmask_b32_e64 v10, 0, v11, s3
	s_wait_loadcnt 0x0
	v_dual_fmac_f32 v10, s7, v9 :: v_dual_max_num_f32 v11, v12, v12
	s_delay_alu instid0(VALU_DEP_1) | instskip(NEXT) | instid1(VALU_DEP_1)
	v_dual_max_num_f32 v9, v11, v10 :: v_dual_cndmask_b32 v10, 0, v10, s4
	v_cndmask_b32_e64 v12, v12, v9, s4
	ds_store_b32 v7, v10
	scratch_store_b32 off, v12, off         ; 4-byte Folded Spill
	s_branch .LBB35_8
.LBB35_11:
	s_or_b32 exec_lo, exec_lo, s6
	s_clause 0x1
	scratch_load_b32 v22, off, off offset:212
	scratch_load_b32 v28, off, off offset:104
	s_wait_dscnt 0x0
	s_clause 0x3
	scratch_load_b32 v10, off, off offset:112
	scratch_load_b32 v11, off, off offset:120
	scratch_load_b64 v[8:9], off, off offset:128
	scratch_load_b32 v3, off, off
	s_wait_loadcnt 0x1
	v_mov_b32_e32 v8, 32
.LBB35_12:
	s_wait_xcnt 0x0
	s_or_b32 exec_lo, exec_lo, s24
	v_xor_b32_e32 v2, 8, v11
	v_xor_b32_e32 v0, 16, v11
	s_clause 0x1
	s_load_b64 s[6:7], s[0:1], 0x0
	s_load_b64 s[16:17], s[0:1], 0x18
	s_delay_alu instid0(VALU_DEP_1) | instskip(SKIP_1) | instid1(VALU_DEP_1)
	v_cmp_lt_i32_e32 vcc_lo, v0, v8
	v_cndmask_b32_e32 v0, v11, v0, vcc_lo
	v_lshlrev_b32_e32 v0, 2, v0
	s_wait_loadcnt 0x0
	ds_bpermute_b32 v1, v0, v3
	s_wait_dscnt 0x0
	v_dual_max_num_f32 v3, v3, v3 :: v_dual_max_num_f32 v4, v1, v1
	s_delay_alu instid0(VALU_DEP_1) | instskip(SKIP_2) | instid1(VALU_DEP_1)
	v_max_num_f32_e32 v3, v3, v4
	v_cmp_lt_i32_e32 vcc_lo, v2, v8
	v_dual_cndmask_b32 v2, v11, v2, vcc_lo :: v_dual_bitop2_b32 v4, 4, v11 bitop3:0x14
	v_cmp_lt_i32_e32 vcc_lo, v4, v8
	s_delay_alu instid0(VALU_DEP_2) | instskip(SKIP_3) | instid1(VALU_DEP_1)
	v_lshlrev_b32_e32 v1, 2, v2
	ds_bpermute_b32 v2, v1, v3
	s_wait_dscnt 0x0
	v_dual_cndmask_b32 v4, v11, v4 :: v_dual_max_num_f32 v5, v2, v2
	v_dual_max_num_f32 v3, v3, v5 :: v_dual_lshlrev_b32 v2, 2, v4
	ds_bpermute_b32 v4, v2, v3
	s_wait_dscnt 0x0
	v_dual_max_num_f32 v4, v4, v4 :: v_dual_bitop2_b32 v5, 2, v11 bitop3:0x14
	s_delay_alu instid0(VALU_DEP_1) | instskip(SKIP_1) | instid1(VALU_DEP_3)
	v_cmp_lt_i32_e32 vcc_lo, v5, v8
	v_cndmask_b32_e32 v5, v11, v5, vcc_lo
	v_dual_max_num_f32 v4, v3, v4 :: v_dual_bitop2_b32 v3, 31, v22 bitop3:0x40
	s_delay_alu instid0(VALU_DEP_2)
	v_lshlrev_b32_e32 v16, 2, v5
	scratch_store_b32 off, v3, off offset:208 ; 4-byte Folded Spill
	v_cmp_eq_u32_e32 vcc_lo, 0, v3
	scratch_load_b32 v3, off, off offset:200 ; 4-byte Folded Reload
	ds_bpermute_b32 v5, v16, v4
	s_wait_loadcnt 0x0
	v_lshlrev_b32_e32 v3, 2, v3
	s_wait_xcnt 0x0
	s_and_saveexec_b32 s0, vcc_lo
	s_cbranch_execz .LBB35_14
; %bb.13:
	s_wait_dscnt 0x0
	v_dual_max_num_f32 v5, v5, v5 :: v_dual_max_num_f32 v4, v4, v4
	s_delay_alu instid0(VALU_DEP_1)
	v_max_num_f32_e32 v4, v4, v5
	ds_store_b32 v3, v4 offset:1024
.LBB35_14:
	s_or_b32 exec_lo, exec_lo, s0
	v_and_b32_e32 v4, 31, v22
	s_wait_dscnt 0x0
	v_mov_b32_e32 v5, 0xff7fffff
	s_wait_storecnt 0x0
	s_barrier_signal -1
	s_barrier_wait -1
	v_cmp_gt_u32_e64 s0, 4, v4
	v_lshlrev_b32_e32 v4, 2, v4
	s_and_saveexec_b32 s1, s0
; %bb.15:
	ds_load_b32 v5, v4 offset:1024
; %bb.16:
	s_or_b32 exec_lo, exec_lo, s1
	s_wait_dscnt 0x0
	ds_bpermute_b32 v6, v16, v5
	v_dual_max_num_f32 v5, v5, v5 :: v_dual_bitop2_b32 v7, 1, v11 bitop3:0x14
	s_delay_alu instid0(VALU_DEP_1) | instskip(NEXT) | instid1(VALU_DEP_1)
	v_cmp_lt_i32_e64 s1, v7, v8
	v_cndmask_b32_e64 v7, v11, v7, s1
	s_lshl_b32 s1, s22, 4
	s_delay_alu instid0(SALU_CYCLE_1) | instskip(NEXT) | instid1(SALU_CYCLE_1)
	s_min_i32 s4, s1, s21
	v_cmp_gt_i32_e64 s1, s4, v22
	s_wait_dscnt 0x0
	v_dual_max_num_f32 v6, v6, v6 :: v_dual_lshlrev_b32 v7, 2, v7
	s_delay_alu instid0(VALU_DEP_1) | instskip(SKIP_4) | instid1(VALU_DEP_1)
	v_max_num_f32_e32 v5, v5, v6
	scratch_store_b32 off, v7, off offset:204 ; 4-byte Folded Spill
	ds_bpermute_b32 v6, v7, v5
	s_wait_dscnt 0x0
	v_max_num_f32_e32 v6, v6, v6
	v_dual_max_num_f32 v5, v5, v6 :: v_dual_lshlrev_b32 v6, 2, v9
	ds_bpermute_b32 v6, v6, v5
	v_mov_b32_e32 v5, 0
	s_wait_xcnt 0x0
	s_and_saveexec_b32 s15, s1
	s_cbranch_execz .LBB35_20
; %bb.17:
	v_lshl_add_u32 v7, v22, 2, 0x420
	v_dual_mov_b32 v5, 0 :: v_dual_mov_b32 v8, v22
	s_mov_b32 s23, 0
.LBB35_18:                              ; =>This Inner Loop Header: Depth=1
	ds_load_b32 v9, v7
	v_add_nc_u32_e32 v8, 0x80, v8
	s_delay_alu instid0(VALU_DEP_1) | instskip(SKIP_3) | instid1(VALU_DEP_1)
	v_cmp_le_i32_e64 s3, s4, v8
	s_or_b32 s23, s3, s23
	s_wait_dscnt 0x0
	v_sub_f32_e32 v9, v9, v6
	v_mul_f32_e32 v9, 0x3fb8aa3b, v9
	s_delay_alu instid0(VALU_DEP_1)
	v_exp_f32_e32 v9, v9
	ds_store_b32 v7, v9
	v_nop
	v_add_f32_e32 v5, v5, v9
	v_add_nc_u32_e32 v7, 0x200, v7
	s_and_not1_b32 exec_lo, exec_lo, s23
	s_cbranch_execnz .LBB35_18
; %bb.19:
	s_or_b32 exec_lo, exec_lo, s23
.LBB35_20:
	s_delay_alu instid0(SALU_CYCLE_1)
	s_or_b32 exec_lo, exec_lo, s15
	ds_bpermute_b32 v0, v0, v5
	s_wait_dscnt 0x0
	v_add_f32_e32 v0, v5, v0
	ds_bpermute_b32 v1, v1, v0
	s_wait_dscnt 0x0
	v_add_f32_e32 v0, v0, v1
	ds_bpermute_b32 v1, v2, v0
	s_wait_dscnt 0x0
	v_add_f32_e32 v0, v0, v1
	ds_bpermute_b32 v1, v16, v0
	s_wait_dscnt 0x0
	v_add_f32_e32 v0, v0, v1
	scratch_load_b32 v1, off, off offset:204 ; 4-byte Folded Reload
	s_wait_loadcnt 0x0
	ds_bpermute_b32 v1, v1, v0
	s_wait_dscnt 0x0
	v_add_f32_e32 v0, v0, v1
	s_wait_xcnt 0x0
	s_and_saveexec_b32 s3, vcc_lo
; %bb.21:
	ds_store_b32 v3, v0 offset:1040
; %bb.22:
	s_or_b32 exec_lo, exec_lo, s3
	s_wait_storecnt_dscnt 0x0
	s_barrier_signal -1
	s_barrier_wait -1
	s_and_saveexec_b32 s3, s0
; %bb.23:
	ds_load_b32 v0, v4 offset:1040
; %bb.24:
	s_or_b32 exec_lo, exec_lo, s3
	s_wait_dscnt 0x0
	ds_bpermute_b32 v1, v16, v0
	s_wait_dscnt 0x0
	v_dual_lshlrev_b32 v2, 2, v11 :: v_dual_add_f32 v0, v0, v1
	scratch_load_b32 v1, off, off offset:204 ; 4-byte Folded Reload
	s_wait_loadcnt 0x0
	ds_bpermute_b32 v1, v1, v0
	s_wait_dscnt 0x0
	v_add_f32_e32 v0, v0, v1
	v_and_b32_e32 v1, 0xffffff80, v2
	ds_bpermute_b32 v0, v1, v0
	s_and_saveexec_b32 s0, s1
	s_cbranch_execz .LBB35_37
; %bb.25:
	s_wait_dscnt 0x0
	v_add_f32_e32 v0, 0x358637bd, v0
	s_mov_b32 s3, -1
	s_mov_b32 s1, exec_lo
	s_delay_alu instid0(VALU_DEP_1) | instskip(NEXT) | instid1(VALU_DEP_1)
	v_div_scale_f32 v1, null, v0, v0, 1.0
	v_rcp_f32_e32 v3, v1
	v_nop
	s_delay_alu instid0(TRANS32_DEP_1) | instskip(NEXT) | instid1(VALU_DEP_1)
	v_fma_f32 v2, -v1, v3, 1.0
	v_fmac_f32_e32 v3, v2, v3
	v_div_scale_f32 v4, vcc_lo, 1.0, v0, 1.0
	s_delay_alu instid0(VALU_DEP_1) | instskip(NEXT) | instid1(VALU_DEP_1)
	v_mul_f32_e32 v5, v4, v3
	v_fma_f32 v2, -v1, v5, v4
	s_delay_alu instid0(VALU_DEP_1) | instskip(SKIP_1) | instid1(VALU_DEP_2)
	v_fmac_f32_e32 v5, v2, v3
	v_xad_u32 v2, v22, -1, s4
	v_fma_f32 v1, -v1, v5, v4
	s_delay_alu instid0(VALU_DEP_1) | instskip(NEXT) | instid1(VALU_DEP_1)
	v_div_fmas_f32 v1, v1, v3, v5
	v_div_fixup_f32 v0, v1, v0, 1.0
	v_mov_b32_e32 v1, v22
	v_cmpx_lt_u32_e32 0x7f, v2
	s_cbranch_execz .LBB35_34
; %bb.26:
	s_delay_alu instid0(VALU_DEP_3) | instskip(NEXT) | instid1(VALU_DEP_1)
	v_dual_mov_b32 v1, v0 :: v_dual_lshrrev_b32 v2, 7, v2
	v_dual_mov_b32 v6, 0 :: v_dual_add_nc_u32 v3, -1, v2
	s_delay_alu instid0(VALU_DEP_1) | instskip(SKIP_1) | instid1(VALU_DEP_2)
	v_lshrrev_b32_e32 v4, 1, v3
	v_cmp_lt_u32_e32 vcc_lo, 13, v3
	v_add_nc_u32_e32 v3, 1, v4
	s_and_saveexec_b32 s3, vcc_lo
	s_cbranch_execz .LBB35_30
; %bb.27:
	v_dual_mov_b32 v24, v10 :: v_dual_mov_b32 v23, v16
	s_delay_alu instid0(VALU_DEP_2)
	v_and_b32_e32 v4, -8, v3
	v_lshl_add_u32 v5, v22, 2, 0x420
	s_mov_b32 s15, 0
	s_mov_b32 s23, 0
.LBB35_28:                              ; =>This Inner Loop Header: Depth=1
	ds_load_2addr_stride64_b32 v[6:7], v5 offset1:2
	ds_load_2addr_stride64_b32 v[8:9], v5 offset0:4 offset1:6
	ds_load_2addr_stride64_b32 v[10:11], v5 offset0:8 offset1:10
	;; [unrolled: 1-line block ×7, first 2 shown]
	s_add_co_i32 s23, s23, 16
	v_add_nc_u32_e32 v4, -8, v4
	s_wait_dscnt 0x7
	v_pk_mul_f32 v[6:7], v[0:1], v[6:7]
	s_wait_dscnt 0x6
	v_pk_mul_f32 v[8:9], v[0:1], v[8:9]
	;; [unrolled: 2-line block ×8, first 2 shown]
	ds_store_2addr_stride64_b32 v5, v6, v7 offset1:2
	ds_store_2addr_stride64_b32 v5, v8, v9 offset0:4 offset1:6
	ds_store_2addr_stride64_b32 v5, v10, v11 offset0:8 offset1:10
	;; [unrolled: 1-line block ×7, first 2 shown]
	v_mov_b32_e32 v6, s23
	v_cmp_eq_u32_e32 vcc_lo, 0, v4
	v_add_nc_u32_e32 v5, 0x2000, v5
	s_or_b32 s15, vcc_lo, s15
	s_delay_alu instid0(SALU_CYCLE_1)
	s_and_not1_b32 exec_lo, exec_lo, s15
	s_cbranch_execnz .LBB35_28
; %bb.29:
	s_or_b32 exec_lo, exec_lo, s15
	v_dual_mov_b32 v16, v23 :: v_dual_mov_b32 v10, v24
.LBB35_30:
	s_or_b32 exec_lo, exec_lo, s3
	s_delay_alu instid0(VALU_DEP_1) | instskip(SKIP_2) | instid1(VALU_DEP_1)
	v_and_b32_e32 v3, 7, v3
	s_mov_b32 s15, 0
	s_mov_b32 s3, exec_lo
	v_cmpx_ne_u32_e32 0, v3
	s_cbranch_execz .LBB35_33
; %bb.31:
	v_lshlrev_b32_e32 v4, 9, v6
	s_delay_alu instid0(VALU_DEP_1)
	v_add3_u32 v4, v4, v28, 0x420
.LBB35_32:                              ; =>This Inner Loop Header: Depth=1
	ds_load_2addr_stride64_b32 v[6:7], v4 offset1:2
	v_add_nc_u32_e32 v3, -1, v3
	s_delay_alu instid0(VALU_DEP_1)
	v_cmp_eq_u32_e32 vcc_lo, 0, v3
	s_or_b32 s15, vcc_lo, s15
	s_wait_dscnt 0x0
	v_pk_mul_f32 v[6:7], v[0:1], v[6:7]
	ds_store_2addr_stride64_b32 v4, v6, v7 offset1:2
	v_add_nc_u32_e32 v4, 0x400, v4
	s_and_not1_b32 exec_lo, exec_lo, s15
	s_cbranch_execnz .LBB35_32
.LBB35_33:
	s_or_b32 exec_lo, exec_lo, s3
	v_add_nc_u32_e32 v1, 1, v2
	s_delay_alu instid0(VALU_DEP_1) | instskip(NEXT) | instid1(VALU_DEP_1)
	v_and_b32_e32 v2, 0x3fffffe, v1
	v_cmp_ne_u32_e32 vcc_lo, v1, v2
	v_lshl_add_u32 v1, v2, 7, v22
	s_or_not1_b32 s3, vcc_lo, exec_lo
.LBB35_34:
	s_or_b32 exec_lo, exec_lo, s1
	s_delay_alu instid0(SALU_CYCLE_1)
	s_and_b32 exec_lo, exec_lo, s3
	s_cbranch_execz .LBB35_37
; %bb.35:
	v_lshl_add_u32 v2, v1, 2, 0x420
	s_mov_b32 s1, 0
.LBB35_36:                              ; =>This Inner Loop Header: Depth=1
	ds_load_b32 v3, v2
	v_add_nc_u32_e32 v1, 0x80, v1
	s_delay_alu instid0(VALU_DEP_1)
	v_cmp_le_i32_e32 vcc_lo, s4, v1
	s_or_b32 s1, vcc_lo, s1
	s_wait_dscnt 0x0
	v_mul_f32_e32 v3, v0, v3
	ds_store_b32 v2, v3
	v_add_nc_u32_e32 v2, 0x200, v2
	s_and_not1_b32 exec_lo, exec_lo, s1
	s_cbranch_execnz .LBB35_36
.LBB35_37:
	s_or_b32 exec_lo, exec_lo, s0
	s_wait_dscnt 0x0
	v_dual_mov_b32 v1, 0 :: v_dual_bitop2_b32 v0, 3, v22 bitop3:0x40
	v_dual_mov_b32 v66, 0 :: v_dual_mov_b32 v65, 0
	v_dual_mov_b32 v64, 0 :: v_dual_mov_b32 v61, 0
	scratch_store_b32 off, v0, off offset:216 ; 4-byte Folded Spill
	s_wait_xcnt 0x0
	v_dual_mov_b32 v0, 0 :: v_dual_mov_b32 v67, 0
	v_dual_mov_b32 v60, 0 :: v_dual_mov_b32 v57, 0
	;; [unrolled: 1-line block ×3, first 2 shown]
	scratch_store_b64 off, v[0:1], off offset:96 ; 8-byte Folded Spill
	v_dual_mov_b32 v52, 0 :: v_dual_mov_b32 v49, 0
	v_dual_mov_b32 v48, 0 :: v_dual_mov_b32 v47, 0
	;; [unrolled: 1-line block ×6, first 2 shown]
	s_wait_xcnt 0x0
	v_dual_mov_b32 v126, 0 :: v_dual_mov_b32 v1, 0
	v_dual_mov_b32 v0, 0 :: v_dual_mov_b32 v15, 0
	;; [unrolled: 1-line block ×4, first 2 shown]
	v_mov_b32_e32 v24, 0
	s_wait_storecnt 0x0
	s_barrier_signal -1
	s_barrier_wait -1
	s_and_saveexec_b32 s23, s2
	s_cbranch_execz .LBB35_105
; %bb.38:
	s_clause 0x1
	scratch_load_b32 v0, off, off offset:216
	scratch_load_b32 v4, off, off offset:200
	v_dual_mov_b32 v7, 0 :: v_dual_bitop2_b32 v1, 12, v28 bitop3:0x40
	s_ashr_i32 s15, s14, 31
	v_and_b32_e32 v6, 0x7c, v10
	s_lshl_b64 s[0:1], s[14:15], 2
	s_ashr_i32 s3, s5, 31
	s_mov_b32 s2, s5
	s_wait_kmcnt 0x0
	s_add_nc_u64 s[4:5], s[16:17], s[0:1]
	s_lshl_b64 s[0:1], s[10:11], 2
	scratch_store_b32 off, v16, off offset:220 ; 4-byte Folded Spill
	v_or_b32_e32 v2, 0xf80, v28
	s_add_nc_u64 s[0:1], s[12:13], s[0:1]
	v_dual_mov_b32 v27, v7 :: v_dual_mov_b32 v26, v7
	v_add_nc_u64_e32 v[8:9], s[0:1], v[6:7]
	v_dual_mov_b32 v19, v7 :: v_dual_mov_b32 v18, v7
	v_dual_mov_b32 v21, v7 :: v_dual_mov_b32 v20, v7
	;; [unrolled: 1-line block ×6, first 2 shown]
	s_add_co_i32 s10, s22, -1
	s_mov_b32 s12, s21
	s_mov_b32 s11, 0
	s_wait_loadcnt 0x1
	v_dual_lshlrev_b32 v6, 2, v2 :: v_dual_lshlrev_b32 v3, 4, v0
	v_and_b32_e32 v0, 0x7c, v28
	s_wait_loadcnt 0x0
	v_lshl_or_b32 v16, v4, 4, v1
	s_delay_alu instid0(VALU_DEP_2)
	v_dual_mov_b32 v1, v7 :: v_dual_lshlrev_b32 v0, 2, v0
	v_lshl_or_b32 v3, v4, 6, v3
	scratch_store_b64 off, v[0:1], off offset:192 ; 8-byte Folded Spill
	s_wait_xcnt 0x0
	v_dual_mov_b32 v0, v7 :: v_dual_add_nc_u32 v5, 0x420, v3
	s_clause 0x8
	scratch_store_b64 off, v[0:1], off offset:96
	scratch_store_b64 off, v[0:1], off offset:104
	;; [unrolled: 1-line block ×9, first 2 shown]
	s_branch .LBB35_40
.LBB35_39:                              ;   in Loop: Header=BB35_40 Depth=1
	s_or_b32 exec_lo, exec_lo, s1
	s_wait_dscnt 0x0
	v_mul_f32_e32 v2, v6, v2
	v_dual_mul_f32 v10, v6, v10 :: v_dual_add_nc_u32 v16, 64, v16
	v_mul_f32_e32 v17, v6, v94
	s_delay_alu instid0(VALU_DEP_3) | instskip(NEXT) | instid1(VALU_DEP_3)
	v_dual_mul_f32 v26, v6, v90 :: v_dual_fmac_f32 v2, v7, v3
	v_dual_fmac_f32 v10, v7, v11 :: v_dual_mul_f32 v3, v6, v122
	s_delay_alu instid0(VALU_DEP_2) | instskip(NEXT) | instid1(VALU_DEP_3)
	v_dual_mul_f32 v11, v6, v110 :: v_dual_fmac_f32 v26, v7, v91
	v_dual_fmac_f32 v2, v8, v4 :: v_dual_mul_f32 v4, v6, v118
	s_delay_alu instid0(VALU_DEP_3) | instskip(NEXT) | instid1(VALU_DEP_2)
	v_dual_fmac_f32 v10, v8, v12 :: v_dual_fmac_f32 v3, v7, v123
	v_dual_fmac_f32 v11, v7, v111 :: v_dual_fmac_f32 v2, v9, v5
	s_delay_alu instid0(VALU_DEP_3) | instskip(NEXT) | instid1(VALU_DEP_2)
	v_dual_fmac_f32 v4, v7, v119 :: v_dual_mul_f32 v5, v6, v114
	v_dual_mul_f32 v12, v6, v102 :: v_dual_fmac_f32 v11, v8, v112
	s_delay_alu instid0(VALU_DEP_4) | instskip(NEXT) | instid1(VALU_DEP_3)
	v_dual_fmac_f32 v10, v9, v13 :: v_dual_fmac_f32 v3, v8, v124
	v_dual_fmac_f32 v4, v8, v120 :: v_dual_fmac_f32 v5, v7, v115
	s_delay_alu instid0(VALU_DEP_3) | instskip(NEXT) | instid1(VALU_DEP_2)
	v_dual_fmac_f32 v11, v9, v113 :: v_dual_fmac_f32 v12, v7, v103
	v_dual_mul_f32 v13, v6, v98 :: v_dual_fmac_f32 v4, v9, v121
	s_delay_alu instid0(VALU_DEP_3) | instskip(SKIP_1) | instid1(VALU_DEP_3)
	v_fmac_f32_e32 v5, v8, v116
	v_dual_fmac_f32 v17, v7, v95 :: v_dual_fmac_f32 v26, v8, v92
	v_dual_fmac_f32 v12, v8, v104 :: v_dual_fmac_f32 v13, v7, v99
	s_delay_alu instid0(VALU_DEP_3) | instskip(NEXT) | instid1(VALU_DEP_3)
	v_fmac_f32_e32 v5, v9, v117
	v_dual_fmac_f32 v17, v8, v96 :: v_dual_fmac_f32 v26, v9, v93
	s_delay_alu instid0(VALU_DEP_3) | instskip(NEXT) | instid1(VALU_DEP_2)
	v_dual_fmac_f32 v12, v9, v105 :: v_dual_fmac_f32 v13, v8, v100
	v_dual_mul_f32 v27, v6, v86 :: v_dual_fmac_f32 v17, v9, v97
	v_dual_fmac_f32 v3, v9, v125 :: v_dual_mul_f32 v28, v6, v82
	s_delay_alu instid0(VALU_DEP_2) | instskip(NEXT) | instid1(VALU_DEP_2)
	v_dual_fmac_f32 v13, v9, v101 :: v_dual_fmac_f32 v27, v7, v87
	v_fmac_f32_e32 v28, v7, v83
	scratch_load_b64 v[82:83], off, off offset:96 th:TH_LOAD_LU ; 8-byte Folded Reload
	v_fmac_f32_e32 v27, v8, v88
	s_delay_alu instid0(VALU_DEP_1) | instskip(NEXT) | instid1(VALU_DEP_1)
	v_dual_fmac_f32 v28, v8, v84 :: v_dual_fmac_f32 v27, v9, v89
	v_fmac_f32_e32 v28, v9, v85
	scratch_load_b64 v[84:85], off, off offset:104 th:TH_LOAD_LU ; 8-byte Folded Reload
	s_wait_loadcnt 0x1
	v_add_f32_e32 v82, v82, v10
	s_wait_loadcnt 0x0
	v_dual_add_f32 v85, v85, v2 :: v_dual_add_f32 v84, v84, v3
	scratch_load_b64 v[2:3], off, off offset:112 th:TH_LOAD_LU ; 8-byte Folded Reload
	s_wait_loadcnt 0x0
	v_dual_add_f32 v3, v3, v4 :: v_dual_add_f32 v2, v2, v5
	v_mul_f32_e32 v4, v6, v70
	v_mul_f32_e32 v5, v6, v66
	s_clause 0x1
	scratch_store_b64 off, v[2:3], off offset:112
	scratch_load_b64 v[2:3], off, off offset:120 th:TH_LOAD_LU
	v_fmac_f32_e32 v4, v7, v71
	s_delay_alu instid0(VALU_DEP_1) | instskip(SKIP_1) | instid1(VALU_DEP_1)
	v_fmac_f32_e32 v4, v8, v72
	s_wait_loadcnt 0x0
	v_dual_fmac_f32 v4, v9, v73 :: v_dual_add_f32 v3, v3, v11
	v_add_f32_e32 v2, v2, v12
	s_clause 0x2
	scratch_load_b64 v[10:11], off, off offset:136 th:TH_LOAD_LU
	scratch_store_b64 off, v[2:3], off offset:120
	scratch_load_b64 v[2:3], off, off offset:128 th:TH_LOAD_LU
	s_wait_loadcnt 0x0
	v_dual_add_f32 v11, v11, v26 :: v_dual_add_f32 v2, v2, v17
	v_add_f32_e32 v3, v3, v13
	scratch_load_b64 v[12:13], off, off offset:144 th:TH_LOAD_LU ; 8-byte Folded Reload
	v_add_f32_e32 v10, v10, v27
	scratch_load_b64 v[26:27], off, off offset:160 th:TH_LOAD_LU ; 8-byte Folded Reload
	s_wait_loadcnt 0x1
	v_add_f32_e32 v13, v13, v28
	scratch_store_b64 off, v[2:3], off offset:128 ; 8-byte Folded Spill
	s_wait_xcnt 0x0
	v_mul_f32_e32 v3, v6, v74
	s_delay_alu instid0(VALU_DEP_1) | instskip(NEXT) | instid1(VALU_DEP_1)
	v_dual_mul_f32 v2, v6, v78 :: v_dual_fmac_f32 v3, v7, v75
	v_fmac_f32_e32 v2, v7, v79
	s_delay_alu instid0(VALU_DEP_2) | instskip(NEXT) | instid1(VALU_DEP_2)
	v_dual_fmac_f32 v5, v7, v67 :: v_dual_fmac_f32 v3, v8, v76
	v_fmac_f32_e32 v2, v8, v80
	s_delay_alu instid0(VALU_DEP_2) | instskip(NEXT) | instid1(VALU_DEP_2)
	v_dual_fmac_f32 v5, v8, v68 :: v_dual_fmac_f32 v3, v9, v77
	v_fmac_f32_e32 v2, v9, v81
	s_delay_alu instid0(VALU_DEP_1)
	v_dual_fmac_f32 v5, v9, v69 :: v_dual_add_f32 v12, v12, v2
	scratch_store_b64 off, v[10:11], off offset:136 ; 8-byte Folded Spill
	s_wait_xcnt 0x0
	v_mul_f32_e32 v10, v6, v62
	s_clause 0x1
	scratch_store_b64 off, v[12:13], off offset:144
	scratch_load_b64 v[12:13], off, off offset:152 th:TH_LOAD_LU
	v_fmac_f32_e32 v10, v7, v63
	s_delay_alu instid0(VALU_DEP_1) | instskip(NEXT) | instid1(VALU_DEP_1)
	v_dual_fmac_f32 v10, v8, v64 :: v_dual_mul_f32 v2, v6, v58
	v_fmac_f32_e32 v10, v9, v65
	s_wait_loadcnt 0x1
	v_add_f32_e32 v27, v27, v5
	s_delay_alu instid0(VALU_DEP_2)
	v_dual_fmac_f32 v2, v7, v59 :: v_dual_add_f32 v26, v26, v10
	s_wait_loadcnt 0x0
	v_dual_add_f32 v13, v13, v3 :: v_dual_add_f32 v12, v12, v4
	v_mul_f32_e32 v3, v6, v54
	v_mul_f32_e32 v5, v6, v46
	v_dual_mul_f32 v4, v6, v50 :: v_dual_fmac_f32 v2, v8, v60
	s_delay_alu instid0(VALU_DEP_3) | instskip(NEXT) | instid1(VALU_DEP_3)
	v_dual_mul_f32 v10, v6, v42 :: v_dual_fmac_f32 v3, v7, v55
	v_fmac_f32_e32 v5, v7, v47
	s_delay_alu instid0(VALU_DEP_3) | instskip(NEXT) | instid1(VALU_DEP_3)
	v_dual_fmac_f32 v4, v7, v51 :: v_dual_fmac_f32 v2, v9, v61
	v_dual_fmac_f32 v10, v7, v43 :: v_dual_fmac_f32 v3, v8, v56
	s_delay_alu instid0(VALU_DEP_3) | instskip(NEXT) | instid1(VALU_DEP_3)
	v_fmac_f32_e32 v5, v8, v48
	v_dual_fmac_f32 v4, v8, v52 :: v_dual_add_f32 v19, v19, v2
	s_delay_alu instid0(VALU_DEP_3) | instskip(SKIP_4) | instid1(VALU_DEP_3)
	v_fmac_f32_e32 v10, v8, v44
	scratch_store_b64 off, v[12:13], off offset:152 ; 8-byte Folded Spill
	v_fmac_f32_e32 v3, v9, v57
	v_dual_fmac_f32 v5, v9, v49 :: v_dual_mul_f32 v2, v6, v38
	v_fmac_f32_e32 v4, v9, v53
	v_dual_fmac_f32 v10, v9, v45 :: v_dual_add_f32 v18, v18, v3
	s_delay_alu instid0(VALU_DEP_3) | instskip(NEXT) | instid1(VALU_DEP_3)
	v_dual_mul_f32 v3, v6, v34 :: v_dual_fmac_f32 v2, v7, v39
	v_dual_add_f32 v21, v21, v4 :: v_dual_add_f32 v20, v20, v5
	s_delay_alu instid0(VALU_DEP_3)
	v_add_f32_e32 v127, v127, v10
	scratch_load_b128 v[10:13], off, off offset:64 th:TH_LOAD_LU ; 16-byte Folded Reload
	v_dual_mul_f32 v4, v6, v30 :: v_dual_fmac_f32 v3, v7, v35
	v_fmac_f32_e32 v2, v8, v40
	scratch_load_b128 v[42:45], off, off offset:80 th:TH_LOAD_LU ; 16-byte Folded Reload
	v_dual_fmac_f32 v4, v7, v31 :: v_dual_fmac_f32 v3, v8, v36
	v_fmac_f32_e32 v2, v9, v41
	s_clause 0x1
	scratch_load_b128 v[38:41], off, off offset:48 th:TH_LOAD_LU
	scratch_load_b128 v[28:31], off, off th:TH_LOAD_LU
	v_dual_fmac_f32 v4, v8, v32 :: v_dual_fmac_f32 v3, v9, v37
	s_delay_alu instid0(VALU_DEP_1) | instskip(SKIP_4) | instid1(VALU_DEP_1)
	v_dual_add_f32 v126, v126, v2 :: v_dual_fmac_f32 v4, v9, v33
	scratch_load_b128 v[32:35], off, off offset:16 th:TH_LOAD_LU ; 16-byte Folded Reload
	s_wait_loadcnt 0x4
	v_dual_add_f32 v0, v0, v4 :: v_dual_mul_f32 v10, v6, v10
	s_wait_loadcnt 0x2
	v_dual_fmac_f32 v10, v7, v11 :: v_dual_mul_f32 v11, v6, v38
	s_delay_alu instid0(VALU_DEP_1) | instskip(SKIP_3) | instid1(VALU_DEP_1)
	v_dual_fmac_f32 v10, v8, v12 :: v_dual_fmac_f32 v11, v7, v39
	scratch_load_b128 v[36:39], off, off offset:32 th:TH_LOAD_LU ; 16-byte Folded Reload
	v_dual_mul_f32 v5, v6, v42 :: v_dual_fmac_f32 v10, v9, v13
	s_wait_loadcnt 0x1
	v_dual_mul_f32 v12, v6, v32 :: v_dual_fmac_f32 v5, v7, v43
	s_delay_alu instid0(VALU_DEP_1) | instskip(NEXT) | instid1(VALU_DEP_2)
	v_dual_add_f32 v14, v14, v10 :: v_dual_fmac_f32 v12, v7, v33
	v_fmac_f32_e32 v5, v8, v44
	s_delay_alu instid0(VALU_DEP_1) | instskip(SKIP_2) | instid1(VALU_DEP_3)
	v_fmac_f32_e32 v5, v9, v45
	v_add_f32_e32 v1, v1, v3
	v_pk_mul_f32 v[2:3], v[6:7], v[106:107]
	v_add_f32_e32 v15, v15, v5
	v_pk_mul_f32 v[4:5], v[8:9], v[108:109]
	s_wait_loadcnt 0x0
	v_mul_f32_e32 v10, v6, v36
	s_delay_alu instid0(VALU_DEP_1) | instskip(NEXT) | instid1(VALU_DEP_1)
	v_dual_mul_f32 v13, v6, v28 :: v_dual_fmac_f32 v10, v7, v37
	v_dual_fmac_f32 v11, v8, v40 :: v_dual_fmac_f32 v13, v7, v29
	s_delay_alu instid0(VALU_DEP_1) | instskip(NEXT) | instid1(VALU_DEP_1)
	v_dual_add_f32 v2, v3, v2 :: v_dual_fmac_f32 v11, v9, v41
	v_dual_fmac_f32 v10, v8, v38 :: v_dual_add_f32 v23, v23, v11
	s_delay_alu instid0(VALU_DEP_1) | instskip(NEXT) | instid1(VALU_DEP_1)
	v_dual_fmac_f32 v12, v8, v34 :: v_dual_fmac_f32 v10, v9, v39
	v_dual_fmac_f32 v13, v8, v30 :: v_dual_fmac_f32 v12, v9, v35
	s_delay_alu instid0(VALU_DEP_1)
	v_dual_add_f32 v2, v4, v2 :: v_dual_fmac_f32 v13, v9, v31
	s_clause 0x1
	scratch_load_b32 v4, off, off offset:180 th:TH_LOAD_LU
	scratch_load_b64 v[8:9], off, off offset:172 th:TH_LOAD_LU
	v_dual_add_f32 v22, v22, v10 :: v_dual_add_f32 v25, v25, v12
	v_add_f32_e32 v2, v5, v2
	scratch_load_b32 v5, off, off offset:168 th:TH_LOAD_LU ; 4-byte Folded Reload
	s_wait_loadcnt 0x2
	v_add_nc_u32_e32 v4, 4, v4
	s_wait_loadcnt 0x1
	v_add_nc_u64_e32 v[8:9], 16, v[8:9]
	v_dual_add_f32 v24, v24, v13 :: v_dual_add_f32 v83, v83, v2
	scratch_store_b64 off, v[84:85], off offset:104 ; 8-byte Folded Spill
	v_cmp_le_i32_e32 vcc_lo, s22, v4
	s_wait_loadcnt 0x0
	v_add_nc_u32_e32 v5, 0x100, v5
	scratch_store_b64 off, v[82:83], off offset:96 ; 8-byte Folded Spill
	s_or_b32 s11, vcc_lo, s11
	s_wait_xcnt 0x0
	s_and_not1_b32 exec_lo, exec_lo, s11
	s_cbranch_execz .LBB35_104
.LBB35_40:                              ; =>This Inner Loop Header: Depth=1
	s_clause 0x1
	scratch_store_b64 off, v[26:27], off offset:160
	scratch_store_b64 off, v[8:9], off offset:172
	global_load_b32 v2, v[8:9], off
	v_cmp_eq_u32_e32 vcc_lo, s10, v4
	v_or_b32_e32 v17, 3, v16
	s_wait_xcnt 0x2
	v_dual_add_nc_u32 v27, 1, v16 :: v_dual_bitop2_b32 v26, 2, v16 bitop3:0x54
	s_wait_loadcnt 0x0
	v_ashrrev_i32_e32 v3, 31, v2
	s_delay_alu instid0(VALU_DEP_1) | instskip(NEXT) | instid1(VALU_DEP_1)
	v_mul_u64_e32 v[2:3], s[2:3], v[2:3]
	v_lshl_add_u64 v[106:107], v[2:3], 2, s[4:5]
	scratch_load_b64 v[2:3], off, off offset:192 ; 8-byte Folded Reload
	s_wait_loadcnt 0x0
	v_add_nc_u64_e32 v[10:11], v[106:107], v[2:3]
	global_load_b128 v[6:9], v[10:11], off
	s_wait_loadcnt 0x0
	s_clause 0x1
	scratch_store_b128 off, v[6:9], off
	scratch_store_b32 off, v5, off offset:168
	s_wait_xcnt 0x1
	ds_load_b128 v[6:9], v5
	scratch_store_b32 off, v4, off offset:180 ; 4-byte Folded Spill
	s_wait_xcnt 0x0
	s_and_saveexec_b32 s1, vcc_lo
	s_cbranch_execz .LBB35_42
; %bb.41:                               ;   in Loop: Header=BB35_40 Depth=1
	scratch_load_b128 v[2:5], off, off th:TH_LOAD_LU ; 16-byte Folded Reload
	v_cmp_gt_i32_e64 s0, s12, v27
	s_wait_loadcnt 0x0
	s_delay_alu instid0(VALU_DEP_1) | instskip(SKIP_1) | instid1(VALU_DEP_1)
	v_cndmask_b32_e64 v3, 0, v3, s0
	v_cmp_gt_i32_e64 s0, s21, v16
	v_cndmask_b32_e64 v2, 0, v2, s0
	v_cmp_gt_i32_e64 s0, s12, v17
	s_delay_alu instid0(VALU_DEP_1) | instskip(SKIP_1) | instid1(VALU_DEP_1)
	v_cndmask_b32_e64 v5, 0, v5, s0
	v_cmp_gt_i32_e64 s0, s21, v26
	v_cndmask_b32_e64 v4, 0, v4, s0
	scratch_store_b128 off, v[2:5], off     ; 16-byte Folded Spill
.LBB35_42:                              ;   in Loop: Header=BB35_40 Depth=1
	s_wait_xcnt 0x0
	s_or_b32 exec_lo, exec_lo, s1
	global_load_b128 v[2:5], v[10:11], off offset:512
	s_wait_loadcnt 0x0
	scratch_store_b128 off, v[2:5], off offset:16 ; 16-byte Folded Spill
	s_wait_xcnt 0x0
	s_and_saveexec_b32 s1, vcc_lo
	s_cbranch_execz .LBB35_44
; %bb.43:                               ;   in Loop: Header=BB35_40 Depth=1
	scratch_load_b128 v[2:5], off, off offset:16 th:TH_LOAD_LU ; 16-byte Folded Reload
	v_cmp_gt_i32_e64 s0, s12, v27
	s_wait_loadcnt 0x0
	s_delay_alu instid0(VALU_DEP_1) | instskip(SKIP_1) | instid1(VALU_DEP_1)
	v_cndmask_b32_e64 v3, 0, v3, s0
	v_cmp_gt_i32_e64 s0, s21, v16
	v_cndmask_b32_e64 v2, 0, v2, s0
	v_cmp_gt_i32_e64 s0, s12, v17
	s_delay_alu instid0(VALU_DEP_1) | instskip(SKIP_1) | instid1(VALU_DEP_1)
	v_cndmask_b32_e64 v5, 0, v5, s0
	v_cmp_gt_i32_e64 s0, s21, v26
	v_cndmask_b32_e64 v4, 0, v4, s0
	scratch_store_b128 off, v[2:5], off offset:16 ; 16-byte Folded Spill
.LBB35_44:                              ;   in Loop: Header=BB35_40 Depth=1
	s_wait_xcnt 0x0
	s_or_b32 exec_lo, exec_lo, s1
	global_load_b128 v[2:5], v[10:11], off offset:1024
	s_wait_loadcnt 0x0
	scratch_store_b128 off, v[2:5], off offset:32 ; 16-byte Folded Spill
	s_wait_xcnt 0x0
	s_and_saveexec_b32 s1, vcc_lo
	s_cbranch_execz .LBB35_46
; %bb.45:                               ;   in Loop: Header=BB35_40 Depth=1
	scratch_load_b128 v[2:5], off, off offset:32 th:TH_LOAD_LU ; 16-byte Folded Reload
	v_cmp_gt_i32_e64 s0, s12, v27
	s_wait_loadcnt 0x0
	s_delay_alu instid0(VALU_DEP_1) | instskip(SKIP_1) | instid1(VALU_DEP_1)
	v_cndmask_b32_e64 v3, 0, v3, s0
	v_cmp_gt_i32_e64 s0, s21, v16
	v_cndmask_b32_e64 v2, 0, v2, s0
	v_cmp_gt_i32_e64 s0, s12, v17
	s_delay_alu instid0(VALU_DEP_1) | instskip(SKIP_1) | instid1(VALU_DEP_1)
	v_cndmask_b32_e64 v5, 0, v5, s0
	v_cmp_gt_i32_e64 s0, s21, v26
	v_cndmask_b32_e64 v4, 0, v4, s0
	scratch_store_b128 off, v[2:5], off offset:32 ; 16-byte Folded Spill
.LBB35_46:                              ;   in Loop: Header=BB35_40 Depth=1
	;; [unrolled: 23-line block ×4, first 2 shown]
	s_wait_xcnt 0x0
	s_or_b32 exec_lo, exec_lo, s1
	global_load_b128 v[2:5], v[10:11], off offset:2560
	s_wait_loadcnt 0x0
	scratch_store_b128 off, v[2:5], off offset:80 ; 16-byte Folded Spill
	s_wait_xcnt 0x0
	s_and_saveexec_b32 s1, vcc_lo
	s_cbranch_execnz .LBB35_79
; %bb.51:                               ;   in Loop: Header=BB35_40 Depth=1
	s_or_b32 exec_lo, exec_lo, s1
	global_load_b128 v[30:33], v[10:11], off offset:3072
	s_wait_xcnt 0x0
	s_and_saveexec_b32 s1, vcc_lo
	s_cbranch_execnz .LBB35_80
.LBB35_52:                              ;   in Loop: Header=BB35_40 Depth=1
	s_or_b32 exec_lo, exec_lo, s1
	global_load_b128 v[34:37], v[10:11], off offset:3584
	s_wait_xcnt 0x0
	s_and_saveexec_b32 s1, vcc_lo
	s_cbranch_execnz .LBB35_81
.LBB35_53:                              ;   in Loop: Header=BB35_40 Depth=1
	s_or_b32 exec_lo, exec_lo, s1
	global_load_b128 v[38:41], v[10:11], off offset:4096
	s_wait_xcnt 0x0
	s_and_saveexec_b32 s1, vcc_lo
	s_cbranch_execnz .LBB35_82
.LBB35_54:                              ;   in Loop: Header=BB35_40 Depth=1
	s_or_b32 exec_lo, exec_lo, s1
	global_load_b128 v[42:45], v[10:11], off offset:4608
	s_wait_xcnt 0x0
	s_and_saveexec_b32 s1, vcc_lo
	s_cbranch_execnz .LBB35_83
.LBB35_55:                              ;   in Loop: Header=BB35_40 Depth=1
	s_or_b32 exec_lo, exec_lo, s1
	global_load_b128 v[46:49], v[10:11], off offset:5120
	s_wait_xcnt 0x0
	s_and_saveexec_b32 s1, vcc_lo
	s_cbranch_execnz .LBB35_84
.LBB35_56:                              ;   in Loop: Header=BB35_40 Depth=1
	s_or_b32 exec_lo, exec_lo, s1
	global_load_b128 v[50:53], v[10:11], off offset:5632
	s_wait_xcnt 0x0
	s_and_saveexec_b32 s1, vcc_lo
	s_cbranch_execnz .LBB35_85
.LBB35_57:                              ;   in Loop: Header=BB35_40 Depth=1
	s_or_b32 exec_lo, exec_lo, s1
	global_load_b128 v[54:57], v[10:11], off offset:6144
	s_wait_xcnt 0x0
	s_and_saveexec_b32 s1, vcc_lo
	s_cbranch_execnz .LBB35_86
.LBB35_58:                              ;   in Loop: Header=BB35_40 Depth=1
	s_or_b32 exec_lo, exec_lo, s1
	global_load_b128 v[58:61], v[10:11], off offset:6656
	s_wait_xcnt 0x0
	s_and_saveexec_b32 s1, vcc_lo
	s_cbranch_execnz .LBB35_87
.LBB35_59:                              ;   in Loop: Header=BB35_40 Depth=1
	s_or_b32 exec_lo, exec_lo, s1
	global_load_b128 v[62:65], v[10:11], off offset:7168
	s_wait_xcnt 0x0
	s_and_saveexec_b32 s1, vcc_lo
	s_cbranch_execnz .LBB35_88
.LBB35_60:                              ;   in Loop: Header=BB35_40 Depth=1
	s_or_b32 exec_lo, exec_lo, s1
	global_load_b128 v[66:69], v[10:11], off offset:7680
	s_wait_xcnt 0x0
	s_and_saveexec_b32 s1, vcc_lo
	s_cbranch_execnz .LBB35_89
.LBB35_61:                              ;   in Loop: Header=BB35_40 Depth=1
	s_or_b32 exec_lo, exec_lo, s1
	global_load_b128 v[70:73], v[10:11], off offset:8192
	s_wait_xcnt 0x0
	s_and_saveexec_b32 s1, vcc_lo
	s_cbranch_execnz .LBB35_90
.LBB35_62:                              ;   in Loop: Header=BB35_40 Depth=1
	s_or_b32 exec_lo, exec_lo, s1
	global_load_b128 v[74:77], v[10:11], off offset:8704
	s_wait_xcnt 0x0
	s_and_saveexec_b32 s13, vcc_lo
	s_cbranch_execnz .LBB35_91
.LBB35_63:                              ;   in Loop: Header=BB35_40 Depth=1
	s_or_b32 exec_lo, exec_lo, s13
	global_load_b128 v[78:81], v[10:11], off offset:9216
	s_wait_xcnt 0x0
	s_and_saveexec_b32 s13, vcc_lo
	s_cbranch_execnz .LBB35_92
.LBB35_64:                              ;   in Loop: Header=BB35_40 Depth=1
	s_or_b32 exec_lo, exec_lo, s13
	global_load_b128 v[82:85], v[10:11], off offset:9728
	s_wait_xcnt 0x0
	s_and_saveexec_b32 s13, vcc_lo
	s_cbranch_execnz .LBB35_93
.LBB35_65:                              ;   in Loop: Header=BB35_40 Depth=1
	s_or_b32 exec_lo, exec_lo, s13
	global_load_b128 v[86:89], v[10:11], off offset:10240
	s_wait_xcnt 0x0
	s_and_saveexec_b32 s13, vcc_lo
	s_cbranch_execnz .LBB35_94
.LBB35_66:                              ;   in Loop: Header=BB35_40 Depth=1
	s_or_b32 exec_lo, exec_lo, s13
	global_load_b128 v[90:93], v[10:11], off offset:10752
	s_wait_xcnt 0x0
	s_and_saveexec_b32 s13, vcc_lo
	s_cbranch_execnz .LBB35_95
.LBB35_67:                              ;   in Loop: Header=BB35_40 Depth=1
	s_or_b32 exec_lo, exec_lo, s13
	global_load_b128 v[94:97], v[10:11], off offset:11264
	s_wait_xcnt 0x0
	s_and_saveexec_b32 s13, vcc_lo
	s_cbranch_execnz .LBB35_96
.LBB35_68:                              ;   in Loop: Header=BB35_40 Depth=1
	s_or_b32 exec_lo, exec_lo, s13
	global_load_b128 v[98:101], v[10:11], off offset:11776
	s_wait_xcnt 0x0
	s_and_saveexec_b32 s13, vcc_lo
	s_cbranch_execnz .LBB35_97
.LBB35_69:                              ;   in Loop: Header=BB35_40 Depth=1
	s_or_b32 exec_lo, exec_lo, s13
	global_load_b128 v[102:105], v[10:11], off offset:12288
	s_wait_xcnt 0x0
	s_and_saveexec_b32 s13, vcc_lo
	s_cbranch_execnz .LBB35_98
.LBB35_70:                              ;   in Loop: Header=BB35_40 Depth=1
	s_or_b32 exec_lo, exec_lo, s13
	global_load_b128 v[110:113], v[10:11], off offset:12800
	s_wait_xcnt 0x0
	s_and_saveexec_b32 s13, vcc_lo
	s_cbranch_execnz .LBB35_99
.LBB35_71:                              ;   in Loop: Header=BB35_40 Depth=1
	s_or_b32 exec_lo, exec_lo, s13
	global_load_b128 v[114:117], v[10:11], off offset:13312
	s_wait_xcnt 0x0
	s_and_saveexec_b32 s13, vcc_lo
	s_cbranch_execnz .LBB35_100
.LBB35_72:                              ;   in Loop: Header=BB35_40 Depth=1
	s_or_b32 exec_lo, exec_lo, s13
	global_load_b128 v[118:121], v[10:11], off offset:13824
	s_wait_xcnt 0x0
	s_and_saveexec_b32 s13, vcc_lo
	s_cbranch_execnz .LBB35_101
.LBB35_73:                              ;   in Loop: Header=BB35_40 Depth=1
	s_or_b32 exec_lo, exec_lo, s13
	global_load_b128 v[122:125], v[10:11], off offset:14336
	s_wait_xcnt 0x0
	s_and_saveexec_b32 s13, vcc_lo
	s_cbranch_execnz .LBB35_102
.LBB35_74:                              ;   in Loop: Header=BB35_40 Depth=1
	s_or_b32 exec_lo, exec_lo, s13
	global_load_b128 v[2:5], v[10:11], off offset:14848
	s_wait_xcnt 0x0
	s_and_saveexec_b32 s13, vcc_lo
	s_cbranch_execnz .LBB35_103
.LBB35_75:                              ;   in Loop: Header=BB35_40 Depth=1
	s_or_b32 exec_lo, exec_lo, s13
	global_load_b128 v[10:13], v[10:11], off offset:15360
	s_wait_xcnt 0x0
	s_and_saveexec_b32 s13, vcc_lo
	s_cbranch_execz .LBB35_77
.LBB35_76:                              ;   in Loop: Header=BB35_40 Depth=1
	v_cmp_gt_i32_e64 s0, s21, v16
	v_cmp_gt_i32_e64 s1, s12, v27
	s_wait_loadcnt 0x0
	s_delay_alu instid0(VALU_DEP_1) | instskip(SKIP_2) | instid1(VALU_DEP_1)
	v_dual_cndmask_b32 v10, 0, v10, s0 :: v_dual_cndmask_b32 v11, 0, v11, s1
	v_cmp_gt_i32_e64 s0, s21, v26
	v_cmp_gt_i32_e64 s1, s12, v17
	v_dual_cndmask_b32 v12, 0, v12, s0 :: v_dual_cndmask_b32 v13, 0, v13, s1
.LBB35_77:                              ;   in Loop: Header=BB35_40 Depth=1
	s_or_b32 exec_lo, exec_lo, s13
	scratch_load_b64 v[28:29], off, off offset:184 ; 8-byte Folded Reload
	s_wait_loadcnt 0x0
	v_add_nc_u64_e32 v[28:29], v[106:107], v[28:29]
	global_load_b128 v[106:109], v[28:29], off
	s_wait_xcnt 0x0
	s_and_saveexec_b32 s1, vcc_lo
	s_cbranch_execz .LBB35_39
; %bb.78:                               ;   in Loop: Header=BB35_40 Depth=1
	v_cmp_gt_i32_e32 vcc_lo, s21, v16
	v_cmp_gt_i32_e64 s0, s12, v27
	s_wait_loadcnt 0x0
	s_delay_alu instid0(VALU_DEP_1) | instskip(SKIP_2) | instid1(VALU_DEP_1)
	v_dual_cndmask_b32 v106, 0, v106, vcc_lo :: v_dual_cndmask_b32 v107, 0, v107, s0
	v_cmp_gt_i32_e32 vcc_lo, s21, v26
	v_cmp_gt_i32_e64 s0, s12, v17
	v_dual_cndmask_b32 v108, 0, v108, vcc_lo :: v_dual_cndmask_b32 v109, 0, v109, s0
	s_branch .LBB35_39
.LBB35_79:                              ;   in Loop: Header=BB35_40 Depth=1
	scratch_load_b128 v[2:5], off, off offset:80 th:TH_LOAD_LU ; 16-byte Folded Reload
	v_cmp_gt_i32_e64 s0, s12, v27
	s_wait_loadcnt 0x0
	s_delay_alu instid0(VALU_DEP_1) | instskip(SKIP_1) | instid1(VALU_DEP_1)
	v_cndmask_b32_e64 v3, 0, v3, s0
	v_cmp_gt_i32_e64 s0, s21, v16
	v_cndmask_b32_e64 v2, 0, v2, s0
	v_cmp_gt_i32_e64 s0, s12, v17
	s_delay_alu instid0(VALU_DEP_1) | instskip(SKIP_1) | instid1(VALU_DEP_1)
	v_cndmask_b32_e64 v5, 0, v5, s0
	v_cmp_gt_i32_e64 s0, s21, v26
	v_cndmask_b32_e64 v4, 0, v4, s0
	scratch_store_b128 off, v[2:5], off offset:80 ; 16-byte Folded Spill
	s_wait_xcnt 0x0
	s_or_b32 exec_lo, exec_lo, s1
	global_load_b128 v[30:33], v[10:11], off offset:3072
	s_wait_xcnt 0x0
	s_and_saveexec_b32 s1, vcc_lo
	s_cbranch_execz .LBB35_52
.LBB35_80:                              ;   in Loop: Header=BB35_40 Depth=1
	v_cmp_gt_i32_e64 s0, s12, v27
	s_wait_loadcnt 0x0
	s_delay_alu instid0(VALU_DEP_1) | instskip(SKIP_1) | instid1(VALU_DEP_1)
	v_cndmask_b32_e64 v31, 0, v31, s0
	v_cmp_gt_i32_e64 s0, s21, v16
	v_cndmask_b32_e64 v30, 0, v30, s0
	v_cmp_gt_i32_e64 s0, s12, v17
	s_delay_alu instid0(VALU_DEP_1) | instskip(SKIP_1) | instid1(VALU_DEP_1)
	v_cndmask_b32_e64 v33, 0, v33, s0
	v_cmp_gt_i32_e64 s0, s21, v26
	v_cndmask_b32_e64 v32, 0, v32, s0
	s_or_b32 exec_lo, exec_lo, s1
	global_load_b128 v[34:37], v[10:11], off offset:3584
	s_wait_xcnt 0x0
	s_and_saveexec_b32 s1, vcc_lo
	s_cbranch_execz .LBB35_53
.LBB35_81:                              ;   in Loop: Header=BB35_40 Depth=1
	v_cmp_gt_i32_e64 s0, s12, v27
	s_wait_loadcnt 0x0
	s_delay_alu instid0(VALU_DEP_1) | instskip(SKIP_1) | instid1(VALU_DEP_1)
	v_cndmask_b32_e64 v35, 0, v35, s0
	v_cmp_gt_i32_e64 s0, s21, v16
	v_cndmask_b32_e64 v34, 0, v34, s0
	v_cmp_gt_i32_e64 s0, s12, v17
	s_delay_alu instid0(VALU_DEP_1) | instskip(SKIP_1) | instid1(VALU_DEP_1)
	v_cndmask_b32_e64 v37, 0, v37, s0
	v_cmp_gt_i32_e64 s0, s21, v26
	v_cndmask_b32_e64 v36, 0, v36, s0
	s_or_b32 exec_lo, exec_lo, s1
	global_load_b128 v[38:41], v[10:11], off offset:4096
	s_wait_xcnt 0x0
	s_and_saveexec_b32 s1, vcc_lo
	s_cbranch_execz .LBB35_54
.LBB35_82:                              ;   in Loop: Header=BB35_40 Depth=1
	v_cmp_gt_i32_e64 s0, s12, v27
	s_wait_loadcnt 0x0
	s_delay_alu instid0(VALU_DEP_1) | instskip(SKIP_1) | instid1(VALU_DEP_1)
	v_cndmask_b32_e64 v39, 0, v39, s0
	v_cmp_gt_i32_e64 s0, s21, v16
	v_cndmask_b32_e64 v38, 0, v38, s0
	v_cmp_gt_i32_e64 s0, s12, v17
	s_delay_alu instid0(VALU_DEP_1) | instskip(SKIP_1) | instid1(VALU_DEP_1)
	v_cndmask_b32_e64 v41, 0, v41, s0
	v_cmp_gt_i32_e64 s0, s21, v26
	v_cndmask_b32_e64 v40, 0, v40, s0
	s_or_b32 exec_lo, exec_lo, s1
	global_load_b128 v[42:45], v[10:11], off offset:4608
	s_wait_xcnt 0x0
	s_and_saveexec_b32 s1, vcc_lo
	s_cbranch_execz .LBB35_55
.LBB35_83:                              ;   in Loop: Header=BB35_40 Depth=1
	v_cmp_gt_i32_e64 s0, s12, v27
	s_wait_loadcnt 0x0
	s_delay_alu instid0(VALU_DEP_1) | instskip(SKIP_1) | instid1(VALU_DEP_1)
	v_cndmask_b32_e64 v43, 0, v43, s0
	v_cmp_gt_i32_e64 s0, s21, v16
	v_cndmask_b32_e64 v42, 0, v42, s0
	v_cmp_gt_i32_e64 s0, s12, v17
	s_delay_alu instid0(VALU_DEP_1) | instskip(SKIP_1) | instid1(VALU_DEP_1)
	v_cndmask_b32_e64 v45, 0, v45, s0
	v_cmp_gt_i32_e64 s0, s21, v26
	v_cndmask_b32_e64 v44, 0, v44, s0
	s_or_b32 exec_lo, exec_lo, s1
	global_load_b128 v[46:49], v[10:11], off offset:5120
	s_wait_xcnt 0x0
	s_and_saveexec_b32 s1, vcc_lo
	s_cbranch_execz .LBB35_56
.LBB35_84:                              ;   in Loop: Header=BB35_40 Depth=1
	v_cmp_gt_i32_e64 s0, s12, v27
	s_wait_loadcnt 0x0
	s_delay_alu instid0(VALU_DEP_1) | instskip(SKIP_1) | instid1(VALU_DEP_1)
	v_cndmask_b32_e64 v47, 0, v47, s0
	v_cmp_gt_i32_e64 s0, s21, v16
	v_cndmask_b32_e64 v46, 0, v46, s0
	v_cmp_gt_i32_e64 s0, s12, v17
	s_delay_alu instid0(VALU_DEP_1) | instskip(SKIP_1) | instid1(VALU_DEP_1)
	v_cndmask_b32_e64 v49, 0, v49, s0
	v_cmp_gt_i32_e64 s0, s21, v26
	v_cndmask_b32_e64 v48, 0, v48, s0
	s_or_b32 exec_lo, exec_lo, s1
	global_load_b128 v[50:53], v[10:11], off offset:5632
	s_wait_xcnt 0x0
	s_and_saveexec_b32 s1, vcc_lo
	s_cbranch_execz .LBB35_57
.LBB35_85:                              ;   in Loop: Header=BB35_40 Depth=1
	v_cmp_gt_i32_e64 s0, s12, v27
	s_wait_loadcnt 0x0
	s_delay_alu instid0(VALU_DEP_1) | instskip(SKIP_1) | instid1(VALU_DEP_1)
	v_cndmask_b32_e64 v51, 0, v51, s0
	v_cmp_gt_i32_e64 s0, s21, v16
	v_cndmask_b32_e64 v50, 0, v50, s0
	v_cmp_gt_i32_e64 s0, s12, v17
	s_delay_alu instid0(VALU_DEP_1) | instskip(SKIP_1) | instid1(VALU_DEP_1)
	v_cndmask_b32_e64 v53, 0, v53, s0
	v_cmp_gt_i32_e64 s0, s21, v26
	v_cndmask_b32_e64 v52, 0, v52, s0
	s_or_b32 exec_lo, exec_lo, s1
	global_load_b128 v[54:57], v[10:11], off offset:6144
	s_wait_xcnt 0x0
	s_and_saveexec_b32 s1, vcc_lo
	s_cbranch_execz .LBB35_58
.LBB35_86:                              ;   in Loop: Header=BB35_40 Depth=1
	v_cmp_gt_i32_e64 s0, s12, v27
	s_wait_loadcnt 0x0
	s_delay_alu instid0(VALU_DEP_1) | instskip(SKIP_1) | instid1(VALU_DEP_1)
	v_cndmask_b32_e64 v55, 0, v55, s0
	v_cmp_gt_i32_e64 s0, s21, v16
	v_cndmask_b32_e64 v54, 0, v54, s0
	v_cmp_gt_i32_e64 s0, s12, v17
	s_delay_alu instid0(VALU_DEP_1) | instskip(SKIP_1) | instid1(VALU_DEP_1)
	v_cndmask_b32_e64 v57, 0, v57, s0
	v_cmp_gt_i32_e64 s0, s21, v26
	v_cndmask_b32_e64 v56, 0, v56, s0
	s_or_b32 exec_lo, exec_lo, s1
	global_load_b128 v[58:61], v[10:11], off offset:6656
	s_wait_xcnt 0x0
	s_and_saveexec_b32 s1, vcc_lo
	s_cbranch_execz .LBB35_59
.LBB35_87:                              ;   in Loop: Header=BB35_40 Depth=1
	v_cmp_gt_i32_e64 s0, s12, v27
	s_wait_loadcnt 0x0
	s_delay_alu instid0(VALU_DEP_1) | instskip(SKIP_1) | instid1(VALU_DEP_1)
	v_cndmask_b32_e64 v59, 0, v59, s0
	v_cmp_gt_i32_e64 s0, s21, v16
	v_cndmask_b32_e64 v58, 0, v58, s0
	v_cmp_gt_i32_e64 s0, s12, v17
	s_delay_alu instid0(VALU_DEP_1) | instskip(SKIP_1) | instid1(VALU_DEP_1)
	v_cndmask_b32_e64 v61, 0, v61, s0
	v_cmp_gt_i32_e64 s0, s21, v26
	v_cndmask_b32_e64 v60, 0, v60, s0
	s_or_b32 exec_lo, exec_lo, s1
	global_load_b128 v[62:65], v[10:11], off offset:7168
	s_wait_xcnt 0x0
	s_and_saveexec_b32 s1, vcc_lo
	s_cbranch_execz .LBB35_60
.LBB35_88:                              ;   in Loop: Header=BB35_40 Depth=1
	v_cmp_gt_i32_e64 s0, s12, v27
	s_wait_loadcnt 0x0
	s_delay_alu instid0(VALU_DEP_1) | instskip(SKIP_1) | instid1(VALU_DEP_1)
	v_cndmask_b32_e64 v63, 0, v63, s0
	v_cmp_gt_i32_e64 s0, s21, v16
	v_cndmask_b32_e64 v62, 0, v62, s0
	v_cmp_gt_i32_e64 s0, s12, v17
	s_delay_alu instid0(VALU_DEP_1) | instskip(SKIP_1) | instid1(VALU_DEP_1)
	v_cndmask_b32_e64 v65, 0, v65, s0
	v_cmp_gt_i32_e64 s0, s21, v26
	v_cndmask_b32_e64 v64, 0, v64, s0
	s_or_b32 exec_lo, exec_lo, s1
	global_load_b128 v[66:69], v[10:11], off offset:7680
	s_wait_xcnt 0x0
	s_and_saveexec_b32 s1, vcc_lo
	s_cbranch_execz .LBB35_61
.LBB35_89:                              ;   in Loop: Header=BB35_40 Depth=1
	v_cmp_gt_i32_e64 s0, s12, v27
	s_wait_loadcnt 0x0
	s_delay_alu instid0(VALU_DEP_1) | instskip(SKIP_1) | instid1(VALU_DEP_1)
	v_cndmask_b32_e64 v67, 0, v67, s0
	v_cmp_gt_i32_e64 s0, s21, v16
	v_cndmask_b32_e64 v66, 0, v66, s0
	v_cmp_gt_i32_e64 s0, s12, v17
	s_delay_alu instid0(VALU_DEP_1) | instskip(SKIP_1) | instid1(VALU_DEP_1)
	v_cndmask_b32_e64 v69, 0, v69, s0
	v_cmp_gt_i32_e64 s0, s21, v26
	v_cndmask_b32_e64 v68, 0, v68, s0
	s_or_b32 exec_lo, exec_lo, s1
	global_load_b128 v[70:73], v[10:11], off offset:8192
	s_wait_xcnt 0x0
	s_and_saveexec_b32 s1, vcc_lo
	s_cbranch_execz .LBB35_62
.LBB35_90:                              ;   in Loop: Header=BB35_40 Depth=1
	v_cmp_gt_i32_e64 s0, s12, v27
	s_wait_loadcnt 0x0
	s_delay_alu instid0(VALU_DEP_1) | instskip(SKIP_1) | instid1(VALU_DEP_1)
	v_cndmask_b32_e64 v71, 0, v71, s0
	v_cmp_gt_i32_e64 s0, s21, v16
	v_cndmask_b32_e64 v70, 0, v70, s0
	v_cmp_gt_i32_e64 s0, s12, v17
	s_delay_alu instid0(VALU_DEP_1) | instskip(SKIP_1) | instid1(VALU_DEP_1)
	v_cndmask_b32_e64 v73, 0, v73, s0
	v_cmp_gt_i32_e64 s0, s21, v26
	v_cndmask_b32_e64 v72, 0, v72, s0
	s_or_b32 exec_lo, exec_lo, s1
	global_load_b128 v[74:77], v[10:11], off offset:8704
	s_wait_xcnt 0x0
	s_and_saveexec_b32 s13, vcc_lo
	s_cbranch_execz .LBB35_63
.LBB35_91:                              ;   in Loop: Header=BB35_40 Depth=1
	v_cmp_gt_i32_e64 s0, s21, v16
	v_cmp_gt_i32_e64 s1, s12, v27
	s_wait_loadcnt 0x0
	s_delay_alu instid0(VALU_DEP_1) | instskip(SKIP_2) | instid1(VALU_DEP_1)
	v_dual_cndmask_b32 v74, 0, v74, s0 :: v_dual_cndmask_b32 v75, 0, v75, s1
	v_cmp_gt_i32_e64 s0, s21, v26
	v_cmp_gt_i32_e64 s1, s12, v17
	v_dual_cndmask_b32 v76, 0, v76, s0 :: v_dual_cndmask_b32 v77, 0, v77, s1
	s_or_b32 exec_lo, exec_lo, s13
	global_load_b128 v[78:81], v[10:11], off offset:9216
	s_wait_xcnt 0x0
	s_and_saveexec_b32 s13, vcc_lo
	s_cbranch_execz .LBB35_64
.LBB35_92:                              ;   in Loop: Header=BB35_40 Depth=1
	v_cmp_gt_i32_e64 s0, s21, v16
	v_cmp_gt_i32_e64 s1, s12, v27
	s_wait_loadcnt 0x0
	s_delay_alu instid0(VALU_DEP_1) | instskip(SKIP_2) | instid1(VALU_DEP_1)
	v_dual_cndmask_b32 v78, 0, v78, s0 :: v_dual_cndmask_b32 v79, 0, v79, s1
	v_cmp_gt_i32_e64 s0, s21, v26
	v_cmp_gt_i32_e64 s1, s12, v17
	v_dual_cndmask_b32 v80, 0, v80, s0 :: v_dual_cndmask_b32 v81, 0, v81, s1
	s_or_b32 exec_lo, exec_lo, s13
	global_load_b128 v[82:85], v[10:11], off offset:9728
	s_wait_xcnt 0x0
	s_and_saveexec_b32 s13, vcc_lo
	s_cbranch_execz .LBB35_65
.LBB35_93:                              ;   in Loop: Header=BB35_40 Depth=1
	v_cmp_gt_i32_e64 s0, s21, v16
	v_cmp_gt_i32_e64 s1, s12, v27
	s_wait_loadcnt 0x0
	s_delay_alu instid0(VALU_DEP_1) | instskip(SKIP_2) | instid1(VALU_DEP_1)
	v_dual_cndmask_b32 v82, 0, v82, s0 :: v_dual_cndmask_b32 v83, 0, v83, s1
	v_cmp_gt_i32_e64 s0, s21, v26
	v_cmp_gt_i32_e64 s1, s12, v17
	v_dual_cndmask_b32 v84, 0, v84, s0 :: v_dual_cndmask_b32 v85, 0, v85, s1
	s_or_b32 exec_lo, exec_lo, s13
	global_load_b128 v[86:89], v[10:11], off offset:10240
	s_wait_xcnt 0x0
	s_and_saveexec_b32 s13, vcc_lo
	s_cbranch_execz .LBB35_66
.LBB35_94:                              ;   in Loop: Header=BB35_40 Depth=1
	v_cmp_gt_i32_e64 s0, s21, v16
	v_cmp_gt_i32_e64 s1, s12, v27
	s_wait_loadcnt 0x0
	s_delay_alu instid0(VALU_DEP_1) | instskip(SKIP_2) | instid1(VALU_DEP_1)
	v_dual_cndmask_b32 v86, 0, v86, s0 :: v_dual_cndmask_b32 v87, 0, v87, s1
	v_cmp_gt_i32_e64 s0, s21, v26
	v_cmp_gt_i32_e64 s1, s12, v17
	v_dual_cndmask_b32 v88, 0, v88, s0 :: v_dual_cndmask_b32 v89, 0, v89, s1
	s_or_b32 exec_lo, exec_lo, s13
	global_load_b128 v[90:93], v[10:11], off offset:10752
	s_wait_xcnt 0x0
	s_and_saveexec_b32 s13, vcc_lo
	s_cbranch_execz .LBB35_67
.LBB35_95:                              ;   in Loop: Header=BB35_40 Depth=1
	v_cmp_gt_i32_e64 s0, s21, v16
	v_cmp_gt_i32_e64 s1, s12, v27
	s_wait_loadcnt 0x0
	s_delay_alu instid0(VALU_DEP_1) | instskip(SKIP_2) | instid1(VALU_DEP_1)
	v_dual_cndmask_b32 v90, 0, v90, s0 :: v_dual_cndmask_b32 v91, 0, v91, s1
	v_cmp_gt_i32_e64 s0, s21, v26
	v_cmp_gt_i32_e64 s1, s12, v17
	v_dual_cndmask_b32 v92, 0, v92, s0 :: v_dual_cndmask_b32 v93, 0, v93, s1
	s_or_b32 exec_lo, exec_lo, s13
	global_load_b128 v[94:97], v[10:11], off offset:11264
	s_wait_xcnt 0x0
	s_and_saveexec_b32 s13, vcc_lo
	s_cbranch_execz .LBB35_68
.LBB35_96:                              ;   in Loop: Header=BB35_40 Depth=1
	v_cmp_gt_i32_e64 s0, s21, v16
	v_cmp_gt_i32_e64 s1, s12, v27
	s_wait_loadcnt 0x0
	s_delay_alu instid0(VALU_DEP_1) | instskip(SKIP_2) | instid1(VALU_DEP_1)
	v_dual_cndmask_b32 v94, 0, v94, s0 :: v_dual_cndmask_b32 v95, 0, v95, s1
	v_cmp_gt_i32_e64 s0, s21, v26
	v_cmp_gt_i32_e64 s1, s12, v17
	v_dual_cndmask_b32 v96, 0, v96, s0 :: v_dual_cndmask_b32 v97, 0, v97, s1
	s_or_b32 exec_lo, exec_lo, s13
	global_load_b128 v[98:101], v[10:11], off offset:11776
	s_wait_xcnt 0x0
	s_and_saveexec_b32 s13, vcc_lo
	s_cbranch_execz .LBB35_69
.LBB35_97:                              ;   in Loop: Header=BB35_40 Depth=1
	v_cmp_gt_i32_e64 s0, s21, v16
	v_cmp_gt_i32_e64 s1, s12, v27
	s_wait_loadcnt 0x0
	s_delay_alu instid0(VALU_DEP_1) | instskip(SKIP_2) | instid1(VALU_DEP_1)
	v_dual_cndmask_b32 v98, 0, v98, s0 :: v_dual_cndmask_b32 v99, 0, v99, s1
	v_cmp_gt_i32_e64 s0, s21, v26
	v_cmp_gt_i32_e64 s1, s12, v17
	v_dual_cndmask_b32 v100, 0, v100, s0 :: v_dual_cndmask_b32 v101, 0, v101, s1
	s_or_b32 exec_lo, exec_lo, s13
	global_load_b128 v[102:105], v[10:11], off offset:12288
	s_wait_xcnt 0x0
	s_and_saveexec_b32 s13, vcc_lo
	s_cbranch_execz .LBB35_70
.LBB35_98:                              ;   in Loop: Header=BB35_40 Depth=1
	v_cmp_gt_i32_e64 s0, s21, v16
	v_cmp_gt_i32_e64 s1, s12, v27
	s_wait_loadcnt 0x0
	s_delay_alu instid0(VALU_DEP_1) | instskip(SKIP_2) | instid1(VALU_DEP_1)
	v_dual_cndmask_b32 v102, 0, v102, s0 :: v_dual_cndmask_b32 v103, 0, v103, s1
	v_cmp_gt_i32_e64 s0, s21, v26
	v_cmp_gt_i32_e64 s1, s12, v17
	v_dual_cndmask_b32 v104, 0, v104, s0 :: v_dual_cndmask_b32 v105, 0, v105, s1
	s_or_b32 exec_lo, exec_lo, s13
	global_load_b128 v[110:113], v[10:11], off offset:12800
	s_wait_xcnt 0x0
	s_and_saveexec_b32 s13, vcc_lo
	s_cbranch_execz .LBB35_71
.LBB35_99:                              ;   in Loop: Header=BB35_40 Depth=1
	v_cmp_gt_i32_e64 s0, s21, v16
	v_cmp_gt_i32_e64 s1, s12, v27
	s_wait_loadcnt 0x0
	s_delay_alu instid0(VALU_DEP_1) | instskip(SKIP_2) | instid1(VALU_DEP_1)
	v_dual_cndmask_b32 v110, 0, v110, s0 :: v_dual_cndmask_b32 v111, 0, v111, s1
	v_cmp_gt_i32_e64 s0, s21, v26
	v_cmp_gt_i32_e64 s1, s12, v17
	v_dual_cndmask_b32 v112, 0, v112, s0 :: v_dual_cndmask_b32 v113, 0, v113, s1
	s_or_b32 exec_lo, exec_lo, s13
	global_load_b128 v[114:117], v[10:11], off offset:13312
	s_wait_xcnt 0x0
	s_and_saveexec_b32 s13, vcc_lo
	s_cbranch_execz .LBB35_72
.LBB35_100:                             ;   in Loop: Header=BB35_40 Depth=1
	v_cmp_gt_i32_e64 s0, s21, v16
	v_cmp_gt_i32_e64 s1, s12, v27
	s_wait_loadcnt 0x0
	s_delay_alu instid0(VALU_DEP_1) | instskip(SKIP_2) | instid1(VALU_DEP_1)
	v_dual_cndmask_b32 v114, 0, v114, s0 :: v_dual_cndmask_b32 v115, 0, v115, s1
	v_cmp_gt_i32_e64 s0, s21, v26
	v_cmp_gt_i32_e64 s1, s12, v17
	v_dual_cndmask_b32 v116, 0, v116, s0 :: v_dual_cndmask_b32 v117, 0, v117, s1
	s_or_b32 exec_lo, exec_lo, s13
	global_load_b128 v[118:121], v[10:11], off offset:13824
	s_wait_xcnt 0x0
	s_and_saveexec_b32 s13, vcc_lo
	s_cbranch_execz .LBB35_73
.LBB35_101:                             ;   in Loop: Header=BB35_40 Depth=1
	v_cmp_gt_i32_e64 s0, s21, v16
	v_cmp_gt_i32_e64 s1, s12, v27
	s_wait_loadcnt 0x0
	s_delay_alu instid0(VALU_DEP_1) | instskip(SKIP_2) | instid1(VALU_DEP_1)
	v_dual_cndmask_b32 v118, 0, v118, s0 :: v_dual_cndmask_b32 v119, 0, v119, s1
	v_cmp_gt_i32_e64 s0, s21, v26
	v_cmp_gt_i32_e64 s1, s12, v17
	v_dual_cndmask_b32 v120, 0, v120, s0 :: v_dual_cndmask_b32 v121, 0, v121, s1
	s_or_b32 exec_lo, exec_lo, s13
	global_load_b128 v[122:125], v[10:11], off offset:14336
	s_wait_xcnt 0x0
	s_and_saveexec_b32 s13, vcc_lo
	s_cbranch_execz .LBB35_74
.LBB35_102:                             ;   in Loop: Header=BB35_40 Depth=1
	v_cmp_gt_i32_e64 s0, s21, v16
	v_cmp_gt_i32_e64 s1, s12, v27
	s_wait_loadcnt 0x0
	s_delay_alu instid0(VALU_DEP_1) | instskip(SKIP_2) | instid1(VALU_DEP_1)
	v_dual_cndmask_b32 v122, 0, v122, s0 :: v_dual_cndmask_b32 v123, 0, v123, s1
	v_cmp_gt_i32_e64 s0, s21, v26
	v_cmp_gt_i32_e64 s1, s12, v17
	v_dual_cndmask_b32 v124, 0, v124, s0 :: v_dual_cndmask_b32 v125, 0, v125, s1
	s_or_b32 exec_lo, exec_lo, s13
	global_load_b128 v[2:5], v[10:11], off offset:14848
	s_wait_xcnt 0x0
	s_and_saveexec_b32 s13, vcc_lo
	s_cbranch_execz .LBB35_75
.LBB35_103:                             ;   in Loop: Header=BB35_40 Depth=1
	v_cmp_gt_i32_e64 s0, s21, v16
	v_cmp_gt_i32_e64 s1, s12, v27
	s_wait_loadcnt 0x0
	s_delay_alu instid0(VALU_DEP_1) | instskip(SKIP_2) | instid1(VALU_DEP_1)
	v_dual_cndmask_b32 v2, 0, v2, s0 :: v_dual_cndmask_b32 v3, 0, v3, s1
	v_cmp_gt_i32_e64 s0, s21, v26
	v_cmp_gt_i32_e64 s1, s12, v17
	v_dual_cndmask_b32 v4, 0, v4, s0 :: v_dual_cndmask_b32 v5, 0, v5, s1
	s_or_b32 exec_lo, exec_lo, s13
	global_load_b128 v[10:13], v[10:11], off offset:15360
	s_wait_xcnt 0x0
	s_and_saveexec_b32 s13, vcc_lo
	s_cbranch_execnz .LBB35_76
	s_branch .LBB35_77
.LBB35_104:
	s_or_b32 exec_lo, exec_lo, s11
	s_clause 0x7
	scratch_load_b32 v16, off, off offset:220
	scratch_load_b64 v[66:67], off, off offset:104
	scratch_load_b64 v[64:65], off, off offset:112
	;; [unrolled: 1-line block ×7, first 2 shown]
.LBB35_105:
	s_wait_xcnt 0x0
	s_or_b32 exec_lo, exec_lo, s23
	s_wait_loadcnt 0x7
	v_mov_b32_e32 v50, v16
	scratch_load_b32 v72, off, off offset:204 th:TH_LOAD_LU ; 4-byte Folded Reload
	ds_bpermute_b32 v12, v16, v20
	ds_bpermute_b32 v13, v16, v21
	v_mov_b64_e32 v[32:33], v[26:27]
	s_wait_loadcnt 0x2
	ds_bpermute_b32 v28, v50, v48
	ds_bpermute_b32 v29, v50, v49
	;; [unrolled: 1-line block ×17, first 2 shown]
	s_mov_b32 s0, exec_lo
	s_wait_dscnt 0x11
	v_pk_add_f32 v[12:13], v[20:21], v[12:13]
	s_wait_loadcnt 0x1
	ds_bpermute_b32 v20, v50, v46
	ds_bpermute_b32 v21, v50, v47
	s_wait_dscnt 0x11
	v_pk_add_f32 v[48:49], v[48:49], v[28:29]
	scratch_load_b64 v[28:29], off, off offset:96 th:TH_LOAD_LU ; 8-byte Folded Reload
	s_wait_dscnt 0xf
	v_pk_add_f32 v[24:25], v[24:25], v[2:3]
	s_wait_dscnt 0xd
	v_pk_add_f32 v[2:3], v[126:127], v[10:11]
	;; [unrolled: 2-line block ×8, first 2 shown]
	s_wait_loadcnt 0x1
	ds_bpermute_b32 v8, v72, v24
	ds_bpermute_b32 v9, v72, v25
	;; [unrolled: 1-line block ×19, first 2 shown]
	s_wait_loadcnt 0x0
	ds_bpermute_b32 v20, v50, v28
	ds_bpermute_b32 v21, v50, v29
	s_wait_dscnt 0x0
	v_pk_add_f32 v[30:31], v[28:29], v[20:21]
	v_pk_add_f32 v[28:29], v[24:25], v[8:9]
	v_pk_add_f32 v[20:21], v[2:3], v[34:35]
	v_pk_add_f32 v[8:9], v[40:41], v[44:45]
	s_clause 0x1
	scratch_load_b32 v44, off, off offset:212
	scratch_load_b32 v34, off, off offset:208
	v_pk_add_f32 v[24:25], v[4:5], v[10:11]
	v_pk_add_f32 v[4:5], v[48:49], v[54:55]
	s_wait_loadcnt 0x0
	s_wait_storecnt 0x0
	s_barrier_signal -1
	s_barrier_wait -1
	v_and_b32_e32 v35, 0x3c3, v44
	v_and_b32_e32 v34, 28, v34
	ds_bpermute_b32 v17, v50, v19
	ds_bpermute_b32 v26, v50, v60
	;; [unrolled: 1-line block ×7, first 2 shown]
	s_wait_dscnt 0x6
	v_pk_add_f32 v[16:17], v[18:19], v[16:17]
	ds_bpermute_b32 v18, v50, v52
	ds_bpermute_b32 v19, v50, v53
	s_wait_dscnt 0x6
	v_pk_add_f32 v[60:61], v[60:61], v[26:27]
	s_wait_dscnt 0x4
	v_pk_add_f32 v[64:65], v[64:65], v[32:33]
	ds_bpermute_b32 v38, v72, v16
	s_wait_dscnt 0x3
	v_pk_add_f32 v[42:43], v[66:67], v[42:43]
	ds_bpermute_b32 v39, v72, v17
	ds_bpermute_b32 v50, v72, v46
	;; [unrolled: 1-line block ×10, first 2 shown]
	v_pk_add_f32 v[26:27], v[0:1], v[22:23]
	v_pk_add_f32 v[0:1], v[56:57], v[62:63]
	s_wait_dscnt 0xb
	v_pk_add_f32 v[52:53], v[52:53], v[18:19]
	v_pk_add_f32 v[18:19], v[6:7], v[14:15]
	;; [unrolled: 1-line block ×3, first 2 shown]
	ds_bpermute_b32 v58, v72, v52
	ds_bpermute_b32 v59, v72, v53
	s_wait_dscnt 0xb
	v_pk_add_f32 v[10:11], v[16:17], v[38:39]
	s_wait_dscnt 0xa
	v_pk_add_f32 v[6:7], v[46:47], v[50:51]
	;; [unrolled: 2-line block ×6, first 2 shown]
	s_wait_xcnt 0x0
	v_cmpx_ne_u32_e32 64, v35
	s_xor_b32 s0, exec_lo, s0
	s_delay_alu instid0(SALU_CYCLE_1)
	s_or_saveexec_b32 s0, s0
	v_pk_add_f32 v[30:31], v[30:31], v[32:33]
	scratch_load_b32 v32, off, off offset:208 th:TH_LOAD_LU ; 4-byte Folded Reload
	v_add_nc_u32_e32 v33, 0x420, v34
	scratch_load_b32 v34, off, off offset:200 th:TH_LOAD_LU ; 4-byte Folded Reload
	s_wait_loadcnt 0x0
	v_dual_lshrrev_b32 v32, 2, v32 :: v_dual_lshlrev_b32 v34, 10, v34
	s_xor_b32 exec_lo, exec_lo, s0
	s_cbranch_execz .LBB35_107
; %bb.106:
	s_delay_alu instid0(VALU_DEP_1) | instskip(NEXT) | instid1(VALU_DEP_1)
	v_add_nc_u32_e32 v35, v33, v34
	v_add_nc_u32_e32 v36, 0xfffff800, v35
	;; [unrolled: 1-line block ×9, first 2 shown]
	ds_store_b32 v36, v28
	ds_store_b32 v37, v29
	ds_store_b32 v38, v24
	ds_store_b32 v39, v25
	ds_store_b32 v40, v18
	ds_store_b32 v41, v19
	ds_store_b32 v42, v26
	ds_store_b32 v43, v27
	v_add_nc_u32_e32 v36, 0xfffff900, v35
	v_add_nc_u32_e32 v37, 0xfffff920, v35
	v_add_nc_u32_e32 v38, 0xfffff940, v35
	v_add_nc_u32_e32 v39, 0xfffff960, v35
	v_add_nc_u32_e32 v40, 0xfffff980, v35
	v_add_nc_u32_e32 v41, 0xfffff9a0, v35
	v_add_nc_u32_e32 v42, 0xfffff9c0, v35
	v_add_nc_u32_e32 v43, 0xfffff9e0, v35
	ds_store_b32 v36, v20
	ds_store_b32 v37, v21
	ds_store_b32 v38, v14
	ds_store_b32 v39, v15
	ds_store_b32 v40, v10
	ds_store_b32 v41, v11
	ds_store_b32 v42, v8
	ds_store_b32 v43, v9
	v_add_nc_u32_e32 v36, 0xfffffa00, v35
	v_add_nc_u32_e32 v37, 0xfffffa20, v35
	v_add_nc_u32_e32 v38, 0xfffffa40, v35
	v_add_nc_u32_e32 v39, 0xfffffa60, v35
	v_add_nc_u32_e32 v40, 0xfffffa80, v35
	v_add_nc_u32_e32 v41, 0xfffffaa0, v35
	v_add_nc_u32_e32 v42, 0xfffffac0, v35
	v_add_nc_u32_e32 v43, 0xfffffae0, v35
	;; [unrolled: 16-line block ×3, first 2 shown]
	ds_store_b32 v36, v22
	ds_store_b32 v37, v23
	;; [unrolled: 1-line block ×8, first 2 shown]
.LBB35_107:
	s_or_b32 exec_lo, exec_lo, s0
	scratch_load_b32 v35, off, off offset:216 th:TH_LOAD_LU ; 4-byte Folded Reload
	v_lshlrev_b32_e32 v32, 2, v32
	s_mov_b32 s1, exec_lo
	s_wait_loadcnt_dscnt 0x0
	s_barrier_signal -1
	s_barrier_wait -1
	v_add3_u32 v32, 0x420, v34, v32
	v_cmp_eq_u32_e32 vcc_lo, 0, v35
	v_cmpx_gt_u32_e32 64, v44
	s_cbranch_execz .LBB35_142
; %bb.108:
	s_and_saveexec_b32 s0, vcc_lo
	s_cbranch_execnz .LBB35_182
; %bb.109:
	s_or_b32 exec_lo, exec_lo, s0
	s_and_saveexec_b32 s0, vcc_lo
	s_cbranch_execnz .LBB35_183
.LBB35_110:
	s_or_b32 exec_lo, exec_lo, s0
	s_and_saveexec_b32 s0, vcc_lo
	s_cbranch_execnz .LBB35_184
.LBB35_111:
	s_or_b32 exec_lo, exec_lo, s0
	s_and_saveexec_b32 s0, vcc_lo
	s_cbranch_execnz .LBB35_185
.LBB35_112:
	s_or_b32 exec_lo, exec_lo, s0
	s_and_saveexec_b32 s0, vcc_lo
	s_cbranch_execnz .LBB35_186
.LBB35_113:
	s_or_b32 exec_lo, exec_lo, s0
	s_and_saveexec_b32 s0, vcc_lo
	s_cbranch_execnz .LBB35_187
.LBB35_114:
	s_or_b32 exec_lo, exec_lo, s0
	s_and_saveexec_b32 s0, vcc_lo
	s_cbranch_execnz .LBB35_188
.LBB35_115:
	s_or_b32 exec_lo, exec_lo, s0
	s_and_saveexec_b32 s0, vcc_lo
	s_cbranch_execnz .LBB35_189
.LBB35_116:
	s_or_b32 exec_lo, exec_lo, s0
	s_and_saveexec_b32 s0, vcc_lo
	s_cbranch_execnz .LBB35_190
.LBB35_117:
	s_or_b32 exec_lo, exec_lo, s0
	s_and_saveexec_b32 s0, vcc_lo
	s_cbranch_execnz .LBB35_191
.LBB35_118:
	s_or_b32 exec_lo, exec_lo, s0
	s_and_saveexec_b32 s0, vcc_lo
	s_cbranch_execnz .LBB35_192
.LBB35_119:
	s_or_b32 exec_lo, exec_lo, s0
	s_and_saveexec_b32 s0, vcc_lo
	s_cbranch_execnz .LBB35_193
.LBB35_120:
	s_or_b32 exec_lo, exec_lo, s0
	s_and_saveexec_b32 s0, vcc_lo
	s_cbranch_execnz .LBB35_194
.LBB35_121:
	s_or_b32 exec_lo, exec_lo, s0
	s_and_saveexec_b32 s0, vcc_lo
	s_cbranch_execnz .LBB35_195
.LBB35_122:
	s_or_b32 exec_lo, exec_lo, s0
	s_and_saveexec_b32 s0, vcc_lo
	s_cbranch_execnz .LBB35_196
.LBB35_123:
	s_or_b32 exec_lo, exec_lo, s0
	s_and_saveexec_b32 s0, vcc_lo
	s_cbranch_execnz .LBB35_197
.LBB35_124:
	s_or_b32 exec_lo, exec_lo, s0
	s_and_saveexec_b32 s0, vcc_lo
	s_cbranch_execnz .LBB35_198
.LBB35_125:
	s_or_b32 exec_lo, exec_lo, s0
	s_and_saveexec_b32 s0, vcc_lo
	s_cbranch_execnz .LBB35_199
.LBB35_126:
	s_or_b32 exec_lo, exec_lo, s0
	s_and_saveexec_b32 s0, vcc_lo
	s_cbranch_execnz .LBB35_200
.LBB35_127:
	s_or_b32 exec_lo, exec_lo, s0
	s_and_saveexec_b32 s0, vcc_lo
	s_cbranch_execnz .LBB35_201
.LBB35_128:
	s_or_b32 exec_lo, exec_lo, s0
	s_and_saveexec_b32 s0, vcc_lo
	s_cbranch_execnz .LBB35_202
.LBB35_129:
	s_or_b32 exec_lo, exec_lo, s0
	s_and_saveexec_b32 s0, vcc_lo
	s_cbranch_execnz .LBB35_203
.LBB35_130:
	s_or_b32 exec_lo, exec_lo, s0
	s_and_saveexec_b32 s0, vcc_lo
	s_cbranch_execnz .LBB35_204
.LBB35_131:
	s_or_b32 exec_lo, exec_lo, s0
	s_and_saveexec_b32 s0, vcc_lo
	s_cbranch_execnz .LBB35_205
.LBB35_132:
	s_or_b32 exec_lo, exec_lo, s0
	s_and_saveexec_b32 s0, vcc_lo
	s_cbranch_execnz .LBB35_206
.LBB35_133:
	s_or_b32 exec_lo, exec_lo, s0
	s_and_saveexec_b32 s0, vcc_lo
	s_cbranch_execnz .LBB35_207
.LBB35_134:
	s_or_b32 exec_lo, exec_lo, s0
	s_and_saveexec_b32 s0, vcc_lo
	s_cbranch_execnz .LBB35_208
.LBB35_135:
	s_or_b32 exec_lo, exec_lo, s0
	s_and_saveexec_b32 s0, vcc_lo
	s_cbranch_execnz .LBB35_209
.LBB35_136:
	s_or_b32 exec_lo, exec_lo, s0
	s_and_saveexec_b32 s0, vcc_lo
	s_cbranch_execnz .LBB35_210
.LBB35_137:
	s_or_b32 exec_lo, exec_lo, s0
	s_and_saveexec_b32 s0, vcc_lo
	s_cbranch_execnz .LBB35_211
.LBB35_138:
	s_or_b32 exec_lo, exec_lo, s0
	s_and_saveexec_b32 s0, vcc_lo
	s_cbranch_execnz .LBB35_212
.LBB35_139:
	s_or_b32 exec_lo, exec_lo, s0
	s_and_saveexec_b32 s0, vcc_lo
	s_cbranch_execz .LBB35_141
.LBB35_140:
	ds_load_b32 v34, v32 offset:992
	s_wait_dscnt 0x0
	v_add_f32_e32 v31, v31, v34
.LBB35_141:
	s_or_b32 exec_lo, exec_lo, s0
.LBB35_142:
	s_delay_alu instid0(SALU_CYCLE_1) | instskip(SKIP_4) | instid1(VALU_DEP_1)
	s_or_b32 exec_lo, exec_lo, s1
	v_and_b32_e32 v34, 0x3e3, v44
	s_mov_b32 s1, exec_lo
	s_barrier_signal -1
	s_barrier_wait -1
	v_cmpx_eq_u32_e32 32, v34
	s_cbranch_execz .LBB35_144
; %bb.143:
	ds_store_2addr_b32 v33, v28, v29 offset1:8
	ds_store_2addr_b32 v33, v24, v25 offset0:16 offset1:24
	ds_store_2addr_b32 v33, v18, v19 offset0:32 offset1:40
	;; [unrolled: 1-line block ×15, first 2 shown]
.LBB35_144:
	s_or_b32 exec_lo, exec_lo, s1
	s_delay_alu instid0(SALU_CYCLE_1)
	s_mov_b32 s1, exec_lo
	s_wait_dscnt 0x0
	s_barrier_signal -1
	s_barrier_wait -1
	v_cmpx_gt_u32_e32 32, v44
	s_cbranch_execz .LBB35_179
; %bb.145:
	s_and_saveexec_b32 s0, vcc_lo
	s_cbranch_execnz .LBB35_213
; %bb.146:
	s_or_b32 exec_lo, exec_lo, s0
	s_and_saveexec_b32 s0, vcc_lo
	s_cbranch_execnz .LBB35_214
.LBB35_147:
	s_or_b32 exec_lo, exec_lo, s0
	s_and_saveexec_b32 s0, vcc_lo
	s_cbranch_execnz .LBB35_215
.LBB35_148:
	s_or_b32 exec_lo, exec_lo, s0
	s_and_saveexec_b32 s0, vcc_lo
	s_cbranch_execnz .LBB35_216
.LBB35_149:
	s_or_b32 exec_lo, exec_lo, s0
	s_and_saveexec_b32 s0, vcc_lo
	s_cbranch_execnz .LBB35_217
.LBB35_150:
	s_or_b32 exec_lo, exec_lo, s0
	s_and_saveexec_b32 s0, vcc_lo
	s_cbranch_execnz .LBB35_218
.LBB35_151:
	s_or_b32 exec_lo, exec_lo, s0
	s_and_saveexec_b32 s0, vcc_lo
	s_cbranch_execnz .LBB35_219
.LBB35_152:
	s_or_b32 exec_lo, exec_lo, s0
	s_and_saveexec_b32 s0, vcc_lo
	s_cbranch_execnz .LBB35_220
.LBB35_153:
	s_or_b32 exec_lo, exec_lo, s0
	s_and_saveexec_b32 s0, vcc_lo
	s_cbranch_execnz .LBB35_221
.LBB35_154:
	s_or_b32 exec_lo, exec_lo, s0
	s_and_saveexec_b32 s0, vcc_lo
	s_cbranch_execnz .LBB35_222
.LBB35_155:
	s_or_b32 exec_lo, exec_lo, s0
	s_and_saveexec_b32 s0, vcc_lo
	s_cbranch_execnz .LBB35_223
.LBB35_156:
	s_or_b32 exec_lo, exec_lo, s0
	s_and_saveexec_b32 s0, vcc_lo
	s_cbranch_execnz .LBB35_224
.LBB35_157:
	s_or_b32 exec_lo, exec_lo, s0
	s_and_saveexec_b32 s0, vcc_lo
	s_cbranch_execnz .LBB35_225
.LBB35_158:
	s_or_b32 exec_lo, exec_lo, s0
	s_and_saveexec_b32 s0, vcc_lo
	s_cbranch_execnz .LBB35_226
.LBB35_159:
	s_or_b32 exec_lo, exec_lo, s0
	s_and_saveexec_b32 s0, vcc_lo
	s_cbranch_execnz .LBB35_227
.LBB35_160:
	s_or_b32 exec_lo, exec_lo, s0
	s_and_saveexec_b32 s0, vcc_lo
	s_cbranch_execnz .LBB35_228
.LBB35_161:
	s_or_b32 exec_lo, exec_lo, s0
	s_and_saveexec_b32 s0, vcc_lo
	s_cbranch_execnz .LBB35_229
.LBB35_162:
	s_or_b32 exec_lo, exec_lo, s0
	s_and_saveexec_b32 s0, vcc_lo
	s_cbranch_execnz .LBB35_230
.LBB35_163:
	s_or_b32 exec_lo, exec_lo, s0
	s_and_saveexec_b32 s0, vcc_lo
	s_cbranch_execnz .LBB35_231
.LBB35_164:
	s_or_b32 exec_lo, exec_lo, s0
	s_and_saveexec_b32 s0, vcc_lo
	s_cbranch_execnz .LBB35_232
.LBB35_165:
	s_or_b32 exec_lo, exec_lo, s0
	s_and_saveexec_b32 s0, vcc_lo
	s_cbranch_execnz .LBB35_233
.LBB35_166:
	s_or_b32 exec_lo, exec_lo, s0
	s_and_saveexec_b32 s0, vcc_lo
	s_cbranch_execnz .LBB35_234
.LBB35_167:
	s_or_b32 exec_lo, exec_lo, s0
	s_and_saveexec_b32 s0, vcc_lo
	s_cbranch_execnz .LBB35_235
.LBB35_168:
	s_or_b32 exec_lo, exec_lo, s0
	s_and_saveexec_b32 s0, vcc_lo
	s_cbranch_execnz .LBB35_236
.LBB35_169:
	s_or_b32 exec_lo, exec_lo, s0
	s_and_saveexec_b32 s0, vcc_lo
	s_cbranch_execnz .LBB35_237
.LBB35_170:
	s_or_b32 exec_lo, exec_lo, s0
	s_and_saveexec_b32 s0, vcc_lo
	s_cbranch_execnz .LBB35_238
.LBB35_171:
	s_or_b32 exec_lo, exec_lo, s0
	s_and_saveexec_b32 s0, vcc_lo
	s_cbranch_execnz .LBB35_239
.LBB35_172:
	s_or_b32 exec_lo, exec_lo, s0
	s_and_saveexec_b32 s0, vcc_lo
	s_cbranch_execnz .LBB35_240
.LBB35_173:
	s_or_b32 exec_lo, exec_lo, s0
	s_and_saveexec_b32 s0, vcc_lo
	s_cbranch_execnz .LBB35_241
.LBB35_174:
	s_or_b32 exec_lo, exec_lo, s0
	s_and_saveexec_b32 s0, vcc_lo
	s_cbranch_execnz .LBB35_242
.LBB35_175:
	s_or_b32 exec_lo, exec_lo, s0
	s_and_saveexec_b32 s0, vcc_lo
	s_cbranch_execnz .LBB35_243
.LBB35_176:
	s_or_b32 exec_lo, exec_lo, s0
	s_and_saveexec_b32 s0, vcc_lo
	s_cbranch_execz .LBB35_178
.LBB35_177:
	ds_load_b32 v32, v32 offset:992
	s_wait_dscnt 0x0
	v_add_f32_e32 v31, v31, v32
.LBB35_178:
	s_or_b32 exec_lo, exec_lo, s0
.LBB35_179:
	s_delay_alu instid0(SALU_CYCLE_1)
	s_or_b32 exec_lo, exec_lo, s1
	s_mov_b32 s1, 0
	s_barrier_signal -1
	s_barrier_wait -1
	s_mov_b32 s0, exec_lo
	v_cmpx_eq_u32_e32 0, v34
	s_cbranch_execz .LBB35_181
; %bb.180:
	s_wait_kmcnt 0x0
	s_mul_i32 s0, s20, s9
	s_mul_i32 s2, s9, s8
	;; [unrolled: 1-line block ×3, first 2 shown]
	s_lshr_b32 s8, ttmp7, 16
	s_lshl_b32 s4, s0, 8
	s_bfe_u32 s0, ttmp6, 0x40014
	s_ashr_i32 s5, s4, 31
	s_add_co_i32 s0, s0, 1
	s_ashr_i32 s3, s2, 31
	s_mul_i32 s0, s8, s0
	s_bfe_u32 s9, ttmp6, 0x40008
	s_lshl_b64 s[4:5], s[4:5], 2
	s_lshl_b64 s[2:3], s[2:3], 2
	s_add_co_i32 s9, s9, s0
	s_cmp_eq_u32 s18, 0
	s_add_nc_u64 s[4:5], s[6:7], s[4:5]
	s_cselect_b32 s0, s8, s9
	s_add_nc_u64 s[2:3], s[4:5], s[2:3]
	s_lshl_b32 s0, s0, 10
	s_delay_alu instid0(SALU_CYCLE_1)
	s_add_nc_u64 s[0:1], s[2:3], s[0:1]
	s_clause 0x1f
	global_store_b32 v44, v28, s[0:1]
	global_store_b32 v44, v29, s[0:1] offset:32
	global_store_b32 v44, v24, s[0:1] offset:64
	;; [unrolled: 1-line block ×31, first 2 shown]
.LBB35_181:
	s_sendmsg sendmsg(MSG_DEALLOC_VGPRS)
	s_endpgm
.LBB35_182:
	ds_load_b32 v34, v32
	s_wait_dscnt 0x0
	v_add_f32_e32 v28, v28, v34
	s_or_b32 exec_lo, exec_lo, s0
	s_and_saveexec_b32 s0, vcc_lo
	s_cbranch_execz .LBB35_110
.LBB35_183:
	ds_load_b32 v34, v32 offset:32
	s_wait_dscnt 0x0
	v_add_f32_e32 v29, v29, v34
	s_or_b32 exec_lo, exec_lo, s0
	s_and_saveexec_b32 s0, vcc_lo
	s_cbranch_execz .LBB35_111
.LBB35_184:
	ds_load_b32 v34, v32 offset:64
	s_wait_dscnt 0x0
	v_add_f32_e32 v24, v24, v34
	s_or_b32 exec_lo, exec_lo, s0
	s_and_saveexec_b32 s0, vcc_lo
	s_cbranch_execz .LBB35_112
.LBB35_185:
	ds_load_b32 v34, v32 offset:96
	s_wait_dscnt 0x0
	v_add_f32_e32 v25, v25, v34
	s_or_b32 exec_lo, exec_lo, s0
	s_and_saveexec_b32 s0, vcc_lo
	s_cbranch_execz .LBB35_113
.LBB35_186:
	ds_load_b32 v34, v32 offset:128
	s_wait_dscnt 0x0
	v_add_f32_e32 v18, v18, v34
	s_or_b32 exec_lo, exec_lo, s0
	s_and_saveexec_b32 s0, vcc_lo
	s_cbranch_execz .LBB35_114
.LBB35_187:
	ds_load_b32 v34, v32 offset:160
	s_wait_dscnt 0x0
	v_add_f32_e32 v19, v19, v34
	s_or_b32 exec_lo, exec_lo, s0
	s_and_saveexec_b32 s0, vcc_lo
	s_cbranch_execz .LBB35_115
.LBB35_188:
	ds_load_b32 v34, v32 offset:192
	s_wait_dscnt 0x0
	v_add_f32_e32 v26, v26, v34
	s_or_b32 exec_lo, exec_lo, s0
	s_and_saveexec_b32 s0, vcc_lo
	s_cbranch_execz .LBB35_116
.LBB35_189:
	ds_load_b32 v34, v32 offset:224
	s_wait_dscnt 0x0
	v_add_f32_e32 v27, v27, v34
	s_or_b32 exec_lo, exec_lo, s0
	s_and_saveexec_b32 s0, vcc_lo
	s_cbranch_execz .LBB35_117
.LBB35_190:
	ds_load_b32 v34, v32 offset:256
	s_wait_dscnt 0x0
	v_add_f32_e32 v20, v20, v34
	s_or_b32 exec_lo, exec_lo, s0
	s_and_saveexec_b32 s0, vcc_lo
	s_cbranch_execz .LBB35_118
.LBB35_191:
	ds_load_b32 v34, v32 offset:288
	s_wait_dscnt 0x0
	v_add_f32_e32 v21, v21, v34
	s_or_b32 exec_lo, exec_lo, s0
	s_and_saveexec_b32 s0, vcc_lo
	s_cbranch_execz .LBB35_119
.LBB35_192:
	ds_load_b32 v34, v32 offset:320
	s_wait_dscnt 0x0
	v_add_f32_e32 v14, v14, v34
	s_or_b32 exec_lo, exec_lo, s0
	s_and_saveexec_b32 s0, vcc_lo
	s_cbranch_execz .LBB35_120
.LBB35_193:
	ds_load_b32 v34, v32 offset:352
	s_wait_dscnt 0x0
	v_add_f32_e32 v15, v15, v34
	s_or_b32 exec_lo, exec_lo, s0
	s_and_saveexec_b32 s0, vcc_lo
	s_cbranch_execz .LBB35_121
.LBB35_194:
	ds_load_b32 v34, v32 offset:384
	s_wait_dscnt 0x0
	v_add_f32_e32 v10, v10, v34
	s_or_b32 exec_lo, exec_lo, s0
	s_and_saveexec_b32 s0, vcc_lo
	s_cbranch_execz .LBB35_122
.LBB35_195:
	ds_load_b32 v34, v32 offset:416
	s_wait_dscnt 0x0
	v_add_f32_e32 v11, v11, v34
	s_or_b32 exec_lo, exec_lo, s0
	s_and_saveexec_b32 s0, vcc_lo
	s_cbranch_execz .LBB35_123
.LBB35_196:
	ds_load_b32 v34, v32 offset:448
	s_wait_dscnt 0x0
	v_add_f32_e32 v8, v8, v34
	s_or_b32 exec_lo, exec_lo, s0
	s_and_saveexec_b32 s0, vcc_lo
	s_cbranch_execz .LBB35_124
.LBB35_197:
	ds_load_b32 v34, v32 offset:480
	s_wait_dscnt 0x0
	v_add_f32_e32 v9, v9, v34
	s_or_b32 exec_lo, exec_lo, s0
	s_and_saveexec_b32 s0, vcc_lo
	s_cbranch_execz .LBB35_125
.LBB35_198:
	ds_load_b32 v34, v32 offset:512
	s_wait_dscnt 0x0
	v_add_f32_e32 v6, v6, v34
	s_or_b32 exec_lo, exec_lo, s0
	s_and_saveexec_b32 s0, vcc_lo
	s_cbranch_execz .LBB35_126
.LBB35_199:
	ds_load_b32 v34, v32 offset:544
	s_wait_dscnt 0x0
	v_add_f32_e32 v7, v7, v34
	s_or_b32 exec_lo, exec_lo, s0
	s_and_saveexec_b32 s0, vcc_lo
	s_cbranch_execz .LBB35_127
.LBB35_200:
	ds_load_b32 v34, v32 offset:576
	s_wait_dscnt 0x0
	v_add_f32_e32 v4, v4, v34
	s_or_b32 exec_lo, exec_lo, s0
	s_and_saveexec_b32 s0, vcc_lo
	s_cbranch_execz .LBB35_128
.LBB35_201:
	ds_load_b32 v34, v32 offset:608
	s_wait_dscnt 0x0
	v_add_f32_e32 v5, v5, v34
	s_or_b32 exec_lo, exec_lo, s0
	s_and_saveexec_b32 s0, vcc_lo
	s_cbranch_execz .LBB35_129
.LBB35_202:
	ds_load_b32 v34, v32 offset:640
	s_wait_dscnt 0x0
	v_add_f32_e32 v2, v2, v34
	s_or_b32 exec_lo, exec_lo, s0
	s_and_saveexec_b32 s0, vcc_lo
	s_cbranch_execz .LBB35_130
.LBB35_203:
	ds_load_b32 v34, v32 offset:672
	s_wait_dscnt 0x0
	v_add_f32_e32 v3, v3, v34
	s_or_b32 exec_lo, exec_lo, s0
	s_and_saveexec_b32 s0, vcc_lo
	s_cbranch_execz .LBB35_131
.LBB35_204:
	ds_load_b32 v34, v32 offset:704
	s_wait_dscnt 0x0
	v_add_f32_e32 v0, v0, v34
	s_or_b32 exec_lo, exec_lo, s0
	s_and_saveexec_b32 s0, vcc_lo
	s_cbranch_execz .LBB35_132
.LBB35_205:
	ds_load_b32 v34, v32 offset:736
	s_wait_dscnt 0x0
	v_add_f32_e32 v1, v1, v34
	s_or_b32 exec_lo, exec_lo, s0
	s_and_saveexec_b32 s0, vcc_lo
	s_cbranch_execz .LBB35_133
.LBB35_206:
	ds_load_b32 v34, v32 offset:768
	s_wait_dscnt 0x0
	v_add_f32_e32 v22, v22, v34
	s_or_b32 exec_lo, exec_lo, s0
	s_and_saveexec_b32 s0, vcc_lo
	s_cbranch_execz .LBB35_134
.LBB35_207:
	ds_load_b32 v34, v32 offset:800
	s_wait_dscnt 0x0
	v_add_f32_e32 v23, v23, v34
	s_or_b32 exec_lo, exec_lo, s0
	s_and_saveexec_b32 s0, vcc_lo
	s_cbranch_execz .LBB35_135
.LBB35_208:
	ds_load_b32 v34, v32 offset:832
	s_wait_dscnt 0x0
	v_add_f32_e32 v16, v16, v34
	s_or_b32 exec_lo, exec_lo, s0
	s_and_saveexec_b32 s0, vcc_lo
	s_cbranch_execz .LBB35_136
.LBB35_209:
	ds_load_b32 v34, v32 offset:864
	s_wait_dscnt 0x0
	v_add_f32_e32 v17, v17, v34
	s_or_b32 exec_lo, exec_lo, s0
	s_and_saveexec_b32 s0, vcc_lo
	s_cbranch_execz .LBB35_137
.LBB35_210:
	ds_load_b32 v34, v32 offset:896
	s_wait_dscnt 0x0
	v_add_f32_e32 v12, v12, v34
	s_or_b32 exec_lo, exec_lo, s0
	s_and_saveexec_b32 s0, vcc_lo
	s_cbranch_execz .LBB35_138
.LBB35_211:
	ds_load_b32 v34, v32 offset:928
	s_wait_dscnt 0x0
	v_add_f32_e32 v13, v13, v34
	s_or_b32 exec_lo, exec_lo, s0
	s_and_saveexec_b32 s0, vcc_lo
	s_cbranch_execz .LBB35_139
.LBB35_212:
	ds_load_b32 v34, v32 offset:960
	s_wait_dscnt 0x0
	v_add_f32_e32 v30, v30, v34
	s_or_b32 exec_lo, exec_lo, s0
	s_and_saveexec_b32 s0, vcc_lo
	s_cbranch_execnz .LBB35_140
	s_branch .LBB35_141
.LBB35_213:
	ds_load_b32 v33, v32
	s_wait_dscnt 0x0
	v_add_f32_e32 v28, v28, v33
	s_or_b32 exec_lo, exec_lo, s0
	s_and_saveexec_b32 s0, vcc_lo
	s_cbranch_execz .LBB35_147
.LBB35_214:
	ds_load_b32 v33, v32 offset:32
	s_wait_dscnt 0x0
	v_add_f32_e32 v29, v29, v33
	s_or_b32 exec_lo, exec_lo, s0
	s_and_saveexec_b32 s0, vcc_lo
	s_cbranch_execz .LBB35_148
.LBB35_215:
	ds_load_b32 v33, v32 offset:64
	s_wait_dscnt 0x0
	v_add_f32_e32 v24, v24, v33
	s_or_b32 exec_lo, exec_lo, s0
	s_and_saveexec_b32 s0, vcc_lo
	s_cbranch_execz .LBB35_149
.LBB35_216:
	ds_load_b32 v33, v32 offset:96
	s_wait_dscnt 0x0
	v_add_f32_e32 v25, v25, v33
	s_or_b32 exec_lo, exec_lo, s0
	s_and_saveexec_b32 s0, vcc_lo
	s_cbranch_execz .LBB35_150
.LBB35_217:
	ds_load_b32 v33, v32 offset:128
	s_wait_dscnt 0x0
	v_add_f32_e32 v18, v18, v33
	s_or_b32 exec_lo, exec_lo, s0
	s_and_saveexec_b32 s0, vcc_lo
	s_cbranch_execz .LBB35_151
.LBB35_218:
	ds_load_b32 v33, v32 offset:160
	s_wait_dscnt 0x0
	v_add_f32_e32 v19, v19, v33
	s_or_b32 exec_lo, exec_lo, s0
	s_and_saveexec_b32 s0, vcc_lo
	s_cbranch_execz .LBB35_152
.LBB35_219:
	ds_load_b32 v33, v32 offset:192
	s_wait_dscnt 0x0
	v_add_f32_e32 v26, v26, v33
	s_or_b32 exec_lo, exec_lo, s0
	s_and_saveexec_b32 s0, vcc_lo
	s_cbranch_execz .LBB35_153
.LBB35_220:
	ds_load_b32 v33, v32 offset:224
	s_wait_dscnt 0x0
	v_add_f32_e32 v27, v27, v33
	s_or_b32 exec_lo, exec_lo, s0
	s_and_saveexec_b32 s0, vcc_lo
	s_cbranch_execz .LBB35_154
.LBB35_221:
	ds_load_b32 v33, v32 offset:256
	s_wait_dscnt 0x0
	v_add_f32_e32 v20, v20, v33
	s_or_b32 exec_lo, exec_lo, s0
	s_and_saveexec_b32 s0, vcc_lo
	s_cbranch_execz .LBB35_155
.LBB35_222:
	ds_load_b32 v33, v32 offset:288
	s_wait_dscnt 0x0
	v_add_f32_e32 v21, v21, v33
	s_or_b32 exec_lo, exec_lo, s0
	s_and_saveexec_b32 s0, vcc_lo
	s_cbranch_execz .LBB35_156
.LBB35_223:
	ds_load_b32 v33, v32 offset:320
	s_wait_dscnt 0x0
	v_add_f32_e32 v14, v14, v33
	s_or_b32 exec_lo, exec_lo, s0
	s_and_saveexec_b32 s0, vcc_lo
	s_cbranch_execz .LBB35_157
.LBB35_224:
	ds_load_b32 v33, v32 offset:352
	s_wait_dscnt 0x0
	v_add_f32_e32 v15, v15, v33
	s_or_b32 exec_lo, exec_lo, s0
	s_and_saveexec_b32 s0, vcc_lo
	s_cbranch_execz .LBB35_158
.LBB35_225:
	ds_load_b32 v33, v32 offset:384
	s_wait_dscnt 0x0
	v_add_f32_e32 v10, v10, v33
	s_or_b32 exec_lo, exec_lo, s0
	s_and_saveexec_b32 s0, vcc_lo
	s_cbranch_execz .LBB35_159
.LBB35_226:
	ds_load_b32 v33, v32 offset:416
	s_wait_dscnt 0x0
	v_add_f32_e32 v11, v11, v33
	s_or_b32 exec_lo, exec_lo, s0
	s_and_saveexec_b32 s0, vcc_lo
	s_cbranch_execz .LBB35_160
.LBB35_227:
	ds_load_b32 v33, v32 offset:448
	s_wait_dscnt 0x0
	v_add_f32_e32 v8, v8, v33
	s_or_b32 exec_lo, exec_lo, s0
	s_and_saveexec_b32 s0, vcc_lo
	s_cbranch_execz .LBB35_161
.LBB35_228:
	ds_load_b32 v33, v32 offset:480
	s_wait_dscnt 0x0
	v_add_f32_e32 v9, v9, v33
	s_or_b32 exec_lo, exec_lo, s0
	s_and_saveexec_b32 s0, vcc_lo
	s_cbranch_execz .LBB35_162
.LBB35_229:
	ds_load_b32 v33, v32 offset:512
	s_wait_dscnt 0x0
	v_add_f32_e32 v6, v6, v33
	s_or_b32 exec_lo, exec_lo, s0
	s_and_saveexec_b32 s0, vcc_lo
	s_cbranch_execz .LBB35_163
.LBB35_230:
	ds_load_b32 v33, v32 offset:544
	s_wait_dscnt 0x0
	v_add_f32_e32 v7, v7, v33
	s_or_b32 exec_lo, exec_lo, s0
	s_and_saveexec_b32 s0, vcc_lo
	s_cbranch_execz .LBB35_164
.LBB35_231:
	ds_load_b32 v33, v32 offset:576
	s_wait_dscnt 0x0
	v_add_f32_e32 v4, v4, v33
	s_or_b32 exec_lo, exec_lo, s0
	s_and_saveexec_b32 s0, vcc_lo
	s_cbranch_execz .LBB35_165
.LBB35_232:
	ds_load_b32 v33, v32 offset:608
	s_wait_dscnt 0x0
	v_add_f32_e32 v5, v5, v33
	s_or_b32 exec_lo, exec_lo, s0
	s_and_saveexec_b32 s0, vcc_lo
	s_cbranch_execz .LBB35_166
.LBB35_233:
	ds_load_b32 v33, v32 offset:640
	s_wait_dscnt 0x0
	v_add_f32_e32 v2, v2, v33
	s_or_b32 exec_lo, exec_lo, s0
	s_and_saveexec_b32 s0, vcc_lo
	s_cbranch_execz .LBB35_167
.LBB35_234:
	ds_load_b32 v33, v32 offset:672
	s_wait_dscnt 0x0
	v_add_f32_e32 v3, v3, v33
	s_or_b32 exec_lo, exec_lo, s0
	s_and_saveexec_b32 s0, vcc_lo
	s_cbranch_execz .LBB35_168
.LBB35_235:
	ds_load_b32 v33, v32 offset:704
	s_wait_dscnt 0x0
	v_add_f32_e32 v0, v0, v33
	s_or_b32 exec_lo, exec_lo, s0
	s_and_saveexec_b32 s0, vcc_lo
	s_cbranch_execz .LBB35_169
.LBB35_236:
	ds_load_b32 v33, v32 offset:736
	s_wait_dscnt 0x0
	v_add_f32_e32 v1, v1, v33
	s_or_b32 exec_lo, exec_lo, s0
	s_and_saveexec_b32 s0, vcc_lo
	s_cbranch_execz .LBB35_170
.LBB35_237:
	ds_load_b32 v33, v32 offset:768
	s_wait_dscnt 0x0
	v_add_f32_e32 v22, v22, v33
	s_or_b32 exec_lo, exec_lo, s0
	s_and_saveexec_b32 s0, vcc_lo
	s_cbranch_execz .LBB35_171
.LBB35_238:
	ds_load_b32 v33, v32 offset:800
	s_wait_dscnt 0x0
	v_add_f32_e32 v23, v23, v33
	s_or_b32 exec_lo, exec_lo, s0
	s_and_saveexec_b32 s0, vcc_lo
	s_cbranch_execz .LBB35_172
.LBB35_239:
	ds_load_b32 v33, v32 offset:832
	s_wait_dscnt 0x0
	v_add_f32_e32 v16, v16, v33
	s_or_b32 exec_lo, exec_lo, s0
	s_and_saveexec_b32 s0, vcc_lo
	s_cbranch_execz .LBB35_173
.LBB35_240:
	ds_load_b32 v33, v32 offset:864
	s_wait_dscnt 0x0
	v_add_f32_e32 v17, v17, v33
	s_or_b32 exec_lo, exec_lo, s0
	s_and_saveexec_b32 s0, vcc_lo
	s_cbranch_execz .LBB35_174
.LBB35_241:
	ds_load_b32 v33, v32 offset:896
	s_wait_dscnt 0x0
	v_add_f32_e32 v12, v12, v33
	s_or_b32 exec_lo, exec_lo, s0
	s_and_saveexec_b32 s0, vcc_lo
	s_cbranch_execz .LBB35_175
.LBB35_242:
	ds_load_b32 v33, v32 offset:928
	s_wait_dscnt 0x0
	v_add_f32_e32 v13, v13, v33
	s_or_b32 exec_lo, exec_lo, s0
	s_and_saveexec_b32 s0, vcc_lo
	s_cbranch_execz .LBB35_176
.LBB35_243:
	ds_load_b32 v33, v32 offset:960
	s_wait_dscnt 0x0
	v_add_f32_e32 v30, v30, v33
	s_or_b32 exec_lo, exec_lo, s0
	s_and_saveexec_b32 s0, vcc_lo
	s_cbranch_execnz .LBB35_177
	s_branch .LBB35_178
	.section	.rodata,"a",@progbits
	.p2align	6, 0x0
	.amdhsa_kernel _ZN4vllm25paged_attention_v1_kernelIffLi256ELi16ELi128ELNS_18Fp8KVCacheDataTypeE0ELb0EEEvPT_PKS2_PKT0_S8_ifPKiSA_iPKfiiiSC_SC_iiiii
		.amdhsa_group_segment_fixed_size 1056
		.amdhsa_private_segment_fixed_size 228
		.amdhsa_kernarg_size 384
		.amdhsa_user_sgpr_count 2
		.amdhsa_user_sgpr_dispatch_ptr 0
		.amdhsa_user_sgpr_queue_ptr 0
		.amdhsa_user_sgpr_kernarg_segment_ptr 1
		.amdhsa_user_sgpr_dispatch_id 0
		.amdhsa_user_sgpr_kernarg_preload_length 0
		.amdhsa_user_sgpr_kernarg_preload_offset 0
		.amdhsa_user_sgpr_private_segment_size 0
		.amdhsa_wavefront_size32 1
		.amdhsa_uses_dynamic_stack 0
		.amdhsa_enable_private_segment 1
		.amdhsa_system_sgpr_workgroup_id_x 1
		.amdhsa_system_sgpr_workgroup_id_y 1
		.amdhsa_system_sgpr_workgroup_id_z 1
		.amdhsa_system_sgpr_workgroup_info 0
		.amdhsa_system_vgpr_workitem_id 0
		.amdhsa_next_free_vgpr 128
		.amdhsa_next_free_sgpr 30
		.amdhsa_named_barrier_count 0
		.amdhsa_reserve_vcc 1
		.amdhsa_float_round_mode_32 0
		.amdhsa_float_round_mode_16_64 0
		.amdhsa_float_denorm_mode_32 3
		.amdhsa_float_denorm_mode_16_64 3
		.amdhsa_fp16_overflow 0
		.amdhsa_memory_ordered 1
		.amdhsa_forward_progress 1
		.amdhsa_inst_pref_size 126
		.amdhsa_round_robin_scheduling 0
		.amdhsa_exception_fp_ieee_invalid_op 0
		.amdhsa_exception_fp_denorm_src 0
		.amdhsa_exception_fp_ieee_div_zero 0
		.amdhsa_exception_fp_ieee_overflow 0
		.amdhsa_exception_fp_ieee_underflow 0
		.amdhsa_exception_fp_ieee_inexact 0
		.amdhsa_exception_int_div_zero 0
	.end_amdhsa_kernel
	.section	.text._ZN4vllm25paged_attention_v1_kernelIffLi256ELi16ELi128ELNS_18Fp8KVCacheDataTypeE0ELb0EEEvPT_PKS2_PKT0_S8_ifPKiSA_iPKfiiiSC_SC_iiiii,"axG",@progbits,_ZN4vllm25paged_attention_v1_kernelIffLi256ELi16ELi128ELNS_18Fp8KVCacheDataTypeE0ELb0EEEvPT_PKS2_PKT0_S8_ifPKiSA_iPKfiiiSC_SC_iiiii,comdat
.Lfunc_end35:
	.size	_ZN4vllm25paged_attention_v1_kernelIffLi256ELi16ELi128ELNS_18Fp8KVCacheDataTypeE0ELb0EEEvPT_PKS2_PKT0_S8_ifPKiSA_iPKfiiiSC_SC_iiiii, .Lfunc_end35-_ZN4vllm25paged_attention_v1_kernelIffLi256ELi16ELi128ELNS_18Fp8KVCacheDataTypeE0ELb0EEEvPT_PKS2_PKT0_S8_ifPKiSA_iPKfiiiSC_SC_iiiii
                                        ; -- End function
	.set _ZN4vllm25paged_attention_v1_kernelIffLi256ELi16ELi128ELNS_18Fp8KVCacheDataTypeE0ELb0EEEvPT_PKS2_PKT0_S8_ifPKiSA_iPKfiiiSC_SC_iiiii.num_vgpr, 128
	.set _ZN4vllm25paged_attention_v1_kernelIffLi256ELi16ELi128ELNS_18Fp8KVCacheDataTypeE0ELb0EEEvPT_PKS2_PKT0_S8_ifPKiSA_iPKfiiiSC_SC_iiiii.num_agpr, 0
	.set _ZN4vllm25paged_attention_v1_kernelIffLi256ELi16ELi128ELNS_18Fp8KVCacheDataTypeE0ELb0EEEvPT_PKS2_PKT0_S8_ifPKiSA_iPKfiiiSC_SC_iiiii.numbered_sgpr, 30
	.set _ZN4vllm25paged_attention_v1_kernelIffLi256ELi16ELi128ELNS_18Fp8KVCacheDataTypeE0ELb0EEEvPT_PKS2_PKT0_S8_ifPKiSA_iPKfiiiSC_SC_iiiii.num_named_barrier, 0
	.set _ZN4vllm25paged_attention_v1_kernelIffLi256ELi16ELi128ELNS_18Fp8KVCacheDataTypeE0ELb0EEEvPT_PKS2_PKT0_S8_ifPKiSA_iPKfiiiSC_SC_iiiii.private_seg_size, 228
	.set _ZN4vllm25paged_attention_v1_kernelIffLi256ELi16ELi128ELNS_18Fp8KVCacheDataTypeE0ELb0EEEvPT_PKS2_PKT0_S8_ifPKiSA_iPKfiiiSC_SC_iiiii.uses_vcc, 1
	.set _ZN4vllm25paged_attention_v1_kernelIffLi256ELi16ELi128ELNS_18Fp8KVCacheDataTypeE0ELb0EEEvPT_PKS2_PKT0_S8_ifPKiSA_iPKfiiiSC_SC_iiiii.uses_flat_scratch, 1
	.set _ZN4vllm25paged_attention_v1_kernelIffLi256ELi16ELi128ELNS_18Fp8KVCacheDataTypeE0ELb0EEEvPT_PKS2_PKT0_S8_ifPKiSA_iPKfiiiSC_SC_iiiii.has_dyn_sized_stack, 0
	.set _ZN4vllm25paged_attention_v1_kernelIffLi256ELi16ELi128ELNS_18Fp8KVCacheDataTypeE0ELb0EEEvPT_PKS2_PKT0_S8_ifPKiSA_iPKfiiiSC_SC_iiiii.has_recursion, 0
	.set _ZN4vllm25paged_attention_v1_kernelIffLi256ELi16ELi128ELNS_18Fp8KVCacheDataTypeE0ELb0EEEvPT_PKS2_PKT0_S8_ifPKiSA_iPKfiiiSC_SC_iiiii.has_indirect_call, 0
	.section	.AMDGPU.csdata,"",@progbits
; Kernel info:
; codeLenInByte = 16068
; TotalNumSgprs: 32
; NumVgprs: 128
; ScratchSize: 228
; MemoryBound: 0
; FloatMode: 240
; IeeeMode: 1
; LDSByteSize: 1056 bytes/workgroup (compile time only)
; SGPRBlocks: 0
; VGPRBlocks: 7
; NumSGPRsForWavesPerEU: 32
; NumVGPRsForWavesPerEU: 128
; NamedBarCnt: 0
; Occupancy: 8
; WaveLimiterHint : 1
; COMPUTE_PGM_RSRC2:SCRATCH_EN: 1
; COMPUTE_PGM_RSRC2:USER_SGPR: 2
; COMPUTE_PGM_RSRC2:TRAP_HANDLER: 0
; COMPUTE_PGM_RSRC2:TGID_X_EN: 1
; COMPUTE_PGM_RSRC2:TGID_Y_EN: 1
; COMPUTE_PGM_RSRC2:TGID_Z_EN: 1
; COMPUTE_PGM_RSRC2:TIDIG_COMP_CNT: 0
	.section	.text._ZN4vllm25paged_attention_v1_kernelIffLi32ELi32ELi128ELNS_18Fp8KVCacheDataTypeE0ELb1EEEvPT_PKS2_PKT0_S8_ifPKiSA_iPKfiiiSC_SC_iiiii,"axG",@progbits,_ZN4vllm25paged_attention_v1_kernelIffLi32ELi32ELi128ELNS_18Fp8KVCacheDataTypeE0ELb1EEEvPT_PKS2_PKT0_S8_ifPKiSA_iPKfiiiSC_SC_iiiii,comdat
	.protected	_ZN4vllm25paged_attention_v1_kernelIffLi32ELi32ELi128ELNS_18Fp8KVCacheDataTypeE0ELb1EEEvPT_PKS2_PKT0_S8_ifPKiSA_iPKfiiiSC_SC_iiiii ; -- Begin function _ZN4vllm25paged_attention_v1_kernelIffLi32ELi32ELi128ELNS_18Fp8KVCacheDataTypeE0ELb1EEEvPT_PKS2_PKT0_S8_ifPKiSA_iPKfiiiSC_SC_iiiii
	.globl	_ZN4vllm25paged_attention_v1_kernelIffLi32ELi32ELi128ELNS_18Fp8KVCacheDataTypeE0ELb1EEEvPT_PKS2_PKT0_S8_ifPKiSA_iPKfiiiSC_SC_iiiii
	.p2align	8
	.type	_ZN4vllm25paged_attention_v1_kernelIffLi32ELi32ELi128ELNS_18Fp8KVCacheDataTypeE0ELb1EEEvPT_PKS2_PKT0_S8_ifPKiSA_iPKfiiiSC_SC_iiiii,@function
_ZN4vllm25paged_attention_v1_kernelIffLi32ELi32ELi128ELNS_18Fp8KVCacheDataTypeE0ELb1EEEvPT_PKS2_PKT0_S8_ifPKiSA_iPKfiiiSC_SC_iiiii: ; @_ZN4vllm25paged_attention_v1_kernelIffLi32ELi32ELi128ELNS_18Fp8KVCacheDataTypeE0ELb1EEEvPT_PKS2_PKT0_S8_ifPKiSA_iPKfiiiSC_SC_iiiii
; %bb.0:
	s_load_b64 s[22:23], s[0:1], 0x20
	s_bfe_u32 s3, ttmp6, 0x4000c
	s_bfe_u32 s4, ttmp6, 0x40010
	s_and_b32 s6, ttmp7, 0xffff
	s_add_co_i32 s3, s3, 1
	s_add_co_i32 s4, s4, 1
	s_and_b32 s2, ttmp6, 15
	s_bfe_u32 s5, ttmp6, 0x40004
	s_mul_i32 s3, ttmp9, s3
	s_mul_i32 s4, s6, s4
	s_getreg_b32 s26, hwreg(HW_REG_IB_STS2, 6, 4)
	s_add_co_i32 s2, s2, s3
	s_add_co_i32 s3, s5, s4
	s_cmp_eq_u32 s26, 0
	s_clause 0x1
	s_load_b32 s27, s[0:1], 0x80
	s_load_b64 s[4:5], s[0:1], 0x30
	s_cselect_b32 s28, s6, s3
	s_cselect_b32 s2, ttmp9, s2
	s_mov_b32 s15, 0
	s_delay_alu instid0(SALU_CYCLE_1) | instskip(SKIP_2) | instid1(SALU_CYCLE_1)
	s_mov_b32 s34, s15
	s_wait_kmcnt 0x0
	s_abs_i32 s3, s22
	s_cvt_f32_u32 s6, s3
	s_sub_co_i32 s7, 0, s3
	s_delay_alu instid0(SALU_CYCLE_2) | instskip(SKIP_2) | instid1(TRANS32_DEP_1)
	v_rcp_iflag_f32_e32 v1, s6
	s_abs_i32 s8, s27
	v_nop
	v_readfirstlane_b32 s6, v1
	s_mul_f32 s6, s6, 0x4f7ffffe
	s_delay_alu instid0(SALU_CYCLE_3) | instskip(NEXT) | instid1(SALU_CYCLE_3)
	s_cvt_u32_f32 s6, s6
	s_mul_i32 s7, s7, s6
	s_delay_alu instid0(SALU_CYCLE_1) | instskip(NEXT) | instid1(SALU_CYCLE_1)
	s_mul_hi_u32 s7, s6, s7
	s_add_co_i32 s6, s6, s7
	s_xor_b32 s7, s27, s22
	s_mul_hi_u32 s6, s8, s6
	s_ashr_i32 s7, s7, 31
	s_mul_i32 s9, s6, s3
	s_delay_alu instid0(SALU_CYCLE_1)
	s_sub_co_i32 s8, s8, s9
	s_add_co_i32 s9, s6, 1
	s_sub_co_i32 s10, s8, s3
	s_cmp_ge_u32 s8, s3
	s_cselect_b32 s6, s9, s6
	s_cselect_b32 s8, s10, s8
	s_add_co_i32 s9, s6, 1
	s_cmp_ge_u32 s8, s3
	s_cselect_b32 s3, s9, s6
	s_load_b64 s[8:9], s[0:1], 0x40
	s_xor_b32 s3, s3, s7
	s_abs_i32 s14, s2
	s_sub_co_i32 s12, s3, s7
	s_mov_b32 s7, s15
	s_abs_i32 s11, s12
	s_delay_alu instid0(SALU_CYCLE_1) | instskip(SKIP_1) | instid1(SALU_CYCLE_2)
	s_cvt_f32_u32 s3, s11
	s_sub_co_i32 s6, 0, s11
	v_rcp_iflag_f32_e32 v1, s3
	v_nop
	s_delay_alu instid0(TRANS32_DEP_1) | instskip(SKIP_1) | instid1(SALU_CYCLE_3)
	v_readfirstlane_b32 s3, v1
	s_mul_f32 s3, s3, 0x4f7ffffe
	s_cvt_u32_f32 s3, s3
	s_delay_alu instid0(SALU_CYCLE_3) | instskip(NEXT) | instid1(SALU_CYCLE_1)
	s_mul_i32 s6, s6, s3
	s_mul_hi_u32 s6, s3, s6
	s_delay_alu instid0(SALU_CYCLE_1)
	s_add_co_i32 s6, s3, s6
	s_wait_kmcnt 0x0
	s_cmp_eq_u64 s[8:9], 0
	s_cbranch_scc1 .LBB36_2
; %bb.1:
	s_ashr_i32 s3, s2, 31
	s_delay_alu instid0(SALU_CYCLE_1) | instskip(NEXT) | instid1(SALU_CYCLE_1)
	s_lshl_b64 s[16:17], s[2:3], 2
	s_add_nc_u64 s[8:9], s[8:9], s[16:17]
	s_load_b32 s34, s[8:9], 0x0
.LBB36_2:
	s_load_b32 s29, s[4:5], s28 offset:0x0 scale_offset
	s_wait_xcnt 0x0
	s_load_b96 s[8:10], s[0:1], 0x48
	v_lshlrev_b32_e32 v39, 4, v0
	s_ashr_i32 s3, s2, 31
	s_ashr_i32 s18, s12, 31
	s_mul_u64 s[16:17], s[14:15], s[6:7]
	s_lshl_b32 s12, s2, 5
	s_mov_b32 s4, exec_lo
	v_cmpx_gt_u32_e32 8, v0
	s_cbranch_execz .LBB36_4
; %bb.3:
	s_load_b64 s[6:7], s[0:1], 0x8
	s_wait_kmcnt 0x0
	s_mul_i32 s20, s8, s28
	s_ashr_i32 s13, s12, 31
	s_ashr_i32 s21, s20, 31
	s_delay_alu instid0(SALU_CYCLE_1) | instskip(NEXT) | instid1(SALU_CYCLE_1)
	s_lshl_b64 s[20:21], s[20:21], 2
	s_add_nc_u64 s[6:7], s[6:7], s[20:21]
	s_lshl_b64 s[20:21], s[12:13], 2
	s_delay_alu instid0(SALU_CYCLE_1)
	s_add_nc_u64 s[6:7], s[6:7], s[20:21]
	global_load_b128 v[2:5], v0, s[6:7] scale_offset
	s_wait_loadcnt 0x0
	ds_store_b128 v39, v[2:5]
.LBB36_4:
	s_or_b32 exec_lo, exec_lo, s4
	s_load_b128 s[4:7], s[0:1], 0x68
	s_wait_kmcnt 0x0
	s_mul_i32 s8, s17, s11
	s_xor_b32 s3, s3, s18
	s_sub_co_i32 s8, s14, s8
	s_add_co_i32 s13, s17, 1
	s_sub_co_i32 s14, s8, s11
	s_cmp_ge_u32 s8, s11
	s_mov_b32 s19, -1
	s_cselect_b32 s13, s13, s17
	s_cselect_b32 s8, s14, s8
	s_add_co_i32 s14, s13, 1
	s_cmp_ge_u32 s8, s11
	s_load_b32 s11, s[0:1], 0x78
	s_cselect_b32 s13, s14, s13
	s_add_co_i32 s18, s29, -1
	s_xor_b32 s13, s13, s3
	s_mov_b32 s17, 0
	s_sub_co_i32 s3, s13, s3
	s_abs_i32 s16, s18
	s_mov_b32 s15, s17
	s_abs_i32 s8, s7
	s_wait_dscnt 0x0
	s_cvt_f32_u32 s14, s8
	s_barrier_signal -1
	s_barrier_wait -1
	s_delay_alu instid0(SALU_CYCLE_1) | instskip(SKIP_1) | instid1(TRANS32_DEP_1)
	v_rcp_iflag_f32_e32 v1, s14
	v_nop
	v_readfirstlane_b32 s14, v1
	s_mul_f32 s13, s14, 0x4f7ffffe
	s_sub_co_i32 s14, 0, s8
	s_delay_alu instid0(SALU_CYCLE_2) | instskip(NEXT) | instid1(SALU_CYCLE_3)
	s_cvt_u32_f32 s13, s13
	s_mul_i32 s14, s14, s13
	s_delay_alu instid0(SALU_CYCLE_1) | instskip(NEXT) | instid1(SALU_CYCLE_1)
	s_mul_hi_u32 s14, s13, s14
	s_add_co_i32 s14, s13, s14
	s_wait_kmcnt 0x0
	s_cmp_lt_i32 s11, 0
                                        ; implicit-def: $sgpr13
	s_cbranch_scc0 .LBB36_6
; %bb.5:
	s_mul_i32 s13, s4, s22
	s_mov_b32 s19, s17
	s_add_co_i32 s13, s3, s13
	s_delay_alu instid0(SALU_CYCLE_1) | instskip(NEXT) | instid1(SALU_CYCLE_1)
	s_mul_i32 s13, s13, s11
	s_sub_co_i32 s13, 1, s13
.LBB36_6:
	s_ashr_i32 s18, s18, 31
	s_ashr_i32 s30, s7, 31
	s_and_not1_b32 vcc_lo, exec_lo, s19
	s_mul_u64 s[20:21], s[16:17], s[14:15]
	s_cbranch_vccnz .LBB36_8
; %bb.7:
	s_mul_i32 s4, s27, s4
	s_delay_alu instid0(SALU_CYCLE_1) | instskip(NEXT) | instid1(SALU_CYCLE_1)
	s_add_co_i32 s2, s4, s2
	s_mul_i32 s2, s2, s11
	s_delay_alu instid0(SALU_CYCLE_1)
	s_add_co_i32 s13, s2, 1
.LBB36_8:
	s_load_b32 s2, s[0:1], 0x38
	s_mul_i32 s7, s21, s8
	s_xor_b32 s4, s18, s30
	s_sub_co_i32 s20, s16, s7
	s_add_co_i32 s11, s21, 1
	s_clause 0x1
	s_load_b64 s[16:17], s[0:1], 0x28
	s_load_b32 s7, s[0:1], 0x88
	v_dual_lshrrev_b32 v1, 5, v0 :: v_dual_bitop2_b32 v52, 31, v0 bitop3:0x40
	v_dual_mov_b32 v43, 0xff7fffff :: v_dual_lshrrev_b32 v48, 3, v0
	s_delay_alu instid0(VALU_DEP_2)
	v_dual_lshlrev_b32 v38, 5, v1 :: v_dual_lshlrev_b32 v42, 2, v52
	s_wait_kmcnt 0x0
	s_mul_i32 s18, s2, s28
	s_sub_co_i32 s2, s20, s8
	s_ashr_i32 s19, s18, 31
	s_cmp_ge_u32 s20, s8
	s_cselect_b32 s11, s11, s21
	s_cselect_b32 s2, s2, s20
	s_add_co_i32 s20, s11, 1
	s_cmp_ge_u32 s2, s8
	s_cselect_b32 s2, s20, s11
	s_add_co_i32 s11, s29, 31
	s_delay_alu instid0(SALU_CYCLE_1) | instskip(NEXT) | instid1(SALU_CYCLE_1)
	s_ashr_i32 s20, s11, 31
	s_lshr_b32 s20, s20, 27
	s_delay_alu instid0(SALU_CYCLE_1)
	s_add_co_i32 s11, s11, s20
	s_mul_i32 s20, s3, s10
	s_ashr_i32 s31, s11, 5
	s_xor_b32 s11, s2, s4
	v_cmp_gt_i32_e64 s2, s31, v1
	s_sub_co_i32 s33, s11, s4
	s_and_saveexec_b32 s22, s2
	s_cbranch_execz .LBB36_16
; %bb.9:
	s_ashr_i32 s21, s20, 31
	s_sub_co_i32 s35, s33, s5
	s_ashr_i32 s11, s9, 31
	s_lshl_b64 s[24:25], s[20:21], 2
	s_cmp_neq_f32 s34, 0
	s_load_b64 s[36:37], s[0:1], 0x10
	v_dual_mov_b32 v35, 0 :: v_dual_lshlrev_b32 v34, 4, v52
	s_cselect_b32 vcc_lo, -1, 0
	s_abs_i32 s21, s6
	ds_load_b128 v[2:5], v35
	ds_load_b128 v[6:9], v35 offset:16
	ds_load_b128 v[10:13], v35 offset:32
	;; [unrolled: 1-line block ×3, first 2 shown]
	s_cvt_f32_u32 s3, s21
	v_subrev_nc_u32_e32 v43, s29, v52
	v_lshl_or_b32 v45, v1, 7, v42
	s_sub_co_i32 s4, 0, s21
	v_rcp_iflag_f32_e32 v18, s3
	v_dual_mov_b32 v46, 0xff7fffff :: v_dual_mov_b32 v47, v1
	s_delay_alu instid0(VALU_DEP_2) | instskip(SKIP_2) | instid1(TRANS32_DEP_1)
	v_add_nc_u32_e32 v45, 0xa0, v45
	s_mov_b32 s10, s9
	v_dual_mov_b32 v43, 0xff7fffff :: v_dual_add_nc_u32 v44, 1, v43
	v_readfirstlane_b32 s3, v18
	ds_load_b128 v[18:21], v35 offset:64
	ds_load_b128 v[22:25], v35 offset:80
	ds_load_b128 v[26:29], v35 offset:96
	ds_load_b128 v[30:33], v35 offset:112
	s_wait_kmcnt 0x0
	s_add_nc_u64 s[24:25], s[36:37], s[24:25]
	s_delay_alu instid0(SALU_CYCLE_1) | instskip(SKIP_3) | instid1(SALU_CYCLE_1)
	v_add_nc_u64_e32 v[36:37], s[24:25], v[34:35]
	s_mul_f32 s3, s3, 0x4f7ffffe
	v_and_b32_e32 v34, 0x7c, v48
	s_lshl_b64 s[24:25], s[18:19], 2
	s_cvt_u32_f32 s3, s3
	s_add_nc_u64 s[24:25], s[16:17], s[24:25]
	s_delay_alu instid0(VALU_DEP_1) | instid1(SALU_CYCLE_1)
	v_add_nc_u64_e32 v[40:41], s[24:25], v[34:35]
	s_delay_alu instid0(SALU_CYCLE_1)
	s_mul_i32 s4, s4, s3
	v_lshlrev_b32_e32 v34, 5, v1
	s_mul_hi_u32 s4, s3, s4
	s_mov_b32 s25, 0
	s_add_co_i32 s24, s3, s4
	s_mov_b32 s36, s25
	s_branch .LBB36_11
.LBB36_10:                              ;   in Loop: Header=BB36_11 Depth=1
	s_or_b32 exec_lo, exec_lo, s4
	v_add_nc_u32_e32 v47, 4, v47
	v_add_nc_u64_e32 v[40:41], 16, v[40:41]
	v_add_nc_u32_e32 v34, 0x80, v34
	v_add_nc_u32_e32 v45, 0x200, v45
	s_delay_alu instid0(VALU_DEP_4) | instskip(SKIP_1) | instid1(SALU_CYCLE_1)
	v_cmp_le_i32_e64 s3, s31, v47
	s_or_b32 s36, s3, s36
	s_and_not1_b32 exec_lo, exec_lo, s36
	s_cbranch_execz .LBB36_15
.LBB36_11:                              ; =>This Inner Loop Header: Depth=1
	v_mul_u64_e32 v[50:51], s[14:15], v[34:35]
	s_delay_alu instid0(VALU_DEP_1) | instskip(NEXT) | instid1(VALU_DEP_1)
	v_mul_lo_u32 v49, v51, s8
	v_dual_add_nc_u32 v50, 1, v51 :: v_dual_sub_nc_u32 v49, v34, v49
	s_delay_alu instid0(VALU_DEP_1) | instskip(SKIP_1) | instid1(VALU_DEP_1)
	v_subrev_nc_u32_e32 v53, s8, v49
	v_cmp_le_u32_e64 s3, s8, v49
	v_dual_cndmask_b32 v50, v51, v50, s3 :: v_dual_cndmask_b32 v49, v49, v53, s3
	s_delay_alu instid0(VALU_DEP_1) | instskip(NEXT) | instid1(VALU_DEP_2)
	v_add_nc_u32_e32 v51, 1, v50
	v_cmp_le_u32_e64 s3, s8, v49
	s_delay_alu instid0(VALU_DEP_1) | instskip(NEXT) | instid1(VALU_DEP_1)
	v_dual_cndmask_b32 v49, v50, v51, s3 :: v_dual_mov_b32 v51, v35
	v_xor_b32_e32 v49, s30, v49
	s_delay_alu instid0(VALU_DEP_1) | instskip(NEXT) | instid1(VALU_DEP_1)
	v_subrev_nc_u32_e32 v49, s30, v49
	v_add_nc_u32_e32 v53, s13, v49
	v_cmp_ge_i32_e64 s4, s35, v49
	s_delay_alu instid0(VALU_DEP_2) | instskip(NEXT) | instid1(VALU_DEP_1)
	v_sub_nc_u32_e32 v50, 0, v53
	v_dual_ashrrev_i32 v53, 31, v53 :: v_dual_max_i32 v50, v53, v50
	s_delay_alu instid0(VALU_DEP_1) | instskip(NEXT) | instid1(VALU_DEP_1)
	v_mul_u64_e32 v[54:55], s[24:25], v[50:51]
	v_mul_lo_u32 v51, v55, s21
	s_delay_alu instid0(VALU_DEP_1) | instskip(NEXT) | instid1(VALU_DEP_1)
	v_sub_nc_u32_e32 v50, v50, v51
	v_subrev_nc_u32_e32 v51, s21, v50
	v_cmp_le_u32_e64 s3, s21, v50
	s_delay_alu instid0(VALU_DEP_1) | instskip(NEXT) | instid1(VALU_DEP_1)
	v_cndmask_b32_e64 v50, v50, v51, s3
	v_subrev_nc_u32_e32 v51, s21, v50
	v_cmp_le_u32_e64 s3, s21, v50
	s_delay_alu instid0(VALU_DEP_1) | instskip(NEXT) | instid1(VALU_DEP_1)
	v_cndmask_b32_e64 v50, v50, v51, s3
	v_xor_b32_e32 v50, v50, v53
	s_delay_alu instid0(VALU_DEP_1) | instskip(NEXT) | instid1(VALU_DEP_1)
	v_sub_nc_u32_e32 v50, v50, v53
	v_cmp_ne_u32_e64 s3, 0, v50
	s_and_b32 s3, s3, s4
	s_delay_alu instid0(SALU_CYCLE_1) | instskip(NEXT) | instid1(SALU_CYCLE_1)
	s_and_saveexec_b32 s4, s3
	s_xor_b32 s3, exec_lo, s4
; %bb.12:                               ;   in Loop: Header=BB36_11 Depth=1
	ds_store_b32 v45, v46
; %bb.13:                               ;   in Loop: Header=BB36_11 Depth=1
	s_and_not1_saveexec_b32 s4, s3
	s_cbranch_execz .LBB36_10
; %bb.14:                               ;   in Loop: Header=BB36_11 Depth=1
	global_load_b32 v50, v[40:41], off
	v_add_nc_u32_e32 v49, v44, v34
	s_delay_alu instid0(VALU_DEP_1) | instskip(NEXT) | instid1(VALU_DEP_1)
	v_cvt_f32_i32_e32 v49, v49
	v_mul_f32_e32 v49, s34, v49
	s_wait_loadcnt 0x0
	s_delay_alu instid0(VALU_DEP_1) | instskip(NEXT) | instid1(VALU_DEP_1)
	v_dual_cndmask_b32 v49, 0, v49, vcc_lo :: v_dual_ashrrev_i32 v51, 31, v50
	v_mul_u64_e32 v[50:51], s[10:11], v[50:51]
	s_delay_alu instid0(VALU_DEP_1)
	v_lshl_add_u64 v[50:51], v[50:51], 2, v[36:37]
	s_clause 0x2
	global_load_b128 v[54:57], v[50:51], off offset:512
	global_load_b128 v[58:61], v[50:51], off
	global_load_b128 v[62:65], v[50:51], off offset:1024
	s_wait_loadcnt_dscnt 0x206
	v_pk_mul_f32 v[66:67], v[6:7], v[54:55]
	v_pk_mul_f32 v[68:69], v[8:9], v[56:57]
	global_load_b128 v[54:57], v[50:51], off offset:1536
	s_wait_loadcnt 0x2
	v_pk_fma_f32 v[66:67], v[2:3], v[58:59], v[66:67]
	v_pk_fma_f32 v[68:69], v[4:5], v[60:61], v[68:69]
	global_load_b128 v[58:61], v[50:51], off offset:2048
	s_wait_loadcnt_dscnt 0x205
	v_pk_fma_f32 v[66:67], v[10:11], v[62:63], v[66:67]
	v_pk_fma_f32 v[68:69], v[12:13], v[64:65], v[68:69]
	global_load_b128 v[62:65], v[50:51], off offset:2560
	s_wait_loadcnt_dscnt 0x204
	;; [unrolled: 4-line block ×4, first 2 shown]
	s_wait_xcnt 0x0
	v_pk_fma_f32 v[50:51], v[22:23], v[62:63], v[66:67]
	v_pk_fma_f32 v[62:63], v[24:25], v[64:65], v[68:69]
	s_wait_loadcnt_dscnt 0x101
	s_delay_alu instid0(VALU_DEP_2) | instskip(NEXT) | instid1(VALU_DEP_2)
	v_pk_fma_f32 v[50:51], v[26:27], v[54:55], v[50:51]
	v_pk_fma_f32 v[54:55], v[28:29], v[56:57], v[62:63]
	s_wait_loadcnt_dscnt 0x0
	s_delay_alu instid0(VALU_DEP_2) | instskip(NEXT) | instid1(VALU_DEP_2)
	v_pk_fma_f32 v[50:51], v[30:31], v[58:59], v[50:51]
	v_pk_fma_f32 v[54:55], v[32:33], v[60:61], v[54:55]
	s_delay_alu instid0(VALU_DEP_2) | instskip(NEXT) | instid1(VALU_DEP_1)
	v_add_f32_e32 v50, v50, v51
	v_add_f32_e32 v50, v54, v50
	s_delay_alu instid0(VALU_DEP_1) | instskip(NEXT) | instid1(VALU_DEP_1)
	v_add_f32_e32 v50, v55, v50
	v_dual_max_num_f32 v51, v43, v43 :: v_dual_fmac_f32 v49, s23, v50
	s_delay_alu instid0(VALU_DEP_1) | instskip(NEXT) | instid1(VALU_DEP_1)
	v_dual_max_num_f32 v51, v51, v49 :: v_dual_add_nc_u32 v50, v52, v34
	v_cmp_gt_i32_e64 s3, s29, v50
	s_delay_alu instid0(VALU_DEP_1)
	v_dual_cndmask_b32 v49, 0, v49, s3 :: v_dual_cndmask_b32 v43, v43, v51, s3
	ds_store_b32 v45, v49
	s_branch .LBB36_10
.LBB36_15:
	s_or_b32 exec_lo, exec_lo, s36
.LBB36_16:
	s_delay_alu instid0(SALU_CYCLE_1)
	s_or_b32 exec_lo, exec_lo, s22
	s_wait_dscnt 0x7
	v_mbcnt_lo_u32_b32 v4, -1, 0
	s_clause 0x1
	s_load_b64 s[10:11], s[0:1], 0x0
	s_load_b64 s[22:23], s[0:1], 0x18
	s_wait_dscnt 0x6
	v_dual_max_num_f32 v6, v43, v43 :: v_dual_bitop2_b32 v2, 16, v4 bitop3:0x14
	v_xor_b32_e32 v5, 8, v4
	s_delay_alu instid0(VALU_DEP_2) | instskip(SKIP_1) | instid1(VALU_DEP_3)
	v_cmp_gt_i32_e32 vcc_lo, 32, v2
	v_cndmask_b32_e32 v2, v4, v2, vcc_lo
	v_cmp_gt_i32_e32 vcc_lo, 32, v5
	s_delay_alu instid0(VALU_DEP_2) | instskip(SKIP_3) | instid1(VALU_DEP_1)
	v_dual_cndmask_b32 v5, v4, v5 :: v_dual_lshlrev_b32 v2, 2, v2
	ds_bpermute_b32 v3, v2, v43
	s_wait_dscnt 0x0
	v_dual_max_num_f32 v7, v3, v3 :: v_dual_lshlrev_b32 v3, 2, v5
	v_dual_max_num_f32 v5, v6, v7 :: v_dual_bitop2_b32 v7, 4, v4 bitop3:0x14
	ds_bpermute_b32 v6, v3, v5
	v_cmp_gt_i32_e32 vcc_lo, 32, v7
	s_wait_dscnt 0x0
	v_dual_cndmask_b32 v7, v4, v7 :: v_dual_max_num_f32 v6, v6, v6
	s_delay_alu instid0(VALU_DEP_1) | instskip(SKIP_3) | instid1(VALU_DEP_1)
	v_dual_lshlrev_b32 v55, 2, v7 :: v_dual_max_num_f32 v5, v5, v6
	ds_bpermute_b32 v6, v55, v5
	s_wait_dscnt 0x0
	v_dual_max_num_f32 v6, v6, v6 :: v_dual_bitop2_b32 v7, 2, v4 bitop3:0x14
	v_cmp_gt_i32_e32 vcc_lo, 32, v7
	s_delay_alu instid0(VALU_DEP_2) | instskip(NEXT) | instid1(VALU_DEP_1)
	v_dual_max_num_f32 v5, v5, v6 :: v_dual_cndmask_b32 v7, v4, v7, vcc_lo
	v_dual_lshlrev_b32 v54, 2, v7 :: v_dual_bitop2_b32 v7, 1, v4 bitop3:0x14
	ds_bpermute_b32 v6, v54, v5
	v_cmp_gt_i32_e32 vcc_lo, 32, v7
	v_cndmask_b32_e32 v4, v4, v7, vcc_lo
	v_cmp_eq_u32_e32 vcc_lo, 0, v52
	s_delay_alu instid0(VALU_DEP_2) | instskip(SKIP_2) | instid1(VALU_DEP_1)
	v_dual_lshlrev_b32 v53, 2, v4 :: v_dual_lshlrev_b32 v4, 2, v1
	s_wait_dscnt 0x0
	v_max_num_f32_e32 v6, v6, v6
	v_max_num_f32_e32 v5, v5, v6
	ds_bpermute_b32 v6, v53, v5
	s_wait_xcnt 0x0
	s_and_saveexec_b32 s0, vcc_lo
	s_cbranch_execz .LBB36_18
; %bb.17:
	s_wait_dscnt 0x0
	v_dual_max_num_f32 v6, v6, v6 :: v_dual_max_num_f32 v5, v5, v5
	s_delay_alu instid0(VALU_DEP_1)
	v_max_num_f32_e32 v5, v5, v6
	ds_store_b32 v4, v5 offset:128
.LBB36_18:
	s_or_b32 exec_lo, exec_lo, s0
	v_cmp_gt_u32_e64 s0, 4, v52
	v_mov_b32_e32 v5, 0xff7fffff
	s_wait_dscnt 0x0
	s_barrier_signal -1
	s_barrier_wait -1
	s_and_saveexec_b32 s1, s0
; %bb.19:
	ds_load_b32 v5, v42 offset:128
; %bb.20:
	s_or_b32 exec_lo, exec_lo, s1
	s_wait_dscnt 0x0
	ds_bpermute_b32 v6, v54, v5
	v_max_num_f32_e32 v5, v5, v5
	s_lshl_b32 s1, s31, 5
	s_delay_alu instid0(SALU_CYCLE_1) | instskip(NEXT) | instid1(SALU_CYCLE_1)
	s_min_i32 s4, s1, s29
	v_cmp_gt_i32_e64 s1, s4, v0
	s_wait_dscnt 0x0
	v_max_num_f32_e32 v6, v6, v6
	s_delay_alu instid0(VALU_DEP_1) | instskip(SKIP_3) | instid1(VALU_DEP_1)
	v_max_num_f32_e32 v5, v5, v6
	ds_bpermute_b32 v6, v53, v5
	s_wait_dscnt 0x0
	v_max_num_f32_e32 v6, v6, v6
	v_dual_max_num_f32 v6, v5, v6 :: v_dual_mov_b32 v5, 0
	ds_bpermute_b32 v6, v5, v6
	s_and_saveexec_b32 s21, s1
	s_cbranch_execz .LBB36_24
; %bb.21:
	v_lshl_add_u32 v7, v0, 2, 0xa0
	v_dual_mov_b32 v5, 0 :: v_dual_mov_b32 v8, v0
	s_mov_b32 s24, 0
.LBB36_22:                              ; =>This Inner Loop Header: Depth=1
	ds_load_b32 v9, v7
	v_add_nc_u32_e32 v8, 0x80, v8
	s_delay_alu instid0(VALU_DEP_1) | instskip(SKIP_3) | instid1(VALU_DEP_1)
	v_cmp_le_i32_e64 s3, s4, v8
	s_or_b32 s24, s3, s24
	s_wait_dscnt 0x0
	v_sub_f32_e32 v9, v9, v6
	v_mul_f32_e32 v9, 0x3fb8aa3b, v9
	s_delay_alu instid0(VALU_DEP_1)
	v_exp_f32_e32 v9, v9
	ds_store_b32 v7, v9
	v_nop
	v_add_f32_e32 v5, v5, v9
	v_add_nc_u32_e32 v7, 0x200, v7
	s_and_not1_b32 exec_lo, exec_lo, s24
	s_cbranch_execnz .LBB36_22
; %bb.23:
	s_or_b32 exec_lo, exec_lo, s24
.LBB36_24:
	s_delay_alu instid0(SALU_CYCLE_1)
	s_or_b32 exec_lo, exec_lo, s21
	ds_bpermute_b32 v2, v2, v5
	s_wait_dscnt 0x0
	v_add_f32_e32 v2, v5, v2
	ds_bpermute_b32 v3, v3, v2
	s_wait_dscnt 0x0
	v_add_f32_e32 v2, v2, v3
	;; [unrolled: 3-line block ×5, first 2 shown]
	s_and_saveexec_b32 s3, vcc_lo
; %bb.25:
	ds_store_b32 v4, v2 offset:144
; %bb.26:
	s_or_b32 exec_lo, exec_lo, s3
	s_wait_dscnt 0x0
	s_barrier_signal -1
	s_barrier_wait -1
	s_and_saveexec_b32 s3, s0
; %bb.27:
	ds_load_b32 v2, v42 offset:144
; %bb.28:
	s_or_b32 exec_lo, exec_lo, s3
	s_wait_dscnt 0x0
	ds_bpermute_b32 v3, v54, v2
	s_wait_dscnt 0x0
	v_dual_mov_b32 v41, 0 :: v_dual_add_f32 v2, v2, v3
	ds_bpermute_b32 v3, v53, v2
	s_wait_dscnt 0x0
	v_add_f32_e32 v2, v2, v3
	ds_bpermute_b32 v2, v41, v2
	s_and_saveexec_b32 s0, s1
	s_cbranch_execz .LBB36_41
; %bb.29:
	s_wait_dscnt 0x0
	v_add_f32_e32 v2, 0x358637bd, v2
	s_mov_b32 s3, -1
	s_mov_b32 s1, exec_lo
	s_delay_alu instid0(VALU_DEP_1) | instskip(NEXT) | instid1(VALU_DEP_1)
	v_div_scale_f32 v3, null, v2, v2, 1.0
	v_rcp_f32_e32 v5, v3
	v_nop
	s_delay_alu instid0(TRANS32_DEP_1) | instskip(NEXT) | instid1(VALU_DEP_1)
	v_fma_f32 v4, -v3, v5, 1.0
	v_fmac_f32_e32 v5, v4, v5
	v_div_scale_f32 v6, vcc_lo, 1.0, v2, 1.0
	s_delay_alu instid0(VALU_DEP_1) | instskip(NEXT) | instid1(VALU_DEP_1)
	v_mul_f32_e32 v7, v6, v5
	v_fma_f32 v4, -v3, v7, v6
	s_delay_alu instid0(VALU_DEP_1) | instskip(SKIP_1) | instid1(VALU_DEP_2)
	v_fmac_f32_e32 v7, v4, v5
	v_xad_u32 v4, v0, -1, s4
	v_fma_f32 v3, -v3, v7, v6
	s_delay_alu instid0(VALU_DEP_1) | instskip(NEXT) | instid1(VALU_DEP_1)
	v_div_fmas_f32 v3, v3, v5, v7
	v_div_fixup_f32 v2, v3, v2, 1.0
	v_mov_b32_e32 v3, v0
	v_cmpx_lt_u32_e32 0x7f, v4
	s_cbranch_execz .LBB36_38
; %bb.30:
	s_delay_alu instid0(VALU_DEP_3) | instskip(NEXT) | instid1(VALU_DEP_1)
	v_dual_mov_b32 v3, v2 :: v_dual_lshrrev_b32 v4, 7, v4
	v_dual_mov_b32 v8, 0 :: v_dual_add_nc_u32 v5, -1, v4
	s_delay_alu instid0(VALU_DEP_1) | instskip(SKIP_1) | instid1(VALU_DEP_2)
	v_lshrrev_b32_e32 v6, 1, v5
	v_cmp_lt_u32_e32 vcc_lo, 13, v5
	v_add_nc_u32_e32 v5, 1, v6
	s_and_saveexec_b32 s3, vcc_lo
	s_cbranch_execz .LBB36_34
; %bb.31:
	s_delay_alu instid0(VALU_DEP_1)
	v_and_b32_e32 v6, -8, v5
	v_lshl_add_u32 v7, v0, 2, 0xa0
	s_mov_b32 s21, 0
	s_mov_b32 s24, 0
.LBB36_32:                              ; =>This Inner Loop Header: Depth=1
	ds_load_2addr_stride64_b32 v[8:9], v7 offset1:2
	ds_load_2addr_stride64_b32 v[10:11], v7 offset0:4 offset1:6
	ds_load_2addr_stride64_b32 v[12:13], v7 offset0:8 offset1:10
	;; [unrolled: 1-line block ×7, first 2 shown]
	s_add_co_i32 s24, s24, 16
	v_add_nc_u32_e32 v6, -8, v6
	s_wait_dscnt 0x7
	v_pk_mul_f32 v[8:9], v[2:3], v[8:9]
	s_wait_dscnt 0x6
	v_pk_mul_f32 v[10:11], v[2:3], v[10:11]
	;; [unrolled: 2-line block ×8, first 2 shown]
	ds_store_2addr_stride64_b32 v7, v8, v9 offset1:2
	ds_store_2addr_stride64_b32 v7, v10, v11 offset0:4 offset1:6
	ds_store_2addr_stride64_b32 v7, v12, v13 offset0:8 offset1:10
	;; [unrolled: 1-line block ×7, first 2 shown]
	v_mov_b32_e32 v8, s24
	v_cmp_eq_u32_e32 vcc_lo, 0, v6
	v_add_nc_u32_e32 v7, 0x2000, v7
	s_or_b32 s21, vcc_lo, s21
	s_delay_alu instid0(SALU_CYCLE_1)
	s_and_not1_b32 exec_lo, exec_lo, s21
	s_cbranch_execnz .LBB36_32
; %bb.33:
	s_or_b32 exec_lo, exec_lo, s21
.LBB36_34:
	s_delay_alu instid0(SALU_CYCLE_1) | instskip(NEXT) | instid1(VALU_DEP_1)
	s_or_b32 exec_lo, exec_lo, s3
	v_and_b32_e32 v5, 7, v5
	s_mov_b32 s21, 0
	s_mov_b32 s3, exec_lo
	s_delay_alu instid0(VALU_DEP_1)
	v_cmpx_ne_u32_e32 0, v5
	s_cbranch_execz .LBB36_37
; %bb.35:
	v_lshlrev_b32_e32 v6, 9, v8
	v_lshlrev_b32_e32 v7, 2, v0
	s_delay_alu instid0(VALU_DEP_1)
	v_add3_u32 v6, v6, v7, 0xa0
.LBB36_36:                              ; =>This Inner Loop Header: Depth=1
	ds_load_2addr_stride64_b32 v[8:9], v6 offset1:2
	v_add_nc_u32_e32 v5, -1, v5
	s_delay_alu instid0(VALU_DEP_1)
	v_cmp_eq_u32_e32 vcc_lo, 0, v5
	s_or_b32 s21, vcc_lo, s21
	s_wait_dscnt 0x0
	v_pk_mul_f32 v[8:9], v[2:3], v[8:9]
	ds_store_2addr_stride64_b32 v6, v8, v9 offset1:2
	v_add_nc_u32_e32 v6, 0x400, v6
	s_and_not1_b32 exec_lo, exec_lo, s21
	s_cbranch_execnz .LBB36_36
.LBB36_37:
	s_or_b32 exec_lo, exec_lo, s3
	v_add_nc_u32_e32 v3, 1, v4
	s_delay_alu instid0(VALU_DEP_1) | instskip(NEXT) | instid1(VALU_DEP_1)
	v_and_b32_e32 v4, 0x3fffffe, v3
	v_cmp_ne_u32_e32 vcc_lo, v3, v4
	v_lshl_add_u32 v3, v4, 7, v0
	s_or_not1_b32 s3, vcc_lo, exec_lo
.LBB36_38:
	s_or_b32 exec_lo, exec_lo, s1
	s_delay_alu instid0(SALU_CYCLE_1)
	s_and_b32 exec_lo, exec_lo, s3
	s_cbranch_execz .LBB36_41
; %bb.39:
	v_lshl_add_u32 v4, v3, 2, 0xa0
	s_mov_b32 s1, 0
.LBB36_40:                              ; =>This Inner Loop Header: Depth=1
	ds_load_b32 v5, v4
	v_add_nc_u32_e32 v3, 0x80, v3
	s_delay_alu instid0(VALU_DEP_1)
	v_cmp_le_i32_e32 vcc_lo, s4, v3
	s_or_b32 s1, vcc_lo, s1
	s_wait_dscnt 0x0
	v_mul_f32_e32 v5, v2, v5
	ds_store_b32 v4, v5
	v_add_nc_u32_e32 v4, 0x200, v4
	s_and_not1_b32 exec_lo, exec_lo, s1
	s_cbranch_execnz .LBB36_40
.LBB36_41:
	s_or_b32 exec_lo, exec_lo, s0
	v_dual_mov_b32 v40, 0 :: v_dual_bitop2_b32 v56, 7, v0 bitop3:0x40
	v_dual_mov_b32 v43, 0 :: v_dual_mov_b32 v42, 0
	v_dual_mov_b32 v45, 0 :: v_dual_mov_b32 v44, 0
	;; [unrolled: 1-line block ×3, first 2 shown]
	s_wait_dscnt 0x0
	s_barrier_signal -1
	s_barrier_wait -1
	s_and_saveexec_b32 s1, s2
	s_cbranch_execz .LBB36_63
; %bb.42:
	s_abs_i32 s6, s6
	v_lshlrev_b32_e32 v5, 2, v0
	s_cvt_f32_u32 s0, s6
	v_and_b32_e32 v2, 0x1f0, v39
	v_dual_mov_b32 v39, 0 :: v_dual_lshlrev_b32 v6, 4, v56
	s_delay_alu instid0(SALU_CYCLE_1) | instskip(SKIP_2) | instid1(VALU_DEP_2)
	v_rcp_iflag_f32_e32 v3, s0
	s_ashr_i32 s21, s20, 31
	v_and_b32_e32 v4, 0x7c, v48
	v_dual_mov_b32 v5, v39 :: v_dual_bitop2_b32 v57, 28, v5 bitop3:0x40
	s_lshl_b64 s[18:19], s[18:19], 2
	s_lshl_b64 s[20:21], s[20:21], 2
	s_delay_alu instid0(TRANS32_DEP_1)
	v_readfirstlane_b32 s0, v3
	v_mov_b32_e32 v3, v39
	v_lshl_or_b32 v6, v1, 7, v6
	s_add_nc_u64 s[16:17], s[16:17], s[18:19]
	s_wait_kmcnt 0x0
	s_add_nc_u64 s[18:19], s[22:23], s[20:21]
	s_mul_f32 s0, s0, 0x4f7ffffe
	s_sub_co_i32 s4, 0, s6
	v_add_nc_u64_e32 v[48:49], s[18:19], v[2:3]
	v_add_nc_u64_e32 v[50:51], s[16:17], v[4:5]
	s_cvt_u32_f32 s0, s0
	v_dual_mov_b32 v59, v1 :: v_dual_add_nc_u32 v58, 0xa0, v6
	v_dual_mov_b32 v46, v39 :: v_dual_mov_b32 v47, v39
	s_delay_alu instid0(SALU_CYCLE_1)
	s_mul_i32 s4, s4, s0
	v_dual_mov_b32 v44, v39 :: v_dual_mov_b32 v45, v39
	v_dual_mov_b32 v42, v39 :: v_dual_mov_b32 v43, v39
	;; [unrolled: 1-line block ×3, first 2 shown]
	s_sub_co_i32 s24, s33, s5
	s_mov_b32 s5, 0
	s_mul_hi_u32 s4, s0, s4
	s_ashr_i32 s3, s9, 31
	s_mov_b32 s2, s9
	s_add_co_i32 s9, s31, -1
	s_mov_b32 s16, s29
	s_add_co_i32 s4, s0, s4
	s_mov_b32 s17, s5
	s_branch .LBB36_45
.LBB36_43:                              ;   in Loop: Header=BB36_45 Depth=1
	s_or_b32 exec_lo, exec_lo, s0
	s_wait_loadcnt_dscnt 0x200
	v_mul_f32_e32 v26, v6, v26
	s_wait_loadcnt 0x1
	v_mul_f32_e32 v30, v6, v30
	v_mul_f32_e32 v18, v6, v18
	s_delay_alu instid0(VALU_DEP_3) | instskip(NEXT) | instid1(VALU_DEP_3)
	v_dual_mul_f32 v10, v6, v10 :: v_dual_fmac_f32 v26, v7, v27
	v_dual_fmac_f32 v30, v7, v31 :: v_dual_mul_f32 v60, v6, v22
	s_delay_alu instid0(VALU_DEP_3) | instskip(NEXT) | instid1(VALU_DEP_3)
	v_dual_mul_f32 v14, v6, v14 :: v_dual_fmac_f32 v18, v7, v19
	v_fmac_f32_e32 v26, v8, v28
	s_delay_alu instid0(VALU_DEP_3) | instskip(SKIP_3) | instid1(VALU_DEP_3)
	v_dual_fmac_f32 v30, v8, v32 :: v_dual_fmac_f32 v60, v7, v23
	s_wait_loadcnt 0x0
	v_pk_mul_f32 v[22:23], v[6:7], v[34:35]
	v_fmac_f32_e32 v18, v8, v20
	v_dual_fmac_f32 v30, v9, v33 :: v_dual_fmac_f32 v60, v8, v24
	v_dual_mul_f32 v24, v6, v2 :: v_dual_fmac_f32 v26, v9, v29
	s_delay_alu instid0(VALU_DEP_2) | instskip(NEXT) | instid1(VALU_DEP_2)
	v_dual_add_f32 v40, v40, v30 :: v_dual_fmac_f32 v60, v9, v25
	v_fmac_f32_e32 v24, v7, v3
	v_fmac_f32_e32 v14, v7, v15
	v_pk_mul_f32 v[2:3], v[8:9], v[36:37]
	s_delay_alu instid0(VALU_DEP_4) | instskip(NEXT) | instid1(VALU_DEP_4)
	v_dual_add_f32 v43, v43, v26 :: v_dual_add_f32 v42, v42, v60
	v_dual_fmac_f32 v24, v8, v4 :: v_dual_add_f32 v6, v23, v22
	s_delay_alu instid0(VALU_DEP_4) | instskip(NEXT) | instid1(VALU_DEP_2)
	v_fmac_f32_e32 v14, v8, v16
	v_dual_fmac_f32 v10, v7, v11 :: v_dual_fmac_f32 v24, v9, v5
	s_delay_alu instid0(VALU_DEP_3) | instskip(NEXT) | instid1(VALU_DEP_2)
	v_dual_add_f32 v2, v2, v6 :: v_dual_fmac_f32 v18, v9, v21
	v_fmac_f32_e32 v10, v8, v12
	s_delay_alu instid0(VALU_DEP_2) | instskip(NEXT) | instid1(VALU_DEP_3)
	v_dual_add_f32 v46, v46, v24 :: v_dual_add_f32 v2, v3, v2
	v_add_f32_e32 v45, v45, v18
	s_delay_alu instid0(VALU_DEP_3) | instskip(SKIP_1) | instid1(VALU_DEP_4)
	v_fmac_f32_e32 v10, v9, v13
	v_fmac_f32_e32 v14, v9, v17
	v_add_f32_e32 v41, v41, v2
	s_delay_alu instid0(VALU_DEP_3) | instskip(NEXT) | instid1(VALU_DEP_3)
	v_add_f32_e32 v47, v47, v10
	v_add_f32_e32 v44, v44, v14
.LBB36_44:                              ;   in Loop: Header=BB36_45 Depth=1
	s_or_b32 exec_lo, exec_lo, s18
	v_add_nc_u32_e32 v59, 4, v59
	v_add_nc_u64_e32 v[50:51], 16, v[50:51]
	v_add_nc_u32_e32 v38, 0x80, v38
	v_add_nc_u32_e32 v58, 0x200, v58
	s_delay_alu instid0(VALU_DEP_4) | instskip(SKIP_1) | instid1(SALU_CYCLE_1)
	v_cmp_le_i32_e32 vcc_lo, s31, v59
	s_or_b32 s17, vcc_lo, s17
	s_and_not1_b32 exec_lo, exec_lo, s17
	s_cbranch_execz .LBB36_62
.LBB36_45:                              ; =>This Inner Loop Header: Depth=1
	v_mul_u64_e32 v[2:3], s[14:15], v[38:39]
	s_delay_alu instid0(VALU_DEP_1) | instskip(NEXT) | instid1(VALU_DEP_1)
	v_mul_lo_u32 v2, v3, s8
	v_dual_add_nc_u32 v4, 1, v3 :: v_dual_sub_nc_u32 v2, v38, v2
	s_delay_alu instid0(VALU_DEP_1) | instskip(SKIP_1) | instid1(VALU_DEP_2)
	v_subrev_nc_u32_e32 v5, s8, v2
	v_cmp_le_u32_e32 vcc_lo, s8, v2
	v_dual_cndmask_b32 v3, v3, v4 :: v_dual_cndmask_b32 v2, v2, v5
	s_delay_alu instid0(VALU_DEP_1) | instskip(NEXT) | instid1(VALU_DEP_2)
	v_add_nc_u32_e32 v4, 1, v3
	v_cmp_le_u32_e32 vcc_lo, s8, v2
	s_delay_alu instid0(VALU_DEP_2) | instskip(NEXT) | instid1(VALU_DEP_1)
	v_cndmask_b32_e32 v2, v3, v4, vcc_lo
	v_dual_mov_b32 v3, v39 :: v_dual_bitop2_b32 v2, s30, v2 bitop3:0x14
	s_delay_alu instid0(VALU_DEP_1) | instskip(NEXT) | instid1(VALU_DEP_1)
	v_subrev_nc_u32_e32 v6, s30, v2
	v_add_nc_u32_e32 v7, s13, v6
	v_cmp_lt_i32_e64 s0, s24, v6
	s_delay_alu instid0(VALU_DEP_2) | instskip(NEXT) | instid1(VALU_DEP_1)
	v_sub_nc_u32_e32 v2, 0, v7
	v_max_i32_e32 v2, v7, v2
	s_delay_alu instid0(VALU_DEP_1) | instskip(SKIP_1) | instid1(VALU_DEP_2)
	v_mul_u64_e32 v[4:5], s[4:5], v[2:3]
	v_ashrrev_i32_e32 v4, 31, v7
	v_mul_lo_u32 v3, v5, s6
	s_delay_alu instid0(VALU_DEP_1) | instskip(NEXT) | instid1(VALU_DEP_1)
	v_sub_nc_u32_e32 v2, v2, v3
	v_subrev_nc_u32_e32 v3, s6, v2
	v_cmp_le_u32_e32 vcc_lo, s6, v2
	s_delay_alu instid0(VALU_DEP_2) | instskip(NEXT) | instid1(VALU_DEP_1)
	v_cndmask_b32_e32 v2, v2, v3, vcc_lo
	v_subrev_nc_u32_e32 v3, s6, v2
	v_cmp_le_u32_e32 vcc_lo, s6, v2
	s_delay_alu instid0(VALU_DEP_2) | instskip(NEXT) | instid1(VALU_DEP_1)
	v_cndmask_b32_e32 v2, v2, v3, vcc_lo
	v_xor_b32_e32 v2, v2, v4
	s_delay_alu instid0(VALU_DEP_1) | instskip(NEXT) | instid1(VALU_DEP_1)
	v_sub_nc_u32_e32 v2, v2, v4
	v_cmp_eq_u32_e32 vcc_lo, 0, v2
	s_or_b32 s0, vcc_lo, s0
	s_delay_alu instid0(SALU_CYCLE_1)
	s_and_saveexec_b32 s18, s0
	s_cbranch_execz .LBB36_44
; %bb.46:                               ;   in Loop: Header=BB36_45 Depth=1
	global_load_b32 v2, v[50:51], off
	v_add_nc_u32_e32 v60, v57, v38
	ds_load_b128 v[6:9], v58
	v_cmp_eq_u32_e32 vcc_lo, s9, v59
	v_or_b32_e32 v62, 3, v60
	v_dual_add_nc_u32 v63, 1, v60 :: v_dual_bitop2_b32 v61, 2, v60 bitop3:0x54
	s_wait_loadcnt 0x0
	v_ashrrev_i32_e32 v3, 31, v2
	s_delay_alu instid0(VALU_DEP_1) | instskip(NEXT) | instid1(VALU_DEP_1)
	v_mul_u64_e32 v[2:3], s[2:3], v[2:3]
	v_lshl_add_u64 v[34:35], v[2:3], 2, v[48:49]
	global_load_b128 v[2:5], v[34:35], off
	s_wait_xcnt 0x0
	s_and_saveexec_b32 s19, vcc_lo
	s_cbranch_execnz .LBB36_54
; %bb.47:                               ;   in Loop: Header=BB36_45 Depth=1
	s_or_b32 exec_lo, exec_lo, s19
	global_load_b128 v[10:13], v[34:35], off offset:512
	s_wait_xcnt 0x0
	s_and_saveexec_b32 s19, vcc_lo
	s_cbranch_execnz .LBB36_55
.LBB36_48:                              ;   in Loop: Header=BB36_45 Depth=1
	s_or_b32 exec_lo, exec_lo, s19
	global_load_b128 v[14:17], v[34:35], off offset:1024
	s_wait_xcnt 0x0
	s_and_saveexec_b32 s19, vcc_lo
	s_cbranch_execnz .LBB36_56
.LBB36_49:                              ;   in Loop: Header=BB36_45 Depth=1
	s_or_b32 exec_lo, exec_lo, s19
	global_load_b128 v[18:21], v[34:35], off offset:1536
	s_wait_xcnt 0x0
	s_and_saveexec_b32 s19, vcc_lo
	s_cbranch_execnz .LBB36_57
.LBB36_50:                              ;   in Loop: Header=BB36_45 Depth=1
	s_or_b32 exec_lo, exec_lo, s19
	global_load_b128 v[22:25], v[34:35], off offset:2048
	s_wait_xcnt 0x0
	s_and_saveexec_b32 s19, vcc_lo
	s_cbranch_execnz .LBB36_58
.LBB36_51:                              ;   in Loop: Header=BB36_45 Depth=1
	s_or_b32 exec_lo, exec_lo, s19
	global_load_b128 v[26:29], v[34:35], off offset:2560
	s_wait_xcnt 0x0
	s_and_saveexec_b32 s19, vcc_lo
	s_cbranch_execnz .LBB36_59
.LBB36_52:                              ;   in Loop: Header=BB36_45 Depth=1
	s_or_b32 exec_lo, exec_lo, s19
	global_load_b128 v[30:33], v[34:35], off offset:3072
	s_wait_xcnt 0x0
	s_and_saveexec_b32 s19, vcc_lo
	s_cbranch_execnz .LBB36_60
.LBB36_53:                              ;   in Loop: Header=BB36_45 Depth=1
	s_or_b32 exec_lo, exec_lo, s19
	global_load_b128 v[34:37], v[34:35], off offset:3584
	s_wait_xcnt 0x0
	s_and_saveexec_b32 s0, vcc_lo
	s_cbranch_execz .LBB36_43
	s_branch .LBB36_61
.LBB36_54:                              ;   in Loop: Header=BB36_45 Depth=1
	v_cmp_gt_i32_e64 s0, s16, v63
	s_wait_loadcnt 0x0
	s_delay_alu instid0(VALU_DEP_1) | instskip(SKIP_1) | instid1(VALU_DEP_1)
	v_cndmask_b32_e64 v3, 0, v3, s0
	v_cmp_gt_i32_e64 s0, s29, v60
	v_cndmask_b32_e64 v2, 0, v2, s0
	v_cmp_gt_i32_e64 s0, s16, v62
	s_delay_alu instid0(VALU_DEP_1) | instskip(SKIP_1) | instid1(VALU_DEP_1)
	v_cndmask_b32_e64 v5, 0, v5, s0
	v_cmp_gt_i32_e64 s0, s29, v61
	v_cndmask_b32_e64 v4, 0, v4, s0
	s_or_b32 exec_lo, exec_lo, s19
	global_load_b128 v[10:13], v[34:35], off offset:512
	s_wait_xcnt 0x0
	s_and_saveexec_b32 s19, vcc_lo
	s_cbranch_execz .LBB36_48
.LBB36_55:                              ;   in Loop: Header=BB36_45 Depth=1
	v_cmp_gt_i32_e64 s0, s16, v63
	s_wait_loadcnt 0x0
	s_delay_alu instid0(VALU_DEP_1) | instskip(SKIP_1) | instid1(VALU_DEP_1)
	v_cndmask_b32_e64 v11, 0, v11, s0
	v_cmp_gt_i32_e64 s0, s29, v60
	v_cndmask_b32_e64 v10, 0, v10, s0
	v_cmp_gt_i32_e64 s0, s16, v62
	s_delay_alu instid0(VALU_DEP_1) | instskip(SKIP_1) | instid1(VALU_DEP_1)
	v_cndmask_b32_e64 v13, 0, v13, s0
	v_cmp_gt_i32_e64 s0, s29, v61
	v_cndmask_b32_e64 v12, 0, v12, s0
	s_or_b32 exec_lo, exec_lo, s19
	global_load_b128 v[14:17], v[34:35], off offset:1024
	s_wait_xcnt 0x0
	s_and_saveexec_b32 s19, vcc_lo
	s_cbranch_execz .LBB36_49
.LBB36_56:                              ;   in Loop: Header=BB36_45 Depth=1
	v_cmp_gt_i32_e64 s0, s16, v63
	s_wait_loadcnt 0x0
	s_delay_alu instid0(VALU_DEP_1) | instskip(SKIP_1) | instid1(VALU_DEP_1)
	v_cndmask_b32_e64 v15, 0, v15, s0
	v_cmp_gt_i32_e64 s0, s29, v60
	v_cndmask_b32_e64 v14, 0, v14, s0
	v_cmp_gt_i32_e64 s0, s16, v62
	s_delay_alu instid0(VALU_DEP_1) | instskip(SKIP_1) | instid1(VALU_DEP_1)
	v_cndmask_b32_e64 v17, 0, v17, s0
	v_cmp_gt_i32_e64 s0, s29, v61
	v_cndmask_b32_e64 v16, 0, v16, s0
	s_or_b32 exec_lo, exec_lo, s19
	global_load_b128 v[18:21], v[34:35], off offset:1536
	s_wait_xcnt 0x0
	s_and_saveexec_b32 s19, vcc_lo
	s_cbranch_execz .LBB36_50
.LBB36_57:                              ;   in Loop: Header=BB36_45 Depth=1
	v_cmp_gt_i32_e64 s0, s16, v63
	s_wait_loadcnt 0x0
	s_delay_alu instid0(VALU_DEP_1) | instskip(SKIP_1) | instid1(VALU_DEP_1)
	v_cndmask_b32_e64 v19, 0, v19, s0
	v_cmp_gt_i32_e64 s0, s29, v60
	v_cndmask_b32_e64 v18, 0, v18, s0
	v_cmp_gt_i32_e64 s0, s16, v62
	s_delay_alu instid0(VALU_DEP_1) | instskip(SKIP_1) | instid1(VALU_DEP_1)
	v_cndmask_b32_e64 v21, 0, v21, s0
	v_cmp_gt_i32_e64 s0, s29, v61
	v_cndmask_b32_e64 v20, 0, v20, s0
	s_or_b32 exec_lo, exec_lo, s19
	global_load_b128 v[22:25], v[34:35], off offset:2048
	s_wait_xcnt 0x0
	s_and_saveexec_b32 s19, vcc_lo
	s_cbranch_execz .LBB36_51
.LBB36_58:                              ;   in Loop: Header=BB36_45 Depth=1
	v_cmp_gt_i32_e64 s0, s16, v63
	s_wait_loadcnt 0x0
	s_delay_alu instid0(VALU_DEP_1) | instskip(SKIP_1) | instid1(VALU_DEP_1)
	v_cndmask_b32_e64 v23, 0, v23, s0
	v_cmp_gt_i32_e64 s0, s29, v60
	v_cndmask_b32_e64 v22, 0, v22, s0
	v_cmp_gt_i32_e64 s0, s16, v62
	s_delay_alu instid0(VALU_DEP_1) | instskip(SKIP_1) | instid1(VALU_DEP_1)
	v_cndmask_b32_e64 v25, 0, v25, s0
	v_cmp_gt_i32_e64 s0, s29, v61
	v_cndmask_b32_e64 v24, 0, v24, s0
	s_or_b32 exec_lo, exec_lo, s19
	global_load_b128 v[26:29], v[34:35], off offset:2560
	s_wait_xcnt 0x0
	s_and_saveexec_b32 s19, vcc_lo
	s_cbranch_execz .LBB36_52
.LBB36_59:                              ;   in Loop: Header=BB36_45 Depth=1
	v_cmp_gt_i32_e64 s0, s16, v63
	s_wait_loadcnt 0x0
	s_delay_alu instid0(VALU_DEP_1) | instskip(SKIP_1) | instid1(VALU_DEP_1)
	v_cndmask_b32_e64 v27, 0, v27, s0
	v_cmp_gt_i32_e64 s0, s29, v60
	v_cndmask_b32_e64 v26, 0, v26, s0
	v_cmp_gt_i32_e64 s0, s16, v62
	s_delay_alu instid0(VALU_DEP_1) | instskip(SKIP_1) | instid1(VALU_DEP_1)
	v_cndmask_b32_e64 v29, 0, v29, s0
	v_cmp_gt_i32_e64 s0, s29, v61
	v_cndmask_b32_e64 v28, 0, v28, s0
	s_or_b32 exec_lo, exec_lo, s19
	global_load_b128 v[30:33], v[34:35], off offset:3072
	s_wait_xcnt 0x0
	s_and_saveexec_b32 s19, vcc_lo
	s_cbranch_execz .LBB36_53
.LBB36_60:                              ;   in Loop: Header=BB36_45 Depth=1
	v_cmp_gt_i32_e64 s0, s16, v63
	s_wait_loadcnt 0x0
	s_delay_alu instid0(VALU_DEP_1) | instskip(SKIP_1) | instid1(VALU_DEP_1)
	v_cndmask_b32_e64 v31, 0, v31, s0
	v_cmp_gt_i32_e64 s0, s29, v60
	v_cndmask_b32_e64 v30, 0, v30, s0
	v_cmp_gt_i32_e64 s0, s16, v62
	s_delay_alu instid0(VALU_DEP_1) | instskip(SKIP_1) | instid1(VALU_DEP_1)
	v_cndmask_b32_e64 v33, 0, v33, s0
	v_cmp_gt_i32_e64 s0, s29, v61
	v_cndmask_b32_e64 v32, 0, v32, s0
	s_or_b32 exec_lo, exec_lo, s19
	global_load_b128 v[34:37], v[34:35], off offset:3584
	s_wait_xcnt 0x0
	s_and_saveexec_b32 s0, vcc_lo
	s_cbranch_execz .LBB36_43
.LBB36_61:                              ;   in Loop: Header=BB36_45 Depth=1
	v_cmp_gt_i32_e32 vcc_lo, s16, v63
	s_wait_loadcnt 0x0
	v_cndmask_b32_e32 v35, 0, v35, vcc_lo
	v_cmp_gt_i32_e32 vcc_lo, s29, v60
	v_cndmask_b32_e32 v34, 0, v34, vcc_lo
	v_cmp_gt_i32_e32 vcc_lo, s16, v62
	v_cndmask_b32_e32 v37, 0, v37, vcc_lo
	v_cmp_gt_i32_e32 vcc_lo, s29, v61
	v_cndmask_b32_e32 v36, 0, v36, vcc_lo
	s_branch .LBB36_43
.LBB36_62:
	s_or_b32 exec_lo, exec_lo, s17
.LBB36_63:
	s_delay_alu instid0(SALU_CYCLE_1)
	s_or_b32 exec_lo, exec_lo, s1
	ds_bpermute_b32 v2, v55, v46
	ds_bpermute_b32 v3, v55, v47
	;; [unrolled: 1-line block ×8, first 2 shown]
	s_mov_b32 s0, exec_lo
	s_wait_dscnt 0x0
	s_barrier_signal -1
	s_barrier_wait -1
	v_pk_add_f32 v[2:3], v[46:47], v[2:3]
	v_pk_add_f32 v[4:5], v[44:45], v[4:5]
	;; [unrolled: 1-line block ×3, first 2 shown]
	ds_bpermute_b32 v10, v54, v2
	v_pk_add_f32 v[8:9], v[40:41], v[8:9]
	ds_bpermute_b32 v11, v54, v3
	ds_bpermute_b32 v12, v54, v4
	ds_bpermute_b32 v13, v54, v5
	ds_bpermute_b32 v14, v54, v6
	ds_bpermute_b32 v15, v54, v7
	ds_bpermute_b32 v16, v54, v8
	ds_bpermute_b32 v17, v54, v9
	s_wait_dscnt 0x6
	v_pk_add_f32 v[2:3], v[2:3], v[10:11]
	s_wait_dscnt 0x4
	v_pk_add_f32 v[4:5], v[4:5], v[12:13]
	v_and_b32_e32 v13, 0x3c7, v0
	s_wait_dscnt 0x2
	v_pk_add_f32 v[14:15], v[6:7], v[14:15]
	ds_bpermute_b32 v6, v53, v2
	s_wait_dscnt 0x1
	v_pk_add_f32 v[8:9], v[8:9], v[16:17]
	ds_bpermute_b32 v7, v53, v3
	ds_bpermute_b32 v16, v53, v4
	;; [unrolled: 1-line block ×7, first 2 shown]
	v_lshrrev_b32_e32 v12, 3, v52
	s_wait_dscnt 0x6
	v_pk_add_f32 v[6:7], v[2:3], v[6:7]
	s_wait_dscnt 0x4
	v_pk_add_f32 v[4:5], v[4:5], v[16:17]
	;; [unrolled: 2-line block ×3, first 2 shown]
	v_cmpx_ne_u32_e32 64, v13
	s_xor_b32 s0, exec_lo, s0
; %bb.64:
                                        ; implicit-def: $vgpr1
; %bb.65:
	s_delay_alu instid0(SALU_CYCLE_1)
	s_or_saveexec_b32 s0, s0
	s_wait_dscnt 0x0
	v_pk_add_f32 v[8:9], v[8:9], v[10:11]
	v_lshl_add_u32 v10, v12, 2, 0xa0
	s_xor_b32 exec_lo, exec_lo, s0
	s_cbranch_execz .LBB36_67
; %bb.66:
	s_delay_alu instid0(VALU_DEP_1) | instskip(NEXT) | instid1(VALU_DEP_1)
	v_lshl_add_u32 v1, v1, 7, v10
	v_add_nc_u32_e32 v11, 0xffffff00, v1
	v_add_nc_u32_e32 v13, 0xffffff10, v1
	;; [unrolled: 1-line block ×8, first 2 shown]
	ds_store_b32 v11, v6
	ds_store_b32 v13, v7
	;; [unrolled: 1-line block ×8, first 2 shown]
.LBB36_67:
	s_or_b32 exec_lo, exec_lo, s0
	v_and_b32_e32 v1, 0x3e0, v0
	v_lshlrev_b32_e32 v11, 2, v12
	s_mov_b32 s1, exec_lo
	v_cmp_eq_u32_e32 vcc_lo, 0, v56
	s_wait_dscnt 0x0
	v_lshlrev_b32_e32 v1, 2, v1
	s_barrier_signal -1
	s_barrier_wait -1
	s_delay_alu instid0(VALU_DEP_1)
	v_add3_u32 v1, 0xa0, v1, v11
	v_cmpx_gt_u32_e32 64, v0
	s_cbranch_execz .LBB36_78
; %bb.68:
	s_and_saveexec_b32 s0, vcc_lo
	s_cbranch_execnz .LBB36_94
; %bb.69:
	s_or_b32 exec_lo, exec_lo, s0
	s_and_saveexec_b32 s0, vcc_lo
	s_cbranch_execnz .LBB36_95
.LBB36_70:
	s_or_b32 exec_lo, exec_lo, s0
	s_and_saveexec_b32 s0, vcc_lo
	s_cbranch_execnz .LBB36_96
.LBB36_71:
	s_or_b32 exec_lo, exec_lo, s0
	s_and_saveexec_b32 s0, vcc_lo
	s_cbranch_execnz .LBB36_97
.LBB36_72:
	s_or_b32 exec_lo, exec_lo, s0
	s_and_saveexec_b32 s0, vcc_lo
	s_cbranch_execnz .LBB36_98
.LBB36_73:
	s_or_b32 exec_lo, exec_lo, s0
	s_and_saveexec_b32 s0, vcc_lo
	s_cbranch_execnz .LBB36_99
.LBB36_74:
	s_or_b32 exec_lo, exec_lo, s0
	s_and_saveexec_b32 s0, vcc_lo
	s_cbranch_execnz .LBB36_100
.LBB36_75:
	s_or_b32 exec_lo, exec_lo, s0
	s_and_saveexec_b32 s0, vcc_lo
	s_cbranch_execz .LBB36_77
.LBB36_76:
	ds_load_b32 v11, v1 offset:112
	s_wait_dscnt 0x0
	v_add_f32_e32 v9, v9, v11
.LBB36_77:
	s_or_b32 exec_lo, exec_lo, s0
.LBB36_78:
	s_delay_alu instid0(SALU_CYCLE_1) | instskip(SKIP_4) | instid1(VALU_DEP_1)
	s_or_b32 exec_lo, exec_lo, s1
	v_and_b32_e32 v11, 0x3e7, v0
	s_mov_b32 s1, exec_lo
	s_barrier_signal -1
	s_barrier_wait -1
	v_cmpx_eq_u32_e32 32, v11
	s_cbranch_execz .LBB36_80
; %bb.79:
	ds_store_2addr_b32 v10, v6, v7 offset1:4
	ds_store_2addr_b32 v10, v4, v5 offset0:8 offset1:12
	ds_store_2addr_b32 v10, v2, v3 offset0:16 offset1:20
	;; [unrolled: 1-line block ×3, first 2 shown]
.LBB36_80:
	s_or_b32 exec_lo, exec_lo, s1
	s_delay_alu instid0(SALU_CYCLE_1)
	s_mov_b32 s1, exec_lo
	s_wait_dscnt 0x0
	s_barrier_signal -1
	s_barrier_wait -1
	v_cmpx_gt_u32_e32 32, v0
	s_cbranch_execz .LBB36_91
; %bb.81:
	s_and_saveexec_b32 s0, vcc_lo
	s_cbranch_execnz .LBB36_101
; %bb.82:
	s_or_b32 exec_lo, exec_lo, s0
	s_and_saveexec_b32 s0, vcc_lo
	s_cbranch_execnz .LBB36_102
.LBB36_83:
	s_or_b32 exec_lo, exec_lo, s0
	s_and_saveexec_b32 s0, vcc_lo
	s_cbranch_execnz .LBB36_103
.LBB36_84:
	s_or_b32 exec_lo, exec_lo, s0
	s_and_saveexec_b32 s0, vcc_lo
	s_cbranch_execnz .LBB36_104
.LBB36_85:
	s_or_b32 exec_lo, exec_lo, s0
	s_and_saveexec_b32 s0, vcc_lo
	s_cbranch_execnz .LBB36_105
.LBB36_86:
	s_or_b32 exec_lo, exec_lo, s0
	s_and_saveexec_b32 s0, vcc_lo
	s_cbranch_execnz .LBB36_106
.LBB36_87:
	s_or_b32 exec_lo, exec_lo, s0
	s_and_saveexec_b32 s0, vcc_lo
	s_cbranch_execnz .LBB36_107
.LBB36_88:
	s_or_b32 exec_lo, exec_lo, s0
	s_and_saveexec_b32 s0, vcc_lo
	s_cbranch_execz .LBB36_90
.LBB36_89:
	ds_load_b32 v1, v1 offset:112
	s_wait_dscnt 0x0
	v_add_f32_e32 v9, v9, v1
.LBB36_90:
	s_or_b32 exec_lo, exec_lo, s0
.LBB36_91:
	s_delay_alu instid0(SALU_CYCLE_1)
	s_or_b32 exec_lo, exec_lo, s1
	s_mov_b32 s1, 0
	s_barrier_signal -1
	s_barrier_wait -1
	s_mov_b32 s0, exec_lo
	v_cmpx_eq_u32_e32 0, v11
	s_cbranch_execz .LBB36_93
; %bb.92:
	s_mul_i32 s0, s28, s7
	s_mul_i32 s2, s7, s12
	;; [unrolled: 1-line block ×3, first 2 shown]
	s_lshr_b32 s6, ttmp7, 16
	s_lshl_b32 s4, s0, 5
	s_bfe_u32 s0, ttmp6, 0x40014
	s_ashr_i32 s5, s4, 31
	s_add_co_i32 s0, s0, 1
	s_ashr_i32 s3, s2, 31
	s_mul_i32 s0, s6, s0
	s_bfe_u32 s7, ttmp6, 0x40008
	s_lshl_b64 s[4:5], s[4:5], 2
	s_lshl_b64 s[2:3], s[2:3], 2
	s_add_co_i32 s7, s7, s0
	s_cmp_eq_u32 s26, 0
	s_wait_kmcnt 0x0
	s_add_nc_u64 s[4:5], s[10:11], s[4:5]
	s_cselect_b32 s0, s6, s7
	v_lshrrev_b32_e32 v0, 1, v0
	s_add_nc_u64 s[2:3], s[4:5], s[2:3]
	s_lshl_b32 s0, s0, 7
	s_delay_alu instid0(SALU_CYCLE_1)
	s_add_nc_u64 s[0:1], s[2:3], s[0:1]
	s_clause 0x7
	global_store_b32 v0, v6, s[0:1]
	global_store_b32 v0, v7, s[0:1] offset:16
	global_store_b32 v0, v4, s[0:1] offset:32
	;; [unrolled: 1-line block ×7, first 2 shown]
.LBB36_93:
	s_sendmsg sendmsg(MSG_DEALLOC_VGPRS)
	s_endpgm
.LBB36_94:
	ds_load_b32 v11, v1
	s_wait_dscnt 0x0
	v_add_f32_e32 v6, v6, v11
	s_or_b32 exec_lo, exec_lo, s0
	s_and_saveexec_b32 s0, vcc_lo
	s_cbranch_execz .LBB36_70
.LBB36_95:
	ds_load_b32 v11, v1 offset:16
	s_wait_dscnt 0x0
	v_add_f32_e32 v7, v7, v11
	s_or_b32 exec_lo, exec_lo, s0
	s_and_saveexec_b32 s0, vcc_lo
	s_cbranch_execz .LBB36_71
.LBB36_96:
	ds_load_b32 v11, v1 offset:32
	s_wait_dscnt 0x0
	v_add_f32_e32 v4, v4, v11
	s_or_b32 exec_lo, exec_lo, s0
	s_and_saveexec_b32 s0, vcc_lo
	s_cbranch_execz .LBB36_72
.LBB36_97:
	ds_load_b32 v11, v1 offset:48
	s_wait_dscnt 0x0
	v_add_f32_e32 v5, v5, v11
	s_or_b32 exec_lo, exec_lo, s0
	s_and_saveexec_b32 s0, vcc_lo
	s_cbranch_execz .LBB36_73
.LBB36_98:
	ds_load_b32 v11, v1 offset:64
	s_wait_dscnt 0x0
	v_add_f32_e32 v2, v2, v11
	s_or_b32 exec_lo, exec_lo, s0
	s_and_saveexec_b32 s0, vcc_lo
	s_cbranch_execz .LBB36_74
.LBB36_99:
	ds_load_b32 v11, v1 offset:80
	s_wait_dscnt 0x0
	v_add_f32_e32 v3, v3, v11
	s_or_b32 exec_lo, exec_lo, s0
	s_and_saveexec_b32 s0, vcc_lo
	s_cbranch_execz .LBB36_75
.LBB36_100:
	ds_load_b32 v11, v1 offset:96
	s_wait_dscnt 0x0
	v_add_f32_e32 v8, v8, v11
	s_or_b32 exec_lo, exec_lo, s0
	s_and_saveexec_b32 s0, vcc_lo
	s_cbranch_execnz .LBB36_76
	s_branch .LBB36_77
.LBB36_101:
	ds_load_b32 v10, v1
	s_wait_dscnt 0x0
	v_add_f32_e32 v6, v6, v10
	s_or_b32 exec_lo, exec_lo, s0
	s_and_saveexec_b32 s0, vcc_lo
	s_cbranch_execz .LBB36_83
.LBB36_102:
	ds_load_b32 v10, v1 offset:16
	s_wait_dscnt 0x0
	v_add_f32_e32 v7, v7, v10
	s_or_b32 exec_lo, exec_lo, s0
	s_and_saveexec_b32 s0, vcc_lo
	s_cbranch_execz .LBB36_84
.LBB36_103:
	ds_load_b32 v10, v1 offset:32
	s_wait_dscnt 0x0
	v_add_f32_e32 v4, v4, v10
	s_or_b32 exec_lo, exec_lo, s0
	s_and_saveexec_b32 s0, vcc_lo
	s_cbranch_execz .LBB36_85
.LBB36_104:
	ds_load_b32 v10, v1 offset:48
	s_wait_dscnt 0x0
	v_add_f32_e32 v5, v5, v10
	s_or_b32 exec_lo, exec_lo, s0
	s_and_saveexec_b32 s0, vcc_lo
	s_cbranch_execz .LBB36_86
.LBB36_105:
	ds_load_b32 v10, v1 offset:64
	s_wait_dscnt 0x0
	v_add_f32_e32 v2, v2, v10
	s_or_b32 exec_lo, exec_lo, s0
	s_and_saveexec_b32 s0, vcc_lo
	s_cbranch_execz .LBB36_87
.LBB36_106:
	ds_load_b32 v10, v1 offset:80
	s_wait_dscnt 0x0
	v_add_f32_e32 v3, v3, v10
	s_or_b32 exec_lo, exec_lo, s0
	s_and_saveexec_b32 s0, vcc_lo
	s_cbranch_execz .LBB36_88
.LBB36_107:
	ds_load_b32 v10, v1 offset:96
	s_wait_dscnt 0x0
	v_add_f32_e32 v8, v8, v10
	s_or_b32 exec_lo, exec_lo, s0
	s_and_saveexec_b32 s0, vcc_lo
	s_cbranch_execnz .LBB36_89
	s_branch .LBB36_90
	.section	.rodata,"a",@progbits
	.p2align	6, 0x0
	.amdhsa_kernel _ZN4vllm25paged_attention_v1_kernelIffLi32ELi32ELi128ELNS_18Fp8KVCacheDataTypeE0ELb1EEEvPT_PKS2_PKT0_S8_ifPKiSA_iPKfiiiSC_SC_iiiii
		.amdhsa_group_segment_fixed_size 160
		.amdhsa_private_segment_fixed_size 0
		.amdhsa_kernarg_size 384
		.amdhsa_user_sgpr_count 2
		.amdhsa_user_sgpr_dispatch_ptr 0
		.amdhsa_user_sgpr_queue_ptr 0
		.amdhsa_user_sgpr_kernarg_segment_ptr 1
		.amdhsa_user_sgpr_dispatch_id 0
		.amdhsa_user_sgpr_kernarg_preload_length 0
		.amdhsa_user_sgpr_kernarg_preload_offset 0
		.amdhsa_user_sgpr_private_segment_size 0
		.amdhsa_wavefront_size32 1
		.amdhsa_uses_dynamic_stack 0
		.amdhsa_enable_private_segment 0
		.amdhsa_system_sgpr_workgroup_id_x 1
		.amdhsa_system_sgpr_workgroup_id_y 1
		.amdhsa_system_sgpr_workgroup_id_z 1
		.amdhsa_system_sgpr_workgroup_info 0
		.amdhsa_system_vgpr_workitem_id 0
		.amdhsa_next_free_vgpr 70
		.amdhsa_next_free_sgpr 38
		.amdhsa_named_barrier_count 0
		.amdhsa_reserve_vcc 1
		.amdhsa_float_round_mode_32 0
		.amdhsa_float_round_mode_16_64 0
		.amdhsa_float_denorm_mode_32 3
		.amdhsa_float_denorm_mode_16_64 3
		.amdhsa_fp16_overflow 0
		.amdhsa_memory_ordered 1
		.amdhsa_forward_progress 1
		.amdhsa_inst_pref_size 54
		.amdhsa_round_robin_scheduling 0
		.amdhsa_exception_fp_ieee_invalid_op 0
		.amdhsa_exception_fp_denorm_src 0
		.amdhsa_exception_fp_ieee_div_zero 0
		.amdhsa_exception_fp_ieee_overflow 0
		.amdhsa_exception_fp_ieee_underflow 0
		.amdhsa_exception_fp_ieee_inexact 0
		.amdhsa_exception_int_div_zero 0
	.end_amdhsa_kernel
	.section	.text._ZN4vllm25paged_attention_v1_kernelIffLi32ELi32ELi128ELNS_18Fp8KVCacheDataTypeE0ELb1EEEvPT_PKS2_PKT0_S8_ifPKiSA_iPKfiiiSC_SC_iiiii,"axG",@progbits,_ZN4vllm25paged_attention_v1_kernelIffLi32ELi32ELi128ELNS_18Fp8KVCacheDataTypeE0ELb1EEEvPT_PKS2_PKT0_S8_ifPKiSA_iPKfiiiSC_SC_iiiii,comdat
.Lfunc_end36:
	.size	_ZN4vllm25paged_attention_v1_kernelIffLi32ELi32ELi128ELNS_18Fp8KVCacheDataTypeE0ELb1EEEvPT_PKS2_PKT0_S8_ifPKiSA_iPKfiiiSC_SC_iiiii, .Lfunc_end36-_ZN4vllm25paged_attention_v1_kernelIffLi32ELi32ELi128ELNS_18Fp8KVCacheDataTypeE0ELb1EEEvPT_PKS2_PKT0_S8_ifPKiSA_iPKfiiiSC_SC_iiiii
                                        ; -- End function
	.set _ZN4vllm25paged_attention_v1_kernelIffLi32ELi32ELi128ELNS_18Fp8KVCacheDataTypeE0ELb1EEEvPT_PKS2_PKT0_S8_ifPKiSA_iPKfiiiSC_SC_iiiii.num_vgpr, 70
	.set _ZN4vllm25paged_attention_v1_kernelIffLi32ELi32ELi128ELNS_18Fp8KVCacheDataTypeE0ELb1EEEvPT_PKS2_PKT0_S8_ifPKiSA_iPKfiiiSC_SC_iiiii.num_agpr, 0
	.set _ZN4vllm25paged_attention_v1_kernelIffLi32ELi32ELi128ELNS_18Fp8KVCacheDataTypeE0ELb1EEEvPT_PKS2_PKT0_S8_ifPKiSA_iPKfiiiSC_SC_iiiii.numbered_sgpr, 38
	.set _ZN4vllm25paged_attention_v1_kernelIffLi32ELi32ELi128ELNS_18Fp8KVCacheDataTypeE0ELb1EEEvPT_PKS2_PKT0_S8_ifPKiSA_iPKfiiiSC_SC_iiiii.num_named_barrier, 0
	.set _ZN4vllm25paged_attention_v1_kernelIffLi32ELi32ELi128ELNS_18Fp8KVCacheDataTypeE0ELb1EEEvPT_PKS2_PKT0_S8_ifPKiSA_iPKfiiiSC_SC_iiiii.private_seg_size, 0
	.set _ZN4vllm25paged_attention_v1_kernelIffLi32ELi32ELi128ELNS_18Fp8KVCacheDataTypeE0ELb1EEEvPT_PKS2_PKT0_S8_ifPKiSA_iPKfiiiSC_SC_iiiii.uses_vcc, 1
	.set _ZN4vllm25paged_attention_v1_kernelIffLi32ELi32ELi128ELNS_18Fp8KVCacheDataTypeE0ELb1EEEvPT_PKS2_PKT0_S8_ifPKiSA_iPKfiiiSC_SC_iiiii.uses_flat_scratch, 0
	.set _ZN4vllm25paged_attention_v1_kernelIffLi32ELi32ELi128ELNS_18Fp8KVCacheDataTypeE0ELb1EEEvPT_PKS2_PKT0_S8_ifPKiSA_iPKfiiiSC_SC_iiiii.has_dyn_sized_stack, 0
	.set _ZN4vllm25paged_attention_v1_kernelIffLi32ELi32ELi128ELNS_18Fp8KVCacheDataTypeE0ELb1EEEvPT_PKS2_PKT0_S8_ifPKiSA_iPKfiiiSC_SC_iiiii.has_recursion, 0
	.set _ZN4vllm25paged_attention_v1_kernelIffLi32ELi32ELi128ELNS_18Fp8KVCacheDataTypeE0ELb1EEEvPT_PKS2_PKT0_S8_ifPKiSA_iPKfiiiSC_SC_iiiii.has_indirect_call, 0
	.section	.AMDGPU.csdata,"",@progbits
; Kernel info:
; codeLenInByte = 6812
; TotalNumSgprs: 40
; NumVgprs: 70
; ScratchSize: 0
; MemoryBound: 0
; FloatMode: 240
; IeeeMode: 1
; LDSByteSize: 160 bytes/workgroup (compile time only)
; SGPRBlocks: 0
; VGPRBlocks: 4
; NumSGPRsForWavesPerEU: 40
; NumVGPRsForWavesPerEU: 70
; NamedBarCnt: 0
; Occupancy: 12
; WaveLimiterHint : 1
; COMPUTE_PGM_RSRC2:SCRATCH_EN: 0
; COMPUTE_PGM_RSRC2:USER_SGPR: 2
; COMPUTE_PGM_RSRC2:TRAP_HANDLER: 0
; COMPUTE_PGM_RSRC2:TGID_X_EN: 1
; COMPUTE_PGM_RSRC2:TGID_Y_EN: 1
; COMPUTE_PGM_RSRC2:TGID_Z_EN: 1
; COMPUTE_PGM_RSRC2:TIDIG_COMP_CNT: 0
	.section	.text._ZN4vllm25paged_attention_v1_kernelIffLi64ELi32ELi128ELNS_18Fp8KVCacheDataTypeE0ELb1EEEvPT_PKS2_PKT0_S8_ifPKiSA_iPKfiiiSC_SC_iiiii,"axG",@progbits,_ZN4vllm25paged_attention_v1_kernelIffLi64ELi32ELi128ELNS_18Fp8KVCacheDataTypeE0ELb1EEEvPT_PKS2_PKT0_S8_ifPKiSA_iPKfiiiSC_SC_iiiii,comdat
	.protected	_ZN4vllm25paged_attention_v1_kernelIffLi64ELi32ELi128ELNS_18Fp8KVCacheDataTypeE0ELb1EEEvPT_PKS2_PKT0_S8_ifPKiSA_iPKfiiiSC_SC_iiiii ; -- Begin function _ZN4vllm25paged_attention_v1_kernelIffLi64ELi32ELi128ELNS_18Fp8KVCacheDataTypeE0ELb1EEEvPT_PKS2_PKT0_S8_ifPKiSA_iPKfiiiSC_SC_iiiii
	.globl	_ZN4vllm25paged_attention_v1_kernelIffLi64ELi32ELi128ELNS_18Fp8KVCacheDataTypeE0ELb1EEEvPT_PKS2_PKT0_S8_ifPKiSA_iPKfiiiSC_SC_iiiii
	.p2align	8
	.type	_ZN4vllm25paged_attention_v1_kernelIffLi64ELi32ELi128ELNS_18Fp8KVCacheDataTypeE0ELb1EEEvPT_PKS2_PKT0_S8_ifPKiSA_iPKfiiiSC_SC_iiiii,@function
_ZN4vllm25paged_attention_v1_kernelIffLi64ELi32ELi128ELNS_18Fp8KVCacheDataTypeE0ELb1EEEvPT_PKS2_PKT0_S8_ifPKiSA_iPKfiiiSC_SC_iiiii: ; @_ZN4vllm25paged_attention_v1_kernelIffLi64ELi32ELi128ELNS_18Fp8KVCacheDataTypeE0ELb1EEEvPT_PKS2_PKT0_S8_ifPKiSA_iPKfiiiSC_SC_iiiii
; %bb.0:
	s_load_b64 s[22:23], s[0:1], 0x20
	s_bfe_u32 s3, ttmp6, 0x4000c
	s_bfe_u32 s4, ttmp6, 0x40010
	s_and_b32 s6, ttmp7, 0xffff
	s_add_co_i32 s3, s3, 1
	s_add_co_i32 s4, s4, 1
	s_and_b32 s2, ttmp6, 15
	s_bfe_u32 s5, ttmp6, 0x40004
	s_mul_i32 s3, ttmp9, s3
	s_mul_i32 s4, s6, s4
	s_getreg_b32 s26, hwreg(HW_REG_IB_STS2, 6, 4)
	s_add_co_i32 s2, s2, s3
	s_add_co_i32 s3, s5, s4
	s_cmp_eq_u32 s26, 0
	s_clause 0x1
	s_load_b32 s27, s[0:1], 0x80
	s_load_b64 s[4:5], s[0:1], 0x30
	s_cselect_b32 s28, s6, s3
	s_cselect_b32 s2, ttmp9, s2
	s_mov_b32 s15, 0
	s_delay_alu instid0(SALU_CYCLE_1) | instskip(SKIP_2) | instid1(SALU_CYCLE_1)
	s_mov_b32 s34, s15
	s_wait_kmcnt 0x0
	s_abs_i32 s3, s22
	s_cvt_f32_u32 s6, s3
	s_sub_co_i32 s7, 0, s3
	s_delay_alu instid0(SALU_CYCLE_2) | instskip(SKIP_2) | instid1(TRANS32_DEP_1)
	v_rcp_iflag_f32_e32 v1, s6
	s_abs_i32 s8, s27
	v_nop
	v_readfirstlane_b32 s6, v1
	s_mul_f32 s6, s6, 0x4f7ffffe
	s_delay_alu instid0(SALU_CYCLE_3) | instskip(NEXT) | instid1(SALU_CYCLE_3)
	s_cvt_u32_f32 s6, s6
	s_mul_i32 s7, s7, s6
	s_delay_alu instid0(SALU_CYCLE_1) | instskip(NEXT) | instid1(SALU_CYCLE_1)
	s_mul_hi_u32 s7, s6, s7
	s_add_co_i32 s6, s6, s7
	s_xor_b32 s7, s27, s22
	s_mul_hi_u32 s6, s8, s6
	s_ashr_i32 s7, s7, 31
	s_mul_i32 s9, s6, s3
	s_delay_alu instid0(SALU_CYCLE_1)
	s_sub_co_i32 s8, s8, s9
	s_add_co_i32 s9, s6, 1
	s_sub_co_i32 s10, s8, s3
	s_cmp_ge_u32 s8, s3
	s_cselect_b32 s6, s9, s6
	s_cselect_b32 s8, s10, s8
	s_add_co_i32 s9, s6, 1
	s_cmp_ge_u32 s8, s3
	s_cselect_b32 s3, s9, s6
	s_load_b64 s[8:9], s[0:1], 0x40
	s_xor_b32 s3, s3, s7
	s_abs_i32 s14, s2
	s_sub_co_i32 s12, s3, s7
	s_mov_b32 s7, s15
	s_abs_i32 s11, s12
	s_delay_alu instid0(SALU_CYCLE_1) | instskip(SKIP_1) | instid1(SALU_CYCLE_2)
	s_cvt_f32_u32 s3, s11
	s_sub_co_i32 s6, 0, s11
	v_rcp_iflag_f32_e32 v1, s3
	v_nop
	s_delay_alu instid0(TRANS32_DEP_1) | instskip(SKIP_1) | instid1(SALU_CYCLE_3)
	v_readfirstlane_b32 s3, v1
	s_mul_f32 s3, s3, 0x4f7ffffe
	s_cvt_u32_f32 s3, s3
	s_delay_alu instid0(SALU_CYCLE_3) | instskip(NEXT) | instid1(SALU_CYCLE_1)
	s_mul_i32 s6, s6, s3
	s_mul_hi_u32 s6, s3, s6
	s_delay_alu instid0(SALU_CYCLE_1)
	s_add_co_i32 s6, s3, s6
	s_wait_kmcnt 0x0
	s_cmp_eq_u64 s[8:9], 0
	s_cbranch_scc1 .LBB37_2
; %bb.1:
	s_ashr_i32 s3, s2, 31
	s_delay_alu instid0(SALU_CYCLE_1) | instskip(NEXT) | instid1(SALU_CYCLE_1)
	s_lshl_b64 s[16:17], s[2:3], 2
	s_add_nc_u64 s[8:9], s[8:9], s[16:17]
	s_load_b32 s34, s[8:9], 0x0
.LBB37_2:
	s_load_b32 s29, s[4:5], s28 offset:0x0 scale_offset
	s_wait_xcnt 0x0
	s_load_b96 s[8:10], s[0:1], 0x48
	v_lshlrev_b32_e32 v71, 4, v0
	s_ashr_i32 s3, s2, 31
	s_ashr_i32 s18, s12, 31
	s_mul_u64 s[16:17], s[14:15], s[6:7]
	s_lshl_b32 s12, s2, 6
	s_mov_b32 s4, exec_lo
	v_cmpx_gt_u32_e32 16, v0
	s_cbranch_execz .LBB37_4
; %bb.3:
	s_load_b64 s[6:7], s[0:1], 0x8
	s_wait_kmcnt 0x0
	s_mul_i32 s20, s8, s28
	s_ashr_i32 s13, s12, 31
	s_ashr_i32 s21, s20, 31
	s_delay_alu instid0(SALU_CYCLE_1) | instskip(NEXT) | instid1(SALU_CYCLE_1)
	s_lshl_b64 s[20:21], s[20:21], 2
	s_add_nc_u64 s[6:7], s[6:7], s[20:21]
	s_lshl_b64 s[20:21], s[12:13], 2
	s_delay_alu instid0(SALU_CYCLE_1)
	s_add_nc_u64 s[6:7], s[6:7], s[20:21]
	global_load_b128 v[2:5], v0, s[6:7] scale_offset
	s_wait_loadcnt 0x0
	ds_store_b128 v71, v[2:5]
.LBB37_4:
	s_or_b32 exec_lo, exec_lo, s4
	s_load_b128 s[4:7], s[0:1], 0x68
	s_wait_kmcnt 0x0
	s_mul_i32 s8, s17, s11
	s_xor_b32 s3, s3, s18
	s_sub_co_i32 s8, s14, s8
	s_add_co_i32 s13, s17, 1
	s_sub_co_i32 s14, s8, s11
	s_cmp_ge_u32 s8, s11
	s_mov_b32 s18, -1
	s_cselect_b32 s13, s13, s17
	s_cselect_b32 s8, s14, s8
	s_add_co_i32 s14, s13, 1
	s_cmp_ge_u32 s8, s11
	s_load_b32 s8, s[0:1], 0x78
	s_cselect_b32 s11, s14, s13
	s_mov_b32 s17, 0
	s_xor_b32 s11, s11, s3
	s_wait_dscnt 0x0
	s_sub_co_i32 s3, s11, s3
	s_barrier_signal -1
	s_barrier_wait -1
	s_abs_i32 s13, s7
	s_delay_alu instid0(SALU_CYCLE_1) | instskip(SKIP_1) | instid1(SALU_CYCLE_2)
	s_cvt_f32_u32 s14, s13
	s_sub_co_i32 s15, 0, s13
                                        ; implicit-def: $sgpr30
	v_rcp_iflag_f32_e32 v1, s14
	v_nop
	s_delay_alu instid0(TRANS32_DEP_1) | instskip(SKIP_1) | instid1(SALU_CYCLE_3)
	v_readfirstlane_b32 s14, v1
	s_mul_f32 s11, s14, 0x4f7ffffe
	s_cvt_u32_f32 s14, s11
	s_add_co_i32 s11, s29, -1
	s_delay_alu instid0(SALU_CYCLE_1) | instskip(NEXT) | instid1(SALU_CYCLE_1)
	s_abs_i32 s16, s11
	s_mul_i32 s15, s15, s14
	s_delay_alu instid0(SALU_CYCLE_1) | instskip(NEXT) | instid1(SALU_CYCLE_1)
	s_mul_hi_u32 s15, s14, s15
	s_add_co_i32 s14, s14, s15
	s_wait_kmcnt 0x0
	s_cmp_lt_i32 s8, 0
	s_mov_b32 s15, s17
	s_cbranch_scc0 .LBB37_6
; %bb.5:
	s_mul_i32 s18, s4, s22
	s_delay_alu instid0(SALU_CYCLE_1) | instskip(NEXT) | instid1(SALU_CYCLE_1)
	s_add_co_i32 s18, s3, s18
	s_mul_i32 s18, s18, s8
	s_delay_alu instid0(SALU_CYCLE_1)
	s_sub_co_i32 s30, 1, s18
	s_mov_b32 s18, s17
.LBB37_6:
	s_ashr_i32 s11, s11, 31
	s_ashr_i32 s31, s7, 31
	s_and_not1_b32 vcc_lo, exec_lo, s18
	s_mul_u64 s[20:21], s[16:17], s[14:15]
	s_cbranch_vccnz .LBB37_8
; %bb.7:
	s_mul_i32 s4, s27, s4
	s_delay_alu instid0(SALU_CYCLE_1) | instskip(NEXT) | instid1(SALU_CYCLE_1)
	s_add_co_i32 s2, s4, s2
	s_mul_i32 s2, s2, s8
	s_delay_alu instid0(SALU_CYCLE_1)
	s_add_co_i32 s30, s2, 1
.LBB37_8:
	s_load_b32 s2, s[0:1], 0x38
	s_mul_i32 s7, s21, s13
	s_xor_b32 s4, s11, s31
	s_sub_co_i32 s7, s16, s7
	s_add_co_i32 s11, s21, 1
	s_clause 0x1
	s_load_b64 s[16:17], s[0:1], 0x28
	s_load_b32 s8, s[0:1], 0x88
	v_dual_lshrrev_b32 v1, 5, v0 :: v_dual_bitop2_b32 v92, 31, v0 bitop3:0x40
	v_dual_mov_b32 v77, 0xff7fffff :: v_dual_lshrrev_b32 v88, 3, v0
	s_mul_i32 s20, s3, s10
	s_delay_alu instid0(VALU_DEP_2)
	v_dual_lshlrev_b32 v70, 5, v1 :: v_dual_lshlrev_b32 v76, 2, v92
	s_wait_kmcnt 0x0
	s_mul_i32 s18, s2, s28
	s_sub_co_i32 s2, s7, s13
	s_ashr_i32 s19, s18, 31
	s_cmp_ge_u32 s7, s13
	s_cselect_b32 s11, s11, s21
	s_cselect_b32 s2, s2, s7
	s_add_co_i32 s7, s11, 1
	s_cmp_ge_u32 s2, s13
	s_cselect_b32 s2, s7, s11
	s_add_co_i32 s7, s29, 31
	s_delay_alu instid0(SALU_CYCLE_1) | instskip(NEXT) | instid1(SALU_CYCLE_1)
	s_ashr_i32 s11, s7, 31
	s_lshr_b32 s11, s11, 27
	s_delay_alu instid0(SALU_CYCLE_1) | instskip(NEXT) | instid1(SALU_CYCLE_1)
	s_add_co_i32 s7, s7, s11
	s_ashr_i32 s33, s7, 5
	s_xor_b32 s7, s2, s4
	v_cmp_gt_i32_e64 s2, s33, v1
	s_sub_co_i32 s7, s7, s4
	s_and_saveexec_b32 s22, s2
	s_cbranch_execz .LBB37_16
; %bb.9:
	s_ashr_i32 s21, s20, 31
	s_sub_co_i32 s35, s7, s5
	s_ashr_i32 s11, s9, 31
	s_lshl_b64 s[24:25], s[20:21], 2
	s_cmp_neq_f32 s34, 0
	s_load_b64 s[36:37], s[0:1], 0x10
	v_dual_mov_b32 v67, 0 :: v_dual_lshlrev_b32 v66, 4, v92
	s_cselect_b32 vcc_lo, -1, 0
	s_abs_i32 s21, s6
	ds_load_b128 v[2:5], v67
	ds_load_b128 v[6:9], v67 offset:16
	ds_load_b128 v[10:13], v67 offset:32
	;; [unrolled: 1-line block ×3, first 2 shown]
	s_cvt_f32_u32 s3, s21
	v_subrev_nc_u32_e32 v74, s29, v92
	v_lshl_or_b32 v75, v1, 7, v76
	s_sub_co_i32 s4, 0, s21
	v_rcp_iflag_f32_e32 v18, s3
	v_dual_mov_b32 v80, 0xff7fffff :: v_dual_mov_b32 v77, 0xff7fffff
	s_delay_alu instid0(VALU_DEP_2) | instskip(SKIP_3) | instid1(TRANS32_DEP_1)
	v_add_nc_u32_e32 v79, 0x120, v75
	v_mov_b32_e32 v81, v1
	s_mov_b32 s10, s9
	v_add_nc_u32_e32 v78, 1, v74
	v_readfirstlane_b32 s3, v18
	ds_load_b128 v[18:21], v67 offset:64
	ds_load_b128 v[22:25], v67 offset:80
	ds_load_b128 v[26:29], v67 offset:96
	ds_load_b128 v[30:33], v67 offset:112
	ds_load_b128 v[34:37], v67 offset:128
	ds_load_b128 v[38:41], v67 offset:144
	ds_load_b128 v[42:45], v67 offset:160
	ds_load_b128 v[46:49], v67 offset:176
	ds_load_b128 v[50:53], v67 offset:192
	ds_load_b128 v[54:57], v67 offset:208
	ds_load_b128 v[58:61], v67 offset:224
	ds_load_b128 v[62:65], v67 offset:240
	s_wait_kmcnt 0x0
	s_add_nc_u64 s[24:25], s[36:37], s[24:25]
	s_mul_f32 s3, s3, 0x4f7ffffe
	v_add_nc_u64_e32 v[68:69], s[24:25], v[66:67]
	v_and_b32_e32 v66, 0x7c, v88
	s_lshl_b64 s[24:25], s[18:19], 2
	s_cvt_u32_f32 s3, s3
	s_add_nc_u64 s[24:25], s[16:17], s[24:25]
	s_delay_alu instid0(VALU_DEP_1) | instid1(SALU_CYCLE_1)
	v_add_nc_u64_e32 v[72:73], s[24:25], v[66:67]
	s_delay_alu instid0(SALU_CYCLE_1)
	s_mul_i32 s4, s4, s3
	v_lshlrev_b32_e32 v66, 5, v1
	s_mul_hi_u32 s4, s3, s4
	s_mov_b32 s25, 0
	s_add_co_i32 s24, s3, s4
	s_mov_b32 s36, s25
	s_branch .LBB37_11
.LBB37_10:                              ;   in Loop: Header=BB37_11 Depth=1
	s_or_b32 exec_lo, exec_lo, s4
	v_add_nc_u32_e32 v81, 4, v81
	v_add_nc_u64_e32 v[72:73], 16, v[72:73]
	v_add_nc_u32_e32 v66, 0x80, v66
	v_add_nc_u32_e32 v79, 0x200, v79
	s_delay_alu instid0(VALU_DEP_4) | instskip(SKIP_1) | instid1(SALU_CYCLE_1)
	v_cmp_le_i32_e64 s3, s33, v81
	s_or_b32 s36, s3, s36
	s_and_not1_b32 exec_lo, exec_lo, s36
	s_cbranch_execz .LBB37_15
.LBB37_11:                              ; =>This Inner Loop Header: Depth=1
	v_mul_u64_e32 v[74:75], s[14:15], v[66:67]
	s_delay_alu instid0(VALU_DEP_1) | instskip(NEXT) | instid1(VALU_DEP_1)
	v_mul_lo_u32 v74, v75, s13
	v_dual_add_nc_u32 v82, 1, v75 :: v_dual_sub_nc_u32 v74, v66, v74
	s_delay_alu instid0(VALU_DEP_1) | instskip(SKIP_1) | instid1(VALU_DEP_1)
	v_subrev_nc_u32_e32 v83, s13, v74
	v_cmp_le_u32_e64 s3, s13, v74
	v_dual_cndmask_b32 v75, v75, v82, s3 :: v_dual_cndmask_b32 v74, v74, v83, s3
	s_delay_alu instid0(VALU_DEP_1) | instskip(NEXT) | instid1(VALU_DEP_2)
	v_add_nc_u32_e32 v82, 1, v75
	v_cmp_le_u32_e64 s3, s13, v74
	s_delay_alu instid0(VALU_DEP_1) | instskip(NEXT) | instid1(VALU_DEP_1)
	v_cndmask_b32_e64 v74, v75, v82, s3
	v_dual_mov_b32 v75, v67 :: v_dual_bitop2_b32 v74, s31, v74 bitop3:0x14
	s_delay_alu instid0(VALU_DEP_1) | instskip(NEXT) | instid1(VALU_DEP_1)
	v_subrev_nc_u32_e32 v84, s31, v74
	v_add_nc_u32_e32 v85, s30, v84
	v_cmp_ge_i32_e64 s4, s35, v84
	s_delay_alu instid0(VALU_DEP_2) | instskip(NEXT) | instid1(VALU_DEP_1)
	v_sub_nc_u32_e32 v74, 0, v85
	v_max_i32_e32 v74, v85, v74
	s_delay_alu instid0(VALU_DEP_1) | instskip(SKIP_1) | instid1(VALU_DEP_2)
	v_mul_u64_e32 v[82:83], s[24:25], v[74:75]
	v_ashrrev_i32_e32 v82, 31, v85
	v_mul_lo_u32 v75, v83, s21
	s_delay_alu instid0(VALU_DEP_1) | instskip(NEXT) | instid1(VALU_DEP_1)
	v_sub_nc_u32_e32 v74, v74, v75
	v_subrev_nc_u32_e32 v75, s21, v74
	v_cmp_le_u32_e64 s3, s21, v74
	s_delay_alu instid0(VALU_DEP_1) | instskip(NEXT) | instid1(VALU_DEP_1)
	v_cndmask_b32_e64 v74, v74, v75, s3
	v_subrev_nc_u32_e32 v75, s21, v74
	v_cmp_le_u32_e64 s3, s21, v74
	s_delay_alu instid0(VALU_DEP_1) | instskip(NEXT) | instid1(VALU_DEP_1)
	v_cndmask_b32_e64 v74, v74, v75, s3
	v_xor_b32_e32 v74, v74, v82
	s_delay_alu instid0(VALU_DEP_1) | instskip(NEXT) | instid1(VALU_DEP_1)
	v_sub_nc_u32_e32 v74, v74, v82
	v_cmp_ne_u32_e64 s3, 0, v74
	s_and_b32 s3, s3, s4
	s_delay_alu instid0(SALU_CYCLE_1) | instskip(NEXT) | instid1(SALU_CYCLE_1)
	s_and_saveexec_b32 s4, s3
	s_xor_b32 s3, exec_lo, s4
; %bb.12:                               ;   in Loop: Header=BB37_11 Depth=1
	ds_store_b32 v79, v80
; %bb.13:                               ;   in Loop: Header=BB37_11 Depth=1
	s_and_not1_saveexec_b32 s4, s3
	s_cbranch_execz .LBB37_10
; %bb.14:                               ;   in Loop: Header=BB37_11 Depth=1
	global_load_b32 v74, v[72:73], off
	v_add_nc_u32_e32 v89, v78, v66
	s_wait_loadcnt 0x0
	v_ashrrev_i32_e32 v75, 31, v74
	s_delay_alu instid0(VALU_DEP_1) | instskip(NEXT) | instid1(VALU_DEP_1)
	v_mul_u64_e32 v[74:75], s[10:11], v[74:75]
	v_lshl_add_u64 v[74:75], v[74:75], 2, v[68:69]
	s_clause 0x6
	global_load_b128 v[82:85], v[74:75], off offset:512
	global_load_b128 v[94:97], v[74:75], off
	global_load_b128 v[98:101], v[74:75], off offset:1024
	global_load_b128 v[102:105], v[74:75], off offset:1536
	;; [unrolled: 1-line block ×5, first 2 shown]
	s_wait_loadcnt_dscnt 0x60e
	v_pk_mul_f32 v[86:87], v[6:7], v[82:83]
	v_pk_mul_f32 v[90:91], v[8:9], v[84:85]
	global_load_b128 v[82:85], v[74:75], off offset:3584
	s_wait_loadcnt 0x6
	v_pk_fma_f32 v[86:87], v[2:3], v[94:95], v[86:87]
	v_pk_fma_f32 v[90:91], v[4:5], v[96:97], v[90:91]
	global_load_b128 v[94:97], v[74:75], off offset:4096
	s_wait_loadcnt_dscnt 0x60d
	v_pk_fma_f32 v[86:87], v[10:11], v[98:99], v[86:87]
	v_pk_fma_f32 v[90:91], v[12:13], v[100:101], v[90:91]
	global_load_b128 v[98:101], v[74:75], off offset:4608
	s_wait_loadcnt_dscnt 0x60c
	;; [unrolled: 4-line block ×8, first 2 shown]
	s_wait_xcnt 0x0
	v_pk_fma_f32 v[74:75], v[38:39], v[98:99], v[86:87]
	v_pk_fma_f32 v[86:87], v[40:41], v[100:101], v[90:91]
	s_wait_loadcnt_dscnt 0x505
	s_delay_alu instid0(VALU_DEP_2) | instskip(NEXT) | instid1(VALU_DEP_2)
	v_pk_fma_f32 v[74:75], v[42:43], v[102:103], v[74:75]
	v_pk_fma_f32 v[86:87], v[44:45], v[104:105], v[86:87]
	s_wait_loadcnt_dscnt 0x404
	s_delay_alu instid0(VALU_DEP_2) | instskip(NEXT) | instid1(VALU_DEP_2)
	;; [unrolled: 4-line block ×5, first 2 shown]
	v_pk_fma_f32 v[74:75], v[58:59], v[82:83], v[74:75]
	v_pk_fma_f32 v[82:83], v[60:61], v[84:85], v[86:87]
	v_cvt_f32_i32_e32 v84, v89
	s_wait_loadcnt_dscnt 0x0
	s_delay_alu instid0(VALU_DEP_3) | instskip(NEXT) | instid1(VALU_DEP_3)
	v_pk_fma_f32 v[74:75], v[62:63], v[94:95], v[74:75]
	v_pk_fma_f32 v[82:83], v[64:65], v[96:97], v[82:83]
	s_delay_alu instid0(VALU_DEP_2) | instskip(NEXT) | instid1(VALU_DEP_1)
	v_dual_add_f32 v74, v74, v75 :: v_dual_mul_f32 v75, s34, v84
	v_dual_cndmask_b32 v75, 0, v75 :: v_dual_add_f32 v74, v82, v74
	s_delay_alu instid0(VALU_DEP_1) | instskip(NEXT) | instid1(VALU_DEP_1)
	v_dual_max_num_f32 v82, v77, v77 :: v_dual_add_f32 v74, v83, v74
	v_fmac_f32_e32 v75, s23, v74
	s_delay_alu instid0(VALU_DEP_1) | instskip(NEXT) | instid1(VALU_DEP_1)
	v_dual_add_nc_u32 v74, v92, v66 :: v_dual_max_num_f32 v82, v82, v75
	v_cmp_gt_i32_e64 s3, s29, v74
	s_delay_alu instid0(VALU_DEP_1)
	v_dual_cndmask_b32 v74, 0, v75, s3 :: v_dual_cndmask_b32 v77, v77, v82, s3
	ds_store_b32 v79, v74
	s_branch .LBB37_10
.LBB37_15:
	s_or_b32 exec_lo, exec_lo, s36
.LBB37_16:
	s_delay_alu instid0(SALU_CYCLE_1)
	s_or_b32 exec_lo, exec_lo, s22
	s_wait_dscnt 0xf
	v_mbcnt_lo_u32_b32 v4, -1, 0
	s_clause 0x1
	s_load_b64 s[10:11], s[0:1], 0x0
	s_load_b64 s[22:23], s[0:1], 0x18
	s_wait_dscnt 0xe
	v_dual_max_num_f32 v6, v77, v77 :: v_dual_bitop2_b32 v2, 16, v4 bitop3:0x14
	v_xor_b32_e32 v5, 8, v4
	s_delay_alu instid0(VALU_DEP_2) | instskip(SKIP_1) | instid1(VALU_DEP_3)
	v_cmp_gt_i32_e32 vcc_lo, 32, v2
	v_cndmask_b32_e32 v2, v4, v2, vcc_lo
	v_cmp_gt_i32_e32 vcc_lo, 32, v5
	s_delay_alu instid0(VALU_DEP_2) | instskip(SKIP_3) | instid1(VALU_DEP_1)
	v_dual_cndmask_b32 v5, v4, v5 :: v_dual_lshlrev_b32 v2, 2, v2
	ds_bpermute_b32 v3, v2, v77
	s_wait_dscnt 0x0
	v_dual_max_num_f32 v7, v3, v3 :: v_dual_lshlrev_b32 v3, 2, v5
	v_dual_max_num_f32 v5, v6, v7 :: v_dual_bitop2_b32 v7, 4, v4 bitop3:0x14
	ds_bpermute_b32 v6, v3, v5
	v_cmp_gt_i32_e32 vcc_lo, 32, v7
	s_wait_dscnt 0x0
	v_dual_cndmask_b32 v7, v4, v7 :: v_dual_max_num_f32 v6, v6, v6
	s_delay_alu instid0(VALU_DEP_1) | instskip(SKIP_3) | instid1(VALU_DEP_1)
	v_dual_lshlrev_b32 v95, 2, v7 :: v_dual_max_num_f32 v5, v5, v6
	ds_bpermute_b32 v6, v95, v5
	s_wait_dscnt 0x0
	v_dual_max_num_f32 v6, v6, v6 :: v_dual_bitop2_b32 v7, 2, v4 bitop3:0x14
	v_cmp_gt_i32_e32 vcc_lo, 32, v7
	s_delay_alu instid0(VALU_DEP_2) | instskip(NEXT) | instid1(VALU_DEP_1)
	v_dual_max_num_f32 v5, v5, v6 :: v_dual_cndmask_b32 v7, v4, v7, vcc_lo
	v_dual_lshlrev_b32 v94, 2, v7 :: v_dual_bitop2_b32 v7, 1, v4 bitop3:0x14
	ds_bpermute_b32 v6, v94, v5
	v_cmp_gt_i32_e32 vcc_lo, 32, v7
	v_cndmask_b32_e32 v4, v4, v7, vcc_lo
	v_cmp_eq_u32_e32 vcc_lo, 0, v92
	s_delay_alu instid0(VALU_DEP_2) | instskip(SKIP_2) | instid1(VALU_DEP_1)
	v_dual_lshlrev_b32 v93, 2, v4 :: v_dual_lshlrev_b32 v4, 2, v1
	s_wait_dscnt 0x0
	v_max_num_f32_e32 v6, v6, v6
	v_max_num_f32_e32 v5, v5, v6
	ds_bpermute_b32 v6, v93, v5
	s_wait_xcnt 0x0
	s_and_saveexec_b32 s0, vcc_lo
	s_cbranch_execz .LBB37_18
; %bb.17:
	s_wait_dscnt 0x0
	v_dual_max_num_f32 v6, v6, v6 :: v_dual_max_num_f32 v5, v5, v5
	s_delay_alu instid0(VALU_DEP_1)
	v_max_num_f32_e32 v5, v5, v6
	ds_store_b32 v4, v5 offset:256
.LBB37_18:
	s_or_b32 exec_lo, exec_lo, s0
	v_cmp_gt_u32_e64 s0, 4, v92
	v_mov_b32_e32 v5, 0xff7fffff
	s_wait_dscnt 0x0
	s_barrier_signal -1
	s_barrier_wait -1
	s_and_saveexec_b32 s1, s0
; %bb.19:
	ds_load_b32 v5, v76 offset:256
; %bb.20:
	s_or_b32 exec_lo, exec_lo, s1
	s_wait_dscnt 0x0
	ds_bpermute_b32 v6, v94, v5
	v_max_num_f32_e32 v5, v5, v5
	s_lshl_b32 s1, s33, 5
	s_delay_alu instid0(SALU_CYCLE_1) | instskip(NEXT) | instid1(SALU_CYCLE_1)
	s_min_i32 s4, s1, s29
	v_cmp_gt_i32_e64 s1, s4, v0
	s_wait_dscnt 0x0
	v_max_num_f32_e32 v6, v6, v6
	s_delay_alu instid0(VALU_DEP_1) | instskip(SKIP_3) | instid1(VALU_DEP_1)
	v_max_num_f32_e32 v5, v5, v6
	ds_bpermute_b32 v6, v93, v5
	s_wait_dscnt 0x0
	v_max_num_f32_e32 v6, v6, v6
	v_dual_max_num_f32 v6, v5, v6 :: v_dual_mov_b32 v5, 0
	ds_bpermute_b32 v6, v5, v6
	s_and_saveexec_b32 s21, s1
	s_cbranch_execz .LBB37_24
; %bb.21:
	v_lshl_add_u32 v7, v0, 2, 0x120
	v_dual_mov_b32 v5, 0 :: v_dual_mov_b32 v8, v0
	s_mov_b32 s24, 0
.LBB37_22:                              ; =>This Inner Loop Header: Depth=1
	ds_load_b32 v9, v7
	v_add_nc_u32_e32 v8, 0x80, v8
	s_delay_alu instid0(VALU_DEP_1) | instskip(SKIP_3) | instid1(VALU_DEP_1)
	v_cmp_le_i32_e64 s3, s4, v8
	s_or_b32 s24, s3, s24
	s_wait_dscnt 0x0
	v_sub_f32_e32 v9, v9, v6
	v_mul_f32_e32 v9, 0x3fb8aa3b, v9
	s_delay_alu instid0(VALU_DEP_1)
	v_exp_f32_e32 v9, v9
	ds_store_b32 v7, v9
	v_nop
	v_add_f32_e32 v5, v5, v9
	v_add_nc_u32_e32 v7, 0x200, v7
	s_and_not1_b32 exec_lo, exec_lo, s24
	s_cbranch_execnz .LBB37_22
; %bb.23:
	s_or_b32 exec_lo, exec_lo, s24
.LBB37_24:
	s_delay_alu instid0(SALU_CYCLE_1)
	s_or_b32 exec_lo, exec_lo, s21
	ds_bpermute_b32 v2, v2, v5
	s_wait_dscnt 0x0
	v_add_f32_e32 v2, v5, v2
	ds_bpermute_b32 v3, v3, v2
	s_wait_dscnt 0x0
	v_add_f32_e32 v2, v2, v3
	;; [unrolled: 3-line block ×5, first 2 shown]
	s_and_saveexec_b32 s3, vcc_lo
; %bb.25:
	ds_store_b32 v4, v2 offset:272
; %bb.26:
	s_or_b32 exec_lo, exec_lo, s3
	s_wait_dscnt 0x0
	s_barrier_signal -1
	s_barrier_wait -1
	s_and_saveexec_b32 s3, s0
; %bb.27:
	ds_load_b32 v2, v76 offset:272
; %bb.28:
	s_or_b32 exec_lo, exec_lo, s3
	s_wait_dscnt 0x0
	ds_bpermute_b32 v3, v94, v2
	s_wait_dscnt 0x0
	v_dual_mov_b32 v73, 0 :: v_dual_add_f32 v2, v2, v3
	ds_bpermute_b32 v3, v93, v2
	s_wait_dscnt 0x0
	v_add_f32_e32 v2, v2, v3
	ds_bpermute_b32 v2, v73, v2
	s_and_saveexec_b32 s0, s1
	s_cbranch_execz .LBB37_41
; %bb.29:
	s_wait_dscnt 0x0
	v_add_f32_e32 v2, 0x358637bd, v2
	s_mov_b32 s3, -1
	s_mov_b32 s1, exec_lo
	s_delay_alu instid0(VALU_DEP_1) | instskip(NEXT) | instid1(VALU_DEP_1)
	v_div_scale_f32 v3, null, v2, v2, 1.0
	v_rcp_f32_e32 v5, v3
	v_nop
	s_delay_alu instid0(TRANS32_DEP_1) | instskip(NEXT) | instid1(VALU_DEP_1)
	v_fma_f32 v4, -v3, v5, 1.0
	v_fmac_f32_e32 v5, v4, v5
	v_div_scale_f32 v6, vcc_lo, 1.0, v2, 1.0
	s_delay_alu instid0(VALU_DEP_1) | instskip(NEXT) | instid1(VALU_DEP_1)
	v_mul_f32_e32 v7, v6, v5
	v_fma_f32 v4, -v3, v7, v6
	s_delay_alu instid0(VALU_DEP_1) | instskip(SKIP_1) | instid1(VALU_DEP_2)
	v_fmac_f32_e32 v7, v4, v5
	v_xad_u32 v4, v0, -1, s4
	v_fma_f32 v3, -v3, v7, v6
	s_delay_alu instid0(VALU_DEP_1) | instskip(NEXT) | instid1(VALU_DEP_1)
	v_div_fmas_f32 v3, v3, v5, v7
	v_div_fixup_f32 v2, v3, v2, 1.0
	v_mov_b32_e32 v3, v0
	v_cmpx_lt_u32_e32 0x7f, v4
	s_cbranch_execz .LBB37_38
; %bb.30:
	s_delay_alu instid0(VALU_DEP_3) | instskip(NEXT) | instid1(VALU_DEP_1)
	v_dual_mov_b32 v3, v2 :: v_dual_lshrrev_b32 v4, 7, v4
	v_dual_mov_b32 v8, 0 :: v_dual_add_nc_u32 v5, -1, v4
	s_delay_alu instid0(VALU_DEP_1) | instskip(SKIP_1) | instid1(VALU_DEP_2)
	v_lshrrev_b32_e32 v6, 1, v5
	v_cmp_lt_u32_e32 vcc_lo, 13, v5
	v_add_nc_u32_e32 v5, 1, v6
	s_and_saveexec_b32 s3, vcc_lo
	s_cbranch_execz .LBB37_34
; %bb.31:
	s_delay_alu instid0(VALU_DEP_1)
	v_and_b32_e32 v6, -8, v5
	v_lshl_add_u32 v7, v0, 2, 0x120
	s_mov_b32 s21, 0
	s_mov_b32 s24, 0
.LBB37_32:                              ; =>This Inner Loop Header: Depth=1
	ds_load_2addr_stride64_b32 v[8:9], v7 offset1:2
	ds_load_2addr_stride64_b32 v[10:11], v7 offset0:4 offset1:6
	ds_load_2addr_stride64_b32 v[12:13], v7 offset0:8 offset1:10
	;; [unrolled: 1-line block ×7, first 2 shown]
	s_add_co_i32 s24, s24, 16
	v_add_nc_u32_e32 v6, -8, v6
	s_wait_dscnt 0x7
	v_pk_mul_f32 v[8:9], v[2:3], v[8:9]
	s_wait_dscnt 0x6
	v_pk_mul_f32 v[10:11], v[2:3], v[10:11]
	;; [unrolled: 2-line block ×8, first 2 shown]
	ds_store_2addr_stride64_b32 v7, v8, v9 offset1:2
	ds_store_2addr_stride64_b32 v7, v10, v11 offset0:4 offset1:6
	ds_store_2addr_stride64_b32 v7, v12, v13 offset0:8 offset1:10
	;; [unrolled: 1-line block ×7, first 2 shown]
	v_mov_b32_e32 v8, s24
	v_cmp_eq_u32_e32 vcc_lo, 0, v6
	v_add_nc_u32_e32 v7, 0x2000, v7
	s_or_b32 s21, vcc_lo, s21
	s_delay_alu instid0(SALU_CYCLE_1)
	s_and_not1_b32 exec_lo, exec_lo, s21
	s_cbranch_execnz .LBB37_32
; %bb.33:
	s_or_b32 exec_lo, exec_lo, s21
.LBB37_34:
	s_delay_alu instid0(SALU_CYCLE_1) | instskip(NEXT) | instid1(VALU_DEP_1)
	s_or_b32 exec_lo, exec_lo, s3
	v_and_b32_e32 v5, 7, v5
	s_mov_b32 s21, 0
	s_mov_b32 s3, exec_lo
	s_delay_alu instid0(VALU_DEP_1)
	v_cmpx_ne_u32_e32 0, v5
	s_cbranch_execz .LBB37_37
; %bb.35:
	v_lshlrev_b32_e32 v6, 9, v8
	v_lshlrev_b32_e32 v7, 2, v0
	s_delay_alu instid0(VALU_DEP_1)
	v_add3_u32 v6, v6, v7, 0x120
.LBB37_36:                              ; =>This Inner Loop Header: Depth=1
	ds_load_2addr_stride64_b32 v[8:9], v6 offset1:2
	v_add_nc_u32_e32 v5, -1, v5
	s_delay_alu instid0(VALU_DEP_1)
	v_cmp_eq_u32_e32 vcc_lo, 0, v5
	s_or_b32 s21, vcc_lo, s21
	s_wait_dscnt 0x0
	v_pk_mul_f32 v[8:9], v[2:3], v[8:9]
	ds_store_2addr_stride64_b32 v6, v8, v9 offset1:2
	v_add_nc_u32_e32 v6, 0x400, v6
	s_and_not1_b32 exec_lo, exec_lo, s21
	s_cbranch_execnz .LBB37_36
.LBB37_37:
	s_or_b32 exec_lo, exec_lo, s3
	v_add_nc_u32_e32 v3, 1, v4
	s_delay_alu instid0(VALU_DEP_1) | instskip(NEXT) | instid1(VALU_DEP_1)
	v_and_b32_e32 v4, 0x3fffffe, v3
	v_cmp_ne_u32_e32 vcc_lo, v3, v4
	v_lshl_add_u32 v3, v4, 7, v0
	s_or_not1_b32 s3, vcc_lo, exec_lo
.LBB37_38:
	s_or_b32 exec_lo, exec_lo, s1
	s_delay_alu instid0(SALU_CYCLE_1)
	s_and_b32 exec_lo, exec_lo, s3
	s_cbranch_execz .LBB37_41
; %bb.39:
	v_lshl_add_u32 v4, v3, 2, 0x120
	s_mov_b32 s1, 0
.LBB37_40:                              ; =>This Inner Loop Header: Depth=1
	ds_load_b32 v5, v4
	v_add_nc_u32_e32 v3, 0x80, v3
	s_delay_alu instid0(VALU_DEP_1)
	v_cmp_le_i32_e32 vcc_lo, s4, v3
	s_or_b32 s1, vcc_lo, s1
	s_wait_dscnt 0x0
	v_mul_f32_e32 v5, v2, v5
	ds_store_b32 v4, v5
	v_add_nc_u32_e32 v4, 0x200, v4
	s_and_not1_b32 exec_lo, exec_lo, s1
	s_cbranch_execnz .LBB37_40
.LBB37_41:
	s_or_b32 exec_lo, exec_lo, s0
	v_dual_mov_b32 v72, 0 :: v_dual_bitop2_b32 v96, 7, v0 bitop3:0x40
	v_dual_mov_b32 v75, 0 :: v_dual_mov_b32 v74, 0
	v_dual_mov_b32 v77, 0 :: v_dual_mov_b32 v76, 0
	;; [unrolled: 1-line block ×7, first 2 shown]
	s_wait_dscnt 0x0
	s_barrier_signal -1
	s_barrier_wait -1
	s_and_saveexec_b32 s24, s2
	s_cbranch_execz .LBB37_79
; %bb.42:
	s_abs_i32 s25, s6
	v_lshlrev_b32_e32 v5, 2, v0
	s_cvt_f32_u32 s0, s25
	v_and_b32_e32 v2, 0x1f0, v71
	v_dual_mov_b32 v71, 0 :: v_dual_lshlrev_b32 v6, 4, v96
	s_delay_alu instid0(SALU_CYCLE_1) | instskip(SKIP_2) | instid1(VALU_DEP_2)
	v_rcp_iflag_f32_e32 v3, s0
	s_ashr_i32 s21, s20, 31
	v_and_b32_e32 v4, 0x7c, v88
	v_dual_mov_b32 v5, v71 :: v_dual_bitop2_b32 v97, 28, v5 bitop3:0x40
	s_lshl_b64 s[0:1], s[18:19], 2
	s_lshl_b64 s[2:3], s[20:21], 2
	s_delay_alu instid0(TRANS32_DEP_1)
	v_readfirstlane_b32 s6, v3
	v_mov_b32_e32 v3, v71
	v_lshl_or_b32 v6, v1, 7, v6
	s_add_nc_u64 s[0:1], s[16:17], s[0:1]
	s_wait_kmcnt 0x0
	s_add_nc_u64 s[2:3], s[22:23], s[2:3]
	s_mul_f32 s6, s6, 0x4f7ffffe
	s_sub_co_i32 s18, 0, s25
	v_add_nc_u64_e32 v[88:89], s[2:3], v[2:3]
	v_add_nc_u64_e32 v[90:91], s[0:1], v[4:5]
	s_cvt_u32_f32 s6, s6
	v_dual_mov_b32 v99, v1 :: v_dual_add_nc_u32 v98, 0x120, v6
	v_dual_mov_b32 v86, v71 :: v_dual_mov_b32 v87, v71
	s_delay_alu instid0(SALU_CYCLE_1)
	s_mul_i32 s18, s18, s6
	v_dual_mov_b32 v84, v71 :: v_dual_mov_b32 v85, v71
	v_dual_mov_b32 v82, v71 :: v_dual_mov_b32 v83, v71
	;; [unrolled: 1-line block ×7, first 2 shown]
	s_sub_co_i32 s34, s7, s5
	s_mov_b32 s7, 0
	s_mul_hi_u32 s2, s6, s18
	s_ashr_i32 s5, s9, 31
	s_mov_b32 s4, s9
	s_add_co_i32 s9, s33, -1
	s_mov_b32 s16, s29
	s_add_co_i32 s6, s6, s2
	s_mov_b32 s17, s7
	s_branch .LBB37_45
.LBB37_43:                              ;   in Loop: Header=BB37_45 Depth=1
	s_or_b32 exec_lo, exec_lo, s0
	s_wait_loadcnt_dscnt 0x200
	v_mul_f32_e32 v62, v6, v62
	s_wait_loadcnt 0x1
	v_mul_f32_e32 v66, v6, v66
	v_mul_f32_e32 v50, v6, v50
	;; [unrolled: 1-line block ×3, first 2 shown]
	v_dual_mul_f32 v38, v6, v38 :: v_dual_fmac_f32 v62, v7, v63
	s_delay_alu instid0(VALU_DEP_4) | instskip(NEXT) | instid1(VALU_DEP_4)
	v_dual_fmac_f32 v66, v7, v67 :: v_dual_mul_f32 v46, v6, v46
	v_fmac_f32_e32 v50, v7, v51
	s_delay_alu instid0(VALU_DEP_4) | instskip(NEXT) | instid1(VALU_DEP_3)
	v_dual_fmac_f32 v54, v7, v55 :: v_dual_mul_f32 v26, v6, v26
	v_dual_fmac_f32 v66, v8, v68 :: v_dual_mul_f32 v42, v6, v42
	s_delay_alu instid0(VALU_DEP_4) | instskip(NEXT) | instid1(VALU_DEP_4)
	v_fmac_f32_e32 v46, v7, v47
	v_fmac_f32_e32 v50, v8, v52
	s_delay_alu instid0(VALU_DEP_4) | instskip(SKIP_1) | instid1(VALU_DEP_3)
	v_dual_fmac_f32 v54, v8, v56 :: v_dual_mul_f32 v30, v6, v30
	v_mul_f32_e32 v22, v6, v22
	v_dual_mul_f32 v14, v6, v14 :: v_dual_fmac_f32 v50, v9, v53
	v_fmac_f32_e32 v46, v8, v48
	s_delay_alu instid0(VALU_DEP_4) | instskip(NEXT) | instid1(VALU_DEP_4)
	v_fmac_f32_e32 v54, v9, v57
	v_fmac_f32_e32 v22, v7, v23
	v_dual_fmac_f32 v30, v7, v31 :: v_dual_mul_f32 v23, v6, v18
	v_add_f32_e32 v77, v77, v50
	v_fmac_f32_e32 v46, v9, v49
	v_fmac_f32_e32 v66, v9, v69
	s_delay_alu instid0(VALU_DEP_4) | instskip(SKIP_4) | instid1(VALU_DEP_3)
	v_fmac_f32_e32 v30, v8, v32
	v_dual_fmac_f32 v62, v8, v64 :: v_dual_add_f32 v74, v74, v54
	v_fmac_f32_e32 v22, v8, v24
	v_dual_add_f32 v76, v76, v46 :: v_dual_fmac_f32 v42, v7, v43
	v_add_f32_e32 v72, v72, v66
	v_dual_mul_f32 v34, v6, v34 :: v_dual_fmac_f32 v22, v9, v25
	v_fmac_f32_e32 v26, v7, v27
	s_delay_alu instid0(VALU_DEP_4)
	v_dual_fmac_f32 v42, v8, v44 :: v_dual_fmac_f32 v23, v7, v19
	s_wait_loadcnt 0x0
	v_pk_mul_f32 v[18:19], v[6:7], v[58:59]
	v_add_f32_e32 v82, v82, v22
	v_dual_mul_f32 v22, v6, v2 :: v_dual_fmac_f32 v26, v8, v28
	v_dual_mul_f32 v10, v6, v10 :: v_dual_fmac_f32 v23, v8, v20
	v_fmac_f32_e32 v14, v7, v15
	s_delay_alu instid0(VALU_DEP_3) | instskip(SKIP_4) | instid1(VALU_DEP_3)
	v_fmac_f32_e32 v22, v7, v3
	v_pk_mul_f32 v[2:3], v[8:9], v[60:61]
	v_fmac_f32_e32 v30, v9, v33
	v_dual_fmac_f32 v34, v7, v35 :: v_dual_fmac_f32 v23, v9, v21
	v_dual_fmac_f32 v14, v8, v16 :: v_dual_add_f32 v6, v19, v18
	v_add_f32_e32 v80, v80, v30
	s_delay_alu instid0(VALU_DEP_3) | instskip(NEXT) | instid1(VALU_DEP_3)
	v_dual_fmac_f32 v34, v8, v36 :: v_dual_add_f32 v85, v85, v23
	v_fmac_f32_e32 v14, v9, v17
	s_delay_alu instid0(VALU_DEP_4) | instskip(NEXT) | instid1(VALU_DEP_3)
	v_dual_fmac_f32 v26, v9, v29 :: v_dual_add_f32 v2, v2, v6
	v_fmac_f32_e32 v34, v9, v37
	s_delay_alu instid0(VALU_DEP_3) | instskip(NEXT) | instid1(VALU_DEP_3)
	v_dual_fmac_f32 v38, v7, v39 :: v_dual_add_f32 v84, v84, v14
	v_add_f32_e32 v83, v83, v26
	s_delay_alu instid0(VALU_DEP_4) | instskip(NEXT) | instid1(VALU_DEP_3)
	v_add_f32_e32 v2, v3, v2
	v_dual_add_f32 v81, v81, v34 :: v_dual_fmac_f32 v38, v8, v40
	s_delay_alu instid0(VALU_DEP_2) | instskip(NEXT) | instid1(VALU_DEP_2)
	v_dual_add_f32 v73, v73, v2 :: v_dual_fmac_f32 v22, v8, v4
	v_fmac_f32_e32 v38, v9, v41
	v_fmac_f32_e32 v42, v9, v45
	s_delay_alu instid0(VALU_DEP_3) | instskip(NEXT) | instid1(VALU_DEP_3)
	v_fmac_f32_e32 v22, v9, v5
	v_dual_fmac_f32 v10, v7, v11 :: v_dual_add_f32 v78, v78, v38
	s_delay_alu instid0(VALU_DEP_3) | instskip(NEXT) | instid1(VALU_DEP_2)
	v_dual_fmac_f32 v62, v9, v65 :: v_dual_add_f32 v79, v79, v42
	v_dual_add_f32 v86, v86, v22 :: v_dual_fmac_f32 v10, v8, v12
	s_delay_alu instid0(VALU_DEP_1) | instskip(NEXT) | instid1(VALU_DEP_1)
	v_dual_add_f32 v75, v75, v62 :: v_dual_fmac_f32 v10, v9, v13
	v_add_f32_e32 v87, v87, v10
.LBB37_44:                              ;   in Loop: Header=BB37_45 Depth=1
	s_or_b32 exec_lo, exec_lo, s18
	v_add_nc_u32_e32 v99, 4, v99
	v_add_nc_u64_e32 v[90:91], 16, v[90:91]
	v_add_nc_u32_e32 v70, 0x80, v70
	v_add_nc_u32_e32 v98, 0x200, v98
	s_delay_alu instid0(VALU_DEP_4) | instskip(SKIP_1) | instid1(SALU_CYCLE_1)
	v_cmp_le_i32_e32 vcc_lo, s33, v99
	s_or_b32 s17, vcc_lo, s17
	s_and_not1_b32 exec_lo, exec_lo, s17
	s_cbranch_execz .LBB37_78
.LBB37_45:                              ; =>This Inner Loop Header: Depth=1
	v_mul_u64_e32 v[2:3], s[14:15], v[70:71]
	s_delay_alu instid0(VALU_DEP_1) | instskip(NEXT) | instid1(VALU_DEP_1)
	v_mul_lo_u32 v2, v3, s13
	v_dual_add_nc_u32 v4, 1, v3 :: v_dual_sub_nc_u32 v2, v70, v2
	s_delay_alu instid0(VALU_DEP_1) | instskip(SKIP_1) | instid1(VALU_DEP_2)
	v_subrev_nc_u32_e32 v5, s13, v2
	v_cmp_le_u32_e32 vcc_lo, s13, v2
	v_dual_cndmask_b32 v3, v3, v4 :: v_dual_cndmask_b32 v2, v2, v5
	s_delay_alu instid0(VALU_DEP_1) | instskip(NEXT) | instid1(VALU_DEP_2)
	v_add_nc_u32_e32 v4, 1, v3
	v_cmp_le_u32_e32 vcc_lo, s13, v2
	s_delay_alu instid0(VALU_DEP_2) | instskip(NEXT) | instid1(VALU_DEP_1)
	v_cndmask_b32_e32 v2, v3, v4, vcc_lo
	v_dual_mov_b32 v3, v71 :: v_dual_bitop2_b32 v2, s31, v2 bitop3:0x14
	s_delay_alu instid0(VALU_DEP_1) | instskip(NEXT) | instid1(VALU_DEP_1)
	v_subrev_nc_u32_e32 v6, s31, v2
	v_add_nc_u32_e32 v7, s30, v6
	v_cmp_lt_i32_e64 s0, s34, v6
	s_delay_alu instid0(VALU_DEP_2) | instskip(NEXT) | instid1(VALU_DEP_1)
	v_sub_nc_u32_e32 v2, 0, v7
	v_max_i32_e32 v2, v7, v2
	s_delay_alu instid0(VALU_DEP_1) | instskip(SKIP_1) | instid1(VALU_DEP_2)
	v_mul_u64_e32 v[4:5], s[6:7], v[2:3]
	v_ashrrev_i32_e32 v4, 31, v7
	v_mul_lo_u32 v3, v5, s25
	s_delay_alu instid0(VALU_DEP_1) | instskip(NEXT) | instid1(VALU_DEP_1)
	v_sub_nc_u32_e32 v2, v2, v3
	v_subrev_nc_u32_e32 v3, s25, v2
	v_cmp_le_u32_e32 vcc_lo, s25, v2
	s_delay_alu instid0(VALU_DEP_2) | instskip(NEXT) | instid1(VALU_DEP_1)
	v_cndmask_b32_e32 v2, v2, v3, vcc_lo
	v_subrev_nc_u32_e32 v3, s25, v2
	v_cmp_le_u32_e32 vcc_lo, s25, v2
	s_delay_alu instid0(VALU_DEP_2) | instskip(NEXT) | instid1(VALU_DEP_1)
	v_cndmask_b32_e32 v2, v2, v3, vcc_lo
	v_xor_b32_e32 v2, v2, v4
	s_delay_alu instid0(VALU_DEP_1) | instskip(NEXT) | instid1(VALU_DEP_1)
	v_sub_nc_u32_e32 v2, v2, v4
	v_cmp_eq_u32_e32 vcc_lo, 0, v2
	s_or_b32 s0, vcc_lo, s0
	s_delay_alu instid0(SALU_CYCLE_1)
	s_and_saveexec_b32 s18, s0
	s_cbranch_execz .LBB37_44
; %bb.46:                               ;   in Loop: Header=BB37_45 Depth=1
	global_load_b32 v2, v[90:91], off
	v_add_nc_u32_e32 v100, v97, v70
	ds_load_b128 v[6:9], v98
	v_cmp_eq_u32_e32 vcc_lo, s9, v99
	v_or_b32_e32 v102, 3, v100
	v_dual_add_nc_u32 v103, 1, v100 :: v_dual_bitop2_b32 v101, 2, v100 bitop3:0x54
	s_wait_loadcnt 0x0
	v_ashrrev_i32_e32 v3, 31, v2
	s_delay_alu instid0(VALU_DEP_1) | instskip(NEXT) | instid1(VALU_DEP_1)
	v_mul_u64_e32 v[2:3], s[4:5], v[2:3]
	v_lshl_add_u64 v[58:59], v[2:3], 2, v[88:89]
	global_load_b128 v[2:5], v[58:59], off
	s_wait_xcnt 0x0
	s_and_saveexec_b32 s1, vcc_lo
	s_cbranch_execnz .LBB37_62
; %bb.47:                               ;   in Loop: Header=BB37_45 Depth=1
	s_or_b32 exec_lo, exec_lo, s1
	global_load_b128 v[10:13], v[58:59], off offset:512
	s_wait_xcnt 0x0
	s_and_saveexec_b32 s1, vcc_lo
	s_cbranch_execnz .LBB37_63
.LBB37_48:                              ;   in Loop: Header=BB37_45 Depth=1
	s_or_b32 exec_lo, exec_lo, s1
	global_load_b128 v[14:17], v[58:59], off offset:1024
	s_wait_xcnt 0x0
	s_and_saveexec_b32 s1, vcc_lo
	s_cbranch_execnz .LBB37_64
.LBB37_49:                              ;   in Loop: Header=BB37_45 Depth=1
	s_or_b32 exec_lo, exec_lo, s1
	global_load_b128 v[18:21], v[58:59], off offset:1536
	s_wait_xcnt 0x0
	s_and_saveexec_b32 s1, vcc_lo
	s_cbranch_execnz .LBB37_65
.LBB37_50:                              ;   in Loop: Header=BB37_45 Depth=1
	s_or_b32 exec_lo, exec_lo, s1
	global_load_b128 v[22:25], v[58:59], off offset:2048
	s_wait_xcnt 0x0
	s_and_saveexec_b32 s1, vcc_lo
	s_cbranch_execnz .LBB37_66
.LBB37_51:                              ;   in Loop: Header=BB37_45 Depth=1
	s_or_b32 exec_lo, exec_lo, s1
	global_load_b128 v[26:29], v[58:59], off offset:2560
	s_wait_xcnt 0x0
	s_and_saveexec_b32 s1, vcc_lo
	s_cbranch_execnz .LBB37_67
.LBB37_52:                              ;   in Loop: Header=BB37_45 Depth=1
	s_or_b32 exec_lo, exec_lo, s1
	global_load_b128 v[30:33], v[58:59], off offset:3072
	s_wait_xcnt 0x0
	s_and_saveexec_b32 s1, vcc_lo
	s_cbranch_execnz .LBB37_68
.LBB37_53:                              ;   in Loop: Header=BB37_45 Depth=1
	s_or_b32 exec_lo, exec_lo, s1
	global_load_b128 v[34:37], v[58:59], off offset:3584
	s_wait_xcnt 0x0
	s_and_saveexec_b32 s1, vcc_lo
	s_cbranch_execnz .LBB37_69
.LBB37_54:                              ;   in Loop: Header=BB37_45 Depth=1
	s_or_b32 exec_lo, exec_lo, s1
	global_load_b128 v[38:41], v[58:59], off offset:4096
	s_wait_xcnt 0x0
	s_and_saveexec_b32 s1, vcc_lo
	s_cbranch_execnz .LBB37_70
.LBB37_55:                              ;   in Loop: Header=BB37_45 Depth=1
	s_or_b32 exec_lo, exec_lo, s1
	global_load_b128 v[42:45], v[58:59], off offset:4608
	s_wait_xcnt 0x0
	s_and_saveexec_b32 s1, vcc_lo
	s_cbranch_execnz .LBB37_71
.LBB37_56:                              ;   in Loop: Header=BB37_45 Depth=1
	s_or_b32 exec_lo, exec_lo, s1
	global_load_b128 v[46:49], v[58:59], off offset:5120
	s_wait_xcnt 0x0
	s_and_saveexec_b32 s1, vcc_lo
	s_cbranch_execnz .LBB37_72
.LBB37_57:                              ;   in Loop: Header=BB37_45 Depth=1
	s_or_b32 exec_lo, exec_lo, s1
	global_load_b128 v[50:53], v[58:59], off offset:5632
	s_wait_xcnt 0x0
	s_and_saveexec_b32 s1, vcc_lo
	s_cbranch_execnz .LBB37_73
.LBB37_58:                              ;   in Loop: Header=BB37_45 Depth=1
	s_or_b32 exec_lo, exec_lo, s1
	global_load_b128 v[54:57], v[58:59], off offset:6144
	s_wait_xcnt 0x0
	s_and_saveexec_b32 s1, vcc_lo
	s_cbranch_execnz .LBB37_74
.LBB37_59:                              ;   in Loop: Header=BB37_45 Depth=1
	s_or_b32 exec_lo, exec_lo, s1
	global_load_b128 v[62:65], v[58:59], off offset:6656
	s_wait_xcnt 0x0
	s_and_saveexec_b32 s19, vcc_lo
	s_cbranch_execnz .LBB37_75
.LBB37_60:                              ;   in Loop: Header=BB37_45 Depth=1
	s_or_b32 exec_lo, exec_lo, s19
	global_load_b128 v[66:69], v[58:59], off offset:7168
	s_wait_xcnt 0x0
	s_and_saveexec_b32 s1, vcc_lo
	s_cbranch_execnz .LBB37_76
.LBB37_61:                              ;   in Loop: Header=BB37_45 Depth=1
	s_or_b32 exec_lo, exec_lo, s1
	global_load_b128 v[58:61], v[58:59], off offset:7680
	s_wait_xcnt 0x0
	s_and_saveexec_b32 s0, vcc_lo
	s_cbranch_execz .LBB37_43
	s_branch .LBB37_77
.LBB37_62:                              ;   in Loop: Header=BB37_45 Depth=1
	v_cmp_gt_i32_e64 s0, s16, v103
	s_wait_loadcnt 0x0
	s_delay_alu instid0(VALU_DEP_1) | instskip(SKIP_1) | instid1(VALU_DEP_1)
	v_cndmask_b32_e64 v3, 0, v3, s0
	v_cmp_gt_i32_e64 s0, s29, v100
	v_cndmask_b32_e64 v2, 0, v2, s0
	v_cmp_gt_i32_e64 s0, s16, v102
	s_delay_alu instid0(VALU_DEP_1) | instskip(SKIP_1) | instid1(VALU_DEP_1)
	v_cndmask_b32_e64 v5, 0, v5, s0
	v_cmp_gt_i32_e64 s0, s29, v101
	v_cndmask_b32_e64 v4, 0, v4, s0
	s_or_b32 exec_lo, exec_lo, s1
	global_load_b128 v[10:13], v[58:59], off offset:512
	s_wait_xcnt 0x0
	s_and_saveexec_b32 s1, vcc_lo
	s_cbranch_execz .LBB37_48
.LBB37_63:                              ;   in Loop: Header=BB37_45 Depth=1
	v_cmp_gt_i32_e64 s0, s16, v103
	s_wait_loadcnt 0x0
	s_delay_alu instid0(VALU_DEP_1) | instskip(SKIP_1) | instid1(VALU_DEP_1)
	v_cndmask_b32_e64 v11, 0, v11, s0
	v_cmp_gt_i32_e64 s0, s29, v100
	v_cndmask_b32_e64 v10, 0, v10, s0
	v_cmp_gt_i32_e64 s0, s16, v102
	s_delay_alu instid0(VALU_DEP_1) | instskip(SKIP_1) | instid1(VALU_DEP_1)
	v_cndmask_b32_e64 v13, 0, v13, s0
	v_cmp_gt_i32_e64 s0, s29, v101
	v_cndmask_b32_e64 v12, 0, v12, s0
	s_or_b32 exec_lo, exec_lo, s1
	global_load_b128 v[14:17], v[58:59], off offset:1024
	s_wait_xcnt 0x0
	s_and_saveexec_b32 s1, vcc_lo
	s_cbranch_execz .LBB37_49
.LBB37_64:                              ;   in Loop: Header=BB37_45 Depth=1
	v_cmp_gt_i32_e64 s0, s16, v103
	s_wait_loadcnt 0x0
	s_delay_alu instid0(VALU_DEP_1) | instskip(SKIP_1) | instid1(VALU_DEP_1)
	v_cndmask_b32_e64 v15, 0, v15, s0
	v_cmp_gt_i32_e64 s0, s29, v100
	v_cndmask_b32_e64 v14, 0, v14, s0
	v_cmp_gt_i32_e64 s0, s16, v102
	s_delay_alu instid0(VALU_DEP_1) | instskip(SKIP_1) | instid1(VALU_DEP_1)
	v_cndmask_b32_e64 v17, 0, v17, s0
	v_cmp_gt_i32_e64 s0, s29, v101
	v_cndmask_b32_e64 v16, 0, v16, s0
	s_or_b32 exec_lo, exec_lo, s1
	global_load_b128 v[18:21], v[58:59], off offset:1536
	s_wait_xcnt 0x0
	s_and_saveexec_b32 s1, vcc_lo
	s_cbranch_execz .LBB37_50
.LBB37_65:                              ;   in Loop: Header=BB37_45 Depth=1
	v_cmp_gt_i32_e64 s0, s16, v103
	s_wait_loadcnt 0x0
	s_delay_alu instid0(VALU_DEP_1) | instskip(SKIP_1) | instid1(VALU_DEP_1)
	v_cndmask_b32_e64 v19, 0, v19, s0
	v_cmp_gt_i32_e64 s0, s29, v100
	v_cndmask_b32_e64 v18, 0, v18, s0
	v_cmp_gt_i32_e64 s0, s16, v102
	s_delay_alu instid0(VALU_DEP_1) | instskip(SKIP_1) | instid1(VALU_DEP_1)
	v_cndmask_b32_e64 v21, 0, v21, s0
	v_cmp_gt_i32_e64 s0, s29, v101
	v_cndmask_b32_e64 v20, 0, v20, s0
	s_or_b32 exec_lo, exec_lo, s1
	global_load_b128 v[22:25], v[58:59], off offset:2048
	s_wait_xcnt 0x0
	s_and_saveexec_b32 s1, vcc_lo
	s_cbranch_execz .LBB37_51
.LBB37_66:                              ;   in Loop: Header=BB37_45 Depth=1
	v_cmp_gt_i32_e64 s0, s16, v103
	s_wait_loadcnt 0x0
	s_delay_alu instid0(VALU_DEP_1) | instskip(SKIP_1) | instid1(VALU_DEP_1)
	v_cndmask_b32_e64 v23, 0, v23, s0
	v_cmp_gt_i32_e64 s0, s29, v100
	v_cndmask_b32_e64 v22, 0, v22, s0
	v_cmp_gt_i32_e64 s0, s16, v102
	s_delay_alu instid0(VALU_DEP_1) | instskip(SKIP_1) | instid1(VALU_DEP_1)
	v_cndmask_b32_e64 v25, 0, v25, s0
	v_cmp_gt_i32_e64 s0, s29, v101
	v_cndmask_b32_e64 v24, 0, v24, s0
	s_or_b32 exec_lo, exec_lo, s1
	global_load_b128 v[26:29], v[58:59], off offset:2560
	s_wait_xcnt 0x0
	s_and_saveexec_b32 s1, vcc_lo
	s_cbranch_execz .LBB37_52
.LBB37_67:                              ;   in Loop: Header=BB37_45 Depth=1
	v_cmp_gt_i32_e64 s0, s16, v103
	s_wait_loadcnt 0x0
	s_delay_alu instid0(VALU_DEP_1) | instskip(SKIP_1) | instid1(VALU_DEP_1)
	v_cndmask_b32_e64 v27, 0, v27, s0
	v_cmp_gt_i32_e64 s0, s29, v100
	v_cndmask_b32_e64 v26, 0, v26, s0
	v_cmp_gt_i32_e64 s0, s16, v102
	s_delay_alu instid0(VALU_DEP_1) | instskip(SKIP_1) | instid1(VALU_DEP_1)
	v_cndmask_b32_e64 v29, 0, v29, s0
	v_cmp_gt_i32_e64 s0, s29, v101
	v_cndmask_b32_e64 v28, 0, v28, s0
	s_or_b32 exec_lo, exec_lo, s1
	global_load_b128 v[30:33], v[58:59], off offset:3072
	s_wait_xcnt 0x0
	s_and_saveexec_b32 s1, vcc_lo
	s_cbranch_execz .LBB37_53
.LBB37_68:                              ;   in Loop: Header=BB37_45 Depth=1
	v_cmp_gt_i32_e64 s0, s16, v103
	s_wait_loadcnt 0x0
	s_delay_alu instid0(VALU_DEP_1) | instskip(SKIP_1) | instid1(VALU_DEP_1)
	v_cndmask_b32_e64 v31, 0, v31, s0
	v_cmp_gt_i32_e64 s0, s29, v100
	v_cndmask_b32_e64 v30, 0, v30, s0
	v_cmp_gt_i32_e64 s0, s16, v102
	s_delay_alu instid0(VALU_DEP_1) | instskip(SKIP_1) | instid1(VALU_DEP_1)
	v_cndmask_b32_e64 v33, 0, v33, s0
	v_cmp_gt_i32_e64 s0, s29, v101
	v_cndmask_b32_e64 v32, 0, v32, s0
	s_or_b32 exec_lo, exec_lo, s1
	global_load_b128 v[34:37], v[58:59], off offset:3584
	s_wait_xcnt 0x0
	s_and_saveexec_b32 s1, vcc_lo
	s_cbranch_execz .LBB37_54
.LBB37_69:                              ;   in Loop: Header=BB37_45 Depth=1
	v_cmp_gt_i32_e64 s0, s16, v103
	s_wait_loadcnt 0x0
	s_delay_alu instid0(VALU_DEP_1) | instskip(SKIP_1) | instid1(VALU_DEP_1)
	v_cndmask_b32_e64 v35, 0, v35, s0
	v_cmp_gt_i32_e64 s0, s29, v100
	v_cndmask_b32_e64 v34, 0, v34, s0
	v_cmp_gt_i32_e64 s0, s16, v102
	s_delay_alu instid0(VALU_DEP_1) | instskip(SKIP_1) | instid1(VALU_DEP_1)
	v_cndmask_b32_e64 v37, 0, v37, s0
	v_cmp_gt_i32_e64 s0, s29, v101
	v_cndmask_b32_e64 v36, 0, v36, s0
	s_or_b32 exec_lo, exec_lo, s1
	global_load_b128 v[38:41], v[58:59], off offset:4096
	s_wait_xcnt 0x0
	s_and_saveexec_b32 s1, vcc_lo
	s_cbranch_execz .LBB37_55
.LBB37_70:                              ;   in Loop: Header=BB37_45 Depth=1
	v_cmp_gt_i32_e64 s0, s16, v103
	s_wait_loadcnt 0x0
	s_delay_alu instid0(VALU_DEP_1) | instskip(SKIP_1) | instid1(VALU_DEP_1)
	v_cndmask_b32_e64 v39, 0, v39, s0
	v_cmp_gt_i32_e64 s0, s29, v100
	v_cndmask_b32_e64 v38, 0, v38, s0
	v_cmp_gt_i32_e64 s0, s16, v102
	s_delay_alu instid0(VALU_DEP_1) | instskip(SKIP_1) | instid1(VALU_DEP_1)
	v_cndmask_b32_e64 v41, 0, v41, s0
	v_cmp_gt_i32_e64 s0, s29, v101
	v_cndmask_b32_e64 v40, 0, v40, s0
	s_or_b32 exec_lo, exec_lo, s1
	global_load_b128 v[42:45], v[58:59], off offset:4608
	s_wait_xcnt 0x0
	s_and_saveexec_b32 s1, vcc_lo
	s_cbranch_execz .LBB37_56
.LBB37_71:                              ;   in Loop: Header=BB37_45 Depth=1
	v_cmp_gt_i32_e64 s0, s16, v103
	s_wait_loadcnt 0x0
	s_delay_alu instid0(VALU_DEP_1) | instskip(SKIP_1) | instid1(VALU_DEP_1)
	v_cndmask_b32_e64 v43, 0, v43, s0
	v_cmp_gt_i32_e64 s0, s29, v100
	v_cndmask_b32_e64 v42, 0, v42, s0
	v_cmp_gt_i32_e64 s0, s16, v102
	s_delay_alu instid0(VALU_DEP_1) | instskip(SKIP_1) | instid1(VALU_DEP_1)
	v_cndmask_b32_e64 v45, 0, v45, s0
	v_cmp_gt_i32_e64 s0, s29, v101
	v_cndmask_b32_e64 v44, 0, v44, s0
	s_or_b32 exec_lo, exec_lo, s1
	global_load_b128 v[46:49], v[58:59], off offset:5120
	s_wait_xcnt 0x0
	s_and_saveexec_b32 s1, vcc_lo
	s_cbranch_execz .LBB37_57
.LBB37_72:                              ;   in Loop: Header=BB37_45 Depth=1
	v_cmp_gt_i32_e64 s0, s16, v103
	s_wait_loadcnt 0x0
	s_delay_alu instid0(VALU_DEP_1) | instskip(SKIP_1) | instid1(VALU_DEP_1)
	v_cndmask_b32_e64 v47, 0, v47, s0
	v_cmp_gt_i32_e64 s0, s29, v100
	v_cndmask_b32_e64 v46, 0, v46, s0
	v_cmp_gt_i32_e64 s0, s16, v102
	s_delay_alu instid0(VALU_DEP_1) | instskip(SKIP_1) | instid1(VALU_DEP_1)
	v_cndmask_b32_e64 v49, 0, v49, s0
	v_cmp_gt_i32_e64 s0, s29, v101
	v_cndmask_b32_e64 v48, 0, v48, s0
	s_or_b32 exec_lo, exec_lo, s1
	global_load_b128 v[50:53], v[58:59], off offset:5632
	s_wait_xcnt 0x0
	s_and_saveexec_b32 s1, vcc_lo
	s_cbranch_execz .LBB37_58
.LBB37_73:                              ;   in Loop: Header=BB37_45 Depth=1
	v_cmp_gt_i32_e64 s0, s16, v103
	s_wait_loadcnt 0x0
	s_delay_alu instid0(VALU_DEP_1) | instskip(SKIP_1) | instid1(VALU_DEP_1)
	v_cndmask_b32_e64 v51, 0, v51, s0
	v_cmp_gt_i32_e64 s0, s29, v100
	v_cndmask_b32_e64 v50, 0, v50, s0
	v_cmp_gt_i32_e64 s0, s16, v102
	s_delay_alu instid0(VALU_DEP_1) | instskip(SKIP_1) | instid1(VALU_DEP_1)
	v_cndmask_b32_e64 v53, 0, v53, s0
	v_cmp_gt_i32_e64 s0, s29, v101
	v_cndmask_b32_e64 v52, 0, v52, s0
	s_or_b32 exec_lo, exec_lo, s1
	global_load_b128 v[54:57], v[58:59], off offset:6144
	s_wait_xcnt 0x0
	s_and_saveexec_b32 s1, vcc_lo
	s_cbranch_execz .LBB37_59
.LBB37_74:                              ;   in Loop: Header=BB37_45 Depth=1
	v_cmp_gt_i32_e64 s0, s16, v103
	s_wait_loadcnt 0x0
	s_delay_alu instid0(VALU_DEP_1) | instskip(SKIP_1) | instid1(VALU_DEP_1)
	v_cndmask_b32_e64 v55, 0, v55, s0
	v_cmp_gt_i32_e64 s0, s29, v100
	v_cndmask_b32_e64 v54, 0, v54, s0
	v_cmp_gt_i32_e64 s0, s16, v102
	s_delay_alu instid0(VALU_DEP_1) | instskip(SKIP_1) | instid1(VALU_DEP_1)
	v_cndmask_b32_e64 v57, 0, v57, s0
	v_cmp_gt_i32_e64 s0, s29, v101
	v_cndmask_b32_e64 v56, 0, v56, s0
	s_or_b32 exec_lo, exec_lo, s1
	global_load_b128 v[62:65], v[58:59], off offset:6656
	s_wait_xcnt 0x0
	s_and_saveexec_b32 s19, vcc_lo
	s_cbranch_execz .LBB37_60
.LBB37_75:                              ;   in Loop: Header=BB37_45 Depth=1
	v_cmp_gt_i32_e64 s0, s16, v103
	v_cmp_gt_i32_e64 s1, s29, v100
	;; [unrolled: 1-line block ×4, first 2 shown]
	s_wait_loadcnt 0x0
	s_delay_alu instid0(VALU_DEP_3) | instskip(NEXT) | instid1(VALU_DEP_2)
	v_dual_cndmask_b32 v63, 0, v63, s0 :: v_dual_cndmask_b32 v62, 0, v62, s1
	v_dual_cndmask_b32 v65, 0, v65, s2 :: v_dual_cndmask_b32 v64, 0, v64, s3
	s_or_b32 exec_lo, exec_lo, s19
	global_load_b128 v[66:69], v[58:59], off offset:7168
	s_wait_xcnt 0x0
	s_and_saveexec_b32 s1, vcc_lo
	s_cbranch_execz .LBB37_61
.LBB37_76:                              ;   in Loop: Header=BB37_45 Depth=1
	v_cmp_gt_i32_e64 s0, s16, v103
	s_wait_loadcnt 0x0
	s_delay_alu instid0(VALU_DEP_1) | instskip(SKIP_1) | instid1(VALU_DEP_1)
	v_cndmask_b32_e64 v67, 0, v67, s0
	v_cmp_gt_i32_e64 s0, s29, v100
	v_cndmask_b32_e64 v66, 0, v66, s0
	v_cmp_gt_i32_e64 s0, s16, v102
	s_delay_alu instid0(VALU_DEP_1) | instskip(SKIP_1) | instid1(VALU_DEP_1)
	v_cndmask_b32_e64 v69, 0, v69, s0
	v_cmp_gt_i32_e64 s0, s29, v101
	v_cndmask_b32_e64 v68, 0, v68, s0
	s_or_b32 exec_lo, exec_lo, s1
	global_load_b128 v[58:61], v[58:59], off offset:7680
	s_wait_xcnt 0x0
	s_and_saveexec_b32 s0, vcc_lo
	s_cbranch_execz .LBB37_43
.LBB37_77:                              ;   in Loop: Header=BB37_45 Depth=1
	v_cmp_gt_i32_e32 vcc_lo, s16, v103
	s_wait_loadcnt 0x0
	v_cndmask_b32_e32 v59, 0, v59, vcc_lo
	v_cmp_gt_i32_e32 vcc_lo, s29, v100
	v_cndmask_b32_e32 v58, 0, v58, vcc_lo
	v_cmp_gt_i32_e32 vcc_lo, s16, v102
	;; [unrolled: 2-line block ×3, first 2 shown]
	v_cndmask_b32_e32 v60, 0, v60, vcc_lo
	s_branch .LBB37_43
.LBB37_78:
	s_or_b32 exec_lo, exec_lo, s17
.LBB37_79:
	s_delay_alu instid0(SALU_CYCLE_1)
	s_or_b32 exec_lo, exec_lo, s24
	ds_bpermute_b32 v2, v95, v86
	ds_bpermute_b32 v3, v95, v87
	;; [unrolled: 1-line block ×16, first 2 shown]
	s_mov_b32 s0, exec_lo
	s_wait_dscnt 0x0
	s_barrier_signal -1
	s_barrier_wait -1
	v_pk_add_f32 v[2:3], v[86:87], v[2:3]
	v_pk_add_f32 v[4:5], v[84:85], v[4:5]
	;; [unrolled: 1-line block ×3, first 2 shown]
	ds_bpermute_b32 v18, v94, v2
	v_pk_add_f32 v[8:9], v[80:81], v[8:9]
	ds_bpermute_b32 v19, v94, v3
	v_pk_add_f32 v[10:11], v[78:79], v[10:11]
	;; [unrolled: 2-line block ×4, first 2 shown]
	ds_bpermute_b32 v22, v94, v6
	ds_bpermute_b32 v23, v94, v7
	;; [unrolled: 1-line block ×6, first 2 shown]
	v_pk_add_f32 v[16:17], v[72:73], v[16:17]
	ds_bpermute_b32 v28, v94, v12
	ds_bpermute_b32 v29, v94, v13
	;; [unrolled: 1-line block ×6, first 2 shown]
	s_wait_dscnt 0xe
	v_pk_add_f32 v[2:3], v[2:3], v[18:19]
	s_wait_dscnt 0xc
	v_pk_add_f32 v[4:5], v[4:5], v[20:21]
	s_wait_dscnt 0xa
	v_pk_add_f32 v[6:7], v[6:7], v[22:23]
	s_wait_dscnt 0x8
	v_pk_add_f32 v[8:9], v[8:9], v[24:25]
	ds_bpermute_b32 v22, v93, v4
	s_wait_dscnt 0x7
	v_pk_add_f32 v[20:21], v[10:11], v[26:27]
	ds_bpermute_b32 v10, v93, v2
	ds_bpermute_b32 v11, v93, v3
	s_wait_dscnt 0x7
	v_pk_add_f32 v[28:29], v[12:13], v[28:29]
	ds_bpermute_b32 v23, v93, v5
	s_wait_dscnt 0x6
	v_pk_add_f32 v[30:31], v[14:15], v[30:31]
	ds_bpermute_b32 v24, v93, v6
	ds_bpermute_b32 v25, v93, v7
	;; [unrolled: 1-line block ×10, first 2 shown]
	s_wait_dscnt 0xe
	v_pk_add_f32 v[16:17], v[16:17], v[32:33]
	v_and_b32_e32 v32, 0x3c7, v0
	ds_bpermute_b32 v18, v93, v16
	s_wait_dscnt 0xc
	v_pk_add_f32 v[14:15], v[2:3], v[10:11]
	ds_bpermute_b32 v19, v93, v17
	s_wait_dscnt 0xc
	v_pk_add_f32 v[12:13], v[4:5], v[22:23]
	s_wait_dscnt 0xa
	v_pk_add_f32 v[10:11], v[6:7], v[24:25]
	;; [unrolled: 2-line block ×4, first 2 shown]
	v_lshrrev_b32_e32 v20, 3, v92
	s_wait_dscnt 0x4
	v_pk_add_f32 v[4:5], v[28:29], v[36:37]
	s_wait_dscnt 0x2
	v_pk_add_f32 v[2:3], v[30:31], v[38:39]
	v_cmpx_ne_u32_e32 64, v32
	s_xor_b32 s0, exec_lo, s0
	s_delay_alu instid0(SALU_CYCLE_1)
	s_or_saveexec_b32 s0, s0
	s_wait_dscnt 0x0
	v_pk_add_f32 v[16:17], v[16:17], v[18:19]
	v_lshl_add_u32 v18, v20, 2, 0x120
	v_lshlrev_b32_e32 v1, 8, v1
	s_xor_b32 exec_lo, exec_lo, s0
	s_cbranch_execz .LBB37_81
; %bb.80:
	s_delay_alu instid0(VALU_DEP_1) | instskip(NEXT) | instid1(VALU_DEP_1)
	v_add_nc_u32_e32 v19, v18, v1
	v_add_nc_u32_e32 v21, 0xfffffe00, v19
	;; [unrolled: 1-line block ×9, first 2 shown]
	ds_store_b32 v21, v14
	ds_store_b32 v22, v15
	;; [unrolled: 1-line block ×8, first 2 shown]
	v_add_nc_u32_e32 v21, 0xfffffe80, v19
	v_add_nc_u32_e32 v22, 0xfffffe90, v19
	;; [unrolled: 1-line block ×8, first 2 shown]
	ds_store_b32 v21, v6
	ds_store_b32 v22, v7
	;; [unrolled: 1-line block ×8, first 2 shown]
.LBB37_81:
	s_or_b32 exec_lo, exec_lo, s0
	v_lshlrev_b32_e32 v19, 2, v20
	s_mov_b32 s1, exec_lo
	v_cmp_eq_u32_e32 vcc_lo, 0, v96
	s_wait_dscnt 0x0
	s_barrier_signal -1
	v_add3_u32 v1, 0x120, v1, v19
	s_barrier_wait -1
	v_cmpx_gt_u32_e32 64, v0
	s_cbranch_execz .LBB37_100
; %bb.82:
	s_and_saveexec_b32 s0, vcc_lo
	s_cbranch_execnz .LBB37_124
; %bb.83:
	s_or_b32 exec_lo, exec_lo, s0
	s_and_saveexec_b32 s0, vcc_lo
	s_cbranch_execnz .LBB37_125
.LBB37_84:
	s_or_b32 exec_lo, exec_lo, s0
	s_and_saveexec_b32 s0, vcc_lo
	s_cbranch_execnz .LBB37_126
.LBB37_85:
	s_or_b32 exec_lo, exec_lo, s0
	s_and_saveexec_b32 s0, vcc_lo
	s_cbranch_execnz .LBB37_127
.LBB37_86:
	s_or_b32 exec_lo, exec_lo, s0
	s_and_saveexec_b32 s0, vcc_lo
	s_cbranch_execnz .LBB37_128
.LBB37_87:
	s_or_b32 exec_lo, exec_lo, s0
	s_and_saveexec_b32 s0, vcc_lo
	s_cbranch_execnz .LBB37_129
.LBB37_88:
	s_or_b32 exec_lo, exec_lo, s0
	s_and_saveexec_b32 s0, vcc_lo
	s_cbranch_execnz .LBB37_130
.LBB37_89:
	s_or_b32 exec_lo, exec_lo, s0
	s_and_saveexec_b32 s0, vcc_lo
	s_cbranch_execnz .LBB37_131
.LBB37_90:
	s_or_b32 exec_lo, exec_lo, s0
	s_and_saveexec_b32 s0, vcc_lo
	s_cbranch_execnz .LBB37_132
.LBB37_91:
	s_or_b32 exec_lo, exec_lo, s0
	s_and_saveexec_b32 s0, vcc_lo
	s_cbranch_execnz .LBB37_133
.LBB37_92:
	s_or_b32 exec_lo, exec_lo, s0
	s_and_saveexec_b32 s0, vcc_lo
	s_cbranch_execnz .LBB37_134
.LBB37_93:
	s_or_b32 exec_lo, exec_lo, s0
	s_and_saveexec_b32 s0, vcc_lo
	s_cbranch_execnz .LBB37_135
.LBB37_94:
	s_or_b32 exec_lo, exec_lo, s0
	s_and_saveexec_b32 s0, vcc_lo
	s_cbranch_execnz .LBB37_136
.LBB37_95:
	s_or_b32 exec_lo, exec_lo, s0
	s_and_saveexec_b32 s0, vcc_lo
	s_cbranch_execnz .LBB37_137
.LBB37_96:
	s_or_b32 exec_lo, exec_lo, s0
	s_and_saveexec_b32 s0, vcc_lo
	s_cbranch_execnz .LBB37_138
.LBB37_97:
	s_or_b32 exec_lo, exec_lo, s0
	s_and_saveexec_b32 s0, vcc_lo
	s_cbranch_execz .LBB37_99
.LBB37_98:
	ds_load_b32 v19, v1 offset:240
	s_wait_dscnt 0x0
	v_add_f32_e32 v17, v17, v19
.LBB37_99:
	s_or_b32 exec_lo, exec_lo, s0
.LBB37_100:
	s_delay_alu instid0(SALU_CYCLE_1) | instskip(SKIP_4) | instid1(VALU_DEP_1)
	s_or_b32 exec_lo, exec_lo, s1
	v_and_b32_e32 v19, 0x3e7, v0
	s_mov_b32 s1, exec_lo
	s_barrier_signal -1
	s_barrier_wait -1
	v_cmpx_eq_u32_e32 32, v19
	s_cbranch_execz .LBB37_102
; %bb.101:
	ds_store_2addr_b32 v18, v14, v15 offset1:4
	ds_store_2addr_b32 v18, v12, v13 offset0:8 offset1:12
	ds_store_2addr_b32 v18, v10, v11 offset0:16 offset1:20
	ds_store_2addr_b32 v18, v8, v9 offset0:24 offset1:28
	ds_store_2addr_b32 v18, v6, v7 offset0:32 offset1:36
	ds_store_2addr_b32 v18, v4, v5 offset0:40 offset1:44
	ds_store_2addr_b32 v18, v2, v3 offset0:48 offset1:52
	ds_store_2addr_b32 v18, v16, v17 offset0:56 offset1:60
.LBB37_102:
	s_or_b32 exec_lo, exec_lo, s1
	s_delay_alu instid0(SALU_CYCLE_1)
	s_mov_b32 s1, exec_lo
	s_wait_dscnt 0x0
	s_barrier_signal -1
	s_barrier_wait -1
	v_cmpx_gt_u32_e32 32, v0
	s_cbranch_execz .LBB37_121
; %bb.103:
	s_and_saveexec_b32 s0, vcc_lo
	s_cbranch_execnz .LBB37_139
; %bb.104:
	s_or_b32 exec_lo, exec_lo, s0
	s_and_saveexec_b32 s0, vcc_lo
	s_cbranch_execnz .LBB37_140
.LBB37_105:
	s_or_b32 exec_lo, exec_lo, s0
	s_and_saveexec_b32 s0, vcc_lo
	s_cbranch_execnz .LBB37_141
.LBB37_106:
	s_or_b32 exec_lo, exec_lo, s0
	s_and_saveexec_b32 s0, vcc_lo
	s_cbranch_execnz .LBB37_142
.LBB37_107:
	s_or_b32 exec_lo, exec_lo, s0
	s_and_saveexec_b32 s0, vcc_lo
	s_cbranch_execnz .LBB37_143
.LBB37_108:
	s_or_b32 exec_lo, exec_lo, s0
	s_and_saveexec_b32 s0, vcc_lo
	s_cbranch_execnz .LBB37_144
.LBB37_109:
	s_or_b32 exec_lo, exec_lo, s0
	s_and_saveexec_b32 s0, vcc_lo
	s_cbranch_execnz .LBB37_145
.LBB37_110:
	s_or_b32 exec_lo, exec_lo, s0
	s_and_saveexec_b32 s0, vcc_lo
	s_cbranch_execnz .LBB37_146
.LBB37_111:
	s_or_b32 exec_lo, exec_lo, s0
	s_and_saveexec_b32 s0, vcc_lo
	s_cbranch_execnz .LBB37_147
.LBB37_112:
	s_or_b32 exec_lo, exec_lo, s0
	s_and_saveexec_b32 s0, vcc_lo
	s_cbranch_execnz .LBB37_148
.LBB37_113:
	s_or_b32 exec_lo, exec_lo, s0
	s_and_saveexec_b32 s0, vcc_lo
	s_cbranch_execnz .LBB37_149
.LBB37_114:
	s_or_b32 exec_lo, exec_lo, s0
	s_and_saveexec_b32 s0, vcc_lo
	s_cbranch_execnz .LBB37_150
.LBB37_115:
	s_or_b32 exec_lo, exec_lo, s0
	s_and_saveexec_b32 s0, vcc_lo
	s_cbranch_execnz .LBB37_151
.LBB37_116:
	s_or_b32 exec_lo, exec_lo, s0
	s_and_saveexec_b32 s0, vcc_lo
	s_cbranch_execnz .LBB37_152
.LBB37_117:
	s_or_b32 exec_lo, exec_lo, s0
	s_and_saveexec_b32 s0, vcc_lo
	s_cbranch_execnz .LBB37_153
.LBB37_118:
	s_or_b32 exec_lo, exec_lo, s0
	s_and_saveexec_b32 s0, vcc_lo
	s_cbranch_execz .LBB37_120
.LBB37_119:
	ds_load_b32 v1, v1 offset:240
	s_wait_dscnt 0x0
	v_add_f32_e32 v17, v17, v1
.LBB37_120:
	s_or_b32 exec_lo, exec_lo, s0
.LBB37_121:
	s_delay_alu instid0(SALU_CYCLE_1)
	s_or_b32 exec_lo, exec_lo, s1
	s_mov_b32 s1, 0
	s_barrier_signal -1
	s_barrier_wait -1
	s_mov_b32 s0, exec_lo
	v_cmpx_eq_u32_e32 0, v19
	s_cbranch_execz .LBB37_123
; %bb.122:
	s_mul_i32 s0, s28, s8
	s_mul_i32 s2, s8, s12
	;; [unrolled: 1-line block ×3, first 2 shown]
	s_lshr_b32 s6, ttmp7, 16
	s_lshl_b32 s4, s0, 6
	s_bfe_u32 s0, ttmp6, 0x40014
	s_ashr_i32 s5, s4, 31
	s_add_co_i32 s0, s0, 1
	s_ashr_i32 s3, s2, 31
	s_mul_i32 s0, s6, s0
	s_bfe_u32 s7, ttmp6, 0x40008
	s_lshl_b64 s[4:5], s[4:5], 2
	s_lshl_b64 s[2:3], s[2:3], 2
	s_add_co_i32 s7, s7, s0
	s_cmp_eq_u32 s26, 0
	s_wait_kmcnt 0x0
	s_add_nc_u64 s[4:5], s[10:11], s[4:5]
	s_cselect_b32 s0, s6, s7
	v_lshrrev_b32_e32 v0, 1, v0
	s_add_nc_u64 s[2:3], s[4:5], s[2:3]
	s_lshl_b32 s0, s0, 8
	s_delay_alu instid0(SALU_CYCLE_1)
	s_add_nc_u64 s[0:1], s[2:3], s[0:1]
	s_clause 0xf
	global_store_b32 v0, v14, s[0:1]
	global_store_b32 v0, v15, s[0:1] offset:16
	global_store_b32 v0, v12, s[0:1] offset:32
	;; [unrolled: 1-line block ×15, first 2 shown]
.LBB37_123:
	s_sendmsg sendmsg(MSG_DEALLOC_VGPRS)
	s_endpgm
.LBB37_124:
	ds_load_b32 v19, v1
	s_wait_dscnt 0x0
	v_add_f32_e32 v14, v14, v19
	s_or_b32 exec_lo, exec_lo, s0
	s_and_saveexec_b32 s0, vcc_lo
	s_cbranch_execz .LBB37_84
.LBB37_125:
	ds_load_b32 v19, v1 offset:16
	s_wait_dscnt 0x0
	v_add_f32_e32 v15, v15, v19
	s_or_b32 exec_lo, exec_lo, s0
	s_and_saveexec_b32 s0, vcc_lo
	s_cbranch_execz .LBB37_85
.LBB37_126:
	ds_load_b32 v19, v1 offset:32
	s_wait_dscnt 0x0
	v_add_f32_e32 v12, v12, v19
	s_or_b32 exec_lo, exec_lo, s0
	s_and_saveexec_b32 s0, vcc_lo
	s_cbranch_execz .LBB37_86
.LBB37_127:
	ds_load_b32 v19, v1 offset:48
	s_wait_dscnt 0x0
	v_add_f32_e32 v13, v13, v19
	s_or_b32 exec_lo, exec_lo, s0
	s_and_saveexec_b32 s0, vcc_lo
	s_cbranch_execz .LBB37_87
.LBB37_128:
	ds_load_b32 v19, v1 offset:64
	s_wait_dscnt 0x0
	v_add_f32_e32 v10, v10, v19
	s_or_b32 exec_lo, exec_lo, s0
	s_and_saveexec_b32 s0, vcc_lo
	s_cbranch_execz .LBB37_88
.LBB37_129:
	ds_load_b32 v19, v1 offset:80
	s_wait_dscnt 0x0
	v_add_f32_e32 v11, v11, v19
	s_or_b32 exec_lo, exec_lo, s0
	s_and_saveexec_b32 s0, vcc_lo
	s_cbranch_execz .LBB37_89
.LBB37_130:
	ds_load_b32 v19, v1 offset:96
	s_wait_dscnt 0x0
	v_add_f32_e32 v8, v8, v19
	s_or_b32 exec_lo, exec_lo, s0
	s_and_saveexec_b32 s0, vcc_lo
	s_cbranch_execz .LBB37_90
.LBB37_131:
	ds_load_b32 v19, v1 offset:112
	s_wait_dscnt 0x0
	v_add_f32_e32 v9, v9, v19
	s_or_b32 exec_lo, exec_lo, s0
	s_and_saveexec_b32 s0, vcc_lo
	s_cbranch_execz .LBB37_91
.LBB37_132:
	ds_load_b32 v19, v1 offset:128
	s_wait_dscnt 0x0
	v_add_f32_e32 v6, v6, v19
	s_or_b32 exec_lo, exec_lo, s0
	s_and_saveexec_b32 s0, vcc_lo
	s_cbranch_execz .LBB37_92
.LBB37_133:
	ds_load_b32 v19, v1 offset:144
	s_wait_dscnt 0x0
	v_add_f32_e32 v7, v7, v19
	s_or_b32 exec_lo, exec_lo, s0
	s_and_saveexec_b32 s0, vcc_lo
	s_cbranch_execz .LBB37_93
.LBB37_134:
	ds_load_b32 v19, v1 offset:160
	s_wait_dscnt 0x0
	v_add_f32_e32 v4, v4, v19
	s_or_b32 exec_lo, exec_lo, s0
	s_and_saveexec_b32 s0, vcc_lo
	s_cbranch_execz .LBB37_94
.LBB37_135:
	ds_load_b32 v19, v1 offset:176
	s_wait_dscnt 0x0
	v_add_f32_e32 v5, v5, v19
	s_or_b32 exec_lo, exec_lo, s0
	s_and_saveexec_b32 s0, vcc_lo
	s_cbranch_execz .LBB37_95
.LBB37_136:
	ds_load_b32 v19, v1 offset:192
	s_wait_dscnt 0x0
	v_add_f32_e32 v2, v2, v19
	s_or_b32 exec_lo, exec_lo, s0
	s_and_saveexec_b32 s0, vcc_lo
	s_cbranch_execz .LBB37_96
.LBB37_137:
	ds_load_b32 v19, v1 offset:208
	s_wait_dscnt 0x0
	v_add_f32_e32 v3, v3, v19
	s_or_b32 exec_lo, exec_lo, s0
	s_and_saveexec_b32 s0, vcc_lo
	s_cbranch_execz .LBB37_97
.LBB37_138:
	ds_load_b32 v19, v1 offset:224
	s_wait_dscnt 0x0
	v_add_f32_e32 v16, v16, v19
	s_or_b32 exec_lo, exec_lo, s0
	s_and_saveexec_b32 s0, vcc_lo
	s_cbranch_execnz .LBB37_98
	s_branch .LBB37_99
.LBB37_139:
	ds_load_b32 v18, v1
	s_wait_dscnt 0x0
	v_add_f32_e32 v14, v14, v18
	s_or_b32 exec_lo, exec_lo, s0
	s_and_saveexec_b32 s0, vcc_lo
	s_cbranch_execz .LBB37_105
.LBB37_140:
	ds_load_b32 v18, v1 offset:16
	s_wait_dscnt 0x0
	v_add_f32_e32 v15, v15, v18
	s_or_b32 exec_lo, exec_lo, s0
	s_and_saveexec_b32 s0, vcc_lo
	s_cbranch_execz .LBB37_106
.LBB37_141:
	ds_load_b32 v18, v1 offset:32
	s_wait_dscnt 0x0
	v_add_f32_e32 v12, v12, v18
	s_or_b32 exec_lo, exec_lo, s0
	s_and_saveexec_b32 s0, vcc_lo
	s_cbranch_execz .LBB37_107
.LBB37_142:
	ds_load_b32 v18, v1 offset:48
	s_wait_dscnt 0x0
	v_add_f32_e32 v13, v13, v18
	s_or_b32 exec_lo, exec_lo, s0
	s_and_saveexec_b32 s0, vcc_lo
	s_cbranch_execz .LBB37_108
.LBB37_143:
	ds_load_b32 v18, v1 offset:64
	s_wait_dscnt 0x0
	v_add_f32_e32 v10, v10, v18
	s_or_b32 exec_lo, exec_lo, s0
	s_and_saveexec_b32 s0, vcc_lo
	s_cbranch_execz .LBB37_109
.LBB37_144:
	ds_load_b32 v18, v1 offset:80
	s_wait_dscnt 0x0
	v_add_f32_e32 v11, v11, v18
	s_or_b32 exec_lo, exec_lo, s0
	s_and_saveexec_b32 s0, vcc_lo
	s_cbranch_execz .LBB37_110
.LBB37_145:
	ds_load_b32 v18, v1 offset:96
	s_wait_dscnt 0x0
	v_add_f32_e32 v8, v8, v18
	s_or_b32 exec_lo, exec_lo, s0
	s_and_saveexec_b32 s0, vcc_lo
	s_cbranch_execz .LBB37_111
.LBB37_146:
	ds_load_b32 v18, v1 offset:112
	s_wait_dscnt 0x0
	v_add_f32_e32 v9, v9, v18
	s_or_b32 exec_lo, exec_lo, s0
	s_and_saveexec_b32 s0, vcc_lo
	s_cbranch_execz .LBB37_112
.LBB37_147:
	ds_load_b32 v18, v1 offset:128
	s_wait_dscnt 0x0
	v_add_f32_e32 v6, v6, v18
	s_or_b32 exec_lo, exec_lo, s0
	s_and_saveexec_b32 s0, vcc_lo
	s_cbranch_execz .LBB37_113
.LBB37_148:
	ds_load_b32 v18, v1 offset:144
	s_wait_dscnt 0x0
	v_add_f32_e32 v7, v7, v18
	s_or_b32 exec_lo, exec_lo, s0
	s_and_saveexec_b32 s0, vcc_lo
	s_cbranch_execz .LBB37_114
.LBB37_149:
	ds_load_b32 v18, v1 offset:160
	s_wait_dscnt 0x0
	v_add_f32_e32 v4, v4, v18
	s_or_b32 exec_lo, exec_lo, s0
	s_and_saveexec_b32 s0, vcc_lo
	s_cbranch_execz .LBB37_115
.LBB37_150:
	ds_load_b32 v18, v1 offset:176
	s_wait_dscnt 0x0
	v_add_f32_e32 v5, v5, v18
	s_or_b32 exec_lo, exec_lo, s0
	s_and_saveexec_b32 s0, vcc_lo
	s_cbranch_execz .LBB37_116
.LBB37_151:
	ds_load_b32 v18, v1 offset:192
	s_wait_dscnt 0x0
	v_add_f32_e32 v2, v2, v18
	s_or_b32 exec_lo, exec_lo, s0
	s_and_saveexec_b32 s0, vcc_lo
	s_cbranch_execz .LBB37_117
.LBB37_152:
	ds_load_b32 v18, v1 offset:208
	s_wait_dscnt 0x0
	v_add_f32_e32 v3, v3, v18
	s_or_b32 exec_lo, exec_lo, s0
	s_and_saveexec_b32 s0, vcc_lo
	s_cbranch_execz .LBB37_118
.LBB37_153:
	ds_load_b32 v18, v1 offset:224
	s_wait_dscnt 0x0
	v_add_f32_e32 v16, v16, v18
	s_or_b32 exec_lo, exec_lo, s0
	s_and_saveexec_b32 s0, vcc_lo
	s_cbranch_execnz .LBB37_119
	s_branch .LBB37_120
	.section	.rodata,"a",@progbits
	.p2align	6, 0x0
	.amdhsa_kernel _ZN4vllm25paged_attention_v1_kernelIffLi64ELi32ELi128ELNS_18Fp8KVCacheDataTypeE0ELb1EEEvPT_PKS2_PKT0_S8_ifPKiSA_iPKfiiiSC_SC_iiiii
		.amdhsa_group_segment_fixed_size 288
		.amdhsa_private_segment_fixed_size 0
		.amdhsa_kernarg_size 384
		.amdhsa_user_sgpr_count 2
		.amdhsa_user_sgpr_dispatch_ptr 0
		.amdhsa_user_sgpr_queue_ptr 0
		.amdhsa_user_sgpr_kernarg_segment_ptr 1
		.amdhsa_user_sgpr_dispatch_id 0
		.amdhsa_user_sgpr_kernarg_preload_length 0
		.amdhsa_user_sgpr_kernarg_preload_offset 0
		.amdhsa_user_sgpr_private_segment_size 0
		.amdhsa_wavefront_size32 1
		.amdhsa_uses_dynamic_stack 0
		.amdhsa_enable_private_segment 0
		.amdhsa_system_sgpr_workgroup_id_x 1
		.amdhsa_system_sgpr_workgroup_id_y 1
		.amdhsa_system_sgpr_workgroup_id_z 1
		.amdhsa_system_sgpr_workgroup_info 0
		.amdhsa_system_vgpr_workitem_id 0
		.amdhsa_next_free_vgpr 118
		.amdhsa_next_free_sgpr 38
		.amdhsa_named_barrier_count 0
		.amdhsa_reserve_vcc 1
		.amdhsa_float_round_mode_32 0
		.amdhsa_float_round_mode_16_64 0
		.amdhsa_float_denorm_mode_32 3
		.amdhsa_float_denorm_mode_16_64 3
		.amdhsa_fp16_overflow 0
		.amdhsa_memory_ordered 1
		.amdhsa_forward_progress 1
		.amdhsa_inst_pref_size 76
		.amdhsa_round_robin_scheduling 0
		.amdhsa_exception_fp_ieee_invalid_op 0
		.amdhsa_exception_fp_denorm_src 0
		.amdhsa_exception_fp_ieee_div_zero 0
		.amdhsa_exception_fp_ieee_overflow 0
		.amdhsa_exception_fp_ieee_underflow 0
		.amdhsa_exception_fp_ieee_inexact 0
		.amdhsa_exception_int_div_zero 0
	.end_amdhsa_kernel
	.section	.text._ZN4vllm25paged_attention_v1_kernelIffLi64ELi32ELi128ELNS_18Fp8KVCacheDataTypeE0ELb1EEEvPT_PKS2_PKT0_S8_ifPKiSA_iPKfiiiSC_SC_iiiii,"axG",@progbits,_ZN4vllm25paged_attention_v1_kernelIffLi64ELi32ELi128ELNS_18Fp8KVCacheDataTypeE0ELb1EEEvPT_PKS2_PKT0_S8_ifPKiSA_iPKfiiiSC_SC_iiiii,comdat
.Lfunc_end37:
	.size	_ZN4vllm25paged_attention_v1_kernelIffLi64ELi32ELi128ELNS_18Fp8KVCacheDataTypeE0ELb1EEEvPT_PKS2_PKT0_S8_ifPKiSA_iPKfiiiSC_SC_iiiii, .Lfunc_end37-_ZN4vllm25paged_attention_v1_kernelIffLi64ELi32ELi128ELNS_18Fp8KVCacheDataTypeE0ELb1EEEvPT_PKS2_PKT0_S8_ifPKiSA_iPKfiiiSC_SC_iiiii
                                        ; -- End function
	.set _ZN4vllm25paged_attention_v1_kernelIffLi64ELi32ELi128ELNS_18Fp8KVCacheDataTypeE0ELb1EEEvPT_PKS2_PKT0_S8_ifPKiSA_iPKfiiiSC_SC_iiiii.num_vgpr, 118
	.set _ZN4vllm25paged_attention_v1_kernelIffLi64ELi32ELi128ELNS_18Fp8KVCacheDataTypeE0ELb1EEEvPT_PKS2_PKT0_S8_ifPKiSA_iPKfiiiSC_SC_iiiii.num_agpr, 0
	.set _ZN4vllm25paged_attention_v1_kernelIffLi64ELi32ELi128ELNS_18Fp8KVCacheDataTypeE0ELb1EEEvPT_PKS2_PKT0_S8_ifPKiSA_iPKfiiiSC_SC_iiiii.numbered_sgpr, 38
	.set _ZN4vllm25paged_attention_v1_kernelIffLi64ELi32ELi128ELNS_18Fp8KVCacheDataTypeE0ELb1EEEvPT_PKS2_PKT0_S8_ifPKiSA_iPKfiiiSC_SC_iiiii.num_named_barrier, 0
	.set _ZN4vllm25paged_attention_v1_kernelIffLi64ELi32ELi128ELNS_18Fp8KVCacheDataTypeE0ELb1EEEvPT_PKS2_PKT0_S8_ifPKiSA_iPKfiiiSC_SC_iiiii.private_seg_size, 0
	.set _ZN4vllm25paged_attention_v1_kernelIffLi64ELi32ELi128ELNS_18Fp8KVCacheDataTypeE0ELb1EEEvPT_PKS2_PKT0_S8_ifPKiSA_iPKfiiiSC_SC_iiiii.uses_vcc, 1
	.set _ZN4vllm25paged_attention_v1_kernelIffLi64ELi32ELi128ELNS_18Fp8KVCacheDataTypeE0ELb1EEEvPT_PKS2_PKT0_S8_ifPKiSA_iPKfiiiSC_SC_iiiii.uses_flat_scratch, 0
	.set _ZN4vllm25paged_attention_v1_kernelIffLi64ELi32ELi128ELNS_18Fp8KVCacheDataTypeE0ELb1EEEvPT_PKS2_PKT0_S8_ifPKiSA_iPKfiiiSC_SC_iiiii.has_dyn_sized_stack, 0
	.set _ZN4vllm25paged_attention_v1_kernelIffLi64ELi32ELi128ELNS_18Fp8KVCacheDataTypeE0ELb1EEEvPT_PKS2_PKT0_S8_ifPKiSA_iPKfiiiSC_SC_iiiii.has_recursion, 0
	.set _ZN4vllm25paged_attention_v1_kernelIffLi64ELi32ELi128ELNS_18Fp8KVCacheDataTypeE0ELb1EEEvPT_PKS2_PKT0_S8_ifPKiSA_iPKfiiiSC_SC_iiiii.has_indirect_call, 0
	.section	.AMDGPU.csdata,"",@progbits
; Kernel info:
; codeLenInByte = 9648
; TotalNumSgprs: 40
; NumVgprs: 118
; ScratchSize: 0
; MemoryBound: 0
; FloatMode: 240
; IeeeMode: 1
; LDSByteSize: 288 bytes/workgroup (compile time only)
; SGPRBlocks: 0
; VGPRBlocks: 7
; NumSGPRsForWavesPerEU: 40
; NumVGPRsForWavesPerEU: 118
; NamedBarCnt: 0
; Occupancy: 8
; WaveLimiterHint : 1
; COMPUTE_PGM_RSRC2:SCRATCH_EN: 0
; COMPUTE_PGM_RSRC2:USER_SGPR: 2
; COMPUTE_PGM_RSRC2:TRAP_HANDLER: 0
; COMPUTE_PGM_RSRC2:TGID_X_EN: 1
; COMPUTE_PGM_RSRC2:TGID_Y_EN: 1
; COMPUTE_PGM_RSRC2:TGID_Z_EN: 1
; COMPUTE_PGM_RSRC2:TIDIG_COMP_CNT: 0
	.section	.text._ZN4vllm25paged_attention_v1_kernelIffLi80ELi32ELi128ELNS_18Fp8KVCacheDataTypeE0ELb1EEEvPT_PKS2_PKT0_S8_ifPKiSA_iPKfiiiSC_SC_iiiii,"axG",@progbits,_ZN4vllm25paged_attention_v1_kernelIffLi80ELi32ELi128ELNS_18Fp8KVCacheDataTypeE0ELb1EEEvPT_PKS2_PKT0_S8_ifPKiSA_iPKfiiiSC_SC_iiiii,comdat
	.protected	_ZN4vllm25paged_attention_v1_kernelIffLi80ELi32ELi128ELNS_18Fp8KVCacheDataTypeE0ELb1EEEvPT_PKS2_PKT0_S8_ifPKiSA_iPKfiiiSC_SC_iiiii ; -- Begin function _ZN4vllm25paged_attention_v1_kernelIffLi80ELi32ELi128ELNS_18Fp8KVCacheDataTypeE0ELb1EEEvPT_PKS2_PKT0_S8_ifPKiSA_iPKfiiiSC_SC_iiiii
	.globl	_ZN4vllm25paged_attention_v1_kernelIffLi80ELi32ELi128ELNS_18Fp8KVCacheDataTypeE0ELb1EEEvPT_PKS2_PKT0_S8_ifPKiSA_iPKfiiiSC_SC_iiiii
	.p2align	8
	.type	_ZN4vllm25paged_attention_v1_kernelIffLi80ELi32ELi128ELNS_18Fp8KVCacheDataTypeE0ELb1EEEvPT_PKS2_PKT0_S8_ifPKiSA_iPKfiiiSC_SC_iiiii,@function
_ZN4vllm25paged_attention_v1_kernelIffLi80ELi32ELi128ELNS_18Fp8KVCacheDataTypeE0ELb1EEEvPT_PKS2_PKT0_S8_ifPKiSA_iPKfiiiSC_SC_iiiii: ; @_ZN4vllm25paged_attention_v1_kernelIffLi80ELi32ELi128ELNS_18Fp8KVCacheDataTypeE0ELb1EEEvPT_PKS2_PKT0_S8_ifPKiSA_iPKfiiiSC_SC_iiiii
; %bb.0:
	s_load_b64 s[22:23], s[0:1], 0x20
	s_bfe_u32 s3, ttmp6, 0x4000c
	s_bfe_u32 s4, ttmp6, 0x40010
	s_and_b32 s6, ttmp7, 0xffff
	s_add_co_i32 s3, s3, 1
	s_add_co_i32 s4, s4, 1
	s_and_b32 s2, ttmp6, 15
	s_bfe_u32 s5, ttmp6, 0x40004
	s_mul_i32 s3, ttmp9, s3
	s_mul_i32 s4, s6, s4
	s_getreg_b32 s26, hwreg(HW_REG_IB_STS2, 6, 4)
	s_add_co_i32 s2, s2, s3
	s_add_co_i32 s3, s5, s4
	s_cmp_eq_u32 s26, 0
	s_clause 0x1
	s_load_b32 s27, s[0:1], 0x80
	s_load_b64 s[4:5], s[0:1], 0x30
	s_cselect_b32 s28, s6, s3
	s_cselect_b32 s2, ttmp9, s2
	s_mov_b32 s15, 0
	s_delay_alu instid0(SALU_CYCLE_1) | instskip(SKIP_2) | instid1(SALU_CYCLE_1)
	s_mov_b32 s34, s15
	s_wait_kmcnt 0x0
	s_abs_i32 s3, s22
	s_cvt_f32_u32 s6, s3
	s_sub_co_i32 s7, 0, s3
	s_delay_alu instid0(SALU_CYCLE_2) | instskip(SKIP_2) | instid1(TRANS32_DEP_1)
	v_rcp_iflag_f32_e32 v1, s6
	s_abs_i32 s8, s27
	v_nop
	v_readfirstlane_b32 s6, v1
	s_mul_f32 s6, s6, 0x4f7ffffe
	s_delay_alu instid0(SALU_CYCLE_3) | instskip(NEXT) | instid1(SALU_CYCLE_3)
	s_cvt_u32_f32 s6, s6
	s_mul_i32 s7, s7, s6
	s_delay_alu instid0(SALU_CYCLE_1) | instskip(NEXT) | instid1(SALU_CYCLE_1)
	s_mul_hi_u32 s7, s6, s7
	s_add_co_i32 s6, s6, s7
	s_xor_b32 s7, s27, s22
	s_mul_hi_u32 s6, s8, s6
	s_ashr_i32 s7, s7, 31
	s_mul_i32 s9, s6, s3
	s_delay_alu instid0(SALU_CYCLE_1)
	s_sub_co_i32 s8, s8, s9
	s_add_co_i32 s9, s6, 1
	s_sub_co_i32 s10, s8, s3
	s_cmp_ge_u32 s8, s3
	s_cselect_b32 s6, s9, s6
	s_cselect_b32 s8, s10, s8
	s_add_co_i32 s9, s6, 1
	s_cmp_ge_u32 s8, s3
	s_cselect_b32 s3, s9, s6
	s_load_b64 s[8:9], s[0:1], 0x40
	s_xor_b32 s3, s3, s7
	s_abs_i32 s14, s2
	s_sub_co_i32 s12, s3, s7
	s_mov_b32 s7, s15
	s_abs_i32 s11, s12
	s_delay_alu instid0(SALU_CYCLE_1) | instskip(SKIP_1) | instid1(SALU_CYCLE_2)
	s_cvt_f32_u32 s3, s11
	s_sub_co_i32 s6, 0, s11
	v_rcp_iflag_f32_e32 v1, s3
	v_nop
	s_delay_alu instid0(TRANS32_DEP_1) | instskip(SKIP_1) | instid1(SALU_CYCLE_3)
	v_readfirstlane_b32 s3, v1
	s_mul_f32 s3, s3, 0x4f7ffffe
	s_cvt_u32_f32 s3, s3
	s_delay_alu instid0(SALU_CYCLE_3) | instskip(NEXT) | instid1(SALU_CYCLE_1)
	s_mul_i32 s6, s6, s3
	s_mul_hi_u32 s6, s3, s6
	s_delay_alu instid0(SALU_CYCLE_1)
	s_add_co_i32 s6, s3, s6
	s_wait_kmcnt 0x0
	s_cmp_eq_u64 s[8:9], 0
	s_cbranch_scc1 .LBB38_2
; %bb.1:
	s_ashr_i32 s3, s2, 31
	s_delay_alu instid0(SALU_CYCLE_1) | instskip(NEXT) | instid1(SALU_CYCLE_1)
	s_lshl_b64 s[16:17], s[2:3], 2
	s_add_nc_u64 s[8:9], s[8:9], s[16:17]
	s_load_b32 s34, s[8:9], 0x0
.LBB38_2:
	s_load_b32 s29, s[4:5], s28 offset:0x0 scale_offset
	s_wait_xcnt 0x0
	s_load_b96 s[8:10], s[0:1], 0x48
	v_lshlrev_b32_e32 v87, 4, v0
	s_ashr_i32 s3, s2, 31
	s_ashr_i32 s18, s12, 31
	s_mul_u64 s[16:17], s[14:15], s[6:7]
	s_mul_i32 s12, s2, 0x50
	s_mov_b32 s4, exec_lo
	v_cmpx_gt_u32_e32 20, v0
	s_cbranch_execz .LBB38_4
; %bb.3:
	s_load_b64 s[6:7], s[0:1], 0x8
	s_wait_kmcnt 0x0
	s_mul_i32 s20, s8, s28
	s_ashr_i32 s13, s12, 31
	s_ashr_i32 s21, s20, 31
	s_delay_alu instid0(SALU_CYCLE_1) | instskip(NEXT) | instid1(SALU_CYCLE_1)
	s_lshl_b64 s[20:21], s[20:21], 2
	s_add_nc_u64 s[6:7], s[6:7], s[20:21]
	s_lshl_b64 s[20:21], s[12:13], 2
	s_delay_alu instid0(SALU_CYCLE_1)
	s_add_nc_u64 s[6:7], s[6:7], s[20:21]
	global_load_b128 v[2:5], v0, s[6:7] scale_offset
	s_wait_loadcnt 0x0
	ds_store_b128 v87, v[2:5]
.LBB38_4:
	s_or_b32 exec_lo, exec_lo, s4
	s_load_b128 s[4:7], s[0:1], 0x68
	s_wait_kmcnt 0x0
	s_mul_i32 s8, s17, s11
	s_xor_b32 s3, s3, s18
	s_sub_co_i32 s8, s14, s8
	s_add_co_i32 s13, s17, 1
	s_sub_co_i32 s14, s8, s11
	s_cmp_ge_u32 s8, s11
	s_mov_b32 s18, -1
	s_cselect_b32 s13, s13, s17
	s_cselect_b32 s8, s14, s8
	s_add_co_i32 s14, s13, 1
	s_cmp_ge_u32 s8, s11
	s_load_b32 s8, s[0:1], 0x78
	s_cselect_b32 s11, s14, s13
	s_mov_b32 s17, 0
	s_xor_b32 s11, s11, s3
	s_wait_dscnt 0x0
	s_sub_co_i32 s3, s11, s3
	s_barrier_signal -1
	s_barrier_wait -1
	s_abs_i32 s13, s7
	s_delay_alu instid0(SALU_CYCLE_1) | instskip(SKIP_1) | instid1(SALU_CYCLE_2)
	s_cvt_f32_u32 s14, s13
	s_sub_co_i32 s15, 0, s13
                                        ; implicit-def: $sgpr30
	v_rcp_iflag_f32_e32 v1, s14
	v_nop
	s_delay_alu instid0(TRANS32_DEP_1) | instskip(SKIP_1) | instid1(SALU_CYCLE_3)
	v_readfirstlane_b32 s14, v1
	s_mul_f32 s11, s14, 0x4f7ffffe
	s_cvt_u32_f32 s14, s11
	s_add_co_i32 s11, s29, -1
	s_delay_alu instid0(SALU_CYCLE_1) | instskip(NEXT) | instid1(SALU_CYCLE_1)
	s_abs_i32 s16, s11
	s_mul_i32 s15, s15, s14
	s_delay_alu instid0(SALU_CYCLE_1) | instskip(NEXT) | instid1(SALU_CYCLE_1)
	s_mul_hi_u32 s15, s14, s15
	s_add_co_i32 s14, s14, s15
	s_wait_kmcnt 0x0
	s_cmp_lt_i32 s8, 0
	s_mov_b32 s15, s17
	s_cbranch_scc0 .LBB38_6
; %bb.5:
	s_mul_i32 s18, s4, s22
	s_delay_alu instid0(SALU_CYCLE_1) | instskip(NEXT) | instid1(SALU_CYCLE_1)
	s_add_co_i32 s18, s3, s18
	s_mul_i32 s18, s18, s8
	s_delay_alu instid0(SALU_CYCLE_1)
	s_sub_co_i32 s30, 1, s18
	s_mov_b32 s18, s17
.LBB38_6:
	s_ashr_i32 s11, s11, 31
	s_ashr_i32 s31, s7, 31
	s_and_not1_b32 vcc_lo, exec_lo, s18
	s_mul_u64 s[20:21], s[16:17], s[14:15]
	s_cbranch_vccnz .LBB38_8
; %bb.7:
	s_mul_i32 s4, s27, s4
	s_delay_alu instid0(SALU_CYCLE_1) | instskip(NEXT) | instid1(SALU_CYCLE_1)
	s_add_co_i32 s2, s4, s2
	s_mul_i32 s2, s2, s8
	s_delay_alu instid0(SALU_CYCLE_1)
	s_add_co_i32 s30, s2, 1
.LBB38_8:
	s_load_b32 s2, s[0:1], 0x38
	s_mul_i32 s7, s21, s13
	s_xor_b32 s4, s11, s31
	s_sub_co_i32 s7, s16, s7
	s_add_co_i32 s11, s21, 1
	s_clause 0x1
	s_load_b64 s[16:17], s[0:1], 0x28
	s_load_b32 s8, s[0:1], 0x88
	v_dual_lshrrev_b32 v1, 5, v0 :: v_dual_bitop2_b32 v112, 31, v0 bitop3:0x40
	v_dual_mov_b32 v93, 0xff7fffff :: v_dual_lshrrev_b32 v108, 3, v0
	s_mul_i32 s20, s3, s10
	s_delay_alu instid0(VALU_DEP_2)
	v_dual_lshlrev_b32 v86, 5, v1 :: v_dual_lshlrev_b32 v92, 2, v112
	s_wait_kmcnt 0x0
	s_mul_i32 s18, s2, s28
	s_sub_co_i32 s2, s7, s13
	s_ashr_i32 s19, s18, 31
	s_cmp_ge_u32 s7, s13
	s_cselect_b32 s11, s11, s21
	s_cselect_b32 s2, s2, s7
	s_add_co_i32 s7, s11, 1
	s_cmp_ge_u32 s2, s13
	s_cselect_b32 s2, s7, s11
	s_add_co_i32 s7, s29, 31
	s_delay_alu instid0(SALU_CYCLE_1) | instskip(NEXT) | instid1(SALU_CYCLE_1)
	s_ashr_i32 s11, s7, 31
	s_lshr_b32 s11, s11, 27
	s_delay_alu instid0(SALU_CYCLE_1) | instskip(NEXT) | instid1(SALU_CYCLE_1)
	s_add_co_i32 s7, s7, s11
	s_ashr_i32 s33, s7, 5
	s_xor_b32 s7, s2, s4
	v_cmp_gt_i32_e64 s2, s33, v1
	s_sub_co_i32 s7, s7, s4
	s_and_saveexec_b32 s22, s2
	s_cbranch_execz .LBB38_16
; %bb.9:
	s_ashr_i32 s21, s20, 31
	s_sub_co_i32 s35, s7, s5
	s_ashr_i32 s11, s9, 31
	s_lshl_b64 s[24:25], s[20:21], 2
	s_cmp_neq_f32 s34, 0
	s_load_b64 s[36:37], s[0:1], 0x10
	v_dual_mov_b32 v83, 0 :: v_dual_lshlrev_b32 v82, 4, v112
	s_cselect_b32 vcc_lo, -1, 0
	s_abs_i32 s21, s6
	ds_load_b128 v[2:5], v83
	ds_load_b128 v[6:9], v83 offset:16
	ds_load_b128 v[10:13], v83 offset:32
	;; [unrolled: 1-line block ×3, first 2 shown]
	s_cvt_f32_u32 s3, s21
	v_subrev_nc_u32_e32 v90, s29, v112
	v_lshl_or_b32 v91, v1, 7, v92
	s_sub_co_i32 s4, 0, s21
	v_rcp_iflag_f32_e32 v18, s3
	v_dual_mov_b32 v96, 0xff7fffff :: v_dual_mov_b32 v93, 0xff7fffff
	s_delay_alu instid0(VALU_DEP_2) | instskip(SKIP_3) | instid1(TRANS32_DEP_1)
	v_add_nc_u32_e32 v95, 0x160, v91
	v_mov_b32_e32 v97, v1
	s_mov_b32 s10, s9
	v_add_nc_u32_e32 v94, 1, v90
	v_readfirstlane_b32 s3, v18
	ds_load_b128 v[18:21], v83 offset:64
	ds_load_b128 v[22:25], v83 offset:80
	;; [unrolled: 1-line block ×16, first 2 shown]
	s_wait_kmcnt 0x0
	s_add_nc_u64 s[24:25], s[36:37], s[24:25]
	s_mul_f32 s3, s3, 0x4f7ffffe
	v_add_nc_u64_e32 v[84:85], s[24:25], v[82:83]
	v_and_b32_e32 v82, 0x7c, v108
	s_lshl_b64 s[24:25], s[18:19], 2
	s_cvt_u32_f32 s3, s3
	s_add_nc_u64 s[24:25], s[16:17], s[24:25]
	s_delay_alu instid0(VALU_DEP_1) | instid1(SALU_CYCLE_1)
	v_add_nc_u64_e32 v[88:89], s[24:25], v[82:83]
	s_delay_alu instid0(SALU_CYCLE_1)
	s_mul_i32 s4, s4, s3
	v_lshlrev_b32_e32 v82, 5, v1
	s_mul_hi_u32 s4, s3, s4
	s_mov_b32 s25, 0
	s_add_co_i32 s24, s3, s4
	s_mov_b32 s36, s25
	s_branch .LBB38_11
.LBB38_10:                              ;   in Loop: Header=BB38_11 Depth=1
	s_or_b32 exec_lo, exec_lo, s4
	v_add_nc_u32_e32 v97, 4, v97
	v_add_nc_u64_e32 v[88:89], 16, v[88:89]
	v_add_nc_u32_e32 v82, 0x80, v82
	v_add_nc_u32_e32 v95, 0x200, v95
	s_delay_alu instid0(VALU_DEP_4) | instskip(SKIP_1) | instid1(SALU_CYCLE_1)
	v_cmp_le_i32_e64 s3, s33, v97
	s_or_b32 s36, s3, s36
	s_and_not1_b32 exec_lo, exec_lo, s36
	s_cbranch_execz .LBB38_15
.LBB38_11:                              ; =>This Inner Loop Header: Depth=1
	v_mul_u64_e32 v[90:91], s[14:15], v[82:83]
	s_delay_alu instid0(VALU_DEP_1) | instskip(NEXT) | instid1(VALU_DEP_1)
	v_mul_lo_u32 v90, v91, s13
	v_dual_add_nc_u32 v98, 1, v91 :: v_dual_sub_nc_u32 v90, v82, v90
	s_delay_alu instid0(VALU_DEP_1) | instskip(SKIP_1) | instid1(VALU_DEP_1)
	v_subrev_nc_u32_e32 v99, s13, v90
	v_cmp_le_u32_e64 s3, s13, v90
	v_dual_cndmask_b32 v91, v91, v98, s3 :: v_dual_cndmask_b32 v90, v90, v99, s3
	s_delay_alu instid0(VALU_DEP_1) | instskip(NEXT) | instid1(VALU_DEP_2)
	v_add_nc_u32_e32 v98, 1, v91
	v_cmp_le_u32_e64 s3, s13, v90
	s_delay_alu instid0(VALU_DEP_1) | instskip(NEXT) | instid1(VALU_DEP_1)
	v_cndmask_b32_e64 v90, v91, v98, s3
	v_dual_mov_b32 v91, v83 :: v_dual_bitop2_b32 v90, s31, v90 bitop3:0x14
	s_delay_alu instid0(VALU_DEP_1) | instskip(NEXT) | instid1(VALU_DEP_1)
	v_subrev_nc_u32_e32 v100, s31, v90
	v_add_nc_u32_e32 v101, s30, v100
	v_cmp_ge_i32_e64 s4, s35, v100
	s_delay_alu instid0(VALU_DEP_2) | instskip(NEXT) | instid1(VALU_DEP_1)
	v_sub_nc_u32_e32 v90, 0, v101
	v_max_i32_e32 v90, v101, v90
	s_delay_alu instid0(VALU_DEP_1) | instskip(SKIP_1) | instid1(VALU_DEP_2)
	v_mul_u64_e32 v[98:99], s[24:25], v[90:91]
	v_ashrrev_i32_e32 v98, 31, v101
	v_mul_lo_u32 v91, v99, s21
	s_delay_alu instid0(VALU_DEP_1) | instskip(NEXT) | instid1(VALU_DEP_1)
	v_sub_nc_u32_e32 v90, v90, v91
	v_subrev_nc_u32_e32 v91, s21, v90
	v_cmp_le_u32_e64 s3, s21, v90
	s_delay_alu instid0(VALU_DEP_1) | instskip(NEXT) | instid1(VALU_DEP_1)
	v_cndmask_b32_e64 v90, v90, v91, s3
	v_subrev_nc_u32_e32 v91, s21, v90
	v_cmp_le_u32_e64 s3, s21, v90
	s_delay_alu instid0(VALU_DEP_1) | instskip(NEXT) | instid1(VALU_DEP_1)
	v_cndmask_b32_e64 v90, v90, v91, s3
	v_xor_b32_e32 v90, v90, v98
	s_delay_alu instid0(VALU_DEP_1) | instskip(NEXT) | instid1(VALU_DEP_1)
	v_sub_nc_u32_e32 v90, v90, v98
	v_cmp_ne_u32_e64 s3, 0, v90
	s_and_b32 s3, s3, s4
	s_delay_alu instid0(SALU_CYCLE_1) | instskip(NEXT) | instid1(SALU_CYCLE_1)
	s_and_saveexec_b32 s4, s3
	s_xor_b32 s3, exec_lo, s4
; %bb.12:                               ;   in Loop: Header=BB38_11 Depth=1
	ds_store_b32 v95, v96
; %bb.13:                               ;   in Loop: Header=BB38_11 Depth=1
	s_and_not1_saveexec_b32 s4, s3
	s_cbranch_execz .LBB38_10
; %bb.14:                               ;   in Loop: Header=BB38_11 Depth=1
	global_load_b32 v90, v[88:89], off
	v_add_nc_u32_e32 v106, v94, v82
	s_wait_loadcnt 0x0
	v_ashrrev_i32_e32 v91, 31, v90
	s_delay_alu instid0(VALU_DEP_1) | instskip(NEXT) | instid1(VALU_DEP_1)
	v_mul_u64_e32 v[90:91], s[10:11], v[90:91]
	v_lshl_add_u64 v[90:91], v[90:91], 2, v[84:85]
	global_load_b128 v[98:101], v[90:91], off offset:512
	s_wait_loadcnt_dscnt 0x12
	v_pk_mul_f32 v[102:103], v[6:7], v[98:99]
	v_pk_mul_f32 v[104:105], v[8:9], v[100:101]
	global_load_b128 v[98:101], v[90:91], off
	s_wait_loadcnt 0x0
	v_pk_fma_f32 v[102:103], v[2:3], v[98:99], v[102:103]
	v_pk_fma_f32 v[104:105], v[4:5], v[100:101], v[104:105]
	global_load_b128 v[98:101], v[90:91], off offset:1024
	s_wait_loadcnt_dscnt 0x11
	v_pk_fma_f32 v[102:103], v[10:11], v[98:99], v[102:103]
	v_pk_fma_f32 v[104:105], v[12:13], v[100:101], v[104:105]
	global_load_b128 v[98:101], v[90:91], off offset:1536
	s_wait_loadcnt_dscnt 0x10
	;; [unrolled: 4-line block ×18, first 2 shown]
	v_pk_fma_f32 v[90:91], v[78:79], v[98:99], v[102:103]
	v_cvt_f32_i32_e32 v102, v106
	v_pk_fma_f32 v[98:99], v[80:81], v[100:101], v[104:105]
	s_delay_alu instid0(VALU_DEP_2) | instskip(NEXT) | instid1(VALU_DEP_1)
	v_dual_add_f32 v90, v90, v91 :: v_dual_mul_f32 v91, s34, v102
	v_dual_add_f32 v90, v98, v90 :: v_dual_cndmask_b32 v91, 0, v91
	s_delay_alu instid0(VALU_DEP_1) | instskip(NEXT) | instid1(VALU_DEP_1)
	v_dual_max_num_f32 v98, v93, v93 :: v_dual_add_f32 v90, v99, v90
	v_fmac_f32_e32 v91, s23, v90
	s_delay_alu instid0(VALU_DEP_1) | instskip(NEXT) | instid1(VALU_DEP_1)
	v_dual_max_num_f32 v90, v98, v91 :: v_dual_add_nc_u32 v99, v112, v82
	v_cmp_gt_i32_e64 s3, s29, v99
	s_delay_alu instid0(VALU_DEP_1)
	v_dual_cndmask_b32 v93, v93, v90, s3 :: v_dual_cndmask_b32 v91, 0, v91, s3
	ds_store_b32 v95, v91
	s_branch .LBB38_10
.LBB38_15:
	s_or_b32 exec_lo, exec_lo, s36
.LBB38_16:
	s_delay_alu instid0(SALU_CYCLE_1)
	s_or_b32 exec_lo, exec_lo, s22
	s_wait_dscnt 0x13
	v_mbcnt_lo_u32_b32 v4, -1, 0
	s_clause 0x1
	s_load_b64 s[10:11], s[0:1], 0x0
	s_load_b64 s[22:23], s[0:1], 0x18
	s_wait_dscnt 0x12
	v_dual_max_num_f32 v6, v93, v93 :: v_dual_bitop2_b32 v2, 16, v4 bitop3:0x14
	v_xor_b32_e32 v5, 8, v4
	s_delay_alu instid0(VALU_DEP_2) | instskip(SKIP_1) | instid1(VALU_DEP_3)
	v_cmp_gt_i32_e32 vcc_lo, 32, v2
	v_cndmask_b32_e32 v2, v4, v2, vcc_lo
	v_cmp_gt_i32_e32 vcc_lo, 32, v5
	s_delay_alu instid0(VALU_DEP_2) | instskip(SKIP_3) | instid1(VALU_DEP_1)
	v_dual_cndmask_b32 v5, v4, v5 :: v_dual_lshlrev_b32 v2, 2, v2
	ds_bpermute_b32 v3, v2, v93
	s_wait_dscnt 0x0
	v_dual_max_num_f32 v7, v3, v3 :: v_dual_lshlrev_b32 v3, 2, v5
	v_dual_max_num_f32 v5, v6, v7 :: v_dual_bitop2_b32 v7, 4, v4 bitop3:0x14
	ds_bpermute_b32 v6, v3, v5
	v_cmp_gt_i32_e32 vcc_lo, 32, v7
	s_wait_dscnt 0x0
	v_dual_cndmask_b32 v7, v4, v7 :: v_dual_max_num_f32 v6, v6, v6
	s_delay_alu instid0(VALU_DEP_1) | instskip(SKIP_3) | instid1(VALU_DEP_1)
	v_dual_lshlrev_b32 v115, 2, v7 :: v_dual_max_num_f32 v5, v5, v6
	ds_bpermute_b32 v6, v115, v5
	s_wait_dscnt 0x0
	v_dual_max_num_f32 v6, v6, v6 :: v_dual_bitop2_b32 v7, 2, v4 bitop3:0x14
	v_cmp_gt_i32_e32 vcc_lo, 32, v7
	s_delay_alu instid0(VALU_DEP_2) | instskip(NEXT) | instid1(VALU_DEP_1)
	v_dual_max_num_f32 v5, v5, v6 :: v_dual_cndmask_b32 v7, v4, v7, vcc_lo
	v_dual_lshlrev_b32 v114, 2, v7 :: v_dual_bitop2_b32 v7, 1, v4 bitop3:0x14
	ds_bpermute_b32 v6, v114, v5
	v_cmp_gt_i32_e32 vcc_lo, 32, v7
	v_cndmask_b32_e32 v4, v4, v7, vcc_lo
	v_cmp_eq_u32_e32 vcc_lo, 0, v112
	s_delay_alu instid0(VALU_DEP_2) | instskip(SKIP_2) | instid1(VALU_DEP_1)
	v_dual_lshlrev_b32 v113, 2, v4 :: v_dual_lshlrev_b32 v4, 2, v1
	s_wait_dscnt 0x0
	v_max_num_f32_e32 v6, v6, v6
	v_max_num_f32_e32 v5, v5, v6
	ds_bpermute_b32 v6, v113, v5
	s_wait_xcnt 0x0
	s_and_saveexec_b32 s0, vcc_lo
	s_cbranch_execz .LBB38_18
; %bb.17:
	s_wait_dscnt 0x0
	v_dual_max_num_f32 v6, v6, v6 :: v_dual_max_num_f32 v5, v5, v5
	s_delay_alu instid0(VALU_DEP_1)
	v_max_num_f32_e32 v5, v5, v6
	ds_store_b32 v4, v5 offset:320
.LBB38_18:
	s_or_b32 exec_lo, exec_lo, s0
	v_cmp_gt_u32_e64 s0, 4, v112
	v_mov_b32_e32 v5, 0xff7fffff
	s_wait_dscnt 0x0
	s_barrier_signal -1
	s_barrier_wait -1
	s_and_saveexec_b32 s1, s0
; %bb.19:
	ds_load_b32 v5, v92 offset:320
; %bb.20:
	s_or_b32 exec_lo, exec_lo, s1
	s_wait_dscnt 0x0
	ds_bpermute_b32 v6, v114, v5
	v_max_num_f32_e32 v5, v5, v5
	s_lshl_b32 s1, s33, 5
	s_delay_alu instid0(SALU_CYCLE_1) | instskip(NEXT) | instid1(SALU_CYCLE_1)
	s_min_i32 s4, s1, s29
	v_cmp_gt_i32_e64 s1, s4, v0
	s_wait_dscnt 0x0
	v_max_num_f32_e32 v6, v6, v6
	s_delay_alu instid0(VALU_DEP_1) | instskip(SKIP_3) | instid1(VALU_DEP_1)
	v_max_num_f32_e32 v5, v5, v6
	ds_bpermute_b32 v6, v113, v5
	s_wait_dscnt 0x0
	v_max_num_f32_e32 v6, v6, v6
	v_dual_max_num_f32 v6, v5, v6 :: v_dual_mov_b32 v5, 0
	ds_bpermute_b32 v6, v5, v6
	s_and_saveexec_b32 s21, s1
	s_cbranch_execz .LBB38_24
; %bb.21:
	v_lshl_add_u32 v7, v0, 2, 0x160
	v_dual_mov_b32 v5, 0 :: v_dual_mov_b32 v8, v0
	s_mov_b32 s24, 0
.LBB38_22:                              ; =>This Inner Loop Header: Depth=1
	ds_load_b32 v9, v7
	v_add_nc_u32_e32 v8, 0x80, v8
	s_delay_alu instid0(VALU_DEP_1) | instskip(SKIP_3) | instid1(VALU_DEP_1)
	v_cmp_le_i32_e64 s3, s4, v8
	s_or_b32 s24, s3, s24
	s_wait_dscnt 0x0
	v_sub_f32_e32 v9, v9, v6
	v_mul_f32_e32 v9, 0x3fb8aa3b, v9
	s_delay_alu instid0(VALU_DEP_1)
	v_exp_f32_e32 v9, v9
	ds_store_b32 v7, v9
	v_nop
	v_add_f32_e32 v5, v5, v9
	v_add_nc_u32_e32 v7, 0x200, v7
	s_and_not1_b32 exec_lo, exec_lo, s24
	s_cbranch_execnz .LBB38_22
; %bb.23:
	s_or_b32 exec_lo, exec_lo, s24
.LBB38_24:
	s_delay_alu instid0(SALU_CYCLE_1)
	s_or_b32 exec_lo, exec_lo, s21
	ds_bpermute_b32 v2, v2, v5
	s_wait_dscnt 0x0
	v_add_f32_e32 v2, v5, v2
	ds_bpermute_b32 v3, v3, v2
	s_wait_dscnt 0x0
	v_add_f32_e32 v2, v2, v3
	;; [unrolled: 3-line block ×5, first 2 shown]
	s_and_saveexec_b32 s3, vcc_lo
; %bb.25:
	ds_store_b32 v4, v2 offset:336
; %bb.26:
	s_or_b32 exec_lo, exec_lo, s3
	s_wait_dscnt 0x0
	s_barrier_signal -1
	s_barrier_wait -1
	s_and_saveexec_b32 s3, s0
; %bb.27:
	ds_load_b32 v2, v92 offset:336
; %bb.28:
	s_or_b32 exec_lo, exec_lo, s3
	s_wait_dscnt 0x0
	ds_bpermute_b32 v3, v114, v2
	s_wait_dscnt 0x0
	v_dual_mov_b32 v89, 0 :: v_dual_add_f32 v2, v2, v3
	ds_bpermute_b32 v3, v113, v2
	s_wait_dscnt 0x0
	v_add_f32_e32 v2, v2, v3
	ds_bpermute_b32 v2, v89, v2
	s_and_saveexec_b32 s0, s1
	s_cbranch_execz .LBB38_41
; %bb.29:
	s_wait_dscnt 0x0
	v_add_f32_e32 v2, 0x358637bd, v2
	s_mov_b32 s3, -1
	s_mov_b32 s1, exec_lo
	s_delay_alu instid0(VALU_DEP_1) | instskip(NEXT) | instid1(VALU_DEP_1)
	v_div_scale_f32 v3, null, v2, v2, 1.0
	v_rcp_f32_e32 v5, v3
	v_nop
	s_delay_alu instid0(TRANS32_DEP_1) | instskip(NEXT) | instid1(VALU_DEP_1)
	v_fma_f32 v4, -v3, v5, 1.0
	v_fmac_f32_e32 v5, v4, v5
	v_div_scale_f32 v6, vcc_lo, 1.0, v2, 1.0
	s_delay_alu instid0(VALU_DEP_1) | instskip(NEXT) | instid1(VALU_DEP_1)
	v_mul_f32_e32 v7, v6, v5
	v_fma_f32 v4, -v3, v7, v6
	s_delay_alu instid0(VALU_DEP_1) | instskip(SKIP_1) | instid1(VALU_DEP_2)
	v_fmac_f32_e32 v7, v4, v5
	v_xad_u32 v4, v0, -1, s4
	v_fma_f32 v3, -v3, v7, v6
	s_delay_alu instid0(VALU_DEP_1) | instskip(NEXT) | instid1(VALU_DEP_1)
	v_div_fmas_f32 v3, v3, v5, v7
	v_div_fixup_f32 v2, v3, v2, 1.0
	v_mov_b32_e32 v3, v0
	v_cmpx_lt_u32_e32 0x7f, v4
	s_cbranch_execz .LBB38_38
; %bb.30:
	s_delay_alu instid0(VALU_DEP_3) | instskip(NEXT) | instid1(VALU_DEP_1)
	v_dual_mov_b32 v3, v2 :: v_dual_lshrrev_b32 v4, 7, v4
	v_dual_mov_b32 v8, 0 :: v_dual_add_nc_u32 v5, -1, v4
	s_delay_alu instid0(VALU_DEP_1) | instskip(SKIP_1) | instid1(VALU_DEP_2)
	v_lshrrev_b32_e32 v6, 1, v5
	v_cmp_lt_u32_e32 vcc_lo, 13, v5
	v_add_nc_u32_e32 v5, 1, v6
	s_and_saveexec_b32 s3, vcc_lo
	s_cbranch_execz .LBB38_34
; %bb.31:
	s_delay_alu instid0(VALU_DEP_1)
	v_and_b32_e32 v6, -8, v5
	v_lshl_add_u32 v7, v0, 2, 0x160
	s_mov_b32 s21, 0
	s_mov_b32 s24, 0
.LBB38_32:                              ; =>This Inner Loop Header: Depth=1
	ds_load_2addr_stride64_b32 v[8:9], v7 offset1:2
	ds_load_2addr_stride64_b32 v[10:11], v7 offset0:4 offset1:6
	ds_load_2addr_stride64_b32 v[12:13], v7 offset0:8 offset1:10
	;; [unrolled: 1-line block ×7, first 2 shown]
	s_add_co_i32 s24, s24, 16
	v_add_nc_u32_e32 v6, -8, v6
	s_wait_dscnt 0x7
	v_pk_mul_f32 v[8:9], v[2:3], v[8:9]
	s_wait_dscnt 0x6
	v_pk_mul_f32 v[10:11], v[2:3], v[10:11]
	;; [unrolled: 2-line block ×8, first 2 shown]
	ds_store_2addr_stride64_b32 v7, v8, v9 offset1:2
	ds_store_2addr_stride64_b32 v7, v10, v11 offset0:4 offset1:6
	ds_store_2addr_stride64_b32 v7, v12, v13 offset0:8 offset1:10
	;; [unrolled: 1-line block ×7, first 2 shown]
	v_mov_b32_e32 v8, s24
	v_cmp_eq_u32_e32 vcc_lo, 0, v6
	v_add_nc_u32_e32 v7, 0x2000, v7
	s_or_b32 s21, vcc_lo, s21
	s_delay_alu instid0(SALU_CYCLE_1)
	s_and_not1_b32 exec_lo, exec_lo, s21
	s_cbranch_execnz .LBB38_32
; %bb.33:
	s_or_b32 exec_lo, exec_lo, s21
.LBB38_34:
	s_delay_alu instid0(SALU_CYCLE_1) | instskip(NEXT) | instid1(VALU_DEP_1)
	s_or_b32 exec_lo, exec_lo, s3
	v_and_b32_e32 v5, 7, v5
	s_mov_b32 s21, 0
	s_mov_b32 s3, exec_lo
	s_delay_alu instid0(VALU_DEP_1)
	v_cmpx_ne_u32_e32 0, v5
	s_cbranch_execz .LBB38_37
; %bb.35:
	v_lshlrev_b32_e32 v6, 9, v8
	v_lshlrev_b32_e32 v7, 2, v0
	s_delay_alu instid0(VALU_DEP_1)
	v_add3_u32 v6, v6, v7, 0x160
.LBB38_36:                              ; =>This Inner Loop Header: Depth=1
	ds_load_2addr_stride64_b32 v[8:9], v6 offset1:2
	v_add_nc_u32_e32 v5, -1, v5
	s_delay_alu instid0(VALU_DEP_1)
	v_cmp_eq_u32_e32 vcc_lo, 0, v5
	s_or_b32 s21, vcc_lo, s21
	s_wait_dscnt 0x0
	v_pk_mul_f32 v[8:9], v[2:3], v[8:9]
	ds_store_2addr_stride64_b32 v6, v8, v9 offset1:2
	v_add_nc_u32_e32 v6, 0x400, v6
	s_and_not1_b32 exec_lo, exec_lo, s21
	s_cbranch_execnz .LBB38_36
.LBB38_37:
	s_or_b32 exec_lo, exec_lo, s3
	v_add_nc_u32_e32 v3, 1, v4
	s_delay_alu instid0(VALU_DEP_1) | instskip(NEXT) | instid1(VALU_DEP_1)
	v_and_b32_e32 v4, 0x3fffffe, v3
	v_cmp_ne_u32_e32 vcc_lo, v3, v4
	v_lshl_add_u32 v3, v4, 7, v0
	s_or_not1_b32 s3, vcc_lo, exec_lo
.LBB38_38:
	s_or_b32 exec_lo, exec_lo, s1
	s_delay_alu instid0(SALU_CYCLE_1)
	s_and_b32 exec_lo, exec_lo, s3
	s_cbranch_execz .LBB38_41
; %bb.39:
	v_lshl_add_u32 v4, v3, 2, 0x160
	s_mov_b32 s1, 0
.LBB38_40:                              ; =>This Inner Loop Header: Depth=1
	ds_load_b32 v5, v4
	v_add_nc_u32_e32 v3, 0x80, v3
	s_delay_alu instid0(VALU_DEP_1)
	v_cmp_le_i32_e32 vcc_lo, s4, v3
	s_or_b32 s1, vcc_lo, s1
	s_wait_dscnt 0x0
	v_mul_f32_e32 v5, v2, v5
	ds_store_b32 v4, v5
	v_add_nc_u32_e32 v4, 0x200, v4
	s_and_not1_b32 exec_lo, exec_lo, s1
	s_cbranch_execnz .LBB38_40
.LBB38_41:
	s_or_b32 exec_lo, exec_lo, s0
	v_dual_mov_b32 v88, 0 :: v_dual_bitop2_b32 v116, 7, v0 bitop3:0x40
	v_dual_mov_b32 v91, 0 :: v_dual_mov_b32 v90, 0
	v_dual_mov_b32 v93, 0 :: v_dual_mov_b32 v92, 0
	;; [unrolled: 1-line block ×9, first 2 shown]
	s_wait_dscnt 0x0
	s_barrier_signal -1
	s_barrier_wait -1
	s_and_saveexec_b32 s24, s2
	s_cbranch_execz .LBB38_87
; %bb.42:
	s_abs_i32 s25, s6
	v_lshlrev_b32_e32 v5, 2, v0
	s_cvt_f32_u32 s0, s25
	v_and_b32_e32 v2, 0x1f0, v87
	v_dual_mov_b32 v87, 0 :: v_dual_lshlrev_b32 v6, 4, v116
	s_delay_alu instid0(SALU_CYCLE_1) | instskip(SKIP_2) | instid1(VALU_DEP_2)
	v_rcp_iflag_f32_e32 v3, s0
	s_ashr_i32 s21, s20, 31
	v_and_b32_e32 v4, 0x7c, v108
	v_dual_mov_b32 v5, v87 :: v_dual_bitop2_b32 v117, 28, v5 bitop3:0x40
	s_lshl_b64 s[0:1], s[18:19], 2
	s_lshl_b64 s[2:3], s[20:21], 2
	s_delay_alu instid0(TRANS32_DEP_1)
	v_readfirstlane_b32 s6, v3
	v_mov_b32_e32 v3, v87
	v_lshl_or_b32 v6, v1, 7, v6
	s_add_nc_u64 s[0:1], s[16:17], s[0:1]
	s_wait_kmcnt 0x0
	s_add_nc_u64 s[2:3], s[22:23], s[2:3]
	s_mul_f32 s6, s6, 0x4f7ffffe
	s_sub_co_i32 s18, 0, s25
	v_add_nc_u64_e32 v[108:109], s[2:3], v[2:3]
	v_add_nc_u64_e32 v[110:111], s[0:1], v[4:5]
	s_cvt_u32_f32 s6, s6
	v_dual_mov_b32 v119, v1 :: v_dual_add_nc_u32 v118, 0x160, v6
	v_dual_mov_b32 v106, v87 :: v_dual_mov_b32 v107, v87
	s_delay_alu instid0(SALU_CYCLE_1)
	s_mul_i32 s18, s18, s6
	v_dual_mov_b32 v104, v87 :: v_dual_mov_b32 v105, v87
	v_dual_mov_b32 v102, v87 :: v_dual_mov_b32 v103, v87
	;; [unrolled: 1-line block ×9, first 2 shown]
	s_sub_co_i32 s34, s7, s5
	s_mov_b32 s7, 0
	s_mul_hi_u32 s2, s6, s18
	s_ashr_i32 s5, s9, 31
	s_mov_b32 s4, s9
	s_add_co_i32 s9, s33, -1
	s_mov_b32 s16, s29
	s_add_co_i32 s6, s6, s2
	s_mov_b32 s17, s7
	s_branch .LBB38_45
.LBB38_43:                              ;   in Loop: Header=BB38_45 Depth=1
	s_or_b32 exec_lo, exec_lo, s0
	s_wait_loadcnt_dscnt 0x200
	v_mul_f32_e32 v78, v6, v78
	s_wait_loadcnt 0x1
	v_mul_f32_e32 v82, v6, v82
	v_mul_f32_e32 v70, v6, v70
	;; [unrolled: 1-line block ×3, first 2 shown]
	v_dual_mul_f32 v58, v6, v58 :: v_dual_fmac_f32 v78, v7, v79
	s_delay_alu instid0(VALU_DEP_4) | instskip(NEXT) | instid1(VALU_DEP_4)
	v_dual_fmac_f32 v82, v7, v83 :: v_dual_mul_f32 v62, v6, v62
	v_fmac_f32_e32 v70, v7, v71
	s_delay_alu instid0(VALU_DEP_4) | instskip(NEXT) | instid1(VALU_DEP_3)
	v_dual_fmac_f32 v74, v7, v75 :: v_dual_mul_f32 v46, v6, v46
	v_dual_fmac_f32 v82, v8, v84 :: v_dual_mul_f32 v50, v6, v50
	s_delay_alu instid0(VALU_DEP_3) | instskip(NEXT) | instid1(VALU_DEP_3)
	v_fmac_f32_e32 v70, v8, v72
	v_fmac_f32_e32 v74, v8, v76
	s_delay_alu instid0(VALU_DEP_4) | instskip(NEXT) | instid1(VALU_DEP_4)
	v_dual_fmac_f32 v46, v7, v47 :: v_dual_mul_f32 v38, v6, v38
	v_fmac_f32_e32 v82, v9, v85
	v_fmac_f32_e32 v62, v7, v63
	;; [unrolled: 1-line block ×5, first 2 shown]
	v_add_f32_e32 v88, v88, v82
	s_delay_alu instid0(VALU_DEP_4) | instskip(SKIP_1) | instid1(VALU_DEP_2)
	v_dual_fmac_f32 v62, v8, v64 :: v_dual_add_f32 v93, v93, v70
	v_dual_mul_f32 v42, v6, v42 :: v_dual_fmac_f32 v46, v8, v48
	v_dual_mul_f32 v26, v6, v26 :: v_dual_fmac_f32 v62, v9, v65
	s_delay_alu instid0(VALU_DEP_2) | instskip(NEXT) | instid1(VALU_DEP_3)
	v_dual_add_f32 v90, v90, v74 :: v_dual_fmac_f32 v42, v7, v43
	v_dual_mul_f32 v34, v6, v34 :: v_dual_fmac_f32 v46, v9, v49
	v_fmac_f32_e32 v50, v7, v51
	s_delay_alu instid0(VALU_DEP_4) | instskip(NEXT) | instid1(VALU_DEP_3)
	v_dual_fmac_f32 v26, v7, v27 :: v_dual_mul_f32 v14, v6, v14
	v_dual_fmac_f32 v34, v7, v35 :: v_dual_add_f32 v96, v96, v46
	s_delay_alu instid0(VALU_DEP_3) | instskip(NEXT) | instid1(VALU_DEP_3)
	v_dual_fmac_f32 v50, v8, v52 :: v_dual_mul_f32 v30, v6, v30
	v_fmac_f32_e32 v14, v7, v15
	s_delay_alu instid0(VALU_DEP_4) | instskip(SKIP_1) | instid1(VALU_DEP_4)
	v_dual_fmac_f32 v26, v8, v28 :: v_dual_mul_f32 v10, v6, v10
	v_dual_fmac_f32 v78, v9, v81 :: v_dual_mul_f32 v54, v6, v54
	v_fmac_f32_e32 v30, v7, v31
	s_delay_alu instid0(VALU_DEP_4)
	v_fmac_f32_e32 v14, v8, v16
	v_fmac_f32_e32 v34, v8, v36
	;; [unrolled: 1-line block ×7, first 2 shown]
	v_dual_fmac_f32 v34, v9, v37 :: v_dual_add_f32 v103, v103, v26
	s_delay_alu instid0(VALU_DEP_4) | instskip(SKIP_2) | instid1(VALU_DEP_3)
	v_dual_fmac_f32 v54, v7, v55 :: v_dual_add_f32 v97, v97, v50
	v_fmac_f32_e32 v10, v8, v12
	v_dual_add_f32 v104, v104, v14 :: v_dual_fmac_f32 v38, v7, v39
	v_dual_add_f32 v101, v101, v34 :: v_dual_fmac_f32 v54, v8, v56
	s_delay_alu instid0(VALU_DEP_3) | instskip(SKIP_1) | instid1(VALU_DEP_4)
	v_fmac_f32_e32 v10, v9, v13
	v_fmac_f32_e32 v30, v9, v33
	v_dual_fmac_f32 v38, v8, v40 :: v_dual_add_f32 v91, v91, v78
	v_add_f32_e32 v92, v92, v62
	s_delay_alu instid0(VALU_DEP_4) | instskip(NEXT) | instid1(VALU_DEP_4)
	v_dual_add_f32 v107, v107, v10 :: v_dual_fmac_f32 v54, v9, v57
	v_dual_add_f32 v100, v100, v30 :: v_dual_fmac_f32 v58, v7, v59
	s_delay_alu instid0(VALU_DEP_4) | instskip(NEXT) | instid1(VALU_DEP_3)
	v_fmac_f32_e32 v38, v9, v41
	v_dual_fmac_f32 v42, v8, v44 :: v_dual_add_f32 v94, v94, v54
	v_mul_f32_e32 v22, v6, v22
	s_delay_alu instid0(VALU_DEP_2) | instskip(SKIP_1) | instid1(VALU_DEP_3)
	v_dual_add_f32 v98, v98, v38 :: v_dual_fmac_f32 v42, v9, v45
	v_fmac_f32_e32 v58, v8, v60
	v_dual_fmac_f32 v22, v7, v23 :: v_dual_mul_f32 v23, v6, v18
	s_delay_alu instid0(VALU_DEP_2) | instskip(NEXT) | instid1(VALU_DEP_2)
	v_dual_add_f32 v99, v99, v42 :: v_dual_fmac_f32 v58, v9, v61
	v_fmac_f32_e32 v23, v7, v19
	s_wait_loadcnt 0x0
	v_pk_mul_f32 v[18:19], v[6:7], v[66:67]
	s_delay_alu instid0(VALU_DEP_2) | instskip(NEXT) | instid1(VALU_DEP_1)
	v_dual_add_f32 v95, v95, v58 :: v_dual_fmac_f32 v23, v8, v20
	v_dual_fmac_f32 v23, v9, v21 :: v_dual_fmac_f32 v22, v8, v24
	s_delay_alu instid0(VALU_DEP_1) | instskip(NEXT) | instid1(VALU_DEP_2)
	v_add_f32_e32 v105, v105, v23
	v_fmac_f32_e32 v22, v9, v25
	s_delay_alu instid0(VALU_DEP_1) | instskip(SKIP_2) | instid1(VALU_DEP_2)
	v_add_f32_e32 v102, v102, v22
	v_mul_f32_e32 v22, v6, v2
	v_add_f32_e32 v6, v19, v18
	v_fmac_f32_e32 v22, v7, v3
	v_pk_mul_f32 v[2:3], v[8:9], v[68:69]
	s_delay_alu instid0(VALU_DEP_1) | instskip(NEXT) | instid1(VALU_DEP_1)
	v_dual_fmac_f32 v22, v8, v4 :: v_dual_add_f32 v2, v2, v6
	v_dual_fmac_f32 v22, v9, v5 :: v_dual_add_f32 v2, v3, v2
	s_delay_alu instid0(VALU_DEP_1) | instskip(NEXT) | instid1(VALU_DEP_2)
	v_add_f32_e32 v106, v106, v22
	v_add_f32_e32 v89, v89, v2
.LBB38_44:                              ;   in Loop: Header=BB38_45 Depth=1
	s_or_b32 exec_lo, exec_lo, s18
	v_add_nc_u32_e32 v119, 4, v119
	v_add_nc_u64_e32 v[110:111], 16, v[110:111]
	v_add_nc_u32_e32 v86, 0x80, v86
	v_add_nc_u32_e32 v118, 0x200, v118
	s_delay_alu instid0(VALU_DEP_4) | instskip(SKIP_1) | instid1(SALU_CYCLE_1)
	v_cmp_le_i32_e32 vcc_lo, s33, v119
	s_or_b32 s17, vcc_lo, s17
	s_and_not1_b32 exec_lo, exec_lo, s17
	s_cbranch_execz .LBB38_86
.LBB38_45:                              ; =>This Inner Loop Header: Depth=1
	v_mul_u64_e32 v[2:3], s[14:15], v[86:87]
	s_delay_alu instid0(VALU_DEP_1) | instskip(NEXT) | instid1(VALU_DEP_1)
	v_mul_lo_u32 v2, v3, s13
	v_dual_add_nc_u32 v4, 1, v3 :: v_dual_sub_nc_u32 v2, v86, v2
	s_delay_alu instid0(VALU_DEP_1) | instskip(SKIP_1) | instid1(VALU_DEP_2)
	v_subrev_nc_u32_e32 v5, s13, v2
	v_cmp_le_u32_e32 vcc_lo, s13, v2
	v_dual_cndmask_b32 v3, v3, v4 :: v_dual_cndmask_b32 v2, v2, v5
	s_delay_alu instid0(VALU_DEP_1) | instskip(NEXT) | instid1(VALU_DEP_2)
	v_add_nc_u32_e32 v4, 1, v3
	v_cmp_le_u32_e32 vcc_lo, s13, v2
	s_delay_alu instid0(VALU_DEP_2) | instskip(NEXT) | instid1(VALU_DEP_1)
	v_cndmask_b32_e32 v2, v3, v4, vcc_lo
	v_dual_mov_b32 v3, v87 :: v_dual_bitop2_b32 v2, s31, v2 bitop3:0x14
	s_delay_alu instid0(VALU_DEP_1) | instskip(NEXT) | instid1(VALU_DEP_1)
	v_subrev_nc_u32_e32 v6, s31, v2
	v_add_nc_u32_e32 v7, s30, v6
	v_cmp_lt_i32_e64 s0, s34, v6
	s_delay_alu instid0(VALU_DEP_2) | instskip(NEXT) | instid1(VALU_DEP_1)
	v_sub_nc_u32_e32 v2, 0, v7
	v_max_i32_e32 v2, v7, v2
	s_delay_alu instid0(VALU_DEP_1) | instskip(SKIP_1) | instid1(VALU_DEP_2)
	v_mul_u64_e32 v[4:5], s[6:7], v[2:3]
	v_ashrrev_i32_e32 v4, 31, v7
	v_mul_lo_u32 v3, v5, s25
	s_delay_alu instid0(VALU_DEP_1) | instskip(NEXT) | instid1(VALU_DEP_1)
	v_sub_nc_u32_e32 v2, v2, v3
	v_subrev_nc_u32_e32 v3, s25, v2
	v_cmp_le_u32_e32 vcc_lo, s25, v2
	s_delay_alu instid0(VALU_DEP_2) | instskip(NEXT) | instid1(VALU_DEP_1)
	v_cndmask_b32_e32 v2, v2, v3, vcc_lo
	v_subrev_nc_u32_e32 v3, s25, v2
	v_cmp_le_u32_e32 vcc_lo, s25, v2
	s_delay_alu instid0(VALU_DEP_2) | instskip(NEXT) | instid1(VALU_DEP_1)
	v_cndmask_b32_e32 v2, v2, v3, vcc_lo
	v_xor_b32_e32 v2, v2, v4
	s_delay_alu instid0(VALU_DEP_1) | instskip(NEXT) | instid1(VALU_DEP_1)
	v_sub_nc_u32_e32 v2, v2, v4
	v_cmp_eq_u32_e32 vcc_lo, 0, v2
	s_or_b32 s0, vcc_lo, s0
	s_delay_alu instid0(SALU_CYCLE_1)
	s_and_saveexec_b32 s18, s0
	s_cbranch_execz .LBB38_44
; %bb.46:                               ;   in Loop: Header=BB38_45 Depth=1
	global_load_b32 v2, v[110:111], off
	v_add_nc_u32_e32 v120, v117, v86
	ds_load_b128 v[6:9], v118
	v_cmp_eq_u32_e32 vcc_lo, s9, v119
	v_or_b32_e32 v122, 3, v120
	v_dual_add_nc_u32 v123, 1, v120 :: v_dual_bitop2_b32 v121, 2, v120 bitop3:0x54
	s_wait_loadcnt 0x0
	v_ashrrev_i32_e32 v3, 31, v2
	s_delay_alu instid0(VALU_DEP_1) | instskip(NEXT) | instid1(VALU_DEP_1)
	v_mul_u64_e32 v[2:3], s[4:5], v[2:3]
	v_lshl_add_u64 v[66:67], v[2:3], 2, v[108:109]
	global_load_b128 v[2:5], v[66:67], off
	s_wait_xcnt 0x0
	s_and_saveexec_b32 s1, vcc_lo
	s_cbranch_execnz .LBB38_66
; %bb.47:                               ;   in Loop: Header=BB38_45 Depth=1
	s_or_b32 exec_lo, exec_lo, s1
	global_load_b128 v[10:13], v[66:67], off offset:512
	s_wait_xcnt 0x0
	s_and_saveexec_b32 s1, vcc_lo
	s_cbranch_execnz .LBB38_67
.LBB38_48:                              ;   in Loop: Header=BB38_45 Depth=1
	s_or_b32 exec_lo, exec_lo, s1
	global_load_b128 v[14:17], v[66:67], off offset:1024
	s_wait_xcnt 0x0
	s_and_saveexec_b32 s1, vcc_lo
	s_cbranch_execnz .LBB38_68
.LBB38_49:                              ;   in Loop: Header=BB38_45 Depth=1
	s_or_b32 exec_lo, exec_lo, s1
	global_load_b128 v[18:21], v[66:67], off offset:1536
	s_wait_xcnt 0x0
	s_and_saveexec_b32 s1, vcc_lo
	s_cbranch_execnz .LBB38_69
.LBB38_50:                              ;   in Loop: Header=BB38_45 Depth=1
	s_or_b32 exec_lo, exec_lo, s1
	global_load_b128 v[22:25], v[66:67], off offset:2048
	s_wait_xcnt 0x0
	s_and_saveexec_b32 s1, vcc_lo
	s_cbranch_execnz .LBB38_70
.LBB38_51:                              ;   in Loop: Header=BB38_45 Depth=1
	s_or_b32 exec_lo, exec_lo, s1
	global_load_b128 v[26:29], v[66:67], off offset:2560
	s_wait_xcnt 0x0
	s_and_saveexec_b32 s1, vcc_lo
	s_cbranch_execnz .LBB38_71
.LBB38_52:                              ;   in Loop: Header=BB38_45 Depth=1
	s_or_b32 exec_lo, exec_lo, s1
	global_load_b128 v[30:33], v[66:67], off offset:3072
	s_wait_xcnt 0x0
	s_and_saveexec_b32 s1, vcc_lo
	s_cbranch_execnz .LBB38_72
.LBB38_53:                              ;   in Loop: Header=BB38_45 Depth=1
	s_or_b32 exec_lo, exec_lo, s1
	global_load_b128 v[34:37], v[66:67], off offset:3584
	s_wait_xcnt 0x0
	s_and_saveexec_b32 s1, vcc_lo
	s_cbranch_execnz .LBB38_73
.LBB38_54:                              ;   in Loop: Header=BB38_45 Depth=1
	s_or_b32 exec_lo, exec_lo, s1
	global_load_b128 v[38:41], v[66:67], off offset:4096
	s_wait_xcnt 0x0
	s_and_saveexec_b32 s1, vcc_lo
	s_cbranch_execnz .LBB38_74
.LBB38_55:                              ;   in Loop: Header=BB38_45 Depth=1
	s_or_b32 exec_lo, exec_lo, s1
	global_load_b128 v[42:45], v[66:67], off offset:4608
	s_wait_xcnt 0x0
	s_and_saveexec_b32 s1, vcc_lo
	s_cbranch_execnz .LBB38_75
.LBB38_56:                              ;   in Loop: Header=BB38_45 Depth=1
	s_or_b32 exec_lo, exec_lo, s1
	global_load_b128 v[46:49], v[66:67], off offset:5120
	s_wait_xcnt 0x0
	s_and_saveexec_b32 s1, vcc_lo
	s_cbranch_execnz .LBB38_76
.LBB38_57:                              ;   in Loop: Header=BB38_45 Depth=1
	s_or_b32 exec_lo, exec_lo, s1
	global_load_b128 v[50:53], v[66:67], off offset:5632
	s_wait_xcnt 0x0
	s_and_saveexec_b32 s1, vcc_lo
	s_cbranch_execnz .LBB38_77
.LBB38_58:                              ;   in Loop: Header=BB38_45 Depth=1
	s_or_b32 exec_lo, exec_lo, s1
	global_load_b128 v[54:57], v[66:67], off offset:6144
	s_wait_xcnt 0x0
	s_and_saveexec_b32 s1, vcc_lo
	s_cbranch_execnz .LBB38_78
.LBB38_59:                              ;   in Loop: Header=BB38_45 Depth=1
	s_or_b32 exec_lo, exec_lo, s1
	global_load_b128 v[58:61], v[66:67], off offset:6656
	s_wait_xcnt 0x0
	s_and_saveexec_b32 s1, vcc_lo
	s_cbranch_execnz .LBB38_79
.LBB38_60:                              ;   in Loop: Header=BB38_45 Depth=1
	s_or_b32 exec_lo, exec_lo, s1
	global_load_b128 v[62:65], v[66:67], off offset:7168
	s_wait_xcnt 0x0
	s_and_saveexec_b32 s1, vcc_lo
	s_cbranch_execnz .LBB38_80
.LBB38_61:                              ;   in Loop: Header=BB38_45 Depth=1
	s_or_b32 exec_lo, exec_lo, s1
	global_load_b128 v[70:73], v[66:67], off offset:7680
	s_wait_xcnt 0x0
	s_and_saveexec_b32 s1, vcc_lo
	s_cbranch_execnz .LBB38_81
.LBB38_62:                              ;   in Loop: Header=BB38_45 Depth=1
	s_or_b32 exec_lo, exec_lo, s1
	global_load_b128 v[74:77], v[66:67], off offset:8192
	s_wait_xcnt 0x0
	s_and_saveexec_b32 s19, vcc_lo
	s_cbranch_execnz .LBB38_82
.LBB38_63:                              ;   in Loop: Header=BB38_45 Depth=1
	s_or_b32 exec_lo, exec_lo, s19
	global_load_b128 v[78:81], v[66:67], off offset:8704
	s_wait_xcnt 0x0
	s_and_saveexec_b32 s1, vcc_lo
	s_cbranch_execnz .LBB38_83
.LBB38_64:                              ;   in Loop: Header=BB38_45 Depth=1
	s_or_b32 exec_lo, exec_lo, s1
	global_load_b128 v[82:85], v[66:67], off offset:9216
	s_wait_xcnt 0x0
	s_and_saveexec_b32 s1, vcc_lo
	s_cbranch_execnz .LBB38_84
.LBB38_65:                              ;   in Loop: Header=BB38_45 Depth=1
	s_or_b32 exec_lo, exec_lo, s1
	global_load_b128 v[66:69], v[66:67], off offset:9728
	s_wait_xcnt 0x0
	s_and_saveexec_b32 s0, vcc_lo
	s_cbranch_execz .LBB38_43
	s_branch .LBB38_85
.LBB38_66:                              ;   in Loop: Header=BB38_45 Depth=1
	v_cmp_gt_i32_e64 s0, s16, v123
	s_wait_loadcnt 0x0
	s_delay_alu instid0(VALU_DEP_1) | instskip(SKIP_1) | instid1(VALU_DEP_1)
	v_cndmask_b32_e64 v3, 0, v3, s0
	v_cmp_gt_i32_e64 s0, s29, v120
	v_cndmask_b32_e64 v2, 0, v2, s0
	v_cmp_gt_i32_e64 s0, s16, v122
	s_delay_alu instid0(VALU_DEP_1) | instskip(SKIP_1) | instid1(VALU_DEP_1)
	v_cndmask_b32_e64 v5, 0, v5, s0
	v_cmp_gt_i32_e64 s0, s29, v121
	v_cndmask_b32_e64 v4, 0, v4, s0
	s_or_b32 exec_lo, exec_lo, s1
	global_load_b128 v[10:13], v[66:67], off offset:512
	s_wait_xcnt 0x0
	s_and_saveexec_b32 s1, vcc_lo
	s_cbranch_execz .LBB38_48
.LBB38_67:                              ;   in Loop: Header=BB38_45 Depth=1
	v_cmp_gt_i32_e64 s0, s16, v123
	s_wait_loadcnt 0x0
	s_delay_alu instid0(VALU_DEP_1) | instskip(SKIP_1) | instid1(VALU_DEP_1)
	v_cndmask_b32_e64 v11, 0, v11, s0
	v_cmp_gt_i32_e64 s0, s29, v120
	v_cndmask_b32_e64 v10, 0, v10, s0
	v_cmp_gt_i32_e64 s0, s16, v122
	s_delay_alu instid0(VALU_DEP_1) | instskip(SKIP_1) | instid1(VALU_DEP_1)
	v_cndmask_b32_e64 v13, 0, v13, s0
	v_cmp_gt_i32_e64 s0, s29, v121
	v_cndmask_b32_e64 v12, 0, v12, s0
	s_or_b32 exec_lo, exec_lo, s1
	global_load_b128 v[14:17], v[66:67], off offset:1024
	s_wait_xcnt 0x0
	s_and_saveexec_b32 s1, vcc_lo
	s_cbranch_execz .LBB38_49
.LBB38_68:                              ;   in Loop: Header=BB38_45 Depth=1
	v_cmp_gt_i32_e64 s0, s16, v123
	s_wait_loadcnt 0x0
	s_delay_alu instid0(VALU_DEP_1) | instskip(SKIP_1) | instid1(VALU_DEP_1)
	v_cndmask_b32_e64 v15, 0, v15, s0
	v_cmp_gt_i32_e64 s0, s29, v120
	v_cndmask_b32_e64 v14, 0, v14, s0
	v_cmp_gt_i32_e64 s0, s16, v122
	s_delay_alu instid0(VALU_DEP_1) | instskip(SKIP_1) | instid1(VALU_DEP_1)
	v_cndmask_b32_e64 v17, 0, v17, s0
	v_cmp_gt_i32_e64 s0, s29, v121
	v_cndmask_b32_e64 v16, 0, v16, s0
	s_or_b32 exec_lo, exec_lo, s1
	global_load_b128 v[18:21], v[66:67], off offset:1536
	s_wait_xcnt 0x0
	s_and_saveexec_b32 s1, vcc_lo
	s_cbranch_execz .LBB38_50
.LBB38_69:                              ;   in Loop: Header=BB38_45 Depth=1
	v_cmp_gt_i32_e64 s0, s16, v123
	s_wait_loadcnt 0x0
	s_delay_alu instid0(VALU_DEP_1) | instskip(SKIP_1) | instid1(VALU_DEP_1)
	v_cndmask_b32_e64 v19, 0, v19, s0
	v_cmp_gt_i32_e64 s0, s29, v120
	v_cndmask_b32_e64 v18, 0, v18, s0
	v_cmp_gt_i32_e64 s0, s16, v122
	s_delay_alu instid0(VALU_DEP_1) | instskip(SKIP_1) | instid1(VALU_DEP_1)
	v_cndmask_b32_e64 v21, 0, v21, s0
	v_cmp_gt_i32_e64 s0, s29, v121
	v_cndmask_b32_e64 v20, 0, v20, s0
	s_or_b32 exec_lo, exec_lo, s1
	global_load_b128 v[22:25], v[66:67], off offset:2048
	s_wait_xcnt 0x0
	s_and_saveexec_b32 s1, vcc_lo
	s_cbranch_execz .LBB38_51
.LBB38_70:                              ;   in Loop: Header=BB38_45 Depth=1
	v_cmp_gt_i32_e64 s0, s16, v123
	s_wait_loadcnt 0x0
	s_delay_alu instid0(VALU_DEP_1) | instskip(SKIP_1) | instid1(VALU_DEP_1)
	v_cndmask_b32_e64 v23, 0, v23, s0
	v_cmp_gt_i32_e64 s0, s29, v120
	v_cndmask_b32_e64 v22, 0, v22, s0
	v_cmp_gt_i32_e64 s0, s16, v122
	s_delay_alu instid0(VALU_DEP_1) | instskip(SKIP_1) | instid1(VALU_DEP_1)
	v_cndmask_b32_e64 v25, 0, v25, s0
	v_cmp_gt_i32_e64 s0, s29, v121
	v_cndmask_b32_e64 v24, 0, v24, s0
	s_or_b32 exec_lo, exec_lo, s1
	global_load_b128 v[26:29], v[66:67], off offset:2560
	s_wait_xcnt 0x0
	s_and_saveexec_b32 s1, vcc_lo
	s_cbranch_execz .LBB38_52
.LBB38_71:                              ;   in Loop: Header=BB38_45 Depth=1
	v_cmp_gt_i32_e64 s0, s16, v123
	s_wait_loadcnt 0x0
	s_delay_alu instid0(VALU_DEP_1) | instskip(SKIP_1) | instid1(VALU_DEP_1)
	v_cndmask_b32_e64 v27, 0, v27, s0
	v_cmp_gt_i32_e64 s0, s29, v120
	v_cndmask_b32_e64 v26, 0, v26, s0
	v_cmp_gt_i32_e64 s0, s16, v122
	s_delay_alu instid0(VALU_DEP_1) | instskip(SKIP_1) | instid1(VALU_DEP_1)
	v_cndmask_b32_e64 v29, 0, v29, s0
	v_cmp_gt_i32_e64 s0, s29, v121
	v_cndmask_b32_e64 v28, 0, v28, s0
	s_or_b32 exec_lo, exec_lo, s1
	global_load_b128 v[30:33], v[66:67], off offset:3072
	s_wait_xcnt 0x0
	s_and_saveexec_b32 s1, vcc_lo
	s_cbranch_execz .LBB38_53
.LBB38_72:                              ;   in Loop: Header=BB38_45 Depth=1
	v_cmp_gt_i32_e64 s0, s16, v123
	s_wait_loadcnt 0x0
	s_delay_alu instid0(VALU_DEP_1) | instskip(SKIP_1) | instid1(VALU_DEP_1)
	v_cndmask_b32_e64 v31, 0, v31, s0
	v_cmp_gt_i32_e64 s0, s29, v120
	v_cndmask_b32_e64 v30, 0, v30, s0
	v_cmp_gt_i32_e64 s0, s16, v122
	s_delay_alu instid0(VALU_DEP_1) | instskip(SKIP_1) | instid1(VALU_DEP_1)
	v_cndmask_b32_e64 v33, 0, v33, s0
	v_cmp_gt_i32_e64 s0, s29, v121
	v_cndmask_b32_e64 v32, 0, v32, s0
	s_or_b32 exec_lo, exec_lo, s1
	global_load_b128 v[34:37], v[66:67], off offset:3584
	s_wait_xcnt 0x0
	s_and_saveexec_b32 s1, vcc_lo
	s_cbranch_execz .LBB38_54
.LBB38_73:                              ;   in Loop: Header=BB38_45 Depth=1
	v_cmp_gt_i32_e64 s0, s16, v123
	s_wait_loadcnt 0x0
	s_delay_alu instid0(VALU_DEP_1) | instskip(SKIP_1) | instid1(VALU_DEP_1)
	v_cndmask_b32_e64 v35, 0, v35, s0
	v_cmp_gt_i32_e64 s0, s29, v120
	v_cndmask_b32_e64 v34, 0, v34, s0
	v_cmp_gt_i32_e64 s0, s16, v122
	s_delay_alu instid0(VALU_DEP_1) | instskip(SKIP_1) | instid1(VALU_DEP_1)
	v_cndmask_b32_e64 v37, 0, v37, s0
	v_cmp_gt_i32_e64 s0, s29, v121
	v_cndmask_b32_e64 v36, 0, v36, s0
	s_or_b32 exec_lo, exec_lo, s1
	global_load_b128 v[38:41], v[66:67], off offset:4096
	s_wait_xcnt 0x0
	s_and_saveexec_b32 s1, vcc_lo
	s_cbranch_execz .LBB38_55
.LBB38_74:                              ;   in Loop: Header=BB38_45 Depth=1
	v_cmp_gt_i32_e64 s0, s16, v123
	s_wait_loadcnt 0x0
	s_delay_alu instid0(VALU_DEP_1) | instskip(SKIP_1) | instid1(VALU_DEP_1)
	v_cndmask_b32_e64 v39, 0, v39, s0
	v_cmp_gt_i32_e64 s0, s29, v120
	v_cndmask_b32_e64 v38, 0, v38, s0
	v_cmp_gt_i32_e64 s0, s16, v122
	s_delay_alu instid0(VALU_DEP_1) | instskip(SKIP_1) | instid1(VALU_DEP_1)
	v_cndmask_b32_e64 v41, 0, v41, s0
	v_cmp_gt_i32_e64 s0, s29, v121
	v_cndmask_b32_e64 v40, 0, v40, s0
	s_or_b32 exec_lo, exec_lo, s1
	global_load_b128 v[42:45], v[66:67], off offset:4608
	s_wait_xcnt 0x0
	s_and_saveexec_b32 s1, vcc_lo
	s_cbranch_execz .LBB38_56
.LBB38_75:                              ;   in Loop: Header=BB38_45 Depth=1
	v_cmp_gt_i32_e64 s0, s16, v123
	s_wait_loadcnt 0x0
	s_delay_alu instid0(VALU_DEP_1) | instskip(SKIP_1) | instid1(VALU_DEP_1)
	v_cndmask_b32_e64 v43, 0, v43, s0
	v_cmp_gt_i32_e64 s0, s29, v120
	v_cndmask_b32_e64 v42, 0, v42, s0
	v_cmp_gt_i32_e64 s0, s16, v122
	s_delay_alu instid0(VALU_DEP_1) | instskip(SKIP_1) | instid1(VALU_DEP_1)
	v_cndmask_b32_e64 v45, 0, v45, s0
	v_cmp_gt_i32_e64 s0, s29, v121
	v_cndmask_b32_e64 v44, 0, v44, s0
	s_or_b32 exec_lo, exec_lo, s1
	global_load_b128 v[46:49], v[66:67], off offset:5120
	s_wait_xcnt 0x0
	s_and_saveexec_b32 s1, vcc_lo
	s_cbranch_execz .LBB38_57
.LBB38_76:                              ;   in Loop: Header=BB38_45 Depth=1
	v_cmp_gt_i32_e64 s0, s16, v123
	s_wait_loadcnt 0x0
	s_delay_alu instid0(VALU_DEP_1) | instskip(SKIP_1) | instid1(VALU_DEP_1)
	v_cndmask_b32_e64 v47, 0, v47, s0
	v_cmp_gt_i32_e64 s0, s29, v120
	v_cndmask_b32_e64 v46, 0, v46, s0
	v_cmp_gt_i32_e64 s0, s16, v122
	s_delay_alu instid0(VALU_DEP_1) | instskip(SKIP_1) | instid1(VALU_DEP_1)
	v_cndmask_b32_e64 v49, 0, v49, s0
	v_cmp_gt_i32_e64 s0, s29, v121
	v_cndmask_b32_e64 v48, 0, v48, s0
	s_or_b32 exec_lo, exec_lo, s1
	global_load_b128 v[50:53], v[66:67], off offset:5632
	s_wait_xcnt 0x0
	s_and_saveexec_b32 s1, vcc_lo
	s_cbranch_execz .LBB38_58
.LBB38_77:                              ;   in Loop: Header=BB38_45 Depth=1
	v_cmp_gt_i32_e64 s0, s16, v123
	s_wait_loadcnt 0x0
	s_delay_alu instid0(VALU_DEP_1) | instskip(SKIP_1) | instid1(VALU_DEP_1)
	v_cndmask_b32_e64 v51, 0, v51, s0
	v_cmp_gt_i32_e64 s0, s29, v120
	v_cndmask_b32_e64 v50, 0, v50, s0
	v_cmp_gt_i32_e64 s0, s16, v122
	s_delay_alu instid0(VALU_DEP_1) | instskip(SKIP_1) | instid1(VALU_DEP_1)
	v_cndmask_b32_e64 v53, 0, v53, s0
	v_cmp_gt_i32_e64 s0, s29, v121
	v_cndmask_b32_e64 v52, 0, v52, s0
	s_or_b32 exec_lo, exec_lo, s1
	global_load_b128 v[54:57], v[66:67], off offset:6144
	s_wait_xcnt 0x0
	s_and_saveexec_b32 s1, vcc_lo
	s_cbranch_execz .LBB38_59
.LBB38_78:                              ;   in Loop: Header=BB38_45 Depth=1
	v_cmp_gt_i32_e64 s0, s16, v123
	s_wait_loadcnt 0x0
	s_delay_alu instid0(VALU_DEP_1) | instskip(SKIP_1) | instid1(VALU_DEP_1)
	v_cndmask_b32_e64 v55, 0, v55, s0
	v_cmp_gt_i32_e64 s0, s29, v120
	v_cndmask_b32_e64 v54, 0, v54, s0
	v_cmp_gt_i32_e64 s0, s16, v122
	s_delay_alu instid0(VALU_DEP_1) | instskip(SKIP_1) | instid1(VALU_DEP_1)
	v_cndmask_b32_e64 v57, 0, v57, s0
	v_cmp_gt_i32_e64 s0, s29, v121
	v_cndmask_b32_e64 v56, 0, v56, s0
	s_or_b32 exec_lo, exec_lo, s1
	global_load_b128 v[58:61], v[66:67], off offset:6656
	s_wait_xcnt 0x0
	s_and_saveexec_b32 s1, vcc_lo
	s_cbranch_execz .LBB38_60
.LBB38_79:                              ;   in Loop: Header=BB38_45 Depth=1
	v_cmp_gt_i32_e64 s0, s16, v123
	s_wait_loadcnt 0x0
	s_delay_alu instid0(VALU_DEP_1) | instskip(SKIP_1) | instid1(VALU_DEP_1)
	v_cndmask_b32_e64 v59, 0, v59, s0
	v_cmp_gt_i32_e64 s0, s29, v120
	v_cndmask_b32_e64 v58, 0, v58, s0
	v_cmp_gt_i32_e64 s0, s16, v122
	s_delay_alu instid0(VALU_DEP_1) | instskip(SKIP_1) | instid1(VALU_DEP_1)
	v_cndmask_b32_e64 v61, 0, v61, s0
	v_cmp_gt_i32_e64 s0, s29, v121
	v_cndmask_b32_e64 v60, 0, v60, s0
	s_or_b32 exec_lo, exec_lo, s1
	global_load_b128 v[62:65], v[66:67], off offset:7168
	s_wait_xcnt 0x0
	s_and_saveexec_b32 s1, vcc_lo
	s_cbranch_execz .LBB38_61
.LBB38_80:                              ;   in Loop: Header=BB38_45 Depth=1
	v_cmp_gt_i32_e64 s0, s16, v123
	s_wait_loadcnt 0x0
	s_delay_alu instid0(VALU_DEP_1) | instskip(SKIP_1) | instid1(VALU_DEP_1)
	v_cndmask_b32_e64 v63, 0, v63, s0
	v_cmp_gt_i32_e64 s0, s29, v120
	v_cndmask_b32_e64 v62, 0, v62, s0
	v_cmp_gt_i32_e64 s0, s16, v122
	s_delay_alu instid0(VALU_DEP_1) | instskip(SKIP_1) | instid1(VALU_DEP_1)
	v_cndmask_b32_e64 v65, 0, v65, s0
	v_cmp_gt_i32_e64 s0, s29, v121
	v_cndmask_b32_e64 v64, 0, v64, s0
	s_or_b32 exec_lo, exec_lo, s1
	global_load_b128 v[70:73], v[66:67], off offset:7680
	s_wait_xcnt 0x0
	s_and_saveexec_b32 s1, vcc_lo
	s_cbranch_execz .LBB38_62
.LBB38_81:                              ;   in Loop: Header=BB38_45 Depth=1
	v_cmp_gt_i32_e64 s0, s16, v123
	s_wait_loadcnt 0x0
	s_delay_alu instid0(VALU_DEP_1) | instskip(SKIP_1) | instid1(VALU_DEP_1)
	v_cndmask_b32_e64 v71, 0, v71, s0
	v_cmp_gt_i32_e64 s0, s29, v120
	v_cndmask_b32_e64 v70, 0, v70, s0
	v_cmp_gt_i32_e64 s0, s16, v122
	s_delay_alu instid0(VALU_DEP_1) | instskip(SKIP_1) | instid1(VALU_DEP_1)
	v_cndmask_b32_e64 v73, 0, v73, s0
	v_cmp_gt_i32_e64 s0, s29, v121
	v_cndmask_b32_e64 v72, 0, v72, s0
	s_or_b32 exec_lo, exec_lo, s1
	global_load_b128 v[74:77], v[66:67], off offset:8192
	s_wait_xcnt 0x0
	s_and_saveexec_b32 s19, vcc_lo
	s_cbranch_execz .LBB38_63
.LBB38_82:                              ;   in Loop: Header=BB38_45 Depth=1
	v_cmp_gt_i32_e64 s0, s16, v123
	v_cmp_gt_i32_e64 s1, s29, v120
	;; [unrolled: 1-line block ×4, first 2 shown]
	s_wait_loadcnt 0x0
	s_delay_alu instid0(VALU_DEP_3) | instskip(NEXT) | instid1(VALU_DEP_2)
	v_dual_cndmask_b32 v75, 0, v75, s0 :: v_dual_cndmask_b32 v74, 0, v74, s1
	v_dual_cndmask_b32 v77, 0, v77, s2 :: v_dual_cndmask_b32 v76, 0, v76, s3
	s_or_b32 exec_lo, exec_lo, s19
	global_load_b128 v[78:81], v[66:67], off offset:8704
	s_wait_xcnt 0x0
	s_and_saveexec_b32 s1, vcc_lo
	s_cbranch_execz .LBB38_64
.LBB38_83:                              ;   in Loop: Header=BB38_45 Depth=1
	v_cmp_gt_i32_e64 s0, s16, v123
	s_wait_loadcnt 0x0
	s_delay_alu instid0(VALU_DEP_1) | instskip(SKIP_1) | instid1(VALU_DEP_1)
	v_cndmask_b32_e64 v79, 0, v79, s0
	v_cmp_gt_i32_e64 s0, s29, v120
	v_cndmask_b32_e64 v78, 0, v78, s0
	v_cmp_gt_i32_e64 s0, s16, v122
	s_delay_alu instid0(VALU_DEP_1) | instskip(SKIP_1) | instid1(VALU_DEP_1)
	v_cndmask_b32_e64 v81, 0, v81, s0
	v_cmp_gt_i32_e64 s0, s29, v121
	v_cndmask_b32_e64 v80, 0, v80, s0
	s_or_b32 exec_lo, exec_lo, s1
	global_load_b128 v[82:85], v[66:67], off offset:9216
	s_wait_xcnt 0x0
	s_and_saveexec_b32 s1, vcc_lo
	s_cbranch_execz .LBB38_65
.LBB38_84:                              ;   in Loop: Header=BB38_45 Depth=1
	v_cmp_gt_i32_e64 s0, s16, v123
	s_wait_loadcnt 0x0
	s_delay_alu instid0(VALU_DEP_1) | instskip(SKIP_1) | instid1(VALU_DEP_1)
	v_cndmask_b32_e64 v83, 0, v83, s0
	v_cmp_gt_i32_e64 s0, s29, v120
	v_cndmask_b32_e64 v82, 0, v82, s0
	v_cmp_gt_i32_e64 s0, s16, v122
	s_delay_alu instid0(VALU_DEP_1) | instskip(SKIP_1) | instid1(VALU_DEP_1)
	v_cndmask_b32_e64 v85, 0, v85, s0
	v_cmp_gt_i32_e64 s0, s29, v121
	v_cndmask_b32_e64 v84, 0, v84, s0
	s_or_b32 exec_lo, exec_lo, s1
	global_load_b128 v[66:69], v[66:67], off offset:9728
	s_wait_xcnt 0x0
	s_and_saveexec_b32 s0, vcc_lo
	s_cbranch_execz .LBB38_43
.LBB38_85:                              ;   in Loop: Header=BB38_45 Depth=1
	v_cmp_gt_i32_e32 vcc_lo, s16, v123
	s_wait_loadcnt 0x0
	v_cndmask_b32_e32 v67, 0, v67, vcc_lo
	v_cmp_gt_i32_e32 vcc_lo, s29, v120
	v_cndmask_b32_e32 v66, 0, v66, vcc_lo
	v_cmp_gt_i32_e32 vcc_lo, s16, v122
	;; [unrolled: 2-line block ×3, first 2 shown]
	v_cndmask_b32_e32 v68, 0, v68, vcc_lo
	s_branch .LBB38_43
.LBB38_86:
	s_or_b32 exec_lo, exec_lo, s17
.LBB38_87:
	s_delay_alu instid0(SALU_CYCLE_1)
	s_or_b32 exec_lo, exec_lo, s24
	ds_bpermute_b32 v2, v115, v106
	ds_bpermute_b32 v3, v115, v107
	;; [unrolled: 1-line block ×20, first 2 shown]
	s_mov_b32 s0, exec_lo
	s_wait_dscnt 0x12
	v_pk_add_f32 v[2:3], v[106:107], v[2:3]
	s_wait_dscnt 0x0
	v_pk_add_f32 v[6:7], v[102:103], v[6:7]
	s_barrier_signal -1
	v_pk_add_f32 v[8:9], v[100:101], v[8:9]
	ds_bpermute_b32 v22, v114, v2
	ds_bpermute_b32 v23, v114, v3
	;; [unrolled: 1-line block ×6, first 2 shown]
	v_pk_add_f32 v[4:5], v[104:105], v[4:5]
	v_pk_add_f32 v[10:11], v[98:99], v[10:11]
	;; [unrolled: 1-line block ×6, first 2 shown]
	ds_bpermute_b32 v24, v114, v4
	ds_bpermute_b32 v25, v114, v5
	;; [unrolled: 1-line block ×9, first 2 shown]
	s_wait_dscnt 0xd
	v_pk_add_f32 v[2:3], v[2:3], v[22:23]
	ds_bpermute_b32 v37, v114, v17
	ds_bpermute_b32 v22, v114, v18
	;; [unrolled: 1-line block ×3, first 2 shown]
	v_pk_add_f32 v[20:21], v[88:89], v[20:21]
	s_wait_dscnt 0xe
	v_pk_add_f32 v[6:7], v[6:7], v[26:27]
	s_wait_dscnt 0xc
	v_pk_add_f32 v[26:27], v[8:9], v[28:29]
	s_barrier_wait -1
	s_wait_dscnt 0x0
	ds_bpermute_b32 v8, v114, v20
	ds_bpermute_b32 v9, v114, v21
	;; [unrolled: 1-line block ×3, first 2 shown]
	v_pk_add_f32 v[4:5], v[4:5], v[24:25]
	ds_bpermute_b32 v24, v113, v2
	v_pk_add_f32 v[30:31], v[10:11], v[30:31]
	ds_bpermute_b32 v25, v113, v3
	;; [unrolled: 2-line block ×4, first 2 shown]
	ds_bpermute_b32 v29, v113, v7
	v_pk_add_f32 v[16:17], v[16:17], v[36:37]
	ds_bpermute_b32 v40, v113, v26
	v_pk_add_f32 v[36:37], v[18:19], v[22:23]
	ds_bpermute_b32 v41, v113, v27
	ds_bpermute_b32 v42, v113, v30
	;; [unrolled: 1-line block ×11, first 2 shown]
	s_wait_dscnt 0x12
	v_pk_add_f32 v[20:21], v[20:21], v[8:9]
	s_wait_dscnt 0xf
	v_pk_add_f32 v[12:13], v[2:3], v[24:25]
	v_and_b32_e32 v25, 0x3c7, v0
	v_lshrrev_b32_e32 v24, 3, v112
	s_wait_dscnt 0xd
	v_pk_add_f32 v[10:11], v[4:5], v[38:39]
	ds_bpermute_b32 v22, v113, v20
	s_wait_dscnt 0xd
	v_pk_add_f32 v[8:9], v[6:7], v[28:29]
	ds_bpermute_b32 v23, v113, v21
	s_wait_dscnt 0xc
	v_pk_add_f32 v[6:7], v[26:27], v[40:41]
	s_wait_dscnt 0xa
	v_pk_add_f32 v[4:5], v[30:31], v[42:43]
	;; [unrolled: 2-line block ×6, first 2 shown]
	v_cmpx_ne_u32_e32 64, v25
	s_xor_b32 s0, exec_lo, s0
	s_delay_alu instid0(SALU_CYCLE_1)
	s_or_saveexec_b32 s0, s0
	s_wait_dscnt 0x0
	v_pk_add_f32 v[20:21], v[20:21], v[22:23]
	v_lshl_add_u32 v22, v24, 2, 0x160
	v_mul_u32_u24_e32 v1, 0x140, v1
	s_xor_b32 exec_lo, exec_lo, s0
	s_cbranch_execz .LBB38_89
; %bb.88:
	s_delay_alu instid0(VALU_DEP_1) | instskip(NEXT) | instid1(VALU_DEP_1)
	v_add_nc_u32_e32 v23, v22, v1
	v_add_nc_u32_e32 v25, 0xfffffd80, v23
	;; [unrolled: 1-line block ×9, first 2 shown]
	ds_store_b32 v25, v12
	ds_store_b32 v26, v13
	ds_store_b32 v27, v10
	ds_store_b32 v28, v11
	ds_store_b32 v29, v8
	ds_store_b32 v30, v9
	ds_store_b32 v31, v6
	ds_store_b32 v32, v7
	v_add_nc_u32_e32 v25, 0xfffffe00, v23
	v_add_nc_u32_e32 v26, 0xfffffe10, v23
	;; [unrolled: 1-line block ×12, first 2 shown]
	ds_store_b32 v25, v4
	ds_store_b32 v26, v5
	;; [unrolled: 1-line block ×12, first 2 shown]
.LBB38_89:
	s_or_b32 exec_lo, exec_lo, s0
	v_lshlrev_b32_e32 v23, 2, v24
	s_mov_b32 s1, exec_lo
	v_cmp_eq_u32_e32 vcc_lo, 0, v116
	s_wait_dscnt 0x0
	s_barrier_signal -1
	v_add3_u32 v1, 0x160, v1, v23
	s_barrier_wait -1
	v_cmpx_gt_u32_e32 64, v0
	s_cbranch_execz .LBB38_112
; %bb.90:
	s_and_saveexec_b32 s0, vcc_lo
	s_cbranch_execnz .LBB38_140
; %bb.91:
	s_or_b32 exec_lo, exec_lo, s0
	s_and_saveexec_b32 s0, vcc_lo
	s_cbranch_execnz .LBB38_141
.LBB38_92:
	s_or_b32 exec_lo, exec_lo, s0
	s_and_saveexec_b32 s0, vcc_lo
	s_cbranch_execnz .LBB38_142
.LBB38_93:
	s_or_b32 exec_lo, exec_lo, s0
	s_and_saveexec_b32 s0, vcc_lo
	s_cbranch_execnz .LBB38_143
.LBB38_94:
	s_or_b32 exec_lo, exec_lo, s0
	s_and_saveexec_b32 s0, vcc_lo
	s_cbranch_execnz .LBB38_144
.LBB38_95:
	s_or_b32 exec_lo, exec_lo, s0
	s_and_saveexec_b32 s0, vcc_lo
	s_cbranch_execnz .LBB38_145
.LBB38_96:
	s_or_b32 exec_lo, exec_lo, s0
	s_and_saveexec_b32 s0, vcc_lo
	s_cbranch_execnz .LBB38_146
.LBB38_97:
	s_or_b32 exec_lo, exec_lo, s0
	s_and_saveexec_b32 s0, vcc_lo
	s_cbranch_execnz .LBB38_147
.LBB38_98:
	s_or_b32 exec_lo, exec_lo, s0
	s_and_saveexec_b32 s0, vcc_lo
	s_cbranch_execnz .LBB38_148
.LBB38_99:
	s_or_b32 exec_lo, exec_lo, s0
	s_and_saveexec_b32 s0, vcc_lo
	s_cbranch_execnz .LBB38_149
.LBB38_100:
	s_or_b32 exec_lo, exec_lo, s0
	s_and_saveexec_b32 s0, vcc_lo
	s_cbranch_execnz .LBB38_150
.LBB38_101:
	s_or_b32 exec_lo, exec_lo, s0
	s_and_saveexec_b32 s0, vcc_lo
	s_cbranch_execnz .LBB38_151
.LBB38_102:
	s_or_b32 exec_lo, exec_lo, s0
	s_and_saveexec_b32 s0, vcc_lo
	s_cbranch_execnz .LBB38_152
.LBB38_103:
	s_or_b32 exec_lo, exec_lo, s0
	s_and_saveexec_b32 s0, vcc_lo
	s_cbranch_execnz .LBB38_153
.LBB38_104:
	s_or_b32 exec_lo, exec_lo, s0
	s_and_saveexec_b32 s0, vcc_lo
	s_cbranch_execnz .LBB38_154
.LBB38_105:
	s_or_b32 exec_lo, exec_lo, s0
	s_and_saveexec_b32 s0, vcc_lo
	s_cbranch_execnz .LBB38_155
.LBB38_106:
	s_or_b32 exec_lo, exec_lo, s0
	s_and_saveexec_b32 s0, vcc_lo
	s_cbranch_execnz .LBB38_156
.LBB38_107:
	s_or_b32 exec_lo, exec_lo, s0
	s_and_saveexec_b32 s0, vcc_lo
	s_cbranch_execnz .LBB38_157
.LBB38_108:
	s_or_b32 exec_lo, exec_lo, s0
	s_and_saveexec_b32 s0, vcc_lo
	s_cbranch_execnz .LBB38_158
.LBB38_109:
	s_or_b32 exec_lo, exec_lo, s0
	s_and_saveexec_b32 s0, vcc_lo
	s_cbranch_execz .LBB38_111
.LBB38_110:
	ds_load_b32 v23, v1 offset:304
	s_wait_dscnt 0x0
	v_add_f32_e32 v21, v21, v23
.LBB38_111:
	s_or_b32 exec_lo, exec_lo, s0
.LBB38_112:
	s_delay_alu instid0(SALU_CYCLE_1) | instskip(SKIP_4) | instid1(VALU_DEP_1)
	s_or_b32 exec_lo, exec_lo, s1
	v_and_b32_e32 v23, 0x3e7, v0
	s_mov_b32 s1, exec_lo
	s_barrier_signal -1
	s_barrier_wait -1
	v_cmpx_eq_u32_e32 32, v23
	s_cbranch_execz .LBB38_114
; %bb.113:
	ds_store_2addr_b32 v22, v12, v13 offset1:4
	ds_store_2addr_b32 v22, v10, v11 offset0:8 offset1:12
	ds_store_2addr_b32 v22, v8, v9 offset0:16 offset1:20
	;; [unrolled: 1-line block ×9, first 2 shown]
.LBB38_114:
	s_or_b32 exec_lo, exec_lo, s1
	s_delay_alu instid0(SALU_CYCLE_1)
	s_mov_b32 s1, exec_lo
	s_wait_dscnt 0x0
	s_barrier_signal -1
	s_barrier_wait -1
	v_cmpx_gt_u32_e32 32, v0
	s_cbranch_execz .LBB38_137
; %bb.115:
	s_and_saveexec_b32 s0, vcc_lo
	s_cbranch_execnz .LBB38_159
; %bb.116:
	s_or_b32 exec_lo, exec_lo, s0
	s_and_saveexec_b32 s0, vcc_lo
	s_cbranch_execnz .LBB38_160
.LBB38_117:
	s_or_b32 exec_lo, exec_lo, s0
	s_and_saveexec_b32 s0, vcc_lo
	s_cbranch_execnz .LBB38_161
.LBB38_118:
	s_or_b32 exec_lo, exec_lo, s0
	s_and_saveexec_b32 s0, vcc_lo
	s_cbranch_execnz .LBB38_162
.LBB38_119:
	s_or_b32 exec_lo, exec_lo, s0
	s_and_saveexec_b32 s0, vcc_lo
	s_cbranch_execnz .LBB38_163
.LBB38_120:
	s_or_b32 exec_lo, exec_lo, s0
	s_and_saveexec_b32 s0, vcc_lo
	s_cbranch_execnz .LBB38_164
.LBB38_121:
	s_or_b32 exec_lo, exec_lo, s0
	s_and_saveexec_b32 s0, vcc_lo
	s_cbranch_execnz .LBB38_165
.LBB38_122:
	s_or_b32 exec_lo, exec_lo, s0
	s_and_saveexec_b32 s0, vcc_lo
	s_cbranch_execnz .LBB38_166
.LBB38_123:
	s_or_b32 exec_lo, exec_lo, s0
	s_and_saveexec_b32 s0, vcc_lo
	s_cbranch_execnz .LBB38_167
.LBB38_124:
	s_or_b32 exec_lo, exec_lo, s0
	s_and_saveexec_b32 s0, vcc_lo
	s_cbranch_execnz .LBB38_168
.LBB38_125:
	s_or_b32 exec_lo, exec_lo, s0
	s_and_saveexec_b32 s0, vcc_lo
	s_cbranch_execnz .LBB38_169
.LBB38_126:
	s_or_b32 exec_lo, exec_lo, s0
	s_and_saveexec_b32 s0, vcc_lo
	s_cbranch_execnz .LBB38_170
.LBB38_127:
	s_or_b32 exec_lo, exec_lo, s0
	s_and_saveexec_b32 s0, vcc_lo
	s_cbranch_execnz .LBB38_171
.LBB38_128:
	s_or_b32 exec_lo, exec_lo, s0
	s_and_saveexec_b32 s0, vcc_lo
	s_cbranch_execnz .LBB38_172
.LBB38_129:
	s_or_b32 exec_lo, exec_lo, s0
	s_and_saveexec_b32 s0, vcc_lo
	s_cbranch_execnz .LBB38_173
.LBB38_130:
	s_or_b32 exec_lo, exec_lo, s0
	s_and_saveexec_b32 s0, vcc_lo
	s_cbranch_execnz .LBB38_174
.LBB38_131:
	s_or_b32 exec_lo, exec_lo, s0
	s_and_saveexec_b32 s0, vcc_lo
	s_cbranch_execnz .LBB38_175
.LBB38_132:
	s_or_b32 exec_lo, exec_lo, s0
	s_and_saveexec_b32 s0, vcc_lo
	s_cbranch_execnz .LBB38_176
.LBB38_133:
	s_or_b32 exec_lo, exec_lo, s0
	s_and_saveexec_b32 s0, vcc_lo
	s_cbranch_execnz .LBB38_177
.LBB38_134:
	s_or_b32 exec_lo, exec_lo, s0
	s_and_saveexec_b32 s0, vcc_lo
	s_cbranch_execz .LBB38_136
.LBB38_135:
	ds_load_b32 v1, v1 offset:304
	s_wait_dscnt 0x0
	v_add_f32_e32 v21, v21, v1
.LBB38_136:
	s_or_b32 exec_lo, exec_lo, s0
.LBB38_137:
	s_delay_alu instid0(SALU_CYCLE_1)
	s_or_b32 exec_lo, exec_lo, s1
	s_mov_b32 s1, 0
	s_barrier_signal -1
	s_barrier_wait -1
	s_mov_b32 s0, exec_lo
	v_cmpx_eq_u32_e32 0, v23
	s_cbranch_execz .LBB38_139
; %bb.138:
	s_mul_i32 s0, s28, s8
	s_mul_i32 s2, s8, s12
	;; [unrolled: 1-line block ×3, first 2 shown]
	s_lshr_b32 s6, ttmp7, 16
	s_mul_i32 s4, s0, 0x50
	s_bfe_u32 s0, ttmp6, 0x40014
	s_ashr_i32 s5, s4, 31
	s_add_co_i32 s0, s0, 1
	s_ashr_i32 s3, s2, 31
	s_mul_i32 s0, s6, s0
	s_bfe_u32 s7, ttmp6, 0x40008
	s_lshl_b64 s[4:5], s[4:5], 2
	s_lshl_b64 s[2:3], s[2:3], 2
	s_add_co_i32 s7, s7, s0
	s_cmp_eq_u32 s26, 0
	s_wait_kmcnt 0x0
	s_add_nc_u64 s[4:5], s[10:11], s[4:5]
	s_cselect_b32 s0, s6, s7
	v_lshrrev_b32_e32 v0, 1, v0
	s_add_nc_u64 s[2:3], s[4:5], s[2:3]
	s_mulk_i32 s0, 0x140
	s_delay_alu instid0(SALU_CYCLE_1)
	s_add_nc_u64 s[0:1], s[2:3], s[0:1]
	s_clause 0x13
	global_store_b32 v0, v12, s[0:1]
	global_store_b32 v0, v13, s[0:1] offset:16
	global_store_b32 v0, v10, s[0:1] offset:32
	;; [unrolled: 1-line block ×19, first 2 shown]
.LBB38_139:
	s_sendmsg sendmsg(MSG_DEALLOC_VGPRS)
	s_endpgm
.LBB38_140:
	ds_load_b32 v23, v1
	s_wait_dscnt 0x0
	v_add_f32_e32 v12, v12, v23
	s_or_b32 exec_lo, exec_lo, s0
	s_and_saveexec_b32 s0, vcc_lo
	s_cbranch_execz .LBB38_92
.LBB38_141:
	ds_load_b32 v23, v1 offset:16
	s_wait_dscnt 0x0
	v_add_f32_e32 v13, v13, v23
	s_or_b32 exec_lo, exec_lo, s0
	s_and_saveexec_b32 s0, vcc_lo
	s_cbranch_execz .LBB38_93
.LBB38_142:
	ds_load_b32 v23, v1 offset:32
	s_wait_dscnt 0x0
	v_add_f32_e32 v10, v10, v23
	s_or_b32 exec_lo, exec_lo, s0
	s_and_saveexec_b32 s0, vcc_lo
	s_cbranch_execz .LBB38_94
.LBB38_143:
	ds_load_b32 v23, v1 offset:48
	s_wait_dscnt 0x0
	v_add_f32_e32 v11, v11, v23
	s_or_b32 exec_lo, exec_lo, s0
	s_and_saveexec_b32 s0, vcc_lo
	s_cbranch_execz .LBB38_95
.LBB38_144:
	ds_load_b32 v23, v1 offset:64
	s_wait_dscnt 0x0
	v_add_f32_e32 v8, v8, v23
	s_or_b32 exec_lo, exec_lo, s0
	s_and_saveexec_b32 s0, vcc_lo
	s_cbranch_execz .LBB38_96
.LBB38_145:
	ds_load_b32 v23, v1 offset:80
	s_wait_dscnt 0x0
	v_add_f32_e32 v9, v9, v23
	s_or_b32 exec_lo, exec_lo, s0
	s_and_saveexec_b32 s0, vcc_lo
	s_cbranch_execz .LBB38_97
.LBB38_146:
	ds_load_b32 v23, v1 offset:96
	s_wait_dscnt 0x0
	v_add_f32_e32 v6, v6, v23
	s_or_b32 exec_lo, exec_lo, s0
	s_and_saveexec_b32 s0, vcc_lo
	s_cbranch_execz .LBB38_98
.LBB38_147:
	ds_load_b32 v23, v1 offset:112
	s_wait_dscnt 0x0
	v_add_f32_e32 v7, v7, v23
	s_or_b32 exec_lo, exec_lo, s0
	s_and_saveexec_b32 s0, vcc_lo
	s_cbranch_execz .LBB38_99
.LBB38_148:
	ds_load_b32 v23, v1 offset:128
	s_wait_dscnt 0x0
	v_add_f32_e32 v4, v4, v23
	s_or_b32 exec_lo, exec_lo, s0
	s_and_saveexec_b32 s0, vcc_lo
	s_cbranch_execz .LBB38_100
.LBB38_149:
	ds_load_b32 v23, v1 offset:144
	s_wait_dscnt 0x0
	v_add_f32_e32 v5, v5, v23
	s_or_b32 exec_lo, exec_lo, s0
	s_and_saveexec_b32 s0, vcc_lo
	s_cbranch_execz .LBB38_101
.LBB38_150:
	ds_load_b32 v23, v1 offset:160
	s_wait_dscnt 0x0
	v_add_f32_e32 v2, v2, v23
	s_or_b32 exec_lo, exec_lo, s0
	s_and_saveexec_b32 s0, vcc_lo
	s_cbranch_execz .LBB38_102
.LBB38_151:
	ds_load_b32 v23, v1 offset:176
	s_wait_dscnt 0x0
	v_add_f32_e32 v3, v3, v23
	s_or_b32 exec_lo, exec_lo, s0
	s_and_saveexec_b32 s0, vcc_lo
	s_cbranch_execz .LBB38_103
.LBB38_152:
	ds_load_b32 v23, v1 offset:192
	s_wait_dscnt 0x0
	v_add_f32_e32 v18, v18, v23
	s_or_b32 exec_lo, exec_lo, s0
	s_and_saveexec_b32 s0, vcc_lo
	s_cbranch_execz .LBB38_104
.LBB38_153:
	ds_load_b32 v23, v1 offset:208
	s_wait_dscnt 0x0
	v_add_f32_e32 v19, v19, v23
	s_or_b32 exec_lo, exec_lo, s0
	s_and_saveexec_b32 s0, vcc_lo
	s_cbranch_execz .LBB38_105
.LBB38_154:
	ds_load_b32 v23, v1 offset:224
	s_wait_dscnt 0x0
	v_add_f32_e32 v16, v16, v23
	s_or_b32 exec_lo, exec_lo, s0
	s_and_saveexec_b32 s0, vcc_lo
	s_cbranch_execz .LBB38_106
.LBB38_155:
	ds_load_b32 v23, v1 offset:240
	s_wait_dscnt 0x0
	v_add_f32_e32 v17, v17, v23
	s_or_b32 exec_lo, exec_lo, s0
	s_and_saveexec_b32 s0, vcc_lo
	s_cbranch_execz .LBB38_107
.LBB38_156:
	ds_load_b32 v23, v1 offset:256
	s_wait_dscnt 0x0
	v_add_f32_e32 v14, v14, v23
	s_or_b32 exec_lo, exec_lo, s0
	s_and_saveexec_b32 s0, vcc_lo
	s_cbranch_execz .LBB38_108
.LBB38_157:
	ds_load_b32 v23, v1 offset:272
	s_wait_dscnt 0x0
	v_add_f32_e32 v15, v15, v23
	s_or_b32 exec_lo, exec_lo, s0
	s_and_saveexec_b32 s0, vcc_lo
	s_cbranch_execz .LBB38_109
.LBB38_158:
	ds_load_b32 v23, v1 offset:288
	s_wait_dscnt 0x0
	v_add_f32_e32 v20, v20, v23
	s_or_b32 exec_lo, exec_lo, s0
	s_and_saveexec_b32 s0, vcc_lo
	s_cbranch_execnz .LBB38_110
	s_branch .LBB38_111
.LBB38_159:
	ds_load_b32 v22, v1
	s_wait_dscnt 0x0
	v_add_f32_e32 v12, v12, v22
	s_or_b32 exec_lo, exec_lo, s0
	s_and_saveexec_b32 s0, vcc_lo
	s_cbranch_execz .LBB38_117
.LBB38_160:
	ds_load_b32 v22, v1 offset:16
	s_wait_dscnt 0x0
	v_add_f32_e32 v13, v13, v22
	s_or_b32 exec_lo, exec_lo, s0
	s_and_saveexec_b32 s0, vcc_lo
	s_cbranch_execz .LBB38_118
.LBB38_161:
	ds_load_b32 v22, v1 offset:32
	s_wait_dscnt 0x0
	v_add_f32_e32 v10, v10, v22
	s_or_b32 exec_lo, exec_lo, s0
	s_and_saveexec_b32 s0, vcc_lo
	s_cbranch_execz .LBB38_119
.LBB38_162:
	ds_load_b32 v22, v1 offset:48
	s_wait_dscnt 0x0
	v_add_f32_e32 v11, v11, v22
	s_or_b32 exec_lo, exec_lo, s0
	s_and_saveexec_b32 s0, vcc_lo
	s_cbranch_execz .LBB38_120
.LBB38_163:
	ds_load_b32 v22, v1 offset:64
	s_wait_dscnt 0x0
	v_add_f32_e32 v8, v8, v22
	s_or_b32 exec_lo, exec_lo, s0
	s_and_saveexec_b32 s0, vcc_lo
	s_cbranch_execz .LBB38_121
.LBB38_164:
	ds_load_b32 v22, v1 offset:80
	s_wait_dscnt 0x0
	v_add_f32_e32 v9, v9, v22
	s_or_b32 exec_lo, exec_lo, s0
	s_and_saveexec_b32 s0, vcc_lo
	s_cbranch_execz .LBB38_122
.LBB38_165:
	ds_load_b32 v22, v1 offset:96
	s_wait_dscnt 0x0
	v_add_f32_e32 v6, v6, v22
	s_or_b32 exec_lo, exec_lo, s0
	s_and_saveexec_b32 s0, vcc_lo
	s_cbranch_execz .LBB38_123
.LBB38_166:
	ds_load_b32 v22, v1 offset:112
	s_wait_dscnt 0x0
	v_add_f32_e32 v7, v7, v22
	s_or_b32 exec_lo, exec_lo, s0
	s_and_saveexec_b32 s0, vcc_lo
	s_cbranch_execz .LBB38_124
.LBB38_167:
	ds_load_b32 v22, v1 offset:128
	s_wait_dscnt 0x0
	v_add_f32_e32 v4, v4, v22
	s_or_b32 exec_lo, exec_lo, s0
	s_and_saveexec_b32 s0, vcc_lo
	s_cbranch_execz .LBB38_125
.LBB38_168:
	ds_load_b32 v22, v1 offset:144
	s_wait_dscnt 0x0
	v_add_f32_e32 v5, v5, v22
	s_or_b32 exec_lo, exec_lo, s0
	s_and_saveexec_b32 s0, vcc_lo
	s_cbranch_execz .LBB38_126
.LBB38_169:
	ds_load_b32 v22, v1 offset:160
	s_wait_dscnt 0x0
	v_add_f32_e32 v2, v2, v22
	s_or_b32 exec_lo, exec_lo, s0
	s_and_saveexec_b32 s0, vcc_lo
	s_cbranch_execz .LBB38_127
.LBB38_170:
	ds_load_b32 v22, v1 offset:176
	s_wait_dscnt 0x0
	v_add_f32_e32 v3, v3, v22
	s_or_b32 exec_lo, exec_lo, s0
	s_and_saveexec_b32 s0, vcc_lo
	s_cbranch_execz .LBB38_128
.LBB38_171:
	ds_load_b32 v22, v1 offset:192
	s_wait_dscnt 0x0
	v_add_f32_e32 v18, v18, v22
	s_or_b32 exec_lo, exec_lo, s0
	s_and_saveexec_b32 s0, vcc_lo
	s_cbranch_execz .LBB38_129
.LBB38_172:
	ds_load_b32 v22, v1 offset:208
	s_wait_dscnt 0x0
	v_add_f32_e32 v19, v19, v22
	s_or_b32 exec_lo, exec_lo, s0
	s_and_saveexec_b32 s0, vcc_lo
	s_cbranch_execz .LBB38_130
.LBB38_173:
	ds_load_b32 v22, v1 offset:224
	s_wait_dscnt 0x0
	v_add_f32_e32 v16, v16, v22
	s_or_b32 exec_lo, exec_lo, s0
	s_and_saveexec_b32 s0, vcc_lo
	s_cbranch_execz .LBB38_131
.LBB38_174:
	ds_load_b32 v22, v1 offset:240
	s_wait_dscnt 0x0
	v_add_f32_e32 v17, v17, v22
	s_or_b32 exec_lo, exec_lo, s0
	s_and_saveexec_b32 s0, vcc_lo
	s_cbranch_execz .LBB38_132
.LBB38_175:
	ds_load_b32 v22, v1 offset:256
	s_wait_dscnt 0x0
	v_add_f32_e32 v14, v14, v22
	s_or_b32 exec_lo, exec_lo, s0
	s_and_saveexec_b32 s0, vcc_lo
	s_cbranch_execz .LBB38_133
.LBB38_176:
	ds_load_b32 v22, v1 offset:272
	s_wait_dscnt 0x0
	v_add_f32_e32 v15, v15, v22
	s_or_b32 exec_lo, exec_lo, s0
	s_and_saveexec_b32 s0, vcc_lo
	s_cbranch_execz .LBB38_134
.LBB38_177:
	ds_load_b32 v22, v1 offset:288
	s_wait_dscnt 0x0
	v_add_f32_e32 v20, v20, v22
	s_or_b32 exec_lo, exec_lo, s0
	s_and_saveexec_b32 s0, vcc_lo
	s_cbranch_execnz .LBB38_135
	s_branch .LBB38_136
	.section	.rodata,"a",@progbits
	.p2align	6, 0x0
	.amdhsa_kernel _ZN4vllm25paged_attention_v1_kernelIffLi80ELi32ELi128ELNS_18Fp8KVCacheDataTypeE0ELb1EEEvPT_PKS2_PKT0_S8_ifPKiSA_iPKfiiiSC_SC_iiiii
		.amdhsa_group_segment_fixed_size 352
		.amdhsa_private_segment_fixed_size 0
		.amdhsa_kernarg_size 384
		.amdhsa_user_sgpr_count 2
		.amdhsa_user_sgpr_dispatch_ptr 0
		.amdhsa_user_sgpr_queue_ptr 0
		.amdhsa_user_sgpr_kernarg_segment_ptr 1
		.amdhsa_user_sgpr_dispatch_id 0
		.amdhsa_user_sgpr_kernarg_preload_length 0
		.amdhsa_user_sgpr_kernarg_preload_offset 0
		.amdhsa_user_sgpr_private_segment_size 0
		.amdhsa_wavefront_size32 1
		.amdhsa_uses_dynamic_stack 0
		.amdhsa_enable_private_segment 0
		.amdhsa_system_sgpr_workgroup_id_x 1
		.amdhsa_system_sgpr_workgroup_id_y 1
		.amdhsa_system_sgpr_workgroup_id_z 1
		.amdhsa_system_sgpr_workgroup_info 0
		.amdhsa_system_vgpr_workitem_id 0
		.amdhsa_next_free_vgpr 124
		.amdhsa_next_free_sgpr 38
		.amdhsa_named_barrier_count 0
		.amdhsa_reserve_vcc 1
		.amdhsa_float_round_mode_32 0
		.amdhsa_float_round_mode_16_64 0
		.amdhsa_float_denorm_mode_32 3
		.amdhsa_float_denorm_mode_16_64 3
		.amdhsa_fp16_overflow 0
		.amdhsa_memory_ordered 1
		.amdhsa_forward_progress 1
		.amdhsa_inst_pref_size 87
		.amdhsa_round_robin_scheduling 0
		.amdhsa_exception_fp_ieee_invalid_op 0
		.amdhsa_exception_fp_denorm_src 0
		.amdhsa_exception_fp_ieee_div_zero 0
		.amdhsa_exception_fp_ieee_overflow 0
		.amdhsa_exception_fp_ieee_underflow 0
		.amdhsa_exception_fp_ieee_inexact 0
		.amdhsa_exception_int_div_zero 0
	.end_amdhsa_kernel
	.section	.text._ZN4vllm25paged_attention_v1_kernelIffLi80ELi32ELi128ELNS_18Fp8KVCacheDataTypeE0ELb1EEEvPT_PKS2_PKT0_S8_ifPKiSA_iPKfiiiSC_SC_iiiii,"axG",@progbits,_ZN4vllm25paged_attention_v1_kernelIffLi80ELi32ELi128ELNS_18Fp8KVCacheDataTypeE0ELb1EEEvPT_PKS2_PKT0_S8_ifPKiSA_iPKfiiiSC_SC_iiiii,comdat
.Lfunc_end38:
	.size	_ZN4vllm25paged_attention_v1_kernelIffLi80ELi32ELi128ELNS_18Fp8KVCacheDataTypeE0ELb1EEEvPT_PKS2_PKT0_S8_ifPKiSA_iPKfiiiSC_SC_iiiii, .Lfunc_end38-_ZN4vllm25paged_attention_v1_kernelIffLi80ELi32ELi128ELNS_18Fp8KVCacheDataTypeE0ELb1EEEvPT_PKS2_PKT0_S8_ifPKiSA_iPKfiiiSC_SC_iiiii
                                        ; -- End function
	.set _ZN4vllm25paged_attention_v1_kernelIffLi80ELi32ELi128ELNS_18Fp8KVCacheDataTypeE0ELb1EEEvPT_PKS2_PKT0_S8_ifPKiSA_iPKfiiiSC_SC_iiiii.num_vgpr, 124
	.set _ZN4vllm25paged_attention_v1_kernelIffLi80ELi32ELi128ELNS_18Fp8KVCacheDataTypeE0ELb1EEEvPT_PKS2_PKT0_S8_ifPKiSA_iPKfiiiSC_SC_iiiii.num_agpr, 0
	.set _ZN4vllm25paged_attention_v1_kernelIffLi80ELi32ELi128ELNS_18Fp8KVCacheDataTypeE0ELb1EEEvPT_PKS2_PKT0_S8_ifPKiSA_iPKfiiiSC_SC_iiiii.numbered_sgpr, 38
	.set _ZN4vllm25paged_attention_v1_kernelIffLi80ELi32ELi128ELNS_18Fp8KVCacheDataTypeE0ELb1EEEvPT_PKS2_PKT0_S8_ifPKiSA_iPKfiiiSC_SC_iiiii.num_named_barrier, 0
	.set _ZN4vllm25paged_attention_v1_kernelIffLi80ELi32ELi128ELNS_18Fp8KVCacheDataTypeE0ELb1EEEvPT_PKS2_PKT0_S8_ifPKiSA_iPKfiiiSC_SC_iiiii.private_seg_size, 0
	.set _ZN4vllm25paged_attention_v1_kernelIffLi80ELi32ELi128ELNS_18Fp8KVCacheDataTypeE0ELb1EEEvPT_PKS2_PKT0_S8_ifPKiSA_iPKfiiiSC_SC_iiiii.uses_vcc, 1
	.set _ZN4vllm25paged_attention_v1_kernelIffLi80ELi32ELi128ELNS_18Fp8KVCacheDataTypeE0ELb1EEEvPT_PKS2_PKT0_S8_ifPKiSA_iPKfiiiSC_SC_iiiii.uses_flat_scratch, 0
	.set _ZN4vllm25paged_attention_v1_kernelIffLi80ELi32ELi128ELNS_18Fp8KVCacheDataTypeE0ELb1EEEvPT_PKS2_PKT0_S8_ifPKiSA_iPKfiiiSC_SC_iiiii.has_dyn_sized_stack, 0
	.set _ZN4vllm25paged_attention_v1_kernelIffLi80ELi32ELi128ELNS_18Fp8KVCacheDataTypeE0ELb1EEEvPT_PKS2_PKT0_S8_ifPKiSA_iPKfiiiSC_SC_iiiii.has_recursion, 0
	.set _ZN4vllm25paged_attention_v1_kernelIffLi80ELi32ELi128ELNS_18Fp8KVCacheDataTypeE0ELb1EEEvPT_PKS2_PKT0_S8_ifPKiSA_iPKfiiiSC_SC_iiiii.has_indirect_call, 0
	.section	.AMDGPU.csdata,"",@progbits
; Kernel info:
; codeLenInByte = 11060
; TotalNumSgprs: 40
; NumVgprs: 124
; ScratchSize: 0
; MemoryBound: 0
; FloatMode: 240
; IeeeMode: 1
; LDSByteSize: 352 bytes/workgroup (compile time only)
; SGPRBlocks: 0
; VGPRBlocks: 7
; NumSGPRsForWavesPerEU: 40
; NumVGPRsForWavesPerEU: 124
; NamedBarCnt: 0
; Occupancy: 8
; WaveLimiterHint : 1
; COMPUTE_PGM_RSRC2:SCRATCH_EN: 0
; COMPUTE_PGM_RSRC2:USER_SGPR: 2
; COMPUTE_PGM_RSRC2:TRAP_HANDLER: 0
; COMPUTE_PGM_RSRC2:TGID_X_EN: 1
; COMPUTE_PGM_RSRC2:TGID_Y_EN: 1
; COMPUTE_PGM_RSRC2:TGID_Z_EN: 1
; COMPUTE_PGM_RSRC2:TIDIG_COMP_CNT: 0
	.section	.text._ZN4vllm25paged_attention_v1_kernelIffLi96ELi32ELi128ELNS_18Fp8KVCacheDataTypeE0ELb1EEEvPT_PKS2_PKT0_S8_ifPKiSA_iPKfiiiSC_SC_iiiii,"axG",@progbits,_ZN4vllm25paged_attention_v1_kernelIffLi96ELi32ELi128ELNS_18Fp8KVCacheDataTypeE0ELb1EEEvPT_PKS2_PKT0_S8_ifPKiSA_iPKfiiiSC_SC_iiiii,comdat
	.protected	_ZN4vllm25paged_attention_v1_kernelIffLi96ELi32ELi128ELNS_18Fp8KVCacheDataTypeE0ELb1EEEvPT_PKS2_PKT0_S8_ifPKiSA_iPKfiiiSC_SC_iiiii ; -- Begin function _ZN4vllm25paged_attention_v1_kernelIffLi96ELi32ELi128ELNS_18Fp8KVCacheDataTypeE0ELb1EEEvPT_PKS2_PKT0_S8_ifPKiSA_iPKfiiiSC_SC_iiiii
	.globl	_ZN4vllm25paged_attention_v1_kernelIffLi96ELi32ELi128ELNS_18Fp8KVCacheDataTypeE0ELb1EEEvPT_PKS2_PKT0_S8_ifPKiSA_iPKfiiiSC_SC_iiiii
	.p2align	8
	.type	_ZN4vllm25paged_attention_v1_kernelIffLi96ELi32ELi128ELNS_18Fp8KVCacheDataTypeE0ELb1EEEvPT_PKS2_PKT0_S8_ifPKiSA_iPKfiiiSC_SC_iiiii,@function
_ZN4vllm25paged_attention_v1_kernelIffLi96ELi32ELi128ELNS_18Fp8KVCacheDataTypeE0ELb1EEEvPT_PKS2_PKT0_S8_ifPKiSA_iPKfiiiSC_SC_iiiii: ; @_ZN4vllm25paged_attention_v1_kernelIffLi96ELi32ELi128ELNS_18Fp8KVCacheDataTypeE0ELb1EEEvPT_PKS2_PKT0_S8_ifPKiSA_iPKfiiiSC_SC_iiiii
; %bb.0:
	s_load_b64 s[22:23], s[0:1], 0x20
	s_bfe_u32 s3, ttmp6, 0x4000c
	s_bfe_u32 s4, ttmp6, 0x40010
	s_and_b32 s6, ttmp7, 0xffff
	s_add_co_i32 s3, s3, 1
	s_add_co_i32 s4, s4, 1
	s_and_b32 s2, ttmp6, 15
	s_bfe_u32 s5, ttmp6, 0x40004
	s_mul_i32 s3, ttmp9, s3
	s_mul_i32 s4, s6, s4
	s_getreg_b32 s26, hwreg(HW_REG_IB_STS2, 6, 4)
	s_add_co_i32 s2, s2, s3
	s_add_co_i32 s3, s5, s4
	s_cmp_eq_u32 s26, 0
	v_mov_b32_e32 v58, v0
	s_cselect_b32 s28, s6, s3
	s_cselect_b32 s2, ttmp9, s2
	s_clause 0x1
	s_load_b32 s27, s[0:1], 0x80
	s_load_b64 s[4:5], s[0:1], 0x30
	s_mov_b32 s15, 0
	s_delay_alu instid0(SALU_CYCLE_1) | instskip(SKIP_2) | instid1(SALU_CYCLE_1)
	s_mov_b32 s34, s15
	s_wait_kmcnt 0x0
	s_abs_i32 s3, s22
	s_cvt_f32_u32 s6, s3
	s_sub_co_i32 s7, 0, s3
	s_delay_alu instid0(SALU_CYCLE_2) | instskip(SKIP_1) | instid1(TRANS32_DEP_1)
	v_rcp_iflag_f32_e32 v0, s6
	v_nop
	v_readfirstlane_b32 s6, v0
	s_abs_i32 s8, s27
	s_mul_f32 s6, s6, 0x4f7ffffe
	s_delay_alu instid0(SALU_CYCLE_3) | instskip(NEXT) | instid1(SALU_CYCLE_3)
	s_cvt_u32_f32 s6, s6
	s_mul_i32 s7, s7, s6
	s_delay_alu instid0(SALU_CYCLE_1) | instskip(NEXT) | instid1(SALU_CYCLE_1)
	s_mul_hi_u32 s7, s6, s7
	s_add_co_i32 s6, s6, s7
	s_xor_b32 s7, s27, s22
	s_mul_hi_u32 s6, s8, s6
	s_ashr_i32 s7, s7, 31
	s_mul_i32 s9, s6, s3
	s_delay_alu instid0(SALU_CYCLE_1)
	s_sub_co_i32 s8, s8, s9
	s_add_co_i32 s9, s6, 1
	s_sub_co_i32 s10, s8, s3
	s_cmp_ge_u32 s8, s3
	s_cselect_b32 s6, s9, s6
	s_cselect_b32 s8, s10, s8
	s_add_co_i32 s9, s6, 1
	s_cmp_ge_u32 s8, s3
	s_cselect_b32 s3, s9, s6
	s_load_b64 s[8:9], s[0:1], 0x40
	s_xor_b32 s3, s3, s7
	s_abs_i32 s14, s2
	s_sub_co_i32 s12, s3, s7
	s_mov_b32 s7, s15
	s_abs_i32 s11, s12
	s_delay_alu instid0(SALU_CYCLE_1) | instskip(SKIP_1) | instid1(SALU_CYCLE_2)
	s_cvt_f32_u32 s3, s11
	s_sub_co_i32 s6, 0, s11
	v_rcp_iflag_f32_e32 v0, s3
	v_nop
	s_delay_alu instid0(TRANS32_DEP_1) | instskip(SKIP_1) | instid1(SALU_CYCLE_3)
	v_readfirstlane_b32 s3, v0
	s_mul_f32 s3, s3, 0x4f7ffffe
	s_cvt_u32_f32 s3, s3
	s_delay_alu instid0(SALU_CYCLE_3) | instskip(NEXT) | instid1(SALU_CYCLE_1)
	s_mul_i32 s6, s6, s3
	s_mul_hi_u32 s6, s3, s6
	s_delay_alu instid0(SALU_CYCLE_1)
	s_add_co_i32 s6, s3, s6
	s_wait_kmcnt 0x0
	s_cmp_eq_u64 s[8:9], 0
	s_cbranch_scc1 .LBB39_2
; %bb.1:
	s_ashr_i32 s3, s2, 31
	s_delay_alu instid0(SALU_CYCLE_1) | instskip(NEXT) | instid1(SALU_CYCLE_1)
	s_lshl_b64 s[16:17], s[2:3], 2
	s_add_nc_u64 s[8:9], s[8:9], s[16:17]
	s_load_b32 s34, s[8:9], 0x0
.LBB39_2:
	s_load_b32 s29, s[4:5], s28 offset:0x0 scale_offset
	s_wait_xcnt 0x0
	s_load_b96 s[8:10], s[0:1], 0x48
	v_lshlrev_b32_e32 v103, 4, v58
	s_ashr_i32 s3, s2, 31
	s_ashr_i32 s18, s12, 31
	s_mul_u64 s[16:17], s[14:15], s[6:7]
	s_mul_i32 s12, s2, 0x60
	s_mov_b32 s4, exec_lo
	v_cmpx_gt_u32_e32 24, v58
	s_cbranch_execz .LBB39_4
; %bb.3:
	s_load_b64 s[6:7], s[0:1], 0x8
	s_wait_kmcnt 0x0
	s_mul_i32 s20, s8, s28
	s_ashr_i32 s13, s12, 31
	s_ashr_i32 s21, s20, 31
	s_delay_alu instid0(SALU_CYCLE_1) | instskip(NEXT) | instid1(SALU_CYCLE_1)
	s_lshl_b64 s[20:21], s[20:21], 2
	s_add_nc_u64 s[6:7], s[6:7], s[20:21]
	s_lshl_b64 s[20:21], s[12:13], 2
	s_delay_alu instid0(SALU_CYCLE_1)
	s_add_nc_u64 s[6:7], s[6:7], s[20:21]
	global_load_b128 v[0:3], v58, s[6:7] scale_offset
	s_wait_loadcnt 0x0
	ds_store_b128 v103, v[0:3]
.LBB39_4:
	s_or_b32 exec_lo, exec_lo, s4
	s_load_b128 s[4:7], s[0:1], 0x68
	s_wait_kmcnt 0x0
	s_mul_i32 s8, s17, s11
	s_xor_b32 s3, s3, s18
	s_sub_co_i32 s8, s14, s8
	s_add_co_i32 s13, s17, 1
	s_sub_co_i32 s14, s8, s11
	s_cmp_ge_u32 s8, s11
	s_mov_b32 s19, -1
	s_cselect_b32 s13, s13, s17
	s_cselect_b32 s8, s14, s8
	s_add_co_i32 s14, s13, 1
	s_cmp_ge_u32 s8, s11
	s_load_b32 s11, s[0:1], 0x78
	s_cselect_b32 s13, s14, s13
	s_add_co_i32 s18, s29, -1
	s_xor_b32 s13, s13, s3
	s_mov_b32 s17, 0
	s_sub_co_i32 s3, s13, s3
	s_abs_i32 s16, s18
	s_mov_b32 s15, s17
	s_abs_i32 s8, s7
	s_wait_dscnt 0x0
	s_cvt_f32_u32 s14, s8
	s_barrier_signal -1
	s_barrier_wait -1
	s_delay_alu instid0(SALU_CYCLE_1) | instskip(SKIP_1) | instid1(TRANS32_DEP_1)
	v_rcp_iflag_f32_e32 v0, s14
	v_nop
	v_readfirstlane_b32 s14, v0
	s_mul_f32 s13, s14, 0x4f7ffffe
	s_sub_co_i32 s14, 0, s8
	s_delay_alu instid0(SALU_CYCLE_2) | instskip(NEXT) | instid1(SALU_CYCLE_3)
	s_cvt_u32_f32 s13, s13
	s_mul_i32 s14, s14, s13
	s_delay_alu instid0(SALU_CYCLE_1) | instskip(NEXT) | instid1(SALU_CYCLE_1)
	s_mul_hi_u32 s14, s13, s14
	s_add_co_i32 s14, s13, s14
	s_wait_kmcnt 0x0
	s_cmp_lt_i32 s11, 0
                                        ; implicit-def: $sgpr13
	s_cbranch_scc0 .LBB39_6
; %bb.5:
	s_mul_i32 s13, s4, s22
	s_mov_b32 s19, s17
	s_add_co_i32 s13, s3, s13
	s_delay_alu instid0(SALU_CYCLE_1) | instskip(NEXT) | instid1(SALU_CYCLE_1)
	s_mul_i32 s13, s13, s11
	s_sub_co_i32 s13, 1, s13
.LBB39_6:
	s_ashr_i32 s18, s18, 31
	s_ashr_i32 s30, s7, 31
	s_and_not1_b32 vcc_lo, exec_lo, s19
	s_mul_u64 s[20:21], s[16:17], s[14:15]
	s_cbranch_vccnz .LBB39_8
; %bb.7:
	s_mul_i32 s4, s27, s4
	s_delay_alu instid0(SALU_CYCLE_1) | instskip(NEXT) | instid1(SALU_CYCLE_1)
	s_add_co_i32 s2, s4, s2
	s_mul_i32 s2, s2, s11
	s_delay_alu instid0(SALU_CYCLE_1)
	s_add_co_i32 s13, s2, 1
.LBB39_8:
	s_load_b32 s2, s[0:1], 0x38
	s_mul_i32 s7, s21, s8
	s_xor_b32 s4, s18, s30
	s_sub_co_i32 s20, s16, s7
	s_add_co_i32 s11, s21, 1
	s_clause 0x1
	s_load_b64 s[16:17], s[0:1], 0x28
	s_load_b32 s7, s[0:1], 0x88
	v_dual_lshrrev_b32 v105, 5, v58 :: v_dual_bitop2_b32 v0, 31, v58 bitop3:0x40
	v_dual_mov_b32 v107, 0xff7fffff :: v_dual_lshrrev_b32 v100, 3, v58
	s_delay_alu instid0(VALU_DEP_2)
	v_dual_lshlrev_b32 v102, 5, v105 :: v_dual_lshlrev_b32 v106, 2, v0
	scratch_store_b32 off, v0, off offset:24 ; 4-byte Folded Spill
	s_wait_kmcnt 0x0
	s_mul_i32 s18, s2, s28
	s_sub_co_i32 s2, s20, s8
	s_ashr_i32 s19, s18, 31
	s_cmp_ge_u32 s20, s8
	s_cselect_b32 s11, s11, s21
	s_cselect_b32 s2, s2, s20
	s_add_co_i32 s20, s11, 1
	s_cmp_ge_u32 s2, s8
	s_cselect_b32 s2, s20, s11
	s_add_co_i32 s11, s29, 31
	s_delay_alu instid0(SALU_CYCLE_1) | instskip(NEXT) | instid1(SALU_CYCLE_1)
	s_ashr_i32 s20, s11, 31
	s_lshr_b32 s20, s20, 27
	s_delay_alu instid0(SALU_CYCLE_1)
	s_add_co_i32 s11, s11, s20
	s_mul_i32 s20, s3, s10
	s_ashr_i32 s31, s11, 5
	s_xor_b32 s11, s2, s4
	v_cmp_gt_i32_e64 s2, s31, v105
	s_sub_co_i32 s33, s11, s4
	s_wait_xcnt 0x0
	s_and_saveexec_b32 s22, s2
	s_cbranch_execz .LBB39_16
; %bb.9:
	scratch_load_b32 v2, off, off offset:24 ; 4-byte Folded Reload
	s_ashr_i32 s21, s20, 31
	s_sub_co_i32 s35, s33, s5
	s_ashr_i32 s11, s9, 31
	s_lshl_b64 s[24:25], s[20:21], 2
	s_cmp_neq_f32 s34, 0
	v_dual_mov_b32 v121, v58 :: v_dual_mov_b32 v1, 0
	s_load_b64 s[36:37], s[0:1], 0x10
	s_cselect_b32 vcc_lo, -1, 0
	s_abs_i32 s21, s6
	v_mov_b32_e32 v110, 0xff7fffff
	s_cvt_f32_u32 s3, s21
	s_sub_co_i32 s4, 0, s21
	s_mov_b32 s10, s9
	v_mov_b32_e32 v111, v105
	v_rcp_iflag_f32_e32 v18, s3
	v_mov_b32_e32 v123, v100
	v_mov_b32_e32 v107, 0xff7fffff
	s_delay_alu instid0(VALU_DEP_3) | instskip(SKIP_1) | instid1(TRANS32_DEP_1)
	v_lshl_or_b32 v105, v111, 7, v106
	v_mov_b32_e32 v122, v111
	v_readfirstlane_b32 s3, v18
	s_delay_alu instid0(VALU_DEP_3) | instskip(SKIP_3) | instid1(SALU_CYCLE_1)
	v_add_nc_u32_e32 v109, 0x1a0, v105
	s_mul_f32 s3, s3, 0x4f7ffffe
	s_wait_kmcnt 0x0
	s_add_nc_u64 s[24:25], s[36:37], s[24:25]
	s_cvt_u32_f32 s3, s3
	s_delay_alu instid0(SALU_CYCLE_3) | instskip(NEXT) | instid1(SALU_CYCLE_1)
	s_mul_i32 s4, s4, s3
	s_mul_hi_u32 s4, s3, s4
	s_wait_loadcnt 0x0
	v_lshlrev_b32_e32 v0, 4, v2
	v_subrev_nc_u32_e32 v104, s29, v2
	ds_load_b128 v[2:5], v1
	ds_load_b128 v[6:9], v1 offset:16
	ds_load_b128 v[10:13], v1 offset:32
	;; [unrolled: 1-line block ×23, first 2 shown]
	v_add_nc_u64_e32 v[98:99], s[24:25], v[0:1]
	v_and_b32_e32 v0, 0x7c, v100
	s_lshl_b64 s[24:25], s[18:19], 2
	v_add_nc_u32_e32 v108, 1, v104
	s_add_nc_u64 s[24:25], s[16:17], s[24:25]
	s_delay_alu instid0(VALU_DEP_2) | instid1(SALU_CYCLE_1)
	v_add_nc_u64_e32 v[100:101], s[24:25], v[0:1]
	v_lshlrev_b32_e32 v0, 5, v111
	s_mov_b32 s25, 0
	s_add_co_i32 s24, s3, s4
	s_mov_b32 s36, s25
	s_branch .LBB39_11
.LBB39_10:                              ;   in Loop: Header=BB39_11 Depth=1
	s_wait_xcnt 0x0
	s_or_b32 exec_lo, exec_lo, s4
	v_add_nc_u32_e32 v111, 4, v111
	v_add_nc_u64_e32 v[100:101], 16, v[100:101]
	v_add_nc_u32_e32 v0, 0x80, v0
	v_add_nc_u32_e32 v109, 0x200, v109
	s_delay_alu instid0(VALU_DEP_4) | instskip(SKIP_1) | instid1(SALU_CYCLE_1)
	v_cmp_le_i32_e64 s3, s31, v111
	s_or_b32 s36, s3, s36
	s_and_not1_b32 exec_lo, exec_lo, s36
	s_cbranch_execz .LBB39_15
.LBB39_11:                              ; =>This Inner Loop Header: Depth=1
	v_mul_u64_e32 v[104:105], s[14:15], v[0:1]
	s_delay_alu instid0(VALU_DEP_1) | instskip(NEXT) | instid1(VALU_DEP_1)
	v_mul_lo_u32 v104, v105, s8
	v_dual_add_nc_u32 v112, 1, v105 :: v_dual_sub_nc_u32 v104, v0, v104
	s_delay_alu instid0(VALU_DEP_1) | instskip(SKIP_1) | instid1(VALU_DEP_1)
	v_subrev_nc_u32_e32 v113, s8, v104
	v_cmp_le_u32_e64 s3, s8, v104
	v_dual_cndmask_b32 v105, v105, v112, s3 :: v_dual_cndmask_b32 v104, v104, v113, s3
	s_delay_alu instid0(VALU_DEP_1) | instskip(NEXT) | instid1(VALU_DEP_2)
	v_add_nc_u32_e32 v112, 1, v105
	v_cmp_le_u32_e64 s3, s8, v104
	s_delay_alu instid0(VALU_DEP_1) | instskip(NEXT) | instid1(VALU_DEP_1)
	v_cndmask_b32_e64 v104, v105, v112, s3
	v_dual_mov_b32 v105, v1 :: v_dual_bitop2_b32 v104, s30, v104 bitop3:0x14
	s_delay_alu instid0(VALU_DEP_1) | instskip(NEXT) | instid1(VALU_DEP_1)
	v_subrev_nc_u32_e32 v114, s30, v104
	v_add_nc_u32_e32 v115, s13, v114
	v_cmp_ge_i32_e64 s4, s35, v114
	s_delay_alu instid0(VALU_DEP_2) | instskip(NEXT) | instid1(VALU_DEP_1)
	v_sub_nc_u32_e32 v104, 0, v115
	v_max_i32_e32 v104, v115, v104
	s_delay_alu instid0(VALU_DEP_1) | instskip(SKIP_1) | instid1(VALU_DEP_2)
	v_mul_u64_e32 v[112:113], s[24:25], v[104:105]
	v_ashrrev_i32_e32 v112, 31, v115
	v_mul_lo_u32 v105, v113, s21
	s_delay_alu instid0(VALU_DEP_1) | instskip(NEXT) | instid1(VALU_DEP_1)
	v_sub_nc_u32_e32 v104, v104, v105
	v_subrev_nc_u32_e32 v105, s21, v104
	v_cmp_le_u32_e64 s3, s21, v104
	s_delay_alu instid0(VALU_DEP_1) | instskip(NEXT) | instid1(VALU_DEP_1)
	v_cndmask_b32_e64 v104, v104, v105, s3
	v_subrev_nc_u32_e32 v105, s21, v104
	v_cmp_le_u32_e64 s3, s21, v104
	s_delay_alu instid0(VALU_DEP_1) | instskip(NEXT) | instid1(VALU_DEP_1)
	v_cndmask_b32_e64 v104, v104, v105, s3
	v_xor_b32_e32 v104, v104, v112
	s_delay_alu instid0(VALU_DEP_1) | instskip(NEXT) | instid1(VALU_DEP_1)
	v_sub_nc_u32_e32 v104, v104, v112
	v_cmp_ne_u32_e64 s3, 0, v104
	s_and_b32 s3, s3, s4
	s_delay_alu instid0(SALU_CYCLE_1) | instskip(NEXT) | instid1(SALU_CYCLE_1)
	s_and_saveexec_b32 s4, s3
	s_xor_b32 s3, exec_lo, s4
; %bb.12:                               ;   in Loop: Header=BB39_11 Depth=1
	ds_store_b32 v109, v110
; %bb.13:                               ;   in Loop: Header=BB39_11 Depth=1
	s_and_not1_saveexec_b32 s4, s3
	s_cbranch_execz .LBB39_10
; %bb.14:                               ;   in Loop: Header=BB39_11 Depth=1
	global_load_b32 v104, v[100:101], off
	v_add_nc_u32_e32 v120, v108, v0
	s_wait_loadcnt 0x0
	v_ashrrev_i32_e32 v105, 31, v104
	s_delay_alu instid0(VALU_DEP_1) | instskip(NEXT) | instid1(VALU_DEP_1)
	v_mul_u64_e32 v[104:105], s[10:11], v[104:105]
	v_lshl_add_u64 v[104:105], v[104:105], 2, v[98:99]
	global_load_b128 v[112:115], v[104:105], off offset:512
	s_wait_loadcnt_dscnt 0x16
	v_pk_mul_f32 v[116:117], v[6:7], v[112:113]
	v_pk_mul_f32 v[118:119], v[8:9], v[114:115]
	global_load_b128 v[112:115], v[104:105], off
	s_wait_loadcnt 0x0
	v_pk_fma_f32 v[116:117], v[2:3], v[112:113], v[116:117]
	v_pk_fma_f32 v[118:119], v[4:5], v[114:115], v[118:119]
	global_load_b128 v[112:115], v[104:105], off offset:1024
	s_wait_loadcnt_dscnt 0x15
	v_pk_fma_f32 v[116:117], v[10:11], v[112:113], v[116:117]
	v_pk_fma_f32 v[118:119], v[12:13], v[114:115], v[118:119]
	global_load_b128 v[112:115], v[104:105], off offset:1536
	s_wait_loadcnt_dscnt 0x14
	;; [unrolled: 4-line block ×22, first 2 shown]
	v_pk_fma_f32 v[104:105], v[94:95], v[112:113], v[116:117]
	v_cvt_f32_i32_e32 v116, v120
	v_pk_fma_f32 v[112:113], v[96:97], v[114:115], v[118:119]
	s_delay_alu instid0(VALU_DEP_2) | instskip(NEXT) | instid1(VALU_DEP_1)
	v_dual_add_f32 v104, v104, v105 :: v_dual_mul_f32 v105, s34, v116
	v_dual_add_f32 v104, v112, v104 :: v_dual_cndmask_b32 v105, 0, v105
	s_delay_alu instid0(VALU_DEP_1) | instskip(SKIP_3) | instid1(VALU_DEP_1)
	v_dual_max_num_f32 v112, v107, v107 :: v_dual_add_f32 v104, v113, v104
	scratch_load_b32 v113, off, off offset:24 ; 4-byte Folded Reload
	v_fmac_f32_e32 v105, s23, v104
	s_wait_loadcnt 0x0
	v_dual_max_num_f32 v104, v112, v105 :: v_dual_add_nc_u32 v113, v113, v0
	s_delay_alu instid0(VALU_DEP_1) | instskip(NEXT) | instid1(VALU_DEP_1)
	v_cmp_gt_i32_e64 s3, s29, v113
	v_dual_cndmask_b32 v107, v107, v104, s3 :: v_dual_cndmask_b32 v105, 0, v105, s3
	ds_store_b32 v109, v105
	s_branch .LBB39_10
.LBB39_15:
	s_or_b32 exec_lo, exec_lo, s36
	s_wait_dscnt 0x9
	v_dual_mov_b32 v58, v121 :: v_dual_mov_b32 v105, v122
	v_mov_b32_e32 v100, v123
.LBB39_16:
	s_or_b32 exec_lo, exec_lo, s22
	v_mbcnt_lo_u32_b32 v2, -1, 0
	s_clause 0x1
	s_load_b64 s[10:11], s[0:1], 0x0
	s_load_b64 s[22:23], s[0:1], 0x18
	s_delay_alu instid0(VALU_DEP_1) | instskip(SKIP_1) | instid1(VALU_DEP_2)
	v_dual_max_num_f32 v4, v107, v107 :: v_dual_bitop2_b32 v0, 16, v2 bitop3:0x14
	v_xor_b32_e32 v3, 8, v2
	v_cmp_gt_i32_e32 vcc_lo, 32, v0
	v_cndmask_b32_e32 v0, v2, v0, vcc_lo
	s_delay_alu instid0(VALU_DEP_3) | instskip(NEXT) | instid1(VALU_DEP_2)
	v_cmp_gt_i32_e32 vcc_lo, 32, v3
	v_dual_cndmask_b32 v3, v2, v3 :: v_dual_lshlrev_b32 v0, 2, v0
	ds_bpermute_b32 v1, v0, v107
	s_wait_dscnt 0x0
	v_dual_max_num_f32 v5, v1, v1 :: v_dual_lshlrev_b32 v1, 2, v3
	s_delay_alu instid0(VALU_DEP_1) | instskip(SKIP_4) | instid1(VALU_DEP_1)
	v_dual_max_num_f32 v3, v4, v5 :: v_dual_bitop2_b32 v5, 4, v2 bitop3:0x14
	ds_bpermute_b32 v4, v1, v3
	v_cmp_gt_i32_e32 vcc_lo, 32, v5
	s_wait_dscnt 0x0
	v_dual_cndmask_b32 v5, v2, v5 :: v_dual_max_num_f32 v4, v4, v4
	v_dual_lshlrev_b32 v29, 2, v5 :: v_dual_max_num_f32 v3, v3, v4
	ds_bpermute_b32 v4, v29, v3
	s_wait_dscnt 0x0
	v_dual_max_num_f32 v4, v4, v4 :: v_dual_bitop2_b32 v5, 2, v2 bitop3:0x14
	s_delay_alu instid0(VALU_DEP_1) | instskip(NEXT) | instid1(VALU_DEP_2)
	v_cmp_gt_i32_e32 vcc_lo, 32, v5
	v_dual_max_num_f32 v3, v3, v4 :: v_dual_cndmask_b32 v5, v2, v5, vcc_lo
	s_delay_alu instid0(VALU_DEP_1) | instskip(SKIP_3) | instid1(VALU_DEP_1)
	v_dual_lshlrev_b32 v48, 2, v5 :: v_dual_bitop2_b32 v5, 1, v2 bitop3:0x14
	ds_bpermute_b32 v4, v48, v3
	v_cmp_gt_i32_e32 vcc_lo, 32, v5
	v_cndmask_b32_e32 v2, v2, v5, vcc_lo
	v_lshlrev_b32_e32 v59, 2, v2
	scratch_load_b32 v2, off, off offset:24 ; 4-byte Folded Reload
	s_wait_dscnt 0x0
	v_max_num_f32_e32 v4, v4, v4
	s_delay_alu instid0(VALU_DEP_1)
	v_max_num_f32_e32 v3, v3, v4
	ds_bpermute_b32 v4, v59, v3
	s_wait_loadcnt 0x0
	v_cmp_eq_u32_e32 vcc_lo, 0, v2
	v_lshlrev_b32_e32 v2, 2, v105
	s_wait_xcnt 0x0
	s_and_saveexec_b32 s0, vcc_lo
	s_cbranch_execz .LBB39_18
; %bb.17:
	s_wait_dscnt 0x0
	v_dual_max_num_f32 v4, v4, v4 :: v_dual_max_num_f32 v3, v3, v3
	s_delay_alu instid0(VALU_DEP_1)
	v_max_num_f32_e32 v3, v3, v4
	ds_store_b32 v2, v3 offset:384
.LBB39_18:
	s_or_b32 exec_lo, exec_lo, s0
	scratch_load_b32 v3, off, off offset:24 ; 4-byte Folded Reload
	s_wait_storecnt 0x0
	s_wait_loadcnt_dscnt 0x0
	s_barrier_signal -1
	s_barrier_wait -1
	v_cmp_gt_u32_e64 s0, 4, v3
	v_mov_b32_e32 v3, 0xff7fffff
	s_and_saveexec_b32 s1, s0
; %bb.19:
	ds_load_b32 v3, v106 offset:384
; %bb.20:
	s_or_b32 exec_lo, exec_lo, s1
	s_wait_dscnt 0x0
	ds_bpermute_b32 v4, v48, v3
	v_max_num_f32_e32 v3, v3, v3
	s_lshl_b32 s1, s31, 5
	s_delay_alu instid0(SALU_CYCLE_1) | instskip(NEXT) | instid1(SALU_CYCLE_1)
	s_min_i32 s4, s1, s29
	v_cmp_gt_i32_e64 s1, s4, v58
	s_wait_dscnt 0x0
	v_max_num_f32_e32 v4, v4, v4
	s_delay_alu instid0(VALU_DEP_1) | instskip(SKIP_3) | instid1(VALU_DEP_1)
	v_max_num_f32_e32 v3, v3, v4
	ds_bpermute_b32 v4, v59, v3
	s_wait_dscnt 0x0
	v_max_num_f32_e32 v4, v4, v4
	v_dual_max_num_f32 v4, v3, v4 :: v_dual_mov_b32 v3, 0
	ds_bpermute_b32 v4, v3, v4
	s_and_saveexec_b32 s21, s1
	s_cbranch_execz .LBB39_24
; %bb.21:
	v_lshl_add_u32 v5, v58, 2, 0x1a0
	v_dual_mov_b32 v3, 0 :: v_dual_mov_b32 v6, v58
	s_mov_b32 s24, 0
.LBB39_22:                              ; =>This Inner Loop Header: Depth=1
	ds_load_b32 v7, v5
	v_add_nc_u32_e32 v6, 0x80, v6
	s_delay_alu instid0(VALU_DEP_1) | instskip(SKIP_3) | instid1(VALU_DEP_1)
	v_cmp_le_i32_e64 s3, s4, v6
	s_or_b32 s24, s3, s24
	s_wait_dscnt 0x0
	v_sub_f32_e32 v7, v7, v4
	v_mul_f32_e32 v7, 0x3fb8aa3b, v7
	s_delay_alu instid0(VALU_DEP_1)
	v_exp_f32_e32 v7, v7
	ds_store_b32 v5, v7
	v_nop
	v_add_f32_e32 v3, v3, v7
	v_add_nc_u32_e32 v5, 0x200, v5
	s_and_not1_b32 exec_lo, exec_lo, s24
	s_cbranch_execnz .LBB39_22
; %bb.23:
	s_or_b32 exec_lo, exec_lo, s24
.LBB39_24:
	s_delay_alu instid0(SALU_CYCLE_1)
	s_or_b32 exec_lo, exec_lo, s21
	ds_bpermute_b32 v0, v0, v3
	s_wait_dscnt 0x0
	v_add_f32_e32 v0, v3, v0
	ds_bpermute_b32 v1, v1, v0
	s_wait_dscnt 0x0
	v_add_f32_e32 v0, v0, v1
	;; [unrolled: 3-line block ×5, first 2 shown]
	s_and_saveexec_b32 s3, vcc_lo
; %bb.25:
	ds_store_b32 v2, v0 offset:400
; %bb.26:
	s_or_b32 exec_lo, exec_lo, s3
	s_wait_dscnt 0x0
	s_barrier_signal -1
	s_barrier_wait -1
	s_and_saveexec_b32 s3, s0
; %bb.27:
	ds_load_b32 v0, v106 offset:400
; %bb.28:
	s_or_b32 exec_lo, exec_lo, s3
	s_wait_dscnt 0x0
	ds_bpermute_b32 v1, v48, v0
	s_wait_dscnt 0x0
	v_dual_mov_b32 v23, 0 :: v_dual_add_f32 v0, v0, v1
	ds_bpermute_b32 v1, v59, v0
	s_wait_dscnt 0x0
	v_add_f32_e32 v0, v0, v1
	ds_bpermute_b32 v0, v23, v0
	s_and_saveexec_b32 s0, s1
	s_cbranch_execz .LBB39_41
; %bb.29:
	s_wait_dscnt 0x0
	v_add_f32_e32 v0, 0x358637bd, v0
	s_mov_b32 s3, -1
	s_mov_b32 s1, exec_lo
	s_delay_alu instid0(VALU_DEP_1) | instskip(NEXT) | instid1(VALU_DEP_1)
	v_div_scale_f32 v1, null, v0, v0, 1.0
	v_rcp_f32_e32 v3, v1
	v_nop
	s_delay_alu instid0(TRANS32_DEP_1) | instskip(NEXT) | instid1(VALU_DEP_1)
	v_fma_f32 v2, -v1, v3, 1.0
	v_fmac_f32_e32 v3, v2, v3
	v_div_scale_f32 v4, vcc_lo, 1.0, v0, 1.0
	s_delay_alu instid0(VALU_DEP_1) | instskip(NEXT) | instid1(VALU_DEP_1)
	v_mul_f32_e32 v5, v4, v3
	v_fma_f32 v2, -v1, v5, v4
	s_delay_alu instid0(VALU_DEP_1) | instskip(SKIP_1) | instid1(VALU_DEP_2)
	v_fmac_f32_e32 v5, v2, v3
	v_xad_u32 v2, v58, -1, s4
	v_fma_f32 v1, -v1, v5, v4
	s_delay_alu instid0(VALU_DEP_1) | instskip(NEXT) | instid1(VALU_DEP_1)
	v_div_fmas_f32 v1, v1, v3, v5
	v_div_fixup_f32 v0, v1, v0, 1.0
	v_mov_b32_e32 v1, v58
	v_cmpx_lt_u32_e32 0x7f, v2
	s_cbranch_execz .LBB39_38
; %bb.30:
	s_delay_alu instid0(VALU_DEP_3) | instskip(NEXT) | instid1(VALU_DEP_1)
	v_dual_mov_b32 v1, v0 :: v_dual_lshrrev_b32 v2, 7, v2
	v_dual_mov_b32 v6, 0 :: v_dual_add_nc_u32 v3, -1, v2
	s_delay_alu instid0(VALU_DEP_1) | instskip(SKIP_1) | instid1(VALU_DEP_2)
	v_lshrrev_b32_e32 v4, 1, v3
	v_cmp_lt_u32_e32 vcc_lo, 13, v3
	v_add_nc_u32_e32 v3, 1, v4
	s_and_saveexec_b32 s3, vcc_lo
	s_cbranch_execz .LBB39_34
; %bb.31:
	s_delay_alu instid0(VALU_DEP_1)
	v_and_b32_e32 v4, -8, v3
	v_lshl_add_u32 v5, v58, 2, 0x1a0
	s_mov_b32 s21, 0
	s_mov_b32 s24, 0
.LBB39_32:                              ; =>This Inner Loop Header: Depth=1
	ds_load_2addr_stride64_b32 v[6:7], v5 offset1:2
	ds_load_2addr_stride64_b32 v[8:9], v5 offset0:4 offset1:6
	ds_load_2addr_stride64_b32 v[10:11], v5 offset0:8 offset1:10
	ds_load_2addr_stride64_b32 v[12:13], v5 offset0:12 offset1:14
	ds_load_2addr_stride64_b32 v[14:15], v5 offset0:16 offset1:18
	ds_load_2addr_stride64_b32 v[16:17], v5 offset0:20 offset1:22
	ds_load_2addr_stride64_b32 v[18:19], v5 offset0:24 offset1:26
	ds_load_2addr_stride64_b32 v[20:21], v5 offset0:28 offset1:30
	s_add_co_i32 s24, s24, 16
	v_add_nc_u32_e32 v4, -8, v4
	s_wait_dscnt 0x7
	v_pk_mul_f32 v[6:7], v[0:1], v[6:7]
	s_wait_dscnt 0x6
	v_pk_mul_f32 v[8:9], v[0:1], v[8:9]
	;; [unrolled: 2-line block ×8, first 2 shown]
	ds_store_2addr_stride64_b32 v5, v6, v7 offset1:2
	ds_store_2addr_stride64_b32 v5, v8, v9 offset0:4 offset1:6
	ds_store_2addr_stride64_b32 v5, v10, v11 offset0:8 offset1:10
	;; [unrolled: 1-line block ×7, first 2 shown]
	v_mov_b32_e32 v6, s24
	v_cmp_eq_u32_e32 vcc_lo, 0, v4
	v_add_nc_u32_e32 v5, 0x2000, v5
	s_or_b32 s21, vcc_lo, s21
	s_delay_alu instid0(SALU_CYCLE_1)
	s_and_not1_b32 exec_lo, exec_lo, s21
	s_cbranch_execnz .LBB39_32
; %bb.33:
	s_or_b32 exec_lo, exec_lo, s21
.LBB39_34:
	s_delay_alu instid0(SALU_CYCLE_1) | instskip(NEXT) | instid1(VALU_DEP_1)
	s_or_b32 exec_lo, exec_lo, s3
	v_and_b32_e32 v3, 7, v3
	s_mov_b32 s21, 0
	s_mov_b32 s3, exec_lo
	s_delay_alu instid0(VALU_DEP_1)
	v_cmpx_ne_u32_e32 0, v3
	s_cbranch_execz .LBB39_37
; %bb.35:
	v_lshlrev_b32_e32 v4, 9, v6
	v_lshlrev_b32_e32 v5, 2, v58
	s_delay_alu instid0(VALU_DEP_1)
	v_add3_u32 v4, v4, v5, 0x1a0
.LBB39_36:                              ; =>This Inner Loop Header: Depth=1
	ds_load_2addr_stride64_b32 v[6:7], v4 offset1:2
	v_add_nc_u32_e32 v3, -1, v3
	s_delay_alu instid0(VALU_DEP_1)
	v_cmp_eq_u32_e32 vcc_lo, 0, v3
	s_or_b32 s21, vcc_lo, s21
	s_wait_dscnt 0x0
	v_pk_mul_f32 v[6:7], v[0:1], v[6:7]
	ds_store_2addr_stride64_b32 v4, v6, v7 offset1:2
	v_add_nc_u32_e32 v4, 0x400, v4
	s_and_not1_b32 exec_lo, exec_lo, s21
	s_cbranch_execnz .LBB39_36
.LBB39_37:
	s_or_b32 exec_lo, exec_lo, s3
	v_add_nc_u32_e32 v1, 1, v2
	s_delay_alu instid0(VALU_DEP_1) | instskip(NEXT) | instid1(VALU_DEP_1)
	v_and_b32_e32 v2, 0x3fffffe, v1
	v_cmp_ne_u32_e32 vcc_lo, v1, v2
	v_lshl_add_u32 v1, v2, 7, v58
	s_or_not1_b32 s3, vcc_lo, exec_lo
.LBB39_38:
	s_or_b32 exec_lo, exec_lo, s1
	s_delay_alu instid0(SALU_CYCLE_1)
	s_and_b32 exec_lo, exec_lo, s3
	s_cbranch_execz .LBB39_41
; %bb.39:
	v_lshl_add_u32 v2, v1, 2, 0x1a0
	s_mov_b32 s1, 0
.LBB39_40:                              ; =>This Inner Loop Header: Depth=1
	ds_load_b32 v3, v2
	v_add_nc_u32_e32 v1, 0x80, v1
	s_delay_alu instid0(VALU_DEP_1)
	v_cmp_le_i32_e32 vcc_lo, s4, v1
	s_or_b32 s1, vcc_lo, s1
	s_wait_dscnt 0x0
	v_mul_f32_e32 v3, v0, v3
	ds_store_b32 v2, v3
	v_add_nc_u32_e32 v2, 0x200, v2
	s_and_not1_b32 exec_lo, exec_lo, s1
	s_cbranch_execnz .LBB39_40
.LBB39_41:
	s_or_b32 exec_lo, exec_lo, s0
	v_dual_mov_b32 v22, 0 :: v_dual_bitop2_b32 v60, 7, v58 bitop3:0x40
	s_wait_dscnt 0x0
	v_dual_mov_b32 v1, 0 :: v_dual_mov_b32 v0, 0
	v_dual_mov_b32 v111, 0 :: v_dual_mov_b32 v110, 0
	scratch_store_b64 off, v[22:23], off    ; 8-byte Folded Spill
	v_dual_mov_b32 v113, 0 :: v_dual_mov_b32 v112, 0
	scratch_store_b64 off, v[0:1], off offset:8 ; 8-byte Folded Spill
	s_wait_xcnt 0x0
	v_dual_mov_b32 v1, 0 :: v_dual_mov_b32 v0, 0
	v_dual_mov_b32 v115, 0 :: v_dual_mov_b32 v114, 0
	;; [unrolled: 1-line block ×8, first 2 shown]
	scratch_store_b64 off, v[0:1], off offset:16 ; 8-byte Folded Spill
	s_wait_storecnt 0x0
	s_barrier_signal -1
	s_barrier_wait -1
	s_wait_xcnt 0x0
	s_and_saveexec_b32 s24, s2
	s_cbranch_execz .LBB39_95
; %bb.42:
	s_abs_i32 s6, s6
	v_lshlrev_b32_e32 v3, 2, v58
	s_cvt_f32_u32 s0, s6
	v_and_b32_e32 v0, 0x1f0, v103
	v_mov_b32_e32 v103, 0
	s_ashr_i32 s21, s20, 31
	v_rcp_iflag_f32_e32 v1, s0
	v_lshlrev_b32_e32 v4, 4, v60
	s_lshl_b64 s[0:1], s[18:19], 2
	s_lshl_b64 s[18:19], s[20:21], 2
	v_dual_mov_b32 v126, v103 :: v_dual_bitop2_b32 v3, 28, v3 bitop3:0x40
	s_add_nc_u64 s[0:1], s[16:17], s[0:1]
	s_delay_alu instid0(TRANS32_DEP_1)
	v_readfirstlane_b32 s4, v1
	v_mov_b32_e32 v1, v103
	s_wait_kmcnt 0x0
	s_add_nc_u64 s[16:17], s[22:23], s[18:19]
	s_clause 0x2
	scratch_store_b32 off, v29, off offset:56
	scratch_store_b32 off, v48, off offset:52
	;; [unrolled: 1-line block ×3, first 2 shown]
	v_and_b32_e32 v2, 0x7c, v100
	s_mul_f32 s4, s4, 0x4f7ffffe
	v_add_nc_u64_e32 v[0:1], s[16:17], v[0:1]
	s_clause 0x3
	scratch_store_b32 off, v3, off offset:28
	scratch_store_b32 off, v58, off offset:40
	;; [unrolled: 1-line block ×4, first 2 shown]
	v_lshl_or_b32 v4, v105, 7, v4
	s_wait_xcnt 0x3
	v_mov_b32_e32 v3, v103
	s_cvt_u32_f32 s4, s4
	s_sub_co_i32 s20, 0, s6
	scratch_store_b64 off, v[0:1], off offset:32 ; 8-byte Folded Spill
	v_add_nc_u32_e32 v104, 0x1a0, v4
	s_wait_xcnt 0x0
	v_add_nc_u64_e32 v[0:1], s[0:1], v[2:3]
	s_mul_i32 s20, s20, s4
	v_dual_mov_b32 v127, v103 :: v_dual_mov_b32 v124, v103
	v_dual_mov_b32 v125, v103 :: v_dual_mov_b32 v122, v103
	;; [unrolled: 1-line block ×9, first 2 shown]
	s_sub_co_i32 s25, s33, s5
	s_mov_b32 s5, 0
	s_mul_hi_u32 s17, s4, s20
	s_ashr_i32 s3, s9, 31
	s_mov_b32 s2, s9
	s_add_co_i32 s9, s31, -1
	s_mov_b32 s16, s29
	s_add_co_i32 s4, s4, s17
	s_mov_b32 s17, s5
	s_clause 0x2
	scratch_store_b64 off, v[2:3], off offset:16
	scratch_store_b64 off, v[2:3], off offset:8
	scratch_store_b64 off, v[2:3], off
	s_branch .LBB39_45
.LBB39_43:                              ;   in Loop: Header=BB39_45 Depth=1
	s_or_b32 exec_lo, exec_lo, s1
	s_wait_loadcnt_dscnt 0x200
	v_mul_f32_e32 v94, v6, v94
	s_wait_loadcnt 0x1
	v_mul_f32_e32 v98, v6, v98
	v_mul_f32_e32 v90, v6, v90
	;; [unrolled: 1-line block ×3, first 2 shown]
	v_dual_mul_f32 v78, v6, v78 :: v_dual_fmac_f32 v94, v7, v95
	s_delay_alu instid0(VALU_DEP_4) | instskip(NEXT) | instid1(VALU_DEP_4)
	v_fmac_f32_e32 v98, v7, v99
	v_dual_fmac_f32 v90, v7, v91 :: v_dual_mul_f32 v74, v6, v74
	s_delay_alu instid0(VALU_DEP_3) | instskip(NEXT) | instid1(VALU_DEP_3)
	v_dual_mul_f32 v66, v6, v66 :: v_dual_fmac_f32 v78, v7, v79
	v_dual_mul_f32 v62, v6, v62 :: v_dual_fmac_f32 v98, v8, v100
	s_delay_alu instid0(VALU_DEP_3) | instskip(NEXT) | instid1(VALU_DEP_3)
	v_fmac_f32_e32 v90, v8, v92
	v_dual_fmac_f32 v66, v7, v67 :: v_dual_mul_f32 v58, v6, v58
	s_delay_alu instid0(VALU_DEP_3) | instskip(NEXT) | instid1(VALU_DEP_4)
	v_fmac_f32_e32 v62, v7, v63
	v_fmac_f32_e32 v98, v9, v101
	;; [unrolled: 1-line block ×4, first 2 shown]
	scratch_load_b64 v[92:93], off, off offset:8 th:TH_LOAD_LU ; 8-byte Folded Reload
	v_fmac_f32_e32 v78, v8, v80
	v_dual_fmac_f32 v66, v8, v68 :: v_dual_mul_f32 v46, v6, v46
	v_fmac_f32_e32 v86, v8, v88
	v_dual_fmac_f32 v62, v8, v64 :: v_dual_mul_f32 v42, v6, v42
	s_delay_alu instid0(VALU_DEP_3) | instskip(NEXT) | instid1(VALU_DEP_3)
	v_dual_mul_f32 v26, v6, v26 :: v_dual_fmac_f32 v46, v7, v47
	v_fmac_f32_e32 v86, v9, v89
	scratch_load_b64 v[88:89], off, off th:TH_LOAD_LU ; 8-byte Folded Reload
	v_dual_fmac_f32 v42, v7, v43 :: v_dual_mul_f32 v22, v6, v22
	v_dual_fmac_f32 v62, v9, v65 :: v_dual_mul_f32 v38, v6, v38
	v_fmac_f32_e32 v78, v9, v81
	v_fmac_f32_e32 v26, v7, v27
	s_delay_alu instid0(VALU_DEP_4) | instskip(SKIP_2) | instid1(VALU_DEP_4)
	v_fmac_f32_e32 v42, v8, v44
	v_dual_fmac_f32 v22, v7, v23 :: v_dual_mul_f32 v23, v6, v18
	v_add_f32_e32 v112, v112, v62
	v_fmac_f32_e32 v26, v8, v28
	s_delay_alu instid0(VALU_DEP_4) | instskip(NEXT) | instid1(VALU_DEP_4)
	v_dual_fmac_f32 v42, v9, v45 :: v_dual_mul_f32 v10, v6, v10
	v_fmac_f32_e32 v23, v7, v19
	v_fmac_f32_e32 v38, v7, v39
	s_delay_alu instid0(VALU_DEP_4)
	v_fmac_f32_e32 v26, v9, v29
	v_fmac_f32_e32 v46, v8, v48
	s_wait_loadcnt 0x2
	v_pk_mul_f32 v[18:19], v[6:7], v[82:83]
	v_fmac_f32_e32 v23, v8, v20
	v_dual_fmac_f32 v38, v8, v40 :: v_dual_add_f32 v123, v123, v26
	v_fmac_f32_e32 v46, v9, v49
	v_fmac_f32_e32 v66, v9, v69
	;; [unrolled: 1-line block ×3, first 2 shown]
	s_delay_alu instid0(VALU_DEP_4) | instskip(NEXT) | instid1(VALU_DEP_4)
	v_dual_fmac_f32 v38, v9, v41 :: v_dual_mul_f32 v70, v6, v70
	v_add_f32_e32 v116, v116, v46
	s_delay_alu instid0(VALU_DEP_3) | instskip(NEXT) | instid1(VALU_DEP_3)
	v_dual_mul_f32 v54, v6, v54 :: v_dual_fmac_f32 v10, v8, v12
	v_dual_add_f32 v113, v113, v66 :: v_dual_fmac_f32 v70, v7, v71
	s_delay_alu instid0(VALU_DEP_2) | instskip(NEXT) | instid1(VALU_DEP_3)
	v_dual_mul_f32 v34, v6, v34 :: v_dual_fmac_f32 v54, v7, v55
	v_dual_fmac_f32 v10, v9, v13 :: v_dual_mul_f32 v50, v6, v50
	s_delay_alu instid0(VALU_DEP_3) | instskip(NEXT) | instid1(VALU_DEP_3)
	v_dual_fmac_f32 v70, v8, v72 :: v_dual_add_f32 v118, v118, v38
	v_dual_fmac_f32 v54, v8, v56 :: v_dual_mul_f32 v30, v6, v30
	s_delay_alu instid0(VALU_DEP_3) | instskip(NEXT) | instid1(VALU_DEP_4)
	v_dual_fmac_f32 v50, v7, v51 :: v_dual_fmac_f32 v23, v9, v21
	v_add_f32_e32 v127, v127, v10
	s_delay_alu instid0(VALU_DEP_3) | instskip(NEXT) | instid1(VALU_DEP_3)
	v_dual_mul_f32 v14, v6, v14 :: v_dual_fmac_f32 v30, v7, v31
	v_dual_add_f32 v125, v125, v23 :: v_dual_fmac_f32 v22, v8, v24
	s_delay_alu instid0(VALU_DEP_2) | instskip(NEXT) | instid1(VALU_DEP_3)
	v_fmac_f32_e32 v14, v7, v15
	v_fmac_f32_e32 v30, v8, v32
	s_delay_alu instid0(VALU_DEP_3) | instskip(SKIP_1) | instid1(VALU_DEP_3)
	v_fmac_f32_e32 v22, v9, v25
	v_fmac_f32_e32 v54, v9, v57
	;; [unrolled: 1-line block ×3, first 2 shown]
	s_delay_alu instid0(VALU_DEP_3) | instskip(SKIP_4) | instid1(VALU_DEP_4)
	v_dual_fmac_f32 v14, v8, v16 :: v_dual_add_f32 v122, v122, v22
	v_mul_f32_e32 v22, v6, v2
	v_dual_add_f32 v6, v19, v18 :: v_dual_fmac_f32 v70, v9, v73
	v_add_f32_e32 v114, v114, v54
	v_add_f32_e32 v119, v119, v42
	v_fmac_f32_e32 v22, v7, v3
	v_pk_mul_f32 v[2:3], v[8:9], v[84:85]
	v_dual_fmac_f32 v34, v7, v35 :: v_dual_add_f32 v120, v120, v30
	s_delay_alu instid0(VALU_DEP_3) | instskip(NEXT) | instid1(VALU_DEP_2)
	v_dual_add_f32 v110, v110, v70 :: v_dual_fmac_f32 v22, v8, v4
	v_dual_add_f32 v2, v2, v6 :: v_dual_fmac_f32 v34, v8, v36
	v_fmac_f32_e32 v14, v9, v17
	s_delay_alu instid0(VALU_DEP_2) | instskip(NEXT) | instid1(VALU_DEP_3)
	v_dual_fmac_f32 v22, v9, v5 :: v_dual_add_f32 v2, v3, v2
	v_fmac_f32_e32 v34, v9, v37
	v_fmac_f32_e32 v50, v8, v52
	s_delay_alu instid0(VALU_DEP_4) | instskip(NEXT) | instid1(VALU_DEP_4)
	v_add_f32_e32 v124, v124, v14
	v_add_f32_e32 v126, v126, v22
	s_delay_alu instid0(VALU_DEP_4) | instskip(NEXT) | instid1(VALU_DEP_4)
	v_add_f32_e32 v121, v121, v34
	v_fmac_f32_e32 v50, v9, v53
	s_delay_alu instid0(VALU_DEP_1) | instskip(NEXT) | instid1(VALU_DEP_1)
	v_dual_fmac_f32 v58, v7, v59 :: v_dual_add_f32 v117, v117, v50
	v_fmac_f32_e32 v58, v8, v60
	s_delay_alu instid0(VALU_DEP_1) | instskip(NEXT) | instid1(VALU_DEP_1)
	v_fmac_f32_e32 v58, v9, v61
	v_add_f32_e32 v115, v115, v58
	s_wait_loadcnt 0x1
	v_add_f32_e32 v92, v92, v90
	scratch_load_b64 v[90:91], off, off offset:16 th:TH_LOAD_LU ; 8-byte Folded Reload
	v_fmac_f32_e32 v94, v8, v96
	s_wait_loadcnt 0x1
	v_dual_fmac_f32 v74, v7, v75 :: v_dual_add_f32 v88, v88, v98
	v_add_f32_e32 v89, v89, v2
	scratch_store_b64 off, v[88:89], off    ; 8-byte Folded Spill
	s_wait_loadcnt 0x0
	v_dual_add_f32 v91, v91, v86 :: v_dual_fmac_f32 v94, v9, v97
	v_dual_add_f32 v90, v90, v78 :: v_dual_fmac_f32 v74, v8, v76
	s_delay_alu instid0(VALU_DEP_2)
	v_add_f32_e32 v93, v93, v94
	scratch_store_b64 off, v[90:91], off offset:16 ; 8-byte Folded Spill
	v_fmac_f32_e32 v74, v9, v77
	scratch_store_b64 off, v[92:93], off offset:8 ; 8-byte Folded Spill
	v_add_f32_e32 v111, v111, v74
.LBB39_44:                              ;   in Loop: Header=BB39_45 Depth=1
	s_wait_xcnt 0x0
	s_or_b32 exec_lo, exec_lo, s18
	v_add_nc_u32_e32 v105, 4, v105
	v_add_nc_u64_e32 v[0:1], 16, v[0:1]
	v_add_nc_u32_e32 v102, 0x80, v102
	v_add_nc_u32_e32 v104, 0x200, v104
	s_delay_alu instid0(VALU_DEP_4) | instskip(SKIP_1) | instid1(SALU_CYCLE_1)
	v_cmp_le_i32_e32 vcc_lo, s31, v105
	s_or_b32 s17, vcc_lo, s17
	s_and_not1_b32 exec_lo, exec_lo, s17
	s_cbranch_execz .LBB39_94
.LBB39_45:                              ; =>This Inner Loop Header: Depth=1
	s_wait_xcnt 0x0
	v_mul_u64_e32 v[2:3], s[14:15], v[102:103]
	s_delay_alu instid0(VALU_DEP_1) | instskip(NEXT) | instid1(VALU_DEP_1)
	v_mul_lo_u32 v2, v3, s8
	v_dual_add_nc_u32 v4, 1, v3 :: v_dual_sub_nc_u32 v2, v102, v2
	s_delay_alu instid0(VALU_DEP_1) | instskip(SKIP_1) | instid1(VALU_DEP_2)
	v_subrev_nc_u32_e32 v5, s8, v2
	v_cmp_le_u32_e32 vcc_lo, s8, v2
	v_dual_cndmask_b32 v3, v3, v4 :: v_dual_cndmask_b32 v2, v2, v5
	s_delay_alu instid0(VALU_DEP_1) | instskip(NEXT) | instid1(VALU_DEP_2)
	v_add_nc_u32_e32 v4, 1, v3
	v_cmp_le_u32_e32 vcc_lo, s8, v2
	s_delay_alu instid0(VALU_DEP_2) | instskip(NEXT) | instid1(VALU_DEP_1)
	v_cndmask_b32_e32 v2, v3, v4, vcc_lo
	v_dual_mov_b32 v3, v103 :: v_dual_bitop2_b32 v2, s30, v2 bitop3:0x14
	s_delay_alu instid0(VALU_DEP_1) | instskip(NEXT) | instid1(VALU_DEP_1)
	v_subrev_nc_u32_e32 v6, s30, v2
	v_add_nc_u32_e32 v7, s13, v6
	v_cmp_lt_i32_e64 s0, s25, v6
	s_delay_alu instid0(VALU_DEP_2) | instskip(NEXT) | instid1(VALU_DEP_1)
	v_sub_nc_u32_e32 v2, 0, v7
	v_max_i32_e32 v2, v7, v2
	s_delay_alu instid0(VALU_DEP_1) | instskip(SKIP_1) | instid1(VALU_DEP_2)
	v_mul_u64_e32 v[4:5], s[4:5], v[2:3]
	v_ashrrev_i32_e32 v4, 31, v7
	v_mul_lo_u32 v3, v5, s6
	s_delay_alu instid0(VALU_DEP_1) | instskip(NEXT) | instid1(VALU_DEP_1)
	v_sub_nc_u32_e32 v2, v2, v3
	v_subrev_nc_u32_e32 v3, s6, v2
	v_cmp_le_u32_e32 vcc_lo, s6, v2
	s_delay_alu instid0(VALU_DEP_2) | instskip(NEXT) | instid1(VALU_DEP_1)
	v_cndmask_b32_e32 v2, v2, v3, vcc_lo
	v_subrev_nc_u32_e32 v3, s6, v2
	v_cmp_le_u32_e32 vcc_lo, s6, v2
	s_delay_alu instid0(VALU_DEP_2) | instskip(NEXT) | instid1(VALU_DEP_1)
	v_cndmask_b32_e32 v2, v2, v3, vcc_lo
	v_xor_b32_e32 v2, v2, v4
	s_delay_alu instid0(VALU_DEP_1) | instskip(NEXT) | instid1(VALU_DEP_1)
	v_sub_nc_u32_e32 v2, v2, v4
	v_cmp_eq_u32_e32 vcc_lo, 0, v2
	s_or_b32 s0, vcc_lo, s0
	s_delay_alu instid0(SALU_CYCLE_1)
	s_and_saveexec_b32 s18, s0
	s_cbranch_execz .LBB39_44
; %bb.46:                               ;   in Loop: Header=BB39_45 Depth=1
	global_load_b32 v2, v[0:1], off
	s_clause 0x1
	scratch_load_b64 v[4:5], off, off offset:32
	scratch_load_b32 v10, off, off offset:28
	ds_load_b128 v[6:9], v104
	v_cmp_eq_u32_e32 vcc_lo, s9, v105
	s_wait_loadcnt 0x0
	v_add_nc_u32_e32 v107, v10, v102
	s_delay_alu instid0(VALU_DEP_1) | instskip(NEXT) | instid1(VALU_DEP_1)
	v_dual_ashrrev_i32 v3, 31, v2 :: v_dual_add_nc_u32 v109, 1, v107
	v_mul_u64_e32 v[2:3], s[2:3], v[2:3]
	v_or_b32_e32 v106, 3, v107
	v_or_b32_e32 v108, 2, v107
	s_delay_alu instid0(VALU_DEP_3)
	v_lshl_add_u64 v[82:83], v[2:3], 2, v[4:5]
	global_load_b128 v[2:5], v[82:83], off
	s_wait_xcnt 0x0
	s_and_saveexec_b32 s1, vcc_lo
	s_cbranch_execnz .LBB39_70
; %bb.47:                               ;   in Loop: Header=BB39_45 Depth=1
	s_or_b32 exec_lo, exec_lo, s1
	global_load_b128 v[10:13], v[82:83], off offset:512
	s_wait_xcnt 0x0
	s_and_saveexec_b32 s1, vcc_lo
	s_cbranch_execnz .LBB39_71
.LBB39_48:                              ;   in Loop: Header=BB39_45 Depth=1
	s_or_b32 exec_lo, exec_lo, s1
	global_load_b128 v[14:17], v[82:83], off offset:1024
	s_wait_xcnt 0x0
	s_and_saveexec_b32 s1, vcc_lo
	s_cbranch_execnz .LBB39_72
.LBB39_49:                              ;   in Loop: Header=BB39_45 Depth=1
	s_or_b32 exec_lo, exec_lo, s1
	global_load_b128 v[18:21], v[82:83], off offset:1536
	s_wait_xcnt 0x0
	s_and_saveexec_b32 s1, vcc_lo
	s_cbranch_execnz .LBB39_73
.LBB39_50:                              ;   in Loop: Header=BB39_45 Depth=1
	s_or_b32 exec_lo, exec_lo, s1
	global_load_b128 v[22:25], v[82:83], off offset:2048
	s_wait_xcnt 0x0
	s_and_saveexec_b32 s1, vcc_lo
	s_cbranch_execnz .LBB39_74
.LBB39_51:                              ;   in Loop: Header=BB39_45 Depth=1
	s_or_b32 exec_lo, exec_lo, s1
	global_load_b128 v[26:29], v[82:83], off offset:2560
	s_wait_xcnt 0x0
	s_and_saveexec_b32 s1, vcc_lo
	s_cbranch_execnz .LBB39_75
.LBB39_52:                              ;   in Loop: Header=BB39_45 Depth=1
	s_or_b32 exec_lo, exec_lo, s1
	global_load_b128 v[30:33], v[82:83], off offset:3072
	s_wait_xcnt 0x0
	s_and_saveexec_b32 s1, vcc_lo
	s_cbranch_execnz .LBB39_76
.LBB39_53:                              ;   in Loop: Header=BB39_45 Depth=1
	s_or_b32 exec_lo, exec_lo, s1
	global_load_b128 v[34:37], v[82:83], off offset:3584
	s_wait_xcnt 0x0
	s_and_saveexec_b32 s1, vcc_lo
	s_cbranch_execnz .LBB39_77
.LBB39_54:                              ;   in Loop: Header=BB39_45 Depth=1
	s_or_b32 exec_lo, exec_lo, s1
	global_load_b128 v[38:41], v[82:83], off offset:4096
	s_wait_xcnt 0x0
	s_and_saveexec_b32 s1, vcc_lo
	s_cbranch_execnz .LBB39_78
.LBB39_55:                              ;   in Loop: Header=BB39_45 Depth=1
	s_or_b32 exec_lo, exec_lo, s1
	global_load_b128 v[42:45], v[82:83], off offset:4608
	s_wait_xcnt 0x0
	s_and_saveexec_b32 s1, vcc_lo
	s_cbranch_execnz .LBB39_79
.LBB39_56:                              ;   in Loop: Header=BB39_45 Depth=1
	s_or_b32 exec_lo, exec_lo, s1
	global_load_b128 v[46:49], v[82:83], off offset:5120
	s_wait_xcnt 0x0
	s_and_saveexec_b32 s1, vcc_lo
	s_cbranch_execnz .LBB39_80
.LBB39_57:                              ;   in Loop: Header=BB39_45 Depth=1
	s_or_b32 exec_lo, exec_lo, s1
	global_load_b128 v[50:53], v[82:83], off offset:5632
	s_wait_xcnt 0x0
	s_and_saveexec_b32 s1, vcc_lo
	s_cbranch_execnz .LBB39_81
.LBB39_58:                              ;   in Loop: Header=BB39_45 Depth=1
	s_or_b32 exec_lo, exec_lo, s1
	global_load_b128 v[54:57], v[82:83], off offset:6144
	s_wait_xcnt 0x0
	s_and_saveexec_b32 s1, vcc_lo
	s_cbranch_execnz .LBB39_82
.LBB39_59:                              ;   in Loop: Header=BB39_45 Depth=1
	s_or_b32 exec_lo, exec_lo, s1
	global_load_b128 v[58:61], v[82:83], off offset:6656
	s_wait_xcnt 0x0
	s_and_saveexec_b32 s1, vcc_lo
	s_cbranch_execnz .LBB39_83
.LBB39_60:                              ;   in Loop: Header=BB39_45 Depth=1
	s_or_b32 exec_lo, exec_lo, s1
	global_load_b128 v[62:65], v[82:83], off offset:7168
	s_wait_xcnt 0x0
	s_and_saveexec_b32 s1, vcc_lo
	s_cbranch_execnz .LBB39_84
.LBB39_61:                              ;   in Loop: Header=BB39_45 Depth=1
	s_or_b32 exec_lo, exec_lo, s1
	global_load_b128 v[66:69], v[82:83], off offset:7680
	s_wait_xcnt 0x0
	s_and_saveexec_b32 s1, vcc_lo
	s_cbranch_execnz .LBB39_85
.LBB39_62:                              ;   in Loop: Header=BB39_45 Depth=1
	s_or_b32 exec_lo, exec_lo, s1
	global_load_b128 v[70:73], v[82:83], off offset:8192
	s_wait_xcnt 0x0
	s_and_saveexec_b32 s1, vcc_lo
	s_cbranch_execnz .LBB39_86
.LBB39_63:                              ;   in Loop: Header=BB39_45 Depth=1
	s_or_b32 exec_lo, exec_lo, s1
	global_load_b128 v[74:77], v[82:83], off offset:8704
	s_wait_xcnt 0x0
	s_and_saveexec_b32 s1, vcc_lo
	s_cbranch_execnz .LBB39_87
.LBB39_64:                              ;   in Loop: Header=BB39_45 Depth=1
	s_or_b32 exec_lo, exec_lo, s1
	global_load_b128 v[78:81], v[82:83], off offset:9216
	s_wait_xcnt 0x0
	s_and_saveexec_b32 s1, vcc_lo
	s_cbranch_execnz .LBB39_88
.LBB39_65:                              ;   in Loop: Header=BB39_45 Depth=1
	s_or_b32 exec_lo, exec_lo, s1
	global_load_b128 v[86:89], v[82:83], off offset:9728
	s_wait_xcnt 0x0
	s_and_saveexec_b32 s19, vcc_lo
	s_cbranch_execnz .LBB39_89
.LBB39_66:                              ;   in Loop: Header=BB39_45 Depth=1
	s_or_b32 exec_lo, exec_lo, s19
	global_load_b128 v[90:93], v[82:83], off offset:10240
	s_wait_xcnt 0x0
	s_and_saveexec_b32 s19, vcc_lo
	s_cbranch_execnz .LBB39_90
.LBB39_67:                              ;   in Loop: Header=BB39_45 Depth=1
	s_or_b32 exec_lo, exec_lo, s19
	global_load_b128 v[94:97], v[82:83], off offset:10752
	s_wait_xcnt 0x0
	s_and_saveexec_b32 s19, vcc_lo
	s_cbranch_execnz .LBB39_91
.LBB39_68:                              ;   in Loop: Header=BB39_45 Depth=1
	s_or_b32 exec_lo, exec_lo, s19
	global_load_b128 v[98:101], v[82:83], off offset:11264
	s_wait_xcnt 0x0
	s_and_saveexec_b32 s19, vcc_lo
	s_cbranch_execnz .LBB39_92
.LBB39_69:                              ;   in Loop: Header=BB39_45 Depth=1
	s_or_b32 exec_lo, exec_lo, s19
	global_load_b128 v[82:85], v[82:83], off offset:11776
	s_wait_xcnt 0x0
	s_and_saveexec_b32 s1, vcc_lo
	s_cbranch_execz .LBB39_43
	s_branch .LBB39_93
.LBB39_70:                              ;   in Loop: Header=BB39_45 Depth=1
	v_cmp_gt_i32_e64 s0, s16, v109
	s_wait_loadcnt 0x0
	s_delay_alu instid0(VALU_DEP_1) | instskip(SKIP_1) | instid1(VALU_DEP_1)
	v_cndmask_b32_e64 v3, 0, v3, s0
	v_cmp_gt_i32_e64 s0, s29, v107
	v_cndmask_b32_e64 v2, 0, v2, s0
	v_cmp_gt_i32_e64 s0, s16, v106
	s_delay_alu instid0(VALU_DEP_1) | instskip(SKIP_1) | instid1(VALU_DEP_1)
	v_cndmask_b32_e64 v5, 0, v5, s0
	v_cmp_gt_i32_e64 s0, s29, v108
	v_cndmask_b32_e64 v4, 0, v4, s0
	s_or_b32 exec_lo, exec_lo, s1
	global_load_b128 v[10:13], v[82:83], off offset:512
	s_wait_xcnt 0x0
	s_and_saveexec_b32 s1, vcc_lo
	s_cbranch_execz .LBB39_48
.LBB39_71:                              ;   in Loop: Header=BB39_45 Depth=1
	v_cmp_gt_i32_e64 s0, s16, v109
	s_wait_loadcnt 0x0
	s_delay_alu instid0(VALU_DEP_1) | instskip(SKIP_1) | instid1(VALU_DEP_1)
	v_cndmask_b32_e64 v11, 0, v11, s0
	v_cmp_gt_i32_e64 s0, s29, v107
	v_cndmask_b32_e64 v10, 0, v10, s0
	v_cmp_gt_i32_e64 s0, s16, v106
	s_delay_alu instid0(VALU_DEP_1) | instskip(SKIP_1) | instid1(VALU_DEP_1)
	v_cndmask_b32_e64 v13, 0, v13, s0
	v_cmp_gt_i32_e64 s0, s29, v108
	v_cndmask_b32_e64 v12, 0, v12, s0
	s_or_b32 exec_lo, exec_lo, s1
	global_load_b128 v[14:17], v[82:83], off offset:1024
	s_wait_xcnt 0x0
	s_and_saveexec_b32 s1, vcc_lo
	s_cbranch_execz .LBB39_49
.LBB39_72:                              ;   in Loop: Header=BB39_45 Depth=1
	v_cmp_gt_i32_e64 s0, s16, v109
	s_wait_loadcnt 0x0
	s_delay_alu instid0(VALU_DEP_1) | instskip(SKIP_1) | instid1(VALU_DEP_1)
	v_cndmask_b32_e64 v15, 0, v15, s0
	v_cmp_gt_i32_e64 s0, s29, v107
	v_cndmask_b32_e64 v14, 0, v14, s0
	v_cmp_gt_i32_e64 s0, s16, v106
	s_delay_alu instid0(VALU_DEP_1) | instskip(SKIP_1) | instid1(VALU_DEP_1)
	v_cndmask_b32_e64 v17, 0, v17, s0
	v_cmp_gt_i32_e64 s0, s29, v108
	v_cndmask_b32_e64 v16, 0, v16, s0
	s_or_b32 exec_lo, exec_lo, s1
	global_load_b128 v[18:21], v[82:83], off offset:1536
	s_wait_xcnt 0x0
	s_and_saveexec_b32 s1, vcc_lo
	s_cbranch_execz .LBB39_50
.LBB39_73:                              ;   in Loop: Header=BB39_45 Depth=1
	v_cmp_gt_i32_e64 s0, s16, v109
	s_wait_loadcnt 0x0
	s_delay_alu instid0(VALU_DEP_1) | instskip(SKIP_1) | instid1(VALU_DEP_1)
	v_cndmask_b32_e64 v19, 0, v19, s0
	v_cmp_gt_i32_e64 s0, s29, v107
	v_cndmask_b32_e64 v18, 0, v18, s0
	v_cmp_gt_i32_e64 s0, s16, v106
	s_delay_alu instid0(VALU_DEP_1) | instskip(SKIP_1) | instid1(VALU_DEP_1)
	v_cndmask_b32_e64 v21, 0, v21, s0
	v_cmp_gt_i32_e64 s0, s29, v108
	v_cndmask_b32_e64 v20, 0, v20, s0
	s_or_b32 exec_lo, exec_lo, s1
	global_load_b128 v[22:25], v[82:83], off offset:2048
	s_wait_xcnt 0x0
	s_and_saveexec_b32 s1, vcc_lo
	s_cbranch_execz .LBB39_51
.LBB39_74:                              ;   in Loop: Header=BB39_45 Depth=1
	v_cmp_gt_i32_e64 s0, s16, v109
	s_wait_loadcnt 0x0
	s_delay_alu instid0(VALU_DEP_1) | instskip(SKIP_1) | instid1(VALU_DEP_1)
	v_cndmask_b32_e64 v23, 0, v23, s0
	v_cmp_gt_i32_e64 s0, s29, v107
	v_cndmask_b32_e64 v22, 0, v22, s0
	v_cmp_gt_i32_e64 s0, s16, v106
	s_delay_alu instid0(VALU_DEP_1) | instskip(SKIP_1) | instid1(VALU_DEP_1)
	v_cndmask_b32_e64 v25, 0, v25, s0
	v_cmp_gt_i32_e64 s0, s29, v108
	v_cndmask_b32_e64 v24, 0, v24, s0
	s_or_b32 exec_lo, exec_lo, s1
	global_load_b128 v[26:29], v[82:83], off offset:2560
	s_wait_xcnt 0x0
	s_and_saveexec_b32 s1, vcc_lo
	s_cbranch_execz .LBB39_52
.LBB39_75:                              ;   in Loop: Header=BB39_45 Depth=1
	v_cmp_gt_i32_e64 s0, s16, v109
	s_wait_loadcnt 0x0
	s_delay_alu instid0(VALU_DEP_1) | instskip(SKIP_1) | instid1(VALU_DEP_1)
	v_cndmask_b32_e64 v27, 0, v27, s0
	v_cmp_gt_i32_e64 s0, s29, v107
	v_cndmask_b32_e64 v26, 0, v26, s0
	v_cmp_gt_i32_e64 s0, s16, v106
	s_delay_alu instid0(VALU_DEP_1) | instskip(SKIP_1) | instid1(VALU_DEP_1)
	v_cndmask_b32_e64 v29, 0, v29, s0
	v_cmp_gt_i32_e64 s0, s29, v108
	v_cndmask_b32_e64 v28, 0, v28, s0
	s_or_b32 exec_lo, exec_lo, s1
	global_load_b128 v[30:33], v[82:83], off offset:3072
	s_wait_xcnt 0x0
	s_and_saveexec_b32 s1, vcc_lo
	s_cbranch_execz .LBB39_53
.LBB39_76:                              ;   in Loop: Header=BB39_45 Depth=1
	v_cmp_gt_i32_e64 s0, s16, v109
	s_wait_loadcnt 0x0
	s_delay_alu instid0(VALU_DEP_1) | instskip(SKIP_1) | instid1(VALU_DEP_1)
	v_cndmask_b32_e64 v31, 0, v31, s0
	v_cmp_gt_i32_e64 s0, s29, v107
	v_cndmask_b32_e64 v30, 0, v30, s0
	v_cmp_gt_i32_e64 s0, s16, v106
	s_delay_alu instid0(VALU_DEP_1) | instskip(SKIP_1) | instid1(VALU_DEP_1)
	v_cndmask_b32_e64 v33, 0, v33, s0
	v_cmp_gt_i32_e64 s0, s29, v108
	v_cndmask_b32_e64 v32, 0, v32, s0
	s_or_b32 exec_lo, exec_lo, s1
	global_load_b128 v[34:37], v[82:83], off offset:3584
	s_wait_xcnt 0x0
	s_and_saveexec_b32 s1, vcc_lo
	s_cbranch_execz .LBB39_54
.LBB39_77:                              ;   in Loop: Header=BB39_45 Depth=1
	v_cmp_gt_i32_e64 s0, s16, v109
	s_wait_loadcnt 0x0
	s_delay_alu instid0(VALU_DEP_1) | instskip(SKIP_1) | instid1(VALU_DEP_1)
	v_cndmask_b32_e64 v35, 0, v35, s0
	v_cmp_gt_i32_e64 s0, s29, v107
	v_cndmask_b32_e64 v34, 0, v34, s0
	v_cmp_gt_i32_e64 s0, s16, v106
	s_delay_alu instid0(VALU_DEP_1) | instskip(SKIP_1) | instid1(VALU_DEP_1)
	v_cndmask_b32_e64 v37, 0, v37, s0
	v_cmp_gt_i32_e64 s0, s29, v108
	v_cndmask_b32_e64 v36, 0, v36, s0
	s_or_b32 exec_lo, exec_lo, s1
	global_load_b128 v[38:41], v[82:83], off offset:4096
	s_wait_xcnt 0x0
	s_and_saveexec_b32 s1, vcc_lo
	s_cbranch_execz .LBB39_55
.LBB39_78:                              ;   in Loop: Header=BB39_45 Depth=1
	v_cmp_gt_i32_e64 s0, s16, v109
	s_wait_loadcnt 0x0
	s_delay_alu instid0(VALU_DEP_1) | instskip(SKIP_1) | instid1(VALU_DEP_1)
	v_cndmask_b32_e64 v39, 0, v39, s0
	v_cmp_gt_i32_e64 s0, s29, v107
	v_cndmask_b32_e64 v38, 0, v38, s0
	v_cmp_gt_i32_e64 s0, s16, v106
	s_delay_alu instid0(VALU_DEP_1) | instskip(SKIP_1) | instid1(VALU_DEP_1)
	v_cndmask_b32_e64 v41, 0, v41, s0
	v_cmp_gt_i32_e64 s0, s29, v108
	v_cndmask_b32_e64 v40, 0, v40, s0
	s_or_b32 exec_lo, exec_lo, s1
	global_load_b128 v[42:45], v[82:83], off offset:4608
	s_wait_xcnt 0x0
	s_and_saveexec_b32 s1, vcc_lo
	s_cbranch_execz .LBB39_56
.LBB39_79:                              ;   in Loop: Header=BB39_45 Depth=1
	v_cmp_gt_i32_e64 s0, s16, v109
	s_wait_loadcnt 0x0
	s_delay_alu instid0(VALU_DEP_1) | instskip(SKIP_1) | instid1(VALU_DEP_1)
	v_cndmask_b32_e64 v43, 0, v43, s0
	v_cmp_gt_i32_e64 s0, s29, v107
	v_cndmask_b32_e64 v42, 0, v42, s0
	v_cmp_gt_i32_e64 s0, s16, v106
	s_delay_alu instid0(VALU_DEP_1) | instskip(SKIP_1) | instid1(VALU_DEP_1)
	v_cndmask_b32_e64 v45, 0, v45, s0
	v_cmp_gt_i32_e64 s0, s29, v108
	v_cndmask_b32_e64 v44, 0, v44, s0
	s_or_b32 exec_lo, exec_lo, s1
	global_load_b128 v[46:49], v[82:83], off offset:5120
	s_wait_xcnt 0x0
	s_and_saveexec_b32 s1, vcc_lo
	s_cbranch_execz .LBB39_57
.LBB39_80:                              ;   in Loop: Header=BB39_45 Depth=1
	v_cmp_gt_i32_e64 s0, s16, v109
	s_wait_loadcnt 0x0
	s_delay_alu instid0(VALU_DEP_1) | instskip(SKIP_1) | instid1(VALU_DEP_1)
	v_cndmask_b32_e64 v47, 0, v47, s0
	v_cmp_gt_i32_e64 s0, s29, v107
	v_cndmask_b32_e64 v46, 0, v46, s0
	v_cmp_gt_i32_e64 s0, s16, v106
	s_delay_alu instid0(VALU_DEP_1) | instskip(SKIP_1) | instid1(VALU_DEP_1)
	v_cndmask_b32_e64 v49, 0, v49, s0
	v_cmp_gt_i32_e64 s0, s29, v108
	v_cndmask_b32_e64 v48, 0, v48, s0
	s_or_b32 exec_lo, exec_lo, s1
	global_load_b128 v[50:53], v[82:83], off offset:5632
	s_wait_xcnt 0x0
	s_and_saveexec_b32 s1, vcc_lo
	s_cbranch_execz .LBB39_58
.LBB39_81:                              ;   in Loop: Header=BB39_45 Depth=1
	v_cmp_gt_i32_e64 s0, s16, v109
	s_wait_loadcnt 0x0
	s_delay_alu instid0(VALU_DEP_1) | instskip(SKIP_1) | instid1(VALU_DEP_1)
	v_cndmask_b32_e64 v51, 0, v51, s0
	v_cmp_gt_i32_e64 s0, s29, v107
	v_cndmask_b32_e64 v50, 0, v50, s0
	v_cmp_gt_i32_e64 s0, s16, v106
	s_delay_alu instid0(VALU_DEP_1) | instskip(SKIP_1) | instid1(VALU_DEP_1)
	v_cndmask_b32_e64 v53, 0, v53, s0
	v_cmp_gt_i32_e64 s0, s29, v108
	v_cndmask_b32_e64 v52, 0, v52, s0
	s_or_b32 exec_lo, exec_lo, s1
	global_load_b128 v[54:57], v[82:83], off offset:6144
	s_wait_xcnt 0x0
	s_and_saveexec_b32 s1, vcc_lo
	s_cbranch_execz .LBB39_59
.LBB39_82:                              ;   in Loop: Header=BB39_45 Depth=1
	v_cmp_gt_i32_e64 s0, s16, v109
	s_wait_loadcnt 0x0
	s_delay_alu instid0(VALU_DEP_1) | instskip(SKIP_1) | instid1(VALU_DEP_1)
	v_cndmask_b32_e64 v55, 0, v55, s0
	v_cmp_gt_i32_e64 s0, s29, v107
	v_cndmask_b32_e64 v54, 0, v54, s0
	v_cmp_gt_i32_e64 s0, s16, v106
	s_delay_alu instid0(VALU_DEP_1) | instskip(SKIP_1) | instid1(VALU_DEP_1)
	v_cndmask_b32_e64 v57, 0, v57, s0
	v_cmp_gt_i32_e64 s0, s29, v108
	v_cndmask_b32_e64 v56, 0, v56, s0
	s_or_b32 exec_lo, exec_lo, s1
	global_load_b128 v[58:61], v[82:83], off offset:6656
	s_wait_xcnt 0x0
	s_and_saveexec_b32 s1, vcc_lo
	s_cbranch_execz .LBB39_60
.LBB39_83:                              ;   in Loop: Header=BB39_45 Depth=1
	v_cmp_gt_i32_e64 s0, s16, v109
	s_wait_loadcnt 0x0
	s_delay_alu instid0(VALU_DEP_1) | instskip(SKIP_1) | instid1(VALU_DEP_1)
	v_cndmask_b32_e64 v59, 0, v59, s0
	v_cmp_gt_i32_e64 s0, s29, v107
	v_cndmask_b32_e64 v58, 0, v58, s0
	v_cmp_gt_i32_e64 s0, s16, v106
	s_delay_alu instid0(VALU_DEP_1) | instskip(SKIP_1) | instid1(VALU_DEP_1)
	v_cndmask_b32_e64 v61, 0, v61, s0
	v_cmp_gt_i32_e64 s0, s29, v108
	v_cndmask_b32_e64 v60, 0, v60, s0
	s_or_b32 exec_lo, exec_lo, s1
	global_load_b128 v[62:65], v[82:83], off offset:7168
	s_wait_xcnt 0x0
	s_and_saveexec_b32 s1, vcc_lo
	s_cbranch_execz .LBB39_61
.LBB39_84:                              ;   in Loop: Header=BB39_45 Depth=1
	v_cmp_gt_i32_e64 s0, s16, v109
	s_wait_loadcnt 0x0
	s_delay_alu instid0(VALU_DEP_1) | instskip(SKIP_1) | instid1(VALU_DEP_1)
	v_cndmask_b32_e64 v63, 0, v63, s0
	v_cmp_gt_i32_e64 s0, s29, v107
	v_cndmask_b32_e64 v62, 0, v62, s0
	v_cmp_gt_i32_e64 s0, s16, v106
	s_delay_alu instid0(VALU_DEP_1) | instskip(SKIP_1) | instid1(VALU_DEP_1)
	v_cndmask_b32_e64 v65, 0, v65, s0
	v_cmp_gt_i32_e64 s0, s29, v108
	v_cndmask_b32_e64 v64, 0, v64, s0
	s_or_b32 exec_lo, exec_lo, s1
	global_load_b128 v[66:69], v[82:83], off offset:7680
	s_wait_xcnt 0x0
	s_and_saveexec_b32 s1, vcc_lo
	s_cbranch_execz .LBB39_62
.LBB39_85:                              ;   in Loop: Header=BB39_45 Depth=1
	v_cmp_gt_i32_e64 s0, s16, v109
	s_wait_loadcnt 0x0
	s_delay_alu instid0(VALU_DEP_1) | instskip(SKIP_1) | instid1(VALU_DEP_1)
	v_cndmask_b32_e64 v67, 0, v67, s0
	v_cmp_gt_i32_e64 s0, s29, v107
	v_cndmask_b32_e64 v66, 0, v66, s0
	v_cmp_gt_i32_e64 s0, s16, v106
	s_delay_alu instid0(VALU_DEP_1) | instskip(SKIP_1) | instid1(VALU_DEP_1)
	v_cndmask_b32_e64 v69, 0, v69, s0
	v_cmp_gt_i32_e64 s0, s29, v108
	v_cndmask_b32_e64 v68, 0, v68, s0
	s_or_b32 exec_lo, exec_lo, s1
	global_load_b128 v[70:73], v[82:83], off offset:8192
	s_wait_xcnt 0x0
	s_and_saveexec_b32 s1, vcc_lo
	s_cbranch_execz .LBB39_63
.LBB39_86:                              ;   in Loop: Header=BB39_45 Depth=1
	v_cmp_gt_i32_e64 s0, s16, v109
	s_wait_loadcnt 0x0
	s_delay_alu instid0(VALU_DEP_1) | instskip(SKIP_1) | instid1(VALU_DEP_1)
	v_cndmask_b32_e64 v71, 0, v71, s0
	v_cmp_gt_i32_e64 s0, s29, v107
	v_cndmask_b32_e64 v70, 0, v70, s0
	v_cmp_gt_i32_e64 s0, s16, v106
	s_delay_alu instid0(VALU_DEP_1) | instskip(SKIP_1) | instid1(VALU_DEP_1)
	v_cndmask_b32_e64 v73, 0, v73, s0
	v_cmp_gt_i32_e64 s0, s29, v108
	v_cndmask_b32_e64 v72, 0, v72, s0
	s_or_b32 exec_lo, exec_lo, s1
	global_load_b128 v[74:77], v[82:83], off offset:8704
	s_wait_xcnt 0x0
	s_and_saveexec_b32 s1, vcc_lo
	s_cbranch_execz .LBB39_64
.LBB39_87:                              ;   in Loop: Header=BB39_45 Depth=1
	v_cmp_gt_i32_e64 s0, s16, v109
	s_wait_loadcnt 0x0
	s_delay_alu instid0(VALU_DEP_1) | instskip(SKIP_1) | instid1(VALU_DEP_1)
	v_cndmask_b32_e64 v75, 0, v75, s0
	v_cmp_gt_i32_e64 s0, s29, v107
	v_cndmask_b32_e64 v74, 0, v74, s0
	v_cmp_gt_i32_e64 s0, s16, v106
	s_delay_alu instid0(VALU_DEP_1) | instskip(SKIP_1) | instid1(VALU_DEP_1)
	v_cndmask_b32_e64 v77, 0, v77, s0
	v_cmp_gt_i32_e64 s0, s29, v108
	v_cndmask_b32_e64 v76, 0, v76, s0
	s_or_b32 exec_lo, exec_lo, s1
	global_load_b128 v[78:81], v[82:83], off offset:9216
	s_wait_xcnt 0x0
	s_and_saveexec_b32 s1, vcc_lo
	s_cbranch_execz .LBB39_65
.LBB39_88:                              ;   in Loop: Header=BB39_45 Depth=1
	v_cmp_gt_i32_e64 s0, s16, v109
	s_wait_loadcnt 0x0
	s_delay_alu instid0(VALU_DEP_1) | instskip(SKIP_1) | instid1(VALU_DEP_1)
	v_cndmask_b32_e64 v79, 0, v79, s0
	v_cmp_gt_i32_e64 s0, s29, v107
	v_cndmask_b32_e64 v78, 0, v78, s0
	v_cmp_gt_i32_e64 s0, s16, v106
	s_delay_alu instid0(VALU_DEP_1) | instskip(SKIP_1) | instid1(VALU_DEP_1)
	v_cndmask_b32_e64 v81, 0, v81, s0
	v_cmp_gt_i32_e64 s0, s29, v108
	v_cndmask_b32_e64 v80, 0, v80, s0
	s_or_b32 exec_lo, exec_lo, s1
	global_load_b128 v[86:89], v[82:83], off offset:9728
	s_wait_xcnt 0x0
	s_and_saveexec_b32 s19, vcc_lo
	s_cbranch_execz .LBB39_66
.LBB39_89:                              ;   in Loop: Header=BB39_45 Depth=1
	v_cmp_gt_i32_e64 s0, s29, v107
	v_cmp_gt_i32_e64 s1, s16, v109
	s_wait_loadcnt 0x0
	s_delay_alu instid0(VALU_DEP_1) | instskip(SKIP_2) | instid1(VALU_DEP_1)
	v_dual_cndmask_b32 v86, 0, v86, s0 :: v_dual_cndmask_b32 v87, 0, v87, s1
	v_cmp_gt_i32_e64 s0, s29, v108
	v_cmp_gt_i32_e64 s1, s16, v106
	v_dual_cndmask_b32 v88, 0, v88, s0 :: v_dual_cndmask_b32 v89, 0, v89, s1
	s_or_b32 exec_lo, exec_lo, s19
	global_load_b128 v[90:93], v[82:83], off offset:10240
	s_wait_xcnt 0x0
	s_and_saveexec_b32 s19, vcc_lo
	s_cbranch_execz .LBB39_67
.LBB39_90:                              ;   in Loop: Header=BB39_45 Depth=1
	v_cmp_gt_i32_e64 s0, s29, v107
	v_cmp_gt_i32_e64 s1, s16, v109
	s_wait_loadcnt 0x0
	s_delay_alu instid0(VALU_DEP_1) | instskip(SKIP_2) | instid1(VALU_DEP_1)
	v_dual_cndmask_b32 v90, 0, v90, s0 :: v_dual_cndmask_b32 v91, 0, v91, s1
	v_cmp_gt_i32_e64 s0, s29, v108
	v_cmp_gt_i32_e64 s1, s16, v106
	v_dual_cndmask_b32 v92, 0, v92, s0 :: v_dual_cndmask_b32 v93, 0, v93, s1
	s_or_b32 exec_lo, exec_lo, s19
	global_load_b128 v[94:97], v[82:83], off offset:10752
	s_wait_xcnt 0x0
	s_and_saveexec_b32 s19, vcc_lo
	s_cbranch_execz .LBB39_68
.LBB39_91:                              ;   in Loop: Header=BB39_45 Depth=1
	v_cmp_gt_i32_e64 s0, s29, v107
	v_cmp_gt_i32_e64 s1, s16, v109
	s_wait_loadcnt 0x0
	s_delay_alu instid0(VALU_DEP_1) | instskip(SKIP_2) | instid1(VALU_DEP_1)
	v_dual_cndmask_b32 v94, 0, v94, s0 :: v_dual_cndmask_b32 v95, 0, v95, s1
	v_cmp_gt_i32_e64 s0, s29, v108
	v_cmp_gt_i32_e64 s1, s16, v106
	v_dual_cndmask_b32 v96, 0, v96, s0 :: v_dual_cndmask_b32 v97, 0, v97, s1
	s_or_b32 exec_lo, exec_lo, s19
	global_load_b128 v[98:101], v[82:83], off offset:11264
	s_wait_xcnt 0x0
	s_and_saveexec_b32 s19, vcc_lo
	s_cbranch_execz .LBB39_69
.LBB39_92:                              ;   in Loop: Header=BB39_45 Depth=1
	v_cmp_gt_i32_e64 s0, s29, v107
	v_cmp_gt_i32_e64 s1, s16, v109
	s_wait_loadcnt 0x0
	s_delay_alu instid0(VALU_DEP_1) | instskip(SKIP_2) | instid1(VALU_DEP_1)
	v_dual_cndmask_b32 v98, 0, v98, s0 :: v_dual_cndmask_b32 v99, 0, v99, s1
	v_cmp_gt_i32_e64 s0, s29, v108
	v_cmp_gt_i32_e64 s1, s16, v106
	v_dual_cndmask_b32 v100, 0, v100, s0 :: v_dual_cndmask_b32 v101, 0, v101, s1
	s_or_b32 exec_lo, exec_lo, s19
	global_load_b128 v[82:85], v[82:83], off offset:11776
	s_wait_xcnt 0x0
	s_and_saveexec_b32 s1, vcc_lo
	s_cbranch_execz .LBB39_43
.LBB39_93:                              ;   in Loop: Header=BB39_45 Depth=1
	v_cmp_gt_i32_e32 vcc_lo, s29, v107
	v_cmp_gt_i32_e64 s0, s16, v109
	s_wait_loadcnt 0x0
	s_delay_alu instid0(VALU_DEP_1) | instskip(SKIP_2) | instid1(VALU_DEP_1)
	v_dual_cndmask_b32 v82, 0, v82, vcc_lo :: v_dual_cndmask_b32 v83, 0, v83, s0
	v_cmp_gt_i32_e32 vcc_lo, s29, v108
	v_cmp_gt_i32_e64 s0, s16, v106
	v_dual_cndmask_b32 v84, 0, v84, vcc_lo :: v_dual_cndmask_b32 v85, 0, v85, s0
	s_branch .LBB39_43
.LBB39_94:
	s_or_b32 exec_lo, exec_lo, s17
	s_clause 0x5
	scratch_load_b32 v58, off, off offset:40
	scratch_load_b32 v105, off, off offset:44
	;; [unrolled: 1-line block ×6, first 2 shown]
.LBB39_95:
	s_wait_xcnt 0x0
	s_or_b32 exec_lo, exec_lo, s24
	s_clause 0x2
	scratch_load_b64 v[42:43], off, off offset:16 th:TH_LOAD_LU
	scratch_load_b64 v[40:41], off, off offset:8 th:TH_LOAD_LU
	scratch_load_b64 v[44:45], off, off th:TH_LOAD_LU
	s_wait_loadcnt 0x4
	ds_bpermute_b32 v6, v29, v122
	ds_bpermute_b32 v7, v29, v123
	ds_bpermute_b32 v2, v29, v126
	ds_bpermute_b32 v3, v29, v127
	ds_bpermute_b32 v12, v29, v114
	ds_bpermute_b32 v13, v29, v115
	ds_bpermute_b32 v4, v29, v124
	ds_bpermute_b32 v5, v29, v125
	ds_bpermute_b32 v10, v29, v116
	ds_bpermute_b32 v11, v29, v117
	ds_bpermute_b32 v0, v29, v120
	ds_bpermute_b32 v1, v29, v121
	ds_bpermute_b32 v8, v29, v118
	ds_bpermute_b32 v9, v29, v119
	ds_bpermute_b32 v14, v29, v112
	ds_bpermute_b32 v15, v29, v113
	ds_bpermute_b32 v16, v29, v110
	ds_bpermute_b32 v17, v29, v111
	s_mov_b32 s0, exec_lo
	s_wait_dscnt 0x10
	v_pk_add_f32 v[6:7], v[122:123], v[6:7]
	s_wait_dscnt 0xe
	v_pk_add_f32 v[2:3], v[126:127], v[2:3]
	;; [unrolled: 2-line block ×3, first 2 shown]
	ds_bpermute_b32 v22, v48, v6
	ds_bpermute_b32 v23, v48, v7
	s_wait_dscnt 0xc
	v_pk_add_f32 v[4:5], v[124:125], v[4:5]
	ds_bpermute_b32 v18, v48, v2
	ds_bpermute_b32 v19, v48, v3
	s_wait_dscnt 0xc
	v_pk_add_f32 v[10:11], v[116:117], v[10:11]
	s_wait_dscnt 0xa
	v_pk_add_f32 v[0:1], v[120:121], v[0:1]
	ds_bpermute_b32 v20, v48, v4
	ds_bpermute_b32 v21, v48, v5
	s_wait_dscnt 0xa
	v_pk_add_f32 v[8:9], v[118:119], v[8:9]
	;; [unrolled: 6-line block ×3, first 2 shown]
	ds_bpermute_b32 v32, v48, v8
	ds_bpermute_b32 v33, v48, v9
	;; [unrolled: 1-line block ×4, first 2 shown]
	s_wait_dscnt 0xa
	v_pk_add_f32 v[6:7], v[6:7], v[22:23]
	ds_bpermute_b32 v22, v48, v12
	ds_bpermute_b32 v23, v48, v13
	s_wait_dscnt 0xa
	v_pk_add_f32 v[2:3], v[2:3], v[18:19]
	ds_bpermute_b32 v18, v48, v10
	ds_bpermute_b32 v19, v48, v11
	ds_bpermute_b32 v36, v59, v6
	s_wait_dscnt 0xb
	v_pk_add_f32 v[4:5], v[4:5], v[20:21]
	ds_bpermute_b32 v20, v59, v2
	;; [unrolled: 5-line block ×3, first 2 shown]
	ds_bpermute_b32 v31, v48, v17
	s_wait_dscnt 0xc
	v_pk_add_f32 v[32:33], v[8:9], v[32:33]
	ds_bpermute_b32 v34, v59, v4
	s_wait_dscnt 0xb
	v_pk_add_f32 v[38:39], v[14:15], v[38:39]
	ds_bpermute_b32 v35, v59, v5
	ds_bpermute_b32 v49, v59, v33
	s_wait_dscnt 0xb
	v_pk_add_f32 v[12:13], v[12:13], v[22:23]
	s_wait_dscnt 0x9
	v_pk_add_f32 v[46:47], v[10:11], v[18:19]
	ds_bpermute_b32 v52, v59, v12
	ds_bpermute_b32 v53, v59, v13
	s_wait_dscnt 0x8
	v_pk_add_f32 v[18:19], v[2:3], v[20:21]
	ds_bpermute_b32 v50, v59, v46
	ds_bpermute_b32 v51, v59, v47
	s_wait_dscnt 0x9
	v_pk_add_f32 v[10:11], v[6:7], v[36:37]
	s_wait_dscnt 0x7
	v_pk_add_f32 v[16:17], v[16:17], v[30:31]
	ds_bpermute_b32 v30, v59, v38
	ds_bpermute_b32 v31, v59, v39
	s_wait_dscnt 0x7
	v_pk_add_f32 v[14:15], v[4:5], v[34:35]
	s_wait_dscnt 0x4
	v_pk_add_f32 v[2:3], v[12:13], v[52:53]
	;; [unrolled: 2-line block ×3, first 2 shown]
	s_wait_loadcnt 0x2
	ds_bpermute_b32 v24, v29, v42
	s_wait_loadcnt 0x1
	ds_bpermute_b32 v26, v29, v40
	ds_bpermute_b32 v27, v29, v41
	;; [unrolled: 1-line block ×3, first 2 shown]
	s_wait_loadcnt 0x0
	ds_bpermute_b32 v28, v29, v44
	ds_bpermute_b32 v29, v29, v45
	s_wait_dscnt 0x3
	v_pk_add_f32 v[26:27], v[40:41], v[26:27]
	s_wait_dscnt 0x2
	v_pk_add_f32 v[24:25], v[42:43], v[24:25]
	;; [unrolled: 2-line block ×3, first 2 shown]
	ds_bpermute_b32 v44, v59, v0
	ds_bpermute_b32 v42, v48, v26
	;; [unrolled: 1-line block ×9, first 2 shown]
	s_wait_dscnt 0x6
	v_pk_add_f32 v[26:27], v[26:27], v[42:43]
	ds_bpermute_b32 v42, v59, v16
	s_wait_dscnt 0x5
	v_pk_add_f32 v[40:41], v[24:25], v[40:41]
	ds_bpermute_b32 v43, v59, v17
	;; [unrolled: 3-line block ×3, first 2 shown]
	ds_bpermute_b32 v57, v59, v27
	ds_bpermute_b32 v54, v59, v40
	;; [unrolled: 1-line block ×5, first 2 shown]
	s_wait_dscnt 0x9
	v_pk_add_f32 v[8:9], v[0:1], v[44:45]
	s_wait_dscnt 0x8
	v_pk_add_f32 v[6:7], v[32:33], v[48:49]
	v_pk_add_f32 v[0:1], v[38:39], v[30:31]
	v_and_b32_e32 v28, 0x3c7, v58
	s_wait_dscnt 0x6
	v_pk_add_f32 v[20:21], v[16:17], v[42:43]
	s_wait_dscnt 0x4
	v_pk_add_f32 v[12:13], v[26:27], v[56:57]
	scratch_load_b32 v26, off, off offset:24 th:TH_LOAD_LU ; 4-byte Folded Reload
	s_wait_dscnt 0x2
	v_pk_add_f32 v[16:17], v[40:41], v[54:55]
	s_wait_storecnt 0x0
	s_wait_loadcnt_dscnt 0x0
	s_barrier_signal -1
	s_barrier_wait -1
	v_lshrrev_b32_e32 v26, 3, v26
	v_cmpx_ne_u32_e32 64, v28
	s_xor_b32 s0, exec_lo, s0
	s_delay_alu instid0(SALU_CYCLE_1)
	s_or_saveexec_b32 s0, s0
	v_pk_add_f32 v[22:23], v[22:23], v[24:25]
	v_lshl_add_u32 v25, v26, 2, 0x1a0
	v_mul_u32_u24_e32 v24, 0x180, v105
	s_xor_b32 exec_lo, exec_lo, s0
	s_cbranch_execz .LBB39_97
; %bb.96:
	s_delay_alu instid0(VALU_DEP_1) | instskip(NEXT) | instid1(VALU_DEP_1)
	v_add_nc_u32_e32 v27, v25, v24
	v_add_nc_u32_e32 v28, 0xfffffd00, v27
	;; [unrolled: 1-line block ×9, first 2 shown]
	ds_store_b32 v28, v18
	ds_store_b32 v29, v19
	;; [unrolled: 1-line block ×8, first 2 shown]
	v_add_nc_u32_e32 v28, 0xfffffd80, v27
	v_add_nc_u32_e32 v29, 0xfffffd90, v27
	;; [unrolled: 1-line block ×8, first 2 shown]
	ds_store_b32 v28, v6
	ds_store_b32 v29, v7
	;; [unrolled: 1-line block ×8, first 2 shown]
	v_add_nc_u32_e32 v28, 0xfffffe00, v27
	v_add_nc_u32_e32 v29, 0xfffffe10, v27
	;; [unrolled: 1-line block ×8, first 2 shown]
	ds_store_b32 v28, v20
	ds_store_b32 v29, v21
	;; [unrolled: 1-line block ×8, first 2 shown]
.LBB39_97:
	s_or_b32 exec_lo, exec_lo, s0
	v_lshlrev_b32_e32 v26, 2, v26
	s_mov_b32 s1, exec_lo
	v_cmp_eq_u32_e32 vcc_lo, 0, v60
	s_wait_dscnt 0x0
	s_barrier_signal -1
	v_add3_u32 v24, 0x1a0, v24, v26
	s_barrier_wait -1
	v_cmpx_gt_u32_e32 64, v58
	s_cbranch_execz .LBB39_124
; %bb.98:
	s_and_saveexec_b32 s0, vcc_lo
	s_cbranch_execnz .LBB39_156
; %bb.99:
	s_or_b32 exec_lo, exec_lo, s0
	s_and_saveexec_b32 s0, vcc_lo
	s_cbranch_execnz .LBB39_157
.LBB39_100:
	s_or_b32 exec_lo, exec_lo, s0
	s_and_saveexec_b32 s0, vcc_lo
	s_cbranch_execnz .LBB39_158
.LBB39_101:
	s_or_b32 exec_lo, exec_lo, s0
	s_and_saveexec_b32 s0, vcc_lo
	s_cbranch_execnz .LBB39_159
.LBB39_102:
	s_or_b32 exec_lo, exec_lo, s0
	s_and_saveexec_b32 s0, vcc_lo
	s_cbranch_execnz .LBB39_160
.LBB39_103:
	s_or_b32 exec_lo, exec_lo, s0
	s_and_saveexec_b32 s0, vcc_lo
	s_cbranch_execnz .LBB39_161
.LBB39_104:
	s_or_b32 exec_lo, exec_lo, s0
	s_and_saveexec_b32 s0, vcc_lo
	s_cbranch_execnz .LBB39_162
.LBB39_105:
	s_or_b32 exec_lo, exec_lo, s0
	s_and_saveexec_b32 s0, vcc_lo
	s_cbranch_execnz .LBB39_163
.LBB39_106:
	s_or_b32 exec_lo, exec_lo, s0
	s_and_saveexec_b32 s0, vcc_lo
	s_cbranch_execnz .LBB39_164
.LBB39_107:
	s_or_b32 exec_lo, exec_lo, s0
	s_and_saveexec_b32 s0, vcc_lo
	s_cbranch_execnz .LBB39_165
.LBB39_108:
	s_or_b32 exec_lo, exec_lo, s0
	s_and_saveexec_b32 s0, vcc_lo
	s_cbranch_execnz .LBB39_166
.LBB39_109:
	s_or_b32 exec_lo, exec_lo, s0
	s_and_saveexec_b32 s0, vcc_lo
	s_cbranch_execnz .LBB39_167
.LBB39_110:
	s_or_b32 exec_lo, exec_lo, s0
	s_and_saveexec_b32 s0, vcc_lo
	s_cbranch_execnz .LBB39_168
.LBB39_111:
	s_or_b32 exec_lo, exec_lo, s0
	s_and_saveexec_b32 s0, vcc_lo
	s_cbranch_execnz .LBB39_169
.LBB39_112:
	s_or_b32 exec_lo, exec_lo, s0
	s_and_saveexec_b32 s0, vcc_lo
	s_cbranch_execnz .LBB39_170
.LBB39_113:
	s_or_b32 exec_lo, exec_lo, s0
	s_and_saveexec_b32 s0, vcc_lo
	s_cbranch_execnz .LBB39_171
.LBB39_114:
	s_or_b32 exec_lo, exec_lo, s0
	s_and_saveexec_b32 s0, vcc_lo
	s_cbranch_execnz .LBB39_172
.LBB39_115:
	s_or_b32 exec_lo, exec_lo, s0
	s_and_saveexec_b32 s0, vcc_lo
	s_cbranch_execnz .LBB39_173
.LBB39_116:
	s_or_b32 exec_lo, exec_lo, s0
	s_and_saveexec_b32 s0, vcc_lo
	s_cbranch_execnz .LBB39_174
.LBB39_117:
	s_or_b32 exec_lo, exec_lo, s0
	s_and_saveexec_b32 s0, vcc_lo
	s_cbranch_execnz .LBB39_175
.LBB39_118:
	s_or_b32 exec_lo, exec_lo, s0
	s_and_saveexec_b32 s0, vcc_lo
	s_cbranch_execnz .LBB39_176
.LBB39_119:
	s_or_b32 exec_lo, exec_lo, s0
	s_and_saveexec_b32 s0, vcc_lo
	s_cbranch_execnz .LBB39_177
.LBB39_120:
	s_or_b32 exec_lo, exec_lo, s0
	s_and_saveexec_b32 s0, vcc_lo
	s_cbranch_execnz .LBB39_178
.LBB39_121:
	s_or_b32 exec_lo, exec_lo, s0
	s_and_saveexec_b32 s0, vcc_lo
	s_cbranch_execz .LBB39_123
.LBB39_122:
	ds_load_b32 v26, v24 offset:368
	s_wait_dscnt 0x0
	v_add_f32_e32 v23, v23, v26
.LBB39_123:
	s_or_b32 exec_lo, exec_lo, s0
.LBB39_124:
	s_delay_alu instid0(SALU_CYCLE_1) | instskip(SKIP_4) | instid1(VALU_DEP_1)
	s_or_b32 exec_lo, exec_lo, s1
	v_and_b32_e32 v26, 0x3e7, v58
	s_mov_b32 s1, exec_lo
	s_barrier_signal -1
	s_barrier_wait -1
	v_cmpx_eq_u32_e32 32, v26
	s_cbranch_execz .LBB39_126
; %bb.125:
	ds_store_2addr_b32 v25, v18, v19 offset1:4
	ds_store_2addr_b32 v25, v14, v15 offset0:8 offset1:12
	ds_store_2addr_b32 v25, v10, v11 offset0:16 offset1:20
	;; [unrolled: 1-line block ×11, first 2 shown]
.LBB39_126:
	s_or_b32 exec_lo, exec_lo, s1
	s_delay_alu instid0(SALU_CYCLE_1)
	s_mov_b32 s1, exec_lo
	s_wait_dscnt 0x0
	s_barrier_signal -1
	s_barrier_wait -1
	v_cmpx_gt_u32_e32 32, v58
	s_cbranch_execz .LBB39_153
; %bb.127:
	s_and_saveexec_b32 s0, vcc_lo
	s_cbranch_execnz .LBB39_179
; %bb.128:
	s_or_b32 exec_lo, exec_lo, s0
	s_and_saveexec_b32 s0, vcc_lo
	s_cbranch_execnz .LBB39_180
.LBB39_129:
	s_or_b32 exec_lo, exec_lo, s0
	s_and_saveexec_b32 s0, vcc_lo
	s_cbranch_execnz .LBB39_181
.LBB39_130:
	s_or_b32 exec_lo, exec_lo, s0
	s_and_saveexec_b32 s0, vcc_lo
	s_cbranch_execnz .LBB39_182
.LBB39_131:
	s_or_b32 exec_lo, exec_lo, s0
	s_and_saveexec_b32 s0, vcc_lo
	s_cbranch_execnz .LBB39_183
.LBB39_132:
	s_or_b32 exec_lo, exec_lo, s0
	s_and_saveexec_b32 s0, vcc_lo
	s_cbranch_execnz .LBB39_184
.LBB39_133:
	s_or_b32 exec_lo, exec_lo, s0
	s_and_saveexec_b32 s0, vcc_lo
	s_cbranch_execnz .LBB39_185
.LBB39_134:
	s_or_b32 exec_lo, exec_lo, s0
	s_and_saveexec_b32 s0, vcc_lo
	s_cbranch_execnz .LBB39_186
.LBB39_135:
	s_or_b32 exec_lo, exec_lo, s0
	s_and_saveexec_b32 s0, vcc_lo
	s_cbranch_execnz .LBB39_187
.LBB39_136:
	s_or_b32 exec_lo, exec_lo, s0
	s_and_saveexec_b32 s0, vcc_lo
	s_cbranch_execnz .LBB39_188
.LBB39_137:
	s_or_b32 exec_lo, exec_lo, s0
	s_and_saveexec_b32 s0, vcc_lo
	s_cbranch_execnz .LBB39_189
.LBB39_138:
	s_or_b32 exec_lo, exec_lo, s0
	s_and_saveexec_b32 s0, vcc_lo
	s_cbranch_execnz .LBB39_190
.LBB39_139:
	s_or_b32 exec_lo, exec_lo, s0
	s_and_saveexec_b32 s0, vcc_lo
	s_cbranch_execnz .LBB39_191
.LBB39_140:
	s_or_b32 exec_lo, exec_lo, s0
	s_and_saveexec_b32 s0, vcc_lo
	s_cbranch_execnz .LBB39_192
.LBB39_141:
	s_or_b32 exec_lo, exec_lo, s0
	s_and_saveexec_b32 s0, vcc_lo
	s_cbranch_execnz .LBB39_193
.LBB39_142:
	s_or_b32 exec_lo, exec_lo, s0
	s_and_saveexec_b32 s0, vcc_lo
	s_cbranch_execnz .LBB39_194
.LBB39_143:
	s_or_b32 exec_lo, exec_lo, s0
	s_and_saveexec_b32 s0, vcc_lo
	s_cbranch_execnz .LBB39_195
.LBB39_144:
	s_or_b32 exec_lo, exec_lo, s0
	s_and_saveexec_b32 s0, vcc_lo
	s_cbranch_execnz .LBB39_196
.LBB39_145:
	s_or_b32 exec_lo, exec_lo, s0
	s_and_saveexec_b32 s0, vcc_lo
	s_cbranch_execnz .LBB39_197
.LBB39_146:
	s_or_b32 exec_lo, exec_lo, s0
	s_and_saveexec_b32 s0, vcc_lo
	s_cbranch_execnz .LBB39_198
.LBB39_147:
	s_or_b32 exec_lo, exec_lo, s0
	s_and_saveexec_b32 s0, vcc_lo
	s_cbranch_execnz .LBB39_199
.LBB39_148:
	s_or_b32 exec_lo, exec_lo, s0
	s_and_saveexec_b32 s0, vcc_lo
	s_cbranch_execnz .LBB39_200
.LBB39_149:
	s_or_b32 exec_lo, exec_lo, s0
	s_and_saveexec_b32 s0, vcc_lo
	s_cbranch_execnz .LBB39_201
.LBB39_150:
	s_or_b32 exec_lo, exec_lo, s0
	s_and_saveexec_b32 s0, vcc_lo
	s_cbranch_execz .LBB39_152
.LBB39_151:
	ds_load_b32 v24, v24 offset:368
	s_wait_dscnt 0x0
	v_add_f32_e32 v23, v23, v24
.LBB39_152:
	s_or_b32 exec_lo, exec_lo, s0
.LBB39_153:
	s_delay_alu instid0(SALU_CYCLE_1)
	s_or_b32 exec_lo, exec_lo, s1
	s_mov_b32 s1, 0
	s_barrier_signal -1
	s_barrier_wait -1
	s_mov_b32 s0, exec_lo
	v_cmpx_eq_u32_e32 0, v26
	s_cbranch_execz .LBB39_155
; %bb.154:
	s_mul_i32 s0, s28, s7
	s_mul_i32 s2, s7, s12
	;; [unrolled: 1-line block ×3, first 2 shown]
	s_lshr_b32 s6, ttmp7, 16
	s_mul_i32 s4, s0, 0x60
	s_bfe_u32 s0, ttmp6, 0x40014
	s_ashr_i32 s5, s4, 31
	s_add_co_i32 s0, s0, 1
	s_ashr_i32 s3, s2, 31
	s_mul_i32 s0, s6, s0
	s_bfe_u32 s7, ttmp6, 0x40008
	s_lshl_b64 s[4:5], s[4:5], 2
	s_lshl_b64 s[2:3], s[2:3], 2
	s_add_co_i32 s7, s7, s0
	s_cmp_eq_u32 s26, 0
	s_wait_kmcnt 0x0
	s_add_nc_u64 s[4:5], s[10:11], s[4:5]
	s_cselect_b32 s0, s6, s7
	v_lshrrev_b32_e32 v24, 1, v58
	s_add_nc_u64 s[2:3], s[4:5], s[2:3]
	s_mulk_i32 s0, 0x180
	s_delay_alu instid0(SALU_CYCLE_1)
	s_add_nc_u64 s[0:1], s[2:3], s[0:1]
	s_clause 0x17
	global_store_b32 v24, v18, s[0:1]
	global_store_b32 v24, v19, s[0:1] offset:16
	global_store_b32 v24, v14, s[0:1] offset:32
	;; [unrolled: 1-line block ×23, first 2 shown]
.LBB39_155:
	s_sendmsg sendmsg(MSG_DEALLOC_VGPRS)
	s_endpgm
.LBB39_156:
	ds_load_b32 v26, v24
	s_wait_dscnt 0x0
	v_add_f32_e32 v18, v18, v26
	s_or_b32 exec_lo, exec_lo, s0
	s_and_saveexec_b32 s0, vcc_lo
	s_cbranch_execz .LBB39_100
.LBB39_157:
	ds_load_b32 v26, v24 offset:16
	s_wait_dscnt 0x0
	v_add_f32_e32 v19, v19, v26
	s_or_b32 exec_lo, exec_lo, s0
	s_and_saveexec_b32 s0, vcc_lo
	s_cbranch_execz .LBB39_101
.LBB39_158:
	ds_load_b32 v26, v24 offset:32
	s_wait_dscnt 0x0
	v_add_f32_e32 v14, v14, v26
	s_or_b32 exec_lo, exec_lo, s0
	s_and_saveexec_b32 s0, vcc_lo
	s_cbranch_execz .LBB39_102
.LBB39_159:
	ds_load_b32 v26, v24 offset:48
	s_wait_dscnt 0x0
	v_add_f32_e32 v15, v15, v26
	s_or_b32 exec_lo, exec_lo, s0
	s_and_saveexec_b32 s0, vcc_lo
	s_cbranch_execz .LBB39_103
.LBB39_160:
	ds_load_b32 v26, v24 offset:64
	s_wait_dscnt 0x0
	v_add_f32_e32 v10, v10, v26
	s_or_b32 exec_lo, exec_lo, s0
	s_and_saveexec_b32 s0, vcc_lo
	s_cbranch_execz .LBB39_104
.LBB39_161:
	ds_load_b32 v26, v24 offset:80
	s_wait_dscnt 0x0
	v_add_f32_e32 v11, v11, v26
	s_or_b32 exec_lo, exec_lo, s0
	s_and_saveexec_b32 s0, vcc_lo
	s_cbranch_execz .LBB39_105
.LBB39_162:
	ds_load_b32 v26, v24 offset:96
	s_wait_dscnt 0x0
	v_add_f32_e32 v8, v8, v26
	s_or_b32 exec_lo, exec_lo, s0
	s_and_saveexec_b32 s0, vcc_lo
	s_cbranch_execz .LBB39_106
.LBB39_163:
	ds_load_b32 v26, v24 offset:112
	s_wait_dscnt 0x0
	v_add_f32_e32 v9, v9, v26
	s_or_b32 exec_lo, exec_lo, s0
	s_and_saveexec_b32 s0, vcc_lo
	s_cbranch_execz .LBB39_107
.LBB39_164:
	ds_load_b32 v26, v24 offset:128
	s_wait_dscnt 0x0
	v_add_f32_e32 v6, v6, v26
	s_or_b32 exec_lo, exec_lo, s0
	s_and_saveexec_b32 s0, vcc_lo
	s_cbranch_execz .LBB39_108
.LBB39_165:
	ds_load_b32 v26, v24 offset:144
	s_wait_dscnt 0x0
	v_add_f32_e32 v7, v7, v26
	s_or_b32 exec_lo, exec_lo, s0
	s_and_saveexec_b32 s0, vcc_lo
	s_cbranch_execz .LBB39_109
.LBB39_166:
	ds_load_b32 v26, v24 offset:160
	s_wait_dscnt 0x0
	v_add_f32_e32 v4, v4, v26
	s_or_b32 exec_lo, exec_lo, s0
	s_and_saveexec_b32 s0, vcc_lo
	s_cbranch_execz .LBB39_110
.LBB39_167:
	ds_load_b32 v26, v24 offset:176
	s_wait_dscnt 0x0
	v_add_f32_e32 v5, v5, v26
	s_or_b32 exec_lo, exec_lo, s0
	s_and_saveexec_b32 s0, vcc_lo
	s_cbranch_execz .LBB39_111
.LBB39_168:
	ds_load_b32 v26, v24 offset:192
	s_wait_dscnt 0x0
	v_add_f32_e32 v2, v2, v26
	s_or_b32 exec_lo, exec_lo, s0
	s_and_saveexec_b32 s0, vcc_lo
	s_cbranch_execz .LBB39_112
.LBB39_169:
	ds_load_b32 v26, v24 offset:208
	s_wait_dscnt 0x0
	v_add_f32_e32 v3, v3, v26
	s_or_b32 exec_lo, exec_lo, s0
	s_and_saveexec_b32 s0, vcc_lo
	s_cbranch_execz .LBB39_113
.LBB39_170:
	ds_load_b32 v26, v24 offset:224
	s_wait_dscnt 0x0
	v_add_f32_e32 v0, v0, v26
	s_or_b32 exec_lo, exec_lo, s0
	s_and_saveexec_b32 s0, vcc_lo
	s_cbranch_execz .LBB39_114
.LBB39_171:
	ds_load_b32 v26, v24 offset:240
	s_wait_dscnt 0x0
	v_add_f32_e32 v1, v1, v26
	s_or_b32 exec_lo, exec_lo, s0
	s_and_saveexec_b32 s0, vcc_lo
	s_cbranch_execz .LBB39_115
.LBB39_172:
	ds_load_b32 v26, v24 offset:256
	s_wait_dscnt 0x0
	v_add_f32_e32 v20, v20, v26
	s_or_b32 exec_lo, exec_lo, s0
	s_and_saveexec_b32 s0, vcc_lo
	s_cbranch_execz .LBB39_116
.LBB39_173:
	ds_load_b32 v26, v24 offset:272
	s_wait_dscnt 0x0
	v_add_f32_e32 v21, v21, v26
	s_or_b32 exec_lo, exec_lo, s0
	s_and_saveexec_b32 s0, vcc_lo
	s_cbranch_execz .LBB39_117
.LBB39_174:
	ds_load_b32 v26, v24 offset:288
	s_wait_dscnt 0x0
	v_add_f32_e32 v16, v16, v26
	s_or_b32 exec_lo, exec_lo, s0
	s_and_saveexec_b32 s0, vcc_lo
	s_cbranch_execz .LBB39_118
.LBB39_175:
	ds_load_b32 v26, v24 offset:304
	s_wait_dscnt 0x0
	v_add_f32_e32 v17, v17, v26
	s_or_b32 exec_lo, exec_lo, s0
	s_and_saveexec_b32 s0, vcc_lo
	s_cbranch_execz .LBB39_119
.LBB39_176:
	ds_load_b32 v26, v24 offset:320
	s_wait_dscnt 0x0
	v_add_f32_e32 v12, v12, v26
	s_or_b32 exec_lo, exec_lo, s0
	s_and_saveexec_b32 s0, vcc_lo
	s_cbranch_execz .LBB39_120
.LBB39_177:
	ds_load_b32 v26, v24 offset:336
	s_wait_dscnt 0x0
	v_add_f32_e32 v13, v13, v26
	s_or_b32 exec_lo, exec_lo, s0
	s_and_saveexec_b32 s0, vcc_lo
	s_cbranch_execz .LBB39_121
.LBB39_178:
	ds_load_b32 v26, v24 offset:352
	s_wait_dscnt 0x0
	v_add_f32_e32 v22, v22, v26
	s_or_b32 exec_lo, exec_lo, s0
	s_and_saveexec_b32 s0, vcc_lo
	s_cbranch_execnz .LBB39_122
	s_branch .LBB39_123
.LBB39_179:
	ds_load_b32 v25, v24
	s_wait_dscnt 0x0
	v_add_f32_e32 v18, v18, v25
	s_or_b32 exec_lo, exec_lo, s0
	s_and_saveexec_b32 s0, vcc_lo
	s_cbranch_execz .LBB39_129
.LBB39_180:
	ds_load_b32 v25, v24 offset:16
	s_wait_dscnt 0x0
	v_add_f32_e32 v19, v19, v25
	s_or_b32 exec_lo, exec_lo, s0
	s_and_saveexec_b32 s0, vcc_lo
	s_cbranch_execz .LBB39_130
.LBB39_181:
	ds_load_b32 v25, v24 offset:32
	s_wait_dscnt 0x0
	v_add_f32_e32 v14, v14, v25
	s_or_b32 exec_lo, exec_lo, s0
	s_and_saveexec_b32 s0, vcc_lo
	s_cbranch_execz .LBB39_131
.LBB39_182:
	ds_load_b32 v25, v24 offset:48
	s_wait_dscnt 0x0
	v_add_f32_e32 v15, v15, v25
	s_or_b32 exec_lo, exec_lo, s0
	s_and_saveexec_b32 s0, vcc_lo
	s_cbranch_execz .LBB39_132
.LBB39_183:
	ds_load_b32 v25, v24 offset:64
	s_wait_dscnt 0x0
	v_add_f32_e32 v10, v10, v25
	s_or_b32 exec_lo, exec_lo, s0
	s_and_saveexec_b32 s0, vcc_lo
	s_cbranch_execz .LBB39_133
.LBB39_184:
	ds_load_b32 v25, v24 offset:80
	s_wait_dscnt 0x0
	v_add_f32_e32 v11, v11, v25
	s_or_b32 exec_lo, exec_lo, s0
	s_and_saveexec_b32 s0, vcc_lo
	s_cbranch_execz .LBB39_134
.LBB39_185:
	ds_load_b32 v25, v24 offset:96
	s_wait_dscnt 0x0
	v_add_f32_e32 v8, v8, v25
	s_or_b32 exec_lo, exec_lo, s0
	s_and_saveexec_b32 s0, vcc_lo
	s_cbranch_execz .LBB39_135
.LBB39_186:
	ds_load_b32 v25, v24 offset:112
	s_wait_dscnt 0x0
	v_add_f32_e32 v9, v9, v25
	s_or_b32 exec_lo, exec_lo, s0
	s_and_saveexec_b32 s0, vcc_lo
	s_cbranch_execz .LBB39_136
.LBB39_187:
	ds_load_b32 v25, v24 offset:128
	s_wait_dscnt 0x0
	v_add_f32_e32 v6, v6, v25
	s_or_b32 exec_lo, exec_lo, s0
	s_and_saveexec_b32 s0, vcc_lo
	s_cbranch_execz .LBB39_137
.LBB39_188:
	ds_load_b32 v25, v24 offset:144
	s_wait_dscnt 0x0
	v_add_f32_e32 v7, v7, v25
	s_or_b32 exec_lo, exec_lo, s0
	s_and_saveexec_b32 s0, vcc_lo
	s_cbranch_execz .LBB39_138
.LBB39_189:
	ds_load_b32 v25, v24 offset:160
	s_wait_dscnt 0x0
	v_add_f32_e32 v4, v4, v25
	s_or_b32 exec_lo, exec_lo, s0
	s_and_saveexec_b32 s0, vcc_lo
	s_cbranch_execz .LBB39_139
.LBB39_190:
	ds_load_b32 v25, v24 offset:176
	s_wait_dscnt 0x0
	v_add_f32_e32 v5, v5, v25
	s_or_b32 exec_lo, exec_lo, s0
	s_and_saveexec_b32 s0, vcc_lo
	s_cbranch_execz .LBB39_140
.LBB39_191:
	ds_load_b32 v25, v24 offset:192
	s_wait_dscnt 0x0
	v_add_f32_e32 v2, v2, v25
	s_or_b32 exec_lo, exec_lo, s0
	s_and_saveexec_b32 s0, vcc_lo
	s_cbranch_execz .LBB39_141
.LBB39_192:
	ds_load_b32 v25, v24 offset:208
	s_wait_dscnt 0x0
	v_add_f32_e32 v3, v3, v25
	s_or_b32 exec_lo, exec_lo, s0
	s_and_saveexec_b32 s0, vcc_lo
	s_cbranch_execz .LBB39_142
.LBB39_193:
	ds_load_b32 v25, v24 offset:224
	s_wait_dscnt 0x0
	v_add_f32_e32 v0, v0, v25
	s_or_b32 exec_lo, exec_lo, s0
	s_and_saveexec_b32 s0, vcc_lo
	s_cbranch_execz .LBB39_143
.LBB39_194:
	ds_load_b32 v25, v24 offset:240
	s_wait_dscnt 0x0
	v_add_f32_e32 v1, v1, v25
	s_or_b32 exec_lo, exec_lo, s0
	s_and_saveexec_b32 s0, vcc_lo
	s_cbranch_execz .LBB39_144
.LBB39_195:
	ds_load_b32 v25, v24 offset:256
	s_wait_dscnt 0x0
	v_add_f32_e32 v20, v20, v25
	s_or_b32 exec_lo, exec_lo, s0
	s_and_saveexec_b32 s0, vcc_lo
	s_cbranch_execz .LBB39_145
.LBB39_196:
	ds_load_b32 v25, v24 offset:272
	s_wait_dscnt 0x0
	v_add_f32_e32 v21, v21, v25
	s_or_b32 exec_lo, exec_lo, s0
	s_and_saveexec_b32 s0, vcc_lo
	s_cbranch_execz .LBB39_146
.LBB39_197:
	ds_load_b32 v25, v24 offset:288
	s_wait_dscnt 0x0
	v_add_f32_e32 v16, v16, v25
	s_or_b32 exec_lo, exec_lo, s0
	s_and_saveexec_b32 s0, vcc_lo
	s_cbranch_execz .LBB39_147
.LBB39_198:
	ds_load_b32 v25, v24 offset:304
	s_wait_dscnt 0x0
	v_add_f32_e32 v17, v17, v25
	s_or_b32 exec_lo, exec_lo, s0
	s_and_saveexec_b32 s0, vcc_lo
	s_cbranch_execz .LBB39_148
.LBB39_199:
	ds_load_b32 v25, v24 offset:320
	s_wait_dscnt 0x0
	v_add_f32_e32 v12, v12, v25
	s_or_b32 exec_lo, exec_lo, s0
	s_and_saveexec_b32 s0, vcc_lo
	s_cbranch_execz .LBB39_149
.LBB39_200:
	ds_load_b32 v25, v24 offset:336
	s_wait_dscnt 0x0
	v_add_f32_e32 v13, v13, v25
	s_or_b32 exec_lo, exec_lo, s0
	s_and_saveexec_b32 s0, vcc_lo
	s_cbranch_execz .LBB39_150
.LBB39_201:
	ds_load_b32 v25, v24 offset:352
	s_wait_dscnt 0x0
	v_add_f32_e32 v22, v22, v25
	s_or_b32 exec_lo, exec_lo, s0
	s_and_saveexec_b32 s0, vcc_lo
	s_cbranch_execnz .LBB39_151
	s_branch .LBB39_152
	.section	.rodata,"a",@progbits
	.p2align	6, 0x0
	.amdhsa_kernel _ZN4vllm25paged_attention_v1_kernelIffLi96ELi32ELi128ELNS_18Fp8KVCacheDataTypeE0ELb1EEEvPT_PKS2_PKT0_S8_ifPKiSA_iPKfiiiSC_SC_iiiii
		.amdhsa_group_segment_fixed_size 416
		.amdhsa_private_segment_fixed_size 68
		.amdhsa_kernarg_size 384
		.amdhsa_user_sgpr_count 2
		.amdhsa_user_sgpr_dispatch_ptr 0
		.amdhsa_user_sgpr_queue_ptr 0
		.amdhsa_user_sgpr_kernarg_segment_ptr 1
		.amdhsa_user_sgpr_dispatch_id 0
		.amdhsa_user_sgpr_kernarg_preload_length 0
		.amdhsa_user_sgpr_kernarg_preload_offset 0
		.amdhsa_user_sgpr_private_segment_size 0
		.amdhsa_wavefront_size32 1
		.amdhsa_uses_dynamic_stack 0
		.amdhsa_enable_private_segment 1
		.amdhsa_system_sgpr_workgroup_id_x 1
		.amdhsa_system_sgpr_workgroup_id_y 1
		.amdhsa_system_sgpr_workgroup_id_z 1
		.amdhsa_system_sgpr_workgroup_info 0
		.amdhsa_system_vgpr_workitem_id 0
		.amdhsa_next_free_vgpr 128
		.amdhsa_next_free_sgpr 38
		.amdhsa_named_barrier_count 0
		.amdhsa_reserve_vcc 1
		.amdhsa_float_round_mode_32 0
		.amdhsa_float_round_mode_16_64 0
		.amdhsa_float_denorm_mode_32 3
		.amdhsa_float_denorm_mode_16_64 3
		.amdhsa_fp16_overflow 0
		.amdhsa_memory_ordered 1
		.amdhsa_forward_progress 1
		.amdhsa_inst_pref_size 103
		.amdhsa_round_robin_scheduling 0
		.amdhsa_exception_fp_ieee_invalid_op 0
		.amdhsa_exception_fp_denorm_src 0
		.amdhsa_exception_fp_ieee_div_zero 0
		.amdhsa_exception_fp_ieee_overflow 0
		.amdhsa_exception_fp_ieee_underflow 0
		.amdhsa_exception_fp_ieee_inexact 0
		.amdhsa_exception_int_div_zero 0
	.end_amdhsa_kernel
	.section	.text._ZN4vllm25paged_attention_v1_kernelIffLi96ELi32ELi128ELNS_18Fp8KVCacheDataTypeE0ELb1EEEvPT_PKS2_PKT0_S8_ifPKiSA_iPKfiiiSC_SC_iiiii,"axG",@progbits,_ZN4vllm25paged_attention_v1_kernelIffLi96ELi32ELi128ELNS_18Fp8KVCacheDataTypeE0ELb1EEEvPT_PKS2_PKT0_S8_ifPKiSA_iPKfiiiSC_SC_iiiii,comdat
.Lfunc_end39:
	.size	_ZN4vllm25paged_attention_v1_kernelIffLi96ELi32ELi128ELNS_18Fp8KVCacheDataTypeE0ELb1EEEvPT_PKS2_PKT0_S8_ifPKiSA_iPKfiiiSC_SC_iiiii, .Lfunc_end39-_ZN4vllm25paged_attention_v1_kernelIffLi96ELi32ELi128ELNS_18Fp8KVCacheDataTypeE0ELb1EEEvPT_PKS2_PKT0_S8_ifPKiSA_iPKfiiiSC_SC_iiiii
                                        ; -- End function
	.set _ZN4vllm25paged_attention_v1_kernelIffLi96ELi32ELi128ELNS_18Fp8KVCacheDataTypeE0ELb1EEEvPT_PKS2_PKT0_S8_ifPKiSA_iPKfiiiSC_SC_iiiii.num_vgpr, 128
	.set _ZN4vllm25paged_attention_v1_kernelIffLi96ELi32ELi128ELNS_18Fp8KVCacheDataTypeE0ELb1EEEvPT_PKS2_PKT0_S8_ifPKiSA_iPKfiiiSC_SC_iiiii.num_agpr, 0
	.set _ZN4vllm25paged_attention_v1_kernelIffLi96ELi32ELi128ELNS_18Fp8KVCacheDataTypeE0ELb1EEEvPT_PKS2_PKT0_S8_ifPKiSA_iPKfiiiSC_SC_iiiii.numbered_sgpr, 38
	.set _ZN4vllm25paged_attention_v1_kernelIffLi96ELi32ELi128ELNS_18Fp8KVCacheDataTypeE0ELb1EEEvPT_PKS2_PKT0_S8_ifPKiSA_iPKfiiiSC_SC_iiiii.num_named_barrier, 0
	.set _ZN4vllm25paged_attention_v1_kernelIffLi96ELi32ELi128ELNS_18Fp8KVCacheDataTypeE0ELb1EEEvPT_PKS2_PKT0_S8_ifPKiSA_iPKfiiiSC_SC_iiiii.private_seg_size, 68
	.set _ZN4vllm25paged_attention_v1_kernelIffLi96ELi32ELi128ELNS_18Fp8KVCacheDataTypeE0ELb1EEEvPT_PKS2_PKT0_S8_ifPKiSA_iPKfiiiSC_SC_iiiii.uses_vcc, 1
	.set _ZN4vllm25paged_attention_v1_kernelIffLi96ELi32ELi128ELNS_18Fp8KVCacheDataTypeE0ELb1EEEvPT_PKS2_PKT0_S8_ifPKiSA_iPKfiiiSC_SC_iiiii.uses_flat_scratch, 1
	.set _ZN4vllm25paged_attention_v1_kernelIffLi96ELi32ELi128ELNS_18Fp8KVCacheDataTypeE0ELb1EEEvPT_PKS2_PKT0_S8_ifPKiSA_iPKfiiiSC_SC_iiiii.has_dyn_sized_stack, 0
	.set _ZN4vllm25paged_attention_v1_kernelIffLi96ELi32ELi128ELNS_18Fp8KVCacheDataTypeE0ELb1EEEvPT_PKS2_PKT0_S8_ifPKiSA_iPKfiiiSC_SC_iiiii.has_recursion, 0
	.set _ZN4vllm25paged_attention_v1_kernelIffLi96ELi32ELi128ELNS_18Fp8KVCacheDataTypeE0ELb1EEEvPT_PKS2_PKT0_S8_ifPKiSA_iPKfiiiSC_SC_iiiii.has_indirect_call, 0
	.section	.AMDGPU.csdata,"",@progbits
; Kernel info:
; codeLenInByte = 13084
; TotalNumSgprs: 40
; NumVgprs: 128
; ScratchSize: 68
; MemoryBound: 0
; FloatMode: 240
; IeeeMode: 1
; LDSByteSize: 416 bytes/workgroup (compile time only)
; SGPRBlocks: 0
; VGPRBlocks: 7
; NumSGPRsForWavesPerEU: 40
; NumVGPRsForWavesPerEU: 128
; NamedBarCnt: 0
; Occupancy: 8
; WaveLimiterHint : 1
; COMPUTE_PGM_RSRC2:SCRATCH_EN: 1
; COMPUTE_PGM_RSRC2:USER_SGPR: 2
; COMPUTE_PGM_RSRC2:TRAP_HANDLER: 0
; COMPUTE_PGM_RSRC2:TGID_X_EN: 1
; COMPUTE_PGM_RSRC2:TGID_Y_EN: 1
; COMPUTE_PGM_RSRC2:TGID_Z_EN: 1
; COMPUTE_PGM_RSRC2:TIDIG_COMP_CNT: 0
	.section	.text._ZN4vllm25paged_attention_v1_kernelIffLi112ELi32ELi128ELNS_18Fp8KVCacheDataTypeE0ELb1EEEvPT_PKS2_PKT0_S8_ifPKiSA_iPKfiiiSC_SC_iiiii,"axG",@progbits,_ZN4vllm25paged_attention_v1_kernelIffLi112ELi32ELi128ELNS_18Fp8KVCacheDataTypeE0ELb1EEEvPT_PKS2_PKT0_S8_ifPKiSA_iPKfiiiSC_SC_iiiii,comdat
	.protected	_ZN4vllm25paged_attention_v1_kernelIffLi112ELi32ELi128ELNS_18Fp8KVCacheDataTypeE0ELb1EEEvPT_PKS2_PKT0_S8_ifPKiSA_iPKfiiiSC_SC_iiiii ; -- Begin function _ZN4vllm25paged_attention_v1_kernelIffLi112ELi32ELi128ELNS_18Fp8KVCacheDataTypeE0ELb1EEEvPT_PKS2_PKT0_S8_ifPKiSA_iPKfiiiSC_SC_iiiii
	.globl	_ZN4vllm25paged_attention_v1_kernelIffLi112ELi32ELi128ELNS_18Fp8KVCacheDataTypeE0ELb1EEEvPT_PKS2_PKT0_S8_ifPKiSA_iPKfiiiSC_SC_iiiii
	.p2align	8
	.type	_ZN4vllm25paged_attention_v1_kernelIffLi112ELi32ELi128ELNS_18Fp8KVCacheDataTypeE0ELb1EEEvPT_PKS2_PKT0_S8_ifPKiSA_iPKfiiiSC_SC_iiiii,@function
_ZN4vllm25paged_attention_v1_kernelIffLi112ELi32ELi128ELNS_18Fp8KVCacheDataTypeE0ELb1EEEvPT_PKS2_PKT0_S8_ifPKiSA_iPKfiiiSC_SC_iiiii: ; @_ZN4vllm25paged_attention_v1_kernelIffLi112ELi32ELi128ELNS_18Fp8KVCacheDataTypeE0ELb1EEEvPT_PKS2_PKT0_S8_ifPKiSA_iPKfiiiSC_SC_iiiii
; %bb.0:
	s_load_b64 s[22:23], s[0:1], 0x20
	s_bfe_u32 s3, ttmp6, 0x4000c
	s_bfe_u32 s4, ttmp6, 0x40010
	s_and_b32 s6, ttmp7, 0xffff
	s_add_co_i32 s3, s3, 1
	s_add_co_i32 s4, s4, 1
	s_and_b32 s2, ttmp6, 15
	s_bfe_u32 s5, ttmp6, 0x40004
	s_mul_i32 s3, ttmp9, s3
	s_mul_i32 s4, s6, s4
	s_getreg_b32 s26, hwreg(HW_REG_IB_STS2, 6, 4)
	s_add_co_i32 s2, s2, s3
	s_add_co_i32 s3, s5, s4
	s_cmp_eq_u32 s26, 0
	v_mov_b32_e32 v64, v0
	s_cselect_b32 s28, s6, s3
	s_cselect_b32 s2, ttmp9, s2
	s_clause 0x1
	s_load_b32 s27, s[0:1], 0x80
	s_load_b64 s[4:5], s[0:1], 0x30
	s_mov_b32 s15, 0
	s_delay_alu instid0(SALU_CYCLE_1) | instskip(SKIP_2) | instid1(SALU_CYCLE_1)
	s_mov_b32 s34, s15
	s_wait_kmcnt 0x0
	s_abs_i32 s3, s22
	s_cvt_f32_u32 s6, s3
	s_sub_co_i32 s7, 0, s3
	s_delay_alu instid0(SALU_CYCLE_2) | instskip(SKIP_1) | instid1(TRANS32_DEP_1)
	v_rcp_iflag_f32_e32 v0, s6
	v_nop
	v_readfirstlane_b32 s6, v0
	s_abs_i32 s8, s27
	s_mul_f32 s6, s6, 0x4f7ffffe
	s_delay_alu instid0(SALU_CYCLE_3) | instskip(NEXT) | instid1(SALU_CYCLE_3)
	s_cvt_u32_f32 s6, s6
	s_mul_i32 s7, s7, s6
	s_delay_alu instid0(SALU_CYCLE_1) | instskip(NEXT) | instid1(SALU_CYCLE_1)
	s_mul_hi_u32 s7, s6, s7
	s_add_co_i32 s6, s6, s7
	s_xor_b32 s7, s27, s22
	s_mul_hi_u32 s6, s8, s6
	s_ashr_i32 s7, s7, 31
	s_mul_i32 s9, s6, s3
	s_delay_alu instid0(SALU_CYCLE_1)
	s_sub_co_i32 s8, s8, s9
	s_add_co_i32 s9, s6, 1
	s_sub_co_i32 s10, s8, s3
	s_cmp_ge_u32 s8, s3
	s_cselect_b32 s6, s9, s6
	s_cselect_b32 s8, s10, s8
	s_add_co_i32 s9, s6, 1
	s_cmp_ge_u32 s8, s3
	s_cselect_b32 s3, s9, s6
	s_load_b64 s[8:9], s[0:1], 0x40
	s_xor_b32 s3, s3, s7
	s_abs_i32 s14, s2
	s_sub_co_i32 s12, s3, s7
	s_mov_b32 s7, s15
	s_abs_i32 s11, s12
	s_delay_alu instid0(SALU_CYCLE_1) | instskip(SKIP_1) | instid1(SALU_CYCLE_2)
	s_cvt_f32_u32 s3, s11
	s_sub_co_i32 s6, 0, s11
	v_rcp_iflag_f32_e32 v0, s3
	v_nop
	s_delay_alu instid0(TRANS32_DEP_1) | instskip(SKIP_1) | instid1(SALU_CYCLE_3)
	v_readfirstlane_b32 s3, v0
	s_mul_f32 s3, s3, 0x4f7ffffe
	s_cvt_u32_f32 s3, s3
	s_delay_alu instid0(SALU_CYCLE_3) | instskip(NEXT) | instid1(SALU_CYCLE_1)
	s_mul_i32 s6, s6, s3
	s_mul_hi_u32 s6, s3, s6
	s_delay_alu instid0(SALU_CYCLE_1)
	s_add_co_i32 s6, s3, s6
	s_wait_kmcnt 0x0
	s_cmp_eq_u64 s[8:9], 0
	s_cbranch_scc1 .LBB40_2
; %bb.1:
	s_ashr_i32 s3, s2, 31
	s_delay_alu instid0(SALU_CYCLE_1) | instskip(NEXT) | instid1(SALU_CYCLE_1)
	s_lshl_b64 s[16:17], s[2:3], 2
	s_add_nc_u64 s[8:9], s[8:9], s[16:17]
	s_load_b32 s34, s[8:9], 0x0
.LBB40_2:
	s_load_b32 s29, s[4:5], s28 offset:0x0 scale_offset
	s_wait_xcnt 0x0
	s_load_b96 s[8:10], s[0:1], 0x48
	v_lshlrev_b32_e32 v22, 4, v64
	s_ashr_i32 s3, s2, 31
	s_ashr_i32 s18, s12, 31
	s_mul_u64 s[16:17], s[14:15], s[6:7]
	s_mul_i32 s12, s2, 0x70
	s_mov_b32 s4, exec_lo
	v_cmpx_gt_u32_e32 28, v64
	s_cbranch_execz .LBB40_4
; %bb.3:
	s_load_b64 s[6:7], s[0:1], 0x8
	s_wait_kmcnt 0x0
	s_mul_i32 s20, s8, s28
	s_ashr_i32 s13, s12, 31
	s_ashr_i32 s21, s20, 31
	s_delay_alu instid0(SALU_CYCLE_1) | instskip(NEXT) | instid1(SALU_CYCLE_1)
	s_lshl_b64 s[20:21], s[20:21], 2
	s_add_nc_u64 s[6:7], s[6:7], s[20:21]
	s_lshl_b64 s[20:21], s[12:13], 2
	s_delay_alu instid0(SALU_CYCLE_1)
	s_add_nc_u64 s[6:7], s[6:7], s[20:21]
	global_load_b128 v[0:3], v64, s[6:7] scale_offset
	s_wait_loadcnt 0x0
	ds_store_b128 v22, v[0:3]
.LBB40_4:
	s_or_b32 exec_lo, exec_lo, s4
	s_load_b128 s[4:7], s[0:1], 0x68
	s_wait_kmcnt 0x0
	s_mul_i32 s8, s17, s11
	s_xor_b32 s3, s3, s18
	s_sub_co_i32 s8, s14, s8
	s_add_co_i32 s13, s17, 1
	s_sub_co_i32 s14, s8, s11
	s_cmp_ge_u32 s8, s11
	s_mov_b32 s19, -1
	s_cselect_b32 s13, s13, s17
	s_cselect_b32 s8, s14, s8
	s_add_co_i32 s14, s13, 1
	s_cmp_ge_u32 s8, s11
	s_load_b32 s11, s[0:1], 0x78
	s_cselect_b32 s13, s14, s13
	s_add_co_i32 s18, s29, -1
	s_xor_b32 s13, s13, s3
	s_mov_b32 s17, 0
	s_sub_co_i32 s3, s13, s3
	s_abs_i32 s16, s18
	s_mov_b32 s15, s17
	s_abs_i32 s8, s7
	s_wait_dscnt 0x0
	s_cvt_f32_u32 s14, s8
	s_barrier_signal -1
	s_barrier_wait -1
	s_delay_alu instid0(SALU_CYCLE_1) | instskip(SKIP_1) | instid1(TRANS32_DEP_1)
	v_rcp_iflag_f32_e32 v0, s14
	v_nop
	v_readfirstlane_b32 s14, v0
	s_mul_f32 s13, s14, 0x4f7ffffe
	s_sub_co_i32 s14, 0, s8
	s_delay_alu instid0(SALU_CYCLE_2) | instskip(NEXT) | instid1(SALU_CYCLE_3)
	s_cvt_u32_f32 s13, s13
	s_mul_i32 s14, s14, s13
	s_delay_alu instid0(SALU_CYCLE_1) | instskip(NEXT) | instid1(SALU_CYCLE_1)
	s_mul_hi_u32 s14, s13, s14
	s_add_co_i32 s14, s13, s14
	s_wait_kmcnt 0x0
	s_cmp_lt_i32 s11, 0
                                        ; implicit-def: $sgpr13
	s_cbranch_scc0 .LBB40_6
; %bb.5:
	s_mul_i32 s13, s4, s22
	s_mov_b32 s19, s17
	s_add_co_i32 s13, s3, s13
	s_delay_alu instid0(SALU_CYCLE_1) | instskip(NEXT) | instid1(SALU_CYCLE_1)
	s_mul_i32 s13, s13, s11
	s_sub_co_i32 s13, 1, s13
.LBB40_6:
	s_ashr_i32 s18, s18, 31
	s_ashr_i32 s30, s7, 31
	s_and_not1_b32 vcc_lo, exec_lo, s19
	s_mul_u64 s[20:21], s[16:17], s[14:15]
	s_cbranch_vccnz .LBB40_8
; %bb.7:
	s_mul_i32 s4, s27, s4
	s_delay_alu instid0(SALU_CYCLE_1) | instskip(NEXT) | instid1(SALU_CYCLE_1)
	s_add_co_i32 s2, s4, s2
	s_mul_i32 s2, s2, s11
	s_delay_alu instid0(SALU_CYCLE_1)
	s_add_co_i32 s13, s2, 1
.LBB40_8:
	s_load_b32 s2, s[0:1], 0x38
	s_mul_i32 s7, s21, s8
	s_xor_b32 s4, s18, s30
	s_sub_co_i32 s20, s16, s7
	s_add_co_i32 s11, s21, 1
	s_clause 0x1
	s_load_b64 s[16:17], s[0:1], 0x28
	s_load_b32 s7, s[0:1], 0x88
	v_dual_lshrrev_b32 v114, 5, v64 :: v_dual_bitop2_b32 v0, 31, v64 bitop3:0x40
	v_dual_mov_b32 v124, 0xff7fffff :: v_dual_lshrrev_b32 v115, 3, v64
	s_delay_alu instid0(VALU_DEP_2)
	v_dual_lshlrev_b32 v118, 5, v114 :: v_dual_lshlrev_b32 v120, 2, v0
	scratch_store_b32 off, v0, off offset:120 ; 4-byte Folded Spill
	s_wait_kmcnt 0x0
	s_mul_i32 s18, s2, s28
	s_sub_co_i32 s2, s20, s8
	s_ashr_i32 s19, s18, 31
	s_cmp_ge_u32 s20, s8
	s_cselect_b32 s11, s11, s21
	s_cselect_b32 s2, s2, s20
	s_add_co_i32 s20, s11, 1
	s_cmp_ge_u32 s2, s8
	s_cselect_b32 s2, s20, s11
	s_add_co_i32 s11, s29, 31
	s_delay_alu instid0(SALU_CYCLE_1) | instskip(NEXT) | instid1(SALU_CYCLE_1)
	s_ashr_i32 s20, s11, 31
	s_lshr_b32 s20, s20, 27
	s_delay_alu instid0(SALU_CYCLE_1)
	s_add_co_i32 s11, s11, s20
	s_mul_i32 s20, s3, s10
	s_ashr_i32 s31, s11, 5
	s_xor_b32 s11, s2, s4
	v_cmp_gt_i32_e64 s2, s31, v114
	s_sub_co_i32 s33, s11, s4
	s_wait_xcnt 0x0
	s_mov_b32 s22, exec_lo
	s_delay_alu instid0(SALU_CYCLE_1)
	s_and_b32 s3, s22, s2
	scratch_store_b32 off, v64, off offset:136 ; 4-byte Folded Spill
	s_wait_xcnt 0x0
	s_mov_b32 exec_lo, s3
	s_cbranch_execz .LBB40_16
; %bb.9:
	scratch_load_b32 v2, off, off offset:120 ; 4-byte Folded Reload
	s_load_b64 s[24:25], s[0:1], 0x10
	s_ashr_i32 s21, s20, 31
	s_sub_co_i32 s35, s33, s5
	s_lshl_b64 s[36:37], s[20:21], 2
	s_ashr_i32 s11, s9, 31
	s_cmp_neq_f32 s34, 0
	v_mov_b32_e32 v127, v114
	s_mov_b32 s10, s9
	v_mov_b32_e32 v1, 0
	s_cselect_b32 vcc_lo, -1, 0
	s_abs_i32 s21, s6
	v_mov_b32_e32 v124, 0xff7fffff
	s_cvt_f32_u32 s3, s21
	s_sub_co_i32 s4, 0, s21
	v_mov_b32_e32 v126, v114
	s_wait_kmcnt 0x0
	s_add_nc_u64 s[36:37], s[24:25], s[36:37]
	s_mov_b32 s25, 0
	s_wait_loadcnt 0x0
	v_lshlrev_b32_e32 v0, 4, v2
	v_subrev_nc_u32_e32 v2, s29, v2
	s_delay_alu instid0(VALU_DEP_2)
	v_add_nc_u64_e32 v[4:5], s[36:37], v[0:1]
	scratch_store_b32 off, v22, off offset:40 ; 4-byte Folded Spill
	v_rcp_iflag_f32_e32 v0, s3
	s_lshl_b64 s[36:37], s[18:19], 2
	v_add_nc_u32_e32 v119, 1, v2
	s_add_nc_u64 s[36:37], s[16:17], s[36:37]
	v_lshl_or_b32 v2, v126, 7, v120
	scratch_store_b64 off, v[4:5], off      ; 8-byte Folded Spill
	s_wait_xcnt 0x0
	ds_load_b128 v[4:7], v1
	v_readfirstlane_b32 s3, v0
	v_and_b32_e32 v0, 0x7c, v115
	v_add_nc_u32_e32 v125, 0x1e0, v2
	s_mul_f32 s3, s3, 0x4f7ffffe
	s_delay_alu instid0(VALU_DEP_2) | instskip(SKIP_3) | instid1(SALU_CYCLE_3)
	v_add_nc_u64_e32 v[116:117], s[36:37], v[0:1]
	v_lshlrev_b32_e32 v0, 5, v114
	s_mov_b32 s36, s25
	s_cvt_u32_f32 s3, s3
	s_mul_i32 s4, s4, s3
	s_delay_alu instid0(SALU_CYCLE_1) | instskip(NEXT) | instid1(SALU_CYCLE_1)
	s_mul_hi_u32 s4, s3, s4
	s_add_co_i32 s24, s3, s4
	s_wait_dscnt 0x0
	scratch_store_b128 off, v[4:7], off offset:8 ; 16-byte Folded Spill
	s_wait_xcnt 0x0
	ds_load_b128 v[4:7], v1 offset:16
	s_wait_dscnt 0x0
	scratch_store_b128 off, v[4:7], off offset:24 ; 16-byte Folded Spill
	ds_load_b128 v[10:13], v1 offset:32
	ds_load_b128 v[14:17], v1 offset:48
	;; [unrolled: 1-line block ×26, first 2 shown]
	s_clause 0x1
	scratch_store_b32 off, v115, off offset:48
	scratch_store_b32 off, v120, off offset:56
	s_branch .LBB40_11
.LBB40_10:                              ;   in Loop: Header=BB40_11 Depth=1
	s_wait_xcnt 0x0
	s_or_b32 exec_lo, exec_lo, s4
	v_add_nc_u32_e32 v126, 4, v126
	v_add_nc_u64_e32 v[116:117], 16, v[116:117]
	v_add_nc_u32_e32 v0, 0x80, v0
	v_add_nc_u32_e32 v125, 0x200, v125
	s_delay_alu instid0(VALU_DEP_4) | instskip(SKIP_1) | instid1(SALU_CYCLE_1)
	v_cmp_le_i32_e64 s3, s31, v126
	s_or_b32 s36, s3, s36
	s_and_not1_b32 exec_lo, exec_lo, s36
	s_cbranch_execz .LBB40_15
.LBB40_11:                              ; =>This Inner Loop Header: Depth=1
	v_mul_u64_e32 v[2:3], s[14:15], v[0:1]
	s_delay_alu instid0(VALU_DEP_1) | instskip(SKIP_1) | instid1(VALU_DEP_1)
	v_mul_lo_u32 v2, v3, s8
	s_wait_xcnt 0x2
	v_dual_add_nc_u32 v4, 1, v3 :: v_dual_sub_nc_u32 v2, v0, v2
	s_delay_alu instid0(VALU_DEP_1) | instskip(SKIP_1) | instid1(VALU_DEP_1)
	v_subrev_nc_u32_e32 v5, s8, v2
	v_cmp_le_u32_e64 s3, s8, v2
	v_dual_cndmask_b32 v3, v3, v4, s3 :: v_dual_cndmask_b32 v2, v2, v5, s3
	s_delay_alu instid0(VALU_DEP_1) | instskip(NEXT) | instid1(VALU_DEP_2)
	v_add_nc_u32_e32 v4, 1, v3
	v_cmp_le_u32_e64 s3, s8, v2
	s_delay_alu instid0(VALU_DEP_1) | instskip(NEXT) | instid1(VALU_DEP_1)
	v_dual_cndmask_b32 v2, v3, v4, s3 :: v_dual_mov_b32 v3, v1
	v_xor_b32_e32 v2, s30, v2
	s_delay_alu instid0(VALU_DEP_1) | instskip(SKIP_1) | instid1(VALU_DEP_1)
	v_subrev_nc_u32_e32 v114, s30, v2
	s_wait_xcnt 0x1
	v_add_nc_u32_e32 v115, s13, v114
	v_cmp_ge_i32_e64 s4, s35, v114
	s_delay_alu instid0(VALU_DEP_2) | instskip(NEXT) | instid1(VALU_DEP_1)
	v_sub_nc_u32_e32 v2, 0, v115
	v_max_i32_e32 v2, v115, v2
	s_delay_alu instid0(VALU_DEP_1) | instskip(SKIP_1) | instid1(VALU_DEP_2)
	v_mul_u64_e32 v[4:5], s[24:25], v[2:3]
	v_ashrrev_i32_e32 v4, 31, v115
	v_mul_lo_u32 v3, v5, s21
	s_delay_alu instid0(VALU_DEP_1) | instskip(NEXT) | instid1(VALU_DEP_1)
	v_sub_nc_u32_e32 v2, v2, v3
	v_subrev_nc_u32_e32 v3, s21, v2
	v_cmp_le_u32_e64 s3, s21, v2
	s_delay_alu instid0(VALU_DEP_1) | instskip(NEXT) | instid1(VALU_DEP_1)
	v_cndmask_b32_e64 v2, v2, v3, s3
	v_subrev_nc_u32_e32 v3, s21, v2
	v_cmp_le_u32_e64 s3, s21, v2
	s_delay_alu instid0(VALU_DEP_1) | instskip(NEXT) | instid1(VALU_DEP_1)
	v_cndmask_b32_e64 v2, v2, v3, s3
	v_xor_b32_e32 v2, v2, v4
	s_delay_alu instid0(VALU_DEP_1) | instskip(NEXT) | instid1(VALU_DEP_1)
	v_sub_nc_u32_e32 v2, v2, v4
	v_cmp_ne_u32_e64 s3, 0, v2
	s_and_b32 s3, s3, s4
	s_wait_xcnt 0x0
	s_and_saveexec_b32 s4, s3
	s_delay_alu instid0(SALU_CYCLE_1)
	s_xor_b32 s3, exec_lo, s4
; %bb.12:                               ;   in Loop: Header=BB40_11 Depth=1
	v_mov_b32_e32 v2, 0xff7fffff
	ds_store_b32 v125, v2
; %bb.13:                               ;   in Loop: Header=BB40_11 Depth=1
	s_and_not1_saveexec_b32 s4, s3
	s_cbranch_execz .LBB40_10
; %bb.14:                               ;   in Loop: Header=BB40_11 Depth=1
	global_load_b32 v2, v[116:117], off
	scratch_load_b64 v[4:5], off, off       ; 8-byte Folded Reload
	s_wait_loadcnt 0x1
	v_ashrrev_i32_e32 v3, 31, v2
	s_delay_alu instid0(VALU_DEP_1) | instskip(SKIP_1) | instid1(VALU_DEP_1)
	v_mul_u64_e32 v[2:3], s[10:11], v[2:3]
	s_wait_loadcnt 0x0
	v_lshl_add_u64 v[120:121], v[2:3], 2, v[4:5]
	global_load_b128 v[2:5], v[120:121], off offset:512
	scratch_load_b128 v[6:9], off, off offset:24 ; 16-byte Folded Reload
	s_wait_loadcnt 0x0
	v_pk_mul_f32 v[114:115], v[6:7], v[2:3]
	v_pk_mul_f32 v[122:123], v[8:9], v[4:5]
	global_load_b128 v[2:5], v[120:121], off
	scratch_load_b128 v[6:9], off, off offset:8 ; 16-byte Folded Reload
	s_wait_loadcnt 0x0
	v_pk_fma_f32 v[114:115], v[6:7], v[2:3], v[114:115]
	v_pk_fma_f32 v[122:123], v[8:9], v[4:5], v[122:123]
	global_load_b128 v[2:5], v[120:121], off offset:1024
	s_wait_loadcnt_dscnt 0x19
	v_pk_fma_f32 v[114:115], v[10:11], v[2:3], v[114:115]
	v_pk_fma_f32 v[122:123], v[12:13], v[4:5], v[122:123]
	global_load_b128 v[2:5], v[120:121], off offset:1536
	s_wait_loadcnt_dscnt 0x18
	;; [unrolled: 4-line block ×26, first 2 shown]
	v_pk_fma_f32 v[2:3], v[110:111], v[2:3], v[114:115]
	v_pk_fma_f32 v[4:5], v[112:113], v[4:5], v[122:123]
	s_delay_alu instid0(VALU_DEP_2) | instskip(SKIP_3) | instid1(VALU_DEP_1)
	v_add_f32_e32 v2, v2, v3
	scratch_load_b32 v3, off, off offset:120 ; 4-byte Folded Reload
	s_wait_loadcnt 0x0
	v_dual_add_f32 v2, v4, v2 :: v_dual_add_nc_u32 v3, v3, v0
	v_cmp_gt_i32_e64 s3, s29, v3
	s_delay_alu instid0(VALU_DEP_2) | instskip(NEXT) | instid1(VALU_DEP_1)
	v_dual_add_f32 v2, v5, v2 :: v_dual_add_nc_u32 v3, v119, v0
	v_cvt_f32_i32_e32 v3, v3
	s_delay_alu instid0(VALU_DEP_1) | instskip(NEXT) | instid1(VALU_DEP_1)
	v_mul_f32_e32 v3, s34, v3
	v_cndmask_b32_e32 v3, 0, v3, vcc_lo
	s_delay_alu instid0(VALU_DEP_1) | instskip(NEXT) | instid1(VALU_DEP_1)
	v_dual_fmac_f32 v3, s23, v2 :: v_dual_max_num_f32 v2, v124, v124
	v_max_num_f32_e32 v2, v2, v3
	s_delay_alu instid0(VALU_DEP_1)
	v_dual_cndmask_b32 v124, v124, v2, s3 :: v_dual_cndmask_b32 v2, 0, v3, s3
	ds_store_b32 v125, v2
	s_branch .LBB40_10
.LBB40_15:
	s_or_b32 exec_lo, exec_lo, s36
	s_wait_dscnt 0xc
	s_clause 0x3
	scratch_load_b32 v64, off, off offset:136
	scratch_load_b32 v22, off, off offset:40
	;; [unrolled: 1-line block ×4, first 2 shown]
	v_mov_b32_e32 v114, v127
.LBB40_16:
	s_wait_xcnt 0x0
	s_or_b32 exec_lo, exec_lo, s22
	v_mbcnt_lo_u32_b32 v2, -1, 0
	s_clause 0x1
	s_load_b64 s[10:11], s[0:1], 0x0
	s_load_b64 s[22:23], s[0:1], 0x18
	s_delay_alu instid0(VALU_DEP_1) | instskip(SKIP_1) | instid1(VALU_DEP_2)
	v_dual_max_num_f32 v4, v124, v124 :: v_dual_bitop2_b32 v0, 16, v2 bitop3:0x14
	v_xor_b32_e32 v3, 8, v2
	v_cmp_gt_i32_e32 vcc_lo, 32, v0
	v_cndmask_b32_e32 v0, v2, v0, vcc_lo
	s_delay_alu instid0(VALU_DEP_3) | instskip(NEXT) | instid1(VALU_DEP_2)
	v_cmp_gt_i32_e32 vcc_lo, 32, v3
	v_dual_cndmask_b32 v3, v2, v3 :: v_dual_lshlrev_b32 v0, 2, v0
	ds_bpermute_b32 v1, v0, v124
	s_wait_dscnt 0x0
	v_dual_max_num_f32 v5, v1, v1 :: v_dual_lshlrev_b32 v1, 2, v3
	s_delay_alu instid0(VALU_DEP_1) | instskip(SKIP_4) | instid1(VALU_DEP_1)
	v_dual_max_num_f32 v3, v4, v5 :: v_dual_bitop2_b32 v5, 4, v2 bitop3:0x14
	ds_bpermute_b32 v4, v1, v3
	v_cmp_gt_i32_e32 vcc_lo, 32, v5
	s_wait_dscnt 0x0
	v_dual_cndmask_b32 v5, v2, v5 :: v_dual_max_num_f32 v4, v4, v4
	v_dual_lshlrev_b32 v37, 2, v5 :: v_dual_max_num_f32 v3, v3, v4
	ds_bpermute_b32 v4, v37, v3
	s_wait_dscnt 0x0
	v_dual_max_num_f32 v4, v4, v4 :: v_dual_bitop2_b32 v5, 2, v2 bitop3:0x14
	s_delay_alu instid0(VALU_DEP_1) | instskip(NEXT) | instid1(VALU_DEP_2)
	v_cmp_gt_i32_e32 vcc_lo, 32, v5
	v_dual_max_num_f32 v3, v3, v4 :: v_dual_cndmask_b32 v5, v2, v5, vcc_lo
	s_delay_alu instid0(VALU_DEP_1) | instskip(SKIP_3) | instid1(VALU_DEP_1)
	v_dual_lshlrev_b32 v54, 2, v5 :: v_dual_bitop2_b32 v5, 1, v2 bitop3:0x14
	ds_bpermute_b32 v4, v54, v3
	v_cmp_gt_i32_e32 vcc_lo, 32, v5
	v_cndmask_b32_e32 v2, v2, v5, vcc_lo
	v_lshlrev_b32_e32 v65, 2, v2
	scratch_load_b32 v2, off, off offset:120 ; 4-byte Folded Reload
	s_wait_dscnt 0x0
	v_max_num_f32_e32 v4, v4, v4
	s_delay_alu instid0(VALU_DEP_1)
	v_max_num_f32_e32 v3, v3, v4
	ds_bpermute_b32 v4, v65, v3
	s_wait_loadcnt 0x0
	v_cmp_eq_u32_e32 vcc_lo, 0, v2
	v_lshlrev_b32_e32 v2, 2, v114
	s_wait_xcnt 0x0
	s_and_saveexec_b32 s0, vcc_lo
	s_cbranch_execz .LBB40_18
; %bb.17:
	s_wait_dscnt 0x0
	v_dual_max_num_f32 v4, v4, v4 :: v_dual_max_num_f32 v3, v3, v3
	s_delay_alu instid0(VALU_DEP_1)
	v_max_num_f32_e32 v3, v3, v4
	ds_store_b32 v2, v3 offset:448
.LBB40_18:
	s_or_b32 exec_lo, exec_lo, s0
	scratch_load_b32 v3, off, off offset:120 ; 4-byte Folded Reload
	s_wait_storecnt 0x0
	s_wait_loadcnt_dscnt 0x0
	s_barrier_signal -1
	s_barrier_wait -1
	v_cmp_gt_u32_e64 s0, 4, v3
	v_mov_b32_e32 v3, 0xff7fffff
	s_and_saveexec_b32 s1, s0
; %bb.19:
	ds_load_b32 v3, v120 offset:448
; %bb.20:
	s_or_b32 exec_lo, exec_lo, s1
	s_wait_dscnt 0x0
	ds_bpermute_b32 v4, v54, v3
	v_max_num_f32_e32 v3, v3, v3
	s_lshl_b32 s1, s31, 5
	s_delay_alu instid0(SALU_CYCLE_1) | instskip(NEXT) | instid1(SALU_CYCLE_1)
	s_min_i32 s4, s1, s29
	v_cmp_gt_i32_e64 s1, s4, v64
	s_wait_dscnt 0x0
	v_max_num_f32_e32 v4, v4, v4
	s_delay_alu instid0(VALU_DEP_1) | instskip(SKIP_3) | instid1(VALU_DEP_1)
	v_max_num_f32_e32 v3, v3, v4
	ds_bpermute_b32 v4, v65, v3
	s_wait_dscnt 0x0
	v_max_num_f32_e32 v4, v4, v4
	v_dual_max_num_f32 v4, v3, v4 :: v_dual_mov_b32 v3, 0
	ds_bpermute_b32 v4, v3, v4
	s_and_saveexec_b32 s21, s1
	s_cbranch_execz .LBB40_24
; %bb.21:
	v_lshl_add_u32 v5, v64, 2, 0x1e0
	v_dual_mov_b32 v3, 0 :: v_dual_mov_b32 v6, v64
	s_mov_b32 s24, 0
.LBB40_22:                              ; =>This Inner Loop Header: Depth=1
	ds_load_b32 v7, v5
	v_add_nc_u32_e32 v6, 0x80, v6
	s_delay_alu instid0(VALU_DEP_1) | instskip(SKIP_3) | instid1(VALU_DEP_1)
	v_cmp_le_i32_e64 s3, s4, v6
	s_or_b32 s24, s3, s24
	s_wait_dscnt 0x0
	v_sub_f32_e32 v7, v7, v4
	v_mul_f32_e32 v7, 0x3fb8aa3b, v7
	s_delay_alu instid0(VALU_DEP_1)
	v_exp_f32_e32 v7, v7
	ds_store_b32 v5, v7
	v_nop
	v_add_f32_e32 v3, v3, v7
	v_add_nc_u32_e32 v5, 0x200, v5
	s_and_not1_b32 exec_lo, exec_lo, s24
	s_cbranch_execnz .LBB40_22
; %bb.23:
	s_or_b32 exec_lo, exec_lo, s24
.LBB40_24:
	s_delay_alu instid0(SALU_CYCLE_1)
	s_or_b32 exec_lo, exec_lo, s21
	ds_bpermute_b32 v0, v0, v3
	s_wait_dscnt 0x0
	v_add_f32_e32 v0, v3, v0
	ds_bpermute_b32 v1, v1, v0
	s_wait_dscnt 0x0
	v_add_f32_e32 v0, v0, v1
	ds_bpermute_b32 v1, v37, v0
	s_wait_dscnt 0x0
	v_add_f32_e32 v0, v0, v1
	ds_bpermute_b32 v1, v54, v0
	s_wait_dscnt 0x0
	v_add_f32_e32 v0, v0, v1
	ds_bpermute_b32 v1, v65, v0
	s_wait_dscnt 0x0
	v_add_f32_e32 v0, v0, v1
	s_and_saveexec_b32 s3, vcc_lo
; %bb.25:
	ds_store_b32 v2, v0 offset:464
; %bb.26:
	s_or_b32 exec_lo, exec_lo, s3
	s_wait_dscnt 0x0
	s_barrier_signal -1
	s_barrier_wait -1
	s_and_saveexec_b32 s3, s0
; %bb.27:
	ds_load_b32 v0, v120 offset:464
; %bb.28:
	s_or_b32 exec_lo, exec_lo, s3
	s_wait_dscnt 0x0
	ds_bpermute_b32 v1, v54, v0
	s_wait_dscnt 0x0
	v_dual_mov_b32 v53, 0 :: v_dual_add_f32 v0, v0, v1
	ds_bpermute_b32 v1, v65, v0
	s_wait_dscnt 0x0
	v_add_f32_e32 v0, v0, v1
	ds_bpermute_b32 v0, v53, v0
	s_and_saveexec_b32 s0, s1
	s_cbranch_execz .LBB40_41
; %bb.29:
	s_wait_dscnt 0x0
	v_add_f32_e32 v0, 0x358637bd, v0
	s_mov_b32 s3, -1
	s_mov_b32 s1, exec_lo
	s_delay_alu instid0(VALU_DEP_1) | instskip(NEXT) | instid1(VALU_DEP_1)
	v_div_scale_f32 v1, null, v0, v0, 1.0
	v_rcp_f32_e32 v3, v1
	v_nop
	s_delay_alu instid0(TRANS32_DEP_1) | instskip(NEXT) | instid1(VALU_DEP_1)
	v_fma_f32 v2, -v1, v3, 1.0
	v_fmac_f32_e32 v3, v2, v3
	v_div_scale_f32 v4, vcc_lo, 1.0, v0, 1.0
	s_delay_alu instid0(VALU_DEP_1) | instskip(NEXT) | instid1(VALU_DEP_1)
	v_mul_f32_e32 v5, v4, v3
	v_fma_f32 v2, -v1, v5, v4
	s_delay_alu instid0(VALU_DEP_1) | instskip(SKIP_1) | instid1(VALU_DEP_2)
	v_fmac_f32_e32 v5, v2, v3
	v_xad_u32 v2, v64, -1, s4
	v_fma_f32 v1, -v1, v5, v4
	s_delay_alu instid0(VALU_DEP_1) | instskip(NEXT) | instid1(VALU_DEP_1)
	v_div_fmas_f32 v1, v1, v3, v5
	v_div_fixup_f32 v0, v1, v0, 1.0
	v_mov_b32_e32 v1, v64
	v_cmpx_lt_u32_e32 0x7f, v2
	s_cbranch_execz .LBB40_38
; %bb.30:
	s_delay_alu instid0(VALU_DEP_3) | instskip(NEXT) | instid1(VALU_DEP_1)
	v_dual_mov_b32 v1, v0 :: v_dual_lshrrev_b32 v2, 7, v2
	v_dual_mov_b32 v6, 0 :: v_dual_add_nc_u32 v3, -1, v2
	s_delay_alu instid0(VALU_DEP_1) | instskip(SKIP_1) | instid1(VALU_DEP_2)
	v_lshrrev_b32_e32 v4, 1, v3
	v_cmp_lt_u32_e32 vcc_lo, 13, v3
	v_add_nc_u32_e32 v3, 1, v4
	s_and_saveexec_b32 s3, vcc_lo
	s_cbranch_execz .LBB40_34
; %bb.31:
	s_delay_alu instid0(VALU_DEP_1)
	v_and_b32_e32 v4, -8, v3
	v_lshl_add_u32 v5, v64, 2, 0x1e0
	s_mov_b32 s21, 0
	s_mov_b32 s24, 0
.LBB40_32:                              ; =>This Inner Loop Header: Depth=1
	ds_load_2addr_stride64_b32 v[6:7], v5 offset1:2
	ds_load_2addr_stride64_b32 v[8:9], v5 offset0:4 offset1:6
	ds_load_2addr_stride64_b32 v[10:11], v5 offset0:8 offset1:10
	;; [unrolled: 1-line block ×7, first 2 shown]
	s_add_co_i32 s24, s24, 16
	v_add_nc_u32_e32 v4, -8, v4
	s_wait_dscnt 0x7
	v_pk_mul_f32 v[6:7], v[0:1], v[6:7]
	s_wait_dscnt 0x6
	v_pk_mul_f32 v[8:9], v[0:1], v[8:9]
	;; [unrolled: 2-line block ×8, first 2 shown]
	ds_store_2addr_stride64_b32 v5, v6, v7 offset1:2
	ds_store_2addr_stride64_b32 v5, v8, v9 offset0:4 offset1:6
	ds_store_2addr_stride64_b32 v5, v10, v11 offset0:8 offset1:10
	;; [unrolled: 1-line block ×7, first 2 shown]
	v_mov_b32_e32 v6, s24
	v_cmp_eq_u32_e32 vcc_lo, 0, v4
	v_add_nc_u32_e32 v5, 0x2000, v5
	s_or_b32 s21, vcc_lo, s21
	s_delay_alu instid0(SALU_CYCLE_1)
	s_and_not1_b32 exec_lo, exec_lo, s21
	s_cbranch_execnz .LBB40_32
; %bb.33:
	s_or_b32 exec_lo, exec_lo, s21
.LBB40_34:
	s_delay_alu instid0(SALU_CYCLE_1) | instskip(NEXT) | instid1(VALU_DEP_1)
	s_or_b32 exec_lo, exec_lo, s3
	v_and_b32_e32 v3, 7, v3
	s_mov_b32 s21, 0
	s_mov_b32 s3, exec_lo
	s_delay_alu instid0(VALU_DEP_1)
	v_cmpx_ne_u32_e32 0, v3
	s_cbranch_execz .LBB40_37
; %bb.35:
	v_dual_lshlrev_b32 v4, 9, v6 :: v_dual_lshlrev_b32 v5, 2, v64
	s_delay_alu instid0(VALU_DEP_1)
	v_add3_u32 v4, v4, v5, 0x1e0
.LBB40_36:                              ; =>This Inner Loop Header: Depth=1
	ds_load_2addr_stride64_b32 v[6:7], v4 offset1:2
	v_add_nc_u32_e32 v3, -1, v3
	s_delay_alu instid0(VALU_DEP_1)
	v_cmp_eq_u32_e32 vcc_lo, 0, v3
	s_or_b32 s21, vcc_lo, s21
	s_wait_dscnt 0x0
	v_pk_mul_f32 v[6:7], v[0:1], v[6:7]
	ds_store_2addr_stride64_b32 v4, v6, v7 offset1:2
	v_add_nc_u32_e32 v4, 0x400, v4
	s_and_not1_b32 exec_lo, exec_lo, s21
	s_cbranch_execnz .LBB40_36
.LBB40_37:
	s_or_b32 exec_lo, exec_lo, s3
	v_add_nc_u32_e32 v1, 1, v2
	s_delay_alu instid0(VALU_DEP_1) | instskip(NEXT) | instid1(VALU_DEP_1)
	v_and_b32_e32 v2, 0x3fffffe, v1
	v_cmp_ne_u32_e32 vcc_lo, v1, v2
	v_lshl_add_u32 v1, v2, 7, v64
	s_or_not1_b32 s3, vcc_lo, exec_lo
.LBB40_38:
	s_or_b32 exec_lo, exec_lo, s1
	s_delay_alu instid0(SALU_CYCLE_1)
	s_and_b32 exec_lo, exec_lo, s3
	s_cbranch_execz .LBB40_41
; %bb.39:
	v_lshl_add_u32 v2, v1, 2, 0x1e0
	s_mov_b32 s1, 0
.LBB40_40:                              ; =>This Inner Loop Header: Depth=1
	ds_load_b32 v3, v2
	v_add_nc_u32_e32 v1, 0x80, v1
	s_delay_alu instid0(VALU_DEP_1)
	v_cmp_le_i32_e32 vcc_lo, s4, v1
	s_or_b32 s1, vcc_lo, s1
	s_wait_dscnt 0x0
	v_mul_f32_e32 v3, v0, v3
	ds_store_b32 v2, v3
	v_add_nc_u32_e32 v2, 0x200, v2
	s_and_not1_b32 exec_lo, exec_lo, s1
	s_cbranch_execnz .LBB40_40
.LBB40_41:
	s_or_b32 exec_lo, exec_lo, s0
	v_dual_mov_b32 v52, 0 :: v_dual_bitop2_b32 v66, 7, v64 bitop3:0x40
	v_dual_mov_b32 v49, 0 :: v_dual_mov_b32 v48, 0
	v_dual_mov_b32 v51, 0 :: v_dual_mov_b32 v50, 0
	;; [unrolled: 1-line block ×13, first 2 shown]
	s_wait_dscnt 0x0
	s_barrier_signal -1
	s_barrier_wait -1
	s_and_saveexec_b32 s24, s2
	s_cbranch_execz .LBB40_103
; %bb.42:
	s_abs_i32 s6, s6
	v_dual_mov_b32 v119, 0 :: v_dual_lshlrev_b32 v4, 4, v66
	s_cvt_f32_u32 s0, s6
	v_dual_lshlrev_b32 v3, 2, v64 :: v_dual_mov_b32 v5, v114
	s_ashr_i32 s21, s20, 31
	s_delay_alu instid0(SALU_CYCLE_1)
	v_rcp_iflag_f32_e32 v1, s0
	v_and_b32_e32 v0, 0x1f0, v22
	s_lshl_b64 s[0:1], s[18:19], 2
	s_lshl_b64 s[18:19], s[20:21], 2
	s_add_nc_u64 s[0:1], s[16:17], s[0:1]
	s_wait_kmcnt 0x0
	s_add_nc_u64 s[16:17], s[22:23], s[18:19]
	v_and_b32_e32 v3, 28, v3
	v_readfirstlane_b32 s4, v1
	v_mov_b32_e32 v1, v119
	s_clause 0x2
	scratch_store_b32 off, v37, off offset:152
	scratch_store_b32 off, v54, off offset:148
	;; [unrolled: 1-line block ×3, first 2 shown]
	v_and_b32_e32 v2, 0x7c, v115
	v_lshl_or_b32 v4, v5, 7, v4
	s_mul_f32 s4, s4, 0x4f7ffffe
	v_add_nc_u64_e32 v[0:1], s[16:17], v[0:1]
	s_clause 0x1
	scratch_store_b32 off, v3, off offset:124
	scratch_store_b32 off, v5, off offset:140
	s_wait_xcnt 0x1
	v_mov_b32_e32 v3, v119
	s_cvt_u32_f32 s4, s4
	s_sub_co_i32 s20, 0, s6
	v_mov_b32_e32 v126, v119
	s_clause 0x1
	scratch_store_b64 off, v[0:1], off offset:128
	scratch_store_b32 off, v66, off offset:156
	s_wait_xcnt 0x1
	v_add_nc_u32_e32 v0, 0x1e0, v4
	v_add_nc_u64_e32 v[120:121], s[0:1], v[2:3]
	s_mul_i32 s20, s20, s4
	v_dual_mov_b32 v1, v114 :: v_dual_mov_b32 v127, v119
	v_dual_mov_b32 v20, v119 :: v_dual_mov_b32 v21, v119
	v_mov_b32_e32 v2, v119
	s_sub_co_i32 s25, s33, s5
	s_mov_b32 s5, 0
	s_mul_hi_u32 s17, s4, s20
	s_ashr_i32 s3, s9, 31
	s_mov_b32 s2, s9
	s_add_co_i32 s9, s31, -1
	s_mov_b32 s16, s29
	s_add_co_i32 s4, s4, s17
	s_mov_b32 s17, s5
	s_clause 0xb
	scratch_store_b64 off, v[2:3], off offset:104
	scratch_store_b64 off, v[2:3], off offset:96
	scratch_store_b64 off, v[2:3], off offset:88
	scratch_store_b64 off, v[2:3], off offset:80
	scratch_store_b64 off, v[2:3], off offset:72
	scratch_store_b64 off, v[2:3], off offset:64
	scratch_store_b64 off, v[2:3], off offset:56
	scratch_store_b64 off, v[2:3], off offset:48
	scratch_store_b64 off, v[2:3], off offset:40
	scratch_store_b64 off, v[2:3], off offset:24
	scratch_store_b64 off, v[2:3], off offset:8
	scratch_store_b64 off, v[2:3], off
	s_branch .LBB40_45
.LBB40_43:                              ;   in Loop: Header=BB40_45 Depth=1
	s_or_b32 exec_lo, exec_lo, s1
	s_wait_loadcnt_dscnt 0x200
	v_mul_f32_e32 v110, v6, v110
	s_wait_loadcnt 0x1
	v_mul_f32_e32 v114, v6, v114
	v_mul_f32_e32 v106, v6, v106
	v_mul_f32_e32 v90, v6, v90
	v_dual_mul_f32 v102, v6, v102 :: v_dual_fmac_f32 v110, v7, v111
	s_delay_alu instid0(VALU_DEP_4) | instskip(NEXT) | instid1(VALU_DEP_4)
	v_fmac_f32_e32 v114, v7, v115
	v_dual_fmac_f32 v106, v7, v107 :: v_dual_mul_f32 v86, v6, v86
	s_delay_alu instid0(VALU_DEP_3) | instskip(SKIP_1) | instid1(VALU_DEP_3)
	v_dual_mul_f32 v82, v6, v82 :: v_dual_fmac_f32 v110, v8, v112
	v_fmac_f32_e32 v90, v7, v91
	v_fmac_f32_e32 v106, v8, v108
	v_dual_fmac_f32 v114, v8, v116 :: v_dual_mul_f32 v98, v6, v98
	s_delay_alu instid0(VALU_DEP_4) | instskip(SKIP_4) | instid1(VALU_DEP_4)
	v_fmac_f32_e32 v110, v9, v113
	v_dual_fmac_f32 v86, v7, v87 :: v_dual_mul_f32 v74, v6, v74
	v_dual_fmac_f32 v82, v7, v83 :: v_dual_mul_f32 v62, v6, v62
	;; [unrolled: 1-line block ×3, first 2 shown]
	v_fmac_f32_e32 v114, v9, v117
	v_dual_fmac_f32 v86, v8, v88 :: v_dual_mul_f32 v70, v6, v70
	s_delay_alu instid0(VALU_DEP_4) | instskip(SKIP_1) | instid1(VALU_DEP_3)
	v_dual_fmac_f32 v62, v7, v63 :: v_dual_mul_f32 v50, v6, v50
	v_dual_fmac_f32 v74, v7, v75 :: v_dual_mul_f32 v58, v6, v58
	;; [unrolled: 1-line block ×3, first 2 shown]
	s_delay_alu instid0(VALU_DEP_3) | instskip(NEXT) | instid1(VALU_DEP_3)
	v_dual_fmac_f32 v62, v8, v64 :: v_dual_mul_f32 v38, v6, v38
	v_dual_fmac_f32 v74, v8, v76 :: v_dual_mul_f32 v46, v6, v46
	s_delay_alu instid0(VALU_DEP_3) | instskip(NEXT) | instid1(VALU_DEP_3)
	v_dual_fmac_f32 v66, v7, v67 :: v_dual_mul_f32 v54, v6, v54
	v_dual_fmac_f32 v62, v9, v65 :: v_dual_mul_f32 v26, v6, v26
	;; [unrolled: 1-line block ×3, first 2 shown]
	s_delay_alu instid0(VALU_DEP_3) | instskip(SKIP_1) | instid1(VALU_DEP_3)
	v_dual_fmac_f32 v54, v7, v55 :: v_dual_mul_f32 v22, v6, v22
	v_fmac_f32_e32 v90, v9, v93
	v_fmac_f32_e32 v70, v8, v72
	s_delay_alu instid0(VALU_DEP_4) | instskip(NEXT) | instid1(VALU_DEP_4)
	v_fmac_f32_e32 v42, v7, v43
	v_fmac_f32_e32 v54, v8, v56
	v_dual_fmac_f32 v22, v7, v23 :: v_dual_mul_f32 v23, v6, v18
	s_delay_alu instid0(VALU_DEP_4) | instskip(NEXT) | instid1(VALU_DEP_4)
	v_dual_fmac_f32 v70, v9, v73 :: v_dual_mul_f32 v34, v6, v34
	v_fmac_f32_e32 v42, v8, v44
	s_delay_alu instid0(VALU_DEP_3) | instskip(NEXT) | instid1(VALU_DEP_4)
	v_dual_fmac_f32 v54, v9, v57 :: v_dual_fmac_f32 v23, v7, v19
	v_fmac_f32_e32 v22, v8, v24
	s_wait_loadcnt 0x0
	v_pk_mul_f32 v[18:19], v[6:7], v[94:95]
	v_fmac_f32_e32 v42, v9, v45
	scratch_load_b64 v[44:45], off, off offset:80 th:TH_LOAD_LU ; 8-byte Folded Reload
	v_dual_fmac_f32 v23, v8, v20 :: v_dual_fmac_f32 v38, v7, v39
	v_fmac_f32_e32 v22, v9, v25
	s_clause 0x3
	scratch_load_b64 v[24:25], off, off offset:96 th:TH_LOAD_LU
	scratch_load_b64 v[88:89], off, off th:TH_LOAD_LU
	scratch_load_b64 v[92:93], off, off offset:8 th:TH_LOAD_LU
	scratch_load_b64 v[64:65], off, off offset:56 th:TH_LOAD_LU
	v_fmac_f32_e32 v23, v9, v21
	scratch_load_b64 v[20:21], off, off offset:112 th:TH_LOAD_LU ; 8-byte Folded Reload
	v_dual_fmac_f32 v38, v8, v40 :: v_dual_mul_f32 v14, v6, v14
	v_mul_f32_e32 v30, v6, v30
	s_delay_alu instid0(VALU_DEP_2) | instskip(SKIP_1) | instid1(VALU_DEP_4)
	v_dual_mul_f32 v10, v6, v10 :: v_dual_fmac_f32 v38, v9, v41
	v_fmac_f32_e32 v50, v7, v51
	v_fmac_f32_e32 v14, v7, v15
	s_delay_alu instid0(VALU_DEP_4) | instskip(NEXT) | instid1(VALU_DEP_4)
	v_fmac_f32_e32 v30, v7, v31
	v_fmac_f32_e32 v10, v7, v11
	s_delay_alu instid0(VALU_DEP_4) | instskip(NEXT) | instid1(VALU_DEP_4)
	v_fmac_f32_e32 v50, v8, v52
	v_fmac_f32_e32 v14, v8, v16
	s_delay_alu instid0(VALU_DEP_4) | instskip(NEXT) | instid1(VALU_DEP_4)
	v_fmac_f32_e32 v30, v8, v32
	v_fmac_f32_e32 v10, v8, v12
	s_delay_alu instid0(VALU_DEP_4) | instskip(NEXT) | instid1(VALU_DEP_4)
	v_fmac_f32_e32 v50, v9, v53
	v_fmac_f32_e32 v14, v9, v17
	;; [unrolled: 1-line block ×6, first 2 shown]
	s_delay_alu instid0(VALU_DEP_1)
	v_add_f32_e32 v127, v127, v10
	s_wait_loadcnt 0x5
	v_add_f32_e32 v45, v45, v50
	s_wait_loadcnt 0x4
	v_dual_fmac_f32 v66, v9, v69 :: v_dual_add_f32 v24, v24, v30
	s_wait_loadcnt 0x1
	v_add_f32_e32 v64, v64, v70
	s_wait_loadcnt 0x0
	v_add_f32_e32 v20, v20, v14
	v_dual_fmac_f32 v34, v8, v36 :: v_dual_add_f32 v21, v21, v23
	s_delay_alu instid0(VALU_DEP_1) | instskip(NEXT) | instid1(VALU_DEP_1)
	v_fmac_f32_e32 v34, v9, v37
	v_dual_fmac_f32 v46, v7, v47 :: v_dual_add_f32 v25, v25, v34
	s_delay_alu instid0(VALU_DEP_1)
	v_fmac_f32_e32 v46, v8, v48
	scratch_store_b64 off, v[24:25], off offset:96 ; 8-byte Folded Spill
	v_fmac_f32_e32 v46, v9, v49
	v_fmac_f32_e32 v74, v9, v77
	s_clause 0x1
	scratch_load_b64 v[24:25], off, off offset:104 th:TH_LOAD_LU
	scratch_load_b64 v[48:49], off, off offset:72 th:TH_LOAD_LU
	v_add_f32_e32 v44, v44, v46
	v_dual_fmac_f32 v82, v8, v84 :: v_dual_add_f32 v65, v65, v74
	s_clause 0x1
	scratch_store_b64 off, v[44:45], off offset:80
	scratch_load_b64 v[44:45], off, off offset:88 th:TH_LOAD_LU
	v_fmac_f32_e32 v82, v9, v85
	scratch_load_b64 v[84:85], off, off offset:40 th:TH_LOAD_LU ; 8-byte Folded Reload
	v_fmac_f32_e32 v26, v7, v27
	v_fmac_f32_e32 v58, v7, v59
	v_dual_fmac_f32 v102, v7, v103 :: v_dual_add_f32 v93, v93, v110
	v_dual_fmac_f32 v106, v9, v109 :: v_dual_add_f32 v88, v88, v114
	s_delay_alu instid0(VALU_DEP_4)
	v_fmac_f32_e32 v26, v8, v28
	s_clause 0x1
	scratch_store_b64 off, v[64:65], off offset:56
	scratch_load_b64 v[64:65], off, off offset:64 th:TH_LOAD_LU
	v_dual_add_f32 v92, v92, v106 :: v_dual_fmac_f32 v78, v7, v79
	v_fmac_f32_e32 v26, v9, v29
	s_wait_loadcnt 0x4
	s_delay_alu instid0(VALU_DEP_1)
	v_add_f32_e32 v25, v25, v26
	v_add_f32_e32 v24, v24, v22
	v_mul_f32_e32 v22, v6, v2
	v_add_f32_e32 v6, v19, v18
	s_wait_loadcnt 0x3
	v_add_f32_e32 v48, v48, v54
	scratch_store_b64 off, v[24:25], off offset:104 ; 8-byte Folded Spill
	v_fmac_f32_e32 v22, v7, v3
	v_pk_mul_f32 v[2:3], v[8:9], v[96:97]
	s_wait_loadcnt 0x2
	v_dual_add_f32 v45, v45, v42 :: v_dual_fmac_f32 v58, v8, v60
	s_wait_loadcnt 0x1
	v_add_f32_e32 v84, v84, v86
	v_dual_fmac_f32 v102, v8, v104 :: v_dual_add_f32 v85, v85, v90
	s_delay_alu instid0(VALU_DEP_3) | instskip(SKIP_1) | instid1(VALU_DEP_3)
	v_dual_add_f32 v2, v2, v6 :: v_dual_fmac_f32 v58, v9, v61
	v_fmac_f32_e32 v22, v8, v4
	v_fmac_f32_e32 v102, v9, v105
	scratch_store_b64 off, v[84:85], off offset:40 ; 8-byte Folded Spill
	v_add_f32_e32 v2, v3, v2
	scratch_load_b64 v[84:85], off, off offset:48 th:TH_LOAD_LU ; 8-byte Folded Reload
	s_wait_loadcnt 0x1
	v_dual_add_f32 v65, v65, v66 :: v_dual_fmac_f32 v78, v8, v80
	v_add_f32_e32 v49, v49, v58
	v_add_f32_e32 v89, v89, v2
	s_clause 0x1
	scratch_store_b64 off, v[92:93], off offset:8
	scratch_load_b64 v[92:93], off, off offset:24 th:TH_LOAD_LU
	v_fmac_f32_e32 v98, v7, v99
	v_fmac_f32_e32 v78, v9, v81
	v_dual_fmac_f32 v22, v9, v5 :: v_dual_add_f32 v64, v64, v62
	v_add_f32_e32 v44, v44, v38
	s_clause 0x1
	scratch_store_b64 off, v[88:89], off
	scratch_store_b64 off, v[48:49], off offset:72
	v_add_f32_e32 v126, v126, v22
	s_clause 0x1
	scratch_store_b64 off, v[64:65], off offset:64
	scratch_store_b64 off, v[44:45], off offset:88
	s_wait_loadcnt 0x1
	v_add_f32_e32 v85, v85, v82
	v_add_f32_e32 v84, v84, v78
	s_wait_loadcnt 0x0
	v_dual_add_f32 v93, v93, v102 :: v_dual_fmac_f32 v98, v8, v100
	scratch_store_b64 off, v[84:85], off offset:48 ; 8-byte Folded Spill
	v_fmac_f32_e32 v98, v9, v101
	s_delay_alu instid0(VALU_DEP_1)
	v_add_f32_e32 v92, v92, v98
	scratch_store_b64 off, v[92:93], off offset:24 ; 8-byte Folded Spill
.LBB40_44:                              ;   in Loop: Header=BB40_45 Depth=1
	s_wait_xcnt 0x0
	s_or_b32 exec_lo, exec_lo, s18
	v_add_nc_u32_e32 v1, 4, v1
	v_add_nc_u64_e32 v[120:121], 16, v[120:121]
	v_add_nc_u32_e32 v118, 0x80, v118
	v_add_nc_u32_e32 v0, 0x200, v0
	s_delay_alu instid0(VALU_DEP_4) | instskip(SKIP_1) | instid1(SALU_CYCLE_1)
	v_cmp_le_i32_e32 vcc_lo, s31, v1
	s_or_b32 s17, vcc_lo, s17
	s_and_not1_b32 exec_lo, exec_lo, s17
	s_cbranch_execz .LBB40_102
.LBB40_45:                              ; =>This Inner Loop Header: Depth=1
	s_wait_xcnt 0x0
	v_mul_u64_e32 v[2:3], s[14:15], v[118:119]
	s_delay_alu instid0(VALU_DEP_1) | instskip(NEXT) | instid1(VALU_DEP_1)
	v_mul_lo_u32 v2, v3, s8
	v_dual_add_nc_u32 v4, 1, v3 :: v_dual_sub_nc_u32 v2, v118, v2
	s_delay_alu instid0(VALU_DEP_1) | instskip(SKIP_1) | instid1(VALU_DEP_2)
	v_subrev_nc_u32_e32 v5, s8, v2
	v_cmp_le_u32_e32 vcc_lo, s8, v2
	v_dual_cndmask_b32 v3, v3, v4 :: v_dual_cndmask_b32 v2, v2, v5
	s_delay_alu instid0(VALU_DEP_1) | instskip(NEXT) | instid1(VALU_DEP_2)
	v_add_nc_u32_e32 v4, 1, v3
	v_cmp_le_u32_e32 vcc_lo, s8, v2
	s_delay_alu instid0(VALU_DEP_2) | instskip(NEXT) | instid1(VALU_DEP_1)
	v_cndmask_b32_e32 v2, v3, v4, vcc_lo
	v_dual_mov_b32 v3, v119 :: v_dual_bitop2_b32 v2, s30, v2 bitop3:0x14
	s_delay_alu instid0(VALU_DEP_1) | instskip(NEXT) | instid1(VALU_DEP_1)
	v_subrev_nc_u32_e32 v6, s30, v2
	v_add_nc_u32_e32 v7, s13, v6
	v_cmp_lt_i32_e64 s0, s25, v6
	s_delay_alu instid0(VALU_DEP_2) | instskip(NEXT) | instid1(VALU_DEP_1)
	v_sub_nc_u32_e32 v2, 0, v7
	v_max_i32_e32 v2, v7, v2
	s_delay_alu instid0(VALU_DEP_1) | instskip(SKIP_1) | instid1(VALU_DEP_2)
	v_mul_u64_e32 v[4:5], s[4:5], v[2:3]
	v_ashrrev_i32_e32 v4, 31, v7
	v_mul_lo_u32 v3, v5, s6
	s_delay_alu instid0(VALU_DEP_1) | instskip(NEXT) | instid1(VALU_DEP_1)
	v_sub_nc_u32_e32 v2, v2, v3
	v_subrev_nc_u32_e32 v3, s6, v2
	v_cmp_le_u32_e32 vcc_lo, s6, v2
	s_delay_alu instid0(VALU_DEP_2) | instskip(NEXT) | instid1(VALU_DEP_1)
	v_cndmask_b32_e32 v2, v2, v3, vcc_lo
	v_subrev_nc_u32_e32 v3, s6, v2
	v_cmp_le_u32_e32 vcc_lo, s6, v2
	s_delay_alu instid0(VALU_DEP_2) | instskip(NEXT) | instid1(VALU_DEP_1)
	v_cndmask_b32_e32 v2, v2, v3, vcc_lo
	v_xor_b32_e32 v2, v2, v4
	s_delay_alu instid0(VALU_DEP_1) | instskip(NEXT) | instid1(VALU_DEP_1)
	v_sub_nc_u32_e32 v2, v2, v4
	v_cmp_eq_u32_e32 vcc_lo, 0, v2
	s_or_b32 s0, vcc_lo, s0
	s_delay_alu instid0(SALU_CYCLE_1)
	s_and_saveexec_b32 s18, s0
	s_cbranch_execz .LBB40_44
; %bb.46:                               ;   in Loop: Header=BB40_45 Depth=1
	global_load_b32 v2, v[120:121], off
	s_clause 0x1
	scratch_load_b64 v[4:5], off, off offset:128
	scratch_load_b32 v10, off, off offset:124
	ds_load_b128 v[6:9], v0
	v_cmp_eq_u32_e32 vcc_lo, s9, v1
	scratch_store_b64 off, v[20:21], off offset:112 ; 8-byte Folded Spill
	s_wait_loadcnt 0x0
	v_add_nc_u32_e32 v123, v10, v118
	s_delay_alu instid0(VALU_DEP_1) | instskip(NEXT) | instid1(VALU_DEP_1)
	v_dual_ashrrev_i32 v3, 31, v2 :: v_dual_add_nc_u32 v125, 1, v123
	v_mul_u64_e32 v[2:3], s[2:3], v[2:3]
	v_or_b32_e32 v122, 3, v123
	v_or_b32_e32 v124, 2, v123
	s_delay_alu instid0(VALU_DEP_3)
	v_lshl_add_u64 v[94:95], v[2:3], 2, v[4:5]
	global_load_b128 v[2:5], v[94:95], off
	s_wait_xcnt 0x0
	s_and_saveexec_b32 s1, vcc_lo
	s_cbranch_execnz .LBB40_74
; %bb.47:                               ;   in Loop: Header=BB40_45 Depth=1
	s_or_b32 exec_lo, exec_lo, s1
	global_load_b128 v[10:13], v[94:95], off offset:512
	s_wait_xcnt 0x0
	s_and_saveexec_b32 s1, vcc_lo
	s_cbranch_execnz .LBB40_75
.LBB40_48:                              ;   in Loop: Header=BB40_45 Depth=1
	s_or_b32 exec_lo, exec_lo, s1
	global_load_b128 v[14:17], v[94:95], off offset:1024
	s_wait_xcnt 0x0
	s_and_saveexec_b32 s1, vcc_lo
	s_cbranch_execnz .LBB40_76
.LBB40_49:                              ;   in Loop: Header=BB40_45 Depth=1
	s_or_b32 exec_lo, exec_lo, s1
	global_load_b128 v[18:21], v[94:95], off offset:1536
	s_wait_xcnt 0x0
	s_and_saveexec_b32 s1, vcc_lo
	s_cbranch_execnz .LBB40_77
.LBB40_50:                              ;   in Loop: Header=BB40_45 Depth=1
	s_or_b32 exec_lo, exec_lo, s1
	global_load_b128 v[22:25], v[94:95], off offset:2048
	s_wait_xcnt 0x0
	s_and_saveexec_b32 s1, vcc_lo
	s_cbranch_execnz .LBB40_78
.LBB40_51:                              ;   in Loop: Header=BB40_45 Depth=1
	s_or_b32 exec_lo, exec_lo, s1
	global_load_b128 v[26:29], v[94:95], off offset:2560
	s_wait_xcnt 0x0
	s_and_saveexec_b32 s1, vcc_lo
	s_cbranch_execnz .LBB40_79
.LBB40_52:                              ;   in Loop: Header=BB40_45 Depth=1
	s_or_b32 exec_lo, exec_lo, s1
	global_load_b128 v[30:33], v[94:95], off offset:3072
	s_wait_xcnt 0x0
	s_and_saveexec_b32 s1, vcc_lo
	s_cbranch_execnz .LBB40_80
.LBB40_53:                              ;   in Loop: Header=BB40_45 Depth=1
	s_or_b32 exec_lo, exec_lo, s1
	global_load_b128 v[34:37], v[94:95], off offset:3584
	s_wait_xcnt 0x0
	s_and_saveexec_b32 s1, vcc_lo
	s_cbranch_execnz .LBB40_81
.LBB40_54:                              ;   in Loop: Header=BB40_45 Depth=1
	s_or_b32 exec_lo, exec_lo, s1
	global_load_b128 v[38:41], v[94:95], off offset:4096
	s_wait_xcnt 0x0
	s_and_saveexec_b32 s1, vcc_lo
	s_cbranch_execnz .LBB40_82
.LBB40_55:                              ;   in Loop: Header=BB40_45 Depth=1
	s_or_b32 exec_lo, exec_lo, s1
	global_load_b128 v[42:45], v[94:95], off offset:4608
	s_wait_xcnt 0x0
	s_and_saveexec_b32 s1, vcc_lo
	s_cbranch_execnz .LBB40_83
.LBB40_56:                              ;   in Loop: Header=BB40_45 Depth=1
	s_or_b32 exec_lo, exec_lo, s1
	global_load_b128 v[46:49], v[94:95], off offset:5120
	s_wait_xcnt 0x0
	s_and_saveexec_b32 s1, vcc_lo
	s_cbranch_execnz .LBB40_84
.LBB40_57:                              ;   in Loop: Header=BB40_45 Depth=1
	s_or_b32 exec_lo, exec_lo, s1
	global_load_b128 v[50:53], v[94:95], off offset:5632
	s_wait_xcnt 0x0
	s_and_saveexec_b32 s1, vcc_lo
	s_cbranch_execnz .LBB40_85
.LBB40_58:                              ;   in Loop: Header=BB40_45 Depth=1
	s_or_b32 exec_lo, exec_lo, s1
	global_load_b128 v[54:57], v[94:95], off offset:6144
	s_wait_xcnt 0x0
	s_and_saveexec_b32 s1, vcc_lo
	s_cbranch_execnz .LBB40_86
.LBB40_59:                              ;   in Loop: Header=BB40_45 Depth=1
	s_or_b32 exec_lo, exec_lo, s1
	global_load_b128 v[58:61], v[94:95], off offset:6656
	s_wait_xcnt 0x0
	s_and_saveexec_b32 s1, vcc_lo
	s_cbranch_execnz .LBB40_87
.LBB40_60:                              ;   in Loop: Header=BB40_45 Depth=1
	s_or_b32 exec_lo, exec_lo, s1
	global_load_b128 v[62:65], v[94:95], off offset:7168
	s_wait_xcnt 0x0
	s_and_saveexec_b32 s1, vcc_lo
	s_cbranch_execnz .LBB40_88
.LBB40_61:                              ;   in Loop: Header=BB40_45 Depth=1
	s_or_b32 exec_lo, exec_lo, s1
	global_load_b128 v[66:69], v[94:95], off offset:7680
	s_wait_xcnt 0x0
	s_and_saveexec_b32 s1, vcc_lo
	s_cbranch_execnz .LBB40_89
.LBB40_62:                              ;   in Loop: Header=BB40_45 Depth=1
	s_or_b32 exec_lo, exec_lo, s1
	global_load_b128 v[70:73], v[94:95], off offset:8192
	s_wait_xcnt 0x0
	s_and_saveexec_b32 s1, vcc_lo
	s_cbranch_execnz .LBB40_90
.LBB40_63:                              ;   in Loop: Header=BB40_45 Depth=1
	s_or_b32 exec_lo, exec_lo, s1
	global_load_b128 v[74:77], v[94:95], off offset:8704
	s_wait_xcnt 0x0
	s_and_saveexec_b32 s1, vcc_lo
	s_cbranch_execnz .LBB40_91
.LBB40_64:                              ;   in Loop: Header=BB40_45 Depth=1
	s_or_b32 exec_lo, exec_lo, s1
	global_load_b128 v[78:81], v[94:95], off offset:9216
	s_wait_xcnt 0x0
	s_and_saveexec_b32 s19, vcc_lo
	s_cbranch_execnz .LBB40_92
.LBB40_65:                              ;   in Loop: Header=BB40_45 Depth=1
	s_or_b32 exec_lo, exec_lo, s19
	global_load_b128 v[82:85], v[94:95], off offset:9728
	s_wait_xcnt 0x0
	s_and_saveexec_b32 s19, vcc_lo
	s_cbranch_execnz .LBB40_93
.LBB40_66:                              ;   in Loop: Header=BB40_45 Depth=1
	s_or_b32 exec_lo, exec_lo, s19
	global_load_b128 v[86:89], v[94:95], off offset:10240
	s_wait_xcnt 0x0
	s_and_saveexec_b32 s19, vcc_lo
	s_cbranch_execnz .LBB40_94
.LBB40_67:                              ;   in Loop: Header=BB40_45 Depth=1
	s_or_b32 exec_lo, exec_lo, s19
	global_load_b128 v[90:93], v[94:95], off offset:10752
	s_wait_xcnt 0x0
	s_and_saveexec_b32 s19, vcc_lo
	s_cbranch_execnz .LBB40_95
.LBB40_68:                              ;   in Loop: Header=BB40_45 Depth=1
	s_or_b32 exec_lo, exec_lo, s19
	global_load_b128 v[98:101], v[94:95], off offset:11264
	s_wait_xcnt 0x0
	s_and_saveexec_b32 s19, vcc_lo
	s_cbranch_execnz .LBB40_96
.LBB40_69:                              ;   in Loop: Header=BB40_45 Depth=1
	s_or_b32 exec_lo, exec_lo, s19
	global_load_b128 v[102:105], v[94:95], off offset:11776
	s_wait_xcnt 0x0
	s_and_saveexec_b32 s19, vcc_lo
	s_cbranch_execnz .LBB40_97
.LBB40_70:                              ;   in Loop: Header=BB40_45 Depth=1
	s_or_b32 exec_lo, exec_lo, s19
	global_load_b128 v[106:109], v[94:95], off offset:12288
	s_wait_xcnt 0x0
	s_and_saveexec_b32 s19, vcc_lo
	s_cbranch_execnz .LBB40_98
.LBB40_71:                              ;   in Loop: Header=BB40_45 Depth=1
	s_or_b32 exec_lo, exec_lo, s19
	global_load_b128 v[110:113], v[94:95], off offset:12800
	s_wait_xcnt 0x0
	s_and_saveexec_b32 s19, vcc_lo
	s_cbranch_execnz .LBB40_99
.LBB40_72:                              ;   in Loop: Header=BB40_45 Depth=1
	s_or_b32 exec_lo, exec_lo, s19
	global_load_b128 v[114:117], v[94:95], off offset:13312
	s_wait_xcnt 0x0
	s_and_saveexec_b32 s19, vcc_lo
	s_cbranch_execnz .LBB40_100
.LBB40_73:                              ;   in Loop: Header=BB40_45 Depth=1
	s_or_b32 exec_lo, exec_lo, s19
	global_load_b128 v[94:97], v[94:95], off offset:13824
	s_wait_xcnt 0x0
	s_and_saveexec_b32 s1, vcc_lo
	s_cbranch_execz .LBB40_43
	s_branch .LBB40_101
.LBB40_74:                              ;   in Loop: Header=BB40_45 Depth=1
	v_cmp_gt_i32_e64 s0, s16, v125
	s_wait_loadcnt 0x0
	s_delay_alu instid0(VALU_DEP_1) | instskip(SKIP_1) | instid1(VALU_DEP_1)
	v_cndmask_b32_e64 v3, 0, v3, s0
	v_cmp_gt_i32_e64 s0, s29, v123
	v_cndmask_b32_e64 v2, 0, v2, s0
	v_cmp_gt_i32_e64 s0, s16, v122
	s_delay_alu instid0(VALU_DEP_1) | instskip(SKIP_1) | instid1(VALU_DEP_1)
	v_cndmask_b32_e64 v5, 0, v5, s0
	v_cmp_gt_i32_e64 s0, s29, v124
	v_cndmask_b32_e64 v4, 0, v4, s0
	s_or_b32 exec_lo, exec_lo, s1
	global_load_b128 v[10:13], v[94:95], off offset:512
	s_wait_xcnt 0x0
	s_and_saveexec_b32 s1, vcc_lo
	s_cbranch_execz .LBB40_48
.LBB40_75:                              ;   in Loop: Header=BB40_45 Depth=1
	v_cmp_gt_i32_e64 s0, s16, v125
	s_wait_loadcnt 0x0
	s_delay_alu instid0(VALU_DEP_1) | instskip(SKIP_1) | instid1(VALU_DEP_1)
	v_cndmask_b32_e64 v11, 0, v11, s0
	v_cmp_gt_i32_e64 s0, s29, v123
	v_cndmask_b32_e64 v10, 0, v10, s0
	v_cmp_gt_i32_e64 s0, s16, v122
	s_delay_alu instid0(VALU_DEP_1) | instskip(SKIP_1) | instid1(VALU_DEP_1)
	v_cndmask_b32_e64 v13, 0, v13, s0
	v_cmp_gt_i32_e64 s0, s29, v124
	v_cndmask_b32_e64 v12, 0, v12, s0
	s_or_b32 exec_lo, exec_lo, s1
	global_load_b128 v[14:17], v[94:95], off offset:1024
	s_wait_xcnt 0x0
	s_and_saveexec_b32 s1, vcc_lo
	s_cbranch_execz .LBB40_49
.LBB40_76:                              ;   in Loop: Header=BB40_45 Depth=1
	v_cmp_gt_i32_e64 s0, s16, v125
	s_wait_loadcnt 0x0
	s_delay_alu instid0(VALU_DEP_1) | instskip(SKIP_1) | instid1(VALU_DEP_1)
	v_cndmask_b32_e64 v15, 0, v15, s0
	v_cmp_gt_i32_e64 s0, s29, v123
	v_cndmask_b32_e64 v14, 0, v14, s0
	v_cmp_gt_i32_e64 s0, s16, v122
	s_delay_alu instid0(VALU_DEP_1) | instskip(SKIP_1) | instid1(VALU_DEP_1)
	v_cndmask_b32_e64 v17, 0, v17, s0
	v_cmp_gt_i32_e64 s0, s29, v124
	v_cndmask_b32_e64 v16, 0, v16, s0
	s_or_b32 exec_lo, exec_lo, s1
	global_load_b128 v[18:21], v[94:95], off offset:1536
	s_wait_xcnt 0x0
	s_and_saveexec_b32 s1, vcc_lo
	s_cbranch_execz .LBB40_50
.LBB40_77:                              ;   in Loop: Header=BB40_45 Depth=1
	v_cmp_gt_i32_e64 s0, s16, v125
	s_wait_loadcnt 0x0
	s_delay_alu instid0(VALU_DEP_1) | instskip(SKIP_1) | instid1(VALU_DEP_1)
	v_cndmask_b32_e64 v19, 0, v19, s0
	v_cmp_gt_i32_e64 s0, s29, v123
	v_cndmask_b32_e64 v18, 0, v18, s0
	v_cmp_gt_i32_e64 s0, s16, v122
	s_delay_alu instid0(VALU_DEP_1) | instskip(SKIP_1) | instid1(VALU_DEP_1)
	v_cndmask_b32_e64 v21, 0, v21, s0
	v_cmp_gt_i32_e64 s0, s29, v124
	v_cndmask_b32_e64 v20, 0, v20, s0
	s_or_b32 exec_lo, exec_lo, s1
	global_load_b128 v[22:25], v[94:95], off offset:2048
	s_wait_xcnt 0x0
	s_and_saveexec_b32 s1, vcc_lo
	s_cbranch_execz .LBB40_51
.LBB40_78:                              ;   in Loop: Header=BB40_45 Depth=1
	v_cmp_gt_i32_e64 s0, s16, v125
	s_wait_loadcnt 0x0
	s_delay_alu instid0(VALU_DEP_1) | instskip(SKIP_1) | instid1(VALU_DEP_1)
	v_cndmask_b32_e64 v23, 0, v23, s0
	v_cmp_gt_i32_e64 s0, s29, v123
	v_cndmask_b32_e64 v22, 0, v22, s0
	v_cmp_gt_i32_e64 s0, s16, v122
	s_delay_alu instid0(VALU_DEP_1) | instskip(SKIP_1) | instid1(VALU_DEP_1)
	v_cndmask_b32_e64 v25, 0, v25, s0
	v_cmp_gt_i32_e64 s0, s29, v124
	v_cndmask_b32_e64 v24, 0, v24, s0
	s_or_b32 exec_lo, exec_lo, s1
	global_load_b128 v[26:29], v[94:95], off offset:2560
	s_wait_xcnt 0x0
	s_and_saveexec_b32 s1, vcc_lo
	s_cbranch_execz .LBB40_52
.LBB40_79:                              ;   in Loop: Header=BB40_45 Depth=1
	v_cmp_gt_i32_e64 s0, s16, v125
	s_wait_loadcnt 0x0
	s_delay_alu instid0(VALU_DEP_1) | instskip(SKIP_1) | instid1(VALU_DEP_1)
	v_cndmask_b32_e64 v27, 0, v27, s0
	v_cmp_gt_i32_e64 s0, s29, v123
	v_cndmask_b32_e64 v26, 0, v26, s0
	v_cmp_gt_i32_e64 s0, s16, v122
	s_delay_alu instid0(VALU_DEP_1) | instskip(SKIP_1) | instid1(VALU_DEP_1)
	v_cndmask_b32_e64 v29, 0, v29, s0
	v_cmp_gt_i32_e64 s0, s29, v124
	v_cndmask_b32_e64 v28, 0, v28, s0
	s_or_b32 exec_lo, exec_lo, s1
	global_load_b128 v[30:33], v[94:95], off offset:3072
	s_wait_xcnt 0x0
	s_and_saveexec_b32 s1, vcc_lo
	s_cbranch_execz .LBB40_53
.LBB40_80:                              ;   in Loop: Header=BB40_45 Depth=1
	v_cmp_gt_i32_e64 s0, s16, v125
	s_wait_loadcnt 0x0
	s_delay_alu instid0(VALU_DEP_1) | instskip(SKIP_1) | instid1(VALU_DEP_1)
	v_cndmask_b32_e64 v31, 0, v31, s0
	v_cmp_gt_i32_e64 s0, s29, v123
	v_cndmask_b32_e64 v30, 0, v30, s0
	v_cmp_gt_i32_e64 s0, s16, v122
	s_delay_alu instid0(VALU_DEP_1) | instskip(SKIP_1) | instid1(VALU_DEP_1)
	v_cndmask_b32_e64 v33, 0, v33, s0
	v_cmp_gt_i32_e64 s0, s29, v124
	v_cndmask_b32_e64 v32, 0, v32, s0
	s_or_b32 exec_lo, exec_lo, s1
	global_load_b128 v[34:37], v[94:95], off offset:3584
	s_wait_xcnt 0x0
	s_and_saveexec_b32 s1, vcc_lo
	s_cbranch_execz .LBB40_54
.LBB40_81:                              ;   in Loop: Header=BB40_45 Depth=1
	v_cmp_gt_i32_e64 s0, s16, v125
	s_wait_loadcnt 0x0
	s_delay_alu instid0(VALU_DEP_1) | instskip(SKIP_1) | instid1(VALU_DEP_1)
	v_cndmask_b32_e64 v35, 0, v35, s0
	v_cmp_gt_i32_e64 s0, s29, v123
	v_cndmask_b32_e64 v34, 0, v34, s0
	v_cmp_gt_i32_e64 s0, s16, v122
	s_delay_alu instid0(VALU_DEP_1) | instskip(SKIP_1) | instid1(VALU_DEP_1)
	v_cndmask_b32_e64 v37, 0, v37, s0
	v_cmp_gt_i32_e64 s0, s29, v124
	v_cndmask_b32_e64 v36, 0, v36, s0
	s_or_b32 exec_lo, exec_lo, s1
	global_load_b128 v[38:41], v[94:95], off offset:4096
	s_wait_xcnt 0x0
	s_and_saveexec_b32 s1, vcc_lo
	s_cbranch_execz .LBB40_55
.LBB40_82:                              ;   in Loop: Header=BB40_45 Depth=1
	v_cmp_gt_i32_e64 s0, s16, v125
	s_wait_loadcnt 0x0
	s_delay_alu instid0(VALU_DEP_1) | instskip(SKIP_1) | instid1(VALU_DEP_1)
	v_cndmask_b32_e64 v39, 0, v39, s0
	v_cmp_gt_i32_e64 s0, s29, v123
	v_cndmask_b32_e64 v38, 0, v38, s0
	v_cmp_gt_i32_e64 s0, s16, v122
	s_delay_alu instid0(VALU_DEP_1) | instskip(SKIP_1) | instid1(VALU_DEP_1)
	v_cndmask_b32_e64 v41, 0, v41, s0
	v_cmp_gt_i32_e64 s0, s29, v124
	v_cndmask_b32_e64 v40, 0, v40, s0
	s_or_b32 exec_lo, exec_lo, s1
	global_load_b128 v[42:45], v[94:95], off offset:4608
	s_wait_xcnt 0x0
	s_and_saveexec_b32 s1, vcc_lo
	s_cbranch_execz .LBB40_56
.LBB40_83:                              ;   in Loop: Header=BB40_45 Depth=1
	v_cmp_gt_i32_e64 s0, s16, v125
	s_wait_loadcnt 0x0
	s_delay_alu instid0(VALU_DEP_1) | instskip(SKIP_1) | instid1(VALU_DEP_1)
	v_cndmask_b32_e64 v43, 0, v43, s0
	v_cmp_gt_i32_e64 s0, s29, v123
	v_cndmask_b32_e64 v42, 0, v42, s0
	v_cmp_gt_i32_e64 s0, s16, v122
	s_delay_alu instid0(VALU_DEP_1) | instskip(SKIP_1) | instid1(VALU_DEP_1)
	v_cndmask_b32_e64 v45, 0, v45, s0
	v_cmp_gt_i32_e64 s0, s29, v124
	v_cndmask_b32_e64 v44, 0, v44, s0
	s_or_b32 exec_lo, exec_lo, s1
	global_load_b128 v[46:49], v[94:95], off offset:5120
	s_wait_xcnt 0x0
	s_and_saveexec_b32 s1, vcc_lo
	s_cbranch_execz .LBB40_57
.LBB40_84:                              ;   in Loop: Header=BB40_45 Depth=1
	v_cmp_gt_i32_e64 s0, s16, v125
	s_wait_loadcnt 0x0
	s_delay_alu instid0(VALU_DEP_1) | instskip(SKIP_1) | instid1(VALU_DEP_1)
	v_cndmask_b32_e64 v47, 0, v47, s0
	v_cmp_gt_i32_e64 s0, s29, v123
	v_cndmask_b32_e64 v46, 0, v46, s0
	v_cmp_gt_i32_e64 s0, s16, v122
	s_delay_alu instid0(VALU_DEP_1) | instskip(SKIP_1) | instid1(VALU_DEP_1)
	v_cndmask_b32_e64 v49, 0, v49, s0
	v_cmp_gt_i32_e64 s0, s29, v124
	v_cndmask_b32_e64 v48, 0, v48, s0
	s_or_b32 exec_lo, exec_lo, s1
	global_load_b128 v[50:53], v[94:95], off offset:5632
	s_wait_xcnt 0x0
	s_and_saveexec_b32 s1, vcc_lo
	s_cbranch_execz .LBB40_58
.LBB40_85:                              ;   in Loop: Header=BB40_45 Depth=1
	v_cmp_gt_i32_e64 s0, s16, v125
	s_wait_loadcnt 0x0
	s_delay_alu instid0(VALU_DEP_1) | instskip(SKIP_1) | instid1(VALU_DEP_1)
	v_cndmask_b32_e64 v51, 0, v51, s0
	v_cmp_gt_i32_e64 s0, s29, v123
	v_cndmask_b32_e64 v50, 0, v50, s0
	v_cmp_gt_i32_e64 s0, s16, v122
	s_delay_alu instid0(VALU_DEP_1) | instskip(SKIP_1) | instid1(VALU_DEP_1)
	v_cndmask_b32_e64 v53, 0, v53, s0
	v_cmp_gt_i32_e64 s0, s29, v124
	v_cndmask_b32_e64 v52, 0, v52, s0
	s_or_b32 exec_lo, exec_lo, s1
	global_load_b128 v[54:57], v[94:95], off offset:6144
	s_wait_xcnt 0x0
	s_and_saveexec_b32 s1, vcc_lo
	s_cbranch_execz .LBB40_59
.LBB40_86:                              ;   in Loop: Header=BB40_45 Depth=1
	v_cmp_gt_i32_e64 s0, s16, v125
	s_wait_loadcnt 0x0
	s_delay_alu instid0(VALU_DEP_1) | instskip(SKIP_1) | instid1(VALU_DEP_1)
	v_cndmask_b32_e64 v55, 0, v55, s0
	v_cmp_gt_i32_e64 s0, s29, v123
	v_cndmask_b32_e64 v54, 0, v54, s0
	v_cmp_gt_i32_e64 s0, s16, v122
	s_delay_alu instid0(VALU_DEP_1) | instskip(SKIP_1) | instid1(VALU_DEP_1)
	v_cndmask_b32_e64 v57, 0, v57, s0
	v_cmp_gt_i32_e64 s0, s29, v124
	v_cndmask_b32_e64 v56, 0, v56, s0
	s_or_b32 exec_lo, exec_lo, s1
	global_load_b128 v[58:61], v[94:95], off offset:6656
	s_wait_xcnt 0x0
	s_and_saveexec_b32 s1, vcc_lo
	s_cbranch_execz .LBB40_60
.LBB40_87:                              ;   in Loop: Header=BB40_45 Depth=1
	v_cmp_gt_i32_e64 s0, s16, v125
	s_wait_loadcnt 0x0
	s_delay_alu instid0(VALU_DEP_1) | instskip(SKIP_1) | instid1(VALU_DEP_1)
	v_cndmask_b32_e64 v59, 0, v59, s0
	v_cmp_gt_i32_e64 s0, s29, v123
	v_cndmask_b32_e64 v58, 0, v58, s0
	v_cmp_gt_i32_e64 s0, s16, v122
	s_delay_alu instid0(VALU_DEP_1) | instskip(SKIP_1) | instid1(VALU_DEP_1)
	v_cndmask_b32_e64 v61, 0, v61, s0
	v_cmp_gt_i32_e64 s0, s29, v124
	v_cndmask_b32_e64 v60, 0, v60, s0
	s_or_b32 exec_lo, exec_lo, s1
	global_load_b128 v[62:65], v[94:95], off offset:7168
	s_wait_xcnt 0x0
	s_and_saveexec_b32 s1, vcc_lo
	s_cbranch_execz .LBB40_61
.LBB40_88:                              ;   in Loop: Header=BB40_45 Depth=1
	v_cmp_gt_i32_e64 s0, s16, v125
	s_wait_loadcnt 0x0
	s_delay_alu instid0(VALU_DEP_1) | instskip(SKIP_1) | instid1(VALU_DEP_1)
	v_cndmask_b32_e64 v63, 0, v63, s0
	v_cmp_gt_i32_e64 s0, s29, v123
	v_cndmask_b32_e64 v62, 0, v62, s0
	v_cmp_gt_i32_e64 s0, s16, v122
	s_delay_alu instid0(VALU_DEP_1) | instskip(SKIP_1) | instid1(VALU_DEP_1)
	v_cndmask_b32_e64 v65, 0, v65, s0
	v_cmp_gt_i32_e64 s0, s29, v124
	v_cndmask_b32_e64 v64, 0, v64, s0
	s_or_b32 exec_lo, exec_lo, s1
	global_load_b128 v[66:69], v[94:95], off offset:7680
	s_wait_xcnt 0x0
	s_and_saveexec_b32 s1, vcc_lo
	s_cbranch_execz .LBB40_62
.LBB40_89:                              ;   in Loop: Header=BB40_45 Depth=1
	v_cmp_gt_i32_e64 s0, s16, v125
	s_wait_loadcnt 0x0
	s_delay_alu instid0(VALU_DEP_1) | instskip(SKIP_1) | instid1(VALU_DEP_1)
	v_cndmask_b32_e64 v67, 0, v67, s0
	v_cmp_gt_i32_e64 s0, s29, v123
	v_cndmask_b32_e64 v66, 0, v66, s0
	v_cmp_gt_i32_e64 s0, s16, v122
	s_delay_alu instid0(VALU_DEP_1) | instskip(SKIP_1) | instid1(VALU_DEP_1)
	v_cndmask_b32_e64 v69, 0, v69, s0
	v_cmp_gt_i32_e64 s0, s29, v124
	v_cndmask_b32_e64 v68, 0, v68, s0
	s_or_b32 exec_lo, exec_lo, s1
	global_load_b128 v[70:73], v[94:95], off offset:8192
	s_wait_xcnt 0x0
	s_and_saveexec_b32 s1, vcc_lo
	s_cbranch_execz .LBB40_63
.LBB40_90:                              ;   in Loop: Header=BB40_45 Depth=1
	v_cmp_gt_i32_e64 s0, s16, v125
	s_wait_loadcnt 0x0
	s_delay_alu instid0(VALU_DEP_1) | instskip(SKIP_1) | instid1(VALU_DEP_1)
	v_cndmask_b32_e64 v71, 0, v71, s0
	v_cmp_gt_i32_e64 s0, s29, v123
	v_cndmask_b32_e64 v70, 0, v70, s0
	v_cmp_gt_i32_e64 s0, s16, v122
	s_delay_alu instid0(VALU_DEP_1) | instskip(SKIP_1) | instid1(VALU_DEP_1)
	v_cndmask_b32_e64 v73, 0, v73, s0
	v_cmp_gt_i32_e64 s0, s29, v124
	v_cndmask_b32_e64 v72, 0, v72, s0
	s_or_b32 exec_lo, exec_lo, s1
	global_load_b128 v[74:77], v[94:95], off offset:8704
	s_wait_xcnt 0x0
	s_and_saveexec_b32 s1, vcc_lo
	s_cbranch_execz .LBB40_64
.LBB40_91:                              ;   in Loop: Header=BB40_45 Depth=1
	v_cmp_gt_i32_e64 s0, s16, v125
	s_wait_loadcnt 0x0
	s_delay_alu instid0(VALU_DEP_1) | instskip(SKIP_1) | instid1(VALU_DEP_1)
	v_cndmask_b32_e64 v75, 0, v75, s0
	v_cmp_gt_i32_e64 s0, s29, v123
	v_cndmask_b32_e64 v74, 0, v74, s0
	v_cmp_gt_i32_e64 s0, s16, v122
	s_delay_alu instid0(VALU_DEP_1) | instskip(SKIP_1) | instid1(VALU_DEP_1)
	v_cndmask_b32_e64 v77, 0, v77, s0
	v_cmp_gt_i32_e64 s0, s29, v124
	v_cndmask_b32_e64 v76, 0, v76, s0
	s_or_b32 exec_lo, exec_lo, s1
	global_load_b128 v[78:81], v[94:95], off offset:9216
	s_wait_xcnt 0x0
	s_and_saveexec_b32 s19, vcc_lo
	s_cbranch_execz .LBB40_65
.LBB40_92:                              ;   in Loop: Header=BB40_45 Depth=1
	v_cmp_gt_i32_e64 s0, s29, v123
	v_cmp_gt_i32_e64 s1, s16, v125
	s_wait_loadcnt 0x0
	s_delay_alu instid0(VALU_DEP_1) | instskip(SKIP_2) | instid1(VALU_DEP_1)
	v_dual_cndmask_b32 v78, 0, v78, s0 :: v_dual_cndmask_b32 v79, 0, v79, s1
	v_cmp_gt_i32_e64 s0, s29, v124
	v_cmp_gt_i32_e64 s1, s16, v122
	v_dual_cndmask_b32 v80, 0, v80, s0 :: v_dual_cndmask_b32 v81, 0, v81, s1
	s_or_b32 exec_lo, exec_lo, s19
	global_load_b128 v[82:85], v[94:95], off offset:9728
	s_wait_xcnt 0x0
	s_and_saveexec_b32 s19, vcc_lo
	s_cbranch_execz .LBB40_66
.LBB40_93:                              ;   in Loop: Header=BB40_45 Depth=1
	v_cmp_gt_i32_e64 s0, s29, v123
	v_cmp_gt_i32_e64 s1, s16, v125
	s_wait_loadcnt 0x0
	s_delay_alu instid0(VALU_DEP_1) | instskip(SKIP_2) | instid1(VALU_DEP_1)
	v_dual_cndmask_b32 v82, 0, v82, s0 :: v_dual_cndmask_b32 v83, 0, v83, s1
	v_cmp_gt_i32_e64 s0, s29, v124
	v_cmp_gt_i32_e64 s1, s16, v122
	v_dual_cndmask_b32 v84, 0, v84, s0 :: v_dual_cndmask_b32 v85, 0, v85, s1
	s_or_b32 exec_lo, exec_lo, s19
	global_load_b128 v[86:89], v[94:95], off offset:10240
	s_wait_xcnt 0x0
	s_and_saveexec_b32 s19, vcc_lo
	s_cbranch_execz .LBB40_67
.LBB40_94:                              ;   in Loop: Header=BB40_45 Depth=1
	v_cmp_gt_i32_e64 s0, s29, v123
	v_cmp_gt_i32_e64 s1, s16, v125
	s_wait_loadcnt 0x0
	s_delay_alu instid0(VALU_DEP_1) | instskip(SKIP_2) | instid1(VALU_DEP_1)
	v_dual_cndmask_b32 v86, 0, v86, s0 :: v_dual_cndmask_b32 v87, 0, v87, s1
	v_cmp_gt_i32_e64 s0, s29, v124
	v_cmp_gt_i32_e64 s1, s16, v122
	v_dual_cndmask_b32 v88, 0, v88, s0 :: v_dual_cndmask_b32 v89, 0, v89, s1
	s_or_b32 exec_lo, exec_lo, s19
	global_load_b128 v[90:93], v[94:95], off offset:10752
	s_wait_xcnt 0x0
	s_and_saveexec_b32 s19, vcc_lo
	s_cbranch_execz .LBB40_68
.LBB40_95:                              ;   in Loop: Header=BB40_45 Depth=1
	v_cmp_gt_i32_e64 s0, s29, v123
	v_cmp_gt_i32_e64 s1, s16, v125
	s_wait_loadcnt 0x0
	s_delay_alu instid0(VALU_DEP_1) | instskip(SKIP_2) | instid1(VALU_DEP_1)
	v_dual_cndmask_b32 v90, 0, v90, s0 :: v_dual_cndmask_b32 v91, 0, v91, s1
	v_cmp_gt_i32_e64 s0, s29, v124
	v_cmp_gt_i32_e64 s1, s16, v122
	v_dual_cndmask_b32 v92, 0, v92, s0 :: v_dual_cndmask_b32 v93, 0, v93, s1
	s_or_b32 exec_lo, exec_lo, s19
	global_load_b128 v[98:101], v[94:95], off offset:11264
	s_wait_xcnt 0x0
	s_and_saveexec_b32 s19, vcc_lo
	s_cbranch_execz .LBB40_69
.LBB40_96:                              ;   in Loop: Header=BB40_45 Depth=1
	v_cmp_gt_i32_e64 s0, s29, v123
	v_cmp_gt_i32_e64 s1, s16, v125
	s_wait_loadcnt 0x0
	s_delay_alu instid0(VALU_DEP_1) | instskip(SKIP_2) | instid1(VALU_DEP_1)
	v_dual_cndmask_b32 v98, 0, v98, s0 :: v_dual_cndmask_b32 v99, 0, v99, s1
	v_cmp_gt_i32_e64 s0, s29, v124
	v_cmp_gt_i32_e64 s1, s16, v122
	v_dual_cndmask_b32 v100, 0, v100, s0 :: v_dual_cndmask_b32 v101, 0, v101, s1
	s_or_b32 exec_lo, exec_lo, s19
	global_load_b128 v[102:105], v[94:95], off offset:11776
	s_wait_xcnt 0x0
	s_and_saveexec_b32 s19, vcc_lo
	s_cbranch_execz .LBB40_70
.LBB40_97:                              ;   in Loop: Header=BB40_45 Depth=1
	v_cmp_gt_i32_e64 s0, s29, v123
	v_cmp_gt_i32_e64 s1, s16, v125
	s_wait_loadcnt 0x0
	s_delay_alu instid0(VALU_DEP_1) | instskip(SKIP_2) | instid1(VALU_DEP_1)
	v_dual_cndmask_b32 v102, 0, v102, s0 :: v_dual_cndmask_b32 v103, 0, v103, s1
	v_cmp_gt_i32_e64 s0, s29, v124
	v_cmp_gt_i32_e64 s1, s16, v122
	v_dual_cndmask_b32 v104, 0, v104, s0 :: v_dual_cndmask_b32 v105, 0, v105, s1
	s_or_b32 exec_lo, exec_lo, s19
	global_load_b128 v[106:109], v[94:95], off offset:12288
	s_wait_xcnt 0x0
	s_and_saveexec_b32 s19, vcc_lo
	s_cbranch_execz .LBB40_71
.LBB40_98:                              ;   in Loop: Header=BB40_45 Depth=1
	v_cmp_gt_i32_e64 s0, s29, v123
	v_cmp_gt_i32_e64 s1, s16, v125
	s_wait_loadcnt 0x0
	s_delay_alu instid0(VALU_DEP_1) | instskip(SKIP_2) | instid1(VALU_DEP_1)
	v_dual_cndmask_b32 v106, 0, v106, s0 :: v_dual_cndmask_b32 v107, 0, v107, s1
	v_cmp_gt_i32_e64 s0, s29, v124
	v_cmp_gt_i32_e64 s1, s16, v122
	v_dual_cndmask_b32 v108, 0, v108, s0 :: v_dual_cndmask_b32 v109, 0, v109, s1
	s_or_b32 exec_lo, exec_lo, s19
	global_load_b128 v[110:113], v[94:95], off offset:12800
	s_wait_xcnt 0x0
	s_and_saveexec_b32 s19, vcc_lo
	s_cbranch_execz .LBB40_72
.LBB40_99:                              ;   in Loop: Header=BB40_45 Depth=1
	v_cmp_gt_i32_e64 s0, s29, v123
	v_cmp_gt_i32_e64 s1, s16, v125
	s_wait_loadcnt 0x0
	s_delay_alu instid0(VALU_DEP_1) | instskip(SKIP_2) | instid1(VALU_DEP_1)
	v_dual_cndmask_b32 v110, 0, v110, s0 :: v_dual_cndmask_b32 v111, 0, v111, s1
	v_cmp_gt_i32_e64 s0, s29, v124
	v_cmp_gt_i32_e64 s1, s16, v122
	v_dual_cndmask_b32 v112, 0, v112, s0 :: v_dual_cndmask_b32 v113, 0, v113, s1
	s_or_b32 exec_lo, exec_lo, s19
	global_load_b128 v[114:117], v[94:95], off offset:13312
	s_wait_xcnt 0x0
	s_and_saveexec_b32 s19, vcc_lo
	s_cbranch_execz .LBB40_73
.LBB40_100:                             ;   in Loop: Header=BB40_45 Depth=1
	v_cmp_gt_i32_e64 s0, s29, v123
	v_cmp_gt_i32_e64 s1, s16, v125
	s_wait_loadcnt 0x0
	s_delay_alu instid0(VALU_DEP_1) | instskip(SKIP_2) | instid1(VALU_DEP_1)
	v_dual_cndmask_b32 v114, 0, v114, s0 :: v_dual_cndmask_b32 v115, 0, v115, s1
	v_cmp_gt_i32_e64 s0, s29, v124
	v_cmp_gt_i32_e64 s1, s16, v122
	v_dual_cndmask_b32 v116, 0, v116, s0 :: v_dual_cndmask_b32 v117, 0, v117, s1
	s_or_b32 exec_lo, exec_lo, s19
	global_load_b128 v[94:97], v[94:95], off offset:13824
	s_wait_xcnt 0x0
	s_and_saveexec_b32 s1, vcc_lo
	s_cbranch_execz .LBB40_43
.LBB40_101:                             ;   in Loop: Header=BB40_45 Depth=1
	v_cmp_gt_i32_e32 vcc_lo, s29, v123
	v_cmp_gt_i32_e64 s0, s16, v125
	s_wait_loadcnt 0x0
	s_delay_alu instid0(VALU_DEP_1) | instskip(SKIP_2) | instid1(VALU_DEP_1)
	v_dual_cndmask_b32 v94, 0, v94, vcc_lo :: v_dual_cndmask_b32 v95, 0, v95, s0
	v_cmp_gt_i32_e32 vcc_lo, s29, v124
	v_cmp_gt_i32_e64 s0, s16, v122
	v_dual_cndmask_b32 v96, 0, v96, vcc_lo :: v_dual_cndmask_b32 v97, 0, v97, s0
	s_branch .LBB40_43
.LBB40_102:
	s_or_b32 exec_lo, exec_lo, s17
	s_clause 0x11
	scratch_load_b32 v64, off, off offset:136
	scratch_load_b32 v114, off, off offset:140
	;; [unrolled: 1-line block ×6, first 2 shown]
	scratch_load_b64 v[52:53], off, off
	scratch_load_b64 v[48:49], off, off offset:8
	scratch_load_b64 v[50:51], off, off offset:24
	;; [unrolled: 1-line block ×11, first 2 shown]
.LBB40_103:
	s_wait_xcnt 0x0
	s_or_b32 exec_lo, exec_lo, s24
	s_wait_loadcnt 0xd
	ds_bpermute_b32 v0, v37, v126
	ds_bpermute_b32 v1, v37, v127
	;; [unrolled: 1-line block ×4, first 2 shown]
	s_wait_loadcnt 0x0
	ds_bpermute_b32 v4, v37, v18
	ds_bpermute_b32 v5, v37, v19
	;; [unrolled: 1-line block ×17, first 2 shown]
	s_wait_dscnt 0x13
	v_pk_add_f32 v[0:1], v[126:127], v[0:1]
	ds_bpermute_b32 v33, v37, v51
	s_wait_dscnt 0x12
	v_pk_add_f32 v[2:3], v[20:21], v[2:3]
	s_mov_b32 s0, exec_lo
	s_wait_dscnt 0x10
	v_pk_add_f32 v[4:5], v[18:19], v[4:5]
	s_wait_dscnt 0xe
	v_pk_add_f32 v[6:7], v[16:17], v[6:7]
	ds_bpermute_b32 v16, v54, v2
	s_wait_dscnt 0xd
	v_pk_add_f32 v[8:9], v[14:15], v[8:9]
	ds_bpermute_b32 v14, v54, v0
	ds_bpermute_b32 v15, v54, v1
	;; [unrolled: 1-line block ×5, first 2 shown]
	s_wait_dscnt 0x10
	v_pk_add_f32 v[10:11], v[28:29], v[10:11]
	s_wait_dscnt 0xe
	v_pk_add_f32 v[12:13], v[30:31], v[12:13]
	ds_bpermute_b32 v20, v54, v6
	ds_bpermute_b32 v21, v54, v7
	;; [unrolled: 1-line block ×6, first 2 shown]
	s_wait_dscnt 0x12
	v_pk_add_f32 v[24:25], v[40:41], v[24:25]
	ds_bpermute_b32 v40, v37, v52
	ds_bpermute_b32 v41, v37, v53
	;; [unrolled: 1-line block ×6, first 2 shown]
	s_wait_dscnt 0x14
	v_pk_add_f32 v[26:27], v[42:43], v[26:27]
	s_wait_dscnt 0xf
	v_pk_add_f32 v[14:15], v[0:1], v[14:15]
	;; [unrolled: 2-line block ×3, first 2 shown]
	ds_bpermute_b32 v42, v54, v24
	s_wait_dscnt 0xd
	v_pk_add_f32 v[2:3], v[4:5], v[18:19]
	ds_bpermute_b32 v18, v37, v56
	ds_bpermute_b32 v19, v37, v57
	ds_bpermute_b32 v43, v54, v25
	s_wait_dscnt 0xe
	v_pk_add_f32 v[4:5], v[6:7], v[20:21]
	v_pk_add_f32 v[32:33], v[50:51], v[32:33]
	ds_bpermute_b32 v16, v65, v0
	s_wait_dscnt 0xc
	v_pk_add_f32 v[30:31], v[10:11], v[30:31]
	s_wait_dscnt 0xb
	v_pk_add_f32 v[6:7], v[8:9], v[22:23]
	ds_bpermute_b32 v8, v65, v14
	ds_bpermute_b32 v9, v65, v15
	v_pk_add_f32 v[10:11], v[48:49], v[34:35]
	s_wait_dscnt 0xb
	v_pk_add_f32 v[40:41], v[52:53], v[40:41]
	ds_bpermute_b32 v52, v65, v30
	ds_bpermute_b32 v53, v65, v31
	s_wait_dscnt 0xb
	v_pk_add_f32 v[28:29], v[44:45], v[28:29]
	ds_bpermute_b32 v44, v54, v26
	ds_bpermute_b32 v45, v54, v27
	;; [unrolled: 1-line block ×6, first 2 shown]
	s_wait_dscnt 0xc
	v_pk_add_f32 v[18:19], v[56:57], v[18:19]
	ds_bpermute_b32 v50, v54, v10
	ds_bpermute_b32 v51, v54, v11
	v_pk_add_f32 v[12:13], v[12:13], v[38:39]
	s_wait_dscnt 0xd
	v_pk_add_f32 v[38:39], v[24:25], v[42:43]
	ds_bpermute_b32 v34, v54, v18
	ds_bpermute_b32 v35, v54, v19
	;; [unrolled: 1-line block ×10, first 2 shown]
	s_wait_dscnt 0x10
	v_pk_add_f32 v[44:45], v[26:27], v[44:45]
	ds_bpermute_b32 v37, v65, v7
	s_wait_dscnt 0xf
	v_pk_add_f32 v[32:33], v[32:33], v[48:49]
	ds_bpermute_b32 v42, v65, v12
	;; [unrolled: 3-line block ×3, first 2 shown]
	ds_bpermute_b32 v54, v65, v38
	s_wait_dscnt 0xe
	v_pk_add_f32 v[48:49], v[10:11], v[50:51]
	ds_bpermute_b32 v55, v65, v39
	ds_bpermute_b32 v56, v65, v44
	;; [unrolled: 1-line block ×3, first 2 shown]
	s_wait_dscnt 0xf
	v_pk_add_f32 v[34:35], v[18:19], v[34:35]
	v_pk_add_f32 v[18:19], v[14:15], v[8:9]
	;; [unrolled: 1-line block ×3, first 2 shown]
	scratch_load_b32 v30, off, off offset:120 th:TH_LOAD_LU ; 4-byte Folded Reload
	ds_bpermute_b32 v58, v65, v46
	ds_bpermute_b32 v59, v65, v47
	;; [unrolled: 1-line block ×8, first 2 shown]
	s_wait_dscnt 0x15
	v_pk_add_f32 v[26:27], v[40:41], v[24:25]
	s_wait_dscnt 0x14
	v_pk_add_f32 v[24:25], v[0:1], v[16:17]
	;; [unrolled: 2-line block ×5, first 2 shown]
	ds_bpermute_b32 v28, v65, v26
	ds_bpermute_b32 v29, v65, v27
	s_wait_dscnt 0xe
	v_pk_add_f32 v[6:7], v[12:13], v[42:43]
	s_wait_dscnt 0xc
	v_pk_add_f32 v[4:5], v[38:39], v[54:55]
	;; [unrolled: 2-line block ×3, first 2 shown]
	v_and_b32_e32 v31, 0x3c7, v64
	s_wait_storecnt 0x0
	s_wait_loadcnt_dscnt 0x0
	s_barrier_signal -1
	v_pk_add_f32 v[0:1], v[46:47], v[58:59]
	s_barrier_wait -1
	v_pk_add_f32 v[22:23], v[34:35], v[50:51]
	v_pk_add_f32 v[16:17], v[32:33], v[60:61]
	;; [unrolled: 1-line block ×3, first 2 shown]
	v_lshrrev_b32_e32 v30, 3, v30
	v_cmpx_ne_u32_e32 64, v31
	s_xor_b32 s0, exec_lo, s0
	s_delay_alu instid0(SALU_CYCLE_1)
	s_or_saveexec_b32 s0, s0
	v_pk_add_f32 v[26:27], v[26:27], v[28:29]
	v_lshl_add_u32 v29, v30, 2, 0x1e0
	v_mul_u32_u24_e32 v28, 0x1c0, v114
	s_xor_b32 exec_lo, exec_lo, s0
	s_cbranch_execz .LBB40_105
; %bb.104:
	s_delay_alu instid0(VALU_DEP_1) | instskip(NEXT) | instid1(VALU_DEP_1)
	v_add_nc_u32_e32 v31, v29, v28
	v_add_nc_u32_e32 v32, 0xfffffc80, v31
	;; [unrolled: 1-line block ×9, first 2 shown]
	ds_store_b32 v32, v18
	ds_store_b32 v33, v19
	;; [unrolled: 1-line block ×8, first 2 shown]
	v_add_nc_u32_e32 v32, 0xfffffd00, v31
	v_add_nc_u32_e32 v33, 0xfffffd10, v31
	;; [unrolled: 1-line block ×8, first 2 shown]
	ds_store_b32 v32, v10
	ds_store_b32 v33, v11
	;; [unrolled: 1-line block ×8, first 2 shown]
	v_add_nc_u32_e32 v32, 0xfffffd80, v31
	v_add_nc_u32_e32 v33, 0xfffffd90, v31
	;; [unrolled: 1-line block ×12, first 2 shown]
	ds_store_b32 v32, v2
	ds_store_b32 v33, v3
	;; [unrolled: 1-line block ×12, first 2 shown]
.LBB40_105:
	s_or_b32 exec_lo, exec_lo, s0
	v_lshlrev_b32_e32 v30, 2, v30
	s_mov_b32 s1, exec_lo
	v_cmp_eq_u32_e32 vcc_lo, 0, v66
	s_wait_dscnt 0x0
	s_barrier_signal -1
	v_add3_u32 v28, 0x1e0, v28, v30
	s_barrier_wait -1
	v_cmpx_gt_u32_e32 64, v64
	s_cbranch_execz .LBB40_136
; %bb.106:
	s_and_saveexec_b32 s0, vcc_lo
	s_cbranch_execnz .LBB40_172
; %bb.107:
	s_or_b32 exec_lo, exec_lo, s0
	s_and_saveexec_b32 s0, vcc_lo
	s_cbranch_execnz .LBB40_173
.LBB40_108:
	s_or_b32 exec_lo, exec_lo, s0
	s_and_saveexec_b32 s0, vcc_lo
	s_cbranch_execnz .LBB40_174
.LBB40_109:
	s_or_b32 exec_lo, exec_lo, s0
	s_and_saveexec_b32 s0, vcc_lo
	s_cbranch_execnz .LBB40_175
.LBB40_110:
	s_or_b32 exec_lo, exec_lo, s0
	s_and_saveexec_b32 s0, vcc_lo
	s_cbranch_execnz .LBB40_176
.LBB40_111:
	s_or_b32 exec_lo, exec_lo, s0
	s_and_saveexec_b32 s0, vcc_lo
	s_cbranch_execnz .LBB40_177
.LBB40_112:
	s_or_b32 exec_lo, exec_lo, s0
	s_and_saveexec_b32 s0, vcc_lo
	s_cbranch_execnz .LBB40_178
.LBB40_113:
	s_or_b32 exec_lo, exec_lo, s0
	s_and_saveexec_b32 s0, vcc_lo
	s_cbranch_execnz .LBB40_179
.LBB40_114:
	s_or_b32 exec_lo, exec_lo, s0
	s_and_saveexec_b32 s0, vcc_lo
	s_cbranch_execnz .LBB40_180
.LBB40_115:
	s_or_b32 exec_lo, exec_lo, s0
	s_and_saveexec_b32 s0, vcc_lo
	s_cbranch_execnz .LBB40_181
.LBB40_116:
	s_or_b32 exec_lo, exec_lo, s0
	s_and_saveexec_b32 s0, vcc_lo
	s_cbranch_execnz .LBB40_182
.LBB40_117:
	s_or_b32 exec_lo, exec_lo, s0
	s_and_saveexec_b32 s0, vcc_lo
	s_cbranch_execnz .LBB40_183
.LBB40_118:
	s_or_b32 exec_lo, exec_lo, s0
	s_and_saveexec_b32 s0, vcc_lo
	s_cbranch_execnz .LBB40_184
.LBB40_119:
	s_or_b32 exec_lo, exec_lo, s0
	s_and_saveexec_b32 s0, vcc_lo
	s_cbranch_execnz .LBB40_185
.LBB40_120:
	s_or_b32 exec_lo, exec_lo, s0
	s_and_saveexec_b32 s0, vcc_lo
	s_cbranch_execnz .LBB40_186
.LBB40_121:
	s_or_b32 exec_lo, exec_lo, s0
	s_and_saveexec_b32 s0, vcc_lo
	s_cbranch_execnz .LBB40_187
.LBB40_122:
	s_or_b32 exec_lo, exec_lo, s0
	s_and_saveexec_b32 s0, vcc_lo
	s_cbranch_execnz .LBB40_188
.LBB40_123:
	s_or_b32 exec_lo, exec_lo, s0
	s_and_saveexec_b32 s0, vcc_lo
	s_cbranch_execnz .LBB40_189
.LBB40_124:
	s_or_b32 exec_lo, exec_lo, s0
	s_and_saveexec_b32 s0, vcc_lo
	s_cbranch_execnz .LBB40_190
.LBB40_125:
	s_or_b32 exec_lo, exec_lo, s0
	s_and_saveexec_b32 s0, vcc_lo
	s_cbranch_execnz .LBB40_191
.LBB40_126:
	s_or_b32 exec_lo, exec_lo, s0
	s_and_saveexec_b32 s0, vcc_lo
	s_cbranch_execnz .LBB40_192
.LBB40_127:
	s_or_b32 exec_lo, exec_lo, s0
	s_and_saveexec_b32 s0, vcc_lo
	s_cbranch_execnz .LBB40_193
.LBB40_128:
	s_or_b32 exec_lo, exec_lo, s0
	s_and_saveexec_b32 s0, vcc_lo
	s_cbranch_execnz .LBB40_194
.LBB40_129:
	s_or_b32 exec_lo, exec_lo, s0
	s_and_saveexec_b32 s0, vcc_lo
	s_cbranch_execnz .LBB40_195
.LBB40_130:
	s_or_b32 exec_lo, exec_lo, s0
	s_and_saveexec_b32 s0, vcc_lo
	s_cbranch_execnz .LBB40_196
.LBB40_131:
	s_or_b32 exec_lo, exec_lo, s0
	s_and_saveexec_b32 s0, vcc_lo
	s_cbranch_execnz .LBB40_197
.LBB40_132:
	s_or_b32 exec_lo, exec_lo, s0
	s_and_saveexec_b32 s0, vcc_lo
	s_cbranch_execnz .LBB40_198
.LBB40_133:
	s_or_b32 exec_lo, exec_lo, s0
	s_and_saveexec_b32 s0, vcc_lo
	s_cbranch_execz .LBB40_135
.LBB40_134:
	ds_load_b32 v30, v28 offset:432
	s_wait_dscnt 0x0
	v_add_f32_e32 v27, v27, v30
.LBB40_135:
	s_or_b32 exec_lo, exec_lo, s0
.LBB40_136:
	s_delay_alu instid0(SALU_CYCLE_1) | instskip(SKIP_4) | instid1(VALU_DEP_1)
	s_or_b32 exec_lo, exec_lo, s1
	v_and_b32_e32 v30, 0x3e7, v64
	s_mov_b32 s1, exec_lo
	s_barrier_signal -1
	s_barrier_wait -1
	v_cmpx_eq_u32_e32 32, v30
	s_cbranch_execz .LBB40_138
; %bb.137:
	ds_store_2addr_b32 v29, v18, v19 offset1:4
	ds_store_2addr_b32 v29, v24, v25 offset0:8 offset1:12
	ds_store_2addr_b32 v29, v20, v21 offset0:16 offset1:20
	;; [unrolled: 1-line block ×13, first 2 shown]
.LBB40_138:
	s_or_b32 exec_lo, exec_lo, s1
	s_delay_alu instid0(SALU_CYCLE_1)
	s_mov_b32 s1, exec_lo
	s_wait_dscnt 0x0
	s_barrier_signal -1
	s_barrier_wait -1
	v_cmpx_gt_u32_e32 32, v64
	s_cbranch_execz .LBB40_169
; %bb.139:
	s_and_saveexec_b32 s0, vcc_lo
	s_cbranch_execnz .LBB40_199
; %bb.140:
	s_or_b32 exec_lo, exec_lo, s0
	s_and_saveexec_b32 s0, vcc_lo
	s_cbranch_execnz .LBB40_200
.LBB40_141:
	s_or_b32 exec_lo, exec_lo, s0
	s_and_saveexec_b32 s0, vcc_lo
	s_cbranch_execnz .LBB40_201
.LBB40_142:
	s_or_b32 exec_lo, exec_lo, s0
	s_and_saveexec_b32 s0, vcc_lo
	s_cbranch_execnz .LBB40_202
.LBB40_143:
	s_or_b32 exec_lo, exec_lo, s0
	s_and_saveexec_b32 s0, vcc_lo
	s_cbranch_execnz .LBB40_203
.LBB40_144:
	s_or_b32 exec_lo, exec_lo, s0
	s_and_saveexec_b32 s0, vcc_lo
	s_cbranch_execnz .LBB40_204
.LBB40_145:
	s_or_b32 exec_lo, exec_lo, s0
	s_and_saveexec_b32 s0, vcc_lo
	s_cbranch_execnz .LBB40_205
.LBB40_146:
	s_or_b32 exec_lo, exec_lo, s0
	s_and_saveexec_b32 s0, vcc_lo
	s_cbranch_execnz .LBB40_206
.LBB40_147:
	s_or_b32 exec_lo, exec_lo, s0
	s_and_saveexec_b32 s0, vcc_lo
	s_cbranch_execnz .LBB40_207
.LBB40_148:
	s_or_b32 exec_lo, exec_lo, s0
	s_and_saveexec_b32 s0, vcc_lo
	s_cbranch_execnz .LBB40_208
.LBB40_149:
	s_or_b32 exec_lo, exec_lo, s0
	s_and_saveexec_b32 s0, vcc_lo
	s_cbranch_execnz .LBB40_209
.LBB40_150:
	s_or_b32 exec_lo, exec_lo, s0
	s_and_saveexec_b32 s0, vcc_lo
	s_cbranch_execnz .LBB40_210
.LBB40_151:
	s_or_b32 exec_lo, exec_lo, s0
	s_and_saveexec_b32 s0, vcc_lo
	s_cbranch_execnz .LBB40_211
.LBB40_152:
	s_or_b32 exec_lo, exec_lo, s0
	s_and_saveexec_b32 s0, vcc_lo
	s_cbranch_execnz .LBB40_212
.LBB40_153:
	s_or_b32 exec_lo, exec_lo, s0
	s_and_saveexec_b32 s0, vcc_lo
	s_cbranch_execnz .LBB40_213
.LBB40_154:
	s_or_b32 exec_lo, exec_lo, s0
	s_and_saveexec_b32 s0, vcc_lo
	s_cbranch_execnz .LBB40_214
.LBB40_155:
	s_or_b32 exec_lo, exec_lo, s0
	s_and_saveexec_b32 s0, vcc_lo
	s_cbranch_execnz .LBB40_215
.LBB40_156:
	s_or_b32 exec_lo, exec_lo, s0
	s_and_saveexec_b32 s0, vcc_lo
	s_cbranch_execnz .LBB40_216
.LBB40_157:
	s_or_b32 exec_lo, exec_lo, s0
	s_and_saveexec_b32 s0, vcc_lo
	s_cbranch_execnz .LBB40_217
.LBB40_158:
	s_or_b32 exec_lo, exec_lo, s0
	s_and_saveexec_b32 s0, vcc_lo
	s_cbranch_execnz .LBB40_218
.LBB40_159:
	s_or_b32 exec_lo, exec_lo, s0
	s_and_saveexec_b32 s0, vcc_lo
	s_cbranch_execnz .LBB40_219
.LBB40_160:
	s_or_b32 exec_lo, exec_lo, s0
	s_and_saveexec_b32 s0, vcc_lo
	s_cbranch_execnz .LBB40_220
.LBB40_161:
	s_or_b32 exec_lo, exec_lo, s0
	s_and_saveexec_b32 s0, vcc_lo
	s_cbranch_execnz .LBB40_221
.LBB40_162:
	s_or_b32 exec_lo, exec_lo, s0
	s_and_saveexec_b32 s0, vcc_lo
	s_cbranch_execnz .LBB40_222
.LBB40_163:
	s_or_b32 exec_lo, exec_lo, s0
	s_and_saveexec_b32 s0, vcc_lo
	s_cbranch_execnz .LBB40_223
.LBB40_164:
	s_or_b32 exec_lo, exec_lo, s0
	s_and_saveexec_b32 s0, vcc_lo
	s_cbranch_execnz .LBB40_224
.LBB40_165:
	s_or_b32 exec_lo, exec_lo, s0
	s_and_saveexec_b32 s0, vcc_lo
	s_cbranch_execnz .LBB40_225
.LBB40_166:
	s_or_b32 exec_lo, exec_lo, s0
	s_and_saveexec_b32 s0, vcc_lo
	s_cbranch_execz .LBB40_168
.LBB40_167:
	ds_load_b32 v28, v28 offset:432
	s_wait_dscnt 0x0
	v_add_f32_e32 v27, v27, v28
.LBB40_168:
	s_or_b32 exec_lo, exec_lo, s0
.LBB40_169:
	s_delay_alu instid0(SALU_CYCLE_1)
	s_or_b32 exec_lo, exec_lo, s1
	s_mov_b32 s1, 0
	s_barrier_signal -1
	s_barrier_wait -1
	s_mov_b32 s0, exec_lo
	v_cmpx_eq_u32_e32 0, v30
	s_cbranch_execz .LBB40_171
; %bb.170:
	s_mul_i32 s0, s28, s7
	s_mul_i32 s2, s7, s12
	;; [unrolled: 1-line block ×3, first 2 shown]
	s_lshr_b32 s6, ttmp7, 16
	s_mul_i32 s4, s0, 0x70
	s_bfe_u32 s0, ttmp6, 0x40014
	s_ashr_i32 s5, s4, 31
	s_add_co_i32 s0, s0, 1
	s_ashr_i32 s3, s2, 31
	s_mul_i32 s0, s6, s0
	s_bfe_u32 s7, ttmp6, 0x40008
	s_lshl_b64 s[4:5], s[4:5], 2
	s_lshl_b64 s[2:3], s[2:3], 2
	s_add_co_i32 s7, s7, s0
	s_cmp_eq_u32 s26, 0
	s_wait_kmcnt 0x0
	s_add_nc_u64 s[4:5], s[10:11], s[4:5]
	s_cselect_b32 s0, s6, s7
	v_lshrrev_b32_e32 v28, 1, v64
	s_add_nc_u64 s[2:3], s[4:5], s[2:3]
	s_mulk_i32 s0, 0x1c0
	s_delay_alu instid0(SALU_CYCLE_1)
	s_add_nc_u64 s[0:1], s[2:3], s[0:1]
	s_clause 0x1b
	global_store_b32 v28, v18, s[0:1]
	global_store_b32 v28, v19, s[0:1] offset:16
	global_store_b32 v28, v24, s[0:1] offset:32
	;; [unrolled: 1-line block ×27, first 2 shown]
.LBB40_171:
	s_sendmsg sendmsg(MSG_DEALLOC_VGPRS)
	s_endpgm
.LBB40_172:
	ds_load_b32 v30, v28
	s_wait_dscnt 0x0
	v_add_f32_e32 v18, v18, v30
	s_or_b32 exec_lo, exec_lo, s0
	s_and_saveexec_b32 s0, vcc_lo
	s_cbranch_execz .LBB40_108
.LBB40_173:
	ds_load_b32 v30, v28 offset:16
	s_wait_dscnt 0x0
	v_add_f32_e32 v19, v19, v30
	s_or_b32 exec_lo, exec_lo, s0
	s_and_saveexec_b32 s0, vcc_lo
	s_cbranch_execz .LBB40_109
.LBB40_174:
	ds_load_b32 v30, v28 offset:32
	s_wait_dscnt 0x0
	v_add_f32_e32 v24, v24, v30
	s_or_b32 exec_lo, exec_lo, s0
	s_and_saveexec_b32 s0, vcc_lo
	s_cbranch_execz .LBB40_110
.LBB40_175:
	ds_load_b32 v30, v28 offset:48
	s_wait_dscnt 0x0
	v_add_f32_e32 v25, v25, v30
	s_or_b32 exec_lo, exec_lo, s0
	s_and_saveexec_b32 s0, vcc_lo
	s_cbranch_execz .LBB40_111
.LBB40_176:
	ds_load_b32 v30, v28 offset:64
	s_wait_dscnt 0x0
	v_add_f32_e32 v20, v20, v30
	s_or_b32 exec_lo, exec_lo, s0
	s_and_saveexec_b32 s0, vcc_lo
	s_cbranch_execz .LBB40_112
.LBB40_177:
	ds_load_b32 v30, v28 offset:80
	s_wait_dscnt 0x0
	v_add_f32_e32 v21, v21, v30
	s_or_b32 exec_lo, exec_lo, s0
	s_and_saveexec_b32 s0, vcc_lo
	s_cbranch_execz .LBB40_113
.LBB40_178:
	ds_load_b32 v30, v28 offset:96
	s_wait_dscnt 0x0
	v_add_f32_e32 v14, v14, v30
	s_or_b32 exec_lo, exec_lo, s0
	s_and_saveexec_b32 s0, vcc_lo
	s_cbranch_execz .LBB40_114
.LBB40_179:
	ds_load_b32 v30, v28 offset:112
	s_wait_dscnt 0x0
	v_add_f32_e32 v15, v15, v30
	s_or_b32 exec_lo, exec_lo, s0
	s_and_saveexec_b32 s0, vcc_lo
	s_cbranch_execz .LBB40_115
.LBB40_180:
	ds_load_b32 v30, v28 offset:128
	s_wait_dscnt 0x0
	v_add_f32_e32 v10, v10, v30
	s_or_b32 exec_lo, exec_lo, s0
	s_and_saveexec_b32 s0, vcc_lo
	s_cbranch_execz .LBB40_116
.LBB40_181:
	ds_load_b32 v30, v28 offset:144
	s_wait_dscnt 0x0
	v_add_f32_e32 v11, v11, v30
	s_or_b32 exec_lo, exec_lo, s0
	s_and_saveexec_b32 s0, vcc_lo
	s_cbranch_execz .LBB40_117
.LBB40_182:
	ds_load_b32 v30, v28 offset:160
	s_wait_dscnt 0x0
	v_add_f32_e32 v8, v8, v30
	s_or_b32 exec_lo, exec_lo, s0
	s_and_saveexec_b32 s0, vcc_lo
	s_cbranch_execz .LBB40_118
.LBB40_183:
	ds_load_b32 v30, v28 offset:176
	s_wait_dscnt 0x0
	v_add_f32_e32 v9, v9, v30
	s_or_b32 exec_lo, exec_lo, s0
	s_and_saveexec_b32 s0, vcc_lo
	s_cbranch_execz .LBB40_119
.LBB40_184:
	ds_load_b32 v30, v28 offset:192
	s_wait_dscnt 0x0
	v_add_f32_e32 v6, v6, v30
	s_or_b32 exec_lo, exec_lo, s0
	s_and_saveexec_b32 s0, vcc_lo
	s_cbranch_execz .LBB40_120
.LBB40_185:
	ds_load_b32 v30, v28 offset:208
	s_wait_dscnt 0x0
	v_add_f32_e32 v7, v7, v30
	s_or_b32 exec_lo, exec_lo, s0
	s_and_saveexec_b32 s0, vcc_lo
	s_cbranch_execz .LBB40_121
.LBB40_186:
	ds_load_b32 v30, v28 offset:224
	s_wait_dscnt 0x0
	v_add_f32_e32 v4, v4, v30
	s_or_b32 exec_lo, exec_lo, s0
	s_and_saveexec_b32 s0, vcc_lo
	s_cbranch_execz .LBB40_122
.LBB40_187:
	ds_load_b32 v30, v28 offset:240
	s_wait_dscnt 0x0
	v_add_f32_e32 v5, v5, v30
	s_or_b32 exec_lo, exec_lo, s0
	s_and_saveexec_b32 s0, vcc_lo
	s_cbranch_execz .LBB40_123
.LBB40_188:
	ds_load_b32 v30, v28 offset:256
	s_wait_dscnt 0x0
	v_add_f32_e32 v2, v2, v30
	s_or_b32 exec_lo, exec_lo, s0
	s_and_saveexec_b32 s0, vcc_lo
	s_cbranch_execz .LBB40_124
.LBB40_189:
	ds_load_b32 v30, v28 offset:272
	s_wait_dscnt 0x0
	v_add_f32_e32 v3, v3, v30
	s_or_b32 exec_lo, exec_lo, s0
	s_and_saveexec_b32 s0, vcc_lo
	s_cbranch_execz .LBB40_125
.LBB40_190:
	ds_load_b32 v30, v28 offset:288
	s_wait_dscnt 0x0
	v_add_f32_e32 v0, v0, v30
	s_or_b32 exec_lo, exec_lo, s0
	s_and_saveexec_b32 s0, vcc_lo
	s_cbranch_execz .LBB40_126
.LBB40_191:
	ds_load_b32 v30, v28 offset:304
	s_wait_dscnt 0x0
	v_add_f32_e32 v1, v1, v30
	s_or_b32 exec_lo, exec_lo, s0
	s_and_saveexec_b32 s0, vcc_lo
	s_cbranch_execz .LBB40_127
.LBB40_192:
	ds_load_b32 v30, v28 offset:320
	s_wait_dscnt 0x0
	v_add_f32_e32 v22, v22, v30
	s_or_b32 exec_lo, exec_lo, s0
	s_and_saveexec_b32 s0, vcc_lo
	s_cbranch_execz .LBB40_128
.LBB40_193:
	ds_load_b32 v30, v28 offset:336
	s_wait_dscnt 0x0
	v_add_f32_e32 v23, v23, v30
	s_or_b32 exec_lo, exec_lo, s0
	s_and_saveexec_b32 s0, vcc_lo
	s_cbranch_execz .LBB40_129
.LBB40_194:
	ds_load_b32 v30, v28 offset:352
	s_wait_dscnt 0x0
	v_add_f32_e32 v16, v16, v30
	s_or_b32 exec_lo, exec_lo, s0
	s_and_saveexec_b32 s0, vcc_lo
	s_cbranch_execz .LBB40_130
.LBB40_195:
	ds_load_b32 v30, v28 offset:368
	s_wait_dscnt 0x0
	v_add_f32_e32 v17, v17, v30
	s_or_b32 exec_lo, exec_lo, s0
	s_and_saveexec_b32 s0, vcc_lo
	s_cbranch_execz .LBB40_131
.LBB40_196:
	ds_load_b32 v30, v28 offset:384
	s_wait_dscnt 0x0
	v_add_f32_e32 v12, v12, v30
	s_or_b32 exec_lo, exec_lo, s0
	s_and_saveexec_b32 s0, vcc_lo
	s_cbranch_execz .LBB40_132
.LBB40_197:
	ds_load_b32 v30, v28 offset:400
	s_wait_dscnt 0x0
	v_add_f32_e32 v13, v13, v30
	s_or_b32 exec_lo, exec_lo, s0
	s_and_saveexec_b32 s0, vcc_lo
	s_cbranch_execz .LBB40_133
.LBB40_198:
	ds_load_b32 v30, v28 offset:416
	s_wait_dscnt 0x0
	v_add_f32_e32 v26, v26, v30
	s_or_b32 exec_lo, exec_lo, s0
	s_and_saveexec_b32 s0, vcc_lo
	s_cbranch_execnz .LBB40_134
	s_branch .LBB40_135
.LBB40_199:
	ds_load_b32 v29, v28
	s_wait_dscnt 0x0
	v_add_f32_e32 v18, v18, v29
	s_or_b32 exec_lo, exec_lo, s0
	s_and_saveexec_b32 s0, vcc_lo
	s_cbranch_execz .LBB40_141
.LBB40_200:
	ds_load_b32 v29, v28 offset:16
	s_wait_dscnt 0x0
	v_add_f32_e32 v19, v19, v29
	s_or_b32 exec_lo, exec_lo, s0
	s_and_saveexec_b32 s0, vcc_lo
	s_cbranch_execz .LBB40_142
.LBB40_201:
	ds_load_b32 v29, v28 offset:32
	s_wait_dscnt 0x0
	v_add_f32_e32 v24, v24, v29
	s_or_b32 exec_lo, exec_lo, s0
	s_and_saveexec_b32 s0, vcc_lo
	s_cbranch_execz .LBB40_143
.LBB40_202:
	ds_load_b32 v29, v28 offset:48
	s_wait_dscnt 0x0
	v_add_f32_e32 v25, v25, v29
	s_or_b32 exec_lo, exec_lo, s0
	s_and_saveexec_b32 s0, vcc_lo
	s_cbranch_execz .LBB40_144
.LBB40_203:
	ds_load_b32 v29, v28 offset:64
	s_wait_dscnt 0x0
	v_add_f32_e32 v20, v20, v29
	s_or_b32 exec_lo, exec_lo, s0
	s_and_saveexec_b32 s0, vcc_lo
	s_cbranch_execz .LBB40_145
.LBB40_204:
	ds_load_b32 v29, v28 offset:80
	s_wait_dscnt 0x0
	v_add_f32_e32 v21, v21, v29
	s_or_b32 exec_lo, exec_lo, s0
	s_and_saveexec_b32 s0, vcc_lo
	s_cbranch_execz .LBB40_146
.LBB40_205:
	ds_load_b32 v29, v28 offset:96
	s_wait_dscnt 0x0
	v_add_f32_e32 v14, v14, v29
	s_or_b32 exec_lo, exec_lo, s0
	s_and_saveexec_b32 s0, vcc_lo
	s_cbranch_execz .LBB40_147
.LBB40_206:
	ds_load_b32 v29, v28 offset:112
	s_wait_dscnt 0x0
	v_add_f32_e32 v15, v15, v29
	s_or_b32 exec_lo, exec_lo, s0
	s_and_saveexec_b32 s0, vcc_lo
	s_cbranch_execz .LBB40_148
.LBB40_207:
	ds_load_b32 v29, v28 offset:128
	s_wait_dscnt 0x0
	v_add_f32_e32 v10, v10, v29
	s_or_b32 exec_lo, exec_lo, s0
	s_and_saveexec_b32 s0, vcc_lo
	s_cbranch_execz .LBB40_149
.LBB40_208:
	ds_load_b32 v29, v28 offset:144
	s_wait_dscnt 0x0
	v_add_f32_e32 v11, v11, v29
	s_or_b32 exec_lo, exec_lo, s0
	s_and_saveexec_b32 s0, vcc_lo
	s_cbranch_execz .LBB40_150
.LBB40_209:
	ds_load_b32 v29, v28 offset:160
	s_wait_dscnt 0x0
	v_add_f32_e32 v8, v8, v29
	s_or_b32 exec_lo, exec_lo, s0
	s_and_saveexec_b32 s0, vcc_lo
	s_cbranch_execz .LBB40_151
.LBB40_210:
	ds_load_b32 v29, v28 offset:176
	s_wait_dscnt 0x0
	v_add_f32_e32 v9, v9, v29
	s_or_b32 exec_lo, exec_lo, s0
	s_and_saveexec_b32 s0, vcc_lo
	s_cbranch_execz .LBB40_152
.LBB40_211:
	ds_load_b32 v29, v28 offset:192
	s_wait_dscnt 0x0
	v_add_f32_e32 v6, v6, v29
	s_or_b32 exec_lo, exec_lo, s0
	s_and_saveexec_b32 s0, vcc_lo
	s_cbranch_execz .LBB40_153
.LBB40_212:
	ds_load_b32 v29, v28 offset:208
	s_wait_dscnt 0x0
	v_add_f32_e32 v7, v7, v29
	s_or_b32 exec_lo, exec_lo, s0
	s_and_saveexec_b32 s0, vcc_lo
	s_cbranch_execz .LBB40_154
.LBB40_213:
	ds_load_b32 v29, v28 offset:224
	s_wait_dscnt 0x0
	v_add_f32_e32 v4, v4, v29
	s_or_b32 exec_lo, exec_lo, s0
	s_and_saveexec_b32 s0, vcc_lo
	s_cbranch_execz .LBB40_155
.LBB40_214:
	ds_load_b32 v29, v28 offset:240
	s_wait_dscnt 0x0
	v_add_f32_e32 v5, v5, v29
	s_or_b32 exec_lo, exec_lo, s0
	s_and_saveexec_b32 s0, vcc_lo
	s_cbranch_execz .LBB40_156
.LBB40_215:
	ds_load_b32 v29, v28 offset:256
	s_wait_dscnt 0x0
	v_add_f32_e32 v2, v2, v29
	s_or_b32 exec_lo, exec_lo, s0
	s_and_saveexec_b32 s0, vcc_lo
	s_cbranch_execz .LBB40_157
.LBB40_216:
	ds_load_b32 v29, v28 offset:272
	s_wait_dscnt 0x0
	v_add_f32_e32 v3, v3, v29
	s_or_b32 exec_lo, exec_lo, s0
	s_and_saveexec_b32 s0, vcc_lo
	s_cbranch_execz .LBB40_158
.LBB40_217:
	ds_load_b32 v29, v28 offset:288
	s_wait_dscnt 0x0
	v_add_f32_e32 v0, v0, v29
	s_or_b32 exec_lo, exec_lo, s0
	s_and_saveexec_b32 s0, vcc_lo
	s_cbranch_execz .LBB40_159
.LBB40_218:
	ds_load_b32 v29, v28 offset:304
	s_wait_dscnt 0x0
	v_add_f32_e32 v1, v1, v29
	s_or_b32 exec_lo, exec_lo, s0
	s_and_saveexec_b32 s0, vcc_lo
	s_cbranch_execz .LBB40_160
.LBB40_219:
	ds_load_b32 v29, v28 offset:320
	s_wait_dscnt 0x0
	v_add_f32_e32 v22, v22, v29
	s_or_b32 exec_lo, exec_lo, s0
	s_and_saveexec_b32 s0, vcc_lo
	s_cbranch_execz .LBB40_161
.LBB40_220:
	ds_load_b32 v29, v28 offset:336
	s_wait_dscnt 0x0
	v_add_f32_e32 v23, v23, v29
	s_or_b32 exec_lo, exec_lo, s0
	s_and_saveexec_b32 s0, vcc_lo
	s_cbranch_execz .LBB40_162
.LBB40_221:
	ds_load_b32 v29, v28 offset:352
	s_wait_dscnt 0x0
	v_add_f32_e32 v16, v16, v29
	s_or_b32 exec_lo, exec_lo, s0
	s_and_saveexec_b32 s0, vcc_lo
	s_cbranch_execz .LBB40_163
.LBB40_222:
	ds_load_b32 v29, v28 offset:368
	s_wait_dscnt 0x0
	v_add_f32_e32 v17, v17, v29
	s_or_b32 exec_lo, exec_lo, s0
	s_and_saveexec_b32 s0, vcc_lo
	s_cbranch_execz .LBB40_164
.LBB40_223:
	ds_load_b32 v29, v28 offset:384
	s_wait_dscnt 0x0
	v_add_f32_e32 v12, v12, v29
	s_or_b32 exec_lo, exec_lo, s0
	s_and_saveexec_b32 s0, vcc_lo
	s_cbranch_execz .LBB40_165
.LBB40_224:
	ds_load_b32 v29, v28 offset:400
	s_wait_dscnt 0x0
	v_add_f32_e32 v13, v13, v29
	s_or_b32 exec_lo, exec_lo, s0
	s_and_saveexec_b32 s0, vcc_lo
	s_cbranch_execz .LBB40_166
.LBB40_225:
	ds_load_b32 v29, v28 offset:416
	s_wait_dscnt 0x0
	v_add_f32_e32 v26, v26, v29
	s_or_b32 exec_lo, exec_lo, s0
	s_and_saveexec_b32 s0, vcc_lo
	s_cbranch_execnz .LBB40_167
	s_branch .LBB40_168
	.section	.rodata,"a",@progbits
	.p2align	6, 0x0
	.amdhsa_kernel _ZN4vllm25paged_attention_v1_kernelIffLi112ELi32ELi128ELNS_18Fp8KVCacheDataTypeE0ELb1EEEvPT_PKS2_PKT0_S8_ifPKiSA_iPKfiiiSC_SC_iiiii
		.amdhsa_group_segment_fixed_size 480
		.amdhsa_private_segment_fixed_size 164
		.amdhsa_kernarg_size 384
		.amdhsa_user_sgpr_count 2
		.amdhsa_user_sgpr_dispatch_ptr 0
		.amdhsa_user_sgpr_queue_ptr 0
		.amdhsa_user_sgpr_kernarg_segment_ptr 1
		.amdhsa_user_sgpr_dispatch_id 0
		.amdhsa_user_sgpr_kernarg_preload_length 0
		.amdhsa_user_sgpr_kernarg_preload_offset 0
		.amdhsa_user_sgpr_private_segment_size 0
		.amdhsa_wavefront_size32 1
		.amdhsa_uses_dynamic_stack 0
		.amdhsa_enable_private_segment 1
		.amdhsa_system_sgpr_workgroup_id_x 1
		.amdhsa_system_sgpr_workgroup_id_y 1
		.amdhsa_system_sgpr_workgroup_id_z 1
		.amdhsa_system_sgpr_workgroup_info 0
		.amdhsa_system_vgpr_workitem_id 0
		.amdhsa_next_free_vgpr 128
		.amdhsa_next_free_sgpr 38
		.amdhsa_named_barrier_count 0
		.amdhsa_reserve_vcc 1
		.amdhsa_float_round_mode_32 0
		.amdhsa_float_round_mode_16_64 0
		.amdhsa_float_denorm_mode_32 3
		.amdhsa_float_denorm_mode_16_64 3
		.amdhsa_fp16_overflow 0
		.amdhsa_memory_ordered 1
		.amdhsa_forward_progress 1
		.amdhsa_inst_pref_size 118
		.amdhsa_round_robin_scheduling 0
		.amdhsa_exception_fp_ieee_invalid_op 0
		.amdhsa_exception_fp_denorm_src 0
		.amdhsa_exception_fp_ieee_div_zero 0
		.amdhsa_exception_fp_ieee_overflow 0
		.amdhsa_exception_fp_ieee_underflow 0
		.amdhsa_exception_fp_ieee_inexact 0
		.amdhsa_exception_int_div_zero 0
	.end_amdhsa_kernel
	.section	.text._ZN4vllm25paged_attention_v1_kernelIffLi112ELi32ELi128ELNS_18Fp8KVCacheDataTypeE0ELb1EEEvPT_PKS2_PKT0_S8_ifPKiSA_iPKfiiiSC_SC_iiiii,"axG",@progbits,_ZN4vllm25paged_attention_v1_kernelIffLi112ELi32ELi128ELNS_18Fp8KVCacheDataTypeE0ELb1EEEvPT_PKS2_PKT0_S8_ifPKiSA_iPKfiiiSC_SC_iiiii,comdat
.Lfunc_end40:
	.size	_ZN4vllm25paged_attention_v1_kernelIffLi112ELi32ELi128ELNS_18Fp8KVCacheDataTypeE0ELb1EEEvPT_PKS2_PKT0_S8_ifPKiSA_iPKfiiiSC_SC_iiiii, .Lfunc_end40-_ZN4vllm25paged_attention_v1_kernelIffLi112ELi32ELi128ELNS_18Fp8KVCacheDataTypeE0ELb1EEEvPT_PKS2_PKT0_S8_ifPKiSA_iPKfiiiSC_SC_iiiii
                                        ; -- End function
	.set _ZN4vllm25paged_attention_v1_kernelIffLi112ELi32ELi128ELNS_18Fp8KVCacheDataTypeE0ELb1EEEvPT_PKS2_PKT0_S8_ifPKiSA_iPKfiiiSC_SC_iiiii.num_vgpr, 128
	.set _ZN4vllm25paged_attention_v1_kernelIffLi112ELi32ELi128ELNS_18Fp8KVCacheDataTypeE0ELb1EEEvPT_PKS2_PKT0_S8_ifPKiSA_iPKfiiiSC_SC_iiiii.num_agpr, 0
	.set _ZN4vllm25paged_attention_v1_kernelIffLi112ELi32ELi128ELNS_18Fp8KVCacheDataTypeE0ELb1EEEvPT_PKS2_PKT0_S8_ifPKiSA_iPKfiiiSC_SC_iiiii.numbered_sgpr, 38
	.set _ZN4vllm25paged_attention_v1_kernelIffLi112ELi32ELi128ELNS_18Fp8KVCacheDataTypeE0ELb1EEEvPT_PKS2_PKT0_S8_ifPKiSA_iPKfiiiSC_SC_iiiii.num_named_barrier, 0
	.set _ZN4vllm25paged_attention_v1_kernelIffLi112ELi32ELi128ELNS_18Fp8KVCacheDataTypeE0ELb1EEEvPT_PKS2_PKT0_S8_ifPKiSA_iPKfiiiSC_SC_iiiii.private_seg_size, 164
	.set _ZN4vllm25paged_attention_v1_kernelIffLi112ELi32ELi128ELNS_18Fp8KVCacheDataTypeE0ELb1EEEvPT_PKS2_PKT0_S8_ifPKiSA_iPKfiiiSC_SC_iiiii.uses_vcc, 1
	.set _ZN4vllm25paged_attention_v1_kernelIffLi112ELi32ELi128ELNS_18Fp8KVCacheDataTypeE0ELb1EEEvPT_PKS2_PKT0_S8_ifPKiSA_iPKfiiiSC_SC_iiiii.uses_flat_scratch, 1
	.set _ZN4vllm25paged_attention_v1_kernelIffLi112ELi32ELi128ELNS_18Fp8KVCacheDataTypeE0ELb1EEEvPT_PKS2_PKT0_S8_ifPKiSA_iPKfiiiSC_SC_iiiii.has_dyn_sized_stack, 0
	.set _ZN4vllm25paged_attention_v1_kernelIffLi112ELi32ELi128ELNS_18Fp8KVCacheDataTypeE0ELb1EEEvPT_PKS2_PKT0_S8_ifPKiSA_iPKfiiiSC_SC_iiiii.has_recursion, 0
	.set _ZN4vllm25paged_attention_v1_kernelIffLi112ELi32ELi128ELNS_18Fp8KVCacheDataTypeE0ELb1EEEvPT_PKS2_PKT0_S8_ifPKiSA_iPKfiiiSC_SC_iiiii.has_indirect_call, 0
	.section	.AMDGPU.csdata,"",@progbits
; Kernel info:
; codeLenInByte = 14992
; TotalNumSgprs: 40
; NumVgprs: 128
; ScratchSize: 164
; MemoryBound: 0
; FloatMode: 240
; IeeeMode: 1
; LDSByteSize: 480 bytes/workgroup (compile time only)
; SGPRBlocks: 0
; VGPRBlocks: 7
; NumSGPRsForWavesPerEU: 40
; NumVGPRsForWavesPerEU: 128
; NamedBarCnt: 0
; Occupancy: 8
; WaveLimiterHint : 1
; COMPUTE_PGM_RSRC2:SCRATCH_EN: 1
; COMPUTE_PGM_RSRC2:USER_SGPR: 2
; COMPUTE_PGM_RSRC2:TRAP_HANDLER: 0
; COMPUTE_PGM_RSRC2:TGID_X_EN: 1
; COMPUTE_PGM_RSRC2:TGID_Y_EN: 1
; COMPUTE_PGM_RSRC2:TGID_Z_EN: 1
; COMPUTE_PGM_RSRC2:TIDIG_COMP_CNT: 0
	.section	.text._ZN4vllm25paged_attention_v1_kernelIffLi120ELi32ELi128ELNS_18Fp8KVCacheDataTypeE0ELb1EEEvPT_PKS2_PKT0_S8_ifPKiSA_iPKfiiiSC_SC_iiiii,"axG",@progbits,_ZN4vllm25paged_attention_v1_kernelIffLi120ELi32ELi128ELNS_18Fp8KVCacheDataTypeE0ELb1EEEvPT_PKS2_PKT0_S8_ifPKiSA_iPKfiiiSC_SC_iiiii,comdat
	.protected	_ZN4vllm25paged_attention_v1_kernelIffLi120ELi32ELi128ELNS_18Fp8KVCacheDataTypeE0ELb1EEEvPT_PKS2_PKT0_S8_ifPKiSA_iPKfiiiSC_SC_iiiii ; -- Begin function _ZN4vllm25paged_attention_v1_kernelIffLi120ELi32ELi128ELNS_18Fp8KVCacheDataTypeE0ELb1EEEvPT_PKS2_PKT0_S8_ifPKiSA_iPKfiiiSC_SC_iiiii
	.globl	_ZN4vllm25paged_attention_v1_kernelIffLi120ELi32ELi128ELNS_18Fp8KVCacheDataTypeE0ELb1EEEvPT_PKS2_PKT0_S8_ifPKiSA_iPKfiiiSC_SC_iiiii
	.p2align	8
	.type	_ZN4vllm25paged_attention_v1_kernelIffLi120ELi32ELi128ELNS_18Fp8KVCacheDataTypeE0ELb1EEEvPT_PKS2_PKT0_S8_ifPKiSA_iPKfiiiSC_SC_iiiii,@function
_ZN4vllm25paged_attention_v1_kernelIffLi120ELi32ELi128ELNS_18Fp8KVCacheDataTypeE0ELb1EEEvPT_PKS2_PKT0_S8_ifPKiSA_iPKfiiiSC_SC_iiiii: ; @_ZN4vllm25paged_attention_v1_kernelIffLi120ELi32ELi128ELNS_18Fp8KVCacheDataTypeE0ELb1EEEvPT_PKS2_PKT0_S8_ifPKiSA_iPKfiiiSC_SC_iiiii
; %bb.0:
	s_load_b64 s[22:23], s[0:1], 0x20
	s_bfe_u32 s3, ttmp6, 0x4000c
	s_bfe_u32 s4, ttmp6, 0x40010
	s_and_b32 s6, ttmp7, 0xffff
	s_add_co_i32 s3, s3, 1
	s_add_co_i32 s4, s4, 1
	s_and_b32 s2, ttmp6, 15
	s_bfe_u32 s5, ttmp6, 0x40004
	s_mul_i32 s3, ttmp9, s3
	s_mul_i32 s4, s6, s4
	s_getreg_b32 s26, hwreg(HW_REG_IB_STS2, 6, 4)
	s_add_co_i32 s2, s2, s3
	s_add_co_i32 s3, s5, s4
	s_cmp_eq_u32 s26, 0
	s_clause 0x1
	s_load_b32 s27, s[0:1], 0x80
	s_load_b64 s[4:5], s[0:1], 0x30
	s_cselect_b32 s28, s6, s3
	s_cselect_b32 s2, ttmp9, s2
	s_mov_b32 s15, 0
	s_delay_alu instid0(SALU_CYCLE_1) | instskip(SKIP_2) | instid1(SALU_CYCLE_1)
	s_mov_b32 s34, s15
	s_wait_kmcnt 0x0
	s_abs_i32 s3, s22
	s_cvt_f32_u32 s6, s3
	s_sub_co_i32 s7, 0, s3
	s_delay_alu instid0(SALU_CYCLE_2) | instskip(SKIP_2) | instid1(TRANS32_DEP_1)
	v_rcp_iflag_f32_e32 v1, s6
	s_abs_i32 s8, s27
	v_nop
	v_readfirstlane_b32 s6, v1
	s_mul_f32 s6, s6, 0x4f7ffffe
	s_delay_alu instid0(SALU_CYCLE_3) | instskip(NEXT) | instid1(SALU_CYCLE_3)
	s_cvt_u32_f32 s6, s6
	s_mul_i32 s7, s7, s6
	s_delay_alu instid0(SALU_CYCLE_1) | instskip(NEXT) | instid1(SALU_CYCLE_1)
	s_mul_hi_u32 s7, s6, s7
	s_add_co_i32 s6, s6, s7
	s_xor_b32 s7, s27, s22
	s_mul_hi_u32 s6, s8, s6
	s_ashr_i32 s7, s7, 31
	s_mul_i32 s9, s6, s3
	s_delay_alu instid0(SALU_CYCLE_1)
	s_sub_co_i32 s8, s8, s9
	s_add_co_i32 s9, s6, 1
	s_sub_co_i32 s10, s8, s3
	s_cmp_ge_u32 s8, s3
	s_cselect_b32 s6, s9, s6
	s_cselect_b32 s8, s10, s8
	s_add_co_i32 s9, s6, 1
	s_cmp_ge_u32 s8, s3
	s_cselect_b32 s3, s9, s6
	s_load_b64 s[8:9], s[0:1], 0x40
	s_xor_b32 s3, s3, s7
	s_abs_i32 s14, s2
	s_sub_co_i32 s12, s3, s7
	s_mov_b32 s7, s15
	s_abs_i32 s11, s12
	s_delay_alu instid0(SALU_CYCLE_1) | instskip(SKIP_1) | instid1(SALU_CYCLE_2)
	s_cvt_f32_u32 s3, s11
	s_sub_co_i32 s6, 0, s11
	v_rcp_iflag_f32_e32 v1, s3
	v_nop
	s_delay_alu instid0(TRANS32_DEP_1) | instskip(SKIP_1) | instid1(SALU_CYCLE_3)
	v_readfirstlane_b32 s3, v1
	s_mul_f32 s3, s3, 0x4f7ffffe
	s_cvt_u32_f32 s3, s3
	s_delay_alu instid0(SALU_CYCLE_3) | instskip(NEXT) | instid1(SALU_CYCLE_1)
	s_mul_i32 s6, s6, s3
	s_mul_hi_u32 s6, s3, s6
	s_delay_alu instid0(SALU_CYCLE_1)
	s_add_co_i32 s6, s3, s6
	s_wait_kmcnt 0x0
	s_cmp_eq_u64 s[8:9], 0
	s_cbranch_scc1 .LBB41_2
; %bb.1:
	s_ashr_i32 s3, s2, 31
	s_delay_alu instid0(SALU_CYCLE_1) | instskip(NEXT) | instid1(SALU_CYCLE_1)
	s_lshl_b64 s[16:17], s[2:3], 2
	s_add_nc_u64 s[8:9], s[8:9], s[16:17]
	s_load_b32 s34, s[8:9], 0x0
.LBB41_2:
	s_load_b32 s29, s[4:5], s28 offset:0x0 scale_offset
	s_wait_xcnt 0x0
	s_load_b96 s[8:10], s[0:1], 0x48
	v_lshlrev_b32_e32 v10, 4, v0
	s_ashr_i32 s3, s2, 31
	s_ashr_i32 s18, s12, 31
	s_mul_u64 s[16:17], s[14:15], s[6:7]
	s_mul_i32 s12, s2, 0x78
	s_mov_b32 s4, exec_lo
	v_cmpx_gt_u32_e32 30, v0
	s_cbranch_execz .LBB41_4
; %bb.3:
	s_load_b64 s[6:7], s[0:1], 0x8
	s_wait_kmcnt 0x0
	s_mul_i32 s20, s8, s28
	s_ashr_i32 s13, s12, 31
	s_ashr_i32 s21, s20, 31
	s_delay_alu instid0(SALU_CYCLE_1) | instskip(NEXT) | instid1(SALU_CYCLE_1)
	s_lshl_b64 s[20:21], s[20:21], 2
	s_add_nc_u64 s[6:7], s[6:7], s[20:21]
	s_lshl_b64 s[20:21], s[12:13], 2
	s_delay_alu instid0(SALU_CYCLE_1)
	s_add_nc_u64 s[6:7], s[6:7], s[20:21]
	global_load_b128 v[2:5], v0, s[6:7] scale_offset
	s_wait_loadcnt 0x0
	ds_store_b128 v10, v[2:5]
.LBB41_4:
	s_or_b32 exec_lo, exec_lo, s4
	s_load_b128 s[4:7], s[0:1], 0x68
	s_wait_kmcnt 0x0
	s_mul_i32 s8, s17, s11
	s_xor_b32 s3, s3, s18
	s_sub_co_i32 s8, s14, s8
	s_add_co_i32 s13, s17, 1
	s_sub_co_i32 s14, s8, s11
	s_cmp_ge_u32 s8, s11
	s_mov_b32 s19, -1
	s_cselect_b32 s13, s13, s17
	s_cselect_b32 s8, s14, s8
	s_add_co_i32 s14, s13, 1
	s_cmp_ge_u32 s8, s11
	s_load_b32 s11, s[0:1], 0x78
	s_cselect_b32 s13, s14, s13
	s_add_co_i32 s18, s29, -1
	s_xor_b32 s13, s13, s3
	s_mov_b32 s17, 0
	s_sub_co_i32 s3, s13, s3
	s_abs_i32 s16, s18
	s_mov_b32 s15, s17
	s_abs_i32 s8, s7
	s_wait_dscnt 0x0
	s_cvt_f32_u32 s14, s8
	s_barrier_signal -1
	s_barrier_wait -1
	s_delay_alu instid0(SALU_CYCLE_1) | instskip(SKIP_1) | instid1(TRANS32_DEP_1)
	v_rcp_iflag_f32_e32 v1, s14
	v_nop
	v_readfirstlane_b32 s14, v1
	s_mul_f32 s13, s14, 0x4f7ffffe
	s_sub_co_i32 s14, 0, s8
	s_delay_alu instid0(SALU_CYCLE_2) | instskip(NEXT) | instid1(SALU_CYCLE_3)
	s_cvt_u32_f32 s13, s13
	s_mul_i32 s14, s14, s13
	s_delay_alu instid0(SALU_CYCLE_1) | instskip(NEXT) | instid1(SALU_CYCLE_1)
	s_mul_hi_u32 s14, s13, s14
	s_add_co_i32 s14, s13, s14
	s_wait_kmcnt 0x0
	s_cmp_lt_i32 s11, 0
                                        ; implicit-def: $sgpr13
	s_cbranch_scc0 .LBB41_6
; %bb.5:
	s_mul_i32 s13, s4, s22
	s_mov_b32 s19, s17
	s_add_co_i32 s13, s3, s13
	s_delay_alu instid0(SALU_CYCLE_1) | instskip(NEXT) | instid1(SALU_CYCLE_1)
	s_mul_i32 s13, s13, s11
	s_sub_co_i32 s13, 1, s13
.LBB41_6:
	s_ashr_i32 s18, s18, 31
	s_ashr_i32 s30, s7, 31
	s_and_not1_b32 vcc_lo, exec_lo, s19
	s_mul_u64 s[20:21], s[16:17], s[14:15]
	s_cbranch_vccnz .LBB41_8
; %bb.7:
	s_mul_i32 s4, s27, s4
	s_delay_alu instid0(SALU_CYCLE_1) | instskip(NEXT) | instid1(SALU_CYCLE_1)
	s_add_co_i32 s2, s4, s2
	s_mul_i32 s2, s2, s11
	s_delay_alu instid0(SALU_CYCLE_1)
	s_add_co_i32 s13, s2, 1
.LBB41_8:
	s_load_b32 s2, s[0:1], 0x38
	s_mul_i32 s7, s21, s8
	s_xor_b32 s4, s18, s30
	s_sub_co_i32 s20, s16, s7
	s_add_co_i32 s11, s21, 1
	s_clause 0x1
	s_load_b64 s[16:17], s[0:1], 0x28
	s_load_b32 s7, s[0:1], 0x88
	v_dual_lshrrev_b32 v1, 5, v0 :: v_dual_bitop2_b32 v2, 31, v0 bitop3:0x40
	v_dual_mov_b32 v127, 0xff7fffff :: v_dual_lshrrev_b32 v16, 3, v0
	s_delay_alu instid0(VALU_DEP_2)
	v_dual_lshlrev_b32 v126, 5, v1 :: v_dual_lshlrev_b32 v8, 2, v2
	s_clause 0x2
	scratch_store_b32 off, v2, off offset:176
	scratch_store_b32 off, v0, off offset:196
	;; [unrolled: 1-line block ×3, first 2 shown]
	s_wait_kmcnt 0x0
	s_mul_i32 s18, s2, s28
	s_sub_co_i32 s2, s20, s8
	s_ashr_i32 s19, s18, 31
	s_cmp_ge_u32 s20, s8
	s_cselect_b32 s11, s11, s21
	s_cselect_b32 s2, s2, s20
	s_add_co_i32 s20, s11, 1
	s_cmp_ge_u32 s2, s8
	s_cselect_b32 s2, s20, s11
	s_add_co_i32 s11, s29, 31
	s_delay_alu instid0(SALU_CYCLE_1) | instskip(NEXT) | instid1(SALU_CYCLE_1)
	s_ashr_i32 s20, s11, 31
	s_lshr_b32 s20, s20, 27
	s_delay_alu instid0(SALU_CYCLE_1)
	s_add_co_i32 s11, s11, s20
	s_mul_i32 s20, s3, s10
	s_ashr_i32 s31, s11, 5
	s_xor_b32 s11, s2, s4
	v_cmp_gt_i32_e64 s2, s31, v1
	s_sub_co_i32 s33, s11, s4
	s_wait_xcnt 0x0
	s_and_saveexec_b32 s22, s2
	s_cbranch_execz .LBB41_16
; %bb.9:
	scratch_load_b32 v2, off, off offset:176 ; 4-byte Folded Reload
	s_load_b64 s[24:25], s[0:1], 0x10
	s_ashr_i32 s21, s20, 31
	s_sub_co_i32 s35, s33, s5
	s_lshl_b64 s[36:37], s[20:21], 2
	s_ashr_i32 s11, s9, 31
	s_cmp_neq_f32 s34, 0
	v_mov_b32_e32 v127, 0xff7fffff
	s_mov_b32 s10, s9
	v_mov_b32_e32 v1, 0
	s_cselect_b32 vcc_lo, -1, 0
	s_abs_i32 s21, s6
	s_delay_alu instid0(SALU_CYCLE_1)
	s_cvt_f32_u32 s3, s21
	s_sub_co_i32 s4, 0, s21
	s_wait_kmcnt 0x0
	s_add_nc_u64 s[36:37], s[24:25], s[36:37]
	s_mov_b32 s25, 0
	s_wait_loadcnt 0x0
	v_lshlrev_b32_e32 v0, 4, v2
	v_subrev_nc_u32_e32 v2, s29, v2
	s_delay_alu instid0(VALU_DEP_2)
	v_add_nc_u64_e32 v[4:5], s[36:37], v[0:1]
	scratch_store_b32 off, v10, off offset:88 ; 4-byte Folded Spill
	v_rcp_iflag_f32_e32 v0, s3
	s_lshl_b64 s[36:37], s[18:19], 2
	v_add_nc_u32_e32 v2, 1, v2
	s_add_nc_u64 s[36:37], s[16:17], s[36:37]
	scratch_store_b64 off, v[4:5], off      ; 8-byte Folded Spill
	s_wait_xcnt 0x0
	ds_load_b128 v[4:7], v1
	v_readfirstlane_b32 s3, v0
	v_and_b32_e32 v0, 0x7c, v16
	s_mul_f32 s3, s3, 0x4f7ffffe
	s_delay_alu instid0(VALU_DEP_1) | instskip(SKIP_1) | instid1(SALU_CYCLE_1)
	v_add_nc_u64_e32 v[124:125], s[36:37], v[0:1]
	s_mov_b32 s36, s25
	s_cvt_u32_f32 s3, s3
	s_delay_alu instid0(SALU_CYCLE_3) | instskip(NEXT) | instid1(SALU_CYCLE_1)
	s_mul_i32 s4, s4, s3
	s_mul_hi_u32 s4, s3, s4
	s_delay_alu instid0(SALU_CYCLE_1)
	s_add_co_i32 s24, s3, s4
	s_wait_dscnt 0x0
	scratch_store_b128 off, v[4:7], off offset:16 ; 16-byte Folded Spill
	s_wait_xcnt 0x0
	ds_load_b128 v[4:7], v1 offset:16
	s_wait_dscnt 0x0
	scratch_store_b128 off, v[4:7], off offset:32 ; 16-byte Folded Spill
	s_wait_xcnt 0x0
	ds_load_b128 v[4:7], v1 offset:32
	;; [unrolled: 4-line block ×3, first 2 shown]
	s_wait_dscnt 0x0
	scratch_store_b128 off, v[4:7], off offset:64 ; 16-byte Folded Spill
	ds_load_b128 v[18:21], v1 offset:64
	ds_load_b128 v[22:25], v1 offset:80
	;; [unrolled: 1-line block ×26, first 2 shown]
	s_clause 0x1
	scratch_load_b32 v3, off, off offset:192
	scratch_store_b32 off, v2, off offset:80
	s_wait_loadcnt 0x0
	v_lshlrev_b32_e32 v0, 5, v3
	s_wait_xcnt 0x0
	v_lshl_or_b32 v2, v3, 7, v8
	s_delay_alu instid0(VALU_DEP_1)
	v_dual_mov_b32 v17, v8 :: v_dual_add_nc_u32 v2, 0x200, v2
	s_branch .LBB41_11
.LBB41_10:                              ;   in Loop: Header=BB41_11 Depth=1
	s_wait_xcnt 0x0
	s_or_b32 exec_lo, exec_lo, s4
	v_add_nc_u32_e32 v3, 4, v3
	v_add_nc_u64_e32 v[124:125], 16, v[124:125]
	v_add_nc_u32_e32 v0, 0x80, v0
	v_add_nc_u32_e32 v2, 0x200, v2
	s_delay_alu instid0(VALU_DEP_4) | instskip(SKIP_1) | instid1(SALU_CYCLE_1)
	v_cmp_le_i32_e64 s3, s31, v3
	s_or_b32 s36, s3, s36
	s_and_not1_b32 exec_lo, exec_lo, s36
	s_cbranch_execz .LBB41_15
.LBB41_11:                              ; =>This Inner Loop Header: Depth=1
	v_mul_u64_e32 v[4:5], s[14:15], v[0:1]
	s_delay_alu instid0(VALU_DEP_1) | instskip(NEXT) | instid1(VALU_DEP_1)
	v_mul_lo_u32 v4, v5, s8
	v_dual_add_nc_u32 v6, 1, v5 :: v_dual_sub_nc_u32 v4, v0, v4
	s_delay_alu instid0(VALU_DEP_1) | instskip(SKIP_1) | instid1(VALU_DEP_1)
	v_subrev_nc_u32_e32 v7, s8, v4
	v_cmp_le_u32_e64 s3, s8, v4
	v_dual_cndmask_b32 v5, v5, v6, s3 :: v_dual_cndmask_b32 v4, v4, v7, s3
	s_delay_alu instid0(VALU_DEP_1) | instskip(NEXT) | instid1(VALU_DEP_2)
	v_add_nc_u32_e32 v6, 1, v5
	v_cmp_le_u32_e64 s3, s8, v4
	s_delay_alu instid0(VALU_DEP_1) | instskip(NEXT) | instid1(VALU_DEP_1)
	v_cndmask_b32_e64 v4, v5, v6, s3
	v_dual_mov_b32 v5, v1 :: v_dual_bitop2_b32 v4, s30, v4 bitop3:0x14
	s_delay_alu instid0(VALU_DEP_1) | instskip(NEXT) | instid1(VALU_DEP_1)
	v_subrev_nc_u32_e32 v8, s30, v4
	v_add_nc_u32_e32 v9, s13, v8
	v_cmp_ge_i32_e64 s4, s35, v8
	s_delay_alu instid0(VALU_DEP_2) | instskip(NEXT) | instid1(VALU_DEP_1)
	v_sub_nc_u32_e32 v4, 0, v9
	v_max_i32_e32 v4, v9, v4
	s_delay_alu instid0(VALU_DEP_1) | instskip(SKIP_1) | instid1(VALU_DEP_2)
	v_mul_u64_e32 v[6:7], s[24:25], v[4:5]
	v_ashrrev_i32_e32 v6, 31, v9
	v_mul_lo_u32 v5, v7, s21
	s_delay_alu instid0(VALU_DEP_1) | instskip(NEXT) | instid1(VALU_DEP_1)
	v_sub_nc_u32_e32 v4, v4, v5
	v_subrev_nc_u32_e32 v5, s21, v4
	v_cmp_le_u32_e64 s3, s21, v4
	s_delay_alu instid0(VALU_DEP_1) | instskip(NEXT) | instid1(VALU_DEP_1)
	v_cndmask_b32_e64 v4, v4, v5, s3
	v_subrev_nc_u32_e32 v5, s21, v4
	v_cmp_le_u32_e64 s3, s21, v4
	s_delay_alu instid0(VALU_DEP_1) | instskip(NEXT) | instid1(VALU_DEP_1)
	v_cndmask_b32_e64 v4, v4, v5, s3
	v_xor_b32_e32 v4, v4, v6
	s_delay_alu instid0(VALU_DEP_1) | instskip(NEXT) | instid1(VALU_DEP_1)
	v_sub_nc_u32_e32 v4, v4, v6
	v_cmp_ne_u32_e64 s3, 0, v4
	s_and_b32 s3, s3, s4
	s_delay_alu instid0(SALU_CYCLE_1) | instskip(NEXT) | instid1(SALU_CYCLE_1)
	s_and_saveexec_b32 s4, s3
	s_xor_b32 s3, exec_lo, s4
; %bb.12:                               ;   in Loop: Header=BB41_11 Depth=1
	v_mov_b32_e32 v4, 0xff7fffff
	ds_store_b32 v2, v4
; %bb.13:                               ;   in Loop: Header=BB41_11 Depth=1
	s_and_not1_saveexec_b32 s4, s3
	s_cbranch_execz .LBB41_10
; %bb.14:                               ;   in Loop: Header=BB41_11 Depth=1
	global_load_b32 v4, v[124:125], off
	scratch_load_b64 v[6:7], off, off       ; 8-byte Folded Reload
	s_wait_loadcnt 0x1
	v_ashrrev_i32_e32 v5, 31, v4
	s_delay_alu instid0(VALU_DEP_1) | instskip(SKIP_1) | instid1(VALU_DEP_1)
	v_mul_u64_e32 v[4:5], s[10:11], v[4:5]
	s_wait_loadcnt 0x0
	v_lshl_add_u64 v[122:123], v[4:5], 2, v[6:7]
	global_load_b128 v[4:7], v[122:123], off offset:512
	scratch_load_b128 v[8:11], off, off offset:32 ; 16-byte Folded Reload
	s_wait_loadcnt 0x0
	v_pk_mul_f32 v[8:9], v[8:9], v[4:5]
	v_pk_mul_f32 v[10:11], v[10:11], v[6:7]
	global_load_b128 v[4:7], v[122:123], off
	scratch_load_b128 v[12:15], off, off offset:16 ; 16-byte Folded Reload
	s_wait_loadcnt 0x0
	v_pk_fma_f32 v[8:9], v[12:13], v[4:5], v[8:9]
	v_pk_fma_f32 v[10:11], v[14:15], v[6:7], v[10:11]
	global_load_b128 v[4:7], v[122:123], off offset:1024
	scratch_load_b128 v[12:15], off, off offset:48 ; 16-byte Folded Reload
	s_wait_loadcnt 0x0
	v_pk_fma_f32 v[8:9], v[12:13], v[4:5], v[8:9]
	v_pk_fma_f32 v[10:11], v[14:15], v[6:7], v[10:11]
	global_load_b128 v[4:7], v[122:123], off offset:1536
	;; [unrolled: 5-line block ×3, first 2 shown]
	s_wait_loadcnt_dscnt 0x19
	v_pk_fma_f32 v[8:9], v[18:19], v[4:5], v[8:9]
	v_pk_fma_f32 v[10:11], v[20:21], v[6:7], v[10:11]
	global_load_b128 v[4:7], v[122:123], off offset:2560
	s_wait_loadcnt_dscnt 0x18
	v_pk_fma_f32 v[8:9], v[22:23], v[4:5], v[8:9]
	v_pk_fma_f32 v[10:11], v[24:25], v[6:7], v[10:11]
	global_load_b128 v[4:7], v[122:123], off offset:3072
	s_wait_loadcnt_dscnt 0x17
	v_pk_fma_f32 v[8:9], v[26:27], v[4:5], v[8:9]
	v_pk_fma_f32 v[10:11], v[28:29], v[6:7], v[10:11]
	global_load_b128 v[4:7], v[122:123], off offset:3584
	s_wait_loadcnt_dscnt 0x16
	v_pk_fma_f32 v[8:9], v[30:31], v[4:5], v[8:9]
	v_pk_fma_f32 v[10:11], v[32:33], v[6:7], v[10:11]
	global_load_b128 v[4:7], v[122:123], off offset:4096
	s_wait_loadcnt_dscnt 0x15
	v_pk_fma_f32 v[8:9], v[34:35], v[4:5], v[8:9]
	v_pk_fma_f32 v[10:11], v[36:37], v[6:7], v[10:11]
	global_load_b128 v[4:7], v[122:123], off offset:4608
	s_wait_loadcnt_dscnt 0x14
	v_pk_fma_f32 v[8:9], v[38:39], v[4:5], v[8:9]
	v_pk_fma_f32 v[10:11], v[40:41], v[6:7], v[10:11]
	global_load_b128 v[4:7], v[122:123], off offset:5120
	s_wait_loadcnt_dscnt 0x13
	v_pk_fma_f32 v[8:9], v[42:43], v[4:5], v[8:9]
	v_pk_fma_f32 v[10:11], v[44:45], v[6:7], v[10:11]
	global_load_b128 v[4:7], v[122:123], off offset:5632
	s_wait_loadcnt_dscnt 0x12
	v_pk_fma_f32 v[8:9], v[46:47], v[4:5], v[8:9]
	v_pk_fma_f32 v[10:11], v[48:49], v[6:7], v[10:11]
	global_load_b128 v[4:7], v[122:123], off offset:6144
	s_wait_loadcnt_dscnt 0x11
	v_pk_fma_f32 v[8:9], v[50:51], v[4:5], v[8:9]
	v_pk_fma_f32 v[10:11], v[52:53], v[6:7], v[10:11]
	global_load_b128 v[4:7], v[122:123], off offset:6656
	s_wait_loadcnt_dscnt 0x10
	v_pk_fma_f32 v[8:9], v[54:55], v[4:5], v[8:9]
	v_pk_fma_f32 v[10:11], v[56:57], v[6:7], v[10:11]
	global_load_b128 v[4:7], v[122:123], off offset:7168
	s_wait_loadcnt_dscnt 0xf
	v_pk_fma_f32 v[8:9], v[58:59], v[4:5], v[8:9]
	v_pk_fma_f32 v[10:11], v[60:61], v[6:7], v[10:11]
	global_load_b128 v[4:7], v[122:123], off offset:7680
	s_wait_loadcnt_dscnt 0xe
	v_pk_fma_f32 v[8:9], v[62:63], v[4:5], v[8:9]
	v_pk_fma_f32 v[10:11], v[64:65], v[6:7], v[10:11]
	global_load_b128 v[4:7], v[122:123], off offset:8192
	s_wait_loadcnt_dscnt 0xd
	v_pk_fma_f32 v[8:9], v[66:67], v[4:5], v[8:9]
	v_pk_fma_f32 v[10:11], v[68:69], v[6:7], v[10:11]
	global_load_b128 v[4:7], v[122:123], off offset:8704
	s_wait_loadcnt_dscnt 0xc
	v_pk_fma_f32 v[8:9], v[70:71], v[4:5], v[8:9]
	v_pk_fma_f32 v[10:11], v[72:73], v[6:7], v[10:11]
	global_load_b128 v[4:7], v[122:123], off offset:9216
	s_wait_loadcnt_dscnt 0xb
	v_pk_fma_f32 v[8:9], v[74:75], v[4:5], v[8:9]
	v_pk_fma_f32 v[10:11], v[76:77], v[6:7], v[10:11]
	global_load_b128 v[4:7], v[122:123], off offset:9728
	s_wait_loadcnt_dscnt 0xa
	v_pk_fma_f32 v[8:9], v[78:79], v[4:5], v[8:9]
	v_pk_fma_f32 v[10:11], v[80:81], v[6:7], v[10:11]
	global_load_b128 v[4:7], v[122:123], off offset:10240
	s_wait_loadcnt_dscnt 0x9
	v_pk_fma_f32 v[8:9], v[82:83], v[4:5], v[8:9]
	v_pk_fma_f32 v[10:11], v[84:85], v[6:7], v[10:11]
	global_load_b128 v[4:7], v[122:123], off offset:10752
	s_wait_loadcnt_dscnt 0x8
	v_pk_fma_f32 v[8:9], v[86:87], v[4:5], v[8:9]
	v_pk_fma_f32 v[10:11], v[88:89], v[6:7], v[10:11]
	global_load_b128 v[4:7], v[122:123], off offset:11264
	s_wait_loadcnt_dscnt 0x7
	v_pk_fma_f32 v[8:9], v[90:91], v[4:5], v[8:9]
	v_pk_fma_f32 v[10:11], v[92:93], v[6:7], v[10:11]
	global_load_b128 v[4:7], v[122:123], off offset:11776
	s_wait_loadcnt_dscnt 0x6
	v_pk_fma_f32 v[8:9], v[94:95], v[4:5], v[8:9]
	v_pk_fma_f32 v[10:11], v[96:97], v[6:7], v[10:11]
	global_load_b128 v[4:7], v[122:123], off offset:12288
	s_wait_loadcnt_dscnt 0x5
	v_pk_fma_f32 v[8:9], v[98:99], v[4:5], v[8:9]
	v_pk_fma_f32 v[10:11], v[100:101], v[6:7], v[10:11]
	global_load_b128 v[4:7], v[122:123], off offset:12800
	s_wait_loadcnt_dscnt 0x4
	v_pk_fma_f32 v[8:9], v[102:103], v[4:5], v[8:9]
	v_pk_fma_f32 v[10:11], v[104:105], v[6:7], v[10:11]
	global_load_b128 v[4:7], v[122:123], off offset:13312
	s_wait_loadcnt_dscnt 0x3
	v_pk_fma_f32 v[8:9], v[106:107], v[4:5], v[8:9]
	v_pk_fma_f32 v[10:11], v[108:109], v[6:7], v[10:11]
	global_load_b128 v[4:7], v[122:123], off offset:13824
	s_wait_loadcnt_dscnt 0x2
	v_pk_fma_f32 v[8:9], v[110:111], v[4:5], v[8:9]
	v_pk_fma_f32 v[10:11], v[112:113], v[6:7], v[10:11]
	global_load_b128 v[4:7], v[122:123], off offset:14336
	s_wait_loadcnt_dscnt 0x1
	v_pk_fma_f32 v[8:9], v[114:115], v[4:5], v[8:9]
	v_pk_fma_f32 v[10:11], v[116:117], v[6:7], v[10:11]
	global_load_b128 v[4:7], v[122:123], off offset:14848
	s_wait_loadcnt_dscnt 0x0
	v_pk_fma_f32 v[4:5], v[118:119], v[4:5], v[8:9]
	v_pk_fma_f32 v[6:7], v[120:121], v[6:7], v[10:11]
	s_delay_alu instid0(VALU_DEP_2) | instskip(SKIP_4) | instid1(VALU_DEP_2)
	v_add_f32_e32 v4, v4, v5
	scratch_load_b32 v5, off, off offset:176 ; 4-byte Folded Reload
	s_wait_loadcnt 0x0
	v_add_nc_u32_e32 v5, v5, v0
	v_add_f32_e32 v4, v6, v4
	v_cmp_gt_i32_e64 s3, s29, v5
	scratch_load_b32 v5, off, off offset:80 ; 4-byte Folded Reload
	s_wait_loadcnt 0x0
	v_add_nc_u32_e32 v5, v5, v0
	s_delay_alu instid0(VALU_DEP_1) | instskip(NEXT) | instid1(VALU_DEP_1)
	v_cvt_f32_i32_e32 v5, v5
	v_dual_add_f32 v4, v7, v4 :: v_dual_mul_f32 v5, s34, v5
	s_delay_alu instid0(VALU_DEP_1) | instskip(NEXT) | instid1(VALU_DEP_1)
	v_cndmask_b32_e32 v5, 0, v5, vcc_lo
	v_dual_fmac_f32 v5, s23, v4 :: v_dual_max_num_f32 v4, v127, v127
	s_delay_alu instid0(VALU_DEP_1) | instskip(NEXT) | instid1(VALU_DEP_1)
	v_max_num_f32_e32 v4, v4, v5
	v_dual_cndmask_b32 v127, v127, v4, s3 :: v_dual_cndmask_b32 v4, 0, v5, s3
	ds_store_b32 v2, v4
	s_branch .LBB41_10
.LBB41_15:
	s_or_b32 exec_lo, exec_lo, s36
	scratch_load_b32 v10, off, off offset:88 ; 4-byte Folded Reload
	v_mov_b32_e32 v8, v17
.LBB41_16:
	s_wait_xcnt 0x0
	s_or_b32 exec_lo, exec_lo, s22
	v_mbcnt_lo_u32_b32 v2, -1, 0
	s_clause 0x1
	s_load_b64 s[10:11], s[0:1], 0x0
	s_load_b64 s[22:23], s[0:1], 0x18
	s_delay_alu instid0(VALU_DEP_1) | instskip(SKIP_1) | instid1(VALU_DEP_2)
	v_dual_max_num_f32 v4, v127, v127 :: v_dual_bitop2_b32 v0, 16, v2 bitop3:0x14
	v_xor_b32_e32 v3, 8, v2
	v_cmp_gt_i32_e32 vcc_lo, 32, v0
	v_cndmask_b32_e32 v0, v2, v0, vcc_lo
	s_delay_alu instid0(VALU_DEP_3) | instskip(NEXT) | instid1(VALU_DEP_2)
	v_cmp_gt_i32_e32 vcc_lo, 32, v3
	v_dual_cndmask_b32 v3, v2, v3 :: v_dual_lshlrev_b32 v0, 2, v0
	ds_bpermute_b32 v1, v0, v127
	s_wait_dscnt 0x0
	v_dual_max_num_f32 v5, v1, v1 :: v_dual_lshlrev_b32 v1, 2, v3
	s_delay_alu instid0(VALU_DEP_1) | instskip(SKIP_4) | instid1(VALU_DEP_1)
	v_dual_max_num_f32 v3, v4, v5 :: v_dual_bitop2_b32 v5, 4, v2 bitop3:0x14
	ds_bpermute_b32 v4, v1, v3
	v_cmp_gt_i32_e32 vcc_lo, 32, v5
	s_wait_dscnt 0x0
	v_dual_cndmask_b32 v5, v2, v5 :: v_dual_max_num_f32 v4, v4, v4
	v_dual_lshlrev_b32 v41, 2, v5 :: v_dual_max_num_f32 v3, v3, v4
	ds_bpermute_b32 v4, v41, v3
	s_wait_dscnt 0x0
	v_dual_max_num_f32 v4, v4, v4 :: v_dual_bitop2_b32 v5, 2, v2 bitop3:0x14
	s_delay_alu instid0(VALU_DEP_1) | instskip(NEXT) | instid1(VALU_DEP_2)
	v_cmp_gt_i32_e32 vcc_lo, 32, v5
	v_dual_max_num_f32 v3, v3, v4 :: v_dual_cndmask_b32 v5, v2, v5, vcc_lo
	s_delay_alu instid0(VALU_DEP_1) | instskip(SKIP_3) | instid1(VALU_DEP_1)
	v_dual_lshlrev_b32 v58, 2, v5 :: v_dual_bitop2_b32 v5, 1, v2 bitop3:0x14
	ds_bpermute_b32 v4, v58, v3
	v_cmp_gt_i32_e32 vcc_lo, 32, v5
	v_cndmask_b32_e32 v2, v2, v5, vcc_lo
	v_lshlrev_b32_e32 v71, 2, v2
	scratch_load_b32 v2, off, off offset:176 ; 4-byte Folded Reload
	s_wait_dscnt 0x0
	v_max_num_f32_e32 v4, v4, v4
	s_delay_alu instid0(VALU_DEP_1)
	v_max_num_f32_e32 v3, v3, v4
	ds_bpermute_b32 v4, v71, v3
	s_wait_loadcnt 0x0
	v_cmp_eq_u32_e32 vcc_lo, 0, v2
	scratch_load_b32 v2, off, off offset:192 ; 4-byte Folded Reload
	s_wait_loadcnt 0x0
	v_lshlrev_b32_e32 v2, 2, v2
	s_wait_xcnt 0x0
	s_and_saveexec_b32 s0, vcc_lo
	s_cbranch_execz .LBB41_18
; %bb.17:
	s_wait_dscnt 0x0
	v_dual_max_num_f32 v4, v4, v4 :: v_dual_max_num_f32 v3, v3, v3
	s_delay_alu instid0(VALU_DEP_1)
	v_max_num_f32_e32 v3, v3, v4
	ds_store_b32 v2, v3 offset:480
.LBB41_18:
	s_or_b32 exec_lo, exec_lo, s0
	scratch_load_b32 v3, off, off offset:176 ; 4-byte Folded Reload
	s_wait_storecnt 0x0
	s_wait_loadcnt_dscnt 0x0
	s_barrier_signal -1
	s_barrier_wait -1
	v_cmp_gt_u32_e64 s0, 4, v3
	v_mov_b32_e32 v3, 0xff7fffff
	s_mov_b32 s1, exec_lo
	scratch_load_b32 v70, off, off offset:196 ; 4-byte Folded Reload
	s_and_b32 s3, s1, s0
	s_wait_xcnt 0x0
	s_mov_b32 exec_lo, s3
; %bb.19:
	ds_load_b32 v3, v8 offset:480
; %bb.20:
	s_or_b32 exec_lo, exec_lo, s1
	s_wait_dscnt 0x0
	ds_bpermute_b32 v4, v58, v3
	v_max_num_f32_e32 v3, v3, v3
	s_lshl_b32 s1, s31, 5
	s_delay_alu instid0(SALU_CYCLE_1) | instskip(SKIP_4) | instid1(VALU_DEP_1)
	s_min_i32 s4, s1, s29
	s_wait_loadcnt 0x0
	v_cmp_gt_i32_e64 s1, s4, v70
	s_wait_dscnt 0x0
	v_max_num_f32_e32 v4, v4, v4
	v_max_num_f32_e32 v3, v3, v4
	ds_bpermute_b32 v4, v71, v3
	s_wait_dscnt 0x0
	v_max_num_f32_e32 v4, v4, v4
	s_delay_alu instid0(VALU_DEP_1)
	v_dual_max_num_f32 v4, v3, v4 :: v_dual_mov_b32 v3, 0
	ds_bpermute_b32 v4, v3, v4
	s_and_saveexec_b32 s21, s1
	s_cbranch_execz .LBB41_24
; %bb.21:
	v_lshl_add_u32 v5, v70, 2, 0x200
	v_dual_mov_b32 v3, 0 :: v_dual_mov_b32 v6, v70
	s_mov_b32 s24, 0
.LBB41_22:                              ; =>This Inner Loop Header: Depth=1
	ds_load_b32 v7, v5
	v_add_nc_u32_e32 v6, 0x80, v6
	s_delay_alu instid0(VALU_DEP_1) | instskip(SKIP_3) | instid1(VALU_DEP_1)
	v_cmp_le_i32_e64 s3, s4, v6
	s_or_b32 s24, s3, s24
	s_wait_dscnt 0x0
	v_sub_f32_e32 v7, v7, v4
	v_mul_f32_e32 v7, 0x3fb8aa3b, v7
	s_delay_alu instid0(VALU_DEP_1)
	v_exp_f32_e32 v7, v7
	ds_store_b32 v5, v7
	v_nop
	v_add_f32_e32 v3, v3, v7
	v_add_nc_u32_e32 v5, 0x200, v5
	s_and_not1_b32 exec_lo, exec_lo, s24
	s_cbranch_execnz .LBB41_22
; %bb.23:
	s_or_b32 exec_lo, exec_lo, s24
.LBB41_24:
	s_delay_alu instid0(SALU_CYCLE_1)
	s_or_b32 exec_lo, exec_lo, s21
	ds_bpermute_b32 v0, v0, v3
	s_wait_dscnt 0x0
	v_add_f32_e32 v0, v3, v0
	ds_bpermute_b32 v1, v1, v0
	s_wait_dscnt 0x0
	v_add_f32_e32 v0, v0, v1
	;; [unrolled: 3-line block ×5, first 2 shown]
	s_and_saveexec_b32 s3, vcc_lo
; %bb.25:
	ds_store_b32 v2, v0 offset:496
; %bb.26:
	s_or_b32 exec_lo, exec_lo, s3
	s_wait_dscnt 0x0
	s_barrier_signal -1
	s_barrier_wait -1
	s_and_saveexec_b32 s3, s0
; %bb.27:
	ds_load_b32 v0, v8 offset:496
; %bb.28:
	s_or_b32 exec_lo, exec_lo, s3
	s_wait_dscnt 0x0
	ds_bpermute_b32 v1, v58, v0
	s_wait_dscnt 0x0
	v_dual_mov_b32 v3, 0 :: v_dual_add_f32 v0, v0, v1
	ds_bpermute_b32 v1, v71, v0
	s_wait_dscnt 0x0
	v_dual_add_f32 v0, v0, v1 :: v_dual_mov_b32 v1, 0
	scratch_store_b64 off, v[0:1], off offset:32 ; 8-byte Folded Spill
	s_wait_xcnt 0x0
	ds_bpermute_b32 v0, v3, v0
	s_and_saveexec_b32 s0, s1
	s_cbranch_execz .LBB41_41
; %bb.29:
	s_wait_dscnt 0x0
	v_add_f32_e32 v0, 0x358637bd, v0
	s_mov_b32 s3, -1
	s_mov_b32 s1, exec_lo
	s_delay_alu instid0(VALU_DEP_1) | instskip(NEXT) | instid1(VALU_DEP_1)
	v_div_scale_f32 v1, null, v0, v0, 1.0
	v_rcp_f32_e32 v3, v1
	v_nop
	s_delay_alu instid0(TRANS32_DEP_1) | instskip(NEXT) | instid1(VALU_DEP_1)
	v_fma_f32 v2, -v1, v3, 1.0
	v_fmac_f32_e32 v3, v2, v3
	v_div_scale_f32 v4, vcc_lo, 1.0, v0, 1.0
	s_delay_alu instid0(VALU_DEP_1) | instskip(NEXT) | instid1(VALU_DEP_1)
	v_mul_f32_e32 v5, v4, v3
	v_fma_f32 v2, -v1, v5, v4
	s_delay_alu instid0(VALU_DEP_1) | instskip(SKIP_1) | instid1(VALU_DEP_2)
	v_fmac_f32_e32 v5, v2, v3
	v_xad_u32 v2, v70, -1, s4
	v_fma_f32 v1, -v1, v5, v4
	s_delay_alu instid0(VALU_DEP_1) | instskip(NEXT) | instid1(VALU_DEP_1)
	v_div_fmas_f32 v1, v1, v3, v5
	v_div_fixup_f32 v0, v1, v0, 1.0
	v_mov_b32_e32 v1, v70
	v_cmpx_lt_u32_e32 0x7f, v2
	s_cbranch_execz .LBB41_38
; %bb.30:
	s_delay_alu instid0(VALU_DEP_3) | instskip(NEXT) | instid1(VALU_DEP_1)
	v_dual_mov_b32 v1, v0 :: v_dual_lshrrev_b32 v2, 7, v2
	v_dual_mov_b32 v6, 0 :: v_dual_add_nc_u32 v3, -1, v2
	s_delay_alu instid0(VALU_DEP_1) | instskip(SKIP_1) | instid1(VALU_DEP_2)
	v_lshrrev_b32_e32 v4, 1, v3
	v_cmp_lt_u32_e32 vcc_lo, 13, v3
	v_add_nc_u32_e32 v3, 1, v4
	s_and_saveexec_b32 s3, vcc_lo
	s_cbranch_execz .LBB41_34
; %bb.31:
	v_dual_mov_b32 v23, v16 :: v_dual_mov_b32 v22, v10
	s_delay_alu instid0(VALU_DEP_2)
	v_and_b32_e32 v4, -8, v3
	v_lshl_add_u32 v5, v70, 2, 0x200
	s_mov_b32 s21, 0
	s_mov_b32 s24, 0
.LBB41_32:                              ; =>This Inner Loop Header: Depth=1
	ds_load_2addr_stride64_b32 v[6:7], v5 offset1:2
	ds_load_2addr_stride64_b32 v[8:9], v5 offset0:4 offset1:6
	ds_load_2addr_stride64_b32 v[10:11], v5 offset0:8 offset1:10
	;; [unrolled: 1-line block ×7, first 2 shown]
	s_add_co_i32 s24, s24, 16
	v_add_nc_u32_e32 v4, -8, v4
	s_wait_dscnt 0x7
	v_pk_mul_f32 v[6:7], v[0:1], v[6:7]
	s_wait_dscnt 0x6
	v_pk_mul_f32 v[8:9], v[0:1], v[8:9]
	;; [unrolled: 2-line block ×8, first 2 shown]
	ds_store_2addr_stride64_b32 v5, v6, v7 offset1:2
	ds_store_2addr_stride64_b32 v5, v8, v9 offset0:4 offset1:6
	ds_store_2addr_stride64_b32 v5, v10, v11 offset0:8 offset1:10
	ds_store_2addr_stride64_b32 v5, v12, v13 offset0:12 offset1:14
	ds_store_2addr_stride64_b32 v5, v14, v15 offset0:16 offset1:18
	ds_store_2addr_stride64_b32 v5, v16, v17 offset0:20 offset1:22
	ds_store_2addr_stride64_b32 v5, v18, v19 offset0:24 offset1:26
	ds_store_2addr_stride64_b32 v5, v20, v21 offset0:28 offset1:30
	v_mov_b32_e32 v6, s24
	v_cmp_eq_u32_e32 vcc_lo, 0, v4
	v_add_nc_u32_e32 v5, 0x2000, v5
	s_or_b32 s21, vcc_lo, s21
	s_delay_alu instid0(SALU_CYCLE_1)
	s_and_not1_b32 exec_lo, exec_lo, s21
	s_cbranch_execnz .LBB41_32
; %bb.33:
	s_or_b32 exec_lo, exec_lo, s21
	v_dual_mov_b32 v10, v22 :: v_dual_mov_b32 v16, v23
.LBB41_34:
	s_or_b32 exec_lo, exec_lo, s3
	s_delay_alu instid0(VALU_DEP_1) | instskip(SKIP_2) | instid1(VALU_DEP_1)
	v_and_b32_e32 v3, 7, v3
	s_mov_b32 s21, 0
	s_mov_b32 s3, exec_lo
	v_cmpx_ne_u32_e32 0, v3
	s_cbranch_execz .LBB41_37
; %bb.35:
	v_lshlrev_b32_e32 v4, 9, v6
	v_lshlrev_b32_e32 v5, 2, v70
	s_delay_alu instid0(VALU_DEP_1)
	v_add3_u32 v4, v4, v5, 0x200
.LBB41_36:                              ; =>This Inner Loop Header: Depth=1
	ds_load_2addr_stride64_b32 v[6:7], v4 offset1:2
	v_add_nc_u32_e32 v3, -1, v3
	s_delay_alu instid0(VALU_DEP_1)
	v_cmp_eq_u32_e32 vcc_lo, 0, v3
	s_or_b32 s21, vcc_lo, s21
	s_wait_dscnt 0x0
	v_pk_mul_f32 v[6:7], v[0:1], v[6:7]
	ds_store_2addr_stride64_b32 v4, v6, v7 offset1:2
	v_add_nc_u32_e32 v4, 0x400, v4
	s_and_not1_b32 exec_lo, exec_lo, s21
	s_cbranch_execnz .LBB41_36
.LBB41_37:
	s_or_b32 exec_lo, exec_lo, s3
	v_add_nc_u32_e32 v1, 1, v2
	s_delay_alu instid0(VALU_DEP_1) | instskip(NEXT) | instid1(VALU_DEP_1)
	v_and_b32_e32 v2, 0x3fffffe, v1
	v_cmp_ne_u32_e32 vcc_lo, v1, v2
	v_lshl_add_u32 v1, v2, 7, v70
	s_or_not1_b32 s3, vcc_lo, exec_lo
.LBB41_38:
	s_or_b32 exec_lo, exec_lo, s1
	s_delay_alu instid0(SALU_CYCLE_1)
	s_and_b32 exec_lo, exec_lo, s3
	s_cbranch_execz .LBB41_41
; %bb.39:
	v_lshl_add_u32 v2, v1, 2, 0x200
	s_mov_b32 s1, 0
.LBB41_40:                              ; =>This Inner Loop Header: Depth=1
	ds_load_b32 v3, v2
	v_add_nc_u32_e32 v1, 0x80, v1
	s_delay_alu instid0(VALU_DEP_1)
	v_cmp_le_i32_e32 vcc_lo, s4, v1
	s_or_b32 s1, vcc_lo, s1
	s_wait_dscnt 0x0
	v_mul_f32_e32 v3, v0, v3
	ds_store_b32 v2, v3
	v_add_nc_u32_e32 v2, 0x200, v2
	s_and_not1_b32 exec_lo, exec_lo, s1
	s_cbranch_execnz .LBB41_40
.LBB41_41:
	s_or_b32 exec_lo, exec_lo, s0
	s_wait_dscnt 0x0
	scratch_load_b64 v[0:1], off, off offset:32 ; 8-byte Folded Reload
	s_wait_loadcnt 0x0
	v_dual_mov_b32 v0, 0 :: v_dual_bitop2_b32 v72, 7, v70 bitop3:0x40
	v_dual_mov_b32 v9, 0 :: v_dual_mov_b32 v8, 0
	v_dual_mov_b32 v7, 0 :: v_dual_mov_b32 v6, 0
	;; [unrolled: 1-line block ×5, first 2 shown]
	scratch_store_b64 off, v[0:1], off offset:32 ; 8-byte Folded Spill
	s_wait_xcnt 0x0
	v_dual_mov_b32 v1, 0 :: v_dual_mov_b32 v0, 0
	scratch_store_b64 off, v[0:1], off offset:48 ; 8-byte Folded Spill
	s_wait_xcnt 0x0
	v_dual_mov_b32 v1, 0 :: v_dual_mov_b32 v0, 0
	;; [unrolled: 3-line block ×9, first 2 shown]
	scratch_store_b64 off, v[0:1], off offset:128 ; 8-byte Folded Spill
	s_wait_storecnt 0x0
	s_barrier_signal -1
	s_barrier_wait -1
	s_wait_xcnt 0x0
	s_and_saveexec_b32 s24, s2
	s_cbranch_execz .LBB41_107
; %bb.42:
	s_clause 0x3
	scratch_store_b32 off, v41, off offset:208
	scratch_store_b32 off, v58, off offset:204
	;; [unrolled: 1-line block ×3, first 2 shown]
	scratch_load_b32 v5, off, off offset:192
	s_abs_i32 s6, s6
	v_dual_lshlrev_b32 v3, 2, v70 :: v_dual_mov_b32 v127, 0
	s_cvt_f32_u32 s0, s6
	s_ashr_i32 s21, s20, 31
	v_and_b32_e32 v0, 0x1f0, v10
	v_lshlrev_b32_e32 v4, 4, v72
	v_rcp_iflag_f32_e32 v1, s0
	s_lshl_b64 s[0:1], s[18:19], 2
	s_lshl_b64 s[18:19], s[20:21], 2
	v_dual_mov_b32 v22, v127 :: v_dual_bitop2_b32 v3, 28, v3 bitop3:0x40
	s_add_nc_u64 s[0:1], s[16:17], s[0:1]
	s_wait_kmcnt 0x0
	s_add_nc_u64 s[16:17], s[22:23], s[18:19]
	v_readfirstlane_b32 s4, v1
	v_mov_b32_e32 v1, v127
	v_and_b32_e32 v2, 0x7c, v16
	s_sub_co_i32 s20, 0, s6
	v_dual_mov_b32 v20, v127 :: v_dual_mov_b32 v21, v127
	s_mul_f32 s4, s4, 0x4f7ffffe
	v_add_nc_u64_e32 v[0:1], s[16:17], v[0:1]
	s_clause 0x1
	scratch_store_b32 off, v3, off offset:180
	scratch_store_b32 off, v72, off offset:212
	s_cvt_u32_f32 s4, s4
	s_sub_co_i32 s25, s33, s5
	s_mov_b32 s5, 0
	s_ashr_i32 s3, s9, 31
	scratch_store_b64 off, v[0:1], off offset:184 ; 8-byte Folded Spill
	s_mul_i32 s20, s20, s4
	s_mov_b32 s2, s9
	s_mul_hi_u32 s17, s4, s20
	s_add_co_i32 s9, s31, -1
	s_mov_b32 s16, s29
	s_add_co_i32 s4, s4, s17
	s_mov_b32 s17, s5
	v_mov_b32_e32 v23, v127
	s_wait_loadcnt 0x0
	v_lshl_or_b32 v4, v5, 7, v4
	s_wait_xcnt 0x2
	v_mov_b32_e32 v3, v127
	s_wait_xcnt 0x0
	s_delay_alu instid0(VALU_DEP_1)
	v_add_nc_u64_e32 v[0:1], s[0:1], v[2:3]
	v_dual_mov_b32 v3, v5 :: v_dual_add_nc_u32 v2, 0x200, v4
	v_dual_mov_b32 v4, v127 :: v_dual_mov_b32 v5, v127
	s_clause 0xc
	scratch_store_b64 off, v[4:5], off offset:152
	scratch_store_b64 off, v[4:5], off offset:144
	;; [unrolled: 1-line block ×13, first 2 shown]
	s_branch .LBB41_45
.LBB41_43:                              ;   in Loop: Header=BB41_45 Depth=1
	s_or_b32 exec_lo, exec_lo, s1
	s_wait_loadcnt_dscnt 0x200
	v_mul_f32_e32 v5, v6, v118
	s_wait_loadcnt 0x1
	v_mul_f32_e32 v4, v6, v122
	v_mul_f32_e32 v10, v6, v114
	v_mul_f32_e32 v11, v6, v110
	v_dual_mul_f32 v12, v6, v106 :: v_dual_fmac_f32 v5, v7, v119
	s_delay_alu instid0(VALU_DEP_4) | instskip(NEXT) | instid1(VALU_DEP_4)
	v_fmac_f32_e32 v4, v7, v123
	v_fmac_f32_e32 v10, v7, v115
	s_delay_alu instid0(VALU_DEP_4) | instskip(NEXT) | instid1(VALU_DEP_4)
	v_fmac_f32_e32 v11, v7, v111
	v_dual_fmac_f32 v12, v7, v107 :: v_dual_fmac_f32 v5, v8, v120
	s_delay_alu instid0(VALU_DEP_4) | instskip(NEXT) | instid1(VALU_DEP_4)
	v_fmac_f32_e32 v4, v8, v124
	v_fmac_f32_e32 v10, v8, v116
	s_delay_alu instid0(VALU_DEP_4) | instskip(NEXT) | instid1(VALU_DEP_4)
	v_fmac_f32_e32 v11, v8, v112
	v_dual_fmac_f32 v12, v8, v108 :: v_dual_mul_f32 v13, v6, v98
	v_fmac_f32_e32 v5, v9, v121
	v_fmac_f32_e32 v4, v9, v125
	;; [unrolled: 1-line block ×4, first 2 shown]
	v_dual_fmac_f32 v12, v9, v109 :: v_dual_fmac_f32 v13, v7, v99
	v_mul_f32_e32 v94, v6, v94
	v_mul_f32_e32 v90, v6, v90
	s_delay_alu instid0(VALU_DEP_3) | instskip(NEXT) | instid1(VALU_DEP_3)
	v_dual_mul_f32 v86, v6, v86 :: v_dual_fmac_f32 v13, v8, v100
	v_fmac_f32_e32 v94, v7, v95
	s_delay_alu instid0(VALU_DEP_2) | instskip(NEXT) | instid1(VALU_DEP_2)
	v_dual_fmac_f32 v86, v7, v87 :: v_dual_fmac_f32 v13, v9, v101
	v_fmac_f32_e32 v94, v8, v96
	s_delay_alu instid0(VALU_DEP_2) | instskip(NEXT) | instid1(VALU_DEP_2)
	v_fmac_f32_e32 v86, v8, v88
	v_fmac_f32_e32 v94, v9, v97
	s_delay_alu instid0(VALU_DEP_2) | instskip(SKIP_2) | instid1(VALU_DEP_1)
	v_fmac_f32_e32 v86, v9, v89
	scratch_load_b64 v[88:89], off, off offset:32 th:TH_LOAD_LU ; 8-byte Folded Reload
	v_fmac_f32_e32 v90, v7, v91
	v_fmac_f32_e32 v90, v8, v92
	s_delay_alu instid0(VALU_DEP_1) | instskip(SKIP_3) | instid1(VALU_DEP_1)
	v_fmac_f32_e32 v90, v9, v93
	scratch_load_b64 v[92:93], off, off offset:48 th:TH_LOAD_LU ; 8-byte Folded Reload
	s_wait_loadcnt 0x1
	v_dual_add_f32 v88, v88, v4 :: v_dual_mul_f32 v4, v6, v82
	v_fmac_f32_e32 v4, v7, v83
	scratch_load_b64 v[82:83], off, off offset:96 th:TH_LOAD_LU ; 8-byte Folded Reload
	s_wait_loadcnt 0x1
	v_dual_add_f32 v93, v93, v5 :: v_dual_add_f32 v92, v92, v10
	s_clause 0x1
	scratch_store_b64 off, v[92:93], off offset:48
	scratch_load_b64 v[92:93], off, off offset:64 th:TH_LOAD_LU
	s_wait_loadcnt 0x0
	v_add_f32_e32 v93, v93, v11
	scratch_load_b64 v[10:11], off, off offset:80 th:TH_LOAD_LU ; 8-byte Folded Reload
	v_dual_add_f32 v92, v92, v12 :: v_dual_mul_f32 v12, v6, v62
	s_delay_alu instid0(VALU_DEP_1) | instskip(SKIP_3) | instid1(VALU_DEP_1)
	v_fmac_f32_e32 v12, v7, v63
	scratch_load_b64 v[62:63], off, off offset:104 th:TH_LOAD_LU ; 8-byte Folded Reload
	s_wait_loadcnt 0x1
	v_dual_fmac_f32 v4, v8, v84 :: v_dual_add_f32 v11, v11, v13
	v_dual_fmac_f32 v4, v9, v85 :: v_dual_add_f32 v10, v10, v94
	s_delay_alu instid0(VALU_DEP_1) | instskip(SKIP_4) | instid1(VALU_DEP_1)
	v_add_f32_e32 v83, v83, v4
	s_clause 0x1
	scratch_store_b64 off, v[10:11], off offset:80
	scratch_load_b64 v[10:11], off, off offset:88 th:TH_LOAD_LU
	v_mul_f32_e32 v4, v6, v74
	v_dual_mul_f32 v5, v6, v78 :: v_dual_fmac_f32 v4, v7, v75
	s_delay_alu instid0(VALU_DEP_1) | instskip(SKIP_1) | instid1(VALU_DEP_1)
	v_dual_fmac_f32 v5, v7, v79 :: v_dual_fmac_f32 v4, v8, v76
	s_wait_loadcnt 0x0
	v_dual_fmac_f32 v5, v8, v80 :: v_dual_add_f32 v11, v11, v90
	v_add_f32_e32 v10, v10, v86
	scratch_store_b64 off, v[10:11], off offset:88 ; 8-byte Folded Spill
	s_wait_xcnt 0x0
	v_mul_f32_e32 v11, v6, v66
	s_delay_alu instid0(VALU_DEP_1) | instskip(NEXT) | instid1(VALU_DEP_1)
	v_dual_mul_f32 v10, v6, v70 :: v_dual_fmac_f32 v11, v7, v67
	v_dual_fmac_f32 v10, v7, v71 :: v_dual_fmac_f32 v11, v8, v68
	s_delay_alu instid0(VALU_DEP_1) | instskip(NEXT) | instid1(VALU_DEP_2)
	v_dual_fmac_f32 v10, v8, v72 :: v_dual_fmac_f32 v5, v9, v81
	v_dual_fmac_f32 v12, v8, v64 :: v_dual_fmac_f32 v11, v9, v69
	s_delay_alu instid0(VALU_DEP_2) | instskip(SKIP_1) | instid1(VALU_DEP_2)
	v_fmac_f32_e32 v10, v9, v73
	v_fmac_f32_e32 v4, v9, v77
	v_dual_fmac_f32 v12, v9, v65 :: v_dual_add_f32 v62, v62, v10
	s_delay_alu instid0(VALU_DEP_2)
	v_dual_add_f32 v63, v63, v4 :: v_dual_mul_f32 v4, v6, v58
	s_clause 0x1
	scratch_store_b64 off, v[62:63], off offset:104
	scratch_load_b64 v[62:63], off, off offset:112 th:TH_LOAD_LU
	v_add_f32_e32 v82, v82, v5
	v_mul_f32_e32 v5, v6, v54
	v_dual_mul_f32 v10, v6, v50 :: v_dual_fmac_f32 v4, v7, v59
	s_delay_alu instid0(VALU_DEP_2) | instskip(NEXT) | instid1(VALU_DEP_1)
	v_fmac_f32_e32 v5, v7, v55
	v_dual_fmac_f32 v10, v7, v51 :: v_dual_fmac_f32 v5, v8, v56
	s_delay_alu instid0(VALU_DEP_1) | instskip(NEXT) | instid1(VALU_DEP_1)
	v_dual_fmac_f32 v4, v8, v60 :: v_dual_fmac_f32 v5, v9, v57
	v_dual_fmac_f32 v10, v8, v52 :: v_dual_fmac_f32 v4, v9, v61
	s_wait_loadcnt 0x0
	s_delay_alu instid0(VALU_DEP_1)
	v_dual_fmac_f32 v10, v9, v53 :: v_dual_add_f32 v63, v63, v11
	v_add_f32_e32 v62, v62, v12
	v_mul_f32_e32 v11, v6, v46
	v_mul_f32_e32 v12, v6, v42
	s_clause 0x1
	scratch_store_b64 off, v[82:83], off offset:96
	scratch_store_b64 off, v[62:63], off offset:112
	v_fmac_f32_e32 v11, v7, v47
	v_fmac_f32_e32 v12, v7, v43
	scratch_load_b64 v[42:43], off, off offset:120 th:TH_LOAD_LU ; 8-byte Folded Reload
	v_fmac_f32_e32 v11, v8, v48
	s_delay_alu instid0(VALU_DEP_1) | instskip(SKIP_1) | instid1(VALU_DEP_1)
	v_dual_fmac_f32 v12, v8, v44 :: v_dual_fmac_f32 v11, v9, v49
	s_wait_loadcnt 0x0
	v_dual_fmac_f32 v12, v9, v45 :: v_dual_add_f32 v43, v43, v4
	v_add_f32_e32 v42, v42, v5
	s_clause 0x2
	scratch_load_b64 v[4:5], off, off offset:128 th:TH_LOAD_LU
	scratch_store_b64 off, v[42:43], off offset:120
	scratch_load_b64 v[42:43], off, off offset:136 th:TH_LOAD_LU
	s_wait_loadcnt 0x1
	v_dual_add_f32 v5, v5, v10 :: v_dual_add_f32 v4, v4, v11
	v_mul_f32_e32 v11, v6, v26
	s_wait_loadcnt 0x0
	v_dual_mul_f32 v10, v6, v30 :: v_dual_add_f32 v43, v43, v12
	scratch_store_b64 off, v[4:5], off offset:128 ; 8-byte Folded Spill
	s_wait_xcnt 0x0
	v_mul_f32_e32 v5, v6, v34
	v_dual_mul_f32 v4, v6, v38 :: v_dual_fmac_f32 v11, v7, v27
	v_fmac_f32_e32 v10, v7, v31
	s_delay_alu instid0(VALU_DEP_3) | instskip(NEXT) | instid1(VALU_DEP_3)
	v_fmac_f32_e32 v5, v7, v35
	v_dual_fmac_f32 v4, v7, v39 :: v_dual_mul_f32 v12, v6, v22
	s_delay_alu instid0(VALU_DEP_2) | instskip(NEXT) | instid1(VALU_DEP_2)
	v_fmac_f32_e32 v5, v8, v36
	v_fmac_f32_e32 v4, v8, v40
	s_delay_alu instid0(VALU_DEP_3) | instskip(SKIP_4) | instid1(VALU_DEP_3)
	v_fmac_f32_e32 v12, v7, v23
	scratch_load_b64 v[22:23], off, off offset:144 th:TH_LOAD_LU ; 8-byte Folded Reload
	v_fmac_f32_e32 v10, v8, v32
	v_dual_fmac_f32 v11, v8, v28 :: v_dual_fmac_f32 v5, v9, v37
	v_fmac_f32_e32 v4, v9, v41
	v_dual_fmac_f32 v12, v8, v24 :: v_dual_fmac_f32 v10, v9, v33
	s_delay_alu instid0(VALU_DEP_3)
	v_fmac_f32_e32 v11, v9, v29
	scratch_load_b128 v[26:29], off, off offset:16 th:TH_LOAD_LU ; 16-byte Folded Reload
	v_dual_add_f32 v42, v42, v4 :: v_dual_fmac_f32 v12, v9, v25
	s_wait_loadcnt 0x1
	v_dual_add_f32 v22, v22, v10 :: v_dual_add_f32 v23, v23, v5
	s_clause 0x1
	scratch_store_b64 off, v[42:43], off offset:136
	scratch_load_b64 v[4:5], off, off offset:152 th:TH_LOAD_LU
	v_mul_f32_e32 v10, v6, v18
	s_clause 0x1
	scratch_store_b64 off, v[22:23], off offset:144
	scratch_load_b128 v[22:25], off, off th:TH_LOAD_LU
	v_fmac_f32_e32 v10, v7, v19
	s_delay_alu instid0(VALU_DEP_1) | instskip(NEXT) | instid1(VALU_DEP_1)
	v_fmac_f32_e32 v10, v8, v20
	v_fmac_f32_e32 v10, v9, v21
	scratch_load_b64 v[20:21], off, off offset:160 th:TH_LOAD_LU ; 8-byte Folded Reload
	s_wait_loadcnt 0x1
	v_mul_f32_e32 v13, v6, v22
	s_delay_alu instid0(VALU_DEP_1)
	v_fmac_f32_e32 v13, v7, v23
	scratch_load_b64 v[22:23], off, off offset:168 th:TH_LOAD_LU ; 8-byte Folded Reload
	v_dual_add_f32 v5, v5, v11 :: v_dual_add_f32 v4, v4, v12
	v_mul_f32_e32 v12, v6, v26
	v_mul_f32_e32 v11, v6, v14
	scratch_store_b64 off, v[4:5], off offset:152 ; 8-byte Folded Spill
	s_wait_xcnt 0x0
	v_pk_mul_f32 v[4:5], v[6:7], v[102:103]
	v_fmac_f32_e32 v12, v7, v27
	v_fmac_f32_e32 v11, v7, v15
	v_pk_mul_f32 v[6:7], v[8:9], v[104:105]
	s_wait_loadcnt 0x1
	v_add_f32_e32 v21, v21, v10
	v_add_f32_e32 v4, v5, v4
	v_fmac_f32_e32 v13, v8, v24
	s_delay_alu instid0(VALU_DEP_1) | instskip(NEXT) | instid1(VALU_DEP_1)
	v_dual_fmac_f32 v12, v8, v28 :: v_dual_fmac_f32 v13, v9, v25
	v_dual_fmac_f32 v11, v8, v16 :: v_dual_fmac_f32 v12, v9, v29
	s_delay_alu instid0(VALU_DEP_1) | instskip(NEXT) | instid1(VALU_DEP_1)
	v_dual_fmac_f32 v11, v9, v17 :: v_dual_add_f32 v4, v6, v4
	v_dual_add_f32 v20, v20, v11 :: v_dual_add_f32 v4, v7, v4
	s_delay_alu instid0(VALU_DEP_1)
	v_add_f32_e32 v89, v89, v4
	s_clause 0x1
	scratch_store_b64 off, v[92:93], off offset:64
	scratch_store_b64 off, v[88:89], off offset:32
	s_wait_loadcnt 0x0
	v_dual_add_f32 v23, v23, v12 :: v_dual_add_f32 v22, v22, v13
.LBB41_44:                              ;   in Loop: Header=BB41_45 Depth=1
	s_wait_xcnt 0x0
	s_or_b32 exec_lo, exec_lo, s18
	v_add_nc_u32_e32 v3, 4, v3
	v_add_nc_u64_e32 v[0:1], 16, v[0:1]
	v_add_nc_u32_e32 v126, 0x80, v126
	v_add_nc_u32_e32 v2, 0x200, v2
	s_delay_alu instid0(VALU_DEP_4) | instskip(SKIP_1) | instid1(SALU_CYCLE_1)
	v_cmp_le_i32_e32 vcc_lo, s31, v3
	s_or_b32 s17, vcc_lo, s17
	s_and_not1_b32 exec_lo, exec_lo, s17
	s_cbranch_execz .LBB41_106
.LBB41_45:                              ; =>This Inner Loop Header: Depth=1
	s_wait_xcnt 0x0
	v_mul_u64_e32 v[4:5], s[14:15], v[126:127]
	s_delay_alu instid0(VALU_DEP_1) | instskip(NEXT) | instid1(VALU_DEP_1)
	v_mul_lo_u32 v4, v5, s8
	v_dual_add_nc_u32 v6, 1, v5 :: v_dual_sub_nc_u32 v4, v126, v4
	s_delay_alu instid0(VALU_DEP_1) | instskip(SKIP_1) | instid1(VALU_DEP_2)
	v_subrev_nc_u32_e32 v7, s8, v4
	v_cmp_le_u32_e32 vcc_lo, s8, v4
	v_dual_cndmask_b32 v5, v5, v6 :: v_dual_cndmask_b32 v4, v4, v7
	s_delay_alu instid0(VALU_DEP_1) | instskip(NEXT) | instid1(VALU_DEP_2)
	v_add_nc_u32_e32 v6, 1, v5
	v_cmp_le_u32_e32 vcc_lo, s8, v4
	s_delay_alu instid0(VALU_DEP_2) | instskip(NEXT) | instid1(VALU_DEP_1)
	v_dual_cndmask_b32 v4, v5, v6 :: v_dual_mov_b32 v5, v127
	v_xor_b32_e32 v4, s30, v4
	s_delay_alu instid0(VALU_DEP_1) | instskip(NEXT) | instid1(VALU_DEP_1)
	v_subrev_nc_u32_e32 v8, s30, v4
	v_add_nc_u32_e32 v9, s13, v8
	v_cmp_lt_i32_e64 s0, s25, v8
	s_delay_alu instid0(VALU_DEP_2) | instskip(NEXT) | instid1(VALU_DEP_1)
	v_sub_nc_u32_e32 v4, 0, v9
	v_max_i32_e32 v4, v9, v4
	s_delay_alu instid0(VALU_DEP_1) | instskip(SKIP_1) | instid1(VALU_DEP_2)
	v_mul_u64_e32 v[6:7], s[4:5], v[4:5]
	v_ashrrev_i32_e32 v6, 31, v9
	v_mul_lo_u32 v5, v7, s6
	s_delay_alu instid0(VALU_DEP_1) | instskip(NEXT) | instid1(VALU_DEP_1)
	v_sub_nc_u32_e32 v4, v4, v5
	v_subrev_nc_u32_e32 v5, s6, v4
	v_cmp_le_u32_e32 vcc_lo, s6, v4
	s_delay_alu instid0(VALU_DEP_2) | instskip(NEXT) | instid1(VALU_DEP_1)
	v_cndmask_b32_e32 v4, v4, v5, vcc_lo
	v_subrev_nc_u32_e32 v5, s6, v4
	v_cmp_le_u32_e32 vcc_lo, s6, v4
	s_delay_alu instid0(VALU_DEP_2) | instskip(NEXT) | instid1(VALU_DEP_1)
	v_cndmask_b32_e32 v4, v4, v5, vcc_lo
	v_xor_b32_e32 v4, v4, v6
	s_delay_alu instid0(VALU_DEP_1) | instskip(NEXT) | instid1(VALU_DEP_1)
	v_sub_nc_u32_e32 v4, v4, v6
	v_cmp_eq_u32_e32 vcc_lo, 0, v4
	s_or_b32 s0, vcc_lo, s0
	s_delay_alu instid0(SALU_CYCLE_1)
	s_and_saveexec_b32 s18, s0
	s_cbranch_execz .LBB41_44
; %bb.46:                               ;   in Loop: Header=BB41_45 Depth=1
	s_clause 0x1
	scratch_store_b64 off, v[22:23], off offset:168
	scratch_store_b64 off, v[20:21], off offset:160
	global_load_b32 v4, v[0:1], off
	scratch_load_b64 v[6:7], off, off offset:184 ; 8-byte Folded Reload
	v_cmp_eq_u32_e32 vcc_lo, s9, v3
	s_wait_loadcnt 0x1
	v_ashrrev_i32_e32 v5, 31, v4
	s_delay_alu instid0(VALU_DEP_1) | instskip(SKIP_1) | instid1(VALU_DEP_1)
	v_mul_u64_e32 v[4:5], s[2:3], v[4:5]
	s_wait_loadcnt 0x0
	v_lshl_add_u64 v[102:103], v[4:5], 2, v[6:7]
	global_load_b128 v[4:7], v[102:103], off
	s_wait_loadcnt 0x0
	s_clause 0x1
	scratch_store_b128 off, v[4:7], off
	scratch_load_b32 v4, off, off offset:180
	ds_load_b128 v[6:9], v2
	s_wait_loadcnt 0x0
	v_add_nc_u32_e32 v5, v4, v126
	s_delay_alu instid0(VALU_DEP_1)
	v_dual_add_nc_u32 v11, 1, v5 :: v_dual_bitop2_b32 v4, 3, v5 bitop3:0x54
	v_or_b32_e32 v10, 2, v5
	s_wait_xcnt 0x0
	s_and_saveexec_b32 s1, vcc_lo
	s_cbranch_execz .LBB41_48
; %bb.47:                               ;   in Loop: Header=BB41_45 Depth=1
	scratch_load_b128 v[12:15], off, off th:TH_LOAD_LU ; 16-byte Folded Reload
	v_cmp_gt_i32_e64 s0, s16, v11
	s_wait_loadcnt 0x0
	s_delay_alu instid0(VALU_DEP_1) | instskip(SKIP_1) | instid1(VALU_DEP_1)
	v_cndmask_b32_e64 v13, 0, v13, s0
	v_cmp_gt_i32_e64 s0, s29, v5
	v_cndmask_b32_e64 v12, 0, v12, s0
	v_cmp_gt_i32_e64 s0, s16, v4
	s_delay_alu instid0(VALU_DEP_1) | instskip(SKIP_1) | instid1(VALU_DEP_1)
	v_cndmask_b32_e64 v15, 0, v15, s0
	v_cmp_gt_i32_e64 s0, s29, v10
	v_cndmask_b32_e64 v14, 0, v14, s0
	scratch_store_b128 off, v[12:15], off   ; 16-byte Folded Spill
.LBB41_48:                              ;   in Loop: Header=BB41_45 Depth=1
	s_wait_xcnt 0x0
	s_or_b32 exec_lo, exec_lo, s1
	global_load_b128 v[12:15], v[102:103], off offset:512
	s_wait_loadcnt 0x0
	scratch_store_b128 off, v[12:15], off offset:16 ; 16-byte Folded Spill
	s_wait_xcnt 0x0
	s_and_saveexec_b32 s1, vcc_lo
	s_cbranch_execnz .LBB41_77
; %bb.49:                               ;   in Loop: Header=BB41_45 Depth=1
	s_or_b32 exec_lo, exec_lo, s1
	global_load_b128 v[14:17], v[102:103], off offset:1024
	s_wait_xcnt 0x0
	s_and_saveexec_b32 s1, vcc_lo
	s_cbranch_execnz .LBB41_78
.LBB41_50:                              ;   in Loop: Header=BB41_45 Depth=1
	s_or_b32 exec_lo, exec_lo, s1
	global_load_b128 v[18:21], v[102:103], off offset:1536
	s_wait_xcnt 0x0
	s_and_saveexec_b32 s1, vcc_lo
	s_cbranch_execnz .LBB41_79
.LBB41_51:                              ;   in Loop: Header=BB41_45 Depth=1
	s_or_b32 exec_lo, exec_lo, s1
	global_load_b128 v[22:25], v[102:103], off offset:2048
	s_wait_xcnt 0x0
	s_and_saveexec_b32 s1, vcc_lo
	s_cbranch_execnz .LBB41_80
.LBB41_52:                              ;   in Loop: Header=BB41_45 Depth=1
	s_or_b32 exec_lo, exec_lo, s1
	global_load_b128 v[26:29], v[102:103], off offset:2560
	s_wait_xcnt 0x0
	s_and_saveexec_b32 s1, vcc_lo
	s_cbranch_execnz .LBB41_81
.LBB41_53:                              ;   in Loop: Header=BB41_45 Depth=1
	s_or_b32 exec_lo, exec_lo, s1
	global_load_b128 v[30:33], v[102:103], off offset:3072
	s_wait_xcnt 0x0
	s_and_saveexec_b32 s1, vcc_lo
	s_cbranch_execnz .LBB41_82
.LBB41_54:                              ;   in Loop: Header=BB41_45 Depth=1
	s_or_b32 exec_lo, exec_lo, s1
	global_load_b128 v[34:37], v[102:103], off offset:3584
	s_wait_xcnt 0x0
	s_and_saveexec_b32 s1, vcc_lo
	s_cbranch_execnz .LBB41_83
.LBB41_55:                              ;   in Loop: Header=BB41_45 Depth=1
	s_or_b32 exec_lo, exec_lo, s1
	global_load_b128 v[38:41], v[102:103], off offset:4096
	s_wait_xcnt 0x0
	s_and_saveexec_b32 s1, vcc_lo
	s_cbranch_execnz .LBB41_84
.LBB41_56:                              ;   in Loop: Header=BB41_45 Depth=1
	s_or_b32 exec_lo, exec_lo, s1
	global_load_b128 v[42:45], v[102:103], off offset:4608
	s_wait_xcnt 0x0
	s_and_saveexec_b32 s1, vcc_lo
	s_cbranch_execnz .LBB41_85
.LBB41_57:                              ;   in Loop: Header=BB41_45 Depth=1
	s_or_b32 exec_lo, exec_lo, s1
	global_load_b128 v[46:49], v[102:103], off offset:5120
	s_wait_xcnt 0x0
	s_and_saveexec_b32 s1, vcc_lo
	s_cbranch_execnz .LBB41_86
.LBB41_58:                              ;   in Loop: Header=BB41_45 Depth=1
	s_or_b32 exec_lo, exec_lo, s1
	global_load_b128 v[50:53], v[102:103], off offset:5632
	s_wait_xcnt 0x0
	s_and_saveexec_b32 s1, vcc_lo
	s_cbranch_execnz .LBB41_87
.LBB41_59:                              ;   in Loop: Header=BB41_45 Depth=1
	s_or_b32 exec_lo, exec_lo, s1
	global_load_b128 v[54:57], v[102:103], off offset:6144
	s_wait_xcnt 0x0
	s_and_saveexec_b32 s1, vcc_lo
	s_cbranch_execnz .LBB41_88
.LBB41_60:                              ;   in Loop: Header=BB41_45 Depth=1
	s_or_b32 exec_lo, exec_lo, s1
	global_load_b128 v[58:61], v[102:103], off offset:6656
	s_wait_xcnt 0x0
	s_and_saveexec_b32 s1, vcc_lo
	s_cbranch_execnz .LBB41_89
.LBB41_61:                              ;   in Loop: Header=BB41_45 Depth=1
	s_or_b32 exec_lo, exec_lo, s1
	global_load_b128 v[62:65], v[102:103], off offset:7168
	s_wait_xcnt 0x0
	s_and_saveexec_b32 s1, vcc_lo
	s_cbranch_execnz .LBB41_90
.LBB41_62:                              ;   in Loop: Header=BB41_45 Depth=1
	s_or_b32 exec_lo, exec_lo, s1
	global_load_b128 v[66:69], v[102:103], off offset:7680
	s_wait_xcnt 0x0
	s_and_saveexec_b32 s1, vcc_lo
	s_cbranch_execnz .LBB41_91
.LBB41_63:                              ;   in Loop: Header=BB41_45 Depth=1
	s_or_b32 exec_lo, exec_lo, s1
	global_load_b128 v[70:73], v[102:103], off offset:8192
	s_wait_xcnt 0x0
	s_and_saveexec_b32 s1, vcc_lo
	s_cbranch_execnz .LBB41_92
.LBB41_64:                              ;   in Loop: Header=BB41_45 Depth=1
	s_or_b32 exec_lo, exec_lo, s1
	global_load_b128 v[74:77], v[102:103], off offset:8704
	s_wait_xcnt 0x0
	s_and_saveexec_b32 s1, vcc_lo
	s_cbranch_execnz .LBB41_93
.LBB41_65:                              ;   in Loop: Header=BB41_45 Depth=1
	s_or_b32 exec_lo, exec_lo, s1
	global_load_b128 v[78:81], v[102:103], off offset:9216
	s_wait_xcnt 0x0
	s_and_saveexec_b32 s19, vcc_lo
	s_cbranch_execnz .LBB41_94
.LBB41_66:                              ;   in Loop: Header=BB41_45 Depth=1
	s_or_b32 exec_lo, exec_lo, s19
	global_load_b128 v[82:85], v[102:103], off offset:9728
	s_wait_xcnt 0x0
	s_and_saveexec_b32 s19, vcc_lo
	s_cbranch_execnz .LBB41_95
.LBB41_67:                              ;   in Loop: Header=BB41_45 Depth=1
	s_or_b32 exec_lo, exec_lo, s19
	global_load_b128 v[86:89], v[102:103], off offset:10240
	s_wait_xcnt 0x0
	s_and_saveexec_b32 s19, vcc_lo
	s_cbranch_execnz .LBB41_96
.LBB41_68:                              ;   in Loop: Header=BB41_45 Depth=1
	s_or_b32 exec_lo, exec_lo, s19
	global_load_b128 v[90:93], v[102:103], off offset:10752
	s_wait_xcnt 0x0
	s_and_saveexec_b32 s19, vcc_lo
	s_cbranch_execnz .LBB41_97
.LBB41_69:                              ;   in Loop: Header=BB41_45 Depth=1
	s_or_b32 exec_lo, exec_lo, s19
	global_load_b128 v[94:97], v[102:103], off offset:11264
	s_wait_xcnt 0x0
	s_and_saveexec_b32 s19, vcc_lo
	s_cbranch_execnz .LBB41_98
.LBB41_70:                              ;   in Loop: Header=BB41_45 Depth=1
	s_or_b32 exec_lo, exec_lo, s19
	global_load_b128 v[98:101], v[102:103], off offset:11776
	s_wait_xcnt 0x0
	s_and_saveexec_b32 s19, vcc_lo
	s_cbranch_execnz .LBB41_99
.LBB41_71:                              ;   in Loop: Header=BB41_45 Depth=1
	s_or_b32 exec_lo, exec_lo, s19
	global_load_b128 v[106:109], v[102:103], off offset:12288
	s_wait_xcnt 0x0
	s_and_saveexec_b32 s19, vcc_lo
	s_cbranch_execnz .LBB41_100
.LBB41_72:                              ;   in Loop: Header=BB41_45 Depth=1
	s_or_b32 exec_lo, exec_lo, s19
	global_load_b128 v[110:113], v[102:103], off offset:12800
	s_wait_xcnt 0x0
	s_and_saveexec_b32 s19, vcc_lo
	s_cbranch_execnz .LBB41_101
.LBB41_73:                              ;   in Loop: Header=BB41_45 Depth=1
	s_or_b32 exec_lo, exec_lo, s19
	global_load_b128 v[114:117], v[102:103], off offset:13312
	s_wait_xcnt 0x0
	s_and_saveexec_b32 s19, vcc_lo
	s_cbranch_execnz .LBB41_102
.LBB41_74:                              ;   in Loop: Header=BB41_45 Depth=1
	s_or_b32 exec_lo, exec_lo, s19
	global_load_b128 v[118:121], v[102:103], off offset:13824
	s_wait_xcnt 0x0
	s_and_saveexec_b32 s19, vcc_lo
	s_cbranch_execnz .LBB41_103
.LBB41_75:                              ;   in Loop: Header=BB41_45 Depth=1
	s_or_b32 exec_lo, exec_lo, s19
	global_load_b128 v[122:125], v[102:103], off offset:14336
	s_wait_xcnt 0x0
	s_and_saveexec_b32 s19, vcc_lo
	s_cbranch_execnz .LBB41_104
.LBB41_76:                              ;   in Loop: Header=BB41_45 Depth=1
	s_or_b32 exec_lo, exec_lo, s19
	global_load_b128 v[102:105], v[102:103], off offset:14848
	s_wait_xcnt 0x0
	s_and_saveexec_b32 s1, vcc_lo
	s_cbranch_execz .LBB41_43
	s_branch .LBB41_105
.LBB41_77:                              ;   in Loop: Header=BB41_45 Depth=1
	scratch_load_b128 v[12:15], off, off offset:16 th:TH_LOAD_LU ; 16-byte Folded Reload
	v_cmp_gt_i32_e64 s0, s16, v11
	s_wait_loadcnt 0x0
	s_delay_alu instid0(VALU_DEP_1) | instskip(SKIP_1) | instid1(VALU_DEP_1)
	v_cndmask_b32_e64 v13, 0, v13, s0
	v_cmp_gt_i32_e64 s0, s29, v5
	v_cndmask_b32_e64 v12, 0, v12, s0
	v_cmp_gt_i32_e64 s0, s16, v4
	s_delay_alu instid0(VALU_DEP_1) | instskip(SKIP_1) | instid1(VALU_DEP_1)
	v_cndmask_b32_e64 v15, 0, v15, s0
	v_cmp_gt_i32_e64 s0, s29, v10
	v_cndmask_b32_e64 v14, 0, v14, s0
	scratch_store_b128 off, v[12:15], off offset:16 ; 16-byte Folded Spill
	s_wait_xcnt 0x0
	s_or_b32 exec_lo, exec_lo, s1
	global_load_b128 v[14:17], v[102:103], off offset:1024
	s_wait_xcnt 0x0
	s_and_saveexec_b32 s1, vcc_lo
	s_cbranch_execz .LBB41_50
.LBB41_78:                              ;   in Loop: Header=BB41_45 Depth=1
	v_cmp_gt_i32_e64 s0, s16, v11
	s_wait_loadcnt 0x0
	s_delay_alu instid0(VALU_DEP_1) | instskip(SKIP_1) | instid1(VALU_DEP_1)
	v_cndmask_b32_e64 v15, 0, v15, s0
	v_cmp_gt_i32_e64 s0, s29, v5
	v_cndmask_b32_e64 v14, 0, v14, s0
	v_cmp_gt_i32_e64 s0, s16, v4
	s_delay_alu instid0(VALU_DEP_1) | instskip(SKIP_1) | instid1(VALU_DEP_1)
	v_cndmask_b32_e64 v17, 0, v17, s0
	v_cmp_gt_i32_e64 s0, s29, v10
	v_cndmask_b32_e64 v16, 0, v16, s0
	s_or_b32 exec_lo, exec_lo, s1
	global_load_b128 v[18:21], v[102:103], off offset:1536
	s_wait_xcnt 0x0
	s_and_saveexec_b32 s1, vcc_lo
	s_cbranch_execz .LBB41_51
.LBB41_79:                              ;   in Loop: Header=BB41_45 Depth=1
	v_cmp_gt_i32_e64 s0, s16, v11
	s_wait_loadcnt 0x0
	s_delay_alu instid0(VALU_DEP_1) | instskip(SKIP_1) | instid1(VALU_DEP_1)
	v_cndmask_b32_e64 v19, 0, v19, s0
	v_cmp_gt_i32_e64 s0, s29, v5
	v_cndmask_b32_e64 v18, 0, v18, s0
	v_cmp_gt_i32_e64 s0, s16, v4
	s_delay_alu instid0(VALU_DEP_1) | instskip(SKIP_1) | instid1(VALU_DEP_1)
	v_cndmask_b32_e64 v21, 0, v21, s0
	v_cmp_gt_i32_e64 s0, s29, v10
	v_cndmask_b32_e64 v20, 0, v20, s0
	s_or_b32 exec_lo, exec_lo, s1
	global_load_b128 v[22:25], v[102:103], off offset:2048
	s_wait_xcnt 0x0
	s_and_saveexec_b32 s1, vcc_lo
	s_cbranch_execz .LBB41_52
.LBB41_80:                              ;   in Loop: Header=BB41_45 Depth=1
	v_cmp_gt_i32_e64 s0, s16, v11
	s_wait_loadcnt 0x0
	s_delay_alu instid0(VALU_DEP_1) | instskip(SKIP_1) | instid1(VALU_DEP_1)
	v_cndmask_b32_e64 v23, 0, v23, s0
	v_cmp_gt_i32_e64 s0, s29, v5
	v_cndmask_b32_e64 v22, 0, v22, s0
	v_cmp_gt_i32_e64 s0, s16, v4
	s_delay_alu instid0(VALU_DEP_1) | instskip(SKIP_1) | instid1(VALU_DEP_1)
	v_cndmask_b32_e64 v25, 0, v25, s0
	v_cmp_gt_i32_e64 s0, s29, v10
	v_cndmask_b32_e64 v24, 0, v24, s0
	s_or_b32 exec_lo, exec_lo, s1
	global_load_b128 v[26:29], v[102:103], off offset:2560
	s_wait_xcnt 0x0
	s_and_saveexec_b32 s1, vcc_lo
	s_cbranch_execz .LBB41_53
.LBB41_81:                              ;   in Loop: Header=BB41_45 Depth=1
	v_cmp_gt_i32_e64 s0, s16, v11
	s_wait_loadcnt 0x0
	s_delay_alu instid0(VALU_DEP_1) | instskip(SKIP_1) | instid1(VALU_DEP_1)
	v_cndmask_b32_e64 v27, 0, v27, s0
	v_cmp_gt_i32_e64 s0, s29, v5
	v_cndmask_b32_e64 v26, 0, v26, s0
	v_cmp_gt_i32_e64 s0, s16, v4
	s_delay_alu instid0(VALU_DEP_1) | instskip(SKIP_1) | instid1(VALU_DEP_1)
	v_cndmask_b32_e64 v29, 0, v29, s0
	v_cmp_gt_i32_e64 s0, s29, v10
	v_cndmask_b32_e64 v28, 0, v28, s0
	s_or_b32 exec_lo, exec_lo, s1
	global_load_b128 v[30:33], v[102:103], off offset:3072
	s_wait_xcnt 0x0
	s_and_saveexec_b32 s1, vcc_lo
	s_cbranch_execz .LBB41_54
.LBB41_82:                              ;   in Loop: Header=BB41_45 Depth=1
	v_cmp_gt_i32_e64 s0, s16, v11
	s_wait_loadcnt 0x0
	s_delay_alu instid0(VALU_DEP_1) | instskip(SKIP_1) | instid1(VALU_DEP_1)
	v_cndmask_b32_e64 v31, 0, v31, s0
	v_cmp_gt_i32_e64 s0, s29, v5
	v_cndmask_b32_e64 v30, 0, v30, s0
	v_cmp_gt_i32_e64 s0, s16, v4
	s_delay_alu instid0(VALU_DEP_1) | instskip(SKIP_1) | instid1(VALU_DEP_1)
	v_cndmask_b32_e64 v33, 0, v33, s0
	v_cmp_gt_i32_e64 s0, s29, v10
	v_cndmask_b32_e64 v32, 0, v32, s0
	s_or_b32 exec_lo, exec_lo, s1
	global_load_b128 v[34:37], v[102:103], off offset:3584
	s_wait_xcnt 0x0
	s_and_saveexec_b32 s1, vcc_lo
	s_cbranch_execz .LBB41_55
.LBB41_83:                              ;   in Loop: Header=BB41_45 Depth=1
	v_cmp_gt_i32_e64 s0, s16, v11
	s_wait_loadcnt 0x0
	s_delay_alu instid0(VALU_DEP_1) | instskip(SKIP_1) | instid1(VALU_DEP_1)
	v_cndmask_b32_e64 v35, 0, v35, s0
	v_cmp_gt_i32_e64 s0, s29, v5
	v_cndmask_b32_e64 v34, 0, v34, s0
	v_cmp_gt_i32_e64 s0, s16, v4
	s_delay_alu instid0(VALU_DEP_1) | instskip(SKIP_1) | instid1(VALU_DEP_1)
	v_cndmask_b32_e64 v37, 0, v37, s0
	v_cmp_gt_i32_e64 s0, s29, v10
	v_cndmask_b32_e64 v36, 0, v36, s0
	s_or_b32 exec_lo, exec_lo, s1
	global_load_b128 v[38:41], v[102:103], off offset:4096
	s_wait_xcnt 0x0
	s_and_saveexec_b32 s1, vcc_lo
	s_cbranch_execz .LBB41_56
.LBB41_84:                              ;   in Loop: Header=BB41_45 Depth=1
	v_cmp_gt_i32_e64 s0, s16, v11
	s_wait_loadcnt 0x0
	s_delay_alu instid0(VALU_DEP_1) | instskip(SKIP_1) | instid1(VALU_DEP_1)
	v_cndmask_b32_e64 v39, 0, v39, s0
	v_cmp_gt_i32_e64 s0, s29, v5
	v_cndmask_b32_e64 v38, 0, v38, s0
	v_cmp_gt_i32_e64 s0, s16, v4
	s_delay_alu instid0(VALU_DEP_1) | instskip(SKIP_1) | instid1(VALU_DEP_1)
	v_cndmask_b32_e64 v41, 0, v41, s0
	v_cmp_gt_i32_e64 s0, s29, v10
	v_cndmask_b32_e64 v40, 0, v40, s0
	s_or_b32 exec_lo, exec_lo, s1
	global_load_b128 v[42:45], v[102:103], off offset:4608
	s_wait_xcnt 0x0
	s_and_saveexec_b32 s1, vcc_lo
	s_cbranch_execz .LBB41_57
.LBB41_85:                              ;   in Loop: Header=BB41_45 Depth=1
	v_cmp_gt_i32_e64 s0, s16, v11
	s_wait_loadcnt 0x0
	s_delay_alu instid0(VALU_DEP_1) | instskip(SKIP_1) | instid1(VALU_DEP_1)
	v_cndmask_b32_e64 v43, 0, v43, s0
	v_cmp_gt_i32_e64 s0, s29, v5
	v_cndmask_b32_e64 v42, 0, v42, s0
	v_cmp_gt_i32_e64 s0, s16, v4
	s_delay_alu instid0(VALU_DEP_1) | instskip(SKIP_1) | instid1(VALU_DEP_1)
	v_cndmask_b32_e64 v45, 0, v45, s0
	v_cmp_gt_i32_e64 s0, s29, v10
	v_cndmask_b32_e64 v44, 0, v44, s0
	s_or_b32 exec_lo, exec_lo, s1
	global_load_b128 v[46:49], v[102:103], off offset:5120
	s_wait_xcnt 0x0
	s_and_saveexec_b32 s1, vcc_lo
	s_cbranch_execz .LBB41_58
.LBB41_86:                              ;   in Loop: Header=BB41_45 Depth=1
	v_cmp_gt_i32_e64 s0, s16, v11
	s_wait_loadcnt 0x0
	s_delay_alu instid0(VALU_DEP_1) | instskip(SKIP_1) | instid1(VALU_DEP_1)
	v_cndmask_b32_e64 v47, 0, v47, s0
	v_cmp_gt_i32_e64 s0, s29, v5
	v_cndmask_b32_e64 v46, 0, v46, s0
	v_cmp_gt_i32_e64 s0, s16, v4
	s_delay_alu instid0(VALU_DEP_1) | instskip(SKIP_1) | instid1(VALU_DEP_1)
	v_cndmask_b32_e64 v49, 0, v49, s0
	v_cmp_gt_i32_e64 s0, s29, v10
	v_cndmask_b32_e64 v48, 0, v48, s0
	s_or_b32 exec_lo, exec_lo, s1
	global_load_b128 v[50:53], v[102:103], off offset:5632
	s_wait_xcnt 0x0
	s_and_saveexec_b32 s1, vcc_lo
	s_cbranch_execz .LBB41_59
.LBB41_87:                              ;   in Loop: Header=BB41_45 Depth=1
	v_cmp_gt_i32_e64 s0, s16, v11
	s_wait_loadcnt 0x0
	s_delay_alu instid0(VALU_DEP_1) | instskip(SKIP_1) | instid1(VALU_DEP_1)
	v_cndmask_b32_e64 v51, 0, v51, s0
	v_cmp_gt_i32_e64 s0, s29, v5
	v_cndmask_b32_e64 v50, 0, v50, s0
	v_cmp_gt_i32_e64 s0, s16, v4
	s_delay_alu instid0(VALU_DEP_1) | instskip(SKIP_1) | instid1(VALU_DEP_1)
	v_cndmask_b32_e64 v53, 0, v53, s0
	v_cmp_gt_i32_e64 s0, s29, v10
	v_cndmask_b32_e64 v52, 0, v52, s0
	s_or_b32 exec_lo, exec_lo, s1
	global_load_b128 v[54:57], v[102:103], off offset:6144
	s_wait_xcnt 0x0
	s_and_saveexec_b32 s1, vcc_lo
	s_cbranch_execz .LBB41_60
.LBB41_88:                              ;   in Loop: Header=BB41_45 Depth=1
	v_cmp_gt_i32_e64 s0, s16, v11
	s_wait_loadcnt 0x0
	s_delay_alu instid0(VALU_DEP_1) | instskip(SKIP_1) | instid1(VALU_DEP_1)
	v_cndmask_b32_e64 v55, 0, v55, s0
	v_cmp_gt_i32_e64 s0, s29, v5
	v_cndmask_b32_e64 v54, 0, v54, s0
	v_cmp_gt_i32_e64 s0, s16, v4
	s_delay_alu instid0(VALU_DEP_1) | instskip(SKIP_1) | instid1(VALU_DEP_1)
	v_cndmask_b32_e64 v57, 0, v57, s0
	v_cmp_gt_i32_e64 s0, s29, v10
	v_cndmask_b32_e64 v56, 0, v56, s0
	s_or_b32 exec_lo, exec_lo, s1
	global_load_b128 v[58:61], v[102:103], off offset:6656
	s_wait_xcnt 0x0
	s_and_saveexec_b32 s1, vcc_lo
	s_cbranch_execz .LBB41_61
.LBB41_89:                              ;   in Loop: Header=BB41_45 Depth=1
	v_cmp_gt_i32_e64 s0, s16, v11
	s_wait_loadcnt 0x0
	s_delay_alu instid0(VALU_DEP_1) | instskip(SKIP_1) | instid1(VALU_DEP_1)
	v_cndmask_b32_e64 v59, 0, v59, s0
	v_cmp_gt_i32_e64 s0, s29, v5
	v_cndmask_b32_e64 v58, 0, v58, s0
	v_cmp_gt_i32_e64 s0, s16, v4
	s_delay_alu instid0(VALU_DEP_1) | instskip(SKIP_1) | instid1(VALU_DEP_1)
	v_cndmask_b32_e64 v61, 0, v61, s0
	v_cmp_gt_i32_e64 s0, s29, v10
	v_cndmask_b32_e64 v60, 0, v60, s0
	s_or_b32 exec_lo, exec_lo, s1
	global_load_b128 v[62:65], v[102:103], off offset:7168
	s_wait_xcnt 0x0
	s_and_saveexec_b32 s1, vcc_lo
	s_cbranch_execz .LBB41_62
.LBB41_90:                              ;   in Loop: Header=BB41_45 Depth=1
	v_cmp_gt_i32_e64 s0, s16, v11
	s_wait_loadcnt 0x0
	s_delay_alu instid0(VALU_DEP_1) | instskip(SKIP_1) | instid1(VALU_DEP_1)
	v_cndmask_b32_e64 v63, 0, v63, s0
	v_cmp_gt_i32_e64 s0, s29, v5
	v_cndmask_b32_e64 v62, 0, v62, s0
	v_cmp_gt_i32_e64 s0, s16, v4
	s_delay_alu instid0(VALU_DEP_1) | instskip(SKIP_1) | instid1(VALU_DEP_1)
	v_cndmask_b32_e64 v65, 0, v65, s0
	v_cmp_gt_i32_e64 s0, s29, v10
	v_cndmask_b32_e64 v64, 0, v64, s0
	s_or_b32 exec_lo, exec_lo, s1
	global_load_b128 v[66:69], v[102:103], off offset:7680
	s_wait_xcnt 0x0
	s_and_saveexec_b32 s1, vcc_lo
	s_cbranch_execz .LBB41_63
.LBB41_91:                              ;   in Loop: Header=BB41_45 Depth=1
	v_cmp_gt_i32_e64 s0, s16, v11
	s_wait_loadcnt 0x0
	s_delay_alu instid0(VALU_DEP_1) | instskip(SKIP_1) | instid1(VALU_DEP_1)
	v_cndmask_b32_e64 v67, 0, v67, s0
	v_cmp_gt_i32_e64 s0, s29, v5
	v_cndmask_b32_e64 v66, 0, v66, s0
	v_cmp_gt_i32_e64 s0, s16, v4
	s_delay_alu instid0(VALU_DEP_1) | instskip(SKIP_1) | instid1(VALU_DEP_1)
	v_cndmask_b32_e64 v69, 0, v69, s0
	v_cmp_gt_i32_e64 s0, s29, v10
	v_cndmask_b32_e64 v68, 0, v68, s0
	s_or_b32 exec_lo, exec_lo, s1
	global_load_b128 v[70:73], v[102:103], off offset:8192
	s_wait_xcnt 0x0
	s_and_saveexec_b32 s1, vcc_lo
	s_cbranch_execz .LBB41_64
.LBB41_92:                              ;   in Loop: Header=BB41_45 Depth=1
	v_cmp_gt_i32_e64 s0, s16, v11
	s_wait_loadcnt 0x0
	s_delay_alu instid0(VALU_DEP_1) | instskip(SKIP_1) | instid1(VALU_DEP_1)
	v_cndmask_b32_e64 v71, 0, v71, s0
	v_cmp_gt_i32_e64 s0, s29, v5
	v_cndmask_b32_e64 v70, 0, v70, s0
	v_cmp_gt_i32_e64 s0, s16, v4
	s_delay_alu instid0(VALU_DEP_1) | instskip(SKIP_1) | instid1(VALU_DEP_1)
	v_cndmask_b32_e64 v73, 0, v73, s0
	v_cmp_gt_i32_e64 s0, s29, v10
	v_cndmask_b32_e64 v72, 0, v72, s0
	s_or_b32 exec_lo, exec_lo, s1
	global_load_b128 v[74:77], v[102:103], off offset:8704
	s_wait_xcnt 0x0
	s_and_saveexec_b32 s1, vcc_lo
	s_cbranch_execz .LBB41_65
.LBB41_93:                              ;   in Loop: Header=BB41_45 Depth=1
	v_cmp_gt_i32_e64 s0, s16, v11
	s_wait_loadcnt 0x0
	s_delay_alu instid0(VALU_DEP_1) | instskip(SKIP_1) | instid1(VALU_DEP_1)
	v_cndmask_b32_e64 v75, 0, v75, s0
	v_cmp_gt_i32_e64 s0, s29, v5
	v_cndmask_b32_e64 v74, 0, v74, s0
	v_cmp_gt_i32_e64 s0, s16, v4
	s_delay_alu instid0(VALU_DEP_1) | instskip(SKIP_1) | instid1(VALU_DEP_1)
	v_cndmask_b32_e64 v77, 0, v77, s0
	v_cmp_gt_i32_e64 s0, s29, v10
	v_cndmask_b32_e64 v76, 0, v76, s0
	s_or_b32 exec_lo, exec_lo, s1
	global_load_b128 v[78:81], v[102:103], off offset:9216
	s_wait_xcnt 0x0
	s_and_saveexec_b32 s19, vcc_lo
	s_cbranch_execz .LBB41_66
.LBB41_94:                              ;   in Loop: Header=BB41_45 Depth=1
	v_cmp_gt_i32_e64 s0, s29, v5
	v_cmp_gt_i32_e64 s1, s16, v11
	s_wait_loadcnt 0x0
	s_delay_alu instid0(VALU_DEP_1) | instskip(SKIP_2) | instid1(VALU_DEP_1)
	v_dual_cndmask_b32 v78, 0, v78, s0 :: v_dual_cndmask_b32 v79, 0, v79, s1
	v_cmp_gt_i32_e64 s0, s29, v10
	v_cmp_gt_i32_e64 s1, s16, v4
	v_dual_cndmask_b32 v80, 0, v80, s0 :: v_dual_cndmask_b32 v81, 0, v81, s1
	s_or_b32 exec_lo, exec_lo, s19
	global_load_b128 v[82:85], v[102:103], off offset:9728
	s_wait_xcnt 0x0
	s_and_saveexec_b32 s19, vcc_lo
	s_cbranch_execz .LBB41_67
.LBB41_95:                              ;   in Loop: Header=BB41_45 Depth=1
	v_cmp_gt_i32_e64 s0, s29, v5
	v_cmp_gt_i32_e64 s1, s16, v11
	s_wait_loadcnt 0x0
	s_delay_alu instid0(VALU_DEP_1) | instskip(SKIP_2) | instid1(VALU_DEP_1)
	v_dual_cndmask_b32 v82, 0, v82, s0 :: v_dual_cndmask_b32 v83, 0, v83, s1
	v_cmp_gt_i32_e64 s0, s29, v10
	v_cmp_gt_i32_e64 s1, s16, v4
	v_dual_cndmask_b32 v84, 0, v84, s0 :: v_dual_cndmask_b32 v85, 0, v85, s1
	s_or_b32 exec_lo, exec_lo, s19
	global_load_b128 v[86:89], v[102:103], off offset:10240
	s_wait_xcnt 0x0
	s_and_saveexec_b32 s19, vcc_lo
	s_cbranch_execz .LBB41_68
.LBB41_96:                              ;   in Loop: Header=BB41_45 Depth=1
	v_cmp_gt_i32_e64 s0, s29, v5
	v_cmp_gt_i32_e64 s1, s16, v11
	s_wait_loadcnt 0x0
	s_delay_alu instid0(VALU_DEP_1) | instskip(SKIP_2) | instid1(VALU_DEP_1)
	v_dual_cndmask_b32 v86, 0, v86, s0 :: v_dual_cndmask_b32 v87, 0, v87, s1
	v_cmp_gt_i32_e64 s0, s29, v10
	v_cmp_gt_i32_e64 s1, s16, v4
	v_dual_cndmask_b32 v88, 0, v88, s0 :: v_dual_cndmask_b32 v89, 0, v89, s1
	s_or_b32 exec_lo, exec_lo, s19
	global_load_b128 v[90:93], v[102:103], off offset:10752
	s_wait_xcnt 0x0
	s_and_saveexec_b32 s19, vcc_lo
	s_cbranch_execz .LBB41_69
.LBB41_97:                              ;   in Loop: Header=BB41_45 Depth=1
	v_cmp_gt_i32_e64 s0, s29, v5
	v_cmp_gt_i32_e64 s1, s16, v11
	s_wait_loadcnt 0x0
	s_delay_alu instid0(VALU_DEP_1) | instskip(SKIP_2) | instid1(VALU_DEP_1)
	v_dual_cndmask_b32 v90, 0, v90, s0 :: v_dual_cndmask_b32 v91, 0, v91, s1
	v_cmp_gt_i32_e64 s0, s29, v10
	v_cmp_gt_i32_e64 s1, s16, v4
	v_dual_cndmask_b32 v92, 0, v92, s0 :: v_dual_cndmask_b32 v93, 0, v93, s1
	s_or_b32 exec_lo, exec_lo, s19
	global_load_b128 v[94:97], v[102:103], off offset:11264
	s_wait_xcnt 0x0
	s_and_saveexec_b32 s19, vcc_lo
	s_cbranch_execz .LBB41_70
.LBB41_98:                              ;   in Loop: Header=BB41_45 Depth=1
	v_cmp_gt_i32_e64 s0, s29, v5
	v_cmp_gt_i32_e64 s1, s16, v11
	s_wait_loadcnt 0x0
	s_delay_alu instid0(VALU_DEP_1) | instskip(SKIP_2) | instid1(VALU_DEP_1)
	v_dual_cndmask_b32 v94, 0, v94, s0 :: v_dual_cndmask_b32 v95, 0, v95, s1
	v_cmp_gt_i32_e64 s0, s29, v10
	v_cmp_gt_i32_e64 s1, s16, v4
	v_dual_cndmask_b32 v96, 0, v96, s0 :: v_dual_cndmask_b32 v97, 0, v97, s1
	s_or_b32 exec_lo, exec_lo, s19
	global_load_b128 v[98:101], v[102:103], off offset:11776
	s_wait_xcnt 0x0
	s_and_saveexec_b32 s19, vcc_lo
	s_cbranch_execz .LBB41_71
.LBB41_99:                              ;   in Loop: Header=BB41_45 Depth=1
	v_cmp_gt_i32_e64 s0, s29, v5
	v_cmp_gt_i32_e64 s1, s16, v11
	s_wait_loadcnt 0x0
	s_delay_alu instid0(VALU_DEP_1) | instskip(SKIP_2) | instid1(VALU_DEP_1)
	v_dual_cndmask_b32 v98, 0, v98, s0 :: v_dual_cndmask_b32 v99, 0, v99, s1
	v_cmp_gt_i32_e64 s0, s29, v10
	v_cmp_gt_i32_e64 s1, s16, v4
	v_dual_cndmask_b32 v100, 0, v100, s0 :: v_dual_cndmask_b32 v101, 0, v101, s1
	s_or_b32 exec_lo, exec_lo, s19
	global_load_b128 v[106:109], v[102:103], off offset:12288
	s_wait_xcnt 0x0
	s_and_saveexec_b32 s19, vcc_lo
	s_cbranch_execz .LBB41_72
.LBB41_100:                             ;   in Loop: Header=BB41_45 Depth=1
	v_cmp_gt_i32_e64 s0, s29, v5
	v_cmp_gt_i32_e64 s1, s16, v11
	s_wait_loadcnt 0x0
	s_delay_alu instid0(VALU_DEP_1) | instskip(SKIP_2) | instid1(VALU_DEP_1)
	v_dual_cndmask_b32 v106, 0, v106, s0 :: v_dual_cndmask_b32 v107, 0, v107, s1
	v_cmp_gt_i32_e64 s0, s29, v10
	v_cmp_gt_i32_e64 s1, s16, v4
	v_dual_cndmask_b32 v108, 0, v108, s0 :: v_dual_cndmask_b32 v109, 0, v109, s1
	s_or_b32 exec_lo, exec_lo, s19
	global_load_b128 v[110:113], v[102:103], off offset:12800
	s_wait_xcnt 0x0
	s_and_saveexec_b32 s19, vcc_lo
	s_cbranch_execz .LBB41_73
.LBB41_101:                             ;   in Loop: Header=BB41_45 Depth=1
	v_cmp_gt_i32_e64 s0, s29, v5
	v_cmp_gt_i32_e64 s1, s16, v11
	s_wait_loadcnt 0x0
	s_delay_alu instid0(VALU_DEP_1) | instskip(SKIP_2) | instid1(VALU_DEP_1)
	v_dual_cndmask_b32 v110, 0, v110, s0 :: v_dual_cndmask_b32 v111, 0, v111, s1
	v_cmp_gt_i32_e64 s0, s29, v10
	v_cmp_gt_i32_e64 s1, s16, v4
	v_dual_cndmask_b32 v112, 0, v112, s0 :: v_dual_cndmask_b32 v113, 0, v113, s1
	s_or_b32 exec_lo, exec_lo, s19
	global_load_b128 v[114:117], v[102:103], off offset:13312
	s_wait_xcnt 0x0
	s_and_saveexec_b32 s19, vcc_lo
	s_cbranch_execz .LBB41_74
.LBB41_102:                             ;   in Loop: Header=BB41_45 Depth=1
	v_cmp_gt_i32_e64 s0, s29, v5
	v_cmp_gt_i32_e64 s1, s16, v11
	s_wait_loadcnt 0x0
	s_delay_alu instid0(VALU_DEP_1) | instskip(SKIP_2) | instid1(VALU_DEP_1)
	v_dual_cndmask_b32 v114, 0, v114, s0 :: v_dual_cndmask_b32 v115, 0, v115, s1
	v_cmp_gt_i32_e64 s0, s29, v10
	v_cmp_gt_i32_e64 s1, s16, v4
	v_dual_cndmask_b32 v116, 0, v116, s0 :: v_dual_cndmask_b32 v117, 0, v117, s1
	s_or_b32 exec_lo, exec_lo, s19
	global_load_b128 v[118:121], v[102:103], off offset:13824
	s_wait_xcnt 0x0
	s_and_saveexec_b32 s19, vcc_lo
	s_cbranch_execz .LBB41_75
.LBB41_103:                             ;   in Loop: Header=BB41_45 Depth=1
	v_cmp_gt_i32_e64 s0, s29, v5
	v_cmp_gt_i32_e64 s1, s16, v11
	s_wait_loadcnt 0x0
	s_delay_alu instid0(VALU_DEP_1) | instskip(SKIP_2) | instid1(VALU_DEP_1)
	v_dual_cndmask_b32 v118, 0, v118, s0 :: v_dual_cndmask_b32 v119, 0, v119, s1
	v_cmp_gt_i32_e64 s0, s29, v10
	v_cmp_gt_i32_e64 s1, s16, v4
	v_dual_cndmask_b32 v120, 0, v120, s0 :: v_dual_cndmask_b32 v121, 0, v121, s1
	s_or_b32 exec_lo, exec_lo, s19
	global_load_b128 v[122:125], v[102:103], off offset:14336
	s_wait_xcnt 0x0
	s_and_saveexec_b32 s19, vcc_lo
	s_cbranch_execz .LBB41_76
.LBB41_104:                             ;   in Loop: Header=BB41_45 Depth=1
	v_cmp_gt_i32_e64 s0, s29, v5
	v_cmp_gt_i32_e64 s1, s16, v11
	s_wait_loadcnt 0x0
	s_delay_alu instid0(VALU_DEP_1) | instskip(SKIP_2) | instid1(VALU_DEP_1)
	v_dual_cndmask_b32 v122, 0, v122, s0 :: v_dual_cndmask_b32 v123, 0, v123, s1
	v_cmp_gt_i32_e64 s0, s29, v10
	v_cmp_gt_i32_e64 s1, s16, v4
	v_dual_cndmask_b32 v124, 0, v124, s0 :: v_dual_cndmask_b32 v125, 0, v125, s1
	s_or_b32 exec_lo, exec_lo, s19
	global_load_b128 v[102:105], v[102:103], off offset:14848
	s_wait_xcnt 0x0
	s_and_saveexec_b32 s1, vcc_lo
	s_cbranch_execz .LBB41_43
.LBB41_105:                             ;   in Loop: Header=BB41_45 Depth=1
	v_cmp_gt_i32_e32 vcc_lo, s29, v5
	v_cmp_gt_i32_e64 s0, s16, v11
	s_wait_loadcnt 0x0
	s_delay_alu instid0(VALU_DEP_1) | instskip(SKIP_2) | instid1(VALU_DEP_1)
	v_dual_cndmask_b32 v102, 0, v102, vcc_lo :: v_dual_cndmask_b32 v103, 0, v103, s0
	v_cmp_gt_i32_e32 vcc_lo, s29, v10
	v_cmp_gt_i32_e64 s0, s16, v4
	v_dual_cndmask_b32 v104, 0, v104, vcc_lo :: v_dual_cndmask_b32 v105, 0, v105, s0
	s_branch .LBB41_43
.LBB41_106:
	s_or_b32 exec_lo, exec_lo, s17
	s_clause 0x7
	scratch_load_b32 v70, off, off offset:196
	scratch_load_b32 v71, off, off offset:200
	;; [unrolled: 1-line block ×5, first 2 shown]
	scratch_load_b64 v[8:9], off, off offset:136
	scratch_load_b64 v[6:7], off, off offset:144
	;; [unrolled: 1-line block ×3, first 2 shown]
.LBB41_107:
	s_wait_xcnt 0x0
	s_or_b32 exec_lo, exec_lo, s24
	s_clause 0x9
	scratch_load_b64 v[24:25], off, off offset:128 th:TH_LOAD_LU
	scratch_load_b64 v[32:33], off, off offset:120 th:TH_LOAD_LU
	;; [unrolled: 1-line block ×10, first 2 shown]
	s_wait_loadcnt 0xa
	v_mov_b64_e32 v[18:19], v[4:5]
	v_mov_b64_e32 v[14:15], v[6:7]
	ds_bpermute_b32 v0, v41, v22
	ds_bpermute_b32 v1, v41, v23
	v_mov_b64_e32 v[16:17], v[8:9]
	ds_bpermute_b32 v2, v41, v20
	ds_bpermute_b32 v3, v41, v21
	;; [unrolled: 1-line block ×8, first 2 shown]
	s_mov_b32 s0, exec_lo
	s_wait_dscnt 0x8
	v_pk_add_f32 v[0:1], v[22:23], v[0:1]
	s_wait_dscnt 0x6
	v_pk_add_f32 v[2:3], v[20:21], v[2:3]
	;; [unrolled: 2-line block ×4, first 2 shown]
	ds_bpermute_b32 v6, v58, v0
	ds_bpermute_b32 v7, v58, v1
	;; [unrolled: 1-line block ×4, first 2 shown]
	s_wait_dscnt 0x4
	v_pk_add_f32 v[16:17], v[16:17], v[8:9]
	ds_bpermute_b32 v8, v58, v2
	ds_bpermute_b32 v9, v58, v3
	;; [unrolled: 1-line block ×6, first 2 shown]
	s_wait_dscnt 0x8
	v_pk_add_f32 v[6:7], v[0:1], v[6:7]
	s_wait_dscnt 0x6
	v_pk_add_f32 v[0:1], v[4:5], v[18:19]
	;; [unrolled: 2-line block ×5, first 2 shown]
	ds_bpermute_b32 v16, v71, v8
	ds_bpermute_b32 v17, v71, v9
	;; [unrolled: 1-line block ×6, first 2 shown]
	s_wait_loadcnt 0x9
	ds_bpermute_b32 v10, v41, v24
	ds_bpermute_b32 v11, v41, v25
	s_wait_loadcnt 0x8
	ds_bpermute_b32 v12, v41, v32
	ds_bpermute_b32 v13, v41, v33
	;; [unrolled: 3-line block ×5, first 2 shown]
	ds_bpermute_b32 v26, v41, v36
	ds_bpermute_b32 v27, v41, v37
	s_wait_loadcnt 0x1
	ds_bpermute_b32 v38, v41, v52
	ds_bpermute_b32 v39, v41, v53
	s_wait_dscnt 0xc
	v_pk_add_f32 v[24:25], v[24:25], v[10:11]
	ds_bpermute_b32 v10, v71, v0
	s_wait_dscnt 0xb
	v_pk_add_f32 v[32:33], v[32:33], v[12:13]
	;; [unrolled: 3-line block ×3, first 2 shown]
	ds_bpermute_b32 v30, v58, v24
	ds_bpermute_b32 v31, v58, v25
	s_wait_loadcnt 0x0
	ds_bpermute_b32 v44, v41, v56
	ds_bpermute_b32 v45, v41, v57
	s_wait_dscnt 0xc
	v_pk_add_f32 v[18:19], v[46:47], v[18:19]
	s_wait_dscnt 0xa
	v_pk_add_f32 v[20:21], v[48:49], v[20:21]
	;; [unrolled: 2-line block ×3, first 2 shown]
	ds_bpermute_b32 v36, v41, v54
	ds_bpermute_b32 v37, v41, v55
	;; [unrolled: 1-line block ×12, first 2 shown]
	s_wait_dscnt 0xe
	v_pk_add_f32 v[34:35], v[24:25], v[30:31]
	ds_bpermute_b32 v24, v58, v32
	ds_bpermute_b32 v25, v58, v33
	s_wait_dscnt 0xe
	v_pk_add_f32 v[44:45], v[56:57], v[44:45]
	ds_bpermute_b32 v30, v41, v60
	ds_bpermute_b32 v31, v41, v61
	ds_bpermute_b32 v40, v71, v34
	s_wait_dscnt 0xf
	v_pk_add_f32 v[36:37], v[54:55], v[36:37]
	ds_bpermute_b32 v41, v71, v35
	s_wait_dscnt 0xe
	v_pk_add_f32 v[48:49], v[18:19], v[48:49]
	v_pk_add_f32 v[18:19], v[8:9], v[16:17]
	s_wait_dscnt 0xc
	v_pk_add_f32 v[42:43], v[26:27], v[42:43]
	ds_bpermute_b32 v26, v58, v44
	ds_bpermute_b32 v27, v58, v45
	s_wait_dscnt 0xc
	v_pk_add_f32 v[46:47], v[28:29], v[46:47]
	s_wait_dscnt 0xa
	v_pk_add_f32 v[50:51], v[20:21], v[50:51]
	ds_bpermute_b32 v59, v71, v43
	ds_bpermute_b32 v62, v71, v48
	;; [unrolled: 1-line block ×3, first 2 shown]
	v_pk_add_f32 v[20:21], v[2:3], v[14:15]
	ds_bpermute_b32 v64, v71, v50
	ds_bpermute_b32 v65, v71, v51
	s_wait_dscnt 0xb
	v_pk_add_f32 v[32:33], v[32:33], v[24:25]
	v_pk_add_f32 v[24:25], v[52:53], v[38:39]
	ds_bpermute_b32 v52, v58, v36
	s_wait_dscnt 0xa
	v_pk_add_f32 v[30:31], v[60:61], v[30:31]
	ds_bpermute_b32 v53, v58, v37
	ds_bpermute_b32 v56, v71, v32
	;; [unrolled: 1-line block ×10, first 2 shown]
	s_wait_dscnt 0x10
	v_pk_add_f32 v[28:29], v[44:45], v[26:27]
	v_pk_add_f32 v[26:27], v[0:1], v[10:11]
	;; [unrolled: 1-line block ×4, first 2 shown]
	s_wait_dscnt 0xd
	v_pk_add_f32 v[2:3], v[48:49], v[62:63]
	s_wait_dscnt 0xb
	v_pk_add_f32 v[0:1], v[50:51], v[64:65]
	;; [unrolled: 2-line block ×4, first 2 shown]
	scratch_load_b32 v32, off, off offset:176 th:TH_LOAD_LU ; 4-byte Folded Reload
	v_and_b32_e32 v33, 0x3c7, v70
	s_wait_dscnt 0x4
	v_pk_add_f32 v[38:39], v[30:31], v[38:39]
	s_wait_dscnt 0x3
	v_pk_add_f32 v[52:53], v[24:25], v[54:55]
	ds_bpermute_b32 v66, v71, v36
	ds_bpermute_b32 v67, v71, v37
	;; [unrolled: 1-line block ×8, first 2 shown]
	v_pk_add_f32 v[24:25], v[6:7], v[12:13]
	s_wait_dscnt 0xa
	v_pk_add_f32 v[6:7], v[42:43], v[58:59]
	s_wait_dscnt 0x8
	v_pk_add_f32 v[4:5], v[46:47], v[60:61]
	s_wait_storecnt 0x0
	s_wait_loadcnt_dscnt 0x0
	s_barrier_signal -1
	s_barrier_wait -1
	v_pk_add_f32 v[16:17], v[36:37], v[66:67]
	v_pk_add_f32 v[22:23], v[38:39], v[54:55]
	;; [unrolled: 1-line block ×3, first 2 shown]
	v_lshrrev_b32_e32 v32, 3, v32
	v_cmpx_ne_u32_e32 64, v33
	s_xor_b32 s0, exec_lo, s0
	s_delay_alu instid0(SALU_CYCLE_1)
	s_or_saveexec_b32 s0, s0
	v_pk_add_f32 v[28:29], v[28:29], v[30:31]
	scratch_load_b32 v30, off, off offset:192 th:TH_LOAD_LU ; 4-byte Folded Reload
	v_lshl_add_u32 v31, v32, 2, 0x200
	s_wait_loadcnt 0x0
	v_mul_u32_u24_e32 v30, 0x1e0, v30
	s_xor_b32 exec_lo, exec_lo, s0
	s_cbranch_execz .LBB41_109
; %bb.108:
	s_delay_alu instid0(VALU_DEP_1) | instskip(NEXT) | instid1(VALU_DEP_1)
	v_add_nc_u32_e32 v33, v31, v30
	v_add_nc_u32_e32 v34, 0xfffffc40, v33
	;; [unrolled: 1-line block ×9, first 2 shown]
	ds_store_b32 v34, v24
	ds_store_b32 v35, v25
	;; [unrolled: 1-line block ×8, first 2 shown]
	v_add_nc_u32_e32 v34, 0xfffffcc0, v33
	v_add_nc_u32_e32 v35, 0xfffffcd0, v33
	;; [unrolled: 1-line block ×8, first 2 shown]
	ds_store_b32 v34, v14
	ds_store_b32 v35, v15
	ds_store_b32 v36, v10
	ds_store_b32 v37, v11
	ds_store_b32 v38, v8
	ds_store_b32 v39, v9
	ds_store_b32 v40, v6
	ds_store_b32 v41, v7
	v_add_nc_u32_e32 v34, 0xfffffd40, v33
	v_add_nc_u32_e32 v35, 0xfffffd50, v33
	;; [unrolled: 1-line block ×8, first 2 shown]
	ds_store_b32 v34, v4
	ds_store_b32 v35, v5
	;; [unrolled: 1-line block ×8, first 2 shown]
	v_add_nc_u32_e32 v34, 0xfffffdc0, v33
	v_add_nc_u32_e32 v35, 0xfffffdd0, v33
	v_add_nc_u32_e32 v36, 0xfffffde0, v33
	v_add_nc_u32_e32 v37, 0xfffffdf0, v33
	v_add_nc_u32_e32 v38, 0xfffffe00, v33
	v_add_nc_u32_e32 v33, 0xfffffe10, v33
	ds_store_b32 v34, v16
	ds_store_b32 v35, v17
	;; [unrolled: 1-line block ×6, first 2 shown]
.LBB41_109:
	s_or_b32 exec_lo, exec_lo, s0
	v_lshlrev_b32_e32 v32, 2, v32
	s_mov_b32 s1, exec_lo
	v_cmp_eq_u32_e32 vcc_lo, 0, v72
	s_wait_dscnt 0x0
	s_barrier_signal -1
	v_add3_u32 v30, 0x200, v30, v32
	s_barrier_wait -1
	v_cmpx_gt_u32_e32 64, v70
	s_cbranch_execz .LBB41_142
; %bb.110:
	s_and_saveexec_b32 s0, vcc_lo
	s_cbranch_execnz .LBB41_180
; %bb.111:
	s_or_b32 exec_lo, exec_lo, s0
	s_and_saveexec_b32 s0, vcc_lo
	s_cbranch_execnz .LBB41_181
.LBB41_112:
	s_or_b32 exec_lo, exec_lo, s0
	s_and_saveexec_b32 s0, vcc_lo
	s_cbranch_execnz .LBB41_182
.LBB41_113:
	s_or_b32 exec_lo, exec_lo, s0
	s_and_saveexec_b32 s0, vcc_lo
	s_cbranch_execnz .LBB41_183
.LBB41_114:
	s_or_b32 exec_lo, exec_lo, s0
	s_and_saveexec_b32 s0, vcc_lo
	s_cbranch_execnz .LBB41_184
.LBB41_115:
	s_or_b32 exec_lo, exec_lo, s0
	s_and_saveexec_b32 s0, vcc_lo
	s_cbranch_execnz .LBB41_185
.LBB41_116:
	s_or_b32 exec_lo, exec_lo, s0
	s_and_saveexec_b32 s0, vcc_lo
	s_cbranch_execnz .LBB41_186
.LBB41_117:
	s_or_b32 exec_lo, exec_lo, s0
	s_and_saveexec_b32 s0, vcc_lo
	s_cbranch_execnz .LBB41_187
.LBB41_118:
	s_or_b32 exec_lo, exec_lo, s0
	s_and_saveexec_b32 s0, vcc_lo
	s_cbranch_execnz .LBB41_188
.LBB41_119:
	s_or_b32 exec_lo, exec_lo, s0
	s_and_saveexec_b32 s0, vcc_lo
	s_cbranch_execnz .LBB41_189
.LBB41_120:
	s_or_b32 exec_lo, exec_lo, s0
	s_and_saveexec_b32 s0, vcc_lo
	s_cbranch_execnz .LBB41_190
.LBB41_121:
	s_or_b32 exec_lo, exec_lo, s0
	s_and_saveexec_b32 s0, vcc_lo
	s_cbranch_execnz .LBB41_191
.LBB41_122:
	s_or_b32 exec_lo, exec_lo, s0
	s_and_saveexec_b32 s0, vcc_lo
	s_cbranch_execnz .LBB41_192
.LBB41_123:
	s_or_b32 exec_lo, exec_lo, s0
	s_and_saveexec_b32 s0, vcc_lo
	s_cbranch_execnz .LBB41_193
.LBB41_124:
	s_or_b32 exec_lo, exec_lo, s0
	s_and_saveexec_b32 s0, vcc_lo
	s_cbranch_execnz .LBB41_194
.LBB41_125:
	s_or_b32 exec_lo, exec_lo, s0
	s_and_saveexec_b32 s0, vcc_lo
	s_cbranch_execnz .LBB41_195
.LBB41_126:
	s_or_b32 exec_lo, exec_lo, s0
	s_and_saveexec_b32 s0, vcc_lo
	s_cbranch_execnz .LBB41_196
.LBB41_127:
	s_or_b32 exec_lo, exec_lo, s0
	s_and_saveexec_b32 s0, vcc_lo
	s_cbranch_execnz .LBB41_197
.LBB41_128:
	s_or_b32 exec_lo, exec_lo, s0
	s_and_saveexec_b32 s0, vcc_lo
	s_cbranch_execnz .LBB41_198
.LBB41_129:
	s_or_b32 exec_lo, exec_lo, s0
	s_and_saveexec_b32 s0, vcc_lo
	s_cbranch_execnz .LBB41_199
.LBB41_130:
	s_or_b32 exec_lo, exec_lo, s0
	s_and_saveexec_b32 s0, vcc_lo
	s_cbranch_execnz .LBB41_200
.LBB41_131:
	s_or_b32 exec_lo, exec_lo, s0
	s_and_saveexec_b32 s0, vcc_lo
	s_cbranch_execnz .LBB41_201
.LBB41_132:
	s_or_b32 exec_lo, exec_lo, s0
	s_and_saveexec_b32 s0, vcc_lo
	s_cbranch_execnz .LBB41_202
.LBB41_133:
	s_or_b32 exec_lo, exec_lo, s0
	s_and_saveexec_b32 s0, vcc_lo
	s_cbranch_execnz .LBB41_203
.LBB41_134:
	s_or_b32 exec_lo, exec_lo, s0
	s_and_saveexec_b32 s0, vcc_lo
	s_cbranch_execnz .LBB41_204
.LBB41_135:
	s_or_b32 exec_lo, exec_lo, s0
	s_and_saveexec_b32 s0, vcc_lo
	s_cbranch_execnz .LBB41_205
.LBB41_136:
	s_or_b32 exec_lo, exec_lo, s0
	s_and_saveexec_b32 s0, vcc_lo
	s_cbranch_execnz .LBB41_206
.LBB41_137:
	s_or_b32 exec_lo, exec_lo, s0
	s_and_saveexec_b32 s0, vcc_lo
	s_cbranch_execnz .LBB41_207
.LBB41_138:
	s_or_b32 exec_lo, exec_lo, s0
	s_and_saveexec_b32 s0, vcc_lo
	s_cbranch_execnz .LBB41_208
.LBB41_139:
	s_or_b32 exec_lo, exec_lo, s0
	s_and_saveexec_b32 s0, vcc_lo
	s_cbranch_execz .LBB41_141
.LBB41_140:
	ds_load_b32 v32, v30 offset:464
	s_wait_dscnt 0x0
	v_add_f32_e32 v29, v29, v32
.LBB41_141:
	s_or_b32 exec_lo, exec_lo, s0
.LBB41_142:
	s_delay_alu instid0(SALU_CYCLE_1) | instskip(SKIP_4) | instid1(VALU_DEP_1)
	s_or_b32 exec_lo, exec_lo, s1
	v_and_b32_e32 v32, 0x3e7, v70
	s_mov_b32 s1, exec_lo
	s_barrier_signal -1
	s_barrier_wait -1
	v_cmpx_eq_u32_e32 32, v32
	s_cbranch_execz .LBB41_144
; %bb.143:
	ds_store_2addr_b32 v31, v24, v25 offset1:4
	ds_store_2addr_b32 v31, v18, v19 offset0:8 offset1:12
	ds_store_2addr_b32 v31, v26, v27 offset0:16 offset1:20
	;; [unrolled: 1-line block ×14, first 2 shown]
.LBB41_144:
	s_or_b32 exec_lo, exec_lo, s1
	s_delay_alu instid0(SALU_CYCLE_1)
	s_mov_b32 s1, exec_lo
	s_wait_dscnt 0x0
	s_barrier_signal -1
	s_barrier_wait -1
	v_cmpx_gt_u32_e32 32, v70
	s_cbranch_execz .LBB41_177
; %bb.145:
	s_and_saveexec_b32 s0, vcc_lo
	s_cbranch_execnz .LBB41_209
; %bb.146:
	s_or_b32 exec_lo, exec_lo, s0
	s_and_saveexec_b32 s0, vcc_lo
	s_cbranch_execnz .LBB41_210
.LBB41_147:
	s_or_b32 exec_lo, exec_lo, s0
	s_and_saveexec_b32 s0, vcc_lo
	s_cbranch_execnz .LBB41_211
.LBB41_148:
	s_or_b32 exec_lo, exec_lo, s0
	s_and_saveexec_b32 s0, vcc_lo
	s_cbranch_execnz .LBB41_212
.LBB41_149:
	s_or_b32 exec_lo, exec_lo, s0
	s_and_saveexec_b32 s0, vcc_lo
	s_cbranch_execnz .LBB41_213
.LBB41_150:
	s_or_b32 exec_lo, exec_lo, s0
	s_and_saveexec_b32 s0, vcc_lo
	s_cbranch_execnz .LBB41_214
.LBB41_151:
	s_or_b32 exec_lo, exec_lo, s0
	s_and_saveexec_b32 s0, vcc_lo
	s_cbranch_execnz .LBB41_215
.LBB41_152:
	s_or_b32 exec_lo, exec_lo, s0
	s_and_saveexec_b32 s0, vcc_lo
	s_cbranch_execnz .LBB41_216
.LBB41_153:
	s_or_b32 exec_lo, exec_lo, s0
	s_and_saveexec_b32 s0, vcc_lo
	s_cbranch_execnz .LBB41_217
.LBB41_154:
	s_or_b32 exec_lo, exec_lo, s0
	s_and_saveexec_b32 s0, vcc_lo
	s_cbranch_execnz .LBB41_218
.LBB41_155:
	s_or_b32 exec_lo, exec_lo, s0
	s_and_saveexec_b32 s0, vcc_lo
	s_cbranch_execnz .LBB41_219
.LBB41_156:
	s_or_b32 exec_lo, exec_lo, s0
	s_and_saveexec_b32 s0, vcc_lo
	s_cbranch_execnz .LBB41_220
.LBB41_157:
	s_or_b32 exec_lo, exec_lo, s0
	s_and_saveexec_b32 s0, vcc_lo
	s_cbranch_execnz .LBB41_221
.LBB41_158:
	s_or_b32 exec_lo, exec_lo, s0
	s_and_saveexec_b32 s0, vcc_lo
	s_cbranch_execnz .LBB41_222
.LBB41_159:
	s_or_b32 exec_lo, exec_lo, s0
	s_and_saveexec_b32 s0, vcc_lo
	s_cbranch_execnz .LBB41_223
.LBB41_160:
	s_or_b32 exec_lo, exec_lo, s0
	s_and_saveexec_b32 s0, vcc_lo
	s_cbranch_execnz .LBB41_224
.LBB41_161:
	s_or_b32 exec_lo, exec_lo, s0
	s_and_saveexec_b32 s0, vcc_lo
	s_cbranch_execnz .LBB41_225
.LBB41_162:
	s_or_b32 exec_lo, exec_lo, s0
	s_and_saveexec_b32 s0, vcc_lo
	s_cbranch_execnz .LBB41_226
.LBB41_163:
	s_or_b32 exec_lo, exec_lo, s0
	s_and_saveexec_b32 s0, vcc_lo
	s_cbranch_execnz .LBB41_227
.LBB41_164:
	s_or_b32 exec_lo, exec_lo, s0
	s_and_saveexec_b32 s0, vcc_lo
	s_cbranch_execnz .LBB41_228
.LBB41_165:
	s_or_b32 exec_lo, exec_lo, s0
	s_and_saveexec_b32 s0, vcc_lo
	s_cbranch_execnz .LBB41_229
.LBB41_166:
	s_or_b32 exec_lo, exec_lo, s0
	s_and_saveexec_b32 s0, vcc_lo
	s_cbranch_execnz .LBB41_230
.LBB41_167:
	s_or_b32 exec_lo, exec_lo, s0
	s_and_saveexec_b32 s0, vcc_lo
	s_cbranch_execnz .LBB41_231
.LBB41_168:
	s_or_b32 exec_lo, exec_lo, s0
	s_and_saveexec_b32 s0, vcc_lo
	s_cbranch_execnz .LBB41_232
.LBB41_169:
	s_or_b32 exec_lo, exec_lo, s0
	s_and_saveexec_b32 s0, vcc_lo
	s_cbranch_execnz .LBB41_233
.LBB41_170:
	s_or_b32 exec_lo, exec_lo, s0
	s_and_saveexec_b32 s0, vcc_lo
	s_cbranch_execnz .LBB41_234
.LBB41_171:
	s_or_b32 exec_lo, exec_lo, s0
	s_and_saveexec_b32 s0, vcc_lo
	s_cbranch_execnz .LBB41_235
.LBB41_172:
	s_or_b32 exec_lo, exec_lo, s0
	s_and_saveexec_b32 s0, vcc_lo
	s_cbranch_execnz .LBB41_236
.LBB41_173:
	s_or_b32 exec_lo, exec_lo, s0
	s_and_saveexec_b32 s0, vcc_lo
	s_cbranch_execnz .LBB41_237
.LBB41_174:
	s_or_b32 exec_lo, exec_lo, s0
	s_and_saveexec_b32 s0, vcc_lo
	s_cbranch_execz .LBB41_176
.LBB41_175:
	ds_load_b32 v30, v30 offset:464
	s_wait_dscnt 0x0
	v_add_f32_e32 v29, v29, v30
.LBB41_176:
	s_or_b32 exec_lo, exec_lo, s0
.LBB41_177:
	s_delay_alu instid0(SALU_CYCLE_1)
	s_or_b32 exec_lo, exec_lo, s1
	s_mov_b32 s1, 0
	s_barrier_signal -1
	s_barrier_wait -1
	s_mov_b32 s0, exec_lo
	v_cmpx_eq_u32_e32 0, v32
	s_cbranch_execz .LBB41_179
; %bb.178:
	s_mul_i32 s0, s28, s7
	s_mul_i32 s2, s7, s12
	s_mul_i32 s0, s0, s27
	s_lshr_b32 s6, ttmp7, 16
	s_mul_i32 s4, s0, 0x78
	s_bfe_u32 s0, ttmp6, 0x40014
	s_ashr_i32 s5, s4, 31
	s_add_co_i32 s0, s0, 1
	s_ashr_i32 s3, s2, 31
	s_mul_i32 s0, s6, s0
	s_bfe_u32 s7, ttmp6, 0x40008
	s_lshl_b64 s[4:5], s[4:5], 2
	s_lshl_b64 s[2:3], s[2:3], 2
	s_add_co_i32 s7, s7, s0
	s_cmp_eq_u32 s26, 0
	s_wait_kmcnt 0x0
	s_add_nc_u64 s[4:5], s[10:11], s[4:5]
	s_cselect_b32 s0, s6, s7
	v_lshrrev_b32_e32 v30, 1, v70
	s_add_nc_u64 s[2:3], s[4:5], s[2:3]
	s_mulk_i32 s0, 0x1e0
	s_delay_alu instid0(SALU_CYCLE_1)
	s_add_nc_u64 s[0:1], s[2:3], s[0:1]
	s_clause 0x1d
	global_store_b32 v30, v24, s[0:1]
	global_store_b32 v30, v25, s[0:1] offset:16
	global_store_b32 v30, v18, s[0:1] offset:32
	;; [unrolled: 1-line block ×29, first 2 shown]
.LBB41_179:
	s_sendmsg sendmsg(MSG_DEALLOC_VGPRS)
	s_endpgm
.LBB41_180:
	ds_load_b32 v32, v30
	s_wait_dscnt 0x0
	v_add_f32_e32 v24, v24, v32
	s_or_b32 exec_lo, exec_lo, s0
	s_and_saveexec_b32 s0, vcc_lo
	s_cbranch_execz .LBB41_112
.LBB41_181:
	ds_load_b32 v32, v30 offset:16
	s_wait_dscnt 0x0
	v_add_f32_e32 v25, v25, v32
	s_or_b32 exec_lo, exec_lo, s0
	s_and_saveexec_b32 s0, vcc_lo
	s_cbranch_execz .LBB41_113
.LBB41_182:
	ds_load_b32 v32, v30 offset:32
	s_wait_dscnt 0x0
	v_add_f32_e32 v18, v18, v32
	s_or_b32 exec_lo, exec_lo, s0
	s_and_saveexec_b32 s0, vcc_lo
	s_cbranch_execz .LBB41_114
.LBB41_183:
	ds_load_b32 v32, v30 offset:48
	s_wait_dscnt 0x0
	v_add_f32_e32 v19, v19, v32
	s_or_b32 exec_lo, exec_lo, s0
	s_and_saveexec_b32 s0, vcc_lo
	s_cbranch_execz .LBB41_115
.LBB41_184:
	ds_load_b32 v32, v30 offset:64
	s_wait_dscnt 0x0
	v_add_f32_e32 v26, v26, v32
	s_or_b32 exec_lo, exec_lo, s0
	s_and_saveexec_b32 s0, vcc_lo
	s_cbranch_execz .LBB41_116
.LBB41_185:
	ds_load_b32 v32, v30 offset:80
	s_wait_dscnt 0x0
	v_add_f32_e32 v27, v27, v32
	s_or_b32 exec_lo, exec_lo, s0
	s_and_saveexec_b32 s0, vcc_lo
	s_cbranch_execz .LBB41_117
.LBB41_186:
	ds_load_b32 v32, v30 offset:96
	s_wait_dscnt 0x0
	v_add_f32_e32 v20, v20, v32
	s_or_b32 exec_lo, exec_lo, s0
	s_and_saveexec_b32 s0, vcc_lo
	s_cbranch_execz .LBB41_118
.LBB41_187:
	ds_load_b32 v32, v30 offset:112
	s_wait_dscnt 0x0
	v_add_f32_e32 v21, v21, v32
	s_or_b32 exec_lo, exec_lo, s0
	s_and_saveexec_b32 s0, vcc_lo
	s_cbranch_execz .LBB41_119
.LBB41_188:
	ds_load_b32 v32, v30 offset:128
	s_wait_dscnt 0x0
	v_add_f32_e32 v14, v14, v32
	s_or_b32 exec_lo, exec_lo, s0
	s_and_saveexec_b32 s0, vcc_lo
	s_cbranch_execz .LBB41_120
.LBB41_189:
	ds_load_b32 v32, v30 offset:144
	s_wait_dscnt 0x0
	v_add_f32_e32 v15, v15, v32
	s_or_b32 exec_lo, exec_lo, s0
	s_and_saveexec_b32 s0, vcc_lo
	s_cbranch_execz .LBB41_121
.LBB41_190:
	ds_load_b32 v32, v30 offset:160
	s_wait_dscnt 0x0
	v_add_f32_e32 v10, v10, v32
	s_or_b32 exec_lo, exec_lo, s0
	s_and_saveexec_b32 s0, vcc_lo
	s_cbranch_execz .LBB41_122
.LBB41_191:
	ds_load_b32 v32, v30 offset:176
	s_wait_dscnt 0x0
	v_add_f32_e32 v11, v11, v32
	s_or_b32 exec_lo, exec_lo, s0
	s_and_saveexec_b32 s0, vcc_lo
	s_cbranch_execz .LBB41_123
.LBB41_192:
	ds_load_b32 v32, v30 offset:192
	s_wait_dscnt 0x0
	v_add_f32_e32 v8, v8, v32
	s_or_b32 exec_lo, exec_lo, s0
	s_and_saveexec_b32 s0, vcc_lo
	s_cbranch_execz .LBB41_124
.LBB41_193:
	ds_load_b32 v32, v30 offset:208
	s_wait_dscnt 0x0
	v_add_f32_e32 v9, v9, v32
	s_or_b32 exec_lo, exec_lo, s0
	s_and_saveexec_b32 s0, vcc_lo
	s_cbranch_execz .LBB41_125
.LBB41_194:
	ds_load_b32 v32, v30 offset:224
	s_wait_dscnt 0x0
	v_add_f32_e32 v6, v6, v32
	s_or_b32 exec_lo, exec_lo, s0
	s_and_saveexec_b32 s0, vcc_lo
	s_cbranch_execz .LBB41_126
.LBB41_195:
	ds_load_b32 v32, v30 offset:240
	s_wait_dscnt 0x0
	v_add_f32_e32 v7, v7, v32
	s_or_b32 exec_lo, exec_lo, s0
	s_and_saveexec_b32 s0, vcc_lo
	s_cbranch_execz .LBB41_127
.LBB41_196:
	ds_load_b32 v32, v30 offset:256
	s_wait_dscnt 0x0
	v_add_f32_e32 v4, v4, v32
	s_or_b32 exec_lo, exec_lo, s0
	s_and_saveexec_b32 s0, vcc_lo
	s_cbranch_execz .LBB41_128
.LBB41_197:
	ds_load_b32 v32, v30 offset:272
	s_wait_dscnt 0x0
	v_add_f32_e32 v5, v5, v32
	s_or_b32 exec_lo, exec_lo, s0
	s_and_saveexec_b32 s0, vcc_lo
	s_cbranch_execz .LBB41_129
.LBB41_198:
	ds_load_b32 v32, v30 offset:288
	s_wait_dscnt 0x0
	v_add_f32_e32 v2, v2, v32
	s_or_b32 exec_lo, exec_lo, s0
	s_and_saveexec_b32 s0, vcc_lo
	s_cbranch_execz .LBB41_130
.LBB41_199:
	ds_load_b32 v32, v30 offset:304
	s_wait_dscnt 0x0
	v_add_f32_e32 v3, v3, v32
	s_or_b32 exec_lo, exec_lo, s0
	s_and_saveexec_b32 s0, vcc_lo
	s_cbranch_execz .LBB41_131
.LBB41_200:
	ds_load_b32 v32, v30 offset:320
	s_wait_dscnt 0x0
	v_add_f32_e32 v0, v0, v32
	s_or_b32 exec_lo, exec_lo, s0
	s_and_saveexec_b32 s0, vcc_lo
	s_cbranch_execz .LBB41_132
.LBB41_201:
	ds_load_b32 v32, v30 offset:336
	s_wait_dscnt 0x0
	v_add_f32_e32 v1, v1, v32
	s_or_b32 exec_lo, exec_lo, s0
	s_and_saveexec_b32 s0, vcc_lo
	s_cbranch_execz .LBB41_133
.LBB41_202:
	ds_load_b32 v32, v30 offset:352
	s_wait_dscnt 0x0
	v_add_f32_e32 v22, v22, v32
	s_or_b32 exec_lo, exec_lo, s0
	s_and_saveexec_b32 s0, vcc_lo
	s_cbranch_execz .LBB41_134
.LBB41_203:
	ds_load_b32 v32, v30 offset:368
	s_wait_dscnt 0x0
	v_add_f32_e32 v23, v23, v32
	s_or_b32 exec_lo, exec_lo, s0
	s_and_saveexec_b32 s0, vcc_lo
	s_cbranch_execz .LBB41_135
.LBB41_204:
	ds_load_b32 v32, v30 offset:384
	s_wait_dscnt 0x0
	v_add_f32_e32 v16, v16, v32
	s_or_b32 exec_lo, exec_lo, s0
	s_and_saveexec_b32 s0, vcc_lo
	s_cbranch_execz .LBB41_136
.LBB41_205:
	ds_load_b32 v32, v30 offset:400
	s_wait_dscnt 0x0
	v_add_f32_e32 v17, v17, v32
	s_or_b32 exec_lo, exec_lo, s0
	s_and_saveexec_b32 s0, vcc_lo
	s_cbranch_execz .LBB41_137
.LBB41_206:
	ds_load_b32 v32, v30 offset:416
	s_wait_dscnt 0x0
	v_add_f32_e32 v12, v12, v32
	s_or_b32 exec_lo, exec_lo, s0
	s_and_saveexec_b32 s0, vcc_lo
	s_cbranch_execz .LBB41_138
.LBB41_207:
	ds_load_b32 v32, v30 offset:432
	s_wait_dscnt 0x0
	v_add_f32_e32 v13, v13, v32
	s_or_b32 exec_lo, exec_lo, s0
	s_and_saveexec_b32 s0, vcc_lo
	s_cbranch_execz .LBB41_139
.LBB41_208:
	ds_load_b32 v32, v30 offset:448
	s_wait_dscnt 0x0
	v_add_f32_e32 v28, v28, v32
	s_or_b32 exec_lo, exec_lo, s0
	s_and_saveexec_b32 s0, vcc_lo
	s_cbranch_execnz .LBB41_140
	s_branch .LBB41_141
.LBB41_209:
	ds_load_b32 v31, v30
	s_wait_dscnt 0x0
	v_add_f32_e32 v24, v24, v31
	s_or_b32 exec_lo, exec_lo, s0
	s_and_saveexec_b32 s0, vcc_lo
	s_cbranch_execz .LBB41_147
.LBB41_210:
	ds_load_b32 v31, v30 offset:16
	s_wait_dscnt 0x0
	v_add_f32_e32 v25, v25, v31
	s_or_b32 exec_lo, exec_lo, s0
	s_and_saveexec_b32 s0, vcc_lo
	s_cbranch_execz .LBB41_148
.LBB41_211:
	ds_load_b32 v31, v30 offset:32
	s_wait_dscnt 0x0
	v_add_f32_e32 v18, v18, v31
	s_or_b32 exec_lo, exec_lo, s0
	s_and_saveexec_b32 s0, vcc_lo
	s_cbranch_execz .LBB41_149
.LBB41_212:
	ds_load_b32 v31, v30 offset:48
	s_wait_dscnt 0x0
	v_add_f32_e32 v19, v19, v31
	s_or_b32 exec_lo, exec_lo, s0
	s_and_saveexec_b32 s0, vcc_lo
	s_cbranch_execz .LBB41_150
.LBB41_213:
	ds_load_b32 v31, v30 offset:64
	s_wait_dscnt 0x0
	v_add_f32_e32 v26, v26, v31
	s_or_b32 exec_lo, exec_lo, s0
	s_and_saveexec_b32 s0, vcc_lo
	s_cbranch_execz .LBB41_151
.LBB41_214:
	ds_load_b32 v31, v30 offset:80
	s_wait_dscnt 0x0
	v_add_f32_e32 v27, v27, v31
	s_or_b32 exec_lo, exec_lo, s0
	s_and_saveexec_b32 s0, vcc_lo
	s_cbranch_execz .LBB41_152
.LBB41_215:
	ds_load_b32 v31, v30 offset:96
	s_wait_dscnt 0x0
	v_add_f32_e32 v20, v20, v31
	s_or_b32 exec_lo, exec_lo, s0
	s_and_saveexec_b32 s0, vcc_lo
	s_cbranch_execz .LBB41_153
.LBB41_216:
	ds_load_b32 v31, v30 offset:112
	s_wait_dscnt 0x0
	v_add_f32_e32 v21, v21, v31
	s_or_b32 exec_lo, exec_lo, s0
	s_and_saveexec_b32 s0, vcc_lo
	s_cbranch_execz .LBB41_154
.LBB41_217:
	ds_load_b32 v31, v30 offset:128
	s_wait_dscnt 0x0
	v_add_f32_e32 v14, v14, v31
	s_or_b32 exec_lo, exec_lo, s0
	s_and_saveexec_b32 s0, vcc_lo
	s_cbranch_execz .LBB41_155
.LBB41_218:
	ds_load_b32 v31, v30 offset:144
	s_wait_dscnt 0x0
	v_add_f32_e32 v15, v15, v31
	s_or_b32 exec_lo, exec_lo, s0
	s_and_saveexec_b32 s0, vcc_lo
	s_cbranch_execz .LBB41_156
.LBB41_219:
	ds_load_b32 v31, v30 offset:160
	s_wait_dscnt 0x0
	v_add_f32_e32 v10, v10, v31
	s_or_b32 exec_lo, exec_lo, s0
	s_and_saveexec_b32 s0, vcc_lo
	s_cbranch_execz .LBB41_157
.LBB41_220:
	ds_load_b32 v31, v30 offset:176
	s_wait_dscnt 0x0
	v_add_f32_e32 v11, v11, v31
	s_or_b32 exec_lo, exec_lo, s0
	s_and_saveexec_b32 s0, vcc_lo
	s_cbranch_execz .LBB41_158
.LBB41_221:
	ds_load_b32 v31, v30 offset:192
	s_wait_dscnt 0x0
	v_add_f32_e32 v8, v8, v31
	s_or_b32 exec_lo, exec_lo, s0
	s_and_saveexec_b32 s0, vcc_lo
	s_cbranch_execz .LBB41_159
.LBB41_222:
	ds_load_b32 v31, v30 offset:208
	s_wait_dscnt 0x0
	v_add_f32_e32 v9, v9, v31
	s_or_b32 exec_lo, exec_lo, s0
	s_and_saveexec_b32 s0, vcc_lo
	s_cbranch_execz .LBB41_160
.LBB41_223:
	ds_load_b32 v31, v30 offset:224
	s_wait_dscnt 0x0
	v_add_f32_e32 v6, v6, v31
	s_or_b32 exec_lo, exec_lo, s0
	s_and_saveexec_b32 s0, vcc_lo
	s_cbranch_execz .LBB41_161
.LBB41_224:
	ds_load_b32 v31, v30 offset:240
	s_wait_dscnt 0x0
	v_add_f32_e32 v7, v7, v31
	s_or_b32 exec_lo, exec_lo, s0
	s_and_saveexec_b32 s0, vcc_lo
	s_cbranch_execz .LBB41_162
.LBB41_225:
	ds_load_b32 v31, v30 offset:256
	s_wait_dscnt 0x0
	v_add_f32_e32 v4, v4, v31
	s_or_b32 exec_lo, exec_lo, s0
	s_and_saveexec_b32 s0, vcc_lo
	s_cbranch_execz .LBB41_163
.LBB41_226:
	ds_load_b32 v31, v30 offset:272
	s_wait_dscnt 0x0
	v_add_f32_e32 v5, v5, v31
	s_or_b32 exec_lo, exec_lo, s0
	s_and_saveexec_b32 s0, vcc_lo
	s_cbranch_execz .LBB41_164
.LBB41_227:
	ds_load_b32 v31, v30 offset:288
	s_wait_dscnt 0x0
	v_add_f32_e32 v2, v2, v31
	s_or_b32 exec_lo, exec_lo, s0
	s_and_saveexec_b32 s0, vcc_lo
	s_cbranch_execz .LBB41_165
.LBB41_228:
	ds_load_b32 v31, v30 offset:304
	s_wait_dscnt 0x0
	v_add_f32_e32 v3, v3, v31
	s_or_b32 exec_lo, exec_lo, s0
	s_and_saveexec_b32 s0, vcc_lo
	s_cbranch_execz .LBB41_166
.LBB41_229:
	ds_load_b32 v31, v30 offset:320
	s_wait_dscnt 0x0
	v_add_f32_e32 v0, v0, v31
	s_or_b32 exec_lo, exec_lo, s0
	s_and_saveexec_b32 s0, vcc_lo
	s_cbranch_execz .LBB41_167
.LBB41_230:
	ds_load_b32 v31, v30 offset:336
	s_wait_dscnt 0x0
	v_add_f32_e32 v1, v1, v31
	s_or_b32 exec_lo, exec_lo, s0
	s_and_saveexec_b32 s0, vcc_lo
	s_cbranch_execz .LBB41_168
.LBB41_231:
	ds_load_b32 v31, v30 offset:352
	s_wait_dscnt 0x0
	v_add_f32_e32 v22, v22, v31
	s_or_b32 exec_lo, exec_lo, s0
	s_and_saveexec_b32 s0, vcc_lo
	s_cbranch_execz .LBB41_169
.LBB41_232:
	ds_load_b32 v31, v30 offset:368
	s_wait_dscnt 0x0
	v_add_f32_e32 v23, v23, v31
	s_or_b32 exec_lo, exec_lo, s0
	s_and_saveexec_b32 s0, vcc_lo
	s_cbranch_execz .LBB41_170
.LBB41_233:
	ds_load_b32 v31, v30 offset:384
	s_wait_dscnt 0x0
	v_add_f32_e32 v16, v16, v31
	s_or_b32 exec_lo, exec_lo, s0
	s_and_saveexec_b32 s0, vcc_lo
	s_cbranch_execz .LBB41_171
.LBB41_234:
	ds_load_b32 v31, v30 offset:400
	s_wait_dscnt 0x0
	v_add_f32_e32 v17, v17, v31
	s_or_b32 exec_lo, exec_lo, s0
	s_and_saveexec_b32 s0, vcc_lo
	s_cbranch_execz .LBB41_172
.LBB41_235:
	ds_load_b32 v31, v30 offset:416
	s_wait_dscnt 0x0
	v_add_f32_e32 v12, v12, v31
	s_or_b32 exec_lo, exec_lo, s0
	s_and_saveexec_b32 s0, vcc_lo
	s_cbranch_execz .LBB41_173
.LBB41_236:
	ds_load_b32 v31, v30 offset:432
	s_wait_dscnt 0x0
	v_add_f32_e32 v13, v13, v31
	s_or_b32 exec_lo, exec_lo, s0
	s_and_saveexec_b32 s0, vcc_lo
	s_cbranch_execz .LBB41_174
.LBB41_237:
	ds_load_b32 v31, v30 offset:448
	s_wait_dscnt 0x0
	v_add_f32_e32 v28, v28, v31
	s_or_b32 exec_lo, exec_lo, s0
	s_and_saveexec_b32 s0, vcc_lo
	s_cbranch_execnz .LBB41_175
	s_branch .LBB41_176
	.section	.rodata,"a",@progbits
	.p2align	6, 0x0
	.amdhsa_kernel _ZN4vllm25paged_attention_v1_kernelIffLi120ELi32ELi128ELNS_18Fp8KVCacheDataTypeE0ELb1EEEvPT_PKS2_PKT0_S8_ifPKiSA_iPKfiiiSC_SC_iiiii
		.amdhsa_group_segment_fixed_size 512
		.amdhsa_private_segment_fixed_size 220
		.amdhsa_kernarg_size 384
		.amdhsa_user_sgpr_count 2
		.amdhsa_user_sgpr_dispatch_ptr 0
		.amdhsa_user_sgpr_queue_ptr 0
		.amdhsa_user_sgpr_kernarg_segment_ptr 1
		.amdhsa_user_sgpr_dispatch_id 0
		.amdhsa_user_sgpr_kernarg_preload_length 0
		.amdhsa_user_sgpr_kernarg_preload_offset 0
		.amdhsa_user_sgpr_private_segment_size 0
		.amdhsa_wavefront_size32 1
		.amdhsa_uses_dynamic_stack 0
		.amdhsa_enable_private_segment 1
		.amdhsa_system_sgpr_workgroup_id_x 1
		.amdhsa_system_sgpr_workgroup_id_y 1
		.amdhsa_system_sgpr_workgroup_id_z 1
		.amdhsa_system_sgpr_workgroup_info 0
		.amdhsa_system_vgpr_workitem_id 0
		.amdhsa_next_free_vgpr 128
		.amdhsa_next_free_sgpr 38
		.amdhsa_named_barrier_count 0
		.amdhsa_reserve_vcc 1
		.amdhsa_float_round_mode_32 0
		.amdhsa_float_round_mode_16_64 0
		.amdhsa_float_denorm_mode_32 3
		.amdhsa_float_denorm_mode_16_64 3
		.amdhsa_fp16_overflow 0
		.amdhsa_memory_ordered 1
		.amdhsa_forward_progress 1
		.amdhsa_inst_pref_size 127
		.amdhsa_round_robin_scheduling 0
		.amdhsa_exception_fp_ieee_invalid_op 0
		.amdhsa_exception_fp_denorm_src 0
		.amdhsa_exception_fp_ieee_div_zero 0
		.amdhsa_exception_fp_ieee_overflow 0
		.amdhsa_exception_fp_ieee_underflow 0
		.amdhsa_exception_fp_ieee_inexact 0
		.amdhsa_exception_int_div_zero 0
	.end_amdhsa_kernel
	.section	.text._ZN4vllm25paged_attention_v1_kernelIffLi120ELi32ELi128ELNS_18Fp8KVCacheDataTypeE0ELb1EEEvPT_PKS2_PKT0_S8_ifPKiSA_iPKfiiiSC_SC_iiiii,"axG",@progbits,_ZN4vllm25paged_attention_v1_kernelIffLi120ELi32ELi128ELNS_18Fp8KVCacheDataTypeE0ELb1EEEvPT_PKS2_PKT0_S8_ifPKiSA_iPKfiiiSC_SC_iiiii,comdat
.Lfunc_end41:
	.size	_ZN4vllm25paged_attention_v1_kernelIffLi120ELi32ELi128ELNS_18Fp8KVCacheDataTypeE0ELb1EEEvPT_PKS2_PKT0_S8_ifPKiSA_iPKfiiiSC_SC_iiiii, .Lfunc_end41-_ZN4vllm25paged_attention_v1_kernelIffLi120ELi32ELi128ELNS_18Fp8KVCacheDataTypeE0ELb1EEEvPT_PKS2_PKT0_S8_ifPKiSA_iPKfiiiSC_SC_iiiii
                                        ; -- End function
	.set _ZN4vllm25paged_attention_v1_kernelIffLi120ELi32ELi128ELNS_18Fp8KVCacheDataTypeE0ELb1EEEvPT_PKS2_PKT0_S8_ifPKiSA_iPKfiiiSC_SC_iiiii.num_vgpr, 128
	.set _ZN4vllm25paged_attention_v1_kernelIffLi120ELi32ELi128ELNS_18Fp8KVCacheDataTypeE0ELb1EEEvPT_PKS2_PKT0_S8_ifPKiSA_iPKfiiiSC_SC_iiiii.num_agpr, 0
	.set _ZN4vllm25paged_attention_v1_kernelIffLi120ELi32ELi128ELNS_18Fp8KVCacheDataTypeE0ELb1EEEvPT_PKS2_PKT0_S8_ifPKiSA_iPKfiiiSC_SC_iiiii.numbered_sgpr, 38
	.set _ZN4vllm25paged_attention_v1_kernelIffLi120ELi32ELi128ELNS_18Fp8KVCacheDataTypeE0ELb1EEEvPT_PKS2_PKT0_S8_ifPKiSA_iPKfiiiSC_SC_iiiii.num_named_barrier, 0
	.set _ZN4vllm25paged_attention_v1_kernelIffLi120ELi32ELi128ELNS_18Fp8KVCacheDataTypeE0ELb1EEEvPT_PKS2_PKT0_S8_ifPKiSA_iPKfiiiSC_SC_iiiii.private_seg_size, 220
	.set _ZN4vllm25paged_attention_v1_kernelIffLi120ELi32ELi128ELNS_18Fp8KVCacheDataTypeE0ELb1EEEvPT_PKS2_PKT0_S8_ifPKiSA_iPKfiiiSC_SC_iiiii.uses_vcc, 1
	.set _ZN4vllm25paged_attention_v1_kernelIffLi120ELi32ELi128ELNS_18Fp8KVCacheDataTypeE0ELb1EEEvPT_PKS2_PKT0_S8_ifPKiSA_iPKfiiiSC_SC_iiiii.uses_flat_scratch, 1
	.set _ZN4vllm25paged_attention_v1_kernelIffLi120ELi32ELi128ELNS_18Fp8KVCacheDataTypeE0ELb1EEEvPT_PKS2_PKT0_S8_ifPKiSA_iPKfiiiSC_SC_iiiii.has_dyn_sized_stack, 0
	.set _ZN4vllm25paged_attention_v1_kernelIffLi120ELi32ELi128ELNS_18Fp8KVCacheDataTypeE0ELb1EEEvPT_PKS2_PKT0_S8_ifPKiSA_iPKfiiiSC_SC_iiiii.has_recursion, 0
	.set _ZN4vllm25paged_attention_v1_kernelIffLi120ELi32ELi128ELNS_18Fp8KVCacheDataTypeE0ELb1EEEvPT_PKS2_PKT0_S8_ifPKiSA_iPKfiiiSC_SC_iiiii.has_indirect_call, 0
	.section	.AMDGPU.csdata,"",@progbits
; Kernel info:
; codeLenInByte = 16160
; TotalNumSgprs: 40
; NumVgprs: 128
; ScratchSize: 220
; MemoryBound: 0
; FloatMode: 240
; IeeeMode: 1
; LDSByteSize: 512 bytes/workgroup (compile time only)
; SGPRBlocks: 0
; VGPRBlocks: 7
; NumSGPRsForWavesPerEU: 40
; NumVGPRsForWavesPerEU: 128
; NamedBarCnt: 0
; Occupancy: 8
; WaveLimiterHint : 1
; COMPUTE_PGM_RSRC2:SCRATCH_EN: 1
; COMPUTE_PGM_RSRC2:USER_SGPR: 2
; COMPUTE_PGM_RSRC2:TRAP_HANDLER: 0
; COMPUTE_PGM_RSRC2:TGID_X_EN: 1
; COMPUTE_PGM_RSRC2:TGID_Y_EN: 1
; COMPUTE_PGM_RSRC2:TGID_Z_EN: 1
; COMPUTE_PGM_RSRC2:TIDIG_COMP_CNT: 0
	.section	.text._ZN4vllm25paged_attention_v1_kernelIffLi128ELi32ELi128ELNS_18Fp8KVCacheDataTypeE0ELb1EEEvPT_PKS2_PKT0_S8_ifPKiSA_iPKfiiiSC_SC_iiiii,"axG",@progbits,_ZN4vllm25paged_attention_v1_kernelIffLi128ELi32ELi128ELNS_18Fp8KVCacheDataTypeE0ELb1EEEvPT_PKS2_PKT0_S8_ifPKiSA_iPKfiiiSC_SC_iiiii,comdat
	.protected	_ZN4vllm25paged_attention_v1_kernelIffLi128ELi32ELi128ELNS_18Fp8KVCacheDataTypeE0ELb1EEEvPT_PKS2_PKT0_S8_ifPKiSA_iPKfiiiSC_SC_iiiii ; -- Begin function _ZN4vllm25paged_attention_v1_kernelIffLi128ELi32ELi128ELNS_18Fp8KVCacheDataTypeE0ELb1EEEvPT_PKS2_PKT0_S8_ifPKiSA_iPKfiiiSC_SC_iiiii
	.globl	_ZN4vllm25paged_attention_v1_kernelIffLi128ELi32ELi128ELNS_18Fp8KVCacheDataTypeE0ELb1EEEvPT_PKS2_PKT0_S8_ifPKiSA_iPKfiiiSC_SC_iiiii
	.p2align	8
	.type	_ZN4vllm25paged_attention_v1_kernelIffLi128ELi32ELi128ELNS_18Fp8KVCacheDataTypeE0ELb1EEEvPT_PKS2_PKT0_S8_ifPKiSA_iPKfiiiSC_SC_iiiii,@function
_ZN4vllm25paged_attention_v1_kernelIffLi128ELi32ELi128ELNS_18Fp8KVCacheDataTypeE0ELb1EEEvPT_PKS2_PKT0_S8_ifPKiSA_iPKfiiiSC_SC_iiiii: ; @_ZN4vllm25paged_attention_v1_kernelIffLi128ELi32ELi128ELNS_18Fp8KVCacheDataTypeE0ELb1EEEvPT_PKS2_PKT0_S8_ifPKiSA_iPKfiiiSC_SC_iiiii
; %bb.0:
	s_load_b64 s[24:25], s[0:1], 0x20
	s_bfe_u32 s3, ttmp6, 0x4000c
	s_bfe_u32 s5, ttmp6, 0x40010
	s_and_b32 s4, ttmp7, 0xffff
	s_add_co_i32 s3, s3, 1
	s_add_co_i32 s5, s5, 1
	s_and_b32 s2, ttmp6, 15
	s_bfe_u32 s6, ttmp6, 0x40004
	s_mul_i32 s3, ttmp9, s3
	s_mul_i32 s5, s4, s5
	s_getreg_b32 s28, hwreg(HW_REG_IB_STS2, 6, 4)
	s_add_co_i32 s7, s2, s3
	s_add_co_i32 s6, s6, s5
	s_cmp_eq_u32 s28, 0
	s_clause 0x1
	s_load_b32 s29, s[0:1], 0x80
	s_load_b64 s[2:3], s[0:1], 0x30
	s_cselect_b32 s30, s4, s6
	s_cselect_b32 s4, ttmp9, s7
	s_mov_b32 s17, 0
	s_delay_alu instid0(SALU_CYCLE_1) | instskip(SKIP_2) | instid1(SALU_CYCLE_1)
	s_mov_b32 s36, s17
	s_wait_kmcnt 0x0
	s_abs_i32 s5, s24
	s_cvt_f32_u32 s6, s5
	s_sub_co_i32 s7, 0, s5
	s_delay_alu instid0(SALU_CYCLE_2) | instskip(SKIP_2) | instid1(TRANS32_DEP_1)
	v_rcp_iflag_f32_e32 v1, s6
	s_abs_i32 s8, s29
	v_nop
	v_readfirstlane_b32 s6, v1
	s_mul_f32 s6, s6, 0x4f7ffffe
	s_delay_alu instid0(SALU_CYCLE_3) | instskip(NEXT) | instid1(SALU_CYCLE_3)
	s_cvt_u32_f32 s6, s6
	s_mul_i32 s7, s7, s6
	s_delay_alu instid0(SALU_CYCLE_1) | instskip(NEXT) | instid1(SALU_CYCLE_1)
	s_mul_hi_u32 s7, s6, s7
	s_add_co_i32 s6, s6, s7
	s_xor_b32 s7, s29, s24
	s_mul_hi_u32 s6, s8, s6
	s_ashr_i32 s7, s7, 31
	s_mul_i32 s9, s6, s5
	s_delay_alu instid0(SALU_CYCLE_1)
	s_sub_co_i32 s8, s8, s9
	s_add_co_i32 s9, s6, 1
	s_sub_co_i32 s10, s8, s5
	s_cmp_ge_u32 s8, s5
	s_cselect_b32 s6, s9, s6
	s_cselect_b32 s8, s10, s8
	s_add_co_i32 s9, s6, 1
	s_cmp_ge_u32 s8, s5
	s_cselect_b32 s5, s9, s6
	s_load_b64 s[8:9], s[0:1], 0x40
	s_xor_b32 s5, s5, s7
	s_abs_i32 s16, s4
	s_sub_co_i32 s10, s5, s7
	s_mov_b32 s7, s17
	s_abs_i32 s15, s10
	s_delay_alu instid0(SALU_CYCLE_1) | instskip(SKIP_1) | instid1(SALU_CYCLE_2)
	s_cvt_f32_u32 s5, s15
	s_sub_co_i32 s6, 0, s15
	v_rcp_iflag_f32_e32 v1, s5
	v_nop
	s_delay_alu instid0(TRANS32_DEP_1) | instskip(SKIP_1) | instid1(SALU_CYCLE_3)
	v_readfirstlane_b32 s5, v1
	s_mul_f32 s5, s5, 0x4f7ffffe
	s_cvt_u32_f32 s5, s5
	s_delay_alu instid0(SALU_CYCLE_3) | instskip(NEXT) | instid1(SALU_CYCLE_1)
	s_mul_i32 s6, s6, s5
	s_mul_hi_u32 s6, s5, s6
	s_delay_alu instid0(SALU_CYCLE_1)
	s_add_co_i32 s6, s5, s6
	s_wait_kmcnt 0x0
	s_cmp_eq_u64 s[8:9], 0
	s_cbranch_scc1 .LBB42_2
; %bb.1:
	s_ashr_i32 s5, s4, 31
	s_delay_alu instid0(SALU_CYCLE_1) | instskip(NEXT) | instid1(SALU_CYCLE_1)
	s_lshl_b64 s[12:13], s[4:5], 2
	s_add_nc_u64 s[8:9], s[8:9], s[12:13]
	s_load_b32 s36, s[8:9], 0x0
.LBB42_2:
	s_load_b32 s31, s[2:3], s30 offset:0x0 scale_offset
	s_load_b96 s[12:14], s[0:1], 0x48
	s_wait_xcnt 0x0
	v_cmp_gt_u32_e64 s2, 32, v0
	s_ashr_i32 s3, s4, 31
	s_ashr_i32 s5, s10, 31
	s_mul_u64 s[18:19], s[16:17], s[6:7]
	s_lshl_b32 s6, s4, 7
	s_and_saveexec_b32 s8, s2
	s_cbranch_execz .LBB42_4
; %bb.3:
	s_load_b64 s[10:11], s[0:1], 0x8
	s_wait_kmcnt 0x0
	s_mul_i32 s20, s12, s30
	s_ashr_i32 s7, s6, 31
	s_ashr_i32 s21, s20, 31
	v_lshlrev_b32_e32 v4, 4, v0
	s_lshl_b64 s[20:21], s[20:21], 2
	s_delay_alu instid0(SALU_CYCLE_1) | instskip(SKIP_1) | instid1(SALU_CYCLE_1)
	s_add_nc_u64 s[10:11], s[10:11], s[20:21]
	s_lshl_b64 s[20:21], s[6:7], 2
	s_add_nc_u64 s[10:11], s[10:11], s[20:21]
	global_load_b128 v[6:9], v0, s[10:11] scale_offset
	s_wait_loadcnt 0x0
	ds_store_b128 v4, v[6:9]
.LBB42_4:
	s_or_b32 exec_lo, exec_lo, s8
	s_load_b128 s[8:11], s[0:1], 0x68
	s_mul_i32 s7, s19, s15
	s_xor_b32 s5, s3, s5
	s_sub_co_i32 s3, s16, s7
	s_add_co_i32 s7, s19, 1
	s_wait_kmcnt 0x0
	s_sub_co_i32 s12, s3, s15
	s_cmp_ge_u32 s3, s15
	s_wait_dscnt 0x0
	s_cselect_b32 s7, s7, s19
	s_cselect_b32 s3, s12, s3
	s_add_co_i32 s12, s7, 1
	s_cmp_ge_u32 s3, s15
	s_load_b32 s3, s[0:1], 0x78
	s_cselect_b32 s7, s12, s7
	s_mov_b32 s19, 0
	s_xor_b32 s7, s7, s5
	s_barrier_signal -1
	s_sub_co_i32 s5, s7, s5
	s_barrier_wait -1
	s_abs_i32 s12, s11
                                        ; implicit-def: $sgpr33
	s_delay_alu instid0(SALU_CYCLE_1) | instskip(SKIP_1) | instid1(SALU_CYCLE_2)
	s_cvt_f32_u32 s15, s12
	s_sub_co_i32 s17, 0, s12
	v_rcp_iflag_f32_e32 v1, s15
	v_nop
	s_delay_alu instid0(TRANS32_DEP_1) | instskip(SKIP_2) | instid1(SALU_CYCLE_2)
	v_readfirstlane_b32 s15, v1
	s_mul_f32 s7, s15, 0x4f7ffffe
	s_mov_b32 s15, -1
	s_cvt_u32_f32 s16, s7
	s_add_co_i32 s7, s31, -1
	s_delay_alu instid0(SALU_CYCLE_1) | instskip(NEXT) | instid1(SALU_CYCLE_1)
	s_abs_i32 s18, s7
	s_mul_i32 s17, s17, s16
	s_delay_alu instid0(SALU_CYCLE_1) | instskip(NEXT) | instid1(SALU_CYCLE_1)
	s_mul_hi_u32 s17, s16, s17
	s_add_co_i32 s16, s16, s17
	s_wait_kmcnt 0x0
	s_cmp_lt_i32 s3, 0
	s_mov_b32 s17, s19
	s_cbranch_scc0 .LBB42_6
; %bb.5:
	s_mul_i32 s15, s8, s24
	s_delay_alu instid0(SALU_CYCLE_1) | instskip(NEXT) | instid1(SALU_CYCLE_1)
	s_add_co_i32 s15, s5, s15
	s_mul_i32 s15, s15, s3
	s_delay_alu instid0(SALU_CYCLE_1)
	s_sub_co_i32 s33, 1, s15
	s_mov_b32 s15, s19
.LBB42_6:
	s_ashr_i32 s7, s7, 31
	s_ashr_i32 s34, s11, 31
	s_and_not1_b32 vcc_lo, exec_lo, s15
	s_mul_u64 s[22:23], s[18:19], s[16:17]
	s_cbranch_vccnz .LBB42_8
; %bb.7:
	s_mul_i32 s8, s29, s8
	s_delay_alu instid0(SALU_CYCLE_1) | instskip(NEXT) | instid1(SALU_CYCLE_1)
	s_add_co_i32 s4, s8, s4
	s_mul_i32 s3, s4, s3
	s_delay_alu instid0(SALU_CYCLE_1)
	s_add_co_i32 s33, s3, 1
.LBB42_8:
	s_load_b32 s3, s[0:1], 0x38
	s_xor_b32 s4, s7, s34
	s_mul_i32 s7, s23, s12
	s_add_co_i32 s8, s23, 1
	s_sub_co_i32 s11, s18, s7
	s_clause 0x1
	s_load_b64 s[18:19], s[0:1], 0x28
	s_load_b32 s7, s[0:1], 0x88
	v_dual_lshrrev_b32 v1, 5, v0 :: v_dual_bitop2_b32 v2, 31, v0 bitop3:0x40
	v_dual_mov_b32 v127, 0xff7fffff :: v_dual_lshrrev_b32 v24, 3, v0
	s_mul_i32 s22, s5, s14
	s_delay_alu instid0(VALU_DEP_2)
	v_dual_lshlrev_b32 v126, 5, v1 :: v_dual_lshlrev_b32 v25, 2, v2
	s_clause 0x2
	scratch_store_b32 off, v2, off offset:232
	scratch_store_b32 off, v0, off offset:244
	;; [unrolled: 1-line block ×3, first 2 shown]
	s_wait_kmcnt 0x0
	s_mul_i32 s20, s3, s30
	s_sub_co_i32 s3, s11, s12
	s_ashr_i32 s21, s20, 31
	s_cmp_ge_u32 s11, s12
	s_cselect_b32 s8, s8, s23
	s_cselect_b32 s3, s3, s11
	s_add_co_i32 s11, s8, 1
	s_cmp_ge_u32 s3, s12
	s_cselect_b32 s3, s11, s8
	s_add_co_i32 s8, s31, 31
	s_delay_alu instid0(SALU_CYCLE_1) | instskip(NEXT) | instid1(SALU_CYCLE_1)
	s_ashr_i32 s11, s8, 31
	s_lshr_b32 s11, s11, 27
	s_delay_alu instid0(SALU_CYCLE_1) | instskip(NEXT) | instid1(SALU_CYCLE_1)
	s_add_co_i32 s8, s8, s11
	s_ashr_i32 s35, s8, 5
	s_xor_b32 s8, s3, s4
	v_cmp_gt_i32_e64 s3, s35, v1
	s_sub_co_i32 s8, s8, s4
	s_wait_xcnt 0x0
	s_and_saveexec_b32 s11, s3
	s_cbranch_execz .LBB42_16
; %bb.9:
	scratch_load_b32 v8, off, off offset:232 ; 4-byte Folded Reload
	s_load_b64 s[4:5], s[0:1], 0x10
	s_ashr_i32 s23, s22, 31
	s_sub_co_i32 s24, s8, s9
	s_lshl_b64 s[26:27], s[22:23], 2
	s_ashr_i32 s15, s13, 31
	s_cmp_neq_f32 s36, 0
	v_mov_b32_e32 v127, 0xff7fffff
	s_mov_b32 s14, s13
	v_mov_b32_e32 v1, 0
	s_cselect_b32 vcc_lo, -1, 0
	s_abs_i32 s23, s10
	s_wait_kmcnt 0x0
	s_add_nc_u64 s[4:5], s[4:5], s[26:27]
	s_mov_b32 s27, 0
	s_delay_alu instid0(SALU_CYCLE_1) | instskip(SKIP_3) | instid1(VALU_DEP_2)
	s_mov_b32 s37, s27
	s_wait_loadcnt 0x0
	v_lshlrev_b32_e32 v0, 4, v8
	v_subrev_nc_u32_e32 v8, s31, v8
	v_add_nc_u64_e32 v[2:3], s[4:5], v[0:1]
	s_cvt_f32_u32 s4, s23
	s_sub_co_i32 s5, 0, s23
	s_delay_alu instid0(VALU_DEP_2) | instskip(NEXT) | instid1(SALU_CYCLE_1)
	v_add_nc_u32_e32 v8, 1, v8
	v_rcp_iflag_f32_e32 v0, s4
	scratch_store_b64 off, v[2:3], off      ; 8-byte Folded Spill
	s_wait_xcnt 0x0
	ds_load_b128 v[2:5], v1
	v_nop
	v_readfirstlane_b32 s4, v0
	v_and_b32_e32 v0, 0x7c, v24
	s_mul_f32 s4, s4, 0x4f7ffffe
	s_delay_alu instid0(SALU_CYCLE_3) | instskip(NEXT) | instid1(SALU_CYCLE_3)
	s_cvt_u32_f32 s4, s4
	s_mul_i32 s5, s5, s4
	s_delay_alu instid0(SALU_CYCLE_1)
	s_mul_hi_u32 s5, s4, s5
	s_wait_dscnt 0x0
	scratch_store_b128 off, v[2:5], off offset:16 ; 16-byte Folded Spill
	s_wait_xcnt 0x0
	ds_load_b128 v[2:5], v1 offset:16
	s_add_co_i32 s26, s4, s5
	s_lshl_b64 s[4:5], s[20:21], 2
	s_delay_alu instid0(SALU_CYCLE_1) | instskip(NEXT) | instid1(SALU_CYCLE_1)
	s_add_nc_u64 s[4:5], s[18:19], s[4:5]
	v_add_nc_u64_e32 v[6:7], s[4:5], v[0:1]
	s_wait_dscnt 0x0
	scratch_store_b128 off, v[2:5], off offset:32 ; 16-byte Folded Spill
	s_wait_xcnt 0x0
	ds_load_b128 v[2:5], v1 offset:32
	s_wait_dscnt 0x0
	scratch_store_b128 off, v[2:5], off offset:48 ; 16-byte Folded Spill
	s_wait_xcnt 0x0
	ds_load_b128 v[2:5], v1 offset:48
	;; [unrolled: 4-line block ×4, first 2 shown]
	s_wait_dscnt 0x0
	scratch_store_b128 off, v[2:5], off offset:96 ; 16-byte Folded Spill
	ds_load_b128 v[26:29], v1 offset:96
	ds_load_b128 v[30:33], v1 offset:112
	;; [unrolled: 1-line block ×25, first 2 shown]
	s_wait_xcnt 0x0
	ds_load_b128 v[2:5], v1 offset:496
	s_clause 0x1
	scratch_load_b32 v11, off, off offset:240
	scratch_store_b32 off, v8, off offset:112
	s_wait_loadcnt 0x0
	v_lshlrev_b32_e32 v0, 5, v11
	s_wait_xcnt 0x0
	v_lshl_or_b32 v8, v11, 7, v25
	s_delay_alu instid0(VALU_DEP_1)
	v_add_nc_u32_e32 v10, 0x220, v8
	s_branch .LBB42_11
.LBB42_10:                              ;   in Loop: Header=BB42_11 Depth=1
	s_wait_xcnt 0x0
	s_or_b32 exec_lo, exec_lo, s5
	v_add_nc_u32_e32 v11, 4, v11
	v_add_nc_u64_e32 v[6:7], 16, v[6:7]
	v_add_nc_u32_e32 v0, 0x80, v0
	v_add_nc_u32_e32 v10, 0x200, v10
	s_delay_alu instid0(VALU_DEP_4) | instskip(SKIP_1) | instid1(SALU_CYCLE_1)
	v_cmp_le_i32_e64 s4, s35, v11
	s_or_b32 s37, s4, s37
	s_and_not1_b32 exec_lo, exec_lo, s37
	s_cbranch_execz .LBB42_15
.LBB42_11:                              ; =>This Inner Loop Header: Depth=1
	v_mul_u64_e32 v[8:9], s[16:17], v[0:1]
	s_delay_alu instid0(VALU_DEP_1) | instskip(NEXT) | instid1(VALU_DEP_1)
	v_mul_lo_u32 v8, v9, s12
	v_dual_add_nc_u32 v12, 1, v9 :: v_dual_sub_nc_u32 v8, v0, v8
	s_delay_alu instid0(VALU_DEP_1) | instskip(SKIP_1) | instid1(VALU_DEP_1)
	v_subrev_nc_u32_e32 v13, s12, v8
	v_cmp_le_u32_e64 s4, s12, v8
	v_dual_cndmask_b32 v9, v9, v12, s4 :: v_dual_cndmask_b32 v8, v8, v13, s4
	s_delay_alu instid0(VALU_DEP_1) | instskip(NEXT) | instid1(VALU_DEP_2)
	v_add_nc_u32_e32 v12, 1, v9
	v_cmp_le_u32_e64 s4, s12, v8
	s_delay_alu instid0(VALU_DEP_1) | instskip(NEXT) | instid1(VALU_DEP_1)
	v_cndmask_b32_e64 v8, v9, v12, s4
	v_dual_mov_b32 v9, v1 :: v_dual_bitop2_b32 v8, s34, v8 bitop3:0x14
	s_delay_alu instid0(VALU_DEP_1) | instskip(NEXT) | instid1(VALU_DEP_1)
	v_subrev_nc_u32_e32 v14, s34, v8
	v_add_nc_u32_e32 v15, s33, v14
	v_cmp_ge_i32_e64 s5, s24, v14
	s_delay_alu instid0(VALU_DEP_2) | instskip(NEXT) | instid1(VALU_DEP_1)
	v_sub_nc_u32_e32 v8, 0, v15
	v_max_i32_e32 v8, v15, v8
	s_delay_alu instid0(VALU_DEP_1) | instskip(SKIP_1) | instid1(VALU_DEP_2)
	v_mul_u64_e32 v[12:13], s[26:27], v[8:9]
	v_ashrrev_i32_e32 v12, 31, v15
	v_mul_lo_u32 v9, v13, s23
	s_delay_alu instid0(VALU_DEP_1) | instskip(NEXT) | instid1(VALU_DEP_1)
	v_sub_nc_u32_e32 v8, v8, v9
	v_subrev_nc_u32_e32 v9, s23, v8
	v_cmp_le_u32_e64 s4, s23, v8
	s_delay_alu instid0(VALU_DEP_1) | instskip(NEXT) | instid1(VALU_DEP_1)
	v_cndmask_b32_e64 v8, v8, v9, s4
	v_subrev_nc_u32_e32 v9, s23, v8
	v_cmp_le_u32_e64 s4, s23, v8
	s_delay_alu instid0(VALU_DEP_1) | instskip(NEXT) | instid1(VALU_DEP_1)
	v_cndmask_b32_e64 v8, v8, v9, s4
	v_xor_b32_e32 v8, v8, v12
	s_delay_alu instid0(VALU_DEP_1) | instskip(NEXT) | instid1(VALU_DEP_1)
	v_sub_nc_u32_e32 v8, v8, v12
	v_cmp_ne_u32_e64 s4, 0, v8
	s_and_b32 s4, s4, s5
	s_delay_alu instid0(SALU_CYCLE_1) | instskip(NEXT) | instid1(SALU_CYCLE_1)
	s_and_saveexec_b32 s5, s4
	s_xor_b32 s4, exec_lo, s5
; %bb.12:                               ;   in Loop: Header=BB42_11 Depth=1
	v_mov_b32_e32 v8, 0xff7fffff
	ds_store_b32 v10, v8
; %bb.13:                               ;   in Loop: Header=BB42_11 Depth=1
	s_and_not1_saveexec_b32 s5, s4
	s_cbranch_execz .LBB42_10
; %bb.14:                               ;   in Loop: Header=BB42_11 Depth=1
	global_load_b32 v8, v[6:7], off
	scratch_load_b64 v[12:13], off, off     ; 8-byte Folded Reload
	s_wait_loadcnt 0x1
	v_ashrrev_i32_e32 v9, 31, v8
	s_delay_alu instid0(VALU_DEP_1) | instskip(SKIP_1) | instid1(VALU_DEP_1)
	v_mul_u64_e32 v[8:9], s[14:15], v[8:9]
	s_wait_loadcnt 0x0
	v_lshl_add_u64 v[8:9], v[8:9], 2, v[12:13]
	global_load_b128 v[12:15], v[8:9], off offset:512
	scratch_load_b128 v[16:19], off, off offset:32 ; 16-byte Folded Reload
	s_wait_loadcnt 0x0
	v_pk_mul_f32 v[16:17], v[16:17], v[12:13]
	v_pk_mul_f32 v[18:19], v[18:19], v[14:15]
	global_load_b128 v[12:15], v[8:9], off
	scratch_load_b128 v[20:23], off, off offset:16 ; 16-byte Folded Reload
	s_wait_loadcnt 0x0
	v_pk_fma_f32 v[16:17], v[20:21], v[12:13], v[16:17]
	v_pk_fma_f32 v[18:19], v[22:23], v[14:15], v[18:19]
	global_load_b128 v[12:15], v[8:9], off offset:1024
	scratch_load_b128 v[20:23], off, off offset:48 ; 16-byte Folded Reload
	s_wait_loadcnt 0x0
	v_pk_fma_f32 v[16:17], v[20:21], v[12:13], v[16:17]
	v_pk_fma_f32 v[18:19], v[22:23], v[14:15], v[18:19]
	global_load_b128 v[12:15], v[8:9], off offset:1536
	;; [unrolled: 5-line block ×5, first 2 shown]
	s_wait_loadcnt_dscnt 0x19
	v_pk_fma_f32 v[16:17], v[26:27], v[12:13], v[16:17]
	v_pk_fma_f32 v[18:19], v[28:29], v[14:15], v[18:19]
	global_load_b128 v[12:15], v[8:9], off offset:3584
	s_wait_loadcnt_dscnt 0x18
	v_pk_fma_f32 v[16:17], v[30:31], v[12:13], v[16:17]
	v_pk_fma_f32 v[18:19], v[32:33], v[14:15], v[18:19]
	global_load_b128 v[12:15], v[8:9], off offset:4096
	;; [unrolled: 4-line block ×25, first 2 shown]
	s_wait_loadcnt_dscnt 0x0
	v_pk_fma_f32 v[8:9], v[2:3], v[12:13], v[16:17]
	v_pk_fma_f32 v[12:13], v[4:5], v[14:15], v[18:19]
	s_delay_alu instid0(VALU_DEP_2) | instskip(SKIP_4) | instid1(VALU_DEP_2)
	v_add_f32_e32 v8, v8, v9
	scratch_load_b32 v9, off, off offset:232 ; 4-byte Folded Reload
	s_wait_loadcnt 0x0
	v_add_nc_u32_e32 v9, v9, v0
	v_add_f32_e32 v8, v12, v8
	v_cmp_gt_i32_e64 s4, s31, v9
	scratch_load_b32 v9, off, off offset:112 ; 4-byte Folded Reload
	s_wait_loadcnt 0x0
	v_add_nc_u32_e32 v9, v9, v0
	s_delay_alu instid0(VALU_DEP_1) | instskip(NEXT) | instid1(VALU_DEP_1)
	v_cvt_f32_i32_e32 v9, v9
	v_dual_add_f32 v8, v13, v8 :: v_dual_mul_f32 v9, s36, v9
	s_delay_alu instid0(VALU_DEP_1) | instskip(NEXT) | instid1(VALU_DEP_1)
	v_cndmask_b32_e32 v9, 0, v9, vcc_lo
	v_dual_fmac_f32 v9, s25, v8 :: v_dual_max_num_f32 v8, v127, v127
	s_delay_alu instid0(VALU_DEP_1) | instskip(NEXT) | instid1(VALU_DEP_1)
	v_max_num_f32_e32 v8, v8, v9
	v_dual_cndmask_b32 v127, v127, v8, s4 :: v_dual_cndmask_b32 v8, 0, v9, s4
	ds_store_b32 v10, v8
	s_branch .LBB42_10
.LBB42_15:
	s_or_b32 exec_lo, exec_lo, s37
.LBB42_16:
	s_delay_alu instid0(SALU_CYCLE_1)
	s_or_b32 exec_lo, exec_lo, s11
	s_wait_dscnt 0x0
	v_mbcnt_lo_u32_b32 v2, -1, 0
	s_clause 0x1
	s_load_b64 s[14:15], s[0:1], 0x0
	s_load_b64 s[24:25], s[0:1], 0x18
	s_delay_alu instid0(VALU_DEP_1) | instskip(SKIP_1) | instid1(VALU_DEP_2)
	v_dual_max_num_f32 v4, v127, v127 :: v_dual_bitop2_b32 v0, 16, v2 bitop3:0x14
	v_xor_b32_e32 v3, 8, v2
	v_cmp_gt_i32_e32 vcc_lo, 32, v0
	v_cndmask_b32_e32 v0, v2, v0, vcc_lo
	s_delay_alu instid0(VALU_DEP_3) | instskip(NEXT) | instid1(VALU_DEP_2)
	v_cmp_gt_i32_e32 vcc_lo, 32, v3
	v_dual_cndmask_b32 v3, v2, v3 :: v_dual_lshlrev_b32 v0, 2, v0
	ds_bpermute_b32 v1, v0, v127
	s_wait_dscnt 0x0
	v_dual_max_num_f32 v5, v1, v1 :: v_dual_lshlrev_b32 v1, 2, v3
	s_delay_alu instid0(VALU_DEP_1) | instskip(SKIP_4) | instid1(VALU_DEP_1)
	v_dual_max_num_f32 v3, v4, v5 :: v_dual_bitop2_b32 v5, 4, v2 bitop3:0x14
	ds_bpermute_b32 v4, v1, v3
	v_cmp_gt_i32_e32 vcc_lo, 32, v5
	s_wait_dscnt 0x0
	v_dual_cndmask_b32 v5, v2, v5 :: v_dual_max_num_f32 v4, v4, v4
	v_dual_lshlrev_b32 v45, 2, v5 :: v_dual_max_num_f32 v3, v3, v4
	ds_bpermute_b32 v4, v45, v3
	s_wait_dscnt 0x0
	v_dual_max_num_f32 v4, v4, v4 :: v_dual_bitop2_b32 v5, 2, v2 bitop3:0x14
	s_delay_alu instid0(VALU_DEP_1) | instskip(NEXT) | instid1(VALU_DEP_2)
	v_cmp_gt_i32_e32 vcc_lo, 32, v5
	v_dual_max_num_f32 v3, v3, v4 :: v_dual_cndmask_b32 v5, v2, v5, vcc_lo
	s_delay_alu instid0(VALU_DEP_1) | instskip(SKIP_3) | instid1(VALU_DEP_1)
	v_dual_lshlrev_b32 v62, 2, v5 :: v_dual_bitop2_b32 v5, 1, v2 bitop3:0x14
	ds_bpermute_b32 v4, v62, v3
	v_cmp_gt_i32_e32 vcc_lo, 32, v5
	v_cndmask_b32_e32 v2, v2, v5, vcc_lo
	v_lshlrev_b32_e32 v73, 2, v2
	scratch_load_b32 v2, off, off offset:232 ; 4-byte Folded Reload
	s_wait_dscnt 0x0
	v_max_num_f32_e32 v4, v4, v4
	s_delay_alu instid0(VALU_DEP_1)
	v_max_num_f32_e32 v3, v3, v4
	ds_bpermute_b32 v4, v73, v3
	s_wait_loadcnt 0x0
	v_cmp_eq_u32_e32 vcc_lo, 0, v2
	scratch_load_b32 v2, off, off offset:240 ; 4-byte Folded Reload
	s_wait_loadcnt 0x0
	v_lshlrev_b32_e32 v2, 2, v2
	s_wait_xcnt 0x0
	s_and_saveexec_b32 s0, vcc_lo
	s_cbranch_execz .LBB42_18
; %bb.17:
	s_wait_dscnt 0x0
	v_dual_max_num_f32 v4, v4, v4 :: v_dual_max_num_f32 v3, v3, v3
	s_delay_alu instid0(VALU_DEP_1)
	v_max_num_f32_e32 v3, v3, v4
	ds_store_b32 v2, v3 offset:512
.LBB42_18:
	s_or_b32 exec_lo, exec_lo, s0
	scratch_load_b32 v3, off, off offset:232 ; 4-byte Folded Reload
	s_wait_storecnt 0x0
	s_wait_loadcnt_dscnt 0x0
	s_barrier_signal -1
	s_barrier_wait -1
	v_cmp_gt_u32_e64 s0, 4, v3
	v_mov_b32_e32 v3, 0xff7fffff
	s_mov_b32 s1, exec_lo
	scratch_load_b32 v72, off, off offset:244 ; 4-byte Folded Reload
	s_and_b32 s4, s1, s0
	s_wait_xcnt 0x0
	s_mov_b32 exec_lo, s4
; %bb.19:
	ds_load_b32 v3, v25 offset:512
; %bb.20:
	s_or_b32 exec_lo, exec_lo, s1
	s_wait_dscnt 0x0
	ds_bpermute_b32 v4, v62, v3
	v_max_num_f32_e32 v3, v3, v3
	s_lshl_b32 s1, s35, 5
	s_delay_alu instid0(SALU_CYCLE_1) | instskip(SKIP_4) | instid1(VALU_DEP_1)
	s_min_i32 s5, s1, s31
	s_wait_loadcnt 0x0
	v_cmp_gt_i32_e64 s1, s5, v72
	s_wait_dscnt 0x0
	v_max_num_f32_e32 v4, v4, v4
	v_max_num_f32_e32 v3, v3, v4
	ds_bpermute_b32 v4, v73, v3
	s_wait_dscnt 0x0
	v_max_num_f32_e32 v4, v4, v4
	s_delay_alu instid0(VALU_DEP_1)
	v_dual_max_num_f32 v4, v3, v4 :: v_dual_mov_b32 v3, 0
	ds_bpermute_b32 v4, v3, v4
	s_and_saveexec_b32 s11, s1
	s_cbranch_execz .LBB42_24
; %bb.21:
	v_lshl_add_u32 v5, v72, 2, 0x220
	v_dual_mov_b32 v3, 0 :: v_dual_mov_b32 v6, v72
	s_mov_b32 s23, 0
.LBB42_22:                              ; =>This Inner Loop Header: Depth=1
	ds_load_b32 v7, v5
	v_add_nc_u32_e32 v6, 0x80, v6
	s_delay_alu instid0(VALU_DEP_1) | instskip(SKIP_3) | instid1(VALU_DEP_1)
	v_cmp_le_i32_e64 s4, s5, v6
	s_or_b32 s23, s4, s23
	s_wait_dscnt 0x0
	v_sub_f32_e32 v7, v7, v4
	v_mul_f32_e32 v7, 0x3fb8aa3b, v7
	s_delay_alu instid0(VALU_DEP_1)
	v_exp_f32_e32 v7, v7
	ds_store_b32 v5, v7
	v_nop
	v_add_f32_e32 v3, v3, v7
	v_add_nc_u32_e32 v5, 0x200, v5
	s_and_not1_b32 exec_lo, exec_lo, s23
	s_cbranch_execnz .LBB42_22
; %bb.23:
	s_or_b32 exec_lo, exec_lo, s23
.LBB42_24:
	s_delay_alu instid0(SALU_CYCLE_1)
	s_or_b32 exec_lo, exec_lo, s11
	ds_bpermute_b32 v0, v0, v3
	s_wait_dscnt 0x0
	v_add_f32_e32 v0, v3, v0
	ds_bpermute_b32 v1, v1, v0
	s_wait_dscnt 0x0
	v_add_f32_e32 v0, v0, v1
	;; [unrolled: 3-line block ×5, first 2 shown]
	s_and_saveexec_b32 s4, vcc_lo
; %bb.25:
	ds_store_b32 v2, v0 offset:528
; %bb.26:
	s_or_b32 exec_lo, exec_lo, s4
	s_wait_dscnt 0x0
	s_barrier_signal -1
	s_barrier_wait -1
	s_and_saveexec_b32 s4, s0
; %bb.27:
	ds_load_b32 v0, v25 offset:528
; %bb.28:
	s_or_b32 exec_lo, exec_lo, s4
	s_wait_dscnt 0x0
	ds_bpermute_b32 v1, v62, v0
	s_wait_dscnt 0x0
	v_dual_mov_b32 v49, 0 :: v_dual_add_f32 v0, v0, v1
	ds_bpermute_b32 v1, v73, v0
	s_wait_dscnt 0x0
	v_add_f32_e32 v0, v0, v1
	ds_bpermute_b32 v0, v49, v0
	s_and_saveexec_b32 s0, s1
	s_cbranch_execz .LBB42_41
; %bb.29:
	s_wait_dscnt 0x0
	v_add_f32_e32 v0, 0x358637bd, v0
	s_mov_b32 s4, -1
	s_mov_b32 s1, exec_lo
	s_delay_alu instid0(VALU_DEP_1) | instskip(NEXT) | instid1(VALU_DEP_1)
	v_div_scale_f32 v1, null, v0, v0, 1.0
	v_rcp_f32_e32 v3, v1
	v_nop
	s_delay_alu instid0(TRANS32_DEP_1) | instskip(NEXT) | instid1(VALU_DEP_1)
	v_fma_f32 v2, -v1, v3, 1.0
	v_fmac_f32_e32 v3, v2, v3
	v_div_scale_f32 v4, vcc_lo, 1.0, v0, 1.0
	s_delay_alu instid0(VALU_DEP_1) | instskip(NEXT) | instid1(VALU_DEP_1)
	v_mul_f32_e32 v5, v4, v3
	v_fma_f32 v2, -v1, v5, v4
	s_delay_alu instid0(VALU_DEP_1) | instskip(SKIP_1) | instid1(VALU_DEP_2)
	v_fmac_f32_e32 v5, v2, v3
	v_xad_u32 v2, v72, -1, s5
	v_fma_f32 v1, -v1, v5, v4
	s_delay_alu instid0(VALU_DEP_1) | instskip(NEXT) | instid1(VALU_DEP_1)
	v_div_fmas_f32 v1, v1, v3, v5
	v_div_fixup_f32 v0, v1, v0, 1.0
	v_mov_b32_e32 v1, v72
	v_cmpx_lt_u32_e32 0x7f, v2
	s_cbranch_execz .LBB42_38
; %bb.30:
	s_delay_alu instid0(VALU_DEP_3) | instskip(NEXT) | instid1(VALU_DEP_1)
	v_dual_mov_b32 v1, v0 :: v_dual_lshrrev_b32 v2, 7, v2
	v_dual_mov_b32 v6, 0 :: v_dual_add_nc_u32 v3, -1, v2
	s_delay_alu instid0(VALU_DEP_1) | instskip(SKIP_1) | instid1(VALU_DEP_2)
	v_lshrrev_b32_e32 v4, 1, v3
	v_cmp_lt_u32_e32 vcc_lo, 13, v3
	v_add_nc_u32_e32 v3, 1, v4
	s_and_saveexec_b32 s4, vcc_lo
	s_cbranch_execz .LBB42_34
; %bb.31:
	s_delay_alu instid0(VALU_DEP_1)
	v_dual_mov_b32 v22, v24 :: v_dual_bitop2_b32 v4, -8, v3 bitop3:0x40
	v_lshl_add_u32 v5, v72, 2, 0x220
	s_mov_b32 s11, 0
	s_mov_b32 s23, 0
.LBB42_32:                              ; =>This Inner Loop Header: Depth=1
	ds_load_2addr_stride64_b32 v[6:7], v5 offset1:2
	ds_load_2addr_stride64_b32 v[8:9], v5 offset0:4 offset1:6
	ds_load_2addr_stride64_b32 v[10:11], v5 offset0:8 offset1:10
	;; [unrolled: 1-line block ×7, first 2 shown]
	s_add_co_i32 s23, s23, 16
	v_add_nc_u32_e32 v4, -8, v4
	s_wait_dscnt 0x7
	v_pk_mul_f32 v[6:7], v[0:1], v[6:7]
	s_wait_dscnt 0x6
	v_pk_mul_f32 v[8:9], v[0:1], v[8:9]
	;; [unrolled: 2-line block ×8, first 2 shown]
	ds_store_2addr_stride64_b32 v5, v6, v7 offset1:2
	ds_store_2addr_stride64_b32 v5, v8, v9 offset0:4 offset1:6
	ds_store_2addr_stride64_b32 v5, v10, v11 offset0:8 offset1:10
	;; [unrolled: 1-line block ×7, first 2 shown]
	v_mov_b32_e32 v6, s23
	v_cmp_eq_u32_e32 vcc_lo, 0, v4
	v_add_nc_u32_e32 v5, 0x2000, v5
	s_or_b32 s11, vcc_lo, s11
	s_delay_alu instid0(SALU_CYCLE_1)
	s_and_not1_b32 exec_lo, exec_lo, s11
	s_cbranch_execnz .LBB42_32
; %bb.33:
	s_or_b32 exec_lo, exec_lo, s11
	v_dual_mov_b32 v49, 0 :: v_dual_mov_b32 v24, v22
.LBB42_34:
	s_or_b32 exec_lo, exec_lo, s4
	s_delay_alu instid0(VALU_DEP_1) | instskip(SKIP_2) | instid1(VALU_DEP_1)
	v_and_b32_e32 v3, 7, v3
	s_mov_b32 s11, 0
	s_mov_b32 s4, exec_lo
	v_cmpx_ne_u32_e32 0, v3
	s_cbranch_execz .LBB42_37
; %bb.35:
	v_dual_lshlrev_b32 v4, 9, v6 :: v_dual_lshlrev_b32 v5, 2, v72
	s_delay_alu instid0(VALU_DEP_1)
	v_add3_u32 v4, v4, v5, 0x220
.LBB42_36:                              ; =>This Inner Loop Header: Depth=1
	ds_load_2addr_stride64_b32 v[6:7], v4 offset1:2
	v_add_nc_u32_e32 v3, -1, v3
	s_delay_alu instid0(VALU_DEP_1)
	v_cmp_eq_u32_e32 vcc_lo, 0, v3
	s_or_b32 s11, vcc_lo, s11
	s_wait_dscnt 0x0
	v_pk_mul_f32 v[6:7], v[0:1], v[6:7]
	ds_store_2addr_stride64_b32 v4, v6, v7 offset1:2
	v_add_nc_u32_e32 v4, 0x400, v4
	s_and_not1_b32 exec_lo, exec_lo, s11
	s_cbranch_execnz .LBB42_36
.LBB42_37:
	s_or_b32 exec_lo, exec_lo, s4
	v_add_nc_u32_e32 v1, 1, v2
	s_delay_alu instid0(VALU_DEP_1) | instskip(NEXT) | instid1(VALU_DEP_1)
	v_and_b32_e32 v2, 0x3fffffe, v1
	v_cmp_ne_u32_e32 vcc_lo, v1, v2
	v_lshl_add_u32 v1, v2, 7, v72
	s_or_not1_b32 s4, vcc_lo, exec_lo
.LBB42_38:
	s_or_b32 exec_lo, exec_lo, s1
	s_delay_alu instid0(SALU_CYCLE_1)
	s_and_b32 exec_lo, exec_lo, s4
	s_cbranch_execz .LBB42_41
; %bb.39:
	v_lshl_add_u32 v2, v1, 2, 0x220
	s_mov_b32 s1, 0
.LBB42_40:                              ; =>This Inner Loop Header: Depth=1
	ds_load_b32 v3, v2
	v_add_nc_u32_e32 v1, 0x80, v1
	s_delay_alu instid0(VALU_DEP_1)
	v_cmp_le_i32_e32 vcc_lo, s5, v1
	s_or_b32 s1, vcc_lo, s1
	s_wait_dscnt 0x0
	v_mul_f32_e32 v3, v0, v3
	ds_store_b32 v2, v3
	v_add_nc_u32_e32 v2, 0x200, v2
	s_and_not1_b32 exec_lo, exec_lo, s1
	s_cbranch_execnz .LBB42_40
.LBB42_41:
	s_or_b32 exec_lo, exec_lo, s0
	s_wait_dscnt 0x0
	v_dual_mov_b32 v1, 0 :: v_dual_mov_b32 v0, 0
	v_dual_mov_b32 v48, 0 :: v_dual_bitop2_b32 v74, 7, v72 bitop3:0x40
	v_dual_mov_b32 v17, 0 :: v_dual_mov_b32 v16, 0
	scratch_store_b64 off, v[0:1], off offset:64 ; 8-byte Folded Spill
	s_wait_xcnt 0x0
	v_dual_mov_b32 v1, 0 :: v_dual_mov_b32 v0, 0
	v_dual_mov_b32 v19, 0 :: v_dual_mov_b32 v18, 0
	v_dual_mov_b32 v15, 0 :: v_dual_mov_b32 v14, 0
	scratch_store_b64 off, v[0:1], off offset:80 ; 8-byte Folded Spill
	s_wait_xcnt 0x0
	v_dual_mov_b32 v1, 0 :: v_dual_mov_b32 v0, 0
	v_dual_mov_b32 v7, 0 :: v_dual_mov_b32 v6, 0
	;; [unrolled: 5-line block ×3, first 2 shown]
	v_dual_mov_b32 v27, 0 :: v_dual_mov_b32 v26, 0
	scratch_store_b64 off, v[0:1], off offset:112 ; 8-byte Folded Spill
	s_wait_xcnt 0x0
	v_dual_mov_b32 v1, 0 :: v_dual_mov_b32 v0, 0
	scratch_store_b64 off, v[0:1], off offset:120 ; 8-byte Folded Spill
	s_wait_xcnt 0x0
	v_dual_mov_b32 v1, 0 :: v_dual_mov_b32 v0, 0
	scratch_store_b64 off, v[0:1], off offset:128 ; 8-byte Folded Spill
	s_wait_xcnt 0x0
	v_dual_mov_b32 v1, 0 :: v_dual_mov_b32 v0, 0
	scratch_store_b64 off, v[0:1], off offset:136 ; 8-byte Folded Spill
	s_wait_xcnt 0x0
	v_dual_mov_b32 v1, 0 :: v_dual_mov_b32 v0, 0
	scratch_store_b64 off, v[0:1], off offset:144 ; 8-byte Folded Spill
	s_wait_storecnt 0x0
	s_barrier_signal -1
	s_barrier_wait -1
	s_wait_xcnt 0x0
	s_and_saveexec_b32 s26, s3
	s_cbranch_execz .LBB42_111
; %bb.42:
	s_clause 0x3
	scratch_store_b32 off, v45, off offset:256
	scratch_store_b32 off, v62, off offset:252
	;; [unrolled: 1-line block ×3, first 2 shown]
	scratch_load_b32 v15, off, off offset:240
	s_abs_i32 s3, s10
	v_dual_lshlrev_b32 v3, 2, v72 :: v_dual_mov_b32 v127, 0
	s_cvt_f32_u32 s0, s3
	v_lshlrev_b32_e32 v4, 4, v74
	s_sub_co_i32 s27, s8, s9
	s_delay_alu instid0(VALU_DEP_2)
	v_and_b32_e32 v2, 0x7c, v3
	v_rcp_iflag_f32_e32 v1, s0
	v_and_b32_e32 v0, 0x7c, v24
	v_mov_b32_e32 v26, v127
	s_lshl_b64 s[0:1], s[20:21], 2
	v_lshlrev_b32_e32 v2, 2, v2
	s_add_nc_u64 s[0:1], s[18:19], s[0:1]
	s_sub_co_i32 s20, 0, s3
	v_readfirstlane_b32 s8, v1
	v_and_b32_e32 v1, 28, v3
	scratch_store_b64 off, v[2:3], off offset:184 ; 8-byte Folded Spill
	s_ashr_i32 s23, s22, 31
	v_dual_mov_b32 v22, v127 :: v_dual_mov_b32 v23, v127
	s_mul_f32 s8, s8, 0x4f7ffffe
	scratch_store_b32 off, v1, off offset:236 ; 4-byte Folded Spill
	v_dual_mov_b32 v18, v127 :: v_dual_mov_b32 v19, v127
	s_cvt_u32_f32 s8, s8
	v_dual_mov_b32 v16, v127 :: v_dual_mov_b32 v17, v127
	s_mov_b32 s9, 0
	s_delay_alu instid0(SALU_CYCLE_1)
	s_mul_i32 s20, s20, s8
	s_lshl_b64 s[10:11], s[22:23], 2
	s_ashr_i32 s5, s13, 31
	s_mov_b32 s4, s13
	s_add_co_i32 s13, s35, -1
	s_wait_kmcnt 0x0
	s_add_nc_u64 s[10:11], s[24:25], s[10:11]
	s_mov_b32 s18, s31
	s_mov_b32 s19, s9
	v_mov_b32_e32 v27, v127
	s_wait_loadcnt 0x0
	v_lshl_or_b32 v5, v15, 7, v4
	v_or_b32_e32 v4, 0xf80, v3
	s_wait_xcnt 0x0
	s_delay_alu instid0(VALU_DEP_2) | instskip(NEXT) | instid1(VALU_DEP_2)
	v_dual_mov_b32 v1, v127 :: v_dual_add_nc_u32 v14, 0x220, v5
	v_lshlrev_b32_e32 v2, 2, v4
	s_delay_alu instid0(VALU_DEP_2)
	v_add_nc_u64_e32 v[0:1], s[0:1], v[0:1]
	scratch_store_b32 off, v74, off offset:260 ; 4-byte Folded Spill
	s_mul_hi_u32 s0, s8, s20
	scratch_store_b64 off, v[2:3], off offset:192 ; 8-byte Folded Spill
	s_wait_xcnt 0x0
	v_dual_mov_b32 v2, v127 :: v_dual_mov_b32 v3, v127
	s_add_co_i32 s8, s8, s0
	s_clause 0xb
	scratch_store_b64 off, v[2:3], off offset:176
	scratch_store_b64 off, v[2:3], off offset:168
	;; [unrolled: 1-line block ×12, first 2 shown]
	s_branch .LBB42_45
.LBB42_43:                              ;   in Loop: Header=BB42_45 Depth=1
	s_or_b32 exec_lo, exec_lo, s1
	s_wait_dscnt 0x0
	v_mul_f32_e32 v2, v6, v2
	v_mul_f32_e32 v10, v6, v10
	scratch_load_b64 v[20:21], off, off offset:152 th:TH_LOAD_LU ; 8-byte Folded Reload
	v_mul_f32_e32 v16, v6, v94
	v_dual_mul_f32 v17, v6, v90 :: v_dual_fmac_f32 v2, v7, v3
	v_dual_fmac_f32 v10, v7, v11 :: v_dual_mul_f32 v3, v6, v122
	s_delay_alu instid0(VALU_DEP_3) | instskip(NEXT) | instid1(VALU_DEP_3)
	v_dual_mul_f32 v11, v6, v110 :: v_dual_fmac_f32 v16, v7, v95
	v_dual_fmac_f32 v2, v8, v4 :: v_dual_mul_f32 v4, v6, v118
	s_delay_alu instid0(VALU_DEP_3) | instskip(NEXT) | instid1(VALU_DEP_2)
	v_dual_fmac_f32 v10, v8, v12 :: v_dual_fmac_f32 v3, v7, v123
	v_dual_fmac_f32 v11, v7, v111 :: v_dual_fmac_f32 v2, v9, v5
	s_delay_alu instid0(VALU_DEP_3) | instskip(NEXT) | instid1(VALU_DEP_2)
	v_dual_fmac_f32 v4, v7, v119 :: v_dual_mul_f32 v5, v6, v114
	v_dual_mul_f32 v12, v6, v102 :: v_dual_fmac_f32 v11, v8, v112
	s_delay_alu instid0(VALU_DEP_4) | instskip(NEXT) | instid1(VALU_DEP_3)
	v_dual_fmac_f32 v10, v9, v13 :: v_dual_fmac_f32 v3, v8, v124
	v_dual_fmac_f32 v4, v8, v120 :: v_dual_fmac_f32 v5, v7, v115
	s_delay_alu instid0(VALU_DEP_3) | instskip(NEXT) | instid1(VALU_DEP_2)
	v_dual_fmac_f32 v11, v9, v113 :: v_dual_fmac_f32 v12, v7, v103
	v_dual_mul_f32 v13, v6, v98 :: v_dual_fmac_f32 v4, v9, v121
	s_delay_alu instid0(VALU_DEP_3) | instskip(SKIP_1) | instid1(VALU_DEP_3)
	v_fmac_f32_e32 v5, v8, v116
	v_fmac_f32_e32 v16, v8, v96
	v_dual_fmac_f32 v12, v8, v104 :: v_dual_fmac_f32 v13, v7, v99
	v_fmac_f32_e32 v3, v9, v125
	s_delay_alu instid0(VALU_DEP_4) | instskip(NEXT) | instid1(VALU_DEP_4)
	v_fmac_f32_e32 v5, v9, v117
	v_dual_fmac_f32 v16, v9, v97 :: v_dual_fmac_f32 v17, v7, v91
	s_delay_alu instid0(VALU_DEP_4) | instskip(NEXT) | instid1(VALU_DEP_2)
	v_dual_fmac_f32 v12, v9, v105 :: v_dual_fmac_f32 v13, v8, v100
	v_dual_mul_f32 v18, v6, v86 :: v_dual_fmac_f32 v17, v8, v92
	s_delay_alu instid0(VALU_DEP_1)
	v_dual_fmac_f32 v13, v9, v101 :: v_dual_fmac_f32 v18, v7, v87
	scratch_load_b64 v[86:87], off, off offset:64 th:TH_LOAD_LU ; 8-byte Folded Reload
	v_dual_fmac_f32 v17, v9, v93 :: v_dual_fmac_f32 v18, v8, v88
	s_wait_loadcnt 0x1
	v_add_f32_e32 v20, v20, v10
	s_wait_loadcnt 0x0
	v_dual_add_f32 v87, v87, v2 :: v_dual_add_f32 v86, v86, v3
	scratch_load_b64 v[2:3], off, off offset:80 th:TH_LOAD_LU ; 8-byte Folded Reload
	s_wait_loadcnt 0x0
	v_dual_fmac_f32 v18, v9, v89 :: v_dual_add_f32 v3, v3, v4
	v_add_f32_e32 v2, v2, v5
	s_clause 0x3
	scratch_store_b64 off, v[86:87], off offset:64
	scratch_load_b64 v[4:5], off, off offset:112 th:TH_LOAD_LU
	scratch_store_b64 off, v[2:3], off offset:80
	scratch_load_b64 v[2:3], off, off offset:96 th:TH_LOAD_LU
	s_wait_loadcnt 0x1
	v_dual_add_f32 v5, v5, v13 :: v_dual_add_f32 v4, v4, v16
	s_wait_loadcnt 0x0
	v_dual_add_f32 v3, v3, v11 :: v_dual_add_f32 v2, v2, v12
	s_clause 0x3
	scratch_store_b64 off, v[4:5], off offset:112
	scratch_load_b64 v[4:5], off, off offset:200 th:TH_LOAD_LU
	scratch_load_b64 v[12:13], off, off offset:120 th:TH_LOAD_LU
	scratch_store_b64 off, v[2:3], off offset:96
	s_wait_xcnt 0x0
	v_mul_f32_e32 v2, v6, v82
	v_mul_f32_e32 v3, v6, v78
	s_delay_alu instid0(VALU_DEP_1) | instskip(NEXT) | instid1(VALU_DEP_1)
	v_fmac_f32_e32 v3, v7, v79
	v_fmac_f32_e32 v3, v8, v80
	s_delay_alu instid0(VALU_DEP_1) | instskip(SKIP_2) | instid1(VALU_DEP_1)
	v_fmac_f32_e32 v3, v9, v81
	s_wait_loadcnt 0x1
	v_add_f32_e32 v5, v5, v17
	v_mov_b64_e32 v[16:17], v[4:5]
	v_dual_fmac_f32 v2, v7, v83 :: v_dual_mul_f32 v4, v6, v70
	s_delay_alu instid0(VALU_DEP_1) | instskip(NEXT) | instid1(VALU_DEP_3)
	v_dual_mul_f32 v10, v6, v62 :: v_dual_fmac_f32 v4, v7, v71
	v_add_f32_e32 v16, v16, v18
	scratch_load_b64 v[18:19], off, off offset:208 th:TH_LOAD_LU ; 8-byte Folded Reload
	v_fmac_f32_e32 v2, v8, v84
	v_dual_fmac_f32 v10, v7, v63 :: v_dual_fmac_f32 v4, v8, v72
	s_delay_alu instid0(VALU_DEP_2) | instskip(NEXT) | instid1(VALU_DEP_2)
	v_fmac_f32_e32 v2, v9, v85
	v_dual_fmac_f32 v10, v8, v64 :: v_dual_fmac_f32 v4, v9, v73
	s_wait_loadcnt 0x1
	s_delay_alu instid0(VALU_DEP_1) | instskip(SKIP_1) | instid1(VALU_DEP_1)
	v_dual_fmac_f32 v10, v9, v65 :: v_dual_add_f32 v12, v12, v4
	v_mul_f32_e32 v4, v6, v50
	v_fmac_f32_e32 v4, v7, v51
	s_wait_loadcnt 0x0
	s_delay_alu instid0(VALU_DEP_1) | instskip(SKIP_3) | instid1(VALU_DEP_3)
	v_dual_fmac_f32 v4, v8, v52 :: v_dual_add_f32 v19, v19, v2
	v_mul_f32_e32 v2, v6, v74
	v_mul_f32_e32 v5, v6, v66
	v_add_f32_e32 v18, v18, v3
	v_dual_mul_f32 v3, v6, v54 :: v_dual_fmac_f32 v2, v7, v75
	s_delay_alu instid0(VALU_DEP_3) | instskip(NEXT) | instid1(VALU_DEP_2)
	v_fmac_f32_e32 v5, v7, v67
	v_dual_fmac_f32 v3, v7, v55 :: v_dual_fmac_f32 v2, v8, v76
	s_delay_alu instid0(VALU_DEP_2) | instskip(NEXT) | instid1(VALU_DEP_2)
	v_fmac_f32_e32 v5, v8, v68
	v_dual_fmac_f32 v3, v8, v56 :: v_dual_fmac_f32 v2, v9, v77
	s_delay_alu instid0(VALU_DEP_2) | instskip(NEXT) | instid1(VALU_DEP_2)
	v_fmac_f32_e32 v5, v9, v69
	v_fmac_f32_e32 v3, v9, v57
	s_delay_alu instid0(VALU_DEP_3) | instskip(SKIP_1) | instid1(VALU_DEP_1)
	v_add_f32_e32 v13, v13, v2
	v_mul_f32_e32 v2, v6, v58
	v_fmac_f32_e32 v2, v7, v59
	s_clause 0x1
	scratch_store_b64 off, v[12:13], off offset:120
	scratch_load_b64 v[12:13], off, off offset:128 th:TH_LOAD_LU
	v_fmac_f32_e32 v2, v8, v60
	s_delay_alu instid0(VALU_DEP_1)
	v_fmac_f32_e32 v2, v9, v61
	s_wait_loadcnt 0x0
	v_dual_add_f32 v13, v13, v5 :: v_dual_add_f32 v12, v12, v10
	v_mul_f32_e32 v5, v6, v46
	v_mul_f32_e32 v10, v6, v42
	s_clause 0x1
	scratch_store_b64 off, v[12:13], off offset:128
	scratch_load_b64 v[12:13], off, off offset:160 th:TH_LOAD_LU
	v_fmac_f32_e32 v5, v7, v47
	v_dual_fmac_f32 v10, v7, v43 :: v_dual_fmac_f32 v4, v9, v53
	s_delay_alu instid0(VALU_DEP_2) | instskip(NEXT) | instid1(VALU_DEP_2)
	v_fmac_f32_e32 v5, v8, v48
	v_fmac_f32_e32 v10, v8, v44
	s_delay_alu instid0(VALU_DEP_1)
	v_fmac_f32_e32 v10, v9, v45
	s_wait_loadcnt 0x0
	v_dual_add_f32 v13, v13, v2 :: v_dual_add_f32 v12, v12, v3
	s_clause 0x2
	scratch_load_b64 v[2:3], off, off offset:136 th:TH_LOAD_LU
	scratch_store_b64 off, v[12:13], off offset:160
	scratch_load_b64 v[12:13], off, off offset:144 th:TH_LOAD_LU
	s_wait_loadcnt 0x1
	v_dual_fmac_f32 v5, v9, v49 :: v_dual_add_f32 v3, v3, v4
	s_delay_alu instid0(VALU_DEP_1)
	v_add_f32_e32 v2, v2, v5
	v_mul_f32_e32 v4, v6, v30
	scratch_store_b64 off, v[2:3], off offset:136 ; 8-byte Folded Spill
	s_wait_xcnt 0x0
	v_mul_f32_e32 v2, v6, v38
	s_wait_loadcnt 0x0
	v_add_f32_e32 v13, v13, v10
	v_dual_mul_f32 v3, v6, v34 :: v_dual_fmac_f32 v4, v7, v31
	s_delay_alu instid0(VALU_DEP_3) | instskip(NEXT) | instid1(VALU_DEP_1)
	v_dual_fmac_f32 v2, v7, v39 :: v_dual_mul_f32 v5, v6, v26
	v_dual_fmac_f32 v3, v7, v35 :: v_dual_fmac_f32 v2, v8, v40
	s_delay_alu instid0(VALU_DEP_2) | instskip(NEXT) | instid1(VALU_DEP_4)
	v_dual_mul_f32 v10, v6, v22 :: v_dual_fmac_f32 v5, v7, v27
	v_fmac_f32_e32 v4, v8, v32
	s_delay_alu instid0(VALU_DEP_3) | instskip(NEXT) | instid1(VALU_DEP_3)
	v_dual_fmac_f32 v3, v8, v36 :: v_dual_fmac_f32 v2, v9, v41
	v_dual_fmac_f32 v10, v7, v23 :: v_dual_fmac_f32 v5, v8, v28
	s_delay_alu instid0(VALU_DEP_3) | instskip(NEXT) | instid1(VALU_DEP_3)
	v_fmac_f32_e32 v4, v9, v33
	v_dual_fmac_f32 v3, v9, v37 :: v_dual_add_f32 v12, v12, v2
	s_delay_alu instid0(VALU_DEP_3)
	v_dual_fmac_f32 v10, v8, v24 :: v_dual_fmac_f32 v5, v9, v29
	s_clause 0x4
	scratch_load_b128 v[26:29], off, off offset:16 th:TH_LOAD_LU
	scratch_load_b128 v[34:37], off, off offset:48 th:TH_LOAD_LU
	;; [unrolled: 1-line block ×3, first 2 shown]
	scratch_store_b64 off, v[12:13], off offset:144
	scratch_load_b64 v[12:13], off, off offset:168 th:TH_LOAD_LU
	v_fmac_f32_e32 v10, v9, v25
	scratch_load_b128 v[22:25], off, off th:TH_LOAD_LU ; 16-byte Folded Reload
	s_wait_loadcnt 0x1
	v_add_f32_e32 v13, v13, v3
	scratch_load_b64 v[2:3], off, off offset:176 th:TH_LOAD_LU ; 8-byte Folded Reload
	v_add_f32_e32 v12, v12, v4
	scratch_store_b64 off, v[12:13], off offset:168 ; 8-byte Folded Spill
	s_wait_loadcnt 0x1
	s_wait_xcnt 0x0
	v_mul_f32_e32 v13, v6, v22
	s_delay_alu instid0(VALU_DEP_1) | instskip(NEXT) | instid1(VALU_DEP_1)
	v_dual_mul_f32 v12, v6, v26 :: v_dual_fmac_f32 v13, v7, v23
	v_fmac_f32_e32 v12, v7, v27
	s_clause 0x1
	scratch_load_b64 v[22:23], off, off offset:216 th:TH_LOAD_LU
	scratch_load_b64 v[26:27], off, off offset:224 th:TH_LOAD_LU
	s_wait_loadcnt 0x2
	v_dual_add_f32 v3, v3, v5 :: v_dual_add_f32 v2, v2, v10
	v_mul_f32_e32 v10, v6, v30
	v_mul_f32_e32 v11, v6, v34
	v_pk_mul_f32 v[4:5], v[8:9], v[108:109]
	s_delay_alu instid0(VALU_DEP_3) | instskip(NEXT) | instid1(VALU_DEP_3)
	v_fmac_f32_e32 v10, v7, v31
	v_fmac_f32_e32 v11, v7, v35
	scratch_store_b64 off, v[2:3], off offset:176 ; 8-byte Folded Spill
	s_wait_xcnt 0x0
	v_pk_mul_f32 v[2:3], v[6:7], v[106:107]
	v_fmac_f32_e32 v10, v8, v32
	v_fmac_f32_e32 v11, v8, v36
	s_delay_alu instid0(VALU_DEP_3) | instskip(NEXT) | instid1(VALU_DEP_3)
	v_dual_fmac_f32 v12, v8, v28 :: v_dual_add_f32 v2, v3, v2
	v_dual_fmac_f32 v13, v8, v24 :: v_dual_fmac_f32 v10, v9, v33
	s_delay_alu instid0(VALU_DEP_3) | instskip(NEXT) | instid1(VALU_DEP_3)
	v_fmac_f32_e32 v11, v9, v37
	v_dual_fmac_f32 v12, v9, v29 :: v_dual_add_f32 v2, v4, v2
	s_wait_loadcnt 0x1
	s_delay_alu instid0(VALU_DEP_3) | instskip(NEXT) | instid1(VALU_DEP_3)
	v_dual_fmac_f32 v13, v9, v25 :: v_dual_add_f32 v22, v22, v10
	v_add_f32_e32 v23, v23, v11
	s_wait_loadcnt 0x0
	v_dual_add_f32 v27, v27, v12 :: v_dual_add_f32 v2, v5, v2
	s_delay_alu instid0(VALU_DEP_1)
	v_dual_add_f32 v26, v26, v13 :: v_dual_add_f32 v21, v21, v2
	scratch_store_b64 off, v[20:21], off offset:152 ; 8-byte Folded Spill
.LBB42_44:                              ;   in Loop: Header=BB42_45 Depth=1
	s_wait_xcnt 0x0
	s_or_b32 exec_lo, exec_lo, s20
	v_add_nc_u32_e32 v15, 4, v15
	v_add_nc_u64_e32 v[0:1], 16, v[0:1]
	v_add_nc_u32_e32 v126, 0x80, v126
	v_add_nc_u32_e32 v14, 0x200, v14
	s_delay_alu instid0(VALU_DEP_4) | instskip(SKIP_1) | instid1(SALU_CYCLE_1)
	v_cmp_le_i32_e32 vcc_lo, s35, v15
	s_or_b32 s19, vcc_lo, s19
	s_and_not1_b32 exec_lo, exec_lo, s19
	s_cbranch_execz .LBB42_110
.LBB42_45:                              ; =>This Inner Loop Header: Depth=1
	s_wait_xcnt 0x0
	v_mul_u64_e32 v[2:3], s[16:17], v[126:127]
	s_delay_alu instid0(VALU_DEP_1) | instskip(NEXT) | instid1(VALU_DEP_1)
	v_mul_lo_u32 v2, v3, s12
	v_dual_add_nc_u32 v4, 1, v3 :: v_dual_sub_nc_u32 v2, v126, v2
	s_delay_alu instid0(VALU_DEP_1) | instskip(SKIP_1) | instid1(VALU_DEP_2)
	v_subrev_nc_u32_e32 v5, s12, v2
	v_cmp_le_u32_e32 vcc_lo, s12, v2
	v_dual_cndmask_b32 v3, v3, v4 :: v_dual_cndmask_b32 v2, v2, v5
	s_delay_alu instid0(VALU_DEP_1) | instskip(NEXT) | instid1(VALU_DEP_2)
	v_add_nc_u32_e32 v4, 1, v3
	v_cmp_le_u32_e32 vcc_lo, s12, v2
	s_delay_alu instid0(VALU_DEP_2) | instskip(NEXT) | instid1(VALU_DEP_1)
	v_cndmask_b32_e32 v2, v3, v4, vcc_lo
	v_dual_mov_b32 v3, v127 :: v_dual_bitop2_b32 v2, s34, v2 bitop3:0x14
	s_delay_alu instid0(VALU_DEP_1) | instskip(NEXT) | instid1(VALU_DEP_1)
	v_subrev_nc_u32_e32 v6, s34, v2
	v_add_nc_u32_e32 v7, s33, v6
	v_cmp_lt_i32_e64 s0, s27, v6
	s_delay_alu instid0(VALU_DEP_2) | instskip(NEXT) | instid1(VALU_DEP_1)
	v_sub_nc_u32_e32 v2, 0, v7
	v_max_i32_e32 v2, v7, v2
	s_delay_alu instid0(VALU_DEP_1) | instskip(SKIP_1) | instid1(VALU_DEP_2)
	v_mul_u64_e32 v[4:5], s[8:9], v[2:3]
	v_ashrrev_i32_e32 v4, 31, v7
	v_mul_lo_u32 v3, v5, s3
	s_delay_alu instid0(VALU_DEP_1) | instskip(NEXT) | instid1(VALU_DEP_1)
	v_sub_nc_u32_e32 v2, v2, v3
	v_subrev_nc_u32_e32 v3, s3, v2
	v_cmp_le_u32_e32 vcc_lo, s3, v2
	s_delay_alu instid0(VALU_DEP_2) | instskip(NEXT) | instid1(VALU_DEP_1)
	v_cndmask_b32_e32 v2, v2, v3, vcc_lo
	v_subrev_nc_u32_e32 v3, s3, v2
	v_cmp_le_u32_e32 vcc_lo, s3, v2
	s_delay_alu instid0(VALU_DEP_2) | instskip(NEXT) | instid1(VALU_DEP_1)
	v_cndmask_b32_e32 v2, v2, v3, vcc_lo
	v_xor_b32_e32 v2, v2, v4
	s_delay_alu instid0(VALU_DEP_1) | instskip(NEXT) | instid1(VALU_DEP_1)
	v_sub_nc_u32_e32 v2, v2, v4
	v_cmp_eq_u32_e32 vcc_lo, 0, v2
	s_or_b32 s0, vcc_lo, s0
	s_delay_alu instid0(SALU_CYCLE_1)
	s_and_saveexec_b32 s20, s0
	s_cbranch_execz .LBB42_44
; %bb.46:                               ;   in Loop: Header=BB42_45 Depth=1
	s_clause 0x3
	scratch_store_b64 off, v[26:27], off offset:224
	scratch_store_b64 off, v[22:23], off offset:216
	;; [unrolled: 1-line block ×4, first 2 shown]
	global_load_b32 v2, v[0:1], off
	ds_load_b128 v[6:9], v14
	v_cmp_eq_u32_e32 vcc_lo, s13, v15
	s_wait_loadcnt 0x0
	v_ashrrev_i32_e32 v3, 31, v2
	s_delay_alu instid0(VALU_DEP_1) | instskip(NEXT) | instid1(VALU_DEP_1)
	v_mul_u64_e32 v[2:3], s[4:5], v[2:3]
	v_lshl_add_u64 v[106:107], v[2:3], 2, s[10:11]
	scratch_load_b64 v[2:3], off, off offset:184 th:TH_LOAD_LU ; 8-byte Folded Reload
	s_wait_loadcnt 0x0
	v_mov_b32_e32 v3, v127
	s_delay_alu instid0(VALU_DEP_1)
	v_add_nc_u64_e32 v[10:11], v[106:107], v[2:3]
	v_mov_b32_e32 v4, v2
	scratch_store_b64 off, v[4:5], off offset:184 ; 8-byte Folded Spill
	global_load_b128 v[2:5], v[10:11], off
	s_wait_loadcnt 0x0
	s_clause 0x1
	scratch_store_b128 off, v[2:5], off
	scratch_load_b32 v2, off, off offset:236
	s_wait_loadcnt 0x0
	v_add_nc_u32_e32 v17, v2, v126
	s_delay_alu instid0(VALU_DEP_1)
	v_dual_add_nc_u32 v19, 1, v17 :: v_dual_bitop2_b32 v16, 3, v17 bitop3:0x54
	v_or_b32_e32 v18, 2, v17
	s_wait_xcnt 0x0
	s_and_saveexec_b32 s1, vcc_lo
	s_cbranch_execz .LBB42_48
; %bb.47:                               ;   in Loop: Header=BB42_45 Depth=1
	scratch_load_b128 v[2:5], off, off th:TH_LOAD_LU ; 16-byte Folded Reload
	v_cmp_gt_i32_e64 s0, s18, v19
	s_wait_loadcnt 0x0
	s_delay_alu instid0(VALU_DEP_1) | instskip(SKIP_1) | instid1(VALU_DEP_1)
	v_cndmask_b32_e64 v3, 0, v3, s0
	v_cmp_gt_i32_e64 s0, s31, v17
	v_cndmask_b32_e64 v2, 0, v2, s0
	v_cmp_gt_i32_e64 s0, s18, v16
	s_delay_alu instid0(VALU_DEP_1) | instskip(SKIP_1) | instid1(VALU_DEP_1)
	v_cndmask_b32_e64 v5, 0, v5, s0
	v_cmp_gt_i32_e64 s0, s31, v18
	v_cndmask_b32_e64 v4, 0, v4, s0
	scratch_store_b128 off, v[2:5], off     ; 16-byte Folded Spill
.LBB42_48:                              ;   in Loop: Header=BB42_45 Depth=1
	s_wait_xcnt 0x0
	s_or_b32 exec_lo, exec_lo, s1
	global_load_b128 v[2:5], v[10:11], off offset:512
	s_wait_loadcnt 0x0
	scratch_store_b128 off, v[2:5], off offset:16 ; 16-byte Folded Spill
	s_wait_xcnt 0x0
	s_and_saveexec_b32 s1, vcc_lo
	s_cbranch_execz .LBB42_50
; %bb.49:                               ;   in Loop: Header=BB42_45 Depth=1
	scratch_load_b128 v[2:5], off, off offset:16 th:TH_LOAD_LU ; 16-byte Folded Reload
	v_cmp_gt_i32_e64 s0, s18, v19
	s_wait_loadcnt 0x0
	s_delay_alu instid0(VALU_DEP_1) | instskip(SKIP_1) | instid1(VALU_DEP_1)
	v_cndmask_b32_e64 v3, 0, v3, s0
	v_cmp_gt_i32_e64 s0, s31, v17
	v_cndmask_b32_e64 v2, 0, v2, s0
	v_cmp_gt_i32_e64 s0, s18, v16
	s_delay_alu instid0(VALU_DEP_1) | instskip(SKIP_1) | instid1(VALU_DEP_1)
	v_cndmask_b32_e64 v5, 0, v5, s0
	v_cmp_gt_i32_e64 s0, s31, v18
	v_cndmask_b32_e64 v4, 0, v4, s0
	scratch_store_b128 off, v[2:5], off offset:16 ; 16-byte Folded Spill
.LBB42_50:                              ;   in Loop: Header=BB42_45 Depth=1
	s_wait_xcnt 0x0
	s_or_b32 exec_lo, exec_lo, s1
	global_load_b128 v[2:5], v[10:11], off offset:1024
	s_wait_loadcnt 0x0
	scratch_store_b128 off, v[2:5], off offset:32 ; 16-byte Folded Spill
	s_wait_xcnt 0x0
	s_and_saveexec_b32 s1, vcc_lo
	s_cbranch_execz .LBB42_52
; %bb.51:                               ;   in Loop: Header=BB42_45 Depth=1
	scratch_load_b128 v[2:5], off, off offset:32 th:TH_LOAD_LU ; 16-byte Folded Reload
	v_cmp_gt_i32_e64 s0, s18, v19
	s_wait_loadcnt 0x0
	s_delay_alu instid0(VALU_DEP_1) | instskip(SKIP_1) | instid1(VALU_DEP_1)
	v_cndmask_b32_e64 v3, 0, v3, s0
	v_cmp_gt_i32_e64 s0, s31, v17
	v_cndmask_b32_e64 v2, 0, v2, s0
	v_cmp_gt_i32_e64 s0, s18, v16
	s_delay_alu instid0(VALU_DEP_1) | instskip(SKIP_1) | instid1(VALU_DEP_1)
	v_cndmask_b32_e64 v5, 0, v5, s0
	v_cmp_gt_i32_e64 s0, s31, v18
	v_cndmask_b32_e64 v4, 0, v4, s0
	scratch_store_b128 off, v[2:5], off offset:32 ; 16-byte Folded Spill
.LBB42_52:                              ;   in Loop: Header=BB42_45 Depth=1
	s_wait_xcnt 0x0
	s_or_b32 exec_lo, exec_lo, s1
	global_load_b128 v[2:5], v[10:11], off offset:1536
	s_wait_loadcnt 0x0
	scratch_store_b128 off, v[2:5], off offset:48 ; 16-byte Folded Spill
	s_wait_xcnt 0x0
	s_and_saveexec_b32 s1, vcc_lo
	s_cbranch_execnz .LBB42_83
; %bb.53:                               ;   in Loop: Header=BB42_45 Depth=1
	s_or_b32 exec_lo, exec_lo, s1
	global_load_b128 v[22:25], v[10:11], off offset:2048
	s_wait_xcnt 0x0
	s_and_saveexec_b32 s1, vcc_lo
	s_cbranch_execnz .LBB42_84
.LBB42_54:                              ;   in Loop: Header=BB42_45 Depth=1
	s_or_b32 exec_lo, exec_lo, s1
	global_load_b128 v[26:29], v[10:11], off offset:2560
	s_wait_xcnt 0x0
	s_and_saveexec_b32 s1, vcc_lo
	s_cbranch_execnz .LBB42_85
.LBB42_55:                              ;   in Loop: Header=BB42_45 Depth=1
	s_or_b32 exec_lo, exec_lo, s1
	global_load_b128 v[30:33], v[10:11], off offset:3072
	s_wait_xcnt 0x0
	s_and_saveexec_b32 s1, vcc_lo
	s_cbranch_execnz .LBB42_86
.LBB42_56:                              ;   in Loop: Header=BB42_45 Depth=1
	s_or_b32 exec_lo, exec_lo, s1
	global_load_b128 v[34:37], v[10:11], off offset:3584
	s_wait_xcnt 0x0
	s_and_saveexec_b32 s1, vcc_lo
	s_cbranch_execnz .LBB42_87
.LBB42_57:                              ;   in Loop: Header=BB42_45 Depth=1
	s_or_b32 exec_lo, exec_lo, s1
	global_load_b128 v[38:41], v[10:11], off offset:4096
	s_wait_xcnt 0x0
	s_and_saveexec_b32 s1, vcc_lo
	s_cbranch_execnz .LBB42_88
.LBB42_58:                              ;   in Loop: Header=BB42_45 Depth=1
	s_or_b32 exec_lo, exec_lo, s1
	global_load_b128 v[42:45], v[10:11], off offset:4608
	s_wait_xcnt 0x0
	s_and_saveexec_b32 s1, vcc_lo
	s_cbranch_execnz .LBB42_89
.LBB42_59:                              ;   in Loop: Header=BB42_45 Depth=1
	s_or_b32 exec_lo, exec_lo, s1
	global_load_b128 v[46:49], v[10:11], off offset:5120
	s_wait_xcnt 0x0
	s_and_saveexec_b32 s1, vcc_lo
	s_cbranch_execnz .LBB42_90
.LBB42_60:                              ;   in Loop: Header=BB42_45 Depth=1
	s_or_b32 exec_lo, exec_lo, s1
	global_load_b128 v[50:53], v[10:11], off offset:5632
	s_wait_xcnt 0x0
	s_and_saveexec_b32 s1, vcc_lo
	s_cbranch_execnz .LBB42_91
.LBB42_61:                              ;   in Loop: Header=BB42_45 Depth=1
	s_or_b32 exec_lo, exec_lo, s1
	global_load_b128 v[54:57], v[10:11], off offset:6144
	s_wait_xcnt 0x0
	s_and_saveexec_b32 s1, vcc_lo
	s_cbranch_execnz .LBB42_92
.LBB42_62:                              ;   in Loop: Header=BB42_45 Depth=1
	s_or_b32 exec_lo, exec_lo, s1
	global_load_b128 v[58:61], v[10:11], off offset:6656
	s_wait_xcnt 0x0
	s_and_saveexec_b32 s1, vcc_lo
	s_cbranch_execnz .LBB42_93
.LBB42_63:                              ;   in Loop: Header=BB42_45 Depth=1
	s_or_b32 exec_lo, exec_lo, s1
	global_load_b128 v[62:65], v[10:11], off offset:7168
	s_wait_xcnt 0x0
	s_and_saveexec_b32 s1, vcc_lo
	s_cbranch_execnz .LBB42_94
.LBB42_64:                              ;   in Loop: Header=BB42_45 Depth=1
	s_or_b32 exec_lo, exec_lo, s1
	global_load_b128 v[66:69], v[10:11], off offset:7680
	s_wait_xcnt 0x0
	s_and_saveexec_b32 s1, vcc_lo
	s_cbranch_execnz .LBB42_95
.LBB42_65:                              ;   in Loop: Header=BB42_45 Depth=1
	s_or_b32 exec_lo, exec_lo, s1
	global_load_b128 v[70:73], v[10:11], off offset:8192
	s_wait_xcnt 0x0
	s_and_saveexec_b32 s1, vcc_lo
	s_cbranch_execnz .LBB42_96
.LBB42_66:                              ;   in Loop: Header=BB42_45 Depth=1
	s_or_b32 exec_lo, exec_lo, s1
	global_load_b128 v[74:77], v[10:11], off offset:8704
	s_wait_xcnt 0x0
	s_and_saveexec_b32 s21, vcc_lo
	s_cbranch_execnz .LBB42_97
.LBB42_67:                              ;   in Loop: Header=BB42_45 Depth=1
	s_or_b32 exec_lo, exec_lo, s21
	global_load_b128 v[78:81], v[10:11], off offset:9216
	s_wait_xcnt 0x0
	s_and_saveexec_b32 s21, vcc_lo
	s_cbranch_execnz .LBB42_98
.LBB42_68:                              ;   in Loop: Header=BB42_45 Depth=1
	s_or_b32 exec_lo, exec_lo, s21
	global_load_b128 v[82:85], v[10:11], off offset:9728
	s_wait_xcnt 0x0
	s_and_saveexec_b32 s21, vcc_lo
	s_cbranch_execnz .LBB42_99
.LBB42_69:                              ;   in Loop: Header=BB42_45 Depth=1
	s_or_b32 exec_lo, exec_lo, s21
	global_load_b128 v[86:89], v[10:11], off offset:10240
	s_wait_xcnt 0x0
	s_and_saveexec_b32 s21, vcc_lo
	s_cbranch_execnz .LBB42_100
.LBB42_70:                              ;   in Loop: Header=BB42_45 Depth=1
	s_or_b32 exec_lo, exec_lo, s21
	global_load_b128 v[90:93], v[10:11], off offset:10752
	s_wait_xcnt 0x0
	s_and_saveexec_b32 s21, vcc_lo
	s_cbranch_execnz .LBB42_101
.LBB42_71:                              ;   in Loop: Header=BB42_45 Depth=1
	s_or_b32 exec_lo, exec_lo, s21
	global_load_b128 v[94:97], v[10:11], off offset:11264
	s_wait_xcnt 0x0
	s_and_saveexec_b32 s21, vcc_lo
	s_cbranch_execnz .LBB42_102
.LBB42_72:                              ;   in Loop: Header=BB42_45 Depth=1
	s_or_b32 exec_lo, exec_lo, s21
	global_load_b128 v[98:101], v[10:11], off offset:11776
	s_wait_xcnt 0x0
	s_and_saveexec_b32 s21, vcc_lo
	s_cbranch_execnz .LBB42_103
.LBB42_73:                              ;   in Loop: Header=BB42_45 Depth=1
	s_or_b32 exec_lo, exec_lo, s21
	global_load_b128 v[102:105], v[10:11], off offset:12288
	s_wait_xcnt 0x0
	s_and_saveexec_b32 s21, vcc_lo
	s_cbranch_execnz .LBB42_104
.LBB42_74:                              ;   in Loop: Header=BB42_45 Depth=1
	s_or_b32 exec_lo, exec_lo, s21
	global_load_b128 v[110:113], v[10:11], off offset:12800
	s_wait_xcnt 0x0
	s_and_saveexec_b32 s21, vcc_lo
	s_cbranch_execnz .LBB42_105
.LBB42_75:                              ;   in Loop: Header=BB42_45 Depth=1
	s_or_b32 exec_lo, exec_lo, s21
	global_load_b128 v[114:117], v[10:11], off offset:13312
	s_wait_xcnt 0x0
	s_and_saveexec_b32 s21, vcc_lo
	s_cbranch_execnz .LBB42_106
.LBB42_76:                              ;   in Loop: Header=BB42_45 Depth=1
	s_or_b32 exec_lo, exec_lo, s21
	global_load_b128 v[118:121], v[10:11], off offset:13824
	s_wait_xcnt 0x0
	s_and_saveexec_b32 s21, vcc_lo
	s_cbranch_execnz .LBB42_107
.LBB42_77:                              ;   in Loop: Header=BB42_45 Depth=1
	s_or_b32 exec_lo, exec_lo, s21
	global_load_b128 v[122:125], v[10:11], off offset:14336
	s_wait_xcnt 0x0
	s_and_saveexec_b32 s21, vcc_lo
	s_cbranch_execnz .LBB42_108
.LBB42_78:                              ;   in Loop: Header=BB42_45 Depth=1
	s_or_b32 exec_lo, exec_lo, s21
	global_load_b128 v[2:5], v[10:11], off offset:14848
	s_wait_xcnt 0x0
	s_and_saveexec_b32 s21, vcc_lo
	s_cbranch_execnz .LBB42_109
.LBB42_79:                              ;   in Loop: Header=BB42_45 Depth=1
	s_or_b32 exec_lo, exec_lo, s21
	global_load_b128 v[10:13], v[10:11], off offset:15360
	s_wait_xcnt 0x0
	s_and_saveexec_b32 s21, vcc_lo
	s_cbranch_execz .LBB42_81
.LBB42_80:                              ;   in Loop: Header=BB42_45 Depth=1
	v_cmp_gt_i32_e64 s0, s31, v17
	v_cmp_gt_i32_e64 s1, s18, v19
	s_wait_loadcnt 0x0
	s_delay_alu instid0(VALU_DEP_1) | instskip(SKIP_2) | instid1(VALU_DEP_1)
	v_dual_cndmask_b32 v10, 0, v10, s0 :: v_dual_cndmask_b32 v11, 0, v11, s1
	v_cmp_gt_i32_e64 s0, s31, v18
	v_cmp_gt_i32_e64 s1, s18, v16
	v_dual_cndmask_b32 v12, 0, v12, s0 :: v_dual_cndmask_b32 v13, 0, v13, s1
.LBB42_81:                              ;   in Loop: Header=BB42_45 Depth=1
	s_or_b32 exec_lo, exec_lo, s21
	scratch_load_b64 v[20:21], off, off offset:192 th:TH_LOAD_LU ; 8-byte Folded Reload
	s_wait_loadcnt 0x0
	v_dual_mov_b32 v21, v127 :: v_dual_mov_b32 v108, v20
	s_delay_alu instid0(VALU_DEP_1)
	v_add_nc_u64_e32 v[20:21], v[106:107], v[20:21]
	scratch_store_b64 off, v[108:109], off offset:192 ; 8-byte Folded Spill
	global_load_b128 v[106:109], v[20:21], off
	s_wait_xcnt 0x0
	s_and_saveexec_b32 s1, vcc_lo
	s_cbranch_execz .LBB42_43
; %bb.82:                               ;   in Loop: Header=BB42_45 Depth=1
	v_cmp_gt_i32_e32 vcc_lo, s31, v17
	v_cmp_gt_i32_e64 s0, s18, v19
	s_wait_loadcnt 0x0
	s_delay_alu instid0(VALU_DEP_1) | instskip(SKIP_2) | instid1(VALU_DEP_1)
	v_dual_cndmask_b32 v106, 0, v106, vcc_lo :: v_dual_cndmask_b32 v107, 0, v107, s0
	v_cmp_gt_i32_e32 vcc_lo, s31, v18
	v_cmp_gt_i32_e64 s0, s18, v16
	v_dual_cndmask_b32 v108, 0, v108, vcc_lo :: v_dual_cndmask_b32 v109, 0, v109, s0
	s_branch .LBB42_43
.LBB42_83:                              ;   in Loop: Header=BB42_45 Depth=1
	scratch_load_b128 v[2:5], off, off offset:48 th:TH_LOAD_LU ; 16-byte Folded Reload
	v_cmp_gt_i32_e64 s0, s18, v19
	s_wait_loadcnt 0x0
	s_delay_alu instid0(VALU_DEP_1) | instskip(SKIP_1) | instid1(VALU_DEP_1)
	v_cndmask_b32_e64 v3, 0, v3, s0
	v_cmp_gt_i32_e64 s0, s31, v17
	v_cndmask_b32_e64 v2, 0, v2, s0
	v_cmp_gt_i32_e64 s0, s18, v16
	s_delay_alu instid0(VALU_DEP_1) | instskip(SKIP_1) | instid1(VALU_DEP_1)
	v_cndmask_b32_e64 v5, 0, v5, s0
	v_cmp_gt_i32_e64 s0, s31, v18
	v_cndmask_b32_e64 v4, 0, v4, s0
	scratch_store_b128 off, v[2:5], off offset:48 ; 16-byte Folded Spill
	s_wait_xcnt 0x0
	s_or_b32 exec_lo, exec_lo, s1
	global_load_b128 v[22:25], v[10:11], off offset:2048
	s_wait_xcnt 0x0
	s_and_saveexec_b32 s1, vcc_lo
	s_cbranch_execz .LBB42_54
.LBB42_84:                              ;   in Loop: Header=BB42_45 Depth=1
	v_cmp_gt_i32_e64 s0, s18, v19
	s_wait_loadcnt 0x0
	s_delay_alu instid0(VALU_DEP_1) | instskip(SKIP_1) | instid1(VALU_DEP_1)
	v_cndmask_b32_e64 v23, 0, v23, s0
	v_cmp_gt_i32_e64 s0, s31, v17
	v_cndmask_b32_e64 v22, 0, v22, s0
	v_cmp_gt_i32_e64 s0, s18, v16
	s_delay_alu instid0(VALU_DEP_1) | instskip(SKIP_1) | instid1(VALU_DEP_1)
	v_cndmask_b32_e64 v25, 0, v25, s0
	v_cmp_gt_i32_e64 s0, s31, v18
	v_cndmask_b32_e64 v24, 0, v24, s0
	s_or_b32 exec_lo, exec_lo, s1
	global_load_b128 v[26:29], v[10:11], off offset:2560
	s_wait_xcnt 0x0
	s_and_saveexec_b32 s1, vcc_lo
	s_cbranch_execz .LBB42_55
.LBB42_85:                              ;   in Loop: Header=BB42_45 Depth=1
	v_cmp_gt_i32_e64 s0, s18, v19
	s_wait_loadcnt 0x0
	s_delay_alu instid0(VALU_DEP_1) | instskip(SKIP_1) | instid1(VALU_DEP_1)
	v_cndmask_b32_e64 v27, 0, v27, s0
	v_cmp_gt_i32_e64 s0, s31, v17
	v_cndmask_b32_e64 v26, 0, v26, s0
	v_cmp_gt_i32_e64 s0, s18, v16
	s_delay_alu instid0(VALU_DEP_1) | instskip(SKIP_1) | instid1(VALU_DEP_1)
	v_cndmask_b32_e64 v29, 0, v29, s0
	v_cmp_gt_i32_e64 s0, s31, v18
	v_cndmask_b32_e64 v28, 0, v28, s0
	s_or_b32 exec_lo, exec_lo, s1
	global_load_b128 v[30:33], v[10:11], off offset:3072
	s_wait_xcnt 0x0
	s_and_saveexec_b32 s1, vcc_lo
	s_cbranch_execz .LBB42_56
.LBB42_86:                              ;   in Loop: Header=BB42_45 Depth=1
	v_cmp_gt_i32_e64 s0, s18, v19
	s_wait_loadcnt 0x0
	s_delay_alu instid0(VALU_DEP_1) | instskip(SKIP_1) | instid1(VALU_DEP_1)
	v_cndmask_b32_e64 v31, 0, v31, s0
	v_cmp_gt_i32_e64 s0, s31, v17
	v_cndmask_b32_e64 v30, 0, v30, s0
	v_cmp_gt_i32_e64 s0, s18, v16
	s_delay_alu instid0(VALU_DEP_1) | instskip(SKIP_1) | instid1(VALU_DEP_1)
	v_cndmask_b32_e64 v33, 0, v33, s0
	v_cmp_gt_i32_e64 s0, s31, v18
	v_cndmask_b32_e64 v32, 0, v32, s0
	s_or_b32 exec_lo, exec_lo, s1
	global_load_b128 v[34:37], v[10:11], off offset:3584
	s_wait_xcnt 0x0
	s_and_saveexec_b32 s1, vcc_lo
	s_cbranch_execz .LBB42_57
.LBB42_87:                              ;   in Loop: Header=BB42_45 Depth=1
	v_cmp_gt_i32_e64 s0, s18, v19
	s_wait_loadcnt 0x0
	s_delay_alu instid0(VALU_DEP_1) | instskip(SKIP_1) | instid1(VALU_DEP_1)
	v_cndmask_b32_e64 v35, 0, v35, s0
	v_cmp_gt_i32_e64 s0, s31, v17
	v_cndmask_b32_e64 v34, 0, v34, s0
	v_cmp_gt_i32_e64 s0, s18, v16
	s_delay_alu instid0(VALU_DEP_1) | instskip(SKIP_1) | instid1(VALU_DEP_1)
	v_cndmask_b32_e64 v37, 0, v37, s0
	v_cmp_gt_i32_e64 s0, s31, v18
	v_cndmask_b32_e64 v36, 0, v36, s0
	s_or_b32 exec_lo, exec_lo, s1
	global_load_b128 v[38:41], v[10:11], off offset:4096
	s_wait_xcnt 0x0
	s_and_saveexec_b32 s1, vcc_lo
	s_cbranch_execz .LBB42_58
.LBB42_88:                              ;   in Loop: Header=BB42_45 Depth=1
	v_cmp_gt_i32_e64 s0, s18, v19
	s_wait_loadcnt 0x0
	s_delay_alu instid0(VALU_DEP_1) | instskip(SKIP_1) | instid1(VALU_DEP_1)
	v_cndmask_b32_e64 v39, 0, v39, s0
	v_cmp_gt_i32_e64 s0, s31, v17
	v_cndmask_b32_e64 v38, 0, v38, s0
	v_cmp_gt_i32_e64 s0, s18, v16
	s_delay_alu instid0(VALU_DEP_1) | instskip(SKIP_1) | instid1(VALU_DEP_1)
	v_cndmask_b32_e64 v41, 0, v41, s0
	v_cmp_gt_i32_e64 s0, s31, v18
	v_cndmask_b32_e64 v40, 0, v40, s0
	s_or_b32 exec_lo, exec_lo, s1
	global_load_b128 v[42:45], v[10:11], off offset:4608
	s_wait_xcnt 0x0
	s_and_saveexec_b32 s1, vcc_lo
	s_cbranch_execz .LBB42_59
.LBB42_89:                              ;   in Loop: Header=BB42_45 Depth=1
	v_cmp_gt_i32_e64 s0, s18, v19
	s_wait_loadcnt 0x0
	s_delay_alu instid0(VALU_DEP_1) | instskip(SKIP_1) | instid1(VALU_DEP_1)
	v_cndmask_b32_e64 v43, 0, v43, s0
	v_cmp_gt_i32_e64 s0, s31, v17
	v_cndmask_b32_e64 v42, 0, v42, s0
	v_cmp_gt_i32_e64 s0, s18, v16
	s_delay_alu instid0(VALU_DEP_1) | instskip(SKIP_1) | instid1(VALU_DEP_1)
	v_cndmask_b32_e64 v45, 0, v45, s0
	v_cmp_gt_i32_e64 s0, s31, v18
	v_cndmask_b32_e64 v44, 0, v44, s0
	s_or_b32 exec_lo, exec_lo, s1
	global_load_b128 v[46:49], v[10:11], off offset:5120
	s_wait_xcnt 0x0
	s_and_saveexec_b32 s1, vcc_lo
	s_cbranch_execz .LBB42_60
.LBB42_90:                              ;   in Loop: Header=BB42_45 Depth=1
	v_cmp_gt_i32_e64 s0, s18, v19
	s_wait_loadcnt 0x0
	s_delay_alu instid0(VALU_DEP_1) | instskip(SKIP_1) | instid1(VALU_DEP_1)
	v_cndmask_b32_e64 v47, 0, v47, s0
	v_cmp_gt_i32_e64 s0, s31, v17
	v_cndmask_b32_e64 v46, 0, v46, s0
	v_cmp_gt_i32_e64 s0, s18, v16
	s_delay_alu instid0(VALU_DEP_1) | instskip(SKIP_1) | instid1(VALU_DEP_1)
	v_cndmask_b32_e64 v49, 0, v49, s0
	v_cmp_gt_i32_e64 s0, s31, v18
	v_cndmask_b32_e64 v48, 0, v48, s0
	s_or_b32 exec_lo, exec_lo, s1
	global_load_b128 v[50:53], v[10:11], off offset:5632
	s_wait_xcnt 0x0
	s_and_saveexec_b32 s1, vcc_lo
	s_cbranch_execz .LBB42_61
.LBB42_91:                              ;   in Loop: Header=BB42_45 Depth=1
	v_cmp_gt_i32_e64 s0, s18, v19
	s_wait_loadcnt 0x0
	s_delay_alu instid0(VALU_DEP_1) | instskip(SKIP_1) | instid1(VALU_DEP_1)
	v_cndmask_b32_e64 v51, 0, v51, s0
	v_cmp_gt_i32_e64 s0, s31, v17
	v_cndmask_b32_e64 v50, 0, v50, s0
	v_cmp_gt_i32_e64 s0, s18, v16
	s_delay_alu instid0(VALU_DEP_1) | instskip(SKIP_1) | instid1(VALU_DEP_1)
	v_cndmask_b32_e64 v53, 0, v53, s0
	v_cmp_gt_i32_e64 s0, s31, v18
	v_cndmask_b32_e64 v52, 0, v52, s0
	s_or_b32 exec_lo, exec_lo, s1
	global_load_b128 v[54:57], v[10:11], off offset:6144
	s_wait_xcnt 0x0
	s_and_saveexec_b32 s1, vcc_lo
	s_cbranch_execz .LBB42_62
.LBB42_92:                              ;   in Loop: Header=BB42_45 Depth=1
	v_cmp_gt_i32_e64 s0, s18, v19
	s_wait_loadcnt 0x0
	s_delay_alu instid0(VALU_DEP_1) | instskip(SKIP_1) | instid1(VALU_DEP_1)
	v_cndmask_b32_e64 v55, 0, v55, s0
	v_cmp_gt_i32_e64 s0, s31, v17
	v_cndmask_b32_e64 v54, 0, v54, s0
	v_cmp_gt_i32_e64 s0, s18, v16
	s_delay_alu instid0(VALU_DEP_1) | instskip(SKIP_1) | instid1(VALU_DEP_1)
	v_cndmask_b32_e64 v57, 0, v57, s0
	v_cmp_gt_i32_e64 s0, s31, v18
	v_cndmask_b32_e64 v56, 0, v56, s0
	s_or_b32 exec_lo, exec_lo, s1
	global_load_b128 v[58:61], v[10:11], off offset:6656
	s_wait_xcnt 0x0
	s_and_saveexec_b32 s1, vcc_lo
	s_cbranch_execz .LBB42_63
.LBB42_93:                              ;   in Loop: Header=BB42_45 Depth=1
	v_cmp_gt_i32_e64 s0, s18, v19
	s_wait_loadcnt 0x0
	s_delay_alu instid0(VALU_DEP_1) | instskip(SKIP_1) | instid1(VALU_DEP_1)
	v_cndmask_b32_e64 v59, 0, v59, s0
	v_cmp_gt_i32_e64 s0, s31, v17
	v_cndmask_b32_e64 v58, 0, v58, s0
	v_cmp_gt_i32_e64 s0, s18, v16
	s_delay_alu instid0(VALU_DEP_1) | instskip(SKIP_1) | instid1(VALU_DEP_1)
	v_cndmask_b32_e64 v61, 0, v61, s0
	v_cmp_gt_i32_e64 s0, s31, v18
	v_cndmask_b32_e64 v60, 0, v60, s0
	s_or_b32 exec_lo, exec_lo, s1
	global_load_b128 v[62:65], v[10:11], off offset:7168
	s_wait_xcnt 0x0
	s_and_saveexec_b32 s1, vcc_lo
	s_cbranch_execz .LBB42_64
.LBB42_94:                              ;   in Loop: Header=BB42_45 Depth=1
	v_cmp_gt_i32_e64 s0, s18, v19
	s_wait_loadcnt 0x0
	s_delay_alu instid0(VALU_DEP_1) | instskip(SKIP_1) | instid1(VALU_DEP_1)
	v_cndmask_b32_e64 v63, 0, v63, s0
	v_cmp_gt_i32_e64 s0, s31, v17
	v_cndmask_b32_e64 v62, 0, v62, s0
	v_cmp_gt_i32_e64 s0, s18, v16
	s_delay_alu instid0(VALU_DEP_1) | instskip(SKIP_1) | instid1(VALU_DEP_1)
	v_cndmask_b32_e64 v65, 0, v65, s0
	v_cmp_gt_i32_e64 s0, s31, v18
	v_cndmask_b32_e64 v64, 0, v64, s0
	s_or_b32 exec_lo, exec_lo, s1
	global_load_b128 v[66:69], v[10:11], off offset:7680
	s_wait_xcnt 0x0
	s_and_saveexec_b32 s1, vcc_lo
	s_cbranch_execz .LBB42_65
.LBB42_95:                              ;   in Loop: Header=BB42_45 Depth=1
	v_cmp_gt_i32_e64 s0, s18, v19
	s_wait_loadcnt 0x0
	s_delay_alu instid0(VALU_DEP_1) | instskip(SKIP_1) | instid1(VALU_DEP_1)
	v_cndmask_b32_e64 v67, 0, v67, s0
	v_cmp_gt_i32_e64 s0, s31, v17
	v_cndmask_b32_e64 v66, 0, v66, s0
	v_cmp_gt_i32_e64 s0, s18, v16
	s_delay_alu instid0(VALU_DEP_1) | instskip(SKIP_1) | instid1(VALU_DEP_1)
	v_cndmask_b32_e64 v69, 0, v69, s0
	v_cmp_gt_i32_e64 s0, s31, v18
	v_cndmask_b32_e64 v68, 0, v68, s0
	s_or_b32 exec_lo, exec_lo, s1
	global_load_b128 v[70:73], v[10:11], off offset:8192
	s_wait_xcnt 0x0
	s_and_saveexec_b32 s1, vcc_lo
	s_cbranch_execz .LBB42_66
.LBB42_96:                              ;   in Loop: Header=BB42_45 Depth=1
	v_cmp_gt_i32_e64 s0, s18, v19
	s_wait_loadcnt 0x0
	s_delay_alu instid0(VALU_DEP_1) | instskip(SKIP_1) | instid1(VALU_DEP_1)
	v_cndmask_b32_e64 v71, 0, v71, s0
	v_cmp_gt_i32_e64 s0, s31, v17
	v_cndmask_b32_e64 v70, 0, v70, s0
	v_cmp_gt_i32_e64 s0, s18, v16
	s_delay_alu instid0(VALU_DEP_1) | instskip(SKIP_1) | instid1(VALU_DEP_1)
	v_cndmask_b32_e64 v73, 0, v73, s0
	v_cmp_gt_i32_e64 s0, s31, v18
	v_cndmask_b32_e64 v72, 0, v72, s0
	s_or_b32 exec_lo, exec_lo, s1
	global_load_b128 v[74:77], v[10:11], off offset:8704
	s_wait_xcnt 0x0
	s_and_saveexec_b32 s21, vcc_lo
	s_cbranch_execz .LBB42_67
.LBB42_97:                              ;   in Loop: Header=BB42_45 Depth=1
	v_cmp_gt_i32_e64 s0, s31, v17
	v_cmp_gt_i32_e64 s1, s18, v19
	s_wait_loadcnt 0x0
	s_delay_alu instid0(VALU_DEP_1) | instskip(SKIP_2) | instid1(VALU_DEP_1)
	v_dual_cndmask_b32 v74, 0, v74, s0 :: v_dual_cndmask_b32 v75, 0, v75, s1
	v_cmp_gt_i32_e64 s0, s31, v18
	v_cmp_gt_i32_e64 s1, s18, v16
	v_dual_cndmask_b32 v76, 0, v76, s0 :: v_dual_cndmask_b32 v77, 0, v77, s1
	s_or_b32 exec_lo, exec_lo, s21
	global_load_b128 v[78:81], v[10:11], off offset:9216
	s_wait_xcnt 0x0
	s_and_saveexec_b32 s21, vcc_lo
	s_cbranch_execz .LBB42_68
.LBB42_98:                              ;   in Loop: Header=BB42_45 Depth=1
	v_cmp_gt_i32_e64 s0, s31, v17
	v_cmp_gt_i32_e64 s1, s18, v19
	s_wait_loadcnt 0x0
	s_delay_alu instid0(VALU_DEP_1) | instskip(SKIP_2) | instid1(VALU_DEP_1)
	v_dual_cndmask_b32 v78, 0, v78, s0 :: v_dual_cndmask_b32 v79, 0, v79, s1
	v_cmp_gt_i32_e64 s0, s31, v18
	v_cmp_gt_i32_e64 s1, s18, v16
	v_dual_cndmask_b32 v80, 0, v80, s0 :: v_dual_cndmask_b32 v81, 0, v81, s1
	s_or_b32 exec_lo, exec_lo, s21
	global_load_b128 v[82:85], v[10:11], off offset:9728
	s_wait_xcnt 0x0
	s_and_saveexec_b32 s21, vcc_lo
	s_cbranch_execz .LBB42_69
.LBB42_99:                              ;   in Loop: Header=BB42_45 Depth=1
	v_cmp_gt_i32_e64 s0, s31, v17
	v_cmp_gt_i32_e64 s1, s18, v19
	s_wait_loadcnt 0x0
	s_delay_alu instid0(VALU_DEP_1) | instskip(SKIP_2) | instid1(VALU_DEP_1)
	v_dual_cndmask_b32 v82, 0, v82, s0 :: v_dual_cndmask_b32 v83, 0, v83, s1
	v_cmp_gt_i32_e64 s0, s31, v18
	v_cmp_gt_i32_e64 s1, s18, v16
	v_dual_cndmask_b32 v84, 0, v84, s0 :: v_dual_cndmask_b32 v85, 0, v85, s1
	s_or_b32 exec_lo, exec_lo, s21
	global_load_b128 v[86:89], v[10:11], off offset:10240
	s_wait_xcnt 0x0
	s_and_saveexec_b32 s21, vcc_lo
	s_cbranch_execz .LBB42_70
.LBB42_100:                             ;   in Loop: Header=BB42_45 Depth=1
	v_cmp_gt_i32_e64 s0, s31, v17
	v_cmp_gt_i32_e64 s1, s18, v19
	s_wait_loadcnt 0x0
	s_delay_alu instid0(VALU_DEP_1) | instskip(SKIP_2) | instid1(VALU_DEP_1)
	v_dual_cndmask_b32 v86, 0, v86, s0 :: v_dual_cndmask_b32 v87, 0, v87, s1
	v_cmp_gt_i32_e64 s0, s31, v18
	v_cmp_gt_i32_e64 s1, s18, v16
	v_dual_cndmask_b32 v88, 0, v88, s0 :: v_dual_cndmask_b32 v89, 0, v89, s1
	s_or_b32 exec_lo, exec_lo, s21
	global_load_b128 v[90:93], v[10:11], off offset:10752
	s_wait_xcnt 0x0
	s_and_saveexec_b32 s21, vcc_lo
	s_cbranch_execz .LBB42_71
.LBB42_101:                             ;   in Loop: Header=BB42_45 Depth=1
	v_cmp_gt_i32_e64 s0, s31, v17
	v_cmp_gt_i32_e64 s1, s18, v19
	s_wait_loadcnt 0x0
	s_delay_alu instid0(VALU_DEP_1) | instskip(SKIP_2) | instid1(VALU_DEP_1)
	v_dual_cndmask_b32 v90, 0, v90, s0 :: v_dual_cndmask_b32 v91, 0, v91, s1
	v_cmp_gt_i32_e64 s0, s31, v18
	v_cmp_gt_i32_e64 s1, s18, v16
	v_dual_cndmask_b32 v92, 0, v92, s0 :: v_dual_cndmask_b32 v93, 0, v93, s1
	s_or_b32 exec_lo, exec_lo, s21
	global_load_b128 v[94:97], v[10:11], off offset:11264
	s_wait_xcnt 0x0
	s_and_saveexec_b32 s21, vcc_lo
	s_cbranch_execz .LBB42_72
.LBB42_102:                             ;   in Loop: Header=BB42_45 Depth=1
	v_cmp_gt_i32_e64 s0, s31, v17
	v_cmp_gt_i32_e64 s1, s18, v19
	s_wait_loadcnt 0x0
	s_delay_alu instid0(VALU_DEP_1) | instskip(SKIP_2) | instid1(VALU_DEP_1)
	v_dual_cndmask_b32 v94, 0, v94, s0 :: v_dual_cndmask_b32 v95, 0, v95, s1
	v_cmp_gt_i32_e64 s0, s31, v18
	v_cmp_gt_i32_e64 s1, s18, v16
	v_dual_cndmask_b32 v96, 0, v96, s0 :: v_dual_cndmask_b32 v97, 0, v97, s1
	s_or_b32 exec_lo, exec_lo, s21
	global_load_b128 v[98:101], v[10:11], off offset:11776
	s_wait_xcnt 0x0
	s_and_saveexec_b32 s21, vcc_lo
	s_cbranch_execz .LBB42_73
.LBB42_103:                             ;   in Loop: Header=BB42_45 Depth=1
	v_cmp_gt_i32_e64 s0, s31, v17
	v_cmp_gt_i32_e64 s1, s18, v19
	s_wait_loadcnt 0x0
	s_delay_alu instid0(VALU_DEP_1) | instskip(SKIP_2) | instid1(VALU_DEP_1)
	v_dual_cndmask_b32 v98, 0, v98, s0 :: v_dual_cndmask_b32 v99, 0, v99, s1
	v_cmp_gt_i32_e64 s0, s31, v18
	v_cmp_gt_i32_e64 s1, s18, v16
	v_dual_cndmask_b32 v100, 0, v100, s0 :: v_dual_cndmask_b32 v101, 0, v101, s1
	s_or_b32 exec_lo, exec_lo, s21
	global_load_b128 v[102:105], v[10:11], off offset:12288
	s_wait_xcnt 0x0
	s_and_saveexec_b32 s21, vcc_lo
	s_cbranch_execz .LBB42_74
.LBB42_104:                             ;   in Loop: Header=BB42_45 Depth=1
	v_cmp_gt_i32_e64 s0, s31, v17
	v_cmp_gt_i32_e64 s1, s18, v19
	s_wait_loadcnt 0x0
	s_delay_alu instid0(VALU_DEP_1) | instskip(SKIP_2) | instid1(VALU_DEP_1)
	v_dual_cndmask_b32 v102, 0, v102, s0 :: v_dual_cndmask_b32 v103, 0, v103, s1
	v_cmp_gt_i32_e64 s0, s31, v18
	v_cmp_gt_i32_e64 s1, s18, v16
	v_dual_cndmask_b32 v104, 0, v104, s0 :: v_dual_cndmask_b32 v105, 0, v105, s1
	s_or_b32 exec_lo, exec_lo, s21
	global_load_b128 v[110:113], v[10:11], off offset:12800
	s_wait_xcnt 0x0
	s_and_saveexec_b32 s21, vcc_lo
	s_cbranch_execz .LBB42_75
.LBB42_105:                             ;   in Loop: Header=BB42_45 Depth=1
	v_cmp_gt_i32_e64 s0, s31, v17
	v_cmp_gt_i32_e64 s1, s18, v19
	s_wait_loadcnt 0x0
	s_delay_alu instid0(VALU_DEP_1) | instskip(SKIP_2) | instid1(VALU_DEP_1)
	v_dual_cndmask_b32 v110, 0, v110, s0 :: v_dual_cndmask_b32 v111, 0, v111, s1
	v_cmp_gt_i32_e64 s0, s31, v18
	v_cmp_gt_i32_e64 s1, s18, v16
	v_dual_cndmask_b32 v112, 0, v112, s0 :: v_dual_cndmask_b32 v113, 0, v113, s1
	s_or_b32 exec_lo, exec_lo, s21
	global_load_b128 v[114:117], v[10:11], off offset:13312
	s_wait_xcnt 0x0
	s_and_saveexec_b32 s21, vcc_lo
	s_cbranch_execz .LBB42_76
.LBB42_106:                             ;   in Loop: Header=BB42_45 Depth=1
	v_cmp_gt_i32_e64 s0, s31, v17
	v_cmp_gt_i32_e64 s1, s18, v19
	s_wait_loadcnt 0x0
	s_delay_alu instid0(VALU_DEP_1) | instskip(SKIP_2) | instid1(VALU_DEP_1)
	v_dual_cndmask_b32 v114, 0, v114, s0 :: v_dual_cndmask_b32 v115, 0, v115, s1
	v_cmp_gt_i32_e64 s0, s31, v18
	v_cmp_gt_i32_e64 s1, s18, v16
	v_dual_cndmask_b32 v116, 0, v116, s0 :: v_dual_cndmask_b32 v117, 0, v117, s1
	s_or_b32 exec_lo, exec_lo, s21
	global_load_b128 v[118:121], v[10:11], off offset:13824
	s_wait_xcnt 0x0
	s_and_saveexec_b32 s21, vcc_lo
	s_cbranch_execz .LBB42_77
.LBB42_107:                             ;   in Loop: Header=BB42_45 Depth=1
	v_cmp_gt_i32_e64 s0, s31, v17
	v_cmp_gt_i32_e64 s1, s18, v19
	s_wait_loadcnt 0x0
	s_delay_alu instid0(VALU_DEP_1) | instskip(SKIP_2) | instid1(VALU_DEP_1)
	v_dual_cndmask_b32 v118, 0, v118, s0 :: v_dual_cndmask_b32 v119, 0, v119, s1
	v_cmp_gt_i32_e64 s0, s31, v18
	v_cmp_gt_i32_e64 s1, s18, v16
	v_dual_cndmask_b32 v120, 0, v120, s0 :: v_dual_cndmask_b32 v121, 0, v121, s1
	s_or_b32 exec_lo, exec_lo, s21
	global_load_b128 v[122:125], v[10:11], off offset:14336
	s_wait_xcnt 0x0
	s_and_saveexec_b32 s21, vcc_lo
	s_cbranch_execz .LBB42_78
.LBB42_108:                             ;   in Loop: Header=BB42_45 Depth=1
	v_cmp_gt_i32_e64 s0, s31, v17
	v_cmp_gt_i32_e64 s1, s18, v19
	s_wait_loadcnt 0x0
	s_delay_alu instid0(VALU_DEP_1) | instskip(SKIP_2) | instid1(VALU_DEP_1)
	v_dual_cndmask_b32 v122, 0, v122, s0 :: v_dual_cndmask_b32 v123, 0, v123, s1
	v_cmp_gt_i32_e64 s0, s31, v18
	v_cmp_gt_i32_e64 s1, s18, v16
	v_dual_cndmask_b32 v124, 0, v124, s0 :: v_dual_cndmask_b32 v125, 0, v125, s1
	s_or_b32 exec_lo, exec_lo, s21
	global_load_b128 v[2:5], v[10:11], off offset:14848
	s_wait_xcnt 0x0
	s_and_saveexec_b32 s21, vcc_lo
	s_cbranch_execz .LBB42_79
.LBB42_109:                             ;   in Loop: Header=BB42_45 Depth=1
	v_cmp_gt_i32_e64 s0, s31, v17
	v_cmp_gt_i32_e64 s1, s18, v19
	s_wait_loadcnt 0x0
	s_delay_alu instid0(VALU_DEP_1) | instskip(SKIP_2) | instid1(VALU_DEP_1)
	v_dual_cndmask_b32 v2, 0, v2, s0 :: v_dual_cndmask_b32 v3, 0, v3, s1
	v_cmp_gt_i32_e64 s0, s31, v18
	v_cmp_gt_i32_e64 s1, s18, v16
	v_dual_cndmask_b32 v4, 0, v4, s0 :: v_dual_cndmask_b32 v5, 0, v5, s1
	s_or_b32 exec_lo, exec_lo, s21
	global_load_b128 v[10:13], v[10:11], off offset:15360
	s_wait_xcnt 0x0
	s_and_saveexec_b32 s21, vcc_lo
	s_cbranch_execnz .LBB42_80
	s_branch .LBB42_81
.LBB42_110:
	s_or_b32 exec_lo, exec_lo, s19
	s_clause 0x8
	scratch_load_b32 v72, off, off offset:244
	scratch_load_b32 v73, off, off offset:248
	scratch_load_b32 v62, off, off offset:252
	scratch_load_b32 v45, off, off offset:256
	scratch_load_b32 v74, off, off offset:260
	scratch_load_b64 v[48:49], off, off offset:152
	scratch_load_b64 v[14:15], off, off offset:160
	;; [unrolled: 1-line block ×4, first 2 shown]
.LBB42_111:
	s_wait_xcnt 0x0
	s_or_b32 exec_lo, exec_lo, s26
	v_mov_b64_e32 v[36:37], v[18:19]
	s_clause 0x7
	scratch_load_b64 v[18:19], off, off offset:144 th:TH_LOAD_LU
	scratch_load_b64 v[24:25], off, off offset:136 th:TH_LOAD_LU
	;; [unrolled: 1-line block ×8, first 2 shown]
	s_wait_loadcnt 0xd
	ds_bpermute_b32 v0, v45, v26
	ds_bpermute_b32 v1, v45, v27
	s_wait_loadcnt 0xa
	ds_bpermute_b32 v12, v45, v14
	ds_bpermute_b32 v13, v45, v15
	v_mov_b64_e32 v[34:35], v[16:17]
	s_wait_loadcnt 0x9
	v_mov_b64_e32 v[16:17], v[6:7]
	ds_bpermute_b32 v2, v45, v22
	ds_bpermute_b32 v3, v45, v23
	s_wait_loadcnt 0x8
	v_mov_b64_e32 v[20:21], v[4:5]
	v_mov_b64_e32 v[54:55], v[36:37]
	;; [unrolled: 1-line block ×4, first 2 shown]
	ds_bpermute_b32 v6, v45, v16
	ds_bpermute_b32 v7, v45, v17
	s_mov_b32 s0, exec_lo
	ds_bpermute_b32 v4, v45, v20
	ds_bpermute_b32 v5, v45, v21
	;; [unrolled: 1-line block ×6, first 2 shown]
	s_wait_dscnt 0xc
	v_pk_add_f32 v[0:1], v[26:27], v[0:1]
	v_mov_b64_e32 v[26:27], v[14:15]
	s_wait_dscnt 0x8
	v_pk_add_f32 v[2:3], v[22:23], v[2:3]
	s_delay_alu instid0(VALU_DEP_2)
	v_pk_add_f32 v[26:27], v[26:27], v[12:13]
	s_wait_dscnt 0x6
	v_pk_add_f32 v[16:17], v[16:17], v[6:7]
	ds_bpermute_b32 v6, v62, v2
	ds_bpermute_b32 v7, v62, v3
	s_wait_dscnt 0x6
	v_pk_add_f32 v[14:15], v[20:21], v[4:5]
	ds_bpermute_b32 v4, v62, v0
	ds_bpermute_b32 v5, v62, v1
	;; [unrolled: 4-line block ×3, first 2 shown]
	ds_bpermute_b32 v32, v62, v26
	ds_bpermute_b32 v33, v62, v27
	s_wait_dscnt 0x8
	v_pk_add_f32 v[48:49], v[60:61], v[48:49]
	s_wait_dscnt 0x6
	v_pk_add_f32 v[6:7], v[2:3], v[6:7]
	;; [unrolled: 2-line block ×4, first 2 shown]
	ds_bpermute_b32 v16, v73, v6
	ds_bpermute_b32 v17, v73, v7
	s_wait_loadcnt 0x7
	ds_bpermute_b32 v8, v45, v18
	s_wait_loadcnt 0x6
	ds_bpermute_b32 v10, v45, v24
	ds_bpermute_b32 v11, v45, v25
	;; [unrolled: 1-line block ×3, first 2 shown]
	s_wait_loadcnt 0x3
	ds_bpermute_b32 v36, v45, v52
	ds_bpermute_b32 v37, v45, v53
	;; [unrolled: 1-line block ×6, first 2 shown]
	s_wait_loadcnt 0x0
	ds_bpermute_b32 v42, v45, v58
	ds_bpermute_b32 v43, v45, v59
	s_wait_dscnt 0x9
	v_pk_add_f32 v[24:25], v[24:25], v[10:11]
	s_wait_dscnt 0x8
	v_pk_add_f32 v[18:19], v[18:19], v[8:9]
	ds_bpermute_b32 v8, v62, v14
	s_wait_dscnt 0x7
	v_pk_add_f32 v[36:37], v[52:53], v[36:37]
	ds_bpermute_b32 v52, v62, v34
	ds_bpermute_b32 v12, v62, v24
	;; [unrolled: 1-line block ×6, first 2 shown]
	s_wait_dscnt 0xb
	v_pk_add_f32 v[28:29], v[38:39], v[28:29]
	v_pk_add_f32 v[38:39], v[26:27], v[32:33]
	s_wait_dscnt 0x9
	v_pk_add_f32 v[30:31], v[40:41], v[30:31]
	ds_bpermute_b32 v32, v45, v64
	ds_bpermute_b32 v33, v45, v65
	;; [unrolled: 1-line block ×12, first 2 shown]
	s_wait_dscnt 0xf
	v_pk_add_f32 v[12:13], v[24:25], v[12:13]
	ds_bpermute_b32 v24, v45, v54
	ds_bpermute_b32 v25, v45, v55
	s_wait_dscnt 0xf
	v_pk_add_f32 v[2:3], v[18:19], v[22:23]
	s_wait_dscnt 0xe
	v_pk_add_f32 v[34:35], v[34:35], v[52:53]
	ds_bpermute_b32 v22, v73, v12
	ds_bpermute_b32 v23, v73, v13
	;; [unrolled: 1-line block ×5, first 2 shown]
	s_wait_dscnt 0x11
	v_pk_add_f32 v[32:33], v[64:65], v[32:33]
	s_wait_dscnt 0xd
	v_pk_add_f32 v[40:41], v[56:57], v[40:41]
	v_pk_add_f32 v[56:57], v[28:29], v[26:27]
	;; [unrolled: 1-line block ×3, first 2 shown]
	ds_bpermute_b32 v28, v62, v32
	ds_bpermute_b32 v29, v62, v33
	ds_bpermute_b32 v42, v62, v40
	ds_bpermute_b32 v43, v62, v41
	ds_bpermute_b32 v58, v62, v26
	ds_bpermute_b32 v59, v62, v27
	s_wait_dscnt 0x12
	v_pk_add_f32 v[8:9], v[14:15], v[8:9]
	s_wait_dscnt 0xb
	v_pk_add_f32 v[24:25], v[54:55], v[24:25]
	ds_bpermute_b32 v54, v62, v36
	ds_bpermute_b32 v55, v62, v37
	v_pk_add_f32 v[46:47], v[30:31], v[46:47]
	ds_bpermute_b32 v18, v73, v8
	ds_bpermute_b32 v50, v62, v24
	;; [unrolled: 1-line block ×3, first 2 shown]
	s_wait_dscnt 0xb
	v_pk_add_f32 v[20:21], v[2:3], v[20:21]
	ds_bpermute_b32 v19, v73, v9
	ds_bpermute_b32 v14, v73, v0
	;; [unrolled: 1-line block ×6, first 2 shown]
	s_wait_dscnt 0xf
	v_pk_add_f32 v[64:65], v[32:33], v[28:29]
	v_pk_add_f32 v[28:29], v[4:5], v[10:11]
	s_wait_dscnt 0xd
	v_pk_add_f32 v[40:41], v[40:41], v[42:43]
	v_pk_add_f32 v[10:11], v[38:39], v[44:45]
	s_wait_dscnt 0xb
	v_pk_add_f32 v[42:43], v[26:27], v[58:59]
	ds_bpermute_b32 v58, v73, v64
	ds_bpermute_b32 v59, v73, v65
	ds_bpermute_b32 v68, v73, v40
	s_wait_dscnt 0xc
	v_pk_add_f32 v[36:37], v[36:37], v[54:55]
	ds_bpermute_b32 v54, v73, v34
	ds_bpermute_b32 v55, v73, v35
	ds_bpermute_b32 v69, v73, v41
	;; [unrolled: 5-line block ×3, first 2 shown]
	ds_bpermute_b32 v66, v73, v36
	ds_bpermute_b32 v52, v73, v50
	;; [unrolled: 1-line block ×6, first 2 shown]
	s_wait_dscnt 0x14
	v_pk_add_f32 v[18:19], v[8:9], v[18:19]
	s_wait_dscnt 0x12
	v_pk_add_f32 v[26:27], v[0:1], v[14:15]
	v_pk_add_f32 v[14:15], v[12:13], v[22:23]
	s_wait_dscnt 0x10
	v_pk_add_f32 v[8:9], v[56:57], v[60:61]
	s_wait_dscnt 0xd
	;; [unrolled: 2-line block ×3, first 2 shown]
	v_pk_add_f32 v[2:3], v[34:35], v[54:55]
	scratch_load_b32 v34, off, off offset:232 th:TH_LOAD_LU ; 4-byte Folded Reload
	v_and_b32_e32 v35, 0x3c7, v72
	s_wait_storecnt 0x0
	s_wait_loadcnt_dscnt 0x0
	v_pk_add_f32 v[30:31], v[48:49], v[24:25]
	v_pk_add_f32 v[24:25], v[6:7], v[16:17]
	;; [unrolled: 1-line block ×5, first 2 shown]
	ds_bpermute_b32 v32, v73, v30
	ds_bpermute_b32 v33, v73, v31
	v_pk_add_f32 v[0:1], v[36:37], v[66:67]
	v_pk_add_f32 v[12:13], v[42:43], v[70:71]
	s_barrier_signal -1
	s_barrier_wait -1
	s_wait_dscnt 0x0
	v_lshrrev_b32_e32 v34, 3, v34
	v_cmpx_ne_u32_e32 64, v35
	s_xor_b32 s0, exec_lo, s0
	s_delay_alu instid0(SALU_CYCLE_1)
	s_or_saveexec_b32 s0, s0
	v_pk_add_f32 v[30:31], v[30:31], v[32:33]
	scratch_load_b32 v32, off, off offset:240 th:TH_LOAD_LU ; 4-byte Folded Reload
	v_lshl_add_u32 v33, v34, 2, 0x220
	s_wait_loadcnt 0x0
	v_lshlrev_b32_e32 v32, 9, v32
	s_xor_b32 exec_lo, exec_lo, s0
	s_cbranch_execz .LBB42_113
; %bb.112:
	s_delay_alu instid0(VALU_DEP_1) | instskip(NEXT) | instid1(VALU_DEP_1)
	v_add_nc_u32_e32 v35, v33, v32
	v_add_nc_u32_e32 v36, 0xfffffc00, v35
	;; [unrolled: 1-line block ×9, first 2 shown]
	ds_store_b32 v36, v28
	ds_store_b32 v37, v29
	ds_store_b32 v38, v24
	ds_store_b32 v39, v25
	ds_store_b32 v40, v18
	ds_store_b32 v41, v19
	ds_store_b32 v42, v26
	ds_store_b32 v43, v27
	v_add_nc_u32_e32 v36, 0xfffffc80, v35
	v_add_nc_u32_e32 v37, 0xfffffc90, v35
	v_add_nc_u32_e32 v38, 0xfffffca0, v35
	v_add_nc_u32_e32 v39, 0xfffffcb0, v35
	v_add_nc_u32_e32 v40, 0xfffffcc0, v35
	v_add_nc_u32_e32 v41, 0xfffffcd0, v35
	v_add_nc_u32_e32 v42, 0xfffffce0, v35
	v_add_nc_u32_e32 v43, 0xfffffcf0, v35
	ds_store_b32 v36, v20
	ds_store_b32 v37, v21
	ds_store_b32 v38, v14
	ds_store_b32 v39, v15
	ds_store_b32 v40, v10
	ds_store_b32 v41, v11
	ds_store_b32 v42, v8
	ds_store_b32 v43, v9
	v_add_nc_u32_e32 v36, 0xfffffd00, v35
	v_add_nc_u32_e32 v37, 0xfffffd10, v35
	v_add_nc_u32_e32 v38, 0xfffffd20, v35
	v_add_nc_u32_e32 v39, 0xfffffd30, v35
	v_add_nc_u32_e32 v40, 0xfffffd40, v35
	v_add_nc_u32_e32 v41, 0xfffffd50, v35
	v_add_nc_u32_e32 v42, 0xfffffd60, v35
	v_add_nc_u32_e32 v43, 0xfffffd70, v35
	;; [unrolled: 16-line block ×3, first 2 shown]
	ds_store_b32 v36, v22
	ds_store_b32 v37, v23
	;; [unrolled: 1-line block ×8, first 2 shown]
.LBB42_113:
	s_or_b32 exec_lo, exec_lo, s0
	v_lshlrev_b32_e32 v34, 2, v34
	s_mov_b32 s1, exec_lo
	v_cmp_eq_u32_e32 vcc_lo, 0, v74
	s_wait_dscnt 0x0
	s_barrier_signal -1
	v_add3_u32 v32, 0x220, v32, v34
	s_barrier_wait -1
	v_cmpx_gt_u32_e32 64, v72
	s_cbranch_execz .LBB42_148
; %bb.114:
	s_and_saveexec_b32 s0, vcc_lo
	s_cbranch_execnz .LBB42_188
; %bb.115:
	s_or_b32 exec_lo, exec_lo, s0
	s_and_saveexec_b32 s0, vcc_lo
	s_cbranch_execnz .LBB42_189
.LBB42_116:
	s_or_b32 exec_lo, exec_lo, s0
	s_and_saveexec_b32 s0, vcc_lo
	s_cbranch_execnz .LBB42_190
.LBB42_117:
	s_or_b32 exec_lo, exec_lo, s0
	s_and_saveexec_b32 s0, vcc_lo
	s_cbranch_execnz .LBB42_191
.LBB42_118:
	s_or_b32 exec_lo, exec_lo, s0
	s_and_saveexec_b32 s0, vcc_lo
	s_cbranch_execnz .LBB42_192
.LBB42_119:
	s_or_b32 exec_lo, exec_lo, s0
	s_and_saveexec_b32 s0, vcc_lo
	s_cbranch_execnz .LBB42_193
.LBB42_120:
	s_or_b32 exec_lo, exec_lo, s0
	s_and_saveexec_b32 s0, vcc_lo
	s_cbranch_execnz .LBB42_194
.LBB42_121:
	s_or_b32 exec_lo, exec_lo, s0
	s_and_saveexec_b32 s0, vcc_lo
	s_cbranch_execnz .LBB42_195
.LBB42_122:
	s_or_b32 exec_lo, exec_lo, s0
	s_and_saveexec_b32 s0, vcc_lo
	s_cbranch_execnz .LBB42_196
.LBB42_123:
	s_or_b32 exec_lo, exec_lo, s0
	s_and_saveexec_b32 s0, vcc_lo
	s_cbranch_execnz .LBB42_197
.LBB42_124:
	s_or_b32 exec_lo, exec_lo, s0
	s_and_saveexec_b32 s0, vcc_lo
	s_cbranch_execnz .LBB42_198
.LBB42_125:
	s_or_b32 exec_lo, exec_lo, s0
	s_and_saveexec_b32 s0, vcc_lo
	s_cbranch_execnz .LBB42_199
.LBB42_126:
	s_or_b32 exec_lo, exec_lo, s0
	s_and_saveexec_b32 s0, vcc_lo
	s_cbranch_execnz .LBB42_200
.LBB42_127:
	s_or_b32 exec_lo, exec_lo, s0
	s_and_saveexec_b32 s0, vcc_lo
	s_cbranch_execnz .LBB42_201
.LBB42_128:
	s_or_b32 exec_lo, exec_lo, s0
	s_and_saveexec_b32 s0, vcc_lo
	s_cbranch_execnz .LBB42_202
.LBB42_129:
	s_or_b32 exec_lo, exec_lo, s0
	s_and_saveexec_b32 s0, vcc_lo
	s_cbranch_execnz .LBB42_203
.LBB42_130:
	s_or_b32 exec_lo, exec_lo, s0
	s_and_saveexec_b32 s0, vcc_lo
	s_cbranch_execnz .LBB42_204
.LBB42_131:
	s_or_b32 exec_lo, exec_lo, s0
	s_and_saveexec_b32 s0, vcc_lo
	s_cbranch_execnz .LBB42_205
.LBB42_132:
	s_or_b32 exec_lo, exec_lo, s0
	s_and_saveexec_b32 s0, vcc_lo
	s_cbranch_execnz .LBB42_206
.LBB42_133:
	s_or_b32 exec_lo, exec_lo, s0
	s_and_saveexec_b32 s0, vcc_lo
	s_cbranch_execnz .LBB42_207
.LBB42_134:
	s_or_b32 exec_lo, exec_lo, s0
	s_and_saveexec_b32 s0, vcc_lo
	s_cbranch_execnz .LBB42_208
.LBB42_135:
	s_or_b32 exec_lo, exec_lo, s0
	s_and_saveexec_b32 s0, vcc_lo
	s_cbranch_execnz .LBB42_209
.LBB42_136:
	s_or_b32 exec_lo, exec_lo, s0
	s_and_saveexec_b32 s0, vcc_lo
	s_cbranch_execnz .LBB42_210
.LBB42_137:
	s_or_b32 exec_lo, exec_lo, s0
	s_and_saveexec_b32 s0, vcc_lo
	s_cbranch_execnz .LBB42_211
.LBB42_138:
	s_or_b32 exec_lo, exec_lo, s0
	s_and_saveexec_b32 s0, vcc_lo
	s_cbranch_execnz .LBB42_212
.LBB42_139:
	s_or_b32 exec_lo, exec_lo, s0
	s_and_saveexec_b32 s0, vcc_lo
	s_cbranch_execnz .LBB42_213
.LBB42_140:
	s_or_b32 exec_lo, exec_lo, s0
	s_and_saveexec_b32 s0, vcc_lo
	s_cbranch_execnz .LBB42_214
.LBB42_141:
	s_or_b32 exec_lo, exec_lo, s0
	s_and_saveexec_b32 s0, vcc_lo
	s_cbranch_execnz .LBB42_215
.LBB42_142:
	s_or_b32 exec_lo, exec_lo, s0
	s_and_saveexec_b32 s0, vcc_lo
	s_cbranch_execnz .LBB42_216
.LBB42_143:
	s_or_b32 exec_lo, exec_lo, s0
	s_and_saveexec_b32 s0, vcc_lo
	s_cbranch_execnz .LBB42_217
.LBB42_144:
	s_or_b32 exec_lo, exec_lo, s0
	s_and_saveexec_b32 s0, vcc_lo
	s_cbranch_execnz .LBB42_218
.LBB42_145:
	s_or_b32 exec_lo, exec_lo, s0
	s_and_saveexec_b32 s0, vcc_lo
	s_cbranch_execz .LBB42_147
.LBB42_146:
	ds_load_b32 v34, v32 offset:496
	s_wait_dscnt 0x0
	v_add_f32_e32 v31, v31, v34
.LBB42_147:
	s_or_b32 exec_lo, exec_lo, s0
.LBB42_148:
	s_delay_alu instid0(SALU_CYCLE_1) | instskip(SKIP_4) | instid1(VALU_DEP_1)
	s_or_b32 exec_lo, exec_lo, s1
	v_and_b32_e32 v34, 0x3e7, v72
	s_mov_b32 s1, exec_lo
	s_barrier_signal -1
	s_barrier_wait -1
	v_cmpx_eq_u32_e32 32, v34
	s_cbranch_execz .LBB42_150
; %bb.149:
	ds_store_2addr_b32 v33, v28, v29 offset1:4
	ds_store_2addr_b32 v33, v24, v25 offset0:8 offset1:12
	ds_store_2addr_b32 v33, v18, v19 offset0:16 offset1:20
	;; [unrolled: 1-line block ×15, first 2 shown]
.LBB42_150:
	s_or_b32 exec_lo, exec_lo, s1
	s_wait_dscnt 0x0
	s_barrier_signal -1
	s_barrier_wait -1
	s_and_saveexec_b32 s0, s2
	s_cbranch_execz .LBB42_185
; %bb.151:
	s_and_saveexec_b32 s1, vcc_lo
	s_cbranch_execnz .LBB42_219
; %bb.152:
	s_or_b32 exec_lo, exec_lo, s1
	s_and_saveexec_b32 s1, vcc_lo
	s_cbranch_execnz .LBB42_220
.LBB42_153:
	s_or_b32 exec_lo, exec_lo, s1
	s_and_saveexec_b32 s1, vcc_lo
	s_cbranch_execnz .LBB42_221
.LBB42_154:
	s_or_b32 exec_lo, exec_lo, s1
	s_and_saveexec_b32 s1, vcc_lo
	s_cbranch_execnz .LBB42_222
.LBB42_155:
	s_or_b32 exec_lo, exec_lo, s1
	s_and_saveexec_b32 s1, vcc_lo
	s_cbranch_execnz .LBB42_223
.LBB42_156:
	s_or_b32 exec_lo, exec_lo, s1
	s_and_saveexec_b32 s1, vcc_lo
	s_cbranch_execnz .LBB42_224
.LBB42_157:
	s_or_b32 exec_lo, exec_lo, s1
	s_and_saveexec_b32 s1, vcc_lo
	s_cbranch_execnz .LBB42_225
.LBB42_158:
	s_or_b32 exec_lo, exec_lo, s1
	s_and_saveexec_b32 s1, vcc_lo
	s_cbranch_execnz .LBB42_226
.LBB42_159:
	s_or_b32 exec_lo, exec_lo, s1
	s_and_saveexec_b32 s1, vcc_lo
	s_cbranch_execnz .LBB42_227
.LBB42_160:
	s_or_b32 exec_lo, exec_lo, s1
	s_and_saveexec_b32 s1, vcc_lo
	s_cbranch_execnz .LBB42_228
.LBB42_161:
	s_or_b32 exec_lo, exec_lo, s1
	s_and_saveexec_b32 s1, vcc_lo
	s_cbranch_execnz .LBB42_229
.LBB42_162:
	s_or_b32 exec_lo, exec_lo, s1
	s_and_saveexec_b32 s1, vcc_lo
	s_cbranch_execnz .LBB42_230
.LBB42_163:
	s_or_b32 exec_lo, exec_lo, s1
	s_and_saveexec_b32 s1, vcc_lo
	s_cbranch_execnz .LBB42_231
.LBB42_164:
	s_or_b32 exec_lo, exec_lo, s1
	s_and_saveexec_b32 s1, vcc_lo
	s_cbranch_execnz .LBB42_232
.LBB42_165:
	s_or_b32 exec_lo, exec_lo, s1
	s_and_saveexec_b32 s1, vcc_lo
	s_cbranch_execnz .LBB42_233
.LBB42_166:
	s_or_b32 exec_lo, exec_lo, s1
	s_and_saveexec_b32 s1, vcc_lo
	s_cbranch_execnz .LBB42_234
.LBB42_167:
	s_or_b32 exec_lo, exec_lo, s1
	s_and_saveexec_b32 s1, vcc_lo
	s_cbranch_execnz .LBB42_235
.LBB42_168:
	s_or_b32 exec_lo, exec_lo, s1
	s_and_saveexec_b32 s1, vcc_lo
	s_cbranch_execnz .LBB42_236
.LBB42_169:
	s_or_b32 exec_lo, exec_lo, s1
	s_and_saveexec_b32 s1, vcc_lo
	s_cbranch_execnz .LBB42_237
.LBB42_170:
	s_or_b32 exec_lo, exec_lo, s1
	s_and_saveexec_b32 s1, vcc_lo
	s_cbranch_execnz .LBB42_238
.LBB42_171:
	s_or_b32 exec_lo, exec_lo, s1
	s_and_saveexec_b32 s1, vcc_lo
	s_cbranch_execnz .LBB42_239
.LBB42_172:
	s_or_b32 exec_lo, exec_lo, s1
	s_and_saveexec_b32 s1, vcc_lo
	s_cbranch_execnz .LBB42_240
.LBB42_173:
	s_or_b32 exec_lo, exec_lo, s1
	s_and_saveexec_b32 s1, vcc_lo
	s_cbranch_execnz .LBB42_241
.LBB42_174:
	s_or_b32 exec_lo, exec_lo, s1
	s_and_saveexec_b32 s1, vcc_lo
	s_cbranch_execnz .LBB42_242
.LBB42_175:
	s_or_b32 exec_lo, exec_lo, s1
	s_and_saveexec_b32 s1, vcc_lo
	s_cbranch_execnz .LBB42_243
.LBB42_176:
	s_or_b32 exec_lo, exec_lo, s1
	s_and_saveexec_b32 s1, vcc_lo
	s_cbranch_execnz .LBB42_244
.LBB42_177:
	s_or_b32 exec_lo, exec_lo, s1
	s_and_saveexec_b32 s1, vcc_lo
	s_cbranch_execnz .LBB42_245
.LBB42_178:
	s_or_b32 exec_lo, exec_lo, s1
	s_and_saveexec_b32 s1, vcc_lo
	s_cbranch_execnz .LBB42_246
.LBB42_179:
	s_or_b32 exec_lo, exec_lo, s1
	s_and_saveexec_b32 s1, vcc_lo
	s_cbranch_execnz .LBB42_247
.LBB42_180:
	s_or_b32 exec_lo, exec_lo, s1
	s_and_saveexec_b32 s1, vcc_lo
	s_cbranch_execnz .LBB42_248
.LBB42_181:
	s_or_b32 exec_lo, exec_lo, s1
	s_and_saveexec_b32 s1, vcc_lo
	s_cbranch_execnz .LBB42_249
.LBB42_182:
	s_or_b32 exec_lo, exec_lo, s1
	s_and_saveexec_b32 s1, vcc_lo
	s_cbranch_execz .LBB42_184
.LBB42_183:
	ds_load_b32 v32, v32 offset:496
	s_wait_dscnt 0x0
	v_add_f32_e32 v31, v31, v32
.LBB42_184:
	s_or_b32 exec_lo, exec_lo, s1
.LBB42_185:
	s_delay_alu instid0(SALU_CYCLE_1)
	s_or_b32 exec_lo, exec_lo, s0
	s_mov_b32 s1, 0
	s_barrier_signal -1
	s_barrier_wait -1
	s_mov_b32 s0, exec_lo
	v_cmpx_eq_u32_e32 0, v34
	s_cbranch_execz .LBB42_187
; %bb.186:
	s_mul_i32 s0, s30, s7
	s_mul_i32 s2, s7, s6
	s_mul_i32 s0, s0, s29
	s_lshr_b32 s6, ttmp7, 16
	s_lshl_b32 s4, s0, 7
	s_bfe_u32 s0, ttmp6, 0x40014
	s_ashr_i32 s5, s4, 31
	s_add_co_i32 s0, s0, 1
	s_ashr_i32 s3, s2, 31
	s_mul_i32 s0, s6, s0
	s_bfe_u32 s7, ttmp6, 0x40008
	s_lshl_b64 s[4:5], s[4:5], 2
	s_lshl_b64 s[2:3], s[2:3], 2
	s_add_co_i32 s7, s7, s0
	s_cmp_eq_u32 s28, 0
	s_wait_kmcnt 0x0
	s_add_nc_u64 s[4:5], s[14:15], s[4:5]
	s_cselect_b32 s0, s6, s7
	v_lshrrev_b32_e32 v32, 1, v72
	s_add_nc_u64 s[2:3], s[4:5], s[2:3]
	s_lshl_b32 s0, s0, 9
	s_delay_alu instid0(SALU_CYCLE_1)
	s_add_nc_u64 s[0:1], s[2:3], s[0:1]
	s_clause 0x1f
	global_store_b32 v32, v28, s[0:1]
	global_store_b32 v32, v29, s[0:1] offset:16
	global_store_b32 v32, v24, s[0:1] offset:32
	;; [unrolled: 1-line block ×31, first 2 shown]
.LBB42_187:
	s_sendmsg sendmsg(MSG_DEALLOC_VGPRS)
	s_endpgm
.LBB42_188:
	ds_load_b32 v34, v32
	s_wait_dscnt 0x0
	v_add_f32_e32 v28, v28, v34
	s_or_b32 exec_lo, exec_lo, s0
	s_and_saveexec_b32 s0, vcc_lo
	s_cbranch_execz .LBB42_116
.LBB42_189:
	ds_load_b32 v34, v32 offset:16
	s_wait_dscnt 0x0
	v_add_f32_e32 v29, v29, v34
	s_or_b32 exec_lo, exec_lo, s0
	s_and_saveexec_b32 s0, vcc_lo
	s_cbranch_execz .LBB42_117
.LBB42_190:
	ds_load_b32 v34, v32 offset:32
	s_wait_dscnt 0x0
	v_add_f32_e32 v24, v24, v34
	s_or_b32 exec_lo, exec_lo, s0
	s_and_saveexec_b32 s0, vcc_lo
	s_cbranch_execz .LBB42_118
.LBB42_191:
	ds_load_b32 v34, v32 offset:48
	s_wait_dscnt 0x0
	v_add_f32_e32 v25, v25, v34
	s_or_b32 exec_lo, exec_lo, s0
	s_and_saveexec_b32 s0, vcc_lo
	s_cbranch_execz .LBB42_119
.LBB42_192:
	ds_load_b32 v34, v32 offset:64
	s_wait_dscnt 0x0
	v_add_f32_e32 v18, v18, v34
	s_or_b32 exec_lo, exec_lo, s0
	s_and_saveexec_b32 s0, vcc_lo
	s_cbranch_execz .LBB42_120
.LBB42_193:
	ds_load_b32 v34, v32 offset:80
	s_wait_dscnt 0x0
	v_add_f32_e32 v19, v19, v34
	s_or_b32 exec_lo, exec_lo, s0
	s_and_saveexec_b32 s0, vcc_lo
	s_cbranch_execz .LBB42_121
.LBB42_194:
	ds_load_b32 v34, v32 offset:96
	s_wait_dscnt 0x0
	v_add_f32_e32 v26, v26, v34
	s_or_b32 exec_lo, exec_lo, s0
	s_and_saveexec_b32 s0, vcc_lo
	s_cbranch_execz .LBB42_122
.LBB42_195:
	ds_load_b32 v34, v32 offset:112
	s_wait_dscnt 0x0
	v_add_f32_e32 v27, v27, v34
	s_or_b32 exec_lo, exec_lo, s0
	s_and_saveexec_b32 s0, vcc_lo
	s_cbranch_execz .LBB42_123
.LBB42_196:
	ds_load_b32 v34, v32 offset:128
	s_wait_dscnt 0x0
	v_add_f32_e32 v20, v20, v34
	s_or_b32 exec_lo, exec_lo, s0
	s_and_saveexec_b32 s0, vcc_lo
	s_cbranch_execz .LBB42_124
.LBB42_197:
	ds_load_b32 v34, v32 offset:144
	s_wait_dscnt 0x0
	v_add_f32_e32 v21, v21, v34
	s_or_b32 exec_lo, exec_lo, s0
	s_and_saveexec_b32 s0, vcc_lo
	s_cbranch_execz .LBB42_125
.LBB42_198:
	ds_load_b32 v34, v32 offset:160
	s_wait_dscnt 0x0
	v_add_f32_e32 v14, v14, v34
	s_or_b32 exec_lo, exec_lo, s0
	s_and_saveexec_b32 s0, vcc_lo
	s_cbranch_execz .LBB42_126
.LBB42_199:
	ds_load_b32 v34, v32 offset:176
	s_wait_dscnt 0x0
	v_add_f32_e32 v15, v15, v34
	s_or_b32 exec_lo, exec_lo, s0
	s_and_saveexec_b32 s0, vcc_lo
	s_cbranch_execz .LBB42_127
.LBB42_200:
	ds_load_b32 v34, v32 offset:192
	s_wait_dscnt 0x0
	v_add_f32_e32 v10, v10, v34
	s_or_b32 exec_lo, exec_lo, s0
	s_and_saveexec_b32 s0, vcc_lo
	s_cbranch_execz .LBB42_128
.LBB42_201:
	ds_load_b32 v34, v32 offset:208
	s_wait_dscnt 0x0
	v_add_f32_e32 v11, v11, v34
	s_or_b32 exec_lo, exec_lo, s0
	s_and_saveexec_b32 s0, vcc_lo
	s_cbranch_execz .LBB42_129
.LBB42_202:
	ds_load_b32 v34, v32 offset:224
	s_wait_dscnt 0x0
	v_add_f32_e32 v8, v8, v34
	s_or_b32 exec_lo, exec_lo, s0
	s_and_saveexec_b32 s0, vcc_lo
	s_cbranch_execz .LBB42_130
.LBB42_203:
	ds_load_b32 v34, v32 offset:240
	s_wait_dscnt 0x0
	v_add_f32_e32 v9, v9, v34
	s_or_b32 exec_lo, exec_lo, s0
	s_and_saveexec_b32 s0, vcc_lo
	s_cbranch_execz .LBB42_131
.LBB42_204:
	ds_load_b32 v34, v32 offset:256
	s_wait_dscnt 0x0
	v_add_f32_e32 v6, v6, v34
	s_or_b32 exec_lo, exec_lo, s0
	s_and_saveexec_b32 s0, vcc_lo
	s_cbranch_execz .LBB42_132
.LBB42_205:
	ds_load_b32 v34, v32 offset:272
	s_wait_dscnt 0x0
	v_add_f32_e32 v7, v7, v34
	s_or_b32 exec_lo, exec_lo, s0
	s_and_saveexec_b32 s0, vcc_lo
	s_cbranch_execz .LBB42_133
.LBB42_206:
	ds_load_b32 v34, v32 offset:288
	s_wait_dscnt 0x0
	v_add_f32_e32 v4, v4, v34
	s_or_b32 exec_lo, exec_lo, s0
	s_and_saveexec_b32 s0, vcc_lo
	s_cbranch_execz .LBB42_134
.LBB42_207:
	ds_load_b32 v34, v32 offset:304
	s_wait_dscnt 0x0
	v_add_f32_e32 v5, v5, v34
	s_or_b32 exec_lo, exec_lo, s0
	s_and_saveexec_b32 s0, vcc_lo
	s_cbranch_execz .LBB42_135
.LBB42_208:
	ds_load_b32 v34, v32 offset:320
	s_wait_dscnt 0x0
	v_add_f32_e32 v2, v2, v34
	s_or_b32 exec_lo, exec_lo, s0
	s_and_saveexec_b32 s0, vcc_lo
	s_cbranch_execz .LBB42_136
.LBB42_209:
	ds_load_b32 v34, v32 offset:336
	s_wait_dscnt 0x0
	v_add_f32_e32 v3, v3, v34
	s_or_b32 exec_lo, exec_lo, s0
	s_and_saveexec_b32 s0, vcc_lo
	s_cbranch_execz .LBB42_137
.LBB42_210:
	ds_load_b32 v34, v32 offset:352
	s_wait_dscnt 0x0
	v_add_f32_e32 v0, v0, v34
	s_or_b32 exec_lo, exec_lo, s0
	s_and_saveexec_b32 s0, vcc_lo
	s_cbranch_execz .LBB42_138
.LBB42_211:
	ds_load_b32 v34, v32 offset:368
	s_wait_dscnt 0x0
	v_add_f32_e32 v1, v1, v34
	s_or_b32 exec_lo, exec_lo, s0
	s_and_saveexec_b32 s0, vcc_lo
	s_cbranch_execz .LBB42_139
.LBB42_212:
	ds_load_b32 v34, v32 offset:384
	s_wait_dscnt 0x0
	v_add_f32_e32 v22, v22, v34
	s_or_b32 exec_lo, exec_lo, s0
	s_and_saveexec_b32 s0, vcc_lo
	s_cbranch_execz .LBB42_140
.LBB42_213:
	ds_load_b32 v34, v32 offset:400
	s_wait_dscnt 0x0
	v_add_f32_e32 v23, v23, v34
	s_or_b32 exec_lo, exec_lo, s0
	s_and_saveexec_b32 s0, vcc_lo
	s_cbranch_execz .LBB42_141
.LBB42_214:
	ds_load_b32 v34, v32 offset:416
	s_wait_dscnt 0x0
	v_add_f32_e32 v16, v16, v34
	s_or_b32 exec_lo, exec_lo, s0
	s_and_saveexec_b32 s0, vcc_lo
	s_cbranch_execz .LBB42_142
.LBB42_215:
	ds_load_b32 v34, v32 offset:432
	s_wait_dscnt 0x0
	v_add_f32_e32 v17, v17, v34
	s_or_b32 exec_lo, exec_lo, s0
	s_and_saveexec_b32 s0, vcc_lo
	s_cbranch_execz .LBB42_143
.LBB42_216:
	ds_load_b32 v34, v32 offset:448
	s_wait_dscnt 0x0
	v_add_f32_e32 v12, v12, v34
	s_or_b32 exec_lo, exec_lo, s0
	s_and_saveexec_b32 s0, vcc_lo
	s_cbranch_execz .LBB42_144
.LBB42_217:
	ds_load_b32 v34, v32 offset:464
	s_wait_dscnt 0x0
	v_add_f32_e32 v13, v13, v34
	s_or_b32 exec_lo, exec_lo, s0
	s_and_saveexec_b32 s0, vcc_lo
	s_cbranch_execz .LBB42_145
.LBB42_218:
	ds_load_b32 v34, v32 offset:480
	s_wait_dscnt 0x0
	v_add_f32_e32 v30, v30, v34
	s_or_b32 exec_lo, exec_lo, s0
	s_and_saveexec_b32 s0, vcc_lo
	s_cbranch_execnz .LBB42_146
	s_branch .LBB42_147
.LBB42_219:
	ds_load_b32 v33, v32
	s_wait_dscnt 0x0
	v_add_f32_e32 v28, v28, v33
	s_or_b32 exec_lo, exec_lo, s1
	s_and_saveexec_b32 s1, vcc_lo
	s_cbranch_execz .LBB42_153
.LBB42_220:
	ds_load_b32 v33, v32 offset:16
	s_wait_dscnt 0x0
	v_add_f32_e32 v29, v29, v33
	s_or_b32 exec_lo, exec_lo, s1
	s_and_saveexec_b32 s1, vcc_lo
	s_cbranch_execz .LBB42_154
.LBB42_221:
	ds_load_b32 v33, v32 offset:32
	s_wait_dscnt 0x0
	v_add_f32_e32 v24, v24, v33
	s_or_b32 exec_lo, exec_lo, s1
	s_and_saveexec_b32 s1, vcc_lo
	s_cbranch_execz .LBB42_155
.LBB42_222:
	ds_load_b32 v33, v32 offset:48
	s_wait_dscnt 0x0
	v_add_f32_e32 v25, v25, v33
	s_or_b32 exec_lo, exec_lo, s1
	s_and_saveexec_b32 s1, vcc_lo
	s_cbranch_execz .LBB42_156
.LBB42_223:
	ds_load_b32 v33, v32 offset:64
	s_wait_dscnt 0x0
	v_add_f32_e32 v18, v18, v33
	s_or_b32 exec_lo, exec_lo, s1
	s_and_saveexec_b32 s1, vcc_lo
	s_cbranch_execz .LBB42_157
.LBB42_224:
	ds_load_b32 v33, v32 offset:80
	s_wait_dscnt 0x0
	v_add_f32_e32 v19, v19, v33
	s_or_b32 exec_lo, exec_lo, s1
	s_and_saveexec_b32 s1, vcc_lo
	s_cbranch_execz .LBB42_158
.LBB42_225:
	ds_load_b32 v33, v32 offset:96
	s_wait_dscnt 0x0
	v_add_f32_e32 v26, v26, v33
	s_or_b32 exec_lo, exec_lo, s1
	s_and_saveexec_b32 s1, vcc_lo
	s_cbranch_execz .LBB42_159
.LBB42_226:
	ds_load_b32 v33, v32 offset:112
	s_wait_dscnt 0x0
	v_add_f32_e32 v27, v27, v33
	s_or_b32 exec_lo, exec_lo, s1
	s_and_saveexec_b32 s1, vcc_lo
	s_cbranch_execz .LBB42_160
.LBB42_227:
	ds_load_b32 v33, v32 offset:128
	s_wait_dscnt 0x0
	v_add_f32_e32 v20, v20, v33
	s_or_b32 exec_lo, exec_lo, s1
	s_and_saveexec_b32 s1, vcc_lo
	s_cbranch_execz .LBB42_161
.LBB42_228:
	ds_load_b32 v33, v32 offset:144
	s_wait_dscnt 0x0
	v_add_f32_e32 v21, v21, v33
	s_or_b32 exec_lo, exec_lo, s1
	s_and_saveexec_b32 s1, vcc_lo
	s_cbranch_execz .LBB42_162
.LBB42_229:
	ds_load_b32 v33, v32 offset:160
	s_wait_dscnt 0x0
	v_add_f32_e32 v14, v14, v33
	s_or_b32 exec_lo, exec_lo, s1
	s_and_saveexec_b32 s1, vcc_lo
	s_cbranch_execz .LBB42_163
.LBB42_230:
	ds_load_b32 v33, v32 offset:176
	s_wait_dscnt 0x0
	v_add_f32_e32 v15, v15, v33
	s_or_b32 exec_lo, exec_lo, s1
	s_and_saveexec_b32 s1, vcc_lo
	s_cbranch_execz .LBB42_164
.LBB42_231:
	ds_load_b32 v33, v32 offset:192
	s_wait_dscnt 0x0
	v_add_f32_e32 v10, v10, v33
	s_or_b32 exec_lo, exec_lo, s1
	s_and_saveexec_b32 s1, vcc_lo
	s_cbranch_execz .LBB42_165
.LBB42_232:
	ds_load_b32 v33, v32 offset:208
	s_wait_dscnt 0x0
	v_add_f32_e32 v11, v11, v33
	s_or_b32 exec_lo, exec_lo, s1
	s_and_saveexec_b32 s1, vcc_lo
	s_cbranch_execz .LBB42_166
.LBB42_233:
	ds_load_b32 v33, v32 offset:224
	s_wait_dscnt 0x0
	v_add_f32_e32 v8, v8, v33
	s_or_b32 exec_lo, exec_lo, s1
	s_and_saveexec_b32 s1, vcc_lo
	s_cbranch_execz .LBB42_167
.LBB42_234:
	ds_load_b32 v33, v32 offset:240
	s_wait_dscnt 0x0
	v_add_f32_e32 v9, v9, v33
	s_or_b32 exec_lo, exec_lo, s1
	s_and_saveexec_b32 s1, vcc_lo
	s_cbranch_execz .LBB42_168
.LBB42_235:
	ds_load_b32 v33, v32 offset:256
	s_wait_dscnt 0x0
	v_add_f32_e32 v6, v6, v33
	s_or_b32 exec_lo, exec_lo, s1
	s_and_saveexec_b32 s1, vcc_lo
	s_cbranch_execz .LBB42_169
.LBB42_236:
	ds_load_b32 v33, v32 offset:272
	s_wait_dscnt 0x0
	v_add_f32_e32 v7, v7, v33
	s_or_b32 exec_lo, exec_lo, s1
	s_and_saveexec_b32 s1, vcc_lo
	s_cbranch_execz .LBB42_170
.LBB42_237:
	ds_load_b32 v33, v32 offset:288
	s_wait_dscnt 0x0
	v_add_f32_e32 v4, v4, v33
	s_or_b32 exec_lo, exec_lo, s1
	s_and_saveexec_b32 s1, vcc_lo
	s_cbranch_execz .LBB42_171
.LBB42_238:
	ds_load_b32 v33, v32 offset:304
	s_wait_dscnt 0x0
	v_add_f32_e32 v5, v5, v33
	s_or_b32 exec_lo, exec_lo, s1
	s_and_saveexec_b32 s1, vcc_lo
	s_cbranch_execz .LBB42_172
.LBB42_239:
	ds_load_b32 v33, v32 offset:320
	s_wait_dscnt 0x0
	v_add_f32_e32 v2, v2, v33
	s_or_b32 exec_lo, exec_lo, s1
	s_and_saveexec_b32 s1, vcc_lo
	s_cbranch_execz .LBB42_173
.LBB42_240:
	ds_load_b32 v33, v32 offset:336
	s_wait_dscnt 0x0
	v_add_f32_e32 v3, v3, v33
	s_or_b32 exec_lo, exec_lo, s1
	s_and_saveexec_b32 s1, vcc_lo
	s_cbranch_execz .LBB42_174
.LBB42_241:
	ds_load_b32 v33, v32 offset:352
	s_wait_dscnt 0x0
	v_add_f32_e32 v0, v0, v33
	s_or_b32 exec_lo, exec_lo, s1
	s_and_saveexec_b32 s1, vcc_lo
	s_cbranch_execz .LBB42_175
.LBB42_242:
	ds_load_b32 v33, v32 offset:368
	s_wait_dscnt 0x0
	v_add_f32_e32 v1, v1, v33
	s_or_b32 exec_lo, exec_lo, s1
	s_and_saveexec_b32 s1, vcc_lo
	s_cbranch_execz .LBB42_176
.LBB42_243:
	ds_load_b32 v33, v32 offset:384
	s_wait_dscnt 0x0
	v_add_f32_e32 v22, v22, v33
	s_or_b32 exec_lo, exec_lo, s1
	s_and_saveexec_b32 s1, vcc_lo
	s_cbranch_execz .LBB42_177
.LBB42_244:
	ds_load_b32 v33, v32 offset:400
	s_wait_dscnt 0x0
	v_add_f32_e32 v23, v23, v33
	s_or_b32 exec_lo, exec_lo, s1
	s_and_saveexec_b32 s1, vcc_lo
	s_cbranch_execz .LBB42_178
.LBB42_245:
	ds_load_b32 v33, v32 offset:416
	s_wait_dscnt 0x0
	v_add_f32_e32 v16, v16, v33
	s_or_b32 exec_lo, exec_lo, s1
	s_and_saveexec_b32 s1, vcc_lo
	s_cbranch_execz .LBB42_179
.LBB42_246:
	ds_load_b32 v33, v32 offset:432
	s_wait_dscnt 0x0
	v_add_f32_e32 v17, v17, v33
	s_or_b32 exec_lo, exec_lo, s1
	s_and_saveexec_b32 s1, vcc_lo
	s_cbranch_execz .LBB42_180
.LBB42_247:
	ds_load_b32 v33, v32 offset:448
	s_wait_dscnt 0x0
	v_add_f32_e32 v12, v12, v33
	s_or_b32 exec_lo, exec_lo, s1
	s_and_saveexec_b32 s1, vcc_lo
	s_cbranch_execz .LBB42_181
.LBB42_248:
	ds_load_b32 v33, v32 offset:464
	s_wait_dscnt 0x0
	v_add_f32_e32 v13, v13, v33
	s_or_b32 exec_lo, exec_lo, s1
	s_and_saveexec_b32 s1, vcc_lo
	s_cbranch_execz .LBB42_182
.LBB42_249:
	ds_load_b32 v33, v32 offset:480
	s_wait_dscnt 0x0
	v_add_f32_e32 v30, v30, v33
	s_or_b32 exec_lo, exec_lo, s1
	s_and_saveexec_b32 s1, vcc_lo
	s_cbranch_execnz .LBB42_183
	s_branch .LBB42_184
	.section	.rodata,"a",@progbits
	.p2align	6, 0x0
	.amdhsa_kernel _ZN4vllm25paged_attention_v1_kernelIffLi128ELi32ELi128ELNS_18Fp8KVCacheDataTypeE0ELb1EEEvPT_PKS2_PKT0_S8_ifPKiSA_iPKfiiiSC_SC_iiiii
		.amdhsa_group_segment_fixed_size 544
		.amdhsa_private_segment_fixed_size 268
		.amdhsa_kernarg_size 384
		.amdhsa_user_sgpr_count 2
		.amdhsa_user_sgpr_dispatch_ptr 0
		.amdhsa_user_sgpr_queue_ptr 0
		.amdhsa_user_sgpr_kernarg_segment_ptr 1
		.amdhsa_user_sgpr_dispatch_id 0
		.amdhsa_user_sgpr_kernarg_preload_length 0
		.amdhsa_user_sgpr_kernarg_preload_offset 0
		.amdhsa_user_sgpr_private_segment_size 0
		.amdhsa_wavefront_size32 1
		.amdhsa_uses_dynamic_stack 0
		.amdhsa_enable_private_segment 1
		.amdhsa_system_sgpr_workgroup_id_x 1
		.amdhsa_system_sgpr_workgroup_id_y 1
		.amdhsa_system_sgpr_workgroup_id_z 1
		.amdhsa_system_sgpr_workgroup_info 0
		.amdhsa_system_vgpr_workitem_id 0
		.amdhsa_next_free_vgpr 128
		.amdhsa_next_free_sgpr 38
		.amdhsa_named_barrier_count 0
		.amdhsa_reserve_vcc 1
		.amdhsa_float_round_mode_32 0
		.amdhsa_float_round_mode_16_64 0
		.amdhsa_float_denorm_mode_32 3
		.amdhsa_float_denorm_mode_16_64 3
		.amdhsa_fp16_overflow 0
		.amdhsa_memory_ordered 1
		.amdhsa_forward_progress 1
		.amdhsa_inst_pref_size 133
		.amdhsa_round_robin_scheduling 0
		.amdhsa_exception_fp_ieee_invalid_op 0
		.amdhsa_exception_fp_denorm_src 0
		.amdhsa_exception_fp_ieee_div_zero 0
		.amdhsa_exception_fp_ieee_overflow 0
		.amdhsa_exception_fp_ieee_underflow 0
		.amdhsa_exception_fp_ieee_inexact 0
		.amdhsa_exception_int_div_zero 0
	.end_amdhsa_kernel
	.section	.text._ZN4vllm25paged_attention_v1_kernelIffLi128ELi32ELi128ELNS_18Fp8KVCacheDataTypeE0ELb1EEEvPT_PKS2_PKT0_S8_ifPKiSA_iPKfiiiSC_SC_iiiii,"axG",@progbits,_ZN4vllm25paged_attention_v1_kernelIffLi128ELi32ELi128ELNS_18Fp8KVCacheDataTypeE0ELb1EEEvPT_PKS2_PKT0_S8_ifPKiSA_iPKfiiiSC_SC_iiiii,comdat
.Lfunc_end42:
	.size	_ZN4vllm25paged_attention_v1_kernelIffLi128ELi32ELi128ELNS_18Fp8KVCacheDataTypeE0ELb1EEEvPT_PKS2_PKT0_S8_ifPKiSA_iPKfiiiSC_SC_iiiii, .Lfunc_end42-_ZN4vllm25paged_attention_v1_kernelIffLi128ELi32ELi128ELNS_18Fp8KVCacheDataTypeE0ELb1EEEvPT_PKS2_PKT0_S8_ifPKiSA_iPKfiiiSC_SC_iiiii
                                        ; -- End function
	.set _ZN4vllm25paged_attention_v1_kernelIffLi128ELi32ELi128ELNS_18Fp8KVCacheDataTypeE0ELb1EEEvPT_PKS2_PKT0_S8_ifPKiSA_iPKfiiiSC_SC_iiiii.num_vgpr, 128
	.set _ZN4vllm25paged_attention_v1_kernelIffLi128ELi32ELi128ELNS_18Fp8KVCacheDataTypeE0ELb1EEEvPT_PKS2_PKT0_S8_ifPKiSA_iPKfiiiSC_SC_iiiii.num_agpr, 0
	.set _ZN4vllm25paged_attention_v1_kernelIffLi128ELi32ELi128ELNS_18Fp8KVCacheDataTypeE0ELb1EEEvPT_PKS2_PKT0_S8_ifPKiSA_iPKfiiiSC_SC_iiiii.numbered_sgpr, 38
	.set _ZN4vllm25paged_attention_v1_kernelIffLi128ELi32ELi128ELNS_18Fp8KVCacheDataTypeE0ELb1EEEvPT_PKS2_PKT0_S8_ifPKiSA_iPKfiiiSC_SC_iiiii.num_named_barrier, 0
	.set _ZN4vllm25paged_attention_v1_kernelIffLi128ELi32ELi128ELNS_18Fp8KVCacheDataTypeE0ELb1EEEvPT_PKS2_PKT0_S8_ifPKiSA_iPKfiiiSC_SC_iiiii.private_seg_size, 268
	.set _ZN4vllm25paged_attention_v1_kernelIffLi128ELi32ELi128ELNS_18Fp8KVCacheDataTypeE0ELb1EEEvPT_PKS2_PKT0_S8_ifPKiSA_iPKfiiiSC_SC_iiiii.uses_vcc, 1
	.set _ZN4vllm25paged_attention_v1_kernelIffLi128ELi32ELi128ELNS_18Fp8KVCacheDataTypeE0ELb1EEEvPT_PKS2_PKT0_S8_ifPKiSA_iPKfiiiSC_SC_iiiii.uses_flat_scratch, 1
	.set _ZN4vllm25paged_attention_v1_kernelIffLi128ELi32ELi128ELNS_18Fp8KVCacheDataTypeE0ELb1EEEvPT_PKS2_PKT0_S8_ifPKiSA_iPKfiiiSC_SC_iiiii.has_dyn_sized_stack, 0
	.set _ZN4vllm25paged_attention_v1_kernelIffLi128ELi32ELi128ELNS_18Fp8KVCacheDataTypeE0ELb1EEEvPT_PKS2_PKT0_S8_ifPKiSA_iPKfiiiSC_SC_iiiii.has_recursion, 0
	.set _ZN4vllm25paged_attention_v1_kernelIffLi128ELi32ELi128ELNS_18Fp8KVCacheDataTypeE0ELb1EEEvPT_PKS2_PKT0_S8_ifPKiSA_iPKfiiiSC_SC_iiiii.has_indirect_call, 0
	.section	.AMDGPU.csdata,"",@progbits
; Kernel info:
; codeLenInByte = 16964
; TotalNumSgprs: 40
; NumVgprs: 128
; ScratchSize: 268
; MemoryBound: 0
; FloatMode: 240
; IeeeMode: 1
; LDSByteSize: 544 bytes/workgroup (compile time only)
; SGPRBlocks: 0
; VGPRBlocks: 7
; NumSGPRsForWavesPerEU: 40
; NumVGPRsForWavesPerEU: 128
; NamedBarCnt: 0
; Occupancy: 8
; WaveLimiterHint : 1
; COMPUTE_PGM_RSRC2:SCRATCH_EN: 1
; COMPUTE_PGM_RSRC2:USER_SGPR: 2
; COMPUTE_PGM_RSRC2:TRAP_HANDLER: 0
; COMPUTE_PGM_RSRC2:TGID_X_EN: 1
; COMPUTE_PGM_RSRC2:TGID_Y_EN: 1
; COMPUTE_PGM_RSRC2:TGID_Z_EN: 1
; COMPUTE_PGM_RSRC2:TIDIG_COMP_CNT: 0
	.section	.text._ZN4vllm25paged_attention_v1_kernelIffLi192ELi32ELi128ELNS_18Fp8KVCacheDataTypeE0ELb1EEEvPT_PKS2_PKT0_S8_ifPKiSA_iPKfiiiSC_SC_iiiii,"axG",@progbits,_ZN4vllm25paged_attention_v1_kernelIffLi192ELi32ELi128ELNS_18Fp8KVCacheDataTypeE0ELb1EEEvPT_PKS2_PKT0_S8_ifPKiSA_iPKfiiiSC_SC_iiiii,comdat
	.protected	_ZN4vllm25paged_attention_v1_kernelIffLi192ELi32ELi128ELNS_18Fp8KVCacheDataTypeE0ELb1EEEvPT_PKS2_PKT0_S8_ifPKiSA_iPKfiiiSC_SC_iiiii ; -- Begin function _ZN4vllm25paged_attention_v1_kernelIffLi192ELi32ELi128ELNS_18Fp8KVCacheDataTypeE0ELb1EEEvPT_PKS2_PKT0_S8_ifPKiSA_iPKfiiiSC_SC_iiiii
	.globl	_ZN4vllm25paged_attention_v1_kernelIffLi192ELi32ELi128ELNS_18Fp8KVCacheDataTypeE0ELb1EEEvPT_PKS2_PKT0_S8_ifPKiSA_iPKfiiiSC_SC_iiiii
	.p2align	8
	.type	_ZN4vllm25paged_attention_v1_kernelIffLi192ELi32ELi128ELNS_18Fp8KVCacheDataTypeE0ELb1EEEvPT_PKS2_PKT0_S8_ifPKiSA_iPKfiiiSC_SC_iiiii,@function
_ZN4vllm25paged_attention_v1_kernelIffLi192ELi32ELi128ELNS_18Fp8KVCacheDataTypeE0ELb1EEEvPT_PKS2_PKT0_S8_ifPKiSA_iPKfiiiSC_SC_iiiii: ; @_ZN4vllm25paged_attention_v1_kernelIffLi192ELi32ELi128ELNS_18Fp8KVCacheDataTypeE0ELb1EEEvPT_PKS2_PKT0_S8_ifPKiSA_iPKfiiiSC_SC_iiiii
; %bb.0:
	s_load_b64 s[22:23], s[0:1], 0x20
	s_bfe_u32 s3, ttmp6, 0x4000c
	s_bfe_u32 s4, ttmp6, 0x40010
	s_and_b32 s6, ttmp7, 0xffff
	s_add_co_i32 s3, s3, 1
	s_add_co_i32 s4, s4, 1
	s_and_b32 s2, ttmp6, 15
	s_bfe_u32 s5, ttmp6, 0x40004
	s_mul_i32 s3, ttmp9, s3
	s_mul_i32 s4, s6, s4
	s_getreg_b32 s26, hwreg(HW_REG_IB_STS2, 6, 4)
	s_add_co_i32 s2, s2, s3
	s_add_co_i32 s3, s5, s4
	s_cmp_eq_u32 s26, 0
	scratch_store_b32 off, v0, off offset:564 ; 4-byte Folded Spill
	s_cselect_b32 s28, s6, s3
	s_cselect_b32 s2, ttmp9, s2
	s_clause 0x1
	s_load_b32 s27, s[0:1], 0x80
	s_load_b64 s[4:5], s[0:1], 0x30
	s_mov_b32 s15, 0
	s_delay_alu instid0(SALU_CYCLE_1) | instskip(SKIP_2) | instid1(SALU_CYCLE_1)
	s_mov_b32 s34, s15
	s_wait_kmcnt 0x0
	s_abs_i32 s3, s22
	s_cvt_f32_u32 s6, s3
	s_sub_co_i32 s7, 0, s3
	s_delay_alu instid0(SALU_CYCLE_2) | instskip(SKIP_1) | instid1(TRANS32_DEP_1)
	v_rcp_iflag_f32_e32 v0, s6
	v_nop
	v_readfirstlane_b32 s6, v0
	s_abs_i32 s8, s27
	s_mul_f32 s6, s6, 0x4f7ffffe
	s_delay_alu instid0(SALU_CYCLE_3) | instskip(NEXT) | instid1(SALU_CYCLE_3)
	s_cvt_u32_f32 s6, s6
	s_mul_i32 s7, s7, s6
	s_delay_alu instid0(SALU_CYCLE_1) | instskip(NEXT) | instid1(SALU_CYCLE_1)
	s_mul_hi_u32 s7, s6, s7
	s_add_co_i32 s6, s6, s7
	s_xor_b32 s7, s27, s22
	s_mul_hi_u32 s6, s8, s6
	s_ashr_i32 s7, s7, 31
	s_mul_i32 s9, s6, s3
	s_delay_alu instid0(SALU_CYCLE_1)
	s_sub_co_i32 s8, s8, s9
	s_add_co_i32 s9, s6, 1
	s_sub_co_i32 s10, s8, s3
	s_cmp_ge_u32 s8, s3
	s_cselect_b32 s6, s9, s6
	s_cselect_b32 s8, s10, s8
	s_add_co_i32 s9, s6, 1
	s_cmp_ge_u32 s8, s3
	s_cselect_b32 s3, s9, s6
	s_load_b64 s[8:9], s[0:1], 0x40
	s_xor_b32 s3, s3, s7
	s_abs_i32 s14, s2
	s_sub_co_i32 s12, s3, s7
	s_mov_b32 s7, s15
	s_abs_i32 s11, s12
	s_delay_alu instid0(SALU_CYCLE_1) | instskip(SKIP_1) | instid1(SALU_CYCLE_2)
	s_cvt_f32_u32 s3, s11
	s_sub_co_i32 s6, 0, s11
	v_rcp_iflag_f32_e32 v0, s3
	v_nop
	s_delay_alu instid0(TRANS32_DEP_1) | instskip(SKIP_1) | instid1(SALU_CYCLE_3)
	v_readfirstlane_b32 s3, v0
	s_mul_f32 s3, s3, 0x4f7ffffe
	s_cvt_u32_f32 s3, s3
	s_delay_alu instid0(SALU_CYCLE_3) | instskip(NEXT) | instid1(SALU_CYCLE_1)
	s_mul_i32 s6, s6, s3
	s_mul_hi_u32 s6, s3, s6
	s_delay_alu instid0(SALU_CYCLE_1)
	s_add_co_i32 s6, s3, s6
	s_wait_kmcnt 0x0
	s_cmp_eq_u64 s[8:9], 0
	s_cbranch_scc1 .LBB43_2
; %bb.1:
	s_ashr_i32 s3, s2, 31
	s_delay_alu instid0(SALU_CYCLE_1) | instskip(NEXT) | instid1(SALU_CYCLE_1)
	s_lshl_b64 s[16:17], s[2:3], 2
	s_add_nc_u64 s[8:9], s[8:9], s[16:17]
	s_load_b32 s34, s[8:9], 0x0
.LBB43_2:
	s_load_b32 s29, s[4:5], s28 offset:0x0 scale_offset
	s_wait_xcnt 0x0
	s_load_b96 s[8:10], s[0:1], 0x48
	scratch_load_b32 v0, off, off offset:564 ; 4-byte Folded Reload
	s_ashr_i32 s3, s2, 31
	s_ashr_i32 s18, s12, 31
	s_mul_u64 s[16:17], s[14:15], s[6:7]
	s_mul_i32 s12, s2, 0xc0
	s_mov_b32 s4, exec_lo
	s_wait_loadcnt 0x0
	v_cmpx_gt_u32_e32 48, v0
	s_cbranch_execz .LBB43_4
; %bb.3:
	scratch_load_b32 v4, off, off offset:564 ; 4-byte Folded Reload
	s_load_b64 s[6:7], s[0:1], 0x8
	s_wait_kmcnt 0x0
	s_mul_i32 s20, s8, s28
	s_ashr_i32 s13, s12, 31
	s_ashr_i32 s21, s20, 31
	s_delay_alu instid0(SALU_CYCLE_1) | instskip(NEXT) | instid1(SALU_CYCLE_1)
	s_lshl_b64 s[20:21], s[20:21], 2
	s_add_nc_u64 s[6:7], s[6:7], s[20:21]
	s_lshl_b64 s[20:21], s[12:13], 2
	s_delay_alu instid0(SALU_CYCLE_1)
	s_add_nc_u64 s[6:7], s[6:7], s[20:21]
	s_wait_loadcnt 0x0
	global_load_b128 v[0:3], v4, s[6:7] scale_offset
	s_wait_xcnt 0x0
	v_lshlrev_b32_e32 v4, 4, v4
	s_wait_loadcnt 0x0
	ds_store_b128 v4, v[0:3]
.LBB43_4:
	s_or_b32 exec_lo, exec_lo, s4
	s_load_b128 s[4:7], s[0:1], 0x68
	s_wait_kmcnt 0x0
	s_mul_i32 s8, s17, s11
	s_xor_b32 s3, s3, s18
	s_sub_co_i32 s8, s14, s8
	s_add_co_i32 s13, s17, 1
	s_sub_co_i32 s14, s8, s11
	s_cmp_ge_u32 s8, s11
	s_mov_b32 s18, -1
	s_cselect_b32 s13, s13, s17
	s_cselect_b32 s8, s14, s8
	s_add_co_i32 s14, s13, 1
	s_cmp_ge_u32 s8, s11
	s_load_b32 s8, s[0:1], 0x78
	s_cselect_b32 s11, s14, s13
	s_mov_b32 s17, 0
	s_xor_b32 s11, s11, s3
	s_wait_storecnt_dscnt 0x0
	s_sub_co_i32 s3, s11, s3
	s_barrier_signal -1
	s_barrier_wait -1
	s_abs_i32 s13, s7
	s_delay_alu instid0(SALU_CYCLE_1) | instskip(SKIP_1) | instid1(SALU_CYCLE_2)
	s_cvt_f32_u32 s14, s13
	s_sub_co_i32 s15, 0, s13
                                        ; implicit-def: $sgpr30
	v_rcp_iflag_f32_e32 v0, s14
	v_nop
	s_delay_alu instid0(TRANS32_DEP_1) | instskip(SKIP_1) | instid1(SALU_CYCLE_3)
	v_readfirstlane_b32 s14, v0
	s_mul_f32 s11, s14, 0x4f7ffffe
	s_cvt_u32_f32 s14, s11
	s_add_co_i32 s11, s29, -1
	s_delay_alu instid0(SALU_CYCLE_1) | instskip(NEXT) | instid1(SALU_CYCLE_1)
	s_abs_i32 s16, s11
	s_mul_i32 s15, s15, s14
	s_delay_alu instid0(SALU_CYCLE_1) | instskip(NEXT) | instid1(SALU_CYCLE_1)
	s_mul_hi_u32 s15, s14, s15
	s_add_co_i32 s14, s14, s15
	s_wait_kmcnt 0x0
	s_cmp_lt_i32 s8, 0
	s_mov_b32 s15, s17
	s_cbranch_scc0 .LBB43_6
; %bb.5:
	s_mul_i32 s18, s4, s22
	s_delay_alu instid0(SALU_CYCLE_1) | instskip(NEXT) | instid1(SALU_CYCLE_1)
	s_add_co_i32 s18, s3, s18
	s_mul_i32 s18, s18, s8
	s_delay_alu instid0(SALU_CYCLE_1)
	s_sub_co_i32 s30, 1, s18
	s_mov_b32 s18, s17
.LBB43_6:
	s_ashr_i32 s11, s11, 31
	s_ashr_i32 s31, s7, 31
	s_and_not1_b32 vcc_lo, exec_lo, s18
	s_mul_u64 s[20:21], s[16:17], s[14:15]
	s_cbranch_vccnz .LBB43_8
; %bb.7:
	s_mul_i32 s4, s27, s4
	s_delay_alu instid0(SALU_CYCLE_1) | instskip(NEXT) | instid1(SALU_CYCLE_1)
	s_add_co_i32 s2, s4, s2
	s_mul_i32 s2, s2, s8
	s_delay_alu instid0(SALU_CYCLE_1)
	s_add_co_i32 s30, s2, 1
.LBB43_8:
	s_mul_i32 s7, s21, s13
	s_load_b32 s2, s[0:1], 0x38
	s_sub_co_i32 s7, s16, s7
	s_clause 0x1
	s_load_b64 s[16:17], s[0:1], 0x28
	s_load_b32 s8, s[0:1], 0x88
	scratch_load_b32 v0, off, off offset:564 ; 4-byte Folded Reload
	s_xor_b32 s4, s11, s31
	s_add_co_i32 s11, s21, 1
	v_mov_b32_e32 v127, 0xff7fffff
	s_mul_i32 s20, s3, s10
	s_wait_kmcnt 0x0
	s_mul_i32 s18, s2, s28
	s_sub_co_i32 s2, s7, s13
	s_ashr_i32 s19, s18, 31
	s_cmp_ge_u32 s7, s13
	s_cselect_b32 s11, s11, s21
	s_cselect_b32 s2, s2, s7
	s_add_co_i32 s7, s11, 1
	s_cmp_ge_u32 s2, s13
	s_cselect_b32 s2, s7, s11
	s_add_co_i32 s7, s29, 31
	s_delay_alu instid0(SALU_CYCLE_1) | instskip(NEXT) | instid1(SALU_CYCLE_1)
	s_ashr_i32 s11, s7, 31
	s_lshr_b32 s11, s11, 27
	s_delay_alu instid0(SALU_CYCLE_1) | instskip(NEXT) | instid1(SALU_CYCLE_1)
	s_add_co_i32 s7, s7, s11
	s_ashr_i32 s33, s7, 5
	s_xor_b32 s7, s2, s4
	s_delay_alu instid0(SALU_CYCLE_1) | instskip(SKIP_3) | instid1(VALU_DEP_2)
	s_sub_co_i32 s7, s7, s4
	s_wait_loadcnt 0x0
	v_dual_lshrrev_b32 v1, 5, v0 :: v_dual_bitop2_b32 v2, 31, v0 bitop3:0x40
	v_lshrrev_b32_e32 v70, 3, v0
	v_cmp_gt_i32_e64 s2, s33, v1
	s_delay_alu instid0(VALU_DEP_3)
	v_dual_lshlrev_b32 v73, 2, v2 :: v_dual_lshlrev_b32 v0, 5, v1
	s_clause 0x2
	scratch_store_b32 off, v2, off offset:560
	scratch_store_b32 off, v1, off offset:572
	scratch_store_b64 off, v[0:1], off
	s_wait_xcnt 0x0
	s_and_saveexec_b32 s22, s2
	s_cbranch_execz .LBB43_16
; %bb.9:
	scratch_load_b32 v72, off, off offset:560 ; 4-byte Folded Reload
	s_load_b64 s[24:25], s[0:1], 0x10
	s_ashr_i32 s21, s20, 31
	s_sub_co_i32 s35, s7, s5
	s_lshl_b64 s[36:37], s[20:21], 2
	s_ashr_i32 s11, s9, 31
	s_cmp_neq_f32 s34, 0
	v_mov_b32_e32 v127, 0xff7fffff
	s_mov_b32 s10, s9
	v_mov_b32_e32 v1, 0
	s_cselect_b32 vcc_lo, -1, 0
	s_abs_i32 s21, s6
	v_mov_b32_e32 v89, v73
	s_cvt_f32_u32 s3, s21
	s_sub_co_i32 s4, 0, s21
	s_wait_kmcnt 0x0
	s_add_nc_u64 s[36:37], s[24:25], s[36:37]
	s_mov_b32 s25, 0
	s_wait_loadcnt 0x0
	v_lshlrev_b32_e32 v0, 4, v72
	v_subrev_nc_u32_e32 v72, s29, v72
	s_delay_alu instid0(VALU_DEP_2) | instskip(SKIP_1) | instid1(VALU_DEP_2)
	v_add_nc_u64_e32 v[2:3], s[36:37], v[0:1]
	v_rcp_iflag_f32_e32 v0, s3
	v_add_nc_u32_e32 v72, 1, v72
	s_lshl_b64 s[36:37], s[18:19], 2
	s_delay_alu instid0(SALU_CYCLE_1)
	s_add_nc_u64 s[36:37], s[16:17], s[36:37]
	scratch_store_b64 off, v[2:3], off offset:8 ; 8-byte Folded Spill
	s_wait_xcnt 0x0
	ds_load_b128 v[2:5], v1
	v_readfirstlane_b32 s3, v0
	v_and_b32_e32 v0, 0x7c, v70
	s_mul_f32 s3, s3, 0x4f7ffffe
	s_delay_alu instid0(SALU_CYCLE_3) | instskip(NEXT) | instid1(SALU_CYCLE_3)
	s_cvt_u32_f32 s3, s3
	s_mul_i32 s4, s4, s3
	s_delay_alu instid0(SALU_CYCLE_1) | instskip(NEXT) | instid1(SALU_CYCLE_1)
	s_mul_hi_u32 s4, s3, s4
	s_add_co_i32 s24, s3, s4
	s_wait_dscnt 0x0
	scratch_store_b128 off, v[2:5], off offset:16 ; 16-byte Folded Spill
	s_wait_xcnt 0x0
	ds_load_b128 v[2:5], v1 offset:16
	s_wait_dscnt 0x0
	scratch_store_b128 off, v[2:5], off offset:32 ; 16-byte Folded Spill
	s_wait_xcnt 0x0
	ds_load_b128 v[2:5], v1 offset:32
	;; [unrolled: 4-line block ×21, first 2 shown]
	s_wait_dscnt 0x0
	scratch_store_b128 off, v[2:5], off offset:352 ; 16-byte Folded Spill
	ds_load_b128 v[90:93], v1 offset:352
	ds_load_b128 v[94:97], v1 offset:368
	ds_load_b128 v[98:101], v1 offset:384
	ds_load_b128 v[102:105], v1 offset:400
	ds_load_b128 v[106:109], v1 offset:416
	ds_load_b128 v[110:113], v1 offset:432
	ds_load_b128 v[114:117], v1 offset:448
	ds_load_b128 v[118:121], v1 offset:464
	ds_load_b128 v[122:125], v1 offset:480
	s_wait_xcnt 0x0
	ds_load_b128 v[2:5], v1 offset:496
	ds_load_b128 v[6:9], v1 offset:512
	;; [unrolled: 1-line block ×17, first 2 shown]
	s_clause 0x1
	scratch_load_b32 v74, off, off offset:572
	scratch_store_b32 off, v72, off offset:368
	v_mov_b32_e32 v88, v70
	v_add_nc_u64_e32 v[70:71], s[36:37], v[0:1]
	s_mov_b32 s36, s25
	s_wait_loadcnt 0x0
	v_lshl_or_b32 v72, v74, 7, v73
	v_lshlrev_b32_e32 v0, 5, v74
	s_delay_alu instid0(VALU_DEP_2)
	v_add_nc_u32_e32 v126, 0x320, v72
	s_branch .LBB43_11
.LBB43_10:                              ;   in Loop: Header=BB43_11 Depth=1
	s_wait_xcnt 0x0
	s_or_b32 exec_lo, exec_lo, s4
	v_add_nc_u32_e32 v74, 4, v74
	v_add_nc_u64_e32 v[70:71], 16, v[70:71]
	v_add_nc_u32_e32 v0, 0x80, v0
	v_add_nc_u32_e32 v126, 0x200, v126
	s_delay_alu instid0(VALU_DEP_4) | instskip(SKIP_1) | instid1(SALU_CYCLE_1)
	v_cmp_le_i32_e64 s3, s33, v74
	s_or_b32 s36, s3, s36
	s_and_not1_b32 exec_lo, exec_lo, s36
	s_cbranch_execz .LBB43_15
.LBB43_11:                              ; =>This Inner Loop Header: Depth=1
	s_delay_alu instid0(VALU_DEP_2) | instskip(NEXT) | instid1(VALU_DEP_1)
	v_mul_u64_e32 v[72:73], s[14:15], v[0:1]
	v_mul_lo_u32 v72, v73, s13
	s_delay_alu instid0(VALU_DEP_1) | instskip(NEXT) | instid1(VALU_DEP_1)
	v_dual_add_nc_u32 v75, 1, v73 :: v_dual_sub_nc_u32 v72, v0, v72
	v_subrev_nc_u32_e32 v76, s13, v72
	v_cmp_le_u32_e64 s3, s13, v72
	s_delay_alu instid0(VALU_DEP_1) | instskip(NEXT) | instid1(VALU_DEP_1)
	v_dual_cndmask_b32 v73, v73, v75, s3 :: v_dual_cndmask_b32 v72, v72, v76, s3
	v_add_nc_u32_e32 v75, 1, v73
	s_delay_alu instid0(VALU_DEP_2) | instskip(NEXT) | instid1(VALU_DEP_1)
	v_cmp_le_u32_e64 s3, s13, v72
	v_cndmask_b32_e64 v72, v73, v75, s3
	s_delay_alu instid0(VALU_DEP_1) | instskip(NEXT) | instid1(VALU_DEP_1)
	v_dual_mov_b32 v73, v1 :: v_dual_bitop2_b32 v72, s31, v72 bitop3:0x14
	v_subrev_nc_u32_e32 v75, s31, v72
	s_delay_alu instid0(VALU_DEP_1) | instskip(SKIP_1) | instid1(VALU_DEP_2)
	v_add_nc_u32_e32 v78, s30, v75
	v_cmp_ge_i32_e64 s4, s35, v75
	v_sub_nc_u32_e32 v72, 0, v78
	s_delay_alu instid0(VALU_DEP_1) | instskip(NEXT) | instid1(VALU_DEP_1)
	v_max_i32_e32 v72, v78, v72
	v_mul_u64_e32 v[76:77], s[24:25], v[72:73]
	v_ashrrev_i32_e32 v76, 31, v78
	s_delay_alu instid0(VALU_DEP_2) | instskip(NEXT) | instid1(VALU_DEP_1)
	v_mul_lo_u32 v73, v77, s21
	v_sub_nc_u32_e32 v72, v72, v73
	s_delay_alu instid0(VALU_DEP_1) | instskip(SKIP_1) | instid1(VALU_DEP_1)
	v_subrev_nc_u32_e32 v73, s21, v72
	v_cmp_le_u32_e64 s3, s21, v72
	v_cndmask_b32_e64 v72, v72, v73, s3
	s_delay_alu instid0(VALU_DEP_1) | instskip(SKIP_1) | instid1(VALU_DEP_1)
	v_subrev_nc_u32_e32 v73, s21, v72
	v_cmp_le_u32_e64 s3, s21, v72
	v_cndmask_b32_e64 v72, v72, v73, s3
	s_delay_alu instid0(VALU_DEP_1) | instskip(NEXT) | instid1(VALU_DEP_1)
	v_xor_b32_e32 v72, v72, v76
	v_sub_nc_u32_e32 v72, v72, v76
	s_delay_alu instid0(VALU_DEP_1) | instskip(SKIP_1) | instid1(SALU_CYCLE_1)
	v_cmp_ne_u32_e64 s3, 0, v72
	s_and_b32 s3, s3, s4
	s_and_saveexec_b32 s4, s3
	s_delay_alu instid0(SALU_CYCLE_1)
	s_xor_b32 s3, exec_lo, s4
; %bb.12:                               ;   in Loop: Header=BB43_11 Depth=1
	v_mov_b32_e32 v72, 0xff7fffff
	ds_store_b32 v126, v72
; %bb.13:                               ;   in Loop: Header=BB43_11 Depth=1
	s_and_not1_saveexec_b32 s4, s3
	s_cbranch_execz .LBB43_10
; %bb.14:                               ;   in Loop: Header=BB43_11 Depth=1
	global_load_b32 v72, v[70:71], off
	scratch_load_b64 v[76:77], off, off offset:8 ; 8-byte Folded Reload
	s_wait_loadcnt 0x1
	v_ashrrev_i32_e32 v73, 31, v72
	s_delay_alu instid0(VALU_DEP_1) | instskip(SKIP_1) | instid1(VALU_DEP_1)
	v_mul_u64_e32 v[72:73], s[10:11], v[72:73]
	s_wait_loadcnt 0x0
	v_lshl_add_u64 v[72:73], v[72:73], 2, v[76:77]
	global_load_b128 v[76:79], v[72:73], off offset:512
	scratch_load_b128 v[80:83], off, off offset:32 ; 16-byte Folded Reload
	s_wait_loadcnt 0x0
	v_pk_mul_f32 v[80:81], v[80:81], v[76:77]
	v_pk_mul_f32 v[82:83], v[82:83], v[78:79]
	global_load_b128 v[76:79], v[72:73], off
	scratch_load_b128 v[84:87], off, off offset:16 ; 16-byte Folded Reload
	s_wait_loadcnt 0x0
	v_pk_fma_f32 v[80:81], v[84:85], v[76:77], v[80:81]
	v_pk_fma_f32 v[82:83], v[86:87], v[78:79], v[82:83]
	global_load_b128 v[76:79], v[72:73], off offset:1024
	scratch_load_b128 v[84:87], off, off offset:48 ; 16-byte Folded Reload
	s_wait_loadcnt 0x0
	v_pk_fma_f32 v[80:81], v[84:85], v[76:77], v[80:81]
	v_pk_fma_f32 v[82:83], v[86:87], v[78:79], v[82:83]
	global_load_b128 v[76:79], v[72:73], off offset:1536
	scratch_load_b128 v[84:87], off, off offset:64 ; 16-byte Folded Reload
	s_wait_loadcnt 0x0
	v_pk_fma_f32 v[80:81], v[84:85], v[76:77], v[80:81]
	v_pk_fma_f32 v[82:83], v[86:87], v[78:79], v[82:83]
	global_load_b128 v[76:79], v[72:73], off offset:2048
	scratch_load_b128 v[84:87], off, off offset:80 ; 16-byte Folded Reload
	s_wait_loadcnt 0x0
	v_pk_fma_f32 v[80:81], v[84:85], v[76:77], v[80:81]
	v_pk_fma_f32 v[82:83], v[86:87], v[78:79], v[82:83]
	global_load_b128 v[76:79], v[72:73], off offset:2560
	scratch_load_b128 v[84:87], off, off offset:96 ; 16-byte Folded Reload
	s_wait_loadcnt 0x0
	v_pk_fma_f32 v[80:81], v[84:85], v[76:77], v[80:81]
	v_pk_fma_f32 v[82:83], v[86:87], v[78:79], v[82:83]
	global_load_b128 v[76:79], v[72:73], off offset:3072
	scratch_load_b128 v[84:87], off, off offset:112 ; 16-byte Folded Reload
	s_wait_loadcnt 0x0
	v_pk_fma_f32 v[80:81], v[84:85], v[76:77], v[80:81]
	v_pk_fma_f32 v[82:83], v[86:87], v[78:79], v[82:83]
	global_load_b128 v[76:79], v[72:73], off offset:3584
	scratch_load_b128 v[84:87], off, off offset:128 ; 16-byte Folded Reload
	s_wait_loadcnt 0x0
	v_pk_fma_f32 v[80:81], v[84:85], v[76:77], v[80:81]
	v_pk_fma_f32 v[82:83], v[86:87], v[78:79], v[82:83]
	global_load_b128 v[76:79], v[72:73], off offset:4096
	scratch_load_b128 v[84:87], off, off offset:144 ; 16-byte Folded Reload
	s_wait_loadcnt 0x0
	v_pk_fma_f32 v[80:81], v[84:85], v[76:77], v[80:81]
	v_pk_fma_f32 v[82:83], v[86:87], v[78:79], v[82:83]
	global_load_b128 v[76:79], v[72:73], off offset:4608
	scratch_load_b128 v[84:87], off, off offset:160 ; 16-byte Folded Reload
	s_wait_loadcnt 0x0
	v_pk_fma_f32 v[80:81], v[84:85], v[76:77], v[80:81]
	v_pk_fma_f32 v[82:83], v[86:87], v[78:79], v[82:83]
	global_load_b128 v[76:79], v[72:73], off offset:5120
	scratch_load_b128 v[84:87], off, off offset:176 ; 16-byte Folded Reload
	s_wait_loadcnt 0x0
	v_pk_fma_f32 v[80:81], v[84:85], v[76:77], v[80:81]
	v_pk_fma_f32 v[82:83], v[86:87], v[78:79], v[82:83]
	global_load_b128 v[76:79], v[72:73], off offset:5632
	scratch_load_b128 v[84:87], off, off offset:192 ; 16-byte Folded Reload
	s_wait_loadcnt 0x0
	v_pk_fma_f32 v[80:81], v[84:85], v[76:77], v[80:81]
	v_pk_fma_f32 v[82:83], v[86:87], v[78:79], v[82:83]
	global_load_b128 v[76:79], v[72:73], off offset:6144
	scratch_load_b128 v[84:87], off, off offset:208 ; 16-byte Folded Reload
	s_wait_loadcnt 0x0
	v_pk_fma_f32 v[80:81], v[84:85], v[76:77], v[80:81]
	v_pk_fma_f32 v[82:83], v[86:87], v[78:79], v[82:83]
	global_load_b128 v[76:79], v[72:73], off offset:6656
	scratch_load_b128 v[84:87], off, off offset:224 ; 16-byte Folded Reload
	s_wait_loadcnt 0x0
	v_pk_fma_f32 v[80:81], v[84:85], v[76:77], v[80:81]
	v_pk_fma_f32 v[82:83], v[86:87], v[78:79], v[82:83]
	global_load_b128 v[76:79], v[72:73], off offset:7168
	scratch_load_b128 v[84:87], off, off offset:240 ; 16-byte Folded Reload
	s_wait_loadcnt 0x0
	v_pk_fma_f32 v[80:81], v[84:85], v[76:77], v[80:81]
	v_pk_fma_f32 v[82:83], v[86:87], v[78:79], v[82:83]
	global_load_b128 v[76:79], v[72:73], off offset:7680
	scratch_load_b128 v[84:87], off, off offset:256 ; 16-byte Folded Reload
	s_wait_loadcnt 0x0
	v_pk_fma_f32 v[80:81], v[84:85], v[76:77], v[80:81]
	v_pk_fma_f32 v[82:83], v[86:87], v[78:79], v[82:83]
	global_load_b128 v[76:79], v[72:73], off offset:8192
	scratch_load_b128 v[84:87], off, off offset:272 ; 16-byte Folded Reload
	s_wait_loadcnt 0x0
	v_pk_fma_f32 v[80:81], v[84:85], v[76:77], v[80:81]
	v_pk_fma_f32 v[82:83], v[86:87], v[78:79], v[82:83]
	global_load_b128 v[76:79], v[72:73], off offset:8704
	scratch_load_b128 v[84:87], off, off offset:288 ; 16-byte Folded Reload
	s_wait_loadcnt 0x0
	v_pk_fma_f32 v[80:81], v[84:85], v[76:77], v[80:81]
	v_pk_fma_f32 v[82:83], v[86:87], v[78:79], v[82:83]
	global_load_b128 v[76:79], v[72:73], off offset:9216
	scratch_load_b128 v[84:87], off, off offset:304 ; 16-byte Folded Reload
	s_wait_loadcnt 0x0
	v_pk_fma_f32 v[80:81], v[84:85], v[76:77], v[80:81]
	v_pk_fma_f32 v[82:83], v[86:87], v[78:79], v[82:83]
	global_load_b128 v[76:79], v[72:73], off offset:9728
	scratch_load_b128 v[84:87], off, off offset:320 ; 16-byte Folded Reload
	s_wait_loadcnt 0x0
	v_pk_fma_f32 v[80:81], v[84:85], v[76:77], v[80:81]
	v_pk_fma_f32 v[82:83], v[86:87], v[78:79], v[82:83]
	global_load_b128 v[76:79], v[72:73], off offset:10240
	scratch_load_b128 v[84:87], off, off offset:336 ; 16-byte Folded Reload
	s_wait_loadcnt 0x0
	v_pk_fma_f32 v[80:81], v[84:85], v[76:77], v[80:81]
	v_pk_fma_f32 v[82:83], v[86:87], v[78:79], v[82:83]
	global_load_b128 v[76:79], v[72:73], off offset:10752
	scratch_load_b128 v[84:87], off, off offset:352 ; 16-byte Folded Reload
	s_wait_loadcnt 0x0
	v_pk_fma_f32 v[80:81], v[84:85], v[76:77], v[80:81]
	v_pk_fma_f32 v[82:83], v[86:87], v[78:79], v[82:83]
	global_load_b128 v[76:79], v[72:73], off offset:11264
	s_wait_loadcnt_dscnt 0x19
	v_pk_fma_f32 v[80:81], v[90:91], v[76:77], v[80:81]
	v_pk_fma_f32 v[82:83], v[92:93], v[78:79], v[82:83]
	global_load_b128 v[76:79], v[72:73], off offset:11776
	s_wait_loadcnt_dscnt 0x18
	v_pk_fma_f32 v[80:81], v[94:95], v[76:77], v[80:81]
	v_pk_fma_f32 v[82:83], v[96:97], v[78:79], v[82:83]
	global_load_b128 v[76:79], v[72:73], off offset:12288
	;; [unrolled: 4-line block ×25, first 2 shown]
	s_wait_loadcnt_dscnt 0x0
	v_pk_fma_f32 v[72:73], v[66:67], v[76:77], v[80:81]
	v_pk_fma_f32 v[76:77], v[68:69], v[78:79], v[82:83]
	s_delay_alu instid0(VALU_DEP_2) | instskip(SKIP_4) | instid1(VALU_DEP_2)
	v_add_f32_e32 v72, v72, v73
	scratch_load_b32 v73, off, off offset:560 ; 4-byte Folded Reload
	s_wait_loadcnt 0x0
	v_add_nc_u32_e32 v73, v73, v0
	v_add_f32_e32 v72, v76, v72
	v_cmp_gt_i32_e64 s3, s29, v73
	scratch_load_b32 v73, off, off offset:368 ; 4-byte Folded Reload
	s_wait_loadcnt 0x0
	v_add_nc_u32_e32 v73, v73, v0
	s_delay_alu instid0(VALU_DEP_1) | instskip(NEXT) | instid1(VALU_DEP_1)
	v_cvt_f32_i32_e32 v73, v73
	v_dual_add_f32 v72, v77, v72 :: v_dual_mul_f32 v73, s34, v73
	s_delay_alu instid0(VALU_DEP_1) | instskip(NEXT) | instid1(VALU_DEP_1)
	v_cndmask_b32_e32 v73, 0, v73, vcc_lo
	v_dual_fmac_f32 v73, s23, v72 :: v_dual_max_num_f32 v72, v127, v127
	s_delay_alu instid0(VALU_DEP_1) | instskip(NEXT) | instid1(VALU_DEP_1)
	v_max_num_f32_e32 v72, v72, v73
	v_dual_cndmask_b32 v127, v127, v72, s3 :: v_dual_cndmask_b32 v72, 0, v73, s3
	ds_store_b32 v126, v72
	s_branch .LBB43_10
.LBB43_15:
	s_or_b32 exec_lo, exec_lo, s36
	v_dual_mov_b32 v73, v89 :: v_dual_mov_b32 v70, v88
.LBB43_16:
	s_or_b32 exec_lo, exec_lo, s22
	s_wait_dscnt 0x10
	v_mbcnt_lo_u32_b32 v2, -1, 0
	s_clause 0x1
	s_load_b64 s[10:11], s[0:1], 0x0
	s_load_b64 s[22:23], s[0:1], 0x18
	s_delay_alu instid0(VALU_DEP_1) | instskip(SKIP_1) | instid1(VALU_DEP_2)
	v_dual_max_num_f32 v4, v127, v127 :: v_dual_bitop2_b32 v0, 16, v2 bitop3:0x14
	v_xor_b32_e32 v3, 8, v2
	v_cmp_gt_i32_e32 vcc_lo, 32, v0
	v_cndmask_b32_e32 v0, v2, v0, vcc_lo
	s_delay_alu instid0(VALU_DEP_3) | instskip(NEXT) | instid1(VALU_DEP_2)
	v_cmp_gt_i32_e32 vcc_lo, 32, v3
	v_dual_cndmask_b32 v3, v2, v3 :: v_dual_lshlrev_b32 v0, 2, v0
	ds_bpermute_b32 v1, v0, v127
	s_wait_dscnt 0x0
	v_dual_max_num_f32 v5, v1, v1 :: v_dual_lshlrev_b32 v1, 2, v3
	s_delay_alu instid0(VALU_DEP_1) | instskip(SKIP_4) | instid1(VALU_DEP_1)
	v_dual_max_num_f32 v3, v4, v5 :: v_dual_bitop2_b32 v5, 4, v2 bitop3:0x14
	ds_bpermute_b32 v4, v1, v3
	v_cmp_gt_i32_e32 vcc_lo, 32, v5
	s_wait_dscnt 0x0
	v_dual_cndmask_b32 v5, v2, v5 :: v_dual_max_num_f32 v4, v4, v4
	v_dual_lshlrev_b32 v5, 2, v5 :: v_dual_max_num_f32 v3, v3, v4
	scratch_store_b32 off, v5, off offset:576 ; 4-byte Folded Spill
	ds_bpermute_b32 v4, v5, v3
	s_wait_dscnt 0x0
	s_wait_xcnt 0x0
	v_dual_max_num_f32 v4, v4, v4 :: v_dual_bitop2_b32 v5, 2, v2 bitop3:0x14
	s_delay_alu instid0(VALU_DEP_1) | instskip(NEXT) | instid1(VALU_DEP_2)
	v_cmp_gt_i32_e32 vcc_lo, 32, v5
	v_dual_max_num_f32 v3, v3, v4 :: v_dual_cndmask_b32 v5, v2, v5, vcc_lo
	s_delay_alu instid0(VALU_DEP_1) | instskip(SKIP_3) | instid1(VALU_DEP_1)
	v_dual_lshlrev_b32 v9, 2, v5 :: v_dual_bitop2_b32 v5, 1, v2 bitop3:0x14
	ds_bpermute_b32 v4, v9, v3
	v_cmp_gt_i32_e32 vcc_lo, 32, v5
	v_cndmask_b32_e32 v2, v2, v5, vcc_lo
	v_lshlrev_b32_e32 v8, 2, v2
	scratch_load_b32 v2, off, off offset:560 ; 4-byte Folded Reload
	s_wait_dscnt 0x0
	v_max_num_f32_e32 v4, v4, v4
	s_delay_alu instid0(VALU_DEP_1)
	v_max_num_f32_e32 v3, v3, v4
	ds_bpermute_b32 v4, v8, v3
	s_wait_loadcnt 0x0
	v_cmp_eq_u32_e32 vcc_lo, 0, v2
	scratch_load_b32 v2, off, off offset:572 ; 4-byte Folded Reload
	s_wait_loadcnt 0x0
	v_lshlrev_b32_e32 v2, 2, v2
	s_wait_xcnt 0x0
	s_and_saveexec_b32 s0, vcc_lo
	s_cbranch_execz .LBB43_18
; %bb.17:
	s_wait_dscnt 0x0
	v_dual_max_num_f32 v4, v4, v4 :: v_dual_max_num_f32 v3, v3, v3
	s_delay_alu instid0(VALU_DEP_1)
	v_max_num_f32_e32 v3, v3, v4
	ds_store_b32 v2, v3 offset:768
.LBB43_18:
	s_or_b32 exec_lo, exec_lo, s0
	scratch_load_b32 v3, off, off offset:560 ; 4-byte Folded Reload
	s_wait_storecnt 0x0
	s_wait_loadcnt_dscnt 0x0
	s_barrier_signal -1
	s_barrier_wait -1
	v_cmp_gt_u32_e64 s0, 4, v3
	v_mov_b32_e32 v3, 0xff7fffff
	s_and_saveexec_b32 s1, s0
; %bb.19:
	ds_load_b32 v3, v73 offset:768
; %bb.20:
	s_or_b32 exec_lo, exec_lo, s1
	scratch_load_b32 v5, off, off offset:564 ; 4-byte Folded Reload
	s_wait_dscnt 0x0
	ds_bpermute_b32 v4, v9, v3
	v_max_num_f32_e32 v3, v3, v3
	s_lshl_b32 s1, s33, 5
	s_delay_alu instid0(SALU_CYCLE_1) | instskip(SKIP_2) | instid1(VALU_DEP_1)
	s_min_i32 s4, s1, s29
	s_wait_dscnt 0x0
	v_max_num_f32_e32 v4, v4, v4
	v_max_num_f32_e32 v3, v3, v4
	ds_bpermute_b32 v4, v8, v3
	s_wait_dscnt 0x0
	v_max_num_f32_e32 v4, v4, v4
	s_delay_alu instid0(VALU_DEP_1)
	v_dual_max_num_f32 v4, v3, v4 :: v_dual_mov_b32 v3, 0
	ds_bpermute_b32 v4, v3, v4
	s_wait_loadcnt 0x0
	v_cmp_gt_i32_e64 s1, s4, v5
	s_and_saveexec_b32 s21, s1
	s_cbranch_execz .LBB43_24
; %bb.21:
	scratch_load_b32 v6, off, off offset:564 ; 4-byte Folded Reload
	v_mov_b32_e32 v3, 0
	s_mov_b32 s24, 0
	s_wait_loadcnt 0x0
	v_lshl_add_u32 v5, v6, 2, 0x320
.LBB43_22:                              ; =>This Inner Loop Header: Depth=1
	ds_load_b32 v7, v5
	v_add_nc_u32_e32 v6, 0x80, v6
	s_delay_alu instid0(VALU_DEP_1) | instskip(SKIP_3) | instid1(VALU_DEP_1)
	v_cmp_le_i32_e64 s3, s4, v6
	s_or_b32 s24, s3, s24
	s_wait_dscnt 0x0
	v_sub_f32_e32 v7, v7, v4
	v_mul_f32_e32 v7, 0x3fb8aa3b, v7
	s_delay_alu instid0(VALU_DEP_1)
	v_exp_f32_e32 v7, v7
	ds_store_b32 v5, v7
	v_nop
	v_add_f32_e32 v3, v3, v7
	v_add_nc_u32_e32 v5, 0x200, v5
	s_and_not1_b32 exec_lo, exec_lo, s24
	s_cbranch_execnz .LBB43_22
; %bb.23:
	s_or_b32 exec_lo, exec_lo, s24
.LBB43_24:
	s_delay_alu instid0(SALU_CYCLE_1)
	s_or_b32 exec_lo, exec_lo, s21
	ds_bpermute_b32 v0, v0, v3
	s_wait_dscnt 0x0
	v_add_f32_e32 v0, v3, v0
	ds_bpermute_b32 v1, v1, v0
	s_wait_dscnt 0x0
	v_add_f32_e32 v0, v0, v1
	scratch_load_b32 v1, off, off offset:576 ; 4-byte Folded Reload
	s_wait_loadcnt 0x0
	ds_bpermute_b32 v1, v1, v0
	s_wait_dscnt 0x0
	v_add_f32_e32 v0, v0, v1
	ds_bpermute_b32 v1, v9, v0
	s_wait_dscnt 0x0
	v_add_f32_e32 v0, v0, v1
	;; [unrolled: 3-line block ×3, first 2 shown]
	s_and_saveexec_b32 s3, vcc_lo
; %bb.25:
	ds_store_b32 v2, v0 offset:784
; %bb.26:
	s_or_b32 exec_lo, exec_lo, s3
	s_wait_dscnt 0x0
	s_barrier_signal -1
	s_barrier_wait -1
	s_and_saveexec_b32 s3, s0
; %bb.27:
	ds_load_b32 v0, v73 offset:784
; %bb.28:
	s_or_b32 exec_lo, exec_lo, s3
	s_wait_dscnt 0x0
	ds_bpermute_b32 v1, v9, v0
	s_wait_dscnt 0x0
	v_dual_mov_b32 v3, 0 :: v_dual_add_f32 v0, v0, v1
	ds_bpermute_b32 v1, v8, v0
	s_wait_dscnt 0x0
	v_dual_add_f32 v0, v0, v1 :: v_dual_mov_b32 v1, 0
	scratch_store_b64 off, v[0:1], off offset:336 ; 8-byte Folded Spill
	s_wait_xcnt 0x0
	ds_bpermute_b32 v0, v3, v0
	s_and_saveexec_b32 s0, s1
	s_cbranch_execz .LBB43_41
; %bb.29:
	s_wait_dscnt 0x0
	v_add_f32_e32 v0, 0x358637bd, v0
	s_mov_b32 s3, -1
	s_mov_b32 s1, exec_lo
	s_delay_alu instid0(VALU_DEP_1) | instskip(NEXT) | instid1(VALU_DEP_1)
	v_div_scale_f32 v1, null, v0, v0, 1.0
	v_rcp_f32_e32 v3, v1
	v_nop
	s_delay_alu instid0(TRANS32_DEP_1) | instskip(NEXT) | instid1(VALU_DEP_1)
	v_fma_f32 v2, -v1, v3, 1.0
	v_fmac_f32_e32 v3, v2, v3
	v_div_scale_f32 v4, vcc_lo, 1.0, v0, 1.0
	s_delay_alu instid0(VALU_DEP_1) | instskip(NEXT) | instid1(VALU_DEP_1)
	v_mul_f32_e32 v5, v4, v3
	v_fma_f32 v2, -v1, v5, v4
	s_delay_alu instid0(VALU_DEP_1) | instskip(NEXT) | instid1(VALU_DEP_1)
	v_fmac_f32_e32 v5, v2, v3
	v_fma_f32 v1, -v1, v5, v4
	scratch_load_b32 v4, off, off offset:564 ; 4-byte Folded Reload
	v_div_fmas_f32 v1, v1, v3, v5
	s_delay_alu instid0(VALU_DEP_1) | instskip(SKIP_4) | instid1(VALU_DEP_2)
	v_div_fixup_f32 v0, v1, v0, 1.0
	s_wait_loadcnt 0x0
	v_xad_u32 v2, v4, -1, s4
	v_mov_b32_e32 v1, v4
	s_wait_xcnt 0x0
	v_cmpx_lt_u32_e32 0x7f, v2
	s_cbranch_execz .LBB43_38
; %bb.30:
	v_dual_mov_b32 v1, v0 :: v_dual_lshrrev_b32 v2, 7, v2
	s_delay_alu instid0(VALU_DEP_1) | instskip(NEXT) | instid1(VALU_DEP_1)
	v_dual_mov_b32 v6, 0 :: v_dual_add_nc_u32 v3, -1, v2
	v_lshrrev_b32_e32 v4, 1, v3
	v_cmp_lt_u32_e32 vcc_lo, 13, v3
	s_delay_alu instid0(VALU_DEP_2)
	v_add_nc_u32_e32 v3, 1, v4
	s_and_saveexec_b32 s3, vcc_lo
	s_cbranch_execz .LBB43_34
; %bb.31:
	scratch_load_b32 v5, off, off offset:564 ; 4-byte Folded Reload
	v_dual_mov_b32 v23, v9 :: v_dual_mov_b32 v22, v8
	v_and_b32_e32 v4, -8, v3
	s_mov_b32 s21, 0
	s_mov_b32 s24, 0
	s_wait_loadcnt 0x0
	v_lshl_add_u32 v5, v5, 2, 0x320
.LBB43_32:                              ; =>This Inner Loop Header: Depth=1
	ds_load_2addr_stride64_b32 v[6:7], v5 offset1:2
	ds_load_2addr_stride64_b32 v[8:9], v5 offset0:4 offset1:6
	ds_load_2addr_stride64_b32 v[10:11], v5 offset0:8 offset1:10
	;; [unrolled: 1-line block ×7, first 2 shown]
	s_add_co_i32 s24, s24, 16
	v_add_nc_u32_e32 v4, -8, v4
	s_wait_dscnt 0x7
	v_pk_mul_f32 v[6:7], v[0:1], v[6:7]
	s_wait_dscnt 0x6
	v_pk_mul_f32 v[8:9], v[0:1], v[8:9]
	;; [unrolled: 2-line block ×8, first 2 shown]
	ds_store_2addr_stride64_b32 v5, v6, v7 offset1:2
	ds_store_2addr_stride64_b32 v5, v8, v9 offset0:4 offset1:6
	ds_store_2addr_stride64_b32 v5, v10, v11 offset0:8 offset1:10
	;; [unrolled: 1-line block ×7, first 2 shown]
	v_mov_b32_e32 v6, s24
	v_cmp_eq_u32_e32 vcc_lo, 0, v4
	v_add_nc_u32_e32 v5, 0x2000, v5
	s_or_b32 s21, vcc_lo, s21
	s_wait_xcnt 0x0
	s_and_not1_b32 exec_lo, exec_lo, s21
	s_cbranch_execnz .LBB43_32
; %bb.33:
	s_or_b32 exec_lo, exec_lo, s21
	v_dual_mov_b32 v8, v22 :: v_dual_mov_b32 v9, v23
.LBB43_34:
	s_or_b32 exec_lo, exec_lo, s3
	s_delay_alu instid0(VALU_DEP_1) | instskip(SKIP_2) | instid1(VALU_DEP_1)
	v_and_b32_e32 v3, 7, v3
	s_mov_b32 s21, 0
	s_mov_b32 s3, exec_lo
	v_cmpx_ne_u32_e32 0, v3
	s_cbranch_execz .LBB43_37
; %bb.35:
	scratch_load_b32 v5, off, off offset:564 ; 4-byte Folded Reload
	s_wait_loadcnt 0x0
	v_dual_lshlrev_b32 v4, 9, v6 :: v_dual_lshlrev_b32 v5, 2, v5
	s_delay_alu instid0(VALU_DEP_1)
	v_add3_u32 v4, v4, v5, 0x320
.LBB43_36:                              ; =>This Inner Loop Header: Depth=1
	ds_load_2addr_stride64_b32 v[6:7], v4 offset1:2
	v_add_nc_u32_e32 v3, -1, v3
	s_delay_alu instid0(VALU_DEP_1)
	v_cmp_eq_u32_e32 vcc_lo, 0, v3
	s_or_b32 s21, vcc_lo, s21
	s_wait_dscnt 0x0
	v_pk_mul_f32 v[6:7], v[0:1], v[6:7]
	ds_store_2addr_stride64_b32 v4, v6, v7 offset1:2
	v_add_nc_u32_e32 v4, 0x400, v4
	s_wait_xcnt 0x0
	s_and_not1_b32 exec_lo, exec_lo, s21
	s_cbranch_execnz .LBB43_36
.LBB43_37:
	s_or_b32 exec_lo, exec_lo, s3
	v_add_nc_u32_e32 v1, 1, v2
	s_delay_alu instid0(VALU_DEP_1) | instskip(NEXT) | instid1(VALU_DEP_1)
	v_and_b32_e32 v2, 0x3fffffe, v1
	v_cmp_ne_u32_e32 vcc_lo, v1, v2
	scratch_load_b32 v1, off, off offset:564 ; 4-byte Folded Reload
	s_or_not1_b32 s3, vcc_lo, exec_lo
	s_wait_loadcnt 0x0
	v_lshl_add_u32 v1, v2, 7, v1
.LBB43_38:
	s_wait_xcnt 0x0
	s_or_b32 exec_lo, exec_lo, s1
	s_delay_alu instid0(SALU_CYCLE_1)
	s_and_b32 exec_lo, exec_lo, s3
	s_cbranch_execz .LBB43_41
; %bb.39:
	v_lshl_add_u32 v2, v1, 2, 0x320
	s_mov_b32 s1, 0
.LBB43_40:                              ; =>This Inner Loop Header: Depth=1
	ds_load_b32 v3, v2
	v_add_nc_u32_e32 v1, 0x80, v1
	s_delay_alu instid0(VALU_DEP_1)
	v_cmp_le_i32_e32 vcc_lo, s4, v1
	s_or_b32 s1, vcc_lo, s1
	s_wait_dscnt 0x0
	v_mul_f32_e32 v3, v0, v3
	ds_store_b32 v2, v3
	v_add_nc_u32_e32 v2, 0x200, v2
	s_and_not1_b32 exec_lo, exec_lo, s1
	s_cbranch_execnz .LBB43_40
.LBB43_41:
	s_or_b32 exec_lo, exec_lo, s0
	s_clause 0x1
	scratch_store_b32 off, v9, off offset:588
	scratch_store_b32 off, v8, off offset:584
	s_wait_dscnt 0x0
	scratch_load_b32 v0, off, off offset:564 ; 4-byte Folded Reload
	v_dual_mov_b32 v7, 0 :: v_dual_mov_b32 v6, 0
	v_dual_mov_b32 v5, 0 :: v_dual_mov_b32 v4, 0
	;; [unrolled: 1-line block ×4, first 2 shown]
	s_wait_xcnt 0x1
	v_dual_mov_b32 v9, 0 :: v_dual_mov_b32 v8, 0
	s_wait_loadcnt 0x0
	v_and_b32_e32 v0, 7, v0
	s_clause 0x1
	scratch_store_b32 off, v0, off offset:580
	scratch_load_b64 v[0:1], off, off offset:336
	s_wait_loadcnt 0x0
	v_mov_b32_e32 v0, 0
	scratch_store_b64 off, v[0:1], off offset:336 ; 8-byte Folded Spill
	s_wait_xcnt 0x0
	v_dual_mov_b32 v1, 0 :: v_dual_mov_b32 v0, 0
	scratch_store_b64 off, v[0:1], off offset:352 ; 8-byte Folded Spill
	s_wait_xcnt 0x0
	v_dual_mov_b32 v1, 0 :: v_dual_mov_b32 v0, 0
	scratch_store_b64 off, v[0:1], off offset:368 ; 8-byte Folded Spill
	s_wait_xcnt 0x0
	v_dual_mov_b32 v1, 0 :: v_dual_mov_b32 v0, 0
	scratch_store_b64 off, v[0:1], off offset:376 ; 8-byte Folded Spill
	s_wait_xcnt 0x0
	v_dual_mov_b32 v1, 0 :: v_dual_mov_b32 v0, 0
	scratch_store_b64 off, v[0:1], off offset:384 ; 8-byte Folded Spill
	s_wait_xcnt 0x0
	v_dual_mov_b32 v1, 0 :: v_dual_mov_b32 v0, 0
	scratch_store_b64 off, v[0:1], off offset:392 ; 8-byte Folded Spill
	s_wait_xcnt 0x0
	v_dual_mov_b32 v1, 0 :: v_dual_mov_b32 v0, 0
	scratch_store_b64 off, v[0:1], off offset:400 ; 8-byte Folded Spill
	s_wait_xcnt 0x0
	v_dual_mov_b32 v1, 0 :: v_dual_mov_b32 v0, 0
	scratch_store_b64 off, v[0:1], off offset:408 ; 8-byte Folded Spill
	s_wait_xcnt 0x0
	v_dual_mov_b32 v1, 0 :: v_dual_mov_b32 v0, 0
	scratch_store_b64 off, v[0:1], off offset:416 ; 8-byte Folded Spill
	s_wait_xcnt 0x0
	v_dual_mov_b32 v1, 0 :: v_dual_mov_b32 v0, 0
	scratch_store_b64 off, v[0:1], off offset:424 ; 8-byte Folded Spill
	s_wait_xcnt 0x0
	v_dual_mov_b32 v1, 0 :: v_dual_mov_b32 v0, 0
	scratch_store_b64 off, v[0:1], off offset:432 ; 8-byte Folded Spill
	s_wait_xcnt 0x0
	v_dual_mov_b32 v1, 0 :: v_dual_mov_b32 v0, 0
	scratch_store_b64 off, v[0:1], off offset:440 ; 8-byte Folded Spill
	s_wait_xcnt 0x0
	v_dual_mov_b32 v1, 0 :: v_dual_mov_b32 v0, 0
	scratch_store_b64 off, v[0:1], off offset:448 ; 8-byte Folded Spill
	s_wait_xcnt 0x0
	v_dual_mov_b32 v1, 0 :: v_dual_mov_b32 v0, 0
	scratch_store_b64 off, v[0:1], off offset:456 ; 8-byte Folded Spill
	s_wait_xcnt 0x0
	v_dual_mov_b32 v1, 0 :: v_dual_mov_b32 v0, 0
	scratch_store_b64 off, v[0:1], off offset:464 ; 8-byte Folded Spill
	s_wait_xcnt 0x0
	v_dual_mov_b32 v1, 0 :: v_dual_mov_b32 v0, 0
	scratch_store_b64 off, v[0:1], off offset:472 ; 8-byte Folded Spill
	s_wait_xcnt 0x0
	v_dual_mov_b32 v1, 0 :: v_dual_mov_b32 v0, 0
	scratch_store_b64 off, v[0:1], off offset:480 ; 8-byte Folded Spill
	s_wait_xcnt 0x0
	v_dual_mov_b32 v1, 0 :: v_dual_mov_b32 v0, 0
	scratch_store_b64 off, v[0:1], off offset:488 ; 8-byte Folded Spill
	s_wait_xcnt 0x0
	v_dual_mov_b32 v1, 0 :: v_dual_mov_b32 v0, 0
	scratch_store_b64 off, v[0:1], off offset:496 ; 8-byte Folded Spill
	s_wait_storecnt 0x0
	s_barrier_signal -1
	s_barrier_wait -1
	s_wait_xcnt 0x0
	s_and_saveexec_b32 s24, s2
	s_cbranch_execz .LBB43_143
; %bb.42:
	s_abs_i32 s25, s6
	s_clause 0x2
	scratch_load_b32 v0, off, off offset:564
	scratch_load_b32 v6, off, off offset:572
	scratch_load_b64 v[8:9], off, off th:TH_LOAD_LU
	s_cvt_f32_u32 s0, s25
	s_ashr_i32 s21, s20, 31
	s_sub_co_i32 s34, s7, s5
	s_mov_b32 s5, 0
	v_rcp_iflag_f32_e32 v1, s0
	s_lshl_b64 s[0:1], s[18:19], 2
	s_sub_co_i32 s18, 0, s25
	s_add_nc_u64 s[0:1], s[16:17], s[0:1]
	s_lshl_b64 s[6:7], s[20:21], 2
	s_ashr_i32 s3, s9, 31
	s_mov_b32 s2, s9
	v_nop
	v_readfirstlane_b32 s4, v1
	scratch_load_b32 v1, off, off offset:580 ; 4-byte Folded Reload
	s_add_co_i32 s9, s33, -1
	s_wait_kmcnt 0x0
	s_add_nc_u64 s[6:7], s[22:23], s[6:7]
	s_mov_b32 s16, s29
	s_mul_f32 s4, s4, 0x4f7ffffe
	s_mov_b32 s17, s5
	s_wait_loadcnt 0x1
	v_mov_b32_e32 v9, 0
	s_cvt_u32_f32 s4, s4
	s_delay_alu instid0(VALU_DEP_1) | instskip(NEXT) | instid1(SALU_CYCLE_2)
	v_dual_mov_b32 v18, v9 :: v_dual_mov_b32 v19, v9
	s_mul_i32 s18, s18, s4
	v_dual_mov_b32 v14, v9 :: v_dual_mov_b32 v15, v9
	v_lshlrev_b32_e32 v3, 2, v0
	v_and_b32_e32 v0, 0x7c, v70
	s_delay_alu instid0(VALU_DEP_2) | instskip(SKIP_2) | instid1(VALU_DEP_1)
	v_and_b32_e32 v2, 0x7c, v3
	s_wait_loadcnt 0x0
	v_dual_lshlrev_b32 v4, 4, v1 :: v_dual_bitop2_b32 v1, 28, v3 bitop3:0x40
	v_lshl_or_b32 v5, v6, 7, v4
	scratch_store_b32 off, v1, off offset:568 ; 4-byte Folded Spill
	s_wait_xcnt 0x0
	v_mov_b32_e32 v1, v9
	v_or_b32_e32 v4, 0xf80, v3
	s_delay_alu instid0(VALU_DEP_2) | instskip(SKIP_1) | instid1(SALU_CYCLE_1)
	v_add_nc_u64_e32 v[0:1], s[0:1], v[0:1]
	s_mul_hi_u32 s0, s4, s18
	s_add_co_i32 s4, s4, s0
	scratch_store_b64 off, v[0:1], off offset:8 ; 8-byte Folded Spill
	s_wait_xcnt 0x0
	v_add_nc_u32_e32 v0, 0x320, v5
	scratch_store_b32 off, v0, off offset:16 ; 4-byte Folded Spill
	s_wait_xcnt 0x0
	v_lshlrev_b32_e32 v0, 2, v2
	scratch_store_b64 off, v[0:1], off offset:528 ; 8-byte Folded Spill
	s_wait_xcnt 0x0
	v_lshlrev_b32_e32 v0, 2, v4
	s_clause 0x1
	scratch_store_b64 off, v[0:1], off offset:536
	scratch_store_b32 off, v6, off offset:32
	s_wait_xcnt 0x1
	v_dual_mov_b32 v0, v9 :: v_dual_mov_b32 v1, v9
	s_clause 0x15
	scratch_store_b64 off, v[0:1], off offset:520
	scratch_store_b64 off, v[0:1], off offset:512
	;; [unrolled: 1-line block ×22, first 2 shown]
	s_branch .LBB43_45
.LBB43_43:                              ;   in Loop: Header=BB43_45 Depth=1
	s_or_b32 exec_lo, exec_lo, s1
	s_wait_loadcnt_dscnt 0x200
	v_mul_f32_e32 v1, v6, v70
	s_wait_loadcnt 0x1
	v_mul_f32_e32 v0, v6, v74
	v_mul_f32_e32 v66, v6, v66
	;; [unrolled: 1-line block ×3, first 2 shown]
	v_dual_mul_f32 v54, v6, v54 :: v_dual_fmac_f32 v1, v7, v71
	s_delay_alu instid0(VALU_DEP_4) | instskip(NEXT) | instid1(VALU_DEP_4)
	v_fmac_f32_e32 v0, v7, v75
	v_fmac_f32_e32 v66, v7, v67
	s_delay_alu instid0(VALU_DEP_4) | instskip(NEXT) | instid1(VALU_DEP_4)
	v_dual_fmac_f32 v62, v7, v63 :: v_dual_mul_f32 v58, v6, v58
	v_fmac_f32_e32 v1, v8, v72
	s_delay_alu instid0(VALU_DEP_4) | instskip(NEXT) | instid1(VALU_DEP_4)
	v_fmac_f32_e32 v0, v8, v76
	v_fmac_f32_e32 v66, v8, v68
	s_delay_alu instid0(VALU_DEP_4) | instskip(NEXT) | instid1(VALU_DEP_4)
	v_dual_fmac_f32 v62, v8, v64 :: v_dual_mul_f32 v50, v6, v50
	v_fmac_f32_e32 v1, v9, v73
	s_delay_alu instid0(VALU_DEP_4) | instskip(NEXT) | instid1(VALU_DEP_4)
	v_fmac_f32_e32 v0, v9, v77
	v_fmac_f32_e32 v66, v9, v69
	scratch_load_b128 v[68:71], off, off offset:320 th:TH_LOAD_LU ; 16-byte Folded Reload
	v_dual_fmac_f32 v58, v7, v59 :: v_dual_mul_f32 v38, v6, v38
	v_dual_fmac_f32 v54, v7, v55 :: v_dual_mul_f32 v26, v6, v26
	;; [unrolled: 1-line block ×4, first 2 shown]
	s_delay_alu instid0(VALU_DEP_4) | instskip(NEXT) | instid1(VALU_DEP_4)
	v_dual_fmac_f32 v58, v8, v60 :: v_dual_mul_f32 v34, v6, v34
	v_dual_fmac_f32 v54, v8, v56 :: v_dual_mul_f32 v22, v6, v22
	s_delay_alu instid0(VALU_DEP_4) | instskip(NEXT) | instid1(VALU_DEP_4)
	v_dual_fmac_f32 v50, v8, v52 :: v_dual_mul_f32 v10, v6, v10
	v_fmac_f32_e32 v46, v7, v47
	s_delay_alu instid0(VALU_DEP_4) | instskip(NEXT) | instid1(VALU_DEP_4)
	v_dual_fmac_f32 v58, v9, v61 :: v_dual_mul_f32 v30, v6, v30
	v_dual_fmac_f32 v54, v9, v57 :: v_dual_mul_f32 v18, v6, v18
	v_fmac_f32_e32 v14, v7, v15
	v_dual_fmac_f32 v50, v9, v53 :: v_dual_mul_f32 v2, v6, v2
	v_dual_fmac_f32 v10, v7, v11 :: v_dual_mul_f32 v11, v6, v110
	s_delay_alu instid0(VALU_DEP_2) | instskip(SKIP_1) | instid1(VALU_DEP_3)
	v_dual_mul_f32 v15, v6, v98 :: v_dual_fmac_f32 v2, v7, v3
	v_dual_mul_f32 v3, v6, v122 :: v_dual_fmac_f32 v46, v8, v48
	v_fmac_f32_e32 v11, v7, v111
	v_fmac_f32_e32 v26, v7, v27
	s_delay_alu instid0(VALU_DEP_3) | instskip(NEXT) | instid1(VALU_DEP_4)
	v_dual_fmac_f32 v2, v8, v4 :: v_dual_fmac_f32 v3, v7, v123
	v_dual_fmac_f32 v46, v9, v49 :: v_dual_mul_f32 v4, v6, v118
	s_delay_alu instid0(VALU_DEP_2) | instskip(NEXT) | instid1(VALU_DEP_3)
	v_dual_fmac_f32 v11, v8, v112 :: v_dual_fmac_f32 v2, v9, v5
	v_dual_fmac_f32 v3, v8, v124 :: v_dual_fmac_f32 v38, v7, v39
	s_delay_alu instid0(VALU_DEP_3) | instskip(SKIP_1) | instid1(VALU_DEP_3)
	v_fmac_f32_e32 v4, v7, v119
	v_dual_fmac_f32 v34, v7, v35 :: v_dual_mul_f32 v5, v6, v114
	v_dual_fmac_f32 v3, v9, v125 :: v_dual_fmac_f32 v38, v8, v40
	s_delay_alu instid0(VALU_DEP_3) | instskip(NEXT) | instid1(VALU_DEP_3)
	v_fmac_f32_e32 v4, v8, v120
	v_fmac_f32_e32 v34, v8, v36
	s_delay_alu instid0(VALU_DEP_4) | instskip(NEXT) | instid1(VALU_DEP_4)
	v_dual_fmac_f32 v10, v8, v12 :: v_dual_fmac_f32 v5, v7, v115
	v_fmac_f32_e32 v38, v9, v41
	s_delay_alu instid0(VALU_DEP_4) | instskip(NEXT) | instid1(VALU_DEP_4)
	v_fmac_f32_e32 v4, v9, v121
	v_fmac_f32_e32 v34, v9, v37
	s_delay_alu instid0(VALU_DEP_4) | instskip(SKIP_2) | instid1(VALU_DEP_3)
	v_dual_fmac_f32 v30, v7, v31 :: v_dual_fmac_f32 v5, v8, v116
	v_fmac_f32_e32 v10, v9, v13
	v_dual_fmac_f32 v26, v8, v28 :: v_dual_fmac_f32 v11, v9, v113
	v_dual_fmac_f32 v30, v8, v32 :: v_dual_fmac_f32 v5, v9, v117
	s_delay_alu instid0(VALU_DEP_2) | instskip(NEXT) | instid1(VALU_DEP_2)
	v_dual_mul_f32 v12, v6, v106 :: v_dual_fmac_f32 v26, v9, v29
	v_dual_mul_f32 v13, v6, v102 :: v_dual_fmac_f32 v30, v9, v33
	scratch_load_b64 v[32:33], off, off offset:352 th:TH_LOAD_LU ; 8-byte Folded Reload
	v_fmac_f32_e32 v12, v7, v107
	v_fmac_f32_e32 v22, v7, v23
	;; [unrolled: 1-line block ×4, first 2 shown]
	s_delay_alu instid0(VALU_DEP_4) | instskip(NEXT) | instid1(VALU_DEP_4)
	v_dual_fmac_f32 v15, v7, v99 :: v_dual_fmac_f32 v12, v8, v108
	v_fmac_f32_e32 v22, v8, v24
	s_delay_alu instid0(VALU_DEP_4) | instskip(NEXT) | instid1(VALU_DEP_4)
	v_fmac_f32_e32 v13, v8, v104
	v_fmac_f32_e32 v18, v8, v20
	s_delay_alu instid0(VALU_DEP_4) | instskip(NEXT) | instid1(VALU_DEP_4)
	v_dual_fmac_f32 v15, v8, v100 :: v_dual_fmac_f32 v12, v9, v109
	v_fmac_f32_e32 v22, v9, v25
	s_delay_alu instid0(VALU_DEP_4) | instskip(NEXT) | instid1(VALU_DEP_4)
	v_fmac_f32_e32 v13, v9, v105
	v_fmac_f32_e32 v18, v9, v21
	s_delay_alu instid0(VALU_DEP_4) | instskip(SKIP_2) | instid1(VALU_DEP_3)
	v_dual_fmac_f32 v14, v8, v16 :: v_dual_fmac_f32 v15, v9, v101
	v_mul_f32_e32 v16, v6, v94
	v_mul_f32_e32 v19, v6, v86
	v_dual_mul_f32 v20, v6, v82 :: v_dual_fmac_f32 v14, v9, v17
	v_mul_f32_e32 v17, v6, v90
	s_delay_alu instid0(VALU_DEP_3) | instskip(NEXT) | instid1(VALU_DEP_3)
	v_dual_mul_f32 v21, v6, v78 :: v_dual_fmac_f32 v19, v7, v87
	v_fmac_f32_e32 v20, v7, v83
	scratch_load_b64 v[28:29], off, off offset:336 th:TH_LOAD_LU ; 8-byte Folded Reload
	v_fmac_f32_e32 v17, v7, v91
	v_dual_fmac_f32 v16, v7, v95 :: v_dual_fmac_f32 v19, v8, v88
	v_dual_fmac_f32 v20, v8, v84 :: v_dual_fmac_f32 v21, v7, v79
	s_delay_alu instid0(VALU_DEP_3) | instskip(NEXT) | instid1(VALU_DEP_3)
	v_fmac_f32_e32 v17, v8, v92
	v_dual_fmac_f32 v16, v8, v96 :: v_dual_fmac_f32 v19, v9, v89
	s_delay_alu instid0(VALU_DEP_3) | instskip(NEXT) | instid1(VALU_DEP_3)
	v_fmac_f32_e32 v20, v9, v85
	v_fmac_f32_e32 v17, v9, v93
	s_wait_loadcnt 0x2
	s_delay_alu instid0(VALU_DEP_3) | instskip(NEXT) | instid1(VALU_DEP_1)
	v_dual_fmac_f32 v16, v9, v97 :: v_dual_mul_f32 v23, v6, v68
	v_dual_fmac_f32 v21, v8, v80 :: v_dual_fmac_f32 v23, v7, v69
	s_delay_alu instid0(VALU_DEP_1) | instskip(NEXT) | instid1(VALU_DEP_1)
	v_dual_fmac_f32 v21, v9, v81 :: v_dual_fmac_f32 v23, v8, v70
	v_fmac_f32_e32 v23, v9, v71
	scratch_load_b128 v[68:71], off, off offset:304 th:TH_LOAD_LU ; 16-byte Folded Reload
	s_wait_loadcnt 0x2
	v_dual_add_f32 v32, v32, v66 :: v_dual_add_f32 v33, v33, v1
	s_wait_loadcnt 0x1
	v_add_f32_e32 v28, v28, v0
	scratch_load_b64 v[0:1], off, off offset:368 th:TH_LOAD_LU ; 8-byte Folded Reload
	s_wait_loadcnt 0x1
	v_mul_f32_e32 v24, v6, v68
	s_delay_alu instid0(VALU_DEP_1) | instskip(NEXT) | instid1(VALU_DEP_1)
	v_fmac_f32_e32 v24, v7, v69
	v_fmac_f32_e32 v24, v8, v70
	s_delay_alu instid0(VALU_DEP_1)
	v_fmac_f32_e32 v24, v9, v71
	scratch_load_b128 v[68:71], off, off offset:288 th:TH_LOAD_LU ; 16-byte Folded Reload
	s_wait_loadcnt 0x1
	v_add_f32_e32 v1, v1, v62
	v_add_f32_e32 v0, v0, v58
	s_clause 0x2
	scratch_store_b64 off, v[32:33], off offset:352
	scratch_store_b64 off, v[0:1], off offset:368
	scratch_load_b64 v[0:1], off, off offset:376 th:TH_LOAD_LU
	s_wait_loadcnt 0x0
	v_add_f32_e32 v1, v1, v54
	v_add_f32_e32 v0, v0, v50
	s_clause 0x1
	scratch_store_b64 off, v[0:1], off offset:376
	scratch_load_b64 v[0:1], off, off offset:384 th:TH_LOAD_LU
	s_wait_loadcnt 0x0
	v_add_f32_e32 v1, v1, v46
	v_add_f32_e32 v0, v0, v38
	s_clause 0x1
	;; [unrolled: 6-line block ×3, first 2 shown]
	scratch_load_b128 v[30:33], off, off offset:256 th:TH_LOAD_LU
	scratch_store_b64 off, v[0:1], off offset:392
	scratch_load_b64 v[0:1], off, off offset:400 th:TH_LOAD_LU
	s_wait_loadcnt 0x0
	v_add_f32_e32 v1, v1, v26
	v_add_f32_e32 v0, v0, v22
	s_clause 0x1
	scratch_store_b64 off, v[0:1], off offset:400
	scratch_load_b64 v[0:1], off, off offset:408 th:TH_LOAD_LU
	s_wait_loadcnt 0x0
	v_add_f32_e32 v1, v1, v18
	v_add_f32_e32 v0, v0, v14
	s_clause 0x1
	;; [unrolled: 6-line block ×3, first 2 shown]
	scratch_store_b64 off, v[0:1], off offset:416
	scratch_load_b64 v[0:1], off, off offset:424 th:TH_LOAD_LU
	s_wait_loadcnt 0x0
	v_dual_add_f32 v1, v1, v3 :: v_dual_add_f32 v0, v0, v4
	s_clause 0x1
	scratch_store_b64 off, v[0:1], off offset:424
	scratch_load_b64 v[0:1], off, off offset:432 th:TH_LOAD_LU
	s_wait_loadcnt 0x0
	v_dual_add_f32 v1, v1, v5 :: v_dual_add_f32 v0, v0, v11
	scratch_load_b128 v[2:5], off, off offset:272 th:TH_LOAD_LU ; 16-byte Folded Reload
	v_mul_f32_e32 v25, v6, v68
	s_clause 0x1
	scratch_store_b64 off, v[0:1], off offset:432
	scratch_load_b64 v[0:1], off, off offset:440 th:TH_LOAD_LU
	v_fmac_f32_e32 v25, v7, v69
	s_wait_loadcnt 0x0
	s_delay_alu instid0(VALU_DEP_1) | instskip(NEXT) | instid1(VALU_DEP_1)
	v_dual_fmac_f32 v25, v8, v70 :: v_dual_add_f32 v1, v1, v12
	v_dual_fmac_f32 v25, v9, v71 :: v_dual_add_f32 v0, v0, v13
	s_clause 0x2
	scratch_load_b128 v[10:13], off, off offset:192 th:TH_LOAD_LU
	scratch_store_b64 off, v[0:1], off offset:440
	scratch_load_b64 v[0:1], off, off offset:448 th:TH_LOAD_LU
	s_wait_loadcnt 0x0
	v_dual_add_f32 v1, v1, v15 :: v_dual_add_f32 v0, v0, v16
	scratch_store_b64 off, v[0:1], off offset:448 ; 8-byte Folded Spill
	s_wait_xcnt 0x0
	v_mul_f32_e32 v0, v6, v2
	s_delay_alu instid0(VALU_DEP_1)
	v_fmac_f32_e32 v0, v7, v3
	scratch_load_b64 v[2:3], off, off offset:456 th:TH_LOAD_LU ; 8-byte Folded Reload
	s_wait_loadcnt 0x0
	v_dual_fmac_f32 v0, v8, v4 :: v_dual_add_f32 v3, v3, v17
	v_add_f32_e32 v2, v2, v19
	s_clause 0x2
	scratch_load_b128 v[14:17], off, off offset:208 th:TH_LOAD_LU
	scratch_store_b64 off, v[2:3], off offset:456
	scratch_load_b64 v[2:3], off, off offset:464 th:TH_LOAD_LU
	s_wait_loadcnt 0x0
	v_dual_add_f32 v3, v3, v20 :: v_dual_add_f32 v2, v2, v21
	s_clause 0x2
	scratch_load_b128 v[18:21], off, off offset:224 th:TH_LOAD_LU
	scratch_store_b64 off, v[2:3], off offset:464
	scratch_load_b64 v[2:3], off, off offset:472 th:TH_LOAD_LU
	s_wait_loadcnt 0x0
	v_dual_add_f32 v3, v3, v23 :: v_dual_add_f32 v2, v2, v24
	s_clause 0x1
	scratch_store_b64 off, v[2:3], off offset:472
	scratch_load_b64 v[2:3], off, off offset:480 th:TH_LOAD_LU
	s_wait_loadcnt 0x0
	v_add_f32_e32 v3, v3, v25
	scratch_load_b128 v[22:25], off, off offset:240 th:TH_LOAD_LU ; 16-byte Folded Reload
	v_dual_fmac_f32 v0, v9, v5 :: v_dual_mul_f32 v1, v6, v30
	s_delay_alu instid0(VALU_DEP_1) | instskip(NEXT) | instid1(VALU_DEP_1)
	v_dual_add_f32 v2, v2, v0 :: v_dual_fmac_f32 v1, v7, v31
	v_fmac_f32_e32 v1, v8, v32
	s_delay_alu instid0(VALU_DEP_1) | instskip(SKIP_3) | instid1(VALU_DEP_1)
	v_fmac_f32_e32 v1, v9, v33
	scratch_load_b128 v[30:33], off, off offset:176 th:TH_LOAD_LU ; 16-byte Folded Reload
	s_wait_loadcnt 0x1
	v_mul_f32_e32 v0, v6, v22
	v_dual_fmac_f32 v0, v7, v23 :: v_dual_mul_f32 v4, v6, v10
	s_delay_alu instid0(VALU_DEP_1) | instskip(NEXT) | instid1(VALU_DEP_2)
	v_fmac_f32_e32 v0, v8, v24
	v_fmac_f32_e32 v4, v7, v11
	scratch_load_b64 v[10:11], off, off offset:488 th:TH_LOAD_LU ; 8-byte Folded Reload
	v_fmac_f32_e32 v4, v8, v12
	s_delay_alu instid0(VALU_DEP_1)
	v_fmac_f32_e32 v4, v9, v13
	v_fmac_f32_e32 v0, v9, v25
	scratch_load_b128 v[24:27], off, off offset:160 th:TH_LOAD_LU ; 16-byte Folded Reload
	s_wait_loadcnt 0x1
	v_dual_add_f32 v11, v11, v1 :: v_dual_add_f32 v10, v10, v0
	scratch_store_b64 off, v[2:3], off offset:480 ; 8-byte Folded Spill
	s_wait_xcnt 0x0
	v_mul_f32_e32 v3, v6, v14
	v_mul_f32_e32 v2, v6, v18
	s_clause 0x2
	scratch_load_b64 v[0:1], off, off offset:496 th:TH_LOAD_LU
	scratch_store_b64 off, v[10:11], off offset:488
	scratch_load_b64 v[10:11], off, off offset:504 th:TH_LOAD_LU
	v_fmac_f32_e32 v3, v7, v15
	v_fmac_f32_e32 v2, v7, v19
	scratch_load_b128 v[12:15], off, off offset:112 th:TH_LOAD_LU ; 16-byte Folded Reload
	v_fmac_f32_e32 v2, v8, v20
	s_delay_alu instid0(VALU_DEP_1)
	v_dual_fmac_f32 v3, v8, v16 :: v_dual_fmac_f32 v2, v9, v21
	scratch_load_b128 v[20:23], off, off offset:144 th:TH_LOAD_LU ; 16-byte Folded Reload
	v_fmac_f32_e32 v3, v9, v17
	scratch_load_b128 v[16:19], off, off offset:128 th:TH_LOAD_LU ; 16-byte Folded Reload
	s_wait_loadcnt 0x4
	v_dual_add_f32 v1, v1, v2 :: v_dual_add_f32 v0, v0, v3
	s_wait_loadcnt 0x3
	v_add_f32_e32 v11, v11, v4
	s_wait_loadcnt 0x1
	v_mul_f32_e32 v2, v6, v20
	scratch_store_b64 off, v[0:1], off offset:496 ; 8-byte Folded Spill
	s_wait_xcnt 0x0
	v_dual_mul_f32 v0, v6, v30 :: v_dual_mul_f32 v1, v6, v24
	v_dual_mul_f32 v4, v6, v12 :: v_dual_fmac_f32 v2, v7, v21
	s_wait_loadcnt 0x0
	s_delay_alu instid0(VALU_DEP_2) | instskip(NEXT) | instid1(VALU_DEP_3)
	v_dual_fmac_f32 v0, v7, v31 :: v_dual_mul_f32 v3, v6, v16
	v_fmac_f32_e32 v1, v7, v25
	s_delay_alu instid0(VALU_DEP_3) | instskip(NEXT) | instid1(VALU_DEP_3)
	v_fmac_f32_e32 v4, v7, v13
	v_dual_fmac_f32 v0, v8, v32 :: v_dual_fmac_f32 v3, v7, v17
	s_delay_alu instid0(VALU_DEP_3) | instskip(NEXT) | instid1(VALU_DEP_2)
	v_fmac_f32_e32 v1, v8, v26
	v_dual_fmac_f32 v2, v8, v22 :: v_dual_fmac_f32 v0, v9, v33
	s_delay_alu instid0(VALU_DEP_2) | instskip(NEXT) | instid1(VALU_DEP_2)
	v_dual_fmac_f32 v3, v8, v18 :: v_dual_fmac_f32 v1, v9, v27
	v_dual_fmac_f32 v4, v8, v14 :: v_dual_fmac_f32 v2, v9, v23
	s_clause 0x1
	scratch_load_b128 v[24:27], off, off offset:96 th:TH_LOAD_LU
	scratch_load_b128 v[20:23], off, off offset:80 th:TH_LOAD_LU
	v_dual_fmac_f32 v3, v9, v19 :: v_dual_add_f32 v10, v10, v0
	s_clause 0x2
	scratch_load_b128 v[16:19], off, off offset:64 th:TH_LOAD_LU
	scratch_store_b64 off, v[10:11], off offset:504
	scratch_load_b64 v[10:11], off, off offset:512 th:TH_LOAD_LU
	v_fmac_f32_e32 v4, v9, v15
	scratch_load_b128 v[12:15], off, off offset:48 th:TH_LOAD_LU ; 16-byte Folded Reload
	s_wait_loadcnt 0x1
	v_add_f32_e32 v11, v11, v1
	scratch_load_b64 v[0:1], off, off offset:520 th:TH_LOAD_LU ; 8-byte Folded Reload
	v_add_f32_e32 v10, v10, v2
	scratch_store_b64 off, v[10:11], off offset:512 ; 8-byte Folded Spill
	s_wait_loadcnt 0x1
	s_wait_xcnt 0x0
	v_mul_f32_e32 v11, v6, v12
	s_delay_alu instid0(VALU_DEP_1) | instskip(NEXT) | instid1(VALU_DEP_1)
	v_dual_mul_f32 v10, v6, v16 :: v_dual_fmac_f32 v11, v7, v13
	v_dual_fmac_f32 v10, v7, v17 :: v_dual_fmac_f32 v11, v8, v14
	s_delay_alu instid0(VALU_DEP_1) | instskip(NEXT) | instid1(VALU_DEP_1)
	v_fmac_f32_e32 v10, v8, v18
	v_fmac_f32_e32 v10, v9, v19
	scratch_load_b64 v[18:19], off, off offset:544 th:TH_LOAD_LU ; 8-byte Folded Reload
	v_fmac_f32_e32 v11, v9, v15
	scratch_load_b64 v[14:15], off, off offset:552 th:TH_LOAD_LU ; 8-byte Folded Reload
	s_wait_loadcnt 0x2
	v_dual_add_f32 v1, v1, v3 :: v_dual_add_f32 v0, v0, v4
	v_mul_f32_e32 v4, v6, v20
	v_mul_f32_e32 v5, v6, v24
	v_pk_mul_f32 v[2:3], v[8:9], v[44:45]
	s_delay_alu instid0(VALU_DEP_3) | instskip(NEXT) | instid1(VALU_DEP_3)
	v_fmac_f32_e32 v4, v7, v21
	v_fmac_f32_e32 v5, v7, v25
	scratch_store_b64 off, v[0:1], off offset:520 ; 8-byte Folded Spill
	s_wait_xcnt 0x0
	v_pk_mul_f32 v[0:1], v[6:7], v[42:43]
	v_fmac_f32_e32 v4, v8, v22
	s_delay_alu instid0(VALU_DEP_2) | instskip(NEXT) | instid1(VALU_DEP_1)
	v_dual_fmac_f32 v5, v8, v26 :: v_dual_add_f32 v0, v1, v0
	v_dual_fmac_f32 v5, v9, v27 :: v_dual_add_f32 v0, v2, v0
	s_wait_loadcnt 0x1
	s_delay_alu instid0(VALU_DEP_1) | instskip(NEXT) | instid1(VALU_DEP_2)
	v_dual_fmac_f32 v4, v9, v23 :: v_dual_add_f32 v19, v19, v5
	v_add_f32_e32 v0, v3, v0
	s_wait_loadcnt 0x0
	s_delay_alu instid0(VALU_DEP_2) | instskip(NEXT) | instid1(VALU_DEP_2)
	v_dual_add_f32 v18, v18, v4 :: v_dual_add_f32 v15, v15, v10
	v_dual_add_f32 v14, v14, v11 :: v_dual_add_f32 v29, v29, v0
	scratch_store_b64 off, v[28:29], off offset:336 ; 8-byte Folded Spill
.LBB43_44:                              ;   in Loop: Header=BB43_45 Depth=1
	s_wait_xcnt 0x0
	s_or_b32 exec_lo, exec_lo, s18
	s_clause 0x1
	scratch_load_b32 v0, off, off offset:32 th:TH_LOAD_LU
	scratch_load_b64 v[8:9], off, off th:TH_LOAD_LU
	s_wait_loadcnt 0x1
	v_add_nc_u32_e32 v0, 4, v0
	s_wait_loadcnt 0x0
	v_add_nc_u32_e32 v8, 0x80, v8
	scratch_store_b32 off, v0, off offset:32 ; 4-byte Folded Spill
	v_cmp_le_i32_e32 vcc_lo, s33, v0
	scratch_load_b64 v[0:1], off, off offset:8 ; 8-byte Folded Reload
	s_or_b32 s17, vcc_lo, s17
	s_wait_loadcnt 0x0
	v_add_nc_u64_e32 v[0:1], 16, v[0:1]
	s_clause 0x1
	scratch_store_b64 off, v[0:1], off offset:8
	scratch_load_b32 v0, off, off offset:16
	s_wait_loadcnt 0x0
	v_add_nc_u32_e32 v0, 0x200, v0
	scratch_store_b32 off, v0, off offset:16 ; 4-byte Folded Spill
	s_wait_xcnt 0x0
	s_and_not1_b32 exec_lo, exec_lo, s17
	s_cbranch_execz .LBB43_142
.LBB43_45:                              ; =>This Inner Loop Header: Depth=1
	s_wait_xcnt 0x16
	v_mov_b64_e32 v[6:7], v[8:9]
	s_wait_xcnt 0x0
	s_delay_alu instid0(VALU_DEP_1) | instskip(SKIP_2) | instid1(VALU_DEP_1)
	v_mul_u64_e32 v[0:1], s[14:15], v[6:7]
	scratch_store_b64 off, v[6:7], off      ; 8-byte Folded Spill
	v_mul_lo_u32 v0, v1, s13
	v_dual_add_nc_u32 v2, 1, v1 :: v_dual_sub_nc_u32 v0, v6, v0
	s_delay_alu instid0(VALU_DEP_1) | instskip(SKIP_1) | instid1(VALU_DEP_2)
	v_subrev_nc_u32_e32 v3, s13, v0
	v_cmp_le_u32_e32 vcc_lo, s13, v0
	v_dual_cndmask_b32 v1, v1, v2 :: v_dual_cndmask_b32 v0, v0, v3
	s_delay_alu instid0(VALU_DEP_1) | instskip(NEXT) | instid1(VALU_DEP_2)
	v_add_nc_u32_e32 v2, 1, v1
	v_cmp_le_u32_e32 vcc_lo, s13, v0
	s_delay_alu instid0(VALU_DEP_2) | instskip(NEXT) | instid1(VALU_DEP_1)
	v_dual_cndmask_b32 v0, v1, v2 :: v_dual_mov_b32 v1, v7
	v_xor_b32_e32 v0, s31, v0
	s_delay_alu instid0(VALU_DEP_1) | instskip(NEXT) | instid1(VALU_DEP_1)
	v_subrev_nc_u32_e32 v4, s31, v0
	v_add_nc_u32_e32 v5, s30, v4
	v_cmp_lt_i32_e64 s0, s34, v4
	s_delay_alu instid0(VALU_DEP_2) | instskip(NEXT) | instid1(VALU_DEP_1)
	v_sub_nc_u32_e32 v0, 0, v5
	v_max_i32_e32 v0, v5, v0
	s_delay_alu instid0(VALU_DEP_1) | instskip(SKIP_1) | instid1(VALU_DEP_2)
	v_mul_u64_e32 v[2:3], s[4:5], v[0:1]
	v_ashrrev_i32_e32 v2, 31, v5
	v_mul_lo_u32 v1, v3, s25
	s_delay_alu instid0(VALU_DEP_1) | instskip(NEXT) | instid1(VALU_DEP_1)
	v_sub_nc_u32_e32 v0, v0, v1
	v_subrev_nc_u32_e32 v1, s25, v0
	v_cmp_le_u32_e32 vcc_lo, s25, v0
	s_delay_alu instid0(VALU_DEP_2) | instskip(NEXT) | instid1(VALU_DEP_1)
	v_cndmask_b32_e32 v0, v0, v1, vcc_lo
	v_subrev_nc_u32_e32 v1, s25, v0
	v_cmp_le_u32_e32 vcc_lo, s25, v0
	s_delay_alu instid0(VALU_DEP_2) | instskip(NEXT) | instid1(VALU_DEP_1)
	v_cndmask_b32_e32 v0, v0, v1, vcc_lo
	v_xor_b32_e32 v0, v0, v2
	s_delay_alu instid0(VALU_DEP_1) | instskip(NEXT) | instid1(VALU_DEP_1)
	v_sub_nc_u32_e32 v0, v0, v2
	v_cmp_eq_u32_e32 vcc_lo, 0, v0
	s_or_b32 s0, vcc_lo, s0
	s_wait_xcnt 0x0
	s_and_saveexec_b32 s18, s0
	s_cbranch_execz .LBB43_44
; %bb.46:                               ;   in Loop: Header=BB43_45 Depth=1
	s_clause 0x2
	scratch_store_b64 off, v[14:15], off offset:552
	scratch_store_b64 off, v[18:19], off offset:544
	scratch_load_b64 v[0:1], off, off offset:8
	s_wait_loadcnt 0x0
	global_load_b32 v0, v[0:1], off
	s_wait_loadcnt 0x0
	v_ashrrev_i32_e32 v1, 31, v0
	s_delay_alu instid0(VALU_DEP_1) | instskip(NEXT) | instid1(VALU_DEP_1)
	v_mul_u64_e32 v[0:1], s[2:3], v[0:1]
	v_lshl_add_u64 v[10:11], v[0:1], 2, s[6:7]
	s_clause 0x1
	scratch_load_b64 v[0:1], off, off
	scratch_load_b64 v[2:3], off, off offset:528 th:TH_LOAD_LU
	s_wait_loadcnt 0x0
	v_mov_b32_e32 v3, v1
	scratch_load_b32 v1, off, off offset:16 ; 4-byte Folded Reload
	v_mov_b32_e32 v4, v2
	scratch_store_b64 off, v[4:5], off offset:528 ; 8-byte Folded Spill
	s_wait_loadcnt 0x0
	ds_load_b128 v[6:9], v1
	scratch_load_b32 v1, off, off offset:568 ; 4-byte Folded Reload
	s_wait_loadcnt 0x0
	v_add_nc_u32_e32 v126, v1, v0
	v_add_nc_u64_e32 v[42:43], v[10:11], v[2:3]
	scratch_load_b32 v0, off, off offset:32 ; 4-byte Folded Reload
	v_dual_add_nc_u32 v1, 1, v126 :: v_dual_bitop2_b32 v127, 2, v126 bitop3:0x54
	global_load_b128 v[2:5], v[42:43], off
	s_wait_loadcnt 0x1
	v_cmp_eq_u32_e32 vcc_lo, s9, v0
	v_or_b32_e32 v0, 3, v126
	s_wait_loadcnt 0x0
	scratch_store_b128 off, v[2:5], off offset:48 ; 16-byte Folded Spill
	s_wait_xcnt 0x0
	s_and_saveexec_b32 s1, vcc_lo
	s_cbranch_execz .LBB43_48
; %bb.47:                               ;   in Loop: Header=BB43_45 Depth=1
	scratch_load_b128 v[2:5], off, off offset:48 th:TH_LOAD_LU ; 16-byte Folded Reload
	v_cmp_gt_i32_e64 s0, s16, v1
	s_wait_loadcnt 0x0
	s_delay_alu instid0(VALU_DEP_1) | instskip(SKIP_1) | instid1(VALU_DEP_1)
	v_cndmask_b32_e64 v3, 0, v3, s0
	v_cmp_gt_i32_e64 s0, s29, v126
	v_cndmask_b32_e64 v2, 0, v2, s0
	v_cmp_gt_i32_e64 s0, s16, v0
	s_delay_alu instid0(VALU_DEP_1) | instskip(SKIP_1) | instid1(VALU_DEP_1)
	v_cndmask_b32_e64 v5, 0, v5, s0
	v_cmp_gt_i32_e64 s0, s29, v127
	v_cndmask_b32_e64 v4, 0, v4, s0
	scratch_store_b128 off, v[2:5], off offset:48 ; 16-byte Folded Spill
.LBB43_48:                              ;   in Loop: Header=BB43_45 Depth=1
	s_wait_xcnt 0x0
	s_or_b32 exec_lo, exec_lo, s1
	global_load_b128 v[2:5], v[42:43], off offset:512
	s_wait_loadcnt 0x0
	scratch_store_b128 off, v[2:5], off offset:64 ; 16-byte Folded Spill
	s_wait_xcnt 0x0
	s_and_saveexec_b32 s1, vcc_lo
	s_cbranch_execz .LBB43_50
; %bb.49:                               ;   in Loop: Header=BB43_45 Depth=1
	scratch_load_b128 v[2:5], off, off offset:64 th:TH_LOAD_LU ; 16-byte Folded Reload
	v_cmp_gt_i32_e64 s0, s16, v1
	s_wait_loadcnt 0x0
	s_delay_alu instid0(VALU_DEP_1) | instskip(SKIP_1) | instid1(VALU_DEP_1)
	v_cndmask_b32_e64 v3, 0, v3, s0
	v_cmp_gt_i32_e64 s0, s29, v126
	v_cndmask_b32_e64 v2, 0, v2, s0
	v_cmp_gt_i32_e64 s0, s16, v0
	s_delay_alu instid0(VALU_DEP_1) | instskip(SKIP_1) | instid1(VALU_DEP_1)
	v_cndmask_b32_e64 v5, 0, v5, s0
	v_cmp_gt_i32_e64 s0, s29, v127
	v_cndmask_b32_e64 v4, 0, v4, s0
	scratch_store_b128 off, v[2:5], off offset:64 ; 16-byte Folded Spill
.LBB43_50:                              ;   in Loop: Header=BB43_45 Depth=1
	s_wait_xcnt 0x0
	s_or_b32 exec_lo, exec_lo, s1
	global_load_b128 v[2:5], v[42:43], off offset:1024
	;; [unrolled: 23-line block ×13, first 2 shown]
	s_wait_loadcnt 0x0
	scratch_store_b128 off, v[2:5], off offset:256 ; 16-byte Folded Spill
	s_wait_xcnt 0x0
	s_and_saveexec_b32 s19, vcc_lo
	s_cbranch_execz .LBB43_74
; %bb.73:                               ;   in Loop: Header=BB43_45 Depth=1
	scratch_load_b128 v[2:5], off, off offset:256 th:TH_LOAD_LU ; 16-byte Folded Reload
	v_cmp_gt_i32_e64 s0, s29, v126
	v_cmp_gt_i32_e64 s1, s16, v1
	s_wait_loadcnt 0x0
	s_delay_alu instid0(VALU_DEP_1) | instskip(SKIP_2) | instid1(VALU_DEP_1)
	v_dual_cndmask_b32 v3, 0, v3, s1 :: v_dual_cndmask_b32 v2, 0, v2, s0
	v_cmp_gt_i32_e64 s0, s29, v127
	v_cmp_gt_i32_e64 s1, s16, v0
	v_dual_cndmask_b32 v4, 0, v4, s0 :: v_dual_cndmask_b32 v5, 0, v5, s1
	scratch_store_b128 off, v[2:5], off offset:256 ; 16-byte Folded Spill
.LBB43_74:                              ;   in Loop: Header=BB43_45 Depth=1
	s_wait_xcnt 0x0
	s_or_b32 exec_lo, exec_lo, s19
	global_load_b128 v[2:5], v[42:43], off offset:7168
	s_wait_loadcnt 0x0
	scratch_store_b128 off, v[2:5], off offset:272 ; 16-byte Folded Spill
	s_wait_xcnt 0x0
	s_and_saveexec_b32 s19, vcc_lo
	s_cbranch_execz .LBB43_76
; %bb.75:                               ;   in Loop: Header=BB43_45 Depth=1
	scratch_load_b128 v[2:5], off, off offset:272 th:TH_LOAD_LU ; 16-byte Folded Reload
	v_cmp_gt_i32_e64 s0, s29, v126
	v_cmp_gt_i32_e64 s1, s16, v1
	s_wait_loadcnt 0x0
	s_delay_alu instid0(VALU_DEP_1) | instskip(SKIP_2) | instid1(VALU_DEP_1)
	v_dual_cndmask_b32 v3, 0, v3, s1 :: v_dual_cndmask_b32 v2, 0, v2, s0
	v_cmp_gt_i32_e64 s0, s29, v127
	v_cmp_gt_i32_e64 s1, s16, v0
	v_dual_cndmask_b32 v4, 0, v4, s0 :: v_dual_cndmask_b32 v5, 0, v5, s1
	scratch_store_b128 off, v[2:5], off offset:272 ; 16-byte Folded Spill
.LBB43_76:                              ;   in Loop: Header=BB43_45 Depth=1
	s_wait_xcnt 0x0
	s_or_b32 exec_lo, exec_lo, s19
	global_load_b128 v[2:5], v[42:43], off offset:7680
	;; [unrolled: 20-line block ×4, first 2 shown]
	s_wait_loadcnt 0x0
	scratch_store_b128 off, v[2:5], off offset:320 ; 16-byte Folded Spill
	s_wait_xcnt 0x0
	s_and_saveexec_b32 s19, vcc_lo
	s_cbranch_execnz .LBB43_112
; %bb.81:                               ;   in Loop: Header=BB43_45 Depth=1
	s_or_b32 exec_lo, exec_lo, s19
	global_load_b128 v[78:81], v[42:43], off offset:9216
	s_wait_xcnt 0x0
	s_and_saveexec_b32 s19, vcc_lo
	s_cbranch_execnz .LBB43_113
.LBB43_82:                              ;   in Loop: Header=BB43_45 Depth=1
	s_or_b32 exec_lo, exec_lo, s19
	global_load_b128 v[82:85], v[42:43], off offset:9728
	s_wait_xcnt 0x0
	s_and_saveexec_b32 s19, vcc_lo
	s_cbranch_execnz .LBB43_114
.LBB43_83:                              ;   in Loop: Header=BB43_45 Depth=1
	s_or_b32 exec_lo, exec_lo, s19
	global_load_b128 v[86:89], v[42:43], off offset:10240
	s_wait_xcnt 0x0
	s_and_saveexec_b32 s19, vcc_lo
	s_cbranch_execnz .LBB43_115
.LBB43_84:                              ;   in Loop: Header=BB43_45 Depth=1
	s_or_b32 exec_lo, exec_lo, s19
	global_load_b128 v[90:93], v[42:43], off offset:10752
	s_wait_xcnt 0x0
	s_and_saveexec_b32 s19, vcc_lo
	s_cbranch_execnz .LBB43_116
.LBB43_85:                              ;   in Loop: Header=BB43_45 Depth=1
	s_or_b32 exec_lo, exec_lo, s19
	global_load_b128 v[94:97], v[42:43], off offset:11264
	s_wait_xcnt 0x0
	s_and_saveexec_b32 s19, vcc_lo
	s_cbranch_execnz .LBB43_117
.LBB43_86:                              ;   in Loop: Header=BB43_45 Depth=1
	s_or_b32 exec_lo, exec_lo, s19
	global_load_b128 v[98:101], v[42:43], off offset:11776
	s_wait_xcnt 0x0
	s_and_saveexec_b32 s19, vcc_lo
	s_cbranch_execnz .LBB43_118
.LBB43_87:                              ;   in Loop: Header=BB43_45 Depth=1
	s_or_b32 exec_lo, exec_lo, s19
	global_load_b128 v[102:105], v[42:43], off offset:12288
	s_wait_xcnt 0x0
	s_and_saveexec_b32 s19, vcc_lo
	s_cbranch_execnz .LBB43_119
.LBB43_88:                              ;   in Loop: Header=BB43_45 Depth=1
	s_or_b32 exec_lo, exec_lo, s19
	global_load_b128 v[106:109], v[42:43], off offset:12800
	s_wait_xcnt 0x0
	s_and_saveexec_b32 s19, vcc_lo
	s_cbranch_execnz .LBB43_120
.LBB43_89:                              ;   in Loop: Header=BB43_45 Depth=1
	s_or_b32 exec_lo, exec_lo, s19
	global_load_b128 v[110:113], v[42:43], off offset:13312
	s_wait_xcnt 0x0
	s_and_saveexec_b32 s19, vcc_lo
	s_cbranch_execnz .LBB43_121
.LBB43_90:                              ;   in Loop: Header=BB43_45 Depth=1
	s_or_b32 exec_lo, exec_lo, s19
	global_load_b128 v[114:117], v[42:43], off offset:13824
	s_wait_xcnt 0x0
	s_and_saveexec_b32 s19, vcc_lo
	s_cbranch_execnz .LBB43_122
.LBB43_91:                              ;   in Loop: Header=BB43_45 Depth=1
	s_or_b32 exec_lo, exec_lo, s19
	global_load_b128 v[118:121], v[42:43], off offset:14336
	s_wait_xcnt 0x0
	s_and_saveexec_b32 s19, vcc_lo
	s_cbranch_execnz .LBB43_123
.LBB43_92:                              ;   in Loop: Header=BB43_45 Depth=1
	s_or_b32 exec_lo, exec_lo, s19
	global_load_b128 v[122:125], v[42:43], off offset:14848
	s_wait_xcnt 0x0
	s_and_saveexec_b32 s19, vcc_lo
	s_cbranch_execnz .LBB43_124
.LBB43_93:                              ;   in Loop: Header=BB43_45 Depth=1
	s_or_b32 exec_lo, exec_lo, s19
	global_load_b128 v[2:5], v[42:43], off offset:15360
	s_wait_xcnt 0x0
	s_and_saveexec_b32 s19, vcc_lo
	s_cbranch_execz .LBB43_95
.LBB43_94:                              ;   in Loop: Header=BB43_45 Depth=1
	v_cmp_gt_i32_e64 s0, s29, v126
	v_cmp_gt_i32_e64 s1, s16, v1
	s_wait_loadcnt 0x0
	s_delay_alu instid0(VALU_DEP_1) | instskip(SKIP_2) | instid1(VALU_DEP_1)
	v_dual_cndmask_b32 v2, 0, v2, s0 :: v_dual_cndmask_b32 v3, 0, v3, s1
	v_cmp_gt_i32_e64 s0, s29, v127
	v_cmp_gt_i32_e64 s1, s16, v0
	v_dual_cndmask_b32 v4, 0, v4, s0 :: v_dual_cndmask_b32 v5, 0, v5, s1
.LBB43_95:                              ;   in Loop: Header=BB43_45 Depth=1
	s_or_b32 exec_lo, exec_lo, s19
	s_clause 0x1
	scratch_load_b64 v[12:13], off, off
	scratch_load_b64 v[14:15], off, off offset:536 th:TH_LOAD_LU
	s_wait_loadcnt 0x0
	v_mov_b32_e32 v12, v14
	scratch_store_b64 off, v[14:15], off offset:536 ; 8-byte Folded Spill
	v_add_nc_u64_e32 v[10:11], v[10:11], v[12:13]
	global_load_b128 v[10:13], v[10:11], off
	s_wait_xcnt 0x0
	s_and_saveexec_b32 s19, vcc_lo
	s_cbranch_execnz .LBB43_125
; %bb.96:                               ;   in Loop: Header=BB43_45 Depth=1
	s_or_b32 exec_lo, exec_lo, s19
	global_load_b128 v[14:17], v[42:43], off offset:16384
	s_wait_xcnt 0x0
	s_and_saveexec_b32 s19, vcc_lo
	s_cbranch_execnz .LBB43_126
.LBB43_97:                              ;   in Loop: Header=BB43_45 Depth=1
	s_or_b32 exec_lo, exec_lo, s19
	global_load_b128 v[18:21], v[42:43], off offset:16896
	s_wait_xcnt 0x0
	s_and_saveexec_b32 s19, vcc_lo
	s_cbranch_execnz .LBB43_127
.LBB43_98:                              ;   in Loop: Header=BB43_45 Depth=1
	s_or_b32 exec_lo, exec_lo, s19
	global_load_b128 v[22:25], v[42:43], off offset:17408
	s_wait_xcnt 0x0
	s_and_saveexec_b32 s19, vcc_lo
	s_cbranch_execnz .LBB43_128
.LBB43_99:                              ;   in Loop: Header=BB43_45 Depth=1
	s_or_b32 exec_lo, exec_lo, s19
	global_load_b128 v[26:29], v[42:43], off offset:17920
	s_wait_xcnt 0x0
	s_and_saveexec_b32 s19, vcc_lo
	s_cbranch_execnz .LBB43_129
.LBB43_100:                             ;   in Loop: Header=BB43_45 Depth=1
	s_or_b32 exec_lo, exec_lo, s19
	global_load_b128 v[30:33], v[42:43], off offset:18432
	s_wait_xcnt 0x0
	s_and_saveexec_b32 s19, vcc_lo
	s_cbranch_execnz .LBB43_130
.LBB43_101:                             ;   in Loop: Header=BB43_45 Depth=1
	s_or_b32 exec_lo, exec_lo, s19
	global_load_b128 v[34:37], v[42:43], off offset:18944
	s_wait_xcnt 0x0
	s_and_saveexec_b32 s19, vcc_lo
	s_cbranch_execnz .LBB43_131
.LBB43_102:                             ;   in Loop: Header=BB43_45 Depth=1
	s_or_b32 exec_lo, exec_lo, s19
	global_load_b128 v[38:41], v[42:43], off offset:19456
	s_wait_xcnt 0x0
	s_and_saveexec_b32 s19, vcc_lo
	s_cbranch_execnz .LBB43_132
.LBB43_103:                             ;   in Loop: Header=BB43_45 Depth=1
	s_or_b32 exec_lo, exec_lo, s19
	global_load_b128 v[46:49], v[42:43], off offset:19968
	s_wait_xcnt 0x0
	s_and_saveexec_b32 s19, vcc_lo
	s_cbranch_execnz .LBB43_133
.LBB43_104:                             ;   in Loop: Header=BB43_45 Depth=1
	s_or_b32 exec_lo, exec_lo, s19
	global_load_b128 v[50:53], v[42:43], off offset:20480
	s_wait_xcnt 0x0
	s_and_saveexec_b32 s19, vcc_lo
	s_cbranch_execnz .LBB43_134
.LBB43_105:                             ;   in Loop: Header=BB43_45 Depth=1
	s_or_b32 exec_lo, exec_lo, s19
	global_load_b128 v[54:57], v[42:43], off offset:20992
	s_wait_xcnt 0x0
	s_and_saveexec_b32 s19, vcc_lo
	s_cbranch_execnz .LBB43_135
.LBB43_106:                             ;   in Loop: Header=BB43_45 Depth=1
	s_or_b32 exec_lo, exec_lo, s19
	global_load_b128 v[58:61], v[42:43], off offset:21504
	s_wait_xcnt 0x0
	s_and_saveexec_b32 s19, vcc_lo
	s_cbranch_execnz .LBB43_136
.LBB43_107:                             ;   in Loop: Header=BB43_45 Depth=1
	s_or_b32 exec_lo, exec_lo, s19
	global_load_b128 v[62:65], v[42:43], off offset:22016
	s_wait_xcnt 0x0
	s_and_saveexec_b32 s19, vcc_lo
	s_cbranch_execnz .LBB43_137
.LBB43_108:                             ;   in Loop: Header=BB43_45 Depth=1
	s_or_b32 exec_lo, exec_lo, s19
	global_load_b128 v[66:69], v[42:43], off offset:22528
	s_wait_xcnt 0x0
	s_and_saveexec_b32 s19, vcc_lo
	s_cbranch_execnz .LBB43_138
.LBB43_109:                             ;   in Loop: Header=BB43_45 Depth=1
	s_or_b32 exec_lo, exec_lo, s19
	global_load_b128 v[70:73], v[42:43], off offset:23040
	s_wait_xcnt 0x0
	s_and_saveexec_b32 s19, vcc_lo
	s_cbranch_execnz .LBB43_139
.LBB43_110:                             ;   in Loop: Header=BB43_45 Depth=1
	s_or_b32 exec_lo, exec_lo, s19
	global_load_b128 v[74:77], v[42:43], off offset:23552
	s_wait_xcnt 0x0
	s_and_saveexec_b32 s19, vcc_lo
	s_cbranch_execnz .LBB43_140
.LBB43_111:                             ;   in Loop: Header=BB43_45 Depth=1
	s_or_b32 exec_lo, exec_lo, s19
	global_load_b128 v[42:45], v[42:43], off offset:24064
	s_wait_xcnt 0x0
	s_and_saveexec_b32 s1, vcc_lo
	s_cbranch_execz .LBB43_43
	s_branch .LBB43_141
.LBB43_112:                             ;   in Loop: Header=BB43_45 Depth=1
	scratch_load_b128 v[2:5], off, off offset:320 th:TH_LOAD_LU ; 16-byte Folded Reload
	v_cmp_gt_i32_e64 s0, s29, v126
	v_cmp_gt_i32_e64 s1, s16, v1
	s_wait_loadcnt 0x0
	s_delay_alu instid0(VALU_DEP_1) | instskip(SKIP_2) | instid1(VALU_DEP_1)
	v_dual_cndmask_b32 v3, 0, v3, s1 :: v_dual_cndmask_b32 v2, 0, v2, s0
	v_cmp_gt_i32_e64 s0, s29, v127
	v_cmp_gt_i32_e64 s1, s16, v0
	v_dual_cndmask_b32 v4, 0, v4, s0 :: v_dual_cndmask_b32 v5, 0, v5, s1
	scratch_store_b128 off, v[2:5], off offset:320 ; 16-byte Folded Spill
	s_wait_xcnt 0x0
	s_or_b32 exec_lo, exec_lo, s19
	global_load_b128 v[78:81], v[42:43], off offset:9216
	s_wait_xcnt 0x0
	s_and_saveexec_b32 s19, vcc_lo
	s_cbranch_execz .LBB43_82
.LBB43_113:                             ;   in Loop: Header=BB43_45 Depth=1
	v_cmp_gt_i32_e64 s0, s29, v126
	v_cmp_gt_i32_e64 s1, s16, v1
	s_wait_loadcnt 0x0
	s_delay_alu instid0(VALU_DEP_1) | instskip(SKIP_2) | instid1(VALU_DEP_1)
	v_dual_cndmask_b32 v78, 0, v78, s0 :: v_dual_cndmask_b32 v79, 0, v79, s1
	v_cmp_gt_i32_e64 s0, s29, v127
	v_cmp_gt_i32_e64 s1, s16, v0
	v_dual_cndmask_b32 v80, 0, v80, s0 :: v_dual_cndmask_b32 v81, 0, v81, s1
	s_or_b32 exec_lo, exec_lo, s19
	global_load_b128 v[82:85], v[42:43], off offset:9728
	s_wait_xcnt 0x0
	s_and_saveexec_b32 s19, vcc_lo
	s_cbranch_execz .LBB43_83
.LBB43_114:                             ;   in Loop: Header=BB43_45 Depth=1
	v_cmp_gt_i32_e64 s0, s29, v126
	v_cmp_gt_i32_e64 s1, s16, v1
	s_wait_loadcnt 0x0
	s_delay_alu instid0(VALU_DEP_1) | instskip(SKIP_2) | instid1(VALU_DEP_1)
	v_dual_cndmask_b32 v82, 0, v82, s0 :: v_dual_cndmask_b32 v83, 0, v83, s1
	v_cmp_gt_i32_e64 s0, s29, v127
	v_cmp_gt_i32_e64 s1, s16, v0
	v_dual_cndmask_b32 v84, 0, v84, s0 :: v_dual_cndmask_b32 v85, 0, v85, s1
	s_or_b32 exec_lo, exec_lo, s19
	global_load_b128 v[86:89], v[42:43], off offset:10240
	s_wait_xcnt 0x0
	s_and_saveexec_b32 s19, vcc_lo
	s_cbranch_execz .LBB43_84
.LBB43_115:                             ;   in Loop: Header=BB43_45 Depth=1
	v_cmp_gt_i32_e64 s0, s29, v126
	v_cmp_gt_i32_e64 s1, s16, v1
	s_wait_loadcnt 0x0
	s_delay_alu instid0(VALU_DEP_1) | instskip(SKIP_2) | instid1(VALU_DEP_1)
	v_dual_cndmask_b32 v86, 0, v86, s0 :: v_dual_cndmask_b32 v87, 0, v87, s1
	v_cmp_gt_i32_e64 s0, s29, v127
	v_cmp_gt_i32_e64 s1, s16, v0
	v_dual_cndmask_b32 v88, 0, v88, s0 :: v_dual_cndmask_b32 v89, 0, v89, s1
	s_or_b32 exec_lo, exec_lo, s19
	global_load_b128 v[90:93], v[42:43], off offset:10752
	s_wait_xcnt 0x0
	s_and_saveexec_b32 s19, vcc_lo
	s_cbranch_execz .LBB43_85
.LBB43_116:                             ;   in Loop: Header=BB43_45 Depth=1
	v_cmp_gt_i32_e64 s0, s29, v126
	v_cmp_gt_i32_e64 s1, s16, v1
	s_wait_loadcnt 0x0
	s_delay_alu instid0(VALU_DEP_1) | instskip(SKIP_2) | instid1(VALU_DEP_1)
	v_dual_cndmask_b32 v90, 0, v90, s0 :: v_dual_cndmask_b32 v91, 0, v91, s1
	v_cmp_gt_i32_e64 s0, s29, v127
	v_cmp_gt_i32_e64 s1, s16, v0
	v_dual_cndmask_b32 v92, 0, v92, s0 :: v_dual_cndmask_b32 v93, 0, v93, s1
	s_or_b32 exec_lo, exec_lo, s19
	global_load_b128 v[94:97], v[42:43], off offset:11264
	s_wait_xcnt 0x0
	s_and_saveexec_b32 s19, vcc_lo
	s_cbranch_execz .LBB43_86
.LBB43_117:                             ;   in Loop: Header=BB43_45 Depth=1
	v_cmp_gt_i32_e64 s0, s29, v126
	v_cmp_gt_i32_e64 s1, s16, v1
	s_wait_loadcnt 0x0
	s_delay_alu instid0(VALU_DEP_1) | instskip(SKIP_2) | instid1(VALU_DEP_1)
	v_dual_cndmask_b32 v94, 0, v94, s0 :: v_dual_cndmask_b32 v95, 0, v95, s1
	v_cmp_gt_i32_e64 s0, s29, v127
	v_cmp_gt_i32_e64 s1, s16, v0
	v_dual_cndmask_b32 v96, 0, v96, s0 :: v_dual_cndmask_b32 v97, 0, v97, s1
	s_or_b32 exec_lo, exec_lo, s19
	global_load_b128 v[98:101], v[42:43], off offset:11776
	s_wait_xcnt 0x0
	s_and_saveexec_b32 s19, vcc_lo
	s_cbranch_execz .LBB43_87
.LBB43_118:                             ;   in Loop: Header=BB43_45 Depth=1
	v_cmp_gt_i32_e64 s0, s29, v126
	v_cmp_gt_i32_e64 s1, s16, v1
	s_wait_loadcnt 0x0
	s_delay_alu instid0(VALU_DEP_1) | instskip(SKIP_2) | instid1(VALU_DEP_1)
	v_dual_cndmask_b32 v98, 0, v98, s0 :: v_dual_cndmask_b32 v99, 0, v99, s1
	v_cmp_gt_i32_e64 s0, s29, v127
	v_cmp_gt_i32_e64 s1, s16, v0
	v_dual_cndmask_b32 v100, 0, v100, s0 :: v_dual_cndmask_b32 v101, 0, v101, s1
	s_or_b32 exec_lo, exec_lo, s19
	global_load_b128 v[102:105], v[42:43], off offset:12288
	s_wait_xcnt 0x0
	s_and_saveexec_b32 s19, vcc_lo
	s_cbranch_execz .LBB43_88
.LBB43_119:                             ;   in Loop: Header=BB43_45 Depth=1
	v_cmp_gt_i32_e64 s0, s29, v126
	v_cmp_gt_i32_e64 s1, s16, v1
	s_wait_loadcnt 0x0
	s_delay_alu instid0(VALU_DEP_1) | instskip(SKIP_2) | instid1(VALU_DEP_1)
	v_dual_cndmask_b32 v102, 0, v102, s0 :: v_dual_cndmask_b32 v103, 0, v103, s1
	v_cmp_gt_i32_e64 s0, s29, v127
	v_cmp_gt_i32_e64 s1, s16, v0
	v_dual_cndmask_b32 v104, 0, v104, s0 :: v_dual_cndmask_b32 v105, 0, v105, s1
	s_or_b32 exec_lo, exec_lo, s19
	global_load_b128 v[106:109], v[42:43], off offset:12800
	s_wait_xcnt 0x0
	s_and_saveexec_b32 s19, vcc_lo
	s_cbranch_execz .LBB43_89
.LBB43_120:                             ;   in Loop: Header=BB43_45 Depth=1
	v_cmp_gt_i32_e64 s0, s29, v126
	v_cmp_gt_i32_e64 s1, s16, v1
	s_wait_loadcnt 0x0
	s_delay_alu instid0(VALU_DEP_1) | instskip(SKIP_2) | instid1(VALU_DEP_1)
	v_dual_cndmask_b32 v106, 0, v106, s0 :: v_dual_cndmask_b32 v107, 0, v107, s1
	v_cmp_gt_i32_e64 s0, s29, v127
	v_cmp_gt_i32_e64 s1, s16, v0
	v_dual_cndmask_b32 v108, 0, v108, s0 :: v_dual_cndmask_b32 v109, 0, v109, s1
	s_or_b32 exec_lo, exec_lo, s19
	global_load_b128 v[110:113], v[42:43], off offset:13312
	s_wait_xcnt 0x0
	s_and_saveexec_b32 s19, vcc_lo
	s_cbranch_execz .LBB43_90
.LBB43_121:                             ;   in Loop: Header=BB43_45 Depth=1
	v_cmp_gt_i32_e64 s0, s29, v126
	v_cmp_gt_i32_e64 s1, s16, v1
	s_wait_loadcnt 0x0
	s_delay_alu instid0(VALU_DEP_1) | instskip(SKIP_2) | instid1(VALU_DEP_1)
	v_dual_cndmask_b32 v110, 0, v110, s0 :: v_dual_cndmask_b32 v111, 0, v111, s1
	v_cmp_gt_i32_e64 s0, s29, v127
	v_cmp_gt_i32_e64 s1, s16, v0
	v_dual_cndmask_b32 v112, 0, v112, s0 :: v_dual_cndmask_b32 v113, 0, v113, s1
	s_or_b32 exec_lo, exec_lo, s19
	global_load_b128 v[114:117], v[42:43], off offset:13824
	s_wait_xcnt 0x0
	s_and_saveexec_b32 s19, vcc_lo
	s_cbranch_execz .LBB43_91
.LBB43_122:                             ;   in Loop: Header=BB43_45 Depth=1
	v_cmp_gt_i32_e64 s0, s29, v126
	v_cmp_gt_i32_e64 s1, s16, v1
	s_wait_loadcnt 0x0
	s_delay_alu instid0(VALU_DEP_1) | instskip(SKIP_2) | instid1(VALU_DEP_1)
	v_dual_cndmask_b32 v114, 0, v114, s0 :: v_dual_cndmask_b32 v115, 0, v115, s1
	v_cmp_gt_i32_e64 s0, s29, v127
	v_cmp_gt_i32_e64 s1, s16, v0
	v_dual_cndmask_b32 v116, 0, v116, s0 :: v_dual_cndmask_b32 v117, 0, v117, s1
	s_or_b32 exec_lo, exec_lo, s19
	global_load_b128 v[118:121], v[42:43], off offset:14336
	s_wait_xcnt 0x0
	s_and_saveexec_b32 s19, vcc_lo
	s_cbranch_execz .LBB43_92
.LBB43_123:                             ;   in Loop: Header=BB43_45 Depth=1
	v_cmp_gt_i32_e64 s0, s29, v126
	v_cmp_gt_i32_e64 s1, s16, v1
	s_wait_loadcnt 0x0
	s_delay_alu instid0(VALU_DEP_1) | instskip(SKIP_2) | instid1(VALU_DEP_1)
	v_dual_cndmask_b32 v118, 0, v118, s0 :: v_dual_cndmask_b32 v119, 0, v119, s1
	v_cmp_gt_i32_e64 s0, s29, v127
	v_cmp_gt_i32_e64 s1, s16, v0
	v_dual_cndmask_b32 v120, 0, v120, s0 :: v_dual_cndmask_b32 v121, 0, v121, s1
	s_or_b32 exec_lo, exec_lo, s19
	global_load_b128 v[122:125], v[42:43], off offset:14848
	s_wait_xcnt 0x0
	s_and_saveexec_b32 s19, vcc_lo
	s_cbranch_execz .LBB43_93
.LBB43_124:                             ;   in Loop: Header=BB43_45 Depth=1
	v_cmp_gt_i32_e64 s0, s29, v126
	v_cmp_gt_i32_e64 s1, s16, v1
	s_wait_loadcnt 0x0
	s_delay_alu instid0(VALU_DEP_1) | instskip(SKIP_2) | instid1(VALU_DEP_1)
	v_dual_cndmask_b32 v122, 0, v122, s0 :: v_dual_cndmask_b32 v123, 0, v123, s1
	v_cmp_gt_i32_e64 s0, s29, v127
	v_cmp_gt_i32_e64 s1, s16, v0
	v_dual_cndmask_b32 v124, 0, v124, s0 :: v_dual_cndmask_b32 v125, 0, v125, s1
	s_or_b32 exec_lo, exec_lo, s19
	global_load_b128 v[2:5], v[42:43], off offset:15360
	s_wait_xcnt 0x0
	s_and_saveexec_b32 s19, vcc_lo
	s_cbranch_execnz .LBB43_94
	s_branch .LBB43_95
.LBB43_125:                             ;   in Loop: Header=BB43_45 Depth=1
	v_cmp_gt_i32_e64 s0, s29, v126
	v_cmp_gt_i32_e64 s1, s16, v1
	s_wait_loadcnt 0x0
	s_delay_alu instid0(VALU_DEP_1) | instskip(SKIP_2) | instid1(VALU_DEP_1)
	v_dual_cndmask_b32 v10, 0, v10, s0 :: v_dual_cndmask_b32 v11, 0, v11, s1
	v_cmp_gt_i32_e64 s0, s29, v127
	v_cmp_gt_i32_e64 s1, s16, v0
	v_dual_cndmask_b32 v12, 0, v12, s0 :: v_dual_cndmask_b32 v13, 0, v13, s1
	s_or_b32 exec_lo, exec_lo, s19
	global_load_b128 v[14:17], v[42:43], off offset:16384
	s_wait_xcnt 0x0
	s_and_saveexec_b32 s19, vcc_lo
	s_cbranch_execz .LBB43_97
.LBB43_126:                             ;   in Loop: Header=BB43_45 Depth=1
	v_cmp_gt_i32_e64 s0, s29, v126
	v_cmp_gt_i32_e64 s1, s16, v1
	s_wait_loadcnt 0x0
	s_delay_alu instid0(VALU_DEP_1) | instskip(SKIP_2) | instid1(VALU_DEP_1)
	v_dual_cndmask_b32 v14, 0, v14, s0 :: v_dual_cndmask_b32 v15, 0, v15, s1
	v_cmp_gt_i32_e64 s0, s29, v127
	v_cmp_gt_i32_e64 s1, s16, v0
	v_dual_cndmask_b32 v16, 0, v16, s0 :: v_dual_cndmask_b32 v17, 0, v17, s1
	s_or_b32 exec_lo, exec_lo, s19
	global_load_b128 v[18:21], v[42:43], off offset:16896
	s_wait_xcnt 0x0
	s_and_saveexec_b32 s19, vcc_lo
	s_cbranch_execz .LBB43_98
.LBB43_127:                             ;   in Loop: Header=BB43_45 Depth=1
	v_cmp_gt_i32_e64 s0, s29, v126
	v_cmp_gt_i32_e64 s1, s16, v1
	s_wait_loadcnt 0x0
	s_delay_alu instid0(VALU_DEP_1) | instskip(SKIP_2) | instid1(VALU_DEP_1)
	v_dual_cndmask_b32 v18, 0, v18, s0 :: v_dual_cndmask_b32 v19, 0, v19, s1
	v_cmp_gt_i32_e64 s0, s29, v127
	v_cmp_gt_i32_e64 s1, s16, v0
	v_dual_cndmask_b32 v20, 0, v20, s0 :: v_dual_cndmask_b32 v21, 0, v21, s1
	s_or_b32 exec_lo, exec_lo, s19
	global_load_b128 v[22:25], v[42:43], off offset:17408
	s_wait_xcnt 0x0
	s_and_saveexec_b32 s19, vcc_lo
	s_cbranch_execz .LBB43_99
.LBB43_128:                             ;   in Loop: Header=BB43_45 Depth=1
	v_cmp_gt_i32_e64 s0, s29, v126
	v_cmp_gt_i32_e64 s1, s16, v1
	s_wait_loadcnt 0x0
	s_delay_alu instid0(VALU_DEP_1) | instskip(SKIP_2) | instid1(VALU_DEP_1)
	v_dual_cndmask_b32 v22, 0, v22, s0 :: v_dual_cndmask_b32 v23, 0, v23, s1
	v_cmp_gt_i32_e64 s0, s29, v127
	v_cmp_gt_i32_e64 s1, s16, v0
	v_dual_cndmask_b32 v24, 0, v24, s0 :: v_dual_cndmask_b32 v25, 0, v25, s1
	s_or_b32 exec_lo, exec_lo, s19
	global_load_b128 v[26:29], v[42:43], off offset:17920
	s_wait_xcnt 0x0
	s_and_saveexec_b32 s19, vcc_lo
	s_cbranch_execz .LBB43_100
.LBB43_129:                             ;   in Loop: Header=BB43_45 Depth=1
	v_cmp_gt_i32_e64 s0, s29, v126
	v_cmp_gt_i32_e64 s1, s16, v1
	s_wait_loadcnt 0x0
	s_delay_alu instid0(VALU_DEP_1) | instskip(SKIP_2) | instid1(VALU_DEP_1)
	v_dual_cndmask_b32 v26, 0, v26, s0 :: v_dual_cndmask_b32 v27, 0, v27, s1
	v_cmp_gt_i32_e64 s0, s29, v127
	v_cmp_gt_i32_e64 s1, s16, v0
	v_dual_cndmask_b32 v28, 0, v28, s0 :: v_dual_cndmask_b32 v29, 0, v29, s1
	s_or_b32 exec_lo, exec_lo, s19
	global_load_b128 v[30:33], v[42:43], off offset:18432
	s_wait_xcnt 0x0
	s_and_saveexec_b32 s19, vcc_lo
	s_cbranch_execz .LBB43_101
.LBB43_130:                             ;   in Loop: Header=BB43_45 Depth=1
	v_cmp_gt_i32_e64 s0, s29, v126
	v_cmp_gt_i32_e64 s1, s16, v1
	s_wait_loadcnt 0x0
	s_delay_alu instid0(VALU_DEP_1) | instskip(SKIP_2) | instid1(VALU_DEP_1)
	v_dual_cndmask_b32 v30, 0, v30, s0 :: v_dual_cndmask_b32 v31, 0, v31, s1
	v_cmp_gt_i32_e64 s0, s29, v127
	v_cmp_gt_i32_e64 s1, s16, v0
	v_dual_cndmask_b32 v32, 0, v32, s0 :: v_dual_cndmask_b32 v33, 0, v33, s1
	s_or_b32 exec_lo, exec_lo, s19
	global_load_b128 v[34:37], v[42:43], off offset:18944
	s_wait_xcnt 0x0
	s_and_saveexec_b32 s19, vcc_lo
	s_cbranch_execz .LBB43_102
.LBB43_131:                             ;   in Loop: Header=BB43_45 Depth=1
	v_cmp_gt_i32_e64 s0, s29, v126
	v_cmp_gt_i32_e64 s1, s16, v1
	s_wait_loadcnt 0x0
	s_delay_alu instid0(VALU_DEP_1) | instskip(SKIP_2) | instid1(VALU_DEP_1)
	v_dual_cndmask_b32 v34, 0, v34, s0 :: v_dual_cndmask_b32 v35, 0, v35, s1
	v_cmp_gt_i32_e64 s0, s29, v127
	v_cmp_gt_i32_e64 s1, s16, v0
	v_dual_cndmask_b32 v36, 0, v36, s0 :: v_dual_cndmask_b32 v37, 0, v37, s1
	s_or_b32 exec_lo, exec_lo, s19
	global_load_b128 v[38:41], v[42:43], off offset:19456
	s_wait_xcnt 0x0
	s_and_saveexec_b32 s19, vcc_lo
	s_cbranch_execz .LBB43_103
.LBB43_132:                             ;   in Loop: Header=BB43_45 Depth=1
	v_cmp_gt_i32_e64 s0, s29, v126
	v_cmp_gt_i32_e64 s1, s16, v1
	s_wait_loadcnt 0x0
	s_delay_alu instid0(VALU_DEP_1) | instskip(SKIP_2) | instid1(VALU_DEP_1)
	v_dual_cndmask_b32 v38, 0, v38, s0 :: v_dual_cndmask_b32 v39, 0, v39, s1
	v_cmp_gt_i32_e64 s0, s29, v127
	v_cmp_gt_i32_e64 s1, s16, v0
	v_dual_cndmask_b32 v40, 0, v40, s0 :: v_dual_cndmask_b32 v41, 0, v41, s1
	s_or_b32 exec_lo, exec_lo, s19
	global_load_b128 v[46:49], v[42:43], off offset:19968
	s_wait_xcnt 0x0
	s_and_saveexec_b32 s19, vcc_lo
	s_cbranch_execz .LBB43_104
.LBB43_133:                             ;   in Loop: Header=BB43_45 Depth=1
	v_cmp_gt_i32_e64 s0, s29, v126
	v_cmp_gt_i32_e64 s1, s16, v1
	s_wait_loadcnt 0x0
	s_delay_alu instid0(VALU_DEP_1) | instskip(SKIP_2) | instid1(VALU_DEP_1)
	v_dual_cndmask_b32 v46, 0, v46, s0 :: v_dual_cndmask_b32 v47, 0, v47, s1
	v_cmp_gt_i32_e64 s0, s29, v127
	v_cmp_gt_i32_e64 s1, s16, v0
	v_dual_cndmask_b32 v48, 0, v48, s0 :: v_dual_cndmask_b32 v49, 0, v49, s1
	s_or_b32 exec_lo, exec_lo, s19
	global_load_b128 v[50:53], v[42:43], off offset:20480
	s_wait_xcnt 0x0
	s_and_saveexec_b32 s19, vcc_lo
	s_cbranch_execz .LBB43_105
.LBB43_134:                             ;   in Loop: Header=BB43_45 Depth=1
	v_cmp_gt_i32_e64 s0, s29, v126
	v_cmp_gt_i32_e64 s1, s16, v1
	s_wait_loadcnt 0x0
	s_delay_alu instid0(VALU_DEP_1) | instskip(SKIP_2) | instid1(VALU_DEP_1)
	v_dual_cndmask_b32 v50, 0, v50, s0 :: v_dual_cndmask_b32 v51, 0, v51, s1
	v_cmp_gt_i32_e64 s0, s29, v127
	v_cmp_gt_i32_e64 s1, s16, v0
	v_dual_cndmask_b32 v52, 0, v52, s0 :: v_dual_cndmask_b32 v53, 0, v53, s1
	s_or_b32 exec_lo, exec_lo, s19
	global_load_b128 v[54:57], v[42:43], off offset:20992
	s_wait_xcnt 0x0
	s_and_saveexec_b32 s19, vcc_lo
	s_cbranch_execz .LBB43_106
.LBB43_135:                             ;   in Loop: Header=BB43_45 Depth=1
	v_cmp_gt_i32_e64 s0, s29, v126
	v_cmp_gt_i32_e64 s1, s16, v1
	s_wait_loadcnt 0x0
	s_delay_alu instid0(VALU_DEP_1) | instskip(SKIP_2) | instid1(VALU_DEP_1)
	v_dual_cndmask_b32 v54, 0, v54, s0 :: v_dual_cndmask_b32 v55, 0, v55, s1
	v_cmp_gt_i32_e64 s0, s29, v127
	v_cmp_gt_i32_e64 s1, s16, v0
	v_dual_cndmask_b32 v56, 0, v56, s0 :: v_dual_cndmask_b32 v57, 0, v57, s1
	s_or_b32 exec_lo, exec_lo, s19
	global_load_b128 v[58:61], v[42:43], off offset:21504
	s_wait_xcnt 0x0
	s_and_saveexec_b32 s19, vcc_lo
	s_cbranch_execz .LBB43_107
.LBB43_136:                             ;   in Loop: Header=BB43_45 Depth=1
	v_cmp_gt_i32_e64 s0, s29, v126
	v_cmp_gt_i32_e64 s1, s16, v1
	s_wait_loadcnt 0x0
	s_delay_alu instid0(VALU_DEP_1) | instskip(SKIP_2) | instid1(VALU_DEP_1)
	v_dual_cndmask_b32 v58, 0, v58, s0 :: v_dual_cndmask_b32 v59, 0, v59, s1
	v_cmp_gt_i32_e64 s0, s29, v127
	v_cmp_gt_i32_e64 s1, s16, v0
	v_dual_cndmask_b32 v60, 0, v60, s0 :: v_dual_cndmask_b32 v61, 0, v61, s1
	s_or_b32 exec_lo, exec_lo, s19
	global_load_b128 v[62:65], v[42:43], off offset:22016
	s_wait_xcnt 0x0
	s_and_saveexec_b32 s19, vcc_lo
	s_cbranch_execz .LBB43_108
.LBB43_137:                             ;   in Loop: Header=BB43_45 Depth=1
	v_cmp_gt_i32_e64 s0, s29, v126
	v_cmp_gt_i32_e64 s1, s16, v1
	s_wait_loadcnt 0x0
	s_delay_alu instid0(VALU_DEP_1) | instskip(SKIP_2) | instid1(VALU_DEP_1)
	v_dual_cndmask_b32 v62, 0, v62, s0 :: v_dual_cndmask_b32 v63, 0, v63, s1
	v_cmp_gt_i32_e64 s0, s29, v127
	v_cmp_gt_i32_e64 s1, s16, v0
	v_dual_cndmask_b32 v64, 0, v64, s0 :: v_dual_cndmask_b32 v65, 0, v65, s1
	s_or_b32 exec_lo, exec_lo, s19
	global_load_b128 v[66:69], v[42:43], off offset:22528
	s_wait_xcnt 0x0
	s_and_saveexec_b32 s19, vcc_lo
	s_cbranch_execz .LBB43_109
.LBB43_138:                             ;   in Loop: Header=BB43_45 Depth=1
	v_cmp_gt_i32_e64 s0, s29, v126
	v_cmp_gt_i32_e64 s1, s16, v1
	s_wait_loadcnt 0x0
	s_delay_alu instid0(VALU_DEP_1) | instskip(SKIP_2) | instid1(VALU_DEP_1)
	v_dual_cndmask_b32 v66, 0, v66, s0 :: v_dual_cndmask_b32 v67, 0, v67, s1
	v_cmp_gt_i32_e64 s0, s29, v127
	v_cmp_gt_i32_e64 s1, s16, v0
	v_dual_cndmask_b32 v68, 0, v68, s0 :: v_dual_cndmask_b32 v69, 0, v69, s1
	s_or_b32 exec_lo, exec_lo, s19
	global_load_b128 v[70:73], v[42:43], off offset:23040
	s_wait_xcnt 0x0
	s_and_saveexec_b32 s19, vcc_lo
	s_cbranch_execz .LBB43_110
.LBB43_139:                             ;   in Loop: Header=BB43_45 Depth=1
	v_cmp_gt_i32_e64 s0, s29, v126
	v_cmp_gt_i32_e64 s1, s16, v1
	s_wait_loadcnt 0x0
	s_delay_alu instid0(VALU_DEP_1) | instskip(SKIP_2) | instid1(VALU_DEP_1)
	v_dual_cndmask_b32 v70, 0, v70, s0 :: v_dual_cndmask_b32 v71, 0, v71, s1
	v_cmp_gt_i32_e64 s0, s29, v127
	v_cmp_gt_i32_e64 s1, s16, v0
	v_dual_cndmask_b32 v72, 0, v72, s0 :: v_dual_cndmask_b32 v73, 0, v73, s1
	s_or_b32 exec_lo, exec_lo, s19
	global_load_b128 v[74:77], v[42:43], off offset:23552
	s_wait_xcnt 0x0
	s_and_saveexec_b32 s19, vcc_lo
	s_cbranch_execz .LBB43_111
.LBB43_140:                             ;   in Loop: Header=BB43_45 Depth=1
	v_cmp_gt_i32_e64 s0, s29, v126
	v_cmp_gt_i32_e64 s1, s16, v1
	s_wait_loadcnt 0x0
	s_delay_alu instid0(VALU_DEP_1) | instskip(SKIP_2) | instid1(VALU_DEP_1)
	v_dual_cndmask_b32 v74, 0, v74, s0 :: v_dual_cndmask_b32 v75, 0, v75, s1
	v_cmp_gt_i32_e64 s0, s29, v127
	v_cmp_gt_i32_e64 s1, s16, v0
	v_dual_cndmask_b32 v76, 0, v76, s0 :: v_dual_cndmask_b32 v77, 0, v77, s1
	s_or_b32 exec_lo, exec_lo, s19
	global_load_b128 v[42:45], v[42:43], off offset:24064
	s_wait_xcnt 0x0
	s_and_saveexec_b32 s1, vcc_lo
	s_cbranch_execz .LBB43_43
.LBB43_141:                             ;   in Loop: Header=BB43_45 Depth=1
	v_cmp_gt_i32_e32 vcc_lo, s29, v126
	v_cmp_gt_i32_e64 s0, s16, v1
	s_wait_loadcnt 0x0
	s_delay_alu instid0(VALU_DEP_1) | instskip(SKIP_2) | instid1(VALU_DEP_1)
	v_dual_cndmask_b32 v42, 0, v42, vcc_lo :: v_dual_cndmask_b32 v43, 0, v43, s0
	v_cmp_gt_i32_e32 vcc_lo, s29, v127
	v_cmp_gt_i32_e64 s0, s16, v0
	v_dual_cndmask_b32 v44, 0, v44, vcc_lo :: v_dual_cndmask_b32 v45, 0, v45, s0
	s_branch .LBB43_43
.LBB43_142:
	s_or_b32 exec_lo, exec_lo, s17
	s_clause 0x2
	scratch_load_b64 v[8:9], off, off offset:504
	scratch_load_b64 v[6:7], off, off offset:512
	;; [unrolled: 1-line block ×3, first 2 shown]
.LBB43_143:
	s_wait_xcnt 0x0
	s_or_b32 exec_lo, exec_lo, s24
	s_clause 0x15
	scratch_load_b32 v65, off, off offset:576 th:TH_LOAD_LU
	scratch_load_b64 v[24:25], off, off offset:496 th:TH_LOAD_LU
	scratch_load_b64 v[36:37], off, off offset:488 th:TH_LOAD_LU
	;; [unrolled: 1-line block ×3, first 2 shown]
	scratch_load_b32 v69, off, off offset:588 th:TH_LOAD_LU
	scratch_load_b32 v93, off, off offset:584 th:TH_LOAD_LU
	scratch_load_b64 v[40:41], off, off offset:472 th:TH_LOAD_LU
	scratch_load_b64 v[38:39], off, off offset:464 th:TH_LOAD_LU
	;; [unrolled: 1-line block ×16, first 2 shown]
	s_wait_loadcnt 0x16
	v_mov_b64_e32 v[16:17], v[4:5]
	v_mov_b64_e32 v[22:23], v[6:7]
	;; [unrolled: 1-line block ×3, first 2 shown]
	s_mov_b32 s1, exec_lo
	s_wait_loadcnt 0x15
	ds_bpermute_b32 v2, v65, v18
	ds_bpermute_b32 v3, v65, v19
	;; [unrolled: 1-line block ×10, first 2 shown]
	s_wait_loadcnt 0x14
	ds_bpermute_b32 v10, v65, v24
	ds_bpermute_b32 v11, v65, v25
	s_wait_loadcnt 0xe
	ds_bpermute_b32 v30, v65, v38
	ds_bpermute_b32 v31, v65, v39
	;; [unrolled: 1-line block ×4, first 2 shown]
	s_wait_loadcnt 0xd
	ds_bpermute_b32 v32, v65, v44
	ds_bpermute_b32 v33, v65, v45
	s_wait_loadcnt 0x7
	ds_bpermute_b32 v52, v65, v56
	ds_bpermute_b32 v53, v65, v57
	s_wait_loadcnt 0x4
	ds_bpermute_b32 v58, v65, v74
	s_wait_dscnt 0x13
	v_pk_add_f32 v[2:3], v[18:19], v[2:3]
	ds_bpermute_b32 v59, v65, v75
	s_wait_dscnt 0x12
	v_pk_add_f32 v[0:1], v[14:15], v[0:1]
	;; [unrolled: 3-line block ×3, first 2 shown]
	ds_bpermute_b32 v18, v69, v2
	ds_bpermute_b32 v19, v69, v3
	;; [unrolled: 1-line block ×7, first 2 shown]
	s_wait_dscnt 0x16
	v_pk_add_f32 v[6:7], v[22:23], v[6:7]
	s_wait_dscnt 0x14
	v_pk_add_f32 v[8:9], v[26:27], v[8:9]
	;; [unrolled: 2-line block ×3, first 2 shown]
	ds_bpermute_b32 v22, v65, v40
	ds_bpermute_b32 v23, v65, v41
	;; [unrolled: 1-line block ×8, first 2 shown]
	s_wait_dscnt 0x18
	v_pk_add_f32 v[30:31], v[38:39], v[30:31]
	s_wait_dscnt 0x16
	v_pk_add_f32 v[12:13], v[36:37], v[12:13]
	ds_bpermute_b32 v36, v65, v42
	s_wait_dscnt 0xe
	v_pk_add_f32 v[2:3], v[2:3], v[18:19]
	ds_bpermute_b32 v37, v65, v43
	v_pk_add_f32 v[32:33], v[44:45], v[32:33]
	s_wait_dscnt 0xc
	v_pk_add_f32 v[0:1], v[0:1], v[16:17]
	v_pk_add_f32 v[16:17], v[34:35], v[14:15]
	s_wait_dscnt 0xa
	v_pk_add_f32 v[14:15], v[4:5], v[20:21]
	ds_bpermute_b32 v18, v93, v2
	ds_bpermute_b32 v19, v93, v3
	;; [unrolled: 1-line block ×6, first 2 shown]
	s_wait_dscnt 0xc
	v_pk_add_f32 v[6:7], v[6:7], v[24:25]
	v_pk_add_f32 v[22:23], v[40:41], v[22:23]
	s_wait_dscnt 0xa
	v_pk_add_f32 v[8:9], v[8:9], v[26:27]
	ds_bpermute_b32 v38, v69, v16
	s_wait_dscnt 0x9
	v_pk_add_f32 v[26:27], v[10:11], v[28:29]
	ds_bpermute_b32 v10, v93, v6
	ds_bpermute_b32 v11, v93, v7
	;; [unrolled: 1-line block ×7, first 2 shown]
	v_pk_add_f32 v[52:53], v[56:57], v[52:53]
	ds_bpermute_b32 v56, v65, v82
	ds_bpermute_b32 v57, v65, v83
	s_wait_dscnt 0xe
	v_pk_add_f32 v[2:3], v[2:3], v[18:19]
	ds_bpermute_b32 v18, v65, v46
	ds_bpermute_b32 v19, v65, v47
	s_wait_dscnt 0xe
	v_pk_add_f32 v[4:5], v[0:1], v[4:5]
	s_wait_dscnt 0xc
	v_pk_add_f32 v[0:1], v[14:15], v[20:21]
	ds_bpermute_b32 v20, v69, v22
	ds_bpermute_b32 v21, v69, v23
	;; [unrolled: 1-line block ×4, first 2 shown]
	s_wait_loadcnt 0x3
	ds_bpermute_b32 v60, v65, v72
	ds_bpermute_b32 v61, v65, v73
	s_wait_dscnt 0xf
	v_pk_add_f32 v[10:11], v[6:7], v[10:11]
	s_wait_dscnt 0xe
	v_pk_add_f32 v[16:17], v[16:17], v[38:39]
	ds_bpermute_b32 v44, v65, v54
	ds_bpermute_b32 v45, v65, v55
	s_wait_dscnt 0xd
	v_pk_add_f32 v[6:7], v[26:27], v[34:35]
	v_pk_add_f32 v[34:35], v[42:43], v[36:37]
	ds_bpermute_b32 v36, v65, v50
	ds_bpermute_b32 v37, v65, v51
	;; [unrolled: 1-line block ×5, first 2 shown]
	s_wait_dscnt 0xd
	v_pk_add_f32 v[46:47], v[46:47], v[18:19]
	ds_bpermute_b32 v43, v69, v35
	s_wait_loadcnt 0x1
	ds_bpermute_b32 v62, v65, v78
	ds_bpermute_b32 v63, v65, v79
	s_wait_dscnt 0xe
	v_pk_add_f32 v[18:19], v[22:23], v[20:21]
	v_pk_add_f32 v[20:21], v[30:31], v[40:41]
	ds_bpermute_b32 v38, v69, v46
	ds_bpermute_b32 v39, v69, v47
	;; [unrolled: 1-line block ×4, first 2 shown]
	s_wait_dscnt 0x10
	v_pk_add_f32 v[8:9], v[8:9], v[28:29]
	ds_bpermute_b32 v28, v93, v20
	ds_bpermute_b32 v29, v93, v21
	s_wait_dscnt 0xe
	v_pk_add_f32 v[44:45], v[54:55], v[44:45]
	s_wait_loadcnt 0x0
	ds_bpermute_b32 v64, v65, v76
	ds_bpermute_b32 v24, v69, v12
	s_wait_dscnt 0xe
	v_pk_add_f32 v[50:51], v[50:51], v[36:37]
	ds_bpermute_b32 v25, v69, v13
	s_wait_dscnt 0xd
	v_pk_add_f32 v[26:27], v[32:33], v[26:27]
	ds_bpermute_b32 v54, v69, v44
	ds_bpermute_b32 v55, v69, v45
	s_wait_dscnt 0xd
	v_pk_add_f32 v[30:31], v[34:35], v[42:43]
	ds_bpermute_b32 v42, v69, v50
	ds_bpermute_b32 v43, v69, v51
	;; [unrolled: 1-line block ×5, first 2 shown]
	s_wait_dscnt 0xe
	v_pk_add_f32 v[36:37], v[46:47], v[38:39]
	ds_bpermute_b32 v46, v65, v70
	s_wait_dscnt 0xd
	v_pk_add_f32 v[38:39], v[48:49], v[40:41]
	ds_bpermute_b32 v47, v65, v71
	ds_bpermute_b32 v35, v93, v31
	;; [unrolled: 1-line block ×6, first 2 shown]
	v_pk_add_f32 v[62:63], v[78:79], v[62:63]
	s_wait_dscnt 0xe
	v_pk_add_f32 v[12:13], v[12:13], v[24:25]
	ds_bpermute_b32 v22, v93, v16
	ds_bpermute_b32 v23, v93, v17
	s_wait_dscnt 0xe
	v_pk_add_f32 v[54:55], v[44:45], v[54:55]
	ds_bpermute_b32 v44, v65, v80
	ds_bpermute_b32 v45, v65, v81
	;; [unrolled: 4-line block ×3, first 2 shown]
	ds_bpermute_b32 v65, v65, v77
	ds_bpermute_b32 v14, v93, v12
	;; [unrolled: 1-line block ×4, first 2 shown]
	s_wait_dscnt 0xf
	v_pk_add_f32 v[46:47], v[70:71], v[46:47]
	s_wait_dscnt 0xe
	v_pk_add_f32 v[34:35], v[30:31], v[34:35]
	scratch_load_b32 v30, off, off offset:560 th:TH_LOAD_LU ; 4-byte Folded Reload
	ds_bpermute_b32 v15, v93, v13
	ds_bpermute_b32 v24, v93, v18
	s_wait_dscnt 0xc
	v_pk_add_f32 v[70:71], v[38:39], v[40:41]
	v_pk_add_f32 v[38:39], v[82:83], v[56:57]
	ds_bpermute_b32 v40, v69, v46
	v_pk_add_f32 v[56:57], v[74:75], v[58:59]
	ds_bpermute_b32 v41, v69, v47
	v_pk_add_f32 v[58:59], v[72:73], v[60:61]
	ds_bpermute_b32 v60, v69, v38
	ds_bpermute_b32 v61, v69, v39
	s_wait_dscnt 0xc
	v_pk_add_f32 v[44:45], v[80:81], v[44:45]
	ds_bpermute_b32 v72, v69, v56
	s_wait_dscnt 0xb
	v_pk_add_f32 v[52:53], v[52:53], v[42:43]
	s_wait_dscnt 0xa
	v_pk_add_f32 v[42:43], v[76:77], v[64:65]
	ds_bpermute_b32 v73, v69, v57
	ds_bpermute_b32 v74, v69, v58
	;; [unrolled: 1-line block ×12, first 2 shown]
	s_wait_dscnt 0xf
	v_pk_add_f32 v[82:83], v[46:47], v[40:41]
	v_pk_add_f32 v[40:41], v[20:21], v[28:29]
	;; [unrolled: 1-line block ×3, first 2 shown]
	s_wait_dscnt 0xd
	v_pk_add_f32 v[60:61], v[38:39], v[60:61]
	v_pk_add_f32 v[38:39], v[26:27], v[32:33]
	;; [unrolled: 1-line block ×3, first 2 shown]
	s_clause 0x2
	scratch_load_b32 v36, off, off offset:564
	scratch_load_b32 v49, off, off offset:580 th:TH_LOAD_LU
	scratch_load_b32 v50, off, off offset:572 th:TH_LOAD_LU
	s_wait_dscnt 0xb
	v_pk_add_f32 v[56:57], v[56:57], v[72:73]
	s_wait_dscnt 0x9
	v_pk_add_f32 v[58:59], v[58:59], v[74:75]
	ds_bpermute_b32 v80, v93, v70
	s_wait_dscnt 0x8
	v_pk_add_f32 v[64:65], v[44:45], v[64:65]
	ds_bpermute_b32 v81, v93, v71
	;; [unrolled: 3-line block ×4, first 2 shown]
	ds_bpermute_b32 v86, v93, v82
	ds_bpermute_b32 v87, v93, v83
	;; [unrolled: 1-line block ×14, first 2 shown]
	v_pk_add_f32 v[46:47], v[12:13], v[14:15]
	v_pk_add_f32 v[44:45], v[16:17], v[22:23]
	s_wait_dscnt 0x14
	v_pk_add_f32 v[42:43], v[18:19], v[24:25]
	s_wait_dscnt 0x12
	;; [unrolled: 2-line block ×4, first 2 shown]
	v_pk_add_f32 v[22:23], v[52:53], v[84:85]
	s_wait_storecnt 0x0
	s_wait_loadcnt_dscnt 0x0
	v_pk_add_f32 v[20:21], v[82:83], v[86:87]
	s_barrier_signal -1
	v_pk_add_f32 v[18:19], v[60:61], v[72:73]
	s_barrier_wait -1
	v_pk_add_f32 v[16:17], v[56:57], v[74:75]
	v_pk_add_f32 v[14:15], v[58:59], v[88:89]
	;; [unrolled: 1-line block ×3, first 2 shown]
	v_lshrrev_b32_e32 v48, 3, v30
	v_pk_add_f32 v[30:31], v[62:63], v[90:91]
	v_and_b32_e32 v51, 0x3c0, v36
	v_pk_add_f32 v[36:37], v[76:77], v[92:93]
	v_cmp_eq_u32_e32 vcc_lo, 0, v49
	v_lshl_add_u32 v49, v48, 2, 0x320
	v_mul_u32_u24_e32 v50, 0x300, v50
	v_cmpx_eq_u32_e32 64, v51
	s_cbranch_execz .LBB43_146
; %bb.144:
	s_and_b32 exec_lo, exec_lo, vcc_lo
	s_cbranch_execz .LBB43_146
; %bb.145:
	v_add_nc_u32_e32 v51, v49, v50
	s_delay_alu instid0(VALU_DEP_1)
	v_add_nc_u32_e32 v52, 0xfffffa00, v51
	v_add_nc_u32_e32 v53, 0xfffffa10, v51
	v_add_nc_u32_e32 v54, 0xfffffa20, v51
	v_add_nc_u32_e32 v55, 0xfffffa30, v51
	v_add_nc_u32_e32 v56, 0xfffffa40, v51
	v_add_nc_u32_e32 v57, 0xfffffa50, v51
	v_add_nc_u32_e32 v58, 0xfffffa60, v51
	v_add_nc_u32_e32 v59, 0xfffffa70, v51
	ds_store_b32 v52, v4
	ds_store_b32 v53, v5
	ds_store_b32 v54, v2
	ds_store_b32 v55, v3
	ds_store_b32 v56, v0
	ds_store_b32 v57, v1
	ds_store_b32 v58, v10
	ds_store_b32 v59, v11
	v_add_nc_u32_e32 v52, 0xfffffa80, v51
	v_add_nc_u32_e32 v53, 0xfffffa90, v51
	v_add_nc_u32_e32 v54, 0xfffffaa0, v51
	v_add_nc_u32_e32 v55, 0xfffffab0, v51
	v_add_nc_u32_e32 v56, 0xfffffac0, v51
	v_add_nc_u32_e32 v57, 0xfffffad0, v51
	v_add_nc_u32_e32 v58, 0xfffffae0, v51
	v_add_nc_u32_e32 v59, 0xfffffaf0, v51
	ds_store_b32 v52, v8
	ds_store_b32 v53, v9
	ds_store_b32 v54, v6
	ds_store_b32 v55, v7
	ds_store_b32 v56, v46
	ds_store_b32 v57, v47
	ds_store_b32 v58, v44
	ds_store_b32 v59, v45
	;; [unrolled: 16-line block ×6, first 2 shown]
.LBB43_146:
	s_or_b32 exec_lo, exec_lo, s1
	v_lshlrev_b32_e32 v48, 2, v48
	s_mov_b32 s1, exec_lo
	s_delay_alu instid0(VALU_DEP_1)
	v_add3_u32 v48, 0x320, v50, v48
	scratch_load_b32 v50, off, off offset:564 ; 4-byte Folded Reload
	s_wait_loadcnt_dscnt 0x0
	s_barrier_signal -1
	s_barrier_wait -1
	v_cmpx_gt_u32_e32 64, v50
	s_cbranch_execz .LBB43_197
; %bb.147:
	s_and_saveexec_b32 s0, vcc_lo
	s_cbranch_execnz .LBB43_253
; %bb.148:
	s_or_b32 exec_lo, exec_lo, s0
	s_and_saveexec_b32 s0, vcc_lo
	s_cbranch_execnz .LBB43_254
.LBB43_149:
	s_or_b32 exec_lo, exec_lo, s0
	s_and_saveexec_b32 s0, vcc_lo
	s_cbranch_execnz .LBB43_255
.LBB43_150:
	s_or_b32 exec_lo, exec_lo, s0
	s_and_saveexec_b32 s0, vcc_lo
	s_cbranch_execnz .LBB43_256
.LBB43_151:
	s_or_b32 exec_lo, exec_lo, s0
	s_and_saveexec_b32 s0, vcc_lo
	s_cbranch_execnz .LBB43_257
.LBB43_152:
	s_or_b32 exec_lo, exec_lo, s0
	s_and_saveexec_b32 s0, vcc_lo
	s_cbranch_execnz .LBB43_258
.LBB43_153:
	s_or_b32 exec_lo, exec_lo, s0
	s_and_saveexec_b32 s0, vcc_lo
	s_cbranch_execnz .LBB43_259
.LBB43_154:
	s_or_b32 exec_lo, exec_lo, s0
	s_and_saveexec_b32 s0, vcc_lo
	s_cbranch_execnz .LBB43_260
.LBB43_155:
	s_or_b32 exec_lo, exec_lo, s0
	s_and_saveexec_b32 s0, vcc_lo
	s_cbranch_execnz .LBB43_261
.LBB43_156:
	s_or_b32 exec_lo, exec_lo, s0
	s_and_saveexec_b32 s0, vcc_lo
	s_cbranch_execnz .LBB43_262
.LBB43_157:
	s_or_b32 exec_lo, exec_lo, s0
	s_and_saveexec_b32 s0, vcc_lo
	s_cbranch_execnz .LBB43_263
.LBB43_158:
	s_or_b32 exec_lo, exec_lo, s0
	s_and_saveexec_b32 s0, vcc_lo
	s_cbranch_execnz .LBB43_264
.LBB43_159:
	s_or_b32 exec_lo, exec_lo, s0
	s_and_saveexec_b32 s0, vcc_lo
	s_cbranch_execnz .LBB43_265
.LBB43_160:
	s_or_b32 exec_lo, exec_lo, s0
	s_and_saveexec_b32 s0, vcc_lo
	s_cbranch_execnz .LBB43_266
.LBB43_161:
	s_or_b32 exec_lo, exec_lo, s0
	s_and_saveexec_b32 s0, vcc_lo
	s_cbranch_execnz .LBB43_267
.LBB43_162:
	s_or_b32 exec_lo, exec_lo, s0
	s_and_saveexec_b32 s0, vcc_lo
	s_cbranch_execnz .LBB43_268
.LBB43_163:
	s_or_b32 exec_lo, exec_lo, s0
	s_and_saveexec_b32 s0, vcc_lo
	s_cbranch_execnz .LBB43_269
.LBB43_164:
	s_or_b32 exec_lo, exec_lo, s0
	s_and_saveexec_b32 s0, vcc_lo
	s_cbranch_execnz .LBB43_270
.LBB43_165:
	s_or_b32 exec_lo, exec_lo, s0
	s_and_saveexec_b32 s0, vcc_lo
	s_cbranch_execnz .LBB43_271
.LBB43_166:
	s_or_b32 exec_lo, exec_lo, s0
	s_and_saveexec_b32 s0, vcc_lo
	s_cbranch_execnz .LBB43_272
.LBB43_167:
	s_or_b32 exec_lo, exec_lo, s0
	s_and_saveexec_b32 s0, vcc_lo
	s_cbranch_execnz .LBB43_273
.LBB43_168:
	s_or_b32 exec_lo, exec_lo, s0
	s_and_saveexec_b32 s0, vcc_lo
	s_cbranch_execnz .LBB43_274
.LBB43_169:
	s_or_b32 exec_lo, exec_lo, s0
	s_and_saveexec_b32 s0, vcc_lo
	s_cbranch_execnz .LBB43_275
.LBB43_170:
	s_or_b32 exec_lo, exec_lo, s0
	s_and_saveexec_b32 s0, vcc_lo
	s_cbranch_execnz .LBB43_276
.LBB43_171:
	s_or_b32 exec_lo, exec_lo, s0
	s_and_saveexec_b32 s0, vcc_lo
	s_cbranch_execnz .LBB43_277
.LBB43_172:
	s_or_b32 exec_lo, exec_lo, s0
	s_and_saveexec_b32 s0, vcc_lo
	s_cbranch_execnz .LBB43_278
.LBB43_173:
	s_or_b32 exec_lo, exec_lo, s0
	s_and_saveexec_b32 s0, vcc_lo
	s_cbranch_execnz .LBB43_279
.LBB43_174:
	s_or_b32 exec_lo, exec_lo, s0
	s_and_saveexec_b32 s0, vcc_lo
	s_cbranch_execnz .LBB43_280
.LBB43_175:
	s_or_b32 exec_lo, exec_lo, s0
	s_and_saveexec_b32 s0, vcc_lo
	s_cbranch_execnz .LBB43_281
.LBB43_176:
	s_or_b32 exec_lo, exec_lo, s0
	s_and_saveexec_b32 s0, vcc_lo
	s_cbranch_execnz .LBB43_282
.LBB43_177:
	s_or_b32 exec_lo, exec_lo, s0
	s_and_saveexec_b32 s0, vcc_lo
	s_cbranch_execnz .LBB43_283
.LBB43_178:
	s_or_b32 exec_lo, exec_lo, s0
	s_and_saveexec_b32 s0, vcc_lo
	s_cbranch_execnz .LBB43_284
.LBB43_179:
	s_or_b32 exec_lo, exec_lo, s0
	s_and_saveexec_b32 s0, vcc_lo
	s_cbranch_execnz .LBB43_285
.LBB43_180:
	s_or_b32 exec_lo, exec_lo, s0
	s_and_saveexec_b32 s0, vcc_lo
	s_cbranch_execnz .LBB43_286
.LBB43_181:
	s_or_b32 exec_lo, exec_lo, s0
	s_and_saveexec_b32 s0, vcc_lo
	s_cbranch_execnz .LBB43_287
.LBB43_182:
	s_or_b32 exec_lo, exec_lo, s0
	s_and_saveexec_b32 s0, vcc_lo
	s_cbranch_execnz .LBB43_288
.LBB43_183:
	s_or_b32 exec_lo, exec_lo, s0
	s_and_saveexec_b32 s0, vcc_lo
	s_cbranch_execnz .LBB43_289
.LBB43_184:
	s_or_b32 exec_lo, exec_lo, s0
	s_and_saveexec_b32 s0, vcc_lo
	s_cbranch_execnz .LBB43_290
.LBB43_185:
	s_or_b32 exec_lo, exec_lo, s0
	s_and_saveexec_b32 s0, vcc_lo
	s_cbranch_execnz .LBB43_291
.LBB43_186:
	s_or_b32 exec_lo, exec_lo, s0
	s_and_saveexec_b32 s0, vcc_lo
	s_cbranch_execnz .LBB43_292
.LBB43_187:
	s_or_b32 exec_lo, exec_lo, s0
	s_and_saveexec_b32 s0, vcc_lo
	s_cbranch_execnz .LBB43_293
.LBB43_188:
	s_or_b32 exec_lo, exec_lo, s0
	s_and_saveexec_b32 s0, vcc_lo
	s_cbranch_execnz .LBB43_294
.LBB43_189:
	s_or_b32 exec_lo, exec_lo, s0
	s_and_saveexec_b32 s0, vcc_lo
	s_cbranch_execnz .LBB43_295
.LBB43_190:
	s_or_b32 exec_lo, exec_lo, s0
	s_and_saveexec_b32 s0, vcc_lo
	s_cbranch_execnz .LBB43_296
.LBB43_191:
	s_or_b32 exec_lo, exec_lo, s0
	s_and_saveexec_b32 s0, vcc_lo
	s_cbranch_execnz .LBB43_297
.LBB43_192:
	s_or_b32 exec_lo, exec_lo, s0
	s_and_saveexec_b32 s0, vcc_lo
	s_cbranch_execnz .LBB43_298
.LBB43_193:
	s_or_b32 exec_lo, exec_lo, s0
	s_and_saveexec_b32 s0, vcc_lo
	s_cbranch_execnz .LBB43_299
.LBB43_194:
	s_or_b32 exec_lo, exec_lo, s0
	s_and_saveexec_b32 s0, vcc_lo
	s_cbranch_execz .LBB43_196
.LBB43_195:
	ds_load_b32 v50, v48 offset:752
	s_wait_dscnt 0x0
	v_add_f32_e32 v37, v37, v50
.LBB43_196:
	s_or_b32 exec_lo, exec_lo, s0
.LBB43_197:
	s_delay_alu instid0(SALU_CYCLE_1)
	s_or_b32 exec_lo, exec_lo, s1
	scratch_load_b32 v50, off, off offset:564 ; 4-byte Folded Reload
	s_mov_b32 s1, exec_lo
	s_wait_loadcnt 0x0
	s_barrier_signal -1
	s_barrier_wait -1
	v_and_b32_e32 v50, 0x3e7, v50
	s_wait_xcnt 0x0
	s_delay_alu instid0(VALU_DEP_1)
	v_cmpx_eq_u32_e32 32, v50
	s_cbranch_execz .LBB43_199
; %bb.198:
	ds_store_2addr_b32 v49, v4, v5 offset1:4
	ds_store_2addr_b32 v49, v2, v3 offset0:8 offset1:12
	ds_store_2addr_b32 v49, v0, v1 offset0:16 offset1:20
	;; [unrolled: 1-line block ×23, first 2 shown]
.LBB43_199:
	s_or_b32 exec_lo, exec_lo, s1
	scratch_load_b32 v49, off, off offset:564 ; 4-byte Folded Reload
	s_mov_b32 s1, exec_lo
	s_wait_loadcnt_dscnt 0x0
	s_barrier_signal -1
	s_barrier_wait -1
	v_cmpx_gt_u32_e32 32, v49
	s_cbranch_execz .LBB43_250
; %bb.200:
	s_and_saveexec_b32 s0, vcc_lo
	s_cbranch_execnz .LBB43_300
; %bb.201:
	s_or_b32 exec_lo, exec_lo, s0
	s_and_saveexec_b32 s0, vcc_lo
	s_cbranch_execnz .LBB43_301
.LBB43_202:
	s_or_b32 exec_lo, exec_lo, s0
	s_and_saveexec_b32 s0, vcc_lo
	s_cbranch_execnz .LBB43_302
.LBB43_203:
	s_or_b32 exec_lo, exec_lo, s0
	s_and_saveexec_b32 s0, vcc_lo
	s_cbranch_execnz .LBB43_303
.LBB43_204:
	s_or_b32 exec_lo, exec_lo, s0
	s_and_saveexec_b32 s0, vcc_lo
	s_cbranch_execnz .LBB43_304
.LBB43_205:
	s_or_b32 exec_lo, exec_lo, s0
	s_and_saveexec_b32 s0, vcc_lo
	s_cbranch_execnz .LBB43_305
.LBB43_206:
	s_or_b32 exec_lo, exec_lo, s0
	s_and_saveexec_b32 s0, vcc_lo
	s_cbranch_execnz .LBB43_306
.LBB43_207:
	s_or_b32 exec_lo, exec_lo, s0
	s_and_saveexec_b32 s0, vcc_lo
	s_cbranch_execnz .LBB43_307
.LBB43_208:
	s_or_b32 exec_lo, exec_lo, s0
	s_and_saveexec_b32 s0, vcc_lo
	s_cbranch_execnz .LBB43_308
.LBB43_209:
	s_or_b32 exec_lo, exec_lo, s0
	s_and_saveexec_b32 s0, vcc_lo
	s_cbranch_execnz .LBB43_309
.LBB43_210:
	s_or_b32 exec_lo, exec_lo, s0
	s_and_saveexec_b32 s0, vcc_lo
	s_cbranch_execnz .LBB43_310
.LBB43_211:
	s_or_b32 exec_lo, exec_lo, s0
	s_and_saveexec_b32 s0, vcc_lo
	s_cbranch_execnz .LBB43_311
.LBB43_212:
	s_or_b32 exec_lo, exec_lo, s0
	s_and_saveexec_b32 s0, vcc_lo
	s_cbranch_execnz .LBB43_312
.LBB43_213:
	s_or_b32 exec_lo, exec_lo, s0
	s_and_saveexec_b32 s0, vcc_lo
	s_cbranch_execnz .LBB43_313
.LBB43_214:
	s_or_b32 exec_lo, exec_lo, s0
	s_and_saveexec_b32 s0, vcc_lo
	s_cbranch_execnz .LBB43_314
.LBB43_215:
	s_or_b32 exec_lo, exec_lo, s0
	s_and_saveexec_b32 s0, vcc_lo
	s_cbranch_execnz .LBB43_315
.LBB43_216:
	s_or_b32 exec_lo, exec_lo, s0
	s_and_saveexec_b32 s0, vcc_lo
	s_cbranch_execnz .LBB43_316
.LBB43_217:
	s_or_b32 exec_lo, exec_lo, s0
	s_and_saveexec_b32 s0, vcc_lo
	s_cbranch_execnz .LBB43_317
.LBB43_218:
	s_or_b32 exec_lo, exec_lo, s0
	s_and_saveexec_b32 s0, vcc_lo
	s_cbranch_execnz .LBB43_318
.LBB43_219:
	s_or_b32 exec_lo, exec_lo, s0
	s_and_saveexec_b32 s0, vcc_lo
	s_cbranch_execnz .LBB43_319
.LBB43_220:
	s_or_b32 exec_lo, exec_lo, s0
	s_and_saveexec_b32 s0, vcc_lo
	s_cbranch_execnz .LBB43_320
.LBB43_221:
	s_or_b32 exec_lo, exec_lo, s0
	s_and_saveexec_b32 s0, vcc_lo
	s_cbranch_execnz .LBB43_321
.LBB43_222:
	s_or_b32 exec_lo, exec_lo, s0
	s_and_saveexec_b32 s0, vcc_lo
	s_cbranch_execnz .LBB43_322
.LBB43_223:
	s_or_b32 exec_lo, exec_lo, s0
	s_and_saveexec_b32 s0, vcc_lo
	s_cbranch_execnz .LBB43_323
.LBB43_224:
	s_or_b32 exec_lo, exec_lo, s0
	s_and_saveexec_b32 s0, vcc_lo
	s_cbranch_execnz .LBB43_324
.LBB43_225:
	s_or_b32 exec_lo, exec_lo, s0
	s_and_saveexec_b32 s0, vcc_lo
	s_cbranch_execnz .LBB43_325
.LBB43_226:
	s_or_b32 exec_lo, exec_lo, s0
	s_and_saveexec_b32 s0, vcc_lo
	s_cbranch_execnz .LBB43_326
.LBB43_227:
	s_or_b32 exec_lo, exec_lo, s0
	s_and_saveexec_b32 s0, vcc_lo
	s_cbranch_execnz .LBB43_327
.LBB43_228:
	s_or_b32 exec_lo, exec_lo, s0
	s_and_saveexec_b32 s0, vcc_lo
	s_cbranch_execnz .LBB43_328
.LBB43_229:
	s_or_b32 exec_lo, exec_lo, s0
	s_and_saveexec_b32 s0, vcc_lo
	s_cbranch_execnz .LBB43_329
.LBB43_230:
	s_or_b32 exec_lo, exec_lo, s0
	s_and_saveexec_b32 s0, vcc_lo
	s_cbranch_execnz .LBB43_330
.LBB43_231:
	s_or_b32 exec_lo, exec_lo, s0
	s_and_saveexec_b32 s0, vcc_lo
	s_cbranch_execnz .LBB43_331
.LBB43_232:
	s_or_b32 exec_lo, exec_lo, s0
	s_and_saveexec_b32 s0, vcc_lo
	s_cbranch_execnz .LBB43_332
.LBB43_233:
	s_or_b32 exec_lo, exec_lo, s0
	s_and_saveexec_b32 s0, vcc_lo
	s_cbranch_execnz .LBB43_333
.LBB43_234:
	s_or_b32 exec_lo, exec_lo, s0
	s_and_saveexec_b32 s0, vcc_lo
	s_cbranch_execnz .LBB43_334
.LBB43_235:
	s_or_b32 exec_lo, exec_lo, s0
	s_and_saveexec_b32 s0, vcc_lo
	s_cbranch_execnz .LBB43_335
.LBB43_236:
	s_or_b32 exec_lo, exec_lo, s0
	s_and_saveexec_b32 s0, vcc_lo
	s_cbranch_execnz .LBB43_336
.LBB43_237:
	s_or_b32 exec_lo, exec_lo, s0
	s_and_saveexec_b32 s0, vcc_lo
	s_cbranch_execnz .LBB43_337
.LBB43_238:
	s_or_b32 exec_lo, exec_lo, s0
	s_and_saveexec_b32 s0, vcc_lo
	s_cbranch_execnz .LBB43_338
.LBB43_239:
	s_or_b32 exec_lo, exec_lo, s0
	s_and_saveexec_b32 s0, vcc_lo
	s_cbranch_execnz .LBB43_339
.LBB43_240:
	s_or_b32 exec_lo, exec_lo, s0
	s_and_saveexec_b32 s0, vcc_lo
	s_cbranch_execnz .LBB43_340
.LBB43_241:
	s_or_b32 exec_lo, exec_lo, s0
	s_and_saveexec_b32 s0, vcc_lo
	s_cbranch_execnz .LBB43_341
.LBB43_242:
	s_or_b32 exec_lo, exec_lo, s0
	s_and_saveexec_b32 s0, vcc_lo
	s_cbranch_execnz .LBB43_342
.LBB43_243:
	s_or_b32 exec_lo, exec_lo, s0
	s_and_saveexec_b32 s0, vcc_lo
	s_cbranch_execnz .LBB43_343
.LBB43_244:
	s_or_b32 exec_lo, exec_lo, s0
	s_and_saveexec_b32 s0, vcc_lo
	s_cbranch_execnz .LBB43_344
.LBB43_245:
	s_or_b32 exec_lo, exec_lo, s0
	s_and_saveexec_b32 s0, vcc_lo
	s_cbranch_execnz .LBB43_345
.LBB43_246:
	s_or_b32 exec_lo, exec_lo, s0
	s_and_saveexec_b32 s0, vcc_lo
	s_cbranch_execnz .LBB43_346
.LBB43_247:
	s_or_b32 exec_lo, exec_lo, s0
	s_and_saveexec_b32 s0, vcc_lo
	s_cbranch_execz .LBB43_249
.LBB43_248:
	ds_load_b32 v48, v48 offset:752
	s_wait_dscnt 0x0
	v_add_f32_e32 v37, v37, v48
.LBB43_249:
	s_or_b32 exec_lo, exec_lo, s0
.LBB43_250:
	s_delay_alu instid0(SALU_CYCLE_1)
	s_or_b32 exec_lo, exec_lo, s1
	s_mov_b32 s1, 0
	s_barrier_signal -1
	s_barrier_wait -1
	s_mov_b32 s0, exec_lo
	v_cmpx_eq_u32_e32 0, v50
	s_cbranch_execz .LBB43_252
; %bb.251:
	scratch_load_b32 v48, off, off offset:564 th:TH_LOAD_LU ; 4-byte Folded Reload
	s_mul_i32 s0, s28, s8
	s_mul_i32 s2, s8, s12
	;; [unrolled: 1-line block ×3, first 2 shown]
	s_lshr_b32 s6, ttmp7, 16
	s_mul_i32 s4, s0, 0xc0
	s_bfe_u32 s0, ttmp6, 0x40014
	s_ashr_i32 s5, s4, 31
	s_add_co_i32 s0, s0, 1
	s_ashr_i32 s3, s2, 31
	s_mul_i32 s0, s6, s0
	s_bfe_u32 s7, ttmp6, 0x40008
	s_lshl_b64 s[4:5], s[4:5], 2
	s_lshl_b64 s[2:3], s[2:3], 2
	s_add_co_i32 s7, s7, s0
	s_cmp_eq_u32 s26, 0
	s_wait_kmcnt 0x0
	s_add_nc_u64 s[4:5], s[10:11], s[4:5]
	s_cselect_b32 s0, s6, s7
	s_add_nc_u64 s[2:3], s[4:5], s[2:3]
	s_mulk_i32 s0, 0x300
	s_delay_alu instid0(SALU_CYCLE_1)
	s_add_nc_u64 s[0:1], s[2:3], s[0:1]
	s_wait_loadcnt 0x0
	v_lshrrev_b32_e32 v48, 1, v48
	s_clause 0x2f
	global_store_b32 v48, v4, s[0:1]
	global_store_b32 v48, v5, s[0:1] offset:16
	global_store_b32 v48, v2, s[0:1] offset:32
	;; [unrolled: 1-line block ×47, first 2 shown]
.LBB43_252:
	s_sendmsg sendmsg(MSG_DEALLOC_VGPRS)
	s_endpgm
.LBB43_253:
	ds_load_b32 v50, v48
	s_wait_dscnt 0x0
	v_add_f32_e32 v4, v4, v50
	s_or_b32 exec_lo, exec_lo, s0
	s_and_saveexec_b32 s0, vcc_lo
	s_cbranch_execz .LBB43_149
.LBB43_254:
	ds_load_b32 v50, v48 offset:16
	s_wait_dscnt 0x0
	v_add_f32_e32 v5, v5, v50
	s_or_b32 exec_lo, exec_lo, s0
	s_and_saveexec_b32 s0, vcc_lo
	s_cbranch_execz .LBB43_150
.LBB43_255:
	ds_load_b32 v50, v48 offset:32
	s_wait_dscnt 0x0
	v_add_f32_e32 v2, v2, v50
	s_or_b32 exec_lo, exec_lo, s0
	s_and_saveexec_b32 s0, vcc_lo
	s_cbranch_execz .LBB43_151
.LBB43_256:
	ds_load_b32 v50, v48 offset:48
	s_wait_dscnt 0x0
	v_add_f32_e32 v3, v3, v50
	s_or_b32 exec_lo, exec_lo, s0
	s_and_saveexec_b32 s0, vcc_lo
	s_cbranch_execz .LBB43_152
.LBB43_257:
	ds_load_b32 v50, v48 offset:64
	s_wait_dscnt 0x0
	v_add_f32_e32 v0, v0, v50
	s_or_b32 exec_lo, exec_lo, s0
	s_and_saveexec_b32 s0, vcc_lo
	s_cbranch_execz .LBB43_153
.LBB43_258:
	ds_load_b32 v50, v48 offset:80
	s_wait_dscnt 0x0
	v_add_f32_e32 v1, v1, v50
	s_or_b32 exec_lo, exec_lo, s0
	s_and_saveexec_b32 s0, vcc_lo
	s_cbranch_execz .LBB43_154
.LBB43_259:
	ds_load_b32 v50, v48 offset:96
	s_wait_dscnt 0x0
	v_add_f32_e32 v10, v10, v50
	s_or_b32 exec_lo, exec_lo, s0
	s_and_saveexec_b32 s0, vcc_lo
	s_cbranch_execz .LBB43_155
.LBB43_260:
	ds_load_b32 v50, v48 offset:112
	s_wait_dscnt 0x0
	v_add_f32_e32 v11, v11, v50
	s_or_b32 exec_lo, exec_lo, s0
	s_and_saveexec_b32 s0, vcc_lo
	s_cbranch_execz .LBB43_156
.LBB43_261:
	ds_load_b32 v50, v48 offset:128
	s_wait_dscnt 0x0
	v_add_f32_e32 v8, v8, v50
	s_or_b32 exec_lo, exec_lo, s0
	s_and_saveexec_b32 s0, vcc_lo
	s_cbranch_execz .LBB43_157
.LBB43_262:
	ds_load_b32 v50, v48 offset:144
	s_wait_dscnt 0x0
	v_add_f32_e32 v9, v9, v50
	s_or_b32 exec_lo, exec_lo, s0
	s_and_saveexec_b32 s0, vcc_lo
	s_cbranch_execz .LBB43_158
.LBB43_263:
	ds_load_b32 v50, v48 offset:160
	s_wait_dscnt 0x0
	v_add_f32_e32 v6, v6, v50
	s_or_b32 exec_lo, exec_lo, s0
	s_and_saveexec_b32 s0, vcc_lo
	s_cbranch_execz .LBB43_159
.LBB43_264:
	ds_load_b32 v50, v48 offset:176
	s_wait_dscnt 0x0
	v_add_f32_e32 v7, v7, v50
	s_or_b32 exec_lo, exec_lo, s0
	s_and_saveexec_b32 s0, vcc_lo
	s_cbranch_execz .LBB43_160
.LBB43_265:
	ds_load_b32 v50, v48 offset:192
	s_wait_dscnt 0x0
	v_add_f32_e32 v46, v46, v50
	s_or_b32 exec_lo, exec_lo, s0
	s_and_saveexec_b32 s0, vcc_lo
	s_cbranch_execz .LBB43_161
.LBB43_266:
	ds_load_b32 v50, v48 offset:208
	s_wait_dscnt 0x0
	v_add_f32_e32 v47, v47, v50
	s_or_b32 exec_lo, exec_lo, s0
	s_and_saveexec_b32 s0, vcc_lo
	s_cbranch_execz .LBB43_162
.LBB43_267:
	ds_load_b32 v50, v48 offset:224
	s_wait_dscnt 0x0
	v_add_f32_e32 v44, v44, v50
	s_or_b32 exec_lo, exec_lo, s0
	s_and_saveexec_b32 s0, vcc_lo
	s_cbranch_execz .LBB43_163
.LBB43_268:
	ds_load_b32 v50, v48 offset:240
	s_wait_dscnt 0x0
	v_add_f32_e32 v45, v45, v50
	s_or_b32 exec_lo, exec_lo, s0
	s_and_saveexec_b32 s0, vcc_lo
	s_cbranch_execz .LBB43_164
.LBB43_269:
	ds_load_b32 v50, v48 offset:256
	s_wait_dscnt 0x0
	v_add_f32_e32 v42, v42, v50
	s_or_b32 exec_lo, exec_lo, s0
	s_and_saveexec_b32 s0, vcc_lo
	s_cbranch_execz .LBB43_165
.LBB43_270:
	ds_load_b32 v50, v48 offset:272
	s_wait_dscnt 0x0
	v_add_f32_e32 v43, v43, v50
	s_or_b32 exec_lo, exec_lo, s0
	s_and_saveexec_b32 s0, vcc_lo
	s_cbranch_execz .LBB43_166
.LBB43_271:
	ds_load_b32 v50, v48 offset:288
	s_wait_dscnt 0x0
	v_add_f32_e32 v40, v40, v50
	s_or_b32 exec_lo, exec_lo, s0
	s_and_saveexec_b32 s0, vcc_lo
	s_cbranch_execz .LBB43_167
.LBB43_272:
	ds_load_b32 v50, v48 offset:304
	s_wait_dscnt 0x0
	v_add_f32_e32 v41, v41, v50
	s_or_b32 exec_lo, exec_lo, s0
	s_and_saveexec_b32 s0, vcc_lo
	s_cbranch_execz .LBB43_168
.LBB43_273:
	ds_load_b32 v50, v48 offset:320
	s_wait_dscnt 0x0
	v_add_f32_e32 v38, v38, v50
	s_or_b32 exec_lo, exec_lo, s0
	s_and_saveexec_b32 s0, vcc_lo
	s_cbranch_execz .LBB43_169
.LBB43_274:
	ds_load_b32 v50, v48 offset:336
	s_wait_dscnt 0x0
	v_add_f32_e32 v39, v39, v50
	s_or_b32 exec_lo, exec_lo, s0
	s_and_saveexec_b32 s0, vcc_lo
	s_cbranch_execz .LBB43_170
.LBB43_275:
	ds_load_b32 v50, v48 offset:352
	s_wait_dscnt 0x0
	v_add_f32_e32 v34, v34, v50
	s_or_b32 exec_lo, exec_lo, s0
	s_and_saveexec_b32 s0, vcc_lo
	s_cbranch_execz .LBB43_171
.LBB43_276:
	ds_load_b32 v50, v48 offset:368
	s_wait_dscnt 0x0
	v_add_f32_e32 v35, v35, v50
	s_or_b32 exec_lo, exec_lo, s0
	s_and_saveexec_b32 s0, vcc_lo
	s_cbranch_execz .LBB43_172
.LBB43_277:
	ds_load_b32 v50, v48 offset:384
	s_wait_dscnt 0x0
	v_add_f32_e32 v32, v32, v50
	s_or_b32 exec_lo, exec_lo, s0
	s_and_saveexec_b32 s0, vcc_lo
	s_cbranch_execz .LBB43_173
.LBB43_278:
	ds_load_b32 v50, v48 offset:400
	s_wait_dscnt 0x0
	v_add_f32_e32 v33, v33, v50
	s_or_b32 exec_lo, exec_lo, s0
	s_and_saveexec_b32 s0, vcc_lo
	s_cbranch_execz .LBB43_174
.LBB43_279:
	ds_load_b32 v50, v48 offset:416
	s_wait_dscnt 0x0
	v_add_f32_e32 v28, v28, v50
	s_or_b32 exec_lo, exec_lo, s0
	s_and_saveexec_b32 s0, vcc_lo
	s_cbranch_execz .LBB43_175
.LBB43_280:
	ds_load_b32 v50, v48 offset:432
	s_wait_dscnt 0x0
	v_add_f32_e32 v29, v29, v50
	s_or_b32 exec_lo, exec_lo, s0
	s_and_saveexec_b32 s0, vcc_lo
	s_cbranch_execz .LBB43_176
.LBB43_281:
	ds_load_b32 v50, v48 offset:448
	s_wait_dscnt 0x0
	v_add_f32_e32 v26, v26, v50
	s_or_b32 exec_lo, exec_lo, s0
	s_and_saveexec_b32 s0, vcc_lo
	s_cbranch_execz .LBB43_177
.LBB43_282:
	ds_load_b32 v50, v48 offset:464
	s_wait_dscnt 0x0
	v_add_f32_e32 v27, v27, v50
	s_or_b32 exec_lo, exec_lo, s0
	s_and_saveexec_b32 s0, vcc_lo
	s_cbranch_execz .LBB43_178
.LBB43_283:
	ds_load_b32 v50, v48 offset:480
	s_wait_dscnt 0x0
	v_add_f32_e32 v24, v24, v50
	s_or_b32 exec_lo, exec_lo, s0
	s_and_saveexec_b32 s0, vcc_lo
	s_cbranch_execz .LBB43_179
.LBB43_284:
	ds_load_b32 v50, v48 offset:496
	s_wait_dscnt 0x0
	v_add_f32_e32 v25, v25, v50
	s_or_b32 exec_lo, exec_lo, s0
	s_and_saveexec_b32 s0, vcc_lo
	s_cbranch_execz .LBB43_180
.LBB43_285:
	ds_load_b32 v50, v48 offset:512
	s_wait_dscnt 0x0
	v_add_f32_e32 v22, v22, v50
	s_or_b32 exec_lo, exec_lo, s0
	s_and_saveexec_b32 s0, vcc_lo
	s_cbranch_execz .LBB43_181
.LBB43_286:
	ds_load_b32 v50, v48 offset:528
	s_wait_dscnt 0x0
	v_add_f32_e32 v23, v23, v50
	s_or_b32 exec_lo, exec_lo, s0
	s_and_saveexec_b32 s0, vcc_lo
	s_cbranch_execz .LBB43_182
.LBB43_287:
	ds_load_b32 v50, v48 offset:544
	s_wait_dscnt 0x0
	v_add_f32_e32 v20, v20, v50
	s_or_b32 exec_lo, exec_lo, s0
	s_and_saveexec_b32 s0, vcc_lo
	s_cbranch_execz .LBB43_183
.LBB43_288:
	ds_load_b32 v50, v48 offset:560
	s_wait_dscnt 0x0
	v_add_f32_e32 v21, v21, v50
	s_or_b32 exec_lo, exec_lo, s0
	s_and_saveexec_b32 s0, vcc_lo
	s_cbranch_execz .LBB43_184
.LBB43_289:
	ds_load_b32 v50, v48 offset:576
	s_wait_dscnt 0x0
	v_add_f32_e32 v18, v18, v50
	s_or_b32 exec_lo, exec_lo, s0
	s_and_saveexec_b32 s0, vcc_lo
	s_cbranch_execz .LBB43_185
.LBB43_290:
	ds_load_b32 v50, v48 offset:592
	s_wait_dscnt 0x0
	v_add_f32_e32 v19, v19, v50
	s_or_b32 exec_lo, exec_lo, s0
	s_and_saveexec_b32 s0, vcc_lo
	s_cbranch_execz .LBB43_186
.LBB43_291:
	ds_load_b32 v50, v48 offset:608
	s_wait_dscnt 0x0
	v_add_f32_e32 v16, v16, v50
	s_or_b32 exec_lo, exec_lo, s0
	s_and_saveexec_b32 s0, vcc_lo
	s_cbranch_execz .LBB43_187
.LBB43_292:
	ds_load_b32 v50, v48 offset:624
	s_wait_dscnt 0x0
	v_add_f32_e32 v17, v17, v50
	s_or_b32 exec_lo, exec_lo, s0
	s_and_saveexec_b32 s0, vcc_lo
	s_cbranch_execz .LBB43_188
.LBB43_293:
	ds_load_b32 v50, v48 offset:640
	s_wait_dscnt 0x0
	v_add_f32_e32 v14, v14, v50
	s_or_b32 exec_lo, exec_lo, s0
	s_and_saveexec_b32 s0, vcc_lo
	s_cbranch_execz .LBB43_189
.LBB43_294:
	ds_load_b32 v50, v48 offset:656
	s_wait_dscnt 0x0
	v_add_f32_e32 v15, v15, v50
	s_or_b32 exec_lo, exec_lo, s0
	s_and_saveexec_b32 s0, vcc_lo
	s_cbranch_execz .LBB43_190
.LBB43_295:
	ds_load_b32 v50, v48 offset:672
	s_wait_dscnt 0x0
	v_add_f32_e32 v12, v12, v50
	s_or_b32 exec_lo, exec_lo, s0
	s_and_saveexec_b32 s0, vcc_lo
	s_cbranch_execz .LBB43_191
.LBB43_296:
	ds_load_b32 v50, v48 offset:688
	s_wait_dscnt 0x0
	v_add_f32_e32 v13, v13, v50
	s_or_b32 exec_lo, exec_lo, s0
	s_and_saveexec_b32 s0, vcc_lo
	s_cbranch_execz .LBB43_192
.LBB43_297:
	ds_load_b32 v50, v48 offset:704
	s_wait_dscnt 0x0
	v_add_f32_e32 v30, v30, v50
	s_or_b32 exec_lo, exec_lo, s0
	s_and_saveexec_b32 s0, vcc_lo
	s_cbranch_execz .LBB43_193
.LBB43_298:
	ds_load_b32 v50, v48 offset:720
	s_wait_dscnt 0x0
	v_add_f32_e32 v31, v31, v50
	s_or_b32 exec_lo, exec_lo, s0
	s_and_saveexec_b32 s0, vcc_lo
	s_cbranch_execz .LBB43_194
.LBB43_299:
	ds_load_b32 v50, v48 offset:736
	s_wait_dscnt 0x0
	v_add_f32_e32 v36, v36, v50
	s_or_b32 exec_lo, exec_lo, s0
	s_and_saveexec_b32 s0, vcc_lo
	s_cbranch_execnz .LBB43_195
	s_branch .LBB43_196
.LBB43_300:
	ds_load_b32 v49, v48
	s_wait_dscnt 0x0
	v_add_f32_e32 v4, v4, v49
	s_or_b32 exec_lo, exec_lo, s0
	s_and_saveexec_b32 s0, vcc_lo
	s_cbranch_execz .LBB43_202
.LBB43_301:
	ds_load_b32 v49, v48 offset:16
	s_wait_dscnt 0x0
	v_add_f32_e32 v5, v5, v49
	s_or_b32 exec_lo, exec_lo, s0
	s_and_saveexec_b32 s0, vcc_lo
	s_cbranch_execz .LBB43_203
.LBB43_302:
	ds_load_b32 v49, v48 offset:32
	s_wait_dscnt 0x0
	v_add_f32_e32 v2, v2, v49
	s_or_b32 exec_lo, exec_lo, s0
	s_and_saveexec_b32 s0, vcc_lo
	s_cbranch_execz .LBB43_204
.LBB43_303:
	ds_load_b32 v49, v48 offset:48
	s_wait_dscnt 0x0
	v_add_f32_e32 v3, v3, v49
	s_or_b32 exec_lo, exec_lo, s0
	s_and_saveexec_b32 s0, vcc_lo
	s_cbranch_execz .LBB43_205
.LBB43_304:
	ds_load_b32 v49, v48 offset:64
	s_wait_dscnt 0x0
	v_add_f32_e32 v0, v0, v49
	s_or_b32 exec_lo, exec_lo, s0
	s_and_saveexec_b32 s0, vcc_lo
	s_cbranch_execz .LBB43_206
.LBB43_305:
	ds_load_b32 v49, v48 offset:80
	s_wait_dscnt 0x0
	v_add_f32_e32 v1, v1, v49
	s_or_b32 exec_lo, exec_lo, s0
	s_and_saveexec_b32 s0, vcc_lo
	s_cbranch_execz .LBB43_207
.LBB43_306:
	ds_load_b32 v49, v48 offset:96
	s_wait_dscnt 0x0
	v_add_f32_e32 v10, v10, v49
	s_or_b32 exec_lo, exec_lo, s0
	s_and_saveexec_b32 s0, vcc_lo
	s_cbranch_execz .LBB43_208
.LBB43_307:
	ds_load_b32 v49, v48 offset:112
	s_wait_dscnt 0x0
	v_add_f32_e32 v11, v11, v49
	s_or_b32 exec_lo, exec_lo, s0
	s_and_saveexec_b32 s0, vcc_lo
	s_cbranch_execz .LBB43_209
.LBB43_308:
	ds_load_b32 v49, v48 offset:128
	s_wait_dscnt 0x0
	v_add_f32_e32 v8, v8, v49
	s_or_b32 exec_lo, exec_lo, s0
	s_and_saveexec_b32 s0, vcc_lo
	s_cbranch_execz .LBB43_210
.LBB43_309:
	ds_load_b32 v49, v48 offset:144
	s_wait_dscnt 0x0
	v_add_f32_e32 v9, v9, v49
	s_or_b32 exec_lo, exec_lo, s0
	s_and_saveexec_b32 s0, vcc_lo
	s_cbranch_execz .LBB43_211
.LBB43_310:
	ds_load_b32 v49, v48 offset:160
	s_wait_dscnt 0x0
	v_add_f32_e32 v6, v6, v49
	s_or_b32 exec_lo, exec_lo, s0
	s_and_saveexec_b32 s0, vcc_lo
	s_cbranch_execz .LBB43_212
.LBB43_311:
	ds_load_b32 v49, v48 offset:176
	s_wait_dscnt 0x0
	v_add_f32_e32 v7, v7, v49
	s_or_b32 exec_lo, exec_lo, s0
	s_and_saveexec_b32 s0, vcc_lo
	s_cbranch_execz .LBB43_213
.LBB43_312:
	ds_load_b32 v49, v48 offset:192
	s_wait_dscnt 0x0
	v_add_f32_e32 v46, v46, v49
	s_or_b32 exec_lo, exec_lo, s0
	s_and_saveexec_b32 s0, vcc_lo
	s_cbranch_execz .LBB43_214
.LBB43_313:
	ds_load_b32 v49, v48 offset:208
	s_wait_dscnt 0x0
	v_add_f32_e32 v47, v47, v49
	s_or_b32 exec_lo, exec_lo, s0
	s_and_saveexec_b32 s0, vcc_lo
	s_cbranch_execz .LBB43_215
.LBB43_314:
	ds_load_b32 v49, v48 offset:224
	s_wait_dscnt 0x0
	v_add_f32_e32 v44, v44, v49
	s_or_b32 exec_lo, exec_lo, s0
	s_and_saveexec_b32 s0, vcc_lo
	s_cbranch_execz .LBB43_216
.LBB43_315:
	ds_load_b32 v49, v48 offset:240
	s_wait_dscnt 0x0
	v_add_f32_e32 v45, v45, v49
	s_or_b32 exec_lo, exec_lo, s0
	s_and_saveexec_b32 s0, vcc_lo
	s_cbranch_execz .LBB43_217
.LBB43_316:
	ds_load_b32 v49, v48 offset:256
	s_wait_dscnt 0x0
	v_add_f32_e32 v42, v42, v49
	s_or_b32 exec_lo, exec_lo, s0
	s_and_saveexec_b32 s0, vcc_lo
	s_cbranch_execz .LBB43_218
.LBB43_317:
	ds_load_b32 v49, v48 offset:272
	s_wait_dscnt 0x0
	v_add_f32_e32 v43, v43, v49
	s_or_b32 exec_lo, exec_lo, s0
	s_and_saveexec_b32 s0, vcc_lo
	s_cbranch_execz .LBB43_219
.LBB43_318:
	ds_load_b32 v49, v48 offset:288
	s_wait_dscnt 0x0
	v_add_f32_e32 v40, v40, v49
	s_or_b32 exec_lo, exec_lo, s0
	s_and_saveexec_b32 s0, vcc_lo
	s_cbranch_execz .LBB43_220
.LBB43_319:
	ds_load_b32 v49, v48 offset:304
	s_wait_dscnt 0x0
	v_add_f32_e32 v41, v41, v49
	s_or_b32 exec_lo, exec_lo, s0
	s_and_saveexec_b32 s0, vcc_lo
	s_cbranch_execz .LBB43_221
.LBB43_320:
	ds_load_b32 v49, v48 offset:320
	s_wait_dscnt 0x0
	v_add_f32_e32 v38, v38, v49
	s_or_b32 exec_lo, exec_lo, s0
	s_and_saveexec_b32 s0, vcc_lo
	s_cbranch_execz .LBB43_222
.LBB43_321:
	ds_load_b32 v49, v48 offset:336
	s_wait_dscnt 0x0
	v_add_f32_e32 v39, v39, v49
	s_or_b32 exec_lo, exec_lo, s0
	s_and_saveexec_b32 s0, vcc_lo
	s_cbranch_execz .LBB43_223
.LBB43_322:
	ds_load_b32 v49, v48 offset:352
	s_wait_dscnt 0x0
	v_add_f32_e32 v34, v34, v49
	s_or_b32 exec_lo, exec_lo, s0
	s_and_saveexec_b32 s0, vcc_lo
	s_cbranch_execz .LBB43_224
.LBB43_323:
	ds_load_b32 v49, v48 offset:368
	s_wait_dscnt 0x0
	v_add_f32_e32 v35, v35, v49
	s_or_b32 exec_lo, exec_lo, s0
	s_and_saveexec_b32 s0, vcc_lo
	s_cbranch_execz .LBB43_225
.LBB43_324:
	ds_load_b32 v49, v48 offset:384
	s_wait_dscnt 0x0
	v_add_f32_e32 v32, v32, v49
	s_or_b32 exec_lo, exec_lo, s0
	s_and_saveexec_b32 s0, vcc_lo
	s_cbranch_execz .LBB43_226
.LBB43_325:
	ds_load_b32 v49, v48 offset:400
	s_wait_dscnt 0x0
	v_add_f32_e32 v33, v33, v49
	s_or_b32 exec_lo, exec_lo, s0
	s_and_saveexec_b32 s0, vcc_lo
	s_cbranch_execz .LBB43_227
.LBB43_326:
	ds_load_b32 v49, v48 offset:416
	s_wait_dscnt 0x0
	v_add_f32_e32 v28, v28, v49
	s_or_b32 exec_lo, exec_lo, s0
	s_and_saveexec_b32 s0, vcc_lo
	s_cbranch_execz .LBB43_228
.LBB43_327:
	ds_load_b32 v49, v48 offset:432
	s_wait_dscnt 0x0
	v_add_f32_e32 v29, v29, v49
	s_or_b32 exec_lo, exec_lo, s0
	s_and_saveexec_b32 s0, vcc_lo
	s_cbranch_execz .LBB43_229
.LBB43_328:
	ds_load_b32 v49, v48 offset:448
	s_wait_dscnt 0x0
	v_add_f32_e32 v26, v26, v49
	s_or_b32 exec_lo, exec_lo, s0
	s_and_saveexec_b32 s0, vcc_lo
	s_cbranch_execz .LBB43_230
.LBB43_329:
	ds_load_b32 v49, v48 offset:464
	s_wait_dscnt 0x0
	v_add_f32_e32 v27, v27, v49
	s_or_b32 exec_lo, exec_lo, s0
	s_and_saveexec_b32 s0, vcc_lo
	s_cbranch_execz .LBB43_231
.LBB43_330:
	ds_load_b32 v49, v48 offset:480
	s_wait_dscnt 0x0
	v_add_f32_e32 v24, v24, v49
	s_or_b32 exec_lo, exec_lo, s0
	s_and_saveexec_b32 s0, vcc_lo
	s_cbranch_execz .LBB43_232
.LBB43_331:
	ds_load_b32 v49, v48 offset:496
	s_wait_dscnt 0x0
	v_add_f32_e32 v25, v25, v49
	s_or_b32 exec_lo, exec_lo, s0
	s_and_saveexec_b32 s0, vcc_lo
	s_cbranch_execz .LBB43_233
.LBB43_332:
	ds_load_b32 v49, v48 offset:512
	s_wait_dscnt 0x0
	v_add_f32_e32 v22, v22, v49
	s_or_b32 exec_lo, exec_lo, s0
	s_and_saveexec_b32 s0, vcc_lo
	s_cbranch_execz .LBB43_234
.LBB43_333:
	ds_load_b32 v49, v48 offset:528
	s_wait_dscnt 0x0
	v_add_f32_e32 v23, v23, v49
	s_or_b32 exec_lo, exec_lo, s0
	s_and_saveexec_b32 s0, vcc_lo
	s_cbranch_execz .LBB43_235
.LBB43_334:
	ds_load_b32 v49, v48 offset:544
	s_wait_dscnt 0x0
	v_add_f32_e32 v20, v20, v49
	s_or_b32 exec_lo, exec_lo, s0
	s_and_saveexec_b32 s0, vcc_lo
	s_cbranch_execz .LBB43_236
.LBB43_335:
	ds_load_b32 v49, v48 offset:560
	s_wait_dscnt 0x0
	v_add_f32_e32 v21, v21, v49
	s_or_b32 exec_lo, exec_lo, s0
	s_and_saveexec_b32 s0, vcc_lo
	s_cbranch_execz .LBB43_237
.LBB43_336:
	ds_load_b32 v49, v48 offset:576
	s_wait_dscnt 0x0
	v_add_f32_e32 v18, v18, v49
	s_or_b32 exec_lo, exec_lo, s0
	s_and_saveexec_b32 s0, vcc_lo
	s_cbranch_execz .LBB43_238
.LBB43_337:
	ds_load_b32 v49, v48 offset:592
	s_wait_dscnt 0x0
	v_add_f32_e32 v19, v19, v49
	s_or_b32 exec_lo, exec_lo, s0
	s_and_saveexec_b32 s0, vcc_lo
	s_cbranch_execz .LBB43_239
.LBB43_338:
	ds_load_b32 v49, v48 offset:608
	s_wait_dscnt 0x0
	v_add_f32_e32 v16, v16, v49
	s_or_b32 exec_lo, exec_lo, s0
	s_and_saveexec_b32 s0, vcc_lo
	s_cbranch_execz .LBB43_240
.LBB43_339:
	ds_load_b32 v49, v48 offset:624
	s_wait_dscnt 0x0
	v_add_f32_e32 v17, v17, v49
	s_or_b32 exec_lo, exec_lo, s0
	s_and_saveexec_b32 s0, vcc_lo
	s_cbranch_execz .LBB43_241
.LBB43_340:
	ds_load_b32 v49, v48 offset:640
	s_wait_dscnt 0x0
	v_add_f32_e32 v14, v14, v49
	s_or_b32 exec_lo, exec_lo, s0
	s_and_saveexec_b32 s0, vcc_lo
	s_cbranch_execz .LBB43_242
.LBB43_341:
	ds_load_b32 v49, v48 offset:656
	s_wait_dscnt 0x0
	v_add_f32_e32 v15, v15, v49
	s_or_b32 exec_lo, exec_lo, s0
	s_and_saveexec_b32 s0, vcc_lo
	s_cbranch_execz .LBB43_243
.LBB43_342:
	ds_load_b32 v49, v48 offset:672
	s_wait_dscnt 0x0
	v_add_f32_e32 v12, v12, v49
	s_or_b32 exec_lo, exec_lo, s0
	s_and_saveexec_b32 s0, vcc_lo
	s_cbranch_execz .LBB43_244
.LBB43_343:
	ds_load_b32 v49, v48 offset:688
	s_wait_dscnt 0x0
	v_add_f32_e32 v13, v13, v49
	s_or_b32 exec_lo, exec_lo, s0
	s_and_saveexec_b32 s0, vcc_lo
	s_cbranch_execz .LBB43_245
.LBB43_344:
	ds_load_b32 v49, v48 offset:704
	s_wait_dscnt 0x0
	v_add_f32_e32 v30, v30, v49
	s_or_b32 exec_lo, exec_lo, s0
	s_and_saveexec_b32 s0, vcc_lo
	s_cbranch_execz .LBB43_246
.LBB43_345:
	ds_load_b32 v49, v48 offset:720
	s_wait_dscnt 0x0
	v_add_f32_e32 v31, v31, v49
	s_or_b32 exec_lo, exec_lo, s0
	s_and_saveexec_b32 s0, vcc_lo
	s_cbranch_execz .LBB43_247
.LBB43_346:
	ds_load_b32 v49, v48 offset:736
	s_wait_dscnt 0x0
	v_add_f32_e32 v36, v36, v49
	s_or_b32 exec_lo, exec_lo, s0
	s_and_saveexec_b32 s0, vcc_lo
	s_cbranch_execnz .LBB43_248
	s_branch .LBB43_249
	.section	.rodata,"a",@progbits
	.p2align	6, 0x0
	.amdhsa_kernel _ZN4vllm25paged_attention_v1_kernelIffLi192ELi32ELi128ELNS_18Fp8KVCacheDataTypeE0ELb1EEEvPT_PKS2_PKT0_S8_ifPKiSA_iPKfiiiSC_SC_iiiii
		.amdhsa_group_segment_fixed_size 800
		.amdhsa_private_segment_fixed_size 596
		.amdhsa_kernarg_size 384
		.amdhsa_user_sgpr_count 2
		.amdhsa_user_sgpr_dispatch_ptr 0
		.amdhsa_user_sgpr_queue_ptr 0
		.amdhsa_user_sgpr_kernarg_segment_ptr 1
		.amdhsa_user_sgpr_dispatch_id 0
		.amdhsa_user_sgpr_kernarg_preload_length 0
		.amdhsa_user_sgpr_kernarg_preload_offset 0
		.amdhsa_user_sgpr_private_segment_size 0
		.amdhsa_wavefront_size32 1
		.amdhsa_uses_dynamic_stack 0
		.amdhsa_enable_private_segment 1
		.amdhsa_system_sgpr_workgroup_id_x 1
		.amdhsa_system_sgpr_workgroup_id_y 1
		.amdhsa_system_sgpr_workgroup_id_z 1
		.amdhsa_system_sgpr_workgroup_info 0
		.amdhsa_system_vgpr_workitem_id 0
		.amdhsa_next_free_vgpr 128
		.amdhsa_next_free_sgpr 38
		.amdhsa_named_barrier_count 0
		.amdhsa_reserve_vcc 1
		.amdhsa_float_round_mode_32 0
		.amdhsa_float_round_mode_16_64 0
		.amdhsa_float_denorm_mode_32 3
		.amdhsa_float_denorm_mode_16_64 3
		.amdhsa_fp16_overflow 0
		.amdhsa_memory_ordered 1
		.amdhsa_forward_progress 1
		.amdhsa_inst_pref_size 192
		.amdhsa_round_robin_scheduling 0
		.amdhsa_exception_fp_ieee_invalid_op 0
		.amdhsa_exception_fp_denorm_src 0
		.amdhsa_exception_fp_ieee_div_zero 0
		.amdhsa_exception_fp_ieee_overflow 0
		.amdhsa_exception_fp_ieee_underflow 0
		.amdhsa_exception_fp_ieee_inexact 0
		.amdhsa_exception_int_div_zero 0
	.end_amdhsa_kernel
	.section	.text._ZN4vllm25paged_attention_v1_kernelIffLi192ELi32ELi128ELNS_18Fp8KVCacheDataTypeE0ELb1EEEvPT_PKS2_PKT0_S8_ifPKiSA_iPKfiiiSC_SC_iiiii,"axG",@progbits,_ZN4vllm25paged_attention_v1_kernelIffLi192ELi32ELi128ELNS_18Fp8KVCacheDataTypeE0ELb1EEEvPT_PKS2_PKT0_S8_ifPKiSA_iPKfiiiSC_SC_iiiii,comdat
.Lfunc_end43:
	.size	_ZN4vllm25paged_attention_v1_kernelIffLi192ELi32ELi128ELNS_18Fp8KVCacheDataTypeE0ELb1EEEvPT_PKS2_PKT0_S8_ifPKiSA_iPKfiiiSC_SC_iiiii, .Lfunc_end43-_ZN4vllm25paged_attention_v1_kernelIffLi192ELi32ELi128ELNS_18Fp8KVCacheDataTypeE0ELb1EEEvPT_PKS2_PKT0_S8_ifPKiSA_iPKfiiiSC_SC_iiiii
                                        ; -- End function
	.set _ZN4vllm25paged_attention_v1_kernelIffLi192ELi32ELi128ELNS_18Fp8KVCacheDataTypeE0ELb1EEEvPT_PKS2_PKT0_S8_ifPKiSA_iPKfiiiSC_SC_iiiii.num_vgpr, 128
	.set _ZN4vllm25paged_attention_v1_kernelIffLi192ELi32ELi128ELNS_18Fp8KVCacheDataTypeE0ELb1EEEvPT_PKS2_PKT0_S8_ifPKiSA_iPKfiiiSC_SC_iiiii.num_agpr, 0
	.set _ZN4vllm25paged_attention_v1_kernelIffLi192ELi32ELi128ELNS_18Fp8KVCacheDataTypeE0ELb1EEEvPT_PKS2_PKT0_S8_ifPKiSA_iPKfiiiSC_SC_iiiii.numbered_sgpr, 38
	.set _ZN4vllm25paged_attention_v1_kernelIffLi192ELi32ELi128ELNS_18Fp8KVCacheDataTypeE0ELb1EEEvPT_PKS2_PKT0_S8_ifPKiSA_iPKfiiiSC_SC_iiiii.num_named_barrier, 0
	.set _ZN4vllm25paged_attention_v1_kernelIffLi192ELi32ELi128ELNS_18Fp8KVCacheDataTypeE0ELb1EEEvPT_PKS2_PKT0_S8_ifPKiSA_iPKfiiiSC_SC_iiiii.private_seg_size, 596
	.set _ZN4vllm25paged_attention_v1_kernelIffLi192ELi32ELi128ELNS_18Fp8KVCacheDataTypeE0ELb1EEEvPT_PKS2_PKT0_S8_ifPKiSA_iPKfiiiSC_SC_iiiii.uses_vcc, 1
	.set _ZN4vllm25paged_attention_v1_kernelIffLi192ELi32ELi128ELNS_18Fp8KVCacheDataTypeE0ELb1EEEvPT_PKS2_PKT0_S8_ifPKiSA_iPKfiiiSC_SC_iiiii.uses_flat_scratch, 1
	.set _ZN4vllm25paged_attention_v1_kernelIffLi192ELi32ELi128ELNS_18Fp8KVCacheDataTypeE0ELb1EEEvPT_PKS2_PKT0_S8_ifPKiSA_iPKfiiiSC_SC_iiiii.has_dyn_sized_stack, 0
	.set _ZN4vllm25paged_attention_v1_kernelIffLi192ELi32ELi128ELNS_18Fp8KVCacheDataTypeE0ELb1EEEvPT_PKS2_PKT0_S8_ifPKiSA_iPKfiiiSC_SC_iiiii.has_recursion, 0
	.set _ZN4vllm25paged_attention_v1_kernelIffLi192ELi32ELi128ELNS_18Fp8KVCacheDataTypeE0ELb1EEEvPT_PKS2_PKT0_S8_ifPKiSA_iPKfiiiSC_SC_iiiii.has_indirect_call, 0
	.section	.AMDGPU.csdata,"",@progbits
; Kernel info:
; codeLenInByte = 24548
; TotalNumSgprs: 40
; NumVgprs: 128
; ScratchSize: 596
; MemoryBound: 0
; FloatMode: 240
; IeeeMode: 1
; LDSByteSize: 800 bytes/workgroup (compile time only)
; SGPRBlocks: 0
; VGPRBlocks: 7
; NumSGPRsForWavesPerEU: 40
; NumVGPRsForWavesPerEU: 128
; NamedBarCnt: 0
; Occupancy: 8
; WaveLimiterHint : 1
; COMPUTE_PGM_RSRC2:SCRATCH_EN: 1
; COMPUTE_PGM_RSRC2:USER_SGPR: 2
; COMPUTE_PGM_RSRC2:TRAP_HANDLER: 0
; COMPUTE_PGM_RSRC2:TGID_X_EN: 1
; COMPUTE_PGM_RSRC2:TGID_Y_EN: 1
; COMPUTE_PGM_RSRC2:TGID_Z_EN: 1
; COMPUTE_PGM_RSRC2:TIDIG_COMP_CNT: 0
	.section	.text._ZN4vllm25paged_attention_v1_kernelIffLi256ELi32ELi128ELNS_18Fp8KVCacheDataTypeE0ELb1EEEvPT_PKS2_PKT0_S8_ifPKiSA_iPKfiiiSC_SC_iiiii,"axG",@progbits,_ZN4vllm25paged_attention_v1_kernelIffLi256ELi32ELi128ELNS_18Fp8KVCacheDataTypeE0ELb1EEEvPT_PKS2_PKT0_S8_ifPKiSA_iPKfiiiSC_SC_iiiii,comdat
	.protected	_ZN4vllm25paged_attention_v1_kernelIffLi256ELi32ELi128ELNS_18Fp8KVCacheDataTypeE0ELb1EEEvPT_PKS2_PKT0_S8_ifPKiSA_iPKfiiiSC_SC_iiiii ; -- Begin function _ZN4vllm25paged_attention_v1_kernelIffLi256ELi32ELi128ELNS_18Fp8KVCacheDataTypeE0ELb1EEEvPT_PKS2_PKT0_S8_ifPKiSA_iPKfiiiSC_SC_iiiii
	.globl	_ZN4vllm25paged_attention_v1_kernelIffLi256ELi32ELi128ELNS_18Fp8KVCacheDataTypeE0ELb1EEEvPT_PKS2_PKT0_S8_ifPKiSA_iPKfiiiSC_SC_iiiii
	.p2align	8
	.type	_ZN4vllm25paged_attention_v1_kernelIffLi256ELi32ELi128ELNS_18Fp8KVCacheDataTypeE0ELb1EEEvPT_PKS2_PKT0_S8_ifPKiSA_iPKfiiiSC_SC_iiiii,@function
_ZN4vllm25paged_attention_v1_kernelIffLi256ELi32ELi128ELNS_18Fp8KVCacheDataTypeE0ELb1EEEvPT_PKS2_PKT0_S8_ifPKiSA_iPKfiiiSC_SC_iiiii: ; @_ZN4vllm25paged_attention_v1_kernelIffLi256ELi32ELi128ELNS_18Fp8KVCacheDataTypeE0ELb1EEEvPT_PKS2_PKT0_S8_ifPKiSA_iPKfiiiSC_SC_iiiii
; %bb.0:
	s_load_b64 s[24:25], s[0:1], 0x20
	s_bfe_u32 s3, ttmp6, 0x4000c
	s_bfe_u32 s5, ttmp6, 0x40010
	s_and_b32 s4, ttmp7, 0xffff
	s_add_co_i32 s3, s3, 1
	s_add_co_i32 s5, s5, 1
	s_and_b32 s2, ttmp6, 15
	s_bfe_u32 s6, ttmp6, 0x40004
	s_mul_i32 s3, ttmp9, s3
	s_mul_i32 s5, s4, s5
	s_getreg_b32 s28, hwreg(HW_REG_IB_STS2, 6, 4)
	s_add_co_i32 s7, s2, s3
	s_add_co_i32 s6, s6, s5
	s_cmp_eq_u32 s28, 0
	scratch_store_b32 off, v0, off offset:900 ; 4-byte Folded Spill
	s_cselect_b32 s30, s4, s6
	s_cselect_b32 s4, ttmp9, s7
	s_clause 0x1
	s_load_b32 s29, s[0:1], 0x80
	s_load_b64 s[2:3], s[0:1], 0x30
	s_mov_b32 s17, 0
	s_delay_alu instid0(SALU_CYCLE_1) | instskip(SKIP_2) | instid1(SALU_CYCLE_1)
	s_mov_b32 s36, s17
	s_wait_kmcnt 0x0
	s_abs_i32 s5, s24
	s_cvt_f32_u32 s6, s5
	s_sub_co_i32 s7, 0, s5
	s_delay_alu instid0(SALU_CYCLE_2) | instskip(SKIP_1) | instid1(TRANS32_DEP_1)
	v_rcp_iflag_f32_e32 v0, s6
	v_nop
	v_readfirstlane_b32 s6, v0
	s_abs_i32 s8, s29
	s_mul_f32 s6, s6, 0x4f7ffffe
	s_delay_alu instid0(SALU_CYCLE_3) | instskip(NEXT) | instid1(SALU_CYCLE_3)
	s_cvt_u32_f32 s6, s6
	s_mul_i32 s7, s7, s6
	s_delay_alu instid0(SALU_CYCLE_1) | instskip(NEXT) | instid1(SALU_CYCLE_1)
	s_mul_hi_u32 s7, s6, s7
	s_add_co_i32 s6, s6, s7
	s_xor_b32 s7, s29, s24
	s_mul_hi_u32 s6, s8, s6
	s_ashr_i32 s7, s7, 31
	s_mul_i32 s9, s6, s5
	s_delay_alu instid0(SALU_CYCLE_1)
	s_sub_co_i32 s8, s8, s9
	s_add_co_i32 s9, s6, 1
	s_sub_co_i32 s10, s8, s5
	s_cmp_ge_u32 s8, s5
	s_cselect_b32 s6, s9, s6
	s_cselect_b32 s8, s10, s8
	s_add_co_i32 s9, s6, 1
	s_cmp_ge_u32 s8, s5
	s_cselect_b32 s5, s9, s6
	s_load_b64 s[8:9], s[0:1], 0x40
	s_xor_b32 s5, s5, s7
	s_abs_i32 s16, s4
	s_sub_co_i32 s10, s5, s7
	s_mov_b32 s7, s17
	s_abs_i32 s15, s10
	s_delay_alu instid0(SALU_CYCLE_1) | instskip(SKIP_1) | instid1(SALU_CYCLE_2)
	s_cvt_f32_u32 s5, s15
	s_sub_co_i32 s6, 0, s15
	v_rcp_iflag_f32_e32 v0, s5
	v_nop
	s_delay_alu instid0(TRANS32_DEP_1) | instskip(SKIP_1) | instid1(SALU_CYCLE_3)
	v_readfirstlane_b32 s5, v0
	s_mul_f32 s5, s5, 0x4f7ffffe
	s_cvt_u32_f32 s5, s5
	s_delay_alu instid0(SALU_CYCLE_3) | instskip(NEXT) | instid1(SALU_CYCLE_1)
	s_mul_i32 s6, s6, s5
	s_mul_hi_u32 s6, s5, s6
	s_delay_alu instid0(SALU_CYCLE_1)
	s_add_co_i32 s6, s5, s6
	s_wait_kmcnt 0x0
	s_cmp_eq_u64 s[8:9], 0
	s_cbranch_scc1 .LBB44_2
; %bb.1:
	s_ashr_i32 s5, s4, 31
	s_delay_alu instid0(SALU_CYCLE_1) | instskip(NEXT) | instid1(SALU_CYCLE_1)
	s_lshl_b64 s[12:13], s[4:5], 2
	s_add_nc_u64 s[8:9], s[8:9], s[12:13]
	s_load_b32 s36, s[8:9], 0x0
.LBB44_2:
	s_load_b32 s31, s[2:3], s30 offset:0x0 scale_offset
	s_load_b96 s[12:14], s[0:1], 0x48
	scratch_load_b32 v0, off, off offset:900 ; 4-byte Folded Reload
	s_ashr_i32 s3, s4, 31
	s_ashr_i32 s5, s10, 31
	s_mul_u64 s[18:19], s[16:17], s[6:7]
	s_lshl_b32 s6, s4, 8
	s_wait_loadcnt 0x0
	v_cmp_gt_u32_e64 s2, 64, v0
	s_wait_xcnt 0x0
	s_and_saveexec_b32 s8, s2
	s_cbranch_execz .LBB44_4
; %bb.3:
	scratch_load_b32 v4, off, off offset:900 ; 4-byte Folded Reload
	s_load_b64 s[10:11], s[0:1], 0x8
	s_wait_kmcnt 0x0
	s_mul_i32 s20, s12, s30
	s_ashr_i32 s7, s6, 31
	s_ashr_i32 s21, s20, 31
	s_delay_alu instid0(SALU_CYCLE_1) | instskip(NEXT) | instid1(SALU_CYCLE_1)
	s_lshl_b64 s[20:21], s[20:21], 2
	s_add_nc_u64 s[10:11], s[10:11], s[20:21]
	s_lshl_b64 s[20:21], s[6:7], 2
	s_delay_alu instid0(SALU_CYCLE_1)
	s_add_nc_u64 s[10:11], s[10:11], s[20:21]
	s_wait_loadcnt 0x0
	global_load_b128 v[0:3], v4, s[10:11] scale_offset
	s_wait_xcnt 0x0
	v_lshlrev_b32_e32 v4, 4, v4
	s_wait_loadcnt 0x0
	ds_store_b128 v4, v[0:3]
.LBB44_4:
	s_or_b32 exec_lo, exec_lo, s8
	s_load_b128 s[8:11], s[0:1], 0x68
	s_mul_i32 s7, s19, s15
	s_xor_b32 s5, s3, s5
	s_sub_co_i32 s3, s16, s7
	s_add_co_i32 s7, s19, 1
	s_wait_kmcnt 0x0
	s_sub_co_i32 s12, s3, s15
	s_cmp_ge_u32 s3, s15
	s_wait_storecnt_dscnt 0x0
	s_cselect_b32 s7, s7, s19
	s_cselect_b32 s3, s12, s3
	s_add_co_i32 s12, s7, 1
	s_cmp_ge_u32 s3, s15
	s_load_b32 s3, s[0:1], 0x78
	s_cselect_b32 s7, s12, s7
	s_mov_b32 s19, 0
	s_xor_b32 s7, s7, s5
	s_barrier_signal -1
	s_sub_co_i32 s5, s7, s5
	s_barrier_wait -1
	s_abs_i32 s12, s11
                                        ; implicit-def: $sgpr33
	s_delay_alu instid0(SALU_CYCLE_1) | instskip(SKIP_1) | instid1(SALU_CYCLE_2)
	s_cvt_f32_u32 s15, s12
	s_sub_co_i32 s17, 0, s12
	v_rcp_iflag_f32_e32 v0, s15
	v_nop
	s_delay_alu instid0(TRANS32_DEP_1) | instskip(SKIP_2) | instid1(SALU_CYCLE_2)
	v_readfirstlane_b32 s15, v0
	s_mul_f32 s7, s15, 0x4f7ffffe
	s_mov_b32 s15, -1
	s_cvt_u32_f32 s16, s7
	s_add_co_i32 s7, s31, -1
	s_delay_alu instid0(SALU_CYCLE_1) | instskip(NEXT) | instid1(SALU_CYCLE_1)
	s_abs_i32 s18, s7
	s_mul_i32 s17, s17, s16
	s_delay_alu instid0(SALU_CYCLE_1) | instskip(NEXT) | instid1(SALU_CYCLE_1)
	s_mul_hi_u32 s17, s16, s17
	s_add_co_i32 s16, s16, s17
	s_wait_kmcnt 0x0
	s_cmp_lt_i32 s3, 0
	s_mov_b32 s17, s19
	s_cbranch_scc0 .LBB44_6
; %bb.5:
	s_mul_i32 s15, s8, s24
	s_delay_alu instid0(SALU_CYCLE_1) | instskip(NEXT) | instid1(SALU_CYCLE_1)
	s_add_co_i32 s15, s5, s15
	s_mul_i32 s15, s15, s3
	s_delay_alu instid0(SALU_CYCLE_1)
	s_sub_co_i32 s33, 1, s15
	s_mov_b32 s15, s19
.LBB44_6:
	s_ashr_i32 s7, s7, 31
	s_ashr_i32 s34, s11, 31
	s_and_not1_b32 vcc_lo, exec_lo, s15
	s_mul_u64 s[22:23], s[18:19], s[16:17]
	s_cbranch_vccnz .LBB44_8
; %bb.7:
	s_mul_i32 s8, s29, s8
	s_delay_alu instid0(SALU_CYCLE_1) | instskip(NEXT) | instid1(SALU_CYCLE_1)
	s_add_co_i32 s4, s8, s4
	s_mul_i32 s3, s4, s3
	s_delay_alu instid0(SALU_CYCLE_1)
	s_add_co_i32 s33, s3, 1
.LBB44_8:
	s_xor_b32 s4, s7, s34
	s_mul_i32 s7, s23, s12
	s_load_b32 s3, s[0:1], 0x38
	s_sub_co_i32 s11, s18, s7
	s_clause 0x1
	s_load_b64 s[18:19], s[0:1], 0x28
	s_load_b32 s7, s[0:1], 0x88
	scratch_load_b32 v0, off, off offset:900 ; 4-byte Folded Reload
	s_add_co_i32 s8, s23, 1
	s_mul_i32 s22, s5, s14
	s_wait_kmcnt 0x0
	s_mul_i32 s20, s3, s30
	s_sub_co_i32 s3, s11, s12
	s_ashr_i32 s21, s20, 31
	s_cmp_ge_u32 s11, s12
	s_cselect_b32 s8, s8, s23
	s_cselect_b32 s3, s3, s11
	s_add_co_i32 s11, s8, 1
	s_cmp_ge_u32 s3, s12
	s_cselect_b32 s3, s11, s8
	s_add_co_i32 s8, s31, 31
	s_delay_alu instid0(SALU_CYCLE_1) | instskip(NEXT) | instid1(SALU_CYCLE_1)
	s_ashr_i32 s11, s8, 31
	s_lshr_b32 s11, s11, 27
	s_delay_alu instid0(SALU_CYCLE_1) | instskip(NEXT) | instid1(SALU_CYCLE_1)
	s_add_co_i32 s8, s8, s11
	s_ashr_i32 s35, s8, 5
	s_xor_b32 s8, s3, s4
	s_delay_alu instid0(SALU_CYCLE_1) | instskip(SKIP_4) | instid1(VALU_DEP_3)
	s_sub_co_i32 s8, s8, s4
	s_wait_loadcnt 0x0
	v_dual_lshrrev_b32 v1, 5, v0 :: v_dual_bitop2_b32 v2, 31, v0 bitop3:0x40
	v_mov_b32_e32 v127, 0xff7fffff
	v_lshrrev_b32_e32 v25, 3, v0
	v_cmp_gt_i32_e64 s3, s35, v1
	s_delay_alu instid0(VALU_DEP_4)
	v_dual_lshlrev_b32 v13, 2, v2 :: v_dual_lshlrev_b32 v28, 5, v1
	s_clause 0x1
	scratch_store_b32 off, v2, off offset:896
	scratch_store_b32 off, v1, off offset:908
	s_wait_xcnt 0x0
	s_and_saveexec_b32 s11, s3
	s_cbranch_execz .LBB44_16
; %bb.9:
	scratch_load_b32 v12, off, off offset:896 ; 4-byte Folded Reload
	s_load_b64 s[4:5], s[0:1], 0x10
	s_ashr_i32 s23, s22, 31
	s_sub_co_i32 s24, s8, s9
	s_lshl_b64 s[26:27], s[22:23], 2
	s_ashr_i32 s15, s13, 31
	s_cmp_neq_f32 s36, 0
	v_mov_b32_e32 v127, 0xff7fffff
	s_mov_b32 s14, s13
	v_mov_b32_e32 v1, 0
	s_cselect_b32 vcc_lo, -1, 0
	s_abs_i32 s23, s10
	s_wait_kmcnt 0x0
	s_add_nc_u64 s[4:5], s[4:5], s[26:27]
	s_mov_b32 s27, 0
	s_delay_alu instid0(SALU_CYCLE_1) | instskip(SKIP_3) | instid1(VALU_DEP_2)
	s_mov_b32 s37, s27
	s_wait_loadcnt 0x0
	v_lshlrev_b32_e32 v0, 4, v12
	v_subrev_nc_u32_e32 v12, s31, v12
	v_add_nc_u64_e32 v[2:3], s[4:5], v[0:1]
	s_cvt_f32_u32 s4, s23
	s_sub_co_i32 s5, 0, s23
	s_delay_alu instid0(VALU_DEP_2) | instskip(NEXT) | instid1(SALU_CYCLE_1)
	v_add_nc_u32_e32 v12, 1, v12
	v_rcp_iflag_f32_e32 v0, s4
	scratch_store_b64 off, v[2:3], off      ; 8-byte Folded Spill
	s_wait_xcnt 0x0
	ds_load_b128 v[2:5], v1
	v_nop
	v_readfirstlane_b32 s4, v0
	v_and_b32_e32 v0, 0x7c, v25
	s_mul_f32 s4, s4, 0x4f7ffffe
	s_delay_alu instid0(SALU_CYCLE_3) | instskip(NEXT) | instid1(SALU_CYCLE_3)
	s_cvt_u32_f32 s4, s4
	s_mul_i32 s5, s5, s4
	s_delay_alu instid0(SALU_CYCLE_1)
	s_mul_hi_u32 s5, s4, s5
	s_wait_dscnt 0x0
	scratch_store_b128 off, v[2:5], off offset:8 ; 16-byte Folded Spill
	s_wait_xcnt 0x0
	ds_load_b128 v[2:5], v1 offset:16
	s_add_co_i32 s26, s4, s5
	s_lshl_b64 s[4:5], s[20:21], 2
	s_delay_alu instid0(SALU_CYCLE_1) | instskip(NEXT) | instid1(SALU_CYCLE_1)
	s_add_nc_u64 s[4:5], s[18:19], s[4:5]
	v_add_nc_u64_e32 v[10:11], s[4:5], v[0:1]
	s_wait_dscnt 0x0
	scratch_store_b128 off, v[2:5], off offset:24 ; 16-byte Folded Spill
	s_wait_xcnt 0x0
	ds_load_b128 v[2:5], v1 offset:32
	s_wait_dscnt 0x0
	scratch_store_b128 off, v[2:5], off offset:40 ; 16-byte Folded Spill
	s_wait_xcnt 0x0
	ds_load_b128 v[2:5], v1 offset:48
	s_wait_dscnt 0x0
	scratch_store_b128 off, v[2:5], off offset:56 ; 16-byte Folded Spill
	s_wait_xcnt 0x0
	ds_load_b128 v[2:5], v1 offset:64
	s_wait_dscnt 0x0
	scratch_store_b128 off, v[2:5], off offset:72 ; 16-byte Folded Spill
	s_wait_xcnt 0x0
	ds_load_b128 v[2:5], v1 offset:80
	s_wait_dscnt 0x0
	scratch_store_b128 off, v[2:5], off offset:88 ; 16-byte Folded Spill
	s_wait_xcnt 0x0
	ds_load_b128 v[2:5], v1 offset:96
	s_wait_dscnt 0x0
	scratch_store_b128 off, v[2:5], off offset:104 ; 16-byte Folded Spill
	s_wait_xcnt 0x0
	ds_load_b128 v[2:5], v1 offset:112
	s_wait_dscnt 0x0
	scratch_store_b128 off, v[2:5], off offset:120 ; 16-byte Folded Spill
	s_wait_xcnt 0x0
	ds_load_b128 v[2:5], v1 offset:128
	s_wait_dscnt 0x0
	scratch_store_b128 off, v[2:5], off offset:136 ; 16-byte Folded Spill
	s_wait_xcnt 0x0
	ds_load_b128 v[2:5], v1 offset:144
	s_wait_dscnt 0x0
	scratch_store_b128 off, v[2:5], off offset:152 ; 16-byte Folded Spill
	s_wait_xcnt 0x0
	ds_load_b128 v[2:5], v1 offset:160
	s_wait_dscnt 0x0
	scratch_store_b128 off, v[2:5], off offset:168 ; 16-byte Folded Spill
	s_wait_xcnt 0x0
	ds_load_b128 v[2:5], v1 offset:176
	s_wait_dscnt 0x0
	scratch_store_b128 off, v[2:5], off offset:184 ; 16-byte Folded Spill
	s_wait_xcnt 0x0
	ds_load_b128 v[2:5], v1 offset:192
	s_wait_dscnt 0x0
	scratch_store_b128 off, v[2:5], off offset:200 ; 16-byte Folded Spill
	s_wait_xcnt 0x0
	ds_load_b128 v[2:5], v1 offset:208
	s_wait_dscnt 0x0
	scratch_store_b128 off, v[2:5], off offset:216 ; 16-byte Folded Spill
	s_wait_xcnt 0x0
	ds_load_b128 v[2:5], v1 offset:224
	s_wait_dscnt 0x0
	scratch_store_b128 off, v[2:5], off offset:232 ; 16-byte Folded Spill
	s_wait_xcnt 0x0
	ds_load_b128 v[2:5], v1 offset:240
	s_wait_dscnt 0x0
	scratch_store_b128 off, v[2:5], off offset:248 ; 16-byte Folded Spill
	s_wait_xcnt 0x0
	ds_load_b128 v[2:5], v1 offset:256
	s_wait_dscnt 0x0
	scratch_store_b128 off, v[2:5], off offset:264 ; 16-byte Folded Spill
	s_wait_xcnt 0x0
	ds_load_b128 v[2:5], v1 offset:272
	s_wait_dscnt 0x0
	scratch_store_b128 off, v[2:5], off offset:280 ; 16-byte Folded Spill
	s_wait_xcnt 0x0
	ds_load_b128 v[2:5], v1 offset:288
	s_wait_dscnt 0x0
	scratch_store_b128 off, v[2:5], off offset:296 ; 16-byte Folded Spill
	s_wait_xcnt 0x0
	ds_load_b128 v[2:5], v1 offset:304
	s_wait_dscnt 0x0
	scratch_store_b128 off, v[2:5], off offset:312 ; 16-byte Folded Spill
	s_wait_xcnt 0x0
	ds_load_b128 v[2:5], v1 offset:320
	s_wait_dscnt 0x0
	scratch_store_b128 off, v[2:5], off offset:328 ; 16-byte Folded Spill
	s_wait_xcnt 0x0
	ds_load_b128 v[2:5], v1 offset:336
	s_wait_dscnt 0x0
	scratch_store_b128 off, v[2:5], off offset:344 ; 16-byte Folded Spill
	s_wait_xcnt 0x0
	ds_load_b128 v[2:5], v1 offset:352
	s_wait_dscnt 0x0
	scratch_store_b128 off, v[2:5], off offset:360 ; 16-byte Folded Spill
	s_wait_xcnt 0x0
	ds_load_b128 v[2:5], v1 offset:368
	s_wait_dscnt 0x0
	scratch_store_b128 off, v[2:5], off offset:376 ; 16-byte Folded Spill
	s_wait_xcnt 0x0
	ds_load_b128 v[2:5], v1 offset:384
	s_wait_dscnt 0x0
	scratch_store_b128 off, v[2:5], off offset:392 ; 16-byte Folded Spill
	s_wait_xcnt 0x0
	ds_load_b128 v[2:5], v1 offset:400
	s_wait_dscnt 0x0
	scratch_store_b128 off, v[2:5], off offset:408 ; 16-byte Folded Spill
	s_wait_xcnt 0x0
	ds_load_b128 v[2:5], v1 offset:416
	s_wait_dscnt 0x0
	scratch_store_b128 off, v[2:5], off offset:424 ; 16-byte Folded Spill
	s_wait_xcnt 0x0
	ds_load_b128 v[2:5], v1 offset:432
	s_wait_dscnt 0x0
	scratch_store_b128 off, v[2:5], off offset:440 ; 16-byte Folded Spill
	s_wait_xcnt 0x0
	ds_load_b128 v[2:5], v1 offset:448
	s_wait_dscnt 0x0
	scratch_store_b128 off, v[2:5], off offset:456 ; 16-byte Folded Spill
	s_wait_xcnt 0x0
	ds_load_b128 v[2:5], v1 offset:464
	s_wait_dscnt 0x0
	scratch_store_b128 off, v[2:5], off offset:472 ; 16-byte Folded Spill
	s_wait_xcnt 0x0
	ds_load_b128 v[2:5], v1 offset:480
	s_wait_dscnt 0x0
	scratch_store_b128 off, v[2:5], off offset:488 ; 16-byte Folded Spill
	s_wait_xcnt 0x0
	ds_load_b128 v[2:5], v1 offset:496
	s_wait_dscnt 0x0
	scratch_store_b128 off, v[2:5], off offset:504 ; 16-byte Folded Spill
	s_wait_xcnt 0x0
	ds_load_b128 v[2:5], v1 offset:512
	s_wait_dscnt 0x0
	scratch_store_b128 off, v[2:5], off offset:520 ; 16-byte Folded Spill
	s_wait_xcnt 0x0
	ds_load_b128 v[2:5], v1 offset:528
	s_wait_dscnt 0x0
	scratch_store_b128 off, v[2:5], off offset:536 ; 16-byte Folded Spill
	s_wait_xcnt 0x0
	ds_load_b128 v[2:5], v1 offset:544
	s_wait_dscnt 0x0
	scratch_store_b128 off, v[2:5], off offset:552 ; 16-byte Folded Spill
	s_wait_xcnt 0x0
	ds_load_b128 v[2:5], v1 offset:560
	s_wait_dscnt 0x0
	scratch_store_b128 off, v[2:5], off offset:568 ; 16-byte Folded Spill
	s_wait_xcnt 0x0
	ds_load_b128 v[2:5], v1 offset:576
	s_wait_dscnt 0x0
	scratch_store_b128 off, v[2:5], off offset:584 ; 16-byte Folded Spill
	s_wait_xcnt 0x0
	ds_load_b128 v[2:5], v1 offset:592
	s_wait_dscnt 0x0
	scratch_store_b128 off, v[2:5], off offset:600 ; 16-byte Folded Spill
	ds_load_b128 v[30:33], v1 offset:608
	ds_load_b128 v[34:37], v1 offset:624
	;; [unrolled: 1-line block ×24, first 2 shown]
	s_wait_xcnt 0x0
	ds_load_b128 v[2:5], v1 offset:992
	ds_load_b128 v[6:9], v1 offset:1008
	s_clause 0x2
	scratch_load_b32 v14, off, off offset:908
	scratch_store_b32 off, v25, off offset:624
	scratch_store_b32 off, v12, off offset:616
	s_wait_loadcnt 0x0
	v_lshlrev_b32_e32 v0, 5, v14
	s_wait_xcnt 0x0
	v_lshl_or_b32 v12, v14, 7, v13
	s_delay_alu instid0(VALU_DEP_1)
	v_dual_mov_b32 v29, v13 :: v_dual_add_nc_u32 v126, 0x420, v12
	s_branch .LBB44_11
.LBB44_10:                              ;   in Loop: Header=BB44_11 Depth=1
	s_wait_xcnt 0x0
	s_or_b32 exec_lo, exec_lo, s5
	v_add_nc_u32_e32 v14, 4, v14
	v_add_nc_u64_e32 v[10:11], 16, v[10:11]
	v_add_nc_u32_e32 v0, 0x80, v0
	v_add_nc_u32_e32 v126, 0x200, v126
	s_delay_alu instid0(VALU_DEP_4) | instskip(SKIP_1) | instid1(SALU_CYCLE_1)
	v_cmp_le_i32_e64 s4, s35, v14
	s_or_b32 s37, s4, s37
	s_and_not1_b32 exec_lo, exec_lo, s37
	s_cbranch_execz .LBB44_15
.LBB44_11:                              ; =>This Inner Loop Header: Depth=1
	v_mul_u64_e32 v[12:13], s[16:17], v[0:1]
	s_delay_alu instid0(VALU_DEP_1) | instskip(NEXT) | instid1(VALU_DEP_1)
	v_mul_lo_u32 v12, v13, s12
	v_dual_add_nc_u32 v15, 1, v13 :: v_dual_sub_nc_u32 v12, v0, v12
	s_delay_alu instid0(VALU_DEP_1) | instskip(SKIP_1) | instid1(VALU_DEP_1)
	v_subrev_nc_u32_e32 v16, s12, v12
	v_cmp_le_u32_e64 s4, s12, v12
	v_dual_cndmask_b32 v13, v13, v15, s4 :: v_dual_cndmask_b32 v12, v12, v16, s4
	s_delay_alu instid0(VALU_DEP_1) | instskip(NEXT) | instid1(VALU_DEP_2)
	v_add_nc_u32_e32 v15, 1, v13
	v_cmp_le_u32_e64 s4, s12, v12
	s_delay_alu instid0(VALU_DEP_1) | instskip(NEXT) | instid1(VALU_DEP_1)
	v_cndmask_b32_e64 v12, v13, v15, s4
	v_dual_mov_b32 v13, v1 :: v_dual_bitop2_b32 v12, s34, v12 bitop3:0x14
	s_delay_alu instid0(VALU_DEP_1) | instskip(NEXT) | instid1(VALU_DEP_1)
	v_subrev_nc_u32_e32 v15, s34, v12
	v_add_nc_u32_e32 v18, s33, v15
	v_cmp_ge_i32_e64 s5, s24, v15
	s_delay_alu instid0(VALU_DEP_2) | instskip(NEXT) | instid1(VALU_DEP_1)
	v_sub_nc_u32_e32 v12, 0, v18
	v_max_i32_e32 v12, v18, v12
	s_delay_alu instid0(VALU_DEP_1) | instskip(SKIP_1) | instid1(VALU_DEP_2)
	v_mul_u64_e32 v[16:17], s[26:27], v[12:13]
	v_ashrrev_i32_e32 v16, 31, v18
	v_mul_lo_u32 v13, v17, s23
	s_delay_alu instid0(VALU_DEP_1) | instskip(NEXT) | instid1(VALU_DEP_1)
	v_sub_nc_u32_e32 v12, v12, v13
	v_subrev_nc_u32_e32 v13, s23, v12
	v_cmp_le_u32_e64 s4, s23, v12
	s_delay_alu instid0(VALU_DEP_1) | instskip(NEXT) | instid1(VALU_DEP_1)
	v_cndmask_b32_e64 v12, v12, v13, s4
	v_subrev_nc_u32_e32 v13, s23, v12
	v_cmp_le_u32_e64 s4, s23, v12
	s_delay_alu instid0(VALU_DEP_1) | instskip(NEXT) | instid1(VALU_DEP_1)
	v_cndmask_b32_e64 v12, v12, v13, s4
	v_xor_b32_e32 v12, v12, v16
	s_delay_alu instid0(VALU_DEP_1) | instskip(NEXT) | instid1(VALU_DEP_1)
	v_sub_nc_u32_e32 v12, v12, v16
	v_cmp_ne_u32_e64 s4, 0, v12
	s_and_b32 s4, s4, s5
	s_delay_alu instid0(SALU_CYCLE_1) | instskip(NEXT) | instid1(SALU_CYCLE_1)
	s_and_saveexec_b32 s5, s4
	s_xor_b32 s4, exec_lo, s5
; %bb.12:                               ;   in Loop: Header=BB44_11 Depth=1
	v_mov_b32_e32 v12, 0xff7fffff
	ds_store_b32 v126, v12
; %bb.13:                               ;   in Loop: Header=BB44_11 Depth=1
	s_and_not1_saveexec_b32 s5, s4
	s_cbranch_execz .LBB44_10
; %bb.14:                               ;   in Loop: Header=BB44_11 Depth=1
	global_load_b32 v12, v[10:11], off
	scratch_load_b64 v[16:17], off, off     ; 8-byte Folded Reload
	s_wait_loadcnt 0x1
	v_ashrrev_i32_e32 v13, 31, v12
	s_delay_alu instid0(VALU_DEP_1) | instskip(SKIP_1) | instid1(VALU_DEP_1)
	v_mul_u64_e32 v[12:13], s[14:15], v[12:13]
	s_wait_loadcnt 0x0
	v_lshl_add_u64 v[12:13], v[12:13], 2, v[16:17]
	global_load_b128 v[16:19], v[12:13], off offset:512
	scratch_load_b128 v[20:23], off, off offset:24 ; 16-byte Folded Reload
	s_wait_loadcnt 0x0
	v_pk_mul_f32 v[20:21], v[20:21], v[16:17]
	v_pk_mul_f32 v[22:23], v[22:23], v[18:19]
	global_load_b128 v[16:19], v[12:13], off
	scratch_load_b128 v[24:27], off, off offset:8 ; 16-byte Folded Reload
	s_wait_loadcnt 0x0
	v_pk_fma_f32 v[20:21], v[24:25], v[16:17], v[20:21]
	v_pk_fma_f32 v[22:23], v[26:27], v[18:19], v[22:23]
	global_load_b128 v[16:19], v[12:13], off offset:1024
	scratch_load_b128 v[24:27], off, off offset:40 ; 16-byte Folded Reload
	s_wait_loadcnt 0x0
	v_pk_fma_f32 v[20:21], v[24:25], v[16:17], v[20:21]
	v_pk_fma_f32 v[22:23], v[26:27], v[18:19], v[22:23]
	global_load_b128 v[16:19], v[12:13], off offset:1536
	scratch_load_b128 v[24:27], off, off offset:56 ; 16-byte Folded Reload
	s_wait_loadcnt 0x0
	v_pk_fma_f32 v[20:21], v[24:25], v[16:17], v[20:21]
	v_pk_fma_f32 v[22:23], v[26:27], v[18:19], v[22:23]
	global_load_b128 v[16:19], v[12:13], off offset:2048
	scratch_load_b128 v[24:27], off, off offset:72 ; 16-byte Folded Reload
	s_wait_loadcnt 0x0
	v_pk_fma_f32 v[20:21], v[24:25], v[16:17], v[20:21]
	v_pk_fma_f32 v[22:23], v[26:27], v[18:19], v[22:23]
	global_load_b128 v[16:19], v[12:13], off offset:2560
	scratch_load_b128 v[24:27], off, off offset:88 ; 16-byte Folded Reload
	s_wait_loadcnt 0x0
	v_pk_fma_f32 v[20:21], v[24:25], v[16:17], v[20:21]
	v_pk_fma_f32 v[22:23], v[26:27], v[18:19], v[22:23]
	global_load_b128 v[16:19], v[12:13], off offset:3072
	scratch_load_b128 v[24:27], off, off offset:104 ; 16-byte Folded Reload
	s_wait_loadcnt 0x0
	v_pk_fma_f32 v[20:21], v[24:25], v[16:17], v[20:21]
	v_pk_fma_f32 v[22:23], v[26:27], v[18:19], v[22:23]
	global_load_b128 v[16:19], v[12:13], off offset:3584
	scratch_load_b128 v[24:27], off, off offset:120 ; 16-byte Folded Reload
	s_wait_loadcnt 0x0
	v_pk_fma_f32 v[20:21], v[24:25], v[16:17], v[20:21]
	v_pk_fma_f32 v[22:23], v[26:27], v[18:19], v[22:23]
	global_load_b128 v[16:19], v[12:13], off offset:4096
	scratch_load_b128 v[24:27], off, off offset:136 ; 16-byte Folded Reload
	s_wait_loadcnt 0x0
	v_pk_fma_f32 v[20:21], v[24:25], v[16:17], v[20:21]
	v_pk_fma_f32 v[22:23], v[26:27], v[18:19], v[22:23]
	global_load_b128 v[16:19], v[12:13], off offset:4608
	scratch_load_b128 v[24:27], off, off offset:152 ; 16-byte Folded Reload
	s_wait_loadcnt 0x0
	v_pk_fma_f32 v[20:21], v[24:25], v[16:17], v[20:21]
	v_pk_fma_f32 v[22:23], v[26:27], v[18:19], v[22:23]
	global_load_b128 v[16:19], v[12:13], off offset:5120
	scratch_load_b128 v[24:27], off, off offset:168 ; 16-byte Folded Reload
	s_wait_loadcnt 0x0
	v_pk_fma_f32 v[20:21], v[24:25], v[16:17], v[20:21]
	v_pk_fma_f32 v[22:23], v[26:27], v[18:19], v[22:23]
	global_load_b128 v[16:19], v[12:13], off offset:5632
	scratch_load_b128 v[24:27], off, off offset:184 ; 16-byte Folded Reload
	s_wait_loadcnt 0x0
	v_pk_fma_f32 v[20:21], v[24:25], v[16:17], v[20:21]
	v_pk_fma_f32 v[22:23], v[26:27], v[18:19], v[22:23]
	global_load_b128 v[16:19], v[12:13], off offset:6144
	scratch_load_b128 v[24:27], off, off offset:200 ; 16-byte Folded Reload
	s_wait_loadcnt 0x0
	v_pk_fma_f32 v[20:21], v[24:25], v[16:17], v[20:21]
	v_pk_fma_f32 v[22:23], v[26:27], v[18:19], v[22:23]
	global_load_b128 v[16:19], v[12:13], off offset:6656
	scratch_load_b128 v[24:27], off, off offset:216 ; 16-byte Folded Reload
	s_wait_loadcnt 0x0
	v_pk_fma_f32 v[20:21], v[24:25], v[16:17], v[20:21]
	v_pk_fma_f32 v[22:23], v[26:27], v[18:19], v[22:23]
	global_load_b128 v[16:19], v[12:13], off offset:7168
	scratch_load_b128 v[24:27], off, off offset:232 ; 16-byte Folded Reload
	s_wait_loadcnt 0x0
	v_pk_fma_f32 v[20:21], v[24:25], v[16:17], v[20:21]
	v_pk_fma_f32 v[22:23], v[26:27], v[18:19], v[22:23]
	global_load_b128 v[16:19], v[12:13], off offset:7680
	scratch_load_b128 v[24:27], off, off offset:248 ; 16-byte Folded Reload
	s_wait_loadcnt 0x0
	v_pk_fma_f32 v[20:21], v[24:25], v[16:17], v[20:21]
	v_pk_fma_f32 v[22:23], v[26:27], v[18:19], v[22:23]
	global_load_b128 v[16:19], v[12:13], off offset:8192
	scratch_load_b128 v[24:27], off, off offset:264 ; 16-byte Folded Reload
	s_wait_loadcnt 0x0
	v_pk_fma_f32 v[20:21], v[24:25], v[16:17], v[20:21]
	v_pk_fma_f32 v[22:23], v[26:27], v[18:19], v[22:23]
	global_load_b128 v[16:19], v[12:13], off offset:8704
	scratch_load_b128 v[24:27], off, off offset:280 ; 16-byte Folded Reload
	s_wait_loadcnt 0x0
	v_pk_fma_f32 v[20:21], v[24:25], v[16:17], v[20:21]
	v_pk_fma_f32 v[22:23], v[26:27], v[18:19], v[22:23]
	global_load_b128 v[16:19], v[12:13], off offset:9216
	scratch_load_b128 v[24:27], off, off offset:296 ; 16-byte Folded Reload
	s_wait_loadcnt 0x0
	v_pk_fma_f32 v[20:21], v[24:25], v[16:17], v[20:21]
	v_pk_fma_f32 v[22:23], v[26:27], v[18:19], v[22:23]
	global_load_b128 v[16:19], v[12:13], off offset:9728
	scratch_load_b128 v[24:27], off, off offset:312 ; 16-byte Folded Reload
	s_wait_loadcnt 0x0
	v_pk_fma_f32 v[20:21], v[24:25], v[16:17], v[20:21]
	v_pk_fma_f32 v[22:23], v[26:27], v[18:19], v[22:23]
	global_load_b128 v[16:19], v[12:13], off offset:10240
	scratch_load_b128 v[24:27], off, off offset:328 ; 16-byte Folded Reload
	s_wait_loadcnt 0x0
	v_pk_fma_f32 v[20:21], v[24:25], v[16:17], v[20:21]
	v_pk_fma_f32 v[22:23], v[26:27], v[18:19], v[22:23]
	global_load_b128 v[16:19], v[12:13], off offset:10752
	scratch_load_b128 v[24:27], off, off offset:344 ; 16-byte Folded Reload
	s_wait_loadcnt 0x0
	v_pk_fma_f32 v[20:21], v[24:25], v[16:17], v[20:21]
	v_pk_fma_f32 v[22:23], v[26:27], v[18:19], v[22:23]
	global_load_b128 v[16:19], v[12:13], off offset:11264
	scratch_load_b128 v[24:27], off, off offset:360 ; 16-byte Folded Reload
	s_wait_loadcnt 0x0
	v_pk_fma_f32 v[20:21], v[24:25], v[16:17], v[20:21]
	v_pk_fma_f32 v[22:23], v[26:27], v[18:19], v[22:23]
	global_load_b128 v[16:19], v[12:13], off offset:11776
	scratch_load_b128 v[24:27], off, off offset:376 ; 16-byte Folded Reload
	s_wait_loadcnt 0x0
	v_pk_fma_f32 v[20:21], v[24:25], v[16:17], v[20:21]
	v_pk_fma_f32 v[22:23], v[26:27], v[18:19], v[22:23]
	global_load_b128 v[16:19], v[12:13], off offset:12288
	scratch_load_b128 v[24:27], off, off offset:392 ; 16-byte Folded Reload
	s_wait_loadcnt 0x0
	v_pk_fma_f32 v[20:21], v[24:25], v[16:17], v[20:21]
	v_pk_fma_f32 v[22:23], v[26:27], v[18:19], v[22:23]
	global_load_b128 v[16:19], v[12:13], off offset:12800
	scratch_load_b128 v[24:27], off, off offset:408 ; 16-byte Folded Reload
	s_wait_loadcnt 0x0
	v_pk_fma_f32 v[20:21], v[24:25], v[16:17], v[20:21]
	v_pk_fma_f32 v[22:23], v[26:27], v[18:19], v[22:23]
	global_load_b128 v[16:19], v[12:13], off offset:13312
	scratch_load_b128 v[24:27], off, off offset:424 ; 16-byte Folded Reload
	s_wait_loadcnt 0x0
	v_pk_fma_f32 v[20:21], v[24:25], v[16:17], v[20:21]
	v_pk_fma_f32 v[22:23], v[26:27], v[18:19], v[22:23]
	global_load_b128 v[16:19], v[12:13], off offset:13824
	scratch_load_b128 v[24:27], off, off offset:440 ; 16-byte Folded Reload
	s_wait_loadcnt 0x0
	v_pk_fma_f32 v[20:21], v[24:25], v[16:17], v[20:21]
	v_pk_fma_f32 v[22:23], v[26:27], v[18:19], v[22:23]
	global_load_b128 v[16:19], v[12:13], off offset:14336
	scratch_load_b128 v[24:27], off, off offset:456 ; 16-byte Folded Reload
	s_wait_loadcnt 0x0
	v_pk_fma_f32 v[20:21], v[24:25], v[16:17], v[20:21]
	v_pk_fma_f32 v[22:23], v[26:27], v[18:19], v[22:23]
	global_load_b128 v[16:19], v[12:13], off offset:14848
	scratch_load_b128 v[24:27], off, off offset:472 ; 16-byte Folded Reload
	s_wait_loadcnt 0x0
	v_pk_fma_f32 v[20:21], v[24:25], v[16:17], v[20:21]
	v_pk_fma_f32 v[22:23], v[26:27], v[18:19], v[22:23]
	global_load_b128 v[16:19], v[12:13], off offset:15360
	scratch_load_b128 v[24:27], off, off offset:488 ; 16-byte Folded Reload
	s_wait_loadcnt 0x0
	v_pk_fma_f32 v[20:21], v[24:25], v[16:17], v[20:21]
	v_pk_fma_f32 v[22:23], v[26:27], v[18:19], v[22:23]
	global_load_b128 v[16:19], v[12:13], off offset:15872
	scratch_load_b128 v[24:27], off, off offset:504 ; 16-byte Folded Reload
	s_wait_loadcnt 0x0
	v_pk_fma_f32 v[20:21], v[24:25], v[16:17], v[20:21]
	v_pk_fma_f32 v[22:23], v[26:27], v[18:19], v[22:23]
	global_load_b128 v[16:19], v[12:13], off offset:16384
	scratch_load_b128 v[24:27], off, off offset:520 ; 16-byte Folded Reload
	s_wait_loadcnt 0x0
	v_pk_fma_f32 v[20:21], v[24:25], v[16:17], v[20:21]
	v_pk_fma_f32 v[22:23], v[26:27], v[18:19], v[22:23]
	global_load_b128 v[16:19], v[12:13], off offset:16896
	scratch_load_b128 v[24:27], off, off offset:536 ; 16-byte Folded Reload
	s_wait_loadcnt 0x0
	v_pk_fma_f32 v[20:21], v[24:25], v[16:17], v[20:21]
	v_pk_fma_f32 v[22:23], v[26:27], v[18:19], v[22:23]
	global_load_b128 v[16:19], v[12:13], off offset:17408
	scratch_load_b128 v[24:27], off, off offset:552 ; 16-byte Folded Reload
	s_wait_loadcnt 0x0
	v_pk_fma_f32 v[20:21], v[24:25], v[16:17], v[20:21]
	v_pk_fma_f32 v[22:23], v[26:27], v[18:19], v[22:23]
	global_load_b128 v[16:19], v[12:13], off offset:17920
	scratch_load_b128 v[24:27], off, off offset:568 ; 16-byte Folded Reload
	s_wait_loadcnt 0x0
	v_pk_fma_f32 v[20:21], v[24:25], v[16:17], v[20:21]
	v_pk_fma_f32 v[22:23], v[26:27], v[18:19], v[22:23]
	global_load_b128 v[16:19], v[12:13], off offset:18432
	scratch_load_b128 v[24:27], off, off offset:584 ; 16-byte Folded Reload
	s_wait_loadcnt 0x0
	v_pk_fma_f32 v[20:21], v[24:25], v[16:17], v[20:21]
	v_pk_fma_f32 v[22:23], v[26:27], v[18:19], v[22:23]
	global_load_b128 v[16:19], v[12:13], off offset:18944
	scratch_load_b128 v[24:27], off, off offset:600 ; 16-byte Folded Reload
	s_wait_loadcnt 0x0
	v_pk_fma_f32 v[20:21], v[24:25], v[16:17], v[20:21]
	v_pk_fma_f32 v[22:23], v[26:27], v[18:19], v[22:23]
	global_load_b128 v[16:19], v[12:13], off offset:19456
	s_wait_loadcnt_dscnt 0x19
	v_pk_fma_f32 v[20:21], v[30:31], v[16:17], v[20:21]
	v_pk_fma_f32 v[22:23], v[32:33], v[18:19], v[22:23]
	global_load_b128 v[16:19], v[12:13], off offset:19968
	s_wait_loadcnt_dscnt 0x18
	v_pk_fma_f32 v[20:21], v[34:35], v[16:17], v[20:21]
	v_pk_fma_f32 v[22:23], v[36:37], v[18:19], v[22:23]
	global_load_b128 v[16:19], v[12:13], off offset:20480
	;; [unrolled: 4-line block ×25, first 2 shown]
	s_wait_loadcnt_dscnt 0x0
	v_pk_fma_f32 v[12:13], v[16:17], v[6:7], v[20:21]
	v_pk_fma_f32 v[16:17], v[18:19], v[8:9], v[22:23]
	s_delay_alu instid0(VALU_DEP_2) | instskip(SKIP_4) | instid1(VALU_DEP_2)
	v_add_f32_e32 v12, v12, v13
	scratch_load_b32 v13, off, off offset:896 ; 4-byte Folded Reload
	s_wait_loadcnt 0x0
	v_add_nc_u32_e32 v13, v13, v0
	v_add_f32_e32 v12, v16, v12
	v_cmp_gt_i32_e64 s4, s31, v13
	scratch_load_b32 v13, off, off offset:616 ; 4-byte Folded Reload
	s_wait_loadcnt 0x0
	v_add_nc_u32_e32 v13, v13, v0
	s_delay_alu instid0(VALU_DEP_1) | instskip(NEXT) | instid1(VALU_DEP_1)
	v_cvt_f32_i32_e32 v13, v13
	v_dual_add_f32 v12, v17, v12 :: v_dual_mul_f32 v13, s36, v13
	s_delay_alu instid0(VALU_DEP_1) | instskip(NEXT) | instid1(VALU_DEP_1)
	v_cndmask_b32_e32 v13, 0, v13, vcc_lo
	v_dual_fmac_f32 v13, s25, v12 :: v_dual_max_num_f32 v12, v127, v127
	s_delay_alu instid0(VALU_DEP_1) | instskip(NEXT) | instid1(VALU_DEP_1)
	v_max_num_f32_e32 v12, v12, v13
	v_dual_cndmask_b32 v127, v127, v12, s4 :: v_dual_cndmask_b32 v12, 0, v13, s4
	ds_store_b32 v126, v12
	s_branch .LBB44_10
.LBB44_15:
	s_or_b32 exec_lo, exec_lo, s37
	scratch_load_b32 v25, off, off offset:624 ; 4-byte Folded Reload
	v_mov_b32_e32 v13, v29
.LBB44_16:
	s_wait_xcnt 0x0
	s_or_b32 exec_lo, exec_lo, s11
	s_wait_dscnt 0x1
	v_mbcnt_lo_u32_b32 v2, -1, 0
	s_clause 0x1
	s_load_b64 s[14:15], s[0:1], 0x0
	s_load_b64 s[24:25], s[0:1], 0x18
	s_delay_alu instid0(VALU_DEP_1) | instskip(SKIP_1) | instid1(VALU_DEP_2)
	v_dual_max_num_f32 v4, v127, v127 :: v_dual_bitop2_b32 v0, 16, v2 bitop3:0x14
	v_xor_b32_e32 v3, 8, v2
	v_cmp_gt_i32_e32 vcc_lo, 32, v0
	v_cndmask_b32_e32 v0, v2, v0, vcc_lo
	s_delay_alu instid0(VALU_DEP_3) | instskip(NEXT) | instid1(VALU_DEP_2)
	v_cmp_gt_i32_e32 vcc_lo, 32, v3
	v_dual_cndmask_b32 v3, v2, v3 :: v_dual_lshlrev_b32 v0, 2, v0
	ds_bpermute_b32 v1, v0, v127
	s_wait_dscnt 0x0
	v_dual_max_num_f32 v5, v1, v1 :: v_dual_lshlrev_b32 v1, 2, v3
	s_delay_alu instid0(VALU_DEP_1) | instskip(SKIP_4) | instid1(VALU_DEP_1)
	v_dual_max_num_f32 v3, v4, v5 :: v_dual_bitop2_b32 v5, 4, v2 bitop3:0x14
	ds_bpermute_b32 v4, v1, v3
	v_cmp_gt_i32_e32 vcc_lo, 32, v5
	s_wait_dscnt 0x0
	v_dual_cndmask_b32 v5, v2, v5 :: v_dual_max_num_f32 v4, v4, v4
	v_dual_lshlrev_b32 v5, 2, v5 :: v_dual_max_num_f32 v3, v3, v4
	scratch_store_b32 off, v5, off offset:912 ; 4-byte Folded Spill
	ds_bpermute_b32 v4, v5, v3
	s_wait_dscnt 0x0
	s_wait_xcnt 0x0
	v_dual_max_num_f32 v4, v4, v4 :: v_dual_bitop2_b32 v5, 2, v2 bitop3:0x14
	s_delay_alu instid0(VALU_DEP_1) | instskip(NEXT) | instid1(VALU_DEP_2)
	v_cmp_gt_i32_e32 vcc_lo, 32, v5
	v_dual_max_num_f32 v3, v3, v4 :: v_dual_cndmask_b32 v5, v2, v5, vcc_lo
	s_delay_alu instid0(VALU_DEP_1) | instskip(SKIP_3) | instid1(VALU_DEP_1)
	v_dual_lshlrev_b32 v6, 2, v5 :: v_dual_bitop2_b32 v5, 1, v2 bitop3:0x14
	ds_bpermute_b32 v4, v6, v3
	v_cmp_gt_i32_e32 vcc_lo, 32, v5
	v_cndmask_b32_e32 v2, v2, v5, vcc_lo
	v_lshlrev_b32_e32 v23, 2, v2
	scratch_load_b32 v2, off, off offset:896 ; 4-byte Folded Reload
	s_wait_dscnt 0x0
	v_max_num_f32_e32 v4, v4, v4
	s_delay_alu instid0(VALU_DEP_1)
	v_max_num_f32_e32 v3, v3, v4
	ds_bpermute_b32 v4, v23, v3
	s_wait_loadcnt 0x0
	v_cmp_eq_u32_e32 vcc_lo, 0, v2
	scratch_load_b32 v2, off, off offset:908 ; 4-byte Folded Reload
	s_wait_loadcnt 0x0
	v_lshlrev_b32_e32 v2, 2, v2
	s_wait_xcnt 0x0
	s_and_saveexec_b32 s0, vcc_lo
	s_cbranch_execz .LBB44_18
; %bb.17:
	s_wait_dscnt 0x0
	v_dual_max_num_f32 v4, v4, v4 :: v_dual_max_num_f32 v3, v3, v3
	s_delay_alu instid0(VALU_DEP_1)
	v_max_num_f32_e32 v3, v3, v4
	ds_store_b32 v2, v3 offset:1024
.LBB44_18:
	s_or_b32 exec_lo, exec_lo, s0
	scratch_load_b32 v3, off, off offset:896 ; 4-byte Folded Reload
	s_wait_storecnt 0x0
	s_wait_loadcnt_dscnt 0x0
	s_barrier_signal -1
	s_barrier_wait -1
	v_cmp_gt_u32_e64 s0, 4, v3
	v_mov_b32_e32 v3, 0xff7fffff
	s_mov_b32 s1, exec_lo
	v_mov_b32_e32 v22, v28
	s_and_b32 s4, s1, s0
	s_delay_alu instid0(SALU_CYCLE_1)
	s_mov_b32 exec_lo, s4
; %bb.19:
	ds_load_b32 v3, v13 offset:1024
; %bb.20:
	s_or_b32 exec_lo, exec_lo, s1
	scratch_load_b32 v5, off, off offset:900 ; 4-byte Folded Reload
	s_wait_dscnt 0x0
	ds_bpermute_b32 v4, v6, v3
	v_max_num_f32_e32 v3, v3, v3
	s_lshl_b32 s1, s35, 5
	s_delay_alu instid0(SALU_CYCLE_1) | instskip(SKIP_2) | instid1(VALU_DEP_1)
	s_min_i32 s5, s1, s31
	s_wait_dscnt 0x0
	v_max_num_f32_e32 v4, v4, v4
	v_max_num_f32_e32 v3, v3, v4
	ds_bpermute_b32 v4, v23, v3
	s_wait_dscnt 0x0
	v_max_num_f32_e32 v4, v4, v4
	s_delay_alu instid0(VALU_DEP_1) | instskip(SKIP_4) | instid1(SALU_CYCLE_1)
	v_dual_max_num_f32 v4, v3, v4 :: v_dual_mov_b32 v3, 0
	ds_bpermute_b32 v4, v3, v4
	s_wait_loadcnt 0x0
	v_cmp_gt_i32_e64 s1, s5, v5
	s_mov_b32 s11, exec_lo
	s_and_b32 s4, s11, s1
	scratch_store_b32 off, v6, off offset:916 ; 4-byte Folded Spill
	s_wait_xcnt 0x0
	s_mov_b32 exec_lo, s4
	s_cbranch_execz .LBB44_24
; %bb.21:
	scratch_load_b32 v6, off, off offset:900 ; 4-byte Folded Reload
	v_mov_b32_e32 v3, 0
	s_mov_b32 s23, 0
	s_wait_loadcnt 0x0
	v_lshl_add_u32 v5, v6, 2, 0x420
.LBB44_22:                              ; =>This Inner Loop Header: Depth=1
	ds_load_b32 v7, v5
	v_add_nc_u32_e32 v6, 0x80, v6
	s_delay_alu instid0(VALU_DEP_1) | instskip(SKIP_3) | instid1(VALU_DEP_1)
	v_cmp_le_i32_e64 s4, s5, v6
	s_or_b32 s23, s4, s23
	s_wait_dscnt 0x0
	v_sub_f32_e32 v7, v7, v4
	v_mul_f32_e32 v7, 0x3fb8aa3b, v7
	s_delay_alu instid0(VALU_DEP_1)
	v_exp_f32_e32 v7, v7
	ds_store_b32 v5, v7
	v_nop
	v_add_f32_e32 v3, v3, v7
	v_add_nc_u32_e32 v5, 0x200, v5
	s_wait_xcnt 0x0
	s_and_not1_b32 exec_lo, exec_lo, s23
	s_cbranch_execnz .LBB44_22
; %bb.23:
	s_or_b32 exec_lo, exec_lo, s23
	scratch_load_b32 v6, off, off offset:916 ; 4-byte Folded Reload
.LBB44_24:
	s_wait_xcnt 0x0
	s_or_b32 exec_lo, exec_lo, s11
	ds_bpermute_b32 v0, v0, v3
	s_wait_dscnt 0x0
	v_add_f32_e32 v0, v3, v0
	ds_bpermute_b32 v1, v1, v0
	s_wait_dscnt 0x0
	v_add_f32_e32 v0, v0, v1
	scratch_load_b32 v1, off, off offset:912 ; 4-byte Folded Reload
	s_wait_loadcnt 0x0
	ds_bpermute_b32 v1, v1, v0
	s_wait_dscnt 0x0
	v_add_f32_e32 v0, v0, v1
	ds_bpermute_b32 v1, v6, v0
	s_wait_dscnt 0x0
	v_add_f32_e32 v0, v0, v1
	ds_bpermute_b32 v1, v23, v0
	s_wait_dscnt 0x0
	v_add_f32_e32 v0, v0, v1
	s_wait_xcnt 0x0
	s_and_saveexec_b32 s4, vcc_lo
; %bb.25:
	ds_store_b32 v2, v0 offset:1040
; %bb.26:
	s_or_b32 exec_lo, exec_lo, s4
	s_wait_storecnt_dscnt 0x0
	s_barrier_signal -1
	s_barrier_wait -1
	s_and_saveexec_b32 s4, s0
; %bb.27:
	ds_load_b32 v0, v13 offset:1040
; %bb.28:
	s_or_b32 exec_lo, exec_lo, s4
	s_wait_dscnt 0x0
	ds_bpermute_b32 v1, v6, v0
	s_wait_dscnt 0x0
	v_dual_mov_b32 v3, 0 :: v_dual_add_f32 v0, v0, v1
	ds_bpermute_b32 v1, v23, v0
	s_wait_dscnt 0x0
	v_dual_add_f32 v0, v0, v1 :: v_dual_mov_b32 v1, 0
	scratch_store_b64 off, v[0:1], off offset:616 ; 8-byte Folded Spill
	s_wait_xcnt 0x0
	ds_bpermute_b32 v0, v3, v0
	s_and_saveexec_b32 s0, s1
	s_cbranch_execz .LBB44_41
; %bb.29:
	s_wait_dscnt 0x0
	v_add_f32_e32 v0, 0x358637bd, v0
	s_mov_b32 s4, -1
	s_mov_b32 s1, exec_lo
	s_delay_alu instid0(VALU_DEP_1) | instskip(NEXT) | instid1(VALU_DEP_1)
	v_div_scale_f32 v1, null, v0, v0, 1.0
	v_rcp_f32_e32 v3, v1
	v_nop
	s_delay_alu instid0(TRANS32_DEP_1) | instskip(NEXT) | instid1(VALU_DEP_1)
	v_fma_f32 v2, -v1, v3, 1.0
	v_fmac_f32_e32 v3, v2, v3
	v_div_scale_f32 v4, vcc_lo, 1.0, v0, 1.0
	s_delay_alu instid0(VALU_DEP_1) | instskip(NEXT) | instid1(VALU_DEP_1)
	v_mul_f32_e32 v5, v4, v3
	v_fma_f32 v2, -v1, v5, v4
	s_delay_alu instid0(VALU_DEP_1) | instskip(NEXT) | instid1(VALU_DEP_1)
	v_fmac_f32_e32 v5, v2, v3
	v_fma_f32 v1, -v1, v5, v4
	scratch_load_b32 v4, off, off offset:900 ; 4-byte Folded Reload
	v_div_fmas_f32 v1, v1, v3, v5
	s_delay_alu instid0(VALU_DEP_1) | instskip(SKIP_4) | instid1(VALU_DEP_2)
	v_div_fixup_f32 v0, v1, v0, 1.0
	s_wait_loadcnt 0x0
	v_xad_u32 v2, v4, -1, s5
	v_mov_b32_e32 v1, v4
	s_wait_xcnt 0x0
	v_cmpx_lt_u32_e32 0x7f, v2
	s_cbranch_execz .LBB44_38
; %bb.30:
	v_dual_mov_b32 v1, v0 :: v_dual_lshrrev_b32 v2, 7, v2
	s_delay_alu instid0(VALU_DEP_1) | instskip(NEXT) | instid1(VALU_DEP_1)
	v_dual_mov_b32 v6, 0 :: v_dual_add_nc_u32 v3, -1, v2
	v_lshrrev_b32_e32 v4, 1, v3
	v_cmp_lt_u32_e32 vcc_lo, 13, v3
	s_delay_alu instid0(VALU_DEP_2)
	v_add_nc_u32_e32 v3, 1, v4
	s_and_saveexec_b32 s4, vcc_lo
	s_cbranch_execz .LBB44_34
; %bb.31:
	scratch_load_b32 v5, off, off offset:900 ; 4-byte Folded Reload
	v_and_b32_e32 v4, -8, v3
	s_mov_b32 s11, 0
	s_mov_b32 s23, 0
	s_wait_loadcnt 0x0
	v_lshl_add_u32 v5, v5, 2, 0x420
.LBB44_32:                              ; =>This Inner Loop Header: Depth=1
	ds_load_2addr_stride64_b32 v[6:7], v5 offset1:2
	ds_load_2addr_stride64_b32 v[8:9], v5 offset0:4 offset1:6
	ds_load_2addr_stride64_b32 v[10:11], v5 offset0:8 offset1:10
	;; [unrolled: 1-line block ×7, first 2 shown]
	s_add_co_i32 s23, s23, 16
	v_add_nc_u32_e32 v4, -8, v4
	s_wait_dscnt 0x7
	v_pk_mul_f32 v[6:7], v[0:1], v[6:7]
	s_wait_dscnt 0x6
	v_pk_mul_f32 v[8:9], v[0:1], v[8:9]
	;; [unrolled: 2-line block ×8, first 2 shown]
	ds_store_2addr_stride64_b32 v5, v6, v7 offset1:2
	ds_store_2addr_stride64_b32 v5, v8, v9 offset0:4 offset1:6
	ds_store_2addr_stride64_b32 v5, v10, v11 offset0:8 offset1:10
	;; [unrolled: 1-line block ×7, first 2 shown]
	v_mov_b32_e32 v6, s23
	v_cmp_eq_u32_e32 vcc_lo, 0, v4
	v_add_nc_u32_e32 v5, 0x2000, v5
	s_or_b32 s11, vcc_lo, s11
	s_wait_xcnt 0x0
	s_and_not1_b32 exec_lo, exec_lo, s11
	s_cbranch_execnz .LBB44_32
; %bb.33:
	s_or_b32 exec_lo, exec_lo, s11
.LBB44_34:
	s_delay_alu instid0(SALU_CYCLE_1) | instskip(NEXT) | instid1(VALU_DEP_1)
	s_or_b32 exec_lo, exec_lo, s4
	v_and_b32_e32 v3, 7, v3
	s_mov_b32 s11, 0
	s_mov_b32 s4, exec_lo
	s_delay_alu instid0(VALU_DEP_1)
	v_cmpx_ne_u32_e32 0, v3
	s_cbranch_execz .LBB44_37
; %bb.35:
	scratch_load_b32 v5, off, off offset:900 ; 4-byte Folded Reload
	s_wait_loadcnt 0x0
	v_dual_lshlrev_b32 v4, 9, v6 :: v_dual_lshlrev_b32 v5, 2, v5
	s_delay_alu instid0(VALU_DEP_1)
	v_add3_u32 v4, v4, v5, 0x420
.LBB44_36:                              ; =>This Inner Loop Header: Depth=1
	ds_load_2addr_stride64_b32 v[6:7], v4 offset1:2
	v_add_nc_u32_e32 v3, -1, v3
	s_delay_alu instid0(VALU_DEP_1)
	v_cmp_eq_u32_e32 vcc_lo, 0, v3
	s_or_b32 s11, vcc_lo, s11
	s_wait_dscnt 0x0
	v_pk_mul_f32 v[6:7], v[0:1], v[6:7]
	ds_store_2addr_stride64_b32 v4, v6, v7 offset1:2
	v_add_nc_u32_e32 v4, 0x400, v4
	s_wait_xcnt 0x0
	s_and_not1_b32 exec_lo, exec_lo, s11
	s_cbranch_execnz .LBB44_36
.LBB44_37:
	s_or_b32 exec_lo, exec_lo, s4
	v_add_nc_u32_e32 v1, 1, v2
	s_delay_alu instid0(VALU_DEP_1) | instskip(NEXT) | instid1(VALU_DEP_1)
	v_and_b32_e32 v2, 0x3fffffe, v1
	v_cmp_ne_u32_e32 vcc_lo, v1, v2
	scratch_load_b32 v1, off, off offset:900 ; 4-byte Folded Reload
	s_or_not1_b32 s4, vcc_lo, exec_lo
	s_wait_loadcnt 0x0
	v_lshl_add_u32 v1, v2, 7, v1
.LBB44_38:
	s_wait_xcnt 0x0
	s_or_b32 exec_lo, exec_lo, s1
	s_delay_alu instid0(SALU_CYCLE_1)
	s_and_b32 exec_lo, exec_lo, s4
	s_cbranch_execz .LBB44_41
; %bb.39:
	v_lshl_add_u32 v2, v1, 2, 0x420
	s_mov_b32 s1, 0
.LBB44_40:                              ; =>This Inner Loop Header: Depth=1
	ds_load_b32 v3, v2
	v_add_nc_u32_e32 v1, 0x80, v1
	s_delay_alu instid0(VALU_DEP_1)
	v_cmp_le_i32_e32 vcc_lo, s5, v1
	s_or_b32 s1, vcc_lo, s1
	s_wait_dscnt 0x0
	v_mul_f32_e32 v3, v0, v3
	ds_store_b32 v2, v3
	v_add_nc_u32_e32 v2, 0x200, v2
	s_and_not1_b32 exec_lo, exec_lo, s1
	s_cbranch_execnz .LBB44_40
.LBB44_41:
	s_or_b32 exec_lo, exec_lo, s0
	s_wait_dscnt 0x0
	scratch_load_b32 v0, off, off offset:900 ; 4-byte Folded Reload
	v_dual_mov_b32 v15, 0 :: v_dual_mov_b32 v14, 0
	v_dual_mov_b32 v17, 0 :: v_dual_mov_b32 v16, 0
	;; [unrolled: 1-line block ×7, first 2 shown]
	s_wait_loadcnt 0x0
	v_and_b32_e32 v0, 7, v0
	s_clause 0x1
	scratch_store_b32 off, v0, off offset:920
	scratch_load_b64 v[0:1], off, off offset:616
	s_wait_loadcnt 0x0
	v_mov_b32_e32 v0, 0
	s_clause 0x1
	scratch_store_b32 off, v23, off offset:924
	scratch_store_b64 off, v[0:1], off offset:616
	s_wait_xcnt 0x0
	v_dual_mov_b32 v1, 0 :: v_dual_mov_b32 v0, 0
	scratch_store_b64 off, v[0:1], off offset:624 ; 8-byte Folded Spill
	s_wait_xcnt 0x0
	v_dual_mov_b32 v1, 0 :: v_dual_mov_b32 v0, 0
	scratch_store_b64 off, v[0:1], off offset:632 ; 8-byte Folded Spill
	s_wait_xcnt 0x0
	v_dual_mov_b32 v1, 0 :: v_dual_mov_b32 v0, 0
	scratch_store_b64 off, v[0:1], off offset:640 ; 8-byte Folded Spill
	s_wait_xcnt 0x0
	v_dual_mov_b32 v1, 0 :: v_dual_mov_b32 v0, 0
	scratch_store_b64 off, v[0:1], off offset:648 ; 8-byte Folded Spill
	s_wait_xcnt 0x0
	v_dual_mov_b32 v1, 0 :: v_dual_mov_b32 v0, 0
	scratch_store_b64 off, v[0:1], off offset:656 ; 8-byte Folded Spill
	s_wait_xcnt 0x0
	v_dual_mov_b32 v1, 0 :: v_dual_mov_b32 v0, 0
	scratch_store_b64 off, v[0:1], off offset:664 ; 8-byte Folded Spill
	s_wait_xcnt 0x0
	v_dual_mov_b32 v1, 0 :: v_dual_mov_b32 v0, 0
	scratch_store_b64 off, v[0:1], off offset:672 ; 8-byte Folded Spill
	s_wait_xcnt 0x0
	v_dual_mov_b32 v1, 0 :: v_dual_mov_b32 v0, 0
	scratch_store_b64 off, v[0:1], off offset:680 ; 8-byte Folded Spill
	s_wait_xcnt 0x0
	v_dual_mov_b32 v1, 0 :: v_dual_mov_b32 v0, 0
	scratch_store_b64 off, v[0:1], off offset:688 ; 8-byte Folded Spill
	s_wait_xcnt 0x0
	v_dual_mov_b32 v1, 0 :: v_dual_mov_b32 v0, 0
	scratch_store_b64 off, v[0:1], off offset:696 ; 8-byte Folded Spill
	s_wait_xcnt 0x0
	v_dual_mov_b32 v1, 0 :: v_dual_mov_b32 v0, 0
	scratch_store_b64 off, v[0:1], off offset:704 ; 8-byte Folded Spill
	s_wait_xcnt 0x0
	v_dual_mov_b32 v1, 0 :: v_dual_mov_b32 v0, 0
	scratch_store_b64 off, v[0:1], off offset:712 ; 8-byte Folded Spill
	s_wait_xcnt 0x0
	v_dual_mov_b32 v1, 0 :: v_dual_mov_b32 v0, 0
	scratch_store_b64 off, v[0:1], off offset:720 ; 8-byte Folded Spill
	s_wait_xcnt 0x0
	v_dual_mov_b32 v1, 0 :: v_dual_mov_b32 v0, 0
	scratch_store_b64 off, v[0:1], off offset:728 ; 8-byte Folded Spill
	s_wait_xcnt 0x0
	v_dual_mov_b32 v1, 0 :: v_dual_mov_b32 v0, 0
	scratch_store_b64 off, v[0:1], off offset:736 ; 8-byte Folded Spill
	s_wait_xcnt 0x0
	v_dual_mov_b32 v1, 0 :: v_dual_mov_b32 v0, 0
	scratch_store_b64 off, v[0:1], off offset:744 ; 8-byte Folded Spill
	s_wait_xcnt 0x0
	v_dual_mov_b32 v1, 0 :: v_dual_mov_b32 v0, 0
	scratch_store_b64 off, v[0:1], off offset:752 ; 8-byte Folded Spill
	s_wait_xcnt 0x0
	v_dual_mov_b32 v1, 0 :: v_dual_mov_b32 v0, 0
	scratch_store_b64 off, v[0:1], off offset:760 ; 8-byte Folded Spill
	s_wait_xcnt 0x0
	v_dual_mov_b32 v1, 0 :: v_dual_mov_b32 v0, 0
	scratch_store_b64 off, v[0:1], off offset:768 ; 8-byte Folded Spill
	s_wait_xcnt 0x0
	v_dual_mov_b32 v1, 0 :: v_dual_mov_b32 v0, 0
	scratch_store_b64 off, v[0:1], off offset:776 ; 8-byte Folded Spill
	s_wait_xcnt 0x0
	v_dual_mov_b32 v1, 0 :: v_dual_mov_b32 v0, 0
	scratch_store_b64 off, v[0:1], off offset:784 ; 8-byte Folded Spill
	s_wait_xcnt 0x0
	v_dual_mov_b32 v1, 0 :: v_dual_mov_b32 v0, 0
	scratch_store_b64 off, v[0:1], off offset:792 ; 8-byte Folded Spill
	s_wait_xcnt 0x0
	v_dual_mov_b32 v1, 0 :: v_dual_mov_b32 v0, 0
	scratch_store_b64 off, v[0:1], off offset:800 ; 8-byte Folded Spill
	s_wait_xcnt 0x0
	v_dual_mov_b32 v1, 0 :: v_dual_mov_b32 v0, 0
	scratch_store_b64 off, v[0:1], off offset:808 ; 8-byte Folded Spill
	s_wait_storecnt 0x0
	s_barrier_signal -1
	s_barrier_wait -1
	s_wait_xcnt 0x0
	s_and_saveexec_b32 s26, s3
	s_cbranch_execz .LBB44_175
; %bb.42:
	s_abs_i32 s3, s10
	s_clause 0x1
	scratch_load_b32 v0, off, off offset:900
	scratch_load_b32 v7, off, off offset:908
	s_cvt_f32_u32 s0, s3
	s_sub_co_i32 s27, s8, s9
	s_ashr_i32 s23, s22, 31
	s_mov_b32 s9, 0
	v_rcp_iflag_f32_e32 v1, s0
	s_lshl_b64 s[0:1], s[20:21], 2
	s_sub_co_i32 s20, 0, s3
	s_add_nc_u64 s[0:1], s[18:19], s[0:1]
	s_lshl_b64 s[10:11], s[22:23], 2
	s_ashr_i32 s5, s13, 31
	s_mov_b32 s4, s13
	v_nop
	v_readfirstlane_b32 s8, v1
	scratch_load_b32 v1, off, off offset:920 ; 4-byte Folded Reload
	s_add_co_i32 s13, s35, -1
	s_wait_kmcnt 0x0
	s_add_nc_u64 s[10:11], s[24:25], s[10:11]
	s_mov_b32 s18, s31
	s_mul_f32 s8, s8, 0x4f7ffffe
	v_mov_b32_e32 v23, 0
	s_delay_alu instid0(SALU_CYCLE_2) | instskip(NEXT) | instid1(VALU_DEP_1)
	s_cvt_u32_f32 s8, s8
	v_dual_mov_b32 v35, v23 :: v_dual_mov_b32 v19, v23
	v_mov_b32_e32 v16, v23
	s_delay_alu instid0(SALU_CYCLE_1)
	s_mul_i32 s20, s20, s8
	v_dual_mov_b32 v17, v23 :: v_dual_mov_b32 v14, v23
	v_dual_mov_b32 v15, v23 :: v_dual_mov_b32 v12, v23
	v_mov_b32_e32 v13, v23
	s_mul_hi_u32 s19, s8, s20
	v_mov_b32_e32 v20, v23
	s_add_co_i32 s8, s8, s19
	s_mov_b32 s19, s9
	v_dual_mov_b32 v21, v23 :: v_dual_mov_b32 v34, v23
	s_wait_loadcnt 0x2
	v_dual_mov_b32 v18, v23 :: v_dual_lshlrev_b32 v3, 2, v0
	v_and_b32_e32 v0, 0x7c, v25
	s_delay_alu instid0(VALU_DEP_2) | instskip(SKIP_4) | instid1(VALU_DEP_1)
	v_and_b32_e32 v2, 0x7c, v3
	v_or_b32_e32 v4, 0xf80, v3
	v_or_b32_e32 v6, 0x1f80, v3
	s_wait_loadcnt 0x0
	v_dual_lshlrev_b32 v5, 4, v1 :: v_dual_bitop2_b32 v1, 28, v3 bitop3:0x40
	v_lshl_or_b32 v5, v7, 7, v5
	scratch_store_b32 off, v1, off offset:904 ; 4-byte Folded Spill
	s_wait_xcnt 0x0
	v_mov_b32_e32 v1, v23
	s_delay_alu instid0(VALU_DEP_1)
	v_add_nc_u64_e32 v[0:1], s[0:1], v[0:1]
	scratch_store_b64 off, v[0:1], off      ; 8-byte Folded Spill
	s_wait_xcnt 0x0
	v_add_nc_u32_e32 v0, 0x420, v5
	scratch_store_b32 off, v0, off offset:8 ; 4-byte Folded Spill
	s_wait_xcnt 0x0
	v_lshlrev_b32_e32 v0, 2, v2
	scratch_store_b64 off, v[0:1], off offset:824 ; 8-byte Folded Spill
	s_wait_xcnt 0x0
	v_lshlrev_b32_e32 v0, 2, v4
	scratch_store_b64 off, v[0:1], off offset:832 ; 8-byte Folded Spill
	s_wait_xcnt 0x0
	v_lshlrev_b32_e32 v0, 2, v6
	s_clause 0x1
	scratch_store_b64 off, v[0:1], off offset:840
	scratch_store_b32 off, v7, off offset:24
	s_wait_xcnt 0x1
	v_dual_mov_b32 v0, v23 :: v_dual_mov_b32 v1, v23
	s_clause 0x19
	scratch_store_b64 off, v[0:1], off offset:816
	scratch_store_b64 off, v[0:1], off offset:808
	;; [unrolled: 1-line block ×26, first 2 shown]
	s_branch .LBB44_45
.LBB44_43:                              ;   in Loop: Header=BB44_45 Depth=1
	s_or_b32 exec_lo, exec_lo, s1
	s_wait_dscnt 0x0
	v_mul_f32_e32 v1, v6, v14
	v_mul_f32_e32 v0, v6, v18
	scratch_load_b128 v[22:25], off, off offset:600 th:TH_LOAD_LU ; 16-byte Folded Reload
	v_mul_f32_e32 v10, v6, v10
	v_dual_mul_f32 v2, v6, v2 :: v_dual_fmac_f32 v1, v7, v15
	v_dual_fmac_f32 v0, v7, v19 :: v_dual_mul_f32 v14, v6, v98
	s_delay_alu instid0(VALU_DEP_3) | instskip(NEXT) | instid1(VALU_DEP_3)
	v_fmac_f32_e32 v10, v7, v11
	v_dual_fmac_f32 v2, v7, v3 :: v_dual_fmac_f32 v1, v8, v16
	s_delay_alu instid0(VALU_DEP_3) | instskip(NEXT) | instid1(VALU_DEP_3)
	v_dual_fmac_f32 v0, v8, v20 :: v_dual_mul_f32 v3, v6, v122
	v_dual_fmac_f32 v10, v8, v12 :: v_dual_mul_f32 v11, v6, v110
	s_delay_alu instid0(VALU_DEP_3) | instskip(NEXT) | instid1(VALU_DEP_3)
	v_fmac_f32_e32 v1, v9, v17
	v_dual_fmac_f32 v0, v9, v21 :: v_dual_fmac_f32 v3, v7, v123
	s_delay_alu instid0(VALU_DEP_3) | instskip(SKIP_1) | instid1(VALU_DEP_3)
	v_dual_fmac_f32 v10, v9, v13 :: v_dual_fmac_f32 v11, v7, v111
	v_mul_f32_e32 v12, v6, v106
	v_dual_mul_f32 v13, v6, v102 :: v_dual_fmac_f32 v3, v8, v124
	v_dual_fmac_f32 v2, v8, v4 :: v_dual_mul_f32 v4, v6, v118
	s_delay_alu instid0(VALU_DEP_3) | instskip(NEXT) | instid1(VALU_DEP_3)
	v_dual_fmac_f32 v11, v8, v112 :: v_dual_fmac_f32 v12, v7, v107
	v_fmac_f32_e32 v3, v9, v125
	s_delay_alu instid0(VALU_DEP_3) | instskip(NEXT) | instid1(VALU_DEP_3)
	v_dual_fmac_f32 v2, v9, v5 :: v_dual_fmac_f32 v4, v7, v119
	v_dual_mul_f32 v5, v6, v114 :: v_dual_fmac_f32 v11, v9, v113
	s_delay_alu instid0(VALU_DEP_4) | instskip(NEXT) | instid1(VALU_DEP_2)
	v_dual_fmac_f32 v12, v8, v108 :: v_dual_fmac_f32 v13, v7, v103
	v_dual_fmac_f32 v4, v8, v120 :: v_dual_fmac_f32 v5, v7, v115
	s_delay_alu instid0(VALU_DEP_2) | instskip(NEXT) | instid1(VALU_DEP_2)
	v_dual_fmac_f32 v14, v7, v99 :: v_dual_fmac_f32 v12, v9, v109
	v_dual_fmac_f32 v13, v8, v104 :: v_dual_fmac_f32 v4, v9, v121
	s_delay_alu instid0(VALU_DEP_3) | instskip(NEXT) | instid1(VALU_DEP_3)
	v_fmac_f32_e32 v5, v8, v116
	v_dual_fmac_f32 v14, v8, v100 :: v_dual_mul_f32 v15, v6, v94
	s_delay_alu instid0(VALU_DEP_3) | instskip(NEXT) | instid1(VALU_DEP_3)
	v_dual_fmac_f32 v13, v9, v105 :: v_dual_mul_f32 v16, v6, v86
	v_fmac_f32_e32 v5, v9, v117
	s_delay_alu instid0(VALU_DEP_3) | instskip(NEXT) | instid1(VALU_DEP_3)
	v_dual_fmac_f32 v14, v9, v101 :: v_dual_fmac_f32 v15, v7, v95
	v_dual_mul_f32 v17, v6, v82 :: v_dual_fmac_f32 v16, v7, v87
	v_mul_f32_e32 v18, v6, v78
	s_delay_alu instid0(VALU_DEP_3) | instskip(NEXT) | instid1(VALU_DEP_3)
	v_dual_mul_f32 v19, v6, v74 :: v_dual_fmac_f32 v15, v8, v96
	v_dual_fmac_f32 v17, v7, v83 :: v_dual_fmac_f32 v16, v8, v88
	s_delay_alu instid0(VALU_DEP_3) | instskip(NEXT) | instid1(VALU_DEP_3)
	v_fmac_f32_e32 v18, v7, v79
	v_fmac_f32_e32 v19, v7, v75
	s_delay_alu instid0(VALU_DEP_3) | instskip(NEXT) | instid1(VALU_DEP_3)
	v_dual_fmac_f32 v15, v9, v97 :: v_dual_fmac_f32 v17, v8, v84
	v_dual_fmac_f32 v16, v9, v89 :: v_dual_fmac_f32 v18, v8, v80
	s_delay_alu instid0(VALU_DEP_3) | instskip(NEXT) | instid1(VALU_DEP_3)
	v_dual_fmac_f32 v19, v8, v76 :: v_dual_mul_f32 v20, v6, v70
	v_dual_fmac_f32 v17, v9, v85 :: v_dual_mul_f32 v21, v6, v66
	s_delay_alu instid0(VALU_DEP_3) | instskip(NEXT) | instid1(VALU_DEP_3)
	v_fmac_f32_e32 v18, v9, v81
	v_dual_fmac_f32 v19, v9, v77 :: v_dual_fmac_f32 v20, v7, v71
	s_delay_alu instid0(VALU_DEP_3) | instskip(SKIP_1) | instid1(VALU_DEP_3)
	v_dual_mul_f32 v62, v6, v62 :: v_dual_fmac_f32 v21, v7, v67
	v_mul_f32_e32 v58, v6, v58
	v_dual_mul_f32 v50, v6, v50 :: v_dual_fmac_f32 v20, v8, v72
	s_delay_alu instid0(VALU_DEP_3) | instskip(NEXT) | instid1(VALU_DEP_3)
	v_dual_fmac_f32 v62, v7, v63 :: v_dual_fmac_f32 v21, v8, v68
	v_dual_fmac_f32 v58, v7, v59 :: v_dual_mul_f32 v54, v6, v54
	s_delay_alu instid0(VALU_DEP_2) | instskip(NEXT) | instid1(VALU_DEP_3)
	v_dual_fmac_f32 v20, v9, v73 :: v_dual_fmac_f32 v62, v8, v64
	v_dual_fmac_f32 v21, v9, v69 :: v_dual_fmac_f32 v50, v7, v51
	s_delay_alu instid0(VALU_DEP_3) | instskip(NEXT) | instid1(VALU_DEP_3)
	v_dual_mul_f32 v26, v6, v26 :: v_dual_fmac_f32 v58, v8, v60
	v_dual_mul_f32 v46, v6, v46 :: v_dual_fmac_f32 v62, v9, v65
	scratch_load_b128 v[64:67], off, off offset:584 th:TH_LOAD_LU ; 16-byte Folded Reload
	v_dual_fmac_f32 v54, v7, v55 :: v_dual_mul_f32 v38, v6, v38
	v_fmac_f32_e32 v50, v8, v52
	v_dual_fmac_f32 v58, v9, v61 :: v_dual_mul_f32 v42, v6, v42
	v_fmac_f32_e32 v26, v7, v27
	s_delay_alu instid0(VALU_DEP_4)
	v_dual_fmac_f32 v54, v8, v56 :: v_dual_mul_f32 v34, v6, v34
	v_mul_f32_e32 v30, v6, v30
	scratch_load_b64 v[60:61], off, off offset:624 th:TH_LOAD_LU ; 8-byte Folded Reload
	v_fmac_f32_e32 v54, v9, v57
	scratch_load_b64 v[56:57], off, off offset:616 th:TH_LOAD_LU ; 8-byte Folded Reload
	s_wait_loadcnt 0x3
	v_dual_mul_f32 v22, v6, v22 :: v_dual_fmac_f32 v50, v9, v53
	s_delay_alu instid0(VALU_DEP_1) | instskip(NEXT) | instid1(VALU_DEP_1)
	v_fmac_f32_e32 v22, v7, v23
	v_fmac_f32_e32 v22, v8, v24
	s_wait_loadcnt 0x2
	s_delay_alu instid0(VALU_DEP_1) | instskip(NEXT) | instid1(VALU_DEP_1)
	v_dual_fmac_f32 v22, v9, v25 :: v_dual_mul_f32 v23, v6, v64
	v_dual_fmac_f32 v46, v7, v47 :: v_dual_fmac_f32 v23, v7, v65
	s_delay_alu instid0(VALU_DEP_1) | instskip(NEXT) | instid1(VALU_DEP_1)
	v_dual_fmac_f32 v46, v8, v48 :: v_dual_fmac_f32 v23, v8, v66
	v_fmac_f32_e32 v46, v9, v49
	s_wait_loadcnt 0x0
	v_dual_add_f32 v61, v61, v1 :: v_dual_add_f32 v56, v56, v0
	scratch_load_b64 v[0:1], off, off offset:632 th:TH_LOAD_LU ; 8-byte Folded Reload
	v_fmac_f32_e32 v23, v9, v67
	scratch_load_b128 v[64:67], off, off offset:568 th:TH_LOAD_LU ; 16-byte Folded Reload
	s_wait_loadcnt 0x1
	v_dual_fmac_f32 v42, v7, v43 :: v_dual_add_f32 v1, v1, v2
	s_wait_loadcnt 0x0
	v_dual_add_f32 v0, v0, v3 :: v_dual_mul_f32 v24, v6, v64
	s_delay_alu instid0(VALU_DEP_2)
	v_fmac_f32_e32 v42, v8, v44
	s_clause 0x1
	scratch_load_b64 v[2:3], off, off offset:768 th:TH_LOAD_LU
	scratch_store_b64 off, v[0:1], off offset:632
	v_fmac_f32_e32 v24, v7, v65
	v_fmac_f32_e32 v42, v9, v45
	scratch_load_b64 v[0:1], off, off offset:640 th:TH_LOAD_LU ; 8-byte Folded Reload
	v_add_f32_e32 v60, v60, v10
	v_dual_fmac_f32 v24, v8, v66 :: v_dual_fmac_f32 v26, v8, v28
	s_delay_alu instid0(VALU_DEP_1)
	v_fmac_f32_e32 v24, v9, v67
	scratch_load_b128 v[64:67], off, off offset:552 th:TH_LOAD_LU ; 16-byte Folded Reload
	s_wait_loadcnt 0x1
	v_dual_fmac_f32 v38, v7, v39 :: v_dual_add_f32 v1, v1, v4
	s_wait_loadcnt 0x0
	v_dual_add_f32 v0, v0, v5 :: v_dual_mul_f32 v25, v6, v64
	s_delay_alu instid0(VALU_DEP_1) | instskip(NEXT) | instid1(VALU_DEP_1)
	v_dual_fmac_f32 v38, v8, v40 :: v_dual_fmac_f32 v25, v7, v65
	v_dual_fmac_f32 v38, v9, v41 :: v_dual_fmac_f32 v25, v8, v66
	s_delay_alu instid0(VALU_DEP_1) | instskip(SKIP_3) | instid1(VALU_DEP_1)
	v_dual_fmac_f32 v26, v9, v29 :: v_dual_fmac_f32 v25, v9, v67
	scratch_load_b128 v[64:67], off, off offset:536 th:TH_LOAD_LU ; 16-byte Folded Reload
	s_wait_loadcnt 0x0
	v_dual_fmac_f32 v34, v7, v35 :: v_dual_mul_f32 v27, v6, v64
	v_dual_fmac_f32 v34, v8, v36 :: v_dual_fmac_f32 v27, v7, v65
	s_delay_alu instid0(VALU_DEP_1) | instskip(NEXT) | instid1(VALU_DEP_1)
	v_dual_fmac_f32 v34, v9, v37 :: v_dual_fmac_f32 v27, v8, v66
	v_fmac_f32_e32 v27, v9, v67
	scratch_load_b128 v[64:67], off, off offset:520 th:TH_LOAD_LU ; 16-byte Folded Reload
	s_wait_loadcnt 0x0
	v_dual_fmac_f32 v30, v7, v31 :: v_dual_mul_f32 v28, v6, v64
	s_delay_alu instid0(VALU_DEP_1) | instskip(NEXT) | instid1(VALU_DEP_1)
	v_dual_fmac_f32 v30, v8, v32 :: v_dual_fmac_f32 v28, v7, v65
	v_dual_fmac_f32 v30, v9, v33 :: v_dual_fmac_f32 v28, v8, v66
	s_delay_alu instid0(VALU_DEP_1) | instskip(SKIP_3) | instid1(VALU_DEP_1)
	v_fmac_f32_e32 v28, v9, v67
	scratch_load_b128 v[64:67], off, off offset:504 th:TH_LOAD_LU ; 16-byte Folded Reload
	s_wait_loadcnt 0x0
	v_mul_f32_e32 v29, v6, v64
	v_fmac_f32_e32 v29, v7, v65
	s_delay_alu instid0(VALU_DEP_1) | instskip(NEXT) | instid1(VALU_DEP_1)
	v_fmac_f32_e32 v29, v8, v66
	v_fmac_f32_e32 v29, v9, v67
	scratch_load_b128 v[64:67], off, off offset:488 th:TH_LOAD_LU ; 16-byte Folded Reload
	s_wait_loadcnt 0x0
	v_mul_f32_e32 v31, v6, v64
	s_delay_alu instid0(VALU_DEP_1) | instskip(NEXT) | instid1(VALU_DEP_1)
	v_fmac_f32_e32 v31, v7, v65
	v_fmac_f32_e32 v31, v8, v66
	s_delay_alu instid0(VALU_DEP_1) | instskip(SKIP_3) | instid1(VALU_DEP_1)
	v_fmac_f32_e32 v31, v9, v67
	scratch_load_b128 v[64:67], off, off offset:472 th:TH_LOAD_LU ; 16-byte Folded Reload
	s_wait_loadcnt 0x0
	v_mul_f32_e32 v32, v6, v64
	v_fmac_f32_e32 v32, v7, v65
	s_delay_alu instid0(VALU_DEP_1) | instskip(NEXT) | instid1(VALU_DEP_1)
	v_fmac_f32_e32 v32, v8, v66
	v_fmac_f32_e32 v32, v9, v67
	scratch_load_b128 v[64:67], off, off offset:456 th:TH_LOAD_LU ; 16-byte Folded Reload
	s_wait_loadcnt 0x0
	v_mul_f32_e32 v33, v6, v64
	s_delay_alu instid0(VALU_DEP_1) | instskip(NEXT) | instid1(VALU_DEP_1)
	v_fmac_f32_e32 v33, v7, v65
	v_fmac_f32_e32 v33, v8, v66
	;; [unrolled: 15-line block ×6, first 2 shown]
	s_delay_alu instid0(VALU_DEP_1) | instskip(SKIP_3) | instid1(VALU_DEP_1)
	v_fmac_f32_e32 v44, v9, v67
	scratch_load_b128 v[64:67], off, off offset:312 th:TH_LOAD_LU ; 16-byte Folded Reload
	s_wait_loadcnt 0x0
	v_mul_f32_e32 v45, v6, v64
	v_fmac_f32_e32 v45, v7, v65
	s_delay_alu instid0(VALU_DEP_1) | instskip(NEXT) | instid1(VALU_DEP_1)
	v_dual_add_f32 v3, v3, v44 :: v_dual_fmac_f32 v45, v8, v66
	v_fmac_f32_e32 v45, v9, v67
	scratch_load_b128 v[64:67], off, off offset:296 th:TH_LOAD_LU ; 16-byte Folded Reload
	s_wait_loadcnt 0x0
	v_mul_f32_e32 v47, v6, v64
	s_delay_alu instid0(VALU_DEP_1) | instskip(NEXT) | instid1(VALU_DEP_1)
	v_fmac_f32_e32 v47, v7, v65
	v_fmac_f32_e32 v47, v8, v66
	s_delay_alu instid0(VALU_DEP_1) | instskip(SKIP_3) | instid1(VALU_DEP_1)
	v_fmac_f32_e32 v47, v9, v67
	scratch_load_b128 v[64:67], off, off offset:280 th:TH_LOAD_LU ; 16-byte Folded Reload
	s_wait_loadcnt 0x0
	v_mul_f32_e32 v48, v6, v64
	v_fmac_f32_e32 v48, v7, v65
	v_add_f32_e32 v2, v2, v45
	s_clause 0x1
	scratch_store_b64 off, v[0:1], off offset:640
	scratch_load_b64 v[0:1], off, off offset:648 th:TH_LOAD_LU
	v_fmac_f32_e32 v48, v8, v66
	s_clause 0x1
	scratch_store_b64 off, v[2:3], off offset:768
	scratch_load_b64 v[2:3], off, off offset:776 th:TH_LOAD_LU
	v_fmac_f32_e32 v48, v9, v67
	scratch_load_b128 v[64:67], off, off offset:264 th:TH_LOAD_LU ; 16-byte Folded Reload
	s_wait_loadcnt 0x2
	v_dual_add_f32 v1, v1, v11 :: v_dual_add_f32 v0, v0, v12
	scratch_load_b64 v[10:11], off, off offset:800 th:TH_LOAD_LU ; 8-byte Folded Reload
	s_wait_loadcnt 0x1
	v_dual_add_f32 v3, v3, v47 :: v_dual_mul_f32 v49, v6, v64
	s_delay_alu instid0(VALU_DEP_1)
	v_dual_fmac_f32 v49, v7, v65 :: v_dual_add_f32 v2, v2, v48
	s_clause 0x1
	scratch_store_b64 off, v[0:1], off offset:648
	scratch_load_b64 v[0:1], off, off offset:656 th:TH_LOAD_LU
	v_fmac_f32_e32 v49, v8, v66
	s_clause 0x1
	scratch_store_b64 off, v[2:3], off offset:776
	scratch_load_b64 v[2:3], off, off offset:784 th:TH_LOAD_LU
	v_fmac_f32_e32 v49, v9, v67
	scratch_load_b128 v[64:67], off, off offset:248 th:TH_LOAD_LU ; 16-byte Folded Reload
	s_wait_loadcnt 0x2
	v_dual_add_f32 v1, v1, v13 :: v_dual_add_f32 v0, v0, v14
	scratch_load_b64 v[12:13], off, off offset:848 th:TH_LOAD_LU ; 8-byte Folded Reload
	s_wait_loadcnt 0x1
	v_mul_f32_e32 v51, v6, v64
	s_delay_alu instid0(VALU_DEP_1) | instskip(NEXT) | instid1(VALU_DEP_1)
	v_fmac_f32_e32 v51, v7, v65
	v_dual_add_f32 v3, v3, v49 :: v_dual_fmac_f32 v51, v8, v66
	s_delay_alu instid0(VALU_DEP_1) | instskip(SKIP_3) | instid1(VALU_DEP_1)
	v_fmac_f32_e32 v51, v9, v67
	scratch_load_b128 v[64:67], off, off offset:232 th:TH_LOAD_LU ; 16-byte Folded Reload
	s_wait_loadcnt 0x0
	v_mul_f32_e32 v52, v6, v64
	v_fmac_f32_e32 v52, v7, v65
	s_delay_alu instid0(VALU_DEP_1) | instskip(NEXT) | instid1(VALU_DEP_1)
	v_fmac_f32_e32 v52, v8, v66
	v_fmac_f32_e32 v52, v9, v67
	v_add_f32_e32 v2, v2, v51
	s_clause 0x3
	scratch_store_b64 off, v[0:1], off offset:656
	scratch_load_b64 v[0:1], off, off offset:664 th:TH_LOAD_LU
	scratch_store_b64 off, v[2:3], off offset:784
	scratch_load_b64 v[2:3], off, off offset:792 th:TH_LOAD_LU
	s_wait_loadcnt 0x1
	v_dual_add_f32 v1, v1, v15 :: v_dual_add_f32 v0, v0, v16
	scratch_load_b64 v[14:15], off, off offset:856 th:TH_LOAD_LU ; 8-byte Folded Reload
	s_wait_loadcnt 0x1
	v_add_f32_e32 v3, v3, v52
	s_clause 0x1
	scratch_store_b64 off, v[0:1], off offset:664
	scratch_load_b64 v[0:1], off, off offset:672 th:TH_LOAD_LU
	s_wait_loadcnt 0x0
	v_dual_add_f32 v1, v1, v17 :: v_dual_add_f32 v0, v0, v18
	s_clause 0x2
	scratch_load_b64 v[16:17], off, off offset:864 th:TH_LOAD_LU
	scratch_store_b64 off, v[0:1], off offset:672
	scratch_load_b64 v[0:1], off, off offset:680 th:TH_LOAD_LU
	v_add_f32_e32 v13, v13, v19
	scratch_load_b64 v[18:19], off, off offset:872 th:TH_LOAD_LU ; 8-byte Folded Reload
	s_wait_loadcnt 0x1
	v_add_f32_e32 v1, v1, v42
	v_add_f32_e32 v0, v0, v38
	s_clause 0x1
	scratch_store_b64 off, v[0:1], off offset:680
	scratch_load_b64 v[0:1], off, off offset:688 th:TH_LOAD_LU
	v_dual_add_f32 v12, v12, v20 :: v_dual_add_f32 v15, v15, v21
	s_wait_loadcnt 0x0
	v_add_f32_e32 v1, v1, v34
	v_add_f32_e32 v0, v0, v30
	s_clause 0x1
	scratch_store_b64 off, v[0:1], off offset:688
	scratch_load_b64 v[0:1], off, off offset:696 th:TH_LOAD_LU
	s_wait_loadcnt 0x0
	v_add_f32_e32 v1, v1, v26
	v_add_f32_e32 v0, v0, v22
	s_clause 0x1
	scratch_store_b64 off, v[0:1], off offset:696
	scratch_load_b64 v[0:1], off, off offset:704 th:TH_LOAD_LU
	v_add_f32_e32 v14, v14, v62
	s_wait_loadcnt 0x0
	v_dual_add_f32 v17, v17, v58 :: v_dual_add_f32 v0, v0, v24
	v_add_f32_e32 v1, v1, v23
	s_clause 0x2
	scratch_load_b128 v[20:23], off, off offset:200 th:TH_LOAD_LU
	scratch_store_b64 off, v[0:1], off offset:704
	scratch_load_b64 v[0:1], off, off offset:712 th:TH_LOAD_LU
	v_add_f32_e32 v16, v16, v54
	s_wait_loadcnt 0x0
	v_dual_add_f32 v19, v19, v50 :: v_dual_add_f32 v0, v0, v27
	v_add_f32_e32 v1, v1, v25
	s_clause 0x2
	scratch_load_b128 v[24:27], off, off offset:216 th:TH_LOAD_LU
	scratch_store_b64 off, v[0:1], off offset:712
	scratch_load_b64 v[0:1], off, off offset:720 th:TH_LOAD_LU
	s_wait_loadcnt 0x0
	v_dual_add_f32 v18, v18, v46 :: v_dual_add_f32 v1, v1, v28
	v_add_f32_e32 v0, v0, v29
	s_clause 0x1
	scratch_store_b64 off, v[0:1], off offset:720
	scratch_load_b64 v[0:1], off, off offset:728 th:TH_LOAD_LU
	s_wait_loadcnt 0x0
	v_dual_add_f32 v1, v1, v31 :: v_dual_add_f32 v0, v0, v32
	s_clause 0x2
	scratch_load_b128 v[28:31], off, off offset:152 th:TH_LOAD_LU
	scratch_store_b64 off, v[0:1], off offset:728
	scratch_load_b64 v[0:1], off, off offset:736 th:TH_LOAD_LU
	s_wait_loadcnt 0x0
	v_dual_add_f32 v1, v1, v33 :: v_dual_add_f32 v0, v0, v35
	s_clause 0x2
	scratch_load_b128 v[32:35], off, off offset:168 th:TH_LOAD_LU
	scratch_store_b64 off, v[0:1], off offset:736
	scratch_load_b64 v[0:1], off, off offset:744 th:TH_LOAD_LU
	s_wait_loadcnt 0x0
	v_dual_add_f32 v1, v1, v36 :: v_dual_add_f32 v0, v0, v37
	s_clause 0x1
	scratch_store_b64 off, v[0:1], off offset:744
	scratch_load_b64 v[0:1], off, off offset:752 th:TH_LOAD_LU
	s_wait_loadcnt 0x0
	v_dual_add_f32 v1, v1, v39 :: v_dual_add_f32 v0, v0, v40
	s_clause 0x2
	scratch_load_b128 v[36:39], off, off offset:184 th:TH_LOAD_LU
	scratch_store_b64 off, v[0:1], off offset:752
	scratch_load_b64 v[0:1], off, off offset:760 th:TH_LOAD_LU
	s_wait_loadcnt 0x0
	v_dual_add_f32 v1, v1, v41 :: v_dual_add_f32 v0, v0, v43
	scratch_store_b64 off, v[0:1], off offset:760 ; 8-byte Folded Spill
	s_wait_xcnt 0x0
	v_mul_f32_e32 v1, v6, v20
	s_delay_alu instid0(VALU_DEP_1) | instskip(NEXT) | instid1(VALU_DEP_1)
	v_dual_mul_f32 v0, v6, v24 :: v_dual_fmac_f32 v1, v7, v21
	v_dual_fmac_f32 v0, v7, v25 :: v_dual_fmac_f32 v1, v8, v22
	s_delay_alu instid0(VALU_DEP_1)
	v_dual_fmac_f32 v0, v8, v26 :: v_dual_fmac_f32 v1, v9, v23
	scratch_load_b128 v[20:23], off, off offset:120 th:TH_LOAD_LU ; 16-byte Folded Reload
	v_fmac_f32_e32 v0, v9, v27
	scratch_load_b128 v[24:27], off, off offset:136 th:TH_LOAD_LU ; 16-byte Folded Reload
	v_dual_add_f32 v11, v11, v1 :: v_dual_mul_f32 v1, v6, v32
	v_add_f32_e32 v2, v2, v0
	s_delay_alu instid0(VALU_DEP_2) | instskip(NEXT) | instid1(VALU_DEP_1)
	v_dual_mul_f32 v0, v6, v36 :: v_dual_fmac_f32 v1, v7, v33
	v_dual_fmac_f32 v0, v7, v37 :: v_dual_fmac_f32 v1, v8, v34
	s_delay_alu instid0(VALU_DEP_1) | instskip(SKIP_2) | instid1(VALU_DEP_1)
	v_dual_fmac_f32 v0, v8, v38 :: v_dual_fmac_f32 v1, v9, v35
	scratch_load_b128 v[32:35], off, off offset:104 th:TH_LOAD_LU ; 16-byte Folded Reload
	v_fmac_f32_e32 v0, v9, v39
	v_add_f32_e32 v10, v10, v0
	s_clause 0x2
	scratch_store_b64 off, v[2:3], off offset:792
	scratch_store_b64 off, v[10:11], off offset:800
	scratch_load_b64 v[10:11], off, off offset:808 th:TH_LOAD_LU
	s_wait_loadcnt 0x3
	v_mul_f32_e32 v4, v6, v20
	s_wait_loadcnt 0x2
	v_mul_f32_e32 v3, v6, v24
	s_delay_alu instid0(VALU_DEP_1) | instskip(NEXT) | instid1(VALU_DEP_1)
	v_dual_mul_f32 v2, v6, v28 :: v_dual_fmac_f32 v3, v7, v25
	v_fmac_f32_e32 v2, v7, v29
	s_delay_alu instid0(VALU_DEP_1) | instskip(NEXT) | instid1(VALU_DEP_1)
	v_dual_fmac_f32 v4, v7, v21 :: v_dual_fmac_f32 v2, v8, v30
	v_dual_fmac_f32 v3, v8, v26 :: v_dual_fmac_f32 v2, v9, v31
	scratch_load_b128 v[28:31], off, off offset:88 th:TH_LOAD_LU ; 16-byte Folded Reload
	v_dual_fmac_f32 v4, v8, v22 :: v_dual_fmac_f32 v3, v9, v27
	s_wait_loadcnt 0x2
	v_mul_f32_e32 v5, v6, v32
	scratch_load_b128 v[24:27], off, off offset:72 th:TH_LOAD_LU ; 16-byte Folded Reload
	v_fmac_f32_e32 v5, v7, v33
	s_delay_alu instid0(VALU_DEP_1) | instskip(NEXT) | instid1(VALU_DEP_1)
	v_fmac_f32_e32 v5, v8, v34
	v_fmac_f32_e32 v5, v9, v35
	scratch_load_b64 v[34:35], off, off offset:880 th:TH_LOAD_LU ; 8-byte Folded Reload
	s_wait_loadcnt 0x3
	v_dual_fmac_f32 v4, v9, v23 :: v_dual_add_f32 v11, v11, v1
	s_clause 0x1
	scratch_load_b128 v[20:23], off, off offset:56 th:TH_LOAD_LU
	scratch_load_b64 v[0:1], off, off offset:816 th:TH_LOAD_LU
	v_add_f32_e32 v10, v10, v2
	scratch_store_b64 off, v[10:11], off offset:808 ; 8-byte Folded Spill
	s_wait_loadcnt 0x1
	s_wait_xcnt 0x0
	v_mul_f32_e32 v11, v6, v20
	s_delay_alu instid0(VALU_DEP_1)
	v_fmac_f32_e32 v11, v7, v21
	scratch_load_b64 v[20:21], off, off offset:888 th:TH_LOAD_LU ; 8-byte Folded Reload
	s_wait_loadcnt 0x1
	v_add_f32_e32 v1, v1, v3
	v_pk_mul_f32 v[2:3], v[8:9], v[92:93]
	v_fmac_f32_e32 v11, v8, v22
	s_delay_alu instid0(VALU_DEP_1) | instskip(SKIP_2) | instid1(VALU_DEP_1)
	v_fmac_f32_e32 v11, v9, v23
	scratch_load_b64 v[22:23], off, off offset:40 ; 8-byte Folded Reload
	v_mul_f32_e32 v10, v6, v24
	v_dual_add_f32 v0, v0, v4 :: v_dual_fmac_f32 v10, v7, v25
	scratch_store_b64 off, v[0:1], off offset:816 ; 8-byte Folded Spill
	v_mul_f32_e32 v4, v6, v28
	s_wait_xcnt 0x0
	v_pk_mul_f32 v[0:1], v[6:7], v[90:91]
	s_delay_alu instid0(VALU_DEP_2) | instskip(NEXT) | instid1(VALU_DEP_2)
	v_dual_fmac_f32 v10, v8, v26 :: v_dual_fmac_f32 v4, v7, v29
	v_add_f32_e32 v0, v1, v0
	s_delay_alu instid0(VALU_DEP_2) | instskip(NEXT) | instid1(VALU_DEP_1)
	v_dual_fmac_f32 v10, v9, v27 :: v_dual_fmac_f32 v4, v8, v30
	v_dual_add_f32 v0, v2, v0 :: v_dual_fmac_f32 v4, v9, v31
	s_delay_alu instid0(VALU_DEP_1) | instskip(NEXT) | instid1(VALU_DEP_2)
	v_add_f32_e32 v0, v3, v0
	v_dual_add_f32 v34, v34, v4 :: v_dual_add_f32 v35, v35, v5
	s_delay_alu instid0(VALU_DEP_2)
	v_add_f32_e32 v57, v57, v0
	s_clause 0x1
	scratch_store_b64 off, v[60:61], off offset:624
	scratch_store_b64 off, v[56:57], off offset:616
	s_wait_loadcnt 0x1
	v_dual_add_f32 v21, v21, v10 :: v_dual_add_f32 v20, v20, v11
.LBB44_44:                              ;   in Loop: Header=BB44_45 Depth=1
	s_wait_xcnt 0x0
	s_or_b32 exec_lo, exec_lo, s20
	scratch_load_b32 v0, off, off offset:24 th:TH_LOAD_LU ; 4-byte Folded Reload
	s_wait_loadcnt 0x1
	v_add_nc_u32_e32 v22, 0x80, v22
	s_wait_loadcnt 0x0
	v_add_nc_u32_e32 v0, 4, v0
	scratch_store_b32 off, v0, off offset:24 ; 4-byte Folded Spill
	v_cmp_le_i32_e32 vcc_lo, s35, v0
	scratch_load_b64 v[0:1], off, off       ; 8-byte Folded Reload
	s_or_b32 s19, vcc_lo, s19
	s_wait_loadcnt 0x0
	v_add_nc_u64_e32 v[0:1], 16, v[0:1]
	s_clause 0x1
	scratch_store_b64 off, v[0:1], off
	scratch_load_b32 v0, off, off offset:8
	s_wait_loadcnt 0x0
	v_add_nc_u32_e32 v0, 0x200, v0
	scratch_store_b32 off, v0, off offset:8 ; 4-byte Folded Spill
	s_wait_xcnt 0x0
	s_and_not1_b32 exec_lo, exec_lo, s19
	s_cbranch_execz .LBB44_174
.LBB44_45:                              ; =>This Inner Loop Header: Depth=1
	s_wait_xcnt 0x0
	v_mul_u64_e32 v[0:1], s[16:17], v[22:23]
	s_delay_alu instid0(VALU_DEP_1) | instskip(NEXT) | instid1(VALU_DEP_1)
	v_mul_lo_u32 v0, v1, s12
	v_dual_add_nc_u32 v2, 1, v1 :: v_dual_sub_nc_u32 v0, v22, v0
	s_delay_alu instid0(VALU_DEP_1) | instskip(SKIP_1) | instid1(VALU_DEP_2)
	v_subrev_nc_u32_e32 v3, s12, v0
	v_cmp_le_u32_e32 vcc_lo, s12, v0
	v_dual_cndmask_b32 v1, v1, v2 :: v_dual_cndmask_b32 v0, v0, v3
	s_delay_alu instid0(VALU_DEP_1) | instskip(NEXT) | instid1(VALU_DEP_2)
	v_add_nc_u32_e32 v2, 1, v1
	v_cmp_le_u32_e32 vcc_lo, s12, v0
	s_delay_alu instid0(VALU_DEP_2) | instskip(NEXT) | instid1(VALU_DEP_1)
	v_dual_cndmask_b32 v0, v1, v2 :: v_dual_mov_b32 v1, v23
	v_xor_b32_e32 v0, s34, v0
	s_delay_alu instid0(VALU_DEP_1) | instskip(NEXT) | instid1(VALU_DEP_1)
	v_subrev_nc_u32_e32 v4, s34, v0
	v_add_nc_u32_e32 v5, s33, v4
	v_cmp_lt_i32_e64 s0, s27, v4
	s_delay_alu instid0(VALU_DEP_2) | instskip(NEXT) | instid1(VALU_DEP_1)
	v_sub_nc_u32_e32 v0, 0, v5
	v_max_i32_e32 v0, v5, v0
	s_delay_alu instid0(VALU_DEP_1) | instskip(SKIP_1) | instid1(VALU_DEP_2)
	v_mul_u64_e32 v[2:3], s[8:9], v[0:1]
	v_ashrrev_i32_e32 v2, 31, v5
	v_mul_lo_u32 v1, v3, s3
	s_delay_alu instid0(VALU_DEP_1) | instskip(NEXT) | instid1(VALU_DEP_1)
	v_sub_nc_u32_e32 v0, v0, v1
	v_subrev_nc_u32_e32 v1, s3, v0
	v_cmp_le_u32_e32 vcc_lo, s3, v0
	s_delay_alu instid0(VALU_DEP_2) | instskip(NEXT) | instid1(VALU_DEP_1)
	v_cndmask_b32_e32 v0, v0, v1, vcc_lo
	v_subrev_nc_u32_e32 v1, s3, v0
	v_cmp_le_u32_e32 vcc_lo, s3, v0
	s_delay_alu instid0(VALU_DEP_2) | instskip(NEXT) | instid1(VALU_DEP_1)
	v_cndmask_b32_e32 v0, v0, v1, vcc_lo
	v_xor_b32_e32 v0, v0, v2
	s_delay_alu instid0(VALU_DEP_1) | instskip(NEXT) | instid1(VALU_DEP_1)
	v_sub_nc_u32_e32 v0, v0, v2
	v_cmp_eq_u32_e32 vcc_lo, 0, v0
	s_or_b32 s0, vcc_lo, s0
	s_delay_alu instid0(SALU_CYCLE_1)
	s_and_saveexec_b32 s20, s0
	s_cbranch_execz .LBB44_44
; %bb.46:                               ;   in Loop: Header=BB44_45 Depth=1
	s_clause 0x7
	scratch_store_b64 off, v[20:21], off offset:888
	scratch_store_b64 off, v[34:35], off offset:880
	;; [unrolled: 1-line block ×6, first 2 shown]
	scratch_load_b64 v[0:1], off, off
	scratch_store_b64 off, v[22:23], off offset:40
	s_wait_loadcnt 0x0
	global_load_b32 v0, v[0:1], off
	s_wait_loadcnt 0x0
	v_ashrrev_i32_e32 v1, 31, v0
	s_delay_alu instid0(VALU_DEP_1) | instskip(NEXT) | instid1(VALU_DEP_1)
	v_mul_u64_e32 v[0:1], s[4:5], v[0:1]
	v_lshl_add_u64 v[20:21], v[0:1], 2, s[10:11]
	scratch_load_b64 v[0:1], off, off offset:824 th:TH_LOAD_LU ; 8-byte Folded Reload
	s_wait_loadcnt 0x0
	v_mov_b32_e32 v1, v23
	s_delay_alu instid0(VALU_DEP_1)
	v_add_nc_u64_e32 v[18:19], v[20:21], v[0:1]
	v_mov_b32_e32 v2, v0
	scratch_store_b64 off, v[2:3], off offset:824 ; 8-byte Folded Spill
	global_load_b128 v[0:3], v[18:19], off
	s_wait_loadcnt 0x0
	s_clause 0x1
	scratch_store_b128 off, v[0:3], off offset:56
	scratch_load_b32 v0, off, off offset:8
	s_wait_loadcnt 0x0
	ds_load_b128 v[6:9], v0
	scratch_load_b32 v0, off, off offset:904 ; 4-byte Folded Reload
	s_wait_loadcnt 0x0
	v_add_nc_u32_e32 v1, v0, v22
	scratch_load_b32 v0, off, off offset:24 ; 4-byte Folded Reload
	v_dual_add_nc_u32 v127, 1, v1 :: v_dual_bitop2_b32 v126, 2, v1 bitop3:0x54
	s_wait_loadcnt 0x0
	v_cmp_eq_u32_e32 vcc_lo, s13, v0
	v_or_b32_e32 v0, 3, v1
	s_wait_xcnt 0x0
	s_and_saveexec_b32 s1, vcc_lo
	s_cbranch_execz .LBB44_48
; %bb.47:                               ;   in Loop: Header=BB44_45 Depth=1
	scratch_load_b128 v[2:5], off, off offset:56 th:TH_LOAD_LU ; 16-byte Folded Reload
	v_cmp_gt_i32_e64 s0, s18, v127
	s_wait_loadcnt 0x0
	s_delay_alu instid0(VALU_DEP_1) | instskip(SKIP_1) | instid1(VALU_DEP_1)
	v_cndmask_b32_e64 v3, 0, v3, s0
	v_cmp_gt_i32_e64 s0, s31, v1
	v_cndmask_b32_e64 v2, 0, v2, s0
	v_cmp_gt_i32_e64 s0, s18, v0
	s_delay_alu instid0(VALU_DEP_1) | instskip(SKIP_1) | instid1(VALU_DEP_1)
	v_cndmask_b32_e64 v5, 0, v5, s0
	v_cmp_gt_i32_e64 s0, s31, v126
	v_cndmask_b32_e64 v4, 0, v4, s0
	scratch_store_b128 off, v[2:5], off offset:56 ; 16-byte Folded Spill
.LBB44_48:                              ;   in Loop: Header=BB44_45 Depth=1
	s_wait_xcnt 0x0
	s_or_b32 exec_lo, exec_lo, s1
	global_load_b128 v[2:5], v[18:19], off offset:512
	s_wait_loadcnt 0x0
	scratch_store_b128 off, v[2:5], off offset:72 ; 16-byte Folded Spill
	s_wait_xcnt 0x0
	s_and_saveexec_b32 s1, vcc_lo
	s_cbranch_execz .LBB44_50
; %bb.49:                               ;   in Loop: Header=BB44_45 Depth=1
	scratch_load_b128 v[2:5], off, off offset:72 th:TH_LOAD_LU ; 16-byte Folded Reload
	v_cmp_gt_i32_e64 s0, s18, v127
	s_wait_loadcnt 0x0
	s_delay_alu instid0(VALU_DEP_1) | instskip(SKIP_1) | instid1(VALU_DEP_1)
	v_cndmask_b32_e64 v3, 0, v3, s0
	v_cmp_gt_i32_e64 s0, s31, v1
	v_cndmask_b32_e64 v2, 0, v2, s0
	v_cmp_gt_i32_e64 s0, s18, v0
	s_delay_alu instid0(VALU_DEP_1) | instskip(SKIP_1) | instid1(VALU_DEP_1)
	v_cndmask_b32_e64 v5, 0, v5, s0
	v_cmp_gt_i32_e64 s0, s31, v126
	v_cndmask_b32_e64 v4, 0, v4, s0
	scratch_store_b128 off, v[2:5], off offset:72 ; 16-byte Folded Spill
.LBB44_50:                              ;   in Loop: Header=BB44_45 Depth=1
	s_wait_xcnt 0x0
	s_or_b32 exec_lo, exec_lo, s1
	global_load_b128 v[2:5], v[18:19], off offset:1024
	s_wait_loadcnt 0x0
	scratch_store_b128 off, v[2:5], off offset:88 ; 16-byte Folded Spill
	;; [unrolled: 23-line block ×8, first 2 shown]
	s_wait_xcnt 0x0
	s_and_saveexec_b32 s21, vcc_lo
	s_cbranch_execz .LBB44_64
; %bb.63:                               ;   in Loop: Header=BB44_45 Depth=1
	scratch_load_b128 v[2:5], off, off offset:184 th:TH_LOAD_LU ; 16-byte Folded Reload
	v_cmp_gt_i32_e64 s0, s31, v1
	v_cmp_gt_i32_e64 s1, s18, v127
	s_wait_loadcnt 0x0
	s_delay_alu instid0(VALU_DEP_1) | instskip(SKIP_2) | instid1(VALU_DEP_1)
	v_dual_cndmask_b32 v3, 0, v3, s1 :: v_dual_cndmask_b32 v2, 0, v2, s0
	v_cmp_gt_i32_e64 s0, s31, v126
	v_cmp_gt_i32_e64 s1, s18, v0
	v_dual_cndmask_b32 v4, 0, v4, s0 :: v_dual_cndmask_b32 v5, 0, v5, s1
	scratch_store_b128 off, v[2:5], off offset:184 ; 16-byte Folded Spill
.LBB44_64:                              ;   in Loop: Header=BB44_45 Depth=1
	s_wait_xcnt 0x0
	s_or_b32 exec_lo, exec_lo, s21
	global_load_b128 v[2:5], v[18:19], off offset:4608
	s_wait_loadcnt 0x0
	scratch_store_b128 off, v[2:5], off offset:200 ; 16-byte Folded Spill
	s_wait_xcnt 0x0
	s_and_saveexec_b32 s21, vcc_lo
	s_cbranch_execz .LBB44_66
; %bb.65:                               ;   in Loop: Header=BB44_45 Depth=1
	scratch_load_b128 v[2:5], off, off offset:200 th:TH_LOAD_LU ; 16-byte Folded Reload
	v_cmp_gt_i32_e64 s0, s31, v1
	v_cmp_gt_i32_e64 s1, s18, v127
	s_wait_loadcnt 0x0
	s_delay_alu instid0(VALU_DEP_1) | instskip(SKIP_2) | instid1(VALU_DEP_1)
	v_dual_cndmask_b32 v3, 0, v3, s1 :: v_dual_cndmask_b32 v2, 0, v2, s0
	v_cmp_gt_i32_e64 s0, s31, v126
	v_cmp_gt_i32_e64 s1, s18, v0
	v_dual_cndmask_b32 v4, 0, v4, s0 :: v_dual_cndmask_b32 v5, 0, v5, s1
	scratch_store_b128 off, v[2:5], off offset:200 ; 16-byte Folded Spill
.LBB44_66:                              ;   in Loop: Header=BB44_45 Depth=1
	s_wait_xcnt 0x0
	s_or_b32 exec_lo, exec_lo, s21
	global_load_b128 v[2:5], v[18:19], off offset:5120
	s_wait_loadcnt 0x0
	scratch_store_b128 off, v[2:5], off offset:216 ; 16-byte Folded Spill
	;; [unrolled: 20-line block ×18, first 2 shown]
	s_wait_xcnt 0x0
	s_and_saveexec_b32 s21, vcc_lo
	s_cbranch_execz .LBB44_100
; %bb.99:                               ;   in Loop: Header=BB44_45 Depth=1
	scratch_load_b128 v[2:5], off, off offset:472 th:TH_LOAD_LU ; 16-byte Folded Reload
	v_cmp_gt_i32_e64 s0, s31, v1
	v_cmp_gt_i32_e64 s1, s18, v127
	s_wait_loadcnt 0x0
	s_delay_alu instid0(VALU_DEP_1) | instskip(SKIP_2) | instid1(VALU_DEP_1)
	v_dual_cndmask_b32 v3, 0, v3, s1 :: v_dual_cndmask_b32 v2, 0, v2, s0
	v_cmp_gt_i32_e64 s0, s31, v126
	v_cmp_gt_i32_e64 s1, s18, v0
	v_dual_cndmask_b32 v4, 0, v4, s0 :: v_dual_cndmask_b32 v5, 0, v5, s1
	scratch_store_b128 off, v[2:5], off offset:472 ; 16-byte Folded Spill
.LBB44_100:                             ;   in Loop: Header=BB44_45 Depth=1
	s_wait_xcnt 0x0
	s_or_b32 exec_lo, exec_lo, s21
	global_load_b128 v[2:5], v[18:19], off offset:13824
	s_wait_loadcnt 0x0
	scratch_store_b128 off, v[2:5], off offset:488 ; 16-byte Folded Spill
	s_wait_xcnt 0x0
	s_and_saveexec_b32 s21, vcc_lo
	s_cbranch_execz .LBB44_102
; %bb.101:                              ;   in Loop: Header=BB44_45 Depth=1
	scratch_load_b128 v[2:5], off, off offset:488 th:TH_LOAD_LU ; 16-byte Folded Reload
	v_cmp_gt_i32_e64 s0, s31, v1
	v_cmp_gt_i32_e64 s1, s18, v127
	s_wait_loadcnt 0x0
	s_delay_alu instid0(VALU_DEP_1) | instskip(SKIP_2) | instid1(VALU_DEP_1)
	v_dual_cndmask_b32 v3, 0, v3, s1 :: v_dual_cndmask_b32 v2, 0, v2, s0
	v_cmp_gt_i32_e64 s0, s31, v126
	v_cmp_gt_i32_e64 s1, s18, v0
	v_dual_cndmask_b32 v4, 0, v4, s0 :: v_dual_cndmask_b32 v5, 0, v5, s1
	scratch_store_b128 off, v[2:5], off offset:488 ; 16-byte Folded Spill
.LBB44_102:                             ;   in Loop: Header=BB44_45 Depth=1
	s_wait_xcnt 0x0
	s_or_b32 exec_lo, exec_lo, s21
	global_load_b128 v[2:5], v[18:19], off offset:14336
	s_wait_loadcnt 0x0
	scratch_store_b128 off, v[2:5], off offset:504 ; 16-byte Folded Spill
	s_wait_xcnt 0x0
	s_and_saveexec_b32 s21, vcc_lo
	s_cbranch_execz .LBB44_104
; %bb.103:                              ;   in Loop: Header=BB44_45 Depth=1
	scratch_load_b128 v[2:5], off, off offset:504 th:TH_LOAD_LU ; 16-byte Folded Reload
	v_cmp_gt_i32_e64 s0, s31, v1
	v_cmp_gt_i32_e64 s1, s18, v127
	s_wait_loadcnt 0x0
	s_delay_alu instid0(VALU_DEP_1) | instskip(SKIP_2) | instid1(VALU_DEP_1)
	v_dual_cndmask_b32 v3, 0, v3, s1 :: v_dual_cndmask_b32 v2, 0, v2, s0
	v_cmp_gt_i32_e64 s0, s31, v126
	v_cmp_gt_i32_e64 s1, s18, v0
	v_dual_cndmask_b32 v4, 0, v4, s0 :: v_dual_cndmask_b32 v5, 0, v5, s1
	scratch_store_b128 off, v[2:5], off offset:504 ; 16-byte Folded Spill
.LBB44_104:                             ;   in Loop: Header=BB44_45 Depth=1
	;; [unrolled: 20-line block ×4, first 2 shown]
	s_wait_xcnt 0x0
	s_or_b32 exec_lo, exec_lo, s21
	s_clause 0x1
	scratch_load_b64 v[2:3], off, off offset:40
	scratch_load_b64 v[4:5], off, off offset:832 th:TH_LOAD_LU
	s_wait_loadcnt 0x0
	v_mov_b32_e32 v2, v4
	scratch_store_b64 off, v[4:5], off offset:832 ; 8-byte Folded Spill
	v_add_nc_u64_e32 v[2:3], v[20:21], v[2:3]
	global_load_b128 v[2:5], v[2:3], off
	s_wait_loadcnt 0x0
	scratch_store_b128 off, v[2:5], off offset:552 ; 16-byte Folded Spill
	s_wait_xcnt 0x0
	s_and_saveexec_b32 s21, vcc_lo
	s_cbranch_execz .LBB44_110
; %bb.109:                              ;   in Loop: Header=BB44_45 Depth=1
	scratch_load_b128 v[2:5], off, off offset:552 th:TH_LOAD_LU ; 16-byte Folded Reload
	v_cmp_gt_i32_e64 s0, s31, v1
	v_cmp_gt_i32_e64 s1, s18, v127
	s_wait_loadcnt 0x0
	s_delay_alu instid0(VALU_DEP_1) | instskip(SKIP_2) | instid1(VALU_DEP_1)
	v_dual_cndmask_b32 v3, 0, v3, s1 :: v_dual_cndmask_b32 v2, 0, v2, s0
	v_cmp_gt_i32_e64 s0, s31, v126
	v_cmp_gt_i32_e64 s1, s18, v0
	v_dual_cndmask_b32 v4, 0, v4, s0 :: v_dual_cndmask_b32 v5, 0, v5, s1
	scratch_store_b128 off, v[2:5], off offset:552 ; 16-byte Folded Spill
.LBB44_110:                             ;   in Loop: Header=BB44_45 Depth=1
	s_wait_xcnt 0x0
	s_or_b32 exec_lo, exec_lo, s21
	global_load_b128 v[2:5], v[18:19], off offset:16384
	s_wait_loadcnt 0x0
	scratch_store_b128 off, v[2:5], off offset:568 ; 16-byte Folded Spill
	s_wait_xcnt 0x0
	s_and_saveexec_b32 s21, vcc_lo
	s_cbranch_execz .LBB44_112
; %bb.111:                              ;   in Loop: Header=BB44_45 Depth=1
	scratch_load_b128 v[2:5], off, off offset:568 th:TH_LOAD_LU ; 16-byte Folded Reload
	v_cmp_gt_i32_e64 s0, s31, v1
	v_cmp_gt_i32_e64 s1, s18, v127
	s_wait_loadcnt 0x0
	s_delay_alu instid0(VALU_DEP_1) | instskip(SKIP_2) | instid1(VALU_DEP_1)
	v_dual_cndmask_b32 v3, 0, v3, s1 :: v_dual_cndmask_b32 v2, 0, v2, s0
	v_cmp_gt_i32_e64 s0, s31, v126
	v_cmp_gt_i32_e64 s1, s18, v0
	v_dual_cndmask_b32 v4, 0, v4, s0 :: v_dual_cndmask_b32 v5, 0, v5, s1
	scratch_store_b128 off, v[2:5], off offset:568 ; 16-byte Folded Spill
.LBB44_112:                             ;   in Loop: Header=BB44_45 Depth=1
	s_wait_xcnt 0x0
	s_or_b32 exec_lo, exec_lo, s21
	global_load_b128 v[2:5], v[18:19], off offset:16896
	;; [unrolled: 20-line block ×3, first 2 shown]
	s_wait_loadcnt 0x0
	scratch_store_b128 off, v[2:5], off offset:600 ; 16-byte Folded Spill
	s_wait_xcnt 0x0
	s_and_saveexec_b32 s21, vcc_lo
	s_cbranch_execnz .LBB44_147
; %bb.115:                              ;   in Loop: Header=BB44_45 Depth=1
	s_or_b32 exec_lo, exec_lo, s21
	global_load_b128 v[26:29], v[18:19], off offset:17920
	s_wait_xcnt 0x0
	s_and_saveexec_b32 s21, vcc_lo
	s_cbranch_execnz .LBB44_148
.LBB44_116:                             ;   in Loop: Header=BB44_45 Depth=1
	s_or_b32 exec_lo, exec_lo, s21
	global_load_b128 v[30:33], v[18:19], off offset:18432
	s_wait_xcnt 0x0
	s_and_saveexec_b32 s21, vcc_lo
	s_cbranch_execnz .LBB44_149
.LBB44_117:                             ;   in Loop: Header=BB44_45 Depth=1
	s_or_b32 exec_lo, exec_lo, s21
	global_load_b128 v[34:37], v[18:19], off offset:18944
	s_wait_xcnt 0x0
	s_and_saveexec_b32 s21, vcc_lo
	s_cbranch_execnz .LBB44_150
.LBB44_118:                             ;   in Loop: Header=BB44_45 Depth=1
	s_or_b32 exec_lo, exec_lo, s21
	global_load_b128 v[38:41], v[18:19], off offset:19456
	s_wait_xcnt 0x0
	s_and_saveexec_b32 s21, vcc_lo
	s_cbranch_execnz .LBB44_151
.LBB44_119:                             ;   in Loop: Header=BB44_45 Depth=1
	s_or_b32 exec_lo, exec_lo, s21
	global_load_b128 v[42:45], v[18:19], off offset:19968
	s_wait_xcnt 0x0
	s_and_saveexec_b32 s21, vcc_lo
	s_cbranch_execnz .LBB44_152
.LBB44_120:                             ;   in Loop: Header=BB44_45 Depth=1
	s_or_b32 exec_lo, exec_lo, s21
	global_load_b128 v[46:49], v[18:19], off offset:20480
	s_wait_xcnt 0x0
	s_and_saveexec_b32 s21, vcc_lo
	s_cbranch_execnz .LBB44_153
.LBB44_121:                             ;   in Loop: Header=BB44_45 Depth=1
	s_or_b32 exec_lo, exec_lo, s21
	global_load_b128 v[50:53], v[18:19], off offset:20992
	s_wait_xcnt 0x0
	s_and_saveexec_b32 s21, vcc_lo
	s_cbranch_execnz .LBB44_154
.LBB44_122:                             ;   in Loop: Header=BB44_45 Depth=1
	s_or_b32 exec_lo, exec_lo, s21
	global_load_b128 v[54:57], v[18:19], off offset:21504
	s_wait_xcnt 0x0
	s_and_saveexec_b32 s21, vcc_lo
	s_cbranch_execnz .LBB44_155
.LBB44_123:                             ;   in Loop: Header=BB44_45 Depth=1
	s_or_b32 exec_lo, exec_lo, s21
	global_load_b128 v[58:61], v[18:19], off offset:22016
	s_wait_xcnt 0x0
	s_and_saveexec_b32 s21, vcc_lo
	s_cbranch_execnz .LBB44_156
.LBB44_124:                             ;   in Loop: Header=BB44_45 Depth=1
	s_or_b32 exec_lo, exec_lo, s21
	global_load_b128 v[62:65], v[18:19], off offset:22528
	s_wait_xcnt 0x0
	s_and_saveexec_b32 s21, vcc_lo
	s_cbranch_execnz .LBB44_157
.LBB44_125:                             ;   in Loop: Header=BB44_45 Depth=1
	s_or_b32 exec_lo, exec_lo, s21
	global_load_b128 v[66:69], v[18:19], off offset:23040
	s_wait_xcnt 0x0
	s_and_saveexec_b32 s21, vcc_lo
	s_cbranch_execnz .LBB44_158
.LBB44_126:                             ;   in Loop: Header=BB44_45 Depth=1
	s_or_b32 exec_lo, exec_lo, s21
	global_load_b128 v[70:73], v[18:19], off offset:23552
	s_wait_xcnt 0x0
	s_and_saveexec_b32 s21, vcc_lo
	s_cbranch_execnz .LBB44_159
.LBB44_127:                             ;   in Loop: Header=BB44_45 Depth=1
	s_or_b32 exec_lo, exec_lo, s21
	global_load_b128 v[74:77], v[18:19], off offset:24064
	s_wait_xcnt 0x0
	s_and_saveexec_b32 s21, vcc_lo
	s_cbranch_execnz .LBB44_160
.LBB44_128:                             ;   in Loop: Header=BB44_45 Depth=1
	s_or_b32 exec_lo, exec_lo, s21
	global_load_b128 v[78:81], v[18:19], off offset:24576
	s_wait_xcnt 0x0
	s_and_saveexec_b32 s21, vcc_lo
	s_cbranch_execnz .LBB44_161
.LBB44_129:                             ;   in Loop: Header=BB44_45 Depth=1
	s_or_b32 exec_lo, exec_lo, s21
	global_load_b128 v[82:85], v[18:19], off offset:25088
	s_wait_xcnt 0x0
	s_and_saveexec_b32 s21, vcc_lo
	s_cbranch_execnz .LBB44_162
.LBB44_130:                             ;   in Loop: Header=BB44_45 Depth=1
	s_or_b32 exec_lo, exec_lo, s21
	global_load_b128 v[86:89], v[18:19], off offset:25600
	s_wait_xcnt 0x0
	s_and_saveexec_b32 s21, vcc_lo
	s_cbranch_execnz .LBB44_163
.LBB44_131:                             ;   in Loop: Header=BB44_45 Depth=1
	s_or_b32 exec_lo, exec_lo, s21
	global_load_b128 v[94:97], v[18:19], off offset:26112
	s_wait_xcnt 0x0
	s_and_saveexec_b32 s21, vcc_lo
	s_cbranch_execnz .LBB44_164
.LBB44_132:                             ;   in Loop: Header=BB44_45 Depth=1
	s_or_b32 exec_lo, exec_lo, s21
	global_load_b128 v[98:101], v[18:19], off offset:26624
	s_wait_xcnt 0x0
	s_and_saveexec_b32 s21, vcc_lo
	s_cbranch_execnz .LBB44_165
.LBB44_133:                             ;   in Loop: Header=BB44_45 Depth=1
	s_or_b32 exec_lo, exec_lo, s21
	global_load_b128 v[102:105], v[18:19], off offset:27136
	s_wait_xcnt 0x0
	s_and_saveexec_b32 s21, vcc_lo
	s_cbranch_execnz .LBB44_166
.LBB44_134:                             ;   in Loop: Header=BB44_45 Depth=1
	s_or_b32 exec_lo, exec_lo, s21
	global_load_b128 v[106:109], v[18:19], off offset:27648
	s_wait_xcnt 0x0
	s_and_saveexec_b32 s21, vcc_lo
	s_cbranch_execnz .LBB44_167
.LBB44_135:                             ;   in Loop: Header=BB44_45 Depth=1
	s_or_b32 exec_lo, exec_lo, s21
	global_load_b128 v[110:113], v[18:19], off offset:28160
	s_wait_xcnt 0x0
	s_and_saveexec_b32 s21, vcc_lo
	s_cbranch_execnz .LBB44_168
.LBB44_136:                             ;   in Loop: Header=BB44_45 Depth=1
	s_or_b32 exec_lo, exec_lo, s21
	global_load_b128 v[114:117], v[18:19], off offset:28672
	s_wait_xcnt 0x0
	s_and_saveexec_b32 s21, vcc_lo
	s_cbranch_execnz .LBB44_169
.LBB44_137:                             ;   in Loop: Header=BB44_45 Depth=1
	s_or_b32 exec_lo, exec_lo, s21
	global_load_b128 v[118:121], v[18:19], off offset:29184
	s_wait_xcnt 0x0
	s_and_saveexec_b32 s21, vcc_lo
	s_cbranch_execnz .LBB44_170
.LBB44_138:                             ;   in Loop: Header=BB44_45 Depth=1
	s_or_b32 exec_lo, exec_lo, s21
	global_load_b128 v[122:125], v[18:19], off offset:29696
	s_wait_xcnt 0x0
	s_and_saveexec_b32 s21, vcc_lo
	s_cbranch_execnz .LBB44_171
.LBB44_139:                             ;   in Loop: Header=BB44_45 Depth=1
	s_or_b32 exec_lo, exec_lo, s21
	global_load_b128 v[2:5], v[18:19], off offset:30208
	s_wait_xcnt 0x0
	s_and_saveexec_b32 s21, vcc_lo
	s_cbranch_execnz .LBB44_172
.LBB44_140:                             ;   in Loop: Header=BB44_45 Depth=1
	s_or_b32 exec_lo, exec_lo, s21
	global_load_b128 v[10:13], v[18:19], off offset:30720
	s_wait_xcnt 0x0
	s_and_saveexec_b32 s21, vcc_lo
	s_cbranch_execnz .LBB44_173
.LBB44_141:                             ;   in Loop: Header=BB44_45 Depth=1
	s_or_b32 exec_lo, exec_lo, s21
	global_load_b128 v[14:17], v[18:19], off offset:31232
	s_wait_xcnt 0x0
	s_and_saveexec_b32 s21, vcc_lo
	s_cbranch_execz .LBB44_143
.LBB44_142:                             ;   in Loop: Header=BB44_45 Depth=1
	v_cmp_gt_i32_e64 s0, s31, v1
	v_cmp_gt_i32_e64 s1, s18, v127
	s_wait_loadcnt 0x0
	s_delay_alu instid0(VALU_DEP_1) | instskip(SKIP_2) | instid1(VALU_DEP_1)
	v_dual_cndmask_b32 v14, 0, v14, s0 :: v_dual_cndmask_b32 v15, 0, v15, s1
	v_cmp_gt_i32_e64 s0, s31, v126
	v_cmp_gt_i32_e64 s1, s18, v0
	v_dual_cndmask_b32 v16, 0, v16, s0 :: v_dual_cndmask_b32 v17, 0, v17, s1
.LBB44_143:                             ;   in Loop: Header=BB44_45 Depth=1
	s_or_b32 exec_lo, exec_lo, s21
	v_mov_b64_e32 v[22:23], v[20:21]
	global_load_b128 v[18:21], v[18:19], off offset:31744
	s_wait_xcnt 0x0
	s_and_saveexec_b32 s21, vcc_lo
	s_cbranch_execz .LBB44_145
; %bb.144:                              ;   in Loop: Header=BB44_45 Depth=1
	v_cmp_gt_i32_e64 s0, s31, v1
	v_cmp_gt_i32_e64 s1, s18, v127
	s_wait_loadcnt 0x0
	s_delay_alu instid0(VALU_DEP_1) | instskip(SKIP_2) | instid1(VALU_DEP_1)
	v_dual_cndmask_b32 v18, 0, v18, s0 :: v_dual_cndmask_b32 v19, 0, v19, s1
	v_cmp_gt_i32_e64 s0, s31, v126
	v_cmp_gt_i32_e64 s1, s18, v0
	v_dual_cndmask_b32 v20, 0, v20, s0 :: v_dual_cndmask_b32 v21, 0, v21, s1
.LBB44_145:                             ;   in Loop: Header=BB44_45 Depth=1
	s_or_b32 exec_lo, exec_lo, s21
	s_clause 0x1
	scratch_load_b64 v[92:93], off, off offset:40
	scratch_load_b64 v[90:91], off, off offset:840 th:TH_LOAD_LU
	s_wait_loadcnt 0x0
	v_mov_b32_e32 v92, v90
	scratch_store_b64 off, v[90:91], off offset:840 ; 8-byte Folded Spill
	s_wait_xcnt 0x0
	v_add_nc_u64_e32 v[90:91], v[22:23], v[92:93]
	global_load_b128 v[90:93], v[90:91], off
	s_wait_xcnt 0x0
	s_and_saveexec_b32 s1, vcc_lo
	s_cbranch_execz .LBB44_43
; %bb.146:                              ;   in Loop: Header=BB44_45 Depth=1
	v_cmp_gt_i32_e32 vcc_lo, s31, v1
	v_cmp_gt_i32_e64 s0, s18, v127
	s_wait_loadcnt 0x0
	s_delay_alu instid0(VALU_DEP_1) | instskip(SKIP_2) | instid1(VALU_DEP_1)
	v_dual_cndmask_b32 v90, 0, v90, vcc_lo :: v_dual_cndmask_b32 v91, 0, v91, s0
	v_cmp_gt_i32_e32 vcc_lo, s31, v126
	v_cmp_gt_i32_e64 s0, s18, v0
	v_dual_cndmask_b32 v92, 0, v92, vcc_lo :: v_dual_cndmask_b32 v93, 0, v93, s0
	s_branch .LBB44_43
.LBB44_147:                             ;   in Loop: Header=BB44_45 Depth=1
	scratch_load_b128 v[2:5], off, off offset:600 th:TH_LOAD_LU ; 16-byte Folded Reload
	v_cmp_gt_i32_e64 s0, s31, v1
	v_cmp_gt_i32_e64 s1, s18, v127
	s_wait_loadcnt 0x0
	s_delay_alu instid0(VALU_DEP_1) | instskip(SKIP_2) | instid1(VALU_DEP_1)
	v_dual_cndmask_b32 v3, 0, v3, s1 :: v_dual_cndmask_b32 v2, 0, v2, s0
	v_cmp_gt_i32_e64 s0, s31, v126
	v_cmp_gt_i32_e64 s1, s18, v0
	v_dual_cndmask_b32 v4, 0, v4, s0 :: v_dual_cndmask_b32 v5, 0, v5, s1
	scratch_store_b128 off, v[2:5], off offset:600 ; 16-byte Folded Spill
	s_wait_xcnt 0x0
	s_or_b32 exec_lo, exec_lo, s21
	global_load_b128 v[26:29], v[18:19], off offset:17920
	s_wait_xcnt 0x0
	s_and_saveexec_b32 s21, vcc_lo
	s_cbranch_execz .LBB44_116
.LBB44_148:                             ;   in Loop: Header=BB44_45 Depth=1
	v_cmp_gt_i32_e64 s0, s31, v1
	v_cmp_gt_i32_e64 s1, s18, v127
	s_wait_loadcnt 0x0
	s_delay_alu instid0(VALU_DEP_1) | instskip(SKIP_2) | instid1(VALU_DEP_1)
	v_dual_cndmask_b32 v26, 0, v26, s0 :: v_dual_cndmask_b32 v27, 0, v27, s1
	v_cmp_gt_i32_e64 s0, s31, v126
	v_cmp_gt_i32_e64 s1, s18, v0
	v_dual_cndmask_b32 v28, 0, v28, s0 :: v_dual_cndmask_b32 v29, 0, v29, s1
	s_or_b32 exec_lo, exec_lo, s21
	global_load_b128 v[30:33], v[18:19], off offset:18432
	s_wait_xcnt 0x0
	s_and_saveexec_b32 s21, vcc_lo
	s_cbranch_execz .LBB44_117
.LBB44_149:                             ;   in Loop: Header=BB44_45 Depth=1
	v_cmp_gt_i32_e64 s0, s31, v1
	v_cmp_gt_i32_e64 s1, s18, v127
	s_wait_loadcnt 0x0
	s_delay_alu instid0(VALU_DEP_1) | instskip(SKIP_2) | instid1(VALU_DEP_1)
	v_dual_cndmask_b32 v30, 0, v30, s0 :: v_dual_cndmask_b32 v31, 0, v31, s1
	v_cmp_gt_i32_e64 s0, s31, v126
	v_cmp_gt_i32_e64 s1, s18, v0
	v_dual_cndmask_b32 v32, 0, v32, s0 :: v_dual_cndmask_b32 v33, 0, v33, s1
	s_or_b32 exec_lo, exec_lo, s21
	global_load_b128 v[34:37], v[18:19], off offset:18944
	s_wait_xcnt 0x0
	s_and_saveexec_b32 s21, vcc_lo
	s_cbranch_execz .LBB44_118
.LBB44_150:                             ;   in Loop: Header=BB44_45 Depth=1
	v_cmp_gt_i32_e64 s0, s31, v1
	v_cmp_gt_i32_e64 s1, s18, v127
	s_wait_loadcnt 0x0
	s_delay_alu instid0(VALU_DEP_1) | instskip(SKIP_2) | instid1(VALU_DEP_1)
	v_dual_cndmask_b32 v34, 0, v34, s0 :: v_dual_cndmask_b32 v35, 0, v35, s1
	v_cmp_gt_i32_e64 s0, s31, v126
	v_cmp_gt_i32_e64 s1, s18, v0
	v_dual_cndmask_b32 v36, 0, v36, s0 :: v_dual_cndmask_b32 v37, 0, v37, s1
	s_or_b32 exec_lo, exec_lo, s21
	global_load_b128 v[38:41], v[18:19], off offset:19456
	s_wait_xcnt 0x0
	s_and_saveexec_b32 s21, vcc_lo
	s_cbranch_execz .LBB44_119
.LBB44_151:                             ;   in Loop: Header=BB44_45 Depth=1
	v_cmp_gt_i32_e64 s0, s31, v1
	v_cmp_gt_i32_e64 s1, s18, v127
	s_wait_loadcnt 0x0
	s_delay_alu instid0(VALU_DEP_1) | instskip(SKIP_2) | instid1(VALU_DEP_1)
	v_dual_cndmask_b32 v38, 0, v38, s0 :: v_dual_cndmask_b32 v39, 0, v39, s1
	v_cmp_gt_i32_e64 s0, s31, v126
	v_cmp_gt_i32_e64 s1, s18, v0
	v_dual_cndmask_b32 v40, 0, v40, s0 :: v_dual_cndmask_b32 v41, 0, v41, s1
	s_or_b32 exec_lo, exec_lo, s21
	global_load_b128 v[42:45], v[18:19], off offset:19968
	s_wait_xcnt 0x0
	s_and_saveexec_b32 s21, vcc_lo
	s_cbranch_execz .LBB44_120
.LBB44_152:                             ;   in Loop: Header=BB44_45 Depth=1
	v_cmp_gt_i32_e64 s0, s31, v1
	v_cmp_gt_i32_e64 s1, s18, v127
	s_wait_loadcnt 0x0
	s_delay_alu instid0(VALU_DEP_1) | instskip(SKIP_2) | instid1(VALU_DEP_1)
	v_dual_cndmask_b32 v42, 0, v42, s0 :: v_dual_cndmask_b32 v43, 0, v43, s1
	v_cmp_gt_i32_e64 s0, s31, v126
	v_cmp_gt_i32_e64 s1, s18, v0
	v_dual_cndmask_b32 v44, 0, v44, s0 :: v_dual_cndmask_b32 v45, 0, v45, s1
	s_or_b32 exec_lo, exec_lo, s21
	global_load_b128 v[46:49], v[18:19], off offset:20480
	s_wait_xcnt 0x0
	s_and_saveexec_b32 s21, vcc_lo
	s_cbranch_execz .LBB44_121
.LBB44_153:                             ;   in Loop: Header=BB44_45 Depth=1
	v_cmp_gt_i32_e64 s0, s31, v1
	v_cmp_gt_i32_e64 s1, s18, v127
	s_wait_loadcnt 0x0
	s_delay_alu instid0(VALU_DEP_1) | instskip(SKIP_2) | instid1(VALU_DEP_1)
	v_dual_cndmask_b32 v46, 0, v46, s0 :: v_dual_cndmask_b32 v47, 0, v47, s1
	v_cmp_gt_i32_e64 s0, s31, v126
	v_cmp_gt_i32_e64 s1, s18, v0
	v_dual_cndmask_b32 v48, 0, v48, s0 :: v_dual_cndmask_b32 v49, 0, v49, s1
	s_or_b32 exec_lo, exec_lo, s21
	global_load_b128 v[50:53], v[18:19], off offset:20992
	s_wait_xcnt 0x0
	s_and_saveexec_b32 s21, vcc_lo
	s_cbranch_execz .LBB44_122
.LBB44_154:                             ;   in Loop: Header=BB44_45 Depth=1
	v_cmp_gt_i32_e64 s0, s31, v1
	v_cmp_gt_i32_e64 s1, s18, v127
	s_wait_loadcnt 0x0
	s_delay_alu instid0(VALU_DEP_1) | instskip(SKIP_2) | instid1(VALU_DEP_1)
	v_dual_cndmask_b32 v50, 0, v50, s0 :: v_dual_cndmask_b32 v51, 0, v51, s1
	v_cmp_gt_i32_e64 s0, s31, v126
	v_cmp_gt_i32_e64 s1, s18, v0
	v_dual_cndmask_b32 v52, 0, v52, s0 :: v_dual_cndmask_b32 v53, 0, v53, s1
	s_or_b32 exec_lo, exec_lo, s21
	global_load_b128 v[54:57], v[18:19], off offset:21504
	s_wait_xcnt 0x0
	s_and_saveexec_b32 s21, vcc_lo
	s_cbranch_execz .LBB44_123
.LBB44_155:                             ;   in Loop: Header=BB44_45 Depth=1
	v_cmp_gt_i32_e64 s0, s31, v1
	v_cmp_gt_i32_e64 s1, s18, v127
	s_wait_loadcnt 0x0
	s_delay_alu instid0(VALU_DEP_1) | instskip(SKIP_2) | instid1(VALU_DEP_1)
	v_dual_cndmask_b32 v54, 0, v54, s0 :: v_dual_cndmask_b32 v55, 0, v55, s1
	v_cmp_gt_i32_e64 s0, s31, v126
	v_cmp_gt_i32_e64 s1, s18, v0
	v_dual_cndmask_b32 v56, 0, v56, s0 :: v_dual_cndmask_b32 v57, 0, v57, s1
	s_or_b32 exec_lo, exec_lo, s21
	global_load_b128 v[58:61], v[18:19], off offset:22016
	s_wait_xcnt 0x0
	s_and_saveexec_b32 s21, vcc_lo
	s_cbranch_execz .LBB44_124
.LBB44_156:                             ;   in Loop: Header=BB44_45 Depth=1
	v_cmp_gt_i32_e64 s0, s31, v1
	v_cmp_gt_i32_e64 s1, s18, v127
	s_wait_loadcnt 0x0
	s_delay_alu instid0(VALU_DEP_1) | instskip(SKIP_2) | instid1(VALU_DEP_1)
	v_dual_cndmask_b32 v58, 0, v58, s0 :: v_dual_cndmask_b32 v59, 0, v59, s1
	v_cmp_gt_i32_e64 s0, s31, v126
	v_cmp_gt_i32_e64 s1, s18, v0
	v_dual_cndmask_b32 v60, 0, v60, s0 :: v_dual_cndmask_b32 v61, 0, v61, s1
	s_or_b32 exec_lo, exec_lo, s21
	global_load_b128 v[62:65], v[18:19], off offset:22528
	s_wait_xcnt 0x0
	s_and_saveexec_b32 s21, vcc_lo
	s_cbranch_execz .LBB44_125
.LBB44_157:                             ;   in Loop: Header=BB44_45 Depth=1
	v_cmp_gt_i32_e64 s0, s31, v1
	v_cmp_gt_i32_e64 s1, s18, v127
	s_wait_loadcnt 0x0
	s_delay_alu instid0(VALU_DEP_1) | instskip(SKIP_2) | instid1(VALU_DEP_1)
	v_dual_cndmask_b32 v62, 0, v62, s0 :: v_dual_cndmask_b32 v63, 0, v63, s1
	v_cmp_gt_i32_e64 s0, s31, v126
	v_cmp_gt_i32_e64 s1, s18, v0
	v_dual_cndmask_b32 v64, 0, v64, s0 :: v_dual_cndmask_b32 v65, 0, v65, s1
	s_or_b32 exec_lo, exec_lo, s21
	global_load_b128 v[66:69], v[18:19], off offset:23040
	s_wait_xcnt 0x0
	s_and_saveexec_b32 s21, vcc_lo
	s_cbranch_execz .LBB44_126
.LBB44_158:                             ;   in Loop: Header=BB44_45 Depth=1
	v_cmp_gt_i32_e64 s0, s31, v1
	v_cmp_gt_i32_e64 s1, s18, v127
	s_wait_loadcnt 0x0
	s_delay_alu instid0(VALU_DEP_1) | instskip(SKIP_2) | instid1(VALU_DEP_1)
	v_dual_cndmask_b32 v66, 0, v66, s0 :: v_dual_cndmask_b32 v67, 0, v67, s1
	v_cmp_gt_i32_e64 s0, s31, v126
	v_cmp_gt_i32_e64 s1, s18, v0
	v_dual_cndmask_b32 v68, 0, v68, s0 :: v_dual_cndmask_b32 v69, 0, v69, s1
	s_or_b32 exec_lo, exec_lo, s21
	global_load_b128 v[70:73], v[18:19], off offset:23552
	s_wait_xcnt 0x0
	s_and_saveexec_b32 s21, vcc_lo
	s_cbranch_execz .LBB44_127
.LBB44_159:                             ;   in Loop: Header=BB44_45 Depth=1
	v_cmp_gt_i32_e64 s0, s31, v1
	v_cmp_gt_i32_e64 s1, s18, v127
	s_wait_loadcnt 0x0
	s_delay_alu instid0(VALU_DEP_1) | instskip(SKIP_2) | instid1(VALU_DEP_1)
	v_dual_cndmask_b32 v70, 0, v70, s0 :: v_dual_cndmask_b32 v71, 0, v71, s1
	v_cmp_gt_i32_e64 s0, s31, v126
	v_cmp_gt_i32_e64 s1, s18, v0
	v_dual_cndmask_b32 v72, 0, v72, s0 :: v_dual_cndmask_b32 v73, 0, v73, s1
	s_or_b32 exec_lo, exec_lo, s21
	global_load_b128 v[74:77], v[18:19], off offset:24064
	s_wait_xcnt 0x0
	s_and_saveexec_b32 s21, vcc_lo
	s_cbranch_execz .LBB44_128
.LBB44_160:                             ;   in Loop: Header=BB44_45 Depth=1
	v_cmp_gt_i32_e64 s0, s31, v1
	v_cmp_gt_i32_e64 s1, s18, v127
	s_wait_loadcnt 0x0
	s_delay_alu instid0(VALU_DEP_1) | instskip(SKIP_2) | instid1(VALU_DEP_1)
	v_dual_cndmask_b32 v74, 0, v74, s0 :: v_dual_cndmask_b32 v75, 0, v75, s1
	v_cmp_gt_i32_e64 s0, s31, v126
	v_cmp_gt_i32_e64 s1, s18, v0
	v_dual_cndmask_b32 v76, 0, v76, s0 :: v_dual_cndmask_b32 v77, 0, v77, s1
	s_or_b32 exec_lo, exec_lo, s21
	global_load_b128 v[78:81], v[18:19], off offset:24576
	s_wait_xcnt 0x0
	s_and_saveexec_b32 s21, vcc_lo
	s_cbranch_execz .LBB44_129
.LBB44_161:                             ;   in Loop: Header=BB44_45 Depth=1
	v_cmp_gt_i32_e64 s0, s31, v1
	v_cmp_gt_i32_e64 s1, s18, v127
	s_wait_loadcnt 0x0
	s_delay_alu instid0(VALU_DEP_1) | instskip(SKIP_2) | instid1(VALU_DEP_1)
	v_dual_cndmask_b32 v78, 0, v78, s0 :: v_dual_cndmask_b32 v79, 0, v79, s1
	v_cmp_gt_i32_e64 s0, s31, v126
	v_cmp_gt_i32_e64 s1, s18, v0
	v_dual_cndmask_b32 v80, 0, v80, s0 :: v_dual_cndmask_b32 v81, 0, v81, s1
	s_or_b32 exec_lo, exec_lo, s21
	global_load_b128 v[82:85], v[18:19], off offset:25088
	s_wait_xcnt 0x0
	s_and_saveexec_b32 s21, vcc_lo
	s_cbranch_execz .LBB44_130
.LBB44_162:                             ;   in Loop: Header=BB44_45 Depth=1
	v_cmp_gt_i32_e64 s0, s31, v1
	v_cmp_gt_i32_e64 s1, s18, v127
	s_wait_loadcnt 0x0
	s_delay_alu instid0(VALU_DEP_1) | instskip(SKIP_2) | instid1(VALU_DEP_1)
	v_dual_cndmask_b32 v82, 0, v82, s0 :: v_dual_cndmask_b32 v83, 0, v83, s1
	v_cmp_gt_i32_e64 s0, s31, v126
	v_cmp_gt_i32_e64 s1, s18, v0
	v_dual_cndmask_b32 v84, 0, v84, s0 :: v_dual_cndmask_b32 v85, 0, v85, s1
	s_or_b32 exec_lo, exec_lo, s21
	global_load_b128 v[86:89], v[18:19], off offset:25600
	s_wait_xcnt 0x0
	s_and_saveexec_b32 s21, vcc_lo
	s_cbranch_execz .LBB44_131
.LBB44_163:                             ;   in Loop: Header=BB44_45 Depth=1
	v_cmp_gt_i32_e64 s0, s31, v1
	v_cmp_gt_i32_e64 s1, s18, v127
	s_wait_loadcnt 0x0
	s_delay_alu instid0(VALU_DEP_1) | instskip(SKIP_2) | instid1(VALU_DEP_1)
	v_dual_cndmask_b32 v86, 0, v86, s0 :: v_dual_cndmask_b32 v87, 0, v87, s1
	v_cmp_gt_i32_e64 s0, s31, v126
	v_cmp_gt_i32_e64 s1, s18, v0
	v_dual_cndmask_b32 v88, 0, v88, s0 :: v_dual_cndmask_b32 v89, 0, v89, s1
	s_or_b32 exec_lo, exec_lo, s21
	global_load_b128 v[94:97], v[18:19], off offset:26112
	s_wait_xcnt 0x0
	s_and_saveexec_b32 s21, vcc_lo
	s_cbranch_execz .LBB44_132
.LBB44_164:                             ;   in Loop: Header=BB44_45 Depth=1
	v_cmp_gt_i32_e64 s0, s31, v1
	v_cmp_gt_i32_e64 s1, s18, v127
	s_wait_loadcnt 0x0
	s_delay_alu instid0(VALU_DEP_1) | instskip(SKIP_2) | instid1(VALU_DEP_1)
	v_dual_cndmask_b32 v94, 0, v94, s0 :: v_dual_cndmask_b32 v95, 0, v95, s1
	v_cmp_gt_i32_e64 s0, s31, v126
	v_cmp_gt_i32_e64 s1, s18, v0
	v_dual_cndmask_b32 v96, 0, v96, s0 :: v_dual_cndmask_b32 v97, 0, v97, s1
	s_or_b32 exec_lo, exec_lo, s21
	global_load_b128 v[98:101], v[18:19], off offset:26624
	s_wait_xcnt 0x0
	s_and_saveexec_b32 s21, vcc_lo
	s_cbranch_execz .LBB44_133
.LBB44_165:                             ;   in Loop: Header=BB44_45 Depth=1
	v_cmp_gt_i32_e64 s0, s31, v1
	v_cmp_gt_i32_e64 s1, s18, v127
	s_wait_loadcnt 0x0
	s_delay_alu instid0(VALU_DEP_1) | instskip(SKIP_2) | instid1(VALU_DEP_1)
	v_dual_cndmask_b32 v98, 0, v98, s0 :: v_dual_cndmask_b32 v99, 0, v99, s1
	v_cmp_gt_i32_e64 s0, s31, v126
	v_cmp_gt_i32_e64 s1, s18, v0
	v_dual_cndmask_b32 v100, 0, v100, s0 :: v_dual_cndmask_b32 v101, 0, v101, s1
	s_or_b32 exec_lo, exec_lo, s21
	global_load_b128 v[102:105], v[18:19], off offset:27136
	s_wait_xcnt 0x0
	s_and_saveexec_b32 s21, vcc_lo
	s_cbranch_execz .LBB44_134
.LBB44_166:                             ;   in Loop: Header=BB44_45 Depth=1
	v_cmp_gt_i32_e64 s0, s31, v1
	v_cmp_gt_i32_e64 s1, s18, v127
	s_wait_loadcnt 0x0
	s_delay_alu instid0(VALU_DEP_1) | instskip(SKIP_2) | instid1(VALU_DEP_1)
	v_dual_cndmask_b32 v102, 0, v102, s0 :: v_dual_cndmask_b32 v103, 0, v103, s1
	v_cmp_gt_i32_e64 s0, s31, v126
	v_cmp_gt_i32_e64 s1, s18, v0
	v_dual_cndmask_b32 v104, 0, v104, s0 :: v_dual_cndmask_b32 v105, 0, v105, s1
	s_or_b32 exec_lo, exec_lo, s21
	global_load_b128 v[106:109], v[18:19], off offset:27648
	s_wait_xcnt 0x0
	s_and_saveexec_b32 s21, vcc_lo
	s_cbranch_execz .LBB44_135
.LBB44_167:                             ;   in Loop: Header=BB44_45 Depth=1
	v_cmp_gt_i32_e64 s0, s31, v1
	v_cmp_gt_i32_e64 s1, s18, v127
	s_wait_loadcnt 0x0
	s_delay_alu instid0(VALU_DEP_1) | instskip(SKIP_2) | instid1(VALU_DEP_1)
	v_dual_cndmask_b32 v106, 0, v106, s0 :: v_dual_cndmask_b32 v107, 0, v107, s1
	v_cmp_gt_i32_e64 s0, s31, v126
	v_cmp_gt_i32_e64 s1, s18, v0
	v_dual_cndmask_b32 v108, 0, v108, s0 :: v_dual_cndmask_b32 v109, 0, v109, s1
	s_or_b32 exec_lo, exec_lo, s21
	global_load_b128 v[110:113], v[18:19], off offset:28160
	s_wait_xcnt 0x0
	s_and_saveexec_b32 s21, vcc_lo
	s_cbranch_execz .LBB44_136
.LBB44_168:                             ;   in Loop: Header=BB44_45 Depth=1
	v_cmp_gt_i32_e64 s0, s31, v1
	v_cmp_gt_i32_e64 s1, s18, v127
	s_wait_loadcnt 0x0
	s_delay_alu instid0(VALU_DEP_1) | instskip(SKIP_2) | instid1(VALU_DEP_1)
	v_dual_cndmask_b32 v110, 0, v110, s0 :: v_dual_cndmask_b32 v111, 0, v111, s1
	v_cmp_gt_i32_e64 s0, s31, v126
	v_cmp_gt_i32_e64 s1, s18, v0
	v_dual_cndmask_b32 v112, 0, v112, s0 :: v_dual_cndmask_b32 v113, 0, v113, s1
	s_or_b32 exec_lo, exec_lo, s21
	global_load_b128 v[114:117], v[18:19], off offset:28672
	s_wait_xcnt 0x0
	s_and_saveexec_b32 s21, vcc_lo
	s_cbranch_execz .LBB44_137
.LBB44_169:                             ;   in Loop: Header=BB44_45 Depth=1
	v_cmp_gt_i32_e64 s0, s31, v1
	v_cmp_gt_i32_e64 s1, s18, v127
	s_wait_loadcnt 0x0
	s_delay_alu instid0(VALU_DEP_1) | instskip(SKIP_2) | instid1(VALU_DEP_1)
	v_dual_cndmask_b32 v114, 0, v114, s0 :: v_dual_cndmask_b32 v115, 0, v115, s1
	v_cmp_gt_i32_e64 s0, s31, v126
	v_cmp_gt_i32_e64 s1, s18, v0
	v_dual_cndmask_b32 v116, 0, v116, s0 :: v_dual_cndmask_b32 v117, 0, v117, s1
	s_or_b32 exec_lo, exec_lo, s21
	global_load_b128 v[118:121], v[18:19], off offset:29184
	s_wait_xcnt 0x0
	s_and_saveexec_b32 s21, vcc_lo
	s_cbranch_execz .LBB44_138
.LBB44_170:                             ;   in Loop: Header=BB44_45 Depth=1
	v_cmp_gt_i32_e64 s0, s31, v1
	v_cmp_gt_i32_e64 s1, s18, v127
	s_wait_loadcnt 0x0
	s_delay_alu instid0(VALU_DEP_1) | instskip(SKIP_2) | instid1(VALU_DEP_1)
	v_dual_cndmask_b32 v118, 0, v118, s0 :: v_dual_cndmask_b32 v119, 0, v119, s1
	v_cmp_gt_i32_e64 s0, s31, v126
	v_cmp_gt_i32_e64 s1, s18, v0
	v_dual_cndmask_b32 v120, 0, v120, s0 :: v_dual_cndmask_b32 v121, 0, v121, s1
	s_or_b32 exec_lo, exec_lo, s21
	global_load_b128 v[122:125], v[18:19], off offset:29696
	s_wait_xcnt 0x0
	s_and_saveexec_b32 s21, vcc_lo
	s_cbranch_execz .LBB44_139
.LBB44_171:                             ;   in Loop: Header=BB44_45 Depth=1
	v_cmp_gt_i32_e64 s0, s31, v1
	v_cmp_gt_i32_e64 s1, s18, v127
	s_wait_loadcnt 0x0
	s_delay_alu instid0(VALU_DEP_1) | instskip(SKIP_2) | instid1(VALU_DEP_1)
	v_dual_cndmask_b32 v122, 0, v122, s0 :: v_dual_cndmask_b32 v123, 0, v123, s1
	v_cmp_gt_i32_e64 s0, s31, v126
	v_cmp_gt_i32_e64 s1, s18, v0
	v_dual_cndmask_b32 v124, 0, v124, s0 :: v_dual_cndmask_b32 v125, 0, v125, s1
	s_or_b32 exec_lo, exec_lo, s21
	global_load_b128 v[2:5], v[18:19], off offset:30208
	s_wait_xcnt 0x0
	s_and_saveexec_b32 s21, vcc_lo
	s_cbranch_execz .LBB44_140
.LBB44_172:                             ;   in Loop: Header=BB44_45 Depth=1
	v_cmp_gt_i32_e64 s0, s31, v1
	v_cmp_gt_i32_e64 s1, s18, v127
	s_wait_loadcnt 0x0
	s_delay_alu instid0(VALU_DEP_1) | instskip(SKIP_2) | instid1(VALU_DEP_1)
	v_dual_cndmask_b32 v2, 0, v2, s0 :: v_dual_cndmask_b32 v3, 0, v3, s1
	v_cmp_gt_i32_e64 s0, s31, v126
	v_cmp_gt_i32_e64 s1, s18, v0
	v_dual_cndmask_b32 v4, 0, v4, s0 :: v_dual_cndmask_b32 v5, 0, v5, s1
	s_or_b32 exec_lo, exec_lo, s21
	global_load_b128 v[10:13], v[18:19], off offset:30720
	s_wait_xcnt 0x0
	s_and_saveexec_b32 s21, vcc_lo
	s_cbranch_execz .LBB44_141
.LBB44_173:                             ;   in Loop: Header=BB44_45 Depth=1
	v_cmp_gt_i32_e64 s0, s31, v1
	v_cmp_gt_i32_e64 s1, s18, v127
	s_wait_loadcnt 0x0
	s_delay_alu instid0(VALU_DEP_1) | instskip(SKIP_2) | instid1(VALU_DEP_1)
	v_dual_cndmask_b32 v10, 0, v10, s0 :: v_dual_cndmask_b32 v11, 0, v11, s1
	v_cmp_gt_i32_e64 s0, s31, v126
	v_cmp_gt_i32_e64 s1, s18, v0
	v_dual_cndmask_b32 v12, 0, v12, s0 :: v_dual_cndmask_b32 v13, 0, v13, s1
	s_or_b32 exec_lo, exec_lo, s21
	global_load_b128 v[14:17], v[18:19], off offset:31232
	s_wait_xcnt 0x0
	s_and_saveexec_b32 s21, vcc_lo
	s_cbranch_execnz .LBB44_142
	s_branch .LBB44_143
.LBB44_174:
	s_or_b32 exec_lo, exec_lo, s19
	scratch_load_b64 v[4:5], off, off offset:816 ; 8-byte Folded Reload
.LBB44_175:
	s_wait_xcnt 0x0
	s_or_b32 exec_lo, exec_lo, s26
	s_clause 0xd
	scratch_load_b32 v81, off, off offset:912 th:TH_LOAD_LU
	scratch_load_b32 v85, off, off offset:916 th:TH_LOAD_LU
	;; [unrolled: 1-line block ×3, first 2 shown]
	scratch_load_b64 v[30:31], off, off offset:808 th:TH_LOAD_LU
	scratch_load_b64 v[36:37], off, off offset:768 th:TH_LOAD_LU
	;; [unrolled: 1-line block ×11, first 2 shown]
	s_wait_loadcnt 0xe
	v_mov_b64_e32 v[32:33], v[4:5]
	v_mov_b64_e32 v[60:61], v[16:17]
	;; [unrolled: 1-line block ×5, first 2 shown]
	s_clause 0xa
	scratch_load_b64 v[64:65], off, off offset:704 th:TH_LOAD_LU
	scratch_load_b64 v[68:69], off, off offset:688 th:TH_LOAD_LU
	;; [unrolled: 1-line block ×11, first 2 shown]
	s_mov_b32 s1, exec_lo
	s_wait_loadcnt 0x18
	ds_bpermute_b32 v2, v81, v20
	ds_bpermute_b32 v3, v81, v21
	;; [unrolled: 1-line block ×6, first 2 shown]
	s_wait_loadcnt 0x15
	ds_bpermute_b32 v6, v81, v30
	ds_bpermute_b32 v7, v81, v31
	s_wait_loadcnt 0x14
	ds_bpermute_b32 v16, v81, v36
	s_wait_loadcnt 0xf
	ds_bpermute_b32 v10, v81, v26
	ds_bpermute_b32 v11, v81, v27
	s_wait_loadcnt 0xe
	ds_bpermute_b32 v12, v81, v24
	ds_bpermute_b32 v13, v81, v25
	;; [unrolled: 1-line block ×5, first 2 shown]
	s_wait_loadcnt 0xd
	ds_bpermute_b32 v14, v81, v38
	ds_bpermute_b32 v15, v81, v39
	;; [unrolled: 1-line block ×4, first 2 shown]
	s_wait_loadcnt 0xc
	ds_bpermute_b32 v40, v81, v50
	s_wait_dscnt 0x13
	v_pk_add_f32 v[2:3], v[20:21], v[2:3]
	ds_bpermute_b32 v41, v81, v51
	s_wait_dscnt 0x12
	v_pk_add_f32 v[0:1], v[34:35], v[0:1]
	;; [unrolled: 3-line block ×3, first 2 shown]
	ds_bpermute_b32 v22, v85, v2
	ds_bpermute_b32 v23, v85, v3
	s_wait_dscnt 0x11
	v_pk_add_f32 v[6:7], v[30:31], v[6:7]
	ds_bpermute_b32 v21, v81, v45
	s_wait_dscnt 0xf
	v_pk_add_f32 v[10:11], v[26:27], v[10:11]
	;; [unrolled: 3-line block ×3, first 2 shown]
	ds_bpermute_b32 v24, v85, v0
	ds_bpermute_b32 v25, v85, v1
	;; [unrolled: 1-line block ×3, first 2 shown]
	s_wait_dscnt 0x10
	v_pk_add_f32 v[16:17], v[36:37], v[16:17]
	s_wait_dscnt 0xe
	v_pk_add_f32 v[8:9], v[28:29], v[8:9]
	ds_bpermute_b32 v28, v85, v6
	ds_bpermute_b32 v29, v85, v7
	;; [unrolled: 1-line block ×6, first 2 shown]
	s_wait_dscnt 0x12
	v_pk_add_f32 v[14:15], v[38:39], v[14:15]
	s_wait_dscnt 0xe
	v_pk_add_f32 v[40:41], v[50:51], v[40:41]
	ds_bpermute_b32 v30, v85, v8
	s_wait_dscnt 0xc
	v_pk_add_f32 v[2:3], v[2:3], v[22:23]
	ds_bpermute_b32 v22, v81, v56
	ds_bpermute_b32 v23, v81, v57
	;; [unrolled: 1-line block ×6, first 2 shown]
	s_wait_dscnt 0xe
	v_pk_add_f32 v[24:25], v[0:1], v[24:25]
	s_wait_dscnt 0xd
	v_pk_add_f32 v[26:27], v[4:5], v[26:27]
	ds_bpermute_b32 v35, v85, v13
	ds_bpermute_b32 v36, v85, v14
	;; [unrolled: 1-line block ×3, first 2 shown]
	s_wait_dscnt 0xe
	v_pk_add_f32 v[6:7], v[6:7], v[28:29]
	ds_bpermute_b32 v4, v109, v24
	s_wait_dscnt 0xd
	v_pk_add_f32 v[28:29], v[10:11], v[32:33]
	ds_bpermute_b32 v5, v109, v25
	ds_bpermute_b32 v10, v109, v26
	;; [unrolled: 1-line block ×3, first 2 shown]
	s_wait_dscnt 0xe
	v_pk_add_f32 v[42:43], v[16:17], v[42:43]
	v_pk_add_f32 v[16:17], v[46:47], v[18:19]
	;; [unrolled: 1-line block ×3, first 2 shown]
	s_wait_loadcnt 0x4
	ds_bpermute_b32 v74, v81, v90
	s_wait_dscnt 0xc
	v_pk_add_f32 v[22:23], v[56:57], v[22:23]
	scratch_load_b64 v[56:57], off, off offset:720 th:TH_LOAD_LU ; 8-byte Folded Reload
	ds_bpermute_b32 v18, v81, v52
	ds_bpermute_b32 v19, v81, v53
	s_wait_dscnt 0xa
	v_pk_add_f32 v[0:1], v[2:3], v[38:39]
	v_pk_add_f32 v[8:9], v[8:9], v[30:31]
	ds_bpermute_b32 v48, v85, v20
	s_wait_dscnt 0xa
	v_pk_add_f32 v[30:31], v[12:13], v[34:35]
	ds_bpermute_b32 v12, v109, v6
	ds_bpermute_b32 v13, v109, v7
	s_wait_dscnt 0xa
	v_pk_add_f32 v[14:15], v[14:15], v[36:37]
	ds_bpermute_b32 v32, v109, v8
	;; [unrolled: 4-line block ×3, first 2 shown]
	s_wait_dscnt 0x9
	v_pk_add_f32 v[2:3], v[26:27], v[10:11]
	ds_bpermute_b32 v25, v85, v23
	ds_bpermute_b32 v26, v85, v40
	;; [unrolled: 1-line block ×7, first 2 shown]
	s_wait_dscnt 0xd
	v_pk_add_f32 v[18:19], v[52:53], v[18:19]
	scratch_load_b64 v[52:53], off, off offset:712 th:TH_LOAD_LU ; 8-byte Folded Reload
	ds_bpermute_b32 v35, v109, v29
	ds_bpermute_b32 v38, v109, v14
	;; [unrolled: 1-line block ×5, first 2 shown]
	s_wait_dscnt 0xf
	v_pk_add_f32 v[10:11], v[6:7], v[12:13]
	ds_bpermute_b32 v46, v109, v42
	ds_bpermute_b32 v47, v109, v43
	;; [unrolled: 1-line block ×3, first 2 shown]
	s_wait_loadcnt 0x5
	ds_bpermute_b32 v76, v81, v88
	ds_bpermute_b32 v77, v81, v89
	s_wait_dscnt 0x10
	v_pk_add_f32 v[22:23], v[22:23], v[24:25]
	s_wait_loadcnt 0x3
	ds_bpermute_b32 v78, v81, v94
	s_wait_dscnt 0xf
	v_pk_add_f32 v[24:25], v[40:41], v[26:27]
	s_wait_dscnt 0xe
	v_pk_add_f32 v[6:7], v[30:31], v[36:37]
	ds_bpermute_b32 v30, v85, v18
	ds_bpermute_b32 v31, v85, v19
	s_wait_dscnt 0xf
	v_pk_add_f32 v[12:13], v[8:9], v[32:33]
	s_wait_dscnt 0xe
	v_pk_add_f32 v[32:33], v[20:21], v[48:49]
	ds_bpermute_b32 v79, v81, v95
	s_wait_dscnt 0xd
	v_pk_add_f32 v[8:9], v[28:29], v[34:35]
	s_wait_loadcnt 0x2
	ds_bpermute_b32 v80, v81, v92
	ds_bpermute_b32 v48, v81, v68
	;; [unrolled: 1-line block ×3, first 2 shown]
	s_wait_dscnt 0xc
	v_pk_add_f32 v[28:29], v[16:17], v[44:45]
	v_pk_add_f32 v[16:17], v[14:15], v[38:39]
	ds_bpermute_b32 v35, v109, v33
	s_wait_dscnt 0xb
	v_pk_add_f32 v[14:15], v[42:43], v[46:47]
	ds_bpermute_b32 v42, v109, v22
	ds_bpermute_b32 v20, v109, v28
	;; [unrolled: 1-line block ×7, first 2 shown]
	s_wait_dscnt 0xc
	v_pk_add_f32 v[30:31], v[18:19], v[30:31]
	s_wait_dscnt 0xb
	v_pk_add_f32 v[78:79], v[94:95], v[78:79]
	;; [unrolled: 2-line block ×5, first 2 shown]
	s_wait_loadcnt 0x1
	ds_bpermute_b32 v50, v81, v56
	ds_bpermute_b32 v51, v81, v57
	s_wait_dscnt 0x0
	v_pk_add_f32 v[26:27], v[56:57], v[50:51]
	scratch_load_b64 v[56:57], off, off offset:696 th:TH_LOAD_LU ; 8-byte Folded Reload
	s_wait_loadcnt 0x1
	ds_bpermute_b32 v36, v81, v52
	ds_bpermute_b32 v37, v81, v53
	;; [unrolled: 1-line block ×8, first 2 shown]
	s_wait_dscnt 0x6
	v_pk_add_f32 v[36:37], v[52:53], v[36:37]
	ds_bpermute_b32 v52, v81, v66
	ds_bpermute_b32 v53, v81, v67
	s_wait_dscnt 0x6
	v_pk_add_f32 v[34:35], v[64:65], v[38:39]
	v_mov_b64_e32 v[64:65], v[54:55]
	s_wait_dscnt 0x4
	v_pk_add_f32 v[28:29], v[26:27], v[46:47]
	v_pk_add_f32 v[26:27], v[22:23], v[42:43]
	s_wait_dscnt 0x2
	v_pk_add_f32 v[22:23], v[30:31], v[50:51]
	ds_bpermute_b32 v32, v85, v36
	ds_bpermute_b32 v33, v85, v37
	;; [unrolled: 1-line block ×6, first 2 shown]
	v_pk_add_f32 v[46:47], v[68:69], v[48:49]
	v_mov_b64_e32 v[68:69], v[58:59]
	ds_bpermute_b32 v42, v85, v46
	ds_bpermute_b32 v43, v85, v47
	s_wait_dscnt 0x8
	v_pk_add_f32 v[50:51], v[66:67], v[52:53]
	v_mov_b64_e32 v[66:67], v[60:61]
	ds_bpermute_b32 v58, v81, v68
	ds_bpermute_b32 v59, v81, v69
	;; [unrolled: 1-line block ×4, first 2 shown]
	s_wait_dscnt 0xa
	v_pk_add_f32 v[32:33], v[36:37], v[32:33]
	ds_bpermute_b32 v48, v81, v66
	ds_bpermute_b32 v49, v81, v67
	s_wait_dscnt 0xa
	v_pk_add_f32 v[34:35], v[34:35], v[54:55]
	s_wait_dscnt 0x6
	v_pk_add_f32 v[42:43], v[46:47], v[42:43]
	;; [unrolled: 2-line block ×4, first 2 shown]
	ds_bpermute_b32 v70, v85, v58
	ds_bpermute_b32 v71, v85, v59
	;; [unrolled: 1-line block ×4, first 2 shown]
	s_wait_dscnt 0x2
	v_pk_add_f32 v[70:71], v[58:59], v[70:71]
	s_wait_dscnt 0x0
	v_pk_add_f32 v[50:51], v[46:47], v[50:51]
	scratch_load_b32 v46, off, off offset:896 th:TH_LOAD_LU ; 4-byte Folded Reload
	ds_bpermute_b32 v84, v109, v70
	s_wait_loadcnt 0x1
	ds_bpermute_b32 v40, v81, v56
	ds_bpermute_b32 v41, v81, v57
	s_wait_dscnt 0x0
	v_pk_add_f32 v[38:39], v[56:57], v[40:41]
	ds_bpermute_b32 v40, v81, v64
	ds_bpermute_b32 v41, v81, v65
	;; [unrolled: 1-line block ×4, first 2 shown]
	s_wait_dscnt 0x2
	v_pk_add_f32 v[60:61], v[64:65], v[40:41]
	v_mov_b64_e32 v[64:65], v[62:63]
	v_pk_add_f32 v[62:63], v[66:67], v[48:49]
	ds_bpermute_b32 v66, v81, v72
	s_wait_dscnt 0x1
	v_pk_add_f32 v[36:37], v[38:39], v[56:57]
	ds_bpermute_b32 v54, v85, v60
	ds_bpermute_b32 v55, v85, v61
	;; [unrolled: 1-line block ×15, first 2 shown]
	s_wait_dscnt 0xd
	v_pk_add_f32 v[52:53], v[60:61], v[54:55]
	s_wait_dscnt 0xc
	v_pk_add_f32 v[66:67], v[72:73], v[66:67]
	ds_bpermute_b32 v60, v81, v86
	s_wait_dscnt 0xb
	v_pk_add_f32 v[54:55], v[64:65], v[56:57]
	ds_bpermute_b32 v61, v81, v87
	ds_bpermute_b32 v72, v81, v98
	;; [unrolled: 1-line block ×9, first 2 shown]
	s_wait_dscnt 0xe
	v_pk_add_f32 v[68:69], v[62:63], v[68:69]
	ds_bpermute_b32 v62, v81, v96
	ds_bpermute_b32 v63, v81, v97
	;; [unrolled: 1-line block ×5, first 2 shown]
	s_wait_dscnt 0xd
	v_pk_add_f32 v[60:61], v[86:87], v[60:61]
	s_wait_dscnt 0x8
	v_pk_add_f32 v[86:87], v[54:55], v[56:57]
	v_pk_add_f32 v[54:55], v[98:99], v[72:73]
	s_wait_dscnt 0x7
	v_pk_add_f32 v[66:67], v[66:67], v[58:59]
	ds_bpermute_b32 v56, v85, v60
	v_pk_add_f32 v[72:73], v[90:91], v[74:75]
	ds_bpermute_b32 v57, v85, v61
	;; [unrolled: 2-line block ×3, first 2 shown]
	ds_bpermute_b32 v77, v85, v55
	ds_bpermute_b32 v100, v109, v66
	;; [unrolled: 1-line block ×3, first 2 shown]
	s_wait_dscnt 0x9
	v_pk_add_f32 v[62:63], v[96:97], v[62:63]
	s_wait_dscnt 0x8
	v_pk_add_f32 v[58:59], v[92:93], v[80:81]
	ds_bpermute_b32 v88, v85, v72
	ds_bpermute_b32 v89, v85, v73
	ds_bpermute_b32 v90, v85, v74
	ds_bpermute_b32 v91, v85, v75
	ds_bpermute_b32 v80, v85, v62
	ds_bpermute_b32 v81, v85, v63
	ds_bpermute_b32 v92, v85, v78
	ds_bpermute_b32 v93, v85, v79
	ds_bpermute_b32 v94, v85, v58
	ds_bpermute_b32 v95, v85, v59
	ds_bpermute_b32 v85, v109, v71
	ds_bpermute_b32 v96, v109, v86
	s_wait_dscnt 0x10
	v_pk_add_f32 v[98:99], v[60:61], v[56:57]
	v_pk_add_f32 v[60:61], v[32:33], v[38:39]
	ds_bpermute_b32 v97, v109, v87
	s_wait_dscnt 0xf
	v_pk_add_f32 v[76:77], v[54:55], v[76:77]
	v_pk_add_f32 v[54:55], v[42:43], v[48:49]
	;; [unrolled: 1-line block ×3, first 2 shown]
	s_wait_dscnt 0xd
	v_pk_add_f32 v[38:39], v[66:67], v[100:101]
	s_clause 0x2
	scratch_load_b32 v52, off, off offset:900
	scratch_load_b32 v65, off, off offset:920 th:TH_LOAD_LU
	scratch_load_b32 v66, off, off offset:908 th:TH_LOAD_LU
	s_wait_dscnt 0xb
	v_pk_add_f32 v[72:73], v[72:73], v[88:89]
	s_wait_dscnt 0x9
	v_pk_add_f32 v[74:75], v[74:75], v[90:91]
	ds_bpermute_b32 v102, v109, v98
	s_wait_dscnt 0x8
	v_pk_add_f32 v[80:81], v[62:63], v[80:81]
	ds_bpermute_b32 v103, v109, v99
	;; [unrolled: 3-line block ×4, first 2 shown]
	ds_bpermute_b32 v90, v109, v72
	ds_bpermute_b32 v91, v109, v73
	;; [unrolled: 1-line block ×10, first 2 shown]
	v_pk_add_f32 v[62:63], v[28:29], v[30:31]
	v_pk_add_f32 v[58:59], v[34:35], v[40:41]
	;; [unrolled: 1-line block ×4, first 2 shown]
	s_wait_dscnt 0x10
	v_pk_add_f32 v[42:43], v[70:71], v[84:85]
	s_wait_dscnt 0xe
	v_pk_add_f32 v[40:41], v[86:87], v[96:97]
	;; [unrolled: 2-line block ×3, first 2 shown]
	s_wait_storecnt 0x0
	s_wait_loadcnt_dscnt 0x0
	s_barrier_signal -1
	v_pk_add_f32 v[34:35], v[76:77], v[88:89]
	s_barrier_wait -1
	v_pk_add_f32 v[32:33], v[72:73], v[90:91]
	v_pk_add_f32 v[30:31], v[74:75], v[104:105]
	v_lshrrev_b32_e32 v64, 3, v46
	v_pk_add_f32 v[28:29], v[80:81], v[94:95]
	v_pk_add_f32 v[46:47], v[78:79], v[106:107]
	v_and_b32_e32 v67, 0x3c0, v52
	v_pk_add_f32 v[52:53], v[92:93], v[108:109]
	v_cmp_eq_u32_e32 vcc_lo, 0, v65
	v_lshl_add_u32 v65, v64, 2, 0x420
	v_lshlrev_b32_e32 v66, 10, v66
	v_cmpx_eq_u32_e32 64, v67
	s_cbranch_execz .LBB44_178
; %bb.176:
	s_and_b32 exec_lo, exec_lo, vcc_lo
	s_cbranch_execz .LBB44_178
; %bb.177:
	v_add_nc_u32_e32 v67, v65, v66
	s_delay_alu instid0(VALU_DEP_1)
	v_add_nc_u32_e32 v68, 0xfffff800, v67
	v_add_nc_u32_e32 v69, 0xfffff810, v67
	v_add_nc_u32_e32 v70, 0xfffff820, v67
	v_add_nc_u32_e32 v71, 0xfffff830, v67
	v_add_nc_u32_e32 v72, 0xfffff840, v67
	v_add_nc_u32_e32 v73, 0xfffff850, v67
	v_add_nc_u32_e32 v74, 0xfffff860, v67
	v_add_nc_u32_e32 v75, 0xfffff870, v67
	ds_store_b32 v68, v0
	ds_store_b32 v69, v1
	ds_store_b32 v70, v4
	ds_store_b32 v71, v5
	ds_store_b32 v72, v2
	ds_store_b32 v73, v3
	ds_store_b32 v74, v10
	ds_store_b32 v75, v11
	v_add_nc_u32_e32 v68, 0xfffff880, v67
	v_add_nc_u32_e32 v69, 0xfffff890, v67
	v_add_nc_u32_e32 v70, 0xfffff8a0, v67
	v_add_nc_u32_e32 v71, 0xfffff8b0, v67
	v_add_nc_u32_e32 v72, 0xfffff8c0, v67
	v_add_nc_u32_e32 v73, 0xfffff8d0, v67
	v_add_nc_u32_e32 v74, 0xfffff8e0, v67
	v_add_nc_u32_e32 v75, 0xfffff8f0, v67
	ds_store_b32 v68, v12
	ds_store_b32 v69, v13
	ds_store_b32 v70, v8
	ds_store_b32 v71, v9
	ds_store_b32 v72, v6
	ds_store_b32 v73, v7
	ds_store_b32 v74, v16
	ds_store_b32 v75, v17
	;; [unrolled: 16-line block ×8, first 2 shown]
.LBB44_178:
	s_or_b32 exec_lo, exec_lo, s1
	v_lshlrev_b32_e32 v64, 2, v64
	s_wait_dscnt 0x0
	s_barrier_signal -1
	s_barrier_wait -1
	s_delay_alu instid0(VALU_DEP_1)
	v_add3_u32 v64, 0x420, v66, v64
	s_and_saveexec_b32 s0, s2
	s_cbranch_execz .LBB44_245
; %bb.179:
	s_and_saveexec_b32 s1, vcc_lo
	s_cbranch_execnz .LBB44_317
; %bb.180:
	s_or_b32 exec_lo, exec_lo, s1
	s_and_saveexec_b32 s1, vcc_lo
	s_cbranch_execnz .LBB44_318
.LBB44_181:
	s_or_b32 exec_lo, exec_lo, s1
	s_and_saveexec_b32 s1, vcc_lo
	s_cbranch_execnz .LBB44_319
.LBB44_182:
	s_or_b32 exec_lo, exec_lo, s1
	s_and_saveexec_b32 s1, vcc_lo
	s_cbranch_execnz .LBB44_320
.LBB44_183:
	s_or_b32 exec_lo, exec_lo, s1
	s_and_saveexec_b32 s1, vcc_lo
	s_cbranch_execnz .LBB44_321
.LBB44_184:
	s_or_b32 exec_lo, exec_lo, s1
	s_and_saveexec_b32 s1, vcc_lo
	s_cbranch_execnz .LBB44_322
.LBB44_185:
	s_or_b32 exec_lo, exec_lo, s1
	s_and_saveexec_b32 s1, vcc_lo
	s_cbranch_execnz .LBB44_323
.LBB44_186:
	s_or_b32 exec_lo, exec_lo, s1
	s_and_saveexec_b32 s1, vcc_lo
	s_cbranch_execnz .LBB44_324
.LBB44_187:
	s_or_b32 exec_lo, exec_lo, s1
	s_and_saveexec_b32 s1, vcc_lo
	s_cbranch_execnz .LBB44_325
.LBB44_188:
	s_or_b32 exec_lo, exec_lo, s1
	s_and_saveexec_b32 s1, vcc_lo
	s_cbranch_execnz .LBB44_326
.LBB44_189:
	s_or_b32 exec_lo, exec_lo, s1
	s_and_saveexec_b32 s1, vcc_lo
	s_cbranch_execnz .LBB44_327
.LBB44_190:
	s_or_b32 exec_lo, exec_lo, s1
	s_and_saveexec_b32 s1, vcc_lo
	s_cbranch_execnz .LBB44_328
.LBB44_191:
	s_or_b32 exec_lo, exec_lo, s1
	s_and_saveexec_b32 s1, vcc_lo
	s_cbranch_execnz .LBB44_329
.LBB44_192:
	s_or_b32 exec_lo, exec_lo, s1
	s_and_saveexec_b32 s1, vcc_lo
	s_cbranch_execnz .LBB44_330
.LBB44_193:
	s_or_b32 exec_lo, exec_lo, s1
	s_and_saveexec_b32 s1, vcc_lo
	s_cbranch_execnz .LBB44_331
.LBB44_194:
	s_or_b32 exec_lo, exec_lo, s1
	s_and_saveexec_b32 s1, vcc_lo
	s_cbranch_execnz .LBB44_332
.LBB44_195:
	s_or_b32 exec_lo, exec_lo, s1
	s_and_saveexec_b32 s1, vcc_lo
	s_cbranch_execnz .LBB44_333
.LBB44_196:
	s_or_b32 exec_lo, exec_lo, s1
	s_and_saveexec_b32 s1, vcc_lo
	s_cbranch_execnz .LBB44_334
.LBB44_197:
	s_or_b32 exec_lo, exec_lo, s1
	s_and_saveexec_b32 s1, vcc_lo
	s_cbranch_execnz .LBB44_335
.LBB44_198:
	s_or_b32 exec_lo, exec_lo, s1
	s_and_saveexec_b32 s1, vcc_lo
	s_cbranch_execnz .LBB44_336
.LBB44_199:
	s_or_b32 exec_lo, exec_lo, s1
	s_and_saveexec_b32 s1, vcc_lo
	s_cbranch_execnz .LBB44_337
.LBB44_200:
	s_or_b32 exec_lo, exec_lo, s1
	s_and_saveexec_b32 s1, vcc_lo
	s_cbranch_execnz .LBB44_338
.LBB44_201:
	s_or_b32 exec_lo, exec_lo, s1
	s_and_saveexec_b32 s1, vcc_lo
	s_cbranch_execnz .LBB44_339
.LBB44_202:
	s_or_b32 exec_lo, exec_lo, s1
	s_and_saveexec_b32 s1, vcc_lo
	s_cbranch_execnz .LBB44_340
.LBB44_203:
	s_or_b32 exec_lo, exec_lo, s1
	s_and_saveexec_b32 s1, vcc_lo
	s_cbranch_execnz .LBB44_341
.LBB44_204:
	s_or_b32 exec_lo, exec_lo, s1
	s_and_saveexec_b32 s1, vcc_lo
	s_cbranch_execnz .LBB44_342
.LBB44_205:
	s_or_b32 exec_lo, exec_lo, s1
	s_and_saveexec_b32 s1, vcc_lo
	s_cbranch_execnz .LBB44_343
.LBB44_206:
	s_or_b32 exec_lo, exec_lo, s1
	s_and_saveexec_b32 s1, vcc_lo
	s_cbranch_execnz .LBB44_344
.LBB44_207:
	s_or_b32 exec_lo, exec_lo, s1
	s_and_saveexec_b32 s1, vcc_lo
	s_cbranch_execnz .LBB44_345
.LBB44_208:
	s_or_b32 exec_lo, exec_lo, s1
	s_and_saveexec_b32 s1, vcc_lo
	s_cbranch_execnz .LBB44_346
.LBB44_209:
	s_or_b32 exec_lo, exec_lo, s1
	s_and_saveexec_b32 s1, vcc_lo
	s_cbranch_execnz .LBB44_347
.LBB44_210:
	s_or_b32 exec_lo, exec_lo, s1
	s_and_saveexec_b32 s1, vcc_lo
	s_cbranch_execnz .LBB44_348
.LBB44_211:
	s_or_b32 exec_lo, exec_lo, s1
	s_and_saveexec_b32 s1, vcc_lo
	s_cbranch_execnz .LBB44_349
.LBB44_212:
	s_or_b32 exec_lo, exec_lo, s1
	s_and_saveexec_b32 s1, vcc_lo
	s_cbranch_execnz .LBB44_350
.LBB44_213:
	s_or_b32 exec_lo, exec_lo, s1
	s_and_saveexec_b32 s1, vcc_lo
	s_cbranch_execnz .LBB44_351
.LBB44_214:
	s_or_b32 exec_lo, exec_lo, s1
	s_and_saveexec_b32 s1, vcc_lo
	s_cbranch_execnz .LBB44_352
.LBB44_215:
	s_or_b32 exec_lo, exec_lo, s1
	s_and_saveexec_b32 s1, vcc_lo
	s_cbranch_execnz .LBB44_353
.LBB44_216:
	s_or_b32 exec_lo, exec_lo, s1
	s_and_saveexec_b32 s1, vcc_lo
	s_cbranch_execnz .LBB44_354
.LBB44_217:
	s_or_b32 exec_lo, exec_lo, s1
	s_and_saveexec_b32 s1, vcc_lo
	s_cbranch_execnz .LBB44_355
.LBB44_218:
	s_or_b32 exec_lo, exec_lo, s1
	s_and_saveexec_b32 s1, vcc_lo
	s_cbranch_execnz .LBB44_356
.LBB44_219:
	s_or_b32 exec_lo, exec_lo, s1
	s_and_saveexec_b32 s1, vcc_lo
	s_cbranch_execnz .LBB44_357
.LBB44_220:
	s_or_b32 exec_lo, exec_lo, s1
	s_and_saveexec_b32 s1, vcc_lo
	s_cbranch_execnz .LBB44_358
.LBB44_221:
	s_or_b32 exec_lo, exec_lo, s1
	s_and_saveexec_b32 s1, vcc_lo
	s_cbranch_execnz .LBB44_359
.LBB44_222:
	s_or_b32 exec_lo, exec_lo, s1
	s_and_saveexec_b32 s1, vcc_lo
	s_cbranch_execnz .LBB44_360
.LBB44_223:
	s_or_b32 exec_lo, exec_lo, s1
	s_and_saveexec_b32 s1, vcc_lo
	s_cbranch_execnz .LBB44_361
.LBB44_224:
	s_or_b32 exec_lo, exec_lo, s1
	s_and_saveexec_b32 s1, vcc_lo
	s_cbranch_execnz .LBB44_362
.LBB44_225:
	s_or_b32 exec_lo, exec_lo, s1
	s_and_saveexec_b32 s1, vcc_lo
	s_cbranch_execnz .LBB44_363
.LBB44_226:
	s_or_b32 exec_lo, exec_lo, s1
	s_and_saveexec_b32 s1, vcc_lo
	s_cbranch_execnz .LBB44_364
.LBB44_227:
	s_or_b32 exec_lo, exec_lo, s1
	s_and_saveexec_b32 s1, vcc_lo
	s_cbranch_execnz .LBB44_365
.LBB44_228:
	s_or_b32 exec_lo, exec_lo, s1
	s_and_saveexec_b32 s1, vcc_lo
	s_cbranch_execnz .LBB44_366
.LBB44_229:
	s_or_b32 exec_lo, exec_lo, s1
	s_and_saveexec_b32 s1, vcc_lo
	s_cbranch_execnz .LBB44_367
.LBB44_230:
	s_or_b32 exec_lo, exec_lo, s1
	s_and_saveexec_b32 s1, vcc_lo
	s_cbranch_execnz .LBB44_368
.LBB44_231:
	s_or_b32 exec_lo, exec_lo, s1
	s_and_saveexec_b32 s1, vcc_lo
	s_cbranch_execnz .LBB44_369
.LBB44_232:
	s_or_b32 exec_lo, exec_lo, s1
	s_and_saveexec_b32 s1, vcc_lo
	s_cbranch_execnz .LBB44_370
.LBB44_233:
	s_or_b32 exec_lo, exec_lo, s1
	s_and_saveexec_b32 s1, vcc_lo
	s_cbranch_execnz .LBB44_371
.LBB44_234:
	s_or_b32 exec_lo, exec_lo, s1
	s_and_saveexec_b32 s1, vcc_lo
	s_cbranch_execnz .LBB44_372
.LBB44_235:
	s_or_b32 exec_lo, exec_lo, s1
	s_and_saveexec_b32 s1, vcc_lo
	s_cbranch_execnz .LBB44_373
.LBB44_236:
	s_or_b32 exec_lo, exec_lo, s1
	s_and_saveexec_b32 s1, vcc_lo
	s_cbranch_execnz .LBB44_374
.LBB44_237:
	s_or_b32 exec_lo, exec_lo, s1
	s_and_saveexec_b32 s1, vcc_lo
	s_cbranch_execnz .LBB44_375
.LBB44_238:
	s_or_b32 exec_lo, exec_lo, s1
	s_and_saveexec_b32 s1, vcc_lo
	s_cbranch_execnz .LBB44_376
.LBB44_239:
	s_or_b32 exec_lo, exec_lo, s1
	s_and_saveexec_b32 s1, vcc_lo
	s_cbranch_execnz .LBB44_377
.LBB44_240:
	s_or_b32 exec_lo, exec_lo, s1
	s_and_saveexec_b32 s1, vcc_lo
	s_cbranch_execnz .LBB44_378
.LBB44_241:
	s_or_b32 exec_lo, exec_lo, s1
	s_and_saveexec_b32 s1, vcc_lo
	s_cbranch_execnz .LBB44_379
.LBB44_242:
	s_or_b32 exec_lo, exec_lo, s1
	s_and_saveexec_b32 s1, vcc_lo
	s_cbranch_execz .LBB44_244
.LBB44_243:
	ds_load_b32 v66, v64 offset:1008
	s_wait_dscnt 0x0
	v_add_f32_e32 v53, v53, v66
.LBB44_244:
	s_or_b32 exec_lo, exec_lo, s1
.LBB44_245:
	s_delay_alu instid0(SALU_CYCLE_1)
	s_or_b32 exec_lo, exec_lo, s0
	scratch_load_b32 v66, off, off offset:900 ; 4-byte Folded Reload
	s_mov_b32 s1, exec_lo
	s_wait_loadcnt 0x0
	s_barrier_signal -1
	s_barrier_wait -1
	v_and_b32_e32 v66, 0x3e7, v66
	s_wait_xcnt 0x0
	s_delay_alu instid0(VALU_DEP_1)
	v_cmpx_eq_u32_e32 32, v66
	s_cbranch_execz .LBB44_247
; %bb.246:
	ds_store_2addr_b32 v65, v0, v1 offset1:4
	ds_store_2addr_b32 v65, v4, v5 offset0:8 offset1:12
	ds_store_2addr_b32 v65, v2, v3 offset0:16 offset1:20
	;; [unrolled: 1-line block ×31, first 2 shown]
.LBB44_247:
	s_or_b32 exec_lo, exec_lo, s1
	scratch_load_b32 v65, off, off offset:900 ; 4-byte Folded Reload
	s_mov_b32 s1, exec_lo
	s_wait_loadcnt_dscnt 0x0
	s_barrier_signal -1
	s_barrier_wait -1
	v_cmpx_gt_u32_e32 32, v65
	s_cbranch_execz .LBB44_314
; %bb.248:
	s_and_saveexec_b32 s0, vcc_lo
	s_cbranch_execnz .LBB44_380
; %bb.249:
	s_or_b32 exec_lo, exec_lo, s0
	s_and_saveexec_b32 s0, vcc_lo
	s_cbranch_execnz .LBB44_381
.LBB44_250:
	s_or_b32 exec_lo, exec_lo, s0
	s_and_saveexec_b32 s0, vcc_lo
	s_cbranch_execnz .LBB44_382
.LBB44_251:
	s_or_b32 exec_lo, exec_lo, s0
	s_and_saveexec_b32 s0, vcc_lo
	s_cbranch_execnz .LBB44_383
.LBB44_252:
	s_or_b32 exec_lo, exec_lo, s0
	s_and_saveexec_b32 s0, vcc_lo
	s_cbranch_execnz .LBB44_384
.LBB44_253:
	s_or_b32 exec_lo, exec_lo, s0
	s_and_saveexec_b32 s0, vcc_lo
	s_cbranch_execnz .LBB44_385
.LBB44_254:
	s_or_b32 exec_lo, exec_lo, s0
	s_and_saveexec_b32 s0, vcc_lo
	s_cbranch_execnz .LBB44_386
.LBB44_255:
	s_or_b32 exec_lo, exec_lo, s0
	s_and_saveexec_b32 s0, vcc_lo
	s_cbranch_execnz .LBB44_387
.LBB44_256:
	s_or_b32 exec_lo, exec_lo, s0
	s_and_saveexec_b32 s0, vcc_lo
	s_cbranch_execnz .LBB44_388
.LBB44_257:
	s_or_b32 exec_lo, exec_lo, s0
	s_and_saveexec_b32 s0, vcc_lo
	s_cbranch_execnz .LBB44_389
.LBB44_258:
	s_or_b32 exec_lo, exec_lo, s0
	s_and_saveexec_b32 s0, vcc_lo
	s_cbranch_execnz .LBB44_390
.LBB44_259:
	s_or_b32 exec_lo, exec_lo, s0
	s_and_saveexec_b32 s0, vcc_lo
	s_cbranch_execnz .LBB44_391
.LBB44_260:
	s_or_b32 exec_lo, exec_lo, s0
	s_and_saveexec_b32 s0, vcc_lo
	s_cbranch_execnz .LBB44_392
.LBB44_261:
	s_or_b32 exec_lo, exec_lo, s0
	s_and_saveexec_b32 s0, vcc_lo
	s_cbranch_execnz .LBB44_393
.LBB44_262:
	s_or_b32 exec_lo, exec_lo, s0
	s_and_saveexec_b32 s0, vcc_lo
	s_cbranch_execnz .LBB44_394
.LBB44_263:
	s_or_b32 exec_lo, exec_lo, s0
	s_and_saveexec_b32 s0, vcc_lo
	s_cbranch_execnz .LBB44_395
.LBB44_264:
	s_or_b32 exec_lo, exec_lo, s0
	s_and_saveexec_b32 s0, vcc_lo
	s_cbranch_execnz .LBB44_396
.LBB44_265:
	s_or_b32 exec_lo, exec_lo, s0
	s_and_saveexec_b32 s0, vcc_lo
	s_cbranch_execnz .LBB44_397
.LBB44_266:
	s_or_b32 exec_lo, exec_lo, s0
	s_and_saveexec_b32 s0, vcc_lo
	s_cbranch_execnz .LBB44_398
.LBB44_267:
	s_or_b32 exec_lo, exec_lo, s0
	s_and_saveexec_b32 s0, vcc_lo
	s_cbranch_execnz .LBB44_399
.LBB44_268:
	s_or_b32 exec_lo, exec_lo, s0
	s_and_saveexec_b32 s0, vcc_lo
	s_cbranch_execnz .LBB44_400
.LBB44_269:
	s_or_b32 exec_lo, exec_lo, s0
	s_and_saveexec_b32 s0, vcc_lo
	s_cbranch_execnz .LBB44_401
.LBB44_270:
	s_or_b32 exec_lo, exec_lo, s0
	s_and_saveexec_b32 s0, vcc_lo
	s_cbranch_execnz .LBB44_402
.LBB44_271:
	s_or_b32 exec_lo, exec_lo, s0
	s_and_saveexec_b32 s0, vcc_lo
	s_cbranch_execnz .LBB44_403
.LBB44_272:
	s_or_b32 exec_lo, exec_lo, s0
	s_and_saveexec_b32 s0, vcc_lo
	s_cbranch_execnz .LBB44_404
.LBB44_273:
	s_or_b32 exec_lo, exec_lo, s0
	s_and_saveexec_b32 s0, vcc_lo
	s_cbranch_execnz .LBB44_405
.LBB44_274:
	s_or_b32 exec_lo, exec_lo, s0
	s_and_saveexec_b32 s0, vcc_lo
	s_cbranch_execnz .LBB44_406
.LBB44_275:
	s_or_b32 exec_lo, exec_lo, s0
	s_and_saveexec_b32 s0, vcc_lo
	s_cbranch_execnz .LBB44_407
.LBB44_276:
	s_or_b32 exec_lo, exec_lo, s0
	s_and_saveexec_b32 s0, vcc_lo
	s_cbranch_execnz .LBB44_408
.LBB44_277:
	s_or_b32 exec_lo, exec_lo, s0
	s_and_saveexec_b32 s0, vcc_lo
	s_cbranch_execnz .LBB44_409
.LBB44_278:
	s_or_b32 exec_lo, exec_lo, s0
	s_and_saveexec_b32 s0, vcc_lo
	s_cbranch_execnz .LBB44_410
.LBB44_279:
	s_or_b32 exec_lo, exec_lo, s0
	s_and_saveexec_b32 s0, vcc_lo
	s_cbranch_execnz .LBB44_411
.LBB44_280:
	s_or_b32 exec_lo, exec_lo, s0
	s_and_saveexec_b32 s0, vcc_lo
	s_cbranch_execnz .LBB44_412
.LBB44_281:
	s_or_b32 exec_lo, exec_lo, s0
	s_and_saveexec_b32 s0, vcc_lo
	s_cbranch_execnz .LBB44_413
.LBB44_282:
	s_or_b32 exec_lo, exec_lo, s0
	s_and_saveexec_b32 s0, vcc_lo
	s_cbranch_execnz .LBB44_414
.LBB44_283:
	s_or_b32 exec_lo, exec_lo, s0
	s_and_saveexec_b32 s0, vcc_lo
	s_cbranch_execnz .LBB44_415
.LBB44_284:
	s_or_b32 exec_lo, exec_lo, s0
	s_and_saveexec_b32 s0, vcc_lo
	s_cbranch_execnz .LBB44_416
.LBB44_285:
	s_or_b32 exec_lo, exec_lo, s0
	s_and_saveexec_b32 s0, vcc_lo
	s_cbranch_execnz .LBB44_417
.LBB44_286:
	s_or_b32 exec_lo, exec_lo, s0
	s_and_saveexec_b32 s0, vcc_lo
	s_cbranch_execnz .LBB44_418
.LBB44_287:
	s_or_b32 exec_lo, exec_lo, s0
	s_and_saveexec_b32 s0, vcc_lo
	s_cbranch_execnz .LBB44_419
.LBB44_288:
	s_or_b32 exec_lo, exec_lo, s0
	s_and_saveexec_b32 s0, vcc_lo
	s_cbranch_execnz .LBB44_420
.LBB44_289:
	s_or_b32 exec_lo, exec_lo, s0
	s_and_saveexec_b32 s0, vcc_lo
	s_cbranch_execnz .LBB44_421
.LBB44_290:
	s_or_b32 exec_lo, exec_lo, s0
	s_and_saveexec_b32 s0, vcc_lo
	s_cbranch_execnz .LBB44_422
.LBB44_291:
	s_or_b32 exec_lo, exec_lo, s0
	s_and_saveexec_b32 s0, vcc_lo
	s_cbranch_execnz .LBB44_423
.LBB44_292:
	s_or_b32 exec_lo, exec_lo, s0
	s_and_saveexec_b32 s0, vcc_lo
	s_cbranch_execnz .LBB44_424
.LBB44_293:
	s_or_b32 exec_lo, exec_lo, s0
	s_and_saveexec_b32 s0, vcc_lo
	s_cbranch_execnz .LBB44_425
.LBB44_294:
	s_or_b32 exec_lo, exec_lo, s0
	s_and_saveexec_b32 s0, vcc_lo
	s_cbranch_execnz .LBB44_426
.LBB44_295:
	s_or_b32 exec_lo, exec_lo, s0
	s_and_saveexec_b32 s0, vcc_lo
	s_cbranch_execnz .LBB44_427
.LBB44_296:
	s_or_b32 exec_lo, exec_lo, s0
	s_and_saveexec_b32 s0, vcc_lo
	s_cbranch_execnz .LBB44_428
.LBB44_297:
	s_or_b32 exec_lo, exec_lo, s0
	s_and_saveexec_b32 s0, vcc_lo
	s_cbranch_execnz .LBB44_429
.LBB44_298:
	s_or_b32 exec_lo, exec_lo, s0
	s_and_saveexec_b32 s0, vcc_lo
	s_cbranch_execnz .LBB44_430
.LBB44_299:
	s_or_b32 exec_lo, exec_lo, s0
	s_and_saveexec_b32 s0, vcc_lo
	s_cbranch_execnz .LBB44_431
.LBB44_300:
	s_or_b32 exec_lo, exec_lo, s0
	s_and_saveexec_b32 s0, vcc_lo
	s_cbranch_execnz .LBB44_432
.LBB44_301:
	s_or_b32 exec_lo, exec_lo, s0
	s_and_saveexec_b32 s0, vcc_lo
	s_cbranch_execnz .LBB44_433
.LBB44_302:
	s_or_b32 exec_lo, exec_lo, s0
	s_and_saveexec_b32 s0, vcc_lo
	s_cbranch_execnz .LBB44_434
.LBB44_303:
	s_or_b32 exec_lo, exec_lo, s0
	s_and_saveexec_b32 s0, vcc_lo
	s_cbranch_execnz .LBB44_435
.LBB44_304:
	s_or_b32 exec_lo, exec_lo, s0
	s_and_saveexec_b32 s0, vcc_lo
	s_cbranch_execnz .LBB44_436
.LBB44_305:
	s_or_b32 exec_lo, exec_lo, s0
	s_and_saveexec_b32 s0, vcc_lo
	s_cbranch_execnz .LBB44_437
.LBB44_306:
	s_or_b32 exec_lo, exec_lo, s0
	s_and_saveexec_b32 s0, vcc_lo
	s_cbranch_execnz .LBB44_438
.LBB44_307:
	s_or_b32 exec_lo, exec_lo, s0
	s_and_saveexec_b32 s0, vcc_lo
	s_cbranch_execnz .LBB44_439
.LBB44_308:
	s_or_b32 exec_lo, exec_lo, s0
	s_and_saveexec_b32 s0, vcc_lo
	s_cbranch_execnz .LBB44_440
.LBB44_309:
	s_or_b32 exec_lo, exec_lo, s0
	s_and_saveexec_b32 s0, vcc_lo
	s_cbranch_execnz .LBB44_441
.LBB44_310:
	s_or_b32 exec_lo, exec_lo, s0
	s_and_saveexec_b32 s0, vcc_lo
	s_cbranch_execnz .LBB44_442
.LBB44_311:
	s_or_b32 exec_lo, exec_lo, s0
	s_and_saveexec_b32 s0, vcc_lo
	s_cbranch_execz .LBB44_313
.LBB44_312:
	ds_load_b32 v64, v64 offset:1008
	s_wait_dscnt 0x0
	v_add_f32_e32 v53, v53, v64
.LBB44_313:
	s_or_b32 exec_lo, exec_lo, s0
.LBB44_314:
	s_delay_alu instid0(SALU_CYCLE_1)
	s_or_b32 exec_lo, exec_lo, s1
	s_mov_b32 s1, 0
	s_barrier_signal -1
	s_barrier_wait -1
	s_mov_b32 s0, exec_lo
	v_cmpx_eq_u32_e32 0, v66
	s_cbranch_execz .LBB44_316
; %bb.315:
	scratch_load_b32 v64, off, off offset:900 th:TH_LOAD_LU ; 4-byte Folded Reload
	s_mul_i32 s0, s30, s7
	s_mul_i32 s2, s7, s6
	;; [unrolled: 1-line block ×3, first 2 shown]
	s_lshr_b32 s6, ttmp7, 16
	s_lshl_b32 s4, s0, 8
	s_bfe_u32 s0, ttmp6, 0x40014
	s_ashr_i32 s5, s4, 31
	s_add_co_i32 s0, s0, 1
	s_ashr_i32 s3, s2, 31
	s_mul_i32 s0, s6, s0
	s_bfe_u32 s7, ttmp6, 0x40008
	s_lshl_b64 s[4:5], s[4:5], 2
	s_lshl_b64 s[2:3], s[2:3], 2
	s_add_co_i32 s7, s7, s0
	s_cmp_eq_u32 s28, 0
	s_wait_kmcnt 0x0
	s_add_nc_u64 s[4:5], s[14:15], s[4:5]
	s_cselect_b32 s0, s6, s7
	s_add_nc_u64 s[2:3], s[4:5], s[2:3]
	s_lshl_b32 s0, s0, 10
	s_delay_alu instid0(SALU_CYCLE_1)
	s_add_nc_u64 s[0:1], s[2:3], s[0:1]
	s_wait_loadcnt 0x0
	v_lshrrev_b32_e32 v64, 1, v64
	s_clause 0x3e
	global_store_b32 v64, v0, s[0:1]
	global_store_b32 v64, v1, s[0:1] offset:16
	global_store_b32 v64, v4, s[0:1] offset:32
	;; [unrolled: 1-line block ×63, first 2 shown]
.LBB44_316:
	s_sendmsg sendmsg(MSG_DEALLOC_VGPRS)
	s_endpgm
.LBB44_317:
	ds_load_b32 v66, v64
	s_wait_dscnt 0x0
	v_add_f32_e32 v0, v0, v66
	s_or_b32 exec_lo, exec_lo, s1
	s_and_saveexec_b32 s1, vcc_lo
	s_cbranch_execz .LBB44_181
.LBB44_318:
	ds_load_b32 v66, v64 offset:16
	s_wait_dscnt 0x0
	v_add_f32_e32 v1, v1, v66
	s_or_b32 exec_lo, exec_lo, s1
	s_and_saveexec_b32 s1, vcc_lo
	s_cbranch_execz .LBB44_182
.LBB44_319:
	ds_load_b32 v66, v64 offset:32
	s_wait_dscnt 0x0
	v_add_f32_e32 v4, v4, v66
	s_or_b32 exec_lo, exec_lo, s1
	s_and_saveexec_b32 s1, vcc_lo
	s_cbranch_execz .LBB44_183
.LBB44_320:
	ds_load_b32 v66, v64 offset:48
	s_wait_dscnt 0x0
	v_add_f32_e32 v5, v5, v66
	s_or_b32 exec_lo, exec_lo, s1
	s_and_saveexec_b32 s1, vcc_lo
	s_cbranch_execz .LBB44_184
.LBB44_321:
	ds_load_b32 v66, v64 offset:64
	s_wait_dscnt 0x0
	v_add_f32_e32 v2, v2, v66
	s_or_b32 exec_lo, exec_lo, s1
	s_and_saveexec_b32 s1, vcc_lo
	s_cbranch_execz .LBB44_185
.LBB44_322:
	ds_load_b32 v66, v64 offset:80
	s_wait_dscnt 0x0
	v_add_f32_e32 v3, v3, v66
	s_or_b32 exec_lo, exec_lo, s1
	s_and_saveexec_b32 s1, vcc_lo
	s_cbranch_execz .LBB44_186
.LBB44_323:
	ds_load_b32 v66, v64 offset:96
	s_wait_dscnt 0x0
	v_add_f32_e32 v10, v10, v66
	s_or_b32 exec_lo, exec_lo, s1
	s_and_saveexec_b32 s1, vcc_lo
	s_cbranch_execz .LBB44_187
.LBB44_324:
	ds_load_b32 v66, v64 offset:112
	s_wait_dscnt 0x0
	v_add_f32_e32 v11, v11, v66
	s_or_b32 exec_lo, exec_lo, s1
	s_and_saveexec_b32 s1, vcc_lo
	s_cbranch_execz .LBB44_188
.LBB44_325:
	ds_load_b32 v66, v64 offset:128
	s_wait_dscnt 0x0
	v_add_f32_e32 v12, v12, v66
	s_or_b32 exec_lo, exec_lo, s1
	s_and_saveexec_b32 s1, vcc_lo
	s_cbranch_execz .LBB44_189
.LBB44_326:
	ds_load_b32 v66, v64 offset:144
	s_wait_dscnt 0x0
	v_add_f32_e32 v13, v13, v66
	s_or_b32 exec_lo, exec_lo, s1
	s_and_saveexec_b32 s1, vcc_lo
	s_cbranch_execz .LBB44_190
.LBB44_327:
	ds_load_b32 v66, v64 offset:160
	s_wait_dscnt 0x0
	v_add_f32_e32 v8, v8, v66
	s_or_b32 exec_lo, exec_lo, s1
	s_and_saveexec_b32 s1, vcc_lo
	s_cbranch_execz .LBB44_191
.LBB44_328:
	ds_load_b32 v66, v64 offset:176
	s_wait_dscnt 0x0
	v_add_f32_e32 v9, v9, v66
	s_or_b32 exec_lo, exec_lo, s1
	s_and_saveexec_b32 s1, vcc_lo
	s_cbranch_execz .LBB44_192
.LBB44_329:
	ds_load_b32 v66, v64 offset:192
	s_wait_dscnt 0x0
	v_add_f32_e32 v6, v6, v66
	s_or_b32 exec_lo, exec_lo, s1
	s_and_saveexec_b32 s1, vcc_lo
	s_cbranch_execz .LBB44_193
.LBB44_330:
	ds_load_b32 v66, v64 offset:208
	s_wait_dscnt 0x0
	v_add_f32_e32 v7, v7, v66
	s_or_b32 exec_lo, exec_lo, s1
	s_and_saveexec_b32 s1, vcc_lo
	s_cbranch_execz .LBB44_194
.LBB44_331:
	ds_load_b32 v66, v64 offset:224
	s_wait_dscnt 0x0
	v_add_f32_e32 v16, v16, v66
	s_or_b32 exec_lo, exec_lo, s1
	s_and_saveexec_b32 s1, vcc_lo
	s_cbranch_execz .LBB44_195
.LBB44_332:
	ds_load_b32 v66, v64 offset:240
	s_wait_dscnt 0x0
	v_add_f32_e32 v17, v17, v66
	s_or_b32 exec_lo, exec_lo, s1
	s_and_saveexec_b32 s1, vcc_lo
	s_cbranch_execz .LBB44_196
.LBB44_333:
	ds_load_b32 v66, v64 offset:256
	s_wait_dscnt 0x0
	v_add_f32_e32 v14, v14, v66
	s_or_b32 exec_lo, exec_lo, s1
	s_and_saveexec_b32 s1, vcc_lo
	s_cbranch_execz .LBB44_197
.LBB44_334:
	ds_load_b32 v66, v64 offset:272
	s_wait_dscnt 0x0
	v_add_f32_e32 v15, v15, v66
	s_or_b32 exec_lo, exec_lo, s1
	s_and_saveexec_b32 s1, vcc_lo
	s_cbranch_execz .LBB44_198
.LBB44_335:
	ds_load_b32 v66, v64 offset:288
	s_wait_dscnt 0x0
	v_add_f32_e32 v20, v20, v66
	s_or_b32 exec_lo, exec_lo, s1
	s_and_saveexec_b32 s1, vcc_lo
	s_cbranch_execz .LBB44_199
.LBB44_336:
	ds_load_b32 v66, v64 offset:304
	s_wait_dscnt 0x0
	v_add_f32_e32 v21, v21, v66
	s_or_b32 exec_lo, exec_lo, s1
	s_and_saveexec_b32 s1, vcc_lo
	s_cbranch_execz .LBB44_200
.LBB44_337:
	ds_load_b32 v66, v64 offset:320
	s_wait_dscnt 0x0
	v_add_f32_e32 v18, v18, v66
	s_or_b32 exec_lo, exec_lo, s1
	s_and_saveexec_b32 s1, vcc_lo
	s_cbranch_execz .LBB44_201
.LBB44_338:
	ds_load_b32 v66, v64 offset:336
	s_wait_dscnt 0x0
	v_add_f32_e32 v19, v19, v66
	s_or_b32 exec_lo, exec_lo, s1
	s_and_saveexec_b32 s1, vcc_lo
	s_cbranch_execz .LBB44_202
.LBB44_339:
	ds_load_b32 v66, v64 offset:352
	s_wait_dscnt 0x0
	v_add_f32_e32 v26, v26, v66
	s_or_b32 exec_lo, exec_lo, s1
	s_and_saveexec_b32 s1, vcc_lo
	s_cbranch_execz .LBB44_203
.LBB44_340:
	ds_load_b32 v66, v64 offset:368
	s_wait_dscnt 0x0
	v_add_f32_e32 v27, v27, v66
	s_or_b32 exec_lo, exec_lo, s1
	s_and_saveexec_b32 s1, vcc_lo
	s_cbranch_execz .LBB44_204
.LBB44_341:
	ds_load_b32 v66, v64 offset:384
	s_wait_dscnt 0x0
	v_add_f32_e32 v24, v24, v66
	s_or_b32 exec_lo, exec_lo, s1
	s_and_saveexec_b32 s1, vcc_lo
	s_cbranch_execz .LBB44_205
.LBB44_342:
	ds_load_b32 v66, v64 offset:400
	s_wait_dscnt 0x0
	v_add_f32_e32 v25, v25, v66
	s_or_b32 exec_lo, exec_lo, s1
	s_and_saveexec_b32 s1, vcc_lo
	s_cbranch_execz .LBB44_206
.LBB44_343:
	ds_load_b32 v66, v64 offset:416
	s_wait_dscnt 0x0
	v_add_f32_e32 v22, v22, v66
	s_or_b32 exec_lo, exec_lo, s1
	s_and_saveexec_b32 s1, vcc_lo
	s_cbranch_execz .LBB44_207
.LBB44_344:
	ds_load_b32 v66, v64 offset:432
	s_wait_dscnt 0x0
	v_add_f32_e32 v23, v23, v66
	s_or_b32 exec_lo, exec_lo, s1
	s_and_saveexec_b32 s1, vcc_lo
	s_cbranch_execz .LBB44_208
.LBB44_345:
	ds_load_b32 v66, v64 offset:448
	s_wait_dscnt 0x0
	v_add_f32_e32 v62, v62, v66
	s_or_b32 exec_lo, exec_lo, s1
	s_and_saveexec_b32 s1, vcc_lo
	s_cbranch_execz .LBB44_209
.LBB44_346:
	ds_load_b32 v66, v64 offset:464
	s_wait_dscnt 0x0
	v_add_f32_e32 v63, v63, v66
	s_or_b32 exec_lo, exec_lo, s1
	s_and_saveexec_b32 s1, vcc_lo
	s_cbranch_execz .LBB44_210
.LBB44_347:
	ds_load_b32 v66, v64 offset:480
	s_wait_dscnt 0x0
	v_add_f32_e32 v60, v60, v66
	s_or_b32 exec_lo, exec_lo, s1
	s_and_saveexec_b32 s1, vcc_lo
	s_cbranch_execz .LBB44_211
.LBB44_348:
	ds_load_b32 v66, v64 offset:496
	s_wait_dscnt 0x0
	v_add_f32_e32 v61, v61, v66
	s_or_b32 exec_lo, exec_lo, s1
	s_and_saveexec_b32 s1, vcc_lo
	s_cbranch_execz .LBB44_212
.LBB44_349:
	ds_load_b32 v66, v64 offset:512
	s_wait_dscnt 0x0
	v_add_f32_e32 v58, v58, v66
	s_or_b32 exec_lo, exec_lo, s1
	s_and_saveexec_b32 s1, vcc_lo
	s_cbranch_execz .LBB44_213
.LBB44_350:
	ds_load_b32 v66, v64 offset:528
	s_wait_dscnt 0x0
	v_add_f32_e32 v59, v59, v66
	s_or_b32 exec_lo, exec_lo, s1
	s_and_saveexec_b32 s1, vcc_lo
	s_cbranch_execz .LBB44_214
.LBB44_351:
	ds_load_b32 v66, v64 offset:544
	s_wait_dscnt 0x0
	v_add_f32_e32 v56, v56, v66
	s_or_b32 exec_lo, exec_lo, s1
	s_and_saveexec_b32 s1, vcc_lo
	s_cbranch_execz .LBB44_215
.LBB44_352:
	ds_load_b32 v66, v64 offset:560
	s_wait_dscnt 0x0
	v_add_f32_e32 v57, v57, v66
	s_or_b32 exec_lo, exec_lo, s1
	s_and_saveexec_b32 s1, vcc_lo
	s_cbranch_execz .LBB44_216
.LBB44_353:
	ds_load_b32 v66, v64 offset:576
	s_wait_dscnt 0x0
	v_add_f32_e32 v54, v54, v66
	s_or_b32 exec_lo, exec_lo, s1
	s_and_saveexec_b32 s1, vcc_lo
	s_cbranch_execz .LBB44_217
.LBB44_354:
	ds_load_b32 v66, v64 offset:592
	s_wait_dscnt 0x0
	v_add_f32_e32 v55, v55, v66
	s_or_b32 exec_lo, exec_lo, s1
	s_and_saveexec_b32 s1, vcc_lo
	s_cbranch_execz .LBB44_218
.LBB44_355:
	ds_load_b32 v66, v64 offset:608
	s_wait_dscnt 0x0
	v_add_f32_e32 v50, v50, v66
	s_or_b32 exec_lo, exec_lo, s1
	s_and_saveexec_b32 s1, vcc_lo
	s_cbranch_execz .LBB44_219
.LBB44_356:
	ds_load_b32 v66, v64 offset:624
	s_wait_dscnt 0x0
	v_add_f32_e32 v51, v51, v66
	s_or_b32 exec_lo, exec_lo, s1
	s_and_saveexec_b32 s1, vcc_lo
	s_cbranch_execz .LBB44_220
.LBB44_357:
	ds_load_b32 v66, v64 offset:640
	s_wait_dscnt 0x0
	v_add_f32_e32 v48, v48, v66
	s_or_b32 exec_lo, exec_lo, s1
	s_and_saveexec_b32 s1, vcc_lo
	s_cbranch_execz .LBB44_221
.LBB44_358:
	ds_load_b32 v66, v64 offset:656
	s_wait_dscnt 0x0
	v_add_f32_e32 v49, v49, v66
	s_or_b32 exec_lo, exec_lo, s1
	s_and_saveexec_b32 s1, vcc_lo
	s_cbranch_execz .LBB44_222
.LBB44_359:
	ds_load_b32 v66, v64 offset:672
	s_wait_dscnt 0x0
	v_add_f32_e32 v44, v44, v66
	s_or_b32 exec_lo, exec_lo, s1
	s_and_saveexec_b32 s1, vcc_lo
	s_cbranch_execz .LBB44_223
.LBB44_360:
	ds_load_b32 v66, v64 offset:688
	s_wait_dscnt 0x0
	v_add_f32_e32 v45, v45, v66
	s_or_b32 exec_lo, exec_lo, s1
	s_and_saveexec_b32 s1, vcc_lo
	s_cbranch_execz .LBB44_224
.LBB44_361:
	ds_load_b32 v66, v64 offset:704
	s_wait_dscnt 0x0
	v_add_f32_e32 v42, v42, v66
	s_or_b32 exec_lo, exec_lo, s1
	s_and_saveexec_b32 s1, vcc_lo
	s_cbranch_execz .LBB44_225
.LBB44_362:
	ds_load_b32 v66, v64 offset:720
	s_wait_dscnt 0x0
	v_add_f32_e32 v43, v43, v66
	s_or_b32 exec_lo, exec_lo, s1
	s_and_saveexec_b32 s1, vcc_lo
	s_cbranch_execz .LBB44_226
.LBB44_363:
	ds_load_b32 v66, v64 offset:736
	s_wait_dscnt 0x0
	v_add_f32_e32 v40, v40, v66
	s_or_b32 exec_lo, exec_lo, s1
	s_and_saveexec_b32 s1, vcc_lo
	s_cbranch_execz .LBB44_227
.LBB44_364:
	ds_load_b32 v66, v64 offset:752
	s_wait_dscnt 0x0
	v_add_f32_e32 v41, v41, v66
	s_or_b32 exec_lo, exec_lo, s1
	s_and_saveexec_b32 s1, vcc_lo
	s_cbranch_execz .LBB44_228
.LBB44_365:
	ds_load_b32 v66, v64 offset:768
	s_wait_dscnt 0x0
	v_add_f32_e32 v38, v38, v66
	s_or_b32 exec_lo, exec_lo, s1
	s_and_saveexec_b32 s1, vcc_lo
	s_cbranch_execz .LBB44_229
.LBB44_366:
	ds_load_b32 v66, v64 offset:784
	s_wait_dscnt 0x0
	v_add_f32_e32 v39, v39, v66
	s_or_b32 exec_lo, exec_lo, s1
	s_and_saveexec_b32 s1, vcc_lo
	s_cbranch_execz .LBB44_230
.LBB44_367:
	ds_load_b32 v66, v64 offset:800
	s_wait_dscnt 0x0
	v_add_f32_e32 v36, v36, v66
	s_or_b32 exec_lo, exec_lo, s1
	s_and_saveexec_b32 s1, vcc_lo
	s_cbranch_execz .LBB44_231
.LBB44_368:
	ds_load_b32 v66, v64 offset:816
	s_wait_dscnt 0x0
	v_add_f32_e32 v37, v37, v66
	s_or_b32 exec_lo, exec_lo, s1
	s_and_saveexec_b32 s1, vcc_lo
	s_cbranch_execz .LBB44_232
.LBB44_369:
	ds_load_b32 v66, v64 offset:832
	s_wait_dscnt 0x0
	v_add_f32_e32 v34, v34, v66
	s_or_b32 exec_lo, exec_lo, s1
	s_and_saveexec_b32 s1, vcc_lo
	s_cbranch_execz .LBB44_233
.LBB44_370:
	ds_load_b32 v66, v64 offset:848
	s_wait_dscnt 0x0
	v_add_f32_e32 v35, v35, v66
	s_or_b32 exec_lo, exec_lo, s1
	s_and_saveexec_b32 s1, vcc_lo
	s_cbranch_execz .LBB44_234
.LBB44_371:
	ds_load_b32 v66, v64 offset:864
	s_wait_dscnt 0x0
	v_add_f32_e32 v32, v32, v66
	s_or_b32 exec_lo, exec_lo, s1
	s_and_saveexec_b32 s1, vcc_lo
	s_cbranch_execz .LBB44_235
.LBB44_372:
	ds_load_b32 v66, v64 offset:880
	s_wait_dscnt 0x0
	v_add_f32_e32 v33, v33, v66
	s_or_b32 exec_lo, exec_lo, s1
	s_and_saveexec_b32 s1, vcc_lo
	s_cbranch_execz .LBB44_236
.LBB44_373:
	ds_load_b32 v66, v64 offset:896
	s_wait_dscnt 0x0
	v_add_f32_e32 v30, v30, v66
	s_or_b32 exec_lo, exec_lo, s1
	s_and_saveexec_b32 s1, vcc_lo
	s_cbranch_execz .LBB44_237
.LBB44_374:
	ds_load_b32 v66, v64 offset:912
	s_wait_dscnt 0x0
	v_add_f32_e32 v31, v31, v66
	s_or_b32 exec_lo, exec_lo, s1
	s_and_saveexec_b32 s1, vcc_lo
	s_cbranch_execz .LBB44_238
.LBB44_375:
	ds_load_b32 v66, v64 offset:928
	s_wait_dscnt 0x0
	v_add_f32_e32 v28, v28, v66
	s_or_b32 exec_lo, exec_lo, s1
	s_and_saveexec_b32 s1, vcc_lo
	s_cbranch_execz .LBB44_239
.LBB44_376:
	ds_load_b32 v66, v64 offset:944
	s_wait_dscnt 0x0
	v_add_f32_e32 v29, v29, v66
	s_or_b32 exec_lo, exec_lo, s1
	s_and_saveexec_b32 s1, vcc_lo
	s_cbranch_execz .LBB44_240
.LBB44_377:
	ds_load_b32 v66, v64 offset:960
	s_wait_dscnt 0x0
	v_add_f32_e32 v46, v46, v66
	s_or_b32 exec_lo, exec_lo, s1
	s_and_saveexec_b32 s1, vcc_lo
	s_cbranch_execz .LBB44_241
.LBB44_378:
	ds_load_b32 v66, v64 offset:976
	s_wait_dscnt 0x0
	v_add_f32_e32 v47, v47, v66
	s_or_b32 exec_lo, exec_lo, s1
	s_and_saveexec_b32 s1, vcc_lo
	s_cbranch_execz .LBB44_242
.LBB44_379:
	ds_load_b32 v66, v64 offset:992
	s_wait_dscnt 0x0
	v_add_f32_e32 v52, v52, v66
	s_or_b32 exec_lo, exec_lo, s1
	s_and_saveexec_b32 s1, vcc_lo
	s_cbranch_execnz .LBB44_243
	s_branch .LBB44_244
.LBB44_380:
	ds_load_b32 v65, v64
	s_wait_dscnt 0x0
	v_add_f32_e32 v0, v0, v65
	s_or_b32 exec_lo, exec_lo, s0
	s_and_saveexec_b32 s0, vcc_lo
	s_cbranch_execz .LBB44_250
.LBB44_381:
	ds_load_b32 v65, v64 offset:16
	s_wait_dscnt 0x0
	v_add_f32_e32 v1, v1, v65
	s_or_b32 exec_lo, exec_lo, s0
	s_and_saveexec_b32 s0, vcc_lo
	s_cbranch_execz .LBB44_251
.LBB44_382:
	ds_load_b32 v65, v64 offset:32
	s_wait_dscnt 0x0
	v_add_f32_e32 v4, v4, v65
	s_or_b32 exec_lo, exec_lo, s0
	s_and_saveexec_b32 s0, vcc_lo
	s_cbranch_execz .LBB44_252
.LBB44_383:
	ds_load_b32 v65, v64 offset:48
	s_wait_dscnt 0x0
	v_add_f32_e32 v5, v5, v65
	s_or_b32 exec_lo, exec_lo, s0
	s_and_saveexec_b32 s0, vcc_lo
	s_cbranch_execz .LBB44_253
.LBB44_384:
	ds_load_b32 v65, v64 offset:64
	s_wait_dscnt 0x0
	v_add_f32_e32 v2, v2, v65
	s_or_b32 exec_lo, exec_lo, s0
	s_and_saveexec_b32 s0, vcc_lo
	s_cbranch_execz .LBB44_254
.LBB44_385:
	ds_load_b32 v65, v64 offset:80
	s_wait_dscnt 0x0
	v_add_f32_e32 v3, v3, v65
	s_or_b32 exec_lo, exec_lo, s0
	s_and_saveexec_b32 s0, vcc_lo
	s_cbranch_execz .LBB44_255
.LBB44_386:
	ds_load_b32 v65, v64 offset:96
	s_wait_dscnt 0x0
	v_add_f32_e32 v10, v10, v65
	s_or_b32 exec_lo, exec_lo, s0
	s_and_saveexec_b32 s0, vcc_lo
	s_cbranch_execz .LBB44_256
.LBB44_387:
	ds_load_b32 v65, v64 offset:112
	s_wait_dscnt 0x0
	v_add_f32_e32 v11, v11, v65
	s_or_b32 exec_lo, exec_lo, s0
	s_and_saveexec_b32 s0, vcc_lo
	s_cbranch_execz .LBB44_257
.LBB44_388:
	ds_load_b32 v65, v64 offset:128
	s_wait_dscnt 0x0
	v_add_f32_e32 v12, v12, v65
	s_or_b32 exec_lo, exec_lo, s0
	s_and_saveexec_b32 s0, vcc_lo
	s_cbranch_execz .LBB44_258
.LBB44_389:
	ds_load_b32 v65, v64 offset:144
	s_wait_dscnt 0x0
	v_add_f32_e32 v13, v13, v65
	s_or_b32 exec_lo, exec_lo, s0
	s_and_saveexec_b32 s0, vcc_lo
	s_cbranch_execz .LBB44_259
.LBB44_390:
	ds_load_b32 v65, v64 offset:160
	s_wait_dscnt 0x0
	v_add_f32_e32 v8, v8, v65
	s_or_b32 exec_lo, exec_lo, s0
	s_and_saveexec_b32 s0, vcc_lo
	s_cbranch_execz .LBB44_260
.LBB44_391:
	ds_load_b32 v65, v64 offset:176
	s_wait_dscnt 0x0
	v_add_f32_e32 v9, v9, v65
	s_or_b32 exec_lo, exec_lo, s0
	s_and_saveexec_b32 s0, vcc_lo
	s_cbranch_execz .LBB44_261
.LBB44_392:
	ds_load_b32 v65, v64 offset:192
	s_wait_dscnt 0x0
	v_add_f32_e32 v6, v6, v65
	s_or_b32 exec_lo, exec_lo, s0
	s_and_saveexec_b32 s0, vcc_lo
	s_cbranch_execz .LBB44_262
.LBB44_393:
	ds_load_b32 v65, v64 offset:208
	s_wait_dscnt 0x0
	v_add_f32_e32 v7, v7, v65
	s_or_b32 exec_lo, exec_lo, s0
	s_and_saveexec_b32 s0, vcc_lo
	s_cbranch_execz .LBB44_263
.LBB44_394:
	ds_load_b32 v65, v64 offset:224
	s_wait_dscnt 0x0
	v_add_f32_e32 v16, v16, v65
	s_or_b32 exec_lo, exec_lo, s0
	s_and_saveexec_b32 s0, vcc_lo
	s_cbranch_execz .LBB44_264
.LBB44_395:
	ds_load_b32 v65, v64 offset:240
	s_wait_dscnt 0x0
	v_add_f32_e32 v17, v17, v65
	s_or_b32 exec_lo, exec_lo, s0
	s_and_saveexec_b32 s0, vcc_lo
	s_cbranch_execz .LBB44_265
.LBB44_396:
	ds_load_b32 v65, v64 offset:256
	s_wait_dscnt 0x0
	v_add_f32_e32 v14, v14, v65
	s_or_b32 exec_lo, exec_lo, s0
	s_and_saveexec_b32 s0, vcc_lo
	s_cbranch_execz .LBB44_266
.LBB44_397:
	ds_load_b32 v65, v64 offset:272
	s_wait_dscnt 0x0
	v_add_f32_e32 v15, v15, v65
	s_or_b32 exec_lo, exec_lo, s0
	s_and_saveexec_b32 s0, vcc_lo
	s_cbranch_execz .LBB44_267
.LBB44_398:
	ds_load_b32 v65, v64 offset:288
	s_wait_dscnt 0x0
	v_add_f32_e32 v20, v20, v65
	s_or_b32 exec_lo, exec_lo, s0
	s_and_saveexec_b32 s0, vcc_lo
	s_cbranch_execz .LBB44_268
.LBB44_399:
	ds_load_b32 v65, v64 offset:304
	s_wait_dscnt 0x0
	v_add_f32_e32 v21, v21, v65
	s_or_b32 exec_lo, exec_lo, s0
	s_and_saveexec_b32 s0, vcc_lo
	s_cbranch_execz .LBB44_269
.LBB44_400:
	ds_load_b32 v65, v64 offset:320
	s_wait_dscnt 0x0
	v_add_f32_e32 v18, v18, v65
	s_or_b32 exec_lo, exec_lo, s0
	s_and_saveexec_b32 s0, vcc_lo
	s_cbranch_execz .LBB44_270
.LBB44_401:
	ds_load_b32 v65, v64 offset:336
	s_wait_dscnt 0x0
	v_add_f32_e32 v19, v19, v65
	s_or_b32 exec_lo, exec_lo, s0
	s_and_saveexec_b32 s0, vcc_lo
	s_cbranch_execz .LBB44_271
.LBB44_402:
	ds_load_b32 v65, v64 offset:352
	s_wait_dscnt 0x0
	v_add_f32_e32 v26, v26, v65
	s_or_b32 exec_lo, exec_lo, s0
	s_and_saveexec_b32 s0, vcc_lo
	s_cbranch_execz .LBB44_272
.LBB44_403:
	ds_load_b32 v65, v64 offset:368
	s_wait_dscnt 0x0
	v_add_f32_e32 v27, v27, v65
	s_or_b32 exec_lo, exec_lo, s0
	s_and_saveexec_b32 s0, vcc_lo
	s_cbranch_execz .LBB44_273
.LBB44_404:
	ds_load_b32 v65, v64 offset:384
	s_wait_dscnt 0x0
	v_add_f32_e32 v24, v24, v65
	s_or_b32 exec_lo, exec_lo, s0
	s_and_saveexec_b32 s0, vcc_lo
	s_cbranch_execz .LBB44_274
.LBB44_405:
	ds_load_b32 v65, v64 offset:400
	s_wait_dscnt 0x0
	v_add_f32_e32 v25, v25, v65
	s_or_b32 exec_lo, exec_lo, s0
	s_and_saveexec_b32 s0, vcc_lo
	s_cbranch_execz .LBB44_275
.LBB44_406:
	ds_load_b32 v65, v64 offset:416
	s_wait_dscnt 0x0
	v_add_f32_e32 v22, v22, v65
	s_or_b32 exec_lo, exec_lo, s0
	s_and_saveexec_b32 s0, vcc_lo
	s_cbranch_execz .LBB44_276
.LBB44_407:
	ds_load_b32 v65, v64 offset:432
	s_wait_dscnt 0x0
	v_add_f32_e32 v23, v23, v65
	s_or_b32 exec_lo, exec_lo, s0
	s_and_saveexec_b32 s0, vcc_lo
	s_cbranch_execz .LBB44_277
.LBB44_408:
	ds_load_b32 v65, v64 offset:448
	s_wait_dscnt 0x0
	v_add_f32_e32 v62, v62, v65
	s_or_b32 exec_lo, exec_lo, s0
	s_and_saveexec_b32 s0, vcc_lo
	s_cbranch_execz .LBB44_278
.LBB44_409:
	ds_load_b32 v65, v64 offset:464
	s_wait_dscnt 0x0
	v_add_f32_e32 v63, v63, v65
	s_or_b32 exec_lo, exec_lo, s0
	s_and_saveexec_b32 s0, vcc_lo
	s_cbranch_execz .LBB44_279
.LBB44_410:
	ds_load_b32 v65, v64 offset:480
	s_wait_dscnt 0x0
	v_add_f32_e32 v60, v60, v65
	s_or_b32 exec_lo, exec_lo, s0
	s_and_saveexec_b32 s0, vcc_lo
	s_cbranch_execz .LBB44_280
.LBB44_411:
	ds_load_b32 v65, v64 offset:496
	s_wait_dscnt 0x0
	v_add_f32_e32 v61, v61, v65
	s_or_b32 exec_lo, exec_lo, s0
	s_and_saveexec_b32 s0, vcc_lo
	s_cbranch_execz .LBB44_281
.LBB44_412:
	ds_load_b32 v65, v64 offset:512
	s_wait_dscnt 0x0
	v_add_f32_e32 v58, v58, v65
	s_or_b32 exec_lo, exec_lo, s0
	s_and_saveexec_b32 s0, vcc_lo
	s_cbranch_execz .LBB44_282
.LBB44_413:
	ds_load_b32 v65, v64 offset:528
	s_wait_dscnt 0x0
	v_add_f32_e32 v59, v59, v65
	s_or_b32 exec_lo, exec_lo, s0
	s_and_saveexec_b32 s0, vcc_lo
	s_cbranch_execz .LBB44_283
.LBB44_414:
	ds_load_b32 v65, v64 offset:544
	s_wait_dscnt 0x0
	v_add_f32_e32 v56, v56, v65
	s_or_b32 exec_lo, exec_lo, s0
	s_and_saveexec_b32 s0, vcc_lo
	s_cbranch_execz .LBB44_284
.LBB44_415:
	ds_load_b32 v65, v64 offset:560
	s_wait_dscnt 0x0
	v_add_f32_e32 v57, v57, v65
	s_or_b32 exec_lo, exec_lo, s0
	s_and_saveexec_b32 s0, vcc_lo
	s_cbranch_execz .LBB44_285
.LBB44_416:
	ds_load_b32 v65, v64 offset:576
	s_wait_dscnt 0x0
	v_add_f32_e32 v54, v54, v65
	s_or_b32 exec_lo, exec_lo, s0
	s_and_saveexec_b32 s0, vcc_lo
	s_cbranch_execz .LBB44_286
.LBB44_417:
	ds_load_b32 v65, v64 offset:592
	s_wait_dscnt 0x0
	v_add_f32_e32 v55, v55, v65
	s_or_b32 exec_lo, exec_lo, s0
	s_and_saveexec_b32 s0, vcc_lo
	s_cbranch_execz .LBB44_287
.LBB44_418:
	ds_load_b32 v65, v64 offset:608
	s_wait_dscnt 0x0
	v_add_f32_e32 v50, v50, v65
	s_or_b32 exec_lo, exec_lo, s0
	s_and_saveexec_b32 s0, vcc_lo
	s_cbranch_execz .LBB44_288
.LBB44_419:
	ds_load_b32 v65, v64 offset:624
	s_wait_dscnt 0x0
	v_add_f32_e32 v51, v51, v65
	s_or_b32 exec_lo, exec_lo, s0
	s_and_saveexec_b32 s0, vcc_lo
	s_cbranch_execz .LBB44_289
.LBB44_420:
	ds_load_b32 v65, v64 offset:640
	s_wait_dscnt 0x0
	v_add_f32_e32 v48, v48, v65
	s_or_b32 exec_lo, exec_lo, s0
	s_and_saveexec_b32 s0, vcc_lo
	s_cbranch_execz .LBB44_290
.LBB44_421:
	ds_load_b32 v65, v64 offset:656
	s_wait_dscnt 0x0
	v_add_f32_e32 v49, v49, v65
	s_or_b32 exec_lo, exec_lo, s0
	s_and_saveexec_b32 s0, vcc_lo
	s_cbranch_execz .LBB44_291
.LBB44_422:
	ds_load_b32 v65, v64 offset:672
	s_wait_dscnt 0x0
	v_add_f32_e32 v44, v44, v65
	s_or_b32 exec_lo, exec_lo, s0
	s_and_saveexec_b32 s0, vcc_lo
	s_cbranch_execz .LBB44_292
.LBB44_423:
	ds_load_b32 v65, v64 offset:688
	s_wait_dscnt 0x0
	v_add_f32_e32 v45, v45, v65
	s_or_b32 exec_lo, exec_lo, s0
	s_and_saveexec_b32 s0, vcc_lo
	s_cbranch_execz .LBB44_293
.LBB44_424:
	ds_load_b32 v65, v64 offset:704
	s_wait_dscnt 0x0
	v_add_f32_e32 v42, v42, v65
	s_or_b32 exec_lo, exec_lo, s0
	s_and_saveexec_b32 s0, vcc_lo
	s_cbranch_execz .LBB44_294
.LBB44_425:
	ds_load_b32 v65, v64 offset:720
	s_wait_dscnt 0x0
	v_add_f32_e32 v43, v43, v65
	s_or_b32 exec_lo, exec_lo, s0
	s_and_saveexec_b32 s0, vcc_lo
	s_cbranch_execz .LBB44_295
.LBB44_426:
	ds_load_b32 v65, v64 offset:736
	s_wait_dscnt 0x0
	v_add_f32_e32 v40, v40, v65
	s_or_b32 exec_lo, exec_lo, s0
	s_and_saveexec_b32 s0, vcc_lo
	s_cbranch_execz .LBB44_296
.LBB44_427:
	ds_load_b32 v65, v64 offset:752
	s_wait_dscnt 0x0
	v_add_f32_e32 v41, v41, v65
	s_or_b32 exec_lo, exec_lo, s0
	s_and_saveexec_b32 s0, vcc_lo
	s_cbranch_execz .LBB44_297
.LBB44_428:
	ds_load_b32 v65, v64 offset:768
	s_wait_dscnt 0x0
	v_add_f32_e32 v38, v38, v65
	s_or_b32 exec_lo, exec_lo, s0
	s_and_saveexec_b32 s0, vcc_lo
	s_cbranch_execz .LBB44_298
.LBB44_429:
	ds_load_b32 v65, v64 offset:784
	s_wait_dscnt 0x0
	v_add_f32_e32 v39, v39, v65
	s_or_b32 exec_lo, exec_lo, s0
	s_and_saveexec_b32 s0, vcc_lo
	s_cbranch_execz .LBB44_299
.LBB44_430:
	ds_load_b32 v65, v64 offset:800
	s_wait_dscnt 0x0
	v_add_f32_e32 v36, v36, v65
	s_or_b32 exec_lo, exec_lo, s0
	s_and_saveexec_b32 s0, vcc_lo
	s_cbranch_execz .LBB44_300
.LBB44_431:
	ds_load_b32 v65, v64 offset:816
	s_wait_dscnt 0x0
	v_add_f32_e32 v37, v37, v65
	s_or_b32 exec_lo, exec_lo, s0
	s_and_saveexec_b32 s0, vcc_lo
	s_cbranch_execz .LBB44_301
.LBB44_432:
	ds_load_b32 v65, v64 offset:832
	s_wait_dscnt 0x0
	v_add_f32_e32 v34, v34, v65
	s_or_b32 exec_lo, exec_lo, s0
	s_and_saveexec_b32 s0, vcc_lo
	s_cbranch_execz .LBB44_302
.LBB44_433:
	ds_load_b32 v65, v64 offset:848
	s_wait_dscnt 0x0
	v_add_f32_e32 v35, v35, v65
	s_or_b32 exec_lo, exec_lo, s0
	s_and_saveexec_b32 s0, vcc_lo
	s_cbranch_execz .LBB44_303
.LBB44_434:
	ds_load_b32 v65, v64 offset:864
	s_wait_dscnt 0x0
	v_add_f32_e32 v32, v32, v65
	s_or_b32 exec_lo, exec_lo, s0
	s_and_saveexec_b32 s0, vcc_lo
	s_cbranch_execz .LBB44_304
.LBB44_435:
	ds_load_b32 v65, v64 offset:880
	s_wait_dscnt 0x0
	v_add_f32_e32 v33, v33, v65
	s_or_b32 exec_lo, exec_lo, s0
	s_and_saveexec_b32 s0, vcc_lo
	s_cbranch_execz .LBB44_305
.LBB44_436:
	ds_load_b32 v65, v64 offset:896
	s_wait_dscnt 0x0
	v_add_f32_e32 v30, v30, v65
	s_or_b32 exec_lo, exec_lo, s0
	s_and_saveexec_b32 s0, vcc_lo
	s_cbranch_execz .LBB44_306
.LBB44_437:
	ds_load_b32 v65, v64 offset:912
	s_wait_dscnt 0x0
	v_add_f32_e32 v31, v31, v65
	s_or_b32 exec_lo, exec_lo, s0
	s_and_saveexec_b32 s0, vcc_lo
	s_cbranch_execz .LBB44_307
.LBB44_438:
	ds_load_b32 v65, v64 offset:928
	s_wait_dscnt 0x0
	v_add_f32_e32 v28, v28, v65
	s_or_b32 exec_lo, exec_lo, s0
	s_and_saveexec_b32 s0, vcc_lo
	s_cbranch_execz .LBB44_308
.LBB44_439:
	ds_load_b32 v65, v64 offset:944
	s_wait_dscnt 0x0
	v_add_f32_e32 v29, v29, v65
	s_or_b32 exec_lo, exec_lo, s0
	s_and_saveexec_b32 s0, vcc_lo
	s_cbranch_execz .LBB44_309
.LBB44_440:
	ds_load_b32 v65, v64 offset:960
	s_wait_dscnt 0x0
	v_add_f32_e32 v46, v46, v65
	s_or_b32 exec_lo, exec_lo, s0
	s_and_saveexec_b32 s0, vcc_lo
	s_cbranch_execz .LBB44_310
.LBB44_441:
	ds_load_b32 v65, v64 offset:976
	s_wait_dscnt 0x0
	v_add_f32_e32 v47, v47, v65
	s_or_b32 exec_lo, exec_lo, s0
	s_and_saveexec_b32 s0, vcc_lo
	s_cbranch_execz .LBB44_311
.LBB44_442:
	ds_load_b32 v65, v64 offset:992
	s_wait_dscnt 0x0
	v_add_f32_e32 v52, v52, v65
	s_or_b32 exec_lo, exec_lo, s0
	s_and_saveexec_b32 s0, vcc_lo
	s_cbranch_execnz .LBB44_312
	s_branch .LBB44_313
	.section	.rodata,"a",@progbits
	.p2align	6, 0x0
	.amdhsa_kernel _ZN4vllm25paged_attention_v1_kernelIffLi256ELi32ELi128ELNS_18Fp8KVCacheDataTypeE0ELb1EEEvPT_PKS2_PKT0_S8_ifPKiSA_iPKfiiiSC_SC_iiiii
		.amdhsa_group_segment_fixed_size 1056
		.amdhsa_private_segment_fixed_size 932
		.amdhsa_kernarg_size 384
		.amdhsa_user_sgpr_count 2
		.amdhsa_user_sgpr_dispatch_ptr 0
		.amdhsa_user_sgpr_queue_ptr 0
		.amdhsa_user_sgpr_kernarg_segment_ptr 1
		.amdhsa_user_sgpr_dispatch_id 0
		.amdhsa_user_sgpr_kernarg_preload_length 0
		.amdhsa_user_sgpr_kernarg_preload_offset 0
		.amdhsa_user_sgpr_private_segment_size 0
		.amdhsa_wavefront_size32 1
		.amdhsa_uses_dynamic_stack 0
		.amdhsa_enable_private_segment 1
		.amdhsa_system_sgpr_workgroup_id_x 1
		.amdhsa_system_sgpr_workgroup_id_y 1
		.amdhsa_system_sgpr_workgroup_id_z 1
		.amdhsa_system_sgpr_workgroup_info 0
		.amdhsa_system_vgpr_workitem_id 0
		.amdhsa_next_free_vgpr 128
		.amdhsa_next_free_sgpr 38
		.amdhsa_named_barrier_count 0
		.amdhsa_reserve_vcc 1
		.amdhsa_float_round_mode_32 0
		.amdhsa_float_round_mode_16_64 0
		.amdhsa_float_denorm_mode_32 3
		.amdhsa_float_denorm_mode_16_64 3
		.amdhsa_fp16_overflow 0
		.amdhsa_memory_ordered 1
		.amdhsa_forward_progress 1
		.amdhsa_inst_pref_size 247
		.amdhsa_round_robin_scheduling 0
		.amdhsa_exception_fp_ieee_invalid_op 0
		.amdhsa_exception_fp_denorm_src 0
		.amdhsa_exception_fp_ieee_div_zero 0
		.amdhsa_exception_fp_ieee_overflow 0
		.amdhsa_exception_fp_ieee_underflow 0
		.amdhsa_exception_fp_ieee_inexact 0
		.amdhsa_exception_int_div_zero 0
	.end_amdhsa_kernel
	.section	.text._ZN4vllm25paged_attention_v1_kernelIffLi256ELi32ELi128ELNS_18Fp8KVCacheDataTypeE0ELb1EEEvPT_PKS2_PKT0_S8_ifPKiSA_iPKfiiiSC_SC_iiiii,"axG",@progbits,_ZN4vllm25paged_attention_v1_kernelIffLi256ELi32ELi128ELNS_18Fp8KVCacheDataTypeE0ELb1EEEvPT_PKS2_PKT0_S8_ifPKiSA_iPKfiiiSC_SC_iiiii,comdat
.Lfunc_end44:
	.size	_ZN4vllm25paged_attention_v1_kernelIffLi256ELi32ELi128ELNS_18Fp8KVCacheDataTypeE0ELb1EEEvPT_PKS2_PKT0_S8_ifPKiSA_iPKfiiiSC_SC_iiiii, .Lfunc_end44-_ZN4vllm25paged_attention_v1_kernelIffLi256ELi32ELi128ELNS_18Fp8KVCacheDataTypeE0ELb1EEEvPT_PKS2_PKT0_S8_ifPKiSA_iPKfiiiSC_SC_iiiii
                                        ; -- End function
	.set _ZN4vllm25paged_attention_v1_kernelIffLi256ELi32ELi128ELNS_18Fp8KVCacheDataTypeE0ELb1EEEvPT_PKS2_PKT0_S8_ifPKiSA_iPKfiiiSC_SC_iiiii.num_vgpr, 128
	.set _ZN4vllm25paged_attention_v1_kernelIffLi256ELi32ELi128ELNS_18Fp8KVCacheDataTypeE0ELb1EEEvPT_PKS2_PKT0_S8_ifPKiSA_iPKfiiiSC_SC_iiiii.num_agpr, 0
	.set _ZN4vllm25paged_attention_v1_kernelIffLi256ELi32ELi128ELNS_18Fp8KVCacheDataTypeE0ELb1EEEvPT_PKS2_PKT0_S8_ifPKiSA_iPKfiiiSC_SC_iiiii.numbered_sgpr, 38
	.set _ZN4vllm25paged_attention_v1_kernelIffLi256ELi32ELi128ELNS_18Fp8KVCacheDataTypeE0ELb1EEEvPT_PKS2_PKT0_S8_ifPKiSA_iPKfiiiSC_SC_iiiii.num_named_barrier, 0
	.set _ZN4vllm25paged_attention_v1_kernelIffLi256ELi32ELi128ELNS_18Fp8KVCacheDataTypeE0ELb1EEEvPT_PKS2_PKT0_S8_ifPKiSA_iPKfiiiSC_SC_iiiii.private_seg_size, 932
	.set _ZN4vllm25paged_attention_v1_kernelIffLi256ELi32ELi128ELNS_18Fp8KVCacheDataTypeE0ELb1EEEvPT_PKS2_PKT0_S8_ifPKiSA_iPKfiiiSC_SC_iiiii.uses_vcc, 1
	.set _ZN4vllm25paged_attention_v1_kernelIffLi256ELi32ELi128ELNS_18Fp8KVCacheDataTypeE0ELb1EEEvPT_PKS2_PKT0_S8_ifPKiSA_iPKfiiiSC_SC_iiiii.uses_flat_scratch, 1
	.set _ZN4vllm25paged_attention_v1_kernelIffLi256ELi32ELi128ELNS_18Fp8KVCacheDataTypeE0ELb1EEEvPT_PKS2_PKT0_S8_ifPKiSA_iPKfiiiSC_SC_iiiii.has_dyn_sized_stack, 0
	.set _ZN4vllm25paged_attention_v1_kernelIffLi256ELi32ELi128ELNS_18Fp8KVCacheDataTypeE0ELb1EEEvPT_PKS2_PKT0_S8_ifPKiSA_iPKfiiiSC_SC_iiiii.has_recursion, 0
	.set _ZN4vllm25paged_attention_v1_kernelIffLi256ELi32ELi128ELNS_18Fp8KVCacheDataTypeE0ELb1EEEvPT_PKS2_PKT0_S8_ifPKiSA_iPKfiiiSC_SC_iiiii.has_indirect_call, 0
	.section	.AMDGPU.csdata,"",@progbits
; Kernel info:
; codeLenInByte = 31616
; TotalNumSgprs: 40
; NumVgprs: 128
; ScratchSize: 932
; MemoryBound: 0
; FloatMode: 240
; IeeeMode: 1
; LDSByteSize: 1056 bytes/workgroup (compile time only)
; SGPRBlocks: 0
; VGPRBlocks: 7
; NumSGPRsForWavesPerEU: 40
; NumVGPRsForWavesPerEU: 128
; NamedBarCnt: 0
; Occupancy: 8
; WaveLimiterHint : 1
; COMPUTE_PGM_RSRC2:SCRATCH_EN: 1
; COMPUTE_PGM_RSRC2:USER_SGPR: 2
; COMPUTE_PGM_RSRC2:TRAP_HANDLER: 0
; COMPUTE_PGM_RSRC2:TGID_X_EN: 1
; COMPUTE_PGM_RSRC2:TGID_Y_EN: 1
; COMPUTE_PGM_RSRC2:TGID_Z_EN: 1
; COMPUTE_PGM_RSRC2:TIDIG_COMP_CNT: 0
	.section	.text._ZN4vllm25paged_attention_v1_kernelIffLi32ELi32ELi128ELNS_18Fp8KVCacheDataTypeE0ELb0EEEvPT_PKS2_PKT0_S8_ifPKiSA_iPKfiiiSC_SC_iiiii,"axG",@progbits,_ZN4vllm25paged_attention_v1_kernelIffLi32ELi32ELi128ELNS_18Fp8KVCacheDataTypeE0ELb0EEEvPT_PKS2_PKT0_S8_ifPKiSA_iPKfiiiSC_SC_iiiii,comdat
	.protected	_ZN4vllm25paged_attention_v1_kernelIffLi32ELi32ELi128ELNS_18Fp8KVCacheDataTypeE0ELb0EEEvPT_PKS2_PKT0_S8_ifPKiSA_iPKfiiiSC_SC_iiiii ; -- Begin function _ZN4vllm25paged_attention_v1_kernelIffLi32ELi32ELi128ELNS_18Fp8KVCacheDataTypeE0ELb0EEEvPT_PKS2_PKT0_S8_ifPKiSA_iPKfiiiSC_SC_iiiii
	.globl	_ZN4vllm25paged_attention_v1_kernelIffLi32ELi32ELi128ELNS_18Fp8KVCacheDataTypeE0ELb0EEEvPT_PKS2_PKT0_S8_ifPKiSA_iPKfiiiSC_SC_iiiii
	.p2align	8
	.type	_ZN4vllm25paged_attention_v1_kernelIffLi32ELi32ELi128ELNS_18Fp8KVCacheDataTypeE0ELb0EEEvPT_PKS2_PKT0_S8_ifPKiSA_iPKfiiiSC_SC_iiiii,@function
_ZN4vllm25paged_attention_v1_kernelIffLi32ELi32ELi128ELNS_18Fp8KVCacheDataTypeE0ELb0EEEvPT_PKS2_PKT0_S8_ifPKiSA_iPKfiiiSC_SC_iiiii: ; @_ZN4vllm25paged_attention_v1_kernelIffLi32ELi32ELi128ELNS_18Fp8KVCacheDataTypeE0ELb0EEEvPT_PKS2_PKT0_S8_ifPKiSA_iPKfiiiSC_SC_iiiii
; %bb.0:
	s_load_b64 s[6:7], s[0:1], 0x20
	s_bfe_u32 s3, ttmp6, 0x4000c
	s_bfe_u32 s5, ttmp6, 0x40010
	s_and_b32 s4, ttmp7, 0xffff
	s_add_co_i32 s3, s3, 1
	s_add_co_i32 s5, s5, 1
	s_and_b32 s2, ttmp6, 15
	s_bfe_u32 s8, ttmp6, 0x40004
	s_mul_i32 s3, ttmp9, s3
	s_mul_i32 s5, s4, s5
	s_getreg_b32 s18, hwreg(HW_REG_IB_STS2, 6, 4)
	s_add_co_i32 s2, s2, s3
	s_add_co_i32 s8, s8, s5
	s_cmp_eq_u32 s18, 0
	s_clause 0x1
	s_load_b32 s19, s[0:1], 0x80
	s_load_b64 s[10:11], s[0:1], 0x30
	s_cselect_b32 s20, s4, s8
	s_cselect_b32 s8, ttmp9, s2
	s_wait_kmcnt 0x0
	s_abs_i32 s2, s6
	s_delay_alu instid0(SALU_CYCLE_1) | instskip(SKIP_1) | instid1(SALU_CYCLE_2)
	s_cvt_f32_u32 s3, s2
	s_sub_co_i32 s4, 0, s2
	v_rcp_iflag_f32_e32 v1, s3
	s_abs_i32 s5, s19
	v_nop
	s_delay_alu instid0(TRANS32_DEP_1) | instskip(SKIP_1) | instid1(SALU_CYCLE_3)
	v_readfirstlane_b32 s3, v1
	s_mul_f32 s3, s3, 0x4f7ffffe
	s_cvt_u32_f32 s3, s3
	s_delay_alu instid0(SALU_CYCLE_3) | instskip(NEXT) | instid1(SALU_CYCLE_1)
	s_mul_i32 s4, s4, s3
	s_mul_hi_u32 s4, s3, s4
	s_delay_alu instid0(SALU_CYCLE_1) | instskip(SKIP_4) | instid1(SALU_CYCLE_1)
	s_add_co_i32 s3, s3, s4
	s_xor_b32 s4, s19, s6
	s_mul_hi_u32 s3, s5, s3
	s_ashr_i32 s4, s4, 31
	s_mul_i32 s6, s3, s2
	s_sub_co_i32 s5, s5, s6
	s_add_co_i32 s6, s3, 1
	s_sub_co_i32 s9, s5, s2
	s_cmp_ge_u32 s5, s2
	s_cselect_b32 s3, s6, s3
	s_cselect_b32 s5, s9, s5
	s_add_co_i32 s6, s3, 1
	s_cmp_ge_u32 s5, s2
	s_cselect_b32 s2, s6, s3
	s_mov_b32 s3, 0
	s_xor_b32 s2, s2, s4
	s_mov_b32 s13, s3
	s_sub_co_i32 s15, s2, s4
	s_load_b64 s[4:5], s[0:1], 0x40
	s_abs_i32 s14, s15
	s_mov_b32 s23, s3
	s_cvt_f32_u32 s2, s14
	s_delay_alu instid0(SALU_CYCLE_3) | instskip(SKIP_1) | instid1(TRANS32_DEP_1)
	v_rcp_iflag_f32_e32 v1, s2
	v_nop
	v_readfirstlane_b32 s2, v1
	s_mul_f32 s2, s2, 0x4f7ffffe
	s_delay_alu instid0(SALU_CYCLE_3) | instskip(SKIP_1) | instid1(SALU_CYCLE_2)
	s_cvt_u32_f32 s6, s2
	s_sub_co_i32 s2, 0, s14
	s_mul_i32 s2, s2, s6
	s_delay_alu instid0(SALU_CYCLE_1)
	s_mul_hi_u32 s9, s6, s2
	s_abs_i32 s2, s8
	s_add_co_i32 s12, s6, s9
	s_wait_kmcnt 0x0
	s_cmp_eq_u64 s[4:5], 0
	s_cbranch_scc1 .LBB45_2
; %bb.1:
	s_ashr_i32 s9, s8, 31
	s_delay_alu instid0(SALU_CYCLE_1) | instskip(NEXT) | instid1(SALU_CYCLE_1)
	s_lshl_b64 s[16:17], s[8:9], 2
	s_add_nc_u64 s[4:5], s[4:5], s[16:17]
	s_load_b32 s23, s[4:5], 0x0
.LBB45_2:
	s_load_b32 s21, s[10:11], s20 offset:0x0 scale_offset
	s_wait_xcnt 0x0
	s_load_b96 s[4:6], s[0:1], 0x48
	v_lshlrev_b32_e32 v46, 4, v0
	s_ashr_i32 s10, s8, 31
	s_ashr_i32 s11, s15, 31
	s_mul_u64 s[12:13], s[2:3], s[12:13]
	s_lshl_b32 s8, s8, 5
	s_mov_b32 s3, exec_lo
	v_cmpx_gt_u32_e32 8, v0
	s_cbranch_execz .LBB45_4
; %bb.3:
	s_load_b64 s[16:17], s[0:1], 0x8
	s_wait_kmcnt 0x0
	s_mul_i32 s24, s4, s20
	s_ashr_i32 s9, s8, 31
	s_ashr_i32 s25, s24, 31
	s_delay_alu instid0(SALU_CYCLE_1) | instskip(NEXT) | instid1(SALU_CYCLE_1)
	s_lshl_b64 s[24:25], s[24:25], 2
	s_add_nc_u64 s[16:17], s[16:17], s[24:25]
	s_lshl_b64 s[24:25], s[8:9], 2
	s_delay_alu instid0(SALU_CYCLE_1)
	s_add_nc_u64 s[16:17], s[16:17], s[24:25]
	global_load_b128 v[2:5], v0, s[16:17] scale_offset
	s_wait_loadcnt 0x0
	ds_store_b128 v46, v[2:5]
.LBB45_4:
	s_or_b32 exec_lo, exec_lo, s3
	s_wait_kmcnt 0x0
	s_add_co_i32 s3, s21, 31
	s_load_b32 s4, s[0:1], 0x38
	s_ashr_i32 s9, s3, 31
	s_xor_b32 s12, s10, s11
	s_lshr_b32 s9, s9, 27
	s_mul_i32 s10, s13, s14
	s_add_co_i32 s3, s3, s9
	s_sub_co_i32 s2, s2, s10
	s_clause 0x1
	s_load_b64 s[10:11], s[0:1], 0x28
	s_load_b32 s9, s[0:1], 0x88
	s_ashr_i32 s22, s3, 5
	s_add_co_i32 s3, s13, 1
	s_sub_co_i32 s15, s2, s14
	s_cmp_ge_u32 s2, s14
	v_dual_lshrrev_b32 v1, 5, v0 :: v_dual_bitop2_b32 v50, 31, v0 bitop3:0x40
	s_cselect_b32 s3, s3, s13
	s_cselect_b32 s2, s15, s2
	s_add_co_i32 s13, s3, 1
	s_cmp_ge_u32 s2, s14
	v_dual_mov_b32 v39, 0xff7fffff :: v_dual_lshlrev_b32 v38, 2, v50
	s_cselect_b32 s2, s13, s3
	v_lshrrev_b32_e32 v48, 3, v0
	s_xor_b32 s2, s2, s12
	s_wait_dscnt 0x0
	s_sub_co_i32 s3, s2, s12
	v_cmp_gt_i32_e64 s2, s22, v1
	s_wait_kmcnt 0x0
	s_mul_i32 s12, s4, s20
	s_mul_i32 s14, s3, s6
	s_ashr_i32 s13, s12, 31
	s_barrier_signal -1
	s_barrier_wait -1
	s_and_saveexec_b32 s6, s2
	s_cbranch_execz .LBB45_8
; %bb.5:
	s_load_b64 s[24:25], s[0:1], 0x10
	v_dual_mov_b32 v37, 0 :: v_dual_lshlrev_b32 v36, 4, v50
	s_ashr_i32 s15, s14, 31
	s_ashr_i32 s17, s5, 31
	ds_load_b128 v[2:5], v37
	ds_load_b128 v[6:9], v37 offset:16
	ds_load_b128 v[10:13], v37 offset:32
	;; [unrolled: 1-line block ×7, first 2 shown]
	s_lshl_b64 s[26:27], s[14:15], 2
	s_cmp_neq_f32 s23, 0
	v_lshl_or_b32 v39, v1, 7, v38
	v_lshl_or_b32 v40, v1, 5, v50
	v_mov_b32_e32 v42, v1
	s_cselect_b32 vcc_lo, -1, 0
	s_mov_b32 s16, s5
	v_add_nc_u32_e32 v41, 0xa0, v39
	v_mov_b32_e32 v39, 0xff7fffff
	s_mov_b32 s15, 0
	s_wait_kmcnt 0x0
	s_add_nc_u64 s[24:25], s[24:25], s[26:27]
	s_delay_alu instid0(SALU_CYCLE_1) | instskip(SKIP_2) | instid1(SALU_CYCLE_1)
	v_add_nc_u64_e32 v[34:35], s[24:25], v[36:37]
	v_and_b32_e32 v36, 0x7c, v48
	s_lshl_b64 s[24:25], s[12:13], 2
	s_add_nc_u64 s[24:25], s[10:11], s[24:25]
	s_delay_alu instid0(VALU_DEP_1) | instid1(SALU_CYCLE_1)
	v_add_nc_u64_e32 v[36:37], s[24:25], v[36:37]
	s_sub_co_i32 s24, 1, s21
.LBB45_6:                               ; =>This Inner Loop Header: Depth=1
	global_load_b32 v44, v[36:37], off
	v_add_nc_u32_e32 v43, s24, v40
	v_cmp_gt_i32_e64 s3, s21, v40
	s_wait_xcnt 0x0
	v_add_nc_u64_e32 v[36:37], 16, v[36:37]
	v_add_nc_u32_e32 v40, 0x80, v40
	v_cvt_f32_i32_e32 v43, v43
	s_delay_alu instid0(VALU_DEP_1) | instskip(SKIP_1) | instid1(VALU_DEP_1)
	v_mul_f32_e32 v43, s23, v43
	s_wait_loadcnt 0x0
	v_dual_cndmask_b32 v43, 0, v43, vcc_lo :: v_dual_ashrrev_i32 v45, 31, v44
	s_delay_alu instid0(VALU_DEP_1) | instskip(NEXT) | instid1(VALU_DEP_1)
	v_mul_u64_e32 v[44:45], s[16:17], v[44:45]
	v_lshl_add_u64 v[44:45], v[44:45], 2, v[34:35]
	s_clause 0x3
	global_load_b128 v[52:55], v[44:45], off offset:512
	global_load_b128 v[56:59], v[44:45], off
	global_load_b128 v[60:63], v[44:45], off offset:1024
	global_load_b128 v[64:67], v[44:45], off offset:1536
	s_wait_loadcnt_dscnt 0x306
	v_pk_mul_f32 v[52:53], v[6:7], v[52:53]
	v_pk_mul_f32 v[54:55], v[8:9], v[54:55]
	s_wait_loadcnt 0x2
	s_delay_alu instid0(VALU_DEP_2) | instskip(NEXT) | instid1(VALU_DEP_2)
	v_pk_fma_f32 v[56:57], v[2:3], v[56:57], v[52:53]
	v_pk_fma_f32 v[58:59], v[4:5], v[58:59], v[54:55]
	global_load_b128 v[52:55], v[44:45], off offset:2048
	s_wait_loadcnt_dscnt 0x205
	v_pk_fma_f32 v[60:61], v[10:11], v[60:61], v[56:57]
	v_pk_fma_f32 v[62:63], v[12:13], v[62:63], v[58:59]
	global_load_b128 v[56:59], v[44:45], off offset:2560
	s_wait_loadcnt_dscnt 0x204
	v_pk_fma_f32 v[68:69], v[14:15], v[64:65], v[60:61]
	v_pk_fma_f32 v[70:71], v[16:17], v[66:67], v[62:63]
	s_clause 0x1
	global_load_b128 v[60:63], v[44:45], off offset:3072
	global_load_b128 v[64:67], v[44:45], off offset:3584
	s_wait_loadcnt_dscnt 0x303
	s_wait_xcnt 0x0
	v_pk_fma_f32 v[44:45], v[18:19], v[52:53], v[68:69]
	v_pk_fma_f32 v[52:53], v[20:21], v[54:55], v[70:71]
	s_wait_loadcnt_dscnt 0x202
	s_delay_alu instid0(VALU_DEP_2) | instskip(NEXT) | instid1(VALU_DEP_2)
	v_pk_fma_f32 v[44:45], v[22:23], v[56:57], v[44:45]
	v_pk_fma_f32 v[52:53], v[24:25], v[58:59], v[52:53]
	s_wait_loadcnt_dscnt 0x101
	s_delay_alu instid0(VALU_DEP_2) | instskip(NEXT) | instid1(VALU_DEP_2)
	v_pk_fma_f32 v[44:45], v[26:27], v[60:61], v[44:45]
	v_pk_fma_f32 v[52:53], v[28:29], v[62:63], v[52:53]
	s_wait_loadcnt_dscnt 0x0
	s_delay_alu instid0(VALU_DEP_2) | instskip(NEXT) | instid1(VALU_DEP_2)
	v_pk_fma_f32 v[44:45], v[30:31], v[64:65], v[44:45]
	v_pk_fma_f32 v[52:53], v[32:33], v[66:67], v[52:53]
	s_delay_alu instid0(VALU_DEP_2) | instskip(NEXT) | instid1(VALU_DEP_1)
	v_dual_add_f32 v44, v44, v45 :: v_dual_max_num_f32 v45, v39, v39
	v_add_f32_e32 v44, v52, v44
	s_delay_alu instid0(VALU_DEP_1) | instskip(NEXT) | instid1(VALU_DEP_1)
	v_dual_add_f32 v44, v53, v44 :: v_dual_add_nc_u32 v42, 4, v42
	v_fmac_f32_e32 v43, s7, v44
	s_delay_alu instid0(VALU_DEP_2) | instskip(NEXT) | instid1(VALU_DEP_2)
	v_cmp_le_i32_e64 s4, s22, v42
	v_dual_max_num_f32 v44, v45, v43 :: v_dual_cndmask_b32 v43, 0, v43, s3
	s_or_b32 s15, s4, s15
	s_delay_alu instid0(VALU_DEP_1)
	v_cndmask_b32_e64 v39, v39, v44, s3
	ds_store_b32 v41, v43
	v_add_nc_u32_e32 v41, 0x200, v41
	s_and_not1_b32 exec_lo, exec_lo, s15
	s_cbranch_execnz .LBB45_6
; %bb.7:
	s_or_b32 exec_lo, exec_lo, s15
.LBB45_8:
	s_delay_alu instid0(SALU_CYCLE_1) | instskip(SKIP_4) | instid1(VALU_DEP_1)
	s_or_b32 exec_lo, exec_lo, s6
	v_mbcnt_lo_u32_b32 v4, -1, 0
	s_clause 0x1
	s_load_b64 s[6:7], s[0:1], 0x0
	s_load_b64 s[16:17], s[0:1], 0x18
	v_dual_max_num_f32 v6, v39, v39 :: v_dual_bitop2_b32 v2, 16, v4 bitop3:0x14
	v_xor_b32_e32 v5, 8, v4
	s_delay_alu instid0(VALU_DEP_2) | instskip(SKIP_1) | instid1(VALU_DEP_3)
	v_cmp_gt_i32_e32 vcc_lo, 32, v2
	v_cndmask_b32_e32 v2, v4, v2, vcc_lo
	v_cmp_gt_i32_e32 vcc_lo, 32, v5
	s_delay_alu instid0(VALU_DEP_2) | instskip(SKIP_3) | instid1(VALU_DEP_1)
	v_dual_cndmask_b32 v5, v4, v5 :: v_dual_lshlrev_b32 v2, 2, v2
	ds_bpermute_b32 v3, v2, v39
	s_wait_dscnt 0x0
	v_dual_max_num_f32 v7, v3, v3 :: v_dual_lshlrev_b32 v3, 2, v5
	v_dual_max_num_f32 v5, v6, v7 :: v_dual_bitop2_b32 v7, 4, v4 bitop3:0x14
	ds_bpermute_b32 v6, v3, v5
	v_cmp_gt_i32_e32 vcc_lo, 32, v7
	s_wait_dscnt 0x0
	v_dual_cndmask_b32 v7, v4, v7 :: v_dual_max_num_f32 v6, v6, v6
	s_delay_alu instid0(VALU_DEP_1) | instskip(SKIP_3) | instid1(VALU_DEP_1)
	v_dual_lshlrev_b32 v53, 2, v7 :: v_dual_max_num_f32 v5, v5, v6
	ds_bpermute_b32 v6, v53, v5
	s_wait_dscnt 0x0
	v_dual_max_num_f32 v6, v6, v6 :: v_dual_bitop2_b32 v7, 2, v4 bitop3:0x14
	v_cmp_gt_i32_e32 vcc_lo, 32, v7
	s_delay_alu instid0(VALU_DEP_2) | instskip(NEXT) | instid1(VALU_DEP_1)
	v_dual_max_num_f32 v5, v5, v6 :: v_dual_cndmask_b32 v7, v4, v7, vcc_lo
	v_dual_lshlrev_b32 v52, 2, v7 :: v_dual_bitop2_b32 v7, 1, v4 bitop3:0x14
	ds_bpermute_b32 v6, v52, v5
	v_cmp_gt_i32_e32 vcc_lo, 32, v7
	v_cndmask_b32_e32 v4, v4, v7, vcc_lo
	v_cmp_eq_u32_e32 vcc_lo, 0, v50
	s_delay_alu instid0(VALU_DEP_2) | instskip(SKIP_2) | instid1(VALU_DEP_1)
	v_dual_lshlrev_b32 v51, 2, v4 :: v_dual_lshlrev_b32 v4, 2, v1
	s_wait_dscnt 0x0
	v_max_num_f32_e32 v6, v6, v6
	v_max_num_f32_e32 v5, v5, v6
	ds_bpermute_b32 v6, v51, v5
	s_wait_xcnt 0x0
	s_and_saveexec_b32 s0, vcc_lo
	s_cbranch_execz .LBB45_10
; %bb.9:
	s_wait_dscnt 0x0
	v_dual_max_num_f32 v6, v6, v6 :: v_dual_max_num_f32 v5, v5, v5
	s_delay_alu instid0(VALU_DEP_1)
	v_max_num_f32_e32 v5, v5, v6
	ds_store_b32 v4, v5 offset:128
.LBB45_10:
	s_or_b32 exec_lo, exec_lo, s0
	v_cmp_gt_u32_e64 s0, 4, v50
	v_mov_b32_e32 v5, 0xff7fffff
	s_wait_dscnt 0x0
	s_barrier_signal -1
	s_barrier_wait -1
	s_and_saveexec_b32 s1, s0
; %bb.11:
	ds_load_b32 v5, v38 offset:128
; %bb.12:
	s_or_b32 exec_lo, exec_lo, s1
	s_wait_dscnt 0x0
	ds_bpermute_b32 v6, v52, v5
	v_max_num_f32_e32 v5, v5, v5
	s_lshl_b32 s1, s22, 5
	s_delay_alu instid0(SALU_CYCLE_1) | instskip(NEXT) | instid1(SALU_CYCLE_1)
	s_min_i32 s4, s1, s21
	v_cmp_gt_i32_e64 s1, s4, v0
	s_wait_dscnt 0x0
	v_max_num_f32_e32 v6, v6, v6
	s_delay_alu instid0(VALU_DEP_1) | instskip(SKIP_3) | instid1(VALU_DEP_1)
	v_max_num_f32_e32 v5, v5, v6
	ds_bpermute_b32 v6, v51, v5
	s_wait_dscnt 0x0
	v_max_num_f32_e32 v6, v6, v6
	v_dual_max_num_f32 v6, v5, v6 :: v_dual_mov_b32 v5, 0
	ds_bpermute_b32 v6, v5, v6
	s_and_saveexec_b32 s15, s1
	s_cbranch_execz .LBB45_16
; %bb.13:
	v_lshl_add_u32 v7, v0, 2, 0xa0
	v_dual_mov_b32 v5, 0 :: v_dual_mov_b32 v8, v0
	s_mov_b32 s23, 0
.LBB45_14:                              ; =>This Inner Loop Header: Depth=1
	ds_load_b32 v9, v7
	v_add_nc_u32_e32 v8, 0x80, v8
	s_delay_alu instid0(VALU_DEP_1) | instskip(SKIP_3) | instid1(VALU_DEP_1)
	v_cmp_le_i32_e64 s3, s4, v8
	s_or_b32 s23, s3, s23
	s_wait_dscnt 0x0
	v_sub_f32_e32 v9, v9, v6
	v_mul_f32_e32 v9, 0x3fb8aa3b, v9
	s_delay_alu instid0(VALU_DEP_1)
	v_exp_f32_e32 v9, v9
	ds_store_b32 v7, v9
	v_nop
	v_add_f32_e32 v5, v5, v9
	v_add_nc_u32_e32 v7, 0x200, v7
	s_and_not1_b32 exec_lo, exec_lo, s23
	s_cbranch_execnz .LBB45_14
; %bb.15:
	s_or_b32 exec_lo, exec_lo, s23
.LBB45_16:
	s_delay_alu instid0(SALU_CYCLE_1)
	s_or_b32 exec_lo, exec_lo, s15
	ds_bpermute_b32 v2, v2, v5
	s_wait_dscnt 0x0
	v_add_f32_e32 v2, v5, v2
	ds_bpermute_b32 v3, v3, v2
	s_wait_dscnt 0x0
	v_add_f32_e32 v2, v2, v3
	;; [unrolled: 3-line block ×5, first 2 shown]
	s_and_saveexec_b32 s3, vcc_lo
; %bb.17:
	ds_store_b32 v4, v2 offset:144
; %bb.18:
	s_or_b32 exec_lo, exec_lo, s3
	s_wait_dscnt 0x0
	s_barrier_signal -1
	s_barrier_wait -1
	s_and_saveexec_b32 s3, s0
; %bb.19:
	ds_load_b32 v2, v38 offset:144
; %bb.20:
	s_or_b32 exec_lo, exec_lo, s3
	s_wait_dscnt 0x0
	ds_bpermute_b32 v3, v52, v2
	s_wait_dscnt 0x0
	v_dual_mov_b32 v39, 0 :: v_dual_add_f32 v2, v2, v3
	ds_bpermute_b32 v3, v51, v2
	s_wait_dscnt 0x0
	v_add_f32_e32 v2, v2, v3
	ds_bpermute_b32 v2, v39, v2
	s_and_saveexec_b32 s0, s1
	s_cbranch_execz .LBB45_33
; %bb.21:
	s_wait_dscnt 0x0
	v_add_f32_e32 v2, 0x358637bd, v2
	s_mov_b32 s3, -1
	s_mov_b32 s1, exec_lo
	s_delay_alu instid0(VALU_DEP_1) | instskip(NEXT) | instid1(VALU_DEP_1)
	v_div_scale_f32 v3, null, v2, v2, 1.0
	v_rcp_f32_e32 v5, v3
	v_nop
	s_delay_alu instid0(TRANS32_DEP_1) | instskip(NEXT) | instid1(VALU_DEP_1)
	v_fma_f32 v4, -v3, v5, 1.0
	v_fmac_f32_e32 v5, v4, v5
	v_div_scale_f32 v6, vcc_lo, 1.0, v2, 1.0
	s_delay_alu instid0(VALU_DEP_1) | instskip(NEXT) | instid1(VALU_DEP_1)
	v_mul_f32_e32 v7, v6, v5
	v_fma_f32 v4, -v3, v7, v6
	s_delay_alu instid0(VALU_DEP_1) | instskip(SKIP_1) | instid1(VALU_DEP_2)
	v_fmac_f32_e32 v7, v4, v5
	v_xad_u32 v4, v0, -1, s4
	v_fma_f32 v3, -v3, v7, v6
	s_delay_alu instid0(VALU_DEP_1) | instskip(NEXT) | instid1(VALU_DEP_1)
	v_div_fmas_f32 v3, v3, v5, v7
	v_div_fixup_f32 v2, v3, v2, 1.0
	v_mov_b32_e32 v3, v0
	v_cmpx_lt_u32_e32 0x7f, v4
	s_cbranch_execz .LBB45_30
; %bb.22:
	s_delay_alu instid0(VALU_DEP_3) | instskip(NEXT) | instid1(VALU_DEP_1)
	v_dual_mov_b32 v3, v2 :: v_dual_lshrrev_b32 v4, 7, v4
	v_dual_mov_b32 v8, 0 :: v_dual_add_nc_u32 v5, -1, v4
	s_delay_alu instid0(VALU_DEP_1) | instskip(SKIP_1) | instid1(VALU_DEP_2)
	v_lshrrev_b32_e32 v6, 1, v5
	v_cmp_lt_u32_e32 vcc_lo, 13, v5
	v_add_nc_u32_e32 v5, 1, v6
	s_and_saveexec_b32 s3, vcc_lo
	s_cbranch_execz .LBB45_26
; %bb.23:
	s_delay_alu instid0(VALU_DEP_1)
	v_and_b32_e32 v6, -8, v5
	v_lshl_add_u32 v7, v0, 2, 0xa0
	s_mov_b32 s15, 0
	s_mov_b32 s23, 0
.LBB45_24:                              ; =>This Inner Loop Header: Depth=1
	ds_load_2addr_stride64_b32 v[8:9], v7 offset1:2
	ds_load_2addr_stride64_b32 v[10:11], v7 offset0:4 offset1:6
	ds_load_2addr_stride64_b32 v[12:13], v7 offset0:8 offset1:10
	ds_load_2addr_stride64_b32 v[14:15], v7 offset0:12 offset1:14
	ds_load_2addr_stride64_b32 v[16:17], v7 offset0:16 offset1:18
	ds_load_2addr_stride64_b32 v[18:19], v7 offset0:20 offset1:22
	ds_load_2addr_stride64_b32 v[20:21], v7 offset0:24 offset1:26
	ds_load_2addr_stride64_b32 v[22:23], v7 offset0:28 offset1:30
	s_add_co_i32 s23, s23, 16
	v_add_nc_u32_e32 v6, -8, v6
	s_wait_dscnt 0x7
	v_pk_mul_f32 v[8:9], v[2:3], v[8:9]
	s_wait_dscnt 0x6
	v_pk_mul_f32 v[10:11], v[2:3], v[10:11]
	;; [unrolled: 2-line block ×8, first 2 shown]
	ds_store_2addr_stride64_b32 v7, v8, v9 offset1:2
	ds_store_2addr_stride64_b32 v7, v10, v11 offset0:4 offset1:6
	ds_store_2addr_stride64_b32 v7, v12, v13 offset0:8 offset1:10
	;; [unrolled: 1-line block ×7, first 2 shown]
	v_mov_b32_e32 v8, s23
	v_cmp_eq_u32_e32 vcc_lo, 0, v6
	v_add_nc_u32_e32 v7, 0x2000, v7
	s_or_b32 s15, vcc_lo, s15
	s_delay_alu instid0(SALU_CYCLE_1)
	s_and_not1_b32 exec_lo, exec_lo, s15
	s_cbranch_execnz .LBB45_24
; %bb.25:
	s_or_b32 exec_lo, exec_lo, s15
.LBB45_26:
	s_delay_alu instid0(SALU_CYCLE_1) | instskip(NEXT) | instid1(VALU_DEP_1)
	s_or_b32 exec_lo, exec_lo, s3
	v_and_b32_e32 v5, 7, v5
	s_mov_b32 s15, 0
	s_mov_b32 s3, exec_lo
	s_delay_alu instid0(VALU_DEP_1)
	v_cmpx_ne_u32_e32 0, v5
	s_cbranch_execz .LBB45_29
; %bb.27:
	v_lshlrev_b32_e32 v6, 9, v8
	v_lshlrev_b32_e32 v7, 2, v0
	s_delay_alu instid0(VALU_DEP_1)
	v_add3_u32 v6, v6, v7, 0xa0
.LBB45_28:                              ; =>This Inner Loop Header: Depth=1
	ds_load_2addr_stride64_b32 v[8:9], v6 offset1:2
	v_add_nc_u32_e32 v5, -1, v5
	s_delay_alu instid0(VALU_DEP_1)
	v_cmp_eq_u32_e32 vcc_lo, 0, v5
	s_or_b32 s15, vcc_lo, s15
	s_wait_dscnt 0x0
	v_pk_mul_f32 v[8:9], v[2:3], v[8:9]
	ds_store_2addr_stride64_b32 v6, v8, v9 offset1:2
	v_add_nc_u32_e32 v6, 0x400, v6
	s_and_not1_b32 exec_lo, exec_lo, s15
	s_cbranch_execnz .LBB45_28
.LBB45_29:
	s_or_b32 exec_lo, exec_lo, s3
	v_add_nc_u32_e32 v3, 1, v4
	s_delay_alu instid0(VALU_DEP_1) | instskip(NEXT) | instid1(VALU_DEP_1)
	v_and_b32_e32 v4, 0x3fffffe, v3
	v_cmp_ne_u32_e32 vcc_lo, v3, v4
	v_lshl_add_u32 v3, v4, 7, v0
	s_or_not1_b32 s3, vcc_lo, exec_lo
.LBB45_30:
	s_or_b32 exec_lo, exec_lo, s1
	s_delay_alu instid0(SALU_CYCLE_1)
	s_and_b32 exec_lo, exec_lo, s3
	s_cbranch_execz .LBB45_33
; %bb.31:
	v_lshl_add_u32 v4, v3, 2, 0xa0
	s_mov_b32 s1, 0
.LBB45_32:                              ; =>This Inner Loop Header: Depth=1
	ds_load_b32 v5, v4
	v_add_nc_u32_e32 v3, 0x80, v3
	s_delay_alu instid0(VALU_DEP_1)
	v_cmp_le_i32_e32 vcc_lo, s4, v3
	s_or_b32 s1, vcc_lo, s1
	s_wait_dscnt 0x0
	v_mul_f32_e32 v5, v2, v5
	ds_store_b32 v4, v5
	v_add_nc_u32_e32 v4, 0x200, v4
	s_and_not1_b32 exec_lo, exec_lo, s1
	s_cbranch_execnz .LBB45_32
.LBB45_33:
	s_or_b32 exec_lo, exec_lo, s0
	v_dual_mov_b32 v38, 0 :: v_dual_bitop2_b32 v54, 7, v0 bitop3:0x40
	v_dual_mov_b32 v41, 0 :: v_dual_mov_b32 v40, 0
	v_dual_mov_b32 v43, 0 :: v_dual_mov_b32 v42, 0
	v_dual_mov_b32 v45, 0 :: v_dual_mov_b32 v44, 0
	s_wait_dscnt 0x0
	s_barrier_signal -1
	s_barrier_wait -1
	s_and_saveexec_b32 s1, s2
	s_cbranch_execz .LBB45_53
; %bb.34:
	s_ashr_i32 s15, s14, 31
	v_dual_mov_b32 v39, 0 :: v_dual_lshlrev_b32 v2, 2, v0
	v_and_b32_e32 v38, 0x1f0, v46
	s_lshl_b64 s[14:15], s[14:15], 2
	v_lshlrev_b32_e32 v3, 4, v54
	s_wait_kmcnt 0x0
	s_add_nc_u64 s[14:15], s[16:17], s[14:15]
	s_ashr_i32 s3, s5, 31
	v_add_nc_u64_e32 v[46:47], s[14:15], v[38:39]
	v_and_b32_e32 v38, 0x7c, v48
	s_mov_b32 s2, s5
	s_lshl_b64 s[4:5], s[12:13], 2
	v_dual_mov_b32 v41, v39 :: v_dual_bitop2_b32 v2, 28, v2 bitop3:0x40
	v_lshl_or_b32 v3, v1, 7, v3
	s_add_nc_u64 s[4:5], s[10:11], s[4:5]
	v_dual_mov_b32 v40, v39 :: v_dual_mov_b32 v42, v39
	v_add_nc_u64_e32 v[48:49], s[4:5], v[38:39]
	s_delay_alu instid0(VALU_DEP_3)
	v_dual_mov_b32 v43, v39 :: v_dual_add_nc_u32 v56, 0xa0, v3
	v_mov_b32_e32 v38, v39
	v_lshl_or_b32 v55, v1, 5, v2
	v_dual_mov_b32 v45, v39 :: v_dual_mov_b32 v44, v39
	v_mov_b32_e32 v57, v1
	s_add_co_i32 s4, s22, -1
	s_mov_b32 s10, s21
	s_mov_b32 s5, 0
	s_branch .LBB45_36
.LBB45_35:                              ;   in Loop: Header=BB45_36 Depth=1
	s_or_b32 exec_lo, exec_lo, s0
	s_wait_loadcnt_dscnt 0x200
	v_mul_f32_e32 v26, v6, v26
	s_wait_loadcnt 0x1
	v_mul_f32_e32 v30, v6, v30
	v_add_nc_u64_e32 v[48:49], 16, v[48:49]
	v_add_nc_u32_e32 v55, 0x80, v55
	v_add_nc_u32_e32 v56, 0x200, v56
	v_fmac_f32_e32 v26, v7, v27
	v_dual_fmac_f32 v30, v7, v31 :: v_dual_mul_f32 v22, v6, v22
	v_mul_f32_e32 v14, v6, v14
	s_delay_alu instid0(VALU_DEP_3) | instskip(NEXT) | instid1(VALU_DEP_3)
	v_dual_mul_f32 v10, v6, v10 :: v_dual_fmac_f32 v26, v8, v28
	v_fmac_f32_e32 v30, v8, v32
	s_delay_alu instid0(VALU_DEP_4) | instskip(NEXT) | instid1(VALU_DEP_4)
	v_dual_fmac_f32 v22, v7, v23 :: v_dual_mul_f32 v23, v6, v18
	v_fmac_f32_e32 v14, v7, v15
	s_delay_alu instid0(VALU_DEP_4) | instskip(NEXT) | instid1(VALU_DEP_4)
	v_fmac_f32_e32 v26, v9, v29
	v_fmac_f32_e32 v30, v9, v33
	s_delay_alu instid0(VALU_DEP_4) | instskip(SKIP_3) | instid1(VALU_DEP_3)
	v_dual_fmac_f32 v22, v8, v24 :: v_dual_fmac_f32 v23, v7, v19
	v_mul_f32_e32 v24, v6, v2
	s_wait_loadcnt 0x0
	v_pk_mul_f32 v[18:19], v[6:7], v[34:35]
	v_dual_add_f32 v38, v38, v30 :: v_dual_fmac_f32 v22, v9, v25
	v_dual_fmac_f32 v23, v8, v20 :: v_dual_add_f32 v41, v41, v26
	v_fmac_f32_e32 v10, v7, v11
	s_delay_alu instid0(VALU_DEP_3) | instskip(SKIP_1) | instid1(VALU_DEP_4)
	v_dual_fmac_f32 v24, v7, v3 :: v_dual_add_f32 v40, v40, v22
	v_pk_mul_f32 v[2:3], v[8:9], v[36:37]
	v_dual_add_f32 v6, v19, v18 :: v_dual_fmac_f32 v23, v9, v21
	v_fmac_f32_e32 v14, v8, v16
	s_delay_alu instid0(VALU_DEP_2) | instskip(NEXT) | instid1(VALU_DEP_2)
	v_dual_fmac_f32 v10, v8, v12 :: v_dual_add_f32 v2, v2, v6
	v_dual_fmac_f32 v24, v8, v4 :: v_dual_fmac_f32 v14, v9, v17
	s_delay_alu instid0(VALU_DEP_2) | instskip(NEXT) | instid1(VALU_DEP_3)
	v_dual_add_f32 v43, v43, v23 :: v_dual_fmac_f32 v10, v9, v13
	v_dual_add_f32 v2, v3, v2 :: v_dual_add_nc_u32 v57, 4, v57
	s_delay_alu instid0(VALU_DEP_3) | instskip(NEXT) | instid1(VALU_DEP_3)
	v_dual_fmac_f32 v24, v9, v5 :: v_dual_add_f32 v42, v42, v14
	v_add_f32_e32 v45, v45, v10
	s_delay_alu instid0(VALU_DEP_3) | instskip(NEXT) | instid1(VALU_DEP_4)
	v_add_f32_e32 v39, v39, v2
	v_cmp_le_i32_e32 vcc_lo, s22, v57
	s_delay_alu instid0(VALU_DEP_4) | instskip(SKIP_1) | instid1(SALU_CYCLE_1)
	v_add_f32_e32 v44, v44, v24
	s_or_b32 s5, vcc_lo, s5
	s_and_not1_b32 exec_lo, exec_lo, s5
	s_cbranch_execz .LBB45_52
.LBB45_36:                              ; =>This Inner Loop Header: Depth=1
	global_load_b32 v2, v[48:49], off
	ds_load_b128 v[6:9], v56
	v_cmp_eq_u32_e32 vcc_lo, s4, v57
	v_or_b32_e32 v59, 3, v55
	v_dual_add_nc_u32 v60, 1, v55 :: v_dual_bitop2_b32 v58, 2, v55 bitop3:0x54
	s_wait_loadcnt 0x0
	v_ashrrev_i32_e32 v3, 31, v2
	s_delay_alu instid0(VALU_DEP_1) | instskip(NEXT) | instid1(VALU_DEP_1)
	v_mul_u64_e32 v[2:3], s[2:3], v[2:3]
	v_lshl_add_u64 v[34:35], v[2:3], 2, v[46:47]
	global_load_b128 v[2:5], v[34:35], off
	s_wait_xcnt 0x0
	s_and_saveexec_b32 s11, vcc_lo
	s_cbranch_execnz .LBB45_44
; %bb.37:                               ;   in Loop: Header=BB45_36 Depth=1
	s_or_b32 exec_lo, exec_lo, s11
	global_load_b128 v[10:13], v[34:35], off offset:512
	s_wait_xcnt 0x0
	s_and_saveexec_b32 s11, vcc_lo
	s_cbranch_execnz .LBB45_45
.LBB45_38:                              ;   in Loop: Header=BB45_36 Depth=1
	s_or_b32 exec_lo, exec_lo, s11
	global_load_b128 v[14:17], v[34:35], off offset:1024
	s_wait_xcnt 0x0
	s_and_saveexec_b32 s11, vcc_lo
	s_cbranch_execnz .LBB45_46
.LBB45_39:                              ;   in Loop: Header=BB45_36 Depth=1
	s_or_b32 exec_lo, exec_lo, s11
	global_load_b128 v[18:21], v[34:35], off offset:1536
	s_wait_xcnt 0x0
	s_and_saveexec_b32 s11, vcc_lo
	s_cbranch_execnz .LBB45_47
.LBB45_40:                              ;   in Loop: Header=BB45_36 Depth=1
	s_or_b32 exec_lo, exec_lo, s11
	global_load_b128 v[22:25], v[34:35], off offset:2048
	s_wait_xcnt 0x0
	s_and_saveexec_b32 s11, vcc_lo
	s_cbranch_execnz .LBB45_48
.LBB45_41:                              ;   in Loop: Header=BB45_36 Depth=1
	s_or_b32 exec_lo, exec_lo, s11
	global_load_b128 v[26:29], v[34:35], off offset:2560
	s_wait_xcnt 0x0
	s_and_saveexec_b32 s11, vcc_lo
	s_cbranch_execnz .LBB45_49
.LBB45_42:                              ;   in Loop: Header=BB45_36 Depth=1
	s_or_b32 exec_lo, exec_lo, s11
	global_load_b128 v[30:33], v[34:35], off offset:3072
	s_wait_xcnt 0x0
	s_and_saveexec_b32 s11, vcc_lo
	s_cbranch_execnz .LBB45_50
.LBB45_43:                              ;   in Loop: Header=BB45_36 Depth=1
	s_or_b32 exec_lo, exec_lo, s11
	global_load_b128 v[34:37], v[34:35], off offset:3584
	s_wait_xcnt 0x0
	s_and_saveexec_b32 s0, vcc_lo
	s_cbranch_execz .LBB45_35
	s_branch .LBB45_51
.LBB45_44:                              ;   in Loop: Header=BB45_36 Depth=1
	v_cmp_gt_i32_e64 s0, s10, v60
	s_wait_loadcnt 0x0
	s_delay_alu instid0(VALU_DEP_1) | instskip(SKIP_1) | instid1(VALU_DEP_1)
	v_cndmask_b32_e64 v3, 0, v3, s0
	v_cmp_gt_i32_e64 s0, s21, v55
	v_cndmask_b32_e64 v2, 0, v2, s0
	v_cmp_gt_i32_e64 s0, s10, v59
	s_delay_alu instid0(VALU_DEP_1) | instskip(SKIP_1) | instid1(VALU_DEP_1)
	v_cndmask_b32_e64 v5, 0, v5, s0
	v_cmp_gt_i32_e64 s0, s21, v58
	v_cndmask_b32_e64 v4, 0, v4, s0
	s_or_b32 exec_lo, exec_lo, s11
	global_load_b128 v[10:13], v[34:35], off offset:512
	s_wait_xcnt 0x0
	s_and_saveexec_b32 s11, vcc_lo
	s_cbranch_execz .LBB45_38
.LBB45_45:                              ;   in Loop: Header=BB45_36 Depth=1
	v_cmp_gt_i32_e64 s0, s10, v60
	s_wait_loadcnt 0x0
	s_delay_alu instid0(VALU_DEP_1) | instskip(SKIP_1) | instid1(VALU_DEP_1)
	v_cndmask_b32_e64 v11, 0, v11, s0
	v_cmp_gt_i32_e64 s0, s21, v55
	v_cndmask_b32_e64 v10, 0, v10, s0
	v_cmp_gt_i32_e64 s0, s10, v59
	s_delay_alu instid0(VALU_DEP_1) | instskip(SKIP_1) | instid1(VALU_DEP_1)
	v_cndmask_b32_e64 v13, 0, v13, s0
	v_cmp_gt_i32_e64 s0, s21, v58
	v_cndmask_b32_e64 v12, 0, v12, s0
	s_or_b32 exec_lo, exec_lo, s11
	global_load_b128 v[14:17], v[34:35], off offset:1024
	s_wait_xcnt 0x0
	s_and_saveexec_b32 s11, vcc_lo
	s_cbranch_execz .LBB45_39
.LBB45_46:                              ;   in Loop: Header=BB45_36 Depth=1
	v_cmp_gt_i32_e64 s0, s10, v60
	s_wait_loadcnt 0x0
	s_delay_alu instid0(VALU_DEP_1) | instskip(SKIP_1) | instid1(VALU_DEP_1)
	v_cndmask_b32_e64 v15, 0, v15, s0
	v_cmp_gt_i32_e64 s0, s21, v55
	v_cndmask_b32_e64 v14, 0, v14, s0
	v_cmp_gt_i32_e64 s0, s10, v59
	s_delay_alu instid0(VALU_DEP_1) | instskip(SKIP_1) | instid1(VALU_DEP_1)
	v_cndmask_b32_e64 v17, 0, v17, s0
	v_cmp_gt_i32_e64 s0, s21, v58
	v_cndmask_b32_e64 v16, 0, v16, s0
	s_or_b32 exec_lo, exec_lo, s11
	global_load_b128 v[18:21], v[34:35], off offset:1536
	s_wait_xcnt 0x0
	s_and_saveexec_b32 s11, vcc_lo
	s_cbranch_execz .LBB45_40
.LBB45_47:                              ;   in Loop: Header=BB45_36 Depth=1
	v_cmp_gt_i32_e64 s0, s10, v60
	s_wait_loadcnt 0x0
	s_delay_alu instid0(VALU_DEP_1) | instskip(SKIP_1) | instid1(VALU_DEP_1)
	v_cndmask_b32_e64 v19, 0, v19, s0
	v_cmp_gt_i32_e64 s0, s21, v55
	v_cndmask_b32_e64 v18, 0, v18, s0
	v_cmp_gt_i32_e64 s0, s10, v59
	s_delay_alu instid0(VALU_DEP_1) | instskip(SKIP_1) | instid1(VALU_DEP_1)
	v_cndmask_b32_e64 v21, 0, v21, s0
	v_cmp_gt_i32_e64 s0, s21, v58
	v_cndmask_b32_e64 v20, 0, v20, s0
	s_or_b32 exec_lo, exec_lo, s11
	global_load_b128 v[22:25], v[34:35], off offset:2048
	s_wait_xcnt 0x0
	s_and_saveexec_b32 s11, vcc_lo
	s_cbranch_execz .LBB45_41
.LBB45_48:                              ;   in Loop: Header=BB45_36 Depth=1
	v_cmp_gt_i32_e64 s0, s10, v60
	s_wait_loadcnt 0x0
	s_delay_alu instid0(VALU_DEP_1) | instskip(SKIP_1) | instid1(VALU_DEP_1)
	v_cndmask_b32_e64 v23, 0, v23, s0
	v_cmp_gt_i32_e64 s0, s21, v55
	v_cndmask_b32_e64 v22, 0, v22, s0
	v_cmp_gt_i32_e64 s0, s10, v59
	s_delay_alu instid0(VALU_DEP_1) | instskip(SKIP_1) | instid1(VALU_DEP_1)
	v_cndmask_b32_e64 v25, 0, v25, s0
	v_cmp_gt_i32_e64 s0, s21, v58
	v_cndmask_b32_e64 v24, 0, v24, s0
	s_or_b32 exec_lo, exec_lo, s11
	global_load_b128 v[26:29], v[34:35], off offset:2560
	s_wait_xcnt 0x0
	s_and_saveexec_b32 s11, vcc_lo
	s_cbranch_execz .LBB45_42
.LBB45_49:                              ;   in Loop: Header=BB45_36 Depth=1
	v_cmp_gt_i32_e64 s0, s10, v60
	s_wait_loadcnt 0x0
	s_delay_alu instid0(VALU_DEP_1) | instskip(SKIP_1) | instid1(VALU_DEP_1)
	v_cndmask_b32_e64 v27, 0, v27, s0
	v_cmp_gt_i32_e64 s0, s21, v55
	v_cndmask_b32_e64 v26, 0, v26, s0
	v_cmp_gt_i32_e64 s0, s10, v59
	s_delay_alu instid0(VALU_DEP_1) | instskip(SKIP_1) | instid1(VALU_DEP_1)
	v_cndmask_b32_e64 v29, 0, v29, s0
	v_cmp_gt_i32_e64 s0, s21, v58
	v_cndmask_b32_e64 v28, 0, v28, s0
	s_or_b32 exec_lo, exec_lo, s11
	global_load_b128 v[30:33], v[34:35], off offset:3072
	s_wait_xcnt 0x0
	s_and_saveexec_b32 s11, vcc_lo
	s_cbranch_execz .LBB45_43
.LBB45_50:                              ;   in Loop: Header=BB45_36 Depth=1
	v_cmp_gt_i32_e64 s0, s10, v60
	s_wait_loadcnt 0x0
	s_delay_alu instid0(VALU_DEP_1) | instskip(SKIP_1) | instid1(VALU_DEP_1)
	v_cndmask_b32_e64 v31, 0, v31, s0
	v_cmp_gt_i32_e64 s0, s21, v55
	v_cndmask_b32_e64 v30, 0, v30, s0
	v_cmp_gt_i32_e64 s0, s10, v59
	s_delay_alu instid0(VALU_DEP_1) | instskip(SKIP_1) | instid1(VALU_DEP_1)
	v_cndmask_b32_e64 v33, 0, v33, s0
	v_cmp_gt_i32_e64 s0, s21, v58
	v_cndmask_b32_e64 v32, 0, v32, s0
	s_or_b32 exec_lo, exec_lo, s11
	global_load_b128 v[34:37], v[34:35], off offset:3584
	s_wait_xcnt 0x0
	s_and_saveexec_b32 s0, vcc_lo
	s_cbranch_execz .LBB45_35
.LBB45_51:                              ;   in Loop: Header=BB45_36 Depth=1
	v_cmp_gt_i32_e32 vcc_lo, s10, v60
	s_wait_loadcnt 0x0
	v_cndmask_b32_e32 v35, 0, v35, vcc_lo
	v_cmp_gt_i32_e32 vcc_lo, s21, v55
	v_cndmask_b32_e32 v34, 0, v34, vcc_lo
	v_cmp_gt_i32_e32 vcc_lo, s10, v59
	;; [unrolled: 2-line block ×3, first 2 shown]
	v_cndmask_b32_e32 v36, 0, v36, vcc_lo
	s_branch .LBB45_35
.LBB45_52:
	s_or_b32 exec_lo, exec_lo, s5
.LBB45_53:
	s_delay_alu instid0(SALU_CYCLE_1)
	s_or_b32 exec_lo, exec_lo, s1
	ds_bpermute_b32 v2, v53, v44
	ds_bpermute_b32 v3, v53, v45
	;; [unrolled: 1-line block ×8, first 2 shown]
	s_mov_b32 s0, exec_lo
	s_wait_dscnt 0x0
	s_barrier_signal -1
	s_barrier_wait -1
	v_pk_add_f32 v[2:3], v[44:45], v[2:3]
	v_pk_add_f32 v[4:5], v[42:43], v[4:5]
	;; [unrolled: 1-line block ×3, first 2 shown]
	ds_bpermute_b32 v10, v52, v2
	v_pk_add_f32 v[8:9], v[38:39], v[8:9]
	ds_bpermute_b32 v11, v52, v3
	ds_bpermute_b32 v12, v52, v4
	;; [unrolled: 1-line block ×7, first 2 shown]
	s_wait_dscnt 0x6
	v_pk_add_f32 v[2:3], v[2:3], v[10:11]
	s_wait_dscnt 0x4
	v_pk_add_f32 v[4:5], v[4:5], v[12:13]
	v_and_b32_e32 v13, 0x3c7, v0
	s_wait_dscnt 0x2
	v_pk_add_f32 v[14:15], v[6:7], v[14:15]
	ds_bpermute_b32 v6, v51, v2
	s_wait_dscnt 0x1
	v_pk_add_f32 v[8:9], v[8:9], v[16:17]
	ds_bpermute_b32 v7, v51, v3
	ds_bpermute_b32 v16, v51, v4
	;; [unrolled: 1-line block ×7, first 2 shown]
	v_lshrrev_b32_e32 v12, 3, v50
	s_wait_dscnt 0x6
	v_pk_add_f32 v[6:7], v[2:3], v[6:7]
	s_wait_dscnt 0x4
	v_pk_add_f32 v[4:5], v[4:5], v[16:17]
	;; [unrolled: 2-line block ×3, first 2 shown]
	v_cmpx_ne_u32_e32 64, v13
	s_xor_b32 s0, exec_lo, s0
; %bb.54:
                                        ; implicit-def: $vgpr1
; %bb.55:
	s_delay_alu instid0(SALU_CYCLE_1)
	s_or_saveexec_b32 s0, s0
	s_wait_dscnt 0x0
	v_pk_add_f32 v[8:9], v[8:9], v[10:11]
	v_lshl_add_u32 v10, v12, 2, 0xa0
	s_xor_b32 exec_lo, exec_lo, s0
	s_cbranch_execz .LBB45_57
; %bb.56:
	s_delay_alu instid0(VALU_DEP_1) | instskip(NEXT) | instid1(VALU_DEP_1)
	v_lshl_add_u32 v1, v1, 7, v10
	v_add_nc_u32_e32 v11, 0xffffff00, v1
	v_add_nc_u32_e32 v13, 0xffffff10, v1
	v_add_nc_u32_e32 v14, 0xffffff20, v1
	v_add_nc_u32_e32 v15, 0xffffff30, v1
	v_add_nc_u32_e32 v16, 0xffffff40, v1
	v_add_nc_u32_e32 v17, 0xffffff50, v1
	v_add_nc_u32_e32 v18, 0xffffff60, v1
	v_add_nc_u32_e32 v1, 0xffffff70, v1
	ds_store_b32 v11, v6
	ds_store_b32 v13, v7
	;; [unrolled: 1-line block ×8, first 2 shown]
.LBB45_57:
	s_or_b32 exec_lo, exec_lo, s0
	v_and_b32_e32 v1, 0x3e0, v0
	v_lshlrev_b32_e32 v11, 2, v12
	s_mov_b32 s1, exec_lo
	v_cmp_eq_u32_e32 vcc_lo, 0, v54
	s_wait_dscnt 0x0
	v_lshlrev_b32_e32 v1, 2, v1
	s_barrier_signal -1
	s_barrier_wait -1
	s_delay_alu instid0(VALU_DEP_1)
	v_add3_u32 v1, 0xa0, v1, v11
	v_cmpx_gt_u32_e32 64, v0
	s_cbranch_execz .LBB45_68
; %bb.58:
	s_and_saveexec_b32 s0, vcc_lo
	s_cbranch_execnz .LBB45_84
; %bb.59:
	s_or_b32 exec_lo, exec_lo, s0
	s_and_saveexec_b32 s0, vcc_lo
	s_cbranch_execnz .LBB45_85
.LBB45_60:
	s_or_b32 exec_lo, exec_lo, s0
	s_and_saveexec_b32 s0, vcc_lo
	s_cbranch_execnz .LBB45_86
.LBB45_61:
	s_or_b32 exec_lo, exec_lo, s0
	s_and_saveexec_b32 s0, vcc_lo
	s_cbranch_execnz .LBB45_87
.LBB45_62:
	s_or_b32 exec_lo, exec_lo, s0
	s_and_saveexec_b32 s0, vcc_lo
	s_cbranch_execnz .LBB45_88
.LBB45_63:
	s_or_b32 exec_lo, exec_lo, s0
	s_and_saveexec_b32 s0, vcc_lo
	s_cbranch_execnz .LBB45_89
.LBB45_64:
	s_or_b32 exec_lo, exec_lo, s0
	s_and_saveexec_b32 s0, vcc_lo
	s_cbranch_execnz .LBB45_90
.LBB45_65:
	s_or_b32 exec_lo, exec_lo, s0
	s_and_saveexec_b32 s0, vcc_lo
	s_cbranch_execz .LBB45_67
.LBB45_66:
	ds_load_b32 v11, v1 offset:112
	s_wait_dscnt 0x0
	v_add_f32_e32 v9, v9, v11
.LBB45_67:
	s_or_b32 exec_lo, exec_lo, s0
.LBB45_68:
	s_delay_alu instid0(SALU_CYCLE_1) | instskip(SKIP_4) | instid1(VALU_DEP_1)
	s_or_b32 exec_lo, exec_lo, s1
	v_and_b32_e32 v11, 0x3e7, v0
	s_mov_b32 s1, exec_lo
	s_barrier_signal -1
	s_barrier_wait -1
	v_cmpx_eq_u32_e32 32, v11
	s_cbranch_execz .LBB45_70
; %bb.69:
	ds_store_2addr_b32 v10, v6, v7 offset1:4
	ds_store_2addr_b32 v10, v4, v5 offset0:8 offset1:12
	ds_store_2addr_b32 v10, v2, v3 offset0:16 offset1:20
	;; [unrolled: 1-line block ×3, first 2 shown]
.LBB45_70:
	s_or_b32 exec_lo, exec_lo, s1
	s_delay_alu instid0(SALU_CYCLE_1)
	s_mov_b32 s1, exec_lo
	s_wait_dscnt 0x0
	s_barrier_signal -1
	s_barrier_wait -1
	v_cmpx_gt_u32_e32 32, v0
	s_cbranch_execz .LBB45_81
; %bb.71:
	s_and_saveexec_b32 s0, vcc_lo
	s_cbranch_execnz .LBB45_91
; %bb.72:
	s_or_b32 exec_lo, exec_lo, s0
	s_and_saveexec_b32 s0, vcc_lo
	s_cbranch_execnz .LBB45_92
.LBB45_73:
	s_or_b32 exec_lo, exec_lo, s0
	s_and_saveexec_b32 s0, vcc_lo
	s_cbranch_execnz .LBB45_93
.LBB45_74:
	s_or_b32 exec_lo, exec_lo, s0
	s_and_saveexec_b32 s0, vcc_lo
	s_cbranch_execnz .LBB45_94
.LBB45_75:
	s_or_b32 exec_lo, exec_lo, s0
	s_and_saveexec_b32 s0, vcc_lo
	s_cbranch_execnz .LBB45_95
.LBB45_76:
	s_or_b32 exec_lo, exec_lo, s0
	s_and_saveexec_b32 s0, vcc_lo
	s_cbranch_execnz .LBB45_96
.LBB45_77:
	s_or_b32 exec_lo, exec_lo, s0
	s_and_saveexec_b32 s0, vcc_lo
	s_cbranch_execnz .LBB45_97
.LBB45_78:
	s_or_b32 exec_lo, exec_lo, s0
	s_and_saveexec_b32 s0, vcc_lo
	s_cbranch_execz .LBB45_80
.LBB45_79:
	ds_load_b32 v1, v1 offset:112
	s_wait_dscnt 0x0
	v_add_f32_e32 v9, v9, v1
.LBB45_80:
	s_or_b32 exec_lo, exec_lo, s0
.LBB45_81:
	s_delay_alu instid0(SALU_CYCLE_1)
	s_or_b32 exec_lo, exec_lo, s1
	s_mov_b32 s1, 0
	s_barrier_signal -1
	s_barrier_wait -1
	s_mov_b32 s0, exec_lo
	v_cmpx_eq_u32_e32 0, v11
	s_cbranch_execz .LBB45_83
; %bb.82:
	s_mul_i32 s0, s20, s9
	s_mul_i32 s2, s9, s8
	;; [unrolled: 1-line block ×3, first 2 shown]
	s_lshr_b32 s8, ttmp7, 16
	s_lshl_b32 s4, s0, 5
	s_bfe_u32 s0, ttmp6, 0x40014
	s_ashr_i32 s5, s4, 31
	s_add_co_i32 s0, s0, 1
	s_lshl_b64 s[4:5], s[4:5], 2
	s_ashr_i32 s3, s2, 31
	s_wait_kmcnt 0x0
	s_add_nc_u64 s[4:5], s[6:7], s[4:5]
	s_mul_i32 s0, s8, s0
	s_bfe_u32 s6, ttmp6, 0x40008
	s_lshl_b64 s[2:3], s[2:3], 2
	s_add_co_i32 s6, s6, s0
	s_cmp_eq_u32 s18, 0
	v_lshrrev_b32_e32 v0, 1, v0
	s_cselect_b32 s0, s8, s6
	s_add_nc_u64 s[2:3], s[4:5], s[2:3]
	s_lshl_b32 s0, s0, 7
	s_delay_alu instid0(SALU_CYCLE_1)
	s_add_nc_u64 s[0:1], s[2:3], s[0:1]
	s_clause 0x7
	global_store_b32 v0, v6, s[0:1]
	global_store_b32 v0, v7, s[0:1] offset:16
	global_store_b32 v0, v4, s[0:1] offset:32
	;; [unrolled: 1-line block ×7, first 2 shown]
.LBB45_83:
	s_sendmsg sendmsg(MSG_DEALLOC_VGPRS)
	s_endpgm
.LBB45_84:
	ds_load_b32 v11, v1
	s_wait_dscnt 0x0
	v_add_f32_e32 v6, v6, v11
	s_or_b32 exec_lo, exec_lo, s0
	s_and_saveexec_b32 s0, vcc_lo
	s_cbranch_execz .LBB45_60
.LBB45_85:
	ds_load_b32 v11, v1 offset:16
	s_wait_dscnt 0x0
	v_add_f32_e32 v7, v7, v11
	s_or_b32 exec_lo, exec_lo, s0
	s_and_saveexec_b32 s0, vcc_lo
	s_cbranch_execz .LBB45_61
.LBB45_86:
	ds_load_b32 v11, v1 offset:32
	s_wait_dscnt 0x0
	v_add_f32_e32 v4, v4, v11
	s_or_b32 exec_lo, exec_lo, s0
	s_and_saveexec_b32 s0, vcc_lo
	s_cbranch_execz .LBB45_62
.LBB45_87:
	ds_load_b32 v11, v1 offset:48
	s_wait_dscnt 0x0
	v_add_f32_e32 v5, v5, v11
	s_or_b32 exec_lo, exec_lo, s0
	s_and_saveexec_b32 s0, vcc_lo
	s_cbranch_execz .LBB45_63
.LBB45_88:
	ds_load_b32 v11, v1 offset:64
	s_wait_dscnt 0x0
	v_add_f32_e32 v2, v2, v11
	s_or_b32 exec_lo, exec_lo, s0
	s_and_saveexec_b32 s0, vcc_lo
	s_cbranch_execz .LBB45_64
.LBB45_89:
	ds_load_b32 v11, v1 offset:80
	s_wait_dscnt 0x0
	v_add_f32_e32 v3, v3, v11
	s_or_b32 exec_lo, exec_lo, s0
	s_and_saveexec_b32 s0, vcc_lo
	s_cbranch_execz .LBB45_65
.LBB45_90:
	ds_load_b32 v11, v1 offset:96
	s_wait_dscnt 0x0
	v_add_f32_e32 v8, v8, v11
	s_or_b32 exec_lo, exec_lo, s0
	s_and_saveexec_b32 s0, vcc_lo
	s_cbranch_execnz .LBB45_66
	s_branch .LBB45_67
.LBB45_91:
	ds_load_b32 v10, v1
	s_wait_dscnt 0x0
	v_add_f32_e32 v6, v6, v10
	s_or_b32 exec_lo, exec_lo, s0
	s_and_saveexec_b32 s0, vcc_lo
	s_cbranch_execz .LBB45_73
.LBB45_92:
	ds_load_b32 v10, v1 offset:16
	s_wait_dscnt 0x0
	v_add_f32_e32 v7, v7, v10
	s_or_b32 exec_lo, exec_lo, s0
	s_and_saveexec_b32 s0, vcc_lo
	s_cbranch_execz .LBB45_74
.LBB45_93:
	ds_load_b32 v10, v1 offset:32
	s_wait_dscnt 0x0
	v_add_f32_e32 v4, v4, v10
	s_or_b32 exec_lo, exec_lo, s0
	s_and_saveexec_b32 s0, vcc_lo
	s_cbranch_execz .LBB45_75
.LBB45_94:
	ds_load_b32 v10, v1 offset:48
	s_wait_dscnt 0x0
	v_add_f32_e32 v5, v5, v10
	s_or_b32 exec_lo, exec_lo, s0
	s_and_saveexec_b32 s0, vcc_lo
	s_cbranch_execz .LBB45_76
.LBB45_95:
	ds_load_b32 v10, v1 offset:64
	s_wait_dscnt 0x0
	v_add_f32_e32 v2, v2, v10
	s_or_b32 exec_lo, exec_lo, s0
	s_and_saveexec_b32 s0, vcc_lo
	s_cbranch_execz .LBB45_77
.LBB45_96:
	ds_load_b32 v10, v1 offset:80
	s_wait_dscnt 0x0
	v_add_f32_e32 v3, v3, v10
	s_or_b32 exec_lo, exec_lo, s0
	s_and_saveexec_b32 s0, vcc_lo
	s_cbranch_execz .LBB45_78
.LBB45_97:
	ds_load_b32 v10, v1 offset:96
	s_wait_dscnt 0x0
	v_add_f32_e32 v8, v8, v10
	s_or_b32 exec_lo, exec_lo, s0
	s_and_saveexec_b32 s0, vcc_lo
	s_cbranch_execnz .LBB45_79
	s_branch .LBB45_80
	.section	.rodata,"a",@progbits
	.p2align	6, 0x0
	.amdhsa_kernel _ZN4vllm25paged_attention_v1_kernelIffLi32ELi32ELi128ELNS_18Fp8KVCacheDataTypeE0ELb0EEEvPT_PKS2_PKT0_S8_ifPKiSA_iPKfiiiSC_SC_iiiii
		.amdhsa_group_segment_fixed_size 160
		.amdhsa_private_segment_fixed_size 0
		.amdhsa_kernarg_size 384
		.amdhsa_user_sgpr_count 2
		.amdhsa_user_sgpr_dispatch_ptr 0
		.amdhsa_user_sgpr_queue_ptr 0
		.amdhsa_user_sgpr_kernarg_segment_ptr 1
		.amdhsa_user_sgpr_dispatch_id 0
		.amdhsa_user_sgpr_kernarg_preload_length 0
		.amdhsa_user_sgpr_kernarg_preload_offset 0
		.amdhsa_user_sgpr_private_segment_size 0
		.amdhsa_wavefront_size32 1
		.amdhsa_uses_dynamic_stack 0
		.amdhsa_enable_private_segment 0
		.amdhsa_system_sgpr_workgroup_id_x 1
		.amdhsa_system_sgpr_workgroup_id_y 1
		.amdhsa_system_sgpr_workgroup_id_z 1
		.amdhsa_system_sgpr_workgroup_info 0
		.amdhsa_system_vgpr_workitem_id 0
		.amdhsa_next_free_vgpr 72
		.amdhsa_next_free_sgpr 28
		.amdhsa_named_barrier_count 0
		.amdhsa_reserve_vcc 1
		.amdhsa_float_round_mode_32 0
		.amdhsa_float_round_mode_16_64 0
		.amdhsa_float_denorm_mode_32 3
		.amdhsa_float_denorm_mode_16_64 3
		.amdhsa_fp16_overflow 0
		.amdhsa_memory_ordered 1
		.amdhsa_forward_progress 1
		.amdhsa_inst_pref_size 47
		.amdhsa_round_robin_scheduling 0
		.amdhsa_exception_fp_ieee_invalid_op 0
		.amdhsa_exception_fp_denorm_src 0
		.amdhsa_exception_fp_ieee_div_zero 0
		.amdhsa_exception_fp_ieee_overflow 0
		.amdhsa_exception_fp_ieee_underflow 0
		.amdhsa_exception_fp_ieee_inexact 0
		.amdhsa_exception_int_div_zero 0
	.end_amdhsa_kernel
	.section	.text._ZN4vllm25paged_attention_v1_kernelIffLi32ELi32ELi128ELNS_18Fp8KVCacheDataTypeE0ELb0EEEvPT_PKS2_PKT0_S8_ifPKiSA_iPKfiiiSC_SC_iiiii,"axG",@progbits,_ZN4vllm25paged_attention_v1_kernelIffLi32ELi32ELi128ELNS_18Fp8KVCacheDataTypeE0ELb0EEEvPT_PKS2_PKT0_S8_ifPKiSA_iPKfiiiSC_SC_iiiii,comdat
.Lfunc_end45:
	.size	_ZN4vllm25paged_attention_v1_kernelIffLi32ELi32ELi128ELNS_18Fp8KVCacheDataTypeE0ELb0EEEvPT_PKS2_PKT0_S8_ifPKiSA_iPKfiiiSC_SC_iiiii, .Lfunc_end45-_ZN4vllm25paged_attention_v1_kernelIffLi32ELi32ELi128ELNS_18Fp8KVCacheDataTypeE0ELb0EEEvPT_PKS2_PKT0_S8_ifPKiSA_iPKfiiiSC_SC_iiiii
                                        ; -- End function
	.set _ZN4vllm25paged_attention_v1_kernelIffLi32ELi32ELi128ELNS_18Fp8KVCacheDataTypeE0ELb0EEEvPT_PKS2_PKT0_S8_ifPKiSA_iPKfiiiSC_SC_iiiii.num_vgpr, 72
	.set _ZN4vllm25paged_attention_v1_kernelIffLi32ELi32ELi128ELNS_18Fp8KVCacheDataTypeE0ELb0EEEvPT_PKS2_PKT0_S8_ifPKiSA_iPKfiiiSC_SC_iiiii.num_agpr, 0
	.set _ZN4vllm25paged_attention_v1_kernelIffLi32ELi32ELi128ELNS_18Fp8KVCacheDataTypeE0ELb0EEEvPT_PKS2_PKT0_S8_ifPKiSA_iPKfiiiSC_SC_iiiii.numbered_sgpr, 28
	.set _ZN4vllm25paged_attention_v1_kernelIffLi32ELi32ELi128ELNS_18Fp8KVCacheDataTypeE0ELb0EEEvPT_PKS2_PKT0_S8_ifPKiSA_iPKfiiiSC_SC_iiiii.num_named_barrier, 0
	.set _ZN4vllm25paged_attention_v1_kernelIffLi32ELi32ELi128ELNS_18Fp8KVCacheDataTypeE0ELb0EEEvPT_PKS2_PKT0_S8_ifPKiSA_iPKfiiiSC_SC_iiiii.private_seg_size, 0
	.set _ZN4vllm25paged_attention_v1_kernelIffLi32ELi32ELi128ELNS_18Fp8KVCacheDataTypeE0ELb0EEEvPT_PKS2_PKT0_S8_ifPKiSA_iPKfiiiSC_SC_iiiii.uses_vcc, 1
	.set _ZN4vllm25paged_attention_v1_kernelIffLi32ELi32ELi128ELNS_18Fp8KVCacheDataTypeE0ELb0EEEvPT_PKS2_PKT0_S8_ifPKiSA_iPKfiiiSC_SC_iiiii.uses_flat_scratch, 0
	.set _ZN4vllm25paged_attention_v1_kernelIffLi32ELi32ELi128ELNS_18Fp8KVCacheDataTypeE0ELb0EEEvPT_PKS2_PKT0_S8_ifPKiSA_iPKfiiiSC_SC_iiiii.has_dyn_sized_stack, 0
	.set _ZN4vllm25paged_attention_v1_kernelIffLi32ELi32ELi128ELNS_18Fp8KVCacheDataTypeE0ELb0EEEvPT_PKS2_PKT0_S8_ifPKiSA_iPKfiiiSC_SC_iiiii.has_recursion, 0
	.set _ZN4vllm25paged_attention_v1_kernelIffLi32ELi32ELi128ELNS_18Fp8KVCacheDataTypeE0ELb0EEEvPT_PKS2_PKT0_S8_ifPKiSA_iPKfiiiSC_SC_iiiii.has_indirect_call, 0
	.section	.AMDGPU.csdata,"",@progbits
; Kernel info:
; codeLenInByte = 5932
; TotalNumSgprs: 30
; NumVgprs: 72
; ScratchSize: 0
; MemoryBound: 0
; FloatMode: 240
; IeeeMode: 1
; LDSByteSize: 160 bytes/workgroup (compile time only)
; SGPRBlocks: 0
; VGPRBlocks: 4
; NumSGPRsForWavesPerEU: 30
; NumVGPRsForWavesPerEU: 72
; NamedBarCnt: 0
; Occupancy: 12
; WaveLimiterHint : 1
; COMPUTE_PGM_RSRC2:SCRATCH_EN: 0
; COMPUTE_PGM_RSRC2:USER_SGPR: 2
; COMPUTE_PGM_RSRC2:TRAP_HANDLER: 0
; COMPUTE_PGM_RSRC2:TGID_X_EN: 1
; COMPUTE_PGM_RSRC2:TGID_Y_EN: 1
; COMPUTE_PGM_RSRC2:TGID_Z_EN: 1
; COMPUTE_PGM_RSRC2:TIDIG_COMP_CNT: 0
	.section	.text._ZN4vllm25paged_attention_v1_kernelIffLi64ELi32ELi128ELNS_18Fp8KVCacheDataTypeE0ELb0EEEvPT_PKS2_PKT0_S8_ifPKiSA_iPKfiiiSC_SC_iiiii,"axG",@progbits,_ZN4vllm25paged_attention_v1_kernelIffLi64ELi32ELi128ELNS_18Fp8KVCacheDataTypeE0ELb0EEEvPT_PKS2_PKT0_S8_ifPKiSA_iPKfiiiSC_SC_iiiii,comdat
	.protected	_ZN4vllm25paged_attention_v1_kernelIffLi64ELi32ELi128ELNS_18Fp8KVCacheDataTypeE0ELb0EEEvPT_PKS2_PKT0_S8_ifPKiSA_iPKfiiiSC_SC_iiiii ; -- Begin function _ZN4vllm25paged_attention_v1_kernelIffLi64ELi32ELi128ELNS_18Fp8KVCacheDataTypeE0ELb0EEEvPT_PKS2_PKT0_S8_ifPKiSA_iPKfiiiSC_SC_iiiii
	.globl	_ZN4vllm25paged_attention_v1_kernelIffLi64ELi32ELi128ELNS_18Fp8KVCacheDataTypeE0ELb0EEEvPT_PKS2_PKT0_S8_ifPKiSA_iPKfiiiSC_SC_iiiii
	.p2align	8
	.type	_ZN4vllm25paged_attention_v1_kernelIffLi64ELi32ELi128ELNS_18Fp8KVCacheDataTypeE0ELb0EEEvPT_PKS2_PKT0_S8_ifPKiSA_iPKfiiiSC_SC_iiiii,@function
_ZN4vllm25paged_attention_v1_kernelIffLi64ELi32ELi128ELNS_18Fp8KVCacheDataTypeE0ELb0EEEvPT_PKS2_PKT0_S8_ifPKiSA_iPKfiiiSC_SC_iiiii: ; @_ZN4vllm25paged_attention_v1_kernelIffLi64ELi32ELi128ELNS_18Fp8KVCacheDataTypeE0ELb0EEEvPT_PKS2_PKT0_S8_ifPKiSA_iPKfiiiSC_SC_iiiii
; %bb.0:
	s_load_b64 s[6:7], s[0:1], 0x20
	s_bfe_u32 s3, ttmp6, 0x4000c
	s_bfe_u32 s5, ttmp6, 0x40010
	s_and_b32 s4, ttmp7, 0xffff
	s_add_co_i32 s3, s3, 1
	s_add_co_i32 s5, s5, 1
	s_and_b32 s2, ttmp6, 15
	s_bfe_u32 s8, ttmp6, 0x40004
	s_mul_i32 s3, ttmp9, s3
	s_mul_i32 s5, s4, s5
	s_getreg_b32 s20, hwreg(HW_REG_IB_STS2, 6, 4)
	s_add_co_i32 s2, s2, s3
	s_add_co_i32 s8, s8, s5
	s_cmp_eq_u32 s20, 0
	s_clause 0x1
	s_load_b32 s21, s[0:1], 0x80
	s_load_b64 s[10:11], s[0:1], 0x30
	s_cselect_b32 s22, s4, s8
	s_cselect_b32 s8, ttmp9, s2
	s_wait_kmcnt 0x0
	s_abs_i32 s2, s6
	s_delay_alu instid0(SALU_CYCLE_1) | instskip(SKIP_1) | instid1(SALU_CYCLE_2)
	s_cvt_f32_u32 s3, s2
	s_sub_co_i32 s4, 0, s2
	v_rcp_iflag_f32_e32 v1, s3
	s_abs_i32 s5, s21
	v_nop
	s_delay_alu instid0(TRANS32_DEP_1) | instskip(SKIP_1) | instid1(SALU_CYCLE_3)
	v_readfirstlane_b32 s3, v1
	s_mul_f32 s3, s3, 0x4f7ffffe
	s_cvt_u32_f32 s3, s3
	s_delay_alu instid0(SALU_CYCLE_3) | instskip(NEXT) | instid1(SALU_CYCLE_1)
	s_mul_i32 s4, s4, s3
	s_mul_hi_u32 s4, s3, s4
	s_delay_alu instid0(SALU_CYCLE_1) | instskip(SKIP_4) | instid1(SALU_CYCLE_1)
	s_add_co_i32 s3, s3, s4
	s_xor_b32 s4, s21, s6
	s_mul_hi_u32 s3, s5, s3
	s_ashr_i32 s4, s4, 31
	s_mul_i32 s6, s3, s2
	s_sub_co_i32 s5, s5, s6
	s_add_co_i32 s6, s3, 1
	s_sub_co_i32 s9, s5, s2
	s_cmp_ge_u32 s5, s2
	s_cselect_b32 s3, s6, s3
	s_cselect_b32 s5, s9, s5
	s_add_co_i32 s6, s3, 1
	s_cmp_ge_u32 s5, s2
	s_cselect_b32 s2, s6, s3
	s_mov_b32 s3, 0
	s_xor_b32 s2, s2, s4
	s_mov_b32 s13, s3
	s_sub_co_i32 s15, s2, s4
	s_load_b64 s[4:5], s[0:1], 0x40
	s_abs_i32 s14, s15
	s_mov_b32 s25, s3
	s_cvt_f32_u32 s2, s14
	s_delay_alu instid0(SALU_CYCLE_3) | instskip(SKIP_1) | instid1(TRANS32_DEP_1)
	v_rcp_iflag_f32_e32 v1, s2
	v_nop
	v_readfirstlane_b32 s2, v1
	s_mul_f32 s2, s2, 0x4f7ffffe
	s_delay_alu instid0(SALU_CYCLE_3) | instskip(SKIP_1) | instid1(SALU_CYCLE_2)
	s_cvt_u32_f32 s6, s2
	s_sub_co_i32 s2, 0, s14
	s_mul_i32 s2, s2, s6
	s_delay_alu instid0(SALU_CYCLE_1)
	s_mul_hi_u32 s9, s6, s2
	s_abs_i32 s2, s8
	s_add_co_i32 s12, s6, s9
	s_wait_kmcnt 0x0
	s_cmp_eq_u64 s[4:5], 0
	s_cbranch_scc1 .LBB46_2
; %bb.1:
	s_ashr_i32 s9, s8, 31
	s_delay_alu instid0(SALU_CYCLE_1) | instskip(NEXT) | instid1(SALU_CYCLE_1)
	s_lshl_b64 s[16:17], s[8:9], 2
	s_add_nc_u64 s[4:5], s[4:5], s[16:17]
	s_load_b32 s25, s[4:5], 0x0
.LBB46_2:
	s_load_b32 s23, s[10:11], s22 offset:0x0 scale_offset
	s_wait_xcnt 0x0
	s_load_b96 s[4:6], s[0:1], 0x48
	v_lshlrev_b32_e32 v86, 4, v0
	s_ashr_i32 s10, s8, 31
	s_ashr_i32 s11, s15, 31
	s_mul_u64 s[12:13], s[2:3], s[12:13]
	s_lshl_b32 s8, s8, 6
	s_mov_b32 s3, exec_lo
	v_cmpx_gt_u32_e32 16, v0
	s_cbranch_execz .LBB46_4
; %bb.3:
	s_load_b64 s[16:17], s[0:1], 0x8
	s_wait_kmcnt 0x0
	s_mul_i32 s18, s4, s22
	s_ashr_i32 s9, s8, 31
	s_ashr_i32 s19, s18, 31
	s_delay_alu instid0(SALU_CYCLE_1) | instskip(NEXT) | instid1(SALU_CYCLE_1)
	s_lshl_b64 s[18:19], s[18:19], 2
	s_add_nc_u64 s[16:17], s[16:17], s[18:19]
	s_lshl_b64 s[18:19], s[8:9], 2
	s_delay_alu instid0(SALU_CYCLE_1)
	s_add_nc_u64 s[16:17], s[16:17], s[18:19]
	global_load_b128 v[2:5], v0, s[16:17] scale_offset
	s_wait_loadcnt 0x0
	ds_store_b128 v86, v[2:5]
.LBB46_4:
	s_or_b32 exec_lo, exec_lo, s3
	s_wait_kmcnt 0x0
	s_add_co_i32 s3, s23, 31
	s_load_b32 s4, s[0:1], 0x38
	s_ashr_i32 s9, s3, 31
	s_xor_b32 s12, s10, s11
	s_lshr_b32 s9, s9, 27
	s_mul_i32 s10, s13, s14
	s_add_co_i32 s3, s3, s9
	s_sub_co_i32 s2, s2, s10
	s_clause 0x1
	s_load_b64 s[10:11], s[0:1], 0x28
	s_load_b32 s9, s[0:1], 0x88
	s_ashr_i32 s24, s3, 5
	s_add_co_i32 s3, s13, 1
	s_sub_co_i32 s15, s2, s14
	s_cmp_ge_u32 s2, s14
	v_dual_lshrrev_b32 v1, 5, v0 :: v_dual_bitop2_b32 v90, 31, v0 bitop3:0x40
	s_cselect_b32 s3, s3, s13
	s_cselect_b32 s2, s15, s2
	s_add_co_i32 s13, s3, 1
	s_cmp_ge_u32 s2, s14
	v_dual_mov_b32 v71, 0xff7fffff :: v_dual_lshlrev_b32 v70, 2, v90
	s_cselect_b32 s2, s13, s3
	v_lshrrev_b32_e32 v88, 3, v0
	s_xor_b32 s2, s2, s12
	s_wait_dscnt 0x0
	s_sub_co_i32 s3, s2, s12
	v_cmp_gt_i32_e64 s2, s24, v1
	s_wait_kmcnt 0x0
	s_mul_i32 s12, s4, s22
	s_mul_i32 s14, s3, s6
	s_ashr_i32 s13, s12, 31
	s_barrier_signal -1
	s_barrier_wait -1
	s_and_saveexec_b32 s6, s2
	s_cbranch_execz .LBB46_8
; %bb.5:
	v_dual_mov_b32 v69, 0 :: v_dual_lshlrev_b32 v68, 4, v90
	s_load_b64 s[18:19], s[0:1], 0x10
	s_ashr_i32 s15, s14, 31
	s_ashr_i32 s17, s5, 31
	ds_load_b128 v[2:5], v69
	ds_load_b128 v[6:9], v69 offset:16
	ds_load_b128 v[10:13], v69 offset:32
	;; [unrolled: 1-line block ×15, first 2 shown]
	s_lshl_b64 s[26:27], s[14:15], 2
	s_cmp_neq_f32 s25, 0
	v_lshl_or_b32 v71, v1, 7, v70
	v_lshl_or_b32 v72, v1, 5, v90
	v_mov_b32_e32 v74, v1
	s_cselect_b32 vcc_lo, -1, 0
	s_mov_b32 s16, s5
	v_add_nc_u32_e32 v73, 0x120, v71
	v_mov_b32_e32 v71, 0xff7fffff
	s_mov_b32 s15, 0
	s_wait_kmcnt 0x0
	s_add_nc_u64 s[18:19], s[18:19], s[26:27]
	s_delay_alu instid0(SALU_CYCLE_1) | instskip(SKIP_2) | instid1(SALU_CYCLE_1)
	v_add_nc_u64_e32 v[66:67], s[18:19], v[68:69]
	v_and_b32_e32 v68, 0x7c, v88
	s_lshl_b64 s[18:19], s[12:13], 2
	s_add_nc_u64 s[18:19], s[10:11], s[18:19]
	s_delay_alu instid0(VALU_DEP_1) | instid1(SALU_CYCLE_1)
	v_add_nc_u64_e32 v[68:69], s[18:19], v[68:69]
	s_sub_co_i32 s18, 1, s23
.LBB46_6:                               ; =>This Inner Loop Header: Depth=1
	global_load_b32 v76, v[68:69], off
	v_add_nc_u32_e32 v75, s18, v72
	v_cmp_gt_i32_e64 s3, s23, v72
	s_wait_xcnt 0x0
	v_add_nc_u64_e32 v[68:69], 16, v[68:69]
	v_add_nc_u32_e32 v72, 0x80, v72
	v_add_nc_u32_e32 v74, 4, v74
	v_cvt_f32_i32_e32 v75, v75
	s_delay_alu instid0(VALU_DEP_2) | instskip(NEXT) | instid1(VALU_DEP_2)
	v_cmp_le_i32_e64 s4, s24, v74
	v_mul_f32_e32 v75, s25, v75
	s_or_b32 s15, s4, s15
	s_wait_loadcnt 0x0
	s_delay_alu instid0(VALU_DEP_1) | instskip(NEXT) | instid1(VALU_DEP_1)
	v_dual_cndmask_b32 v75, 0, v75, vcc_lo :: v_dual_ashrrev_i32 v77, 31, v76
	v_mul_u64_e32 v[76:77], s[16:17], v[76:77]
	s_delay_alu instid0(VALU_DEP_1)
	v_lshl_add_u64 v[84:85], v[76:77], 2, v[66:67]
	s_clause 0x7
	global_load_b128 v[76:79], v[84:85], off offset:512
	global_load_b128 v[80:83], v[84:85], off
	global_load_b128 v[92:95], v[84:85], off offset:1024
	global_load_b128 v[96:99], v[84:85], off offset:1536
	global_load_b128 v[100:103], v[84:85], off offset:2048
	global_load_b128 v[104:107], v[84:85], off offset:2560
	global_load_b128 v[108:111], v[84:85], off offset:3072
	global_load_b128 v[112:115], v[84:85], off offset:3584
	s_wait_loadcnt_dscnt 0x70e
	v_pk_mul_f32 v[76:77], v[6:7], v[76:77]
	v_pk_mul_f32 v[78:79], v[8:9], v[78:79]
	s_wait_loadcnt 0x6
	s_delay_alu instid0(VALU_DEP_2) | instskip(NEXT) | instid1(VALU_DEP_2)
	v_pk_fma_f32 v[80:81], v[2:3], v[80:81], v[76:77]
	v_pk_fma_f32 v[82:83], v[4:5], v[82:83], v[78:79]
	global_load_b128 v[76:79], v[84:85], off offset:4096
	s_wait_loadcnt_dscnt 0x60d
	v_pk_fma_f32 v[92:93], v[10:11], v[92:93], v[80:81]
	v_pk_fma_f32 v[94:95], v[12:13], v[94:95], v[82:83]
	global_load_b128 v[80:83], v[84:85], off offset:4608
	s_wait_loadcnt_dscnt 0x60c
	;; [unrolled: 4-line block ×6, first 2 shown]
	v_pk_fma_f32 v[116:117], v[30:31], v[112:113], v[108:109]
	v_pk_fma_f32 v[118:119], v[32:33], v[114:115], v[110:111]
	s_clause 0x1
	global_load_b128 v[108:111], v[84:85], off offset:7168
	global_load_b128 v[112:115], v[84:85], off offset:7680
	s_wait_loadcnt_dscnt 0x707
	v_pk_fma_f32 v[76:77], v[34:35], v[76:77], v[116:117]
	v_pk_fma_f32 v[78:79], v[36:37], v[78:79], v[118:119]
	s_wait_loadcnt_dscnt 0x606
	s_delay_alu instid0(VALU_DEP_2) | instskip(NEXT) | instid1(VALU_DEP_2)
	v_pk_fma_f32 v[76:77], v[38:39], v[80:81], v[76:77]
	v_pk_fma_f32 v[78:79], v[40:41], v[82:83], v[78:79]
	s_wait_loadcnt_dscnt 0x505
	s_delay_alu instid0(VALU_DEP_2) | instskip(NEXT) | instid1(VALU_DEP_2)
	v_pk_fma_f32 v[76:77], v[42:43], v[92:93], v[76:77]
	v_pk_fma_f32 v[78:79], v[44:45], v[94:95], v[78:79]
	s_wait_loadcnt_dscnt 0x404
	s_delay_alu instid0(VALU_DEP_2) | instskip(NEXT) | instid1(VALU_DEP_2)
	v_pk_fma_f32 v[76:77], v[46:47], v[96:97], v[76:77]
	v_pk_fma_f32 v[78:79], v[48:49], v[98:99], v[78:79]
	s_wait_loadcnt_dscnt 0x303
	s_delay_alu instid0(VALU_DEP_2) | instskip(NEXT) | instid1(VALU_DEP_2)
	v_pk_fma_f32 v[76:77], v[50:51], v[100:101], v[76:77]
	v_pk_fma_f32 v[78:79], v[52:53], v[102:103], v[78:79]
	s_wait_loadcnt_dscnt 0x202
	s_delay_alu instid0(VALU_DEP_2) | instskip(NEXT) | instid1(VALU_DEP_2)
	v_pk_fma_f32 v[76:77], v[54:55], v[104:105], v[76:77]
	v_pk_fma_f32 v[78:79], v[56:57], v[106:107], v[78:79]
	s_wait_loadcnt_dscnt 0x101
	s_delay_alu instid0(VALU_DEP_2) | instskip(NEXT) | instid1(VALU_DEP_2)
	v_pk_fma_f32 v[76:77], v[58:59], v[108:109], v[76:77]
	v_pk_fma_f32 v[78:79], v[60:61], v[110:111], v[78:79]
	s_wait_loadcnt_dscnt 0x0
	s_delay_alu instid0(VALU_DEP_2) | instskip(NEXT) | instid1(VALU_DEP_2)
	v_pk_fma_f32 v[76:77], v[62:63], v[112:113], v[76:77]
	v_pk_fma_f32 v[78:79], v[64:65], v[114:115], v[78:79]
	s_delay_alu instid0(VALU_DEP_2) | instskip(NEXT) | instid1(VALU_DEP_1)
	v_add_f32_e32 v76, v76, v77
	v_add_f32_e32 v76, v78, v76
	s_delay_alu instid0(VALU_DEP_1) | instskip(NEXT) | instid1(VALU_DEP_1)
	v_add_f32_e32 v76, v79, v76
	v_dual_max_num_f32 v77, v71, v71 :: v_dual_fmac_f32 v75, s7, v76
	s_delay_alu instid0(VALU_DEP_1) | instskip(NEXT) | instid1(VALU_DEP_1)
	v_dual_max_num_f32 v76, v77, v75 :: v_dual_cndmask_b32 v75, 0, v75, s3
	v_cndmask_b32_e64 v71, v71, v76, s3
	ds_store_b32 v73, v75
	v_add_nc_u32_e32 v73, 0x200, v73
	s_wait_xcnt 0x0
	s_and_not1_b32 exec_lo, exec_lo, s15
	s_cbranch_execnz .LBB46_6
; %bb.7:
	s_or_b32 exec_lo, exec_lo, s15
.LBB46_8:
	s_delay_alu instid0(SALU_CYCLE_1) | instskip(SKIP_4) | instid1(VALU_DEP_1)
	s_or_b32 exec_lo, exec_lo, s6
	v_mbcnt_lo_u32_b32 v4, -1, 0
	s_clause 0x1
	s_load_b64 s[6:7], s[0:1], 0x0
	s_load_b64 s[16:17], s[0:1], 0x18
	v_dual_max_num_f32 v6, v71, v71 :: v_dual_bitop2_b32 v2, 16, v4 bitop3:0x14
	v_xor_b32_e32 v5, 8, v4
	s_delay_alu instid0(VALU_DEP_2) | instskip(SKIP_1) | instid1(VALU_DEP_3)
	v_cmp_gt_i32_e32 vcc_lo, 32, v2
	v_cndmask_b32_e32 v2, v4, v2, vcc_lo
	v_cmp_gt_i32_e32 vcc_lo, 32, v5
	s_delay_alu instid0(VALU_DEP_2) | instskip(SKIP_3) | instid1(VALU_DEP_1)
	v_dual_cndmask_b32 v5, v4, v5 :: v_dual_lshlrev_b32 v2, 2, v2
	ds_bpermute_b32 v3, v2, v71
	s_wait_dscnt 0x0
	v_dual_max_num_f32 v7, v3, v3 :: v_dual_lshlrev_b32 v3, 2, v5
	v_dual_max_num_f32 v5, v6, v7 :: v_dual_bitop2_b32 v7, 4, v4 bitop3:0x14
	ds_bpermute_b32 v6, v3, v5
	v_cmp_gt_i32_e32 vcc_lo, 32, v7
	s_wait_dscnt 0x0
	v_dual_cndmask_b32 v7, v4, v7 :: v_dual_max_num_f32 v6, v6, v6
	s_delay_alu instid0(VALU_DEP_1) | instskip(SKIP_3) | instid1(VALU_DEP_1)
	v_dual_lshlrev_b32 v93, 2, v7 :: v_dual_max_num_f32 v5, v5, v6
	ds_bpermute_b32 v6, v93, v5
	s_wait_dscnt 0x0
	v_dual_max_num_f32 v6, v6, v6 :: v_dual_bitop2_b32 v7, 2, v4 bitop3:0x14
	v_cmp_gt_i32_e32 vcc_lo, 32, v7
	s_delay_alu instid0(VALU_DEP_2) | instskip(NEXT) | instid1(VALU_DEP_1)
	v_dual_max_num_f32 v5, v5, v6 :: v_dual_cndmask_b32 v7, v4, v7, vcc_lo
	v_dual_lshlrev_b32 v92, 2, v7 :: v_dual_bitop2_b32 v7, 1, v4 bitop3:0x14
	ds_bpermute_b32 v6, v92, v5
	v_cmp_gt_i32_e32 vcc_lo, 32, v7
	v_cndmask_b32_e32 v4, v4, v7, vcc_lo
	v_cmp_eq_u32_e32 vcc_lo, 0, v90
	s_delay_alu instid0(VALU_DEP_2) | instskip(SKIP_2) | instid1(VALU_DEP_1)
	v_dual_lshlrev_b32 v91, 2, v4 :: v_dual_lshlrev_b32 v4, 2, v1
	s_wait_dscnt 0x0
	v_max_num_f32_e32 v6, v6, v6
	v_max_num_f32_e32 v5, v5, v6
	ds_bpermute_b32 v6, v91, v5
	s_wait_xcnt 0x0
	s_and_saveexec_b32 s0, vcc_lo
	s_cbranch_execz .LBB46_10
; %bb.9:
	s_wait_dscnt 0x0
	v_dual_max_num_f32 v6, v6, v6 :: v_dual_max_num_f32 v5, v5, v5
	s_delay_alu instid0(VALU_DEP_1)
	v_max_num_f32_e32 v5, v5, v6
	ds_store_b32 v4, v5 offset:256
.LBB46_10:
	s_or_b32 exec_lo, exec_lo, s0
	v_cmp_gt_u32_e64 s0, 4, v90
	v_mov_b32_e32 v5, 0xff7fffff
	s_wait_dscnt 0x0
	s_barrier_signal -1
	s_barrier_wait -1
	s_and_saveexec_b32 s1, s0
; %bb.11:
	ds_load_b32 v5, v70 offset:256
; %bb.12:
	s_or_b32 exec_lo, exec_lo, s1
	s_wait_dscnt 0x0
	ds_bpermute_b32 v6, v92, v5
	v_max_num_f32_e32 v5, v5, v5
	s_lshl_b32 s1, s24, 5
	s_delay_alu instid0(SALU_CYCLE_1) | instskip(NEXT) | instid1(SALU_CYCLE_1)
	s_min_i32 s4, s1, s23
	v_cmp_gt_i32_e64 s1, s4, v0
	s_wait_dscnt 0x0
	v_max_num_f32_e32 v6, v6, v6
	s_delay_alu instid0(VALU_DEP_1) | instskip(SKIP_3) | instid1(VALU_DEP_1)
	v_max_num_f32_e32 v5, v5, v6
	ds_bpermute_b32 v6, v91, v5
	s_wait_dscnt 0x0
	v_max_num_f32_e32 v6, v6, v6
	v_dual_max_num_f32 v6, v5, v6 :: v_dual_mov_b32 v5, 0
	ds_bpermute_b32 v6, v5, v6
	s_and_saveexec_b32 s15, s1
	s_cbranch_execz .LBB46_16
; %bb.13:
	v_lshl_add_u32 v7, v0, 2, 0x120
	v_dual_mov_b32 v5, 0 :: v_dual_mov_b32 v8, v0
	s_mov_b32 s18, 0
.LBB46_14:                              ; =>This Inner Loop Header: Depth=1
	ds_load_b32 v9, v7
	v_add_nc_u32_e32 v8, 0x80, v8
	s_delay_alu instid0(VALU_DEP_1) | instskip(SKIP_3) | instid1(VALU_DEP_1)
	v_cmp_le_i32_e64 s3, s4, v8
	s_or_b32 s18, s3, s18
	s_wait_dscnt 0x0
	v_sub_f32_e32 v9, v9, v6
	v_mul_f32_e32 v9, 0x3fb8aa3b, v9
	s_delay_alu instid0(VALU_DEP_1)
	v_exp_f32_e32 v9, v9
	ds_store_b32 v7, v9
	v_nop
	v_add_f32_e32 v5, v5, v9
	v_add_nc_u32_e32 v7, 0x200, v7
	s_and_not1_b32 exec_lo, exec_lo, s18
	s_cbranch_execnz .LBB46_14
; %bb.15:
	s_or_b32 exec_lo, exec_lo, s18
.LBB46_16:
	s_delay_alu instid0(SALU_CYCLE_1)
	s_or_b32 exec_lo, exec_lo, s15
	ds_bpermute_b32 v2, v2, v5
	s_wait_dscnt 0x0
	v_add_f32_e32 v2, v5, v2
	ds_bpermute_b32 v3, v3, v2
	s_wait_dscnt 0x0
	v_add_f32_e32 v2, v2, v3
	;; [unrolled: 3-line block ×5, first 2 shown]
	s_and_saveexec_b32 s3, vcc_lo
; %bb.17:
	ds_store_b32 v4, v2 offset:272
; %bb.18:
	s_or_b32 exec_lo, exec_lo, s3
	s_wait_dscnt 0x0
	s_barrier_signal -1
	s_barrier_wait -1
	s_and_saveexec_b32 s3, s0
; %bb.19:
	ds_load_b32 v2, v70 offset:272
; %bb.20:
	s_or_b32 exec_lo, exec_lo, s3
	s_wait_dscnt 0x0
	ds_bpermute_b32 v3, v92, v2
	s_wait_dscnt 0x0
	v_dual_mov_b32 v71, 0 :: v_dual_add_f32 v2, v2, v3
	ds_bpermute_b32 v3, v91, v2
	s_wait_dscnt 0x0
	v_add_f32_e32 v2, v2, v3
	ds_bpermute_b32 v2, v71, v2
	s_and_saveexec_b32 s0, s1
	s_cbranch_execz .LBB46_33
; %bb.21:
	s_wait_dscnt 0x0
	v_add_f32_e32 v2, 0x358637bd, v2
	s_mov_b32 s3, -1
	s_mov_b32 s1, exec_lo
	s_delay_alu instid0(VALU_DEP_1) | instskip(NEXT) | instid1(VALU_DEP_1)
	v_div_scale_f32 v3, null, v2, v2, 1.0
	v_rcp_f32_e32 v5, v3
	v_nop
	s_delay_alu instid0(TRANS32_DEP_1) | instskip(NEXT) | instid1(VALU_DEP_1)
	v_fma_f32 v4, -v3, v5, 1.0
	v_fmac_f32_e32 v5, v4, v5
	v_div_scale_f32 v6, vcc_lo, 1.0, v2, 1.0
	s_delay_alu instid0(VALU_DEP_1) | instskip(NEXT) | instid1(VALU_DEP_1)
	v_mul_f32_e32 v7, v6, v5
	v_fma_f32 v4, -v3, v7, v6
	s_delay_alu instid0(VALU_DEP_1) | instskip(SKIP_1) | instid1(VALU_DEP_2)
	v_fmac_f32_e32 v7, v4, v5
	v_xad_u32 v4, v0, -1, s4
	v_fma_f32 v3, -v3, v7, v6
	s_delay_alu instid0(VALU_DEP_1) | instskip(NEXT) | instid1(VALU_DEP_1)
	v_div_fmas_f32 v3, v3, v5, v7
	v_div_fixup_f32 v2, v3, v2, 1.0
	v_mov_b32_e32 v3, v0
	v_cmpx_lt_u32_e32 0x7f, v4
	s_cbranch_execz .LBB46_30
; %bb.22:
	s_delay_alu instid0(VALU_DEP_3) | instskip(NEXT) | instid1(VALU_DEP_1)
	v_dual_mov_b32 v3, v2 :: v_dual_lshrrev_b32 v4, 7, v4
	v_dual_mov_b32 v8, 0 :: v_dual_add_nc_u32 v5, -1, v4
	s_delay_alu instid0(VALU_DEP_1) | instskip(SKIP_1) | instid1(VALU_DEP_2)
	v_lshrrev_b32_e32 v6, 1, v5
	v_cmp_lt_u32_e32 vcc_lo, 13, v5
	v_add_nc_u32_e32 v5, 1, v6
	s_and_saveexec_b32 s3, vcc_lo
	s_cbranch_execz .LBB46_26
; %bb.23:
	s_delay_alu instid0(VALU_DEP_1)
	v_and_b32_e32 v6, -8, v5
	v_lshl_add_u32 v7, v0, 2, 0x120
	s_mov_b32 s15, 0
	s_mov_b32 s18, 0
.LBB46_24:                              ; =>This Inner Loop Header: Depth=1
	ds_load_2addr_stride64_b32 v[8:9], v7 offset1:2
	ds_load_2addr_stride64_b32 v[10:11], v7 offset0:4 offset1:6
	ds_load_2addr_stride64_b32 v[12:13], v7 offset0:8 offset1:10
	;; [unrolled: 1-line block ×7, first 2 shown]
	s_add_co_i32 s18, s18, 16
	v_add_nc_u32_e32 v6, -8, v6
	s_wait_dscnt 0x7
	v_pk_mul_f32 v[8:9], v[2:3], v[8:9]
	s_wait_dscnt 0x6
	v_pk_mul_f32 v[10:11], v[2:3], v[10:11]
	;; [unrolled: 2-line block ×8, first 2 shown]
	ds_store_2addr_stride64_b32 v7, v8, v9 offset1:2
	ds_store_2addr_stride64_b32 v7, v10, v11 offset0:4 offset1:6
	ds_store_2addr_stride64_b32 v7, v12, v13 offset0:8 offset1:10
	;; [unrolled: 1-line block ×7, first 2 shown]
	v_mov_b32_e32 v8, s18
	v_cmp_eq_u32_e32 vcc_lo, 0, v6
	v_add_nc_u32_e32 v7, 0x2000, v7
	s_or_b32 s15, vcc_lo, s15
	s_delay_alu instid0(SALU_CYCLE_1)
	s_and_not1_b32 exec_lo, exec_lo, s15
	s_cbranch_execnz .LBB46_24
; %bb.25:
	s_or_b32 exec_lo, exec_lo, s15
.LBB46_26:
	s_delay_alu instid0(SALU_CYCLE_1) | instskip(NEXT) | instid1(VALU_DEP_1)
	s_or_b32 exec_lo, exec_lo, s3
	v_and_b32_e32 v5, 7, v5
	s_mov_b32 s15, 0
	s_mov_b32 s3, exec_lo
	s_delay_alu instid0(VALU_DEP_1)
	v_cmpx_ne_u32_e32 0, v5
	s_cbranch_execz .LBB46_29
; %bb.27:
	v_lshlrev_b32_e32 v6, 9, v8
	v_lshlrev_b32_e32 v7, 2, v0
	s_delay_alu instid0(VALU_DEP_1)
	v_add3_u32 v6, v6, v7, 0x120
.LBB46_28:                              ; =>This Inner Loop Header: Depth=1
	ds_load_2addr_stride64_b32 v[8:9], v6 offset1:2
	v_add_nc_u32_e32 v5, -1, v5
	s_delay_alu instid0(VALU_DEP_1)
	v_cmp_eq_u32_e32 vcc_lo, 0, v5
	s_or_b32 s15, vcc_lo, s15
	s_wait_dscnt 0x0
	v_pk_mul_f32 v[8:9], v[2:3], v[8:9]
	ds_store_2addr_stride64_b32 v6, v8, v9 offset1:2
	v_add_nc_u32_e32 v6, 0x400, v6
	s_and_not1_b32 exec_lo, exec_lo, s15
	s_cbranch_execnz .LBB46_28
.LBB46_29:
	s_or_b32 exec_lo, exec_lo, s3
	v_add_nc_u32_e32 v3, 1, v4
	s_delay_alu instid0(VALU_DEP_1) | instskip(NEXT) | instid1(VALU_DEP_1)
	v_and_b32_e32 v4, 0x3fffffe, v3
	v_cmp_ne_u32_e32 vcc_lo, v3, v4
	v_lshl_add_u32 v3, v4, 7, v0
	s_or_not1_b32 s3, vcc_lo, exec_lo
.LBB46_30:
	s_or_b32 exec_lo, exec_lo, s1
	s_delay_alu instid0(SALU_CYCLE_1)
	s_and_b32 exec_lo, exec_lo, s3
	s_cbranch_execz .LBB46_33
; %bb.31:
	v_lshl_add_u32 v4, v3, 2, 0x120
	s_mov_b32 s1, 0
.LBB46_32:                              ; =>This Inner Loop Header: Depth=1
	ds_load_b32 v5, v4
	v_add_nc_u32_e32 v3, 0x80, v3
	s_delay_alu instid0(VALU_DEP_1)
	v_cmp_le_i32_e32 vcc_lo, s4, v3
	s_or_b32 s1, vcc_lo, s1
	s_wait_dscnt 0x0
	v_mul_f32_e32 v5, v2, v5
	ds_store_b32 v4, v5
	v_add_nc_u32_e32 v4, 0x200, v4
	s_and_not1_b32 exec_lo, exec_lo, s1
	s_cbranch_execnz .LBB46_32
.LBB46_33:
	s_or_b32 exec_lo, exec_lo, s0
	v_dual_mov_b32 v70, 0 :: v_dual_bitop2_b32 v94, 7, v0 bitop3:0x40
	v_dual_mov_b32 v73, 0 :: v_dual_mov_b32 v72, 0
	v_dual_mov_b32 v75, 0 :: v_dual_mov_b32 v74, 0
	;; [unrolled: 1-line block ×7, first 2 shown]
	s_wait_dscnt 0x0
	s_barrier_signal -1
	s_barrier_wait -1
	s_and_saveexec_b32 s4, s2
	s_cbranch_execz .LBB46_69
; %bb.34:
	s_ashr_i32 s15, s14, 31
	v_dual_mov_b32 v71, 0 :: v_dual_lshlrev_b32 v2, 2, v0
	v_and_b32_e32 v70, 0x1f0, v86
	s_lshl_b64 s[0:1], s[14:15], 2
	v_lshlrev_b32_e32 v3, 4, v94
	s_wait_kmcnt 0x0
	s_add_nc_u64 s[0:1], s[16:17], s[0:1]
	v_and_b32_e32 v2, 28, v2
	v_add_nc_u64_e32 v[86:87], s[0:1], v[70:71]
	v_and_b32_e32 v70, 0x7c, v88
	s_lshl_b64 s[0:1], s[12:13], 2
	v_mov_b32_e32 v73, v71
	v_lshl_or_b32 v3, v1, 7, v3
	s_add_nc_u64 s[0:1], s[10:11], s[0:1]
	v_dual_mov_b32 v72, v71 :: v_dual_mov_b32 v74, v71
	v_add_nc_u64_e32 v[88:89], s[0:1], v[70:71]
	s_delay_alu instid0(VALU_DEP_3)
	v_dual_mov_b32 v75, v71 :: v_dual_add_nc_u32 v96, 0x120, v3
	v_mov_b32_e32 v70, v71
	v_lshl_or_b32 v95, v1, 5, v2
	v_dual_mov_b32 v77, v71 :: v_dual_mov_b32 v76, v71
	v_dual_mov_b32 v79, v71 :: v_dual_mov_b32 v78, v71
	;; [unrolled: 1-line block ×5, first 2 shown]
	v_mov_b32_e32 v97, v1
	s_ashr_i32 s15, s5, 31
	s_mov_b32 s14, s5
	s_add_co_i32 s5, s24, -1
	s_mov_b32 s11, s23
	s_mov_b32 s10, 0
	s_branch .LBB46_36
.LBB46_35:                              ;   in Loop: Header=BB46_36 Depth=1
	s_or_b32 exec_lo, exec_lo, s0
	s_wait_loadcnt_dscnt 0x200
	v_mul_f32_e32 v62, v6, v62
	s_wait_loadcnt 0x1
	v_mul_f32_e32 v66, v6, v66
	v_add_nc_u64_e32 v[88:89], 16, v[88:89]
	v_add_nc_u32_e32 v96, 0x200, v96
	v_dual_mul_f32 v38, v6, v38 :: v_dual_fmac_f32 v62, v7, v63
	s_delay_alu instid0(VALU_DEP_4) | instskip(NEXT) | instid1(VALU_DEP_2)
	v_dual_fmac_f32 v66, v7, v67 :: v_dual_mul_f32 v54, v6, v54
	v_dual_mul_f32 v46, v6, v46 :: v_dual_fmac_f32 v38, v7, v39
	s_delay_alu instid0(VALU_DEP_3) | instskip(NEXT) | instid1(VALU_DEP_3)
	v_fmac_f32_e32 v62, v8, v64
	v_dual_fmac_f32 v66, v8, v68 :: v_dual_mul_f32 v50, v6, v50
	s_delay_alu instid0(VALU_DEP_4) | instskip(NEXT) | instid1(VALU_DEP_2)
	v_dual_fmac_f32 v54, v7, v55 :: v_dual_mul_f32 v42, v6, v42
	v_dual_mul_f32 v22, v6, v22 :: v_dual_fmac_f32 v66, v9, v69
	v_fmac_f32_e32 v46, v7, v47
	s_delay_alu instid0(VALU_DEP_4) | instskip(NEXT) | instid1(VALU_DEP_3)
	v_dual_fmac_f32 v50, v7, v51 :: v_dual_mul_f32 v26, v6, v26
	v_dual_fmac_f32 v22, v7, v23 :: v_dual_mul_f32 v14, v6, v14
	s_delay_alu instid0(VALU_DEP_3) | instskip(NEXT) | instid1(VALU_DEP_2)
	v_dual_add_f32 v70, v70, v66 :: v_dual_fmac_f32 v46, v8, v48
	v_dual_mul_f32 v23, v6, v18 :: v_dual_fmac_f32 v22, v8, v24
	s_delay_alu instid0(VALU_DEP_3) | instskip(SKIP_1) | instid1(VALU_DEP_4)
	v_dual_mul_f32 v30, v6, v30 :: v_dual_fmac_f32 v14, v7, v15
	v_add_nc_u32_e32 v97, 4, v97
	v_fmac_f32_e32 v46, v9, v49
	v_fmac_f32_e32 v50, v8, v52
	;; [unrolled: 1-line block ×4, first 2 shown]
	v_cmp_le_i32_e32 vcc_lo, s24, v97
	s_delay_alu instid0(VALU_DEP_4) | instskip(SKIP_3) | instid1(VALU_DEP_3)
	v_dual_add_f32 v74, v74, v46 :: v_dual_fmac_f32 v50, v9, v53
	v_fmac_f32_e32 v54, v8, v56
	v_add_f32_e32 v80, v80, v22
	v_dual_fmac_f32 v26, v8, v28 :: v_dual_mul_f32 v34, v6, v34
	v_dual_add_f32 v75, v75, v50 :: v_dual_fmac_f32 v54, v9, v57
	v_fmac_f32_e32 v62, v9, v65
	s_or_b32 s10, vcc_lo, s10
	s_delay_alu instid0(VALU_DEP_3) | instskip(NEXT) | instid1(VALU_DEP_3)
	v_fmac_f32_e32 v26, v9, v29
	v_dual_fmac_f32 v30, v7, v31 :: v_dual_add_f32 v72, v72, v54
	s_delay_alu instid0(VALU_DEP_3) | instskip(NEXT) | instid1(VALU_DEP_2)
	v_dual_fmac_f32 v42, v7, v43 :: v_dual_add_f32 v73, v73, v62
	v_dual_add_f32 v81, v81, v26 :: v_dual_fmac_f32 v30, v8, v32
	s_delay_alu instid0(VALU_DEP_2) | instskip(SKIP_3) | instid1(VALU_DEP_3)
	v_dual_mul_f32 v22, v6, v2 :: v_dual_fmac_f32 v42, v8, v44
	v_dual_mul_f32 v10, v6, v10 :: v_dual_fmac_f32 v23, v7, v19
	s_wait_loadcnt 0x0
	v_pk_mul_f32 v[18:19], v[6:7], v[58:59]
	v_fmac_f32_e32 v22, v7, v3
	v_pk_mul_f32 v[2:3], v[8:9], v[60:61]
	v_fmac_f32_e32 v30, v9, v33
	v_fmac_f32_e32 v34, v7, v35
	v_dual_add_f32 v6, v19, v18 :: v_dual_fmac_f32 v23, v8, v20
	s_delay_alu instid0(VALU_DEP_3) | instskip(NEXT) | instid1(VALU_DEP_2)
	v_dual_add_f32 v78, v78, v30 :: v_dual_add_nc_u32 v95, 0x80, v95
	v_dual_fmac_f32 v34, v8, v36 :: v_dual_add_f32 v2, v2, v6
	s_delay_alu instid0(VALU_DEP_3) | instskip(NEXT) | instid1(VALU_DEP_2)
	v_fmac_f32_e32 v23, v9, v21
	v_fmac_f32_e32 v34, v9, v37
	s_delay_alu instid0(VALU_DEP_3) | instskip(NEXT) | instid1(VALU_DEP_3)
	v_dual_fmac_f32 v38, v8, v40 :: v_dual_add_f32 v2, v3, v2
	v_dual_fmac_f32 v14, v8, v16 :: v_dual_add_f32 v83, v83, v23
	s_delay_alu instid0(VALU_DEP_2) | instskip(NEXT) | instid1(VALU_DEP_2)
	v_dual_add_f32 v79, v79, v34 :: v_dual_fmac_f32 v38, v9, v41
	v_dual_add_f32 v71, v71, v2 :: v_dual_fmac_f32 v14, v9, v17
	v_fmac_f32_e32 v10, v7, v11
	s_delay_alu instid0(VALU_DEP_3) | instskip(NEXT) | instid1(VALU_DEP_2)
	v_dual_fmac_f32 v42, v9, v45 :: v_dual_add_f32 v76, v76, v38
	v_dual_add_f32 v82, v82, v14 :: v_dual_fmac_f32 v10, v8, v12
	s_delay_alu instid0(VALU_DEP_2) | instskip(NEXT) | instid1(VALU_DEP_2)
	v_add_f32_e32 v77, v77, v42
	v_fmac_f32_e32 v10, v9, v13
	s_delay_alu instid0(VALU_DEP_1) | instskip(NEXT) | instid1(VALU_DEP_1)
	v_dual_add_f32 v85, v85, v10 :: v_dual_fmac_f32 v22, v8, v4
	v_fmac_f32_e32 v22, v9, v5
	s_delay_alu instid0(VALU_DEP_1)
	v_add_f32_e32 v84, v84, v22
	s_and_not1_b32 exec_lo, exec_lo, s10
	s_cbranch_execz .LBB46_68
.LBB46_36:                              ; =>This Inner Loop Header: Depth=1
	global_load_b32 v2, v[88:89], off
	ds_load_b128 v[6:9], v96
	v_cmp_eq_u32_e32 vcc_lo, s5, v97
	v_or_b32_e32 v99, 3, v95
	v_dual_add_nc_u32 v100, 1, v95 :: v_dual_bitop2_b32 v98, 2, v95 bitop3:0x54
	s_wait_loadcnt 0x0
	v_ashrrev_i32_e32 v3, 31, v2
	s_delay_alu instid0(VALU_DEP_1) | instskip(NEXT) | instid1(VALU_DEP_1)
	v_mul_u64_e32 v[2:3], s[14:15], v[2:3]
	v_lshl_add_u64 v[58:59], v[2:3], 2, v[86:87]
	global_load_b128 v[2:5], v[58:59], off
	s_wait_xcnt 0x0
	s_and_saveexec_b32 s1, vcc_lo
	s_cbranch_execnz .LBB46_52
; %bb.37:                               ;   in Loop: Header=BB46_36 Depth=1
	s_or_b32 exec_lo, exec_lo, s1
	global_load_b128 v[10:13], v[58:59], off offset:512
	s_wait_xcnt 0x0
	s_and_saveexec_b32 s1, vcc_lo
	s_cbranch_execnz .LBB46_53
.LBB46_38:                              ;   in Loop: Header=BB46_36 Depth=1
	s_or_b32 exec_lo, exec_lo, s1
	global_load_b128 v[14:17], v[58:59], off offset:1024
	s_wait_xcnt 0x0
	s_and_saveexec_b32 s1, vcc_lo
	s_cbranch_execnz .LBB46_54
.LBB46_39:                              ;   in Loop: Header=BB46_36 Depth=1
	s_or_b32 exec_lo, exec_lo, s1
	global_load_b128 v[18:21], v[58:59], off offset:1536
	s_wait_xcnt 0x0
	s_and_saveexec_b32 s1, vcc_lo
	s_cbranch_execnz .LBB46_55
.LBB46_40:                              ;   in Loop: Header=BB46_36 Depth=1
	s_or_b32 exec_lo, exec_lo, s1
	global_load_b128 v[22:25], v[58:59], off offset:2048
	s_wait_xcnt 0x0
	s_and_saveexec_b32 s1, vcc_lo
	s_cbranch_execnz .LBB46_56
.LBB46_41:                              ;   in Loop: Header=BB46_36 Depth=1
	s_or_b32 exec_lo, exec_lo, s1
	global_load_b128 v[26:29], v[58:59], off offset:2560
	s_wait_xcnt 0x0
	s_and_saveexec_b32 s1, vcc_lo
	s_cbranch_execnz .LBB46_57
.LBB46_42:                              ;   in Loop: Header=BB46_36 Depth=1
	s_or_b32 exec_lo, exec_lo, s1
	global_load_b128 v[30:33], v[58:59], off offset:3072
	s_wait_xcnt 0x0
	s_and_saveexec_b32 s1, vcc_lo
	s_cbranch_execnz .LBB46_58
.LBB46_43:                              ;   in Loop: Header=BB46_36 Depth=1
	s_or_b32 exec_lo, exec_lo, s1
	global_load_b128 v[34:37], v[58:59], off offset:3584
	s_wait_xcnt 0x0
	s_and_saveexec_b32 s1, vcc_lo
	s_cbranch_execnz .LBB46_59
.LBB46_44:                              ;   in Loop: Header=BB46_36 Depth=1
	s_or_b32 exec_lo, exec_lo, s1
	global_load_b128 v[38:41], v[58:59], off offset:4096
	s_wait_xcnt 0x0
	s_and_saveexec_b32 s1, vcc_lo
	s_cbranch_execnz .LBB46_60
.LBB46_45:                              ;   in Loop: Header=BB46_36 Depth=1
	s_or_b32 exec_lo, exec_lo, s1
	global_load_b128 v[42:45], v[58:59], off offset:4608
	s_wait_xcnt 0x0
	s_and_saveexec_b32 s1, vcc_lo
	s_cbranch_execnz .LBB46_61
.LBB46_46:                              ;   in Loop: Header=BB46_36 Depth=1
	s_or_b32 exec_lo, exec_lo, s1
	global_load_b128 v[46:49], v[58:59], off offset:5120
	s_wait_xcnt 0x0
	s_and_saveexec_b32 s1, vcc_lo
	s_cbranch_execnz .LBB46_62
.LBB46_47:                              ;   in Loop: Header=BB46_36 Depth=1
	s_or_b32 exec_lo, exec_lo, s1
	global_load_b128 v[50:53], v[58:59], off offset:5632
	s_wait_xcnt 0x0
	s_and_saveexec_b32 s1, vcc_lo
	s_cbranch_execnz .LBB46_63
.LBB46_48:                              ;   in Loop: Header=BB46_36 Depth=1
	s_or_b32 exec_lo, exec_lo, s1
	global_load_b128 v[54:57], v[58:59], off offset:6144
	s_wait_xcnt 0x0
	s_and_saveexec_b32 s1, vcc_lo
	s_cbranch_execnz .LBB46_64
.LBB46_49:                              ;   in Loop: Header=BB46_36 Depth=1
	s_or_b32 exec_lo, exec_lo, s1
	global_load_b128 v[62:65], v[58:59], off offset:6656
	s_wait_xcnt 0x0
	s_and_saveexec_b32 s1, vcc_lo
	s_cbranch_execnz .LBB46_65
.LBB46_50:                              ;   in Loop: Header=BB46_36 Depth=1
	s_or_b32 exec_lo, exec_lo, s1
	global_load_b128 v[66:69], v[58:59], off offset:7168
	s_wait_xcnt 0x0
	s_and_saveexec_b32 s12, vcc_lo
	s_cbranch_execnz .LBB46_66
.LBB46_51:                              ;   in Loop: Header=BB46_36 Depth=1
	s_or_b32 exec_lo, exec_lo, s12
	global_load_b128 v[58:61], v[58:59], off offset:7680
	s_wait_xcnt 0x0
	s_and_saveexec_b32 s0, vcc_lo
	s_cbranch_execz .LBB46_35
	s_branch .LBB46_67
.LBB46_52:                              ;   in Loop: Header=BB46_36 Depth=1
	v_cmp_gt_i32_e64 s0, s11, v100
	s_wait_loadcnt 0x0
	s_delay_alu instid0(VALU_DEP_1) | instskip(SKIP_1) | instid1(VALU_DEP_1)
	v_cndmask_b32_e64 v3, 0, v3, s0
	v_cmp_gt_i32_e64 s0, s23, v95
	v_cndmask_b32_e64 v2, 0, v2, s0
	v_cmp_gt_i32_e64 s0, s11, v99
	s_delay_alu instid0(VALU_DEP_1) | instskip(SKIP_1) | instid1(VALU_DEP_1)
	v_cndmask_b32_e64 v5, 0, v5, s0
	v_cmp_gt_i32_e64 s0, s23, v98
	v_cndmask_b32_e64 v4, 0, v4, s0
	s_or_b32 exec_lo, exec_lo, s1
	global_load_b128 v[10:13], v[58:59], off offset:512
	s_wait_xcnt 0x0
	s_and_saveexec_b32 s1, vcc_lo
	s_cbranch_execz .LBB46_38
.LBB46_53:                              ;   in Loop: Header=BB46_36 Depth=1
	v_cmp_gt_i32_e64 s0, s11, v100
	s_wait_loadcnt 0x0
	s_delay_alu instid0(VALU_DEP_1) | instskip(SKIP_1) | instid1(VALU_DEP_1)
	v_cndmask_b32_e64 v11, 0, v11, s0
	v_cmp_gt_i32_e64 s0, s23, v95
	v_cndmask_b32_e64 v10, 0, v10, s0
	v_cmp_gt_i32_e64 s0, s11, v99
	s_delay_alu instid0(VALU_DEP_1) | instskip(SKIP_1) | instid1(VALU_DEP_1)
	v_cndmask_b32_e64 v13, 0, v13, s0
	v_cmp_gt_i32_e64 s0, s23, v98
	v_cndmask_b32_e64 v12, 0, v12, s0
	s_or_b32 exec_lo, exec_lo, s1
	global_load_b128 v[14:17], v[58:59], off offset:1024
	s_wait_xcnt 0x0
	s_and_saveexec_b32 s1, vcc_lo
	s_cbranch_execz .LBB46_39
.LBB46_54:                              ;   in Loop: Header=BB46_36 Depth=1
	v_cmp_gt_i32_e64 s0, s11, v100
	s_wait_loadcnt 0x0
	s_delay_alu instid0(VALU_DEP_1) | instskip(SKIP_1) | instid1(VALU_DEP_1)
	v_cndmask_b32_e64 v15, 0, v15, s0
	v_cmp_gt_i32_e64 s0, s23, v95
	v_cndmask_b32_e64 v14, 0, v14, s0
	v_cmp_gt_i32_e64 s0, s11, v99
	s_delay_alu instid0(VALU_DEP_1) | instskip(SKIP_1) | instid1(VALU_DEP_1)
	v_cndmask_b32_e64 v17, 0, v17, s0
	v_cmp_gt_i32_e64 s0, s23, v98
	v_cndmask_b32_e64 v16, 0, v16, s0
	s_or_b32 exec_lo, exec_lo, s1
	global_load_b128 v[18:21], v[58:59], off offset:1536
	s_wait_xcnt 0x0
	s_and_saveexec_b32 s1, vcc_lo
	s_cbranch_execz .LBB46_40
.LBB46_55:                              ;   in Loop: Header=BB46_36 Depth=1
	v_cmp_gt_i32_e64 s0, s11, v100
	s_wait_loadcnt 0x0
	s_delay_alu instid0(VALU_DEP_1) | instskip(SKIP_1) | instid1(VALU_DEP_1)
	v_cndmask_b32_e64 v19, 0, v19, s0
	v_cmp_gt_i32_e64 s0, s23, v95
	v_cndmask_b32_e64 v18, 0, v18, s0
	v_cmp_gt_i32_e64 s0, s11, v99
	s_delay_alu instid0(VALU_DEP_1) | instskip(SKIP_1) | instid1(VALU_DEP_1)
	v_cndmask_b32_e64 v21, 0, v21, s0
	v_cmp_gt_i32_e64 s0, s23, v98
	v_cndmask_b32_e64 v20, 0, v20, s0
	s_or_b32 exec_lo, exec_lo, s1
	global_load_b128 v[22:25], v[58:59], off offset:2048
	s_wait_xcnt 0x0
	s_and_saveexec_b32 s1, vcc_lo
	s_cbranch_execz .LBB46_41
.LBB46_56:                              ;   in Loop: Header=BB46_36 Depth=1
	v_cmp_gt_i32_e64 s0, s11, v100
	s_wait_loadcnt 0x0
	s_delay_alu instid0(VALU_DEP_1) | instskip(SKIP_1) | instid1(VALU_DEP_1)
	v_cndmask_b32_e64 v23, 0, v23, s0
	v_cmp_gt_i32_e64 s0, s23, v95
	v_cndmask_b32_e64 v22, 0, v22, s0
	v_cmp_gt_i32_e64 s0, s11, v99
	s_delay_alu instid0(VALU_DEP_1) | instskip(SKIP_1) | instid1(VALU_DEP_1)
	v_cndmask_b32_e64 v25, 0, v25, s0
	v_cmp_gt_i32_e64 s0, s23, v98
	v_cndmask_b32_e64 v24, 0, v24, s0
	s_or_b32 exec_lo, exec_lo, s1
	global_load_b128 v[26:29], v[58:59], off offset:2560
	s_wait_xcnt 0x0
	s_and_saveexec_b32 s1, vcc_lo
	s_cbranch_execz .LBB46_42
.LBB46_57:                              ;   in Loop: Header=BB46_36 Depth=1
	v_cmp_gt_i32_e64 s0, s11, v100
	s_wait_loadcnt 0x0
	s_delay_alu instid0(VALU_DEP_1) | instskip(SKIP_1) | instid1(VALU_DEP_1)
	v_cndmask_b32_e64 v27, 0, v27, s0
	v_cmp_gt_i32_e64 s0, s23, v95
	v_cndmask_b32_e64 v26, 0, v26, s0
	v_cmp_gt_i32_e64 s0, s11, v99
	s_delay_alu instid0(VALU_DEP_1) | instskip(SKIP_1) | instid1(VALU_DEP_1)
	v_cndmask_b32_e64 v29, 0, v29, s0
	v_cmp_gt_i32_e64 s0, s23, v98
	v_cndmask_b32_e64 v28, 0, v28, s0
	s_or_b32 exec_lo, exec_lo, s1
	global_load_b128 v[30:33], v[58:59], off offset:3072
	s_wait_xcnt 0x0
	s_and_saveexec_b32 s1, vcc_lo
	s_cbranch_execz .LBB46_43
.LBB46_58:                              ;   in Loop: Header=BB46_36 Depth=1
	v_cmp_gt_i32_e64 s0, s11, v100
	s_wait_loadcnt 0x0
	s_delay_alu instid0(VALU_DEP_1) | instskip(SKIP_1) | instid1(VALU_DEP_1)
	v_cndmask_b32_e64 v31, 0, v31, s0
	v_cmp_gt_i32_e64 s0, s23, v95
	v_cndmask_b32_e64 v30, 0, v30, s0
	v_cmp_gt_i32_e64 s0, s11, v99
	s_delay_alu instid0(VALU_DEP_1) | instskip(SKIP_1) | instid1(VALU_DEP_1)
	v_cndmask_b32_e64 v33, 0, v33, s0
	v_cmp_gt_i32_e64 s0, s23, v98
	v_cndmask_b32_e64 v32, 0, v32, s0
	s_or_b32 exec_lo, exec_lo, s1
	global_load_b128 v[34:37], v[58:59], off offset:3584
	s_wait_xcnt 0x0
	s_and_saveexec_b32 s1, vcc_lo
	s_cbranch_execz .LBB46_44
.LBB46_59:                              ;   in Loop: Header=BB46_36 Depth=1
	v_cmp_gt_i32_e64 s0, s11, v100
	s_wait_loadcnt 0x0
	s_delay_alu instid0(VALU_DEP_1) | instskip(SKIP_1) | instid1(VALU_DEP_1)
	v_cndmask_b32_e64 v35, 0, v35, s0
	v_cmp_gt_i32_e64 s0, s23, v95
	v_cndmask_b32_e64 v34, 0, v34, s0
	v_cmp_gt_i32_e64 s0, s11, v99
	s_delay_alu instid0(VALU_DEP_1) | instskip(SKIP_1) | instid1(VALU_DEP_1)
	v_cndmask_b32_e64 v37, 0, v37, s0
	v_cmp_gt_i32_e64 s0, s23, v98
	v_cndmask_b32_e64 v36, 0, v36, s0
	s_or_b32 exec_lo, exec_lo, s1
	global_load_b128 v[38:41], v[58:59], off offset:4096
	s_wait_xcnt 0x0
	s_and_saveexec_b32 s1, vcc_lo
	s_cbranch_execz .LBB46_45
.LBB46_60:                              ;   in Loop: Header=BB46_36 Depth=1
	v_cmp_gt_i32_e64 s0, s11, v100
	s_wait_loadcnt 0x0
	s_delay_alu instid0(VALU_DEP_1) | instskip(SKIP_1) | instid1(VALU_DEP_1)
	v_cndmask_b32_e64 v39, 0, v39, s0
	v_cmp_gt_i32_e64 s0, s23, v95
	v_cndmask_b32_e64 v38, 0, v38, s0
	v_cmp_gt_i32_e64 s0, s11, v99
	s_delay_alu instid0(VALU_DEP_1) | instskip(SKIP_1) | instid1(VALU_DEP_1)
	v_cndmask_b32_e64 v41, 0, v41, s0
	v_cmp_gt_i32_e64 s0, s23, v98
	v_cndmask_b32_e64 v40, 0, v40, s0
	s_or_b32 exec_lo, exec_lo, s1
	global_load_b128 v[42:45], v[58:59], off offset:4608
	s_wait_xcnt 0x0
	s_and_saveexec_b32 s1, vcc_lo
	s_cbranch_execz .LBB46_46
.LBB46_61:                              ;   in Loop: Header=BB46_36 Depth=1
	v_cmp_gt_i32_e64 s0, s11, v100
	s_wait_loadcnt 0x0
	s_delay_alu instid0(VALU_DEP_1) | instskip(SKIP_1) | instid1(VALU_DEP_1)
	v_cndmask_b32_e64 v43, 0, v43, s0
	v_cmp_gt_i32_e64 s0, s23, v95
	v_cndmask_b32_e64 v42, 0, v42, s0
	v_cmp_gt_i32_e64 s0, s11, v99
	s_delay_alu instid0(VALU_DEP_1) | instskip(SKIP_1) | instid1(VALU_DEP_1)
	v_cndmask_b32_e64 v45, 0, v45, s0
	v_cmp_gt_i32_e64 s0, s23, v98
	v_cndmask_b32_e64 v44, 0, v44, s0
	s_or_b32 exec_lo, exec_lo, s1
	global_load_b128 v[46:49], v[58:59], off offset:5120
	s_wait_xcnt 0x0
	s_and_saveexec_b32 s1, vcc_lo
	s_cbranch_execz .LBB46_47
.LBB46_62:                              ;   in Loop: Header=BB46_36 Depth=1
	v_cmp_gt_i32_e64 s0, s11, v100
	s_wait_loadcnt 0x0
	s_delay_alu instid0(VALU_DEP_1) | instskip(SKIP_1) | instid1(VALU_DEP_1)
	v_cndmask_b32_e64 v47, 0, v47, s0
	v_cmp_gt_i32_e64 s0, s23, v95
	v_cndmask_b32_e64 v46, 0, v46, s0
	v_cmp_gt_i32_e64 s0, s11, v99
	s_delay_alu instid0(VALU_DEP_1) | instskip(SKIP_1) | instid1(VALU_DEP_1)
	v_cndmask_b32_e64 v49, 0, v49, s0
	v_cmp_gt_i32_e64 s0, s23, v98
	v_cndmask_b32_e64 v48, 0, v48, s0
	s_or_b32 exec_lo, exec_lo, s1
	global_load_b128 v[50:53], v[58:59], off offset:5632
	s_wait_xcnt 0x0
	s_and_saveexec_b32 s1, vcc_lo
	s_cbranch_execz .LBB46_48
.LBB46_63:                              ;   in Loop: Header=BB46_36 Depth=1
	v_cmp_gt_i32_e64 s0, s11, v100
	s_wait_loadcnt 0x0
	s_delay_alu instid0(VALU_DEP_1) | instskip(SKIP_1) | instid1(VALU_DEP_1)
	v_cndmask_b32_e64 v51, 0, v51, s0
	v_cmp_gt_i32_e64 s0, s23, v95
	v_cndmask_b32_e64 v50, 0, v50, s0
	v_cmp_gt_i32_e64 s0, s11, v99
	s_delay_alu instid0(VALU_DEP_1) | instskip(SKIP_1) | instid1(VALU_DEP_1)
	v_cndmask_b32_e64 v53, 0, v53, s0
	v_cmp_gt_i32_e64 s0, s23, v98
	v_cndmask_b32_e64 v52, 0, v52, s0
	s_or_b32 exec_lo, exec_lo, s1
	global_load_b128 v[54:57], v[58:59], off offset:6144
	s_wait_xcnt 0x0
	s_and_saveexec_b32 s1, vcc_lo
	s_cbranch_execz .LBB46_49
.LBB46_64:                              ;   in Loop: Header=BB46_36 Depth=1
	v_cmp_gt_i32_e64 s0, s11, v100
	s_wait_loadcnt 0x0
	s_delay_alu instid0(VALU_DEP_1) | instskip(SKIP_1) | instid1(VALU_DEP_1)
	v_cndmask_b32_e64 v55, 0, v55, s0
	v_cmp_gt_i32_e64 s0, s23, v95
	v_cndmask_b32_e64 v54, 0, v54, s0
	v_cmp_gt_i32_e64 s0, s11, v99
	s_delay_alu instid0(VALU_DEP_1) | instskip(SKIP_1) | instid1(VALU_DEP_1)
	v_cndmask_b32_e64 v57, 0, v57, s0
	v_cmp_gt_i32_e64 s0, s23, v98
	v_cndmask_b32_e64 v56, 0, v56, s0
	s_or_b32 exec_lo, exec_lo, s1
	global_load_b128 v[62:65], v[58:59], off offset:6656
	s_wait_xcnt 0x0
	s_and_saveexec_b32 s1, vcc_lo
	s_cbranch_execz .LBB46_50
.LBB46_65:                              ;   in Loop: Header=BB46_36 Depth=1
	v_cmp_gt_i32_e64 s0, s11, v100
	s_wait_loadcnt 0x0
	s_delay_alu instid0(VALU_DEP_1) | instskip(SKIP_1) | instid1(VALU_DEP_1)
	v_cndmask_b32_e64 v63, 0, v63, s0
	v_cmp_gt_i32_e64 s0, s23, v95
	v_cndmask_b32_e64 v62, 0, v62, s0
	v_cmp_gt_i32_e64 s0, s11, v99
	s_delay_alu instid0(VALU_DEP_1) | instskip(SKIP_1) | instid1(VALU_DEP_1)
	v_cndmask_b32_e64 v65, 0, v65, s0
	v_cmp_gt_i32_e64 s0, s23, v98
	v_cndmask_b32_e64 v64, 0, v64, s0
	s_or_b32 exec_lo, exec_lo, s1
	global_load_b128 v[66:69], v[58:59], off offset:7168
	s_wait_xcnt 0x0
	s_and_saveexec_b32 s12, vcc_lo
	s_cbranch_execz .LBB46_51
.LBB46_66:                              ;   in Loop: Header=BB46_36 Depth=1
	v_cmp_gt_i32_e64 s0, s11, v100
	v_cmp_gt_i32_e64 s1, s23, v95
	;; [unrolled: 1-line block ×4, first 2 shown]
	s_wait_loadcnt 0x0
	s_delay_alu instid0(VALU_DEP_3) | instskip(NEXT) | instid1(VALU_DEP_2)
	v_dual_cndmask_b32 v67, 0, v67, s0 :: v_dual_cndmask_b32 v66, 0, v66, s1
	v_dual_cndmask_b32 v69, 0, v69, s2 :: v_dual_cndmask_b32 v68, 0, v68, s3
	s_or_b32 exec_lo, exec_lo, s12
	global_load_b128 v[58:61], v[58:59], off offset:7680
	s_wait_xcnt 0x0
	s_and_saveexec_b32 s0, vcc_lo
	s_cbranch_execz .LBB46_35
.LBB46_67:                              ;   in Loop: Header=BB46_36 Depth=1
	v_cmp_gt_i32_e32 vcc_lo, s11, v100
	s_wait_loadcnt 0x0
	v_cndmask_b32_e32 v59, 0, v59, vcc_lo
	v_cmp_gt_i32_e32 vcc_lo, s23, v95
	v_cndmask_b32_e32 v58, 0, v58, vcc_lo
	v_cmp_gt_i32_e32 vcc_lo, s11, v99
	;; [unrolled: 2-line block ×3, first 2 shown]
	v_cndmask_b32_e32 v60, 0, v60, vcc_lo
	s_branch .LBB46_35
.LBB46_68:
	s_or_b32 exec_lo, exec_lo, s10
.LBB46_69:
	s_delay_alu instid0(SALU_CYCLE_1)
	s_or_b32 exec_lo, exec_lo, s4
	ds_bpermute_b32 v2, v93, v84
	ds_bpermute_b32 v3, v93, v85
	;; [unrolled: 1-line block ×16, first 2 shown]
	s_mov_b32 s0, exec_lo
	s_wait_dscnt 0x0
	s_barrier_signal -1
	s_barrier_wait -1
	v_pk_add_f32 v[2:3], v[84:85], v[2:3]
	v_pk_add_f32 v[4:5], v[82:83], v[4:5]
	;; [unrolled: 1-line block ×3, first 2 shown]
	ds_bpermute_b32 v18, v92, v2
	v_pk_add_f32 v[8:9], v[78:79], v[8:9]
	ds_bpermute_b32 v19, v92, v3
	v_pk_add_f32 v[10:11], v[76:77], v[10:11]
	;; [unrolled: 2-line block ×4, first 2 shown]
	ds_bpermute_b32 v22, v92, v6
	ds_bpermute_b32 v23, v92, v7
	;; [unrolled: 1-line block ×6, first 2 shown]
	v_pk_add_f32 v[16:17], v[70:71], v[16:17]
	ds_bpermute_b32 v28, v92, v12
	ds_bpermute_b32 v29, v92, v13
	;; [unrolled: 1-line block ×6, first 2 shown]
	s_wait_dscnt 0xe
	v_pk_add_f32 v[2:3], v[2:3], v[18:19]
	s_wait_dscnt 0xc
	v_pk_add_f32 v[4:5], v[4:5], v[20:21]
	;; [unrolled: 2-line block ×4, first 2 shown]
	ds_bpermute_b32 v22, v91, v4
	s_wait_dscnt 0x7
	v_pk_add_f32 v[20:21], v[10:11], v[26:27]
	ds_bpermute_b32 v10, v91, v2
	ds_bpermute_b32 v11, v91, v3
	s_wait_dscnt 0x7
	v_pk_add_f32 v[28:29], v[12:13], v[28:29]
	ds_bpermute_b32 v23, v91, v5
	s_wait_dscnt 0x6
	v_pk_add_f32 v[30:31], v[14:15], v[30:31]
	ds_bpermute_b32 v24, v91, v6
	ds_bpermute_b32 v25, v91, v7
	;; [unrolled: 1-line block ×10, first 2 shown]
	s_wait_dscnt 0xe
	v_pk_add_f32 v[16:17], v[16:17], v[32:33]
	v_and_b32_e32 v32, 0x3c7, v0
	ds_bpermute_b32 v18, v91, v16
	s_wait_dscnt 0xc
	v_pk_add_f32 v[14:15], v[2:3], v[10:11]
	ds_bpermute_b32 v19, v91, v17
	s_wait_dscnt 0xc
	v_pk_add_f32 v[12:13], v[4:5], v[22:23]
	s_wait_dscnt 0xa
	v_pk_add_f32 v[10:11], v[6:7], v[24:25]
	;; [unrolled: 2-line block ×4, first 2 shown]
	v_lshrrev_b32_e32 v20, 3, v90
	s_wait_dscnt 0x4
	v_pk_add_f32 v[4:5], v[28:29], v[36:37]
	s_wait_dscnt 0x2
	v_pk_add_f32 v[2:3], v[30:31], v[38:39]
	v_cmpx_ne_u32_e32 64, v32
	s_xor_b32 s0, exec_lo, s0
	s_delay_alu instid0(SALU_CYCLE_1)
	s_or_saveexec_b32 s0, s0
	s_wait_dscnt 0x0
	v_pk_add_f32 v[16:17], v[16:17], v[18:19]
	v_lshl_add_u32 v18, v20, 2, 0x120
	v_lshlrev_b32_e32 v1, 8, v1
	s_xor_b32 exec_lo, exec_lo, s0
	s_cbranch_execz .LBB46_71
; %bb.70:
	s_delay_alu instid0(VALU_DEP_1) | instskip(NEXT) | instid1(VALU_DEP_1)
	v_add_nc_u32_e32 v19, v18, v1
	v_add_nc_u32_e32 v21, 0xfffffe00, v19
	;; [unrolled: 1-line block ×9, first 2 shown]
	ds_store_b32 v21, v14
	ds_store_b32 v22, v15
	;; [unrolled: 1-line block ×8, first 2 shown]
	v_add_nc_u32_e32 v21, 0xfffffe80, v19
	v_add_nc_u32_e32 v22, 0xfffffe90, v19
	;; [unrolled: 1-line block ×8, first 2 shown]
	ds_store_b32 v21, v6
	ds_store_b32 v22, v7
	;; [unrolled: 1-line block ×8, first 2 shown]
.LBB46_71:
	s_or_b32 exec_lo, exec_lo, s0
	v_lshlrev_b32_e32 v19, 2, v20
	s_mov_b32 s1, exec_lo
	v_cmp_eq_u32_e32 vcc_lo, 0, v94
	s_wait_dscnt 0x0
	s_barrier_signal -1
	v_add3_u32 v1, 0x120, v1, v19
	s_barrier_wait -1
	v_cmpx_gt_u32_e32 64, v0
	s_cbranch_execz .LBB46_90
; %bb.72:
	s_and_saveexec_b32 s0, vcc_lo
	s_cbranch_execnz .LBB46_114
; %bb.73:
	s_or_b32 exec_lo, exec_lo, s0
	s_and_saveexec_b32 s0, vcc_lo
	s_cbranch_execnz .LBB46_115
.LBB46_74:
	s_or_b32 exec_lo, exec_lo, s0
	s_and_saveexec_b32 s0, vcc_lo
	s_cbranch_execnz .LBB46_116
.LBB46_75:
	s_or_b32 exec_lo, exec_lo, s0
	s_and_saveexec_b32 s0, vcc_lo
	s_cbranch_execnz .LBB46_117
.LBB46_76:
	s_or_b32 exec_lo, exec_lo, s0
	s_and_saveexec_b32 s0, vcc_lo
	s_cbranch_execnz .LBB46_118
.LBB46_77:
	s_or_b32 exec_lo, exec_lo, s0
	s_and_saveexec_b32 s0, vcc_lo
	s_cbranch_execnz .LBB46_119
.LBB46_78:
	s_or_b32 exec_lo, exec_lo, s0
	s_and_saveexec_b32 s0, vcc_lo
	s_cbranch_execnz .LBB46_120
.LBB46_79:
	s_or_b32 exec_lo, exec_lo, s0
	s_and_saveexec_b32 s0, vcc_lo
	s_cbranch_execnz .LBB46_121
.LBB46_80:
	s_or_b32 exec_lo, exec_lo, s0
	s_and_saveexec_b32 s0, vcc_lo
	s_cbranch_execnz .LBB46_122
.LBB46_81:
	s_or_b32 exec_lo, exec_lo, s0
	s_and_saveexec_b32 s0, vcc_lo
	s_cbranch_execnz .LBB46_123
.LBB46_82:
	s_or_b32 exec_lo, exec_lo, s0
	s_and_saveexec_b32 s0, vcc_lo
	s_cbranch_execnz .LBB46_124
.LBB46_83:
	s_or_b32 exec_lo, exec_lo, s0
	s_and_saveexec_b32 s0, vcc_lo
	s_cbranch_execnz .LBB46_125
.LBB46_84:
	s_or_b32 exec_lo, exec_lo, s0
	s_and_saveexec_b32 s0, vcc_lo
	s_cbranch_execnz .LBB46_126
.LBB46_85:
	s_or_b32 exec_lo, exec_lo, s0
	s_and_saveexec_b32 s0, vcc_lo
	s_cbranch_execnz .LBB46_127
.LBB46_86:
	s_or_b32 exec_lo, exec_lo, s0
	s_and_saveexec_b32 s0, vcc_lo
	s_cbranch_execnz .LBB46_128
.LBB46_87:
	s_or_b32 exec_lo, exec_lo, s0
	s_and_saveexec_b32 s0, vcc_lo
	s_cbranch_execz .LBB46_89
.LBB46_88:
	ds_load_b32 v19, v1 offset:240
	s_wait_dscnt 0x0
	v_add_f32_e32 v17, v17, v19
.LBB46_89:
	s_or_b32 exec_lo, exec_lo, s0
.LBB46_90:
	s_delay_alu instid0(SALU_CYCLE_1) | instskip(SKIP_4) | instid1(VALU_DEP_1)
	s_or_b32 exec_lo, exec_lo, s1
	v_and_b32_e32 v19, 0x3e7, v0
	s_mov_b32 s1, exec_lo
	s_barrier_signal -1
	s_barrier_wait -1
	v_cmpx_eq_u32_e32 32, v19
	s_cbranch_execz .LBB46_92
; %bb.91:
	ds_store_2addr_b32 v18, v14, v15 offset1:4
	ds_store_2addr_b32 v18, v12, v13 offset0:8 offset1:12
	ds_store_2addr_b32 v18, v10, v11 offset0:16 offset1:20
	;; [unrolled: 1-line block ×7, first 2 shown]
.LBB46_92:
	s_or_b32 exec_lo, exec_lo, s1
	s_delay_alu instid0(SALU_CYCLE_1)
	s_mov_b32 s1, exec_lo
	s_wait_dscnt 0x0
	s_barrier_signal -1
	s_barrier_wait -1
	v_cmpx_gt_u32_e32 32, v0
	s_cbranch_execz .LBB46_111
; %bb.93:
	s_and_saveexec_b32 s0, vcc_lo
	s_cbranch_execnz .LBB46_129
; %bb.94:
	s_or_b32 exec_lo, exec_lo, s0
	s_and_saveexec_b32 s0, vcc_lo
	s_cbranch_execnz .LBB46_130
.LBB46_95:
	s_or_b32 exec_lo, exec_lo, s0
	s_and_saveexec_b32 s0, vcc_lo
	s_cbranch_execnz .LBB46_131
.LBB46_96:
	s_or_b32 exec_lo, exec_lo, s0
	s_and_saveexec_b32 s0, vcc_lo
	s_cbranch_execnz .LBB46_132
.LBB46_97:
	s_or_b32 exec_lo, exec_lo, s0
	s_and_saveexec_b32 s0, vcc_lo
	s_cbranch_execnz .LBB46_133
.LBB46_98:
	s_or_b32 exec_lo, exec_lo, s0
	s_and_saveexec_b32 s0, vcc_lo
	s_cbranch_execnz .LBB46_134
.LBB46_99:
	s_or_b32 exec_lo, exec_lo, s0
	s_and_saveexec_b32 s0, vcc_lo
	s_cbranch_execnz .LBB46_135
.LBB46_100:
	s_or_b32 exec_lo, exec_lo, s0
	s_and_saveexec_b32 s0, vcc_lo
	s_cbranch_execnz .LBB46_136
.LBB46_101:
	s_or_b32 exec_lo, exec_lo, s0
	s_and_saveexec_b32 s0, vcc_lo
	s_cbranch_execnz .LBB46_137
.LBB46_102:
	s_or_b32 exec_lo, exec_lo, s0
	s_and_saveexec_b32 s0, vcc_lo
	s_cbranch_execnz .LBB46_138
.LBB46_103:
	s_or_b32 exec_lo, exec_lo, s0
	s_and_saveexec_b32 s0, vcc_lo
	s_cbranch_execnz .LBB46_139
.LBB46_104:
	s_or_b32 exec_lo, exec_lo, s0
	s_and_saveexec_b32 s0, vcc_lo
	s_cbranch_execnz .LBB46_140
.LBB46_105:
	s_or_b32 exec_lo, exec_lo, s0
	s_and_saveexec_b32 s0, vcc_lo
	s_cbranch_execnz .LBB46_141
.LBB46_106:
	s_or_b32 exec_lo, exec_lo, s0
	s_and_saveexec_b32 s0, vcc_lo
	s_cbranch_execnz .LBB46_142
.LBB46_107:
	s_or_b32 exec_lo, exec_lo, s0
	s_and_saveexec_b32 s0, vcc_lo
	s_cbranch_execnz .LBB46_143
.LBB46_108:
	s_or_b32 exec_lo, exec_lo, s0
	s_and_saveexec_b32 s0, vcc_lo
	s_cbranch_execz .LBB46_110
.LBB46_109:
	ds_load_b32 v1, v1 offset:240
	s_wait_dscnt 0x0
	v_add_f32_e32 v17, v17, v1
.LBB46_110:
	s_or_b32 exec_lo, exec_lo, s0
.LBB46_111:
	s_delay_alu instid0(SALU_CYCLE_1)
	s_or_b32 exec_lo, exec_lo, s1
	s_mov_b32 s1, 0
	s_barrier_signal -1
	s_barrier_wait -1
	s_mov_b32 s0, exec_lo
	v_cmpx_eq_u32_e32 0, v19
	s_cbranch_execz .LBB46_113
; %bb.112:
	s_mul_i32 s0, s22, s9
	s_mul_i32 s2, s9, s8
	;; [unrolled: 1-line block ×3, first 2 shown]
	s_lshr_b32 s8, ttmp7, 16
	s_lshl_b32 s4, s0, 6
	s_bfe_u32 s0, ttmp6, 0x40014
	s_ashr_i32 s5, s4, 31
	s_add_co_i32 s0, s0, 1
	s_lshl_b64 s[4:5], s[4:5], 2
	s_ashr_i32 s3, s2, 31
	s_wait_kmcnt 0x0
	s_add_nc_u64 s[4:5], s[6:7], s[4:5]
	s_mul_i32 s0, s8, s0
	s_bfe_u32 s6, ttmp6, 0x40008
	s_lshl_b64 s[2:3], s[2:3], 2
	s_add_co_i32 s6, s6, s0
	s_cmp_eq_u32 s20, 0
	v_lshrrev_b32_e32 v0, 1, v0
	s_cselect_b32 s0, s8, s6
	s_add_nc_u64 s[2:3], s[4:5], s[2:3]
	s_lshl_b32 s0, s0, 8
	s_delay_alu instid0(SALU_CYCLE_1)
	s_add_nc_u64 s[0:1], s[2:3], s[0:1]
	s_clause 0xf
	global_store_b32 v0, v14, s[0:1]
	global_store_b32 v0, v15, s[0:1] offset:16
	global_store_b32 v0, v12, s[0:1] offset:32
	;; [unrolled: 1-line block ×15, first 2 shown]
.LBB46_113:
	s_sendmsg sendmsg(MSG_DEALLOC_VGPRS)
	s_endpgm
.LBB46_114:
	ds_load_b32 v19, v1
	s_wait_dscnt 0x0
	v_add_f32_e32 v14, v14, v19
	s_or_b32 exec_lo, exec_lo, s0
	s_and_saveexec_b32 s0, vcc_lo
	s_cbranch_execz .LBB46_74
.LBB46_115:
	ds_load_b32 v19, v1 offset:16
	s_wait_dscnt 0x0
	v_add_f32_e32 v15, v15, v19
	s_or_b32 exec_lo, exec_lo, s0
	s_and_saveexec_b32 s0, vcc_lo
	s_cbranch_execz .LBB46_75
.LBB46_116:
	ds_load_b32 v19, v1 offset:32
	s_wait_dscnt 0x0
	v_add_f32_e32 v12, v12, v19
	s_or_b32 exec_lo, exec_lo, s0
	s_and_saveexec_b32 s0, vcc_lo
	s_cbranch_execz .LBB46_76
.LBB46_117:
	ds_load_b32 v19, v1 offset:48
	s_wait_dscnt 0x0
	v_add_f32_e32 v13, v13, v19
	s_or_b32 exec_lo, exec_lo, s0
	s_and_saveexec_b32 s0, vcc_lo
	s_cbranch_execz .LBB46_77
.LBB46_118:
	ds_load_b32 v19, v1 offset:64
	s_wait_dscnt 0x0
	v_add_f32_e32 v10, v10, v19
	s_or_b32 exec_lo, exec_lo, s0
	s_and_saveexec_b32 s0, vcc_lo
	s_cbranch_execz .LBB46_78
.LBB46_119:
	ds_load_b32 v19, v1 offset:80
	s_wait_dscnt 0x0
	v_add_f32_e32 v11, v11, v19
	s_or_b32 exec_lo, exec_lo, s0
	s_and_saveexec_b32 s0, vcc_lo
	s_cbranch_execz .LBB46_79
.LBB46_120:
	ds_load_b32 v19, v1 offset:96
	s_wait_dscnt 0x0
	v_add_f32_e32 v8, v8, v19
	s_or_b32 exec_lo, exec_lo, s0
	s_and_saveexec_b32 s0, vcc_lo
	s_cbranch_execz .LBB46_80
.LBB46_121:
	ds_load_b32 v19, v1 offset:112
	s_wait_dscnt 0x0
	v_add_f32_e32 v9, v9, v19
	s_or_b32 exec_lo, exec_lo, s0
	s_and_saveexec_b32 s0, vcc_lo
	s_cbranch_execz .LBB46_81
.LBB46_122:
	ds_load_b32 v19, v1 offset:128
	s_wait_dscnt 0x0
	v_add_f32_e32 v6, v6, v19
	s_or_b32 exec_lo, exec_lo, s0
	s_and_saveexec_b32 s0, vcc_lo
	s_cbranch_execz .LBB46_82
.LBB46_123:
	ds_load_b32 v19, v1 offset:144
	s_wait_dscnt 0x0
	v_add_f32_e32 v7, v7, v19
	s_or_b32 exec_lo, exec_lo, s0
	s_and_saveexec_b32 s0, vcc_lo
	s_cbranch_execz .LBB46_83
.LBB46_124:
	ds_load_b32 v19, v1 offset:160
	s_wait_dscnt 0x0
	v_add_f32_e32 v4, v4, v19
	s_or_b32 exec_lo, exec_lo, s0
	s_and_saveexec_b32 s0, vcc_lo
	s_cbranch_execz .LBB46_84
.LBB46_125:
	ds_load_b32 v19, v1 offset:176
	s_wait_dscnt 0x0
	v_add_f32_e32 v5, v5, v19
	s_or_b32 exec_lo, exec_lo, s0
	s_and_saveexec_b32 s0, vcc_lo
	s_cbranch_execz .LBB46_85
.LBB46_126:
	ds_load_b32 v19, v1 offset:192
	s_wait_dscnt 0x0
	v_add_f32_e32 v2, v2, v19
	s_or_b32 exec_lo, exec_lo, s0
	s_and_saveexec_b32 s0, vcc_lo
	s_cbranch_execz .LBB46_86
.LBB46_127:
	ds_load_b32 v19, v1 offset:208
	s_wait_dscnt 0x0
	v_add_f32_e32 v3, v3, v19
	s_or_b32 exec_lo, exec_lo, s0
	s_and_saveexec_b32 s0, vcc_lo
	s_cbranch_execz .LBB46_87
.LBB46_128:
	ds_load_b32 v19, v1 offset:224
	s_wait_dscnt 0x0
	v_add_f32_e32 v16, v16, v19
	s_or_b32 exec_lo, exec_lo, s0
	s_and_saveexec_b32 s0, vcc_lo
	s_cbranch_execnz .LBB46_88
	s_branch .LBB46_89
.LBB46_129:
	ds_load_b32 v18, v1
	s_wait_dscnt 0x0
	v_add_f32_e32 v14, v14, v18
	s_or_b32 exec_lo, exec_lo, s0
	s_and_saveexec_b32 s0, vcc_lo
	s_cbranch_execz .LBB46_95
.LBB46_130:
	ds_load_b32 v18, v1 offset:16
	s_wait_dscnt 0x0
	v_add_f32_e32 v15, v15, v18
	s_or_b32 exec_lo, exec_lo, s0
	s_and_saveexec_b32 s0, vcc_lo
	s_cbranch_execz .LBB46_96
.LBB46_131:
	ds_load_b32 v18, v1 offset:32
	s_wait_dscnt 0x0
	v_add_f32_e32 v12, v12, v18
	s_or_b32 exec_lo, exec_lo, s0
	s_and_saveexec_b32 s0, vcc_lo
	s_cbranch_execz .LBB46_97
.LBB46_132:
	ds_load_b32 v18, v1 offset:48
	s_wait_dscnt 0x0
	v_add_f32_e32 v13, v13, v18
	s_or_b32 exec_lo, exec_lo, s0
	s_and_saveexec_b32 s0, vcc_lo
	s_cbranch_execz .LBB46_98
.LBB46_133:
	ds_load_b32 v18, v1 offset:64
	s_wait_dscnt 0x0
	v_add_f32_e32 v10, v10, v18
	s_or_b32 exec_lo, exec_lo, s0
	s_and_saveexec_b32 s0, vcc_lo
	s_cbranch_execz .LBB46_99
.LBB46_134:
	ds_load_b32 v18, v1 offset:80
	s_wait_dscnt 0x0
	v_add_f32_e32 v11, v11, v18
	s_or_b32 exec_lo, exec_lo, s0
	s_and_saveexec_b32 s0, vcc_lo
	s_cbranch_execz .LBB46_100
.LBB46_135:
	ds_load_b32 v18, v1 offset:96
	s_wait_dscnt 0x0
	v_add_f32_e32 v8, v8, v18
	s_or_b32 exec_lo, exec_lo, s0
	s_and_saveexec_b32 s0, vcc_lo
	s_cbranch_execz .LBB46_101
.LBB46_136:
	ds_load_b32 v18, v1 offset:112
	s_wait_dscnt 0x0
	v_add_f32_e32 v9, v9, v18
	s_or_b32 exec_lo, exec_lo, s0
	s_and_saveexec_b32 s0, vcc_lo
	s_cbranch_execz .LBB46_102
.LBB46_137:
	ds_load_b32 v18, v1 offset:128
	s_wait_dscnt 0x0
	v_add_f32_e32 v6, v6, v18
	s_or_b32 exec_lo, exec_lo, s0
	s_and_saveexec_b32 s0, vcc_lo
	s_cbranch_execz .LBB46_103
.LBB46_138:
	ds_load_b32 v18, v1 offset:144
	s_wait_dscnt 0x0
	v_add_f32_e32 v7, v7, v18
	s_or_b32 exec_lo, exec_lo, s0
	s_and_saveexec_b32 s0, vcc_lo
	s_cbranch_execz .LBB46_104
.LBB46_139:
	ds_load_b32 v18, v1 offset:160
	s_wait_dscnt 0x0
	v_add_f32_e32 v4, v4, v18
	s_or_b32 exec_lo, exec_lo, s0
	s_and_saveexec_b32 s0, vcc_lo
	s_cbranch_execz .LBB46_105
.LBB46_140:
	ds_load_b32 v18, v1 offset:176
	s_wait_dscnt 0x0
	v_add_f32_e32 v5, v5, v18
	s_or_b32 exec_lo, exec_lo, s0
	s_and_saveexec_b32 s0, vcc_lo
	s_cbranch_execz .LBB46_106
.LBB46_141:
	ds_load_b32 v18, v1 offset:192
	s_wait_dscnt 0x0
	v_add_f32_e32 v2, v2, v18
	s_or_b32 exec_lo, exec_lo, s0
	s_and_saveexec_b32 s0, vcc_lo
	s_cbranch_execz .LBB46_107
.LBB46_142:
	ds_load_b32 v18, v1 offset:208
	s_wait_dscnt 0x0
	v_add_f32_e32 v3, v3, v18
	s_or_b32 exec_lo, exec_lo, s0
	s_and_saveexec_b32 s0, vcc_lo
	s_cbranch_execz .LBB46_108
.LBB46_143:
	ds_load_b32 v18, v1 offset:224
	s_wait_dscnt 0x0
	v_add_f32_e32 v16, v16, v18
	s_or_b32 exec_lo, exec_lo, s0
	s_and_saveexec_b32 s0, vcc_lo
	s_cbranch_execnz .LBB46_109
	s_branch .LBB46_110
	.section	.rodata,"a",@progbits
	.p2align	6, 0x0
	.amdhsa_kernel _ZN4vllm25paged_attention_v1_kernelIffLi64ELi32ELi128ELNS_18Fp8KVCacheDataTypeE0ELb0EEEvPT_PKS2_PKT0_S8_ifPKiSA_iPKfiiiSC_SC_iiiii
		.amdhsa_group_segment_fixed_size 288
		.amdhsa_private_segment_fixed_size 0
		.amdhsa_kernarg_size 384
		.amdhsa_user_sgpr_count 2
		.amdhsa_user_sgpr_dispatch_ptr 0
		.amdhsa_user_sgpr_queue_ptr 0
		.amdhsa_user_sgpr_kernarg_segment_ptr 1
		.amdhsa_user_sgpr_dispatch_id 0
		.amdhsa_user_sgpr_kernarg_preload_length 0
		.amdhsa_user_sgpr_kernarg_preload_offset 0
		.amdhsa_user_sgpr_private_segment_size 0
		.amdhsa_wavefront_size32 1
		.amdhsa_uses_dynamic_stack 0
		.amdhsa_enable_private_segment 0
		.amdhsa_system_sgpr_workgroup_id_x 1
		.amdhsa_system_sgpr_workgroup_id_y 1
		.amdhsa_system_sgpr_workgroup_id_z 1
		.amdhsa_system_sgpr_workgroup_info 0
		.amdhsa_system_vgpr_workitem_id 0
		.amdhsa_next_free_vgpr 120
		.amdhsa_next_free_sgpr 28
		.amdhsa_named_barrier_count 0
		.amdhsa_reserve_vcc 1
		.amdhsa_float_round_mode_32 0
		.amdhsa_float_round_mode_16_64 0
		.amdhsa_float_denorm_mode_32 3
		.amdhsa_float_denorm_mode_16_64 3
		.amdhsa_fp16_overflow 0
		.amdhsa_memory_ordered 1
		.amdhsa_forward_progress 1
		.amdhsa_inst_pref_size 69
		.amdhsa_round_robin_scheduling 0
		.amdhsa_exception_fp_ieee_invalid_op 0
		.amdhsa_exception_fp_denorm_src 0
		.amdhsa_exception_fp_ieee_div_zero 0
		.amdhsa_exception_fp_ieee_overflow 0
		.amdhsa_exception_fp_ieee_underflow 0
		.amdhsa_exception_fp_ieee_inexact 0
		.amdhsa_exception_int_div_zero 0
	.end_amdhsa_kernel
	.section	.text._ZN4vllm25paged_attention_v1_kernelIffLi64ELi32ELi128ELNS_18Fp8KVCacheDataTypeE0ELb0EEEvPT_PKS2_PKT0_S8_ifPKiSA_iPKfiiiSC_SC_iiiii,"axG",@progbits,_ZN4vllm25paged_attention_v1_kernelIffLi64ELi32ELi128ELNS_18Fp8KVCacheDataTypeE0ELb0EEEvPT_PKS2_PKT0_S8_ifPKiSA_iPKfiiiSC_SC_iiiii,comdat
.Lfunc_end46:
	.size	_ZN4vllm25paged_attention_v1_kernelIffLi64ELi32ELi128ELNS_18Fp8KVCacheDataTypeE0ELb0EEEvPT_PKS2_PKT0_S8_ifPKiSA_iPKfiiiSC_SC_iiiii, .Lfunc_end46-_ZN4vllm25paged_attention_v1_kernelIffLi64ELi32ELi128ELNS_18Fp8KVCacheDataTypeE0ELb0EEEvPT_PKS2_PKT0_S8_ifPKiSA_iPKfiiiSC_SC_iiiii
                                        ; -- End function
	.set _ZN4vllm25paged_attention_v1_kernelIffLi64ELi32ELi128ELNS_18Fp8KVCacheDataTypeE0ELb0EEEvPT_PKS2_PKT0_S8_ifPKiSA_iPKfiiiSC_SC_iiiii.num_vgpr, 120
	.set _ZN4vllm25paged_attention_v1_kernelIffLi64ELi32ELi128ELNS_18Fp8KVCacheDataTypeE0ELb0EEEvPT_PKS2_PKT0_S8_ifPKiSA_iPKfiiiSC_SC_iiiii.num_agpr, 0
	.set _ZN4vllm25paged_attention_v1_kernelIffLi64ELi32ELi128ELNS_18Fp8KVCacheDataTypeE0ELb0EEEvPT_PKS2_PKT0_S8_ifPKiSA_iPKfiiiSC_SC_iiiii.numbered_sgpr, 28
	.set _ZN4vllm25paged_attention_v1_kernelIffLi64ELi32ELi128ELNS_18Fp8KVCacheDataTypeE0ELb0EEEvPT_PKS2_PKT0_S8_ifPKiSA_iPKfiiiSC_SC_iiiii.num_named_barrier, 0
	.set _ZN4vllm25paged_attention_v1_kernelIffLi64ELi32ELi128ELNS_18Fp8KVCacheDataTypeE0ELb0EEEvPT_PKS2_PKT0_S8_ifPKiSA_iPKfiiiSC_SC_iiiii.private_seg_size, 0
	.set _ZN4vllm25paged_attention_v1_kernelIffLi64ELi32ELi128ELNS_18Fp8KVCacheDataTypeE0ELb0EEEvPT_PKS2_PKT0_S8_ifPKiSA_iPKfiiiSC_SC_iiiii.uses_vcc, 1
	.set _ZN4vllm25paged_attention_v1_kernelIffLi64ELi32ELi128ELNS_18Fp8KVCacheDataTypeE0ELb0EEEvPT_PKS2_PKT0_S8_ifPKiSA_iPKfiiiSC_SC_iiiii.uses_flat_scratch, 0
	.set _ZN4vllm25paged_attention_v1_kernelIffLi64ELi32ELi128ELNS_18Fp8KVCacheDataTypeE0ELb0EEEvPT_PKS2_PKT0_S8_ifPKiSA_iPKfiiiSC_SC_iiiii.has_dyn_sized_stack, 0
	.set _ZN4vllm25paged_attention_v1_kernelIffLi64ELi32ELi128ELNS_18Fp8KVCacheDataTypeE0ELb0EEEvPT_PKS2_PKT0_S8_ifPKiSA_iPKfiiiSC_SC_iiiii.has_recursion, 0
	.set _ZN4vllm25paged_attention_v1_kernelIffLi64ELi32ELi128ELNS_18Fp8KVCacheDataTypeE0ELb0EEEvPT_PKS2_PKT0_S8_ifPKiSA_iPKfiiiSC_SC_iiiii.has_indirect_call, 0
	.section	.AMDGPU.csdata,"",@progbits
; Kernel info:
; codeLenInByte = 8804
; TotalNumSgprs: 30
; NumVgprs: 120
; ScratchSize: 0
; MemoryBound: 0
; FloatMode: 240
; IeeeMode: 1
; LDSByteSize: 288 bytes/workgroup (compile time only)
; SGPRBlocks: 0
; VGPRBlocks: 7
; NumSGPRsForWavesPerEU: 30
; NumVGPRsForWavesPerEU: 120
; NamedBarCnt: 0
; Occupancy: 8
; WaveLimiterHint : 1
; COMPUTE_PGM_RSRC2:SCRATCH_EN: 0
; COMPUTE_PGM_RSRC2:USER_SGPR: 2
; COMPUTE_PGM_RSRC2:TRAP_HANDLER: 0
; COMPUTE_PGM_RSRC2:TGID_X_EN: 1
; COMPUTE_PGM_RSRC2:TGID_Y_EN: 1
; COMPUTE_PGM_RSRC2:TGID_Z_EN: 1
; COMPUTE_PGM_RSRC2:TIDIG_COMP_CNT: 0
	.section	.text._ZN4vllm25paged_attention_v1_kernelIffLi80ELi32ELi128ELNS_18Fp8KVCacheDataTypeE0ELb0EEEvPT_PKS2_PKT0_S8_ifPKiSA_iPKfiiiSC_SC_iiiii,"axG",@progbits,_ZN4vllm25paged_attention_v1_kernelIffLi80ELi32ELi128ELNS_18Fp8KVCacheDataTypeE0ELb0EEEvPT_PKS2_PKT0_S8_ifPKiSA_iPKfiiiSC_SC_iiiii,comdat
	.protected	_ZN4vllm25paged_attention_v1_kernelIffLi80ELi32ELi128ELNS_18Fp8KVCacheDataTypeE0ELb0EEEvPT_PKS2_PKT0_S8_ifPKiSA_iPKfiiiSC_SC_iiiii ; -- Begin function _ZN4vllm25paged_attention_v1_kernelIffLi80ELi32ELi128ELNS_18Fp8KVCacheDataTypeE0ELb0EEEvPT_PKS2_PKT0_S8_ifPKiSA_iPKfiiiSC_SC_iiiii
	.globl	_ZN4vllm25paged_attention_v1_kernelIffLi80ELi32ELi128ELNS_18Fp8KVCacheDataTypeE0ELb0EEEvPT_PKS2_PKT0_S8_ifPKiSA_iPKfiiiSC_SC_iiiii
	.p2align	8
	.type	_ZN4vllm25paged_attention_v1_kernelIffLi80ELi32ELi128ELNS_18Fp8KVCacheDataTypeE0ELb0EEEvPT_PKS2_PKT0_S8_ifPKiSA_iPKfiiiSC_SC_iiiii,@function
_ZN4vllm25paged_attention_v1_kernelIffLi80ELi32ELi128ELNS_18Fp8KVCacheDataTypeE0ELb0EEEvPT_PKS2_PKT0_S8_ifPKiSA_iPKfiiiSC_SC_iiiii: ; @_ZN4vllm25paged_attention_v1_kernelIffLi80ELi32ELi128ELNS_18Fp8KVCacheDataTypeE0ELb0EEEvPT_PKS2_PKT0_S8_ifPKiSA_iPKfiiiSC_SC_iiiii
; %bb.0:
	s_load_b64 s[6:7], s[0:1], 0x20
	s_bfe_u32 s3, ttmp6, 0x4000c
	s_bfe_u32 s5, ttmp6, 0x40010
	s_and_b32 s4, ttmp7, 0xffff
	s_add_co_i32 s3, s3, 1
	s_add_co_i32 s5, s5, 1
	s_and_b32 s2, ttmp6, 15
	s_bfe_u32 s8, ttmp6, 0x40004
	s_mul_i32 s3, ttmp9, s3
	s_mul_i32 s5, s4, s5
	s_getreg_b32 s20, hwreg(HW_REG_IB_STS2, 6, 4)
	s_add_co_i32 s2, s2, s3
	s_add_co_i32 s8, s8, s5
	s_cmp_eq_u32 s20, 0
	s_clause 0x1
	s_load_b32 s21, s[0:1], 0x80
	s_load_b64 s[10:11], s[0:1], 0x30
	s_cselect_b32 s22, s4, s8
	s_cselect_b32 s8, ttmp9, s2
	s_wait_kmcnt 0x0
	s_abs_i32 s2, s6
	s_delay_alu instid0(SALU_CYCLE_1) | instskip(SKIP_1) | instid1(SALU_CYCLE_2)
	s_cvt_f32_u32 s3, s2
	s_sub_co_i32 s4, 0, s2
	v_rcp_iflag_f32_e32 v1, s3
	s_abs_i32 s5, s21
	v_nop
	s_delay_alu instid0(TRANS32_DEP_1) | instskip(SKIP_1) | instid1(SALU_CYCLE_3)
	v_readfirstlane_b32 s3, v1
	s_mul_f32 s3, s3, 0x4f7ffffe
	s_cvt_u32_f32 s3, s3
	s_delay_alu instid0(SALU_CYCLE_3) | instskip(NEXT) | instid1(SALU_CYCLE_1)
	s_mul_i32 s4, s4, s3
	s_mul_hi_u32 s4, s3, s4
	s_delay_alu instid0(SALU_CYCLE_1) | instskip(SKIP_4) | instid1(SALU_CYCLE_1)
	s_add_co_i32 s3, s3, s4
	s_xor_b32 s4, s21, s6
	s_mul_hi_u32 s3, s5, s3
	s_ashr_i32 s4, s4, 31
	s_mul_i32 s6, s3, s2
	s_sub_co_i32 s5, s5, s6
	s_add_co_i32 s6, s3, 1
	s_sub_co_i32 s9, s5, s2
	s_cmp_ge_u32 s5, s2
	s_cselect_b32 s3, s6, s3
	s_cselect_b32 s5, s9, s5
	s_add_co_i32 s6, s3, 1
	s_cmp_ge_u32 s5, s2
	s_cselect_b32 s2, s6, s3
	s_mov_b32 s3, 0
	s_xor_b32 s2, s2, s4
	s_mov_b32 s13, s3
	s_sub_co_i32 s15, s2, s4
	s_load_b64 s[4:5], s[0:1], 0x40
	s_abs_i32 s14, s15
	s_mov_b32 s25, s3
	s_cvt_f32_u32 s2, s14
	s_delay_alu instid0(SALU_CYCLE_3) | instskip(SKIP_1) | instid1(TRANS32_DEP_1)
	v_rcp_iflag_f32_e32 v1, s2
	v_nop
	v_readfirstlane_b32 s2, v1
	s_mul_f32 s2, s2, 0x4f7ffffe
	s_delay_alu instid0(SALU_CYCLE_3) | instskip(SKIP_1) | instid1(SALU_CYCLE_2)
	s_cvt_u32_f32 s6, s2
	s_sub_co_i32 s2, 0, s14
	s_mul_i32 s2, s2, s6
	s_delay_alu instid0(SALU_CYCLE_1)
	s_mul_hi_u32 s9, s6, s2
	s_abs_i32 s2, s8
	s_add_co_i32 s12, s6, s9
	s_wait_kmcnt 0x0
	s_cmp_eq_u64 s[4:5], 0
	s_cbranch_scc1 .LBB47_2
; %bb.1:
	s_ashr_i32 s9, s8, 31
	s_delay_alu instid0(SALU_CYCLE_1) | instskip(NEXT) | instid1(SALU_CYCLE_1)
	s_lshl_b64 s[16:17], s[8:9], 2
	s_add_nc_u64 s[4:5], s[4:5], s[16:17]
	s_load_b32 s25, s[4:5], 0x0
.LBB47_2:
	s_load_b32 s23, s[10:11], s22 offset:0x0 scale_offset
	s_wait_xcnt 0x0
	s_load_b96 s[4:6], s[0:1], 0x48
	v_lshlrev_b32_e32 v106, 4, v0
	s_ashr_i32 s16, s8, 31
	s_ashr_i32 s15, s15, 31
	s_mul_u64 s[10:11], s[2:3], s[12:13]
	s_mulk_i32 s8, 0x50
	s_mov_b32 s3, exec_lo
	v_cmpx_gt_u32_e32 20, v0
	s_cbranch_execz .LBB47_4
; %bb.3:
	s_load_b64 s[12:13], s[0:1], 0x8
	s_wait_kmcnt 0x0
	s_mul_i32 s18, s4, s22
	s_ashr_i32 s9, s8, 31
	s_ashr_i32 s19, s18, 31
	s_delay_alu instid0(SALU_CYCLE_1) | instskip(NEXT) | instid1(SALU_CYCLE_1)
	s_lshl_b64 s[18:19], s[18:19], 2
	s_add_nc_u64 s[12:13], s[12:13], s[18:19]
	s_lshl_b64 s[18:19], s[8:9], 2
	s_delay_alu instid0(SALU_CYCLE_1)
	s_add_nc_u64 s[12:13], s[12:13], s[18:19]
	global_load_b128 v[2:5], v0, s[12:13] scale_offset
	s_wait_loadcnt 0x0
	ds_store_b128 v106, v[2:5]
.LBB47_4:
	s_or_b32 exec_lo, exec_lo, s3
	s_wait_kmcnt 0x0
	s_add_co_i32 s3, s23, 31
	s_load_b32 s4, s[0:1], 0x38
	s_ashr_i32 s9, s3, 31
	s_mul_i32 s12, s11, s14
	s_lshr_b32 s9, s9, 27
	s_sub_co_i32 s2, s2, s12
	s_add_co_i32 s3, s3, s9
	s_clause 0x1
	s_load_b64 s[12:13], s[0:1], 0x28
	s_load_b32 s9, s[0:1], 0x88
	s_xor_b32 s10, s16, s15
	s_ashr_i32 s24, s3, 5
	s_add_co_i32 s3, s11, 1
	s_sub_co_i32 s15, s2, s14
	s_cmp_ge_u32 s2, s14
	v_dual_lshrrev_b32 v1, 5, v0 :: v_dual_bitop2_b32 v110, 31, v0 bitop3:0x40
	s_cselect_b32 s3, s3, s11
	s_cselect_b32 s2, s15, s2
	s_add_co_i32 s11, s3, 1
	s_cmp_ge_u32 s2, s14
	v_dual_mov_b32 v89, 0xff7fffff :: v_dual_lshlrev_b32 v88, 2, v110
	s_cselect_b32 s2, s11, s3
	v_lshrrev_b32_e32 v108, 3, v0
	s_xor_b32 s2, s2, s10
	s_wait_kmcnt 0x0
	s_mul_i32 s14, s4, s22
	s_sub_co_i32 s3, s2, s10
	v_cmp_gt_i32_e64 s2, s24, v1
	s_ashr_i32 s15, s14, 31
	s_mul_i32 s10, s3, s6
	s_wait_dscnt 0x0
	s_barrier_signal -1
	s_barrier_wait -1
	s_and_saveexec_b32 s6, s2
	s_cbranch_execz .LBB47_8
; %bb.5:
	v_dual_mov_b32 v85, 0 :: v_dual_lshlrev_b32 v84, 4, v110
	s_load_b64 s[18:19], s[0:1], 0x10
	s_ashr_i32 s11, s10, 31
	s_ashr_i32 s17, s5, 31
	ds_load_b128 v[2:5], v85
	ds_load_b128 v[6:9], v85 offset:16
	ds_load_b128 v[10:13], v85 offset:32
	;; [unrolled: 1-line block ×19, first 2 shown]
	s_lshl_b64 s[26:27], s[10:11], 2
	s_cmp_neq_f32 s25, 0
	v_lshl_or_b32 v86, v1, 7, v88
	v_lshl_or_b32 v90, v1, 5, v110
	v_mov_b32_e32 v89, 0xff7fffff
	s_cselect_b32 vcc_lo, -1, 0
	s_delay_alu instid0(VALU_DEP_3) | instskip(SKIP_4) | instid1(SALU_CYCLE_1)
	v_dual_mov_b32 v92, v1 :: v_dual_add_nc_u32 v91, 0x160, v86
	s_mov_b32 s16, s5
	s_mov_b32 s11, 0
	s_wait_kmcnt 0x0
	s_add_nc_u64 s[18:19], s[18:19], s[26:27]
	v_add_nc_u64_e32 v[82:83], s[18:19], v[84:85]
	v_and_b32_e32 v84, 0x7c, v108
	s_lshl_b64 s[18:19], s[14:15], 2
	s_delay_alu instid0(SALU_CYCLE_1)
	s_add_nc_u64 s[18:19], s[12:13], s[18:19]
	s_delay_alu instid0(VALU_DEP_1) | instid1(SALU_CYCLE_1)
	v_add_nc_u64_e32 v[84:85], s[18:19], v[84:85]
	s_sub_co_i32 s18, 1, s23
.LBB47_6:                               ; =>This Inner Loop Header: Depth=1
	global_load_b32 v86, v[84:85], off
	v_cmp_gt_i32_e64 s3, s23, v90
	s_wait_xcnt 0x0
	v_add_nc_u64_e32 v[84:85], 16, v[84:85]
	s_wait_loadcnt 0x0
	v_dual_max_num_f32 v93, v89, v89 :: v_dual_ashrrev_i32 v87, 31, v86
	s_delay_alu instid0(VALU_DEP_1) | instskip(NEXT) | instid1(VALU_DEP_1)
	v_mul_u64_e32 v[86:87], s[16:17], v[86:87]
	v_lshl_add_u64 v[86:87], v[86:87], 2, v[82:83]
	global_load_b128 v[94:97], v[86:87], off offset:512
	s_wait_loadcnt_dscnt 0x12
	v_pk_mul_f32 v[98:99], v[6:7], v[94:95]
	v_pk_mul_f32 v[100:101], v[8:9], v[96:97]
	global_load_b128 v[94:97], v[86:87], off
	s_wait_loadcnt 0x0
	v_pk_fma_f32 v[102:103], v[2:3], v[94:95], v[98:99]
	v_pk_fma_f32 v[104:105], v[4:5], v[96:97], v[100:101]
	s_clause 0x1
	global_load_b128 v[94:97], v[86:87], off offset:1024
	global_load_b128 v[98:101], v[86:87], off offset:1536
	s_wait_loadcnt_dscnt 0x111
	v_pk_fma_f32 v[94:95], v[10:11], v[94:95], v[102:103]
	v_pk_fma_f32 v[96:97], v[12:13], v[96:97], v[104:105]
	s_wait_loadcnt_dscnt 0x10
	s_delay_alu instid0(VALU_DEP_2) | instskip(NEXT) | instid1(VALU_DEP_2)
	v_pk_fma_f32 v[102:103], v[14:15], v[98:99], v[94:95]
	v_pk_fma_f32 v[104:105], v[16:17], v[100:101], v[96:97]
	s_clause 0x1
	global_load_b128 v[94:97], v[86:87], off offset:2048
	global_load_b128 v[98:101], v[86:87], off offset:2560
	s_wait_loadcnt_dscnt 0x10f
	v_pk_fma_f32 v[94:95], v[18:19], v[94:95], v[102:103]
	v_pk_fma_f32 v[96:97], v[20:21], v[96:97], v[104:105]
	s_wait_loadcnt_dscnt 0xe
	s_delay_alu instid0(VALU_DEP_2) | instskip(NEXT) | instid1(VALU_DEP_2)
	;; [unrolled: 10-line block ×8, first 2 shown]
	v_pk_fma_f32 v[102:103], v[70:71], v[98:99], v[94:95]
	v_pk_fma_f32 v[104:105], v[72:73], v[100:101], v[96:97]
	s_clause 0x1
	global_load_b128 v[94:97], v[86:87], off offset:9216
	global_load_b128 v[98:101], v[86:87], off offset:9728
	s_wait_loadcnt_dscnt 0x101
	s_wait_xcnt 0x0
	v_pk_fma_f32 v[86:87], v[74:75], v[94:95], v[102:103]
	v_pk_fma_f32 v[94:95], v[76:77], v[96:97], v[104:105]
	s_wait_loadcnt_dscnt 0x0
	s_delay_alu instid0(VALU_DEP_2) | instskip(NEXT) | instid1(VALU_DEP_2)
	v_pk_fma_f32 v[86:87], v[78:79], v[98:99], v[86:87]
	v_pk_fma_f32 v[94:95], v[80:81], v[100:101], v[94:95]
	s_delay_alu instid0(VALU_DEP_2) | instskip(SKIP_1) | instid1(VALU_DEP_2)
	v_dual_add_f32 v86, v86, v87 :: v_dual_add_nc_u32 v87, s18, v90
	v_add_nc_u32_e32 v90, 0x80, v90
	v_add_f32_e32 v86, v94, v86
	s_delay_alu instid0(VALU_DEP_3) | instskip(NEXT) | instid1(VALU_DEP_1)
	v_cvt_f32_i32_e32 v87, v87
	v_dual_add_f32 v86, v95, v86 :: v_dual_mul_f32 v87, s25, v87
	s_delay_alu instid0(VALU_DEP_1) | instskip(NEXT) | instid1(VALU_DEP_1)
	v_dual_cndmask_b32 v87, 0, v87 :: v_dual_add_nc_u32 v92, 4, v92
	v_fmac_f32_e32 v87, s7, v86
	s_delay_alu instid0(VALU_DEP_2) | instskip(NEXT) | instid1(VALU_DEP_2)
	v_cmp_le_i32_e64 s4, s24, v92
	v_dual_max_num_f32 v86, v93, v87 :: v_dual_cndmask_b32 v87, 0, v87, s3
	s_or_b32 s11, s4, s11
	s_delay_alu instid0(VALU_DEP_1)
	v_cndmask_b32_e64 v89, v89, v86, s3
	ds_store_b32 v91, v87
	v_add_nc_u32_e32 v91, 0x200, v91
	s_and_not1_b32 exec_lo, exec_lo, s11
	s_cbranch_execnz .LBB47_6
; %bb.7:
	s_or_b32 exec_lo, exec_lo, s11
.LBB47_8:
	s_delay_alu instid0(SALU_CYCLE_1) | instskip(SKIP_4) | instid1(VALU_DEP_1)
	s_or_b32 exec_lo, exec_lo, s6
	v_mbcnt_lo_u32_b32 v4, -1, 0
	s_clause 0x1
	s_load_b64 s[6:7], s[0:1], 0x0
	s_load_b64 s[16:17], s[0:1], 0x18
	v_dual_max_num_f32 v6, v89, v89 :: v_dual_bitop2_b32 v2, 16, v4 bitop3:0x14
	v_xor_b32_e32 v5, 8, v4
	s_delay_alu instid0(VALU_DEP_2) | instskip(SKIP_1) | instid1(VALU_DEP_3)
	v_cmp_gt_i32_e32 vcc_lo, 32, v2
	v_cndmask_b32_e32 v2, v4, v2, vcc_lo
	v_cmp_gt_i32_e32 vcc_lo, 32, v5
	s_delay_alu instid0(VALU_DEP_2) | instskip(SKIP_3) | instid1(VALU_DEP_1)
	v_dual_cndmask_b32 v5, v4, v5 :: v_dual_lshlrev_b32 v2, 2, v2
	ds_bpermute_b32 v3, v2, v89
	s_wait_dscnt 0x0
	v_dual_max_num_f32 v7, v3, v3 :: v_dual_lshlrev_b32 v3, 2, v5
	v_dual_max_num_f32 v5, v6, v7 :: v_dual_bitop2_b32 v7, 4, v4 bitop3:0x14
	ds_bpermute_b32 v6, v3, v5
	v_cmp_gt_i32_e32 vcc_lo, 32, v7
	s_wait_dscnt 0x0
	v_dual_cndmask_b32 v7, v4, v7 :: v_dual_max_num_f32 v6, v6, v6
	s_delay_alu instid0(VALU_DEP_1) | instskip(SKIP_3) | instid1(VALU_DEP_1)
	v_dual_lshlrev_b32 v113, 2, v7 :: v_dual_max_num_f32 v5, v5, v6
	ds_bpermute_b32 v6, v113, v5
	s_wait_dscnt 0x0
	v_dual_max_num_f32 v6, v6, v6 :: v_dual_bitop2_b32 v7, 2, v4 bitop3:0x14
	v_cmp_gt_i32_e32 vcc_lo, 32, v7
	s_delay_alu instid0(VALU_DEP_2) | instskip(NEXT) | instid1(VALU_DEP_1)
	v_dual_max_num_f32 v5, v5, v6 :: v_dual_cndmask_b32 v7, v4, v7, vcc_lo
	v_dual_lshlrev_b32 v112, 2, v7 :: v_dual_bitop2_b32 v7, 1, v4 bitop3:0x14
	ds_bpermute_b32 v6, v112, v5
	v_cmp_gt_i32_e32 vcc_lo, 32, v7
	v_cndmask_b32_e32 v4, v4, v7, vcc_lo
	v_cmp_eq_u32_e32 vcc_lo, 0, v110
	s_delay_alu instid0(VALU_DEP_2) | instskip(SKIP_2) | instid1(VALU_DEP_1)
	v_dual_lshlrev_b32 v111, 2, v4 :: v_dual_lshlrev_b32 v4, 2, v1
	s_wait_dscnt 0x0
	v_max_num_f32_e32 v6, v6, v6
	v_max_num_f32_e32 v5, v5, v6
	ds_bpermute_b32 v6, v111, v5
	s_wait_xcnt 0x0
	s_and_saveexec_b32 s0, vcc_lo
	s_cbranch_execz .LBB47_10
; %bb.9:
	s_wait_dscnt 0x0
	v_dual_max_num_f32 v6, v6, v6 :: v_dual_max_num_f32 v5, v5, v5
	s_delay_alu instid0(VALU_DEP_1)
	v_max_num_f32_e32 v5, v5, v6
	ds_store_b32 v4, v5 offset:320
.LBB47_10:
	s_or_b32 exec_lo, exec_lo, s0
	v_cmp_gt_u32_e64 s0, 4, v110
	v_mov_b32_e32 v5, 0xff7fffff
	s_wait_dscnt 0x0
	s_barrier_signal -1
	s_barrier_wait -1
	s_and_saveexec_b32 s1, s0
; %bb.11:
	ds_load_b32 v5, v88 offset:320
; %bb.12:
	s_or_b32 exec_lo, exec_lo, s1
	s_wait_dscnt 0x0
	ds_bpermute_b32 v6, v112, v5
	v_max_num_f32_e32 v5, v5, v5
	s_lshl_b32 s1, s24, 5
	s_delay_alu instid0(SALU_CYCLE_1) | instskip(NEXT) | instid1(SALU_CYCLE_1)
	s_min_i32 s4, s1, s23
	v_cmp_gt_i32_e64 s1, s4, v0
	s_wait_dscnt 0x0
	v_max_num_f32_e32 v6, v6, v6
	s_delay_alu instid0(VALU_DEP_1) | instskip(SKIP_3) | instid1(VALU_DEP_1)
	v_max_num_f32_e32 v5, v5, v6
	ds_bpermute_b32 v6, v111, v5
	s_wait_dscnt 0x0
	v_max_num_f32_e32 v6, v6, v6
	v_dual_max_num_f32 v6, v5, v6 :: v_dual_mov_b32 v5, 0
	ds_bpermute_b32 v6, v5, v6
	s_and_saveexec_b32 s11, s1
	s_cbranch_execz .LBB47_16
; %bb.13:
	v_lshl_add_u32 v7, v0, 2, 0x160
	v_dual_mov_b32 v5, 0 :: v_dual_mov_b32 v8, v0
	s_mov_b32 s18, 0
.LBB47_14:                              ; =>This Inner Loop Header: Depth=1
	ds_load_b32 v9, v7
	v_add_nc_u32_e32 v8, 0x80, v8
	s_delay_alu instid0(VALU_DEP_1) | instskip(SKIP_3) | instid1(VALU_DEP_1)
	v_cmp_le_i32_e64 s3, s4, v8
	s_or_b32 s18, s3, s18
	s_wait_dscnt 0x0
	v_sub_f32_e32 v9, v9, v6
	v_mul_f32_e32 v9, 0x3fb8aa3b, v9
	s_delay_alu instid0(VALU_DEP_1)
	v_exp_f32_e32 v9, v9
	ds_store_b32 v7, v9
	v_nop
	v_add_f32_e32 v5, v5, v9
	v_add_nc_u32_e32 v7, 0x200, v7
	s_and_not1_b32 exec_lo, exec_lo, s18
	s_cbranch_execnz .LBB47_14
; %bb.15:
	s_or_b32 exec_lo, exec_lo, s18
.LBB47_16:
	s_delay_alu instid0(SALU_CYCLE_1)
	s_or_b32 exec_lo, exec_lo, s11
	ds_bpermute_b32 v2, v2, v5
	s_wait_dscnt 0x0
	v_add_f32_e32 v2, v5, v2
	ds_bpermute_b32 v3, v3, v2
	s_wait_dscnt 0x0
	v_add_f32_e32 v2, v2, v3
	;; [unrolled: 3-line block ×5, first 2 shown]
	s_and_saveexec_b32 s3, vcc_lo
; %bb.17:
	ds_store_b32 v4, v2 offset:336
; %bb.18:
	s_or_b32 exec_lo, exec_lo, s3
	s_wait_dscnt 0x0
	s_barrier_signal -1
	s_barrier_wait -1
	s_and_saveexec_b32 s3, s0
; %bb.19:
	ds_load_b32 v2, v88 offset:336
; %bb.20:
	s_or_b32 exec_lo, exec_lo, s3
	s_wait_dscnt 0x0
	ds_bpermute_b32 v3, v112, v2
	s_wait_dscnt 0x0
	v_dual_mov_b32 v87, 0 :: v_dual_add_f32 v2, v2, v3
	ds_bpermute_b32 v3, v111, v2
	s_wait_dscnt 0x0
	v_add_f32_e32 v2, v2, v3
	ds_bpermute_b32 v2, v87, v2
	s_and_saveexec_b32 s0, s1
	s_cbranch_execz .LBB47_33
; %bb.21:
	s_wait_dscnt 0x0
	v_add_f32_e32 v2, 0x358637bd, v2
	s_mov_b32 s3, -1
	s_mov_b32 s1, exec_lo
	s_delay_alu instid0(VALU_DEP_1) | instskip(NEXT) | instid1(VALU_DEP_1)
	v_div_scale_f32 v3, null, v2, v2, 1.0
	v_rcp_f32_e32 v5, v3
	v_nop
	s_delay_alu instid0(TRANS32_DEP_1) | instskip(NEXT) | instid1(VALU_DEP_1)
	v_fma_f32 v4, -v3, v5, 1.0
	v_fmac_f32_e32 v5, v4, v5
	v_div_scale_f32 v6, vcc_lo, 1.0, v2, 1.0
	s_delay_alu instid0(VALU_DEP_1) | instskip(NEXT) | instid1(VALU_DEP_1)
	v_mul_f32_e32 v7, v6, v5
	v_fma_f32 v4, -v3, v7, v6
	s_delay_alu instid0(VALU_DEP_1) | instskip(SKIP_1) | instid1(VALU_DEP_2)
	v_fmac_f32_e32 v7, v4, v5
	v_xad_u32 v4, v0, -1, s4
	v_fma_f32 v3, -v3, v7, v6
	s_delay_alu instid0(VALU_DEP_1) | instskip(NEXT) | instid1(VALU_DEP_1)
	v_div_fmas_f32 v3, v3, v5, v7
	v_div_fixup_f32 v2, v3, v2, 1.0
	v_mov_b32_e32 v3, v0
	v_cmpx_lt_u32_e32 0x7f, v4
	s_cbranch_execz .LBB47_30
; %bb.22:
	s_delay_alu instid0(VALU_DEP_3) | instskip(NEXT) | instid1(VALU_DEP_1)
	v_dual_mov_b32 v3, v2 :: v_dual_lshrrev_b32 v4, 7, v4
	v_dual_mov_b32 v8, 0 :: v_dual_add_nc_u32 v5, -1, v4
	s_delay_alu instid0(VALU_DEP_1) | instskip(SKIP_1) | instid1(VALU_DEP_2)
	v_lshrrev_b32_e32 v6, 1, v5
	v_cmp_lt_u32_e32 vcc_lo, 13, v5
	v_add_nc_u32_e32 v5, 1, v6
	s_and_saveexec_b32 s3, vcc_lo
	s_cbranch_execz .LBB47_26
; %bb.23:
	s_delay_alu instid0(VALU_DEP_1)
	v_and_b32_e32 v6, -8, v5
	v_lshl_add_u32 v7, v0, 2, 0x160
	s_mov_b32 s11, 0
	s_mov_b32 s18, 0
.LBB47_24:                              ; =>This Inner Loop Header: Depth=1
	ds_load_2addr_stride64_b32 v[8:9], v7 offset1:2
	ds_load_2addr_stride64_b32 v[10:11], v7 offset0:4 offset1:6
	ds_load_2addr_stride64_b32 v[12:13], v7 offset0:8 offset1:10
	;; [unrolled: 1-line block ×7, first 2 shown]
	s_add_co_i32 s18, s18, 16
	v_add_nc_u32_e32 v6, -8, v6
	s_wait_dscnt 0x7
	v_pk_mul_f32 v[8:9], v[2:3], v[8:9]
	s_wait_dscnt 0x6
	v_pk_mul_f32 v[10:11], v[2:3], v[10:11]
	;; [unrolled: 2-line block ×8, first 2 shown]
	ds_store_2addr_stride64_b32 v7, v8, v9 offset1:2
	ds_store_2addr_stride64_b32 v7, v10, v11 offset0:4 offset1:6
	ds_store_2addr_stride64_b32 v7, v12, v13 offset0:8 offset1:10
	;; [unrolled: 1-line block ×7, first 2 shown]
	v_mov_b32_e32 v8, s18
	v_cmp_eq_u32_e32 vcc_lo, 0, v6
	v_add_nc_u32_e32 v7, 0x2000, v7
	s_or_b32 s11, vcc_lo, s11
	s_delay_alu instid0(SALU_CYCLE_1)
	s_and_not1_b32 exec_lo, exec_lo, s11
	s_cbranch_execnz .LBB47_24
; %bb.25:
	s_or_b32 exec_lo, exec_lo, s11
.LBB47_26:
	s_delay_alu instid0(SALU_CYCLE_1) | instskip(NEXT) | instid1(VALU_DEP_1)
	s_or_b32 exec_lo, exec_lo, s3
	v_and_b32_e32 v5, 7, v5
	s_mov_b32 s11, 0
	s_mov_b32 s3, exec_lo
	s_delay_alu instid0(VALU_DEP_1)
	v_cmpx_ne_u32_e32 0, v5
	s_cbranch_execz .LBB47_29
; %bb.27:
	v_lshlrev_b32_e32 v6, 9, v8
	v_lshlrev_b32_e32 v7, 2, v0
	s_delay_alu instid0(VALU_DEP_1)
	v_add3_u32 v6, v6, v7, 0x160
.LBB47_28:                              ; =>This Inner Loop Header: Depth=1
	ds_load_2addr_stride64_b32 v[8:9], v6 offset1:2
	v_add_nc_u32_e32 v5, -1, v5
	s_delay_alu instid0(VALU_DEP_1)
	v_cmp_eq_u32_e32 vcc_lo, 0, v5
	s_or_b32 s11, vcc_lo, s11
	s_wait_dscnt 0x0
	v_pk_mul_f32 v[8:9], v[2:3], v[8:9]
	ds_store_2addr_stride64_b32 v6, v8, v9 offset1:2
	v_add_nc_u32_e32 v6, 0x400, v6
	s_and_not1_b32 exec_lo, exec_lo, s11
	s_cbranch_execnz .LBB47_28
.LBB47_29:
	s_or_b32 exec_lo, exec_lo, s3
	v_add_nc_u32_e32 v3, 1, v4
	s_delay_alu instid0(VALU_DEP_1) | instskip(NEXT) | instid1(VALU_DEP_1)
	v_and_b32_e32 v4, 0x3fffffe, v3
	v_cmp_ne_u32_e32 vcc_lo, v3, v4
	v_lshl_add_u32 v3, v4, 7, v0
	s_or_not1_b32 s3, vcc_lo, exec_lo
.LBB47_30:
	s_or_b32 exec_lo, exec_lo, s1
	s_delay_alu instid0(SALU_CYCLE_1)
	s_and_b32 exec_lo, exec_lo, s3
	s_cbranch_execz .LBB47_33
; %bb.31:
	v_lshl_add_u32 v4, v3, 2, 0x160
	s_mov_b32 s1, 0
.LBB47_32:                              ; =>This Inner Loop Header: Depth=1
	ds_load_b32 v5, v4
	v_add_nc_u32_e32 v3, 0x80, v3
	s_delay_alu instid0(VALU_DEP_1)
	v_cmp_le_i32_e32 vcc_lo, s4, v3
	s_or_b32 s1, vcc_lo, s1
	s_wait_dscnt 0x0
	v_mul_f32_e32 v5, v2, v5
	ds_store_b32 v4, v5
	v_add_nc_u32_e32 v4, 0x200, v4
	s_and_not1_b32 exec_lo, exec_lo, s1
	s_cbranch_execnz .LBB47_32
.LBB47_33:
	s_or_b32 exec_lo, exec_lo, s0
	v_dual_mov_b32 v86, 0 :: v_dual_bitop2_b32 v114, 7, v0 bitop3:0x40
	v_dual_mov_b32 v89, 0 :: v_dual_mov_b32 v88, 0
	v_dual_mov_b32 v91, 0 :: v_dual_mov_b32 v90, 0
	;; [unrolled: 1-line block ×9, first 2 shown]
	s_wait_dscnt 0x0
	s_barrier_signal -1
	s_barrier_wait -1
	s_and_saveexec_b32 s4, s2
	s_cbranch_execz .LBB47_77
; %bb.34:
	s_ashr_i32 s11, s10, 31
	v_dual_mov_b32 v87, 0 :: v_dual_lshlrev_b32 v2, 2, v0
	v_and_b32_e32 v86, 0x1f0, v106
	s_lshl_b64 s[0:1], s[10:11], 2
	v_lshlrev_b32_e32 v3, 4, v114
	s_wait_kmcnt 0x0
	s_add_nc_u64 s[0:1], s[16:17], s[0:1]
	v_and_b32_e32 v2, 28, v2
	v_add_nc_u64_e32 v[106:107], s[0:1], v[86:87]
	v_and_b32_e32 v86, 0x7c, v108
	s_lshl_b64 s[0:1], s[14:15], 2
	v_mov_b32_e32 v89, v87
	v_lshl_or_b32 v3, v1, 7, v3
	s_add_nc_u64 s[0:1], s[12:13], s[0:1]
	v_dual_mov_b32 v88, v87 :: v_dual_mov_b32 v90, v87
	v_add_nc_u64_e32 v[108:109], s[0:1], v[86:87]
	s_delay_alu instid0(VALU_DEP_3)
	v_dual_mov_b32 v91, v87 :: v_dual_add_nc_u32 v116, 0x160, v3
	v_mov_b32_e32 v86, v87
	v_lshl_or_b32 v115, v1, 5, v2
	v_dual_mov_b32 v93, v87 :: v_dual_mov_b32 v92, v87
	v_dual_mov_b32 v95, v87 :: v_dual_mov_b32 v94, v87
	;; [unrolled: 1-line block ×7, first 2 shown]
	v_mov_b32_e32 v117, v1
	s_ashr_i32 s11, s5, 31
	s_mov_b32 s10, s5
	s_add_co_i32 s5, s24, -1
	s_mov_b32 s13, s23
	s_mov_b32 s12, 0
	s_branch .LBB47_36
.LBB47_35:                              ;   in Loop: Header=BB47_36 Depth=1
	s_or_b32 exec_lo, exec_lo, s0
	s_wait_loadcnt_dscnt 0x200
	v_mul_f32_e32 v78, v6, v78
	s_wait_loadcnt 0x1
	v_mul_f32_e32 v82, v6, v82
	v_mul_f32_e32 v70, v6, v70
	;; [unrolled: 1-line block ×3, first 2 shown]
	v_add_nc_u64_e32 v[108:109], 16, v[108:109]
	v_fmac_f32_e32 v78, v7, v79
	v_dual_fmac_f32 v82, v7, v83 :: v_dual_mul_f32 v62, v6, v62
	v_fmac_f32_e32 v70, v7, v71
	v_fmac_f32_e32 v74, v7, v75
	v_add_nc_u32_e32 v116, 0x200, v116
	s_delay_alu instid0(VALU_DEP_4) | instskip(SKIP_1) | instid1(VALU_DEP_2)
	v_dual_fmac_f32 v82, v8, v84 :: v_dual_mul_f32 v58, v6, v58
	v_dual_fmac_f32 v62, v7, v63 :: v_dual_mul_f32 v38, v6, v38
	v_dual_mul_f32 v42, v6, v42 :: v_dual_fmac_f32 v82, v9, v85
	v_fmac_f32_e32 v78, v8, v80
	s_delay_alu instid0(VALU_DEP_3) | instskip(NEXT) | instid1(VALU_DEP_3)
	v_dual_fmac_f32 v62, v8, v64 :: v_dual_mul_f32 v54, v6, v54
	v_dual_fmac_f32 v58, v7, v59 :: v_dual_add_f32 v86, v86, v82
	s_delay_alu instid0(VALU_DEP_3) | instskip(NEXT) | instid1(VALU_DEP_3)
	v_fmac_f32_e32 v78, v9, v81
	v_fmac_f32_e32 v62, v9, v65
	v_fmac_f32_e32 v70, v8, v72
	v_dual_fmac_f32 v42, v7, v43 :: v_dual_mul_f32 v34, v6, v34
	v_mul_f32_e32 v46, v6, v46
	s_delay_alu instid0(VALU_DEP_3) | instskip(NEXT) | instid1(VALU_DEP_3)
	v_dual_add_f32 v90, v90, v62 :: v_dual_fmac_f32 v70, v9, v73
	v_fmac_f32_e32 v42, v8, v44
	v_dual_fmac_f32 v74, v8, v76 :: v_dual_add_f32 v89, v89, v78
	v_mul_f32_e32 v50, v6, v50
	s_delay_alu instid0(VALU_DEP_3) | instskip(SKIP_1) | instid1(VALU_DEP_4)
	v_dual_add_f32 v91, v91, v70 :: v_dual_fmac_f32 v42, v9, v45
	v_fmac_f32_e32 v46, v7, v47
	v_fmac_f32_e32 v74, v9, v77
	s_delay_alu instid0(VALU_DEP_4) | instskip(NEXT) | instid1(VALU_DEP_3)
	v_dual_fmac_f32 v50, v7, v51 :: v_dual_mul_f32 v26, v6, v26
	v_dual_add_f32 v97, v97, v42 :: v_dual_fmac_f32 v46, v8, v48
	s_delay_alu instid0(VALU_DEP_2) | instskip(NEXT) | instid1(VALU_DEP_3)
	v_dual_mul_f32 v22, v6, v22 :: v_dual_fmac_f32 v50, v8, v52
	v_dual_fmac_f32 v26, v7, v27 :: v_dual_add_f32 v88, v88, v74
	s_delay_alu instid0(VALU_DEP_3) | instskip(NEXT) | instid1(VALU_DEP_3)
	v_fmac_f32_e32 v46, v9, v49
	v_dual_fmac_f32 v22, v7, v23 :: v_dual_mul_f32 v23, v6, v18
	v_dual_mul_f32 v14, v6, v14 :: v_dual_add_nc_u32 v115, 0x80, v115
	s_delay_alu instid0(VALU_DEP_2) | instskip(NEXT) | instid1(VALU_DEP_3)
	v_dual_fmac_f32 v22, v8, v24 :: v_dual_add_nc_u32 v117, 4, v117
	v_fmac_f32_e32 v23, v7, v19
	s_wait_loadcnt 0x0
	v_pk_mul_f32 v[18:19], v[6:7], v[66:67]
	v_fmac_f32_e32 v14, v7, v15
	v_cmp_le_i32_e32 vcc_lo, s24, v117
	v_fmac_f32_e32 v22, v9, v25
	v_dual_fmac_f32 v34, v7, v35 :: v_dual_fmac_f32 v23, v8, v20
	s_delay_alu instid0(VALU_DEP_4) | instskip(SKIP_1) | instid1(VALU_DEP_3)
	v_fmac_f32_e32 v14, v8, v16
	s_or_b32 s12, vcc_lo, s12
	v_add_f32_e32 v100, v100, v22
	v_dual_mul_f32 v22, v6, v2 :: v_dual_fmac_f32 v26, v8, v28
	v_fmac_f32_e32 v34, v8, v36
	v_fmac_f32_e32 v14, v9, v17
	v_dual_fmac_f32 v23, v9, v21 :: v_dual_add_f32 v94, v94, v46
	s_delay_alu instid0(VALU_DEP_4) | instskip(SKIP_1) | instid1(VALU_DEP_4)
	v_fmac_f32_e32 v26, v9, v29
	v_fmac_f32_e32 v38, v7, v39
	v_dual_fmac_f32 v34, v9, v37 :: v_dual_add_f32 v102, v102, v14
	v_fmac_f32_e32 v50, v9, v53
	s_delay_alu instid0(VALU_DEP_3) | instskip(NEXT) | instid1(VALU_DEP_3)
	v_dual_add_f32 v101, v101, v26 :: v_dual_fmac_f32 v38, v8, v40
	v_dual_add_f32 v99, v99, v34 :: v_dual_fmac_f32 v58, v8, v60
	s_delay_alu instid0(VALU_DEP_3) | instskip(NEXT) | instid1(VALU_DEP_3)
	v_add_f32_e32 v95, v95, v50
	v_dual_add_f32 v103, v103, v23 :: v_dual_fmac_f32 v38, v9, v41
	s_delay_alu instid0(VALU_DEP_3) | instskip(SKIP_2) | instid1(VALU_DEP_3)
	v_dual_mul_f32 v30, v6, v30 :: v_dual_fmac_f32 v58, v9, v61
	v_dual_fmac_f32 v54, v7, v55 :: v_dual_mul_f32 v10, v6, v10
	v_add_f32_e32 v6, v19, v18
	v_dual_fmac_f32 v30, v7, v31 :: v_dual_add_f32 v93, v93, v58
	s_delay_alu instid0(VALU_DEP_3) | instskip(NEXT) | instid1(VALU_DEP_4)
	v_fmac_f32_e32 v54, v8, v56
	v_dual_add_f32 v96, v96, v38 :: v_dual_fmac_f32 v10, v7, v11
	s_delay_alu instid0(VALU_DEP_2) | instskip(NEXT) | instid1(VALU_DEP_2)
	v_fmac_f32_e32 v54, v9, v57
	v_fmac_f32_e32 v10, v8, v12
	s_delay_alu instid0(VALU_DEP_1) | instskip(SKIP_2) | instid1(VALU_DEP_3)
	v_dual_add_f32 v92, v92, v54 :: v_dual_fmac_f32 v10, v9, v13
	v_fmac_f32_e32 v22, v7, v3
	v_pk_mul_f32 v[2:3], v[8:9], v[68:69]
	v_dual_fmac_f32 v30, v8, v32 :: v_dual_add_f32 v105, v105, v10
	s_delay_alu instid0(VALU_DEP_2) | instskip(NEXT) | instid1(VALU_DEP_1)
	v_dual_fmac_f32 v22, v8, v4 :: v_dual_add_f32 v2, v2, v6
	v_fmac_f32_e32 v22, v9, v5
	s_delay_alu instid0(VALU_DEP_2) | instskip(NEXT) | instid1(VALU_DEP_2)
	v_dual_fmac_f32 v30, v9, v33 :: v_dual_add_f32 v2, v3, v2
	v_add_f32_e32 v104, v104, v22
	s_delay_alu instid0(VALU_DEP_2) | instskip(NEXT) | instid1(VALU_DEP_3)
	v_add_f32_e32 v98, v98, v30
	v_add_f32_e32 v87, v87, v2
	s_and_not1_b32 exec_lo, exec_lo, s12
	s_cbranch_execz .LBB47_76
.LBB47_36:                              ; =>This Inner Loop Header: Depth=1
	global_load_b32 v2, v[108:109], off
	ds_load_b128 v[6:9], v116
	v_cmp_eq_u32_e32 vcc_lo, s5, v117
	v_or_b32_e32 v119, 3, v115
	v_dual_add_nc_u32 v120, 1, v115 :: v_dual_bitop2_b32 v118, 2, v115 bitop3:0x54
	s_wait_loadcnt 0x0
	v_ashrrev_i32_e32 v3, 31, v2
	s_delay_alu instid0(VALU_DEP_1) | instskip(NEXT) | instid1(VALU_DEP_1)
	v_mul_u64_e32 v[2:3], s[10:11], v[2:3]
	v_lshl_add_u64 v[66:67], v[2:3], 2, v[106:107]
	global_load_b128 v[2:5], v[66:67], off
	s_wait_xcnt 0x0
	s_and_saveexec_b32 s1, vcc_lo
	s_cbranch_execnz .LBB47_56
; %bb.37:                               ;   in Loop: Header=BB47_36 Depth=1
	s_or_b32 exec_lo, exec_lo, s1
	global_load_b128 v[10:13], v[66:67], off offset:512
	s_wait_xcnt 0x0
	s_and_saveexec_b32 s1, vcc_lo
	s_cbranch_execnz .LBB47_57
.LBB47_38:                              ;   in Loop: Header=BB47_36 Depth=1
	s_or_b32 exec_lo, exec_lo, s1
	global_load_b128 v[14:17], v[66:67], off offset:1024
	s_wait_xcnt 0x0
	s_and_saveexec_b32 s1, vcc_lo
	s_cbranch_execnz .LBB47_58
.LBB47_39:                              ;   in Loop: Header=BB47_36 Depth=1
	s_or_b32 exec_lo, exec_lo, s1
	global_load_b128 v[18:21], v[66:67], off offset:1536
	s_wait_xcnt 0x0
	s_and_saveexec_b32 s1, vcc_lo
	s_cbranch_execnz .LBB47_59
.LBB47_40:                              ;   in Loop: Header=BB47_36 Depth=1
	s_or_b32 exec_lo, exec_lo, s1
	global_load_b128 v[22:25], v[66:67], off offset:2048
	s_wait_xcnt 0x0
	s_and_saveexec_b32 s1, vcc_lo
	s_cbranch_execnz .LBB47_60
.LBB47_41:                              ;   in Loop: Header=BB47_36 Depth=1
	s_or_b32 exec_lo, exec_lo, s1
	global_load_b128 v[26:29], v[66:67], off offset:2560
	s_wait_xcnt 0x0
	s_and_saveexec_b32 s1, vcc_lo
	s_cbranch_execnz .LBB47_61
.LBB47_42:                              ;   in Loop: Header=BB47_36 Depth=1
	s_or_b32 exec_lo, exec_lo, s1
	global_load_b128 v[30:33], v[66:67], off offset:3072
	s_wait_xcnt 0x0
	s_and_saveexec_b32 s1, vcc_lo
	s_cbranch_execnz .LBB47_62
.LBB47_43:                              ;   in Loop: Header=BB47_36 Depth=1
	s_or_b32 exec_lo, exec_lo, s1
	global_load_b128 v[34:37], v[66:67], off offset:3584
	s_wait_xcnt 0x0
	s_and_saveexec_b32 s1, vcc_lo
	s_cbranch_execnz .LBB47_63
.LBB47_44:                              ;   in Loop: Header=BB47_36 Depth=1
	s_or_b32 exec_lo, exec_lo, s1
	global_load_b128 v[38:41], v[66:67], off offset:4096
	s_wait_xcnt 0x0
	s_and_saveexec_b32 s1, vcc_lo
	s_cbranch_execnz .LBB47_64
.LBB47_45:                              ;   in Loop: Header=BB47_36 Depth=1
	s_or_b32 exec_lo, exec_lo, s1
	global_load_b128 v[42:45], v[66:67], off offset:4608
	s_wait_xcnt 0x0
	s_and_saveexec_b32 s1, vcc_lo
	s_cbranch_execnz .LBB47_65
.LBB47_46:                              ;   in Loop: Header=BB47_36 Depth=1
	s_or_b32 exec_lo, exec_lo, s1
	global_load_b128 v[46:49], v[66:67], off offset:5120
	s_wait_xcnt 0x0
	s_and_saveexec_b32 s1, vcc_lo
	s_cbranch_execnz .LBB47_66
.LBB47_47:                              ;   in Loop: Header=BB47_36 Depth=1
	s_or_b32 exec_lo, exec_lo, s1
	global_load_b128 v[50:53], v[66:67], off offset:5632
	s_wait_xcnt 0x0
	s_and_saveexec_b32 s1, vcc_lo
	s_cbranch_execnz .LBB47_67
.LBB47_48:                              ;   in Loop: Header=BB47_36 Depth=1
	s_or_b32 exec_lo, exec_lo, s1
	global_load_b128 v[54:57], v[66:67], off offset:6144
	s_wait_xcnt 0x0
	s_and_saveexec_b32 s1, vcc_lo
	s_cbranch_execnz .LBB47_68
.LBB47_49:                              ;   in Loop: Header=BB47_36 Depth=1
	s_or_b32 exec_lo, exec_lo, s1
	global_load_b128 v[58:61], v[66:67], off offset:6656
	s_wait_xcnt 0x0
	s_and_saveexec_b32 s1, vcc_lo
	s_cbranch_execnz .LBB47_69
.LBB47_50:                              ;   in Loop: Header=BB47_36 Depth=1
	s_or_b32 exec_lo, exec_lo, s1
	global_load_b128 v[62:65], v[66:67], off offset:7168
	s_wait_xcnt 0x0
	s_and_saveexec_b32 s1, vcc_lo
	s_cbranch_execnz .LBB47_70
.LBB47_51:                              ;   in Loop: Header=BB47_36 Depth=1
	s_or_b32 exec_lo, exec_lo, s1
	global_load_b128 v[70:73], v[66:67], off offset:7680
	s_wait_xcnt 0x0
	s_and_saveexec_b32 s1, vcc_lo
	s_cbranch_execnz .LBB47_71
.LBB47_52:                              ;   in Loop: Header=BB47_36 Depth=1
	s_or_b32 exec_lo, exec_lo, s1
	global_load_b128 v[74:77], v[66:67], off offset:8192
	s_wait_xcnt 0x0
	s_and_saveexec_b32 s1, vcc_lo
	s_cbranch_execnz .LBB47_72
.LBB47_53:                              ;   in Loop: Header=BB47_36 Depth=1
	s_or_b32 exec_lo, exec_lo, s1
	global_load_b128 v[78:81], v[66:67], off offset:8704
	s_wait_xcnt 0x0
	s_and_saveexec_b32 s14, vcc_lo
	s_cbranch_execnz .LBB47_73
.LBB47_54:                              ;   in Loop: Header=BB47_36 Depth=1
	s_or_b32 exec_lo, exec_lo, s14
	global_load_b128 v[82:85], v[66:67], off offset:9216
	s_wait_xcnt 0x0
	s_and_saveexec_b32 s1, vcc_lo
	s_cbranch_execnz .LBB47_74
.LBB47_55:                              ;   in Loop: Header=BB47_36 Depth=1
	s_or_b32 exec_lo, exec_lo, s1
	global_load_b128 v[66:69], v[66:67], off offset:9728
	s_wait_xcnt 0x0
	s_and_saveexec_b32 s0, vcc_lo
	s_cbranch_execz .LBB47_35
	s_branch .LBB47_75
.LBB47_56:                              ;   in Loop: Header=BB47_36 Depth=1
	v_cmp_gt_i32_e64 s0, s13, v120
	s_wait_loadcnt 0x0
	s_delay_alu instid0(VALU_DEP_1) | instskip(SKIP_1) | instid1(VALU_DEP_1)
	v_cndmask_b32_e64 v3, 0, v3, s0
	v_cmp_gt_i32_e64 s0, s23, v115
	v_cndmask_b32_e64 v2, 0, v2, s0
	v_cmp_gt_i32_e64 s0, s13, v119
	s_delay_alu instid0(VALU_DEP_1) | instskip(SKIP_1) | instid1(VALU_DEP_1)
	v_cndmask_b32_e64 v5, 0, v5, s0
	v_cmp_gt_i32_e64 s0, s23, v118
	v_cndmask_b32_e64 v4, 0, v4, s0
	s_or_b32 exec_lo, exec_lo, s1
	global_load_b128 v[10:13], v[66:67], off offset:512
	s_wait_xcnt 0x0
	s_and_saveexec_b32 s1, vcc_lo
	s_cbranch_execz .LBB47_38
.LBB47_57:                              ;   in Loop: Header=BB47_36 Depth=1
	v_cmp_gt_i32_e64 s0, s13, v120
	s_wait_loadcnt 0x0
	s_delay_alu instid0(VALU_DEP_1) | instskip(SKIP_1) | instid1(VALU_DEP_1)
	v_cndmask_b32_e64 v11, 0, v11, s0
	v_cmp_gt_i32_e64 s0, s23, v115
	v_cndmask_b32_e64 v10, 0, v10, s0
	v_cmp_gt_i32_e64 s0, s13, v119
	s_delay_alu instid0(VALU_DEP_1) | instskip(SKIP_1) | instid1(VALU_DEP_1)
	v_cndmask_b32_e64 v13, 0, v13, s0
	v_cmp_gt_i32_e64 s0, s23, v118
	v_cndmask_b32_e64 v12, 0, v12, s0
	s_or_b32 exec_lo, exec_lo, s1
	global_load_b128 v[14:17], v[66:67], off offset:1024
	s_wait_xcnt 0x0
	s_and_saveexec_b32 s1, vcc_lo
	s_cbranch_execz .LBB47_39
.LBB47_58:                              ;   in Loop: Header=BB47_36 Depth=1
	v_cmp_gt_i32_e64 s0, s13, v120
	s_wait_loadcnt 0x0
	s_delay_alu instid0(VALU_DEP_1) | instskip(SKIP_1) | instid1(VALU_DEP_1)
	v_cndmask_b32_e64 v15, 0, v15, s0
	v_cmp_gt_i32_e64 s0, s23, v115
	v_cndmask_b32_e64 v14, 0, v14, s0
	v_cmp_gt_i32_e64 s0, s13, v119
	s_delay_alu instid0(VALU_DEP_1) | instskip(SKIP_1) | instid1(VALU_DEP_1)
	v_cndmask_b32_e64 v17, 0, v17, s0
	v_cmp_gt_i32_e64 s0, s23, v118
	v_cndmask_b32_e64 v16, 0, v16, s0
	s_or_b32 exec_lo, exec_lo, s1
	global_load_b128 v[18:21], v[66:67], off offset:1536
	s_wait_xcnt 0x0
	s_and_saveexec_b32 s1, vcc_lo
	s_cbranch_execz .LBB47_40
.LBB47_59:                              ;   in Loop: Header=BB47_36 Depth=1
	v_cmp_gt_i32_e64 s0, s13, v120
	s_wait_loadcnt 0x0
	s_delay_alu instid0(VALU_DEP_1) | instskip(SKIP_1) | instid1(VALU_DEP_1)
	v_cndmask_b32_e64 v19, 0, v19, s0
	v_cmp_gt_i32_e64 s0, s23, v115
	v_cndmask_b32_e64 v18, 0, v18, s0
	v_cmp_gt_i32_e64 s0, s13, v119
	s_delay_alu instid0(VALU_DEP_1) | instskip(SKIP_1) | instid1(VALU_DEP_1)
	v_cndmask_b32_e64 v21, 0, v21, s0
	v_cmp_gt_i32_e64 s0, s23, v118
	v_cndmask_b32_e64 v20, 0, v20, s0
	s_or_b32 exec_lo, exec_lo, s1
	global_load_b128 v[22:25], v[66:67], off offset:2048
	s_wait_xcnt 0x0
	s_and_saveexec_b32 s1, vcc_lo
	s_cbranch_execz .LBB47_41
.LBB47_60:                              ;   in Loop: Header=BB47_36 Depth=1
	v_cmp_gt_i32_e64 s0, s13, v120
	s_wait_loadcnt 0x0
	s_delay_alu instid0(VALU_DEP_1) | instskip(SKIP_1) | instid1(VALU_DEP_1)
	v_cndmask_b32_e64 v23, 0, v23, s0
	v_cmp_gt_i32_e64 s0, s23, v115
	v_cndmask_b32_e64 v22, 0, v22, s0
	v_cmp_gt_i32_e64 s0, s13, v119
	s_delay_alu instid0(VALU_DEP_1) | instskip(SKIP_1) | instid1(VALU_DEP_1)
	v_cndmask_b32_e64 v25, 0, v25, s0
	v_cmp_gt_i32_e64 s0, s23, v118
	v_cndmask_b32_e64 v24, 0, v24, s0
	s_or_b32 exec_lo, exec_lo, s1
	global_load_b128 v[26:29], v[66:67], off offset:2560
	s_wait_xcnt 0x0
	s_and_saveexec_b32 s1, vcc_lo
	s_cbranch_execz .LBB47_42
.LBB47_61:                              ;   in Loop: Header=BB47_36 Depth=1
	v_cmp_gt_i32_e64 s0, s13, v120
	s_wait_loadcnt 0x0
	s_delay_alu instid0(VALU_DEP_1) | instskip(SKIP_1) | instid1(VALU_DEP_1)
	v_cndmask_b32_e64 v27, 0, v27, s0
	v_cmp_gt_i32_e64 s0, s23, v115
	v_cndmask_b32_e64 v26, 0, v26, s0
	v_cmp_gt_i32_e64 s0, s13, v119
	s_delay_alu instid0(VALU_DEP_1) | instskip(SKIP_1) | instid1(VALU_DEP_1)
	v_cndmask_b32_e64 v29, 0, v29, s0
	v_cmp_gt_i32_e64 s0, s23, v118
	v_cndmask_b32_e64 v28, 0, v28, s0
	s_or_b32 exec_lo, exec_lo, s1
	global_load_b128 v[30:33], v[66:67], off offset:3072
	s_wait_xcnt 0x0
	s_and_saveexec_b32 s1, vcc_lo
	s_cbranch_execz .LBB47_43
.LBB47_62:                              ;   in Loop: Header=BB47_36 Depth=1
	v_cmp_gt_i32_e64 s0, s13, v120
	s_wait_loadcnt 0x0
	s_delay_alu instid0(VALU_DEP_1) | instskip(SKIP_1) | instid1(VALU_DEP_1)
	v_cndmask_b32_e64 v31, 0, v31, s0
	v_cmp_gt_i32_e64 s0, s23, v115
	v_cndmask_b32_e64 v30, 0, v30, s0
	v_cmp_gt_i32_e64 s0, s13, v119
	s_delay_alu instid0(VALU_DEP_1) | instskip(SKIP_1) | instid1(VALU_DEP_1)
	v_cndmask_b32_e64 v33, 0, v33, s0
	v_cmp_gt_i32_e64 s0, s23, v118
	v_cndmask_b32_e64 v32, 0, v32, s0
	s_or_b32 exec_lo, exec_lo, s1
	global_load_b128 v[34:37], v[66:67], off offset:3584
	s_wait_xcnt 0x0
	s_and_saveexec_b32 s1, vcc_lo
	s_cbranch_execz .LBB47_44
.LBB47_63:                              ;   in Loop: Header=BB47_36 Depth=1
	v_cmp_gt_i32_e64 s0, s13, v120
	s_wait_loadcnt 0x0
	s_delay_alu instid0(VALU_DEP_1) | instskip(SKIP_1) | instid1(VALU_DEP_1)
	v_cndmask_b32_e64 v35, 0, v35, s0
	v_cmp_gt_i32_e64 s0, s23, v115
	v_cndmask_b32_e64 v34, 0, v34, s0
	v_cmp_gt_i32_e64 s0, s13, v119
	s_delay_alu instid0(VALU_DEP_1) | instskip(SKIP_1) | instid1(VALU_DEP_1)
	v_cndmask_b32_e64 v37, 0, v37, s0
	v_cmp_gt_i32_e64 s0, s23, v118
	v_cndmask_b32_e64 v36, 0, v36, s0
	s_or_b32 exec_lo, exec_lo, s1
	global_load_b128 v[38:41], v[66:67], off offset:4096
	s_wait_xcnt 0x0
	s_and_saveexec_b32 s1, vcc_lo
	s_cbranch_execz .LBB47_45
.LBB47_64:                              ;   in Loop: Header=BB47_36 Depth=1
	v_cmp_gt_i32_e64 s0, s13, v120
	s_wait_loadcnt 0x0
	s_delay_alu instid0(VALU_DEP_1) | instskip(SKIP_1) | instid1(VALU_DEP_1)
	v_cndmask_b32_e64 v39, 0, v39, s0
	v_cmp_gt_i32_e64 s0, s23, v115
	v_cndmask_b32_e64 v38, 0, v38, s0
	v_cmp_gt_i32_e64 s0, s13, v119
	s_delay_alu instid0(VALU_DEP_1) | instskip(SKIP_1) | instid1(VALU_DEP_1)
	v_cndmask_b32_e64 v41, 0, v41, s0
	v_cmp_gt_i32_e64 s0, s23, v118
	v_cndmask_b32_e64 v40, 0, v40, s0
	s_or_b32 exec_lo, exec_lo, s1
	global_load_b128 v[42:45], v[66:67], off offset:4608
	s_wait_xcnt 0x0
	s_and_saveexec_b32 s1, vcc_lo
	s_cbranch_execz .LBB47_46
.LBB47_65:                              ;   in Loop: Header=BB47_36 Depth=1
	v_cmp_gt_i32_e64 s0, s13, v120
	s_wait_loadcnt 0x0
	s_delay_alu instid0(VALU_DEP_1) | instskip(SKIP_1) | instid1(VALU_DEP_1)
	v_cndmask_b32_e64 v43, 0, v43, s0
	v_cmp_gt_i32_e64 s0, s23, v115
	v_cndmask_b32_e64 v42, 0, v42, s0
	v_cmp_gt_i32_e64 s0, s13, v119
	s_delay_alu instid0(VALU_DEP_1) | instskip(SKIP_1) | instid1(VALU_DEP_1)
	v_cndmask_b32_e64 v45, 0, v45, s0
	v_cmp_gt_i32_e64 s0, s23, v118
	v_cndmask_b32_e64 v44, 0, v44, s0
	s_or_b32 exec_lo, exec_lo, s1
	global_load_b128 v[46:49], v[66:67], off offset:5120
	s_wait_xcnt 0x0
	s_and_saveexec_b32 s1, vcc_lo
	s_cbranch_execz .LBB47_47
.LBB47_66:                              ;   in Loop: Header=BB47_36 Depth=1
	v_cmp_gt_i32_e64 s0, s13, v120
	s_wait_loadcnt 0x0
	s_delay_alu instid0(VALU_DEP_1) | instskip(SKIP_1) | instid1(VALU_DEP_1)
	v_cndmask_b32_e64 v47, 0, v47, s0
	v_cmp_gt_i32_e64 s0, s23, v115
	v_cndmask_b32_e64 v46, 0, v46, s0
	v_cmp_gt_i32_e64 s0, s13, v119
	s_delay_alu instid0(VALU_DEP_1) | instskip(SKIP_1) | instid1(VALU_DEP_1)
	v_cndmask_b32_e64 v49, 0, v49, s0
	v_cmp_gt_i32_e64 s0, s23, v118
	v_cndmask_b32_e64 v48, 0, v48, s0
	s_or_b32 exec_lo, exec_lo, s1
	global_load_b128 v[50:53], v[66:67], off offset:5632
	s_wait_xcnt 0x0
	s_and_saveexec_b32 s1, vcc_lo
	s_cbranch_execz .LBB47_48
.LBB47_67:                              ;   in Loop: Header=BB47_36 Depth=1
	v_cmp_gt_i32_e64 s0, s13, v120
	s_wait_loadcnt 0x0
	s_delay_alu instid0(VALU_DEP_1) | instskip(SKIP_1) | instid1(VALU_DEP_1)
	v_cndmask_b32_e64 v51, 0, v51, s0
	v_cmp_gt_i32_e64 s0, s23, v115
	v_cndmask_b32_e64 v50, 0, v50, s0
	v_cmp_gt_i32_e64 s0, s13, v119
	s_delay_alu instid0(VALU_DEP_1) | instskip(SKIP_1) | instid1(VALU_DEP_1)
	v_cndmask_b32_e64 v53, 0, v53, s0
	v_cmp_gt_i32_e64 s0, s23, v118
	v_cndmask_b32_e64 v52, 0, v52, s0
	s_or_b32 exec_lo, exec_lo, s1
	global_load_b128 v[54:57], v[66:67], off offset:6144
	s_wait_xcnt 0x0
	s_and_saveexec_b32 s1, vcc_lo
	s_cbranch_execz .LBB47_49
.LBB47_68:                              ;   in Loop: Header=BB47_36 Depth=1
	v_cmp_gt_i32_e64 s0, s13, v120
	s_wait_loadcnt 0x0
	s_delay_alu instid0(VALU_DEP_1) | instskip(SKIP_1) | instid1(VALU_DEP_1)
	v_cndmask_b32_e64 v55, 0, v55, s0
	v_cmp_gt_i32_e64 s0, s23, v115
	v_cndmask_b32_e64 v54, 0, v54, s0
	v_cmp_gt_i32_e64 s0, s13, v119
	s_delay_alu instid0(VALU_DEP_1) | instskip(SKIP_1) | instid1(VALU_DEP_1)
	v_cndmask_b32_e64 v57, 0, v57, s0
	v_cmp_gt_i32_e64 s0, s23, v118
	v_cndmask_b32_e64 v56, 0, v56, s0
	s_or_b32 exec_lo, exec_lo, s1
	global_load_b128 v[58:61], v[66:67], off offset:6656
	s_wait_xcnt 0x0
	s_and_saveexec_b32 s1, vcc_lo
	s_cbranch_execz .LBB47_50
.LBB47_69:                              ;   in Loop: Header=BB47_36 Depth=1
	v_cmp_gt_i32_e64 s0, s13, v120
	s_wait_loadcnt 0x0
	s_delay_alu instid0(VALU_DEP_1) | instskip(SKIP_1) | instid1(VALU_DEP_1)
	v_cndmask_b32_e64 v59, 0, v59, s0
	v_cmp_gt_i32_e64 s0, s23, v115
	v_cndmask_b32_e64 v58, 0, v58, s0
	v_cmp_gt_i32_e64 s0, s13, v119
	s_delay_alu instid0(VALU_DEP_1) | instskip(SKIP_1) | instid1(VALU_DEP_1)
	v_cndmask_b32_e64 v61, 0, v61, s0
	v_cmp_gt_i32_e64 s0, s23, v118
	v_cndmask_b32_e64 v60, 0, v60, s0
	s_or_b32 exec_lo, exec_lo, s1
	global_load_b128 v[62:65], v[66:67], off offset:7168
	s_wait_xcnt 0x0
	s_and_saveexec_b32 s1, vcc_lo
	s_cbranch_execz .LBB47_51
.LBB47_70:                              ;   in Loop: Header=BB47_36 Depth=1
	v_cmp_gt_i32_e64 s0, s13, v120
	s_wait_loadcnt 0x0
	s_delay_alu instid0(VALU_DEP_1) | instskip(SKIP_1) | instid1(VALU_DEP_1)
	v_cndmask_b32_e64 v63, 0, v63, s0
	v_cmp_gt_i32_e64 s0, s23, v115
	v_cndmask_b32_e64 v62, 0, v62, s0
	v_cmp_gt_i32_e64 s0, s13, v119
	s_delay_alu instid0(VALU_DEP_1) | instskip(SKIP_1) | instid1(VALU_DEP_1)
	v_cndmask_b32_e64 v65, 0, v65, s0
	v_cmp_gt_i32_e64 s0, s23, v118
	v_cndmask_b32_e64 v64, 0, v64, s0
	s_or_b32 exec_lo, exec_lo, s1
	global_load_b128 v[70:73], v[66:67], off offset:7680
	s_wait_xcnt 0x0
	s_and_saveexec_b32 s1, vcc_lo
	s_cbranch_execz .LBB47_52
.LBB47_71:                              ;   in Loop: Header=BB47_36 Depth=1
	v_cmp_gt_i32_e64 s0, s13, v120
	s_wait_loadcnt 0x0
	s_delay_alu instid0(VALU_DEP_1) | instskip(SKIP_1) | instid1(VALU_DEP_1)
	v_cndmask_b32_e64 v71, 0, v71, s0
	v_cmp_gt_i32_e64 s0, s23, v115
	v_cndmask_b32_e64 v70, 0, v70, s0
	v_cmp_gt_i32_e64 s0, s13, v119
	s_delay_alu instid0(VALU_DEP_1) | instskip(SKIP_1) | instid1(VALU_DEP_1)
	v_cndmask_b32_e64 v73, 0, v73, s0
	v_cmp_gt_i32_e64 s0, s23, v118
	v_cndmask_b32_e64 v72, 0, v72, s0
	s_or_b32 exec_lo, exec_lo, s1
	global_load_b128 v[74:77], v[66:67], off offset:8192
	s_wait_xcnt 0x0
	s_and_saveexec_b32 s1, vcc_lo
	s_cbranch_execz .LBB47_53
.LBB47_72:                              ;   in Loop: Header=BB47_36 Depth=1
	v_cmp_gt_i32_e64 s0, s13, v120
	s_wait_loadcnt 0x0
	s_delay_alu instid0(VALU_DEP_1) | instskip(SKIP_1) | instid1(VALU_DEP_1)
	v_cndmask_b32_e64 v75, 0, v75, s0
	v_cmp_gt_i32_e64 s0, s23, v115
	v_cndmask_b32_e64 v74, 0, v74, s0
	v_cmp_gt_i32_e64 s0, s13, v119
	s_delay_alu instid0(VALU_DEP_1) | instskip(SKIP_1) | instid1(VALU_DEP_1)
	v_cndmask_b32_e64 v77, 0, v77, s0
	v_cmp_gt_i32_e64 s0, s23, v118
	v_cndmask_b32_e64 v76, 0, v76, s0
	s_or_b32 exec_lo, exec_lo, s1
	global_load_b128 v[78:81], v[66:67], off offset:8704
	s_wait_xcnt 0x0
	s_and_saveexec_b32 s14, vcc_lo
	s_cbranch_execz .LBB47_54
.LBB47_73:                              ;   in Loop: Header=BB47_36 Depth=1
	v_cmp_gt_i32_e64 s0, s13, v120
	v_cmp_gt_i32_e64 s1, s23, v115
	;; [unrolled: 1-line block ×4, first 2 shown]
	s_wait_loadcnt 0x0
	s_delay_alu instid0(VALU_DEP_3) | instskip(NEXT) | instid1(VALU_DEP_2)
	v_dual_cndmask_b32 v79, 0, v79, s0 :: v_dual_cndmask_b32 v78, 0, v78, s1
	v_dual_cndmask_b32 v81, 0, v81, s2 :: v_dual_cndmask_b32 v80, 0, v80, s3
	s_or_b32 exec_lo, exec_lo, s14
	global_load_b128 v[82:85], v[66:67], off offset:9216
	s_wait_xcnt 0x0
	s_and_saveexec_b32 s1, vcc_lo
	s_cbranch_execz .LBB47_55
.LBB47_74:                              ;   in Loop: Header=BB47_36 Depth=1
	v_cmp_gt_i32_e64 s0, s13, v120
	s_wait_loadcnt 0x0
	s_delay_alu instid0(VALU_DEP_1) | instskip(SKIP_1) | instid1(VALU_DEP_1)
	v_cndmask_b32_e64 v83, 0, v83, s0
	v_cmp_gt_i32_e64 s0, s23, v115
	v_cndmask_b32_e64 v82, 0, v82, s0
	v_cmp_gt_i32_e64 s0, s13, v119
	s_delay_alu instid0(VALU_DEP_1) | instskip(SKIP_1) | instid1(VALU_DEP_1)
	v_cndmask_b32_e64 v85, 0, v85, s0
	v_cmp_gt_i32_e64 s0, s23, v118
	v_cndmask_b32_e64 v84, 0, v84, s0
	s_or_b32 exec_lo, exec_lo, s1
	global_load_b128 v[66:69], v[66:67], off offset:9728
	s_wait_xcnt 0x0
	s_and_saveexec_b32 s0, vcc_lo
	s_cbranch_execz .LBB47_35
.LBB47_75:                              ;   in Loop: Header=BB47_36 Depth=1
	v_cmp_gt_i32_e32 vcc_lo, s13, v120
	s_wait_loadcnt 0x0
	v_cndmask_b32_e32 v67, 0, v67, vcc_lo
	v_cmp_gt_i32_e32 vcc_lo, s23, v115
	v_cndmask_b32_e32 v66, 0, v66, vcc_lo
	v_cmp_gt_i32_e32 vcc_lo, s13, v119
	;; [unrolled: 2-line block ×3, first 2 shown]
	v_cndmask_b32_e32 v68, 0, v68, vcc_lo
	s_branch .LBB47_35
.LBB47_76:
	s_or_b32 exec_lo, exec_lo, s12
.LBB47_77:
	s_delay_alu instid0(SALU_CYCLE_1)
	s_or_b32 exec_lo, exec_lo, s4
	ds_bpermute_b32 v2, v113, v104
	ds_bpermute_b32 v3, v113, v105
	;; [unrolled: 1-line block ×20, first 2 shown]
	s_mov_b32 s0, exec_lo
	s_wait_dscnt 0x12
	v_pk_add_f32 v[2:3], v[104:105], v[2:3]
	s_wait_dscnt 0x0
	v_pk_add_f32 v[6:7], v[100:101], v[6:7]
	s_barrier_signal -1
	v_pk_add_f32 v[8:9], v[98:99], v[8:9]
	ds_bpermute_b32 v22, v112, v2
	ds_bpermute_b32 v23, v112, v3
	;; [unrolled: 1-line block ×6, first 2 shown]
	v_pk_add_f32 v[4:5], v[102:103], v[4:5]
	v_pk_add_f32 v[10:11], v[96:97], v[10:11]
	;; [unrolled: 1-line block ×6, first 2 shown]
	ds_bpermute_b32 v24, v112, v4
	ds_bpermute_b32 v25, v112, v5
	;; [unrolled: 1-line block ×9, first 2 shown]
	s_wait_dscnt 0xd
	v_pk_add_f32 v[2:3], v[2:3], v[22:23]
	ds_bpermute_b32 v37, v112, v17
	ds_bpermute_b32 v22, v112, v18
	;; [unrolled: 1-line block ×3, first 2 shown]
	v_pk_add_f32 v[20:21], v[86:87], v[20:21]
	s_wait_dscnt 0xe
	v_pk_add_f32 v[6:7], v[6:7], v[26:27]
	s_wait_dscnt 0xc
	v_pk_add_f32 v[26:27], v[8:9], v[28:29]
	s_barrier_wait -1
	s_wait_dscnt 0x0
	ds_bpermute_b32 v8, v112, v20
	ds_bpermute_b32 v9, v112, v21
	;; [unrolled: 1-line block ×3, first 2 shown]
	v_pk_add_f32 v[4:5], v[4:5], v[24:25]
	ds_bpermute_b32 v24, v111, v2
	v_pk_add_f32 v[30:31], v[10:11], v[30:31]
	ds_bpermute_b32 v25, v111, v3
	;; [unrolled: 2-line block ×4, first 2 shown]
	ds_bpermute_b32 v29, v111, v7
	v_pk_add_f32 v[16:17], v[16:17], v[36:37]
	ds_bpermute_b32 v40, v111, v26
	v_pk_add_f32 v[36:37], v[18:19], v[22:23]
	ds_bpermute_b32 v41, v111, v27
	ds_bpermute_b32 v42, v111, v30
	;; [unrolled: 1-line block ×11, first 2 shown]
	s_wait_dscnt 0x12
	v_pk_add_f32 v[20:21], v[20:21], v[8:9]
	s_wait_dscnt 0xf
	v_pk_add_f32 v[12:13], v[2:3], v[24:25]
	v_and_b32_e32 v25, 0x3c7, v0
	v_lshrrev_b32_e32 v24, 3, v110
	s_wait_dscnt 0xd
	v_pk_add_f32 v[10:11], v[4:5], v[38:39]
	ds_bpermute_b32 v22, v111, v20
	s_wait_dscnt 0xd
	v_pk_add_f32 v[8:9], v[6:7], v[28:29]
	ds_bpermute_b32 v23, v111, v21
	s_wait_dscnt 0xc
	v_pk_add_f32 v[6:7], v[26:27], v[40:41]
	s_wait_dscnt 0xa
	v_pk_add_f32 v[4:5], v[30:31], v[42:43]
	s_wait_dscnt 0x8
	v_pk_add_f32 v[2:3], v[32:33], v[34:35]
	s_wait_dscnt 0x6
	v_pk_add_f32 v[18:19], v[14:15], v[18:19]
	s_wait_dscnt 0x4
	v_pk_add_f32 v[16:17], v[16:17], v[44:45]
	s_wait_dscnt 0x2
	v_pk_add_f32 v[14:15], v[36:37], v[46:47]
	v_cmpx_ne_u32_e32 64, v25
	s_xor_b32 s0, exec_lo, s0
	s_delay_alu instid0(SALU_CYCLE_1)
	s_or_saveexec_b32 s0, s0
	s_wait_dscnt 0x0
	v_pk_add_f32 v[20:21], v[20:21], v[22:23]
	v_lshl_add_u32 v22, v24, 2, 0x160
	v_mul_u32_u24_e32 v1, 0x140, v1
	s_xor_b32 exec_lo, exec_lo, s0
	s_cbranch_execz .LBB47_79
; %bb.78:
	s_delay_alu instid0(VALU_DEP_1) | instskip(NEXT) | instid1(VALU_DEP_1)
	v_add_nc_u32_e32 v23, v22, v1
	v_add_nc_u32_e32 v25, 0xfffffd80, v23
	;; [unrolled: 1-line block ×9, first 2 shown]
	ds_store_b32 v25, v12
	ds_store_b32 v26, v13
	;; [unrolled: 1-line block ×8, first 2 shown]
	v_add_nc_u32_e32 v25, 0xfffffe00, v23
	v_add_nc_u32_e32 v26, 0xfffffe10, v23
	;; [unrolled: 1-line block ×12, first 2 shown]
	ds_store_b32 v25, v4
	ds_store_b32 v26, v5
	;; [unrolled: 1-line block ×12, first 2 shown]
.LBB47_79:
	s_or_b32 exec_lo, exec_lo, s0
	v_lshlrev_b32_e32 v23, 2, v24
	s_mov_b32 s1, exec_lo
	v_cmp_eq_u32_e32 vcc_lo, 0, v114
	s_wait_dscnt 0x0
	s_barrier_signal -1
	v_add3_u32 v1, 0x160, v1, v23
	s_barrier_wait -1
	v_cmpx_gt_u32_e32 64, v0
	s_cbranch_execz .LBB47_102
; %bb.80:
	s_and_saveexec_b32 s0, vcc_lo
	s_cbranch_execnz .LBB47_130
; %bb.81:
	s_or_b32 exec_lo, exec_lo, s0
	s_and_saveexec_b32 s0, vcc_lo
	s_cbranch_execnz .LBB47_131
.LBB47_82:
	s_or_b32 exec_lo, exec_lo, s0
	s_and_saveexec_b32 s0, vcc_lo
	s_cbranch_execnz .LBB47_132
.LBB47_83:
	s_or_b32 exec_lo, exec_lo, s0
	s_and_saveexec_b32 s0, vcc_lo
	s_cbranch_execnz .LBB47_133
.LBB47_84:
	s_or_b32 exec_lo, exec_lo, s0
	s_and_saveexec_b32 s0, vcc_lo
	s_cbranch_execnz .LBB47_134
.LBB47_85:
	s_or_b32 exec_lo, exec_lo, s0
	s_and_saveexec_b32 s0, vcc_lo
	s_cbranch_execnz .LBB47_135
.LBB47_86:
	s_or_b32 exec_lo, exec_lo, s0
	s_and_saveexec_b32 s0, vcc_lo
	s_cbranch_execnz .LBB47_136
.LBB47_87:
	s_or_b32 exec_lo, exec_lo, s0
	s_and_saveexec_b32 s0, vcc_lo
	s_cbranch_execnz .LBB47_137
.LBB47_88:
	s_or_b32 exec_lo, exec_lo, s0
	s_and_saveexec_b32 s0, vcc_lo
	s_cbranch_execnz .LBB47_138
.LBB47_89:
	s_or_b32 exec_lo, exec_lo, s0
	s_and_saveexec_b32 s0, vcc_lo
	s_cbranch_execnz .LBB47_139
.LBB47_90:
	s_or_b32 exec_lo, exec_lo, s0
	s_and_saveexec_b32 s0, vcc_lo
	s_cbranch_execnz .LBB47_140
.LBB47_91:
	s_or_b32 exec_lo, exec_lo, s0
	s_and_saveexec_b32 s0, vcc_lo
	s_cbranch_execnz .LBB47_141
.LBB47_92:
	s_or_b32 exec_lo, exec_lo, s0
	s_and_saveexec_b32 s0, vcc_lo
	s_cbranch_execnz .LBB47_142
.LBB47_93:
	s_or_b32 exec_lo, exec_lo, s0
	s_and_saveexec_b32 s0, vcc_lo
	s_cbranch_execnz .LBB47_143
.LBB47_94:
	s_or_b32 exec_lo, exec_lo, s0
	s_and_saveexec_b32 s0, vcc_lo
	s_cbranch_execnz .LBB47_144
.LBB47_95:
	s_or_b32 exec_lo, exec_lo, s0
	s_and_saveexec_b32 s0, vcc_lo
	s_cbranch_execnz .LBB47_145
.LBB47_96:
	s_or_b32 exec_lo, exec_lo, s0
	s_and_saveexec_b32 s0, vcc_lo
	s_cbranch_execnz .LBB47_146
.LBB47_97:
	s_or_b32 exec_lo, exec_lo, s0
	s_and_saveexec_b32 s0, vcc_lo
	s_cbranch_execnz .LBB47_147
.LBB47_98:
	s_or_b32 exec_lo, exec_lo, s0
	s_and_saveexec_b32 s0, vcc_lo
	s_cbranch_execnz .LBB47_148
.LBB47_99:
	s_or_b32 exec_lo, exec_lo, s0
	s_and_saveexec_b32 s0, vcc_lo
	s_cbranch_execz .LBB47_101
.LBB47_100:
	ds_load_b32 v23, v1 offset:304
	s_wait_dscnt 0x0
	v_add_f32_e32 v21, v21, v23
.LBB47_101:
	s_or_b32 exec_lo, exec_lo, s0
.LBB47_102:
	s_delay_alu instid0(SALU_CYCLE_1) | instskip(SKIP_4) | instid1(VALU_DEP_1)
	s_or_b32 exec_lo, exec_lo, s1
	v_and_b32_e32 v23, 0x3e7, v0
	s_mov_b32 s1, exec_lo
	s_barrier_signal -1
	s_barrier_wait -1
	v_cmpx_eq_u32_e32 32, v23
	s_cbranch_execz .LBB47_104
; %bb.103:
	ds_store_2addr_b32 v22, v12, v13 offset1:4
	ds_store_2addr_b32 v22, v10, v11 offset0:8 offset1:12
	ds_store_2addr_b32 v22, v8, v9 offset0:16 offset1:20
	;; [unrolled: 1-line block ×9, first 2 shown]
.LBB47_104:
	s_or_b32 exec_lo, exec_lo, s1
	s_delay_alu instid0(SALU_CYCLE_1)
	s_mov_b32 s1, exec_lo
	s_wait_dscnt 0x0
	s_barrier_signal -1
	s_barrier_wait -1
	v_cmpx_gt_u32_e32 32, v0
	s_cbranch_execz .LBB47_127
; %bb.105:
	s_and_saveexec_b32 s0, vcc_lo
	s_cbranch_execnz .LBB47_149
; %bb.106:
	s_or_b32 exec_lo, exec_lo, s0
	s_and_saveexec_b32 s0, vcc_lo
	s_cbranch_execnz .LBB47_150
.LBB47_107:
	s_or_b32 exec_lo, exec_lo, s0
	s_and_saveexec_b32 s0, vcc_lo
	s_cbranch_execnz .LBB47_151
.LBB47_108:
	s_or_b32 exec_lo, exec_lo, s0
	s_and_saveexec_b32 s0, vcc_lo
	s_cbranch_execnz .LBB47_152
.LBB47_109:
	s_or_b32 exec_lo, exec_lo, s0
	s_and_saveexec_b32 s0, vcc_lo
	s_cbranch_execnz .LBB47_153
.LBB47_110:
	s_or_b32 exec_lo, exec_lo, s0
	s_and_saveexec_b32 s0, vcc_lo
	s_cbranch_execnz .LBB47_154
.LBB47_111:
	s_or_b32 exec_lo, exec_lo, s0
	s_and_saveexec_b32 s0, vcc_lo
	s_cbranch_execnz .LBB47_155
.LBB47_112:
	s_or_b32 exec_lo, exec_lo, s0
	s_and_saveexec_b32 s0, vcc_lo
	s_cbranch_execnz .LBB47_156
.LBB47_113:
	s_or_b32 exec_lo, exec_lo, s0
	s_and_saveexec_b32 s0, vcc_lo
	s_cbranch_execnz .LBB47_157
.LBB47_114:
	s_or_b32 exec_lo, exec_lo, s0
	s_and_saveexec_b32 s0, vcc_lo
	s_cbranch_execnz .LBB47_158
.LBB47_115:
	s_or_b32 exec_lo, exec_lo, s0
	s_and_saveexec_b32 s0, vcc_lo
	s_cbranch_execnz .LBB47_159
.LBB47_116:
	s_or_b32 exec_lo, exec_lo, s0
	s_and_saveexec_b32 s0, vcc_lo
	s_cbranch_execnz .LBB47_160
.LBB47_117:
	s_or_b32 exec_lo, exec_lo, s0
	s_and_saveexec_b32 s0, vcc_lo
	s_cbranch_execnz .LBB47_161
.LBB47_118:
	s_or_b32 exec_lo, exec_lo, s0
	s_and_saveexec_b32 s0, vcc_lo
	s_cbranch_execnz .LBB47_162
.LBB47_119:
	s_or_b32 exec_lo, exec_lo, s0
	s_and_saveexec_b32 s0, vcc_lo
	s_cbranch_execnz .LBB47_163
.LBB47_120:
	s_or_b32 exec_lo, exec_lo, s0
	s_and_saveexec_b32 s0, vcc_lo
	s_cbranch_execnz .LBB47_164
.LBB47_121:
	s_or_b32 exec_lo, exec_lo, s0
	s_and_saveexec_b32 s0, vcc_lo
	s_cbranch_execnz .LBB47_165
.LBB47_122:
	s_or_b32 exec_lo, exec_lo, s0
	s_and_saveexec_b32 s0, vcc_lo
	s_cbranch_execnz .LBB47_166
.LBB47_123:
	s_or_b32 exec_lo, exec_lo, s0
	s_and_saveexec_b32 s0, vcc_lo
	s_cbranch_execnz .LBB47_167
.LBB47_124:
	s_or_b32 exec_lo, exec_lo, s0
	s_and_saveexec_b32 s0, vcc_lo
	s_cbranch_execz .LBB47_126
.LBB47_125:
	ds_load_b32 v1, v1 offset:304
	s_wait_dscnt 0x0
	v_add_f32_e32 v21, v21, v1
.LBB47_126:
	s_or_b32 exec_lo, exec_lo, s0
.LBB47_127:
	s_delay_alu instid0(SALU_CYCLE_1)
	s_or_b32 exec_lo, exec_lo, s1
	s_mov_b32 s1, 0
	s_barrier_signal -1
	s_barrier_wait -1
	s_mov_b32 s0, exec_lo
	v_cmpx_eq_u32_e32 0, v23
	s_cbranch_execz .LBB47_129
; %bb.128:
	s_mul_i32 s0, s22, s9
	s_mul_i32 s2, s9, s8
	;; [unrolled: 1-line block ×3, first 2 shown]
	s_lshr_b32 s8, ttmp7, 16
	s_mul_i32 s4, s0, 0x50
	s_bfe_u32 s0, ttmp6, 0x40014
	s_ashr_i32 s5, s4, 31
	s_add_co_i32 s0, s0, 1
	s_lshl_b64 s[4:5], s[4:5], 2
	s_ashr_i32 s3, s2, 31
	s_wait_kmcnt 0x0
	s_add_nc_u64 s[4:5], s[6:7], s[4:5]
	s_mul_i32 s0, s8, s0
	s_bfe_u32 s6, ttmp6, 0x40008
	s_lshl_b64 s[2:3], s[2:3], 2
	s_add_co_i32 s6, s6, s0
	s_cmp_eq_u32 s20, 0
	v_lshrrev_b32_e32 v0, 1, v0
	s_cselect_b32 s0, s8, s6
	s_add_nc_u64 s[2:3], s[4:5], s[2:3]
	s_mulk_i32 s0, 0x140
	s_delay_alu instid0(SALU_CYCLE_1)
	s_add_nc_u64 s[0:1], s[2:3], s[0:1]
	s_clause 0x13
	global_store_b32 v0, v12, s[0:1]
	global_store_b32 v0, v13, s[0:1] offset:16
	global_store_b32 v0, v10, s[0:1] offset:32
	;; [unrolled: 1-line block ×19, first 2 shown]
.LBB47_129:
	s_sendmsg sendmsg(MSG_DEALLOC_VGPRS)
	s_endpgm
.LBB47_130:
	ds_load_b32 v23, v1
	s_wait_dscnt 0x0
	v_add_f32_e32 v12, v12, v23
	s_or_b32 exec_lo, exec_lo, s0
	s_and_saveexec_b32 s0, vcc_lo
	s_cbranch_execz .LBB47_82
.LBB47_131:
	ds_load_b32 v23, v1 offset:16
	s_wait_dscnt 0x0
	v_add_f32_e32 v13, v13, v23
	s_or_b32 exec_lo, exec_lo, s0
	s_and_saveexec_b32 s0, vcc_lo
	s_cbranch_execz .LBB47_83
.LBB47_132:
	ds_load_b32 v23, v1 offset:32
	s_wait_dscnt 0x0
	v_add_f32_e32 v10, v10, v23
	s_or_b32 exec_lo, exec_lo, s0
	s_and_saveexec_b32 s0, vcc_lo
	s_cbranch_execz .LBB47_84
.LBB47_133:
	ds_load_b32 v23, v1 offset:48
	s_wait_dscnt 0x0
	v_add_f32_e32 v11, v11, v23
	s_or_b32 exec_lo, exec_lo, s0
	s_and_saveexec_b32 s0, vcc_lo
	s_cbranch_execz .LBB47_85
.LBB47_134:
	ds_load_b32 v23, v1 offset:64
	s_wait_dscnt 0x0
	v_add_f32_e32 v8, v8, v23
	s_or_b32 exec_lo, exec_lo, s0
	s_and_saveexec_b32 s0, vcc_lo
	s_cbranch_execz .LBB47_86
.LBB47_135:
	ds_load_b32 v23, v1 offset:80
	s_wait_dscnt 0x0
	v_add_f32_e32 v9, v9, v23
	s_or_b32 exec_lo, exec_lo, s0
	s_and_saveexec_b32 s0, vcc_lo
	s_cbranch_execz .LBB47_87
.LBB47_136:
	ds_load_b32 v23, v1 offset:96
	s_wait_dscnt 0x0
	v_add_f32_e32 v6, v6, v23
	s_or_b32 exec_lo, exec_lo, s0
	s_and_saveexec_b32 s0, vcc_lo
	s_cbranch_execz .LBB47_88
.LBB47_137:
	ds_load_b32 v23, v1 offset:112
	s_wait_dscnt 0x0
	v_add_f32_e32 v7, v7, v23
	s_or_b32 exec_lo, exec_lo, s0
	s_and_saveexec_b32 s0, vcc_lo
	s_cbranch_execz .LBB47_89
.LBB47_138:
	ds_load_b32 v23, v1 offset:128
	s_wait_dscnt 0x0
	v_add_f32_e32 v4, v4, v23
	s_or_b32 exec_lo, exec_lo, s0
	s_and_saveexec_b32 s0, vcc_lo
	s_cbranch_execz .LBB47_90
.LBB47_139:
	ds_load_b32 v23, v1 offset:144
	s_wait_dscnt 0x0
	v_add_f32_e32 v5, v5, v23
	s_or_b32 exec_lo, exec_lo, s0
	s_and_saveexec_b32 s0, vcc_lo
	s_cbranch_execz .LBB47_91
.LBB47_140:
	ds_load_b32 v23, v1 offset:160
	s_wait_dscnt 0x0
	v_add_f32_e32 v2, v2, v23
	s_or_b32 exec_lo, exec_lo, s0
	s_and_saveexec_b32 s0, vcc_lo
	s_cbranch_execz .LBB47_92
.LBB47_141:
	ds_load_b32 v23, v1 offset:176
	s_wait_dscnt 0x0
	v_add_f32_e32 v3, v3, v23
	s_or_b32 exec_lo, exec_lo, s0
	s_and_saveexec_b32 s0, vcc_lo
	s_cbranch_execz .LBB47_93
.LBB47_142:
	ds_load_b32 v23, v1 offset:192
	s_wait_dscnt 0x0
	v_add_f32_e32 v18, v18, v23
	s_or_b32 exec_lo, exec_lo, s0
	s_and_saveexec_b32 s0, vcc_lo
	s_cbranch_execz .LBB47_94
.LBB47_143:
	ds_load_b32 v23, v1 offset:208
	s_wait_dscnt 0x0
	v_add_f32_e32 v19, v19, v23
	s_or_b32 exec_lo, exec_lo, s0
	s_and_saveexec_b32 s0, vcc_lo
	s_cbranch_execz .LBB47_95
.LBB47_144:
	ds_load_b32 v23, v1 offset:224
	s_wait_dscnt 0x0
	v_add_f32_e32 v16, v16, v23
	s_or_b32 exec_lo, exec_lo, s0
	s_and_saveexec_b32 s0, vcc_lo
	s_cbranch_execz .LBB47_96
.LBB47_145:
	ds_load_b32 v23, v1 offset:240
	s_wait_dscnt 0x0
	v_add_f32_e32 v17, v17, v23
	s_or_b32 exec_lo, exec_lo, s0
	s_and_saveexec_b32 s0, vcc_lo
	s_cbranch_execz .LBB47_97
.LBB47_146:
	ds_load_b32 v23, v1 offset:256
	s_wait_dscnt 0x0
	v_add_f32_e32 v14, v14, v23
	s_or_b32 exec_lo, exec_lo, s0
	s_and_saveexec_b32 s0, vcc_lo
	s_cbranch_execz .LBB47_98
.LBB47_147:
	ds_load_b32 v23, v1 offset:272
	s_wait_dscnt 0x0
	v_add_f32_e32 v15, v15, v23
	s_or_b32 exec_lo, exec_lo, s0
	s_and_saveexec_b32 s0, vcc_lo
	s_cbranch_execz .LBB47_99
.LBB47_148:
	ds_load_b32 v23, v1 offset:288
	s_wait_dscnt 0x0
	v_add_f32_e32 v20, v20, v23
	s_or_b32 exec_lo, exec_lo, s0
	s_and_saveexec_b32 s0, vcc_lo
	s_cbranch_execnz .LBB47_100
	s_branch .LBB47_101
.LBB47_149:
	ds_load_b32 v22, v1
	s_wait_dscnt 0x0
	v_add_f32_e32 v12, v12, v22
	s_or_b32 exec_lo, exec_lo, s0
	s_and_saveexec_b32 s0, vcc_lo
	s_cbranch_execz .LBB47_107
.LBB47_150:
	ds_load_b32 v22, v1 offset:16
	s_wait_dscnt 0x0
	v_add_f32_e32 v13, v13, v22
	s_or_b32 exec_lo, exec_lo, s0
	s_and_saveexec_b32 s0, vcc_lo
	s_cbranch_execz .LBB47_108
.LBB47_151:
	ds_load_b32 v22, v1 offset:32
	s_wait_dscnt 0x0
	v_add_f32_e32 v10, v10, v22
	s_or_b32 exec_lo, exec_lo, s0
	s_and_saveexec_b32 s0, vcc_lo
	s_cbranch_execz .LBB47_109
.LBB47_152:
	ds_load_b32 v22, v1 offset:48
	s_wait_dscnt 0x0
	v_add_f32_e32 v11, v11, v22
	s_or_b32 exec_lo, exec_lo, s0
	s_and_saveexec_b32 s0, vcc_lo
	s_cbranch_execz .LBB47_110
.LBB47_153:
	ds_load_b32 v22, v1 offset:64
	s_wait_dscnt 0x0
	v_add_f32_e32 v8, v8, v22
	s_or_b32 exec_lo, exec_lo, s0
	s_and_saveexec_b32 s0, vcc_lo
	s_cbranch_execz .LBB47_111
.LBB47_154:
	ds_load_b32 v22, v1 offset:80
	s_wait_dscnt 0x0
	v_add_f32_e32 v9, v9, v22
	s_or_b32 exec_lo, exec_lo, s0
	s_and_saveexec_b32 s0, vcc_lo
	s_cbranch_execz .LBB47_112
.LBB47_155:
	ds_load_b32 v22, v1 offset:96
	s_wait_dscnt 0x0
	v_add_f32_e32 v6, v6, v22
	s_or_b32 exec_lo, exec_lo, s0
	s_and_saveexec_b32 s0, vcc_lo
	s_cbranch_execz .LBB47_113
.LBB47_156:
	ds_load_b32 v22, v1 offset:112
	s_wait_dscnt 0x0
	v_add_f32_e32 v7, v7, v22
	s_or_b32 exec_lo, exec_lo, s0
	s_and_saveexec_b32 s0, vcc_lo
	s_cbranch_execz .LBB47_114
.LBB47_157:
	ds_load_b32 v22, v1 offset:128
	s_wait_dscnt 0x0
	v_add_f32_e32 v4, v4, v22
	s_or_b32 exec_lo, exec_lo, s0
	s_and_saveexec_b32 s0, vcc_lo
	s_cbranch_execz .LBB47_115
.LBB47_158:
	ds_load_b32 v22, v1 offset:144
	s_wait_dscnt 0x0
	v_add_f32_e32 v5, v5, v22
	s_or_b32 exec_lo, exec_lo, s0
	s_and_saveexec_b32 s0, vcc_lo
	s_cbranch_execz .LBB47_116
.LBB47_159:
	ds_load_b32 v22, v1 offset:160
	s_wait_dscnt 0x0
	v_add_f32_e32 v2, v2, v22
	s_or_b32 exec_lo, exec_lo, s0
	s_and_saveexec_b32 s0, vcc_lo
	s_cbranch_execz .LBB47_117
.LBB47_160:
	ds_load_b32 v22, v1 offset:176
	s_wait_dscnt 0x0
	v_add_f32_e32 v3, v3, v22
	s_or_b32 exec_lo, exec_lo, s0
	s_and_saveexec_b32 s0, vcc_lo
	s_cbranch_execz .LBB47_118
.LBB47_161:
	ds_load_b32 v22, v1 offset:192
	s_wait_dscnt 0x0
	v_add_f32_e32 v18, v18, v22
	s_or_b32 exec_lo, exec_lo, s0
	s_and_saveexec_b32 s0, vcc_lo
	s_cbranch_execz .LBB47_119
.LBB47_162:
	ds_load_b32 v22, v1 offset:208
	s_wait_dscnt 0x0
	v_add_f32_e32 v19, v19, v22
	s_or_b32 exec_lo, exec_lo, s0
	s_and_saveexec_b32 s0, vcc_lo
	s_cbranch_execz .LBB47_120
.LBB47_163:
	ds_load_b32 v22, v1 offset:224
	s_wait_dscnt 0x0
	v_add_f32_e32 v16, v16, v22
	s_or_b32 exec_lo, exec_lo, s0
	s_and_saveexec_b32 s0, vcc_lo
	s_cbranch_execz .LBB47_121
.LBB47_164:
	ds_load_b32 v22, v1 offset:240
	s_wait_dscnt 0x0
	v_add_f32_e32 v17, v17, v22
	s_or_b32 exec_lo, exec_lo, s0
	s_and_saveexec_b32 s0, vcc_lo
	s_cbranch_execz .LBB47_122
.LBB47_165:
	ds_load_b32 v22, v1 offset:256
	s_wait_dscnt 0x0
	v_add_f32_e32 v14, v14, v22
	s_or_b32 exec_lo, exec_lo, s0
	s_and_saveexec_b32 s0, vcc_lo
	s_cbranch_execz .LBB47_123
.LBB47_166:
	ds_load_b32 v22, v1 offset:272
	s_wait_dscnt 0x0
	v_add_f32_e32 v15, v15, v22
	s_or_b32 exec_lo, exec_lo, s0
	s_and_saveexec_b32 s0, vcc_lo
	s_cbranch_execz .LBB47_124
.LBB47_167:
	ds_load_b32 v22, v1 offset:288
	s_wait_dscnt 0x0
	v_add_f32_e32 v20, v20, v22
	s_or_b32 exec_lo, exec_lo, s0
	s_and_saveexec_b32 s0, vcc_lo
	s_cbranch_execnz .LBB47_125
	s_branch .LBB47_126
	.section	.rodata,"a",@progbits
	.p2align	6, 0x0
	.amdhsa_kernel _ZN4vllm25paged_attention_v1_kernelIffLi80ELi32ELi128ELNS_18Fp8KVCacheDataTypeE0ELb0EEEvPT_PKS2_PKT0_S8_ifPKiSA_iPKfiiiSC_SC_iiiii
		.amdhsa_group_segment_fixed_size 352
		.amdhsa_private_segment_fixed_size 0
		.amdhsa_kernarg_size 384
		.amdhsa_user_sgpr_count 2
		.amdhsa_user_sgpr_dispatch_ptr 0
		.amdhsa_user_sgpr_queue_ptr 0
		.amdhsa_user_sgpr_kernarg_segment_ptr 1
		.amdhsa_user_sgpr_dispatch_id 0
		.amdhsa_user_sgpr_kernarg_preload_length 0
		.amdhsa_user_sgpr_kernarg_preload_offset 0
		.amdhsa_user_sgpr_private_segment_size 0
		.amdhsa_wavefront_size32 1
		.amdhsa_uses_dynamic_stack 0
		.amdhsa_enable_private_segment 0
		.amdhsa_system_sgpr_workgroup_id_x 1
		.amdhsa_system_sgpr_workgroup_id_y 1
		.amdhsa_system_sgpr_workgroup_id_z 1
		.amdhsa_system_sgpr_workgroup_info 0
		.amdhsa_system_vgpr_workitem_id 0
		.amdhsa_next_free_vgpr 121
		.amdhsa_next_free_sgpr 28
		.amdhsa_named_barrier_count 0
		.amdhsa_reserve_vcc 1
		.amdhsa_float_round_mode_32 0
		.amdhsa_float_round_mode_16_64 0
		.amdhsa_float_denorm_mode_32 3
		.amdhsa_float_denorm_mode_16_64 3
		.amdhsa_fp16_overflow 0
		.amdhsa_memory_ordered 1
		.amdhsa_forward_progress 1
		.amdhsa_inst_pref_size 81
		.amdhsa_round_robin_scheduling 0
		.amdhsa_exception_fp_ieee_invalid_op 0
		.amdhsa_exception_fp_denorm_src 0
		.amdhsa_exception_fp_ieee_div_zero 0
		.amdhsa_exception_fp_ieee_overflow 0
		.amdhsa_exception_fp_ieee_underflow 0
		.amdhsa_exception_fp_ieee_inexact 0
		.amdhsa_exception_int_div_zero 0
	.end_amdhsa_kernel
	.section	.text._ZN4vllm25paged_attention_v1_kernelIffLi80ELi32ELi128ELNS_18Fp8KVCacheDataTypeE0ELb0EEEvPT_PKS2_PKT0_S8_ifPKiSA_iPKfiiiSC_SC_iiiii,"axG",@progbits,_ZN4vllm25paged_attention_v1_kernelIffLi80ELi32ELi128ELNS_18Fp8KVCacheDataTypeE0ELb0EEEvPT_PKS2_PKT0_S8_ifPKiSA_iPKfiiiSC_SC_iiiii,comdat
.Lfunc_end47:
	.size	_ZN4vllm25paged_attention_v1_kernelIffLi80ELi32ELi128ELNS_18Fp8KVCacheDataTypeE0ELb0EEEvPT_PKS2_PKT0_S8_ifPKiSA_iPKfiiiSC_SC_iiiii, .Lfunc_end47-_ZN4vllm25paged_attention_v1_kernelIffLi80ELi32ELi128ELNS_18Fp8KVCacheDataTypeE0ELb0EEEvPT_PKS2_PKT0_S8_ifPKiSA_iPKfiiiSC_SC_iiiii
                                        ; -- End function
	.set _ZN4vllm25paged_attention_v1_kernelIffLi80ELi32ELi128ELNS_18Fp8KVCacheDataTypeE0ELb0EEEvPT_PKS2_PKT0_S8_ifPKiSA_iPKfiiiSC_SC_iiiii.num_vgpr, 121
	.set _ZN4vllm25paged_attention_v1_kernelIffLi80ELi32ELi128ELNS_18Fp8KVCacheDataTypeE0ELb0EEEvPT_PKS2_PKT0_S8_ifPKiSA_iPKfiiiSC_SC_iiiii.num_agpr, 0
	.set _ZN4vllm25paged_attention_v1_kernelIffLi80ELi32ELi128ELNS_18Fp8KVCacheDataTypeE0ELb0EEEvPT_PKS2_PKT0_S8_ifPKiSA_iPKfiiiSC_SC_iiiii.numbered_sgpr, 28
	.set _ZN4vllm25paged_attention_v1_kernelIffLi80ELi32ELi128ELNS_18Fp8KVCacheDataTypeE0ELb0EEEvPT_PKS2_PKT0_S8_ifPKiSA_iPKfiiiSC_SC_iiiii.num_named_barrier, 0
	.set _ZN4vllm25paged_attention_v1_kernelIffLi80ELi32ELi128ELNS_18Fp8KVCacheDataTypeE0ELb0EEEvPT_PKS2_PKT0_S8_ifPKiSA_iPKfiiiSC_SC_iiiii.private_seg_size, 0
	.set _ZN4vllm25paged_attention_v1_kernelIffLi80ELi32ELi128ELNS_18Fp8KVCacheDataTypeE0ELb0EEEvPT_PKS2_PKT0_S8_ifPKiSA_iPKfiiiSC_SC_iiiii.uses_vcc, 1
	.set _ZN4vllm25paged_attention_v1_kernelIffLi80ELi32ELi128ELNS_18Fp8KVCacheDataTypeE0ELb0EEEvPT_PKS2_PKT0_S8_ifPKiSA_iPKfiiiSC_SC_iiiii.uses_flat_scratch, 0
	.set _ZN4vllm25paged_attention_v1_kernelIffLi80ELi32ELi128ELNS_18Fp8KVCacheDataTypeE0ELb0EEEvPT_PKS2_PKT0_S8_ifPKiSA_iPKfiiiSC_SC_iiiii.has_dyn_sized_stack, 0
	.set _ZN4vllm25paged_attention_v1_kernelIffLi80ELi32ELi128ELNS_18Fp8KVCacheDataTypeE0ELb0EEEvPT_PKS2_PKT0_S8_ifPKiSA_iPKfiiiSC_SC_iiiii.has_recursion, 0
	.set _ZN4vllm25paged_attention_v1_kernelIffLi80ELi32ELi128ELNS_18Fp8KVCacheDataTypeE0ELb0EEEvPT_PKS2_PKT0_S8_ifPKiSA_iPKfiiiSC_SC_iiiii.has_indirect_call, 0
	.section	.AMDGPU.csdata,"",@progbits
; Kernel info:
; codeLenInByte = 10248
; TotalNumSgprs: 30
; NumVgprs: 121
; ScratchSize: 0
; MemoryBound: 0
; FloatMode: 240
; IeeeMode: 1
; LDSByteSize: 352 bytes/workgroup (compile time only)
; SGPRBlocks: 0
; VGPRBlocks: 7
; NumSGPRsForWavesPerEU: 30
; NumVGPRsForWavesPerEU: 121
; NamedBarCnt: 0
; Occupancy: 8
; WaveLimiterHint : 1
; COMPUTE_PGM_RSRC2:SCRATCH_EN: 0
; COMPUTE_PGM_RSRC2:USER_SGPR: 2
; COMPUTE_PGM_RSRC2:TRAP_HANDLER: 0
; COMPUTE_PGM_RSRC2:TGID_X_EN: 1
; COMPUTE_PGM_RSRC2:TGID_Y_EN: 1
; COMPUTE_PGM_RSRC2:TGID_Z_EN: 1
; COMPUTE_PGM_RSRC2:TIDIG_COMP_CNT: 0
	.section	.text._ZN4vllm25paged_attention_v1_kernelIffLi96ELi32ELi128ELNS_18Fp8KVCacheDataTypeE0ELb0EEEvPT_PKS2_PKT0_S8_ifPKiSA_iPKfiiiSC_SC_iiiii,"axG",@progbits,_ZN4vllm25paged_attention_v1_kernelIffLi96ELi32ELi128ELNS_18Fp8KVCacheDataTypeE0ELb0EEEvPT_PKS2_PKT0_S8_ifPKiSA_iPKfiiiSC_SC_iiiii,comdat
	.protected	_ZN4vllm25paged_attention_v1_kernelIffLi96ELi32ELi128ELNS_18Fp8KVCacheDataTypeE0ELb0EEEvPT_PKS2_PKT0_S8_ifPKiSA_iPKfiiiSC_SC_iiiii ; -- Begin function _ZN4vllm25paged_attention_v1_kernelIffLi96ELi32ELi128ELNS_18Fp8KVCacheDataTypeE0ELb0EEEvPT_PKS2_PKT0_S8_ifPKiSA_iPKfiiiSC_SC_iiiii
	.globl	_ZN4vllm25paged_attention_v1_kernelIffLi96ELi32ELi128ELNS_18Fp8KVCacheDataTypeE0ELb0EEEvPT_PKS2_PKT0_S8_ifPKiSA_iPKfiiiSC_SC_iiiii
	.p2align	8
	.type	_ZN4vllm25paged_attention_v1_kernelIffLi96ELi32ELi128ELNS_18Fp8KVCacheDataTypeE0ELb0EEEvPT_PKS2_PKT0_S8_ifPKiSA_iPKfiiiSC_SC_iiiii,@function
_ZN4vllm25paged_attention_v1_kernelIffLi96ELi32ELi128ELNS_18Fp8KVCacheDataTypeE0ELb0EEEvPT_PKS2_PKT0_S8_ifPKiSA_iPKfiiiSC_SC_iiiii: ; @_ZN4vllm25paged_attention_v1_kernelIffLi96ELi32ELi128ELNS_18Fp8KVCacheDataTypeE0ELb0EEEvPT_PKS2_PKT0_S8_ifPKiSA_iPKfiiiSC_SC_iiiii
; %bb.0:
	s_load_b64 s[6:7], s[0:1], 0x20
	s_bfe_u32 s3, ttmp6, 0x4000c
	s_bfe_u32 s5, ttmp6, 0x40010
	s_and_b32 s4, ttmp7, 0xffff
	s_add_co_i32 s3, s3, 1
	s_add_co_i32 s5, s5, 1
	s_and_b32 s2, ttmp6, 15
	s_bfe_u32 s8, ttmp6, 0x40004
	s_mul_i32 s3, ttmp9, s3
	s_mul_i32 s5, s4, s5
	s_getreg_b32 s20, hwreg(HW_REG_IB_STS2, 6, 4)
	s_add_co_i32 s2, s2, s3
	s_add_co_i32 s8, s8, s5
	s_cmp_eq_u32 s20, 0
	v_mov_b32_e32 v120, v0
	s_cselect_b32 s22, s4, s8
	s_cselect_b32 s8, ttmp9, s2
	s_clause 0x1
	s_load_b32 s21, s[0:1], 0x80
	s_load_b64 s[10:11], s[0:1], 0x30
	s_wait_kmcnt 0x0
	s_abs_i32 s2, s6
	s_delay_alu instid0(SALU_CYCLE_1) | instskip(SKIP_1) | instid1(SALU_CYCLE_2)
	s_cvt_f32_u32 s3, s2
	s_sub_co_i32 s4, 0, s2
	v_rcp_iflag_f32_e32 v0, s3
	v_nop
	s_delay_alu instid0(TRANS32_DEP_1) | instskip(SKIP_2) | instid1(SALU_CYCLE_3)
	v_readfirstlane_b32 s3, v0
	s_abs_i32 s5, s21
	s_mul_f32 s3, s3, 0x4f7ffffe
	s_cvt_u32_f32 s3, s3
	s_delay_alu instid0(SALU_CYCLE_3) | instskip(NEXT) | instid1(SALU_CYCLE_1)
	s_mul_i32 s4, s4, s3
	s_mul_hi_u32 s4, s3, s4
	s_delay_alu instid0(SALU_CYCLE_1) | instskip(SKIP_4) | instid1(SALU_CYCLE_1)
	s_add_co_i32 s3, s3, s4
	s_xor_b32 s4, s21, s6
	s_mul_hi_u32 s3, s5, s3
	s_ashr_i32 s4, s4, 31
	s_mul_i32 s6, s3, s2
	s_sub_co_i32 s5, s5, s6
	s_add_co_i32 s6, s3, 1
	s_sub_co_i32 s9, s5, s2
	s_cmp_ge_u32 s5, s2
	s_cselect_b32 s3, s6, s3
	s_cselect_b32 s5, s9, s5
	s_add_co_i32 s6, s3, 1
	s_cmp_ge_u32 s5, s2
	s_cselect_b32 s2, s6, s3
	s_mov_b32 s3, 0
	s_xor_b32 s2, s2, s4
	s_mov_b32 s13, s3
	s_sub_co_i32 s15, s2, s4
	s_load_b64 s[4:5], s[0:1], 0x40
	s_abs_i32 s14, s15
	s_mov_b32 s25, s3
	s_cvt_f32_u32 s2, s14
	s_delay_alu instid0(SALU_CYCLE_3) | instskip(SKIP_1) | instid1(TRANS32_DEP_1)
	v_rcp_iflag_f32_e32 v0, s2
	v_nop
	v_readfirstlane_b32 s2, v0
	s_mul_f32 s2, s2, 0x4f7ffffe
	s_delay_alu instid0(SALU_CYCLE_3) | instskip(SKIP_1) | instid1(SALU_CYCLE_2)
	s_cvt_u32_f32 s6, s2
	s_sub_co_i32 s2, 0, s14
	s_mul_i32 s2, s2, s6
	s_delay_alu instid0(SALU_CYCLE_1)
	s_mul_hi_u32 s9, s6, s2
	s_abs_i32 s2, s8
	s_add_co_i32 s12, s6, s9
	s_wait_kmcnt 0x0
	s_cmp_eq_u64 s[4:5], 0
	s_cbranch_scc1 .LBB48_2
; %bb.1:
	s_ashr_i32 s9, s8, 31
	s_delay_alu instid0(SALU_CYCLE_1) | instskip(NEXT) | instid1(SALU_CYCLE_1)
	s_lshl_b64 s[16:17], s[8:9], 2
	s_add_nc_u64 s[4:5], s[4:5], s[16:17]
	s_load_b32 s25, s[4:5], 0x0
.LBB48_2:
	s_load_b32 s23, s[10:11], s22 offset:0x0 scale_offset
	s_wait_xcnt 0x0
	s_load_b96 s[4:6], s[0:1], 0x48
	v_lshlrev_b32_e32 v126, 4, v120
	s_ashr_i32 s10, s8, 31
	s_ashr_i32 s11, s15, 31
	s_mul_u64 s[12:13], s[2:3], s[12:13]
	s_mulk_i32 s8, 0x60
	s_mov_b32 s3, exec_lo
	v_cmpx_gt_u32_e32 24, v120
	s_cbranch_execz .LBB48_4
; %bb.3:
	s_load_b64 s[16:17], s[0:1], 0x8
	s_wait_kmcnt 0x0
	s_mul_i32 s18, s4, s22
	s_ashr_i32 s9, s8, 31
	s_ashr_i32 s19, s18, 31
	s_delay_alu instid0(SALU_CYCLE_1) | instskip(NEXT) | instid1(SALU_CYCLE_1)
	s_lshl_b64 s[18:19], s[18:19], 2
	s_add_nc_u64 s[16:17], s[16:17], s[18:19]
	s_lshl_b64 s[18:19], s[8:9], 2
	s_delay_alu instid0(SALU_CYCLE_1)
	s_add_nc_u64 s[16:17], s[16:17], s[18:19]
	global_load_b128 v[0:3], v120, s[16:17] scale_offset
	s_wait_loadcnt 0x0
	ds_store_b128 v126, v[0:3]
.LBB48_4:
	s_or_b32 exec_lo, exec_lo, s3
	s_wait_kmcnt 0x0
	s_add_co_i32 s3, s23, 31
	s_load_b32 s4, s[0:1], 0x38
	s_ashr_i32 s9, s3, 31
	s_xor_b32 s12, s10, s11
	s_lshr_b32 s9, s9, 27
	s_mul_i32 s10, s13, s14
	s_add_co_i32 s3, s3, s9
	s_sub_co_i32 s2, s2, s10
	s_clause 0x1
	s_load_b64 s[10:11], s[0:1], 0x28
	s_load_b32 s9, s[0:1], 0x88
	s_ashr_i32 s24, s3, 5
	s_add_co_i32 s3, s13, 1
	s_sub_co_i32 s15, s2, s14
	s_cmp_ge_u32 s2, s14
	v_dual_lshrrev_b32 v0, 5, v120 :: v_dual_bitop2_b32 v1, 31, v120 bitop3:0x40
	s_cselect_b32 s3, s3, s13
	s_cselect_b32 s2, s15, s2
	s_add_co_i32 s13, s3, 1
	s_cmp_ge_u32 s2, s14
	v_dual_mov_b32 v103, 0xff7fffff :: v_dual_lshlrev_b32 v102, 2, v1
	s_cselect_b32 s2, s13, s3
	v_lshrrev_b32_e32 v127, 3, v120
	s_xor_b32 s2, s2, s12
	s_wait_dscnt 0x0
	s_sub_co_i32 s3, s2, s12
	v_cmp_gt_i32_e64 s2, s24, v0
	s_wait_kmcnt 0x0
	s_mul_i32 s12, s4, s22
	s_mul_i32 s14, s3, s6
	s_ashr_i32 s13, s12, 31
	s_barrier_signal -1
	s_clause 0x1
	scratch_store_b32 off, v0, off offset:32
	scratch_store_b32 off, v1, off offset:40
	s_barrier_wait -1
	s_wait_storecnt 0x0
	s_wait_xcnt 0x0
	s_and_saveexec_b32 s6, s2
	s_cbranch_execz .LBB48_8
; %bb.5:
	v_dual_mov_b32 v99, 0 :: v_dual_bitop2_b32 v101, 31, v120 bitop3:0x40
	s_load_b64 s[18:19], s[0:1], 0x10
	s_ashr_i32 s15, s14, 31
	s_ashr_i32 s17, s5, 31
	ds_load_b128 v[2:5], v99
	ds_load_b128 v[6:9], v99 offset:16
	ds_load_b128 v[10:13], v99 offset:32
	;; [unrolled: 1-line block ×23, first 2 shown]
	v_dual_lshlrev_b32 v98, 4, v101 :: v_dual_lshrrev_b32 v106, 5, v120
	s_lshl_b64 s[26:27], s[14:15], 2
	s_cmp_neq_f32 s25, 0
	v_mov_b32_e32 v103, 0xff7fffff
	s_mov_b32 s16, s5
	v_lshl_or_b32 v100, v106, 7, v102
	s_cselect_b32 vcc_lo, -1, 0
	v_lshl_or_b32 v104, v106, 5, v101
	s_mov_b32 s15, 0
	s_delay_alu instid0(VALU_DEP_2) | instskip(SKIP_2) | instid1(SALU_CYCLE_1)
	v_add_nc_u32_e32 v105, 0x1a0, v100
	s_wait_kmcnt 0x0
	s_add_nc_u64 s[18:19], s[18:19], s[26:27]
	v_add_nc_u64_e32 v[0:1], s[18:19], v[98:99]
	v_and_b32_e32 v98, 0x7c, v127
	s_lshl_b64 s[18:19], s[12:13], 2
	s_delay_alu instid0(SALU_CYCLE_1)
	s_add_nc_u64 s[18:19], s[10:11], s[18:19]
	s_delay_alu instid0(VALU_DEP_1) | instid1(SALU_CYCLE_1)
	v_add_nc_u64_e32 v[98:99], s[18:19], v[98:99]
	s_sub_co_i32 s18, 1, s23
.LBB48_6:                               ; =>This Inner Loop Header: Depth=1
	global_load_b32 v100, v[98:99], off
	v_cmp_gt_i32_e64 s3, s23, v104
	s_wait_xcnt 0x0
	v_add_nc_u64_e32 v[98:99], 16, v[98:99]
	s_wait_loadcnt 0x0
	v_dual_max_num_f32 v107, v103, v103 :: v_dual_ashrrev_i32 v101, 31, v100
	s_delay_alu instid0(VALU_DEP_1) | instskip(NEXT) | instid1(VALU_DEP_1)
	v_mul_u64_e32 v[100:101], s[16:17], v[100:101]
	v_lshl_add_u64 v[100:101], v[100:101], 2, v[0:1]
	global_load_b128 v[108:111], v[100:101], off offset:512
	s_wait_loadcnt_dscnt 0x16
	v_pk_mul_f32 v[112:113], v[6:7], v[108:109]
	v_pk_mul_f32 v[114:115], v[8:9], v[110:111]
	global_load_b128 v[108:111], v[100:101], off
	s_wait_loadcnt 0x0
	v_pk_fma_f32 v[116:117], v[2:3], v[108:109], v[112:113]
	v_pk_fma_f32 v[118:119], v[4:5], v[110:111], v[114:115]
	s_clause 0x1
	global_load_b128 v[108:111], v[100:101], off offset:1024
	global_load_b128 v[112:115], v[100:101], off offset:1536
	s_wait_loadcnt_dscnt 0x115
	v_pk_fma_f32 v[108:109], v[10:11], v[108:109], v[116:117]
	v_pk_fma_f32 v[110:111], v[12:13], v[110:111], v[118:119]
	s_wait_loadcnt_dscnt 0x14
	s_delay_alu instid0(VALU_DEP_2) | instskip(NEXT) | instid1(VALU_DEP_2)
	v_pk_fma_f32 v[116:117], v[14:15], v[112:113], v[108:109]
	v_pk_fma_f32 v[118:119], v[16:17], v[114:115], v[110:111]
	s_clause 0x1
	global_load_b128 v[108:111], v[100:101], off offset:2048
	global_load_b128 v[112:115], v[100:101], off offset:2560
	s_wait_loadcnt_dscnt 0x113
	v_pk_fma_f32 v[108:109], v[18:19], v[108:109], v[116:117]
	v_pk_fma_f32 v[110:111], v[20:21], v[110:111], v[118:119]
	s_wait_loadcnt_dscnt 0x12
	s_delay_alu instid0(VALU_DEP_2) | instskip(NEXT) | instid1(VALU_DEP_2)
	;; [unrolled: 10-line block ×10, first 2 shown]
	v_pk_fma_f32 v[116:117], v[86:87], v[112:113], v[108:109]
	v_pk_fma_f32 v[118:119], v[88:89], v[114:115], v[110:111]
	s_clause 0x1
	global_load_b128 v[108:111], v[100:101], off offset:11264
	global_load_b128 v[112:115], v[100:101], off offset:11776
	s_wait_loadcnt_dscnt 0x101
	s_wait_xcnt 0x0
	v_pk_fma_f32 v[100:101], v[90:91], v[108:109], v[116:117]
	v_pk_fma_f32 v[108:109], v[92:93], v[110:111], v[118:119]
	s_wait_loadcnt_dscnt 0x0
	s_delay_alu instid0(VALU_DEP_2) | instskip(NEXT) | instid1(VALU_DEP_2)
	v_pk_fma_f32 v[100:101], v[94:95], v[112:113], v[100:101]
	v_pk_fma_f32 v[108:109], v[96:97], v[114:115], v[108:109]
	s_delay_alu instid0(VALU_DEP_2) | instskip(SKIP_1) | instid1(VALU_DEP_2)
	v_dual_add_f32 v100, v100, v101 :: v_dual_add_nc_u32 v101, s18, v104
	v_add_nc_u32_e32 v104, 0x80, v104
	v_add_f32_e32 v100, v108, v100
	s_delay_alu instid0(VALU_DEP_3) | instskip(NEXT) | instid1(VALU_DEP_1)
	v_cvt_f32_i32_e32 v101, v101
	v_dual_add_f32 v100, v109, v100 :: v_dual_mul_f32 v101, s25, v101
	s_delay_alu instid0(VALU_DEP_1) | instskip(NEXT) | instid1(VALU_DEP_1)
	v_dual_cndmask_b32 v101, 0, v101 :: v_dual_add_nc_u32 v106, 4, v106
	v_fmac_f32_e32 v101, s7, v100
	s_delay_alu instid0(VALU_DEP_2) | instskip(NEXT) | instid1(VALU_DEP_2)
	v_cmp_le_i32_e64 s4, s24, v106
	v_dual_max_num_f32 v100, v107, v101 :: v_dual_cndmask_b32 v101, 0, v101, s3
	s_or_b32 s15, s4, s15
	s_delay_alu instid0(VALU_DEP_1)
	v_cndmask_b32_e64 v103, v103, v100, s3
	ds_store_b32 v105, v101
	v_add_nc_u32_e32 v105, 0x200, v105
	s_and_not1_b32 exec_lo, exec_lo, s15
	s_cbranch_execnz .LBB48_6
; %bb.7:
	s_or_b32 exec_lo, exec_lo, s15
.LBB48_8:
	s_delay_alu instid0(SALU_CYCLE_1) | instskip(SKIP_4) | instid1(VALU_DEP_1)
	s_or_b32 exec_lo, exec_lo, s6
	v_mbcnt_lo_u32_b32 v2, -1, 0
	s_clause 0x1
	s_load_b64 s[6:7], s[0:1], 0x0
	s_load_b64 s[16:17], s[0:1], 0x18
	v_dual_max_num_f32 v4, v103, v103 :: v_dual_bitop2_b32 v0, 16, v2 bitop3:0x14
	v_xor_b32_e32 v3, 8, v2
	s_delay_alu instid0(VALU_DEP_2) | instskip(SKIP_1) | instid1(VALU_DEP_3)
	v_cmp_gt_i32_e32 vcc_lo, 32, v0
	v_cndmask_b32_e32 v0, v2, v0, vcc_lo
	v_cmp_gt_i32_e32 vcc_lo, 32, v3
	s_delay_alu instid0(VALU_DEP_2) | instskip(SKIP_3) | instid1(VALU_DEP_1)
	v_dual_cndmask_b32 v3, v2, v3 :: v_dual_lshlrev_b32 v0, 2, v0
	ds_bpermute_b32 v1, v0, v103
	s_wait_dscnt 0x0
	v_dual_max_num_f32 v5, v1, v1 :: v_dual_lshlrev_b32 v1, 2, v3
	v_dual_max_num_f32 v3, v4, v5 :: v_dual_bitop2_b32 v5, 4, v2 bitop3:0x14
	ds_bpermute_b32 v4, v1, v3
	v_cmp_gt_i32_e32 vcc_lo, 32, v5
	s_wait_dscnt 0x0
	v_dual_cndmask_b32 v5, v2, v5 :: v_dual_max_num_f32 v4, v4, v4
	s_delay_alu instid0(VALU_DEP_1)
	v_dual_lshlrev_b32 v5, 2, v5 :: v_dual_max_num_f32 v3, v3, v4
	scratch_store_b32 off, v5, off offset:24 ; 4-byte Folded Spill
	ds_bpermute_b32 v4, v5, v3
	s_wait_dscnt 0x0
	s_wait_xcnt 0x0
	v_dual_max_num_f32 v4, v4, v4 :: v_dual_bitop2_b32 v5, 2, v2 bitop3:0x14
	s_delay_alu instid0(VALU_DEP_1) | instskip(NEXT) | instid1(VALU_DEP_2)
	v_cmp_gt_i32_e32 vcc_lo, 32, v5
	v_dual_max_num_f32 v3, v3, v4 :: v_dual_cndmask_b32 v5, v2, v5, vcc_lo
	s_delay_alu instid0(VALU_DEP_1) | instskip(SKIP_3) | instid1(VALU_DEP_1)
	v_dual_lshlrev_b32 v9, 2, v5 :: v_dual_bitop2_b32 v5, 1, v2 bitop3:0x14
	ds_bpermute_b32 v4, v9, v3
	v_cmp_gt_i32_e32 vcc_lo, 32, v5
	v_cndmask_b32_e32 v2, v2, v5, vcc_lo
	v_dual_lshlrev_b32 v8, 2, v2 :: v_dual_bitop2_b32 v2, 31, v120 bitop3:0x40
	s_delay_alu instid0(VALU_DEP_1) | instskip(SKIP_2) | instid1(VALU_DEP_1)
	v_cmp_eq_u32_e32 vcc_lo, 0, v2
	v_lshrrev_b32_e32 v2, 5, v120
	s_wait_dscnt 0x0
	v_dual_max_num_f32 v4, v4, v4 :: v_dual_lshlrev_b32 v2, 2, v2
	s_delay_alu instid0(VALU_DEP_1)
	v_max_num_f32_e32 v3, v3, v4
	ds_bpermute_b32 v4, v8, v3
	s_and_saveexec_b32 s0, vcc_lo
	s_cbranch_execz .LBB48_10
; %bb.9:
	s_wait_dscnt 0x0
	v_dual_max_num_f32 v4, v4, v4 :: v_dual_max_num_f32 v3, v3, v3
	s_delay_alu instid0(VALU_DEP_1)
	v_max_num_f32_e32 v3, v3, v4
	ds_store_b32 v2, v3 offset:384
.LBB48_10:
	s_or_b32 exec_lo, exec_lo, s0
	v_and_b32_e32 v3, 31, v120
	s_wait_storecnt_dscnt 0x0
	s_barrier_signal -1
	s_barrier_wait -1
	s_delay_alu instid0(VALU_DEP_1)
	v_cmp_gt_u32_e64 s0, 4, v3
	v_mov_b32_e32 v3, 0xff7fffff
	s_and_saveexec_b32 s1, s0
; %bb.11:
	ds_load_b32 v3, v102 offset:384
; %bb.12:
	s_or_b32 exec_lo, exec_lo, s1
	s_wait_dscnt 0x0
	ds_bpermute_b32 v4, v9, v3
	v_max_num_f32_e32 v3, v3, v3
	s_lshl_b32 s1, s24, 5
	s_delay_alu instid0(SALU_CYCLE_1) | instskip(NEXT) | instid1(SALU_CYCLE_1)
	s_min_i32 s4, s1, s23
	v_cmp_gt_i32_e64 s1, s4, v120
	s_wait_dscnt 0x0
	v_max_num_f32_e32 v4, v4, v4
	s_delay_alu instid0(VALU_DEP_1) | instskip(SKIP_3) | instid1(VALU_DEP_1)
	v_max_num_f32_e32 v3, v3, v4
	ds_bpermute_b32 v4, v8, v3
	s_wait_dscnt 0x0
	v_max_num_f32_e32 v4, v4, v4
	v_dual_max_num_f32 v4, v3, v4 :: v_dual_mov_b32 v3, 0
	ds_bpermute_b32 v4, v3, v4
	s_and_saveexec_b32 s15, s1
	s_cbranch_execz .LBB48_16
; %bb.13:
	v_lshl_add_u32 v5, v120, 2, 0x1a0
	v_dual_mov_b32 v3, 0 :: v_dual_mov_b32 v6, v120
	s_mov_b32 s18, 0
.LBB48_14:                              ; =>This Inner Loop Header: Depth=1
	ds_load_b32 v7, v5
	v_add_nc_u32_e32 v6, 0x80, v6
	s_delay_alu instid0(VALU_DEP_1) | instskip(SKIP_3) | instid1(VALU_DEP_1)
	v_cmp_le_i32_e64 s3, s4, v6
	s_or_b32 s18, s3, s18
	s_wait_dscnt 0x0
	v_sub_f32_e32 v7, v7, v4
	v_mul_f32_e32 v7, 0x3fb8aa3b, v7
	s_delay_alu instid0(VALU_DEP_1)
	v_exp_f32_e32 v7, v7
	ds_store_b32 v5, v7
	v_nop
	v_add_f32_e32 v3, v3, v7
	v_add_nc_u32_e32 v5, 0x200, v5
	s_and_not1_b32 exec_lo, exec_lo, s18
	s_cbranch_execnz .LBB48_14
; %bb.15:
	s_or_b32 exec_lo, exec_lo, s18
.LBB48_16:
	s_delay_alu instid0(SALU_CYCLE_1)
	s_or_b32 exec_lo, exec_lo, s15
	ds_bpermute_b32 v0, v0, v3
	s_wait_dscnt 0x0
	v_add_f32_e32 v0, v3, v0
	ds_bpermute_b32 v1, v1, v0
	s_wait_dscnt 0x0
	v_add_f32_e32 v0, v0, v1
	scratch_load_b32 v1, off, off offset:24 ; 4-byte Folded Reload
	s_wait_loadcnt 0x0
	ds_bpermute_b32 v1, v1, v0
	s_wait_dscnt 0x0
	v_add_f32_e32 v0, v0, v1
	ds_bpermute_b32 v1, v9, v0
	s_wait_dscnt 0x0
	v_add_f32_e32 v0, v0, v1
	ds_bpermute_b32 v1, v8, v0
	s_wait_dscnt 0x0
	v_add_f32_e32 v0, v0, v1
	s_and_saveexec_b32 s3, vcc_lo
; %bb.17:
	ds_store_b32 v2, v0 offset:400
; %bb.18:
	s_or_b32 exec_lo, exec_lo, s3
	s_wait_dscnt 0x0
	s_barrier_signal -1
	s_barrier_wait -1
	s_and_saveexec_b32 s3, s0
; %bb.19:
	ds_load_b32 v0, v102 offset:400
; %bb.20:
	s_or_b32 exec_lo, exec_lo, s3
	s_wait_dscnt 0x0
	ds_bpermute_b32 v1, v9, v0
	s_clause 0x1
	scratch_store_b32 off, v9, off offset:48
	scratch_store_b32 off, v8, off offset:44
	s_wait_dscnt 0x0
	v_dual_mov_b32 v103, 0 :: v_dual_add_f32 v0, v0, v1
	ds_bpermute_b32 v1, v8, v0
	s_wait_dscnt 0x0
	v_add_f32_e32 v0, v0, v1
	ds_bpermute_b32 v0, v103, v0
	s_wait_xcnt 0x0
	s_and_saveexec_b32 s0, s1
	s_cbranch_execz .LBB48_33
; %bb.21:
	s_wait_dscnt 0x0
	v_add_f32_e32 v0, 0x358637bd, v0
	s_mov_b32 s3, -1
	s_mov_b32 s1, exec_lo
	s_delay_alu instid0(VALU_DEP_1) | instskip(NEXT) | instid1(VALU_DEP_1)
	v_div_scale_f32 v1, null, v0, v0, 1.0
	v_rcp_f32_e32 v3, v1
	v_nop
	s_delay_alu instid0(TRANS32_DEP_1) | instskip(NEXT) | instid1(VALU_DEP_1)
	v_fma_f32 v2, -v1, v3, 1.0
	v_fmac_f32_e32 v3, v2, v3
	v_div_scale_f32 v4, vcc_lo, 1.0, v0, 1.0
	s_delay_alu instid0(VALU_DEP_1) | instskip(NEXT) | instid1(VALU_DEP_1)
	v_mul_f32_e32 v5, v4, v3
	v_fma_f32 v2, -v1, v5, v4
	s_delay_alu instid0(VALU_DEP_1) | instskip(SKIP_1) | instid1(VALU_DEP_2)
	v_fmac_f32_e32 v5, v2, v3
	v_xad_u32 v2, v120, -1, s4
	v_fma_f32 v1, -v1, v5, v4
	s_delay_alu instid0(VALU_DEP_1) | instskip(NEXT) | instid1(VALU_DEP_1)
	v_div_fmas_f32 v1, v1, v3, v5
	v_div_fixup_f32 v0, v1, v0, 1.0
	v_mov_b32_e32 v1, v120
	v_cmpx_lt_u32_e32 0x7f, v2
	s_cbranch_execz .LBB48_30
; %bb.22:
	s_delay_alu instid0(VALU_DEP_3) | instskip(NEXT) | instid1(VALU_DEP_1)
	v_dual_mov_b32 v1, v0 :: v_dual_lshrrev_b32 v2, 7, v2
	v_dual_mov_b32 v6, 0 :: v_dual_add_nc_u32 v3, -1, v2
	s_delay_alu instid0(VALU_DEP_1) | instskip(SKIP_1) | instid1(VALU_DEP_2)
	v_lshrrev_b32_e32 v4, 1, v3
	v_cmp_lt_u32_e32 vcc_lo, 13, v3
	v_add_nc_u32_e32 v3, 1, v4
	s_and_saveexec_b32 s3, vcc_lo
	s_cbranch_execz .LBB48_26
; %bb.23:
	s_delay_alu instid0(VALU_DEP_1)
	v_and_b32_e32 v4, -8, v3
	v_lshl_add_u32 v5, v120, 2, 0x1a0
	s_mov_b32 s15, 0
	s_mov_b32 s18, 0
.LBB48_24:                              ; =>This Inner Loop Header: Depth=1
	ds_load_2addr_stride64_b32 v[6:7], v5 offset1:2
	ds_load_2addr_stride64_b32 v[8:9], v5 offset0:4 offset1:6
	ds_load_2addr_stride64_b32 v[10:11], v5 offset0:8 offset1:10
	;; [unrolled: 1-line block ×7, first 2 shown]
	s_add_co_i32 s18, s18, 16
	v_add_nc_u32_e32 v4, -8, v4
	s_wait_dscnt 0x7
	v_pk_mul_f32 v[6:7], v[0:1], v[6:7]
	s_wait_dscnt 0x6
	v_pk_mul_f32 v[8:9], v[0:1], v[8:9]
	;; [unrolled: 2-line block ×8, first 2 shown]
	ds_store_2addr_stride64_b32 v5, v6, v7 offset1:2
	ds_store_2addr_stride64_b32 v5, v8, v9 offset0:4 offset1:6
	ds_store_2addr_stride64_b32 v5, v10, v11 offset0:8 offset1:10
	;; [unrolled: 1-line block ×7, first 2 shown]
	v_mov_b32_e32 v6, s18
	v_cmp_eq_u32_e32 vcc_lo, 0, v4
	v_add_nc_u32_e32 v5, 0x2000, v5
	s_or_b32 s15, vcc_lo, s15
	s_delay_alu instid0(SALU_CYCLE_1)
	s_and_not1_b32 exec_lo, exec_lo, s15
	s_cbranch_execnz .LBB48_24
; %bb.25:
	s_or_b32 exec_lo, exec_lo, s15
.LBB48_26:
	s_delay_alu instid0(SALU_CYCLE_1) | instskip(NEXT) | instid1(VALU_DEP_1)
	s_or_b32 exec_lo, exec_lo, s3
	v_and_b32_e32 v3, 7, v3
	s_mov_b32 s15, 0
	s_mov_b32 s3, exec_lo
	s_delay_alu instid0(VALU_DEP_1)
	v_cmpx_ne_u32_e32 0, v3
	s_cbranch_execz .LBB48_29
; %bb.27:
	v_dual_lshlrev_b32 v4, 9, v6 :: v_dual_lshlrev_b32 v5, 2, v120
	s_delay_alu instid0(VALU_DEP_1)
	v_add3_u32 v4, v4, v5, 0x1a0
.LBB48_28:                              ; =>This Inner Loop Header: Depth=1
	ds_load_2addr_stride64_b32 v[6:7], v4 offset1:2
	v_add_nc_u32_e32 v3, -1, v3
	s_delay_alu instid0(VALU_DEP_1)
	v_cmp_eq_u32_e32 vcc_lo, 0, v3
	s_or_b32 s15, vcc_lo, s15
	s_wait_dscnt 0x0
	v_pk_mul_f32 v[6:7], v[0:1], v[6:7]
	ds_store_2addr_stride64_b32 v4, v6, v7 offset1:2
	v_add_nc_u32_e32 v4, 0x400, v4
	s_and_not1_b32 exec_lo, exec_lo, s15
	s_cbranch_execnz .LBB48_28
.LBB48_29:
	s_or_b32 exec_lo, exec_lo, s3
	v_add_nc_u32_e32 v1, 1, v2
	s_delay_alu instid0(VALU_DEP_1) | instskip(NEXT) | instid1(VALU_DEP_1)
	v_and_b32_e32 v2, 0x3fffffe, v1
	v_cmp_ne_u32_e32 vcc_lo, v1, v2
	v_lshl_add_u32 v1, v2, 7, v120
	s_or_not1_b32 s3, vcc_lo, exec_lo
.LBB48_30:
	s_or_b32 exec_lo, exec_lo, s1
	s_delay_alu instid0(SALU_CYCLE_1)
	s_and_b32 exec_lo, exec_lo, s3
	s_cbranch_execz .LBB48_33
; %bb.31:
	v_lshl_add_u32 v2, v1, 2, 0x1a0
	s_mov_b32 s1, 0
.LBB48_32:                              ; =>This Inner Loop Header: Depth=1
	ds_load_b32 v3, v2
	v_add_nc_u32_e32 v1, 0x80, v1
	s_delay_alu instid0(VALU_DEP_1)
	v_cmp_le_i32_e32 vcc_lo, s4, v1
	s_or_b32 s1, vcc_lo, s1
	s_wait_dscnt 0x0
	v_mul_f32_e32 v3, v0, v3
	ds_store_b32 v2, v3
	v_add_nc_u32_e32 v2, 0x200, v2
	s_and_not1_b32 exec_lo, exec_lo, s1
	s_cbranch_execnz .LBB48_32
.LBB48_33:
	s_or_b32 exec_lo, exec_lo, s0
	s_wait_dscnt 0x0
	v_dual_mov_b32 v102, 0 :: v_dual_bitop2_b32 v0, 7, v120 bitop3:0x40
	scratch_store_b32 off, v120, off offset:28 ; 4-byte Folded Spill
	v_dual_mov_b32 v105, 0 :: v_dual_mov_b32 v104, 0
	v_dual_mov_b32 v107, 0 :: v_dual_mov_b32 v106, 0
	;; [unrolled: 1-line block ×8, first 2 shown]
	s_wait_xcnt 0x0
	v_dual_mov_b32 v121, 0 :: v_dual_mov_b32 v120, 0
	v_dual_mov_b32 v123, 0 :: v_dual_mov_b32 v122, 0
	;; [unrolled: 1-line block ×3, first 2 shown]
	scratch_store_b32 off, v0, off offset:36 ; 4-byte Folded Spill
	s_wait_storecnt 0x0
	s_barrier_signal -1
	s_barrier_wait -1
	s_wait_xcnt 0x0
	s_and_saveexec_b32 s4, s2
	s_cbranch_execz .LBB48_85
; %bb.34:
	s_ashr_i32 s15, s14, 31
	v_and_b32_e32 v102, 0x1f0, v126
	v_mov_b32_e32 v103, 0
	s_lshl_b64 s[0:1], s[14:15], 2
	s_clause 0x1
	scratch_load_b32 v0, off, off offset:28
	scratch_load_b32 v1, off, off offset:36
	s_wait_kmcnt 0x0
	s_add_nc_u64 s[0:1], s[16:17], s[0:1]
	s_ashr_i32 s3, s5, 31
	v_add_nc_u64_e32 v[2:3], s[0:1], v[102:103]
	v_and_b32_e32 v102, 0x7c, v127
	s_lshl_b64 s[0:1], s[12:13], 2
	s_mov_b32 s2, s5
	s_add_nc_u64 s[0:1], s[10:11], s[0:1]
	s_add_co_i32 s5, s24, -1
	s_mov_b32 s11, s23
	s_clause 0x1
	scratch_store_b64 off, v[2:3], off offset:16
	scratch_load_b32 v2, off, off offset:32
	s_mov_b32 s10, 0
	s_wait_loadcnt 0x1
	v_dual_lshlrev_b32 v0, 2, v0 :: v_dual_lshlrev_b32 v1, 4, v1
	s_delay_alu instid0(VALU_DEP_1)
	v_and_b32_e32 v0, 28, v0
	v_add_nc_u64_e32 v[4:5], s[0:1], v[102:103]
	v_dual_mov_b32 v105, v103 :: v_dual_mov_b32 v104, v103
	v_dual_mov_b32 v107, v103 :: v_dual_mov_b32 v106, v103
	;; [unrolled: 1-line block ×3, first 2 shown]
	s_wait_loadcnt 0x0
	v_lshl_or_b32 v1, v2, 7, v1
	v_lshl_or_b32 v0, v2, 5, v0
	v_dual_mov_b32 v102, v103 :: v_dual_mov_b32 v111, v103
	s_delay_alu instid0(VALU_DEP_3)
	v_dual_mov_b32 v110, v103 :: v_dual_add_nc_u32 v1, 0x1a0, v1
	v_dual_mov_b32 v113, v103 :: v_dual_mov_b32 v112, v103
	v_dual_mov_b32 v115, v103 :: v_dual_mov_b32 v114, v103
	;; [unrolled: 1-line block ×7, first 2 shown]
	v_mov_b32_e32 v3, v2
	s_branch .LBB48_36
.LBB48_35:                              ;   in Loop: Header=BB48_36 Depth=1
	s_or_b32 exec_lo, exec_lo, s1
	s_wait_loadcnt_dscnt 0x200
	v_mul_f32_e32 v94, v6, v94
	s_wait_loadcnt 0x1
	v_mul_f32_e32 v1, v6, v98
	v_mul_f32_e32 v90, v6, v90
	;; [unrolled: 1-line block ×3, first 2 shown]
	v_dual_mul_f32 v78, v6, v78 :: v_dual_fmac_f32 v94, v7, v95
	s_delay_alu instid0(VALU_DEP_4) | instskip(NEXT) | instid1(VALU_DEP_4)
	v_fmac_f32_e32 v1, v7, v99
	v_dual_fmac_f32 v90, v7, v91 :: v_dual_mul_f32 v58, v6, v58
	s_delay_alu instid0(VALU_DEP_3) | instskip(NEXT) | instid1(VALU_DEP_4)
	v_fmac_f32_e32 v78, v7, v79
	v_fmac_f32_e32 v94, v8, v96
	s_delay_alu instid0(VALU_DEP_4) | instskip(NEXT) | instid1(VALU_DEP_4)
	v_fmac_f32_e32 v1, v8, v100
	v_dual_fmac_f32 v90, v8, v92 :: v_dual_mul_f32 v38, v6, v38
	s_delay_alu instid0(VALU_DEP_3) | instskip(NEXT) | instid1(VALU_DEP_3)
	v_dual_mul_f32 v30, v6, v30 :: v_dual_fmac_f32 v94, v9, v97
	v_dual_fmac_f32 v1, v9, v101 :: v_dual_fmac_f32 v86, v7, v87
	s_delay_alu instid0(VALU_DEP_3) | instskip(NEXT) | instid1(VALU_DEP_3)
	v_fmac_f32_e32 v90, v9, v93
	v_dual_fmac_f32 v38, v7, v39 :: v_dual_add_f32 v105, v105, v94
	s_delay_alu instid0(VALU_DEP_3) | instskip(SKIP_4) | instid1(VALU_DEP_4)
	v_dual_add_f32 v102, v102, v1 :: v_dual_fmac_f32 v86, v8, v88
	v_mul_f32_e32 v1, v6, v74
	v_mul_f32_e32 v70, v6, v70
	v_add_f32_e32 v104, v104, v90
	v_fmac_f32_e32 v78, v8, v80
	v_dual_fmac_f32 v86, v9, v89 :: v_dual_fmac_f32 v1, v7, v75
	s_delay_alu instid0(VALU_DEP_4) | instskip(SKIP_1) | instid1(VALU_DEP_3)
	v_dual_mul_f32 v66, v6, v66 :: v_dual_fmac_f32 v70, v7, v71
	v_mul_f32_e32 v62, v6, v62
	v_dual_add_f32 v107, v107, v86 :: v_dual_fmac_f32 v78, v9, v81
	s_delay_alu instid0(VALU_DEP_3) | instskip(NEXT) | instid1(VALU_DEP_3)
	v_dual_fmac_f32 v1, v8, v76 :: v_dual_fmac_f32 v66, v7, v67
	v_fmac_f32_e32 v62, v7, v63
	s_delay_alu instid0(VALU_DEP_3) | instskip(NEXT) | instid1(VALU_DEP_3)
	v_dual_fmac_f32 v70, v8, v72 :: v_dual_add_f32 v106, v106, v78
	v_dual_fmac_f32 v1, v9, v77 :: v_dual_fmac_f32 v66, v8, v68
	s_delay_alu instid0(VALU_DEP_3) | instskip(NEXT) | instid1(VALU_DEP_2)
	v_dual_fmac_f32 v62, v8, v64 :: v_dual_mul_f32 v26, v6, v26
	v_dual_fmac_f32 v38, v8, v40 :: v_dual_add_f32 v109, v109, v1
	s_delay_alu instid0(VALU_DEP_2) | instskip(SKIP_1) | instid1(VALU_DEP_2)
	v_dual_mul_f32 v1, v6, v54 :: v_dual_fmac_f32 v62, v9, v65
	v_dual_fmac_f32 v58, v7, v59 :: v_dual_mul_f32 v46, v6, v46
	v_dual_fmac_f32 v66, v9, v69 :: v_dual_fmac_f32 v1, v7, v55
	s_delay_alu instid0(VALU_DEP_3) | instskip(NEXT) | instid1(VALU_DEP_3)
	v_add_f32_e32 v110, v110, v62
	v_dual_mul_f32 v50, v6, v50 :: v_dual_fmac_f32 v58, v8, v60
	s_delay_alu instid0(VALU_DEP_4) | instskip(NEXT) | instid1(VALU_DEP_2)
	v_dual_mul_f32 v42, v6, v42 :: v_dual_fmac_f32 v46, v7, v47
	v_dual_fmac_f32 v1, v8, v56 :: v_dual_fmac_f32 v50, v7, v51
	s_delay_alu instid0(VALU_DEP_3) | instskip(NEXT) | instid1(VALU_DEP_3)
	v_fmac_f32_e32 v58, v9, v61
	v_fmac_f32_e32 v42, v7, v43
	v_dual_fmac_f32 v70, v9, v73 :: v_dual_add_f32 v111, v111, v66
	s_delay_alu instid0(VALU_DEP_4) | instskip(NEXT) | instid1(VALU_DEP_4)
	v_dual_fmac_f32 v50, v8, v52 :: v_dual_fmac_f32 v1, v9, v57
	v_add_f32_e32 v113, v113, v58
	s_delay_alu instid0(VALU_DEP_3) | instskip(NEXT) | instid1(VALU_DEP_3)
	v_dual_add_f32 v108, v108, v70 :: v_dual_fmac_f32 v38, v9, v41
	v_fmac_f32_e32 v50, v9, v53
	s_delay_alu instid0(VALU_DEP_4) | instskip(SKIP_1) | instid1(VALU_DEP_3)
	v_dual_add_f32 v112, v112, v1 :: v_dual_mul_f32 v1, v6, v34
	v_dual_fmac_f32 v46, v8, v48 :: v_dual_mul_f32 v22, v6, v22
	v_dual_add_f32 v115, v115, v50 :: v_dual_add_nc_u32 v0, 0x80, v0
	s_delay_alu instid0(VALU_DEP_2) | instskip(SKIP_1) | instid1(VALU_DEP_2)
	v_dual_fmac_f32 v1, v7, v35 :: v_dual_fmac_f32 v46, v9, v49
	v_fmac_f32_e32 v42, v8, v44
	v_dual_fmac_f32 v30, v7, v31 :: v_dual_fmac_f32 v1, v8, v36
	s_delay_alu instid0(VALU_DEP_2) | instskip(SKIP_2) | instid1(VALU_DEP_3)
	v_dual_add_f32 v114, v114, v46 :: v_dual_fmac_f32 v42, v9, v45
	v_dual_fmac_f32 v22, v7, v23 :: v_dual_mul_f32 v23, v6, v18
	v_dual_fmac_f32 v26, v7, v27 :: v_dual_add_f32 v116, v116, v38
	v_add_f32_e32 v117, v117, v42
	v_dual_fmac_f32 v1, v9, v37 :: v_dual_fmac_f32 v30, v8, v32
	s_delay_alu instid0(VALU_DEP_4) | instskip(SKIP_2) | instid1(VALU_DEP_3)
	v_dual_fmac_f32 v23, v7, v19 :: v_dual_mul_f32 v10, v6, v10
	s_wait_loadcnt 0x0
	v_pk_mul_f32 v[18:19], v[6:7], v[82:83]
	v_add_f32_e32 v119, v119, v1
	v_fmac_f32_e32 v30, v9, v33
	v_dual_fmac_f32 v26, v8, v28 :: v_dual_mul_f32 v1, v6, v14
	v_dual_mul_f32 v14, v6, v2 :: v_dual_fmac_f32 v23, v8, v20
	s_delay_alu instid0(VALU_DEP_2) | instskip(NEXT) | instid1(VALU_DEP_3)
	v_dual_add_f32 v118, v118, v30 :: v_dual_fmac_f32 v26, v9, v29
	v_dual_fmac_f32 v22, v8, v24 :: v_dual_fmac_f32 v1, v7, v15
	s_delay_alu instid0(VALU_DEP_3) | instskip(NEXT) | instid1(VALU_DEP_3)
	v_dual_fmac_f32 v10, v7, v11 :: v_dual_fmac_f32 v23, v9, v21
	v_add_f32_e32 v121, v121, v26
	s_delay_alu instid0(VALU_DEP_3) | instskip(NEXT) | instid1(VALU_DEP_4)
	v_fmac_f32_e32 v22, v9, v25
	v_dual_fmac_f32 v14, v7, v3 :: v_dual_fmac_f32 v1, v8, v16
	v_pk_mul_f32 v[2:3], v[8:9], v[84:85]
	v_dual_add_f32 v6, v19, v18 :: v_dual_fmac_f32 v10, v8, v12
	s_delay_alu instid0(VALU_DEP_3) | instskip(NEXT) | instid1(VALU_DEP_2)
	v_dual_fmac_f32 v14, v8, v4 :: v_dual_add_f32 v123, v123, v23
	v_dual_fmac_f32 v1, v9, v17 :: v_dual_add_f32 v2, v2, v6
	s_delay_alu instid0(VALU_DEP_3) | instskip(NEXT) | instid1(VALU_DEP_2)
	v_dual_fmac_f32 v10, v9, v13 :: v_dual_add_f32 v120, v120, v22
	v_add_f32_e32 v2, v3, v2
	scratch_load_b32 v3, off, off offset:12 th:TH_LOAD_LU ; 4-byte Folded Reload
	v_fmac_f32_e32 v14, v9, v5
	scratch_load_b64 v[4:5], off, off offset:4 th:TH_LOAD_LU ; 8-byte Folded Reload
	v_dual_add_f32 v122, v122, v1 :: v_dual_add_f32 v125, v125, v10
	scratch_load_b32 v1, off, off th:TH_LOAD_LU ; 4-byte Folded Reload
	s_wait_loadcnt 0x2
	v_dual_add_f32 v103, v103, v2 :: v_dual_add_nc_u32 v3, 4, v3
	v_add_f32_e32 v124, v124, v14
	s_wait_loadcnt 0x1
	v_add_nc_u64_e32 v[4:5], 16, v[4:5]
	s_delay_alu instid0(VALU_DEP_3)
	v_cmp_le_i32_e32 vcc_lo, s24, v3
	s_wait_loadcnt 0x0
	v_add_nc_u32_e32 v1, 0x200, v1
	s_or_b32 s10, vcc_lo, s10
	s_wait_xcnt 0x0
	s_and_not1_b32 exec_lo, exec_lo, s10
	s_cbranch_execz .LBB48_84
.LBB48_36:                              ; =>This Inner Loop Header: Depth=1
	global_load_b32 v2, v[4:5], off
	v_mov_b32_e32 v10, v3
	ds_load_b128 v[6:9], v1
	v_or_b32_e32 v127, 2, v0
	scratch_store_b32 off, v1, off          ; 4-byte Folded Spill
	s_wait_xcnt 0x0
	v_dual_add_nc_u32 v1, 1, v0 :: v_dual_bitop2_b32 v126, 3, v0 bitop3:0x54
	s_wait_loadcnt 0x0
	v_ashrrev_i32_e32 v3, 31, v2
	s_clause 0x2
	scratch_store_b64 off, v[4:5], off offset:4
	scratch_store_b32 off, v10, off offset:12
	scratch_load_b64 v[4:5], off, off offset:16
	v_cmp_eq_u32_e32 vcc_lo, s5, v10
	v_mul_u64_e32 v[2:3], s[2:3], v[2:3]
	s_wait_loadcnt 0x0
	s_delay_alu instid0(VALU_DEP_1)
	v_lshl_add_u64 v[82:83], v[2:3], 2, v[4:5]
	global_load_b128 v[2:5], v[82:83], off
	s_wait_xcnt 0x0
	s_and_saveexec_b32 s1, vcc_lo
	s_cbranch_execnz .LBB48_60
; %bb.37:                               ;   in Loop: Header=BB48_36 Depth=1
	s_or_b32 exec_lo, exec_lo, s1
	global_load_b128 v[10:13], v[82:83], off offset:512
	s_wait_xcnt 0x0
	s_and_saveexec_b32 s1, vcc_lo
	s_cbranch_execnz .LBB48_61
.LBB48_38:                              ;   in Loop: Header=BB48_36 Depth=1
	s_or_b32 exec_lo, exec_lo, s1
	global_load_b128 v[14:17], v[82:83], off offset:1024
	s_wait_xcnt 0x0
	s_and_saveexec_b32 s1, vcc_lo
	s_cbranch_execnz .LBB48_62
.LBB48_39:                              ;   in Loop: Header=BB48_36 Depth=1
	s_or_b32 exec_lo, exec_lo, s1
	global_load_b128 v[18:21], v[82:83], off offset:1536
	s_wait_xcnt 0x0
	s_and_saveexec_b32 s1, vcc_lo
	s_cbranch_execnz .LBB48_63
.LBB48_40:                              ;   in Loop: Header=BB48_36 Depth=1
	s_or_b32 exec_lo, exec_lo, s1
	global_load_b128 v[22:25], v[82:83], off offset:2048
	s_wait_xcnt 0x0
	s_and_saveexec_b32 s1, vcc_lo
	s_cbranch_execnz .LBB48_64
.LBB48_41:                              ;   in Loop: Header=BB48_36 Depth=1
	s_or_b32 exec_lo, exec_lo, s1
	global_load_b128 v[26:29], v[82:83], off offset:2560
	s_wait_xcnt 0x0
	s_and_saveexec_b32 s1, vcc_lo
	s_cbranch_execnz .LBB48_65
.LBB48_42:                              ;   in Loop: Header=BB48_36 Depth=1
	s_or_b32 exec_lo, exec_lo, s1
	global_load_b128 v[30:33], v[82:83], off offset:3072
	s_wait_xcnt 0x0
	s_and_saveexec_b32 s1, vcc_lo
	s_cbranch_execnz .LBB48_66
.LBB48_43:                              ;   in Loop: Header=BB48_36 Depth=1
	s_or_b32 exec_lo, exec_lo, s1
	global_load_b128 v[34:37], v[82:83], off offset:3584
	s_wait_xcnt 0x0
	s_and_saveexec_b32 s1, vcc_lo
	s_cbranch_execnz .LBB48_67
.LBB48_44:                              ;   in Loop: Header=BB48_36 Depth=1
	s_or_b32 exec_lo, exec_lo, s1
	global_load_b128 v[38:41], v[82:83], off offset:4096
	s_wait_xcnt 0x0
	s_and_saveexec_b32 s1, vcc_lo
	s_cbranch_execnz .LBB48_68
.LBB48_45:                              ;   in Loop: Header=BB48_36 Depth=1
	s_or_b32 exec_lo, exec_lo, s1
	global_load_b128 v[42:45], v[82:83], off offset:4608
	s_wait_xcnt 0x0
	s_and_saveexec_b32 s1, vcc_lo
	s_cbranch_execnz .LBB48_69
.LBB48_46:                              ;   in Loop: Header=BB48_36 Depth=1
	s_or_b32 exec_lo, exec_lo, s1
	global_load_b128 v[46:49], v[82:83], off offset:5120
	s_wait_xcnt 0x0
	s_and_saveexec_b32 s1, vcc_lo
	s_cbranch_execnz .LBB48_70
.LBB48_47:                              ;   in Loop: Header=BB48_36 Depth=1
	s_or_b32 exec_lo, exec_lo, s1
	global_load_b128 v[50:53], v[82:83], off offset:5632
	s_wait_xcnt 0x0
	s_and_saveexec_b32 s1, vcc_lo
	s_cbranch_execnz .LBB48_71
.LBB48_48:                              ;   in Loop: Header=BB48_36 Depth=1
	s_or_b32 exec_lo, exec_lo, s1
	global_load_b128 v[54:57], v[82:83], off offset:6144
	s_wait_xcnt 0x0
	s_and_saveexec_b32 s1, vcc_lo
	s_cbranch_execnz .LBB48_72
.LBB48_49:                              ;   in Loop: Header=BB48_36 Depth=1
	s_or_b32 exec_lo, exec_lo, s1
	global_load_b128 v[58:61], v[82:83], off offset:6656
	s_wait_xcnt 0x0
	s_and_saveexec_b32 s1, vcc_lo
	s_cbranch_execnz .LBB48_73
.LBB48_50:                              ;   in Loop: Header=BB48_36 Depth=1
	s_or_b32 exec_lo, exec_lo, s1
	global_load_b128 v[62:65], v[82:83], off offset:7168
	s_wait_xcnt 0x0
	s_and_saveexec_b32 s1, vcc_lo
	s_cbranch_execnz .LBB48_74
.LBB48_51:                              ;   in Loop: Header=BB48_36 Depth=1
	s_or_b32 exec_lo, exec_lo, s1
	global_load_b128 v[66:69], v[82:83], off offset:7680
	s_wait_xcnt 0x0
	s_and_saveexec_b32 s1, vcc_lo
	s_cbranch_execnz .LBB48_75
.LBB48_52:                              ;   in Loop: Header=BB48_36 Depth=1
	s_or_b32 exec_lo, exec_lo, s1
	global_load_b128 v[70:73], v[82:83], off offset:8192
	s_wait_xcnt 0x0
	s_and_saveexec_b32 s1, vcc_lo
	s_cbranch_execnz .LBB48_76
.LBB48_53:                              ;   in Loop: Header=BB48_36 Depth=1
	s_or_b32 exec_lo, exec_lo, s1
	global_load_b128 v[74:77], v[82:83], off offset:8704
	s_wait_xcnt 0x0
	s_and_saveexec_b32 s1, vcc_lo
	s_cbranch_execnz .LBB48_77
.LBB48_54:                              ;   in Loop: Header=BB48_36 Depth=1
	s_or_b32 exec_lo, exec_lo, s1
	global_load_b128 v[78:81], v[82:83], off offset:9216
	s_wait_xcnt 0x0
	s_and_saveexec_b32 s1, vcc_lo
	s_cbranch_execnz .LBB48_78
.LBB48_55:                              ;   in Loop: Header=BB48_36 Depth=1
	s_or_b32 exec_lo, exec_lo, s1
	global_load_b128 v[86:89], v[82:83], off offset:9728
	s_wait_xcnt 0x0
	s_and_saveexec_b32 s1, vcc_lo
	s_cbranch_execnz .LBB48_79
.LBB48_56:                              ;   in Loop: Header=BB48_36 Depth=1
	s_or_b32 exec_lo, exec_lo, s1
	global_load_b128 v[90:93], v[82:83], off offset:10240
	s_wait_xcnt 0x0
	s_and_saveexec_b32 s12, vcc_lo
	s_cbranch_execnz .LBB48_80
.LBB48_57:                              ;   in Loop: Header=BB48_36 Depth=1
	s_or_b32 exec_lo, exec_lo, s12
	global_load_b128 v[94:97], v[82:83], off offset:10752
	s_wait_xcnt 0x0
	s_and_saveexec_b32 s12, vcc_lo
	s_cbranch_execnz .LBB48_81
.LBB48_58:                              ;   in Loop: Header=BB48_36 Depth=1
	s_or_b32 exec_lo, exec_lo, s12
	global_load_b128 v[98:101], v[82:83], off offset:11264
	s_wait_xcnt 0x0
	s_and_saveexec_b32 s12, vcc_lo
	s_cbranch_execnz .LBB48_82
.LBB48_59:                              ;   in Loop: Header=BB48_36 Depth=1
	s_or_b32 exec_lo, exec_lo, s12
	global_load_b128 v[82:85], v[82:83], off offset:11776
	s_wait_xcnt 0x0
	s_and_saveexec_b32 s1, vcc_lo
	s_cbranch_execz .LBB48_35
	s_branch .LBB48_83
.LBB48_60:                              ;   in Loop: Header=BB48_36 Depth=1
	v_cmp_gt_i32_e64 s0, s11, v1
	s_wait_loadcnt 0x0
	s_delay_alu instid0(VALU_DEP_1) | instskip(SKIP_1) | instid1(VALU_DEP_1)
	v_cndmask_b32_e64 v3, 0, v3, s0
	v_cmp_gt_i32_e64 s0, s23, v0
	v_cndmask_b32_e64 v2, 0, v2, s0
	v_cmp_gt_i32_e64 s0, s11, v126
	s_delay_alu instid0(VALU_DEP_1) | instskip(SKIP_1) | instid1(VALU_DEP_1)
	v_cndmask_b32_e64 v5, 0, v5, s0
	v_cmp_gt_i32_e64 s0, s23, v127
	v_cndmask_b32_e64 v4, 0, v4, s0
	s_or_b32 exec_lo, exec_lo, s1
	global_load_b128 v[10:13], v[82:83], off offset:512
	s_wait_xcnt 0x0
	s_and_saveexec_b32 s1, vcc_lo
	s_cbranch_execz .LBB48_38
.LBB48_61:                              ;   in Loop: Header=BB48_36 Depth=1
	v_cmp_gt_i32_e64 s0, s11, v1
	s_wait_loadcnt 0x0
	s_delay_alu instid0(VALU_DEP_1) | instskip(SKIP_1) | instid1(VALU_DEP_1)
	v_cndmask_b32_e64 v11, 0, v11, s0
	v_cmp_gt_i32_e64 s0, s23, v0
	v_cndmask_b32_e64 v10, 0, v10, s0
	v_cmp_gt_i32_e64 s0, s11, v126
	s_delay_alu instid0(VALU_DEP_1) | instskip(SKIP_1) | instid1(VALU_DEP_1)
	v_cndmask_b32_e64 v13, 0, v13, s0
	v_cmp_gt_i32_e64 s0, s23, v127
	v_cndmask_b32_e64 v12, 0, v12, s0
	s_or_b32 exec_lo, exec_lo, s1
	global_load_b128 v[14:17], v[82:83], off offset:1024
	s_wait_xcnt 0x0
	s_and_saveexec_b32 s1, vcc_lo
	s_cbranch_execz .LBB48_39
.LBB48_62:                              ;   in Loop: Header=BB48_36 Depth=1
	v_cmp_gt_i32_e64 s0, s11, v1
	s_wait_loadcnt 0x0
	s_delay_alu instid0(VALU_DEP_1) | instskip(SKIP_1) | instid1(VALU_DEP_1)
	v_cndmask_b32_e64 v15, 0, v15, s0
	v_cmp_gt_i32_e64 s0, s23, v0
	v_cndmask_b32_e64 v14, 0, v14, s0
	v_cmp_gt_i32_e64 s0, s11, v126
	s_delay_alu instid0(VALU_DEP_1) | instskip(SKIP_1) | instid1(VALU_DEP_1)
	v_cndmask_b32_e64 v17, 0, v17, s0
	v_cmp_gt_i32_e64 s0, s23, v127
	v_cndmask_b32_e64 v16, 0, v16, s0
	s_or_b32 exec_lo, exec_lo, s1
	global_load_b128 v[18:21], v[82:83], off offset:1536
	s_wait_xcnt 0x0
	s_and_saveexec_b32 s1, vcc_lo
	s_cbranch_execz .LBB48_40
.LBB48_63:                              ;   in Loop: Header=BB48_36 Depth=1
	v_cmp_gt_i32_e64 s0, s11, v1
	s_wait_loadcnt 0x0
	s_delay_alu instid0(VALU_DEP_1) | instskip(SKIP_1) | instid1(VALU_DEP_1)
	v_cndmask_b32_e64 v19, 0, v19, s0
	v_cmp_gt_i32_e64 s0, s23, v0
	v_cndmask_b32_e64 v18, 0, v18, s0
	v_cmp_gt_i32_e64 s0, s11, v126
	s_delay_alu instid0(VALU_DEP_1) | instskip(SKIP_1) | instid1(VALU_DEP_1)
	v_cndmask_b32_e64 v21, 0, v21, s0
	v_cmp_gt_i32_e64 s0, s23, v127
	v_cndmask_b32_e64 v20, 0, v20, s0
	s_or_b32 exec_lo, exec_lo, s1
	global_load_b128 v[22:25], v[82:83], off offset:2048
	s_wait_xcnt 0x0
	s_and_saveexec_b32 s1, vcc_lo
	s_cbranch_execz .LBB48_41
.LBB48_64:                              ;   in Loop: Header=BB48_36 Depth=1
	v_cmp_gt_i32_e64 s0, s11, v1
	s_wait_loadcnt 0x0
	s_delay_alu instid0(VALU_DEP_1) | instskip(SKIP_1) | instid1(VALU_DEP_1)
	v_cndmask_b32_e64 v23, 0, v23, s0
	v_cmp_gt_i32_e64 s0, s23, v0
	v_cndmask_b32_e64 v22, 0, v22, s0
	v_cmp_gt_i32_e64 s0, s11, v126
	s_delay_alu instid0(VALU_DEP_1) | instskip(SKIP_1) | instid1(VALU_DEP_1)
	v_cndmask_b32_e64 v25, 0, v25, s0
	v_cmp_gt_i32_e64 s0, s23, v127
	v_cndmask_b32_e64 v24, 0, v24, s0
	s_or_b32 exec_lo, exec_lo, s1
	global_load_b128 v[26:29], v[82:83], off offset:2560
	s_wait_xcnt 0x0
	s_and_saveexec_b32 s1, vcc_lo
	s_cbranch_execz .LBB48_42
.LBB48_65:                              ;   in Loop: Header=BB48_36 Depth=1
	v_cmp_gt_i32_e64 s0, s11, v1
	s_wait_loadcnt 0x0
	s_delay_alu instid0(VALU_DEP_1) | instskip(SKIP_1) | instid1(VALU_DEP_1)
	v_cndmask_b32_e64 v27, 0, v27, s0
	v_cmp_gt_i32_e64 s0, s23, v0
	v_cndmask_b32_e64 v26, 0, v26, s0
	v_cmp_gt_i32_e64 s0, s11, v126
	s_delay_alu instid0(VALU_DEP_1) | instskip(SKIP_1) | instid1(VALU_DEP_1)
	v_cndmask_b32_e64 v29, 0, v29, s0
	v_cmp_gt_i32_e64 s0, s23, v127
	v_cndmask_b32_e64 v28, 0, v28, s0
	s_or_b32 exec_lo, exec_lo, s1
	global_load_b128 v[30:33], v[82:83], off offset:3072
	s_wait_xcnt 0x0
	s_and_saveexec_b32 s1, vcc_lo
	s_cbranch_execz .LBB48_43
.LBB48_66:                              ;   in Loop: Header=BB48_36 Depth=1
	v_cmp_gt_i32_e64 s0, s11, v1
	s_wait_loadcnt 0x0
	s_delay_alu instid0(VALU_DEP_1) | instskip(SKIP_1) | instid1(VALU_DEP_1)
	v_cndmask_b32_e64 v31, 0, v31, s0
	v_cmp_gt_i32_e64 s0, s23, v0
	v_cndmask_b32_e64 v30, 0, v30, s0
	v_cmp_gt_i32_e64 s0, s11, v126
	s_delay_alu instid0(VALU_DEP_1) | instskip(SKIP_1) | instid1(VALU_DEP_1)
	v_cndmask_b32_e64 v33, 0, v33, s0
	v_cmp_gt_i32_e64 s0, s23, v127
	v_cndmask_b32_e64 v32, 0, v32, s0
	s_or_b32 exec_lo, exec_lo, s1
	global_load_b128 v[34:37], v[82:83], off offset:3584
	s_wait_xcnt 0x0
	s_and_saveexec_b32 s1, vcc_lo
	s_cbranch_execz .LBB48_44
.LBB48_67:                              ;   in Loop: Header=BB48_36 Depth=1
	v_cmp_gt_i32_e64 s0, s11, v1
	s_wait_loadcnt 0x0
	s_delay_alu instid0(VALU_DEP_1) | instskip(SKIP_1) | instid1(VALU_DEP_1)
	v_cndmask_b32_e64 v35, 0, v35, s0
	v_cmp_gt_i32_e64 s0, s23, v0
	v_cndmask_b32_e64 v34, 0, v34, s0
	v_cmp_gt_i32_e64 s0, s11, v126
	s_delay_alu instid0(VALU_DEP_1) | instskip(SKIP_1) | instid1(VALU_DEP_1)
	v_cndmask_b32_e64 v37, 0, v37, s0
	v_cmp_gt_i32_e64 s0, s23, v127
	v_cndmask_b32_e64 v36, 0, v36, s0
	s_or_b32 exec_lo, exec_lo, s1
	global_load_b128 v[38:41], v[82:83], off offset:4096
	s_wait_xcnt 0x0
	s_and_saveexec_b32 s1, vcc_lo
	s_cbranch_execz .LBB48_45
.LBB48_68:                              ;   in Loop: Header=BB48_36 Depth=1
	v_cmp_gt_i32_e64 s0, s11, v1
	s_wait_loadcnt 0x0
	s_delay_alu instid0(VALU_DEP_1) | instskip(SKIP_1) | instid1(VALU_DEP_1)
	v_cndmask_b32_e64 v39, 0, v39, s0
	v_cmp_gt_i32_e64 s0, s23, v0
	v_cndmask_b32_e64 v38, 0, v38, s0
	v_cmp_gt_i32_e64 s0, s11, v126
	s_delay_alu instid0(VALU_DEP_1) | instskip(SKIP_1) | instid1(VALU_DEP_1)
	v_cndmask_b32_e64 v41, 0, v41, s0
	v_cmp_gt_i32_e64 s0, s23, v127
	v_cndmask_b32_e64 v40, 0, v40, s0
	s_or_b32 exec_lo, exec_lo, s1
	global_load_b128 v[42:45], v[82:83], off offset:4608
	s_wait_xcnt 0x0
	s_and_saveexec_b32 s1, vcc_lo
	s_cbranch_execz .LBB48_46
.LBB48_69:                              ;   in Loop: Header=BB48_36 Depth=1
	v_cmp_gt_i32_e64 s0, s11, v1
	s_wait_loadcnt 0x0
	s_delay_alu instid0(VALU_DEP_1) | instskip(SKIP_1) | instid1(VALU_DEP_1)
	v_cndmask_b32_e64 v43, 0, v43, s0
	v_cmp_gt_i32_e64 s0, s23, v0
	v_cndmask_b32_e64 v42, 0, v42, s0
	v_cmp_gt_i32_e64 s0, s11, v126
	s_delay_alu instid0(VALU_DEP_1) | instskip(SKIP_1) | instid1(VALU_DEP_1)
	v_cndmask_b32_e64 v45, 0, v45, s0
	v_cmp_gt_i32_e64 s0, s23, v127
	v_cndmask_b32_e64 v44, 0, v44, s0
	s_or_b32 exec_lo, exec_lo, s1
	global_load_b128 v[46:49], v[82:83], off offset:5120
	s_wait_xcnt 0x0
	s_and_saveexec_b32 s1, vcc_lo
	s_cbranch_execz .LBB48_47
.LBB48_70:                              ;   in Loop: Header=BB48_36 Depth=1
	v_cmp_gt_i32_e64 s0, s11, v1
	s_wait_loadcnt 0x0
	s_delay_alu instid0(VALU_DEP_1) | instskip(SKIP_1) | instid1(VALU_DEP_1)
	v_cndmask_b32_e64 v47, 0, v47, s0
	v_cmp_gt_i32_e64 s0, s23, v0
	v_cndmask_b32_e64 v46, 0, v46, s0
	v_cmp_gt_i32_e64 s0, s11, v126
	s_delay_alu instid0(VALU_DEP_1) | instskip(SKIP_1) | instid1(VALU_DEP_1)
	v_cndmask_b32_e64 v49, 0, v49, s0
	v_cmp_gt_i32_e64 s0, s23, v127
	v_cndmask_b32_e64 v48, 0, v48, s0
	s_or_b32 exec_lo, exec_lo, s1
	global_load_b128 v[50:53], v[82:83], off offset:5632
	s_wait_xcnt 0x0
	s_and_saveexec_b32 s1, vcc_lo
	s_cbranch_execz .LBB48_48
.LBB48_71:                              ;   in Loop: Header=BB48_36 Depth=1
	v_cmp_gt_i32_e64 s0, s11, v1
	s_wait_loadcnt 0x0
	s_delay_alu instid0(VALU_DEP_1) | instskip(SKIP_1) | instid1(VALU_DEP_1)
	v_cndmask_b32_e64 v51, 0, v51, s0
	v_cmp_gt_i32_e64 s0, s23, v0
	v_cndmask_b32_e64 v50, 0, v50, s0
	v_cmp_gt_i32_e64 s0, s11, v126
	s_delay_alu instid0(VALU_DEP_1) | instskip(SKIP_1) | instid1(VALU_DEP_1)
	v_cndmask_b32_e64 v53, 0, v53, s0
	v_cmp_gt_i32_e64 s0, s23, v127
	v_cndmask_b32_e64 v52, 0, v52, s0
	s_or_b32 exec_lo, exec_lo, s1
	global_load_b128 v[54:57], v[82:83], off offset:6144
	s_wait_xcnt 0x0
	s_and_saveexec_b32 s1, vcc_lo
	s_cbranch_execz .LBB48_49
.LBB48_72:                              ;   in Loop: Header=BB48_36 Depth=1
	v_cmp_gt_i32_e64 s0, s11, v1
	s_wait_loadcnt 0x0
	s_delay_alu instid0(VALU_DEP_1) | instskip(SKIP_1) | instid1(VALU_DEP_1)
	v_cndmask_b32_e64 v55, 0, v55, s0
	v_cmp_gt_i32_e64 s0, s23, v0
	v_cndmask_b32_e64 v54, 0, v54, s0
	v_cmp_gt_i32_e64 s0, s11, v126
	s_delay_alu instid0(VALU_DEP_1) | instskip(SKIP_1) | instid1(VALU_DEP_1)
	v_cndmask_b32_e64 v57, 0, v57, s0
	v_cmp_gt_i32_e64 s0, s23, v127
	v_cndmask_b32_e64 v56, 0, v56, s0
	s_or_b32 exec_lo, exec_lo, s1
	global_load_b128 v[58:61], v[82:83], off offset:6656
	s_wait_xcnt 0x0
	s_and_saveexec_b32 s1, vcc_lo
	s_cbranch_execz .LBB48_50
.LBB48_73:                              ;   in Loop: Header=BB48_36 Depth=1
	v_cmp_gt_i32_e64 s0, s11, v1
	s_wait_loadcnt 0x0
	s_delay_alu instid0(VALU_DEP_1) | instskip(SKIP_1) | instid1(VALU_DEP_1)
	v_cndmask_b32_e64 v59, 0, v59, s0
	v_cmp_gt_i32_e64 s0, s23, v0
	v_cndmask_b32_e64 v58, 0, v58, s0
	v_cmp_gt_i32_e64 s0, s11, v126
	s_delay_alu instid0(VALU_DEP_1) | instskip(SKIP_1) | instid1(VALU_DEP_1)
	v_cndmask_b32_e64 v61, 0, v61, s0
	v_cmp_gt_i32_e64 s0, s23, v127
	v_cndmask_b32_e64 v60, 0, v60, s0
	s_or_b32 exec_lo, exec_lo, s1
	global_load_b128 v[62:65], v[82:83], off offset:7168
	s_wait_xcnt 0x0
	s_and_saveexec_b32 s1, vcc_lo
	s_cbranch_execz .LBB48_51
.LBB48_74:                              ;   in Loop: Header=BB48_36 Depth=1
	v_cmp_gt_i32_e64 s0, s11, v1
	s_wait_loadcnt 0x0
	s_delay_alu instid0(VALU_DEP_1) | instskip(SKIP_1) | instid1(VALU_DEP_1)
	v_cndmask_b32_e64 v63, 0, v63, s0
	v_cmp_gt_i32_e64 s0, s23, v0
	v_cndmask_b32_e64 v62, 0, v62, s0
	v_cmp_gt_i32_e64 s0, s11, v126
	s_delay_alu instid0(VALU_DEP_1) | instskip(SKIP_1) | instid1(VALU_DEP_1)
	v_cndmask_b32_e64 v65, 0, v65, s0
	v_cmp_gt_i32_e64 s0, s23, v127
	v_cndmask_b32_e64 v64, 0, v64, s0
	s_or_b32 exec_lo, exec_lo, s1
	global_load_b128 v[66:69], v[82:83], off offset:7680
	s_wait_xcnt 0x0
	s_and_saveexec_b32 s1, vcc_lo
	s_cbranch_execz .LBB48_52
.LBB48_75:                              ;   in Loop: Header=BB48_36 Depth=1
	v_cmp_gt_i32_e64 s0, s11, v1
	s_wait_loadcnt 0x0
	s_delay_alu instid0(VALU_DEP_1) | instskip(SKIP_1) | instid1(VALU_DEP_1)
	v_cndmask_b32_e64 v67, 0, v67, s0
	v_cmp_gt_i32_e64 s0, s23, v0
	v_cndmask_b32_e64 v66, 0, v66, s0
	v_cmp_gt_i32_e64 s0, s11, v126
	s_delay_alu instid0(VALU_DEP_1) | instskip(SKIP_1) | instid1(VALU_DEP_1)
	v_cndmask_b32_e64 v69, 0, v69, s0
	v_cmp_gt_i32_e64 s0, s23, v127
	v_cndmask_b32_e64 v68, 0, v68, s0
	s_or_b32 exec_lo, exec_lo, s1
	global_load_b128 v[70:73], v[82:83], off offset:8192
	s_wait_xcnt 0x0
	s_and_saveexec_b32 s1, vcc_lo
	s_cbranch_execz .LBB48_53
.LBB48_76:                              ;   in Loop: Header=BB48_36 Depth=1
	v_cmp_gt_i32_e64 s0, s11, v1
	s_wait_loadcnt 0x0
	s_delay_alu instid0(VALU_DEP_1) | instskip(SKIP_1) | instid1(VALU_DEP_1)
	v_cndmask_b32_e64 v71, 0, v71, s0
	v_cmp_gt_i32_e64 s0, s23, v0
	v_cndmask_b32_e64 v70, 0, v70, s0
	v_cmp_gt_i32_e64 s0, s11, v126
	s_delay_alu instid0(VALU_DEP_1) | instskip(SKIP_1) | instid1(VALU_DEP_1)
	v_cndmask_b32_e64 v73, 0, v73, s0
	v_cmp_gt_i32_e64 s0, s23, v127
	v_cndmask_b32_e64 v72, 0, v72, s0
	s_or_b32 exec_lo, exec_lo, s1
	global_load_b128 v[74:77], v[82:83], off offset:8704
	s_wait_xcnt 0x0
	s_and_saveexec_b32 s1, vcc_lo
	s_cbranch_execz .LBB48_54
.LBB48_77:                              ;   in Loop: Header=BB48_36 Depth=1
	v_cmp_gt_i32_e64 s0, s11, v1
	s_wait_loadcnt 0x0
	s_delay_alu instid0(VALU_DEP_1) | instskip(SKIP_1) | instid1(VALU_DEP_1)
	v_cndmask_b32_e64 v75, 0, v75, s0
	v_cmp_gt_i32_e64 s0, s23, v0
	v_cndmask_b32_e64 v74, 0, v74, s0
	v_cmp_gt_i32_e64 s0, s11, v126
	s_delay_alu instid0(VALU_DEP_1) | instskip(SKIP_1) | instid1(VALU_DEP_1)
	v_cndmask_b32_e64 v77, 0, v77, s0
	v_cmp_gt_i32_e64 s0, s23, v127
	v_cndmask_b32_e64 v76, 0, v76, s0
	s_or_b32 exec_lo, exec_lo, s1
	global_load_b128 v[78:81], v[82:83], off offset:9216
	s_wait_xcnt 0x0
	s_and_saveexec_b32 s1, vcc_lo
	s_cbranch_execz .LBB48_55
.LBB48_78:                              ;   in Loop: Header=BB48_36 Depth=1
	v_cmp_gt_i32_e64 s0, s11, v1
	s_wait_loadcnt 0x0
	s_delay_alu instid0(VALU_DEP_1) | instskip(SKIP_1) | instid1(VALU_DEP_1)
	v_cndmask_b32_e64 v79, 0, v79, s0
	v_cmp_gt_i32_e64 s0, s23, v0
	v_cndmask_b32_e64 v78, 0, v78, s0
	v_cmp_gt_i32_e64 s0, s11, v126
	s_delay_alu instid0(VALU_DEP_1) | instskip(SKIP_1) | instid1(VALU_DEP_1)
	v_cndmask_b32_e64 v81, 0, v81, s0
	v_cmp_gt_i32_e64 s0, s23, v127
	v_cndmask_b32_e64 v80, 0, v80, s0
	s_or_b32 exec_lo, exec_lo, s1
	global_load_b128 v[86:89], v[82:83], off offset:9728
	s_wait_xcnt 0x0
	s_and_saveexec_b32 s1, vcc_lo
	s_cbranch_execz .LBB48_56
.LBB48_79:                              ;   in Loop: Header=BB48_36 Depth=1
	v_cmp_gt_i32_e64 s0, s11, v1
	s_wait_loadcnt 0x0
	s_delay_alu instid0(VALU_DEP_1) | instskip(SKIP_1) | instid1(VALU_DEP_1)
	v_cndmask_b32_e64 v87, 0, v87, s0
	v_cmp_gt_i32_e64 s0, s23, v0
	v_cndmask_b32_e64 v86, 0, v86, s0
	v_cmp_gt_i32_e64 s0, s11, v126
	s_delay_alu instid0(VALU_DEP_1) | instskip(SKIP_1) | instid1(VALU_DEP_1)
	v_cndmask_b32_e64 v89, 0, v89, s0
	v_cmp_gt_i32_e64 s0, s23, v127
	v_cndmask_b32_e64 v88, 0, v88, s0
	s_or_b32 exec_lo, exec_lo, s1
	global_load_b128 v[90:93], v[82:83], off offset:10240
	s_wait_xcnt 0x0
	s_and_saveexec_b32 s12, vcc_lo
	s_cbranch_execz .LBB48_57
.LBB48_80:                              ;   in Loop: Header=BB48_36 Depth=1
	v_cmp_gt_i32_e64 s0, s23, v0
	v_cmp_gt_i32_e64 s1, s11, v1
	s_wait_loadcnt 0x0
	s_delay_alu instid0(VALU_DEP_1) | instskip(SKIP_2) | instid1(VALU_DEP_1)
	v_dual_cndmask_b32 v90, 0, v90, s0 :: v_dual_cndmask_b32 v91, 0, v91, s1
	v_cmp_gt_i32_e64 s0, s23, v127
	v_cmp_gt_i32_e64 s1, s11, v126
	v_dual_cndmask_b32 v92, 0, v92, s0 :: v_dual_cndmask_b32 v93, 0, v93, s1
	s_or_b32 exec_lo, exec_lo, s12
	global_load_b128 v[94:97], v[82:83], off offset:10752
	s_wait_xcnt 0x0
	s_and_saveexec_b32 s12, vcc_lo
	s_cbranch_execz .LBB48_58
.LBB48_81:                              ;   in Loop: Header=BB48_36 Depth=1
	v_cmp_gt_i32_e64 s0, s23, v0
	v_cmp_gt_i32_e64 s1, s11, v1
	s_wait_loadcnt 0x0
	s_delay_alu instid0(VALU_DEP_1) | instskip(SKIP_2) | instid1(VALU_DEP_1)
	v_dual_cndmask_b32 v94, 0, v94, s0 :: v_dual_cndmask_b32 v95, 0, v95, s1
	v_cmp_gt_i32_e64 s0, s23, v127
	v_cmp_gt_i32_e64 s1, s11, v126
	v_dual_cndmask_b32 v96, 0, v96, s0 :: v_dual_cndmask_b32 v97, 0, v97, s1
	s_or_b32 exec_lo, exec_lo, s12
	global_load_b128 v[98:101], v[82:83], off offset:11264
	s_wait_xcnt 0x0
	s_and_saveexec_b32 s12, vcc_lo
	s_cbranch_execz .LBB48_59
.LBB48_82:                              ;   in Loop: Header=BB48_36 Depth=1
	v_cmp_gt_i32_e64 s0, s23, v0
	v_cmp_gt_i32_e64 s1, s11, v1
	s_wait_loadcnt 0x0
	s_delay_alu instid0(VALU_DEP_1) | instskip(SKIP_2) | instid1(VALU_DEP_1)
	v_dual_cndmask_b32 v98, 0, v98, s0 :: v_dual_cndmask_b32 v99, 0, v99, s1
	v_cmp_gt_i32_e64 s0, s23, v127
	v_cmp_gt_i32_e64 s1, s11, v126
	v_dual_cndmask_b32 v100, 0, v100, s0 :: v_dual_cndmask_b32 v101, 0, v101, s1
	s_or_b32 exec_lo, exec_lo, s12
	global_load_b128 v[82:85], v[82:83], off offset:11776
	s_wait_xcnt 0x0
	s_and_saveexec_b32 s1, vcc_lo
	s_cbranch_execz .LBB48_35
.LBB48_83:                              ;   in Loop: Header=BB48_36 Depth=1
	v_cmp_gt_i32_e32 vcc_lo, s23, v0
	v_cmp_gt_i32_e64 s0, s11, v1
	s_wait_loadcnt 0x0
	s_delay_alu instid0(VALU_DEP_1) | instskip(SKIP_2) | instid1(VALU_DEP_1)
	v_dual_cndmask_b32 v82, 0, v82, vcc_lo :: v_dual_cndmask_b32 v83, 0, v83, s0
	v_cmp_gt_i32_e32 vcc_lo, s23, v127
	v_cmp_gt_i32_e64 s0, s11, v126
	v_dual_cndmask_b32 v84, 0, v84, vcc_lo :: v_dual_cndmask_b32 v85, 0, v85, s0
	s_branch .LBB48_35
.LBB48_84:
	s_or_b32 exec_lo, exec_lo, s10
.LBB48_85:
	s_delay_alu instid0(SALU_CYCLE_1)
	s_or_b32 exec_lo, exec_lo, s4
	s_clause 0x2
	scratch_load_b32 v29, off, off offset:24 th:TH_LOAD_LU
	scratch_load_b32 v48, off, off offset:48 th:TH_LOAD_LU
	;; [unrolled: 1-line block ×3, first 2 shown]
	s_mov_b32 s0, exec_lo
	s_wait_loadcnt 0x2
	ds_bpermute_b32 v6, v29, v120
	ds_bpermute_b32 v7, v29, v121
	;; [unrolled: 1-line block ×21, first 2 shown]
	s_wait_dscnt 0x13
	v_pk_add_f32 v[6:7], v[120:121], v[6:7]
	ds_bpermute_b32 v25, v29, v107
	s_wait_dscnt 0x12
	v_pk_add_f32 v[2:3], v[124:125], v[2:3]
	ds_bpermute_b32 v28, v29, v102
	s_wait_dscnt 0x11
	v_pk_add_f32 v[12:13], v[112:113], v[12:13]
	s_wait_loadcnt 0x1
	ds_bpermute_b32 v22, v48, v6
	ds_bpermute_b32 v23, v48, v7
	s_wait_dscnt 0x11
	v_pk_add_f32 v[26:27], v[104:105], v[26:27]
	s_wait_dscnt 0xf
	v_pk_add_f32 v[4:5], v[122:123], v[4:5]
	ds_bpermute_b32 v18, v48, v2
	ds_bpermute_b32 v19, v48, v3
	s_wait_dscnt 0xf
	v_pk_add_f32 v[10:11], v[114:115], v[10:11]
	ds_bpermute_b32 v42, v48, v26
	ds_bpermute_b32 v43, v48, v27
	;; [unrolled: 1-line block ×4, first 2 shown]
	s_wait_dscnt 0x11
	v_pk_add_f32 v[0:1], v[118:119], v[0:1]
	ds_bpermute_b32 v29, v29, v103
	s_wait_dscnt 0x10
	v_pk_add_f32 v[8:9], v[116:117], v[8:9]
	s_wait_dscnt 0xe
	v_pk_add_f32 v[14:15], v[110:111], v[14:15]
	;; [unrolled: 2-line block ×3, first 2 shown]
	ds_bpermute_b32 v30, v48, v0
	ds_bpermute_b32 v31, v48, v1
	;; [unrolled: 1-line block ×4, first 2 shown]
	s_wait_dscnt 0xe
	v_pk_add_f32 v[24:25], v[106:107], v[24:25]
	s_wait_dscnt 0xb
	v_pk_add_f32 v[6:7], v[6:7], v[22:23]
	ds_bpermute_b32 v22, v48, v12
	ds_bpermute_b32 v23, v48, v13
	;; [unrolled: 1-line block ×3, first 2 shown]
	s_wait_dscnt 0xc
	v_pk_add_f32 v[2:3], v[2:3], v[18:19]
	ds_bpermute_b32 v18, v48, v10
	s_wait_loadcnt 0x0
	ds_bpermute_b32 v36, v58, v6
	s_wait_dscnt 0xc
	v_pk_add_f32 v[26:27], v[26:27], v[42:43]
	ds_bpermute_b32 v19, v48, v11
	s_wait_dscnt 0xb
	v_pk_add_f32 v[4:5], v[4:5], v[20:21]
	ds_bpermute_b32 v20, v58, v2
	ds_bpermute_b32 v21, v58, v3
	;; [unrolled: 1-line block ×6, first 2 shown]
	s_wait_dscnt 0xe
	v_pk_add_f32 v[0:1], v[0:1], v[30:31]
	ds_bpermute_b32 v30, v48, v16
	ds_bpermute_b32 v31, v48, v17
	;; [unrolled: 1-line block ×4, first 2 shown]
	v_pk_add_f32 v[28:29], v[102:103], v[28:29]
	s_wait_dscnt 0xe
	v_pk_add_f32 v[12:13], v[12:13], v[22:23]
	v_pk_add_f32 v[32:33], v[8:9], v[32:33]
	ds_bpermute_b32 v34, v58, v4
	ds_bpermute_b32 v35, v58, v5
	;; [unrolled: 1-line block ×5, first 2 shown]
	s_wait_dscnt 0xf
	v_pk_add_f32 v[46:47], v[10:11], v[18:19]
	ds_bpermute_b32 v9, v48, v29
	s_wait_dscnt 0xe
	v_pk_add_f32 v[18:19], v[2:3], v[20:21]
	s_wait_dscnt 0xd
	v_pk_add_f32 v[10:11], v[6:7], v[36:37]
	scratch_load_b32 v36, off, off offset:28 ; 4-byte Folded Reload
	ds_bpermute_b32 v44, v58, v0
	s_wait_dscnt 0xb
	v_pk_add_f32 v[38:39], v[14:15], v[38:39]
	ds_bpermute_b32 v45, v58, v1
	ds_bpermute_b32 v48, v58, v32
	s_wait_dscnt 0xb
	v_pk_add_f32 v[16:17], v[16:17], v[30:31]
	ds_bpermute_b32 v49, v58, v33
	s_wait_dscnt 0xa
	v_pk_add_f32 v[40:41], v[24:25], v[40:41]
	ds_bpermute_b32 v50, v58, v46
	ds_bpermute_b32 v51, v58, v47
	;; [unrolled: 1-line block ×7, first 2 shown]
	s_wait_dscnt 0xc
	v_pk_add_f32 v[2:3], v[12:13], v[52:53]
	v_pk_add_f32 v[12:13], v[26:27], v[56:57]
	scratch_load_b32 v26, off, off offset:40 th:TH_LOAD_LU ; 4-byte Folded Reload
	ds_bpermute_b32 v55, v58, v41
	s_wait_dscnt 0xc
	v_pk_add_f32 v[22:23], v[28:29], v[8:9]
	v_pk_add_f32 v[14:15], v[4:5], v[34:35]
	s_wait_storecnt 0x0
	s_wait_loadcnt_dscnt 0x0
	s_barrier_signal -1
	v_pk_add_f32 v[8:9], v[0:1], v[44:45]
	ds_bpermute_b32 v24, v58, v22
	ds_bpermute_b32 v25, v58, v23
	v_pk_add_f32 v[6:7], v[32:33], v[48:49]
	s_barrier_wait -1
	s_wait_dscnt 0x0
	v_pk_add_f32 v[4:5], v[46:47], v[50:51]
	v_pk_add_f32 v[0:1], v[38:39], v[30:31]
	;; [unrolled: 1-line block ×4, first 2 shown]
	v_and_b32_e32 v28, 0x3c7, v36
	v_lshrrev_b32_e32 v26, 3, v26
	s_delay_alu instid0(VALU_DEP_2) | instskip(SKIP_1) | instid1(SALU_CYCLE_1)
	v_cmpx_ne_u32_e32 64, v28
	s_xor_b32 s0, exec_lo, s0
	s_or_saveexec_b32 s0, s0
	v_pk_add_f32 v[22:23], v[22:23], v[24:25]
	scratch_load_b32 v24, off, off offset:32 th:TH_LOAD_LU ; 4-byte Folded Reload
	v_lshl_add_u32 v25, v26, 2, 0x1a0
	s_wait_loadcnt 0x0
	v_mul_u32_u24_e32 v24, 0x180, v24
	s_xor_b32 exec_lo, exec_lo, s0
	s_cbranch_execz .LBB48_87
; %bb.86:
	s_delay_alu instid0(VALU_DEP_1) | instskip(NEXT) | instid1(VALU_DEP_1)
	v_add_nc_u32_e32 v27, v25, v24
	v_add_nc_u32_e32 v28, 0xfffffd00, v27
	;; [unrolled: 1-line block ×9, first 2 shown]
	ds_store_b32 v28, v18
	ds_store_b32 v29, v19
	;; [unrolled: 1-line block ×8, first 2 shown]
	v_add_nc_u32_e32 v28, 0xfffffd80, v27
	v_add_nc_u32_e32 v29, 0xfffffd90, v27
	;; [unrolled: 1-line block ×8, first 2 shown]
	ds_store_b32 v28, v6
	ds_store_b32 v29, v7
	;; [unrolled: 1-line block ×8, first 2 shown]
	v_add_nc_u32_e32 v28, 0xfffffe00, v27
	v_add_nc_u32_e32 v29, 0xfffffe10, v27
	;; [unrolled: 1-line block ×8, first 2 shown]
	ds_store_b32 v28, v20
	ds_store_b32 v29, v21
	;; [unrolled: 1-line block ×8, first 2 shown]
.LBB48_87:
	s_or_b32 exec_lo, exec_lo, s0
	scratch_load_b32 v27, off, off offset:36 th:TH_LOAD_LU ; 4-byte Folded Reload
	v_lshlrev_b32_e32 v26, 2, v26
	s_mov_b32 s1, exec_lo
	s_wait_loadcnt_dscnt 0x0
	s_barrier_signal -1
	s_barrier_wait -1
	v_add3_u32 v24, 0x1a0, v24, v26
	v_cmp_eq_u32_e32 vcc_lo, 0, v27
	v_cmpx_gt_u32_e32 64, v36
	s_cbranch_execz .LBB48_114
; %bb.88:
	s_and_saveexec_b32 s0, vcc_lo
	s_cbranch_execnz .LBB48_146
; %bb.89:
	s_or_b32 exec_lo, exec_lo, s0
	s_and_saveexec_b32 s0, vcc_lo
	s_cbranch_execnz .LBB48_147
.LBB48_90:
	s_or_b32 exec_lo, exec_lo, s0
	s_and_saveexec_b32 s0, vcc_lo
	s_cbranch_execnz .LBB48_148
.LBB48_91:
	s_or_b32 exec_lo, exec_lo, s0
	s_and_saveexec_b32 s0, vcc_lo
	s_cbranch_execnz .LBB48_149
.LBB48_92:
	s_or_b32 exec_lo, exec_lo, s0
	s_and_saveexec_b32 s0, vcc_lo
	s_cbranch_execnz .LBB48_150
.LBB48_93:
	s_or_b32 exec_lo, exec_lo, s0
	s_and_saveexec_b32 s0, vcc_lo
	s_cbranch_execnz .LBB48_151
.LBB48_94:
	s_or_b32 exec_lo, exec_lo, s0
	s_and_saveexec_b32 s0, vcc_lo
	s_cbranch_execnz .LBB48_152
.LBB48_95:
	s_or_b32 exec_lo, exec_lo, s0
	s_and_saveexec_b32 s0, vcc_lo
	s_cbranch_execnz .LBB48_153
.LBB48_96:
	s_or_b32 exec_lo, exec_lo, s0
	s_and_saveexec_b32 s0, vcc_lo
	s_cbranch_execnz .LBB48_154
.LBB48_97:
	s_or_b32 exec_lo, exec_lo, s0
	s_and_saveexec_b32 s0, vcc_lo
	s_cbranch_execnz .LBB48_155
.LBB48_98:
	s_or_b32 exec_lo, exec_lo, s0
	s_and_saveexec_b32 s0, vcc_lo
	s_cbranch_execnz .LBB48_156
.LBB48_99:
	s_or_b32 exec_lo, exec_lo, s0
	s_and_saveexec_b32 s0, vcc_lo
	s_cbranch_execnz .LBB48_157
.LBB48_100:
	s_or_b32 exec_lo, exec_lo, s0
	s_and_saveexec_b32 s0, vcc_lo
	s_cbranch_execnz .LBB48_158
.LBB48_101:
	s_or_b32 exec_lo, exec_lo, s0
	s_and_saveexec_b32 s0, vcc_lo
	s_cbranch_execnz .LBB48_159
.LBB48_102:
	s_or_b32 exec_lo, exec_lo, s0
	s_and_saveexec_b32 s0, vcc_lo
	s_cbranch_execnz .LBB48_160
.LBB48_103:
	s_or_b32 exec_lo, exec_lo, s0
	s_and_saveexec_b32 s0, vcc_lo
	s_cbranch_execnz .LBB48_161
.LBB48_104:
	s_or_b32 exec_lo, exec_lo, s0
	s_and_saveexec_b32 s0, vcc_lo
	s_cbranch_execnz .LBB48_162
.LBB48_105:
	s_or_b32 exec_lo, exec_lo, s0
	s_and_saveexec_b32 s0, vcc_lo
	s_cbranch_execnz .LBB48_163
.LBB48_106:
	s_or_b32 exec_lo, exec_lo, s0
	s_and_saveexec_b32 s0, vcc_lo
	s_cbranch_execnz .LBB48_164
.LBB48_107:
	s_or_b32 exec_lo, exec_lo, s0
	s_and_saveexec_b32 s0, vcc_lo
	s_cbranch_execnz .LBB48_165
.LBB48_108:
	s_or_b32 exec_lo, exec_lo, s0
	s_and_saveexec_b32 s0, vcc_lo
	s_cbranch_execnz .LBB48_166
.LBB48_109:
	s_or_b32 exec_lo, exec_lo, s0
	s_and_saveexec_b32 s0, vcc_lo
	s_cbranch_execnz .LBB48_167
.LBB48_110:
	s_or_b32 exec_lo, exec_lo, s0
	s_and_saveexec_b32 s0, vcc_lo
	s_cbranch_execnz .LBB48_168
.LBB48_111:
	s_or_b32 exec_lo, exec_lo, s0
	s_and_saveexec_b32 s0, vcc_lo
	s_cbranch_execz .LBB48_113
.LBB48_112:
	ds_load_b32 v26, v24 offset:368
	s_wait_dscnt 0x0
	v_add_f32_e32 v23, v23, v26
.LBB48_113:
	s_or_b32 exec_lo, exec_lo, s0
.LBB48_114:
	s_delay_alu instid0(SALU_CYCLE_1) | instskip(SKIP_4) | instid1(VALU_DEP_1)
	s_or_b32 exec_lo, exec_lo, s1
	v_and_b32_e32 v26, 0x3e7, v36
	s_mov_b32 s1, exec_lo
	s_barrier_signal -1
	s_barrier_wait -1
	v_cmpx_eq_u32_e32 32, v26
	s_cbranch_execz .LBB48_116
; %bb.115:
	ds_store_2addr_b32 v25, v18, v19 offset1:4
	ds_store_2addr_b32 v25, v14, v15 offset0:8 offset1:12
	ds_store_2addr_b32 v25, v10, v11 offset0:16 offset1:20
	;; [unrolled: 1-line block ×11, first 2 shown]
.LBB48_116:
	s_or_b32 exec_lo, exec_lo, s1
	s_delay_alu instid0(SALU_CYCLE_1)
	s_mov_b32 s1, exec_lo
	s_wait_dscnt 0x0
	s_barrier_signal -1
	s_barrier_wait -1
	v_cmpx_gt_u32_e32 32, v36
	s_cbranch_execz .LBB48_143
; %bb.117:
	s_and_saveexec_b32 s0, vcc_lo
	s_cbranch_execnz .LBB48_169
; %bb.118:
	s_or_b32 exec_lo, exec_lo, s0
	s_and_saveexec_b32 s0, vcc_lo
	s_cbranch_execnz .LBB48_170
.LBB48_119:
	s_or_b32 exec_lo, exec_lo, s0
	s_and_saveexec_b32 s0, vcc_lo
	s_cbranch_execnz .LBB48_171
.LBB48_120:
	s_or_b32 exec_lo, exec_lo, s0
	s_and_saveexec_b32 s0, vcc_lo
	s_cbranch_execnz .LBB48_172
.LBB48_121:
	s_or_b32 exec_lo, exec_lo, s0
	s_and_saveexec_b32 s0, vcc_lo
	s_cbranch_execnz .LBB48_173
.LBB48_122:
	s_or_b32 exec_lo, exec_lo, s0
	s_and_saveexec_b32 s0, vcc_lo
	s_cbranch_execnz .LBB48_174
.LBB48_123:
	s_or_b32 exec_lo, exec_lo, s0
	s_and_saveexec_b32 s0, vcc_lo
	s_cbranch_execnz .LBB48_175
.LBB48_124:
	s_or_b32 exec_lo, exec_lo, s0
	s_and_saveexec_b32 s0, vcc_lo
	s_cbranch_execnz .LBB48_176
.LBB48_125:
	s_or_b32 exec_lo, exec_lo, s0
	s_and_saveexec_b32 s0, vcc_lo
	s_cbranch_execnz .LBB48_177
.LBB48_126:
	s_or_b32 exec_lo, exec_lo, s0
	s_and_saveexec_b32 s0, vcc_lo
	s_cbranch_execnz .LBB48_178
.LBB48_127:
	s_or_b32 exec_lo, exec_lo, s0
	s_and_saveexec_b32 s0, vcc_lo
	s_cbranch_execnz .LBB48_179
.LBB48_128:
	s_or_b32 exec_lo, exec_lo, s0
	s_and_saveexec_b32 s0, vcc_lo
	s_cbranch_execnz .LBB48_180
.LBB48_129:
	s_or_b32 exec_lo, exec_lo, s0
	s_and_saveexec_b32 s0, vcc_lo
	s_cbranch_execnz .LBB48_181
.LBB48_130:
	s_or_b32 exec_lo, exec_lo, s0
	s_and_saveexec_b32 s0, vcc_lo
	s_cbranch_execnz .LBB48_182
.LBB48_131:
	s_or_b32 exec_lo, exec_lo, s0
	s_and_saveexec_b32 s0, vcc_lo
	s_cbranch_execnz .LBB48_183
.LBB48_132:
	s_or_b32 exec_lo, exec_lo, s0
	s_and_saveexec_b32 s0, vcc_lo
	s_cbranch_execnz .LBB48_184
.LBB48_133:
	s_or_b32 exec_lo, exec_lo, s0
	s_and_saveexec_b32 s0, vcc_lo
	s_cbranch_execnz .LBB48_185
.LBB48_134:
	s_or_b32 exec_lo, exec_lo, s0
	s_and_saveexec_b32 s0, vcc_lo
	s_cbranch_execnz .LBB48_186
.LBB48_135:
	s_or_b32 exec_lo, exec_lo, s0
	s_and_saveexec_b32 s0, vcc_lo
	s_cbranch_execnz .LBB48_187
.LBB48_136:
	s_or_b32 exec_lo, exec_lo, s0
	s_and_saveexec_b32 s0, vcc_lo
	s_cbranch_execnz .LBB48_188
.LBB48_137:
	s_or_b32 exec_lo, exec_lo, s0
	s_and_saveexec_b32 s0, vcc_lo
	s_cbranch_execnz .LBB48_189
.LBB48_138:
	s_or_b32 exec_lo, exec_lo, s0
	s_and_saveexec_b32 s0, vcc_lo
	s_cbranch_execnz .LBB48_190
.LBB48_139:
	s_or_b32 exec_lo, exec_lo, s0
	s_and_saveexec_b32 s0, vcc_lo
	s_cbranch_execnz .LBB48_191
.LBB48_140:
	s_or_b32 exec_lo, exec_lo, s0
	s_and_saveexec_b32 s0, vcc_lo
	s_cbranch_execz .LBB48_142
.LBB48_141:
	ds_load_b32 v24, v24 offset:368
	s_wait_dscnt 0x0
	v_add_f32_e32 v23, v23, v24
.LBB48_142:
	s_or_b32 exec_lo, exec_lo, s0
.LBB48_143:
	s_delay_alu instid0(SALU_CYCLE_1)
	s_or_b32 exec_lo, exec_lo, s1
	s_mov_b32 s1, 0
	s_barrier_signal -1
	s_barrier_wait -1
	s_mov_b32 s0, exec_lo
	v_cmpx_eq_u32_e32 0, v26
	s_cbranch_execz .LBB48_145
; %bb.144:
	s_mul_i32 s0, s22, s9
	s_mul_i32 s2, s9, s8
	;; [unrolled: 1-line block ×3, first 2 shown]
	s_lshr_b32 s8, ttmp7, 16
	s_mul_i32 s4, s0, 0x60
	s_bfe_u32 s0, ttmp6, 0x40014
	s_ashr_i32 s5, s4, 31
	s_add_co_i32 s0, s0, 1
	s_lshl_b64 s[4:5], s[4:5], 2
	s_ashr_i32 s3, s2, 31
	s_wait_kmcnt 0x0
	s_add_nc_u64 s[4:5], s[6:7], s[4:5]
	s_mul_i32 s0, s8, s0
	s_bfe_u32 s6, ttmp6, 0x40008
	s_lshl_b64 s[2:3], s[2:3], 2
	s_add_co_i32 s6, s6, s0
	s_cmp_eq_u32 s20, 0
	v_lshrrev_b32_e32 v24, 1, v36
	s_cselect_b32 s0, s8, s6
	s_add_nc_u64 s[2:3], s[4:5], s[2:3]
	s_mulk_i32 s0, 0x180
	s_delay_alu instid0(SALU_CYCLE_1)
	s_add_nc_u64 s[0:1], s[2:3], s[0:1]
	s_clause 0x17
	global_store_b32 v24, v18, s[0:1]
	global_store_b32 v24, v19, s[0:1] offset:16
	global_store_b32 v24, v14, s[0:1] offset:32
	;; [unrolled: 1-line block ×23, first 2 shown]
.LBB48_145:
	s_sendmsg sendmsg(MSG_DEALLOC_VGPRS)
	s_endpgm
.LBB48_146:
	ds_load_b32 v26, v24
	s_wait_dscnt 0x0
	v_add_f32_e32 v18, v18, v26
	s_or_b32 exec_lo, exec_lo, s0
	s_and_saveexec_b32 s0, vcc_lo
	s_cbranch_execz .LBB48_90
.LBB48_147:
	ds_load_b32 v26, v24 offset:16
	s_wait_dscnt 0x0
	v_add_f32_e32 v19, v19, v26
	s_or_b32 exec_lo, exec_lo, s0
	s_and_saveexec_b32 s0, vcc_lo
	s_cbranch_execz .LBB48_91
.LBB48_148:
	ds_load_b32 v26, v24 offset:32
	s_wait_dscnt 0x0
	v_add_f32_e32 v14, v14, v26
	s_or_b32 exec_lo, exec_lo, s0
	s_and_saveexec_b32 s0, vcc_lo
	s_cbranch_execz .LBB48_92
.LBB48_149:
	ds_load_b32 v26, v24 offset:48
	s_wait_dscnt 0x0
	v_add_f32_e32 v15, v15, v26
	s_or_b32 exec_lo, exec_lo, s0
	s_and_saveexec_b32 s0, vcc_lo
	s_cbranch_execz .LBB48_93
.LBB48_150:
	ds_load_b32 v26, v24 offset:64
	s_wait_dscnt 0x0
	v_add_f32_e32 v10, v10, v26
	s_or_b32 exec_lo, exec_lo, s0
	s_and_saveexec_b32 s0, vcc_lo
	s_cbranch_execz .LBB48_94
.LBB48_151:
	ds_load_b32 v26, v24 offset:80
	s_wait_dscnt 0x0
	v_add_f32_e32 v11, v11, v26
	s_or_b32 exec_lo, exec_lo, s0
	s_and_saveexec_b32 s0, vcc_lo
	s_cbranch_execz .LBB48_95
.LBB48_152:
	ds_load_b32 v26, v24 offset:96
	s_wait_dscnt 0x0
	v_add_f32_e32 v8, v8, v26
	s_or_b32 exec_lo, exec_lo, s0
	s_and_saveexec_b32 s0, vcc_lo
	s_cbranch_execz .LBB48_96
.LBB48_153:
	ds_load_b32 v26, v24 offset:112
	s_wait_dscnt 0x0
	v_add_f32_e32 v9, v9, v26
	s_or_b32 exec_lo, exec_lo, s0
	s_and_saveexec_b32 s0, vcc_lo
	s_cbranch_execz .LBB48_97
.LBB48_154:
	ds_load_b32 v26, v24 offset:128
	s_wait_dscnt 0x0
	v_add_f32_e32 v6, v6, v26
	s_or_b32 exec_lo, exec_lo, s0
	s_and_saveexec_b32 s0, vcc_lo
	s_cbranch_execz .LBB48_98
.LBB48_155:
	ds_load_b32 v26, v24 offset:144
	s_wait_dscnt 0x0
	v_add_f32_e32 v7, v7, v26
	s_or_b32 exec_lo, exec_lo, s0
	s_and_saveexec_b32 s0, vcc_lo
	s_cbranch_execz .LBB48_99
.LBB48_156:
	ds_load_b32 v26, v24 offset:160
	s_wait_dscnt 0x0
	v_add_f32_e32 v4, v4, v26
	s_or_b32 exec_lo, exec_lo, s0
	s_and_saveexec_b32 s0, vcc_lo
	s_cbranch_execz .LBB48_100
.LBB48_157:
	ds_load_b32 v26, v24 offset:176
	s_wait_dscnt 0x0
	v_add_f32_e32 v5, v5, v26
	s_or_b32 exec_lo, exec_lo, s0
	s_and_saveexec_b32 s0, vcc_lo
	s_cbranch_execz .LBB48_101
.LBB48_158:
	ds_load_b32 v26, v24 offset:192
	s_wait_dscnt 0x0
	v_add_f32_e32 v2, v2, v26
	s_or_b32 exec_lo, exec_lo, s0
	s_and_saveexec_b32 s0, vcc_lo
	s_cbranch_execz .LBB48_102
.LBB48_159:
	ds_load_b32 v26, v24 offset:208
	s_wait_dscnt 0x0
	v_add_f32_e32 v3, v3, v26
	s_or_b32 exec_lo, exec_lo, s0
	s_and_saveexec_b32 s0, vcc_lo
	s_cbranch_execz .LBB48_103
.LBB48_160:
	ds_load_b32 v26, v24 offset:224
	s_wait_dscnt 0x0
	v_add_f32_e32 v0, v0, v26
	s_or_b32 exec_lo, exec_lo, s0
	s_and_saveexec_b32 s0, vcc_lo
	s_cbranch_execz .LBB48_104
.LBB48_161:
	ds_load_b32 v26, v24 offset:240
	s_wait_dscnt 0x0
	v_add_f32_e32 v1, v1, v26
	s_or_b32 exec_lo, exec_lo, s0
	s_and_saveexec_b32 s0, vcc_lo
	s_cbranch_execz .LBB48_105
.LBB48_162:
	ds_load_b32 v26, v24 offset:256
	s_wait_dscnt 0x0
	v_add_f32_e32 v20, v20, v26
	s_or_b32 exec_lo, exec_lo, s0
	s_and_saveexec_b32 s0, vcc_lo
	s_cbranch_execz .LBB48_106
.LBB48_163:
	ds_load_b32 v26, v24 offset:272
	s_wait_dscnt 0x0
	v_add_f32_e32 v21, v21, v26
	s_or_b32 exec_lo, exec_lo, s0
	s_and_saveexec_b32 s0, vcc_lo
	s_cbranch_execz .LBB48_107
.LBB48_164:
	ds_load_b32 v26, v24 offset:288
	s_wait_dscnt 0x0
	v_add_f32_e32 v16, v16, v26
	s_or_b32 exec_lo, exec_lo, s0
	s_and_saveexec_b32 s0, vcc_lo
	s_cbranch_execz .LBB48_108
.LBB48_165:
	ds_load_b32 v26, v24 offset:304
	s_wait_dscnt 0x0
	v_add_f32_e32 v17, v17, v26
	s_or_b32 exec_lo, exec_lo, s0
	s_and_saveexec_b32 s0, vcc_lo
	s_cbranch_execz .LBB48_109
.LBB48_166:
	ds_load_b32 v26, v24 offset:320
	s_wait_dscnt 0x0
	v_add_f32_e32 v12, v12, v26
	s_or_b32 exec_lo, exec_lo, s0
	s_and_saveexec_b32 s0, vcc_lo
	s_cbranch_execz .LBB48_110
.LBB48_167:
	ds_load_b32 v26, v24 offset:336
	s_wait_dscnt 0x0
	v_add_f32_e32 v13, v13, v26
	s_or_b32 exec_lo, exec_lo, s0
	s_and_saveexec_b32 s0, vcc_lo
	s_cbranch_execz .LBB48_111
.LBB48_168:
	ds_load_b32 v26, v24 offset:352
	s_wait_dscnt 0x0
	v_add_f32_e32 v22, v22, v26
	s_or_b32 exec_lo, exec_lo, s0
	s_and_saveexec_b32 s0, vcc_lo
	s_cbranch_execnz .LBB48_112
	s_branch .LBB48_113
.LBB48_169:
	ds_load_b32 v25, v24
	s_wait_dscnt 0x0
	v_add_f32_e32 v18, v18, v25
	s_or_b32 exec_lo, exec_lo, s0
	s_and_saveexec_b32 s0, vcc_lo
	s_cbranch_execz .LBB48_119
.LBB48_170:
	ds_load_b32 v25, v24 offset:16
	s_wait_dscnt 0x0
	v_add_f32_e32 v19, v19, v25
	s_or_b32 exec_lo, exec_lo, s0
	s_and_saveexec_b32 s0, vcc_lo
	s_cbranch_execz .LBB48_120
.LBB48_171:
	ds_load_b32 v25, v24 offset:32
	s_wait_dscnt 0x0
	v_add_f32_e32 v14, v14, v25
	s_or_b32 exec_lo, exec_lo, s0
	s_and_saveexec_b32 s0, vcc_lo
	s_cbranch_execz .LBB48_121
.LBB48_172:
	ds_load_b32 v25, v24 offset:48
	s_wait_dscnt 0x0
	v_add_f32_e32 v15, v15, v25
	s_or_b32 exec_lo, exec_lo, s0
	s_and_saveexec_b32 s0, vcc_lo
	s_cbranch_execz .LBB48_122
.LBB48_173:
	ds_load_b32 v25, v24 offset:64
	s_wait_dscnt 0x0
	v_add_f32_e32 v10, v10, v25
	s_or_b32 exec_lo, exec_lo, s0
	s_and_saveexec_b32 s0, vcc_lo
	s_cbranch_execz .LBB48_123
.LBB48_174:
	ds_load_b32 v25, v24 offset:80
	s_wait_dscnt 0x0
	v_add_f32_e32 v11, v11, v25
	s_or_b32 exec_lo, exec_lo, s0
	s_and_saveexec_b32 s0, vcc_lo
	s_cbranch_execz .LBB48_124
.LBB48_175:
	ds_load_b32 v25, v24 offset:96
	s_wait_dscnt 0x0
	v_add_f32_e32 v8, v8, v25
	s_or_b32 exec_lo, exec_lo, s0
	s_and_saveexec_b32 s0, vcc_lo
	s_cbranch_execz .LBB48_125
.LBB48_176:
	ds_load_b32 v25, v24 offset:112
	s_wait_dscnt 0x0
	v_add_f32_e32 v9, v9, v25
	s_or_b32 exec_lo, exec_lo, s0
	s_and_saveexec_b32 s0, vcc_lo
	s_cbranch_execz .LBB48_126
.LBB48_177:
	ds_load_b32 v25, v24 offset:128
	s_wait_dscnt 0x0
	v_add_f32_e32 v6, v6, v25
	s_or_b32 exec_lo, exec_lo, s0
	s_and_saveexec_b32 s0, vcc_lo
	s_cbranch_execz .LBB48_127
.LBB48_178:
	ds_load_b32 v25, v24 offset:144
	s_wait_dscnt 0x0
	v_add_f32_e32 v7, v7, v25
	s_or_b32 exec_lo, exec_lo, s0
	s_and_saveexec_b32 s0, vcc_lo
	s_cbranch_execz .LBB48_128
.LBB48_179:
	ds_load_b32 v25, v24 offset:160
	s_wait_dscnt 0x0
	v_add_f32_e32 v4, v4, v25
	s_or_b32 exec_lo, exec_lo, s0
	s_and_saveexec_b32 s0, vcc_lo
	s_cbranch_execz .LBB48_129
.LBB48_180:
	ds_load_b32 v25, v24 offset:176
	s_wait_dscnt 0x0
	v_add_f32_e32 v5, v5, v25
	s_or_b32 exec_lo, exec_lo, s0
	s_and_saveexec_b32 s0, vcc_lo
	s_cbranch_execz .LBB48_130
.LBB48_181:
	ds_load_b32 v25, v24 offset:192
	s_wait_dscnt 0x0
	v_add_f32_e32 v2, v2, v25
	s_or_b32 exec_lo, exec_lo, s0
	s_and_saveexec_b32 s0, vcc_lo
	s_cbranch_execz .LBB48_131
.LBB48_182:
	ds_load_b32 v25, v24 offset:208
	s_wait_dscnt 0x0
	v_add_f32_e32 v3, v3, v25
	s_or_b32 exec_lo, exec_lo, s0
	s_and_saveexec_b32 s0, vcc_lo
	s_cbranch_execz .LBB48_132
.LBB48_183:
	ds_load_b32 v25, v24 offset:224
	s_wait_dscnt 0x0
	v_add_f32_e32 v0, v0, v25
	s_or_b32 exec_lo, exec_lo, s0
	s_and_saveexec_b32 s0, vcc_lo
	s_cbranch_execz .LBB48_133
.LBB48_184:
	ds_load_b32 v25, v24 offset:240
	s_wait_dscnt 0x0
	v_add_f32_e32 v1, v1, v25
	s_or_b32 exec_lo, exec_lo, s0
	s_and_saveexec_b32 s0, vcc_lo
	s_cbranch_execz .LBB48_134
.LBB48_185:
	ds_load_b32 v25, v24 offset:256
	s_wait_dscnt 0x0
	v_add_f32_e32 v20, v20, v25
	s_or_b32 exec_lo, exec_lo, s0
	s_and_saveexec_b32 s0, vcc_lo
	s_cbranch_execz .LBB48_135
.LBB48_186:
	ds_load_b32 v25, v24 offset:272
	s_wait_dscnt 0x0
	v_add_f32_e32 v21, v21, v25
	s_or_b32 exec_lo, exec_lo, s0
	s_and_saveexec_b32 s0, vcc_lo
	s_cbranch_execz .LBB48_136
.LBB48_187:
	ds_load_b32 v25, v24 offset:288
	s_wait_dscnt 0x0
	v_add_f32_e32 v16, v16, v25
	s_or_b32 exec_lo, exec_lo, s0
	s_and_saveexec_b32 s0, vcc_lo
	s_cbranch_execz .LBB48_137
.LBB48_188:
	ds_load_b32 v25, v24 offset:304
	s_wait_dscnt 0x0
	v_add_f32_e32 v17, v17, v25
	s_or_b32 exec_lo, exec_lo, s0
	s_and_saveexec_b32 s0, vcc_lo
	s_cbranch_execz .LBB48_138
.LBB48_189:
	ds_load_b32 v25, v24 offset:320
	s_wait_dscnt 0x0
	v_add_f32_e32 v12, v12, v25
	s_or_b32 exec_lo, exec_lo, s0
	s_and_saveexec_b32 s0, vcc_lo
	s_cbranch_execz .LBB48_139
.LBB48_190:
	ds_load_b32 v25, v24 offset:336
	s_wait_dscnt 0x0
	v_add_f32_e32 v13, v13, v25
	s_or_b32 exec_lo, exec_lo, s0
	s_and_saveexec_b32 s0, vcc_lo
	s_cbranch_execz .LBB48_140
.LBB48_191:
	ds_load_b32 v25, v24 offset:352
	s_wait_dscnt 0x0
	v_add_f32_e32 v22, v22, v25
	s_or_b32 exec_lo, exec_lo, s0
	s_and_saveexec_b32 s0, vcc_lo
	s_cbranch_execnz .LBB48_141
	s_branch .LBB48_142
	.section	.rodata,"a",@progbits
	.p2align	6, 0x0
	.amdhsa_kernel _ZN4vllm25paged_attention_v1_kernelIffLi96ELi32ELi128ELNS_18Fp8KVCacheDataTypeE0ELb0EEEvPT_PKS2_PKT0_S8_ifPKiSA_iPKfiiiSC_SC_iiiii
		.amdhsa_group_segment_fixed_size 416
		.amdhsa_private_segment_fixed_size 56
		.amdhsa_kernarg_size 384
		.amdhsa_user_sgpr_count 2
		.amdhsa_user_sgpr_dispatch_ptr 0
		.amdhsa_user_sgpr_queue_ptr 0
		.amdhsa_user_sgpr_kernarg_segment_ptr 1
		.amdhsa_user_sgpr_dispatch_id 0
		.amdhsa_user_sgpr_kernarg_preload_length 0
		.amdhsa_user_sgpr_kernarg_preload_offset 0
		.amdhsa_user_sgpr_private_segment_size 0
		.amdhsa_wavefront_size32 1
		.amdhsa_uses_dynamic_stack 0
		.amdhsa_enable_private_segment 1
		.amdhsa_system_sgpr_workgroup_id_x 1
		.amdhsa_system_sgpr_workgroup_id_y 1
		.amdhsa_system_sgpr_workgroup_id_z 1
		.amdhsa_system_sgpr_workgroup_info 0
		.amdhsa_system_vgpr_workitem_id 0
		.amdhsa_next_free_vgpr 128
		.amdhsa_next_free_sgpr 28
		.amdhsa_named_barrier_count 0
		.amdhsa_reserve_vcc 1
		.amdhsa_float_round_mode_32 0
		.amdhsa_float_round_mode_16_64 0
		.amdhsa_float_denorm_mode_32 3
		.amdhsa_float_denorm_mode_16_64 3
		.amdhsa_fp16_overflow 0
		.amdhsa_memory_ordered 1
		.amdhsa_forward_progress 1
		.amdhsa_inst_pref_size 96
		.amdhsa_round_robin_scheduling 0
		.amdhsa_exception_fp_ieee_invalid_op 0
		.amdhsa_exception_fp_denorm_src 0
		.amdhsa_exception_fp_ieee_div_zero 0
		.amdhsa_exception_fp_ieee_overflow 0
		.amdhsa_exception_fp_ieee_underflow 0
		.amdhsa_exception_fp_ieee_inexact 0
		.amdhsa_exception_int_div_zero 0
	.end_amdhsa_kernel
	.section	.text._ZN4vllm25paged_attention_v1_kernelIffLi96ELi32ELi128ELNS_18Fp8KVCacheDataTypeE0ELb0EEEvPT_PKS2_PKT0_S8_ifPKiSA_iPKfiiiSC_SC_iiiii,"axG",@progbits,_ZN4vllm25paged_attention_v1_kernelIffLi96ELi32ELi128ELNS_18Fp8KVCacheDataTypeE0ELb0EEEvPT_PKS2_PKT0_S8_ifPKiSA_iPKfiiiSC_SC_iiiii,comdat
.Lfunc_end48:
	.size	_ZN4vllm25paged_attention_v1_kernelIffLi96ELi32ELi128ELNS_18Fp8KVCacheDataTypeE0ELb0EEEvPT_PKS2_PKT0_S8_ifPKiSA_iPKfiiiSC_SC_iiiii, .Lfunc_end48-_ZN4vllm25paged_attention_v1_kernelIffLi96ELi32ELi128ELNS_18Fp8KVCacheDataTypeE0ELb0EEEvPT_PKS2_PKT0_S8_ifPKiSA_iPKfiiiSC_SC_iiiii
                                        ; -- End function
	.set _ZN4vllm25paged_attention_v1_kernelIffLi96ELi32ELi128ELNS_18Fp8KVCacheDataTypeE0ELb0EEEvPT_PKS2_PKT0_S8_ifPKiSA_iPKfiiiSC_SC_iiiii.num_vgpr, 128
	.set _ZN4vllm25paged_attention_v1_kernelIffLi96ELi32ELi128ELNS_18Fp8KVCacheDataTypeE0ELb0EEEvPT_PKS2_PKT0_S8_ifPKiSA_iPKfiiiSC_SC_iiiii.num_agpr, 0
	.set _ZN4vllm25paged_attention_v1_kernelIffLi96ELi32ELi128ELNS_18Fp8KVCacheDataTypeE0ELb0EEEvPT_PKS2_PKT0_S8_ifPKiSA_iPKfiiiSC_SC_iiiii.numbered_sgpr, 28
	.set _ZN4vllm25paged_attention_v1_kernelIffLi96ELi32ELi128ELNS_18Fp8KVCacheDataTypeE0ELb0EEEvPT_PKS2_PKT0_S8_ifPKiSA_iPKfiiiSC_SC_iiiii.num_named_barrier, 0
	.set _ZN4vllm25paged_attention_v1_kernelIffLi96ELi32ELi128ELNS_18Fp8KVCacheDataTypeE0ELb0EEEvPT_PKS2_PKT0_S8_ifPKiSA_iPKfiiiSC_SC_iiiii.private_seg_size, 56
	.set _ZN4vllm25paged_attention_v1_kernelIffLi96ELi32ELi128ELNS_18Fp8KVCacheDataTypeE0ELb0EEEvPT_PKS2_PKT0_S8_ifPKiSA_iPKfiiiSC_SC_iiiii.uses_vcc, 1
	.set _ZN4vllm25paged_attention_v1_kernelIffLi96ELi32ELi128ELNS_18Fp8KVCacheDataTypeE0ELb0EEEvPT_PKS2_PKT0_S8_ifPKiSA_iPKfiiiSC_SC_iiiii.uses_flat_scratch, 1
	.set _ZN4vllm25paged_attention_v1_kernelIffLi96ELi32ELi128ELNS_18Fp8KVCacheDataTypeE0ELb0EEEvPT_PKS2_PKT0_S8_ifPKiSA_iPKfiiiSC_SC_iiiii.has_dyn_sized_stack, 0
	.set _ZN4vllm25paged_attention_v1_kernelIffLi96ELi32ELi128ELNS_18Fp8KVCacheDataTypeE0ELb0EEEvPT_PKS2_PKT0_S8_ifPKiSA_iPKfiiiSC_SC_iiiii.has_recursion, 0
	.set _ZN4vllm25paged_attention_v1_kernelIffLi96ELi32ELi128ELNS_18Fp8KVCacheDataTypeE0ELb0EEEvPT_PKS2_PKT0_S8_ifPKiSA_iPKfiiiSC_SC_iiiii.has_indirect_call, 0
	.section	.AMDGPU.csdata,"",@progbits
; Kernel info:
; codeLenInByte = 12188
; TotalNumSgprs: 30
; NumVgprs: 128
; ScratchSize: 56
; MemoryBound: 0
; FloatMode: 240
; IeeeMode: 1
; LDSByteSize: 416 bytes/workgroup (compile time only)
; SGPRBlocks: 0
; VGPRBlocks: 7
; NumSGPRsForWavesPerEU: 30
; NumVGPRsForWavesPerEU: 128
; NamedBarCnt: 0
; Occupancy: 8
; WaveLimiterHint : 1
; COMPUTE_PGM_RSRC2:SCRATCH_EN: 1
; COMPUTE_PGM_RSRC2:USER_SGPR: 2
; COMPUTE_PGM_RSRC2:TRAP_HANDLER: 0
; COMPUTE_PGM_RSRC2:TGID_X_EN: 1
; COMPUTE_PGM_RSRC2:TGID_Y_EN: 1
; COMPUTE_PGM_RSRC2:TGID_Z_EN: 1
; COMPUTE_PGM_RSRC2:TIDIG_COMP_CNT: 0
	.section	.text._ZN4vllm25paged_attention_v1_kernelIffLi112ELi32ELi128ELNS_18Fp8KVCacheDataTypeE0ELb0EEEvPT_PKS2_PKT0_S8_ifPKiSA_iPKfiiiSC_SC_iiiii,"axG",@progbits,_ZN4vllm25paged_attention_v1_kernelIffLi112ELi32ELi128ELNS_18Fp8KVCacheDataTypeE0ELb0EEEvPT_PKS2_PKT0_S8_ifPKiSA_iPKfiiiSC_SC_iiiii,comdat
	.protected	_ZN4vllm25paged_attention_v1_kernelIffLi112ELi32ELi128ELNS_18Fp8KVCacheDataTypeE0ELb0EEEvPT_PKS2_PKT0_S8_ifPKiSA_iPKfiiiSC_SC_iiiii ; -- Begin function _ZN4vllm25paged_attention_v1_kernelIffLi112ELi32ELi128ELNS_18Fp8KVCacheDataTypeE0ELb0EEEvPT_PKS2_PKT0_S8_ifPKiSA_iPKfiiiSC_SC_iiiii
	.globl	_ZN4vllm25paged_attention_v1_kernelIffLi112ELi32ELi128ELNS_18Fp8KVCacheDataTypeE0ELb0EEEvPT_PKS2_PKT0_S8_ifPKiSA_iPKfiiiSC_SC_iiiii
	.p2align	8
	.type	_ZN4vllm25paged_attention_v1_kernelIffLi112ELi32ELi128ELNS_18Fp8KVCacheDataTypeE0ELb0EEEvPT_PKS2_PKT0_S8_ifPKiSA_iPKfiiiSC_SC_iiiii,@function
_ZN4vllm25paged_attention_v1_kernelIffLi112ELi32ELi128ELNS_18Fp8KVCacheDataTypeE0ELb0EEEvPT_PKS2_PKT0_S8_ifPKiSA_iPKfiiiSC_SC_iiiii: ; @_ZN4vllm25paged_attention_v1_kernelIffLi112ELi32ELi128ELNS_18Fp8KVCacheDataTypeE0ELb0EEEvPT_PKS2_PKT0_S8_ifPKiSA_iPKfiiiSC_SC_iiiii
; %bb.0:
	s_load_b64 s[6:7], s[0:1], 0x20
	s_bfe_u32 s3, ttmp6, 0x4000c
	s_bfe_u32 s5, ttmp6, 0x40010
	s_and_b32 s4, ttmp7, 0xffff
	s_add_co_i32 s3, s3, 1
	s_add_co_i32 s5, s5, 1
	s_and_b32 s2, ttmp6, 15
	s_bfe_u32 s8, ttmp6, 0x40004
	s_mul_i32 s3, ttmp9, s3
	s_mul_i32 s5, s4, s5
	s_getreg_b32 s20, hwreg(HW_REG_IB_STS2, 6, 4)
	s_add_co_i32 s2, s2, s3
	s_add_co_i32 s8, s8, s5
	s_cmp_eq_u32 s20, 0
	v_mov_b32_e32 v123, v0
	s_cselect_b32 s22, s4, s8
	s_cselect_b32 s8, ttmp9, s2
	s_clause 0x1
	s_load_b32 s21, s[0:1], 0x80
	s_load_b64 s[10:11], s[0:1], 0x30
	s_wait_kmcnt 0x0
	s_abs_i32 s2, s6
	s_delay_alu instid0(SALU_CYCLE_1) | instskip(SKIP_1) | instid1(SALU_CYCLE_2)
	s_cvt_f32_u32 s3, s2
	s_sub_co_i32 s4, 0, s2
	v_rcp_iflag_f32_e32 v0, s3
	v_nop
	s_delay_alu instid0(TRANS32_DEP_1) | instskip(SKIP_2) | instid1(SALU_CYCLE_3)
	v_readfirstlane_b32 s3, v0
	s_abs_i32 s5, s21
	s_mul_f32 s3, s3, 0x4f7ffffe
	s_cvt_u32_f32 s3, s3
	s_delay_alu instid0(SALU_CYCLE_3) | instskip(NEXT) | instid1(SALU_CYCLE_1)
	s_mul_i32 s4, s4, s3
	s_mul_hi_u32 s4, s3, s4
	s_delay_alu instid0(SALU_CYCLE_1) | instskip(SKIP_4) | instid1(SALU_CYCLE_1)
	s_add_co_i32 s3, s3, s4
	s_xor_b32 s4, s21, s6
	s_mul_hi_u32 s3, s5, s3
	s_ashr_i32 s4, s4, 31
	s_mul_i32 s6, s3, s2
	s_sub_co_i32 s5, s5, s6
	s_add_co_i32 s6, s3, 1
	s_sub_co_i32 s9, s5, s2
	s_cmp_ge_u32 s5, s2
	s_cselect_b32 s3, s6, s3
	s_cselect_b32 s5, s9, s5
	s_add_co_i32 s6, s3, 1
	s_cmp_ge_u32 s5, s2
	s_cselect_b32 s2, s6, s3
	s_mov_b32 s3, 0
	s_xor_b32 s2, s2, s4
	s_mov_b32 s13, s3
	s_sub_co_i32 s15, s2, s4
	s_load_b64 s[4:5], s[0:1], 0x40
	s_abs_i32 s14, s15
	s_mov_b32 s24, s3
	s_cvt_f32_u32 s2, s14
	s_delay_alu instid0(SALU_CYCLE_3) | instskip(SKIP_1) | instid1(TRANS32_DEP_1)
	v_rcp_iflag_f32_e32 v0, s2
	v_nop
	v_readfirstlane_b32 s2, v0
	s_mul_f32 s2, s2, 0x4f7ffffe
	s_delay_alu instid0(SALU_CYCLE_3) | instskip(SKIP_1) | instid1(SALU_CYCLE_2)
	s_cvt_u32_f32 s6, s2
	s_sub_co_i32 s2, 0, s14
	s_mul_i32 s2, s2, s6
	s_delay_alu instid0(SALU_CYCLE_1)
	s_mul_hi_u32 s9, s6, s2
	s_abs_i32 s2, s8
	s_add_co_i32 s12, s6, s9
	s_wait_kmcnt 0x0
	s_cmp_eq_u64 s[4:5], 0
	s_cbranch_scc1 .LBB49_2
; %bb.1:
	s_ashr_i32 s9, s8, 31
	s_delay_alu instid0(SALU_CYCLE_1) | instskip(NEXT) | instid1(SALU_CYCLE_1)
	s_lshl_b64 s[16:17], s[8:9], 2
	s_add_nc_u64 s[4:5], s[4:5], s[16:17]
	s_load_b32 s24, s[4:5], 0x0
.LBB49_2:
	s_load_b32 s23, s[10:11], s22 offset:0x0 scale_offset
	s_wait_xcnt 0x0
	s_load_b96 s[4:6], s[0:1], 0x48
	v_lshlrev_b32_e32 v24, 4, v123
	s_ashr_i32 s10, s8, 31
	s_ashr_i32 s11, s15, 31
	s_mul_u64 s[12:13], s[2:3], s[12:13]
	s_mulk_i32 s8, 0x70
	s_mov_b32 s3, exec_lo
	v_cmpx_gt_u32_e32 28, v123
	s_cbranch_execz .LBB49_4
; %bb.3:
	s_load_b64 s[16:17], s[0:1], 0x8
	s_wait_kmcnt 0x0
	s_mul_i32 s18, s4, s22
	s_ashr_i32 s9, s8, 31
	s_ashr_i32 s19, s18, 31
	s_delay_alu instid0(SALU_CYCLE_1) | instskip(NEXT) | instid1(SALU_CYCLE_1)
	s_lshl_b64 s[18:19], s[18:19], 2
	s_add_nc_u64 s[16:17], s[16:17], s[18:19]
	s_lshl_b64 s[18:19], s[8:9], 2
	s_delay_alu instid0(SALU_CYCLE_1)
	s_add_nc_u64 s[16:17], s[16:17], s[18:19]
	global_load_b128 v[0:3], v123, s[16:17] scale_offset
	s_wait_loadcnt 0x0
	ds_store_b128 v24, v[0:3]
.LBB49_4:
	s_or_b32 exec_lo, exec_lo, s3
	s_wait_kmcnt 0x0
	s_add_co_i32 s3, s23, 31
	s_load_b32 s12, s[0:1], 0x38
	s_ashr_i32 s4, s3, 31
	s_mul_i32 s9, s13, s14
	s_lshr_b32 s4, s4, 27
	s_xor_b32 s15, s10, s11
	s_add_co_i32 s3, s3, s4
	s_clause 0x1
	s_load_b64 s[10:11], s[0:1], 0x28
	s_load_b32 s4, s[0:1], 0x88
	s_sub_co_i32 s2, s2, s9
	s_ashr_i32 s9, s3, 5
	s_add_co_i32 s3, s13, 1
	s_sub_co_i32 s16, s2, s14
	s_cmp_ge_u32 s2, s14
	v_dual_lshrrev_b32 v0, 5, v123 :: v_dual_bitop2_b32 v14, 31, v123 bitop3:0x40
	s_cselect_b32 s3, s3, s13
	s_cselect_b32 s2, s16, s2
	s_add_co_i32 s13, s3, 1
	s_cmp_ge_u32 s2, s14
	v_dual_mov_b32 v119, 0xff7fffff :: v_dual_lshlrev_b32 v118, 2, v14
	s_cselect_b32 s2, s13, s3
	v_lshrrev_b32_e32 v116, 3, v123
	s_xor_b32 s2, s2, s15
	s_wait_kmcnt 0x0
	s_mul_i32 s12, s12, s22
	s_sub_co_i32 s3, s2, s15
	v_cmp_gt_i32_e64 s2, s9, v0
	s_ashr_i32 s13, s12, 31
	s_mul_i32 s14, s3, s6
	s_wait_dscnt 0x0
	s_barrier_signal -1
	scratch_store_b32 off, v0, off offset:112 ; 4-byte Folded Spill
	s_barrier_wait -1
	s_wait_storecnt 0x0
	s_wait_xcnt 0x0
	s_mov_b32 s6, exec_lo
	s_delay_alu instid0(SALU_CYCLE_1)
	s_and_b32 s3, s6, s2
	scratch_store_b32 off, v14, off offset:128 ; 4-byte Folded Spill
	s_wait_xcnt 0x0
	s_mov_b32 exec_lo, s3
	s_cbranch_execz .LBB49_8
; %bb.5:
	v_dual_mov_b32 v8, v24 :: v_dual_mov_b32 v115, 0
	v_lshlrev_b32_e32 v114, 4, v14
	s_load_b64 s[18:19], s[0:1], 0x10
	s_ashr_i32 s15, s14, 31
	s_ashr_i32 s17, s5, 31
	ds_load_b128 v[0:3], v115
	ds_load_b128 v[10:13], v115 offset:32
	s_lshl_b64 s[26:27], s[14:15], 2
	s_cmp_neq_f32 s24, 0
	v_dual_mov_b32 v9, v116 :: v_dual_lshrrev_b32 v122, 5, v123
	v_mov_b32_e32 v119, 0xff7fffff
	s_cselect_b32 vcc_lo, -1, 0
	s_mov_b32 s16, s5
	s_mov_b32 s15, 0
	s_wait_kmcnt 0x0
	s_add_nc_u64 s[18:19], s[18:19], s[26:27]
	s_wait_dscnt 0x1
	scratch_store_b128 off, v[0:3], off     ; 16-byte Folded Spill
	s_wait_xcnt 0x0
	ds_load_b128 v[0:3], v115 offset:16
	s_wait_dscnt 0x0
	scratch_store_b128 off, v[0:3], off offset:16 ; 16-byte Folded Spill
	s_wait_xcnt 0x0
	v_mov_b32_e32 v1, v14
	ds_load_b128 v[14:17], v115 offset:48
	ds_load_b128 v[18:21], v115 offset:64
	;; [unrolled: 1-line block ×25, first 2 shown]
	v_add_nc_u64_e32 v[2:3], s[18:19], v[114:115]
	v_and_b32_e32 v114, 0x7c, v116
	s_lshl_b64 s[18:19], s[12:13], 2
	v_lshl_or_b32 v0, v122, 7, v118
	s_add_nc_u64 s[18:19], s[10:11], s[18:19]
	v_lshl_or_b32 v120, v122, 5, v1
	v_add_nc_u64_e32 v[114:115], s[18:19], v[114:115]
	s_sub_co_i32 s18, 1, s23
	v_add_nc_u32_e32 v121, 0x1e0, v0
	scratch_store_b64 off, v[2:3], off offset:32 ; 8-byte Folded Spill
.LBB49_6:                               ; =>This Inner Loop Header: Depth=1
	global_load_b32 v116, v[114:115], off
	scratch_load_b64 v[0:1], off, off offset:32 ; 8-byte Folded Reload
	v_cmp_gt_i32_e64 s3, s23, v120
	s_wait_xcnt 0x1
	v_add_nc_u64_e32 v[114:115], 16, v[114:115]
	s_wait_loadcnt 0x1
	v_dual_add_nc_u32 v122, 4, v122 :: v_dual_ashrrev_i32 v117, 31, v116
	s_delay_alu instid0(VALU_DEP_1) | instskip(SKIP_1) | instid1(VALU_DEP_1)
	v_mul_u64_e32 v[116:117], s[16:17], v[116:117]
	s_wait_loadcnt 0x0
	v_lshl_add_u64 v[116:117], v[116:117], 2, v[0:1]
	global_load_b128 v[124:127], v[116:117], off offset:512
	scratch_load_b128 v[0:3], off, off offset:16 ; 16-byte Folded Reload
	s_wait_loadcnt 0x0
	v_pk_mul_f32 v[0:1], v[0:1], v[124:125]
	v_pk_mul_f32 v[2:3], v[2:3], v[126:127]
	global_load_b128 v[124:127], v[116:117], off
	scratch_load_b128 v[4:7], off, off      ; 16-byte Folded Reload
	s_wait_loadcnt 0x0
	v_pk_fma_f32 v[0:1], v[4:5], v[124:125], v[0:1]
	v_pk_fma_f32 v[2:3], v[6:7], v[126:127], v[2:3]
	global_load_b128 v[124:127], v[116:117], off offset:1024
	s_wait_loadcnt 0x0
	v_pk_fma_f32 v[0:1], v[10:11], v[124:125], v[0:1]
	v_pk_fma_f32 v[2:3], v[12:13], v[126:127], v[2:3]
	global_load_b128 v[124:127], v[116:117], off offset:1536
	s_wait_loadcnt_dscnt 0x18
	v_pk_fma_f32 v[0:1], v[14:15], v[124:125], v[0:1]
	v_pk_fma_f32 v[2:3], v[16:17], v[126:127], v[2:3]
	global_load_b128 v[124:127], v[116:117], off offset:2048
	s_wait_loadcnt_dscnt 0x17
	;; [unrolled: 4-line block ×25, first 2 shown]
	v_pk_fma_f32 v[0:1], v[110:111], v[124:125], v[0:1]
	v_pk_fma_f32 v[2:3], v[112:113], v[126:127], v[2:3]
	s_delay_alu instid0(VALU_DEP_2) | instskip(SKIP_1) | instid1(VALU_DEP_2)
	v_dual_add_f32 v0, v0, v1 :: v_dual_add_nc_u32 v1, s18, v120
	v_add_nc_u32_e32 v120, 0x80, v120
	v_cvt_f32_i32_e32 v1, v1
	s_delay_alu instid0(VALU_DEP_1) | instskip(NEXT) | instid1(VALU_DEP_1)
	v_dual_add_f32 v0, v2, v0 :: v_dual_mul_f32 v1, s24, v1
	v_dual_add_f32 v0, v3, v0 :: v_dual_cndmask_b32 v1, 0, v1
	s_delay_alu instid0(VALU_DEP_1) | instskip(NEXT) | instid1(VALU_DEP_1)
	v_dual_fmac_f32 v1, s7, v0 :: v_dual_max_num_f32 v0, v119, v119
	v_max_num_f32_e32 v0, v0, v1
	s_delay_alu instid0(VALU_DEP_1)
	v_dual_cndmask_b32 v119, v119, v0, s3 :: v_dual_cndmask_b32 v0, 0, v1, s3
	v_cmp_le_i32_e64 s3, s9, v122
	ds_store_b32 v121, v0
	v_add_nc_u32_e32 v121, 0x200, v121
	s_or_b32 s15, s3, s15
	s_wait_xcnt 0x0
	s_and_not1_b32 exec_lo, exec_lo, s15
	s_cbranch_execnz .LBB49_6
; %bb.7:
	s_or_b32 exec_lo, exec_lo, s15
	v_dual_mov_b32 v24, v8 :: v_dual_bitop2_b32 v14, 31, v123 bitop3:0x40
	v_mov_b32_e32 v116, v9
.LBB49_8:
	s_or_b32 exec_lo, exec_lo, s6
	v_mbcnt_lo_u32_b32 v2, -1, 0
	s_clause 0x1
	s_load_b64 s[6:7], s[0:1], 0x0
	s_load_b64 s[16:17], s[0:1], 0x18
	s_delay_alu instid0(VALU_DEP_1) | instskip(SKIP_1) | instid1(VALU_DEP_2)
	v_dual_max_num_f32 v4, v119, v119 :: v_dual_bitop2_b32 v0, 16, v2 bitop3:0x14
	v_xor_b32_e32 v3, 8, v2
	v_cmp_gt_i32_e32 vcc_lo, 32, v0
	v_cndmask_b32_e32 v0, v2, v0, vcc_lo
	s_delay_alu instid0(VALU_DEP_3) | instskip(NEXT) | instid1(VALU_DEP_2)
	v_cmp_gt_i32_e32 vcc_lo, 32, v3
	v_dual_cndmask_b32 v3, v2, v3 :: v_dual_lshlrev_b32 v0, 2, v0
	ds_bpermute_b32 v1, v0, v119
	s_wait_dscnt 0x0
	v_dual_max_num_f32 v5, v1, v1 :: v_dual_lshlrev_b32 v1, 2, v3
	s_delay_alu instid0(VALU_DEP_1) | instskip(SKIP_4) | instid1(VALU_DEP_1)
	v_dual_max_num_f32 v3, v4, v5 :: v_dual_bitop2_b32 v5, 4, v2 bitop3:0x14
	ds_bpermute_b32 v4, v1, v3
	v_cmp_gt_i32_e32 vcc_lo, 32, v5
	s_wait_dscnt 0x0
	v_dual_cndmask_b32 v5, v2, v5 :: v_dual_max_num_f32 v4, v4, v4
	v_dual_lshlrev_b32 v5, 2, v5 :: v_dual_max_num_f32 v3, v3, v4
	scratch_store_b32 off, v5, off offset:104 ; 4-byte Folded Spill
	ds_bpermute_b32 v4, v5, v3
	s_wait_dscnt 0x0
	s_wait_xcnt 0x0
	v_dual_max_num_f32 v4, v4, v4 :: v_dual_bitop2_b32 v5, 2, v2 bitop3:0x14
	s_delay_alu instid0(VALU_DEP_1) | instskip(NEXT) | instid1(VALU_DEP_2)
	v_cmp_gt_i32_e32 vcc_lo, 32, v5
	v_dual_max_num_f32 v3, v3, v4 :: v_dual_cndmask_b32 v5, v2, v5, vcc_lo
	s_delay_alu instid0(VALU_DEP_1) | instskip(SKIP_4) | instid1(VALU_DEP_2)
	v_dual_lshlrev_b32 v6, 2, v5 :: v_dual_bitop2_b32 v5, 1, v2 bitop3:0x14
	ds_bpermute_b32 v4, v6, v3
	v_cmp_gt_i32_e32 vcc_lo, 32, v5
	v_cndmask_b32_e32 v2, v2, v5, vcc_lo
	v_cmp_eq_u32_e32 vcc_lo, 0, v14
	v_dual_lshlrev_b32 v5, 2, v2 :: v_dual_lshrrev_b32 v2, 5, v123
	s_wait_dscnt 0x0
	s_delay_alu instid0(VALU_DEP_1) | instskip(NEXT) | instid1(VALU_DEP_1)
	v_dual_lshlrev_b32 v2, 2, v2 :: v_dual_max_num_f32 v4, v4, v4
	v_max_num_f32_e32 v3, v3, v4
	ds_bpermute_b32 v4, v5, v3
	s_and_saveexec_b32 s0, vcc_lo
	s_cbranch_execz .LBB49_10
; %bb.9:
	s_wait_dscnt 0x0
	v_dual_max_num_f32 v4, v4, v4 :: v_dual_max_num_f32 v3, v3, v3
	s_delay_alu instid0(VALU_DEP_1)
	v_max_num_f32_e32 v3, v3, v4
	ds_store_b32 v2, v3 offset:448
.LBB49_10:
	s_or_b32 exec_lo, exec_lo, s0
	v_cmp_gt_u32_e64 s0, 4, v14
	v_mov_b32_e32 v3, 0xff7fffff
	s_wait_storecnt_dscnt 0x0
	s_barrier_signal -1
	s_barrier_wait -1
	s_and_saveexec_b32 s1, s0
; %bb.11:
	ds_load_b32 v3, v118 offset:448
; %bb.12:
	s_or_b32 exec_lo, exec_lo, s1
	s_wait_dscnt 0x0
	ds_bpermute_b32 v4, v6, v3
	v_max_num_f32_e32 v3, v3, v3
	s_lshl_b32 s1, s9, 5
	s_delay_alu instid0(SALU_CYCLE_1) | instskip(NEXT) | instid1(SALU_CYCLE_1)
	s_min_i32 s15, s1, s23
	v_cmp_gt_i32_e64 s1, s15, v123
	s_wait_dscnt 0x0
	v_max_num_f32_e32 v4, v4, v4
	s_delay_alu instid0(VALU_DEP_1) | instskip(SKIP_3) | instid1(VALU_DEP_1)
	v_max_num_f32_e32 v3, v3, v4
	ds_bpermute_b32 v4, v5, v3
	s_wait_dscnt 0x0
	v_max_num_f32_e32 v4, v4, v4
	v_dual_max_num_f32 v4, v3, v4 :: v_dual_mov_b32 v3, 0
	ds_bpermute_b32 v4, v3, v4
	s_mov_b32 s18, exec_lo
	s_delay_alu instid0(SALU_CYCLE_1)
	s_and_b32 s3, s18, s1
	s_clause 0x1
	scratch_store_b32 off, v5, off offset:116
	scratch_store_b32 off, v6, off offset:120
	s_wait_xcnt 0x0
	s_mov_b32 exec_lo, s3
	s_cbranch_execz .LBB49_16
; %bb.13:
	v_lshl_add_u32 v5, v123, 2, 0x1e0
	v_dual_mov_b32 v3, 0 :: v_dual_mov_b32 v6, v123
	s_mov_b32 s19, 0
.LBB49_14:                              ; =>This Inner Loop Header: Depth=1
	ds_load_b32 v7, v5
	v_add_nc_u32_e32 v6, 0x80, v6
	s_delay_alu instid0(VALU_DEP_1) | instskip(SKIP_3) | instid1(VALU_DEP_1)
	v_cmp_le_i32_e64 s3, s15, v6
	s_or_b32 s19, s3, s19
	s_wait_dscnt 0x0
	v_sub_f32_e32 v7, v7, v4
	v_mul_f32_e32 v7, 0x3fb8aa3b, v7
	s_delay_alu instid0(VALU_DEP_1)
	v_exp_f32_e32 v7, v7
	ds_store_b32 v5, v7
	v_nop
	v_add_f32_e32 v3, v3, v7
	v_add_nc_u32_e32 v5, 0x200, v5
	s_and_not1_b32 exec_lo, exec_lo, s19
	s_cbranch_execnz .LBB49_14
; %bb.15:
	s_or_b32 exec_lo, exec_lo, s19
	s_clause 0x1
	scratch_load_b32 v5, off, off offset:116
	scratch_load_b32 v6, off, off offset:120
.LBB49_16:
	s_wait_xcnt 0x0
	s_or_b32 exec_lo, exec_lo, s18
	ds_bpermute_b32 v0, v0, v3
	s_wait_dscnt 0x0
	v_add_f32_e32 v0, v3, v0
	ds_bpermute_b32 v1, v1, v0
	s_wait_dscnt 0x0
	v_add_f32_e32 v0, v0, v1
	scratch_load_b32 v1, off, off offset:104 ; 4-byte Folded Reload
	s_wait_loadcnt 0x0
	ds_bpermute_b32 v1, v1, v0
	s_wait_dscnt 0x0
	v_add_f32_e32 v0, v0, v1
	ds_bpermute_b32 v1, v6, v0
	s_wait_dscnt 0x0
	v_add_f32_e32 v0, v0, v1
	;; [unrolled: 3-line block ×3, first 2 shown]
	s_wait_xcnt 0x0
	s_and_saveexec_b32 s3, vcc_lo
; %bb.17:
	ds_store_b32 v2, v0 offset:464
; %bb.18:
	s_or_b32 exec_lo, exec_lo, s3
	s_wait_storecnt_dscnt 0x0
	s_barrier_signal -1
	s_barrier_wait -1
	s_and_saveexec_b32 s3, s0
; %bb.19:
	ds_load_b32 v0, v118 offset:464
; %bb.20:
	s_or_b32 exec_lo, exec_lo, s3
	s_wait_dscnt 0x0
	ds_bpermute_b32 v1, v6, v0
	s_wait_dscnt 0x0
	v_dual_mov_b32 v23, 0 :: v_dual_add_f32 v0, v0, v1
	ds_bpermute_b32 v1, v5, v0
	s_wait_dscnt 0x0
	v_add_f32_e32 v0, v0, v1
	ds_bpermute_b32 v0, v23, v0
	s_and_saveexec_b32 s0, s1
	s_cbranch_execz .LBB49_33
; %bb.21:
	s_wait_dscnt 0x0
	v_add_f32_e32 v0, 0x358637bd, v0
	s_mov_b32 s3, -1
	s_mov_b32 s1, exec_lo
	s_delay_alu instid0(VALU_DEP_1) | instskip(NEXT) | instid1(VALU_DEP_1)
	v_div_scale_f32 v1, null, v0, v0, 1.0
	v_rcp_f32_e32 v3, v1
	v_nop
	s_delay_alu instid0(TRANS32_DEP_1) | instskip(NEXT) | instid1(VALU_DEP_1)
	v_fma_f32 v2, -v1, v3, 1.0
	v_fmac_f32_e32 v3, v2, v3
	v_div_scale_f32 v4, vcc_lo, 1.0, v0, 1.0
	s_delay_alu instid0(VALU_DEP_1) | instskip(NEXT) | instid1(VALU_DEP_1)
	v_mul_f32_e32 v5, v4, v3
	v_fma_f32 v2, -v1, v5, v4
	s_delay_alu instid0(VALU_DEP_1) | instskip(SKIP_1) | instid1(VALU_DEP_2)
	v_fmac_f32_e32 v5, v2, v3
	v_xad_u32 v2, v123, -1, s15
	v_fma_f32 v1, -v1, v5, v4
	s_delay_alu instid0(VALU_DEP_1) | instskip(NEXT) | instid1(VALU_DEP_1)
	v_div_fmas_f32 v1, v1, v3, v5
	v_div_fixup_f32 v0, v1, v0, 1.0
	v_mov_b32_e32 v1, v123
	v_cmpx_lt_u32_e32 0x7f, v2
	s_cbranch_execz .LBB49_30
; %bb.22:
	s_delay_alu instid0(VALU_DEP_3) | instskip(NEXT) | instid1(VALU_DEP_1)
	v_dual_mov_b32 v1, v0 :: v_dual_lshrrev_b32 v2, 7, v2
	v_dual_mov_b32 v6, 0 :: v_dual_add_nc_u32 v3, -1, v2
	s_delay_alu instid0(VALU_DEP_1) | instskip(SKIP_1) | instid1(VALU_DEP_2)
	v_lshrrev_b32_e32 v4, 1, v3
	v_cmp_lt_u32_e32 vcc_lo, 13, v3
	v_add_nc_u32_e32 v3, 1, v4
	s_and_saveexec_b32 s3, vcc_lo
	s_cbranch_execz .LBB49_26
; %bb.23:
	s_delay_alu instid0(VALU_DEP_1)
	v_and_b32_e32 v4, -8, v3
	v_lshl_add_u32 v5, v123, 2, 0x1e0
	s_mov_b32 s18, 0
	s_mov_b32 s19, 0
.LBB49_24:                              ; =>This Inner Loop Header: Depth=1
	ds_load_2addr_stride64_b32 v[6:7], v5 offset1:2
	ds_load_2addr_stride64_b32 v[8:9], v5 offset0:4 offset1:6
	ds_load_2addr_stride64_b32 v[10:11], v5 offset0:8 offset1:10
	;; [unrolled: 1-line block ×7, first 2 shown]
	s_add_co_i32 s19, s19, 16
	v_add_nc_u32_e32 v4, -8, v4
	s_wait_dscnt 0x7
	v_pk_mul_f32 v[6:7], v[0:1], v[6:7]
	s_wait_dscnt 0x6
	v_pk_mul_f32 v[8:9], v[0:1], v[8:9]
	;; [unrolled: 2-line block ×8, first 2 shown]
	ds_store_2addr_stride64_b32 v5, v6, v7 offset1:2
	ds_store_2addr_stride64_b32 v5, v8, v9 offset0:4 offset1:6
	ds_store_2addr_stride64_b32 v5, v10, v11 offset0:8 offset1:10
	;; [unrolled: 1-line block ×7, first 2 shown]
	v_mov_b32_e32 v6, s19
	v_cmp_eq_u32_e32 vcc_lo, 0, v4
	v_add_nc_u32_e32 v5, 0x2000, v5
	s_or_b32 s18, vcc_lo, s18
	s_delay_alu instid0(SALU_CYCLE_1)
	s_and_not1_b32 exec_lo, exec_lo, s18
	s_cbranch_execnz .LBB49_24
; %bb.25:
	s_or_b32 exec_lo, exec_lo, s18
.LBB49_26:
	s_delay_alu instid0(SALU_CYCLE_1) | instskip(NEXT) | instid1(VALU_DEP_1)
	s_or_b32 exec_lo, exec_lo, s3
	v_and_b32_e32 v3, 7, v3
	s_mov_b32 s18, 0
	s_mov_b32 s3, exec_lo
	s_delay_alu instid0(VALU_DEP_1)
	v_cmpx_ne_u32_e32 0, v3
	s_cbranch_execz .LBB49_29
; %bb.27:
	v_dual_lshlrev_b32 v4, 9, v6 :: v_dual_lshlrev_b32 v5, 2, v123
	s_delay_alu instid0(VALU_DEP_1)
	v_add3_u32 v4, v4, v5, 0x1e0
.LBB49_28:                              ; =>This Inner Loop Header: Depth=1
	ds_load_2addr_stride64_b32 v[6:7], v4 offset1:2
	v_add_nc_u32_e32 v3, -1, v3
	s_delay_alu instid0(VALU_DEP_1)
	v_cmp_eq_u32_e32 vcc_lo, 0, v3
	s_or_b32 s18, vcc_lo, s18
	s_wait_dscnt 0x0
	v_pk_mul_f32 v[6:7], v[0:1], v[6:7]
	ds_store_2addr_stride64_b32 v4, v6, v7 offset1:2
	v_add_nc_u32_e32 v4, 0x400, v4
	s_and_not1_b32 exec_lo, exec_lo, s18
	s_cbranch_execnz .LBB49_28
.LBB49_29:
	s_or_b32 exec_lo, exec_lo, s3
	v_add_nc_u32_e32 v1, 1, v2
	s_delay_alu instid0(VALU_DEP_1) | instskip(NEXT) | instid1(VALU_DEP_1)
	v_and_b32_e32 v2, 0x3fffffe, v1
	v_cmp_ne_u32_e32 vcc_lo, v1, v2
	v_lshl_add_u32 v1, v2, 7, v123
	s_or_not1_b32 s3, vcc_lo, exec_lo
.LBB49_30:
	s_or_b32 exec_lo, exec_lo, s1
	s_delay_alu instid0(SALU_CYCLE_1)
	s_and_b32 exec_lo, exec_lo, s3
	s_cbranch_execz .LBB49_33
; %bb.31:
	v_lshl_add_u32 v2, v1, 2, 0x1e0
	s_mov_b32 s1, 0
.LBB49_32:                              ; =>This Inner Loop Header: Depth=1
	ds_load_b32 v3, v2
	v_add_nc_u32_e32 v1, 0x80, v1
	s_delay_alu instid0(VALU_DEP_1)
	v_cmp_le_i32_e32 vcc_lo, s15, v1
	s_or_b32 s1, vcc_lo, s1
	s_wait_dscnt 0x0
	v_mul_f32_e32 v3, v0, v3
	ds_store_b32 v2, v3
	v_add_nc_u32_e32 v2, 0x200, v2
	s_and_not1_b32 exec_lo, exec_lo, s1
	s_cbranch_execnz .LBB49_32
.LBB49_33:
	s_or_b32 exec_lo, exec_lo, s0
	s_wait_dscnt 0x0
	v_dual_mov_b32 v22, 0 :: v_dual_bitop2_b32 v0, 7, v123 bitop3:0x40
	scratch_store_b32 off, v123, off offset:108 ; 4-byte Folded Spill
	v_dual_mov_b32 v49, 0 :: v_dual_mov_b32 v48, 0
	s_clause 0x1
	scratch_store_b32 off, v0, off offset:124
	scratch_store_b64 off, v[22:23], off offset:48
	v_dual_mov_b32 v51, 0 :: v_dual_mov_b32 v50, 0
	v_dual_mov_b32 v57, 0 :: v_dual_mov_b32 v56, 0
	;; [unrolled: 1-line block ×4, first 2 shown]
	s_wait_xcnt 0x1
	v_dual_mov_b32 v1, 0 :: v_dual_mov_b32 v0, 0
	v_dual_mov_b32 v3, 0 :: v_dual_mov_b32 v2, 0
	;; [unrolled: 1-line block ×8, first 2 shown]
	s_wait_storecnt 0x0
	s_barrier_signal -1
	s_barrier_wait -1
	s_wait_xcnt 0x0
	s_and_saveexec_b32 s18, s2
	s_cbranch_execz .LBB49_93
; %bb.34:
	s_clause 0x2
	scratch_load_b32 v0, off, off offset:108
	scratch_load_b32 v1, off, off offset:124
	;; [unrolled: 1-line block ×3, first 2 shown]
	s_ashr_i32 s15, s14, 31
	v_and_b32_e32 v8, 0x1f0, v24
	s_lshl_b64 s[0:1], s[14:15], 2
	s_ashr_i32 s3, s5, 31
	s_wait_kmcnt 0x0
	s_add_nc_u64 s[0:1], s[16:17], s[0:1]
	s_mov_b32 s2, s5
	s_add_co_i32 s5, s9, -1
	v_mov_b32_e32 v9, 0
	s_delay_alu instid0(VALU_DEP_1)
	v_add_nc_u64_e32 v[2:3], s[0:1], v[8:9]
	v_and_b32_e32 v8, 0x7c, v116
	s_lshl_b64 s[0:1], s[12:13], 2
	v_dual_mov_b32 v127, v9 :: v_dual_mov_b32 v126, v9
	v_dual_mov_b32 v119, v9 :: v_dual_mov_b32 v118, v9
	v_dual_mov_b32 v5, v9 :: v_dual_mov_b32 v4, v9
	v_dual_mov_b32 v11, v9 :: v_dual_mov_b32 v10, v9
	v_dual_mov_b32 v13, v9 :: v_dual_mov_b32 v12, v9
	v_dual_mov_b32 v121, v9 :: v_dual_mov_b32 v120, v9
	v_dual_mov_b32 v123, v9 :: v_dual_mov_b32 v122, v9
	v_dual_mov_b32 v125, v9 :: v_dual_mov_b32 v124, v9
	s_add_nc_u64 s[0:1], s[10:11], s[0:1]
	s_mov_b32 s11, s23
	s_mov_b32 s10, 0
	v_add_nc_u64_e32 v[16:17], s[0:1], v[8:9]
	scratch_store_b64 off, v[2:3], off offset:96 ; 8-byte Folded Spill
	s_wait_xcnt 0x0
	v_dual_mov_b32 v3, v9 :: v_dual_mov_b32 v2, v9
	s_wait_loadcnt 0x2
	v_dual_mov_b32 v8, v9 :: v_dual_lshlrev_b32 v0, 2, v0
	s_wait_loadcnt 0x0
	v_dual_lshlrev_b32 v1, 4, v1 :: v_dual_mov_b32 v7, v6
	s_delay_alu instid0(VALU_DEP_2) | instskip(NEXT) | instid1(VALU_DEP_2)
	v_and_b32_e32 v0, 28, v0
	v_lshl_or_b32 v1, v6, 7, v1
	s_delay_alu instid0(VALU_DEP_2) | instskip(NEXT) | instid1(VALU_DEP_2)
	v_lshl_or_b32 v14, v6, 5, v0
	v_add_nc_u32_e32 v15, 0x1e0, v1
	v_dual_mov_b32 v1, v9 :: v_dual_mov_b32 v0, v9
	s_clause 0x3
	scratch_store_b64 off, v[0:1], off offset:56
	scratch_store_b64 off, v[0:1], off offset:64
	;; [unrolled: 1-line block ×4, first 2 shown]
	s_branch .LBB49_36
.LBB49_35:                              ;   in Loop: Header=BB49_36 Depth=1
	s_or_b32 exec_lo, exec_lo, s1
	s_wait_loadcnt_dscnt 0x200
	v_mul_f32_e32 v16, v6, v110
	s_wait_loadcnt 0x1
	v_mul_f32_e32 v15, v6, v114
	v_mul_f32_e32 v46, v6, v46
	v_add_nc_u32_e32 v14, 0x80, v14
	v_dual_mul_f32 v17, v6, v106 :: v_dual_fmac_f32 v16, v7, v111
	s_delay_alu instid0(VALU_DEP_4) | instskip(NEXT) | instid1(VALU_DEP_2)
	v_dual_fmac_f32 v15, v7, v115 :: v_dual_mul_f32 v102, v6, v102
	v_dual_mul_f32 v98, v6, v98 :: v_dual_fmac_f32 v17, v7, v107
	s_delay_alu instid0(VALU_DEP_3) | instskip(NEXT) | instid1(VALU_DEP_3)
	v_fmac_f32_e32 v16, v8, v112
	v_dual_fmac_f32 v15, v8, v116 :: v_dual_fmac_f32 v102, v7, v103
	s_delay_alu instid0(VALU_DEP_3) | instskip(NEXT) | instid1(VALU_DEP_3)
	v_dual_fmac_f32 v98, v7, v99 :: v_dual_mul_f32 v86, v6, v86
	v_fmac_f32_e32 v16, v9, v113
	s_delay_alu instid0(VALU_DEP_3) | instskip(NEXT) | instid1(VALU_DEP_4)
	v_dual_fmac_f32 v15, v9, v117 :: v_dual_fmac_f32 v17, v8, v108
	v_dual_fmac_f32 v102, v8, v104 :: v_dual_mul_f32 v90, v6, v90
	s_delay_alu instid0(VALU_DEP_4) | instskip(NEXT) | instid1(VALU_DEP_3)
	v_dual_fmac_f32 v98, v8, v100 :: v_dual_mul_f32 v82, v6, v82
	v_dual_fmac_f32 v17, v9, v109 :: v_dual_fmac_f32 v86, v7, v87
	s_delay_alu instid0(VALU_DEP_3) | instskip(SKIP_1) | instid1(VALU_DEP_4)
	v_fmac_f32_e32 v102, v9, v105
	v_fmac_f32_e32 v46, v7, v47
	;; [unrolled: 1-line block ×3, first 2 shown]
	s_delay_alu instid0(VALU_DEP_4) | instskip(NEXT) | instid1(VALU_DEP_2)
	v_fmac_f32_e32 v86, v8, v88
	v_fmac_f32_e32 v82, v8, v84
	s_delay_alu instid0(VALU_DEP_2)
	v_fmac_f32_e32 v86, v9, v89
	scratch_load_b64 v[88:89], off, off offset:56 th:TH_LOAD_LU ; 8-byte Folded Reload
	v_fmac_f32_e32 v90, v7, v91
	v_fmac_f32_e32 v82, v9, v85
	scratch_load_b64 v[84:85], off, off offset:48 th:TH_LOAD_LU ; 8-byte Folded Reload
	v_fmac_f32_e32 v98, v9, v101
	s_wait_loadcnt 0x1
	v_dual_add_f32 v89, v89, v16 :: v_dual_add_f32 v88, v88, v17
	scratch_load_b64 v[16:17], off, off offset:64 th:TH_LOAD_LU ; 8-byte Folded Reload
	v_fmac_f32_e32 v90, v8, v92
	s_wait_loadcnt 0x0
	s_delay_alu instid0(VALU_DEP_1)
	v_dual_fmac_f32 v90, v9, v93 :: v_dual_add_f32 v16, v16, v98
	v_add_f32_e32 v17, v17, v102
	s_clause 0x1
	scratch_store_b64 off, v[16:17], off offset:64
	scratch_load_b64 v[16:17], off, off offset:72 th:TH_LOAD_LU
	s_wait_loadcnt 0x0
	v_add_f32_e32 v17, v17, v90
	v_add_f32_e32 v16, v16, v86
	scratch_store_b64 off, v[16:17], off offset:72 ; 8-byte Folded Spill
	s_wait_xcnt 0x0
	v_mul_f32_e32 v16, v6, v74
	s_delay_alu instid0(VALU_DEP_1) | instskip(NEXT) | instid1(VALU_DEP_1)
	v_dual_mul_f32 v17, v6, v70 :: v_dual_fmac_f32 v16, v7, v75
	v_dual_mul_f32 v66, v6, v66 :: v_dual_fmac_f32 v17, v7, v71
	s_delay_alu instid0(VALU_DEP_1) | instskip(NEXT) | instid1(VALU_DEP_1)
	v_dual_mul_f32 v62, v6, v62 :: v_dual_fmac_f32 v66, v7, v67
	v_dual_fmac_f32 v17, v8, v72 :: v_dual_fmac_f32 v62, v7, v63
	s_delay_alu instid0(VALU_DEP_1) | instskip(NEXT) | instid1(VALU_DEP_1)
	v_dual_fmac_f32 v66, v8, v68 :: v_dual_fmac_f32 v17, v9, v73
	v_dual_fmac_f32 v62, v8, v64 :: v_dual_add_f32 v118, v118, v17
	v_mul_f32_e32 v17, v6, v50
	s_delay_alu instid0(VALU_DEP_1) | instskip(NEXT) | instid1(VALU_DEP_1)
	v_fmac_f32_e32 v17, v7, v51
	v_fmac_f32_e32 v17, v8, v52
	s_delay_alu instid0(VALU_DEP_1) | instskip(NEXT) | instid1(VALU_DEP_1)
	v_fmac_f32_e32 v17, v9, v53
	v_dual_add_f32 v5, v5, v17 :: v_dual_mul_f32 v17, v6, v30
	s_delay_alu instid0(VALU_DEP_1) | instskip(NEXT) | instid1(VALU_DEP_1)
	v_dual_mul_f32 v26, v6, v26 :: v_dual_fmac_f32 v17, v7, v31
	v_dual_mul_f32 v22, v6, v22 :: v_dual_fmac_f32 v26, v7, v27
	s_delay_alu instid0(VALU_DEP_1) | instskip(NEXT) | instid1(VALU_DEP_1)
	v_dual_fmac_f32 v17, v8, v32 :: v_dual_fmac_f32 v22, v7, v23
	v_dual_fmac_f32 v26, v8, v28 :: v_dual_fmac_f32 v17, v9, v33
	scratch_load_b128 v[30:33], off, off offset:32 th:TH_LOAD_LU ; 16-byte Folded Reload
	v_dual_add_f32 v84, v84, v15 :: v_dual_mul_f32 v15, v6, v78
	v_fmac_f32_e32 v22, v8, v24
	s_delay_alu instid0(VALU_DEP_2) | instskip(NEXT) | instid1(VALU_DEP_1)
	v_dual_add_f32 v12, v12, v17 :: v_dual_fmac_f32 v15, v7, v79
	v_dual_add_f32 v127, v127, v82 :: v_dual_fmac_f32 v15, v8, v80
	s_delay_alu instid0(VALU_DEP_1) | instskip(NEXT) | instid1(VALU_DEP_1)
	v_dual_fmac_f32 v15, v9, v81 :: v_dual_fmac_f32 v16, v8, v76
	v_add_f32_e32 v126, v126, v15
	s_delay_alu instid0(VALU_DEP_2) | instskip(SKIP_1) | instid1(VALU_DEP_2)
	v_dual_mul_f32 v15, v6, v58 :: v_dual_fmac_f32 v16, v9, v77
	v_fmac_f32_e32 v62, v9, v65
	v_dual_fmac_f32 v66, v9, v69 :: v_dual_fmac_f32 v15, v7, v59
	s_delay_alu instid0(VALU_DEP_3) | instskip(NEXT) | instid1(VALU_DEP_2)
	v_dual_add_f32 v119, v119, v16 :: v_dual_mul_f32 v16, v6, v54
	v_dual_add_f32 v1, v1, v66 :: v_dual_fmac_f32 v15, v8, v60
	v_mul_f32_e32 v42, v6, v42
	s_delay_alu instid0(VALU_DEP_3) | instskip(NEXT) | instid1(VALU_DEP_2)
	v_dual_add_f32 v0, v0, v62 :: v_dual_fmac_f32 v16, v7, v55
	v_dual_fmac_f32 v15, v9, v61 :: v_dual_fmac_f32 v42, v7, v43
	s_delay_alu instid0(VALU_DEP_2) | instskip(NEXT) | instid1(VALU_DEP_2)
	v_fmac_f32_e32 v16, v8, v56
	v_dual_fmac_f32 v46, v8, v48 :: v_dual_add_f32 v3, v3, v15
	s_delay_alu instid0(VALU_DEP_3) | instskip(NEXT) | instid1(VALU_DEP_3)
	v_dual_fmac_f32 v42, v8, v44 :: v_dual_mul_f32 v15, v6, v38
	v_fmac_f32_e32 v16, v9, v57
	s_delay_alu instid0(VALU_DEP_2) | instskip(NEXT) | instid1(VALU_DEP_2)
	v_dual_fmac_f32 v46, v9, v49 :: v_dual_fmac_f32 v15, v7, v39
	v_add_f32_e32 v2, v2, v16
	s_delay_alu instid0(VALU_DEP_4) | instskip(NEXT) | instid1(VALU_DEP_3)
	v_dual_mul_f32 v16, v6, v34 :: v_dual_fmac_f32 v42, v9, v45
	v_add_f32_e32 v4, v4, v46
	s_delay_alu instid0(VALU_DEP_2) | instskip(NEXT) | instid1(VALU_DEP_1)
	v_dual_fmac_f32 v15, v8, v40 :: v_dual_fmac_f32 v16, v7, v35
	v_dual_add_f32 v11, v11, v42 :: v_dual_fmac_f32 v15, v9, v41
	s_delay_alu instid0(VALU_DEP_1) | instskip(SKIP_2) | instid1(VALU_DEP_2)
	v_dual_fmac_f32 v16, v8, v36 :: v_dual_add_f32 v10, v10, v15
	v_dual_mul_f32 v15, v6, v18 :: v_dual_fmac_f32 v26, v9, v29
	v_fmac_f32_e32 v22, v9, v25
	v_dual_fmac_f32 v16, v9, v37 :: v_dual_fmac_f32 v15, v7, v19
	s_delay_alu instid0(VALU_DEP_3) | instskip(SKIP_4) | instid1(VALU_DEP_1)
	v_add_f32_e32 v121, v121, v26
	scratch_load_b128 v[26:29], off, off offset:16 th:TH_LOAD_LU ; 16-byte Folded Reload
	v_add_f32_e32 v13, v13, v16
	v_pk_mul_f32 v[16:17], v[6:7], v[94:95]
	s_wait_loadcnt 0x1
	v_dual_add_f32 v16, v17, v16 :: v_dual_mul_f32 v18, v6, v30
	v_add_f32_e32 v120, v120, v22
	scratch_load_b128 v[22:25], off, off th:TH_LOAD_LU ; 16-byte Folded Reload
	v_dual_fmac_f32 v15, v8, v20 :: v_dual_fmac_f32 v18, v7, v31
	s_delay_alu instid0(VALU_DEP_1) | instskip(NEXT) | instid1(VALU_DEP_1)
	v_dual_fmac_f32 v15, v9, v21 :: v_dual_fmac_f32 v18, v8, v32
	v_add_f32_e32 v123, v123, v15
	scratch_load_b32 v15, off, off offset:80 th:TH_LOAD_LU ; 4-byte Folded Reload
	s_wait_loadcnt 0x2
	v_dual_fmac_f32 v18, v9, v33 :: v_dual_mul_f32 v19, v6, v26
	s_delay_alu instid0(VALU_DEP_1) | instskip(NEXT) | instid1(VALU_DEP_1)
	v_fmac_f32_e32 v19, v7, v27
	v_fmac_f32_e32 v19, v8, v28
	s_delay_alu instid0(VALU_DEP_1) | instskip(SKIP_1) | instid1(VALU_DEP_1)
	v_dual_fmac_f32 v19, v9, v29 :: v_dual_add_f32 v122, v122, v18
	s_wait_loadcnt 0x1
	v_dual_add_f32 v125, v125, v19 :: v_dual_mul_f32 v22, v6, v22
	s_delay_alu instid0(VALU_DEP_1) | instskip(SKIP_1) | instid1(VALU_DEP_2)
	v_fmac_f32_e32 v22, v7, v23
	v_pk_mul_f32 v[6:7], v[8:9], v[96:97]
	v_fmac_f32_e32 v22, v8, v24
	s_delay_alu instid0(VALU_DEP_2)
	v_add_f32_e32 v6, v6, v16
	scratch_load_b64 v[16:17], off, off offset:84 th:TH_LOAD_LU ; 8-byte Folded Reload
	s_wait_loadcnt 0x1
	v_dual_fmac_f32 v22, v9, v25 :: v_dual_add_nc_u32 v15, 0x200, v15
	v_add_f32_e32 v6, v7, v6
	scratch_load_b32 v7, off, off offset:92 th:TH_LOAD_LU ; 4-byte Folded Reload
	v_add_f32_e32 v124, v124, v22
	s_wait_loadcnt 0x1
	v_add_nc_u64_e32 v[16:17], 16, v[16:17]
	s_wait_loadcnt 0x0
	v_dual_add_nc_u32 v7, 4, v7 :: v_dual_add_f32 v85, v85, v6
	scratch_store_b64 off, v[88:89], off offset:56 ; 8-byte Folded Spill
	v_cmp_le_i32_e32 vcc_lo, s9, v7
	scratch_store_b64 off, v[84:85], off offset:48 ; 8-byte Folded Spill
	s_or_b32 s10, vcc_lo, s10
	s_wait_xcnt 0x0
	s_and_not1_b32 exec_lo, exec_lo, s10
	s_cbranch_execz .LBB49_92
.LBB49_36:                              ; =>This Inner Loop Header: Depth=1
	global_load_b32 v6, v[16:17], off
	s_clause 0x1
	scratch_load_b64 v[8:9], off, off offset:96
	scratch_store_b64 off, v[16:17], off offset:84
	s_wait_xcnt 0x0
	v_dual_mov_b32 v16, v7 :: v_dual_bitop2_b32 v17, 3, v14 bitop3:0x54
	s_wait_loadcnt 0x1
	v_ashrrev_i32_e32 v7, 31, v6
	s_delay_alu instid0(VALU_DEP_2) | instskip(NEXT) | instid1(VALU_DEP_2)
	v_cmp_eq_u32_e32 vcc_lo, s5, v16
	v_mul_u64_e32 v[6:7], s[2:3], v[6:7]
	s_wait_loadcnt 0x0
	s_delay_alu instid0(VALU_DEP_1)
	v_lshl_add_u64 v[94:95], v[6:7], 2, v[8:9]
	global_load_b128 v[6:9], v[94:95], off
	s_wait_loadcnt 0x0
	s_clause 0x1
	scratch_store_b128 off, v[6:9], off
	scratch_store_b32 off, v15, off offset:80
	s_wait_xcnt 0x1
	ds_load_b128 v[6:9], v15
	scratch_store_b32 off, v16, off offset:92 ; 4-byte Folded Spill
	s_wait_xcnt 0x0
	v_dual_add_nc_u32 v16, 1, v14 :: v_dual_bitop2_b32 v15, 2, v14 bitop3:0x54
	s_and_saveexec_b32 s1, vcc_lo
	s_cbranch_execz .LBB49_38
; %bb.37:                               ;   in Loop: Header=BB49_36 Depth=1
	scratch_load_b128 v[18:21], off, off th:TH_LOAD_LU ; 16-byte Folded Reload
	v_cmp_gt_i32_e64 s0, s11, v16
	s_wait_loadcnt 0x0
	s_delay_alu instid0(VALU_DEP_1) | instskip(SKIP_1) | instid1(VALU_DEP_1)
	v_cndmask_b32_e64 v19, 0, v19, s0
	v_cmp_gt_i32_e64 s0, s23, v14
	v_cndmask_b32_e64 v18, 0, v18, s0
	v_cmp_gt_i32_e64 s0, s11, v17
	s_delay_alu instid0(VALU_DEP_1) | instskip(SKIP_1) | instid1(VALU_DEP_1)
	v_cndmask_b32_e64 v21, 0, v21, s0
	v_cmp_gt_i32_e64 s0, s23, v15
	v_cndmask_b32_e64 v20, 0, v20, s0
	scratch_store_b128 off, v[18:21], off   ; 16-byte Folded Spill
.LBB49_38:                              ;   in Loop: Header=BB49_36 Depth=1
	s_wait_xcnt 0x0
	s_or_b32 exec_lo, exec_lo, s1
	global_load_b128 v[18:21], v[94:95], off offset:512
	s_wait_loadcnt 0x0
	scratch_store_b128 off, v[18:21], off offset:16 ; 16-byte Folded Spill
	s_wait_xcnt 0x0
	s_and_saveexec_b32 s1, vcc_lo
	s_cbranch_execz .LBB49_40
; %bb.39:                               ;   in Loop: Header=BB49_36 Depth=1
	scratch_load_b128 v[18:21], off, off offset:16 th:TH_LOAD_LU ; 16-byte Folded Reload
	v_cmp_gt_i32_e64 s0, s11, v16
	s_wait_loadcnt 0x0
	s_delay_alu instid0(VALU_DEP_1) | instskip(SKIP_1) | instid1(VALU_DEP_1)
	v_cndmask_b32_e64 v19, 0, v19, s0
	v_cmp_gt_i32_e64 s0, s23, v14
	v_cndmask_b32_e64 v18, 0, v18, s0
	v_cmp_gt_i32_e64 s0, s11, v17
	s_delay_alu instid0(VALU_DEP_1) | instskip(SKIP_1) | instid1(VALU_DEP_1)
	v_cndmask_b32_e64 v21, 0, v21, s0
	v_cmp_gt_i32_e64 s0, s23, v15
	v_cndmask_b32_e64 v20, 0, v20, s0
	scratch_store_b128 off, v[18:21], off offset:16 ; 16-byte Folded Spill
.LBB49_40:                              ;   in Loop: Header=BB49_36 Depth=1
	s_wait_xcnt 0x0
	s_or_b32 exec_lo, exec_lo, s1
	global_load_b128 v[18:21], v[94:95], off offset:1024
	s_wait_loadcnt 0x0
	scratch_store_b128 off, v[18:21], off offset:32 ; 16-byte Folded Spill
	s_wait_xcnt 0x0
	s_and_saveexec_b32 s1, vcc_lo
	s_cbranch_execnz .LBB49_66
; %bb.41:                               ;   in Loop: Header=BB49_36 Depth=1
	s_or_b32 exec_lo, exec_lo, s1
	global_load_b128 v[18:21], v[94:95], off offset:1536
	s_wait_xcnt 0x0
	s_and_saveexec_b32 s1, vcc_lo
	s_cbranch_execnz .LBB49_67
.LBB49_42:                              ;   in Loop: Header=BB49_36 Depth=1
	s_or_b32 exec_lo, exec_lo, s1
	global_load_b128 v[22:25], v[94:95], off offset:2048
	s_wait_xcnt 0x0
	s_and_saveexec_b32 s1, vcc_lo
	s_cbranch_execnz .LBB49_68
.LBB49_43:                              ;   in Loop: Header=BB49_36 Depth=1
	s_or_b32 exec_lo, exec_lo, s1
	global_load_b128 v[26:29], v[94:95], off offset:2560
	s_wait_xcnt 0x0
	s_and_saveexec_b32 s1, vcc_lo
	s_cbranch_execnz .LBB49_69
.LBB49_44:                              ;   in Loop: Header=BB49_36 Depth=1
	s_or_b32 exec_lo, exec_lo, s1
	global_load_b128 v[30:33], v[94:95], off offset:3072
	s_wait_xcnt 0x0
	s_and_saveexec_b32 s1, vcc_lo
	s_cbranch_execnz .LBB49_70
.LBB49_45:                              ;   in Loop: Header=BB49_36 Depth=1
	s_or_b32 exec_lo, exec_lo, s1
	global_load_b128 v[34:37], v[94:95], off offset:3584
	s_wait_xcnt 0x0
	s_and_saveexec_b32 s1, vcc_lo
	s_cbranch_execnz .LBB49_71
.LBB49_46:                              ;   in Loop: Header=BB49_36 Depth=1
	s_or_b32 exec_lo, exec_lo, s1
	global_load_b128 v[38:41], v[94:95], off offset:4096
	s_wait_xcnt 0x0
	s_and_saveexec_b32 s1, vcc_lo
	s_cbranch_execnz .LBB49_72
.LBB49_47:                              ;   in Loop: Header=BB49_36 Depth=1
	s_or_b32 exec_lo, exec_lo, s1
	global_load_b128 v[42:45], v[94:95], off offset:4608
	s_wait_xcnt 0x0
	s_and_saveexec_b32 s1, vcc_lo
	s_cbranch_execnz .LBB49_73
.LBB49_48:                              ;   in Loop: Header=BB49_36 Depth=1
	s_or_b32 exec_lo, exec_lo, s1
	global_load_b128 v[46:49], v[94:95], off offset:5120
	s_wait_xcnt 0x0
	s_and_saveexec_b32 s1, vcc_lo
	s_cbranch_execnz .LBB49_74
.LBB49_49:                              ;   in Loop: Header=BB49_36 Depth=1
	s_or_b32 exec_lo, exec_lo, s1
	global_load_b128 v[50:53], v[94:95], off offset:5632
	s_wait_xcnt 0x0
	s_and_saveexec_b32 s1, vcc_lo
	s_cbranch_execnz .LBB49_75
.LBB49_50:                              ;   in Loop: Header=BB49_36 Depth=1
	s_or_b32 exec_lo, exec_lo, s1
	global_load_b128 v[54:57], v[94:95], off offset:6144
	s_wait_xcnt 0x0
	s_and_saveexec_b32 s1, vcc_lo
	s_cbranch_execnz .LBB49_76
.LBB49_51:                              ;   in Loop: Header=BB49_36 Depth=1
	s_or_b32 exec_lo, exec_lo, s1
	global_load_b128 v[58:61], v[94:95], off offset:6656
	s_wait_xcnt 0x0
	s_and_saveexec_b32 s1, vcc_lo
	s_cbranch_execnz .LBB49_77
.LBB49_52:                              ;   in Loop: Header=BB49_36 Depth=1
	s_or_b32 exec_lo, exec_lo, s1
	global_load_b128 v[62:65], v[94:95], off offset:7168
	s_wait_xcnt 0x0
	s_and_saveexec_b32 s1, vcc_lo
	s_cbranch_execnz .LBB49_78
.LBB49_53:                              ;   in Loop: Header=BB49_36 Depth=1
	s_or_b32 exec_lo, exec_lo, s1
	global_load_b128 v[66:69], v[94:95], off offset:7680
	s_wait_xcnt 0x0
	s_and_saveexec_b32 s1, vcc_lo
	s_cbranch_execnz .LBB49_79
.LBB49_54:                              ;   in Loop: Header=BB49_36 Depth=1
	s_or_b32 exec_lo, exec_lo, s1
	global_load_b128 v[70:73], v[94:95], off offset:8192
	s_wait_xcnt 0x0
	s_and_saveexec_b32 s1, vcc_lo
	s_cbranch_execnz .LBB49_80
.LBB49_55:                              ;   in Loop: Header=BB49_36 Depth=1
	s_or_b32 exec_lo, exec_lo, s1
	global_load_b128 v[74:77], v[94:95], off offset:8704
	s_wait_xcnt 0x0
	s_and_saveexec_b32 s1, vcc_lo
	s_cbranch_execnz .LBB49_81
.LBB49_56:                              ;   in Loop: Header=BB49_36 Depth=1
	s_or_b32 exec_lo, exec_lo, s1
	global_load_b128 v[78:81], v[94:95], off offset:9216
	s_wait_xcnt 0x0
	s_and_saveexec_b32 s1, vcc_lo
	s_cbranch_execnz .LBB49_82
.LBB49_57:                              ;   in Loop: Header=BB49_36 Depth=1
	s_or_b32 exec_lo, exec_lo, s1
	global_load_b128 v[82:85], v[94:95], off offset:9728
	s_wait_xcnt 0x0
	s_and_saveexec_b32 s12, vcc_lo
	s_cbranch_execnz .LBB49_83
.LBB49_58:                              ;   in Loop: Header=BB49_36 Depth=1
	s_or_b32 exec_lo, exec_lo, s12
	global_load_b128 v[86:89], v[94:95], off offset:10240
	s_wait_xcnt 0x0
	s_and_saveexec_b32 s12, vcc_lo
	s_cbranch_execnz .LBB49_84
.LBB49_59:                              ;   in Loop: Header=BB49_36 Depth=1
	s_or_b32 exec_lo, exec_lo, s12
	global_load_b128 v[90:93], v[94:95], off offset:10752
	s_wait_xcnt 0x0
	s_and_saveexec_b32 s12, vcc_lo
	s_cbranch_execnz .LBB49_85
.LBB49_60:                              ;   in Loop: Header=BB49_36 Depth=1
	s_or_b32 exec_lo, exec_lo, s12
	global_load_b128 v[98:101], v[94:95], off offset:11264
	s_wait_xcnt 0x0
	s_and_saveexec_b32 s12, vcc_lo
	s_cbranch_execnz .LBB49_86
.LBB49_61:                              ;   in Loop: Header=BB49_36 Depth=1
	s_or_b32 exec_lo, exec_lo, s12
	global_load_b128 v[102:105], v[94:95], off offset:11776
	s_wait_xcnt 0x0
	s_and_saveexec_b32 s12, vcc_lo
	s_cbranch_execnz .LBB49_87
.LBB49_62:                              ;   in Loop: Header=BB49_36 Depth=1
	s_or_b32 exec_lo, exec_lo, s12
	global_load_b128 v[106:109], v[94:95], off offset:12288
	s_wait_xcnt 0x0
	s_and_saveexec_b32 s12, vcc_lo
	s_cbranch_execnz .LBB49_88
.LBB49_63:                              ;   in Loop: Header=BB49_36 Depth=1
	s_or_b32 exec_lo, exec_lo, s12
	global_load_b128 v[110:113], v[94:95], off offset:12800
	s_wait_xcnt 0x0
	s_and_saveexec_b32 s12, vcc_lo
	s_cbranch_execnz .LBB49_89
.LBB49_64:                              ;   in Loop: Header=BB49_36 Depth=1
	s_or_b32 exec_lo, exec_lo, s12
	global_load_b128 v[114:117], v[94:95], off offset:13312
	s_wait_xcnt 0x0
	s_and_saveexec_b32 s12, vcc_lo
	s_cbranch_execnz .LBB49_90
.LBB49_65:                              ;   in Loop: Header=BB49_36 Depth=1
	s_or_b32 exec_lo, exec_lo, s12
	global_load_b128 v[94:97], v[94:95], off offset:13824
	s_wait_xcnt 0x0
	s_and_saveexec_b32 s1, vcc_lo
	s_cbranch_execz .LBB49_35
	s_branch .LBB49_91
.LBB49_66:                              ;   in Loop: Header=BB49_36 Depth=1
	scratch_load_b128 v[18:21], off, off offset:32 th:TH_LOAD_LU ; 16-byte Folded Reload
	v_cmp_gt_i32_e64 s0, s11, v16
	s_wait_loadcnt 0x0
	s_delay_alu instid0(VALU_DEP_1) | instskip(SKIP_1) | instid1(VALU_DEP_1)
	v_cndmask_b32_e64 v19, 0, v19, s0
	v_cmp_gt_i32_e64 s0, s23, v14
	v_cndmask_b32_e64 v18, 0, v18, s0
	v_cmp_gt_i32_e64 s0, s11, v17
	s_delay_alu instid0(VALU_DEP_1) | instskip(SKIP_1) | instid1(VALU_DEP_1)
	v_cndmask_b32_e64 v21, 0, v21, s0
	v_cmp_gt_i32_e64 s0, s23, v15
	v_cndmask_b32_e64 v20, 0, v20, s0
	scratch_store_b128 off, v[18:21], off offset:32 ; 16-byte Folded Spill
	s_wait_xcnt 0x0
	s_or_b32 exec_lo, exec_lo, s1
	global_load_b128 v[18:21], v[94:95], off offset:1536
	s_wait_xcnt 0x0
	s_and_saveexec_b32 s1, vcc_lo
	s_cbranch_execz .LBB49_42
.LBB49_67:                              ;   in Loop: Header=BB49_36 Depth=1
	v_cmp_gt_i32_e64 s0, s11, v16
	s_wait_loadcnt 0x0
	s_delay_alu instid0(VALU_DEP_1) | instskip(SKIP_1) | instid1(VALU_DEP_1)
	v_cndmask_b32_e64 v19, 0, v19, s0
	v_cmp_gt_i32_e64 s0, s23, v14
	v_cndmask_b32_e64 v18, 0, v18, s0
	v_cmp_gt_i32_e64 s0, s11, v17
	s_delay_alu instid0(VALU_DEP_1) | instskip(SKIP_1) | instid1(VALU_DEP_1)
	v_cndmask_b32_e64 v21, 0, v21, s0
	v_cmp_gt_i32_e64 s0, s23, v15
	v_cndmask_b32_e64 v20, 0, v20, s0
	s_or_b32 exec_lo, exec_lo, s1
	global_load_b128 v[22:25], v[94:95], off offset:2048
	s_wait_xcnt 0x0
	s_and_saveexec_b32 s1, vcc_lo
	s_cbranch_execz .LBB49_43
.LBB49_68:                              ;   in Loop: Header=BB49_36 Depth=1
	v_cmp_gt_i32_e64 s0, s11, v16
	s_wait_loadcnt 0x0
	s_delay_alu instid0(VALU_DEP_1) | instskip(SKIP_1) | instid1(VALU_DEP_1)
	v_cndmask_b32_e64 v23, 0, v23, s0
	v_cmp_gt_i32_e64 s0, s23, v14
	v_cndmask_b32_e64 v22, 0, v22, s0
	v_cmp_gt_i32_e64 s0, s11, v17
	s_delay_alu instid0(VALU_DEP_1) | instskip(SKIP_1) | instid1(VALU_DEP_1)
	v_cndmask_b32_e64 v25, 0, v25, s0
	v_cmp_gt_i32_e64 s0, s23, v15
	v_cndmask_b32_e64 v24, 0, v24, s0
	s_or_b32 exec_lo, exec_lo, s1
	global_load_b128 v[26:29], v[94:95], off offset:2560
	s_wait_xcnt 0x0
	s_and_saveexec_b32 s1, vcc_lo
	s_cbranch_execz .LBB49_44
.LBB49_69:                              ;   in Loop: Header=BB49_36 Depth=1
	v_cmp_gt_i32_e64 s0, s11, v16
	s_wait_loadcnt 0x0
	s_delay_alu instid0(VALU_DEP_1) | instskip(SKIP_1) | instid1(VALU_DEP_1)
	v_cndmask_b32_e64 v27, 0, v27, s0
	v_cmp_gt_i32_e64 s0, s23, v14
	v_cndmask_b32_e64 v26, 0, v26, s0
	v_cmp_gt_i32_e64 s0, s11, v17
	s_delay_alu instid0(VALU_DEP_1) | instskip(SKIP_1) | instid1(VALU_DEP_1)
	v_cndmask_b32_e64 v29, 0, v29, s0
	v_cmp_gt_i32_e64 s0, s23, v15
	v_cndmask_b32_e64 v28, 0, v28, s0
	s_or_b32 exec_lo, exec_lo, s1
	global_load_b128 v[30:33], v[94:95], off offset:3072
	s_wait_xcnt 0x0
	s_and_saveexec_b32 s1, vcc_lo
	s_cbranch_execz .LBB49_45
.LBB49_70:                              ;   in Loop: Header=BB49_36 Depth=1
	v_cmp_gt_i32_e64 s0, s11, v16
	s_wait_loadcnt 0x0
	s_delay_alu instid0(VALU_DEP_1) | instskip(SKIP_1) | instid1(VALU_DEP_1)
	v_cndmask_b32_e64 v31, 0, v31, s0
	v_cmp_gt_i32_e64 s0, s23, v14
	v_cndmask_b32_e64 v30, 0, v30, s0
	v_cmp_gt_i32_e64 s0, s11, v17
	s_delay_alu instid0(VALU_DEP_1) | instskip(SKIP_1) | instid1(VALU_DEP_1)
	v_cndmask_b32_e64 v33, 0, v33, s0
	v_cmp_gt_i32_e64 s0, s23, v15
	v_cndmask_b32_e64 v32, 0, v32, s0
	s_or_b32 exec_lo, exec_lo, s1
	global_load_b128 v[34:37], v[94:95], off offset:3584
	s_wait_xcnt 0x0
	s_and_saveexec_b32 s1, vcc_lo
	s_cbranch_execz .LBB49_46
.LBB49_71:                              ;   in Loop: Header=BB49_36 Depth=1
	v_cmp_gt_i32_e64 s0, s11, v16
	s_wait_loadcnt 0x0
	s_delay_alu instid0(VALU_DEP_1) | instskip(SKIP_1) | instid1(VALU_DEP_1)
	v_cndmask_b32_e64 v35, 0, v35, s0
	v_cmp_gt_i32_e64 s0, s23, v14
	v_cndmask_b32_e64 v34, 0, v34, s0
	v_cmp_gt_i32_e64 s0, s11, v17
	s_delay_alu instid0(VALU_DEP_1) | instskip(SKIP_1) | instid1(VALU_DEP_1)
	v_cndmask_b32_e64 v37, 0, v37, s0
	v_cmp_gt_i32_e64 s0, s23, v15
	v_cndmask_b32_e64 v36, 0, v36, s0
	s_or_b32 exec_lo, exec_lo, s1
	global_load_b128 v[38:41], v[94:95], off offset:4096
	s_wait_xcnt 0x0
	s_and_saveexec_b32 s1, vcc_lo
	s_cbranch_execz .LBB49_47
.LBB49_72:                              ;   in Loop: Header=BB49_36 Depth=1
	v_cmp_gt_i32_e64 s0, s11, v16
	s_wait_loadcnt 0x0
	s_delay_alu instid0(VALU_DEP_1) | instskip(SKIP_1) | instid1(VALU_DEP_1)
	v_cndmask_b32_e64 v39, 0, v39, s0
	v_cmp_gt_i32_e64 s0, s23, v14
	v_cndmask_b32_e64 v38, 0, v38, s0
	v_cmp_gt_i32_e64 s0, s11, v17
	s_delay_alu instid0(VALU_DEP_1) | instskip(SKIP_1) | instid1(VALU_DEP_1)
	v_cndmask_b32_e64 v41, 0, v41, s0
	v_cmp_gt_i32_e64 s0, s23, v15
	v_cndmask_b32_e64 v40, 0, v40, s0
	s_or_b32 exec_lo, exec_lo, s1
	global_load_b128 v[42:45], v[94:95], off offset:4608
	s_wait_xcnt 0x0
	s_and_saveexec_b32 s1, vcc_lo
	s_cbranch_execz .LBB49_48
.LBB49_73:                              ;   in Loop: Header=BB49_36 Depth=1
	v_cmp_gt_i32_e64 s0, s11, v16
	s_wait_loadcnt 0x0
	s_delay_alu instid0(VALU_DEP_1) | instskip(SKIP_1) | instid1(VALU_DEP_1)
	v_cndmask_b32_e64 v43, 0, v43, s0
	v_cmp_gt_i32_e64 s0, s23, v14
	v_cndmask_b32_e64 v42, 0, v42, s0
	v_cmp_gt_i32_e64 s0, s11, v17
	s_delay_alu instid0(VALU_DEP_1) | instskip(SKIP_1) | instid1(VALU_DEP_1)
	v_cndmask_b32_e64 v45, 0, v45, s0
	v_cmp_gt_i32_e64 s0, s23, v15
	v_cndmask_b32_e64 v44, 0, v44, s0
	s_or_b32 exec_lo, exec_lo, s1
	global_load_b128 v[46:49], v[94:95], off offset:5120
	s_wait_xcnt 0x0
	s_and_saveexec_b32 s1, vcc_lo
	s_cbranch_execz .LBB49_49
.LBB49_74:                              ;   in Loop: Header=BB49_36 Depth=1
	v_cmp_gt_i32_e64 s0, s11, v16
	s_wait_loadcnt 0x0
	s_delay_alu instid0(VALU_DEP_1) | instskip(SKIP_1) | instid1(VALU_DEP_1)
	v_cndmask_b32_e64 v47, 0, v47, s0
	v_cmp_gt_i32_e64 s0, s23, v14
	v_cndmask_b32_e64 v46, 0, v46, s0
	v_cmp_gt_i32_e64 s0, s11, v17
	s_delay_alu instid0(VALU_DEP_1) | instskip(SKIP_1) | instid1(VALU_DEP_1)
	v_cndmask_b32_e64 v49, 0, v49, s0
	v_cmp_gt_i32_e64 s0, s23, v15
	v_cndmask_b32_e64 v48, 0, v48, s0
	s_or_b32 exec_lo, exec_lo, s1
	global_load_b128 v[50:53], v[94:95], off offset:5632
	s_wait_xcnt 0x0
	s_and_saveexec_b32 s1, vcc_lo
	s_cbranch_execz .LBB49_50
.LBB49_75:                              ;   in Loop: Header=BB49_36 Depth=1
	v_cmp_gt_i32_e64 s0, s11, v16
	s_wait_loadcnt 0x0
	s_delay_alu instid0(VALU_DEP_1) | instskip(SKIP_1) | instid1(VALU_DEP_1)
	v_cndmask_b32_e64 v51, 0, v51, s0
	v_cmp_gt_i32_e64 s0, s23, v14
	v_cndmask_b32_e64 v50, 0, v50, s0
	v_cmp_gt_i32_e64 s0, s11, v17
	s_delay_alu instid0(VALU_DEP_1) | instskip(SKIP_1) | instid1(VALU_DEP_1)
	v_cndmask_b32_e64 v53, 0, v53, s0
	v_cmp_gt_i32_e64 s0, s23, v15
	v_cndmask_b32_e64 v52, 0, v52, s0
	s_or_b32 exec_lo, exec_lo, s1
	global_load_b128 v[54:57], v[94:95], off offset:6144
	s_wait_xcnt 0x0
	s_and_saveexec_b32 s1, vcc_lo
	s_cbranch_execz .LBB49_51
.LBB49_76:                              ;   in Loop: Header=BB49_36 Depth=1
	v_cmp_gt_i32_e64 s0, s11, v16
	s_wait_loadcnt 0x0
	s_delay_alu instid0(VALU_DEP_1) | instskip(SKIP_1) | instid1(VALU_DEP_1)
	v_cndmask_b32_e64 v55, 0, v55, s0
	v_cmp_gt_i32_e64 s0, s23, v14
	v_cndmask_b32_e64 v54, 0, v54, s0
	v_cmp_gt_i32_e64 s0, s11, v17
	s_delay_alu instid0(VALU_DEP_1) | instskip(SKIP_1) | instid1(VALU_DEP_1)
	v_cndmask_b32_e64 v57, 0, v57, s0
	v_cmp_gt_i32_e64 s0, s23, v15
	v_cndmask_b32_e64 v56, 0, v56, s0
	s_or_b32 exec_lo, exec_lo, s1
	global_load_b128 v[58:61], v[94:95], off offset:6656
	s_wait_xcnt 0x0
	s_and_saveexec_b32 s1, vcc_lo
	s_cbranch_execz .LBB49_52
.LBB49_77:                              ;   in Loop: Header=BB49_36 Depth=1
	v_cmp_gt_i32_e64 s0, s11, v16
	s_wait_loadcnt 0x0
	s_delay_alu instid0(VALU_DEP_1) | instskip(SKIP_1) | instid1(VALU_DEP_1)
	v_cndmask_b32_e64 v59, 0, v59, s0
	v_cmp_gt_i32_e64 s0, s23, v14
	v_cndmask_b32_e64 v58, 0, v58, s0
	v_cmp_gt_i32_e64 s0, s11, v17
	s_delay_alu instid0(VALU_DEP_1) | instskip(SKIP_1) | instid1(VALU_DEP_1)
	v_cndmask_b32_e64 v61, 0, v61, s0
	v_cmp_gt_i32_e64 s0, s23, v15
	v_cndmask_b32_e64 v60, 0, v60, s0
	s_or_b32 exec_lo, exec_lo, s1
	global_load_b128 v[62:65], v[94:95], off offset:7168
	s_wait_xcnt 0x0
	s_and_saveexec_b32 s1, vcc_lo
	s_cbranch_execz .LBB49_53
.LBB49_78:                              ;   in Loop: Header=BB49_36 Depth=1
	v_cmp_gt_i32_e64 s0, s11, v16
	s_wait_loadcnt 0x0
	s_delay_alu instid0(VALU_DEP_1) | instskip(SKIP_1) | instid1(VALU_DEP_1)
	v_cndmask_b32_e64 v63, 0, v63, s0
	v_cmp_gt_i32_e64 s0, s23, v14
	v_cndmask_b32_e64 v62, 0, v62, s0
	v_cmp_gt_i32_e64 s0, s11, v17
	s_delay_alu instid0(VALU_DEP_1) | instskip(SKIP_1) | instid1(VALU_DEP_1)
	v_cndmask_b32_e64 v65, 0, v65, s0
	v_cmp_gt_i32_e64 s0, s23, v15
	v_cndmask_b32_e64 v64, 0, v64, s0
	s_or_b32 exec_lo, exec_lo, s1
	global_load_b128 v[66:69], v[94:95], off offset:7680
	s_wait_xcnt 0x0
	s_and_saveexec_b32 s1, vcc_lo
	s_cbranch_execz .LBB49_54
.LBB49_79:                              ;   in Loop: Header=BB49_36 Depth=1
	v_cmp_gt_i32_e64 s0, s11, v16
	s_wait_loadcnt 0x0
	s_delay_alu instid0(VALU_DEP_1) | instskip(SKIP_1) | instid1(VALU_DEP_1)
	v_cndmask_b32_e64 v67, 0, v67, s0
	v_cmp_gt_i32_e64 s0, s23, v14
	v_cndmask_b32_e64 v66, 0, v66, s0
	v_cmp_gt_i32_e64 s0, s11, v17
	s_delay_alu instid0(VALU_DEP_1) | instskip(SKIP_1) | instid1(VALU_DEP_1)
	v_cndmask_b32_e64 v69, 0, v69, s0
	v_cmp_gt_i32_e64 s0, s23, v15
	v_cndmask_b32_e64 v68, 0, v68, s0
	s_or_b32 exec_lo, exec_lo, s1
	global_load_b128 v[70:73], v[94:95], off offset:8192
	s_wait_xcnt 0x0
	s_and_saveexec_b32 s1, vcc_lo
	s_cbranch_execz .LBB49_55
.LBB49_80:                              ;   in Loop: Header=BB49_36 Depth=1
	v_cmp_gt_i32_e64 s0, s11, v16
	s_wait_loadcnt 0x0
	s_delay_alu instid0(VALU_DEP_1) | instskip(SKIP_1) | instid1(VALU_DEP_1)
	v_cndmask_b32_e64 v71, 0, v71, s0
	v_cmp_gt_i32_e64 s0, s23, v14
	v_cndmask_b32_e64 v70, 0, v70, s0
	v_cmp_gt_i32_e64 s0, s11, v17
	s_delay_alu instid0(VALU_DEP_1) | instskip(SKIP_1) | instid1(VALU_DEP_1)
	v_cndmask_b32_e64 v73, 0, v73, s0
	v_cmp_gt_i32_e64 s0, s23, v15
	v_cndmask_b32_e64 v72, 0, v72, s0
	s_or_b32 exec_lo, exec_lo, s1
	global_load_b128 v[74:77], v[94:95], off offset:8704
	s_wait_xcnt 0x0
	s_and_saveexec_b32 s1, vcc_lo
	s_cbranch_execz .LBB49_56
.LBB49_81:                              ;   in Loop: Header=BB49_36 Depth=1
	v_cmp_gt_i32_e64 s0, s11, v16
	s_wait_loadcnt 0x0
	s_delay_alu instid0(VALU_DEP_1) | instskip(SKIP_1) | instid1(VALU_DEP_1)
	v_cndmask_b32_e64 v75, 0, v75, s0
	v_cmp_gt_i32_e64 s0, s23, v14
	v_cndmask_b32_e64 v74, 0, v74, s0
	v_cmp_gt_i32_e64 s0, s11, v17
	s_delay_alu instid0(VALU_DEP_1) | instskip(SKIP_1) | instid1(VALU_DEP_1)
	v_cndmask_b32_e64 v77, 0, v77, s0
	v_cmp_gt_i32_e64 s0, s23, v15
	v_cndmask_b32_e64 v76, 0, v76, s0
	s_or_b32 exec_lo, exec_lo, s1
	global_load_b128 v[78:81], v[94:95], off offset:9216
	s_wait_xcnt 0x0
	s_and_saveexec_b32 s1, vcc_lo
	s_cbranch_execz .LBB49_57
.LBB49_82:                              ;   in Loop: Header=BB49_36 Depth=1
	v_cmp_gt_i32_e64 s0, s11, v16
	s_wait_loadcnt 0x0
	s_delay_alu instid0(VALU_DEP_1) | instskip(SKIP_1) | instid1(VALU_DEP_1)
	v_cndmask_b32_e64 v79, 0, v79, s0
	v_cmp_gt_i32_e64 s0, s23, v14
	v_cndmask_b32_e64 v78, 0, v78, s0
	v_cmp_gt_i32_e64 s0, s11, v17
	s_delay_alu instid0(VALU_DEP_1) | instskip(SKIP_1) | instid1(VALU_DEP_1)
	v_cndmask_b32_e64 v81, 0, v81, s0
	v_cmp_gt_i32_e64 s0, s23, v15
	v_cndmask_b32_e64 v80, 0, v80, s0
	s_or_b32 exec_lo, exec_lo, s1
	global_load_b128 v[82:85], v[94:95], off offset:9728
	s_wait_xcnt 0x0
	s_and_saveexec_b32 s12, vcc_lo
	s_cbranch_execz .LBB49_58
.LBB49_83:                              ;   in Loop: Header=BB49_36 Depth=1
	v_cmp_gt_i32_e64 s0, s23, v14
	v_cmp_gt_i32_e64 s1, s11, v16
	s_wait_loadcnt 0x0
	s_delay_alu instid0(VALU_DEP_1) | instskip(SKIP_2) | instid1(VALU_DEP_1)
	v_dual_cndmask_b32 v82, 0, v82, s0 :: v_dual_cndmask_b32 v83, 0, v83, s1
	v_cmp_gt_i32_e64 s0, s23, v15
	v_cmp_gt_i32_e64 s1, s11, v17
	v_dual_cndmask_b32 v84, 0, v84, s0 :: v_dual_cndmask_b32 v85, 0, v85, s1
	s_or_b32 exec_lo, exec_lo, s12
	global_load_b128 v[86:89], v[94:95], off offset:10240
	s_wait_xcnt 0x0
	s_and_saveexec_b32 s12, vcc_lo
	s_cbranch_execz .LBB49_59
.LBB49_84:                              ;   in Loop: Header=BB49_36 Depth=1
	v_cmp_gt_i32_e64 s0, s23, v14
	v_cmp_gt_i32_e64 s1, s11, v16
	s_wait_loadcnt 0x0
	s_delay_alu instid0(VALU_DEP_1) | instskip(SKIP_2) | instid1(VALU_DEP_1)
	v_dual_cndmask_b32 v86, 0, v86, s0 :: v_dual_cndmask_b32 v87, 0, v87, s1
	v_cmp_gt_i32_e64 s0, s23, v15
	v_cmp_gt_i32_e64 s1, s11, v17
	v_dual_cndmask_b32 v88, 0, v88, s0 :: v_dual_cndmask_b32 v89, 0, v89, s1
	s_or_b32 exec_lo, exec_lo, s12
	global_load_b128 v[90:93], v[94:95], off offset:10752
	s_wait_xcnt 0x0
	s_and_saveexec_b32 s12, vcc_lo
	s_cbranch_execz .LBB49_60
.LBB49_85:                              ;   in Loop: Header=BB49_36 Depth=1
	v_cmp_gt_i32_e64 s0, s23, v14
	v_cmp_gt_i32_e64 s1, s11, v16
	s_wait_loadcnt 0x0
	s_delay_alu instid0(VALU_DEP_1) | instskip(SKIP_2) | instid1(VALU_DEP_1)
	v_dual_cndmask_b32 v90, 0, v90, s0 :: v_dual_cndmask_b32 v91, 0, v91, s1
	v_cmp_gt_i32_e64 s0, s23, v15
	v_cmp_gt_i32_e64 s1, s11, v17
	v_dual_cndmask_b32 v92, 0, v92, s0 :: v_dual_cndmask_b32 v93, 0, v93, s1
	s_or_b32 exec_lo, exec_lo, s12
	global_load_b128 v[98:101], v[94:95], off offset:11264
	s_wait_xcnt 0x0
	s_and_saveexec_b32 s12, vcc_lo
	s_cbranch_execz .LBB49_61
.LBB49_86:                              ;   in Loop: Header=BB49_36 Depth=1
	v_cmp_gt_i32_e64 s0, s23, v14
	v_cmp_gt_i32_e64 s1, s11, v16
	s_wait_loadcnt 0x0
	s_delay_alu instid0(VALU_DEP_1) | instskip(SKIP_2) | instid1(VALU_DEP_1)
	v_dual_cndmask_b32 v98, 0, v98, s0 :: v_dual_cndmask_b32 v99, 0, v99, s1
	v_cmp_gt_i32_e64 s0, s23, v15
	v_cmp_gt_i32_e64 s1, s11, v17
	v_dual_cndmask_b32 v100, 0, v100, s0 :: v_dual_cndmask_b32 v101, 0, v101, s1
	s_or_b32 exec_lo, exec_lo, s12
	global_load_b128 v[102:105], v[94:95], off offset:11776
	s_wait_xcnt 0x0
	s_and_saveexec_b32 s12, vcc_lo
	s_cbranch_execz .LBB49_62
.LBB49_87:                              ;   in Loop: Header=BB49_36 Depth=1
	v_cmp_gt_i32_e64 s0, s23, v14
	v_cmp_gt_i32_e64 s1, s11, v16
	s_wait_loadcnt 0x0
	s_delay_alu instid0(VALU_DEP_1) | instskip(SKIP_2) | instid1(VALU_DEP_1)
	v_dual_cndmask_b32 v102, 0, v102, s0 :: v_dual_cndmask_b32 v103, 0, v103, s1
	v_cmp_gt_i32_e64 s0, s23, v15
	v_cmp_gt_i32_e64 s1, s11, v17
	v_dual_cndmask_b32 v104, 0, v104, s0 :: v_dual_cndmask_b32 v105, 0, v105, s1
	s_or_b32 exec_lo, exec_lo, s12
	global_load_b128 v[106:109], v[94:95], off offset:12288
	s_wait_xcnt 0x0
	s_and_saveexec_b32 s12, vcc_lo
	s_cbranch_execz .LBB49_63
.LBB49_88:                              ;   in Loop: Header=BB49_36 Depth=1
	v_cmp_gt_i32_e64 s0, s23, v14
	v_cmp_gt_i32_e64 s1, s11, v16
	s_wait_loadcnt 0x0
	s_delay_alu instid0(VALU_DEP_1) | instskip(SKIP_2) | instid1(VALU_DEP_1)
	v_dual_cndmask_b32 v106, 0, v106, s0 :: v_dual_cndmask_b32 v107, 0, v107, s1
	v_cmp_gt_i32_e64 s0, s23, v15
	v_cmp_gt_i32_e64 s1, s11, v17
	v_dual_cndmask_b32 v108, 0, v108, s0 :: v_dual_cndmask_b32 v109, 0, v109, s1
	s_or_b32 exec_lo, exec_lo, s12
	global_load_b128 v[110:113], v[94:95], off offset:12800
	s_wait_xcnt 0x0
	s_and_saveexec_b32 s12, vcc_lo
	s_cbranch_execz .LBB49_64
.LBB49_89:                              ;   in Loop: Header=BB49_36 Depth=1
	v_cmp_gt_i32_e64 s0, s23, v14
	v_cmp_gt_i32_e64 s1, s11, v16
	s_wait_loadcnt 0x0
	s_delay_alu instid0(VALU_DEP_1) | instskip(SKIP_2) | instid1(VALU_DEP_1)
	v_dual_cndmask_b32 v110, 0, v110, s0 :: v_dual_cndmask_b32 v111, 0, v111, s1
	v_cmp_gt_i32_e64 s0, s23, v15
	v_cmp_gt_i32_e64 s1, s11, v17
	v_dual_cndmask_b32 v112, 0, v112, s0 :: v_dual_cndmask_b32 v113, 0, v113, s1
	s_or_b32 exec_lo, exec_lo, s12
	global_load_b128 v[114:117], v[94:95], off offset:13312
	s_wait_xcnt 0x0
	s_and_saveexec_b32 s12, vcc_lo
	s_cbranch_execz .LBB49_65
.LBB49_90:                              ;   in Loop: Header=BB49_36 Depth=1
	v_cmp_gt_i32_e64 s0, s23, v14
	v_cmp_gt_i32_e64 s1, s11, v16
	s_wait_loadcnt 0x0
	s_delay_alu instid0(VALU_DEP_1) | instskip(SKIP_2) | instid1(VALU_DEP_1)
	v_dual_cndmask_b32 v114, 0, v114, s0 :: v_dual_cndmask_b32 v115, 0, v115, s1
	v_cmp_gt_i32_e64 s0, s23, v15
	v_cmp_gt_i32_e64 s1, s11, v17
	v_dual_cndmask_b32 v116, 0, v116, s0 :: v_dual_cndmask_b32 v117, 0, v117, s1
	s_or_b32 exec_lo, exec_lo, s12
	global_load_b128 v[94:97], v[94:95], off offset:13824
	s_wait_xcnt 0x0
	s_and_saveexec_b32 s1, vcc_lo
	s_cbranch_execz .LBB49_35
.LBB49_91:                              ;   in Loop: Header=BB49_36 Depth=1
	v_cmp_gt_i32_e32 vcc_lo, s23, v14
	v_cmp_gt_i32_e64 s0, s11, v16
	s_wait_loadcnt 0x0
	s_delay_alu instid0(VALU_DEP_1) | instskip(SKIP_2) | instid1(VALU_DEP_1)
	v_dual_cndmask_b32 v94, 0, v94, vcc_lo :: v_dual_cndmask_b32 v95, 0, v95, s0
	v_cmp_gt_i32_e32 vcc_lo, s23, v15
	v_cmp_gt_i32_e64 s0, s11, v17
	v_dual_cndmask_b32 v96, 0, v96, vcc_lo :: v_dual_cndmask_b32 v97, 0, v97, s0
	s_branch .LBB49_35
.LBB49_92:
	s_or_b32 exec_lo, exec_lo, s10
	s_clause 0x2
	scratch_load_b64 v[48:49], off, off offset:56
	scratch_load_b64 v[50:51], off, off offset:64
	;; [unrolled: 1-line block ×3, first 2 shown]
.LBB49_93:
	s_wait_xcnt 0x0
	s_or_b32 exec_lo, exec_lo, s18
	s_clause 0x3
	scratch_load_b32 v41, off, off offset:104 th:TH_LOAD_LU
	scratch_load_b32 v54, off, off offset:120 th:TH_LOAD_LU
	;; [unrolled: 1-line block ×3, first 2 shown]
	scratch_load_b64 v[52:53], off, off offset:48 th:TH_LOAD_LU
	s_mov_b32 s0, exec_lo
	s_wait_loadcnt 0x3
	ds_bpermute_b32 v6, v41, v124
	ds_bpermute_b32 v7, v41, v125
	;; [unrolled: 1-line block ×20, first 2 shown]
	s_wait_dscnt 0x12
	v_pk_add_f32 v[6:7], v[124:125], v[6:7]
	s_wait_dscnt 0x10
	v_pk_add_f32 v[8:9], v[122:123], v[8:9]
	;; [unrolled: 2-line block ×3, first 2 shown]
	s_wait_loadcnt 0x2
	ds_bpermute_b32 v16, v54, v6
	s_wait_dscnt 0xd
	v_pk_add_f32 v[10:11], v[10:11], v[18:19]
	ds_bpermute_b32 v17, v54, v7
	s_wait_dscnt 0xc
	v_pk_add_f32 v[14:15], v[120:121], v[14:15]
	ds_bpermute_b32 v18, v54, v8
	ds_bpermute_b32 v19, v54, v9
	ds_bpermute_b32 v26, v54, v12
	ds_bpermute_b32 v27, v54, v13
	ds_bpermute_b32 v28, v54, v10
	ds_bpermute_b32 v29, v54, v11
	ds_bpermute_b32 v24, v54, v14
	ds_bpermute_b32 v25, v54, v15
	s_wait_dscnt 0x12
	v_pk_add_f32 v[20:21], v[4:5], v[20:21]
	s_wait_dscnt 0x10
	v_pk_add_f32 v[22:23], v[2:3], v[22:23]
	;; [unrolled: 2-line block ×3, first 2 shown]
	s_wait_loadcnt 0x0
	ds_bpermute_b32 v30, v41, v52
	ds_bpermute_b32 v31, v41, v53
	ds_bpermute_b32 v36, v54, v20
	ds_bpermute_b32 v37, v54, v21
	ds_bpermute_b32 v42, v54, v0
	ds_bpermute_b32 v43, v54, v1
	s_wait_dscnt 0x12
	v_pk_add_f32 v[32:33], v[118:119], v[32:33]
	s_wait_dscnt 0xe
	v_pk_add_f32 v[16:17], v[6:7], v[16:17]
	v_pk_add_f32 v[34:35], v[126:127], v[34:35]
	s_wait_dscnt 0xc
	v_pk_add_f32 v[2:3], v[8:9], v[18:19]
	ds_bpermute_b32 v18, v41, v56
	s_wait_dscnt 0xb
	v_pk_add_f32 v[6:7], v[12:13], v[26:27]
	ds_bpermute_b32 v19, v41, v57
	;; [unrolled: 3-line block ×3, first 2 shown]
	ds_bpermute_b32 v27, v41, v49
	ds_bpermute_b32 v28, v54, v22
	;; [unrolled: 1-line block ×3, first 2 shown]
	s_wait_dscnt 0xc
	v_pk_add_f32 v[4:5], v[14:15], v[24:25]
	ds_bpermute_b32 v24, v41, v50
	ds_bpermute_b32 v25, v41, v51
	s_wait_dscnt 0xc
	v_pk_add_f32 v[30:31], v[52:53], v[30:31]
	s_wait_dscnt 0xa
	v_pk_add_f32 v[36:37], v[20:21], v[36:37]
	ds_bpermute_b32 v14, v64, v4
	ds_bpermute_b32 v15, v64, v5
	;; [unrolled: 1-line block ×4, first 2 shown]
	s_wait_dscnt 0xc
	v_pk_add_f32 v[0:1], v[0:1], v[42:43]
	ds_bpermute_b32 v44, v54, v32
	ds_bpermute_b32 v45, v54, v33
	ds_bpermute_b32 v46, v54, v34
	ds_bpermute_b32 v47, v54, v35
	s_wait_dscnt 0xe
	v_pk_add_f32 v[18:19], v[56:57], v[18:19]
	ds_bpermute_b32 v10, v64, v16
	ds_bpermute_b32 v11, v64, v17
	s_wait_dscnt 0xe
	v_pk_add_f32 v[20:21], v[48:49], v[26:27]
	ds_bpermute_b32 v12, v64, v2
	s_wait_dscnt 0xd
	v_pk_add_f32 v[22:23], v[22:23], v[28:29]
	ds_bpermute_b32 v26, v54, v18
	ds_bpermute_b32 v27, v54, v19
	s_wait_dscnt 0xd
	v_pk_add_f32 v[24:25], v[50:51], v[24:25]
	ds_bpermute_b32 v50, v54, v20
	ds_bpermute_b32 v51, v54, v21
	;; [unrolled: 1-line block ×8, first 2 shown]
	s_wait_dscnt 0xf
	v_pk_add_f32 v[32:33], v[32:33], v[44:45]
	ds_bpermute_b32 v13, v64, v3
	s_wait_dscnt 0xe
	v_pk_add_f32 v[34:35], v[34:35], v[46:47]
	ds_bpermute_b32 v40, v64, v8
	ds_bpermute_b32 v41, v64, v9
	;; [unrolled: 1-line block ×7, first 2 shown]
	s_wait_dscnt 0x10
	v_pk_add_f32 v[54:55], v[18:19], v[26:27]
	ds_bpermute_b32 v47, v64, v33
	ds_bpermute_b32 v56, v64, v34
	s_wait_dscnt 0x10
	v_pk_add_f32 v[50:51], v[20:21], v[50:51]
	v_pk_add_f32 v[20:21], v[4:5], v[14:15]
	s_wait_dscnt 0xe
	v_pk_add_f32 v[26:27], v[30:31], v[28:29]
	v_pk_add_f32 v[14:15], v[6:7], v[38:39]
	s_wait_dscnt 0xc
	v_pk_add_f32 v[6:7], v[22:23], v[42:43]
	s_clause 0x1
	scratch_load_b32 v43, off, off offset:108
	scratch_load_b32 v30, off, off offset:128 th:TH_LOAD_LU
	s_wait_dscnt 0xa
	v_pk_add_f32 v[48:49], v[24:25], v[48:49]
	ds_bpermute_b32 v57, v64, v35
	ds_bpermute_b32 v58, v64, v54
	;; [unrolled: 1-line block ×9, first 2 shown]
	v_pk_add_f32 v[18:19], v[16:17], v[10:11]
	s_wait_dscnt 0x12
	v_pk_add_f32 v[24:25], v[2:3], v[12:13]
	s_wait_dscnt 0x10
	;; [unrolled: 2-line block ×5, first 2 shown]
	v_pk_add_f32 v[2:3], v[32:33], v[46:47]
	s_wait_storecnt 0x0
	s_wait_loadcnt_dscnt 0x0
	s_barrier_signal -1
	s_barrier_wait -1
	v_pk_add_f32 v[0:1], v[34:35], v[56:57]
	v_pk_add_f32 v[22:23], v[54:55], v[58:59]
	;; [unrolled: 1-line block ×4, first 2 shown]
	v_and_b32_e32 v31, 0x3c7, v43
	v_lshrrev_b32_e32 v30, 3, v30
	s_delay_alu instid0(VALU_DEP_2) | instskip(SKIP_1) | instid1(SALU_CYCLE_1)
	v_cmpx_ne_u32_e32 64, v31
	s_xor_b32 s0, exec_lo, s0
	s_or_saveexec_b32 s0, s0
	v_pk_add_f32 v[26:27], v[26:27], v[28:29]
	scratch_load_b32 v28, off, off offset:112 th:TH_LOAD_LU ; 4-byte Folded Reload
	v_lshl_add_u32 v29, v30, 2, 0x1e0
	s_wait_loadcnt 0x0
	v_mul_u32_u24_e32 v28, 0x1c0, v28
	s_xor_b32 exec_lo, exec_lo, s0
	s_cbranch_execz .LBB49_95
; %bb.94:
	s_delay_alu instid0(VALU_DEP_1) | instskip(NEXT) | instid1(VALU_DEP_1)
	v_add_nc_u32_e32 v31, v29, v28
	v_add_nc_u32_e32 v32, 0xfffffc80, v31
	;; [unrolled: 1-line block ×9, first 2 shown]
	ds_store_b32 v32, v18
	ds_store_b32 v33, v19
	ds_store_b32 v34, v24
	ds_store_b32 v35, v25
	ds_store_b32 v36, v20
	ds_store_b32 v37, v21
	ds_store_b32 v38, v14
	ds_store_b32 v39, v15
	v_add_nc_u32_e32 v32, 0xfffffd00, v31
	v_add_nc_u32_e32 v33, 0xfffffd10, v31
	;; [unrolled: 1-line block ×8, first 2 shown]
	ds_store_b32 v32, v10
	ds_store_b32 v33, v11
	;; [unrolled: 1-line block ×8, first 2 shown]
	v_add_nc_u32_e32 v32, 0xfffffd80, v31
	v_add_nc_u32_e32 v33, 0xfffffd90, v31
	;; [unrolled: 1-line block ×12, first 2 shown]
	ds_store_b32 v32, v2
	ds_store_b32 v33, v3
	ds_store_b32 v34, v0
	ds_store_b32 v35, v1
	ds_store_b32 v36, v22
	ds_store_b32 v37, v23
	ds_store_b32 v38, v16
	ds_store_b32 v39, v17
	ds_store_b32 v40, v12
	ds_store_b32 v41, v13
	ds_store_b32 v42, v26
	ds_store_b32 v31, v27
.LBB49_95:
	s_or_b32 exec_lo, exec_lo, s0
	scratch_load_b32 v31, off, off offset:124 th:TH_LOAD_LU ; 4-byte Folded Reload
	v_lshlrev_b32_e32 v30, 2, v30
	s_mov_b32 s1, exec_lo
	s_wait_loadcnt_dscnt 0x0
	s_barrier_signal -1
	s_barrier_wait -1
	v_add3_u32 v28, 0x1e0, v28, v30
	v_cmp_eq_u32_e32 vcc_lo, 0, v31
	v_cmpx_gt_u32_e32 64, v43
	s_cbranch_execz .LBB49_126
; %bb.96:
	s_and_saveexec_b32 s0, vcc_lo
	s_cbranch_execnz .LBB49_162
; %bb.97:
	s_or_b32 exec_lo, exec_lo, s0
	s_and_saveexec_b32 s0, vcc_lo
	s_cbranch_execnz .LBB49_163
.LBB49_98:
	s_or_b32 exec_lo, exec_lo, s0
	s_and_saveexec_b32 s0, vcc_lo
	s_cbranch_execnz .LBB49_164
.LBB49_99:
	s_or_b32 exec_lo, exec_lo, s0
	s_and_saveexec_b32 s0, vcc_lo
	s_cbranch_execnz .LBB49_165
.LBB49_100:
	s_or_b32 exec_lo, exec_lo, s0
	s_and_saveexec_b32 s0, vcc_lo
	s_cbranch_execnz .LBB49_166
.LBB49_101:
	s_or_b32 exec_lo, exec_lo, s0
	s_and_saveexec_b32 s0, vcc_lo
	s_cbranch_execnz .LBB49_167
.LBB49_102:
	s_or_b32 exec_lo, exec_lo, s0
	s_and_saveexec_b32 s0, vcc_lo
	s_cbranch_execnz .LBB49_168
.LBB49_103:
	s_or_b32 exec_lo, exec_lo, s0
	s_and_saveexec_b32 s0, vcc_lo
	s_cbranch_execnz .LBB49_169
.LBB49_104:
	s_or_b32 exec_lo, exec_lo, s0
	s_and_saveexec_b32 s0, vcc_lo
	s_cbranch_execnz .LBB49_170
.LBB49_105:
	s_or_b32 exec_lo, exec_lo, s0
	s_and_saveexec_b32 s0, vcc_lo
	s_cbranch_execnz .LBB49_171
.LBB49_106:
	s_or_b32 exec_lo, exec_lo, s0
	s_and_saveexec_b32 s0, vcc_lo
	s_cbranch_execnz .LBB49_172
.LBB49_107:
	s_or_b32 exec_lo, exec_lo, s0
	s_and_saveexec_b32 s0, vcc_lo
	s_cbranch_execnz .LBB49_173
.LBB49_108:
	s_or_b32 exec_lo, exec_lo, s0
	s_and_saveexec_b32 s0, vcc_lo
	s_cbranch_execnz .LBB49_174
.LBB49_109:
	s_or_b32 exec_lo, exec_lo, s0
	s_and_saveexec_b32 s0, vcc_lo
	s_cbranch_execnz .LBB49_175
.LBB49_110:
	s_or_b32 exec_lo, exec_lo, s0
	s_and_saveexec_b32 s0, vcc_lo
	s_cbranch_execnz .LBB49_176
.LBB49_111:
	s_or_b32 exec_lo, exec_lo, s0
	s_and_saveexec_b32 s0, vcc_lo
	s_cbranch_execnz .LBB49_177
.LBB49_112:
	s_or_b32 exec_lo, exec_lo, s0
	s_and_saveexec_b32 s0, vcc_lo
	s_cbranch_execnz .LBB49_178
.LBB49_113:
	s_or_b32 exec_lo, exec_lo, s0
	s_and_saveexec_b32 s0, vcc_lo
	s_cbranch_execnz .LBB49_179
.LBB49_114:
	s_or_b32 exec_lo, exec_lo, s0
	s_and_saveexec_b32 s0, vcc_lo
	s_cbranch_execnz .LBB49_180
.LBB49_115:
	s_or_b32 exec_lo, exec_lo, s0
	s_and_saveexec_b32 s0, vcc_lo
	s_cbranch_execnz .LBB49_181
.LBB49_116:
	s_or_b32 exec_lo, exec_lo, s0
	s_and_saveexec_b32 s0, vcc_lo
	s_cbranch_execnz .LBB49_182
.LBB49_117:
	s_or_b32 exec_lo, exec_lo, s0
	s_and_saveexec_b32 s0, vcc_lo
	s_cbranch_execnz .LBB49_183
.LBB49_118:
	s_or_b32 exec_lo, exec_lo, s0
	s_and_saveexec_b32 s0, vcc_lo
	s_cbranch_execnz .LBB49_184
.LBB49_119:
	s_or_b32 exec_lo, exec_lo, s0
	s_and_saveexec_b32 s0, vcc_lo
	s_cbranch_execnz .LBB49_185
.LBB49_120:
	s_or_b32 exec_lo, exec_lo, s0
	s_and_saveexec_b32 s0, vcc_lo
	s_cbranch_execnz .LBB49_186
.LBB49_121:
	s_or_b32 exec_lo, exec_lo, s0
	s_and_saveexec_b32 s0, vcc_lo
	s_cbranch_execnz .LBB49_187
.LBB49_122:
	s_or_b32 exec_lo, exec_lo, s0
	s_and_saveexec_b32 s0, vcc_lo
	s_cbranch_execnz .LBB49_188
.LBB49_123:
	s_or_b32 exec_lo, exec_lo, s0
	s_and_saveexec_b32 s0, vcc_lo
	s_cbranch_execz .LBB49_125
.LBB49_124:
	ds_load_b32 v30, v28 offset:432
	s_wait_dscnt 0x0
	v_add_f32_e32 v27, v27, v30
.LBB49_125:
	s_or_b32 exec_lo, exec_lo, s0
.LBB49_126:
	s_delay_alu instid0(SALU_CYCLE_1) | instskip(SKIP_4) | instid1(VALU_DEP_1)
	s_or_b32 exec_lo, exec_lo, s1
	v_and_b32_e32 v30, 0x3e7, v43
	s_mov_b32 s1, exec_lo
	s_barrier_signal -1
	s_barrier_wait -1
	v_cmpx_eq_u32_e32 32, v30
	s_cbranch_execz .LBB49_128
; %bb.127:
	ds_store_2addr_b32 v29, v18, v19 offset1:4
	ds_store_2addr_b32 v29, v24, v25 offset0:8 offset1:12
	ds_store_2addr_b32 v29, v20, v21 offset0:16 offset1:20
	;; [unrolled: 1-line block ×13, first 2 shown]
.LBB49_128:
	s_or_b32 exec_lo, exec_lo, s1
	s_delay_alu instid0(SALU_CYCLE_1)
	s_mov_b32 s1, exec_lo
	s_wait_dscnt 0x0
	s_barrier_signal -1
	s_barrier_wait -1
	v_cmpx_gt_u32_e32 32, v43
	s_cbranch_execz .LBB49_159
; %bb.129:
	s_and_saveexec_b32 s0, vcc_lo
	s_cbranch_execnz .LBB49_189
; %bb.130:
	s_or_b32 exec_lo, exec_lo, s0
	s_and_saveexec_b32 s0, vcc_lo
	s_cbranch_execnz .LBB49_190
.LBB49_131:
	s_or_b32 exec_lo, exec_lo, s0
	s_and_saveexec_b32 s0, vcc_lo
	s_cbranch_execnz .LBB49_191
.LBB49_132:
	s_or_b32 exec_lo, exec_lo, s0
	s_and_saveexec_b32 s0, vcc_lo
	s_cbranch_execnz .LBB49_192
.LBB49_133:
	s_or_b32 exec_lo, exec_lo, s0
	s_and_saveexec_b32 s0, vcc_lo
	s_cbranch_execnz .LBB49_193
.LBB49_134:
	s_or_b32 exec_lo, exec_lo, s0
	s_and_saveexec_b32 s0, vcc_lo
	s_cbranch_execnz .LBB49_194
.LBB49_135:
	s_or_b32 exec_lo, exec_lo, s0
	s_and_saveexec_b32 s0, vcc_lo
	s_cbranch_execnz .LBB49_195
.LBB49_136:
	s_or_b32 exec_lo, exec_lo, s0
	s_and_saveexec_b32 s0, vcc_lo
	s_cbranch_execnz .LBB49_196
.LBB49_137:
	s_or_b32 exec_lo, exec_lo, s0
	s_and_saveexec_b32 s0, vcc_lo
	s_cbranch_execnz .LBB49_197
.LBB49_138:
	s_or_b32 exec_lo, exec_lo, s0
	s_and_saveexec_b32 s0, vcc_lo
	s_cbranch_execnz .LBB49_198
.LBB49_139:
	s_or_b32 exec_lo, exec_lo, s0
	s_and_saveexec_b32 s0, vcc_lo
	s_cbranch_execnz .LBB49_199
.LBB49_140:
	s_or_b32 exec_lo, exec_lo, s0
	s_and_saveexec_b32 s0, vcc_lo
	s_cbranch_execnz .LBB49_200
.LBB49_141:
	s_or_b32 exec_lo, exec_lo, s0
	s_and_saveexec_b32 s0, vcc_lo
	s_cbranch_execnz .LBB49_201
.LBB49_142:
	s_or_b32 exec_lo, exec_lo, s0
	s_and_saveexec_b32 s0, vcc_lo
	s_cbranch_execnz .LBB49_202
.LBB49_143:
	s_or_b32 exec_lo, exec_lo, s0
	s_and_saveexec_b32 s0, vcc_lo
	s_cbranch_execnz .LBB49_203
.LBB49_144:
	s_or_b32 exec_lo, exec_lo, s0
	s_and_saveexec_b32 s0, vcc_lo
	s_cbranch_execnz .LBB49_204
.LBB49_145:
	s_or_b32 exec_lo, exec_lo, s0
	s_and_saveexec_b32 s0, vcc_lo
	s_cbranch_execnz .LBB49_205
.LBB49_146:
	s_or_b32 exec_lo, exec_lo, s0
	s_and_saveexec_b32 s0, vcc_lo
	s_cbranch_execnz .LBB49_206
.LBB49_147:
	s_or_b32 exec_lo, exec_lo, s0
	s_and_saveexec_b32 s0, vcc_lo
	s_cbranch_execnz .LBB49_207
.LBB49_148:
	s_or_b32 exec_lo, exec_lo, s0
	s_and_saveexec_b32 s0, vcc_lo
	s_cbranch_execnz .LBB49_208
.LBB49_149:
	s_or_b32 exec_lo, exec_lo, s0
	s_and_saveexec_b32 s0, vcc_lo
	s_cbranch_execnz .LBB49_209
.LBB49_150:
	s_or_b32 exec_lo, exec_lo, s0
	s_and_saveexec_b32 s0, vcc_lo
	s_cbranch_execnz .LBB49_210
.LBB49_151:
	s_or_b32 exec_lo, exec_lo, s0
	s_and_saveexec_b32 s0, vcc_lo
	s_cbranch_execnz .LBB49_211
.LBB49_152:
	s_or_b32 exec_lo, exec_lo, s0
	s_and_saveexec_b32 s0, vcc_lo
	s_cbranch_execnz .LBB49_212
.LBB49_153:
	s_or_b32 exec_lo, exec_lo, s0
	s_and_saveexec_b32 s0, vcc_lo
	s_cbranch_execnz .LBB49_213
.LBB49_154:
	s_or_b32 exec_lo, exec_lo, s0
	s_and_saveexec_b32 s0, vcc_lo
	s_cbranch_execnz .LBB49_214
.LBB49_155:
	s_or_b32 exec_lo, exec_lo, s0
	s_and_saveexec_b32 s0, vcc_lo
	s_cbranch_execnz .LBB49_215
.LBB49_156:
	s_or_b32 exec_lo, exec_lo, s0
	s_and_saveexec_b32 s0, vcc_lo
	s_cbranch_execz .LBB49_158
.LBB49_157:
	ds_load_b32 v28, v28 offset:432
	s_wait_dscnt 0x0
	v_add_f32_e32 v27, v27, v28
.LBB49_158:
	s_or_b32 exec_lo, exec_lo, s0
.LBB49_159:
	s_delay_alu instid0(SALU_CYCLE_1)
	s_or_b32 exec_lo, exec_lo, s1
	s_mov_b32 s1, 0
	s_barrier_signal -1
	s_barrier_wait -1
	s_mov_b32 s0, exec_lo
	v_cmpx_eq_u32_e32 0, v30
	s_cbranch_execz .LBB49_161
; %bb.160:
	s_mul_i32 s0, s22, s4
	s_mul_i32 s2, s4, s8
	;; [unrolled: 1-line block ×3, first 2 shown]
	s_lshr_b32 s8, ttmp7, 16
	s_mul_i32 s4, s0, 0x70
	s_bfe_u32 s0, ttmp6, 0x40014
	s_ashr_i32 s5, s4, 31
	s_add_co_i32 s0, s0, 1
	s_lshl_b64 s[4:5], s[4:5], 2
	s_ashr_i32 s3, s2, 31
	s_wait_kmcnt 0x0
	s_add_nc_u64 s[4:5], s[6:7], s[4:5]
	s_mul_i32 s0, s8, s0
	s_bfe_u32 s6, ttmp6, 0x40008
	s_lshl_b64 s[2:3], s[2:3], 2
	s_add_co_i32 s6, s6, s0
	s_cmp_eq_u32 s20, 0
	v_lshrrev_b32_e32 v28, 1, v43
	s_cselect_b32 s0, s8, s6
	s_add_nc_u64 s[2:3], s[4:5], s[2:3]
	s_mulk_i32 s0, 0x1c0
	s_delay_alu instid0(SALU_CYCLE_1)
	s_add_nc_u64 s[0:1], s[2:3], s[0:1]
	s_clause 0x1b
	global_store_b32 v28, v18, s[0:1]
	global_store_b32 v28, v19, s[0:1] offset:16
	global_store_b32 v28, v24, s[0:1] offset:32
	;; [unrolled: 1-line block ×27, first 2 shown]
.LBB49_161:
	s_sendmsg sendmsg(MSG_DEALLOC_VGPRS)
	s_endpgm
.LBB49_162:
	ds_load_b32 v30, v28
	s_wait_dscnt 0x0
	v_add_f32_e32 v18, v18, v30
	s_or_b32 exec_lo, exec_lo, s0
	s_and_saveexec_b32 s0, vcc_lo
	s_cbranch_execz .LBB49_98
.LBB49_163:
	ds_load_b32 v30, v28 offset:16
	s_wait_dscnt 0x0
	v_add_f32_e32 v19, v19, v30
	s_or_b32 exec_lo, exec_lo, s0
	s_and_saveexec_b32 s0, vcc_lo
	s_cbranch_execz .LBB49_99
.LBB49_164:
	ds_load_b32 v30, v28 offset:32
	s_wait_dscnt 0x0
	v_add_f32_e32 v24, v24, v30
	s_or_b32 exec_lo, exec_lo, s0
	s_and_saveexec_b32 s0, vcc_lo
	s_cbranch_execz .LBB49_100
.LBB49_165:
	ds_load_b32 v30, v28 offset:48
	s_wait_dscnt 0x0
	v_add_f32_e32 v25, v25, v30
	s_or_b32 exec_lo, exec_lo, s0
	s_and_saveexec_b32 s0, vcc_lo
	s_cbranch_execz .LBB49_101
.LBB49_166:
	ds_load_b32 v30, v28 offset:64
	s_wait_dscnt 0x0
	v_add_f32_e32 v20, v20, v30
	s_or_b32 exec_lo, exec_lo, s0
	s_and_saveexec_b32 s0, vcc_lo
	s_cbranch_execz .LBB49_102
.LBB49_167:
	ds_load_b32 v30, v28 offset:80
	s_wait_dscnt 0x0
	v_add_f32_e32 v21, v21, v30
	s_or_b32 exec_lo, exec_lo, s0
	s_and_saveexec_b32 s0, vcc_lo
	s_cbranch_execz .LBB49_103
.LBB49_168:
	ds_load_b32 v30, v28 offset:96
	s_wait_dscnt 0x0
	v_add_f32_e32 v14, v14, v30
	s_or_b32 exec_lo, exec_lo, s0
	s_and_saveexec_b32 s0, vcc_lo
	s_cbranch_execz .LBB49_104
.LBB49_169:
	ds_load_b32 v30, v28 offset:112
	s_wait_dscnt 0x0
	v_add_f32_e32 v15, v15, v30
	s_or_b32 exec_lo, exec_lo, s0
	s_and_saveexec_b32 s0, vcc_lo
	s_cbranch_execz .LBB49_105
.LBB49_170:
	ds_load_b32 v30, v28 offset:128
	s_wait_dscnt 0x0
	v_add_f32_e32 v10, v10, v30
	s_or_b32 exec_lo, exec_lo, s0
	s_and_saveexec_b32 s0, vcc_lo
	s_cbranch_execz .LBB49_106
.LBB49_171:
	ds_load_b32 v30, v28 offset:144
	s_wait_dscnt 0x0
	v_add_f32_e32 v11, v11, v30
	s_or_b32 exec_lo, exec_lo, s0
	s_and_saveexec_b32 s0, vcc_lo
	s_cbranch_execz .LBB49_107
.LBB49_172:
	ds_load_b32 v30, v28 offset:160
	s_wait_dscnt 0x0
	v_add_f32_e32 v8, v8, v30
	s_or_b32 exec_lo, exec_lo, s0
	s_and_saveexec_b32 s0, vcc_lo
	s_cbranch_execz .LBB49_108
.LBB49_173:
	ds_load_b32 v30, v28 offset:176
	s_wait_dscnt 0x0
	v_add_f32_e32 v9, v9, v30
	s_or_b32 exec_lo, exec_lo, s0
	s_and_saveexec_b32 s0, vcc_lo
	s_cbranch_execz .LBB49_109
.LBB49_174:
	ds_load_b32 v30, v28 offset:192
	s_wait_dscnt 0x0
	v_add_f32_e32 v6, v6, v30
	s_or_b32 exec_lo, exec_lo, s0
	s_and_saveexec_b32 s0, vcc_lo
	s_cbranch_execz .LBB49_110
.LBB49_175:
	ds_load_b32 v30, v28 offset:208
	s_wait_dscnt 0x0
	v_add_f32_e32 v7, v7, v30
	s_or_b32 exec_lo, exec_lo, s0
	s_and_saveexec_b32 s0, vcc_lo
	s_cbranch_execz .LBB49_111
.LBB49_176:
	ds_load_b32 v30, v28 offset:224
	s_wait_dscnt 0x0
	v_add_f32_e32 v4, v4, v30
	s_or_b32 exec_lo, exec_lo, s0
	s_and_saveexec_b32 s0, vcc_lo
	s_cbranch_execz .LBB49_112
.LBB49_177:
	ds_load_b32 v30, v28 offset:240
	s_wait_dscnt 0x0
	v_add_f32_e32 v5, v5, v30
	s_or_b32 exec_lo, exec_lo, s0
	s_and_saveexec_b32 s0, vcc_lo
	s_cbranch_execz .LBB49_113
.LBB49_178:
	ds_load_b32 v30, v28 offset:256
	s_wait_dscnt 0x0
	v_add_f32_e32 v2, v2, v30
	s_or_b32 exec_lo, exec_lo, s0
	s_and_saveexec_b32 s0, vcc_lo
	s_cbranch_execz .LBB49_114
.LBB49_179:
	ds_load_b32 v30, v28 offset:272
	s_wait_dscnt 0x0
	v_add_f32_e32 v3, v3, v30
	s_or_b32 exec_lo, exec_lo, s0
	s_and_saveexec_b32 s0, vcc_lo
	s_cbranch_execz .LBB49_115
.LBB49_180:
	ds_load_b32 v30, v28 offset:288
	s_wait_dscnt 0x0
	v_add_f32_e32 v0, v0, v30
	s_or_b32 exec_lo, exec_lo, s0
	s_and_saveexec_b32 s0, vcc_lo
	s_cbranch_execz .LBB49_116
.LBB49_181:
	ds_load_b32 v30, v28 offset:304
	s_wait_dscnt 0x0
	v_add_f32_e32 v1, v1, v30
	s_or_b32 exec_lo, exec_lo, s0
	s_and_saveexec_b32 s0, vcc_lo
	s_cbranch_execz .LBB49_117
.LBB49_182:
	ds_load_b32 v30, v28 offset:320
	s_wait_dscnt 0x0
	v_add_f32_e32 v22, v22, v30
	s_or_b32 exec_lo, exec_lo, s0
	s_and_saveexec_b32 s0, vcc_lo
	s_cbranch_execz .LBB49_118
.LBB49_183:
	ds_load_b32 v30, v28 offset:336
	s_wait_dscnt 0x0
	v_add_f32_e32 v23, v23, v30
	s_or_b32 exec_lo, exec_lo, s0
	s_and_saveexec_b32 s0, vcc_lo
	s_cbranch_execz .LBB49_119
.LBB49_184:
	ds_load_b32 v30, v28 offset:352
	s_wait_dscnt 0x0
	v_add_f32_e32 v16, v16, v30
	s_or_b32 exec_lo, exec_lo, s0
	s_and_saveexec_b32 s0, vcc_lo
	s_cbranch_execz .LBB49_120
.LBB49_185:
	ds_load_b32 v30, v28 offset:368
	s_wait_dscnt 0x0
	v_add_f32_e32 v17, v17, v30
	s_or_b32 exec_lo, exec_lo, s0
	s_and_saveexec_b32 s0, vcc_lo
	s_cbranch_execz .LBB49_121
.LBB49_186:
	ds_load_b32 v30, v28 offset:384
	s_wait_dscnt 0x0
	v_add_f32_e32 v12, v12, v30
	s_or_b32 exec_lo, exec_lo, s0
	s_and_saveexec_b32 s0, vcc_lo
	s_cbranch_execz .LBB49_122
.LBB49_187:
	ds_load_b32 v30, v28 offset:400
	s_wait_dscnt 0x0
	v_add_f32_e32 v13, v13, v30
	s_or_b32 exec_lo, exec_lo, s0
	s_and_saveexec_b32 s0, vcc_lo
	s_cbranch_execz .LBB49_123
.LBB49_188:
	ds_load_b32 v30, v28 offset:416
	s_wait_dscnt 0x0
	v_add_f32_e32 v26, v26, v30
	s_or_b32 exec_lo, exec_lo, s0
	s_and_saveexec_b32 s0, vcc_lo
	s_cbranch_execnz .LBB49_124
	s_branch .LBB49_125
.LBB49_189:
	ds_load_b32 v29, v28
	s_wait_dscnt 0x0
	v_add_f32_e32 v18, v18, v29
	s_or_b32 exec_lo, exec_lo, s0
	s_and_saveexec_b32 s0, vcc_lo
	s_cbranch_execz .LBB49_131
.LBB49_190:
	ds_load_b32 v29, v28 offset:16
	s_wait_dscnt 0x0
	v_add_f32_e32 v19, v19, v29
	s_or_b32 exec_lo, exec_lo, s0
	s_and_saveexec_b32 s0, vcc_lo
	s_cbranch_execz .LBB49_132
.LBB49_191:
	ds_load_b32 v29, v28 offset:32
	s_wait_dscnt 0x0
	v_add_f32_e32 v24, v24, v29
	s_or_b32 exec_lo, exec_lo, s0
	s_and_saveexec_b32 s0, vcc_lo
	s_cbranch_execz .LBB49_133
.LBB49_192:
	ds_load_b32 v29, v28 offset:48
	s_wait_dscnt 0x0
	v_add_f32_e32 v25, v25, v29
	s_or_b32 exec_lo, exec_lo, s0
	s_and_saveexec_b32 s0, vcc_lo
	s_cbranch_execz .LBB49_134
.LBB49_193:
	ds_load_b32 v29, v28 offset:64
	s_wait_dscnt 0x0
	v_add_f32_e32 v20, v20, v29
	s_or_b32 exec_lo, exec_lo, s0
	s_and_saveexec_b32 s0, vcc_lo
	s_cbranch_execz .LBB49_135
.LBB49_194:
	ds_load_b32 v29, v28 offset:80
	s_wait_dscnt 0x0
	v_add_f32_e32 v21, v21, v29
	s_or_b32 exec_lo, exec_lo, s0
	s_and_saveexec_b32 s0, vcc_lo
	s_cbranch_execz .LBB49_136
.LBB49_195:
	ds_load_b32 v29, v28 offset:96
	s_wait_dscnt 0x0
	v_add_f32_e32 v14, v14, v29
	s_or_b32 exec_lo, exec_lo, s0
	s_and_saveexec_b32 s0, vcc_lo
	s_cbranch_execz .LBB49_137
.LBB49_196:
	ds_load_b32 v29, v28 offset:112
	s_wait_dscnt 0x0
	v_add_f32_e32 v15, v15, v29
	s_or_b32 exec_lo, exec_lo, s0
	s_and_saveexec_b32 s0, vcc_lo
	s_cbranch_execz .LBB49_138
.LBB49_197:
	ds_load_b32 v29, v28 offset:128
	s_wait_dscnt 0x0
	v_add_f32_e32 v10, v10, v29
	s_or_b32 exec_lo, exec_lo, s0
	s_and_saveexec_b32 s0, vcc_lo
	s_cbranch_execz .LBB49_139
.LBB49_198:
	ds_load_b32 v29, v28 offset:144
	s_wait_dscnt 0x0
	v_add_f32_e32 v11, v11, v29
	s_or_b32 exec_lo, exec_lo, s0
	s_and_saveexec_b32 s0, vcc_lo
	s_cbranch_execz .LBB49_140
.LBB49_199:
	ds_load_b32 v29, v28 offset:160
	s_wait_dscnt 0x0
	v_add_f32_e32 v8, v8, v29
	s_or_b32 exec_lo, exec_lo, s0
	s_and_saveexec_b32 s0, vcc_lo
	s_cbranch_execz .LBB49_141
.LBB49_200:
	ds_load_b32 v29, v28 offset:176
	s_wait_dscnt 0x0
	v_add_f32_e32 v9, v9, v29
	s_or_b32 exec_lo, exec_lo, s0
	s_and_saveexec_b32 s0, vcc_lo
	s_cbranch_execz .LBB49_142
.LBB49_201:
	ds_load_b32 v29, v28 offset:192
	s_wait_dscnt 0x0
	v_add_f32_e32 v6, v6, v29
	s_or_b32 exec_lo, exec_lo, s0
	s_and_saveexec_b32 s0, vcc_lo
	s_cbranch_execz .LBB49_143
.LBB49_202:
	ds_load_b32 v29, v28 offset:208
	s_wait_dscnt 0x0
	v_add_f32_e32 v7, v7, v29
	s_or_b32 exec_lo, exec_lo, s0
	s_and_saveexec_b32 s0, vcc_lo
	s_cbranch_execz .LBB49_144
.LBB49_203:
	ds_load_b32 v29, v28 offset:224
	s_wait_dscnt 0x0
	v_add_f32_e32 v4, v4, v29
	s_or_b32 exec_lo, exec_lo, s0
	s_and_saveexec_b32 s0, vcc_lo
	s_cbranch_execz .LBB49_145
.LBB49_204:
	ds_load_b32 v29, v28 offset:240
	s_wait_dscnt 0x0
	v_add_f32_e32 v5, v5, v29
	s_or_b32 exec_lo, exec_lo, s0
	s_and_saveexec_b32 s0, vcc_lo
	s_cbranch_execz .LBB49_146
.LBB49_205:
	ds_load_b32 v29, v28 offset:256
	s_wait_dscnt 0x0
	v_add_f32_e32 v2, v2, v29
	s_or_b32 exec_lo, exec_lo, s0
	s_and_saveexec_b32 s0, vcc_lo
	s_cbranch_execz .LBB49_147
.LBB49_206:
	ds_load_b32 v29, v28 offset:272
	s_wait_dscnt 0x0
	v_add_f32_e32 v3, v3, v29
	s_or_b32 exec_lo, exec_lo, s0
	s_and_saveexec_b32 s0, vcc_lo
	s_cbranch_execz .LBB49_148
.LBB49_207:
	ds_load_b32 v29, v28 offset:288
	s_wait_dscnt 0x0
	v_add_f32_e32 v0, v0, v29
	s_or_b32 exec_lo, exec_lo, s0
	s_and_saveexec_b32 s0, vcc_lo
	s_cbranch_execz .LBB49_149
.LBB49_208:
	ds_load_b32 v29, v28 offset:304
	s_wait_dscnt 0x0
	v_add_f32_e32 v1, v1, v29
	s_or_b32 exec_lo, exec_lo, s0
	s_and_saveexec_b32 s0, vcc_lo
	s_cbranch_execz .LBB49_150
.LBB49_209:
	ds_load_b32 v29, v28 offset:320
	s_wait_dscnt 0x0
	v_add_f32_e32 v22, v22, v29
	s_or_b32 exec_lo, exec_lo, s0
	s_and_saveexec_b32 s0, vcc_lo
	s_cbranch_execz .LBB49_151
.LBB49_210:
	ds_load_b32 v29, v28 offset:336
	s_wait_dscnt 0x0
	v_add_f32_e32 v23, v23, v29
	s_or_b32 exec_lo, exec_lo, s0
	s_and_saveexec_b32 s0, vcc_lo
	s_cbranch_execz .LBB49_152
.LBB49_211:
	ds_load_b32 v29, v28 offset:352
	s_wait_dscnt 0x0
	v_add_f32_e32 v16, v16, v29
	s_or_b32 exec_lo, exec_lo, s0
	s_and_saveexec_b32 s0, vcc_lo
	s_cbranch_execz .LBB49_153
.LBB49_212:
	ds_load_b32 v29, v28 offset:368
	s_wait_dscnt 0x0
	v_add_f32_e32 v17, v17, v29
	s_or_b32 exec_lo, exec_lo, s0
	s_and_saveexec_b32 s0, vcc_lo
	s_cbranch_execz .LBB49_154
.LBB49_213:
	ds_load_b32 v29, v28 offset:384
	s_wait_dscnt 0x0
	v_add_f32_e32 v12, v12, v29
	s_or_b32 exec_lo, exec_lo, s0
	s_and_saveexec_b32 s0, vcc_lo
	s_cbranch_execz .LBB49_155
.LBB49_214:
	ds_load_b32 v29, v28 offset:400
	s_wait_dscnt 0x0
	v_add_f32_e32 v13, v13, v29
	s_or_b32 exec_lo, exec_lo, s0
	s_and_saveexec_b32 s0, vcc_lo
	s_cbranch_execz .LBB49_156
.LBB49_215:
	ds_load_b32 v29, v28 offset:416
	s_wait_dscnt 0x0
	v_add_f32_e32 v26, v26, v29
	s_or_b32 exec_lo, exec_lo, s0
	s_and_saveexec_b32 s0, vcc_lo
	s_cbranch_execnz .LBB49_157
	s_branch .LBB49_158
	.section	.rodata,"a",@progbits
	.p2align	6, 0x0
	.amdhsa_kernel _ZN4vllm25paged_attention_v1_kernelIffLi112ELi32ELi128ELNS_18Fp8KVCacheDataTypeE0ELb0EEEvPT_PKS2_PKT0_S8_ifPKiSA_iPKfiiiSC_SC_iiiii
		.amdhsa_group_segment_fixed_size 480
		.amdhsa_private_segment_fixed_size 136
		.amdhsa_kernarg_size 384
		.amdhsa_user_sgpr_count 2
		.amdhsa_user_sgpr_dispatch_ptr 0
		.amdhsa_user_sgpr_queue_ptr 0
		.amdhsa_user_sgpr_kernarg_segment_ptr 1
		.amdhsa_user_sgpr_dispatch_id 0
		.amdhsa_user_sgpr_kernarg_preload_length 0
		.amdhsa_user_sgpr_kernarg_preload_offset 0
		.amdhsa_user_sgpr_private_segment_size 0
		.amdhsa_wavefront_size32 1
		.amdhsa_uses_dynamic_stack 0
		.amdhsa_enable_private_segment 1
		.amdhsa_system_sgpr_workgroup_id_x 1
		.amdhsa_system_sgpr_workgroup_id_y 1
		.amdhsa_system_sgpr_workgroup_id_z 1
		.amdhsa_system_sgpr_workgroup_info 0
		.amdhsa_system_vgpr_workitem_id 0
		.amdhsa_next_free_vgpr 128
		.amdhsa_next_free_sgpr 28
		.amdhsa_named_barrier_count 0
		.amdhsa_reserve_vcc 1
		.amdhsa_float_round_mode_32 0
		.amdhsa_float_round_mode_16_64 0
		.amdhsa_float_denorm_mode_32 3
		.amdhsa_float_denorm_mode_16_64 3
		.amdhsa_fp16_overflow 0
		.amdhsa_memory_ordered 1
		.amdhsa_forward_progress 1
		.amdhsa_inst_pref_size 110
		.amdhsa_round_robin_scheduling 0
		.amdhsa_exception_fp_ieee_invalid_op 0
		.amdhsa_exception_fp_denorm_src 0
		.amdhsa_exception_fp_ieee_div_zero 0
		.amdhsa_exception_fp_ieee_overflow 0
		.amdhsa_exception_fp_ieee_underflow 0
		.amdhsa_exception_fp_ieee_inexact 0
		.amdhsa_exception_int_div_zero 0
	.end_amdhsa_kernel
	.section	.text._ZN4vllm25paged_attention_v1_kernelIffLi112ELi32ELi128ELNS_18Fp8KVCacheDataTypeE0ELb0EEEvPT_PKS2_PKT0_S8_ifPKiSA_iPKfiiiSC_SC_iiiii,"axG",@progbits,_ZN4vllm25paged_attention_v1_kernelIffLi112ELi32ELi128ELNS_18Fp8KVCacheDataTypeE0ELb0EEEvPT_PKS2_PKT0_S8_ifPKiSA_iPKfiiiSC_SC_iiiii,comdat
.Lfunc_end49:
	.size	_ZN4vllm25paged_attention_v1_kernelIffLi112ELi32ELi128ELNS_18Fp8KVCacheDataTypeE0ELb0EEEvPT_PKS2_PKT0_S8_ifPKiSA_iPKfiiiSC_SC_iiiii, .Lfunc_end49-_ZN4vllm25paged_attention_v1_kernelIffLi112ELi32ELi128ELNS_18Fp8KVCacheDataTypeE0ELb0EEEvPT_PKS2_PKT0_S8_ifPKiSA_iPKfiiiSC_SC_iiiii
                                        ; -- End function
	.set _ZN4vllm25paged_attention_v1_kernelIffLi112ELi32ELi128ELNS_18Fp8KVCacheDataTypeE0ELb0EEEvPT_PKS2_PKT0_S8_ifPKiSA_iPKfiiiSC_SC_iiiii.num_vgpr, 128
	.set _ZN4vllm25paged_attention_v1_kernelIffLi112ELi32ELi128ELNS_18Fp8KVCacheDataTypeE0ELb0EEEvPT_PKS2_PKT0_S8_ifPKiSA_iPKfiiiSC_SC_iiiii.num_agpr, 0
	.set _ZN4vllm25paged_attention_v1_kernelIffLi112ELi32ELi128ELNS_18Fp8KVCacheDataTypeE0ELb0EEEvPT_PKS2_PKT0_S8_ifPKiSA_iPKfiiiSC_SC_iiiii.numbered_sgpr, 28
	.set _ZN4vllm25paged_attention_v1_kernelIffLi112ELi32ELi128ELNS_18Fp8KVCacheDataTypeE0ELb0EEEvPT_PKS2_PKT0_S8_ifPKiSA_iPKfiiiSC_SC_iiiii.num_named_barrier, 0
	.set _ZN4vllm25paged_attention_v1_kernelIffLi112ELi32ELi128ELNS_18Fp8KVCacheDataTypeE0ELb0EEEvPT_PKS2_PKT0_S8_ifPKiSA_iPKfiiiSC_SC_iiiii.private_seg_size, 136
	.set _ZN4vllm25paged_attention_v1_kernelIffLi112ELi32ELi128ELNS_18Fp8KVCacheDataTypeE0ELb0EEEvPT_PKS2_PKT0_S8_ifPKiSA_iPKfiiiSC_SC_iiiii.uses_vcc, 1
	.set _ZN4vllm25paged_attention_v1_kernelIffLi112ELi32ELi128ELNS_18Fp8KVCacheDataTypeE0ELb0EEEvPT_PKS2_PKT0_S8_ifPKiSA_iPKfiiiSC_SC_iiiii.uses_flat_scratch, 1
	.set _ZN4vllm25paged_attention_v1_kernelIffLi112ELi32ELi128ELNS_18Fp8KVCacheDataTypeE0ELb0EEEvPT_PKS2_PKT0_S8_ifPKiSA_iPKfiiiSC_SC_iiiii.has_dyn_sized_stack, 0
	.set _ZN4vllm25paged_attention_v1_kernelIffLi112ELi32ELi128ELNS_18Fp8KVCacheDataTypeE0ELb0EEEvPT_PKS2_PKT0_S8_ifPKiSA_iPKfiiiSC_SC_iiiii.has_recursion, 0
	.set _ZN4vllm25paged_attention_v1_kernelIffLi112ELi32ELi128ELNS_18Fp8KVCacheDataTypeE0ELb0EEEvPT_PKS2_PKT0_S8_ifPKiSA_iPKfiiiSC_SC_iiiii.has_indirect_call, 0
	.section	.AMDGPU.csdata,"",@progbits
; Kernel info:
; codeLenInByte = 13964
; TotalNumSgprs: 30
; NumVgprs: 128
; ScratchSize: 136
; MemoryBound: 0
; FloatMode: 240
; IeeeMode: 1
; LDSByteSize: 480 bytes/workgroup (compile time only)
; SGPRBlocks: 0
; VGPRBlocks: 7
; NumSGPRsForWavesPerEU: 30
; NumVGPRsForWavesPerEU: 128
; NamedBarCnt: 0
; Occupancy: 8
; WaveLimiterHint : 1
; COMPUTE_PGM_RSRC2:SCRATCH_EN: 1
; COMPUTE_PGM_RSRC2:USER_SGPR: 2
; COMPUTE_PGM_RSRC2:TRAP_HANDLER: 0
; COMPUTE_PGM_RSRC2:TGID_X_EN: 1
; COMPUTE_PGM_RSRC2:TGID_Y_EN: 1
; COMPUTE_PGM_RSRC2:TGID_Z_EN: 1
; COMPUTE_PGM_RSRC2:TIDIG_COMP_CNT: 0
	.section	.text._ZN4vllm25paged_attention_v1_kernelIffLi120ELi32ELi128ELNS_18Fp8KVCacheDataTypeE0ELb0EEEvPT_PKS2_PKT0_S8_ifPKiSA_iPKfiiiSC_SC_iiiii,"axG",@progbits,_ZN4vllm25paged_attention_v1_kernelIffLi120ELi32ELi128ELNS_18Fp8KVCacheDataTypeE0ELb0EEEvPT_PKS2_PKT0_S8_ifPKiSA_iPKfiiiSC_SC_iiiii,comdat
	.protected	_ZN4vllm25paged_attention_v1_kernelIffLi120ELi32ELi128ELNS_18Fp8KVCacheDataTypeE0ELb0EEEvPT_PKS2_PKT0_S8_ifPKiSA_iPKfiiiSC_SC_iiiii ; -- Begin function _ZN4vllm25paged_attention_v1_kernelIffLi120ELi32ELi128ELNS_18Fp8KVCacheDataTypeE0ELb0EEEvPT_PKS2_PKT0_S8_ifPKiSA_iPKfiiiSC_SC_iiiii
	.globl	_ZN4vllm25paged_attention_v1_kernelIffLi120ELi32ELi128ELNS_18Fp8KVCacheDataTypeE0ELb0EEEvPT_PKS2_PKT0_S8_ifPKiSA_iPKfiiiSC_SC_iiiii
	.p2align	8
	.type	_ZN4vllm25paged_attention_v1_kernelIffLi120ELi32ELi128ELNS_18Fp8KVCacheDataTypeE0ELb0EEEvPT_PKS2_PKT0_S8_ifPKiSA_iPKfiiiSC_SC_iiiii,@function
_ZN4vllm25paged_attention_v1_kernelIffLi120ELi32ELi128ELNS_18Fp8KVCacheDataTypeE0ELb0EEEvPT_PKS2_PKT0_S8_ifPKiSA_iPKfiiiSC_SC_iiiii: ; @_ZN4vllm25paged_attention_v1_kernelIffLi120ELi32ELi128ELNS_18Fp8KVCacheDataTypeE0ELb0EEEvPT_PKS2_PKT0_S8_ifPKiSA_iPKfiiiSC_SC_iiiii
; %bb.0:
	s_load_b64 s[6:7], s[0:1], 0x20
	s_bfe_u32 s3, ttmp6, 0x4000c
	s_bfe_u32 s5, ttmp6, 0x40010
	s_and_b32 s4, ttmp7, 0xffff
	s_add_co_i32 s3, s3, 1
	s_add_co_i32 s5, s5, 1
	s_and_b32 s2, ttmp6, 15
	s_bfe_u32 s8, ttmp6, 0x40004
	s_mul_i32 s3, ttmp9, s3
	s_mul_i32 s5, s4, s5
	s_getreg_b32 s18, hwreg(HW_REG_IB_STS2, 6, 4)
	s_add_co_i32 s2, s2, s3
	s_add_co_i32 s8, s8, s5
	s_cmp_eq_u32 s18, 0
	v_mov_b32_e32 v22, v0
	s_cselect_b32 s20, s4, s8
	s_cselect_b32 s8, ttmp9, s2
	s_clause 0x1
	s_load_b32 s19, s[0:1], 0x80
	s_load_b64 s[10:11], s[0:1], 0x30
	s_wait_kmcnt 0x0
	s_abs_i32 s2, s6
	s_delay_alu instid0(SALU_CYCLE_1) | instskip(SKIP_1) | instid1(SALU_CYCLE_2)
	s_cvt_f32_u32 s3, s2
	s_sub_co_i32 s4, 0, s2
	v_rcp_iflag_f32_e32 v0, s3
	v_nop
	s_delay_alu instid0(TRANS32_DEP_1) | instskip(SKIP_2) | instid1(SALU_CYCLE_3)
	v_readfirstlane_b32 s3, v0
	s_abs_i32 s5, s19
	s_mul_f32 s3, s3, 0x4f7ffffe
	s_cvt_u32_f32 s3, s3
	s_delay_alu instid0(SALU_CYCLE_3) | instskip(NEXT) | instid1(SALU_CYCLE_1)
	s_mul_i32 s4, s4, s3
	s_mul_hi_u32 s4, s3, s4
	s_delay_alu instid0(SALU_CYCLE_1) | instskip(SKIP_4) | instid1(SALU_CYCLE_1)
	s_add_co_i32 s3, s3, s4
	s_xor_b32 s4, s19, s6
	s_mul_hi_u32 s3, s5, s3
	s_ashr_i32 s4, s4, 31
	s_mul_i32 s6, s3, s2
	s_sub_co_i32 s5, s5, s6
	s_add_co_i32 s6, s3, 1
	s_sub_co_i32 s9, s5, s2
	s_cmp_ge_u32 s5, s2
	s_cselect_b32 s3, s6, s3
	s_cselect_b32 s5, s9, s5
	s_add_co_i32 s6, s3, 1
	s_cmp_ge_u32 s5, s2
	s_cselect_b32 s2, s6, s3
	s_mov_b32 s3, 0
	s_xor_b32 s2, s2, s4
	s_mov_b32 s13, s3
	s_sub_co_i32 s15, s2, s4
	s_load_b64 s[4:5], s[0:1], 0x40
	s_abs_i32 s14, s15
	s_mov_b32 s22, s3
	s_cvt_f32_u32 s2, s14
	s_delay_alu instid0(SALU_CYCLE_3) | instskip(SKIP_1) | instid1(TRANS32_DEP_1)
	v_rcp_iflag_f32_e32 v0, s2
	v_nop
	v_readfirstlane_b32 s2, v0
	s_mul_f32 s2, s2, 0x4f7ffffe
	s_delay_alu instid0(SALU_CYCLE_3) | instskip(SKIP_1) | instid1(SALU_CYCLE_2)
	s_cvt_u32_f32 s6, s2
	s_sub_co_i32 s2, 0, s14
	s_mul_i32 s2, s2, s6
	s_delay_alu instid0(SALU_CYCLE_1)
	s_mul_hi_u32 s9, s6, s2
	s_abs_i32 s2, s8
	s_add_co_i32 s12, s6, s9
	s_wait_kmcnt 0x0
	s_cmp_eq_u64 s[4:5], 0
	s_cbranch_scc1 .LBB50_2
; %bb.1:
	s_ashr_i32 s9, s8, 31
	s_delay_alu instid0(SALU_CYCLE_1) | instskip(NEXT) | instid1(SALU_CYCLE_1)
	s_lshl_b64 s[16:17], s[8:9], 2
	s_add_nc_u64 s[4:5], s[4:5], s[16:17]
	s_load_b32 s22, s[4:5], 0x0
.LBB50_2:
	s_load_b32 s21, s[10:11], s20 offset:0x0 scale_offset
	s_wait_xcnt 0x0
	s_load_b96 s[4:6], s[0:1], 0x48
	v_lshlrev_b32_e32 v28, 4, v22
	s_ashr_i32 s10, s8, 31
	s_ashr_i32 s11, s15, 31
	s_mul_u64 s[12:13], s[2:3], s[12:13]
	s_mulk_i32 s8, 0x78
	s_mov_b32 s3, exec_lo
	v_cmpx_gt_u32_e32 30, v22
	s_cbranch_execz .LBB50_4
; %bb.3:
	s_load_b64 s[16:17], s[0:1], 0x8
	s_wait_kmcnt 0x0
	s_mul_i32 s24, s4, s20
	s_ashr_i32 s9, s8, 31
	s_ashr_i32 s25, s24, 31
	s_delay_alu instid0(SALU_CYCLE_1) | instskip(NEXT) | instid1(SALU_CYCLE_1)
	s_lshl_b64 s[24:25], s[24:25], 2
	s_add_nc_u64 s[16:17], s[16:17], s[24:25]
	s_lshl_b64 s[24:25], s[8:9], 2
	s_delay_alu instid0(SALU_CYCLE_1)
	s_add_nc_u64 s[16:17], s[16:17], s[24:25]
	global_load_b128 v[0:3], v22, s[16:17] scale_offset
	s_wait_loadcnt 0x0
	ds_store_b128 v28, v[0:3]
.LBB50_4:
	s_or_b32 exec_lo, exec_lo, s3
	s_wait_kmcnt 0x0
	s_add_co_i32 s3, s21, 31
	s_load_b32 s12, s[0:1], 0x38
	s_ashr_i32 s4, s3, 31
	s_mul_i32 s9, s13, s14
	s_lshr_b32 s4, s4, 27
	s_xor_b32 s15, s10, s11
	s_add_co_i32 s3, s3, s4
	s_clause 0x1
	s_load_b64 s[10:11], s[0:1], 0x28
	s_load_b32 s4, s[0:1], 0x88
	s_sub_co_i32 s2, s2, s9
	s_ashr_i32 s9, s3, 5
	s_add_co_i32 s3, s13, 1
	s_sub_co_i32 s16, s2, s14
	s_cmp_ge_u32 s2, s14
	v_dual_lshrrev_b32 v0, 5, v22 :: v_dual_bitop2_b32 v6, 31, v22 bitop3:0x40
	s_cselect_b32 s3, s3, s13
	s_cselect_b32 s2, s16, s2
	s_add_co_i32 s13, s3, 1
	s_cmp_ge_u32 s2, s14
	v_dual_mov_b32 v126, 0xff7fffff :: v_dual_lshlrev_b32 v125, 2, v6
	s_cselect_b32 s2, s13, s3
	v_lshrrev_b32_e32 v124, 3, v22
	s_xor_b32 s2, s2, s15
	s_wait_kmcnt 0x0
	s_mul_i32 s12, s12, s20
	s_sub_co_i32 s3, s2, s15
	v_cmp_gt_i32_e64 s2, s9, v0
	s_ashr_i32 s13, s12, 31
	s_mul_i32 s14, s3, s6
	s_wait_dscnt 0x0
	s_barrier_signal -1
	scratch_store_b32 off, v0, off offset:144 ; 4-byte Folded Spill
	s_barrier_wait -1
	s_wait_storecnt 0x0
	s_wait_xcnt 0x0
	s_mov_b32 s6, exec_lo
	s_delay_alu instid0(SALU_CYCLE_1)
	s_and_b32 s3, s6, s2
	s_clause 0x1
	scratch_store_b32 off, v6, off offset:152
	scratch_store_b32 off, v22, off offset:148
	s_wait_xcnt 0x0
	s_mov_b32 exec_lo, s3
	s_cbranch_execz .LBB50_8
; %bb.5:
	s_load_b64 s[24:25], s[0:1], 0x10
	s_ashr_i32 s15, s14, 31
	v_dual_mov_b32 v123, 0 :: v_dual_lshlrev_b32 v122, 4, v6
	s_lshl_b64 s[26:27], s[14:15], 2
	s_ashr_i32 s17, s5, 31
	s_cmp_neq_f32 s22, 0
	v_mov_b32_e32 v126, 0xff7fffff
	s_mov_b32 s16, s5
	s_mov_b32 s15, 0
	s_cselect_b32 vcc_lo, -1, 0
	s_sub_co_i32 s23, 1, s21
	s_wait_kmcnt 0x0
	s_add_nc_u64 s[24:25], s[24:25], s[26:27]
	s_delay_alu instid0(SALU_CYCLE_1) | instskip(SKIP_3) | instid1(SALU_CYCLE_1)
	v_add_nc_u64_e32 v[0:1], s[24:25], v[122:123]
	scratch_store_b32 off, v28, off offset:64 ; 4-byte Folded Spill
	v_and_b32_e32 v122, 0x7c, v124
	s_lshl_b64 s[24:25], s[12:13], 2
	s_add_nc_u64 s[24:25], s[10:11], s[24:25]
	scratch_store_b64 off, v[0:1], off      ; 8-byte Folded Spill
	s_wait_xcnt 0x0
	ds_load_b128 v[0:3], v123
	s_wait_dscnt 0x0
	scratch_store_b128 off, v[0:3], off offset:16 ; 16-byte Folded Spill
	s_wait_xcnt 0x0
	ds_load_b128 v[0:3], v123 offset:16
	s_wait_dscnt 0x0
	scratch_store_b128 off, v[0:3], off offset:32 ; 16-byte Folded Spill
	s_wait_xcnt 0x0
	ds_load_b128 v[0:3], v123 offset:32
	s_wait_dscnt 0x0
	scratch_store_b128 off, v[0:3], off offset:48 ; 16-byte Folded Spill
	ds_load_b128 v[14:17], v123 offset:48
	ds_load_b128 v[18:21], v123 offset:64
	;; [unrolled: 1-line block ×27, first 2 shown]
	scratch_load_b32 v1, off, off offset:144 ; 4-byte Folded Reload
	v_add_nc_u64_e32 v[122:123], s[24:25], v[122:123]
	s_clause 0x1
	scratch_store_b32 off, v125, off offset:80
	scratch_store_b32 off, v124, off offset:72
	s_wait_loadcnt 0x0
	v_lshl_or_b32 v0, v1, 7, v125
	v_lshl_or_b32 v127, v1, 5, v6
	s_delay_alu instid0(VALU_DEP_2)
	v_add_nc_u32_e32 v0, 0x200, v0
.LBB50_6:                               ; =>This Inner Loop Header: Depth=1
	global_load_b32 v2, v[122:123], off
	scratch_load_b64 v[4:5], off, off       ; 8-byte Folded Reload
	v_cmp_gt_i32_e64 s3, s21, v127
	s_wait_xcnt 0x1
	v_add_nc_u64_e32 v[122:123], 16, v[122:123]
	s_wait_loadcnt 0x1
	v_dual_add_nc_u32 v1, 4, v1 :: v_dual_ashrrev_i32 v3, 31, v2
	s_delay_alu instid0(VALU_DEP_1) | instskip(SKIP_1) | instid1(VALU_DEP_1)
	v_mul_u64_e32 v[2:3], s[16:17], v[2:3]
	s_wait_loadcnt 0x0
	v_lshl_add_u64 v[124:125], v[2:3], 2, v[4:5]
	global_load_b128 v[2:5], v[124:125], off offset:512
	scratch_load_b128 v[6:9], off, off offset:32 ; 16-byte Folded Reload
	s_wait_loadcnt 0x0
	v_pk_mul_f32 v[6:7], v[6:7], v[2:3]
	v_pk_mul_f32 v[8:9], v[8:9], v[4:5]
	global_load_b128 v[2:5], v[124:125], off
	scratch_load_b128 v[10:13], off, off offset:16 ; 16-byte Folded Reload
	s_wait_loadcnt 0x0
	v_pk_fma_f32 v[6:7], v[10:11], v[2:3], v[6:7]
	v_pk_fma_f32 v[8:9], v[12:13], v[4:5], v[8:9]
	global_load_b128 v[2:5], v[124:125], off offset:1024
	scratch_load_b128 v[10:13], off, off offset:48 ; 16-byte Folded Reload
	s_wait_loadcnt 0x0
	v_pk_fma_f32 v[6:7], v[10:11], v[2:3], v[6:7]
	v_pk_fma_f32 v[8:9], v[12:13], v[4:5], v[8:9]
	global_load_b128 v[2:5], v[124:125], off offset:1536
	s_wait_loadcnt_dscnt 0x1a
	v_pk_fma_f32 v[6:7], v[14:15], v[2:3], v[6:7]
	v_pk_fma_f32 v[8:9], v[16:17], v[4:5], v[8:9]
	global_load_b128 v[2:5], v[124:125], off offset:2048
	s_wait_loadcnt_dscnt 0x19
	;; [unrolled: 4-line block ×27, first 2 shown]
	v_pk_fma_f32 v[2:3], v[118:119], v[2:3], v[6:7]
	v_pk_fma_f32 v[4:5], v[120:121], v[4:5], v[8:9]
	s_delay_alu instid0(VALU_DEP_2) | instskip(SKIP_2) | instid1(VALU_DEP_2)
	v_add_f32_e32 v2, v2, v3
	v_add_nc_u32_e32 v3, s23, v127
	v_add_nc_u32_e32 v127, 0x80, v127
	v_cvt_f32_i32_e32 v3, v3
	s_delay_alu instid0(VALU_DEP_1) | instskip(NEXT) | instid1(VALU_DEP_1)
	v_dual_mul_f32 v3, s22, v3 :: v_dual_add_f32 v2, v4, v2
	v_dual_cndmask_b32 v3, 0, v3 :: v_dual_add_f32 v2, v5, v2
	s_delay_alu instid0(VALU_DEP_1) | instskip(SKIP_1) | instid1(VALU_DEP_1)
	v_fmac_f32_e32 v3, s7, v2
	v_max_num_f32_e32 v2, v126, v126
	v_max_num_f32_e32 v2, v2, v3
	s_delay_alu instid0(VALU_DEP_1)
	v_dual_cndmask_b32 v126, v126, v2, s3 :: v_dual_cndmask_b32 v2, 0, v3, s3
	v_cmp_le_i32_e64 s3, s9, v1
	ds_store_b32 v0, v2
	v_add_nc_u32_e32 v0, 0x200, v0
	s_or_b32 s15, s3, s15
	s_wait_xcnt 0x0
	s_and_not1_b32 exec_lo, exec_lo, s15
	s_cbranch_execnz .LBB50_6
; %bb.7:
	s_or_b32 exec_lo, exec_lo, s15
	s_clause 0x4
	scratch_load_b32 v22, off, off offset:148
	scratch_load_b32 v6, off, off offset:152
	;; [unrolled: 1-line block ×5, first 2 shown]
.LBB50_8:
	s_wait_xcnt 0x0
	s_or_b32 exec_lo, exec_lo, s6
	v_mbcnt_lo_u32_b32 v2, -1, 0
	s_clause 0x1
	s_load_b64 s[6:7], s[0:1], 0x0
	s_load_b64 s[16:17], s[0:1], 0x18
	v_max_num_f32_e32 v4, v126, v126
	v_xor_b32_e32 v3, 8, v2
	v_xor_b32_e32 v0, 16, v2
	s_delay_alu instid0(VALU_DEP_1) | instskip(SKIP_1) | instid1(VALU_DEP_4)
	v_cmp_gt_i32_e32 vcc_lo, 32, v0
	v_cndmask_b32_e32 v0, v2, v0, vcc_lo
	v_cmp_gt_i32_e32 vcc_lo, 32, v3
	s_delay_alu instid0(VALU_DEP_2) | instskip(SKIP_3) | instid1(VALU_DEP_1)
	v_dual_cndmask_b32 v3, v2, v3 :: v_dual_lshlrev_b32 v0, 2, v0
	ds_bpermute_b32 v1, v0, v126
	s_wait_dscnt 0x0
	v_dual_max_num_f32 v5, v1, v1 :: v_dual_lshlrev_b32 v1, 2, v3
	v_max_num_f32_e32 v3, v4, v5
	ds_bpermute_b32 v4, v1, v3
	s_wait_dscnt 0x0
	v_dual_max_num_f32 v4, v4, v4 :: v_dual_bitop2_b32 v5, 4, v2 bitop3:0x14
	s_delay_alu instid0(VALU_DEP_1) | instskip(NEXT) | instid1(VALU_DEP_2)
	v_cmp_gt_i32_e32 vcc_lo, 32, v5
	v_dual_max_num_f32 v3, v3, v4 :: v_dual_cndmask_b32 v5, v2, v5, vcc_lo
	s_delay_alu instid0(VALU_DEP_1) | instskip(SKIP_3) | instid1(VALU_DEP_1)
	v_lshlrev_b32_e32 v18, 2, v5
	ds_bpermute_b32 v4, v18, v3
	s_wait_dscnt 0x0
	v_dual_max_num_f32 v4, v4, v4 :: v_dual_bitop2_b32 v5, 2, v2 bitop3:0x14
	v_cmp_gt_i32_e32 vcc_lo, 32, v5
	s_delay_alu instid0(VALU_DEP_2) | instskip(NEXT) | instid1(VALU_DEP_1)
	v_dual_max_num_f32 v3, v3, v4 :: v_dual_cndmask_b32 v5, v2, v5, vcc_lo
	v_dual_lshlrev_b32 v9, 2, v5 :: v_dual_bitop2_b32 v5, 1, v2 bitop3:0x14
	ds_bpermute_b32 v4, v9, v3
	v_cmp_gt_i32_e32 vcc_lo, 32, v5
	v_cndmask_b32_e32 v2, v2, v5, vcc_lo
	s_wait_loadcnt 0x3
	v_cmp_eq_u32_e32 vcc_lo, 0, v6
	s_delay_alu instid0(VALU_DEP_2) | instskip(SKIP_3) | instid1(VALU_DEP_1)
	v_lshlrev_b32_e32 v8, 2, v2
	scratch_load_b32 v2, off, off offset:144 ; 4-byte Folded Reload
	s_wait_dscnt 0x0
	v_max_num_f32_e32 v4, v4, v4
	v_max_num_f32_e32 v3, v3, v4
	ds_bpermute_b32 v4, v8, v3
	s_wait_loadcnt 0x0
	v_lshlrev_b32_e32 v2, 2, v2
	s_wait_xcnt 0x0
	s_and_saveexec_b32 s0, vcc_lo
	s_cbranch_execz .LBB50_10
; %bb.9:
	s_wait_dscnt 0x0
	v_dual_max_num_f32 v4, v4, v4 :: v_dual_max_num_f32 v3, v3, v3
	s_delay_alu instid0(VALU_DEP_1)
	v_max_num_f32_e32 v3, v3, v4
	ds_store_b32 v2, v3 offset:480
.LBB50_10:
	s_or_b32 exec_lo, exec_lo, s0
	v_cmp_gt_u32_e64 s0, 4, v6
	v_mov_b32_e32 v3, 0xff7fffff
	s_wait_storecnt_dscnt 0x0
	s_barrier_signal -1
	s_barrier_wait -1
	s_and_saveexec_b32 s1, s0
; %bb.11:
	ds_load_b32 v3, v125 offset:480
; %bb.12:
	s_or_b32 exec_lo, exec_lo, s1
	s_wait_dscnt 0x0
	ds_bpermute_b32 v4, v9, v3
	v_max_num_f32_e32 v3, v3, v3
	s_lshl_b32 s1, s9, 5
	s_delay_alu instid0(SALU_CYCLE_1) | instskip(NEXT) | instid1(SALU_CYCLE_1)
	s_min_i32 s15, s1, s21
	v_cmp_gt_i32_e64 s1, s15, v22
	s_wait_dscnt 0x0
	v_max_num_f32_e32 v4, v4, v4
	s_delay_alu instid0(VALU_DEP_1) | instskip(SKIP_3) | instid1(VALU_DEP_1)
	v_max_num_f32_e32 v3, v3, v4
	ds_bpermute_b32 v4, v8, v3
	s_wait_dscnt 0x0
	v_max_num_f32_e32 v4, v4, v4
	v_dual_max_num_f32 v4, v3, v4 :: v_dual_mov_b32 v3, 0
	ds_bpermute_b32 v4, v3, v4
	s_and_saveexec_b32 s22, s1
	s_cbranch_execz .LBB50_16
; %bb.13:
	v_lshl_add_u32 v5, v22, 2, 0x200
	v_dual_mov_b32 v3, 0 :: v_dual_mov_b32 v6, v22
	s_mov_b32 s23, 0
.LBB50_14:                              ; =>This Inner Loop Header: Depth=1
	ds_load_b32 v7, v5
	v_add_nc_u32_e32 v6, 0x80, v6
	s_delay_alu instid0(VALU_DEP_1) | instskip(SKIP_3) | instid1(VALU_DEP_1)
	v_cmp_le_i32_e64 s3, s15, v6
	s_or_b32 s23, s3, s23
	s_wait_dscnt 0x0
	v_sub_f32_e32 v7, v7, v4
	v_mul_f32_e32 v7, 0x3fb8aa3b, v7
	s_delay_alu instid0(VALU_DEP_1)
	v_exp_f32_e32 v7, v7
	ds_store_b32 v5, v7
	v_nop
	v_add_f32_e32 v3, v3, v7
	v_add_nc_u32_e32 v5, 0x200, v5
	s_and_not1_b32 exec_lo, exec_lo, s23
	s_cbranch_execnz .LBB50_14
; %bb.15:
	s_or_b32 exec_lo, exec_lo, s23
.LBB50_16:
	s_delay_alu instid0(SALU_CYCLE_1)
	s_or_b32 exec_lo, exec_lo, s22
	ds_bpermute_b32 v0, v0, v3
	s_wait_dscnt 0x0
	v_add_f32_e32 v0, v3, v0
	ds_bpermute_b32 v1, v1, v0
	s_wait_dscnt 0x0
	v_add_f32_e32 v0, v0, v1
	ds_bpermute_b32 v1, v18, v0
	s_wait_dscnt 0x0
	v_add_f32_e32 v0, v0, v1
	ds_bpermute_b32 v1, v9, v0
	s_wait_dscnt 0x0
	v_add_f32_e32 v0, v0, v1
	ds_bpermute_b32 v1, v8, v0
	s_wait_dscnt 0x0
	v_add_f32_e32 v0, v0, v1
	s_and_saveexec_b32 s3, vcc_lo
; %bb.17:
	ds_store_b32 v2, v0 offset:496
; %bb.18:
	s_or_b32 exec_lo, exec_lo, s3
	s_wait_dscnt 0x0
	s_barrier_signal -1
	s_barrier_wait -1
	s_and_saveexec_b32 s3, s0
; %bb.19:
	ds_load_b32 v0, v125 offset:496
; %bb.20:
	s_or_b32 exec_lo, exec_lo, s3
	s_wait_dscnt 0x0
	ds_bpermute_b32 v1, v9, v0
	s_wait_dscnt 0x0
	v_dual_mov_b32 v27, 0 :: v_dual_add_f32 v0, v0, v1
	ds_bpermute_b32 v1, v8, v0
	s_wait_dscnt 0x0
	v_add_f32_e32 v0, v0, v1
	ds_bpermute_b32 v0, v27, v0
	s_and_saveexec_b32 s0, s1
	s_cbranch_execz .LBB50_33
; %bb.21:
	s_wait_dscnt 0x0
	v_add_f32_e32 v0, 0x358637bd, v0
	s_mov_b32 s3, -1
	s_mov_b32 s1, exec_lo
	s_delay_alu instid0(VALU_DEP_1) | instskip(NEXT) | instid1(VALU_DEP_1)
	v_div_scale_f32 v1, null, v0, v0, 1.0
	v_rcp_f32_e32 v3, v1
	v_nop
	s_delay_alu instid0(TRANS32_DEP_1) | instskip(NEXT) | instid1(VALU_DEP_1)
	v_fma_f32 v2, -v1, v3, 1.0
	v_fmac_f32_e32 v3, v2, v3
	v_div_scale_f32 v4, vcc_lo, 1.0, v0, 1.0
	s_delay_alu instid0(VALU_DEP_1) | instskip(NEXT) | instid1(VALU_DEP_1)
	v_mul_f32_e32 v5, v4, v3
	v_fma_f32 v2, -v1, v5, v4
	s_delay_alu instid0(VALU_DEP_1) | instskip(SKIP_1) | instid1(VALU_DEP_2)
	v_fmac_f32_e32 v5, v2, v3
	v_xad_u32 v2, v22, -1, s15
	v_fma_f32 v1, -v1, v5, v4
	s_delay_alu instid0(VALU_DEP_1) | instskip(NEXT) | instid1(VALU_DEP_1)
	v_div_fmas_f32 v1, v1, v3, v5
	v_div_fixup_f32 v0, v1, v0, 1.0
	v_mov_b32_e32 v1, v22
	v_cmpx_lt_u32_e32 0x7f, v2
	s_cbranch_execz .LBB50_30
; %bb.22:
	s_delay_alu instid0(VALU_DEP_3) | instskip(NEXT) | instid1(VALU_DEP_1)
	v_dual_mov_b32 v1, v0 :: v_dual_lshrrev_b32 v2, 7, v2
	v_dual_mov_b32 v6, 0 :: v_dual_add_nc_u32 v3, -1, v2
	s_delay_alu instid0(VALU_DEP_1) | instskip(SKIP_1) | instid1(VALU_DEP_2)
	v_lshrrev_b32_e32 v4, 1, v3
	v_cmp_lt_u32_e32 vcc_lo, 13, v3
	v_add_nc_u32_e32 v3, 1, v4
	s_and_saveexec_b32 s3, vcc_lo
	s_cbranch_execz .LBB50_26
; %bb.23:
	v_dual_mov_b32 v25, v18 :: v_dual_mov_b32 v24, v9
	s_delay_alu instid0(VALU_DEP_2)
	v_dual_mov_b32 v23, v8 :: v_dual_bitop2_b32 v4, -8, v3 bitop3:0x40
	v_lshl_add_u32 v5, v22, 2, 0x200
	s_mov_b32 s22, 0
	s_mov_b32 s23, 0
.LBB50_24:                              ; =>This Inner Loop Header: Depth=1
	ds_load_2addr_stride64_b32 v[6:7], v5 offset1:2
	ds_load_2addr_stride64_b32 v[8:9], v5 offset0:4 offset1:6
	ds_load_2addr_stride64_b32 v[10:11], v5 offset0:8 offset1:10
	;; [unrolled: 1-line block ×7, first 2 shown]
	s_add_co_i32 s23, s23, 16
	v_add_nc_u32_e32 v4, -8, v4
	s_wait_dscnt 0x7
	v_pk_mul_f32 v[6:7], v[0:1], v[6:7]
	s_wait_dscnt 0x6
	v_pk_mul_f32 v[8:9], v[0:1], v[8:9]
	;; [unrolled: 2-line block ×8, first 2 shown]
	ds_store_2addr_stride64_b32 v5, v6, v7 offset1:2
	ds_store_2addr_stride64_b32 v5, v8, v9 offset0:4 offset1:6
	ds_store_2addr_stride64_b32 v5, v10, v11 offset0:8 offset1:10
	;; [unrolled: 1-line block ×7, first 2 shown]
	v_mov_b32_e32 v6, s23
	v_cmp_eq_u32_e32 vcc_lo, 0, v4
	v_add_nc_u32_e32 v5, 0x2000, v5
	s_or_b32 s22, vcc_lo, s22
	s_delay_alu instid0(SALU_CYCLE_1)
	s_and_not1_b32 exec_lo, exec_lo, s22
	s_cbranch_execnz .LBB50_24
; %bb.25:
	s_or_b32 exec_lo, exec_lo, s22
	v_dual_mov_b32 v8, v23 :: v_dual_mov_b32 v9, v24
	v_mov_b32_e32 v18, v25
.LBB50_26:
	s_or_b32 exec_lo, exec_lo, s3
	s_delay_alu instid0(VALU_DEP_1) | instskip(SKIP_2) | instid1(VALU_DEP_1)
	v_and_b32_e32 v3, 7, v3
	s_mov_b32 s22, 0
	s_mov_b32 s3, exec_lo
	v_cmpx_ne_u32_e32 0, v3
	s_cbranch_execz .LBB50_29
; %bb.27:
	v_lshlrev_b32_e32 v4, 9, v6
	v_lshlrev_b32_e32 v5, 2, v22
	s_delay_alu instid0(VALU_DEP_1)
	v_add3_u32 v4, v4, v5, 0x200
.LBB50_28:                              ; =>This Inner Loop Header: Depth=1
	ds_load_2addr_stride64_b32 v[6:7], v4 offset1:2
	v_add_nc_u32_e32 v3, -1, v3
	s_delay_alu instid0(VALU_DEP_1)
	v_cmp_eq_u32_e32 vcc_lo, 0, v3
	s_or_b32 s22, vcc_lo, s22
	s_wait_dscnt 0x0
	v_pk_mul_f32 v[6:7], v[0:1], v[6:7]
	ds_store_2addr_stride64_b32 v4, v6, v7 offset1:2
	v_add_nc_u32_e32 v4, 0x400, v4
	s_and_not1_b32 exec_lo, exec_lo, s22
	s_cbranch_execnz .LBB50_28
.LBB50_29:
	s_or_b32 exec_lo, exec_lo, s3
	v_add_nc_u32_e32 v1, 1, v2
	s_delay_alu instid0(VALU_DEP_1) | instskip(NEXT) | instid1(VALU_DEP_1)
	v_and_b32_e32 v2, 0x3fffffe, v1
	v_cmp_ne_u32_e32 vcc_lo, v1, v2
	v_lshl_add_u32 v1, v2, 7, v22
	s_or_not1_b32 s3, vcc_lo, exec_lo
.LBB50_30:
	s_or_b32 exec_lo, exec_lo, s1
	s_delay_alu instid0(SALU_CYCLE_1)
	s_and_b32 exec_lo, exec_lo, s3
	s_cbranch_execz .LBB50_33
; %bb.31:
	v_lshl_add_u32 v2, v1, 2, 0x200
	s_mov_b32 s1, 0
.LBB50_32:                              ; =>This Inner Loop Header: Depth=1
	ds_load_b32 v3, v2
	v_add_nc_u32_e32 v1, 0x80, v1
	s_delay_alu instid0(VALU_DEP_1)
	v_cmp_le_i32_e32 vcc_lo, s15, v1
	s_or_b32 s1, vcc_lo, s1
	s_wait_dscnt 0x0
	v_mul_f32_e32 v3, v0, v3
	ds_store_b32 v2, v3
	v_add_nc_u32_e32 v2, 0x200, v2
	s_and_not1_b32 exec_lo, exec_lo, s1
	s_cbranch_execnz .LBB50_32
.LBB50_33:
	s_or_b32 exec_lo, exec_lo, s0
	s_wait_dscnt 0x0
	v_dual_mov_b32 v26, 0 :: v_dual_bitop2_b32 v0, 7, v22 bitop3:0x40
	s_clause 0x1
	scratch_store_b32 off, v9, off offset:164
	scratch_store_b32 off, v8, off offset:160
	v_dual_mov_b32 v55, 0 :: v_dual_mov_b32 v54, 0
	s_clause 0x1
	scratch_store_b32 off, v0, off offset:156
	scratch_store_b64 off, v[26:27], off offset:64
	v_dual_mov_b32 v53, 0 :: v_dual_mov_b32 v52, 0
	v_dual_mov_b32 v61, 0 :: v_dual_mov_b32 v60, 0
	;; [unrolled: 1-line block ×10, first 2 shown]
	s_wait_xcnt 0x1
	v_dual_mov_b32 v1, 0 :: v_dual_mov_b32 v0, 0
	v_dual_mov_b32 v11, 0 :: v_dual_mov_b32 v10, 0
	;; [unrolled: 1-line block ×3, first 2 shown]
	s_wait_storecnt 0x0
	s_barrier_signal -1
	s_barrier_wait -1
	s_wait_xcnt 0x0
	s_and_saveexec_b32 s22, s2
	s_cbranch_execz .LBB50_97
; %bb.34:
	s_clause 0x2
	scratch_load_b32 v0, off, off offset:148
	scratch_load_b32 v1, off, off offset:156
	;; [unrolled: 1-line block ×3, first 2 shown]
	s_ashr_i32 s15, s14, 31
	v_and_b32_e32 v8, 0x1f0, v28
	s_lshl_b64 s[0:1], s[14:15], 2
	s_ashr_i32 s3, s5, 31
	s_wait_kmcnt 0x0
	s_add_nc_u64 s[0:1], s[16:17], s[0:1]
	s_mov_b32 s2, s5
	s_add_co_i32 s5, s9, -1
	v_mov_b32_e32 v9, 0
	s_delay_alu instid0(VALU_DEP_1)
	v_add_nc_u64_e32 v[2:3], s[0:1], v[8:9]
	v_and_b32_e32 v8, 0x7c, v124
	s_lshl_b64 s[0:1], s[12:13], 2
	scratch_store_b32 off, v18, off offset:168 ; 4-byte Folded Spill
	v_dual_mov_b32 v15, v9 :: v_dual_mov_b32 v14, v9
	v_dual_mov_b32 v17, v9 :: v_dual_mov_b32 v16, v9
	;; [unrolled: 1-line block ×6, first 2 shown]
	s_add_nc_u64 s[0:1], s[10:11], s[0:1]
	s_mov_b32 s11, s21
	s_mov_b32 s10, 0
	v_add_nc_u64_e32 v[20:21], s[0:1], v[8:9]
	scratch_store_b64 off, v[2:3], off offset:136 ; 8-byte Folded Spill
	s_wait_xcnt 0x0
	v_dual_mov_b32 v3, v9 :: v_dual_mov_b32 v2, v9
	s_wait_loadcnt 0x2
	v_dual_mov_b32 v8, v9 :: v_dual_lshlrev_b32 v0, 2, v0
	s_wait_loadcnt 0x0
	v_dual_lshlrev_b32 v1, 4, v1 :: v_dual_mov_b32 v7, v6
	s_delay_alu instid0(VALU_DEP_2) | instskip(NEXT) | instid1(VALU_DEP_2)
	v_and_b32_e32 v0, 28, v0
	v_lshl_or_b32 v1, v6, 7, v1
	s_delay_alu instid0(VALU_DEP_2) | instskip(NEXT) | instid1(VALU_DEP_2)
	v_lshl_or_b32 v18, v6, 5, v0
	v_add_nc_u32_e32 v19, 0x200, v1
	v_dual_mov_b32 v1, v9 :: v_dual_mov_b32 v0, v9
	s_clause 0x6
	scratch_store_b64 off, v[0:1], off offset:72
	scratch_store_b64 off, v[0:1], off offset:80
	;; [unrolled: 1-line block ×7, first 2 shown]
	s_branch .LBB50_36
.LBB50_35:                              ;   in Loop: Header=BB50_36 Depth=1
	s_or_b32 exec_lo, exec_lo, s1
	s_wait_loadcnt_dscnt 0x200
	v_mul_f32_e32 v20, v6, v118
	s_wait_loadcnt 0x1
	v_mul_f32_e32 v19, v6, v122
	v_mul_f32_e32 v62, v6, v62
	;; [unrolled: 1-line block ×3, first 2 shown]
	v_dual_mul_f32 v110, v6, v110 :: v_dual_fmac_f32 v20, v7, v119
	s_delay_alu instid0(VALU_DEP_4) | instskip(NEXT) | instid1(VALU_DEP_4)
	v_fmac_f32_e32 v19, v7, v123
	v_fmac_f32_e32 v62, v7, v63
	s_delay_alu instid0(VALU_DEP_4) | instskip(NEXT) | instid1(VALU_DEP_4)
	v_fmac_f32_e32 v21, v7, v115
	v_dual_fmac_f32 v110, v7, v111 :: v_dual_fmac_f32 v20, v8, v120
	s_delay_alu instid0(VALU_DEP_4) | instskip(NEXT) | instid1(VALU_DEP_4)
	v_fmac_f32_e32 v19, v8, v124
	v_fmac_f32_e32 v62, v8, v64
	s_delay_alu instid0(VALU_DEP_4) | instskip(NEXT) | instid1(VALU_DEP_4)
	v_fmac_f32_e32 v21, v8, v116
	v_dual_fmac_f32 v110, v8, v112 :: v_dual_mul_f32 v106, v6, v106
	v_fmac_f32_e32 v20, v9, v121
	v_fmac_f32_e32 v19, v9, v125
	s_delay_alu instid0(VALU_DEP_4) | instskip(SKIP_3) | instid1(VALU_DEP_2)
	v_fmac_f32_e32 v21, v9, v117
	v_fmac_f32_e32 v62, v9, v65
	v_dual_fmac_f32 v106, v7, v107 :: v_dual_mul_f32 v94, v6, v94
	v_dual_fmac_f32 v110, v9, v113 :: v_dual_mul_f32 v102, v6, v102
	v_dual_mul_f32 v90, v6, v90 :: v_dual_fmac_f32 v106, v8, v108
	v_mul_f32_e32 v82, v6, v82
	s_delay_alu instid0(VALU_DEP_3)
	v_dual_mul_f32 v86, v6, v86 :: v_dual_fmac_f32 v102, v7, v103
	scratch_load_b64 v[64:65], off, off offset:112 th:TH_LOAD_LU ; 8-byte Folded Reload
	v_fmac_f32_e32 v106, v9, v109
	v_fmac_f32_e32 v82, v7, v83
	v_fmac_f32_e32 v86, v7, v87
	v_add_nc_u32_e32 v18, 0x80, v18
	s_delay_alu instid0(VALU_DEP_3) | instskip(NEXT) | instid1(VALU_DEP_3)
	v_fmac_f32_e32 v82, v8, v84
	v_fmac_f32_e32 v86, v8, v88
	s_delay_alu instid0(VALU_DEP_2) | instskip(NEXT) | instid1(VALU_DEP_2)
	v_fmac_f32_e32 v82, v9, v85
	v_fmac_f32_e32 v86, v9, v89
	scratch_load_b64 v[88:89], off, off offset:72 th:TH_LOAD_LU ; 8-byte Folded Reload
	v_fmac_f32_e32 v94, v7, v95
	v_fmac_f32_e32 v90, v7, v91
	scratch_load_b64 v[84:85], off, off offset:64 th:TH_LOAD_LU ; 8-byte Folded Reload
	s_wait_loadcnt 0x1
	v_dual_add_f32 v89, v89, v20 :: v_dual_add_f32 v88, v88, v21
	scratch_load_b64 v[20:21], off, off offset:80 th:TH_LOAD_LU ; 8-byte Folded Reload
	v_fmac_f32_e32 v90, v8, v92
	v_fmac_f32_e32 v102, v8, v104
	s_wait_loadcnt 0x0
	s_delay_alu instid0(VALU_DEP_2) | instskip(SKIP_1) | instid1(VALU_DEP_3)
	v_dual_fmac_f32 v90, v9, v93 :: v_dual_add_f32 v20, v20, v106
	v_add_f32_e32 v21, v21, v110
	v_fmac_f32_e32 v102, v9, v105
	s_clause 0x1
	scratch_store_b64 off, v[20:21], off offset:80
	scratch_load_b64 v[20:21], off, off offset:88 th:TH_LOAD_LU
	s_wait_loadcnt 0x0
	v_dual_fmac_f32 v94, v8, v96 :: v_dual_add_f32 v21, v21, v102
	s_delay_alu instid0(VALU_DEP_1) | instskip(NEXT) | instid1(VALU_DEP_1)
	v_fmac_f32_e32 v94, v9, v97
	v_add_f32_e32 v20, v20, v94
	s_clause 0x1
	scratch_store_b64 off, v[20:21], off offset:88
	scratch_load_b64 v[20:21], off, off offset:96 th:TH_LOAD_LU
	s_wait_loadcnt 0x0
	v_add_f32_e32 v21, v21, v90
	v_add_f32_e32 v20, v20, v86
	scratch_store_b64 off, v[20:21], off offset:96 ; 8-byte Folded Spill
	s_wait_xcnt 0x0
	v_mul_f32_e32 v20, v6, v74
	s_delay_alu instid0(VALU_DEP_1) | instskip(NEXT) | instid1(VALU_DEP_1)
	v_dual_mul_f32 v21, v6, v70 :: v_dual_fmac_f32 v20, v7, v75
	v_fmac_f32_e32 v20, v8, v76
	s_delay_alu instid0(VALU_DEP_1) | instskip(NEXT) | instid1(VALU_DEP_1)
	v_fmac_f32_e32 v20, v9, v77
	v_dual_add_f32 v65, v65, v20 :: v_dual_mul_f32 v20, v6, v54
	s_delay_alu instid0(VALU_DEP_1) | instskip(NEXT) | instid1(VALU_DEP_1)
	v_dual_mul_f32 v46, v6, v46 :: v_dual_fmac_f32 v20, v7, v55
	v_dual_fmac_f32 v46, v7, v47 :: v_dual_fmac_f32 v20, v8, v56
	s_delay_alu instid0(VALU_DEP_1) | instskip(NEXT) | instid1(VALU_DEP_1)
	v_fmac_f32_e32 v20, v9, v57
	v_dual_add_f32 v16, v16, v20 :: v_dual_mul_f32 v20, v6, v34
	s_delay_alu instid0(VALU_DEP_1) | instskip(NEXT) | instid1(VALU_DEP_1)
	v_dual_mul_f32 v26, v6, v26 :: v_dual_fmac_f32 v20, v7, v35
	v_dual_mul_f32 v22, v6, v22 :: v_dual_fmac_f32 v26, v7, v27
	s_delay_alu instid0(VALU_DEP_1) | instskip(NEXT) | instid1(VALU_DEP_1)
	v_dual_fmac_f32 v20, v8, v36 :: v_dual_fmac_f32 v22, v7, v23
	v_dual_fmac_f32 v26, v8, v28 :: v_dual_fmac_f32 v20, v9, v37
	scratch_load_b128 v[34:37], off, off offset:48 th:TH_LOAD_LU ; 16-byte Folded Reload
	v_dual_add_f32 v84, v84, v19 :: v_dual_mul_f32 v19, v6, v78
	v_dual_fmac_f32 v26, v9, v29 :: v_dual_add_f32 v3, v3, v20
	s_delay_alu instid0(VALU_DEP_2) | instskip(SKIP_2) | instid1(VALU_DEP_1)
	v_fmac_f32_e32 v19, v7, v79
	scratch_load_b64 v[78:79], off, off offset:104 th:TH_LOAD_LU ; 8-byte Folded Reload
	v_dual_mul_f32 v66, v6, v66 :: v_dual_fmac_f32 v19, v8, v80
	v_dual_fmac_f32 v21, v7, v71 :: v_dual_fmac_f32 v19, v9, v81
	s_delay_alu instid0(VALU_DEP_1) | instskip(NEXT) | instid1(VALU_DEP_1)
	v_dual_fmac_f32 v66, v7, v67 :: v_dual_fmac_f32 v21, v8, v72
	v_dual_fmac_f32 v66, v8, v68 :: v_dual_fmac_f32 v21, v9, v73
	s_wait_loadcnt 0x0
	s_delay_alu instid0(VALU_DEP_3) | instskip(NEXT) | instid1(VALU_DEP_2)
	v_add_f32_e32 v78, v78, v19
	v_dual_mul_f32 v19, v6, v58 :: v_dual_fmac_f32 v66, v9, v69
	s_delay_alu instid0(VALU_DEP_3) | instskip(SKIP_1) | instid1(VALU_DEP_3)
	v_dual_add_f32 v64, v64, v21 :: v_dual_mul_f32 v21, v6, v50
	v_add_f32_e32 v79, v79, v82
	v_fmac_f32_e32 v19, v7, v59
	s_delay_alu instid0(VALU_DEP_4) | instskip(NEXT) | instid1(VALU_DEP_4)
	v_add_f32_e32 v15, v15, v66
	v_dual_add_f32 v14, v14, v62 :: v_dual_fmac_f32 v21, v7, v51
	s_clause 0x1
	scratch_store_b64 off, v[78:79], off offset:104
	scratch_store_b64 off, v[64:65], off offset:112
	v_dual_fmac_f32 v19, v8, v60 :: v_dual_mul_f32 v42, v6, v42
	v_fmac_f32_e32 v21, v8, v52
	s_delay_alu instid0(VALU_DEP_2) | instskip(NEXT) | instid1(VALU_DEP_2)
	v_dual_fmac_f32 v46, v8, v48 :: v_dual_fmac_f32 v19, v9, v61
	v_dual_fmac_f32 v42, v7, v43 :: v_dual_fmac_f32 v21, v9, v53
	s_delay_alu instid0(VALU_DEP_1) | instskip(NEXT) | instid1(VALU_DEP_3)
	v_dual_add_f32 v17, v17, v19 :: v_dual_fmac_f32 v42, v8, v44
	v_dual_mul_f32 v19, v6, v38 :: v_dual_fmac_f32 v46, v9, v49
	s_delay_alu instid0(VALU_DEP_3) | instskip(NEXT) | instid1(VALU_DEP_2)
	v_dual_add_f32 v127, v127, v21 :: v_dual_mul_f32 v21, v6, v30
	v_dual_fmac_f32 v42, v9, v45 :: v_dual_fmac_f32 v19, v7, v39
	s_delay_alu instid0(VALU_DEP_2) | instskip(NEXT) | instid1(VALU_DEP_2)
	v_dual_add_f32 v126, v126, v46 :: v_dual_fmac_f32 v21, v7, v31
	v_dual_add_f32 v5, v5, v42 :: v_dual_fmac_f32 v19, v8, v40
	scratch_load_b128 v[28:31], off, off offset:16 th:TH_LOAD_LU ; 16-byte Folded Reload
	v_dual_fmac_f32 v21, v8, v32 :: v_dual_fmac_f32 v19, v9, v41
	s_delay_alu instid0(VALU_DEP_1) | instskip(NEXT) | instid1(VALU_DEP_2)
	v_dual_fmac_f32 v21, v9, v33 :: v_dual_fmac_f32 v22, v8, v24
	v_dual_add_f32 v4, v4, v19 :: v_dual_mul_f32 v19, v6, v34
	s_delay_alu instid0(VALU_DEP_2) | instskip(NEXT) | instid1(VALU_DEP_3)
	v_dual_add_f32 v1, v1, v26 :: v_dual_add_f32 v2, v2, v21
	v_fmac_f32_e32 v22, v9, v25
	scratch_load_b128 v[24:27], off, off th:TH_LOAD_LU ; 16-byte Folded Reload
	v_fmac_f32_e32 v19, v7, v35
	scratch_load_b128 v[32:35], off, off offset:32 th:TH_LOAD_LU ; 16-byte Folded Reload
	v_pk_mul_f32 v[20:21], v[6:7], v[98:99]
	v_fmac_f32_e32 v19, v8, v36
	s_delay_alu instid0(VALU_DEP_1) | instskip(NEXT) | instid1(VALU_DEP_1)
	v_fmac_f32_e32 v19, v9, v37
	v_add_f32_e32 v11, v11, v19
	scratch_load_b32 v19, off, off offset:120 th:TH_LOAD_LU ; 4-byte Folded Reload
	s_wait_loadcnt 0x1
	v_dual_add_f32 v0, v0, v22 :: v_dual_mul_f32 v22, v6, v32
	s_delay_alu instid0(VALU_DEP_1) | instskip(NEXT) | instid1(VALU_DEP_1)
	v_dual_mul_f32 v23, v6, v28 :: v_dual_fmac_f32 v22, v7, v33
	v_dual_mul_f32 v24, v6, v24 :: v_dual_fmac_f32 v23, v7, v29
	s_delay_alu instid0(VALU_DEP_2) | instskip(NEXT) | instid1(VALU_DEP_2)
	v_dual_add_f32 v20, v21, v20 :: v_dual_fmac_f32 v22, v8, v34
	v_fmac_f32_e32 v24, v7, v25
	v_pk_mul_f32 v[6:7], v[8:9], v[100:101]
	s_delay_alu instid0(VALU_DEP_4) | instskip(SKIP_1) | instid1(VALU_DEP_3)
	v_fmac_f32_e32 v23, v8, v30
	s_wait_loadcnt 0x0
	v_dual_fmac_f32 v24, v8, v26 :: v_dual_add_nc_u32 v19, 0x200, v19
	s_delay_alu instid0(VALU_DEP_3)
	v_dual_add_f32 v6, v6, v20 :: v_dual_fmac_f32 v22, v9, v35
	scratch_load_b64 v[20:21], off, off offset:124 th:TH_LOAD_LU ; 8-byte Folded Reload
	v_dual_fmac_f32 v24, v9, v27 :: v_dual_add_f32 v6, v7, v6
	scratch_load_b32 v7, off, off offset:132 th:TH_LOAD_LU ; 4-byte Folded Reload
	v_dual_fmac_f32 v23, v9, v31 :: v_dual_add_f32 v10, v10, v22
	v_dual_add_f32 v12, v12, v24 :: v_dual_add_f32 v85, v85, v6
	scratch_store_b64 off, v[88:89], off offset:72 ; 8-byte Folded Spill
	v_add_f32_e32 v13, v13, v23
	scratch_store_b64 off, v[84:85], off offset:64 ; 8-byte Folded Spill
	s_wait_loadcnt 0x1
	v_add_nc_u64_e32 v[20:21], 16, v[20:21]
	s_wait_loadcnt 0x0
	v_add_nc_u32_e32 v7, 4, v7
	s_delay_alu instid0(VALU_DEP_1)
	v_cmp_le_i32_e32 vcc_lo, s9, v7
	s_or_b32 s10, vcc_lo, s10
	s_wait_xcnt 0x0
	s_and_not1_b32 exec_lo, exec_lo, s10
	s_cbranch_execz .LBB50_96
.LBB50_36:                              ; =>This Inner Loop Header: Depth=1
	global_load_b32 v6, v[20:21], off
	s_clause 0x1
	scratch_load_b64 v[8:9], off, off offset:136
	scratch_store_b64 off, v[20:21], off offset:124
	s_wait_xcnt 0x0
	v_dual_mov_b32 v20, v7 :: v_dual_bitop2_b32 v21, 3, v18 bitop3:0x54
	s_wait_loadcnt 0x1
	v_ashrrev_i32_e32 v7, 31, v6
	s_delay_alu instid0(VALU_DEP_2) | instskip(NEXT) | instid1(VALU_DEP_2)
	v_cmp_eq_u32_e32 vcc_lo, s5, v20
	v_mul_u64_e32 v[6:7], s[2:3], v[6:7]
	s_wait_loadcnt 0x0
	s_delay_alu instid0(VALU_DEP_1)
	v_lshl_add_u64 v[98:99], v[6:7], 2, v[8:9]
	global_load_b128 v[6:9], v[98:99], off
	s_wait_loadcnt 0x0
	s_clause 0x1
	scratch_store_b128 off, v[6:9], off
	scratch_store_b32 off, v19, off offset:120
	s_wait_xcnt 0x1
	ds_load_b128 v[6:9], v19
	scratch_store_b32 off, v20, off offset:132 ; 4-byte Folded Spill
	s_wait_xcnt 0x0
	v_dual_add_nc_u32 v20, 1, v18 :: v_dual_bitop2_b32 v19, 2, v18 bitop3:0x54
	s_and_saveexec_b32 s1, vcc_lo
	s_cbranch_execz .LBB50_38
; %bb.37:                               ;   in Loop: Header=BB50_36 Depth=1
	scratch_load_b128 v[22:25], off, off th:TH_LOAD_LU ; 16-byte Folded Reload
	v_cmp_gt_i32_e64 s0, s11, v20
	s_wait_loadcnt 0x0
	s_delay_alu instid0(VALU_DEP_1) | instskip(SKIP_1) | instid1(VALU_DEP_1)
	v_cndmask_b32_e64 v23, 0, v23, s0
	v_cmp_gt_i32_e64 s0, s21, v18
	v_cndmask_b32_e64 v22, 0, v22, s0
	v_cmp_gt_i32_e64 s0, s11, v21
	s_delay_alu instid0(VALU_DEP_1) | instskip(SKIP_1) | instid1(VALU_DEP_1)
	v_cndmask_b32_e64 v25, 0, v25, s0
	v_cmp_gt_i32_e64 s0, s21, v19
	v_cndmask_b32_e64 v24, 0, v24, s0
	scratch_store_b128 off, v[22:25], off   ; 16-byte Folded Spill
.LBB50_38:                              ;   in Loop: Header=BB50_36 Depth=1
	s_wait_xcnt 0x0
	s_or_b32 exec_lo, exec_lo, s1
	global_load_b128 v[22:25], v[98:99], off offset:512
	s_wait_loadcnt 0x0
	scratch_store_b128 off, v[22:25], off offset:16 ; 16-byte Folded Spill
	s_wait_xcnt 0x0
	s_and_saveexec_b32 s1, vcc_lo
	s_cbranch_execz .LBB50_40
; %bb.39:                               ;   in Loop: Header=BB50_36 Depth=1
	scratch_load_b128 v[22:25], off, off offset:16 th:TH_LOAD_LU ; 16-byte Folded Reload
	v_cmp_gt_i32_e64 s0, s11, v20
	s_wait_loadcnt 0x0
	s_delay_alu instid0(VALU_DEP_1) | instskip(SKIP_1) | instid1(VALU_DEP_1)
	v_cndmask_b32_e64 v23, 0, v23, s0
	v_cmp_gt_i32_e64 s0, s21, v18
	v_cndmask_b32_e64 v22, 0, v22, s0
	v_cmp_gt_i32_e64 s0, s11, v21
	s_delay_alu instid0(VALU_DEP_1) | instskip(SKIP_1) | instid1(VALU_DEP_1)
	v_cndmask_b32_e64 v25, 0, v25, s0
	v_cmp_gt_i32_e64 s0, s21, v19
	v_cndmask_b32_e64 v24, 0, v24, s0
	scratch_store_b128 off, v[22:25], off offset:16 ; 16-byte Folded Spill
.LBB50_40:                              ;   in Loop: Header=BB50_36 Depth=1
	s_wait_xcnt 0x0
	s_or_b32 exec_lo, exec_lo, s1
	global_load_b128 v[22:25], v[98:99], off offset:1024
	s_wait_loadcnt 0x0
	scratch_store_b128 off, v[22:25], off offset:32 ; 16-byte Folded Spill
	s_wait_xcnt 0x0
	s_and_saveexec_b32 s1, vcc_lo
	s_cbranch_execz .LBB50_42
; %bb.41:                               ;   in Loop: Header=BB50_36 Depth=1
	scratch_load_b128 v[22:25], off, off offset:32 th:TH_LOAD_LU ; 16-byte Folded Reload
	v_cmp_gt_i32_e64 s0, s11, v20
	s_wait_loadcnt 0x0
	s_delay_alu instid0(VALU_DEP_1) | instskip(SKIP_1) | instid1(VALU_DEP_1)
	v_cndmask_b32_e64 v23, 0, v23, s0
	v_cmp_gt_i32_e64 s0, s21, v18
	v_cndmask_b32_e64 v22, 0, v22, s0
	v_cmp_gt_i32_e64 s0, s11, v21
	s_delay_alu instid0(VALU_DEP_1) | instskip(SKIP_1) | instid1(VALU_DEP_1)
	v_cndmask_b32_e64 v25, 0, v25, s0
	v_cmp_gt_i32_e64 s0, s21, v19
	v_cndmask_b32_e64 v24, 0, v24, s0
	scratch_store_b128 off, v[22:25], off offset:32 ; 16-byte Folded Spill
.LBB50_42:                              ;   in Loop: Header=BB50_36 Depth=1
	s_wait_xcnt 0x0
	s_or_b32 exec_lo, exec_lo, s1
	global_load_b128 v[22:25], v[98:99], off offset:1536
	s_wait_loadcnt 0x0
	scratch_store_b128 off, v[22:25], off offset:48 ; 16-byte Folded Spill
	s_wait_xcnt 0x0
	s_and_saveexec_b32 s1, vcc_lo
	s_cbranch_execnz .LBB50_69
; %bb.43:                               ;   in Loop: Header=BB50_36 Depth=1
	s_or_b32 exec_lo, exec_lo, s1
	global_load_b128 v[22:25], v[98:99], off offset:2048
	s_wait_xcnt 0x0
	s_and_saveexec_b32 s1, vcc_lo
	s_cbranch_execnz .LBB50_70
.LBB50_44:                              ;   in Loop: Header=BB50_36 Depth=1
	s_or_b32 exec_lo, exec_lo, s1
	global_load_b128 v[26:29], v[98:99], off offset:2560
	s_wait_xcnt 0x0
	s_and_saveexec_b32 s1, vcc_lo
	s_cbranch_execnz .LBB50_71
.LBB50_45:                              ;   in Loop: Header=BB50_36 Depth=1
	s_or_b32 exec_lo, exec_lo, s1
	global_load_b128 v[30:33], v[98:99], off offset:3072
	s_wait_xcnt 0x0
	s_and_saveexec_b32 s1, vcc_lo
	s_cbranch_execnz .LBB50_72
.LBB50_46:                              ;   in Loop: Header=BB50_36 Depth=1
	s_or_b32 exec_lo, exec_lo, s1
	global_load_b128 v[34:37], v[98:99], off offset:3584
	s_wait_xcnt 0x0
	s_and_saveexec_b32 s1, vcc_lo
	s_cbranch_execnz .LBB50_73
.LBB50_47:                              ;   in Loop: Header=BB50_36 Depth=1
	s_or_b32 exec_lo, exec_lo, s1
	global_load_b128 v[38:41], v[98:99], off offset:4096
	s_wait_xcnt 0x0
	s_and_saveexec_b32 s1, vcc_lo
	s_cbranch_execnz .LBB50_74
.LBB50_48:                              ;   in Loop: Header=BB50_36 Depth=1
	s_or_b32 exec_lo, exec_lo, s1
	global_load_b128 v[42:45], v[98:99], off offset:4608
	s_wait_xcnt 0x0
	s_and_saveexec_b32 s1, vcc_lo
	s_cbranch_execnz .LBB50_75
.LBB50_49:                              ;   in Loop: Header=BB50_36 Depth=1
	s_or_b32 exec_lo, exec_lo, s1
	global_load_b128 v[46:49], v[98:99], off offset:5120
	s_wait_xcnt 0x0
	s_and_saveexec_b32 s1, vcc_lo
	s_cbranch_execnz .LBB50_76
.LBB50_50:                              ;   in Loop: Header=BB50_36 Depth=1
	s_or_b32 exec_lo, exec_lo, s1
	global_load_b128 v[50:53], v[98:99], off offset:5632
	s_wait_xcnt 0x0
	s_and_saveexec_b32 s1, vcc_lo
	s_cbranch_execnz .LBB50_77
.LBB50_51:                              ;   in Loop: Header=BB50_36 Depth=1
	s_or_b32 exec_lo, exec_lo, s1
	global_load_b128 v[54:57], v[98:99], off offset:6144
	s_wait_xcnt 0x0
	s_and_saveexec_b32 s1, vcc_lo
	s_cbranch_execnz .LBB50_78
.LBB50_52:                              ;   in Loop: Header=BB50_36 Depth=1
	s_or_b32 exec_lo, exec_lo, s1
	global_load_b128 v[58:61], v[98:99], off offset:6656
	s_wait_xcnt 0x0
	s_and_saveexec_b32 s1, vcc_lo
	s_cbranch_execnz .LBB50_79
.LBB50_53:                              ;   in Loop: Header=BB50_36 Depth=1
	s_or_b32 exec_lo, exec_lo, s1
	global_load_b128 v[62:65], v[98:99], off offset:7168
	s_wait_xcnt 0x0
	s_and_saveexec_b32 s1, vcc_lo
	s_cbranch_execnz .LBB50_80
.LBB50_54:                              ;   in Loop: Header=BB50_36 Depth=1
	s_or_b32 exec_lo, exec_lo, s1
	global_load_b128 v[66:69], v[98:99], off offset:7680
	s_wait_xcnt 0x0
	s_and_saveexec_b32 s1, vcc_lo
	s_cbranch_execnz .LBB50_81
.LBB50_55:                              ;   in Loop: Header=BB50_36 Depth=1
	s_or_b32 exec_lo, exec_lo, s1
	global_load_b128 v[70:73], v[98:99], off offset:8192
	s_wait_xcnt 0x0
	s_and_saveexec_b32 s1, vcc_lo
	s_cbranch_execnz .LBB50_82
.LBB50_56:                              ;   in Loop: Header=BB50_36 Depth=1
	s_or_b32 exec_lo, exec_lo, s1
	global_load_b128 v[74:77], v[98:99], off offset:8704
	s_wait_xcnt 0x0
	s_and_saveexec_b32 s1, vcc_lo
	s_cbranch_execnz .LBB50_83
.LBB50_57:                              ;   in Loop: Header=BB50_36 Depth=1
	s_or_b32 exec_lo, exec_lo, s1
	global_load_b128 v[78:81], v[98:99], off offset:9216
	s_wait_xcnt 0x0
	s_and_saveexec_b32 s12, vcc_lo
	s_cbranch_execnz .LBB50_84
.LBB50_58:                              ;   in Loop: Header=BB50_36 Depth=1
	s_or_b32 exec_lo, exec_lo, s12
	global_load_b128 v[82:85], v[98:99], off offset:9728
	s_wait_xcnt 0x0
	s_and_saveexec_b32 s12, vcc_lo
	s_cbranch_execnz .LBB50_85
.LBB50_59:                              ;   in Loop: Header=BB50_36 Depth=1
	s_or_b32 exec_lo, exec_lo, s12
	global_load_b128 v[86:89], v[98:99], off offset:10240
	s_wait_xcnt 0x0
	s_and_saveexec_b32 s12, vcc_lo
	s_cbranch_execnz .LBB50_86
.LBB50_60:                              ;   in Loop: Header=BB50_36 Depth=1
	s_or_b32 exec_lo, exec_lo, s12
	global_load_b128 v[90:93], v[98:99], off offset:10752
	s_wait_xcnt 0x0
	s_and_saveexec_b32 s12, vcc_lo
	s_cbranch_execnz .LBB50_87
.LBB50_61:                              ;   in Loop: Header=BB50_36 Depth=1
	s_or_b32 exec_lo, exec_lo, s12
	global_load_b128 v[94:97], v[98:99], off offset:11264
	s_wait_xcnt 0x0
	s_and_saveexec_b32 s12, vcc_lo
	s_cbranch_execnz .LBB50_88
.LBB50_62:                              ;   in Loop: Header=BB50_36 Depth=1
	s_or_b32 exec_lo, exec_lo, s12
	global_load_b128 v[102:105], v[98:99], off offset:11776
	s_wait_xcnt 0x0
	s_and_saveexec_b32 s12, vcc_lo
	s_cbranch_execnz .LBB50_89
.LBB50_63:                              ;   in Loop: Header=BB50_36 Depth=1
	s_or_b32 exec_lo, exec_lo, s12
	global_load_b128 v[106:109], v[98:99], off offset:12288
	s_wait_xcnt 0x0
	s_and_saveexec_b32 s12, vcc_lo
	s_cbranch_execnz .LBB50_90
.LBB50_64:                              ;   in Loop: Header=BB50_36 Depth=1
	s_or_b32 exec_lo, exec_lo, s12
	global_load_b128 v[110:113], v[98:99], off offset:12800
	s_wait_xcnt 0x0
	s_and_saveexec_b32 s12, vcc_lo
	s_cbranch_execnz .LBB50_91
.LBB50_65:                              ;   in Loop: Header=BB50_36 Depth=1
	s_or_b32 exec_lo, exec_lo, s12
	global_load_b128 v[114:117], v[98:99], off offset:13312
	s_wait_xcnt 0x0
	s_and_saveexec_b32 s12, vcc_lo
	s_cbranch_execnz .LBB50_92
.LBB50_66:                              ;   in Loop: Header=BB50_36 Depth=1
	s_or_b32 exec_lo, exec_lo, s12
	global_load_b128 v[118:121], v[98:99], off offset:13824
	s_wait_xcnt 0x0
	s_and_saveexec_b32 s12, vcc_lo
	s_cbranch_execnz .LBB50_93
.LBB50_67:                              ;   in Loop: Header=BB50_36 Depth=1
	s_or_b32 exec_lo, exec_lo, s12
	global_load_b128 v[122:125], v[98:99], off offset:14336
	s_wait_xcnt 0x0
	s_and_saveexec_b32 s12, vcc_lo
	s_cbranch_execnz .LBB50_94
.LBB50_68:                              ;   in Loop: Header=BB50_36 Depth=1
	s_or_b32 exec_lo, exec_lo, s12
	global_load_b128 v[98:101], v[98:99], off offset:14848
	s_wait_xcnt 0x0
	s_and_saveexec_b32 s1, vcc_lo
	s_cbranch_execz .LBB50_35
	s_branch .LBB50_95
.LBB50_69:                              ;   in Loop: Header=BB50_36 Depth=1
	scratch_load_b128 v[22:25], off, off offset:48 th:TH_LOAD_LU ; 16-byte Folded Reload
	v_cmp_gt_i32_e64 s0, s11, v20
	s_wait_loadcnt 0x0
	s_delay_alu instid0(VALU_DEP_1) | instskip(SKIP_1) | instid1(VALU_DEP_1)
	v_cndmask_b32_e64 v23, 0, v23, s0
	v_cmp_gt_i32_e64 s0, s21, v18
	v_cndmask_b32_e64 v22, 0, v22, s0
	v_cmp_gt_i32_e64 s0, s11, v21
	s_delay_alu instid0(VALU_DEP_1) | instskip(SKIP_1) | instid1(VALU_DEP_1)
	v_cndmask_b32_e64 v25, 0, v25, s0
	v_cmp_gt_i32_e64 s0, s21, v19
	v_cndmask_b32_e64 v24, 0, v24, s0
	scratch_store_b128 off, v[22:25], off offset:48 ; 16-byte Folded Spill
	s_wait_xcnt 0x0
	s_or_b32 exec_lo, exec_lo, s1
	global_load_b128 v[22:25], v[98:99], off offset:2048
	s_wait_xcnt 0x0
	s_and_saveexec_b32 s1, vcc_lo
	s_cbranch_execz .LBB50_44
.LBB50_70:                              ;   in Loop: Header=BB50_36 Depth=1
	v_cmp_gt_i32_e64 s0, s11, v20
	s_wait_loadcnt 0x0
	s_delay_alu instid0(VALU_DEP_1) | instskip(SKIP_1) | instid1(VALU_DEP_1)
	v_cndmask_b32_e64 v23, 0, v23, s0
	v_cmp_gt_i32_e64 s0, s21, v18
	v_cndmask_b32_e64 v22, 0, v22, s0
	v_cmp_gt_i32_e64 s0, s11, v21
	s_delay_alu instid0(VALU_DEP_1) | instskip(SKIP_1) | instid1(VALU_DEP_1)
	v_cndmask_b32_e64 v25, 0, v25, s0
	v_cmp_gt_i32_e64 s0, s21, v19
	v_cndmask_b32_e64 v24, 0, v24, s0
	s_or_b32 exec_lo, exec_lo, s1
	global_load_b128 v[26:29], v[98:99], off offset:2560
	s_wait_xcnt 0x0
	s_and_saveexec_b32 s1, vcc_lo
	s_cbranch_execz .LBB50_45
.LBB50_71:                              ;   in Loop: Header=BB50_36 Depth=1
	v_cmp_gt_i32_e64 s0, s11, v20
	s_wait_loadcnt 0x0
	s_delay_alu instid0(VALU_DEP_1) | instskip(SKIP_1) | instid1(VALU_DEP_1)
	v_cndmask_b32_e64 v27, 0, v27, s0
	v_cmp_gt_i32_e64 s0, s21, v18
	v_cndmask_b32_e64 v26, 0, v26, s0
	v_cmp_gt_i32_e64 s0, s11, v21
	s_delay_alu instid0(VALU_DEP_1) | instskip(SKIP_1) | instid1(VALU_DEP_1)
	v_cndmask_b32_e64 v29, 0, v29, s0
	v_cmp_gt_i32_e64 s0, s21, v19
	v_cndmask_b32_e64 v28, 0, v28, s0
	s_or_b32 exec_lo, exec_lo, s1
	global_load_b128 v[30:33], v[98:99], off offset:3072
	s_wait_xcnt 0x0
	s_and_saveexec_b32 s1, vcc_lo
	s_cbranch_execz .LBB50_46
.LBB50_72:                              ;   in Loop: Header=BB50_36 Depth=1
	v_cmp_gt_i32_e64 s0, s11, v20
	s_wait_loadcnt 0x0
	s_delay_alu instid0(VALU_DEP_1) | instskip(SKIP_1) | instid1(VALU_DEP_1)
	v_cndmask_b32_e64 v31, 0, v31, s0
	v_cmp_gt_i32_e64 s0, s21, v18
	v_cndmask_b32_e64 v30, 0, v30, s0
	v_cmp_gt_i32_e64 s0, s11, v21
	s_delay_alu instid0(VALU_DEP_1) | instskip(SKIP_1) | instid1(VALU_DEP_1)
	v_cndmask_b32_e64 v33, 0, v33, s0
	v_cmp_gt_i32_e64 s0, s21, v19
	v_cndmask_b32_e64 v32, 0, v32, s0
	s_or_b32 exec_lo, exec_lo, s1
	global_load_b128 v[34:37], v[98:99], off offset:3584
	s_wait_xcnt 0x0
	s_and_saveexec_b32 s1, vcc_lo
	s_cbranch_execz .LBB50_47
.LBB50_73:                              ;   in Loop: Header=BB50_36 Depth=1
	v_cmp_gt_i32_e64 s0, s11, v20
	s_wait_loadcnt 0x0
	s_delay_alu instid0(VALU_DEP_1) | instskip(SKIP_1) | instid1(VALU_DEP_1)
	v_cndmask_b32_e64 v35, 0, v35, s0
	v_cmp_gt_i32_e64 s0, s21, v18
	v_cndmask_b32_e64 v34, 0, v34, s0
	v_cmp_gt_i32_e64 s0, s11, v21
	s_delay_alu instid0(VALU_DEP_1) | instskip(SKIP_1) | instid1(VALU_DEP_1)
	v_cndmask_b32_e64 v37, 0, v37, s0
	v_cmp_gt_i32_e64 s0, s21, v19
	v_cndmask_b32_e64 v36, 0, v36, s0
	s_or_b32 exec_lo, exec_lo, s1
	global_load_b128 v[38:41], v[98:99], off offset:4096
	s_wait_xcnt 0x0
	s_and_saveexec_b32 s1, vcc_lo
	s_cbranch_execz .LBB50_48
.LBB50_74:                              ;   in Loop: Header=BB50_36 Depth=1
	v_cmp_gt_i32_e64 s0, s11, v20
	s_wait_loadcnt 0x0
	s_delay_alu instid0(VALU_DEP_1) | instskip(SKIP_1) | instid1(VALU_DEP_1)
	v_cndmask_b32_e64 v39, 0, v39, s0
	v_cmp_gt_i32_e64 s0, s21, v18
	v_cndmask_b32_e64 v38, 0, v38, s0
	v_cmp_gt_i32_e64 s0, s11, v21
	s_delay_alu instid0(VALU_DEP_1) | instskip(SKIP_1) | instid1(VALU_DEP_1)
	v_cndmask_b32_e64 v41, 0, v41, s0
	v_cmp_gt_i32_e64 s0, s21, v19
	v_cndmask_b32_e64 v40, 0, v40, s0
	s_or_b32 exec_lo, exec_lo, s1
	global_load_b128 v[42:45], v[98:99], off offset:4608
	s_wait_xcnt 0x0
	s_and_saveexec_b32 s1, vcc_lo
	s_cbranch_execz .LBB50_49
.LBB50_75:                              ;   in Loop: Header=BB50_36 Depth=1
	v_cmp_gt_i32_e64 s0, s11, v20
	s_wait_loadcnt 0x0
	s_delay_alu instid0(VALU_DEP_1) | instskip(SKIP_1) | instid1(VALU_DEP_1)
	v_cndmask_b32_e64 v43, 0, v43, s0
	v_cmp_gt_i32_e64 s0, s21, v18
	v_cndmask_b32_e64 v42, 0, v42, s0
	v_cmp_gt_i32_e64 s0, s11, v21
	s_delay_alu instid0(VALU_DEP_1) | instskip(SKIP_1) | instid1(VALU_DEP_1)
	v_cndmask_b32_e64 v45, 0, v45, s0
	v_cmp_gt_i32_e64 s0, s21, v19
	v_cndmask_b32_e64 v44, 0, v44, s0
	s_or_b32 exec_lo, exec_lo, s1
	global_load_b128 v[46:49], v[98:99], off offset:5120
	s_wait_xcnt 0x0
	s_and_saveexec_b32 s1, vcc_lo
	s_cbranch_execz .LBB50_50
.LBB50_76:                              ;   in Loop: Header=BB50_36 Depth=1
	v_cmp_gt_i32_e64 s0, s11, v20
	s_wait_loadcnt 0x0
	s_delay_alu instid0(VALU_DEP_1) | instskip(SKIP_1) | instid1(VALU_DEP_1)
	v_cndmask_b32_e64 v47, 0, v47, s0
	v_cmp_gt_i32_e64 s0, s21, v18
	v_cndmask_b32_e64 v46, 0, v46, s0
	v_cmp_gt_i32_e64 s0, s11, v21
	s_delay_alu instid0(VALU_DEP_1) | instskip(SKIP_1) | instid1(VALU_DEP_1)
	v_cndmask_b32_e64 v49, 0, v49, s0
	v_cmp_gt_i32_e64 s0, s21, v19
	v_cndmask_b32_e64 v48, 0, v48, s0
	s_or_b32 exec_lo, exec_lo, s1
	global_load_b128 v[50:53], v[98:99], off offset:5632
	s_wait_xcnt 0x0
	s_and_saveexec_b32 s1, vcc_lo
	s_cbranch_execz .LBB50_51
.LBB50_77:                              ;   in Loop: Header=BB50_36 Depth=1
	v_cmp_gt_i32_e64 s0, s11, v20
	s_wait_loadcnt 0x0
	s_delay_alu instid0(VALU_DEP_1) | instskip(SKIP_1) | instid1(VALU_DEP_1)
	v_cndmask_b32_e64 v51, 0, v51, s0
	v_cmp_gt_i32_e64 s0, s21, v18
	v_cndmask_b32_e64 v50, 0, v50, s0
	v_cmp_gt_i32_e64 s0, s11, v21
	s_delay_alu instid0(VALU_DEP_1) | instskip(SKIP_1) | instid1(VALU_DEP_1)
	v_cndmask_b32_e64 v53, 0, v53, s0
	v_cmp_gt_i32_e64 s0, s21, v19
	v_cndmask_b32_e64 v52, 0, v52, s0
	s_or_b32 exec_lo, exec_lo, s1
	global_load_b128 v[54:57], v[98:99], off offset:6144
	s_wait_xcnt 0x0
	s_and_saveexec_b32 s1, vcc_lo
	s_cbranch_execz .LBB50_52
.LBB50_78:                              ;   in Loop: Header=BB50_36 Depth=1
	v_cmp_gt_i32_e64 s0, s11, v20
	s_wait_loadcnt 0x0
	s_delay_alu instid0(VALU_DEP_1) | instskip(SKIP_1) | instid1(VALU_DEP_1)
	v_cndmask_b32_e64 v55, 0, v55, s0
	v_cmp_gt_i32_e64 s0, s21, v18
	v_cndmask_b32_e64 v54, 0, v54, s0
	v_cmp_gt_i32_e64 s0, s11, v21
	s_delay_alu instid0(VALU_DEP_1) | instskip(SKIP_1) | instid1(VALU_DEP_1)
	v_cndmask_b32_e64 v57, 0, v57, s0
	v_cmp_gt_i32_e64 s0, s21, v19
	v_cndmask_b32_e64 v56, 0, v56, s0
	s_or_b32 exec_lo, exec_lo, s1
	global_load_b128 v[58:61], v[98:99], off offset:6656
	s_wait_xcnt 0x0
	s_and_saveexec_b32 s1, vcc_lo
	s_cbranch_execz .LBB50_53
.LBB50_79:                              ;   in Loop: Header=BB50_36 Depth=1
	v_cmp_gt_i32_e64 s0, s11, v20
	s_wait_loadcnt 0x0
	s_delay_alu instid0(VALU_DEP_1) | instskip(SKIP_1) | instid1(VALU_DEP_1)
	v_cndmask_b32_e64 v59, 0, v59, s0
	v_cmp_gt_i32_e64 s0, s21, v18
	v_cndmask_b32_e64 v58, 0, v58, s0
	v_cmp_gt_i32_e64 s0, s11, v21
	s_delay_alu instid0(VALU_DEP_1) | instskip(SKIP_1) | instid1(VALU_DEP_1)
	v_cndmask_b32_e64 v61, 0, v61, s0
	v_cmp_gt_i32_e64 s0, s21, v19
	v_cndmask_b32_e64 v60, 0, v60, s0
	s_or_b32 exec_lo, exec_lo, s1
	global_load_b128 v[62:65], v[98:99], off offset:7168
	s_wait_xcnt 0x0
	s_and_saveexec_b32 s1, vcc_lo
	s_cbranch_execz .LBB50_54
.LBB50_80:                              ;   in Loop: Header=BB50_36 Depth=1
	v_cmp_gt_i32_e64 s0, s11, v20
	s_wait_loadcnt 0x0
	s_delay_alu instid0(VALU_DEP_1) | instskip(SKIP_1) | instid1(VALU_DEP_1)
	v_cndmask_b32_e64 v63, 0, v63, s0
	v_cmp_gt_i32_e64 s0, s21, v18
	v_cndmask_b32_e64 v62, 0, v62, s0
	v_cmp_gt_i32_e64 s0, s11, v21
	s_delay_alu instid0(VALU_DEP_1) | instskip(SKIP_1) | instid1(VALU_DEP_1)
	v_cndmask_b32_e64 v65, 0, v65, s0
	v_cmp_gt_i32_e64 s0, s21, v19
	v_cndmask_b32_e64 v64, 0, v64, s0
	s_or_b32 exec_lo, exec_lo, s1
	global_load_b128 v[66:69], v[98:99], off offset:7680
	s_wait_xcnt 0x0
	s_and_saveexec_b32 s1, vcc_lo
	s_cbranch_execz .LBB50_55
.LBB50_81:                              ;   in Loop: Header=BB50_36 Depth=1
	v_cmp_gt_i32_e64 s0, s11, v20
	s_wait_loadcnt 0x0
	s_delay_alu instid0(VALU_DEP_1) | instskip(SKIP_1) | instid1(VALU_DEP_1)
	v_cndmask_b32_e64 v67, 0, v67, s0
	v_cmp_gt_i32_e64 s0, s21, v18
	v_cndmask_b32_e64 v66, 0, v66, s0
	v_cmp_gt_i32_e64 s0, s11, v21
	s_delay_alu instid0(VALU_DEP_1) | instskip(SKIP_1) | instid1(VALU_DEP_1)
	v_cndmask_b32_e64 v69, 0, v69, s0
	v_cmp_gt_i32_e64 s0, s21, v19
	v_cndmask_b32_e64 v68, 0, v68, s0
	s_or_b32 exec_lo, exec_lo, s1
	global_load_b128 v[70:73], v[98:99], off offset:8192
	s_wait_xcnt 0x0
	s_and_saveexec_b32 s1, vcc_lo
	s_cbranch_execz .LBB50_56
.LBB50_82:                              ;   in Loop: Header=BB50_36 Depth=1
	v_cmp_gt_i32_e64 s0, s11, v20
	s_wait_loadcnt 0x0
	s_delay_alu instid0(VALU_DEP_1) | instskip(SKIP_1) | instid1(VALU_DEP_1)
	v_cndmask_b32_e64 v71, 0, v71, s0
	v_cmp_gt_i32_e64 s0, s21, v18
	v_cndmask_b32_e64 v70, 0, v70, s0
	v_cmp_gt_i32_e64 s0, s11, v21
	s_delay_alu instid0(VALU_DEP_1) | instskip(SKIP_1) | instid1(VALU_DEP_1)
	v_cndmask_b32_e64 v73, 0, v73, s0
	v_cmp_gt_i32_e64 s0, s21, v19
	v_cndmask_b32_e64 v72, 0, v72, s0
	s_or_b32 exec_lo, exec_lo, s1
	global_load_b128 v[74:77], v[98:99], off offset:8704
	s_wait_xcnt 0x0
	s_and_saveexec_b32 s1, vcc_lo
	s_cbranch_execz .LBB50_57
.LBB50_83:                              ;   in Loop: Header=BB50_36 Depth=1
	v_cmp_gt_i32_e64 s0, s11, v20
	s_wait_loadcnt 0x0
	s_delay_alu instid0(VALU_DEP_1) | instskip(SKIP_1) | instid1(VALU_DEP_1)
	v_cndmask_b32_e64 v75, 0, v75, s0
	v_cmp_gt_i32_e64 s0, s21, v18
	v_cndmask_b32_e64 v74, 0, v74, s0
	v_cmp_gt_i32_e64 s0, s11, v21
	s_delay_alu instid0(VALU_DEP_1) | instskip(SKIP_1) | instid1(VALU_DEP_1)
	v_cndmask_b32_e64 v77, 0, v77, s0
	v_cmp_gt_i32_e64 s0, s21, v19
	v_cndmask_b32_e64 v76, 0, v76, s0
	s_or_b32 exec_lo, exec_lo, s1
	global_load_b128 v[78:81], v[98:99], off offset:9216
	s_wait_xcnt 0x0
	s_and_saveexec_b32 s12, vcc_lo
	s_cbranch_execz .LBB50_58
.LBB50_84:                              ;   in Loop: Header=BB50_36 Depth=1
	v_cmp_gt_i32_e64 s0, s21, v18
	v_cmp_gt_i32_e64 s1, s11, v20
	s_wait_loadcnt 0x0
	s_delay_alu instid0(VALU_DEP_1) | instskip(SKIP_2) | instid1(VALU_DEP_1)
	v_dual_cndmask_b32 v78, 0, v78, s0 :: v_dual_cndmask_b32 v79, 0, v79, s1
	v_cmp_gt_i32_e64 s0, s21, v19
	v_cmp_gt_i32_e64 s1, s11, v21
	v_dual_cndmask_b32 v80, 0, v80, s0 :: v_dual_cndmask_b32 v81, 0, v81, s1
	s_or_b32 exec_lo, exec_lo, s12
	global_load_b128 v[82:85], v[98:99], off offset:9728
	s_wait_xcnt 0x0
	s_and_saveexec_b32 s12, vcc_lo
	s_cbranch_execz .LBB50_59
.LBB50_85:                              ;   in Loop: Header=BB50_36 Depth=1
	v_cmp_gt_i32_e64 s0, s21, v18
	v_cmp_gt_i32_e64 s1, s11, v20
	s_wait_loadcnt 0x0
	s_delay_alu instid0(VALU_DEP_1) | instskip(SKIP_2) | instid1(VALU_DEP_1)
	v_dual_cndmask_b32 v82, 0, v82, s0 :: v_dual_cndmask_b32 v83, 0, v83, s1
	v_cmp_gt_i32_e64 s0, s21, v19
	v_cmp_gt_i32_e64 s1, s11, v21
	v_dual_cndmask_b32 v84, 0, v84, s0 :: v_dual_cndmask_b32 v85, 0, v85, s1
	s_or_b32 exec_lo, exec_lo, s12
	global_load_b128 v[86:89], v[98:99], off offset:10240
	s_wait_xcnt 0x0
	s_and_saveexec_b32 s12, vcc_lo
	s_cbranch_execz .LBB50_60
.LBB50_86:                              ;   in Loop: Header=BB50_36 Depth=1
	v_cmp_gt_i32_e64 s0, s21, v18
	v_cmp_gt_i32_e64 s1, s11, v20
	s_wait_loadcnt 0x0
	s_delay_alu instid0(VALU_DEP_1) | instskip(SKIP_2) | instid1(VALU_DEP_1)
	v_dual_cndmask_b32 v86, 0, v86, s0 :: v_dual_cndmask_b32 v87, 0, v87, s1
	v_cmp_gt_i32_e64 s0, s21, v19
	v_cmp_gt_i32_e64 s1, s11, v21
	v_dual_cndmask_b32 v88, 0, v88, s0 :: v_dual_cndmask_b32 v89, 0, v89, s1
	s_or_b32 exec_lo, exec_lo, s12
	global_load_b128 v[90:93], v[98:99], off offset:10752
	s_wait_xcnt 0x0
	s_and_saveexec_b32 s12, vcc_lo
	s_cbranch_execz .LBB50_61
.LBB50_87:                              ;   in Loop: Header=BB50_36 Depth=1
	v_cmp_gt_i32_e64 s0, s21, v18
	v_cmp_gt_i32_e64 s1, s11, v20
	s_wait_loadcnt 0x0
	s_delay_alu instid0(VALU_DEP_1) | instskip(SKIP_2) | instid1(VALU_DEP_1)
	v_dual_cndmask_b32 v90, 0, v90, s0 :: v_dual_cndmask_b32 v91, 0, v91, s1
	v_cmp_gt_i32_e64 s0, s21, v19
	v_cmp_gt_i32_e64 s1, s11, v21
	v_dual_cndmask_b32 v92, 0, v92, s0 :: v_dual_cndmask_b32 v93, 0, v93, s1
	s_or_b32 exec_lo, exec_lo, s12
	global_load_b128 v[94:97], v[98:99], off offset:11264
	s_wait_xcnt 0x0
	s_and_saveexec_b32 s12, vcc_lo
	s_cbranch_execz .LBB50_62
.LBB50_88:                              ;   in Loop: Header=BB50_36 Depth=1
	v_cmp_gt_i32_e64 s0, s21, v18
	v_cmp_gt_i32_e64 s1, s11, v20
	s_wait_loadcnt 0x0
	s_delay_alu instid0(VALU_DEP_1) | instskip(SKIP_2) | instid1(VALU_DEP_1)
	v_dual_cndmask_b32 v94, 0, v94, s0 :: v_dual_cndmask_b32 v95, 0, v95, s1
	v_cmp_gt_i32_e64 s0, s21, v19
	v_cmp_gt_i32_e64 s1, s11, v21
	v_dual_cndmask_b32 v96, 0, v96, s0 :: v_dual_cndmask_b32 v97, 0, v97, s1
	s_or_b32 exec_lo, exec_lo, s12
	global_load_b128 v[102:105], v[98:99], off offset:11776
	s_wait_xcnt 0x0
	s_and_saveexec_b32 s12, vcc_lo
	s_cbranch_execz .LBB50_63
.LBB50_89:                              ;   in Loop: Header=BB50_36 Depth=1
	v_cmp_gt_i32_e64 s0, s21, v18
	v_cmp_gt_i32_e64 s1, s11, v20
	s_wait_loadcnt 0x0
	s_delay_alu instid0(VALU_DEP_1) | instskip(SKIP_2) | instid1(VALU_DEP_1)
	v_dual_cndmask_b32 v102, 0, v102, s0 :: v_dual_cndmask_b32 v103, 0, v103, s1
	v_cmp_gt_i32_e64 s0, s21, v19
	v_cmp_gt_i32_e64 s1, s11, v21
	v_dual_cndmask_b32 v104, 0, v104, s0 :: v_dual_cndmask_b32 v105, 0, v105, s1
	s_or_b32 exec_lo, exec_lo, s12
	global_load_b128 v[106:109], v[98:99], off offset:12288
	s_wait_xcnt 0x0
	s_and_saveexec_b32 s12, vcc_lo
	s_cbranch_execz .LBB50_64
.LBB50_90:                              ;   in Loop: Header=BB50_36 Depth=1
	v_cmp_gt_i32_e64 s0, s21, v18
	v_cmp_gt_i32_e64 s1, s11, v20
	s_wait_loadcnt 0x0
	s_delay_alu instid0(VALU_DEP_1) | instskip(SKIP_2) | instid1(VALU_DEP_1)
	v_dual_cndmask_b32 v106, 0, v106, s0 :: v_dual_cndmask_b32 v107, 0, v107, s1
	v_cmp_gt_i32_e64 s0, s21, v19
	v_cmp_gt_i32_e64 s1, s11, v21
	v_dual_cndmask_b32 v108, 0, v108, s0 :: v_dual_cndmask_b32 v109, 0, v109, s1
	s_or_b32 exec_lo, exec_lo, s12
	global_load_b128 v[110:113], v[98:99], off offset:12800
	s_wait_xcnt 0x0
	s_and_saveexec_b32 s12, vcc_lo
	s_cbranch_execz .LBB50_65
.LBB50_91:                              ;   in Loop: Header=BB50_36 Depth=1
	v_cmp_gt_i32_e64 s0, s21, v18
	v_cmp_gt_i32_e64 s1, s11, v20
	s_wait_loadcnt 0x0
	s_delay_alu instid0(VALU_DEP_1) | instskip(SKIP_2) | instid1(VALU_DEP_1)
	v_dual_cndmask_b32 v110, 0, v110, s0 :: v_dual_cndmask_b32 v111, 0, v111, s1
	v_cmp_gt_i32_e64 s0, s21, v19
	v_cmp_gt_i32_e64 s1, s11, v21
	v_dual_cndmask_b32 v112, 0, v112, s0 :: v_dual_cndmask_b32 v113, 0, v113, s1
	s_or_b32 exec_lo, exec_lo, s12
	global_load_b128 v[114:117], v[98:99], off offset:13312
	s_wait_xcnt 0x0
	s_and_saveexec_b32 s12, vcc_lo
	s_cbranch_execz .LBB50_66
.LBB50_92:                              ;   in Loop: Header=BB50_36 Depth=1
	v_cmp_gt_i32_e64 s0, s21, v18
	v_cmp_gt_i32_e64 s1, s11, v20
	s_wait_loadcnt 0x0
	s_delay_alu instid0(VALU_DEP_1) | instskip(SKIP_2) | instid1(VALU_DEP_1)
	v_dual_cndmask_b32 v114, 0, v114, s0 :: v_dual_cndmask_b32 v115, 0, v115, s1
	v_cmp_gt_i32_e64 s0, s21, v19
	v_cmp_gt_i32_e64 s1, s11, v21
	v_dual_cndmask_b32 v116, 0, v116, s0 :: v_dual_cndmask_b32 v117, 0, v117, s1
	s_or_b32 exec_lo, exec_lo, s12
	global_load_b128 v[118:121], v[98:99], off offset:13824
	s_wait_xcnt 0x0
	s_and_saveexec_b32 s12, vcc_lo
	s_cbranch_execz .LBB50_67
.LBB50_93:                              ;   in Loop: Header=BB50_36 Depth=1
	v_cmp_gt_i32_e64 s0, s21, v18
	v_cmp_gt_i32_e64 s1, s11, v20
	s_wait_loadcnt 0x0
	s_delay_alu instid0(VALU_DEP_1) | instskip(SKIP_2) | instid1(VALU_DEP_1)
	v_dual_cndmask_b32 v118, 0, v118, s0 :: v_dual_cndmask_b32 v119, 0, v119, s1
	v_cmp_gt_i32_e64 s0, s21, v19
	v_cmp_gt_i32_e64 s1, s11, v21
	v_dual_cndmask_b32 v120, 0, v120, s0 :: v_dual_cndmask_b32 v121, 0, v121, s1
	s_or_b32 exec_lo, exec_lo, s12
	global_load_b128 v[122:125], v[98:99], off offset:14336
	s_wait_xcnt 0x0
	s_and_saveexec_b32 s12, vcc_lo
	s_cbranch_execz .LBB50_68
.LBB50_94:                              ;   in Loop: Header=BB50_36 Depth=1
	v_cmp_gt_i32_e64 s0, s21, v18
	v_cmp_gt_i32_e64 s1, s11, v20
	s_wait_loadcnt 0x0
	s_delay_alu instid0(VALU_DEP_1) | instskip(SKIP_2) | instid1(VALU_DEP_1)
	v_dual_cndmask_b32 v122, 0, v122, s0 :: v_dual_cndmask_b32 v123, 0, v123, s1
	v_cmp_gt_i32_e64 s0, s21, v19
	v_cmp_gt_i32_e64 s1, s11, v21
	v_dual_cndmask_b32 v124, 0, v124, s0 :: v_dual_cndmask_b32 v125, 0, v125, s1
	s_or_b32 exec_lo, exec_lo, s12
	global_load_b128 v[98:101], v[98:99], off offset:14848
	s_wait_xcnt 0x0
	s_and_saveexec_b32 s1, vcc_lo
	s_cbranch_execz .LBB50_35
.LBB50_95:                              ;   in Loop: Header=BB50_36 Depth=1
	v_cmp_gt_i32_e32 vcc_lo, s21, v18
	v_cmp_gt_i32_e64 s0, s11, v20
	s_wait_loadcnt 0x0
	s_delay_alu instid0(VALU_DEP_1) | instskip(SKIP_2) | instid1(VALU_DEP_1)
	v_dual_cndmask_b32 v98, 0, v98, vcc_lo :: v_dual_cndmask_b32 v99, 0, v99, s0
	v_cmp_gt_i32_e32 vcc_lo, s21, v19
	v_cmp_gt_i32_e64 s0, s11, v21
	v_dual_cndmask_b32 v100, 0, v100, vcc_lo :: v_dual_cndmask_b32 v101, 0, v101, s0
	s_branch .LBB50_35
.LBB50_96:
	s_or_b32 exec_lo, exec_lo, s10
	s_clause 0x6
	scratch_load_b32 v18, off, off offset:168
	scratch_load_b64 v[54:55], off, off offset:72
	scratch_load_b64 v[52:53], off, off offset:80
	;; [unrolled: 1-line block ×6, first 2 shown]
.LBB50_97:
	s_wait_xcnt 0x0
	s_or_b32 exec_lo, exec_lo, s22
	s_clause 0x2
	scratch_load_b32 v58, off, off offset:164 th:TH_LOAD_LU
	scratch_load_b32 v70, off, off offset:160 th:TH_LOAD_LU
	scratch_load_b64 v[56:57], off, off offset:64 th:TH_LOAD_LU
	s_wait_loadcnt 0x9
	v_mov_b32_e32 v41, v18
	ds_bpermute_b32 v6, v18, v12
	ds_bpermute_b32 v7, v18, v13
	;; [unrolled: 1-line block ×14, first 2 shown]
	s_wait_loadcnt 0x3
	ds_bpermute_b32 v30, v41, v44
	ds_bpermute_b32 v31, v41, v45
	;; [unrolled: 1-line block ×7, first 2 shown]
	s_wait_dscnt 0x13
	v_pk_add_f32 v[6:7], v[12:13], v[6:7]
	ds_bpermute_b32 v37, v41, v53
	s_wait_dscnt 0x12
	v_pk_add_f32 v[8:9], v[10:11], v[8:9]
	ds_bpermute_b32 v38, v41, v54
	;; [unrolled: 3-line block ×3, first 2 shown]
	s_wait_dscnt 0x10
	v_pk_add_f32 v[24:25], v[126:127], v[24:25]
	s_mov_b32 s0, exec_lo
	s_wait_dscnt 0xe
	v_pk_add_f32 v[0:1], v[0:1], v[18:19]
	s_wait_dscnt 0xc
	v_pk_add_f32 v[26:27], v[16:17], v[26:27]
	;; [unrolled: 2-line block ×3, first 2 shown]
	ds_bpermute_b32 v28, v41, v60
	ds_bpermute_b32 v29, v41, v61
	s_wait_dscnt 0xa
	v_pk_add_f32 v[30:31], v[44:45], v[30:31]
	s_wait_dscnt 0x8
	v_pk_add_f32 v[4:5], v[4:5], v[22:23]
	;; [unrolled: 2-line block ×5, first 2 shown]
	s_wait_loadcnt 0x2
	ds_bpermute_b32 v20, v58, v2
	ds_bpermute_b32 v21, v58, v3
	;; [unrolled: 1-line block ×10, first 2 shown]
	s_wait_loadcnt 0x0
	ds_bpermute_b32 v44, v41, v56
	ds_bpermute_b32 v45, v41, v57
	;; [unrolled: 1-line block ×8, first 2 shown]
	s_wait_dscnt 0x10
	v_pk_add_f32 v[2:3], v[2:3], v[20:21]
	ds_bpermute_b32 v20, v41, v46
	ds_bpermute_b32 v21, v41, v47
	s_wait_dscnt 0x10
	v_pk_add_f32 v[32:33], v[24:25], v[32:33]
	ds_bpermute_b32 v24, v58, v26
	ds_bpermute_b32 v25, v58, v27
	s_wait_dscnt 0x10
	v_pk_add_f32 v[6:7], v[6:7], v[10:11]
	s_wait_dscnt 0xe
	v_pk_add_f32 v[0:1], v[0:1], v[18:19]
	;; [unrolled: 2-line block ×3, first 2 shown]
	ds_bpermute_b32 v40, v70, v32
	s_wait_dscnt 0xb
	v_pk_add_f32 v[44:45], v[56:57], v[44:45]
	ds_bpermute_b32 v41, v70, v33
	s_wait_dscnt 0xa
	v_pk_add_f32 v[8:9], v[8:9], v[12:13]
	ds_bpermute_b32 v12, v70, v6
	ds_bpermute_b32 v13, v70, v7
	;; [unrolled: 1-line block ×7, first 2 shown]
	s_wait_dscnt 0xf
	v_pk_add_f32 v[4:5], v[4:5], v[22:23]
	s_wait_dscnt 0xd
	v_pk_add_f32 v[34:35], v[34:35], v[50:51]
	;; [unrolled: 2-line block ×3, first 2 shown]
	ds_bpermute_b32 v46, v58, v30
	ds_bpermute_b32 v47, v58, v31
	s_wait_dscnt 0xb
	v_pk_add_f32 v[52:53], v[26:27], v[24:25]
	v_pk_add_f32 v[24:25], v[54:55], v[38:39]
	ds_bpermute_b32 v48, v58, v20
	ds_bpermute_b32 v49, v58, v21
	;; [unrolled: 1-line block ×17, first 2 shown]
	s_wait_dscnt 0x11
	v_pk_add_f32 v[46:47], v[30:31], v[46:47]
	ds_bpermute_b32 v64, v70, v34
	ds_bpermute_b32 v65, v70, v35
	s_wait_dscnt 0x11
	v_pk_add_f32 v[48:49], v[20:21], v[48:49]
	ds_bpermute_b32 v60, v70, v46
	s_wait_dscnt 0x10
	v_pk_add_f32 v[62:63], v[28:29], v[26:27]
	v_pk_add_f32 v[26:27], v[0:1], v[10:11]
	s_wait_dscnt 0xe
	v_pk_add_f32 v[36:37], v[36:37], v[38:39]
	v_pk_add_f32 v[10:11], v[32:33], v[40:41]
	;; [unrolled: 3-line block ×3, first 2 shown]
	s_wait_dscnt 0xb
	v_pk_add_f32 v[6:7], v[42:43], v[58:59]
	s_clause 0x1
	scratch_load_b32 v42, off, off offset:148
	scratch_load_b32 v32, off, off offset:152 th:TH_LOAD_LU
	ds_bpermute_b32 v61, v70, v47
	ds_bpermute_b32 v50, v70, v48
	;; [unrolled: 1-line block ×9, first 2 shown]
	v_pk_add_f32 v[28:29], v[44:45], v[14:15]
	s_wait_dscnt 0x12
	v_pk_add_f32 v[18:19], v[8:9], v[18:19]
	s_wait_dscnt 0x10
	;; [unrolled: 2-line block ×4, first 2 shown]
	v_pk_add_f32 v[8:9], v[52:53], v[56:57]
	ds_bpermute_b32 v30, v70, v28
	ds_bpermute_b32 v31, v70, v29
	s_wait_dscnt 0xc
	v_pk_add_f32 v[0:1], v[34:35], v[64:65]
	s_wait_storecnt 0x0
	s_wait_loadcnt_dscnt 0x0
	s_barrier_signal -1
	s_barrier_wait -1
	v_pk_add_f32 v[4:5], v[46:47], v[60:61]
	v_pk_add_f32 v[2:3], v[48:49], v[50:51]
	;; [unrolled: 1-line block ×5, first 2 shown]
	v_and_b32_e32 v33, 0x3c7, v42
	v_lshrrev_b32_e32 v32, 3, v32
	s_delay_alu instid0(VALU_DEP_2) | instskip(SKIP_1) | instid1(SALU_CYCLE_1)
	v_cmpx_ne_u32_e32 64, v33
	s_xor_b32 s0, exec_lo, s0
	s_or_saveexec_b32 s0, s0
	v_pk_add_f32 v[28:29], v[28:29], v[30:31]
	scratch_load_b32 v30, off, off offset:144 th:TH_LOAD_LU ; 4-byte Folded Reload
	v_lshl_add_u32 v31, v32, 2, 0x200
	s_wait_loadcnt 0x0
	v_mul_u32_u24_e32 v30, 0x1e0, v30
	s_xor_b32 exec_lo, exec_lo, s0
	s_cbranch_execz .LBB50_99
; %bb.98:
	s_delay_alu instid0(VALU_DEP_1) | instskip(NEXT) | instid1(VALU_DEP_1)
	v_add_nc_u32_e32 v33, v31, v30
	v_add_nc_u32_e32 v34, 0xfffffc40, v33
	v_add_nc_u32_e32 v35, 0xfffffc50, v33
	v_add_nc_u32_e32 v36, 0xfffffc60, v33
	v_add_nc_u32_e32 v37, 0xfffffc70, v33
	v_add_nc_u32_e32 v38, 0xfffffc80, v33
	v_add_nc_u32_e32 v39, 0xfffffc90, v33
	v_add_nc_u32_e32 v40, 0xfffffca0, v33
	v_add_nc_u32_e32 v41, 0xfffffcb0, v33
	ds_store_b32 v34, v24
	ds_store_b32 v35, v25
	;; [unrolled: 1-line block ×8, first 2 shown]
	v_add_nc_u32_e32 v34, 0xfffffcc0, v33
	v_add_nc_u32_e32 v35, 0xfffffcd0, v33
	;; [unrolled: 1-line block ×8, first 2 shown]
	ds_store_b32 v34, v14
	ds_store_b32 v35, v15
	;; [unrolled: 1-line block ×8, first 2 shown]
	v_add_nc_u32_e32 v34, 0xfffffd40, v33
	v_add_nc_u32_e32 v35, 0xfffffd50, v33
	;; [unrolled: 1-line block ×8, first 2 shown]
	ds_store_b32 v34, v4
	ds_store_b32 v35, v5
	;; [unrolled: 1-line block ×8, first 2 shown]
	v_add_nc_u32_e32 v34, 0xfffffdc0, v33
	v_add_nc_u32_e32 v35, 0xfffffdd0, v33
	;; [unrolled: 1-line block ×6, first 2 shown]
	ds_store_b32 v34, v16
	ds_store_b32 v35, v17
	;; [unrolled: 1-line block ×6, first 2 shown]
.LBB50_99:
	s_or_b32 exec_lo, exec_lo, s0
	scratch_load_b32 v33, off, off offset:156 th:TH_LOAD_LU ; 4-byte Folded Reload
	v_lshlrev_b32_e32 v32, 2, v32
	s_mov_b32 s1, exec_lo
	s_wait_loadcnt_dscnt 0x0
	s_barrier_signal -1
	s_barrier_wait -1
	v_add3_u32 v30, 0x200, v30, v32
	v_cmp_eq_u32_e32 vcc_lo, 0, v33
	v_cmpx_gt_u32_e32 64, v42
	s_cbranch_execz .LBB50_132
; %bb.100:
	s_and_saveexec_b32 s0, vcc_lo
	s_cbranch_execnz .LBB50_170
; %bb.101:
	s_or_b32 exec_lo, exec_lo, s0
	s_and_saveexec_b32 s0, vcc_lo
	s_cbranch_execnz .LBB50_171
.LBB50_102:
	s_or_b32 exec_lo, exec_lo, s0
	s_and_saveexec_b32 s0, vcc_lo
	s_cbranch_execnz .LBB50_172
.LBB50_103:
	s_or_b32 exec_lo, exec_lo, s0
	s_and_saveexec_b32 s0, vcc_lo
	s_cbranch_execnz .LBB50_173
.LBB50_104:
	s_or_b32 exec_lo, exec_lo, s0
	s_and_saveexec_b32 s0, vcc_lo
	s_cbranch_execnz .LBB50_174
.LBB50_105:
	s_or_b32 exec_lo, exec_lo, s0
	s_and_saveexec_b32 s0, vcc_lo
	s_cbranch_execnz .LBB50_175
.LBB50_106:
	s_or_b32 exec_lo, exec_lo, s0
	s_and_saveexec_b32 s0, vcc_lo
	s_cbranch_execnz .LBB50_176
.LBB50_107:
	s_or_b32 exec_lo, exec_lo, s0
	s_and_saveexec_b32 s0, vcc_lo
	s_cbranch_execnz .LBB50_177
.LBB50_108:
	s_or_b32 exec_lo, exec_lo, s0
	s_and_saveexec_b32 s0, vcc_lo
	s_cbranch_execnz .LBB50_178
.LBB50_109:
	s_or_b32 exec_lo, exec_lo, s0
	s_and_saveexec_b32 s0, vcc_lo
	s_cbranch_execnz .LBB50_179
.LBB50_110:
	s_or_b32 exec_lo, exec_lo, s0
	s_and_saveexec_b32 s0, vcc_lo
	s_cbranch_execnz .LBB50_180
.LBB50_111:
	s_or_b32 exec_lo, exec_lo, s0
	s_and_saveexec_b32 s0, vcc_lo
	s_cbranch_execnz .LBB50_181
.LBB50_112:
	s_or_b32 exec_lo, exec_lo, s0
	s_and_saveexec_b32 s0, vcc_lo
	s_cbranch_execnz .LBB50_182
.LBB50_113:
	s_or_b32 exec_lo, exec_lo, s0
	s_and_saveexec_b32 s0, vcc_lo
	s_cbranch_execnz .LBB50_183
.LBB50_114:
	s_or_b32 exec_lo, exec_lo, s0
	s_and_saveexec_b32 s0, vcc_lo
	s_cbranch_execnz .LBB50_184
.LBB50_115:
	s_or_b32 exec_lo, exec_lo, s0
	s_and_saveexec_b32 s0, vcc_lo
	s_cbranch_execnz .LBB50_185
.LBB50_116:
	s_or_b32 exec_lo, exec_lo, s0
	s_and_saveexec_b32 s0, vcc_lo
	s_cbranch_execnz .LBB50_186
.LBB50_117:
	s_or_b32 exec_lo, exec_lo, s0
	s_and_saveexec_b32 s0, vcc_lo
	s_cbranch_execnz .LBB50_187
.LBB50_118:
	s_or_b32 exec_lo, exec_lo, s0
	s_and_saveexec_b32 s0, vcc_lo
	s_cbranch_execnz .LBB50_188
.LBB50_119:
	s_or_b32 exec_lo, exec_lo, s0
	s_and_saveexec_b32 s0, vcc_lo
	s_cbranch_execnz .LBB50_189
.LBB50_120:
	s_or_b32 exec_lo, exec_lo, s0
	s_and_saveexec_b32 s0, vcc_lo
	s_cbranch_execnz .LBB50_190
.LBB50_121:
	s_or_b32 exec_lo, exec_lo, s0
	s_and_saveexec_b32 s0, vcc_lo
	s_cbranch_execnz .LBB50_191
.LBB50_122:
	s_or_b32 exec_lo, exec_lo, s0
	s_and_saveexec_b32 s0, vcc_lo
	s_cbranch_execnz .LBB50_192
.LBB50_123:
	s_or_b32 exec_lo, exec_lo, s0
	s_and_saveexec_b32 s0, vcc_lo
	s_cbranch_execnz .LBB50_193
.LBB50_124:
	s_or_b32 exec_lo, exec_lo, s0
	s_and_saveexec_b32 s0, vcc_lo
	s_cbranch_execnz .LBB50_194
.LBB50_125:
	s_or_b32 exec_lo, exec_lo, s0
	s_and_saveexec_b32 s0, vcc_lo
	s_cbranch_execnz .LBB50_195
.LBB50_126:
	s_or_b32 exec_lo, exec_lo, s0
	s_and_saveexec_b32 s0, vcc_lo
	s_cbranch_execnz .LBB50_196
.LBB50_127:
	s_or_b32 exec_lo, exec_lo, s0
	s_and_saveexec_b32 s0, vcc_lo
	s_cbranch_execnz .LBB50_197
.LBB50_128:
	s_or_b32 exec_lo, exec_lo, s0
	s_and_saveexec_b32 s0, vcc_lo
	s_cbranch_execnz .LBB50_198
.LBB50_129:
	s_or_b32 exec_lo, exec_lo, s0
	s_and_saveexec_b32 s0, vcc_lo
	s_cbranch_execz .LBB50_131
.LBB50_130:
	ds_load_b32 v32, v30 offset:464
	s_wait_dscnt 0x0
	v_add_f32_e32 v29, v29, v32
.LBB50_131:
	s_or_b32 exec_lo, exec_lo, s0
.LBB50_132:
	s_delay_alu instid0(SALU_CYCLE_1) | instskip(SKIP_4) | instid1(VALU_DEP_1)
	s_or_b32 exec_lo, exec_lo, s1
	v_and_b32_e32 v32, 0x3e7, v42
	s_mov_b32 s1, exec_lo
	s_barrier_signal -1
	s_barrier_wait -1
	v_cmpx_eq_u32_e32 32, v32
	s_cbranch_execz .LBB50_134
; %bb.133:
	ds_store_2addr_b32 v31, v24, v25 offset1:4
	ds_store_2addr_b32 v31, v18, v19 offset0:8 offset1:12
	ds_store_2addr_b32 v31, v26, v27 offset0:16 offset1:20
	;; [unrolled: 1-line block ×14, first 2 shown]
.LBB50_134:
	s_or_b32 exec_lo, exec_lo, s1
	s_delay_alu instid0(SALU_CYCLE_1)
	s_mov_b32 s1, exec_lo
	s_wait_dscnt 0x0
	s_barrier_signal -1
	s_barrier_wait -1
	v_cmpx_gt_u32_e32 32, v42
	s_cbranch_execz .LBB50_167
; %bb.135:
	s_and_saveexec_b32 s0, vcc_lo
	s_cbranch_execnz .LBB50_199
; %bb.136:
	s_or_b32 exec_lo, exec_lo, s0
	s_and_saveexec_b32 s0, vcc_lo
	s_cbranch_execnz .LBB50_200
.LBB50_137:
	s_or_b32 exec_lo, exec_lo, s0
	s_and_saveexec_b32 s0, vcc_lo
	s_cbranch_execnz .LBB50_201
.LBB50_138:
	s_or_b32 exec_lo, exec_lo, s0
	s_and_saveexec_b32 s0, vcc_lo
	s_cbranch_execnz .LBB50_202
.LBB50_139:
	s_or_b32 exec_lo, exec_lo, s0
	s_and_saveexec_b32 s0, vcc_lo
	s_cbranch_execnz .LBB50_203
.LBB50_140:
	s_or_b32 exec_lo, exec_lo, s0
	s_and_saveexec_b32 s0, vcc_lo
	s_cbranch_execnz .LBB50_204
.LBB50_141:
	s_or_b32 exec_lo, exec_lo, s0
	s_and_saveexec_b32 s0, vcc_lo
	s_cbranch_execnz .LBB50_205
.LBB50_142:
	s_or_b32 exec_lo, exec_lo, s0
	s_and_saveexec_b32 s0, vcc_lo
	s_cbranch_execnz .LBB50_206
.LBB50_143:
	s_or_b32 exec_lo, exec_lo, s0
	s_and_saveexec_b32 s0, vcc_lo
	s_cbranch_execnz .LBB50_207
.LBB50_144:
	s_or_b32 exec_lo, exec_lo, s0
	s_and_saveexec_b32 s0, vcc_lo
	s_cbranch_execnz .LBB50_208
.LBB50_145:
	s_or_b32 exec_lo, exec_lo, s0
	s_and_saveexec_b32 s0, vcc_lo
	s_cbranch_execnz .LBB50_209
.LBB50_146:
	s_or_b32 exec_lo, exec_lo, s0
	s_and_saveexec_b32 s0, vcc_lo
	s_cbranch_execnz .LBB50_210
.LBB50_147:
	s_or_b32 exec_lo, exec_lo, s0
	s_and_saveexec_b32 s0, vcc_lo
	s_cbranch_execnz .LBB50_211
.LBB50_148:
	s_or_b32 exec_lo, exec_lo, s0
	s_and_saveexec_b32 s0, vcc_lo
	s_cbranch_execnz .LBB50_212
.LBB50_149:
	s_or_b32 exec_lo, exec_lo, s0
	s_and_saveexec_b32 s0, vcc_lo
	s_cbranch_execnz .LBB50_213
.LBB50_150:
	s_or_b32 exec_lo, exec_lo, s0
	s_and_saveexec_b32 s0, vcc_lo
	s_cbranch_execnz .LBB50_214
.LBB50_151:
	s_or_b32 exec_lo, exec_lo, s0
	s_and_saveexec_b32 s0, vcc_lo
	s_cbranch_execnz .LBB50_215
.LBB50_152:
	s_or_b32 exec_lo, exec_lo, s0
	s_and_saveexec_b32 s0, vcc_lo
	s_cbranch_execnz .LBB50_216
.LBB50_153:
	s_or_b32 exec_lo, exec_lo, s0
	s_and_saveexec_b32 s0, vcc_lo
	s_cbranch_execnz .LBB50_217
.LBB50_154:
	s_or_b32 exec_lo, exec_lo, s0
	s_and_saveexec_b32 s0, vcc_lo
	s_cbranch_execnz .LBB50_218
.LBB50_155:
	s_or_b32 exec_lo, exec_lo, s0
	s_and_saveexec_b32 s0, vcc_lo
	s_cbranch_execnz .LBB50_219
.LBB50_156:
	s_or_b32 exec_lo, exec_lo, s0
	s_and_saveexec_b32 s0, vcc_lo
	s_cbranch_execnz .LBB50_220
.LBB50_157:
	s_or_b32 exec_lo, exec_lo, s0
	s_and_saveexec_b32 s0, vcc_lo
	s_cbranch_execnz .LBB50_221
.LBB50_158:
	s_or_b32 exec_lo, exec_lo, s0
	s_and_saveexec_b32 s0, vcc_lo
	s_cbranch_execnz .LBB50_222
.LBB50_159:
	s_or_b32 exec_lo, exec_lo, s0
	s_and_saveexec_b32 s0, vcc_lo
	s_cbranch_execnz .LBB50_223
.LBB50_160:
	s_or_b32 exec_lo, exec_lo, s0
	s_and_saveexec_b32 s0, vcc_lo
	s_cbranch_execnz .LBB50_224
.LBB50_161:
	s_or_b32 exec_lo, exec_lo, s0
	s_and_saveexec_b32 s0, vcc_lo
	s_cbranch_execnz .LBB50_225
.LBB50_162:
	s_or_b32 exec_lo, exec_lo, s0
	s_and_saveexec_b32 s0, vcc_lo
	s_cbranch_execnz .LBB50_226
.LBB50_163:
	s_or_b32 exec_lo, exec_lo, s0
	s_and_saveexec_b32 s0, vcc_lo
	s_cbranch_execnz .LBB50_227
.LBB50_164:
	s_or_b32 exec_lo, exec_lo, s0
	s_and_saveexec_b32 s0, vcc_lo
	s_cbranch_execz .LBB50_166
.LBB50_165:
	ds_load_b32 v30, v30 offset:464
	s_wait_dscnt 0x0
	v_add_f32_e32 v29, v29, v30
.LBB50_166:
	s_or_b32 exec_lo, exec_lo, s0
.LBB50_167:
	s_delay_alu instid0(SALU_CYCLE_1)
	s_or_b32 exec_lo, exec_lo, s1
	s_mov_b32 s1, 0
	s_barrier_signal -1
	s_barrier_wait -1
	s_mov_b32 s0, exec_lo
	v_cmpx_eq_u32_e32 0, v32
	s_cbranch_execz .LBB50_169
; %bb.168:
	s_mul_i32 s0, s20, s4
	s_mul_i32 s2, s4, s8
	;; [unrolled: 1-line block ×3, first 2 shown]
	s_lshr_b32 s8, ttmp7, 16
	s_mul_i32 s4, s0, 0x78
	s_bfe_u32 s0, ttmp6, 0x40014
	s_ashr_i32 s5, s4, 31
	s_add_co_i32 s0, s0, 1
	s_lshl_b64 s[4:5], s[4:5], 2
	s_ashr_i32 s3, s2, 31
	s_wait_kmcnt 0x0
	s_add_nc_u64 s[4:5], s[6:7], s[4:5]
	s_mul_i32 s0, s8, s0
	s_bfe_u32 s6, ttmp6, 0x40008
	s_lshl_b64 s[2:3], s[2:3], 2
	s_add_co_i32 s6, s6, s0
	s_cmp_eq_u32 s18, 0
	v_lshrrev_b32_e32 v30, 1, v42
	s_cselect_b32 s0, s8, s6
	s_add_nc_u64 s[2:3], s[4:5], s[2:3]
	s_mulk_i32 s0, 0x1e0
	s_delay_alu instid0(SALU_CYCLE_1)
	s_add_nc_u64 s[0:1], s[2:3], s[0:1]
	s_clause 0x1d
	global_store_b32 v30, v24, s[0:1]
	global_store_b32 v30, v25, s[0:1] offset:16
	global_store_b32 v30, v18, s[0:1] offset:32
	;; [unrolled: 1-line block ×29, first 2 shown]
.LBB50_169:
	s_sendmsg sendmsg(MSG_DEALLOC_VGPRS)
	s_endpgm
.LBB50_170:
	ds_load_b32 v32, v30
	s_wait_dscnt 0x0
	v_add_f32_e32 v24, v24, v32
	s_or_b32 exec_lo, exec_lo, s0
	s_and_saveexec_b32 s0, vcc_lo
	s_cbranch_execz .LBB50_102
.LBB50_171:
	ds_load_b32 v32, v30 offset:16
	s_wait_dscnt 0x0
	v_add_f32_e32 v25, v25, v32
	s_or_b32 exec_lo, exec_lo, s0
	s_and_saveexec_b32 s0, vcc_lo
	s_cbranch_execz .LBB50_103
.LBB50_172:
	ds_load_b32 v32, v30 offset:32
	s_wait_dscnt 0x0
	v_add_f32_e32 v18, v18, v32
	s_or_b32 exec_lo, exec_lo, s0
	s_and_saveexec_b32 s0, vcc_lo
	s_cbranch_execz .LBB50_104
.LBB50_173:
	ds_load_b32 v32, v30 offset:48
	s_wait_dscnt 0x0
	v_add_f32_e32 v19, v19, v32
	s_or_b32 exec_lo, exec_lo, s0
	s_and_saveexec_b32 s0, vcc_lo
	s_cbranch_execz .LBB50_105
.LBB50_174:
	ds_load_b32 v32, v30 offset:64
	s_wait_dscnt 0x0
	v_add_f32_e32 v26, v26, v32
	s_or_b32 exec_lo, exec_lo, s0
	s_and_saveexec_b32 s0, vcc_lo
	s_cbranch_execz .LBB50_106
.LBB50_175:
	ds_load_b32 v32, v30 offset:80
	s_wait_dscnt 0x0
	v_add_f32_e32 v27, v27, v32
	s_or_b32 exec_lo, exec_lo, s0
	s_and_saveexec_b32 s0, vcc_lo
	s_cbranch_execz .LBB50_107
.LBB50_176:
	ds_load_b32 v32, v30 offset:96
	s_wait_dscnt 0x0
	v_add_f32_e32 v20, v20, v32
	s_or_b32 exec_lo, exec_lo, s0
	s_and_saveexec_b32 s0, vcc_lo
	s_cbranch_execz .LBB50_108
.LBB50_177:
	ds_load_b32 v32, v30 offset:112
	s_wait_dscnt 0x0
	v_add_f32_e32 v21, v21, v32
	s_or_b32 exec_lo, exec_lo, s0
	s_and_saveexec_b32 s0, vcc_lo
	s_cbranch_execz .LBB50_109
.LBB50_178:
	ds_load_b32 v32, v30 offset:128
	s_wait_dscnt 0x0
	v_add_f32_e32 v14, v14, v32
	s_or_b32 exec_lo, exec_lo, s0
	s_and_saveexec_b32 s0, vcc_lo
	s_cbranch_execz .LBB50_110
.LBB50_179:
	ds_load_b32 v32, v30 offset:144
	s_wait_dscnt 0x0
	v_add_f32_e32 v15, v15, v32
	s_or_b32 exec_lo, exec_lo, s0
	s_and_saveexec_b32 s0, vcc_lo
	s_cbranch_execz .LBB50_111
.LBB50_180:
	ds_load_b32 v32, v30 offset:160
	s_wait_dscnt 0x0
	v_add_f32_e32 v10, v10, v32
	s_or_b32 exec_lo, exec_lo, s0
	s_and_saveexec_b32 s0, vcc_lo
	s_cbranch_execz .LBB50_112
.LBB50_181:
	ds_load_b32 v32, v30 offset:176
	s_wait_dscnt 0x0
	v_add_f32_e32 v11, v11, v32
	s_or_b32 exec_lo, exec_lo, s0
	s_and_saveexec_b32 s0, vcc_lo
	s_cbranch_execz .LBB50_113
.LBB50_182:
	ds_load_b32 v32, v30 offset:192
	s_wait_dscnt 0x0
	v_add_f32_e32 v8, v8, v32
	s_or_b32 exec_lo, exec_lo, s0
	s_and_saveexec_b32 s0, vcc_lo
	s_cbranch_execz .LBB50_114
.LBB50_183:
	ds_load_b32 v32, v30 offset:208
	s_wait_dscnt 0x0
	v_add_f32_e32 v9, v9, v32
	s_or_b32 exec_lo, exec_lo, s0
	s_and_saveexec_b32 s0, vcc_lo
	s_cbranch_execz .LBB50_115
.LBB50_184:
	ds_load_b32 v32, v30 offset:224
	s_wait_dscnt 0x0
	v_add_f32_e32 v6, v6, v32
	s_or_b32 exec_lo, exec_lo, s0
	s_and_saveexec_b32 s0, vcc_lo
	s_cbranch_execz .LBB50_116
.LBB50_185:
	ds_load_b32 v32, v30 offset:240
	s_wait_dscnt 0x0
	v_add_f32_e32 v7, v7, v32
	s_or_b32 exec_lo, exec_lo, s0
	s_and_saveexec_b32 s0, vcc_lo
	s_cbranch_execz .LBB50_117
.LBB50_186:
	ds_load_b32 v32, v30 offset:256
	s_wait_dscnt 0x0
	v_add_f32_e32 v4, v4, v32
	s_or_b32 exec_lo, exec_lo, s0
	s_and_saveexec_b32 s0, vcc_lo
	s_cbranch_execz .LBB50_118
.LBB50_187:
	ds_load_b32 v32, v30 offset:272
	s_wait_dscnt 0x0
	v_add_f32_e32 v5, v5, v32
	s_or_b32 exec_lo, exec_lo, s0
	s_and_saveexec_b32 s0, vcc_lo
	s_cbranch_execz .LBB50_119
.LBB50_188:
	ds_load_b32 v32, v30 offset:288
	s_wait_dscnt 0x0
	v_add_f32_e32 v2, v2, v32
	s_or_b32 exec_lo, exec_lo, s0
	s_and_saveexec_b32 s0, vcc_lo
	s_cbranch_execz .LBB50_120
.LBB50_189:
	ds_load_b32 v32, v30 offset:304
	s_wait_dscnt 0x0
	v_add_f32_e32 v3, v3, v32
	s_or_b32 exec_lo, exec_lo, s0
	s_and_saveexec_b32 s0, vcc_lo
	s_cbranch_execz .LBB50_121
.LBB50_190:
	ds_load_b32 v32, v30 offset:320
	s_wait_dscnt 0x0
	v_add_f32_e32 v0, v0, v32
	s_or_b32 exec_lo, exec_lo, s0
	s_and_saveexec_b32 s0, vcc_lo
	s_cbranch_execz .LBB50_122
.LBB50_191:
	ds_load_b32 v32, v30 offset:336
	s_wait_dscnt 0x0
	v_add_f32_e32 v1, v1, v32
	s_or_b32 exec_lo, exec_lo, s0
	s_and_saveexec_b32 s0, vcc_lo
	s_cbranch_execz .LBB50_123
.LBB50_192:
	ds_load_b32 v32, v30 offset:352
	s_wait_dscnt 0x0
	v_add_f32_e32 v22, v22, v32
	s_or_b32 exec_lo, exec_lo, s0
	s_and_saveexec_b32 s0, vcc_lo
	s_cbranch_execz .LBB50_124
.LBB50_193:
	ds_load_b32 v32, v30 offset:368
	s_wait_dscnt 0x0
	v_add_f32_e32 v23, v23, v32
	s_or_b32 exec_lo, exec_lo, s0
	s_and_saveexec_b32 s0, vcc_lo
	s_cbranch_execz .LBB50_125
.LBB50_194:
	ds_load_b32 v32, v30 offset:384
	s_wait_dscnt 0x0
	v_add_f32_e32 v16, v16, v32
	s_or_b32 exec_lo, exec_lo, s0
	s_and_saveexec_b32 s0, vcc_lo
	s_cbranch_execz .LBB50_126
.LBB50_195:
	ds_load_b32 v32, v30 offset:400
	s_wait_dscnt 0x0
	v_add_f32_e32 v17, v17, v32
	s_or_b32 exec_lo, exec_lo, s0
	s_and_saveexec_b32 s0, vcc_lo
	s_cbranch_execz .LBB50_127
.LBB50_196:
	ds_load_b32 v32, v30 offset:416
	s_wait_dscnt 0x0
	v_add_f32_e32 v12, v12, v32
	s_or_b32 exec_lo, exec_lo, s0
	s_and_saveexec_b32 s0, vcc_lo
	s_cbranch_execz .LBB50_128
.LBB50_197:
	ds_load_b32 v32, v30 offset:432
	s_wait_dscnt 0x0
	v_add_f32_e32 v13, v13, v32
	s_or_b32 exec_lo, exec_lo, s0
	s_and_saveexec_b32 s0, vcc_lo
	s_cbranch_execz .LBB50_129
.LBB50_198:
	ds_load_b32 v32, v30 offset:448
	s_wait_dscnt 0x0
	v_add_f32_e32 v28, v28, v32
	s_or_b32 exec_lo, exec_lo, s0
	s_and_saveexec_b32 s0, vcc_lo
	s_cbranch_execnz .LBB50_130
	s_branch .LBB50_131
.LBB50_199:
	ds_load_b32 v31, v30
	s_wait_dscnt 0x0
	v_add_f32_e32 v24, v24, v31
	s_or_b32 exec_lo, exec_lo, s0
	s_and_saveexec_b32 s0, vcc_lo
	s_cbranch_execz .LBB50_137
.LBB50_200:
	ds_load_b32 v31, v30 offset:16
	s_wait_dscnt 0x0
	v_add_f32_e32 v25, v25, v31
	s_or_b32 exec_lo, exec_lo, s0
	s_and_saveexec_b32 s0, vcc_lo
	s_cbranch_execz .LBB50_138
.LBB50_201:
	ds_load_b32 v31, v30 offset:32
	s_wait_dscnt 0x0
	v_add_f32_e32 v18, v18, v31
	s_or_b32 exec_lo, exec_lo, s0
	s_and_saveexec_b32 s0, vcc_lo
	s_cbranch_execz .LBB50_139
.LBB50_202:
	ds_load_b32 v31, v30 offset:48
	s_wait_dscnt 0x0
	v_add_f32_e32 v19, v19, v31
	s_or_b32 exec_lo, exec_lo, s0
	s_and_saveexec_b32 s0, vcc_lo
	s_cbranch_execz .LBB50_140
.LBB50_203:
	ds_load_b32 v31, v30 offset:64
	s_wait_dscnt 0x0
	v_add_f32_e32 v26, v26, v31
	s_or_b32 exec_lo, exec_lo, s0
	s_and_saveexec_b32 s0, vcc_lo
	s_cbranch_execz .LBB50_141
.LBB50_204:
	ds_load_b32 v31, v30 offset:80
	s_wait_dscnt 0x0
	v_add_f32_e32 v27, v27, v31
	s_or_b32 exec_lo, exec_lo, s0
	s_and_saveexec_b32 s0, vcc_lo
	s_cbranch_execz .LBB50_142
.LBB50_205:
	ds_load_b32 v31, v30 offset:96
	s_wait_dscnt 0x0
	v_add_f32_e32 v20, v20, v31
	s_or_b32 exec_lo, exec_lo, s0
	s_and_saveexec_b32 s0, vcc_lo
	s_cbranch_execz .LBB50_143
.LBB50_206:
	ds_load_b32 v31, v30 offset:112
	s_wait_dscnt 0x0
	v_add_f32_e32 v21, v21, v31
	s_or_b32 exec_lo, exec_lo, s0
	s_and_saveexec_b32 s0, vcc_lo
	s_cbranch_execz .LBB50_144
.LBB50_207:
	ds_load_b32 v31, v30 offset:128
	s_wait_dscnt 0x0
	v_add_f32_e32 v14, v14, v31
	s_or_b32 exec_lo, exec_lo, s0
	s_and_saveexec_b32 s0, vcc_lo
	s_cbranch_execz .LBB50_145
.LBB50_208:
	ds_load_b32 v31, v30 offset:144
	s_wait_dscnt 0x0
	v_add_f32_e32 v15, v15, v31
	s_or_b32 exec_lo, exec_lo, s0
	s_and_saveexec_b32 s0, vcc_lo
	s_cbranch_execz .LBB50_146
.LBB50_209:
	ds_load_b32 v31, v30 offset:160
	s_wait_dscnt 0x0
	v_add_f32_e32 v10, v10, v31
	s_or_b32 exec_lo, exec_lo, s0
	s_and_saveexec_b32 s0, vcc_lo
	s_cbranch_execz .LBB50_147
.LBB50_210:
	ds_load_b32 v31, v30 offset:176
	s_wait_dscnt 0x0
	v_add_f32_e32 v11, v11, v31
	s_or_b32 exec_lo, exec_lo, s0
	s_and_saveexec_b32 s0, vcc_lo
	s_cbranch_execz .LBB50_148
.LBB50_211:
	ds_load_b32 v31, v30 offset:192
	s_wait_dscnt 0x0
	v_add_f32_e32 v8, v8, v31
	s_or_b32 exec_lo, exec_lo, s0
	s_and_saveexec_b32 s0, vcc_lo
	s_cbranch_execz .LBB50_149
.LBB50_212:
	ds_load_b32 v31, v30 offset:208
	s_wait_dscnt 0x0
	v_add_f32_e32 v9, v9, v31
	s_or_b32 exec_lo, exec_lo, s0
	s_and_saveexec_b32 s0, vcc_lo
	s_cbranch_execz .LBB50_150
.LBB50_213:
	ds_load_b32 v31, v30 offset:224
	s_wait_dscnt 0x0
	v_add_f32_e32 v6, v6, v31
	s_or_b32 exec_lo, exec_lo, s0
	s_and_saveexec_b32 s0, vcc_lo
	s_cbranch_execz .LBB50_151
.LBB50_214:
	ds_load_b32 v31, v30 offset:240
	s_wait_dscnt 0x0
	v_add_f32_e32 v7, v7, v31
	s_or_b32 exec_lo, exec_lo, s0
	s_and_saveexec_b32 s0, vcc_lo
	s_cbranch_execz .LBB50_152
.LBB50_215:
	ds_load_b32 v31, v30 offset:256
	s_wait_dscnt 0x0
	v_add_f32_e32 v4, v4, v31
	s_or_b32 exec_lo, exec_lo, s0
	s_and_saveexec_b32 s0, vcc_lo
	s_cbranch_execz .LBB50_153
.LBB50_216:
	ds_load_b32 v31, v30 offset:272
	s_wait_dscnt 0x0
	v_add_f32_e32 v5, v5, v31
	s_or_b32 exec_lo, exec_lo, s0
	s_and_saveexec_b32 s0, vcc_lo
	s_cbranch_execz .LBB50_154
.LBB50_217:
	ds_load_b32 v31, v30 offset:288
	s_wait_dscnt 0x0
	v_add_f32_e32 v2, v2, v31
	s_or_b32 exec_lo, exec_lo, s0
	s_and_saveexec_b32 s0, vcc_lo
	s_cbranch_execz .LBB50_155
.LBB50_218:
	ds_load_b32 v31, v30 offset:304
	s_wait_dscnt 0x0
	v_add_f32_e32 v3, v3, v31
	s_or_b32 exec_lo, exec_lo, s0
	s_and_saveexec_b32 s0, vcc_lo
	s_cbranch_execz .LBB50_156
.LBB50_219:
	ds_load_b32 v31, v30 offset:320
	s_wait_dscnt 0x0
	v_add_f32_e32 v0, v0, v31
	s_or_b32 exec_lo, exec_lo, s0
	s_and_saveexec_b32 s0, vcc_lo
	s_cbranch_execz .LBB50_157
.LBB50_220:
	ds_load_b32 v31, v30 offset:336
	s_wait_dscnt 0x0
	v_add_f32_e32 v1, v1, v31
	s_or_b32 exec_lo, exec_lo, s0
	s_and_saveexec_b32 s0, vcc_lo
	s_cbranch_execz .LBB50_158
.LBB50_221:
	ds_load_b32 v31, v30 offset:352
	s_wait_dscnt 0x0
	v_add_f32_e32 v22, v22, v31
	s_or_b32 exec_lo, exec_lo, s0
	s_and_saveexec_b32 s0, vcc_lo
	s_cbranch_execz .LBB50_159
.LBB50_222:
	ds_load_b32 v31, v30 offset:368
	s_wait_dscnt 0x0
	v_add_f32_e32 v23, v23, v31
	s_or_b32 exec_lo, exec_lo, s0
	s_and_saveexec_b32 s0, vcc_lo
	s_cbranch_execz .LBB50_160
.LBB50_223:
	ds_load_b32 v31, v30 offset:384
	s_wait_dscnt 0x0
	v_add_f32_e32 v16, v16, v31
	s_or_b32 exec_lo, exec_lo, s0
	s_and_saveexec_b32 s0, vcc_lo
	s_cbranch_execz .LBB50_161
.LBB50_224:
	ds_load_b32 v31, v30 offset:400
	s_wait_dscnt 0x0
	v_add_f32_e32 v17, v17, v31
	s_or_b32 exec_lo, exec_lo, s0
	s_and_saveexec_b32 s0, vcc_lo
	s_cbranch_execz .LBB50_162
.LBB50_225:
	ds_load_b32 v31, v30 offset:416
	s_wait_dscnt 0x0
	v_add_f32_e32 v12, v12, v31
	s_or_b32 exec_lo, exec_lo, s0
	s_and_saveexec_b32 s0, vcc_lo
	s_cbranch_execz .LBB50_163
.LBB50_226:
	ds_load_b32 v31, v30 offset:432
	s_wait_dscnt 0x0
	v_add_f32_e32 v13, v13, v31
	s_or_b32 exec_lo, exec_lo, s0
	s_and_saveexec_b32 s0, vcc_lo
	s_cbranch_execz .LBB50_164
.LBB50_227:
	ds_load_b32 v31, v30 offset:448
	s_wait_dscnt 0x0
	v_add_f32_e32 v28, v28, v31
	s_or_b32 exec_lo, exec_lo, s0
	s_and_saveexec_b32 s0, vcc_lo
	s_cbranch_execnz .LBB50_165
	s_branch .LBB50_166
	.section	.rodata,"a",@progbits
	.p2align	6, 0x0
	.amdhsa_kernel _ZN4vllm25paged_attention_v1_kernelIffLi120ELi32ELi128ELNS_18Fp8KVCacheDataTypeE0ELb0EEEvPT_PKS2_PKT0_S8_ifPKiSA_iPKfiiiSC_SC_iiiii
		.amdhsa_group_segment_fixed_size 512
		.amdhsa_private_segment_fixed_size 176
		.amdhsa_kernarg_size 384
		.amdhsa_user_sgpr_count 2
		.amdhsa_user_sgpr_dispatch_ptr 0
		.amdhsa_user_sgpr_queue_ptr 0
		.amdhsa_user_sgpr_kernarg_segment_ptr 1
		.amdhsa_user_sgpr_dispatch_id 0
		.amdhsa_user_sgpr_kernarg_preload_length 0
		.amdhsa_user_sgpr_kernarg_preload_offset 0
		.amdhsa_user_sgpr_private_segment_size 0
		.amdhsa_wavefront_size32 1
		.amdhsa_uses_dynamic_stack 0
		.amdhsa_enable_private_segment 1
		.amdhsa_system_sgpr_workgroup_id_x 1
		.amdhsa_system_sgpr_workgroup_id_y 1
		.amdhsa_system_sgpr_workgroup_id_z 1
		.amdhsa_system_sgpr_workgroup_info 0
		.amdhsa_system_vgpr_workitem_id 0
		.amdhsa_next_free_vgpr 128
		.amdhsa_next_free_sgpr 28
		.amdhsa_named_barrier_count 0
		.amdhsa_reserve_vcc 1
		.amdhsa_float_round_mode_32 0
		.amdhsa_float_round_mode_16_64 0
		.amdhsa_float_denorm_mode_32 3
		.amdhsa_float_denorm_mode_16_64 3
		.amdhsa_fp16_overflow 0
		.amdhsa_memory_ordered 1
		.amdhsa_forward_progress 1
		.amdhsa_inst_pref_size 117
		.amdhsa_round_robin_scheduling 0
		.amdhsa_exception_fp_ieee_invalid_op 0
		.amdhsa_exception_fp_denorm_src 0
		.amdhsa_exception_fp_ieee_div_zero 0
		.amdhsa_exception_fp_ieee_overflow 0
		.amdhsa_exception_fp_ieee_underflow 0
		.amdhsa_exception_fp_ieee_inexact 0
		.amdhsa_exception_int_div_zero 0
	.end_amdhsa_kernel
	.section	.text._ZN4vllm25paged_attention_v1_kernelIffLi120ELi32ELi128ELNS_18Fp8KVCacheDataTypeE0ELb0EEEvPT_PKS2_PKT0_S8_ifPKiSA_iPKfiiiSC_SC_iiiii,"axG",@progbits,_ZN4vllm25paged_attention_v1_kernelIffLi120ELi32ELi128ELNS_18Fp8KVCacheDataTypeE0ELb0EEEvPT_PKS2_PKT0_S8_ifPKiSA_iPKfiiiSC_SC_iiiii,comdat
.Lfunc_end50:
	.size	_ZN4vllm25paged_attention_v1_kernelIffLi120ELi32ELi128ELNS_18Fp8KVCacheDataTypeE0ELb0EEEvPT_PKS2_PKT0_S8_ifPKiSA_iPKfiiiSC_SC_iiiii, .Lfunc_end50-_ZN4vllm25paged_attention_v1_kernelIffLi120ELi32ELi128ELNS_18Fp8KVCacheDataTypeE0ELb0EEEvPT_PKS2_PKT0_S8_ifPKiSA_iPKfiiiSC_SC_iiiii
                                        ; -- End function
	.set _ZN4vllm25paged_attention_v1_kernelIffLi120ELi32ELi128ELNS_18Fp8KVCacheDataTypeE0ELb0EEEvPT_PKS2_PKT0_S8_ifPKiSA_iPKfiiiSC_SC_iiiii.num_vgpr, 128
	.set _ZN4vllm25paged_attention_v1_kernelIffLi120ELi32ELi128ELNS_18Fp8KVCacheDataTypeE0ELb0EEEvPT_PKS2_PKT0_S8_ifPKiSA_iPKfiiiSC_SC_iiiii.num_agpr, 0
	.set _ZN4vllm25paged_attention_v1_kernelIffLi120ELi32ELi128ELNS_18Fp8KVCacheDataTypeE0ELb0EEEvPT_PKS2_PKT0_S8_ifPKiSA_iPKfiiiSC_SC_iiiii.numbered_sgpr, 28
	.set _ZN4vllm25paged_attention_v1_kernelIffLi120ELi32ELi128ELNS_18Fp8KVCacheDataTypeE0ELb0EEEvPT_PKS2_PKT0_S8_ifPKiSA_iPKfiiiSC_SC_iiiii.num_named_barrier, 0
	.set _ZN4vllm25paged_attention_v1_kernelIffLi120ELi32ELi128ELNS_18Fp8KVCacheDataTypeE0ELb0EEEvPT_PKS2_PKT0_S8_ifPKiSA_iPKfiiiSC_SC_iiiii.private_seg_size, 176
	.set _ZN4vllm25paged_attention_v1_kernelIffLi120ELi32ELi128ELNS_18Fp8KVCacheDataTypeE0ELb0EEEvPT_PKS2_PKT0_S8_ifPKiSA_iPKfiiiSC_SC_iiiii.uses_vcc, 1
	.set _ZN4vllm25paged_attention_v1_kernelIffLi120ELi32ELi128ELNS_18Fp8KVCacheDataTypeE0ELb0EEEvPT_PKS2_PKT0_S8_ifPKiSA_iPKfiiiSC_SC_iiiii.uses_flat_scratch, 1
	.set _ZN4vllm25paged_attention_v1_kernelIffLi120ELi32ELi128ELNS_18Fp8KVCacheDataTypeE0ELb0EEEvPT_PKS2_PKT0_S8_ifPKiSA_iPKfiiiSC_SC_iiiii.has_dyn_sized_stack, 0
	.set _ZN4vllm25paged_attention_v1_kernelIffLi120ELi32ELi128ELNS_18Fp8KVCacheDataTypeE0ELb0EEEvPT_PKS2_PKT0_S8_ifPKiSA_iPKfiiiSC_SC_iiiii.has_recursion, 0
	.set _ZN4vllm25paged_attention_v1_kernelIffLi120ELi32ELi128ELNS_18Fp8KVCacheDataTypeE0ELb0EEEvPT_PKS2_PKT0_S8_ifPKiSA_iPKfiiiSC_SC_iiiii.has_indirect_call, 0
	.section	.AMDGPU.csdata,"",@progbits
; Kernel info:
; codeLenInByte = 14912
; TotalNumSgprs: 30
; NumVgprs: 128
; ScratchSize: 176
; MemoryBound: 0
; FloatMode: 240
; IeeeMode: 1
; LDSByteSize: 512 bytes/workgroup (compile time only)
; SGPRBlocks: 0
; VGPRBlocks: 7
; NumSGPRsForWavesPerEU: 30
; NumVGPRsForWavesPerEU: 128
; NamedBarCnt: 0
; Occupancy: 8
; WaveLimiterHint : 1
; COMPUTE_PGM_RSRC2:SCRATCH_EN: 1
; COMPUTE_PGM_RSRC2:USER_SGPR: 2
; COMPUTE_PGM_RSRC2:TRAP_HANDLER: 0
; COMPUTE_PGM_RSRC2:TGID_X_EN: 1
; COMPUTE_PGM_RSRC2:TGID_Y_EN: 1
; COMPUTE_PGM_RSRC2:TGID_Z_EN: 1
; COMPUTE_PGM_RSRC2:TIDIG_COMP_CNT: 0
	.section	.text._ZN4vllm25paged_attention_v1_kernelIffLi128ELi32ELi128ELNS_18Fp8KVCacheDataTypeE0ELb0EEEvPT_PKS2_PKT0_S8_ifPKiSA_iPKfiiiSC_SC_iiiii,"axG",@progbits,_ZN4vllm25paged_attention_v1_kernelIffLi128ELi32ELi128ELNS_18Fp8KVCacheDataTypeE0ELb0EEEvPT_PKS2_PKT0_S8_ifPKiSA_iPKfiiiSC_SC_iiiii,comdat
	.protected	_ZN4vllm25paged_attention_v1_kernelIffLi128ELi32ELi128ELNS_18Fp8KVCacheDataTypeE0ELb0EEEvPT_PKS2_PKT0_S8_ifPKiSA_iPKfiiiSC_SC_iiiii ; -- Begin function _ZN4vllm25paged_attention_v1_kernelIffLi128ELi32ELi128ELNS_18Fp8KVCacheDataTypeE0ELb0EEEvPT_PKS2_PKT0_S8_ifPKiSA_iPKfiiiSC_SC_iiiii
	.globl	_ZN4vllm25paged_attention_v1_kernelIffLi128ELi32ELi128ELNS_18Fp8KVCacheDataTypeE0ELb0EEEvPT_PKS2_PKT0_S8_ifPKiSA_iPKfiiiSC_SC_iiiii
	.p2align	8
	.type	_ZN4vllm25paged_attention_v1_kernelIffLi128ELi32ELi128ELNS_18Fp8KVCacheDataTypeE0ELb0EEEvPT_PKS2_PKT0_S8_ifPKiSA_iPKfiiiSC_SC_iiiii,@function
_ZN4vllm25paged_attention_v1_kernelIffLi128ELi32ELi128ELNS_18Fp8KVCacheDataTypeE0ELb0EEEvPT_PKS2_PKT0_S8_ifPKiSA_iPKfiiiSC_SC_iiiii: ; @_ZN4vllm25paged_attention_v1_kernelIffLi128ELi32ELi128ELNS_18Fp8KVCacheDataTypeE0ELb0EEEvPT_PKS2_PKT0_S8_ifPKiSA_iPKfiiiSC_SC_iiiii
; %bb.0:
	s_load_b64 s[6:7], s[0:1], 0x20
	s_bfe_u32 s3, ttmp6, 0x4000c
	s_bfe_u32 s5, ttmp6, 0x40010
	s_and_b32 s4, ttmp7, 0xffff
	s_add_co_i32 s3, s3, 1
	s_add_co_i32 s5, s5, 1
	s_and_b32 s2, ttmp6, 15
	s_bfe_u32 s8, ttmp6, 0x40004
	s_mul_i32 s3, ttmp9, s3
	s_mul_i32 s5, s4, s5
	s_getreg_b32 s20, hwreg(HW_REG_IB_STS2, 6, 4)
	s_add_co_i32 s9, s2, s3
	s_add_co_i32 s8, s8, s5
	s_cmp_eq_u32 s20, 0
	v_mov_b32_e32 v22, v0
	s_cselect_b32 s22, s4, s8
	s_cselect_b32 s8, ttmp9, s9
	s_clause 0x1
	s_load_b32 s21, s[0:1], 0x80
	s_load_b64 s[2:3], s[0:1], 0x30
	s_wait_kmcnt 0x0
	s_abs_i32 s4, s6
	s_delay_alu instid0(SALU_CYCLE_1) | instskip(SKIP_1) | instid1(SALU_CYCLE_2)
	s_cvt_f32_u32 s5, s4
	s_sub_co_i32 s9, 0, s4
	v_rcp_iflag_f32_e32 v0, s5
	v_nop
	s_delay_alu instid0(TRANS32_DEP_1) | instskip(SKIP_4) | instid1(SALU_CYCLE_2)
	v_readfirstlane_b32 s5, v0
	s_abs_i32 s10, s21
	s_xor_b32 s6, s21, s6
	s_mul_f32 s5, s5, 0x4f7ffffe
	s_ashr_i32 s6, s6, 31
	s_cvt_u32_f32 s5, s5
	s_delay_alu instid0(SALU_CYCLE_3) | instskip(NEXT) | instid1(SALU_CYCLE_1)
	s_mul_i32 s9, s9, s5
	s_mul_hi_u32 s9, s5, s9
	s_delay_alu instid0(SALU_CYCLE_1) | instskip(NEXT) | instid1(SALU_CYCLE_1)
	s_add_co_i32 s5, s5, s9
	s_mul_hi_u32 s5, s10, s5
	s_delay_alu instid0(SALU_CYCLE_1) | instskip(NEXT) | instid1(SALU_CYCLE_1)
	s_mul_i32 s9, s5, s4
	s_sub_co_i32 s9, s10, s9
	s_add_co_i32 s10, s5, 1
	s_sub_co_i32 s11, s9, s4
	s_cmp_ge_u32 s9, s4
	s_cselect_b32 s5, s10, s5
	s_cselect_b32 s9, s11, s9
	s_add_co_i32 s10, s5, 1
	s_cmp_ge_u32 s9, s4
	s_mov_b32 s11, 0
	s_cselect_b32 s4, s10, s5
	s_abs_i32 s10, s8
	s_xor_b32 s4, s4, s6
	s_mov_b32 s13, s11
	s_sub_co_i32 s14, s4, s6
	s_mov_b32 s18, s11
	s_abs_i32 s16, s14
	s_delay_alu instid0(SALU_CYCLE_1) | instskip(SKIP_1) | instid1(SALU_CYCLE_2)
	s_cvt_f32_u32 s4, s16
	s_sub_co_i32 s9, 0, s16
	v_rcp_iflag_f32_e32 v0, s4
	s_load_b64 s[4:5], s[0:1], 0x40
	v_nop
	s_delay_alu instid0(TRANS32_DEP_1) | instskip(SKIP_1) | instid1(SALU_CYCLE_3)
	v_readfirstlane_b32 s6, v0
	s_mul_f32 s6, s6, 0x4f7ffffe
	s_cvt_u32_f32 s6, s6
	s_delay_alu instid0(SALU_CYCLE_3) | instskip(NEXT) | instid1(SALU_CYCLE_1)
	s_mul_i32 s9, s9, s6
	s_mul_hi_u32 s9, s6, s9
	s_delay_alu instid0(SALU_CYCLE_1)
	s_add_co_i32 s12, s6, s9
	s_wait_kmcnt 0x0
	s_cmp_eq_u64 s[4:5], 0
	s_cbranch_scc1 .LBB51_2
; %bb.1:
	s_ashr_i32 s9, s8, 31
	s_delay_alu instid0(SALU_CYCLE_1) | instskip(NEXT) | instid1(SALU_CYCLE_1)
	s_lshl_b64 s[18:19], s[8:9], 2
	s_add_nc_u64 s[4:5], s[4:5], s[18:19]
	s_load_b32 s18, s[4:5], 0x0
.LBB51_2:
	s_load_b32 s23, s[2:3], s22 offset:0x0 scale_offset
	s_wait_xcnt 0x0
	s_load_b96 s[4:6], s[0:1], 0x48
	v_cmp_gt_u32_e64 s2, 32, v22
	s_ashr_i32 s3, s8, 31
	s_ashr_i32 s17, s14, 31
	s_mul_u64 s[14:15], s[10:11], s[12:13]
	s_lshl_b32 s8, s8, 7
	s_and_saveexec_b32 s11, s2
	s_cbranch_execz .LBB51_4
; %bb.3:
	s_load_b64 s[12:13], s[0:1], 0x8
	s_wait_kmcnt 0x0
	s_mul_i32 s24, s4, s22
	s_ashr_i32 s9, s8, 31
	s_ashr_i32 s25, s24, 31
	v_lshlrev_b32_e32 v4, 4, v22
	s_lshl_b64 s[24:25], s[24:25], 2
	s_delay_alu instid0(SALU_CYCLE_1) | instskip(SKIP_1) | instid1(SALU_CYCLE_1)
	s_add_nc_u64 s[12:13], s[12:13], s[24:25]
	s_lshl_b64 s[24:25], s[8:9], 2
	s_add_nc_u64 s[12:13], s[12:13], s[24:25]
	global_load_b128 v[0:3], v22, s[12:13] scale_offset
	s_wait_loadcnt 0x0
	ds_store_b128 v4, v[0:3]
.LBB51_4:
	s_or_b32 exec_lo, exec_lo, s11
	s_wait_kmcnt 0x0
	s_add_co_i32 s4, s23, 31
	s_load_b32 s11, s[0:1], 0x38
	s_ashr_i32 s9, s4, 31
	s_mul_i32 s12, s15, s16
	s_lshr_b32 s9, s9, 27
	s_sub_co_i32 s10, s10, s12
	s_add_co_i32 s4, s4, s9
	s_clause 0x1
	s_load_b64 s[12:13], s[0:1], 0x28
	s_load_b32 s9, s[0:1], 0x88
	s_xor_b32 s3, s3, s17
	s_ashr_i32 s24, s4, 5
	s_add_co_i32 s4, s15, 1
	s_sub_co_i32 s14, s10, s16
	s_cmp_ge_u32 s10, s16
	v_dual_lshrrev_b32 v0, 5, v22 :: v_dual_bitop2_b32 v6, 31, v22 bitop3:0x40
	s_cselect_b32 s4, s4, s15
	s_cselect_b32 s10, s14, s10
	s_add_co_i32 s14, s4, 1
	s_cmp_ge_u32 s10, s16
	v_dual_mov_b32 v7, 0xff7fffff :: v_dual_lshlrev_b32 v8, 2, v6
	s_cselect_b32 s4, s14, s4
	v_lshrrev_b32_e32 v10, 3, v22
	s_xor_b32 s4, s4, s3
	s_wait_kmcnt 0x0
	s_mul_i32 s14, s11, s22
	s_sub_co_i32 s4, s4, s3
	v_cmp_gt_i32_e64 s3, s24, v0
	s_ashr_i32 s15, s14, 31
	s_mul_i32 s16, s4, s6
	s_wait_dscnt 0x0
	s_barrier_signal -1
	scratch_store_b32 off, v0, off offset:200 ; 4-byte Folded Spill
	s_barrier_wait -1
	s_wait_storecnt 0x0
	s_wait_xcnt 0x0
	s_mov_b32 s6, exec_lo
	s_delay_alu instid0(SALU_CYCLE_1)
	s_and_b32 s4, s6, s3
	s_clause 0x1
	scratch_store_b32 off, v6, off offset:212
	scratch_store_b32 off, v22, off offset:204
	s_wait_xcnt 0x0
	s_mov_b32 exec_lo, s4
	s_cbranch_execz .LBB51_8
; %bb.5:
	s_load_b64 s[26:27], s[0:1], 0x10
	s_ashr_i32 s17, s16, 31
	v_dual_mov_b32 v1, 0 :: v_dual_lshlrev_b32 v0, 4, v6
	s_lshl_b64 s[28:29], s[16:17], 2
	s_ashr_i32 s11, s5, 31
	s_cmp_neq_f32 s18, 0
	v_mov_b32_e32 v7, 0xff7fffff
	s_mov_b32 s10, s5
	s_mov_b32 s17, 0
	s_cselect_b32 vcc_lo, -1, 0
	s_sub_co_i32 s19, 1, s23
	s_wait_kmcnt 0x0
	s_add_nc_u64 s[26:27], s[26:27], s[28:29]
	s_delay_alu instid0(SALU_CYCLE_1) | instskip(SKIP_1) | instid1(SALU_CYCLE_1)
	v_add_nc_u64_e32 v[2:3], s[26:27], v[0:1]
	s_lshl_b64 s[26:27], s[14:15], 2
	s_add_nc_u64 s[26:27], s[12:13], s[26:27]
	scratch_store_b64 off, v[2:3], off      ; 8-byte Folded Spill
	s_wait_xcnt 0x0
	ds_load_b128 v[2:5], v1
	s_wait_dscnt 0x0
	scratch_store_b128 off, v[2:5], off offset:16 ; 16-byte Folded Spill
	s_wait_xcnt 0x0
	ds_load_b128 v[2:5], v1 offset:16
	s_wait_dscnt 0x0
	scratch_store_b128 off, v[2:5], off offset:32 ; 16-byte Folded Spill
	s_wait_xcnt 0x0
	ds_load_b128 v[2:5], v1 offset:32
	;; [unrolled: 4-line block ×4, first 2 shown]
	s_wait_dscnt 0x0
	scratch_store_b128 off, v[2:5], off offset:80 ; 16-byte Folded Spill
	ds_load_b128 v[22:25], v1 offset:80
	ds_load_b128 v[26:29], v1 offset:96
	;; [unrolled: 1-line block ×26, first 2 shown]
	s_wait_xcnt 0x0
	ds_load_b128 v[2:5], v1 offset:496
	s_clause 0x2
	scratch_load_b32 v9, off, off offset:200
	scratch_store_b32 off, v8, off offset:104
	scratch_store_b32 off, v10, off offset:96
	s_wait_loadcnt 0x0
	v_lshl_or_b32 v0, v9, 7, v8
	v_lshl_or_b32 v6, v9, 5, v6
	s_wait_xcnt 0x1
	s_delay_alu instid0(VALU_DEP_2) | instskip(SKIP_1) | instid1(VALU_DEP_1)
	v_add_nc_u32_e32 v8, 0x220, v0
	v_and_b32_e32 v0, 0x7c, v10
	v_add_nc_u64_e32 v[126:127], s[26:27], v[0:1]
.LBB51_6:                               ; =>This Inner Loop Header: Depth=1
	global_load_b32 v0, v[126:127], off
	scratch_load_b64 v[10:11], off, off     ; 8-byte Folded Reload
	v_cmp_gt_i32_e64 s4, s23, v6
	v_add_nc_u32_e32 v9, 4, v9
	s_wait_xcnt 0x1
	v_add_nc_u64_e32 v[126:127], 16, v[126:127]
	s_wait_loadcnt 0x1
	v_ashrrev_i32_e32 v1, 31, v0
	s_delay_alu instid0(VALU_DEP_1) | instskip(SKIP_1) | instid1(VALU_DEP_1)
	v_mul_u64_e32 v[0:1], s[10:11], v[0:1]
	s_wait_loadcnt 0x0
	v_lshl_add_u64 v[0:1], v[0:1], 2, v[10:11]
	global_load_b128 v[10:13], v[0:1], off offset:512
	scratch_load_b128 v[14:17], off, off offset:32 ; 16-byte Folded Reload
	s_wait_loadcnt 0x0
	v_pk_mul_f32 v[14:15], v[14:15], v[10:11]
	v_pk_mul_f32 v[16:17], v[16:17], v[12:13]
	global_load_b128 v[10:13], v[0:1], off
	scratch_load_b128 v[18:21], off, off offset:16 ; 16-byte Folded Reload
	s_wait_loadcnt 0x0
	v_pk_fma_f32 v[14:15], v[18:19], v[10:11], v[14:15]
	v_pk_fma_f32 v[16:17], v[20:21], v[12:13], v[16:17]
	global_load_b128 v[10:13], v[0:1], off offset:1024
	scratch_load_b128 v[18:21], off, off offset:48 ; 16-byte Folded Reload
	s_wait_loadcnt 0x0
	v_pk_fma_f32 v[14:15], v[18:19], v[10:11], v[14:15]
	v_pk_fma_f32 v[16:17], v[20:21], v[12:13], v[16:17]
	global_load_b128 v[10:13], v[0:1], off offset:1536
	;; [unrolled: 5-line block ×4, first 2 shown]
	s_wait_loadcnt_dscnt 0x1a
	v_pk_fma_f32 v[14:15], v[22:23], v[10:11], v[14:15]
	v_pk_fma_f32 v[16:17], v[24:25], v[12:13], v[16:17]
	global_load_b128 v[10:13], v[0:1], off offset:3072
	s_wait_loadcnt_dscnt 0x19
	v_pk_fma_f32 v[14:15], v[26:27], v[10:11], v[14:15]
	v_pk_fma_f32 v[16:17], v[28:29], v[12:13], v[16:17]
	global_load_b128 v[10:13], v[0:1], off offset:3584
	;; [unrolled: 4-line block ×26, first 2 shown]
	s_wait_loadcnt_dscnt 0x0
	s_wait_xcnt 0x0
	v_pk_fma_f32 v[0:1], v[2:3], v[10:11], v[14:15]
	v_pk_fma_f32 v[10:11], v[4:5], v[12:13], v[16:17]
	s_delay_alu instid0(VALU_DEP_2) | instskip(SKIP_1) | instid1(VALU_DEP_2)
	v_dual_add_f32 v0, v0, v1 :: v_dual_add_nc_u32 v1, s19, v6
	v_add_nc_u32_e32 v6, 0x80, v6
	v_add_f32_e32 v0, v10, v0
	s_delay_alu instid0(VALU_DEP_3) | instskip(NEXT) | instid1(VALU_DEP_1)
	v_cvt_f32_i32_e32 v1, v1
	v_dual_add_f32 v0, v11, v0 :: v_dual_mul_f32 v1, s18, v1
	s_delay_alu instid0(VALU_DEP_1) | instskip(NEXT) | instid1(VALU_DEP_1)
	v_cndmask_b32_e32 v1, 0, v1, vcc_lo
	v_dual_fmac_f32 v1, s7, v0 :: v_dual_max_num_f32 v0, v7, v7
	s_delay_alu instid0(VALU_DEP_1) | instskip(NEXT) | instid1(VALU_DEP_1)
	v_max_num_f32_e32 v0, v0, v1
	v_dual_cndmask_b32 v7, v7, v0, s4 :: v_dual_cndmask_b32 v1, 0, v1, s4
	v_cmp_le_i32_e64 s4, s24, v9
	ds_store_b32 v8, v1
	v_add_nc_u32_e32 v8, 0x200, v8
	s_or_b32 s17, s4, s17
	s_delay_alu instid0(SALU_CYCLE_1)
	s_and_not1_b32 exec_lo, exec_lo, s17
	s_cbranch_execnz .LBB51_6
; %bb.7:
	s_or_b32 exec_lo, exec_lo, s17
	s_clause 0x3
	scratch_load_b32 v22, off, off offset:204
	scratch_load_b32 v6, off, off offset:212
	;; [unrolled: 1-line block ×4, first 2 shown]
.LBB51_8:
	s_wait_xcnt 0x0
	s_or_b32 exec_lo, exec_lo, s6
	v_mbcnt_lo_u32_b32 v2, -1, 0
	s_clause 0x1
	s_load_b64 s[6:7], s[0:1], 0x0
	s_load_b64 s[18:19], s[0:1], 0x18
	s_delay_alu instid0(VALU_DEP_1) | instskip(SKIP_1) | instid1(VALU_DEP_2)
	v_dual_max_num_f32 v4, v7, v7 :: v_dual_bitop2_b32 v0, 16, v2 bitop3:0x14
	v_xor_b32_e32 v3, 8, v2
	v_cmp_gt_i32_e32 vcc_lo, 32, v0
	v_cndmask_b32_e32 v0, v2, v0, vcc_lo
	s_delay_alu instid0(VALU_DEP_3) | instskip(NEXT) | instid1(VALU_DEP_2)
	v_cmp_gt_i32_e32 vcc_lo, 32, v3
	v_dual_cndmask_b32 v3, v2, v3 :: v_dual_lshlrev_b32 v0, 2, v0
	ds_bpermute_b32 v1, v0, v7
	s_wait_dscnt 0x0
	v_dual_max_num_f32 v5, v1, v1 :: v_dual_lshlrev_b32 v1, 2, v3
	s_delay_alu instid0(VALU_DEP_1) | instskip(SKIP_4) | instid1(VALU_DEP_1)
	v_dual_max_num_f32 v3, v4, v5 :: v_dual_bitop2_b32 v5, 4, v2 bitop3:0x14
	ds_bpermute_b32 v4, v1, v3
	v_cmp_gt_i32_e32 vcc_lo, 32, v5
	s_wait_dscnt 0x0
	v_dual_cndmask_b32 v5, v2, v5 :: v_dual_max_num_f32 v4, v4, v4
	v_dual_lshlrev_b32 v5, 2, v5 :: v_dual_max_num_f32 v3, v3, v4
	scratch_store_b32 off, v5, off offset:208 ; 4-byte Folded Spill
	ds_bpermute_b32 v4, v5, v3
	s_wait_dscnt 0x0
	s_wait_xcnt 0x0
	v_dual_max_num_f32 v4, v4, v4 :: v_dual_bitop2_b32 v5, 2, v2 bitop3:0x14
	s_delay_alu instid0(VALU_DEP_1) | instskip(NEXT) | instid1(VALU_DEP_2)
	v_cmp_gt_i32_e32 vcc_lo, 32, v5
	v_dual_max_num_f32 v3, v3, v4 :: v_dual_cndmask_b32 v5, v2, v5, vcc_lo
	s_delay_alu instid0(VALU_DEP_1)
	v_dual_lshlrev_b32 v24, 2, v5 :: v_dual_bitop2_b32 v5, 1, v2 bitop3:0x14
	ds_bpermute_b32 v4, v24, v3
	v_cmp_gt_i32_e32 vcc_lo, 32, v5
	v_cndmask_b32_e32 v2, v2, v5, vcc_lo
	s_wait_loadcnt 0x2
	v_cmp_eq_u32_e32 vcc_lo, 0, v6
	s_delay_alu instid0(VALU_DEP_2) | instskip(SKIP_3) | instid1(VALU_DEP_1)
	v_lshlrev_b32_e32 v23, 2, v2
	scratch_load_b32 v2, off, off offset:200 ; 4-byte Folded Reload
	s_wait_dscnt 0x0
	v_max_num_f32_e32 v4, v4, v4
	v_max_num_f32_e32 v3, v3, v4
	ds_bpermute_b32 v4, v23, v3
	s_wait_loadcnt 0x0
	v_lshlrev_b32_e32 v2, 2, v2
	s_wait_xcnt 0x0
	s_and_saveexec_b32 s0, vcc_lo
	s_cbranch_execz .LBB51_10
; %bb.9:
	s_wait_dscnt 0x0
	v_dual_max_num_f32 v4, v4, v4 :: v_dual_max_num_f32 v3, v3, v3
	s_delay_alu instid0(VALU_DEP_1)
	v_max_num_f32_e32 v3, v3, v4
	ds_store_b32 v2, v3 offset:512
.LBB51_10:
	s_or_b32 exec_lo, exec_lo, s0
	v_cmp_gt_u32_e64 s0, 4, v6
	v_mov_b32_e32 v3, 0xff7fffff
	s_wait_storecnt_dscnt 0x0
	s_barrier_signal -1
	s_barrier_wait -1
	s_and_saveexec_b32 s1, s0
; %bb.11:
	ds_load_b32 v3, v8 offset:512
; %bb.12:
	s_or_b32 exec_lo, exec_lo, s1
	s_wait_dscnt 0x0
	ds_bpermute_b32 v4, v24, v3
	v_max_num_f32_e32 v3, v3, v3
	s_lshl_b32 s1, s24, 5
	s_delay_alu instid0(SALU_CYCLE_1) | instskip(NEXT) | instid1(SALU_CYCLE_1)
	s_min_i32 s10, s1, s23
	v_cmp_gt_i32_e64 s1, s10, v22
	s_wait_dscnt 0x0
	v_max_num_f32_e32 v4, v4, v4
	s_delay_alu instid0(VALU_DEP_1) | instskip(SKIP_3) | instid1(VALU_DEP_1)
	v_max_num_f32_e32 v3, v3, v4
	ds_bpermute_b32 v4, v23, v3
	s_wait_dscnt 0x0
	v_max_num_f32_e32 v4, v4, v4
	v_dual_max_num_f32 v4, v3, v4 :: v_dual_mov_b32 v3, 0
	ds_bpermute_b32 v4, v3, v4
	s_and_saveexec_b32 s11, s1
	s_cbranch_execz .LBB51_16
; %bb.13:
	v_lshl_add_u32 v5, v22, 2, 0x220
	v_dual_mov_b32 v3, 0 :: v_dual_mov_b32 v6, v22
	s_mov_b32 s17, 0
.LBB51_14:                              ; =>This Inner Loop Header: Depth=1
	ds_load_b32 v7, v5
	v_add_nc_u32_e32 v6, 0x80, v6
	s_delay_alu instid0(VALU_DEP_1) | instskip(SKIP_3) | instid1(VALU_DEP_1)
	v_cmp_le_i32_e64 s4, s10, v6
	s_or_b32 s17, s4, s17
	s_wait_dscnt 0x0
	v_sub_f32_e32 v7, v7, v4
	v_mul_f32_e32 v7, 0x3fb8aa3b, v7
	s_delay_alu instid0(VALU_DEP_1)
	v_exp_f32_e32 v7, v7
	ds_store_b32 v5, v7
	v_nop
	v_add_f32_e32 v3, v3, v7
	v_add_nc_u32_e32 v5, 0x200, v5
	s_and_not1_b32 exec_lo, exec_lo, s17
	s_cbranch_execnz .LBB51_14
; %bb.15:
	s_or_b32 exec_lo, exec_lo, s17
.LBB51_16:
	s_delay_alu instid0(SALU_CYCLE_1)
	s_or_b32 exec_lo, exec_lo, s11
	ds_bpermute_b32 v0, v0, v3
	s_wait_dscnt 0x0
	v_add_f32_e32 v0, v3, v0
	ds_bpermute_b32 v1, v1, v0
	s_wait_dscnt 0x0
	v_add_f32_e32 v0, v0, v1
	scratch_load_b32 v1, off, off offset:208 ; 4-byte Folded Reload
	s_wait_loadcnt 0x0
	ds_bpermute_b32 v1, v1, v0
	s_wait_dscnt 0x0
	v_add_f32_e32 v0, v0, v1
	ds_bpermute_b32 v1, v24, v0
	s_wait_dscnt 0x0
	v_add_f32_e32 v0, v0, v1
	;; [unrolled: 3-line block ×3, first 2 shown]
	s_and_saveexec_b32 s4, vcc_lo
; %bb.17:
	ds_store_b32 v2, v0 offset:528
; %bb.18:
	s_or_b32 exec_lo, exec_lo, s4
	s_wait_dscnt 0x0
	s_barrier_signal -1
	s_barrier_wait -1
	s_and_saveexec_b32 s4, s0
; %bb.19:
	ds_load_b32 v0, v8 offset:528
; %bb.20:
	s_or_b32 exec_lo, exec_lo, s4
	s_wait_dscnt 0x0
	ds_bpermute_b32 v1, v24, v0
	s_wait_dscnt 0x0
	v_dual_mov_b32 v25, 0 :: v_dual_add_f32 v0, v0, v1
	ds_bpermute_b32 v1, v23, v0
	s_wait_dscnt 0x0
	v_add_f32_e32 v0, v0, v1
	ds_bpermute_b32 v0, v25, v0
	s_and_saveexec_b32 s0, s1
	s_cbranch_execz .LBB51_33
; %bb.21:
	s_wait_dscnt 0x0
	v_add_f32_e32 v0, 0x358637bd, v0
	s_mov_b32 s4, -1
	s_mov_b32 s1, exec_lo
	s_delay_alu instid0(VALU_DEP_1) | instskip(NEXT) | instid1(VALU_DEP_1)
	v_div_scale_f32 v1, null, v0, v0, 1.0
	v_rcp_f32_e32 v3, v1
	v_nop
	s_delay_alu instid0(TRANS32_DEP_1) | instskip(NEXT) | instid1(VALU_DEP_1)
	v_fma_f32 v2, -v1, v3, 1.0
	v_fmac_f32_e32 v3, v2, v3
	v_div_scale_f32 v4, vcc_lo, 1.0, v0, 1.0
	s_delay_alu instid0(VALU_DEP_1) | instskip(NEXT) | instid1(VALU_DEP_1)
	v_mul_f32_e32 v5, v4, v3
	v_fma_f32 v2, -v1, v5, v4
	s_delay_alu instid0(VALU_DEP_1) | instskip(SKIP_1) | instid1(VALU_DEP_2)
	v_fmac_f32_e32 v5, v2, v3
	v_xad_u32 v2, v22, -1, s10
	v_fma_f32 v1, -v1, v5, v4
	s_delay_alu instid0(VALU_DEP_1) | instskip(NEXT) | instid1(VALU_DEP_1)
	v_div_fmas_f32 v1, v1, v3, v5
	v_div_fixup_f32 v0, v1, v0, 1.0
	v_mov_b32_e32 v1, v22
	v_cmpx_lt_u32_e32 0x7f, v2
	s_cbranch_execz .LBB51_30
; %bb.22:
	s_delay_alu instid0(VALU_DEP_3) | instskip(NEXT) | instid1(VALU_DEP_1)
	v_dual_mov_b32 v1, v0 :: v_dual_lshrrev_b32 v2, 7, v2
	v_dual_mov_b32 v6, 0 :: v_dual_add_nc_u32 v3, -1, v2
	s_delay_alu instid0(VALU_DEP_1) | instskip(SKIP_1) | instid1(VALU_DEP_2)
	v_lshrrev_b32_e32 v4, 1, v3
	v_cmp_lt_u32_e32 vcc_lo, 13, v3
	v_add_nc_u32_e32 v3, 1, v4
	s_and_saveexec_b32 s4, vcc_lo
	s_cbranch_execz .LBB51_26
; %bb.23:
	s_delay_alu instid0(VALU_DEP_1)
	v_dual_mov_b32 v26, v10 :: v_dual_bitop2_b32 v4, -8, v3 bitop3:0x40
	v_lshl_add_u32 v5, v22, 2, 0x220
	s_mov_b32 s11, 0
	s_mov_b32 s17, 0
.LBB51_24:                              ; =>This Inner Loop Header: Depth=1
	ds_load_2addr_stride64_b32 v[6:7], v5 offset1:2
	ds_load_2addr_stride64_b32 v[8:9], v5 offset0:4 offset1:6
	ds_load_2addr_stride64_b32 v[10:11], v5 offset0:8 offset1:10
	;; [unrolled: 1-line block ×7, first 2 shown]
	s_add_co_i32 s17, s17, 16
	v_add_nc_u32_e32 v4, -8, v4
	s_wait_dscnt 0x7
	v_pk_mul_f32 v[6:7], v[0:1], v[6:7]
	s_wait_dscnt 0x6
	v_pk_mul_f32 v[8:9], v[0:1], v[8:9]
	s_wait_dscnt 0x5
	v_pk_mul_f32 v[10:11], v[0:1], v[10:11]
	s_wait_dscnt 0x4
	v_pk_mul_f32 v[12:13], v[0:1], v[12:13]
	s_wait_dscnt 0x3
	v_pk_mul_f32 v[14:15], v[0:1], v[14:15]
	s_wait_dscnt 0x2
	v_pk_mul_f32 v[16:17], v[0:1], v[16:17]
	s_wait_dscnt 0x1
	v_pk_mul_f32 v[18:19], v[0:1], v[18:19]
	s_wait_dscnt 0x0
	v_pk_mul_f32 v[20:21], v[0:1], v[20:21]
	ds_store_2addr_stride64_b32 v5, v6, v7 offset1:2
	ds_store_2addr_stride64_b32 v5, v8, v9 offset0:4 offset1:6
	ds_store_2addr_stride64_b32 v5, v10, v11 offset0:8 offset1:10
	;; [unrolled: 1-line block ×7, first 2 shown]
	v_mov_b32_e32 v6, s17
	v_cmp_eq_u32_e32 vcc_lo, 0, v4
	v_add_nc_u32_e32 v5, 0x2000, v5
	s_or_b32 s11, vcc_lo, s11
	s_delay_alu instid0(SALU_CYCLE_1)
	s_and_not1_b32 exec_lo, exec_lo, s11
	s_cbranch_execnz .LBB51_24
; %bb.25:
	s_or_b32 exec_lo, exec_lo, s11
	v_mov_b32_e32 v10, v26
.LBB51_26:
	s_or_b32 exec_lo, exec_lo, s4
	s_delay_alu instid0(VALU_DEP_1) | instskip(SKIP_2) | instid1(VALU_DEP_1)
	v_and_b32_e32 v3, 7, v3
	s_mov_b32 s11, 0
	s_mov_b32 s4, exec_lo
	v_cmpx_ne_u32_e32 0, v3
	s_cbranch_execz .LBB51_29
; %bb.27:
	v_lshlrev_b32_e32 v4, 9, v6
	v_lshlrev_b32_e32 v5, 2, v22
	s_delay_alu instid0(VALU_DEP_1)
	v_add3_u32 v4, v4, v5, 0x220
.LBB51_28:                              ; =>This Inner Loop Header: Depth=1
	ds_load_2addr_stride64_b32 v[6:7], v4 offset1:2
	v_add_nc_u32_e32 v3, -1, v3
	s_delay_alu instid0(VALU_DEP_1)
	v_cmp_eq_u32_e32 vcc_lo, 0, v3
	s_or_b32 s11, vcc_lo, s11
	s_wait_dscnt 0x0
	v_pk_mul_f32 v[6:7], v[0:1], v[6:7]
	ds_store_2addr_stride64_b32 v4, v6, v7 offset1:2
	v_add_nc_u32_e32 v4, 0x400, v4
	s_and_not1_b32 exec_lo, exec_lo, s11
	s_cbranch_execnz .LBB51_28
.LBB51_29:
	s_or_b32 exec_lo, exec_lo, s4
	v_add_nc_u32_e32 v1, 1, v2
	s_delay_alu instid0(VALU_DEP_1) | instskip(NEXT) | instid1(VALU_DEP_1)
	v_and_b32_e32 v2, 0x3fffffe, v1
	v_cmp_ne_u32_e32 vcc_lo, v1, v2
	v_lshl_add_u32 v1, v2, 7, v22
	s_or_not1_b32 s4, vcc_lo, exec_lo
.LBB51_30:
	s_or_b32 exec_lo, exec_lo, s1
	s_delay_alu instid0(SALU_CYCLE_1)
	s_and_b32 exec_lo, exec_lo, s4
	s_cbranch_execz .LBB51_33
; %bb.31:
	v_lshl_add_u32 v2, v1, 2, 0x220
	s_mov_b32 s1, 0
.LBB51_32:                              ; =>This Inner Loop Header: Depth=1
	ds_load_b32 v3, v2
	v_add_nc_u32_e32 v1, 0x80, v1
	s_delay_alu instid0(VALU_DEP_1)
	v_cmp_le_i32_e32 vcc_lo, s10, v1
	s_or_b32 s1, vcc_lo, s1
	s_wait_dscnt 0x0
	v_mul_f32_e32 v3, v0, v3
	ds_store_b32 v2, v3
	v_add_nc_u32_e32 v2, 0x200, v2
	s_and_not1_b32 exec_lo, exec_lo, s1
	s_cbranch_execnz .LBB51_32
.LBB51_33:
	s_or_b32 exec_lo, exec_lo, s0
	s_wait_dscnt 0x0
	v_and_b32_e32 v0, 7, v22
	s_clause 0x1
	scratch_store_b32 off, v24, off offset:224
	scratch_store_b32 off, v23, off offset:220
	s_wait_xcnt 0x1
	v_dual_mov_b32 v24, 0 :: v_dual_mov_b32 v59, 0
	v_mov_b32_e32 v58, 0
	scratch_store_b32 off, v0, off offset:216 ; 4-byte Folded Spill
	v_dual_mov_b32 v57, 0 :: v_dual_mov_b32 v56, 0
	v_dual_mov_b32 v65, 0 :: v_dual_mov_b32 v64, 0
	;; [unrolled: 1-line block ×10, first 2 shown]
	s_wait_xcnt 0x0
	v_dual_mov_b32 v1, 0 :: v_dual_mov_b32 v0, 0
	v_dual_mov_b32 v15, 0 :: v_dual_mov_b32 v14, 0
	;; [unrolled: 1-line block ×4, first 2 shown]
	scratch_store_b64 off, v[24:25], off offset:96 ; 8-byte Folded Spill
	s_wait_storecnt 0x0
	s_barrier_signal -1
	s_barrier_wait -1
	s_wait_xcnt 0x0
	s_and_saveexec_b32 s25, s3
	s_cbranch_execz .LBB51_101
; %bb.34:
	s_clause 0x1
	scratch_load_b32 v0, off, off offset:204
	scratch_load_b32 v5, off, off offset:200
	s_ashr_i32 s17, s16, 31
	v_and_b32_e32 v6, 0x7c, v10
	s_lshl_b64 s[0:1], s[16:17], 2
	s_ashr_i32 s11, s5, 31
	s_mov_b32 s10, s5
	s_wait_kmcnt 0x0
	s_add_nc_u64 s[4:5], s[18:19], s[0:1]
	s_lshl_b64 s[0:1], s[14:15], 2
	s_add_co_i32 s3, s24, -1
	s_add_nc_u64 s[0:1], s[12:13], s[0:1]
	s_mov_b32 s13, s23
	s_mov_b32 s12, 0
	v_mov_b32_e32 v7, 0
	s_delay_alu instid0(VALU_DEP_1)
	v_add_nc_u64_e32 v[8:9], s[0:1], v[6:7]
	v_dual_mov_b32 v126, v7 :: v_dual_mov_b32 v19, v7
	v_dual_mov_b32 v18, v7 :: v_dual_mov_b32 v21, v7
	v_dual_mov_b32 v20, v7 :: v_dual_mov_b32 v15, v7
	v_dual_mov_b32 v14, v7 :: v_dual_mov_b32 v17, v7
	v_dual_mov_b32 v16, v7 :: v_dual_mov_b32 v23, v7
	v_dual_mov_b32 v22, v7 :: v_dual_mov_b32 v127, v7
	s_wait_loadcnt 0x1
	v_lshlrev_b32_e32 v1, 2, v0
	scratch_load_b32 v0, off, off offset:216 ; 4-byte Folded Reload
	s_wait_loadcnt 0x0
	v_dual_lshlrev_b32 v4, 4, v0 :: v_dual_bitop2_b32 v3, 28, v1 bitop3:0x40
	v_and_b32_e32 v0, 0x7c, v1
	v_or_b32_e32 v2, 0xf80, v1
	s_delay_alu instid0(VALU_DEP_3) | instskip(NEXT) | instid1(VALU_DEP_4)
	v_lshl_or_b32 v1, v5, 7, v4
	v_lshl_or_b32 v24, v5, 5, v3
	s_delay_alu instid0(VALU_DEP_3) | instskip(NEXT) | instid1(VALU_DEP_3)
	v_dual_lshlrev_b32 v0, 2, v0 :: v_dual_lshlrev_b32 v6, 2, v2
	v_dual_mov_b32 v1, v7 :: v_dual_add_nc_u32 v4, 0x220, v1
	scratch_store_b64 off, v[0:1], off offset:192 ; 8-byte Folded Spill
	s_wait_xcnt 0x0
	v_mov_b32_e32 v0, v7
	s_clause 0x9
	scratch_store_b64 off, v[0:1], off offset:96
	scratch_store_b64 off, v[0:1], off offset:104
	;; [unrolled: 1-line block ×10, first 2 shown]
	s_branch .LBB51_36
.LBB51_35:                              ;   in Loop: Header=BB51_36 Depth=1
	s_or_b32 exec_lo, exec_lo, s1
	s_wait_dscnt 0x0
	v_mul_f32_e32 v2, v6, v2
	v_mul_f32_e32 v10, v6, v10
	v_dual_mul_f32 v25, v6, v94 :: v_dual_add_nc_u32 v24, 0x80, v24
	s_delay_alu instid0(VALU_DEP_3) | instskip(NEXT) | instid1(VALU_DEP_3)
	v_dual_mul_f32 v26, v6, v90 :: v_dual_fmac_f32 v2, v7, v3
	v_dual_fmac_f32 v10, v7, v11 :: v_dual_mul_f32 v3, v6, v122
	s_delay_alu instid0(VALU_DEP_2) | instskip(NEXT) | instid1(VALU_DEP_3)
	v_dual_mul_f32 v11, v6, v110 :: v_dual_fmac_f32 v26, v7, v91
	v_dual_fmac_f32 v2, v8, v4 :: v_dual_mul_f32 v4, v6, v118
	s_delay_alu instid0(VALU_DEP_3) | instskip(NEXT) | instid1(VALU_DEP_2)
	v_dual_fmac_f32 v10, v8, v12 :: v_dual_fmac_f32 v3, v7, v123
	v_dual_fmac_f32 v11, v7, v111 :: v_dual_fmac_f32 v2, v9, v5
	s_delay_alu instid0(VALU_DEP_3) | instskip(NEXT) | instid1(VALU_DEP_2)
	v_dual_fmac_f32 v4, v7, v119 :: v_dual_mul_f32 v5, v6, v114
	v_dual_mul_f32 v12, v6, v102 :: v_dual_fmac_f32 v11, v8, v112
	s_delay_alu instid0(VALU_DEP_4) | instskip(NEXT) | instid1(VALU_DEP_3)
	v_dual_fmac_f32 v10, v9, v13 :: v_dual_fmac_f32 v3, v8, v124
	v_dual_fmac_f32 v4, v8, v120 :: v_dual_fmac_f32 v5, v7, v115
	s_delay_alu instid0(VALU_DEP_3) | instskip(NEXT) | instid1(VALU_DEP_2)
	v_dual_fmac_f32 v11, v9, v113 :: v_dual_fmac_f32 v12, v7, v103
	v_dual_mul_f32 v13, v6, v98 :: v_dual_fmac_f32 v4, v9, v121
	s_delay_alu instid0(VALU_DEP_3) | instskip(SKIP_1) | instid1(VALU_DEP_3)
	v_fmac_f32_e32 v5, v8, v116
	v_dual_fmac_f32 v25, v7, v95 :: v_dual_fmac_f32 v26, v8, v92
	v_dual_fmac_f32 v12, v8, v104 :: v_dual_fmac_f32 v13, v7, v99
	s_delay_alu instid0(VALU_DEP_3) | instskip(NEXT) | instid1(VALU_DEP_3)
	v_fmac_f32_e32 v5, v9, v117
	v_dual_fmac_f32 v25, v8, v96 :: v_dual_fmac_f32 v26, v9, v93
	s_delay_alu instid0(VALU_DEP_3) | instskip(NEXT) | instid1(VALU_DEP_2)
	v_dual_fmac_f32 v12, v9, v105 :: v_dual_fmac_f32 v13, v8, v100
	v_dual_mul_f32 v27, v6, v86 :: v_dual_fmac_f32 v25, v9, v97
	v_dual_fmac_f32 v3, v9, v125 :: v_dual_mul_f32 v28, v6, v82
	s_delay_alu instid0(VALU_DEP_2) | instskip(NEXT) | instid1(VALU_DEP_2)
	v_dual_fmac_f32 v13, v9, v101 :: v_dual_fmac_f32 v27, v7, v87
	v_fmac_f32_e32 v28, v7, v83
	scratch_load_b64 v[82:83], off, off offset:96 th:TH_LOAD_LU ; 8-byte Folded Reload
	v_fmac_f32_e32 v27, v8, v88
	s_delay_alu instid0(VALU_DEP_1) | instskip(NEXT) | instid1(VALU_DEP_1)
	v_dual_fmac_f32 v28, v8, v84 :: v_dual_fmac_f32 v27, v9, v89
	v_fmac_f32_e32 v28, v9, v85
	scratch_load_b64 v[84:85], off, off offset:104 th:TH_LOAD_LU ; 8-byte Folded Reload
	s_wait_loadcnt 0x1
	v_add_f32_e32 v82, v82, v10
	s_wait_loadcnt 0x0
	v_dual_add_f32 v85, v85, v2 :: v_dual_add_f32 v84, v84, v3
	scratch_load_b64 v[2:3], off, off offset:112 th:TH_LOAD_LU ; 8-byte Folded Reload
	s_wait_loadcnt 0x0
	v_dual_add_f32 v3, v3, v4 :: v_dual_add_f32 v2, v2, v5
	v_mul_f32_e32 v4, v6, v70
	v_mul_f32_e32 v5, v6, v66
	s_clause 0x1
	scratch_store_b64 off, v[2:3], off offset:112
	scratch_load_b64 v[2:3], off, off offset:120 th:TH_LOAD_LU
	v_fmac_f32_e32 v4, v7, v71
	s_delay_alu instid0(VALU_DEP_1) | instskip(SKIP_1) | instid1(VALU_DEP_1)
	v_fmac_f32_e32 v4, v8, v72
	s_wait_loadcnt 0x0
	v_dual_fmac_f32 v4, v9, v73 :: v_dual_add_f32 v3, v3, v11
	v_add_f32_e32 v2, v2, v12
	s_clause 0x2
	scratch_load_b64 v[10:11], off, off offset:136 th:TH_LOAD_LU
	scratch_store_b64 off, v[2:3], off offset:120
	scratch_load_b64 v[2:3], off, off offset:128 th:TH_LOAD_LU
	s_wait_loadcnt 0x0
	v_dual_add_f32 v11, v11, v26 :: v_dual_add_f32 v2, v2, v25
	v_add_f32_e32 v3, v3, v13
	scratch_load_b64 v[12:13], off, off offset:144 th:TH_LOAD_LU ; 8-byte Folded Reload
	s_wait_loadcnt 0x0
	v_dual_add_f32 v10, v10, v27 :: v_dual_add_f32 v13, v13, v28
	scratch_store_b64 off, v[2:3], off offset:128 ; 8-byte Folded Spill
	s_wait_xcnt 0x0
	v_mul_f32_e32 v3, v6, v74
	v_mul_f32_e32 v2, v6, v78
	scratch_load_b128 v[26:29], off, off offset:80 th:TH_LOAD_LU ; 16-byte Folded Reload
	v_fmac_f32_e32 v3, v7, v75
	v_fmac_f32_e32 v2, v7, v79
	s_delay_alu instid0(VALU_DEP_2) | instskip(NEXT) | instid1(VALU_DEP_2)
	v_dual_fmac_f32 v5, v7, v67 :: v_dual_fmac_f32 v3, v8, v76
	v_fmac_f32_e32 v2, v8, v80
	s_delay_alu instid0(VALU_DEP_2) | instskip(NEXT) | instid1(VALU_DEP_2)
	v_dual_fmac_f32 v5, v8, v68 :: v_dual_fmac_f32 v3, v9, v77
	v_fmac_f32_e32 v2, v9, v81
	s_delay_alu instid0(VALU_DEP_1)
	v_dual_fmac_f32 v5, v9, v69 :: v_dual_add_f32 v12, v12, v2
	scratch_store_b64 off, v[10:11], off offset:136 ; 8-byte Folded Spill
	s_wait_xcnt 0x0
	v_mul_f32_e32 v10, v6, v62
	s_clause 0x1
	scratch_store_b64 off, v[12:13], off offset:144
	scratch_load_b64 v[12:13], off, off offset:152 th:TH_LOAD_LU
	v_fmac_f32_e32 v10, v7, v63
	s_delay_alu instid0(VALU_DEP_1) | instskip(NEXT) | instid1(VALU_DEP_1)
	v_dual_fmac_f32 v10, v8, v64 :: v_dual_mul_f32 v2, v6, v58
	v_fmac_f32_e32 v10, v9, v65
	s_delay_alu instid0(VALU_DEP_2) | instskip(NEXT) | instid1(VALU_DEP_1)
	v_fmac_f32_e32 v2, v7, v59
	v_fmac_f32_e32 v2, v8, v60
	s_delay_alu instid0(VALU_DEP_1) | instskip(NEXT) | instid1(VALU_DEP_1)
	v_fmac_f32_e32 v2, v9, v61
	v_add_f32_e32 v127, v127, v2
	s_wait_loadcnt 0x0
	v_dual_mul_f32 v2, v6, v38 :: v_dual_add_f32 v13, v13, v3
	v_dual_add_f32 v12, v12, v4 :: v_dual_mul_f32 v3, v6, v54
	s_clause 0x1
	scratch_store_b64 off, v[12:13], off offset:152
	scratch_load_b64 v[12:13], off, off offset:160 th:TH_LOAD_LU
	v_fmac_f32_e32 v3, v7, v55
	s_delay_alu instid0(VALU_DEP_1) | instskip(NEXT) | instid1(VALU_DEP_1)
	v_fmac_f32_e32 v3, v8, v56
	v_fmac_f32_e32 v3, v9, v57
	s_wait_loadcnt 0x0
	s_delay_alu instid0(VALU_DEP_1)
	v_dual_add_f32 v126, v126, v3 :: v_dual_add_f32 v13, v13, v5
	v_add_f32_e32 v12, v12, v10
	v_mul_f32_e32 v5, v6, v46
	v_mul_f32_e32 v4, v6, v50
	;; [unrolled: 1-line block ×3, first 2 shown]
	scratch_store_b64 off, v[12:13], off offset:160 ; 8-byte Folded Spill
	v_fmac_f32_e32 v5, v7, v47
	v_fmac_f32_e32 v4, v7, v51
	s_delay_alu instid0(VALU_DEP_2) | instskip(NEXT) | instid1(VALU_DEP_2)
	v_dual_fmac_f32 v10, v7, v43 :: v_dual_fmac_f32 v5, v8, v48
	v_fmac_f32_e32 v4, v8, v52
	s_delay_alu instid0(VALU_DEP_2) | instskip(NEXT) | instid1(VALU_DEP_2)
	v_dual_fmac_f32 v10, v8, v44 :: v_dual_fmac_f32 v5, v9, v49
	v_fmac_f32_e32 v4, v9, v53
	s_delay_alu instid0(VALU_DEP_2) | instskip(NEXT) | instid1(VALU_DEP_3)
	v_fmac_f32_e32 v10, v9, v45
	v_dual_fmac_f32 v2, v7, v39 :: v_dual_add_f32 v18, v18, v5
	s_delay_alu instid0(VALU_DEP_2) | instskip(NEXT) | instid1(VALU_DEP_2)
	v_dual_add_f32 v19, v19, v4 :: v_dual_add_f32 v21, v21, v10
	v_dual_mul_f32 v3, v6, v34 :: v_dual_fmac_f32 v2, v8, v40
	v_mul_f32_e32 v4, v6, v30
	scratch_load_b128 v[10:13], off, off offset:64 th:TH_LOAD_LU ; 16-byte Folded Reload
	v_dual_fmac_f32 v3, v7, v35 :: v_dual_fmac_f32 v2, v9, v41
	s_delay_alu instid0(VALU_DEP_1) | instskip(NEXT) | instid1(VALU_DEP_2)
	v_dual_fmac_f32 v4, v7, v31 :: v_dual_fmac_f32 v3, v8, v36
	v_add_f32_e32 v20, v20, v2
	s_delay_alu instid0(VALU_DEP_2)
	v_dual_fmac_f32 v4, v8, v32 :: v_dual_fmac_f32 v3, v9, v37
	scratch_load_b128 v[36:39], off, off offset:48 th:TH_LOAD_LU ; 16-byte Folded Reload
	v_fmac_f32_e32 v4, v9, v33
	scratch_load_b128 v[30:33], off, off offset:16 th:TH_LOAD_LU ; 16-byte Folded Reload
	v_add_f32_e32 v1, v1, v3
	v_pk_mul_f32 v[2:3], v[6:7], v[106:107]
	s_wait_loadcnt 0x2
	v_dual_add_f32 v0, v0, v4 :: v_dual_mul_f32 v10, v6, v10
	s_wait_loadcnt 0x1
	s_delay_alu instid0(VALU_DEP_1) | instskip(NEXT) | instid1(VALU_DEP_1)
	v_dual_fmac_f32 v10, v7, v11 :: v_dual_mul_f32 v11, v6, v36
	v_fmac_f32_e32 v11, v7, v37
	scratch_load_b128 v[34:37], off, off offset:32 th:TH_LOAD_LU ; 16-byte Folded Reload
	v_mul_f32_e32 v5, v6, v26
	s_delay_alu instid0(VALU_DEP_1) | instskip(NEXT) | instid1(VALU_DEP_1)
	v_fmac_f32_e32 v5, v7, v27
	v_fmac_f32_e32 v5, v8, v28
	s_delay_alu instid0(VALU_DEP_1) | instskip(SKIP_4) | instid1(VALU_DEP_3)
	v_dual_fmac_f32 v10, v8, v12 :: v_dual_fmac_f32 v5, v9, v29
	scratch_load_b128 v[26:29], off, off th:TH_LOAD_LU ; 16-byte Folded Reload
	v_fmac_f32_e32 v10, v9, v13
	v_add_f32_e32 v15, v15, v5
	v_pk_mul_f32 v[4:5], v[8:9], v[108:109]
	v_add_f32_e32 v14, v14, v10
	s_wait_loadcnt 0x1
	v_mul_f32_e32 v10, v6, v34
	s_delay_alu instid0(VALU_DEP_1) | instskip(SKIP_1) | instid1(VALU_DEP_1)
	v_dual_mul_f32 v12, v6, v30 :: v_dual_fmac_f32 v10, v7, v35
	s_wait_loadcnt 0x0
	v_dual_fmac_f32 v12, v7, v31 :: v_dual_mul_f32 v13, v6, v26
	s_delay_alu instid0(VALU_DEP_1) | instskip(NEXT) | instid1(VALU_DEP_1)
	v_dual_fmac_f32 v11, v8, v38 :: v_dual_fmac_f32 v13, v7, v27
	v_dual_add_f32 v2, v3, v2 :: v_dual_fmac_f32 v11, v9, v39
	s_delay_alu instid0(VALU_DEP_1) | instskip(NEXT) | instid1(VALU_DEP_1)
	v_dual_fmac_f32 v10, v8, v36 :: v_dual_add_f32 v17, v17, v11
	v_dual_fmac_f32 v12, v8, v32 :: v_dual_fmac_f32 v10, v9, v37
	s_delay_alu instid0(VALU_DEP_1) | instskip(NEXT) | instid1(VALU_DEP_1)
	v_dual_fmac_f32 v13, v8, v28 :: v_dual_fmac_f32 v12, v9, v33
	v_dual_add_f32 v2, v4, v2 :: v_dual_fmac_f32 v13, v9, v29
	s_delay_alu instid0(VALU_DEP_3)
	v_add_f32_e32 v16, v16, v10
	s_clause 0x1
	scratch_load_b64 v[8:9], off, off offset:172 th:TH_LOAD_LU
	scratch_load_b32 v4, off, off offset:168 th:TH_LOAD_LU
	v_add_f32_e32 v2, v5, v2
	scratch_load_b32 v5, off, off offset:180 th:TH_LOAD_LU ; 4-byte Folded Reload
	v_add_f32_e32 v23, v23, v12
	s_wait_loadcnt 0x2
	v_add_nc_u64_e32 v[8:9], 16, v[8:9]
	s_wait_loadcnt 0x1
	v_add_nc_u32_e32 v4, 0x200, v4
	s_wait_loadcnt 0x0
	v_add_nc_u32_e32 v5, 4, v5
	v_dual_add_f32 v22, v22, v13 :: v_dual_add_f32 v83, v83, v2
	scratch_store_b64 off, v[84:85], off offset:104 ; 8-byte Folded Spill
	v_cmp_le_i32_e32 vcc_lo, s24, v5
	scratch_store_b64 off, v[82:83], off offset:96 ; 8-byte Folded Spill
	s_or_b32 s12, vcc_lo, s12
	s_wait_xcnt 0x0
	s_and_not1_b32 exec_lo, exec_lo, s12
	s_cbranch_execz .LBB51_100
.LBB51_36:                              ; =>This Inner Loop Header: Depth=1
	global_load_b32 v2, v[8:9], off
	scratch_store_b64 off, v[8:9], off offset:172 ; 8-byte Folded Spill
	v_cmp_eq_u32_e32 vcc_lo, s3, v5
	v_or_b32_e32 v25, 3, v24
	v_dual_add_nc_u32 v27, 1, v24 :: v_dual_bitop2_b32 v26, 2, v24 bitop3:0x54
	s_wait_loadcnt 0x0
	v_ashrrev_i32_e32 v3, 31, v2
	s_delay_alu instid0(VALU_DEP_1) | instskip(NEXT) | instid1(VALU_DEP_1)
	v_mul_u64_e32 v[2:3], s[10:11], v[2:3]
	v_lshl_add_u64 v[106:107], v[2:3], 2, s[4:5]
	scratch_load_b64 v[2:3], off, off offset:192 ; 8-byte Folded Reload
	s_wait_loadcnt 0x0
	v_add_nc_u64_e32 v[10:11], v[106:107], v[2:3]
	global_load_b128 v[6:9], v[10:11], off
	s_wait_loadcnt 0x0
	s_clause 0x1
	scratch_store_b128 off, v[6:9], off
	scratch_store_b32 off, v4, off offset:168
	s_wait_xcnt 0x1
	ds_load_b128 v[6:9], v4
	scratch_store_b32 off, v5, off offset:180 ; 4-byte Folded Spill
	s_wait_xcnt 0x0
	s_and_saveexec_b32 s1, vcc_lo
	s_cbranch_execz .LBB51_38
; %bb.37:                               ;   in Loop: Header=BB51_36 Depth=1
	scratch_load_b128 v[2:5], off, off th:TH_LOAD_LU ; 16-byte Folded Reload
	v_cmp_gt_i32_e64 s0, s13, v27
	s_wait_loadcnt 0x0
	s_delay_alu instid0(VALU_DEP_1) | instskip(SKIP_1) | instid1(VALU_DEP_1)
	v_cndmask_b32_e64 v3, 0, v3, s0
	v_cmp_gt_i32_e64 s0, s23, v24
	v_cndmask_b32_e64 v2, 0, v2, s0
	v_cmp_gt_i32_e64 s0, s13, v25
	s_delay_alu instid0(VALU_DEP_1) | instskip(SKIP_1) | instid1(VALU_DEP_1)
	v_cndmask_b32_e64 v5, 0, v5, s0
	v_cmp_gt_i32_e64 s0, s23, v26
	v_cndmask_b32_e64 v4, 0, v4, s0
	scratch_store_b128 off, v[2:5], off     ; 16-byte Folded Spill
.LBB51_38:                              ;   in Loop: Header=BB51_36 Depth=1
	s_wait_xcnt 0x0
	s_or_b32 exec_lo, exec_lo, s1
	global_load_b128 v[2:5], v[10:11], off offset:512
	s_wait_loadcnt 0x0
	scratch_store_b128 off, v[2:5], off offset:16 ; 16-byte Folded Spill
	s_wait_xcnt 0x0
	s_and_saveexec_b32 s1, vcc_lo
	s_cbranch_execz .LBB51_40
; %bb.39:                               ;   in Loop: Header=BB51_36 Depth=1
	scratch_load_b128 v[2:5], off, off offset:16 th:TH_LOAD_LU ; 16-byte Folded Reload
	v_cmp_gt_i32_e64 s0, s13, v27
	s_wait_loadcnt 0x0
	s_delay_alu instid0(VALU_DEP_1) | instskip(SKIP_1) | instid1(VALU_DEP_1)
	v_cndmask_b32_e64 v3, 0, v3, s0
	v_cmp_gt_i32_e64 s0, s23, v24
	v_cndmask_b32_e64 v2, 0, v2, s0
	v_cmp_gt_i32_e64 s0, s13, v25
	s_delay_alu instid0(VALU_DEP_1) | instskip(SKIP_1) | instid1(VALU_DEP_1)
	v_cndmask_b32_e64 v5, 0, v5, s0
	v_cmp_gt_i32_e64 s0, s23, v26
	v_cndmask_b32_e64 v4, 0, v4, s0
	scratch_store_b128 off, v[2:5], off offset:16 ; 16-byte Folded Spill
.LBB51_40:                              ;   in Loop: Header=BB51_36 Depth=1
	s_wait_xcnt 0x0
	s_or_b32 exec_lo, exec_lo, s1
	global_load_b128 v[2:5], v[10:11], off offset:1024
	s_wait_loadcnt 0x0
	scratch_store_b128 off, v[2:5], off offset:32 ; 16-byte Folded Spill
	s_wait_xcnt 0x0
	s_and_saveexec_b32 s1, vcc_lo
	s_cbranch_execz .LBB51_42
; %bb.41:                               ;   in Loop: Header=BB51_36 Depth=1
	scratch_load_b128 v[2:5], off, off offset:32 th:TH_LOAD_LU ; 16-byte Folded Reload
	v_cmp_gt_i32_e64 s0, s13, v27
	s_wait_loadcnt 0x0
	s_delay_alu instid0(VALU_DEP_1) | instskip(SKIP_1) | instid1(VALU_DEP_1)
	v_cndmask_b32_e64 v3, 0, v3, s0
	v_cmp_gt_i32_e64 s0, s23, v24
	v_cndmask_b32_e64 v2, 0, v2, s0
	v_cmp_gt_i32_e64 s0, s13, v25
	s_delay_alu instid0(VALU_DEP_1) | instskip(SKIP_1) | instid1(VALU_DEP_1)
	v_cndmask_b32_e64 v5, 0, v5, s0
	v_cmp_gt_i32_e64 s0, s23, v26
	v_cndmask_b32_e64 v4, 0, v4, s0
	scratch_store_b128 off, v[2:5], off offset:32 ; 16-byte Folded Spill
.LBB51_42:                              ;   in Loop: Header=BB51_36 Depth=1
	;; [unrolled: 23-line block ×4, first 2 shown]
	s_wait_xcnt 0x0
	s_or_b32 exec_lo, exec_lo, s1
	global_load_b128 v[2:5], v[10:11], off offset:2560
	s_wait_loadcnt 0x0
	scratch_store_b128 off, v[2:5], off offset:80 ; 16-byte Folded Spill
	s_wait_xcnt 0x0
	s_and_saveexec_b32 s1, vcc_lo
	s_cbranch_execnz .LBB51_75
; %bb.47:                               ;   in Loop: Header=BB51_36 Depth=1
	s_or_b32 exec_lo, exec_lo, s1
	global_load_b128 v[30:33], v[10:11], off offset:3072
	s_wait_xcnt 0x0
	s_and_saveexec_b32 s1, vcc_lo
	s_cbranch_execnz .LBB51_76
.LBB51_48:                              ;   in Loop: Header=BB51_36 Depth=1
	s_or_b32 exec_lo, exec_lo, s1
	global_load_b128 v[34:37], v[10:11], off offset:3584
	s_wait_xcnt 0x0
	s_and_saveexec_b32 s1, vcc_lo
	s_cbranch_execnz .LBB51_77
.LBB51_49:                              ;   in Loop: Header=BB51_36 Depth=1
	s_or_b32 exec_lo, exec_lo, s1
	global_load_b128 v[38:41], v[10:11], off offset:4096
	s_wait_xcnt 0x0
	s_and_saveexec_b32 s1, vcc_lo
	s_cbranch_execnz .LBB51_78
.LBB51_50:                              ;   in Loop: Header=BB51_36 Depth=1
	s_or_b32 exec_lo, exec_lo, s1
	global_load_b128 v[42:45], v[10:11], off offset:4608
	s_wait_xcnt 0x0
	s_and_saveexec_b32 s1, vcc_lo
	s_cbranch_execnz .LBB51_79
.LBB51_51:                              ;   in Loop: Header=BB51_36 Depth=1
	s_or_b32 exec_lo, exec_lo, s1
	global_load_b128 v[46:49], v[10:11], off offset:5120
	s_wait_xcnt 0x0
	s_and_saveexec_b32 s1, vcc_lo
	s_cbranch_execnz .LBB51_80
.LBB51_52:                              ;   in Loop: Header=BB51_36 Depth=1
	s_or_b32 exec_lo, exec_lo, s1
	global_load_b128 v[50:53], v[10:11], off offset:5632
	s_wait_xcnt 0x0
	s_and_saveexec_b32 s1, vcc_lo
	s_cbranch_execnz .LBB51_81
.LBB51_53:                              ;   in Loop: Header=BB51_36 Depth=1
	s_or_b32 exec_lo, exec_lo, s1
	global_load_b128 v[54:57], v[10:11], off offset:6144
	s_wait_xcnt 0x0
	s_and_saveexec_b32 s1, vcc_lo
	s_cbranch_execnz .LBB51_82
.LBB51_54:                              ;   in Loop: Header=BB51_36 Depth=1
	s_or_b32 exec_lo, exec_lo, s1
	global_load_b128 v[58:61], v[10:11], off offset:6656
	s_wait_xcnt 0x0
	s_and_saveexec_b32 s1, vcc_lo
	s_cbranch_execnz .LBB51_83
.LBB51_55:                              ;   in Loop: Header=BB51_36 Depth=1
	s_or_b32 exec_lo, exec_lo, s1
	global_load_b128 v[62:65], v[10:11], off offset:7168
	s_wait_xcnt 0x0
	s_and_saveexec_b32 s1, vcc_lo
	s_cbranch_execnz .LBB51_84
.LBB51_56:                              ;   in Loop: Header=BB51_36 Depth=1
	s_or_b32 exec_lo, exec_lo, s1
	global_load_b128 v[66:69], v[10:11], off offset:7680
	s_wait_xcnt 0x0
	s_and_saveexec_b32 s1, vcc_lo
	s_cbranch_execnz .LBB51_85
.LBB51_57:                              ;   in Loop: Header=BB51_36 Depth=1
	s_or_b32 exec_lo, exec_lo, s1
	global_load_b128 v[70:73], v[10:11], off offset:8192
	s_wait_xcnt 0x0
	s_and_saveexec_b32 s1, vcc_lo
	s_cbranch_execnz .LBB51_86
.LBB51_58:                              ;   in Loop: Header=BB51_36 Depth=1
	s_or_b32 exec_lo, exec_lo, s1
	global_load_b128 v[74:77], v[10:11], off offset:8704
	s_wait_xcnt 0x0
	s_and_saveexec_b32 s14, vcc_lo
	s_cbranch_execnz .LBB51_87
.LBB51_59:                              ;   in Loop: Header=BB51_36 Depth=1
	s_or_b32 exec_lo, exec_lo, s14
	global_load_b128 v[78:81], v[10:11], off offset:9216
	s_wait_xcnt 0x0
	s_and_saveexec_b32 s14, vcc_lo
	s_cbranch_execnz .LBB51_88
.LBB51_60:                              ;   in Loop: Header=BB51_36 Depth=1
	s_or_b32 exec_lo, exec_lo, s14
	global_load_b128 v[82:85], v[10:11], off offset:9728
	s_wait_xcnt 0x0
	s_and_saveexec_b32 s14, vcc_lo
	s_cbranch_execnz .LBB51_89
.LBB51_61:                              ;   in Loop: Header=BB51_36 Depth=1
	s_or_b32 exec_lo, exec_lo, s14
	global_load_b128 v[86:89], v[10:11], off offset:10240
	s_wait_xcnt 0x0
	s_and_saveexec_b32 s14, vcc_lo
	s_cbranch_execnz .LBB51_90
.LBB51_62:                              ;   in Loop: Header=BB51_36 Depth=1
	s_or_b32 exec_lo, exec_lo, s14
	global_load_b128 v[90:93], v[10:11], off offset:10752
	s_wait_xcnt 0x0
	s_and_saveexec_b32 s14, vcc_lo
	s_cbranch_execnz .LBB51_91
.LBB51_63:                              ;   in Loop: Header=BB51_36 Depth=1
	s_or_b32 exec_lo, exec_lo, s14
	global_load_b128 v[94:97], v[10:11], off offset:11264
	s_wait_xcnt 0x0
	s_and_saveexec_b32 s14, vcc_lo
	s_cbranch_execnz .LBB51_92
.LBB51_64:                              ;   in Loop: Header=BB51_36 Depth=1
	s_or_b32 exec_lo, exec_lo, s14
	global_load_b128 v[98:101], v[10:11], off offset:11776
	s_wait_xcnt 0x0
	s_and_saveexec_b32 s14, vcc_lo
	s_cbranch_execnz .LBB51_93
.LBB51_65:                              ;   in Loop: Header=BB51_36 Depth=1
	s_or_b32 exec_lo, exec_lo, s14
	global_load_b128 v[102:105], v[10:11], off offset:12288
	s_wait_xcnt 0x0
	s_and_saveexec_b32 s14, vcc_lo
	s_cbranch_execnz .LBB51_94
.LBB51_66:                              ;   in Loop: Header=BB51_36 Depth=1
	s_or_b32 exec_lo, exec_lo, s14
	global_load_b128 v[110:113], v[10:11], off offset:12800
	s_wait_xcnt 0x0
	s_and_saveexec_b32 s14, vcc_lo
	s_cbranch_execnz .LBB51_95
.LBB51_67:                              ;   in Loop: Header=BB51_36 Depth=1
	s_or_b32 exec_lo, exec_lo, s14
	global_load_b128 v[114:117], v[10:11], off offset:13312
	s_wait_xcnt 0x0
	s_and_saveexec_b32 s14, vcc_lo
	s_cbranch_execnz .LBB51_96
.LBB51_68:                              ;   in Loop: Header=BB51_36 Depth=1
	s_or_b32 exec_lo, exec_lo, s14
	global_load_b128 v[118:121], v[10:11], off offset:13824
	s_wait_xcnt 0x0
	s_and_saveexec_b32 s14, vcc_lo
	s_cbranch_execnz .LBB51_97
.LBB51_69:                              ;   in Loop: Header=BB51_36 Depth=1
	s_or_b32 exec_lo, exec_lo, s14
	global_load_b128 v[122:125], v[10:11], off offset:14336
	s_wait_xcnt 0x0
	s_and_saveexec_b32 s14, vcc_lo
	s_cbranch_execnz .LBB51_98
.LBB51_70:                              ;   in Loop: Header=BB51_36 Depth=1
	s_or_b32 exec_lo, exec_lo, s14
	global_load_b128 v[2:5], v[10:11], off offset:14848
	s_wait_xcnt 0x0
	s_and_saveexec_b32 s14, vcc_lo
	s_cbranch_execnz .LBB51_99
.LBB51_71:                              ;   in Loop: Header=BB51_36 Depth=1
	s_or_b32 exec_lo, exec_lo, s14
	global_load_b128 v[10:13], v[10:11], off offset:15360
	s_wait_xcnt 0x0
	s_and_saveexec_b32 s14, vcc_lo
	s_cbranch_execz .LBB51_73
.LBB51_72:                              ;   in Loop: Header=BB51_36 Depth=1
	v_cmp_gt_i32_e64 s0, s23, v24
	v_cmp_gt_i32_e64 s1, s13, v27
	s_wait_loadcnt 0x0
	s_delay_alu instid0(VALU_DEP_1) | instskip(SKIP_2) | instid1(VALU_DEP_1)
	v_dual_cndmask_b32 v10, 0, v10, s0 :: v_dual_cndmask_b32 v11, 0, v11, s1
	v_cmp_gt_i32_e64 s0, s23, v26
	v_cmp_gt_i32_e64 s1, s13, v25
	v_dual_cndmask_b32 v12, 0, v12, s0 :: v_dual_cndmask_b32 v13, 0, v13, s1
.LBB51_73:                              ;   in Loop: Header=BB51_36 Depth=1
	s_or_b32 exec_lo, exec_lo, s14
	scratch_load_b64 v[28:29], off, off offset:184 ; 8-byte Folded Reload
	s_wait_loadcnt 0x0
	v_add_nc_u64_e32 v[28:29], v[106:107], v[28:29]
	global_load_b128 v[106:109], v[28:29], off
	s_wait_xcnt 0x0
	s_and_saveexec_b32 s1, vcc_lo
	s_cbranch_execz .LBB51_35
; %bb.74:                               ;   in Loop: Header=BB51_36 Depth=1
	v_cmp_gt_i32_e32 vcc_lo, s23, v24
	v_cmp_gt_i32_e64 s0, s13, v27
	s_wait_loadcnt 0x0
	s_delay_alu instid0(VALU_DEP_1) | instskip(SKIP_2) | instid1(VALU_DEP_1)
	v_dual_cndmask_b32 v106, 0, v106, vcc_lo :: v_dual_cndmask_b32 v107, 0, v107, s0
	v_cmp_gt_i32_e32 vcc_lo, s23, v26
	v_cmp_gt_i32_e64 s0, s13, v25
	v_dual_cndmask_b32 v108, 0, v108, vcc_lo :: v_dual_cndmask_b32 v109, 0, v109, s0
	s_branch .LBB51_35
.LBB51_75:                              ;   in Loop: Header=BB51_36 Depth=1
	scratch_load_b128 v[2:5], off, off offset:80 th:TH_LOAD_LU ; 16-byte Folded Reload
	v_cmp_gt_i32_e64 s0, s13, v27
	s_wait_loadcnt 0x0
	s_delay_alu instid0(VALU_DEP_1) | instskip(SKIP_1) | instid1(VALU_DEP_1)
	v_cndmask_b32_e64 v3, 0, v3, s0
	v_cmp_gt_i32_e64 s0, s23, v24
	v_cndmask_b32_e64 v2, 0, v2, s0
	v_cmp_gt_i32_e64 s0, s13, v25
	s_delay_alu instid0(VALU_DEP_1) | instskip(SKIP_1) | instid1(VALU_DEP_1)
	v_cndmask_b32_e64 v5, 0, v5, s0
	v_cmp_gt_i32_e64 s0, s23, v26
	v_cndmask_b32_e64 v4, 0, v4, s0
	scratch_store_b128 off, v[2:5], off offset:80 ; 16-byte Folded Spill
	s_wait_xcnt 0x0
	s_or_b32 exec_lo, exec_lo, s1
	global_load_b128 v[30:33], v[10:11], off offset:3072
	s_wait_xcnt 0x0
	s_and_saveexec_b32 s1, vcc_lo
	s_cbranch_execz .LBB51_48
.LBB51_76:                              ;   in Loop: Header=BB51_36 Depth=1
	v_cmp_gt_i32_e64 s0, s13, v27
	s_wait_loadcnt 0x0
	s_delay_alu instid0(VALU_DEP_1) | instskip(SKIP_1) | instid1(VALU_DEP_1)
	v_cndmask_b32_e64 v31, 0, v31, s0
	v_cmp_gt_i32_e64 s0, s23, v24
	v_cndmask_b32_e64 v30, 0, v30, s0
	v_cmp_gt_i32_e64 s0, s13, v25
	s_delay_alu instid0(VALU_DEP_1) | instskip(SKIP_1) | instid1(VALU_DEP_1)
	v_cndmask_b32_e64 v33, 0, v33, s0
	v_cmp_gt_i32_e64 s0, s23, v26
	v_cndmask_b32_e64 v32, 0, v32, s0
	s_or_b32 exec_lo, exec_lo, s1
	global_load_b128 v[34:37], v[10:11], off offset:3584
	s_wait_xcnt 0x0
	s_and_saveexec_b32 s1, vcc_lo
	s_cbranch_execz .LBB51_49
.LBB51_77:                              ;   in Loop: Header=BB51_36 Depth=1
	v_cmp_gt_i32_e64 s0, s13, v27
	s_wait_loadcnt 0x0
	s_delay_alu instid0(VALU_DEP_1) | instskip(SKIP_1) | instid1(VALU_DEP_1)
	v_cndmask_b32_e64 v35, 0, v35, s0
	v_cmp_gt_i32_e64 s0, s23, v24
	v_cndmask_b32_e64 v34, 0, v34, s0
	v_cmp_gt_i32_e64 s0, s13, v25
	s_delay_alu instid0(VALU_DEP_1) | instskip(SKIP_1) | instid1(VALU_DEP_1)
	v_cndmask_b32_e64 v37, 0, v37, s0
	v_cmp_gt_i32_e64 s0, s23, v26
	v_cndmask_b32_e64 v36, 0, v36, s0
	s_or_b32 exec_lo, exec_lo, s1
	global_load_b128 v[38:41], v[10:11], off offset:4096
	s_wait_xcnt 0x0
	s_and_saveexec_b32 s1, vcc_lo
	s_cbranch_execz .LBB51_50
.LBB51_78:                              ;   in Loop: Header=BB51_36 Depth=1
	v_cmp_gt_i32_e64 s0, s13, v27
	s_wait_loadcnt 0x0
	s_delay_alu instid0(VALU_DEP_1) | instskip(SKIP_1) | instid1(VALU_DEP_1)
	v_cndmask_b32_e64 v39, 0, v39, s0
	v_cmp_gt_i32_e64 s0, s23, v24
	v_cndmask_b32_e64 v38, 0, v38, s0
	v_cmp_gt_i32_e64 s0, s13, v25
	s_delay_alu instid0(VALU_DEP_1) | instskip(SKIP_1) | instid1(VALU_DEP_1)
	v_cndmask_b32_e64 v41, 0, v41, s0
	v_cmp_gt_i32_e64 s0, s23, v26
	v_cndmask_b32_e64 v40, 0, v40, s0
	s_or_b32 exec_lo, exec_lo, s1
	global_load_b128 v[42:45], v[10:11], off offset:4608
	s_wait_xcnt 0x0
	s_and_saveexec_b32 s1, vcc_lo
	s_cbranch_execz .LBB51_51
.LBB51_79:                              ;   in Loop: Header=BB51_36 Depth=1
	v_cmp_gt_i32_e64 s0, s13, v27
	s_wait_loadcnt 0x0
	s_delay_alu instid0(VALU_DEP_1) | instskip(SKIP_1) | instid1(VALU_DEP_1)
	v_cndmask_b32_e64 v43, 0, v43, s0
	v_cmp_gt_i32_e64 s0, s23, v24
	v_cndmask_b32_e64 v42, 0, v42, s0
	v_cmp_gt_i32_e64 s0, s13, v25
	s_delay_alu instid0(VALU_DEP_1) | instskip(SKIP_1) | instid1(VALU_DEP_1)
	v_cndmask_b32_e64 v45, 0, v45, s0
	v_cmp_gt_i32_e64 s0, s23, v26
	v_cndmask_b32_e64 v44, 0, v44, s0
	s_or_b32 exec_lo, exec_lo, s1
	global_load_b128 v[46:49], v[10:11], off offset:5120
	s_wait_xcnt 0x0
	s_and_saveexec_b32 s1, vcc_lo
	s_cbranch_execz .LBB51_52
.LBB51_80:                              ;   in Loop: Header=BB51_36 Depth=1
	v_cmp_gt_i32_e64 s0, s13, v27
	s_wait_loadcnt 0x0
	s_delay_alu instid0(VALU_DEP_1) | instskip(SKIP_1) | instid1(VALU_DEP_1)
	v_cndmask_b32_e64 v47, 0, v47, s0
	v_cmp_gt_i32_e64 s0, s23, v24
	v_cndmask_b32_e64 v46, 0, v46, s0
	v_cmp_gt_i32_e64 s0, s13, v25
	s_delay_alu instid0(VALU_DEP_1) | instskip(SKIP_1) | instid1(VALU_DEP_1)
	v_cndmask_b32_e64 v49, 0, v49, s0
	v_cmp_gt_i32_e64 s0, s23, v26
	v_cndmask_b32_e64 v48, 0, v48, s0
	s_or_b32 exec_lo, exec_lo, s1
	global_load_b128 v[50:53], v[10:11], off offset:5632
	s_wait_xcnt 0x0
	s_and_saveexec_b32 s1, vcc_lo
	s_cbranch_execz .LBB51_53
.LBB51_81:                              ;   in Loop: Header=BB51_36 Depth=1
	v_cmp_gt_i32_e64 s0, s13, v27
	s_wait_loadcnt 0x0
	s_delay_alu instid0(VALU_DEP_1) | instskip(SKIP_1) | instid1(VALU_DEP_1)
	v_cndmask_b32_e64 v51, 0, v51, s0
	v_cmp_gt_i32_e64 s0, s23, v24
	v_cndmask_b32_e64 v50, 0, v50, s0
	v_cmp_gt_i32_e64 s0, s13, v25
	s_delay_alu instid0(VALU_DEP_1) | instskip(SKIP_1) | instid1(VALU_DEP_1)
	v_cndmask_b32_e64 v53, 0, v53, s0
	v_cmp_gt_i32_e64 s0, s23, v26
	v_cndmask_b32_e64 v52, 0, v52, s0
	s_or_b32 exec_lo, exec_lo, s1
	global_load_b128 v[54:57], v[10:11], off offset:6144
	s_wait_xcnt 0x0
	s_and_saveexec_b32 s1, vcc_lo
	s_cbranch_execz .LBB51_54
.LBB51_82:                              ;   in Loop: Header=BB51_36 Depth=1
	v_cmp_gt_i32_e64 s0, s13, v27
	s_wait_loadcnt 0x0
	s_delay_alu instid0(VALU_DEP_1) | instskip(SKIP_1) | instid1(VALU_DEP_1)
	v_cndmask_b32_e64 v55, 0, v55, s0
	v_cmp_gt_i32_e64 s0, s23, v24
	v_cndmask_b32_e64 v54, 0, v54, s0
	v_cmp_gt_i32_e64 s0, s13, v25
	s_delay_alu instid0(VALU_DEP_1) | instskip(SKIP_1) | instid1(VALU_DEP_1)
	v_cndmask_b32_e64 v57, 0, v57, s0
	v_cmp_gt_i32_e64 s0, s23, v26
	v_cndmask_b32_e64 v56, 0, v56, s0
	s_or_b32 exec_lo, exec_lo, s1
	global_load_b128 v[58:61], v[10:11], off offset:6656
	s_wait_xcnt 0x0
	s_and_saveexec_b32 s1, vcc_lo
	s_cbranch_execz .LBB51_55
.LBB51_83:                              ;   in Loop: Header=BB51_36 Depth=1
	v_cmp_gt_i32_e64 s0, s13, v27
	s_wait_loadcnt 0x0
	s_delay_alu instid0(VALU_DEP_1) | instskip(SKIP_1) | instid1(VALU_DEP_1)
	v_cndmask_b32_e64 v59, 0, v59, s0
	v_cmp_gt_i32_e64 s0, s23, v24
	v_cndmask_b32_e64 v58, 0, v58, s0
	v_cmp_gt_i32_e64 s0, s13, v25
	s_delay_alu instid0(VALU_DEP_1) | instskip(SKIP_1) | instid1(VALU_DEP_1)
	v_cndmask_b32_e64 v61, 0, v61, s0
	v_cmp_gt_i32_e64 s0, s23, v26
	v_cndmask_b32_e64 v60, 0, v60, s0
	s_or_b32 exec_lo, exec_lo, s1
	global_load_b128 v[62:65], v[10:11], off offset:7168
	s_wait_xcnt 0x0
	s_and_saveexec_b32 s1, vcc_lo
	s_cbranch_execz .LBB51_56
.LBB51_84:                              ;   in Loop: Header=BB51_36 Depth=1
	v_cmp_gt_i32_e64 s0, s13, v27
	s_wait_loadcnt 0x0
	s_delay_alu instid0(VALU_DEP_1) | instskip(SKIP_1) | instid1(VALU_DEP_1)
	v_cndmask_b32_e64 v63, 0, v63, s0
	v_cmp_gt_i32_e64 s0, s23, v24
	v_cndmask_b32_e64 v62, 0, v62, s0
	v_cmp_gt_i32_e64 s0, s13, v25
	s_delay_alu instid0(VALU_DEP_1) | instskip(SKIP_1) | instid1(VALU_DEP_1)
	v_cndmask_b32_e64 v65, 0, v65, s0
	v_cmp_gt_i32_e64 s0, s23, v26
	v_cndmask_b32_e64 v64, 0, v64, s0
	s_or_b32 exec_lo, exec_lo, s1
	global_load_b128 v[66:69], v[10:11], off offset:7680
	s_wait_xcnt 0x0
	s_and_saveexec_b32 s1, vcc_lo
	s_cbranch_execz .LBB51_57
.LBB51_85:                              ;   in Loop: Header=BB51_36 Depth=1
	v_cmp_gt_i32_e64 s0, s13, v27
	s_wait_loadcnt 0x0
	s_delay_alu instid0(VALU_DEP_1) | instskip(SKIP_1) | instid1(VALU_DEP_1)
	v_cndmask_b32_e64 v67, 0, v67, s0
	v_cmp_gt_i32_e64 s0, s23, v24
	v_cndmask_b32_e64 v66, 0, v66, s0
	v_cmp_gt_i32_e64 s0, s13, v25
	s_delay_alu instid0(VALU_DEP_1) | instskip(SKIP_1) | instid1(VALU_DEP_1)
	v_cndmask_b32_e64 v69, 0, v69, s0
	v_cmp_gt_i32_e64 s0, s23, v26
	v_cndmask_b32_e64 v68, 0, v68, s0
	s_or_b32 exec_lo, exec_lo, s1
	global_load_b128 v[70:73], v[10:11], off offset:8192
	s_wait_xcnt 0x0
	s_and_saveexec_b32 s1, vcc_lo
	s_cbranch_execz .LBB51_58
.LBB51_86:                              ;   in Loop: Header=BB51_36 Depth=1
	v_cmp_gt_i32_e64 s0, s13, v27
	s_wait_loadcnt 0x0
	s_delay_alu instid0(VALU_DEP_1) | instskip(SKIP_1) | instid1(VALU_DEP_1)
	v_cndmask_b32_e64 v71, 0, v71, s0
	v_cmp_gt_i32_e64 s0, s23, v24
	v_cndmask_b32_e64 v70, 0, v70, s0
	v_cmp_gt_i32_e64 s0, s13, v25
	s_delay_alu instid0(VALU_DEP_1) | instskip(SKIP_1) | instid1(VALU_DEP_1)
	v_cndmask_b32_e64 v73, 0, v73, s0
	v_cmp_gt_i32_e64 s0, s23, v26
	v_cndmask_b32_e64 v72, 0, v72, s0
	s_or_b32 exec_lo, exec_lo, s1
	global_load_b128 v[74:77], v[10:11], off offset:8704
	s_wait_xcnt 0x0
	s_and_saveexec_b32 s14, vcc_lo
	s_cbranch_execz .LBB51_59
.LBB51_87:                              ;   in Loop: Header=BB51_36 Depth=1
	v_cmp_gt_i32_e64 s0, s23, v24
	v_cmp_gt_i32_e64 s1, s13, v27
	s_wait_loadcnt 0x0
	s_delay_alu instid0(VALU_DEP_1) | instskip(SKIP_2) | instid1(VALU_DEP_1)
	v_dual_cndmask_b32 v74, 0, v74, s0 :: v_dual_cndmask_b32 v75, 0, v75, s1
	v_cmp_gt_i32_e64 s0, s23, v26
	v_cmp_gt_i32_e64 s1, s13, v25
	v_dual_cndmask_b32 v76, 0, v76, s0 :: v_dual_cndmask_b32 v77, 0, v77, s1
	s_or_b32 exec_lo, exec_lo, s14
	global_load_b128 v[78:81], v[10:11], off offset:9216
	s_wait_xcnt 0x0
	s_and_saveexec_b32 s14, vcc_lo
	s_cbranch_execz .LBB51_60
.LBB51_88:                              ;   in Loop: Header=BB51_36 Depth=1
	v_cmp_gt_i32_e64 s0, s23, v24
	v_cmp_gt_i32_e64 s1, s13, v27
	s_wait_loadcnt 0x0
	s_delay_alu instid0(VALU_DEP_1) | instskip(SKIP_2) | instid1(VALU_DEP_1)
	v_dual_cndmask_b32 v78, 0, v78, s0 :: v_dual_cndmask_b32 v79, 0, v79, s1
	v_cmp_gt_i32_e64 s0, s23, v26
	v_cmp_gt_i32_e64 s1, s13, v25
	v_dual_cndmask_b32 v80, 0, v80, s0 :: v_dual_cndmask_b32 v81, 0, v81, s1
	s_or_b32 exec_lo, exec_lo, s14
	global_load_b128 v[82:85], v[10:11], off offset:9728
	s_wait_xcnt 0x0
	s_and_saveexec_b32 s14, vcc_lo
	s_cbranch_execz .LBB51_61
.LBB51_89:                              ;   in Loop: Header=BB51_36 Depth=1
	v_cmp_gt_i32_e64 s0, s23, v24
	v_cmp_gt_i32_e64 s1, s13, v27
	s_wait_loadcnt 0x0
	s_delay_alu instid0(VALU_DEP_1) | instskip(SKIP_2) | instid1(VALU_DEP_1)
	v_dual_cndmask_b32 v82, 0, v82, s0 :: v_dual_cndmask_b32 v83, 0, v83, s1
	v_cmp_gt_i32_e64 s0, s23, v26
	v_cmp_gt_i32_e64 s1, s13, v25
	v_dual_cndmask_b32 v84, 0, v84, s0 :: v_dual_cndmask_b32 v85, 0, v85, s1
	s_or_b32 exec_lo, exec_lo, s14
	global_load_b128 v[86:89], v[10:11], off offset:10240
	s_wait_xcnt 0x0
	s_and_saveexec_b32 s14, vcc_lo
	s_cbranch_execz .LBB51_62
.LBB51_90:                              ;   in Loop: Header=BB51_36 Depth=1
	v_cmp_gt_i32_e64 s0, s23, v24
	v_cmp_gt_i32_e64 s1, s13, v27
	s_wait_loadcnt 0x0
	s_delay_alu instid0(VALU_DEP_1) | instskip(SKIP_2) | instid1(VALU_DEP_1)
	v_dual_cndmask_b32 v86, 0, v86, s0 :: v_dual_cndmask_b32 v87, 0, v87, s1
	v_cmp_gt_i32_e64 s0, s23, v26
	v_cmp_gt_i32_e64 s1, s13, v25
	v_dual_cndmask_b32 v88, 0, v88, s0 :: v_dual_cndmask_b32 v89, 0, v89, s1
	s_or_b32 exec_lo, exec_lo, s14
	global_load_b128 v[90:93], v[10:11], off offset:10752
	s_wait_xcnt 0x0
	s_and_saveexec_b32 s14, vcc_lo
	s_cbranch_execz .LBB51_63
.LBB51_91:                              ;   in Loop: Header=BB51_36 Depth=1
	v_cmp_gt_i32_e64 s0, s23, v24
	v_cmp_gt_i32_e64 s1, s13, v27
	s_wait_loadcnt 0x0
	s_delay_alu instid0(VALU_DEP_1) | instskip(SKIP_2) | instid1(VALU_DEP_1)
	v_dual_cndmask_b32 v90, 0, v90, s0 :: v_dual_cndmask_b32 v91, 0, v91, s1
	v_cmp_gt_i32_e64 s0, s23, v26
	v_cmp_gt_i32_e64 s1, s13, v25
	v_dual_cndmask_b32 v92, 0, v92, s0 :: v_dual_cndmask_b32 v93, 0, v93, s1
	s_or_b32 exec_lo, exec_lo, s14
	global_load_b128 v[94:97], v[10:11], off offset:11264
	s_wait_xcnt 0x0
	s_and_saveexec_b32 s14, vcc_lo
	s_cbranch_execz .LBB51_64
.LBB51_92:                              ;   in Loop: Header=BB51_36 Depth=1
	v_cmp_gt_i32_e64 s0, s23, v24
	v_cmp_gt_i32_e64 s1, s13, v27
	s_wait_loadcnt 0x0
	s_delay_alu instid0(VALU_DEP_1) | instskip(SKIP_2) | instid1(VALU_DEP_1)
	v_dual_cndmask_b32 v94, 0, v94, s0 :: v_dual_cndmask_b32 v95, 0, v95, s1
	v_cmp_gt_i32_e64 s0, s23, v26
	v_cmp_gt_i32_e64 s1, s13, v25
	v_dual_cndmask_b32 v96, 0, v96, s0 :: v_dual_cndmask_b32 v97, 0, v97, s1
	s_or_b32 exec_lo, exec_lo, s14
	global_load_b128 v[98:101], v[10:11], off offset:11776
	s_wait_xcnt 0x0
	s_and_saveexec_b32 s14, vcc_lo
	s_cbranch_execz .LBB51_65
.LBB51_93:                              ;   in Loop: Header=BB51_36 Depth=1
	v_cmp_gt_i32_e64 s0, s23, v24
	v_cmp_gt_i32_e64 s1, s13, v27
	s_wait_loadcnt 0x0
	s_delay_alu instid0(VALU_DEP_1) | instskip(SKIP_2) | instid1(VALU_DEP_1)
	v_dual_cndmask_b32 v98, 0, v98, s0 :: v_dual_cndmask_b32 v99, 0, v99, s1
	v_cmp_gt_i32_e64 s0, s23, v26
	v_cmp_gt_i32_e64 s1, s13, v25
	v_dual_cndmask_b32 v100, 0, v100, s0 :: v_dual_cndmask_b32 v101, 0, v101, s1
	s_or_b32 exec_lo, exec_lo, s14
	global_load_b128 v[102:105], v[10:11], off offset:12288
	s_wait_xcnt 0x0
	s_and_saveexec_b32 s14, vcc_lo
	s_cbranch_execz .LBB51_66
.LBB51_94:                              ;   in Loop: Header=BB51_36 Depth=1
	v_cmp_gt_i32_e64 s0, s23, v24
	v_cmp_gt_i32_e64 s1, s13, v27
	s_wait_loadcnt 0x0
	s_delay_alu instid0(VALU_DEP_1) | instskip(SKIP_2) | instid1(VALU_DEP_1)
	v_dual_cndmask_b32 v102, 0, v102, s0 :: v_dual_cndmask_b32 v103, 0, v103, s1
	v_cmp_gt_i32_e64 s0, s23, v26
	v_cmp_gt_i32_e64 s1, s13, v25
	v_dual_cndmask_b32 v104, 0, v104, s0 :: v_dual_cndmask_b32 v105, 0, v105, s1
	s_or_b32 exec_lo, exec_lo, s14
	global_load_b128 v[110:113], v[10:11], off offset:12800
	s_wait_xcnt 0x0
	s_and_saveexec_b32 s14, vcc_lo
	s_cbranch_execz .LBB51_67
.LBB51_95:                              ;   in Loop: Header=BB51_36 Depth=1
	v_cmp_gt_i32_e64 s0, s23, v24
	v_cmp_gt_i32_e64 s1, s13, v27
	s_wait_loadcnt 0x0
	s_delay_alu instid0(VALU_DEP_1) | instskip(SKIP_2) | instid1(VALU_DEP_1)
	v_dual_cndmask_b32 v110, 0, v110, s0 :: v_dual_cndmask_b32 v111, 0, v111, s1
	v_cmp_gt_i32_e64 s0, s23, v26
	v_cmp_gt_i32_e64 s1, s13, v25
	v_dual_cndmask_b32 v112, 0, v112, s0 :: v_dual_cndmask_b32 v113, 0, v113, s1
	s_or_b32 exec_lo, exec_lo, s14
	global_load_b128 v[114:117], v[10:11], off offset:13312
	s_wait_xcnt 0x0
	s_and_saveexec_b32 s14, vcc_lo
	s_cbranch_execz .LBB51_68
.LBB51_96:                              ;   in Loop: Header=BB51_36 Depth=1
	v_cmp_gt_i32_e64 s0, s23, v24
	v_cmp_gt_i32_e64 s1, s13, v27
	s_wait_loadcnt 0x0
	s_delay_alu instid0(VALU_DEP_1) | instskip(SKIP_2) | instid1(VALU_DEP_1)
	v_dual_cndmask_b32 v114, 0, v114, s0 :: v_dual_cndmask_b32 v115, 0, v115, s1
	v_cmp_gt_i32_e64 s0, s23, v26
	v_cmp_gt_i32_e64 s1, s13, v25
	v_dual_cndmask_b32 v116, 0, v116, s0 :: v_dual_cndmask_b32 v117, 0, v117, s1
	s_or_b32 exec_lo, exec_lo, s14
	global_load_b128 v[118:121], v[10:11], off offset:13824
	s_wait_xcnt 0x0
	s_and_saveexec_b32 s14, vcc_lo
	s_cbranch_execz .LBB51_69
.LBB51_97:                              ;   in Loop: Header=BB51_36 Depth=1
	v_cmp_gt_i32_e64 s0, s23, v24
	v_cmp_gt_i32_e64 s1, s13, v27
	s_wait_loadcnt 0x0
	s_delay_alu instid0(VALU_DEP_1) | instskip(SKIP_2) | instid1(VALU_DEP_1)
	v_dual_cndmask_b32 v118, 0, v118, s0 :: v_dual_cndmask_b32 v119, 0, v119, s1
	v_cmp_gt_i32_e64 s0, s23, v26
	v_cmp_gt_i32_e64 s1, s13, v25
	v_dual_cndmask_b32 v120, 0, v120, s0 :: v_dual_cndmask_b32 v121, 0, v121, s1
	s_or_b32 exec_lo, exec_lo, s14
	global_load_b128 v[122:125], v[10:11], off offset:14336
	s_wait_xcnt 0x0
	s_and_saveexec_b32 s14, vcc_lo
	s_cbranch_execz .LBB51_70
.LBB51_98:                              ;   in Loop: Header=BB51_36 Depth=1
	v_cmp_gt_i32_e64 s0, s23, v24
	v_cmp_gt_i32_e64 s1, s13, v27
	s_wait_loadcnt 0x0
	s_delay_alu instid0(VALU_DEP_1) | instskip(SKIP_2) | instid1(VALU_DEP_1)
	v_dual_cndmask_b32 v122, 0, v122, s0 :: v_dual_cndmask_b32 v123, 0, v123, s1
	v_cmp_gt_i32_e64 s0, s23, v26
	v_cmp_gt_i32_e64 s1, s13, v25
	v_dual_cndmask_b32 v124, 0, v124, s0 :: v_dual_cndmask_b32 v125, 0, v125, s1
	s_or_b32 exec_lo, exec_lo, s14
	global_load_b128 v[2:5], v[10:11], off offset:14848
	s_wait_xcnt 0x0
	s_and_saveexec_b32 s14, vcc_lo
	s_cbranch_execz .LBB51_71
.LBB51_99:                              ;   in Loop: Header=BB51_36 Depth=1
	v_cmp_gt_i32_e64 s0, s23, v24
	v_cmp_gt_i32_e64 s1, s13, v27
	s_wait_loadcnt 0x0
	s_delay_alu instid0(VALU_DEP_1) | instskip(SKIP_2) | instid1(VALU_DEP_1)
	v_dual_cndmask_b32 v2, 0, v2, s0 :: v_dual_cndmask_b32 v3, 0, v3, s1
	v_cmp_gt_i32_e64 s0, s23, v26
	v_cmp_gt_i32_e64 s1, s13, v25
	v_dual_cndmask_b32 v4, 0, v4, s0 :: v_dual_cndmask_b32 v5, 0, v5, s1
	s_or_b32 exec_lo, exec_lo, s14
	global_load_b128 v[10:13], v[10:11], off offset:15360
	s_wait_xcnt 0x0
	s_and_saveexec_b32 s14, vcc_lo
	s_cbranch_execnz .LBB51_72
	s_branch .LBB51_73
.LBB51_100:
	s_or_b32 exec_lo, exec_lo, s12
	s_clause 0x7
	scratch_load_b64 v[58:59], off, off offset:104
	scratch_load_b64 v[56:57], off, off offset:112
	;; [unrolled: 1-line block ×8, first 2 shown]
.LBB51_101:
	s_wait_xcnt 0x0
	s_or_b32 exec_lo, exec_lo, s25
	s_clause 0x3
	scratch_load_b32 v45, off, off offset:208 th:TH_LOAD_LU
	scratch_load_b32 v62, off, off offset:224 th:TH_LOAD_LU
	scratch_load_b32 v72, off, off offset:220 th:TH_LOAD_LU
	scratch_load_b64 v[60:61], off, off offset:96 th:TH_LOAD_LU
	s_mov_b32 s0, exec_lo
	s_wait_loadcnt 0x3
	ds_bpermute_b32 v24, v45, v126
	ds_bpermute_b32 v25, v45, v127
	;; [unrolled: 1-line block ×21, first 2 shown]
	s_wait_dscnt 0x13
	v_pk_add_f32 v[24:25], v[126:127], v[24:25]
	ds_bpermute_b32 v43, v45, v59
	s_wait_dscnt 0x12
	v_pk_add_f32 v[28:29], v[34:35], v[28:29]
	ds_bpermute_b32 v34, v45, v50
	ds_bpermute_b32 v35, v45, v51
	s_wait_dscnt 0x12
	v_pk_add_f32 v[12:13], v[18:19], v[12:13]
	s_wait_loadcnt 0x2
	ds_bpermute_b32 v32, v62, v24
	ds_bpermute_b32 v33, v62, v25
	s_wait_dscnt 0x12
	v_pk_add_f32 v[2:3], v[22:23], v[2:3]
	s_wait_dscnt 0x10
	v_pk_add_f32 v[10:11], v[20:21], v[10:11]
	ds_bpermute_b32 v26, v62, v12
	ds_bpermute_b32 v27, v62, v13
	s_wait_dscnt 0x10
	v_pk_add_f32 v[16:17], v[16:17], v[4:5]
	s_wait_dscnt 0xe
	v_pk_add_f32 v[0:1], v[0:1], v[8:9]
	ds_bpermute_b32 v4, v62, v2
	ds_bpermute_b32 v5, v62, v3
	;; [unrolled: 1-line block ×4, first 2 shown]
	s_wait_dscnt 0x10
	v_pk_add_f32 v[36:37], v[52:53], v[36:37]
	ds_bpermute_b32 v20, v62, v0
	ds_bpermute_b32 v21, v62, v1
	s_wait_dscnt 0x10
	v_pk_add_f32 v[30:31], v[40:41], v[30:31]
	ds_bpermute_b32 v40, v45, v56
	ds_bpermute_b32 v41, v45, v57
	;; [unrolled: 4-line block ×4, first 2 shown]
	ds_bpermute_b32 v52, v62, v34
	ds_bpermute_b32 v53, v62, v35
	s_wait_dscnt 0xe
	v_pk_add_f32 v[12:13], v[12:13], v[26:27]
	ds_bpermute_b32 v26, v45, v48
	ds_bpermute_b32 v27, v45, v49
	;; [unrolled: 1-line block ×4, first 2 shown]
	s_wait_dscnt 0x10
	v_pk_add_f32 v[4:5], v[2:3], v[4:5]
	s_wait_dscnt 0xe
	v_pk_add_f32 v[2:3], v[10:11], v[22:23]
	s_wait_loadcnt 0x1
	ds_bpermute_b32 v44, v72, v38
	s_wait_dscnt 0xd
	v_pk_add_f32 v[0:1], v[0:1], v[20:21]
	v_pk_add_f32 v[14:15], v[14:15], v[6:7]
	ds_bpermute_b32 v10, v72, v4
	ds_bpermute_b32 v11, v72, v5
	;; [unrolled: 1-line block ×4, first 2 shown]
	s_wait_dscnt 0xf
	v_pk_add_f32 v[40:41], v[56:57], v[40:41]
	s_wait_dscnt 0xd
	v_pk_add_f32 v[36:37], v[36:37], v[54:55]
	ds_bpermute_b32 v6, v62, v16
	s_wait_dscnt 0xc
	v_pk_add_f32 v[32:33], v[64:65], v[32:33]
	ds_bpermute_b32 v7, v62, v17
	;; [unrolled: 3-line block ×3, first 2 shown]
	ds_bpermute_b32 v9, v62, v15
	s_wait_dscnt 0xb
	v_pk_add_f32 v[26:27], v[48:49], v[26:27]
	s_wait_loadcnt 0x0
	ds_bpermute_b32 v48, v45, v60
	ds_bpermute_b32 v49, v45, v61
	;; [unrolled: 1-line block ×3, first 2 shown]
	s_wait_dscnt 0xc
	v_pk_add_f32 v[56:57], v[28:29], v[24:25]
	ds_bpermute_b32 v28, v62, v32
	ds_bpermute_b32 v29, v62, v33
	;; [unrolled: 1-line block ×6, first 2 shown]
	s_wait_dscnt 0xd
	v_pk_add_f32 v[20:21], v[2:3], v[20:21]
	v_pk_add_f32 v[24:25], v[58:59], v[42:43]
	ds_bpermute_b32 v46, v62, v30
	ds_bpermute_b32 v47, v62, v31
	;; [unrolled: 1-line block ×6, first 2 shown]
	s_wait_dscnt 0x11
	v_pk_add_f32 v[6:7], v[16:17], v[6:7]
	s_wait_dscnt 0xf
	v_pk_add_f32 v[8:9], v[14:15], v[8:9]
	ds_bpermute_b32 v14, v72, v0
	s_wait_dscnt 0xe
	v_pk_add_f32 v[48:49], v[60:61], v[48:49]
	ds_bpermute_b32 v15, v72, v1
	ds_bpermute_b32 v16, v72, v6
	;; [unrolled: 1-line block ×3, first 2 shown]
	s_wait_dscnt 0xe
	v_pk_add_f32 v[64:65], v[32:33], v[28:29]
	v_pk_add_f32 v[28:29], v[4:5], v[10:11]
	;; [unrolled: 1-line block ×3, first 2 shown]
	s_wait_dscnt 0xc
	v_pk_add_f32 v[2:3], v[34:35], v[54:55]
	s_clause 0x1
	scratch_load_b32 v44, off, off offset:204
	scratch_load_b32 v34, off, off offset:212 th:TH_LOAD_LU
	s_wait_dscnt 0xa
	v_pk_add_f32 v[50:51], v[26:27], v[50:51]
	ds_bpermute_b32 v26, v62, v48
	ds_bpermute_b32 v27, v62, v49
	s_wait_dscnt 0xa
	v_pk_add_f32 v[46:47], v[30:31], v[46:47]
	s_wait_dscnt 0x8
	v_pk_add_f32 v[40:41], v[40:41], v[42:43]
	ds_bpermute_b32 v18, v72, v8
	s_wait_dscnt 0x7
	v_pk_add_f32 v[42:43], v[24:25], v[58:59]
	ds_bpermute_b32 v19, v72, v9
	ds_bpermute_b32 v22, v72, v12
	;; [unrolled: 1-line block ×17, first 2 shown]
	s_wait_dscnt 0x12
	v_pk_add_f32 v[30:31], v[48:49], v[26:27]
	v_pk_add_f32 v[24:25], v[6:7], v[16:17]
	;; [unrolled: 1-line block ×3, first 2 shown]
	s_wait_dscnt 0x10
	v_pk_add_f32 v[18:19], v[8:9], v[18:19]
	s_wait_storecnt 0x0
	s_wait_loadcnt_dscnt 0x0
	ds_bpermute_b32 v32, v72, v30
	ds_bpermute_b32 v33, v72, v31
	v_pk_add_f32 v[14:15], v[12:13], v[22:23]
	v_pk_add_f32 v[8:9], v[56:57], v[60:61]
	;; [unrolled: 1-line block ×3, first 2 shown]
	s_barrier_signal -1
	v_pk_add_f32 v[4:5], v[50:51], v[52:53]
	s_barrier_wait -1
	v_pk_add_f32 v[0:1], v[36:37], v[66:67]
	s_wait_dscnt 0x0
	v_pk_add_f32 v[22:23], v[64:65], v[58:59]
	v_pk_add_f32 v[16:17], v[40:41], v[68:69]
	;; [unrolled: 1-line block ×3, first 2 shown]
	v_and_b32_e32 v35, 0x3c7, v44
	v_lshrrev_b32_e32 v34, 3, v34
	s_delay_alu instid0(VALU_DEP_2) | instskip(SKIP_1) | instid1(SALU_CYCLE_1)
	v_cmpx_ne_u32_e32 64, v35
	s_xor_b32 s0, exec_lo, s0
	s_or_saveexec_b32 s0, s0
	v_pk_add_f32 v[30:31], v[30:31], v[32:33]
	scratch_load_b32 v32, off, off offset:200 th:TH_LOAD_LU ; 4-byte Folded Reload
	v_lshl_add_u32 v33, v34, 2, 0x220
	s_wait_loadcnt 0x0
	v_lshlrev_b32_e32 v32, 9, v32
	s_xor_b32 exec_lo, exec_lo, s0
	s_cbranch_execz .LBB51_103
; %bb.102:
	s_delay_alu instid0(VALU_DEP_1) | instskip(NEXT) | instid1(VALU_DEP_1)
	v_add_nc_u32_e32 v35, v33, v32
	v_add_nc_u32_e32 v36, 0xfffffc00, v35
	v_add_nc_u32_e32 v37, 0xfffffc10, v35
	v_add_nc_u32_e32 v38, 0xfffffc20, v35
	v_add_nc_u32_e32 v39, 0xfffffc30, v35
	v_add_nc_u32_e32 v40, 0xfffffc40, v35
	v_add_nc_u32_e32 v41, 0xfffffc50, v35
	v_add_nc_u32_e32 v42, 0xfffffc60, v35
	v_add_nc_u32_e32 v43, 0xfffffc70, v35
	ds_store_b32 v36, v28
	ds_store_b32 v37, v29
	ds_store_b32 v38, v24
	ds_store_b32 v39, v25
	ds_store_b32 v40, v18
	ds_store_b32 v41, v19
	ds_store_b32 v42, v26
	ds_store_b32 v43, v27
	v_add_nc_u32_e32 v36, 0xfffffc80, v35
	v_add_nc_u32_e32 v37, 0xfffffc90, v35
	v_add_nc_u32_e32 v38, 0xfffffca0, v35
	v_add_nc_u32_e32 v39, 0xfffffcb0, v35
	v_add_nc_u32_e32 v40, 0xfffffcc0, v35
	v_add_nc_u32_e32 v41, 0xfffffcd0, v35
	v_add_nc_u32_e32 v42, 0xfffffce0, v35
	v_add_nc_u32_e32 v43, 0xfffffcf0, v35
	ds_store_b32 v36, v20
	ds_store_b32 v37, v21
	ds_store_b32 v38, v14
	ds_store_b32 v39, v15
	ds_store_b32 v40, v10
	ds_store_b32 v41, v11
	ds_store_b32 v42, v8
	ds_store_b32 v43, v9
	v_add_nc_u32_e32 v36, 0xfffffd00, v35
	v_add_nc_u32_e32 v37, 0xfffffd10, v35
	v_add_nc_u32_e32 v38, 0xfffffd20, v35
	v_add_nc_u32_e32 v39, 0xfffffd30, v35
	v_add_nc_u32_e32 v40, 0xfffffd40, v35
	v_add_nc_u32_e32 v41, 0xfffffd50, v35
	v_add_nc_u32_e32 v42, 0xfffffd60, v35
	v_add_nc_u32_e32 v43, 0xfffffd70, v35
	;; [unrolled: 16-line block ×3, first 2 shown]
	ds_store_b32 v36, v22
	ds_store_b32 v37, v23
	;; [unrolled: 1-line block ×8, first 2 shown]
.LBB51_103:
	s_or_b32 exec_lo, exec_lo, s0
	scratch_load_b32 v35, off, off offset:216 th:TH_LOAD_LU ; 4-byte Folded Reload
	v_lshlrev_b32_e32 v34, 2, v34
	s_mov_b32 s1, exec_lo
	s_wait_loadcnt_dscnt 0x0
	s_barrier_signal -1
	s_barrier_wait -1
	v_add3_u32 v32, 0x220, v32, v34
	v_cmp_eq_u32_e32 vcc_lo, 0, v35
	v_cmpx_gt_u32_e32 64, v44
	s_cbranch_execz .LBB51_138
; %bb.104:
	s_and_saveexec_b32 s0, vcc_lo
	s_cbranch_execnz .LBB51_178
; %bb.105:
	s_or_b32 exec_lo, exec_lo, s0
	s_and_saveexec_b32 s0, vcc_lo
	s_cbranch_execnz .LBB51_179
.LBB51_106:
	s_or_b32 exec_lo, exec_lo, s0
	s_and_saveexec_b32 s0, vcc_lo
	s_cbranch_execnz .LBB51_180
.LBB51_107:
	s_or_b32 exec_lo, exec_lo, s0
	s_and_saveexec_b32 s0, vcc_lo
	s_cbranch_execnz .LBB51_181
.LBB51_108:
	s_or_b32 exec_lo, exec_lo, s0
	s_and_saveexec_b32 s0, vcc_lo
	s_cbranch_execnz .LBB51_182
.LBB51_109:
	s_or_b32 exec_lo, exec_lo, s0
	s_and_saveexec_b32 s0, vcc_lo
	s_cbranch_execnz .LBB51_183
.LBB51_110:
	s_or_b32 exec_lo, exec_lo, s0
	s_and_saveexec_b32 s0, vcc_lo
	s_cbranch_execnz .LBB51_184
.LBB51_111:
	s_or_b32 exec_lo, exec_lo, s0
	s_and_saveexec_b32 s0, vcc_lo
	s_cbranch_execnz .LBB51_185
.LBB51_112:
	s_or_b32 exec_lo, exec_lo, s0
	s_and_saveexec_b32 s0, vcc_lo
	s_cbranch_execnz .LBB51_186
.LBB51_113:
	s_or_b32 exec_lo, exec_lo, s0
	s_and_saveexec_b32 s0, vcc_lo
	s_cbranch_execnz .LBB51_187
.LBB51_114:
	s_or_b32 exec_lo, exec_lo, s0
	s_and_saveexec_b32 s0, vcc_lo
	s_cbranch_execnz .LBB51_188
.LBB51_115:
	s_or_b32 exec_lo, exec_lo, s0
	s_and_saveexec_b32 s0, vcc_lo
	s_cbranch_execnz .LBB51_189
.LBB51_116:
	s_or_b32 exec_lo, exec_lo, s0
	s_and_saveexec_b32 s0, vcc_lo
	s_cbranch_execnz .LBB51_190
.LBB51_117:
	s_or_b32 exec_lo, exec_lo, s0
	s_and_saveexec_b32 s0, vcc_lo
	s_cbranch_execnz .LBB51_191
.LBB51_118:
	s_or_b32 exec_lo, exec_lo, s0
	s_and_saveexec_b32 s0, vcc_lo
	s_cbranch_execnz .LBB51_192
.LBB51_119:
	s_or_b32 exec_lo, exec_lo, s0
	s_and_saveexec_b32 s0, vcc_lo
	s_cbranch_execnz .LBB51_193
.LBB51_120:
	s_or_b32 exec_lo, exec_lo, s0
	s_and_saveexec_b32 s0, vcc_lo
	s_cbranch_execnz .LBB51_194
.LBB51_121:
	s_or_b32 exec_lo, exec_lo, s0
	s_and_saveexec_b32 s0, vcc_lo
	s_cbranch_execnz .LBB51_195
.LBB51_122:
	s_or_b32 exec_lo, exec_lo, s0
	s_and_saveexec_b32 s0, vcc_lo
	s_cbranch_execnz .LBB51_196
.LBB51_123:
	s_or_b32 exec_lo, exec_lo, s0
	s_and_saveexec_b32 s0, vcc_lo
	s_cbranch_execnz .LBB51_197
.LBB51_124:
	s_or_b32 exec_lo, exec_lo, s0
	s_and_saveexec_b32 s0, vcc_lo
	s_cbranch_execnz .LBB51_198
.LBB51_125:
	s_or_b32 exec_lo, exec_lo, s0
	s_and_saveexec_b32 s0, vcc_lo
	s_cbranch_execnz .LBB51_199
.LBB51_126:
	s_or_b32 exec_lo, exec_lo, s0
	s_and_saveexec_b32 s0, vcc_lo
	s_cbranch_execnz .LBB51_200
.LBB51_127:
	s_or_b32 exec_lo, exec_lo, s0
	s_and_saveexec_b32 s0, vcc_lo
	s_cbranch_execnz .LBB51_201
.LBB51_128:
	s_or_b32 exec_lo, exec_lo, s0
	s_and_saveexec_b32 s0, vcc_lo
	s_cbranch_execnz .LBB51_202
.LBB51_129:
	s_or_b32 exec_lo, exec_lo, s0
	s_and_saveexec_b32 s0, vcc_lo
	s_cbranch_execnz .LBB51_203
.LBB51_130:
	s_or_b32 exec_lo, exec_lo, s0
	s_and_saveexec_b32 s0, vcc_lo
	s_cbranch_execnz .LBB51_204
.LBB51_131:
	s_or_b32 exec_lo, exec_lo, s0
	s_and_saveexec_b32 s0, vcc_lo
	s_cbranch_execnz .LBB51_205
.LBB51_132:
	s_or_b32 exec_lo, exec_lo, s0
	s_and_saveexec_b32 s0, vcc_lo
	s_cbranch_execnz .LBB51_206
.LBB51_133:
	s_or_b32 exec_lo, exec_lo, s0
	s_and_saveexec_b32 s0, vcc_lo
	s_cbranch_execnz .LBB51_207
.LBB51_134:
	s_or_b32 exec_lo, exec_lo, s0
	s_and_saveexec_b32 s0, vcc_lo
	s_cbranch_execnz .LBB51_208
.LBB51_135:
	s_or_b32 exec_lo, exec_lo, s0
	s_and_saveexec_b32 s0, vcc_lo
	s_cbranch_execz .LBB51_137
.LBB51_136:
	ds_load_b32 v34, v32 offset:496
	s_wait_dscnt 0x0
	v_add_f32_e32 v31, v31, v34
.LBB51_137:
	s_or_b32 exec_lo, exec_lo, s0
.LBB51_138:
	s_delay_alu instid0(SALU_CYCLE_1) | instskip(SKIP_4) | instid1(VALU_DEP_1)
	s_or_b32 exec_lo, exec_lo, s1
	v_and_b32_e32 v34, 0x3e7, v44
	s_mov_b32 s1, exec_lo
	s_barrier_signal -1
	s_barrier_wait -1
	v_cmpx_eq_u32_e32 32, v34
	s_cbranch_execz .LBB51_140
; %bb.139:
	ds_store_2addr_b32 v33, v28, v29 offset1:4
	ds_store_2addr_b32 v33, v24, v25 offset0:8 offset1:12
	ds_store_2addr_b32 v33, v18, v19 offset0:16 offset1:20
	;; [unrolled: 1-line block ×15, first 2 shown]
.LBB51_140:
	s_or_b32 exec_lo, exec_lo, s1
	s_wait_dscnt 0x0
	s_barrier_signal -1
	s_barrier_wait -1
	s_and_saveexec_b32 s0, s2
	s_cbranch_execz .LBB51_175
; %bb.141:
	s_and_saveexec_b32 s1, vcc_lo
	s_cbranch_execnz .LBB51_209
; %bb.142:
	s_or_b32 exec_lo, exec_lo, s1
	s_and_saveexec_b32 s1, vcc_lo
	s_cbranch_execnz .LBB51_210
.LBB51_143:
	s_or_b32 exec_lo, exec_lo, s1
	s_and_saveexec_b32 s1, vcc_lo
	s_cbranch_execnz .LBB51_211
.LBB51_144:
	s_or_b32 exec_lo, exec_lo, s1
	s_and_saveexec_b32 s1, vcc_lo
	s_cbranch_execnz .LBB51_212
.LBB51_145:
	s_or_b32 exec_lo, exec_lo, s1
	s_and_saveexec_b32 s1, vcc_lo
	s_cbranch_execnz .LBB51_213
.LBB51_146:
	s_or_b32 exec_lo, exec_lo, s1
	s_and_saveexec_b32 s1, vcc_lo
	s_cbranch_execnz .LBB51_214
.LBB51_147:
	s_or_b32 exec_lo, exec_lo, s1
	s_and_saveexec_b32 s1, vcc_lo
	s_cbranch_execnz .LBB51_215
.LBB51_148:
	s_or_b32 exec_lo, exec_lo, s1
	s_and_saveexec_b32 s1, vcc_lo
	s_cbranch_execnz .LBB51_216
.LBB51_149:
	s_or_b32 exec_lo, exec_lo, s1
	s_and_saveexec_b32 s1, vcc_lo
	s_cbranch_execnz .LBB51_217
.LBB51_150:
	s_or_b32 exec_lo, exec_lo, s1
	s_and_saveexec_b32 s1, vcc_lo
	s_cbranch_execnz .LBB51_218
.LBB51_151:
	s_or_b32 exec_lo, exec_lo, s1
	s_and_saveexec_b32 s1, vcc_lo
	s_cbranch_execnz .LBB51_219
.LBB51_152:
	s_or_b32 exec_lo, exec_lo, s1
	s_and_saveexec_b32 s1, vcc_lo
	s_cbranch_execnz .LBB51_220
.LBB51_153:
	s_or_b32 exec_lo, exec_lo, s1
	s_and_saveexec_b32 s1, vcc_lo
	s_cbranch_execnz .LBB51_221
.LBB51_154:
	s_or_b32 exec_lo, exec_lo, s1
	s_and_saveexec_b32 s1, vcc_lo
	s_cbranch_execnz .LBB51_222
.LBB51_155:
	s_or_b32 exec_lo, exec_lo, s1
	s_and_saveexec_b32 s1, vcc_lo
	s_cbranch_execnz .LBB51_223
.LBB51_156:
	s_or_b32 exec_lo, exec_lo, s1
	s_and_saveexec_b32 s1, vcc_lo
	s_cbranch_execnz .LBB51_224
.LBB51_157:
	s_or_b32 exec_lo, exec_lo, s1
	s_and_saveexec_b32 s1, vcc_lo
	s_cbranch_execnz .LBB51_225
.LBB51_158:
	s_or_b32 exec_lo, exec_lo, s1
	s_and_saveexec_b32 s1, vcc_lo
	s_cbranch_execnz .LBB51_226
.LBB51_159:
	s_or_b32 exec_lo, exec_lo, s1
	s_and_saveexec_b32 s1, vcc_lo
	s_cbranch_execnz .LBB51_227
.LBB51_160:
	s_or_b32 exec_lo, exec_lo, s1
	s_and_saveexec_b32 s1, vcc_lo
	s_cbranch_execnz .LBB51_228
.LBB51_161:
	s_or_b32 exec_lo, exec_lo, s1
	s_and_saveexec_b32 s1, vcc_lo
	s_cbranch_execnz .LBB51_229
.LBB51_162:
	s_or_b32 exec_lo, exec_lo, s1
	s_and_saveexec_b32 s1, vcc_lo
	s_cbranch_execnz .LBB51_230
.LBB51_163:
	s_or_b32 exec_lo, exec_lo, s1
	s_and_saveexec_b32 s1, vcc_lo
	s_cbranch_execnz .LBB51_231
.LBB51_164:
	s_or_b32 exec_lo, exec_lo, s1
	s_and_saveexec_b32 s1, vcc_lo
	s_cbranch_execnz .LBB51_232
.LBB51_165:
	s_or_b32 exec_lo, exec_lo, s1
	s_and_saveexec_b32 s1, vcc_lo
	s_cbranch_execnz .LBB51_233
.LBB51_166:
	s_or_b32 exec_lo, exec_lo, s1
	s_and_saveexec_b32 s1, vcc_lo
	s_cbranch_execnz .LBB51_234
.LBB51_167:
	s_or_b32 exec_lo, exec_lo, s1
	s_and_saveexec_b32 s1, vcc_lo
	s_cbranch_execnz .LBB51_235
.LBB51_168:
	s_or_b32 exec_lo, exec_lo, s1
	s_and_saveexec_b32 s1, vcc_lo
	s_cbranch_execnz .LBB51_236
.LBB51_169:
	s_or_b32 exec_lo, exec_lo, s1
	s_and_saveexec_b32 s1, vcc_lo
	s_cbranch_execnz .LBB51_237
.LBB51_170:
	s_or_b32 exec_lo, exec_lo, s1
	s_and_saveexec_b32 s1, vcc_lo
	s_cbranch_execnz .LBB51_238
.LBB51_171:
	s_or_b32 exec_lo, exec_lo, s1
	s_and_saveexec_b32 s1, vcc_lo
	s_cbranch_execnz .LBB51_239
.LBB51_172:
	s_or_b32 exec_lo, exec_lo, s1
	s_and_saveexec_b32 s1, vcc_lo
	s_cbranch_execz .LBB51_174
.LBB51_173:
	ds_load_b32 v32, v32 offset:496
	s_wait_dscnt 0x0
	v_add_f32_e32 v31, v31, v32
.LBB51_174:
	s_or_b32 exec_lo, exec_lo, s1
.LBB51_175:
	s_delay_alu instid0(SALU_CYCLE_1)
	s_or_b32 exec_lo, exec_lo, s0
	s_mov_b32 s1, 0
	s_barrier_signal -1
	s_barrier_wait -1
	s_mov_b32 s0, exec_lo
	v_cmpx_eq_u32_e32 0, v34
	s_cbranch_execz .LBB51_177
; %bb.176:
	s_mul_i32 s0, s22, s9
	s_mul_i32 s2, s9, s8
	;; [unrolled: 1-line block ×3, first 2 shown]
	s_lshr_b32 s8, ttmp7, 16
	s_lshl_b32 s4, s0, 7
	s_bfe_u32 s0, ttmp6, 0x40014
	s_ashr_i32 s5, s4, 31
	s_add_co_i32 s0, s0, 1
	s_lshl_b64 s[4:5], s[4:5], 2
	s_ashr_i32 s3, s2, 31
	s_wait_kmcnt 0x0
	s_add_nc_u64 s[4:5], s[6:7], s[4:5]
	s_mul_i32 s0, s8, s0
	s_bfe_u32 s6, ttmp6, 0x40008
	s_lshl_b64 s[2:3], s[2:3], 2
	s_add_co_i32 s6, s6, s0
	s_cmp_eq_u32 s20, 0
	v_lshrrev_b32_e32 v32, 1, v44
	s_cselect_b32 s0, s8, s6
	s_add_nc_u64 s[2:3], s[4:5], s[2:3]
	s_lshl_b32 s0, s0, 9
	s_delay_alu instid0(SALU_CYCLE_1)
	s_add_nc_u64 s[0:1], s[2:3], s[0:1]
	s_clause 0x1f
	global_store_b32 v32, v28, s[0:1]
	global_store_b32 v32, v29, s[0:1] offset:16
	global_store_b32 v32, v24, s[0:1] offset:32
	global_store_b32 v32, v25, s[0:1] offset:48
	global_store_b32 v32, v18, s[0:1] offset:64
	global_store_b32 v32, v19, s[0:1] offset:80
	global_store_b32 v32, v26, s[0:1] offset:96
	global_store_b32 v32, v27, s[0:1] offset:112
	global_store_b32 v32, v20, s[0:1] offset:128
	global_store_b32 v32, v21, s[0:1] offset:144
	global_store_b32 v32, v14, s[0:1] offset:160
	global_store_b32 v32, v15, s[0:1] offset:176
	global_store_b32 v32, v10, s[0:1] offset:192
	global_store_b32 v32, v11, s[0:1] offset:208
	global_store_b32 v32, v8, s[0:1] offset:224
	global_store_b32 v32, v9, s[0:1] offset:240
	global_store_b32 v32, v6, s[0:1] offset:256
	global_store_b32 v32, v7, s[0:1] offset:272
	global_store_b32 v32, v4, s[0:1] offset:288
	global_store_b32 v32, v5, s[0:1] offset:304
	global_store_b32 v32, v2, s[0:1] offset:320
	global_store_b32 v32, v3, s[0:1] offset:336
	global_store_b32 v32, v0, s[0:1] offset:352
	global_store_b32 v32, v1, s[0:1] offset:368
	global_store_b32 v32, v22, s[0:1] offset:384
	global_store_b32 v32, v23, s[0:1] offset:400
	global_store_b32 v32, v16, s[0:1] offset:416
	global_store_b32 v32, v17, s[0:1] offset:432
	global_store_b32 v32, v12, s[0:1] offset:448
	global_store_b32 v32, v13, s[0:1] offset:464
	global_store_b32 v32, v30, s[0:1] offset:480
	global_store_b32 v32, v31, s[0:1] offset:496
.LBB51_177:
	s_sendmsg sendmsg(MSG_DEALLOC_VGPRS)
	s_endpgm
.LBB51_178:
	ds_load_b32 v34, v32
	s_wait_dscnt 0x0
	v_add_f32_e32 v28, v28, v34
	s_or_b32 exec_lo, exec_lo, s0
	s_and_saveexec_b32 s0, vcc_lo
	s_cbranch_execz .LBB51_106
.LBB51_179:
	ds_load_b32 v34, v32 offset:16
	s_wait_dscnt 0x0
	v_add_f32_e32 v29, v29, v34
	s_or_b32 exec_lo, exec_lo, s0
	s_and_saveexec_b32 s0, vcc_lo
	s_cbranch_execz .LBB51_107
.LBB51_180:
	ds_load_b32 v34, v32 offset:32
	s_wait_dscnt 0x0
	v_add_f32_e32 v24, v24, v34
	s_or_b32 exec_lo, exec_lo, s0
	s_and_saveexec_b32 s0, vcc_lo
	s_cbranch_execz .LBB51_108
.LBB51_181:
	ds_load_b32 v34, v32 offset:48
	s_wait_dscnt 0x0
	v_add_f32_e32 v25, v25, v34
	s_or_b32 exec_lo, exec_lo, s0
	s_and_saveexec_b32 s0, vcc_lo
	s_cbranch_execz .LBB51_109
.LBB51_182:
	ds_load_b32 v34, v32 offset:64
	s_wait_dscnt 0x0
	v_add_f32_e32 v18, v18, v34
	s_or_b32 exec_lo, exec_lo, s0
	s_and_saveexec_b32 s0, vcc_lo
	s_cbranch_execz .LBB51_110
.LBB51_183:
	ds_load_b32 v34, v32 offset:80
	s_wait_dscnt 0x0
	v_add_f32_e32 v19, v19, v34
	s_or_b32 exec_lo, exec_lo, s0
	s_and_saveexec_b32 s0, vcc_lo
	s_cbranch_execz .LBB51_111
.LBB51_184:
	ds_load_b32 v34, v32 offset:96
	s_wait_dscnt 0x0
	v_add_f32_e32 v26, v26, v34
	s_or_b32 exec_lo, exec_lo, s0
	s_and_saveexec_b32 s0, vcc_lo
	s_cbranch_execz .LBB51_112
.LBB51_185:
	ds_load_b32 v34, v32 offset:112
	s_wait_dscnt 0x0
	v_add_f32_e32 v27, v27, v34
	s_or_b32 exec_lo, exec_lo, s0
	s_and_saveexec_b32 s0, vcc_lo
	s_cbranch_execz .LBB51_113
.LBB51_186:
	ds_load_b32 v34, v32 offset:128
	s_wait_dscnt 0x0
	v_add_f32_e32 v20, v20, v34
	s_or_b32 exec_lo, exec_lo, s0
	s_and_saveexec_b32 s0, vcc_lo
	s_cbranch_execz .LBB51_114
.LBB51_187:
	ds_load_b32 v34, v32 offset:144
	s_wait_dscnt 0x0
	v_add_f32_e32 v21, v21, v34
	s_or_b32 exec_lo, exec_lo, s0
	s_and_saveexec_b32 s0, vcc_lo
	s_cbranch_execz .LBB51_115
.LBB51_188:
	ds_load_b32 v34, v32 offset:160
	s_wait_dscnt 0x0
	v_add_f32_e32 v14, v14, v34
	s_or_b32 exec_lo, exec_lo, s0
	s_and_saveexec_b32 s0, vcc_lo
	s_cbranch_execz .LBB51_116
.LBB51_189:
	ds_load_b32 v34, v32 offset:176
	s_wait_dscnt 0x0
	v_add_f32_e32 v15, v15, v34
	s_or_b32 exec_lo, exec_lo, s0
	s_and_saveexec_b32 s0, vcc_lo
	s_cbranch_execz .LBB51_117
.LBB51_190:
	ds_load_b32 v34, v32 offset:192
	s_wait_dscnt 0x0
	v_add_f32_e32 v10, v10, v34
	s_or_b32 exec_lo, exec_lo, s0
	s_and_saveexec_b32 s0, vcc_lo
	s_cbranch_execz .LBB51_118
.LBB51_191:
	ds_load_b32 v34, v32 offset:208
	s_wait_dscnt 0x0
	v_add_f32_e32 v11, v11, v34
	s_or_b32 exec_lo, exec_lo, s0
	s_and_saveexec_b32 s0, vcc_lo
	s_cbranch_execz .LBB51_119
.LBB51_192:
	ds_load_b32 v34, v32 offset:224
	s_wait_dscnt 0x0
	v_add_f32_e32 v8, v8, v34
	s_or_b32 exec_lo, exec_lo, s0
	s_and_saveexec_b32 s0, vcc_lo
	s_cbranch_execz .LBB51_120
.LBB51_193:
	ds_load_b32 v34, v32 offset:240
	s_wait_dscnt 0x0
	v_add_f32_e32 v9, v9, v34
	s_or_b32 exec_lo, exec_lo, s0
	s_and_saveexec_b32 s0, vcc_lo
	s_cbranch_execz .LBB51_121
.LBB51_194:
	ds_load_b32 v34, v32 offset:256
	s_wait_dscnt 0x0
	v_add_f32_e32 v6, v6, v34
	s_or_b32 exec_lo, exec_lo, s0
	s_and_saveexec_b32 s0, vcc_lo
	s_cbranch_execz .LBB51_122
.LBB51_195:
	ds_load_b32 v34, v32 offset:272
	s_wait_dscnt 0x0
	v_add_f32_e32 v7, v7, v34
	s_or_b32 exec_lo, exec_lo, s0
	s_and_saveexec_b32 s0, vcc_lo
	s_cbranch_execz .LBB51_123
.LBB51_196:
	ds_load_b32 v34, v32 offset:288
	s_wait_dscnt 0x0
	v_add_f32_e32 v4, v4, v34
	s_or_b32 exec_lo, exec_lo, s0
	s_and_saveexec_b32 s0, vcc_lo
	s_cbranch_execz .LBB51_124
.LBB51_197:
	ds_load_b32 v34, v32 offset:304
	s_wait_dscnt 0x0
	v_add_f32_e32 v5, v5, v34
	s_or_b32 exec_lo, exec_lo, s0
	s_and_saveexec_b32 s0, vcc_lo
	s_cbranch_execz .LBB51_125
.LBB51_198:
	ds_load_b32 v34, v32 offset:320
	s_wait_dscnt 0x0
	v_add_f32_e32 v2, v2, v34
	s_or_b32 exec_lo, exec_lo, s0
	s_and_saveexec_b32 s0, vcc_lo
	s_cbranch_execz .LBB51_126
.LBB51_199:
	ds_load_b32 v34, v32 offset:336
	s_wait_dscnt 0x0
	v_add_f32_e32 v3, v3, v34
	s_or_b32 exec_lo, exec_lo, s0
	s_and_saveexec_b32 s0, vcc_lo
	s_cbranch_execz .LBB51_127
.LBB51_200:
	ds_load_b32 v34, v32 offset:352
	s_wait_dscnt 0x0
	v_add_f32_e32 v0, v0, v34
	s_or_b32 exec_lo, exec_lo, s0
	s_and_saveexec_b32 s0, vcc_lo
	s_cbranch_execz .LBB51_128
.LBB51_201:
	ds_load_b32 v34, v32 offset:368
	s_wait_dscnt 0x0
	v_add_f32_e32 v1, v1, v34
	s_or_b32 exec_lo, exec_lo, s0
	s_and_saveexec_b32 s0, vcc_lo
	s_cbranch_execz .LBB51_129
.LBB51_202:
	ds_load_b32 v34, v32 offset:384
	s_wait_dscnt 0x0
	v_add_f32_e32 v22, v22, v34
	s_or_b32 exec_lo, exec_lo, s0
	s_and_saveexec_b32 s0, vcc_lo
	s_cbranch_execz .LBB51_130
.LBB51_203:
	ds_load_b32 v34, v32 offset:400
	s_wait_dscnt 0x0
	v_add_f32_e32 v23, v23, v34
	s_or_b32 exec_lo, exec_lo, s0
	s_and_saveexec_b32 s0, vcc_lo
	s_cbranch_execz .LBB51_131
.LBB51_204:
	ds_load_b32 v34, v32 offset:416
	s_wait_dscnt 0x0
	v_add_f32_e32 v16, v16, v34
	s_or_b32 exec_lo, exec_lo, s0
	s_and_saveexec_b32 s0, vcc_lo
	s_cbranch_execz .LBB51_132
.LBB51_205:
	ds_load_b32 v34, v32 offset:432
	s_wait_dscnt 0x0
	v_add_f32_e32 v17, v17, v34
	s_or_b32 exec_lo, exec_lo, s0
	s_and_saveexec_b32 s0, vcc_lo
	s_cbranch_execz .LBB51_133
.LBB51_206:
	ds_load_b32 v34, v32 offset:448
	s_wait_dscnt 0x0
	v_add_f32_e32 v12, v12, v34
	s_or_b32 exec_lo, exec_lo, s0
	s_and_saveexec_b32 s0, vcc_lo
	s_cbranch_execz .LBB51_134
.LBB51_207:
	ds_load_b32 v34, v32 offset:464
	s_wait_dscnt 0x0
	v_add_f32_e32 v13, v13, v34
	s_or_b32 exec_lo, exec_lo, s0
	s_and_saveexec_b32 s0, vcc_lo
	s_cbranch_execz .LBB51_135
.LBB51_208:
	ds_load_b32 v34, v32 offset:480
	s_wait_dscnt 0x0
	v_add_f32_e32 v30, v30, v34
	s_or_b32 exec_lo, exec_lo, s0
	s_and_saveexec_b32 s0, vcc_lo
	s_cbranch_execnz .LBB51_136
	s_branch .LBB51_137
.LBB51_209:
	ds_load_b32 v33, v32
	s_wait_dscnt 0x0
	v_add_f32_e32 v28, v28, v33
	s_or_b32 exec_lo, exec_lo, s1
	s_and_saveexec_b32 s1, vcc_lo
	s_cbranch_execz .LBB51_143
.LBB51_210:
	ds_load_b32 v33, v32 offset:16
	s_wait_dscnt 0x0
	v_add_f32_e32 v29, v29, v33
	s_or_b32 exec_lo, exec_lo, s1
	s_and_saveexec_b32 s1, vcc_lo
	s_cbranch_execz .LBB51_144
.LBB51_211:
	ds_load_b32 v33, v32 offset:32
	s_wait_dscnt 0x0
	v_add_f32_e32 v24, v24, v33
	s_or_b32 exec_lo, exec_lo, s1
	s_and_saveexec_b32 s1, vcc_lo
	s_cbranch_execz .LBB51_145
.LBB51_212:
	ds_load_b32 v33, v32 offset:48
	s_wait_dscnt 0x0
	v_add_f32_e32 v25, v25, v33
	s_or_b32 exec_lo, exec_lo, s1
	s_and_saveexec_b32 s1, vcc_lo
	s_cbranch_execz .LBB51_146
.LBB51_213:
	ds_load_b32 v33, v32 offset:64
	s_wait_dscnt 0x0
	v_add_f32_e32 v18, v18, v33
	s_or_b32 exec_lo, exec_lo, s1
	s_and_saveexec_b32 s1, vcc_lo
	s_cbranch_execz .LBB51_147
.LBB51_214:
	ds_load_b32 v33, v32 offset:80
	s_wait_dscnt 0x0
	v_add_f32_e32 v19, v19, v33
	s_or_b32 exec_lo, exec_lo, s1
	s_and_saveexec_b32 s1, vcc_lo
	s_cbranch_execz .LBB51_148
.LBB51_215:
	ds_load_b32 v33, v32 offset:96
	s_wait_dscnt 0x0
	v_add_f32_e32 v26, v26, v33
	s_or_b32 exec_lo, exec_lo, s1
	s_and_saveexec_b32 s1, vcc_lo
	s_cbranch_execz .LBB51_149
.LBB51_216:
	ds_load_b32 v33, v32 offset:112
	s_wait_dscnt 0x0
	v_add_f32_e32 v27, v27, v33
	s_or_b32 exec_lo, exec_lo, s1
	s_and_saveexec_b32 s1, vcc_lo
	s_cbranch_execz .LBB51_150
.LBB51_217:
	ds_load_b32 v33, v32 offset:128
	s_wait_dscnt 0x0
	v_add_f32_e32 v20, v20, v33
	s_or_b32 exec_lo, exec_lo, s1
	s_and_saveexec_b32 s1, vcc_lo
	s_cbranch_execz .LBB51_151
.LBB51_218:
	ds_load_b32 v33, v32 offset:144
	s_wait_dscnt 0x0
	v_add_f32_e32 v21, v21, v33
	s_or_b32 exec_lo, exec_lo, s1
	s_and_saveexec_b32 s1, vcc_lo
	s_cbranch_execz .LBB51_152
.LBB51_219:
	ds_load_b32 v33, v32 offset:160
	s_wait_dscnt 0x0
	v_add_f32_e32 v14, v14, v33
	s_or_b32 exec_lo, exec_lo, s1
	s_and_saveexec_b32 s1, vcc_lo
	s_cbranch_execz .LBB51_153
.LBB51_220:
	ds_load_b32 v33, v32 offset:176
	s_wait_dscnt 0x0
	v_add_f32_e32 v15, v15, v33
	s_or_b32 exec_lo, exec_lo, s1
	s_and_saveexec_b32 s1, vcc_lo
	s_cbranch_execz .LBB51_154
.LBB51_221:
	ds_load_b32 v33, v32 offset:192
	s_wait_dscnt 0x0
	v_add_f32_e32 v10, v10, v33
	s_or_b32 exec_lo, exec_lo, s1
	s_and_saveexec_b32 s1, vcc_lo
	s_cbranch_execz .LBB51_155
.LBB51_222:
	ds_load_b32 v33, v32 offset:208
	s_wait_dscnt 0x0
	v_add_f32_e32 v11, v11, v33
	s_or_b32 exec_lo, exec_lo, s1
	s_and_saveexec_b32 s1, vcc_lo
	s_cbranch_execz .LBB51_156
.LBB51_223:
	ds_load_b32 v33, v32 offset:224
	s_wait_dscnt 0x0
	v_add_f32_e32 v8, v8, v33
	s_or_b32 exec_lo, exec_lo, s1
	s_and_saveexec_b32 s1, vcc_lo
	s_cbranch_execz .LBB51_157
.LBB51_224:
	ds_load_b32 v33, v32 offset:240
	s_wait_dscnt 0x0
	v_add_f32_e32 v9, v9, v33
	s_or_b32 exec_lo, exec_lo, s1
	s_and_saveexec_b32 s1, vcc_lo
	s_cbranch_execz .LBB51_158
.LBB51_225:
	ds_load_b32 v33, v32 offset:256
	s_wait_dscnt 0x0
	v_add_f32_e32 v6, v6, v33
	s_or_b32 exec_lo, exec_lo, s1
	s_and_saveexec_b32 s1, vcc_lo
	s_cbranch_execz .LBB51_159
.LBB51_226:
	ds_load_b32 v33, v32 offset:272
	s_wait_dscnt 0x0
	v_add_f32_e32 v7, v7, v33
	s_or_b32 exec_lo, exec_lo, s1
	s_and_saveexec_b32 s1, vcc_lo
	s_cbranch_execz .LBB51_160
.LBB51_227:
	ds_load_b32 v33, v32 offset:288
	s_wait_dscnt 0x0
	v_add_f32_e32 v4, v4, v33
	s_or_b32 exec_lo, exec_lo, s1
	s_and_saveexec_b32 s1, vcc_lo
	s_cbranch_execz .LBB51_161
.LBB51_228:
	ds_load_b32 v33, v32 offset:304
	s_wait_dscnt 0x0
	v_add_f32_e32 v5, v5, v33
	s_or_b32 exec_lo, exec_lo, s1
	s_and_saveexec_b32 s1, vcc_lo
	s_cbranch_execz .LBB51_162
.LBB51_229:
	ds_load_b32 v33, v32 offset:320
	s_wait_dscnt 0x0
	v_add_f32_e32 v2, v2, v33
	s_or_b32 exec_lo, exec_lo, s1
	s_and_saveexec_b32 s1, vcc_lo
	s_cbranch_execz .LBB51_163
.LBB51_230:
	ds_load_b32 v33, v32 offset:336
	s_wait_dscnt 0x0
	v_add_f32_e32 v3, v3, v33
	s_or_b32 exec_lo, exec_lo, s1
	s_and_saveexec_b32 s1, vcc_lo
	s_cbranch_execz .LBB51_164
.LBB51_231:
	ds_load_b32 v33, v32 offset:352
	s_wait_dscnt 0x0
	v_add_f32_e32 v0, v0, v33
	s_or_b32 exec_lo, exec_lo, s1
	s_and_saveexec_b32 s1, vcc_lo
	s_cbranch_execz .LBB51_165
.LBB51_232:
	ds_load_b32 v33, v32 offset:368
	s_wait_dscnt 0x0
	v_add_f32_e32 v1, v1, v33
	s_or_b32 exec_lo, exec_lo, s1
	s_and_saveexec_b32 s1, vcc_lo
	s_cbranch_execz .LBB51_166
.LBB51_233:
	ds_load_b32 v33, v32 offset:384
	s_wait_dscnt 0x0
	v_add_f32_e32 v22, v22, v33
	s_or_b32 exec_lo, exec_lo, s1
	s_and_saveexec_b32 s1, vcc_lo
	s_cbranch_execz .LBB51_167
.LBB51_234:
	ds_load_b32 v33, v32 offset:400
	s_wait_dscnt 0x0
	v_add_f32_e32 v23, v23, v33
	s_or_b32 exec_lo, exec_lo, s1
	s_and_saveexec_b32 s1, vcc_lo
	s_cbranch_execz .LBB51_168
.LBB51_235:
	ds_load_b32 v33, v32 offset:416
	s_wait_dscnt 0x0
	v_add_f32_e32 v16, v16, v33
	s_or_b32 exec_lo, exec_lo, s1
	s_and_saveexec_b32 s1, vcc_lo
	s_cbranch_execz .LBB51_169
.LBB51_236:
	ds_load_b32 v33, v32 offset:432
	s_wait_dscnt 0x0
	v_add_f32_e32 v17, v17, v33
	s_or_b32 exec_lo, exec_lo, s1
	s_and_saveexec_b32 s1, vcc_lo
	s_cbranch_execz .LBB51_170
.LBB51_237:
	ds_load_b32 v33, v32 offset:448
	s_wait_dscnt 0x0
	v_add_f32_e32 v12, v12, v33
	s_or_b32 exec_lo, exec_lo, s1
	s_and_saveexec_b32 s1, vcc_lo
	s_cbranch_execz .LBB51_171
.LBB51_238:
	ds_load_b32 v33, v32 offset:464
	s_wait_dscnt 0x0
	v_add_f32_e32 v13, v13, v33
	s_or_b32 exec_lo, exec_lo, s1
	s_and_saveexec_b32 s1, vcc_lo
	s_cbranch_execz .LBB51_172
.LBB51_239:
	ds_load_b32 v33, v32 offset:480
	s_wait_dscnt 0x0
	v_add_f32_e32 v30, v30, v33
	s_or_b32 exec_lo, exec_lo, s1
	s_and_saveexec_b32 s1, vcc_lo
	s_cbranch_execnz .LBB51_173
	s_branch .LBB51_174
	.section	.rodata,"a",@progbits
	.p2align	6, 0x0
	.amdhsa_kernel _ZN4vllm25paged_attention_v1_kernelIffLi128ELi32ELi128ELNS_18Fp8KVCacheDataTypeE0ELb0EEEvPT_PKS2_PKT0_S8_ifPKiSA_iPKfiiiSC_SC_iiiii
		.amdhsa_group_segment_fixed_size 544
		.amdhsa_private_segment_fixed_size 232
		.amdhsa_kernarg_size 384
		.amdhsa_user_sgpr_count 2
		.amdhsa_user_sgpr_dispatch_ptr 0
		.amdhsa_user_sgpr_queue_ptr 0
		.amdhsa_user_sgpr_kernarg_segment_ptr 1
		.amdhsa_user_sgpr_dispatch_id 0
		.amdhsa_user_sgpr_kernarg_preload_length 0
		.amdhsa_user_sgpr_kernarg_preload_offset 0
		.amdhsa_user_sgpr_private_segment_size 0
		.amdhsa_wavefront_size32 1
		.amdhsa_uses_dynamic_stack 0
		.amdhsa_enable_private_segment 1
		.amdhsa_system_sgpr_workgroup_id_x 1
		.amdhsa_system_sgpr_workgroup_id_y 1
		.amdhsa_system_sgpr_workgroup_id_z 1
		.amdhsa_system_sgpr_workgroup_info 0
		.amdhsa_system_vgpr_workitem_id 0
		.amdhsa_next_free_vgpr 128
		.amdhsa_next_free_sgpr 30
		.amdhsa_named_barrier_count 0
		.amdhsa_reserve_vcc 1
		.amdhsa_float_round_mode_32 0
		.amdhsa_float_round_mode_16_64 0
		.amdhsa_float_denorm_mode_32 3
		.amdhsa_float_denorm_mode_16_64 3
		.amdhsa_fp16_overflow 0
		.amdhsa_memory_ordered 1
		.amdhsa_forward_progress 1
		.amdhsa_inst_pref_size 123
		.amdhsa_round_robin_scheduling 0
		.amdhsa_exception_fp_ieee_invalid_op 0
		.amdhsa_exception_fp_denorm_src 0
		.amdhsa_exception_fp_ieee_div_zero 0
		.amdhsa_exception_fp_ieee_overflow 0
		.amdhsa_exception_fp_ieee_underflow 0
		.amdhsa_exception_fp_ieee_inexact 0
		.amdhsa_exception_int_div_zero 0
	.end_amdhsa_kernel
	.section	.text._ZN4vllm25paged_attention_v1_kernelIffLi128ELi32ELi128ELNS_18Fp8KVCacheDataTypeE0ELb0EEEvPT_PKS2_PKT0_S8_ifPKiSA_iPKfiiiSC_SC_iiiii,"axG",@progbits,_ZN4vllm25paged_attention_v1_kernelIffLi128ELi32ELi128ELNS_18Fp8KVCacheDataTypeE0ELb0EEEvPT_PKS2_PKT0_S8_ifPKiSA_iPKfiiiSC_SC_iiiii,comdat
.Lfunc_end51:
	.size	_ZN4vllm25paged_attention_v1_kernelIffLi128ELi32ELi128ELNS_18Fp8KVCacheDataTypeE0ELb0EEEvPT_PKS2_PKT0_S8_ifPKiSA_iPKfiiiSC_SC_iiiii, .Lfunc_end51-_ZN4vllm25paged_attention_v1_kernelIffLi128ELi32ELi128ELNS_18Fp8KVCacheDataTypeE0ELb0EEEvPT_PKS2_PKT0_S8_ifPKiSA_iPKfiiiSC_SC_iiiii
                                        ; -- End function
	.set _ZN4vllm25paged_attention_v1_kernelIffLi128ELi32ELi128ELNS_18Fp8KVCacheDataTypeE0ELb0EEEvPT_PKS2_PKT0_S8_ifPKiSA_iPKfiiiSC_SC_iiiii.num_vgpr, 128
	.set _ZN4vllm25paged_attention_v1_kernelIffLi128ELi32ELi128ELNS_18Fp8KVCacheDataTypeE0ELb0EEEvPT_PKS2_PKT0_S8_ifPKiSA_iPKfiiiSC_SC_iiiii.num_agpr, 0
	.set _ZN4vllm25paged_attention_v1_kernelIffLi128ELi32ELi128ELNS_18Fp8KVCacheDataTypeE0ELb0EEEvPT_PKS2_PKT0_S8_ifPKiSA_iPKfiiiSC_SC_iiiii.numbered_sgpr, 30
	.set _ZN4vllm25paged_attention_v1_kernelIffLi128ELi32ELi128ELNS_18Fp8KVCacheDataTypeE0ELb0EEEvPT_PKS2_PKT0_S8_ifPKiSA_iPKfiiiSC_SC_iiiii.num_named_barrier, 0
	.set _ZN4vllm25paged_attention_v1_kernelIffLi128ELi32ELi128ELNS_18Fp8KVCacheDataTypeE0ELb0EEEvPT_PKS2_PKT0_S8_ifPKiSA_iPKfiiiSC_SC_iiiii.private_seg_size, 232
	.set _ZN4vllm25paged_attention_v1_kernelIffLi128ELi32ELi128ELNS_18Fp8KVCacheDataTypeE0ELb0EEEvPT_PKS2_PKT0_S8_ifPKiSA_iPKfiiiSC_SC_iiiii.uses_vcc, 1
	.set _ZN4vllm25paged_attention_v1_kernelIffLi128ELi32ELi128ELNS_18Fp8KVCacheDataTypeE0ELb0EEEvPT_PKS2_PKT0_S8_ifPKiSA_iPKfiiiSC_SC_iiiii.uses_flat_scratch, 1
	.set _ZN4vllm25paged_attention_v1_kernelIffLi128ELi32ELi128ELNS_18Fp8KVCacheDataTypeE0ELb0EEEvPT_PKS2_PKT0_S8_ifPKiSA_iPKfiiiSC_SC_iiiii.has_dyn_sized_stack, 0
	.set _ZN4vllm25paged_attention_v1_kernelIffLi128ELi32ELi128ELNS_18Fp8KVCacheDataTypeE0ELb0EEEvPT_PKS2_PKT0_S8_ifPKiSA_iPKfiiiSC_SC_iiiii.has_recursion, 0
	.set _ZN4vllm25paged_attention_v1_kernelIffLi128ELi32ELi128ELNS_18Fp8KVCacheDataTypeE0ELb0EEEvPT_PKS2_PKT0_S8_ifPKiSA_iPKfiiiSC_SC_iiiii.has_indirect_call, 0
	.section	.AMDGPU.csdata,"",@progbits
; Kernel info:
; codeLenInByte = 15736
; TotalNumSgprs: 32
; NumVgprs: 128
; ScratchSize: 232
; MemoryBound: 0
; FloatMode: 240
; IeeeMode: 1
; LDSByteSize: 544 bytes/workgroup (compile time only)
; SGPRBlocks: 0
; VGPRBlocks: 7
; NumSGPRsForWavesPerEU: 32
; NumVGPRsForWavesPerEU: 128
; NamedBarCnt: 0
; Occupancy: 8
; WaveLimiterHint : 1
; COMPUTE_PGM_RSRC2:SCRATCH_EN: 1
; COMPUTE_PGM_RSRC2:USER_SGPR: 2
; COMPUTE_PGM_RSRC2:TRAP_HANDLER: 0
; COMPUTE_PGM_RSRC2:TGID_X_EN: 1
; COMPUTE_PGM_RSRC2:TGID_Y_EN: 1
; COMPUTE_PGM_RSRC2:TGID_Z_EN: 1
; COMPUTE_PGM_RSRC2:TIDIG_COMP_CNT: 0
	.section	.text._ZN4vllm25paged_attention_v1_kernelIffLi192ELi32ELi128ELNS_18Fp8KVCacheDataTypeE0ELb0EEEvPT_PKS2_PKT0_S8_ifPKiSA_iPKfiiiSC_SC_iiiii,"axG",@progbits,_ZN4vllm25paged_attention_v1_kernelIffLi192ELi32ELi128ELNS_18Fp8KVCacheDataTypeE0ELb0EEEvPT_PKS2_PKT0_S8_ifPKiSA_iPKfiiiSC_SC_iiiii,comdat
	.protected	_ZN4vllm25paged_attention_v1_kernelIffLi192ELi32ELi128ELNS_18Fp8KVCacheDataTypeE0ELb0EEEvPT_PKS2_PKT0_S8_ifPKiSA_iPKfiiiSC_SC_iiiii ; -- Begin function _ZN4vllm25paged_attention_v1_kernelIffLi192ELi32ELi128ELNS_18Fp8KVCacheDataTypeE0ELb0EEEvPT_PKS2_PKT0_S8_ifPKiSA_iPKfiiiSC_SC_iiiii
	.globl	_ZN4vllm25paged_attention_v1_kernelIffLi192ELi32ELi128ELNS_18Fp8KVCacheDataTypeE0ELb0EEEvPT_PKS2_PKT0_S8_ifPKiSA_iPKfiiiSC_SC_iiiii
	.p2align	8
	.type	_ZN4vllm25paged_attention_v1_kernelIffLi192ELi32ELi128ELNS_18Fp8KVCacheDataTypeE0ELb0EEEvPT_PKS2_PKT0_S8_ifPKiSA_iPKfiiiSC_SC_iiiii,@function
_ZN4vllm25paged_attention_v1_kernelIffLi192ELi32ELi128ELNS_18Fp8KVCacheDataTypeE0ELb0EEEvPT_PKS2_PKT0_S8_ifPKiSA_iPKfiiiSC_SC_iiiii: ; @_ZN4vllm25paged_attention_v1_kernelIffLi192ELi32ELi128ELNS_18Fp8KVCacheDataTypeE0ELb0EEEvPT_PKS2_PKT0_S8_ifPKiSA_iPKfiiiSC_SC_iiiii
; %bb.0:
	s_load_b64 s[6:7], s[0:1], 0x20
	s_bfe_u32 s3, ttmp6, 0x4000c
	s_bfe_u32 s5, ttmp6, 0x40010
	s_and_b32 s4, ttmp7, 0xffff
	s_add_co_i32 s3, s3, 1
	s_add_co_i32 s5, s5, 1
	s_and_b32 s2, ttmp6, 15
	s_bfe_u32 s8, ttmp6, 0x40004
	s_mul_i32 s3, ttmp9, s3
	s_mul_i32 s5, s4, s5
	s_getreg_b32 s18, hwreg(HW_REG_IB_STS2, 6, 4)
	s_add_co_i32 s2, s2, s3
	s_add_co_i32 s8, s8, s5
	s_cmp_eq_u32 s18, 0
	s_clause 0x1
	s_load_b32 s19, s[0:1], 0x80
	s_load_b64 s[10:11], s[0:1], 0x30
	s_cselect_b32 s20, s4, s8
	s_cselect_b32 s8, ttmp9, s2
	s_wait_kmcnt 0x0
	s_abs_i32 s2, s6
	s_delay_alu instid0(SALU_CYCLE_1) | instskip(SKIP_1) | instid1(SALU_CYCLE_2)
	s_cvt_f32_u32 s3, s2
	s_sub_co_i32 s4, 0, s2
	v_rcp_iflag_f32_e32 v1, s3
	s_abs_i32 s5, s19
	v_nop
	s_delay_alu instid0(TRANS32_DEP_1) | instskip(SKIP_1) | instid1(SALU_CYCLE_3)
	v_readfirstlane_b32 s3, v1
	s_mul_f32 s3, s3, 0x4f7ffffe
	s_cvt_u32_f32 s3, s3
	s_delay_alu instid0(SALU_CYCLE_3) | instskip(NEXT) | instid1(SALU_CYCLE_1)
	s_mul_i32 s4, s4, s3
	s_mul_hi_u32 s4, s3, s4
	s_delay_alu instid0(SALU_CYCLE_1) | instskip(SKIP_4) | instid1(SALU_CYCLE_1)
	s_add_co_i32 s3, s3, s4
	s_xor_b32 s4, s19, s6
	s_mul_hi_u32 s3, s5, s3
	s_ashr_i32 s4, s4, 31
	s_mul_i32 s6, s3, s2
	s_sub_co_i32 s5, s5, s6
	s_add_co_i32 s6, s3, 1
	s_sub_co_i32 s9, s5, s2
	s_cmp_ge_u32 s5, s2
	s_cselect_b32 s3, s6, s3
	s_cselect_b32 s5, s9, s5
	s_add_co_i32 s6, s3, 1
	s_cmp_ge_u32 s5, s2
	s_cselect_b32 s2, s6, s3
	s_mov_b32 s3, 0
	s_xor_b32 s2, s2, s4
	s_mov_b32 s13, s3
	s_sub_co_i32 s15, s2, s4
	s_load_b64 s[4:5], s[0:1], 0x40
	s_abs_i32 s14, s15
	s_mov_b32 s23, s3
	s_cvt_f32_u32 s2, s14
	s_delay_alu instid0(SALU_CYCLE_3) | instskip(SKIP_1) | instid1(TRANS32_DEP_1)
	v_rcp_iflag_f32_e32 v1, s2
	v_nop
	v_readfirstlane_b32 s2, v1
	s_mul_f32 s2, s2, 0x4f7ffffe
	s_delay_alu instid0(SALU_CYCLE_3) | instskip(SKIP_1) | instid1(SALU_CYCLE_2)
	s_cvt_u32_f32 s6, s2
	s_sub_co_i32 s2, 0, s14
	s_mul_i32 s2, s2, s6
	s_delay_alu instid0(SALU_CYCLE_1)
	s_mul_hi_u32 s9, s6, s2
	s_abs_i32 s2, s8
	s_add_co_i32 s12, s6, s9
	s_wait_kmcnt 0x0
	s_cmp_eq_u64 s[4:5], 0
	s_cbranch_scc1 .LBB52_2
; %bb.1:
	s_ashr_i32 s9, s8, 31
	s_delay_alu instid0(SALU_CYCLE_1) | instskip(NEXT) | instid1(SALU_CYCLE_1)
	s_lshl_b64 s[16:17], s[8:9], 2
	s_add_nc_u64 s[4:5], s[4:5], s[16:17]
	s_load_b32 s23, s[4:5], 0x0
.LBB52_2:
	s_load_b32 s21, s[10:11], s20 offset:0x0 scale_offset
	s_wait_xcnt 0x0
	s_load_b96 s[4:6], s[0:1], 0x48
	s_ashr_i32 s10, s8, 31
	s_ashr_i32 s11, s15, 31
	s_mul_u64 s[12:13], s[2:3], s[12:13]
	s_mulk_i32 s8, 0xc0
	v_cmp_gt_u32_e32 vcc_lo, 48, v0
	s_mov_b32 s3, exec_lo
	s_delay_alu instid0(SALU_CYCLE_1)
	s_and_b32 s9, s3, vcc_lo
	scratch_store_b32 off, v0, off offset:544 ; 4-byte Folded Spill
	s_wait_xcnt 0x0
	s_mov_b32 exec_lo, s9
	s_cbranch_execz .LBB52_4
; %bb.3:
	s_load_b64 s[16:17], s[0:1], 0x8
	s_wait_kmcnt 0x0
	s_mul_i32 s24, s4, s20
	s_ashr_i32 s9, s8, 31
	s_ashr_i32 s25, s24, 31
	s_delay_alu instid0(SALU_CYCLE_1) | instskip(NEXT) | instid1(SALU_CYCLE_1)
	s_lshl_b64 s[24:25], s[24:25], 2
	s_add_nc_u64 s[16:17], s[16:17], s[24:25]
	s_lshl_b64 s[24:25], s[8:9], 2
	s_delay_alu instid0(SALU_CYCLE_1)
	s_add_nc_u64 s[16:17], s[16:17], s[24:25]
	global_load_b128 v[0:3], v0, s[16:17] scale_offset
	scratch_load_b32 v4, off, off offset:544 ; 4-byte Folded Reload
	s_wait_loadcnt 0x0
	v_lshlrev_b32_e32 v4, 4, v4
	ds_store_b128 v4, v[0:3]
	scratch_load_b32 v0, off, off offset:544 ; 4-byte Folded Reload
.LBB52_4:
	s_wait_xcnt 0x0
	s_or_b32 exec_lo, exec_lo, s3
	s_wait_kmcnt 0x0
	s_add_co_i32 s3, s21, 31
	s_load_b32 s4, s[0:1], 0x38
	s_ashr_i32 s9, s3, 31
	s_xor_b32 s12, s10, s11
	s_lshr_b32 s9, s9, 27
	s_mul_i32 s10, s13, s14
	s_add_co_i32 s3, s3, s9
	s_sub_co_i32 s2, s2, s10
	s_clause 0x1
	s_load_b64 s[10:11], s[0:1], 0x28
	s_load_b32 s9, s[0:1], 0x88
	s_ashr_i32 s22, s3, 5
	s_add_co_i32 s3, s13, 1
	s_sub_co_i32 s15, s2, s14
	s_cmp_ge_u32 s2, s14
	s_wait_loadcnt 0x0
	v_dual_lshrrev_b32 v1, 5, v0 :: v_dual_bitop2_b32 v126, 31, v0 bitop3:0x40
	s_cselect_b32 s3, s3, s13
	s_cselect_b32 s2, s15, s2
	s_add_co_i32 s13, s3, 1
	s_cmp_ge_u32 s2, s14
	v_dual_mov_b32 v71, 0xff7fffff :: v_dual_lshlrev_b32 v72, 2, v126
	s_cselect_b32 s2, s13, s3
	v_lshrrev_b32_e32 v74, 3, v0
	s_xor_b32 s2, s2, s12
	s_wait_storecnt_dscnt 0x0
	s_sub_co_i32 s3, s2, s12
	v_cmp_gt_i32_e64 s2, s22, v1
	s_wait_kmcnt 0x0
	s_mul_i32 s12, s4, s20
	s_mul_i32 s14, s3, s6
	s_ashr_i32 s13, s12, 31
	s_barrier_signal -1
	scratch_store_b32 off, v1, off offset:556 ; 4-byte Folded Spill
	s_barrier_wait -1
	s_wait_storecnt 0x0
	s_wait_xcnt 0x0
	s_mov_b32 s4, exec_lo
	s_delay_alu instid0(SALU_CYCLE_1)
	s_and_b32 s3, s4, s2
	scratch_store_b32 off, v126, off offset:568 ; 4-byte Folded Spill
	s_wait_xcnt 0x0
	s_mov_b32 exec_lo, s3
	s_cbranch_execz .LBB52_8
; %bb.5:
	s_load_b64 s[24:25], s[0:1], 0x10
	s_ashr_i32 s15, s14, 31
	v_dual_mov_b32 v1, 0 :: v_dual_lshlrev_b32 v0, 4, v126
	s_lshl_b64 s[26:27], s[14:15], 2
	s_ashr_i32 s17, s5, 31
	s_cmp_neq_f32 s23, 0
	v_mov_b32_e32 v71, 0xff7fffff
	s_mov_b32 s16, s5
	s_mov_b32 s6, 0
	s_cselect_b32 vcc_lo, -1, 0
	s_sub_co_i32 s15, 1, s21
	s_wait_kmcnt 0x0
	s_add_nc_u64 s[24:25], s[24:25], s[26:27]
	s_delay_alu instid0(SALU_CYCLE_1) | instskip(SKIP_1) | instid1(SALU_CYCLE_1)
	v_add_nc_u64_e32 v[2:3], s[24:25], v[0:1]
	s_lshl_b64 s[24:25], s[12:13], 2
	s_add_nc_u64 s[24:25], s[10:11], s[24:25]
	scratch_store_b64 off, v[2:3], off      ; 8-byte Folded Spill
	s_wait_xcnt 0x0
	ds_load_b128 v[2:5], v1
	s_wait_dscnt 0x0
	scratch_store_b128 off, v[2:5], off offset:16 ; 16-byte Folded Spill
	s_wait_xcnt 0x0
	ds_load_b128 v[2:5], v1 offset:16
	s_wait_dscnt 0x0
	scratch_store_b128 off, v[2:5], off offset:32 ; 16-byte Folded Spill
	s_wait_xcnt 0x0
	ds_load_b128 v[2:5], v1 offset:32
	;; [unrolled: 4-line block ×20, first 2 shown]
	s_wait_dscnt 0x0
	scratch_store_b128 off, v[2:5], off offset:336 ; 16-byte Folded Spill
	ds_load_b128 v[86:89], v1 offset:336
	ds_load_b128 v[90:93], v1 offset:352
	;; [unrolled: 1-line block ×10, first 2 shown]
	s_wait_xcnt 0x0
	ds_load_b128 v[2:5], v1 offset:496
	ds_load_b128 v[6:9], v1 offset:512
	;; [unrolled: 1-line block ×17, first 2 shown]
	s_clause 0x2
	scratch_load_b32 v73, off, off offset:556
	scratch_store_b32 off, v72, off offset:360
	scratch_store_b32 off, v74, off offset:352
	s_wait_loadcnt 0x0
	v_lshl_or_b32 v0, v73, 7, v72
	v_lshl_or_b32 v70, v73, 5, v126
	s_wait_xcnt 0x1
	s_delay_alu instid0(VALU_DEP_2) | instskip(SKIP_1) | instid1(VALU_DEP_1)
	v_add_nc_u32_e32 v72, 0x320, v0
	v_and_b32_e32 v0, 0x7c, v74
	v_add_nc_u64_e32 v[126:127], s[24:25], v[0:1]
.LBB52_6:                               ; =>This Inner Loop Header: Depth=1
	global_load_b32 v0, v[126:127], off
	scratch_load_b64 v[74:75], off, off     ; 8-byte Folded Reload
	v_cmp_gt_i32_e64 s3, s21, v70
	v_add_nc_u32_e32 v73, 4, v73
	s_wait_xcnt 0x1
	v_add_nc_u64_e32 v[126:127], 16, v[126:127]
	s_wait_loadcnt 0x1
	v_ashrrev_i32_e32 v1, 31, v0
	s_delay_alu instid0(VALU_DEP_1) | instskip(SKIP_1) | instid1(VALU_DEP_1)
	v_mul_u64_e32 v[0:1], s[16:17], v[0:1]
	s_wait_loadcnt 0x0
	v_lshl_add_u64 v[0:1], v[0:1], 2, v[74:75]
	global_load_b128 v[74:77], v[0:1], off offset:512
	scratch_load_b128 v[78:81], off, off offset:32 ; 16-byte Folded Reload
	s_wait_loadcnt 0x0
	v_pk_mul_f32 v[78:79], v[78:79], v[74:75]
	v_pk_mul_f32 v[80:81], v[80:81], v[76:77]
	global_load_b128 v[74:77], v[0:1], off
	scratch_load_b128 v[82:85], off, off offset:16 ; 16-byte Folded Reload
	s_wait_loadcnt 0x0
	v_pk_fma_f32 v[78:79], v[82:83], v[74:75], v[78:79]
	v_pk_fma_f32 v[80:81], v[84:85], v[76:77], v[80:81]
	global_load_b128 v[74:77], v[0:1], off offset:1024
	scratch_load_b128 v[82:85], off, off offset:48 ; 16-byte Folded Reload
	s_wait_loadcnt 0x0
	v_pk_fma_f32 v[78:79], v[82:83], v[74:75], v[78:79]
	v_pk_fma_f32 v[80:81], v[84:85], v[76:77], v[80:81]
	global_load_b128 v[74:77], v[0:1], off offset:1536
	;; [unrolled: 5-line block ×20, first 2 shown]
	s_wait_loadcnt_dscnt 0x1a
	v_pk_fma_f32 v[78:79], v[86:87], v[74:75], v[78:79]
	v_pk_fma_f32 v[80:81], v[88:89], v[76:77], v[80:81]
	global_load_b128 v[74:77], v[0:1], off offset:11264
	s_wait_loadcnt_dscnt 0x19
	v_pk_fma_f32 v[78:79], v[90:91], v[74:75], v[78:79]
	v_pk_fma_f32 v[80:81], v[92:93], v[76:77], v[80:81]
	global_load_b128 v[74:77], v[0:1], off offset:11776
	s_wait_loadcnt_dscnt 0x18
	v_pk_fma_f32 v[78:79], v[94:95], v[74:75], v[78:79]
	v_pk_fma_f32 v[80:81], v[96:97], v[76:77], v[80:81]
	global_load_b128 v[74:77], v[0:1], off offset:12288
	s_wait_loadcnt_dscnt 0x17
	v_pk_fma_f32 v[78:79], v[98:99], v[74:75], v[78:79]
	v_pk_fma_f32 v[80:81], v[100:101], v[76:77], v[80:81]
	global_load_b128 v[74:77], v[0:1], off offset:12800
	s_wait_loadcnt_dscnt 0x16
	v_pk_fma_f32 v[78:79], v[102:103], v[74:75], v[78:79]
	v_pk_fma_f32 v[80:81], v[104:105], v[76:77], v[80:81]
	global_load_b128 v[74:77], v[0:1], off offset:13312
	s_wait_loadcnt_dscnt 0x15
	v_pk_fma_f32 v[78:79], v[106:107], v[74:75], v[78:79]
	v_pk_fma_f32 v[80:81], v[108:109], v[76:77], v[80:81]
	global_load_b128 v[74:77], v[0:1], off offset:13824
	s_wait_loadcnt_dscnt 0x14
	v_pk_fma_f32 v[78:79], v[110:111], v[74:75], v[78:79]
	v_pk_fma_f32 v[80:81], v[112:113], v[76:77], v[80:81]
	global_load_b128 v[74:77], v[0:1], off offset:14336
	s_wait_loadcnt_dscnt 0x13
	v_pk_fma_f32 v[78:79], v[114:115], v[74:75], v[78:79]
	v_pk_fma_f32 v[80:81], v[116:117], v[76:77], v[80:81]
	global_load_b128 v[74:77], v[0:1], off offset:14848
	s_wait_loadcnt_dscnt 0x12
	v_pk_fma_f32 v[78:79], v[118:119], v[74:75], v[78:79]
	v_pk_fma_f32 v[80:81], v[120:121], v[76:77], v[80:81]
	global_load_b128 v[74:77], v[0:1], off offset:15360
	s_wait_loadcnt_dscnt 0x11
	v_pk_fma_f32 v[78:79], v[122:123], v[74:75], v[78:79]
	v_pk_fma_f32 v[80:81], v[124:125], v[76:77], v[80:81]
	global_load_b128 v[74:77], v[0:1], off offset:15872
	s_wait_loadcnt_dscnt 0x10
	v_pk_fma_f32 v[78:79], v[2:3], v[74:75], v[78:79]
	v_pk_fma_f32 v[80:81], v[4:5], v[76:77], v[80:81]
	global_load_b128 v[74:77], v[0:1], off offset:16384
	s_wait_loadcnt_dscnt 0xf
	v_pk_fma_f32 v[78:79], v[6:7], v[74:75], v[78:79]
	v_pk_fma_f32 v[80:81], v[8:9], v[76:77], v[80:81]
	global_load_b128 v[74:77], v[0:1], off offset:16896
	s_wait_loadcnt_dscnt 0xe
	v_pk_fma_f32 v[78:79], v[10:11], v[74:75], v[78:79]
	v_pk_fma_f32 v[80:81], v[12:13], v[76:77], v[80:81]
	global_load_b128 v[74:77], v[0:1], off offset:17408
	s_wait_loadcnt_dscnt 0xd
	v_pk_fma_f32 v[78:79], v[14:15], v[74:75], v[78:79]
	v_pk_fma_f32 v[80:81], v[16:17], v[76:77], v[80:81]
	global_load_b128 v[74:77], v[0:1], off offset:17920
	s_wait_loadcnt_dscnt 0xc
	v_pk_fma_f32 v[78:79], v[18:19], v[74:75], v[78:79]
	v_pk_fma_f32 v[80:81], v[20:21], v[76:77], v[80:81]
	global_load_b128 v[74:77], v[0:1], off offset:18432
	s_wait_loadcnt_dscnt 0xb
	v_pk_fma_f32 v[78:79], v[22:23], v[74:75], v[78:79]
	v_pk_fma_f32 v[80:81], v[24:25], v[76:77], v[80:81]
	global_load_b128 v[74:77], v[0:1], off offset:18944
	s_wait_loadcnt_dscnt 0xa
	v_pk_fma_f32 v[78:79], v[26:27], v[74:75], v[78:79]
	v_pk_fma_f32 v[80:81], v[28:29], v[76:77], v[80:81]
	global_load_b128 v[74:77], v[0:1], off offset:19456
	s_wait_loadcnt_dscnt 0x9
	v_pk_fma_f32 v[78:79], v[30:31], v[74:75], v[78:79]
	v_pk_fma_f32 v[80:81], v[32:33], v[76:77], v[80:81]
	global_load_b128 v[74:77], v[0:1], off offset:19968
	s_wait_loadcnt_dscnt 0x8
	v_pk_fma_f32 v[78:79], v[34:35], v[74:75], v[78:79]
	v_pk_fma_f32 v[80:81], v[36:37], v[76:77], v[80:81]
	global_load_b128 v[74:77], v[0:1], off offset:20480
	s_wait_loadcnt_dscnt 0x7
	v_pk_fma_f32 v[78:79], v[38:39], v[74:75], v[78:79]
	v_pk_fma_f32 v[80:81], v[40:41], v[76:77], v[80:81]
	global_load_b128 v[74:77], v[0:1], off offset:20992
	s_wait_loadcnt_dscnt 0x6
	v_pk_fma_f32 v[78:79], v[42:43], v[74:75], v[78:79]
	v_pk_fma_f32 v[80:81], v[44:45], v[76:77], v[80:81]
	global_load_b128 v[74:77], v[0:1], off offset:21504
	s_wait_loadcnt_dscnt 0x5
	v_pk_fma_f32 v[78:79], v[46:47], v[74:75], v[78:79]
	v_pk_fma_f32 v[80:81], v[48:49], v[76:77], v[80:81]
	global_load_b128 v[74:77], v[0:1], off offset:22016
	s_wait_loadcnt_dscnt 0x4
	v_pk_fma_f32 v[78:79], v[50:51], v[74:75], v[78:79]
	v_pk_fma_f32 v[80:81], v[52:53], v[76:77], v[80:81]
	global_load_b128 v[74:77], v[0:1], off offset:22528
	s_wait_loadcnt_dscnt 0x3
	v_pk_fma_f32 v[78:79], v[54:55], v[74:75], v[78:79]
	v_pk_fma_f32 v[80:81], v[56:57], v[76:77], v[80:81]
	global_load_b128 v[74:77], v[0:1], off offset:23040
	s_wait_loadcnt_dscnt 0x2
	v_pk_fma_f32 v[78:79], v[58:59], v[74:75], v[78:79]
	v_pk_fma_f32 v[80:81], v[60:61], v[76:77], v[80:81]
	global_load_b128 v[74:77], v[0:1], off offset:23552
	s_wait_loadcnt_dscnt 0x1
	v_pk_fma_f32 v[78:79], v[62:63], v[74:75], v[78:79]
	v_pk_fma_f32 v[80:81], v[64:65], v[76:77], v[80:81]
	global_load_b128 v[74:77], v[0:1], off offset:24064
	s_wait_loadcnt_dscnt 0x0
	s_wait_xcnt 0x0
	v_pk_fma_f32 v[0:1], v[66:67], v[74:75], v[78:79]
	v_pk_fma_f32 v[74:75], v[68:69], v[76:77], v[80:81]
	s_delay_alu instid0(VALU_DEP_2) | instskip(SKIP_1) | instid1(VALU_DEP_2)
	v_dual_add_f32 v0, v0, v1 :: v_dual_add_nc_u32 v1, s15, v70
	v_add_nc_u32_e32 v70, 0x80, v70
	v_add_f32_e32 v0, v74, v0
	s_delay_alu instid0(VALU_DEP_3) | instskip(NEXT) | instid1(VALU_DEP_1)
	v_cvt_f32_i32_e32 v1, v1
	v_dual_add_f32 v0, v75, v0 :: v_dual_mul_f32 v1, s23, v1
	s_delay_alu instid0(VALU_DEP_1) | instskip(NEXT) | instid1(VALU_DEP_1)
	v_cndmask_b32_e32 v1, 0, v1, vcc_lo
	v_dual_fmac_f32 v1, s7, v0 :: v_dual_max_num_f32 v0, v71, v71
	s_delay_alu instid0(VALU_DEP_1) | instskip(NEXT) | instid1(VALU_DEP_1)
	v_max_num_f32_e32 v0, v0, v1
	v_dual_cndmask_b32 v71, v71, v0, s3 :: v_dual_cndmask_b32 v1, 0, v1, s3
	v_cmp_le_i32_e64 s3, s22, v73
	ds_store_b32 v72, v1
	v_add_nc_u32_e32 v72, 0x200, v72
	s_or_b32 s6, s3, s6
	s_delay_alu instid0(SALU_CYCLE_1)
	s_and_not1_b32 exec_lo, exec_lo, s6
	s_cbranch_execnz .LBB52_6
; %bb.7:
	s_or_b32 exec_lo, exec_lo, s6
	s_clause 0x2
	scratch_load_b32 v126, off, off offset:568
	scratch_load_b32 v74, off, off offset:352
	;; [unrolled: 1-line block ×3, first 2 shown]
.LBB52_8:
	s_wait_xcnt 0x0
	s_or_b32 exec_lo, exec_lo, s4
	v_mbcnt_lo_u32_b32 v2, -1, 0
	s_clause 0x1
	s_load_b64 s[6:7], s[0:1], 0x0
	s_load_b64 s[16:17], s[0:1], 0x18
	s_delay_alu instid0(VALU_DEP_1) | instskip(SKIP_1) | instid1(VALU_DEP_2)
	v_dual_max_num_f32 v4, v71, v71 :: v_dual_bitop2_b32 v0, 16, v2 bitop3:0x14
	v_xor_b32_e32 v3, 8, v2
	v_cmp_gt_i32_e32 vcc_lo, 32, v0
	v_cndmask_b32_e32 v0, v2, v0, vcc_lo
	s_delay_alu instid0(VALU_DEP_3) | instskip(NEXT) | instid1(VALU_DEP_2)
	v_cmp_gt_i32_e32 vcc_lo, 32, v3
	v_dual_cndmask_b32 v3, v2, v3 :: v_dual_lshlrev_b32 v0, 2, v0
	ds_bpermute_b32 v1, v0, v71
	s_wait_dscnt 0x0
	v_dual_max_num_f32 v5, v1, v1 :: v_dual_lshlrev_b32 v1, 2, v3
	s_delay_alu instid0(VALU_DEP_1) | instskip(SKIP_4) | instid1(VALU_DEP_1)
	v_dual_max_num_f32 v3, v4, v5 :: v_dual_bitop2_b32 v5, 4, v2 bitop3:0x14
	ds_bpermute_b32 v4, v1, v3
	v_cmp_gt_i32_e32 vcc_lo, 32, v5
	s_wait_dscnt 0x0
	v_dual_cndmask_b32 v5, v2, v5 :: v_dual_max_num_f32 v4, v4, v4
	v_dual_lshlrev_b32 v5, 2, v5 :: v_dual_max_num_f32 v3, v3, v4
	scratch_store_b32 off, v5, off offset:560 ; 4-byte Folded Spill
	ds_bpermute_b32 v4, v5, v3
	s_wait_dscnt 0x0
	s_wait_xcnt 0x0
	v_dual_max_num_f32 v4, v4, v4 :: v_dual_bitop2_b32 v5, 2, v2 bitop3:0x14
	s_delay_alu instid0(VALU_DEP_1) | instskip(NEXT) | instid1(VALU_DEP_2)
	v_cmp_gt_i32_e32 vcc_lo, 32, v5
	v_dual_max_num_f32 v3, v3, v4 :: v_dual_cndmask_b32 v5, v2, v5, vcc_lo
	s_delay_alu instid0(VALU_DEP_1)
	v_lshlrev_b32_e32 v5, 2, v5
	ds_bpermute_b32 v4, v5, v3
	s_wait_dscnt 0x0
	v_max_num_f32_e32 v4, v4, v4
	scratch_store_b32 off, v5, off offset:552 ; 4-byte Folded Spill
	s_wait_xcnt 0x0
	v_dual_max_num_f32 v3, v3, v4 :: v_dual_bitop2_b32 v5, 1, v2 bitop3:0x14
	s_delay_alu instid0(VALU_DEP_1) | instskip(SKIP_3) | instid1(VALU_DEP_2)
	v_cmp_gt_i32_e32 vcc_lo, 32, v5
	v_cndmask_b32_e32 v2, v2, v5, vcc_lo
	s_wait_loadcnt 0x2
	v_cmp_eq_u32_e32 vcc_lo, 0, v126
	v_lshlrev_b32_e32 v2, 2, v2
	scratch_store_b32 off, v2, off offset:548 ; 4-byte Folded Spill
	ds_bpermute_b32 v4, v2, v3
	scratch_load_b32 v2, off, off offset:556 ; 4-byte Folded Reload
	s_wait_loadcnt 0x0
	v_lshlrev_b32_e32 v2, 2, v2
	s_wait_xcnt 0x0
	s_and_saveexec_b32 s0, vcc_lo
	s_cbranch_execz .LBB52_10
; %bb.9:
	s_wait_dscnt 0x0
	v_dual_max_num_f32 v4, v4, v4 :: v_dual_max_num_f32 v3, v3, v3
	s_delay_alu instid0(VALU_DEP_1)
	v_max_num_f32_e32 v3, v3, v4
	ds_store_b32 v2, v3 offset:768
.LBB52_10:
	s_or_b32 exec_lo, exec_lo, s0
	v_cmp_gt_u32_e64 s0, 4, v126
	v_mov_b32_e32 v3, 0xff7fffff
	s_wait_storecnt_dscnt 0x0
	s_barrier_signal -1
	s_barrier_wait -1
	s_and_saveexec_b32 s1, s0
; %bb.11:
	ds_load_b32 v3, v72 offset:768
; %bb.12:
	s_or_b32 exec_lo, exec_lo, s1
	scratch_load_b32 v4, off, off offset:552 ; 4-byte Folded Reload
	s_lshl_b32 s1, s22, 5
	scratch_load_b32 v5, off, off offset:544 ; 4-byte Folded Reload
	s_min_i32 s4, s1, s21
	s_wait_loadcnt_dscnt 0x100
	ds_bpermute_b32 v4, v4, v3
	v_max_num_f32_e32 v3, v3, v3
	s_wait_loadcnt 0x0
	v_cmp_gt_i32_e64 s1, s4, v5
	s_wait_dscnt 0x0
	v_max_num_f32_e32 v4, v4, v4
	s_delay_alu instid0(VALU_DEP_1)
	v_max_num_f32_e32 v3, v3, v4
	scratch_load_b32 v4, off, off offset:548 ; 4-byte Folded Reload
	s_wait_loadcnt 0x0
	ds_bpermute_b32 v4, v4, v3
	s_wait_dscnt 0x0
	v_max_num_f32_e32 v4, v4, v4
	s_delay_alu instid0(VALU_DEP_1)
	v_dual_max_num_f32 v4, v3, v4 :: v_dual_mov_b32 v3, 0
	ds_bpermute_b32 v4, v3, v4
	s_and_saveexec_b32 s15, s1
	s_cbranch_execz .LBB52_16
; %bb.13:
	scratch_load_b32 v6, off, off offset:544 ; 4-byte Folded Reload
	v_mov_b32_e32 v3, 0
	s_mov_b32 s23, 0
	s_wait_loadcnt 0x0
	v_lshl_add_u32 v5, v6, 2, 0x320
.LBB52_14:                              ; =>This Inner Loop Header: Depth=1
	ds_load_b32 v7, v5
	v_add_nc_u32_e32 v6, 0x80, v6
	s_delay_alu instid0(VALU_DEP_1) | instskip(SKIP_3) | instid1(VALU_DEP_1)
	v_cmp_le_i32_e64 s3, s4, v6
	s_or_b32 s23, s3, s23
	s_wait_dscnt 0x0
	v_sub_f32_e32 v7, v7, v4
	v_mul_f32_e32 v7, 0x3fb8aa3b, v7
	s_delay_alu instid0(VALU_DEP_1)
	v_exp_f32_e32 v7, v7
	ds_store_b32 v5, v7
	v_nop
	v_add_f32_e32 v3, v3, v7
	v_add_nc_u32_e32 v5, 0x200, v5
	s_and_not1_b32 exec_lo, exec_lo, s23
	s_cbranch_execnz .LBB52_14
; %bb.15:
	s_or_b32 exec_lo, exec_lo, s23
.LBB52_16:
	s_delay_alu instid0(SALU_CYCLE_1)
	s_or_b32 exec_lo, exec_lo, s15
	ds_bpermute_b32 v0, v0, v3
	s_wait_dscnt 0x0
	v_add_f32_e32 v0, v3, v0
	ds_bpermute_b32 v1, v1, v0
	s_wait_dscnt 0x0
	v_add_f32_e32 v0, v0, v1
	scratch_load_b32 v1, off, off offset:560 ; 4-byte Folded Reload
	s_wait_loadcnt 0x0
	ds_bpermute_b32 v1, v1, v0
	s_wait_dscnt 0x0
	v_add_f32_e32 v0, v0, v1
	scratch_load_b32 v1, off, off offset:552 ; 4-byte Folded Reload
	s_wait_loadcnt 0x0
	;; [unrolled: 5-line block ×3, first 2 shown]
	ds_bpermute_b32 v1, v1, v0
	s_wait_dscnt 0x0
	v_add_f32_e32 v0, v0, v1
	s_mov_b32 s3, exec_lo
	scratch_load_b32 v4, off, off offset:544 ; 4-byte Folded Reload
	s_and_b32 s15, s3, vcc_lo
	s_wait_xcnt 0x0
	s_mov_b32 exec_lo, s15
; %bb.17:
	ds_store_b32 v2, v0 offset:784
; %bb.18:
	s_or_b32 exec_lo, exec_lo, s3
	s_wait_loadcnt_dscnt 0x0
	s_barrier_signal -1
	s_barrier_wait -1
	s_and_saveexec_b32 s3, s0
; %bb.19:
	ds_load_b32 v0, v72 offset:784
; %bb.20:
	s_or_b32 exec_lo, exec_lo, s3
	scratch_load_b32 v1, off, off offset:552 ; 4-byte Folded Reload
	v_mov_b32_e32 v3, 0
	s_wait_loadcnt_dscnt 0x0
	ds_bpermute_b32 v1, v1, v0
	s_wait_dscnt 0x0
	v_add_f32_e32 v0, v0, v1
	scratch_load_b32 v1, off, off offset:548 ; 4-byte Folded Reload
	s_wait_loadcnt 0x0
	ds_bpermute_b32 v1, v1, v0
	s_wait_dscnt 0x0
	v_dual_add_f32 v0, v0, v1 :: v_dual_mov_b32 v1, 0
	scratch_store_b64 off, v[0:1], off offset:288 ; 8-byte Folded Spill
	s_wait_xcnt 0x0
	ds_bpermute_b32 v0, v3, v0
	s_and_saveexec_b32 s0, s1
	s_cbranch_execz .LBB52_33
; %bb.21:
	s_wait_dscnt 0x0
	v_add_f32_e32 v0, 0x358637bd, v0
	s_mov_b32 s3, -1
	s_mov_b32 s1, exec_lo
	s_delay_alu instid0(VALU_DEP_1) | instskip(NEXT) | instid1(VALU_DEP_1)
	v_div_scale_f32 v1, null, v0, v0, 1.0
	v_rcp_f32_e32 v3, v1
	v_nop
	s_delay_alu instid0(TRANS32_DEP_1) | instskip(NEXT) | instid1(VALU_DEP_1)
	v_fma_f32 v2, -v1, v3, 1.0
	v_fmac_f32_e32 v3, v2, v3
	v_div_scale_f32 v4, vcc_lo, 1.0, v0, 1.0
	s_delay_alu instid0(VALU_DEP_1) | instskip(NEXT) | instid1(VALU_DEP_1)
	v_mul_f32_e32 v5, v4, v3
	v_fma_f32 v2, -v1, v5, v4
	s_delay_alu instid0(VALU_DEP_1) | instskip(NEXT) | instid1(VALU_DEP_1)
	v_fmac_f32_e32 v5, v2, v3
	v_fma_f32 v1, -v1, v5, v4
	scratch_load_b32 v4, off, off offset:544 ; 4-byte Folded Reload
	v_div_fmas_f32 v1, v1, v3, v5
	s_delay_alu instid0(VALU_DEP_1) | instskip(SKIP_4) | instid1(VALU_DEP_2)
	v_div_fixup_f32 v0, v1, v0, 1.0
	s_wait_loadcnt 0x0
	v_xad_u32 v2, v4, -1, s4
	v_mov_b32_e32 v1, v4
	s_wait_xcnt 0x0
	v_cmpx_lt_u32_e32 0x7f, v2
	s_cbranch_execz .LBB52_30
; %bb.22:
	v_dual_mov_b32 v1, v0 :: v_dual_lshrrev_b32 v2, 7, v2
	s_delay_alu instid0(VALU_DEP_1) | instskip(NEXT) | instid1(VALU_DEP_1)
	v_dual_mov_b32 v6, 0 :: v_dual_add_nc_u32 v3, -1, v2
	v_lshrrev_b32_e32 v4, 1, v3
	v_cmp_lt_u32_e32 vcc_lo, 13, v3
	s_delay_alu instid0(VALU_DEP_2)
	v_add_nc_u32_e32 v3, 1, v4
	s_and_saveexec_b32 s3, vcc_lo
	s_cbranch_execz .LBB52_26
; %bb.23:
	scratch_load_b32 v5, off, off offset:544 ; 4-byte Folded Reload
	v_and_b32_e32 v4, -8, v3
	s_mov_b32 s15, 0
	s_mov_b32 s23, 0
	s_wait_loadcnt 0x0
	v_lshl_add_u32 v5, v5, 2, 0x320
.LBB52_24:                              ; =>This Inner Loop Header: Depth=1
	ds_load_2addr_stride64_b32 v[6:7], v5 offset1:2
	ds_load_2addr_stride64_b32 v[8:9], v5 offset0:4 offset1:6
	ds_load_2addr_stride64_b32 v[10:11], v5 offset0:8 offset1:10
	;; [unrolled: 1-line block ×7, first 2 shown]
	s_add_co_i32 s23, s23, 16
	v_add_nc_u32_e32 v4, -8, v4
	s_wait_dscnt 0x7
	v_pk_mul_f32 v[6:7], v[0:1], v[6:7]
	s_wait_dscnt 0x6
	v_pk_mul_f32 v[8:9], v[0:1], v[8:9]
	;; [unrolled: 2-line block ×8, first 2 shown]
	ds_store_2addr_stride64_b32 v5, v6, v7 offset1:2
	ds_store_2addr_stride64_b32 v5, v8, v9 offset0:4 offset1:6
	ds_store_2addr_stride64_b32 v5, v10, v11 offset0:8 offset1:10
	;; [unrolled: 1-line block ×7, first 2 shown]
	v_mov_b32_e32 v6, s23
	v_cmp_eq_u32_e32 vcc_lo, 0, v4
	v_add_nc_u32_e32 v5, 0x2000, v5
	s_or_b32 s15, vcc_lo, s15
	s_wait_xcnt 0x0
	s_and_not1_b32 exec_lo, exec_lo, s15
	s_cbranch_execnz .LBB52_24
; %bb.25:
	s_or_b32 exec_lo, exec_lo, s15
.LBB52_26:
	s_delay_alu instid0(SALU_CYCLE_1) | instskip(NEXT) | instid1(VALU_DEP_1)
	s_or_b32 exec_lo, exec_lo, s3
	v_and_b32_e32 v3, 7, v3
	s_mov_b32 s15, 0
	s_mov_b32 s3, exec_lo
	s_delay_alu instid0(VALU_DEP_1)
	v_cmpx_ne_u32_e32 0, v3
	s_cbranch_execz .LBB52_29
; %bb.27:
	scratch_load_b32 v5, off, off offset:544 ; 4-byte Folded Reload
	s_wait_loadcnt 0x0
	v_dual_lshlrev_b32 v4, 9, v6 :: v_dual_lshlrev_b32 v5, 2, v5
	s_delay_alu instid0(VALU_DEP_1)
	v_add3_u32 v4, v4, v5, 0x320
.LBB52_28:                              ; =>This Inner Loop Header: Depth=1
	ds_load_2addr_stride64_b32 v[6:7], v4 offset1:2
	v_add_nc_u32_e32 v3, -1, v3
	s_delay_alu instid0(VALU_DEP_1)
	v_cmp_eq_u32_e32 vcc_lo, 0, v3
	s_or_b32 s15, vcc_lo, s15
	s_wait_dscnt 0x0
	v_pk_mul_f32 v[6:7], v[0:1], v[6:7]
	ds_store_2addr_stride64_b32 v4, v6, v7 offset1:2
	v_add_nc_u32_e32 v4, 0x400, v4
	s_wait_xcnt 0x0
	s_and_not1_b32 exec_lo, exec_lo, s15
	s_cbranch_execnz .LBB52_28
.LBB52_29:
	s_or_b32 exec_lo, exec_lo, s3
	scratch_load_b32 v4, off, off offset:544 ; 4-byte Folded Reload
	v_add_nc_u32_e32 v1, 1, v2
	s_delay_alu instid0(VALU_DEP_1) | instskip(NEXT) | instid1(VALU_DEP_1)
	v_and_b32_e32 v2, 0x3fffffe, v1
	v_cmp_ne_u32_e32 vcc_lo, v1, v2
	s_or_not1_b32 s3, vcc_lo, exec_lo
	s_wait_loadcnt 0x0
	v_lshl_add_u32 v1, v2, 7, v4
.LBB52_30:
	s_wait_xcnt 0x0
	s_or_b32 exec_lo, exec_lo, s1
	s_delay_alu instid0(SALU_CYCLE_1)
	s_and_b32 exec_lo, exec_lo, s3
	s_cbranch_execz .LBB52_33
; %bb.31:
	v_lshl_add_u32 v2, v1, 2, 0x320
	s_mov_b32 s1, 0
.LBB52_32:                              ; =>This Inner Loop Header: Depth=1
	ds_load_b32 v3, v2
	v_add_nc_u32_e32 v1, 0x80, v1
	s_delay_alu instid0(VALU_DEP_1)
	v_cmp_le_i32_e32 vcc_lo, s4, v1
	s_or_b32 s1, vcc_lo, s1
	s_wait_dscnt 0x0
	v_mul_f32_e32 v3, v0, v3
	ds_store_b32 v2, v3
	v_add_nc_u32_e32 v2, 0x200, v2
	s_and_not1_b32 exec_lo, exec_lo, s1
	s_cbranch_execnz .LBB52_32
.LBB52_33:
	s_or_b32 exec_lo, exec_lo, s0
	s_wait_dscnt 0x0
	v_dual_mov_b32 v63, 0 :: v_dual_bitop2_b32 v0, 7, v4 bitop3:0x40
	v_dual_mov_b32 v41, 0 :: v_dual_mov_b32 v40, 0
	v_dual_mov_b32 v39, 0 :: v_dual_mov_b32 v38, 0
	s_clause 0x1
	scratch_store_b32 off, v0, off offset:564
	scratch_load_b64 v[0:1], off, off offset:288
	s_wait_loadcnt 0x0
	v_dual_mov_b32 v0, 0 :: v_dual_mov_b32 v62, 0
	v_dual_mov_b32 v25, 0 :: v_dual_mov_b32 v24, 0
	;; [unrolled: 1-line block ×8, first 2 shown]
	scratch_store_b64 off, v[0:1], off offset:288 ; 8-byte Folded Spill
	s_wait_xcnt 0x0
	v_dual_mov_b32 v1, 0 :: v_dual_mov_b32 v0, 0
	scratch_store_b64 off, v[0:1], off offset:304 ; 8-byte Folded Spill
	s_wait_xcnt 0x0
	v_dual_mov_b32 v1, 0 :: v_dual_mov_b32 v0, 0
	;; [unrolled: 3-line block ×13, first 2 shown]
	scratch_store_b64 off, v[0:1], off offset:424 ; 8-byte Folded Spill
	s_wait_storecnt 0x0
	s_barrier_signal -1
	s_barrier_wait -1
	s_wait_xcnt 0x0
	s_and_saveexec_b32 s23, s2
	s_cbranch_execz .LBB52_133
; %bb.34:
	s_clause 0x1
	scratch_load_b32 v2, off, off offset:564
	scratch_load_b32 v5, off, off offset:556
	v_lshlrev_b32_e32 v0, 2, v4
	s_ashr_i32 s15, s14, 31
	v_and_b32_e32 v6, 0x7c, v74
	s_lshl_b64 s[0:1], s[14:15], 2
	s_ashr_i32 s3, s5, 31
	s_mov_b32 s2, s5
	s_wait_kmcnt 0x0
	s_add_nc_u64 s[4:5], s[16:17], s[0:1]
	s_lshl_b64 s[0:1], s[12:13], 2
	s_mov_b32 s12, s21
	s_add_nc_u64 s[0:1], s[10:11], s[0:1]
	s_add_co_i32 s10, s22, -1
	s_mov_b32 s11, 0
	v_mov_b32_e32 v7, 0
	s_delay_alu instid0(VALU_DEP_1)
	v_add_nc_u64_e32 v[8:9], s[0:1], v[6:7]
	s_wait_loadcnt 0x1
	v_dual_lshlrev_b32 v3, 4, v2 :: v_dual_bitop2_b32 v1, 28, v0 bitop3:0x40
	v_and_b32_e32 v2, 0x7c, v0
	v_or_b32_e32 v4, 0xf80, v0
	s_wait_loadcnt 0x0
	s_delay_alu instid0(VALU_DEP_3) | instskip(SKIP_1) | instid1(VALU_DEP_3)
	v_lshl_or_b32 v3, v5, 7, v3
	v_lshl_or_b32 v0, v5, 5, v1
	v_dual_lshlrev_b32 v2, 2, v2 :: v_dual_lshlrev_b32 v6, 2, v4
	s_delay_alu instid0(VALU_DEP_3)
	v_add_nc_u32_e32 v1, 0x320, v3
	v_mov_b32_e32 v3, v7
	scratch_store_b64 off, v[2:3], off offset:536 ; 8-byte Folded Spill
	s_wait_xcnt 0x0
	v_mov_b32_e32 v2, v7
	s_clause 0x17
	scratch_store_b64 off, v[2:3], off offset:288
	scratch_store_b64 off, v[2:3], off offset:432
	scratch_store_b64 off, v[2:3], off offset:304
	scratch_store_b64 off, v[2:3], off offset:320
	scratch_store_b64 off, v[2:3], off offset:336
	scratch_store_b64 off, v[2:3], off offset:352
	scratch_store_b64 off, v[2:3], off offset:360
	scratch_store_b64 off, v[2:3], off offset:368
	scratch_store_b64 off, v[2:3], off offset:376
	scratch_store_b64 off, v[2:3], off offset:384
	scratch_store_b64 off, v[2:3], off offset:392
	scratch_store_b64 off, v[2:3], off offset:440
	scratch_store_b64 off, v[2:3], off offset:448
	scratch_store_b64 off, v[2:3], off offset:400
	scratch_store_b64 off, v[2:3], off offset:408
	scratch_store_b64 off, v[2:3], off offset:456
	scratch_store_b64 off, v[2:3], off offset:464
	scratch_store_b64 off, v[2:3], off offset:472
	scratch_store_b64 off, v[2:3], off offset:480
	scratch_store_b64 off, v[2:3], off offset:488
	scratch_store_b64 off, v[2:3], off offset:496
	scratch_store_b64 off, v[2:3], off offset:416
	scratch_store_b64 off, v[2:3], off offset:424
	scratch_store_b64 off, v[6:7], off offset:528
	s_branch .LBB52_36
.LBB52_35:                              ;   in Loop: Header=BB52_36 Depth=1
	s_or_b32 exec_lo, exec_lo, s1
	s_wait_loadcnt_dscnt 0x200
	v_mul_f32_e32 v70, v6, v70
	s_wait_loadcnt 0x1
	v_mul_f32_e32 v1, v6, v74
	v_mul_f32_e32 v66, v6, v66
	;; [unrolled: 1-line block ×3, first 2 shown]
	v_dual_mul_f32 v54, v6, v54 :: v_dual_fmac_f32 v70, v7, v71
	s_delay_alu instid0(VALU_DEP_4) | instskip(NEXT) | instid1(VALU_DEP_4)
	v_fmac_f32_e32 v1, v7, v75
	v_fmac_f32_e32 v66, v7, v67
	s_delay_alu instid0(VALU_DEP_4) | instskip(NEXT) | instid1(VALU_DEP_4)
	v_dual_fmac_f32 v62, v7, v63 :: v_dual_mul_f32 v58, v6, v58
	v_fmac_f32_e32 v70, v8, v72
	s_delay_alu instid0(VALU_DEP_4) | instskip(NEXT) | instid1(VALU_DEP_4)
	v_fmac_f32_e32 v1, v8, v76
	v_fmac_f32_e32 v66, v8, v68
	s_delay_alu instid0(VALU_DEP_4) | instskip(NEXT) | instid1(VALU_DEP_4)
	v_dual_fmac_f32 v62, v8, v64 :: v_dual_mul_f32 v50, v6, v50
	v_fmac_f32_e32 v70, v9, v73
	scratch_load_b128 v[72:75], off, off offset:272 th:TH_LOAD_LU ; 16-byte Folded Reload
	v_fmac_f32_e32 v1, v9, v77
	v_fmac_f32_e32 v66, v9, v69
	v_dual_fmac_f32 v58, v7, v59 :: v_dual_mul_f32 v42, v6, v42
	v_dual_fmac_f32 v54, v7, v55 :: v_dual_mul_f32 v26, v6, v26
	;; [unrolled: 1-line block ×4, first 2 shown]
	s_delay_alu instid0(VALU_DEP_4) | instskip(NEXT) | instid1(VALU_DEP_4)
	v_dual_fmac_f32 v58, v8, v60 :: v_dual_mul_f32 v34, v6, v34
	v_dual_fmac_f32 v54, v8, v56 :: v_dual_mul_f32 v22, v6, v22
	s_delay_alu instid0(VALU_DEP_4) | instskip(NEXT) | instid1(VALU_DEP_4)
	v_dual_fmac_f32 v50, v8, v52 :: v_dual_mul_f32 v10, v6, v10
	v_fmac_f32_e32 v46, v7, v47
	s_delay_alu instid0(VALU_DEP_4) | instskip(NEXT) | instid1(VALU_DEP_4)
	v_dual_fmac_f32 v58, v9, v61 :: v_dual_mul_f32 v30, v6, v30
	v_dual_fmac_f32 v54, v9, v57 :: v_dual_mul_f32 v18, v6, v18
	v_fmac_f32_e32 v14, v7, v15
	v_dual_fmac_f32 v50, v9, v53 :: v_dual_mul_f32 v2, v6, v2
	v_dual_fmac_f32 v10, v7, v11 :: v_dual_mul_f32 v11, v6, v110
	v_dual_mul_f32 v15, v6, v98 :: v_dual_add_nc_u32 v0, 0x80, v0
	s_delay_alu instid0(VALU_DEP_3) | instskip(NEXT) | instid1(VALU_DEP_3)
	v_dual_fmac_f32 v2, v7, v3 :: v_dual_mul_f32 v3, v6, v122
	v_dual_fmac_f32 v46, v8, v48 :: v_dual_fmac_f32 v11, v7, v111
	v_fmac_f32_e32 v26, v7, v27
	s_delay_alu instid0(VALU_DEP_3) | instskip(NEXT) | instid1(VALU_DEP_3)
	v_dual_fmac_f32 v2, v8, v4 :: v_dual_fmac_f32 v3, v7, v123
	v_dual_fmac_f32 v46, v9, v49 :: v_dual_mul_f32 v4, v6, v118
	s_delay_alu instid0(VALU_DEP_2) | instskip(NEXT) | instid1(VALU_DEP_3)
	v_dual_fmac_f32 v11, v8, v112 :: v_dual_fmac_f32 v2, v9, v5
	v_dual_fmac_f32 v3, v8, v124 :: v_dual_fmac_f32 v42, v7, v43
	s_delay_alu instid0(VALU_DEP_3) | instskip(SKIP_1) | instid1(VALU_DEP_3)
	v_fmac_f32_e32 v4, v7, v119
	v_dual_fmac_f32 v34, v7, v35 :: v_dual_mul_f32 v5, v6, v114
	v_dual_fmac_f32 v3, v9, v125 :: v_dual_fmac_f32 v42, v8, v44
	s_delay_alu instid0(VALU_DEP_3) | instskip(NEXT) | instid1(VALU_DEP_3)
	v_fmac_f32_e32 v4, v8, v120
	v_fmac_f32_e32 v34, v8, v36
	s_delay_alu instid0(VALU_DEP_4) | instskip(NEXT) | instid1(VALU_DEP_4)
	v_dual_fmac_f32 v10, v8, v12 :: v_dual_fmac_f32 v5, v7, v115
	v_fmac_f32_e32 v42, v9, v45
	s_delay_alu instid0(VALU_DEP_4) | instskip(NEXT) | instid1(VALU_DEP_4)
	v_fmac_f32_e32 v4, v9, v121
	v_fmac_f32_e32 v34, v9, v37
	s_delay_alu instid0(VALU_DEP_4) | instskip(SKIP_2) | instid1(VALU_DEP_3)
	v_dual_fmac_f32 v30, v7, v31 :: v_dual_fmac_f32 v5, v8, v116
	v_fmac_f32_e32 v10, v9, v13
	v_dual_fmac_f32 v26, v8, v28 :: v_dual_fmac_f32 v11, v9, v113
	v_dual_fmac_f32 v30, v8, v32 :: v_dual_fmac_f32 v5, v9, v117
	s_delay_alu instid0(VALU_DEP_2) | instskip(NEXT) | instid1(VALU_DEP_2)
	v_dual_mul_f32 v12, v6, v106 :: v_dual_fmac_f32 v26, v9, v29
	v_dual_mul_f32 v13, v6, v102 :: v_dual_fmac_f32 v30, v9, v33
	v_fmac_f32_e32 v15, v7, v99
	s_delay_alu instid0(VALU_DEP_3) | instskip(SKIP_1) | instid1(VALU_DEP_4)
	v_fmac_f32_e32 v12, v7, v107
	v_fmac_f32_e32 v22, v7, v23
	;; [unrolled: 1-line block ×3, first 2 shown]
	s_delay_alu instid0(VALU_DEP_4) | instskip(NEXT) | instid1(VALU_DEP_4)
	v_dual_fmac_f32 v18, v7, v19 :: v_dual_fmac_f32 v15, v8, v100
	v_fmac_f32_e32 v12, v8, v108
	s_delay_alu instid0(VALU_DEP_4) | instskip(NEXT) | instid1(VALU_DEP_4)
	v_fmac_f32_e32 v22, v8, v24
	v_fmac_f32_e32 v13, v8, v104
	s_delay_alu instid0(VALU_DEP_4)
	v_fmac_f32_e32 v18, v8, v20
	v_dual_fmac_f32 v14, v8, v16 :: v_dual_fmac_f32 v15, v9, v101
	v_fmac_f32_e32 v12, v9, v109
	v_fmac_f32_e32 v22, v9, v25
	;; [unrolled: 1-line block ×4, first 2 shown]
	v_dual_fmac_f32 v14, v9, v17 :: v_dual_mul_f32 v16, v6, v94
	v_mul_f32_e32 v17, v6, v90
	v_mul_f32_e32 v19, v6, v86
	;; [unrolled: 1-line block ×4, first 2 shown]
	scratch_load_b64 v[32:33], off, off offset:432 th:TH_LOAD_LU ; 8-byte Folded Reload
	v_fmac_f32_e32 v17, v7, v91
	v_fmac_f32_e32 v16, v7, v95
	;; [unrolled: 1-line block ×9, first 2 shown]
	scratch_load_b64 v[28:29], off, off offset:288 th:TH_LOAD_LU ; 8-byte Folded Reload
	v_fmac_f32_e32 v17, v9, v93
	v_fmac_f32_e32 v16, v9, v97
	;; [unrolled: 1-line block ×3, first 2 shown]
	s_wait_loadcnt 0x2
	v_dual_fmac_f32 v20, v9, v85 :: v_dual_mul_f32 v23, v6, v72
	s_delay_alu instid0(VALU_DEP_1) | instskip(NEXT) | instid1(VALU_DEP_1)
	v_dual_fmac_f32 v21, v8, v80 :: v_dual_fmac_f32 v23, v7, v73
	v_dual_fmac_f32 v21, v9, v81 :: v_dual_fmac_f32 v23, v8, v74
	s_delay_alu instid0(VALU_DEP_1)
	v_fmac_f32_e32 v23, v9, v75
	scratch_load_b128 v[72:75], off, off offset:256 th:TH_LOAD_LU ; 16-byte Folded Reload
	s_wait_loadcnt 0x2
	v_add_f32_e32 v33, v33, v70
	v_add_f32_e32 v32, v32, v66
	s_clause 0x1
	scratch_store_b64 off, v[32:33], off offset:432
	scratch_load_b64 v[32:33], off, off offset:304 th:TH_LOAD_LU
	s_wait_loadcnt 0x1
	v_dual_add_f32 v28, v28, v1 :: v_dual_mul_f32 v24, v6, v72
	s_delay_alu instid0(VALU_DEP_1) | instskip(NEXT) | instid1(VALU_DEP_1)
	v_fmac_f32_e32 v24, v7, v73
	v_fmac_f32_e32 v24, v8, v74
	s_delay_alu instid0(VALU_DEP_1)
	v_fmac_f32_e32 v24, v9, v75
	scratch_load_b128 v[72:75], off, off offset:240 th:TH_LOAD_LU ; 16-byte Folded Reload
	s_wait_loadcnt 0x1
	v_add_f32_e32 v33, v33, v62
	v_add_f32_e32 v32, v32, v58
	s_clause 0x1
	scratch_store_b64 off, v[32:33], off offset:304
	scratch_load_b64 v[32:33], off, off offset:320 th:TH_LOAD_LU
	s_wait_loadcnt 0x1
	v_mul_f32_e32 v25, v6, v72
	s_delay_alu instid0(VALU_DEP_1) | instskip(NEXT) | instid1(VALU_DEP_1)
	v_fmac_f32_e32 v25, v7, v73
	v_fmac_f32_e32 v25, v8, v74
	s_delay_alu instid0(VALU_DEP_1)
	v_fmac_f32_e32 v25, v9, v75
	scratch_load_b128 v[72:75], off, off offset:224 th:TH_LOAD_LU ; 16-byte Folded Reload
	s_wait_loadcnt 0x1
	v_add_f32_e32 v33, v33, v54
	v_add_f32_e32 v32, v32, v50
	s_clause 0x1
	scratch_store_b64 off, v[32:33], off offset:320
	scratch_load_b64 v[32:33], off, off offset:336 th:TH_LOAD_LU
	s_wait_loadcnt 0x1
	v_mul_f32_e32 v27, v6, v72
	s_wait_loadcnt 0x0
	s_delay_alu instid0(VALU_DEP_1)
	v_dual_fmac_f32 v27, v7, v73 :: v_dual_add_f32 v33, v33, v46
	v_add_f32_e32 v32, v32, v42
	s_clause 0x1
	scratch_store_b64 off, v[32:33], off offset:336
	scratch_load_b64 v[32:33], off, off offset:352 th:TH_LOAD_LU
	s_wait_loadcnt 0x0
	v_add_f32_e32 v32, v32, v30
	scratch_load_b64 v[30:31], off, off offset:360 th:TH_LOAD_LU ; 8-byte Folded Reload
	v_add_f32_e32 v33, v33, v34
	s_wait_loadcnt 0x0
	v_add_f32_e32 v31, v31, v26
	v_add_f32_e32 v30, v30, v22
	s_clause 0x2
	scratch_store_b64 off, v[32:33], off offset:352
	scratch_store_b64 off, v[30:31], off offset:360
	scratch_load_b64 v[30:31], off, off offset:368 th:TH_LOAD_LU
	s_wait_loadcnt 0x0
	v_add_f32_e32 v31, v31, v18
	v_add_f32_e32 v30, v30, v14
	s_clause 0x1
	scratch_store_b64 off, v[30:31], off offset:368
	scratch_load_b64 v[30:31], off, off offset:376 th:TH_LOAD_LU
	s_wait_loadcnt 0x0
	v_add_f32_e32 v31, v31, v10
	v_add_f32_e32 v30, v30, v2
	s_clause 0x1
	scratch_store_b64 off, v[30:31], off offset:376
	scratch_load_b64 v[30:31], off, off offset:384 th:TH_LOAD_LU
	s_wait_loadcnt 0x0
	v_dual_fmac_f32 v27, v8, v74 :: v_dual_add_f32 v31, v31, v3
	scratch_load_b64 v[2:3], off, off offset:392 th:TH_LOAD_LU ; 8-byte Folded Reload
	v_dual_add_f32 v30, v30, v4 :: v_dual_fmac_f32 v27, v9, v75
	s_wait_loadcnt 0x0
	v_dual_add_f32 v3, v3, v5 :: v_dual_add_f32 v2, v2, v11
	s_clause 0x3
	scratch_store_b64 off, v[30:31], off offset:384
	scratch_load_b128 v[30:33], off, off offset:208 th:TH_LOAD_LU
	scratch_store_b64 off, v[2:3], off offset:392
	scratch_load_b64 v[2:3], off, off offset:440 th:TH_LOAD_LU
	s_wait_loadcnt 0x0
	v_dual_add_f32 v3, v3, v12 :: v_dual_add_f32 v2, v2, v13
	s_clause 0x2
	scratch_load_b128 v[10:13], off, off offset:144 th:TH_LOAD_LU
	scratch_store_b64 off, v[2:3], off offset:440
	scratch_load_b64 v[2:3], off, off offset:448 th:TH_LOAD_LU
	s_wait_loadcnt 0x0
	v_dual_add_f32 v3, v3, v15 :: v_dual_add_f32 v2, v2, v16
	s_clause 0x1
	scratch_store_b64 off, v[2:3], off offset:448
	scratch_load_b64 v[2:3], off, off offset:400 th:TH_LOAD_LU
	s_wait_loadcnt 0x0
	v_dual_add_f32 v3, v3, v17 :: v_dual_add_f32 v2, v2, v19
	s_clause 0x2
	scratch_load_b128 v[14:17], off, off offset:160 th:TH_LOAD_LU
	scratch_store_b64 off, v[2:3], off offset:400
	scratch_load_b64 v[2:3], off, off offset:408 th:TH_LOAD_LU
	s_wait_loadcnt 0x0
	v_dual_add_f32 v3, v3, v20 :: v_dual_add_f32 v2, v2, v21
	scratch_load_b128 v[18:21], off, off offset:176 th:TH_LOAD_LU ; 16-byte Folded Reload
	v_mul_f32_e32 v4, v6, v14
	s_clause 0x1
	scratch_store_b64 off, v[2:3], off offset:408
	scratch_load_b64 v[2:3], off, off offset:456 th:TH_LOAD_LU
	v_fmac_f32_e32 v4, v7, v15
	s_wait_loadcnt 0x0
	s_delay_alu instid0(VALU_DEP_1)
	v_dual_fmac_f32 v4, v8, v16 :: v_dual_add_f32 v3, v3, v23
	v_add_f32_e32 v2, v2, v24
	s_clause 0x1
	scratch_store_b64 off, v[2:3], off offset:456
	scratch_load_b64 v[2:3], off, off offset:464 th:TH_LOAD_LU
	s_wait_loadcnt 0x0
	v_add_f32_e32 v3, v3, v25
	scratch_load_b128 v[22:25], off, off offset:192 th:TH_LOAD_LU ; 16-byte Folded Reload
	v_add_f32_e32 v2, v2, v27
	scratch_store_b64 off, v[2:3], off offset:464 ; 8-byte Folded Spill
	s_wait_xcnt 0x0
	v_mul_f32_e32 v3, v6, v18
	s_delay_alu instid0(VALU_DEP_1) | instskip(SKIP_1) | instid1(VALU_DEP_1)
	v_fmac_f32_e32 v3, v7, v19
	s_wait_loadcnt 0x0
	v_dual_fmac_f32 v3, v8, v20 :: v_dual_mul_f32 v2, v6, v22
	s_delay_alu instid0(VALU_DEP_1) | instskip(NEXT) | instid1(VALU_DEP_1)
	v_dual_mul_f32 v1, v6, v30 :: v_dual_fmac_f32 v2, v7, v23
	v_dual_fmac_f32 v1, v7, v31 :: v_dual_fmac_f32 v2, v8, v24
	s_delay_alu instid0(VALU_DEP_1) | instskip(NEXT) | instid1(VALU_DEP_1)
	v_fmac_f32_e32 v1, v8, v32
	v_fmac_f32_e32 v1, v9, v33
	scratch_load_b128 v[30:33], off, off offset:128 th:TH_LOAD_LU ; 16-byte Folded Reload
	v_dual_mul_f32 v5, v6, v10 :: v_dual_fmac_f32 v2, v9, v25
	scratch_load_b128 v[24:27], off, off offset:112 th:TH_LOAD_LU ; 16-byte Folded Reload
	v_fmac_f32_e32 v5, v7, v11
	scratch_load_b64 v[10:11], off, off offset:472 th:TH_LOAD_LU ; 8-byte Folded Reload
	s_wait_loadcnt 0x0
	v_dual_fmac_f32 v5, v8, v12 :: v_dual_add_f32 v11, v11, v1
	v_dual_mul_f32 v1, v6, v30 :: v_dual_fmac_f32 v3, v9, v21
	v_add_f32_e32 v10, v10, v2
	scratch_load_b128 v[20:23], off, off offset:96 th:TH_LOAD_LU ; 16-byte Folded Reload
	v_dual_mul_f32 v2, v6, v24 :: v_dual_fmac_f32 v1, v7, v31
	s_clause 0x1
	scratch_store_b64 off, v[10:11], off offset:472
	scratch_load_b64 v[10:11], off, off offset:480 th:TH_LOAD_LU
	v_fmac_f32_e32 v4, v9, v17
	scratch_load_b128 v[16:19], off, off offset:80 th:TH_LOAD_LU ; 16-byte Folded Reload
	v_dual_fmac_f32 v1, v8, v32 :: v_dual_fmac_f32 v2, v7, v25
	s_delay_alu instid0(VALU_DEP_1) | instskip(NEXT) | instid1(VALU_DEP_1)
	v_dual_fmac_f32 v1, v9, v33 :: v_dual_fmac_f32 v2, v8, v26
	v_fmac_f32_e32 v2, v9, v27
	s_wait_loadcnt 0x1
	v_dual_add_f32 v11, v11, v3 :: v_dual_fmac_f32 v5, v9, v13
	v_add_f32_e32 v10, v10, v4
	v_mul_f32_e32 v3, v6, v20
	s_clause 0x2
	scratch_load_b128 v[12:15], off, off offset:64 th:TH_LOAD_LU
	scratch_store_b64 off, v[10:11], off offset:480
	scratch_load_b64 v[10:11], off, off offset:488 th:TH_LOAD_LU
	v_fmac_f32_e32 v3, v7, v21
	s_delay_alu instid0(VALU_DEP_1) | instskip(NEXT) | instid1(VALU_DEP_1)
	v_fmac_f32_e32 v3, v8, v22
	v_fmac_f32_e32 v3, v9, v23
	scratch_load_b128 v[22:25], off, off offset:48 th:TH_LOAD_LU ; 16-byte Folded Reload
	s_wait_loadcnt 0x3
	v_mul_f32_e32 v4, v6, v16
	s_delay_alu instid0(VALU_DEP_1) | instskip(SKIP_1) | instid1(VALU_DEP_1)
	v_fmac_f32_e32 v4, v7, v17
	s_wait_loadcnt 0x1
	v_dual_fmac_f32 v4, v8, v18 :: v_dual_add_f32 v11, v11, v5
	v_add_f32_e32 v10, v10, v1
	s_clause 0x1
	scratch_store_b64 off, v[10:11], off offset:488
	scratch_load_b64 v[10:11], off, off offset:496 th:TH_LOAD_LU
	v_fmac_f32_e32 v4, v9, v19
	scratch_load_b128 v[16:19], off, off offset:16 th:TH_LOAD_LU ; 16-byte Folded Reload
	s_wait_loadcnt 0x2
	v_mul_f32_e32 v1, v6, v22
	s_delay_alu instid0(VALU_DEP_1) | instskip(SKIP_2) | instid1(VALU_DEP_1)
	v_fmac_f32_e32 v1, v7, v23
	scratch_load_b128 v[20:23], off, off offset:32 th:TH_LOAD_LU ; 16-byte Folded Reload
	v_mul_f32_e32 v5, v6, v12
	v_fmac_f32_e32 v5, v7, v13
	s_delay_alu instid0(VALU_DEP_1)
	v_fmac_f32_e32 v5, v8, v14
	s_wait_loadcnt 0x2
	v_dual_add_f32 v11, v11, v2 :: v_dual_add_f32 v10, v10, v3
	scratch_load_b64 v[2:3], off, off offset:416 th:TH_LOAD_LU ; 8-byte Folded Reload
	v_fmac_f32_e32 v5, v9, v15
	scratch_load_b128 v[12:15], off, off th:TH_LOAD_LU ; 16-byte Folded Reload
	s_wait_loadcnt 0x1
	v_dual_add_f32 v3, v3, v4 :: v_dual_add_f32 v2, v2, v5
	v_fmac_f32_e32 v1, v8, v24
	scratch_store_b64 off, v[10:11], off offset:496 ; 8-byte Folded Spill
	s_wait_xcnt 0x0
	v_mul_f32_e32 v11, v6, v16
	v_mul_f32_e32 v10, v6, v20
	scratch_store_b64 off, v[2:3], off offset:416 ; 8-byte Folded Spill
	s_wait_xcnt 0x0
	v_pk_mul_f32 v[2:3], v[6:7], v[38:39]
	s_wait_loadcnt 0x0
	v_dual_mul_f32 v12, v6, v12 :: v_dual_fmac_f32 v11, v7, v17
	v_fmac_f32_e32 v10, v7, v21
	v_pk_mul_f32 v[4:5], v[8:9], v[40:41]
	v_add_f32_e32 v2, v3, v2
	s_delay_alu instid0(VALU_DEP_4) | instskip(SKIP_4) | instid1(VALU_DEP_3)
	v_fmac_f32_e32 v12, v7, v13
	scratch_load_b64 v[6:7], off, off offset:424 th:TH_LOAD_LU ; 8-byte Folded Reload
	v_dual_fmac_f32 v1, v9, v25 :: v_dual_fmac_f32 v11, v8, v18
	v_fmac_f32_e32 v10, v8, v22
	v_fmac_f32_e32 v12, v8, v14
	v_dual_add_f32 v2, v4, v2 :: v_dual_fmac_f32 v11, v9, v19
	s_delay_alu instid0(VALU_DEP_3) | instskip(NEXT) | instid1(VALU_DEP_3)
	v_fmac_f32_e32 v10, v9, v23
	v_fmac_f32_e32 v12, v9, v15
	scratch_load_b64 v[8:9], off, off offset:516 th:TH_LOAD_LU ; 8-byte Folded Reload
	s_wait_loadcnt 0x1
	v_dual_add_f32 v7, v7, v1 :: v_dual_add_f32 v1, v5, v2
	s_clause 0x1
	scratch_load_b32 v5, off, off offset:524 th:TH_LOAD_LU
	scratch_load_b64 v[2:3], off, off offset:504 th:TH_LOAD_LU
	v_dual_add_f32 v6, v6, v10 :: v_dual_add_f32 v29, v29, v1
	s_clause 0x1
	scratch_load_b32 v1, off, off offset:512 th:TH_LOAD_LU
	scratch_store_b64 off, v[6:7], off offset:424
	s_wait_loadcnt 0x3
	v_add_nc_u64_e32 v[8:9], 16, v[8:9]
	scratch_store_b64 off, v[28:29], off offset:288 ; 8-byte Folded Spill
	s_wait_loadcnt 0x1
	v_dual_add_nc_u32 v5, 4, v5 :: v_dual_add_f32 v3, v3, v11
	s_wait_loadcnt 0x0
	v_dual_add_f32 v2, v2, v12 :: v_dual_add_nc_u32 v1, 0x200, v1
	s_delay_alu instid0(VALU_DEP_2)
	v_cmp_le_i32_e32 vcc_lo, s22, v5
	s_or_b32 s11, vcc_lo, s11
	s_wait_xcnt 0x0
	s_and_not1_b32 exec_lo, exec_lo, s11
	s_cbranch_execz .LBB52_132
.LBB52_36:                              ; =>This Inner Loop Header: Depth=1
	s_clause 0x1
	scratch_store_b64 off, v[2:3], off offset:504
	scratch_store_b64 off, v[8:9], off offset:516
	global_load_b32 v2, v[8:9], off
	v_cmp_eq_u32_e32 vcc_lo, s10, v5
	v_dual_add_nc_u32 v127, 1, v0 :: v_dual_bitop2_b32 v126, 2, v0 bitop3:0x54
	s_wait_loadcnt 0x0
	v_ashrrev_i32_e32 v3, 31, v2
	s_delay_alu instid0(VALU_DEP_1) | instskip(NEXT) | instid1(VALU_DEP_1)
	v_mul_u64_e32 v[2:3], s[2:3], v[2:3]
	v_lshl_add_u64 v[10:11], v[2:3], 2, s[4:5]
	scratch_load_b64 v[2:3], off, off offset:536 ; 8-byte Folded Reload
	s_wait_loadcnt 0x0
	v_add_nc_u64_e32 v[38:39], v[10:11], v[2:3]
	global_load_b128 v[6:9], v[38:39], off
	s_wait_loadcnt 0x0
	s_clause 0x1
	scratch_store_b128 off, v[6:9], off
	scratch_store_b32 off, v1, off offset:512
	s_wait_xcnt 0x1
	ds_load_b128 v[6:9], v1
	s_wait_xcnt 0x0
	v_or_b32_e32 v1, 3, v0
	scratch_store_b32 off, v5, off offset:524 ; 4-byte Folded Spill
	s_wait_xcnt 0x0
	s_and_saveexec_b32 s1, vcc_lo
	s_cbranch_execz .LBB52_38
; %bb.37:                               ;   in Loop: Header=BB52_36 Depth=1
	scratch_load_b128 v[2:5], off, off th:TH_LOAD_LU ; 16-byte Folded Reload
	v_cmp_gt_i32_e64 s0, s12, v127
	s_wait_loadcnt 0x0
	s_delay_alu instid0(VALU_DEP_1) | instskip(SKIP_1) | instid1(VALU_DEP_1)
	v_cndmask_b32_e64 v3, 0, v3, s0
	v_cmp_gt_i32_e64 s0, s21, v0
	v_cndmask_b32_e64 v2, 0, v2, s0
	v_cmp_gt_i32_e64 s0, s12, v1
	s_delay_alu instid0(VALU_DEP_1) | instskip(SKIP_1) | instid1(VALU_DEP_1)
	v_cndmask_b32_e64 v5, 0, v5, s0
	v_cmp_gt_i32_e64 s0, s21, v126
	v_cndmask_b32_e64 v4, 0, v4, s0
	scratch_store_b128 off, v[2:5], off     ; 16-byte Folded Spill
.LBB52_38:                              ;   in Loop: Header=BB52_36 Depth=1
	s_wait_xcnt 0x0
	s_or_b32 exec_lo, exec_lo, s1
	global_load_b128 v[2:5], v[38:39], off offset:512
	s_wait_loadcnt 0x0
	scratch_store_b128 off, v[2:5], off offset:16 ; 16-byte Folded Spill
	s_wait_xcnt 0x0
	s_and_saveexec_b32 s1, vcc_lo
	s_cbranch_execz .LBB52_40
; %bb.39:                               ;   in Loop: Header=BB52_36 Depth=1
	scratch_load_b128 v[2:5], off, off offset:16 th:TH_LOAD_LU ; 16-byte Folded Reload
	v_cmp_gt_i32_e64 s0, s12, v127
	s_wait_loadcnt 0x0
	s_delay_alu instid0(VALU_DEP_1) | instskip(SKIP_1) | instid1(VALU_DEP_1)
	v_cndmask_b32_e64 v3, 0, v3, s0
	v_cmp_gt_i32_e64 s0, s21, v0
	v_cndmask_b32_e64 v2, 0, v2, s0
	v_cmp_gt_i32_e64 s0, s12, v1
	s_delay_alu instid0(VALU_DEP_1) | instskip(SKIP_1) | instid1(VALU_DEP_1)
	v_cndmask_b32_e64 v5, 0, v5, s0
	v_cmp_gt_i32_e64 s0, s21, v126
	v_cndmask_b32_e64 v4, 0, v4, s0
	scratch_store_b128 off, v[2:5], off offset:16 ; 16-byte Folded Spill
.LBB52_40:                              ;   in Loop: Header=BB52_36 Depth=1
	s_wait_xcnt 0x0
	s_or_b32 exec_lo, exec_lo, s1
	global_load_b128 v[2:5], v[38:39], off offset:1024
	s_wait_loadcnt 0x0
	scratch_store_b128 off, v[2:5], off offset:32 ; 16-byte Folded Spill
	s_wait_xcnt 0x0
	s_and_saveexec_b32 s1, vcc_lo
	s_cbranch_execz .LBB52_42
; %bb.41:                               ;   in Loop: Header=BB52_36 Depth=1
	scratch_load_b128 v[2:5], off, off offset:32 th:TH_LOAD_LU ; 16-byte Folded Reload
	v_cmp_gt_i32_e64 s0, s12, v127
	s_wait_loadcnt 0x0
	s_delay_alu instid0(VALU_DEP_1) | instskip(SKIP_1) | instid1(VALU_DEP_1)
	v_cndmask_b32_e64 v3, 0, v3, s0
	v_cmp_gt_i32_e64 s0, s21, v0
	v_cndmask_b32_e64 v2, 0, v2, s0
	v_cmp_gt_i32_e64 s0, s12, v1
	s_delay_alu instid0(VALU_DEP_1) | instskip(SKIP_1) | instid1(VALU_DEP_1)
	v_cndmask_b32_e64 v5, 0, v5, s0
	v_cmp_gt_i32_e64 s0, s21, v126
	v_cndmask_b32_e64 v4, 0, v4, s0
	scratch_store_b128 off, v[2:5], off offset:32 ; 16-byte Folded Spill
.LBB52_42:                              ;   in Loop: Header=BB52_36 Depth=1
	;; [unrolled: 23-line block ×12, first 2 shown]
	s_wait_xcnt 0x0
	s_or_b32 exec_lo, exec_lo, s1
	global_load_b128 v[2:5], v[38:39], off offset:6656
	s_wait_loadcnt 0x0
	scratch_store_b128 off, v[2:5], off offset:208 ; 16-byte Folded Spill
	s_wait_xcnt 0x0
	s_and_saveexec_b32 s13, vcc_lo
	s_cbranch_execz .LBB52_64
; %bb.63:                               ;   in Loop: Header=BB52_36 Depth=1
	scratch_load_b128 v[2:5], off, off offset:208 th:TH_LOAD_LU ; 16-byte Folded Reload
	v_cmp_gt_i32_e64 s0, s21, v0
	v_cmp_gt_i32_e64 s1, s12, v127
	s_wait_loadcnt 0x0
	s_delay_alu instid0(VALU_DEP_1) | instskip(SKIP_2) | instid1(VALU_DEP_1)
	v_dual_cndmask_b32 v3, 0, v3, s1 :: v_dual_cndmask_b32 v2, 0, v2, s0
	v_cmp_gt_i32_e64 s0, s21, v126
	v_cmp_gt_i32_e64 s1, s12, v1
	v_dual_cndmask_b32 v4, 0, v4, s0 :: v_dual_cndmask_b32 v5, 0, v5, s1
	scratch_store_b128 off, v[2:5], off offset:208 ; 16-byte Folded Spill
.LBB52_64:                              ;   in Loop: Header=BB52_36 Depth=1
	s_wait_xcnt 0x0
	s_or_b32 exec_lo, exec_lo, s13
	global_load_b128 v[2:5], v[38:39], off offset:7168
	s_wait_loadcnt 0x0
	scratch_store_b128 off, v[2:5], off offset:224 ; 16-byte Folded Spill
	s_wait_xcnt 0x0
	s_and_saveexec_b32 s13, vcc_lo
	s_cbranch_execz .LBB52_66
; %bb.65:                               ;   in Loop: Header=BB52_36 Depth=1
	scratch_load_b128 v[2:5], off, off offset:224 th:TH_LOAD_LU ; 16-byte Folded Reload
	v_cmp_gt_i32_e64 s0, s21, v0
	v_cmp_gt_i32_e64 s1, s12, v127
	s_wait_loadcnt 0x0
	s_delay_alu instid0(VALU_DEP_1) | instskip(SKIP_2) | instid1(VALU_DEP_1)
	v_dual_cndmask_b32 v3, 0, v3, s1 :: v_dual_cndmask_b32 v2, 0, v2, s0
	v_cmp_gt_i32_e64 s0, s21, v126
	v_cmp_gt_i32_e64 s1, s12, v1
	v_dual_cndmask_b32 v4, 0, v4, s0 :: v_dual_cndmask_b32 v5, 0, v5, s1
	scratch_store_b128 off, v[2:5], off offset:224 ; 16-byte Folded Spill
.LBB52_66:                              ;   in Loop: Header=BB52_36 Depth=1
	;; [unrolled: 20-line block ×4, first 2 shown]
	s_wait_xcnt 0x0
	s_or_b32 exec_lo, exec_lo, s13
	global_load_b128 v[2:5], v[38:39], off offset:8704
	s_wait_loadcnt 0x0
	scratch_store_b128 off, v[2:5], off offset:272 ; 16-byte Folded Spill
	s_wait_xcnt 0x0
	s_and_saveexec_b32 s13, vcc_lo
	s_cbranch_execnz .LBB52_102
; %bb.71:                               ;   in Loop: Header=BB52_36 Depth=1
	s_or_b32 exec_lo, exec_lo, s13
	global_load_b128 v[78:81], v[38:39], off offset:9216
	s_wait_xcnt 0x0
	s_and_saveexec_b32 s13, vcc_lo
	s_cbranch_execnz .LBB52_103
.LBB52_72:                              ;   in Loop: Header=BB52_36 Depth=1
	s_or_b32 exec_lo, exec_lo, s13
	global_load_b128 v[82:85], v[38:39], off offset:9728
	s_wait_xcnt 0x0
	s_and_saveexec_b32 s13, vcc_lo
	s_cbranch_execnz .LBB52_104
.LBB52_73:                              ;   in Loop: Header=BB52_36 Depth=1
	s_or_b32 exec_lo, exec_lo, s13
	global_load_b128 v[86:89], v[38:39], off offset:10240
	s_wait_xcnt 0x0
	s_and_saveexec_b32 s13, vcc_lo
	s_cbranch_execnz .LBB52_105
.LBB52_74:                              ;   in Loop: Header=BB52_36 Depth=1
	s_or_b32 exec_lo, exec_lo, s13
	global_load_b128 v[90:93], v[38:39], off offset:10752
	s_wait_xcnt 0x0
	s_and_saveexec_b32 s13, vcc_lo
	s_cbranch_execnz .LBB52_106
.LBB52_75:                              ;   in Loop: Header=BB52_36 Depth=1
	s_or_b32 exec_lo, exec_lo, s13
	global_load_b128 v[94:97], v[38:39], off offset:11264
	s_wait_xcnt 0x0
	s_and_saveexec_b32 s13, vcc_lo
	s_cbranch_execnz .LBB52_107
.LBB52_76:                              ;   in Loop: Header=BB52_36 Depth=1
	s_or_b32 exec_lo, exec_lo, s13
	global_load_b128 v[98:101], v[38:39], off offset:11776
	s_wait_xcnt 0x0
	s_and_saveexec_b32 s13, vcc_lo
	s_cbranch_execnz .LBB52_108
.LBB52_77:                              ;   in Loop: Header=BB52_36 Depth=1
	s_or_b32 exec_lo, exec_lo, s13
	global_load_b128 v[102:105], v[38:39], off offset:12288
	s_wait_xcnt 0x0
	s_and_saveexec_b32 s13, vcc_lo
	s_cbranch_execnz .LBB52_109
.LBB52_78:                              ;   in Loop: Header=BB52_36 Depth=1
	s_or_b32 exec_lo, exec_lo, s13
	global_load_b128 v[106:109], v[38:39], off offset:12800
	s_wait_xcnt 0x0
	s_and_saveexec_b32 s13, vcc_lo
	s_cbranch_execnz .LBB52_110
.LBB52_79:                              ;   in Loop: Header=BB52_36 Depth=1
	s_or_b32 exec_lo, exec_lo, s13
	global_load_b128 v[110:113], v[38:39], off offset:13312
	s_wait_xcnt 0x0
	s_and_saveexec_b32 s13, vcc_lo
	s_cbranch_execnz .LBB52_111
.LBB52_80:                              ;   in Loop: Header=BB52_36 Depth=1
	s_or_b32 exec_lo, exec_lo, s13
	global_load_b128 v[114:117], v[38:39], off offset:13824
	s_wait_xcnt 0x0
	s_and_saveexec_b32 s13, vcc_lo
	s_cbranch_execnz .LBB52_112
.LBB52_81:                              ;   in Loop: Header=BB52_36 Depth=1
	s_or_b32 exec_lo, exec_lo, s13
	global_load_b128 v[118:121], v[38:39], off offset:14336
	s_wait_xcnt 0x0
	s_and_saveexec_b32 s13, vcc_lo
	s_cbranch_execnz .LBB52_113
.LBB52_82:                              ;   in Loop: Header=BB52_36 Depth=1
	s_or_b32 exec_lo, exec_lo, s13
	global_load_b128 v[122:125], v[38:39], off offset:14848
	s_wait_xcnt 0x0
	s_and_saveexec_b32 s13, vcc_lo
	s_cbranch_execnz .LBB52_114
.LBB52_83:                              ;   in Loop: Header=BB52_36 Depth=1
	s_or_b32 exec_lo, exec_lo, s13
	global_load_b128 v[2:5], v[38:39], off offset:15360
	s_wait_xcnt 0x0
	s_and_saveexec_b32 s13, vcc_lo
	s_cbranch_execz .LBB52_85
.LBB52_84:                              ;   in Loop: Header=BB52_36 Depth=1
	v_cmp_gt_i32_e64 s0, s21, v0
	v_cmp_gt_i32_e64 s1, s12, v127
	s_wait_loadcnt 0x0
	s_delay_alu instid0(VALU_DEP_1) | instskip(SKIP_2) | instid1(VALU_DEP_1)
	v_dual_cndmask_b32 v2, 0, v2, s0 :: v_dual_cndmask_b32 v3, 0, v3, s1
	v_cmp_gt_i32_e64 s0, s21, v126
	v_cmp_gt_i32_e64 s1, s12, v1
	v_dual_cndmask_b32 v4, 0, v4, s0 :: v_dual_cndmask_b32 v5, 0, v5, s1
.LBB52_85:                              ;   in Loop: Header=BB52_36 Depth=1
	s_or_b32 exec_lo, exec_lo, s13
	scratch_load_b64 v[12:13], off, off offset:528 ; 8-byte Folded Reload
	s_wait_loadcnt 0x0
	v_add_nc_u64_e32 v[10:11], v[10:11], v[12:13]
	global_load_b128 v[10:13], v[10:11], off
	s_wait_xcnt 0x0
	s_and_saveexec_b32 s13, vcc_lo
	s_cbranch_execnz .LBB52_115
; %bb.86:                               ;   in Loop: Header=BB52_36 Depth=1
	s_or_b32 exec_lo, exec_lo, s13
	global_load_b128 v[14:17], v[38:39], off offset:16384
	s_wait_xcnt 0x0
	s_and_saveexec_b32 s13, vcc_lo
	s_cbranch_execnz .LBB52_116
.LBB52_87:                              ;   in Loop: Header=BB52_36 Depth=1
	s_or_b32 exec_lo, exec_lo, s13
	global_load_b128 v[18:21], v[38:39], off offset:16896
	s_wait_xcnt 0x0
	s_and_saveexec_b32 s13, vcc_lo
	s_cbranch_execnz .LBB52_117
.LBB52_88:                              ;   in Loop: Header=BB52_36 Depth=1
	s_or_b32 exec_lo, exec_lo, s13
	global_load_b128 v[22:25], v[38:39], off offset:17408
	s_wait_xcnt 0x0
	s_and_saveexec_b32 s13, vcc_lo
	s_cbranch_execnz .LBB52_118
.LBB52_89:                              ;   in Loop: Header=BB52_36 Depth=1
	s_or_b32 exec_lo, exec_lo, s13
	global_load_b128 v[26:29], v[38:39], off offset:17920
	s_wait_xcnt 0x0
	s_and_saveexec_b32 s13, vcc_lo
	s_cbranch_execnz .LBB52_119
.LBB52_90:                              ;   in Loop: Header=BB52_36 Depth=1
	s_or_b32 exec_lo, exec_lo, s13
	global_load_b128 v[30:33], v[38:39], off offset:18432
	s_wait_xcnt 0x0
	s_and_saveexec_b32 s13, vcc_lo
	s_cbranch_execnz .LBB52_120
.LBB52_91:                              ;   in Loop: Header=BB52_36 Depth=1
	s_or_b32 exec_lo, exec_lo, s13
	global_load_b128 v[34:37], v[38:39], off offset:18944
	s_wait_xcnt 0x0
	s_and_saveexec_b32 s13, vcc_lo
	s_cbranch_execnz .LBB52_121
.LBB52_92:                              ;   in Loop: Header=BB52_36 Depth=1
	s_or_b32 exec_lo, exec_lo, s13
	global_load_b128 v[42:45], v[38:39], off offset:19456
	s_wait_xcnt 0x0
	s_and_saveexec_b32 s13, vcc_lo
	s_cbranch_execnz .LBB52_122
.LBB52_93:                              ;   in Loop: Header=BB52_36 Depth=1
	s_or_b32 exec_lo, exec_lo, s13
	global_load_b128 v[46:49], v[38:39], off offset:19968
	s_wait_xcnt 0x0
	s_and_saveexec_b32 s13, vcc_lo
	s_cbranch_execnz .LBB52_123
.LBB52_94:                              ;   in Loop: Header=BB52_36 Depth=1
	s_or_b32 exec_lo, exec_lo, s13
	global_load_b128 v[50:53], v[38:39], off offset:20480
	s_wait_xcnt 0x0
	s_and_saveexec_b32 s13, vcc_lo
	s_cbranch_execnz .LBB52_124
.LBB52_95:                              ;   in Loop: Header=BB52_36 Depth=1
	s_or_b32 exec_lo, exec_lo, s13
	global_load_b128 v[54:57], v[38:39], off offset:20992
	s_wait_xcnt 0x0
	s_and_saveexec_b32 s13, vcc_lo
	s_cbranch_execnz .LBB52_125
.LBB52_96:                              ;   in Loop: Header=BB52_36 Depth=1
	s_or_b32 exec_lo, exec_lo, s13
	global_load_b128 v[58:61], v[38:39], off offset:21504
	s_wait_xcnt 0x0
	s_and_saveexec_b32 s13, vcc_lo
	s_cbranch_execnz .LBB52_126
.LBB52_97:                              ;   in Loop: Header=BB52_36 Depth=1
	s_or_b32 exec_lo, exec_lo, s13
	global_load_b128 v[62:65], v[38:39], off offset:22016
	s_wait_xcnt 0x0
	s_and_saveexec_b32 s13, vcc_lo
	s_cbranch_execnz .LBB52_127
.LBB52_98:                              ;   in Loop: Header=BB52_36 Depth=1
	s_or_b32 exec_lo, exec_lo, s13
	global_load_b128 v[66:69], v[38:39], off offset:22528
	s_wait_xcnt 0x0
	s_and_saveexec_b32 s13, vcc_lo
	s_cbranch_execnz .LBB52_128
.LBB52_99:                              ;   in Loop: Header=BB52_36 Depth=1
	s_or_b32 exec_lo, exec_lo, s13
	global_load_b128 v[70:73], v[38:39], off offset:23040
	s_wait_xcnt 0x0
	s_and_saveexec_b32 s13, vcc_lo
	s_cbranch_execnz .LBB52_129
.LBB52_100:                             ;   in Loop: Header=BB52_36 Depth=1
	s_or_b32 exec_lo, exec_lo, s13
	global_load_b128 v[74:77], v[38:39], off offset:23552
	s_wait_xcnt 0x0
	s_and_saveexec_b32 s13, vcc_lo
	s_cbranch_execnz .LBB52_130
.LBB52_101:                             ;   in Loop: Header=BB52_36 Depth=1
	s_or_b32 exec_lo, exec_lo, s13
	global_load_b128 v[38:41], v[38:39], off offset:24064
	s_wait_xcnt 0x0
	s_and_saveexec_b32 s1, vcc_lo
	s_cbranch_execz .LBB52_35
	s_branch .LBB52_131
.LBB52_102:                             ;   in Loop: Header=BB52_36 Depth=1
	scratch_load_b128 v[2:5], off, off offset:272 th:TH_LOAD_LU ; 16-byte Folded Reload
	v_cmp_gt_i32_e64 s0, s21, v0
	v_cmp_gt_i32_e64 s1, s12, v127
	s_wait_loadcnt 0x0
	s_delay_alu instid0(VALU_DEP_1) | instskip(SKIP_2) | instid1(VALU_DEP_1)
	v_dual_cndmask_b32 v3, 0, v3, s1 :: v_dual_cndmask_b32 v2, 0, v2, s0
	v_cmp_gt_i32_e64 s0, s21, v126
	v_cmp_gt_i32_e64 s1, s12, v1
	v_dual_cndmask_b32 v4, 0, v4, s0 :: v_dual_cndmask_b32 v5, 0, v5, s1
	scratch_store_b128 off, v[2:5], off offset:272 ; 16-byte Folded Spill
	s_wait_xcnt 0x0
	s_or_b32 exec_lo, exec_lo, s13
	global_load_b128 v[78:81], v[38:39], off offset:9216
	s_wait_xcnt 0x0
	s_and_saveexec_b32 s13, vcc_lo
	s_cbranch_execz .LBB52_72
.LBB52_103:                             ;   in Loop: Header=BB52_36 Depth=1
	v_cmp_gt_i32_e64 s0, s21, v0
	v_cmp_gt_i32_e64 s1, s12, v127
	s_wait_loadcnt 0x0
	s_delay_alu instid0(VALU_DEP_1) | instskip(SKIP_2) | instid1(VALU_DEP_1)
	v_dual_cndmask_b32 v78, 0, v78, s0 :: v_dual_cndmask_b32 v79, 0, v79, s1
	v_cmp_gt_i32_e64 s0, s21, v126
	v_cmp_gt_i32_e64 s1, s12, v1
	v_dual_cndmask_b32 v80, 0, v80, s0 :: v_dual_cndmask_b32 v81, 0, v81, s1
	s_or_b32 exec_lo, exec_lo, s13
	global_load_b128 v[82:85], v[38:39], off offset:9728
	s_wait_xcnt 0x0
	s_and_saveexec_b32 s13, vcc_lo
	s_cbranch_execz .LBB52_73
.LBB52_104:                             ;   in Loop: Header=BB52_36 Depth=1
	v_cmp_gt_i32_e64 s0, s21, v0
	v_cmp_gt_i32_e64 s1, s12, v127
	s_wait_loadcnt 0x0
	s_delay_alu instid0(VALU_DEP_1) | instskip(SKIP_2) | instid1(VALU_DEP_1)
	v_dual_cndmask_b32 v82, 0, v82, s0 :: v_dual_cndmask_b32 v83, 0, v83, s1
	v_cmp_gt_i32_e64 s0, s21, v126
	v_cmp_gt_i32_e64 s1, s12, v1
	v_dual_cndmask_b32 v84, 0, v84, s0 :: v_dual_cndmask_b32 v85, 0, v85, s1
	s_or_b32 exec_lo, exec_lo, s13
	global_load_b128 v[86:89], v[38:39], off offset:10240
	s_wait_xcnt 0x0
	s_and_saveexec_b32 s13, vcc_lo
	s_cbranch_execz .LBB52_74
.LBB52_105:                             ;   in Loop: Header=BB52_36 Depth=1
	v_cmp_gt_i32_e64 s0, s21, v0
	v_cmp_gt_i32_e64 s1, s12, v127
	s_wait_loadcnt 0x0
	s_delay_alu instid0(VALU_DEP_1) | instskip(SKIP_2) | instid1(VALU_DEP_1)
	v_dual_cndmask_b32 v86, 0, v86, s0 :: v_dual_cndmask_b32 v87, 0, v87, s1
	v_cmp_gt_i32_e64 s0, s21, v126
	v_cmp_gt_i32_e64 s1, s12, v1
	v_dual_cndmask_b32 v88, 0, v88, s0 :: v_dual_cndmask_b32 v89, 0, v89, s1
	s_or_b32 exec_lo, exec_lo, s13
	global_load_b128 v[90:93], v[38:39], off offset:10752
	s_wait_xcnt 0x0
	s_and_saveexec_b32 s13, vcc_lo
	s_cbranch_execz .LBB52_75
.LBB52_106:                             ;   in Loop: Header=BB52_36 Depth=1
	v_cmp_gt_i32_e64 s0, s21, v0
	v_cmp_gt_i32_e64 s1, s12, v127
	s_wait_loadcnt 0x0
	s_delay_alu instid0(VALU_DEP_1) | instskip(SKIP_2) | instid1(VALU_DEP_1)
	v_dual_cndmask_b32 v90, 0, v90, s0 :: v_dual_cndmask_b32 v91, 0, v91, s1
	v_cmp_gt_i32_e64 s0, s21, v126
	v_cmp_gt_i32_e64 s1, s12, v1
	v_dual_cndmask_b32 v92, 0, v92, s0 :: v_dual_cndmask_b32 v93, 0, v93, s1
	s_or_b32 exec_lo, exec_lo, s13
	global_load_b128 v[94:97], v[38:39], off offset:11264
	s_wait_xcnt 0x0
	s_and_saveexec_b32 s13, vcc_lo
	s_cbranch_execz .LBB52_76
.LBB52_107:                             ;   in Loop: Header=BB52_36 Depth=1
	v_cmp_gt_i32_e64 s0, s21, v0
	v_cmp_gt_i32_e64 s1, s12, v127
	s_wait_loadcnt 0x0
	s_delay_alu instid0(VALU_DEP_1) | instskip(SKIP_2) | instid1(VALU_DEP_1)
	v_dual_cndmask_b32 v94, 0, v94, s0 :: v_dual_cndmask_b32 v95, 0, v95, s1
	v_cmp_gt_i32_e64 s0, s21, v126
	v_cmp_gt_i32_e64 s1, s12, v1
	v_dual_cndmask_b32 v96, 0, v96, s0 :: v_dual_cndmask_b32 v97, 0, v97, s1
	s_or_b32 exec_lo, exec_lo, s13
	global_load_b128 v[98:101], v[38:39], off offset:11776
	s_wait_xcnt 0x0
	s_and_saveexec_b32 s13, vcc_lo
	s_cbranch_execz .LBB52_77
.LBB52_108:                             ;   in Loop: Header=BB52_36 Depth=1
	v_cmp_gt_i32_e64 s0, s21, v0
	v_cmp_gt_i32_e64 s1, s12, v127
	s_wait_loadcnt 0x0
	s_delay_alu instid0(VALU_DEP_1) | instskip(SKIP_2) | instid1(VALU_DEP_1)
	v_dual_cndmask_b32 v98, 0, v98, s0 :: v_dual_cndmask_b32 v99, 0, v99, s1
	v_cmp_gt_i32_e64 s0, s21, v126
	v_cmp_gt_i32_e64 s1, s12, v1
	v_dual_cndmask_b32 v100, 0, v100, s0 :: v_dual_cndmask_b32 v101, 0, v101, s1
	s_or_b32 exec_lo, exec_lo, s13
	global_load_b128 v[102:105], v[38:39], off offset:12288
	s_wait_xcnt 0x0
	s_and_saveexec_b32 s13, vcc_lo
	s_cbranch_execz .LBB52_78
.LBB52_109:                             ;   in Loop: Header=BB52_36 Depth=1
	v_cmp_gt_i32_e64 s0, s21, v0
	v_cmp_gt_i32_e64 s1, s12, v127
	s_wait_loadcnt 0x0
	s_delay_alu instid0(VALU_DEP_1) | instskip(SKIP_2) | instid1(VALU_DEP_1)
	v_dual_cndmask_b32 v102, 0, v102, s0 :: v_dual_cndmask_b32 v103, 0, v103, s1
	v_cmp_gt_i32_e64 s0, s21, v126
	v_cmp_gt_i32_e64 s1, s12, v1
	v_dual_cndmask_b32 v104, 0, v104, s0 :: v_dual_cndmask_b32 v105, 0, v105, s1
	s_or_b32 exec_lo, exec_lo, s13
	global_load_b128 v[106:109], v[38:39], off offset:12800
	s_wait_xcnt 0x0
	s_and_saveexec_b32 s13, vcc_lo
	s_cbranch_execz .LBB52_79
.LBB52_110:                             ;   in Loop: Header=BB52_36 Depth=1
	v_cmp_gt_i32_e64 s0, s21, v0
	v_cmp_gt_i32_e64 s1, s12, v127
	s_wait_loadcnt 0x0
	s_delay_alu instid0(VALU_DEP_1) | instskip(SKIP_2) | instid1(VALU_DEP_1)
	v_dual_cndmask_b32 v106, 0, v106, s0 :: v_dual_cndmask_b32 v107, 0, v107, s1
	v_cmp_gt_i32_e64 s0, s21, v126
	v_cmp_gt_i32_e64 s1, s12, v1
	v_dual_cndmask_b32 v108, 0, v108, s0 :: v_dual_cndmask_b32 v109, 0, v109, s1
	s_or_b32 exec_lo, exec_lo, s13
	global_load_b128 v[110:113], v[38:39], off offset:13312
	s_wait_xcnt 0x0
	s_and_saveexec_b32 s13, vcc_lo
	s_cbranch_execz .LBB52_80
.LBB52_111:                             ;   in Loop: Header=BB52_36 Depth=1
	v_cmp_gt_i32_e64 s0, s21, v0
	v_cmp_gt_i32_e64 s1, s12, v127
	s_wait_loadcnt 0x0
	s_delay_alu instid0(VALU_DEP_1) | instskip(SKIP_2) | instid1(VALU_DEP_1)
	v_dual_cndmask_b32 v110, 0, v110, s0 :: v_dual_cndmask_b32 v111, 0, v111, s1
	v_cmp_gt_i32_e64 s0, s21, v126
	v_cmp_gt_i32_e64 s1, s12, v1
	v_dual_cndmask_b32 v112, 0, v112, s0 :: v_dual_cndmask_b32 v113, 0, v113, s1
	s_or_b32 exec_lo, exec_lo, s13
	global_load_b128 v[114:117], v[38:39], off offset:13824
	s_wait_xcnt 0x0
	s_and_saveexec_b32 s13, vcc_lo
	s_cbranch_execz .LBB52_81
.LBB52_112:                             ;   in Loop: Header=BB52_36 Depth=1
	v_cmp_gt_i32_e64 s0, s21, v0
	v_cmp_gt_i32_e64 s1, s12, v127
	s_wait_loadcnt 0x0
	s_delay_alu instid0(VALU_DEP_1) | instskip(SKIP_2) | instid1(VALU_DEP_1)
	v_dual_cndmask_b32 v114, 0, v114, s0 :: v_dual_cndmask_b32 v115, 0, v115, s1
	v_cmp_gt_i32_e64 s0, s21, v126
	v_cmp_gt_i32_e64 s1, s12, v1
	v_dual_cndmask_b32 v116, 0, v116, s0 :: v_dual_cndmask_b32 v117, 0, v117, s1
	s_or_b32 exec_lo, exec_lo, s13
	global_load_b128 v[118:121], v[38:39], off offset:14336
	s_wait_xcnt 0x0
	s_and_saveexec_b32 s13, vcc_lo
	s_cbranch_execz .LBB52_82
.LBB52_113:                             ;   in Loop: Header=BB52_36 Depth=1
	v_cmp_gt_i32_e64 s0, s21, v0
	v_cmp_gt_i32_e64 s1, s12, v127
	s_wait_loadcnt 0x0
	s_delay_alu instid0(VALU_DEP_1) | instskip(SKIP_2) | instid1(VALU_DEP_1)
	v_dual_cndmask_b32 v118, 0, v118, s0 :: v_dual_cndmask_b32 v119, 0, v119, s1
	v_cmp_gt_i32_e64 s0, s21, v126
	v_cmp_gt_i32_e64 s1, s12, v1
	v_dual_cndmask_b32 v120, 0, v120, s0 :: v_dual_cndmask_b32 v121, 0, v121, s1
	s_or_b32 exec_lo, exec_lo, s13
	global_load_b128 v[122:125], v[38:39], off offset:14848
	s_wait_xcnt 0x0
	s_and_saveexec_b32 s13, vcc_lo
	s_cbranch_execz .LBB52_83
.LBB52_114:                             ;   in Loop: Header=BB52_36 Depth=1
	v_cmp_gt_i32_e64 s0, s21, v0
	v_cmp_gt_i32_e64 s1, s12, v127
	s_wait_loadcnt 0x0
	s_delay_alu instid0(VALU_DEP_1) | instskip(SKIP_2) | instid1(VALU_DEP_1)
	v_dual_cndmask_b32 v122, 0, v122, s0 :: v_dual_cndmask_b32 v123, 0, v123, s1
	v_cmp_gt_i32_e64 s0, s21, v126
	v_cmp_gt_i32_e64 s1, s12, v1
	v_dual_cndmask_b32 v124, 0, v124, s0 :: v_dual_cndmask_b32 v125, 0, v125, s1
	s_or_b32 exec_lo, exec_lo, s13
	global_load_b128 v[2:5], v[38:39], off offset:15360
	s_wait_xcnt 0x0
	s_and_saveexec_b32 s13, vcc_lo
	s_cbranch_execnz .LBB52_84
	s_branch .LBB52_85
.LBB52_115:                             ;   in Loop: Header=BB52_36 Depth=1
	v_cmp_gt_i32_e64 s0, s21, v0
	v_cmp_gt_i32_e64 s1, s12, v127
	s_wait_loadcnt 0x0
	s_delay_alu instid0(VALU_DEP_1) | instskip(SKIP_2) | instid1(VALU_DEP_1)
	v_dual_cndmask_b32 v10, 0, v10, s0 :: v_dual_cndmask_b32 v11, 0, v11, s1
	v_cmp_gt_i32_e64 s0, s21, v126
	v_cmp_gt_i32_e64 s1, s12, v1
	v_dual_cndmask_b32 v12, 0, v12, s0 :: v_dual_cndmask_b32 v13, 0, v13, s1
	s_or_b32 exec_lo, exec_lo, s13
	global_load_b128 v[14:17], v[38:39], off offset:16384
	s_wait_xcnt 0x0
	s_and_saveexec_b32 s13, vcc_lo
	s_cbranch_execz .LBB52_87
.LBB52_116:                             ;   in Loop: Header=BB52_36 Depth=1
	v_cmp_gt_i32_e64 s0, s21, v0
	v_cmp_gt_i32_e64 s1, s12, v127
	s_wait_loadcnt 0x0
	s_delay_alu instid0(VALU_DEP_1) | instskip(SKIP_2) | instid1(VALU_DEP_1)
	v_dual_cndmask_b32 v14, 0, v14, s0 :: v_dual_cndmask_b32 v15, 0, v15, s1
	v_cmp_gt_i32_e64 s0, s21, v126
	v_cmp_gt_i32_e64 s1, s12, v1
	v_dual_cndmask_b32 v16, 0, v16, s0 :: v_dual_cndmask_b32 v17, 0, v17, s1
	s_or_b32 exec_lo, exec_lo, s13
	global_load_b128 v[18:21], v[38:39], off offset:16896
	s_wait_xcnt 0x0
	s_and_saveexec_b32 s13, vcc_lo
	s_cbranch_execz .LBB52_88
.LBB52_117:                             ;   in Loop: Header=BB52_36 Depth=1
	v_cmp_gt_i32_e64 s0, s21, v0
	v_cmp_gt_i32_e64 s1, s12, v127
	s_wait_loadcnt 0x0
	s_delay_alu instid0(VALU_DEP_1) | instskip(SKIP_2) | instid1(VALU_DEP_1)
	v_dual_cndmask_b32 v18, 0, v18, s0 :: v_dual_cndmask_b32 v19, 0, v19, s1
	v_cmp_gt_i32_e64 s0, s21, v126
	v_cmp_gt_i32_e64 s1, s12, v1
	v_dual_cndmask_b32 v20, 0, v20, s0 :: v_dual_cndmask_b32 v21, 0, v21, s1
	s_or_b32 exec_lo, exec_lo, s13
	global_load_b128 v[22:25], v[38:39], off offset:17408
	s_wait_xcnt 0x0
	s_and_saveexec_b32 s13, vcc_lo
	s_cbranch_execz .LBB52_89
.LBB52_118:                             ;   in Loop: Header=BB52_36 Depth=1
	v_cmp_gt_i32_e64 s0, s21, v0
	v_cmp_gt_i32_e64 s1, s12, v127
	s_wait_loadcnt 0x0
	s_delay_alu instid0(VALU_DEP_1) | instskip(SKIP_2) | instid1(VALU_DEP_1)
	v_dual_cndmask_b32 v22, 0, v22, s0 :: v_dual_cndmask_b32 v23, 0, v23, s1
	v_cmp_gt_i32_e64 s0, s21, v126
	v_cmp_gt_i32_e64 s1, s12, v1
	v_dual_cndmask_b32 v24, 0, v24, s0 :: v_dual_cndmask_b32 v25, 0, v25, s1
	s_or_b32 exec_lo, exec_lo, s13
	global_load_b128 v[26:29], v[38:39], off offset:17920
	s_wait_xcnt 0x0
	s_and_saveexec_b32 s13, vcc_lo
	s_cbranch_execz .LBB52_90
.LBB52_119:                             ;   in Loop: Header=BB52_36 Depth=1
	v_cmp_gt_i32_e64 s0, s21, v0
	v_cmp_gt_i32_e64 s1, s12, v127
	s_wait_loadcnt 0x0
	s_delay_alu instid0(VALU_DEP_1) | instskip(SKIP_2) | instid1(VALU_DEP_1)
	v_dual_cndmask_b32 v26, 0, v26, s0 :: v_dual_cndmask_b32 v27, 0, v27, s1
	v_cmp_gt_i32_e64 s0, s21, v126
	v_cmp_gt_i32_e64 s1, s12, v1
	v_dual_cndmask_b32 v28, 0, v28, s0 :: v_dual_cndmask_b32 v29, 0, v29, s1
	s_or_b32 exec_lo, exec_lo, s13
	global_load_b128 v[30:33], v[38:39], off offset:18432
	s_wait_xcnt 0x0
	s_and_saveexec_b32 s13, vcc_lo
	s_cbranch_execz .LBB52_91
.LBB52_120:                             ;   in Loop: Header=BB52_36 Depth=1
	v_cmp_gt_i32_e64 s0, s21, v0
	v_cmp_gt_i32_e64 s1, s12, v127
	s_wait_loadcnt 0x0
	s_delay_alu instid0(VALU_DEP_1) | instskip(SKIP_2) | instid1(VALU_DEP_1)
	v_dual_cndmask_b32 v30, 0, v30, s0 :: v_dual_cndmask_b32 v31, 0, v31, s1
	v_cmp_gt_i32_e64 s0, s21, v126
	v_cmp_gt_i32_e64 s1, s12, v1
	v_dual_cndmask_b32 v32, 0, v32, s0 :: v_dual_cndmask_b32 v33, 0, v33, s1
	s_or_b32 exec_lo, exec_lo, s13
	global_load_b128 v[34:37], v[38:39], off offset:18944
	s_wait_xcnt 0x0
	s_and_saveexec_b32 s13, vcc_lo
	s_cbranch_execz .LBB52_92
.LBB52_121:                             ;   in Loop: Header=BB52_36 Depth=1
	v_cmp_gt_i32_e64 s0, s21, v0
	v_cmp_gt_i32_e64 s1, s12, v127
	s_wait_loadcnt 0x0
	s_delay_alu instid0(VALU_DEP_1) | instskip(SKIP_2) | instid1(VALU_DEP_1)
	v_dual_cndmask_b32 v34, 0, v34, s0 :: v_dual_cndmask_b32 v35, 0, v35, s1
	v_cmp_gt_i32_e64 s0, s21, v126
	v_cmp_gt_i32_e64 s1, s12, v1
	v_dual_cndmask_b32 v36, 0, v36, s0 :: v_dual_cndmask_b32 v37, 0, v37, s1
	s_or_b32 exec_lo, exec_lo, s13
	global_load_b128 v[42:45], v[38:39], off offset:19456
	s_wait_xcnt 0x0
	s_and_saveexec_b32 s13, vcc_lo
	s_cbranch_execz .LBB52_93
.LBB52_122:                             ;   in Loop: Header=BB52_36 Depth=1
	v_cmp_gt_i32_e64 s0, s21, v0
	v_cmp_gt_i32_e64 s1, s12, v127
	s_wait_loadcnt 0x0
	s_delay_alu instid0(VALU_DEP_1) | instskip(SKIP_2) | instid1(VALU_DEP_1)
	v_dual_cndmask_b32 v42, 0, v42, s0 :: v_dual_cndmask_b32 v43, 0, v43, s1
	v_cmp_gt_i32_e64 s0, s21, v126
	v_cmp_gt_i32_e64 s1, s12, v1
	v_dual_cndmask_b32 v44, 0, v44, s0 :: v_dual_cndmask_b32 v45, 0, v45, s1
	s_or_b32 exec_lo, exec_lo, s13
	global_load_b128 v[46:49], v[38:39], off offset:19968
	s_wait_xcnt 0x0
	s_and_saveexec_b32 s13, vcc_lo
	s_cbranch_execz .LBB52_94
.LBB52_123:                             ;   in Loop: Header=BB52_36 Depth=1
	v_cmp_gt_i32_e64 s0, s21, v0
	v_cmp_gt_i32_e64 s1, s12, v127
	s_wait_loadcnt 0x0
	s_delay_alu instid0(VALU_DEP_1) | instskip(SKIP_2) | instid1(VALU_DEP_1)
	v_dual_cndmask_b32 v46, 0, v46, s0 :: v_dual_cndmask_b32 v47, 0, v47, s1
	v_cmp_gt_i32_e64 s0, s21, v126
	v_cmp_gt_i32_e64 s1, s12, v1
	v_dual_cndmask_b32 v48, 0, v48, s0 :: v_dual_cndmask_b32 v49, 0, v49, s1
	s_or_b32 exec_lo, exec_lo, s13
	global_load_b128 v[50:53], v[38:39], off offset:20480
	s_wait_xcnt 0x0
	s_and_saveexec_b32 s13, vcc_lo
	s_cbranch_execz .LBB52_95
.LBB52_124:                             ;   in Loop: Header=BB52_36 Depth=1
	v_cmp_gt_i32_e64 s0, s21, v0
	v_cmp_gt_i32_e64 s1, s12, v127
	s_wait_loadcnt 0x0
	s_delay_alu instid0(VALU_DEP_1) | instskip(SKIP_2) | instid1(VALU_DEP_1)
	v_dual_cndmask_b32 v50, 0, v50, s0 :: v_dual_cndmask_b32 v51, 0, v51, s1
	v_cmp_gt_i32_e64 s0, s21, v126
	v_cmp_gt_i32_e64 s1, s12, v1
	v_dual_cndmask_b32 v52, 0, v52, s0 :: v_dual_cndmask_b32 v53, 0, v53, s1
	s_or_b32 exec_lo, exec_lo, s13
	global_load_b128 v[54:57], v[38:39], off offset:20992
	s_wait_xcnt 0x0
	s_and_saveexec_b32 s13, vcc_lo
	s_cbranch_execz .LBB52_96
.LBB52_125:                             ;   in Loop: Header=BB52_36 Depth=1
	v_cmp_gt_i32_e64 s0, s21, v0
	v_cmp_gt_i32_e64 s1, s12, v127
	s_wait_loadcnt 0x0
	s_delay_alu instid0(VALU_DEP_1) | instskip(SKIP_2) | instid1(VALU_DEP_1)
	v_dual_cndmask_b32 v54, 0, v54, s0 :: v_dual_cndmask_b32 v55, 0, v55, s1
	v_cmp_gt_i32_e64 s0, s21, v126
	v_cmp_gt_i32_e64 s1, s12, v1
	v_dual_cndmask_b32 v56, 0, v56, s0 :: v_dual_cndmask_b32 v57, 0, v57, s1
	s_or_b32 exec_lo, exec_lo, s13
	global_load_b128 v[58:61], v[38:39], off offset:21504
	s_wait_xcnt 0x0
	s_and_saveexec_b32 s13, vcc_lo
	s_cbranch_execz .LBB52_97
.LBB52_126:                             ;   in Loop: Header=BB52_36 Depth=1
	v_cmp_gt_i32_e64 s0, s21, v0
	v_cmp_gt_i32_e64 s1, s12, v127
	s_wait_loadcnt 0x0
	s_delay_alu instid0(VALU_DEP_1) | instskip(SKIP_2) | instid1(VALU_DEP_1)
	v_dual_cndmask_b32 v58, 0, v58, s0 :: v_dual_cndmask_b32 v59, 0, v59, s1
	v_cmp_gt_i32_e64 s0, s21, v126
	v_cmp_gt_i32_e64 s1, s12, v1
	v_dual_cndmask_b32 v60, 0, v60, s0 :: v_dual_cndmask_b32 v61, 0, v61, s1
	s_or_b32 exec_lo, exec_lo, s13
	global_load_b128 v[62:65], v[38:39], off offset:22016
	s_wait_xcnt 0x0
	s_and_saveexec_b32 s13, vcc_lo
	s_cbranch_execz .LBB52_98
.LBB52_127:                             ;   in Loop: Header=BB52_36 Depth=1
	v_cmp_gt_i32_e64 s0, s21, v0
	v_cmp_gt_i32_e64 s1, s12, v127
	s_wait_loadcnt 0x0
	s_delay_alu instid0(VALU_DEP_1) | instskip(SKIP_2) | instid1(VALU_DEP_1)
	v_dual_cndmask_b32 v62, 0, v62, s0 :: v_dual_cndmask_b32 v63, 0, v63, s1
	v_cmp_gt_i32_e64 s0, s21, v126
	v_cmp_gt_i32_e64 s1, s12, v1
	v_dual_cndmask_b32 v64, 0, v64, s0 :: v_dual_cndmask_b32 v65, 0, v65, s1
	s_or_b32 exec_lo, exec_lo, s13
	global_load_b128 v[66:69], v[38:39], off offset:22528
	s_wait_xcnt 0x0
	s_and_saveexec_b32 s13, vcc_lo
	s_cbranch_execz .LBB52_99
.LBB52_128:                             ;   in Loop: Header=BB52_36 Depth=1
	v_cmp_gt_i32_e64 s0, s21, v0
	v_cmp_gt_i32_e64 s1, s12, v127
	s_wait_loadcnt 0x0
	s_delay_alu instid0(VALU_DEP_1) | instskip(SKIP_2) | instid1(VALU_DEP_1)
	v_dual_cndmask_b32 v66, 0, v66, s0 :: v_dual_cndmask_b32 v67, 0, v67, s1
	v_cmp_gt_i32_e64 s0, s21, v126
	v_cmp_gt_i32_e64 s1, s12, v1
	v_dual_cndmask_b32 v68, 0, v68, s0 :: v_dual_cndmask_b32 v69, 0, v69, s1
	s_or_b32 exec_lo, exec_lo, s13
	global_load_b128 v[70:73], v[38:39], off offset:23040
	s_wait_xcnt 0x0
	s_and_saveexec_b32 s13, vcc_lo
	s_cbranch_execz .LBB52_100
.LBB52_129:                             ;   in Loop: Header=BB52_36 Depth=1
	v_cmp_gt_i32_e64 s0, s21, v0
	v_cmp_gt_i32_e64 s1, s12, v127
	s_wait_loadcnt 0x0
	s_delay_alu instid0(VALU_DEP_1) | instskip(SKIP_2) | instid1(VALU_DEP_1)
	v_dual_cndmask_b32 v70, 0, v70, s0 :: v_dual_cndmask_b32 v71, 0, v71, s1
	v_cmp_gt_i32_e64 s0, s21, v126
	v_cmp_gt_i32_e64 s1, s12, v1
	v_dual_cndmask_b32 v72, 0, v72, s0 :: v_dual_cndmask_b32 v73, 0, v73, s1
	s_or_b32 exec_lo, exec_lo, s13
	global_load_b128 v[74:77], v[38:39], off offset:23552
	s_wait_xcnt 0x0
	s_and_saveexec_b32 s13, vcc_lo
	s_cbranch_execz .LBB52_101
.LBB52_130:                             ;   in Loop: Header=BB52_36 Depth=1
	v_cmp_gt_i32_e64 s0, s21, v0
	v_cmp_gt_i32_e64 s1, s12, v127
	s_wait_loadcnt 0x0
	s_delay_alu instid0(VALU_DEP_1) | instskip(SKIP_2) | instid1(VALU_DEP_1)
	v_dual_cndmask_b32 v74, 0, v74, s0 :: v_dual_cndmask_b32 v75, 0, v75, s1
	v_cmp_gt_i32_e64 s0, s21, v126
	v_cmp_gt_i32_e64 s1, s12, v1
	v_dual_cndmask_b32 v76, 0, v76, s0 :: v_dual_cndmask_b32 v77, 0, v77, s1
	s_or_b32 exec_lo, exec_lo, s13
	global_load_b128 v[38:41], v[38:39], off offset:24064
	s_wait_xcnt 0x0
	s_and_saveexec_b32 s1, vcc_lo
	s_cbranch_execz .LBB52_35
.LBB52_131:                             ;   in Loop: Header=BB52_36 Depth=1
	v_cmp_gt_i32_e32 vcc_lo, s21, v0
	v_cmp_gt_i32_e64 s0, s12, v127
	s_wait_loadcnt 0x0
	s_delay_alu instid0(VALU_DEP_1) | instskip(SKIP_2) | instid1(VALU_DEP_1)
	v_dual_cndmask_b32 v38, 0, v38, vcc_lo :: v_dual_cndmask_b32 v39, 0, v39, s0
	v_cmp_gt_i32_e32 vcc_lo, s21, v126
	v_cmp_gt_i32_e64 s0, s12, v1
	v_dual_cndmask_b32 v40, 0, v40, vcc_lo :: v_dual_cndmask_b32 v41, 0, v41, s0
	s_branch .LBB52_35
.LBB52_132:
	s_or_b32 exec_lo, exec_lo, s11
	s_clause 0x9
	scratch_load_b32 v126, off, off offset:568
	scratch_load_b64 v[62:63], off, off offset:432
	scratch_load_b64 v[40:41], off, off offset:440
	;; [unrolled: 1-line block ×9, first 2 shown]
.LBB52_133:
	s_wait_xcnt 0x0
	s_or_b32 exec_lo, exec_lo, s23
	s_clause 0x10
	scratch_load_b32 v65, off, off offset:560 th:TH_LOAD_LU
	scratch_load_b64 v[18:19], off, off offset:424 th:TH_LOAD_LU
	scratch_load_b32 v69, off, off offset:552 th:TH_LOAD_LU
	scratch_load_b32 v93, off, off offset:548 th:TH_LOAD_LU
	scratch_load_b64 v[16:17], off, off offset:416 th:TH_LOAD_LU
	scratch_load_b64 v[42:43], off, off offset:408 th:TH_LOAD_LU
	;; [unrolled: 1-line block ×13, first 2 shown]
	v_mov_b64_e32 v[14:15], v[2:3]
	s_wait_loadcnt 0x11
	v_mov_b64_e32 v[22:23], v[6:7]
	v_mov_b64_e32 v[30:31], v[8:9]
	v_mov_b64_e32 v[26:27], v[10:11]
	v_mov_b64_e32 v[34:35], v[28:29]
	v_mov_b64_e32 v[36:37], v[12:13]
	v_mov_b64_e32 v[46:47], v[24:25]
	v_mov_b64_e32 v[78:79], v[62:63]
	s_mov_b32 s1, exec_lo
	s_wait_loadcnt 0x10
	ds_bpermute_b32 v0, v65, v2
	ds_bpermute_b32 v1, v65, v3
	s_wait_loadcnt 0xf
	ds_bpermute_b32 v2, v65, v18
	ds_bpermute_b32 v3, v65, v19
	;; [unrolled: 3-line block ×3, first 2 shown]
	ds_bpermute_b32 v6, v65, v22
	ds_bpermute_b32 v7, v65, v23
	;; [unrolled: 1-line block ×8, first 2 shown]
	s_wait_loadcnt 0xa
	ds_bpermute_b32 v32, v65, v44
	ds_bpermute_b32 v33, v65, v45
	s_wait_loadcnt 0x6
	ds_bpermute_b32 v52, v65, v56
	ds_bpermute_b32 v53, v65, v57
	;; [unrolled: 3-line block ×3, first 2 shown]
	s_wait_loadcnt 0x2
	ds_bpermute_b32 v60, v65, v72
	s_wait_dscnt 0x13
	v_pk_add_f32 v[0:1], v[14:15], v[0:1]
	ds_bpermute_b32 v14, v65, v28
	s_wait_dscnt 0x12
	v_pk_add_f32 v[2:3], v[18:19], v[2:3]
	;; [unrolled: 3-line block ×3, first 2 shown]
	ds_bpermute_b32 v16, v69, v0
	ds_bpermute_b32 v17, v69, v1
	;; [unrolled: 1-line block ×6, first 2 shown]
	s_wait_dscnt 0x15
	v_pk_add_f32 v[6:7], v[22:23], v[6:7]
	s_wait_dscnt 0x13
	v_pk_add_f32 v[8:9], v[30:31], v[8:9]
	;; [unrolled: 2-line block ×3, first 2 shown]
	ds_bpermute_b32 v22, v65, v24
	ds_bpermute_b32 v23, v65, v25
	;; [unrolled: 1-line block ×10, first 2 shown]
	s_wait_dscnt 0x19
	v_pk_add_f32 v[12:13], v[36:37], v[12:13]
	ds_bpermute_b32 v36, v65, v38
	s_wait_dscnt 0xf
	v_pk_add_f32 v[0:1], v[0:1], v[16:17]
	v_pk_add_f32 v[16:17], v[34:35], v[14:15]
	s_wait_dscnt 0xd
	v_pk_add_f32 v[2:3], v[2:3], v[18:19]
	ds_bpermute_b32 v37, v65, v39
	s_wait_dscnt 0xc
	v_pk_add_f32 v[14:15], v[4:5], v[20:21]
	ds_bpermute_b32 v4, v93, v0
	ds_bpermute_b32 v5, v93, v1
	;; [unrolled: 1-line block ×6, first 2 shown]
	s_wait_dscnt 0xe
	v_pk_add_f32 v[6:7], v[6:7], v[24:25]
	v_pk_add_f32 v[22:23], v[46:47], v[22:23]
	s_wait_dscnt 0xc
	v_pk_add_f32 v[8:9], v[8:9], v[26:27]
	v_mov_b64_e32 v[46:47], v[40:41]
	s_wait_dscnt 0xa
	v_pk_add_f32 v[26:27], v[10:11], v[28:29]
	ds_bpermute_b32 v10, v93, v6
	s_wait_dscnt 0x9
	v_pk_add_f32 v[30:31], v[42:43], v[30:31]
	ds_bpermute_b32 v11, v93, v7
	v_mov_b64_e32 v[42:43], v[38:39]
	ds_bpermute_b32 v34, v93, v26
	ds_bpermute_b32 v35, v93, v27
	;; [unrolled: 1-line block ×4, first 2 shown]
	v_pk_add_f32 v[32:33], v[44:45], v[32:33]
	v_pk_add_f32 v[52:53], v[56:57], v[52:53]
	s_wait_dscnt 0xa
	v_pk_add_f32 v[4:5], v[0:1], v[4:5]
	ds_bpermute_b32 v56, v65, v82
	s_wait_dscnt 0x9
	v_pk_add_f32 v[2:3], v[2:3], v[18:19]
	ds_bpermute_b32 v18, v65, v40
	ds_bpermute_b32 v19, v65, v41
	s_wait_dscnt 0x9
	v_pk_add_f32 v[0:1], v[14:15], v[20:21]
	ds_bpermute_b32 v20, v69, v22
	ds_bpermute_b32 v21, v69, v23
	;; [unrolled: 1-line block ×6, first 2 shown]
	s_wait_dscnt 0xd
	v_pk_add_f32 v[10:11], v[6:7], v[10:11]
	ds_bpermute_b32 v29, v93, v9
	ds_bpermute_b32 v61, v65, v73
	s_wait_dscnt 0xd
	v_pk_add_f32 v[6:7], v[26:27], v[34:35]
	v_pk_add_f32 v[34:35], v[42:43], v[36:37]
	ds_bpermute_b32 v36, v65, v50
	ds_bpermute_b32 v37, v65, v51
	s_wait_dscnt 0xd
	v_pk_add_f32 v[16:17], v[16:17], v[38:39]
	ds_bpermute_b32 v26, v69, v32
	ds_bpermute_b32 v42, v69, v34
	;; [unrolled: 1-line block ×4, first 2 shown]
	s_wait_dscnt 0xe
	v_pk_add_f32 v[46:47], v[46:47], v[18:19]
	ds_bpermute_b32 v44, v65, v54
	ds_bpermute_b32 v45, v65, v55
	s_wait_dscnt 0xe
	v_pk_add_f32 v[18:19], v[22:23], v[20:21]
	ds_bpermute_b32 v62, v65, v78
	s_wait_dscnt 0xd
	v_pk_add_f32 v[20:21], v[30:31], v[40:41]
	ds_bpermute_b32 v38, v69, v46
	ds_bpermute_b32 v39, v69, v47
	;; [unrolled: 1-line block ×4, first 2 shown]
	s_wait_dscnt 0xe
	v_pk_add_f32 v[8:9], v[8:9], v[28:29]
	ds_bpermute_b32 v28, v93, v20
	ds_bpermute_b32 v29, v93, v21
	;; [unrolled: 1-line block ×3, first 2 shown]
	s_wait_dscnt 0xe
	v_pk_add_f32 v[50:51], v[50:51], v[36:37]
	s_wait_loadcnt 0x0
	ds_bpermute_b32 v64, v65, v76
	ds_bpermute_b32 v24, v69, v12
	;; [unrolled: 1-line block ×3, first 2 shown]
	s_wait_dscnt 0xe
	v_pk_add_f32 v[30:31], v[34:35], v[42:43]
	ds_bpermute_b32 v42, v69, v50
	ds_bpermute_b32 v43, v69, v51
	s_wait_dscnt 0xf
	v_pk_add_f32 v[26:27], v[32:33], v[26:27]
	s_wait_dscnt 0xd
	v_pk_add_f32 v[44:45], v[54:55], v[44:45]
	ds_bpermute_b32 v22, v93, v16
	ds_bpermute_b32 v23, v93, v17
	;; [unrolled: 1-line block ×4, first 2 shown]
	s_wait_dscnt 0xe
	v_pk_add_f32 v[36:37], v[46:47], v[38:39]
	ds_bpermute_b32 v46, v65, v70
	s_wait_dscnt 0xd
	v_pk_add_f32 v[38:39], v[48:49], v[40:41]
	ds_bpermute_b32 v47, v65, v71
	ds_bpermute_b32 v33, v93, v27
	ds_bpermute_b32 v48, v93, v36
	ds_bpermute_b32 v49, v93, v37
	ds_bpermute_b32 v40, v69, v38
	ds_bpermute_b32 v41, v69, v39
	ds_bpermute_b32 v54, v69, v44
	ds_bpermute_b32 v55, v69, v45
	s_wait_dscnt 0x12
	v_pk_add_f32 v[62:63], v[78:79], v[62:63]
	s_wait_dscnt 0xf
	v_pk_add_f32 v[12:13], v[12:13], v[24:25]
	;; [unrolled: 2-line block ×3, first 2 shown]
	ds_bpermute_b32 v42, v69, v52
	ds_bpermute_b32 v43, v69, v53
	;; [unrolled: 1-line block ×9, first 2 shown]
	s_wait_dscnt 0x10
	v_pk_add_f32 v[46:47], v[70:71], v[46:47]
	s_wait_dscnt 0xb
	v_pk_add_f32 v[70:71], v[38:39], v[40:41]
	v_pk_add_f32 v[38:39], v[82:83], v[56:57]
	ds_bpermute_b32 v40, v69, v46
	v_pk_add_f32 v[56:57], v[74:75], v[58:59]
	ds_bpermute_b32 v41, v69, v47
	;; [unrolled: 2-line block ×3, first 2 shown]
	ds_bpermute_b32 v61, v69, v39
	s_wait_dscnt 0xd
	v_pk_add_f32 v[54:55], v[44:45], v[54:55]
	ds_bpermute_b32 v44, v65, v80
	ds_bpermute_b32 v45, v65, v81
	;; [unrolled: 1-line block ×3, first 2 shown]
	s_wait_dscnt 0xe
	v_pk_add_f32 v[52:53], v[52:53], v[42:43]
	ds_bpermute_b32 v72, v69, v56
	ds_bpermute_b32 v73, v69, v57
	;; [unrolled: 1-line block ×7, first 2 shown]
	s_wait_dscnt 0xe
	v_pk_add_f32 v[34:35], v[30:31], v[34:35]
	s_wait_dscnt 0xc
	v_pk_add_f32 v[82:83], v[46:47], v[40:41]
	v_pk_add_f32 v[40:41], v[20:21], v[28:29]
	;; [unrolled: 1-line block ×3, first 2 shown]
	s_wait_dscnt 0xa
	v_pk_add_f32 v[60:61], v[38:39], v[60:61]
	v_pk_add_f32 v[38:39], v[26:27], v[32:33]
	;; [unrolled: 1-line block ×3, first 2 shown]
	s_clause 0x2
	scratch_load_b32 v36, off, off offset:544
	scratch_load_b32 v49, off, off offset:564 th:TH_LOAD_LU
	scratch_load_b32 v50, off, off offset:556 th:TH_LOAD_LU
	s_wait_dscnt 0x8
	v_pk_add_f32 v[44:45], v[80:81], v[44:45]
	s_wait_dscnt 0x7
	v_pk_add_f32 v[42:43], v[76:77], v[64:65]
	ds_bpermute_b32 v76, v69, v62
	ds_bpermute_b32 v77, v69, v63
	s_wait_dscnt 0x7
	v_pk_add_f32 v[56:57], v[56:57], v[72:73]
	ds_bpermute_b32 v64, v69, v44
	ds_bpermute_b32 v65, v69, v45
	;; [unrolled: 1-line block ×4, first 2 shown]
	s_wait_dscnt 0x9
	v_pk_add_f32 v[58:59], v[58:59], v[74:75]
	ds_bpermute_b32 v69, v93, v55
	ds_bpermute_b32 v80, v93, v70
	;; [unrolled: 1-line block ×11, first 2 shown]
	v_lshrrev_b32_e32 v48, 3, v126
	v_pk_add_f32 v[46:47], v[12:13], v[14:15]
	s_wait_dscnt 0xf
	v_pk_add_f32 v[62:63], v[62:63], v[76:77]
	s_wait_storecnt 0x0
	s_wait_loadcnt_dscnt 0x0
	s_barrier_signal -1
	v_pk_add_f32 v[64:65], v[44:45], v[64:65]
	v_pk_add_f32 v[44:45], v[16:17], v[22:23]
	v_pk_add_f32 v[76:77], v[42:43], v[78:79]
	ds_bpermute_b32 v90, v93, v62
	ds_bpermute_b32 v91, v93, v63
	;; [unrolled: 1-line block ×6, first 2 shown]
	v_pk_add_f32 v[42:43], v[18:19], v[24:25]
	v_pk_add_f32 v[26:27], v[54:55], v[68:69]
	;; [unrolled: 1-line block ×8, first 2 shown]
	s_barrier_wait -1
	s_wait_dscnt 0x0
	v_pk_add_f32 v[30:31], v[62:63], v[90:91]
	v_pk_add_f32 v[12:13], v[64:65], v[78:79]
	v_and_b32_e32 v51, 0x3c0, v36
	v_pk_add_f32 v[36:37], v[76:77], v[92:93]
	v_cmp_eq_u32_e32 vcc_lo, 0, v49
	v_lshl_add_u32 v49, v48, 2, 0x320
	v_mul_u32_u24_e32 v50, 0x300, v50
	v_cmpx_eq_u32_e32 64, v51
	s_cbranch_execz .LBB52_136
; %bb.134:
	s_and_b32 exec_lo, exec_lo, vcc_lo
	s_cbranch_execz .LBB52_136
; %bb.135:
	v_add_nc_u32_e32 v51, v49, v50
	s_delay_alu instid0(VALU_DEP_1)
	v_add_nc_u32_e32 v52, 0xfffffa00, v51
	v_add_nc_u32_e32 v53, 0xfffffa10, v51
	v_add_nc_u32_e32 v54, 0xfffffa20, v51
	v_add_nc_u32_e32 v55, 0xfffffa30, v51
	v_add_nc_u32_e32 v56, 0xfffffa40, v51
	v_add_nc_u32_e32 v57, 0xfffffa50, v51
	v_add_nc_u32_e32 v58, 0xfffffa60, v51
	v_add_nc_u32_e32 v59, 0xfffffa70, v51
	ds_store_b32 v52, v4
	ds_store_b32 v53, v5
	ds_store_b32 v54, v2
	ds_store_b32 v55, v3
	ds_store_b32 v56, v0
	ds_store_b32 v57, v1
	ds_store_b32 v58, v10
	ds_store_b32 v59, v11
	v_add_nc_u32_e32 v52, 0xfffffa80, v51
	v_add_nc_u32_e32 v53, 0xfffffa90, v51
	v_add_nc_u32_e32 v54, 0xfffffaa0, v51
	v_add_nc_u32_e32 v55, 0xfffffab0, v51
	v_add_nc_u32_e32 v56, 0xfffffac0, v51
	v_add_nc_u32_e32 v57, 0xfffffad0, v51
	v_add_nc_u32_e32 v58, 0xfffffae0, v51
	v_add_nc_u32_e32 v59, 0xfffffaf0, v51
	ds_store_b32 v52, v8
	ds_store_b32 v53, v9
	ds_store_b32 v54, v6
	ds_store_b32 v55, v7
	ds_store_b32 v56, v46
	ds_store_b32 v57, v47
	ds_store_b32 v58, v44
	ds_store_b32 v59, v45
	v_add_nc_u32_e32 v52, 0xfffffb00, v51
	v_add_nc_u32_e32 v53, 0xfffffb10, v51
	v_add_nc_u32_e32 v54, 0xfffffb20, v51
	v_add_nc_u32_e32 v55, 0xfffffb30, v51
	v_add_nc_u32_e32 v56, 0xfffffb40, v51
	v_add_nc_u32_e32 v57, 0xfffffb50, v51
	v_add_nc_u32_e32 v58, 0xfffffb60, v51
	v_add_nc_u32_e32 v59, 0xfffffb70, v51
	ds_store_b32 v52, v42
	ds_store_b32 v53, v43
	ds_store_b32 v54, v40
	ds_store_b32 v55, v41
	ds_store_b32 v56, v38
	ds_store_b32 v57, v39
	ds_store_b32 v58, v34
	ds_store_b32 v59, v35
	v_add_nc_u32_e32 v52, 0xfffffb80, v51
	v_add_nc_u32_e32 v53, 0xfffffb90, v51
	v_add_nc_u32_e32 v54, 0xfffffba0, v51
	v_add_nc_u32_e32 v55, 0xfffffbb0, v51
	v_add_nc_u32_e32 v56, 0xfffffbc0, v51
	v_add_nc_u32_e32 v57, 0xfffffbd0, v51
	v_add_nc_u32_e32 v58, 0xfffffbe0, v51
	v_add_nc_u32_e32 v59, 0xfffffbf0, v51
	ds_store_b32 v52, v32
	ds_store_b32 v53, v33
	ds_store_b32 v54, v28
	ds_store_b32 v55, v29
	ds_store_b32 v56, v26
	ds_store_b32 v57, v27
	ds_store_b32 v58, v24
	ds_store_b32 v59, v25
	v_add_nc_u32_e32 v52, 0xfffffc00, v51
	v_add_nc_u32_e32 v53, 0xfffffc10, v51
	v_add_nc_u32_e32 v54, 0xfffffc20, v51
	v_add_nc_u32_e32 v55, 0xfffffc30, v51
	v_add_nc_u32_e32 v56, 0xfffffc40, v51
	v_add_nc_u32_e32 v57, 0xfffffc50, v51
	v_add_nc_u32_e32 v58, 0xfffffc60, v51
	v_add_nc_u32_e32 v59, 0xfffffc70, v51
	ds_store_b32 v52, v22
	ds_store_b32 v53, v23
	ds_store_b32 v54, v20
	ds_store_b32 v55, v21
	ds_store_b32 v56, v18
	ds_store_b32 v57, v19
	ds_store_b32 v58, v16
	ds_store_b32 v59, v17
	v_add_nc_u32_e32 v52, 0xfffffc80, v51
	v_add_nc_u32_e32 v53, 0xfffffc90, v51
	v_add_nc_u32_e32 v54, 0xfffffca0, v51
	v_add_nc_u32_e32 v55, 0xfffffcb0, v51
	v_add_nc_u32_e32 v56, 0xfffffcc0, v51
	v_add_nc_u32_e32 v57, 0xfffffcd0, v51
	v_add_nc_u32_e32 v58, 0xfffffce0, v51
	v_add_nc_u32_e32 v51, 0xfffffcf0, v51
	ds_store_b32 v52, v14
	ds_store_b32 v53, v15
	ds_store_b32 v54, v12
	ds_store_b32 v55, v13
	ds_store_b32 v56, v30
	ds_store_b32 v57, v31
	ds_store_b32 v58, v36
	ds_store_b32 v51, v37
.LBB52_136:
	s_or_b32 exec_lo, exec_lo, s1
	v_lshlrev_b32_e32 v48, 2, v48
	s_mov_b32 s1, exec_lo
	s_delay_alu instid0(VALU_DEP_1)
	v_add3_u32 v48, 0x320, v50, v48
	scratch_load_b32 v50, off, off offset:544 ; 4-byte Folded Reload
	s_wait_loadcnt_dscnt 0x0
	s_barrier_signal -1
	s_barrier_wait -1
	v_cmpx_gt_u32_e32 64, v50
	s_cbranch_execz .LBB52_187
; %bb.137:
	s_and_saveexec_b32 s0, vcc_lo
	s_cbranch_execnz .LBB52_243
; %bb.138:
	s_or_b32 exec_lo, exec_lo, s0
	s_and_saveexec_b32 s0, vcc_lo
	s_cbranch_execnz .LBB52_244
.LBB52_139:
	s_or_b32 exec_lo, exec_lo, s0
	s_and_saveexec_b32 s0, vcc_lo
	s_cbranch_execnz .LBB52_245
.LBB52_140:
	s_or_b32 exec_lo, exec_lo, s0
	s_and_saveexec_b32 s0, vcc_lo
	s_cbranch_execnz .LBB52_246
.LBB52_141:
	s_or_b32 exec_lo, exec_lo, s0
	s_and_saveexec_b32 s0, vcc_lo
	s_cbranch_execnz .LBB52_247
.LBB52_142:
	s_or_b32 exec_lo, exec_lo, s0
	s_and_saveexec_b32 s0, vcc_lo
	s_cbranch_execnz .LBB52_248
.LBB52_143:
	s_or_b32 exec_lo, exec_lo, s0
	s_and_saveexec_b32 s0, vcc_lo
	s_cbranch_execnz .LBB52_249
.LBB52_144:
	s_or_b32 exec_lo, exec_lo, s0
	s_and_saveexec_b32 s0, vcc_lo
	s_cbranch_execnz .LBB52_250
.LBB52_145:
	s_or_b32 exec_lo, exec_lo, s0
	s_and_saveexec_b32 s0, vcc_lo
	s_cbranch_execnz .LBB52_251
.LBB52_146:
	s_or_b32 exec_lo, exec_lo, s0
	s_and_saveexec_b32 s0, vcc_lo
	s_cbranch_execnz .LBB52_252
.LBB52_147:
	s_or_b32 exec_lo, exec_lo, s0
	s_and_saveexec_b32 s0, vcc_lo
	s_cbranch_execnz .LBB52_253
.LBB52_148:
	s_or_b32 exec_lo, exec_lo, s0
	s_and_saveexec_b32 s0, vcc_lo
	s_cbranch_execnz .LBB52_254
.LBB52_149:
	s_or_b32 exec_lo, exec_lo, s0
	s_and_saveexec_b32 s0, vcc_lo
	s_cbranch_execnz .LBB52_255
.LBB52_150:
	s_or_b32 exec_lo, exec_lo, s0
	s_and_saveexec_b32 s0, vcc_lo
	s_cbranch_execnz .LBB52_256
.LBB52_151:
	s_or_b32 exec_lo, exec_lo, s0
	s_and_saveexec_b32 s0, vcc_lo
	s_cbranch_execnz .LBB52_257
.LBB52_152:
	s_or_b32 exec_lo, exec_lo, s0
	s_and_saveexec_b32 s0, vcc_lo
	s_cbranch_execnz .LBB52_258
.LBB52_153:
	s_or_b32 exec_lo, exec_lo, s0
	s_and_saveexec_b32 s0, vcc_lo
	s_cbranch_execnz .LBB52_259
.LBB52_154:
	s_or_b32 exec_lo, exec_lo, s0
	s_and_saveexec_b32 s0, vcc_lo
	s_cbranch_execnz .LBB52_260
.LBB52_155:
	s_or_b32 exec_lo, exec_lo, s0
	s_and_saveexec_b32 s0, vcc_lo
	s_cbranch_execnz .LBB52_261
.LBB52_156:
	s_or_b32 exec_lo, exec_lo, s0
	s_and_saveexec_b32 s0, vcc_lo
	s_cbranch_execnz .LBB52_262
.LBB52_157:
	s_or_b32 exec_lo, exec_lo, s0
	s_and_saveexec_b32 s0, vcc_lo
	s_cbranch_execnz .LBB52_263
.LBB52_158:
	s_or_b32 exec_lo, exec_lo, s0
	s_and_saveexec_b32 s0, vcc_lo
	s_cbranch_execnz .LBB52_264
.LBB52_159:
	s_or_b32 exec_lo, exec_lo, s0
	s_and_saveexec_b32 s0, vcc_lo
	s_cbranch_execnz .LBB52_265
.LBB52_160:
	s_or_b32 exec_lo, exec_lo, s0
	s_and_saveexec_b32 s0, vcc_lo
	s_cbranch_execnz .LBB52_266
.LBB52_161:
	s_or_b32 exec_lo, exec_lo, s0
	s_and_saveexec_b32 s0, vcc_lo
	s_cbranch_execnz .LBB52_267
.LBB52_162:
	s_or_b32 exec_lo, exec_lo, s0
	s_and_saveexec_b32 s0, vcc_lo
	s_cbranch_execnz .LBB52_268
.LBB52_163:
	s_or_b32 exec_lo, exec_lo, s0
	s_and_saveexec_b32 s0, vcc_lo
	s_cbranch_execnz .LBB52_269
.LBB52_164:
	s_or_b32 exec_lo, exec_lo, s0
	s_and_saveexec_b32 s0, vcc_lo
	s_cbranch_execnz .LBB52_270
.LBB52_165:
	s_or_b32 exec_lo, exec_lo, s0
	s_and_saveexec_b32 s0, vcc_lo
	s_cbranch_execnz .LBB52_271
.LBB52_166:
	s_or_b32 exec_lo, exec_lo, s0
	s_and_saveexec_b32 s0, vcc_lo
	s_cbranch_execnz .LBB52_272
.LBB52_167:
	s_or_b32 exec_lo, exec_lo, s0
	s_and_saveexec_b32 s0, vcc_lo
	s_cbranch_execnz .LBB52_273
.LBB52_168:
	s_or_b32 exec_lo, exec_lo, s0
	s_and_saveexec_b32 s0, vcc_lo
	s_cbranch_execnz .LBB52_274
.LBB52_169:
	s_or_b32 exec_lo, exec_lo, s0
	s_and_saveexec_b32 s0, vcc_lo
	s_cbranch_execnz .LBB52_275
.LBB52_170:
	s_or_b32 exec_lo, exec_lo, s0
	s_and_saveexec_b32 s0, vcc_lo
	s_cbranch_execnz .LBB52_276
.LBB52_171:
	s_or_b32 exec_lo, exec_lo, s0
	s_and_saveexec_b32 s0, vcc_lo
	s_cbranch_execnz .LBB52_277
.LBB52_172:
	s_or_b32 exec_lo, exec_lo, s0
	s_and_saveexec_b32 s0, vcc_lo
	s_cbranch_execnz .LBB52_278
.LBB52_173:
	s_or_b32 exec_lo, exec_lo, s0
	s_and_saveexec_b32 s0, vcc_lo
	s_cbranch_execnz .LBB52_279
.LBB52_174:
	s_or_b32 exec_lo, exec_lo, s0
	s_and_saveexec_b32 s0, vcc_lo
	s_cbranch_execnz .LBB52_280
.LBB52_175:
	s_or_b32 exec_lo, exec_lo, s0
	s_and_saveexec_b32 s0, vcc_lo
	s_cbranch_execnz .LBB52_281
.LBB52_176:
	s_or_b32 exec_lo, exec_lo, s0
	s_and_saveexec_b32 s0, vcc_lo
	s_cbranch_execnz .LBB52_282
.LBB52_177:
	s_or_b32 exec_lo, exec_lo, s0
	s_and_saveexec_b32 s0, vcc_lo
	s_cbranch_execnz .LBB52_283
.LBB52_178:
	s_or_b32 exec_lo, exec_lo, s0
	s_and_saveexec_b32 s0, vcc_lo
	s_cbranch_execnz .LBB52_284
.LBB52_179:
	s_or_b32 exec_lo, exec_lo, s0
	s_and_saveexec_b32 s0, vcc_lo
	s_cbranch_execnz .LBB52_285
.LBB52_180:
	s_or_b32 exec_lo, exec_lo, s0
	s_and_saveexec_b32 s0, vcc_lo
	s_cbranch_execnz .LBB52_286
.LBB52_181:
	s_or_b32 exec_lo, exec_lo, s0
	s_and_saveexec_b32 s0, vcc_lo
	s_cbranch_execnz .LBB52_287
.LBB52_182:
	s_or_b32 exec_lo, exec_lo, s0
	s_and_saveexec_b32 s0, vcc_lo
	s_cbranch_execnz .LBB52_288
.LBB52_183:
	s_or_b32 exec_lo, exec_lo, s0
	s_and_saveexec_b32 s0, vcc_lo
	s_cbranch_execnz .LBB52_289
.LBB52_184:
	s_or_b32 exec_lo, exec_lo, s0
	s_and_saveexec_b32 s0, vcc_lo
	s_cbranch_execz .LBB52_186
.LBB52_185:
	ds_load_b32 v50, v48 offset:752
	s_wait_dscnt 0x0
	v_add_f32_e32 v37, v37, v50
.LBB52_186:
	s_or_b32 exec_lo, exec_lo, s0
.LBB52_187:
	s_delay_alu instid0(SALU_CYCLE_1)
	s_or_b32 exec_lo, exec_lo, s1
	scratch_load_b32 v50, off, off offset:544 ; 4-byte Folded Reload
	s_mov_b32 s1, exec_lo
	s_wait_loadcnt 0x0
	s_barrier_signal -1
	s_barrier_wait -1
	v_and_b32_e32 v50, 0x3e7, v50
	s_wait_xcnt 0x0
	s_delay_alu instid0(VALU_DEP_1)
	v_cmpx_eq_u32_e32 32, v50
	s_cbranch_execz .LBB52_189
; %bb.188:
	ds_store_2addr_b32 v49, v4, v5 offset1:4
	ds_store_2addr_b32 v49, v2, v3 offset0:8 offset1:12
	ds_store_2addr_b32 v49, v0, v1 offset0:16 offset1:20
	;; [unrolled: 1-line block ×23, first 2 shown]
.LBB52_189:
	s_or_b32 exec_lo, exec_lo, s1
	scratch_load_b32 v49, off, off offset:544 ; 4-byte Folded Reload
	s_mov_b32 s1, exec_lo
	s_wait_loadcnt_dscnt 0x0
	s_barrier_signal -1
	s_barrier_wait -1
	v_cmpx_gt_u32_e32 32, v49
	s_cbranch_execz .LBB52_240
; %bb.190:
	s_and_saveexec_b32 s0, vcc_lo
	s_cbranch_execnz .LBB52_290
; %bb.191:
	s_or_b32 exec_lo, exec_lo, s0
	s_and_saveexec_b32 s0, vcc_lo
	s_cbranch_execnz .LBB52_291
.LBB52_192:
	s_or_b32 exec_lo, exec_lo, s0
	s_and_saveexec_b32 s0, vcc_lo
	s_cbranch_execnz .LBB52_292
.LBB52_193:
	s_or_b32 exec_lo, exec_lo, s0
	s_and_saveexec_b32 s0, vcc_lo
	s_cbranch_execnz .LBB52_293
.LBB52_194:
	s_or_b32 exec_lo, exec_lo, s0
	s_and_saveexec_b32 s0, vcc_lo
	s_cbranch_execnz .LBB52_294
.LBB52_195:
	s_or_b32 exec_lo, exec_lo, s0
	s_and_saveexec_b32 s0, vcc_lo
	s_cbranch_execnz .LBB52_295
.LBB52_196:
	s_or_b32 exec_lo, exec_lo, s0
	s_and_saveexec_b32 s0, vcc_lo
	s_cbranch_execnz .LBB52_296
.LBB52_197:
	s_or_b32 exec_lo, exec_lo, s0
	s_and_saveexec_b32 s0, vcc_lo
	s_cbranch_execnz .LBB52_297
.LBB52_198:
	s_or_b32 exec_lo, exec_lo, s0
	s_and_saveexec_b32 s0, vcc_lo
	s_cbranch_execnz .LBB52_298
.LBB52_199:
	s_or_b32 exec_lo, exec_lo, s0
	s_and_saveexec_b32 s0, vcc_lo
	s_cbranch_execnz .LBB52_299
.LBB52_200:
	s_or_b32 exec_lo, exec_lo, s0
	s_and_saveexec_b32 s0, vcc_lo
	s_cbranch_execnz .LBB52_300
.LBB52_201:
	s_or_b32 exec_lo, exec_lo, s0
	s_and_saveexec_b32 s0, vcc_lo
	s_cbranch_execnz .LBB52_301
.LBB52_202:
	s_or_b32 exec_lo, exec_lo, s0
	s_and_saveexec_b32 s0, vcc_lo
	s_cbranch_execnz .LBB52_302
.LBB52_203:
	s_or_b32 exec_lo, exec_lo, s0
	s_and_saveexec_b32 s0, vcc_lo
	s_cbranch_execnz .LBB52_303
.LBB52_204:
	s_or_b32 exec_lo, exec_lo, s0
	s_and_saveexec_b32 s0, vcc_lo
	s_cbranch_execnz .LBB52_304
.LBB52_205:
	s_or_b32 exec_lo, exec_lo, s0
	s_and_saveexec_b32 s0, vcc_lo
	s_cbranch_execnz .LBB52_305
.LBB52_206:
	s_or_b32 exec_lo, exec_lo, s0
	s_and_saveexec_b32 s0, vcc_lo
	s_cbranch_execnz .LBB52_306
.LBB52_207:
	s_or_b32 exec_lo, exec_lo, s0
	s_and_saveexec_b32 s0, vcc_lo
	s_cbranch_execnz .LBB52_307
.LBB52_208:
	s_or_b32 exec_lo, exec_lo, s0
	s_and_saveexec_b32 s0, vcc_lo
	s_cbranch_execnz .LBB52_308
.LBB52_209:
	s_or_b32 exec_lo, exec_lo, s0
	s_and_saveexec_b32 s0, vcc_lo
	s_cbranch_execnz .LBB52_309
.LBB52_210:
	s_or_b32 exec_lo, exec_lo, s0
	s_and_saveexec_b32 s0, vcc_lo
	s_cbranch_execnz .LBB52_310
.LBB52_211:
	s_or_b32 exec_lo, exec_lo, s0
	s_and_saveexec_b32 s0, vcc_lo
	s_cbranch_execnz .LBB52_311
.LBB52_212:
	s_or_b32 exec_lo, exec_lo, s0
	s_and_saveexec_b32 s0, vcc_lo
	s_cbranch_execnz .LBB52_312
.LBB52_213:
	s_or_b32 exec_lo, exec_lo, s0
	s_and_saveexec_b32 s0, vcc_lo
	s_cbranch_execnz .LBB52_313
.LBB52_214:
	s_or_b32 exec_lo, exec_lo, s0
	s_and_saveexec_b32 s0, vcc_lo
	s_cbranch_execnz .LBB52_314
.LBB52_215:
	s_or_b32 exec_lo, exec_lo, s0
	s_and_saveexec_b32 s0, vcc_lo
	s_cbranch_execnz .LBB52_315
.LBB52_216:
	s_or_b32 exec_lo, exec_lo, s0
	s_and_saveexec_b32 s0, vcc_lo
	s_cbranch_execnz .LBB52_316
.LBB52_217:
	s_or_b32 exec_lo, exec_lo, s0
	s_and_saveexec_b32 s0, vcc_lo
	s_cbranch_execnz .LBB52_317
.LBB52_218:
	s_or_b32 exec_lo, exec_lo, s0
	s_and_saveexec_b32 s0, vcc_lo
	s_cbranch_execnz .LBB52_318
.LBB52_219:
	s_or_b32 exec_lo, exec_lo, s0
	s_and_saveexec_b32 s0, vcc_lo
	s_cbranch_execnz .LBB52_319
.LBB52_220:
	s_or_b32 exec_lo, exec_lo, s0
	s_and_saveexec_b32 s0, vcc_lo
	s_cbranch_execnz .LBB52_320
.LBB52_221:
	s_or_b32 exec_lo, exec_lo, s0
	s_and_saveexec_b32 s0, vcc_lo
	s_cbranch_execnz .LBB52_321
.LBB52_222:
	s_or_b32 exec_lo, exec_lo, s0
	s_and_saveexec_b32 s0, vcc_lo
	s_cbranch_execnz .LBB52_322
.LBB52_223:
	s_or_b32 exec_lo, exec_lo, s0
	s_and_saveexec_b32 s0, vcc_lo
	s_cbranch_execnz .LBB52_323
.LBB52_224:
	s_or_b32 exec_lo, exec_lo, s0
	s_and_saveexec_b32 s0, vcc_lo
	s_cbranch_execnz .LBB52_324
.LBB52_225:
	s_or_b32 exec_lo, exec_lo, s0
	s_and_saveexec_b32 s0, vcc_lo
	s_cbranch_execnz .LBB52_325
.LBB52_226:
	s_or_b32 exec_lo, exec_lo, s0
	s_and_saveexec_b32 s0, vcc_lo
	s_cbranch_execnz .LBB52_326
.LBB52_227:
	s_or_b32 exec_lo, exec_lo, s0
	s_and_saveexec_b32 s0, vcc_lo
	s_cbranch_execnz .LBB52_327
.LBB52_228:
	s_or_b32 exec_lo, exec_lo, s0
	s_and_saveexec_b32 s0, vcc_lo
	s_cbranch_execnz .LBB52_328
.LBB52_229:
	s_or_b32 exec_lo, exec_lo, s0
	s_and_saveexec_b32 s0, vcc_lo
	s_cbranch_execnz .LBB52_329
.LBB52_230:
	s_or_b32 exec_lo, exec_lo, s0
	s_and_saveexec_b32 s0, vcc_lo
	s_cbranch_execnz .LBB52_330
.LBB52_231:
	s_or_b32 exec_lo, exec_lo, s0
	s_and_saveexec_b32 s0, vcc_lo
	s_cbranch_execnz .LBB52_331
.LBB52_232:
	s_or_b32 exec_lo, exec_lo, s0
	s_and_saveexec_b32 s0, vcc_lo
	s_cbranch_execnz .LBB52_332
.LBB52_233:
	s_or_b32 exec_lo, exec_lo, s0
	s_and_saveexec_b32 s0, vcc_lo
	s_cbranch_execnz .LBB52_333
.LBB52_234:
	s_or_b32 exec_lo, exec_lo, s0
	s_and_saveexec_b32 s0, vcc_lo
	s_cbranch_execnz .LBB52_334
.LBB52_235:
	s_or_b32 exec_lo, exec_lo, s0
	s_and_saveexec_b32 s0, vcc_lo
	s_cbranch_execnz .LBB52_335
.LBB52_236:
	s_or_b32 exec_lo, exec_lo, s0
	s_and_saveexec_b32 s0, vcc_lo
	s_cbranch_execnz .LBB52_336
.LBB52_237:
	s_or_b32 exec_lo, exec_lo, s0
	s_and_saveexec_b32 s0, vcc_lo
	s_cbranch_execz .LBB52_239
.LBB52_238:
	ds_load_b32 v48, v48 offset:752
	s_wait_dscnt 0x0
	v_add_f32_e32 v37, v37, v48
.LBB52_239:
	s_or_b32 exec_lo, exec_lo, s0
.LBB52_240:
	s_delay_alu instid0(SALU_CYCLE_1)
	s_or_b32 exec_lo, exec_lo, s1
	s_mov_b32 s1, 0
	s_barrier_signal -1
	s_barrier_wait -1
	s_mov_b32 s0, exec_lo
	v_cmpx_eq_u32_e32 0, v50
	s_cbranch_execz .LBB52_242
; %bb.241:
	scratch_load_b32 v48, off, off offset:544 th:TH_LOAD_LU ; 4-byte Folded Reload
	s_mul_i32 s0, s20, s9
	s_mul_i32 s2, s9, s8
	;; [unrolled: 1-line block ×3, first 2 shown]
	s_lshr_b32 s8, ttmp7, 16
	s_mul_i32 s4, s0, 0xc0
	s_bfe_u32 s0, ttmp6, 0x40014
	s_ashr_i32 s5, s4, 31
	s_add_co_i32 s0, s0, 1
	s_lshl_b64 s[4:5], s[4:5], 2
	s_ashr_i32 s3, s2, 31
	s_wait_kmcnt 0x0
	s_add_nc_u64 s[4:5], s[6:7], s[4:5]
	s_mul_i32 s0, s8, s0
	s_bfe_u32 s6, ttmp6, 0x40008
	s_lshl_b64 s[2:3], s[2:3], 2
	s_add_co_i32 s6, s6, s0
	s_cmp_eq_u32 s18, 0
	s_add_nc_u64 s[2:3], s[4:5], s[2:3]
	s_cselect_b32 s0, s8, s6
	s_delay_alu instid0(SALU_CYCLE_1) | instskip(NEXT) | instid1(SALU_CYCLE_1)
	s_mulk_i32 s0, 0x300
	s_add_nc_u64 s[0:1], s[2:3], s[0:1]
	s_wait_loadcnt 0x0
	v_lshrrev_b32_e32 v48, 1, v48
	s_clause 0x2f
	global_store_b32 v48, v4, s[0:1]
	global_store_b32 v48, v5, s[0:1] offset:16
	global_store_b32 v48, v2, s[0:1] offset:32
	;; [unrolled: 1-line block ×47, first 2 shown]
.LBB52_242:
	s_sendmsg sendmsg(MSG_DEALLOC_VGPRS)
	s_endpgm
.LBB52_243:
	ds_load_b32 v50, v48
	s_wait_dscnt 0x0
	v_add_f32_e32 v4, v4, v50
	s_or_b32 exec_lo, exec_lo, s0
	s_and_saveexec_b32 s0, vcc_lo
	s_cbranch_execz .LBB52_139
.LBB52_244:
	ds_load_b32 v50, v48 offset:16
	s_wait_dscnt 0x0
	v_add_f32_e32 v5, v5, v50
	s_or_b32 exec_lo, exec_lo, s0
	s_and_saveexec_b32 s0, vcc_lo
	s_cbranch_execz .LBB52_140
.LBB52_245:
	ds_load_b32 v50, v48 offset:32
	s_wait_dscnt 0x0
	v_add_f32_e32 v2, v2, v50
	s_or_b32 exec_lo, exec_lo, s0
	s_and_saveexec_b32 s0, vcc_lo
	s_cbranch_execz .LBB52_141
.LBB52_246:
	ds_load_b32 v50, v48 offset:48
	s_wait_dscnt 0x0
	v_add_f32_e32 v3, v3, v50
	s_or_b32 exec_lo, exec_lo, s0
	s_and_saveexec_b32 s0, vcc_lo
	s_cbranch_execz .LBB52_142
.LBB52_247:
	ds_load_b32 v50, v48 offset:64
	s_wait_dscnt 0x0
	v_add_f32_e32 v0, v0, v50
	s_or_b32 exec_lo, exec_lo, s0
	s_and_saveexec_b32 s0, vcc_lo
	s_cbranch_execz .LBB52_143
.LBB52_248:
	ds_load_b32 v50, v48 offset:80
	s_wait_dscnt 0x0
	v_add_f32_e32 v1, v1, v50
	s_or_b32 exec_lo, exec_lo, s0
	s_and_saveexec_b32 s0, vcc_lo
	s_cbranch_execz .LBB52_144
.LBB52_249:
	ds_load_b32 v50, v48 offset:96
	s_wait_dscnt 0x0
	v_add_f32_e32 v10, v10, v50
	s_or_b32 exec_lo, exec_lo, s0
	s_and_saveexec_b32 s0, vcc_lo
	s_cbranch_execz .LBB52_145
.LBB52_250:
	ds_load_b32 v50, v48 offset:112
	s_wait_dscnt 0x0
	v_add_f32_e32 v11, v11, v50
	s_or_b32 exec_lo, exec_lo, s0
	s_and_saveexec_b32 s0, vcc_lo
	s_cbranch_execz .LBB52_146
.LBB52_251:
	ds_load_b32 v50, v48 offset:128
	s_wait_dscnt 0x0
	v_add_f32_e32 v8, v8, v50
	s_or_b32 exec_lo, exec_lo, s0
	s_and_saveexec_b32 s0, vcc_lo
	s_cbranch_execz .LBB52_147
.LBB52_252:
	ds_load_b32 v50, v48 offset:144
	s_wait_dscnt 0x0
	v_add_f32_e32 v9, v9, v50
	s_or_b32 exec_lo, exec_lo, s0
	s_and_saveexec_b32 s0, vcc_lo
	s_cbranch_execz .LBB52_148
.LBB52_253:
	ds_load_b32 v50, v48 offset:160
	s_wait_dscnt 0x0
	v_add_f32_e32 v6, v6, v50
	s_or_b32 exec_lo, exec_lo, s0
	s_and_saveexec_b32 s0, vcc_lo
	s_cbranch_execz .LBB52_149
.LBB52_254:
	ds_load_b32 v50, v48 offset:176
	s_wait_dscnt 0x0
	v_add_f32_e32 v7, v7, v50
	s_or_b32 exec_lo, exec_lo, s0
	s_and_saveexec_b32 s0, vcc_lo
	s_cbranch_execz .LBB52_150
.LBB52_255:
	ds_load_b32 v50, v48 offset:192
	s_wait_dscnt 0x0
	v_add_f32_e32 v46, v46, v50
	s_or_b32 exec_lo, exec_lo, s0
	s_and_saveexec_b32 s0, vcc_lo
	s_cbranch_execz .LBB52_151
.LBB52_256:
	ds_load_b32 v50, v48 offset:208
	s_wait_dscnt 0x0
	v_add_f32_e32 v47, v47, v50
	s_or_b32 exec_lo, exec_lo, s0
	s_and_saveexec_b32 s0, vcc_lo
	s_cbranch_execz .LBB52_152
.LBB52_257:
	ds_load_b32 v50, v48 offset:224
	s_wait_dscnt 0x0
	v_add_f32_e32 v44, v44, v50
	s_or_b32 exec_lo, exec_lo, s0
	s_and_saveexec_b32 s0, vcc_lo
	s_cbranch_execz .LBB52_153
.LBB52_258:
	ds_load_b32 v50, v48 offset:240
	s_wait_dscnt 0x0
	v_add_f32_e32 v45, v45, v50
	s_or_b32 exec_lo, exec_lo, s0
	s_and_saveexec_b32 s0, vcc_lo
	s_cbranch_execz .LBB52_154
.LBB52_259:
	ds_load_b32 v50, v48 offset:256
	s_wait_dscnt 0x0
	v_add_f32_e32 v42, v42, v50
	s_or_b32 exec_lo, exec_lo, s0
	s_and_saveexec_b32 s0, vcc_lo
	s_cbranch_execz .LBB52_155
.LBB52_260:
	ds_load_b32 v50, v48 offset:272
	s_wait_dscnt 0x0
	v_add_f32_e32 v43, v43, v50
	s_or_b32 exec_lo, exec_lo, s0
	s_and_saveexec_b32 s0, vcc_lo
	s_cbranch_execz .LBB52_156
.LBB52_261:
	ds_load_b32 v50, v48 offset:288
	s_wait_dscnt 0x0
	v_add_f32_e32 v40, v40, v50
	s_or_b32 exec_lo, exec_lo, s0
	s_and_saveexec_b32 s0, vcc_lo
	s_cbranch_execz .LBB52_157
.LBB52_262:
	ds_load_b32 v50, v48 offset:304
	s_wait_dscnt 0x0
	v_add_f32_e32 v41, v41, v50
	s_or_b32 exec_lo, exec_lo, s0
	s_and_saveexec_b32 s0, vcc_lo
	s_cbranch_execz .LBB52_158
.LBB52_263:
	ds_load_b32 v50, v48 offset:320
	s_wait_dscnt 0x0
	v_add_f32_e32 v38, v38, v50
	s_or_b32 exec_lo, exec_lo, s0
	s_and_saveexec_b32 s0, vcc_lo
	s_cbranch_execz .LBB52_159
.LBB52_264:
	ds_load_b32 v50, v48 offset:336
	s_wait_dscnt 0x0
	v_add_f32_e32 v39, v39, v50
	s_or_b32 exec_lo, exec_lo, s0
	s_and_saveexec_b32 s0, vcc_lo
	s_cbranch_execz .LBB52_160
.LBB52_265:
	ds_load_b32 v50, v48 offset:352
	s_wait_dscnt 0x0
	v_add_f32_e32 v34, v34, v50
	s_or_b32 exec_lo, exec_lo, s0
	s_and_saveexec_b32 s0, vcc_lo
	s_cbranch_execz .LBB52_161
.LBB52_266:
	ds_load_b32 v50, v48 offset:368
	s_wait_dscnt 0x0
	v_add_f32_e32 v35, v35, v50
	s_or_b32 exec_lo, exec_lo, s0
	s_and_saveexec_b32 s0, vcc_lo
	s_cbranch_execz .LBB52_162
.LBB52_267:
	ds_load_b32 v50, v48 offset:384
	s_wait_dscnt 0x0
	v_add_f32_e32 v32, v32, v50
	s_or_b32 exec_lo, exec_lo, s0
	s_and_saveexec_b32 s0, vcc_lo
	s_cbranch_execz .LBB52_163
.LBB52_268:
	ds_load_b32 v50, v48 offset:400
	s_wait_dscnt 0x0
	v_add_f32_e32 v33, v33, v50
	s_or_b32 exec_lo, exec_lo, s0
	s_and_saveexec_b32 s0, vcc_lo
	s_cbranch_execz .LBB52_164
.LBB52_269:
	ds_load_b32 v50, v48 offset:416
	s_wait_dscnt 0x0
	v_add_f32_e32 v28, v28, v50
	s_or_b32 exec_lo, exec_lo, s0
	s_and_saveexec_b32 s0, vcc_lo
	s_cbranch_execz .LBB52_165
.LBB52_270:
	ds_load_b32 v50, v48 offset:432
	s_wait_dscnt 0x0
	v_add_f32_e32 v29, v29, v50
	s_or_b32 exec_lo, exec_lo, s0
	s_and_saveexec_b32 s0, vcc_lo
	s_cbranch_execz .LBB52_166
.LBB52_271:
	ds_load_b32 v50, v48 offset:448
	s_wait_dscnt 0x0
	v_add_f32_e32 v26, v26, v50
	s_or_b32 exec_lo, exec_lo, s0
	s_and_saveexec_b32 s0, vcc_lo
	s_cbranch_execz .LBB52_167
.LBB52_272:
	ds_load_b32 v50, v48 offset:464
	s_wait_dscnt 0x0
	v_add_f32_e32 v27, v27, v50
	s_or_b32 exec_lo, exec_lo, s0
	s_and_saveexec_b32 s0, vcc_lo
	s_cbranch_execz .LBB52_168
.LBB52_273:
	ds_load_b32 v50, v48 offset:480
	s_wait_dscnt 0x0
	v_add_f32_e32 v24, v24, v50
	s_or_b32 exec_lo, exec_lo, s0
	s_and_saveexec_b32 s0, vcc_lo
	s_cbranch_execz .LBB52_169
.LBB52_274:
	ds_load_b32 v50, v48 offset:496
	s_wait_dscnt 0x0
	v_add_f32_e32 v25, v25, v50
	s_or_b32 exec_lo, exec_lo, s0
	s_and_saveexec_b32 s0, vcc_lo
	s_cbranch_execz .LBB52_170
.LBB52_275:
	ds_load_b32 v50, v48 offset:512
	s_wait_dscnt 0x0
	v_add_f32_e32 v22, v22, v50
	s_or_b32 exec_lo, exec_lo, s0
	s_and_saveexec_b32 s0, vcc_lo
	s_cbranch_execz .LBB52_171
.LBB52_276:
	ds_load_b32 v50, v48 offset:528
	s_wait_dscnt 0x0
	v_add_f32_e32 v23, v23, v50
	s_or_b32 exec_lo, exec_lo, s0
	s_and_saveexec_b32 s0, vcc_lo
	s_cbranch_execz .LBB52_172
.LBB52_277:
	ds_load_b32 v50, v48 offset:544
	s_wait_dscnt 0x0
	v_add_f32_e32 v20, v20, v50
	s_or_b32 exec_lo, exec_lo, s0
	s_and_saveexec_b32 s0, vcc_lo
	s_cbranch_execz .LBB52_173
.LBB52_278:
	ds_load_b32 v50, v48 offset:560
	s_wait_dscnt 0x0
	v_add_f32_e32 v21, v21, v50
	s_or_b32 exec_lo, exec_lo, s0
	s_and_saveexec_b32 s0, vcc_lo
	s_cbranch_execz .LBB52_174
.LBB52_279:
	ds_load_b32 v50, v48 offset:576
	s_wait_dscnt 0x0
	v_add_f32_e32 v18, v18, v50
	s_or_b32 exec_lo, exec_lo, s0
	s_and_saveexec_b32 s0, vcc_lo
	s_cbranch_execz .LBB52_175
.LBB52_280:
	ds_load_b32 v50, v48 offset:592
	s_wait_dscnt 0x0
	v_add_f32_e32 v19, v19, v50
	s_or_b32 exec_lo, exec_lo, s0
	s_and_saveexec_b32 s0, vcc_lo
	s_cbranch_execz .LBB52_176
.LBB52_281:
	ds_load_b32 v50, v48 offset:608
	s_wait_dscnt 0x0
	v_add_f32_e32 v16, v16, v50
	s_or_b32 exec_lo, exec_lo, s0
	s_and_saveexec_b32 s0, vcc_lo
	s_cbranch_execz .LBB52_177
.LBB52_282:
	ds_load_b32 v50, v48 offset:624
	s_wait_dscnt 0x0
	v_add_f32_e32 v17, v17, v50
	s_or_b32 exec_lo, exec_lo, s0
	s_and_saveexec_b32 s0, vcc_lo
	s_cbranch_execz .LBB52_178
.LBB52_283:
	ds_load_b32 v50, v48 offset:640
	s_wait_dscnt 0x0
	v_add_f32_e32 v14, v14, v50
	s_or_b32 exec_lo, exec_lo, s0
	s_and_saveexec_b32 s0, vcc_lo
	s_cbranch_execz .LBB52_179
.LBB52_284:
	ds_load_b32 v50, v48 offset:656
	s_wait_dscnt 0x0
	v_add_f32_e32 v15, v15, v50
	s_or_b32 exec_lo, exec_lo, s0
	s_and_saveexec_b32 s0, vcc_lo
	s_cbranch_execz .LBB52_180
.LBB52_285:
	ds_load_b32 v50, v48 offset:672
	s_wait_dscnt 0x0
	v_add_f32_e32 v12, v12, v50
	s_or_b32 exec_lo, exec_lo, s0
	s_and_saveexec_b32 s0, vcc_lo
	s_cbranch_execz .LBB52_181
.LBB52_286:
	ds_load_b32 v50, v48 offset:688
	s_wait_dscnt 0x0
	v_add_f32_e32 v13, v13, v50
	s_or_b32 exec_lo, exec_lo, s0
	s_and_saveexec_b32 s0, vcc_lo
	s_cbranch_execz .LBB52_182
.LBB52_287:
	ds_load_b32 v50, v48 offset:704
	s_wait_dscnt 0x0
	v_add_f32_e32 v30, v30, v50
	s_or_b32 exec_lo, exec_lo, s0
	s_and_saveexec_b32 s0, vcc_lo
	s_cbranch_execz .LBB52_183
.LBB52_288:
	ds_load_b32 v50, v48 offset:720
	s_wait_dscnt 0x0
	v_add_f32_e32 v31, v31, v50
	s_or_b32 exec_lo, exec_lo, s0
	s_and_saveexec_b32 s0, vcc_lo
	s_cbranch_execz .LBB52_184
.LBB52_289:
	ds_load_b32 v50, v48 offset:736
	s_wait_dscnt 0x0
	v_add_f32_e32 v36, v36, v50
	s_or_b32 exec_lo, exec_lo, s0
	s_and_saveexec_b32 s0, vcc_lo
	s_cbranch_execnz .LBB52_185
	s_branch .LBB52_186
.LBB52_290:
	ds_load_b32 v49, v48
	s_wait_dscnt 0x0
	v_add_f32_e32 v4, v4, v49
	s_or_b32 exec_lo, exec_lo, s0
	s_and_saveexec_b32 s0, vcc_lo
	s_cbranch_execz .LBB52_192
.LBB52_291:
	ds_load_b32 v49, v48 offset:16
	s_wait_dscnt 0x0
	v_add_f32_e32 v5, v5, v49
	s_or_b32 exec_lo, exec_lo, s0
	s_and_saveexec_b32 s0, vcc_lo
	s_cbranch_execz .LBB52_193
.LBB52_292:
	ds_load_b32 v49, v48 offset:32
	s_wait_dscnt 0x0
	v_add_f32_e32 v2, v2, v49
	s_or_b32 exec_lo, exec_lo, s0
	s_and_saveexec_b32 s0, vcc_lo
	s_cbranch_execz .LBB52_194
.LBB52_293:
	ds_load_b32 v49, v48 offset:48
	s_wait_dscnt 0x0
	v_add_f32_e32 v3, v3, v49
	s_or_b32 exec_lo, exec_lo, s0
	s_and_saveexec_b32 s0, vcc_lo
	s_cbranch_execz .LBB52_195
.LBB52_294:
	ds_load_b32 v49, v48 offset:64
	s_wait_dscnt 0x0
	v_add_f32_e32 v0, v0, v49
	s_or_b32 exec_lo, exec_lo, s0
	s_and_saveexec_b32 s0, vcc_lo
	s_cbranch_execz .LBB52_196
.LBB52_295:
	ds_load_b32 v49, v48 offset:80
	s_wait_dscnt 0x0
	v_add_f32_e32 v1, v1, v49
	s_or_b32 exec_lo, exec_lo, s0
	s_and_saveexec_b32 s0, vcc_lo
	s_cbranch_execz .LBB52_197
.LBB52_296:
	ds_load_b32 v49, v48 offset:96
	s_wait_dscnt 0x0
	v_add_f32_e32 v10, v10, v49
	s_or_b32 exec_lo, exec_lo, s0
	s_and_saveexec_b32 s0, vcc_lo
	s_cbranch_execz .LBB52_198
.LBB52_297:
	ds_load_b32 v49, v48 offset:112
	s_wait_dscnt 0x0
	v_add_f32_e32 v11, v11, v49
	s_or_b32 exec_lo, exec_lo, s0
	s_and_saveexec_b32 s0, vcc_lo
	s_cbranch_execz .LBB52_199
.LBB52_298:
	ds_load_b32 v49, v48 offset:128
	s_wait_dscnt 0x0
	v_add_f32_e32 v8, v8, v49
	s_or_b32 exec_lo, exec_lo, s0
	s_and_saveexec_b32 s0, vcc_lo
	s_cbranch_execz .LBB52_200
.LBB52_299:
	ds_load_b32 v49, v48 offset:144
	s_wait_dscnt 0x0
	v_add_f32_e32 v9, v9, v49
	s_or_b32 exec_lo, exec_lo, s0
	s_and_saveexec_b32 s0, vcc_lo
	s_cbranch_execz .LBB52_201
.LBB52_300:
	ds_load_b32 v49, v48 offset:160
	s_wait_dscnt 0x0
	v_add_f32_e32 v6, v6, v49
	s_or_b32 exec_lo, exec_lo, s0
	s_and_saveexec_b32 s0, vcc_lo
	s_cbranch_execz .LBB52_202
.LBB52_301:
	ds_load_b32 v49, v48 offset:176
	s_wait_dscnt 0x0
	v_add_f32_e32 v7, v7, v49
	s_or_b32 exec_lo, exec_lo, s0
	s_and_saveexec_b32 s0, vcc_lo
	s_cbranch_execz .LBB52_203
.LBB52_302:
	ds_load_b32 v49, v48 offset:192
	s_wait_dscnt 0x0
	v_add_f32_e32 v46, v46, v49
	s_or_b32 exec_lo, exec_lo, s0
	s_and_saveexec_b32 s0, vcc_lo
	s_cbranch_execz .LBB52_204
.LBB52_303:
	ds_load_b32 v49, v48 offset:208
	s_wait_dscnt 0x0
	v_add_f32_e32 v47, v47, v49
	s_or_b32 exec_lo, exec_lo, s0
	s_and_saveexec_b32 s0, vcc_lo
	s_cbranch_execz .LBB52_205
.LBB52_304:
	ds_load_b32 v49, v48 offset:224
	s_wait_dscnt 0x0
	v_add_f32_e32 v44, v44, v49
	s_or_b32 exec_lo, exec_lo, s0
	s_and_saveexec_b32 s0, vcc_lo
	s_cbranch_execz .LBB52_206
.LBB52_305:
	ds_load_b32 v49, v48 offset:240
	s_wait_dscnt 0x0
	v_add_f32_e32 v45, v45, v49
	s_or_b32 exec_lo, exec_lo, s0
	s_and_saveexec_b32 s0, vcc_lo
	s_cbranch_execz .LBB52_207
.LBB52_306:
	ds_load_b32 v49, v48 offset:256
	s_wait_dscnt 0x0
	v_add_f32_e32 v42, v42, v49
	s_or_b32 exec_lo, exec_lo, s0
	s_and_saveexec_b32 s0, vcc_lo
	s_cbranch_execz .LBB52_208
.LBB52_307:
	ds_load_b32 v49, v48 offset:272
	s_wait_dscnt 0x0
	v_add_f32_e32 v43, v43, v49
	s_or_b32 exec_lo, exec_lo, s0
	s_and_saveexec_b32 s0, vcc_lo
	s_cbranch_execz .LBB52_209
.LBB52_308:
	ds_load_b32 v49, v48 offset:288
	s_wait_dscnt 0x0
	v_add_f32_e32 v40, v40, v49
	s_or_b32 exec_lo, exec_lo, s0
	s_and_saveexec_b32 s0, vcc_lo
	s_cbranch_execz .LBB52_210
.LBB52_309:
	ds_load_b32 v49, v48 offset:304
	s_wait_dscnt 0x0
	v_add_f32_e32 v41, v41, v49
	s_or_b32 exec_lo, exec_lo, s0
	s_and_saveexec_b32 s0, vcc_lo
	s_cbranch_execz .LBB52_211
.LBB52_310:
	ds_load_b32 v49, v48 offset:320
	s_wait_dscnt 0x0
	v_add_f32_e32 v38, v38, v49
	s_or_b32 exec_lo, exec_lo, s0
	s_and_saveexec_b32 s0, vcc_lo
	s_cbranch_execz .LBB52_212
.LBB52_311:
	ds_load_b32 v49, v48 offset:336
	s_wait_dscnt 0x0
	v_add_f32_e32 v39, v39, v49
	s_or_b32 exec_lo, exec_lo, s0
	s_and_saveexec_b32 s0, vcc_lo
	s_cbranch_execz .LBB52_213
.LBB52_312:
	ds_load_b32 v49, v48 offset:352
	s_wait_dscnt 0x0
	v_add_f32_e32 v34, v34, v49
	s_or_b32 exec_lo, exec_lo, s0
	s_and_saveexec_b32 s0, vcc_lo
	s_cbranch_execz .LBB52_214
.LBB52_313:
	ds_load_b32 v49, v48 offset:368
	s_wait_dscnt 0x0
	v_add_f32_e32 v35, v35, v49
	s_or_b32 exec_lo, exec_lo, s0
	s_and_saveexec_b32 s0, vcc_lo
	s_cbranch_execz .LBB52_215
.LBB52_314:
	ds_load_b32 v49, v48 offset:384
	s_wait_dscnt 0x0
	v_add_f32_e32 v32, v32, v49
	s_or_b32 exec_lo, exec_lo, s0
	s_and_saveexec_b32 s0, vcc_lo
	s_cbranch_execz .LBB52_216
.LBB52_315:
	ds_load_b32 v49, v48 offset:400
	s_wait_dscnt 0x0
	v_add_f32_e32 v33, v33, v49
	s_or_b32 exec_lo, exec_lo, s0
	s_and_saveexec_b32 s0, vcc_lo
	s_cbranch_execz .LBB52_217
.LBB52_316:
	ds_load_b32 v49, v48 offset:416
	s_wait_dscnt 0x0
	v_add_f32_e32 v28, v28, v49
	s_or_b32 exec_lo, exec_lo, s0
	s_and_saveexec_b32 s0, vcc_lo
	s_cbranch_execz .LBB52_218
.LBB52_317:
	ds_load_b32 v49, v48 offset:432
	s_wait_dscnt 0x0
	v_add_f32_e32 v29, v29, v49
	s_or_b32 exec_lo, exec_lo, s0
	s_and_saveexec_b32 s0, vcc_lo
	s_cbranch_execz .LBB52_219
.LBB52_318:
	ds_load_b32 v49, v48 offset:448
	s_wait_dscnt 0x0
	v_add_f32_e32 v26, v26, v49
	s_or_b32 exec_lo, exec_lo, s0
	s_and_saveexec_b32 s0, vcc_lo
	s_cbranch_execz .LBB52_220
.LBB52_319:
	ds_load_b32 v49, v48 offset:464
	s_wait_dscnt 0x0
	v_add_f32_e32 v27, v27, v49
	s_or_b32 exec_lo, exec_lo, s0
	s_and_saveexec_b32 s0, vcc_lo
	s_cbranch_execz .LBB52_221
.LBB52_320:
	ds_load_b32 v49, v48 offset:480
	s_wait_dscnt 0x0
	v_add_f32_e32 v24, v24, v49
	s_or_b32 exec_lo, exec_lo, s0
	s_and_saveexec_b32 s0, vcc_lo
	s_cbranch_execz .LBB52_222
.LBB52_321:
	ds_load_b32 v49, v48 offset:496
	s_wait_dscnt 0x0
	v_add_f32_e32 v25, v25, v49
	s_or_b32 exec_lo, exec_lo, s0
	s_and_saveexec_b32 s0, vcc_lo
	s_cbranch_execz .LBB52_223
.LBB52_322:
	ds_load_b32 v49, v48 offset:512
	s_wait_dscnt 0x0
	v_add_f32_e32 v22, v22, v49
	s_or_b32 exec_lo, exec_lo, s0
	s_and_saveexec_b32 s0, vcc_lo
	s_cbranch_execz .LBB52_224
.LBB52_323:
	ds_load_b32 v49, v48 offset:528
	s_wait_dscnt 0x0
	v_add_f32_e32 v23, v23, v49
	s_or_b32 exec_lo, exec_lo, s0
	s_and_saveexec_b32 s0, vcc_lo
	s_cbranch_execz .LBB52_225
.LBB52_324:
	ds_load_b32 v49, v48 offset:544
	s_wait_dscnt 0x0
	v_add_f32_e32 v20, v20, v49
	s_or_b32 exec_lo, exec_lo, s0
	s_and_saveexec_b32 s0, vcc_lo
	s_cbranch_execz .LBB52_226
.LBB52_325:
	ds_load_b32 v49, v48 offset:560
	s_wait_dscnt 0x0
	v_add_f32_e32 v21, v21, v49
	s_or_b32 exec_lo, exec_lo, s0
	s_and_saveexec_b32 s0, vcc_lo
	s_cbranch_execz .LBB52_227
.LBB52_326:
	ds_load_b32 v49, v48 offset:576
	s_wait_dscnt 0x0
	v_add_f32_e32 v18, v18, v49
	s_or_b32 exec_lo, exec_lo, s0
	s_and_saveexec_b32 s0, vcc_lo
	s_cbranch_execz .LBB52_228
.LBB52_327:
	ds_load_b32 v49, v48 offset:592
	s_wait_dscnt 0x0
	v_add_f32_e32 v19, v19, v49
	s_or_b32 exec_lo, exec_lo, s0
	s_and_saveexec_b32 s0, vcc_lo
	s_cbranch_execz .LBB52_229
.LBB52_328:
	ds_load_b32 v49, v48 offset:608
	s_wait_dscnt 0x0
	v_add_f32_e32 v16, v16, v49
	s_or_b32 exec_lo, exec_lo, s0
	s_and_saveexec_b32 s0, vcc_lo
	s_cbranch_execz .LBB52_230
.LBB52_329:
	ds_load_b32 v49, v48 offset:624
	s_wait_dscnt 0x0
	v_add_f32_e32 v17, v17, v49
	s_or_b32 exec_lo, exec_lo, s0
	s_and_saveexec_b32 s0, vcc_lo
	s_cbranch_execz .LBB52_231
.LBB52_330:
	ds_load_b32 v49, v48 offset:640
	s_wait_dscnt 0x0
	v_add_f32_e32 v14, v14, v49
	s_or_b32 exec_lo, exec_lo, s0
	s_and_saveexec_b32 s0, vcc_lo
	s_cbranch_execz .LBB52_232
.LBB52_331:
	ds_load_b32 v49, v48 offset:656
	s_wait_dscnt 0x0
	v_add_f32_e32 v15, v15, v49
	s_or_b32 exec_lo, exec_lo, s0
	s_and_saveexec_b32 s0, vcc_lo
	s_cbranch_execz .LBB52_233
.LBB52_332:
	ds_load_b32 v49, v48 offset:672
	s_wait_dscnt 0x0
	v_add_f32_e32 v12, v12, v49
	s_or_b32 exec_lo, exec_lo, s0
	s_and_saveexec_b32 s0, vcc_lo
	s_cbranch_execz .LBB52_234
.LBB52_333:
	ds_load_b32 v49, v48 offset:688
	s_wait_dscnt 0x0
	v_add_f32_e32 v13, v13, v49
	s_or_b32 exec_lo, exec_lo, s0
	s_and_saveexec_b32 s0, vcc_lo
	s_cbranch_execz .LBB52_235
.LBB52_334:
	ds_load_b32 v49, v48 offset:704
	s_wait_dscnt 0x0
	v_add_f32_e32 v30, v30, v49
	s_or_b32 exec_lo, exec_lo, s0
	s_and_saveexec_b32 s0, vcc_lo
	s_cbranch_execz .LBB52_236
.LBB52_335:
	ds_load_b32 v49, v48 offset:720
	s_wait_dscnt 0x0
	v_add_f32_e32 v31, v31, v49
	s_or_b32 exec_lo, exec_lo, s0
	s_and_saveexec_b32 s0, vcc_lo
	s_cbranch_execz .LBB52_237
.LBB52_336:
	ds_load_b32 v49, v48 offset:736
	s_wait_dscnt 0x0
	v_add_f32_e32 v36, v36, v49
	s_or_b32 exec_lo, exec_lo, s0
	s_and_saveexec_b32 s0, vcc_lo
	s_cbranch_execnz .LBB52_238
	s_branch .LBB52_239
	.section	.rodata,"a",@progbits
	.p2align	6, 0x0
	.amdhsa_kernel _ZN4vllm25paged_attention_v1_kernelIffLi192ELi32ELi128ELNS_18Fp8KVCacheDataTypeE0ELb0EEEvPT_PKS2_PKT0_S8_ifPKiSA_iPKfiiiSC_SC_iiiii
		.amdhsa_group_segment_fixed_size 800
		.amdhsa_private_segment_fixed_size 576
		.amdhsa_kernarg_size 384
		.amdhsa_user_sgpr_count 2
		.amdhsa_user_sgpr_dispatch_ptr 0
		.amdhsa_user_sgpr_queue_ptr 0
		.amdhsa_user_sgpr_kernarg_segment_ptr 1
		.amdhsa_user_sgpr_dispatch_id 0
		.amdhsa_user_sgpr_kernarg_preload_length 0
		.amdhsa_user_sgpr_kernarg_preload_offset 0
		.amdhsa_user_sgpr_private_segment_size 0
		.amdhsa_wavefront_size32 1
		.amdhsa_uses_dynamic_stack 0
		.amdhsa_enable_private_segment 1
		.amdhsa_system_sgpr_workgroup_id_x 1
		.amdhsa_system_sgpr_workgroup_id_y 1
		.amdhsa_system_sgpr_workgroup_id_z 1
		.amdhsa_system_sgpr_workgroup_info 0
		.amdhsa_system_vgpr_workitem_id 0
		.amdhsa_next_free_vgpr 128
		.amdhsa_next_free_sgpr 28
		.amdhsa_named_barrier_count 0
		.amdhsa_reserve_vcc 1
		.amdhsa_float_round_mode_32 0
		.amdhsa_float_round_mode_16_64 0
		.amdhsa_float_denorm_mode_32 3
		.amdhsa_float_denorm_mode_16_64 3
		.amdhsa_fp16_overflow 0
		.amdhsa_memory_ordered 1
		.amdhsa_forward_progress 1
		.amdhsa_inst_pref_size 183
		.amdhsa_round_robin_scheduling 0
		.amdhsa_exception_fp_ieee_invalid_op 0
		.amdhsa_exception_fp_denorm_src 0
		.amdhsa_exception_fp_ieee_div_zero 0
		.amdhsa_exception_fp_ieee_overflow 0
		.amdhsa_exception_fp_ieee_underflow 0
		.amdhsa_exception_fp_ieee_inexact 0
		.amdhsa_exception_int_div_zero 0
	.end_amdhsa_kernel
	.section	.text._ZN4vllm25paged_attention_v1_kernelIffLi192ELi32ELi128ELNS_18Fp8KVCacheDataTypeE0ELb0EEEvPT_PKS2_PKT0_S8_ifPKiSA_iPKfiiiSC_SC_iiiii,"axG",@progbits,_ZN4vllm25paged_attention_v1_kernelIffLi192ELi32ELi128ELNS_18Fp8KVCacheDataTypeE0ELb0EEEvPT_PKS2_PKT0_S8_ifPKiSA_iPKfiiiSC_SC_iiiii,comdat
.Lfunc_end52:
	.size	_ZN4vllm25paged_attention_v1_kernelIffLi192ELi32ELi128ELNS_18Fp8KVCacheDataTypeE0ELb0EEEvPT_PKS2_PKT0_S8_ifPKiSA_iPKfiiiSC_SC_iiiii, .Lfunc_end52-_ZN4vllm25paged_attention_v1_kernelIffLi192ELi32ELi128ELNS_18Fp8KVCacheDataTypeE0ELb0EEEvPT_PKS2_PKT0_S8_ifPKiSA_iPKfiiiSC_SC_iiiii
                                        ; -- End function
	.set _ZN4vllm25paged_attention_v1_kernelIffLi192ELi32ELi128ELNS_18Fp8KVCacheDataTypeE0ELb0EEEvPT_PKS2_PKT0_S8_ifPKiSA_iPKfiiiSC_SC_iiiii.num_vgpr, 128
	.set _ZN4vllm25paged_attention_v1_kernelIffLi192ELi32ELi128ELNS_18Fp8KVCacheDataTypeE0ELb0EEEvPT_PKS2_PKT0_S8_ifPKiSA_iPKfiiiSC_SC_iiiii.num_agpr, 0
	.set _ZN4vllm25paged_attention_v1_kernelIffLi192ELi32ELi128ELNS_18Fp8KVCacheDataTypeE0ELb0EEEvPT_PKS2_PKT0_S8_ifPKiSA_iPKfiiiSC_SC_iiiii.numbered_sgpr, 28
	.set _ZN4vllm25paged_attention_v1_kernelIffLi192ELi32ELi128ELNS_18Fp8KVCacheDataTypeE0ELb0EEEvPT_PKS2_PKT0_S8_ifPKiSA_iPKfiiiSC_SC_iiiii.num_named_barrier, 0
	.set _ZN4vllm25paged_attention_v1_kernelIffLi192ELi32ELi128ELNS_18Fp8KVCacheDataTypeE0ELb0EEEvPT_PKS2_PKT0_S8_ifPKiSA_iPKfiiiSC_SC_iiiii.private_seg_size, 576
	.set _ZN4vllm25paged_attention_v1_kernelIffLi192ELi32ELi128ELNS_18Fp8KVCacheDataTypeE0ELb0EEEvPT_PKS2_PKT0_S8_ifPKiSA_iPKfiiiSC_SC_iiiii.uses_vcc, 1
	.set _ZN4vllm25paged_attention_v1_kernelIffLi192ELi32ELi128ELNS_18Fp8KVCacheDataTypeE0ELb0EEEvPT_PKS2_PKT0_S8_ifPKiSA_iPKfiiiSC_SC_iiiii.uses_flat_scratch, 1
	.set _ZN4vllm25paged_attention_v1_kernelIffLi192ELi32ELi128ELNS_18Fp8KVCacheDataTypeE0ELb0EEEvPT_PKS2_PKT0_S8_ifPKiSA_iPKfiiiSC_SC_iiiii.has_dyn_sized_stack, 0
	.set _ZN4vllm25paged_attention_v1_kernelIffLi192ELi32ELi128ELNS_18Fp8KVCacheDataTypeE0ELb0EEEvPT_PKS2_PKT0_S8_ifPKiSA_iPKfiiiSC_SC_iiiii.has_recursion, 0
	.set _ZN4vllm25paged_attention_v1_kernelIffLi192ELi32ELi128ELNS_18Fp8KVCacheDataTypeE0ELb0EEEvPT_PKS2_PKT0_S8_ifPKiSA_iPKfiiiSC_SC_iiiii.has_indirect_call, 0
	.section	.AMDGPU.csdata,"",@progbits
; Kernel info:
; codeLenInByte = 23356
; TotalNumSgprs: 30
; NumVgprs: 128
; ScratchSize: 576
; MemoryBound: 0
; FloatMode: 240
; IeeeMode: 1
; LDSByteSize: 800 bytes/workgroup (compile time only)
; SGPRBlocks: 0
; VGPRBlocks: 7
; NumSGPRsForWavesPerEU: 30
; NumVGPRsForWavesPerEU: 128
; NamedBarCnt: 0
; Occupancy: 8
; WaveLimiterHint : 1
; COMPUTE_PGM_RSRC2:SCRATCH_EN: 1
; COMPUTE_PGM_RSRC2:USER_SGPR: 2
; COMPUTE_PGM_RSRC2:TRAP_HANDLER: 0
; COMPUTE_PGM_RSRC2:TGID_X_EN: 1
; COMPUTE_PGM_RSRC2:TGID_Y_EN: 1
; COMPUTE_PGM_RSRC2:TGID_Z_EN: 1
; COMPUTE_PGM_RSRC2:TIDIG_COMP_CNT: 0
	.section	.text._ZN4vllm25paged_attention_v1_kernelIffLi256ELi32ELi128ELNS_18Fp8KVCacheDataTypeE0ELb0EEEvPT_PKS2_PKT0_S8_ifPKiSA_iPKfiiiSC_SC_iiiii,"axG",@progbits,_ZN4vllm25paged_attention_v1_kernelIffLi256ELi32ELi128ELNS_18Fp8KVCacheDataTypeE0ELb0EEEvPT_PKS2_PKT0_S8_ifPKiSA_iPKfiiiSC_SC_iiiii,comdat
	.protected	_ZN4vllm25paged_attention_v1_kernelIffLi256ELi32ELi128ELNS_18Fp8KVCacheDataTypeE0ELb0EEEvPT_PKS2_PKT0_S8_ifPKiSA_iPKfiiiSC_SC_iiiii ; -- Begin function _ZN4vllm25paged_attention_v1_kernelIffLi256ELi32ELi128ELNS_18Fp8KVCacheDataTypeE0ELb0EEEvPT_PKS2_PKT0_S8_ifPKiSA_iPKfiiiSC_SC_iiiii
	.globl	_ZN4vllm25paged_attention_v1_kernelIffLi256ELi32ELi128ELNS_18Fp8KVCacheDataTypeE0ELb0EEEvPT_PKS2_PKT0_S8_ifPKiSA_iPKfiiiSC_SC_iiiii
	.p2align	8
	.type	_ZN4vllm25paged_attention_v1_kernelIffLi256ELi32ELi128ELNS_18Fp8KVCacheDataTypeE0ELb0EEEvPT_PKS2_PKT0_S8_ifPKiSA_iPKfiiiSC_SC_iiiii,@function
_ZN4vllm25paged_attention_v1_kernelIffLi256ELi32ELi128ELNS_18Fp8KVCacheDataTypeE0ELb0EEEvPT_PKS2_PKT0_S8_ifPKiSA_iPKfiiiSC_SC_iiiii: ; @_ZN4vllm25paged_attention_v1_kernelIffLi256ELi32ELi128ELNS_18Fp8KVCacheDataTypeE0ELb0EEEvPT_PKS2_PKT0_S8_ifPKiSA_iPKfiiiSC_SC_iiiii
; %bb.0:
	s_load_b64 s[6:7], s[0:1], 0x20
	s_bfe_u32 s3, ttmp6, 0x4000c
	s_bfe_u32 s5, ttmp6, 0x40010
	s_and_b32 s4, ttmp7, 0xffff
	s_add_co_i32 s3, s3, 1
	s_add_co_i32 s5, s5, 1
	s_and_b32 s2, ttmp6, 15
	s_bfe_u32 s8, ttmp6, 0x40004
	s_mul_i32 s3, ttmp9, s3
	s_mul_i32 s5, s4, s5
	s_getreg_b32 s20, hwreg(HW_REG_IB_STS2, 6, 4)
	s_add_co_i32 s9, s2, s3
	s_add_co_i32 s8, s8, s5
	s_cmp_eq_u32 s20, 0
	s_clause 0x1
	s_load_b32 s21, s[0:1], 0x80
	s_load_b64 s[2:3], s[0:1], 0x30
	s_cselect_b32 s22, s4, s8
	s_cselect_b32 s8, ttmp9, s9
	s_wait_kmcnt 0x0
	s_abs_i32 s4, s6
	s_delay_alu instid0(SALU_CYCLE_1) | instskip(SKIP_1) | instid1(SALU_CYCLE_2)
	s_cvt_f32_u32 s5, s4
	s_sub_co_i32 s9, 0, s4
	v_rcp_iflag_f32_e32 v1, s5
	s_abs_i32 s10, s21
	v_nop
	s_delay_alu instid0(TRANS32_DEP_1) | instskip(SKIP_1) | instid1(SALU_CYCLE_1)
	v_readfirstlane_b32 s5, v1
	s_xor_b32 s6, s21, s6
	s_ashr_i32 s6, s6, 31
	s_mul_f32 s5, s5, 0x4f7ffffe
	s_delay_alu instid0(SALU_CYCLE_3) | instskip(NEXT) | instid1(SALU_CYCLE_3)
	s_cvt_u32_f32 s5, s5
	s_mul_i32 s9, s9, s5
	s_delay_alu instid0(SALU_CYCLE_1) | instskip(NEXT) | instid1(SALU_CYCLE_1)
	s_mul_hi_u32 s9, s5, s9
	s_add_co_i32 s5, s5, s9
	s_delay_alu instid0(SALU_CYCLE_1) | instskip(NEXT) | instid1(SALU_CYCLE_1)
	s_mul_hi_u32 s5, s10, s5
	s_mul_i32 s9, s5, s4
	s_delay_alu instid0(SALU_CYCLE_1)
	s_sub_co_i32 s9, s10, s9
	s_add_co_i32 s10, s5, 1
	s_sub_co_i32 s11, s9, s4
	s_cmp_ge_u32 s9, s4
	s_cselect_b32 s5, s10, s5
	s_cselect_b32 s9, s11, s9
	s_add_co_i32 s10, s5, 1
	s_cmp_ge_u32 s9, s4
	s_mov_b32 s11, 0
	s_cselect_b32 s4, s10, s5
	s_abs_i32 s10, s8
	s_xor_b32 s4, s4, s6
	s_mov_b32 s13, s11
	s_sub_co_i32 s14, s4, s6
	s_mov_b32 s18, s11
	s_abs_i32 s16, s14
	s_delay_alu instid0(SALU_CYCLE_1) | instskip(SKIP_1) | instid1(SALU_CYCLE_2)
	s_cvt_f32_u32 s4, s16
	s_sub_co_i32 s9, 0, s16
	v_rcp_iflag_f32_e32 v1, s4
	s_load_b64 s[4:5], s[0:1], 0x40
	v_nop
	s_delay_alu instid0(TRANS32_DEP_1) | instskip(SKIP_1) | instid1(SALU_CYCLE_3)
	v_readfirstlane_b32 s6, v1
	s_mul_f32 s6, s6, 0x4f7ffffe
	s_cvt_u32_f32 s6, s6
	s_delay_alu instid0(SALU_CYCLE_3) | instskip(NEXT) | instid1(SALU_CYCLE_1)
	s_mul_i32 s9, s9, s6
	s_mul_hi_u32 s9, s6, s9
	s_delay_alu instid0(SALU_CYCLE_1)
	s_add_co_i32 s12, s6, s9
	s_wait_kmcnt 0x0
	s_cmp_eq_u64 s[4:5], 0
	s_cbranch_scc1 .LBB53_2
; %bb.1:
	s_ashr_i32 s9, s8, 31
	s_delay_alu instid0(SALU_CYCLE_1) | instskip(NEXT) | instid1(SALU_CYCLE_1)
	s_lshl_b64 s[18:19], s[8:9], 2
	s_add_nc_u64 s[4:5], s[4:5], s[18:19]
	s_load_b32 s18, s[4:5], 0x0
.LBB53_2:
	s_load_b32 s23, s[2:3], s22 offset:0x0 scale_offset
	s_wait_xcnt 0x0
	s_load_b96 s[4:6], s[0:1], 0x48
	v_cmp_gt_u32_e64 s2, 64, v0
	s_ashr_i32 s3, s8, 31
	s_ashr_i32 s17, s14, 31
	s_mul_u64 s[14:15], s[10:11], s[12:13]
	s_lshl_b32 s8, s8, 8
	s_mov_b32 s11, exec_lo
	s_delay_alu instid0(SALU_CYCLE_1)
	s_and_b32 s9, s11, s2
	scratch_store_b32 off, v0, off offset:880 ; 4-byte Folded Spill
	s_wait_xcnt 0x0
	s_mov_b32 exec_lo, s9
	s_cbranch_execz .LBB53_4
; %bb.3:
	s_load_b64 s[12:13], s[0:1], 0x8
	s_wait_kmcnt 0x0
	s_mul_i32 s24, s4, s22
	s_ashr_i32 s9, s8, 31
	s_ashr_i32 s25, s24, 31
	s_delay_alu instid0(SALU_CYCLE_1) | instskip(NEXT) | instid1(SALU_CYCLE_1)
	s_lshl_b64 s[24:25], s[24:25], 2
	s_add_nc_u64 s[12:13], s[12:13], s[24:25]
	s_lshl_b64 s[24:25], s[8:9], 2
	s_delay_alu instid0(SALU_CYCLE_1)
	s_add_nc_u64 s[12:13], s[12:13], s[24:25]
	global_load_b128 v[0:3], v0, s[12:13] scale_offset
	scratch_load_b32 v4, off, off offset:880 ; 4-byte Folded Reload
	s_wait_loadcnt 0x0
	v_lshlrev_b32_e32 v4, 4, v4
	ds_store_b128 v4, v[0:3]
	scratch_load_b32 v0, off, off offset:880 ; 4-byte Folded Reload
.LBB53_4:
	s_wait_xcnt 0x0
	s_or_b32 exec_lo, exec_lo, s11
	s_wait_kmcnt 0x0
	s_add_co_i32 s4, s23, 31
	s_load_b32 s11, s[0:1], 0x38
	s_ashr_i32 s9, s4, 31
	s_mul_i32 s12, s15, s16
	s_lshr_b32 s9, s9, 27
	s_sub_co_i32 s10, s10, s12
	s_add_co_i32 s4, s4, s9
	s_clause 0x1
	s_load_b64 s[12:13], s[0:1], 0x28
	s_load_b32 s9, s[0:1], 0x88
	s_xor_b32 s3, s3, s17
	s_ashr_i32 s24, s4, 5
	s_add_co_i32 s4, s15, 1
	s_sub_co_i32 s14, s10, s16
	s_cmp_ge_u32 s10, s16
	s_wait_loadcnt 0x0
	v_dual_lshrrev_b32 v1, 5, v0 :: v_dual_bitop2_b32 v126, 31, v0 bitop3:0x40
	s_cselect_b32 s4, s4, s15
	s_cselect_b32 s10, s14, s10
	s_add_co_i32 s14, s4, 1
	s_cmp_ge_u32 s10, s16
	v_dual_mov_b32 v11, 0xff7fffff :: v_dual_lshlrev_b32 v12, 2, v126
	s_cselect_b32 s4, s14, s4
	v_lshrrev_b32_e32 v127, 3, v0
	s_xor_b32 s4, s4, s3
	s_wait_kmcnt 0x0
	s_mul_i32 s14, s11, s22
	s_sub_co_i32 s4, s4, s3
	v_cmp_gt_i32_e64 s3, s24, v1
	s_ashr_i32 s15, s14, 31
	s_mul_i32 s16, s4, s6
	s_wait_storecnt_dscnt 0x0
	s_barrier_signal -1
	scratch_store_b32 off, v1, off offset:888 ; 4-byte Folded Spill
	s_barrier_wait -1
	s_wait_storecnt 0x0
	s_wait_xcnt 0x0
	s_mov_b32 s6, exec_lo
	s_delay_alu instid0(SALU_CYCLE_1)
	s_and_b32 s4, s6, s3
	scratch_store_b32 off, v126, off offset:904 ; 4-byte Folded Spill
	s_wait_xcnt 0x0
	s_mov_b32 exec_lo, s4
	s_cbranch_execz .LBB53_8
; %bb.5:
	s_load_b64 s[26:27], s[0:1], 0x10
	s_ashr_i32 s17, s16, 31
	v_dual_mov_b32 v1, 0 :: v_dual_lshlrev_b32 v0, 4, v126
	s_lshl_b64 s[28:29], s[16:17], 2
	s_ashr_i32 s11, s5, 31
	s_cmp_neq_f32 s18, 0
	v_mov_b32_e32 v11, 0xff7fffff
	s_mov_b32 s10, s5
	s_mov_b32 s17, 0
	s_cselect_b32 vcc_lo, -1, 0
	s_sub_co_i32 s19, 1, s23
	s_wait_kmcnt 0x0
	s_add_nc_u64 s[26:27], s[26:27], s[28:29]
	s_delay_alu instid0(SALU_CYCLE_1) | instskip(SKIP_1) | instid1(SALU_CYCLE_1)
	v_add_nc_u64_e32 v[2:3], s[26:27], v[0:1]
	s_lshl_b64 s[26:27], s[14:15], 2
	s_add_nc_u64 s[26:27], s[12:13], s[26:27]
	scratch_store_b64 off, v[2:3], off      ; 8-byte Folded Spill
	s_wait_xcnt 0x0
	ds_load_b128 v[2:5], v1
	s_wait_dscnt 0x0
	scratch_store_b128 off, v[2:5], off offset:16 ; 16-byte Folded Spill
	s_wait_xcnt 0x0
	ds_load_b128 v[2:5], v1 offset:16
	s_wait_dscnt 0x0
	scratch_store_b128 off, v[2:5], off offset:32 ; 16-byte Folded Spill
	s_wait_xcnt 0x0
	ds_load_b128 v[2:5], v1 offset:32
	;; [unrolled: 4-line block ×36, first 2 shown]
	s_wait_dscnt 0x0
	scratch_store_b128 off, v[2:5], off offset:592 ; 16-byte Folded Spill
	ds_load_b128 v[26:29], v1 offset:592
	ds_load_b128 v[30:33], v1 offset:608
	;; [unrolled: 1-line block ×25, first 2 shown]
	s_wait_xcnt 0x0
	ds_load_b128 v[2:5], v1 offset:992
	ds_load_b128 v[6:9], v1 offset:1008
	s_clause 0x2
	scratch_load_b32 v13, off, off offset:888
	scratch_store_b32 off, v12, off offset:616
	scratch_store_b32 off, v127, off offset:608
	s_wait_loadcnt 0x0
	v_lshl_or_b32 v0, v13, 7, v12
	v_lshl_or_b32 v10, v13, 5, v126
	s_wait_xcnt 0x1
	s_delay_alu instid0(VALU_DEP_2) | instskip(SKIP_2) | instid1(VALU_DEP_1)
	v_add_nc_u32_e32 v12, 0x420, v0
	v_and_b32_e32 v0, 0x7c, v127
	s_wait_xcnt 0x0
	v_add_nc_u64_e32 v[126:127], s[26:27], v[0:1]
.LBB53_6:                               ; =>This Inner Loop Header: Depth=1
	global_load_b32 v0, v[126:127], off
	scratch_load_b64 v[14:15], off, off     ; 8-byte Folded Reload
	v_cmp_gt_i32_e64 s4, s23, v10
	v_add_nc_u32_e32 v13, 4, v13
	s_wait_xcnt 0x1
	v_add_nc_u64_e32 v[126:127], 16, v[126:127]
	s_wait_loadcnt 0x1
	v_ashrrev_i32_e32 v1, 31, v0
	s_delay_alu instid0(VALU_DEP_1) | instskip(SKIP_1) | instid1(VALU_DEP_1)
	v_mul_u64_e32 v[0:1], s[10:11], v[0:1]
	s_wait_loadcnt 0x0
	v_lshl_add_u64 v[0:1], v[0:1], 2, v[14:15]
	global_load_b128 v[14:17], v[0:1], off offset:512
	scratch_load_b128 v[18:21], off, off offset:32 ; 16-byte Folded Reload
	s_wait_loadcnt 0x0
	v_pk_mul_f32 v[18:19], v[18:19], v[14:15]
	v_pk_mul_f32 v[20:21], v[20:21], v[16:17]
	global_load_b128 v[14:17], v[0:1], off
	scratch_load_b128 v[22:25], off, off offset:16 ; 16-byte Folded Reload
	s_wait_loadcnt 0x0
	v_pk_fma_f32 v[18:19], v[22:23], v[14:15], v[18:19]
	v_pk_fma_f32 v[20:21], v[24:25], v[16:17], v[20:21]
	global_load_b128 v[14:17], v[0:1], off offset:1024
	scratch_load_b128 v[22:25], off, off offset:48 ; 16-byte Folded Reload
	s_wait_loadcnt 0x0
	v_pk_fma_f32 v[18:19], v[22:23], v[14:15], v[18:19]
	v_pk_fma_f32 v[20:21], v[24:25], v[16:17], v[20:21]
	global_load_b128 v[14:17], v[0:1], off offset:1536
	;; [unrolled: 5-line block ×36, first 2 shown]
	s_wait_loadcnt_dscnt 0x1a
	v_pk_fma_f32 v[18:19], v[26:27], v[14:15], v[18:19]
	v_pk_fma_f32 v[20:21], v[28:29], v[16:17], v[20:21]
	global_load_b128 v[14:17], v[0:1], off offset:19456
	s_wait_loadcnt_dscnt 0x19
	v_pk_fma_f32 v[18:19], v[30:31], v[14:15], v[18:19]
	v_pk_fma_f32 v[20:21], v[32:33], v[16:17], v[20:21]
	global_load_b128 v[14:17], v[0:1], off offset:19968
	;; [unrolled: 4-line block ×26, first 2 shown]
	s_wait_loadcnt_dscnt 0x0
	s_wait_xcnt 0x0
	v_pk_fma_f32 v[0:1], v[14:15], v[6:7], v[18:19]
	v_pk_fma_f32 v[14:15], v[16:17], v[8:9], v[20:21]
	s_delay_alu instid0(VALU_DEP_2) | instskip(SKIP_1) | instid1(VALU_DEP_2)
	v_dual_add_f32 v0, v0, v1 :: v_dual_add_nc_u32 v1, s19, v10
	v_add_nc_u32_e32 v10, 0x80, v10
	v_add_f32_e32 v0, v14, v0
	s_delay_alu instid0(VALU_DEP_3) | instskip(NEXT) | instid1(VALU_DEP_1)
	v_cvt_f32_i32_e32 v1, v1
	v_dual_add_f32 v0, v15, v0 :: v_dual_mul_f32 v1, s18, v1
	s_delay_alu instid0(VALU_DEP_1) | instskip(NEXT) | instid1(VALU_DEP_1)
	v_cndmask_b32_e32 v1, 0, v1, vcc_lo
	v_dual_fmac_f32 v1, s7, v0 :: v_dual_max_num_f32 v0, v11, v11
	s_delay_alu instid0(VALU_DEP_1) | instskip(NEXT) | instid1(VALU_DEP_1)
	v_max_num_f32_e32 v0, v0, v1
	v_dual_cndmask_b32 v11, v11, v0, s4 :: v_dual_cndmask_b32 v1, 0, v1, s4
	v_cmp_le_i32_e64 s4, s24, v13
	ds_store_b32 v12, v1
	v_add_nc_u32_e32 v12, 0x200, v12
	s_or_b32 s17, s4, s17
	s_delay_alu instid0(SALU_CYCLE_1)
	s_and_not1_b32 exec_lo, exec_lo, s17
	s_cbranch_execnz .LBB53_6
; %bb.7:
	s_or_b32 exec_lo, exec_lo, s17
	s_clause 0x2
	scratch_load_b32 v126, off, off offset:904
	scratch_load_b32 v127, off, off offset:608
	;; [unrolled: 1-line block ×3, first 2 shown]
.LBB53_8:
	s_wait_xcnt 0x0
	s_or_b32 exec_lo, exec_lo, s6
	v_mbcnt_lo_u32_b32 v2, -1, 0
	s_clause 0x1
	s_load_b64 s[6:7], s[0:1], 0x0
	s_load_b64 s[18:19], s[0:1], 0x18
	s_delay_alu instid0(VALU_DEP_1) | instskip(SKIP_1) | instid1(VALU_DEP_2)
	v_dual_max_num_f32 v4, v11, v11 :: v_dual_bitop2_b32 v0, 16, v2 bitop3:0x14
	v_xor_b32_e32 v3, 8, v2
	v_cmp_gt_i32_e32 vcc_lo, 32, v0
	v_cndmask_b32_e32 v0, v2, v0, vcc_lo
	s_delay_alu instid0(VALU_DEP_3) | instskip(NEXT) | instid1(VALU_DEP_2)
	v_cmp_gt_i32_e32 vcc_lo, 32, v3
	v_dual_cndmask_b32 v3, v2, v3 :: v_dual_lshlrev_b32 v0, 2, v0
	ds_bpermute_b32 v1, v0, v11
	s_wait_dscnt 0x0
	v_dual_max_num_f32 v5, v1, v1 :: v_dual_lshlrev_b32 v1, 2, v3
	s_delay_alu instid0(VALU_DEP_1) | instskip(SKIP_4) | instid1(VALU_DEP_1)
	v_dual_max_num_f32 v3, v4, v5 :: v_dual_bitop2_b32 v5, 4, v2 bitop3:0x14
	ds_bpermute_b32 v4, v1, v3
	v_cmp_gt_i32_e32 vcc_lo, 32, v5
	s_wait_dscnt 0x0
	v_dual_cndmask_b32 v5, v2, v5 :: v_dual_max_num_f32 v4, v4, v4
	v_dual_lshlrev_b32 v5, 2, v5 :: v_dual_max_num_f32 v3, v3, v4
	scratch_store_b32 off, v5, off offset:892 ; 4-byte Folded Spill
	ds_bpermute_b32 v4, v5, v3
	s_wait_dscnt 0x0
	s_wait_xcnt 0x0
	v_dual_max_num_f32 v4, v4, v4 :: v_dual_bitop2_b32 v5, 2, v2 bitop3:0x14
	s_delay_alu instid0(VALU_DEP_1) | instskip(NEXT) | instid1(VALU_DEP_2)
	v_cmp_gt_i32_e32 vcc_lo, 32, v5
	v_dual_max_num_f32 v3, v3, v4 :: v_dual_cndmask_b32 v5, v2, v5, vcc_lo
	s_delay_alu instid0(VALU_DEP_1)
	v_lshlrev_b32_e32 v5, 2, v5
	ds_bpermute_b32 v4, v5, v3
	s_wait_dscnt 0x0
	v_max_num_f32_e32 v4, v4, v4
	scratch_store_b32 off, v5, off offset:884 ; 4-byte Folded Spill
	s_wait_xcnt 0x0
	v_dual_max_num_f32 v3, v3, v4 :: v_dual_bitop2_b32 v5, 1, v2 bitop3:0x14
	s_delay_alu instid0(VALU_DEP_1) | instskip(SKIP_3) | instid1(VALU_DEP_2)
	v_cmp_gt_i32_e32 vcc_lo, 32, v5
	v_cndmask_b32_e32 v2, v2, v5, vcc_lo
	s_wait_loadcnt 0x2
	v_cmp_eq_u32_e32 vcc_lo, 0, v126
	v_lshlrev_b32_e32 v6, 2, v2
	scratch_load_b32 v2, off, off offset:888 ; 4-byte Folded Reload
	s_wait_loadcnt 0x0
	v_lshlrev_b32_e32 v2, 2, v2
	ds_bpermute_b32 v4, v6, v3
	s_wait_xcnt 0x0
	s_and_saveexec_b32 s0, vcc_lo
	s_cbranch_execz .LBB53_10
; %bb.9:
	s_wait_dscnt 0x0
	v_dual_max_num_f32 v4, v4, v4 :: v_dual_max_num_f32 v3, v3, v3
	s_delay_alu instid0(VALU_DEP_1)
	v_max_num_f32_e32 v3, v3, v4
	ds_store_b32 v2, v3 offset:1024
.LBB53_10:
	s_or_b32 exec_lo, exec_lo, s0
	v_cmp_gt_u32_e64 s0, 4, v126
	v_mov_b32_e32 v3, 0xff7fffff
	s_wait_storecnt_dscnt 0x0
	s_barrier_signal -1
	s_barrier_wait -1
	s_and_saveexec_b32 s1, s0
; %bb.11:
	ds_load_b32 v3, v12 offset:1024
; %bb.12:
	s_or_b32 exec_lo, exec_lo, s1
	s_clause 0x1
	scratch_load_b32 v4, off, off offset:884
	scratch_load_b32 v5, off, off offset:880
	s_lshl_b32 s1, s24, 5
	s_delay_alu instid0(SALU_CYCLE_1)
	s_min_i32 s10, s1, s23
	s_wait_loadcnt_dscnt 0x100
	ds_bpermute_b32 v4, v4, v3
	v_max_num_f32_e32 v3, v3, v3
	s_wait_loadcnt 0x0
	v_cmp_gt_i32_e64 s1, s10, v5
	s_wait_dscnt 0x0
	v_max_num_f32_e32 v4, v4, v4
	s_delay_alu instid0(VALU_DEP_1) | instskip(SKIP_3) | instid1(VALU_DEP_1)
	v_max_num_f32_e32 v3, v3, v4
	ds_bpermute_b32 v4, v6, v3
	s_wait_dscnt 0x0
	v_max_num_f32_e32 v4, v4, v4
	v_dual_max_num_f32 v4, v3, v4 :: v_dual_mov_b32 v3, 0
	ds_bpermute_b32 v4, v3, v4
	s_mov_b32 s11, exec_lo
	s_delay_alu instid0(SALU_CYCLE_1)
	s_and_b32 s4, s11, s1
	scratch_store_b32 off, v6, off offset:896 ; 4-byte Folded Spill
	s_wait_xcnt 0x0
	s_mov_b32 exec_lo, s4
	s_cbranch_execz .LBB53_16
; %bb.13:
	scratch_load_b32 v6, off, off offset:880 ; 4-byte Folded Reload
	v_mov_b32_e32 v3, 0
	s_mov_b32 s17, 0
	s_wait_loadcnt 0x0
	v_lshl_add_u32 v5, v6, 2, 0x420
.LBB53_14:                              ; =>This Inner Loop Header: Depth=1
	ds_load_b32 v7, v5
	v_add_nc_u32_e32 v6, 0x80, v6
	s_delay_alu instid0(VALU_DEP_1) | instskip(SKIP_3) | instid1(VALU_DEP_1)
	v_cmp_le_i32_e64 s4, s10, v6
	s_or_b32 s17, s4, s17
	s_wait_dscnt 0x0
	v_sub_f32_e32 v7, v7, v4
	v_mul_f32_e32 v7, 0x3fb8aa3b, v7
	s_delay_alu instid0(VALU_DEP_1)
	v_exp_f32_e32 v7, v7
	ds_store_b32 v5, v7
	v_nop
	v_add_f32_e32 v3, v3, v7
	v_add_nc_u32_e32 v5, 0x200, v5
	s_wait_xcnt 0x0
	s_and_not1_b32 exec_lo, exec_lo, s17
	s_cbranch_execnz .LBB53_14
; %bb.15:
	s_or_b32 exec_lo, exec_lo, s17
	scratch_load_b32 v6, off, off offset:896 ; 4-byte Folded Reload
.LBB53_16:
	s_wait_xcnt 0x0
	s_or_b32 exec_lo, exec_lo, s11
	ds_bpermute_b32 v0, v0, v3
	s_wait_dscnt 0x0
	v_add_f32_e32 v0, v3, v0
	ds_bpermute_b32 v1, v1, v0
	s_wait_dscnt 0x0
	v_add_f32_e32 v0, v0, v1
	scratch_load_b32 v1, off, off offset:892 ; 4-byte Folded Reload
	s_wait_loadcnt 0x0
	ds_bpermute_b32 v1, v1, v0
	s_wait_dscnt 0x0
	v_add_f32_e32 v0, v0, v1
	scratch_load_b32 v1, off, off offset:884 ; 4-byte Folded Reload
	s_wait_loadcnt 0x0
	ds_bpermute_b32 v1, v1, v0
	s_wait_dscnt 0x0
	v_add_f32_e32 v0, v0, v1
	ds_bpermute_b32 v1, v6, v0
	s_wait_dscnt 0x0
	v_add_f32_e32 v0, v0, v1
	s_wait_xcnt 0x0
	s_mov_b32 s4, exec_lo
	scratch_load_b32 v4, off, off offset:880 ; 4-byte Folded Reload
	s_and_b32 s11, s4, vcc_lo
	s_wait_xcnt 0x0
	s_mov_b32 exec_lo, s11
; %bb.17:
	ds_store_b32 v2, v0 offset:1040
; %bb.18:
	s_or_b32 exec_lo, exec_lo, s4
	s_wait_storecnt 0x0
	s_wait_loadcnt_dscnt 0x0
	s_barrier_signal -1
	s_barrier_wait -1
	s_and_saveexec_b32 s4, s0
; %bb.19:
	ds_load_b32 v0, v12 offset:1040
; %bb.20:
	s_or_b32 exec_lo, exec_lo, s4
	scratch_load_b32 v1, off, off offset:884 ; 4-byte Folded Reload
	v_mov_b32_e32 v3, 0
	s_wait_loadcnt_dscnt 0x0
	ds_bpermute_b32 v1, v1, v0
	s_wait_dscnt 0x0
	v_add_f32_e32 v0, v0, v1
	ds_bpermute_b32 v1, v6, v0
	s_wait_dscnt 0x0
	v_dual_add_f32 v0, v0, v1 :: v_dual_mov_b32 v1, 0
	scratch_store_b64 off, v[0:1], off offset:560 ; 8-byte Folded Spill
	s_wait_xcnt 0x0
	ds_bpermute_b32 v0, v3, v0
	s_and_saveexec_b32 s0, s1
	s_cbranch_execz .LBB53_33
; %bb.21:
	s_wait_dscnt 0x0
	v_add_f32_e32 v0, 0x358637bd, v0
	s_mov_b32 s4, -1
	s_mov_b32 s1, exec_lo
	s_delay_alu instid0(VALU_DEP_1) | instskip(NEXT) | instid1(VALU_DEP_1)
	v_div_scale_f32 v1, null, v0, v0, 1.0
	v_rcp_f32_e32 v3, v1
	v_nop
	s_delay_alu instid0(TRANS32_DEP_1) | instskip(NEXT) | instid1(VALU_DEP_1)
	v_fma_f32 v2, -v1, v3, 1.0
	v_fmac_f32_e32 v3, v2, v3
	v_div_scale_f32 v4, vcc_lo, 1.0, v0, 1.0
	s_delay_alu instid0(VALU_DEP_1) | instskip(NEXT) | instid1(VALU_DEP_1)
	v_mul_f32_e32 v5, v4, v3
	v_fma_f32 v2, -v1, v5, v4
	s_delay_alu instid0(VALU_DEP_1) | instskip(NEXT) | instid1(VALU_DEP_1)
	v_fmac_f32_e32 v5, v2, v3
	v_fma_f32 v1, -v1, v5, v4
	scratch_load_b32 v4, off, off offset:880 ; 4-byte Folded Reload
	v_div_fmas_f32 v1, v1, v3, v5
	s_delay_alu instid0(VALU_DEP_1) | instskip(SKIP_4) | instid1(VALU_DEP_2)
	v_div_fixup_f32 v0, v1, v0, 1.0
	s_wait_loadcnt 0x0
	v_xad_u32 v2, v4, -1, s10
	v_mov_b32_e32 v1, v4
	s_wait_xcnt 0x0
	v_cmpx_lt_u32_e32 0x7f, v2
	s_cbranch_execz .LBB53_30
; %bb.22:
	v_dual_mov_b32 v1, v0 :: v_dual_lshrrev_b32 v2, 7, v2
	s_delay_alu instid0(VALU_DEP_1) | instskip(NEXT) | instid1(VALU_DEP_1)
	v_dual_mov_b32 v6, 0 :: v_dual_add_nc_u32 v3, -1, v2
	v_lshrrev_b32_e32 v4, 1, v3
	v_cmp_lt_u32_e32 vcc_lo, 13, v3
	s_delay_alu instid0(VALU_DEP_2)
	v_add_nc_u32_e32 v3, 1, v4
	s_and_saveexec_b32 s4, vcc_lo
	s_cbranch_execz .LBB53_26
; %bb.23:
	scratch_load_b32 v5, off, off offset:880 ; 4-byte Folded Reload
	v_and_b32_e32 v4, -8, v3
	s_mov_b32 s11, 0
	s_mov_b32 s17, 0
	s_wait_loadcnt 0x0
	v_lshl_add_u32 v5, v5, 2, 0x420
.LBB53_24:                              ; =>This Inner Loop Header: Depth=1
	ds_load_2addr_stride64_b32 v[6:7], v5 offset1:2
	ds_load_2addr_stride64_b32 v[8:9], v5 offset0:4 offset1:6
	ds_load_2addr_stride64_b32 v[10:11], v5 offset0:8 offset1:10
	;; [unrolled: 1-line block ×7, first 2 shown]
	s_add_co_i32 s17, s17, 16
	v_add_nc_u32_e32 v4, -8, v4
	s_wait_dscnt 0x7
	v_pk_mul_f32 v[6:7], v[0:1], v[6:7]
	s_wait_dscnt 0x6
	v_pk_mul_f32 v[8:9], v[0:1], v[8:9]
	;; [unrolled: 2-line block ×8, first 2 shown]
	ds_store_2addr_stride64_b32 v5, v6, v7 offset1:2
	ds_store_2addr_stride64_b32 v5, v8, v9 offset0:4 offset1:6
	ds_store_2addr_stride64_b32 v5, v10, v11 offset0:8 offset1:10
	;; [unrolled: 1-line block ×7, first 2 shown]
	v_mov_b32_e32 v6, s17
	v_cmp_eq_u32_e32 vcc_lo, 0, v4
	v_add_nc_u32_e32 v5, 0x2000, v5
	s_or_b32 s11, vcc_lo, s11
	s_wait_xcnt 0x0
	s_and_not1_b32 exec_lo, exec_lo, s11
	s_cbranch_execnz .LBB53_24
; %bb.25:
	s_or_b32 exec_lo, exec_lo, s11
.LBB53_26:
	s_delay_alu instid0(SALU_CYCLE_1) | instskip(NEXT) | instid1(VALU_DEP_1)
	s_or_b32 exec_lo, exec_lo, s4
	v_and_b32_e32 v3, 7, v3
	s_mov_b32 s11, 0
	s_mov_b32 s4, exec_lo
	s_delay_alu instid0(VALU_DEP_1)
	v_cmpx_ne_u32_e32 0, v3
	s_cbranch_execz .LBB53_29
; %bb.27:
	scratch_load_b32 v5, off, off offset:880 ; 4-byte Folded Reload
	s_wait_loadcnt 0x0
	v_dual_lshlrev_b32 v4, 9, v6 :: v_dual_lshlrev_b32 v5, 2, v5
	s_delay_alu instid0(VALU_DEP_1)
	v_add3_u32 v4, v4, v5, 0x420
.LBB53_28:                              ; =>This Inner Loop Header: Depth=1
	ds_load_2addr_stride64_b32 v[6:7], v4 offset1:2
	v_add_nc_u32_e32 v3, -1, v3
	s_delay_alu instid0(VALU_DEP_1)
	v_cmp_eq_u32_e32 vcc_lo, 0, v3
	s_or_b32 s11, vcc_lo, s11
	s_wait_dscnt 0x0
	v_pk_mul_f32 v[6:7], v[0:1], v[6:7]
	ds_store_2addr_stride64_b32 v4, v6, v7 offset1:2
	v_add_nc_u32_e32 v4, 0x400, v4
	s_wait_xcnt 0x0
	s_and_not1_b32 exec_lo, exec_lo, s11
	s_cbranch_execnz .LBB53_28
.LBB53_29:
	s_or_b32 exec_lo, exec_lo, s4
	scratch_load_b32 v4, off, off offset:880 ; 4-byte Folded Reload
	v_add_nc_u32_e32 v1, 1, v2
	s_delay_alu instid0(VALU_DEP_1) | instskip(NEXT) | instid1(VALU_DEP_1)
	v_and_b32_e32 v2, 0x3fffffe, v1
	v_cmp_ne_u32_e32 vcc_lo, v1, v2
	s_or_not1_b32 s4, vcc_lo, exec_lo
	s_wait_loadcnt 0x0
	v_lshl_add_u32 v1, v2, 7, v4
.LBB53_30:
	s_wait_xcnt 0x0
	s_or_b32 exec_lo, exec_lo, s1
	s_delay_alu instid0(SALU_CYCLE_1)
	s_and_b32 exec_lo, exec_lo, s4
	s_cbranch_execz .LBB53_33
; %bb.31:
	v_lshl_add_u32 v2, v1, 2, 0x420
	s_mov_b32 s1, 0
.LBB53_32:                              ; =>This Inner Loop Header: Depth=1
	ds_load_b32 v3, v2
	v_add_nc_u32_e32 v1, 0x80, v1
	s_delay_alu instid0(VALU_DEP_1)
	v_cmp_le_i32_e32 vcc_lo, s10, v1
	s_or_b32 s1, vcc_lo, s1
	s_wait_dscnt 0x0
	v_mul_f32_e32 v3, v0, v3
	ds_store_b32 v2, v3
	v_add_nc_u32_e32 v2, 0x200, v2
	s_and_not1_b32 exec_lo, exec_lo, s1
	s_cbranch_execnz .LBB53_32
.LBB53_33:
	s_or_b32 exec_lo, exec_lo, s0
	s_wait_dscnt 0x0
	v_dual_mov_b32 v91, 0 :: v_dual_bitop2_b32 v0, 7, v4 bitop3:0x40
	v_dual_mov_b32 v83, 0 :: v_dual_mov_b32 v82, 0
	v_dual_mov_b32 v87, 0 :: v_dual_mov_b32 v86, 0
	s_clause 0x1
	scratch_store_b32 off, v0, off offset:900
	scratch_load_b64 v[0:1], off, off offset:560
	s_wait_loadcnt 0x0
	v_dual_mov_b32 v0, 0 :: v_dual_mov_b32 v90, 0
	v_dual_mov_b32 v93, 0 :: v_dual_mov_b32 v92, 0
	;; [unrolled: 1-line block ×19, first 2 shown]
	scratch_store_b64 off, v[0:1], off offset:560 ; 8-byte Folded Spill
	s_wait_xcnt 0x0
	v_dual_mov_b32 v1, 0 :: v_dual_mov_b32 v0, 0
	scratch_store_b64 off, v[0:1], off offset:576 ; 8-byte Folded Spill
	s_wait_xcnt 0x0
	v_dual_mov_b32 v1, 0 :: v_dual_mov_b32 v0, 0
	;; [unrolled: 3-line block ×10, first 2 shown]
	s_wait_storecnt 0x0
	s_barrier_signal -1
	s_barrier_wait -1
	s_and_saveexec_b32 s25, s3
	s_cbranch_execz .LBB53_165
; %bb.34:
	s_clause 0x1
	scratch_load_b32 v2, off, off offset:900
	scratch_load_b32 v5, off, off offset:888
	v_lshlrev_b32_e32 v0, 2, v4
	s_ashr_i32 s17, s16, 31
	v_and_b32_e32 v8, 0x7c, v127
	s_lshl_b64 s[0:1], s[16:17], 2
	s_ashr_i32 s11, s5, 31
	s_mov_b32 s10, s5
	s_wait_kmcnt 0x0
	s_add_nc_u64 s[4:5], s[18:19], s[0:1]
	s_lshl_b64 s[0:1], s[14:15], 2
	s_add_co_i32 s3, s24, -1
	s_add_nc_u64 s[0:1], s[12:13], s[0:1]
	s_mov_b32 s13, s23
	s_mov_b32 s12, 0
	v_mov_b32_e32 v9, 0
	s_delay_alu instid0(VALU_DEP_1)
	v_add_nc_u64_e32 v[10:11], s[0:1], v[8:9]
	v_dual_mov_b32 v15, v9 :: v_dual_mov_b32 v14, v9
	v_dual_mov_b32 v61, v9 :: v_dual_mov_b32 v60, v9
	;; [unrolled: 1-line block ×6, first 2 shown]
	s_wait_loadcnt 0x1
	v_dual_lshlrev_b32 v3, 4, v2 :: v_dual_bitop2_b32 v1, 28, v0 bitop3:0x40
	v_and_b32_e32 v2, 0x7c, v0
	v_or_b32_e32 v4, 0xf80, v0
	v_or_b32_e32 v6, 0x1f80, v0
	s_wait_loadcnt 0x0
	v_lshl_or_b32 v3, v5, 7, v3
	v_lshl_or_b32 v0, v5, 5, v1
	v_dual_lshlrev_b32 v2, 2, v2 :: v_dual_lshlrev_b32 v8, 2, v4
	s_delay_alu instid0(VALU_DEP_3)
	v_add_nc_u32_e32 v1, 0x420, v3
	v_mov_b32_e32 v3, v9
	scratch_store_b64 off, v[2:3], off offset:872 ; 8-byte Folded Spill
	s_wait_xcnt 0x0
	v_lshlrev_b32_e32 v2, 2, v6
	scratch_store_b64 off, v[2:3], off offset:800 ; 8-byte Folded Spill
	s_wait_xcnt 0x0
	v_mov_b32_e32 v2, v9
	s_clause 0x1a
	scratch_store_b64 off, v[2:3], off offset:560
	scratch_store_b64 off, v[2:3], off offset:664
	;; [unrolled: 1-line block ×27, first 2 shown]
	s_wait_xcnt 0x1
	v_mov_b32_e32 v8, v5
	s_branch .LBB53_36
.LBB53_35:                              ;   in Loop: Header=BB53_36 Depth=1
	s_or_b32 exec_lo, exec_lo, s1
	s_wait_dscnt 0x0
	v_mul_f32_e32 v14, v6, v14
	v_mul_f32_e32 v1, v6, v18
	scratch_load_b128 v[22:25], off, off offset:544 th:TH_LOAD_LU ; 16-byte Folded Reload
	v_mul_f32_e32 v10, v6, v10
	v_dual_mul_f32 v2, v6, v2 :: v_dual_fmac_f32 v14, v7, v15
	v_dual_fmac_f32 v1, v7, v19 :: v_dual_mul_f32 v15, v6, v98
	s_delay_alu instid0(VALU_DEP_3) | instskip(NEXT) | instid1(VALU_DEP_3)
	v_fmac_f32_e32 v10, v7, v11
	v_fmac_f32_e32 v2, v7, v3
	s_delay_alu instid0(VALU_DEP_4) | instskip(NEXT) | instid1(VALU_DEP_4)
	v_fmac_f32_e32 v14, v8, v16
	v_dual_fmac_f32 v1, v8, v20 :: v_dual_mul_f32 v3, v6, v122
	s_delay_alu instid0(VALU_DEP_4) | instskip(NEXT) | instid1(VALU_DEP_3)
	v_dual_fmac_f32 v10, v8, v12 :: v_dual_mul_f32 v11, v6, v110
	v_fmac_f32_e32 v14, v9, v17
	s_delay_alu instid0(VALU_DEP_3) | instskip(NEXT) | instid1(VALU_DEP_3)
	v_dual_fmac_f32 v1, v9, v21 :: v_dual_fmac_f32 v3, v7, v123
	v_dual_fmac_f32 v10, v9, v13 :: v_dual_fmac_f32 v11, v7, v111
	v_mul_f32_e32 v12, v6, v106
	s_delay_alu instid0(VALU_DEP_3) | instskip(SKIP_1) | instid1(VALU_DEP_3)
	v_dual_mul_f32 v13, v6, v102 :: v_dual_fmac_f32 v3, v8, v124
	v_dual_fmac_f32 v2, v8, v4 :: v_dual_mul_f32 v4, v6, v118
	v_dual_fmac_f32 v11, v8, v112 :: v_dual_fmac_f32 v12, v7, v107
	s_delay_alu instid0(VALU_DEP_3) | instskip(NEXT) | instid1(VALU_DEP_3)
	v_fmac_f32_e32 v3, v9, v125
	v_dual_fmac_f32 v2, v9, v5 :: v_dual_fmac_f32 v4, v7, v119
	s_delay_alu instid0(VALU_DEP_3) | instskip(NEXT) | instid1(VALU_DEP_4)
	v_dual_mul_f32 v5, v6, v114 :: v_dual_fmac_f32 v11, v9, v113
	v_dual_fmac_f32 v12, v8, v108 :: v_dual_fmac_f32 v13, v7, v103
	s_delay_alu instid0(VALU_DEP_2) | instskip(NEXT) | instid1(VALU_DEP_2)
	v_dual_fmac_f32 v4, v8, v120 :: v_dual_fmac_f32 v5, v7, v115
	v_dual_fmac_f32 v15, v7, v99 :: v_dual_fmac_f32 v12, v9, v109
	s_delay_alu instid0(VALU_DEP_2) | instskip(NEXT) | instid1(VALU_DEP_3)
	v_dual_fmac_f32 v13, v8, v104 :: v_dual_fmac_f32 v4, v9, v121
	v_fmac_f32_e32 v5, v8, v116
	s_delay_alu instid0(VALU_DEP_3) | instskip(NEXT) | instid1(VALU_DEP_3)
	v_dual_fmac_f32 v15, v8, v100 :: v_dual_mul_f32 v16, v6, v94
	v_dual_fmac_f32 v13, v9, v105 :: v_dual_mul_f32 v17, v6, v86
	s_delay_alu instid0(VALU_DEP_3) | instskip(NEXT) | instid1(VALU_DEP_3)
	v_fmac_f32_e32 v5, v9, v117
	v_dual_fmac_f32 v15, v9, v101 :: v_dual_fmac_f32 v16, v7, v95
	s_delay_alu instid0(VALU_DEP_3) | instskip(SKIP_1) | instid1(VALU_DEP_3)
	v_dual_mul_f32 v18, v6, v82 :: v_dual_fmac_f32 v17, v7, v87
	v_mul_f32_e32 v19, v6, v78
	v_dual_mul_f32 v20, v6, v74 :: v_dual_fmac_f32 v16, v8, v96
	s_delay_alu instid0(VALU_DEP_3) | instskip(NEXT) | instid1(VALU_DEP_3)
	v_dual_fmac_f32 v18, v7, v83 :: v_dual_fmac_f32 v17, v8, v88
	v_fmac_f32_e32 v19, v7, v79
	s_delay_alu instid0(VALU_DEP_3) | instskip(NEXT) | instid1(VALU_DEP_3)
	v_fmac_f32_e32 v20, v7, v75
	v_dual_fmac_f32 v16, v9, v97 :: v_dual_fmac_f32 v18, v8, v84
	s_delay_alu instid0(VALU_DEP_3) | instskip(NEXT) | instid1(VALU_DEP_3)
	v_dual_fmac_f32 v17, v9, v89 :: v_dual_fmac_f32 v19, v8, v80
	v_dual_fmac_f32 v20, v8, v76 :: v_dual_mul_f32 v21, v6, v70
	s_delay_alu instid0(VALU_DEP_3) | instskip(NEXT) | instid1(VALU_DEP_3)
	v_dual_fmac_f32 v18, v9, v85 :: v_dual_mul_f32 v66, v6, v66
	v_fmac_f32_e32 v19, v9, v81
	s_delay_alu instid0(VALU_DEP_3) | instskip(NEXT) | instid1(VALU_DEP_3)
	v_dual_fmac_f32 v20, v9, v77 :: v_dual_fmac_f32 v21, v7, v71
	v_dual_mul_f32 v62, v6, v62 :: v_dual_fmac_f32 v66, v7, v67
	v_mul_f32_e32 v54, v6, v54
	s_delay_alu instid0(VALU_DEP_3) | instskip(NEXT) | instid1(VALU_DEP_3)
	v_dual_mul_f32 v58, v6, v58 :: v_dual_fmac_f32 v21, v8, v72
	v_fmac_f32_e32 v62, v7, v63
	s_delay_alu instid0(VALU_DEP_4) | instskip(NEXT) | instid1(VALU_DEP_4)
	v_fmac_f32_e32 v66, v8, v68
	v_dual_fmac_f32 v54, v7, v55 :: v_dual_mul_f32 v30, v6, v30
	s_delay_alu instid0(VALU_DEP_3) | instskip(NEXT) | instid1(VALU_DEP_3)
	v_dual_fmac_f32 v21, v9, v73 :: v_dual_fmac_f32 v62, v8, v64
	v_dual_mul_f32 v50, v6, v50 :: v_dual_fmac_f32 v66, v9, v69
	scratch_load_b128 v[68:71], off, off offset:528 th:TH_LOAD_LU ; 16-byte Folded Reload
	v_dual_fmac_f32 v58, v7, v59 :: v_dual_mul_f32 v42, v6, v42
	v_dual_fmac_f32 v54, v8, v56 :: v_dual_mul_f32 v26, v6, v26
	v_fmac_f32_e32 v50, v7, v51
	v_dual_fmac_f32 v62, v9, v65 :: v_dual_mul_f32 v46, v6, v46
	s_delay_alu instid0(VALU_DEP_4) | instskip(NEXT) | instid1(VALU_DEP_4)
	v_dual_fmac_f32 v58, v8, v60 :: v_dual_mul_f32 v38, v6, v38
	v_fmac_f32_e32 v54, v9, v57
	v_dual_fmac_f32 v26, v7, v27 :: v_dual_mul_f32 v34, v6, v34
	s_delay_alu instid0(VALU_DEP_3)
	v_fmac_f32_e32 v58, v9, v61
	s_clause 0x1
	scratch_load_b64 v[60:61], off, off offset:664 th:TH_LOAD_LU
	scratch_load_b64 v[56:57], off, off offset:560 th:TH_LOAD_LU
	v_add_nc_u32_e32 v0, 0x80, v0
	s_wait_loadcnt 0x3
	v_mul_f32_e32 v22, v6, v22
	s_delay_alu instid0(VALU_DEP_1) | instskip(NEXT) | instid1(VALU_DEP_1)
	v_fmac_f32_e32 v22, v7, v23
	v_fmac_f32_e32 v22, v8, v24
	s_wait_loadcnt 0x2
	s_delay_alu instid0(VALU_DEP_1) | instskip(NEXT) | instid1(VALU_DEP_1)
	v_dual_fmac_f32 v22, v9, v25 :: v_dual_mul_f32 v23, v6, v68
	v_dual_fmac_f32 v50, v8, v52 :: v_dual_fmac_f32 v23, v7, v69
	s_delay_alu instid0(VALU_DEP_1) | instskip(SKIP_2) | instid1(VALU_DEP_2)
	v_dual_fmac_f32 v50, v9, v53 :: v_dual_fmac_f32 v23, v8, v70
	s_wait_loadcnt 0x1
	v_dual_fmac_f32 v26, v8, v28 :: v_dual_add_f32 v61, v61, v14
	v_fmac_f32_e32 v23, v9, v71
	scratch_load_b128 v[68:71], off, off offset:512 th:TH_LOAD_LU ; 16-byte Folded Reload
	v_dual_fmac_f32 v46, v7, v47 :: v_dual_add_f32 v60, v60, v10
	s_wait_loadcnt 0x1
	v_add_f32_e32 v56, v56, v1
	s_clause 0x1
	scratch_store_b64 off, v[60:61], off offset:664
	scratch_load_b64 v[60:61], off, off offset:672 th:TH_LOAD_LU
	s_wait_loadcnt 0x1
	v_mul_f32_e32 v24, v6, v68
	s_delay_alu instid0(VALU_DEP_1) | instskip(NEXT) | instid1(VALU_DEP_1)
	v_dual_fmac_f32 v46, v8, v48 :: v_dual_fmac_f32 v24, v7, v69
	v_fmac_f32_e32 v46, v9, v49
	s_wait_loadcnt 0x0
	v_dual_add_f32 v61, v61, v2 :: v_dual_add_f32 v60, v60, v3
	s_delay_alu instid0(VALU_DEP_3)
	v_dual_fmac_f32 v24, v8, v70 :: v_dual_fmac_f32 v26, v9, v29
	scratch_load_b64 v[2:3], off, off offset:680 th:TH_LOAD_LU ; 8-byte Folded Reload
	v_fmac_f32_e32 v24, v9, v71
	scratch_load_b128 v[68:71], off, off offset:496 th:TH_LOAD_LU ; 16-byte Folded Reload
	v_fmac_f32_e32 v42, v7, v43
	s_wait_loadcnt 0x1
	v_dual_add_f32 v3, v3, v4 :: v_dual_add_f32 v2, v2, v5
	scratch_load_b64 v[4:5], off, off offset:744 th:TH_LOAD_LU ; 8-byte Folded Reload
	s_wait_loadcnt 0x1
	v_mul_f32_e32 v25, v6, v68
	v_fmac_f32_e32 v42, v8, v44
	s_clause 0x1
	scratch_store_b64 off, v[2:3], off offset:680
	scratch_load_b64 v[2:3], off, off offset:688 th:TH_LOAD_LU
	v_fmac_f32_e32 v25, v7, v69
	s_delay_alu instid0(VALU_DEP_1) | instskip(NEXT) | instid1(VALU_DEP_1)
	v_dual_fmac_f32 v42, v9, v45 :: v_dual_fmac_f32 v25, v8, v70
	v_fmac_f32_e32 v25, v9, v71
	scratch_load_b128 v[68:71], off, off offset:480 th:TH_LOAD_LU ; 16-byte Folded Reload
	v_fmac_f32_e32 v38, v7, v39
	s_wait_loadcnt 0x1
	v_dual_add_f32 v3, v3, v11 :: v_dual_add_f32 v2, v2, v12
	s_clause 0x1
	scratch_store_b64 off, v[2:3], off offset:688
	scratch_load_b64 v[2:3], off, off offset:576 th:TH_LOAD_LU
	s_wait_loadcnt 0x1
	v_mul_f32_e32 v27, v6, v68
	s_delay_alu instid0(VALU_DEP_1) | instskip(NEXT) | instid1(VALU_DEP_1)
	v_dual_fmac_f32 v38, v8, v40 :: v_dual_fmac_f32 v27, v7, v69
	v_dual_fmac_f32 v38, v9, v41 :: v_dual_fmac_f32 v27, v8, v70
	s_delay_alu instid0(VALU_DEP_1)
	v_fmac_f32_e32 v27, v9, v71
	scratch_load_b128 v[68:71], off, off offset:464 th:TH_LOAD_LU ; 16-byte Folded Reload
	v_fmac_f32_e32 v34, v7, v35
	s_wait_loadcnt 0x1
	v_dual_add_f32 v3, v3, v13 :: v_dual_add_f32 v2, v2, v15
	s_clause 0x5
	scratch_store_b64 off, v[60:61], off offset:672
	scratch_load_b64 v[14:15], off, off offset:808 th:TH_LOAD_LU
	scratch_load_b64 v[60:61], off, off offset:816 th:TH_LOAD_LU
	scratch_load_b128 v[10:13], off, off offset:128 th:TH_LOAD_LU
	scratch_store_b64 off, v[2:3], off offset:576
	scratch_load_b64 v[2:3], off, off offset:592 th:TH_LOAD_LU
	s_wait_loadcnt 0x4
	v_mul_f32_e32 v28, v6, v68
	s_delay_alu instid0(VALU_DEP_1) | instskip(NEXT) | instid1(VALU_DEP_1)
	v_dual_fmac_f32 v34, v8, v36 :: v_dual_fmac_f32 v28, v7, v69
	v_dual_fmac_f32 v34, v9, v37 :: v_dual_fmac_f32 v28, v8, v70
	s_delay_alu instid0(VALU_DEP_1)
	v_fmac_f32_e32 v28, v9, v71
	scratch_load_b128 v[68:71], off, off offset:448 th:TH_LOAD_LU ; 16-byte Folded Reload
	v_fmac_f32_e32 v30, v7, v31
	s_wait_loadcnt 0x1
	v_dual_add_f32 v3, v3, v16 :: v_dual_add_f32 v2, v2, v17
	scratch_load_b64 v[16:17], off, off offset:840 th:TH_LOAD_LU ; 8-byte Folded Reload
	s_wait_loadcnt 0x1
	v_mul_f32_e32 v29, v6, v68
	s_delay_alu instid0(VALU_DEP_1) | instskip(NEXT) | instid1(VALU_DEP_1)
	v_dual_fmac_f32 v30, v8, v32 :: v_dual_fmac_f32 v29, v7, v69
	v_dual_fmac_f32 v30, v9, v33 :: v_dual_fmac_f32 v29, v8, v70
	s_delay_alu instid0(VALU_DEP_1) | instskip(SKIP_3) | instid1(VALU_DEP_1)
	v_fmac_f32_e32 v29, v9, v71
	scratch_load_b128 v[68:71], off, off offset:432 th:TH_LOAD_LU ; 16-byte Folded Reload
	s_wait_loadcnt 0x0
	v_mul_f32_e32 v31, v6, v68
	v_fmac_f32_e32 v31, v7, v69
	s_delay_alu instid0(VALU_DEP_1) | instskip(NEXT) | instid1(VALU_DEP_1)
	v_fmac_f32_e32 v31, v8, v70
	v_fmac_f32_e32 v31, v9, v71
	scratch_load_b128 v[68:71], off, off offset:416 th:TH_LOAD_LU ; 16-byte Folded Reload
	s_wait_loadcnt 0x0
	v_mul_f32_e32 v32, v6, v68
	s_delay_alu instid0(VALU_DEP_1) | instskip(NEXT) | instid1(VALU_DEP_1)
	v_fmac_f32_e32 v32, v7, v69
	v_fmac_f32_e32 v32, v8, v70
	s_delay_alu instid0(VALU_DEP_1) | instskip(SKIP_3) | instid1(VALU_DEP_1)
	v_fmac_f32_e32 v32, v9, v71
	scratch_load_b128 v[68:71], off, off offset:400 th:TH_LOAD_LU ; 16-byte Folded Reload
	s_wait_loadcnt 0x0
	v_mul_f32_e32 v33, v6, v68
	v_fmac_f32_e32 v33, v7, v69
	s_delay_alu instid0(VALU_DEP_1) | instskip(NEXT) | instid1(VALU_DEP_1)
	v_fmac_f32_e32 v33, v8, v70
	v_fmac_f32_e32 v33, v9, v71
	scratch_load_b128 v[68:71], off, off offset:384 th:TH_LOAD_LU ; 16-byte Folded Reload
	s_wait_loadcnt 0x0
	v_mul_f32_e32 v35, v6, v68
	s_delay_alu instid0(VALU_DEP_1) | instskip(NEXT) | instid1(VALU_DEP_1)
	v_fmac_f32_e32 v35, v7, v69
	v_fmac_f32_e32 v35, v8, v70
	;; [unrolled: 15-line block ×7, first 2 shown]
	s_delay_alu instid0(VALU_DEP_1) | instskip(SKIP_3) | instid1(VALU_DEP_1)
	v_fmac_f32_e32 v48, v9, v71
	scratch_load_b128 v[68:71], off, off offset:208 th:TH_LOAD_LU ; 16-byte Folded Reload
	s_wait_loadcnt 0x0
	v_mul_f32_e32 v49, v6, v68
	v_fmac_f32_e32 v49, v7, v69
	s_delay_alu instid0(VALU_DEP_1) | instskip(NEXT) | instid1(VALU_DEP_1)
	v_fmac_f32_e32 v49, v8, v70
	v_fmac_f32_e32 v49, v9, v71
	scratch_load_b128 v[68:71], off, off offset:192 th:TH_LOAD_LU ; 16-byte Folded Reload
	s_wait_loadcnt 0x0
	v_mul_f32_e32 v51, v6, v68
	s_delay_alu instid0(VALU_DEP_1) | instskip(NEXT) | instid1(VALU_DEP_1)
	v_fmac_f32_e32 v51, v7, v69
	v_dual_add_f32 v5, v5, v49 :: v_dual_fmac_f32 v51, v8, v70
	s_delay_alu instid0(VALU_DEP_1) | instskip(SKIP_3) | instid1(VALU_DEP_1)
	v_fmac_f32_e32 v51, v9, v71
	scratch_load_b128 v[68:71], off, off offset:176 th:TH_LOAD_LU ; 16-byte Folded Reload
	s_wait_loadcnt 0x0
	v_mul_f32_e32 v52, v6, v68
	v_fmac_f32_e32 v52, v7, v69
	s_delay_alu instid0(VALU_DEP_1) | instskip(NEXT) | instid1(VALU_DEP_1)
	v_fmac_f32_e32 v52, v8, v70
	v_fmac_f32_e32 v52, v9, v71
	scratch_load_b128 v[68:71], off, off offset:160 th:TH_LOAD_LU ; 16-byte Folded Reload
	s_wait_loadcnt 0x0
	v_mul_f32_e32 v53, v6, v68
	s_delay_alu instid0(VALU_DEP_1)
	v_dual_fmac_f32 v53, v7, v69 :: v_dual_add_f32 v4, v4, v51
	s_clause 0x1
	scratch_store_b64 off, v[2:3], off offset:592
	scratch_load_b64 v[2:3], off, off offset:696 th:TH_LOAD_LU
	v_fmac_f32_e32 v53, v8, v70
	s_clause 0x1
	scratch_store_b64 off, v[4:5], off offset:744
	scratch_load_b64 v[4:5], off, off offset:752 th:TH_LOAD_LU
	s_wait_loadcnt 0x1
	v_dual_fmac_f32 v53, v9, v71 :: v_dual_add_f32 v3, v3, v18
	v_add_f32_e32 v2, v2, v19
	scratch_load_b64 v[18:19], off, off offset:848 th:TH_LOAD_LU ; 8-byte Folded Reload
	s_wait_loadcnt 0x1
	v_dual_add_f32 v5, v5, v52 :: v_dual_add_f32 v4, v4, v53
	s_clause 0x1
	scratch_store_b64 off, v[2:3], off offset:696
	scratch_load_b64 v[2:3], off, off offset:608 th:TH_LOAD_LU
	s_wait_loadcnt 0x0
	v_add_f32_e32 v3, v3, v26
	v_add_f32_e32 v2, v2, v22
	s_clause 0x1
	scratch_store_b64 off, v[2:3], off offset:608
	scratch_load_b64 v[2:3], off, off offset:616 th:TH_LOAD_LU
	v_add_f32_e32 v15, v15, v20
	s_wait_loadcnt 0x0
	v_dual_add_f32 v3, v3, v23 :: v_dual_add_f32 v2, v2, v24
	s_clause 0x1
	scratch_store_b64 off, v[2:3], off offset:616
	scratch_load_b64 v[2:3], off, off offset:624 th:TH_LOAD_LU
	v_dual_add_f32 v60, v60, v62 :: v_dual_add_f32 v14, v14, v21
	v_add_f32_e32 v61, v61, v66
	s_clause 0x1
	scratch_load_b128 v[20:23], off, off offset:144 th:TH_LOAD_LU
	scratch_load_b64 v[66:67], off, off offset:824 th:TH_LOAD_LU
	s_wait_loadcnt 0x2
	v_dual_add_f32 v3, v3, v25 :: v_dual_add_f32 v2, v2, v27
	scratch_load_b128 v[24:27], off, off offset:80 th:TH_LOAD_LU ; 16-byte Folded Reload
	s_wait_loadcnt 0x2
	v_mul_f32_e32 v1, v6, v20
	s_clause 0x1
	scratch_store_b64 off, v[2:3], off offset:624
	scratch_load_b64 v[2:3], off, off offset:704 th:TH_LOAD_LU
	v_add_f32_e32 v19, v19, v34
	v_dual_add_f32 v18, v18, v30 :: v_dual_fmac_f32 v1, v7, v21
	s_wait_loadcnt 0x0
	s_delay_alu instid0(VALU_DEP_1)
	v_dual_fmac_f32 v1, v8, v22 :: v_dual_add_f32 v3, v3, v28
	v_add_f32_e32 v2, v2, v29
	s_clause 0x1
	scratch_store_b64 off, v[2:3], off offset:704
	scratch_load_b64 v[2:3], off, off offset:712 th:TH_LOAD_LU
	s_wait_loadcnt 0x0
	v_dual_add_f32 v3, v3, v31 :: v_dual_add_f32 v2, v2, v32
	scratch_load_b128 v[28:31], off, off offset:96 th:TH_LOAD_LU ; 16-byte Folded Reload
	v_fmac_f32_e32 v1, v9, v23
	s_clause 0x2
	scratch_load_b128 v[20:23], off, off offset:64 th:TH_LOAD_LU
	scratch_store_b64 off, v[2:3], off offset:712
	scratch_load_b64 v[2:3], off, off offset:720 th:TH_LOAD_LU
	s_wait_loadcnt 0x0
	v_dual_add_f32 v3, v3, v33 :: v_dual_add_f32 v2, v2, v35
	s_clause 0x2
	scratch_load_b128 v[32:35], off, off offset:112 th:TH_LOAD_LU
	scratch_store_b64 off, v[2:3], off offset:720
	scratch_load_b64 v[2:3], off, off offset:728 th:TH_LOAD_LU
	s_wait_loadcnt 0x0
	v_dual_add_f32 v3, v3, v36 :: v_dual_add_f32 v2, v2, v37
	s_clause 0x1
	scratch_store_b64 off, v[2:3], off offset:728
	scratch_load_b64 v[2:3], off, off offset:736 th:TH_LOAD_LU
	s_wait_loadcnt 0x0
	v_dual_add_f32 v3, v3, v39 :: v_dual_add_f32 v2, v2, v40
	s_clause 0x1
	scratch_store_b64 off, v[2:3], off offset:736
	scratch_load_b64 v[2:3], off, off offset:632 th:TH_LOAD_LU
	v_add_f32_e32 v67, v67, v58
	v_add_f32_e32 v66, v66, v54
	scratch_load_b64 v[54:55], off, off offset:832 th:TH_LOAD_LU ; 8-byte Folded Reload
	s_wait_loadcnt 0x1
	v_dual_add_f32 v3, v3, v41 :: v_dual_add_f32 v2, v2, v43
	s_clause 0x1
	scratch_store_b64 off, v[2:3], off offset:632
	scratch_load_b64 v[2:3], off, off offset:640 th:TH_LOAD_LU
	s_wait_loadcnt 0x1
	v_add_f32_e32 v55, v55, v50
	s_wait_loadcnt 0x0
	v_dual_add_f32 v54, v54, v46 :: v_dual_add_f32 v3, v3, v44
	v_add_f32_e32 v2, v2, v45
	s_clause 0x1
	scratch_store_b64 off, v[2:3], off offset:640
	scratch_load_b64 v[2:3], off, off offset:648 th:TH_LOAD_LU
	v_add_f32_e32 v17, v17, v42
	s_wait_loadcnt 0x0
	v_dual_add_f32 v16, v16, v38 :: v_dual_add_f32 v3, v3, v47
	v_add_f32_e32 v2, v2, v48
	scratch_store_b64 off, v[2:3], off offset:648 ; 8-byte Folded Spill
	s_wait_xcnt 0x0
	v_dual_mul_f32 v2, v6, v10 :: v_dual_mul_f32 v3, v6, v28
	s_delay_alu instid0(VALU_DEP_1) | instskip(SKIP_2) | instid1(VALU_DEP_1)
	v_fmac_f32_e32 v2, v7, v11
	scratch_load_b64 v[10:11], off, off offset:760 th:TH_LOAD_LU ; 8-byte Folded Reload
	v_fmac_f32_e32 v2, v8, v12
	v_fmac_f32_e32 v2, v9, v13
	scratch_load_b64 v[12:13], off, off offset:768 th:TH_LOAD_LU ; 8-byte Folded Reload
	s_wait_loadcnt 0x1
	v_dual_add_f32 v11, v11, v1 :: v_dual_mul_f32 v1, v6, v32
	s_delay_alu instid0(VALU_DEP_1) | instskip(NEXT) | instid1(VALU_DEP_1)
	v_fmac_f32_e32 v1, v7, v33
	v_dual_fmac_f32 v3, v7, v29 :: v_dual_fmac_f32 v1, v8, v34
	s_delay_alu instid0(VALU_DEP_1) | instskip(NEXT) | instid1(VALU_DEP_2)
	v_fmac_f32_e32 v3, v8, v30
	v_dual_add_f32 v10, v10, v2 :: v_dual_fmac_f32 v1, v9, v35
	s_delay_alu instid0(VALU_DEP_2)
	v_fmac_f32_e32 v3, v9, v31
	s_clause 0x2
	scratch_load_b128 v[30:33], off, off offset:48 th:TH_LOAD_LU
	scratch_store_b64 off, v[4:5], off offset:752
	scratch_store_b64 off, v[10:11], off offset:760
	s_wait_loadcnt 0x1
	v_dual_add_f32 v13, v13, v1 :: v_dual_add_f32 v12, v12, v3
	scratch_load_b64 v[2:3], off, off offset:656 th:TH_LOAD_LU ; 8-byte Folded Reload
	s_wait_loadcnt 0x1
	s_wait_xcnt 0x1
	v_mul_f32_e32 v10, v6, v30
	s_delay_alu instid0(VALU_DEP_1) | instskip(SKIP_2) | instid1(VALU_DEP_1)
	v_fmac_f32_e32 v10, v7, v31
	scratch_load_b128 v[28:31], off, off offset:32 th:TH_LOAD_LU ; 16-byte Folded Reload
	v_mul_f32_e32 v5, v6, v20
	v_dual_mul_f32 v4, v6, v24 :: v_dual_fmac_f32 v5, v7, v21
	s_delay_alu instid0(VALU_DEP_1) | instskip(NEXT) | instid1(VALU_DEP_1)
	v_fmac_f32_e32 v4, v7, v25
	v_fmac_f32_e32 v4, v8, v26
	s_delay_alu instid0(VALU_DEP_1) | instskip(NEXT) | instid1(VALU_DEP_1)
	v_dual_fmac_f32 v5, v8, v22 :: v_dual_fmac_f32 v4, v9, v27
	v_fmac_f32_e32 v5, v9, v23
	s_clause 0x1
	scratch_load_b128 v[24:27], off, off offset:16 th:TH_LOAD_LU
	scratch_load_b128 v[20:23], off, off th:TH_LOAD_LU
	s_wait_loadcnt 0x3
	v_dual_add_f32 v3, v3, v4 :: v_dual_add_f32 v2, v2, v5
	v_pk_mul_f32 v[4:5], v[8:9], v[92:93]
	scratch_store_b64 off, v[2:3], off offset:656 ; 8-byte Folded Spill
	s_wait_xcnt 0x0
	v_pk_mul_f32 v[2:3], v[6:7], v[90:91]
	s_delay_alu instid0(VALU_DEP_1) | instskip(NEXT) | instid1(VALU_DEP_1)
	v_add_f32_e32 v2, v3, v2
	v_add_f32_e32 v2, v4, v2
	s_delay_alu instid0(VALU_DEP_1)
	v_add_f32_e32 v2, v5, v2
	scratch_load_b64 v[4:5], off, off offset:784 th:TH_LOAD_LU ; 8-byte Folded Reload
	v_add_f32_e32 v57, v57, v2
	s_clause 0x1
	scratch_store_b64 off, v[12:13], off offset:768
	scratch_store_b64 off, v[56:57], off offset:560
	s_wait_loadcnt 0x3
	v_mul_f32_e32 v1, v6, v28
	s_wait_loadcnt 0x2
	s_delay_alu instid0(VALU_DEP_1) | instskip(SKIP_2) | instid1(VALU_DEP_1)
	v_dual_fmac_f32 v1, v7, v29 :: v_dual_mul_f32 v11, v6, v24
	s_wait_loadcnt 0x1
	s_wait_xcnt 0x1
	v_dual_mul_f32 v12, v6, v20 :: v_dual_fmac_f32 v11, v7, v25
	s_delay_alu instid0(VALU_DEP_1)
	v_dual_fmac_f32 v10, v8, v32 :: v_dual_fmac_f32 v12, v7, v21
	scratch_load_b64 v[6:7], off, off offset:776 th:TH_LOAD_LU ; 8-byte Folded Reload
	v_fmac_f32_e32 v11, v8, v26
	v_fmac_f32_e32 v1, v8, v30
	;; [unrolled: 1-line block ×3, first 2 shown]
	scratch_load_b32 v8, off, off offset:868 th:TH_LOAD_LU ; 4-byte Folded Reload
	v_dual_fmac_f32 v10, v9, v33 :: v_dual_fmac_f32 v11, v9, v27
	v_fmac_f32_e32 v1, v9, v31
	s_wait_loadcnt 0x1
	s_delay_alu instid0(VALU_DEP_2) | instskip(NEXT) | instid1(VALU_DEP_2)
	v_dual_add_f32 v5, v5, v11 :: v_dual_add_f32 v7, v7, v10
	v_add_f32_e32 v6, v6, v1
	s_clause 0x1
	scratch_load_b64 v[10:11], off, off offset:860 th:TH_LOAD_LU
	scratch_load_b32 v1, off, off offset:856 th:TH_LOAD_LU
	s_wait_loadcnt 0x2
	v_dual_add_nc_u32 v8, 4, v8 :: v_dual_fmac_f32 v12, v9, v23
	s_delay_alu instid0(VALU_DEP_1) | instskip(NEXT) | instid1(VALU_DEP_2)
	v_cmp_le_i32_e32 vcc_lo, s24, v8
	v_add_f32_e32 v4, v4, v12
	s_or_b32 s12, vcc_lo, s12
	s_wait_loadcnt 0x1
	v_add_nc_u64_e32 v[10:11], 16, v[10:11]
	s_wait_loadcnt 0x0
	v_add_nc_u32_e32 v1, 0x200, v1
	s_clause 0x1
	scratch_store_b64 off, v[6:7], off offset:776
	scratch_store_b64 off, v[4:5], off offset:784
	s_wait_xcnt 0x0
	s_and_not1_b32 exec_lo, exec_lo, s12
	s_cbranch_execz .LBB53_164
.LBB53_36:                              ; =>This Inner Loop Header: Depth=1
	s_clause 0x6
	scratch_store_b64 off, v[18:19], off offset:848
	scratch_store_b64 off, v[16:17], off offset:840
	;; [unrolled: 1-line block ×7, first 2 shown]
	global_load_b32 v2, v[10:11], off
	v_dual_add_nc_u32 v127, 1, v0 :: v_dual_bitop2_b32 v126, 2, v0 bitop3:0x54
	s_wait_loadcnt 0x0
	v_ashrrev_i32_e32 v3, 31, v2
	s_delay_alu instid0(VALU_DEP_1) | instskip(NEXT) | instid1(VALU_DEP_1)
	v_mul_u64_e32 v[2:3], s[10:11], v[2:3]
	v_lshl_add_u64 v[22:23], v[2:3], 2, s[4:5]
	scratch_load_b64 v[2:3], off, off offset:872 ; 8-byte Folded Reload
	s_wait_loadcnt 0x0
	s_wait_xcnt 0x8
	v_add_nc_u64_e32 v[18:19], v[22:23], v[2:3]
	global_load_b128 v[2:5], v[18:19], off
	s_wait_loadcnt 0x0
	s_clause 0x1
	scratch_store_b128 off, v[2:5], off
	scratch_store_b32 off, v1, off offset:856
	s_wait_xcnt 0x1
	v_mov_b32_e32 v2, v8
	ds_load_b128 v[6:9], v1
	s_wait_xcnt 0x0
	v_or_b32_e32 v1, 3, v0
	v_cmp_eq_u32_e32 vcc_lo, s3, v2
	scratch_store_b32 off, v2, off offset:868 ; 4-byte Folded Spill
	s_wait_xcnt 0x0
	s_and_saveexec_b32 s1, vcc_lo
	s_cbranch_execz .LBB53_38
; %bb.37:                               ;   in Loop: Header=BB53_36 Depth=1
	scratch_load_b128 v[2:5], off, off th:TH_LOAD_LU ; 16-byte Folded Reload
	v_cmp_gt_i32_e64 s0, s13, v127
	s_wait_loadcnt 0x0
	s_delay_alu instid0(VALU_DEP_1) | instskip(SKIP_1) | instid1(VALU_DEP_1)
	v_cndmask_b32_e64 v3, 0, v3, s0
	v_cmp_gt_i32_e64 s0, s23, v0
	v_cndmask_b32_e64 v2, 0, v2, s0
	v_cmp_gt_i32_e64 s0, s13, v1
	s_delay_alu instid0(VALU_DEP_1) | instskip(SKIP_1) | instid1(VALU_DEP_1)
	v_cndmask_b32_e64 v5, 0, v5, s0
	v_cmp_gt_i32_e64 s0, s23, v126
	v_cndmask_b32_e64 v4, 0, v4, s0
	scratch_store_b128 off, v[2:5], off     ; 16-byte Folded Spill
.LBB53_38:                              ;   in Loop: Header=BB53_36 Depth=1
	s_wait_xcnt 0x0
	s_or_b32 exec_lo, exec_lo, s1
	global_load_b128 v[2:5], v[18:19], off offset:512
	s_wait_loadcnt 0x0
	scratch_store_b128 off, v[2:5], off offset:16 ; 16-byte Folded Spill
	s_wait_xcnt 0x0
	s_and_saveexec_b32 s1, vcc_lo
	s_cbranch_execz .LBB53_40
; %bb.39:                               ;   in Loop: Header=BB53_36 Depth=1
	scratch_load_b128 v[2:5], off, off offset:16 th:TH_LOAD_LU ; 16-byte Folded Reload
	v_cmp_gt_i32_e64 s0, s13, v127
	s_wait_loadcnt 0x0
	s_delay_alu instid0(VALU_DEP_1) | instskip(SKIP_1) | instid1(VALU_DEP_1)
	v_cndmask_b32_e64 v3, 0, v3, s0
	v_cmp_gt_i32_e64 s0, s23, v0
	v_cndmask_b32_e64 v2, 0, v2, s0
	v_cmp_gt_i32_e64 s0, s13, v1
	s_delay_alu instid0(VALU_DEP_1) | instskip(SKIP_1) | instid1(VALU_DEP_1)
	v_cndmask_b32_e64 v5, 0, v5, s0
	v_cmp_gt_i32_e64 s0, s23, v126
	v_cndmask_b32_e64 v4, 0, v4, s0
	scratch_store_b128 off, v[2:5], off offset:16 ; 16-byte Folded Spill
.LBB53_40:                              ;   in Loop: Header=BB53_36 Depth=1
	s_wait_xcnt 0x0
	s_or_b32 exec_lo, exec_lo, s1
	global_load_b128 v[2:5], v[18:19], off offset:1024
	s_wait_loadcnt 0x0
	scratch_store_b128 off, v[2:5], off offset:32 ; 16-byte Folded Spill
	s_wait_xcnt 0x0
	s_and_saveexec_b32 s1, vcc_lo
	s_cbranch_execz .LBB53_42
; %bb.41:                               ;   in Loop: Header=BB53_36 Depth=1
	scratch_load_b128 v[2:5], off, off offset:32 th:TH_LOAD_LU ; 16-byte Folded Reload
	v_cmp_gt_i32_e64 s0, s13, v127
	s_wait_loadcnt 0x0
	s_delay_alu instid0(VALU_DEP_1) | instskip(SKIP_1) | instid1(VALU_DEP_1)
	v_cndmask_b32_e64 v3, 0, v3, s0
	v_cmp_gt_i32_e64 s0, s23, v0
	v_cndmask_b32_e64 v2, 0, v2, s0
	v_cmp_gt_i32_e64 s0, s13, v1
	s_delay_alu instid0(VALU_DEP_1) | instskip(SKIP_1) | instid1(VALU_DEP_1)
	v_cndmask_b32_e64 v5, 0, v5, s0
	v_cmp_gt_i32_e64 s0, s23, v126
	v_cndmask_b32_e64 v4, 0, v4, s0
	scratch_store_b128 off, v[2:5], off offset:32 ; 16-byte Folded Spill
.LBB53_42:                              ;   in Loop: Header=BB53_36 Depth=1
	;; [unrolled: 23-line block ×8, first 2 shown]
	s_wait_xcnt 0x0
	s_or_b32 exec_lo, exec_lo, s1
	global_load_b128 v[2:5], v[18:19], off offset:4608
	s_wait_loadcnt 0x0
	scratch_store_b128 off, v[2:5], off offset:144 ; 16-byte Folded Spill
	s_wait_xcnt 0x0
	s_and_saveexec_b32 s14, vcc_lo
	s_cbranch_execz .LBB53_56
; %bb.55:                               ;   in Loop: Header=BB53_36 Depth=1
	scratch_load_b128 v[2:5], off, off offset:144 th:TH_LOAD_LU ; 16-byte Folded Reload
	v_cmp_gt_i32_e64 s0, s23, v0
	v_cmp_gt_i32_e64 s1, s13, v127
	s_wait_loadcnt 0x0
	s_delay_alu instid0(VALU_DEP_1) | instskip(SKIP_2) | instid1(VALU_DEP_1)
	v_dual_cndmask_b32 v3, 0, v3, s1 :: v_dual_cndmask_b32 v2, 0, v2, s0
	v_cmp_gt_i32_e64 s0, s23, v126
	v_cmp_gt_i32_e64 s1, s13, v1
	v_dual_cndmask_b32 v4, 0, v4, s0 :: v_dual_cndmask_b32 v5, 0, v5, s1
	scratch_store_b128 off, v[2:5], off offset:144 ; 16-byte Folded Spill
.LBB53_56:                              ;   in Loop: Header=BB53_36 Depth=1
	s_wait_xcnt 0x0
	s_or_b32 exec_lo, exec_lo, s14
	global_load_b128 v[2:5], v[18:19], off offset:5120
	s_wait_loadcnt 0x0
	scratch_store_b128 off, v[2:5], off offset:160 ; 16-byte Folded Spill
	s_wait_xcnt 0x0
	s_and_saveexec_b32 s14, vcc_lo
	s_cbranch_execz .LBB53_58
; %bb.57:                               ;   in Loop: Header=BB53_36 Depth=1
	scratch_load_b128 v[2:5], off, off offset:160 th:TH_LOAD_LU ; 16-byte Folded Reload
	v_cmp_gt_i32_e64 s0, s23, v0
	v_cmp_gt_i32_e64 s1, s13, v127
	s_wait_loadcnt 0x0
	s_delay_alu instid0(VALU_DEP_1) | instskip(SKIP_2) | instid1(VALU_DEP_1)
	v_dual_cndmask_b32 v3, 0, v3, s1 :: v_dual_cndmask_b32 v2, 0, v2, s0
	v_cmp_gt_i32_e64 s0, s23, v126
	v_cmp_gt_i32_e64 s1, s13, v1
	v_dual_cndmask_b32 v4, 0, v4, s0 :: v_dual_cndmask_b32 v5, 0, v5, s1
	scratch_store_b128 off, v[2:5], off offset:160 ; 16-byte Folded Spill
.LBB53_58:                              ;   in Loop: Header=BB53_36 Depth=1
	s_wait_xcnt 0x0
	s_or_b32 exec_lo, exec_lo, s14
	global_load_b128 v[2:5], v[18:19], off offset:5632
	s_wait_loadcnt 0x0
	scratch_store_b128 off, v[2:5], off offset:176 ; 16-byte Folded Spill
	s_wait_xcnt 0x0
	s_and_saveexec_b32 s14, vcc_lo
	s_cbranch_execz .LBB53_60
; %bb.59:                               ;   in Loop: Header=BB53_36 Depth=1
	scratch_load_b128 v[2:5], off, off offset:176 th:TH_LOAD_LU ; 16-byte Folded Reload
	v_cmp_gt_i32_e64 s0, s23, v0
	v_cmp_gt_i32_e64 s1, s13, v127
	s_wait_loadcnt 0x0
	s_delay_alu instid0(VALU_DEP_1) | instskip(SKIP_2) | instid1(VALU_DEP_1)
	v_dual_cndmask_b32 v3, 0, v3, s1 :: v_dual_cndmask_b32 v2, 0, v2, s0
	v_cmp_gt_i32_e64 s0, s23, v126
	v_cmp_gt_i32_e64 s1, s13, v1
	v_dual_cndmask_b32 v4, 0, v4, s0 :: v_dual_cndmask_b32 v5, 0, v5, s1
	scratch_store_b128 off, v[2:5], off offset:176 ; 16-byte Folded Spill
.LBB53_60:                              ;   in Loop: Header=BB53_36 Depth=1
	s_wait_xcnt 0x0
	s_or_b32 exec_lo, exec_lo, s14
	global_load_b128 v[2:5], v[18:19], off offset:6144
	s_wait_loadcnt 0x0
	scratch_store_b128 off, v[2:5], off offset:192 ; 16-byte Folded Spill
	s_wait_xcnt 0x0
	s_and_saveexec_b32 s14, vcc_lo
	s_cbranch_execz .LBB53_62
; %bb.61:                               ;   in Loop: Header=BB53_36 Depth=1
	scratch_load_b128 v[2:5], off, off offset:192 th:TH_LOAD_LU ; 16-byte Folded Reload
	v_cmp_gt_i32_e64 s0, s23, v0
	v_cmp_gt_i32_e64 s1, s13, v127
	s_wait_loadcnt 0x0
	s_delay_alu instid0(VALU_DEP_1) | instskip(SKIP_2) | instid1(VALU_DEP_1)
	v_dual_cndmask_b32 v3, 0, v3, s1 :: v_dual_cndmask_b32 v2, 0, v2, s0
	v_cmp_gt_i32_e64 s0, s23, v126
	v_cmp_gt_i32_e64 s1, s13, v1
	v_dual_cndmask_b32 v4, 0, v4, s0 :: v_dual_cndmask_b32 v5, 0, v5, s1
	scratch_store_b128 off, v[2:5], off offset:192 ; 16-byte Folded Spill
.LBB53_62:                              ;   in Loop: Header=BB53_36 Depth=1
	s_wait_xcnt 0x0
	s_or_b32 exec_lo, exec_lo, s14
	global_load_b128 v[2:5], v[18:19], off offset:6656
	s_wait_loadcnt 0x0
	scratch_store_b128 off, v[2:5], off offset:208 ; 16-byte Folded Spill
	s_wait_xcnt 0x0
	s_and_saveexec_b32 s14, vcc_lo
	s_cbranch_execz .LBB53_64
; %bb.63:                               ;   in Loop: Header=BB53_36 Depth=1
	scratch_load_b128 v[2:5], off, off offset:208 th:TH_LOAD_LU ; 16-byte Folded Reload
	v_cmp_gt_i32_e64 s0, s23, v0
	v_cmp_gt_i32_e64 s1, s13, v127
	s_wait_loadcnt 0x0
	s_delay_alu instid0(VALU_DEP_1) | instskip(SKIP_2) | instid1(VALU_DEP_1)
	v_dual_cndmask_b32 v3, 0, v3, s1 :: v_dual_cndmask_b32 v2, 0, v2, s0
	v_cmp_gt_i32_e64 s0, s23, v126
	v_cmp_gt_i32_e64 s1, s13, v1
	v_dual_cndmask_b32 v4, 0, v4, s0 :: v_dual_cndmask_b32 v5, 0, v5, s1
	scratch_store_b128 off, v[2:5], off offset:208 ; 16-byte Folded Spill
.LBB53_64:                              ;   in Loop: Header=BB53_36 Depth=1
	s_wait_xcnt 0x0
	s_or_b32 exec_lo, exec_lo, s14
	global_load_b128 v[2:5], v[18:19], off offset:7168
	s_wait_loadcnt 0x0
	scratch_store_b128 off, v[2:5], off offset:224 ; 16-byte Folded Spill
	s_wait_xcnt 0x0
	s_and_saveexec_b32 s14, vcc_lo
	s_cbranch_execz .LBB53_66
; %bb.65:                               ;   in Loop: Header=BB53_36 Depth=1
	scratch_load_b128 v[2:5], off, off offset:224 th:TH_LOAD_LU ; 16-byte Folded Reload
	v_cmp_gt_i32_e64 s0, s23, v0
	v_cmp_gt_i32_e64 s1, s13, v127
	s_wait_loadcnt 0x0
	s_delay_alu instid0(VALU_DEP_1) | instskip(SKIP_2) | instid1(VALU_DEP_1)
	v_dual_cndmask_b32 v3, 0, v3, s1 :: v_dual_cndmask_b32 v2, 0, v2, s0
	v_cmp_gt_i32_e64 s0, s23, v126
	v_cmp_gt_i32_e64 s1, s13, v1
	v_dual_cndmask_b32 v4, 0, v4, s0 :: v_dual_cndmask_b32 v5, 0, v5, s1
	scratch_store_b128 off, v[2:5], off offset:224 ; 16-byte Folded Spill
.LBB53_66:                              ;   in Loop: Header=BB53_36 Depth=1
	s_wait_xcnt 0x0
	s_or_b32 exec_lo, exec_lo, s14
	global_load_b128 v[2:5], v[18:19], off offset:7680
	s_wait_loadcnt 0x0
	scratch_store_b128 off, v[2:5], off offset:240 ; 16-byte Folded Spill
	s_wait_xcnt 0x0
	s_and_saveexec_b32 s14, vcc_lo
	s_cbranch_execz .LBB53_68
; %bb.67:                               ;   in Loop: Header=BB53_36 Depth=1
	scratch_load_b128 v[2:5], off, off offset:240 th:TH_LOAD_LU ; 16-byte Folded Reload
	v_cmp_gt_i32_e64 s0, s23, v0
	v_cmp_gt_i32_e64 s1, s13, v127
	s_wait_loadcnt 0x0
	s_delay_alu instid0(VALU_DEP_1) | instskip(SKIP_2) | instid1(VALU_DEP_1)
	v_dual_cndmask_b32 v3, 0, v3, s1 :: v_dual_cndmask_b32 v2, 0, v2, s0
	v_cmp_gt_i32_e64 s0, s23, v126
	v_cmp_gt_i32_e64 s1, s13, v1
	v_dual_cndmask_b32 v4, 0, v4, s0 :: v_dual_cndmask_b32 v5, 0, v5, s1
	scratch_store_b128 off, v[2:5], off offset:240 ; 16-byte Folded Spill
.LBB53_68:                              ;   in Loop: Header=BB53_36 Depth=1
	s_wait_xcnt 0x0
	s_or_b32 exec_lo, exec_lo, s14
	global_load_b128 v[2:5], v[18:19], off offset:8192
	s_wait_loadcnt 0x0
	scratch_store_b128 off, v[2:5], off offset:256 ; 16-byte Folded Spill
	s_wait_xcnt 0x0
	s_and_saveexec_b32 s14, vcc_lo
	s_cbranch_execz .LBB53_70
; %bb.69:                               ;   in Loop: Header=BB53_36 Depth=1
	scratch_load_b128 v[2:5], off, off offset:256 th:TH_LOAD_LU ; 16-byte Folded Reload
	v_cmp_gt_i32_e64 s0, s23, v0
	v_cmp_gt_i32_e64 s1, s13, v127
	s_wait_loadcnt 0x0
	s_delay_alu instid0(VALU_DEP_1) | instskip(SKIP_2) | instid1(VALU_DEP_1)
	v_dual_cndmask_b32 v3, 0, v3, s1 :: v_dual_cndmask_b32 v2, 0, v2, s0
	v_cmp_gt_i32_e64 s0, s23, v126
	v_cmp_gt_i32_e64 s1, s13, v1
	v_dual_cndmask_b32 v4, 0, v4, s0 :: v_dual_cndmask_b32 v5, 0, v5, s1
	scratch_store_b128 off, v[2:5], off offset:256 ; 16-byte Folded Spill
.LBB53_70:                              ;   in Loop: Header=BB53_36 Depth=1
	s_wait_xcnt 0x0
	s_or_b32 exec_lo, exec_lo, s14
	global_load_b128 v[2:5], v[18:19], off offset:8704
	s_wait_loadcnt 0x0
	scratch_store_b128 off, v[2:5], off offset:272 ; 16-byte Folded Spill
	s_wait_xcnt 0x0
	s_and_saveexec_b32 s14, vcc_lo
	s_cbranch_execz .LBB53_72
; %bb.71:                               ;   in Loop: Header=BB53_36 Depth=1
	scratch_load_b128 v[2:5], off, off offset:272 th:TH_LOAD_LU ; 16-byte Folded Reload
	v_cmp_gt_i32_e64 s0, s23, v0
	v_cmp_gt_i32_e64 s1, s13, v127
	s_wait_loadcnt 0x0
	s_delay_alu instid0(VALU_DEP_1) | instskip(SKIP_2) | instid1(VALU_DEP_1)
	v_dual_cndmask_b32 v3, 0, v3, s1 :: v_dual_cndmask_b32 v2, 0, v2, s0
	v_cmp_gt_i32_e64 s0, s23, v126
	v_cmp_gt_i32_e64 s1, s13, v1
	v_dual_cndmask_b32 v4, 0, v4, s0 :: v_dual_cndmask_b32 v5, 0, v5, s1
	scratch_store_b128 off, v[2:5], off offset:272 ; 16-byte Folded Spill
.LBB53_72:                              ;   in Loop: Header=BB53_36 Depth=1
	s_wait_xcnt 0x0
	s_or_b32 exec_lo, exec_lo, s14
	global_load_b128 v[2:5], v[18:19], off offset:9216
	s_wait_loadcnt 0x0
	scratch_store_b128 off, v[2:5], off offset:288 ; 16-byte Folded Spill
	s_wait_xcnt 0x0
	s_and_saveexec_b32 s14, vcc_lo
	s_cbranch_execz .LBB53_74
; %bb.73:                               ;   in Loop: Header=BB53_36 Depth=1
	scratch_load_b128 v[2:5], off, off offset:288 th:TH_LOAD_LU ; 16-byte Folded Reload
	v_cmp_gt_i32_e64 s0, s23, v0
	v_cmp_gt_i32_e64 s1, s13, v127
	s_wait_loadcnt 0x0
	s_delay_alu instid0(VALU_DEP_1) | instskip(SKIP_2) | instid1(VALU_DEP_1)
	v_dual_cndmask_b32 v3, 0, v3, s1 :: v_dual_cndmask_b32 v2, 0, v2, s0
	v_cmp_gt_i32_e64 s0, s23, v126
	v_cmp_gt_i32_e64 s1, s13, v1
	v_dual_cndmask_b32 v4, 0, v4, s0 :: v_dual_cndmask_b32 v5, 0, v5, s1
	scratch_store_b128 off, v[2:5], off offset:288 ; 16-byte Folded Spill
.LBB53_74:                              ;   in Loop: Header=BB53_36 Depth=1
	s_wait_xcnt 0x0
	s_or_b32 exec_lo, exec_lo, s14
	global_load_b128 v[2:5], v[18:19], off offset:9728
	s_wait_loadcnt 0x0
	scratch_store_b128 off, v[2:5], off offset:304 ; 16-byte Folded Spill
	s_wait_xcnt 0x0
	s_and_saveexec_b32 s14, vcc_lo
	s_cbranch_execz .LBB53_76
; %bb.75:                               ;   in Loop: Header=BB53_36 Depth=1
	scratch_load_b128 v[2:5], off, off offset:304 th:TH_LOAD_LU ; 16-byte Folded Reload
	v_cmp_gt_i32_e64 s0, s23, v0
	v_cmp_gt_i32_e64 s1, s13, v127
	s_wait_loadcnt 0x0
	s_delay_alu instid0(VALU_DEP_1) | instskip(SKIP_2) | instid1(VALU_DEP_1)
	v_dual_cndmask_b32 v3, 0, v3, s1 :: v_dual_cndmask_b32 v2, 0, v2, s0
	v_cmp_gt_i32_e64 s0, s23, v126
	v_cmp_gt_i32_e64 s1, s13, v1
	v_dual_cndmask_b32 v4, 0, v4, s0 :: v_dual_cndmask_b32 v5, 0, v5, s1
	scratch_store_b128 off, v[2:5], off offset:304 ; 16-byte Folded Spill
.LBB53_76:                              ;   in Loop: Header=BB53_36 Depth=1
	s_wait_xcnt 0x0
	s_or_b32 exec_lo, exec_lo, s14
	global_load_b128 v[2:5], v[18:19], off offset:10240
	s_wait_loadcnt 0x0
	scratch_store_b128 off, v[2:5], off offset:320 ; 16-byte Folded Spill
	s_wait_xcnt 0x0
	s_and_saveexec_b32 s14, vcc_lo
	s_cbranch_execz .LBB53_78
; %bb.77:                               ;   in Loop: Header=BB53_36 Depth=1
	scratch_load_b128 v[2:5], off, off offset:320 th:TH_LOAD_LU ; 16-byte Folded Reload
	v_cmp_gt_i32_e64 s0, s23, v0
	v_cmp_gt_i32_e64 s1, s13, v127
	s_wait_loadcnt 0x0
	s_delay_alu instid0(VALU_DEP_1) | instskip(SKIP_2) | instid1(VALU_DEP_1)
	v_dual_cndmask_b32 v3, 0, v3, s1 :: v_dual_cndmask_b32 v2, 0, v2, s0
	v_cmp_gt_i32_e64 s0, s23, v126
	v_cmp_gt_i32_e64 s1, s13, v1
	v_dual_cndmask_b32 v4, 0, v4, s0 :: v_dual_cndmask_b32 v5, 0, v5, s1
	scratch_store_b128 off, v[2:5], off offset:320 ; 16-byte Folded Spill
.LBB53_78:                              ;   in Loop: Header=BB53_36 Depth=1
	s_wait_xcnt 0x0
	s_or_b32 exec_lo, exec_lo, s14
	global_load_b128 v[2:5], v[18:19], off offset:10752
	s_wait_loadcnt 0x0
	scratch_store_b128 off, v[2:5], off offset:336 ; 16-byte Folded Spill
	s_wait_xcnt 0x0
	s_and_saveexec_b32 s14, vcc_lo
	s_cbranch_execz .LBB53_80
; %bb.79:                               ;   in Loop: Header=BB53_36 Depth=1
	scratch_load_b128 v[2:5], off, off offset:336 th:TH_LOAD_LU ; 16-byte Folded Reload
	v_cmp_gt_i32_e64 s0, s23, v0
	v_cmp_gt_i32_e64 s1, s13, v127
	s_wait_loadcnt 0x0
	s_delay_alu instid0(VALU_DEP_1) | instskip(SKIP_2) | instid1(VALU_DEP_1)
	v_dual_cndmask_b32 v3, 0, v3, s1 :: v_dual_cndmask_b32 v2, 0, v2, s0
	v_cmp_gt_i32_e64 s0, s23, v126
	v_cmp_gt_i32_e64 s1, s13, v1
	v_dual_cndmask_b32 v4, 0, v4, s0 :: v_dual_cndmask_b32 v5, 0, v5, s1
	scratch_store_b128 off, v[2:5], off offset:336 ; 16-byte Folded Spill
.LBB53_80:                              ;   in Loop: Header=BB53_36 Depth=1
	s_wait_xcnt 0x0
	s_or_b32 exec_lo, exec_lo, s14
	global_load_b128 v[2:5], v[18:19], off offset:11264
	s_wait_loadcnt 0x0
	scratch_store_b128 off, v[2:5], off offset:352 ; 16-byte Folded Spill
	s_wait_xcnt 0x0
	s_and_saveexec_b32 s14, vcc_lo
	s_cbranch_execz .LBB53_82
; %bb.81:                               ;   in Loop: Header=BB53_36 Depth=1
	scratch_load_b128 v[2:5], off, off offset:352 th:TH_LOAD_LU ; 16-byte Folded Reload
	v_cmp_gt_i32_e64 s0, s23, v0
	v_cmp_gt_i32_e64 s1, s13, v127
	s_wait_loadcnt 0x0
	s_delay_alu instid0(VALU_DEP_1) | instskip(SKIP_2) | instid1(VALU_DEP_1)
	v_dual_cndmask_b32 v3, 0, v3, s1 :: v_dual_cndmask_b32 v2, 0, v2, s0
	v_cmp_gt_i32_e64 s0, s23, v126
	v_cmp_gt_i32_e64 s1, s13, v1
	v_dual_cndmask_b32 v4, 0, v4, s0 :: v_dual_cndmask_b32 v5, 0, v5, s1
	scratch_store_b128 off, v[2:5], off offset:352 ; 16-byte Folded Spill
.LBB53_82:                              ;   in Loop: Header=BB53_36 Depth=1
	s_wait_xcnt 0x0
	s_or_b32 exec_lo, exec_lo, s14
	global_load_b128 v[2:5], v[18:19], off offset:11776
	s_wait_loadcnt 0x0
	scratch_store_b128 off, v[2:5], off offset:368 ; 16-byte Folded Spill
	s_wait_xcnt 0x0
	s_and_saveexec_b32 s14, vcc_lo
	s_cbranch_execz .LBB53_84
; %bb.83:                               ;   in Loop: Header=BB53_36 Depth=1
	scratch_load_b128 v[2:5], off, off offset:368 th:TH_LOAD_LU ; 16-byte Folded Reload
	v_cmp_gt_i32_e64 s0, s23, v0
	v_cmp_gt_i32_e64 s1, s13, v127
	s_wait_loadcnt 0x0
	s_delay_alu instid0(VALU_DEP_1) | instskip(SKIP_2) | instid1(VALU_DEP_1)
	v_dual_cndmask_b32 v3, 0, v3, s1 :: v_dual_cndmask_b32 v2, 0, v2, s0
	v_cmp_gt_i32_e64 s0, s23, v126
	v_cmp_gt_i32_e64 s1, s13, v1
	v_dual_cndmask_b32 v4, 0, v4, s0 :: v_dual_cndmask_b32 v5, 0, v5, s1
	scratch_store_b128 off, v[2:5], off offset:368 ; 16-byte Folded Spill
.LBB53_84:                              ;   in Loop: Header=BB53_36 Depth=1
	s_wait_xcnt 0x0
	s_or_b32 exec_lo, exec_lo, s14
	global_load_b128 v[2:5], v[18:19], off offset:12288
	s_wait_loadcnt 0x0
	scratch_store_b128 off, v[2:5], off offset:384 ; 16-byte Folded Spill
	s_wait_xcnt 0x0
	s_and_saveexec_b32 s14, vcc_lo
	s_cbranch_execz .LBB53_86
; %bb.85:                               ;   in Loop: Header=BB53_36 Depth=1
	scratch_load_b128 v[2:5], off, off offset:384 th:TH_LOAD_LU ; 16-byte Folded Reload
	v_cmp_gt_i32_e64 s0, s23, v0
	v_cmp_gt_i32_e64 s1, s13, v127
	s_wait_loadcnt 0x0
	s_delay_alu instid0(VALU_DEP_1) | instskip(SKIP_2) | instid1(VALU_DEP_1)
	v_dual_cndmask_b32 v3, 0, v3, s1 :: v_dual_cndmask_b32 v2, 0, v2, s0
	v_cmp_gt_i32_e64 s0, s23, v126
	v_cmp_gt_i32_e64 s1, s13, v1
	v_dual_cndmask_b32 v4, 0, v4, s0 :: v_dual_cndmask_b32 v5, 0, v5, s1
	scratch_store_b128 off, v[2:5], off offset:384 ; 16-byte Folded Spill
.LBB53_86:                              ;   in Loop: Header=BB53_36 Depth=1
	s_wait_xcnt 0x0
	s_or_b32 exec_lo, exec_lo, s14
	global_load_b128 v[2:5], v[18:19], off offset:12800
	s_wait_loadcnt 0x0
	scratch_store_b128 off, v[2:5], off offset:400 ; 16-byte Folded Spill
	s_wait_xcnt 0x0
	s_and_saveexec_b32 s14, vcc_lo
	s_cbranch_execz .LBB53_88
; %bb.87:                               ;   in Loop: Header=BB53_36 Depth=1
	scratch_load_b128 v[2:5], off, off offset:400 th:TH_LOAD_LU ; 16-byte Folded Reload
	v_cmp_gt_i32_e64 s0, s23, v0
	v_cmp_gt_i32_e64 s1, s13, v127
	s_wait_loadcnt 0x0
	s_delay_alu instid0(VALU_DEP_1) | instskip(SKIP_2) | instid1(VALU_DEP_1)
	v_dual_cndmask_b32 v3, 0, v3, s1 :: v_dual_cndmask_b32 v2, 0, v2, s0
	v_cmp_gt_i32_e64 s0, s23, v126
	v_cmp_gt_i32_e64 s1, s13, v1
	v_dual_cndmask_b32 v4, 0, v4, s0 :: v_dual_cndmask_b32 v5, 0, v5, s1
	scratch_store_b128 off, v[2:5], off offset:400 ; 16-byte Folded Spill
.LBB53_88:                              ;   in Loop: Header=BB53_36 Depth=1
	s_wait_xcnt 0x0
	s_or_b32 exec_lo, exec_lo, s14
	global_load_b128 v[2:5], v[18:19], off offset:13312
	s_wait_loadcnt 0x0
	scratch_store_b128 off, v[2:5], off offset:416 ; 16-byte Folded Spill
	s_wait_xcnt 0x0
	s_and_saveexec_b32 s14, vcc_lo
	s_cbranch_execz .LBB53_90
; %bb.89:                               ;   in Loop: Header=BB53_36 Depth=1
	scratch_load_b128 v[2:5], off, off offset:416 th:TH_LOAD_LU ; 16-byte Folded Reload
	v_cmp_gt_i32_e64 s0, s23, v0
	v_cmp_gt_i32_e64 s1, s13, v127
	s_wait_loadcnt 0x0
	s_delay_alu instid0(VALU_DEP_1) | instskip(SKIP_2) | instid1(VALU_DEP_1)
	v_dual_cndmask_b32 v3, 0, v3, s1 :: v_dual_cndmask_b32 v2, 0, v2, s0
	v_cmp_gt_i32_e64 s0, s23, v126
	v_cmp_gt_i32_e64 s1, s13, v1
	v_dual_cndmask_b32 v4, 0, v4, s0 :: v_dual_cndmask_b32 v5, 0, v5, s1
	scratch_store_b128 off, v[2:5], off offset:416 ; 16-byte Folded Spill
.LBB53_90:                              ;   in Loop: Header=BB53_36 Depth=1
	s_wait_xcnt 0x0
	s_or_b32 exec_lo, exec_lo, s14
	global_load_b128 v[2:5], v[18:19], off offset:13824
	s_wait_loadcnt 0x0
	scratch_store_b128 off, v[2:5], off offset:432 ; 16-byte Folded Spill
	s_wait_xcnt 0x0
	s_and_saveexec_b32 s14, vcc_lo
	s_cbranch_execz .LBB53_92
; %bb.91:                               ;   in Loop: Header=BB53_36 Depth=1
	scratch_load_b128 v[2:5], off, off offset:432 th:TH_LOAD_LU ; 16-byte Folded Reload
	v_cmp_gt_i32_e64 s0, s23, v0
	v_cmp_gt_i32_e64 s1, s13, v127
	s_wait_loadcnt 0x0
	s_delay_alu instid0(VALU_DEP_1) | instskip(SKIP_2) | instid1(VALU_DEP_1)
	v_dual_cndmask_b32 v3, 0, v3, s1 :: v_dual_cndmask_b32 v2, 0, v2, s0
	v_cmp_gt_i32_e64 s0, s23, v126
	v_cmp_gt_i32_e64 s1, s13, v1
	v_dual_cndmask_b32 v4, 0, v4, s0 :: v_dual_cndmask_b32 v5, 0, v5, s1
	scratch_store_b128 off, v[2:5], off offset:432 ; 16-byte Folded Spill
.LBB53_92:                              ;   in Loop: Header=BB53_36 Depth=1
	s_wait_xcnt 0x0
	s_or_b32 exec_lo, exec_lo, s14
	global_load_b128 v[2:5], v[18:19], off offset:14336
	s_wait_loadcnt 0x0
	scratch_store_b128 off, v[2:5], off offset:448 ; 16-byte Folded Spill
	s_wait_xcnt 0x0
	s_and_saveexec_b32 s14, vcc_lo
	s_cbranch_execz .LBB53_94
; %bb.93:                               ;   in Loop: Header=BB53_36 Depth=1
	scratch_load_b128 v[2:5], off, off offset:448 th:TH_LOAD_LU ; 16-byte Folded Reload
	v_cmp_gt_i32_e64 s0, s23, v0
	v_cmp_gt_i32_e64 s1, s13, v127
	s_wait_loadcnt 0x0
	s_delay_alu instid0(VALU_DEP_1) | instskip(SKIP_2) | instid1(VALU_DEP_1)
	v_dual_cndmask_b32 v3, 0, v3, s1 :: v_dual_cndmask_b32 v2, 0, v2, s0
	v_cmp_gt_i32_e64 s0, s23, v126
	v_cmp_gt_i32_e64 s1, s13, v1
	v_dual_cndmask_b32 v4, 0, v4, s0 :: v_dual_cndmask_b32 v5, 0, v5, s1
	scratch_store_b128 off, v[2:5], off offset:448 ; 16-byte Folded Spill
.LBB53_94:                              ;   in Loop: Header=BB53_36 Depth=1
	s_wait_xcnt 0x0
	s_or_b32 exec_lo, exec_lo, s14
	global_load_b128 v[2:5], v[18:19], off offset:14848
	s_wait_loadcnt 0x0
	scratch_store_b128 off, v[2:5], off offset:464 ; 16-byte Folded Spill
	s_wait_xcnt 0x0
	s_and_saveexec_b32 s14, vcc_lo
	s_cbranch_execz .LBB53_96
; %bb.95:                               ;   in Loop: Header=BB53_36 Depth=1
	scratch_load_b128 v[2:5], off, off offset:464 th:TH_LOAD_LU ; 16-byte Folded Reload
	v_cmp_gt_i32_e64 s0, s23, v0
	v_cmp_gt_i32_e64 s1, s13, v127
	s_wait_loadcnt 0x0
	s_delay_alu instid0(VALU_DEP_1) | instskip(SKIP_2) | instid1(VALU_DEP_1)
	v_dual_cndmask_b32 v3, 0, v3, s1 :: v_dual_cndmask_b32 v2, 0, v2, s0
	v_cmp_gt_i32_e64 s0, s23, v126
	v_cmp_gt_i32_e64 s1, s13, v1
	v_dual_cndmask_b32 v4, 0, v4, s0 :: v_dual_cndmask_b32 v5, 0, v5, s1
	scratch_store_b128 off, v[2:5], off offset:464 ; 16-byte Folded Spill
.LBB53_96:                              ;   in Loop: Header=BB53_36 Depth=1
	s_wait_xcnt 0x0
	s_or_b32 exec_lo, exec_lo, s14
	global_load_b128 v[2:5], v[18:19], off offset:15360
	s_wait_loadcnt 0x0
	scratch_store_b128 off, v[2:5], off offset:480 ; 16-byte Folded Spill
	s_wait_xcnt 0x0
	s_and_saveexec_b32 s14, vcc_lo
	s_cbranch_execz .LBB53_98
; %bb.97:                               ;   in Loop: Header=BB53_36 Depth=1
	scratch_load_b128 v[2:5], off, off offset:480 th:TH_LOAD_LU ; 16-byte Folded Reload
	v_cmp_gt_i32_e64 s0, s23, v0
	v_cmp_gt_i32_e64 s1, s13, v127
	s_wait_loadcnt 0x0
	s_delay_alu instid0(VALU_DEP_1) | instskip(SKIP_2) | instid1(VALU_DEP_1)
	v_dual_cndmask_b32 v3, 0, v3, s1 :: v_dual_cndmask_b32 v2, 0, v2, s0
	v_cmp_gt_i32_e64 s0, s23, v126
	v_cmp_gt_i32_e64 s1, s13, v1
	v_dual_cndmask_b32 v4, 0, v4, s0 :: v_dual_cndmask_b32 v5, 0, v5, s1
	scratch_store_b128 off, v[2:5], off offset:480 ; 16-byte Folded Spill
.LBB53_98:                              ;   in Loop: Header=BB53_36 Depth=1
	s_wait_xcnt 0x0
	s_or_b32 exec_lo, exec_lo, s14
	scratch_load_b64 v[2:3], off, off offset:792 ; 8-byte Folded Reload
	s_wait_loadcnt 0x0
	v_add_nc_u64_e32 v[2:3], v[22:23], v[2:3]
	global_load_b128 v[2:5], v[2:3], off
	s_wait_loadcnt 0x0
	scratch_store_b128 off, v[2:5], off offset:496 ; 16-byte Folded Spill
	s_wait_xcnt 0x0
	s_and_saveexec_b32 s14, vcc_lo
	s_cbranch_execz .LBB53_100
; %bb.99:                               ;   in Loop: Header=BB53_36 Depth=1
	scratch_load_b128 v[2:5], off, off offset:496 th:TH_LOAD_LU ; 16-byte Folded Reload
	v_cmp_gt_i32_e64 s0, s23, v0
	v_cmp_gt_i32_e64 s1, s13, v127
	s_wait_loadcnt 0x0
	s_delay_alu instid0(VALU_DEP_1) | instskip(SKIP_2) | instid1(VALU_DEP_1)
	v_dual_cndmask_b32 v3, 0, v3, s1 :: v_dual_cndmask_b32 v2, 0, v2, s0
	v_cmp_gt_i32_e64 s0, s23, v126
	v_cmp_gt_i32_e64 s1, s13, v1
	v_dual_cndmask_b32 v4, 0, v4, s0 :: v_dual_cndmask_b32 v5, 0, v5, s1
	scratch_store_b128 off, v[2:5], off offset:496 ; 16-byte Folded Spill
.LBB53_100:                             ;   in Loop: Header=BB53_36 Depth=1
	s_wait_xcnt 0x0
	s_or_b32 exec_lo, exec_lo, s14
	global_load_b128 v[2:5], v[18:19], off offset:16384
	s_wait_loadcnt 0x0
	scratch_store_b128 off, v[2:5], off offset:512 ; 16-byte Folded Spill
	s_wait_xcnt 0x0
	s_and_saveexec_b32 s14, vcc_lo
	s_cbranch_execz .LBB53_102
; %bb.101:                              ;   in Loop: Header=BB53_36 Depth=1
	scratch_load_b128 v[2:5], off, off offset:512 th:TH_LOAD_LU ; 16-byte Folded Reload
	v_cmp_gt_i32_e64 s0, s23, v0
	v_cmp_gt_i32_e64 s1, s13, v127
	s_wait_loadcnt 0x0
	s_delay_alu instid0(VALU_DEP_1) | instskip(SKIP_2) | instid1(VALU_DEP_1)
	v_dual_cndmask_b32 v3, 0, v3, s1 :: v_dual_cndmask_b32 v2, 0, v2, s0
	v_cmp_gt_i32_e64 s0, s23, v126
	v_cmp_gt_i32_e64 s1, s13, v1
	v_dual_cndmask_b32 v4, 0, v4, s0 :: v_dual_cndmask_b32 v5, 0, v5, s1
	scratch_store_b128 off, v[2:5], off offset:512 ; 16-byte Folded Spill
.LBB53_102:                             ;   in Loop: Header=BB53_36 Depth=1
	s_wait_xcnt 0x0
	s_or_b32 exec_lo, exec_lo, s14
	global_load_b128 v[2:5], v[18:19], off offset:16896
	s_wait_loadcnt 0x0
	scratch_store_b128 off, v[2:5], off offset:528 ; 16-byte Folded Spill
	s_wait_xcnt 0x0
	s_and_saveexec_b32 s14, vcc_lo
	s_cbranch_execz .LBB53_104
; %bb.103:                              ;   in Loop: Header=BB53_36 Depth=1
	scratch_load_b128 v[2:5], off, off offset:528 th:TH_LOAD_LU ; 16-byte Folded Reload
	v_cmp_gt_i32_e64 s0, s23, v0
	v_cmp_gt_i32_e64 s1, s13, v127
	s_wait_loadcnt 0x0
	s_delay_alu instid0(VALU_DEP_1) | instskip(SKIP_2) | instid1(VALU_DEP_1)
	v_dual_cndmask_b32 v3, 0, v3, s1 :: v_dual_cndmask_b32 v2, 0, v2, s0
	v_cmp_gt_i32_e64 s0, s23, v126
	v_cmp_gt_i32_e64 s1, s13, v1
	v_dual_cndmask_b32 v4, 0, v4, s0 :: v_dual_cndmask_b32 v5, 0, v5, s1
	scratch_store_b128 off, v[2:5], off offset:528 ; 16-byte Folded Spill
.LBB53_104:                             ;   in Loop: Header=BB53_36 Depth=1
	s_wait_xcnt 0x0
	s_or_b32 exec_lo, exec_lo, s14
	global_load_b128 v[2:5], v[18:19], off offset:17408
	s_wait_loadcnt 0x0
	scratch_store_b128 off, v[2:5], off offset:544 ; 16-byte Folded Spill
	s_wait_xcnt 0x0
	s_and_saveexec_b32 s14, vcc_lo
	s_cbranch_execnz .LBB53_136
; %bb.105:                              ;   in Loop: Header=BB53_36 Depth=1
	s_or_b32 exec_lo, exec_lo, s14
	global_load_b128 v[26:29], v[18:19], off offset:17920
	s_wait_xcnt 0x0
	s_and_saveexec_b32 s14, vcc_lo
	s_cbranch_execnz .LBB53_137
.LBB53_106:                             ;   in Loop: Header=BB53_36 Depth=1
	s_or_b32 exec_lo, exec_lo, s14
	global_load_b128 v[30:33], v[18:19], off offset:18432
	s_wait_xcnt 0x0
	s_and_saveexec_b32 s14, vcc_lo
	s_cbranch_execnz .LBB53_138
.LBB53_107:                             ;   in Loop: Header=BB53_36 Depth=1
	s_or_b32 exec_lo, exec_lo, s14
	global_load_b128 v[34:37], v[18:19], off offset:18944
	s_wait_xcnt 0x0
	s_and_saveexec_b32 s14, vcc_lo
	s_cbranch_execnz .LBB53_139
.LBB53_108:                             ;   in Loop: Header=BB53_36 Depth=1
	s_or_b32 exec_lo, exec_lo, s14
	global_load_b128 v[38:41], v[18:19], off offset:19456
	s_wait_xcnt 0x0
	s_and_saveexec_b32 s14, vcc_lo
	s_cbranch_execnz .LBB53_140
.LBB53_109:                             ;   in Loop: Header=BB53_36 Depth=1
	s_or_b32 exec_lo, exec_lo, s14
	global_load_b128 v[42:45], v[18:19], off offset:19968
	s_wait_xcnt 0x0
	s_and_saveexec_b32 s14, vcc_lo
	s_cbranch_execnz .LBB53_141
.LBB53_110:                             ;   in Loop: Header=BB53_36 Depth=1
	s_or_b32 exec_lo, exec_lo, s14
	global_load_b128 v[46:49], v[18:19], off offset:20480
	s_wait_xcnt 0x0
	s_and_saveexec_b32 s14, vcc_lo
	s_cbranch_execnz .LBB53_142
.LBB53_111:                             ;   in Loop: Header=BB53_36 Depth=1
	s_or_b32 exec_lo, exec_lo, s14
	global_load_b128 v[50:53], v[18:19], off offset:20992
	s_wait_xcnt 0x0
	s_and_saveexec_b32 s14, vcc_lo
	s_cbranch_execnz .LBB53_143
.LBB53_112:                             ;   in Loop: Header=BB53_36 Depth=1
	s_or_b32 exec_lo, exec_lo, s14
	global_load_b128 v[54:57], v[18:19], off offset:21504
	s_wait_xcnt 0x0
	s_and_saveexec_b32 s14, vcc_lo
	s_cbranch_execnz .LBB53_144
.LBB53_113:                             ;   in Loop: Header=BB53_36 Depth=1
	s_or_b32 exec_lo, exec_lo, s14
	global_load_b128 v[58:61], v[18:19], off offset:22016
	s_wait_xcnt 0x0
	s_and_saveexec_b32 s14, vcc_lo
	s_cbranch_execnz .LBB53_145
.LBB53_114:                             ;   in Loop: Header=BB53_36 Depth=1
	s_or_b32 exec_lo, exec_lo, s14
	global_load_b128 v[62:65], v[18:19], off offset:22528
	s_wait_xcnt 0x0
	s_and_saveexec_b32 s14, vcc_lo
	s_cbranch_execnz .LBB53_146
.LBB53_115:                             ;   in Loop: Header=BB53_36 Depth=1
	s_or_b32 exec_lo, exec_lo, s14
	global_load_b128 v[66:69], v[18:19], off offset:23040
	s_wait_xcnt 0x0
	s_and_saveexec_b32 s14, vcc_lo
	s_cbranch_execnz .LBB53_147
.LBB53_116:                             ;   in Loop: Header=BB53_36 Depth=1
	s_or_b32 exec_lo, exec_lo, s14
	global_load_b128 v[70:73], v[18:19], off offset:23552
	s_wait_xcnt 0x0
	s_and_saveexec_b32 s14, vcc_lo
	s_cbranch_execnz .LBB53_148
.LBB53_117:                             ;   in Loop: Header=BB53_36 Depth=1
	s_or_b32 exec_lo, exec_lo, s14
	global_load_b128 v[74:77], v[18:19], off offset:24064
	s_wait_xcnt 0x0
	s_and_saveexec_b32 s14, vcc_lo
	s_cbranch_execnz .LBB53_149
.LBB53_118:                             ;   in Loop: Header=BB53_36 Depth=1
	s_or_b32 exec_lo, exec_lo, s14
	global_load_b128 v[78:81], v[18:19], off offset:24576
	s_wait_xcnt 0x0
	s_and_saveexec_b32 s14, vcc_lo
	s_cbranch_execnz .LBB53_150
.LBB53_119:                             ;   in Loop: Header=BB53_36 Depth=1
	s_or_b32 exec_lo, exec_lo, s14
	global_load_b128 v[82:85], v[18:19], off offset:25088
	s_wait_xcnt 0x0
	s_and_saveexec_b32 s14, vcc_lo
	s_cbranch_execnz .LBB53_151
.LBB53_120:                             ;   in Loop: Header=BB53_36 Depth=1
	s_or_b32 exec_lo, exec_lo, s14
	global_load_b128 v[86:89], v[18:19], off offset:25600
	s_wait_xcnt 0x0
	s_and_saveexec_b32 s14, vcc_lo
	s_cbranch_execnz .LBB53_152
.LBB53_121:                             ;   in Loop: Header=BB53_36 Depth=1
	s_or_b32 exec_lo, exec_lo, s14
	global_load_b128 v[94:97], v[18:19], off offset:26112
	s_wait_xcnt 0x0
	s_and_saveexec_b32 s14, vcc_lo
	s_cbranch_execnz .LBB53_153
.LBB53_122:                             ;   in Loop: Header=BB53_36 Depth=1
	s_or_b32 exec_lo, exec_lo, s14
	global_load_b128 v[98:101], v[18:19], off offset:26624
	s_wait_xcnt 0x0
	s_and_saveexec_b32 s14, vcc_lo
	s_cbranch_execnz .LBB53_154
.LBB53_123:                             ;   in Loop: Header=BB53_36 Depth=1
	s_or_b32 exec_lo, exec_lo, s14
	global_load_b128 v[102:105], v[18:19], off offset:27136
	s_wait_xcnt 0x0
	s_and_saveexec_b32 s14, vcc_lo
	s_cbranch_execnz .LBB53_155
.LBB53_124:                             ;   in Loop: Header=BB53_36 Depth=1
	s_or_b32 exec_lo, exec_lo, s14
	global_load_b128 v[106:109], v[18:19], off offset:27648
	s_wait_xcnt 0x0
	s_and_saveexec_b32 s14, vcc_lo
	s_cbranch_execnz .LBB53_156
.LBB53_125:                             ;   in Loop: Header=BB53_36 Depth=1
	s_or_b32 exec_lo, exec_lo, s14
	global_load_b128 v[110:113], v[18:19], off offset:28160
	s_wait_xcnt 0x0
	s_and_saveexec_b32 s14, vcc_lo
	s_cbranch_execnz .LBB53_157
.LBB53_126:                             ;   in Loop: Header=BB53_36 Depth=1
	s_or_b32 exec_lo, exec_lo, s14
	global_load_b128 v[114:117], v[18:19], off offset:28672
	s_wait_xcnt 0x0
	s_and_saveexec_b32 s14, vcc_lo
	s_cbranch_execnz .LBB53_158
.LBB53_127:                             ;   in Loop: Header=BB53_36 Depth=1
	s_or_b32 exec_lo, exec_lo, s14
	global_load_b128 v[118:121], v[18:19], off offset:29184
	s_wait_xcnt 0x0
	s_and_saveexec_b32 s14, vcc_lo
	s_cbranch_execnz .LBB53_159
.LBB53_128:                             ;   in Loop: Header=BB53_36 Depth=1
	s_or_b32 exec_lo, exec_lo, s14
	global_load_b128 v[122:125], v[18:19], off offset:29696
	s_wait_xcnt 0x0
	s_and_saveexec_b32 s14, vcc_lo
	s_cbranch_execnz .LBB53_160
.LBB53_129:                             ;   in Loop: Header=BB53_36 Depth=1
	s_or_b32 exec_lo, exec_lo, s14
	global_load_b128 v[2:5], v[18:19], off offset:30208
	s_wait_xcnt 0x0
	s_and_saveexec_b32 s14, vcc_lo
	s_cbranch_execnz .LBB53_161
.LBB53_130:                             ;   in Loop: Header=BB53_36 Depth=1
	s_or_b32 exec_lo, exec_lo, s14
	global_load_b128 v[10:13], v[18:19], off offset:30720
	s_wait_xcnt 0x0
	s_and_saveexec_b32 s14, vcc_lo
	s_cbranch_execnz .LBB53_162
.LBB53_131:                             ;   in Loop: Header=BB53_36 Depth=1
	s_or_b32 exec_lo, exec_lo, s14
	global_load_b128 v[14:17], v[18:19], off offset:31232
	s_wait_xcnt 0x0
	s_and_saveexec_b32 s14, vcc_lo
	s_cbranch_execnz .LBB53_163
.LBB53_132:                             ;   in Loop: Header=BB53_36 Depth=1
	s_or_b32 exec_lo, exec_lo, s14
	global_load_b128 v[18:21], v[18:19], off offset:31744
	s_wait_xcnt 0x0
	s_and_saveexec_b32 s14, vcc_lo
	s_cbranch_execz .LBB53_134
.LBB53_133:                             ;   in Loop: Header=BB53_36 Depth=1
	v_cmp_gt_i32_e64 s0, s23, v0
	v_cmp_gt_i32_e64 s1, s13, v127
	s_wait_loadcnt 0x0
	s_delay_alu instid0(VALU_DEP_1) | instskip(SKIP_2) | instid1(VALU_DEP_1)
	v_dual_cndmask_b32 v18, 0, v18, s0 :: v_dual_cndmask_b32 v19, 0, v19, s1
	v_cmp_gt_i32_e64 s0, s23, v126
	v_cmp_gt_i32_e64 s1, s13, v1
	v_dual_cndmask_b32 v20, 0, v20, s0 :: v_dual_cndmask_b32 v21, 0, v21, s1
.LBB53_134:                             ;   in Loop: Header=BB53_36 Depth=1
	s_or_b32 exec_lo, exec_lo, s14
	s_clause 0x1
	scratch_load_b64 v[92:93], off, off offset:792
	scratch_load_b64 v[90:91], off, off offset:800 th:TH_LOAD_LU
	s_wait_loadcnt 0x0
	v_mov_b32_e32 v92, v90
	scratch_store_b64 off, v[90:91], off offset:800 ; 8-byte Folded Spill
	s_wait_xcnt 0x0
	v_add_nc_u64_e32 v[90:91], v[22:23], v[92:93]
	global_load_b128 v[90:93], v[90:91], off
	s_wait_xcnt 0x0
	s_and_saveexec_b32 s1, vcc_lo
	s_cbranch_execz .LBB53_35
; %bb.135:                              ;   in Loop: Header=BB53_36 Depth=1
	v_cmp_gt_i32_e32 vcc_lo, s23, v0
	v_cmp_gt_i32_e64 s0, s13, v127
	s_wait_loadcnt 0x0
	s_delay_alu instid0(VALU_DEP_1) | instskip(SKIP_2) | instid1(VALU_DEP_1)
	v_dual_cndmask_b32 v90, 0, v90, vcc_lo :: v_dual_cndmask_b32 v91, 0, v91, s0
	v_cmp_gt_i32_e32 vcc_lo, s23, v126
	v_cmp_gt_i32_e64 s0, s13, v1
	v_dual_cndmask_b32 v92, 0, v92, vcc_lo :: v_dual_cndmask_b32 v93, 0, v93, s0
	s_branch .LBB53_35
.LBB53_136:                             ;   in Loop: Header=BB53_36 Depth=1
	scratch_load_b128 v[2:5], off, off offset:544 th:TH_LOAD_LU ; 16-byte Folded Reload
	v_cmp_gt_i32_e64 s0, s23, v0
	v_cmp_gt_i32_e64 s1, s13, v127
	s_wait_loadcnt 0x0
	s_delay_alu instid0(VALU_DEP_1) | instskip(SKIP_2) | instid1(VALU_DEP_1)
	v_dual_cndmask_b32 v3, 0, v3, s1 :: v_dual_cndmask_b32 v2, 0, v2, s0
	v_cmp_gt_i32_e64 s0, s23, v126
	v_cmp_gt_i32_e64 s1, s13, v1
	v_dual_cndmask_b32 v4, 0, v4, s0 :: v_dual_cndmask_b32 v5, 0, v5, s1
	scratch_store_b128 off, v[2:5], off offset:544 ; 16-byte Folded Spill
	s_wait_xcnt 0x0
	s_or_b32 exec_lo, exec_lo, s14
	global_load_b128 v[26:29], v[18:19], off offset:17920
	s_wait_xcnt 0x0
	s_and_saveexec_b32 s14, vcc_lo
	s_cbranch_execz .LBB53_106
.LBB53_137:                             ;   in Loop: Header=BB53_36 Depth=1
	v_cmp_gt_i32_e64 s0, s23, v0
	v_cmp_gt_i32_e64 s1, s13, v127
	s_wait_loadcnt 0x0
	s_delay_alu instid0(VALU_DEP_1) | instskip(SKIP_2) | instid1(VALU_DEP_1)
	v_dual_cndmask_b32 v26, 0, v26, s0 :: v_dual_cndmask_b32 v27, 0, v27, s1
	v_cmp_gt_i32_e64 s0, s23, v126
	v_cmp_gt_i32_e64 s1, s13, v1
	v_dual_cndmask_b32 v28, 0, v28, s0 :: v_dual_cndmask_b32 v29, 0, v29, s1
	s_or_b32 exec_lo, exec_lo, s14
	global_load_b128 v[30:33], v[18:19], off offset:18432
	s_wait_xcnt 0x0
	s_and_saveexec_b32 s14, vcc_lo
	s_cbranch_execz .LBB53_107
.LBB53_138:                             ;   in Loop: Header=BB53_36 Depth=1
	v_cmp_gt_i32_e64 s0, s23, v0
	v_cmp_gt_i32_e64 s1, s13, v127
	s_wait_loadcnt 0x0
	s_delay_alu instid0(VALU_DEP_1) | instskip(SKIP_2) | instid1(VALU_DEP_1)
	v_dual_cndmask_b32 v30, 0, v30, s0 :: v_dual_cndmask_b32 v31, 0, v31, s1
	v_cmp_gt_i32_e64 s0, s23, v126
	v_cmp_gt_i32_e64 s1, s13, v1
	v_dual_cndmask_b32 v32, 0, v32, s0 :: v_dual_cndmask_b32 v33, 0, v33, s1
	s_or_b32 exec_lo, exec_lo, s14
	global_load_b128 v[34:37], v[18:19], off offset:18944
	s_wait_xcnt 0x0
	s_and_saveexec_b32 s14, vcc_lo
	s_cbranch_execz .LBB53_108
.LBB53_139:                             ;   in Loop: Header=BB53_36 Depth=1
	v_cmp_gt_i32_e64 s0, s23, v0
	v_cmp_gt_i32_e64 s1, s13, v127
	s_wait_loadcnt 0x0
	s_delay_alu instid0(VALU_DEP_1) | instskip(SKIP_2) | instid1(VALU_DEP_1)
	v_dual_cndmask_b32 v34, 0, v34, s0 :: v_dual_cndmask_b32 v35, 0, v35, s1
	v_cmp_gt_i32_e64 s0, s23, v126
	v_cmp_gt_i32_e64 s1, s13, v1
	v_dual_cndmask_b32 v36, 0, v36, s0 :: v_dual_cndmask_b32 v37, 0, v37, s1
	s_or_b32 exec_lo, exec_lo, s14
	global_load_b128 v[38:41], v[18:19], off offset:19456
	s_wait_xcnt 0x0
	s_and_saveexec_b32 s14, vcc_lo
	s_cbranch_execz .LBB53_109
.LBB53_140:                             ;   in Loop: Header=BB53_36 Depth=1
	v_cmp_gt_i32_e64 s0, s23, v0
	v_cmp_gt_i32_e64 s1, s13, v127
	s_wait_loadcnt 0x0
	s_delay_alu instid0(VALU_DEP_1) | instskip(SKIP_2) | instid1(VALU_DEP_1)
	v_dual_cndmask_b32 v38, 0, v38, s0 :: v_dual_cndmask_b32 v39, 0, v39, s1
	v_cmp_gt_i32_e64 s0, s23, v126
	v_cmp_gt_i32_e64 s1, s13, v1
	v_dual_cndmask_b32 v40, 0, v40, s0 :: v_dual_cndmask_b32 v41, 0, v41, s1
	s_or_b32 exec_lo, exec_lo, s14
	global_load_b128 v[42:45], v[18:19], off offset:19968
	s_wait_xcnt 0x0
	s_and_saveexec_b32 s14, vcc_lo
	s_cbranch_execz .LBB53_110
.LBB53_141:                             ;   in Loop: Header=BB53_36 Depth=1
	v_cmp_gt_i32_e64 s0, s23, v0
	v_cmp_gt_i32_e64 s1, s13, v127
	s_wait_loadcnt 0x0
	s_delay_alu instid0(VALU_DEP_1) | instskip(SKIP_2) | instid1(VALU_DEP_1)
	v_dual_cndmask_b32 v42, 0, v42, s0 :: v_dual_cndmask_b32 v43, 0, v43, s1
	v_cmp_gt_i32_e64 s0, s23, v126
	v_cmp_gt_i32_e64 s1, s13, v1
	v_dual_cndmask_b32 v44, 0, v44, s0 :: v_dual_cndmask_b32 v45, 0, v45, s1
	s_or_b32 exec_lo, exec_lo, s14
	global_load_b128 v[46:49], v[18:19], off offset:20480
	s_wait_xcnt 0x0
	s_and_saveexec_b32 s14, vcc_lo
	s_cbranch_execz .LBB53_111
.LBB53_142:                             ;   in Loop: Header=BB53_36 Depth=1
	v_cmp_gt_i32_e64 s0, s23, v0
	v_cmp_gt_i32_e64 s1, s13, v127
	s_wait_loadcnt 0x0
	s_delay_alu instid0(VALU_DEP_1) | instskip(SKIP_2) | instid1(VALU_DEP_1)
	v_dual_cndmask_b32 v46, 0, v46, s0 :: v_dual_cndmask_b32 v47, 0, v47, s1
	v_cmp_gt_i32_e64 s0, s23, v126
	v_cmp_gt_i32_e64 s1, s13, v1
	v_dual_cndmask_b32 v48, 0, v48, s0 :: v_dual_cndmask_b32 v49, 0, v49, s1
	s_or_b32 exec_lo, exec_lo, s14
	global_load_b128 v[50:53], v[18:19], off offset:20992
	s_wait_xcnt 0x0
	s_and_saveexec_b32 s14, vcc_lo
	s_cbranch_execz .LBB53_112
.LBB53_143:                             ;   in Loop: Header=BB53_36 Depth=1
	v_cmp_gt_i32_e64 s0, s23, v0
	v_cmp_gt_i32_e64 s1, s13, v127
	s_wait_loadcnt 0x0
	s_delay_alu instid0(VALU_DEP_1) | instskip(SKIP_2) | instid1(VALU_DEP_1)
	v_dual_cndmask_b32 v50, 0, v50, s0 :: v_dual_cndmask_b32 v51, 0, v51, s1
	v_cmp_gt_i32_e64 s0, s23, v126
	v_cmp_gt_i32_e64 s1, s13, v1
	v_dual_cndmask_b32 v52, 0, v52, s0 :: v_dual_cndmask_b32 v53, 0, v53, s1
	s_or_b32 exec_lo, exec_lo, s14
	global_load_b128 v[54:57], v[18:19], off offset:21504
	s_wait_xcnt 0x0
	s_and_saveexec_b32 s14, vcc_lo
	s_cbranch_execz .LBB53_113
.LBB53_144:                             ;   in Loop: Header=BB53_36 Depth=1
	v_cmp_gt_i32_e64 s0, s23, v0
	v_cmp_gt_i32_e64 s1, s13, v127
	s_wait_loadcnt 0x0
	s_delay_alu instid0(VALU_DEP_1) | instskip(SKIP_2) | instid1(VALU_DEP_1)
	v_dual_cndmask_b32 v54, 0, v54, s0 :: v_dual_cndmask_b32 v55, 0, v55, s1
	v_cmp_gt_i32_e64 s0, s23, v126
	v_cmp_gt_i32_e64 s1, s13, v1
	v_dual_cndmask_b32 v56, 0, v56, s0 :: v_dual_cndmask_b32 v57, 0, v57, s1
	s_or_b32 exec_lo, exec_lo, s14
	global_load_b128 v[58:61], v[18:19], off offset:22016
	s_wait_xcnt 0x0
	s_and_saveexec_b32 s14, vcc_lo
	s_cbranch_execz .LBB53_114
.LBB53_145:                             ;   in Loop: Header=BB53_36 Depth=1
	v_cmp_gt_i32_e64 s0, s23, v0
	v_cmp_gt_i32_e64 s1, s13, v127
	s_wait_loadcnt 0x0
	s_delay_alu instid0(VALU_DEP_1) | instskip(SKIP_2) | instid1(VALU_DEP_1)
	v_dual_cndmask_b32 v58, 0, v58, s0 :: v_dual_cndmask_b32 v59, 0, v59, s1
	v_cmp_gt_i32_e64 s0, s23, v126
	v_cmp_gt_i32_e64 s1, s13, v1
	v_dual_cndmask_b32 v60, 0, v60, s0 :: v_dual_cndmask_b32 v61, 0, v61, s1
	s_or_b32 exec_lo, exec_lo, s14
	global_load_b128 v[62:65], v[18:19], off offset:22528
	s_wait_xcnt 0x0
	s_and_saveexec_b32 s14, vcc_lo
	s_cbranch_execz .LBB53_115
.LBB53_146:                             ;   in Loop: Header=BB53_36 Depth=1
	v_cmp_gt_i32_e64 s0, s23, v0
	v_cmp_gt_i32_e64 s1, s13, v127
	s_wait_loadcnt 0x0
	s_delay_alu instid0(VALU_DEP_1) | instskip(SKIP_2) | instid1(VALU_DEP_1)
	v_dual_cndmask_b32 v62, 0, v62, s0 :: v_dual_cndmask_b32 v63, 0, v63, s1
	v_cmp_gt_i32_e64 s0, s23, v126
	v_cmp_gt_i32_e64 s1, s13, v1
	v_dual_cndmask_b32 v64, 0, v64, s0 :: v_dual_cndmask_b32 v65, 0, v65, s1
	s_or_b32 exec_lo, exec_lo, s14
	global_load_b128 v[66:69], v[18:19], off offset:23040
	s_wait_xcnt 0x0
	s_and_saveexec_b32 s14, vcc_lo
	s_cbranch_execz .LBB53_116
.LBB53_147:                             ;   in Loop: Header=BB53_36 Depth=1
	v_cmp_gt_i32_e64 s0, s23, v0
	v_cmp_gt_i32_e64 s1, s13, v127
	s_wait_loadcnt 0x0
	s_delay_alu instid0(VALU_DEP_1) | instskip(SKIP_2) | instid1(VALU_DEP_1)
	v_dual_cndmask_b32 v66, 0, v66, s0 :: v_dual_cndmask_b32 v67, 0, v67, s1
	v_cmp_gt_i32_e64 s0, s23, v126
	v_cmp_gt_i32_e64 s1, s13, v1
	v_dual_cndmask_b32 v68, 0, v68, s0 :: v_dual_cndmask_b32 v69, 0, v69, s1
	s_or_b32 exec_lo, exec_lo, s14
	global_load_b128 v[70:73], v[18:19], off offset:23552
	s_wait_xcnt 0x0
	s_and_saveexec_b32 s14, vcc_lo
	s_cbranch_execz .LBB53_117
.LBB53_148:                             ;   in Loop: Header=BB53_36 Depth=1
	v_cmp_gt_i32_e64 s0, s23, v0
	v_cmp_gt_i32_e64 s1, s13, v127
	s_wait_loadcnt 0x0
	s_delay_alu instid0(VALU_DEP_1) | instskip(SKIP_2) | instid1(VALU_DEP_1)
	v_dual_cndmask_b32 v70, 0, v70, s0 :: v_dual_cndmask_b32 v71, 0, v71, s1
	v_cmp_gt_i32_e64 s0, s23, v126
	v_cmp_gt_i32_e64 s1, s13, v1
	v_dual_cndmask_b32 v72, 0, v72, s0 :: v_dual_cndmask_b32 v73, 0, v73, s1
	s_or_b32 exec_lo, exec_lo, s14
	global_load_b128 v[74:77], v[18:19], off offset:24064
	s_wait_xcnt 0x0
	s_and_saveexec_b32 s14, vcc_lo
	s_cbranch_execz .LBB53_118
.LBB53_149:                             ;   in Loop: Header=BB53_36 Depth=1
	v_cmp_gt_i32_e64 s0, s23, v0
	v_cmp_gt_i32_e64 s1, s13, v127
	s_wait_loadcnt 0x0
	s_delay_alu instid0(VALU_DEP_1) | instskip(SKIP_2) | instid1(VALU_DEP_1)
	v_dual_cndmask_b32 v74, 0, v74, s0 :: v_dual_cndmask_b32 v75, 0, v75, s1
	v_cmp_gt_i32_e64 s0, s23, v126
	v_cmp_gt_i32_e64 s1, s13, v1
	v_dual_cndmask_b32 v76, 0, v76, s0 :: v_dual_cndmask_b32 v77, 0, v77, s1
	s_or_b32 exec_lo, exec_lo, s14
	global_load_b128 v[78:81], v[18:19], off offset:24576
	s_wait_xcnt 0x0
	s_and_saveexec_b32 s14, vcc_lo
	s_cbranch_execz .LBB53_119
.LBB53_150:                             ;   in Loop: Header=BB53_36 Depth=1
	v_cmp_gt_i32_e64 s0, s23, v0
	v_cmp_gt_i32_e64 s1, s13, v127
	s_wait_loadcnt 0x0
	s_delay_alu instid0(VALU_DEP_1) | instskip(SKIP_2) | instid1(VALU_DEP_1)
	v_dual_cndmask_b32 v78, 0, v78, s0 :: v_dual_cndmask_b32 v79, 0, v79, s1
	v_cmp_gt_i32_e64 s0, s23, v126
	v_cmp_gt_i32_e64 s1, s13, v1
	v_dual_cndmask_b32 v80, 0, v80, s0 :: v_dual_cndmask_b32 v81, 0, v81, s1
	s_or_b32 exec_lo, exec_lo, s14
	global_load_b128 v[82:85], v[18:19], off offset:25088
	s_wait_xcnt 0x0
	s_and_saveexec_b32 s14, vcc_lo
	s_cbranch_execz .LBB53_120
.LBB53_151:                             ;   in Loop: Header=BB53_36 Depth=1
	v_cmp_gt_i32_e64 s0, s23, v0
	v_cmp_gt_i32_e64 s1, s13, v127
	s_wait_loadcnt 0x0
	s_delay_alu instid0(VALU_DEP_1) | instskip(SKIP_2) | instid1(VALU_DEP_1)
	v_dual_cndmask_b32 v82, 0, v82, s0 :: v_dual_cndmask_b32 v83, 0, v83, s1
	v_cmp_gt_i32_e64 s0, s23, v126
	v_cmp_gt_i32_e64 s1, s13, v1
	v_dual_cndmask_b32 v84, 0, v84, s0 :: v_dual_cndmask_b32 v85, 0, v85, s1
	s_or_b32 exec_lo, exec_lo, s14
	global_load_b128 v[86:89], v[18:19], off offset:25600
	s_wait_xcnt 0x0
	s_and_saveexec_b32 s14, vcc_lo
	s_cbranch_execz .LBB53_121
.LBB53_152:                             ;   in Loop: Header=BB53_36 Depth=1
	v_cmp_gt_i32_e64 s0, s23, v0
	v_cmp_gt_i32_e64 s1, s13, v127
	s_wait_loadcnt 0x0
	s_delay_alu instid0(VALU_DEP_1) | instskip(SKIP_2) | instid1(VALU_DEP_1)
	v_dual_cndmask_b32 v86, 0, v86, s0 :: v_dual_cndmask_b32 v87, 0, v87, s1
	v_cmp_gt_i32_e64 s0, s23, v126
	v_cmp_gt_i32_e64 s1, s13, v1
	v_dual_cndmask_b32 v88, 0, v88, s0 :: v_dual_cndmask_b32 v89, 0, v89, s1
	s_or_b32 exec_lo, exec_lo, s14
	global_load_b128 v[94:97], v[18:19], off offset:26112
	s_wait_xcnt 0x0
	s_and_saveexec_b32 s14, vcc_lo
	s_cbranch_execz .LBB53_122
.LBB53_153:                             ;   in Loop: Header=BB53_36 Depth=1
	v_cmp_gt_i32_e64 s0, s23, v0
	v_cmp_gt_i32_e64 s1, s13, v127
	s_wait_loadcnt 0x0
	s_delay_alu instid0(VALU_DEP_1) | instskip(SKIP_2) | instid1(VALU_DEP_1)
	v_dual_cndmask_b32 v94, 0, v94, s0 :: v_dual_cndmask_b32 v95, 0, v95, s1
	v_cmp_gt_i32_e64 s0, s23, v126
	v_cmp_gt_i32_e64 s1, s13, v1
	v_dual_cndmask_b32 v96, 0, v96, s0 :: v_dual_cndmask_b32 v97, 0, v97, s1
	s_or_b32 exec_lo, exec_lo, s14
	global_load_b128 v[98:101], v[18:19], off offset:26624
	s_wait_xcnt 0x0
	s_and_saveexec_b32 s14, vcc_lo
	s_cbranch_execz .LBB53_123
.LBB53_154:                             ;   in Loop: Header=BB53_36 Depth=1
	v_cmp_gt_i32_e64 s0, s23, v0
	v_cmp_gt_i32_e64 s1, s13, v127
	s_wait_loadcnt 0x0
	s_delay_alu instid0(VALU_DEP_1) | instskip(SKIP_2) | instid1(VALU_DEP_1)
	v_dual_cndmask_b32 v98, 0, v98, s0 :: v_dual_cndmask_b32 v99, 0, v99, s1
	v_cmp_gt_i32_e64 s0, s23, v126
	v_cmp_gt_i32_e64 s1, s13, v1
	v_dual_cndmask_b32 v100, 0, v100, s0 :: v_dual_cndmask_b32 v101, 0, v101, s1
	s_or_b32 exec_lo, exec_lo, s14
	global_load_b128 v[102:105], v[18:19], off offset:27136
	s_wait_xcnt 0x0
	s_and_saveexec_b32 s14, vcc_lo
	s_cbranch_execz .LBB53_124
.LBB53_155:                             ;   in Loop: Header=BB53_36 Depth=1
	v_cmp_gt_i32_e64 s0, s23, v0
	v_cmp_gt_i32_e64 s1, s13, v127
	s_wait_loadcnt 0x0
	s_delay_alu instid0(VALU_DEP_1) | instskip(SKIP_2) | instid1(VALU_DEP_1)
	v_dual_cndmask_b32 v102, 0, v102, s0 :: v_dual_cndmask_b32 v103, 0, v103, s1
	v_cmp_gt_i32_e64 s0, s23, v126
	v_cmp_gt_i32_e64 s1, s13, v1
	v_dual_cndmask_b32 v104, 0, v104, s0 :: v_dual_cndmask_b32 v105, 0, v105, s1
	s_or_b32 exec_lo, exec_lo, s14
	global_load_b128 v[106:109], v[18:19], off offset:27648
	s_wait_xcnt 0x0
	s_and_saveexec_b32 s14, vcc_lo
	s_cbranch_execz .LBB53_125
.LBB53_156:                             ;   in Loop: Header=BB53_36 Depth=1
	v_cmp_gt_i32_e64 s0, s23, v0
	v_cmp_gt_i32_e64 s1, s13, v127
	s_wait_loadcnt 0x0
	s_delay_alu instid0(VALU_DEP_1) | instskip(SKIP_2) | instid1(VALU_DEP_1)
	v_dual_cndmask_b32 v106, 0, v106, s0 :: v_dual_cndmask_b32 v107, 0, v107, s1
	v_cmp_gt_i32_e64 s0, s23, v126
	v_cmp_gt_i32_e64 s1, s13, v1
	v_dual_cndmask_b32 v108, 0, v108, s0 :: v_dual_cndmask_b32 v109, 0, v109, s1
	s_or_b32 exec_lo, exec_lo, s14
	global_load_b128 v[110:113], v[18:19], off offset:28160
	s_wait_xcnt 0x0
	s_and_saveexec_b32 s14, vcc_lo
	s_cbranch_execz .LBB53_126
.LBB53_157:                             ;   in Loop: Header=BB53_36 Depth=1
	v_cmp_gt_i32_e64 s0, s23, v0
	v_cmp_gt_i32_e64 s1, s13, v127
	s_wait_loadcnt 0x0
	s_delay_alu instid0(VALU_DEP_1) | instskip(SKIP_2) | instid1(VALU_DEP_1)
	v_dual_cndmask_b32 v110, 0, v110, s0 :: v_dual_cndmask_b32 v111, 0, v111, s1
	v_cmp_gt_i32_e64 s0, s23, v126
	v_cmp_gt_i32_e64 s1, s13, v1
	v_dual_cndmask_b32 v112, 0, v112, s0 :: v_dual_cndmask_b32 v113, 0, v113, s1
	s_or_b32 exec_lo, exec_lo, s14
	global_load_b128 v[114:117], v[18:19], off offset:28672
	s_wait_xcnt 0x0
	s_and_saveexec_b32 s14, vcc_lo
	s_cbranch_execz .LBB53_127
.LBB53_158:                             ;   in Loop: Header=BB53_36 Depth=1
	v_cmp_gt_i32_e64 s0, s23, v0
	v_cmp_gt_i32_e64 s1, s13, v127
	s_wait_loadcnt 0x0
	s_delay_alu instid0(VALU_DEP_1) | instskip(SKIP_2) | instid1(VALU_DEP_1)
	v_dual_cndmask_b32 v114, 0, v114, s0 :: v_dual_cndmask_b32 v115, 0, v115, s1
	v_cmp_gt_i32_e64 s0, s23, v126
	v_cmp_gt_i32_e64 s1, s13, v1
	v_dual_cndmask_b32 v116, 0, v116, s0 :: v_dual_cndmask_b32 v117, 0, v117, s1
	s_or_b32 exec_lo, exec_lo, s14
	global_load_b128 v[118:121], v[18:19], off offset:29184
	s_wait_xcnt 0x0
	s_and_saveexec_b32 s14, vcc_lo
	s_cbranch_execz .LBB53_128
.LBB53_159:                             ;   in Loop: Header=BB53_36 Depth=1
	v_cmp_gt_i32_e64 s0, s23, v0
	v_cmp_gt_i32_e64 s1, s13, v127
	s_wait_loadcnt 0x0
	s_delay_alu instid0(VALU_DEP_1) | instskip(SKIP_2) | instid1(VALU_DEP_1)
	v_dual_cndmask_b32 v118, 0, v118, s0 :: v_dual_cndmask_b32 v119, 0, v119, s1
	v_cmp_gt_i32_e64 s0, s23, v126
	v_cmp_gt_i32_e64 s1, s13, v1
	v_dual_cndmask_b32 v120, 0, v120, s0 :: v_dual_cndmask_b32 v121, 0, v121, s1
	s_or_b32 exec_lo, exec_lo, s14
	global_load_b128 v[122:125], v[18:19], off offset:29696
	s_wait_xcnt 0x0
	s_and_saveexec_b32 s14, vcc_lo
	s_cbranch_execz .LBB53_129
.LBB53_160:                             ;   in Loop: Header=BB53_36 Depth=1
	v_cmp_gt_i32_e64 s0, s23, v0
	v_cmp_gt_i32_e64 s1, s13, v127
	s_wait_loadcnt 0x0
	s_delay_alu instid0(VALU_DEP_1) | instskip(SKIP_2) | instid1(VALU_DEP_1)
	v_dual_cndmask_b32 v122, 0, v122, s0 :: v_dual_cndmask_b32 v123, 0, v123, s1
	v_cmp_gt_i32_e64 s0, s23, v126
	v_cmp_gt_i32_e64 s1, s13, v1
	v_dual_cndmask_b32 v124, 0, v124, s0 :: v_dual_cndmask_b32 v125, 0, v125, s1
	s_or_b32 exec_lo, exec_lo, s14
	global_load_b128 v[2:5], v[18:19], off offset:30208
	s_wait_xcnt 0x0
	s_and_saveexec_b32 s14, vcc_lo
	s_cbranch_execz .LBB53_130
.LBB53_161:                             ;   in Loop: Header=BB53_36 Depth=1
	v_cmp_gt_i32_e64 s0, s23, v0
	v_cmp_gt_i32_e64 s1, s13, v127
	s_wait_loadcnt 0x0
	s_delay_alu instid0(VALU_DEP_1) | instskip(SKIP_2) | instid1(VALU_DEP_1)
	v_dual_cndmask_b32 v2, 0, v2, s0 :: v_dual_cndmask_b32 v3, 0, v3, s1
	v_cmp_gt_i32_e64 s0, s23, v126
	v_cmp_gt_i32_e64 s1, s13, v1
	v_dual_cndmask_b32 v4, 0, v4, s0 :: v_dual_cndmask_b32 v5, 0, v5, s1
	s_or_b32 exec_lo, exec_lo, s14
	global_load_b128 v[10:13], v[18:19], off offset:30720
	s_wait_xcnt 0x0
	s_and_saveexec_b32 s14, vcc_lo
	s_cbranch_execz .LBB53_131
.LBB53_162:                             ;   in Loop: Header=BB53_36 Depth=1
	v_cmp_gt_i32_e64 s0, s23, v0
	v_cmp_gt_i32_e64 s1, s13, v127
	s_wait_loadcnt 0x0
	s_delay_alu instid0(VALU_DEP_1) | instskip(SKIP_2) | instid1(VALU_DEP_1)
	v_dual_cndmask_b32 v10, 0, v10, s0 :: v_dual_cndmask_b32 v11, 0, v11, s1
	v_cmp_gt_i32_e64 s0, s23, v126
	v_cmp_gt_i32_e64 s1, s13, v1
	v_dual_cndmask_b32 v12, 0, v12, s0 :: v_dual_cndmask_b32 v13, 0, v13, s1
	s_or_b32 exec_lo, exec_lo, s14
	global_load_b128 v[14:17], v[18:19], off offset:31232
	s_wait_xcnt 0x0
	s_and_saveexec_b32 s14, vcc_lo
	s_cbranch_execz .LBB53_132
.LBB53_163:                             ;   in Loop: Header=BB53_36 Depth=1
	v_cmp_gt_i32_e64 s0, s23, v0
	v_cmp_gt_i32_e64 s1, s13, v127
	s_wait_loadcnt 0x0
	s_delay_alu instid0(VALU_DEP_1) | instskip(SKIP_2) | instid1(VALU_DEP_1)
	v_dual_cndmask_b32 v14, 0, v14, s0 :: v_dual_cndmask_b32 v15, 0, v15, s1
	v_cmp_gt_i32_e64 s0, s23, v126
	v_cmp_gt_i32_e64 s1, s13, v1
	v_dual_cndmask_b32 v16, 0, v16, s0 :: v_dual_cndmask_b32 v17, 0, v17, s1
	s_or_b32 exec_lo, exec_lo, s14
	global_load_b128 v[18:21], v[18:19], off offset:31744
	s_wait_xcnt 0x0
	s_and_saveexec_b32 s14, vcc_lo
	s_cbranch_execnz .LBB53_133
	s_branch .LBB53_134
.LBB53_164:
	s_or_b32 exec_lo, exec_lo, s12
	s_clause 0x10
	scratch_load_b32 v126, off, off offset:904
	scratch_load_b64 v[90:91], off, off offset:664
	scratch_load_b64 v[82:83], off, off offset:672
	;; [unrolled: 1-line block ×16, first 2 shown]
.LBB53_165:
	s_wait_xcnt 0x0
	s_or_b32 exec_lo, exec_lo, s25
	s_clause 0x7
	scratch_load_b32 v81, off, off offset:892 th:TH_LOAD_LU
	scratch_load_b64 v[32:33], off, off offset:656 th:TH_LOAD_LU
	scratch_load_b64 v[36:37], off, off offset:640 th:TH_LOAD_LU
	scratch_load_b64 v[68:69], off, off offset:632 th:TH_LOAD_LU
	scratch_load_b64 v[40:41], off, off offset:648 th:TH_LOAD_LU
	scratch_load_b32 v85, off, off offset:884 th:TH_LOAD_LU
	scratch_load_b64 v[70:71], off, off offset:616 th:TH_LOAD_LU
	scratch_load_b32 v109, off, off offset:896 th:TH_LOAD_LU
	v_mov_b64_e32 v[56:57], v[18:19]
	s_wait_loadcnt 0x8
	v_mov_b64_e32 v[18:19], v[0:1]
	v_mov_b64_e32 v[22:23], v[2:3]
	;; [unrolled: 1-line block ×13, first 2 shown]
	s_mov_b32 s1, exec_lo
	s_clause 0x1
	scratch_load_b64 v[100:101], off, off offset:592 th:TH_LOAD_LU
	scratch_load_b64 v[98:99], off, off offset:576 th:TH_LOAD_LU
	v_mov_b64_e32 v[74:75], v[62:63]
	s_wait_loadcnt 0x9
	ds_bpermute_b32 v0, v81, v18
	ds_bpermute_b32 v1, v81, v19
	ds_bpermute_b32 v2, v81, v22
	ds_bpermute_b32 v3, v81, v23
	s_wait_loadcnt 0x7
	ds_bpermute_b32 v16, v81, v36
	ds_bpermute_b32 v17, v81, v37
	;; [unrolled: 1-line block ×17, first 2 shown]
	s_wait_dscnt 0x13
	v_pk_add_f32 v[0:1], v[18:19], v[0:1]
	s_wait_loadcnt 0x6
	ds_bpermute_b32 v18, v81, v68
	s_wait_dscnt 0x12
	v_pk_add_f32 v[2:3], v[22:23], v[2:3]
	ds_bpermute_b32 v19, v81, v69
	s_wait_dscnt 0x11
	v_pk_add_f32 v[16:17], v[36:37], v[16:17]
	s_wait_loadcnt 0x4
	ds_bpermute_b32 v22, v85, v0
	ds_bpermute_b32 v23, v85, v1
	s_wait_dscnt 0x11
	v_pk_add_f32 v[4:5], v[32:33], v[4:5]
	s_wait_dscnt 0xf
	v_pk_add_f32 v[6:7], v[30:31], v[6:7]
	ds_bpermute_b32 v42, v85, v16
	ds_bpermute_b32 v43, v85, v17
	s_wait_dscnt 0xf
	v_pk_add_f32 v[8:9], v[28:29], v[8:9]
	s_wait_dscnt 0xd
	v_pk_add_f32 v[10:11], v[26:27], v[10:11]
	ds_bpermute_b32 v26, v85, v4
	s_wait_dscnt 0xc
	v_pk_add_f32 v[12:13], v[24:25], v[12:13]
	ds_bpermute_b32 v24, v85, v2
	ds_bpermute_b32 v25, v85, v3
	;; [unrolled: 1-line block ×11, first 2 shown]
	s_wait_dscnt 0xe
	v_pk_add_f32 v[0:1], v[0:1], v[22:23]
	ds_bpermute_b32 v22, v81, v38
	ds_bpermute_b32 v23, v81, v39
	v_pk_add_f32 v[20:21], v[46:47], v[20:21]
	ds_bpermute_b32 v79, v81, v91
	s_wait_loadcnt 0x2
	ds_bpermute_b32 v38, v109, v0
	ds_bpermute_b32 v39, v109, v1
	;; [unrolled: 1-line block ×4, first 2 shown]
	s_wait_dscnt 0x10
	v_pk_add_f32 v[2:3], v[2:3], v[24:25]
	s_wait_dscnt 0xf
	v_pk_add_f32 v[24:25], v[4:5], v[26:27]
	;; [unrolled: 2-line block ×4, first 2 shown]
	ds_bpermute_b32 v4, v109, v2
	s_wait_dscnt 0xa
	v_pk_add_f32 v[26:27], v[10:11], v[32:33]
	ds_bpermute_b32 v5, v109, v3
	s_wait_dscnt 0x9
	v_pk_add_f32 v[28:29], v[12:13], v[34:35]
	ds_bpermute_b32 v10, v109, v24
	ds_bpermute_b32 v11, v109, v25
	s_wait_dscnt 0x9
	v_pk_add_f32 v[22:23], v[58:59], v[22:23]
	v_mov_b64_e32 v[58:59], v[50:51]
	ds_bpermute_b32 v12, v109, v6
	ds_bpermute_b32 v13, v109, v7
	s_wait_dscnt 0x8
	v_pk_add_f32 v[0:1], v[0:1], v[38:39]
	v_pk_add_f32 v[38:39], v[16:17], v[42:43]
	;; [unrolled: 1-line block ×3, first 2 shown]
	ds_bpermute_b32 v18, v81, v44
	ds_bpermute_b32 v19, v81, v45
	v_mov_b64_e32 v[68:69], v[44:45]
	ds_bpermute_b32 v30, v109, v8
	ds_bpermute_b32 v31, v109, v9
	;; [unrolled: 1-line block ×8, first 2 shown]
	s_wait_dscnt 0xe
	v_pk_add_f32 v[4:5], v[2:3], v[4:5]
	s_wait_dscnt 0xc
	v_pk_add_f32 v[2:3], v[24:25], v[10:11]
	ds_bpermute_b32 v34, v109, v28
	ds_bpermute_b32 v35, v109, v29
	;; [unrolled: 1-line block ×3, first 2 shown]
	s_wait_dscnt 0xd
	v_pk_add_f32 v[10:11], v[6:7], v[12:13]
	ds_bpermute_b32 v45, v109, v39
	ds_bpermute_b32 v24, v85, v22
	;; [unrolled: 1-line block ×3, first 2 shown]
	s_wait_dscnt 0xe
	v_pk_add_f32 v[18:19], v[68:69], v[18:19]
	scratch_load_b64 v[68:69], off, off offset:624 th:TH_LOAD_LU ; 8-byte Folded Reload
	ds_bpermute_b32 v14, v81, v40
	ds_bpermute_b32 v15, v81, v41
	s_wait_dscnt 0xe
	v_pk_add_f32 v[12:13], v[8:9], v[30:31]
	s_wait_dscnt 0xc
	v_pk_add_f32 v[8:9], v[26:27], v[32:33]
	v_pk_add_f32 v[30:31], v[20:21], v[46:47]
	s_wait_dscnt 0xa
	v_pk_add_f32 v[26:27], v[16:17], v[42:43]
	ds_bpermute_b32 v32, v109, v30
	ds_bpermute_b32 v33, v109, v31
	s_wait_dscnt 0x8
	v_pk_add_f32 v[6:7], v[28:29], v[34:35]
	ds_bpermute_b32 v28, v85, v18
	ds_bpermute_b32 v29, v85, v19
	;; [unrolled: 1-line block ×4, first 2 shown]
	s_wait_dscnt 0x8
	v_pk_add_f32 v[22:23], v[22:23], v[24:25]
	s_wait_dscnt 0x6
	v_pk_add_f32 v[14:15], v[40:41], v[14:15]
	ds_bpermute_b32 v40, v81, v48
	ds_bpermute_b32 v41, v81, v49
	;; [unrolled: 1-line block ×6, first 2 shown]
	s_wait_dscnt 0x8
	v_pk_add_f32 v[46:47], v[18:19], v[28:29]
	v_pk_add_f32 v[18:19], v[30:31], v[32:33]
	s_wait_dscnt 0x6
	v_pk_add_f32 v[20:21], v[26:27], v[20:21]
	s_wait_dscnt 0x4
	v_pk_add_f32 v[40:41], v[48:49], v[40:41]
	s_wait_dscnt 0x2
	v_pk_add_f32 v[26:27], v[22:23], v[42:43]
	s_wait_dscnt 0x0
	v_pk_add_f32 v[14:15], v[14:15], v[36:37]
	ds_bpermute_b32 v48, v85, v40
	ds_bpermute_b32 v49, v85, v41
	;; [unrolled: 1-line block ×4, first 2 shown]
	s_wait_dscnt 0x2
	v_pk_add_f32 v[24:25], v[40:41], v[48:49]
	ds_bpermute_b32 v48, v81, v72
	ds_bpermute_b32 v49, v81, v73
	s_wait_dscnt 0x2
	v_pk_add_f32 v[16:17], v[14:15], v[36:37]
	v_pk_add_f32 v[36:37], v[58:59], v[50:51]
	scratch_load_b64 v[58:59], off, off offset:608 th:TH_LOAD_LU ; 8-byte Folded Reload
	v_pk_add_f32 v[14:15], v[38:39], v[44:45]
	ds_bpermute_b32 v50, v109, v46
	ds_bpermute_b32 v51, v109, v47
	;; [unrolled: 1-line block ×8, first 2 shown]
	s_wait_dscnt 0x8
	v_pk_add_f32 v[48:49], v[72:73], v[48:49]
	v_mov_b64_e32 v[72:73], v[64:65]
	ds_bpermute_b32 v42, v85, v48
	ds_bpermute_b32 v43, v85, v49
	s_wait_dscnt 0x8
	v_pk_add_f32 v[22:23], v[46:47], v[50:51]
	ds_bpermute_b32 v50, v81, v66
	s_wait_dscnt 0x7
	v_pk_add_f32 v[28:29], v[36:37], v[28:29]
	;; [unrolled: 3-line block ×3, first 2 shown]
	s_wait_dscnt 0x4
	v_pk_add_f32 v[38:39], v[70:71], v[38:39]
	v_mov_b64_e32 v[70:71], v[54:55]
	ds_bpermute_b32 v30, v109, v28
	ds_bpermute_b32 v31, v109, v29
	;; [unrolled: 1-line block ×6, first 2 shown]
	s_wait_dscnt 0x8
	v_pk_add_f32 v[42:43], v[48:49], v[42:43]
	s_wait_dscnt 0x6
	v_pk_add_f32 v[62:63], v[66:67], v[50:51]
	ds_bpermute_b32 v66, v81, v72
	ds_bpermute_b32 v67, v81, v73
	;; [unrolled: 1-line block ×4, first 2 shown]
	s_wait_dscnt 0x4
	v_pk_add_f32 v[54:55], v[70:71], v[54:55]
	s_wait_dscnt 0x2
	v_pk_add_f32 v[66:67], v[72:73], v[66:67]
	s_wait_loadcnt 0x1
	ds_bpermute_b32 v34, v81, v68
	ds_bpermute_b32 v35, v81, v69
	s_wait_dscnt 0x0
	v_pk_add_f32 v[34:35], v[68:69], v[34:35]
	v_mov_b64_e32 v[68:69], v[52:53]
	ds_bpermute_b32 v32, v85, v34
	ds_bpermute_b32 v33, v85, v35
	ds_bpermute_b32 v52, v81, v68
	ds_bpermute_b32 v53, v81, v69
	s_wait_dscnt 0x2
	v_pk_add_f32 v[32:33], v[34:35], v[32:33]
	v_pk_add_f32 v[34:35], v[38:39], v[56:57]
	ds_bpermute_b32 v56, v85, v54
	s_wait_dscnt 0x1
	v_pk_add_f32 v[46:47], v[68:69], v[52:53]
	ds_bpermute_b32 v57, v85, v55
	v_mov_b64_e32 v[68:69], v[60:61]
	ds_bpermute_b32 v38, v109, v32
	ds_bpermute_b32 v39, v109, v33
	;; [unrolled: 1-line block ×6, first 2 shown]
	s_wait_loadcnt 0x0
	ds_bpermute_b32 v40, v81, v58
	ds_bpermute_b32 v41, v81, v59
	s_wait_dscnt 0x4
	v_pk_add_f32 v[46:47], v[46:47], v[52:53]
	v_pk_add_f32 v[52:53], v[54:55], v[56:57]
	s_wait_dscnt 0x2
	v_pk_add_f32 v[60:61], v[68:69], v[60:61]
	ds_bpermute_b32 v68, v85, v62
	ds_bpermute_b32 v69, v85, v63
	ds_bpermute_b32 v50, v109, v46
	ds_bpermute_b32 v64, v109, v52
	ds_bpermute_b32 v70, v85, v60
	ds_bpermute_b32 v71, v85, v61
	ds_bpermute_b32 v65, v109, v53
	ds_bpermute_b32 v51, v109, v47
	s_wait_dscnt 0x8
	v_pk_add_f32 v[40:41], v[58:59], v[40:41]
	ds_bpermute_b32 v58, v85, v40
	ds_bpermute_b32 v59, v85, v41
	s_wait_dscnt 0x8
	v_pk_add_f32 v[68:69], v[62:63], v[68:69]
	ds_bpermute_b32 v62, v81, v82
	s_wait_dscnt 0x5
	v_pk_add_f32 v[70:71], v[60:61], v[70:71]
	ds_bpermute_b32 v60, v85, v66
	ds_bpermute_b32 v61, v85, v67
	;; [unrolled: 1-line block ×6, first 2 shown]
	s_wait_dscnt 0x9
	v_pk_add_f32 v[50:51], v[46:47], v[50:51]
	s_wait_dscnt 0x7
	v_pk_add_f32 v[36:37], v[40:41], v[58:59]
	ds_bpermute_b32 v58, v81, v74
	ds_bpermute_b32 v59, v81, v75
	;; [unrolled: 1-line block ×4, first 2 shown]
	s_wait_dscnt 0x8
	v_pk_add_f32 v[66:67], v[66:67], v[60:61]
	s_wait_dscnt 0x7
	v_pk_add_f32 v[62:63], v[96:97], v[62:63]
	ds_bpermute_b32 v44, v109, v36
	ds_bpermute_b32 v45, v109, v37
	s_wait_dscnt 0x4
	v_pk_add_f32 v[54:55], v[74:75], v[58:59]
	ds_bpermute_b32 v74, v81, v92
	ds_bpermute_b32 v75, v81, v93
	scratch_load_b64 v[92:93], off, off offset:560 th:TH_LOAD_LU ; 8-byte Folded Reload
	ds_bpermute_b32 v72, v81, v98
	ds_bpermute_b32 v56, v85, v54
	;; [unrolled: 1-line block ×6, first 2 shown]
	s_wait_dscnt 0x3
	v_pk_add_f32 v[86:87], v[54:55], v[56:57]
	s_wait_dscnt 0x2
	v_pk_add_f32 v[54:55], v[98:99], v[72:73]
	v_pk_add_f32 v[72:73], v[94:95], v[74:75]
	v_mov_b64_e32 v[94:95], v[90:91]
	s_wait_dscnt 0x0
	v_pk_add_f32 v[58:59], v[100:101], v[58:59]
	v_pk_add_f32 v[74:75], v[88:89], v[76:77]
	ds_bpermute_b32 v76, v85, v54
	ds_bpermute_b32 v77, v85, v55
	;; [unrolled: 1-line block ×4, first 2 shown]
	v_pk_add_f32 v[78:79], v[94:95], v[78:79]
	ds_bpermute_b32 v56, v85, v58
	ds_bpermute_b32 v57, v85, v59
	;; [unrolled: 1-line block ×8, first 2 shown]
	s_wait_dscnt 0xa
	v_pk_add_f32 v[76:77], v[54:55], v[76:77]
	v_pk_add_f32 v[54:55], v[42:43], v[48:49]
	;; [unrolled: 1-line block ×3, first 2 shown]
	s_clause 0x1
	scratch_load_b32 v52, off, off offset:880
	scratch_load_b32 v65, off, off offset:900 th:TH_LOAD_LU
	s_wait_dscnt 0x6
	v_pk_add_f32 v[98:99], v[58:59], v[56:57]
	v_lshrrev_b32_e32 v64, 3, v126
	s_wait_dscnt 0x4
	v_pk_add_f32 v[72:73], v[72:73], v[88:89]
	ds_bpermute_b32 v88, v109, v76
	s_wait_dscnt 0x3
	v_pk_add_f32 v[74:75], v[74:75], v[90:91]
	ds_bpermute_b32 v102, v109, v98
	ds_bpermute_b32 v103, v109, v99
	;; [unrolled: 1-line block ×7, first 2 shown]
	v_pk_add_f32 v[58:59], v[34:35], v[40:41]
	v_pk_add_f32 v[56:57], v[36:37], v[44:45]
	;; [unrolled: 1-line block ×3, first 2 shown]
	s_wait_dscnt 0x8
	v_pk_add_f32 v[40:41], v[86:87], v[96:97]
	s_wait_dscnt 0x5
	v_pk_add_f32 v[36:37], v[98:99], v[102:103]
	;; [unrolled: 2-line block ×3, first 2 shown]
	s_wait_loadcnt 0x2
	ds_bpermute_b32 v80, v81, v92
	ds_bpermute_b32 v81, v81, v93
	s_wait_dscnt 0x0
	v_pk_add_f32 v[60:61], v[92:93], v[80:81]
	ds_bpermute_b32 v92, v85, v78
	ds_bpermute_b32 v93, v85, v79
	;; [unrolled: 1-line block ×7, first 2 shown]
	s_wait_dscnt 0x5
	v_pk_add_f32 v[78:79], v[78:79], v[92:93]
	s_wait_dscnt 0x3
	v_pk_add_f32 v[80:81], v[62:63], v[80:81]
	v_pk_add_f32 v[62:63], v[28:29], v[30:31]
	s_wait_dscnt 0x1
	v_pk_add_f32 v[92:93], v[60:61], v[94:95]
	v_pk_add_f32 v[60:61], v[32:33], v[38:39]
	;; [unrolled: 1-line block ×3, first 2 shown]
	scratch_load_b32 v66, off, off offset:888 th:TH_LOAD_LU ; 4-byte Folded Reload
	ds_bpermute_b32 v94, v109, v80
	ds_bpermute_b32 v95, v109, v81
	;; [unrolled: 1-line block ×6, first 2 shown]
	s_wait_dscnt 0x6
	v_pk_add_f32 v[42:43], v[70:71], v[84:85]
	v_pk_add_f32 v[32:33], v[72:73], v[90:91]
	;; [unrolled: 1-line block ×3, first 2 shown]
	s_wait_loadcnt 0x2
	v_and_b32_e32 v67, 0x3c0, v52
	s_wait_loadcnt 0x1
	v_cmp_eq_u32_e32 vcc_lo, 0, v65
	v_lshl_add_u32 v65, v64, 2, 0x420
	s_wait_storecnt 0x0
	s_wait_loadcnt_dscnt 0x0
	s_barrier_signal -1
	s_barrier_wait -1
	v_pk_add_f32 v[28:29], v[80:81], v[94:95]
	v_pk_add_f32 v[46:47], v[78:79], v[106:107]
	;; [unrolled: 1-line block ×3, first 2 shown]
	v_lshlrev_b32_e32 v66, 10, v66
	v_cmpx_eq_u32_e32 64, v67
	s_cbranch_execz .LBB53_168
; %bb.166:
	s_and_b32 exec_lo, exec_lo, vcc_lo
	s_cbranch_execz .LBB53_168
; %bb.167:
	v_add_nc_u32_e32 v67, v65, v66
	s_delay_alu instid0(VALU_DEP_1)
	v_add_nc_u32_e32 v68, 0xfffff800, v67
	v_add_nc_u32_e32 v69, 0xfffff810, v67
	v_add_nc_u32_e32 v70, 0xfffff820, v67
	v_add_nc_u32_e32 v71, 0xfffff830, v67
	v_add_nc_u32_e32 v72, 0xfffff840, v67
	v_add_nc_u32_e32 v73, 0xfffff850, v67
	v_add_nc_u32_e32 v74, 0xfffff860, v67
	v_add_nc_u32_e32 v75, 0xfffff870, v67
	ds_store_b32 v68, v0
	ds_store_b32 v69, v1
	ds_store_b32 v70, v4
	ds_store_b32 v71, v5
	ds_store_b32 v72, v2
	ds_store_b32 v73, v3
	ds_store_b32 v74, v10
	ds_store_b32 v75, v11
	v_add_nc_u32_e32 v68, 0xfffff880, v67
	v_add_nc_u32_e32 v69, 0xfffff890, v67
	v_add_nc_u32_e32 v70, 0xfffff8a0, v67
	v_add_nc_u32_e32 v71, 0xfffff8b0, v67
	v_add_nc_u32_e32 v72, 0xfffff8c0, v67
	v_add_nc_u32_e32 v73, 0xfffff8d0, v67
	v_add_nc_u32_e32 v74, 0xfffff8e0, v67
	v_add_nc_u32_e32 v75, 0xfffff8f0, v67
	ds_store_b32 v68, v12
	ds_store_b32 v69, v13
	ds_store_b32 v70, v8
	ds_store_b32 v71, v9
	ds_store_b32 v72, v6
	ds_store_b32 v73, v7
	ds_store_b32 v74, v16
	ds_store_b32 v75, v17
	;; [unrolled: 16-line block ×8, first 2 shown]
.LBB53_168:
	s_or_b32 exec_lo, exec_lo, s1
	v_lshlrev_b32_e32 v64, 2, v64
	s_wait_dscnt 0x0
	s_barrier_signal -1
	s_barrier_wait -1
	s_delay_alu instid0(VALU_DEP_1)
	v_add3_u32 v64, 0x420, v66, v64
	s_and_saveexec_b32 s0, s2
	s_cbranch_execz .LBB53_235
; %bb.169:
	s_and_saveexec_b32 s1, vcc_lo
	s_cbranch_execnz .LBB53_307
; %bb.170:
	s_or_b32 exec_lo, exec_lo, s1
	s_and_saveexec_b32 s1, vcc_lo
	s_cbranch_execnz .LBB53_308
.LBB53_171:
	s_or_b32 exec_lo, exec_lo, s1
	s_and_saveexec_b32 s1, vcc_lo
	s_cbranch_execnz .LBB53_309
.LBB53_172:
	s_or_b32 exec_lo, exec_lo, s1
	s_and_saveexec_b32 s1, vcc_lo
	s_cbranch_execnz .LBB53_310
.LBB53_173:
	s_or_b32 exec_lo, exec_lo, s1
	s_and_saveexec_b32 s1, vcc_lo
	s_cbranch_execnz .LBB53_311
.LBB53_174:
	s_or_b32 exec_lo, exec_lo, s1
	s_and_saveexec_b32 s1, vcc_lo
	s_cbranch_execnz .LBB53_312
.LBB53_175:
	s_or_b32 exec_lo, exec_lo, s1
	s_and_saveexec_b32 s1, vcc_lo
	s_cbranch_execnz .LBB53_313
.LBB53_176:
	s_or_b32 exec_lo, exec_lo, s1
	s_and_saveexec_b32 s1, vcc_lo
	s_cbranch_execnz .LBB53_314
.LBB53_177:
	s_or_b32 exec_lo, exec_lo, s1
	s_and_saveexec_b32 s1, vcc_lo
	s_cbranch_execnz .LBB53_315
.LBB53_178:
	s_or_b32 exec_lo, exec_lo, s1
	s_and_saveexec_b32 s1, vcc_lo
	s_cbranch_execnz .LBB53_316
.LBB53_179:
	s_or_b32 exec_lo, exec_lo, s1
	s_and_saveexec_b32 s1, vcc_lo
	s_cbranch_execnz .LBB53_317
.LBB53_180:
	s_or_b32 exec_lo, exec_lo, s1
	s_and_saveexec_b32 s1, vcc_lo
	s_cbranch_execnz .LBB53_318
.LBB53_181:
	s_or_b32 exec_lo, exec_lo, s1
	s_and_saveexec_b32 s1, vcc_lo
	s_cbranch_execnz .LBB53_319
.LBB53_182:
	s_or_b32 exec_lo, exec_lo, s1
	s_and_saveexec_b32 s1, vcc_lo
	s_cbranch_execnz .LBB53_320
.LBB53_183:
	s_or_b32 exec_lo, exec_lo, s1
	s_and_saveexec_b32 s1, vcc_lo
	s_cbranch_execnz .LBB53_321
.LBB53_184:
	s_or_b32 exec_lo, exec_lo, s1
	s_and_saveexec_b32 s1, vcc_lo
	s_cbranch_execnz .LBB53_322
.LBB53_185:
	s_or_b32 exec_lo, exec_lo, s1
	s_and_saveexec_b32 s1, vcc_lo
	s_cbranch_execnz .LBB53_323
.LBB53_186:
	s_or_b32 exec_lo, exec_lo, s1
	s_and_saveexec_b32 s1, vcc_lo
	s_cbranch_execnz .LBB53_324
.LBB53_187:
	s_or_b32 exec_lo, exec_lo, s1
	s_and_saveexec_b32 s1, vcc_lo
	s_cbranch_execnz .LBB53_325
.LBB53_188:
	s_or_b32 exec_lo, exec_lo, s1
	s_and_saveexec_b32 s1, vcc_lo
	s_cbranch_execnz .LBB53_326
.LBB53_189:
	s_or_b32 exec_lo, exec_lo, s1
	s_and_saveexec_b32 s1, vcc_lo
	s_cbranch_execnz .LBB53_327
.LBB53_190:
	s_or_b32 exec_lo, exec_lo, s1
	s_and_saveexec_b32 s1, vcc_lo
	s_cbranch_execnz .LBB53_328
.LBB53_191:
	s_or_b32 exec_lo, exec_lo, s1
	s_and_saveexec_b32 s1, vcc_lo
	s_cbranch_execnz .LBB53_329
.LBB53_192:
	s_or_b32 exec_lo, exec_lo, s1
	s_and_saveexec_b32 s1, vcc_lo
	s_cbranch_execnz .LBB53_330
.LBB53_193:
	s_or_b32 exec_lo, exec_lo, s1
	s_and_saveexec_b32 s1, vcc_lo
	s_cbranch_execnz .LBB53_331
.LBB53_194:
	s_or_b32 exec_lo, exec_lo, s1
	s_and_saveexec_b32 s1, vcc_lo
	s_cbranch_execnz .LBB53_332
.LBB53_195:
	s_or_b32 exec_lo, exec_lo, s1
	s_and_saveexec_b32 s1, vcc_lo
	s_cbranch_execnz .LBB53_333
.LBB53_196:
	s_or_b32 exec_lo, exec_lo, s1
	s_and_saveexec_b32 s1, vcc_lo
	s_cbranch_execnz .LBB53_334
.LBB53_197:
	s_or_b32 exec_lo, exec_lo, s1
	s_and_saveexec_b32 s1, vcc_lo
	s_cbranch_execnz .LBB53_335
.LBB53_198:
	s_or_b32 exec_lo, exec_lo, s1
	s_and_saveexec_b32 s1, vcc_lo
	s_cbranch_execnz .LBB53_336
.LBB53_199:
	s_or_b32 exec_lo, exec_lo, s1
	s_and_saveexec_b32 s1, vcc_lo
	s_cbranch_execnz .LBB53_337
.LBB53_200:
	s_or_b32 exec_lo, exec_lo, s1
	s_and_saveexec_b32 s1, vcc_lo
	s_cbranch_execnz .LBB53_338
.LBB53_201:
	s_or_b32 exec_lo, exec_lo, s1
	s_and_saveexec_b32 s1, vcc_lo
	s_cbranch_execnz .LBB53_339
.LBB53_202:
	s_or_b32 exec_lo, exec_lo, s1
	s_and_saveexec_b32 s1, vcc_lo
	s_cbranch_execnz .LBB53_340
.LBB53_203:
	s_or_b32 exec_lo, exec_lo, s1
	s_and_saveexec_b32 s1, vcc_lo
	s_cbranch_execnz .LBB53_341
.LBB53_204:
	s_or_b32 exec_lo, exec_lo, s1
	s_and_saveexec_b32 s1, vcc_lo
	s_cbranch_execnz .LBB53_342
.LBB53_205:
	s_or_b32 exec_lo, exec_lo, s1
	s_and_saveexec_b32 s1, vcc_lo
	s_cbranch_execnz .LBB53_343
.LBB53_206:
	s_or_b32 exec_lo, exec_lo, s1
	s_and_saveexec_b32 s1, vcc_lo
	s_cbranch_execnz .LBB53_344
.LBB53_207:
	s_or_b32 exec_lo, exec_lo, s1
	s_and_saveexec_b32 s1, vcc_lo
	s_cbranch_execnz .LBB53_345
.LBB53_208:
	s_or_b32 exec_lo, exec_lo, s1
	s_and_saveexec_b32 s1, vcc_lo
	s_cbranch_execnz .LBB53_346
.LBB53_209:
	s_or_b32 exec_lo, exec_lo, s1
	s_and_saveexec_b32 s1, vcc_lo
	s_cbranch_execnz .LBB53_347
.LBB53_210:
	s_or_b32 exec_lo, exec_lo, s1
	s_and_saveexec_b32 s1, vcc_lo
	s_cbranch_execnz .LBB53_348
.LBB53_211:
	s_or_b32 exec_lo, exec_lo, s1
	s_and_saveexec_b32 s1, vcc_lo
	s_cbranch_execnz .LBB53_349
.LBB53_212:
	s_or_b32 exec_lo, exec_lo, s1
	s_and_saveexec_b32 s1, vcc_lo
	s_cbranch_execnz .LBB53_350
.LBB53_213:
	s_or_b32 exec_lo, exec_lo, s1
	s_and_saveexec_b32 s1, vcc_lo
	s_cbranch_execnz .LBB53_351
.LBB53_214:
	s_or_b32 exec_lo, exec_lo, s1
	s_and_saveexec_b32 s1, vcc_lo
	s_cbranch_execnz .LBB53_352
.LBB53_215:
	s_or_b32 exec_lo, exec_lo, s1
	s_and_saveexec_b32 s1, vcc_lo
	s_cbranch_execnz .LBB53_353
.LBB53_216:
	s_or_b32 exec_lo, exec_lo, s1
	s_and_saveexec_b32 s1, vcc_lo
	s_cbranch_execnz .LBB53_354
.LBB53_217:
	s_or_b32 exec_lo, exec_lo, s1
	s_and_saveexec_b32 s1, vcc_lo
	s_cbranch_execnz .LBB53_355
.LBB53_218:
	s_or_b32 exec_lo, exec_lo, s1
	s_and_saveexec_b32 s1, vcc_lo
	s_cbranch_execnz .LBB53_356
.LBB53_219:
	s_or_b32 exec_lo, exec_lo, s1
	s_and_saveexec_b32 s1, vcc_lo
	s_cbranch_execnz .LBB53_357
.LBB53_220:
	s_or_b32 exec_lo, exec_lo, s1
	s_and_saveexec_b32 s1, vcc_lo
	s_cbranch_execnz .LBB53_358
.LBB53_221:
	s_or_b32 exec_lo, exec_lo, s1
	s_and_saveexec_b32 s1, vcc_lo
	s_cbranch_execnz .LBB53_359
.LBB53_222:
	s_or_b32 exec_lo, exec_lo, s1
	s_and_saveexec_b32 s1, vcc_lo
	s_cbranch_execnz .LBB53_360
.LBB53_223:
	s_or_b32 exec_lo, exec_lo, s1
	s_and_saveexec_b32 s1, vcc_lo
	s_cbranch_execnz .LBB53_361
.LBB53_224:
	s_or_b32 exec_lo, exec_lo, s1
	s_and_saveexec_b32 s1, vcc_lo
	s_cbranch_execnz .LBB53_362
.LBB53_225:
	s_or_b32 exec_lo, exec_lo, s1
	s_and_saveexec_b32 s1, vcc_lo
	s_cbranch_execnz .LBB53_363
.LBB53_226:
	s_or_b32 exec_lo, exec_lo, s1
	s_and_saveexec_b32 s1, vcc_lo
	s_cbranch_execnz .LBB53_364
.LBB53_227:
	s_or_b32 exec_lo, exec_lo, s1
	s_and_saveexec_b32 s1, vcc_lo
	s_cbranch_execnz .LBB53_365
.LBB53_228:
	s_or_b32 exec_lo, exec_lo, s1
	s_and_saveexec_b32 s1, vcc_lo
	s_cbranch_execnz .LBB53_366
.LBB53_229:
	s_or_b32 exec_lo, exec_lo, s1
	s_and_saveexec_b32 s1, vcc_lo
	s_cbranch_execnz .LBB53_367
.LBB53_230:
	s_or_b32 exec_lo, exec_lo, s1
	s_and_saveexec_b32 s1, vcc_lo
	s_cbranch_execnz .LBB53_368
.LBB53_231:
	s_or_b32 exec_lo, exec_lo, s1
	s_and_saveexec_b32 s1, vcc_lo
	s_cbranch_execnz .LBB53_369
.LBB53_232:
	s_or_b32 exec_lo, exec_lo, s1
	s_and_saveexec_b32 s1, vcc_lo
	s_cbranch_execz .LBB53_234
.LBB53_233:
	ds_load_b32 v66, v64 offset:1008
	s_wait_dscnt 0x0
	v_add_f32_e32 v53, v53, v66
.LBB53_234:
	s_or_b32 exec_lo, exec_lo, s1
.LBB53_235:
	s_delay_alu instid0(SALU_CYCLE_1)
	s_or_b32 exec_lo, exec_lo, s0
	scratch_load_b32 v66, off, off offset:880 ; 4-byte Folded Reload
	s_mov_b32 s1, exec_lo
	s_wait_loadcnt 0x0
	s_barrier_signal -1
	s_barrier_wait -1
	v_and_b32_e32 v66, 0x3e7, v66
	s_wait_xcnt 0x0
	s_delay_alu instid0(VALU_DEP_1)
	v_cmpx_eq_u32_e32 32, v66
	s_cbranch_execz .LBB53_237
; %bb.236:
	ds_store_2addr_b32 v65, v0, v1 offset1:4
	ds_store_2addr_b32 v65, v4, v5 offset0:8 offset1:12
	ds_store_2addr_b32 v65, v2, v3 offset0:16 offset1:20
	;; [unrolled: 1-line block ×31, first 2 shown]
.LBB53_237:
	s_or_b32 exec_lo, exec_lo, s1
	scratch_load_b32 v65, off, off offset:880 ; 4-byte Folded Reload
	s_mov_b32 s1, exec_lo
	s_wait_loadcnt_dscnt 0x0
	s_barrier_signal -1
	s_barrier_wait -1
	v_cmpx_gt_u32_e32 32, v65
	s_cbranch_execz .LBB53_304
; %bb.238:
	s_and_saveexec_b32 s0, vcc_lo
	s_cbranch_execnz .LBB53_370
; %bb.239:
	s_or_b32 exec_lo, exec_lo, s0
	s_and_saveexec_b32 s0, vcc_lo
	s_cbranch_execnz .LBB53_371
.LBB53_240:
	s_or_b32 exec_lo, exec_lo, s0
	s_and_saveexec_b32 s0, vcc_lo
	s_cbranch_execnz .LBB53_372
.LBB53_241:
	s_or_b32 exec_lo, exec_lo, s0
	s_and_saveexec_b32 s0, vcc_lo
	s_cbranch_execnz .LBB53_373
.LBB53_242:
	s_or_b32 exec_lo, exec_lo, s0
	s_and_saveexec_b32 s0, vcc_lo
	s_cbranch_execnz .LBB53_374
.LBB53_243:
	s_or_b32 exec_lo, exec_lo, s0
	s_and_saveexec_b32 s0, vcc_lo
	s_cbranch_execnz .LBB53_375
.LBB53_244:
	s_or_b32 exec_lo, exec_lo, s0
	s_and_saveexec_b32 s0, vcc_lo
	s_cbranch_execnz .LBB53_376
.LBB53_245:
	s_or_b32 exec_lo, exec_lo, s0
	s_and_saveexec_b32 s0, vcc_lo
	s_cbranch_execnz .LBB53_377
.LBB53_246:
	s_or_b32 exec_lo, exec_lo, s0
	s_and_saveexec_b32 s0, vcc_lo
	s_cbranch_execnz .LBB53_378
.LBB53_247:
	s_or_b32 exec_lo, exec_lo, s0
	s_and_saveexec_b32 s0, vcc_lo
	s_cbranch_execnz .LBB53_379
.LBB53_248:
	s_or_b32 exec_lo, exec_lo, s0
	s_and_saveexec_b32 s0, vcc_lo
	s_cbranch_execnz .LBB53_380
.LBB53_249:
	s_or_b32 exec_lo, exec_lo, s0
	s_and_saveexec_b32 s0, vcc_lo
	s_cbranch_execnz .LBB53_381
.LBB53_250:
	s_or_b32 exec_lo, exec_lo, s0
	s_and_saveexec_b32 s0, vcc_lo
	s_cbranch_execnz .LBB53_382
.LBB53_251:
	s_or_b32 exec_lo, exec_lo, s0
	s_and_saveexec_b32 s0, vcc_lo
	s_cbranch_execnz .LBB53_383
.LBB53_252:
	s_or_b32 exec_lo, exec_lo, s0
	s_and_saveexec_b32 s0, vcc_lo
	s_cbranch_execnz .LBB53_384
.LBB53_253:
	s_or_b32 exec_lo, exec_lo, s0
	s_and_saveexec_b32 s0, vcc_lo
	s_cbranch_execnz .LBB53_385
.LBB53_254:
	s_or_b32 exec_lo, exec_lo, s0
	s_and_saveexec_b32 s0, vcc_lo
	s_cbranch_execnz .LBB53_386
.LBB53_255:
	s_or_b32 exec_lo, exec_lo, s0
	s_and_saveexec_b32 s0, vcc_lo
	s_cbranch_execnz .LBB53_387
.LBB53_256:
	s_or_b32 exec_lo, exec_lo, s0
	s_and_saveexec_b32 s0, vcc_lo
	s_cbranch_execnz .LBB53_388
.LBB53_257:
	s_or_b32 exec_lo, exec_lo, s0
	s_and_saveexec_b32 s0, vcc_lo
	s_cbranch_execnz .LBB53_389
.LBB53_258:
	s_or_b32 exec_lo, exec_lo, s0
	s_and_saveexec_b32 s0, vcc_lo
	s_cbranch_execnz .LBB53_390
.LBB53_259:
	s_or_b32 exec_lo, exec_lo, s0
	s_and_saveexec_b32 s0, vcc_lo
	s_cbranch_execnz .LBB53_391
.LBB53_260:
	s_or_b32 exec_lo, exec_lo, s0
	s_and_saveexec_b32 s0, vcc_lo
	s_cbranch_execnz .LBB53_392
.LBB53_261:
	s_or_b32 exec_lo, exec_lo, s0
	s_and_saveexec_b32 s0, vcc_lo
	s_cbranch_execnz .LBB53_393
.LBB53_262:
	s_or_b32 exec_lo, exec_lo, s0
	s_and_saveexec_b32 s0, vcc_lo
	s_cbranch_execnz .LBB53_394
.LBB53_263:
	s_or_b32 exec_lo, exec_lo, s0
	s_and_saveexec_b32 s0, vcc_lo
	s_cbranch_execnz .LBB53_395
.LBB53_264:
	s_or_b32 exec_lo, exec_lo, s0
	s_and_saveexec_b32 s0, vcc_lo
	s_cbranch_execnz .LBB53_396
.LBB53_265:
	s_or_b32 exec_lo, exec_lo, s0
	s_and_saveexec_b32 s0, vcc_lo
	s_cbranch_execnz .LBB53_397
.LBB53_266:
	s_or_b32 exec_lo, exec_lo, s0
	s_and_saveexec_b32 s0, vcc_lo
	s_cbranch_execnz .LBB53_398
.LBB53_267:
	s_or_b32 exec_lo, exec_lo, s0
	s_and_saveexec_b32 s0, vcc_lo
	s_cbranch_execnz .LBB53_399
.LBB53_268:
	s_or_b32 exec_lo, exec_lo, s0
	s_and_saveexec_b32 s0, vcc_lo
	s_cbranch_execnz .LBB53_400
.LBB53_269:
	s_or_b32 exec_lo, exec_lo, s0
	s_and_saveexec_b32 s0, vcc_lo
	s_cbranch_execnz .LBB53_401
.LBB53_270:
	s_or_b32 exec_lo, exec_lo, s0
	s_and_saveexec_b32 s0, vcc_lo
	s_cbranch_execnz .LBB53_402
.LBB53_271:
	s_or_b32 exec_lo, exec_lo, s0
	s_and_saveexec_b32 s0, vcc_lo
	s_cbranch_execnz .LBB53_403
.LBB53_272:
	s_or_b32 exec_lo, exec_lo, s0
	s_and_saveexec_b32 s0, vcc_lo
	s_cbranch_execnz .LBB53_404
.LBB53_273:
	s_or_b32 exec_lo, exec_lo, s0
	s_and_saveexec_b32 s0, vcc_lo
	s_cbranch_execnz .LBB53_405
.LBB53_274:
	s_or_b32 exec_lo, exec_lo, s0
	s_and_saveexec_b32 s0, vcc_lo
	s_cbranch_execnz .LBB53_406
.LBB53_275:
	s_or_b32 exec_lo, exec_lo, s0
	s_and_saveexec_b32 s0, vcc_lo
	s_cbranch_execnz .LBB53_407
.LBB53_276:
	s_or_b32 exec_lo, exec_lo, s0
	s_and_saveexec_b32 s0, vcc_lo
	s_cbranch_execnz .LBB53_408
.LBB53_277:
	s_or_b32 exec_lo, exec_lo, s0
	s_and_saveexec_b32 s0, vcc_lo
	s_cbranch_execnz .LBB53_409
.LBB53_278:
	s_or_b32 exec_lo, exec_lo, s0
	s_and_saveexec_b32 s0, vcc_lo
	s_cbranch_execnz .LBB53_410
.LBB53_279:
	s_or_b32 exec_lo, exec_lo, s0
	s_and_saveexec_b32 s0, vcc_lo
	s_cbranch_execnz .LBB53_411
.LBB53_280:
	s_or_b32 exec_lo, exec_lo, s0
	s_and_saveexec_b32 s0, vcc_lo
	s_cbranch_execnz .LBB53_412
.LBB53_281:
	s_or_b32 exec_lo, exec_lo, s0
	s_and_saveexec_b32 s0, vcc_lo
	s_cbranch_execnz .LBB53_413
.LBB53_282:
	s_or_b32 exec_lo, exec_lo, s0
	s_and_saveexec_b32 s0, vcc_lo
	s_cbranch_execnz .LBB53_414
.LBB53_283:
	s_or_b32 exec_lo, exec_lo, s0
	s_and_saveexec_b32 s0, vcc_lo
	s_cbranch_execnz .LBB53_415
.LBB53_284:
	s_or_b32 exec_lo, exec_lo, s0
	s_and_saveexec_b32 s0, vcc_lo
	s_cbranch_execnz .LBB53_416
.LBB53_285:
	s_or_b32 exec_lo, exec_lo, s0
	s_and_saveexec_b32 s0, vcc_lo
	s_cbranch_execnz .LBB53_417
.LBB53_286:
	s_or_b32 exec_lo, exec_lo, s0
	s_and_saveexec_b32 s0, vcc_lo
	s_cbranch_execnz .LBB53_418
.LBB53_287:
	s_or_b32 exec_lo, exec_lo, s0
	s_and_saveexec_b32 s0, vcc_lo
	s_cbranch_execnz .LBB53_419
.LBB53_288:
	s_or_b32 exec_lo, exec_lo, s0
	s_and_saveexec_b32 s0, vcc_lo
	s_cbranch_execnz .LBB53_420
.LBB53_289:
	s_or_b32 exec_lo, exec_lo, s0
	s_and_saveexec_b32 s0, vcc_lo
	s_cbranch_execnz .LBB53_421
.LBB53_290:
	s_or_b32 exec_lo, exec_lo, s0
	s_and_saveexec_b32 s0, vcc_lo
	s_cbranch_execnz .LBB53_422
.LBB53_291:
	s_or_b32 exec_lo, exec_lo, s0
	s_and_saveexec_b32 s0, vcc_lo
	s_cbranch_execnz .LBB53_423
.LBB53_292:
	s_or_b32 exec_lo, exec_lo, s0
	s_and_saveexec_b32 s0, vcc_lo
	s_cbranch_execnz .LBB53_424
.LBB53_293:
	s_or_b32 exec_lo, exec_lo, s0
	s_and_saveexec_b32 s0, vcc_lo
	s_cbranch_execnz .LBB53_425
.LBB53_294:
	s_or_b32 exec_lo, exec_lo, s0
	s_and_saveexec_b32 s0, vcc_lo
	s_cbranch_execnz .LBB53_426
.LBB53_295:
	s_or_b32 exec_lo, exec_lo, s0
	s_and_saveexec_b32 s0, vcc_lo
	s_cbranch_execnz .LBB53_427
.LBB53_296:
	s_or_b32 exec_lo, exec_lo, s0
	s_and_saveexec_b32 s0, vcc_lo
	s_cbranch_execnz .LBB53_428
.LBB53_297:
	s_or_b32 exec_lo, exec_lo, s0
	s_and_saveexec_b32 s0, vcc_lo
	s_cbranch_execnz .LBB53_429
.LBB53_298:
	s_or_b32 exec_lo, exec_lo, s0
	s_and_saveexec_b32 s0, vcc_lo
	s_cbranch_execnz .LBB53_430
.LBB53_299:
	s_or_b32 exec_lo, exec_lo, s0
	s_and_saveexec_b32 s0, vcc_lo
	s_cbranch_execnz .LBB53_431
.LBB53_300:
	s_or_b32 exec_lo, exec_lo, s0
	s_and_saveexec_b32 s0, vcc_lo
	s_cbranch_execnz .LBB53_432
.LBB53_301:
	s_or_b32 exec_lo, exec_lo, s0
	s_and_saveexec_b32 s0, vcc_lo
	s_cbranch_execz .LBB53_303
.LBB53_302:
	ds_load_b32 v64, v64 offset:1008
	s_wait_dscnt 0x0
	v_add_f32_e32 v53, v53, v64
.LBB53_303:
	s_or_b32 exec_lo, exec_lo, s0
.LBB53_304:
	s_delay_alu instid0(SALU_CYCLE_1)
	s_or_b32 exec_lo, exec_lo, s1
	s_mov_b32 s1, 0
	s_barrier_signal -1
	s_barrier_wait -1
	s_mov_b32 s0, exec_lo
	v_cmpx_eq_u32_e32 0, v66
	s_cbranch_execz .LBB53_306
; %bb.305:
	scratch_load_b32 v64, off, off offset:880 th:TH_LOAD_LU ; 4-byte Folded Reload
	s_mul_i32 s0, s22, s9
	s_mul_i32 s2, s9, s8
	s_mul_i32 s0, s0, s21
	s_lshr_b32 s8, ttmp7, 16
	s_lshl_b32 s4, s0, 8
	s_bfe_u32 s0, ttmp6, 0x40014
	s_ashr_i32 s5, s4, 31
	s_add_co_i32 s0, s0, 1
	s_lshl_b64 s[4:5], s[4:5], 2
	s_ashr_i32 s3, s2, 31
	s_wait_kmcnt 0x0
	s_add_nc_u64 s[4:5], s[6:7], s[4:5]
	s_mul_i32 s0, s8, s0
	s_bfe_u32 s6, ttmp6, 0x40008
	s_lshl_b64 s[2:3], s[2:3], 2
	s_add_co_i32 s6, s6, s0
	s_cmp_eq_u32 s20, 0
	s_add_nc_u64 s[2:3], s[4:5], s[2:3]
	s_cselect_b32 s0, s8, s6
	s_delay_alu instid0(SALU_CYCLE_1) | instskip(NEXT) | instid1(SALU_CYCLE_1)
	s_lshl_b32 s0, s0, 10
	s_add_nc_u64 s[0:1], s[2:3], s[0:1]
	s_wait_loadcnt 0x0
	v_lshrrev_b32_e32 v64, 1, v64
	s_clause 0x3e
	global_store_b32 v64, v0, s[0:1]
	global_store_b32 v64, v1, s[0:1] offset:16
	global_store_b32 v64, v4, s[0:1] offset:32
	;; [unrolled: 1-line block ×63, first 2 shown]
.LBB53_306:
	s_sendmsg sendmsg(MSG_DEALLOC_VGPRS)
	s_endpgm
.LBB53_307:
	ds_load_b32 v66, v64
	s_wait_dscnt 0x0
	v_add_f32_e32 v0, v0, v66
	s_or_b32 exec_lo, exec_lo, s1
	s_and_saveexec_b32 s1, vcc_lo
	s_cbranch_execz .LBB53_171
.LBB53_308:
	ds_load_b32 v66, v64 offset:16
	s_wait_dscnt 0x0
	v_add_f32_e32 v1, v1, v66
	s_or_b32 exec_lo, exec_lo, s1
	s_and_saveexec_b32 s1, vcc_lo
	s_cbranch_execz .LBB53_172
.LBB53_309:
	ds_load_b32 v66, v64 offset:32
	s_wait_dscnt 0x0
	v_add_f32_e32 v4, v4, v66
	s_or_b32 exec_lo, exec_lo, s1
	s_and_saveexec_b32 s1, vcc_lo
	s_cbranch_execz .LBB53_173
.LBB53_310:
	ds_load_b32 v66, v64 offset:48
	s_wait_dscnt 0x0
	v_add_f32_e32 v5, v5, v66
	s_or_b32 exec_lo, exec_lo, s1
	s_and_saveexec_b32 s1, vcc_lo
	s_cbranch_execz .LBB53_174
.LBB53_311:
	ds_load_b32 v66, v64 offset:64
	s_wait_dscnt 0x0
	v_add_f32_e32 v2, v2, v66
	s_or_b32 exec_lo, exec_lo, s1
	s_and_saveexec_b32 s1, vcc_lo
	s_cbranch_execz .LBB53_175
.LBB53_312:
	ds_load_b32 v66, v64 offset:80
	s_wait_dscnt 0x0
	v_add_f32_e32 v3, v3, v66
	s_or_b32 exec_lo, exec_lo, s1
	s_and_saveexec_b32 s1, vcc_lo
	s_cbranch_execz .LBB53_176
.LBB53_313:
	ds_load_b32 v66, v64 offset:96
	s_wait_dscnt 0x0
	v_add_f32_e32 v10, v10, v66
	s_or_b32 exec_lo, exec_lo, s1
	s_and_saveexec_b32 s1, vcc_lo
	s_cbranch_execz .LBB53_177
.LBB53_314:
	ds_load_b32 v66, v64 offset:112
	s_wait_dscnt 0x0
	v_add_f32_e32 v11, v11, v66
	s_or_b32 exec_lo, exec_lo, s1
	s_and_saveexec_b32 s1, vcc_lo
	s_cbranch_execz .LBB53_178
.LBB53_315:
	ds_load_b32 v66, v64 offset:128
	s_wait_dscnt 0x0
	v_add_f32_e32 v12, v12, v66
	s_or_b32 exec_lo, exec_lo, s1
	s_and_saveexec_b32 s1, vcc_lo
	s_cbranch_execz .LBB53_179
.LBB53_316:
	ds_load_b32 v66, v64 offset:144
	s_wait_dscnt 0x0
	v_add_f32_e32 v13, v13, v66
	s_or_b32 exec_lo, exec_lo, s1
	s_and_saveexec_b32 s1, vcc_lo
	s_cbranch_execz .LBB53_180
.LBB53_317:
	ds_load_b32 v66, v64 offset:160
	s_wait_dscnt 0x0
	v_add_f32_e32 v8, v8, v66
	s_or_b32 exec_lo, exec_lo, s1
	s_and_saveexec_b32 s1, vcc_lo
	s_cbranch_execz .LBB53_181
.LBB53_318:
	ds_load_b32 v66, v64 offset:176
	s_wait_dscnt 0x0
	v_add_f32_e32 v9, v9, v66
	s_or_b32 exec_lo, exec_lo, s1
	s_and_saveexec_b32 s1, vcc_lo
	s_cbranch_execz .LBB53_182
.LBB53_319:
	ds_load_b32 v66, v64 offset:192
	s_wait_dscnt 0x0
	v_add_f32_e32 v6, v6, v66
	s_or_b32 exec_lo, exec_lo, s1
	s_and_saveexec_b32 s1, vcc_lo
	s_cbranch_execz .LBB53_183
.LBB53_320:
	ds_load_b32 v66, v64 offset:208
	s_wait_dscnt 0x0
	v_add_f32_e32 v7, v7, v66
	s_or_b32 exec_lo, exec_lo, s1
	s_and_saveexec_b32 s1, vcc_lo
	s_cbranch_execz .LBB53_184
.LBB53_321:
	ds_load_b32 v66, v64 offset:224
	s_wait_dscnt 0x0
	v_add_f32_e32 v16, v16, v66
	s_or_b32 exec_lo, exec_lo, s1
	s_and_saveexec_b32 s1, vcc_lo
	s_cbranch_execz .LBB53_185
.LBB53_322:
	ds_load_b32 v66, v64 offset:240
	s_wait_dscnt 0x0
	v_add_f32_e32 v17, v17, v66
	s_or_b32 exec_lo, exec_lo, s1
	s_and_saveexec_b32 s1, vcc_lo
	s_cbranch_execz .LBB53_186
.LBB53_323:
	ds_load_b32 v66, v64 offset:256
	s_wait_dscnt 0x0
	v_add_f32_e32 v14, v14, v66
	s_or_b32 exec_lo, exec_lo, s1
	s_and_saveexec_b32 s1, vcc_lo
	s_cbranch_execz .LBB53_187
.LBB53_324:
	ds_load_b32 v66, v64 offset:272
	s_wait_dscnt 0x0
	v_add_f32_e32 v15, v15, v66
	s_or_b32 exec_lo, exec_lo, s1
	s_and_saveexec_b32 s1, vcc_lo
	s_cbranch_execz .LBB53_188
.LBB53_325:
	ds_load_b32 v66, v64 offset:288
	s_wait_dscnt 0x0
	v_add_f32_e32 v20, v20, v66
	s_or_b32 exec_lo, exec_lo, s1
	s_and_saveexec_b32 s1, vcc_lo
	s_cbranch_execz .LBB53_189
.LBB53_326:
	ds_load_b32 v66, v64 offset:304
	s_wait_dscnt 0x0
	v_add_f32_e32 v21, v21, v66
	s_or_b32 exec_lo, exec_lo, s1
	s_and_saveexec_b32 s1, vcc_lo
	s_cbranch_execz .LBB53_190
.LBB53_327:
	ds_load_b32 v66, v64 offset:320
	s_wait_dscnt 0x0
	v_add_f32_e32 v18, v18, v66
	s_or_b32 exec_lo, exec_lo, s1
	s_and_saveexec_b32 s1, vcc_lo
	s_cbranch_execz .LBB53_191
.LBB53_328:
	ds_load_b32 v66, v64 offset:336
	s_wait_dscnt 0x0
	v_add_f32_e32 v19, v19, v66
	s_or_b32 exec_lo, exec_lo, s1
	s_and_saveexec_b32 s1, vcc_lo
	s_cbranch_execz .LBB53_192
.LBB53_329:
	ds_load_b32 v66, v64 offset:352
	s_wait_dscnt 0x0
	v_add_f32_e32 v26, v26, v66
	s_or_b32 exec_lo, exec_lo, s1
	s_and_saveexec_b32 s1, vcc_lo
	s_cbranch_execz .LBB53_193
.LBB53_330:
	ds_load_b32 v66, v64 offset:368
	s_wait_dscnt 0x0
	v_add_f32_e32 v27, v27, v66
	s_or_b32 exec_lo, exec_lo, s1
	s_and_saveexec_b32 s1, vcc_lo
	s_cbranch_execz .LBB53_194
.LBB53_331:
	ds_load_b32 v66, v64 offset:384
	s_wait_dscnt 0x0
	v_add_f32_e32 v24, v24, v66
	s_or_b32 exec_lo, exec_lo, s1
	s_and_saveexec_b32 s1, vcc_lo
	s_cbranch_execz .LBB53_195
.LBB53_332:
	ds_load_b32 v66, v64 offset:400
	s_wait_dscnt 0x0
	v_add_f32_e32 v25, v25, v66
	s_or_b32 exec_lo, exec_lo, s1
	s_and_saveexec_b32 s1, vcc_lo
	s_cbranch_execz .LBB53_196
.LBB53_333:
	ds_load_b32 v66, v64 offset:416
	s_wait_dscnt 0x0
	v_add_f32_e32 v22, v22, v66
	s_or_b32 exec_lo, exec_lo, s1
	s_and_saveexec_b32 s1, vcc_lo
	s_cbranch_execz .LBB53_197
.LBB53_334:
	ds_load_b32 v66, v64 offset:432
	s_wait_dscnt 0x0
	v_add_f32_e32 v23, v23, v66
	s_or_b32 exec_lo, exec_lo, s1
	s_and_saveexec_b32 s1, vcc_lo
	s_cbranch_execz .LBB53_198
.LBB53_335:
	ds_load_b32 v66, v64 offset:448
	s_wait_dscnt 0x0
	v_add_f32_e32 v62, v62, v66
	s_or_b32 exec_lo, exec_lo, s1
	s_and_saveexec_b32 s1, vcc_lo
	s_cbranch_execz .LBB53_199
.LBB53_336:
	ds_load_b32 v66, v64 offset:464
	s_wait_dscnt 0x0
	v_add_f32_e32 v63, v63, v66
	s_or_b32 exec_lo, exec_lo, s1
	s_and_saveexec_b32 s1, vcc_lo
	s_cbranch_execz .LBB53_200
.LBB53_337:
	ds_load_b32 v66, v64 offset:480
	s_wait_dscnt 0x0
	v_add_f32_e32 v60, v60, v66
	s_or_b32 exec_lo, exec_lo, s1
	s_and_saveexec_b32 s1, vcc_lo
	s_cbranch_execz .LBB53_201
.LBB53_338:
	ds_load_b32 v66, v64 offset:496
	s_wait_dscnt 0x0
	v_add_f32_e32 v61, v61, v66
	s_or_b32 exec_lo, exec_lo, s1
	s_and_saveexec_b32 s1, vcc_lo
	s_cbranch_execz .LBB53_202
.LBB53_339:
	ds_load_b32 v66, v64 offset:512
	s_wait_dscnt 0x0
	v_add_f32_e32 v58, v58, v66
	s_or_b32 exec_lo, exec_lo, s1
	s_and_saveexec_b32 s1, vcc_lo
	s_cbranch_execz .LBB53_203
.LBB53_340:
	ds_load_b32 v66, v64 offset:528
	s_wait_dscnt 0x0
	v_add_f32_e32 v59, v59, v66
	s_or_b32 exec_lo, exec_lo, s1
	s_and_saveexec_b32 s1, vcc_lo
	s_cbranch_execz .LBB53_204
.LBB53_341:
	ds_load_b32 v66, v64 offset:544
	s_wait_dscnt 0x0
	v_add_f32_e32 v56, v56, v66
	s_or_b32 exec_lo, exec_lo, s1
	s_and_saveexec_b32 s1, vcc_lo
	s_cbranch_execz .LBB53_205
.LBB53_342:
	ds_load_b32 v66, v64 offset:560
	s_wait_dscnt 0x0
	v_add_f32_e32 v57, v57, v66
	s_or_b32 exec_lo, exec_lo, s1
	s_and_saveexec_b32 s1, vcc_lo
	s_cbranch_execz .LBB53_206
.LBB53_343:
	ds_load_b32 v66, v64 offset:576
	s_wait_dscnt 0x0
	v_add_f32_e32 v54, v54, v66
	s_or_b32 exec_lo, exec_lo, s1
	s_and_saveexec_b32 s1, vcc_lo
	s_cbranch_execz .LBB53_207
.LBB53_344:
	ds_load_b32 v66, v64 offset:592
	s_wait_dscnt 0x0
	v_add_f32_e32 v55, v55, v66
	s_or_b32 exec_lo, exec_lo, s1
	s_and_saveexec_b32 s1, vcc_lo
	s_cbranch_execz .LBB53_208
.LBB53_345:
	ds_load_b32 v66, v64 offset:608
	s_wait_dscnt 0x0
	v_add_f32_e32 v50, v50, v66
	s_or_b32 exec_lo, exec_lo, s1
	s_and_saveexec_b32 s1, vcc_lo
	s_cbranch_execz .LBB53_209
.LBB53_346:
	ds_load_b32 v66, v64 offset:624
	s_wait_dscnt 0x0
	v_add_f32_e32 v51, v51, v66
	s_or_b32 exec_lo, exec_lo, s1
	s_and_saveexec_b32 s1, vcc_lo
	s_cbranch_execz .LBB53_210
.LBB53_347:
	ds_load_b32 v66, v64 offset:640
	s_wait_dscnt 0x0
	v_add_f32_e32 v48, v48, v66
	s_or_b32 exec_lo, exec_lo, s1
	s_and_saveexec_b32 s1, vcc_lo
	s_cbranch_execz .LBB53_211
.LBB53_348:
	ds_load_b32 v66, v64 offset:656
	s_wait_dscnt 0x0
	v_add_f32_e32 v49, v49, v66
	s_or_b32 exec_lo, exec_lo, s1
	s_and_saveexec_b32 s1, vcc_lo
	s_cbranch_execz .LBB53_212
.LBB53_349:
	ds_load_b32 v66, v64 offset:672
	s_wait_dscnt 0x0
	v_add_f32_e32 v44, v44, v66
	s_or_b32 exec_lo, exec_lo, s1
	s_and_saveexec_b32 s1, vcc_lo
	s_cbranch_execz .LBB53_213
.LBB53_350:
	ds_load_b32 v66, v64 offset:688
	s_wait_dscnt 0x0
	v_add_f32_e32 v45, v45, v66
	s_or_b32 exec_lo, exec_lo, s1
	s_and_saveexec_b32 s1, vcc_lo
	s_cbranch_execz .LBB53_214
.LBB53_351:
	ds_load_b32 v66, v64 offset:704
	s_wait_dscnt 0x0
	v_add_f32_e32 v42, v42, v66
	s_or_b32 exec_lo, exec_lo, s1
	s_and_saveexec_b32 s1, vcc_lo
	s_cbranch_execz .LBB53_215
.LBB53_352:
	ds_load_b32 v66, v64 offset:720
	s_wait_dscnt 0x0
	v_add_f32_e32 v43, v43, v66
	s_or_b32 exec_lo, exec_lo, s1
	s_and_saveexec_b32 s1, vcc_lo
	s_cbranch_execz .LBB53_216
.LBB53_353:
	ds_load_b32 v66, v64 offset:736
	s_wait_dscnt 0x0
	v_add_f32_e32 v40, v40, v66
	s_or_b32 exec_lo, exec_lo, s1
	s_and_saveexec_b32 s1, vcc_lo
	s_cbranch_execz .LBB53_217
.LBB53_354:
	ds_load_b32 v66, v64 offset:752
	s_wait_dscnt 0x0
	v_add_f32_e32 v41, v41, v66
	s_or_b32 exec_lo, exec_lo, s1
	s_and_saveexec_b32 s1, vcc_lo
	s_cbranch_execz .LBB53_218
.LBB53_355:
	ds_load_b32 v66, v64 offset:768
	s_wait_dscnt 0x0
	v_add_f32_e32 v38, v38, v66
	s_or_b32 exec_lo, exec_lo, s1
	s_and_saveexec_b32 s1, vcc_lo
	s_cbranch_execz .LBB53_219
.LBB53_356:
	ds_load_b32 v66, v64 offset:784
	s_wait_dscnt 0x0
	v_add_f32_e32 v39, v39, v66
	s_or_b32 exec_lo, exec_lo, s1
	s_and_saveexec_b32 s1, vcc_lo
	s_cbranch_execz .LBB53_220
.LBB53_357:
	ds_load_b32 v66, v64 offset:800
	s_wait_dscnt 0x0
	v_add_f32_e32 v36, v36, v66
	s_or_b32 exec_lo, exec_lo, s1
	s_and_saveexec_b32 s1, vcc_lo
	s_cbranch_execz .LBB53_221
.LBB53_358:
	ds_load_b32 v66, v64 offset:816
	s_wait_dscnt 0x0
	v_add_f32_e32 v37, v37, v66
	s_or_b32 exec_lo, exec_lo, s1
	s_and_saveexec_b32 s1, vcc_lo
	s_cbranch_execz .LBB53_222
.LBB53_359:
	ds_load_b32 v66, v64 offset:832
	s_wait_dscnt 0x0
	v_add_f32_e32 v34, v34, v66
	s_or_b32 exec_lo, exec_lo, s1
	s_and_saveexec_b32 s1, vcc_lo
	s_cbranch_execz .LBB53_223
.LBB53_360:
	ds_load_b32 v66, v64 offset:848
	s_wait_dscnt 0x0
	v_add_f32_e32 v35, v35, v66
	s_or_b32 exec_lo, exec_lo, s1
	s_and_saveexec_b32 s1, vcc_lo
	s_cbranch_execz .LBB53_224
.LBB53_361:
	ds_load_b32 v66, v64 offset:864
	s_wait_dscnt 0x0
	v_add_f32_e32 v32, v32, v66
	s_or_b32 exec_lo, exec_lo, s1
	s_and_saveexec_b32 s1, vcc_lo
	s_cbranch_execz .LBB53_225
.LBB53_362:
	ds_load_b32 v66, v64 offset:880
	s_wait_dscnt 0x0
	v_add_f32_e32 v33, v33, v66
	s_or_b32 exec_lo, exec_lo, s1
	s_and_saveexec_b32 s1, vcc_lo
	s_cbranch_execz .LBB53_226
.LBB53_363:
	ds_load_b32 v66, v64 offset:896
	s_wait_dscnt 0x0
	v_add_f32_e32 v30, v30, v66
	s_or_b32 exec_lo, exec_lo, s1
	s_and_saveexec_b32 s1, vcc_lo
	s_cbranch_execz .LBB53_227
.LBB53_364:
	ds_load_b32 v66, v64 offset:912
	s_wait_dscnt 0x0
	v_add_f32_e32 v31, v31, v66
	s_or_b32 exec_lo, exec_lo, s1
	s_and_saveexec_b32 s1, vcc_lo
	s_cbranch_execz .LBB53_228
.LBB53_365:
	ds_load_b32 v66, v64 offset:928
	s_wait_dscnt 0x0
	v_add_f32_e32 v28, v28, v66
	s_or_b32 exec_lo, exec_lo, s1
	s_and_saveexec_b32 s1, vcc_lo
	s_cbranch_execz .LBB53_229
.LBB53_366:
	ds_load_b32 v66, v64 offset:944
	s_wait_dscnt 0x0
	v_add_f32_e32 v29, v29, v66
	s_or_b32 exec_lo, exec_lo, s1
	s_and_saveexec_b32 s1, vcc_lo
	s_cbranch_execz .LBB53_230
.LBB53_367:
	ds_load_b32 v66, v64 offset:960
	s_wait_dscnt 0x0
	v_add_f32_e32 v46, v46, v66
	s_or_b32 exec_lo, exec_lo, s1
	s_and_saveexec_b32 s1, vcc_lo
	s_cbranch_execz .LBB53_231
.LBB53_368:
	ds_load_b32 v66, v64 offset:976
	s_wait_dscnt 0x0
	v_add_f32_e32 v47, v47, v66
	s_or_b32 exec_lo, exec_lo, s1
	s_and_saveexec_b32 s1, vcc_lo
	s_cbranch_execz .LBB53_232
.LBB53_369:
	ds_load_b32 v66, v64 offset:992
	s_wait_dscnt 0x0
	v_add_f32_e32 v52, v52, v66
	s_or_b32 exec_lo, exec_lo, s1
	s_and_saveexec_b32 s1, vcc_lo
	s_cbranch_execnz .LBB53_233
	s_branch .LBB53_234
.LBB53_370:
	ds_load_b32 v65, v64
	s_wait_dscnt 0x0
	v_add_f32_e32 v0, v0, v65
	s_or_b32 exec_lo, exec_lo, s0
	s_and_saveexec_b32 s0, vcc_lo
	s_cbranch_execz .LBB53_240
.LBB53_371:
	ds_load_b32 v65, v64 offset:16
	s_wait_dscnt 0x0
	v_add_f32_e32 v1, v1, v65
	s_or_b32 exec_lo, exec_lo, s0
	s_and_saveexec_b32 s0, vcc_lo
	s_cbranch_execz .LBB53_241
.LBB53_372:
	ds_load_b32 v65, v64 offset:32
	s_wait_dscnt 0x0
	v_add_f32_e32 v4, v4, v65
	s_or_b32 exec_lo, exec_lo, s0
	s_and_saveexec_b32 s0, vcc_lo
	s_cbranch_execz .LBB53_242
.LBB53_373:
	ds_load_b32 v65, v64 offset:48
	s_wait_dscnt 0x0
	v_add_f32_e32 v5, v5, v65
	s_or_b32 exec_lo, exec_lo, s0
	s_and_saveexec_b32 s0, vcc_lo
	s_cbranch_execz .LBB53_243
.LBB53_374:
	ds_load_b32 v65, v64 offset:64
	s_wait_dscnt 0x0
	v_add_f32_e32 v2, v2, v65
	s_or_b32 exec_lo, exec_lo, s0
	s_and_saveexec_b32 s0, vcc_lo
	s_cbranch_execz .LBB53_244
.LBB53_375:
	ds_load_b32 v65, v64 offset:80
	s_wait_dscnt 0x0
	v_add_f32_e32 v3, v3, v65
	s_or_b32 exec_lo, exec_lo, s0
	s_and_saveexec_b32 s0, vcc_lo
	s_cbranch_execz .LBB53_245
.LBB53_376:
	ds_load_b32 v65, v64 offset:96
	s_wait_dscnt 0x0
	v_add_f32_e32 v10, v10, v65
	s_or_b32 exec_lo, exec_lo, s0
	s_and_saveexec_b32 s0, vcc_lo
	s_cbranch_execz .LBB53_246
.LBB53_377:
	ds_load_b32 v65, v64 offset:112
	s_wait_dscnt 0x0
	v_add_f32_e32 v11, v11, v65
	s_or_b32 exec_lo, exec_lo, s0
	s_and_saveexec_b32 s0, vcc_lo
	s_cbranch_execz .LBB53_247
.LBB53_378:
	ds_load_b32 v65, v64 offset:128
	s_wait_dscnt 0x0
	v_add_f32_e32 v12, v12, v65
	s_or_b32 exec_lo, exec_lo, s0
	s_and_saveexec_b32 s0, vcc_lo
	s_cbranch_execz .LBB53_248
.LBB53_379:
	ds_load_b32 v65, v64 offset:144
	s_wait_dscnt 0x0
	v_add_f32_e32 v13, v13, v65
	s_or_b32 exec_lo, exec_lo, s0
	s_and_saveexec_b32 s0, vcc_lo
	s_cbranch_execz .LBB53_249
.LBB53_380:
	ds_load_b32 v65, v64 offset:160
	s_wait_dscnt 0x0
	v_add_f32_e32 v8, v8, v65
	s_or_b32 exec_lo, exec_lo, s0
	s_and_saveexec_b32 s0, vcc_lo
	s_cbranch_execz .LBB53_250
.LBB53_381:
	ds_load_b32 v65, v64 offset:176
	s_wait_dscnt 0x0
	v_add_f32_e32 v9, v9, v65
	s_or_b32 exec_lo, exec_lo, s0
	s_and_saveexec_b32 s0, vcc_lo
	s_cbranch_execz .LBB53_251
.LBB53_382:
	ds_load_b32 v65, v64 offset:192
	s_wait_dscnt 0x0
	v_add_f32_e32 v6, v6, v65
	s_or_b32 exec_lo, exec_lo, s0
	s_and_saveexec_b32 s0, vcc_lo
	s_cbranch_execz .LBB53_252
.LBB53_383:
	ds_load_b32 v65, v64 offset:208
	s_wait_dscnt 0x0
	v_add_f32_e32 v7, v7, v65
	s_or_b32 exec_lo, exec_lo, s0
	s_and_saveexec_b32 s0, vcc_lo
	s_cbranch_execz .LBB53_253
.LBB53_384:
	ds_load_b32 v65, v64 offset:224
	s_wait_dscnt 0x0
	v_add_f32_e32 v16, v16, v65
	s_or_b32 exec_lo, exec_lo, s0
	s_and_saveexec_b32 s0, vcc_lo
	s_cbranch_execz .LBB53_254
.LBB53_385:
	ds_load_b32 v65, v64 offset:240
	s_wait_dscnt 0x0
	v_add_f32_e32 v17, v17, v65
	s_or_b32 exec_lo, exec_lo, s0
	s_and_saveexec_b32 s0, vcc_lo
	s_cbranch_execz .LBB53_255
.LBB53_386:
	ds_load_b32 v65, v64 offset:256
	s_wait_dscnt 0x0
	v_add_f32_e32 v14, v14, v65
	s_or_b32 exec_lo, exec_lo, s0
	s_and_saveexec_b32 s0, vcc_lo
	s_cbranch_execz .LBB53_256
.LBB53_387:
	ds_load_b32 v65, v64 offset:272
	s_wait_dscnt 0x0
	v_add_f32_e32 v15, v15, v65
	s_or_b32 exec_lo, exec_lo, s0
	s_and_saveexec_b32 s0, vcc_lo
	s_cbranch_execz .LBB53_257
.LBB53_388:
	ds_load_b32 v65, v64 offset:288
	s_wait_dscnt 0x0
	v_add_f32_e32 v20, v20, v65
	s_or_b32 exec_lo, exec_lo, s0
	s_and_saveexec_b32 s0, vcc_lo
	s_cbranch_execz .LBB53_258
.LBB53_389:
	ds_load_b32 v65, v64 offset:304
	s_wait_dscnt 0x0
	v_add_f32_e32 v21, v21, v65
	s_or_b32 exec_lo, exec_lo, s0
	s_and_saveexec_b32 s0, vcc_lo
	s_cbranch_execz .LBB53_259
.LBB53_390:
	ds_load_b32 v65, v64 offset:320
	s_wait_dscnt 0x0
	v_add_f32_e32 v18, v18, v65
	s_or_b32 exec_lo, exec_lo, s0
	s_and_saveexec_b32 s0, vcc_lo
	s_cbranch_execz .LBB53_260
.LBB53_391:
	ds_load_b32 v65, v64 offset:336
	s_wait_dscnt 0x0
	v_add_f32_e32 v19, v19, v65
	s_or_b32 exec_lo, exec_lo, s0
	s_and_saveexec_b32 s0, vcc_lo
	s_cbranch_execz .LBB53_261
.LBB53_392:
	ds_load_b32 v65, v64 offset:352
	s_wait_dscnt 0x0
	v_add_f32_e32 v26, v26, v65
	s_or_b32 exec_lo, exec_lo, s0
	s_and_saveexec_b32 s0, vcc_lo
	s_cbranch_execz .LBB53_262
.LBB53_393:
	ds_load_b32 v65, v64 offset:368
	s_wait_dscnt 0x0
	v_add_f32_e32 v27, v27, v65
	s_or_b32 exec_lo, exec_lo, s0
	s_and_saveexec_b32 s0, vcc_lo
	s_cbranch_execz .LBB53_263
.LBB53_394:
	ds_load_b32 v65, v64 offset:384
	s_wait_dscnt 0x0
	v_add_f32_e32 v24, v24, v65
	s_or_b32 exec_lo, exec_lo, s0
	s_and_saveexec_b32 s0, vcc_lo
	s_cbranch_execz .LBB53_264
.LBB53_395:
	ds_load_b32 v65, v64 offset:400
	s_wait_dscnt 0x0
	v_add_f32_e32 v25, v25, v65
	s_or_b32 exec_lo, exec_lo, s0
	s_and_saveexec_b32 s0, vcc_lo
	s_cbranch_execz .LBB53_265
.LBB53_396:
	ds_load_b32 v65, v64 offset:416
	s_wait_dscnt 0x0
	v_add_f32_e32 v22, v22, v65
	s_or_b32 exec_lo, exec_lo, s0
	s_and_saveexec_b32 s0, vcc_lo
	s_cbranch_execz .LBB53_266
.LBB53_397:
	ds_load_b32 v65, v64 offset:432
	s_wait_dscnt 0x0
	v_add_f32_e32 v23, v23, v65
	s_or_b32 exec_lo, exec_lo, s0
	s_and_saveexec_b32 s0, vcc_lo
	s_cbranch_execz .LBB53_267
.LBB53_398:
	ds_load_b32 v65, v64 offset:448
	s_wait_dscnt 0x0
	v_add_f32_e32 v62, v62, v65
	s_or_b32 exec_lo, exec_lo, s0
	s_and_saveexec_b32 s0, vcc_lo
	s_cbranch_execz .LBB53_268
.LBB53_399:
	ds_load_b32 v65, v64 offset:464
	s_wait_dscnt 0x0
	v_add_f32_e32 v63, v63, v65
	s_or_b32 exec_lo, exec_lo, s0
	s_and_saveexec_b32 s0, vcc_lo
	s_cbranch_execz .LBB53_269
.LBB53_400:
	ds_load_b32 v65, v64 offset:480
	s_wait_dscnt 0x0
	v_add_f32_e32 v60, v60, v65
	s_or_b32 exec_lo, exec_lo, s0
	s_and_saveexec_b32 s0, vcc_lo
	s_cbranch_execz .LBB53_270
.LBB53_401:
	ds_load_b32 v65, v64 offset:496
	s_wait_dscnt 0x0
	v_add_f32_e32 v61, v61, v65
	s_or_b32 exec_lo, exec_lo, s0
	s_and_saveexec_b32 s0, vcc_lo
	s_cbranch_execz .LBB53_271
.LBB53_402:
	ds_load_b32 v65, v64 offset:512
	s_wait_dscnt 0x0
	v_add_f32_e32 v58, v58, v65
	s_or_b32 exec_lo, exec_lo, s0
	s_and_saveexec_b32 s0, vcc_lo
	s_cbranch_execz .LBB53_272
.LBB53_403:
	ds_load_b32 v65, v64 offset:528
	s_wait_dscnt 0x0
	v_add_f32_e32 v59, v59, v65
	s_or_b32 exec_lo, exec_lo, s0
	s_and_saveexec_b32 s0, vcc_lo
	s_cbranch_execz .LBB53_273
.LBB53_404:
	ds_load_b32 v65, v64 offset:544
	s_wait_dscnt 0x0
	v_add_f32_e32 v56, v56, v65
	s_or_b32 exec_lo, exec_lo, s0
	s_and_saveexec_b32 s0, vcc_lo
	s_cbranch_execz .LBB53_274
.LBB53_405:
	ds_load_b32 v65, v64 offset:560
	s_wait_dscnt 0x0
	v_add_f32_e32 v57, v57, v65
	s_or_b32 exec_lo, exec_lo, s0
	s_and_saveexec_b32 s0, vcc_lo
	s_cbranch_execz .LBB53_275
.LBB53_406:
	ds_load_b32 v65, v64 offset:576
	s_wait_dscnt 0x0
	v_add_f32_e32 v54, v54, v65
	s_or_b32 exec_lo, exec_lo, s0
	s_and_saveexec_b32 s0, vcc_lo
	s_cbranch_execz .LBB53_276
.LBB53_407:
	ds_load_b32 v65, v64 offset:592
	s_wait_dscnt 0x0
	v_add_f32_e32 v55, v55, v65
	s_or_b32 exec_lo, exec_lo, s0
	s_and_saveexec_b32 s0, vcc_lo
	s_cbranch_execz .LBB53_277
.LBB53_408:
	ds_load_b32 v65, v64 offset:608
	s_wait_dscnt 0x0
	v_add_f32_e32 v50, v50, v65
	s_or_b32 exec_lo, exec_lo, s0
	s_and_saveexec_b32 s0, vcc_lo
	s_cbranch_execz .LBB53_278
.LBB53_409:
	ds_load_b32 v65, v64 offset:624
	s_wait_dscnt 0x0
	v_add_f32_e32 v51, v51, v65
	s_or_b32 exec_lo, exec_lo, s0
	s_and_saveexec_b32 s0, vcc_lo
	s_cbranch_execz .LBB53_279
.LBB53_410:
	ds_load_b32 v65, v64 offset:640
	s_wait_dscnt 0x0
	v_add_f32_e32 v48, v48, v65
	s_or_b32 exec_lo, exec_lo, s0
	s_and_saveexec_b32 s0, vcc_lo
	s_cbranch_execz .LBB53_280
.LBB53_411:
	ds_load_b32 v65, v64 offset:656
	s_wait_dscnt 0x0
	v_add_f32_e32 v49, v49, v65
	s_or_b32 exec_lo, exec_lo, s0
	s_and_saveexec_b32 s0, vcc_lo
	s_cbranch_execz .LBB53_281
.LBB53_412:
	ds_load_b32 v65, v64 offset:672
	s_wait_dscnt 0x0
	v_add_f32_e32 v44, v44, v65
	s_or_b32 exec_lo, exec_lo, s0
	s_and_saveexec_b32 s0, vcc_lo
	s_cbranch_execz .LBB53_282
.LBB53_413:
	ds_load_b32 v65, v64 offset:688
	s_wait_dscnt 0x0
	v_add_f32_e32 v45, v45, v65
	s_or_b32 exec_lo, exec_lo, s0
	s_and_saveexec_b32 s0, vcc_lo
	s_cbranch_execz .LBB53_283
.LBB53_414:
	ds_load_b32 v65, v64 offset:704
	s_wait_dscnt 0x0
	v_add_f32_e32 v42, v42, v65
	s_or_b32 exec_lo, exec_lo, s0
	s_and_saveexec_b32 s0, vcc_lo
	s_cbranch_execz .LBB53_284
.LBB53_415:
	ds_load_b32 v65, v64 offset:720
	s_wait_dscnt 0x0
	v_add_f32_e32 v43, v43, v65
	s_or_b32 exec_lo, exec_lo, s0
	s_and_saveexec_b32 s0, vcc_lo
	s_cbranch_execz .LBB53_285
.LBB53_416:
	ds_load_b32 v65, v64 offset:736
	s_wait_dscnt 0x0
	v_add_f32_e32 v40, v40, v65
	s_or_b32 exec_lo, exec_lo, s0
	s_and_saveexec_b32 s0, vcc_lo
	s_cbranch_execz .LBB53_286
.LBB53_417:
	ds_load_b32 v65, v64 offset:752
	s_wait_dscnt 0x0
	v_add_f32_e32 v41, v41, v65
	s_or_b32 exec_lo, exec_lo, s0
	s_and_saveexec_b32 s0, vcc_lo
	s_cbranch_execz .LBB53_287
.LBB53_418:
	ds_load_b32 v65, v64 offset:768
	s_wait_dscnt 0x0
	v_add_f32_e32 v38, v38, v65
	s_or_b32 exec_lo, exec_lo, s0
	s_and_saveexec_b32 s0, vcc_lo
	s_cbranch_execz .LBB53_288
.LBB53_419:
	ds_load_b32 v65, v64 offset:784
	s_wait_dscnt 0x0
	v_add_f32_e32 v39, v39, v65
	s_or_b32 exec_lo, exec_lo, s0
	s_and_saveexec_b32 s0, vcc_lo
	s_cbranch_execz .LBB53_289
.LBB53_420:
	ds_load_b32 v65, v64 offset:800
	s_wait_dscnt 0x0
	v_add_f32_e32 v36, v36, v65
	s_or_b32 exec_lo, exec_lo, s0
	s_and_saveexec_b32 s0, vcc_lo
	s_cbranch_execz .LBB53_290
.LBB53_421:
	ds_load_b32 v65, v64 offset:816
	s_wait_dscnt 0x0
	v_add_f32_e32 v37, v37, v65
	s_or_b32 exec_lo, exec_lo, s0
	s_and_saveexec_b32 s0, vcc_lo
	s_cbranch_execz .LBB53_291
.LBB53_422:
	ds_load_b32 v65, v64 offset:832
	s_wait_dscnt 0x0
	v_add_f32_e32 v34, v34, v65
	s_or_b32 exec_lo, exec_lo, s0
	s_and_saveexec_b32 s0, vcc_lo
	s_cbranch_execz .LBB53_292
.LBB53_423:
	ds_load_b32 v65, v64 offset:848
	s_wait_dscnt 0x0
	v_add_f32_e32 v35, v35, v65
	s_or_b32 exec_lo, exec_lo, s0
	s_and_saveexec_b32 s0, vcc_lo
	s_cbranch_execz .LBB53_293
.LBB53_424:
	ds_load_b32 v65, v64 offset:864
	s_wait_dscnt 0x0
	v_add_f32_e32 v32, v32, v65
	s_or_b32 exec_lo, exec_lo, s0
	s_and_saveexec_b32 s0, vcc_lo
	s_cbranch_execz .LBB53_294
.LBB53_425:
	ds_load_b32 v65, v64 offset:880
	s_wait_dscnt 0x0
	v_add_f32_e32 v33, v33, v65
	s_or_b32 exec_lo, exec_lo, s0
	s_and_saveexec_b32 s0, vcc_lo
	s_cbranch_execz .LBB53_295
.LBB53_426:
	ds_load_b32 v65, v64 offset:896
	s_wait_dscnt 0x0
	v_add_f32_e32 v30, v30, v65
	s_or_b32 exec_lo, exec_lo, s0
	s_and_saveexec_b32 s0, vcc_lo
	s_cbranch_execz .LBB53_296
.LBB53_427:
	ds_load_b32 v65, v64 offset:912
	s_wait_dscnt 0x0
	v_add_f32_e32 v31, v31, v65
	s_or_b32 exec_lo, exec_lo, s0
	s_and_saveexec_b32 s0, vcc_lo
	s_cbranch_execz .LBB53_297
.LBB53_428:
	ds_load_b32 v65, v64 offset:928
	s_wait_dscnt 0x0
	v_add_f32_e32 v28, v28, v65
	s_or_b32 exec_lo, exec_lo, s0
	s_and_saveexec_b32 s0, vcc_lo
	s_cbranch_execz .LBB53_298
.LBB53_429:
	ds_load_b32 v65, v64 offset:944
	s_wait_dscnt 0x0
	v_add_f32_e32 v29, v29, v65
	s_or_b32 exec_lo, exec_lo, s0
	s_and_saveexec_b32 s0, vcc_lo
	s_cbranch_execz .LBB53_299
.LBB53_430:
	ds_load_b32 v65, v64 offset:960
	s_wait_dscnt 0x0
	v_add_f32_e32 v46, v46, v65
	s_or_b32 exec_lo, exec_lo, s0
	s_and_saveexec_b32 s0, vcc_lo
	s_cbranch_execz .LBB53_300
.LBB53_431:
	ds_load_b32 v65, v64 offset:976
	s_wait_dscnt 0x0
	v_add_f32_e32 v47, v47, v65
	s_or_b32 exec_lo, exec_lo, s0
	s_and_saveexec_b32 s0, vcc_lo
	s_cbranch_execz .LBB53_301
.LBB53_432:
	ds_load_b32 v65, v64 offset:992
	s_wait_dscnt 0x0
	v_add_f32_e32 v52, v52, v65
	s_or_b32 exec_lo, exec_lo, s0
	s_and_saveexec_b32 s0, vcc_lo
	s_cbranch_execnz .LBB53_302
	s_branch .LBB53_303
	.section	.rodata,"a",@progbits
	.p2align	6, 0x0
	.amdhsa_kernel _ZN4vllm25paged_attention_v1_kernelIffLi256ELi32ELi128ELNS_18Fp8KVCacheDataTypeE0ELb0EEEvPT_PKS2_PKT0_S8_ifPKiSA_iPKfiiiSC_SC_iiiii
		.amdhsa_group_segment_fixed_size 1056
		.amdhsa_private_segment_fixed_size 912
		.amdhsa_kernarg_size 384
		.amdhsa_user_sgpr_count 2
		.amdhsa_user_sgpr_dispatch_ptr 0
		.amdhsa_user_sgpr_queue_ptr 0
		.amdhsa_user_sgpr_kernarg_segment_ptr 1
		.amdhsa_user_sgpr_dispatch_id 0
		.amdhsa_user_sgpr_kernarg_preload_length 0
		.amdhsa_user_sgpr_kernarg_preload_offset 0
		.amdhsa_user_sgpr_private_segment_size 0
		.amdhsa_wavefront_size32 1
		.amdhsa_uses_dynamic_stack 0
		.amdhsa_enable_private_segment 1
		.amdhsa_system_sgpr_workgroup_id_x 1
		.amdhsa_system_sgpr_workgroup_id_y 1
		.amdhsa_system_sgpr_workgroup_id_z 1
		.amdhsa_system_sgpr_workgroup_info 0
		.amdhsa_system_vgpr_workitem_id 0
		.amdhsa_next_free_vgpr 128
		.amdhsa_next_free_sgpr 30
		.amdhsa_named_barrier_count 0
		.amdhsa_reserve_vcc 1
		.amdhsa_float_round_mode_32 0
		.amdhsa_float_round_mode_16_64 0
		.amdhsa_float_denorm_mode_32 3
		.amdhsa_float_denorm_mode_16_64 3
		.amdhsa_fp16_overflow 0
		.amdhsa_memory_ordered 1
		.amdhsa_forward_progress 1
		.amdhsa_inst_pref_size 238
		.amdhsa_round_robin_scheduling 0
		.amdhsa_exception_fp_ieee_invalid_op 0
		.amdhsa_exception_fp_denorm_src 0
		.amdhsa_exception_fp_ieee_div_zero 0
		.amdhsa_exception_fp_ieee_overflow 0
		.amdhsa_exception_fp_ieee_underflow 0
		.amdhsa_exception_fp_ieee_inexact 0
		.amdhsa_exception_int_div_zero 0
	.end_amdhsa_kernel
	.section	.text._ZN4vllm25paged_attention_v1_kernelIffLi256ELi32ELi128ELNS_18Fp8KVCacheDataTypeE0ELb0EEEvPT_PKS2_PKT0_S8_ifPKiSA_iPKfiiiSC_SC_iiiii,"axG",@progbits,_ZN4vllm25paged_attention_v1_kernelIffLi256ELi32ELi128ELNS_18Fp8KVCacheDataTypeE0ELb0EEEvPT_PKS2_PKT0_S8_ifPKiSA_iPKfiiiSC_SC_iiiii,comdat
.Lfunc_end53:
	.size	_ZN4vllm25paged_attention_v1_kernelIffLi256ELi32ELi128ELNS_18Fp8KVCacheDataTypeE0ELb0EEEvPT_PKS2_PKT0_S8_ifPKiSA_iPKfiiiSC_SC_iiiii, .Lfunc_end53-_ZN4vllm25paged_attention_v1_kernelIffLi256ELi32ELi128ELNS_18Fp8KVCacheDataTypeE0ELb0EEEvPT_PKS2_PKT0_S8_ifPKiSA_iPKfiiiSC_SC_iiiii
                                        ; -- End function
	.set _ZN4vllm25paged_attention_v1_kernelIffLi256ELi32ELi128ELNS_18Fp8KVCacheDataTypeE0ELb0EEEvPT_PKS2_PKT0_S8_ifPKiSA_iPKfiiiSC_SC_iiiii.num_vgpr, 128
	.set _ZN4vllm25paged_attention_v1_kernelIffLi256ELi32ELi128ELNS_18Fp8KVCacheDataTypeE0ELb0EEEvPT_PKS2_PKT0_S8_ifPKiSA_iPKfiiiSC_SC_iiiii.num_agpr, 0
	.set _ZN4vllm25paged_attention_v1_kernelIffLi256ELi32ELi128ELNS_18Fp8KVCacheDataTypeE0ELb0EEEvPT_PKS2_PKT0_S8_ifPKiSA_iPKfiiiSC_SC_iiiii.numbered_sgpr, 30
	.set _ZN4vllm25paged_attention_v1_kernelIffLi256ELi32ELi128ELNS_18Fp8KVCacheDataTypeE0ELb0EEEvPT_PKS2_PKT0_S8_ifPKiSA_iPKfiiiSC_SC_iiiii.num_named_barrier, 0
	.set _ZN4vllm25paged_attention_v1_kernelIffLi256ELi32ELi128ELNS_18Fp8KVCacheDataTypeE0ELb0EEEvPT_PKS2_PKT0_S8_ifPKiSA_iPKfiiiSC_SC_iiiii.private_seg_size, 912
	.set _ZN4vllm25paged_attention_v1_kernelIffLi256ELi32ELi128ELNS_18Fp8KVCacheDataTypeE0ELb0EEEvPT_PKS2_PKT0_S8_ifPKiSA_iPKfiiiSC_SC_iiiii.uses_vcc, 1
	.set _ZN4vllm25paged_attention_v1_kernelIffLi256ELi32ELi128ELNS_18Fp8KVCacheDataTypeE0ELb0EEEvPT_PKS2_PKT0_S8_ifPKiSA_iPKfiiiSC_SC_iiiii.uses_flat_scratch, 1
	.set _ZN4vllm25paged_attention_v1_kernelIffLi256ELi32ELi128ELNS_18Fp8KVCacheDataTypeE0ELb0EEEvPT_PKS2_PKT0_S8_ifPKiSA_iPKfiiiSC_SC_iiiii.has_dyn_sized_stack, 0
	.set _ZN4vllm25paged_attention_v1_kernelIffLi256ELi32ELi128ELNS_18Fp8KVCacheDataTypeE0ELb0EEEvPT_PKS2_PKT0_S8_ifPKiSA_iPKfiiiSC_SC_iiiii.has_recursion, 0
	.set _ZN4vllm25paged_attention_v1_kernelIffLi256ELi32ELi128ELNS_18Fp8KVCacheDataTypeE0ELb0EEEvPT_PKS2_PKT0_S8_ifPKiSA_iPKfiiiSC_SC_iiiii.has_indirect_call, 0
	.section	.AMDGPU.csdata,"",@progbits
; Kernel info:
; codeLenInByte = 30400
; TotalNumSgprs: 32
; NumVgprs: 128
; ScratchSize: 912
; MemoryBound: 0
; FloatMode: 240
; IeeeMode: 1
; LDSByteSize: 1056 bytes/workgroup (compile time only)
; SGPRBlocks: 0
; VGPRBlocks: 7
; NumSGPRsForWavesPerEU: 32
; NumVGPRsForWavesPerEU: 128
; NamedBarCnt: 0
; Occupancy: 8
; WaveLimiterHint : 1
; COMPUTE_PGM_RSRC2:SCRATCH_EN: 1
; COMPUTE_PGM_RSRC2:USER_SGPR: 2
; COMPUTE_PGM_RSRC2:TRAP_HANDLER: 0
; COMPUTE_PGM_RSRC2:TGID_X_EN: 1
; COMPUTE_PGM_RSRC2:TGID_Y_EN: 1
; COMPUTE_PGM_RSRC2:TGID_Z_EN: 1
; COMPUTE_PGM_RSRC2:TIDIG_COMP_CNT: 0
	.section	.text._ZN4vllm25paged_attention_v1_kernelIttLi32ELi8ELi128ELNS_18Fp8KVCacheDataTypeE0ELb1EEEvPT_PKS2_PKT0_S8_ifPKiSA_iPKfiiiSC_SC_iiiii,"axG",@progbits,_ZN4vllm25paged_attention_v1_kernelIttLi32ELi8ELi128ELNS_18Fp8KVCacheDataTypeE0ELb1EEEvPT_PKS2_PKT0_S8_ifPKiSA_iPKfiiiSC_SC_iiiii,comdat
	.protected	_ZN4vllm25paged_attention_v1_kernelIttLi32ELi8ELi128ELNS_18Fp8KVCacheDataTypeE0ELb1EEEvPT_PKS2_PKT0_S8_ifPKiSA_iPKfiiiSC_SC_iiiii ; -- Begin function _ZN4vllm25paged_attention_v1_kernelIttLi32ELi8ELi128ELNS_18Fp8KVCacheDataTypeE0ELb1EEEvPT_PKS2_PKT0_S8_ifPKiSA_iPKfiiiSC_SC_iiiii
	.globl	_ZN4vllm25paged_attention_v1_kernelIttLi32ELi8ELi128ELNS_18Fp8KVCacheDataTypeE0ELb1EEEvPT_PKS2_PKT0_S8_ifPKiSA_iPKfiiiSC_SC_iiiii
	.p2align	8
	.type	_ZN4vllm25paged_attention_v1_kernelIttLi32ELi8ELi128ELNS_18Fp8KVCacheDataTypeE0ELb1EEEvPT_PKS2_PKT0_S8_ifPKiSA_iPKfiiiSC_SC_iiiii,@function
_ZN4vllm25paged_attention_v1_kernelIttLi32ELi8ELi128ELNS_18Fp8KVCacheDataTypeE0ELb1EEEvPT_PKS2_PKT0_S8_ifPKiSA_iPKfiiiSC_SC_iiiii: ; @_ZN4vllm25paged_attention_v1_kernelIttLi32ELi8ELi128ELNS_18Fp8KVCacheDataTypeE0ELb1EEEvPT_PKS2_PKT0_S8_ifPKiSA_iPKfiiiSC_SC_iiiii
; %bb.0:
	s_load_b64 s[22:23], s[0:1], 0x20
	s_bfe_u32 s3, ttmp6, 0x4000c
	s_bfe_u32 s4, ttmp6, 0x40010
	s_and_b32 s6, ttmp7, 0xffff
	s_add_co_i32 s3, s3, 1
	s_add_co_i32 s4, s4, 1
	s_and_b32 s2, ttmp6, 15
	s_bfe_u32 s5, ttmp6, 0x40004
	s_mul_i32 s3, ttmp9, s3
	s_mul_i32 s4, s6, s4
	s_getreg_b32 s28, hwreg(HW_REG_IB_STS2, 6, 4)
	s_add_co_i32 s2, s2, s3
	s_add_co_i32 s3, s5, s4
	s_cmp_eq_u32 s28, 0
	s_clause 0x1
	s_load_b32 s29, s[0:1], 0x80
	s_load_b64 s[4:5], s[0:1], 0x30
	s_cselect_b32 s30, s6, s3
	s_cselect_b32 s2, ttmp9, s2
	s_mov_b32 s17, 0
	s_delay_alu instid0(SALU_CYCLE_1) | instskip(SKIP_2) | instid1(SALU_CYCLE_1)
	s_mov_b32 s35, s17
	s_wait_kmcnt 0x0
	s_abs_i32 s3, s22
	s_cvt_f32_u32 s6, s3
	s_sub_co_i32 s7, 0, s3
	s_delay_alu instid0(SALU_CYCLE_2) | instskip(SKIP_2) | instid1(TRANS32_DEP_1)
	v_rcp_iflag_f32_e32 v1, s6
	s_abs_i32 s8, s29
	v_nop
	v_readfirstlane_b32 s6, v1
	s_mul_f32 s6, s6, 0x4f7ffffe
	s_delay_alu instid0(SALU_CYCLE_3) | instskip(NEXT) | instid1(SALU_CYCLE_3)
	s_cvt_u32_f32 s6, s6
	s_mul_i32 s7, s7, s6
	s_delay_alu instid0(SALU_CYCLE_1) | instskip(NEXT) | instid1(SALU_CYCLE_1)
	s_mul_hi_u32 s7, s6, s7
	s_add_co_i32 s6, s6, s7
	s_xor_b32 s7, s29, s22
	s_mul_hi_u32 s6, s8, s6
	s_ashr_i32 s7, s7, 31
	s_mul_i32 s9, s6, s3
	s_delay_alu instid0(SALU_CYCLE_1)
	s_sub_co_i32 s8, s8, s9
	s_add_co_i32 s9, s6, 1
	s_sub_co_i32 s10, s8, s3
	s_cmp_ge_u32 s8, s3
	s_cselect_b32 s6, s9, s6
	s_cselect_b32 s8, s10, s8
	s_add_co_i32 s9, s6, 1
	s_cmp_ge_u32 s8, s3
	s_cselect_b32 s3, s9, s6
	s_load_b64 s[8:9], s[0:1], 0x40
	s_xor_b32 s3, s3, s7
	s_abs_i32 s16, s2
	s_sub_co_i32 s10, s3, s7
	s_mov_b32 s7, s17
	s_abs_i32 s15, s10
	s_delay_alu instid0(SALU_CYCLE_1) | instskip(SKIP_1) | instid1(SALU_CYCLE_2)
	s_cvt_f32_u32 s3, s15
	s_sub_co_i32 s6, 0, s15
	v_rcp_iflag_f32_e32 v1, s3
	v_nop
	s_delay_alu instid0(TRANS32_DEP_1) | instskip(SKIP_1) | instid1(SALU_CYCLE_3)
	v_readfirstlane_b32 s3, v1
	s_mul_f32 s3, s3, 0x4f7ffffe
	s_cvt_u32_f32 s3, s3
	s_delay_alu instid0(SALU_CYCLE_3) | instskip(NEXT) | instid1(SALU_CYCLE_1)
	s_mul_i32 s6, s6, s3
	s_mul_hi_u32 s6, s3, s6
	s_delay_alu instid0(SALU_CYCLE_1)
	s_add_co_i32 s6, s3, s6
	s_wait_kmcnt 0x0
	s_cmp_eq_u64 s[8:9], 0
	s_cbranch_scc1 .LBB54_2
; %bb.1:
	s_ashr_i32 s3, s2, 31
	s_delay_alu instid0(SALU_CYCLE_1) | instskip(NEXT) | instid1(SALU_CYCLE_1)
	s_lshl_b64 s[12:13], s[2:3], 2
	s_add_nc_u64 s[8:9], s[8:9], s[12:13]
	s_load_b32 s35, s[8:9], 0x0
.LBB54_2:
	s_load_b32 s31, s[4:5], s30 offset:0x0 scale_offset
	s_load_b96 s[12:14], s[0:1], 0x48
	v_and_b32_e32 v4, 3, v0
	s_wait_xcnt 0x0
	s_mul_u64 s[4:5], s[16:17], s[6:7]
	s_ashr_i32 s3, s2, 31
	s_ashr_i32 s18, s10, 31
	s_lshl_b32 s6, s2, 5
	s_mov_b32 s4, exec_lo
	v_cmpx_gt_u32_e32 16, v0
	s_cbranch_execz .LBB54_4
; %bb.3:
	s_load_b64 s[8:9], s[0:1], 0x8
	s_wait_kmcnt 0x0
	s_mul_i32 s10, s12, s30
	s_ashr_i32 s7, s6, 31
	s_ashr_i32 s11, s10, 31
	v_and_b32_e32 v2, 0x3fc, v0
	s_lshl_b64 s[10:11], s[10:11], 1
	s_delay_alu instid0(VALU_DEP_1) | instskip(SKIP_2) | instid1(SALU_CYCLE_1)
	v_lshl_add_u32 v2, v4, 4, v2
	s_add_nc_u64 s[8:9], s[8:9], s[10:11]
	s_lshl_b64 s[10:11], s[6:7], 1
	s_add_nc_u64 s[8:9], s[8:9], s[10:11]
	global_load_b32 v1, v0, s[8:9] scale_offset
	s_wait_loadcnt 0x0
	ds_store_b32 v2, v1
.LBB54_4:
	s_or_b32 exec_lo, exec_lo, s4
	s_load_b128 s[8:11], s[0:1], 0x68
	s_mul_i32 s4, s5, s15
	s_xor_b32 s3, s3, s18
	s_sub_co_i32 s4, s16, s4
	s_add_co_i32 s7, s5, 1
	s_wait_kmcnt 0x0
	s_sub_co_i32 s12, s4, s15
	s_cmp_ge_u32 s4, s15
	s_mov_b32 s18, -1
	s_cselect_b32 s5, s7, s5
	s_cselect_b32 s4, s12, s4
	s_add_co_i32 s12, s5, 1
	s_cmp_ge_u32 s4, s15
	s_load_b32 s7, s[0:1], 0x78
	s_cselect_b32 s4, s12, s5
	s_add_co_i32 s15, s31, -1
	s_xor_b32 s4, s4, s3
	s_wait_dscnt 0x0
	s_sub_co_i32 s3, s4, s3
	s_barrier_signal -1
	s_barrier_wait -1
	s_abs_i32 s12, s11
	s_delay_alu instid0(SALU_CYCLE_1) | instskip(NEXT) | instid1(SALU_CYCLE_3)
	s_cvt_f32_u32 s5, s12
                                        ; implicit-def: $sgpr33
	v_rcp_iflag_f32_e32 v1, s5
	v_nop
	s_delay_alu instid0(TRANS32_DEP_1) | instskip(SKIP_1) | instid1(SALU_CYCLE_3)
	v_readfirstlane_b32 s5, v1
	s_mul_f32 s4, s5, 0x4f7ffffe
	s_cvt_u32_f32 s16, s4
	s_sub_co_i32 s4, 0, s12
	s_delay_alu instid0(SALU_CYCLE_2)
	s_mul_i32 s5, s4, s16
	s_abs_i32 s4, s15
	s_mul_hi_u32 s17, s16, s5
	s_mov_b32 s5, 0
	s_add_co_i32 s16, s16, s17
	s_wait_kmcnt 0x0
	s_cmp_lt_i32 s7, 0
	s_mov_b32 s17, s5
	s_cbranch_scc0 .LBB54_6
; %bb.5:
	s_mul_i32 s18, s8, s22
	s_delay_alu instid0(SALU_CYCLE_1) | instskip(NEXT) | instid1(SALU_CYCLE_1)
	s_add_co_i32 s18, s3, s18
	s_mul_i32 s18, s18, s7
	s_delay_alu instid0(SALU_CYCLE_1)
	s_sub_co_i32 s33, 1, s18
	s_mov_b32 s18, s5
.LBB54_6:
	s_ashr_i32 s15, s15, 31
	s_ashr_i32 s11, s11, 31
	s_and_not1_b32 vcc_lo, exec_lo, s18
	s_mul_u64 s[24:25], s[4:5], s[16:17]
	s_cbranch_vccnz .LBB54_8
; %bb.7:
	s_mul_i32 s5, s29, s8
	s_delay_alu instid0(SALU_CYCLE_1) | instskip(NEXT) | instid1(SALU_CYCLE_1)
	s_add_co_i32 s2, s5, s2
	s_mul_i32 s2, s2, s7
	s_delay_alu instid0(SALU_CYCLE_1)
	s_add_co_i32 s33, s2, 1
.LBB54_8:
	s_load_b32 s2, s[0:1], 0x38
	s_mul_i32 s7, s25, s12
	s_xor_b32 s5, s15, s11
	s_sub_co_i32 s4, s4, s7
	s_add_co_i32 s8, s25, 1
	s_clause 0x1
	s_load_b64 s[18:19], s[0:1], 0x28
	s_load_b32 s7, s[0:1], 0x88
	v_dual_mov_b32 v12, 0xff7fffff :: v_dual_lshrrev_b32 v13, 5, v0
	v_lshrrev_b32_e32 v1, 3, v0
	v_mbcnt_lo_u32_b32 v7, -1, 0
	s_mul_i32 s14, s3, s14
	s_delay_alu instid0(VALU_DEP_3)
	v_lshlrev_b32_e32 v6, 3, v13
	s_wait_kmcnt 0x0
	s_mul_i32 s20, s2, s30
	s_sub_co_i32 s2, s4, s12
	s_ashr_i32 s21, s20, 31
	s_cmp_ge_u32 s4, s12
	s_cselect_b32 s8, s8, s25
	s_cselect_b32 s2, s2, s4
	s_add_co_i32 s4, s8, 1
	s_cmp_ge_u32 s2, s12
	s_cselect_b32 s2, s4, s8
	s_add_co_i32 s4, s31, 7
	s_delay_alu instid0(SALU_CYCLE_1) | instskip(NEXT) | instid1(SALU_CYCLE_1)
	s_ashr_i32 s8, s4, 31
	s_lshr_b32 s8, s8, 29
	s_delay_alu instid0(SALU_CYCLE_1) | instskip(NEXT) | instid1(SALU_CYCLE_1)
	s_add_co_i32 s4, s4, s8
	s_ashr_i32 s34, s4, 3
	s_xor_b32 s4, s2, s5
	v_cmp_gt_i32_e64 s2, s34, v13
	s_sub_co_i32 s8, s4, s5
	s_and_saveexec_b32 s22, s2
	s_cbranch_execz .LBB54_20
; %bb.9:
	s_load_b64 s[4:5], s[0:1], 0x10
	s_ashr_i32 s15, s14, 31
	s_sub_co_i32 s36, s8, s9
	s_ashr_i32 s25, s13, 31
	s_lshl_b64 s[38:39], s[14:15], 1
	s_cmp_neq_f32 s35, 0
	v_bfe_u32 v10, v0, 2, 3
	v_dual_mov_b32 v3, 0 :: v_dual_lshlrev_b32 v11, 4, v4
	s_cselect_b32 vcc_lo, -1, 0
	s_abs_i32 s15, s10
	s_delay_alu instid0(VALU_DEP_2)
	v_lshlrev_b32_e32 v2, 4, v10
	s_cvt_f32_u32 s3, s15
	v_subrev_nc_u32_e32 v9, s31, v10
	v_lshlrev_b32_e32 v8, 2, v0
	s_sub_co_i32 s26, 0, s15
	v_rcp_iflag_f32_e32 v5, s3
	v_cmp_eq_u32_e64 s3, 0, v4
	v_add_nc_u32_e32 v14, 1, v9
	v_mov_b32_e32 v16, 0xff7fffff
	s_wait_kmcnt 0x0
	s_add_nc_u64 s[4:5], s[4:5], s[38:39]
	v_dual_mov_b32 v19, v13 :: v_dual_bitop2_b32 v18, 1, v7 bitop3:0x14
	v_readfirstlane_b32 s24, v5
	v_add_nc_u64_e32 v[4:5], s[4:5], v[2:3]
	v_dual_lshlrev_b32 v8, 2, v10 :: v_dual_bitop2_b32 v2, 12, v8 bitop3:0x40
	s_lshl_b64 s[4:5], s[20:21], 2
	s_mul_f32 s24, s24, 0x4f7ffffe
	s_add_nc_u64 s[4:5], s[18:19], s[4:5]
	s_mov_b32 s27, 0
	s_delay_alu instid0(VALU_DEP_2)
	v_add_nc_u64_e32 v[4:5], v[4:5], v[2:3]
	v_and_b32_e32 v2, 0x7c, v1
	s_cvt_u32_f32 s37, s24
	v_lshl_or_b32 v12, v13, 5, v8
	v_xor_b32_e32 v17, 2, v7
	s_mov_b32 s24, s13
	v_add_nc_u64_e32 v[8:9], s[4:5], v[2:3]
	s_mul_i32 s26, s26, s37
	v_lshlrev_b32_e32 v2, 3, v13
	v_add_nc_u32_e32 v15, 0x60, v12
	v_mov_b32_e32 v12, 0xff7fffff
	s_mul_hi_u32 s4, s37, s26
	s_delay_alu instid0(SALU_CYCLE_1)
	s_add_co_i32 s26, s37, s4
	s_mov_b32 s37, s27
	s_branch .LBB54_12
.LBB54_10:                              ;   in Loop: Header=BB54_12 Depth=1
	s_or_b32 exec_lo, exec_lo, s38
.LBB54_11:                              ;   in Loop: Header=BB54_12 Depth=1
	s_delay_alu instid0(SALU_CYCLE_1) | instskip(SKIP_3) | instid1(VALU_DEP_3)
	s_or_b32 exec_lo, exec_lo, s5
	v_dual_add_nc_u32 v19, 4, v19 :: v_dual_add_nc_u32 v2, 32, v2
	v_add_nc_u64_e32 v[8:9], 16, v[8:9]
	v_add_nc_u32_e32 v15, 0x80, v15
	v_cmp_le_i32_e64 s4, s34, v19
	s_or_b32 s37, s4, s37
	s_delay_alu instid0(SALU_CYCLE_1)
	s_and_not1_b32 exec_lo, exec_lo, s37
	s_cbranch_execz .LBB54_19
.LBB54_12:                              ; =>This Inner Loop Header: Depth=1
	s_wait_dscnt 0x0
	v_mul_u64_e32 v[20:21], s[16:17], v[2:3]
	s_delay_alu instid0(VALU_DEP_1) | instskip(NEXT) | instid1(VALU_DEP_1)
	v_mul_lo_u32 v20, v21, s12
	v_dual_add_nc_u32 v22, 1, v21 :: v_dual_sub_nc_u32 v20, v2, v20
	s_delay_alu instid0(VALU_DEP_1) | instskip(SKIP_1) | instid1(VALU_DEP_1)
	v_subrev_nc_u32_e32 v23, s12, v20
	v_cmp_le_u32_e64 s4, s12, v20
	v_dual_cndmask_b32 v21, v21, v22, s4 :: v_dual_cndmask_b32 v20, v20, v23, s4
	s_delay_alu instid0(VALU_DEP_1) | instskip(NEXT) | instid1(VALU_DEP_2)
	v_add_nc_u32_e32 v22, 1, v21
	v_cmp_le_u32_e64 s4, s12, v20
	s_delay_alu instid0(VALU_DEP_1) | instskip(NEXT) | instid1(VALU_DEP_1)
	v_dual_cndmask_b32 v20, v21, v22, s4 :: v_dual_mov_b32 v21, v3
	v_xor_b32_e32 v20, s11, v20
	s_delay_alu instid0(VALU_DEP_1) | instskip(NEXT) | instid1(VALU_DEP_1)
	v_subrev_nc_u32_e32 v24, s11, v20
	v_add_nc_u32_e32 v25, s33, v24
	v_cmp_ge_i32_e64 s5, s36, v24
	s_delay_alu instid0(VALU_DEP_2) | instskip(NEXT) | instid1(VALU_DEP_1)
	v_sub_nc_u32_e32 v20, 0, v25
	v_max_i32_e32 v20, v25, v20
	s_delay_alu instid0(VALU_DEP_1) | instskip(SKIP_1) | instid1(VALU_DEP_2)
	v_mul_u64_e32 v[22:23], s[26:27], v[20:21]
	v_ashrrev_i32_e32 v22, 31, v25
	v_mul_lo_u32 v21, v23, s15
	s_delay_alu instid0(VALU_DEP_1) | instskip(NEXT) | instid1(VALU_DEP_1)
	v_sub_nc_u32_e32 v20, v20, v21
	v_subrev_nc_u32_e32 v21, s15, v20
	v_cmp_le_u32_e64 s4, s15, v20
	s_delay_alu instid0(VALU_DEP_1) | instskip(NEXT) | instid1(VALU_DEP_1)
	v_cndmask_b32_e64 v20, v20, v21, s4
	v_subrev_nc_u32_e32 v21, s15, v20
	v_cmp_le_u32_e64 s4, s15, v20
	s_delay_alu instid0(VALU_DEP_1) | instskip(NEXT) | instid1(VALU_DEP_1)
	v_cndmask_b32_e64 v20, v20, v21, s4
	v_xor_b32_e32 v20, v20, v22
	s_delay_alu instid0(VALU_DEP_1) | instskip(NEXT) | instid1(VALU_DEP_1)
	v_sub_nc_u32_e32 v20, v20, v22
	v_cmp_ne_u32_e64 s4, 0, v20
	s_and_b32 s4, s4, s5
	s_delay_alu instid0(SALU_CYCLE_1) | instskip(NEXT) | instid1(SALU_CYCLE_1)
	s_and_saveexec_b32 s5, s4
	s_xor_b32 s4, exec_lo, s5
	s_cbranch_execz .LBB54_16
; %bb.13:                               ;   in Loop: Header=BB54_12 Depth=1
	s_and_saveexec_b32 s5, s3
; %bb.14:                               ;   in Loop: Header=BB54_12 Depth=1
	ds_store_b32 v15, v16
; %bb.15:                               ;   in Loop: Header=BB54_12 Depth=1
	s_or_b32 exec_lo, exec_lo, s5
.LBB54_16:                              ;   in Loop: Header=BB54_12 Depth=1
	s_and_not1_saveexec_b32 s5, s4
	s_cbranch_execz .LBB54_11
; %bb.17:                               ;   in Loop: Header=BB54_12 Depth=1
	global_load_b32 v20, v[8:9], off
	v_cmp_gt_i32_e64 s4, 32, v17
	s_wait_loadcnt 0x0
	v_ashrrev_i32_e32 v21, 31, v20
	s_delay_alu instid0(VALU_DEP_1) | instskip(NEXT) | instid1(VALU_DEP_1)
	v_mul_u64_e32 v[20:21], s[24:25], v[20:21]
	v_lshl_add_u64 v[20:21], v[20:21], 1, v[4:5]
	s_clause 0x3
	global_load_b32 v22, v[20:21], off
	global_load_b32 v23, v[20:21], off offset:128
	global_load_b32 v24, v[20:21], off offset:256
	;; [unrolled: 1-line block ×3, first 2 shown]
	s_wait_xcnt 0x0
	ds_load_b32 v20, v11
	s_wait_dscnt 0x0
	v_and_b32_e32 v21, 0xffff, v20
	v_lshrrev_b32_e32 v20, 16, v20
	;;#ASMSTART
	v_cvt_f32_f16 v27, v21;
	;;#ASMEND
	;;#ASMSTART
	v_cvt_f32_f16 v28, v20;
	;;#ASMEND
	s_wait_loadcnt 0x3
	v_and_b32_e32 v26, 0xffff, v22
	v_lshrrev_b32_e32 v22, 16, v22
	;;#ASMSTART
	v_cvt_f32_f16 v26, v26;
	;;#ASMEND
	;;#ASMSTART
	v_cvt_f32_f16 v29, v22;
	;;#ASMEND
	ds_load_b32 v20, v11 offset:4
	s_wait_loadcnt 0x2
	v_and_b32_e32 v22, 0xffff, v23
	v_lshrrev_b32_e32 v23, 16, v23
	s_wait_loadcnt 0x1
	v_and_b32_e32 v32, 0xffff, v24
	s_wait_dscnt 0x0
	v_and_b32_e32 v21, 0xffff, v20
	v_lshrrev_b32_e32 v20, 16, v20
	;;#ASMSTART
	v_cvt_f32_f16 v21, v21;
	;;#ASMEND
	;;#ASMSTART
	v_cvt_f32_f16 v30, v20;
	;;#ASMEND
	;;#ASMSTART
	v_cvt_f32_f16 v22, v22;
	;;#ASMEND
	;;#ASMSTART
	v_cvt_f32_f16 v23, v23;
	;;#ASMEND
	ds_load_b32 v20, v11 offset:8
	v_dual_mul_f32 v21, v21, v22 :: v_dual_lshrrev_b32 v24, 16, v24
	v_dual_mul_f32 v22, v30, v23 :: v_dual_cndmask_b32 v23, v7, v17, s4
	s_wait_loadcnt 0x0
	v_lshrrev_b32_e32 v30, 16, v25
	v_and_b32_e32 v25, 0xffff, v25
	v_fmac_f32_e32 v21, v27, v26
	v_cmp_gt_i32_e64 s4, 32, v18
	s_wait_dscnt 0x0
	v_and_b32_e32 v31, 0xffff, v20
	v_lshrrev_b32_e32 v20, 16, v20
	;;#ASMSTART
	v_cvt_f32_f16 v31, v31;
	;;#ASMEND
	;;#ASMSTART
	v_cvt_f32_f16 v33, v20;
	;;#ASMEND
	;; [unrolled: 3-line block ×4, first 2 shown]
	ds_load_b32 v20, v11 offset:12
	v_fmac_f32_e32 v22, v28, v29
	s_wait_dscnt 0x0
	v_and_b32_e32 v26, 0xffff, v20
	v_lshrrev_b32_e32 v20, 16, v20
	s_delay_alu instid0(VALU_DEP_3)
	v_fmac_f32_e32 v22, v33, v24
	;;#ASMSTART
	v_cvt_f32_f16 v24, v26;
	;;#ASMEND
	;;#ASMSTART
	v_cvt_f32_f16 v20, v20;
	;;#ASMEND
	;; [unrolled: 3-line block ×4, first 2 shown]
	v_dual_fmac_f32 v21, v31, v32 :: v_dual_fmac_f32 v22, v20, v26
	s_delay_alu instid0(VALU_DEP_1) | instskip(NEXT) | instid1(VALU_DEP_1)
	v_dual_fmac_f32 v21, v24, v25 :: v_dual_lshlrev_b32 v20, 2, v23
	v_add_f32_e32 v21, v21, v22
	ds_bpermute_b32 v20, v20, v21
	s_wait_dscnt 0x0
	v_dual_cndmask_b32 v22, v7, v18, s4 :: v_dual_add_f32 v20, v21, v20
	s_delay_alu instid0(VALU_DEP_1)
	v_lshlrev_b32_e32 v21, 2, v22
	ds_bpermute_b32 v21, v21, v20
	s_and_saveexec_b32 s38, s3
	s_cbranch_execz .LBB54_10
; %bb.18:                               ;   in Loop: Header=BB54_12 Depth=1
	s_wait_dscnt 0x0
	v_dual_add_nc_u32 v22, v14, v2 :: v_dual_add_f32 v20, v20, v21
	s_delay_alu instid0(VALU_DEP_1) | instskip(NEXT) | instid1(VALU_DEP_1)
	v_cvt_f32_i32_e32 v22, v22
	v_mul_f32_e32 v22, s35, v22
	s_delay_alu instid0(VALU_DEP_1) | instskip(NEXT) | instid1(VALU_DEP_1)
	v_dual_cndmask_b32 v21, 0, v22 :: v_dual_max_num_f32 v22, v12, v12
	v_dual_fmac_f32 v21, s23, v20 :: v_dual_add_nc_u32 v20, v10, v2
	s_delay_alu instid0(VALU_DEP_1) | instskip(NEXT) | instid1(VALU_DEP_1)
	v_cmp_gt_i32_e64 s4, s31, v20
	v_dual_max_num_f32 v22, v22, v21 :: v_dual_cndmask_b32 v20, 0, v21, s4
	s_delay_alu instid0(VALU_DEP_1)
	v_cndmask_b32_e64 v12, v12, v22, s4
	ds_store_b32 v15, v20
	s_branch .LBB54_10
.LBB54_19:
	s_or_b32 exec_lo, exec_lo, s37
.LBB54_20:
	s_delay_alu instid0(SALU_CYCLE_1)
	s_or_b32 exec_lo, exec_lo, s22
	v_dual_max_num_f32 v5, v12, v12 :: v_dual_bitop2_b32 v2, 16, v7 bitop3:0x14
	s_clause 0x1
	s_load_b64 s[4:5], s[0:1], 0x0
	s_load_b64 s[22:23], s[0:1], 0x18
	v_and_b32_e32 v14, 31, v0
	v_xor_b32_e32 v4, 8, v7
	v_cmp_gt_i32_e32 vcc_lo, 32, v2
	v_cndmask_b32_e32 v2, v7, v2, vcc_lo
	s_delay_alu instid0(VALU_DEP_3) | instskip(NEXT) | instid1(VALU_DEP_2)
	v_cmp_gt_i32_e32 vcc_lo, 32, v4
	v_dual_lshlrev_b32 v2, 2, v2 :: v_dual_cndmask_b32 v4, v7, v4, vcc_lo
	ds_bpermute_b32 v3, v2, v12
	s_wait_dscnt 0x0
	v_dual_max_num_f32 v8, v3, v3 :: v_dual_lshlrev_b32 v3, 2, v4
	s_delay_alu instid0(VALU_DEP_1) | instskip(SKIP_4) | instid1(VALU_DEP_1)
	v_dual_max_num_f32 v4, v5, v8 :: v_dual_bitop2_b32 v8, 4, v7 bitop3:0x14
	ds_bpermute_b32 v5, v3, v4
	v_cmp_gt_i32_e32 vcc_lo, 32, v8
	v_cndmask_b32_e32 v8, v7, v8, vcc_lo
	s_wait_dscnt 0x0
	v_dual_max_num_f32 v5, v5, v5 :: v_dual_lshlrev_b32 v8, 2, v8
	s_delay_alu instid0(VALU_DEP_1)
	v_max_num_f32_e32 v5, v4, v5
	v_lshlrev_b32_e32 v4, 2, v13
	v_cmp_eq_u32_e32 vcc_lo, 0, v14
	ds_bpermute_b32 v9, v8, v5
	s_wait_xcnt 0x0
	s_and_saveexec_b32 s0, vcc_lo
	s_cbranch_execz .LBB54_22
; %bb.21:
	s_wait_dscnt 0x0
	v_max_num_f32_e32 v9, v9, v9
	v_max_num_f32_e32 v5, v5, v5
	s_delay_alu instid0(VALU_DEP_1)
	v_max_num_f32_e32 v5, v5, v9
	ds_store_b32 v4, v5 offset:64
.LBB54_22:
	s_or_b32 exec_lo, exec_lo, s0
	v_cmp_gt_u32_e64 s0, 4, v14
	v_dual_mov_b32 v10, 0xff7fffff :: v_dual_lshlrev_b32 v5, 2, v14
	s_wait_dscnt 0x0
	s_barrier_signal -1
	s_barrier_wait -1
	s_and_saveexec_b32 s1, s0
; %bb.23:
	ds_load_b32 v10, v5 offset:64
; %bb.24:
	s_or_b32 exec_lo, exec_lo, s1
	v_xor_b32_e32 v9, 2, v7
	v_xor_b32_e32 v12, 1, v7
	s_delay_alu instid0(VALU_DEP_2) | instskip(NEXT) | instid1(VALU_DEP_1)
	v_cmp_gt_i32_e64 s1, 32, v9
	v_cndmask_b32_e64 v9, v7, v9, s1
	s_delay_alu instid0(VALU_DEP_3) | instskip(NEXT) | instid1(VALU_DEP_1)
	v_cmp_gt_i32_e64 s1, 32, v12
	v_dual_lshlrev_b32 v9, 2, v9 :: v_dual_cndmask_b32 v7, v7, v12, s1
	s_lshl_b32 s1, s34, 3
	s_delay_alu instid0(SALU_CYCLE_1)
	s_min_i32 s15, s1, s31
	s_wait_dscnt 0x0
	ds_bpermute_b32 v11, v9, v10
	v_max_num_f32_e32 v10, v10, v10
	v_cmp_gt_i32_e64 s1, s15, v0
	v_lshlrev_b32_e32 v7, 2, v7
	s_wait_dscnt 0x0
	v_max_num_f32_e32 v11, v11, v11
	s_delay_alu instid0(VALU_DEP_1) | instskip(SKIP_3) | instid1(VALU_DEP_1)
	v_max_num_f32_e32 v10, v10, v11
	ds_bpermute_b32 v11, v7, v10
	s_wait_dscnt 0x0
	v_max_num_f32_e32 v11, v11, v11
	v_dual_max_num_f32 v11, v10, v11 :: v_dual_mov_b32 v10, 0
	ds_bpermute_b32 v11, v10, v11
	s_and_saveexec_b32 s24, s1
	s_cbranch_execz .LBB54_28
; %bb.25:
	v_lshl_add_u32 v12, v0, 2, 0x60
	v_dual_mov_b32 v10, 0 :: v_dual_mov_b32 v15, v0
	s_mov_b32 s25, 0
.LBB54_26:                              ; =>This Inner Loop Header: Depth=1
	ds_load_b32 v16, v12
	s_wait_dscnt 0x0
	v_sub_f32_e32 v16, v16, v11
	s_delay_alu instid0(VALU_DEP_1) | instskip(NEXT) | instid1(VALU_DEP_1)
	v_mul_f32_e32 v16, 0x3fb8aa3b, v16
	v_exp_f32_e32 v16, v16
	v_nop
	s_delay_alu instid0(TRANS32_DEP_1) | instskip(NEXT) | instid1(VALU_DEP_1)
	v_dual_add_f32 v10, v10, v16 :: v_dual_add_nc_u32 v15, 0x80, v15
	v_cmp_le_i32_e64 s3, s15, v15
	ds_store_b32 v12, v16
	v_add_nc_u32_e32 v12, 0x200, v12
	s_or_b32 s25, s3, s25
	s_delay_alu instid0(SALU_CYCLE_1)
	s_and_not1_b32 exec_lo, exec_lo, s25
	s_cbranch_execnz .LBB54_26
; %bb.27:
	s_or_b32 exec_lo, exec_lo, s25
.LBB54_28:
	s_delay_alu instid0(SALU_CYCLE_1)
	s_or_b32 exec_lo, exec_lo, s24
	ds_bpermute_b32 v2, v2, v10
	s_wait_dscnt 0x0
	v_add_f32_e32 v2, v10, v2
	ds_bpermute_b32 v3, v3, v2
	s_wait_dscnt 0x0
	v_add_f32_e32 v2, v2, v3
	;; [unrolled: 3-line block ×5, first 2 shown]
	s_and_saveexec_b32 s3, vcc_lo
; %bb.29:
	ds_store_b32 v4, v2 offset:80
; %bb.30:
	s_or_b32 exec_lo, exec_lo, s3
	s_wait_dscnt 0x0
	s_barrier_signal -1
	s_barrier_wait -1
	s_and_saveexec_b32 s3, s0
; %bb.31:
	ds_load_b32 v2, v5 offset:80
; %bb.32:
	s_or_b32 exec_lo, exec_lo, s3
	s_wait_dscnt 0x0
	ds_bpermute_b32 v3, v9, v2
	s_wait_dscnt 0x0
	v_dual_mov_b32 v18, 0 :: v_dual_add_f32 v2, v2, v3
	ds_bpermute_b32 v3, v7, v2
	s_wait_dscnt 0x0
	v_add_f32_e32 v2, v2, v3
	ds_bpermute_b32 v2, v18, v2
	s_and_saveexec_b32 s0, s1
	s_cbranch_execz .LBB54_45
; %bb.33:
	s_wait_dscnt 0x0
	v_add_f32_e32 v2, 0x358637bd, v2
	s_mov_b32 s3, -1
	s_mov_b32 s1, exec_lo
	s_delay_alu instid0(VALU_DEP_1) | instskip(NEXT) | instid1(VALU_DEP_1)
	v_div_scale_f32 v3, null, v2, v2, 1.0
	v_rcp_f32_e32 v5, v3
	v_nop
	s_delay_alu instid0(TRANS32_DEP_1) | instskip(NEXT) | instid1(VALU_DEP_1)
	v_fma_f32 v4, -v3, v5, 1.0
	v_fmac_f32_e32 v5, v4, v5
	v_div_scale_f32 v7, vcc_lo, 1.0, v2, 1.0
	s_delay_alu instid0(VALU_DEP_1) | instskip(NEXT) | instid1(VALU_DEP_1)
	v_mul_f32_e32 v8, v7, v5
	v_fma_f32 v4, -v3, v8, v7
	s_delay_alu instid0(VALU_DEP_1) | instskip(SKIP_1) | instid1(VALU_DEP_2)
	v_fmac_f32_e32 v8, v4, v5
	v_xad_u32 v4, v0, -1, s15
	v_fma_f32 v3, -v3, v8, v7
	s_delay_alu instid0(VALU_DEP_1) | instskip(NEXT) | instid1(VALU_DEP_1)
	v_div_fmas_f32 v3, v3, v5, v8
	v_div_fixup_f32 v2, v3, v2, 1.0
	v_mov_b32_e32 v3, v0
	v_cmpx_lt_u32_e32 0x7f, v4
	s_cbranch_execz .LBB54_42
; %bb.34:
	s_delay_alu instid0(VALU_DEP_3) | instskip(NEXT) | instid1(VALU_DEP_1)
	v_dual_mov_b32 v3, v2 :: v_dual_lshrrev_b32 v4, 7, v4
	v_dual_mov_b32 v9, 0 :: v_dual_add_nc_u32 v5, -1, v4
	s_delay_alu instid0(VALU_DEP_1) | instskip(SKIP_1) | instid1(VALU_DEP_2)
	v_lshrrev_b32_e32 v7, 1, v5
	v_cmp_lt_u32_e32 vcc_lo, 13, v5
	v_add_nc_u32_e32 v5, 1, v7
	s_and_saveexec_b32 s3, vcc_lo
	s_cbranch_execz .LBB54_38
; %bb.35:
	s_delay_alu instid0(VALU_DEP_1)
	v_and_b32_e32 v7, -8, v5
	v_lshl_add_u32 v8, v0, 2, 0x60
	s_mov_b32 s24, 0
	s_mov_b32 s25, 0
.LBB54_36:                              ; =>This Inner Loop Header: Depth=1
	ds_load_2addr_stride64_b32 v[10:11], v8 offset1:2
	ds_load_2addr_stride64_b32 v[16:17], v8 offset0:4 offset1:6
	ds_load_2addr_stride64_b32 v[20:21], v8 offset0:8 offset1:10
	;; [unrolled: 1-line block ×7, first 2 shown]
	s_add_co_i32 s25, s25, 16
	s_delay_alu instid0(SALU_CYCLE_1) | instskip(NEXT) | instid1(VALU_DEP_1)
	v_dual_add_nc_u32 v7, -8, v7 :: v_dual_mov_b32 v9, s25
	v_cmp_eq_u32_e32 vcc_lo, 0, v7
	s_or_b32 s24, vcc_lo, s24
	s_wait_dscnt 0x7
	v_pk_mul_f32 v[10:11], v[2:3], v[10:11]
	s_wait_dscnt 0x6
	v_pk_mul_f32 v[16:17], v[2:3], v[16:17]
	;; [unrolled: 2-line block ×8, first 2 shown]
	ds_store_2addr_stride64_b32 v8, v10, v11 offset1:2
	ds_store_2addr_stride64_b32 v8, v16, v17 offset0:4 offset1:6
	ds_store_2addr_stride64_b32 v8, v20, v21 offset0:8 offset1:10
	;; [unrolled: 1-line block ×7, first 2 shown]
	v_add_nc_u32_e32 v8, 0x2000, v8
	s_and_not1_b32 exec_lo, exec_lo, s24
	s_cbranch_execnz .LBB54_36
; %bb.37:
	s_or_b32 exec_lo, exec_lo, s24
.LBB54_38:
	s_delay_alu instid0(SALU_CYCLE_1) | instskip(NEXT) | instid1(VALU_DEP_1)
	s_or_b32 exec_lo, exec_lo, s3
	v_and_b32_e32 v5, 7, v5
	s_mov_b32 s24, 0
	s_mov_b32 s3, exec_lo
	s_delay_alu instid0(VALU_DEP_1)
	v_cmpx_ne_u32_e32 0, v5
	s_cbranch_execz .LBB54_41
; %bb.39:
	v_dual_lshlrev_b32 v7, 9, v9 :: v_dual_lshlrev_b32 v8, 2, v0
	s_delay_alu instid0(VALU_DEP_1)
	v_add3_u32 v7, v7, v8, 0x60
.LBB54_40:                              ; =>This Inner Loop Header: Depth=1
	ds_load_2addr_stride64_b32 v[8:9], v7 offset1:2
	v_add_nc_u32_e32 v5, -1, v5
	s_delay_alu instid0(VALU_DEP_1)
	v_cmp_eq_u32_e32 vcc_lo, 0, v5
	s_or_b32 s24, vcc_lo, s24
	s_wait_dscnt 0x0
	v_pk_mul_f32 v[8:9], v[2:3], v[8:9]
	ds_store_2addr_stride64_b32 v7, v8, v9 offset1:2
	v_add_nc_u32_e32 v7, 0x400, v7
	s_and_not1_b32 exec_lo, exec_lo, s24
	s_cbranch_execnz .LBB54_40
.LBB54_41:
	s_or_b32 exec_lo, exec_lo, s3
	v_add_nc_u32_e32 v3, 1, v4
	s_delay_alu instid0(VALU_DEP_1) | instskip(NEXT) | instid1(VALU_DEP_1)
	v_and_b32_e32 v4, 0x3fffffe, v3
	v_cmp_ne_u32_e32 vcc_lo, v3, v4
	v_lshl_add_u32 v3, v4, 7, v0
	s_or_not1_b32 s3, vcc_lo, exec_lo
.LBB54_42:
	s_or_b32 exec_lo, exec_lo, s1
	s_delay_alu instid0(SALU_CYCLE_1)
	s_and_b32 exec_lo, exec_lo, s3
	s_cbranch_execz .LBB54_45
; %bb.43:
	v_lshl_add_u32 v4, v3, 2, 0x60
	s_mov_b32 s1, 0
.LBB54_44:                              ; =>This Inner Loop Header: Depth=1
	ds_load_b32 v5, v4
	v_add_nc_u32_e32 v3, 0x80, v3
	s_delay_alu instid0(VALU_DEP_1)
	v_cmp_le_i32_e32 vcc_lo, s15, v3
	s_or_b32 s1, vcc_lo, s1
	s_wait_dscnt 0x0
	v_mul_f32_e32 v5, v2, v5
	ds_store_b32 v4, v5
	v_add_nc_u32_e32 v4, 0x200, v4
	s_and_not1_b32 exec_lo, exec_lo, s1
	s_cbranch_execnz .LBB54_44
.LBB54_45:
	s_or_b32 exec_lo, exec_lo, s0
	s_wait_dscnt 0x0
	s_barrier_signal -1
	s_barrier_wait -1
	s_and_saveexec_b32 s1, s2
	s_cbranch_execz .LBB54_53
; %bb.46:
	s_abs_i32 s10, s10
	v_dual_mov_b32 v7, 0 :: v_dual_lshlrev_b32 v2, 4, v14
	s_cvt_f32_u32 s0, s10
	s_ashr_i32 s15, s14, 31
	v_and_b32_e32 v4, 0x7c, v1
	v_mov_b32_e32 v16, v13
	v_rcp_iflag_f32_e32 v3, s0
	v_dual_mov_b32 v5, v7 :: v_dual_mov_b32 v18, v7
	s_lshl_b64 s[20:21], s[20:21], 2
	s_lshl_b64 s[14:15], s[14:15], 1
	s_add_nc_u64 s[18:19], s[18:19], s[20:21]
	s_wait_kmcnt 0x0
	s_add_nc_u64 s[14:15], s[22:23], s[14:15]
	v_readfirstlane_b32 s0, v3
	v_mov_b32_e32 v3, v7
	s_sub_co_i32 s24, s8, s9
	s_sub_co_i32 s8, 0, s10
	v_add_nc_u64_e32 v[10:11], s[18:19], v[4:5]
	s_mul_f32 s0, s0, 0x4f7ffffe
	v_add_nc_u64_e32 v[8:9], s[14:15], v[2:3]
	v_lshl_add_u32 v15, v13, 5, 0x60
	s_mov_b32 s9, 0
	s_cvt_u32_f32 s0, s0
	s_ashr_i32 s3, s13, 31
	s_mov_b32 s2, s13
	s_add_co_i32 s13, s34, -1
	s_mul_i32 s8, s8, s0
	s_mov_b32 s14, s31
	s_mul_hi_u32 s8, s0, s8
	s_mov_b32 s15, s9
	s_add_co_i32 s8, s0, s8
	s_branch .LBB54_49
.LBB54_47:                              ;   in Loop: Header=BB54_49 Depth=1
	s_or_b32 exec_lo, exec_lo, s18
	v_and_b32_e32 v24, 0xffff, v24
	v_dual_lshlrev_b32 v12, 16, v12 :: v_dual_lshlrev_b32 v1, 16, v1
	v_and_b32_e32 v25, 0xffff, v25
	v_lshlrev_b32_e32 v17, 16, v17
	s_delay_alu instid0(VALU_DEP_4)
	v_lshl_or_b32 v24, v21, 16, v24
	v_and_b32_e32 v21, 0xffff, v22
	v_and_b32_e32 v26, 0xffff, v26
	v_and_or_b32 v2, 0xffff, v2, v12
	v_and_or_b32 v1, 0xffff, v3, v1
	v_lshl_or_b32 v23, v23, 16, v25
	v_and_or_b32 v3, 0xffff, v4, v17
	v_lshl_or_b32 v4, v19, 16, v21
	;;#ASMSTART
	v_pk_mul_f16 v2, v24, v2;

	;;#ASMEND
	;;#ASMSTART
	v_pk_mul_f16 v1, v23, v1;

	;;#ASMEND
	v_lshl_or_b32 v20, v20, 16, v26
	;;#ASMSTART
	v_pk_mul_f16 v3, v20, v3;

	;;#ASMEND
	;;#ASMSTART
	v_pk_mul_f16 v4, v4, v5;

	;;#ASMEND
	;;#ASMSTART
	v_pk_add_f16 v1, v2, v1;

	;;#ASMEND
	;;#ASMSTART
	v_pk_add_f16 v1, v1, v3;
	;; [unrolled: 4-line block ×3, first 2 shown]

	;;#ASMEND
	v_and_b32_e32 v2, 0xffff, v1
	v_lshrrev_b32_e32 v1, 16, v1
	;;#ASMSTART
	v_cvt_f32_f16 v2, v2;
	;;#ASMEND
	;;#ASMSTART
	v_cvt_f32_f16 v1, v1;
	;;#ASMEND
	s_delay_alu instid0(VALU_DEP_1) | instskip(NEXT) | instid1(VALU_DEP_1)
	v_add_f32_e32 v1, v2, v1
	v_add_f32_e32 v18, v18, v1
.LBB54_48:                              ;   in Loop: Header=BB54_49 Depth=1
	s_or_b32 exec_lo, exec_lo, s0
	v_dual_add_nc_u32 v16, 4, v16 :: v_dual_add_nc_u32 v6, 32, v6
	v_add_nc_u64_e32 v[10:11], 16, v[10:11]
	v_add_nc_u32_e32 v15, 0x80, v15
	s_delay_alu instid0(VALU_DEP_3) | instskip(SKIP_1) | instid1(SALU_CYCLE_1)
	v_cmp_le_i32_e32 vcc_lo, s34, v16
	s_or_b32 s15, vcc_lo, s15
	s_and_not1_b32 exec_lo, exec_lo, s15
	s_cbranch_execz .LBB54_52
.LBB54_49:                              ; =>This Inner Loop Header: Depth=1
	v_mul_u64_e32 v[2:3], s[16:17], v[6:7]
	s_delay_alu instid0(VALU_DEP_1) | instskip(NEXT) | instid1(VALU_DEP_1)
	v_mul_lo_u32 v1, v3, s12
	v_dual_add_nc_u32 v2, 1, v3 :: v_dual_sub_nc_u32 v1, v6, v1
	s_delay_alu instid0(VALU_DEP_1) | instskip(SKIP_1) | instid1(VALU_DEP_2)
	v_subrev_nc_u32_e32 v4, s12, v1
	v_cmp_le_u32_e32 vcc_lo, s12, v1
	v_dual_cndmask_b32 v2, v3, v2 :: v_dual_cndmask_b32 v1, v1, v4
	s_delay_alu instid0(VALU_DEP_1) | instskip(NEXT) | instid1(VALU_DEP_2)
	v_add_nc_u32_e32 v3, 1, v2
	v_cmp_le_u32_e32 vcc_lo, s12, v1
	s_delay_alu instid0(VALU_DEP_2) | instskip(NEXT) | instid1(VALU_DEP_1)
	v_dual_cndmask_b32 v1, v2, v3, vcc_lo :: v_dual_mov_b32 v3, v7
	v_xor_b32_e32 v1, s11, v1
	s_delay_alu instid0(VALU_DEP_1) | instskip(NEXT) | instid1(VALU_DEP_1)
	v_subrev_nc_u32_e32 v1, s11, v1
	v_add_nc_u32_e32 v12, s33, v1
	v_cmp_lt_i32_e64 s0, s24, v1
	s_delay_alu instid0(VALU_DEP_2) | instskip(NEXT) | instid1(VALU_DEP_1)
	v_sub_nc_u32_e32 v2, 0, v12
	v_max_i32_e32 v2, v12, v2
	s_delay_alu instid0(VALU_DEP_1) | instskip(SKIP_1) | instid1(VALU_DEP_2)
	v_mul_u64_e32 v[4:5], s[8:9], v[2:3]
	v_ashrrev_i32_e32 v4, 31, v12
	v_mul_lo_u32 v3, v5, s10
	s_delay_alu instid0(VALU_DEP_1) | instskip(NEXT) | instid1(VALU_DEP_1)
	v_sub_nc_u32_e32 v2, v2, v3
	v_subrev_nc_u32_e32 v3, s10, v2
	v_cmp_le_u32_e32 vcc_lo, s10, v2
	s_delay_alu instid0(VALU_DEP_2) | instskip(NEXT) | instid1(VALU_DEP_1)
	v_cndmask_b32_e32 v2, v2, v3, vcc_lo
	v_subrev_nc_u32_e32 v3, s10, v2
	v_cmp_le_u32_e32 vcc_lo, s10, v2
	s_delay_alu instid0(VALU_DEP_2) | instskip(NEXT) | instid1(VALU_DEP_1)
	v_cndmask_b32_e32 v2, v2, v3, vcc_lo
	v_xor_b32_e32 v2, v2, v4
	s_delay_alu instid0(VALU_DEP_1) | instskip(NEXT) | instid1(VALU_DEP_1)
	v_sub_nc_u32_e32 v2, v2, v4
	v_cmp_eq_u32_e32 vcc_lo, 0, v2
	s_or_b32 s18, vcc_lo, s0
	s_delay_alu instid0(SALU_CYCLE_1)
	s_and_saveexec_b32 s0, s18
	s_cbranch_execz .LBB54_48
; %bb.50:                               ;   in Loop: Header=BB54_49 Depth=1
	global_load_b32 v2, v[10:11], off
	s_mov_b32 s18, exec_lo
	s_wait_loadcnt 0x0
	v_ashrrev_i32_e32 v3, 31, v2
	s_delay_alu instid0(VALU_DEP_1)
	v_mul_u64_e32 v[30:31], s[2:3], v[2:3]
	ds_load_2addr_b64 v[2:5], v15 offset1:1
	ds_load_2addr_b64 v[26:29], v15 offset0:2 offset1:3
	s_wait_dscnt 0x1
	;;#ASMSTART
	v_cvt_f16_f32 v24, v2;

	;;#ASMEND
	;;#ASMSTART
	v_cvt_f16_f32 v21, v3;

	;;#ASMEND
	;; [unrolled: 4-line block ×4, first 2 shown]
	s_wait_dscnt 0x0
	;;#ASMSTART
	v_cvt_f16_f32 v26, v26;

	;;#ASMEND
	;;#ASMSTART
	v_cvt_f16_f32 v20, v27;

	;;#ASMEND
	;;#ASMSTART
	v_cvt_f16_f32 v22, v28;

	;;#ASMEND
	;;#ASMSTART
	v_cvt_f16_f32 v19, v29;

	;;#ASMEND
	v_lshl_add_u64 v[2:3], v[30:31], 1, v[8:9]
	global_load_b128 v[2:5], v[2:3], off
	s_wait_loadcnt 0x0
	v_dual_lshrrev_b32 v1, 16, v3 :: v_dual_lshrrev_b32 v17, 16, v4
	v_lshrrev_b32_e32 v12, 16, v2
	v_cmpx_eq_u32_e64 s13, v16
	s_cbranch_execz .LBB54_47
; %bb.51:                               ;   in Loop: Header=BB54_49 Depth=1
	v_dual_add_nc_u32 v27, 2, v6 :: v_dual_bitop2_b32 v28, 3, v6 bitop3:0x54
	v_cmp_gt_i32_e32 vcc_lo, s31, v6
	v_add_nc_u32_e32 v30, 7, v6
	v_cndmask_b32_e32 v2, 0, v2, vcc_lo
	s_delay_alu instid0(VALU_DEP_4) | instskip(SKIP_4) | instid1(VALU_DEP_2)
	v_cmp_gt_i32_e32 vcc_lo, s31, v27
	v_dual_add_nc_u32 v27, 4, v6 :: v_dual_cndmask_b32 v3, 0, v3, vcc_lo
	v_cmp_gt_i32_e32 vcc_lo, s14, v28
	v_dual_add_nc_u32 v28, 6, v6 :: v_dual_bitop2_b32 v29, 1, v6 bitop3:0x54
	v_cndmask_b32_e32 v1, 0, v1, vcc_lo
	v_cmp_gt_i32_e32 vcc_lo, s31, v29
	v_and_b32_e32 v29, 0xffff, v5
	v_and_b32_e32 v5, 0xffff0000, v5
	v_cndmask_b32_e32 v12, 0, v12, vcc_lo
	v_cmp_gt_i32_e32 vcc_lo, s31, v28
	s_delay_alu instid0(VALU_DEP_4)
	v_dual_cndmask_b32 v28, 0, v29 :: v_dual_add_nc_u32 v31, 5, v6
	v_cmp_gt_i32_e32 vcc_lo, s31, v30
	v_cndmask_b32_e32 v5, 0, v5, vcc_lo
	v_cmp_gt_i32_e32 vcc_lo, s31, v27
	v_cndmask_b32_e32 v4, 0, v4, vcc_lo
	v_cmp_gt_i32_e32 vcc_lo, s31, v31
	s_delay_alu instid0(VALU_DEP_4)
	v_or_b32_e32 v5, v28, v5
	v_cndmask_b32_e32 v17, 0, v17, vcc_lo
	s_branch .LBB54_47
.LBB54_52:
	s_or_b32 exec_lo, exec_lo, s15
.LBB54_53:
	s_delay_alu instid0(SALU_CYCLE_1)
	s_or_b32 exec_lo, exec_lo, s1
	v_and_b32_e32 v1, 0x3c0, v0
	v_lshl_add_u32 v2, v14, 2, 0x60
	s_mov_b32 s0, exec_lo
	s_barrier_signal -1
	s_barrier_wait -1
	v_cmpx_eq_u32_e32 64, v1
; %bb.54:
	v_lshlrev_b32_e32 v1, 7, v13
	s_delay_alu instid0(VALU_DEP_1)
	v_add3_u32 v1, v2, v1, 0xffffff00
	ds_store_b32 v1, v18
; %bb.55:
	s_or_b32 exec_lo, exec_lo, s0
	v_and_b32_e32 v3, 0x3e0, v0
	s_mov_b32 s0, exec_lo
	s_wait_dscnt 0x0
	s_barrier_signal -1
	s_barrier_wait -1
	v_lshl_add_u32 v1, v3, 2, v2
	v_cmpx_gt_u32_e32 64, v0
	s_cbranch_execz .LBB54_57
; %bb.56:
	ds_load_b32 v4, v1
	s_wait_dscnt 0x0
	v_add_f32_e32 v18, v18, v4
.LBB54_57:
	s_or_b32 exec_lo, exec_lo, s0
	s_delay_alu instid0(SALU_CYCLE_1)
	s_mov_b32 s0, exec_lo
	s_barrier_signal -1
	s_barrier_wait -1
	v_cmpx_eq_u32_e32 32, v3
; %bb.58:
	ds_store_b32 v2, v18
; %bb.59:
	s_or_b32 exec_lo, exec_lo, s0
	v_cmp_gt_u32_e32 vcc_lo, 32, v0
	s_wait_dscnt 0x0
	s_barrier_signal -1
	s_barrier_wait -1
	s_and_saveexec_b32 s0, vcc_lo
	s_cbranch_execz .LBB54_61
; %bb.60:
	ds_load_b32 v0, v1
	s_wait_dscnt 0x0
	v_add_f32_e32 v18, v18, v0
.LBB54_61:
	s_or_b32 exec_lo, exec_lo, s0
	s_barrier_signal -1
	s_barrier_wait -1
	s_and_saveexec_b32 s0, vcc_lo
	s_cbranch_execz .LBB54_63
; %bb.62:
	s_mul_i32 s1, s30, s7
	s_mul_i32 s0, s7, s6
	;; [unrolled: 1-line block ×3, first 2 shown]
	s_bfe_u32 s7, ttmp6, 0x40014
	s_lshl_b32 s2, s1, 5
	s_lshr_b32 s6, ttmp7, 16
	s_ashr_i32 s3, s2, 31
	s_add_co_i32 s7, s7, 1
	s_lshl_b64 s[2:3], s[2:3], 1
	s_ashr_i32 s1, s0, 31
	s_wait_kmcnt 0x0
	s_add_nc_u64 s[2:3], s[4:5], s[2:3]
	s_mul_i32 s4, s6, s7
	s_bfe_u32 s5, ttmp6, 0x40008
	s_lshl_b64 s[0:1], s[0:1], 1
	s_add_co_i32 s5, s5, s4
	s_cmp_eq_u32 s28, 0
	s_add_nc_u64 s[0:1], s[2:3], s[0:1]
	s_cselect_b32 s2, s6, s5
	s_mov_b32 s3, 0
	s_lshl_b32 s2, s2, 6
	;;#ASMSTART
	v_cvt_f16_f32 v0, v18;

	;;#ASMEND
	s_add_nc_u64 s[0:1], s[0:1], s[2:3]
	global_store_b16 v14, v0, s[0:1] scale_offset
.LBB54_63:
	s_endpgm
	.section	.rodata,"a",@progbits
	.p2align	6, 0x0
	.amdhsa_kernel _ZN4vllm25paged_attention_v1_kernelIttLi32ELi8ELi128ELNS_18Fp8KVCacheDataTypeE0ELb1EEEvPT_PKS2_PKT0_S8_ifPKiSA_iPKfiiiSC_SC_iiiii
		.amdhsa_group_segment_fixed_size 96
		.amdhsa_private_segment_fixed_size 0
		.amdhsa_kernarg_size 384
		.amdhsa_user_sgpr_count 2
		.amdhsa_user_sgpr_dispatch_ptr 0
		.amdhsa_user_sgpr_queue_ptr 0
		.amdhsa_user_sgpr_kernarg_segment_ptr 1
		.amdhsa_user_sgpr_dispatch_id 0
		.amdhsa_user_sgpr_kernarg_preload_length 0
		.amdhsa_user_sgpr_kernarg_preload_offset 0
		.amdhsa_user_sgpr_private_segment_size 0
		.amdhsa_wavefront_size32 1
		.amdhsa_uses_dynamic_stack 0
		.amdhsa_enable_private_segment 0
		.amdhsa_system_sgpr_workgroup_id_x 1
		.amdhsa_system_sgpr_workgroup_id_y 1
		.amdhsa_system_sgpr_workgroup_id_z 1
		.amdhsa_system_sgpr_workgroup_info 0
		.amdhsa_system_vgpr_workitem_id 0
		.amdhsa_next_free_vgpr 34
		.amdhsa_next_free_sgpr 40
		.amdhsa_named_barrier_count 0
		.amdhsa_reserve_vcc 1
		.amdhsa_float_round_mode_32 0
		.amdhsa_float_round_mode_16_64 0
		.amdhsa_float_denorm_mode_32 3
		.amdhsa_float_denorm_mode_16_64 3
		.amdhsa_fp16_overflow 0
		.amdhsa_memory_ordered 1
		.amdhsa_forward_progress 1
		.amdhsa_inst_pref_size 36
		.amdhsa_round_robin_scheduling 0
		.amdhsa_exception_fp_ieee_invalid_op 0
		.amdhsa_exception_fp_denorm_src 0
		.amdhsa_exception_fp_ieee_div_zero 0
		.amdhsa_exception_fp_ieee_overflow 0
		.amdhsa_exception_fp_ieee_underflow 0
		.amdhsa_exception_fp_ieee_inexact 0
		.amdhsa_exception_int_div_zero 0
	.end_amdhsa_kernel
	.section	.text._ZN4vllm25paged_attention_v1_kernelIttLi32ELi8ELi128ELNS_18Fp8KVCacheDataTypeE0ELb1EEEvPT_PKS2_PKT0_S8_ifPKiSA_iPKfiiiSC_SC_iiiii,"axG",@progbits,_ZN4vllm25paged_attention_v1_kernelIttLi32ELi8ELi128ELNS_18Fp8KVCacheDataTypeE0ELb1EEEvPT_PKS2_PKT0_S8_ifPKiSA_iPKfiiiSC_SC_iiiii,comdat
.Lfunc_end54:
	.size	_ZN4vllm25paged_attention_v1_kernelIttLi32ELi8ELi128ELNS_18Fp8KVCacheDataTypeE0ELb1EEEvPT_PKS2_PKT0_S8_ifPKiSA_iPKfiiiSC_SC_iiiii, .Lfunc_end54-_ZN4vllm25paged_attention_v1_kernelIttLi32ELi8ELi128ELNS_18Fp8KVCacheDataTypeE0ELb1EEEvPT_PKS2_PKT0_S8_ifPKiSA_iPKfiiiSC_SC_iiiii
                                        ; -- End function
	.set _ZN4vllm25paged_attention_v1_kernelIttLi32ELi8ELi128ELNS_18Fp8KVCacheDataTypeE0ELb1EEEvPT_PKS2_PKT0_S8_ifPKiSA_iPKfiiiSC_SC_iiiii.num_vgpr, 34
	.set _ZN4vllm25paged_attention_v1_kernelIttLi32ELi8ELi128ELNS_18Fp8KVCacheDataTypeE0ELb1EEEvPT_PKS2_PKT0_S8_ifPKiSA_iPKfiiiSC_SC_iiiii.num_agpr, 0
	.set _ZN4vllm25paged_attention_v1_kernelIttLi32ELi8ELi128ELNS_18Fp8KVCacheDataTypeE0ELb1EEEvPT_PKS2_PKT0_S8_ifPKiSA_iPKfiiiSC_SC_iiiii.numbered_sgpr, 40
	.set _ZN4vllm25paged_attention_v1_kernelIttLi32ELi8ELi128ELNS_18Fp8KVCacheDataTypeE0ELb1EEEvPT_PKS2_PKT0_S8_ifPKiSA_iPKfiiiSC_SC_iiiii.num_named_barrier, 0
	.set _ZN4vllm25paged_attention_v1_kernelIttLi32ELi8ELi128ELNS_18Fp8KVCacheDataTypeE0ELb1EEEvPT_PKS2_PKT0_S8_ifPKiSA_iPKfiiiSC_SC_iiiii.private_seg_size, 0
	.set _ZN4vllm25paged_attention_v1_kernelIttLi32ELi8ELi128ELNS_18Fp8KVCacheDataTypeE0ELb1EEEvPT_PKS2_PKT0_S8_ifPKiSA_iPKfiiiSC_SC_iiiii.uses_vcc, 1
	.set _ZN4vllm25paged_attention_v1_kernelIttLi32ELi8ELi128ELNS_18Fp8KVCacheDataTypeE0ELb1EEEvPT_PKS2_PKT0_S8_ifPKiSA_iPKfiiiSC_SC_iiiii.uses_flat_scratch, 0
	.set _ZN4vllm25paged_attention_v1_kernelIttLi32ELi8ELi128ELNS_18Fp8KVCacheDataTypeE0ELb1EEEvPT_PKS2_PKT0_S8_ifPKiSA_iPKfiiiSC_SC_iiiii.has_dyn_sized_stack, 0
	.set _ZN4vllm25paged_attention_v1_kernelIttLi32ELi8ELi128ELNS_18Fp8KVCacheDataTypeE0ELb1EEEvPT_PKS2_PKT0_S8_ifPKiSA_iPKfiiiSC_SC_iiiii.has_recursion, 0
	.set _ZN4vllm25paged_attention_v1_kernelIttLi32ELi8ELi128ELNS_18Fp8KVCacheDataTypeE0ELb1EEEvPT_PKS2_PKT0_S8_ifPKiSA_iPKfiiiSC_SC_iiiii.has_indirect_call, 0
	.section	.AMDGPU.csdata,"",@progbits
; Kernel info:
; codeLenInByte = 4592
; TotalNumSgprs: 42
; NumVgprs: 34
; ScratchSize: 0
; MemoryBound: 0
; FloatMode: 240
; IeeeMode: 1
; LDSByteSize: 96 bytes/workgroup (compile time only)
; SGPRBlocks: 0
; VGPRBlocks: 2
; NumSGPRsForWavesPerEU: 42
; NumVGPRsForWavesPerEU: 34
; NamedBarCnt: 0
; Occupancy: 16
; WaveLimiterHint : 1
; COMPUTE_PGM_RSRC2:SCRATCH_EN: 0
; COMPUTE_PGM_RSRC2:USER_SGPR: 2
; COMPUTE_PGM_RSRC2:TRAP_HANDLER: 0
; COMPUTE_PGM_RSRC2:TGID_X_EN: 1
; COMPUTE_PGM_RSRC2:TGID_Y_EN: 1
; COMPUTE_PGM_RSRC2:TGID_Z_EN: 1
; COMPUTE_PGM_RSRC2:TIDIG_COMP_CNT: 0
	.section	.text._ZN4vllm25paged_attention_v1_kernelIttLi64ELi8ELi128ELNS_18Fp8KVCacheDataTypeE0ELb1EEEvPT_PKS2_PKT0_S8_ifPKiSA_iPKfiiiSC_SC_iiiii,"axG",@progbits,_ZN4vllm25paged_attention_v1_kernelIttLi64ELi8ELi128ELNS_18Fp8KVCacheDataTypeE0ELb1EEEvPT_PKS2_PKT0_S8_ifPKiSA_iPKfiiiSC_SC_iiiii,comdat
	.protected	_ZN4vllm25paged_attention_v1_kernelIttLi64ELi8ELi128ELNS_18Fp8KVCacheDataTypeE0ELb1EEEvPT_PKS2_PKT0_S8_ifPKiSA_iPKfiiiSC_SC_iiiii ; -- Begin function _ZN4vllm25paged_attention_v1_kernelIttLi64ELi8ELi128ELNS_18Fp8KVCacheDataTypeE0ELb1EEEvPT_PKS2_PKT0_S8_ifPKiSA_iPKfiiiSC_SC_iiiii
	.globl	_ZN4vllm25paged_attention_v1_kernelIttLi64ELi8ELi128ELNS_18Fp8KVCacheDataTypeE0ELb1EEEvPT_PKS2_PKT0_S8_ifPKiSA_iPKfiiiSC_SC_iiiii
	.p2align	8
	.type	_ZN4vllm25paged_attention_v1_kernelIttLi64ELi8ELi128ELNS_18Fp8KVCacheDataTypeE0ELb1EEEvPT_PKS2_PKT0_S8_ifPKiSA_iPKfiiiSC_SC_iiiii,@function
_ZN4vllm25paged_attention_v1_kernelIttLi64ELi8ELi128ELNS_18Fp8KVCacheDataTypeE0ELb1EEEvPT_PKS2_PKT0_S8_ifPKiSA_iPKfiiiSC_SC_iiiii: ; @_ZN4vllm25paged_attention_v1_kernelIttLi64ELi8ELi128ELNS_18Fp8KVCacheDataTypeE0ELb1EEEvPT_PKS2_PKT0_S8_ifPKiSA_iPKfiiiSC_SC_iiiii
; %bb.0:
	s_load_b64 s[6:7], s[0:1], 0x20
	s_bfe_u32 s3, ttmp6, 0x4000c
	s_bfe_u32 s5, ttmp6, 0x40010
	s_and_b32 s4, ttmp7, 0xffff
	s_add_co_i32 s3, s3, 1
	s_add_co_i32 s5, s5, 1
	s_and_b32 s2, ttmp6, 15
	s_bfe_u32 s8, ttmp6, 0x40004
	s_mul_i32 s3, ttmp9, s3
	s_mul_i32 s5, s4, s5
	s_getreg_b32 s28, hwreg(HW_REG_IB_STS2, 6, 4)
	s_add_co_i32 s9, s2, s3
	s_add_co_i32 s8, s8, s5
	s_cmp_eq_u32 s28, 0
	s_clause 0x1
	s_load_b32 s29, s[0:1], 0x80
	s_load_b64 s[2:3], s[0:1], 0x30
	s_cselect_b32 s30, s4, s8
	s_cselect_b32 s4, ttmp9, s9
	s_mov_b32 s19, 0
	s_delay_alu instid0(SALU_CYCLE_1) | instskip(SKIP_2) | instid1(SALU_CYCLE_1)
	s_mov_b32 s35, s19
	s_wait_kmcnt 0x0
	s_abs_i32 s5, s6
	s_cvt_f32_u32 s8, s5
	s_sub_co_i32 s9, 0, s5
	s_delay_alu instid0(SALU_CYCLE_2) | instskip(SKIP_2) | instid1(TRANS32_DEP_1)
	v_rcp_iflag_f32_e32 v1, s8
	s_abs_i32 s10, s29
	v_nop
	v_readfirstlane_b32 s8, v1
	s_mul_f32 s8, s8, 0x4f7ffffe
	s_delay_alu instid0(SALU_CYCLE_3) | instskip(NEXT) | instid1(SALU_CYCLE_3)
	s_cvt_u32_f32 s8, s8
	s_mul_i32 s9, s9, s8
	s_delay_alu instid0(SALU_CYCLE_1) | instskip(NEXT) | instid1(SALU_CYCLE_1)
	s_mul_hi_u32 s9, s8, s9
	s_add_co_i32 s8, s8, s9
	s_xor_b32 s9, s29, s6
	s_mul_hi_u32 s8, s10, s8
	s_ashr_i32 s9, s9, 31
	s_mul_i32 s11, s8, s5
	s_delay_alu instid0(SALU_CYCLE_1)
	s_sub_co_i32 s10, s10, s11
	s_add_co_i32 s11, s8, 1
	s_sub_co_i32 s12, s10, s5
	s_cmp_ge_u32 s10, s5
	s_cselect_b32 s8, s11, s8
	s_cselect_b32 s10, s12, s10
	s_add_co_i32 s11, s8, 1
	s_cmp_ge_u32 s10, s5
	s_cselect_b32 s5, s11, s8
	s_load_b64 s[10:11], s[0:1], 0x40
	s_xor_b32 s5, s5, s9
	s_abs_i32 s18, s4
	s_sub_co_i32 s16, s5, s9
	s_mov_b32 s9, s19
	s_abs_i32 s15, s16
	s_delay_alu instid0(SALU_CYCLE_1) | instskip(SKIP_1) | instid1(SALU_CYCLE_2)
	s_cvt_f32_u32 s5, s15
	s_sub_co_i32 s8, 0, s15
	v_rcp_iflag_f32_e32 v1, s5
	v_nop
	s_delay_alu instid0(TRANS32_DEP_1) | instskip(SKIP_1) | instid1(SALU_CYCLE_3)
	v_readfirstlane_b32 s5, v1
	s_mul_f32 s5, s5, 0x4f7ffffe
	s_cvt_u32_f32 s5, s5
	s_delay_alu instid0(SALU_CYCLE_3) | instskip(NEXT) | instid1(SALU_CYCLE_1)
	s_mul_i32 s8, s8, s5
	s_mul_hi_u32 s8, s5, s8
	s_delay_alu instid0(SALU_CYCLE_1)
	s_add_co_i32 s8, s5, s8
	s_wait_kmcnt 0x0
	s_cmp_eq_u64 s[10:11], 0
	s_cbranch_scc1 .LBB55_2
; %bb.1:
	s_ashr_i32 s5, s4, 31
	s_delay_alu instid0(SALU_CYCLE_1) | instskip(NEXT) | instid1(SALU_CYCLE_1)
	s_lshl_b64 s[12:13], s[4:5], 2
	s_add_nc_u64 s[10:11], s[10:11], s[12:13]
	s_load_b32 s35, s[10:11], 0x0
.LBB55_2:
	s_load_b32 s31, s[2:3], s30 offset:0x0 scale_offset
	s_load_b96 s[12:14], s[0:1], 0x48
	v_and_b32_e32 v4, 3, v0
	s_wait_xcnt 0x0
	v_cmp_gt_u32_e64 s2, 32, v0
	s_ashr_i32 s3, s4, 31
	s_ashr_i32 s5, s16, 31
	s_mul_u64 s[20:21], s[18:19], s[8:9]
	s_lshl_b32 s16, s4, 6
	s_and_saveexec_b32 s8, s2
	s_cbranch_execz .LBB55_4
; %bb.3:
	s_load_b64 s[10:11], s[0:1], 0x8
	s_wait_kmcnt 0x0
	s_mul_i32 s22, s12, s30
	s_ashr_i32 s17, s16, 31
	s_ashr_i32 s23, s22, 31
	v_and_b32_e32 v2, 0x3fc, v0
	s_lshl_b64 s[22:23], s[22:23], 1
	s_delay_alu instid0(VALU_DEP_1) | instskip(SKIP_2) | instid1(SALU_CYCLE_1)
	v_lshl_add_u32 v2, v4, 5, v2
	s_add_nc_u64 s[10:11], s[10:11], s[22:23]
	s_lshl_b64 s[22:23], s[16:17], 1
	s_add_nc_u64 s[10:11], s[10:11], s[22:23]
	global_load_b32 v1, v0, s[10:11] scale_offset
	s_wait_loadcnt 0x0
	ds_store_b32 v2, v1
.LBB55_4:
	s_or_b32 exec_lo, exec_lo, s8
	s_load_b128 s[8:11], s[0:1], 0x68
	s_wait_kmcnt 0x0
	s_mul_i32 s12, s21, s15
	s_xor_b32 s5, s3, s5
	s_sub_co_i32 s3, s18, s12
	s_add_co_i32 s12, s21, 1
	s_sub_co_i32 s17, s3, s15
	s_cmp_ge_u32 s3, s15
	s_mov_b32 s22, -1
	s_cselect_b32 s12, s12, s21
	s_cselect_b32 s3, s17, s3
	s_add_co_i32 s17, s12, 1
	s_cmp_ge_u32 s3, s15
	s_load_b32 s3, s[0:1], 0x78
	s_cselect_b32 s15, s17, s12
	s_mov_b32 s21, 0
	s_xor_b32 s15, s15, s5
	s_mov_b32 s19, s21
	s_sub_co_i32 s5, s15, s5
	s_wait_dscnt 0x0
	s_barrier_signal -1
	s_abs_i32 s12, s11
	s_barrier_wait -1
	s_cvt_f32_u32 s17, s12
	s_sub_co_i32 s18, 0, s12
	s_delay_alu instid0(SALU_CYCLE_2) | instskip(SKIP_1) | instid1(TRANS32_DEP_1)
	v_rcp_iflag_f32_e32 v1, s17
	v_nop
	v_readfirstlane_b32 s17, v1
	s_mul_f32 s15, s17, 0x4f7ffffe
	s_delay_alu instid0(SALU_CYCLE_3) | instskip(SKIP_1) | instid1(SALU_CYCLE_1)
	s_cvt_u32_f32 s17, s15
	s_add_co_i32 s15, s31, -1
	s_abs_i32 s20, s15
	s_delay_alu instid0(SALU_CYCLE_1) | instskip(NEXT) | instid1(SALU_CYCLE_1)
	s_mul_i32 s18, s18, s17
	s_mul_hi_u32 s18, s17, s18
	s_delay_alu instid0(SALU_CYCLE_1)
	s_add_co_i32 s18, s17, s18
	s_wait_kmcnt 0x0
	s_cmp_lt_i32 s3, 0
                                        ; implicit-def: $sgpr17
	s_cbranch_scc0 .LBB55_6
; %bb.5:
	s_mul_i32 s6, s8, s6
	s_mov_b32 s22, s21
	s_add_co_i32 s6, s5, s6
	s_delay_alu instid0(SALU_CYCLE_1) | instskip(NEXT) | instid1(SALU_CYCLE_1)
	s_mul_i32 s6, s6, s3
	s_sub_co_i32 s17, 1, s6
.LBB55_6:
	s_ashr_i32 s6, s15, 31
	s_ashr_i32 s33, s11, 31
	s_and_not1_b32 vcc_lo, exec_lo, s22
	s_mul_u64 s[24:25], s[20:21], s[18:19]
	s_cbranch_vccnz .LBB55_8
; %bb.7:
	s_mul_i32 s8, s29, s8
	s_delay_alu instid0(SALU_CYCLE_1) | instskip(NEXT) | instid1(SALU_CYCLE_1)
	s_add_co_i32 s4, s8, s4
	s_mul_i32 s3, s4, s3
	s_delay_alu instid0(SALU_CYCLE_1)
	s_add_co_i32 s17, s3, 1
.LBB55_8:
	s_load_b32 s3, s[0:1], 0x38
	s_xor_b32 s4, s6, s33
	s_mul_i32 s6, s25, s12
	s_add_co_i32 s8, s25, 1
	s_sub_co_i32 s6, s20, s6
	s_clause 0x1
	s_load_b64 s[20:21], s[0:1], 0x28
	s_load_b32 s11, s[0:1], 0x88
	v_dual_mov_b32 v12, 0xff7fffff :: v_dual_lshrrev_b32 v17, 5, v0
	v_lshrrev_b32_e32 v1, 3, v0
	v_mbcnt_lo_u32_b32 v7, -1, 0
	s_mul_i32 s14, s5, s14
	s_delay_alu instid0(VALU_DEP_3)
	v_lshlrev_b32_e32 v6, 3, v17
	s_wait_kmcnt 0x0
	s_mul_i32 s22, s3, s30
	s_sub_co_i32 s3, s6, s12
	s_ashr_i32 s23, s22, 31
	s_cmp_ge_u32 s6, s12
	s_cselect_b32 s8, s8, s25
	s_cselect_b32 s3, s3, s6
	s_add_co_i32 s6, s8, 1
	s_cmp_ge_u32 s3, s12
	s_cselect_b32 s3, s6, s8
	s_add_co_i32 s6, s31, 7
	s_delay_alu instid0(SALU_CYCLE_1) | instskip(NEXT) | instid1(SALU_CYCLE_1)
	s_ashr_i32 s8, s6, 31
	s_lshr_b32 s8, s8, 29
	s_delay_alu instid0(SALU_CYCLE_1) | instskip(NEXT) | instid1(SALU_CYCLE_1)
	s_add_co_i32 s6, s6, s8
	s_ashr_i32 s34, s6, 3
	s_xor_b32 s6, s3, s4
	v_cmp_gt_i32_e64 s3, s34, v17
	s_sub_co_i32 s8, s6, s4
	s_and_saveexec_b32 s36, s3
	s_cbranch_execz .LBB55_20
; %bb.9:
	s_load_b64 s[38:39], s[0:1], 0x10
	s_ashr_i32 s15, s14, 31
	s_sub_co_i32 s37, s8, s9
	s_ashr_i32 s25, s13, 31
	s_lshl_b64 s[40:41], s[14:15], 1
	s_cmp_neq_f32 s35, 0
	v_bfe_u32 v10, v0, 2, 3
	v_dual_mov_b32 v3, 0 :: v_dual_lshlrev_b32 v11, 5, v4
	s_cselect_b32 vcc_lo, -1, 0
	s_abs_i32 s15, s10
	s_delay_alu instid0(VALU_DEP_2)
	v_lshlrev_b32_e32 v2, 4, v10
	s_cvt_f32_u32 s4, s15
	v_subrev_nc_u32_e32 v9, s31, v10
	v_lshlrev_b32_e32 v8, 2, v0
	s_sub_co_i32 s6, 0, s15
	v_rcp_iflag_f32_e32 v5, s4
	v_cmp_eq_u32_e64 s4, 0, v4
	v_dual_add_nc_u32 v13, 1, v9 :: v_dual_bitop2_b32 v16, 2, v7 bitop3:0x14
	s_wait_kmcnt 0x0
	s_add_nc_u64 s[38:39], s[38:39], s[40:41]
	v_dual_mov_b32 v19, v17 :: v_dual_bitop2_b32 v18, 1, v7 bitop3:0x14
	s_delay_alu instid0(TRANS32_DEP_1)
	v_readfirstlane_b32 s5, v5
	v_add_nc_u64_e32 v[4:5], s[38:39], v[2:3]
	v_dual_lshlrev_b32 v8, 2, v10 :: v_dual_bitop2_b32 v2, 12, v8 bitop3:0x40
	s_lshl_b64 s[38:39], s[22:23], 2
	s_mul_f32 s5, s5, 0x4f7ffffe
	s_add_nc_u64 s[38:39], s[20:21], s[38:39]
	s_mov_b32 s27, 0
	s_delay_alu instid0(VALU_DEP_2)
	v_add_nc_u64_e32 v[4:5], v[4:5], v[2:3]
	v_and_b32_e32 v2, 0x7c, v1
	s_cvt_u32_f32 s5, s5
	v_lshl_or_b32 v12, v17, 5, v8
	v_mov_b32_e32 v15, 0xff7fffff
	s_mov_b32 s24, s13
	v_add_nc_u64_e32 v[8:9], s[38:39], v[2:3]
	s_mul_i32 s6, s6, s5
	v_lshlrev_b32_e32 v2, 3, v17
	v_add_nc_u32_e32 v14, 0xa0, v12
	v_mov_b32_e32 v12, 0xff7fffff
	s_mul_hi_u32 s6, s5, s6
	s_mov_b32 s38, s27
	s_add_co_i32 s26, s5, s6
	s_branch .LBB55_12
.LBB55_10:                              ;   in Loop: Header=BB55_12 Depth=1
	s_or_b32 exec_lo, exec_lo, s39
.LBB55_11:                              ;   in Loop: Header=BB55_12 Depth=1
	s_delay_alu instid0(SALU_CYCLE_1) | instskip(SKIP_3) | instid1(VALU_DEP_3)
	s_or_b32 exec_lo, exec_lo, s6
	v_dual_add_nc_u32 v19, 4, v19 :: v_dual_add_nc_u32 v2, 32, v2
	v_add_nc_u64_e32 v[8:9], 16, v[8:9]
	v_add_nc_u32_e32 v14, 0x80, v14
	v_cmp_le_i32_e64 s5, s34, v19
	s_or_b32 s38, s5, s38
	s_delay_alu instid0(SALU_CYCLE_1)
	s_and_not1_b32 exec_lo, exec_lo, s38
	s_cbranch_execz .LBB55_19
.LBB55_12:                              ; =>This Inner Loop Header: Depth=1
	s_wait_dscnt 0x0
	v_mul_u64_e32 v[20:21], s[18:19], v[2:3]
	s_delay_alu instid0(VALU_DEP_1) | instskip(NEXT) | instid1(VALU_DEP_1)
	v_mul_lo_u32 v20, v21, s12
	v_dual_add_nc_u32 v22, 1, v21 :: v_dual_sub_nc_u32 v20, v2, v20
	s_delay_alu instid0(VALU_DEP_1) | instskip(SKIP_1) | instid1(VALU_DEP_1)
	v_subrev_nc_u32_e32 v23, s12, v20
	v_cmp_le_u32_e64 s5, s12, v20
	v_dual_cndmask_b32 v21, v21, v22, s5 :: v_dual_cndmask_b32 v20, v20, v23, s5
	s_delay_alu instid0(VALU_DEP_1) | instskip(NEXT) | instid1(VALU_DEP_2)
	v_add_nc_u32_e32 v22, 1, v21
	v_cmp_le_u32_e64 s5, s12, v20
	s_delay_alu instid0(VALU_DEP_1) | instskip(NEXT) | instid1(VALU_DEP_1)
	v_dual_cndmask_b32 v20, v21, v22, s5 :: v_dual_mov_b32 v21, v3
	v_xor_b32_e32 v20, s33, v20
	s_delay_alu instid0(VALU_DEP_1) | instskip(NEXT) | instid1(VALU_DEP_1)
	v_subrev_nc_u32_e32 v24, s33, v20
	v_add_nc_u32_e32 v25, s17, v24
	v_cmp_ge_i32_e64 s6, s37, v24
	s_delay_alu instid0(VALU_DEP_2) | instskip(NEXT) | instid1(VALU_DEP_1)
	v_sub_nc_u32_e32 v20, 0, v25
	v_max_i32_e32 v20, v25, v20
	s_delay_alu instid0(VALU_DEP_1) | instskip(SKIP_1) | instid1(VALU_DEP_2)
	v_mul_u64_e32 v[22:23], s[26:27], v[20:21]
	v_ashrrev_i32_e32 v22, 31, v25
	v_mul_lo_u32 v21, v23, s15
	s_delay_alu instid0(VALU_DEP_1) | instskip(NEXT) | instid1(VALU_DEP_1)
	v_sub_nc_u32_e32 v20, v20, v21
	v_subrev_nc_u32_e32 v21, s15, v20
	v_cmp_le_u32_e64 s5, s15, v20
	s_delay_alu instid0(VALU_DEP_1) | instskip(NEXT) | instid1(VALU_DEP_1)
	v_cndmask_b32_e64 v20, v20, v21, s5
	v_subrev_nc_u32_e32 v21, s15, v20
	v_cmp_le_u32_e64 s5, s15, v20
	s_delay_alu instid0(VALU_DEP_1) | instskip(NEXT) | instid1(VALU_DEP_1)
	v_cndmask_b32_e64 v20, v20, v21, s5
	v_xor_b32_e32 v20, v20, v22
	s_delay_alu instid0(VALU_DEP_1) | instskip(NEXT) | instid1(VALU_DEP_1)
	v_sub_nc_u32_e32 v20, v20, v22
	v_cmp_ne_u32_e64 s5, 0, v20
	s_and_b32 s5, s5, s6
	s_delay_alu instid0(SALU_CYCLE_1) | instskip(NEXT) | instid1(SALU_CYCLE_1)
	s_and_saveexec_b32 s6, s5
	s_xor_b32 s5, exec_lo, s6
	s_cbranch_execz .LBB55_16
; %bb.13:                               ;   in Loop: Header=BB55_12 Depth=1
	s_and_saveexec_b32 s6, s4
; %bb.14:                               ;   in Loop: Header=BB55_12 Depth=1
	ds_store_b32 v14, v15
; %bb.15:                               ;   in Loop: Header=BB55_12 Depth=1
	s_or_b32 exec_lo, exec_lo, s6
.LBB55_16:                              ;   in Loop: Header=BB55_12 Depth=1
	s_and_not1_saveexec_b32 s6, s5
	s_cbranch_execz .LBB55_11
; %bb.17:                               ;   in Loop: Header=BB55_12 Depth=1
	global_load_b32 v20, v[8:9], off
	v_cmp_gt_i32_e64 s5, 32, v16
	s_wait_loadcnt 0x0
	v_ashrrev_i32_e32 v21, 31, v20
	s_delay_alu instid0(VALU_DEP_1) | instskip(NEXT) | instid1(VALU_DEP_1)
	v_mul_u64_e32 v[20:21], s[24:25], v[20:21]
	v_lshl_add_u64 v[20:21], v[20:21], 1, v[4:5]
	s_clause 0x7
	global_load_b32 v22, v[20:21], off
	global_load_b32 v23, v[20:21], off offset:128
	global_load_b32 v24, v[20:21], off offset:256
	;; [unrolled: 1-line block ×7, first 2 shown]
	s_wait_xcnt 0x0
	ds_load_b32 v20, v11
	s_wait_dscnt 0x0
	v_and_b32_e32 v21, 0xffff, v20
	v_lshrrev_b32_e32 v20, 16, v20
	;;#ASMSTART
	v_cvt_f32_f16 v31, v21;
	;;#ASMEND
	;;#ASMSTART
	v_cvt_f32_f16 v32, v20;
	;;#ASMEND
	s_wait_loadcnt 0x7
	v_and_b32_e32 v30, 0xffff, v22
	v_lshrrev_b32_e32 v22, 16, v22
	;;#ASMSTART
	v_cvt_f32_f16 v30, v30;
	;;#ASMEND
	;;#ASMSTART
	v_cvt_f32_f16 v33, v22;
	;;#ASMEND
	ds_load_b32 v20, v11 offset:4
	s_wait_loadcnt 0x6
	v_and_b32_e32 v22, 0xffff, v23
	v_lshrrev_b32_e32 v23, 16, v23
	s_wait_loadcnt 0x5
	v_and_b32_e32 v36, 0xffff, v24
	v_lshrrev_b32_e32 v24, 16, v24
	;; [unrolled: 3-line block ×3, first 2 shown]
	s_wait_loadcnt 0x3
	v_and_b32_e32 v42, 0xffff, v26
	s_wait_loadcnt 0x2
	v_and_b32_e32 v45, 0xffff, v27
	v_dual_lshrrev_b32 v26, 16, v26 :: v_dual_lshrrev_b32 v27, 16, v27
	s_wait_dscnt 0x0
	v_and_b32_e32 v21, 0xffff, v20
	v_lshrrev_b32_e32 v20, 16, v20
	;;#ASMSTART
	v_cvt_f32_f16 v21, v21;
	;;#ASMEND
	;;#ASMSTART
	v_cvt_f32_f16 v34, v20;
	;;#ASMEND
	;; [unrolled: 3-line block ×4, first 2 shown]
	ds_load_b32 v20, v11 offset:8
	s_wait_loadcnt 0x1
	v_lshrrev_b32_e32 v47, 16, v28
	v_and_b32_e32 v28, 0xffff, v28
	v_dual_mul_f32 v21, v21, v22 :: v_dual_mul_f32 v22, v34, v23
	s_delay_alu instid0(VALU_DEP_1)
	v_fmac_f32_e32 v21, v31, v30
	s_wait_dscnt 0x0
	v_and_b32_e32 v35, 0xffff, v20
	v_lshrrev_b32_e32 v20, 16, v20
	;;#ASMSTART
	v_cvt_f32_f16 v35, v35;
	;;#ASMEND
	;;#ASMSTART
	v_cvt_f32_f16 v37, v20;
	;;#ASMEND
	;; [unrolled: 3-line block ×4, first 2 shown]
	ds_load_b32 v20, v11 offset:12
	v_dual_fmac_f32 v22, v32, v33 :: v_dual_fmac_f32 v21, v35, v36
	s_wait_dscnt 0x0
	v_and_b32_e32 v38, 0xffff, v20
	v_lshrrev_b32_e32 v20, 16, v20
	;;#ASMSTART
	v_cvt_f32_f16 v38, v38;
	;;#ASMEND
	;;#ASMSTART
	v_cvt_f32_f16 v40, v20;
	;;#ASMEND
	;; [unrolled: 3-line block ×4, first 2 shown]
	ds_load_b32 v20, v11 offset:16
	v_dual_fmac_f32 v22, v37, v24 :: v_dual_fmac_f32 v21, v38, v39
	s_wait_loadcnt 0x0
	v_lshrrev_b32_e32 v24, 16, v29
	s_wait_dscnt 0x0
	v_and_b32_e32 v41, 0xffff, v20
	v_lshrrev_b32_e32 v20, 16, v20
	;;#ASMSTART
	v_cvt_f32_f16 v41, v41;
	;;#ASMEND
	;;#ASMSTART
	v_cvt_f32_f16 v43, v20;
	;;#ASMEND
	;;#ASMSTART
	v_cvt_f32_f16 v42, v42;
	;;#ASMEND
	;;#ASMSTART
	v_cvt_f32_f16 v26, v26;
	;;#ASMEND
	ds_load_b32 v20, v11 offset:20
	v_dual_fmac_f32 v22, v40, v25 :: v_dual_fmac_f32 v21, v41, v42
	s_delay_alu instid0(VALU_DEP_1)
	v_fmac_f32_e32 v22, v43, v26
	v_and_b32_e32 v26, 0xffff, v29
	s_wait_dscnt 0x0
	v_and_b32_e32 v44, 0xffff, v20
	v_lshrrev_b32_e32 v20, 16, v20
	;;#ASMSTART
	v_cvt_f32_f16 v44, v44;
	;;#ASMEND
	;;#ASMSTART
	v_cvt_f32_f16 v46, v20;
	;;#ASMEND
	;; [unrolled: 3-line block ×4, first 2 shown]
	ds_load_b32 v20, v11 offset:24
	v_fmac_f32_e32 v21, v44, v45
	s_wait_dscnt 0x0
	v_and_b32_e32 v23, 0xffff, v20
	v_lshrrev_b32_e32 v20, 16, v20
	;;#ASMSTART
	v_cvt_f32_f16 v30, v23;
	;;#ASMEND
	;;#ASMSTART
	v_cvt_f32_f16 v31, v20;
	;;#ASMEND
	;; [unrolled: 3-line block ×4, first 2 shown]
	ds_load_b32 v20, v11 offset:28
	v_dual_cndmask_b32 v23, v7, v16, s5 :: v_dual_fmac_f32 v22, v46, v27
	v_fmac_f32_e32 v21, v30, v28
	v_cmp_gt_i32_e64 s5, 32, v18
	s_wait_dscnt 0x0
	v_and_b32_e32 v25, 0xffff, v20
	v_lshrrev_b32_e32 v20, 16, v20
	;;#ASMSTART
	v_cvt_f32_f16 v25, v25;
	;;#ASMEND
	;;#ASMSTART
	v_cvt_f32_f16 v20, v20;
	;;#ASMEND
	;; [unrolled: 3-line block ×3, first 2 shown]
	v_fmac_f32_e32 v22, v31, v32
	;;#ASMSTART
	v_cvt_f32_f16 v24, v24;
	;;#ASMEND
	s_delay_alu instid0(VALU_DEP_1) | instskip(SKIP_1) | instid1(VALU_DEP_1)
	v_dual_fmac_f32 v22, v20, v24 :: v_dual_lshlrev_b32 v20, 2, v23
	v_fmac_f32_e32 v21, v25, v26
	v_add_f32_e32 v21, v21, v22
	ds_bpermute_b32 v20, v20, v21
	s_wait_dscnt 0x0
	v_dual_cndmask_b32 v22, v7, v18, s5 :: v_dual_add_f32 v20, v21, v20
	s_delay_alu instid0(VALU_DEP_1)
	v_lshlrev_b32_e32 v21, 2, v22
	ds_bpermute_b32 v21, v21, v20
	s_and_saveexec_b32 s39, s4
	s_cbranch_execz .LBB55_10
; %bb.18:                               ;   in Loop: Header=BB55_12 Depth=1
	s_wait_dscnt 0x0
	v_dual_add_nc_u32 v22, v13, v2 :: v_dual_add_f32 v20, v20, v21
	s_delay_alu instid0(VALU_DEP_1) | instskip(NEXT) | instid1(VALU_DEP_1)
	v_cvt_f32_i32_e32 v22, v22
	v_mul_f32_e32 v22, s35, v22
	s_delay_alu instid0(VALU_DEP_1) | instskip(NEXT) | instid1(VALU_DEP_1)
	v_dual_cndmask_b32 v21, 0, v22 :: v_dual_max_num_f32 v22, v12, v12
	v_dual_fmac_f32 v21, s7, v20 :: v_dual_add_nc_u32 v20, v10, v2
	s_delay_alu instid0(VALU_DEP_1) | instskip(NEXT) | instid1(VALU_DEP_1)
	v_cmp_gt_i32_e64 s5, s31, v20
	v_dual_max_num_f32 v22, v22, v21 :: v_dual_cndmask_b32 v20, 0, v21, s5
	s_delay_alu instid0(VALU_DEP_1)
	v_cndmask_b32_e64 v12, v12, v22, s5
	ds_store_b32 v14, v20
	s_branch .LBB55_10
.LBB55_19:
	s_or_b32 exec_lo, exec_lo, s38
.LBB55_20:
	s_delay_alu instid0(SALU_CYCLE_1)
	s_or_b32 exec_lo, exec_lo, s36
	v_dual_max_num_f32 v5, v12, v12 :: v_dual_bitop2_b32 v2, 16, v7 bitop3:0x14
	s_clause 0x1
	s_load_b64 s[6:7], s[0:1], 0x0
	s_load_b64 s[24:25], s[0:1], 0x18
	v_and_b32_e32 v18, 31, v0
	v_xor_b32_e32 v4, 8, v7
	v_cmp_gt_i32_e32 vcc_lo, 32, v2
	v_cndmask_b32_e32 v2, v7, v2, vcc_lo
	s_delay_alu instid0(VALU_DEP_3) | instskip(NEXT) | instid1(VALU_DEP_2)
	v_cmp_gt_i32_e32 vcc_lo, 32, v4
	v_dual_lshlrev_b32 v2, 2, v2 :: v_dual_cndmask_b32 v4, v7, v4, vcc_lo
	ds_bpermute_b32 v3, v2, v12
	s_wait_dscnt 0x0
	v_dual_max_num_f32 v8, v3, v3 :: v_dual_lshlrev_b32 v3, 2, v4
	s_delay_alu instid0(VALU_DEP_1) | instskip(SKIP_4) | instid1(VALU_DEP_1)
	v_dual_max_num_f32 v4, v5, v8 :: v_dual_bitop2_b32 v8, 4, v7 bitop3:0x14
	ds_bpermute_b32 v5, v3, v4
	v_cmp_gt_i32_e32 vcc_lo, 32, v8
	v_cndmask_b32_e32 v8, v7, v8, vcc_lo
	s_wait_dscnt 0x0
	v_dual_max_num_f32 v5, v5, v5 :: v_dual_lshlrev_b32 v8, 2, v8
	s_delay_alu instid0(VALU_DEP_1)
	v_max_num_f32_e32 v5, v4, v5
	v_lshlrev_b32_e32 v4, 2, v17
	v_cmp_eq_u32_e32 vcc_lo, 0, v18
	ds_bpermute_b32 v9, v8, v5
	s_wait_xcnt 0x0
	s_and_saveexec_b32 s0, vcc_lo
	s_cbranch_execz .LBB55_22
; %bb.21:
	s_wait_dscnt 0x0
	v_max_num_f32_e32 v9, v9, v9
	v_max_num_f32_e32 v5, v5, v5
	s_delay_alu instid0(VALU_DEP_1)
	v_max_num_f32_e32 v5, v5, v9
	ds_store_b32 v4, v5 offset:128
.LBB55_22:
	s_or_b32 exec_lo, exec_lo, s0
	v_cmp_gt_u32_e64 s0, 4, v18
	v_dual_mov_b32 v10, 0xff7fffff :: v_dual_lshlrev_b32 v5, 2, v18
	s_wait_dscnt 0x0
	s_barrier_signal -1
	s_barrier_wait -1
	s_and_saveexec_b32 s1, s0
; %bb.23:
	ds_load_b32 v10, v5 offset:128
; %bb.24:
	s_or_b32 exec_lo, exec_lo, s1
	v_xor_b32_e32 v9, 2, v7
	v_xor_b32_e32 v12, 1, v7
	s_delay_alu instid0(VALU_DEP_2) | instskip(NEXT) | instid1(VALU_DEP_1)
	v_cmp_gt_i32_e64 s1, 32, v9
	v_cndmask_b32_e64 v9, v7, v9, s1
	s_delay_alu instid0(VALU_DEP_3) | instskip(NEXT) | instid1(VALU_DEP_1)
	v_cmp_gt_i32_e64 s1, 32, v12
	v_dual_lshlrev_b32 v9, 2, v9 :: v_dual_cndmask_b32 v7, v7, v12, s1
	s_lshl_b32 s1, s34, 3
	s_delay_alu instid0(SALU_CYCLE_1)
	s_min_i32 s5, s1, s31
	s_wait_dscnt 0x0
	ds_bpermute_b32 v11, v9, v10
	v_max_num_f32_e32 v10, v10, v10
	v_cmp_gt_i32_e64 s1, s5, v0
	v_lshlrev_b32_e32 v7, 2, v7
	s_wait_dscnt 0x0
	v_max_num_f32_e32 v11, v11, v11
	s_delay_alu instid0(VALU_DEP_1) | instskip(SKIP_3) | instid1(VALU_DEP_1)
	v_max_num_f32_e32 v10, v10, v11
	ds_bpermute_b32 v11, v7, v10
	s_wait_dscnt 0x0
	v_max_num_f32_e32 v11, v11, v11
	v_dual_max_num_f32 v11, v10, v11 :: v_dual_mov_b32 v10, 0
	ds_bpermute_b32 v11, v10, v11
	s_and_saveexec_b32 s15, s1
	s_cbranch_execz .LBB55_28
; %bb.25:
	v_lshl_add_u32 v12, v0, 2, 0xa0
	v_dual_mov_b32 v10, 0 :: v_dual_mov_b32 v13, v0
	s_mov_b32 s26, 0
.LBB55_26:                              ; =>This Inner Loop Header: Depth=1
	ds_load_b32 v14, v12
	v_add_nc_u32_e32 v13, 0x80, v13
	s_delay_alu instid0(VALU_DEP_1) | instskip(SKIP_3) | instid1(VALU_DEP_1)
	v_cmp_le_i32_e64 s4, s5, v13
	s_or_b32 s26, s4, s26
	s_wait_dscnt 0x0
	v_sub_f32_e32 v14, v14, v11
	v_mul_f32_e32 v14, 0x3fb8aa3b, v14
	s_delay_alu instid0(VALU_DEP_1)
	v_exp_f32_e32 v14, v14
	ds_store_b32 v12, v14
	v_nop
	v_add_f32_e32 v10, v10, v14
	v_add_nc_u32_e32 v12, 0x200, v12
	s_and_not1_b32 exec_lo, exec_lo, s26
	s_cbranch_execnz .LBB55_26
; %bb.27:
	s_or_b32 exec_lo, exec_lo, s26
.LBB55_28:
	s_delay_alu instid0(SALU_CYCLE_1)
	s_or_b32 exec_lo, exec_lo, s15
	ds_bpermute_b32 v2, v2, v10
	s_wait_dscnt 0x0
	v_add_f32_e32 v2, v10, v2
	ds_bpermute_b32 v3, v3, v2
	s_wait_dscnt 0x0
	v_add_f32_e32 v2, v2, v3
	;; [unrolled: 3-line block ×5, first 2 shown]
	s_and_saveexec_b32 s4, vcc_lo
; %bb.29:
	ds_store_b32 v4, v2 offset:144
; %bb.30:
	s_or_b32 exec_lo, exec_lo, s4
	s_wait_dscnt 0x0
	s_barrier_signal -1
	s_barrier_wait -1
	s_and_saveexec_b32 s4, s0
; %bb.31:
	ds_load_b32 v2, v5 offset:144
; %bb.32:
	s_or_b32 exec_lo, exec_lo, s4
	s_wait_dscnt 0x0
	ds_bpermute_b32 v3, v9, v2
	s_wait_dscnt 0x0
	v_add_f32_e32 v2, v2, v3
	ds_bpermute_b32 v3, v7, v2
	s_wait_dscnt 0x0
	v_dual_add_f32 v2, v2, v3 :: v_dual_mov_b32 v3, 0
	ds_bpermute_b32 v2, v3, v2
	s_and_saveexec_b32 s0, s1
	s_cbranch_execz .LBB55_45
; %bb.33:
	s_wait_dscnt 0x0
	v_add_f32_e32 v2, 0x358637bd, v2
	s_mov_b32 s4, -1
	s_mov_b32 s1, exec_lo
	s_delay_alu instid0(VALU_DEP_1) | instskip(NEXT) | instid1(VALU_DEP_1)
	v_div_scale_f32 v3, null, v2, v2, 1.0
	v_rcp_f32_e32 v5, v3
	v_nop
	s_delay_alu instid0(TRANS32_DEP_1) | instskip(NEXT) | instid1(VALU_DEP_1)
	v_fma_f32 v4, -v3, v5, 1.0
	v_fmac_f32_e32 v5, v4, v5
	v_div_scale_f32 v7, vcc_lo, 1.0, v2, 1.0
	s_delay_alu instid0(VALU_DEP_1) | instskip(NEXT) | instid1(VALU_DEP_1)
	v_mul_f32_e32 v8, v7, v5
	v_fma_f32 v4, -v3, v8, v7
	s_delay_alu instid0(VALU_DEP_1) | instskip(SKIP_1) | instid1(VALU_DEP_2)
	v_fmac_f32_e32 v8, v4, v5
	v_xad_u32 v4, v0, -1, s5
	v_fma_f32 v3, -v3, v8, v7
	s_delay_alu instid0(VALU_DEP_1) | instskip(NEXT) | instid1(VALU_DEP_1)
	v_div_fmas_f32 v3, v3, v5, v8
	v_div_fixup_f32 v2, v3, v2, 1.0
	v_mov_b32_e32 v3, v0
	v_cmpx_lt_u32_e32 0x7f, v4
	s_cbranch_execz .LBB55_42
; %bb.34:
	s_delay_alu instid0(VALU_DEP_3) | instskip(NEXT) | instid1(VALU_DEP_1)
	v_dual_mov_b32 v3, v2 :: v_dual_lshrrev_b32 v4, 7, v4
	v_dual_mov_b32 v9, 0 :: v_dual_add_nc_u32 v5, -1, v4
	s_delay_alu instid0(VALU_DEP_1) | instskip(SKIP_1) | instid1(VALU_DEP_2)
	v_lshrrev_b32_e32 v7, 1, v5
	v_cmp_lt_u32_e32 vcc_lo, 13, v5
	v_add_nc_u32_e32 v5, 1, v7
	s_and_saveexec_b32 s4, vcc_lo
	s_cbranch_execz .LBB55_38
; %bb.35:
	s_delay_alu instid0(VALU_DEP_1)
	v_and_b32_e32 v7, -8, v5
	v_lshl_add_u32 v8, v0, 2, 0xa0
	s_mov_b32 s15, 0
	s_mov_b32 s26, 0
.LBB55_36:                              ; =>This Inner Loop Header: Depth=1
	ds_load_2addr_stride64_b32 v[10:11], v8 offset1:2
	ds_load_2addr_stride64_b32 v[12:13], v8 offset0:4 offset1:6
	ds_load_2addr_stride64_b32 v[14:15], v8 offset0:8 offset1:10
	;; [unrolled: 1-line block ×7, first 2 shown]
	s_add_co_i32 s26, s26, 16
	s_delay_alu instid0(SALU_CYCLE_1) | instskip(NEXT) | instid1(VALU_DEP_1)
	v_dual_add_nc_u32 v7, -8, v7 :: v_dual_mov_b32 v9, s26
	v_cmp_eq_u32_e32 vcc_lo, 0, v7
	s_or_b32 s15, vcc_lo, s15
	s_wait_dscnt 0x7
	v_pk_mul_f32 v[10:11], v[2:3], v[10:11]
	s_wait_dscnt 0x6
	v_pk_mul_f32 v[12:13], v[2:3], v[12:13]
	;; [unrolled: 2-line block ×8, first 2 shown]
	ds_store_2addr_stride64_b32 v8, v10, v11 offset1:2
	ds_store_2addr_stride64_b32 v8, v12, v13 offset0:4 offset1:6
	ds_store_2addr_stride64_b32 v8, v14, v15 offset0:8 offset1:10
	;; [unrolled: 1-line block ×7, first 2 shown]
	v_add_nc_u32_e32 v8, 0x2000, v8
	s_and_not1_b32 exec_lo, exec_lo, s15
	s_cbranch_execnz .LBB55_36
; %bb.37:
	s_or_b32 exec_lo, exec_lo, s15
.LBB55_38:
	s_delay_alu instid0(SALU_CYCLE_1) | instskip(NEXT) | instid1(VALU_DEP_1)
	s_or_b32 exec_lo, exec_lo, s4
	v_and_b32_e32 v5, 7, v5
	s_mov_b32 s15, 0
	s_mov_b32 s4, exec_lo
	s_delay_alu instid0(VALU_DEP_1)
	v_cmpx_ne_u32_e32 0, v5
	s_cbranch_execz .LBB55_41
; %bb.39:
	v_dual_lshlrev_b32 v7, 9, v9 :: v_dual_lshlrev_b32 v8, 2, v0
	s_delay_alu instid0(VALU_DEP_1)
	v_add3_u32 v7, v7, v8, 0xa0
.LBB55_40:                              ; =>This Inner Loop Header: Depth=1
	ds_load_2addr_stride64_b32 v[8:9], v7 offset1:2
	v_add_nc_u32_e32 v5, -1, v5
	s_delay_alu instid0(VALU_DEP_1)
	v_cmp_eq_u32_e32 vcc_lo, 0, v5
	s_or_b32 s15, vcc_lo, s15
	s_wait_dscnt 0x0
	v_pk_mul_f32 v[8:9], v[2:3], v[8:9]
	ds_store_2addr_stride64_b32 v7, v8, v9 offset1:2
	v_add_nc_u32_e32 v7, 0x400, v7
	s_and_not1_b32 exec_lo, exec_lo, s15
	s_cbranch_execnz .LBB55_40
.LBB55_41:
	s_or_b32 exec_lo, exec_lo, s4
	v_add_nc_u32_e32 v3, 1, v4
	s_delay_alu instid0(VALU_DEP_1) | instskip(NEXT) | instid1(VALU_DEP_1)
	v_and_b32_e32 v4, 0x3fffffe, v3
	v_cmp_ne_u32_e32 vcc_lo, v3, v4
	v_lshl_add_u32 v3, v4, 7, v0
	s_or_not1_b32 s4, vcc_lo, exec_lo
.LBB55_42:
	s_or_b32 exec_lo, exec_lo, s1
	s_delay_alu instid0(SALU_CYCLE_1)
	s_and_b32 exec_lo, exec_lo, s4
	s_cbranch_execz .LBB55_45
; %bb.43:
	v_lshl_add_u32 v4, v3, 2, 0xa0
	s_mov_b32 s1, 0
.LBB55_44:                              ; =>This Inner Loop Header: Depth=1
	ds_load_b32 v5, v4
	v_add_nc_u32_e32 v3, 0x80, v3
	s_delay_alu instid0(VALU_DEP_1)
	v_cmp_le_i32_e32 vcc_lo, s5, v3
	s_or_b32 s1, vcc_lo, s1
	s_wait_dscnt 0x0
	v_mul_f32_e32 v5, v2, v5
	ds_store_b32 v4, v5
	v_add_nc_u32_e32 v4, 0x200, v4
	s_and_not1_b32 exec_lo, exec_lo, s1
	s_cbranch_execnz .LBB55_44
.LBB55_45:
	s_or_b32 exec_lo, exec_lo, s0
	v_mov_b64_e32 v[8:9], 0
	s_wait_dscnt 0x0
	s_barrier_signal -1
	s_barrier_wait -1
	s_and_saveexec_b32 s1, s3
	s_cbranch_execz .LBB55_55
; %bb.46:
	s_abs_i32 s3, s10
	v_dual_mov_b32 v7, 0 :: v_dual_lshlrev_b32 v2, 4, v18
	s_cvt_f32_u32 s0, s3
	s_ashr_i32 s15, s14, 31
	v_and_b32_e32 v4, 0x7c, v1
	s_lshl_b64 s[22:23], s[22:23], 2
	v_rcp_iflag_f32_e32 v3, s0
	s_lshl_b64 s[14:15], s[14:15], 1
	s_add_nc_u64 s[20:21], s[20:21], s[22:23]
	s_wait_kmcnt 0x0
	s_add_nc_u64 s[14:15], s[24:25], s[14:15]
	s_sub_co_i32 s10, s8, s9
	s_sub_co_i32 s8, 0, s3
	v_mov_b32_e32 v5, v7
	v_readfirstlane_b32 s0, v3
	v_mov_b32_e32 v3, v7
	v_mov_b64_e32 v[8:9], 0
	v_lshl_add_u32 v19, v17, 5, 0xa0
	v_add_nc_u64_e32 v[12:13], s[20:21], v[4:5]
	s_mul_f32 s0, s0, 0x4f7ffffe
	v_add_nc_u64_e32 v[10:11], s[14:15], v[2:3]
	v_mov_b32_e32 v20, v17
	s_mov_b32 s9, 0
	s_cvt_u32_f32 s0, s0
	s_ashr_i32 s5, s13, 31
	s_mov_b32 s4, s13
	s_add_co_i32 s13, s34, -1
	s_mul_i32 s8, s8, s0
	s_mov_b32 s14, s31
	s_mul_hi_u32 s8, s0, s8
	s_mov_b32 s15, s9
	s_add_co_i32 s8, s0, s8
	s_branch .LBB55_49
.LBB55_47:                              ;   in Loop: Header=BB55_49 Depth=1
	s_or_b32 exec_lo, exec_lo, s0
	v_dual_lshlrev_b32 v14, 16, v14 :: v_dual_lshlrev_b32 v1, 16, v1
	s_delay_alu instid0(VALU_DEP_2) | instskip(NEXT) | instid1(VALU_DEP_2)
	v_lshlrev_b32_e32 v15, 16, v15
	v_and_or_b32 v2, 0xffff, v2, v14
	s_delay_alu instid0(VALU_DEP_3) | instskip(NEXT) | instid1(VALU_DEP_3)
	v_and_or_b32 v1, 0xffff, v3, v1
	v_and_or_b32 v3, 0xffff, v4, v15
	;;#ASMSTART
	v_pk_mul_f16 v2, v29, v2;

	;;#ASMEND
	;;#ASMSTART
	v_pk_mul_f16 v1, v16, v1;

	;;#ASMEND
	;; [unrolled: 4-line block ×4, first 2 shown]
	;;#ASMSTART
	v_pk_add_f16 v1, v2, v1;

	;;#ASMEND
	;;#ASMSTART
	v_pk_add_f16 v1, v1, v3;

	;;#ASMEND
	;; [unrolled: 4-line block ×3, first 2 shown]
	v_and_b32_e32 v2, 0xffff, v1
	v_lshrrev_b32_e32 v3, 16, v1
	;;#ASMSTART
	v_cvt_f32_f16 v2, v2;
	;;#ASMEND
	;;#ASMSTART
	v_cvt_f32_f16 v3, v3;
	;;#ASMEND
	s_delay_alu instid0(VALU_DEP_1) | instskip(NEXT) | instid1(VALU_DEP_1)
	v_dual_add_f32 v1, v31, v32 :: v_dual_add_f32 v2, v2, v3
	v_dual_add_f32 v8, v8, v1 :: v_dual_add_f32 v9, v9, v2
.LBB55_48:                              ;   in Loop: Header=BB55_49 Depth=1
	s_or_b32 exec_lo, exec_lo, s20
	v_dual_add_nc_u32 v20, 4, v20 :: v_dual_add_nc_u32 v6, 32, v6
	v_add_nc_u64_e32 v[12:13], 16, v[12:13]
	v_add_nc_u32_e32 v19, 0x80, v19
	s_delay_alu instid0(VALU_DEP_3) | instskip(SKIP_1) | instid1(SALU_CYCLE_1)
	v_cmp_le_i32_e32 vcc_lo, s34, v20
	s_or_b32 s15, vcc_lo, s15
	s_and_not1_b32 exec_lo, exec_lo, s15
	s_cbranch_execz .LBB55_54
.LBB55_49:                              ; =>This Inner Loop Header: Depth=1
	v_mul_u64_e32 v[2:3], s[18:19], v[6:7]
	s_delay_alu instid0(VALU_DEP_1) | instskip(NEXT) | instid1(VALU_DEP_1)
	v_mul_lo_u32 v1, v3, s12
	v_dual_add_nc_u32 v2, 1, v3 :: v_dual_sub_nc_u32 v1, v6, v1
	s_delay_alu instid0(VALU_DEP_1) | instskip(SKIP_1) | instid1(VALU_DEP_2)
	v_subrev_nc_u32_e32 v4, s12, v1
	v_cmp_le_u32_e32 vcc_lo, s12, v1
	v_dual_cndmask_b32 v2, v3, v2 :: v_dual_cndmask_b32 v1, v1, v4
	s_delay_alu instid0(VALU_DEP_1) | instskip(NEXT) | instid1(VALU_DEP_2)
	v_add_nc_u32_e32 v3, 1, v2
	v_cmp_le_u32_e32 vcc_lo, s12, v1
	s_delay_alu instid0(VALU_DEP_2) | instskip(NEXT) | instid1(VALU_DEP_1)
	v_dual_cndmask_b32 v1, v2, v3, vcc_lo :: v_dual_mov_b32 v3, v7
	v_xor_b32_e32 v1, s33, v1
	s_delay_alu instid0(VALU_DEP_1) | instskip(NEXT) | instid1(VALU_DEP_1)
	v_subrev_nc_u32_e32 v1, s33, v1
	v_add_nc_u32_e32 v14, s17, v1
	v_cmp_lt_i32_e64 s0, s10, v1
	s_delay_alu instid0(VALU_DEP_2) | instskip(NEXT) | instid1(VALU_DEP_1)
	v_sub_nc_u32_e32 v2, 0, v14
	v_max_i32_e32 v2, v14, v2
	s_delay_alu instid0(VALU_DEP_1) | instskip(SKIP_1) | instid1(VALU_DEP_2)
	v_mul_u64_e32 v[4:5], s[8:9], v[2:3]
	v_ashrrev_i32_e32 v4, 31, v14
	v_mul_lo_u32 v3, v5, s3
	s_delay_alu instid0(VALU_DEP_1) | instskip(NEXT) | instid1(VALU_DEP_1)
	v_sub_nc_u32_e32 v2, v2, v3
	v_subrev_nc_u32_e32 v3, s3, v2
	v_cmp_le_u32_e32 vcc_lo, s3, v2
	s_delay_alu instid0(VALU_DEP_2) | instskip(NEXT) | instid1(VALU_DEP_1)
	v_cndmask_b32_e32 v2, v2, v3, vcc_lo
	v_subrev_nc_u32_e32 v3, s3, v2
	v_cmp_le_u32_e32 vcc_lo, s3, v2
	s_delay_alu instid0(VALU_DEP_2) | instskip(NEXT) | instid1(VALU_DEP_1)
	v_cndmask_b32_e32 v2, v2, v3, vcc_lo
	v_xor_b32_e32 v2, v2, v4
	s_delay_alu instid0(VALU_DEP_1) | instskip(NEXT) | instid1(VALU_DEP_1)
	v_sub_nc_u32_e32 v2, v2, v4
	v_cmp_eq_u32_e32 vcc_lo, 0, v2
	s_or_b32 s0, vcc_lo, s0
	s_delay_alu instid0(SALU_CYCLE_1)
	s_and_saveexec_b32 s20, s0
	s_cbranch_execz .LBB55_48
; %bb.50:                               ;   in Loop: Header=BB55_49 Depth=1
	global_load_b32 v2, v[12:13], off
	v_cmp_eq_u32_e32 vcc_lo, s13, v20
	v_dual_add_nc_u32 v26, 2, v6 :: v_dual_add_nc_u32 v21, 5, v6
	v_or_b32_e32 v27, 3, v6
	s_wait_loadcnt 0x0
	v_ashrrev_i32_e32 v3, 31, v2
	s_delay_alu instid0(VALU_DEP_1)
	v_mul_u64_e32 v[14:15], s[4:5], v[2:3]
	ds_load_2addr_b64 v[2:5], v19 offset1:1
	ds_load_2addr_b64 v[22:25], v19 offset0:2 offset1:3
	s_wait_dscnt 0x1
	;;#ASMSTART
	v_cvt_f16_f32 v34, v2;

	;;#ASMEND
	;;#ASMSTART
	v_cvt_f16_f32 v29, v3;

	;;#ASMEND
	;; [unrolled: 4-line block ×4, first 2 shown]
	s_wait_dscnt 0x0
	;;#ASMSTART
	v_cvt_f16_f32 v36, v22;

	;;#ASMEND
	;;#ASMSTART
	v_cvt_f16_f32 v31, v23;

	;;#ASMEND
	;; [unrolled: 4-line block ×4, first 2 shown]
	v_dual_add_nc_u32 v22, 4, v6 :: v_dual_add_nc_u32 v24, 6, v6
	v_dual_add_nc_u32 v23, 7, v6 :: v_dual_bitop2_b32 v25, 1, v6 bitop3:0x54
	v_lshl_add_u64 v[14:15], v[14:15], 1, v[10:11]
	global_load_b128 v[2:5], v[14:15], off
	s_wait_loadcnt 0x0
	v_dual_lshrrev_b32 v1, 16, v3 :: v_dual_lshrrev_b32 v28, 16, v4
	v_lshrrev_b32_e32 v16, 16, v2
	s_and_saveexec_b32 s21, vcc_lo
	s_cbranch_execz .LBB55_52
; %bb.51:                               ;   in Loop: Header=BB55_49 Depth=1
	v_cmp_gt_i32_e64 s0, s31, v6
	v_and_b32_e32 v37, 0xffff, v5
	v_and_b32_e32 v5, 0xffff0000, v5
	s_delay_alu instid0(VALU_DEP_3) | instskip(SKIP_1) | instid1(VALU_DEP_1)
	v_cndmask_b32_e64 v2, 0, v2, s0
	v_cmp_gt_i32_e64 s0, s31, v26
	v_cndmask_b32_e64 v3, 0, v3, s0
	v_cmp_gt_i32_e64 s0, s14, v27
	s_delay_alu instid0(VALU_DEP_1) | instskip(SKIP_1) | instid1(VALU_DEP_1)
	v_cndmask_b32_e64 v1, 0, v1, s0
	v_cmp_gt_i32_e64 s0, s31, v25
	v_cndmask_b32_e64 v16, 0, v16, s0
	v_cmp_gt_i32_e64 s0, s31, v24
	s_delay_alu instid0(VALU_DEP_1) | instskip(SKIP_1) | instid1(VALU_DEP_1)
	;; [unrolled: 5-line block ×3, first 2 shown]
	v_cndmask_b32_e64 v4, 0, v4, s0
	v_cmp_gt_i32_e64 s0, s31, v21
	v_dual_cndmask_b32 v28, 0, v28, s0 :: v_dual_bitop2_b32 v5, v37, v5 bitop3:0x54
.LBB55_52:                              ;   in Loop: Header=BB55_49 Depth=1
	s_or_b32 exec_lo, exec_lo, s21
	v_and_b32_e32 v35, 0xffff, v35
	v_dual_lshlrev_b32 v37, 16, v16 :: v_dual_lshlrev_b32 v1, 16, v1
	v_and_b32_e32 v34, 0xffff, v34
	v_and_b32_e32 v36, 0xffff, v36
	s_delay_alu instid0(VALU_DEP_4)
	v_lshl_or_b32 v16, v32, 16, v35
	v_lshlrev_b32_e32 v32, 16, v28
	v_and_b32_e32 v33, 0xffff, v33
	v_and_or_b32 v2, 0xffff, v2, v37
	v_and_or_b32 v1, 0xffff, v3, v1
	v_lshl_or_b32 v29, v29, 16, v34
	v_and_or_b32 v3, 0xffff, v4, v32
	;;#ASMSTART
	v_pk_mul_f16 v2, v29, v2;

	;;#ASMEND
	;;#ASMSTART
	v_pk_mul_f16 v1, v16, v1;

	;;#ASMEND
	v_lshl_or_b32 v28, v31, 16, v36
	v_lshl_or_b32 v30, v30, 16, v33
	;;#ASMSTART
	v_pk_mul_f16 v3, v28, v3;

	;;#ASMEND
	;;#ASMSTART
	v_pk_mul_f16 v4, v30, v5;

	;;#ASMEND
	;;#ASMSTART
	v_pk_add_f16 v1, v2, v1;

	;;#ASMEND
	;;#ASMSTART
	v_pk_add_f16 v1, v1, v3;
	;; [unrolled: 4-line block ×3, first 2 shown]

	;;#ASMEND
	v_and_b32_e32 v2, 0xffff, v1
	v_lshrrev_b32_e32 v1, 16, v1
	;;#ASMSTART
	v_cvt_f32_f16 v31, v2;
	;;#ASMEND
	;;#ASMSTART
	v_cvt_f32_f16 v32, v1;
	;;#ASMEND
	global_load_b128 v[2:5], v[14:15], off offset:512
	s_wait_loadcnt 0x0
	v_dual_lshrrev_b32 v1, 16, v3 :: v_dual_lshrrev_b32 v14, 16, v2
	v_lshrrev_b32_e32 v15, 16, v4
	s_and_saveexec_b32 s0, vcc_lo
	s_cbranch_execz .LBB55_47
; %bb.53:                               ;   in Loop: Header=BB55_49 Depth=1
	v_cmp_gt_i32_e32 vcc_lo, s31, v6
	v_cndmask_b32_e32 v2, 0, v2, vcc_lo
	v_cmp_gt_i32_e32 vcc_lo, s31, v26
	v_and_b32_e32 v26, 0xffff, v5
	v_and_b32_e32 v5, 0xffff0000, v5
	v_cndmask_b32_e32 v3, 0, v3, vcc_lo
	v_cmp_gt_i32_e32 vcc_lo, s14, v27
	v_cndmask_b32_e32 v1, 0, v1, vcc_lo
	v_cmp_gt_i32_e32 vcc_lo, s31, v25
	v_cndmask_b32_e32 v14, 0, v14, vcc_lo
	v_cmp_gt_i32_e32 vcc_lo, s31, v24
	v_cndmask_b32_e32 v24, 0, v26, vcc_lo
	v_cmp_gt_i32_e32 vcc_lo, s31, v23
	v_cndmask_b32_e32 v5, 0, v5, vcc_lo
	v_cmp_gt_i32_e32 vcc_lo, s31, v22
	s_delay_alu instid0(VALU_DEP_2)
	v_dual_cndmask_b32 v4, 0, v4, vcc_lo :: v_dual_bitop2_b32 v5, v24, v5 bitop3:0x54
	v_cmp_gt_i32_e32 vcc_lo, s31, v21
	v_cndmask_b32_e32 v15, 0, v15, vcc_lo
	s_branch .LBB55_47
.LBB55_54:
	s_or_b32 exec_lo, exec_lo, s15
.LBB55_55:
	s_delay_alu instid0(SALU_CYCLE_1) | instskip(SKIP_4) | instid1(VALU_DEP_2)
	s_or_b32 exec_lo, exec_lo, s1
	v_lshl_add_u32 v2, v18, 2, 0xa0
	v_and_b32_e32 v3, 0x3c0, v0
	s_mov_b32 s0, exec_lo
	s_barrier_signal -1
	v_lshl_add_u32 v1, v17, 8, v2
	s_barrier_wait -1
	v_cmpx_eq_u32_e32 64, v3
	s_cbranch_execz .LBB55_57
; %bb.56:
	s_delay_alu instid0(VALU_DEP_2)
	v_add_nc_u32_e32 v3, 0xfffffe00, v1
	v_add_nc_u32_e32 v4, 0xfffffe80, v1
	ds_store_b32 v3, v8
	ds_store_b32 v4, v9
.LBB55_57:
	s_or_b32 exec_lo, exec_lo, s0
	s_delay_alu instid0(SALU_CYCLE_1)
	s_mov_b32 s0, exec_lo
	s_wait_dscnt 0x0
	s_barrier_signal -1
	s_barrier_wait -1
	v_cmpx_gt_u32_e32 64, v0
	s_cbranch_execz .LBB55_59
; %bb.58:
	ds_load_2addr_b32 v[4:5], v1 offset1:32
	s_wait_dscnt 0x0
	v_pk_add_f32 v[8:9], v[8:9], v[4:5]
.LBB55_59:
	s_or_b32 exec_lo, exec_lo, s0
	v_and_b32_e32 v3, 0x3e0, v0
	s_mov_b32 s0, exec_lo
	s_barrier_signal -1
	s_barrier_wait -1
	s_delay_alu instid0(VALU_DEP_1)
	v_cmpx_eq_u32_e32 32, v3
; %bb.60:
	ds_store_2addr_b32 v2, v8, v9 offset1:32
; %bb.61:
	s_or_b32 exec_lo, exec_lo, s0
	s_wait_dscnt 0x0
	s_barrier_signal -1
	s_barrier_wait -1
	s_and_saveexec_b32 s0, s2
	s_cbranch_execz .LBB55_63
; %bb.62:
	ds_load_2addr_b32 v[2:3], v1 offset1:32
	s_wait_dscnt 0x0
	v_pk_add_f32 v[8:9], v[8:9], v[2:3]
.LBB55_63:
	s_or_b32 exec_lo, exec_lo, s0
	s_barrier_signal -1
	s_barrier_wait -1
	s_and_saveexec_b32 s0, s2
	s_cbranch_execz .LBB55_65
; %bb.64:
	s_mul_i32 s1, s30, s11
	s_bfe_u32 s5, ttmp6, 0x40014
	s_mul_i32 s1, s1, s29
	s_mul_i32 s0, s11, s16
	s_lshl_b32 s2, s1, 6
	s_lshr_b32 s4, ttmp7, 16
	s_ashr_i32 s3, s2, 31
	s_add_co_i32 s5, s5, 1
	s_lshl_b64 s[2:3], s[2:3], 1
	s_ashr_i32 s1, s0, 31
	s_wait_kmcnt 0x0
	s_add_nc_u64 s[2:3], s[6:7], s[2:3]
	s_mul_i32 s5, s4, s5
	s_bfe_u32 s6, ttmp6, 0x40008
	s_lshl_b64 s[0:1], s[0:1], 1
	s_add_co_i32 s6, s6, s5
	s_cmp_eq_u32 s28, 0
	s_add_nc_u64 s[0:1], s[2:3], s[0:1]
	s_cselect_b32 s2, s4, s6
	s_mov_b32 s3, 0
	s_lshl_b32 s2, s2, 7
	;;#ASMSTART
	v_cvt_f16_f32 v1, v8;

	;;#ASMEND
	s_add_nc_u64 s[0:1], s[0:1], s[2:3]
	global_store_b16 v0, v1, s[0:1] scale_offset
	s_wait_xcnt 0x0
	;;#ASMSTART
	v_cvt_f16_f32 v1, v9;

	;;#ASMEND
	global_store_b16 v0, v1, s[0:1] offset:64 scale_offset
.LBB55_65:
	s_endpgm
	.section	.rodata,"a",@progbits
	.p2align	6, 0x0
	.amdhsa_kernel _ZN4vllm25paged_attention_v1_kernelIttLi64ELi8ELi128ELNS_18Fp8KVCacheDataTypeE0ELb1EEEvPT_PKS2_PKT0_S8_ifPKiSA_iPKfiiiSC_SC_iiiii
		.amdhsa_group_segment_fixed_size 160
		.amdhsa_private_segment_fixed_size 0
		.amdhsa_kernarg_size 384
		.amdhsa_user_sgpr_count 2
		.amdhsa_user_sgpr_dispatch_ptr 0
		.amdhsa_user_sgpr_queue_ptr 0
		.amdhsa_user_sgpr_kernarg_segment_ptr 1
		.amdhsa_user_sgpr_dispatch_id 0
		.amdhsa_user_sgpr_kernarg_preload_length 0
		.amdhsa_user_sgpr_kernarg_preload_offset 0
		.amdhsa_user_sgpr_private_segment_size 0
		.amdhsa_wavefront_size32 1
		.amdhsa_uses_dynamic_stack 0
		.amdhsa_enable_private_segment 0
		.amdhsa_system_sgpr_workgroup_id_x 1
		.amdhsa_system_sgpr_workgroup_id_y 1
		.amdhsa_system_sgpr_workgroup_id_z 1
		.amdhsa_system_sgpr_workgroup_info 0
		.amdhsa_system_vgpr_workitem_id 0
		.amdhsa_next_free_vgpr 48
		.amdhsa_next_free_sgpr 42
		.amdhsa_named_barrier_count 0
		.amdhsa_reserve_vcc 1
		.amdhsa_float_round_mode_32 0
		.amdhsa_float_round_mode_16_64 0
		.amdhsa_float_denorm_mode_32 3
		.amdhsa_float_denorm_mode_16_64 3
		.amdhsa_fp16_overflow 0
		.amdhsa_memory_ordered 1
		.amdhsa_forward_progress 1
		.amdhsa_inst_pref_size 41
		.amdhsa_round_robin_scheduling 0
		.amdhsa_exception_fp_ieee_invalid_op 0
		.amdhsa_exception_fp_denorm_src 0
		.amdhsa_exception_fp_ieee_div_zero 0
		.amdhsa_exception_fp_ieee_overflow 0
		.amdhsa_exception_fp_ieee_underflow 0
		.amdhsa_exception_fp_ieee_inexact 0
		.amdhsa_exception_int_div_zero 0
	.end_amdhsa_kernel
	.section	.text._ZN4vllm25paged_attention_v1_kernelIttLi64ELi8ELi128ELNS_18Fp8KVCacheDataTypeE0ELb1EEEvPT_PKS2_PKT0_S8_ifPKiSA_iPKfiiiSC_SC_iiiii,"axG",@progbits,_ZN4vllm25paged_attention_v1_kernelIttLi64ELi8ELi128ELNS_18Fp8KVCacheDataTypeE0ELb1EEEvPT_PKS2_PKT0_S8_ifPKiSA_iPKfiiiSC_SC_iiiii,comdat
.Lfunc_end55:
	.size	_ZN4vllm25paged_attention_v1_kernelIttLi64ELi8ELi128ELNS_18Fp8KVCacheDataTypeE0ELb1EEEvPT_PKS2_PKT0_S8_ifPKiSA_iPKfiiiSC_SC_iiiii, .Lfunc_end55-_ZN4vllm25paged_attention_v1_kernelIttLi64ELi8ELi128ELNS_18Fp8KVCacheDataTypeE0ELb1EEEvPT_PKS2_PKT0_S8_ifPKiSA_iPKfiiiSC_SC_iiiii
                                        ; -- End function
	.set _ZN4vllm25paged_attention_v1_kernelIttLi64ELi8ELi128ELNS_18Fp8KVCacheDataTypeE0ELb1EEEvPT_PKS2_PKT0_S8_ifPKiSA_iPKfiiiSC_SC_iiiii.num_vgpr, 48
	.set _ZN4vllm25paged_attention_v1_kernelIttLi64ELi8ELi128ELNS_18Fp8KVCacheDataTypeE0ELb1EEEvPT_PKS2_PKT0_S8_ifPKiSA_iPKfiiiSC_SC_iiiii.num_agpr, 0
	.set _ZN4vllm25paged_attention_v1_kernelIttLi64ELi8ELi128ELNS_18Fp8KVCacheDataTypeE0ELb1EEEvPT_PKS2_PKT0_S8_ifPKiSA_iPKfiiiSC_SC_iiiii.numbered_sgpr, 42
	.set _ZN4vllm25paged_attention_v1_kernelIttLi64ELi8ELi128ELNS_18Fp8KVCacheDataTypeE0ELb1EEEvPT_PKS2_PKT0_S8_ifPKiSA_iPKfiiiSC_SC_iiiii.num_named_barrier, 0
	.set _ZN4vllm25paged_attention_v1_kernelIttLi64ELi8ELi128ELNS_18Fp8KVCacheDataTypeE0ELb1EEEvPT_PKS2_PKT0_S8_ifPKiSA_iPKfiiiSC_SC_iiiii.private_seg_size, 0
	.set _ZN4vllm25paged_attention_v1_kernelIttLi64ELi8ELi128ELNS_18Fp8KVCacheDataTypeE0ELb1EEEvPT_PKS2_PKT0_S8_ifPKiSA_iPKfiiiSC_SC_iiiii.uses_vcc, 1
	.set _ZN4vllm25paged_attention_v1_kernelIttLi64ELi8ELi128ELNS_18Fp8KVCacheDataTypeE0ELb1EEEvPT_PKS2_PKT0_S8_ifPKiSA_iPKfiiiSC_SC_iiiii.uses_flat_scratch, 0
	.set _ZN4vllm25paged_attention_v1_kernelIttLi64ELi8ELi128ELNS_18Fp8KVCacheDataTypeE0ELb1EEEvPT_PKS2_PKT0_S8_ifPKiSA_iPKfiiiSC_SC_iiiii.has_dyn_sized_stack, 0
	.set _ZN4vllm25paged_attention_v1_kernelIttLi64ELi8ELi128ELNS_18Fp8KVCacheDataTypeE0ELb1EEEvPT_PKS2_PKT0_S8_ifPKiSA_iPKfiiiSC_SC_iiiii.has_recursion, 0
	.set _ZN4vllm25paged_attention_v1_kernelIttLi64ELi8ELi128ELNS_18Fp8KVCacheDataTypeE0ELb1EEEvPT_PKS2_PKT0_S8_ifPKiSA_iPKfiiiSC_SC_iiiii.has_indirect_call, 0
	.section	.AMDGPU.csdata,"",@progbits
; Kernel info:
; codeLenInByte = 5164
; TotalNumSgprs: 44
; NumVgprs: 48
; ScratchSize: 0
; MemoryBound: 0
; FloatMode: 240
; IeeeMode: 1
; LDSByteSize: 160 bytes/workgroup (compile time only)
; SGPRBlocks: 0
; VGPRBlocks: 2
; NumSGPRsForWavesPerEU: 44
; NumVGPRsForWavesPerEU: 48
; NamedBarCnt: 0
; Occupancy: 16
; WaveLimiterHint : 1
; COMPUTE_PGM_RSRC2:SCRATCH_EN: 0
; COMPUTE_PGM_RSRC2:USER_SGPR: 2
; COMPUTE_PGM_RSRC2:TRAP_HANDLER: 0
; COMPUTE_PGM_RSRC2:TGID_X_EN: 1
; COMPUTE_PGM_RSRC2:TGID_Y_EN: 1
; COMPUTE_PGM_RSRC2:TGID_Z_EN: 1
; COMPUTE_PGM_RSRC2:TIDIG_COMP_CNT: 0
	.section	.text._ZN4vllm25paged_attention_v1_kernelIttLi80ELi8ELi128ELNS_18Fp8KVCacheDataTypeE0ELb1EEEvPT_PKS2_PKT0_S8_ifPKiSA_iPKfiiiSC_SC_iiiii,"axG",@progbits,_ZN4vllm25paged_attention_v1_kernelIttLi80ELi8ELi128ELNS_18Fp8KVCacheDataTypeE0ELb1EEEvPT_PKS2_PKT0_S8_ifPKiSA_iPKfiiiSC_SC_iiiii,comdat
	.protected	_ZN4vllm25paged_attention_v1_kernelIttLi80ELi8ELi128ELNS_18Fp8KVCacheDataTypeE0ELb1EEEvPT_PKS2_PKT0_S8_ifPKiSA_iPKfiiiSC_SC_iiiii ; -- Begin function _ZN4vllm25paged_attention_v1_kernelIttLi80ELi8ELi128ELNS_18Fp8KVCacheDataTypeE0ELb1EEEvPT_PKS2_PKT0_S8_ifPKiSA_iPKfiiiSC_SC_iiiii
	.globl	_ZN4vllm25paged_attention_v1_kernelIttLi80ELi8ELi128ELNS_18Fp8KVCacheDataTypeE0ELb1EEEvPT_PKS2_PKT0_S8_ifPKiSA_iPKfiiiSC_SC_iiiii
	.p2align	8
	.type	_ZN4vllm25paged_attention_v1_kernelIttLi80ELi8ELi128ELNS_18Fp8KVCacheDataTypeE0ELb1EEEvPT_PKS2_PKT0_S8_ifPKiSA_iPKfiiiSC_SC_iiiii,@function
_ZN4vllm25paged_attention_v1_kernelIttLi80ELi8ELi128ELNS_18Fp8KVCacheDataTypeE0ELb1EEEvPT_PKS2_PKT0_S8_ifPKiSA_iPKfiiiSC_SC_iiiii: ; @_ZN4vllm25paged_attention_v1_kernelIttLi80ELi8ELi128ELNS_18Fp8KVCacheDataTypeE0ELb1EEEvPT_PKS2_PKT0_S8_ifPKiSA_iPKfiiiSC_SC_iiiii
; %bb.0:
	s_load_b64 s[22:23], s[0:1], 0x20
	s_bfe_u32 s3, ttmp6, 0x4000c
	s_bfe_u32 s4, ttmp6, 0x40010
	s_and_b32 s6, ttmp7, 0xffff
	s_add_co_i32 s3, s3, 1
	s_add_co_i32 s4, s4, 1
	s_and_b32 s2, ttmp6, 15
	s_bfe_u32 s5, ttmp6, 0x40004
	s_mul_i32 s3, ttmp9, s3
	s_mul_i32 s4, s6, s4
	s_getreg_b32 s28, hwreg(HW_REG_IB_STS2, 6, 4)
	s_add_co_i32 s2, s2, s3
	s_add_co_i32 s3, s5, s4
	s_cmp_eq_u32 s28, 0
	s_clause 0x1
	s_load_b32 s29, s[0:1], 0x80
	s_load_b64 s[4:5], s[0:1], 0x30
	s_cselect_b32 s30, s6, s3
	s_cselect_b32 s2, ttmp9, s2
	s_mov_b32 s17, 0
	s_delay_alu instid0(SALU_CYCLE_1) | instskip(SKIP_2) | instid1(SALU_CYCLE_1)
	s_mov_b32 s36, s17
	s_wait_kmcnt 0x0
	s_abs_i32 s3, s22
	s_cvt_f32_u32 s6, s3
	s_sub_co_i32 s7, 0, s3
	s_delay_alu instid0(SALU_CYCLE_2) | instskip(SKIP_2) | instid1(TRANS32_DEP_1)
	v_rcp_iflag_f32_e32 v1, s6
	s_abs_i32 s8, s29
	v_nop
	v_readfirstlane_b32 s6, v1
	s_mul_f32 s6, s6, 0x4f7ffffe
	s_delay_alu instid0(SALU_CYCLE_3) | instskip(NEXT) | instid1(SALU_CYCLE_3)
	s_cvt_u32_f32 s6, s6
	s_mul_i32 s7, s7, s6
	s_delay_alu instid0(SALU_CYCLE_1) | instskip(NEXT) | instid1(SALU_CYCLE_1)
	s_mul_hi_u32 s7, s6, s7
	s_add_co_i32 s6, s6, s7
	s_xor_b32 s7, s29, s22
	s_mul_hi_u32 s6, s8, s6
	s_ashr_i32 s7, s7, 31
	s_mul_i32 s9, s6, s3
	s_delay_alu instid0(SALU_CYCLE_1)
	s_sub_co_i32 s8, s8, s9
	s_add_co_i32 s9, s6, 1
	s_sub_co_i32 s10, s8, s3
	s_cmp_ge_u32 s8, s3
	s_cselect_b32 s6, s9, s6
	s_cselect_b32 s8, s10, s8
	s_add_co_i32 s9, s6, 1
	s_cmp_ge_u32 s8, s3
	s_cselect_b32 s3, s9, s6
	s_load_b64 s[8:9], s[0:1], 0x40
	s_xor_b32 s3, s3, s7
	s_abs_i32 s16, s2
	s_sub_co_i32 s10, s3, s7
	s_mov_b32 s7, s17
	s_abs_i32 s15, s10
	s_delay_alu instid0(SALU_CYCLE_1) | instskip(SKIP_1) | instid1(SALU_CYCLE_2)
	s_cvt_f32_u32 s3, s15
	s_sub_co_i32 s6, 0, s15
	v_rcp_iflag_f32_e32 v1, s3
	v_nop
	s_delay_alu instid0(TRANS32_DEP_1) | instskip(SKIP_1) | instid1(SALU_CYCLE_3)
	v_readfirstlane_b32 s3, v1
	s_mul_f32 s3, s3, 0x4f7ffffe
	s_cvt_u32_f32 s3, s3
	s_delay_alu instid0(SALU_CYCLE_3) | instskip(NEXT) | instid1(SALU_CYCLE_1)
	s_mul_i32 s6, s6, s3
	s_mul_hi_u32 s6, s3, s6
	s_delay_alu instid0(SALU_CYCLE_1)
	s_add_co_i32 s6, s3, s6
	s_wait_kmcnt 0x0
	s_cmp_eq_u64 s[8:9], 0
	s_cbranch_scc1 .LBB56_2
; %bb.1:
	s_ashr_i32 s3, s2, 31
	s_delay_alu instid0(SALU_CYCLE_1) | instskip(NEXT) | instid1(SALU_CYCLE_1)
	s_lshl_b64 s[12:13], s[2:3], 2
	s_add_nc_u64 s[8:9], s[8:9], s[12:13]
	s_load_b32 s36, s[8:9], 0x0
.LBB56_2:
	s_load_b32 s31, s[4:5], s30 offset:0x0 scale_offset
	s_load_b96 s[12:14], s[0:1], 0x48
	v_and_b32_e32 v4, 3, v0
	s_wait_xcnt 0x0
	s_mul_u64 s[4:5], s[16:17], s[6:7]
	s_ashr_i32 s3, s2, 31
	s_ashr_i32 s18, s10, 31
	s_mul_i32 s6, s2, 0x50
	s_mov_b32 s4, exec_lo
	v_cmpx_gt_u32_e32 40, v0
	s_cbranch_execz .LBB56_4
; %bb.3:
	s_load_b64 s[8:9], s[0:1], 0x8
	s_wait_kmcnt 0x0
	s_mul_i32 s10, s12, s30
	s_ashr_i32 s7, s6, 31
	s_ashr_i32 s11, s10, 31
	v_and_b32_e32 v2, 0x3fc, v0
	s_lshl_b64 s[10:11], s[10:11], 1
	s_delay_alu instid0(VALU_DEP_1) | instskip(SKIP_2) | instid1(SALU_CYCLE_1)
	v_mad_u32_u24 v2, v4, 40, v2
	s_add_nc_u64 s[8:9], s[8:9], s[10:11]
	s_lshl_b64 s[10:11], s[6:7], 1
	s_add_nc_u64 s[8:9], s[8:9], s[10:11]
	global_load_b32 v1, v0, s[8:9] scale_offset
	s_wait_loadcnt 0x0
	ds_store_b32 v2, v1
.LBB56_4:
	s_or_b32 exec_lo, exec_lo, s4
	s_load_b128 s[8:11], s[0:1], 0x68
	s_mul_i32 s4, s5, s15
	s_xor_b32 s3, s3, s18
	s_sub_co_i32 s4, s16, s4
	s_add_co_i32 s7, s5, 1
	s_wait_kmcnt 0x0
	s_sub_co_i32 s12, s4, s15
	s_cmp_ge_u32 s4, s15
	s_mov_b32 s18, -1
	s_cselect_b32 s5, s7, s5
	s_cselect_b32 s4, s12, s4
	s_add_co_i32 s12, s5, 1
	s_cmp_ge_u32 s4, s15
	s_load_b32 s7, s[0:1], 0x78
	s_cselect_b32 s4, s12, s5
	s_add_co_i32 s15, s31, -1
	s_xor_b32 s4, s4, s3
	s_wait_dscnt 0x0
	s_sub_co_i32 s3, s4, s3
	s_barrier_signal -1
	s_barrier_wait -1
	s_abs_i32 s12, s11
	s_delay_alu instid0(SALU_CYCLE_1) | instskip(NEXT) | instid1(SALU_CYCLE_3)
	s_cvt_f32_u32 s5, s12
                                        ; implicit-def: $sgpr33
	v_rcp_iflag_f32_e32 v1, s5
	v_nop
	s_delay_alu instid0(TRANS32_DEP_1) | instskip(SKIP_1) | instid1(SALU_CYCLE_3)
	v_readfirstlane_b32 s5, v1
	s_mul_f32 s4, s5, 0x4f7ffffe
	s_cvt_u32_f32 s16, s4
	s_sub_co_i32 s4, 0, s12
	s_delay_alu instid0(SALU_CYCLE_2)
	s_mul_i32 s5, s4, s16
	s_abs_i32 s4, s15
	s_mul_hi_u32 s17, s16, s5
	s_mov_b32 s5, 0
	s_add_co_i32 s16, s16, s17
	s_wait_kmcnt 0x0
	s_cmp_lt_i32 s7, 0
	s_mov_b32 s17, s5
	s_cbranch_scc0 .LBB56_6
; %bb.5:
	s_mul_i32 s18, s8, s22
	s_delay_alu instid0(SALU_CYCLE_1) | instskip(NEXT) | instid1(SALU_CYCLE_1)
	s_add_co_i32 s18, s3, s18
	s_mul_i32 s18, s18, s7
	s_delay_alu instid0(SALU_CYCLE_1)
	s_sub_co_i32 s33, 1, s18
	s_mov_b32 s18, s5
.LBB56_6:
	s_ashr_i32 s15, s15, 31
	s_ashr_i32 s34, s11, 31
	s_and_not1_b32 vcc_lo, exec_lo, s18
	s_mul_u64 s[24:25], s[4:5], s[16:17]
	s_cbranch_vccnz .LBB56_8
; %bb.7:
	s_mul_i32 s5, s29, s8
	s_delay_alu instid0(SALU_CYCLE_1) | instskip(NEXT) | instid1(SALU_CYCLE_1)
	s_add_co_i32 s2, s5, s2
	s_mul_i32 s2, s2, s7
	s_delay_alu instid0(SALU_CYCLE_1)
	s_add_co_i32 s33, s2, 1
.LBB56_8:
	s_load_b32 s2, s[0:1], 0x38
	s_mul_i32 s7, s25, s12
	s_xor_b32 s5, s15, s34
	s_sub_co_i32 s4, s4, s7
	s_add_co_i32 s8, s25, 1
	s_clause 0x1
	s_load_b64 s[18:19], s[0:1], 0x28
	s_load_b32 s7, s[0:1], 0x88
	v_dual_mov_b32 v12, 0xff7fffff :: v_dual_lshrrev_b32 v21, 5, v0
	v_lshrrev_b32_e32 v1, 3, v0
	v_mbcnt_lo_u32_b32 v7, -1, 0
	s_mul_i32 s14, s3, s14
	s_delay_alu instid0(VALU_DEP_3)
	v_lshlrev_b32_e32 v6, 3, v21
	s_wait_kmcnt 0x0
	s_mul_i32 s20, s2, s30
	s_sub_co_i32 s2, s4, s12
	s_ashr_i32 s21, s20, 31
	s_cmp_ge_u32 s4, s12
	s_cselect_b32 s8, s8, s25
	s_cselect_b32 s2, s2, s4
	s_add_co_i32 s4, s8, 1
	s_cmp_ge_u32 s2, s12
	s_cselect_b32 s2, s4, s8
	s_add_co_i32 s4, s31, 7
	s_delay_alu instid0(SALU_CYCLE_1) | instskip(NEXT) | instid1(SALU_CYCLE_1)
	s_ashr_i32 s8, s4, 31
	s_lshr_b32 s8, s8, 29
	s_delay_alu instid0(SALU_CYCLE_1) | instskip(NEXT) | instid1(SALU_CYCLE_1)
	s_add_co_i32 s4, s4, s8
	s_ashr_i32 s35, s4, 3
	s_xor_b32 s4, s2, s5
	v_cmp_gt_i32_e64 s2, s35, v21
	s_sub_co_i32 s8, s4, s5
	s_and_saveexec_b32 s11, s2
	s_cbranch_execz .LBB56_20
; %bb.9:
	s_load_b64 s[4:5], s[0:1], 0x10
	s_ashr_i32 s15, s14, 31
	s_sub_co_i32 s22, s8, s9
	s_ashr_i32 s25, s13, 31
	s_lshl_b64 s[38:39], s[14:15], 1
	s_cmp_neq_f32 s36, 0
	v_bfe_u32 v10, v0, 2, 3
	v_mov_b32_e32 v3, 0
	v_mul_u32_u24_e32 v11, 40, v4
	s_cselect_b32 vcc_lo, -1, 0
	s_abs_i32 s15, s10
	v_lshlrev_b32_e32 v2, 4, v10
	s_cvt_f32_u32 s3, s15
	v_subrev_nc_u32_e32 v9, s31, v10
	v_lshlrev_b32_e32 v8, 2, v0
	s_sub_co_i32 s26, 0, s15
	v_rcp_iflag_f32_e32 v5, s3
	v_cmp_eq_u32_e64 s3, 0, v4
	v_dual_add_nc_u32 v13, 1, v9 :: v_dual_bitop2_b32 v16, 2, v7 bitop3:0x14
	v_mov_b32_e32 v18, v21
	s_wait_kmcnt 0x0
	s_add_nc_u64 s[4:5], s[4:5], s[38:39]
	v_xor_b32_e32 v17, 1, v7
	v_readfirstlane_b32 s24, v5
	v_add_nc_u64_e32 v[4:5], s[4:5], v[2:3]
	v_dual_lshlrev_b32 v8, 2, v10 :: v_dual_bitop2_b32 v2, 12, v8 bitop3:0x40
	s_lshl_b64 s[4:5], s[20:21], 2
	s_mul_f32 s24, s24, 0x4f7ffffe
	s_add_nc_u64 s[4:5], s[18:19], s[4:5]
	s_mov_b32 s27, 0
	s_delay_alu instid0(VALU_DEP_2)
	v_add_nc_u64_e32 v[4:5], v[4:5], v[2:3]
	v_and_b32_e32 v2, 0x7c, v1
	s_cvt_u32_f32 s37, s24
	v_lshl_or_b32 v12, v21, 5, v8
	v_mov_b32_e32 v15, 0xff7fffff
	s_mov_b32 s24, s13
	v_add_nc_u64_e32 v[8:9], s[4:5], v[2:3]
	s_mul_i32 s26, s26, s37
	v_lshlrev_b32_e32 v2, 3, v21
	v_add_nc_u32_e32 v14, 0xc0, v12
	v_mov_b32_e32 v12, 0xff7fffff
	s_mul_hi_u32 s4, s37, s26
	s_delay_alu instid0(SALU_CYCLE_1)
	s_add_co_i32 s26, s37, s4
	s_mov_b32 s37, s27
	s_branch .LBB56_12
.LBB56_10:                              ;   in Loop: Header=BB56_12 Depth=1
	s_or_b32 exec_lo, exec_lo, s38
.LBB56_11:                              ;   in Loop: Header=BB56_12 Depth=1
	s_delay_alu instid0(SALU_CYCLE_1) | instskip(SKIP_4) | instid1(VALU_DEP_4)
	s_or_b32 exec_lo, exec_lo, s5
	v_add_nc_u32_e32 v18, 4, v18
	v_add_nc_u64_e32 v[8:9], 16, v[8:9]
	v_add_nc_u32_e32 v2, 32, v2
	v_add_nc_u32_e32 v14, 0x80, v14
	v_cmp_le_i32_e64 s4, s35, v18
	s_or_b32 s37, s4, s37
	s_delay_alu instid0(SALU_CYCLE_1)
	s_and_not1_b32 exec_lo, exec_lo, s37
	s_cbranch_execz .LBB56_19
.LBB56_12:                              ; =>This Inner Loop Header: Depth=1
	v_mul_u64_e32 v[22:23], s[16:17], v[2:3]
	s_delay_alu instid0(VALU_DEP_1) | instskip(SKIP_2) | instid1(VALU_DEP_2)
	v_mul_lo_u32 v19, v23, s12
	s_wait_dscnt 0x0
	v_add_nc_u32_e32 v20, 1, v23
	v_sub_nc_u32_e32 v19, v2, v19
	s_delay_alu instid0(VALU_DEP_1) | instskip(NEXT) | instid1(VALU_DEP_1)
	v_cmp_le_u32_e64 s4, s12, v19
	v_cndmask_b32_e64 v20, v23, v20, s4
	v_subrev_nc_u32_e32 v22, s12, v19
	v_mov_b32_e32 v23, v3
	s_delay_alu instid0(VALU_DEP_2) | instskip(NEXT) | instid1(VALU_DEP_1)
	v_dual_cndmask_b32 v19, v19, v22, s4 :: v_dual_add_nc_u32 v22, 1, v20
	v_cmp_le_u32_e64 s4, s12, v19
	s_delay_alu instid0(VALU_DEP_1) | instskip(NEXT) | instid1(VALU_DEP_1)
	v_cndmask_b32_e64 v19, v20, v22, s4
	v_xor_b32_e32 v19, s34, v19
	s_delay_alu instid0(VALU_DEP_1) | instskip(NEXT) | instid1(VALU_DEP_1)
	v_subrev_nc_u32_e32 v19, s34, v19
	v_add_nc_u32_e32 v20, s33, v19
	v_cmp_ge_i32_e64 s5, s22, v19
	s_delay_alu instid0(VALU_DEP_2) | instskip(NEXT) | instid1(VALU_DEP_1)
	v_sub_nc_u32_e32 v22, 0, v20
	v_dual_ashrrev_i32 v20, 31, v20 :: v_dual_max_i32 v22, v20, v22
	s_delay_alu instid0(VALU_DEP_1) | instskip(NEXT) | instid1(VALU_DEP_1)
	v_mul_u64_e32 v[24:25], s[26:27], v[22:23]
	v_mul_lo_u32 v23, v25, s15
	s_delay_alu instid0(VALU_DEP_1) | instskip(NEXT) | instid1(VALU_DEP_1)
	v_sub_nc_u32_e32 v22, v22, v23
	v_subrev_nc_u32_e32 v23, s15, v22
	v_cmp_le_u32_e64 s4, s15, v22
	s_delay_alu instid0(VALU_DEP_1) | instskip(NEXT) | instid1(VALU_DEP_1)
	v_cndmask_b32_e64 v22, v22, v23, s4
	v_subrev_nc_u32_e32 v23, s15, v22
	v_cmp_le_u32_e64 s4, s15, v22
	s_delay_alu instid0(VALU_DEP_1) | instskip(NEXT) | instid1(VALU_DEP_1)
	v_cndmask_b32_e64 v22, v22, v23, s4
	v_xor_b32_e32 v22, v22, v20
	s_delay_alu instid0(VALU_DEP_1) | instskip(NEXT) | instid1(VALU_DEP_1)
	v_sub_nc_u32_e32 v20, v22, v20
	v_cmp_ne_u32_e64 s4, 0, v20
	s_and_b32 s4, s4, s5
	s_delay_alu instid0(SALU_CYCLE_1) | instskip(NEXT) | instid1(SALU_CYCLE_1)
	s_and_saveexec_b32 s5, s4
	s_xor_b32 s4, exec_lo, s5
	s_cbranch_execz .LBB56_16
; %bb.13:                               ;   in Loop: Header=BB56_12 Depth=1
	s_and_saveexec_b32 s5, s3
; %bb.14:                               ;   in Loop: Header=BB56_12 Depth=1
	ds_store_b32 v14, v15
; %bb.15:                               ;   in Loop: Header=BB56_12 Depth=1
	s_or_b32 exec_lo, exec_lo, s5
.LBB56_16:                              ;   in Loop: Header=BB56_12 Depth=1
	s_and_not1_saveexec_b32 s5, s4
	s_cbranch_execz .LBB56_11
; %bb.17:                               ;   in Loop: Header=BB56_12 Depth=1
	global_load_b32 v22, v[8:9], off
	v_cmp_gt_i32_e64 s4, 32, v16
	s_wait_loadcnt 0x0
	v_ashrrev_i32_e32 v23, 31, v22
	s_delay_alu instid0(VALU_DEP_1) | instskip(NEXT) | instid1(VALU_DEP_1)
	v_mul_u64_e32 v[22:23], s[24:25], v[22:23]
	v_lshl_add_u64 v[22:23], v[22:23], 1, v[4:5]
	s_clause 0x9
	global_load_b32 v19, v[22:23], off
	global_load_b32 v20, v[22:23], off offset:128
	global_load_b32 v24, v[22:23], off offset:256
	;; [unrolled: 1-line block ×9, first 2 shown]
	s_wait_xcnt 0x0
	ds_load_b32 v22, v11
	s_wait_dscnt 0x0
	v_and_b32_e32 v23, 0xffff, v22
	v_lshrrev_b32_e32 v22, 16, v22
	;;#ASMSTART
	v_cvt_f32_f16 v23, v23;
	;;#ASMEND
	;;#ASMSTART
	v_cvt_f32_f16 v33, v22;
	;;#ASMEND
	s_wait_loadcnt 0x9
	v_and_b32_e32 v32, 0xffff, v19
	v_lshrrev_b32_e32 v19, 16, v19
	;;#ASMSTART
	v_cvt_f32_f16 v32, v32;
	;;#ASMEND
	s_wait_loadcnt 0x8
	v_and_b32_e32 v35, 0xffff, v20
	v_lshrrev_b32_e32 v20, 16, v20
	;;#ASMSTART
	v_cvt_f32_f16 v34, v19;
	;;#ASMEND
	ds_load_b32 v19, v11 offset:4
	s_wait_loadcnt 0x7
	v_and_b32_e32 v38, 0xffff, v24
	s_wait_loadcnt 0x6
	v_and_b32_e32 v41, 0xffff, v25
	s_wait_loadcnt 0x5
	v_and_b32_e32 v44, 0xffff, v26
	s_wait_loadcnt 0x3
	v_and_b32_e32 v50, 0xffff, v28
	v_and_b32_e32 v47, 0xffff, v27
	s_wait_loadcnt 0x2
	v_and_b32_e32 v53, 0xffff, v29
	v_dual_lshrrev_b32 v24, 16, v24 :: v_dual_lshrrev_b32 v25, 16, v25
	v_dual_lshrrev_b32 v26, 16, v26 :: v_dual_lshrrev_b32 v28, 16, v28
	v_lshrrev_b32_e32 v29, 16, v29
	s_wait_dscnt 0x0
	v_and_b32_e32 v22, 0xffff, v19
	v_lshrrev_b32_e32 v19, 16, v19
	;;#ASMSTART
	v_cvt_f32_f16 v22, v22;
	;;#ASMEND
	;;#ASMSTART
	v_cvt_f32_f16 v36, v19;
	;;#ASMEND
	;; [unrolled: 3-line block ×4, first 2 shown]
	ds_load_b32 v19, v11 offset:8
	v_lshrrev_b32_e32 v27, 16, v27
	s_wait_dscnt 0x0
	v_and_b32_e32 v20, 0xffff, v19
	v_lshrrev_b32_e32 v19, 16, v19
	;;#ASMSTART
	v_cvt_f32_f16 v39, v20;
	;;#ASMEND
	;;#ASMSTART
	v_cvt_f32_f16 v40, v19;
	;;#ASMEND
	;;#ASMSTART
	v_cvt_f32_f16 v38, v38;
	;;#ASMEND
	;;#ASMSTART
	v_cvt_f32_f16 v24, v24;
	;;#ASMEND
	ds_load_b32 v19, v11 offset:12
	s_wait_dscnt 0x0
	v_and_b32_e32 v20, 0xffff, v19
	v_lshrrev_b32_e32 v19, 16, v19
	;;#ASMSTART
	v_cvt_f32_f16 v42, v20;
	;;#ASMEND
	;;#ASMSTART
	v_cvt_f32_f16 v43, v19;
	;;#ASMEND
	;;#ASMSTART
	v_cvt_f32_f16 v41, v41;
	;;#ASMEND
	;;#ASMSTART
	v_cvt_f32_f16 v25, v25;
	;;#ASMEND
	ds_load_b32 v19, v11 offset:16
	;; [unrolled: 16-line block ×5, first 2 shown]
	s_wait_dscnt 0x0
	v_and_b32_e32 v20, 0xffff, v19
	;;#ASMSTART
	v_cvt_f32_f16 v54, v20;
	;;#ASMEND
	v_dual_mul_f32 v20, v22, v35 :: v_dual_mul_f32 v22, v36, v37
	s_delay_alu instid0(VALU_DEP_1) | instskip(NEXT) | instid1(VALU_DEP_2)
	v_dual_fmac_f32 v20, v23, v32 :: v_dual_lshrrev_b32 v19, 16, v19
	v_fmac_f32_e32 v22, v33, v34
	;;#ASMSTART
	v_cvt_f32_f16 v55, v19;
	;;#ASMEND
	;;#ASMSTART
	v_cvt_f32_f16 v53, v53;
	;;#ASMEND
	;; [unrolled: 3-line block ×3, first 2 shown]
	ds_load_b32 v19, v11 offset:32
	v_dual_fmac_f32 v20, v39, v38 :: v_dual_fmac_f32 v22, v40, v24
	s_wait_loadcnt 0x1
	v_lshrrev_b32_e32 v23, 16, v30
	v_and_b32_e32 v30, 0xffff, v30
	s_delay_alu instid0(VALU_DEP_3) | instskip(NEXT) | instid1(VALU_DEP_1)
	v_fmac_f32_e32 v20, v42, v41
	v_dual_fmac_f32 v22, v43, v25 :: v_dual_fmac_f32 v20, v45, v44
	s_wait_loadcnt 0x0
	s_delay_alu instid0(VALU_DEP_1) | instskip(NEXT) | instid1(VALU_DEP_2)
	v_dual_fmac_f32 v22, v46, v26 :: v_dual_lshrrev_b32 v26, 16, v31
	v_fmac_f32_e32 v20, v48, v47
	s_delay_alu instid0(VALU_DEP_2)
	v_fmac_f32_e32 v22, v49, v27
	s_wait_dscnt 0x0
	v_and_b32_e32 v24, 0xffff, v19
	v_lshrrev_b32_e32 v19, 16, v19
	;;#ASMSTART
	v_cvt_f32_f16 v24, v24;
	;;#ASMEND
	;;#ASMSTART
	v_cvt_f32_f16 v25, v19;
	;;#ASMEND
	;; [unrolled: 3-line block ×4, first 2 shown]
	ds_load_b32 v19, v11 offset:36
	v_dual_fmac_f32 v20, v51, v50 :: v_dual_fmac_f32 v22, v52, v28
	v_cndmask_b32_e64 v23, v7, v16, s4
	v_and_b32_e32 v28, 0xffff, v31
	v_cmp_gt_i32_e64 s4, 32, v17
	s_delay_alu instid0(VALU_DEP_4) | instskip(SKIP_3) | instid1(VALU_DEP_3)
	v_fmac_f32_e32 v20, v54, v53
	v_fmac_f32_e32 v22, v55, v29
	s_wait_dscnt 0x0
	v_and_b32_e32 v27, 0xffff, v19
	v_dual_fmac_f32 v20, v24, v30 :: v_dual_lshrrev_b32 v19, 16, v19
	s_delay_alu instid0(VALU_DEP_3)
	v_fmac_f32_e32 v22, v25, v32
	;;#ASMSTART
	v_cvt_f32_f16 v24, v27;
	;;#ASMEND
	;;#ASMSTART
	v_cvt_f32_f16 v19, v19;
	;;#ASMEND
	;; [unrolled: 3-line block ×4, first 2 shown]
	v_dual_fmac_f32 v20, v24, v25 :: v_dual_fmac_f32 v22, v19, v26
	s_delay_alu instid0(VALU_DEP_1) | instskip(SKIP_3) | instid1(VALU_DEP_1)
	v_dual_add_f32 v20, v20, v22 :: v_dual_lshlrev_b32 v19, 2, v23
	ds_bpermute_b32 v19, v19, v20
	s_wait_dscnt 0x0
	v_dual_cndmask_b32 v22, v7, v17, s4 :: v_dual_add_f32 v19, v20, v19
	v_lshlrev_b32_e32 v20, 2, v22
	ds_bpermute_b32 v20, v20, v19
	s_and_saveexec_b32 s38, s3
	s_cbranch_execz .LBB56_10
; %bb.18:                               ;   in Loop: Header=BB56_12 Depth=1
	s_wait_dscnt 0x0
	v_dual_add_f32 v19, v19, v20 :: v_dual_add_nc_u32 v22, v13, v2
	s_delay_alu instid0(VALU_DEP_1) | instskip(NEXT) | instid1(VALU_DEP_1)
	v_cvt_f32_i32_e32 v22, v22
	v_mul_f32_e32 v22, s36, v22
	s_delay_alu instid0(VALU_DEP_1) | instskip(NEXT) | instid1(VALU_DEP_1)
	v_dual_cndmask_b32 v20, 0, v22, vcc_lo :: v_dual_max_num_f32 v22, v12, v12
	v_dual_fmac_f32 v20, s23, v19 :: v_dual_add_nc_u32 v19, v10, v2
	s_delay_alu instid0(VALU_DEP_1) | instskip(NEXT) | instid1(VALU_DEP_1)
	v_cmp_gt_i32_e64 s4, s31, v19
	v_dual_max_num_f32 v22, v22, v20 :: v_dual_cndmask_b32 v19, 0, v20, s4
	s_delay_alu instid0(VALU_DEP_1)
	v_cndmask_b32_e64 v12, v12, v22, s4
	ds_store_b32 v14, v19
	s_branch .LBB56_10
.LBB56_19:
	s_or_b32 exec_lo, exec_lo, s37
.LBB56_20:
	s_delay_alu instid0(SALU_CYCLE_1)
	s_or_b32 exec_lo, exec_lo, s11
	v_dual_max_num_f32 v5, v12, v12 :: v_dual_bitop2_b32 v2, 16, v7 bitop3:0x14
	s_clause 0x1
	s_load_b64 s[4:5], s[0:1], 0x0
	s_load_b64 s[22:23], s[0:1], 0x18
	v_and_b32_e32 v22, 31, v0
	v_xor_b32_e32 v4, 8, v7
	v_cmp_gt_i32_e32 vcc_lo, 32, v2
	v_cndmask_b32_e32 v2, v7, v2, vcc_lo
	s_delay_alu instid0(VALU_DEP_3) | instskip(NEXT) | instid1(VALU_DEP_2)
	v_cmp_gt_i32_e32 vcc_lo, 32, v4
	v_dual_lshlrev_b32 v2, 2, v2 :: v_dual_cndmask_b32 v4, v7, v4, vcc_lo
	ds_bpermute_b32 v3, v2, v12
	s_wait_dscnt 0x0
	v_dual_max_num_f32 v8, v3, v3 :: v_dual_lshlrev_b32 v3, 2, v4
	s_delay_alu instid0(VALU_DEP_1) | instskip(SKIP_4) | instid1(VALU_DEP_1)
	v_dual_max_num_f32 v4, v5, v8 :: v_dual_bitop2_b32 v8, 4, v7 bitop3:0x14
	ds_bpermute_b32 v5, v3, v4
	v_cmp_gt_i32_e32 vcc_lo, 32, v8
	v_cndmask_b32_e32 v8, v7, v8, vcc_lo
	s_wait_dscnt 0x0
	v_dual_max_num_f32 v5, v5, v5 :: v_dual_lshlrev_b32 v8, 2, v8
	s_delay_alu instid0(VALU_DEP_1)
	v_max_num_f32_e32 v5, v4, v5
	v_lshlrev_b32_e32 v4, 2, v21
	v_cmp_eq_u32_e32 vcc_lo, 0, v22
	ds_bpermute_b32 v9, v8, v5
	s_wait_xcnt 0x0
	s_and_saveexec_b32 s0, vcc_lo
	s_cbranch_execz .LBB56_22
; %bb.21:
	s_wait_dscnt 0x0
	v_max_num_f32_e32 v9, v9, v9
	v_max_num_f32_e32 v5, v5, v5
	s_delay_alu instid0(VALU_DEP_1)
	v_max_num_f32_e32 v5, v5, v9
	ds_store_b32 v4, v5 offset:160
.LBB56_22:
	s_or_b32 exec_lo, exec_lo, s0
	v_cmp_gt_u32_e64 s0, 4, v22
	v_dual_mov_b32 v10, 0xff7fffff :: v_dual_lshlrev_b32 v5, 2, v22
	s_wait_dscnt 0x0
	s_barrier_signal -1
	s_barrier_wait -1
	s_and_saveexec_b32 s1, s0
; %bb.23:
	ds_load_b32 v10, v5 offset:160
; %bb.24:
	s_or_b32 exec_lo, exec_lo, s1
	v_xor_b32_e32 v9, 2, v7
	v_lshl_add_u32 v23, v0, 2, 0xc0
	v_xor_b32_e32 v12, 1, v7
	s_delay_alu instid0(VALU_DEP_3) | instskip(NEXT) | instid1(VALU_DEP_1)
	v_cmp_gt_i32_e64 s1, 32, v9
	v_cndmask_b32_e64 v9, v7, v9, s1
	s_delay_alu instid0(VALU_DEP_3) | instskip(NEXT) | instid1(VALU_DEP_1)
	v_cmp_gt_i32_e64 s1, 32, v12
	v_dual_lshlrev_b32 v9, 2, v9 :: v_dual_cndmask_b32 v7, v7, v12, s1
	s_lshl_b32 s1, s35, 3
	s_delay_alu instid0(SALU_CYCLE_1)
	s_min_i32 s11, s1, s31
	s_wait_dscnt 0x0
	ds_bpermute_b32 v11, v9, v10
	v_max_num_f32_e32 v10, v10, v10
	v_cmp_gt_i32_e64 s1, s11, v0
	v_lshlrev_b32_e32 v7, 2, v7
	s_wait_dscnt 0x0
	v_max_num_f32_e32 v11, v11, v11
	s_delay_alu instid0(VALU_DEP_1) | instskip(SKIP_3) | instid1(VALU_DEP_1)
	v_max_num_f32_e32 v10, v10, v11
	ds_bpermute_b32 v11, v7, v10
	s_wait_dscnt 0x0
	v_max_num_f32_e32 v11, v11, v11
	v_dual_max_num_f32 v11, v10, v11 :: v_dual_mov_b32 v10, 0
	ds_bpermute_b32 v11, v10, v11
	s_and_saveexec_b32 s15, s1
	s_cbranch_execz .LBB56_28
; %bb.25:
	v_lshl_add_u32 v12, v0, 2, 0xc0
	v_dual_mov_b32 v10, 0 :: v_dual_mov_b32 v13, v0
	s_mov_b32 s24, 0
.LBB56_26:                              ; =>This Inner Loop Header: Depth=1
	ds_load_b32 v14, v12
	v_add_nc_u32_e32 v13, 0x80, v13
	s_delay_alu instid0(VALU_DEP_1) | instskip(SKIP_3) | instid1(VALU_DEP_1)
	v_cmp_le_i32_e64 s3, s11, v13
	s_or_b32 s24, s3, s24
	s_wait_dscnt 0x0
	v_sub_f32_e32 v14, v14, v11
	v_mul_f32_e32 v14, 0x3fb8aa3b, v14
	s_delay_alu instid0(VALU_DEP_1)
	v_exp_f32_e32 v14, v14
	ds_store_b32 v12, v14
	v_nop
	v_add_f32_e32 v10, v10, v14
	v_add_nc_u32_e32 v12, 0x200, v12
	s_and_not1_b32 exec_lo, exec_lo, s24
	s_cbranch_execnz .LBB56_26
; %bb.27:
	s_or_b32 exec_lo, exec_lo, s24
.LBB56_28:
	s_delay_alu instid0(SALU_CYCLE_1)
	s_or_b32 exec_lo, exec_lo, s15
	ds_bpermute_b32 v2, v2, v10
	s_wait_dscnt 0x0
	v_add_f32_e32 v2, v10, v2
	ds_bpermute_b32 v3, v3, v2
	s_wait_dscnt 0x0
	v_add_f32_e32 v2, v2, v3
	;; [unrolled: 3-line block ×5, first 2 shown]
	s_and_saveexec_b32 s3, vcc_lo
; %bb.29:
	ds_store_b32 v4, v2 offset:176
; %bb.30:
	s_or_b32 exec_lo, exec_lo, s3
	s_wait_dscnt 0x0
	s_barrier_signal -1
	s_barrier_wait -1
	s_and_saveexec_b32 s3, s0
; %bb.31:
	ds_load_b32 v2, v5 offset:176
; %bb.32:
	s_or_b32 exec_lo, exec_lo, s3
	s_wait_dscnt 0x0
	ds_bpermute_b32 v3, v9, v2
	s_wait_dscnt 0x0
	v_dual_mov_b32 v27, 0 :: v_dual_add_f32 v2, v2, v3
	ds_bpermute_b32 v3, v7, v2
	s_wait_dscnt 0x0
	v_add_f32_e32 v2, v2, v3
	ds_bpermute_b32 v2, v27, v2
	s_and_saveexec_b32 s0, s1
	s_cbranch_execz .LBB56_45
; %bb.33:
	s_wait_dscnt 0x0
	v_add_f32_e32 v2, 0x358637bd, v2
	s_mov_b32 s3, -1
	s_mov_b32 s1, exec_lo
	s_delay_alu instid0(VALU_DEP_1) | instskip(NEXT) | instid1(VALU_DEP_1)
	v_div_scale_f32 v3, null, v2, v2, 1.0
	v_rcp_f32_e32 v5, v3
	v_nop
	s_delay_alu instid0(TRANS32_DEP_1) | instskip(NEXT) | instid1(VALU_DEP_1)
	v_fma_f32 v4, -v3, v5, 1.0
	v_fmac_f32_e32 v5, v4, v5
	v_div_scale_f32 v7, vcc_lo, 1.0, v2, 1.0
	s_delay_alu instid0(VALU_DEP_1) | instskip(NEXT) | instid1(VALU_DEP_1)
	v_mul_f32_e32 v8, v7, v5
	v_fma_f32 v4, -v3, v8, v7
	s_delay_alu instid0(VALU_DEP_1) | instskip(SKIP_1) | instid1(VALU_DEP_2)
	v_fmac_f32_e32 v8, v4, v5
	v_xad_u32 v4, v0, -1, s11
	v_fma_f32 v3, -v3, v8, v7
	s_delay_alu instid0(VALU_DEP_1) | instskip(NEXT) | instid1(VALU_DEP_1)
	v_div_fmas_f32 v3, v3, v5, v8
	v_div_fixup_f32 v2, v3, v2, 1.0
	v_mov_b32_e32 v3, v0
	v_cmpx_lt_u32_e32 0x7f, v4
	s_cbranch_execz .LBB56_42
; %bb.34:
	s_delay_alu instid0(VALU_DEP_3) | instskip(NEXT) | instid1(VALU_DEP_1)
	v_dual_mov_b32 v3, v2 :: v_dual_lshrrev_b32 v4, 7, v4
	v_dual_mov_b32 v9, 0 :: v_dual_add_nc_u32 v5, -1, v4
	s_delay_alu instid0(VALU_DEP_1) | instskip(SKIP_1) | instid1(VALU_DEP_2)
	v_lshrrev_b32_e32 v7, 1, v5
	v_cmp_lt_u32_e32 vcc_lo, 13, v5
	v_add_nc_u32_e32 v5, 1, v7
	s_and_saveexec_b32 s3, vcc_lo
	s_cbranch_execz .LBB56_38
; %bb.35:
	s_delay_alu instid0(VALU_DEP_1)
	v_dual_mov_b32 v8, v23 :: v_dual_bitop2_b32 v7, -8, v5 bitop3:0x40
	s_mov_b32 s15, 0
	s_mov_b32 s24, 0
.LBB56_36:                              ; =>This Inner Loop Header: Depth=1
	ds_load_2addr_stride64_b32 v[10:11], v8 offset1:2
	ds_load_2addr_stride64_b32 v[12:13], v8 offset0:4 offset1:6
	ds_load_2addr_stride64_b32 v[14:15], v8 offset0:8 offset1:10
	ds_load_2addr_stride64_b32 v[16:17], v8 offset0:12 offset1:14
	ds_load_2addr_stride64_b32 v[18:19], v8 offset0:16 offset1:18
	ds_load_2addr_stride64_b32 v[24:25], v8 offset0:20 offset1:22
	ds_load_2addr_stride64_b32 v[28:29], v8 offset0:24 offset1:26
	ds_load_2addr_stride64_b32 v[30:31], v8 offset0:28 offset1:30
	s_add_co_i32 s24, s24, 16
	s_delay_alu instid0(SALU_CYCLE_1) | instskip(NEXT) | instid1(VALU_DEP_1)
	v_dual_add_nc_u32 v7, -8, v7 :: v_dual_mov_b32 v9, s24
	v_cmp_eq_u32_e32 vcc_lo, 0, v7
	s_or_b32 s15, vcc_lo, s15
	s_wait_dscnt 0x7
	v_pk_mul_f32 v[10:11], v[2:3], v[10:11]
	s_wait_dscnt 0x6
	v_pk_mul_f32 v[12:13], v[2:3], v[12:13]
	;; [unrolled: 2-line block ×8, first 2 shown]
	ds_store_2addr_stride64_b32 v8, v10, v11 offset1:2
	ds_store_2addr_stride64_b32 v8, v12, v13 offset0:4 offset1:6
	ds_store_2addr_stride64_b32 v8, v14, v15 offset0:8 offset1:10
	;; [unrolled: 1-line block ×7, first 2 shown]
	v_add_nc_u32_e32 v8, 0x2000, v8
	s_and_not1_b32 exec_lo, exec_lo, s15
	s_cbranch_execnz .LBB56_36
; %bb.37:
	s_or_b32 exec_lo, exec_lo, s15
.LBB56_38:
	s_delay_alu instid0(SALU_CYCLE_1) | instskip(NEXT) | instid1(VALU_DEP_1)
	s_or_b32 exec_lo, exec_lo, s3
	v_and_b32_e32 v5, 7, v5
	s_mov_b32 s15, 0
	s_mov_b32 s3, exec_lo
	s_delay_alu instid0(VALU_DEP_1)
	v_cmpx_ne_u32_e32 0, v5
	s_cbranch_execz .LBB56_41
; %bb.39:
	v_dual_lshlrev_b32 v7, 9, v9 :: v_dual_lshlrev_b32 v8, 2, v0
	s_delay_alu instid0(VALU_DEP_1)
	v_add3_u32 v7, v7, v8, 0xc0
.LBB56_40:                              ; =>This Inner Loop Header: Depth=1
	ds_load_2addr_stride64_b32 v[8:9], v7 offset1:2
	v_add_nc_u32_e32 v5, -1, v5
	s_delay_alu instid0(VALU_DEP_1)
	v_cmp_eq_u32_e32 vcc_lo, 0, v5
	s_or_b32 s15, vcc_lo, s15
	s_wait_dscnt 0x0
	v_pk_mul_f32 v[8:9], v[2:3], v[8:9]
	ds_store_2addr_stride64_b32 v7, v8, v9 offset1:2
	v_add_nc_u32_e32 v7, 0x400, v7
	s_and_not1_b32 exec_lo, exec_lo, s15
	s_cbranch_execnz .LBB56_40
.LBB56_41:
	s_or_b32 exec_lo, exec_lo, s3
	v_add_nc_u32_e32 v3, 1, v4
	s_delay_alu instid0(VALU_DEP_1) | instskip(NEXT) | instid1(VALU_DEP_1)
	v_and_b32_e32 v4, 0x3fffffe, v3
	v_cmp_ne_u32_e32 vcc_lo, v3, v4
	v_lshl_add_u32 v3, v4, 7, v0
	s_or_not1_b32 s3, vcc_lo, exec_lo
.LBB56_42:
	s_or_b32 exec_lo, exec_lo, s1
	s_delay_alu instid0(SALU_CYCLE_1)
	s_and_b32 exec_lo, exec_lo, s3
	s_cbranch_execz .LBB56_45
; %bb.43:
	v_lshl_add_u32 v4, v3, 2, 0xc0
	s_mov_b32 s1, 0
.LBB56_44:                              ; =>This Inner Loop Header: Depth=1
	ds_load_b32 v5, v4
	v_add_nc_u32_e32 v3, 0x80, v3
	s_delay_alu instid0(VALU_DEP_1)
	v_cmp_le_i32_e32 vcc_lo, s11, v3
	s_or_b32 s1, vcc_lo, s1
	s_wait_dscnt 0x0
	v_mul_f32_e32 v5, v2, v5
	ds_store_b32 v4, v5
	v_add_nc_u32_e32 v4, 0x200, v4
	s_and_not1_b32 exec_lo, exec_lo, s1
	s_cbranch_execnz .LBB56_44
.LBB56_45:
	s_or_b32 exec_lo, exec_lo, s0
	v_mov_b64_e32 v[8:9], 0
	v_or_b32_e32 v24, 64, v22
	s_wait_dscnt 0x0
	s_barrier_signal -1
	s_barrier_wait -1
	s_and_saveexec_b32 s24, s2
	s_cbranch_execz .LBB56_59
; %bb.46:
	s_abs_i32 s25, s10
	s_sub_co_i32 s26, s8, s9
	s_cvt_f32_u32 s0, s25
	v_dual_mov_b32 v7, 0 :: v_dual_lshlrev_b32 v2, 3, v22
	v_lshlrev_b32_e32 v4, 3, v24
	s_delay_alu instid0(SALU_CYCLE_1)
	v_rcp_iflag_f32_e32 v3, s0
	v_and_b32_e32 v12, 0x7c, v1
	s_lshl_b64 s[0:1], s[20:21], 2
	v_mov_b32_e32 v13, v7
	s_ashr_i32 s15, s14, 31
	s_add_nc_u64 s[0:1], s[18:19], s[0:1]
	s_lshl_b64 s[10:11], s[14:15], 1
	v_readfirstlane_b32 s8, v3
	s_sub_co_i32 s14, 0, s25
	v_mov_b64_e32 v[8:9], 0
	v_add_nc_u64_e32 v[12:13], s[0:1], v[12:13]
	v_lshl_add_u32 v25, v21, 5, 0xc0
	s_mul_f32 s8, s8, 0x4f7ffffe
	v_dual_lshlrev_b32 v10, 1, v2 :: v_dual_lshlrev_b32 v14, 1, v4
	v_dual_mov_b32 v27, v7 :: v_dual_mov_b32 v26, v21
	s_delay_alu instid0(SALU_CYCLE_1)
	s_cvt_u32_f32 s8, s8
	s_mov_b32 s9, 0
	s_ashr_i32 s3, s13, 31
	s_mov_b32 s2, s13
	s_mul_i32 s14, s14, s8
	s_add_co_i32 s13, s35, -1
	s_mul_hi_u32 s0, s8, s14
	s_wait_kmcnt 0x0
	s_add_nc_u64 s[10:11], s[22:23], s[10:11]
	s_mov_b32 s14, s31
	s_add_co_i32 s8, s8, s0
	s_mov_b32 s15, s9
	v_cmp_gt_u32_e32 vcc_lo, 0x50, v24
	s_branch .LBB56_50
.LBB56_47:                              ;   in Loop: Header=BB56_50 Depth=1
	s_or_b32 exec_lo, exec_lo, s19
	v_dual_lshlrev_b32 v15, 16, v16 :: v_dual_lshlrev_b32 v1, 16, v1
	s_delay_alu instid0(VALU_DEP_2) | instskip(NEXT) | instid1(VALU_DEP_2)
	v_lshlrev_b32_e32 v11, 16, v11
	v_and_or_b32 v2, 0xffff, v2, v15
	s_delay_alu instid0(VALU_DEP_3) | instskip(NEXT) | instid1(VALU_DEP_3)
	v_and_or_b32 v1, 0xffff, v3, v1
	v_and_or_b32 v3, 0xffff, v4, v11
	;;#ASMSTART
	v_pk_mul_f16 v2, v29, v2;

	;;#ASMEND
	;;#ASMSTART
	v_pk_mul_f16 v1, v20, v1;

	;;#ASMEND
	;; [unrolled: 4-line block ×4, first 2 shown]
	;;#ASMSTART
	v_pk_add_f16 v1, v2, v1;

	;;#ASMEND
	;;#ASMSTART
	v_pk_add_f16 v1, v1, v3;

	;;#ASMEND
	;; [unrolled: 4-line block ×3, first 2 shown]
	v_and_b32_e32 v2, 0xffff, v1
	v_lshrrev_b32_e32 v1, 16, v1
	;;#ASMSTART
	v_cvt_f32_f16 v2, v2;
	;;#ASMEND
	;;#ASMSTART
	v_cvt_f32_f16 v1, v1;
	;;#ASMEND
	s_delay_alu instid0(VALU_DEP_1) | instskip(NEXT) | instid1(VALU_DEP_1)
	v_add_f32_e32 v1, v2, v1
	v_add_f32_e32 v27, v27, v1
.LBB56_48:                              ;   in Loop: Header=BB56_50 Depth=1
	s_or_b32 exec_lo, exec_lo, s1
	v_dual_add_f32 v1, v28, v30 :: v_dual_add_f32 v2, v18, v19
	s_delay_alu instid0(VALU_DEP_1)
	v_dual_add_f32 v8, v8, v1 :: v_dual_add_f32 v9, v9, v2
.LBB56_49:                              ;   in Loop: Header=BB56_50 Depth=1
	s_or_b32 exec_lo, exec_lo, s18
	v_add_nc_u32_e32 v26, 4, v26
	v_add_nc_u64_e32 v[12:13], 16, v[12:13]
	v_add_nc_u32_e32 v6, 32, v6
	v_add_nc_u32_e32 v25, 0x80, v25
	s_delay_alu instid0(VALU_DEP_4) | instskip(SKIP_1) | instid1(SALU_CYCLE_1)
	v_cmp_le_i32_e64 s0, s35, v26
	s_or_b32 s15, s0, s15
	s_and_not1_b32 exec_lo, exec_lo, s15
	s_cbranch_execz .LBB56_58
.LBB56_50:                              ; =>This Inner Loop Header: Depth=1
	v_mul_u64_e32 v[2:3], s[16:17], v[6:7]
	s_delay_alu instid0(VALU_DEP_1) | instskip(NEXT) | instid1(VALU_DEP_1)
	v_mul_lo_u32 v1, v3, s12
	v_dual_add_nc_u32 v2, 1, v3 :: v_dual_sub_nc_u32 v1, v6, v1
	s_delay_alu instid0(VALU_DEP_1) | instskip(SKIP_1) | instid1(VALU_DEP_1)
	v_subrev_nc_u32_e32 v4, s12, v1
	v_cmp_le_u32_e64 s0, s12, v1
	v_dual_cndmask_b32 v2, v3, v2, s0 :: v_dual_cndmask_b32 v1, v1, v4, s0
	s_delay_alu instid0(VALU_DEP_1) | instskip(NEXT) | instid1(VALU_DEP_2)
	v_add_nc_u32_e32 v3, 1, v2
	v_cmp_le_u32_e64 s0, s12, v1
	s_delay_alu instid0(VALU_DEP_1) | instskip(NEXT) | instid1(VALU_DEP_1)
	v_dual_cndmask_b32 v1, v2, v3, s0 :: v_dual_mov_b32 v3, v7
	v_xor_b32_e32 v1, s34, v1
	s_delay_alu instid0(VALU_DEP_1) | instskip(NEXT) | instid1(VALU_DEP_1)
	v_subrev_nc_u32_e32 v1, s34, v1
	v_add_nc_u32_e32 v11, s33, v1
	v_cmp_lt_i32_e64 s1, s26, v1
	s_delay_alu instid0(VALU_DEP_2) | instskip(NEXT) | instid1(VALU_DEP_1)
	v_sub_nc_u32_e32 v2, 0, v11
	v_max_i32_e32 v2, v11, v2
	s_delay_alu instid0(VALU_DEP_1) | instskip(NEXT) | instid1(VALU_DEP_1)
	v_mul_u64_e32 v[4:5], s[8:9], v[2:3]
	v_mul_lo_u32 v3, v5, s25
	s_delay_alu instid0(VALU_DEP_1) | instskip(SKIP_1) | instid1(VALU_DEP_2)
	v_sub_nc_u32_e32 v2, v2, v3
	v_ashrrev_i32_e32 v4, 31, v11
	v_subrev_nc_u32_e32 v3, s25, v2
	v_cmp_le_u32_e64 s0, s25, v2
	s_delay_alu instid0(VALU_DEP_1) | instskip(NEXT) | instid1(VALU_DEP_1)
	v_cndmask_b32_e64 v2, v2, v3, s0
	v_subrev_nc_u32_e32 v3, s25, v2
	v_cmp_le_u32_e64 s0, s25, v2
	s_delay_alu instid0(VALU_DEP_1) | instskip(NEXT) | instid1(VALU_DEP_1)
	v_cndmask_b32_e64 v2, v2, v3, s0
	v_xor_b32_e32 v2, v2, v4
	s_delay_alu instid0(VALU_DEP_1) | instskip(NEXT) | instid1(VALU_DEP_1)
	v_sub_nc_u32_e32 v2, v2, v4
	v_cmp_eq_u32_e64 s0, 0, v2
	s_or_b32 s0, s0, s1
	s_delay_alu instid0(SALU_CYCLE_1)
	s_and_saveexec_b32 s18, s0
	s_cbranch_execz .LBB56_49
; %bb.51:                               ;   in Loop: Header=BB56_50 Depth=1
	global_load_b32 v2, v[12:13], off
	v_cmp_eq_u32_e64 s0, s13, v26
	s_wait_loadcnt 0x0
	v_dual_mov_b32 v11, v7 :: v_dual_ashrrev_i32 v3, 31, v2
	s_delay_alu instid0(VALU_DEP_1)
	v_mul_u64_e32 v[16:17], s[2:3], v[2:3]
	ds_load_2addr_b64 v[2:5], v25 offset1:1
	ds_load_2addr_b64 v[34:37], v25 offset0:2 offset1:3
	s_wait_dscnt 0x1
	;;#ASMSTART
	v_cvt_f16_f32 v32, v2;

	;;#ASMEND
	;;#ASMSTART
	v_cvt_f16_f32 v29, v3;

	;;#ASMEND
	;; [unrolled: 4-line block ×4, first 2 shown]
	s_wait_dscnt 0x0
	;;#ASMSTART
	v_cvt_f16_f32 v34, v34;

	;;#ASMEND
	;;#ASMSTART
	v_cvt_f16_f32 v28, v35;

	;;#ASMEND
	;; [unrolled: 4-line block ×4, first 2 shown]
	v_lshl_add_u64 v[16:17], v[16:17], 1, s[10:11]
	s_delay_alu instid0(VALU_DEP_1)
	v_add_nc_u64_e32 v[18:19], v[16:17], v[10:11]
	global_load_b128 v[2:5], v[18:19], off
	s_wait_loadcnt 0x0
	v_dual_lshrrev_b32 v1, 16, v3 :: v_dual_lshrrev_b32 v20, 16, v2
	v_lshrrev_b32_e32 v11, 16, v4
	s_and_saveexec_b32 s19, s0
	s_cbranch_execz .LBB56_53
; %bb.52:                               ;   in Loop: Header=BB56_50 Depth=1
	v_dual_add_nc_u32 v35, 2, v6 :: v_dual_bitop2_b32 v36, 3, v6 bitop3:0x54
	v_cmp_gt_i32_e64 s1, s31, v6
	v_add_nc_u32_e32 v38, 7, v6
	s_delay_alu instid0(VALU_DEP_2) | instskip(NEXT) | instid1(VALU_DEP_4)
	v_cndmask_b32_e64 v2, 0, v2, s1
	v_cmp_gt_i32_e64 s1, s31, v35
	s_delay_alu instid0(VALU_DEP_1) | instskip(SKIP_2) | instid1(VALU_DEP_2)
	v_dual_add_nc_u32 v35, 4, v6 :: v_dual_cndmask_b32 v3, 0, v3, s1
	v_cmp_gt_i32_e64 s1, s14, v36
	v_dual_add_nc_u32 v36, 6, v6 :: v_dual_bitop2_b32 v37, 1, v6 bitop3:0x54
	v_cndmask_b32_e64 v1, 0, v1, s1
	s_delay_alu instid0(VALU_DEP_2) | instskip(SKIP_2) | instid1(VALU_DEP_3)
	v_cmp_gt_i32_e64 s1, s31, v37
	v_and_b32_e32 v37, 0xffff, v5
	v_and_b32_e32 v5, 0xffff0000, v5
	v_cndmask_b32_e64 v20, 0, v20, s1
	v_cmp_gt_i32_e64 s1, s31, v36
	s_delay_alu instid0(VALU_DEP_1) | instskip(SKIP_1) | instid1(VALU_DEP_1)
	v_dual_add_nc_u32 v39, 5, v6 :: v_dual_cndmask_b32 v36, 0, v37, s1
	v_cmp_gt_i32_e64 s1, s31, v38
	v_cndmask_b32_e64 v5, 0, v5, s1
	v_cmp_gt_i32_e64 s1, s31, v35
	s_delay_alu instid0(VALU_DEP_1) | instskip(SKIP_1) | instid1(VALU_DEP_1)
	v_cndmask_b32_e64 v4, 0, v4, s1
	v_cmp_gt_i32_e64 s1, s31, v39
	v_dual_cndmask_b32 v11, 0, v11, s1 :: v_dual_bitop2_b32 v5, v36, v5 bitop3:0x54
.LBB56_53:                              ;   in Loop: Header=BB56_50 Depth=1
	s_or_b32 exec_lo, exec_lo, s19
	v_dual_lshlrev_b32 v35, 16, v20 :: v_dual_lshlrev_b32 v1, 16, v1
	v_and_b32_e32 v32, 0xffff, v32
	v_and_b32_e32 v33, 0xffff, v33
	v_lshlrev_b32_e32 v11, 16, v11
	v_and_b32_e32 v34, 0xffff, v34
	v_and_b32_e32 v30, 0xffff, v30
	v_and_or_b32 v2, 0xffff, v2, v35
	v_and_or_b32 v1, 0xffff, v3, v1
	v_lshl_or_b32 v29, v29, 16, v32
	v_lshl_or_b32 v20, v31, 16, v33
	v_and_or_b32 v3, 0xffff, v4, v11
	;;#ASMSTART
	v_pk_mul_f16 v2, v29, v2;

	;;#ASMEND
	;;#ASMSTART
	v_pk_mul_f16 v1, v20, v1;

	;;#ASMEND
	v_lshl_or_b32 v31, v28, 16, v34
	v_lshl_or_b32 v32, v15, 16, v30
	;;#ASMSTART
	v_pk_mul_f16 v3, v31, v3;

	;;#ASMEND
	;;#ASMSTART
	v_pk_mul_f16 v4, v32, v5;

	;;#ASMEND
	;;#ASMSTART
	v_pk_add_f16 v1, v2, v1;

	;;#ASMEND
	;;#ASMSTART
	v_pk_add_f16 v1, v1, v3;
	;; [unrolled: 4-line block ×3, first 2 shown]

	;;#ASMEND
	v_and_b32_e32 v2, 0xffff, v1
	v_lshrrev_b32_e32 v1, 16, v1
	;;#ASMSTART
	v_cvt_f32_f16 v28, v2;
	;;#ASMEND
	;;#ASMSTART
	v_cvt_f32_f16 v30, v1;
	;;#ASMEND
	global_load_b128 v[2:5], v[18:19], off offset:512
	s_wait_loadcnt 0x0
	v_dual_lshrrev_b32 v1, 16, v3 :: v_dual_lshrrev_b32 v18, 16, v2
	v_lshrrev_b32_e32 v11, 16, v4
	s_and_saveexec_b32 s19, s0
	s_cbranch_execz .LBB56_55
; %bb.54:                               ;   in Loop: Header=BB56_50 Depth=1
	v_dual_add_nc_u32 v15, 2, v6 :: v_dual_bitop2_b32 v19, 3, v6 bitop3:0x54
	v_cmp_gt_i32_e64 s1, s31, v6
	v_dual_add_nc_u32 v34, 7, v6 :: v_dual_add_nc_u32 v35, 5, v6
	s_delay_alu instid0(VALU_DEP_2) | instskip(NEXT) | instid1(VALU_DEP_4)
	v_cndmask_b32_e64 v2, 0, v2, s1
	v_cmp_gt_i32_e64 s1, s31, v15
	s_delay_alu instid0(VALU_DEP_1) | instskip(SKIP_2) | instid1(VALU_DEP_2)
	v_dual_add_nc_u32 v15, 4, v6 :: v_dual_cndmask_b32 v3, 0, v3, s1
	v_cmp_gt_i32_e64 s1, s14, v19
	v_dual_add_nc_u32 v19, 6, v6 :: v_dual_bitop2_b32 v33, 1, v6 bitop3:0x54
	v_cndmask_b32_e64 v1, 0, v1, s1
	s_delay_alu instid0(VALU_DEP_2) | instskip(SKIP_2) | instid1(VALU_DEP_3)
	v_cmp_gt_i32_e64 s1, s31, v33
	v_and_b32_e32 v33, 0xffff, v5
	v_and_b32_e32 v5, 0xffff0000, v5
	v_cndmask_b32_e64 v18, 0, v18, s1
	v_cmp_gt_i32_e64 s1, s31, v19
	s_delay_alu instid0(VALU_DEP_1) | instskip(SKIP_1) | instid1(VALU_DEP_1)
	v_cndmask_b32_e64 v19, 0, v33, s1
	v_cmp_gt_i32_e64 s1, s31, v34
	v_cndmask_b32_e64 v5, 0, v5, s1
	v_cmp_gt_i32_e64 s1, s31, v15
	s_delay_alu instid0(VALU_DEP_1) | instskip(SKIP_1) | instid1(VALU_DEP_1)
	v_cndmask_b32_e64 v4, 0, v4, s1
	v_cmp_gt_i32_e64 s1, s31, v35
	v_dual_cndmask_b32 v11, 0, v11, s1 :: v_dual_bitop2_b32 v5, v19, v5 bitop3:0x54
.LBB56_55:                              ;   in Loop: Header=BB56_50 Depth=1
	s_or_b32 exec_lo, exec_lo, s19
	v_dual_lshlrev_b32 v15, 16, v18 :: v_dual_lshlrev_b32 v1, 16, v1
	s_delay_alu instid0(VALU_DEP_2) | instskip(NEXT) | instid1(VALU_DEP_2)
	v_lshlrev_b32_e32 v11, 16, v11
	v_and_or_b32 v2, 0xffff, v2, v15
	s_delay_alu instid0(VALU_DEP_3) | instskip(NEXT) | instid1(VALU_DEP_3)
	v_and_or_b32 v1, 0xffff, v3, v1
	v_and_or_b32 v3, 0xffff, v4, v11
	;;#ASMSTART
	v_pk_mul_f16 v2, v29, v2;

	;;#ASMEND
	;;#ASMSTART
	v_pk_mul_f16 v1, v20, v1;

	;;#ASMEND
	;; [unrolled: 4-line block ×4, first 2 shown]
	;;#ASMSTART
	v_pk_add_f16 v1, v2, v1;

	;;#ASMEND
	;;#ASMSTART
	v_pk_add_f16 v1, v1, v3;

	;;#ASMEND
	;; [unrolled: 4-line block ×3, first 2 shown]
	v_and_b32_e32 v2, 0xffff, v1
	v_lshrrev_b32_e32 v1, 16, v1
	;;#ASMSTART
	v_cvt_f32_f16 v18, v2;
	;;#ASMEND
	;;#ASMSTART
	v_cvt_f32_f16 v19, v1;
	;;#ASMEND
	s_and_saveexec_b32 s1, vcc_lo
	s_cbranch_execz .LBB56_48
; %bb.56:                               ;   in Loop: Header=BB56_50 Depth=1
	v_mov_b32_e32 v15, v7
	s_delay_alu instid0(VALU_DEP_1)
	v_add_nc_u64_e32 v[2:3], v[16:17], v[14:15]
	global_load_b128 v[2:5], v[2:3], off
	s_wait_loadcnt 0x0
	v_dual_lshrrev_b32 v1, 16, v3 :: v_dual_lshrrev_b32 v16, 16, v2
	v_lshrrev_b32_e32 v11, 16, v4
	s_and_saveexec_b32 s19, s0
	s_cbranch_execz .LBB56_47
; %bb.57:                               ;   in Loop: Header=BB56_50 Depth=1
	v_dual_add_nc_u32 v15, 2, v6 :: v_dual_bitop2_b32 v17, 3, v6 bitop3:0x54
	v_cmp_gt_i32_e64 s0, s31, v6
	v_add_nc_u32_e32 v34, 7, v6
	s_delay_alu instid0(VALU_DEP_2) | instskip(NEXT) | instid1(VALU_DEP_4)
	v_cndmask_b32_e64 v2, 0, v2, s0
	v_cmp_gt_i32_e64 s0, s31, v15
	s_delay_alu instid0(VALU_DEP_1) | instskip(SKIP_2) | instid1(VALU_DEP_2)
	v_dual_add_nc_u32 v15, 4, v6 :: v_dual_cndmask_b32 v3, 0, v3, s0
	v_cmp_gt_i32_e64 s0, s14, v17
	v_dual_add_nc_u32 v17, 6, v6 :: v_dual_bitop2_b32 v33, 1, v6 bitop3:0x54
	v_cndmask_b32_e64 v1, 0, v1, s0
	s_delay_alu instid0(VALU_DEP_2) | instskip(SKIP_2) | instid1(VALU_DEP_3)
	v_cmp_gt_i32_e64 s0, s31, v33
	v_and_b32_e32 v33, 0xffff, v5
	v_and_b32_e32 v5, 0xffff0000, v5
	v_cndmask_b32_e64 v16, 0, v16, s0
	v_cmp_gt_i32_e64 s0, s31, v17
	s_delay_alu instid0(VALU_DEP_1) | instskip(SKIP_1) | instid1(VALU_DEP_1)
	v_dual_add_nc_u32 v35, 5, v6 :: v_dual_cndmask_b32 v17, 0, v33, s0
	v_cmp_gt_i32_e64 s0, s31, v34
	v_cndmask_b32_e64 v5, 0, v5, s0
	v_cmp_gt_i32_e64 s0, s31, v15
	s_delay_alu instid0(VALU_DEP_1) | instskip(SKIP_1) | instid1(VALU_DEP_1)
	v_cndmask_b32_e64 v4, 0, v4, s0
	v_cmp_gt_i32_e64 s0, s31, v35
	v_dual_cndmask_b32 v11, 0, v11, s0 :: v_dual_bitop2_b32 v5, v17, v5 bitop3:0x54
	s_branch .LBB56_47
.LBB56_58:
	s_or_b32 exec_lo, exec_lo, s15
.LBB56_59:
	s_delay_alu instid0(SALU_CYCLE_1)
	s_or_b32 exec_lo, exec_lo, s24
	s_movk_i32 s0, 0x140
	v_and_b32_e32 v2, 0x3c0, v0
	v_mad_u32_u24 v1, v21, s0, 0xc0
	s_mov_b32 s0, exec_lo
	s_barrier_signal -1
	s_barrier_wait -1
	v_cmpx_eq_u32_e32 64, v2
	s_cbranch_execz .LBB56_62
; %bb.60:
	v_add_nc_u32_e32 v2, 0xfffffd80, v1
	v_cmp_gt_u32_e32 vcc_lo, 0x50, v24
	s_delay_alu instid0(VALU_DEP_2)
	v_lshl_add_u32 v3, v22, 2, v2
	ds_store_2addr_b32 v3, v8, v9 offset1:32
	s_and_b32 exec_lo, exec_lo, vcc_lo
; %bb.61:
	v_lshl_add_u32 v2, v24, 2, v2
	ds_store_b32 v2, v27
.LBB56_62:
	s_or_b32 exec_lo, exec_lo, s0
	v_lshl_add_u32 v5, v22, 2, v1
	s_mov_b32 s0, exec_lo
	s_wait_dscnt 0x0
	s_barrier_signal -1
	s_barrier_wait -1
	v_cmpx_gt_u32_e32 64, v0
	s_cbranch_execz .LBB56_66
; %bb.63:
	v_lshl_or_b32 v2, v0, 2, 0x80
	s_mov_b32 s1, exec_lo
	s_delay_alu instid0(VALU_DEP_1)
	v_add_nc_u32_e32 v3, v1, v2
	ds_load_b32 v2, v5
	ds_load_b32 v3, v3
	v_cmpx_gt_u32_e32 0x50, v24
	s_cbranch_execz .LBB56_65
; %bb.64:
	ds_load_b32 v4, v5 offset:256
	s_wait_dscnt 0x0
	v_add_f32_e32 v27, v27, v4
.LBB56_65:
	s_or_b32 exec_lo, exec_lo, s1
	s_wait_dscnt 0x0
	v_pk_add_f32 v[8:9], v[8:9], v[2:3]
.LBB56_66:
	s_or_b32 exec_lo, exec_lo, s0
	v_and_b32_e32 v2, 0x3e0, v0
	s_mov_b32 s0, exec_lo
	s_barrier_signal -1
	s_barrier_wait -1
	s_delay_alu instid0(VALU_DEP_1)
	v_cmpx_eq_u32_e32 32, v2
	s_cbranch_execz .LBB56_69
; %bb.67:
	v_lshl_add_u32 v2, v22, 2, 0xc0
	v_cmp_gt_u32_e32 vcc_lo, 0x50, v24
	ds_store_b32 v2, v8
	ds_store_b32 v23, v9
	s_and_b32 exec_lo, exec_lo, vcc_lo
; %bb.68:
	ds_store_b32 v2, v27 offset:256
.LBB56_69:
	s_or_b32 exec_lo, exec_lo, s0
	v_cmp_gt_u32_e32 vcc_lo, 32, v0
	v_or_b32_e32 v4, 64, v0
	s_wait_dscnt 0x0
	s_barrier_signal -1
	s_barrier_wait -1
	s_and_saveexec_b32 s1, vcc_lo
	s_cbranch_execz .LBB56_73
; %bb.70:
	v_lshl_add_u32 v1, v0, 2, v1
	s_mov_b32 s2, exec_lo
	ds_load_b32 v2, v5
	ds_load_b32 v3, v1 offset:128
	v_cmpx_gt_u32_e32 0x50, v4
	s_cbranch_execz .LBB56_72
; %bb.71:
	ds_load_b32 v1, v1 offset:256
	s_wait_dscnt 0x0
	v_add_f32_e32 v27, v27, v1
.LBB56_72:
	s_or_b32 exec_lo, exec_lo, s2
	s_wait_dscnt 0x0
	v_pk_add_f32 v[8:9], v[8:9], v[2:3]
.LBB56_73:
	s_or_b32 exec_lo, exec_lo, s1
	s_barrier_signal -1
	s_barrier_wait -1
	s_and_saveexec_b32 s0, vcc_lo
	s_cbranch_execz .LBB56_76
; %bb.74:
	s_mul_i32 s1, s30, s7
	s_mul_i32 s0, s7, s6
	;; [unrolled: 1-line block ×3, first 2 shown]
	s_bfe_u32 s7, ttmp6, 0x40014
	s_mul_i32 s2, s1, 0x50
	s_lshr_b32 s6, ttmp7, 16
	s_ashr_i32 s3, s2, 31
	s_add_co_i32 s7, s7, 1
	s_lshl_b64 s[2:3], s[2:3], 1
	s_ashr_i32 s1, s0, 31
	s_wait_kmcnt 0x0
	s_add_nc_u64 s[2:3], s[4:5], s[2:3]
	s_mul_i32 s4, s6, s7
	s_bfe_u32 s5, ttmp6, 0x40008
	s_lshl_b64 s[0:1], s[0:1], 1
	s_add_co_i32 s5, s5, s4
	s_cmp_eq_u32 s28, 0
	s_add_nc_u64 s[0:1], s[2:3], s[0:1]
	s_cselect_b32 s2, s6, s5
	v_cmp_gt_u32_e32 vcc_lo, 0x50, v4
	s_mov_b32 s3, 0
	s_mulk_i32 s2, 0xa0
	;;#ASMSTART
	v_cvt_f16_f32 v1, v8;

	;;#ASMEND
	s_add_nc_u64 s[0:1], s[0:1], s[2:3]
	global_store_b16 v0, v1, s[0:1] scale_offset
	s_wait_xcnt 0x0
	;;#ASMSTART
	v_cvt_f16_f32 v1, v9;

	;;#ASMEND
	global_store_b16 v0, v1, s[0:1] offset:64 scale_offset
	s_wait_xcnt 0x0
	s_and_b32 exec_lo, exec_lo, vcc_lo
	s_cbranch_execz .LBB56_76
; %bb.75:
	v_dual_mov_b32 v1, 0 :: v_dual_lshlrev_b32 v0, 1, v0
	;;#ASMSTART
	v_cvt_f16_f32 v2, v27;

	;;#ASMEND
	s_delay_alu instid0(VALU_DEP_1)
	v_add_nc_u64_e32 v[0:1], s[0:1], v[0:1]
	global_store_b16 v[0:1], v2, off offset:128
.LBB56_76:
	s_endpgm
	.section	.rodata,"a",@progbits
	.p2align	6, 0x0
	.amdhsa_kernel _ZN4vllm25paged_attention_v1_kernelIttLi80ELi8ELi128ELNS_18Fp8KVCacheDataTypeE0ELb1EEEvPT_PKS2_PKT0_S8_ifPKiSA_iPKfiiiSC_SC_iiiii
		.amdhsa_group_segment_fixed_size 192
		.amdhsa_private_segment_fixed_size 0
		.amdhsa_kernarg_size 384
		.amdhsa_user_sgpr_count 2
		.amdhsa_user_sgpr_dispatch_ptr 0
		.amdhsa_user_sgpr_queue_ptr 0
		.amdhsa_user_sgpr_kernarg_segment_ptr 1
		.amdhsa_user_sgpr_dispatch_id 0
		.amdhsa_user_sgpr_kernarg_preload_length 0
		.amdhsa_user_sgpr_kernarg_preload_offset 0
		.amdhsa_user_sgpr_private_segment_size 0
		.amdhsa_wavefront_size32 1
		.amdhsa_uses_dynamic_stack 0
		.amdhsa_enable_private_segment 0
		.amdhsa_system_sgpr_workgroup_id_x 1
		.amdhsa_system_sgpr_workgroup_id_y 1
		.amdhsa_system_sgpr_workgroup_id_z 1
		.amdhsa_system_sgpr_workgroup_info 0
		.amdhsa_system_vgpr_workitem_id 0
		.amdhsa_next_free_vgpr 56
		.amdhsa_next_free_sgpr 40
		.amdhsa_named_barrier_count 0
		.amdhsa_reserve_vcc 1
		.amdhsa_float_round_mode_32 0
		.amdhsa_float_round_mode_16_64 0
		.amdhsa_float_denorm_mode_32 3
		.amdhsa_float_denorm_mode_16_64 3
		.amdhsa_fp16_overflow 0
		.amdhsa_memory_ordered 1
		.amdhsa_forward_progress 1
		.amdhsa_inst_pref_size 48
		.amdhsa_round_robin_scheduling 0
		.amdhsa_exception_fp_ieee_invalid_op 0
		.amdhsa_exception_fp_denorm_src 0
		.amdhsa_exception_fp_ieee_div_zero 0
		.amdhsa_exception_fp_ieee_overflow 0
		.amdhsa_exception_fp_ieee_underflow 0
		.amdhsa_exception_fp_ieee_inexact 0
		.amdhsa_exception_int_div_zero 0
	.end_amdhsa_kernel
	.section	.text._ZN4vllm25paged_attention_v1_kernelIttLi80ELi8ELi128ELNS_18Fp8KVCacheDataTypeE0ELb1EEEvPT_PKS2_PKT0_S8_ifPKiSA_iPKfiiiSC_SC_iiiii,"axG",@progbits,_ZN4vllm25paged_attention_v1_kernelIttLi80ELi8ELi128ELNS_18Fp8KVCacheDataTypeE0ELb1EEEvPT_PKS2_PKT0_S8_ifPKiSA_iPKfiiiSC_SC_iiiii,comdat
.Lfunc_end56:
	.size	_ZN4vllm25paged_attention_v1_kernelIttLi80ELi8ELi128ELNS_18Fp8KVCacheDataTypeE0ELb1EEEvPT_PKS2_PKT0_S8_ifPKiSA_iPKfiiiSC_SC_iiiii, .Lfunc_end56-_ZN4vllm25paged_attention_v1_kernelIttLi80ELi8ELi128ELNS_18Fp8KVCacheDataTypeE0ELb1EEEvPT_PKS2_PKT0_S8_ifPKiSA_iPKfiiiSC_SC_iiiii
                                        ; -- End function
	.set _ZN4vllm25paged_attention_v1_kernelIttLi80ELi8ELi128ELNS_18Fp8KVCacheDataTypeE0ELb1EEEvPT_PKS2_PKT0_S8_ifPKiSA_iPKfiiiSC_SC_iiiii.num_vgpr, 56
	.set _ZN4vllm25paged_attention_v1_kernelIttLi80ELi8ELi128ELNS_18Fp8KVCacheDataTypeE0ELb1EEEvPT_PKS2_PKT0_S8_ifPKiSA_iPKfiiiSC_SC_iiiii.num_agpr, 0
	.set _ZN4vllm25paged_attention_v1_kernelIttLi80ELi8ELi128ELNS_18Fp8KVCacheDataTypeE0ELb1EEEvPT_PKS2_PKT0_S8_ifPKiSA_iPKfiiiSC_SC_iiiii.numbered_sgpr, 40
	.set _ZN4vllm25paged_attention_v1_kernelIttLi80ELi8ELi128ELNS_18Fp8KVCacheDataTypeE0ELb1EEEvPT_PKS2_PKT0_S8_ifPKiSA_iPKfiiiSC_SC_iiiii.num_named_barrier, 0
	.set _ZN4vllm25paged_attention_v1_kernelIttLi80ELi8ELi128ELNS_18Fp8KVCacheDataTypeE0ELb1EEEvPT_PKS2_PKT0_S8_ifPKiSA_iPKfiiiSC_SC_iiiii.private_seg_size, 0
	.set _ZN4vllm25paged_attention_v1_kernelIttLi80ELi8ELi128ELNS_18Fp8KVCacheDataTypeE0ELb1EEEvPT_PKS2_PKT0_S8_ifPKiSA_iPKfiiiSC_SC_iiiii.uses_vcc, 1
	.set _ZN4vllm25paged_attention_v1_kernelIttLi80ELi8ELi128ELNS_18Fp8KVCacheDataTypeE0ELb1EEEvPT_PKS2_PKT0_S8_ifPKiSA_iPKfiiiSC_SC_iiiii.uses_flat_scratch, 0
	.set _ZN4vllm25paged_attention_v1_kernelIttLi80ELi8ELi128ELNS_18Fp8KVCacheDataTypeE0ELb1EEEvPT_PKS2_PKT0_S8_ifPKiSA_iPKfiiiSC_SC_iiiii.has_dyn_sized_stack, 0
	.set _ZN4vllm25paged_attention_v1_kernelIttLi80ELi8ELi128ELNS_18Fp8KVCacheDataTypeE0ELb1EEEvPT_PKS2_PKT0_S8_ifPKiSA_iPKfiiiSC_SC_iiiii.has_recursion, 0
	.set _ZN4vllm25paged_attention_v1_kernelIttLi80ELi8ELi128ELNS_18Fp8KVCacheDataTypeE0ELb1EEEvPT_PKS2_PKT0_S8_ifPKiSA_iPKfiiiSC_SC_iiiii.has_indirect_call, 0
	.section	.AMDGPU.csdata,"",@progbits
; Kernel info:
; codeLenInByte = 6104
; TotalNumSgprs: 42
; NumVgprs: 56
; ScratchSize: 0
; MemoryBound: 0
; FloatMode: 240
; IeeeMode: 1
; LDSByteSize: 192 bytes/workgroup (compile time only)
; SGPRBlocks: 0
; VGPRBlocks: 3
; NumSGPRsForWavesPerEU: 42
; NumVGPRsForWavesPerEU: 56
; NamedBarCnt: 0
; Occupancy: 16
; WaveLimiterHint : 1
; COMPUTE_PGM_RSRC2:SCRATCH_EN: 0
; COMPUTE_PGM_RSRC2:USER_SGPR: 2
; COMPUTE_PGM_RSRC2:TRAP_HANDLER: 0
; COMPUTE_PGM_RSRC2:TGID_X_EN: 1
; COMPUTE_PGM_RSRC2:TGID_Y_EN: 1
; COMPUTE_PGM_RSRC2:TGID_Z_EN: 1
; COMPUTE_PGM_RSRC2:TIDIG_COMP_CNT: 0
	.section	.text._ZN4vllm25paged_attention_v1_kernelIttLi96ELi8ELi128ELNS_18Fp8KVCacheDataTypeE0ELb1EEEvPT_PKS2_PKT0_S8_ifPKiSA_iPKfiiiSC_SC_iiiii,"axG",@progbits,_ZN4vllm25paged_attention_v1_kernelIttLi96ELi8ELi128ELNS_18Fp8KVCacheDataTypeE0ELb1EEEvPT_PKS2_PKT0_S8_ifPKiSA_iPKfiiiSC_SC_iiiii,comdat
	.protected	_ZN4vllm25paged_attention_v1_kernelIttLi96ELi8ELi128ELNS_18Fp8KVCacheDataTypeE0ELb1EEEvPT_PKS2_PKT0_S8_ifPKiSA_iPKfiiiSC_SC_iiiii ; -- Begin function _ZN4vllm25paged_attention_v1_kernelIttLi96ELi8ELi128ELNS_18Fp8KVCacheDataTypeE0ELb1EEEvPT_PKS2_PKT0_S8_ifPKiSA_iPKfiiiSC_SC_iiiii
	.globl	_ZN4vllm25paged_attention_v1_kernelIttLi96ELi8ELi128ELNS_18Fp8KVCacheDataTypeE0ELb1EEEvPT_PKS2_PKT0_S8_ifPKiSA_iPKfiiiSC_SC_iiiii
	.p2align	8
	.type	_ZN4vllm25paged_attention_v1_kernelIttLi96ELi8ELi128ELNS_18Fp8KVCacheDataTypeE0ELb1EEEvPT_PKS2_PKT0_S8_ifPKiSA_iPKfiiiSC_SC_iiiii,@function
_ZN4vllm25paged_attention_v1_kernelIttLi96ELi8ELi128ELNS_18Fp8KVCacheDataTypeE0ELb1EEEvPT_PKS2_PKT0_S8_ifPKiSA_iPKfiiiSC_SC_iiiii: ; @_ZN4vllm25paged_attention_v1_kernelIttLi96ELi8ELi128ELNS_18Fp8KVCacheDataTypeE0ELb1EEEvPT_PKS2_PKT0_S8_ifPKiSA_iPKfiiiSC_SC_iiiii
; %bb.0:
	s_load_b64 s[22:23], s[0:1], 0x20
	s_bfe_u32 s3, ttmp6, 0x4000c
	s_bfe_u32 s4, ttmp6, 0x40010
	s_and_b32 s6, ttmp7, 0xffff
	s_add_co_i32 s3, s3, 1
	s_add_co_i32 s4, s4, 1
	s_and_b32 s2, ttmp6, 15
	s_bfe_u32 s5, ttmp6, 0x40004
	s_mul_i32 s3, ttmp9, s3
	s_mul_i32 s4, s6, s4
	s_getreg_b32 s28, hwreg(HW_REG_IB_STS2, 6, 4)
	s_add_co_i32 s2, s2, s3
	s_add_co_i32 s3, s5, s4
	s_cmp_eq_u32 s28, 0
	s_clause 0x1
	s_load_b32 s29, s[0:1], 0x80
	s_load_b64 s[4:5], s[0:1], 0x30
	s_cselect_b32 s30, s6, s3
	s_cselect_b32 s2, ttmp9, s2
	s_mov_b32 s17, 0
	s_delay_alu instid0(SALU_CYCLE_1) | instskip(SKIP_2) | instid1(SALU_CYCLE_1)
	s_mov_b32 s35, s17
	s_wait_kmcnt 0x0
	s_abs_i32 s3, s22
	s_cvt_f32_u32 s6, s3
	s_sub_co_i32 s7, 0, s3
	s_delay_alu instid0(SALU_CYCLE_2) | instskip(SKIP_2) | instid1(TRANS32_DEP_1)
	v_rcp_iflag_f32_e32 v1, s6
	s_abs_i32 s8, s29
	v_nop
	v_readfirstlane_b32 s6, v1
	s_mul_f32 s6, s6, 0x4f7ffffe
	s_delay_alu instid0(SALU_CYCLE_3) | instskip(NEXT) | instid1(SALU_CYCLE_3)
	s_cvt_u32_f32 s6, s6
	s_mul_i32 s7, s7, s6
	s_delay_alu instid0(SALU_CYCLE_1) | instskip(NEXT) | instid1(SALU_CYCLE_1)
	s_mul_hi_u32 s7, s6, s7
	s_add_co_i32 s6, s6, s7
	s_xor_b32 s7, s29, s22
	s_mul_hi_u32 s6, s8, s6
	s_ashr_i32 s7, s7, 31
	s_mul_i32 s9, s6, s3
	s_delay_alu instid0(SALU_CYCLE_1)
	s_sub_co_i32 s8, s8, s9
	s_add_co_i32 s9, s6, 1
	s_sub_co_i32 s10, s8, s3
	s_cmp_ge_u32 s8, s3
	s_cselect_b32 s6, s9, s6
	s_cselect_b32 s8, s10, s8
	s_add_co_i32 s9, s6, 1
	s_cmp_ge_u32 s8, s3
	s_cselect_b32 s3, s9, s6
	s_load_b64 s[8:9], s[0:1], 0x40
	s_xor_b32 s3, s3, s7
	s_abs_i32 s16, s2
	s_sub_co_i32 s10, s3, s7
	s_mov_b32 s7, s17
	s_abs_i32 s15, s10
	s_delay_alu instid0(SALU_CYCLE_1) | instskip(SKIP_1) | instid1(SALU_CYCLE_2)
	s_cvt_f32_u32 s3, s15
	s_sub_co_i32 s6, 0, s15
	v_rcp_iflag_f32_e32 v1, s3
	v_nop
	s_delay_alu instid0(TRANS32_DEP_1) | instskip(SKIP_1) | instid1(SALU_CYCLE_3)
	v_readfirstlane_b32 s3, v1
	s_mul_f32 s3, s3, 0x4f7ffffe
	s_cvt_u32_f32 s3, s3
	s_delay_alu instid0(SALU_CYCLE_3) | instskip(NEXT) | instid1(SALU_CYCLE_1)
	s_mul_i32 s6, s6, s3
	s_mul_hi_u32 s6, s3, s6
	s_delay_alu instid0(SALU_CYCLE_1)
	s_add_co_i32 s6, s3, s6
	s_wait_kmcnt 0x0
	s_cmp_eq_u64 s[8:9], 0
	s_cbranch_scc1 .LBB57_2
; %bb.1:
	s_ashr_i32 s3, s2, 31
	s_delay_alu instid0(SALU_CYCLE_1) | instskip(NEXT) | instid1(SALU_CYCLE_1)
	s_lshl_b64 s[12:13], s[2:3], 2
	s_add_nc_u64 s[8:9], s[8:9], s[12:13]
	s_load_b32 s35, s[8:9], 0x0
.LBB57_2:
	s_load_b32 s31, s[4:5], s30 offset:0x0 scale_offset
	s_load_b96 s[12:14], s[0:1], 0x48
	v_and_b32_e32 v4, 3, v0
	s_wait_xcnt 0x0
	s_mul_u64 s[4:5], s[16:17], s[6:7]
	s_ashr_i32 s3, s2, 31
	s_ashr_i32 s18, s10, 31
	s_mul_i32 s6, s2, 0x60
	s_mov_b32 s4, exec_lo
	v_cmpx_gt_u32_e32 48, v0
	s_cbranch_execz .LBB57_4
; %bb.3:
	s_load_b64 s[8:9], s[0:1], 0x8
	s_wait_kmcnt 0x0
	s_mul_i32 s10, s12, s30
	s_ashr_i32 s7, s6, 31
	s_ashr_i32 s11, s10, 31
	v_and_b32_e32 v2, 0x3fc, v0
	s_lshl_b64 s[10:11], s[10:11], 1
	s_delay_alu instid0(VALU_DEP_1) | instskip(SKIP_2) | instid1(SALU_CYCLE_1)
	v_mad_u32_u24 v2, v4, 48, v2
	s_add_nc_u64 s[8:9], s[8:9], s[10:11]
	s_lshl_b64 s[10:11], s[6:7], 1
	s_add_nc_u64 s[8:9], s[8:9], s[10:11]
	global_load_b32 v1, v0, s[8:9] scale_offset
	s_wait_loadcnt 0x0
	ds_store_b32 v2, v1
.LBB57_4:
	s_or_b32 exec_lo, exec_lo, s4
	s_load_b128 s[8:11], s[0:1], 0x68
	s_mul_i32 s4, s5, s15
	s_xor_b32 s3, s3, s18
	s_sub_co_i32 s4, s16, s4
	s_add_co_i32 s7, s5, 1
	s_wait_kmcnt 0x0
	s_sub_co_i32 s12, s4, s15
	s_cmp_ge_u32 s4, s15
	s_mov_b32 s18, -1
	s_cselect_b32 s5, s7, s5
	s_cselect_b32 s4, s12, s4
	s_add_co_i32 s12, s5, 1
	s_cmp_ge_u32 s4, s15
	s_load_b32 s7, s[0:1], 0x78
	s_cselect_b32 s4, s12, s5
	s_add_co_i32 s15, s31, -1
	s_xor_b32 s4, s4, s3
	s_wait_dscnt 0x0
	s_sub_co_i32 s3, s4, s3
	s_barrier_signal -1
	s_barrier_wait -1
	s_abs_i32 s12, s11
	s_delay_alu instid0(SALU_CYCLE_1) | instskip(NEXT) | instid1(SALU_CYCLE_3)
	s_cvt_f32_u32 s5, s12
                                        ; implicit-def: $sgpr33
	v_rcp_iflag_f32_e32 v1, s5
	v_nop
	s_delay_alu instid0(TRANS32_DEP_1) | instskip(SKIP_1) | instid1(SALU_CYCLE_3)
	v_readfirstlane_b32 s5, v1
	s_mul_f32 s4, s5, 0x4f7ffffe
	s_cvt_u32_f32 s16, s4
	s_sub_co_i32 s4, 0, s12
	s_delay_alu instid0(SALU_CYCLE_2)
	s_mul_i32 s5, s4, s16
	s_abs_i32 s4, s15
	s_mul_hi_u32 s17, s16, s5
	s_mov_b32 s5, 0
	s_add_co_i32 s16, s16, s17
	s_wait_kmcnt 0x0
	s_cmp_lt_i32 s7, 0
	s_mov_b32 s17, s5
	s_cbranch_scc0 .LBB57_6
; %bb.5:
	s_mul_i32 s18, s8, s22
	s_delay_alu instid0(SALU_CYCLE_1) | instskip(NEXT) | instid1(SALU_CYCLE_1)
	s_add_co_i32 s18, s3, s18
	s_mul_i32 s18, s18, s7
	s_delay_alu instid0(SALU_CYCLE_1)
	s_sub_co_i32 s33, 1, s18
	s_mov_b32 s18, s5
.LBB57_6:
	s_ashr_i32 s15, s15, 31
	s_ashr_i32 s11, s11, 31
	s_and_not1_b32 vcc_lo, exec_lo, s18
	s_mul_u64 s[24:25], s[4:5], s[16:17]
	s_cbranch_vccnz .LBB57_8
; %bb.7:
	s_mul_i32 s5, s29, s8
	s_delay_alu instid0(SALU_CYCLE_1) | instskip(NEXT) | instid1(SALU_CYCLE_1)
	s_add_co_i32 s2, s5, s2
	s_mul_i32 s2, s2, s7
	s_delay_alu instid0(SALU_CYCLE_1)
	s_add_co_i32 s33, s2, 1
.LBB57_8:
	s_load_b32 s2, s[0:1], 0x38
	s_mul_i32 s7, s25, s12
	s_xor_b32 s5, s15, s11
	s_sub_co_i32 s4, s4, s7
	s_add_co_i32 s8, s25, 1
	s_clause 0x1
	s_load_b64 s[18:19], s[0:1], 0x28
	s_load_b32 s7, s[0:1], 0x88
	v_dual_mov_b32 v12, 0xff7fffff :: v_dual_lshrrev_b32 v17, 5, v0
	v_lshrrev_b32_e32 v1, 3, v0
	v_mbcnt_lo_u32_b32 v7, -1, 0
	s_mul_i32 s14, s3, s14
	s_delay_alu instid0(VALU_DEP_3)
	v_lshlrev_b32_e32 v6, 3, v17
	s_wait_kmcnt 0x0
	s_mul_i32 s20, s2, s30
	s_sub_co_i32 s2, s4, s12
	s_ashr_i32 s21, s20, 31
	s_cmp_ge_u32 s4, s12
	s_cselect_b32 s8, s8, s25
	s_cselect_b32 s2, s2, s4
	s_add_co_i32 s4, s8, 1
	s_cmp_ge_u32 s2, s12
	s_cselect_b32 s2, s4, s8
	s_add_co_i32 s4, s31, 7
	s_delay_alu instid0(SALU_CYCLE_1) | instskip(NEXT) | instid1(SALU_CYCLE_1)
	s_ashr_i32 s8, s4, 31
	s_lshr_b32 s8, s8, 29
	s_delay_alu instid0(SALU_CYCLE_1) | instskip(NEXT) | instid1(SALU_CYCLE_1)
	s_add_co_i32 s4, s4, s8
	s_ashr_i32 s34, s4, 3
	s_xor_b32 s4, s2, s5
	v_cmp_gt_i32_e64 s2, s34, v17
	s_sub_co_i32 s8, s4, s5
	s_and_saveexec_b32 s22, s2
	s_cbranch_execz .LBB57_20
; %bb.9:
	s_load_b64 s[4:5], s[0:1], 0x10
	s_ashr_i32 s15, s14, 31
	s_sub_co_i32 s36, s8, s9
	s_ashr_i32 s25, s13, 31
	s_lshl_b64 s[38:39], s[14:15], 1
	s_cmp_neq_f32 s35, 0
	v_bfe_u32 v10, v0, 2, 3
	v_mov_b32_e32 v3, 0
	v_mul_u32_u24_e32 v11, 48, v4
	s_cselect_b32 vcc_lo, -1, 0
	s_abs_i32 s15, s10
	v_lshlrev_b32_e32 v2, 4, v10
	s_cvt_f32_u32 s3, s15
	v_subrev_nc_u32_e32 v9, s31, v10
	v_lshlrev_b32_e32 v8, 2, v0
	s_sub_co_i32 s26, 0, s15
	v_rcp_iflag_f32_e32 v5, s3
	v_cmp_eq_u32_e64 s3, 0, v4
	v_dual_add_nc_u32 v13, 1, v9 :: v_dual_bitop2_b32 v16, 2, v7 bitop3:0x14
	s_wait_kmcnt 0x0
	s_add_nc_u64 s[4:5], s[4:5], s[38:39]
	v_xor_b32_e32 v18, 1, v7
	s_mov_b32 s27, 0
	v_readfirstlane_b32 s24, v5
	v_add_nc_u64_e32 v[4:5], s[4:5], v[2:3]
	v_dual_lshlrev_b32 v8, 2, v10 :: v_dual_bitop2_b32 v2, 12, v8 bitop3:0x40
	s_lshl_b64 s[4:5], s[20:21], 2
	s_mul_f32 s24, s24, 0x4f7ffffe
	s_add_nc_u64 s[4:5], s[18:19], s[4:5]
	v_mov_b32_e32 v19, v17
	s_delay_alu instid0(VALU_DEP_3)
	v_add_nc_u64_e32 v[4:5], v[4:5], v[2:3]
	v_and_b32_e32 v2, 0x7c, v1
	s_cvt_u32_f32 s37, s24
	v_lshl_or_b32 v12, v17, 5, v8
	v_mov_b32_e32 v15, 0xff7fffff
	s_mov_b32 s24, s13
	v_add_nc_u64_e32 v[8:9], s[4:5], v[2:3]
	s_mul_i32 s26, s26, s37
	v_lshlrev_b32_e32 v2, 3, v17
	v_add_nc_u32_e32 v14, 0xe0, v12
	v_mov_b32_e32 v12, 0xff7fffff
	s_mul_hi_u32 s4, s37, s26
	s_delay_alu instid0(SALU_CYCLE_1)
	s_add_co_i32 s26, s37, s4
	s_mov_b32 s37, s27
	s_branch .LBB57_12
.LBB57_10:                              ;   in Loop: Header=BB57_12 Depth=1
	s_or_b32 exec_lo, exec_lo, s38
.LBB57_11:                              ;   in Loop: Header=BB57_12 Depth=1
	s_delay_alu instid0(SALU_CYCLE_1) | instskip(SKIP_3) | instid1(VALU_DEP_3)
	s_or_b32 exec_lo, exec_lo, s5
	v_dual_add_nc_u32 v19, 4, v19 :: v_dual_add_nc_u32 v2, 32, v2
	v_add_nc_u64_e32 v[8:9], 16, v[8:9]
	v_add_nc_u32_e32 v14, 0x80, v14
	v_cmp_le_i32_e64 s4, s34, v19
	s_or_b32 s37, s4, s37
	s_delay_alu instid0(SALU_CYCLE_1)
	s_and_not1_b32 exec_lo, exec_lo, s37
	s_cbranch_execz .LBB57_19
.LBB57_12:                              ; =>This Inner Loop Header: Depth=1
	s_wait_dscnt 0x0
	v_mul_u64_e32 v[20:21], s[16:17], v[2:3]
	s_delay_alu instid0(VALU_DEP_1) | instskip(NEXT) | instid1(VALU_DEP_1)
	v_mul_lo_u32 v20, v21, s12
	v_dual_add_nc_u32 v22, 1, v21 :: v_dual_sub_nc_u32 v20, v2, v20
	s_delay_alu instid0(VALU_DEP_1) | instskip(SKIP_1) | instid1(VALU_DEP_1)
	v_subrev_nc_u32_e32 v23, s12, v20
	v_cmp_le_u32_e64 s4, s12, v20
	v_dual_cndmask_b32 v21, v21, v22, s4 :: v_dual_cndmask_b32 v20, v20, v23, s4
	s_delay_alu instid0(VALU_DEP_1) | instskip(NEXT) | instid1(VALU_DEP_2)
	v_add_nc_u32_e32 v22, 1, v21
	v_cmp_le_u32_e64 s4, s12, v20
	s_delay_alu instid0(VALU_DEP_1) | instskip(NEXT) | instid1(VALU_DEP_1)
	v_dual_cndmask_b32 v20, v21, v22, s4 :: v_dual_mov_b32 v21, v3
	v_xor_b32_e32 v20, s11, v20
	s_delay_alu instid0(VALU_DEP_1) | instskip(NEXT) | instid1(VALU_DEP_1)
	v_subrev_nc_u32_e32 v24, s11, v20
	v_add_nc_u32_e32 v25, s33, v24
	v_cmp_ge_i32_e64 s5, s36, v24
	s_delay_alu instid0(VALU_DEP_2) | instskip(NEXT) | instid1(VALU_DEP_1)
	v_sub_nc_u32_e32 v20, 0, v25
	v_max_i32_e32 v20, v25, v20
	s_delay_alu instid0(VALU_DEP_1) | instskip(SKIP_1) | instid1(VALU_DEP_2)
	v_mul_u64_e32 v[22:23], s[26:27], v[20:21]
	v_ashrrev_i32_e32 v22, 31, v25
	v_mul_lo_u32 v21, v23, s15
	s_delay_alu instid0(VALU_DEP_1) | instskip(NEXT) | instid1(VALU_DEP_1)
	v_sub_nc_u32_e32 v20, v20, v21
	v_subrev_nc_u32_e32 v21, s15, v20
	v_cmp_le_u32_e64 s4, s15, v20
	s_delay_alu instid0(VALU_DEP_1) | instskip(NEXT) | instid1(VALU_DEP_1)
	v_cndmask_b32_e64 v20, v20, v21, s4
	v_subrev_nc_u32_e32 v21, s15, v20
	v_cmp_le_u32_e64 s4, s15, v20
	s_delay_alu instid0(VALU_DEP_1) | instskip(NEXT) | instid1(VALU_DEP_1)
	v_cndmask_b32_e64 v20, v20, v21, s4
	v_xor_b32_e32 v20, v20, v22
	s_delay_alu instid0(VALU_DEP_1) | instskip(NEXT) | instid1(VALU_DEP_1)
	v_sub_nc_u32_e32 v20, v20, v22
	v_cmp_ne_u32_e64 s4, 0, v20
	s_and_b32 s4, s4, s5
	s_delay_alu instid0(SALU_CYCLE_1) | instskip(NEXT) | instid1(SALU_CYCLE_1)
	s_and_saveexec_b32 s5, s4
	s_xor_b32 s4, exec_lo, s5
	s_cbranch_execz .LBB57_16
; %bb.13:                               ;   in Loop: Header=BB57_12 Depth=1
	s_and_saveexec_b32 s5, s3
; %bb.14:                               ;   in Loop: Header=BB57_12 Depth=1
	ds_store_b32 v14, v15
; %bb.15:                               ;   in Loop: Header=BB57_12 Depth=1
	s_or_b32 exec_lo, exec_lo, s5
.LBB57_16:                              ;   in Loop: Header=BB57_12 Depth=1
	s_and_not1_saveexec_b32 s5, s4
	s_cbranch_execz .LBB57_11
; %bb.17:                               ;   in Loop: Header=BB57_12 Depth=1
	global_load_b32 v20, v[8:9], off
	v_cmp_gt_i32_e64 s4, 32, v16
	s_wait_loadcnt 0x0
	v_ashrrev_i32_e32 v21, 31, v20
	s_delay_alu instid0(VALU_DEP_1) | instskip(NEXT) | instid1(VALU_DEP_1)
	v_mul_u64_e32 v[20:21], s[24:25], v[20:21]
	v_lshl_add_u64 v[20:21], v[20:21], 1, v[4:5]
	s_clause 0xb
	global_load_b32 v22, v[20:21], off
	global_load_b32 v23, v[20:21], off offset:128
	global_load_b32 v24, v[20:21], off offset:256
	global_load_b32 v25, v[20:21], off offset:384
	global_load_b32 v26, v[20:21], off offset:512
	global_load_b32 v27, v[20:21], off offset:640
	global_load_b32 v28, v[20:21], off offset:768
	global_load_b32 v29, v[20:21], off offset:896
	global_load_b32 v30, v[20:21], off offset:1024
	global_load_b32 v31, v[20:21], off offset:1152
	global_load_b32 v32, v[20:21], off offset:1280
	global_load_b32 v20, v[20:21], off offset:1408
	ds_load_b32 v33, v11
	s_wait_dscnt 0x0
	s_wait_xcnt 0x0
	v_and_b32_e32 v21, 0xffff, v33
	v_lshrrev_b32_e32 v33, 16, v33
	;;#ASMSTART
	v_cvt_f32_f16 v35, v21;
	;;#ASMEND
	;;#ASMSTART
	v_cvt_f32_f16 v33, v33;
	;;#ASMEND
	s_wait_loadcnt 0xb
	v_and_b32_e32 v34, 0xffff, v22
	v_lshrrev_b32_e32 v22, 16, v22
	;;#ASMSTART
	v_cvt_f32_f16 v34, v34;
	;;#ASMEND
	;;#ASMSTART
	v_cvt_f32_f16 v36, v22;
	;;#ASMEND
	ds_load_b32 v21, v11 offset:4
	s_wait_loadcnt 0xa
	v_and_b32_e32 v37, 0xffff, v23
	v_lshrrev_b32_e32 v23, 16, v23
	s_wait_loadcnt 0x9
	v_and_b32_e32 v40, 0xffff, v24
	v_lshrrev_b32_e32 v24, 16, v24
	;; [unrolled: 3-line block ×4, first 2 shown]
	s_wait_loadcnt 0x6
	v_and_b32_e32 v49, 0xffff, v27
	s_wait_loadcnt 0x5
	v_and_b32_e32 v52, 0xffff, v28
	;; [unrolled: 2-line block ×3, first 2 shown]
	v_and_b32_e32 v55, 0xffff, v29
	v_dual_lshrrev_b32 v27, 16, v27 :: v_dual_lshrrev_b32 v28, 16, v28
	s_wait_loadcnt 0x2
	v_dual_lshrrev_b32 v30, 16, v30 :: v_dual_lshrrev_b32 v60, 16, v31
	v_and_b32_e32 v31, 0xffff, v31
	s_wait_dscnt 0x0
	v_and_b32_e32 v22, 0xffff, v21
	v_lshrrev_b32_e32 v21, 16, v21
	;;#ASMSTART
	v_cvt_f32_f16 v22, v22;
	;;#ASMEND
	;;#ASMSTART
	v_cvt_f32_f16 v38, v21;
	;;#ASMEND
	;; [unrolled: 3-line block ×4, first 2 shown]
	ds_load_b32 v21, v11 offset:8
	v_lshrrev_b32_e32 v29, 16, v29
	s_wait_dscnt 0x0
	v_and_b32_e32 v39, 0xffff, v21
	v_lshrrev_b32_e32 v21, 16, v21
	;;#ASMSTART
	v_cvt_f32_f16 v39, v39;
	;;#ASMEND
	;;#ASMSTART
	v_cvt_f32_f16 v41, v21;
	;;#ASMEND
	;;#ASMSTART
	v_cvt_f32_f16 v40, v40;
	;;#ASMEND
	;;#ASMSTART
	v_cvt_f32_f16 v24, v24;
	;;#ASMEND
	ds_load_b32 v21, v11 offset:12
	s_wait_dscnt 0x0
	v_and_b32_e32 v42, 0xffff, v21
	v_lshrrev_b32_e32 v21, 16, v21
	;;#ASMSTART
	v_cvt_f32_f16 v42, v42;
	;;#ASMEND
	;;#ASMSTART
	v_cvt_f32_f16 v44, v21;
	;;#ASMEND
	;;#ASMSTART
	v_cvt_f32_f16 v43, v43;
	;;#ASMEND
	;;#ASMSTART
	v_cvt_f32_f16 v25, v25;
	;;#ASMEND
	ds_load_b32 v21, v11 offset:16
	;; [unrolled: 16-line block ×7, first 2 shown]
	s_wait_dscnt 0x0
	v_and_b32_e32 v61, 0xffff, v21
	v_lshrrev_b32_e32 v62, 16, v21
	v_mul_f32_e32 v21, v22, v37
	v_mul_f32_e32 v22, v38, v23
	;;#ASMSTART
	v_cvt_f32_f16 v37, v61;
	;;#ASMEND
	s_delay_alu instid0(VALU_DEP_1) | instskip(NEXT) | instid1(VALU_DEP_1)
	v_fmac_f32_e32 v22, v33, v36
	v_dual_fmac_f32 v22, v41, v24 :: v_dual_fmac_f32 v21, v35, v34
	;;#ASMSTART
	v_cvt_f32_f16 v38, v62;
	;;#ASMEND
	;;#ASMSTART
	v_cvt_f32_f16 v31, v31;
	;;#ASMEND
	;; [unrolled: 3-line block ×3, first 2 shown]
	ds_load_b32 v23, v11 offset:40
	v_dual_fmac_f32 v21, v39, v40 :: v_dual_fmac_f32 v22, v44, v25
	s_wait_loadcnt 0x1
	s_delay_alu instid0(VALU_DEP_1) | instskip(NEXT) | instid1(VALU_DEP_1)
	v_dual_fmac_f32 v21, v42, v43 :: v_dual_lshrrev_b32 v24, 16, v32
	v_fmac_f32_e32 v21, v45, v46
	s_wait_dscnt 0x0
	v_and_b32_e32 v25, 0xffff, v23
	v_dual_fmac_f32 v22, v47, v26 :: v_dual_lshrrev_b32 v23, 16, v23
	s_delay_alu instid0(VALU_DEP_3) | instskip(SKIP_2) | instid1(VALU_DEP_2)
	v_fmac_f32_e32 v21, v48, v49
	v_and_b32_e32 v26, 0xffff, v32
	;;#ASMSTART
	v_cvt_f32_f16 v25, v25;
	;;#ASMEND
	v_dual_fmac_f32 v22, v50, v27 :: v_dual_fmac_f32 v21, v51, v52
	;;#ASMSTART
	v_cvt_f32_f16 v27, v23;
	;;#ASMEND
	;;#ASMSTART
	v_cvt_f32_f16 v26, v26;
	;;#ASMEND
	;; [unrolled: 3-line block ×3, first 2 shown]
	ds_load_b32 v23, v11 offset:44
	v_dual_fmac_f32 v22, v53, v28 :: v_dual_fmac_f32 v21, v54, v55
	s_wait_loadcnt 0x0
	v_lshrrev_b32_e32 v28, 16, v20
	v_and_b32_e32 v20, 0xffff, v20
	s_delay_alu instid0(VALU_DEP_3) | instskip(SKIP_2) | instid1(VALU_DEP_3)
	v_dual_fmac_f32 v22, v56, v29 :: v_dual_fmac_f32 v21, v57, v58
	v_cndmask_b32_e64 v24, v7, v16, s4
	v_cmp_gt_i32_e64 s4, 32, v18
	v_dual_fmac_f32 v22, v59, v30 :: v_dual_fmac_f32 v21, v37, v31
	s_delay_alu instid0(VALU_DEP_1) | instskip(SKIP_2) | instid1(VALU_DEP_3)
	v_fmac_f32_e32 v22, v38, v60
	s_wait_dscnt 0x0
	v_and_b32_e32 v29, 0xffff, v23
	v_dual_lshrrev_b32 v23, 16, v23 :: v_dual_fmac_f32 v21, v25, v26
	s_delay_alu instid0(VALU_DEP_3)
	v_fmac_f32_e32 v22, v27, v32
	;;#ASMSTART
	v_cvt_f32_f16 v25, v29;
	;;#ASMEND
	;;#ASMSTART
	v_cvt_f32_f16 v23, v23;
	;;#ASMEND
	;; [unrolled: 3-line block ×4, first 2 shown]
	v_dual_fmac_f32 v21, v25, v20 :: v_dual_fmac_f32 v22, v23, v26
	s_delay_alu instid0(VALU_DEP_1) | instskip(SKIP_3) | instid1(VALU_DEP_1)
	v_dual_add_f32 v21, v21, v22 :: v_dual_lshlrev_b32 v20, 2, v24
	ds_bpermute_b32 v20, v20, v21
	s_wait_dscnt 0x0
	v_dual_cndmask_b32 v22, v7, v18, s4 :: v_dual_add_f32 v20, v21, v20
	v_lshlrev_b32_e32 v21, 2, v22
	ds_bpermute_b32 v21, v21, v20
	s_and_saveexec_b32 s38, s3
	s_cbranch_execz .LBB57_10
; %bb.18:                               ;   in Loop: Header=BB57_12 Depth=1
	s_wait_dscnt 0x0
	v_dual_add_nc_u32 v22, v13, v2 :: v_dual_add_f32 v20, v20, v21
	s_delay_alu instid0(VALU_DEP_1) | instskip(NEXT) | instid1(VALU_DEP_1)
	v_cvt_f32_i32_e32 v22, v22
	v_mul_f32_e32 v22, s35, v22
	s_delay_alu instid0(VALU_DEP_1) | instskip(NEXT) | instid1(VALU_DEP_1)
	v_dual_cndmask_b32 v21, 0, v22 :: v_dual_max_num_f32 v22, v12, v12
	v_dual_fmac_f32 v21, s23, v20 :: v_dual_add_nc_u32 v20, v10, v2
	s_delay_alu instid0(VALU_DEP_1) | instskip(NEXT) | instid1(VALU_DEP_1)
	v_cmp_gt_i32_e64 s4, s31, v20
	v_dual_max_num_f32 v22, v22, v21 :: v_dual_cndmask_b32 v20, 0, v21, s4
	s_delay_alu instid0(VALU_DEP_1)
	v_cndmask_b32_e64 v12, v12, v22, s4
	ds_store_b32 v14, v20
	s_branch .LBB57_10
.LBB57_19:
	s_or_b32 exec_lo, exec_lo, s37
.LBB57_20:
	s_delay_alu instid0(SALU_CYCLE_1)
	s_or_b32 exec_lo, exec_lo, s22
	v_dual_max_num_f32 v5, v12, v12 :: v_dual_bitop2_b32 v2, 16, v7 bitop3:0x14
	s_clause 0x1
	s_load_b64 s[4:5], s[0:1], 0x0
	s_load_b64 s[22:23], s[0:1], 0x18
	v_and_b32_e32 v18, 31, v0
	v_xor_b32_e32 v4, 8, v7
	v_cmp_gt_i32_e32 vcc_lo, 32, v2
	v_cndmask_b32_e32 v2, v7, v2, vcc_lo
	s_delay_alu instid0(VALU_DEP_3) | instskip(NEXT) | instid1(VALU_DEP_2)
	v_cmp_gt_i32_e32 vcc_lo, 32, v4
	v_dual_lshlrev_b32 v2, 2, v2 :: v_dual_cndmask_b32 v4, v7, v4, vcc_lo
	ds_bpermute_b32 v3, v2, v12
	s_wait_dscnt 0x0
	v_dual_max_num_f32 v8, v3, v3 :: v_dual_lshlrev_b32 v3, 2, v4
	s_delay_alu instid0(VALU_DEP_1) | instskip(SKIP_4) | instid1(VALU_DEP_1)
	v_dual_max_num_f32 v4, v5, v8 :: v_dual_bitop2_b32 v8, 4, v7 bitop3:0x14
	ds_bpermute_b32 v5, v3, v4
	v_cmp_gt_i32_e32 vcc_lo, 32, v8
	v_cndmask_b32_e32 v8, v7, v8, vcc_lo
	s_wait_dscnt 0x0
	v_dual_max_num_f32 v5, v5, v5 :: v_dual_lshlrev_b32 v8, 2, v8
	s_delay_alu instid0(VALU_DEP_1)
	v_max_num_f32_e32 v5, v4, v5
	v_lshlrev_b32_e32 v4, 2, v17
	v_cmp_eq_u32_e32 vcc_lo, 0, v18
	ds_bpermute_b32 v9, v8, v5
	s_wait_xcnt 0x0
	s_and_saveexec_b32 s0, vcc_lo
	s_cbranch_execz .LBB57_22
; %bb.21:
	s_wait_dscnt 0x0
	v_max_num_f32_e32 v9, v9, v9
	v_max_num_f32_e32 v5, v5, v5
	s_delay_alu instid0(VALU_DEP_1)
	v_max_num_f32_e32 v5, v5, v9
	ds_store_b32 v4, v5 offset:192
.LBB57_22:
	s_or_b32 exec_lo, exec_lo, s0
	v_cmp_gt_u32_e64 s0, 4, v18
	v_dual_mov_b32 v10, 0xff7fffff :: v_dual_lshlrev_b32 v5, 2, v18
	s_wait_dscnt 0x0
	s_barrier_signal -1
	s_barrier_wait -1
	s_and_saveexec_b32 s1, s0
; %bb.23:
	ds_load_b32 v10, v5 offset:192
; %bb.24:
	s_or_b32 exec_lo, exec_lo, s1
	v_xor_b32_e32 v9, 2, v7
	v_xor_b32_e32 v12, 1, v7
	s_delay_alu instid0(VALU_DEP_2) | instskip(NEXT) | instid1(VALU_DEP_1)
	v_cmp_gt_i32_e64 s1, 32, v9
	v_cndmask_b32_e64 v9, v7, v9, s1
	s_delay_alu instid0(VALU_DEP_3) | instskip(NEXT) | instid1(VALU_DEP_1)
	v_cmp_gt_i32_e64 s1, 32, v12
	v_dual_lshlrev_b32 v9, 2, v9 :: v_dual_cndmask_b32 v7, v7, v12, s1
	s_lshl_b32 s1, s34, 3
	s_delay_alu instid0(SALU_CYCLE_1)
	s_min_i32 s15, s1, s31
	s_wait_dscnt 0x0
	ds_bpermute_b32 v11, v9, v10
	v_max_num_f32_e32 v10, v10, v10
	v_cmp_gt_i32_e64 s1, s15, v0
	v_lshlrev_b32_e32 v7, 2, v7
	s_wait_dscnt 0x0
	v_max_num_f32_e32 v11, v11, v11
	s_delay_alu instid0(VALU_DEP_1) | instskip(SKIP_3) | instid1(VALU_DEP_1)
	v_max_num_f32_e32 v10, v10, v11
	ds_bpermute_b32 v11, v7, v10
	s_wait_dscnt 0x0
	v_max_num_f32_e32 v11, v11, v11
	v_dual_max_num_f32 v11, v10, v11 :: v_dual_mov_b32 v10, 0
	ds_bpermute_b32 v11, v10, v11
	s_and_saveexec_b32 s24, s1
	s_cbranch_execz .LBB57_28
; %bb.25:
	v_lshl_add_u32 v12, v0, 2, 0xe0
	v_dual_mov_b32 v10, 0 :: v_dual_mov_b32 v13, v0
	s_mov_b32 s25, 0
.LBB57_26:                              ; =>This Inner Loop Header: Depth=1
	ds_load_b32 v14, v12
	v_add_nc_u32_e32 v13, 0x80, v13
	s_delay_alu instid0(VALU_DEP_1) | instskip(SKIP_3) | instid1(VALU_DEP_1)
	v_cmp_le_i32_e64 s3, s15, v13
	s_or_b32 s25, s3, s25
	s_wait_dscnt 0x0
	v_sub_f32_e32 v14, v14, v11
	v_mul_f32_e32 v14, 0x3fb8aa3b, v14
	s_delay_alu instid0(VALU_DEP_1)
	v_exp_f32_e32 v14, v14
	ds_store_b32 v12, v14
	v_nop
	v_add_f32_e32 v10, v10, v14
	v_add_nc_u32_e32 v12, 0x200, v12
	s_and_not1_b32 exec_lo, exec_lo, s25
	s_cbranch_execnz .LBB57_26
; %bb.27:
	s_or_b32 exec_lo, exec_lo, s25
.LBB57_28:
	s_delay_alu instid0(SALU_CYCLE_1)
	s_or_b32 exec_lo, exec_lo, s24
	ds_bpermute_b32 v2, v2, v10
	s_wait_dscnt 0x0
	v_add_f32_e32 v2, v10, v2
	ds_bpermute_b32 v3, v3, v2
	s_wait_dscnt 0x0
	v_add_f32_e32 v2, v2, v3
	;; [unrolled: 3-line block ×5, first 2 shown]
	s_and_saveexec_b32 s3, vcc_lo
; %bb.29:
	ds_store_b32 v4, v2 offset:208
; %bb.30:
	s_or_b32 exec_lo, exec_lo, s3
	s_wait_dscnt 0x0
	s_barrier_signal -1
	s_barrier_wait -1
	s_and_saveexec_b32 s3, s0
; %bb.31:
	ds_load_b32 v2, v5 offset:208
; %bb.32:
	s_or_b32 exec_lo, exec_lo, s3
	s_wait_dscnt 0x0
	ds_bpermute_b32 v3, v9, v2
	s_wait_dscnt 0x0
	v_dual_mov_b32 v29, 0 :: v_dual_add_f32 v2, v2, v3
	ds_bpermute_b32 v3, v7, v2
	s_wait_dscnt 0x0
	v_add_f32_e32 v2, v2, v3
	ds_bpermute_b32 v2, v29, v2
	s_and_saveexec_b32 s0, s1
	s_cbranch_execz .LBB57_45
; %bb.33:
	s_wait_dscnt 0x0
	v_add_f32_e32 v2, 0x358637bd, v2
	s_mov_b32 s3, -1
	s_mov_b32 s1, exec_lo
	s_delay_alu instid0(VALU_DEP_1) | instskip(NEXT) | instid1(VALU_DEP_1)
	v_div_scale_f32 v3, null, v2, v2, 1.0
	v_rcp_f32_e32 v5, v3
	v_nop
	s_delay_alu instid0(TRANS32_DEP_1) | instskip(NEXT) | instid1(VALU_DEP_1)
	v_fma_f32 v4, -v3, v5, 1.0
	v_fmac_f32_e32 v5, v4, v5
	v_div_scale_f32 v7, vcc_lo, 1.0, v2, 1.0
	s_delay_alu instid0(VALU_DEP_1) | instskip(NEXT) | instid1(VALU_DEP_1)
	v_mul_f32_e32 v8, v7, v5
	v_fma_f32 v4, -v3, v8, v7
	s_delay_alu instid0(VALU_DEP_1) | instskip(SKIP_1) | instid1(VALU_DEP_2)
	v_fmac_f32_e32 v8, v4, v5
	v_xad_u32 v4, v0, -1, s15
	v_fma_f32 v3, -v3, v8, v7
	s_delay_alu instid0(VALU_DEP_1) | instskip(NEXT) | instid1(VALU_DEP_1)
	v_div_fmas_f32 v3, v3, v5, v8
	v_div_fixup_f32 v2, v3, v2, 1.0
	v_mov_b32_e32 v3, v0
	v_cmpx_lt_u32_e32 0x7f, v4
	s_cbranch_execz .LBB57_42
; %bb.34:
	s_delay_alu instid0(VALU_DEP_3) | instskip(NEXT) | instid1(VALU_DEP_1)
	v_dual_mov_b32 v3, v2 :: v_dual_lshrrev_b32 v4, 7, v4
	v_dual_mov_b32 v9, 0 :: v_dual_add_nc_u32 v5, -1, v4
	s_delay_alu instid0(VALU_DEP_1) | instskip(SKIP_1) | instid1(VALU_DEP_2)
	v_lshrrev_b32_e32 v7, 1, v5
	v_cmp_lt_u32_e32 vcc_lo, 13, v5
	v_add_nc_u32_e32 v5, 1, v7
	s_and_saveexec_b32 s3, vcc_lo
	s_cbranch_execz .LBB57_38
; %bb.35:
	s_delay_alu instid0(VALU_DEP_1)
	v_and_b32_e32 v7, -8, v5
	v_lshl_add_u32 v8, v0, 2, 0xe0
	s_mov_b32 s24, 0
	s_mov_b32 s25, 0
.LBB57_36:                              ; =>This Inner Loop Header: Depth=1
	ds_load_2addr_stride64_b32 v[10:11], v8 offset1:2
	ds_load_2addr_stride64_b32 v[12:13], v8 offset0:4 offset1:6
	ds_load_2addr_stride64_b32 v[14:15], v8 offset0:8 offset1:10
	;; [unrolled: 1-line block ×7, first 2 shown]
	s_add_co_i32 s25, s25, 16
	s_delay_alu instid0(SALU_CYCLE_1) | instskip(NEXT) | instid1(VALU_DEP_1)
	v_dual_add_nc_u32 v7, -8, v7 :: v_dual_mov_b32 v9, s25
	v_cmp_eq_u32_e32 vcc_lo, 0, v7
	s_or_b32 s24, vcc_lo, s24
	s_wait_dscnt 0x7
	v_pk_mul_f32 v[10:11], v[2:3], v[10:11]
	s_wait_dscnt 0x6
	v_pk_mul_f32 v[12:13], v[2:3], v[12:13]
	;; [unrolled: 2-line block ×8, first 2 shown]
	ds_store_2addr_stride64_b32 v8, v10, v11 offset1:2
	ds_store_2addr_stride64_b32 v8, v12, v13 offset0:4 offset1:6
	ds_store_2addr_stride64_b32 v8, v14, v15 offset0:8 offset1:10
	;; [unrolled: 1-line block ×7, first 2 shown]
	v_add_nc_u32_e32 v8, 0x2000, v8
	s_and_not1_b32 exec_lo, exec_lo, s24
	s_cbranch_execnz .LBB57_36
; %bb.37:
	s_or_b32 exec_lo, exec_lo, s24
.LBB57_38:
	s_delay_alu instid0(SALU_CYCLE_1) | instskip(NEXT) | instid1(VALU_DEP_1)
	s_or_b32 exec_lo, exec_lo, s3
	v_and_b32_e32 v5, 7, v5
	s_mov_b32 s24, 0
	s_mov_b32 s3, exec_lo
	s_delay_alu instid0(VALU_DEP_1)
	v_cmpx_ne_u32_e32 0, v5
	s_cbranch_execz .LBB57_41
; %bb.39:
	v_dual_lshlrev_b32 v7, 9, v9 :: v_dual_lshlrev_b32 v8, 2, v0
	s_delay_alu instid0(VALU_DEP_1)
	v_add3_u32 v7, v7, v8, 0xe0
.LBB57_40:                              ; =>This Inner Loop Header: Depth=1
	ds_load_2addr_stride64_b32 v[8:9], v7 offset1:2
	v_add_nc_u32_e32 v5, -1, v5
	s_delay_alu instid0(VALU_DEP_1)
	v_cmp_eq_u32_e32 vcc_lo, 0, v5
	s_or_b32 s24, vcc_lo, s24
	s_wait_dscnt 0x0
	v_pk_mul_f32 v[8:9], v[2:3], v[8:9]
	ds_store_2addr_stride64_b32 v7, v8, v9 offset1:2
	v_add_nc_u32_e32 v7, 0x400, v7
	s_and_not1_b32 exec_lo, exec_lo, s24
	s_cbranch_execnz .LBB57_40
.LBB57_41:
	s_or_b32 exec_lo, exec_lo, s3
	v_add_nc_u32_e32 v3, 1, v4
	s_delay_alu instid0(VALU_DEP_1) | instskip(NEXT) | instid1(VALU_DEP_1)
	v_and_b32_e32 v4, 0x3fffffe, v3
	v_cmp_ne_u32_e32 vcc_lo, v3, v4
	v_lshl_add_u32 v3, v4, 7, v0
	s_or_not1_b32 s3, vcc_lo, exec_lo
.LBB57_42:
	s_or_b32 exec_lo, exec_lo, s1
	s_delay_alu instid0(SALU_CYCLE_1)
	s_and_b32 exec_lo, exec_lo, s3
	s_cbranch_execz .LBB57_45
; %bb.43:
	v_lshl_add_u32 v4, v3, 2, 0xe0
	s_mov_b32 s1, 0
.LBB57_44:                              ; =>This Inner Loop Header: Depth=1
	ds_load_b32 v5, v4
	v_add_nc_u32_e32 v3, 0x80, v3
	s_delay_alu instid0(VALU_DEP_1)
	v_cmp_le_i32_e32 vcc_lo, s15, v3
	s_or_b32 s1, vcc_lo, s1
	s_wait_dscnt 0x0
	v_mul_f32_e32 v5, v2, v5
	ds_store_b32 v4, v5
	v_add_nc_u32_e32 v4, 0x200, v4
	s_and_not1_b32 exec_lo, exec_lo, s1
	s_cbranch_execnz .LBB57_44
.LBB57_45:
	s_or_b32 exec_lo, exec_lo, s0
	v_mov_b64_e32 v[8:9], 0
	s_wait_dscnt 0x0
	s_barrier_signal -1
	s_barrier_wait -1
	s_and_saveexec_b32 s1, s2
	s_cbranch_execz .LBB57_57
; %bb.46:
	s_abs_i32 s10, s10
	v_dual_mov_b32 v7, 0 :: v_dual_lshlrev_b32 v2, 4, v18
	s_cvt_f32_u32 s0, s10
	s_ashr_i32 s15, s14, 31
	v_and_b32_e32 v4, 0x7c, v1
	s_lshl_b64 s[20:21], s[20:21], 2
	v_rcp_iflag_f32_e32 v3, s0
	s_lshl_b64 s[14:15], s[14:15], 1
	s_add_nc_u64 s[18:19], s[18:19], s[20:21]
	s_wait_kmcnt 0x0
	s_add_nc_u64 s[14:15], s[22:23], s[14:15]
	s_sub_co_i32 s24, s8, s9
	s_sub_co_i32 s8, 0, s10
	v_mov_b32_e32 v5, v7
	v_readfirstlane_b32 s0, v3
	v_mov_b32_e32 v3, v7
	v_mov_b64_e32 v[8:9], 0
	v_lshl_add_u32 v19, v17, 5, 0xe0
	v_add_nc_u64_e32 v[12:13], s[18:19], v[4:5]
	s_mul_f32 s0, s0, 0x4f7ffffe
	v_add_nc_u64_e32 v[10:11], s[14:15], v[2:3]
	v_dual_mov_b32 v29, v7 :: v_dual_mov_b32 v20, v17
	s_delay_alu instid0(SALU_CYCLE_1)
	s_cvt_u32_f32 s0, s0
	s_mov_b32 s9, 0
	s_ashr_i32 s3, s13, 31
	s_mov_b32 s2, s13
	s_mul_i32 s8, s8, s0
	s_add_co_i32 s13, s34, -1
	s_mul_hi_u32 s8, s0, s8
	s_mov_b32 s14, s31
	s_add_co_i32 s8, s0, s8
	s_mov_b32 s15, s9
	s_branch .LBB57_49
.LBB57_47:                              ;   in Loop: Header=BB57_49 Depth=1
	s_or_b32 exec_lo, exec_lo, s0
	v_dual_lshlrev_b32 v14, 16, v14 :: v_dual_lshlrev_b32 v1, 16, v1
	s_delay_alu instid0(VALU_DEP_2) | instskip(NEXT) | instid1(VALU_DEP_2)
	v_lshlrev_b32_e32 v15, 16, v15
	v_and_or_b32 v2, 0xffff, v2, v14
	s_delay_alu instid0(VALU_DEP_3) | instskip(NEXT) | instid1(VALU_DEP_3)
	v_and_or_b32 v1, 0xffff, v3, v1
	v_and_or_b32 v3, 0xffff, v4, v15
	;;#ASMSTART
	v_pk_mul_f16 v2, v31, v2;

	;;#ASMEND
	;;#ASMSTART
	v_pk_mul_f16 v1, v30, v1;

	;;#ASMEND
	;; [unrolled: 4-line block ×4, first 2 shown]
	;;#ASMSTART
	v_pk_add_f16 v1, v2, v1;

	;;#ASMEND
	;;#ASMSTART
	v_pk_add_f16 v1, v1, v3;

	;;#ASMEND
	;; [unrolled: 4-line block ×3, first 2 shown]
	v_and_b32_e32 v3, 0xffff, v1
	v_lshrrev_b32_e32 v4, 16, v1
	;;#ASMSTART
	v_cvt_f32_f16 v3, v3;
	;;#ASMEND
	v_dual_add_f32 v1, v16, v28 :: v_dual_add_f32 v2, v34, v35
	;;#ASMSTART
	v_cvt_f32_f16 v4, v4;
	;;#ASMEND
	s_delay_alu instid0(VALU_DEP_1) | instskip(NEXT) | instid1(VALU_DEP_1)
	v_dual_add_f32 v3, v3, v4 :: v_dual_add_f32 v9, v9, v1
	v_dual_add_f32 v8, v8, v2 :: v_dual_add_f32 v29, v29, v3
.LBB57_48:                              ;   in Loop: Header=BB57_49 Depth=1
	s_or_b32 exec_lo, exec_lo, s18
	v_dual_add_nc_u32 v20, 4, v20 :: v_dual_add_nc_u32 v6, 32, v6
	v_add_nc_u64_e32 v[12:13], 16, v[12:13]
	v_add_nc_u32_e32 v19, 0x80, v19
	s_delay_alu instid0(VALU_DEP_3) | instskip(SKIP_1) | instid1(SALU_CYCLE_1)
	v_cmp_le_i32_e32 vcc_lo, s34, v20
	s_or_b32 s15, vcc_lo, s15
	s_and_not1_b32 exec_lo, exec_lo, s15
	s_cbranch_execz .LBB57_56
.LBB57_49:                              ; =>This Inner Loop Header: Depth=1
	v_mul_u64_e32 v[2:3], s[16:17], v[6:7]
	s_delay_alu instid0(VALU_DEP_1) | instskip(NEXT) | instid1(VALU_DEP_1)
	v_mul_lo_u32 v1, v3, s12
	v_dual_add_nc_u32 v2, 1, v3 :: v_dual_sub_nc_u32 v1, v6, v1
	s_delay_alu instid0(VALU_DEP_1) | instskip(SKIP_1) | instid1(VALU_DEP_2)
	v_subrev_nc_u32_e32 v4, s12, v1
	v_cmp_le_u32_e32 vcc_lo, s12, v1
	v_dual_cndmask_b32 v2, v3, v2 :: v_dual_cndmask_b32 v1, v1, v4
	s_delay_alu instid0(VALU_DEP_1) | instskip(NEXT) | instid1(VALU_DEP_2)
	v_add_nc_u32_e32 v3, 1, v2
	v_cmp_le_u32_e32 vcc_lo, s12, v1
	s_delay_alu instid0(VALU_DEP_2) | instskip(NEXT) | instid1(VALU_DEP_1)
	v_dual_cndmask_b32 v1, v2, v3, vcc_lo :: v_dual_mov_b32 v3, v7
	v_xor_b32_e32 v1, s11, v1
	s_delay_alu instid0(VALU_DEP_1) | instskip(NEXT) | instid1(VALU_DEP_1)
	v_subrev_nc_u32_e32 v1, s11, v1
	v_add_nc_u32_e32 v14, s33, v1
	v_cmp_lt_i32_e64 s0, s24, v1
	s_delay_alu instid0(VALU_DEP_2) | instskip(NEXT) | instid1(VALU_DEP_1)
	v_sub_nc_u32_e32 v2, 0, v14
	v_max_i32_e32 v2, v14, v2
	s_delay_alu instid0(VALU_DEP_1) | instskip(SKIP_1) | instid1(VALU_DEP_2)
	v_mul_u64_e32 v[4:5], s[8:9], v[2:3]
	v_ashrrev_i32_e32 v4, 31, v14
	v_mul_lo_u32 v3, v5, s10
	s_delay_alu instid0(VALU_DEP_1) | instskip(NEXT) | instid1(VALU_DEP_1)
	v_sub_nc_u32_e32 v2, v2, v3
	v_subrev_nc_u32_e32 v3, s10, v2
	v_cmp_le_u32_e32 vcc_lo, s10, v2
	s_delay_alu instid0(VALU_DEP_2) | instskip(NEXT) | instid1(VALU_DEP_1)
	v_cndmask_b32_e32 v2, v2, v3, vcc_lo
	v_subrev_nc_u32_e32 v3, s10, v2
	v_cmp_le_u32_e32 vcc_lo, s10, v2
	s_delay_alu instid0(VALU_DEP_2) | instskip(NEXT) | instid1(VALU_DEP_1)
	v_cndmask_b32_e32 v2, v2, v3, vcc_lo
	v_xor_b32_e32 v2, v2, v4
	s_delay_alu instid0(VALU_DEP_1) | instskip(NEXT) | instid1(VALU_DEP_1)
	v_sub_nc_u32_e32 v2, v2, v4
	v_cmp_eq_u32_e32 vcc_lo, 0, v2
	s_or_b32 s0, vcc_lo, s0
	s_delay_alu instid0(SALU_CYCLE_1)
	s_and_saveexec_b32 s18, s0
	s_cbranch_execz .LBB57_48
; %bb.50:                               ;   in Loop: Header=BB57_49 Depth=1
	global_load_b32 v2, v[12:13], off
	v_cmp_eq_u32_e32 vcc_lo, s13, v20
	v_dual_add_nc_u32 v26, 2, v6 :: v_dual_add_nc_u32 v21, 5, v6
	v_or_b32_e32 v27, 3, v6
	s_wait_loadcnt 0x0
	v_ashrrev_i32_e32 v3, 31, v2
	s_delay_alu instid0(VALU_DEP_1)
	v_mul_u64_e32 v[14:15], s[2:3], v[2:3]
	ds_load_2addr_b64 v[2:5], v19 offset1:1
	ds_load_2addr_b64 v[22:25], v19 offset0:2 offset1:3
	s_wait_dscnt 0x1
	;;#ASMSTART
	v_cvt_f16_f32 v31, v2;

	;;#ASMEND
	;;#ASMSTART
	v_cvt_f16_f32 v30, v3;

	;;#ASMEND
	;; [unrolled: 4-line block ×4, first 2 shown]
	s_wait_dscnt 0x0
	;;#ASMSTART
	v_cvt_f16_f32 v37, v22;

	;;#ASMEND
	;;#ASMSTART
	v_cvt_f16_f32 v32, v23;

	;;#ASMEND
	;; [unrolled: 4-line block ×4, first 2 shown]
	v_dual_add_nc_u32 v22, 4, v6 :: v_dual_add_nc_u32 v24, 6, v6
	v_dual_add_nc_u32 v23, 7, v6 :: v_dual_bitop2_b32 v25, 1, v6 bitop3:0x54
	v_lshl_add_u64 v[14:15], v[14:15], 1, v[10:11]
	global_load_b128 v[2:5], v[14:15], off
	s_wait_loadcnt 0x0
	v_dual_lshrrev_b32 v1, 16, v3 :: v_dual_lshrrev_b32 v28, 16, v4
	v_lshrrev_b32_e32 v16, 16, v2
	s_and_saveexec_b32 s19, vcc_lo
	s_cbranch_execz .LBB57_52
; %bb.51:                               ;   in Loop: Header=BB57_49 Depth=1
	v_cmp_gt_i32_e64 s0, s31, v6
	v_and_b32_e32 v38, 0xffff, v5
	v_and_b32_e32 v5, 0xffff0000, v5
	s_delay_alu instid0(VALU_DEP_3) | instskip(SKIP_1) | instid1(VALU_DEP_1)
	v_cndmask_b32_e64 v2, 0, v2, s0
	v_cmp_gt_i32_e64 s0, s31, v26
	v_cndmask_b32_e64 v3, 0, v3, s0
	v_cmp_gt_i32_e64 s0, s14, v27
	s_delay_alu instid0(VALU_DEP_1) | instskip(SKIP_1) | instid1(VALU_DEP_1)
	v_cndmask_b32_e64 v1, 0, v1, s0
	v_cmp_gt_i32_e64 s0, s31, v25
	v_cndmask_b32_e64 v16, 0, v16, s0
	v_cmp_gt_i32_e64 s0, s31, v24
	s_delay_alu instid0(VALU_DEP_1) | instskip(SKIP_1) | instid1(VALU_DEP_1)
	;; [unrolled: 5-line block ×3, first 2 shown]
	v_dual_cndmask_b32 v4, 0, v4, s0 :: v_dual_bitop2_b32 v5, v38, v5 bitop3:0x54
	v_cmp_gt_i32_e64 s0, s31, v21
	v_cndmask_b32_e64 v28, 0, v28, s0
.LBB57_52:                              ;   in Loop: Header=BB57_49 Depth=1
	s_or_b32 exec_lo, exec_lo, s19
	v_and_b32_e32 v31, 0xffff, v31
	v_and_b32_e32 v36, 0xffff, v36
	v_dual_lshlrev_b32 v16, 16, v16 :: v_dual_lshlrev_b32 v1, 16, v1
	v_lshlrev_b32_e32 v28, 16, v28
	v_and_b32_e32 v37, 0xffff, v37
	v_lshl_or_b32 v31, v30, 16, v31
	v_lshl_or_b32 v30, v34, 16, v36
	v_and_b32_e32 v34, 0xffff, v35
	v_and_or_b32 v2, 0xffff, v2, v16
	v_and_or_b32 v1, 0xffff, v3, v1
	;; [unrolled: 1-line block ×3, first 2 shown]
	;;#ASMSTART
	v_pk_mul_f16 v2, v31, v2;

	;;#ASMEND
	;;#ASMSTART
	v_pk_mul_f16 v1, v30, v1;

	;;#ASMEND
	v_lshl_or_b32 v32, v32, 16, v37
	v_lshl_or_b32 v33, v33, 16, v34
	;;#ASMSTART
	v_pk_mul_f16 v3, v32, v3;

	;;#ASMEND
	;;#ASMSTART
	v_pk_mul_f16 v4, v33, v5;

	;;#ASMEND
	;;#ASMSTART
	v_pk_add_f16 v1, v2, v1;

	;;#ASMEND
	;;#ASMSTART
	v_pk_add_f16 v1, v1, v3;
	;; [unrolled: 4-line block ×3, first 2 shown]

	;;#ASMEND
	v_and_b32_e32 v2, 0xffff, v1
	v_lshrrev_b32_e32 v1, 16, v1
	;;#ASMSTART
	v_cvt_f32_f16 v34, v2;
	;;#ASMEND
	;;#ASMSTART
	v_cvt_f32_f16 v35, v1;
	;;#ASMEND
	global_load_b128 v[2:5], v[14:15], off offset:512
	s_wait_loadcnt 0x0
	v_dual_lshrrev_b32 v1, 16, v3 :: v_dual_lshrrev_b32 v16, 16, v2
	v_lshrrev_b32_e32 v28, 16, v4
	s_and_saveexec_b32 s19, vcc_lo
	s_cbranch_execz .LBB57_54
; %bb.53:                               ;   in Loop: Header=BB57_49 Depth=1
	v_cmp_gt_i32_e64 s0, s31, v6
	v_and_b32_e32 v36, 0xffff, v5
	v_and_b32_e32 v5, 0xffff0000, v5
	s_delay_alu instid0(VALU_DEP_3) | instskip(SKIP_1) | instid1(VALU_DEP_1)
	v_cndmask_b32_e64 v2, 0, v2, s0
	v_cmp_gt_i32_e64 s0, s31, v26
	v_cndmask_b32_e64 v3, 0, v3, s0
	v_cmp_gt_i32_e64 s0, s14, v27
	s_delay_alu instid0(VALU_DEP_1) | instskip(SKIP_1) | instid1(VALU_DEP_1)
	v_cndmask_b32_e64 v1, 0, v1, s0
	v_cmp_gt_i32_e64 s0, s31, v25
	v_cndmask_b32_e64 v16, 0, v16, s0
	v_cmp_gt_i32_e64 s0, s31, v24
	s_delay_alu instid0(VALU_DEP_1) | instskip(SKIP_1) | instid1(VALU_DEP_1)
	;; [unrolled: 5-line block ×3, first 2 shown]
	v_dual_cndmask_b32 v4, 0, v4, s0 :: v_dual_bitop2_b32 v5, v36, v5 bitop3:0x54
	v_cmp_gt_i32_e64 s0, s31, v21
	v_cndmask_b32_e64 v28, 0, v28, s0
.LBB57_54:                              ;   in Loop: Header=BB57_49 Depth=1
	s_or_b32 exec_lo, exec_lo, s19
	v_dual_lshlrev_b32 v16, 16, v16 :: v_dual_lshlrev_b32 v1, 16, v1
	s_delay_alu instid0(VALU_DEP_2) | instskip(NEXT) | instid1(VALU_DEP_2)
	v_lshlrev_b32_e32 v28, 16, v28
	v_and_or_b32 v2, 0xffff, v2, v16
	s_delay_alu instid0(VALU_DEP_3) | instskip(NEXT) | instid1(VALU_DEP_3)
	v_and_or_b32 v1, 0xffff, v3, v1
	v_and_or_b32 v3, 0xffff, v4, v28
	;;#ASMSTART
	v_pk_mul_f16 v2, v31, v2;

	;;#ASMEND
	;;#ASMSTART
	v_pk_mul_f16 v1, v30, v1;

	;;#ASMEND
	;; [unrolled: 4-line block ×4, first 2 shown]
	;;#ASMSTART
	v_pk_add_f16 v1, v2, v1;

	;;#ASMEND
	;;#ASMSTART
	v_pk_add_f16 v1, v1, v3;

	;;#ASMEND
	;;#ASMSTART
	v_pk_add_f16 v1, v1, v4;

	;;#ASMEND
	v_and_b32_e32 v2, 0xffff, v1
	v_lshrrev_b32_e32 v1, 16, v1
	;;#ASMSTART
	v_cvt_f32_f16 v16, v2;
	;;#ASMEND
	;;#ASMSTART
	v_cvt_f32_f16 v28, v1;
	;;#ASMEND
	global_load_b128 v[2:5], v[14:15], off offset:1024
	s_wait_loadcnt 0x0
	v_dual_lshrrev_b32 v1, 16, v3 :: v_dual_lshrrev_b32 v14, 16, v2
	v_lshrrev_b32_e32 v15, 16, v4
	s_and_saveexec_b32 s0, vcc_lo
	s_cbranch_execz .LBB57_47
; %bb.55:                               ;   in Loop: Header=BB57_49 Depth=1
	v_cmp_gt_i32_e32 vcc_lo, s31, v6
	v_cndmask_b32_e32 v2, 0, v2, vcc_lo
	v_cmp_gt_i32_e32 vcc_lo, s31, v26
	v_and_b32_e32 v26, 0xffff, v5
	v_and_b32_e32 v5, 0xffff0000, v5
	v_cndmask_b32_e32 v3, 0, v3, vcc_lo
	v_cmp_gt_i32_e32 vcc_lo, s14, v27
	v_cndmask_b32_e32 v1, 0, v1, vcc_lo
	v_cmp_gt_i32_e32 vcc_lo, s31, v25
	;; [unrolled: 2-line block ×5, first 2 shown]
	s_delay_alu instid0(VALU_DEP_2)
	v_dual_cndmask_b32 v4, 0, v4, vcc_lo :: v_dual_bitop2_b32 v5, v24, v5 bitop3:0x54
	v_cmp_gt_i32_e32 vcc_lo, s31, v21
	v_cndmask_b32_e32 v15, 0, v15, vcc_lo
	s_branch .LBB57_47
.LBB57_56:
	s_or_b32 exec_lo, exec_lo, s15
.LBB57_57:
	s_delay_alu instid0(SALU_CYCLE_1) | instskip(SKIP_4) | instid1(VALU_DEP_2)
	s_or_b32 exec_lo, exec_lo, s1
	v_lshl_add_u32 v2, v18, 2, 0xe0
	v_and_b32_e32 v3, 0x3c0, v0
	s_mov_b32 s0, exec_lo
	s_barrier_signal -1
	v_mad_u32_u24 v1, 0x180, v17, v2
	s_barrier_wait -1
	v_cmpx_eq_u32_e32 64, v3
	s_cbranch_execz .LBB57_59
; %bb.58:
	s_delay_alu instid0(VALU_DEP_2)
	v_add_nc_u32_e32 v3, 0xfffffd00, v1
	v_add_nc_u32_e32 v4, 0xfffffd80, v1
	;; [unrolled: 1-line block ×3, first 2 shown]
	ds_store_b32 v3, v8
	ds_store_b32 v4, v9
	;; [unrolled: 1-line block ×3, first 2 shown]
.LBB57_59:
	s_or_b32 exec_lo, exec_lo, s0
	s_delay_alu instid0(SALU_CYCLE_1)
	s_mov_b32 s0, exec_lo
	s_wait_dscnt 0x0
	s_barrier_signal -1
	s_barrier_wait -1
	v_cmpx_gt_u32_e32 64, v0
	s_cbranch_execz .LBB57_61
; %bb.60:
	ds_load_2addr_b32 v[4:5], v1 offset1:32
	ds_load_b32 v3, v1 offset:256
	s_wait_dscnt 0x1
	v_pk_add_f32 v[8:9], v[8:9], v[4:5]
	s_wait_dscnt 0x0
	v_add_f32_e32 v29, v29, v3
.LBB57_61:
	s_or_b32 exec_lo, exec_lo, s0
	v_and_b32_e32 v3, 0x3e0, v0
	s_mov_b32 s0, exec_lo
	s_barrier_signal -1
	s_barrier_wait -1
	s_delay_alu instid0(VALU_DEP_1)
	v_cmpx_eq_u32_e32 32, v3
	s_cbranch_execz .LBB57_63
; %bb.62:
	ds_store_2addr_b32 v2, v8, v9 offset1:32
	ds_store_b32 v2, v29 offset:256
.LBB57_63:
	s_or_b32 exec_lo, exec_lo, s0
	v_cmp_gt_u32_e32 vcc_lo, 32, v0
	s_wait_dscnt 0x0
	s_barrier_signal -1
	s_barrier_wait -1
	s_and_saveexec_b32 s0, vcc_lo
	s_cbranch_execz .LBB57_65
; %bb.64:
	ds_load_2addr_b32 v[2:3], v1 offset1:32
	ds_load_b32 v1, v1 offset:256
	s_wait_dscnt 0x1
	v_pk_add_f32 v[8:9], v[8:9], v[2:3]
	s_wait_dscnt 0x0
	v_add_f32_e32 v29, v29, v1
.LBB57_65:
	s_or_b32 exec_lo, exec_lo, s0
	s_barrier_signal -1
	s_barrier_wait -1
	s_and_saveexec_b32 s0, vcc_lo
	s_cbranch_execz .LBB57_67
; %bb.66:
	s_mul_i32 s1, s30, s7
	s_mul_i32 s0, s7, s6
	;; [unrolled: 1-line block ×3, first 2 shown]
	s_bfe_u32 s7, ttmp6, 0x40014
	s_mul_i32 s2, s1, 0x60
	s_lshr_b32 s6, ttmp7, 16
	s_ashr_i32 s3, s2, 31
	s_add_co_i32 s7, s7, 1
	s_lshl_b64 s[2:3], s[2:3], 1
	s_ashr_i32 s1, s0, 31
	s_wait_kmcnt 0x0
	s_add_nc_u64 s[2:3], s[4:5], s[2:3]
	s_mul_i32 s4, s6, s7
	s_bfe_u32 s5, ttmp6, 0x40008
	s_lshl_b64 s[0:1], s[0:1], 1
	s_add_co_i32 s5, s5, s4
	s_cmp_eq_u32 s28, 0
	s_add_nc_u64 s[0:1], s[2:3], s[0:1]
	s_cselect_b32 s2, s6, s5
	s_mov_b32 s3, 0
	s_mulk_i32 s2, 0xc0
	;;#ASMSTART
	v_cvt_f16_f32 v1, v8;

	;;#ASMEND
	s_add_nc_u64 s[0:1], s[0:1], s[2:3]
	global_store_b16 v0, v1, s[0:1] scale_offset
	s_wait_xcnt 0x0
	;;#ASMSTART
	v_cvt_f16_f32 v1, v9;

	;;#ASMEND
	global_store_b16 v0, v1, s[0:1] offset:64 scale_offset
	s_wait_xcnt 0x0
	;;#ASMSTART
	v_cvt_f16_f32 v1, v29;

	;;#ASMEND
	global_store_b16 v0, v1, s[0:1] offset:128 scale_offset
.LBB57_67:
	s_endpgm
	.section	.rodata,"a",@progbits
	.p2align	6, 0x0
	.amdhsa_kernel _ZN4vllm25paged_attention_v1_kernelIttLi96ELi8ELi128ELNS_18Fp8KVCacheDataTypeE0ELb1EEEvPT_PKS2_PKT0_S8_ifPKiSA_iPKfiiiSC_SC_iiiii
		.amdhsa_group_segment_fixed_size 224
		.amdhsa_private_segment_fixed_size 0
		.amdhsa_kernarg_size 384
		.amdhsa_user_sgpr_count 2
		.amdhsa_user_sgpr_dispatch_ptr 0
		.amdhsa_user_sgpr_queue_ptr 0
		.amdhsa_user_sgpr_kernarg_segment_ptr 1
		.amdhsa_user_sgpr_dispatch_id 0
		.amdhsa_user_sgpr_kernarg_preload_length 0
		.amdhsa_user_sgpr_kernarg_preload_offset 0
		.amdhsa_user_sgpr_private_segment_size 0
		.amdhsa_wavefront_size32 1
		.amdhsa_uses_dynamic_stack 0
		.amdhsa_enable_private_segment 0
		.amdhsa_system_sgpr_workgroup_id_x 1
		.amdhsa_system_sgpr_workgroup_id_y 1
		.amdhsa_system_sgpr_workgroup_id_z 1
		.amdhsa_system_sgpr_workgroup_info 0
		.amdhsa_system_vgpr_workitem_id 0
		.amdhsa_next_free_vgpr 63
		.amdhsa_next_free_sgpr 40
		.amdhsa_named_barrier_count 0
		.amdhsa_reserve_vcc 1
		.amdhsa_float_round_mode_32 0
		.amdhsa_float_round_mode_16_64 0
		.amdhsa_float_denorm_mode_32 3
		.amdhsa_float_denorm_mode_16_64 3
		.amdhsa_fp16_overflow 0
		.amdhsa_memory_ordered 1
		.amdhsa_forward_progress 1
		.amdhsa_inst_pref_size 46
		.amdhsa_round_robin_scheduling 0
		.amdhsa_exception_fp_ieee_invalid_op 0
		.amdhsa_exception_fp_denorm_src 0
		.amdhsa_exception_fp_ieee_div_zero 0
		.amdhsa_exception_fp_ieee_overflow 0
		.amdhsa_exception_fp_ieee_underflow 0
		.amdhsa_exception_fp_ieee_inexact 0
		.amdhsa_exception_int_div_zero 0
	.end_amdhsa_kernel
	.section	.text._ZN4vllm25paged_attention_v1_kernelIttLi96ELi8ELi128ELNS_18Fp8KVCacheDataTypeE0ELb1EEEvPT_PKS2_PKT0_S8_ifPKiSA_iPKfiiiSC_SC_iiiii,"axG",@progbits,_ZN4vllm25paged_attention_v1_kernelIttLi96ELi8ELi128ELNS_18Fp8KVCacheDataTypeE0ELb1EEEvPT_PKS2_PKT0_S8_ifPKiSA_iPKfiiiSC_SC_iiiii,comdat
.Lfunc_end57:
	.size	_ZN4vllm25paged_attention_v1_kernelIttLi96ELi8ELi128ELNS_18Fp8KVCacheDataTypeE0ELb1EEEvPT_PKS2_PKT0_S8_ifPKiSA_iPKfiiiSC_SC_iiiii, .Lfunc_end57-_ZN4vllm25paged_attention_v1_kernelIttLi96ELi8ELi128ELNS_18Fp8KVCacheDataTypeE0ELb1EEEvPT_PKS2_PKT0_S8_ifPKiSA_iPKfiiiSC_SC_iiiii
                                        ; -- End function
	.set _ZN4vllm25paged_attention_v1_kernelIttLi96ELi8ELi128ELNS_18Fp8KVCacheDataTypeE0ELb1EEEvPT_PKS2_PKT0_S8_ifPKiSA_iPKfiiiSC_SC_iiiii.num_vgpr, 63
	.set _ZN4vllm25paged_attention_v1_kernelIttLi96ELi8ELi128ELNS_18Fp8KVCacheDataTypeE0ELb1EEEvPT_PKS2_PKT0_S8_ifPKiSA_iPKfiiiSC_SC_iiiii.num_agpr, 0
	.set _ZN4vllm25paged_attention_v1_kernelIttLi96ELi8ELi128ELNS_18Fp8KVCacheDataTypeE0ELb1EEEvPT_PKS2_PKT0_S8_ifPKiSA_iPKfiiiSC_SC_iiiii.numbered_sgpr, 40
	.set _ZN4vllm25paged_attention_v1_kernelIttLi96ELi8ELi128ELNS_18Fp8KVCacheDataTypeE0ELb1EEEvPT_PKS2_PKT0_S8_ifPKiSA_iPKfiiiSC_SC_iiiii.num_named_barrier, 0
	.set _ZN4vllm25paged_attention_v1_kernelIttLi96ELi8ELi128ELNS_18Fp8KVCacheDataTypeE0ELb1EEEvPT_PKS2_PKT0_S8_ifPKiSA_iPKfiiiSC_SC_iiiii.private_seg_size, 0
	.set _ZN4vllm25paged_attention_v1_kernelIttLi96ELi8ELi128ELNS_18Fp8KVCacheDataTypeE0ELb1EEEvPT_PKS2_PKT0_S8_ifPKiSA_iPKfiiiSC_SC_iiiii.uses_vcc, 1
	.set _ZN4vllm25paged_attention_v1_kernelIttLi96ELi8ELi128ELNS_18Fp8KVCacheDataTypeE0ELb1EEEvPT_PKS2_PKT0_S8_ifPKiSA_iPKfiiiSC_SC_iiiii.uses_flat_scratch, 0
	.set _ZN4vllm25paged_attention_v1_kernelIttLi96ELi8ELi128ELNS_18Fp8KVCacheDataTypeE0ELb1EEEvPT_PKS2_PKT0_S8_ifPKiSA_iPKfiiiSC_SC_iiiii.has_dyn_sized_stack, 0
	.set _ZN4vllm25paged_attention_v1_kernelIttLi96ELi8ELi128ELNS_18Fp8KVCacheDataTypeE0ELb1EEEvPT_PKS2_PKT0_S8_ifPKiSA_iPKfiiiSC_SC_iiiii.has_recursion, 0
	.set _ZN4vllm25paged_attention_v1_kernelIttLi96ELi8ELi128ELNS_18Fp8KVCacheDataTypeE0ELb1EEEvPT_PKS2_PKT0_S8_ifPKiSA_iPKfiiiSC_SC_iiiii.has_indirect_call, 0
	.section	.AMDGPU.csdata,"",@progbits
; Kernel info:
; codeLenInByte = 5788
; TotalNumSgprs: 42
; NumVgprs: 63
; ScratchSize: 0
; MemoryBound: 0
; FloatMode: 240
; IeeeMode: 1
; LDSByteSize: 224 bytes/workgroup (compile time only)
; SGPRBlocks: 0
; VGPRBlocks: 3
; NumSGPRsForWavesPerEU: 42
; NumVGPRsForWavesPerEU: 63
; NamedBarCnt: 0
; Occupancy: 16
; WaveLimiterHint : 1
; COMPUTE_PGM_RSRC2:SCRATCH_EN: 0
; COMPUTE_PGM_RSRC2:USER_SGPR: 2
; COMPUTE_PGM_RSRC2:TRAP_HANDLER: 0
; COMPUTE_PGM_RSRC2:TGID_X_EN: 1
; COMPUTE_PGM_RSRC2:TGID_Y_EN: 1
; COMPUTE_PGM_RSRC2:TGID_Z_EN: 1
; COMPUTE_PGM_RSRC2:TIDIG_COMP_CNT: 0
	.section	.text._ZN4vllm25paged_attention_v1_kernelIttLi112ELi8ELi128ELNS_18Fp8KVCacheDataTypeE0ELb1EEEvPT_PKS2_PKT0_S8_ifPKiSA_iPKfiiiSC_SC_iiiii,"axG",@progbits,_ZN4vllm25paged_attention_v1_kernelIttLi112ELi8ELi128ELNS_18Fp8KVCacheDataTypeE0ELb1EEEvPT_PKS2_PKT0_S8_ifPKiSA_iPKfiiiSC_SC_iiiii,comdat
	.protected	_ZN4vllm25paged_attention_v1_kernelIttLi112ELi8ELi128ELNS_18Fp8KVCacheDataTypeE0ELb1EEEvPT_PKS2_PKT0_S8_ifPKiSA_iPKfiiiSC_SC_iiiii ; -- Begin function _ZN4vllm25paged_attention_v1_kernelIttLi112ELi8ELi128ELNS_18Fp8KVCacheDataTypeE0ELb1EEEvPT_PKS2_PKT0_S8_ifPKiSA_iPKfiiiSC_SC_iiiii
	.globl	_ZN4vllm25paged_attention_v1_kernelIttLi112ELi8ELi128ELNS_18Fp8KVCacheDataTypeE0ELb1EEEvPT_PKS2_PKT0_S8_ifPKiSA_iPKfiiiSC_SC_iiiii
	.p2align	8
	.type	_ZN4vllm25paged_attention_v1_kernelIttLi112ELi8ELi128ELNS_18Fp8KVCacheDataTypeE0ELb1EEEvPT_PKS2_PKT0_S8_ifPKiSA_iPKfiiiSC_SC_iiiii,@function
_ZN4vllm25paged_attention_v1_kernelIttLi112ELi8ELi128ELNS_18Fp8KVCacheDataTypeE0ELb1EEEvPT_PKS2_PKT0_S8_ifPKiSA_iPKfiiiSC_SC_iiiii: ; @_ZN4vllm25paged_attention_v1_kernelIttLi112ELi8ELi128ELNS_18Fp8KVCacheDataTypeE0ELb1EEEvPT_PKS2_PKT0_S8_ifPKiSA_iPKfiiiSC_SC_iiiii
; %bb.0:
	s_load_b64 s[22:23], s[0:1], 0x20
	s_bfe_u32 s3, ttmp6, 0x4000c
	s_bfe_u32 s4, ttmp6, 0x40010
	s_and_b32 s6, ttmp7, 0xffff
	s_add_co_i32 s3, s3, 1
	s_add_co_i32 s4, s4, 1
	s_and_b32 s2, ttmp6, 15
	s_bfe_u32 s5, ttmp6, 0x40004
	s_mul_i32 s3, ttmp9, s3
	s_mul_i32 s4, s6, s4
	s_getreg_b32 s28, hwreg(HW_REG_IB_STS2, 6, 4)
	s_add_co_i32 s2, s2, s3
	s_add_co_i32 s3, s5, s4
	s_cmp_eq_u32 s28, 0
	s_clause 0x1
	s_load_b32 s29, s[0:1], 0x80
	s_load_b64 s[4:5], s[0:1], 0x30
	s_cselect_b32 s30, s6, s3
	s_cselect_b32 s2, ttmp9, s2
	s_mov_b32 s17, 0
	s_delay_alu instid0(SALU_CYCLE_1) | instskip(SKIP_2) | instid1(SALU_CYCLE_1)
	s_mov_b32 s36, s17
	s_wait_kmcnt 0x0
	s_abs_i32 s3, s22
	s_cvt_f32_u32 s6, s3
	s_sub_co_i32 s7, 0, s3
	s_delay_alu instid0(SALU_CYCLE_2) | instskip(SKIP_2) | instid1(TRANS32_DEP_1)
	v_rcp_iflag_f32_e32 v1, s6
	s_abs_i32 s8, s29
	v_nop
	v_readfirstlane_b32 s6, v1
	s_mul_f32 s6, s6, 0x4f7ffffe
	s_delay_alu instid0(SALU_CYCLE_3) | instskip(NEXT) | instid1(SALU_CYCLE_3)
	s_cvt_u32_f32 s6, s6
	s_mul_i32 s7, s7, s6
	s_delay_alu instid0(SALU_CYCLE_1) | instskip(NEXT) | instid1(SALU_CYCLE_1)
	s_mul_hi_u32 s7, s6, s7
	s_add_co_i32 s6, s6, s7
	s_xor_b32 s7, s29, s22
	s_mul_hi_u32 s6, s8, s6
	s_ashr_i32 s7, s7, 31
	s_mul_i32 s9, s6, s3
	s_delay_alu instid0(SALU_CYCLE_1)
	s_sub_co_i32 s8, s8, s9
	s_add_co_i32 s9, s6, 1
	s_sub_co_i32 s10, s8, s3
	s_cmp_ge_u32 s8, s3
	s_cselect_b32 s6, s9, s6
	s_cselect_b32 s8, s10, s8
	s_add_co_i32 s9, s6, 1
	s_cmp_ge_u32 s8, s3
	s_cselect_b32 s3, s9, s6
	s_load_b64 s[8:9], s[0:1], 0x40
	s_xor_b32 s3, s3, s7
	s_abs_i32 s16, s2
	s_sub_co_i32 s10, s3, s7
	s_mov_b32 s7, s17
	s_abs_i32 s15, s10
	s_delay_alu instid0(SALU_CYCLE_1) | instskip(SKIP_1) | instid1(SALU_CYCLE_2)
	s_cvt_f32_u32 s3, s15
	s_sub_co_i32 s6, 0, s15
	v_rcp_iflag_f32_e32 v1, s3
	v_nop
	s_delay_alu instid0(TRANS32_DEP_1) | instskip(SKIP_1) | instid1(SALU_CYCLE_3)
	v_readfirstlane_b32 s3, v1
	s_mul_f32 s3, s3, 0x4f7ffffe
	s_cvt_u32_f32 s3, s3
	s_delay_alu instid0(SALU_CYCLE_3) | instskip(NEXT) | instid1(SALU_CYCLE_1)
	s_mul_i32 s6, s6, s3
	s_mul_hi_u32 s6, s3, s6
	s_delay_alu instid0(SALU_CYCLE_1)
	s_add_co_i32 s6, s3, s6
	s_wait_kmcnt 0x0
	s_cmp_eq_u64 s[8:9], 0
	s_cbranch_scc1 .LBB58_2
; %bb.1:
	s_ashr_i32 s3, s2, 31
	s_delay_alu instid0(SALU_CYCLE_1) | instskip(NEXT) | instid1(SALU_CYCLE_1)
	s_lshl_b64 s[12:13], s[2:3], 2
	s_add_nc_u64 s[8:9], s[8:9], s[12:13]
	s_load_b32 s36, s[8:9], 0x0
.LBB58_2:
	s_load_b32 s31, s[4:5], s30 offset:0x0 scale_offset
	s_load_b96 s[12:14], s[0:1], 0x48
	v_and_b32_e32 v4, 3, v0
	s_wait_xcnt 0x0
	s_mul_u64 s[4:5], s[16:17], s[6:7]
	s_ashr_i32 s3, s2, 31
	s_ashr_i32 s18, s10, 31
	s_mul_i32 s6, s2, 0x70
	s_mov_b32 s4, exec_lo
	v_cmpx_gt_u32_e32 56, v0
	s_cbranch_execz .LBB58_4
; %bb.3:
	s_load_b64 s[8:9], s[0:1], 0x8
	s_wait_kmcnt 0x0
	s_mul_i32 s10, s12, s30
	s_ashr_i32 s7, s6, 31
	s_ashr_i32 s11, s10, 31
	v_and_b32_e32 v2, 0x3fc, v0
	s_lshl_b64 s[10:11], s[10:11], 1
	s_delay_alu instid0(VALU_DEP_1) | instskip(SKIP_2) | instid1(SALU_CYCLE_1)
	v_mad_u32_u24 v2, v4, 56, v2
	s_add_nc_u64 s[8:9], s[8:9], s[10:11]
	s_lshl_b64 s[10:11], s[6:7], 1
	s_add_nc_u64 s[8:9], s[8:9], s[10:11]
	global_load_b32 v1, v0, s[8:9] scale_offset
	s_wait_loadcnt 0x0
	ds_store_b32 v2, v1
.LBB58_4:
	s_or_b32 exec_lo, exec_lo, s4
	s_load_b128 s[8:11], s[0:1], 0x68
	s_mul_i32 s4, s5, s15
	s_xor_b32 s3, s3, s18
	s_sub_co_i32 s4, s16, s4
	s_add_co_i32 s7, s5, 1
	s_wait_kmcnt 0x0
	s_sub_co_i32 s12, s4, s15
	s_cmp_ge_u32 s4, s15
	s_mov_b32 s18, -1
	s_cselect_b32 s5, s7, s5
	s_cselect_b32 s4, s12, s4
	s_add_co_i32 s12, s5, 1
	s_cmp_ge_u32 s4, s15
	s_load_b32 s7, s[0:1], 0x78
	s_cselect_b32 s4, s12, s5
	s_add_co_i32 s15, s31, -1
	s_xor_b32 s4, s4, s3
	s_wait_dscnt 0x0
	s_sub_co_i32 s3, s4, s3
	s_barrier_signal -1
	s_barrier_wait -1
	s_abs_i32 s12, s11
	s_delay_alu instid0(SALU_CYCLE_1) | instskip(NEXT) | instid1(SALU_CYCLE_3)
	s_cvt_f32_u32 s5, s12
                                        ; implicit-def: $sgpr33
	v_rcp_iflag_f32_e32 v1, s5
	v_nop
	s_delay_alu instid0(TRANS32_DEP_1) | instskip(SKIP_1) | instid1(SALU_CYCLE_3)
	v_readfirstlane_b32 s5, v1
	s_mul_f32 s4, s5, 0x4f7ffffe
	s_cvt_u32_f32 s16, s4
	s_sub_co_i32 s4, 0, s12
	s_delay_alu instid0(SALU_CYCLE_2)
	s_mul_i32 s5, s4, s16
	s_abs_i32 s4, s15
	s_mul_hi_u32 s17, s16, s5
	s_mov_b32 s5, 0
	s_add_co_i32 s16, s16, s17
	s_wait_kmcnt 0x0
	s_cmp_lt_i32 s7, 0
	s_mov_b32 s17, s5
	s_cbranch_scc0 .LBB58_6
; %bb.5:
	s_mul_i32 s18, s8, s22
	s_delay_alu instid0(SALU_CYCLE_1) | instskip(NEXT) | instid1(SALU_CYCLE_1)
	s_add_co_i32 s18, s3, s18
	s_mul_i32 s18, s18, s7
	s_delay_alu instid0(SALU_CYCLE_1)
	s_sub_co_i32 s33, 1, s18
	s_mov_b32 s18, s5
.LBB58_6:
	s_ashr_i32 s15, s15, 31
	s_ashr_i32 s34, s11, 31
	s_and_not1_b32 vcc_lo, exec_lo, s18
	s_mul_u64 s[24:25], s[4:5], s[16:17]
	s_cbranch_vccnz .LBB58_8
; %bb.7:
	s_mul_i32 s5, s29, s8
	s_delay_alu instid0(SALU_CYCLE_1) | instskip(NEXT) | instid1(SALU_CYCLE_1)
	s_add_co_i32 s2, s5, s2
	s_mul_i32 s2, s2, s7
	s_delay_alu instid0(SALU_CYCLE_1)
	s_add_co_i32 s33, s2, 1
.LBB58_8:
	s_load_b32 s2, s[0:1], 0x38
	s_mul_i32 s7, s25, s12
	s_xor_b32 s5, s15, s34
	s_sub_co_i32 s4, s4, s7
	s_add_co_i32 s8, s25, 1
	s_clause 0x1
	s_load_b64 s[18:19], s[0:1], 0x28
	s_load_b32 s7, s[0:1], 0x88
	v_dual_mov_b32 v12, 0xff7fffff :: v_dual_lshrrev_b32 v21, 5, v0
	v_lshrrev_b32_e32 v1, 3, v0
	v_mbcnt_lo_u32_b32 v7, -1, 0
	s_mul_i32 s14, s3, s14
	s_delay_alu instid0(VALU_DEP_3)
	v_lshlrev_b32_e32 v6, 3, v21
	s_wait_kmcnt 0x0
	s_mul_i32 s20, s2, s30
	s_sub_co_i32 s2, s4, s12
	s_ashr_i32 s21, s20, 31
	s_cmp_ge_u32 s4, s12
	s_cselect_b32 s8, s8, s25
	s_cselect_b32 s2, s2, s4
	s_add_co_i32 s4, s8, 1
	s_cmp_ge_u32 s2, s12
	s_cselect_b32 s2, s4, s8
	s_add_co_i32 s4, s31, 7
	s_delay_alu instid0(SALU_CYCLE_1) | instskip(NEXT) | instid1(SALU_CYCLE_1)
	s_ashr_i32 s8, s4, 31
	s_lshr_b32 s8, s8, 29
	s_delay_alu instid0(SALU_CYCLE_1) | instskip(NEXT) | instid1(SALU_CYCLE_1)
	s_add_co_i32 s4, s4, s8
	s_ashr_i32 s35, s4, 3
	s_xor_b32 s4, s2, s5
	v_cmp_gt_i32_e64 s2, s35, v21
	s_sub_co_i32 s8, s4, s5
	s_and_saveexec_b32 s11, s2
	s_cbranch_execz .LBB58_20
; %bb.9:
	s_load_b64 s[4:5], s[0:1], 0x10
	s_ashr_i32 s15, s14, 31
	s_sub_co_i32 s22, s8, s9
	s_ashr_i32 s25, s13, 31
	s_lshl_b64 s[38:39], s[14:15], 1
	s_cmp_neq_f32 s36, 0
	v_bfe_u32 v10, v0, 2, 3
	v_mov_b32_e32 v3, 0
	v_mul_u32_u24_e32 v11, 56, v4
	s_cselect_b32 vcc_lo, -1, 0
	s_abs_i32 s15, s10
	v_lshlrev_b32_e32 v2, 4, v10
	s_cvt_f32_u32 s3, s15
	v_subrev_nc_u32_e32 v9, s31, v10
	v_lshlrev_b32_e32 v8, 2, v0
	s_sub_co_i32 s26, 0, s15
	v_rcp_iflag_f32_e32 v5, s3
	v_cmp_eq_u32_e64 s3, 0, v4
	v_dual_add_nc_u32 v13, 1, v9 :: v_dual_bitop2_b32 v16, 2, v7 bitop3:0x14
	v_mov_b32_e32 v18, v21
	s_wait_kmcnt 0x0
	s_add_nc_u64 s[4:5], s[4:5], s[38:39]
	v_xor_b32_e32 v17, 1, v7
	v_readfirstlane_b32 s24, v5
	v_add_nc_u64_e32 v[4:5], s[4:5], v[2:3]
	v_dual_lshlrev_b32 v8, 2, v10 :: v_dual_bitop2_b32 v2, 12, v8 bitop3:0x40
	s_lshl_b64 s[4:5], s[20:21], 2
	s_mul_f32 s24, s24, 0x4f7ffffe
	s_add_nc_u64 s[4:5], s[18:19], s[4:5]
	s_mov_b32 s27, 0
	s_delay_alu instid0(VALU_DEP_2)
	v_add_nc_u64_e32 v[4:5], v[4:5], v[2:3]
	v_and_b32_e32 v2, 0x7c, v1
	s_cvt_u32_f32 s37, s24
	v_lshl_or_b32 v12, v21, 5, v8
	v_mov_b32_e32 v15, 0xff7fffff
	s_mov_b32 s24, s13
	v_add_nc_u64_e32 v[8:9], s[4:5], v[2:3]
	s_mul_i32 s26, s26, s37
	v_lshlrev_b32_e32 v2, 3, v21
	v_add_nc_u32_e32 v14, 0x100, v12
	v_mov_b32_e32 v12, 0xff7fffff
	s_mul_hi_u32 s4, s37, s26
	s_delay_alu instid0(SALU_CYCLE_1)
	s_add_co_i32 s26, s37, s4
	s_mov_b32 s37, s27
	s_branch .LBB58_12
.LBB58_10:                              ;   in Loop: Header=BB58_12 Depth=1
	s_or_b32 exec_lo, exec_lo, s38
.LBB58_11:                              ;   in Loop: Header=BB58_12 Depth=1
	s_delay_alu instid0(SALU_CYCLE_1) | instskip(SKIP_4) | instid1(VALU_DEP_4)
	s_or_b32 exec_lo, exec_lo, s5
	v_add_nc_u32_e32 v18, 4, v18
	v_add_nc_u64_e32 v[8:9], 16, v[8:9]
	v_add_nc_u32_e32 v2, 32, v2
	v_add_nc_u32_e32 v14, 0x80, v14
	v_cmp_le_i32_e64 s4, s35, v18
	s_or_b32 s37, s4, s37
	s_delay_alu instid0(SALU_CYCLE_1)
	s_and_not1_b32 exec_lo, exec_lo, s37
	s_cbranch_execz .LBB58_19
.LBB58_12:                              ; =>This Inner Loop Header: Depth=1
	v_mul_u64_e32 v[22:23], s[16:17], v[2:3]
	s_delay_alu instid0(VALU_DEP_1) | instskip(SKIP_2) | instid1(VALU_DEP_2)
	v_mul_lo_u32 v19, v23, s12
	s_wait_dscnt 0x0
	v_add_nc_u32_e32 v20, 1, v23
	v_sub_nc_u32_e32 v19, v2, v19
	s_delay_alu instid0(VALU_DEP_1) | instskip(NEXT) | instid1(VALU_DEP_1)
	v_cmp_le_u32_e64 s4, s12, v19
	v_cndmask_b32_e64 v20, v23, v20, s4
	v_subrev_nc_u32_e32 v22, s12, v19
	v_mov_b32_e32 v23, v3
	s_delay_alu instid0(VALU_DEP_2) | instskip(NEXT) | instid1(VALU_DEP_1)
	v_dual_cndmask_b32 v19, v19, v22, s4 :: v_dual_add_nc_u32 v22, 1, v20
	v_cmp_le_u32_e64 s4, s12, v19
	s_delay_alu instid0(VALU_DEP_1) | instskip(NEXT) | instid1(VALU_DEP_1)
	v_cndmask_b32_e64 v19, v20, v22, s4
	v_xor_b32_e32 v19, s34, v19
	s_delay_alu instid0(VALU_DEP_1) | instskip(NEXT) | instid1(VALU_DEP_1)
	v_subrev_nc_u32_e32 v19, s34, v19
	v_add_nc_u32_e32 v20, s33, v19
	v_cmp_ge_i32_e64 s5, s22, v19
	s_delay_alu instid0(VALU_DEP_2) | instskip(NEXT) | instid1(VALU_DEP_1)
	v_sub_nc_u32_e32 v22, 0, v20
	v_dual_ashrrev_i32 v20, 31, v20 :: v_dual_max_i32 v22, v20, v22
	s_delay_alu instid0(VALU_DEP_1) | instskip(NEXT) | instid1(VALU_DEP_1)
	v_mul_u64_e32 v[24:25], s[26:27], v[22:23]
	v_mul_lo_u32 v23, v25, s15
	s_delay_alu instid0(VALU_DEP_1) | instskip(NEXT) | instid1(VALU_DEP_1)
	v_sub_nc_u32_e32 v22, v22, v23
	v_subrev_nc_u32_e32 v23, s15, v22
	v_cmp_le_u32_e64 s4, s15, v22
	s_delay_alu instid0(VALU_DEP_1) | instskip(NEXT) | instid1(VALU_DEP_1)
	v_cndmask_b32_e64 v22, v22, v23, s4
	v_subrev_nc_u32_e32 v23, s15, v22
	v_cmp_le_u32_e64 s4, s15, v22
	s_delay_alu instid0(VALU_DEP_1) | instskip(NEXT) | instid1(VALU_DEP_1)
	v_cndmask_b32_e64 v22, v22, v23, s4
	v_xor_b32_e32 v22, v22, v20
	s_delay_alu instid0(VALU_DEP_1) | instskip(NEXT) | instid1(VALU_DEP_1)
	v_sub_nc_u32_e32 v20, v22, v20
	v_cmp_ne_u32_e64 s4, 0, v20
	s_and_b32 s4, s4, s5
	s_delay_alu instid0(SALU_CYCLE_1) | instskip(NEXT) | instid1(SALU_CYCLE_1)
	s_and_saveexec_b32 s5, s4
	s_xor_b32 s4, exec_lo, s5
	s_cbranch_execz .LBB58_16
; %bb.13:                               ;   in Loop: Header=BB58_12 Depth=1
	s_and_saveexec_b32 s5, s3
; %bb.14:                               ;   in Loop: Header=BB58_12 Depth=1
	ds_store_b32 v14, v15
; %bb.15:                               ;   in Loop: Header=BB58_12 Depth=1
	s_or_b32 exec_lo, exec_lo, s5
.LBB58_16:                              ;   in Loop: Header=BB58_12 Depth=1
	s_and_not1_saveexec_b32 s5, s4
	s_cbranch_execz .LBB58_11
; %bb.17:                               ;   in Loop: Header=BB58_12 Depth=1
	global_load_b32 v22, v[8:9], off
	v_cmp_gt_i32_e64 s4, 32, v16
	s_wait_loadcnt 0x0
	v_ashrrev_i32_e32 v23, 31, v22
	s_delay_alu instid0(VALU_DEP_1) | instskip(NEXT) | instid1(VALU_DEP_1)
	v_mul_u64_e32 v[22:23], s[24:25], v[22:23]
	v_lshl_add_u64 v[22:23], v[22:23], 1, v[4:5]
	s_clause 0xb
	global_load_b32 v19, v[22:23], off
	global_load_b32 v24, v[22:23], off offset:128
	global_load_b32 v25, v[22:23], off offset:256
	;; [unrolled: 1-line block ×11, first 2 shown]
	ds_load_b32 v20, v11
	s_wait_dscnt 0x0
	v_lshrrev_b32_e32 v35, 16, v20
	v_and_b32_e32 v36, 0xffff, v20
	s_wait_loadcnt 0xb
	v_lshrrev_b32_e32 v37, 16, v19
	v_and_b32_e32 v38, 0xffff, v19
	s_clause 0x1
	global_load_b32 v20, v[22:23], off offset:1536
	global_load_b32 v19, v[22:23], off offset:1664
	;;#ASMSTART
	v_cvt_f32_f16 v36, v36;
	;;#ASMEND
	;;#ASMSTART
	v_cvt_f32_f16 v35, v35;
	;;#ASMEND
	;; [unrolled: 3-line block ×4, first 2 shown]
	s_wait_xcnt 0x0
	ds_load_b32 v22, v11 offset:4
	s_wait_loadcnt 0xc
	v_and_b32_e32 v39, 0xffff, v24
	v_lshrrev_b32_e32 v24, 16, v24
	s_wait_loadcnt 0xb
	v_and_b32_e32 v42, 0xffff, v25
	v_lshrrev_b32_e32 v25, 16, v25
	;; [unrolled: 3-line block ×4, first 2 shown]
	s_wait_loadcnt 0x8
	v_and_b32_e32 v51, 0xffff, v28
	s_wait_loadcnt 0x7
	v_and_b32_e32 v54, 0xffff, v29
	;; [unrolled: 2-line block ×3, first 2 shown]
	v_and_b32_e32 v57, 0xffff, v30
	v_lshrrev_b32_e32 v30, 16, v30
	s_wait_loadcnt 0x4
	v_and_b32_e32 v63, 0xffff, v32
	s_wait_loadcnt 0x3
	v_and_b32_e32 v66, 0xffff, v33
	v_dual_lshrrev_b32 v33, 16, v33 :: v_dual_lshrrev_b32 v28, 16, v28
	v_dual_lshrrev_b32 v29, 16, v29 :: v_dual_lshrrev_b32 v31, 16, v31
	s_wait_dscnt 0x0
	v_and_b32_e32 v23, 0xffff, v22
	v_lshrrev_b32_e32 v22, 16, v22
	;;#ASMSTART
	v_cvt_f32_f16 v23, v23;
	;;#ASMEND
	;;#ASMSTART
	v_cvt_f32_f16 v40, v22;
	;;#ASMEND
	;; [unrolled: 3-line block ×4, first 2 shown]
	ds_load_b32 v22, v11 offset:8
	v_dual_mul_f32 v23, v23, v39 :: v_dual_lshrrev_b32 v32, 16, v32
	v_mul_f32_e32 v24, v40, v24
	s_delay_alu instid0(VALU_DEP_1)
	v_fmac_f32_e32 v24, v35, v37
	s_wait_dscnt 0x0
	v_and_b32_e32 v41, 0xffff, v22
	v_lshrrev_b32_e32 v22, 16, v22
	;;#ASMSTART
	v_cvt_f32_f16 v41, v41;
	;;#ASMEND
	;;#ASMSTART
	v_cvt_f32_f16 v43, v22;
	;;#ASMEND
	;; [unrolled: 3-line block ×4, first 2 shown]
	ds_load_b32 v22, v11 offset:12
	s_wait_loadcnt 0x2
	v_dual_fmac_f32 v24, v43, v25 :: v_dual_lshrrev_b32 v39, 16, v34
	v_and_b32_e32 v34, 0xffff, v34
	s_wait_dscnt 0x0
	v_and_b32_e32 v44, 0xffff, v22
	v_lshrrev_b32_e32 v22, 16, v22
	;;#ASMSTART
	v_cvt_f32_f16 v44, v44;
	;;#ASMEND
	;;#ASMSTART
	v_cvt_f32_f16 v46, v22;
	;;#ASMEND
	;; [unrolled: 3-line block ×4, first 2 shown]
	ds_load_b32 v22, v11 offset:16
	s_wait_dscnt 0x0
	v_and_b32_e32 v47, 0xffff, v22
	v_lshrrev_b32_e32 v22, 16, v22
	;;#ASMSTART
	v_cvt_f32_f16 v47, v47;
	;;#ASMEND
	;;#ASMSTART
	v_cvt_f32_f16 v49, v22;
	;;#ASMEND
	;; [unrolled: 3-line block ×4, first 2 shown]
	ds_load_b32 v22, v11 offset:20
	v_fmac_f32_e32 v24, v46, v26
	s_delay_alu instid0(VALU_DEP_1)
	v_dual_fmac_f32 v23, v36, v38 :: v_dual_fmac_f32 v24, v49, v27
	s_wait_dscnt 0x0
	v_and_b32_e32 v50, 0xffff, v22
	v_lshrrev_b32_e32 v22, 16, v22
	;;#ASMSTART
	v_cvt_f32_f16 v50, v50;
	;;#ASMEND
	;;#ASMSTART
	v_cvt_f32_f16 v52, v22;
	;;#ASMEND
	;; [unrolled: 3-line block ×4, first 2 shown]
	ds_load_b32 v22, v11 offset:24
	v_dual_fmac_f32 v23, v41, v42 :: v_dual_fmac_f32 v24, v52, v28
	s_delay_alu instid0(VALU_DEP_1) | instskip(NEXT) | instid1(VALU_DEP_1)
	v_fmac_f32_e32 v23, v44, v45
	v_fmac_f32_e32 v23, v47, v48
	s_delay_alu instid0(VALU_DEP_1)
	v_fmac_f32_e32 v23, v50, v51
	s_wait_dscnt 0x0
	v_and_b32_e32 v53, 0xffff, v22
	v_lshrrev_b32_e32 v22, 16, v22
	;;#ASMSTART
	v_cvt_f32_f16 v53, v53;
	;;#ASMEND
	;;#ASMSTART
	v_cvt_f32_f16 v55, v22;
	;;#ASMEND
	;; [unrolled: 3-line block ×4, first 2 shown]
	ds_load_b32 v22, v11 offset:28
	v_fmac_f32_e32 v24, v55, v29
	s_wait_dscnt 0x0
	v_and_b32_e32 v56, 0xffff, v22
	v_lshrrev_b32_e32 v22, 16, v22
	;;#ASMSTART
	v_cvt_f32_f16 v56, v56;
	;;#ASMEND
	;;#ASMSTART
	v_cvt_f32_f16 v58, v22;
	;;#ASMEND
	;;#ASMSTART
	v_cvt_f32_f16 v57, v57;
	;;#ASMEND
	;;#ASMSTART
	v_cvt_f32_f16 v30, v30;
	;;#ASMEND
	ds_load_b32 v22, v11 offset:32
	s_wait_dscnt 0x0
	v_and_b32_e32 v59, 0xffff, v22
	v_lshrrev_b32_e32 v22, 16, v22
	;;#ASMSTART
	v_cvt_f32_f16 v59, v59;
	;;#ASMEND
	;;#ASMSTART
	v_cvt_f32_f16 v61, v22;
	;;#ASMEND
	;;#ASMSTART
	v_cvt_f32_f16 v60, v60;
	;;#ASMEND
	;;#ASMSTART
	v_cvt_f32_f16 v31, v31;
	;;#ASMEND
	ds_load_b32 v22, v11 offset:36
	;; [unrolled: 16-line block ×5, first 2 shown]
	s_wait_dscnt 0x0
	v_and_b32_e32 v27, 0xffff, v22
	;;#ASMSTART
	v_cvt_f32_f16 v27, v27;
	;;#ASMEND
	s_wait_loadcnt 0x1
	v_dual_fmac_f32 v23, v53, v54 :: v_dual_lshrrev_b32 v26, 16, v20
	v_lshrrev_b32_e32 v22, 16, v22
	v_and_b32_e32 v20, 0xffff, v20
	s_delay_alu instid0(VALU_DEP_3)
	v_fmac_f32_e32 v23, v56, v57
	;;#ASMSTART
	v_cvt_f32_f16 v28, v22;
	;;#ASMEND
	;;#ASMSTART
	v_cvt_f32_f16 v29, v20;
	;;#ASMEND
	;; [unrolled: 3-line block ×3, first 2 shown]
	ds_load_b32 v20, v11 offset:52
	v_dual_fmac_f32 v24, v58, v30 :: v_dual_fmac_f32 v23, v59, v60
	v_cndmask_b32_e64 v22, v7, v16, s4
	v_cmp_gt_i32_e64 s4, 32, v17
	s_delay_alu instid0(VALU_DEP_3) | instskip(NEXT) | instid1(VALU_DEP_1)
	v_fmac_f32_e32 v24, v61, v31
	v_dual_fmac_f32 v23, v62, v63 :: v_dual_fmac_f32 v24, v64, v32
	s_delay_alu instid0(VALU_DEP_1) | instskip(SKIP_1) | instid1(VALU_DEP_1)
	v_dual_fmac_f32 v23, v65, v66 :: v_dual_fmac_f32 v24, v67, v33
	s_wait_loadcnt 0x0
	v_dual_fmac_f32 v23, v25, v34 :: v_dual_lshrrev_b32 v30, 16, v19
	v_and_b32_e32 v19, 0xffff, v19
	s_wait_dscnt 0x0
	v_and_b32_e32 v25, 0xffff, v20
	v_lshrrev_b32_e32 v20, 16, v20
	;;#ASMSTART
	v_cvt_f32_f16 v25, v25;
	;;#ASMEND
	v_fmac_f32_e32 v23, v27, v29
	;;#ASMSTART
	v_cvt_f32_f16 v20, v20;
	;;#ASMEND
	;;#ASMSTART
	v_cvt_f32_f16 v19, v19;
	;;#ASMEND
	s_delay_alu instid0(VALU_DEP_1) | instskip(SKIP_1) | instid1(VALU_DEP_2)
	v_dual_fmac_f32 v24, v35, v36 :: v_dual_fmac_f32 v23, v25, v19
	v_dual_lshlrev_b32 v19, 2, v22 :: v_dual_cndmask_b32 v22, v7, v17, s4
	v_fmac_f32_e32 v24, v28, v26
	;;#ASMSTART
	v_cvt_f32_f16 v26, v30;
	;;#ASMEND
	s_delay_alu instid0(VALU_DEP_1) | instskip(NEXT) | instid1(VALU_DEP_1)
	v_fmac_f32_e32 v24, v20, v26
	v_add_f32_e32 v20, v23, v24
	ds_bpermute_b32 v19, v19, v20
	s_wait_dscnt 0x0
	v_dual_add_f32 v19, v20, v19 :: v_dual_lshlrev_b32 v20, 2, v22
	ds_bpermute_b32 v20, v20, v19
	s_and_saveexec_b32 s38, s3
	s_cbranch_execz .LBB58_10
; %bb.18:                               ;   in Loop: Header=BB58_12 Depth=1
	s_wait_dscnt 0x0
	v_dual_add_f32 v19, v19, v20 :: v_dual_add_nc_u32 v22, v13, v2
	s_delay_alu instid0(VALU_DEP_1) | instskip(NEXT) | instid1(VALU_DEP_1)
	v_cvt_f32_i32_e32 v22, v22
	v_mul_f32_e32 v22, s36, v22
	s_delay_alu instid0(VALU_DEP_1) | instskip(NEXT) | instid1(VALU_DEP_1)
	v_dual_cndmask_b32 v20, 0, v22, vcc_lo :: v_dual_max_num_f32 v22, v12, v12
	v_dual_fmac_f32 v20, s23, v19 :: v_dual_add_nc_u32 v19, v10, v2
	s_delay_alu instid0(VALU_DEP_1) | instskip(NEXT) | instid1(VALU_DEP_1)
	v_cmp_gt_i32_e64 s4, s31, v19
	v_dual_max_num_f32 v22, v22, v20 :: v_dual_cndmask_b32 v19, 0, v20, s4
	s_delay_alu instid0(VALU_DEP_1)
	v_cndmask_b32_e64 v12, v12, v22, s4
	ds_store_b32 v14, v19
	s_branch .LBB58_10
.LBB58_19:
	s_or_b32 exec_lo, exec_lo, s37
.LBB58_20:
	s_delay_alu instid0(SALU_CYCLE_1)
	s_or_b32 exec_lo, exec_lo, s11
	v_dual_max_num_f32 v5, v12, v12 :: v_dual_bitop2_b32 v2, 16, v7 bitop3:0x14
	s_clause 0x1
	s_load_b64 s[4:5], s[0:1], 0x0
	s_load_b64 s[22:23], s[0:1], 0x18
	v_and_b32_e32 v22, 31, v0
	v_xor_b32_e32 v4, 8, v7
	v_cmp_gt_i32_e32 vcc_lo, 32, v2
	v_cndmask_b32_e32 v2, v7, v2, vcc_lo
	s_delay_alu instid0(VALU_DEP_3) | instskip(NEXT) | instid1(VALU_DEP_2)
	v_cmp_gt_i32_e32 vcc_lo, 32, v4
	v_dual_lshlrev_b32 v2, 2, v2 :: v_dual_cndmask_b32 v4, v7, v4, vcc_lo
	ds_bpermute_b32 v3, v2, v12
	s_wait_dscnt 0x0
	v_dual_max_num_f32 v8, v3, v3 :: v_dual_lshlrev_b32 v3, 2, v4
	s_delay_alu instid0(VALU_DEP_1) | instskip(SKIP_4) | instid1(VALU_DEP_1)
	v_dual_max_num_f32 v4, v5, v8 :: v_dual_bitop2_b32 v8, 4, v7 bitop3:0x14
	ds_bpermute_b32 v5, v3, v4
	v_cmp_gt_i32_e32 vcc_lo, 32, v8
	v_cndmask_b32_e32 v8, v7, v8, vcc_lo
	s_wait_dscnt 0x0
	v_dual_max_num_f32 v5, v5, v5 :: v_dual_lshlrev_b32 v8, 2, v8
	s_delay_alu instid0(VALU_DEP_1)
	v_max_num_f32_e32 v5, v4, v5
	v_lshlrev_b32_e32 v4, 2, v21
	v_cmp_eq_u32_e32 vcc_lo, 0, v22
	ds_bpermute_b32 v9, v8, v5
	s_wait_xcnt 0x0
	s_and_saveexec_b32 s0, vcc_lo
	s_cbranch_execz .LBB58_22
; %bb.21:
	s_wait_dscnt 0x0
	v_max_num_f32_e32 v9, v9, v9
	v_max_num_f32_e32 v5, v5, v5
	s_delay_alu instid0(VALU_DEP_1)
	v_max_num_f32_e32 v5, v5, v9
	ds_store_b32 v4, v5 offset:224
.LBB58_22:
	s_or_b32 exec_lo, exec_lo, s0
	v_cmp_gt_u32_e64 s0, 4, v22
	v_dual_mov_b32 v10, 0xff7fffff :: v_dual_lshlrev_b32 v5, 2, v22
	s_wait_dscnt 0x0
	s_barrier_signal -1
	s_barrier_wait -1
	s_and_saveexec_b32 s1, s0
; %bb.23:
	ds_load_b32 v10, v5 offset:224
; %bb.24:
	s_or_b32 exec_lo, exec_lo, s1
	v_xor_b32_e32 v9, 2, v7
	v_lshl_add_u32 v23, v0, 2, 0x100
	v_xor_b32_e32 v12, 1, v7
	s_delay_alu instid0(VALU_DEP_3) | instskip(NEXT) | instid1(VALU_DEP_1)
	v_cmp_gt_i32_e64 s1, 32, v9
	v_cndmask_b32_e64 v9, v7, v9, s1
	s_delay_alu instid0(VALU_DEP_3) | instskip(NEXT) | instid1(VALU_DEP_1)
	v_cmp_gt_i32_e64 s1, 32, v12
	v_dual_lshlrev_b32 v9, 2, v9 :: v_dual_cndmask_b32 v7, v7, v12, s1
	s_lshl_b32 s1, s35, 3
	s_delay_alu instid0(SALU_CYCLE_1)
	s_min_i32 s11, s1, s31
	s_wait_dscnt 0x0
	ds_bpermute_b32 v11, v9, v10
	v_max_num_f32_e32 v10, v10, v10
	v_cmp_gt_i32_e64 s1, s11, v0
	v_lshlrev_b32_e32 v7, 2, v7
	s_wait_dscnt 0x0
	v_max_num_f32_e32 v11, v11, v11
	s_delay_alu instid0(VALU_DEP_1) | instskip(SKIP_3) | instid1(VALU_DEP_1)
	v_max_num_f32_e32 v10, v10, v11
	ds_bpermute_b32 v11, v7, v10
	s_wait_dscnt 0x0
	v_max_num_f32_e32 v11, v11, v11
	v_dual_max_num_f32 v11, v10, v11 :: v_dual_mov_b32 v10, 0
	ds_bpermute_b32 v11, v10, v11
	s_and_saveexec_b32 s15, s1
	s_cbranch_execz .LBB58_28
; %bb.25:
	v_lshl_add_u32 v12, v0, 2, 0x100
	v_dual_mov_b32 v10, 0 :: v_dual_mov_b32 v13, v0
	s_mov_b32 s24, 0
.LBB58_26:                              ; =>This Inner Loop Header: Depth=1
	ds_load_b32 v14, v12
	v_add_nc_u32_e32 v13, 0x80, v13
	s_delay_alu instid0(VALU_DEP_1) | instskip(SKIP_3) | instid1(VALU_DEP_1)
	v_cmp_le_i32_e64 s3, s11, v13
	s_or_b32 s24, s3, s24
	s_wait_dscnt 0x0
	v_sub_f32_e32 v14, v14, v11
	v_mul_f32_e32 v14, 0x3fb8aa3b, v14
	s_delay_alu instid0(VALU_DEP_1)
	v_exp_f32_e32 v14, v14
	ds_store_b32 v12, v14
	v_nop
	v_add_f32_e32 v10, v10, v14
	v_add_nc_u32_e32 v12, 0x200, v12
	s_and_not1_b32 exec_lo, exec_lo, s24
	s_cbranch_execnz .LBB58_26
; %bb.27:
	s_or_b32 exec_lo, exec_lo, s24
.LBB58_28:
	s_delay_alu instid0(SALU_CYCLE_1)
	s_or_b32 exec_lo, exec_lo, s15
	ds_bpermute_b32 v2, v2, v10
	s_wait_dscnt 0x0
	v_add_f32_e32 v2, v10, v2
	ds_bpermute_b32 v3, v3, v2
	s_wait_dscnt 0x0
	v_add_f32_e32 v2, v2, v3
	;; [unrolled: 3-line block ×5, first 2 shown]
	s_and_saveexec_b32 s3, vcc_lo
; %bb.29:
	ds_store_b32 v4, v2 offset:240
; %bb.30:
	s_or_b32 exec_lo, exec_lo, s3
	s_wait_dscnt 0x0
	s_barrier_signal -1
	s_barrier_wait -1
	s_and_saveexec_b32 s3, s0
; %bb.31:
	ds_load_b32 v2, v5 offset:240
; %bb.32:
	s_or_b32 exec_lo, exec_lo, s3
	s_wait_dscnt 0x0
	ds_bpermute_b32 v3, v9, v2
	s_wait_dscnt 0x0
	v_dual_mov_b32 v26, 0 :: v_dual_add_f32 v2, v2, v3
	ds_bpermute_b32 v3, v7, v2
	s_wait_dscnt 0x0
	v_add_f32_e32 v2, v2, v3
	ds_bpermute_b32 v2, v26, v2
	s_and_saveexec_b32 s0, s1
	s_cbranch_execz .LBB58_45
; %bb.33:
	s_wait_dscnt 0x0
	v_add_f32_e32 v2, 0x358637bd, v2
	s_mov_b32 s3, -1
	s_mov_b32 s1, exec_lo
	s_delay_alu instid0(VALU_DEP_1) | instskip(NEXT) | instid1(VALU_DEP_1)
	v_div_scale_f32 v3, null, v2, v2, 1.0
	v_rcp_f32_e32 v5, v3
	v_nop
	s_delay_alu instid0(TRANS32_DEP_1) | instskip(NEXT) | instid1(VALU_DEP_1)
	v_fma_f32 v4, -v3, v5, 1.0
	v_fmac_f32_e32 v5, v4, v5
	v_div_scale_f32 v7, vcc_lo, 1.0, v2, 1.0
	s_delay_alu instid0(VALU_DEP_1) | instskip(NEXT) | instid1(VALU_DEP_1)
	v_mul_f32_e32 v8, v7, v5
	v_fma_f32 v4, -v3, v8, v7
	s_delay_alu instid0(VALU_DEP_1) | instskip(SKIP_1) | instid1(VALU_DEP_2)
	v_fmac_f32_e32 v8, v4, v5
	v_xad_u32 v4, v0, -1, s11
	v_fma_f32 v3, -v3, v8, v7
	s_delay_alu instid0(VALU_DEP_1) | instskip(NEXT) | instid1(VALU_DEP_1)
	v_div_fmas_f32 v3, v3, v5, v8
	v_div_fixup_f32 v2, v3, v2, 1.0
	v_mov_b32_e32 v3, v0
	v_cmpx_lt_u32_e32 0x7f, v4
	s_cbranch_execz .LBB58_42
; %bb.34:
	s_delay_alu instid0(VALU_DEP_3) | instskip(NEXT) | instid1(VALU_DEP_1)
	v_dual_mov_b32 v3, v2 :: v_dual_lshrrev_b32 v4, 7, v4
	v_dual_mov_b32 v9, 0 :: v_dual_add_nc_u32 v5, -1, v4
	s_delay_alu instid0(VALU_DEP_1) | instskip(SKIP_1) | instid1(VALU_DEP_2)
	v_lshrrev_b32_e32 v7, 1, v5
	v_cmp_lt_u32_e32 vcc_lo, 13, v5
	v_add_nc_u32_e32 v5, 1, v7
	s_and_saveexec_b32 s3, vcc_lo
	s_cbranch_execz .LBB58_38
; %bb.35:
	s_delay_alu instid0(VALU_DEP_1)
	v_dual_mov_b32 v8, v23 :: v_dual_bitop2_b32 v7, -8, v5 bitop3:0x40
	s_mov_b32 s15, 0
	s_mov_b32 s24, 0
.LBB58_36:                              ; =>This Inner Loop Header: Depth=1
	ds_load_2addr_stride64_b32 v[10:11], v8 offset1:2
	ds_load_2addr_stride64_b32 v[12:13], v8 offset0:4 offset1:6
	ds_load_2addr_stride64_b32 v[14:15], v8 offset0:8 offset1:10
	;; [unrolled: 1-line block ×7, first 2 shown]
	s_add_co_i32 s24, s24, 16
	s_delay_alu instid0(SALU_CYCLE_1) | instskip(NEXT) | instid1(VALU_DEP_1)
	v_dual_add_nc_u32 v7, -8, v7 :: v_dual_mov_b32 v9, s24
	v_cmp_eq_u32_e32 vcc_lo, 0, v7
	s_or_b32 s15, vcc_lo, s15
	s_wait_dscnt 0x7
	v_pk_mul_f32 v[10:11], v[2:3], v[10:11]
	s_wait_dscnt 0x6
	v_pk_mul_f32 v[12:13], v[2:3], v[12:13]
	;; [unrolled: 2-line block ×8, first 2 shown]
	ds_store_2addr_stride64_b32 v8, v10, v11 offset1:2
	ds_store_2addr_stride64_b32 v8, v12, v13 offset0:4 offset1:6
	ds_store_2addr_stride64_b32 v8, v14, v15 offset0:8 offset1:10
	;; [unrolled: 1-line block ×7, first 2 shown]
	v_add_nc_u32_e32 v8, 0x2000, v8
	s_and_not1_b32 exec_lo, exec_lo, s15
	s_cbranch_execnz .LBB58_36
; %bb.37:
	s_or_b32 exec_lo, exec_lo, s15
.LBB58_38:
	s_delay_alu instid0(SALU_CYCLE_1) | instskip(NEXT) | instid1(VALU_DEP_1)
	s_or_b32 exec_lo, exec_lo, s3
	v_and_b32_e32 v5, 7, v5
	s_mov_b32 s15, 0
	s_mov_b32 s3, exec_lo
	s_delay_alu instid0(VALU_DEP_1)
	v_cmpx_ne_u32_e32 0, v5
	s_cbranch_execz .LBB58_41
; %bb.39:
	v_dual_lshlrev_b32 v7, 9, v9 :: v_dual_lshlrev_b32 v8, 2, v0
	s_delay_alu instid0(VALU_DEP_1)
	v_add3_u32 v7, v7, v8, 0x100
.LBB58_40:                              ; =>This Inner Loop Header: Depth=1
	ds_load_2addr_stride64_b32 v[8:9], v7 offset1:2
	v_add_nc_u32_e32 v5, -1, v5
	s_delay_alu instid0(VALU_DEP_1)
	v_cmp_eq_u32_e32 vcc_lo, 0, v5
	s_or_b32 s15, vcc_lo, s15
	s_wait_dscnt 0x0
	v_pk_mul_f32 v[8:9], v[2:3], v[8:9]
	ds_store_2addr_stride64_b32 v7, v8, v9 offset1:2
	v_add_nc_u32_e32 v7, 0x400, v7
	s_and_not1_b32 exec_lo, exec_lo, s15
	s_cbranch_execnz .LBB58_40
.LBB58_41:
	s_or_b32 exec_lo, exec_lo, s3
	v_add_nc_u32_e32 v3, 1, v4
	s_delay_alu instid0(VALU_DEP_1) | instskip(NEXT) | instid1(VALU_DEP_1)
	v_and_b32_e32 v4, 0x3fffffe, v3
	v_cmp_ne_u32_e32 vcc_lo, v3, v4
	v_lshl_add_u32 v3, v4, 7, v0
	s_or_not1_b32 s3, vcc_lo, exec_lo
.LBB58_42:
	s_or_b32 exec_lo, exec_lo, s1
	s_delay_alu instid0(SALU_CYCLE_1)
	s_and_b32 exec_lo, exec_lo, s3
	s_cbranch_execz .LBB58_45
; %bb.43:
	v_lshl_add_u32 v4, v3, 2, 0x100
	s_mov_b32 s1, 0
.LBB58_44:                              ; =>This Inner Loop Header: Depth=1
	ds_load_b32 v5, v4
	v_add_nc_u32_e32 v3, 0x80, v3
	s_delay_alu instid0(VALU_DEP_1)
	v_cmp_le_i32_e32 vcc_lo, s11, v3
	s_or_b32 s1, vcc_lo, s1
	s_wait_dscnt 0x0
	v_mul_f32_e32 v5, v2, v5
	ds_store_b32 v4, v5
	v_add_nc_u32_e32 v4, 0x200, v4
	s_and_not1_b32 exec_lo, exec_lo, s1
	s_cbranch_execnz .LBB58_44
.LBB58_45:
	s_or_b32 exec_lo, exec_lo, s0
	v_mov_b64_e32 v[8:9], 0
	v_mov_b32_e32 v27, 0
	s_wait_dscnt 0x0
	s_barrier_signal -1
	s_barrier_wait -1
	s_and_saveexec_b32 s24, s2
	s_cbranch_execz .LBB58_61
; %bb.46:
	s_abs_i32 s25, s10
	s_sub_co_i32 s26, s8, s9
	s_cvt_f32_u32 s0, s25
	v_dual_mov_b32 v7, 0 :: v_dual_lshlrev_b32 v2, 3, v22
	v_or_b32_e32 v10, 0x60, v22
	s_delay_alu instid0(SALU_CYCLE_1) | instskip(SKIP_2) | instid1(VALU_DEP_2)
	v_rcp_iflag_f32_e32 v3, s0
	v_and_b32_e32 v4, 0x7c, v1
	s_lshl_b64 s[0:1], s[20:21], 2
	v_dual_mov_b32 v5, v7 :: v_dual_lshlrev_b32 v14, 3, v10
	s_ashr_i32 s15, s14, 31
	s_add_nc_u64 s[0:1], s[18:19], s[0:1]
	s_delay_alu instid0(TRANS32_DEP_1)
	v_readfirstlane_b32 s8, v3
	s_lshl_b64 s[10:11], s[14:15], 1
	s_sub_co_i32 s14, 0, s25
	v_mov_b64_e32 v[8:9], 0
	v_cmp_gt_u32_e32 vcc_lo, 0x70, v10
	s_mul_f32 s8, s8, 0x4f7ffffe
	v_add_nc_u64_e32 v[10:11], s[0:1], v[4:5]
	v_lshl_add_u32 v24, v21, 5, 0x100
	v_dual_mov_b32 v27, v7 :: v_dual_lshlrev_b32 v12, 1, v2
	s_cvt_u32_f32 s8, s8
	v_dual_lshlrev_b32 v14, 1, v14 :: v_dual_mov_b32 v26, v7
	v_mov_b32_e32 v25, v21
	s_delay_alu instid0(SALU_CYCLE_1)
	s_mul_i32 s14, s14, s8
	s_mov_b32 s9, 0
	s_mul_hi_u32 s0, s8, s14
	s_ashr_i32 s3, s13, 31
	s_mov_b32 s2, s13
	s_add_co_i32 s13, s35, -1
	s_wait_kmcnt 0x0
	s_add_nc_u64 s[10:11], s[22:23], s[10:11]
	s_mov_b32 s14, s31
	s_add_co_i32 s8, s8, s0
	s_mov_b32 s15, s9
	s_branch .LBB58_50
.LBB58_47:                              ;   in Loop: Header=BB58_50 Depth=1
	s_or_b32 exec_lo, exec_lo, s19
	v_dual_lshlrev_b32 v15, 16, v16 :: v_dual_lshlrev_b32 v1, 16, v1
	s_delay_alu instid0(VALU_DEP_2) | instskip(NEXT) | instid1(VALU_DEP_2)
	v_lshlrev_b32_e32 v13, 16, v13
	v_and_or_b32 v2, 0xffff, v2, v15
	s_delay_alu instid0(VALU_DEP_3) | instskip(NEXT) | instid1(VALU_DEP_3)
	v_and_or_b32 v1, 0xffff, v3, v1
	v_and_or_b32 v3, 0xffff, v4, v13
	;;#ASMSTART
	v_pk_mul_f16 v2, v31, v2;

	;;#ASMEND
	;;#ASMSTART
	v_pk_mul_f16 v1, v29, v1;

	;;#ASMEND
	;;#ASMSTART
	v_pk_mul_f16 v3, v32, v3;

	;;#ASMEND
	;;#ASMSTART
	v_pk_mul_f16 v4, v33, v5;

	;;#ASMEND
	;;#ASMSTART
	v_pk_add_f16 v1, v2, v1;

	;;#ASMEND
	;;#ASMSTART
	v_pk_add_f16 v1, v1, v3;

	;;#ASMEND
	;; [unrolled: 4-line block ×3, first 2 shown]
	v_and_b32_e32 v2, 0xffff, v1
	v_lshrrev_b32_e32 v1, 16, v1
	;;#ASMSTART
	v_cvt_f32_f16 v2, v2;
	;;#ASMEND
	;;#ASMSTART
	v_cvt_f32_f16 v1, v1;
	;;#ASMEND
	s_delay_alu instid0(VALU_DEP_1) | instskip(NEXT) | instid1(VALU_DEP_1)
	v_add_f32_e32 v1, v2, v1
	v_add_f32_e32 v27, v27, v1
.LBB58_48:                              ;   in Loop: Header=BB58_50 Depth=1
	s_or_b32 exec_lo, exec_lo, s1
	v_dual_add_f32 v1, v20, v34 :: v_dual_add_f32 v3, v18, v19
	s_delay_alu instid0(VALU_DEP_1) | instskip(NEXT) | instid1(VALU_DEP_1)
	v_dual_add_f32 v2, v28, v30 :: v_dual_add_f32 v9, v9, v1
	v_dual_add_f32 v26, v26, v3 :: v_dual_add_f32 v8, v8, v2
.LBB58_49:                              ;   in Loop: Header=BB58_50 Depth=1
	s_or_b32 exec_lo, exec_lo, s18
	v_dual_add_nc_u32 v25, 4, v25 :: v_dual_add_nc_u32 v6, 32, v6
	v_add_nc_u64_e32 v[10:11], 16, v[10:11]
	v_add_nc_u32_e32 v24, 0x80, v24
	s_delay_alu instid0(VALU_DEP_3) | instskip(SKIP_1) | instid1(SALU_CYCLE_1)
	v_cmp_le_i32_e64 s0, s35, v25
	s_or_b32 s15, s0, s15
	s_and_not1_b32 exec_lo, exec_lo, s15
	s_cbranch_execz .LBB58_60
.LBB58_50:                              ; =>This Inner Loop Header: Depth=1
	v_mul_u64_e32 v[2:3], s[16:17], v[6:7]
	s_delay_alu instid0(VALU_DEP_1) | instskip(NEXT) | instid1(VALU_DEP_1)
	v_mul_lo_u32 v1, v3, s12
	v_dual_add_nc_u32 v2, 1, v3 :: v_dual_sub_nc_u32 v1, v6, v1
	s_delay_alu instid0(VALU_DEP_1) | instskip(SKIP_1) | instid1(VALU_DEP_1)
	v_subrev_nc_u32_e32 v4, s12, v1
	v_cmp_le_u32_e64 s0, s12, v1
	v_dual_cndmask_b32 v2, v3, v2, s0 :: v_dual_cndmask_b32 v1, v1, v4, s0
	s_delay_alu instid0(VALU_DEP_1) | instskip(NEXT) | instid1(VALU_DEP_2)
	v_add_nc_u32_e32 v3, 1, v2
	v_cmp_le_u32_e64 s0, s12, v1
	s_delay_alu instid0(VALU_DEP_1) | instskip(NEXT) | instid1(VALU_DEP_1)
	v_dual_cndmask_b32 v1, v2, v3, s0 :: v_dual_mov_b32 v3, v7
	v_xor_b32_e32 v1, s34, v1
	s_delay_alu instid0(VALU_DEP_1) | instskip(NEXT) | instid1(VALU_DEP_1)
	v_subrev_nc_u32_e32 v1, s34, v1
	v_add_nc_u32_e32 v13, s33, v1
	v_cmp_lt_i32_e64 s1, s26, v1
	s_delay_alu instid0(VALU_DEP_2) | instskip(NEXT) | instid1(VALU_DEP_1)
	v_sub_nc_u32_e32 v2, 0, v13
	v_max_i32_e32 v2, v13, v2
	s_delay_alu instid0(VALU_DEP_1) | instskip(SKIP_1) | instid1(VALU_DEP_2)
	v_mul_u64_e32 v[4:5], s[8:9], v[2:3]
	v_ashrrev_i32_e32 v4, 31, v13
	v_mul_lo_u32 v3, v5, s25
	s_delay_alu instid0(VALU_DEP_1) | instskip(NEXT) | instid1(VALU_DEP_1)
	v_sub_nc_u32_e32 v2, v2, v3
	v_subrev_nc_u32_e32 v3, s25, v2
	v_cmp_le_u32_e64 s0, s25, v2
	s_delay_alu instid0(VALU_DEP_1) | instskip(NEXT) | instid1(VALU_DEP_1)
	v_cndmask_b32_e64 v2, v2, v3, s0
	v_subrev_nc_u32_e32 v3, s25, v2
	v_cmp_le_u32_e64 s0, s25, v2
	s_delay_alu instid0(VALU_DEP_1) | instskip(NEXT) | instid1(VALU_DEP_1)
	v_cndmask_b32_e64 v2, v2, v3, s0
	v_xor_b32_e32 v2, v2, v4
	s_delay_alu instid0(VALU_DEP_1) | instskip(NEXT) | instid1(VALU_DEP_1)
	v_sub_nc_u32_e32 v2, v2, v4
	v_cmp_eq_u32_e64 s0, 0, v2
	s_or_b32 s0, s0, s1
	s_delay_alu instid0(SALU_CYCLE_1)
	s_and_saveexec_b32 s18, s0
	s_cbranch_execz .LBB58_49
; %bb.51:                               ;   in Loop: Header=BB58_50 Depth=1
	global_load_b32 v2, v[10:11], off
	v_cmp_eq_u32_e64 s0, s13, v25
	s_wait_loadcnt 0x0
	v_dual_mov_b32 v13, v7 :: v_dual_ashrrev_i32 v3, 31, v2
	s_delay_alu instid0(VALU_DEP_1)
	v_mul_u64_e32 v[16:17], s[2:3], v[2:3]
	ds_load_2addr_b64 v[2:5], v24 offset1:1
	ds_load_2addr_b64 v[34:37], v24 offset0:2 offset1:3
	s_wait_dscnt 0x1
	;;#ASMSTART
	v_cvt_f16_f32 v31, v2;

	;;#ASMEND
	;;#ASMSTART
	v_cvt_f16_f32 v29, v3;

	;;#ASMEND
	;; [unrolled: 4-line block ×4, first 2 shown]
	s_wait_dscnt 0x0
	;;#ASMSTART
	v_cvt_f16_f32 v34, v34;

	;;#ASMEND
	;;#ASMSTART
	v_cvt_f16_f32 v28, v35;

	;;#ASMEND
	;; [unrolled: 4-line block ×4, first 2 shown]
	v_lshl_add_u64 v[16:17], v[16:17], 1, s[10:11]
	s_delay_alu instid0(VALU_DEP_1)
	v_add_nc_u64_e32 v[18:19], v[16:17], v[12:13]
	global_load_b128 v[2:5], v[18:19], off
	s_wait_loadcnt 0x0
	v_dual_lshrrev_b32 v1, 16, v3 :: v_dual_lshrrev_b32 v20, 16, v2
	v_lshrrev_b32_e32 v13, 16, v4
	s_and_saveexec_b32 s19, s0
	s_cbranch_execz .LBB58_53
; %bb.52:                               ;   in Loop: Header=BB58_50 Depth=1
	v_dual_add_nc_u32 v35, 2, v6 :: v_dual_bitop2_b32 v36, 3, v6 bitop3:0x54
	v_cmp_gt_i32_e64 s1, s31, v6
	v_add_nc_u32_e32 v38, 7, v6
	s_delay_alu instid0(VALU_DEP_2) | instskip(NEXT) | instid1(VALU_DEP_4)
	v_cndmask_b32_e64 v2, 0, v2, s1
	v_cmp_gt_i32_e64 s1, s31, v35
	s_delay_alu instid0(VALU_DEP_1) | instskip(SKIP_2) | instid1(VALU_DEP_2)
	v_dual_add_nc_u32 v35, 4, v6 :: v_dual_cndmask_b32 v3, 0, v3, s1
	v_cmp_gt_i32_e64 s1, s14, v36
	v_dual_add_nc_u32 v36, 6, v6 :: v_dual_bitop2_b32 v37, 1, v6 bitop3:0x54
	v_cndmask_b32_e64 v1, 0, v1, s1
	s_delay_alu instid0(VALU_DEP_2) | instskip(SKIP_2) | instid1(VALU_DEP_3)
	v_cmp_gt_i32_e64 s1, s31, v37
	v_and_b32_e32 v37, 0xffff, v5
	v_and_b32_e32 v5, 0xffff0000, v5
	v_cndmask_b32_e64 v20, 0, v20, s1
	v_cmp_gt_i32_e64 s1, s31, v36
	s_delay_alu instid0(VALU_DEP_1) | instskip(SKIP_1) | instid1(VALU_DEP_1)
	v_dual_add_nc_u32 v39, 5, v6 :: v_dual_cndmask_b32 v36, 0, v37, s1
	v_cmp_gt_i32_e64 s1, s31, v38
	v_cndmask_b32_e64 v5, 0, v5, s1
	v_cmp_gt_i32_e64 s1, s31, v35
	s_delay_alu instid0(VALU_DEP_1) | instskip(SKIP_1) | instid1(VALU_DEP_4)
	v_cndmask_b32_e64 v4, 0, v4, s1
	v_cmp_gt_i32_e64 s1, s31, v39
	v_or_b32_e32 v5, v36, v5
	s_delay_alu instid0(VALU_DEP_2)
	v_cndmask_b32_e64 v13, 0, v13, s1
.LBB58_53:                              ;   in Loop: Header=BB58_50 Depth=1
	s_or_b32 exec_lo, exec_lo, s19
	v_dual_lshlrev_b32 v20, 16, v20 :: v_dual_lshlrev_b32 v1, 16, v1
	v_and_b32_e32 v31, 0xffff, v31
	v_and_b32_e32 v33, 0xffff, v33
	v_lshlrev_b32_e32 v13, 16, v13
	v_and_b32_e32 v34, 0xffff, v34
	v_and_b32_e32 v30, 0xffff, v30
	v_and_or_b32 v2, 0xffff, v2, v20
	v_and_or_b32 v1, 0xffff, v3, v1
	v_lshl_or_b32 v31, v29, 16, v31
	v_lshl_or_b32 v29, v32, 16, v33
	v_and_or_b32 v3, 0xffff, v4, v13
	;;#ASMSTART
	v_pk_mul_f16 v2, v31, v2;

	;;#ASMEND
	;;#ASMSTART
	v_pk_mul_f16 v1, v29, v1;

	;;#ASMEND
	v_lshl_or_b32 v32, v28, 16, v34
	v_lshl_or_b32 v33, v15, 16, v30
	;;#ASMSTART
	v_pk_mul_f16 v3, v32, v3;

	;;#ASMEND
	;;#ASMSTART
	v_pk_mul_f16 v4, v33, v5;

	;;#ASMEND
	;;#ASMSTART
	v_pk_add_f16 v1, v2, v1;

	;;#ASMEND
	;;#ASMSTART
	v_pk_add_f16 v1, v1, v3;
	;; [unrolled: 4-line block ×3, first 2 shown]

	;;#ASMEND
	v_and_b32_e32 v2, 0xffff, v1
	v_lshrrev_b32_e32 v1, 16, v1
	;;#ASMSTART
	v_cvt_f32_f16 v28, v2;
	;;#ASMEND
	;;#ASMSTART
	v_cvt_f32_f16 v30, v1;
	;;#ASMEND
	global_load_b128 v[2:5], v[18:19], off offset:512
	s_wait_loadcnt 0x0
	v_dual_lshrrev_b32 v1, 16, v3 :: v_dual_lshrrev_b32 v20, 16, v2
	v_lshrrev_b32_e32 v13, 16, v4
	s_and_saveexec_b32 s19, s0
	s_cbranch_execz .LBB58_55
; %bb.54:                               ;   in Loop: Header=BB58_50 Depth=1
	v_dual_add_nc_u32 v15, 2, v6 :: v_dual_bitop2_b32 v34, 3, v6 bitop3:0x54
	v_cmp_gt_i32_e64 s1, s31, v6
	v_add_nc_u32_e32 v36, 7, v6
	s_delay_alu instid0(VALU_DEP_2) | instskip(NEXT) | instid1(VALU_DEP_4)
	v_cndmask_b32_e64 v2, 0, v2, s1
	v_cmp_gt_i32_e64 s1, s31, v15
	s_delay_alu instid0(VALU_DEP_1) | instskip(SKIP_2) | instid1(VALU_DEP_2)
	v_dual_add_nc_u32 v15, 4, v6 :: v_dual_cndmask_b32 v3, 0, v3, s1
	v_cmp_gt_i32_e64 s1, s14, v34
	v_dual_add_nc_u32 v34, 6, v6 :: v_dual_bitop2_b32 v35, 1, v6 bitop3:0x54
	v_cndmask_b32_e64 v1, 0, v1, s1
	s_delay_alu instid0(VALU_DEP_2) | instskip(SKIP_2) | instid1(VALU_DEP_3)
	v_cmp_gt_i32_e64 s1, s31, v35
	v_and_b32_e32 v35, 0xffff, v5
	v_and_b32_e32 v5, 0xffff0000, v5
	v_cndmask_b32_e64 v20, 0, v20, s1
	v_cmp_gt_i32_e64 s1, s31, v34
	s_delay_alu instid0(VALU_DEP_1) | instskip(SKIP_1) | instid1(VALU_DEP_1)
	v_dual_add_nc_u32 v37, 5, v6 :: v_dual_cndmask_b32 v34, 0, v35, s1
	v_cmp_gt_i32_e64 s1, s31, v36
	v_cndmask_b32_e64 v5, 0, v5, s1
	v_cmp_gt_i32_e64 s1, s31, v15
	s_delay_alu instid0(VALU_DEP_1) | instskip(SKIP_1) | instid1(VALU_DEP_4)
	v_cndmask_b32_e64 v4, 0, v4, s1
	v_cmp_gt_i32_e64 s1, s31, v37
	v_or_b32_e32 v5, v34, v5
	s_delay_alu instid0(VALU_DEP_2)
	v_cndmask_b32_e64 v13, 0, v13, s1
.LBB58_55:                              ;   in Loop: Header=BB58_50 Depth=1
	s_or_b32 exec_lo, exec_lo, s19
	v_dual_lshlrev_b32 v15, 16, v20 :: v_dual_lshlrev_b32 v1, 16, v1
	s_delay_alu instid0(VALU_DEP_2) | instskip(NEXT) | instid1(VALU_DEP_2)
	v_lshlrev_b32_e32 v13, 16, v13
	v_and_or_b32 v2, 0xffff, v2, v15
	s_delay_alu instid0(VALU_DEP_3) | instskip(NEXT) | instid1(VALU_DEP_3)
	v_and_or_b32 v1, 0xffff, v3, v1
	v_and_or_b32 v3, 0xffff, v4, v13
	;;#ASMSTART
	v_pk_mul_f16 v2, v31, v2;

	;;#ASMEND
	;;#ASMSTART
	v_pk_mul_f16 v1, v29, v1;

	;;#ASMEND
	;; [unrolled: 4-line block ×4, first 2 shown]
	;;#ASMSTART
	v_pk_add_f16 v1, v2, v1;

	;;#ASMEND
	;;#ASMSTART
	v_pk_add_f16 v1, v1, v3;

	;;#ASMEND
	;; [unrolled: 4-line block ×3, first 2 shown]
	v_and_b32_e32 v2, 0xffff, v1
	v_lshrrev_b32_e32 v1, 16, v1
	;;#ASMSTART
	v_cvt_f32_f16 v20, v2;
	;;#ASMEND
	;;#ASMSTART
	v_cvt_f32_f16 v34, v1;
	;;#ASMEND
	global_load_b128 v[2:5], v[18:19], off offset:1024
	s_wait_loadcnt 0x0
	v_dual_lshrrev_b32 v1, 16, v3 :: v_dual_lshrrev_b32 v18, 16, v2
	v_lshrrev_b32_e32 v13, 16, v4
	s_and_saveexec_b32 s19, s0
	s_cbranch_execz .LBB58_57
; %bb.56:                               ;   in Loop: Header=BB58_50 Depth=1
	v_dual_add_nc_u32 v15, 2, v6 :: v_dual_bitop2_b32 v19, 3, v6 bitop3:0x54
	v_cmp_gt_i32_e64 s1, s31, v6
	v_dual_add_nc_u32 v36, 7, v6 :: v_dual_add_nc_u32 v37, 5, v6
	s_delay_alu instid0(VALU_DEP_2) | instskip(NEXT) | instid1(VALU_DEP_4)
	v_cndmask_b32_e64 v2, 0, v2, s1
	v_cmp_gt_i32_e64 s1, s31, v15
	s_delay_alu instid0(VALU_DEP_1) | instskip(SKIP_2) | instid1(VALU_DEP_2)
	v_dual_add_nc_u32 v15, 4, v6 :: v_dual_cndmask_b32 v3, 0, v3, s1
	v_cmp_gt_i32_e64 s1, s14, v19
	v_dual_add_nc_u32 v19, 6, v6 :: v_dual_bitop2_b32 v35, 1, v6 bitop3:0x54
	v_cndmask_b32_e64 v1, 0, v1, s1
	s_delay_alu instid0(VALU_DEP_2) | instskip(SKIP_2) | instid1(VALU_DEP_3)
	v_cmp_gt_i32_e64 s1, s31, v35
	v_and_b32_e32 v35, 0xffff, v5
	v_and_b32_e32 v5, 0xffff0000, v5
	v_cndmask_b32_e64 v18, 0, v18, s1
	v_cmp_gt_i32_e64 s1, s31, v19
	s_delay_alu instid0(VALU_DEP_1) | instskip(SKIP_1) | instid1(VALU_DEP_1)
	v_cndmask_b32_e64 v19, 0, v35, s1
	v_cmp_gt_i32_e64 s1, s31, v36
	v_cndmask_b32_e64 v5, 0, v5, s1
	v_cmp_gt_i32_e64 s1, s31, v15
	s_delay_alu instid0(VALU_DEP_1) | instskip(SKIP_1) | instid1(VALU_DEP_4)
	v_cndmask_b32_e64 v4, 0, v4, s1
	v_cmp_gt_i32_e64 s1, s31, v37
	v_or_b32_e32 v5, v19, v5
	s_delay_alu instid0(VALU_DEP_2)
	v_cndmask_b32_e64 v13, 0, v13, s1
.LBB58_57:                              ;   in Loop: Header=BB58_50 Depth=1
	s_or_b32 exec_lo, exec_lo, s19
	v_dual_lshlrev_b32 v15, 16, v18 :: v_dual_lshlrev_b32 v1, 16, v1
	s_delay_alu instid0(VALU_DEP_2) | instskip(NEXT) | instid1(VALU_DEP_2)
	v_lshlrev_b32_e32 v13, 16, v13
	v_and_or_b32 v2, 0xffff, v2, v15
	s_delay_alu instid0(VALU_DEP_3) | instskip(NEXT) | instid1(VALU_DEP_3)
	v_and_or_b32 v1, 0xffff, v3, v1
	v_and_or_b32 v3, 0xffff, v4, v13
	;;#ASMSTART
	v_pk_mul_f16 v2, v31, v2;

	;;#ASMEND
	;;#ASMSTART
	v_pk_mul_f16 v1, v29, v1;

	;;#ASMEND
	;; [unrolled: 4-line block ×4, first 2 shown]
	;;#ASMSTART
	v_pk_add_f16 v1, v2, v1;

	;;#ASMEND
	;;#ASMSTART
	v_pk_add_f16 v1, v1, v3;

	;;#ASMEND
	;; [unrolled: 4-line block ×3, first 2 shown]
	v_and_b32_e32 v2, 0xffff, v1
	v_lshrrev_b32_e32 v1, 16, v1
	;;#ASMSTART
	v_cvt_f32_f16 v18, v2;
	;;#ASMEND
	;;#ASMSTART
	v_cvt_f32_f16 v19, v1;
	;;#ASMEND
	s_and_saveexec_b32 s1, vcc_lo
	s_cbranch_execz .LBB58_48
; %bb.58:                               ;   in Loop: Header=BB58_50 Depth=1
	v_mov_b32_e32 v15, v7
	s_delay_alu instid0(VALU_DEP_1)
	v_add_nc_u64_e32 v[2:3], v[16:17], v[14:15]
	global_load_b128 v[2:5], v[2:3], off
	s_wait_loadcnt 0x0
	v_dual_lshrrev_b32 v1, 16, v3 :: v_dual_lshrrev_b32 v16, 16, v2
	v_lshrrev_b32_e32 v13, 16, v4
	s_and_saveexec_b32 s19, s0
	s_cbranch_execz .LBB58_47
; %bb.59:                               ;   in Loop: Header=BB58_50 Depth=1
	v_dual_add_nc_u32 v15, 2, v6 :: v_dual_bitop2_b32 v17, 3, v6 bitop3:0x54
	v_cmp_gt_i32_e64 s0, s31, v6
	v_add_nc_u32_e32 v36, 7, v6
	s_delay_alu instid0(VALU_DEP_2) | instskip(NEXT) | instid1(VALU_DEP_4)
	v_cndmask_b32_e64 v2, 0, v2, s0
	v_cmp_gt_i32_e64 s0, s31, v15
	s_delay_alu instid0(VALU_DEP_1) | instskip(SKIP_2) | instid1(VALU_DEP_2)
	v_dual_add_nc_u32 v15, 4, v6 :: v_dual_cndmask_b32 v3, 0, v3, s0
	v_cmp_gt_i32_e64 s0, s14, v17
	v_dual_add_nc_u32 v17, 6, v6 :: v_dual_bitop2_b32 v35, 1, v6 bitop3:0x54
	v_cndmask_b32_e64 v1, 0, v1, s0
	s_delay_alu instid0(VALU_DEP_2) | instskip(SKIP_2) | instid1(VALU_DEP_3)
	v_cmp_gt_i32_e64 s0, s31, v35
	v_and_b32_e32 v35, 0xffff, v5
	v_and_b32_e32 v5, 0xffff0000, v5
	v_cndmask_b32_e64 v16, 0, v16, s0
	v_cmp_gt_i32_e64 s0, s31, v17
	s_delay_alu instid0(VALU_DEP_1) | instskip(SKIP_1) | instid1(VALU_DEP_1)
	v_dual_add_nc_u32 v37, 5, v6 :: v_dual_cndmask_b32 v17, 0, v35, s0
	v_cmp_gt_i32_e64 s0, s31, v36
	v_cndmask_b32_e64 v5, 0, v5, s0
	v_cmp_gt_i32_e64 s0, s31, v15
	s_delay_alu instid0(VALU_DEP_1) | instskip(SKIP_1) | instid1(VALU_DEP_4)
	v_cndmask_b32_e64 v4, 0, v4, s0
	v_cmp_gt_i32_e64 s0, s31, v37
	v_or_b32_e32 v5, v17, v5
	s_delay_alu instid0(VALU_DEP_2)
	v_cndmask_b32_e64 v13, 0, v13, s0
	s_branch .LBB58_47
.LBB58_60:
	s_or_b32 exec_lo, exec_lo, s15
.LBB58_61:
	s_delay_alu instid0(SALU_CYCLE_1) | instskip(SKIP_2) | instid1(SALU_CYCLE_1)
	s_or_b32 exec_lo, exec_lo, s24
	v_and_b32_e32 v1, 0x3c0, v0
	s_movk_i32 s0, 0x1c0
	v_mad_u32_u24 v6, v21, s0, 0x100
	s_barrier_signal -1
	s_delay_alu instid0(VALU_DEP_2)
	v_cmp_eq_u32_e32 vcc_lo, 64, v1
	v_or_b32_e32 v1, 0x60, v0
	s_barrier_wait -1
	s_and_saveexec_b32 s0, vcc_lo
	s_cbranch_execz .LBB58_64
; %bb.62:
	v_add_nc_u32_e32 v2, 0xfffffc80, v6
	v_cmp_gt_u32_e32 vcc_lo, 0x70, v1
	s_delay_alu instid0(VALU_DEP_2)
	v_lshl_add_u32 v3, v22, 2, v2
	ds_store_2addr_b32 v3, v8, v9 offset1:32
	ds_store_b32 v3, v26 offset:256
	s_and_b32 exec_lo, exec_lo, vcc_lo
; %bb.63:
	v_lshl_add_u32 v2, v1, 2, v2
	ds_store_b32 v2, v27
.LBB58_64:
	s_or_b32 exec_lo, exec_lo, s0
	v_lshl_add_u32 v7, v22, 2, v6
	s_mov_b32 s0, exec_lo
	s_wait_dscnt 0x0
	s_barrier_signal -1
	s_barrier_wait -1
	v_cmpx_gt_u32_e32 64, v0
	s_cbranch_execz .LBB58_68
; %bb.65:
	v_lshl_or_b32 v4, v0, 2, 0x80
	ds_load_2addr_stride64_b32 v[2:3], v7 offset1:1
	s_mov_b32 s1, exec_lo
	v_add_nc_u32_e32 v4, v6, v4
	ds_load_b32 v5, v4
	s_wait_dscnt 0x1
	v_mov_b32_e32 v4, v2
	v_cmpx_gt_u32_e32 0x70, v1
	s_cbranch_execz .LBB58_67
; %bb.66:
	v_lshl_add_u32 v2, v1, 2, v6
	ds_load_b32 v2, v2
	s_wait_dscnt 0x0
	v_add_f32_e32 v27, v27, v2
.LBB58_67:
	s_or_b32 exec_lo, exec_lo, s1
	s_wait_dscnt 0x0
	v_pk_add_f32 v[8:9], v[8:9], v[4:5]
	v_add_f32_e32 v26, v26, v3
.LBB58_68:
	s_or_b32 exec_lo, exec_lo, s0
	v_and_b32_e32 v2, 0x3e0, v0
	s_mov_b32 s0, exec_lo
	s_barrier_signal -1
	s_barrier_wait -1
	s_delay_alu instid0(VALU_DEP_1)
	v_cmpx_eq_u32_e32 32, v2
	s_cbranch_execz .LBB58_71
; %bb.69:
	v_lshl_add_u32 v2, v22, 2, 0x100
	v_cmp_gt_u32_e32 vcc_lo, 0x70, v1
	ds_store_b32 v2, v8
	ds_store_b32 v23, v9
	ds_store_b32 v2, v26 offset:256
	s_and_b32 exec_lo, exec_lo, vcc_lo
; %bb.70:
	v_lshl_add_u32 v2, v1, 2, 0x100
	ds_store_b32 v2, v27
.LBB58_71:
	s_or_b32 exec_lo, exec_lo, s0
	v_cmp_gt_u32_e32 vcc_lo, 32, v0
	s_wait_dscnt 0x0
	s_barrier_signal -1
	s_barrier_wait -1
	s_and_saveexec_b32 s1, vcc_lo
	s_cbranch_execz .LBB58_75
; %bb.72:
	v_lshl_add_u32 v6, v0, 2, v6
	s_mov_b32 s2, exec_lo
	ds_load_2addr_b32 v[2:3], v6 offset0:32 offset1:64
	ds_load_b32 v4, v7
	s_wait_dscnt 0x1
	v_mov_b32_e32 v5, v2
	v_cmpx_gt_u32_e32 0x70, v1
	s_cbranch_execz .LBB58_74
; %bb.73:
	ds_load_b32 v2, v6 offset:384
	s_wait_dscnt 0x0
	v_add_f32_e32 v27, v27, v2
.LBB58_74:
	s_or_b32 exec_lo, exec_lo, s2
	s_wait_dscnt 0x0
	v_pk_add_f32 v[8:9], v[8:9], v[4:5]
	v_add_f32_e32 v26, v26, v3
.LBB58_75:
	s_or_b32 exec_lo, exec_lo, s1
	s_barrier_signal -1
	s_barrier_wait -1
	s_and_saveexec_b32 s0, vcc_lo
	s_cbranch_execz .LBB58_78
; %bb.76:
	s_mul_i32 s1, s30, s7
	s_mul_i32 s0, s7, s6
	;; [unrolled: 1-line block ×3, first 2 shown]
	s_bfe_u32 s7, ttmp6, 0x40014
	s_mul_i32 s2, s1, 0x70
	s_lshr_b32 s6, ttmp7, 16
	s_ashr_i32 s3, s2, 31
	s_add_co_i32 s7, s7, 1
	s_lshl_b64 s[2:3], s[2:3], 1
	s_ashr_i32 s1, s0, 31
	s_wait_kmcnt 0x0
	s_add_nc_u64 s[2:3], s[4:5], s[2:3]
	s_mul_i32 s4, s6, s7
	s_bfe_u32 s5, ttmp6, 0x40008
	s_lshl_b64 s[0:1], s[0:1], 1
	s_add_co_i32 s5, s5, s4
	s_cmp_eq_u32 s28, 0
	s_add_nc_u64 s[0:1], s[2:3], s[0:1]
	s_cselect_b32 s2, s6, s5
	s_mov_b32 s3, 0
	s_mulk_i32 s2, 0xe0
	v_cmp_gt_u32_e32 vcc_lo, 0x70, v1
	s_add_nc_u64 s[0:1], s[0:1], s[2:3]
	;;#ASMSTART
	v_cvt_f16_f32 v2, v8;

	;;#ASMEND
	global_store_b16 v0, v2, s[0:1] scale_offset
	;;#ASMSTART
	v_cvt_f16_f32 v1, v9;

	;;#ASMEND
	global_store_b16 v0, v1, s[0:1] offset:64 scale_offset
	s_wait_xcnt 0x0
	;;#ASMSTART
	v_cvt_f16_f32 v1, v26;

	;;#ASMEND
	global_store_b16 v0, v1, s[0:1] offset:128 scale_offset
	s_wait_xcnt 0x0
	s_and_b32 exec_lo, exec_lo, vcc_lo
	s_cbranch_execz .LBB58_78
; %bb.77:
	v_dual_mov_b32 v1, 0 :: v_dual_lshlrev_b32 v0, 1, v0
	;;#ASMSTART
	v_cvt_f16_f32 v2, v27;

	;;#ASMEND
	s_delay_alu instid0(VALU_DEP_1)
	v_add_nc_u64_e32 v[0:1], s[0:1], v[0:1]
	global_store_b16 v[0:1], v2, off offset:192
.LBB58_78:
	s_sendmsg sendmsg(MSG_DEALLOC_VGPRS)
	s_endpgm
	.section	.rodata,"a",@progbits
	.p2align	6, 0x0
	.amdhsa_kernel _ZN4vllm25paged_attention_v1_kernelIttLi112ELi8ELi128ELNS_18Fp8KVCacheDataTypeE0ELb1EEEvPT_PKS2_PKT0_S8_ifPKiSA_iPKfiiiSC_SC_iiiii
		.amdhsa_group_segment_fixed_size 256
		.amdhsa_private_segment_fixed_size 0
		.amdhsa_kernarg_size 384
		.amdhsa_user_sgpr_count 2
		.amdhsa_user_sgpr_dispatch_ptr 0
		.amdhsa_user_sgpr_queue_ptr 0
		.amdhsa_user_sgpr_kernarg_segment_ptr 1
		.amdhsa_user_sgpr_dispatch_id 0
		.amdhsa_user_sgpr_kernarg_preload_length 0
		.amdhsa_user_sgpr_kernarg_preload_offset 0
		.amdhsa_user_sgpr_private_segment_size 0
		.amdhsa_wavefront_size32 1
		.amdhsa_uses_dynamic_stack 0
		.amdhsa_enable_private_segment 0
		.amdhsa_system_sgpr_workgroup_id_x 1
		.amdhsa_system_sgpr_workgroup_id_y 1
		.amdhsa_system_sgpr_workgroup_id_z 1
		.amdhsa_system_sgpr_workgroup_info 0
		.amdhsa_system_vgpr_workitem_id 0
		.amdhsa_next_free_vgpr 68
		.amdhsa_next_free_sgpr 40
		.amdhsa_named_barrier_count 0
		.amdhsa_reserve_vcc 1
		.amdhsa_float_round_mode_32 0
		.amdhsa_float_round_mode_16_64 0
		.amdhsa_float_denorm_mode_32 3
		.amdhsa_float_denorm_mode_16_64 3
		.amdhsa_fp16_overflow 0
		.amdhsa_memory_ordered 1
		.amdhsa_forward_progress 1
		.amdhsa_inst_pref_size 54
		.amdhsa_round_robin_scheduling 0
		.amdhsa_exception_fp_ieee_invalid_op 0
		.amdhsa_exception_fp_denorm_src 0
		.amdhsa_exception_fp_ieee_div_zero 0
		.amdhsa_exception_fp_ieee_overflow 0
		.amdhsa_exception_fp_ieee_underflow 0
		.amdhsa_exception_fp_ieee_inexact 0
		.amdhsa_exception_int_div_zero 0
	.end_amdhsa_kernel
	.section	.text._ZN4vllm25paged_attention_v1_kernelIttLi112ELi8ELi128ELNS_18Fp8KVCacheDataTypeE0ELb1EEEvPT_PKS2_PKT0_S8_ifPKiSA_iPKfiiiSC_SC_iiiii,"axG",@progbits,_ZN4vllm25paged_attention_v1_kernelIttLi112ELi8ELi128ELNS_18Fp8KVCacheDataTypeE0ELb1EEEvPT_PKS2_PKT0_S8_ifPKiSA_iPKfiiiSC_SC_iiiii,comdat
.Lfunc_end58:
	.size	_ZN4vllm25paged_attention_v1_kernelIttLi112ELi8ELi128ELNS_18Fp8KVCacheDataTypeE0ELb1EEEvPT_PKS2_PKT0_S8_ifPKiSA_iPKfiiiSC_SC_iiiii, .Lfunc_end58-_ZN4vllm25paged_attention_v1_kernelIttLi112ELi8ELi128ELNS_18Fp8KVCacheDataTypeE0ELb1EEEvPT_PKS2_PKT0_S8_ifPKiSA_iPKfiiiSC_SC_iiiii
                                        ; -- End function
	.set _ZN4vllm25paged_attention_v1_kernelIttLi112ELi8ELi128ELNS_18Fp8KVCacheDataTypeE0ELb1EEEvPT_PKS2_PKT0_S8_ifPKiSA_iPKfiiiSC_SC_iiiii.num_vgpr, 68
	.set _ZN4vllm25paged_attention_v1_kernelIttLi112ELi8ELi128ELNS_18Fp8KVCacheDataTypeE0ELb1EEEvPT_PKS2_PKT0_S8_ifPKiSA_iPKfiiiSC_SC_iiiii.num_agpr, 0
	.set _ZN4vllm25paged_attention_v1_kernelIttLi112ELi8ELi128ELNS_18Fp8KVCacheDataTypeE0ELb1EEEvPT_PKS2_PKT0_S8_ifPKiSA_iPKfiiiSC_SC_iiiii.numbered_sgpr, 40
	.set _ZN4vllm25paged_attention_v1_kernelIttLi112ELi8ELi128ELNS_18Fp8KVCacheDataTypeE0ELb1EEEvPT_PKS2_PKT0_S8_ifPKiSA_iPKfiiiSC_SC_iiiii.num_named_barrier, 0
	.set _ZN4vllm25paged_attention_v1_kernelIttLi112ELi8ELi128ELNS_18Fp8KVCacheDataTypeE0ELb1EEEvPT_PKS2_PKT0_S8_ifPKiSA_iPKfiiiSC_SC_iiiii.private_seg_size, 0
	.set _ZN4vllm25paged_attention_v1_kernelIttLi112ELi8ELi128ELNS_18Fp8KVCacheDataTypeE0ELb1EEEvPT_PKS2_PKT0_S8_ifPKiSA_iPKfiiiSC_SC_iiiii.uses_vcc, 1
	.set _ZN4vllm25paged_attention_v1_kernelIttLi112ELi8ELi128ELNS_18Fp8KVCacheDataTypeE0ELb1EEEvPT_PKS2_PKT0_S8_ifPKiSA_iPKfiiiSC_SC_iiiii.uses_flat_scratch, 0
	.set _ZN4vllm25paged_attention_v1_kernelIttLi112ELi8ELi128ELNS_18Fp8KVCacheDataTypeE0ELb1EEEvPT_PKS2_PKT0_S8_ifPKiSA_iPKfiiiSC_SC_iiiii.has_dyn_sized_stack, 0
	.set _ZN4vllm25paged_attention_v1_kernelIttLi112ELi8ELi128ELNS_18Fp8KVCacheDataTypeE0ELb1EEEvPT_PKS2_PKT0_S8_ifPKiSA_iPKfiiiSC_SC_iiiii.has_recursion, 0
	.set _ZN4vllm25paged_attention_v1_kernelIttLi112ELi8ELi128ELNS_18Fp8KVCacheDataTypeE0ELb1EEEvPT_PKS2_PKT0_S8_ifPKiSA_iPKfiiiSC_SC_iiiii.has_indirect_call, 0
	.section	.AMDGPU.csdata,"",@progbits
; Kernel info:
; codeLenInByte = 6788
; TotalNumSgprs: 42
; NumVgprs: 68
; ScratchSize: 0
; MemoryBound: 0
; FloatMode: 240
; IeeeMode: 1
; LDSByteSize: 256 bytes/workgroup (compile time only)
; SGPRBlocks: 0
; VGPRBlocks: 4
; NumSGPRsForWavesPerEU: 42
; NumVGPRsForWavesPerEU: 68
; NamedBarCnt: 0
; Occupancy: 12
; WaveLimiterHint : 1
; COMPUTE_PGM_RSRC2:SCRATCH_EN: 0
; COMPUTE_PGM_RSRC2:USER_SGPR: 2
; COMPUTE_PGM_RSRC2:TRAP_HANDLER: 0
; COMPUTE_PGM_RSRC2:TGID_X_EN: 1
; COMPUTE_PGM_RSRC2:TGID_Y_EN: 1
; COMPUTE_PGM_RSRC2:TGID_Z_EN: 1
; COMPUTE_PGM_RSRC2:TIDIG_COMP_CNT: 0
	.section	.text._ZN4vllm25paged_attention_v1_kernelIttLi120ELi8ELi128ELNS_18Fp8KVCacheDataTypeE0ELb1EEEvPT_PKS2_PKT0_S8_ifPKiSA_iPKfiiiSC_SC_iiiii,"axG",@progbits,_ZN4vllm25paged_attention_v1_kernelIttLi120ELi8ELi128ELNS_18Fp8KVCacheDataTypeE0ELb1EEEvPT_PKS2_PKT0_S8_ifPKiSA_iPKfiiiSC_SC_iiiii,comdat
	.protected	_ZN4vllm25paged_attention_v1_kernelIttLi120ELi8ELi128ELNS_18Fp8KVCacheDataTypeE0ELb1EEEvPT_PKS2_PKT0_S8_ifPKiSA_iPKfiiiSC_SC_iiiii ; -- Begin function _ZN4vllm25paged_attention_v1_kernelIttLi120ELi8ELi128ELNS_18Fp8KVCacheDataTypeE0ELb1EEEvPT_PKS2_PKT0_S8_ifPKiSA_iPKfiiiSC_SC_iiiii
	.globl	_ZN4vllm25paged_attention_v1_kernelIttLi120ELi8ELi128ELNS_18Fp8KVCacheDataTypeE0ELb1EEEvPT_PKS2_PKT0_S8_ifPKiSA_iPKfiiiSC_SC_iiiii
	.p2align	8
	.type	_ZN4vllm25paged_attention_v1_kernelIttLi120ELi8ELi128ELNS_18Fp8KVCacheDataTypeE0ELb1EEEvPT_PKS2_PKT0_S8_ifPKiSA_iPKfiiiSC_SC_iiiii,@function
_ZN4vllm25paged_attention_v1_kernelIttLi120ELi8ELi128ELNS_18Fp8KVCacheDataTypeE0ELb1EEEvPT_PKS2_PKT0_S8_ifPKiSA_iPKfiiiSC_SC_iiiii: ; @_ZN4vllm25paged_attention_v1_kernelIttLi120ELi8ELi128ELNS_18Fp8KVCacheDataTypeE0ELb1EEEvPT_PKS2_PKT0_S8_ifPKiSA_iPKfiiiSC_SC_iiiii
; %bb.0:
	s_load_b64 s[22:23], s[0:1], 0x20
	s_bfe_u32 s3, ttmp6, 0x4000c
	s_bfe_u32 s4, ttmp6, 0x40010
	s_and_b32 s6, ttmp7, 0xffff
	s_add_co_i32 s3, s3, 1
	s_add_co_i32 s4, s4, 1
	s_and_b32 s2, ttmp6, 15
	s_bfe_u32 s5, ttmp6, 0x40004
	s_mul_i32 s3, ttmp9, s3
	s_mul_i32 s4, s6, s4
	s_getreg_b32 s28, hwreg(HW_REG_IB_STS2, 6, 4)
	s_add_co_i32 s2, s2, s3
	s_add_co_i32 s3, s5, s4
	s_cmp_eq_u32 s28, 0
	s_clause 0x1
	s_load_b32 s29, s[0:1], 0x80
	s_load_b64 s[4:5], s[0:1], 0x30
	s_cselect_b32 s30, s6, s3
	s_cselect_b32 s2, ttmp9, s2
	s_mov_b32 s17, 0
	s_delay_alu instid0(SALU_CYCLE_1) | instskip(SKIP_2) | instid1(SALU_CYCLE_1)
	s_mov_b32 s36, s17
	s_wait_kmcnt 0x0
	s_abs_i32 s3, s22
	s_cvt_f32_u32 s6, s3
	s_sub_co_i32 s7, 0, s3
	s_delay_alu instid0(SALU_CYCLE_2) | instskip(SKIP_2) | instid1(TRANS32_DEP_1)
	v_rcp_iflag_f32_e32 v1, s6
	s_abs_i32 s8, s29
	v_nop
	v_readfirstlane_b32 s6, v1
	s_mul_f32 s6, s6, 0x4f7ffffe
	s_delay_alu instid0(SALU_CYCLE_3) | instskip(NEXT) | instid1(SALU_CYCLE_3)
	s_cvt_u32_f32 s6, s6
	s_mul_i32 s7, s7, s6
	s_delay_alu instid0(SALU_CYCLE_1) | instskip(NEXT) | instid1(SALU_CYCLE_1)
	s_mul_hi_u32 s7, s6, s7
	s_add_co_i32 s6, s6, s7
	s_xor_b32 s7, s29, s22
	s_mul_hi_u32 s6, s8, s6
	s_ashr_i32 s7, s7, 31
	s_mul_i32 s9, s6, s3
	s_delay_alu instid0(SALU_CYCLE_1)
	s_sub_co_i32 s8, s8, s9
	s_add_co_i32 s9, s6, 1
	s_sub_co_i32 s10, s8, s3
	s_cmp_ge_u32 s8, s3
	s_cselect_b32 s6, s9, s6
	s_cselect_b32 s8, s10, s8
	s_add_co_i32 s9, s6, 1
	s_cmp_ge_u32 s8, s3
	s_cselect_b32 s3, s9, s6
	s_load_b64 s[8:9], s[0:1], 0x40
	s_xor_b32 s3, s3, s7
	s_abs_i32 s16, s2
	s_sub_co_i32 s10, s3, s7
	s_mov_b32 s7, s17
	s_abs_i32 s15, s10
	s_delay_alu instid0(SALU_CYCLE_1) | instskip(SKIP_1) | instid1(SALU_CYCLE_2)
	s_cvt_f32_u32 s3, s15
	s_sub_co_i32 s6, 0, s15
	v_rcp_iflag_f32_e32 v1, s3
	v_nop
	s_delay_alu instid0(TRANS32_DEP_1) | instskip(SKIP_1) | instid1(SALU_CYCLE_3)
	v_readfirstlane_b32 s3, v1
	s_mul_f32 s3, s3, 0x4f7ffffe
	s_cvt_u32_f32 s3, s3
	s_delay_alu instid0(SALU_CYCLE_3) | instskip(NEXT) | instid1(SALU_CYCLE_1)
	s_mul_i32 s6, s6, s3
	s_mul_hi_u32 s6, s3, s6
	s_delay_alu instid0(SALU_CYCLE_1)
	s_add_co_i32 s6, s3, s6
	s_wait_kmcnt 0x0
	s_cmp_eq_u64 s[8:9], 0
	s_cbranch_scc1 .LBB59_2
; %bb.1:
	s_ashr_i32 s3, s2, 31
	s_delay_alu instid0(SALU_CYCLE_1) | instskip(NEXT) | instid1(SALU_CYCLE_1)
	s_lshl_b64 s[12:13], s[2:3], 2
	s_add_nc_u64 s[8:9], s[8:9], s[12:13]
	s_load_b32 s36, s[8:9], 0x0
.LBB59_2:
	s_load_b32 s31, s[4:5], s30 offset:0x0 scale_offset
	s_load_b96 s[12:14], s[0:1], 0x48
	v_and_b32_e32 v4, 3, v0
	s_wait_xcnt 0x0
	s_mul_u64 s[4:5], s[16:17], s[6:7]
	s_ashr_i32 s3, s2, 31
	s_ashr_i32 s18, s10, 31
	s_mul_i32 s6, s2, 0x78
	s_mov_b32 s4, exec_lo
	v_cmpx_gt_u32_e32 60, v0
	s_cbranch_execz .LBB59_4
; %bb.3:
	s_load_b64 s[8:9], s[0:1], 0x8
	s_wait_kmcnt 0x0
	s_mul_i32 s10, s12, s30
	s_ashr_i32 s7, s6, 31
	s_ashr_i32 s11, s10, 31
	v_and_b32_e32 v2, 0x3fc, v0
	s_lshl_b64 s[10:11], s[10:11], 1
	s_delay_alu instid0(VALU_DEP_1) | instskip(SKIP_2) | instid1(SALU_CYCLE_1)
	v_mad_u32_u24 v2, v4, 60, v2
	s_add_nc_u64 s[8:9], s[8:9], s[10:11]
	s_lshl_b64 s[10:11], s[6:7], 1
	s_add_nc_u64 s[8:9], s[8:9], s[10:11]
	global_load_b32 v1, v0, s[8:9] scale_offset
	s_wait_loadcnt 0x0
	ds_store_b32 v2, v1
.LBB59_4:
	s_or_b32 exec_lo, exec_lo, s4
	s_load_b128 s[8:11], s[0:1], 0x68
	s_mul_i32 s4, s5, s15
	s_xor_b32 s3, s3, s18
	s_sub_co_i32 s4, s16, s4
	s_add_co_i32 s7, s5, 1
	s_wait_kmcnt 0x0
	s_sub_co_i32 s12, s4, s15
	s_cmp_ge_u32 s4, s15
	s_mov_b32 s18, -1
	s_cselect_b32 s5, s7, s5
	s_cselect_b32 s4, s12, s4
	s_add_co_i32 s12, s5, 1
	s_cmp_ge_u32 s4, s15
	s_load_b32 s7, s[0:1], 0x78
	s_cselect_b32 s4, s12, s5
	s_add_co_i32 s15, s31, -1
	s_xor_b32 s4, s4, s3
	s_wait_dscnt 0x0
	s_sub_co_i32 s3, s4, s3
	s_barrier_signal -1
	s_barrier_wait -1
	s_abs_i32 s12, s11
	s_delay_alu instid0(SALU_CYCLE_1) | instskip(NEXT) | instid1(SALU_CYCLE_3)
	s_cvt_f32_u32 s5, s12
                                        ; implicit-def: $sgpr33
	v_rcp_iflag_f32_e32 v1, s5
	v_nop
	s_delay_alu instid0(TRANS32_DEP_1) | instskip(SKIP_1) | instid1(SALU_CYCLE_3)
	v_readfirstlane_b32 s5, v1
	s_mul_f32 s4, s5, 0x4f7ffffe
	s_cvt_u32_f32 s16, s4
	s_sub_co_i32 s4, 0, s12
	s_delay_alu instid0(SALU_CYCLE_2)
	s_mul_i32 s5, s4, s16
	s_abs_i32 s4, s15
	s_mul_hi_u32 s17, s16, s5
	s_mov_b32 s5, 0
	s_add_co_i32 s16, s16, s17
	s_wait_kmcnt 0x0
	s_cmp_lt_i32 s7, 0
	s_mov_b32 s17, s5
	s_cbranch_scc0 .LBB59_6
; %bb.5:
	s_mul_i32 s18, s8, s22
	s_delay_alu instid0(SALU_CYCLE_1) | instskip(NEXT) | instid1(SALU_CYCLE_1)
	s_add_co_i32 s18, s3, s18
	s_mul_i32 s18, s18, s7
	s_delay_alu instid0(SALU_CYCLE_1)
	s_sub_co_i32 s33, 1, s18
	s_mov_b32 s18, s5
.LBB59_6:
	s_ashr_i32 s15, s15, 31
	s_ashr_i32 s34, s11, 31
	s_and_not1_b32 vcc_lo, exec_lo, s18
	s_mul_u64 s[24:25], s[4:5], s[16:17]
	s_cbranch_vccnz .LBB59_8
; %bb.7:
	s_mul_i32 s5, s29, s8
	s_delay_alu instid0(SALU_CYCLE_1) | instskip(NEXT) | instid1(SALU_CYCLE_1)
	s_add_co_i32 s2, s5, s2
	s_mul_i32 s2, s2, s7
	s_delay_alu instid0(SALU_CYCLE_1)
	s_add_co_i32 s33, s2, 1
.LBB59_8:
	s_load_b32 s2, s[0:1], 0x38
	s_mul_i32 s7, s25, s12
	s_xor_b32 s5, s15, s34
	s_sub_co_i32 s4, s4, s7
	s_add_co_i32 s8, s25, 1
	s_clause 0x1
	s_load_b64 s[18:19], s[0:1], 0x28
	s_load_b32 s7, s[0:1], 0x88
	v_dual_mov_b32 v12, 0xff7fffff :: v_dual_lshrrev_b32 v21, 5, v0
	v_lshrrev_b32_e32 v1, 3, v0
	v_mbcnt_lo_u32_b32 v7, -1, 0
	s_mul_i32 s14, s3, s14
	s_delay_alu instid0(VALU_DEP_3)
	v_lshlrev_b32_e32 v6, 3, v21
	s_wait_kmcnt 0x0
	s_mul_i32 s20, s2, s30
	s_sub_co_i32 s2, s4, s12
	s_ashr_i32 s21, s20, 31
	s_cmp_ge_u32 s4, s12
	s_cselect_b32 s8, s8, s25
	s_cselect_b32 s2, s2, s4
	s_add_co_i32 s4, s8, 1
	s_cmp_ge_u32 s2, s12
	s_cselect_b32 s2, s4, s8
	s_add_co_i32 s4, s31, 7
	s_delay_alu instid0(SALU_CYCLE_1) | instskip(NEXT) | instid1(SALU_CYCLE_1)
	s_ashr_i32 s8, s4, 31
	s_lshr_b32 s8, s8, 29
	s_delay_alu instid0(SALU_CYCLE_1) | instskip(NEXT) | instid1(SALU_CYCLE_1)
	s_add_co_i32 s4, s4, s8
	s_ashr_i32 s35, s4, 3
	s_xor_b32 s4, s2, s5
	v_cmp_gt_i32_e64 s2, s35, v21
	s_sub_co_i32 s8, s4, s5
	s_and_saveexec_b32 s11, s2
	s_cbranch_execz .LBB59_20
; %bb.9:
	s_load_b64 s[4:5], s[0:1], 0x10
	s_ashr_i32 s15, s14, 31
	s_sub_co_i32 s22, s8, s9
	s_ashr_i32 s25, s13, 31
	s_lshl_b64 s[38:39], s[14:15], 1
	s_cmp_neq_f32 s36, 0
	v_bfe_u32 v10, v0, 2, 3
	v_mov_b32_e32 v3, 0
	v_mul_u32_u24_e32 v11, 60, v4
	s_cselect_b32 vcc_lo, -1, 0
	s_abs_i32 s15, s10
	v_lshlrev_b32_e32 v2, 4, v10
	s_cvt_f32_u32 s3, s15
	v_subrev_nc_u32_e32 v9, s31, v10
	v_lshlrev_b32_e32 v8, 2, v0
	s_sub_co_i32 s26, 0, s15
	v_rcp_iflag_f32_e32 v5, s3
	v_cmp_eq_u32_e64 s3, 0, v4
	v_dual_add_nc_u32 v13, 1, v9 :: v_dual_bitop2_b32 v16, 2, v7 bitop3:0x14
	v_mov_b32_e32 v18, v21
	s_wait_kmcnt 0x0
	s_add_nc_u64 s[4:5], s[4:5], s[38:39]
	v_xor_b32_e32 v17, 1, v7
	v_readfirstlane_b32 s24, v5
	v_add_nc_u64_e32 v[4:5], s[4:5], v[2:3]
	v_dual_lshlrev_b32 v8, 2, v10 :: v_dual_bitop2_b32 v2, 12, v8 bitop3:0x40
	s_lshl_b64 s[4:5], s[20:21], 2
	s_mul_f32 s24, s24, 0x4f7ffffe
	s_add_nc_u64 s[4:5], s[18:19], s[4:5]
	s_mov_b32 s27, 0
	s_delay_alu instid0(VALU_DEP_2)
	v_add_nc_u64_e32 v[4:5], v[4:5], v[2:3]
	v_and_b32_e32 v2, 0x7c, v1
	s_cvt_u32_f32 s37, s24
	v_lshl_or_b32 v12, v21, 5, v8
	v_mov_b32_e32 v15, 0xff7fffff
	s_mov_b32 s24, s13
	v_add_nc_u64_e32 v[8:9], s[4:5], v[2:3]
	s_mul_i32 s26, s26, s37
	v_lshlrev_b32_e32 v2, 3, v21
	v_add_nc_u32_e32 v14, 0x110, v12
	v_mov_b32_e32 v12, 0xff7fffff
	s_mul_hi_u32 s4, s37, s26
	s_delay_alu instid0(SALU_CYCLE_1)
	s_add_co_i32 s26, s37, s4
	s_mov_b32 s37, s27
	s_branch .LBB59_12
.LBB59_10:                              ;   in Loop: Header=BB59_12 Depth=1
	s_or_b32 exec_lo, exec_lo, s38
.LBB59_11:                              ;   in Loop: Header=BB59_12 Depth=1
	s_delay_alu instid0(SALU_CYCLE_1) | instskip(SKIP_4) | instid1(VALU_DEP_4)
	s_or_b32 exec_lo, exec_lo, s5
	v_add_nc_u32_e32 v18, 4, v18
	v_add_nc_u64_e32 v[8:9], 16, v[8:9]
	v_add_nc_u32_e32 v2, 32, v2
	v_add_nc_u32_e32 v14, 0x80, v14
	v_cmp_le_i32_e64 s4, s35, v18
	s_or_b32 s37, s4, s37
	s_delay_alu instid0(SALU_CYCLE_1)
	s_and_not1_b32 exec_lo, exec_lo, s37
	s_cbranch_execz .LBB59_19
.LBB59_12:                              ; =>This Inner Loop Header: Depth=1
	v_mul_u64_e32 v[22:23], s[16:17], v[2:3]
	s_delay_alu instid0(VALU_DEP_1) | instskip(SKIP_2) | instid1(VALU_DEP_2)
	v_mul_lo_u32 v19, v23, s12
	s_wait_dscnt 0x0
	v_add_nc_u32_e32 v20, 1, v23
	v_sub_nc_u32_e32 v19, v2, v19
	s_delay_alu instid0(VALU_DEP_1) | instskip(NEXT) | instid1(VALU_DEP_1)
	v_cmp_le_u32_e64 s4, s12, v19
	v_cndmask_b32_e64 v20, v23, v20, s4
	v_subrev_nc_u32_e32 v22, s12, v19
	v_mov_b32_e32 v23, v3
	s_delay_alu instid0(VALU_DEP_2) | instskip(NEXT) | instid1(VALU_DEP_1)
	v_dual_cndmask_b32 v19, v19, v22, s4 :: v_dual_add_nc_u32 v22, 1, v20
	v_cmp_le_u32_e64 s4, s12, v19
	s_delay_alu instid0(VALU_DEP_1) | instskip(NEXT) | instid1(VALU_DEP_1)
	v_cndmask_b32_e64 v19, v20, v22, s4
	v_xor_b32_e32 v19, s34, v19
	s_delay_alu instid0(VALU_DEP_1) | instskip(NEXT) | instid1(VALU_DEP_1)
	v_subrev_nc_u32_e32 v19, s34, v19
	v_add_nc_u32_e32 v20, s33, v19
	v_cmp_ge_i32_e64 s5, s22, v19
	s_delay_alu instid0(VALU_DEP_2) | instskip(NEXT) | instid1(VALU_DEP_1)
	v_sub_nc_u32_e32 v22, 0, v20
	v_dual_ashrrev_i32 v20, 31, v20 :: v_dual_max_i32 v22, v20, v22
	s_delay_alu instid0(VALU_DEP_1) | instskip(NEXT) | instid1(VALU_DEP_1)
	v_mul_u64_e32 v[24:25], s[26:27], v[22:23]
	v_mul_lo_u32 v23, v25, s15
	s_delay_alu instid0(VALU_DEP_1) | instskip(NEXT) | instid1(VALU_DEP_1)
	v_sub_nc_u32_e32 v22, v22, v23
	v_subrev_nc_u32_e32 v23, s15, v22
	v_cmp_le_u32_e64 s4, s15, v22
	s_delay_alu instid0(VALU_DEP_1) | instskip(NEXT) | instid1(VALU_DEP_1)
	v_cndmask_b32_e64 v22, v22, v23, s4
	v_subrev_nc_u32_e32 v23, s15, v22
	v_cmp_le_u32_e64 s4, s15, v22
	s_delay_alu instid0(VALU_DEP_1) | instskip(NEXT) | instid1(VALU_DEP_1)
	v_cndmask_b32_e64 v22, v22, v23, s4
	v_xor_b32_e32 v22, v22, v20
	s_delay_alu instid0(VALU_DEP_1) | instskip(NEXT) | instid1(VALU_DEP_1)
	v_sub_nc_u32_e32 v20, v22, v20
	v_cmp_ne_u32_e64 s4, 0, v20
	s_and_b32 s4, s4, s5
	s_delay_alu instid0(SALU_CYCLE_1) | instskip(NEXT) | instid1(SALU_CYCLE_1)
	s_and_saveexec_b32 s5, s4
	s_xor_b32 s4, exec_lo, s5
	s_cbranch_execz .LBB59_16
; %bb.13:                               ;   in Loop: Header=BB59_12 Depth=1
	s_and_saveexec_b32 s5, s3
; %bb.14:                               ;   in Loop: Header=BB59_12 Depth=1
	ds_store_b32 v14, v15
; %bb.15:                               ;   in Loop: Header=BB59_12 Depth=1
	s_or_b32 exec_lo, exec_lo, s5
.LBB59_16:                              ;   in Loop: Header=BB59_12 Depth=1
	s_and_not1_saveexec_b32 s5, s4
	s_cbranch_execz .LBB59_11
; %bb.17:                               ;   in Loop: Header=BB59_12 Depth=1
	global_load_b32 v22, v[8:9], off
	v_cmp_gt_i32_e64 s4, 32, v16
	s_wait_loadcnt 0x0
	v_ashrrev_i32_e32 v23, 31, v22
	s_delay_alu instid0(VALU_DEP_1) | instskip(NEXT) | instid1(VALU_DEP_1)
	v_mul_u64_e32 v[22:23], s[24:25], v[22:23]
	v_lshl_add_u64 v[24:25], v[22:23], 1, v[4:5]
	s_clause 0xa
	global_load_b32 v19, v[24:25], off
	global_load_b32 v23, v[24:25], off offset:128
	global_load_b32 v26, v[24:25], off offset:256
	;; [unrolled: 1-line block ×10, first 2 shown]
	ds_load_b32 v20, v11
	s_wait_dscnt 0x0
	v_lshrrev_b32_e32 v36, 16, v20
	v_and_b32_e32 v37, 0xffff, v20
	s_wait_loadcnt 0xa
	v_lshrrev_b32_e32 v38, 16, v19
	v_and_b32_e32 v39, 0xffff, v19
	s_clause 0x3
	global_load_b32 v35, v[24:25], off offset:1408
	global_load_b32 v22, v[24:25], off offset:1536
	;; [unrolled: 1-line block ×4, first 2 shown]
	;;#ASMSTART
	v_cvt_f32_f16 v37, v37;
	;;#ASMEND
	;;#ASMSTART
	v_cvt_f32_f16 v36, v36;
	;;#ASMEND
	;; [unrolled: 3-line block ×4, first 2 shown]
	s_wait_xcnt 0x0
	ds_load_b32 v24, v11 offset:4
	s_wait_loadcnt 0xd
	v_and_b32_e32 v40, 0xffff, v23
	v_lshrrev_b32_e32 v23, 16, v23
	s_wait_loadcnt 0xc
	v_and_b32_e32 v43, 0xffff, v26
	v_lshrrev_b32_e32 v26, 16, v26
	s_wait_loadcnt 0xa
	v_and_b32_e32 v49, 0xffff, v28
	v_and_b32_e32 v46, 0xffff, v27
	v_lshrrev_b32_e32 v27, 16, v27
	s_wait_loadcnt 0x9
	v_and_b32_e32 v52, 0xffff, v29
	s_wait_loadcnt 0x8
	v_and_b32_e32 v55, 0xffff, v30
	v_lshrrev_b32_e32 v30, 16, v30
	s_wait_loadcnt 0x6
	v_and_b32_e32 v61, 0xffff, v32
	s_wait_loadcnt 0x5
	v_and_b32_e32 v64, 0xffff, v33
	s_wait_loadcnt 0x4
	v_and_b32_e32 v67, 0xffff, v34
	v_and_b32_e32 v58, 0xffff, v31
	v_dual_lshrrev_b32 v28, 16, v28 :: v_dual_lshrrev_b32 v29, 16, v29
	v_dual_lshrrev_b32 v32, 16, v32 :: v_dual_lshrrev_b32 v33, 16, v33
	v_lshrrev_b32_e32 v34, 16, v34
	s_wait_dscnt 0x0
	v_and_b32_e32 v25, 0xffff, v24
	v_lshrrev_b32_e32 v24, 16, v24
	;;#ASMSTART
	v_cvt_f32_f16 v25, v25;
	;;#ASMEND
	;;#ASMSTART
	v_cvt_f32_f16 v41, v24;
	;;#ASMEND
	;; [unrolled: 3-line block ×4, first 2 shown]
	ds_load_b32 v23, v11 offset:8
	v_dual_mul_f32 v24, v25, v24 :: v_dual_lshrrev_b32 v31, 16, v31
	v_mul_f32_e32 v25, v41, v40
	s_delay_alu instid0(VALU_DEP_1)
	v_fmac_f32_e32 v25, v36, v38
	s_wait_dscnt 0x0
	v_and_b32_e32 v42, 0xffff, v23
	v_lshrrev_b32_e32 v23, 16, v23
	;;#ASMSTART
	v_cvt_f32_f16 v42, v42;
	;;#ASMEND
	;;#ASMSTART
	v_cvt_f32_f16 v44, v23;
	;;#ASMEND
	;;#ASMSTART
	v_cvt_f32_f16 v43, v43;
	;;#ASMEND
	;;#ASMSTART
	v_cvt_f32_f16 v26, v26;
	;;#ASMEND
	ds_load_b32 v23, v11 offset:12
	v_fmac_f32_e32 v25, v44, v26
	s_wait_dscnt 0x0
	v_and_b32_e32 v45, 0xffff, v23
	v_lshrrev_b32_e32 v23, 16, v23
	;;#ASMSTART
	v_cvt_f32_f16 v45, v45;
	;;#ASMEND
	;;#ASMSTART
	v_cvt_f32_f16 v47, v23;
	;;#ASMEND
	;;#ASMSTART
	v_cvt_f32_f16 v46, v46;
	;;#ASMEND
	;;#ASMSTART
	v_cvt_f32_f16 v27, v27;
	;;#ASMEND
	ds_load_b32 v23, v11 offset:16
	;; [unrolled: 17-line block ×3, first 2 shown]
	v_dual_fmac_f32 v24, v37, v39 :: v_dual_fmac_f32 v25, v50, v28
	s_wait_dscnt 0x0
	v_and_b32_e32 v51, 0xffff, v23
	v_lshrrev_b32_e32 v23, 16, v23
	;;#ASMSTART
	v_cvt_f32_f16 v51, v51;
	;;#ASMEND
	;;#ASMSTART
	v_cvt_f32_f16 v53, v23;
	;;#ASMEND
	;; [unrolled: 3-line block ×4, first 2 shown]
	ds_load_b32 v23, v11 offset:24
	v_dual_fmac_f32 v24, v42, v43 :: v_dual_fmac_f32 v25, v53, v29
	s_delay_alu instid0(VALU_DEP_1) | instskip(NEXT) | instid1(VALU_DEP_1)
	v_fmac_f32_e32 v24, v45, v46
	v_fmac_f32_e32 v24, v48, v49
	s_delay_alu instid0(VALU_DEP_1)
	v_fmac_f32_e32 v24, v51, v52
	s_wait_dscnt 0x0
	v_and_b32_e32 v54, 0xffff, v23
	v_lshrrev_b32_e32 v23, 16, v23
	;;#ASMSTART
	v_cvt_f32_f16 v54, v54;
	;;#ASMEND
	;;#ASMSTART
	v_cvt_f32_f16 v56, v23;
	;;#ASMEND
	;; [unrolled: 3-line block ×4, first 2 shown]
	ds_load_b32 v23, v11 offset:28
	v_dual_fmac_f32 v24, v54, v55 :: v_dual_fmac_f32 v25, v56, v30
	s_wait_dscnt 0x0
	v_and_b32_e32 v57, 0xffff, v23
	v_lshrrev_b32_e32 v23, 16, v23
	;;#ASMSTART
	v_cvt_f32_f16 v57, v57;
	;;#ASMEND
	;;#ASMSTART
	v_cvt_f32_f16 v59, v23;
	;;#ASMEND
	;; [unrolled: 3-line block ×4, first 2 shown]
	ds_load_b32 v23, v11 offset:32
	v_dual_fmac_f32 v24, v57, v58 :: v_dual_fmac_f32 v25, v59, v31
	s_wait_dscnt 0x0
	v_and_b32_e32 v60, 0xffff, v23
	v_lshrrev_b32_e32 v23, 16, v23
	;;#ASMSTART
	v_cvt_f32_f16 v60, v60;
	;;#ASMEND
	;;#ASMSTART
	v_cvt_f32_f16 v62, v23;
	;;#ASMEND
	;; [unrolled: 3-line block ×4, first 2 shown]
	ds_load_b32 v23, v11 offset:36
	v_fmac_f32_e32 v24, v60, v61
	s_wait_dscnt 0x0
	v_and_b32_e32 v63, 0xffff, v23
	v_lshrrev_b32_e32 v23, 16, v23
	;;#ASMSTART
	v_cvt_f32_f16 v63, v63;
	;;#ASMEND
	s_wait_loadcnt 0x3
	v_and_b32_e32 v70, 0xffff, v35
	s_wait_loadcnt 0x2
	v_lshrrev_b32_e32 v36, 16, v22
	;;#ASMSTART
	v_cvt_f32_f16 v65, v23;
	;;#ASMEND
	;;#ASMSTART
	v_cvt_f32_f16 v64, v64;
	;;#ASMEND
	;; [unrolled: 3-line block ×3, first 2 shown]
	ds_load_b32 v23, v11 offset:40
	v_lshrrev_b32_e32 v35, 16, v35
	v_and_b32_e32 v22, 0xffff, v22
	s_wait_loadcnt 0x1
	v_lshrrev_b32_e32 v28, 16, v20
	v_and_b32_e32 v20, 0xffff, v20
	v_fmac_f32_e32 v24, v63, v64
	s_wait_dscnt 0x0
	v_and_b32_e32 v66, 0xffff, v23
	v_lshrrev_b32_e32 v23, 16, v23
	;;#ASMSTART
	v_cvt_f32_f16 v66, v66;
	;;#ASMEND
	;;#ASMSTART
	v_cvt_f32_f16 v68, v23;
	;;#ASMEND
	;; [unrolled: 3-line block ×4, first 2 shown]
	ds_load_b32 v23, v11 offset:44
	v_fmac_f32_e32 v24, v66, v67
	s_wait_dscnt 0x0
	v_and_b32_e32 v69, 0xffff, v23
	v_lshrrev_b32_e32 v23, 16, v23
	;;#ASMSTART
	v_cvt_f32_f16 v69, v69;
	;;#ASMEND
	;;#ASMSTART
	v_cvt_f32_f16 v71, v23;
	;;#ASMEND
	;; [unrolled: 3-line block ×4, first 2 shown]
	ds_load_b32 v23, v11 offset:48
	v_dual_fmac_f32 v25, v62, v32 :: v_dual_fmac_f32 v24, v69, v70
	s_wait_loadcnt 0x0
	v_lshrrev_b32_e32 v32, 16, v19
	v_and_b32_e32 v19, 0xffff, v19
	s_delay_alu instid0(VALU_DEP_3) | instskip(NEXT) | instid1(VALU_DEP_1)
	v_fmac_f32_e32 v25, v65, v33
	v_fmac_f32_e32 v25, v68, v34
	s_wait_dscnt 0x0
	v_and_b32_e32 v26, 0xffff, v23
	v_lshrrev_b32_e32 v23, 16, v23
	;;#ASMSTART
	v_cvt_f32_f16 v26, v26;
	;;#ASMEND
	;;#ASMSTART
	v_cvt_f32_f16 v23, v23;
	;;#ASMEND
	;; [unrolled: 3-line block ×4, first 2 shown]
	ds_load_b32 v22, v11 offset:52
	s_wait_dscnt 0x0
	v_and_b32_e32 v29, 0xffff, v22
	v_lshrrev_b32_e32 v22, 16, v22
	;;#ASMSTART
	v_cvt_f32_f16 v29, v29;
	;;#ASMEND
	;;#ASMSTART
	v_cvt_f32_f16 v30, v22;
	;;#ASMEND
	;; [unrolled: 3-line block ×4, first 2 shown]
	ds_load_b32 v20, v11 offset:56
	v_cndmask_b32_e64 v22, v7, v16, s4
	v_fmac_f32_e32 v25, v71, v35
	v_fmac_f32_e32 v24, v26, v27
	v_cmp_gt_i32_e64 s4, 32, v17
	s_delay_alu instid0(VALU_DEP_2) | instskip(NEXT) | instid1(VALU_DEP_1)
	v_dual_fmac_f32 v25, v23, v36 :: v_dual_fmac_f32 v24, v29, v31
	v_fmac_f32_e32 v25, v30, v28
	s_wait_dscnt 0x0
	v_and_b32_e32 v23, 0xffff, v20
	v_lshrrev_b32_e32 v20, 16, v20
	;;#ASMSTART
	v_cvt_f32_f16 v23, v23;
	;;#ASMEND
	;;#ASMSTART
	v_cvt_f32_f16 v20, v20;
	;;#ASMEND
	;; [unrolled: 3-line block ×4, first 2 shown]
	v_dual_fmac_f32 v24, v23, v19 :: v_dual_fmac_f32 v25, v20, v26
	s_delay_alu instid0(VALU_DEP_1) | instskip(SKIP_3) | instid1(VALU_DEP_1)
	v_dual_add_f32 v20, v24, v25 :: v_dual_lshlrev_b32 v19, 2, v22
	ds_bpermute_b32 v19, v19, v20
	s_wait_dscnt 0x0
	v_dual_cndmask_b32 v22, v7, v17, s4 :: v_dual_add_f32 v19, v20, v19
	v_lshlrev_b32_e32 v20, 2, v22
	ds_bpermute_b32 v20, v20, v19
	s_and_saveexec_b32 s38, s3
	s_cbranch_execz .LBB59_10
; %bb.18:                               ;   in Loop: Header=BB59_12 Depth=1
	s_wait_dscnt 0x0
	v_dual_add_f32 v19, v19, v20 :: v_dual_add_nc_u32 v22, v13, v2
	s_delay_alu instid0(VALU_DEP_1) | instskip(NEXT) | instid1(VALU_DEP_1)
	v_cvt_f32_i32_e32 v22, v22
	v_mul_f32_e32 v22, s36, v22
	s_delay_alu instid0(VALU_DEP_1) | instskip(NEXT) | instid1(VALU_DEP_1)
	v_dual_cndmask_b32 v20, 0, v22, vcc_lo :: v_dual_max_num_f32 v22, v12, v12
	v_dual_fmac_f32 v20, s23, v19 :: v_dual_add_nc_u32 v19, v10, v2
	s_delay_alu instid0(VALU_DEP_1) | instskip(NEXT) | instid1(VALU_DEP_1)
	v_cmp_gt_i32_e64 s4, s31, v19
	v_dual_max_num_f32 v22, v22, v20 :: v_dual_cndmask_b32 v19, 0, v20, s4
	s_delay_alu instid0(VALU_DEP_1)
	v_cndmask_b32_e64 v12, v12, v22, s4
	ds_store_b32 v14, v19
	s_branch .LBB59_10
.LBB59_19:
	s_or_b32 exec_lo, exec_lo, s37
.LBB59_20:
	s_delay_alu instid0(SALU_CYCLE_1)
	s_or_b32 exec_lo, exec_lo, s11
	v_dual_max_num_f32 v5, v12, v12 :: v_dual_bitop2_b32 v2, 16, v7 bitop3:0x14
	s_clause 0x1
	s_load_b64 s[4:5], s[0:1], 0x0
	s_load_b64 s[22:23], s[0:1], 0x18
	v_and_b32_e32 v22, 31, v0
	v_xor_b32_e32 v4, 8, v7
	v_cmp_gt_i32_e32 vcc_lo, 32, v2
	v_cndmask_b32_e32 v2, v7, v2, vcc_lo
	s_delay_alu instid0(VALU_DEP_3) | instskip(NEXT) | instid1(VALU_DEP_2)
	v_cmp_gt_i32_e32 vcc_lo, 32, v4
	v_dual_lshlrev_b32 v2, 2, v2 :: v_dual_cndmask_b32 v4, v7, v4, vcc_lo
	ds_bpermute_b32 v3, v2, v12
	s_wait_dscnt 0x0
	v_dual_max_num_f32 v8, v3, v3 :: v_dual_lshlrev_b32 v3, 2, v4
	s_delay_alu instid0(VALU_DEP_1) | instskip(SKIP_4) | instid1(VALU_DEP_1)
	v_dual_max_num_f32 v4, v5, v8 :: v_dual_bitop2_b32 v8, 4, v7 bitop3:0x14
	ds_bpermute_b32 v5, v3, v4
	v_cmp_gt_i32_e32 vcc_lo, 32, v8
	v_cndmask_b32_e32 v8, v7, v8, vcc_lo
	s_wait_dscnt 0x0
	v_dual_max_num_f32 v5, v5, v5 :: v_dual_lshlrev_b32 v8, 2, v8
	s_delay_alu instid0(VALU_DEP_1)
	v_max_num_f32_e32 v5, v4, v5
	v_lshlrev_b32_e32 v4, 2, v21
	v_cmp_eq_u32_e32 vcc_lo, 0, v22
	ds_bpermute_b32 v9, v8, v5
	s_wait_xcnt 0x0
	s_and_saveexec_b32 s0, vcc_lo
	s_cbranch_execz .LBB59_22
; %bb.21:
	s_wait_dscnt 0x0
	v_max_num_f32_e32 v9, v9, v9
	v_max_num_f32_e32 v5, v5, v5
	s_delay_alu instid0(VALU_DEP_1)
	v_max_num_f32_e32 v5, v5, v9
	ds_store_b32 v4, v5 offset:240
.LBB59_22:
	s_or_b32 exec_lo, exec_lo, s0
	v_cmp_gt_u32_e64 s0, 4, v22
	v_dual_mov_b32 v10, 0xff7fffff :: v_dual_lshlrev_b32 v5, 2, v22
	s_wait_dscnt 0x0
	s_barrier_signal -1
	s_barrier_wait -1
	s_and_saveexec_b32 s1, s0
; %bb.23:
	ds_load_b32 v10, v5 offset:240
; %bb.24:
	s_or_b32 exec_lo, exec_lo, s1
	v_xor_b32_e32 v9, 2, v7
	v_lshl_add_u32 v23, v0, 2, 0x110
	v_xor_b32_e32 v12, 1, v7
	s_delay_alu instid0(VALU_DEP_3) | instskip(NEXT) | instid1(VALU_DEP_1)
	v_cmp_gt_i32_e64 s1, 32, v9
	v_cndmask_b32_e64 v9, v7, v9, s1
	s_delay_alu instid0(VALU_DEP_3) | instskip(NEXT) | instid1(VALU_DEP_1)
	v_cmp_gt_i32_e64 s1, 32, v12
	v_dual_lshlrev_b32 v9, 2, v9 :: v_dual_cndmask_b32 v7, v7, v12, s1
	s_lshl_b32 s1, s35, 3
	s_delay_alu instid0(SALU_CYCLE_1)
	s_min_i32 s11, s1, s31
	s_wait_dscnt 0x0
	ds_bpermute_b32 v11, v9, v10
	v_max_num_f32_e32 v10, v10, v10
	v_cmp_gt_i32_e64 s1, s11, v0
	v_lshlrev_b32_e32 v7, 2, v7
	s_wait_dscnt 0x0
	v_max_num_f32_e32 v11, v11, v11
	s_delay_alu instid0(VALU_DEP_1) | instskip(SKIP_3) | instid1(VALU_DEP_1)
	v_max_num_f32_e32 v10, v10, v11
	ds_bpermute_b32 v11, v7, v10
	s_wait_dscnt 0x0
	v_max_num_f32_e32 v11, v11, v11
	v_dual_max_num_f32 v11, v10, v11 :: v_dual_mov_b32 v10, 0
	ds_bpermute_b32 v11, v10, v11
	s_and_saveexec_b32 s15, s1
	s_cbranch_execz .LBB59_28
; %bb.25:
	v_lshl_add_u32 v12, v0, 2, 0x110
	v_dual_mov_b32 v10, 0 :: v_dual_mov_b32 v13, v0
	s_mov_b32 s24, 0
.LBB59_26:                              ; =>This Inner Loop Header: Depth=1
	ds_load_b32 v14, v12
	v_add_nc_u32_e32 v13, 0x80, v13
	s_delay_alu instid0(VALU_DEP_1) | instskip(SKIP_3) | instid1(VALU_DEP_1)
	v_cmp_le_i32_e64 s3, s11, v13
	s_or_b32 s24, s3, s24
	s_wait_dscnt 0x0
	v_sub_f32_e32 v14, v14, v11
	v_mul_f32_e32 v14, 0x3fb8aa3b, v14
	s_delay_alu instid0(VALU_DEP_1)
	v_exp_f32_e32 v14, v14
	ds_store_b32 v12, v14
	v_nop
	v_add_f32_e32 v10, v10, v14
	v_add_nc_u32_e32 v12, 0x200, v12
	s_and_not1_b32 exec_lo, exec_lo, s24
	s_cbranch_execnz .LBB59_26
; %bb.27:
	s_or_b32 exec_lo, exec_lo, s24
.LBB59_28:
	s_delay_alu instid0(SALU_CYCLE_1)
	s_or_b32 exec_lo, exec_lo, s15
	ds_bpermute_b32 v2, v2, v10
	s_wait_dscnt 0x0
	v_add_f32_e32 v2, v10, v2
	ds_bpermute_b32 v3, v3, v2
	s_wait_dscnt 0x0
	v_add_f32_e32 v2, v2, v3
	;; [unrolled: 3-line block ×5, first 2 shown]
	s_and_saveexec_b32 s3, vcc_lo
; %bb.29:
	ds_store_b32 v4, v2 offset:256
; %bb.30:
	s_or_b32 exec_lo, exec_lo, s3
	s_wait_dscnt 0x0
	s_barrier_signal -1
	s_barrier_wait -1
	s_and_saveexec_b32 s3, s0
; %bb.31:
	ds_load_b32 v2, v5 offset:256
; %bb.32:
	s_or_b32 exec_lo, exec_lo, s3
	s_wait_dscnt 0x0
	ds_bpermute_b32 v3, v9, v2
	s_wait_dscnt 0x0
	v_dual_mov_b32 v26, 0 :: v_dual_add_f32 v2, v2, v3
	ds_bpermute_b32 v3, v7, v2
	s_wait_dscnt 0x0
	v_add_f32_e32 v2, v2, v3
	ds_bpermute_b32 v2, v26, v2
	s_and_saveexec_b32 s0, s1
	s_cbranch_execz .LBB59_45
; %bb.33:
	s_wait_dscnt 0x0
	v_add_f32_e32 v2, 0x358637bd, v2
	s_mov_b32 s3, -1
	s_mov_b32 s1, exec_lo
	s_delay_alu instid0(VALU_DEP_1) | instskip(NEXT) | instid1(VALU_DEP_1)
	v_div_scale_f32 v3, null, v2, v2, 1.0
	v_rcp_f32_e32 v5, v3
	v_nop
	s_delay_alu instid0(TRANS32_DEP_1) | instskip(NEXT) | instid1(VALU_DEP_1)
	v_fma_f32 v4, -v3, v5, 1.0
	v_fmac_f32_e32 v5, v4, v5
	v_div_scale_f32 v7, vcc_lo, 1.0, v2, 1.0
	s_delay_alu instid0(VALU_DEP_1) | instskip(NEXT) | instid1(VALU_DEP_1)
	v_mul_f32_e32 v8, v7, v5
	v_fma_f32 v4, -v3, v8, v7
	s_delay_alu instid0(VALU_DEP_1) | instskip(SKIP_1) | instid1(VALU_DEP_2)
	v_fmac_f32_e32 v8, v4, v5
	v_xad_u32 v4, v0, -1, s11
	v_fma_f32 v3, -v3, v8, v7
	s_delay_alu instid0(VALU_DEP_1) | instskip(NEXT) | instid1(VALU_DEP_1)
	v_div_fmas_f32 v3, v3, v5, v8
	v_div_fixup_f32 v2, v3, v2, 1.0
	v_mov_b32_e32 v3, v0
	v_cmpx_lt_u32_e32 0x7f, v4
	s_cbranch_execz .LBB59_42
; %bb.34:
	s_delay_alu instid0(VALU_DEP_3) | instskip(NEXT) | instid1(VALU_DEP_1)
	v_dual_mov_b32 v3, v2 :: v_dual_lshrrev_b32 v4, 7, v4
	v_dual_mov_b32 v9, 0 :: v_dual_add_nc_u32 v5, -1, v4
	s_delay_alu instid0(VALU_DEP_1) | instskip(SKIP_1) | instid1(VALU_DEP_2)
	v_lshrrev_b32_e32 v7, 1, v5
	v_cmp_lt_u32_e32 vcc_lo, 13, v5
	v_add_nc_u32_e32 v5, 1, v7
	s_and_saveexec_b32 s3, vcc_lo
	s_cbranch_execz .LBB59_38
; %bb.35:
	s_delay_alu instid0(VALU_DEP_1)
	v_dual_mov_b32 v8, v23 :: v_dual_bitop2_b32 v7, -8, v5 bitop3:0x40
	s_mov_b32 s15, 0
	s_mov_b32 s24, 0
.LBB59_36:                              ; =>This Inner Loop Header: Depth=1
	ds_load_2addr_stride64_b32 v[10:11], v8 offset1:2
	ds_load_2addr_stride64_b32 v[12:13], v8 offset0:4 offset1:6
	ds_load_2addr_stride64_b32 v[14:15], v8 offset0:8 offset1:10
	;; [unrolled: 1-line block ×7, first 2 shown]
	s_add_co_i32 s24, s24, 16
	s_delay_alu instid0(SALU_CYCLE_1) | instskip(NEXT) | instid1(VALU_DEP_1)
	v_dual_add_nc_u32 v7, -8, v7 :: v_dual_mov_b32 v9, s24
	v_cmp_eq_u32_e32 vcc_lo, 0, v7
	s_or_b32 s15, vcc_lo, s15
	s_wait_dscnt 0x7
	v_pk_mul_f32 v[10:11], v[2:3], v[10:11]
	s_wait_dscnt 0x6
	v_pk_mul_f32 v[12:13], v[2:3], v[12:13]
	;; [unrolled: 2-line block ×8, first 2 shown]
	ds_store_2addr_stride64_b32 v8, v10, v11 offset1:2
	ds_store_2addr_stride64_b32 v8, v12, v13 offset0:4 offset1:6
	ds_store_2addr_stride64_b32 v8, v14, v15 offset0:8 offset1:10
	;; [unrolled: 1-line block ×7, first 2 shown]
	v_add_nc_u32_e32 v8, 0x2000, v8
	s_and_not1_b32 exec_lo, exec_lo, s15
	s_cbranch_execnz .LBB59_36
; %bb.37:
	s_or_b32 exec_lo, exec_lo, s15
.LBB59_38:
	s_delay_alu instid0(SALU_CYCLE_1) | instskip(NEXT) | instid1(VALU_DEP_1)
	s_or_b32 exec_lo, exec_lo, s3
	v_and_b32_e32 v5, 7, v5
	s_mov_b32 s15, 0
	s_mov_b32 s3, exec_lo
	s_delay_alu instid0(VALU_DEP_1)
	v_cmpx_ne_u32_e32 0, v5
	s_cbranch_execz .LBB59_41
; %bb.39:
	v_dual_lshlrev_b32 v7, 9, v9 :: v_dual_lshlrev_b32 v8, 2, v0
	s_delay_alu instid0(VALU_DEP_1)
	v_add3_u32 v7, v7, v8, 0x110
.LBB59_40:                              ; =>This Inner Loop Header: Depth=1
	ds_load_2addr_stride64_b32 v[8:9], v7 offset1:2
	v_add_nc_u32_e32 v5, -1, v5
	s_delay_alu instid0(VALU_DEP_1)
	v_cmp_eq_u32_e32 vcc_lo, 0, v5
	s_or_b32 s15, vcc_lo, s15
	s_wait_dscnt 0x0
	v_pk_mul_f32 v[8:9], v[2:3], v[8:9]
	ds_store_2addr_stride64_b32 v7, v8, v9 offset1:2
	v_add_nc_u32_e32 v7, 0x400, v7
	s_and_not1_b32 exec_lo, exec_lo, s15
	s_cbranch_execnz .LBB59_40
.LBB59_41:
	s_or_b32 exec_lo, exec_lo, s3
	v_add_nc_u32_e32 v3, 1, v4
	s_delay_alu instid0(VALU_DEP_1) | instskip(NEXT) | instid1(VALU_DEP_1)
	v_and_b32_e32 v4, 0x3fffffe, v3
	v_cmp_ne_u32_e32 vcc_lo, v3, v4
	v_lshl_add_u32 v3, v4, 7, v0
	s_or_not1_b32 s3, vcc_lo, exec_lo
.LBB59_42:
	s_or_b32 exec_lo, exec_lo, s1
	s_delay_alu instid0(SALU_CYCLE_1)
	s_and_b32 exec_lo, exec_lo, s3
	s_cbranch_execz .LBB59_45
; %bb.43:
	v_lshl_add_u32 v4, v3, 2, 0x110
	s_mov_b32 s1, 0
.LBB59_44:                              ; =>This Inner Loop Header: Depth=1
	ds_load_b32 v5, v4
	v_add_nc_u32_e32 v3, 0x80, v3
	s_delay_alu instid0(VALU_DEP_1)
	v_cmp_le_i32_e32 vcc_lo, s11, v3
	s_or_b32 s1, vcc_lo, s1
	s_wait_dscnt 0x0
	v_mul_f32_e32 v5, v2, v5
	ds_store_b32 v4, v5
	v_add_nc_u32_e32 v4, 0x200, v4
	s_and_not1_b32 exec_lo, exec_lo, s1
	s_cbranch_execnz .LBB59_44
.LBB59_45:
	s_or_b32 exec_lo, exec_lo, s0
	v_mov_b64_e32 v[8:9], 0
	v_mov_b32_e32 v27, 0
	s_wait_dscnt 0x0
	s_barrier_signal -1
	s_barrier_wait -1
	s_and_saveexec_b32 s24, s2
	s_cbranch_execz .LBB59_61
; %bb.46:
	s_abs_i32 s25, s10
	s_sub_co_i32 s26, s8, s9
	s_cvt_f32_u32 s0, s25
	v_dual_mov_b32 v7, 0 :: v_dual_lshlrev_b32 v2, 3, v22
	v_or_b32_e32 v10, 0x60, v22
	s_delay_alu instid0(SALU_CYCLE_1) | instskip(SKIP_2) | instid1(VALU_DEP_2)
	v_rcp_iflag_f32_e32 v3, s0
	v_and_b32_e32 v4, 0x7c, v1
	s_lshl_b64 s[0:1], s[20:21], 2
	v_dual_mov_b32 v5, v7 :: v_dual_lshlrev_b32 v14, 3, v10
	s_ashr_i32 s15, s14, 31
	s_add_nc_u64 s[0:1], s[18:19], s[0:1]
	s_delay_alu instid0(TRANS32_DEP_1)
	v_readfirstlane_b32 s8, v3
	s_lshl_b64 s[10:11], s[14:15], 1
	s_sub_co_i32 s14, 0, s25
	v_mov_b64_e32 v[8:9], 0
	v_cmp_gt_u32_e32 vcc_lo, 0x78, v10
	s_mul_f32 s8, s8, 0x4f7ffffe
	v_add_nc_u64_e32 v[10:11], s[0:1], v[4:5]
	v_lshl_add_u32 v24, v21, 5, 0x110
	v_dual_mov_b32 v27, v7 :: v_dual_lshlrev_b32 v12, 1, v2
	s_cvt_u32_f32 s8, s8
	v_dual_lshlrev_b32 v14, 1, v14 :: v_dual_mov_b32 v26, v7
	v_mov_b32_e32 v25, v21
	s_delay_alu instid0(SALU_CYCLE_1)
	s_mul_i32 s14, s14, s8
	s_mov_b32 s9, 0
	s_mul_hi_u32 s0, s8, s14
	s_ashr_i32 s3, s13, 31
	s_mov_b32 s2, s13
	s_add_co_i32 s13, s35, -1
	s_wait_kmcnt 0x0
	s_add_nc_u64 s[10:11], s[22:23], s[10:11]
	s_mov_b32 s14, s31
	s_add_co_i32 s8, s8, s0
	s_mov_b32 s15, s9
	s_branch .LBB59_50
.LBB59_47:                              ;   in Loop: Header=BB59_50 Depth=1
	s_or_b32 exec_lo, exec_lo, s19
	v_dual_lshlrev_b32 v15, 16, v16 :: v_dual_lshlrev_b32 v1, 16, v1
	s_delay_alu instid0(VALU_DEP_2) | instskip(NEXT) | instid1(VALU_DEP_2)
	v_lshlrev_b32_e32 v13, 16, v13
	v_and_or_b32 v2, 0xffff, v2, v15
	s_delay_alu instid0(VALU_DEP_3) | instskip(NEXT) | instid1(VALU_DEP_3)
	v_and_or_b32 v1, 0xffff, v3, v1
	v_and_or_b32 v3, 0xffff, v4, v13
	;;#ASMSTART
	v_pk_mul_f16 v2, v31, v2;

	;;#ASMEND
	;;#ASMSTART
	v_pk_mul_f16 v1, v29, v1;

	;;#ASMEND
	;; [unrolled: 4-line block ×4, first 2 shown]
	;;#ASMSTART
	v_pk_add_f16 v1, v2, v1;

	;;#ASMEND
	;;#ASMSTART
	v_pk_add_f16 v1, v1, v3;

	;;#ASMEND
	;; [unrolled: 4-line block ×3, first 2 shown]
	v_and_b32_e32 v2, 0xffff, v1
	v_lshrrev_b32_e32 v1, 16, v1
	;;#ASMSTART
	v_cvt_f32_f16 v2, v2;
	;;#ASMEND
	;;#ASMSTART
	v_cvt_f32_f16 v1, v1;
	;;#ASMEND
	s_delay_alu instid0(VALU_DEP_1) | instskip(NEXT) | instid1(VALU_DEP_1)
	v_add_f32_e32 v1, v2, v1
	v_add_f32_e32 v27, v27, v1
.LBB59_48:                              ;   in Loop: Header=BB59_50 Depth=1
	s_or_b32 exec_lo, exec_lo, s1
	v_dual_add_f32 v1, v20, v34 :: v_dual_add_f32 v3, v18, v19
	s_delay_alu instid0(VALU_DEP_1) | instskip(NEXT) | instid1(VALU_DEP_1)
	v_dual_add_f32 v2, v28, v30 :: v_dual_add_f32 v9, v9, v1
	v_dual_add_f32 v26, v26, v3 :: v_dual_add_f32 v8, v8, v2
.LBB59_49:                              ;   in Loop: Header=BB59_50 Depth=1
	s_or_b32 exec_lo, exec_lo, s18
	v_dual_add_nc_u32 v25, 4, v25 :: v_dual_add_nc_u32 v6, 32, v6
	v_add_nc_u64_e32 v[10:11], 16, v[10:11]
	v_add_nc_u32_e32 v24, 0x80, v24
	s_delay_alu instid0(VALU_DEP_3) | instskip(SKIP_1) | instid1(SALU_CYCLE_1)
	v_cmp_le_i32_e64 s0, s35, v25
	s_or_b32 s15, s0, s15
	s_and_not1_b32 exec_lo, exec_lo, s15
	s_cbranch_execz .LBB59_60
.LBB59_50:                              ; =>This Inner Loop Header: Depth=1
	v_mul_u64_e32 v[2:3], s[16:17], v[6:7]
	s_delay_alu instid0(VALU_DEP_1) | instskip(NEXT) | instid1(VALU_DEP_1)
	v_mul_lo_u32 v1, v3, s12
	v_dual_add_nc_u32 v2, 1, v3 :: v_dual_sub_nc_u32 v1, v6, v1
	s_delay_alu instid0(VALU_DEP_1) | instskip(SKIP_1) | instid1(VALU_DEP_1)
	v_subrev_nc_u32_e32 v4, s12, v1
	v_cmp_le_u32_e64 s0, s12, v1
	v_dual_cndmask_b32 v2, v3, v2, s0 :: v_dual_cndmask_b32 v1, v1, v4, s0
	s_delay_alu instid0(VALU_DEP_1) | instskip(NEXT) | instid1(VALU_DEP_2)
	v_add_nc_u32_e32 v3, 1, v2
	v_cmp_le_u32_e64 s0, s12, v1
	s_delay_alu instid0(VALU_DEP_1) | instskip(NEXT) | instid1(VALU_DEP_1)
	v_dual_cndmask_b32 v1, v2, v3, s0 :: v_dual_mov_b32 v3, v7
	v_xor_b32_e32 v1, s34, v1
	s_delay_alu instid0(VALU_DEP_1) | instskip(NEXT) | instid1(VALU_DEP_1)
	v_subrev_nc_u32_e32 v1, s34, v1
	v_add_nc_u32_e32 v13, s33, v1
	v_cmp_lt_i32_e64 s1, s26, v1
	s_delay_alu instid0(VALU_DEP_2) | instskip(NEXT) | instid1(VALU_DEP_1)
	v_sub_nc_u32_e32 v2, 0, v13
	v_max_i32_e32 v2, v13, v2
	s_delay_alu instid0(VALU_DEP_1) | instskip(SKIP_1) | instid1(VALU_DEP_2)
	v_mul_u64_e32 v[4:5], s[8:9], v[2:3]
	v_ashrrev_i32_e32 v4, 31, v13
	v_mul_lo_u32 v3, v5, s25
	s_delay_alu instid0(VALU_DEP_1) | instskip(NEXT) | instid1(VALU_DEP_1)
	v_sub_nc_u32_e32 v2, v2, v3
	v_subrev_nc_u32_e32 v3, s25, v2
	v_cmp_le_u32_e64 s0, s25, v2
	s_delay_alu instid0(VALU_DEP_1) | instskip(NEXT) | instid1(VALU_DEP_1)
	v_cndmask_b32_e64 v2, v2, v3, s0
	v_subrev_nc_u32_e32 v3, s25, v2
	v_cmp_le_u32_e64 s0, s25, v2
	s_delay_alu instid0(VALU_DEP_1) | instskip(NEXT) | instid1(VALU_DEP_1)
	v_cndmask_b32_e64 v2, v2, v3, s0
	v_xor_b32_e32 v2, v2, v4
	s_delay_alu instid0(VALU_DEP_1) | instskip(NEXT) | instid1(VALU_DEP_1)
	v_sub_nc_u32_e32 v2, v2, v4
	v_cmp_eq_u32_e64 s0, 0, v2
	s_or_b32 s0, s0, s1
	s_delay_alu instid0(SALU_CYCLE_1)
	s_and_saveexec_b32 s18, s0
	s_cbranch_execz .LBB59_49
; %bb.51:                               ;   in Loop: Header=BB59_50 Depth=1
	global_load_b32 v2, v[10:11], off
	v_cmp_eq_u32_e64 s0, s13, v25
	s_wait_loadcnt 0x0
	v_dual_mov_b32 v13, v7 :: v_dual_ashrrev_i32 v3, 31, v2
	s_delay_alu instid0(VALU_DEP_1)
	v_mul_u64_e32 v[16:17], s[2:3], v[2:3]
	ds_load_2addr_b64 v[2:5], v24 offset1:1
	ds_load_2addr_b64 v[34:37], v24 offset0:2 offset1:3
	s_wait_dscnt 0x1
	;;#ASMSTART
	v_cvt_f16_f32 v31, v2;

	;;#ASMEND
	;;#ASMSTART
	v_cvt_f16_f32 v29, v3;

	;;#ASMEND
	;; [unrolled: 4-line block ×4, first 2 shown]
	s_wait_dscnt 0x0
	;;#ASMSTART
	v_cvt_f16_f32 v34, v34;

	;;#ASMEND
	;;#ASMSTART
	v_cvt_f16_f32 v28, v35;

	;;#ASMEND
	;; [unrolled: 4-line block ×4, first 2 shown]
	v_lshl_add_u64 v[16:17], v[16:17], 1, s[10:11]
	s_delay_alu instid0(VALU_DEP_1)
	v_add_nc_u64_e32 v[18:19], v[16:17], v[12:13]
	global_load_b128 v[2:5], v[18:19], off
	s_wait_loadcnt 0x0
	v_dual_lshrrev_b32 v1, 16, v3 :: v_dual_lshrrev_b32 v20, 16, v2
	v_lshrrev_b32_e32 v13, 16, v4
	s_and_saveexec_b32 s19, s0
	s_cbranch_execz .LBB59_53
; %bb.52:                               ;   in Loop: Header=BB59_50 Depth=1
	v_dual_add_nc_u32 v35, 2, v6 :: v_dual_bitop2_b32 v36, 3, v6 bitop3:0x54
	v_cmp_gt_i32_e64 s1, s31, v6
	v_add_nc_u32_e32 v38, 7, v6
	s_delay_alu instid0(VALU_DEP_2) | instskip(NEXT) | instid1(VALU_DEP_4)
	v_cndmask_b32_e64 v2, 0, v2, s1
	v_cmp_gt_i32_e64 s1, s31, v35
	s_delay_alu instid0(VALU_DEP_1) | instskip(SKIP_2) | instid1(VALU_DEP_2)
	v_dual_add_nc_u32 v35, 4, v6 :: v_dual_cndmask_b32 v3, 0, v3, s1
	v_cmp_gt_i32_e64 s1, s14, v36
	v_dual_add_nc_u32 v36, 6, v6 :: v_dual_bitop2_b32 v37, 1, v6 bitop3:0x54
	v_cndmask_b32_e64 v1, 0, v1, s1
	s_delay_alu instid0(VALU_DEP_2) | instskip(SKIP_2) | instid1(VALU_DEP_3)
	v_cmp_gt_i32_e64 s1, s31, v37
	v_and_b32_e32 v37, 0xffff, v5
	v_and_b32_e32 v5, 0xffff0000, v5
	v_cndmask_b32_e64 v20, 0, v20, s1
	v_cmp_gt_i32_e64 s1, s31, v36
	s_delay_alu instid0(VALU_DEP_1) | instskip(SKIP_1) | instid1(VALU_DEP_1)
	v_dual_add_nc_u32 v39, 5, v6 :: v_dual_cndmask_b32 v36, 0, v37, s1
	v_cmp_gt_i32_e64 s1, s31, v38
	v_cndmask_b32_e64 v5, 0, v5, s1
	v_cmp_gt_i32_e64 s1, s31, v35
	s_delay_alu instid0(VALU_DEP_1) | instskip(SKIP_1) | instid1(VALU_DEP_4)
	v_cndmask_b32_e64 v4, 0, v4, s1
	v_cmp_gt_i32_e64 s1, s31, v39
	v_or_b32_e32 v5, v36, v5
	s_delay_alu instid0(VALU_DEP_2)
	v_cndmask_b32_e64 v13, 0, v13, s1
.LBB59_53:                              ;   in Loop: Header=BB59_50 Depth=1
	s_or_b32 exec_lo, exec_lo, s19
	v_dual_lshlrev_b32 v20, 16, v20 :: v_dual_lshlrev_b32 v1, 16, v1
	v_and_b32_e32 v31, 0xffff, v31
	v_and_b32_e32 v33, 0xffff, v33
	v_lshlrev_b32_e32 v13, 16, v13
	v_and_b32_e32 v34, 0xffff, v34
	v_and_b32_e32 v30, 0xffff, v30
	v_and_or_b32 v2, 0xffff, v2, v20
	v_and_or_b32 v1, 0xffff, v3, v1
	v_lshl_or_b32 v31, v29, 16, v31
	v_lshl_or_b32 v29, v32, 16, v33
	v_and_or_b32 v3, 0xffff, v4, v13
	;;#ASMSTART
	v_pk_mul_f16 v2, v31, v2;

	;;#ASMEND
	;;#ASMSTART
	v_pk_mul_f16 v1, v29, v1;

	;;#ASMEND
	v_lshl_or_b32 v32, v28, 16, v34
	v_lshl_or_b32 v33, v15, 16, v30
	;;#ASMSTART
	v_pk_mul_f16 v3, v32, v3;

	;;#ASMEND
	;;#ASMSTART
	v_pk_mul_f16 v4, v33, v5;

	;;#ASMEND
	;;#ASMSTART
	v_pk_add_f16 v1, v2, v1;

	;;#ASMEND
	;;#ASMSTART
	v_pk_add_f16 v1, v1, v3;
	;; [unrolled: 4-line block ×3, first 2 shown]

	;;#ASMEND
	v_and_b32_e32 v2, 0xffff, v1
	v_lshrrev_b32_e32 v1, 16, v1
	;;#ASMSTART
	v_cvt_f32_f16 v28, v2;
	;;#ASMEND
	;;#ASMSTART
	v_cvt_f32_f16 v30, v1;
	;;#ASMEND
	global_load_b128 v[2:5], v[18:19], off offset:512
	s_wait_loadcnt 0x0
	v_dual_lshrrev_b32 v1, 16, v3 :: v_dual_lshrrev_b32 v20, 16, v2
	v_lshrrev_b32_e32 v13, 16, v4
	s_and_saveexec_b32 s19, s0
	s_cbranch_execz .LBB59_55
; %bb.54:                               ;   in Loop: Header=BB59_50 Depth=1
	v_dual_add_nc_u32 v15, 2, v6 :: v_dual_bitop2_b32 v34, 3, v6 bitop3:0x54
	v_cmp_gt_i32_e64 s1, s31, v6
	v_add_nc_u32_e32 v36, 7, v6
	s_delay_alu instid0(VALU_DEP_2) | instskip(NEXT) | instid1(VALU_DEP_4)
	v_cndmask_b32_e64 v2, 0, v2, s1
	v_cmp_gt_i32_e64 s1, s31, v15
	s_delay_alu instid0(VALU_DEP_1) | instskip(SKIP_2) | instid1(VALU_DEP_2)
	v_dual_add_nc_u32 v15, 4, v6 :: v_dual_cndmask_b32 v3, 0, v3, s1
	v_cmp_gt_i32_e64 s1, s14, v34
	v_dual_add_nc_u32 v34, 6, v6 :: v_dual_bitop2_b32 v35, 1, v6 bitop3:0x54
	v_cndmask_b32_e64 v1, 0, v1, s1
	s_delay_alu instid0(VALU_DEP_2) | instskip(SKIP_2) | instid1(VALU_DEP_3)
	v_cmp_gt_i32_e64 s1, s31, v35
	v_and_b32_e32 v35, 0xffff, v5
	v_and_b32_e32 v5, 0xffff0000, v5
	v_cndmask_b32_e64 v20, 0, v20, s1
	v_cmp_gt_i32_e64 s1, s31, v34
	s_delay_alu instid0(VALU_DEP_1) | instskip(SKIP_1) | instid1(VALU_DEP_1)
	v_dual_add_nc_u32 v37, 5, v6 :: v_dual_cndmask_b32 v34, 0, v35, s1
	v_cmp_gt_i32_e64 s1, s31, v36
	v_cndmask_b32_e64 v5, 0, v5, s1
	v_cmp_gt_i32_e64 s1, s31, v15
	s_delay_alu instid0(VALU_DEP_1) | instskip(SKIP_1) | instid1(VALU_DEP_4)
	v_cndmask_b32_e64 v4, 0, v4, s1
	v_cmp_gt_i32_e64 s1, s31, v37
	v_or_b32_e32 v5, v34, v5
	s_delay_alu instid0(VALU_DEP_2)
	v_cndmask_b32_e64 v13, 0, v13, s1
.LBB59_55:                              ;   in Loop: Header=BB59_50 Depth=1
	s_or_b32 exec_lo, exec_lo, s19
	v_dual_lshlrev_b32 v15, 16, v20 :: v_dual_lshlrev_b32 v1, 16, v1
	s_delay_alu instid0(VALU_DEP_2) | instskip(NEXT) | instid1(VALU_DEP_2)
	v_lshlrev_b32_e32 v13, 16, v13
	v_and_or_b32 v2, 0xffff, v2, v15
	s_delay_alu instid0(VALU_DEP_3) | instskip(NEXT) | instid1(VALU_DEP_3)
	v_and_or_b32 v1, 0xffff, v3, v1
	v_and_or_b32 v3, 0xffff, v4, v13
	;;#ASMSTART
	v_pk_mul_f16 v2, v31, v2;

	;;#ASMEND
	;;#ASMSTART
	v_pk_mul_f16 v1, v29, v1;

	;;#ASMEND
	;; [unrolled: 4-line block ×4, first 2 shown]
	;;#ASMSTART
	v_pk_add_f16 v1, v2, v1;

	;;#ASMEND
	;;#ASMSTART
	v_pk_add_f16 v1, v1, v3;

	;;#ASMEND
	;; [unrolled: 4-line block ×3, first 2 shown]
	v_and_b32_e32 v2, 0xffff, v1
	v_lshrrev_b32_e32 v1, 16, v1
	;;#ASMSTART
	v_cvt_f32_f16 v20, v2;
	;;#ASMEND
	;;#ASMSTART
	v_cvt_f32_f16 v34, v1;
	;;#ASMEND
	global_load_b128 v[2:5], v[18:19], off offset:1024
	s_wait_loadcnt 0x0
	v_dual_lshrrev_b32 v1, 16, v3 :: v_dual_lshrrev_b32 v18, 16, v2
	v_lshrrev_b32_e32 v13, 16, v4
	s_and_saveexec_b32 s19, s0
	s_cbranch_execz .LBB59_57
; %bb.56:                               ;   in Loop: Header=BB59_50 Depth=1
	v_dual_add_nc_u32 v15, 2, v6 :: v_dual_bitop2_b32 v19, 3, v6 bitop3:0x54
	v_cmp_gt_i32_e64 s1, s31, v6
	v_dual_add_nc_u32 v36, 7, v6 :: v_dual_add_nc_u32 v37, 5, v6
	s_delay_alu instid0(VALU_DEP_2) | instskip(NEXT) | instid1(VALU_DEP_4)
	v_cndmask_b32_e64 v2, 0, v2, s1
	v_cmp_gt_i32_e64 s1, s31, v15
	s_delay_alu instid0(VALU_DEP_1) | instskip(SKIP_2) | instid1(VALU_DEP_2)
	v_dual_add_nc_u32 v15, 4, v6 :: v_dual_cndmask_b32 v3, 0, v3, s1
	v_cmp_gt_i32_e64 s1, s14, v19
	v_dual_add_nc_u32 v19, 6, v6 :: v_dual_bitop2_b32 v35, 1, v6 bitop3:0x54
	v_cndmask_b32_e64 v1, 0, v1, s1
	s_delay_alu instid0(VALU_DEP_2) | instskip(SKIP_2) | instid1(VALU_DEP_3)
	v_cmp_gt_i32_e64 s1, s31, v35
	v_and_b32_e32 v35, 0xffff, v5
	v_and_b32_e32 v5, 0xffff0000, v5
	v_cndmask_b32_e64 v18, 0, v18, s1
	v_cmp_gt_i32_e64 s1, s31, v19
	s_delay_alu instid0(VALU_DEP_1) | instskip(SKIP_1) | instid1(VALU_DEP_1)
	v_cndmask_b32_e64 v19, 0, v35, s1
	v_cmp_gt_i32_e64 s1, s31, v36
	v_cndmask_b32_e64 v5, 0, v5, s1
	v_cmp_gt_i32_e64 s1, s31, v15
	s_delay_alu instid0(VALU_DEP_1) | instskip(SKIP_1) | instid1(VALU_DEP_4)
	v_cndmask_b32_e64 v4, 0, v4, s1
	v_cmp_gt_i32_e64 s1, s31, v37
	v_or_b32_e32 v5, v19, v5
	s_delay_alu instid0(VALU_DEP_2)
	v_cndmask_b32_e64 v13, 0, v13, s1
.LBB59_57:                              ;   in Loop: Header=BB59_50 Depth=1
	s_or_b32 exec_lo, exec_lo, s19
	v_dual_lshlrev_b32 v15, 16, v18 :: v_dual_lshlrev_b32 v1, 16, v1
	s_delay_alu instid0(VALU_DEP_2) | instskip(NEXT) | instid1(VALU_DEP_2)
	v_lshlrev_b32_e32 v13, 16, v13
	v_and_or_b32 v2, 0xffff, v2, v15
	s_delay_alu instid0(VALU_DEP_3) | instskip(NEXT) | instid1(VALU_DEP_3)
	v_and_or_b32 v1, 0xffff, v3, v1
	v_and_or_b32 v3, 0xffff, v4, v13
	;;#ASMSTART
	v_pk_mul_f16 v2, v31, v2;

	;;#ASMEND
	;;#ASMSTART
	v_pk_mul_f16 v1, v29, v1;

	;;#ASMEND
	;; [unrolled: 4-line block ×4, first 2 shown]
	;;#ASMSTART
	v_pk_add_f16 v1, v2, v1;

	;;#ASMEND
	;;#ASMSTART
	v_pk_add_f16 v1, v1, v3;

	;;#ASMEND
	;; [unrolled: 4-line block ×3, first 2 shown]
	v_and_b32_e32 v2, 0xffff, v1
	v_lshrrev_b32_e32 v1, 16, v1
	;;#ASMSTART
	v_cvt_f32_f16 v18, v2;
	;;#ASMEND
	;;#ASMSTART
	v_cvt_f32_f16 v19, v1;
	;;#ASMEND
	s_and_saveexec_b32 s1, vcc_lo
	s_cbranch_execz .LBB59_48
; %bb.58:                               ;   in Loop: Header=BB59_50 Depth=1
	v_mov_b32_e32 v15, v7
	s_delay_alu instid0(VALU_DEP_1)
	v_add_nc_u64_e32 v[2:3], v[16:17], v[14:15]
	global_load_b128 v[2:5], v[2:3], off
	s_wait_loadcnt 0x0
	v_dual_lshrrev_b32 v1, 16, v3 :: v_dual_lshrrev_b32 v16, 16, v2
	v_lshrrev_b32_e32 v13, 16, v4
	s_and_saveexec_b32 s19, s0
	s_cbranch_execz .LBB59_47
; %bb.59:                               ;   in Loop: Header=BB59_50 Depth=1
	v_dual_add_nc_u32 v15, 2, v6 :: v_dual_bitop2_b32 v17, 3, v6 bitop3:0x54
	v_cmp_gt_i32_e64 s0, s31, v6
	v_add_nc_u32_e32 v36, 7, v6
	s_delay_alu instid0(VALU_DEP_2) | instskip(NEXT) | instid1(VALU_DEP_4)
	v_cndmask_b32_e64 v2, 0, v2, s0
	v_cmp_gt_i32_e64 s0, s31, v15
	s_delay_alu instid0(VALU_DEP_1) | instskip(SKIP_2) | instid1(VALU_DEP_2)
	v_dual_add_nc_u32 v15, 4, v6 :: v_dual_cndmask_b32 v3, 0, v3, s0
	v_cmp_gt_i32_e64 s0, s14, v17
	v_dual_add_nc_u32 v17, 6, v6 :: v_dual_bitop2_b32 v35, 1, v6 bitop3:0x54
	v_cndmask_b32_e64 v1, 0, v1, s0
	s_delay_alu instid0(VALU_DEP_2) | instskip(SKIP_2) | instid1(VALU_DEP_3)
	v_cmp_gt_i32_e64 s0, s31, v35
	v_and_b32_e32 v35, 0xffff, v5
	v_and_b32_e32 v5, 0xffff0000, v5
	v_cndmask_b32_e64 v16, 0, v16, s0
	v_cmp_gt_i32_e64 s0, s31, v17
	s_delay_alu instid0(VALU_DEP_1) | instskip(SKIP_1) | instid1(VALU_DEP_1)
	v_dual_add_nc_u32 v37, 5, v6 :: v_dual_cndmask_b32 v17, 0, v35, s0
	v_cmp_gt_i32_e64 s0, s31, v36
	v_cndmask_b32_e64 v5, 0, v5, s0
	v_cmp_gt_i32_e64 s0, s31, v15
	s_delay_alu instid0(VALU_DEP_1) | instskip(SKIP_1) | instid1(VALU_DEP_4)
	v_cndmask_b32_e64 v4, 0, v4, s0
	v_cmp_gt_i32_e64 s0, s31, v37
	v_or_b32_e32 v5, v17, v5
	s_delay_alu instid0(VALU_DEP_2)
	v_cndmask_b32_e64 v13, 0, v13, s0
	s_branch .LBB59_47
.LBB59_60:
	s_or_b32 exec_lo, exec_lo, s15
.LBB59_61:
	s_delay_alu instid0(SALU_CYCLE_1) | instskip(SKIP_2) | instid1(SALU_CYCLE_1)
	s_or_b32 exec_lo, exec_lo, s24
	v_and_b32_e32 v1, 0x3c0, v0
	s_movk_i32 s0, 0x1e0
	v_mad_u32_u24 v6, v21, s0, 0x110
	s_barrier_signal -1
	s_delay_alu instid0(VALU_DEP_2)
	v_cmp_eq_u32_e32 vcc_lo, 64, v1
	v_or_b32_e32 v1, 0x60, v0
	s_barrier_wait -1
	s_and_saveexec_b32 s0, vcc_lo
	s_cbranch_execz .LBB59_64
; %bb.62:
	v_add_nc_u32_e32 v2, 0xfffffc40, v6
	v_cmp_gt_u32_e32 vcc_lo, 0x78, v1
	s_delay_alu instid0(VALU_DEP_2)
	v_lshl_add_u32 v3, v22, 2, v2
	ds_store_2addr_b32 v3, v8, v9 offset1:32
	ds_store_b32 v3, v26 offset:256
	s_and_b32 exec_lo, exec_lo, vcc_lo
; %bb.63:
	v_lshl_add_u32 v2, v1, 2, v2
	ds_store_b32 v2, v27
.LBB59_64:
	s_or_b32 exec_lo, exec_lo, s0
	v_lshl_add_u32 v7, v22, 2, v6
	s_mov_b32 s0, exec_lo
	s_wait_dscnt 0x0
	s_barrier_signal -1
	s_barrier_wait -1
	v_cmpx_gt_u32_e32 64, v0
	s_cbranch_execz .LBB59_68
; %bb.65:
	v_lshl_or_b32 v4, v0, 2, 0x80
	ds_load_2addr_stride64_b32 v[2:3], v7 offset1:1
	s_mov_b32 s1, exec_lo
	v_add_nc_u32_e32 v4, v6, v4
	ds_load_b32 v5, v4
	s_wait_dscnt 0x1
	v_mov_b32_e32 v4, v2
	v_cmpx_gt_u32_e32 0x78, v1
	s_cbranch_execz .LBB59_67
; %bb.66:
	v_lshl_add_u32 v2, v1, 2, v6
	ds_load_b32 v2, v2
	s_wait_dscnt 0x0
	v_add_f32_e32 v27, v27, v2
.LBB59_67:
	s_or_b32 exec_lo, exec_lo, s1
	s_wait_dscnt 0x0
	v_pk_add_f32 v[8:9], v[8:9], v[4:5]
	v_add_f32_e32 v26, v26, v3
.LBB59_68:
	s_or_b32 exec_lo, exec_lo, s0
	v_and_b32_e32 v2, 0x3e0, v0
	s_mov_b32 s0, exec_lo
	s_barrier_signal -1
	s_barrier_wait -1
	s_delay_alu instid0(VALU_DEP_1)
	v_cmpx_eq_u32_e32 32, v2
	s_cbranch_execz .LBB59_71
; %bb.69:
	v_lshl_add_u32 v2, v22, 2, 0x110
	v_cmp_gt_u32_e32 vcc_lo, 0x78, v1
	ds_store_b32 v2, v8
	ds_store_b32 v23, v9
	ds_store_b32 v2, v26 offset:256
	s_and_b32 exec_lo, exec_lo, vcc_lo
; %bb.70:
	v_lshl_add_u32 v2, v1, 2, 0x110
	ds_store_b32 v2, v27
.LBB59_71:
	s_or_b32 exec_lo, exec_lo, s0
	v_cmp_gt_u32_e32 vcc_lo, 32, v0
	s_wait_dscnt 0x0
	s_barrier_signal -1
	s_barrier_wait -1
	s_and_saveexec_b32 s1, vcc_lo
	s_cbranch_execz .LBB59_75
; %bb.72:
	v_lshl_add_u32 v6, v0, 2, v6
	s_mov_b32 s2, exec_lo
	ds_load_2addr_b32 v[2:3], v6 offset0:32 offset1:64
	ds_load_b32 v4, v7
	s_wait_dscnt 0x1
	v_mov_b32_e32 v5, v2
	v_cmpx_gt_u32_e32 0x78, v1
	s_cbranch_execz .LBB59_74
; %bb.73:
	ds_load_b32 v2, v6 offset:384
	s_wait_dscnt 0x0
	v_add_f32_e32 v27, v27, v2
.LBB59_74:
	s_or_b32 exec_lo, exec_lo, s2
	s_wait_dscnt 0x0
	v_pk_add_f32 v[8:9], v[8:9], v[4:5]
	v_add_f32_e32 v26, v26, v3
.LBB59_75:
	s_or_b32 exec_lo, exec_lo, s1
	s_barrier_signal -1
	s_barrier_wait -1
	s_and_saveexec_b32 s0, vcc_lo
	s_cbranch_execz .LBB59_78
; %bb.76:
	s_mul_i32 s1, s30, s7
	s_mul_i32 s0, s7, s6
	;; [unrolled: 1-line block ×3, first 2 shown]
	s_bfe_u32 s7, ttmp6, 0x40014
	s_mul_i32 s2, s1, 0x78
	s_lshr_b32 s6, ttmp7, 16
	s_ashr_i32 s3, s2, 31
	s_add_co_i32 s7, s7, 1
	s_lshl_b64 s[2:3], s[2:3], 1
	s_ashr_i32 s1, s0, 31
	s_wait_kmcnt 0x0
	s_add_nc_u64 s[2:3], s[4:5], s[2:3]
	s_mul_i32 s4, s6, s7
	s_bfe_u32 s5, ttmp6, 0x40008
	s_lshl_b64 s[0:1], s[0:1], 1
	s_add_co_i32 s5, s5, s4
	s_cmp_eq_u32 s28, 0
	s_add_nc_u64 s[0:1], s[2:3], s[0:1]
	s_cselect_b32 s2, s6, s5
	s_mov_b32 s3, 0
	s_mulk_i32 s2, 0xf0
	v_cmp_gt_u32_e32 vcc_lo, 0x78, v1
	s_add_nc_u64 s[0:1], s[0:1], s[2:3]
	;;#ASMSTART
	v_cvt_f16_f32 v2, v8;

	;;#ASMEND
	global_store_b16 v0, v2, s[0:1] scale_offset
	;;#ASMSTART
	v_cvt_f16_f32 v1, v9;

	;;#ASMEND
	global_store_b16 v0, v1, s[0:1] offset:64 scale_offset
	s_wait_xcnt 0x0
	;;#ASMSTART
	v_cvt_f16_f32 v1, v26;

	;;#ASMEND
	global_store_b16 v0, v1, s[0:1] offset:128 scale_offset
	s_wait_xcnt 0x0
	s_and_b32 exec_lo, exec_lo, vcc_lo
	s_cbranch_execz .LBB59_78
; %bb.77:
	v_dual_mov_b32 v1, 0 :: v_dual_lshlrev_b32 v0, 1, v0
	;;#ASMSTART
	v_cvt_f16_f32 v2, v27;

	;;#ASMEND
	s_delay_alu instid0(VALU_DEP_1)
	v_add_nc_u64_e32 v[0:1], s[0:1], v[0:1]
	global_store_b16 v[0:1], v2, off offset:192
.LBB59_78:
	s_sendmsg sendmsg(MSG_DEALLOC_VGPRS)
	s_endpgm
	.section	.rodata,"a",@progbits
	.p2align	6, 0x0
	.amdhsa_kernel _ZN4vllm25paged_attention_v1_kernelIttLi120ELi8ELi128ELNS_18Fp8KVCacheDataTypeE0ELb1EEEvPT_PKS2_PKT0_S8_ifPKiSA_iPKfiiiSC_SC_iiiii
		.amdhsa_group_segment_fixed_size 272
		.amdhsa_private_segment_fixed_size 0
		.amdhsa_kernarg_size 384
		.amdhsa_user_sgpr_count 2
		.amdhsa_user_sgpr_dispatch_ptr 0
		.amdhsa_user_sgpr_queue_ptr 0
		.amdhsa_user_sgpr_kernarg_segment_ptr 1
		.amdhsa_user_sgpr_dispatch_id 0
		.amdhsa_user_sgpr_kernarg_preload_length 0
		.amdhsa_user_sgpr_kernarg_preload_offset 0
		.amdhsa_user_sgpr_private_segment_size 0
		.amdhsa_wavefront_size32 1
		.amdhsa_uses_dynamic_stack 0
		.amdhsa_enable_private_segment 0
		.amdhsa_system_sgpr_workgroup_id_x 1
		.amdhsa_system_sgpr_workgroup_id_y 1
		.amdhsa_system_sgpr_workgroup_id_z 1
		.amdhsa_system_sgpr_workgroup_info 0
		.amdhsa_system_vgpr_workitem_id 0
		.amdhsa_next_free_vgpr 72
		.amdhsa_next_free_sgpr 40
		.amdhsa_named_barrier_count 0
		.amdhsa_reserve_vcc 1
		.amdhsa_float_round_mode_32 0
		.amdhsa_float_round_mode_16_64 0
		.amdhsa_float_denorm_mode_32 3
		.amdhsa_float_denorm_mode_16_64 3
		.amdhsa_fp16_overflow 0
		.amdhsa_memory_ordered 1
		.amdhsa_forward_progress 1
		.amdhsa_inst_pref_size 54
		.amdhsa_round_robin_scheduling 0
		.amdhsa_exception_fp_ieee_invalid_op 0
		.amdhsa_exception_fp_denorm_src 0
		.amdhsa_exception_fp_ieee_div_zero 0
		.amdhsa_exception_fp_ieee_overflow 0
		.amdhsa_exception_fp_ieee_underflow 0
		.amdhsa_exception_fp_ieee_inexact 0
		.amdhsa_exception_int_div_zero 0
	.end_amdhsa_kernel
	.section	.text._ZN4vllm25paged_attention_v1_kernelIttLi120ELi8ELi128ELNS_18Fp8KVCacheDataTypeE0ELb1EEEvPT_PKS2_PKT0_S8_ifPKiSA_iPKfiiiSC_SC_iiiii,"axG",@progbits,_ZN4vllm25paged_attention_v1_kernelIttLi120ELi8ELi128ELNS_18Fp8KVCacheDataTypeE0ELb1EEEvPT_PKS2_PKT0_S8_ifPKiSA_iPKfiiiSC_SC_iiiii,comdat
.Lfunc_end59:
	.size	_ZN4vllm25paged_attention_v1_kernelIttLi120ELi8ELi128ELNS_18Fp8KVCacheDataTypeE0ELb1EEEvPT_PKS2_PKT0_S8_ifPKiSA_iPKfiiiSC_SC_iiiii, .Lfunc_end59-_ZN4vllm25paged_attention_v1_kernelIttLi120ELi8ELi128ELNS_18Fp8KVCacheDataTypeE0ELb1EEEvPT_PKS2_PKT0_S8_ifPKiSA_iPKfiiiSC_SC_iiiii
                                        ; -- End function
	.set _ZN4vllm25paged_attention_v1_kernelIttLi120ELi8ELi128ELNS_18Fp8KVCacheDataTypeE0ELb1EEEvPT_PKS2_PKT0_S8_ifPKiSA_iPKfiiiSC_SC_iiiii.num_vgpr, 72
	.set _ZN4vllm25paged_attention_v1_kernelIttLi120ELi8ELi128ELNS_18Fp8KVCacheDataTypeE0ELb1EEEvPT_PKS2_PKT0_S8_ifPKiSA_iPKfiiiSC_SC_iiiii.num_agpr, 0
	.set _ZN4vllm25paged_attention_v1_kernelIttLi120ELi8ELi128ELNS_18Fp8KVCacheDataTypeE0ELb1EEEvPT_PKS2_PKT0_S8_ifPKiSA_iPKfiiiSC_SC_iiiii.numbered_sgpr, 40
	.set _ZN4vllm25paged_attention_v1_kernelIttLi120ELi8ELi128ELNS_18Fp8KVCacheDataTypeE0ELb1EEEvPT_PKS2_PKT0_S8_ifPKiSA_iPKfiiiSC_SC_iiiii.num_named_barrier, 0
	.set _ZN4vllm25paged_attention_v1_kernelIttLi120ELi8ELi128ELNS_18Fp8KVCacheDataTypeE0ELb1EEEvPT_PKS2_PKT0_S8_ifPKiSA_iPKfiiiSC_SC_iiiii.private_seg_size, 0
	.set _ZN4vllm25paged_attention_v1_kernelIttLi120ELi8ELi128ELNS_18Fp8KVCacheDataTypeE0ELb1EEEvPT_PKS2_PKT0_S8_ifPKiSA_iPKfiiiSC_SC_iiiii.uses_vcc, 1
	.set _ZN4vllm25paged_attention_v1_kernelIttLi120ELi8ELi128ELNS_18Fp8KVCacheDataTypeE0ELb1EEEvPT_PKS2_PKT0_S8_ifPKiSA_iPKfiiiSC_SC_iiiii.uses_flat_scratch, 0
	.set _ZN4vllm25paged_attention_v1_kernelIttLi120ELi8ELi128ELNS_18Fp8KVCacheDataTypeE0ELb1EEEvPT_PKS2_PKT0_S8_ifPKiSA_iPKfiiiSC_SC_iiiii.has_dyn_sized_stack, 0
	.set _ZN4vllm25paged_attention_v1_kernelIttLi120ELi8ELi128ELNS_18Fp8KVCacheDataTypeE0ELb1EEEvPT_PKS2_PKT0_S8_ifPKiSA_iPKfiiiSC_SC_iiiii.has_recursion, 0
	.set _ZN4vllm25paged_attention_v1_kernelIttLi120ELi8ELi128ELNS_18Fp8KVCacheDataTypeE0ELb1EEEvPT_PKS2_PKT0_S8_ifPKiSA_iPKfiiiSC_SC_iiiii.has_indirect_call, 0
	.section	.AMDGPU.csdata,"",@progbits
; Kernel info:
; codeLenInByte = 6832
; TotalNumSgprs: 42
; NumVgprs: 72
; ScratchSize: 0
; MemoryBound: 0
; FloatMode: 240
; IeeeMode: 1
; LDSByteSize: 272 bytes/workgroup (compile time only)
; SGPRBlocks: 0
; VGPRBlocks: 4
; NumSGPRsForWavesPerEU: 42
; NumVGPRsForWavesPerEU: 72
; NamedBarCnt: 0
; Occupancy: 12
; WaveLimiterHint : 1
; COMPUTE_PGM_RSRC2:SCRATCH_EN: 0
; COMPUTE_PGM_RSRC2:USER_SGPR: 2
; COMPUTE_PGM_RSRC2:TRAP_HANDLER: 0
; COMPUTE_PGM_RSRC2:TGID_X_EN: 1
; COMPUTE_PGM_RSRC2:TGID_Y_EN: 1
; COMPUTE_PGM_RSRC2:TGID_Z_EN: 1
; COMPUTE_PGM_RSRC2:TIDIG_COMP_CNT: 0
	.section	.text._ZN4vllm25paged_attention_v1_kernelIttLi128ELi8ELi128ELNS_18Fp8KVCacheDataTypeE0ELb1EEEvPT_PKS2_PKT0_S8_ifPKiSA_iPKfiiiSC_SC_iiiii,"axG",@progbits,_ZN4vllm25paged_attention_v1_kernelIttLi128ELi8ELi128ELNS_18Fp8KVCacheDataTypeE0ELb1EEEvPT_PKS2_PKT0_S8_ifPKiSA_iPKfiiiSC_SC_iiiii,comdat
	.protected	_ZN4vllm25paged_attention_v1_kernelIttLi128ELi8ELi128ELNS_18Fp8KVCacheDataTypeE0ELb1EEEvPT_PKS2_PKT0_S8_ifPKiSA_iPKfiiiSC_SC_iiiii ; -- Begin function _ZN4vllm25paged_attention_v1_kernelIttLi128ELi8ELi128ELNS_18Fp8KVCacheDataTypeE0ELb1EEEvPT_PKS2_PKT0_S8_ifPKiSA_iPKfiiiSC_SC_iiiii
	.globl	_ZN4vllm25paged_attention_v1_kernelIttLi128ELi8ELi128ELNS_18Fp8KVCacheDataTypeE0ELb1EEEvPT_PKS2_PKT0_S8_ifPKiSA_iPKfiiiSC_SC_iiiii
	.p2align	8
	.type	_ZN4vllm25paged_attention_v1_kernelIttLi128ELi8ELi128ELNS_18Fp8KVCacheDataTypeE0ELb1EEEvPT_PKS2_PKT0_S8_ifPKiSA_iPKfiiiSC_SC_iiiii,@function
_ZN4vllm25paged_attention_v1_kernelIttLi128ELi8ELi128ELNS_18Fp8KVCacheDataTypeE0ELb1EEEvPT_PKS2_PKT0_S8_ifPKiSA_iPKfiiiSC_SC_iiiii: ; @_ZN4vllm25paged_attention_v1_kernelIttLi128ELi8ELi128ELNS_18Fp8KVCacheDataTypeE0ELb1EEEvPT_PKS2_PKT0_S8_ifPKiSA_iPKfiiiSC_SC_iiiii
; %bb.0:
	s_load_b64 s[6:7], s[0:1], 0x20
	s_bfe_u32 s3, ttmp6, 0x4000c
	s_bfe_u32 s5, ttmp6, 0x40010
	s_and_b32 s4, ttmp7, 0xffff
	s_add_co_i32 s3, s3, 1
	s_add_co_i32 s5, s5, 1
	s_and_b32 s2, ttmp6, 15
	s_bfe_u32 s8, ttmp6, 0x40004
	s_mul_i32 s3, ttmp9, s3
	s_mul_i32 s5, s4, s5
	s_getreg_b32 s28, hwreg(HW_REG_IB_STS2, 6, 4)
	s_add_co_i32 s9, s2, s3
	s_add_co_i32 s8, s8, s5
	s_cmp_eq_u32 s28, 0
	s_clause 0x1
	s_load_b32 s29, s[0:1], 0x80
	s_load_b64 s[2:3], s[0:1], 0x30
	s_cselect_b32 s30, s4, s8
	s_cselect_b32 s4, ttmp9, s9
	s_mov_b32 s19, 0
	s_delay_alu instid0(SALU_CYCLE_1) | instskip(SKIP_2) | instid1(SALU_CYCLE_1)
	s_mov_b32 s35, s19
	s_wait_kmcnt 0x0
	s_abs_i32 s5, s6
	s_cvt_f32_u32 s8, s5
	s_sub_co_i32 s9, 0, s5
	s_delay_alu instid0(SALU_CYCLE_2) | instskip(SKIP_2) | instid1(TRANS32_DEP_1)
	v_rcp_iflag_f32_e32 v1, s8
	s_abs_i32 s10, s29
	v_nop
	v_readfirstlane_b32 s8, v1
	s_mul_f32 s8, s8, 0x4f7ffffe
	s_delay_alu instid0(SALU_CYCLE_3) | instskip(NEXT) | instid1(SALU_CYCLE_3)
	s_cvt_u32_f32 s8, s8
	s_mul_i32 s9, s9, s8
	s_delay_alu instid0(SALU_CYCLE_1) | instskip(NEXT) | instid1(SALU_CYCLE_1)
	s_mul_hi_u32 s9, s8, s9
	s_add_co_i32 s8, s8, s9
	s_xor_b32 s9, s29, s6
	s_mul_hi_u32 s8, s10, s8
	s_ashr_i32 s9, s9, 31
	s_mul_i32 s11, s8, s5
	s_delay_alu instid0(SALU_CYCLE_1)
	s_sub_co_i32 s10, s10, s11
	s_add_co_i32 s11, s8, 1
	s_sub_co_i32 s12, s10, s5
	s_cmp_ge_u32 s10, s5
	s_cselect_b32 s8, s11, s8
	s_cselect_b32 s10, s12, s10
	s_add_co_i32 s11, s8, 1
	s_cmp_ge_u32 s10, s5
	s_cselect_b32 s5, s11, s8
	s_load_b64 s[10:11], s[0:1], 0x40
	s_xor_b32 s5, s5, s9
	s_abs_i32 s18, s4
	s_sub_co_i32 s16, s5, s9
	s_mov_b32 s9, s19
	s_abs_i32 s15, s16
	s_delay_alu instid0(SALU_CYCLE_1) | instskip(SKIP_1) | instid1(SALU_CYCLE_2)
	s_cvt_f32_u32 s5, s15
	s_sub_co_i32 s8, 0, s15
	v_rcp_iflag_f32_e32 v1, s5
	v_nop
	s_delay_alu instid0(TRANS32_DEP_1) | instskip(SKIP_1) | instid1(SALU_CYCLE_3)
	v_readfirstlane_b32 s5, v1
	s_mul_f32 s5, s5, 0x4f7ffffe
	s_cvt_u32_f32 s5, s5
	s_delay_alu instid0(SALU_CYCLE_3) | instskip(NEXT) | instid1(SALU_CYCLE_1)
	s_mul_i32 s8, s8, s5
	s_mul_hi_u32 s8, s5, s8
	s_delay_alu instid0(SALU_CYCLE_1)
	s_add_co_i32 s8, s5, s8
	s_wait_kmcnt 0x0
	s_cmp_eq_u64 s[10:11], 0
	s_cbranch_scc1 .LBB60_2
; %bb.1:
	s_ashr_i32 s5, s4, 31
	s_delay_alu instid0(SALU_CYCLE_1) | instskip(NEXT) | instid1(SALU_CYCLE_1)
	s_lshl_b64 s[12:13], s[4:5], 2
	s_add_nc_u64 s[10:11], s[10:11], s[12:13]
	s_load_b32 s35, s[10:11], 0x0
.LBB60_2:
	s_load_b32 s31, s[2:3], s30 offset:0x0 scale_offset
	s_load_b96 s[12:14], s[0:1], 0x48
	v_and_b32_e32 v4, 3, v0
	s_wait_xcnt 0x0
	v_cmp_gt_u32_e64 s2, 64, v0
	s_ashr_i32 s3, s4, 31
	s_ashr_i32 s5, s16, 31
	s_mul_u64 s[20:21], s[18:19], s[8:9]
	s_lshl_b32 s16, s4, 7
	s_and_saveexec_b32 s8, s2
	s_cbranch_execz .LBB60_4
; %bb.3:
	s_load_b64 s[10:11], s[0:1], 0x8
	s_wait_kmcnt 0x0
	s_mul_i32 s22, s12, s30
	s_ashr_i32 s17, s16, 31
	s_ashr_i32 s23, s22, 31
	v_and_b32_e32 v2, 0x3fc, v0
	s_lshl_b64 s[22:23], s[22:23], 1
	s_delay_alu instid0(VALU_DEP_1) | instskip(SKIP_2) | instid1(SALU_CYCLE_1)
	v_lshl_add_u32 v2, v4, 6, v2
	s_add_nc_u64 s[10:11], s[10:11], s[22:23]
	s_lshl_b64 s[22:23], s[16:17], 1
	s_add_nc_u64 s[10:11], s[10:11], s[22:23]
	global_load_b32 v1, v0, s[10:11] scale_offset
	s_wait_loadcnt 0x0
	ds_store_b32 v2, v1
.LBB60_4:
	s_or_b32 exec_lo, exec_lo, s8
	s_load_b128 s[8:11], s[0:1], 0x68
	s_wait_kmcnt 0x0
	s_mul_i32 s12, s21, s15
	s_xor_b32 s5, s3, s5
	s_sub_co_i32 s3, s18, s12
	s_add_co_i32 s12, s21, 1
	s_sub_co_i32 s17, s3, s15
	s_cmp_ge_u32 s3, s15
	s_mov_b32 s22, -1
	s_cselect_b32 s12, s12, s21
	s_cselect_b32 s3, s17, s3
	s_add_co_i32 s17, s12, 1
	s_cmp_ge_u32 s3, s15
	s_load_b32 s3, s[0:1], 0x78
	s_cselect_b32 s15, s17, s12
	s_mov_b32 s21, 0
	s_xor_b32 s15, s15, s5
	s_mov_b32 s19, s21
	s_sub_co_i32 s5, s15, s5
	s_wait_dscnt 0x0
	s_barrier_signal -1
	s_abs_i32 s12, s11
	s_barrier_wait -1
	s_cvt_f32_u32 s17, s12
	s_sub_co_i32 s18, 0, s12
	s_delay_alu instid0(SALU_CYCLE_2) | instskip(SKIP_1) | instid1(TRANS32_DEP_1)
	v_rcp_iflag_f32_e32 v1, s17
	v_nop
	v_readfirstlane_b32 s17, v1
	s_mul_f32 s15, s17, 0x4f7ffffe
	s_delay_alu instid0(SALU_CYCLE_3) | instskip(SKIP_1) | instid1(SALU_CYCLE_1)
	s_cvt_u32_f32 s17, s15
	s_add_co_i32 s15, s31, -1
	s_abs_i32 s20, s15
	s_delay_alu instid0(SALU_CYCLE_1) | instskip(NEXT) | instid1(SALU_CYCLE_1)
	s_mul_i32 s18, s18, s17
	s_mul_hi_u32 s18, s17, s18
	s_delay_alu instid0(SALU_CYCLE_1)
	s_add_co_i32 s18, s17, s18
	s_wait_kmcnt 0x0
	s_cmp_lt_i32 s3, 0
                                        ; implicit-def: $sgpr17
	s_cbranch_scc0 .LBB60_6
; %bb.5:
	s_mul_i32 s6, s8, s6
	s_mov_b32 s22, s21
	s_add_co_i32 s6, s5, s6
	s_delay_alu instid0(SALU_CYCLE_1) | instskip(NEXT) | instid1(SALU_CYCLE_1)
	s_mul_i32 s6, s6, s3
	s_sub_co_i32 s17, 1, s6
.LBB60_6:
	s_ashr_i32 s6, s15, 31
	s_ashr_i32 s33, s11, 31
	s_and_not1_b32 vcc_lo, exec_lo, s22
	s_mul_u64 s[24:25], s[20:21], s[18:19]
	s_cbranch_vccnz .LBB60_8
; %bb.7:
	s_mul_i32 s8, s29, s8
	s_delay_alu instid0(SALU_CYCLE_1) | instskip(NEXT) | instid1(SALU_CYCLE_1)
	s_add_co_i32 s4, s8, s4
	s_mul_i32 s3, s4, s3
	s_delay_alu instid0(SALU_CYCLE_1)
	s_add_co_i32 s17, s3, 1
.LBB60_8:
	s_load_b32 s3, s[0:1], 0x38
	s_xor_b32 s4, s6, s33
	s_mul_i32 s6, s25, s12
	s_add_co_i32 s8, s25, 1
	s_sub_co_i32 s6, s20, s6
	s_clause 0x1
	s_load_b64 s[20:21], s[0:1], 0x28
	s_load_b32 s11, s[0:1], 0x88
	v_dual_mov_b32 v12, 0xff7fffff :: v_dual_lshrrev_b32 v19, 5, v0
	v_lshrrev_b32_e32 v1, 3, v0
	v_mbcnt_lo_u32_b32 v7, -1, 0
	s_mul_i32 s14, s5, s14
	s_delay_alu instid0(VALU_DEP_3)
	v_lshlrev_b32_e32 v6, 3, v19
	s_wait_kmcnt 0x0
	s_mul_i32 s22, s3, s30
	s_sub_co_i32 s3, s6, s12
	s_ashr_i32 s23, s22, 31
	s_cmp_ge_u32 s6, s12
	s_cselect_b32 s8, s8, s25
	s_cselect_b32 s3, s3, s6
	s_add_co_i32 s6, s8, 1
	s_cmp_ge_u32 s3, s12
	s_cselect_b32 s3, s6, s8
	s_add_co_i32 s6, s31, 7
	s_delay_alu instid0(SALU_CYCLE_1) | instskip(NEXT) | instid1(SALU_CYCLE_1)
	s_ashr_i32 s8, s6, 31
	s_lshr_b32 s8, s8, 29
	s_delay_alu instid0(SALU_CYCLE_1) | instskip(NEXT) | instid1(SALU_CYCLE_1)
	s_add_co_i32 s6, s6, s8
	s_ashr_i32 s34, s6, 3
	s_xor_b32 s6, s3, s4
	v_cmp_gt_i32_e64 s3, s34, v19
	s_sub_co_i32 s8, s6, s4
	s_and_saveexec_b32 s36, s3
	s_cbranch_execz .LBB60_20
; %bb.9:
	s_load_b64 s[38:39], s[0:1], 0x10
	s_ashr_i32 s15, s14, 31
	s_sub_co_i32 s37, s8, s9
	s_ashr_i32 s25, s13, 31
	s_lshl_b64 s[40:41], s[14:15], 1
	s_cmp_neq_f32 s35, 0
	v_bfe_u32 v10, v0, 2, 3
	v_dual_mov_b32 v3, 0 :: v_dual_lshlrev_b32 v11, 6, v4
	s_cselect_b32 vcc_lo, -1, 0
	s_abs_i32 s15, s10
	s_delay_alu instid0(VALU_DEP_2)
	v_lshlrev_b32_e32 v2, 4, v10
	s_cvt_f32_u32 s4, s15
	v_subrev_nc_u32_e32 v9, s31, v10
	v_lshlrev_b32_e32 v8, 2, v0
	s_sub_co_i32 s6, 0, s15
	v_rcp_iflag_f32_e32 v5, s4
	v_cmp_eq_u32_e64 s4, 0, v4
	v_dual_add_nc_u32 v13, 1, v9 :: v_dual_bitop2_b32 v16, 2, v7 bitop3:0x14
	s_wait_kmcnt 0x0
	s_add_nc_u64 s[38:39], s[38:39], s[40:41]
	v_dual_mov_b32 v18, v19 :: v_dual_bitop2_b32 v17, 1, v7 bitop3:0x14
	s_delay_alu instid0(TRANS32_DEP_1)
	v_readfirstlane_b32 s5, v5
	v_add_nc_u64_e32 v[4:5], s[38:39], v[2:3]
	v_dual_lshlrev_b32 v8, 2, v10 :: v_dual_bitop2_b32 v2, 12, v8 bitop3:0x40
	s_lshl_b64 s[38:39], s[22:23], 2
	s_mul_f32 s5, s5, 0x4f7ffffe
	s_add_nc_u64 s[38:39], s[20:21], s[38:39]
	s_mov_b32 s27, 0
	s_delay_alu instid0(VALU_DEP_2)
	v_add_nc_u64_e32 v[4:5], v[4:5], v[2:3]
	v_and_b32_e32 v2, 0x7c, v1
	s_cvt_u32_f32 s5, s5
	v_lshl_or_b32 v12, v19, 5, v8
	v_mov_b32_e32 v15, 0xff7fffff
	s_mov_b32 s24, s13
	v_add_nc_u64_e32 v[8:9], s[38:39], v[2:3]
	s_mul_i32 s6, s6, s5
	v_lshlrev_b32_e32 v2, 3, v19
	v_add_nc_u32_e32 v14, 0x120, v12
	v_mov_b32_e32 v12, 0xff7fffff
	s_mul_hi_u32 s6, s5, s6
	s_mov_b32 s38, s27
	s_add_co_i32 s26, s5, s6
	s_branch .LBB60_12
.LBB60_10:                              ;   in Loop: Header=BB60_12 Depth=1
	s_or_b32 exec_lo, exec_lo, s39
.LBB60_11:                              ;   in Loop: Header=BB60_12 Depth=1
	s_delay_alu instid0(SALU_CYCLE_1) | instskip(SKIP_4) | instid1(VALU_DEP_4)
	s_or_b32 exec_lo, exec_lo, s6
	v_add_nc_u32_e32 v18, 4, v18
	v_add_nc_u64_e32 v[8:9], 16, v[8:9]
	v_add_nc_u32_e32 v2, 32, v2
	v_add_nc_u32_e32 v14, 0x80, v14
	v_cmp_le_i32_e64 s5, s34, v18
	s_or_b32 s38, s5, s38
	s_delay_alu instid0(SALU_CYCLE_1)
	s_and_not1_b32 exec_lo, exec_lo, s38
	s_cbranch_execz .LBB60_19
.LBB60_12:                              ; =>This Inner Loop Header: Depth=1
	s_wait_dscnt 0x0
	v_mul_u64_e32 v[20:21], s[18:19], v[2:3]
	s_delay_alu instid0(VALU_DEP_1) | instskip(NEXT) | instid1(VALU_DEP_1)
	v_mul_lo_u32 v20, v21, s12
	v_dual_add_nc_u32 v22, 1, v21 :: v_dual_sub_nc_u32 v20, v2, v20
	s_delay_alu instid0(VALU_DEP_1) | instskip(SKIP_1) | instid1(VALU_DEP_1)
	v_subrev_nc_u32_e32 v23, s12, v20
	v_cmp_le_u32_e64 s5, s12, v20
	v_dual_cndmask_b32 v21, v21, v22, s5 :: v_dual_cndmask_b32 v20, v20, v23, s5
	s_delay_alu instid0(VALU_DEP_1) | instskip(NEXT) | instid1(VALU_DEP_2)
	v_add_nc_u32_e32 v22, 1, v21
	v_cmp_le_u32_e64 s5, s12, v20
	s_delay_alu instid0(VALU_DEP_1) | instskip(NEXT) | instid1(VALU_DEP_1)
	v_dual_cndmask_b32 v20, v21, v22, s5 :: v_dual_mov_b32 v21, v3
	v_xor_b32_e32 v20, s33, v20
	s_delay_alu instid0(VALU_DEP_1) | instskip(NEXT) | instid1(VALU_DEP_1)
	v_subrev_nc_u32_e32 v24, s33, v20
	v_add_nc_u32_e32 v25, s17, v24
	v_cmp_ge_i32_e64 s6, s37, v24
	s_delay_alu instid0(VALU_DEP_2) | instskip(NEXT) | instid1(VALU_DEP_1)
	v_sub_nc_u32_e32 v20, 0, v25
	v_max_i32_e32 v20, v25, v20
	s_delay_alu instid0(VALU_DEP_1) | instskip(SKIP_1) | instid1(VALU_DEP_2)
	v_mul_u64_e32 v[22:23], s[26:27], v[20:21]
	v_ashrrev_i32_e32 v22, 31, v25
	v_mul_lo_u32 v21, v23, s15
	s_delay_alu instid0(VALU_DEP_1) | instskip(NEXT) | instid1(VALU_DEP_1)
	v_sub_nc_u32_e32 v20, v20, v21
	v_subrev_nc_u32_e32 v21, s15, v20
	v_cmp_le_u32_e64 s5, s15, v20
	s_delay_alu instid0(VALU_DEP_1) | instskip(NEXT) | instid1(VALU_DEP_1)
	v_cndmask_b32_e64 v20, v20, v21, s5
	v_subrev_nc_u32_e32 v21, s15, v20
	v_cmp_le_u32_e64 s5, s15, v20
	s_delay_alu instid0(VALU_DEP_1) | instskip(NEXT) | instid1(VALU_DEP_1)
	v_cndmask_b32_e64 v20, v20, v21, s5
	v_xor_b32_e32 v20, v20, v22
	s_delay_alu instid0(VALU_DEP_1) | instskip(NEXT) | instid1(VALU_DEP_1)
	v_sub_nc_u32_e32 v20, v20, v22
	v_cmp_ne_u32_e64 s5, 0, v20
	s_and_b32 s5, s5, s6
	s_delay_alu instid0(SALU_CYCLE_1) | instskip(NEXT) | instid1(SALU_CYCLE_1)
	s_and_saveexec_b32 s6, s5
	s_xor_b32 s5, exec_lo, s6
	s_cbranch_execz .LBB60_16
; %bb.13:                               ;   in Loop: Header=BB60_12 Depth=1
	s_and_saveexec_b32 s6, s4
; %bb.14:                               ;   in Loop: Header=BB60_12 Depth=1
	ds_store_b32 v14, v15
; %bb.15:                               ;   in Loop: Header=BB60_12 Depth=1
	s_or_b32 exec_lo, exec_lo, s6
.LBB60_16:                              ;   in Loop: Header=BB60_12 Depth=1
	s_and_not1_saveexec_b32 s6, s5
	s_cbranch_execz .LBB60_11
; %bb.17:                               ;   in Loop: Header=BB60_12 Depth=1
	global_load_b32 v20, v[8:9], off
	v_cmp_gt_i32_e64 s5, 32, v16
	s_wait_loadcnt 0x0
	v_ashrrev_i32_e32 v21, 31, v20
	s_delay_alu instid0(VALU_DEP_1) | instskip(NEXT) | instid1(VALU_DEP_1)
	v_mul_u64_e32 v[20:21], s[24:25], v[20:21]
	v_lshl_add_u64 v[28:29], v[20:21], 1, v[4:5]
	s_clause 0xa
	global_load_b32 v20, v[28:29], off
	global_load_b32 v31, v[28:29], off offset:128
	global_load_b32 v35, v[28:29], off offset:256
	;; [unrolled: 1-line block ×10, first 2 shown]
	ds_load_b32 v21, v11
	s_wait_dscnt 0x0
	v_lshrrev_b32_e32 v30, 16, v21
	v_and_b32_e32 v27, 0xffff, v21
	s_wait_loadcnt 0xa
	v_and_b32_e32 v32, 0xffff, v20
	v_lshrrev_b32_e32 v33, 16, v20
	s_clause 0x4
	global_load_b32 v24, v[28:29], off offset:1408
	global_load_b32 v23, v[28:29], off offset:1536
	;; [unrolled: 1-line block ×5, first 2 shown]
	;;#ASMSTART
	v_cvt_f32_f16 v27, v27;
	;;#ASMEND
	s_wait_xcnt 0x0
	;;#ASMSTART
	v_cvt_f32_f16 v28, v30;
	;;#ASMEND
	;;#ASMSTART
	v_cvt_f32_f16 v29, v32;
	;;#ASMEND
	;; [unrolled: 3-line block ×3, first 2 shown]
	ds_load_b32 v32, v11 offset:4
	s_wait_loadcnt 0xe
	v_and_b32_e32 v34, 0xffff, v31
	v_lshrrev_b32_e32 v36, 16, v31
	s_wait_loadcnt 0xd
	v_and_b32_e32 v38, 0xffff, v35
	s_wait_loadcnt 0xc
	v_and_b32_e32 v47, 0xffff, v39
	v_lshrrev_b32_e32 v48, 16, v39
	s_wait_loadcnt 0xb
	v_and_b32_e32 v50, 0xffff, v41
	v_lshrrev_b32_e32 v41, 16, v41
	;; [unrolled: 3-line block ×3, first 2 shown]
	s_wait_loadcnt 0x9
	v_and_b32_e32 v56, 0xffff, v43
	s_wait_loadcnt 0x8
	v_and_b32_e32 v59, 0xffff, v44
	;; [unrolled: 2-line block ×3, first 2 shown]
	v_and_b32_e32 v62, 0xffff, v45
	v_lshrrev_b32_e32 v45, 16, v45
	s_wait_loadcnt 0x5
	v_and_b32_e32 v68, 0xffff, v25
	v_dual_lshrrev_b32 v25, 16, v25 :: v_dual_lshrrev_b32 v40, 16, v35
	v_dual_lshrrev_b32 v43, 16, v43 :: v_dual_lshrrev_b32 v44, 16, v44
	s_wait_dscnt 0x0
	v_and_b32_e32 v33, 0xffff, v32
	v_lshrrev_b32_e32 v32, 16, v32
	;;#ASMSTART
	v_cvt_f32_f16 v31, v33;
	;;#ASMEND
	;;#ASMSTART
	v_cvt_f32_f16 v32, v32;
	;;#ASMEND
	;; [unrolled: 3-line block ×4, first 2 shown]
	ds_load_b32 v36, v11 offset:8
	v_lshrrev_b32_e32 v26, 16, v26
	s_wait_dscnt 0x0
	v_and_b32_e32 v37, 0xffff, v36
	v_lshrrev_b32_e32 v36, 16, v36
	;;#ASMSTART
	v_cvt_f32_f16 v35, v37;
	;;#ASMEND
	;;#ASMSTART
	v_cvt_f32_f16 v36, v36;
	;;#ASMEND
	;;#ASMSTART
	v_cvt_f32_f16 v37, v38;
	;;#ASMEND
	;;#ASMSTART
	v_cvt_f32_f16 v38, v40;
	;;#ASMEND
	ds_load_b32 v40, v11 offset:12
	s_wait_dscnt 0x0
	v_and_b32_e32 v46, 0xffff, v40
	v_lshrrev_b32_e32 v40, 16, v40
	;;#ASMSTART
	v_cvt_f32_f16 v39, v46;
	;;#ASMEND
	;;#ASMSTART
	v_cvt_f32_f16 v40, v40;
	;;#ASMEND
	;;#ASMSTART
	v_cvt_f32_f16 v47, v47;
	;;#ASMEND
	;;#ASMSTART
	v_cvt_f32_f16 v48, v48;
	;;#ASMEND
	ds_load_b32 v46, v11 offset:16
	;; [unrolled: 16-line block ×6, first 2 shown]
	s_wait_dscnt 0x0
	v_and_b32_e32 v61, 0xffff, v41
	v_lshrrev_b32_e32 v41, 16, v41
	;;#ASMSTART
	v_cvt_f32_f16 v61, v61;
	;;#ASMEND
	;;#ASMSTART
	v_cvt_f32_f16 v63, v41;
	;;#ASMEND
	;; [unrolled: 3-line block ×3, first 2 shown]
	s_wait_loadcnt 0x4
	v_and_b32_e32 v71, 0xffff, v24
	v_lshrrev_b32_e32 v24, 16, v24
	;;#ASMSTART
	v_cvt_f32_f16 v45, v45;
	;;#ASMEND
	ds_load_b32 v41, v11 offset:36
	s_wait_loadcnt 0x3
	v_and_b32_e32 v74, 0xffff, v23
	v_lshrrev_b32_e32 v23, 16, v23
	s_wait_dscnt 0x0
	v_and_b32_e32 v64, 0xffff, v41
	v_lshrrev_b32_e32 v41, 16, v41
	;;#ASMSTART
	v_cvt_f32_f16 v64, v64;
	;;#ASMEND
	;;#ASMSTART
	v_cvt_f32_f16 v41, v41;
	;;#ASMEND
	;;#ASMSTART
	v_cvt_f32_f16 v65, v65;
	;;#ASMEND
	;;#ASMSTART
	v_cvt_f32_f16 v66, v26;
	;;#ASMEND
	ds_load_b32 v26, v11 offset:40
	s_wait_dscnt 0x0
	v_and_b32_e32 v67, 0xffff, v26
	v_lshrrev_b32_e32 v26, 16, v26
	;;#ASMSTART
	v_cvt_f32_f16 v67, v67;
	;;#ASMEND
	;;#ASMSTART
	v_cvt_f32_f16 v26, v26;
	;;#ASMEND
	;;#ASMSTART
	v_cvt_f32_f16 v68, v68;
	;;#ASMEND
	;;#ASMSTART
	v_cvt_f32_f16 v69, v25;
	;;#ASMEND
	ds_load_b32 v25, v11 offset:44
	;; [unrolled: 16-line block ×4, first 2 shown]
	v_dual_mul_f32 v24, v31, v33 :: v_dual_mul_f32 v25, v32, v34
	s_delay_alu instid0(VALU_DEP_1)
	v_dual_fmac_f32 v24, v27, v29 :: v_dual_fmac_f32 v25, v28, v30
	s_wait_loadcnt 0x2
	v_lshrrev_b32_e32 v27, 16, v22
	v_and_b32_e32 v22, 0xffff, v22
	s_wait_loadcnt 0x1
	v_lshrrev_b32_e32 v30, 16, v21
	v_dual_fmac_f32 v24, v35, v37 :: v_dual_fmac_f32 v25, v36, v38
	v_and_b32_e32 v21, 0xffff, v21
	s_delay_alu instid0(VALU_DEP_2) | instskip(SKIP_2) | instid1(VALU_DEP_2)
	v_dual_fmac_f32 v24, v39, v47 :: v_dual_fmac_f32 v25, v40, v48
	s_wait_dscnt 0x0
	v_and_b32_e32 v28, 0xffff, v23
	v_dual_fmac_f32 v24, v49, v50 :: v_dual_lshrrev_b32 v23, 16, v23
	s_delay_alu instid0(VALU_DEP_3)
	v_fmac_f32_e32 v25, v46, v51
	;;#ASMSTART
	v_cvt_f32_f16 v28, v28;
	;;#ASMEND
	;;#ASMSTART
	v_cvt_f32_f16 v23, v23;
	;;#ASMEND
	;; [unrolled: 3-line block ×4, first 2 shown]
	ds_load_b32 v22, v11 offset:56
	v_dual_fmac_f32 v24, v52, v53 :: v_dual_fmac_f32 v25, v54, v42
	s_delay_alu instid0(VALU_DEP_1) | instskip(NEXT) | instid1(VALU_DEP_1)
	v_dual_fmac_f32 v24, v55, v56 :: v_dual_fmac_f32 v25, v57, v43
	v_dual_fmac_f32 v24, v58, v59 :: v_dual_fmac_f32 v25, v60, v44
	s_delay_alu instid0(VALU_DEP_1) | instskip(SKIP_2) | instid1(VALU_DEP_2)
	v_dual_fmac_f32 v24, v61, v62 :: v_dual_fmac_f32 v25, v63, v45
	s_wait_dscnt 0x0
	v_and_b32_e32 v31, 0xffff, v22
	v_dual_lshrrev_b32 v22, 16, v22 :: v_dual_fmac_f32 v24, v64, v65
	s_delay_alu instid0(VALU_DEP_3)
	v_fmac_f32_e32 v25, v41, v66
	;;#ASMSTART
	v_cvt_f32_f16 v31, v31;
	;;#ASMEND
	;;#ASMSTART
	v_cvt_f32_f16 v32, v22;
	;;#ASMEND
	;; [unrolled: 3-line block ×3, first 2 shown]
	v_fmac_f32_e32 v24, v67, v68
	;;#ASMSTART
	v_cvt_f32_f16 v30, v30;
	;;#ASMEND
	ds_load_b32 v21, v11 offset:60
	v_cndmask_b32_e64 v22, v7, v16, s5
	v_cmp_gt_i32_e64 s5, 32, v17
	v_fmac_f32_e32 v24, v70, v71
	s_delay_alu instid0(VALU_DEP_1) | instskip(SKIP_1) | instid1(VALU_DEP_1)
	v_dual_fmac_f32 v25, v26, v69 :: v_dual_fmac_f32 v24, v75, v74
	s_wait_loadcnt 0x0
	v_dual_fmac_f32 v25, v72, v73 :: v_dual_lshrrev_b32 v26, 16, v20
	v_and_b32_e32 v20, 0xffff, v20
	s_delay_alu instid0(VALU_DEP_3) | instskip(NEXT) | instid1(VALU_DEP_3)
	v_fmac_f32_e32 v24, v28, v29
	v_fmac_f32_e32 v25, v76, v77
	s_delay_alu instid0(VALU_DEP_1)
	v_fmac_f32_e32 v25, v23, v27
	s_wait_dscnt 0x0
	v_and_b32_e32 v23, 0xffff, v21
	v_lshrrev_b32_e32 v21, 16, v21
	v_fmac_f32_e32 v24, v31, v33
	;;#ASMSTART
	v_cvt_f32_f16 v23, v23;
	;;#ASMEND
	v_fmac_f32_e32 v25, v32, v30
	;;#ASMSTART
	v_cvt_f32_f16 v21, v21;
	;;#ASMEND
	;;#ASMSTART
	v_cvt_f32_f16 v20, v20;
	;;#ASMEND
	;; [unrolled: 3-line block ×3, first 2 shown]
	s_delay_alu instid0(VALU_DEP_1) | instskip(NEXT) | instid1(VALU_DEP_1)
	v_dual_fmac_f32 v24, v23, v20 :: v_dual_fmac_f32 v25, v21, v26
	v_dual_add_f32 v21, v24, v25 :: v_dual_lshlrev_b32 v20, 2, v22
	ds_bpermute_b32 v20, v20, v21
	s_wait_dscnt 0x0
	v_dual_cndmask_b32 v22, v7, v17, s5 :: v_dual_add_f32 v20, v21, v20
	s_delay_alu instid0(VALU_DEP_1)
	v_lshlrev_b32_e32 v21, 2, v22
	ds_bpermute_b32 v21, v21, v20
	s_and_saveexec_b32 s39, s4
	s_cbranch_execz .LBB60_10
; %bb.18:                               ;   in Loop: Header=BB60_12 Depth=1
	s_wait_dscnt 0x0
	v_dual_add_nc_u32 v22, v13, v2 :: v_dual_add_f32 v20, v20, v21
	s_delay_alu instid0(VALU_DEP_1) | instskip(NEXT) | instid1(VALU_DEP_1)
	v_cvt_f32_i32_e32 v22, v22
	v_mul_f32_e32 v22, s35, v22
	s_delay_alu instid0(VALU_DEP_1) | instskip(NEXT) | instid1(VALU_DEP_1)
	v_dual_cndmask_b32 v21, 0, v22 :: v_dual_max_num_f32 v22, v12, v12
	v_dual_fmac_f32 v21, s7, v20 :: v_dual_add_nc_u32 v20, v10, v2
	s_delay_alu instid0(VALU_DEP_1) | instskip(NEXT) | instid1(VALU_DEP_1)
	v_cmp_gt_i32_e64 s5, s31, v20
	v_dual_max_num_f32 v22, v22, v21 :: v_dual_cndmask_b32 v20, 0, v21, s5
	s_delay_alu instid0(VALU_DEP_1)
	v_cndmask_b32_e64 v12, v12, v22, s5
	ds_store_b32 v14, v20
	s_branch .LBB60_10
.LBB60_19:
	s_or_b32 exec_lo, exec_lo, s38
.LBB60_20:
	s_delay_alu instid0(SALU_CYCLE_1)
	s_or_b32 exec_lo, exec_lo, s36
	v_dual_max_num_f32 v5, v12, v12 :: v_dual_bitop2_b32 v2, 16, v7 bitop3:0x14
	s_clause 0x1
	s_load_b64 s[6:7], s[0:1], 0x0
	s_load_b64 s[24:25], s[0:1], 0x18
	v_and_b32_e32 v20, 31, v0
	v_xor_b32_e32 v4, 8, v7
	v_cmp_gt_i32_e32 vcc_lo, 32, v2
	v_cndmask_b32_e32 v2, v7, v2, vcc_lo
	s_delay_alu instid0(VALU_DEP_3) | instskip(NEXT) | instid1(VALU_DEP_2)
	v_cmp_gt_i32_e32 vcc_lo, 32, v4
	v_dual_lshlrev_b32 v2, 2, v2 :: v_dual_cndmask_b32 v4, v7, v4, vcc_lo
	ds_bpermute_b32 v3, v2, v12
	s_wait_dscnt 0x0
	v_dual_max_num_f32 v8, v3, v3 :: v_dual_lshlrev_b32 v3, 2, v4
	s_delay_alu instid0(VALU_DEP_1) | instskip(SKIP_4) | instid1(VALU_DEP_1)
	v_dual_max_num_f32 v4, v5, v8 :: v_dual_bitop2_b32 v8, 4, v7 bitop3:0x14
	ds_bpermute_b32 v5, v3, v4
	v_cmp_gt_i32_e32 vcc_lo, 32, v8
	v_cndmask_b32_e32 v8, v7, v8, vcc_lo
	s_wait_dscnt 0x0
	v_dual_max_num_f32 v5, v5, v5 :: v_dual_lshlrev_b32 v8, 2, v8
	s_delay_alu instid0(VALU_DEP_1)
	v_dual_max_num_f32 v5, v4, v5 :: v_dual_lshlrev_b32 v4, 2, v19
	v_cmp_eq_u32_e32 vcc_lo, 0, v20
	ds_bpermute_b32 v9, v8, v5
	s_wait_xcnt 0x0
	s_and_saveexec_b32 s0, vcc_lo
	s_cbranch_execz .LBB60_22
; %bb.21:
	s_wait_dscnt 0x0
	v_max_num_f32_e32 v9, v9, v9
	v_max_num_f32_e32 v5, v5, v5
	s_delay_alu instid0(VALU_DEP_1)
	v_max_num_f32_e32 v5, v5, v9
	ds_store_b32 v4, v5 offset:256
.LBB60_22:
	s_or_b32 exec_lo, exec_lo, s0
	v_cmp_gt_u32_e64 s0, 4, v20
	v_dual_mov_b32 v10, 0xff7fffff :: v_dual_lshlrev_b32 v5, 2, v20
	s_wait_dscnt 0x0
	s_barrier_signal -1
	s_barrier_wait -1
	s_and_saveexec_b32 s1, s0
; %bb.23:
	ds_load_b32 v10, v5 offset:256
; %bb.24:
	s_or_b32 exec_lo, exec_lo, s1
	v_xor_b32_e32 v9, 2, v7
	v_xor_b32_e32 v12, 1, v7
	s_delay_alu instid0(VALU_DEP_2) | instskip(NEXT) | instid1(VALU_DEP_1)
	v_cmp_gt_i32_e64 s1, 32, v9
	v_cndmask_b32_e64 v9, v7, v9, s1
	s_delay_alu instid0(VALU_DEP_3) | instskip(NEXT) | instid1(VALU_DEP_1)
	v_cmp_gt_i32_e64 s1, 32, v12
	v_dual_lshlrev_b32 v9, 2, v9 :: v_dual_cndmask_b32 v7, v7, v12, s1
	s_lshl_b32 s1, s34, 3
	s_delay_alu instid0(SALU_CYCLE_1)
	s_min_i32 s5, s1, s31
	s_wait_dscnt 0x0
	ds_bpermute_b32 v11, v9, v10
	v_max_num_f32_e32 v10, v10, v10
	v_cmp_gt_i32_e64 s1, s5, v0
	v_lshlrev_b32_e32 v7, 2, v7
	s_wait_dscnt 0x0
	v_max_num_f32_e32 v11, v11, v11
	s_delay_alu instid0(VALU_DEP_1) | instskip(SKIP_3) | instid1(VALU_DEP_1)
	v_max_num_f32_e32 v10, v10, v11
	ds_bpermute_b32 v11, v7, v10
	s_wait_dscnt 0x0
	v_max_num_f32_e32 v11, v11, v11
	v_dual_max_num_f32 v11, v10, v11 :: v_dual_mov_b32 v10, 0
	ds_bpermute_b32 v11, v10, v11
	s_and_saveexec_b32 s15, s1
	s_cbranch_execz .LBB60_28
; %bb.25:
	v_lshl_add_u32 v12, v0, 2, 0x120
	v_dual_mov_b32 v10, 0 :: v_dual_mov_b32 v13, v0
	s_mov_b32 s26, 0
.LBB60_26:                              ; =>This Inner Loop Header: Depth=1
	ds_load_b32 v14, v12
	v_add_nc_u32_e32 v13, 0x80, v13
	s_delay_alu instid0(VALU_DEP_1) | instskip(SKIP_3) | instid1(VALU_DEP_1)
	v_cmp_le_i32_e64 s4, s5, v13
	s_or_b32 s26, s4, s26
	s_wait_dscnt 0x0
	v_sub_f32_e32 v14, v14, v11
	v_mul_f32_e32 v14, 0x3fb8aa3b, v14
	s_delay_alu instid0(VALU_DEP_1)
	v_exp_f32_e32 v14, v14
	ds_store_b32 v12, v14
	v_nop
	v_add_f32_e32 v10, v10, v14
	v_add_nc_u32_e32 v12, 0x200, v12
	s_and_not1_b32 exec_lo, exec_lo, s26
	s_cbranch_execnz .LBB60_26
; %bb.27:
	s_or_b32 exec_lo, exec_lo, s26
.LBB60_28:
	s_delay_alu instid0(SALU_CYCLE_1)
	s_or_b32 exec_lo, exec_lo, s15
	ds_bpermute_b32 v2, v2, v10
	s_wait_dscnt 0x0
	v_add_f32_e32 v2, v10, v2
	ds_bpermute_b32 v3, v3, v2
	s_wait_dscnt 0x0
	v_add_f32_e32 v2, v2, v3
	;; [unrolled: 3-line block ×5, first 2 shown]
	s_and_saveexec_b32 s4, vcc_lo
; %bb.29:
	ds_store_b32 v4, v2 offset:272
; %bb.30:
	s_or_b32 exec_lo, exec_lo, s4
	s_wait_dscnt 0x0
	s_barrier_signal -1
	s_barrier_wait -1
	s_and_saveexec_b32 s4, s0
; %bb.31:
	ds_load_b32 v2, v5 offset:272
; %bb.32:
	s_or_b32 exec_lo, exec_lo, s4
	s_wait_dscnt 0x0
	ds_bpermute_b32 v3, v9, v2
	s_wait_dscnt 0x0
	v_add_f32_e32 v2, v2, v3
	ds_bpermute_b32 v3, v7, v2
	s_wait_dscnt 0x0
	v_dual_add_f32 v2, v2, v3 :: v_dual_mov_b32 v3, 0
	ds_bpermute_b32 v2, v3, v2
	s_and_saveexec_b32 s0, s1
	s_cbranch_execz .LBB60_45
; %bb.33:
	s_wait_dscnt 0x0
	v_add_f32_e32 v2, 0x358637bd, v2
	s_mov_b32 s4, -1
	s_mov_b32 s1, exec_lo
	s_delay_alu instid0(VALU_DEP_1) | instskip(NEXT) | instid1(VALU_DEP_1)
	v_div_scale_f32 v3, null, v2, v2, 1.0
	v_rcp_f32_e32 v5, v3
	v_nop
	s_delay_alu instid0(TRANS32_DEP_1) | instskip(NEXT) | instid1(VALU_DEP_1)
	v_fma_f32 v4, -v3, v5, 1.0
	v_fmac_f32_e32 v5, v4, v5
	v_div_scale_f32 v7, vcc_lo, 1.0, v2, 1.0
	s_delay_alu instid0(VALU_DEP_1) | instskip(NEXT) | instid1(VALU_DEP_1)
	v_mul_f32_e32 v8, v7, v5
	v_fma_f32 v4, -v3, v8, v7
	s_delay_alu instid0(VALU_DEP_1) | instskip(SKIP_1) | instid1(VALU_DEP_2)
	v_fmac_f32_e32 v8, v4, v5
	v_xad_u32 v4, v0, -1, s5
	v_fma_f32 v3, -v3, v8, v7
	s_delay_alu instid0(VALU_DEP_1) | instskip(NEXT) | instid1(VALU_DEP_1)
	v_div_fmas_f32 v3, v3, v5, v8
	v_div_fixup_f32 v2, v3, v2, 1.0
	v_mov_b32_e32 v3, v0
	v_cmpx_lt_u32_e32 0x7f, v4
	s_cbranch_execz .LBB60_42
; %bb.34:
	s_delay_alu instid0(VALU_DEP_3) | instskip(NEXT) | instid1(VALU_DEP_1)
	v_dual_mov_b32 v3, v2 :: v_dual_lshrrev_b32 v4, 7, v4
	v_dual_mov_b32 v9, 0 :: v_dual_add_nc_u32 v5, -1, v4
	s_delay_alu instid0(VALU_DEP_1) | instskip(SKIP_1) | instid1(VALU_DEP_2)
	v_lshrrev_b32_e32 v7, 1, v5
	v_cmp_lt_u32_e32 vcc_lo, 13, v5
	v_add_nc_u32_e32 v5, 1, v7
	s_and_saveexec_b32 s4, vcc_lo
	s_cbranch_execz .LBB60_38
; %bb.35:
	s_delay_alu instid0(VALU_DEP_1)
	v_and_b32_e32 v7, -8, v5
	v_lshl_add_u32 v8, v0, 2, 0x120
	s_mov_b32 s15, 0
	s_mov_b32 s26, 0
.LBB60_36:                              ; =>This Inner Loop Header: Depth=1
	ds_load_2addr_stride64_b32 v[10:11], v8 offset1:2
	ds_load_2addr_stride64_b32 v[12:13], v8 offset0:4 offset1:6
	ds_load_2addr_stride64_b32 v[14:15], v8 offset0:8 offset1:10
	;; [unrolled: 1-line block ×7, first 2 shown]
	s_add_co_i32 s26, s26, 16
	s_delay_alu instid0(SALU_CYCLE_1) | instskip(NEXT) | instid1(VALU_DEP_1)
	v_dual_add_nc_u32 v7, -8, v7 :: v_dual_mov_b32 v9, s26
	v_cmp_eq_u32_e32 vcc_lo, 0, v7
	s_or_b32 s15, vcc_lo, s15
	s_wait_dscnt 0x7
	v_pk_mul_f32 v[10:11], v[2:3], v[10:11]
	s_wait_dscnt 0x6
	v_pk_mul_f32 v[12:13], v[2:3], v[12:13]
	;; [unrolled: 2-line block ×8, first 2 shown]
	ds_store_2addr_stride64_b32 v8, v10, v11 offset1:2
	ds_store_2addr_stride64_b32 v8, v12, v13 offset0:4 offset1:6
	ds_store_2addr_stride64_b32 v8, v14, v15 offset0:8 offset1:10
	;; [unrolled: 1-line block ×7, first 2 shown]
	v_add_nc_u32_e32 v8, 0x2000, v8
	s_and_not1_b32 exec_lo, exec_lo, s15
	s_cbranch_execnz .LBB60_36
; %bb.37:
	s_or_b32 exec_lo, exec_lo, s15
.LBB60_38:
	s_delay_alu instid0(SALU_CYCLE_1) | instskip(NEXT) | instid1(VALU_DEP_1)
	s_or_b32 exec_lo, exec_lo, s4
	v_and_b32_e32 v5, 7, v5
	s_mov_b32 s15, 0
	s_mov_b32 s4, exec_lo
	s_delay_alu instid0(VALU_DEP_1)
	v_cmpx_ne_u32_e32 0, v5
	s_cbranch_execz .LBB60_41
; %bb.39:
	v_dual_lshlrev_b32 v7, 9, v9 :: v_dual_lshlrev_b32 v8, 2, v0
	s_delay_alu instid0(VALU_DEP_1)
	v_add3_u32 v7, v7, v8, 0x120
.LBB60_40:                              ; =>This Inner Loop Header: Depth=1
	ds_load_2addr_stride64_b32 v[8:9], v7 offset1:2
	v_add_nc_u32_e32 v5, -1, v5
	s_delay_alu instid0(VALU_DEP_1)
	v_cmp_eq_u32_e32 vcc_lo, 0, v5
	s_or_b32 s15, vcc_lo, s15
	s_wait_dscnt 0x0
	v_pk_mul_f32 v[8:9], v[2:3], v[8:9]
	ds_store_2addr_stride64_b32 v7, v8, v9 offset1:2
	v_add_nc_u32_e32 v7, 0x400, v7
	s_and_not1_b32 exec_lo, exec_lo, s15
	s_cbranch_execnz .LBB60_40
.LBB60_41:
	s_or_b32 exec_lo, exec_lo, s4
	v_add_nc_u32_e32 v3, 1, v4
	s_delay_alu instid0(VALU_DEP_1) | instskip(NEXT) | instid1(VALU_DEP_1)
	v_and_b32_e32 v4, 0x3fffffe, v3
	v_cmp_ne_u32_e32 vcc_lo, v3, v4
	v_lshl_add_u32 v3, v4, 7, v0
	s_or_not1_b32 s4, vcc_lo, exec_lo
.LBB60_42:
	s_or_b32 exec_lo, exec_lo, s1
	s_delay_alu instid0(SALU_CYCLE_1)
	s_and_b32 exec_lo, exec_lo, s4
	s_cbranch_execz .LBB60_45
; %bb.43:
	v_lshl_add_u32 v4, v3, 2, 0x120
	s_mov_b32 s1, 0
.LBB60_44:                              ; =>This Inner Loop Header: Depth=1
	ds_load_b32 v5, v4
	v_add_nc_u32_e32 v3, 0x80, v3
	s_delay_alu instid0(VALU_DEP_1)
	v_cmp_le_i32_e32 vcc_lo, s5, v3
	s_or_b32 s1, vcc_lo, s1
	s_wait_dscnt 0x0
	v_mul_f32_e32 v5, v2, v5
	ds_store_b32 v4, v5
	v_add_nc_u32_e32 v4, 0x200, v4
	s_and_not1_b32 exec_lo, exec_lo, s1
	s_cbranch_execnz .LBB60_44
.LBB60_45:
	s_or_b32 exec_lo, exec_lo, s0
	v_mov_b64_e32 v[8:9], 0
	v_mov_b64_e32 v[10:11], 0
	s_wait_dscnt 0x0
	s_barrier_signal -1
	s_barrier_wait -1
	s_and_saveexec_b32 s1, s3
	s_cbranch_execz .LBB60_59
; %bb.46:
	s_abs_i32 s3, s10
	v_dual_mov_b32 v7, 0 :: v_dual_lshlrev_b32 v2, 4, v20
	s_cvt_f32_u32 s0, s3
	s_ashr_i32 s15, s14, 31
	v_and_b32_e32 v4, 0x7c, v1
	s_lshl_b64 s[22:23], s[22:23], 2
	v_rcp_iflag_f32_e32 v3, s0
	s_lshl_b64 s[14:15], s[14:15], 1
	s_add_nc_u64 s[20:21], s[20:21], s[22:23]
	s_wait_kmcnt 0x0
	s_add_nc_u64 s[14:15], s[24:25], s[14:15]
	s_sub_co_i32 s10, s8, s9
	s_sub_co_i32 s8, 0, s3
	v_mov_b32_e32 v5, v7
	v_readfirstlane_b32 s0, v3
	v_mov_b32_e32 v3, v7
	v_mov_b64_e32 v[10:11], 0
	v_mov_b64_e32 v[8:9], 0
	v_add_nc_u64_e32 v[14:15], s[20:21], v[4:5]
	s_mul_f32 s0, s0, 0x4f7ffffe
	v_add_nc_u64_e32 v[12:13], s[14:15], v[2:3]
	v_lshl_add_u32 v21, v19, 5, 0x120
	v_mov_b32_e32 v22, v19
	s_cvt_u32_f32 s0, s0
	s_mov_b32 s9, 0
	s_ashr_i32 s5, s13, 31
	s_mov_b32 s4, s13
	s_mul_i32 s8, s8, s0
	s_add_co_i32 s13, s34, -1
	s_mul_hi_u32 s8, s0, s8
	s_mov_b32 s14, s31
	s_add_co_i32 s8, s0, s8
	s_mov_b32 s15, s9
	s_branch .LBB60_49
.LBB60_47:                              ;   in Loop: Header=BB60_49 Depth=1
	s_or_b32 exec_lo, exec_lo, s0
	v_dual_lshlrev_b32 v16, 16, v16 :: v_dual_lshlrev_b32 v1, 16, v1
	s_delay_alu instid0(VALU_DEP_2) | instskip(NEXT) | instid1(VALU_DEP_2)
	v_lshlrev_b32_e32 v17, 16, v17
	v_and_or_b32 v2, 0xffff, v2, v16
	s_delay_alu instid0(VALU_DEP_3) | instskip(NEXT) | instid1(VALU_DEP_3)
	v_and_or_b32 v1, 0xffff, v3, v1
	v_and_or_b32 v3, 0xffff, v4, v17
	;;#ASMSTART
	v_pk_mul_f16 v2, v32, v2;

	;;#ASMEND
	;;#ASMSTART
	v_pk_mul_f16 v1, v31, v1;

	;;#ASMEND
	;; [unrolled: 4-line block ×4, first 2 shown]
	;;#ASMSTART
	v_pk_add_f16 v1, v2, v1;

	;;#ASMEND
	;;#ASMSTART
	v_pk_add_f16 v1, v1, v3;

	;;#ASMEND
	;; [unrolled: 4-line block ×3, first 2 shown]
	v_and_b32_e32 v4, 0xffff, v1
	v_dual_add_f32 v2, v37, v38 :: v_dual_lshrrev_b32 v5, 16, v1
	;;#ASMSTART
	v_cvt_f32_f16 v4, v4;
	;;#ASMEND
	v_add_f32_e32 v1, v18, v30
	;;#ASMSTART
	v_cvt_f32_f16 v5, v5;
	;;#ASMEND
	s_delay_alu instid0(VALU_DEP_2) | instskip(NEXT) | instid1(VALU_DEP_2)
	v_dual_add_f32 v3, v35, v36 :: v_dual_add_f32 v4, v4, v5
	v_dual_add_f32 v11, v11, v2 :: v_dual_add_f32 v8, v8, v1
	s_delay_alu instid0(VALU_DEP_2)
	v_dual_add_f32 v10, v10, v3 :: v_dual_add_f32 v9, v9, v4
.LBB60_48:                              ;   in Loop: Header=BB60_49 Depth=1
	s_or_b32 exec_lo, exec_lo, s20
	v_add_nc_u32_e32 v22, 4, v22
	v_add_nc_u64_e32 v[14:15], 16, v[14:15]
	v_add_nc_u32_e32 v6, 32, v6
	v_add_nc_u32_e32 v21, 0x80, v21
	s_delay_alu instid0(VALU_DEP_4) | instskip(SKIP_1) | instid1(SALU_CYCLE_1)
	v_cmp_le_i32_e32 vcc_lo, s34, v22
	s_or_b32 s15, vcc_lo, s15
	s_and_not1_b32 exec_lo, exec_lo, s15
	s_cbranch_execz .LBB60_58
.LBB60_49:                              ; =>This Inner Loop Header: Depth=1
	v_mul_u64_e32 v[2:3], s[18:19], v[6:7]
	s_delay_alu instid0(VALU_DEP_1) | instskip(NEXT) | instid1(VALU_DEP_1)
	v_mul_lo_u32 v1, v3, s12
	v_dual_add_nc_u32 v2, 1, v3 :: v_dual_sub_nc_u32 v1, v6, v1
	s_delay_alu instid0(VALU_DEP_1) | instskip(SKIP_1) | instid1(VALU_DEP_2)
	v_subrev_nc_u32_e32 v4, s12, v1
	v_cmp_le_u32_e32 vcc_lo, s12, v1
	v_dual_cndmask_b32 v2, v3, v2 :: v_dual_cndmask_b32 v1, v1, v4
	s_delay_alu instid0(VALU_DEP_1) | instskip(NEXT) | instid1(VALU_DEP_2)
	v_add_nc_u32_e32 v3, 1, v2
	v_cmp_le_u32_e32 vcc_lo, s12, v1
	s_delay_alu instid0(VALU_DEP_2) | instskip(NEXT) | instid1(VALU_DEP_1)
	v_dual_cndmask_b32 v1, v2, v3, vcc_lo :: v_dual_mov_b32 v3, v7
	v_xor_b32_e32 v1, s33, v1
	s_delay_alu instid0(VALU_DEP_1) | instskip(NEXT) | instid1(VALU_DEP_1)
	v_subrev_nc_u32_e32 v1, s33, v1
	v_add_nc_u32_e32 v16, s17, v1
	v_cmp_lt_i32_e64 s0, s10, v1
	s_delay_alu instid0(VALU_DEP_2) | instskip(NEXT) | instid1(VALU_DEP_1)
	v_sub_nc_u32_e32 v2, 0, v16
	v_max_i32_e32 v2, v16, v2
	s_delay_alu instid0(VALU_DEP_1) | instskip(SKIP_1) | instid1(VALU_DEP_2)
	v_mul_u64_e32 v[4:5], s[8:9], v[2:3]
	v_ashrrev_i32_e32 v4, 31, v16
	v_mul_lo_u32 v3, v5, s3
	s_delay_alu instid0(VALU_DEP_1) | instskip(NEXT) | instid1(VALU_DEP_1)
	v_sub_nc_u32_e32 v2, v2, v3
	v_subrev_nc_u32_e32 v3, s3, v2
	v_cmp_le_u32_e32 vcc_lo, s3, v2
	s_delay_alu instid0(VALU_DEP_2) | instskip(NEXT) | instid1(VALU_DEP_1)
	v_cndmask_b32_e32 v2, v2, v3, vcc_lo
	v_subrev_nc_u32_e32 v3, s3, v2
	v_cmp_le_u32_e32 vcc_lo, s3, v2
	s_delay_alu instid0(VALU_DEP_2) | instskip(NEXT) | instid1(VALU_DEP_1)
	v_cndmask_b32_e32 v2, v2, v3, vcc_lo
	v_xor_b32_e32 v2, v2, v4
	s_delay_alu instid0(VALU_DEP_1) | instskip(NEXT) | instid1(VALU_DEP_1)
	v_sub_nc_u32_e32 v2, v2, v4
	v_cmp_eq_u32_e32 vcc_lo, 0, v2
	s_or_b32 s0, vcc_lo, s0
	s_delay_alu instid0(SALU_CYCLE_1)
	s_and_saveexec_b32 s20, s0
	s_cbranch_execz .LBB60_48
; %bb.50:                               ;   in Loop: Header=BB60_49 Depth=1
	global_load_b32 v2, v[14:15], off
	v_cmp_eq_u32_e32 vcc_lo, s13, v22
	v_dual_add_nc_u32 v28, 2, v6 :: v_dual_add_nc_u32 v23, 5, v6
	v_or_b32_e32 v29, 3, v6
	s_wait_loadcnt 0x0
	v_ashrrev_i32_e32 v3, 31, v2
	s_delay_alu instid0(VALU_DEP_1)
	v_mul_u64_e32 v[16:17], s[4:5], v[2:3]
	ds_load_2addr_b64 v[2:5], v21 offset1:1
	ds_load_2addr_b64 v[24:27], v21 offset0:2 offset1:3
	s_wait_dscnt 0x1
	;;#ASMSTART
	v_cvt_f16_f32 v32, v2;

	;;#ASMEND
	;;#ASMSTART
	v_cvt_f16_f32 v31, v3;

	;;#ASMEND
	;; [unrolled: 4-line block ×4, first 2 shown]
	s_wait_dscnt 0x0
	;;#ASMSTART
	v_cvt_f16_f32 v38, v24;

	;;#ASMEND
	;;#ASMSTART
	v_cvt_f16_f32 v33, v25;

	;;#ASMEND
	;; [unrolled: 4-line block ×4, first 2 shown]
	v_dual_add_nc_u32 v24, 4, v6 :: v_dual_add_nc_u32 v26, 6, v6
	v_dual_add_nc_u32 v25, 7, v6 :: v_dual_bitop2_b32 v27, 1, v6 bitop3:0x54
	v_lshl_add_u64 v[16:17], v[16:17], 1, v[12:13]
	global_load_b128 v[2:5], v[16:17], off
	s_wait_loadcnt 0x0
	v_dual_lshrrev_b32 v1, 16, v3 :: v_dual_lshrrev_b32 v30, 16, v4
	v_lshrrev_b32_e32 v18, 16, v2
	s_and_saveexec_b32 s21, vcc_lo
	s_cbranch_execz .LBB60_52
; %bb.51:                               ;   in Loop: Header=BB60_49 Depth=1
	v_cmp_gt_i32_e64 s0, s31, v6
	v_and_b32_e32 v39, 0xffff, v5
	v_and_b32_e32 v5, 0xffff0000, v5
	s_delay_alu instid0(VALU_DEP_3) | instskip(SKIP_1) | instid1(VALU_DEP_1)
	v_cndmask_b32_e64 v2, 0, v2, s0
	v_cmp_gt_i32_e64 s0, s31, v28
	v_cndmask_b32_e64 v3, 0, v3, s0
	v_cmp_gt_i32_e64 s0, s14, v29
	s_delay_alu instid0(VALU_DEP_1) | instskip(SKIP_1) | instid1(VALU_DEP_1)
	v_cndmask_b32_e64 v1, 0, v1, s0
	v_cmp_gt_i32_e64 s0, s31, v27
	v_cndmask_b32_e64 v18, 0, v18, s0
	v_cmp_gt_i32_e64 s0, s31, v26
	s_delay_alu instid0(VALU_DEP_1) | instskip(SKIP_1) | instid1(VALU_DEP_1)
	;; [unrolled: 5-line block ×3, first 2 shown]
	v_dual_cndmask_b32 v4, 0, v4, s0 :: v_dual_bitop2_b32 v5, v39, v5 bitop3:0x54
	v_cmp_gt_i32_e64 s0, s31, v23
	v_cndmask_b32_e64 v30, 0, v30, s0
.LBB60_52:                              ;   in Loop: Header=BB60_49 Depth=1
	s_or_b32 exec_lo, exec_lo, s21
	v_and_b32_e32 v32, 0xffff, v32
	v_and_b32_e32 v37, 0xffff, v37
	v_dual_lshlrev_b32 v18, 16, v18 :: v_dual_lshlrev_b32 v1, 16, v1
	v_lshlrev_b32_e32 v30, 16, v30
	v_and_b32_e32 v38, 0xffff, v38
	v_lshl_or_b32 v32, v31, 16, v32
	v_lshl_or_b32 v31, v35, 16, v37
	v_and_b32_e32 v35, 0xffff, v36
	v_and_or_b32 v2, 0xffff, v2, v18
	v_and_or_b32 v1, 0xffff, v3, v1
	;; [unrolled: 1-line block ×3, first 2 shown]
	;;#ASMSTART
	v_pk_mul_f16 v2, v32, v2;

	;;#ASMEND
	;;#ASMSTART
	v_pk_mul_f16 v1, v31, v1;

	;;#ASMEND
	v_lshl_or_b32 v33, v33, 16, v38
	v_lshl_or_b32 v34, v34, 16, v35
	;;#ASMSTART
	v_pk_mul_f16 v3, v33, v3;

	;;#ASMEND
	;;#ASMSTART
	v_pk_mul_f16 v4, v34, v5;

	;;#ASMEND
	;;#ASMSTART
	v_pk_add_f16 v1, v2, v1;

	;;#ASMEND
	;;#ASMSTART
	v_pk_add_f16 v1, v1, v3;

	;;#ASMEND
	;;#ASMSTART
	v_pk_add_f16 v1, v1, v4;

	;;#ASMEND
	v_and_b32_e32 v2, 0xffff, v1
	v_lshrrev_b32_e32 v1, 16, v1
	;;#ASMSTART
	v_cvt_f32_f16 v35, v2;
	;;#ASMEND
	;;#ASMSTART
	v_cvt_f32_f16 v36, v1;
	;;#ASMEND
	global_load_b128 v[2:5], v[16:17], off offset:512
	s_wait_loadcnt 0x0
	v_dual_lshrrev_b32 v1, 16, v3 :: v_dual_lshrrev_b32 v18, 16, v2
	v_lshrrev_b32_e32 v30, 16, v4
	s_and_saveexec_b32 s21, vcc_lo
	s_cbranch_execz .LBB60_54
; %bb.53:                               ;   in Loop: Header=BB60_49 Depth=1
	v_cmp_gt_i32_e64 s0, s31, v6
	v_and_b32_e32 v37, 0xffff, v5
	v_and_b32_e32 v5, 0xffff0000, v5
	s_delay_alu instid0(VALU_DEP_3) | instskip(SKIP_1) | instid1(VALU_DEP_1)
	v_cndmask_b32_e64 v2, 0, v2, s0
	v_cmp_gt_i32_e64 s0, s31, v28
	v_cndmask_b32_e64 v3, 0, v3, s0
	v_cmp_gt_i32_e64 s0, s14, v29
	s_delay_alu instid0(VALU_DEP_1) | instskip(SKIP_1) | instid1(VALU_DEP_1)
	v_cndmask_b32_e64 v1, 0, v1, s0
	v_cmp_gt_i32_e64 s0, s31, v27
	v_cndmask_b32_e64 v18, 0, v18, s0
	v_cmp_gt_i32_e64 s0, s31, v26
	s_delay_alu instid0(VALU_DEP_1) | instskip(SKIP_1) | instid1(VALU_DEP_1)
	;; [unrolled: 5-line block ×3, first 2 shown]
	v_cndmask_b32_e64 v4, 0, v4, s0
	v_cmp_gt_i32_e64 s0, s31, v23
	v_dual_cndmask_b32 v30, 0, v30, s0 :: v_dual_bitop2_b32 v5, v37, v5 bitop3:0x54
.LBB60_54:                              ;   in Loop: Header=BB60_49 Depth=1
	s_or_b32 exec_lo, exec_lo, s21
	v_dual_lshlrev_b32 v18, 16, v18 :: v_dual_lshlrev_b32 v1, 16, v1
	s_delay_alu instid0(VALU_DEP_2) | instskip(NEXT) | instid1(VALU_DEP_2)
	v_lshlrev_b32_e32 v30, 16, v30
	v_and_or_b32 v2, 0xffff, v2, v18
	s_delay_alu instid0(VALU_DEP_3) | instskip(NEXT) | instid1(VALU_DEP_3)
	v_and_or_b32 v1, 0xffff, v3, v1
	v_and_or_b32 v3, 0xffff, v4, v30
	;;#ASMSTART
	v_pk_mul_f16 v2, v32, v2;

	;;#ASMEND
	;;#ASMSTART
	v_pk_mul_f16 v1, v31, v1;

	;;#ASMEND
	;;#ASMSTART
	v_pk_mul_f16 v3, v33, v3;

	;;#ASMEND
	;;#ASMSTART
	v_pk_mul_f16 v4, v34, v5;

	;;#ASMEND
	;;#ASMSTART
	v_pk_add_f16 v1, v2, v1;

	;;#ASMEND
	;;#ASMSTART
	v_pk_add_f16 v1, v1, v3;

	;;#ASMEND
	;; [unrolled: 4-line block ×3, first 2 shown]
	v_and_b32_e32 v2, 0xffff, v1
	v_lshrrev_b32_e32 v1, 16, v1
	;;#ASMSTART
	v_cvt_f32_f16 v37, v2;
	;;#ASMEND
	;;#ASMSTART
	v_cvt_f32_f16 v38, v1;
	;;#ASMEND
	global_load_b128 v[2:5], v[16:17], off offset:1024
	s_wait_loadcnt 0x0
	v_dual_lshrrev_b32 v1, 16, v3 :: v_dual_lshrrev_b32 v18, 16, v2
	v_lshrrev_b32_e32 v30, 16, v4
	s_and_saveexec_b32 s21, vcc_lo
	s_cbranch_execz .LBB60_56
; %bb.55:                               ;   in Loop: Header=BB60_49 Depth=1
	v_cmp_gt_i32_e64 s0, s31, v6
	v_and_b32_e32 v39, 0xffff, v5
	v_and_b32_e32 v5, 0xffff0000, v5
	s_delay_alu instid0(VALU_DEP_3) | instskip(SKIP_1) | instid1(VALU_DEP_1)
	v_cndmask_b32_e64 v2, 0, v2, s0
	v_cmp_gt_i32_e64 s0, s31, v28
	v_cndmask_b32_e64 v3, 0, v3, s0
	v_cmp_gt_i32_e64 s0, s14, v29
	s_delay_alu instid0(VALU_DEP_1) | instskip(SKIP_1) | instid1(VALU_DEP_1)
	v_cndmask_b32_e64 v1, 0, v1, s0
	v_cmp_gt_i32_e64 s0, s31, v27
	v_cndmask_b32_e64 v18, 0, v18, s0
	v_cmp_gt_i32_e64 s0, s31, v26
	s_delay_alu instid0(VALU_DEP_1) | instskip(SKIP_1) | instid1(VALU_DEP_1)
	;; [unrolled: 5-line block ×3, first 2 shown]
	v_dual_cndmask_b32 v4, 0, v4, s0 :: v_dual_bitop2_b32 v5, v39, v5 bitop3:0x54
	v_cmp_gt_i32_e64 s0, s31, v23
	v_cndmask_b32_e64 v30, 0, v30, s0
.LBB60_56:                              ;   in Loop: Header=BB60_49 Depth=1
	s_or_b32 exec_lo, exec_lo, s21
	v_dual_lshlrev_b32 v18, 16, v18 :: v_dual_lshlrev_b32 v1, 16, v1
	s_delay_alu instid0(VALU_DEP_2) | instskip(NEXT) | instid1(VALU_DEP_2)
	v_lshlrev_b32_e32 v30, 16, v30
	v_and_or_b32 v2, 0xffff, v2, v18
	s_delay_alu instid0(VALU_DEP_3) | instskip(NEXT) | instid1(VALU_DEP_3)
	v_and_or_b32 v1, 0xffff, v3, v1
	v_and_or_b32 v3, 0xffff, v4, v30
	;;#ASMSTART
	v_pk_mul_f16 v2, v32, v2;

	;;#ASMEND
	;;#ASMSTART
	v_pk_mul_f16 v1, v31, v1;

	;;#ASMEND
	;; [unrolled: 4-line block ×4, first 2 shown]
	;;#ASMSTART
	v_pk_add_f16 v1, v2, v1;

	;;#ASMEND
	;;#ASMSTART
	v_pk_add_f16 v1, v1, v3;

	;;#ASMEND
	;;#ASMSTART
	v_pk_add_f16 v1, v1, v4;

	;;#ASMEND
	v_and_b32_e32 v2, 0xffff, v1
	v_lshrrev_b32_e32 v1, 16, v1
	;;#ASMSTART
	v_cvt_f32_f16 v18, v2;
	;;#ASMEND
	;;#ASMSTART
	v_cvt_f32_f16 v30, v1;
	;;#ASMEND
	global_load_b128 v[2:5], v[16:17], off offset:1536
	s_wait_loadcnt 0x0
	v_dual_lshrrev_b32 v1, 16, v3 :: v_dual_lshrrev_b32 v16, 16, v2
	v_lshrrev_b32_e32 v17, 16, v4
	s_and_saveexec_b32 s0, vcc_lo
	s_cbranch_execz .LBB60_47
; %bb.57:                               ;   in Loop: Header=BB60_49 Depth=1
	v_cmp_gt_i32_e32 vcc_lo, s31, v6
	v_cndmask_b32_e32 v2, 0, v2, vcc_lo
	v_cmp_gt_i32_e32 vcc_lo, s31, v28
	v_and_b32_e32 v28, 0xffff, v5
	v_and_b32_e32 v5, 0xffff0000, v5
	v_cndmask_b32_e32 v3, 0, v3, vcc_lo
	v_cmp_gt_i32_e32 vcc_lo, s14, v29
	v_cndmask_b32_e32 v1, 0, v1, vcc_lo
	v_cmp_gt_i32_e32 vcc_lo, s31, v27
	;; [unrolled: 2-line block ×5, first 2 shown]
	s_delay_alu instid0(VALU_DEP_2)
	v_dual_cndmask_b32 v4, 0, v4, vcc_lo :: v_dual_bitop2_b32 v5, v26, v5 bitop3:0x54
	v_cmp_gt_i32_e32 vcc_lo, s31, v23
	v_cndmask_b32_e32 v17, 0, v17, vcc_lo
	s_branch .LBB60_47
.LBB60_58:
	s_or_b32 exec_lo, exec_lo, s15
.LBB60_59:
	s_delay_alu instid0(SALU_CYCLE_1) | instskip(SKIP_4) | instid1(VALU_DEP_2)
	s_or_b32 exec_lo, exec_lo, s1
	v_lshl_add_u32 v2, v20, 2, 0x120
	v_and_b32_e32 v3, 0x3c0, v0
	s_mov_b32 s0, exec_lo
	s_barrier_signal -1
	v_lshl_add_u32 v1, v19, 9, v2
	s_barrier_wait -1
	v_cmpx_eq_u32_e32 64, v3
	s_cbranch_execz .LBB60_61
; %bb.60:
	s_delay_alu instid0(VALU_DEP_2)
	v_add_nc_u32_e32 v3, 0xfffffc00, v1
	v_add_nc_u32_e32 v4, 0xfffffc80, v1
	;; [unrolled: 1-line block ×4, first 2 shown]
	ds_store_b32 v3, v10
	ds_store_b32 v4, v11
	;; [unrolled: 1-line block ×4, first 2 shown]
.LBB60_61:
	s_or_b32 exec_lo, exec_lo, s0
	s_wait_dscnt 0x0
	s_barrier_signal -1
	s_barrier_wait -1
	s_and_saveexec_b32 s0, s2
	s_cbranch_execz .LBB60_63
; %bb.62:
	ds_load_2addr_b32 v[4:5], v1 offset1:32
	ds_load_2addr_b32 v[6:7], v1 offset0:64 offset1:96
	s_wait_dscnt 0x1
	v_pk_add_f32 v[10:11], v[10:11], v[4:5]
	s_wait_dscnt 0x0
	v_pk_add_f32 v[8:9], v[8:9], v[6:7]
.LBB60_63:
	s_or_b32 exec_lo, exec_lo, s0
	v_and_b32_e32 v3, 0x3e0, v0
	s_mov_b32 s0, exec_lo
	s_barrier_signal -1
	s_barrier_wait -1
	s_delay_alu instid0(VALU_DEP_1)
	v_cmpx_eq_u32_e32 32, v3
	s_cbranch_execz .LBB60_65
; %bb.64:
	ds_store_2addr_b32 v2, v10, v11 offset1:32
	ds_store_2addr_b32 v2, v8, v9 offset0:64 offset1:96
.LBB60_65:
	s_or_b32 exec_lo, exec_lo, s0
	v_cmp_gt_u32_e32 vcc_lo, 32, v0
	s_wait_dscnt 0x0
	s_barrier_signal -1
	s_barrier_wait -1
	s_and_saveexec_b32 s0, vcc_lo
	s_cbranch_execz .LBB60_67
; %bb.66:
	ds_load_2addr_b32 v[2:3], v1 offset1:32
	ds_load_2addr_b32 v[4:5], v1 offset0:64 offset1:96
	s_wait_dscnt 0x1
	v_pk_add_f32 v[10:11], v[10:11], v[2:3]
	s_wait_dscnt 0x0
	v_pk_add_f32 v[8:9], v[8:9], v[4:5]
.LBB60_67:
	s_or_b32 exec_lo, exec_lo, s0
	s_barrier_signal -1
	s_barrier_wait -1
	s_and_saveexec_b32 s0, vcc_lo
	s_cbranch_execz .LBB60_69
; %bb.68:
	s_mul_i32 s1, s30, s11
	s_bfe_u32 s5, ttmp6, 0x40014
	s_mul_i32 s1, s1, s29
	s_mul_i32 s0, s11, s16
	s_lshl_b32 s2, s1, 7
	s_lshr_b32 s4, ttmp7, 16
	s_ashr_i32 s3, s2, 31
	s_add_co_i32 s5, s5, 1
	s_lshl_b64 s[2:3], s[2:3], 1
	s_ashr_i32 s1, s0, 31
	s_wait_kmcnt 0x0
	s_add_nc_u64 s[2:3], s[6:7], s[2:3]
	s_mul_i32 s5, s4, s5
	s_bfe_u32 s6, ttmp6, 0x40008
	s_lshl_b64 s[0:1], s[0:1], 1
	s_add_co_i32 s6, s6, s5
	s_cmp_eq_u32 s28, 0
	s_add_nc_u64 s[0:1], s[2:3], s[0:1]
	s_cselect_b32 s2, s4, s6
	s_mov_b32 s3, 0
	s_lshl_b32 s2, s2, 8
	;;#ASMSTART
	v_cvt_f16_f32 v1, v10;

	;;#ASMEND
	s_add_nc_u64 s[0:1], s[0:1], s[2:3]
	global_store_b16 v0, v1, s[0:1] scale_offset
	s_wait_xcnt 0x0
	;;#ASMSTART
	v_cvt_f16_f32 v1, v11;

	;;#ASMEND
	global_store_b16 v0, v1, s[0:1] offset:64 scale_offset
	s_wait_xcnt 0x0
	;;#ASMSTART
	v_cvt_f16_f32 v1, v8;

	;;#ASMEND
	global_store_b16 v0, v1, s[0:1] offset:128 scale_offset
	;; [unrolled: 6-line block ×3, first 2 shown]
.LBB60_69:
	s_sendmsg sendmsg(MSG_DEALLOC_VGPRS)
	s_endpgm
	.section	.rodata,"a",@progbits
	.p2align	6, 0x0
	.amdhsa_kernel _ZN4vllm25paged_attention_v1_kernelIttLi128ELi8ELi128ELNS_18Fp8KVCacheDataTypeE0ELb1EEEvPT_PKS2_PKT0_S8_ifPKiSA_iPKfiiiSC_SC_iiiii
		.amdhsa_group_segment_fixed_size 288
		.amdhsa_private_segment_fixed_size 0
		.amdhsa_kernarg_size 384
		.amdhsa_user_sgpr_count 2
		.amdhsa_user_sgpr_dispatch_ptr 0
		.amdhsa_user_sgpr_queue_ptr 0
		.amdhsa_user_sgpr_kernarg_segment_ptr 1
		.amdhsa_user_sgpr_dispatch_id 0
		.amdhsa_user_sgpr_kernarg_preload_length 0
		.amdhsa_user_sgpr_kernarg_preload_offset 0
		.amdhsa_user_sgpr_private_segment_size 0
		.amdhsa_wavefront_size32 1
		.amdhsa_uses_dynamic_stack 0
		.amdhsa_enable_private_segment 0
		.amdhsa_system_sgpr_workgroup_id_x 1
		.amdhsa_system_sgpr_workgroup_id_y 1
		.amdhsa_system_sgpr_workgroup_id_z 1
		.amdhsa_system_sgpr_workgroup_info 0
		.amdhsa_system_vgpr_workitem_id 0
		.amdhsa_next_free_vgpr 78
		.amdhsa_next_free_sgpr 42
		.amdhsa_named_barrier_count 0
		.amdhsa_reserve_vcc 1
		.amdhsa_float_round_mode_32 0
		.amdhsa_float_round_mode_16_64 0
		.amdhsa_float_denorm_mode_32 3
		.amdhsa_float_denorm_mode_16_64 3
		.amdhsa_fp16_overflow 0
		.amdhsa_memory_ordered 1
		.amdhsa_forward_progress 1
		.amdhsa_inst_pref_size 50
		.amdhsa_round_robin_scheduling 0
		.amdhsa_exception_fp_ieee_invalid_op 0
		.amdhsa_exception_fp_denorm_src 0
		.amdhsa_exception_fp_ieee_div_zero 0
		.amdhsa_exception_fp_ieee_overflow 0
		.amdhsa_exception_fp_ieee_underflow 0
		.amdhsa_exception_fp_ieee_inexact 0
		.amdhsa_exception_int_div_zero 0
	.end_amdhsa_kernel
	.section	.text._ZN4vllm25paged_attention_v1_kernelIttLi128ELi8ELi128ELNS_18Fp8KVCacheDataTypeE0ELb1EEEvPT_PKS2_PKT0_S8_ifPKiSA_iPKfiiiSC_SC_iiiii,"axG",@progbits,_ZN4vllm25paged_attention_v1_kernelIttLi128ELi8ELi128ELNS_18Fp8KVCacheDataTypeE0ELb1EEEvPT_PKS2_PKT0_S8_ifPKiSA_iPKfiiiSC_SC_iiiii,comdat
.Lfunc_end60:
	.size	_ZN4vllm25paged_attention_v1_kernelIttLi128ELi8ELi128ELNS_18Fp8KVCacheDataTypeE0ELb1EEEvPT_PKS2_PKT0_S8_ifPKiSA_iPKfiiiSC_SC_iiiii, .Lfunc_end60-_ZN4vllm25paged_attention_v1_kernelIttLi128ELi8ELi128ELNS_18Fp8KVCacheDataTypeE0ELb1EEEvPT_PKS2_PKT0_S8_ifPKiSA_iPKfiiiSC_SC_iiiii
                                        ; -- End function
	.set _ZN4vllm25paged_attention_v1_kernelIttLi128ELi8ELi128ELNS_18Fp8KVCacheDataTypeE0ELb1EEEvPT_PKS2_PKT0_S8_ifPKiSA_iPKfiiiSC_SC_iiiii.num_vgpr, 78
	.set _ZN4vllm25paged_attention_v1_kernelIttLi128ELi8ELi128ELNS_18Fp8KVCacheDataTypeE0ELb1EEEvPT_PKS2_PKT0_S8_ifPKiSA_iPKfiiiSC_SC_iiiii.num_agpr, 0
	.set _ZN4vllm25paged_attention_v1_kernelIttLi128ELi8ELi128ELNS_18Fp8KVCacheDataTypeE0ELb1EEEvPT_PKS2_PKT0_S8_ifPKiSA_iPKfiiiSC_SC_iiiii.numbered_sgpr, 42
	.set _ZN4vllm25paged_attention_v1_kernelIttLi128ELi8ELi128ELNS_18Fp8KVCacheDataTypeE0ELb1EEEvPT_PKS2_PKT0_S8_ifPKiSA_iPKfiiiSC_SC_iiiii.num_named_barrier, 0
	.set _ZN4vllm25paged_attention_v1_kernelIttLi128ELi8ELi128ELNS_18Fp8KVCacheDataTypeE0ELb1EEEvPT_PKS2_PKT0_S8_ifPKiSA_iPKfiiiSC_SC_iiiii.private_seg_size, 0
	.set _ZN4vllm25paged_attention_v1_kernelIttLi128ELi8ELi128ELNS_18Fp8KVCacheDataTypeE0ELb1EEEvPT_PKS2_PKT0_S8_ifPKiSA_iPKfiiiSC_SC_iiiii.uses_vcc, 1
	.set _ZN4vllm25paged_attention_v1_kernelIttLi128ELi8ELi128ELNS_18Fp8KVCacheDataTypeE0ELb1EEEvPT_PKS2_PKT0_S8_ifPKiSA_iPKfiiiSC_SC_iiiii.uses_flat_scratch, 0
	.set _ZN4vllm25paged_attention_v1_kernelIttLi128ELi8ELi128ELNS_18Fp8KVCacheDataTypeE0ELb1EEEvPT_PKS2_PKT0_S8_ifPKiSA_iPKfiiiSC_SC_iiiii.has_dyn_sized_stack, 0
	.set _ZN4vllm25paged_attention_v1_kernelIttLi128ELi8ELi128ELNS_18Fp8KVCacheDataTypeE0ELb1EEEvPT_PKS2_PKT0_S8_ifPKiSA_iPKfiiiSC_SC_iiiii.has_recursion, 0
	.set _ZN4vllm25paged_attention_v1_kernelIttLi128ELi8ELi128ELNS_18Fp8KVCacheDataTypeE0ELb1EEEvPT_PKS2_PKT0_S8_ifPKiSA_iPKfiiiSC_SC_iiiii.has_indirect_call, 0
	.section	.AMDGPU.csdata,"",@progbits
; Kernel info:
; codeLenInByte = 6368
; TotalNumSgprs: 44
; NumVgprs: 78
; ScratchSize: 0
; MemoryBound: 0
; FloatMode: 240
; IeeeMode: 1
; LDSByteSize: 288 bytes/workgroup (compile time only)
; SGPRBlocks: 0
; VGPRBlocks: 4
; NumSGPRsForWavesPerEU: 44
; NumVGPRsForWavesPerEU: 78
; NamedBarCnt: 0
; Occupancy: 12
; WaveLimiterHint : 1
; COMPUTE_PGM_RSRC2:SCRATCH_EN: 0
; COMPUTE_PGM_RSRC2:USER_SGPR: 2
; COMPUTE_PGM_RSRC2:TRAP_HANDLER: 0
; COMPUTE_PGM_RSRC2:TGID_X_EN: 1
; COMPUTE_PGM_RSRC2:TGID_Y_EN: 1
; COMPUTE_PGM_RSRC2:TGID_Z_EN: 1
; COMPUTE_PGM_RSRC2:TIDIG_COMP_CNT: 0
	.section	.text._ZN4vllm25paged_attention_v1_kernelIttLi192ELi8ELi128ELNS_18Fp8KVCacheDataTypeE0ELb1EEEvPT_PKS2_PKT0_S8_ifPKiSA_iPKfiiiSC_SC_iiiii,"axG",@progbits,_ZN4vllm25paged_attention_v1_kernelIttLi192ELi8ELi128ELNS_18Fp8KVCacheDataTypeE0ELb1EEEvPT_PKS2_PKT0_S8_ifPKiSA_iPKfiiiSC_SC_iiiii,comdat
	.protected	_ZN4vllm25paged_attention_v1_kernelIttLi192ELi8ELi128ELNS_18Fp8KVCacheDataTypeE0ELb1EEEvPT_PKS2_PKT0_S8_ifPKiSA_iPKfiiiSC_SC_iiiii ; -- Begin function _ZN4vllm25paged_attention_v1_kernelIttLi192ELi8ELi128ELNS_18Fp8KVCacheDataTypeE0ELb1EEEvPT_PKS2_PKT0_S8_ifPKiSA_iPKfiiiSC_SC_iiiii
	.globl	_ZN4vllm25paged_attention_v1_kernelIttLi192ELi8ELi128ELNS_18Fp8KVCacheDataTypeE0ELb1EEEvPT_PKS2_PKT0_S8_ifPKiSA_iPKfiiiSC_SC_iiiii
	.p2align	8
	.type	_ZN4vllm25paged_attention_v1_kernelIttLi192ELi8ELi128ELNS_18Fp8KVCacheDataTypeE0ELb1EEEvPT_PKS2_PKT0_S8_ifPKiSA_iPKfiiiSC_SC_iiiii,@function
_ZN4vllm25paged_attention_v1_kernelIttLi192ELi8ELi128ELNS_18Fp8KVCacheDataTypeE0ELb1EEEvPT_PKS2_PKT0_S8_ifPKiSA_iPKfiiiSC_SC_iiiii: ; @_ZN4vllm25paged_attention_v1_kernelIttLi192ELi8ELi128ELNS_18Fp8KVCacheDataTypeE0ELb1EEEvPT_PKS2_PKT0_S8_ifPKiSA_iPKfiiiSC_SC_iiiii
; %bb.0:
	s_load_b64 s[22:23], s[0:1], 0x20
	s_bfe_u32 s3, ttmp6, 0x4000c
	s_bfe_u32 s4, ttmp6, 0x40010
	s_and_b32 s6, ttmp7, 0xffff
	s_add_co_i32 s3, s3, 1
	s_add_co_i32 s4, s4, 1
	s_and_b32 s2, ttmp6, 15
	s_bfe_u32 s5, ttmp6, 0x40004
	s_mul_i32 s3, ttmp9, s3
	s_mul_i32 s4, s6, s4
	s_getreg_b32 s28, hwreg(HW_REG_IB_STS2, 6, 4)
	s_add_co_i32 s2, s2, s3
	s_add_co_i32 s3, s5, s4
	s_cmp_eq_u32 s28, 0
	s_clause 0x1
	s_load_b32 s29, s[0:1], 0x80
	s_load_b64 s[4:5], s[0:1], 0x30
	s_cselect_b32 s30, s6, s3
	s_cselect_b32 s2, ttmp9, s2
	s_mov_b32 s17, 0
	s_delay_alu instid0(SALU_CYCLE_1) | instskip(SKIP_2) | instid1(SALU_CYCLE_1)
	s_mov_b32 s35, s17
	s_wait_kmcnt 0x0
	s_abs_i32 s3, s22
	s_cvt_f32_u32 s6, s3
	s_sub_co_i32 s7, 0, s3
	s_delay_alu instid0(SALU_CYCLE_2) | instskip(SKIP_2) | instid1(TRANS32_DEP_1)
	v_rcp_iflag_f32_e32 v1, s6
	s_abs_i32 s8, s29
	v_nop
	v_readfirstlane_b32 s6, v1
	s_mul_f32 s6, s6, 0x4f7ffffe
	s_delay_alu instid0(SALU_CYCLE_3) | instskip(NEXT) | instid1(SALU_CYCLE_3)
	s_cvt_u32_f32 s6, s6
	s_mul_i32 s7, s7, s6
	s_delay_alu instid0(SALU_CYCLE_1) | instskip(NEXT) | instid1(SALU_CYCLE_1)
	s_mul_hi_u32 s7, s6, s7
	s_add_co_i32 s6, s6, s7
	s_xor_b32 s7, s29, s22
	s_mul_hi_u32 s6, s8, s6
	s_ashr_i32 s7, s7, 31
	s_mul_i32 s9, s6, s3
	s_delay_alu instid0(SALU_CYCLE_1)
	s_sub_co_i32 s8, s8, s9
	s_add_co_i32 s9, s6, 1
	s_sub_co_i32 s10, s8, s3
	s_cmp_ge_u32 s8, s3
	s_cselect_b32 s6, s9, s6
	s_cselect_b32 s8, s10, s8
	s_add_co_i32 s9, s6, 1
	s_cmp_ge_u32 s8, s3
	s_cselect_b32 s3, s9, s6
	s_load_b64 s[8:9], s[0:1], 0x40
	s_xor_b32 s3, s3, s7
	s_abs_i32 s16, s2
	s_sub_co_i32 s10, s3, s7
	s_mov_b32 s7, s17
	s_abs_i32 s15, s10
	s_delay_alu instid0(SALU_CYCLE_1) | instskip(SKIP_1) | instid1(SALU_CYCLE_2)
	s_cvt_f32_u32 s3, s15
	s_sub_co_i32 s6, 0, s15
	v_rcp_iflag_f32_e32 v1, s3
	v_nop
	s_delay_alu instid0(TRANS32_DEP_1) | instskip(SKIP_1) | instid1(SALU_CYCLE_3)
	v_readfirstlane_b32 s3, v1
	s_mul_f32 s3, s3, 0x4f7ffffe
	s_cvt_u32_f32 s3, s3
	s_delay_alu instid0(SALU_CYCLE_3) | instskip(NEXT) | instid1(SALU_CYCLE_1)
	s_mul_i32 s6, s6, s3
	s_mul_hi_u32 s6, s3, s6
	s_delay_alu instid0(SALU_CYCLE_1)
	s_add_co_i32 s6, s3, s6
	s_wait_kmcnt 0x0
	s_cmp_eq_u64 s[8:9], 0
	s_cbranch_scc1 .LBB61_2
; %bb.1:
	s_ashr_i32 s3, s2, 31
	s_delay_alu instid0(SALU_CYCLE_1) | instskip(NEXT) | instid1(SALU_CYCLE_1)
	s_lshl_b64 s[12:13], s[2:3], 2
	s_add_nc_u64 s[8:9], s[8:9], s[12:13]
	s_load_b32 s35, s[8:9], 0x0
.LBB61_2:
	s_load_b32 s31, s[4:5], s30 offset:0x0 scale_offset
	s_load_b96 s[12:14], s[0:1], 0x48
	v_and_b32_e32 v4, 3, v0
	s_wait_xcnt 0x0
	s_mul_u64 s[4:5], s[16:17], s[6:7]
	s_ashr_i32 s3, s2, 31
	s_ashr_i32 s18, s10, 31
	s_mul_i32 s6, s2, 0xc0
	s_mov_b32 s4, exec_lo
	v_cmpx_gt_u32_e32 0x60, v0
	s_cbranch_execz .LBB61_4
; %bb.3:
	s_load_b64 s[8:9], s[0:1], 0x8
	s_wait_kmcnt 0x0
	s_mul_i32 s10, s12, s30
	s_ashr_i32 s7, s6, 31
	s_ashr_i32 s11, s10, 31
	v_and_b32_e32 v2, 0x3fc, v0
	s_lshl_b64 s[10:11], s[10:11], 1
	s_delay_alu instid0(VALU_DEP_1) | instskip(SKIP_2) | instid1(SALU_CYCLE_1)
	v_mad_u32_u24 v2, 0x60, v4, v2
	s_add_nc_u64 s[8:9], s[8:9], s[10:11]
	s_lshl_b64 s[10:11], s[6:7], 1
	s_add_nc_u64 s[8:9], s[8:9], s[10:11]
	global_load_b32 v1, v0, s[8:9] scale_offset
	s_wait_loadcnt 0x0
	ds_store_b32 v2, v1
.LBB61_4:
	s_or_b32 exec_lo, exec_lo, s4
	s_load_b128 s[8:11], s[0:1], 0x68
	s_mul_i32 s4, s5, s15
	s_xor_b32 s3, s3, s18
	s_sub_co_i32 s4, s16, s4
	s_add_co_i32 s7, s5, 1
	s_wait_kmcnt 0x0
	s_sub_co_i32 s12, s4, s15
	s_cmp_ge_u32 s4, s15
	s_mov_b32 s18, -1
	s_cselect_b32 s5, s7, s5
	s_cselect_b32 s4, s12, s4
	s_add_co_i32 s12, s5, 1
	s_cmp_ge_u32 s4, s15
	s_load_b32 s7, s[0:1], 0x78
	s_cselect_b32 s4, s12, s5
	s_add_co_i32 s15, s31, -1
	s_xor_b32 s4, s4, s3
	s_wait_dscnt 0x0
	s_sub_co_i32 s3, s4, s3
	s_barrier_signal -1
	s_barrier_wait -1
	s_abs_i32 s12, s11
	s_delay_alu instid0(SALU_CYCLE_1) | instskip(NEXT) | instid1(SALU_CYCLE_3)
	s_cvt_f32_u32 s5, s12
                                        ; implicit-def: $sgpr33
	v_rcp_iflag_f32_e32 v1, s5
	v_nop
	s_delay_alu instid0(TRANS32_DEP_1) | instskip(SKIP_1) | instid1(SALU_CYCLE_3)
	v_readfirstlane_b32 s5, v1
	s_mul_f32 s4, s5, 0x4f7ffffe
	s_cvt_u32_f32 s16, s4
	s_sub_co_i32 s4, 0, s12
	s_delay_alu instid0(SALU_CYCLE_2)
	s_mul_i32 s5, s4, s16
	s_abs_i32 s4, s15
	s_mul_hi_u32 s17, s16, s5
	s_mov_b32 s5, 0
	s_add_co_i32 s16, s16, s17
	s_wait_kmcnt 0x0
	s_cmp_lt_i32 s7, 0
	s_mov_b32 s17, s5
	s_cbranch_scc0 .LBB61_6
; %bb.5:
	s_mul_i32 s18, s8, s22
	s_delay_alu instid0(SALU_CYCLE_1) | instskip(NEXT) | instid1(SALU_CYCLE_1)
	s_add_co_i32 s18, s3, s18
	s_mul_i32 s18, s18, s7
	s_delay_alu instid0(SALU_CYCLE_1)
	s_sub_co_i32 s33, 1, s18
	s_mov_b32 s18, s5
.LBB61_6:
	s_ashr_i32 s15, s15, 31
	s_ashr_i32 s11, s11, 31
	s_and_not1_b32 vcc_lo, exec_lo, s18
	s_mul_u64 s[24:25], s[4:5], s[16:17]
	s_cbranch_vccnz .LBB61_8
; %bb.7:
	s_mul_i32 s5, s29, s8
	s_delay_alu instid0(SALU_CYCLE_1) | instskip(NEXT) | instid1(SALU_CYCLE_1)
	s_add_co_i32 s2, s5, s2
	s_mul_i32 s2, s2, s7
	s_delay_alu instid0(SALU_CYCLE_1)
	s_add_co_i32 s33, s2, 1
.LBB61_8:
	s_load_b32 s2, s[0:1], 0x38
	s_mul_i32 s7, s25, s12
	s_xor_b32 s5, s15, s11
	s_sub_co_i32 s4, s4, s7
	s_add_co_i32 s8, s25, 1
	s_clause 0x1
	s_load_b64 s[18:19], s[0:1], 0x28
	s_load_b32 s7, s[0:1], 0x88
	v_dual_mov_b32 v12, 0xff7fffff :: v_dual_lshrrev_b32 v21, 5, v0
	v_lshrrev_b32_e32 v1, 3, v0
	v_mbcnt_lo_u32_b32 v7, -1, 0
	s_mul_i32 s14, s3, s14
	s_delay_alu instid0(VALU_DEP_3)
	v_lshlrev_b32_e32 v6, 3, v21
	s_wait_kmcnt 0x0
	s_mul_i32 s20, s2, s30
	s_sub_co_i32 s2, s4, s12
	s_ashr_i32 s21, s20, 31
	s_cmp_ge_u32 s4, s12
	s_cselect_b32 s8, s8, s25
	s_cselect_b32 s2, s2, s4
	s_add_co_i32 s4, s8, 1
	s_cmp_ge_u32 s2, s12
	s_cselect_b32 s2, s4, s8
	s_add_co_i32 s4, s31, 7
	s_delay_alu instid0(SALU_CYCLE_1) | instskip(NEXT) | instid1(SALU_CYCLE_1)
	s_ashr_i32 s8, s4, 31
	s_lshr_b32 s8, s8, 29
	s_delay_alu instid0(SALU_CYCLE_1) | instskip(NEXT) | instid1(SALU_CYCLE_1)
	s_add_co_i32 s4, s4, s8
	s_ashr_i32 s34, s4, 3
	s_xor_b32 s4, s2, s5
	v_cmp_gt_i32_e64 s2, s34, v21
	s_sub_co_i32 s8, s4, s5
	s_and_saveexec_b32 s22, s2
	s_cbranch_execz .LBB61_20
; %bb.9:
	s_load_b64 s[4:5], s[0:1], 0x10
	s_ashr_i32 s15, s14, 31
	s_sub_co_i32 s36, s8, s9
	s_ashr_i32 s25, s13, 31
	s_lshl_b64 s[38:39], s[14:15], 1
	s_cmp_neq_f32 s35, 0
	v_bfe_u32 v10, v0, 2, 3
	v_mov_b32_e32 v3, 0
	v_mul_u32_u24_e32 v11, 0x60, v4
	s_cselect_b32 vcc_lo, -1, 0
	s_abs_i32 s15, s10
	v_lshlrev_b32_e32 v2, 4, v10
	s_cvt_f32_u32 s3, s15
	v_subrev_nc_u32_e32 v9, s31, v10
	v_lshlrev_b32_e32 v8, 2, v0
	s_sub_co_i32 s26, 0, s15
	v_rcp_iflag_f32_e32 v5, s3
	v_cmp_eq_u32_e64 s3, 0, v4
	v_dual_add_nc_u32 v13, 1, v9 :: v_dual_bitop2_b32 v16, 2, v7 bitop3:0x14
	v_mov_b32_e32 v18, v21
	s_wait_kmcnt 0x0
	s_add_nc_u64 s[4:5], s[4:5], s[38:39]
	v_xor_b32_e32 v17, 1, v7
	v_readfirstlane_b32 s24, v5
	v_add_nc_u64_e32 v[4:5], s[4:5], v[2:3]
	v_dual_lshlrev_b32 v8, 2, v10 :: v_dual_bitop2_b32 v2, 12, v8 bitop3:0x40
	s_lshl_b64 s[4:5], s[20:21], 2
	s_mul_f32 s24, s24, 0x4f7ffffe
	s_add_nc_u64 s[4:5], s[18:19], s[4:5]
	s_mov_b32 s27, 0
	s_delay_alu instid0(VALU_DEP_2)
	v_add_nc_u64_e32 v[4:5], v[4:5], v[2:3]
	v_and_b32_e32 v2, 0x7c, v1
	s_cvt_u32_f32 s37, s24
	v_lshl_or_b32 v12, v21, 5, v8
	v_mov_b32_e32 v15, 0xff7fffff
	s_mov_b32 s24, s13
	v_add_nc_u64_e32 v[8:9], s[4:5], v[2:3]
	s_mul_i32 s26, s26, s37
	v_lshlrev_b32_e32 v2, 3, v21
	v_add_nc_u32_e32 v14, 0x1a0, v12
	v_mov_b32_e32 v12, 0xff7fffff
	s_mul_hi_u32 s4, s37, s26
	s_delay_alu instid0(SALU_CYCLE_1)
	s_add_co_i32 s26, s37, s4
	s_mov_b32 s37, s27
	s_branch .LBB61_12
.LBB61_10:                              ;   in Loop: Header=BB61_12 Depth=1
	s_or_b32 exec_lo, exec_lo, s38
.LBB61_11:                              ;   in Loop: Header=BB61_12 Depth=1
	s_delay_alu instid0(SALU_CYCLE_1) | instskip(SKIP_4) | instid1(VALU_DEP_4)
	s_or_b32 exec_lo, exec_lo, s5
	v_add_nc_u32_e32 v18, 4, v18
	v_add_nc_u64_e32 v[8:9], 16, v[8:9]
	v_add_nc_u32_e32 v2, 32, v2
	v_add_nc_u32_e32 v14, 0x80, v14
	v_cmp_le_i32_e64 s4, s34, v18
	s_or_b32 s37, s4, s37
	s_delay_alu instid0(SALU_CYCLE_1)
	s_and_not1_b32 exec_lo, exec_lo, s37
	s_cbranch_execz .LBB61_19
.LBB61_12:                              ; =>This Inner Loop Header: Depth=1
	v_mul_u64_e32 v[22:23], s[16:17], v[2:3]
	s_delay_alu instid0(VALU_DEP_1) | instskip(SKIP_2) | instid1(VALU_DEP_2)
	v_mul_lo_u32 v19, v23, s12
	s_wait_dscnt 0x0
	v_add_nc_u32_e32 v20, 1, v23
	v_sub_nc_u32_e32 v19, v2, v19
	s_delay_alu instid0(VALU_DEP_1) | instskip(NEXT) | instid1(VALU_DEP_1)
	v_cmp_le_u32_e64 s4, s12, v19
	v_cndmask_b32_e64 v20, v23, v20, s4
	v_subrev_nc_u32_e32 v22, s12, v19
	v_mov_b32_e32 v23, v3
	s_delay_alu instid0(VALU_DEP_2) | instskip(NEXT) | instid1(VALU_DEP_1)
	v_dual_cndmask_b32 v19, v19, v22, s4 :: v_dual_add_nc_u32 v22, 1, v20
	v_cmp_le_u32_e64 s4, s12, v19
	s_delay_alu instid0(VALU_DEP_1) | instskip(NEXT) | instid1(VALU_DEP_1)
	v_cndmask_b32_e64 v19, v20, v22, s4
	v_xor_b32_e32 v19, s11, v19
	s_delay_alu instid0(VALU_DEP_1) | instskip(NEXT) | instid1(VALU_DEP_1)
	v_subrev_nc_u32_e32 v19, s11, v19
	v_add_nc_u32_e32 v20, s33, v19
	v_cmp_ge_i32_e64 s5, s36, v19
	s_delay_alu instid0(VALU_DEP_2) | instskip(NEXT) | instid1(VALU_DEP_1)
	v_sub_nc_u32_e32 v22, 0, v20
	v_dual_ashrrev_i32 v20, 31, v20 :: v_dual_max_i32 v22, v20, v22
	s_delay_alu instid0(VALU_DEP_1) | instskip(NEXT) | instid1(VALU_DEP_1)
	v_mul_u64_e32 v[24:25], s[26:27], v[22:23]
	v_mul_lo_u32 v23, v25, s15
	s_delay_alu instid0(VALU_DEP_1) | instskip(NEXT) | instid1(VALU_DEP_1)
	v_sub_nc_u32_e32 v22, v22, v23
	v_subrev_nc_u32_e32 v23, s15, v22
	v_cmp_le_u32_e64 s4, s15, v22
	s_delay_alu instid0(VALU_DEP_1) | instskip(NEXT) | instid1(VALU_DEP_1)
	v_cndmask_b32_e64 v22, v22, v23, s4
	v_subrev_nc_u32_e32 v23, s15, v22
	v_cmp_le_u32_e64 s4, s15, v22
	s_delay_alu instid0(VALU_DEP_1) | instskip(NEXT) | instid1(VALU_DEP_1)
	v_cndmask_b32_e64 v22, v22, v23, s4
	v_xor_b32_e32 v22, v22, v20
	s_delay_alu instid0(VALU_DEP_1) | instskip(NEXT) | instid1(VALU_DEP_1)
	v_sub_nc_u32_e32 v20, v22, v20
	v_cmp_ne_u32_e64 s4, 0, v20
	s_and_b32 s4, s4, s5
	s_delay_alu instid0(SALU_CYCLE_1) | instskip(NEXT) | instid1(SALU_CYCLE_1)
	s_and_saveexec_b32 s5, s4
	s_xor_b32 s4, exec_lo, s5
	s_cbranch_execz .LBB61_16
; %bb.13:                               ;   in Loop: Header=BB61_12 Depth=1
	s_and_saveexec_b32 s5, s3
; %bb.14:                               ;   in Loop: Header=BB61_12 Depth=1
	ds_store_b32 v14, v15
; %bb.15:                               ;   in Loop: Header=BB61_12 Depth=1
	s_or_b32 exec_lo, exec_lo, s5
.LBB61_16:                              ;   in Loop: Header=BB61_12 Depth=1
	s_and_not1_saveexec_b32 s5, s4
	s_cbranch_execz .LBB61_11
; %bb.17:                               ;   in Loop: Header=BB61_12 Depth=1
	global_load_b32 v22, v[8:9], off
	v_cmp_gt_i32_e64 s4, 32, v16
	s_wait_loadcnt 0x0
	v_ashrrev_i32_e32 v23, 31, v22
	s_delay_alu instid0(VALU_DEP_1) | instskip(NEXT) | instid1(VALU_DEP_1)
	v_mul_u64_e32 v[22:23], s[24:25], v[22:23]
	v_lshl_add_u64 v[36:37], v[22:23], 1, v[4:5]
	s_clause 0xa
	global_load_b32 v19, v[36:37], off
	global_load_b32 v38, v[36:37], off offset:128
	global_load_b32 v39, v[36:37], off offset:256
	;; [unrolled: 1-line block ×10, first 2 shown]
	ds_load_b32 v20, v11
	s_clause 0x4
	global_load_b32 v32, v[36:37], off offset:1408
	global_load_b32 v31, v[36:37], off offset:1536
	;; [unrolled: 1-line block ×5, first 2 shown]
	s_wait_dscnt 0x0
	v_lshrrev_b32_e32 v43, 16, v20
	v_and_b32_e32 v44, 0xffff, v20
	s_wait_loadcnt 0xf
	v_and_b32_e32 v45, 0xffff, v19
	v_lshrrev_b32_e32 v46, 16, v19
	s_clause 0x7
	global_load_b32 v27, v[36:37], off offset:2048
	global_load_b32 v26, v[36:37], off offset:2176
	;; [unrolled: 1-line block ×8, first 2 shown]
	;;#ASMSTART
	v_cvt_f32_f16 v52, v44;
	;;#ASMEND
	;;#ASMSTART
	v_cvt_f32_f16 v50, v43;
	;;#ASMEND
	;; [unrolled: 3-line block ×4, first 2 shown]
	s_wait_xcnt 0x0
	ds_load_b32 v36, v11 offset:4
	s_wait_loadcnt 0x16
	v_and_b32_e32 v43, 0xffff, v38
	v_lshrrev_b32_e32 v38, 16, v38
	s_wait_loadcnt 0x12
	v_and_b32_e32 v57, 0xffff, v42
	s_wait_loadcnt 0x11
	v_and_b32_e32 v59, 0xffff, v56
	s_wait_loadcnt 0x10
	v_dual_lshrrev_b32 v63, 16, v56 :: v_dual_lshrrev_b32 v68, 16, v62
	v_and_b32_e32 v65, 0xffff, v62
	s_wait_loadcnt 0xf
	v_and_b32_e32 v70, 0xffff, v35
	s_wait_loadcnt 0xe
	v_dual_lshrrev_b32 v71, 16, v35 :: v_dual_lshrrev_b32 v74, 16, v34
	;; [unrolled: 5-line block ×3, first 2 shown]
	v_and_b32_e32 v79, 0xffff, v32
	s_wait_loadcnt 0xb
	v_and_b32_e32 v82, 0xffff, v31
	v_lshrrev_b32_e32 v31, 16, v31
	s_wait_loadcnt 0xa
	v_and_b32_e32 v85, 0xffff, v30
	v_lshrrev_b32_e32 v30, 16, v30
	s_wait_dscnt 0x0
	v_and_b32_e32 v37, 0xffff, v36
	v_lshrrev_b32_e32 v36, 16, v36
	;;#ASMSTART
	v_cvt_f32_f16 v66, v37;
	;;#ASMEND
	;;#ASMSTART
	v_cvt_f32_f16 v60, v36;
	;;#ASMEND
	;; [unrolled: 3-line block ×4, first 2 shown]
	ds_load_b32 v36, v11 offset:8
	v_and_b32_e32 v38, 0xffff, v39
	v_dual_lshrrev_b32 v39, 16, v39 :: v_dual_lshrrev_b32 v58, 16, v42
	s_wait_loadcnt 0x9
	v_lshrrev_b32_e32 v88, 16, v29
	s_wait_dscnt 0x0
	v_and_b32_e32 v37, 0xffff, v36
	v_lshrrev_b32_e32 v36, 16, v36
	;;#ASMSTART
	v_cvt_f32_f16 v54, v37;
	;;#ASMEND
	;;#ASMSTART
	v_cvt_f32_f16 v45, v36;
	;;#ASMEND
	;;#ASMSTART
	v_cvt_f32_f16 v55, v38;
	;;#ASMEND
	;;#ASMSTART
	v_cvt_f32_f16 v47, v39;
	;;#ASMEND
	ds_load_b32 v36, v11 offset:12
	v_and_b32_e32 v38, 0xffff, v40
	v_dual_lshrrev_b32 v39, 16, v40 :: v_dual_lshrrev_b32 v40, 16, v41
	s_wait_dscnt 0x0
	v_and_b32_e32 v37, 0xffff, v36
	v_lshrrev_b32_e32 v36, 16, v36
	;;#ASMSTART
	v_cvt_f32_f16 v48, v37;
	;;#ASMEND
	;;#ASMSTART
	v_cvt_f32_f16 v44, v36;
	;;#ASMEND
	;; [unrolled: 3-line block ×4, first 2 shown]
	ds_load_b32 v36, v11 offset:16
	v_and_b32_e32 v39, 0xffff, v41
	s_wait_dscnt 0x0
	v_and_b32_e32 v37, 0xffff, v36
	v_lshrrev_b32_e32 v36, 16, v36
	;;#ASMSTART
	v_cvt_f32_f16 v38, v37;
	;;#ASMEND
	;;#ASMSTART
	v_cvt_f32_f16 v36, v36;
	;;#ASMEND
	;;#ASMSTART
	v_cvt_f32_f16 v39, v39;
	;;#ASMEND
	;;#ASMSTART
	v_cvt_f32_f16 v37, v40;
	;;#ASMEND
	ds_load_b32 v40, v11 offset:20
	s_wait_dscnt 0x0
	v_and_b32_e32 v41, 0xffff, v40
	v_lshrrev_b32_e32 v43, 16, v40
	;;#ASMSTART
	v_cvt_f32_f16 v40, v41;
	;;#ASMEND
	;;#ASMSTART
	v_cvt_f32_f16 v41, v43;
	;;#ASMEND
	;;#ASMSTART
	v_cvt_f32_f16 v42, v57;
	;;#ASMEND
	;;#ASMSTART
	v_cvt_f32_f16 v43, v58;
	;;#ASMEND
	ds_load_b32 v57, v11 offset:24
	;; [unrolled: 16-line block ×10, first 2 shown]
	v_mul_f32_e32 v30, v66, v67
	v_and_b32_e32 v67, 0xffff, v29
	v_mul_f32_e32 v29, v60, v61
	s_delay_alu instid0(VALU_DEP_3) | instskip(SKIP_2) | instid1(VALU_DEP_3)
	v_fmac_f32_e32 v30, v52, v53
	s_wait_loadcnt 0x8
	v_and_b32_e32 v53, 0xffff, v28
	v_dual_fmac_f32 v29, v50, v51 :: v_dual_lshrrev_b32 v28, 16, v28
	s_delay_alu instid0(VALU_DEP_3)
	v_fmac_f32_e32 v30, v54, v55
	s_wait_loadcnt 0x7
	v_and_b32_e32 v54, 0xffff, v27
	s_wait_dscnt 0x0
	v_and_b32_e32 v66, 0xffff, v31
	v_lshrrev_b32_e32 v31, 16, v31
	;;#ASMSTART
	v_cvt_f32_f16 v60, v66;
	;;#ASMEND
	;;#ASMSTART
	v_cvt_f32_f16 v61, v31;
	;;#ASMEND
	;; [unrolled: 3-line block ×4, first 2 shown]
	ds_load_b32 v31, v11 offset:60
	s_wait_dscnt 0x0
	v_and_b32_e32 v52, 0xffff, v31
	v_lshrrev_b32_e32 v31, 16, v31
	;;#ASMSTART
	v_cvt_f32_f16 v50, v52;
	;;#ASMEND
	;;#ASMSTART
	v_cvt_f32_f16 v31, v31;
	;;#ASMEND
	;; [unrolled: 3-line block ×4, first 2 shown]
	ds_load_b32 v28, v11 offset:64
	s_wait_dscnt 0x0
	v_and_b32_e32 v53, 0xffff, v28
	v_dual_fmac_f32 v29, v45, v47 :: v_dual_lshrrev_b32 v28, 16, v28
	s_wait_loadcnt 0x6
	v_and_b32_e32 v47, 0xffff, v26
	v_dual_lshrrev_b32 v26, 16, v26 :: v_dual_lshrrev_b32 v27, 16, v27
	v_fmac_f32_e32 v30, v48, v49
	;;#ASMSTART
	v_cvt_f32_f16 v53, v53;
	;;#ASMEND
	;;#ASMSTART
	v_cvt_f32_f16 v28, v28;
	;;#ASMEND
	;; [unrolled: 3-line block ×4, first 2 shown]
	ds_load_b32 v27, v11 offset:68
	v_fmac_f32_e32 v29, v44, v46
	s_wait_loadcnt 0x5
	v_and_b32_e32 v46, 0xffff, v25
	v_dual_fmac_f32 v30, v38, v39 :: v_dual_lshrrev_b32 v25, 16, v25
	s_wait_loadcnt 0x4
	v_and_b32_e32 v39, 0xffff, v24
	v_dual_fmac_f32 v29, v36, v37 :: v_dual_lshrrev_b32 v24, 16, v24
	s_delay_alu instid0(VALU_DEP_3)
	v_fmac_f32_e32 v30, v40, v42
	s_wait_dscnt 0x0
	v_and_b32_e32 v45, 0xffff, v27
	v_lshrrev_b32_e32 v27, 16, v27
	;;#ASMSTART
	v_cvt_f32_f16 v45, v45;
	;;#ASMEND
	;;#ASMSTART
	v_cvt_f32_f16 v27, v27;
	;;#ASMEND
	;;#ASMSTART
	v_cvt_f32_f16 v47, v47;
	;;#ASMEND
	;;#ASMSTART
	v_cvt_f32_f16 v48, v26;
	;;#ASMEND
	ds_load_b32 v26, v11 offset:72
	s_wait_dscnt 0x0
	v_and_b32_e32 v44, 0xffff, v26
	v_lshrrev_b32_e32 v26, 16, v26
	;;#ASMSTART
	v_cvt_f32_f16 v44, v44;
	;;#ASMEND
	;;#ASMSTART
	v_cvt_f32_f16 v26, v26;
	;;#ASMEND
	;;#ASMSTART
	v_cvt_f32_f16 v46, v46;
	;;#ASMEND
	;;#ASMSTART
	v_cvt_f32_f16 v49, v25;
	;;#ASMEND
	ds_load_b32 v25, v11 offset:76
	;; [unrolled: 16-line block ×3, first 2 shown]
	s_wait_loadcnt 0x3
	v_and_b32_e32 v39, 0xffff, v23
	s_wait_dscnt 0x0
	v_and_b32_e32 v40, 0xffff, v24
	v_dual_fmac_f32 v29, v41, v43 :: v_dual_lshrrev_b32 v24, 16, v24
	v_fmac_f32_e32 v30, v56, v58
	;;#ASMSTART
	v_cvt_f32_f16 v40, v40;
	;;#ASMEND
	;;#ASMSTART
	v_cvt_f32_f16 v24, v24;
	;;#ASMEND
	;; [unrolled: 3-line block ×3, first 2 shown]
	v_fmac_f32_e32 v29, v57, v59
	v_dual_fmac_f32 v30, v62, v64 :: v_dual_lshrrev_b32 v23, 16, v23
	;;#ASMSTART
	v_cvt_f32_f16 v41, v23;
	;;#ASMEND
	ds_load_b32 v23, v11 offset:84
	v_fmac_f32_e32 v30, v35, v69
	s_delay_alu instid0(VALU_DEP_1) | instskip(NEXT) | instid1(VALU_DEP_1)
	v_dual_fmac_f32 v29, v63, v65 :: v_dual_fmac_f32 v30, v34, v72
	v_dual_fmac_f32 v29, v68, v70 :: v_dual_fmac_f32 v30, v33, v75
	s_wait_loadcnt 0x2
	s_delay_alu instid0(VALU_DEP_1) | instskip(SKIP_1) | instid1(VALU_DEP_2)
	v_dual_fmac_f32 v29, v71, v73 :: v_dual_lshrrev_b32 v33, 16, v22
	v_and_b32_e32 v22, 0xffff, v22
	v_dual_fmac_f32 v29, v74, v76 :: v_dual_fmac_f32 v30, v32, v78
	s_wait_dscnt 0x0
	v_and_b32_e32 v32, 0xffff, v23
	;;#ASMSTART
	v_cvt_f32_f16 v32, v32;
	;;#ASMEND
	s_delay_alu instid0(VALU_DEP_2) | instskip(SKIP_3) | instid1(VALU_DEP_2)
	v_fmac_f32_e32 v29, v77, v79
	v_dual_fmac_f32 v30, v81, v82 :: v_dual_lshrrev_b32 v23, 16, v23
	;;#ASMSTART
	v_cvt_f32_f16 v23, v23;
	;;#ASMEND
	;;#ASMSTART
	v_cvt_f32_f16 v34, v22;
	;;#ASMEND
	v_fmac_f32_e32 v29, v80, v83
	;;#ASMSTART
	v_cvt_f32_f16 v33, v33;
	;;#ASMEND
	ds_load_b32 v22, v11 offset:88
	v_dual_fmac_f32 v30, v84, v85 :: v_dual_fmac_f32 v29, v86, v87
	s_delay_alu instid0(VALU_DEP_1) | instskip(NEXT) | instid1(VALU_DEP_1)
	v_dual_fmac_f32 v30, v60, v66 :: v_dual_fmac_f32 v29, v61, v67
	v_dual_fmac_f32 v30, v50, v51 :: v_dual_fmac_f32 v29, v31, v52
	s_wait_loadcnt 0x1
	v_lshrrev_b32_e32 v31, 16, v20
	v_and_b32_e32 v20, 0xffff, v20
	s_delay_alu instid0(VALU_DEP_3) | instskip(SKIP_2) | instid1(VALU_DEP_2)
	v_dual_fmac_f32 v30, v53, v54 :: v_dual_fmac_f32 v29, v28, v55
	s_wait_dscnt 0x0
	v_and_b32_e32 v28, 0xffff, v22
	v_dual_lshrrev_b32 v22, 16, v22 :: v_dual_fmac_f32 v30, v45, v47
	s_delay_alu instid0(VALU_DEP_3)
	v_fmac_f32_e32 v29, v27, v48
	;;#ASMSTART
	v_cvt_f32_f16 v27, v28;
	;;#ASMEND
	;;#ASMSTART
	v_cvt_f32_f16 v28, v22;
	;;#ASMEND
	;; [unrolled: 3-line block ×3, first 2 shown]
	v_fmac_f32_e32 v30, v44, v46
	;;#ASMSTART
	v_cvt_f32_f16 v31, v31;
	;;#ASMEND
	ds_load_b32 v20, v11 offset:92
	v_cndmask_b32_e64 v22, v7, v16, s4
	v_cmp_gt_i32_e64 s4, 32, v17
	v_fmac_f32_e32 v30, v36, v37
	s_delay_alu instid0(VALU_DEP_1) | instskip(NEXT) | instid1(VALU_DEP_1)
	v_dual_fmac_f32 v29, v26, v49 :: v_dual_fmac_f32 v30, v40, v39
	v_fmac_f32_e32 v29, v25, v38
	s_delay_alu instid0(VALU_DEP_2) | instskip(SKIP_1) | instid1(VALU_DEP_2)
	v_fmac_f32_e32 v30, v32, v34
	s_wait_loadcnt 0x0
	v_dual_fmac_f32 v29, v24, v41 :: v_dual_lshrrev_b32 v24, 16, v19
	v_and_b32_e32 v19, 0xffff, v19
	s_delay_alu instid0(VALU_DEP_2)
	v_fmac_f32_e32 v29, v23, v33
	s_wait_dscnt 0x0
	v_and_b32_e32 v23, 0xffff, v20
	v_lshrrev_b32_e32 v20, 16, v20
	;;#ASMSTART
	v_cvt_f32_f16 v23, v23;
	;;#ASMEND
	;;#ASMSTART
	v_cvt_f32_f16 v20, v20;
	;;#ASMEND
	v_fmac_f32_e32 v29, v28, v31
	;;#ASMSTART
	v_cvt_f32_f16 v19, v19;
	;;#ASMEND
	;;#ASMSTART
	v_cvt_f32_f16 v24, v24;
	;;#ASMEND
	s_delay_alu instid0(VALU_DEP_1) | instskip(NEXT) | instid1(VALU_DEP_1)
	v_dual_fmac_f32 v30, v27, v35 :: v_dual_fmac_f32 v29, v20, v24
	v_dual_fmac_f32 v30, v23, v19 :: v_dual_lshlrev_b32 v19, 2, v22
	v_cndmask_b32_e64 v22, v7, v17, s4
	s_delay_alu instid0(VALU_DEP_2)
	v_add_f32_e32 v20, v30, v29
	ds_bpermute_b32 v19, v19, v20
	s_wait_dscnt 0x0
	v_dual_add_f32 v19, v20, v19 :: v_dual_lshlrev_b32 v20, 2, v22
	ds_bpermute_b32 v20, v20, v19
	s_and_saveexec_b32 s38, s3
	s_cbranch_execz .LBB61_10
; %bb.18:                               ;   in Loop: Header=BB61_12 Depth=1
	s_wait_dscnt 0x0
	v_dual_add_f32 v19, v19, v20 :: v_dual_add_nc_u32 v22, v13, v2
	s_delay_alu instid0(VALU_DEP_1) | instskip(NEXT) | instid1(VALU_DEP_1)
	v_cvt_f32_i32_e32 v22, v22
	v_mul_f32_e32 v22, s35, v22
	s_delay_alu instid0(VALU_DEP_1) | instskip(NEXT) | instid1(VALU_DEP_1)
	v_dual_cndmask_b32 v20, 0, v22, vcc_lo :: v_dual_max_num_f32 v22, v12, v12
	v_dual_fmac_f32 v20, s23, v19 :: v_dual_add_nc_u32 v19, v10, v2
	s_delay_alu instid0(VALU_DEP_1) | instskip(NEXT) | instid1(VALU_DEP_1)
	v_cmp_gt_i32_e64 s4, s31, v19
	v_dual_max_num_f32 v22, v22, v20 :: v_dual_cndmask_b32 v19, 0, v20, s4
	s_delay_alu instid0(VALU_DEP_1)
	v_cndmask_b32_e64 v12, v12, v22, s4
	ds_store_b32 v14, v19
	s_branch .LBB61_10
.LBB61_19:
	s_or_b32 exec_lo, exec_lo, s37
.LBB61_20:
	s_delay_alu instid0(SALU_CYCLE_1)
	s_or_b32 exec_lo, exec_lo, s22
	v_dual_max_num_f32 v5, v12, v12 :: v_dual_bitop2_b32 v2, 16, v7 bitop3:0x14
	s_clause 0x1
	s_load_b64 s[4:5], s[0:1], 0x0
	s_load_b64 s[22:23], s[0:1], 0x18
	v_and_b32_e32 v22, 31, v0
	v_xor_b32_e32 v4, 8, v7
	v_cmp_gt_i32_e32 vcc_lo, 32, v2
	v_cndmask_b32_e32 v2, v7, v2, vcc_lo
	s_delay_alu instid0(VALU_DEP_3) | instskip(NEXT) | instid1(VALU_DEP_2)
	v_cmp_gt_i32_e32 vcc_lo, 32, v4
	v_dual_lshlrev_b32 v2, 2, v2 :: v_dual_cndmask_b32 v4, v7, v4, vcc_lo
	ds_bpermute_b32 v3, v2, v12
	s_wait_dscnt 0x0
	v_dual_max_num_f32 v8, v3, v3 :: v_dual_lshlrev_b32 v3, 2, v4
	s_delay_alu instid0(VALU_DEP_1) | instskip(SKIP_4) | instid1(VALU_DEP_1)
	v_dual_max_num_f32 v4, v5, v8 :: v_dual_bitop2_b32 v8, 4, v7 bitop3:0x14
	ds_bpermute_b32 v5, v3, v4
	v_cmp_gt_i32_e32 vcc_lo, 32, v8
	v_cndmask_b32_e32 v8, v7, v8, vcc_lo
	s_wait_dscnt 0x0
	v_dual_max_num_f32 v5, v5, v5 :: v_dual_lshlrev_b32 v8, 2, v8
	s_delay_alu instid0(VALU_DEP_1)
	v_max_num_f32_e32 v5, v4, v5
	v_lshlrev_b32_e32 v4, 2, v21
	v_cmp_eq_u32_e32 vcc_lo, 0, v22
	ds_bpermute_b32 v9, v8, v5
	s_wait_xcnt 0x0
	s_and_saveexec_b32 s0, vcc_lo
	s_cbranch_execz .LBB61_22
; %bb.21:
	s_wait_dscnt 0x0
	v_max_num_f32_e32 v9, v9, v9
	v_max_num_f32_e32 v5, v5, v5
	s_delay_alu instid0(VALU_DEP_1)
	v_max_num_f32_e32 v5, v5, v9
	ds_store_b32 v4, v5 offset:384
.LBB61_22:
	s_or_b32 exec_lo, exec_lo, s0
	v_cmp_gt_u32_e64 s0, 4, v22
	v_dual_mov_b32 v10, 0xff7fffff :: v_dual_lshlrev_b32 v5, 2, v22
	s_wait_dscnt 0x0
	s_barrier_signal -1
	s_barrier_wait -1
	s_and_saveexec_b32 s1, s0
; %bb.23:
	ds_load_b32 v10, v5 offset:384
; %bb.24:
	s_or_b32 exec_lo, exec_lo, s1
	v_xor_b32_e32 v9, 2, v7
	v_xor_b32_e32 v12, 1, v7
	s_delay_alu instid0(VALU_DEP_2) | instskip(NEXT) | instid1(VALU_DEP_1)
	v_cmp_gt_i32_e64 s1, 32, v9
	v_cndmask_b32_e64 v9, v7, v9, s1
	s_delay_alu instid0(VALU_DEP_3) | instskip(NEXT) | instid1(VALU_DEP_1)
	v_cmp_gt_i32_e64 s1, 32, v12
	v_dual_lshlrev_b32 v9, 2, v9 :: v_dual_cndmask_b32 v7, v7, v12, s1
	s_lshl_b32 s1, s34, 3
	s_delay_alu instid0(SALU_CYCLE_1)
	s_min_i32 s15, s1, s31
	s_wait_dscnt 0x0
	ds_bpermute_b32 v11, v9, v10
	v_max_num_f32_e32 v10, v10, v10
	v_cmp_gt_i32_e64 s1, s15, v0
	v_lshlrev_b32_e32 v7, 2, v7
	s_wait_dscnt 0x0
	v_max_num_f32_e32 v11, v11, v11
	s_delay_alu instid0(VALU_DEP_1) | instskip(SKIP_3) | instid1(VALU_DEP_1)
	v_max_num_f32_e32 v10, v10, v11
	ds_bpermute_b32 v11, v7, v10
	s_wait_dscnt 0x0
	v_max_num_f32_e32 v11, v11, v11
	v_dual_max_num_f32 v11, v10, v11 :: v_dual_mov_b32 v10, 0
	ds_bpermute_b32 v11, v10, v11
	s_and_saveexec_b32 s24, s1
	s_cbranch_execz .LBB61_28
; %bb.25:
	v_lshl_add_u32 v12, v0, 2, 0x1a0
	v_dual_mov_b32 v10, 0 :: v_dual_mov_b32 v13, v0
	s_mov_b32 s25, 0
.LBB61_26:                              ; =>This Inner Loop Header: Depth=1
	ds_load_b32 v14, v12
	v_add_nc_u32_e32 v13, 0x80, v13
	s_delay_alu instid0(VALU_DEP_1) | instskip(SKIP_3) | instid1(VALU_DEP_1)
	v_cmp_le_i32_e64 s3, s15, v13
	s_or_b32 s25, s3, s25
	s_wait_dscnt 0x0
	v_sub_f32_e32 v14, v14, v11
	v_mul_f32_e32 v14, 0x3fb8aa3b, v14
	s_delay_alu instid0(VALU_DEP_1)
	v_exp_f32_e32 v14, v14
	ds_store_b32 v12, v14
	v_nop
	v_add_f32_e32 v10, v10, v14
	v_add_nc_u32_e32 v12, 0x200, v12
	s_and_not1_b32 exec_lo, exec_lo, s25
	s_cbranch_execnz .LBB61_26
; %bb.27:
	s_or_b32 exec_lo, exec_lo, s25
.LBB61_28:
	s_delay_alu instid0(SALU_CYCLE_1)
	s_or_b32 exec_lo, exec_lo, s24
	ds_bpermute_b32 v2, v2, v10
	s_wait_dscnt 0x0
	v_add_f32_e32 v2, v10, v2
	ds_bpermute_b32 v3, v3, v2
	s_wait_dscnt 0x0
	v_add_f32_e32 v2, v2, v3
	;; [unrolled: 3-line block ×5, first 2 shown]
	s_and_saveexec_b32 s3, vcc_lo
; %bb.29:
	ds_store_b32 v4, v2 offset:400
; %bb.30:
	s_or_b32 exec_lo, exec_lo, s3
	s_wait_dscnt 0x0
	s_barrier_signal -1
	s_barrier_wait -1
	s_and_saveexec_b32 s3, s0
; %bb.31:
	ds_load_b32 v2, v5 offset:400
; %bb.32:
	s_or_b32 exec_lo, exec_lo, s3
	s_wait_dscnt 0x0
	ds_bpermute_b32 v3, v9, v2
	s_wait_dscnt 0x0
	v_add_f32_e32 v2, v2, v3
	ds_bpermute_b32 v3, v7, v2
	s_wait_dscnt 0x0
	v_dual_add_f32 v2, v2, v3 :: v_dual_mov_b32 v3, 0
	ds_bpermute_b32 v2, v3, v2
	s_and_saveexec_b32 s0, s1
	s_cbranch_execz .LBB61_45
; %bb.33:
	s_wait_dscnt 0x0
	v_add_f32_e32 v2, 0x358637bd, v2
	s_mov_b32 s3, -1
	s_mov_b32 s1, exec_lo
	s_delay_alu instid0(VALU_DEP_1) | instskip(NEXT) | instid1(VALU_DEP_1)
	v_div_scale_f32 v3, null, v2, v2, 1.0
	v_rcp_f32_e32 v5, v3
	v_nop
	s_delay_alu instid0(TRANS32_DEP_1) | instskip(NEXT) | instid1(VALU_DEP_1)
	v_fma_f32 v4, -v3, v5, 1.0
	v_fmac_f32_e32 v5, v4, v5
	v_div_scale_f32 v7, vcc_lo, 1.0, v2, 1.0
	s_delay_alu instid0(VALU_DEP_1) | instskip(NEXT) | instid1(VALU_DEP_1)
	v_mul_f32_e32 v8, v7, v5
	v_fma_f32 v4, -v3, v8, v7
	s_delay_alu instid0(VALU_DEP_1) | instskip(SKIP_1) | instid1(VALU_DEP_2)
	v_fmac_f32_e32 v8, v4, v5
	v_xad_u32 v4, v0, -1, s15
	v_fma_f32 v3, -v3, v8, v7
	s_delay_alu instid0(VALU_DEP_1) | instskip(NEXT) | instid1(VALU_DEP_1)
	v_div_fmas_f32 v3, v3, v5, v8
	v_div_fixup_f32 v2, v3, v2, 1.0
	v_mov_b32_e32 v3, v0
	v_cmpx_lt_u32_e32 0x7f, v4
	s_cbranch_execz .LBB61_42
; %bb.34:
	s_delay_alu instid0(VALU_DEP_3) | instskip(NEXT) | instid1(VALU_DEP_1)
	v_dual_mov_b32 v3, v2 :: v_dual_lshrrev_b32 v4, 7, v4
	v_dual_mov_b32 v9, 0 :: v_dual_add_nc_u32 v5, -1, v4
	s_delay_alu instid0(VALU_DEP_1) | instskip(SKIP_1) | instid1(VALU_DEP_2)
	v_lshrrev_b32_e32 v7, 1, v5
	v_cmp_lt_u32_e32 vcc_lo, 13, v5
	v_add_nc_u32_e32 v5, 1, v7
	s_and_saveexec_b32 s3, vcc_lo
	s_cbranch_execz .LBB61_38
; %bb.35:
	s_delay_alu instid0(VALU_DEP_1)
	v_and_b32_e32 v7, -8, v5
	v_lshl_add_u32 v8, v0, 2, 0x1a0
	s_mov_b32 s24, 0
	s_mov_b32 s25, 0
.LBB61_36:                              ; =>This Inner Loop Header: Depth=1
	ds_load_2addr_stride64_b32 v[10:11], v8 offset1:2
	ds_load_2addr_stride64_b32 v[12:13], v8 offset0:4 offset1:6
	ds_load_2addr_stride64_b32 v[14:15], v8 offset0:8 offset1:10
	;; [unrolled: 1-line block ×7, first 2 shown]
	s_add_co_i32 s25, s25, 16
	s_delay_alu instid0(SALU_CYCLE_1) | instskip(NEXT) | instid1(VALU_DEP_1)
	v_dual_add_nc_u32 v7, -8, v7 :: v_dual_mov_b32 v9, s25
	v_cmp_eq_u32_e32 vcc_lo, 0, v7
	s_or_b32 s24, vcc_lo, s24
	s_wait_dscnt 0x7
	v_pk_mul_f32 v[10:11], v[2:3], v[10:11]
	s_wait_dscnt 0x6
	v_pk_mul_f32 v[12:13], v[2:3], v[12:13]
	;; [unrolled: 2-line block ×8, first 2 shown]
	ds_store_2addr_stride64_b32 v8, v10, v11 offset1:2
	ds_store_2addr_stride64_b32 v8, v12, v13 offset0:4 offset1:6
	ds_store_2addr_stride64_b32 v8, v14, v15 offset0:8 offset1:10
	;; [unrolled: 1-line block ×7, first 2 shown]
	v_add_nc_u32_e32 v8, 0x2000, v8
	s_and_not1_b32 exec_lo, exec_lo, s24
	s_cbranch_execnz .LBB61_36
; %bb.37:
	s_or_b32 exec_lo, exec_lo, s24
.LBB61_38:
	s_delay_alu instid0(SALU_CYCLE_1) | instskip(NEXT) | instid1(VALU_DEP_1)
	s_or_b32 exec_lo, exec_lo, s3
	v_and_b32_e32 v5, 7, v5
	s_mov_b32 s24, 0
	s_mov_b32 s3, exec_lo
	s_delay_alu instid0(VALU_DEP_1)
	v_cmpx_ne_u32_e32 0, v5
	s_cbranch_execz .LBB61_41
; %bb.39:
	v_dual_lshlrev_b32 v7, 9, v9 :: v_dual_lshlrev_b32 v8, 2, v0
	s_delay_alu instid0(VALU_DEP_1)
	v_add3_u32 v7, v7, v8, 0x1a0
.LBB61_40:                              ; =>This Inner Loop Header: Depth=1
	ds_load_2addr_stride64_b32 v[8:9], v7 offset1:2
	v_add_nc_u32_e32 v5, -1, v5
	s_delay_alu instid0(VALU_DEP_1)
	v_cmp_eq_u32_e32 vcc_lo, 0, v5
	s_or_b32 s24, vcc_lo, s24
	s_wait_dscnt 0x0
	v_pk_mul_f32 v[8:9], v[2:3], v[8:9]
	ds_store_2addr_stride64_b32 v7, v8, v9 offset1:2
	v_add_nc_u32_e32 v7, 0x400, v7
	s_and_not1_b32 exec_lo, exec_lo, s24
	s_cbranch_execnz .LBB61_40
.LBB61_41:
	s_or_b32 exec_lo, exec_lo, s3
	v_add_nc_u32_e32 v3, 1, v4
	s_delay_alu instid0(VALU_DEP_1) | instskip(NEXT) | instid1(VALU_DEP_1)
	v_and_b32_e32 v4, 0x3fffffe, v3
	v_cmp_ne_u32_e32 vcc_lo, v3, v4
	v_lshl_add_u32 v3, v4, 7, v0
	s_or_not1_b32 s3, vcc_lo, exec_lo
.LBB61_42:
	s_or_b32 exec_lo, exec_lo, s1
	s_delay_alu instid0(SALU_CYCLE_1)
	s_and_b32 exec_lo, exec_lo, s3
	s_cbranch_execz .LBB61_45
; %bb.43:
	v_lshl_add_u32 v4, v3, 2, 0x1a0
	s_mov_b32 s1, 0
.LBB61_44:                              ; =>This Inner Loop Header: Depth=1
	ds_load_b32 v5, v4
	v_add_nc_u32_e32 v3, 0x80, v3
	s_delay_alu instid0(VALU_DEP_1)
	v_cmp_le_i32_e32 vcc_lo, s15, v3
	s_or_b32 s1, vcc_lo, s1
	s_wait_dscnt 0x0
	v_mul_f32_e32 v5, v2, v5
	ds_store_b32 v4, v5
	v_add_nc_u32_e32 v4, 0x200, v4
	s_and_not1_b32 exec_lo, exec_lo, s1
	s_cbranch_execnz .LBB61_44
.LBB61_45:
	s_or_b32 exec_lo, exec_lo, s0
	v_mov_b64_e32 v[8:9], 0
	v_mov_b64_e32 v[12:13], 0
	;; [unrolled: 1-line block ×3, first 2 shown]
	s_wait_dscnt 0x0
	s_barrier_signal -1
	s_barrier_wait -1
	s_and_saveexec_b32 s1, s2
	s_cbranch_execz .LBB61_63
; %bb.46:
	s_abs_i32 s10, s10
	v_dual_mov_b32 v7, 0 :: v_dual_lshlrev_b32 v2, 4, v22
	s_cvt_f32_u32 s0, s10
	s_ashr_i32 s15, s14, 31
	v_and_b32_e32 v4, 0x7c, v1
	s_lshl_b64 s[20:21], s[20:21], 2
	v_rcp_iflag_f32_e32 v3, s0
	s_lshl_b64 s[14:15], s[14:15], 1
	s_add_nc_u64 s[18:19], s[18:19], s[20:21]
	s_wait_kmcnt 0x0
	s_add_nc_u64 s[14:15], s[22:23], s[14:15]
	s_sub_co_i32 s24, s8, s9
	s_sub_co_i32 s8, 0, s10
	v_mov_b32_e32 v5, v7
	v_readfirstlane_b32 s0, v3
	v_mov_b32_e32 v3, v7
	v_mov_b64_e32 v[10:11], 0
	v_mov_b64_e32 v[12:13], 0
	;; [unrolled: 1-line block ×3, first 2 shown]
	s_mul_f32 s0, s0, 0x4f7ffffe
	v_add_nc_u64_e32 v[14:15], s[14:15], v[2:3]
	v_add_nc_u64_e32 v[16:17], s[18:19], v[4:5]
	v_lshl_add_u32 v23, v21, 5, 0x1a0
	s_cvt_u32_f32 s0, s0
	v_mov_b32_e32 v24, v21
	s_mov_b32 s9, 0
	s_ashr_i32 s3, s13, 31
	s_mul_i32 s8, s8, s0
	s_mov_b32 s2, s13
	s_mul_hi_u32 s8, s0, s8
	s_add_co_i32 s13, s34, -1
	s_mov_b32 s14, s31
	s_add_co_i32 s8, s0, s8
	s_mov_b32 s15, s9
	s_branch .LBB61_49
.LBB61_47:                              ;   in Loop: Header=BB61_49 Depth=1
	s_or_b32 exec_lo, exec_lo, s0
	v_dual_lshlrev_b32 v18, 16, v18 :: v_dual_lshlrev_b32 v1, 16, v1
	s_delay_alu instid0(VALU_DEP_2) | instskip(NEXT) | instid1(VALU_DEP_2)
	v_dual_add_f32 v20, v20, v32 :: v_dual_lshlrev_b32 v19, 16, v19
	v_and_or_b32 v2, 0xffff, v2, v18
	s_delay_alu instid0(VALU_DEP_3) | instskip(NEXT) | instid1(VALU_DEP_3)
	v_and_or_b32 v3, 0xffff, v3, v1
	v_and_or_b32 v4, 0xffff, v4, v19
	;;#ASMSTART
	v_pk_mul_f16 v2, v34, v2;

	;;#ASMEND
	;;#ASMSTART
	v_pk_mul_f16 v3, v33, v3;

	;;#ASMEND
	;; [unrolled: 4-line block ×4, first 2 shown]
	;;#ASMSTART
	v_pk_add_f16 v2, v2, v3;

	;;#ASMEND
	;;#ASMSTART
	v_pk_add_f16 v2, v2, v4;

	;;#ASMEND
	;; [unrolled: 4-line block ×3, first 2 shown]
	v_and_b32_e32 v5, 0xffff, v2
	v_dual_add_f32 v1, v43, v44 :: v_dual_lshrrev_b32 v18, 16, v2
	;;#ASMSTART
	v_cvt_f32_f16 v5, v5;
	;;#ASMEND
	v_dual_add_f32 v8, v8, v20 :: v_dual_add_f32 v2, v41, v42
	v_dual_add_f32 v3, v39, v40 :: v_dual_add_f32 v4, v37, v38
	;;#ASMSTART
	v_cvt_f32_f16 v18, v18;
	;;#ASMEND
	v_add_f32_e32 v5, v5, v18
	s_delay_alu instid0(VALU_DEP_3) | instskip(NEXT) | instid1(VALU_DEP_3)
	v_dual_add_f32 v13, v13, v1 :: v_dual_add_f32 v12, v12, v2
	v_dual_add_f32 v11, v11, v3 :: v_dual_add_f32 v10, v10, v4
	s_delay_alu instid0(VALU_DEP_3)
	v_add_f32_e32 v9, v9, v5
.LBB61_48:                              ;   in Loop: Header=BB61_49 Depth=1
	s_or_b32 exec_lo, exec_lo, s18
	v_dual_add_nc_u32 v24, 4, v24 :: v_dual_add_nc_u32 v6, 32, v6
	v_add_nc_u64_e32 v[16:17], 16, v[16:17]
	v_add_nc_u32_e32 v23, 0x80, v23
	s_delay_alu instid0(VALU_DEP_3) | instskip(SKIP_1) | instid1(SALU_CYCLE_1)
	v_cmp_le_i32_e32 vcc_lo, s34, v24
	s_or_b32 s15, vcc_lo, s15
	s_and_not1_b32 exec_lo, exec_lo, s15
	s_cbranch_execz .LBB61_62
.LBB61_49:                              ; =>This Inner Loop Header: Depth=1
	v_mul_u64_e32 v[2:3], s[16:17], v[6:7]
	s_delay_alu instid0(VALU_DEP_1) | instskip(NEXT) | instid1(VALU_DEP_1)
	v_mul_lo_u32 v1, v3, s12
	v_dual_add_nc_u32 v2, 1, v3 :: v_dual_sub_nc_u32 v1, v6, v1
	s_delay_alu instid0(VALU_DEP_1) | instskip(SKIP_1) | instid1(VALU_DEP_2)
	v_subrev_nc_u32_e32 v4, s12, v1
	v_cmp_le_u32_e32 vcc_lo, s12, v1
	v_dual_cndmask_b32 v2, v3, v2 :: v_dual_cndmask_b32 v1, v1, v4
	s_delay_alu instid0(VALU_DEP_1) | instskip(NEXT) | instid1(VALU_DEP_2)
	v_add_nc_u32_e32 v3, 1, v2
	v_cmp_le_u32_e32 vcc_lo, s12, v1
	s_delay_alu instid0(VALU_DEP_2) | instskip(NEXT) | instid1(VALU_DEP_1)
	v_dual_cndmask_b32 v1, v2, v3, vcc_lo :: v_dual_mov_b32 v3, v7
	v_xor_b32_e32 v1, s11, v1
	s_delay_alu instid0(VALU_DEP_1) | instskip(NEXT) | instid1(VALU_DEP_1)
	v_subrev_nc_u32_e32 v1, s11, v1
	v_add_nc_u32_e32 v18, s33, v1
	v_cmp_lt_i32_e64 s0, s24, v1
	s_delay_alu instid0(VALU_DEP_2) | instskip(NEXT) | instid1(VALU_DEP_1)
	v_sub_nc_u32_e32 v2, 0, v18
	v_max_i32_e32 v2, v18, v2
	s_delay_alu instid0(VALU_DEP_1) | instskip(SKIP_1) | instid1(VALU_DEP_2)
	v_mul_u64_e32 v[4:5], s[8:9], v[2:3]
	v_ashrrev_i32_e32 v4, 31, v18
	v_mul_lo_u32 v3, v5, s10
	s_delay_alu instid0(VALU_DEP_1) | instskip(NEXT) | instid1(VALU_DEP_1)
	v_sub_nc_u32_e32 v2, v2, v3
	v_subrev_nc_u32_e32 v3, s10, v2
	v_cmp_le_u32_e32 vcc_lo, s10, v2
	s_delay_alu instid0(VALU_DEP_2) | instskip(NEXT) | instid1(VALU_DEP_1)
	v_cndmask_b32_e32 v2, v2, v3, vcc_lo
	v_subrev_nc_u32_e32 v3, s10, v2
	v_cmp_le_u32_e32 vcc_lo, s10, v2
	s_delay_alu instid0(VALU_DEP_2) | instskip(NEXT) | instid1(VALU_DEP_1)
	v_cndmask_b32_e32 v2, v2, v3, vcc_lo
	v_xor_b32_e32 v2, v2, v4
	s_delay_alu instid0(VALU_DEP_1) | instskip(NEXT) | instid1(VALU_DEP_1)
	v_sub_nc_u32_e32 v2, v2, v4
	v_cmp_eq_u32_e32 vcc_lo, 0, v2
	s_or_b32 s0, vcc_lo, s0
	s_delay_alu instid0(SALU_CYCLE_1)
	s_and_saveexec_b32 s18, s0
	s_cbranch_execz .LBB61_48
; %bb.50:                               ;   in Loop: Header=BB61_49 Depth=1
	global_load_b32 v2, v[16:17], off
	v_cmp_eq_u32_e32 vcc_lo, s13, v24
	v_dual_add_nc_u32 v30, 2, v6 :: v_dual_add_nc_u32 v25, 5, v6
	v_or_b32_e32 v31, 3, v6
	s_wait_loadcnt 0x0
	v_ashrrev_i32_e32 v3, 31, v2
	s_delay_alu instid0(VALU_DEP_1)
	v_mul_u64_e32 v[18:19], s[2:3], v[2:3]
	ds_load_2addr_b64 v[2:5], v23 offset1:1
	ds_load_2addr_b64 v[26:29], v23 offset0:2 offset1:3
	s_wait_dscnt 0x1
	;;#ASMSTART
	v_cvt_f16_f32 v34, v2;

	;;#ASMEND
	;;#ASMSTART
	v_cvt_f16_f32 v33, v3;

	;;#ASMEND
	;; [unrolled: 4-line block ×4, first 2 shown]
	s_wait_dscnt 0x0
	;;#ASMSTART
	v_cvt_f16_f32 v40, v26;

	;;#ASMEND
	;;#ASMSTART
	v_cvt_f16_f32 v35, v27;

	;;#ASMEND
	;; [unrolled: 4-line block ×4, first 2 shown]
	v_dual_add_nc_u32 v26, 4, v6 :: v_dual_add_nc_u32 v28, 6, v6
	v_dual_add_nc_u32 v27, 7, v6 :: v_dual_bitop2_b32 v29, 1, v6 bitop3:0x54
	v_lshl_add_u64 v[18:19], v[18:19], 1, v[14:15]
	global_load_b128 v[2:5], v[18:19], off
	s_wait_loadcnt 0x0
	v_dual_lshrrev_b32 v1, 16, v3 :: v_dual_lshrrev_b32 v32, 16, v4
	v_lshrrev_b32_e32 v20, 16, v2
	s_and_saveexec_b32 s19, vcc_lo
	s_cbranch_execz .LBB61_52
; %bb.51:                               ;   in Loop: Header=BB61_49 Depth=1
	v_cmp_gt_i32_e64 s0, s31, v6
	v_and_b32_e32 v41, 0xffff, v5
	v_and_b32_e32 v5, 0xffff0000, v5
	s_delay_alu instid0(VALU_DEP_3) | instskip(SKIP_1) | instid1(VALU_DEP_1)
	v_cndmask_b32_e64 v2, 0, v2, s0
	v_cmp_gt_i32_e64 s0, s31, v30
	v_cndmask_b32_e64 v3, 0, v3, s0
	v_cmp_gt_i32_e64 s0, s14, v31
	s_delay_alu instid0(VALU_DEP_1) | instskip(SKIP_1) | instid1(VALU_DEP_1)
	v_cndmask_b32_e64 v1, 0, v1, s0
	v_cmp_gt_i32_e64 s0, s31, v29
	v_cndmask_b32_e64 v20, 0, v20, s0
	v_cmp_gt_i32_e64 s0, s31, v28
	s_delay_alu instid0(VALU_DEP_1) | instskip(SKIP_1) | instid1(VALU_DEP_1)
	;; [unrolled: 5-line block ×3, first 2 shown]
	v_cndmask_b32_e64 v4, 0, v4, s0
	v_cmp_gt_i32_e64 s0, s31, v25
	v_dual_cndmask_b32 v32, 0, v32, s0 :: v_dual_bitop2_b32 v5, v41, v5 bitop3:0x54
.LBB61_52:                              ;   in Loop: Header=BB61_49 Depth=1
	s_or_b32 exec_lo, exec_lo, s19
	v_and_b32_e32 v34, 0xffff, v34
	v_and_b32_e32 v39, 0xffff, v39
	v_dual_lshlrev_b32 v20, 16, v20 :: v_dual_lshlrev_b32 v1, 16, v1
	v_lshlrev_b32_e32 v32, 16, v32
	v_and_b32_e32 v40, 0xffff, v40
	v_lshl_or_b32 v34, v33, 16, v34
	v_lshl_or_b32 v33, v37, 16, v39
	v_and_b32_e32 v37, 0xffff, v38
	v_and_or_b32 v2, 0xffff, v2, v20
	v_and_or_b32 v1, 0xffff, v3, v1
	;; [unrolled: 1-line block ×3, first 2 shown]
	;;#ASMSTART
	v_pk_mul_f16 v2, v34, v2;

	;;#ASMEND
	;;#ASMSTART
	v_pk_mul_f16 v1, v33, v1;

	;;#ASMEND
	v_lshl_or_b32 v35, v35, 16, v40
	v_lshl_or_b32 v36, v36, 16, v37
	;;#ASMSTART
	v_pk_mul_f16 v3, v35, v3;

	;;#ASMEND
	;;#ASMSTART
	v_pk_mul_f16 v4, v36, v5;

	;;#ASMEND
	;;#ASMSTART
	v_pk_add_f16 v1, v2, v1;

	;;#ASMEND
	;;#ASMSTART
	v_pk_add_f16 v1, v1, v3;
	;; [unrolled: 4-line block ×3, first 2 shown]

	;;#ASMEND
	v_and_b32_e32 v2, 0xffff, v1
	v_lshrrev_b32_e32 v1, 16, v1
	;;#ASMSTART
	v_cvt_f32_f16 v37, v2;
	;;#ASMEND
	;;#ASMSTART
	v_cvt_f32_f16 v38, v1;
	;;#ASMEND
	global_load_b128 v[2:5], v[18:19], off offset:512
	s_wait_loadcnt 0x0
	v_dual_lshrrev_b32 v1, 16, v3 :: v_dual_lshrrev_b32 v20, 16, v2
	v_lshrrev_b32_e32 v32, 16, v4
	s_and_saveexec_b32 s19, vcc_lo
	s_cbranch_execz .LBB61_54
; %bb.53:                               ;   in Loop: Header=BB61_49 Depth=1
	v_cmp_gt_i32_e64 s0, s31, v6
	v_and_b32_e32 v39, 0xffff, v5
	v_and_b32_e32 v5, 0xffff0000, v5
	s_delay_alu instid0(VALU_DEP_3) | instskip(SKIP_1) | instid1(VALU_DEP_1)
	v_cndmask_b32_e64 v2, 0, v2, s0
	v_cmp_gt_i32_e64 s0, s31, v30
	v_cndmask_b32_e64 v3, 0, v3, s0
	v_cmp_gt_i32_e64 s0, s14, v31
	s_delay_alu instid0(VALU_DEP_1) | instskip(SKIP_1) | instid1(VALU_DEP_1)
	v_cndmask_b32_e64 v1, 0, v1, s0
	v_cmp_gt_i32_e64 s0, s31, v29
	v_cndmask_b32_e64 v20, 0, v20, s0
	v_cmp_gt_i32_e64 s0, s31, v28
	s_delay_alu instid0(VALU_DEP_1) | instskip(SKIP_1) | instid1(VALU_DEP_1)
	;; [unrolled: 5-line block ×3, first 2 shown]
	v_dual_cndmask_b32 v4, 0, v4, s0 :: v_dual_bitop2_b32 v5, v39, v5 bitop3:0x54
	v_cmp_gt_i32_e64 s0, s31, v25
	v_cndmask_b32_e64 v32, 0, v32, s0
.LBB61_54:                              ;   in Loop: Header=BB61_49 Depth=1
	s_or_b32 exec_lo, exec_lo, s19
	v_dual_lshlrev_b32 v20, 16, v20 :: v_dual_lshlrev_b32 v1, 16, v1
	s_delay_alu instid0(VALU_DEP_2) | instskip(NEXT) | instid1(VALU_DEP_2)
	v_lshlrev_b32_e32 v32, 16, v32
	v_and_or_b32 v2, 0xffff, v2, v20
	s_delay_alu instid0(VALU_DEP_3) | instskip(NEXT) | instid1(VALU_DEP_3)
	v_and_or_b32 v1, 0xffff, v3, v1
	v_and_or_b32 v3, 0xffff, v4, v32
	;;#ASMSTART
	v_pk_mul_f16 v2, v34, v2;

	;;#ASMEND
	;;#ASMSTART
	v_pk_mul_f16 v1, v33, v1;

	;;#ASMEND
	;; [unrolled: 4-line block ×4, first 2 shown]
	;;#ASMSTART
	v_pk_add_f16 v1, v2, v1;

	;;#ASMEND
	;;#ASMSTART
	v_pk_add_f16 v1, v1, v3;

	;;#ASMEND
	;; [unrolled: 4-line block ×3, first 2 shown]
	v_and_b32_e32 v2, 0xffff, v1
	v_lshrrev_b32_e32 v1, 16, v1
	;;#ASMSTART
	v_cvt_f32_f16 v39, v2;
	;;#ASMEND
	;;#ASMSTART
	v_cvt_f32_f16 v40, v1;
	;;#ASMEND
	global_load_b128 v[2:5], v[18:19], off offset:1024
	s_wait_loadcnt 0x0
	v_dual_lshrrev_b32 v1, 16, v3 :: v_dual_lshrrev_b32 v20, 16, v2
	v_lshrrev_b32_e32 v32, 16, v4
	s_and_saveexec_b32 s19, vcc_lo
	s_cbranch_execz .LBB61_56
; %bb.55:                               ;   in Loop: Header=BB61_49 Depth=1
	v_cmp_gt_i32_e64 s0, s31, v6
	v_and_b32_e32 v41, 0xffff, v5
	v_and_b32_e32 v5, 0xffff0000, v5
	s_delay_alu instid0(VALU_DEP_3) | instskip(SKIP_1) | instid1(VALU_DEP_1)
	v_cndmask_b32_e64 v2, 0, v2, s0
	v_cmp_gt_i32_e64 s0, s31, v30
	v_cndmask_b32_e64 v3, 0, v3, s0
	v_cmp_gt_i32_e64 s0, s14, v31
	s_delay_alu instid0(VALU_DEP_1) | instskip(SKIP_1) | instid1(VALU_DEP_1)
	v_cndmask_b32_e64 v1, 0, v1, s0
	v_cmp_gt_i32_e64 s0, s31, v29
	v_cndmask_b32_e64 v20, 0, v20, s0
	v_cmp_gt_i32_e64 s0, s31, v28
	s_delay_alu instid0(VALU_DEP_1) | instskip(SKIP_1) | instid1(VALU_DEP_1)
	;; [unrolled: 5-line block ×3, first 2 shown]
	v_cndmask_b32_e64 v4, 0, v4, s0
	v_cmp_gt_i32_e64 s0, s31, v25
	v_dual_cndmask_b32 v32, 0, v32, s0 :: v_dual_bitop2_b32 v5, v41, v5 bitop3:0x54
.LBB61_56:                              ;   in Loop: Header=BB61_49 Depth=1
	s_or_b32 exec_lo, exec_lo, s19
	v_dual_lshlrev_b32 v20, 16, v20 :: v_dual_lshlrev_b32 v1, 16, v1
	s_delay_alu instid0(VALU_DEP_2) | instskip(NEXT) | instid1(VALU_DEP_2)
	v_lshlrev_b32_e32 v32, 16, v32
	v_and_or_b32 v2, 0xffff, v2, v20
	s_delay_alu instid0(VALU_DEP_3) | instskip(NEXT) | instid1(VALU_DEP_3)
	v_and_or_b32 v1, 0xffff, v3, v1
	v_and_or_b32 v3, 0xffff, v4, v32
	;;#ASMSTART
	v_pk_mul_f16 v2, v34, v2;

	;;#ASMEND
	;;#ASMSTART
	v_pk_mul_f16 v1, v33, v1;

	;;#ASMEND
	;; [unrolled: 4-line block ×4, first 2 shown]
	;;#ASMSTART
	v_pk_add_f16 v1, v2, v1;

	;;#ASMEND
	;;#ASMSTART
	v_pk_add_f16 v1, v1, v3;

	;;#ASMEND
	;;#ASMSTART
	v_pk_add_f16 v1, v1, v4;

	;;#ASMEND
	v_and_b32_e32 v2, 0xffff, v1
	v_lshrrev_b32_e32 v1, 16, v1
	;;#ASMSTART
	v_cvt_f32_f16 v41, v2;
	;;#ASMEND
	;;#ASMSTART
	v_cvt_f32_f16 v42, v1;
	;;#ASMEND
	global_load_b128 v[2:5], v[18:19], off offset:1536
	s_wait_loadcnt 0x0
	v_dual_lshrrev_b32 v1, 16, v3 :: v_dual_lshrrev_b32 v20, 16, v2
	v_lshrrev_b32_e32 v32, 16, v4
	s_and_saveexec_b32 s19, vcc_lo
	s_cbranch_execz .LBB61_58
; %bb.57:                               ;   in Loop: Header=BB61_49 Depth=1
	v_cmp_gt_i32_e64 s0, s31, v6
	v_and_b32_e32 v43, 0xffff, v5
	v_and_b32_e32 v5, 0xffff0000, v5
	s_delay_alu instid0(VALU_DEP_3) | instskip(SKIP_1) | instid1(VALU_DEP_1)
	v_cndmask_b32_e64 v2, 0, v2, s0
	v_cmp_gt_i32_e64 s0, s31, v30
	v_cndmask_b32_e64 v3, 0, v3, s0
	v_cmp_gt_i32_e64 s0, s14, v31
	s_delay_alu instid0(VALU_DEP_1) | instskip(SKIP_1) | instid1(VALU_DEP_1)
	v_cndmask_b32_e64 v1, 0, v1, s0
	v_cmp_gt_i32_e64 s0, s31, v29
	v_cndmask_b32_e64 v20, 0, v20, s0
	v_cmp_gt_i32_e64 s0, s31, v28
	s_delay_alu instid0(VALU_DEP_1) | instskip(SKIP_1) | instid1(VALU_DEP_1)
	;; [unrolled: 5-line block ×3, first 2 shown]
	v_dual_cndmask_b32 v4, 0, v4, s0 :: v_dual_bitop2_b32 v5, v43, v5 bitop3:0x54
	v_cmp_gt_i32_e64 s0, s31, v25
	v_cndmask_b32_e64 v32, 0, v32, s0
.LBB61_58:                              ;   in Loop: Header=BB61_49 Depth=1
	s_or_b32 exec_lo, exec_lo, s19
	v_dual_lshlrev_b32 v20, 16, v20 :: v_dual_lshlrev_b32 v1, 16, v1
	s_delay_alu instid0(VALU_DEP_2) | instskip(NEXT) | instid1(VALU_DEP_2)
	v_lshlrev_b32_e32 v32, 16, v32
	v_and_or_b32 v2, 0xffff, v2, v20
	s_delay_alu instid0(VALU_DEP_3) | instskip(NEXT) | instid1(VALU_DEP_3)
	v_and_or_b32 v1, 0xffff, v3, v1
	v_and_or_b32 v3, 0xffff, v4, v32
	;;#ASMSTART
	v_pk_mul_f16 v2, v34, v2;

	;;#ASMEND
	;;#ASMSTART
	v_pk_mul_f16 v1, v33, v1;

	;;#ASMEND
	;; [unrolled: 4-line block ×4, first 2 shown]
	;;#ASMSTART
	v_pk_add_f16 v1, v2, v1;

	;;#ASMEND
	;;#ASMSTART
	v_pk_add_f16 v1, v1, v3;

	;;#ASMEND
	;; [unrolled: 4-line block ×3, first 2 shown]
	v_and_b32_e32 v2, 0xffff, v1
	v_lshrrev_b32_e32 v1, 16, v1
	;;#ASMSTART
	v_cvt_f32_f16 v43, v2;
	;;#ASMEND
	;;#ASMSTART
	v_cvt_f32_f16 v44, v1;
	;;#ASMEND
	global_load_b128 v[2:5], v[18:19], off offset:2048
	s_wait_loadcnt 0x0
	v_dual_lshrrev_b32 v1, 16, v3 :: v_dual_lshrrev_b32 v20, 16, v2
	v_lshrrev_b32_e32 v32, 16, v4
	s_and_saveexec_b32 s19, vcc_lo
	s_cbranch_execz .LBB61_60
; %bb.59:                               ;   in Loop: Header=BB61_49 Depth=1
	v_cmp_gt_i32_e64 s0, s31, v6
	v_and_b32_e32 v45, 0xffff, v5
	v_and_b32_e32 v5, 0xffff0000, v5
	s_delay_alu instid0(VALU_DEP_3) | instskip(SKIP_1) | instid1(VALU_DEP_1)
	v_cndmask_b32_e64 v2, 0, v2, s0
	v_cmp_gt_i32_e64 s0, s31, v30
	v_cndmask_b32_e64 v3, 0, v3, s0
	v_cmp_gt_i32_e64 s0, s14, v31
	s_delay_alu instid0(VALU_DEP_1) | instskip(SKIP_1) | instid1(VALU_DEP_1)
	v_cndmask_b32_e64 v1, 0, v1, s0
	v_cmp_gt_i32_e64 s0, s31, v29
	v_cndmask_b32_e64 v20, 0, v20, s0
	v_cmp_gt_i32_e64 s0, s31, v28
	s_delay_alu instid0(VALU_DEP_1) | instskip(SKIP_1) | instid1(VALU_DEP_1)
	;; [unrolled: 5-line block ×3, first 2 shown]
	v_cndmask_b32_e64 v4, 0, v4, s0
	v_cmp_gt_i32_e64 s0, s31, v25
	v_dual_cndmask_b32 v32, 0, v32, s0 :: v_dual_bitop2_b32 v5, v45, v5 bitop3:0x54
.LBB61_60:                              ;   in Loop: Header=BB61_49 Depth=1
	s_or_b32 exec_lo, exec_lo, s19
	v_dual_lshlrev_b32 v20, 16, v20 :: v_dual_lshlrev_b32 v1, 16, v1
	s_delay_alu instid0(VALU_DEP_2) | instskip(NEXT) | instid1(VALU_DEP_2)
	v_lshlrev_b32_e32 v32, 16, v32
	v_and_or_b32 v2, 0xffff, v2, v20
	s_delay_alu instid0(VALU_DEP_3) | instskip(NEXT) | instid1(VALU_DEP_3)
	v_and_or_b32 v1, 0xffff, v3, v1
	v_and_or_b32 v3, 0xffff, v4, v32
	;;#ASMSTART
	v_pk_mul_f16 v2, v34, v2;

	;;#ASMEND
	;;#ASMSTART
	v_pk_mul_f16 v1, v33, v1;

	;;#ASMEND
	;; [unrolled: 4-line block ×4, first 2 shown]
	;;#ASMSTART
	v_pk_add_f16 v1, v2, v1;

	;;#ASMEND
	;;#ASMSTART
	v_pk_add_f16 v1, v1, v3;

	;;#ASMEND
	;; [unrolled: 4-line block ×3, first 2 shown]
	v_and_b32_e32 v2, 0xffff, v1
	v_lshrrev_b32_e32 v1, 16, v1
	;;#ASMSTART
	v_cvt_f32_f16 v20, v2;
	;;#ASMEND
	;;#ASMSTART
	v_cvt_f32_f16 v32, v1;
	;;#ASMEND
	global_load_b128 v[2:5], v[18:19], off offset:2560
	s_wait_loadcnt 0x0
	v_dual_lshrrev_b32 v1, 16, v3 :: v_dual_lshrrev_b32 v18, 16, v2
	v_lshrrev_b32_e32 v19, 16, v4
	s_and_saveexec_b32 s0, vcc_lo
	s_cbranch_execz .LBB61_47
; %bb.61:                               ;   in Loop: Header=BB61_49 Depth=1
	v_cmp_gt_i32_e32 vcc_lo, s31, v6
	v_cndmask_b32_e32 v2, 0, v2, vcc_lo
	v_cmp_gt_i32_e32 vcc_lo, s31, v30
	v_and_b32_e32 v30, 0xffff, v5
	v_and_b32_e32 v5, 0xffff0000, v5
	v_cndmask_b32_e32 v3, 0, v3, vcc_lo
	v_cmp_gt_i32_e32 vcc_lo, s14, v31
	v_cndmask_b32_e32 v1, 0, v1, vcc_lo
	v_cmp_gt_i32_e32 vcc_lo, s31, v29
	;; [unrolled: 2-line block ×5, first 2 shown]
	s_delay_alu instid0(VALU_DEP_2)
	v_dual_cndmask_b32 v4, 0, v4, vcc_lo :: v_dual_bitop2_b32 v5, v28, v5 bitop3:0x54
	v_cmp_gt_i32_e32 vcc_lo, s31, v25
	v_cndmask_b32_e32 v19, 0, v19, vcc_lo
	s_branch .LBB61_47
.LBB61_62:
	s_or_b32 exec_lo, exec_lo, s15
.LBB61_63:
	s_delay_alu instid0(SALU_CYCLE_1) | instskip(SKIP_4) | instid1(VALU_DEP_2)
	s_or_b32 exec_lo, exec_lo, s1
	v_lshl_add_u32 v2, v22, 2, 0x1a0
	v_and_b32_e32 v3, 0x3c0, v0
	s_mov_b32 s0, exec_lo
	s_barrier_signal -1
	v_mad_u32_u24 v1, 0x300, v21, v2
	s_barrier_wait -1
	v_cmpx_eq_u32_e32 64, v3
	s_cbranch_execz .LBB61_65
; %bb.64:
	s_delay_alu instid0(VALU_DEP_2)
	v_add_nc_u32_e32 v3, 0xfffffa00, v1
	v_add_nc_u32_e32 v4, 0xfffffa80, v1
	;; [unrolled: 1-line block ×6, first 2 shown]
	ds_store_b32 v3, v10
	ds_store_b32 v4, v11
	;; [unrolled: 1-line block ×6, first 2 shown]
.LBB61_65:
	s_or_b32 exec_lo, exec_lo, s0
	s_delay_alu instid0(SALU_CYCLE_1)
	s_mov_b32 s0, exec_lo
	s_wait_dscnt 0x0
	s_barrier_signal -1
	s_barrier_wait -1
	v_cmpx_gt_u32_e32 64, v0
	s_cbranch_execz .LBB61_67
; %bb.66:
	ds_load_2addr_b32 v[4:5], v1 offset1:32
	ds_load_2addr_b32 v[6:7], v1 offset0:64 offset1:96
	ds_load_2addr_b32 v[14:15], v1 offset0:128 offset1:160
	s_wait_dscnt 0x2
	v_pk_add_f32 v[10:11], v[10:11], v[4:5]
	s_wait_dscnt 0x1
	v_pk_add_f32 v[12:13], v[12:13], v[6:7]
	s_wait_dscnt 0x0
	v_pk_add_f32 v[8:9], v[8:9], v[14:15]
.LBB61_67:
	s_or_b32 exec_lo, exec_lo, s0
	v_and_b32_e32 v3, 0x3e0, v0
	s_mov_b32 s0, exec_lo
	s_barrier_signal -1
	s_barrier_wait -1
	s_delay_alu instid0(VALU_DEP_1)
	v_cmpx_eq_u32_e32 32, v3
	s_cbranch_execz .LBB61_69
; %bb.68:
	ds_store_2addr_b32 v2, v10, v11 offset1:32
	ds_store_2addr_b32 v2, v12, v13 offset0:64 offset1:96
	ds_store_2addr_b32 v2, v8, v9 offset0:128 offset1:160
.LBB61_69:
	s_or_b32 exec_lo, exec_lo, s0
	v_cmp_gt_u32_e32 vcc_lo, 32, v0
	s_wait_dscnt 0x0
	s_barrier_signal -1
	s_barrier_wait -1
	s_and_saveexec_b32 s0, vcc_lo
	s_cbranch_execz .LBB61_71
; %bb.70:
	ds_load_2addr_b32 v[2:3], v1 offset1:32
	ds_load_2addr_b32 v[4:5], v1 offset0:64 offset1:96
	ds_load_2addr_b32 v[6:7], v1 offset0:128 offset1:160
	s_wait_dscnt 0x2
	v_pk_add_f32 v[10:11], v[10:11], v[2:3]
	s_wait_dscnt 0x1
	v_pk_add_f32 v[12:13], v[12:13], v[4:5]
	;; [unrolled: 2-line block ×3, first 2 shown]
.LBB61_71:
	s_or_b32 exec_lo, exec_lo, s0
	s_barrier_signal -1
	s_barrier_wait -1
	s_and_saveexec_b32 s0, vcc_lo
	s_cbranch_execz .LBB61_73
; %bb.72:
	s_mul_i32 s1, s30, s7
	s_mul_i32 s0, s7, s6
	;; [unrolled: 1-line block ×3, first 2 shown]
	s_bfe_u32 s7, ttmp6, 0x40014
	s_mul_i32 s2, s1, 0xc0
	s_lshr_b32 s6, ttmp7, 16
	s_ashr_i32 s3, s2, 31
	s_add_co_i32 s7, s7, 1
	s_lshl_b64 s[2:3], s[2:3], 1
	s_ashr_i32 s1, s0, 31
	s_wait_kmcnt 0x0
	s_add_nc_u64 s[2:3], s[4:5], s[2:3]
	s_mul_i32 s4, s6, s7
	s_bfe_u32 s5, ttmp6, 0x40008
	s_lshl_b64 s[0:1], s[0:1], 1
	s_add_co_i32 s5, s5, s4
	s_cmp_eq_u32 s28, 0
	s_add_nc_u64 s[0:1], s[2:3], s[0:1]
	s_cselect_b32 s2, s6, s5
	s_mov_b32 s3, 0
	s_mulk_i32 s2, 0x180
	;;#ASMSTART
	v_cvt_f16_f32 v1, v10;

	;;#ASMEND
	s_add_nc_u64 s[0:1], s[0:1], s[2:3]
	global_store_b16 v0, v1, s[0:1] scale_offset
	s_wait_xcnt 0x0
	;;#ASMSTART
	v_cvt_f16_f32 v1, v11;

	;;#ASMEND
	global_store_b16 v0, v1, s[0:1] offset:64 scale_offset
	s_wait_xcnt 0x0
	;;#ASMSTART
	v_cvt_f16_f32 v1, v12;

	;;#ASMEND
	global_store_b16 v0, v1, s[0:1] offset:128 scale_offset
	;; [unrolled: 6-line block ×5, first 2 shown]
.LBB61_73:
	s_sendmsg sendmsg(MSG_DEALLOC_VGPRS)
	s_endpgm
	.section	.rodata,"a",@progbits
	.p2align	6, 0x0
	.amdhsa_kernel _ZN4vllm25paged_attention_v1_kernelIttLi192ELi8ELi128ELNS_18Fp8KVCacheDataTypeE0ELb1EEEvPT_PKS2_PKT0_S8_ifPKiSA_iPKfiiiSC_SC_iiiii
		.amdhsa_group_segment_fixed_size 416
		.amdhsa_private_segment_fixed_size 0
		.amdhsa_kernarg_size 384
		.amdhsa_user_sgpr_count 2
		.amdhsa_user_sgpr_dispatch_ptr 0
		.amdhsa_user_sgpr_queue_ptr 0
		.amdhsa_user_sgpr_kernarg_segment_ptr 1
		.amdhsa_user_sgpr_dispatch_id 0
		.amdhsa_user_sgpr_kernarg_preload_length 0
		.amdhsa_user_sgpr_kernarg_preload_offset 0
		.amdhsa_user_sgpr_private_segment_size 0
		.amdhsa_wavefront_size32 1
		.amdhsa_uses_dynamic_stack 0
		.amdhsa_enable_private_segment 0
		.amdhsa_system_sgpr_workgroup_id_x 1
		.amdhsa_system_sgpr_workgroup_id_y 1
		.amdhsa_system_sgpr_workgroup_id_z 1
		.amdhsa_system_sgpr_workgroup_info 0
		.amdhsa_system_vgpr_workitem_id 0
		.amdhsa_next_free_vgpr 89
		.amdhsa_next_free_sgpr 40
		.amdhsa_named_barrier_count 0
		.amdhsa_reserve_vcc 1
		.amdhsa_float_round_mode_32 0
		.amdhsa_float_round_mode_16_64 0
		.amdhsa_float_denorm_mode_32 3
		.amdhsa_float_denorm_mode_16_64 3
		.amdhsa_fp16_overflow 0
		.amdhsa_memory_ordered 1
		.amdhsa_forward_progress 1
		.amdhsa_inst_pref_size 60
		.amdhsa_round_robin_scheduling 0
		.amdhsa_exception_fp_ieee_invalid_op 0
		.amdhsa_exception_fp_denorm_src 0
		.amdhsa_exception_fp_ieee_div_zero 0
		.amdhsa_exception_fp_ieee_overflow 0
		.amdhsa_exception_fp_ieee_underflow 0
		.amdhsa_exception_fp_ieee_inexact 0
		.amdhsa_exception_int_div_zero 0
	.end_amdhsa_kernel
	.section	.text._ZN4vllm25paged_attention_v1_kernelIttLi192ELi8ELi128ELNS_18Fp8KVCacheDataTypeE0ELb1EEEvPT_PKS2_PKT0_S8_ifPKiSA_iPKfiiiSC_SC_iiiii,"axG",@progbits,_ZN4vllm25paged_attention_v1_kernelIttLi192ELi8ELi128ELNS_18Fp8KVCacheDataTypeE0ELb1EEEvPT_PKS2_PKT0_S8_ifPKiSA_iPKfiiiSC_SC_iiiii,comdat
.Lfunc_end61:
	.size	_ZN4vllm25paged_attention_v1_kernelIttLi192ELi8ELi128ELNS_18Fp8KVCacheDataTypeE0ELb1EEEvPT_PKS2_PKT0_S8_ifPKiSA_iPKfiiiSC_SC_iiiii, .Lfunc_end61-_ZN4vllm25paged_attention_v1_kernelIttLi192ELi8ELi128ELNS_18Fp8KVCacheDataTypeE0ELb1EEEvPT_PKS2_PKT0_S8_ifPKiSA_iPKfiiiSC_SC_iiiii
                                        ; -- End function
	.set _ZN4vllm25paged_attention_v1_kernelIttLi192ELi8ELi128ELNS_18Fp8KVCacheDataTypeE0ELb1EEEvPT_PKS2_PKT0_S8_ifPKiSA_iPKfiiiSC_SC_iiiii.num_vgpr, 89
	.set _ZN4vllm25paged_attention_v1_kernelIttLi192ELi8ELi128ELNS_18Fp8KVCacheDataTypeE0ELb1EEEvPT_PKS2_PKT0_S8_ifPKiSA_iPKfiiiSC_SC_iiiii.num_agpr, 0
	.set _ZN4vllm25paged_attention_v1_kernelIttLi192ELi8ELi128ELNS_18Fp8KVCacheDataTypeE0ELb1EEEvPT_PKS2_PKT0_S8_ifPKiSA_iPKfiiiSC_SC_iiiii.numbered_sgpr, 40
	.set _ZN4vllm25paged_attention_v1_kernelIttLi192ELi8ELi128ELNS_18Fp8KVCacheDataTypeE0ELb1EEEvPT_PKS2_PKT0_S8_ifPKiSA_iPKfiiiSC_SC_iiiii.num_named_barrier, 0
	.set _ZN4vllm25paged_attention_v1_kernelIttLi192ELi8ELi128ELNS_18Fp8KVCacheDataTypeE0ELb1EEEvPT_PKS2_PKT0_S8_ifPKiSA_iPKfiiiSC_SC_iiiii.private_seg_size, 0
	.set _ZN4vllm25paged_attention_v1_kernelIttLi192ELi8ELi128ELNS_18Fp8KVCacheDataTypeE0ELb1EEEvPT_PKS2_PKT0_S8_ifPKiSA_iPKfiiiSC_SC_iiiii.uses_vcc, 1
	.set _ZN4vllm25paged_attention_v1_kernelIttLi192ELi8ELi128ELNS_18Fp8KVCacheDataTypeE0ELb1EEEvPT_PKS2_PKT0_S8_ifPKiSA_iPKfiiiSC_SC_iiiii.uses_flat_scratch, 0
	.set _ZN4vllm25paged_attention_v1_kernelIttLi192ELi8ELi128ELNS_18Fp8KVCacheDataTypeE0ELb1EEEvPT_PKS2_PKT0_S8_ifPKiSA_iPKfiiiSC_SC_iiiii.has_dyn_sized_stack, 0
	.set _ZN4vllm25paged_attention_v1_kernelIttLi192ELi8ELi128ELNS_18Fp8KVCacheDataTypeE0ELb1EEEvPT_PKS2_PKT0_S8_ifPKiSA_iPKfiiiSC_SC_iiiii.has_recursion, 0
	.set _ZN4vllm25paged_attention_v1_kernelIttLi192ELi8ELi128ELNS_18Fp8KVCacheDataTypeE0ELb1EEEvPT_PKS2_PKT0_S8_ifPKiSA_iPKfiiiSC_SC_iiiii.has_indirect_call, 0
	.section	.AMDGPU.csdata,"",@progbits
; Kernel info:
; codeLenInByte = 7600
; TotalNumSgprs: 42
; NumVgprs: 89
; ScratchSize: 0
; MemoryBound: 0
; FloatMode: 240
; IeeeMode: 1
; LDSByteSize: 416 bytes/workgroup (compile time only)
; SGPRBlocks: 0
; VGPRBlocks: 5
; NumSGPRsForWavesPerEU: 42
; NumVGPRsForWavesPerEU: 89
; NamedBarCnt: 0
; Occupancy: 10
; WaveLimiterHint : 1
; COMPUTE_PGM_RSRC2:SCRATCH_EN: 0
; COMPUTE_PGM_RSRC2:USER_SGPR: 2
; COMPUTE_PGM_RSRC2:TRAP_HANDLER: 0
; COMPUTE_PGM_RSRC2:TGID_X_EN: 1
; COMPUTE_PGM_RSRC2:TGID_Y_EN: 1
; COMPUTE_PGM_RSRC2:TGID_Z_EN: 1
; COMPUTE_PGM_RSRC2:TIDIG_COMP_CNT: 0
	.section	.text._ZN4vllm25paged_attention_v1_kernelIttLi256ELi8ELi128ELNS_18Fp8KVCacheDataTypeE0ELb1EEEvPT_PKS2_PKT0_S8_ifPKiSA_iPKfiiiSC_SC_iiiii,"axG",@progbits,_ZN4vllm25paged_attention_v1_kernelIttLi256ELi8ELi128ELNS_18Fp8KVCacheDataTypeE0ELb1EEEvPT_PKS2_PKT0_S8_ifPKiSA_iPKfiiiSC_SC_iiiii,comdat
	.protected	_ZN4vllm25paged_attention_v1_kernelIttLi256ELi8ELi128ELNS_18Fp8KVCacheDataTypeE0ELb1EEEvPT_PKS2_PKT0_S8_ifPKiSA_iPKfiiiSC_SC_iiiii ; -- Begin function _ZN4vllm25paged_attention_v1_kernelIttLi256ELi8ELi128ELNS_18Fp8KVCacheDataTypeE0ELb1EEEvPT_PKS2_PKT0_S8_ifPKiSA_iPKfiiiSC_SC_iiiii
	.globl	_ZN4vllm25paged_attention_v1_kernelIttLi256ELi8ELi128ELNS_18Fp8KVCacheDataTypeE0ELb1EEEvPT_PKS2_PKT0_S8_ifPKiSA_iPKfiiiSC_SC_iiiii
	.p2align	8
	.type	_ZN4vllm25paged_attention_v1_kernelIttLi256ELi8ELi128ELNS_18Fp8KVCacheDataTypeE0ELb1EEEvPT_PKS2_PKT0_S8_ifPKiSA_iPKfiiiSC_SC_iiiii,@function
_ZN4vllm25paged_attention_v1_kernelIttLi256ELi8ELi128ELNS_18Fp8KVCacheDataTypeE0ELb1EEEvPT_PKS2_PKT0_S8_ifPKiSA_iPKfiiiSC_SC_iiiii: ; @_ZN4vllm25paged_attention_v1_kernelIttLi256ELi8ELi128ELNS_18Fp8KVCacheDataTypeE0ELb1EEEvPT_PKS2_PKT0_S8_ifPKiSA_iPKfiiiSC_SC_iiiii
; %bb.0:
	s_load_b64 s[22:23], s[0:1], 0x20
	s_bfe_u32 s3, ttmp6, 0x4000c
	s_bfe_u32 s4, ttmp6, 0x40010
	s_and_b32 s6, ttmp7, 0xffff
	s_add_co_i32 s3, s3, 1
	s_add_co_i32 s4, s4, 1
	s_and_b32 s2, ttmp6, 15
	s_bfe_u32 s5, ttmp6, 0x40004
	s_mul_i32 s3, ttmp9, s3
	s_mul_i32 s4, s6, s4
	s_getreg_b32 s28, hwreg(HW_REG_IB_STS2, 6, 4)
	s_add_co_i32 s2, s2, s3
	s_add_co_i32 s3, s5, s4
	s_cmp_eq_u32 s28, 0
	s_clause 0x1
	s_load_b32 s29, s[0:1], 0x80
	s_load_b64 s[4:5], s[0:1], 0x30
	s_cselect_b32 s30, s6, s3
	s_cselect_b32 s2, ttmp9, s2
	s_mov_b32 s17, 0
	s_delay_alu instid0(SALU_CYCLE_1) | instskip(SKIP_2) | instid1(SALU_CYCLE_1)
	s_mov_b32 s35, s17
	s_wait_kmcnt 0x0
	s_abs_i32 s3, s22
	s_cvt_f32_u32 s6, s3
	s_sub_co_i32 s7, 0, s3
	s_delay_alu instid0(SALU_CYCLE_2) | instskip(SKIP_2) | instid1(TRANS32_DEP_1)
	v_rcp_iflag_f32_e32 v1, s6
	s_abs_i32 s8, s29
	v_nop
	v_readfirstlane_b32 s6, v1
	s_mul_f32 s6, s6, 0x4f7ffffe
	s_delay_alu instid0(SALU_CYCLE_3) | instskip(NEXT) | instid1(SALU_CYCLE_3)
	s_cvt_u32_f32 s6, s6
	s_mul_i32 s7, s7, s6
	s_delay_alu instid0(SALU_CYCLE_1) | instskip(NEXT) | instid1(SALU_CYCLE_1)
	s_mul_hi_u32 s7, s6, s7
	s_add_co_i32 s6, s6, s7
	s_xor_b32 s7, s29, s22
	s_mul_hi_u32 s6, s8, s6
	s_ashr_i32 s7, s7, 31
	s_mul_i32 s9, s6, s3
	s_delay_alu instid0(SALU_CYCLE_1)
	s_sub_co_i32 s8, s8, s9
	s_add_co_i32 s9, s6, 1
	s_sub_co_i32 s10, s8, s3
	s_cmp_ge_u32 s8, s3
	s_cselect_b32 s6, s9, s6
	s_cselect_b32 s8, s10, s8
	s_add_co_i32 s9, s6, 1
	s_cmp_ge_u32 s8, s3
	s_cselect_b32 s3, s9, s6
	s_load_b64 s[8:9], s[0:1], 0x40
	s_xor_b32 s3, s3, s7
	s_abs_i32 s16, s2
	s_sub_co_i32 s10, s3, s7
	s_mov_b32 s7, s17
	s_abs_i32 s15, s10
	s_delay_alu instid0(SALU_CYCLE_1) | instskip(SKIP_1) | instid1(SALU_CYCLE_2)
	s_cvt_f32_u32 s3, s15
	s_sub_co_i32 s6, 0, s15
	v_rcp_iflag_f32_e32 v1, s3
	v_nop
	s_delay_alu instid0(TRANS32_DEP_1) | instskip(SKIP_1) | instid1(SALU_CYCLE_3)
	v_readfirstlane_b32 s3, v1
	s_mul_f32 s3, s3, 0x4f7ffffe
	s_cvt_u32_f32 s3, s3
	s_delay_alu instid0(SALU_CYCLE_3) | instskip(NEXT) | instid1(SALU_CYCLE_1)
	s_mul_i32 s6, s6, s3
	s_mul_hi_u32 s6, s3, s6
	s_delay_alu instid0(SALU_CYCLE_1)
	s_add_co_i32 s6, s3, s6
	s_wait_kmcnt 0x0
	s_cmp_eq_u64 s[8:9], 0
	s_cbranch_scc1 .LBB62_2
; %bb.1:
	s_ashr_i32 s3, s2, 31
	s_delay_alu instid0(SALU_CYCLE_1) | instskip(NEXT) | instid1(SALU_CYCLE_1)
	s_lshl_b64 s[12:13], s[2:3], 2
	s_add_nc_u64 s[8:9], s[8:9], s[12:13]
	s_load_b32 s35, s[8:9], 0x0
.LBB62_2:
	s_load_b32 s31, s[4:5], s30 offset:0x0 scale_offset
	s_load_b96 s[12:14], s[0:1], 0x48
	v_and_b32_e32 v4, 3, v0
	s_wait_xcnt 0x0
	s_mul_u64 s[4:5], s[16:17], s[6:7]
	s_ashr_i32 s3, s2, 31
	s_ashr_i32 s18, s10, 31
	s_lshl_b32 s6, s2, 8
	s_mov_b32 s4, exec_lo
	v_cmpx_gt_u32_e32 0x80, v0
	s_cbranch_execz .LBB62_4
; %bb.3:
	s_load_b64 s[8:9], s[0:1], 0x8
	s_wait_kmcnt 0x0
	s_mul_i32 s10, s12, s30
	s_ashr_i32 s7, s6, 31
	s_ashr_i32 s11, s10, 31
	v_and_b32_e32 v2, 0x3fc, v0
	s_lshl_b64 s[10:11], s[10:11], 1
	s_delay_alu instid0(VALU_DEP_1) | instskip(SKIP_2) | instid1(SALU_CYCLE_1)
	v_lshl_add_u32 v2, v4, 7, v2
	s_add_nc_u64 s[8:9], s[8:9], s[10:11]
	s_lshl_b64 s[10:11], s[6:7], 1
	s_add_nc_u64 s[8:9], s[8:9], s[10:11]
	global_load_b32 v1, v0, s[8:9] scale_offset
	s_wait_loadcnt 0x0
	ds_store_b32 v2, v1
.LBB62_4:
	s_or_b32 exec_lo, exec_lo, s4
	s_load_b128 s[8:11], s[0:1], 0x68
	s_mul_i32 s4, s5, s15
	s_xor_b32 s3, s3, s18
	s_sub_co_i32 s4, s16, s4
	s_add_co_i32 s7, s5, 1
	s_wait_kmcnt 0x0
	s_sub_co_i32 s12, s4, s15
	s_cmp_ge_u32 s4, s15
	s_mov_b32 s18, -1
	s_cselect_b32 s5, s7, s5
	s_cselect_b32 s4, s12, s4
	s_add_co_i32 s12, s5, 1
	s_cmp_ge_u32 s4, s15
	s_load_b32 s7, s[0:1], 0x78
	s_cselect_b32 s4, s12, s5
	s_add_co_i32 s15, s31, -1
	s_xor_b32 s4, s4, s3
	s_wait_dscnt 0x0
	s_sub_co_i32 s3, s4, s3
	s_barrier_signal -1
	s_barrier_wait -1
	s_abs_i32 s12, s11
	s_delay_alu instid0(SALU_CYCLE_1) | instskip(NEXT) | instid1(SALU_CYCLE_3)
	s_cvt_f32_u32 s5, s12
                                        ; implicit-def: $sgpr33
	v_rcp_iflag_f32_e32 v1, s5
	v_nop
	s_delay_alu instid0(TRANS32_DEP_1) | instskip(SKIP_1) | instid1(SALU_CYCLE_3)
	v_readfirstlane_b32 s5, v1
	s_mul_f32 s4, s5, 0x4f7ffffe
	s_cvt_u32_f32 s16, s4
	s_sub_co_i32 s4, 0, s12
	s_delay_alu instid0(SALU_CYCLE_2)
	s_mul_i32 s5, s4, s16
	s_abs_i32 s4, s15
	s_mul_hi_u32 s17, s16, s5
	s_mov_b32 s5, 0
	s_add_co_i32 s16, s16, s17
	s_wait_kmcnt 0x0
	s_cmp_lt_i32 s7, 0
	s_mov_b32 s17, s5
	s_cbranch_scc0 .LBB62_6
; %bb.5:
	s_mul_i32 s18, s8, s22
	s_delay_alu instid0(SALU_CYCLE_1) | instskip(NEXT) | instid1(SALU_CYCLE_1)
	s_add_co_i32 s18, s3, s18
	s_mul_i32 s18, s18, s7
	s_delay_alu instid0(SALU_CYCLE_1)
	s_sub_co_i32 s33, 1, s18
	s_mov_b32 s18, s5
.LBB62_6:
	s_ashr_i32 s15, s15, 31
	s_ashr_i32 s11, s11, 31
	s_and_not1_b32 vcc_lo, exec_lo, s18
	s_mul_u64 s[24:25], s[4:5], s[16:17]
	s_cbranch_vccnz .LBB62_8
; %bb.7:
	s_mul_i32 s5, s29, s8
	s_delay_alu instid0(SALU_CYCLE_1) | instskip(NEXT) | instid1(SALU_CYCLE_1)
	s_add_co_i32 s2, s5, s2
	s_mul_i32 s2, s2, s7
	s_delay_alu instid0(SALU_CYCLE_1)
	s_add_co_i32 s33, s2, 1
.LBB62_8:
	s_load_b32 s2, s[0:1], 0x38
	s_mul_i32 s7, s25, s12
	s_xor_b32 s5, s15, s11
	s_sub_co_i32 s4, s4, s7
	s_add_co_i32 s8, s25, 1
	s_clause 0x1
	s_load_b64 s[18:19], s[0:1], 0x28
	s_load_b32 s7, s[0:1], 0x88
	v_dual_mov_b32 v12, 0xff7fffff :: v_dual_lshrrev_b32 v23, 5, v0
	v_lshrrev_b32_e32 v1, 3, v0
	v_mbcnt_lo_u32_b32 v7, -1, 0
	s_mul_i32 s14, s3, s14
	s_delay_alu instid0(VALU_DEP_3)
	v_lshlrev_b32_e32 v6, 3, v23
	s_wait_kmcnt 0x0
	s_mul_i32 s20, s2, s30
	s_sub_co_i32 s2, s4, s12
	s_ashr_i32 s21, s20, 31
	s_cmp_ge_u32 s4, s12
	s_cselect_b32 s8, s8, s25
	s_cselect_b32 s2, s2, s4
	s_add_co_i32 s4, s8, 1
	s_cmp_ge_u32 s2, s12
	s_cselect_b32 s2, s4, s8
	s_add_co_i32 s4, s31, 7
	s_delay_alu instid0(SALU_CYCLE_1) | instskip(NEXT) | instid1(SALU_CYCLE_1)
	s_ashr_i32 s8, s4, 31
	s_lshr_b32 s8, s8, 29
	s_delay_alu instid0(SALU_CYCLE_1) | instskip(NEXT) | instid1(SALU_CYCLE_1)
	s_add_co_i32 s4, s4, s8
	s_ashr_i32 s34, s4, 3
	s_xor_b32 s4, s2, s5
	v_cmp_gt_i32_e64 s2, s34, v23
	s_sub_co_i32 s8, s4, s5
	s_and_saveexec_b32 s22, s2
	s_cbranch_execz .LBB62_20
; %bb.9:
	s_load_b64 s[4:5], s[0:1], 0x10
	s_ashr_i32 s15, s14, 31
	s_sub_co_i32 s36, s8, s9
	s_ashr_i32 s25, s13, 31
	s_lshl_b64 s[38:39], s[14:15], 1
	s_cmp_neq_f32 s35, 0
	v_bfe_u32 v10, v0, 2, 3
	v_dual_mov_b32 v3, 0 :: v_dual_lshlrev_b32 v11, 7, v4
	s_cselect_b32 vcc_lo, -1, 0
	s_abs_i32 s15, s10
	s_delay_alu instid0(VALU_DEP_2)
	v_lshlrev_b32_e32 v2, 4, v10
	s_cvt_f32_u32 s3, s15
	v_subrev_nc_u32_e32 v9, s31, v10
	v_lshlrev_b32_e32 v8, 2, v0
	s_sub_co_i32 s26, 0, s15
	v_rcp_iflag_f32_e32 v5, s3
	v_cmp_eq_u32_e64 s3, 0, v4
	v_dual_add_nc_u32 v13, 1, v9 :: v_dual_bitop2_b32 v16, 2, v7 bitop3:0x14
	s_wait_kmcnt 0x0
	s_add_nc_u64 s[4:5], s[4:5], s[38:39]
	v_dual_mov_b32 v18, v23 :: v_dual_bitop2_b32 v17, 1, v7 bitop3:0x14
	s_delay_alu instid0(TRANS32_DEP_1)
	v_readfirstlane_b32 s24, v5
	v_add_nc_u64_e32 v[4:5], s[4:5], v[2:3]
	v_dual_lshlrev_b32 v8, 2, v10 :: v_dual_bitop2_b32 v2, 12, v8 bitop3:0x40
	s_lshl_b64 s[4:5], s[20:21], 2
	s_mul_f32 s24, s24, 0x4f7ffffe
	s_add_nc_u64 s[4:5], s[18:19], s[4:5]
	s_mov_b32 s27, 0
	s_delay_alu instid0(VALU_DEP_2)
	v_add_nc_u64_e32 v[4:5], v[4:5], v[2:3]
	v_and_b32_e32 v2, 0x7c, v1
	s_cvt_u32_f32 s37, s24
	v_lshl_or_b32 v12, v23, 5, v8
	v_mov_b32_e32 v15, 0xff7fffff
	s_mov_b32 s24, s13
	v_add_nc_u64_e32 v[8:9], s[4:5], v[2:3]
	s_mul_i32 s26, s26, s37
	v_lshlrev_b32_e32 v2, 3, v23
	v_add_nc_u32_e32 v14, 0x220, v12
	v_mov_b32_e32 v12, 0xff7fffff
	s_mul_hi_u32 s4, s37, s26
	s_delay_alu instid0(SALU_CYCLE_1)
	s_add_co_i32 s26, s37, s4
	s_mov_b32 s37, s27
	s_branch .LBB62_12
.LBB62_10:                              ;   in Loop: Header=BB62_12 Depth=1
	s_or_b32 exec_lo, exec_lo, s38
.LBB62_11:                              ;   in Loop: Header=BB62_12 Depth=1
	s_delay_alu instid0(SALU_CYCLE_1) | instskip(SKIP_4) | instid1(VALU_DEP_4)
	s_or_b32 exec_lo, exec_lo, s5
	v_add_nc_u32_e32 v18, 4, v18
	v_add_nc_u64_e32 v[8:9], 16, v[8:9]
	v_add_nc_u32_e32 v2, 32, v2
	v_add_nc_u32_e32 v14, 0x80, v14
	v_cmp_le_i32_e64 s4, s34, v18
	s_or_b32 s37, s4, s37
	s_delay_alu instid0(SALU_CYCLE_1)
	s_and_not1_b32 exec_lo, exec_lo, s37
	s_cbranch_execz .LBB62_19
.LBB62_12:                              ; =>This Inner Loop Header: Depth=1
	s_wait_dscnt 0x0
	v_mul_u64_e32 v[20:21], s[16:17], v[2:3]
	s_delay_alu instid0(VALU_DEP_1) | instskip(NEXT) | instid1(VALU_DEP_1)
	v_mul_lo_u32 v19, v21, s12
	v_dual_add_nc_u32 v20, 1, v21 :: v_dual_sub_nc_u32 v19, v2, v19
	s_delay_alu instid0(VALU_DEP_1) | instskip(SKIP_1) | instid1(VALU_DEP_1)
	v_subrev_nc_u32_e32 v22, s12, v19
	v_cmp_le_u32_e64 s4, s12, v19
	v_dual_cndmask_b32 v20, v21, v20, s4 :: v_dual_cndmask_b32 v19, v19, v22, s4
	s_delay_alu instid0(VALU_DEP_1) | instskip(NEXT) | instid1(VALU_DEP_2)
	v_add_nc_u32_e32 v21, 1, v20
	v_cmp_le_u32_e64 s4, s12, v19
	s_delay_alu instid0(VALU_DEP_1) | instskip(NEXT) | instid1(VALU_DEP_1)
	v_dual_cndmask_b32 v19, v20, v21, s4 :: v_dual_mov_b32 v21, v3
	v_xor_b32_e32 v19, s11, v19
	s_delay_alu instid0(VALU_DEP_1) | instskip(NEXT) | instid1(VALU_DEP_1)
	v_subrev_nc_u32_e32 v19, s11, v19
	v_add_nc_u32_e32 v22, s33, v19
	v_cmp_ge_i32_e64 s5, s36, v19
	s_delay_alu instid0(VALU_DEP_2) | instskip(NEXT) | instid1(VALU_DEP_1)
	v_sub_nc_u32_e32 v20, 0, v22
	v_dual_ashrrev_i32 v22, 31, v22 :: v_dual_max_i32 v20, v22, v20
	s_delay_alu instid0(VALU_DEP_1) | instskip(NEXT) | instid1(VALU_DEP_1)
	v_mul_u64_e32 v[24:25], s[26:27], v[20:21]
	v_mul_lo_u32 v21, v25, s15
	s_delay_alu instid0(VALU_DEP_1) | instskip(NEXT) | instid1(VALU_DEP_1)
	v_sub_nc_u32_e32 v20, v20, v21
	v_subrev_nc_u32_e32 v21, s15, v20
	v_cmp_le_u32_e64 s4, s15, v20
	s_delay_alu instid0(VALU_DEP_1) | instskip(NEXT) | instid1(VALU_DEP_1)
	v_cndmask_b32_e64 v20, v20, v21, s4
	v_subrev_nc_u32_e32 v21, s15, v20
	v_cmp_le_u32_e64 s4, s15, v20
	s_delay_alu instid0(VALU_DEP_1) | instskip(NEXT) | instid1(VALU_DEP_1)
	v_cndmask_b32_e64 v20, v20, v21, s4
	v_xor_b32_e32 v20, v20, v22
	s_delay_alu instid0(VALU_DEP_1) | instskip(NEXT) | instid1(VALU_DEP_1)
	v_sub_nc_u32_e32 v20, v20, v22
	v_cmp_ne_u32_e64 s4, 0, v20
	s_and_b32 s4, s4, s5
	s_delay_alu instid0(SALU_CYCLE_1) | instskip(NEXT) | instid1(SALU_CYCLE_1)
	s_and_saveexec_b32 s5, s4
	s_xor_b32 s4, exec_lo, s5
	s_cbranch_execz .LBB62_16
; %bb.13:                               ;   in Loop: Header=BB62_12 Depth=1
	s_and_saveexec_b32 s5, s3
; %bb.14:                               ;   in Loop: Header=BB62_12 Depth=1
	ds_store_b32 v14, v15
; %bb.15:                               ;   in Loop: Header=BB62_12 Depth=1
	s_or_b32 exec_lo, exec_lo, s5
.LBB62_16:                              ;   in Loop: Header=BB62_12 Depth=1
	s_and_not1_saveexec_b32 s5, s4
	s_cbranch_execz .LBB62_11
; %bb.17:                               ;   in Loop: Header=BB62_12 Depth=1
	global_load_b32 v20, v[8:9], off
	v_cmp_gt_i32_e64 s4, 32, v16
	s_wait_loadcnt 0x0
	v_ashrrev_i32_e32 v21, 31, v20
	s_delay_alu instid0(VALU_DEP_1) | instskip(NEXT) | instid1(VALU_DEP_1)
	v_mul_u64_e32 v[20:21], s[24:25], v[20:21]
	v_lshl_add_u64 v[46:47], v[20:21], 1, v[4:5]
	s_clause 0xa
	global_load_b32 v19, v[46:47], off
	global_load_b32 v45, v[46:47], off offset:128
	global_load_b32 v48, v[46:47], off offset:256
	;; [unrolled: 1-line block ×10, first 2 shown]
	ds_load_b32 v20, v11
	s_clause 0xc
	global_load_b32 v32, v[46:47], off offset:1408
	global_load_b32 v34, v[46:47], off offset:1536
	;; [unrolled: 1-line block ×13, first 2 shown]
	s_wait_dscnt 0x0
	v_and_b32_e32 v53, 0xffff, v20
	v_lshrrev_b32_e32 v49, 16, v20
	s_wait_loadcnt 0x17
	v_and_b32_e32 v54, 0xffff, v19
	v_lshrrev_b32_e32 v55, 16, v19
	s_clause 0x7
	global_load_b32 v27, v[46:47], off offset:3072
	global_load_b32 v26, v[46:47], off offset:3200
	;; [unrolled: 1-line block ×8, first 2 shown]
	s_wait_xcnt 0x0
	;;#ASMSTART
	v_cvt_f32_f16 v47, v53;
	;;#ASMEND
	;;#ASMSTART
	v_cvt_f32_f16 v53, v49;
	;;#ASMEND
	;; [unrolled: 3-line block ×3, first 2 shown]
	s_wait_loadcnt 0x1e
	v_and_b32_e32 v57, 0xffff, v45
	v_lshrrev_b32_e32 v45, 16, v45
	;;#ASMSTART
	v_cvt_f32_f16 v54, v55;
	;;#ASMEND
	ds_load_b32 v46, v11 offset:4
	s_wait_loadcnt 0x14
	v_lshrrev_b32_e32 v90, 16, v32
	s_wait_dscnt 0x0
	v_and_b32_e32 v49, 0xffff, v46
	v_lshrrev_b32_e32 v55, 16, v46
	;;#ASMSTART
	v_cvt_f32_f16 v46, v49;
	;;#ASMEND
	;;#ASMSTART
	v_cvt_f32_f16 v85, v55;
	;;#ASMEND
	;;#ASMSTART
	v_cvt_f32_f16 v49, v57;
	;;#ASMEND
	;;#ASMSTART
	v_cvt_f32_f16 v87, v45;
	;;#ASMEND
	ds_load_b32 v45, v11 offset:8
	v_and_b32_e32 v57, 0xffff, v48
	v_lshrrev_b32_e32 v48, 16, v48
	s_wait_dscnt 0x0
	v_and_b32_e32 v55, 0xffff, v45
	v_lshrrev_b32_e32 v45, 16, v45
	;;#ASMSTART
	v_cvt_f32_f16 v55, v55;
	;;#ASMEND
	;;#ASMSTART
	v_cvt_f32_f16 v65, v45;
	;;#ASMEND
	;;#ASMSTART
	v_cvt_f32_f16 v68, v57;
	;;#ASMEND
	;;#ASMSTART
	v_cvt_f32_f16 v67, v48;
	;;#ASMEND
	ds_load_b32 v45, v11 offset:12
	v_and_b32_e32 v57, 0xffff, v50
	;; [unrolled: 18-line block ×6, first 2 shown]
	v_lshrrev_b32_e32 v44, 16, v44
	s_wait_dscnt 0x0
	v_and_b32_e32 v48, 0xffff, v45
	v_lshrrev_b32_e32 v45, 16, v45
	;;#ASMSTART
	v_cvt_f32_f16 v75, v48;
	;;#ASMEND
	;;#ASMSTART
	v_cvt_f32_f16 v58, v45;
	;;#ASMEND
	;; [unrolled: 3-line block ×3, first 2 shown]
	v_and_b32_e32 v48, 0xffff, v43
	v_lshrrev_b32_e32 v43, 16, v43
	;;#ASMSTART
	v_cvt_f32_f16 v59, v44;
	;;#ASMEND
	ds_load_b32 v44, v11 offset:32
	s_wait_dscnt 0x0
	v_and_b32_e32 v45, 0xffff, v44
	v_lshrrev_b32_e32 v44, 16, v44
	;;#ASMSTART
	v_cvt_f32_f16 v69, v45;
	;;#ASMEND
	;;#ASMSTART
	v_cvt_f32_f16 v64, v44;
	;;#ASMEND
	;;#ASMSTART
	v_cvt_f32_f16 v70, v48;
	;;#ASMEND
	;;#ASMSTART
	v_cvt_f32_f16 v66, v43;
	;;#ASMEND
	ds_load_b32 v43, v11 offset:36
	v_and_b32_e32 v45, 0xffff, v41
	v_lshrrev_b32_e32 v41, 16, v41
	s_wait_dscnt 0x0
	v_and_b32_e32 v44, 0xffff, v43
	v_lshrrev_b32_e32 v43, 16, v43
	;;#ASMSTART
	v_cvt_f32_f16 v56, v44;
	;;#ASMEND
	;;#ASMSTART
	v_cvt_f32_f16 v51, v43;
	;;#ASMEND
	;; [unrolled: 3-line block ×3, first 2 shown]
	v_and_b32_e32 v44, 0xffff, v42
	v_lshrrev_b32_e32 v42, 16, v42
	;;#ASMSTART
	v_cvt_f32_f16 v52, v41;
	;;#ASMEND
	ds_load_b32 v41, v11 offset:40
	s_wait_dscnt 0x0
	v_and_b32_e32 v43, 0xffff, v41
	v_lshrrev_b32_e32 v41, 16, v41
	;;#ASMSTART
	v_cvt_f32_f16 v61, v43;
	;;#ASMEND
	;;#ASMSTART
	v_cvt_f32_f16 v45, v41;
	;;#ASMEND
	;;#ASMSTART
	v_cvt_f32_f16 v62, v44;
	;;#ASMEND
	;;#ASMSTART
	v_cvt_f32_f16 v48, v42;
	;;#ASMEND
	ds_load_b32 v41, v11 offset:44
	v_and_b32_e32 v44, 0xffff, v32
	v_mul_f32_e32 v32, v46, v49
	s_delay_alu instid0(VALU_DEP_1) | instskip(SKIP_3) | instid1(VALU_DEP_3)
	v_fmac_f32_e32 v32, v47, v86
	s_wait_loadcnt 0x13
	v_and_b32_e32 v47, 0xffff, v34
	v_dual_lshrrev_b32 v86, 16, v34 :: v_dual_mul_f32 v34, v85, v87
	v_fmac_f32_e32 v32, v55, v68
	s_wait_dscnt 0x0
	v_and_b32_e32 v42, 0xffff, v41
	v_lshrrev_b32_e32 v41, 16, v41
	;;#ASMSTART
	v_cvt_f32_f16 v49, v42;
	;;#ASMEND
	;;#ASMSTART
	v_cvt_f32_f16 v43, v41;
	;;#ASMEND
	;;#ASMSTART
	v_cvt_f32_f16 v50, v44;
	;;#ASMEND
	;;#ASMSTART
	v_cvt_f32_f16 v46, v90;
	;;#ASMEND
	ds_load_b32 v41, v11 offset:48
	s_wait_dscnt 0x0
	v_and_b32_e32 v42, 0xffff, v41
	v_lshrrev_b32_e32 v41, 16, v41
	;;#ASMSTART
	v_cvt_f32_f16 v44, v42;
	;;#ASMEND
	;;#ASMSTART
	v_cvt_f32_f16 v41, v41;
	;;#ASMEND
	;;#ASMSTART
	v_cvt_f32_f16 v47, v47;
	;;#ASMEND
	;;#ASMSTART
	v_cvt_f32_f16 v42, v86;
	;;#ASMEND
	ds_load_b32 v85, v11 offset:52
	s_wait_dscnt 0x0
	v_dual_fmac_f32 v34, v53, v54 :: v_dual_lshrrev_b32 v54, 16, v85
	v_and_b32_e32 v53, 0xffff, v85
	s_wait_loadcnt 0x12
	v_and_b32_e32 v85, 0xffff, v40
	s_delay_alu instid0(VALU_DEP_3)
	v_dual_lshrrev_b32 v86, 16, v40 :: v_dual_fmac_f32 v34, v65, v67
	;;#ASMSTART
	v_cvt_f32_f16 v40, v53;
	;;#ASMEND
	;;#ASMSTART
	v_cvt_f32_f16 v53, v54;
	;;#ASMEND
	;; [unrolled: 3-line block ×4, first 2 shown]
	ds_load_b32 v68, v11 offset:56
	s_wait_loadcnt 0x10
	v_dual_lshrrev_b32 v86, 16, v38 :: v_dual_fmac_f32 v34, v60, v63
	s_wait_dscnt 0x0
	v_and_b32_e32 v65, 0xffff, v68
	v_lshrrev_b32_e32 v67, 16, v68
	v_and_b32_e32 v68, 0xffff, v39
	v_dual_fmac_f32 v32, v72, v74 :: v_dual_lshrrev_b32 v85, 16, v39
	;;#ASMSTART
	v_cvt_f32_f16 v39, v65;
	;;#ASMEND
	;;#ASMSTART
	v_cvt_f32_f16 v65, v67;
	;;#ASMEND
	;; [unrolled: 3-line block ×4, first 2 shown]
	ds_load_b32 v85, v11 offset:60
	s_wait_dscnt 0x0
	v_and_b32_e32 v72, 0xffff, v85
	v_lshrrev_b32_e32 v74, 16, v85
	v_and_b32_e32 v85, 0xffff, v38
	;;#ASMSTART
	v_cvt_f32_f16 v38, v72;
	;;#ASMEND
	;;#ASMSTART
	v_cvt_f32_f16 v60, v74;
	;;#ASMEND
	;; [unrolled: 3-line block ×4, first 2 shown]
	ds_load_b32 v74, v11 offset:64
	s_wait_loadcnt 0xf
	v_and_b32_e32 v86, 0xffff, v37
	s_wait_dscnt 0x0
	v_and_b32_e32 v85, 0xffff, v74
	v_dual_lshrrev_b32 v74, 16, v74 :: v_dual_lshrrev_b32 v87, 16, v37
	v_fmac_f32_e32 v34, v80, v82
	;;#ASMSTART
	v_cvt_f32_f16 v37, v85;
	;;#ASMEND
	;;#ASMSTART
	v_cvt_f32_f16 v74, v74;
	;;#ASMEND
	;; [unrolled: 3-line block ×4, first 2 shown]
	ds_load_b32 v87, v11 offset:68
	s_wait_loadcnt 0xe
	v_dual_fmac_f32 v32, v88, v89 :: v_dual_lshrrev_b32 v88, 16, v36
	v_fmac_f32_e32 v34, v78, v81
	s_delay_alu instid0(VALU_DEP_1) | instskip(NEXT) | instid1(VALU_DEP_1)
	v_fmac_f32_e32 v34, v71, v73
	v_fmac_f32_e32 v34, v58, v59
	s_wait_loadcnt 0xa
	v_and_b32_e32 v59, 0xffff, v30
	v_lshrrev_b32_e32 v30, 16, v30
	s_delay_alu instid0(VALU_DEP_3)
	v_fmac_f32_e32 v34, v64, v66
	s_wait_loadcnt 0x9
	v_and_b32_e32 v66, 0xffff, v29
	s_wait_dscnt 0x0
	v_and_b32_e32 v80, 0xffff, v87
	v_lshrrev_b32_e32 v82, 16, v87
	v_and_b32_e32 v87, 0xffff, v36
	v_fmac_f32_e32 v32, v83, v84
	;;#ASMSTART
	v_cvt_f32_f16 v36, v80;
	;;#ASMEND
	;;#ASMSTART
	v_cvt_f32_f16 v80, v82;
	;;#ASMEND
	;; [unrolled: 3-line block ×4, first 2 shown]
	ds_load_b32 v84, v11 offset:72
	v_dual_lshrrev_b32 v87, 16, v35 :: v_dual_lshrrev_b32 v88, 16, v33
	v_dual_fmac_f32 v34, v51, v52 :: v_dual_lshrrev_b32 v29, 16, v29
	s_wait_dscnt 0x0
	v_and_b32_e32 v78, 0xffff, v84
	v_lshrrev_b32_e32 v81, 16, v84
	v_and_b32_e32 v84, 0xffff, v35
	;;#ASMSTART
	v_cvt_f32_f16 v35, v78;
	;;#ASMEND
	;;#ASMSTART
	v_cvt_f32_f16 v78, v81;
	;;#ASMEND
	;; [unrolled: 3-line block ×4, first 2 shown]
	ds_load_b32 v87, v11 offset:76
	v_fmac_f32_e32 v32, v76, v79
	s_delay_alu instid0(VALU_DEP_1) | instskip(NEXT) | instid1(VALU_DEP_1)
	v_fmac_f32_e32 v32, v75, v77
	v_fmac_f32_e32 v32, v69, v70
	s_delay_alu instid0(VALU_DEP_1)
	v_fmac_f32_e32 v32, v56, v57
	s_wait_loadcnt 0x8
	v_and_b32_e32 v57, 0xffff, v28
	v_lshrrev_b32_e32 v28, 16, v28
	s_wait_dscnt 0x0
	v_and_b32_e32 v76, 0xffff, v87
	v_lshrrev_b32_e32 v79, 16, v87
	v_and_b32_e32 v87, 0xffff, v33
	;;#ASMSTART
	v_cvt_f32_f16 v33, v76;
	;;#ASMEND
	;;#ASMSTART
	v_cvt_f32_f16 v71, v79;
	;;#ASMEND
	;; [unrolled: 3-line block ×4, first 2 shown]
	ds_load_b32 v79, v11 offset:80
	v_fmac_f32_e32 v32, v61, v62
	s_wait_loadcnt 0x7
	v_and_b32_e32 v61, 0xffff, v27
	s_delay_alu instid0(VALU_DEP_2) | instskip(NEXT) | instid1(VALU_DEP_1)
	v_dual_fmac_f32 v32, v49, v50 :: v_dual_lshrrev_b32 v27, 16, v27
	v_fmac_f32_e32 v32, v44, v47
	s_wait_loadcnt 0x4
	v_and_b32_e32 v47, 0xffff, v24
	s_delay_alu instid0(VALU_DEP_2)
	v_dual_lshrrev_b32 v24, 16, v24 :: v_dual_fmac_f32 v32, v40, v54
	s_wait_loadcnt 0x3
	v_and_b32_e32 v40, 0xffff, v22
	v_lshrrev_b32_e32 v22, 16, v22
	s_wait_dscnt 0x0
	v_and_b32_e32 v75, 0xffff, v79
	v_lshrrev_b32_e32 v77, 16, v79
	v_and_b32_e32 v79, 0xffff, v31
	v_lshrrev_b32_e32 v31, 16, v31
	;;#ASMSTART
	v_cvt_f32_f16 v75, v75;
	;;#ASMEND
	;;#ASMSTART
	v_cvt_f32_f16 v77, v77;
	;;#ASMEND
	;; [unrolled: 3-line block ×4, first 2 shown]
	ds_load_b32 v31, v11 offset:84
	v_fmac_f32_e32 v32, v39, v67
	s_delay_alu instid0(VALU_DEP_1) | instskip(NEXT) | instid1(VALU_DEP_1)
	v_fmac_f32_e32 v32, v38, v63
	v_fmac_f32_e32 v32, v37, v85
	s_delay_alu instid0(VALU_DEP_1)
	v_fmac_f32_e32 v32, v36, v82
	s_wait_dscnt 0x0
	v_and_b32_e32 v58, 0xffff, v31
	v_lshrrev_b32_e32 v31, 16, v31
	;;#ASMSTART
	v_cvt_f32_f16 v58, v58;
	;;#ASMEND
	;;#ASMSTART
	v_cvt_f32_f16 v31, v31;
	;;#ASMEND
	;; [unrolled: 3-line block ×4, first 2 shown]
	ds_load_b32 v30, v11 offset:88
	v_fmac_f32_e32 v32, v35, v81
	s_wait_loadcnt 0x2
	v_lshrrev_b32_e32 v35, 16, v21
	v_and_b32_e32 v21, 0xffff, v21
	s_wait_dscnt 0x0
	v_and_b32_e32 v64, 0xffff, v30
	v_lshrrev_b32_e32 v30, 16, v30
	;;#ASMSTART
	v_cvt_f32_f16 v64, v64;
	;;#ASMEND
	;;#ASMSTART
	v_cvt_f32_f16 v30, v30;
	;;#ASMEND
	;;#ASMSTART
	v_cvt_f32_f16 v66, v66;
	;;#ASMEND
	;;#ASMSTART
	v_cvt_f32_f16 v70, v29;
	;;#ASMEND
	ds_load_b32 v29, v11 offset:92
	s_wait_dscnt 0x0
	v_and_b32_e32 v56, 0xffff, v29
	v_lshrrev_b32_e32 v29, 16, v29
	;;#ASMSTART
	v_cvt_f32_f16 v51, v56;
	;;#ASMEND
	;;#ASMSTART
	v_cvt_f32_f16 v29, v29;
	;;#ASMEND
	;;#ASMSTART
	v_cvt_f32_f16 v52, v57;
	;;#ASMEND
	;;#ASMSTART
	v_cvt_f32_f16 v56, v28;
	;;#ASMEND
	ds_load_b32 v28, v11 offset:96
	;; [unrolled: 16-line block ×3, first 2 shown]
	v_fmac_f32_e32 v34, v45, v48
	v_and_b32_e32 v48, 0xffff, v26
	v_lshrrev_b32_e32 v26, 16, v26
	s_wait_dscnt 0x0
	v_and_b32_e32 v45, 0xffff, v27
	v_lshrrev_b32_e32 v27, 16, v27
	;;#ASMSTART
	v_cvt_f32_f16 v45, v45;
	;;#ASMEND
	;;#ASMSTART
	v_cvt_f32_f16 v27, v27;
	;;#ASMEND
	;; [unrolled: 3-line block ×3, first 2 shown]
	v_fmac_f32_e32 v34, v43, v46
	v_and_b32_e32 v46, 0xffff, v25
	v_lshrrev_b32_e32 v25, 16, v25
	;;#ASMSTART
	v_cvt_f32_f16 v49, v26;
	;;#ASMEND
	ds_load_b32 v26, v11 offset:104
	v_fmac_f32_e32 v34, v41, v42
	s_delay_alu instid0(VALU_DEP_1) | instskip(NEXT) | instid1(VALU_DEP_1)
	v_fmac_f32_e32 v34, v53, v55
	v_fmac_f32_e32 v34, v65, v68
	s_delay_alu instid0(VALU_DEP_1)
	v_fmac_f32_e32 v34, v60, v72
	s_wait_dscnt 0x0
	v_and_b32_e32 v43, 0xffff, v26
	v_lshrrev_b32_e32 v26, 16, v26
	;;#ASMSTART
	v_cvt_f32_f16 v43, v43;
	;;#ASMEND
	;;#ASMSTART
	v_cvt_f32_f16 v26, v26;
	;;#ASMEND
	;; [unrolled: 3-line block ×4, first 2 shown]
	ds_load_b32 v25, v11 offset:108
	v_fmac_f32_e32 v34, v74, v86
	s_delay_alu instid0(VALU_DEP_1) | instskip(NEXT) | instid1(VALU_DEP_1)
	v_fmac_f32_e32 v34, v80, v83
	v_dual_fmac_f32 v34, v78, v84 :: v_dual_fmac_f32 v32, v33, v73
	s_delay_alu instid0(VALU_DEP_1) | instskip(NEXT) | instid1(VALU_DEP_2)
	v_fmac_f32_e32 v34, v71, v76
	v_fmac_f32_e32 v32, v75, v79
	s_wait_dscnt 0x0
	v_and_b32_e32 v44, 0xffff, v25
	v_lshrrev_b32_e32 v25, 16, v25
	;;#ASMSTART
	v_cvt_f32_f16 v41, v44;
	;;#ASMEND
	;;#ASMSTART
	v_cvt_f32_f16 v25, v25;
	;;#ASMEND
	;;#ASMSTART
	v_cvt_f32_f16 v42, v47;
	;;#ASMEND
	;;#ASMSTART
	v_cvt_f32_f16 v44, v24;
	;;#ASMEND
	ds_load_b32 v24, v11 offset:112
	v_fmac_f32_e32 v32, v58, v59
	s_delay_alu instid0(VALU_DEP_1) | instskip(NEXT) | instid1(VALU_DEP_1)
	v_dual_fmac_f32 v34, v77, v87 :: v_dual_fmac_f32 v32, v64, v66
	v_fmac_f32_e32 v34, v31, v69
	s_delay_alu instid0(VALU_DEP_1) | instskip(NEXT) | instid1(VALU_DEP_1)
	v_dual_fmac_f32 v32, v51, v52 :: v_dual_fmac_f32 v34, v30, v70
	v_fmac_f32_e32 v32, v57, v61
	s_wait_dscnt 0x0
	v_and_b32_e32 v39, 0xffff, v24
	v_lshrrev_b32_e32 v24, 16, v24
	;;#ASMSTART
	v_cvt_f32_f16 v38, v39;
	;;#ASMEND
	;;#ASMSTART
	v_cvt_f32_f16 v24, v24;
	;;#ASMEND
	;; [unrolled: 3-line block ×4, first 2 shown]
	ds_load_b32 v22, v11 offset:116
	v_fmac_f32_e32 v32, v45, v48
	s_delay_alu instid0(VALU_DEP_1) | instskip(NEXT) | instid1(VALU_DEP_1)
	v_fmac_f32_e32 v32, v43, v46
	v_fmac_f32_e32 v32, v41, v42
	s_wait_dscnt 0x0
	v_and_b32_e32 v33, 0xffff, v22
	v_lshrrev_b32_e32 v22, 16, v22
	;;#ASMSTART
	v_cvt_f32_f16 v33, v33;
	;;#ASMEND
	;;#ASMSTART
	v_cvt_f32_f16 v22, v22;
	;;#ASMEND
	;; [unrolled: 3-line block ×4, first 2 shown]
	ds_load_b32 v21, v11 offset:120
	v_fmac_f32_e32 v34, v29, v56
	s_wait_loadcnt 0x1
	v_lshrrev_b32_e32 v29, 16, v20
	v_and_b32_e32 v20, 0xffff, v20
	s_delay_alu instid0(VALU_DEP_3) | instskip(NEXT) | instid1(VALU_DEP_1)
	v_fmac_f32_e32 v34, v28, v62
	v_fmac_f32_e32 v34, v27, v49
	s_delay_alu instid0(VALU_DEP_1)
	v_fmac_f32_e32 v34, v26, v50
	s_wait_dscnt 0x0
	v_and_b32_e32 v28, 0xffff, v21
	v_lshrrev_b32_e32 v21, 16, v21
	;;#ASMSTART
	v_cvt_f32_f16 v27, v28;
	;;#ASMEND
	;;#ASMSTART
	v_cvt_f32_f16 v28, v21;
	;;#ASMEND
	;;#ASMSTART
	v_cvt_f32_f16 v30, v20;
	;;#ASMEND
	;;#ASMSTART
	v_cvt_f32_f16 v29, v29;
	;;#ASMEND
	ds_load_b32 v20, v11 offset:124
	v_cndmask_b32_e64 v21, v7, v16, s4
	v_dual_fmac_f32 v34, v25, v44 :: v_dual_fmac_f32 v32, v38, v39
	v_cmp_gt_i32_e64 s4, 32, v17
	s_wait_loadcnt 0x0
	s_delay_alu instid0(VALU_DEP_2) | instskip(NEXT) | instid1(VALU_DEP_3)
	v_dual_fmac_f32 v34, v24, v40 :: v_dual_lshrrev_b32 v24, 16, v19
	v_fmac_f32_e32 v32, v33, v36
	v_and_b32_e32 v19, 0xffff, v19
	s_delay_alu instid0(VALU_DEP_3) | instskip(SKIP_3) | instid1(VALU_DEP_3)
	v_fmac_f32_e32 v34, v22, v35
	s_wait_dscnt 0x0
	v_and_b32_e32 v22, 0xffff, v20
	v_dual_lshrrev_b32 v20, 16, v20 :: v_dual_fmac_f32 v32, v27, v30
	v_fmac_f32_e32 v34, v28, v29
	;;#ASMSTART
	v_cvt_f32_f16 v22, v22;
	;;#ASMEND
	;;#ASMSTART
	v_cvt_f32_f16 v20, v20;
	;;#ASMEND
	;; [unrolled: 3-line block ×4, first 2 shown]
	v_dual_fmac_f32 v32, v22, v19 :: v_dual_fmac_f32 v34, v20, v24
	s_delay_alu instid0(VALU_DEP_1) | instskip(SKIP_3) | instid1(VALU_DEP_1)
	v_dual_add_f32 v20, v32, v34 :: v_dual_lshlrev_b32 v19, 2, v21
	ds_bpermute_b32 v19, v19, v20
	s_wait_dscnt 0x0
	v_dual_cndmask_b32 v21, v7, v17, s4 :: v_dual_add_f32 v19, v20, v19
	v_lshlrev_b32_e32 v20, 2, v21
	ds_bpermute_b32 v20, v20, v19
	s_and_saveexec_b32 s38, s3
	s_cbranch_execz .LBB62_10
; %bb.18:                               ;   in Loop: Header=BB62_12 Depth=1
	s_wait_dscnt 0x0
	v_dual_add_nc_u32 v21, v13, v2 :: v_dual_add_f32 v19, v19, v20
	s_delay_alu instid0(VALU_DEP_1) | instskip(NEXT) | instid1(VALU_DEP_1)
	v_cvt_f32_i32_e32 v21, v21
	v_mul_f32_e32 v21, s35, v21
	s_delay_alu instid0(VALU_DEP_1) | instskip(NEXT) | instid1(VALU_DEP_1)
	v_dual_cndmask_b32 v20, 0, v21 :: v_dual_max_num_f32 v21, v12, v12
	v_dual_fmac_f32 v20, s23, v19 :: v_dual_add_nc_u32 v19, v10, v2
	s_delay_alu instid0(VALU_DEP_1) | instskip(NEXT) | instid1(VALU_DEP_2)
	v_max_num_f32_e32 v21, v21, v20
	v_cmp_gt_i32_e64 s4, s31, v19
	s_delay_alu instid0(VALU_DEP_1)
	v_dual_cndmask_b32 v19, 0, v20, s4 :: v_dual_cndmask_b32 v12, v12, v21, s4
	ds_store_b32 v14, v19
	s_branch .LBB62_10
.LBB62_19:
	s_or_b32 exec_lo, exec_lo, s37
.LBB62_20:
	s_delay_alu instid0(SALU_CYCLE_1)
	s_or_b32 exec_lo, exec_lo, s22
	v_dual_max_num_f32 v5, v12, v12 :: v_dual_bitop2_b32 v2, 16, v7 bitop3:0x14
	s_clause 0x1
	s_load_b64 s[4:5], s[0:1], 0x0
	s_load_b64 s[22:23], s[0:1], 0x18
	v_and_b32_e32 v24, 31, v0
	v_xor_b32_e32 v4, 8, v7
	v_cmp_gt_i32_e32 vcc_lo, 32, v2
	v_cndmask_b32_e32 v2, v7, v2, vcc_lo
	s_delay_alu instid0(VALU_DEP_3) | instskip(NEXT) | instid1(VALU_DEP_2)
	v_cmp_gt_i32_e32 vcc_lo, 32, v4
	v_dual_lshlrev_b32 v2, 2, v2 :: v_dual_cndmask_b32 v4, v7, v4, vcc_lo
	ds_bpermute_b32 v3, v2, v12
	s_wait_dscnt 0x0
	v_dual_max_num_f32 v8, v3, v3 :: v_dual_lshlrev_b32 v3, 2, v4
	s_delay_alu instid0(VALU_DEP_1) | instskip(SKIP_4) | instid1(VALU_DEP_1)
	v_dual_max_num_f32 v4, v5, v8 :: v_dual_bitop2_b32 v8, 4, v7 bitop3:0x14
	ds_bpermute_b32 v5, v3, v4
	v_cmp_gt_i32_e32 vcc_lo, 32, v8
	v_cndmask_b32_e32 v8, v7, v8, vcc_lo
	s_wait_dscnt 0x0
	v_dual_max_num_f32 v5, v5, v5 :: v_dual_lshlrev_b32 v8, 2, v8
	s_delay_alu instid0(VALU_DEP_1)
	v_dual_max_num_f32 v5, v4, v5 :: v_dual_lshlrev_b32 v4, 2, v23
	v_cmp_eq_u32_e32 vcc_lo, 0, v24
	ds_bpermute_b32 v9, v8, v5
	s_wait_xcnt 0x0
	s_and_saveexec_b32 s0, vcc_lo
	s_cbranch_execz .LBB62_22
; %bb.21:
	s_wait_dscnt 0x0
	v_max_num_f32_e32 v9, v9, v9
	v_max_num_f32_e32 v5, v5, v5
	s_delay_alu instid0(VALU_DEP_1)
	v_max_num_f32_e32 v5, v5, v9
	ds_store_b32 v4, v5 offset:512
.LBB62_22:
	s_or_b32 exec_lo, exec_lo, s0
	v_cmp_gt_u32_e64 s0, 4, v24
	v_dual_mov_b32 v10, 0xff7fffff :: v_dual_lshlrev_b32 v5, 2, v24
	s_wait_dscnt 0x0
	s_barrier_signal -1
	s_barrier_wait -1
	s_and_saveexec_b32 s1, s0
; %bb.23:
	ds_load_b32 v10, v5 offset:512
; %bb.24:
	s_or_b32 exec_lo, exec_lo, s1
	v_xor_b32_e32 v9, 2, v7
	v_xor_b32_e32 v12, 1, v7
	s_delay_alu instid0(VALU_DEP_2) | instskip(NEXT) | instid1(VALU_DEP_1)
	v_cmp_gt_i32_e64 s1, 32, v9
	v_cndmask_b32_e64 v9, v7, v9, s1
	s_delay_alu instid0(VALU_DEP_3) | instskip(NEXT) | instid1(VALU_DEP_1)
	v_cmp_gt_i32_e64 s1, 32, v12
	v_dual_lshlrev_b32 v9, 2, v9 :: v_dual_cndmask_b32 v7, v7, v12, s1
	s_lshl_b32 s1, s34, 3
	s_delay_alu instid0(SALU_CYCLE_1)
	s_min_i32 s15, s1, s31
	s_wait_dscnt 0x0
	ds_bpermute_b32 v11, v9, v10
	v_max_num_f32_e32 v10, v10, v10
	v_cmp_gt_i32_e64 s1, s15, v0
	v_lshlrev_b32_e32 v7, 2, v7
	s_wait_dscnt 0x0
	v_max_num_f32_e32 v11, v11, v11
	s_delay_alu instid0(VALU_DEP_1) | instskip(SKIP_3) | instid1(VALU_DEP_1)
	v_max_num_f32_e32 v10, v10, v11
	ds_bpermute_b32 v11, v7, v10
	s_wait_dscnt 0x0
	v_max_num_f32_e32 v11, v11, v11
	v_dual_max_num_f32 v11, v10, v11 :: v_dual_mov_b32 v10, 0
	ds_bpermute_b32 v11, v10, v11
	s_and_saveexec_b32 s24, s1
	s_cbranch_execz .LBB62_28
; %bb.25:
	v_lshl_add_u32 v12, v0, 2, 0x220
	v_dual_mov_b32 v10, 0 :: v_dual_mov_b32 v13, v0
	s_mov_b32 s25, 0
.LBB62_26:                              ; =>This Inner Loop Header: Depth=1
	ds_load_b32 v14, v12
	v_add_nc_u32_e32 v13, 0x80, v13
	s_delay_alu instid0(VALU_DEP_1) | instskip(SKIP_3) | instid1(VALU_DEP_1)
	v_cmp_le_i32_e64 s3, s15, v13
	s_or_b32 s25, s3, s25
	s_wait_dscnt 0x0
	v_sub_f32_e32 v14, v14, v11
	v_mul_f32_e32 v14, 0x3fb8aa3b, v14
	s_delay_alu instid0(VALU_DEP_1)
	v_exp_f32_e32 v14, v14
	ds_store_b32 v12, v14
	v_nop
	v_add_f32_e32 v10, v10, v14
	v_add_nc_u32_e32 v12, 0x200, v12
	s_and_not1_b32 exec_lo, exec_lo, s25
	s_cbranch_execnz .LBB62_26
; %bb.27:
	s_or_b32 exec_lo, exec_lo, s25
.LBB62_28:
	s_delay_alu instid0(SALU_CYCLE_1)
	s_or_b32 exec_lo, exec_lo, s24
	ds_bpermute_b32 v2, v2, v10
	s_wait_dscnt 0x0
	v_add_f32_e32 v2, v10, v2
	ds_bpermute_b32 v3, v3, v2
	s_wait_dscnt 0x0
	v_add_f32_e32 v2, v2, v3
	;; [unrolled: 3-line block ×5, first 2 shown]
	s_and_saveexec_b32 s3, vcc_lo
; %bb.29:
	ds_store_b32 v4, v2 offset:528
; %bb.30:
	s_or_b32 exec_lo, exec_lo, s3
	s_wait_dscnt 0x0
	s_barrier_signal -1
	s_barrier_wait -1
	s_and_saveexec_b32 s3, s0
; %bb.31:
	ds_load_b32 v2, v5 offset:528
; %bb.32:
	s_or_b32 exec_lo, exec_lo, s3
	s_wait_dscnt 0x0
	ds_bpermute_b32 v3, v9, v2
	s_wait_dscnt 0x0
	v_add_f32_e32 v2, v2, v3
	ds_bpermute_b32 v3, v7, v2
	s_wait_dscnt 0x0
	v_dual_add_f32 v2, v2, v3 :: v_dual_mov_b32 v3, 0
	ds_bpermute_b32 v2, v3, v2
	s_and_saveexec_b32 s0, s1
	s_cbranch_execz .LBB62_45
; %bb.33:
	s_wait_dscnt 0x0
	v_add_f32_e32 v2, 0x358637bd, v2
	s_mov_b32 s3, -1
	s_mov_b32 s1, exec_lo
	s_delay_alu instid0(VALU_DEP_1) | instskip(NEXT) | instid1(VALU_DEP_1)
	v_div_scale_f32 v3, null, v2, v2, 1.0
	v_rcp_f32_e32 v5, v3
	v_nop
	s_delay_alu instid0(TRANS32_DEP_1) | instskip(NEXT) | instid1(VALU_DEP_1)
	v_fma_f32 v4, -v3, v5, 1.0
	v_fmac_f32_e32 v5, v4, v5
	v_div_scale_f32 v7, vcc_lo, 1.0, v2, 1.0
	s_delay_alu instid0(VALU_DEP_1) | instskip(NEXT) | instid1(VALU_DEP_1)
	v_mul_f32_e32 v8, v7, v5
	v_fma_f32 v4, -v3, v8, v7
	s_delay_alu instid0(VALU_DEP_1) | instskip(SKIP_1) | instid1(VALU_DEP_2)
	v_fmac_f32_e32 v8, v4, v5
	v_xad_u32 v4, v0, -1, s15
	v_fma_f32 v3, -v3, v8, v7
	s_delay_alu instid0(VALU_DEP_1) | instskip(NEXT) | instid1(VALU_DEP_1)
	v_div_fmas_f32 v3, v3, v5, v8
	v_div_fixup_f32 v2, v3, v2, 1.0
	v_mov_b32_e32 v3, v0
	v_cmpx_lt_u32_e32 0x7f, v4
	s_cbranch_execz .LBB62_42
; %bb.34:
	s_delay_alu instid0(VALU_DEP_3) | instskip(NEXT) | instid1(VALU_DEP_1)
	v_dual_mov_b32 v3, v2 :: v_dual_lshrrev_b32 v4, 7, v4
	v_dual_mov_b32 v9, 0 :: v_dual_add_nc_u32 v5, -1, v4
	s_delay_alu instid0(VALU_DEP_1) | instskip(SKIP_1) | instid1(VALU_DEP_2)
	v_lshrrev_b32_e32 v7, 1, v5
	v_cmp_lt_u32_e32 vcc_lo, 13, v5
	v_add_nc_u32_e32 v5, 1, v7
	s_and_saveexec_b32 s3, vcc_lo
	s_cbranch_execz .LBB62_38
; %bb.35:
	s_delay_alu instid0(VALU_DEP_1)
	v_and_b32_e32 v7, -8, v5
	v_lshl_add_u32 v8, v0, 2, 0x220
	s_mov_b32 s24, 0
	s_mov_b32 s25, 0
.LBB62_36:                              ; =>This Inner Loop Header: Depth=1
	ds_load_2addr_stride64_b32 v[10:11], v8 offset1:2
	ds_load_2addr_stride64_b32 v[12:13], v8 offset0:4 offset1:6
	ds_load_2addr_stride64_b32 v[14:15], v8 offset0:8 offset1:10
	;; [unrolled: 1-line block ×7, first 2 shown]
	s_add_co_i32 s25, s25, 16
	s_delay_alu instid0(SALU_CYCLE_1) | instskip(NEXT) | instid1(VALU_DEP_1)
	v_dual_add_nc_u32 v7, -8, v7 :: v_dual_mov_b32 v9, s25
	v_cmp_eq_u32_e32 vcc_lo, 0, v7
	s_or_b32 s24, vcc_lo, s24
	s_wait_dscnt 0x7
	v_pk_mul_f32 v[10:11], v[2:3], v[10:11]
	s_wait_dscnt 0x6
	v_pk_mul_f32 v[12:13], v[2:3], v[12:13]
	s_wait_dscnt 0x5
	v_pk_mul_f32 v[14:15], v[2:3], v[14:15]
	s_wait_dscnt 0x4
	v_pk_mul_f32 v[16:17], v[2:3], v[16:17]
	s_wait_dscnt 0x3
	v_pk_mul_f32 v[18:19], v[2:3], v[18:19]
	s_wait_dscnt 0x2
	v_pk_mul_f32 v[20:21], v[2:3], v[20:21]
	s_wait_dscnt 0x1
	v_pk_mul_f32 v[26:27], v[2:3], v[26:27]
	s_wait_dscnt 0x0
	v_pk_mul_f32 v[28:29], v[2:3], v[28:29]
	ds_store_2addr_stride64_b32 v8, v10, v11 offset1:2
	ds_store_2addr_stride64_b32 v8, v12, v13 offset0:4 offset1:6
	ds_store_2addr_stride64_b32 v8, v14, v15 offset0:8 offset1:10
	ds_store_2addr_stride64_b32 v8, v16, v17 offset0:12 offset1:14
	ds_store_2addr_stride64_b32 v8, v18, v19 offset0:16 offset1:18
	ds_store_2addr_stride64_b32 v8, v20, v21 offset0:20 offset1:22
	ds_store_2addr_stride64_b32 v8, v26, v27 offset0:24 offset1:26
	ds_store_2addr_stride64_b32 v8, v28, v29 offset0:28 offset1:30
	v_add_nc_u32_e32 v8, 0x2000, v8
	s_and_not1_b32 exec_lo, exec_lo, s24
	s_cbranch_execnz .LBB62_36
; %bb.37:
	s_or_b32 exec_lo, exec_lo, s24
.LBB62_38:
	s_delay_alu instid0(SALU_CYCLE_1) | instskip(NEXT) | instid1(VALU_DEP_1)
	s_or_b32 exec_lo, exec_lo, s3
	v_and_b32_e32 v5, 7, v5
	s_mov_b32 s24, 0
	s_mov_b32 s3, exec_lo
	s_delay_alu instid0(VALU_DEP_1)
	v_cmpx_ne_u32_e32 0, v5
	s_cbranch_execz .LBB62_41
; %bb.39:
	v_dual_lshlrev_b32 v7, 9, v9 :: v_dual_lshlrev_b32 v8, 2, v0
	s_delay_alu instid0(VALU_DEP_1)
	v_add3_u32 v7, v7, v8, 0x220
.LBB62_40:                              ; =>This Inner Loop Header: Depth=1
	ds_load_2addr_stride64_b32 v[8:9], v7 offset1:2
	v_add_nc_u32_e32 v5, -1, v5
	s_delay_alu instid0(VALU_DEP_1)
	v_cmp_eq_u32_e32 vcc_lo, 0, v5
	s_or_b32 s24, vcc_lo, s24
	s_wait_dscnt 0x0
	v_pk_mul_f32 v[8:9], v[2:3], v[8:9]
	ds_store_2addr_stride64_b32 v7, v8, v9 offset1:2
	v_add_nc_u32_e32 v7, 0x400, v7
	s_and_not1_b32 exec_lo, exec_lo, s24
	s_cbranch_execnz .LBB62_40
.LBB62_41:
	s_or_b32 exec_lo, exec_lo, s3
	v_add_nc_u32_e32 v3, 1, v4
	s_delay_alu instid0(VALU_DEP_1) | instskip(NEXT) | instid1(VALU_DEP_1)
	v_and_b32_e32 v4, 0x3fffffe, v3
	v_cmp_ne_u32_e32 vcc_lo, v3, v4
	v_lshl_add_u32 v3, v4, 7, v0
	s_or_not1_b32 s3, vcc_lo, exec_lo
.LBB62_42:
	s_or_b32 exec_lo, exec_lo, s1
	s_delay_alu instid0(SALU_CYCLE_1)
	s_and_b32 exec_lo, exec_lo, s3
	s_cbranch_execz .LBB62_45
; %bb.43:
	v_lshl_add_u32 v4, v3, 2, 0x220
	s_mov_b32 s1, 0
.LBB62_44:                              ; =>This Inner Loop Header: Depth=1
	ds_load_b32 v5, v4
	v_add_nc_u32_e32 v3, 0x80, v3
	s_delay_alu instid0(VALU_DEP_1)
	v_cmp_le_i32_e32 vcc_lo, s15, v3
	s_or_b32 s1, vcc_lo, s1
	s_wait_dscnt 0x0
	v_mul_f32_e32 v5, v2, v5
	ds_store_b32 v4, v5
	v_add_nc_u32_e32 v4, 0x200, v4
	s_and_not1_b32 exec_lo, exec_lo, s1
	s_cbranch_execnz .LBB62_44
.LBB62_45:
	s_or_b32 exec_lo, exec_lo, s0
	v_mov_b64_e32 v[10:11], 0
	v_mov_b64_e32 v[8:9], 0
	;; [unrolled: 1-line block ×4, first 2 shown]
	s_wait_dscnt 0x0
	s_barrier_signal -1
	s_barrier_wait -1
	s_and_saveexec_b32 s1, s2
	s_cbranch_execz .LBB62_67
; %bb.46:
	s_abs_i32 s10, s10
	v_dual_mov_b32 v7, 0 :: v_dual_lshlrev_b32 v2, 4, v24
	s_cvt_f32_u32 s0, s10
	s_ashr_i32 s15, s14, 31
	v_and_b32_e32 v4, 0x7c, v1
	s_lshl_b64 s[20:21], s[20:21], 2
	v_rcp_iflag_f32_e32 v3, s0
	s_lshl_b64 s[14:15], s[14:15], 1
	s_add_nc_u64 s[18:19], s[18:19], s[20:21]
	s_wait_kmcnt 0x0
	s_add_nc_u64 s[14:15], s[22:23], s[14:15]
	s_sub_co_i32 s24, s8, s9
	s_sub_co_i32 s8, 0, s10
	v_mov_b32_e32 v5, v7
	v_readfirstlane_b32 s0, v3
	v_mov_b32_e32 v3, v7
	v_mov_b64_e32 v[12:13], 0
	v_mov_b64_e32 v[14:15], 0
	;; [unrolled: 1-line block ×3, first 2 shown]
	s_mul_f32 s0, s0, 0x4f7ffffe
	v_add_nc_u64_e32 v[16:17], s[14:15], v[2:3]
	v_add_nc_u64_e32 v[18:19], s[18:19], v[4:5]
	v_mov_b64_e32 v[10:11], 0
	s_cvt_u32_f32 s0, s0
	v_lshl_add_u32 v25, v23, 5, 0x220
	v_mov_b32_e32 v26, v23
	s_mov_b32 s9, 0
	s_mul_i32 s8, s8, s0
	s_ashr_i32 s3, s13, 31
	s_mul_hi_u32 s8, s0, s8
	s_mov_b32 s2, s13
	s_add_co_i32 s13, s34, -1
	s_mov_b32 s14, s31
	s_add_co_i32 s8, s0, s8
	s_mov_b32 s15, s9
	s_branch .LBB62_49
.LBB62_47:                              ;   in Loop: Header=BB62_49 Depth=1
	s_or_b32 exec_lo, exec_lo, s0
	v_dual_add_f32 v22, v22, v34 :: v_dual_lshlrev_b32 v20, 16, v20
	v_dual_add_f32 v27, v49, v50 :: v_dual_lshlrev_b32 v1, 16, v1
	s_delay_alu instid0(VALU_DEP_2) | instskip(NEXT) | instid1(VALU_DEP_3)
	v_dual_add_f32 v10, v10, v22 :: v_dual_lshlrev_b32 v21, 16, v21
	v_and_or_b32 v2, 0xffff, v2, v20
	s_delay_alu instid0(VALU_DEP_3) | instskip(NEXT) | instid1(VALU_DEP_4)
	v_dual_add_f32 v22, v47, v48 :: v_dual_add_f32 v9, v9, v27
	v_and_or_b32 v3, 0xffff, v3, v1
	s_delay_alu instid0(VALU_DEP_4)
	v_and_or_b32 v4, 0xffff, v4, v21
	v_add_f32_e32 v1, v45, v46
	;;#ASMSTART
	v_pk_mul_f16 v2, v36, v2;

	;;#ASMEND
	;;#ASMSTART
	v_pk_mul_f16 v3, v35, v3;

	;;#ASMEND
	;; [unrolled: 4-line block ×4, first 2 shown]
	;;#ASMSTART
	v_pk_add_f16 v2, v2, v3;

	;;#ASMEND
	;;#ASMSTART
	v_pk_add_f16 v2, v2, v4;

	;;#ASMEND
	;;#ASMSTART
	v_pk_add_f16 v2, v2, v5;

	;;#ASMEND
	v_and_b32_e32 v5, 0xffff, v2
	v_dual_add_f32 v4, v39, v40 :: v_dual_lshrrev_b32 v20, 16, v2
	v_add_f32_e32 v15, v15, v1
	;;#ASMSTART
	v_cvt_f32_f16 v5, v5;
	;;#ASMEND
	v_dual_add_f32 v8, v8, v22 :: v_dual_add_f32 v2, v43, v44
	s_delay_alu instid0(VALU_DEP_3) | instskip(SKIP_1) | instid1(VALU_DEP_2)
	v_dual_add_f32 v3, v41, v42 :: v_dual_add_f32 v12, v12, v4
	;;#ASMSTART
	v_cvt_f32_f16 v20, v20;
	;;#ASMEND
	v_dual_add_f32 v5, v5, v20 :: v_dual_add_f32 v14, v14, v2
	s_delay_alu instid0(VALU_DEP_1)
	v_dual_add_f32 v13, v13, v3 :: v_dual_add_f32 v11, v11, v5
.LBB62_48:                              ;   in Loop: Header=BB62_49 Depth=1
	s_or_b32 exec_lo, exec_lo, s18
	v_add_nc_u32_e32 v26, 4, v26
	v_add_nc_u64_e32 v[18:19], 16, v[18:19]
	v_add_nc_u32_e32 v6, 32, v6
	v_add_nc_u32_e32 v25, 0x80, v25
	s_delay_alu instid0(VALU_DEP_4) | instskip(SKIP_1) | instid1(SALU_CYCLE_1)
	v_cmp_le_i32_e32 vcc_lo, s34, v26
	s_or_b32 s15, vcc_lo, s15
	s_and_not1_b32 exec_lo, exec_lo, s15
	s_cbranch_execz .LBB62_66
.LBB62_49:                              ; =>This Inner Loop Header: Depth=1
	v_mul_u64_e32 v[2:3], s[16:17], v[6:7]
	s_delay_alu instid0(VALU_DEP_1) | instskip(NEXT) | instid1(VALU_DEP_1)
	v_mul_lo_u32 v1, v3, s12
	v_dual_add_nc_u32 v2, 1, v3 :: v_dual_sub_nc_u32 v1, v6, v1
	s_delay_alu instid0(VALU_DEP_1) | instskip(SKIP_1) | instid1(VALU_DEP_2)
	v_subrev_nc_u32_e32 v4, s12, v1
	v_cmp_le_u32_e32 vcc_lo, s12, v1
	v_dual_cndmask_b32 v2, v3, v2 :: v_dual_cndmask_b32 v1, v1, v4
	s_delay_alu instid0(VALU_DEP_1) | instskip(NEXT) | instid1(VALU_DEP_2)
	v_add_nc_u32_e32 v3, 1, v2
	v_cmp_le_u32_e32 vcc_lo, s12, v1
	s_delay_alu instid0(VALU_DEP_2) | instskip(NEXT) | instid1(VALU_DEP_1)
	v_dual_cndmask_b32 v1, v2, v3, vcc_lo :: v_dual_mov_b32 v3, v7
	v_xor_b32_e32 v1, s11, v1
	s_delay_alu instid0(VALU_DEP_1) | instskip(NEXT) | instid1(VALU_DEP_1)
	v_subrev_nc_u32_e32 v1, s11, v1
	v_add_nc_u32_e32 v20, s33, v1
	v_cmp_lt_i32_e64 s0, s24, v1
	s_delay_alu instid0(VALU_DEP_2) | instskip(NEXT) | instid1(VALU_DEP_1)
	v_sub_nc_u32_e32 v2, 0, v20
	v_max_i32_e32 v2, v20, v2
	s_delay_alu instid0(VALU_DEP_1) | instskip(SKIP_1) | instid1(VALU_DEP_2)
	v_mul_u64_e32 v[4:5], s[8:9], v[2:3]
	v_ashrrev_i32_e32 v4, 31, v20
	v_mul_lo_u32 v3, v5, s10
	s_delay_alu instid0(VALU_DEP_1) | instskip(NEXT) | instid1(VALU_DEP_1)
	v_sub_nc_u32_e32 v2, v2, v3
	v_subrev_nc_u32_e32 v3, s10, v2
	v_cmp_le_u32_e32 vcc_lo, s10, v2
	s_delay_alu instid0(VALU_DEP_2) | instskip(NEXT) | instid1(VALU_DEP_1)
	v_cndmask_b32_e32 v2, v2, v3, vcc_lo
	v_subrev_nc_u32_e32 v3, s10, v2
	v_cmp_le_u32_e32 vcc_lo, s10, v2
	s_delay_alu instid0(VALU_DEP_2) | instskip(NEXT) | instid1(VALU_DEP_1)
	v_cndmask_b32_e32 v2, v2, v3, vcc_lo
	v_xor_b32_e32 v2, v2, v4
	s_delay_alu instid0(VALU_DEP_1) | instskip(NEXT) | instid1(VALU_DEP_1)
	v_sub_nc_u32_e32 v2, v2, v4
	v_cmp_eq_u32_e32 vcc_lo, 0, v2
	s_or_b32 s0, vcc_lo, s0
	s_delay_alu instid0(SALU_CYCLE_1)
	s_and_saveexec_b32 s18, s0
	s_cbranch_execz .LBB62_48
; %bb.50:                               ;   in Loop: Header=BB62_49 Depth=1
	global_load_b32 v2, v[18:19], off
	v_cmp_eq_u32_e32 vcc_lo, s13, v26
	v_dual_add_nc_u32 v32, 2, v6 :: v_dual_add_nc_u32 v27, 5, v6
	v_or_b32_e32 v33, 3, v6
	s_wait_loadcnt 0x0
	v_ashrrev_i32_e32 v3, 31, v2
	s_delay_alu instid0(VALU_DEP_1)
	v_mul_u64_e32 v[20:21], s[2:3], v[2:3]
	ds_load_2addr_b64 v[2:5], v25 offset1:1
	ds_load_2addr_b64 v[28:31], v25 offset0:2 offset1:3
	s_wait_dscnt 0x1
	;;#ASMSTART
	v_cvt_f16_f32 v36, v2;

	;;#ASMEND
	;;#ASMSTART
	v_cvt_f16_f32 v35, v3;

	;;#ASMEND
	;; [unrolled: 4-line block ×4, first 2 shown]
	s_wait_dscnt 0x0
	;;#ASMSTART
	v_cvt_f16_f32 v42, v28;

	;;#ASMEND
	;;#ASMSTART
	v_cvt_f16_f32 v37, v29;

	;;#ASMEND
	;; [unrolled: 4-line block ×4, first 2 shown]
	v_dual_add_nc_u32 v28, 4, v6 :: v_dual_add_nc_u32 v30, 6, v6
	v_dual_add_nc_u32 v29, 7, v6 :: v_dual_bitop2_b32 v31, 1, v6 bitop3:0x54
	v_lshl_add_u64 v[20:21], v[20:21], 1, v[16:17]
	global_load_b128 v[2:5], v[20:21], off
	s_wait_loadcnt 0x0
	v_dual_lshrrev_b32 v1, 16, v3 :: v_dual_lshrrev_b32 v34, 16, v4
	v_lshrrev_b32_e32 v22, 16, v2
	s_and_saveexec_b32 s19, vcc_lo
	s_cbranch_execz .LBB62_52
; %bb.51:                               ;   in Loop: Header=BB62_49 Depth=1
	v_cmp_gt_i32_e64 s0, s31, v6
	v_and_b32_e32 v43, 0xffff, v5
	v_and_b32_e32 v5, 0xffff0000, v5
	s_delay_alu instid0(VALU_DEP_3) | instskip(SKIP_1) | instid1(VALU_DEP_1)
	v_cndmask_b32_e64 v2, 0, v2, s0
	v_cmp_gt_i32_e64 s0, s31, v32
	v_cndmask_b32_e64 v3, 0, v3, s0
	v_cmp_gt_i32_e64 s0, s14, v33
	s_delay_alu instid0(VALU_DEP_1) | instskip(SKIP_1) | instid1(VALU_DEP_1)
	v_cndmask_b32_e64 v1, 0, v1, s0
	v_cmp_gt_i32_e64 s0, s31, v31
	v_cndmask_b32_e64 v22, 0, v22, s0
	v_cmp_gt_i32_e64 s0, s31, v30
	s_delay_alu instid0(VALU_DEP_1) | instskip(SKIP_1) | instid1(VALU_DEP_1)
	;; [unrolled: 5-line block ×3, first 2 shown]
	v_dual_cndmask_b32 v4, 0, v4, s0 :: v_dual_bitop2_b32 v5, v43, v5 bitop3:0x54
	v_cmp_gt_i32_e64 s0, s31, v27
	v_cndmask_b32_e64 v34, 0, v34, s0
.LBB62_52:                              ;   in Loop: Header=BB62_49 Depth=1
	s_or_b32 exec_lo, exec_lo, s19
	v_and_b32_e32 v36, 0xffff, v36
	v_and_b32_e32 v41, 0xffff, v41
	v_dual_lshlrev_b32 v22, 16, v22 :: v_dual_lshlrev_b32 v1, 16, v1
	v_lshlrev_b32_e32 v34, 16, v34
	v_and_b32_e32 v42, 0xffff, v42
	v_lshl_or_b32 v36, v35, 16, v36
	v_lshl_or_b32 v35, v39, 16, v41
	v_and_b32_e32 v39, 0xffff, v40
	v_and_or_b32 v2, 0xffff, v2, v22
	v_and_or_b32 v1, 0xffff, v3, v1
	;; [unrolled: 1-line block ×3, first 2 shown]
	;;#ASMSTART
	v_pk_mul_f16 v2, v36, v2;

	;;#ASMEND
	;;#ASMSTART
	v_pk_mul_f16 v1, v35, v1;

	;;#ASMEND
	v_lshl_or_b32 v37, v37, 16, v42
	v_lshl_or_b32 v38, v38, 16, v39
	;;#ASMSTART
	v_pk_mul_f16 v3, v37, v3;

	;;#ASMEND
	;;#ASMSTART
	v_pk_mul_f16 v4, v38, v5;

	;;#ASMEND
	;;#ASMSTART
	v_pk_add_f16 v1, v2, v1;

	;;#ASMEND
	;;#ASMSTART
	v_pk_add_f16 v1, v1, v3;
	;; [unrolled: 4-line block ×3, first 2 shown]

	;;#ASMEND
	v_and_b32_e32 v2, 0xffff, v1
	v_lshrrev_b32_e32 v1, 16, v1
	;;#ASMSTART
	v_cvt_f32_f16 v39, v2;
	;;#ASMEND
	;;#ASMSTART
	v_cvt_f32_f16 v40, v1;
	;;#ASMEND
	global_load_b128 v[2:5], v[20:21], off offset:512
	s_wait_loadcnt 0x0
	v_dual_lshrrev_b32 v1, 16, v3 :: v_dual_lshrrev_b32 v22, 16, v2
	v_lshrrev_b32_e32 v34, 16, v4
	s_and_saveexec_b32 s19, vcc_lo
	s_cbranch_execz .LBB62_54
; %bb.53:                               ;   in Loop: Header=BB62_49 Depth=1
	v_cmp_gt_i32_e64 s0, s31, v6
	v_and_b32_e32 v41, 0xffff, v5
	v_and_b32_e32 v5, 0xffff0000, v5
	s_delay_alu instid0(VALU_DEP_3) | instskip(SKIP_1) | instid1(VALU_DEP_1)
	v_cndmask_b32_e64 v2, 0, v2, s0
	v_cmp_gt_i32_e64 s0, s31, v32
	v_cndmask_b32_e64 v3, 0, v3, s0
	v_cmp_gt_i32_e64 s0, s14, v33
	s_delay_alu instid0(VALU_DEP_1) | instskip(SKIP_1) | instid1(VALU_DEP_1)
	v_cndmask_b32_e64 v1, 0, v1, s0
	v_cmp_gt_i32_e64 s0, s31, v31
	v_cndmask_b32_e64 v22, 0, v22, s0
	v_cmp_gt_i32_e64 s0, s31, v30
	s_delay_alu instid0(VALU_DEP_1) | instskip(SKIP_1) | instid1(VALU_DEP_1)
	;; [unrolled: 5-line block ×3, first 2 shown]
	v_cndmask_b32_e64 v4, 0, v4, s0
	v_cmp_gt_i32_e64 s0, s31, v27
	v_dual_cndmask_b32 v34, 0, v34, s0 :: v_dual_bitop2_b32 v5, v41, v5 bitop3:0x54
.LBB62_54:                              ;   in Loop: Header=BB62_49 Depth=1
	s_or_b32 exec_lo, exec_lo, s19
	v_dual_lshlrev_b32 v22, 16, v22 :: v_dual_lshlrev_b32 v1, 16, v1
	s_delay_alu instid0(VALU_DEP_2) | instskip(NEXT) | instid1(VALU_DEP_2)
	v_lshlrev_b32_e32 v34, 16, v34
	v_and_or_b32 v2, 0xffff, v2, v22
	s_delay_alu instid0(VALU_DEP_3) | instskip(NEXT) | instid1(VALU_DEP_3)
	v_and_or_b32 v1, 0xffff, v3, v1
	v_and_or_b32 v3, 0xffff, v4, v34
	;;#ASMSTART
	v_pk_mul_f16 v2, v36, v2;

	;;#ASMEND
	;;#ASMSTART
	v_pk_mul_f16 v1, v35, v1;

	;;#ASMEND
	;; [unrolled: 4-line block ×4, first 2 shown]
	;;#ASMSTART
	v_pk_add_f16 v1, v2, v1;

	;;#ASMEND
	;;#ASMSTART
	v_pk_add_f16 v1, v1, v3;

	;;#ASMEND
	;;#ASMSTART
	v_pk_add_f16 v1, v1, v4;

	;;#ASMEND
	v_and_b32_e32 v2, 0xffff, v1
	v_lshrrev_b32_e32 v1, 16, v1
	;;#ASMSTART
	v_cvt_f32_f16 v41, v2;
	;;#ASMEND
	;;#ASMSTART
	v_cvt_f32_f16 v42, v1;
	;;#ASMEND
	global_load_b128 v[2:5], v[20:21], off offset:1024
	s_wait_loadcnt 0x0
	v_dual_lshrrev_b32 v1, 16, v3 :: v_dual_lshrrev_b32 v22, 16, v2
	v_lshrrev_b32_e32 v34, 16, v4
	s_and_saveexec_b32 s19, vcc_lo
	s_cbranch_execz .LBB62_56
; %bb.55:                               ;   in Loop: Header=BB62_49 Depth=1
	v_cmp_gt_i32_e64 s0, s31, v6
	v_and_b32_e32 v43, 0xffff, v5
	v_and_b32_e32 v5, 0xffff0000, v5
	s_delay_alu instid0(VALU_DEP_3) | instskip(SKIP_1) | instid1(VALU_DEP_1)
	v_cndmask_b32_e64 v2, 0, v2, s0
	v_cmp_gt_i32_e64 s0, s31, v32
	v_cndmask_b32_e64 v3, 0, v3, s0
	v_cmp_gt_i32_e64 s0, s14, v33
	s_delay_alu instid0(VALU_DEP_1) | instskip(SKIP_1) | instid1(VALU_DEP_1)
	v_cndmask_b32_e64 v1, 0, v1, s0
	v_cmp_gt_i32_e64 s0, s31, v31
	v_cndmask_b32_e64 v22, 0, v22, s0
	v_cmp_gt_i32_e64 s0, s31, v30
	s_delay_alu instid0(VALU_DEP_1) | instskip(SKIP_1) | instid1(VALU_DEP_1)
	;; [unrolled: 5-line block ×3, first 2 shown]
	v_dual_cndmask_b32 v4, 0, v4, s0 :: v_dual_bitop2_b32 v5, v43, v5 bitop3:0x54
	v_cmp_gt_i32_e64 s0, s31, v27
	v_cndmask_b32_e64 v34, 0, v34, s0
.LBB62_56:                              ;   in Loop: Header=BB62_49 Depth=1
	s_or_b32 exec_lo, exec_lo, s19
	v_dual_lshlrev_b32 v22, 16, v22 :: v_dual_lshlrev_b32 v1, 16, v1
	s_delay_alu instid0(VALU_DEP_2) | instskip(NEXT) | instid1(VALU_DEP_2)
	v_lshlrev_b32_e32 v34, 16, v34
	v_and_or_b32 v2, 0xffff, v2, v22
	s_delay_alu instid0(VALU_DEP_3) | instskip(NEXT) | instid1(VALU_DEP_3)
	v_and_or_b32 v1, 0xffff, v3, v1
	v_and_or_b32 v3, 0xffff, v4, v34
	;;#ASMSTART
	v_pk_mul_f16 v2, v36, v2;

	;;#ASMEND
	;;#ASMSTART
	v_pk_mul_f16 v1, v35, v1;

	;;#ASMEND
	;; [unrolled: 4-line block ×4, first 2 shown]
	;;#ASMSTART
	v_pk_add_f16 v1, v2, v1;

	;;#ASMEND
	;;#ASMSTART
	v_pk_add_f16 v1, v1, v3;

	;;#ASMEND
	;; [unrolled: 4-line block ×3, first 2 shown]
	v_and_b32_e32 v2, 0xffff, v1
	v_lshrrev_b32_e32 v1, 16, v1
	;;#ASMSTART
	v_cvt_f32_f16 v43, v2;
	;;#ASMEND
	;;#ASMSTART
	v_cvt_f32_f16 v44, v1;
	;;#ASMEND
	global_load_b128 v[2:5], v[20:21], off offset:1536
	s_wait_loadcnt 0x0
	v_dual_lshrrev_b32 v1, 16, v3 :: v_dual_lshrrev_b32 v22, 16, v2
	v_lshrrev_b32_e32 v34, 16, v4
	s_and_saveexec_b32 s19, vcc_lo
	s_cbranch_execz .LBB62_58
; %bb.57:                               ;   in Loop: Header=BB62_49 Depth=1
	v_cmp_gt_i32_e64 s0, s31, v6
	v_and_b32_e32 v45, 0xffff, v5
	v_and_b32_e32 v5, 0xffff0000, v5
	s_delay_alu instid0(VALU_DEP_3) | instskip(SKIP_1) | instid1(VALU_DEP_1)
	v_cndmask_b32_e64 v2, 0, v2, s0
	v_cmp_gt_i32_e64 s0, s31, v32
	v_cndmask_b32_e64 v3, 0, v3, s0
	v_cmp_gt_i32_e64 s0, s14, v33
	s_delay_alu instid0(VALU_DEP_1) | instskip(SKIP_1) | instid1(VALU_DEP_1)
	v_cndmask_b32_e64 v1, 0, v1, s0
	v_cmp_gt_i32_e64 s0, s31, v31
	v_cndmask_b32_e64 v22, 0, v22, s0
	v_cmp_gt_i32_e64 s0, s31, v30
	s_delay_alu instid0(VALU_DEP_1) | instskip(SKIP_1) | instid1(VALU_DEP_1)
	;; [unrolled: 5-line block ×3, first 2 shown]
	v_cndmask_b32_e64 v4, 0, v4, s0
	v_cmp_gt_i32_e64 s0, s31, v27
	v_dual_cndmask_b32 v34, 0, v34, s0 :: v_dual_bitop2_b32 v5, v45, v5 bitop3:0x54
.LBB62_58:                              ;   in Loop: Header=BB62_49 Depth=1
	s_or_b32 exec_lo, exec_lo, s19
	v_dual_lshlrev_b32 v22, 16, v22 :: v_dual_lshlrev_b32 v1, 16, v1
	s_delay_alu instid0(VALU_DEP_2) | instskip(NEXT) | instid1(VALU_DEP_2)
	v_lshlrev_b32_e32 v34, 16, v34
	v_and_or_b32 v2, 0xffff, v2, v22
	s_delay_alu instid0(VALU_DEP_3) | instskip(NEXT) | instid1(VALU_DEP_3)
	v_and_or_b32 v1, 0xffff, v3, v1
	v_and_or_b32 v3, 0xffff, v4, v34
	;;#ASMSTART
	v_pk_mul_f16 v2, v36, v2;

	;;#ASMEND
	;;#ASMSTART
	v_pk_mul_f16 v1, v35, v1;

	;;#ASMEND
	;; [unrolled: 4-line block ×4, first 2 shown]
	;;#ASMSTART
	v_pk_add_f16 v1, v2, v1;

	;;#ASMEND
	;;#ASMSTART
	v_pk_add_f16 v1, v1, v3;

	;;#ASMEND
	;; [unrolled: 4-line block ×3, first 2 shown]
	v_and_b32_e32 v2, 0xffff, v1
	v_lshrrev_b32_e32 v1, 16, v1
	;;#ASMSTART
	v_cvt_f32_f16 v45, v2;
	;;#ASMEND
	;;#ASMSTART
	v_cvt_f32_f16 v46, v1;
	;;#ASMEND
	global_load_b128 v[2:5], v[20:21], off offset:2048
	s_wait_loadcnt 0x0
	v_dual_lshrrev_b32 v1, 16, v3 :: v_dual_lshrrev_b32 v22, 16, v2
	v_lshrrev_b32_e32 v34, 16, v4
	s_and_saveexec_b32 s19, vcc_lo
	s_cbranch_execz .LBB62_60
; %bb.59:                               ;   in Loop: Header=BB62_49 Depth=1
	v_cmp_gt_i32_e64 s0, s31, v6
	v_and_b32_e32 v47, 0xffff, v5
	v_and_b32_e32 v5, 0xffff0000, v5
	s_delay_alu instid0(VALU_DEP_3) | instskip(SKIP_1) | instid1(VALU_DEP_1)
	v_cndmask_b32_e64 v2, 0, v2, s0
	v_cmp_gt_i32_e64 s0, s31, v32
	v_cndmask_b32_e64 v3, 0, v3, s0
	v_cmp_gt_i32_e64 s0, s14, v33
	s_delay_alu instid0(VALU_DEP_1) | instskip(SKIP_1) | instid1(VALU_DEP_1)
	v_cndmask_b32_e64 v1, 0, v1, s0
	v_cmp_gt_i32_e64 s0, s31, v31
	v_cndmask_b32_e64 v22, 0, v22, s0
	v_cmp_gt_i32_e64 s0, s31, v30
	s_delay_alu instid0(VALU_DEP_1) | instskip(SKIP_1) | instid1(VALU_DEP_1)
	;; [unrolled: 5-line block ×3, first 2 shown]
	v_dual_cndmask_b32 v4, 0, v4, s0 :: v_dual_bitop2_b32 v5, v47, v5 bitop3:0x54
	v_cmp_gt_i32_e64 s0, s31, v27
	v_cndmask_b32_e64 v34, 0, v34, s0
.LBB62_60:                              ;   in Loop: Header=BB62_49 Depth=1
	s_or_b32 exec_lo, exec_lo, s19
	v_dual_lshlrev_b32 v22, 16, v22 :: v_dual_lshlrev_b32 v1, 16, v1
	s_delay_alu instid0(VALU_DEP_2) | instskip(NEXT) | instid1(VALU_DEP_2)
	v_lshlrev_b32_e32 v34, 16, v34
	v_and_or_b32 v2, 0xffff, v2, v22
	s_delay_alu instid0(VALU_DEP_3) | instskip(NEXT) | instid1(VALU_DEP_3)
	v_and_or_b32 v1, 0xffff, v3, v1
	v_and_or_b32 v3, 0xffff, v4, v34
	;;#ASMSTART
	v_pk_mul_f16 v2, v36, v2;

	;;#ASMEND
	;;#ASMSTART
	v_pk_mul_f16 v1, v35, v1;

	;;#ASMEND
	;; [unrolled: 4-line block ×4, first 2 shown]
	;;#ASMSTART
	v_pk_add_f16 v1, v2, v1;

	;;#ASMEND
	;;#ASMSTART
	v_pk_add_f16 v1, v1, v3;

	;;#ASMEND
	;;#ASMSTART
	v_pk_add_f16 v1, v1, v4;

	;;#ASMEND
	v_and_b32_e32 v2, 0xffff, v1
	v_lshrrev_b32_e32 v1, 16, v1
	;;#ASMSTART
	v_cvt_f32_f16 v47, v2;
	;;#ASMEND
	;;#ASMSTART
	v_cvt_f32_f16 v48, v1;
	;;#ASMEND
	global_load_b128 v[2:5], v[20:21], off offset:2560
	s_wait_loadcnt 0x0
	v_dual_lshrrev_b32 v1, 16, v3 :: v_dual_lshrrev_b32 v22, 16, v2
	v_lshrrev_b32_e32 v34, 16, v4
	s_and_saveexec_b32 s19, vcc_lo
	s_cbranch_execz .LBB62_62
; %bb.61:                               ;   in Loop: Header=BB62_49 Depth=1
	v_cmp_gt_i32_e64 s0, s31, v6
	v_and_b32_e32 v49, 0xffff, v5
	v_and_b32_e32 v5, 0xffff0000, v5
	s_delay_alu instid0(VALU_DEP_3) | instskip(SKIP_1) | instid1(VALU_DEP_1)
	v_cndmask_b32_e64 v2, 0, v2, s0
	v_cmp_gt_i32_e64 s0, s31, v32
	v_cndmask_b32_e64 v3, 0, v3, s0
	v_cmp_gt_i32_e64 s0, s14, v33
	s_delay_alu instid0(VALU_DEP_1) | instskip(SKIP_1) | instid1(VALU_DEP_1)
	v_cndmask_b32_e64 v1, 0, v1, s0
	v_cmp_gt_i32_e64 s0, s31, v31
	v_cndmask_b32_e64 v22, 0, v22, s0
	v_cmp_gt_i32_e64 s0, s31, v30
	s_delay_alu instid0(VALU_DEP_1) | instskip(SKIP_1) | instid1(VALU_DEP_1)
	v_cndmask_b32_e64 v49, 0, v49, s0
	v_cmp_gt_i32_e64 s0, s31, v29
	v_cndmask_b32_e64 v5, 0, v5, s0
	v_cmp_gt_i32_e64 s0, s31, v28
	s_delay_alu instid0(VALU_DEP_1) | instskip(SKIP_1) | instid1(VALU_DEP_1)
	v_cndmask_b32_e64 v4, 0, v4, s0
	v_cmp_gt_i32_e64 s0, s31, v27
	v_dual_cndmask_b32 v34, 0, v34, s0 :: v_dual_bitop2_b32 v5, v49, v5 bitop3:0x54
.LBB62_62:                              ;   in Loop: Header=BB62_49 Depth=1
	s_or_b32 exec_lo, exec_lo, s19
	v_dual_lshlrev_b32 v22, 16, v22 :: v_dual_lshlrev_b32 v1, 16, v1
	s_delay_alu instid0(VALU_DEP_2) | instskip(NEXT) | instid1(VALU_DEP_2)
	v_lshlrev_b32_e32 v34, 16, v34
	v_and_or_b32 v2, 0xffff, v2, v22
	s_delay_alu instid0(VALU_DEP_3) | instskip(NEXT) | instid1(VALU_DEP_3)
	v_and_or_b32 v1, 0xffff, v3, v1
	v_and_or_b32 v3, 0xffff, v4, v34
	;;#ASMSTART
	v_pk_mul_f16 v2, v36, v2;

	;;#ASMEND
	;;#ASMSTART
	v_pk_mul_f16 v1, v35, v1;

	;;#ASMEND
	;; [unrolled: 4-line block ×4, first 2 shown]
	;;#ASMSTART
	v_pk_add_f16 v1, v2, v1;

	;;#ASMEND
	;;#ASMSTART
	v_pk_add_f16 v1, v1, v3;

	;;#ASMEND
	;; [unrolled: 4-line block ×3, first 2 shown]
	v_and_b32_e32 v2, 0xffff, v1
	v_lshrrev_b32_e32 v1, 16, v1
	;;#ASMSTART
	v_cvt_f32_f16 v49, v2;
	;;#ASMEND
	;;#ASMSTART
	v_cvt_f32_f16 v50, v1;
	;;#ASMEND
	global_load_b128 v[2:5], v[20:21], off offset:3072
	s_wait_loadcnt 0x0
	v_dual_lshrrev_b32 v1, 16, v3 :: v_dual_lshrrev_b32 v22, 16, v2
	v_lshrrev_b32_e32 v34, 16, v4
	s_and_saveexec_b32 s19, vcc_lo
	s_cbranch_execz .LBB62_64
; %bb.63:                               ;   in Loop: Header=BB62_49 Depth=1
	v_cmp_gt_i32_e64 s0, s31, v6
	v_and_b32_e32 v51, 0xffff, v5
	v_and_b32_e32 v5, 0xffff0000, v5
	s_delay_alu instid0(VALU_DEP_3) | instskip(SKIP_1) | instid1(VALU_DEP_1)
	v_cndmask_b32_e64 v2, 0, v2, s0
	v_cmp_gt_i32_e64 s0, s31, v32
	v_cndmask_b32_e64 v3, 0, v3, s0
	v_cmp_gt_i32_e64 s0, s14, v33
	s_delay_alu instid0(VALU_DEP_1) | instskip(SKIP_1) | instid1(VALU_DEP_1)
	v_cndmask_b32_e64 v1, 0, v1, s0
	v_cmp_gt_i32_e64 s0, s31, v31
	v_cndmask_b32_e64 v22, 0, v22, s0
	v_cmp_gt_i32_e64 s0, s31, v30
	s_delay_alu instid0(VALU_DEP_1) | instskip(SKIP_1) | instid1(VALU_DEP_1)
	v_cndmask_b32_e64 v51, 0, v51, s0
	v_cmp_gt_i32_e64 s0, s31, v29
	v_cndmask_b32_e64 v5, 0, v5, s0
	v_cmp_gt_i32_e64 s0, s31, v28
	s_delay_alu instid0(VALU_DEP_1) | instskip(SKIP_1) | instid1(VALU_DEP_1)
	v_dual_cndmask_b32 v4, 0, v4, s0 :: v_dual_bitop2_b32 v5, v51, v5 bitop3:0x54
	v_cmp_gt_i32_e64 s0, s31, v27
	v_cndmask_b32_e64 v34, 0, v34, s0
.LBB62_64:                              ;   in Loop: Header=BB62_49 Depth=1
	s_or_b32 exec_lo, exec_lo, s19
	v_dual_lshlrev_b32 v22, 16, v22 :: v_dual_lshlrev_b32 v1, 16, v1
	s_delay_alu instid0(VALU_DEP_2) | instskip(NEXT) | instid1(VALU_DEP_2)
	v_lshlrev_b32_e32 v34, 16, v34
	v_and_or_b32 v2, 0xffff, v2, v22
	s_delay_alu instid0(VALU_DEP_3) | instskip(NEXT) | instid1(VALU_DEP_3)
	v_and_or_b32 v1, 0xffff, v3, v1
	v_and_or_b32 v3, 0xffff, v4, v34
	;;#ASMSTART
	v_pk_mul_f16 v2, v36, v2;

	;;#ASMEND
	;;#ASMSTART
	v_pk_mul_f16 v1, v35, v1;

	;;#ASMEND
	;; [unrolled: 4-line block ×4, first 2 shown]
	;;#ASMSTART
	v_pk_add_f16 v1, v2, v1;

	;;#ASMEND
	;;#ASMSTART
	v_pk_add_f16 v1, v1, v3;

	;;#ASMEND
	;; [unrolled: 4-line block ×3, first 2 shown]
	v_and_b32_e32 v2, 0xffff, v1
	v_lshrrev_b32_e32 v1, 16, v1
	;;#ASMSTART
	v_cvt_f32_f16 v22, v2;
	;;#ASMEND
	;;#ASMSTART
	v_cvt_f32_f16 v34, v1;
	;;#ASMEND
	global_load_b128 v[2:5], v[20:21], off offset:3584
	s_wait_loadcnt 0x0
	v_dual_lshrrev_b32 v1, 16, v3 :: v_dual_lshrrev_b32 v20, 16, v2
	v_lshrrev_b32_e32 v21, 16, v4
	s_and_saveexec_b32 s0, vcc_lo
	s_cbranch_execz .LBB62_47
; %bb.65:                               ;   in Loop: Header=BB62_49 Depth=1
	v_cmp_gt_i32_e32 vcc_lo, s31, v6
	v_cndmask_b32_e32 v2, 0, v2, vcc_lo
	v_cmp_gt_i32_e32 vcc_lo, s31, v32
	v_and_b32_e32 v32, 0xffff, v5
	v_and_b32_e32 v5, 0xffff0000, v5
	v_cndmask_b32_e32 v3, 0, v3, vcc_lo
	v_cmp_gt_i32_e32 vcc_lo, s14, v33
	v_cndmask_b32_e32 v1, 0, v1, vcc_lo
	v_cmp_gt_i32_e32 vcc_lo, s31, v31
	;; [unrolled: 2-line block ×5, first 2 shown]
	s_delay_alu instid0(VALU_DEP_2)
	v_dual_cndmask_b32 v4, 0, v4, vcc_lo :: v_dual_bitop2_b32 v5, v30, v5 bitop3:0x54
	v_cmp_gt_i32_e32 vcc_lo, s31, v27
	v_cndmask_b32_e32 v21, 0, v21, vcc_lo
	s_branch .LBB62_47
.LBB62_66:
	s_or_b32 exec_lo, exec_lo, s15
.LBB62_67:
	s_delay_alu instid0(SALU_CYCLE_1) | instskip(SKIP_4) | instid1(VALU_DEP_2)
	s_or_b32 exec_lo, exec_lo, s1
	v_lshl_add_u32 v2, v24, 2, 0x220
	v_and_b32_e32 v3, 0x3c0, v0
	s_mov_b32 s0, exec_lo
	s_barrier_signal -1
	v_lshl_add_u32 v1, v23, 10, v2
	s_barrier_wait -1
	v_cmpx_eq_u32_e32 64, v3
	s_cbranch_execz .LBB62_69
; %bb.68:
	s_delay_alu instid0(VALU_DEP_2)
	v_add_nc_u32_e32 v3, 0xfffff800, v1
	v_add_nc_u32_e32 v4, 0xfffff880, v1
	;; [unrolled: 1-line block ×8, first 2 shown]
	ds_store_b32 v3, v12
	ds_store_b32 v4, v13
	;; [unrolled: 1-line block ×8, first 2 shown]
.LBB62_69:
	s_or_b32 exec_lo, exec_lo, s0
	s_delay_alu instid0(SALU_CYCLE_1)
	s_mov_b32 s0, exec_lo
	s_wait_dscnt 0x0
	s_barrier_signal -1
	s_barrier_wait -1
	v_cmpx_gt_u32_e32 64, v0
	s_cbranch_execz .LBB62_71
; %bb.70:
	ds_load_2addr_b32 v[4:5], v1 offset1:32
	ds_load_2addr_b32 v[6:7], v1 offset0:64 offset1:96
	ds_load_2addr_b32 v[16:17], v1 offset0:128 offset1:160
	ds_load_2addr_b32 v[18:19], v1 offset0:192 offset1:224
	s_wait_dscnt 0x3
	v_pk_add_f32 v[12:13], v[12:13], v[4:5]
	s_wait_dscnt 0x2
	v_pk_add_f32 v[14:15], v[14:15], v[6:7]
	;; [unrolled: 2-line block ×4, first 2 shown]
.LBB62_71:
	s_or_b32 exec_lo, exec_lo, s0
	v_and_b32_e32 v3, 0x3e0, v0
	s_mov_b32 s0, exec_lo
	s_barrier_signal -1
	s_barrier_wait -1
	s_delay_alu instid0(VALU_DEP_1)
	v_cmpx_eq_u32_e32 32, v3
	s_cbranch_execz .LBB62_73
; %bb.72:
	ds_store_2addr_b32 v2, v12, v13 offset1:32
	ds_store_2addr_b32 v2, v14, v15 offset0:64 offset1:96
	ds_store_2addr_b32 v2, v8, v9 offset0:128 offset1:160
	ds_store_2addr_b32 v2, v10, v11 offset0:192 offset1:224
.LBB62_73:
	s_or_b32 exec_lo, exec_lo, s0
	v_cmp_gt_u32_e32 vcc_lo, 32, v0
	s_wait_dscnt 0x0
	s_barrier_signal -1
	s_barrier_wait -1
	s_and_saveexec_b32 s0, vcc_lo
	s_cbranch_execz .LBB62_75
; %bb.74:
	ds_load_2addr_b32 v[2:3], v1 offset1:32
	ds_load_2addr_b32 v[4:5], v1 offset0:64 offset1:96
	ds_load_2addr_b32 v[6:7], v1 offset0:128 offset1:160
	;; [unrolled: 1-line block ×3, first 2 shown]
	s_wait_dscnt 0x3
	v_pk_add_f32 v[12:13], v[12:13], v[2:3]
	s_wait_dscnt 0x2
	v_pk_add_f32 v[14:15], v[14:15], v[4:5]
	;; [unrolled: 2-line block ×4, first 2 shown]
.LBB62_75:
	s_or_b32 exec_lo, exec_lo, s0
	s_barrier_signal -1
	s_barrier_wait -1
	s_and_saveexec_b32 s0, vcc_lo
	s_cbranch_execz .LBB62_77
; %bb.76:
	s_mul_i32 s1, s30, s7
	s_mul_i32 s0, s7, s6
	;; [unrolled: 1-line block ×3, first 2 shown]
	s_bfe_u32 s7, ttmp6, 0x40014
	s_lshl_b32 s2, s1, 8
	s_lshr_b32 s6, ttmp7, 16
	s_ashr_i32 s3, s2, 31
	s_add_co_i32 s7, s7, 1
	s_lshl_b64 s[2:3], s[2:3], 1
	s_ashr_i32 s1, s0, 31
	s_wait_kmcnt 0x0
	s_add_nc_u64 s[2:3], s[4:5], s[2:3]
	s_mul_i32 s4, s6, s7
	s_bfe_u32 s5, ttmp6, 0x40008
	s_lshl_b64 s[0:1], s[0:1], 1
	s_add_co_i32 s5, s5, s4
	s_cmp_eq_u32 s28, 0
	s_add_nc_u64 s[0:1], s[2:3], s[0:1]
	s_cselect_b32 s2, s6, s5
	s_mov_b32 s3, 0
	s_lshl_b32 s2, s2, 9
	;;#ASMSTART
	v_cvt_f16_f32 v1, v12;

	;;#ASMEND
	s_add_nc_u64 s[0:1], s[0:1], s[2:3]
	global_store_b16 v0, v1, s[0:1] scale_offset
	s_wait_xcnt 0x0
	;;#ASMSTART
	v_cvt_f16_f32 v1, v13;

	;;#ASMEND
	global_store_b16 v0, v1, s[0:1] offset:64 scale_offset
	s_wait_xcnt 0x0
	;;#ASMSTART
	v_cvt_f16_f32 v1, v14;

	;;#ASMEND
	global_store_b16 v0, v1, s[0:1] offset:128 scale_offset
	;; [unrolled: 6-line block ×7, first 2 shown]
.LBB62_77:
	s_sendmsg sendmsg(MSG_DEALLOC_VGPRS)
	s_endpgm
	.section	.rodata,"a",@progbits
	.p2align	6, 0x0
	.amdhsa_kernel _ZN4vllm25paged_attention_v1_kernelIttLi256ELi8ELi128ELNS_18Fp8KVCacheDataTypeE0ELb1EEEvPT_PKS2_PKT0_S8_ifPKiSA_iPKfiiiSC_SC_iiiii
		.amdhsa_group_segment_fixed_size 544
		.amdhsa_private_segment_fixed_size 0
		.amdhsa_kernarg_size 384
		.amdhsa_user_sgpr_count 2
		.amdhsa_user_sgpr_dispatch_ptr 0
		.amdhsa_user_sgpr_queue_ptr 0
		.amdhsa_user_sgpr_kernarg_segment_ptr 1
		.amdhsa_user_sgpr_dispatch_id 0
		.amdhsa_user_sgpr_kernarg_preload_length 0
		.amdhsa_user_sgpr_kernarg_preload_offset 0
		.amdhsa_user_sgpr_private_segment_size 0
		.amdhsa_wavefront_size32 1
		.amdhsa_uses_dynamic_stack 0
		.amdhsa_enable_private_segment 0
		.amdhsa_system_sgpr_workgroup_id_x 1
		.amdhsa_system_sgpr_workgroup_id_y 1
		.amdhsa_system_sgpr_workgroup_id_z 1
		.amdhsa_system_sgpr_workgroup_info 0
		.amdhsa_system_vgpr_workitem_id 0
		.amdhsa_next_free_vgpr 91
		.amdhsa_next_free_sgpr 40
		.amdhsa_named_barrier_count 0
		.amdhsa_reserve_vcc 1
		.amdhsa_float_round_mode_32 0
		.amdhsa_float_round_mode_16_64 0
		.amdhsa_float_denorm_mode_32 3
		.amdhsa_float_denorm_mode_16_64 3
		.amdhsa_fp16_overflow 0
		.amdhsa_memory_ordered 1
		.amdhsa_forward_progress 1
		.amdhsa_inst_pref_size 69
		.amdhsa_round_robin_scheduling 0
		.amdhsa_exception_fp_ieee_invalid_op 0
		.amdhsa_exception_fp_denorm_src 0
		.amdhsa_exception_fp_ieee_div_zero 0
		.amdhsa_exception_fp_ieee_overflow 0
		.amdhsa_exception_fp_ieee_underflow 0
		.amdhsa_exception_fp_ieee_inexact 0
		.amdhsa_exception_int_div_zero 0
	.end_amdhsa_kernel
	.section	.text._ZN4vllm25paged_attention_v1_kernelIttLi256ELi8ELi128ELNS_18Fp8KVCacheDataTypeE0ELb1EEEvPT_PKS2_PKT0_S8_ifPKiSA_iPKfiiiSC_SC_iiiii,"axG",@progbits,_ZN4vllm25paged_attention_v1_kernelIttLi256ELi8ELi128ELNS_18Fp8KVCacheDataTypeE0ELb1EEEvPT_PKS2_PKT0_S8_ifPKiSA_iPKfiiiSC_SC_iiiii,comdat
.Lfunc_end62:
	.size	_ZN4vllm25paged_attention_v1_kernelIttLi256ELi8ELi128ELNS_18Fp8KVCacheDataTypeE0ELb1EEEvPT_PKS2_PKT0_S8_ifPKiSA_iPKfiiiSC_SC_iiiii, .Lfunc_end62-_ZN4vllm25paged_attention_v1_kernelIttLi256ELi8ELi128ELNS_18Fp8KVCacheDataTypeE0ELb1EEEvPT_PKS2_PKT0_S8_ifPKiSA_iPKfiiiSC_SC_iiiii
                                        ; -- End function
	.set _ZN4vllm25paged_attention_v1_kernelIttLi256ELi8ELi128ELNS_18Fp8KVCacheDataTypeE0ELb1EEEvPT_PKS2_PKT0_S8_ifPKiSA_iPKfiiiSC_SC_iiiii.num_vgpr, 91
	.set _ZN4vllm25paged_attention_v1_kernelIttLi256ELi8ELi128ELNS_18Fp8KVCacheDataTypeE0ELb1EEEvPT_PKS2_PKT0_S8_ifPKiSA_iPKfiiiSC_SC_iiiii.num_agpr, 0
	.set _ZN4vllm25paged_attention_v1_kernelIttLi256ELi8ELi128ELNS_18Fp8KVCacheDataTypeE0ELb1EEEvPT_PKS2_PKT0_S8_ifPKiSA_iPKfiiiSC_SC_iiiii.numbered_sgpr, 40
	.set _ZN4vllm25paged_attention_v1_kernelIttLi256ELi8ELi128ELNS_18Fp8KVCacheDataTypeE0ELb1EEEvPT_PKS2_PKT0_S8_ifPKiSA_iPKfiiiSC_SC_iiiii.num_named_barrier, 0
	.set _ZN4vllm25paged_attention_v1_kernelIttLi256ELi8ELi128ELNS_18Fp8KVCacheDataTypeE0ELb1EEEvPT_PKS2_PKT0_S8_ifPKiSA_iPKfiiiSC_SC_iiiii.private_seg_size, 0
	.set _ZN4vllm25paged_attention_v1_kernelIttLi256ELi8ELi128ELNS_18Fp8KVCacheDataTypeE0ELb1EEEvPT_PKS2_PKT0_S8_ifPKiSA_iPKfiiiSC_SC_iiiii.uses_vcc, 1
	.set _ZN4vllm25paged_attention_v1_kernelIttLi256ELi8ELi128ELNS_18Fp8KVCacheDataTypeE0ELb1EEEvPT_PKS2_PKT0_S8_ifPKiSA_iPKfiiiSC_SC_iiiii.uses_flat_scratch, 0
	.set _ZN4vllm25paged_attention_v1_kernelIttLi256ELi8ELi128ELNS_18Fp8KVCacheDataTypeE0ELb1EEEvPT_PKS2_PKT0_S8_ifPKiSA_iPKfiiiSC_SC_iiiii.has_dyn_sized_stack, 0
	.set _ZN4vllm25paged_attention_v1_kernelIttLi256ELi8ELi128ELNS_18Fp8KVCacheDataTypeE0ELb1EEEvPT_PKS2_PKT0_S8_ifPKiSA_iPKfiiiSC_SC_iiiii.has_recursion, 0
	.set _ZN4vllm25paged_attention_v1_kernelIttLi256ELi8ELi128ELNS_18Fp8KVCacheDataTypeE0ELb1EEEvPT_PKS2_PKT0_S8_ifPKiSA_iPKfiiiSC_SC_iiiii.has_indirect_call, 0
	.section	.AMDGPU.csdata,"",@progbits
; Kernel info:
; codeLenInByte = 8792
; TotalNumSgprs: 42
; NumVgprs: 91
; ScratchSize: 0
; MemoryBound: 0
; FloatMode: 240
; IeeeMode: 1
; LDSByteSize: 544 bytes/workgroup (compile time only)
; SGPRBlocks: 0
; VGPRBlocks: 5
; NumSGPRsForWavesPerEU: 42
; NumVGPRsForWavesPerEU: 91
; NamedBarCnt: 0
; Occupancy: 10
; WaveLimiterHint : 1
; COMPUTE_PGM_RSRC2:SCRATCH_EN: 0
; COMPUTE_PGM_RSRC2:USER_SGPR: 2
; COMPUTE_PGM_RSRC2:TRAP_HANDLER: 0
; COMPUTE_PGM_RSRC2:TGID_X_EN: 1
; COMPUTE_PGM_RSRC2:TGID_Y_EN: 1
; COMPUTE_PGM_RSRC2:TGID_Z_EN: 1
; COMPUTE_PGM_RSRC2:TIDIG_COMP_CNT: 0
	.section	.text._ZN4vllm25paged_attention_v1_kernelIttLi32ELi8ELi128ELNS_18Fp8KVCacheDataTypeE0ELb0EEEvPT_PKS2_PKT0_S8_ifPKiSA_iPKfiiiSC_SC_iiiii,"axG",@progbits,_ZN4vllm25paged_attention_v1_kernelIttLi32ELi8ELi128ELNS_18Fp8KVCacheDataTypeE0ELb0EEEvPT_PKS2_PKT0_S8_ifPKiSA_iPKfiiiSC_SC_iiiii,comdat
	.protected	_ZN4vllm25paged_attention_v1_kernelIttLi32ELi8ELi128ELNS_18Fp8KVCacheDataTypeE0ELb0EEEvPT_PKS2_PKT0_S8_ifPKiSA_iPKfiiiSC_SC_iiiii ; -- Begin function _ZN4vllm25paged_attention_v1_kernelIttLi32ELi8ELi128ELNS_18Fp8KVCacheDataTypeE0ELb0EEEvPT_PKS2_PKT0_S8_ifPKiSA_iPKfiiiSC_SC_iiiii
	.globl	_ZN4vllm25paged_attention_v1_kernelIttLi32ELi8ELi128ELNS_18Fp8KVCacheDataTypeE0ELb0EEEvPT_PKS2_PKT0_S8_ifPKiSA_iPKfiiiSC_SC_iiiii
	.p2align	8
	.type	_ZN4vllm25paged_attention_v1_kernelIttLi32ELi8ELi128ELNS_18Fp8KVCacheDataTypeE0ELb0EEEvPT_PKS2_PKT0_S8_ifPKiSA_iPKfiiiSC_SC_iiiii,@function
_ZN4vllm25paged_attention_v1_kernelIttLi32ELi8ELi128ELNS_18Fp8KVCacheDataTypeE0ELb0EEEvPT_PKS2_PKT0_S8_ifPKiSA_iPKfiiiSC_SC_iiiii: ; @_ZN4vllm25paged_attention_v1_kernelIttLi32ELi8ELi128ELNS_18Fp8KVCacheDataTypeE0ELb0EEEvPT_PKS2_PKT0_S8_ifPKiSA_iPKfiiiSC_SC_iiiii
; %bb.0:
	s_load_b64 s[6:7], s[0:1], 0x20
	s_bfe_u32 s3, ttmp6, 0x4000c
	s_bfe_u32 s5, ttmp6, 0x40010
	s_and_b32 s4, ttmp7, 0xffff
	s_add_co_i32 s3, s3, 1
	s_add_co_i32 s5, s5, 1
	s_and_b32 s2, ttmp6, 15
	s_bfe_u32 s8, ttmp6, 0x40004
	s_mul_i32 s3, ttmp9, s3
	s_mul_i32 s5, s4, s5
	s_getreg_b32 s18, hwreg(HW_REG_IB_STS2, 6, 4)
	s_add_co_i32 s2, s2, s3
	s_add_co_i32 s3, s8, s5
	s_cmp_eq_u32 s18, 0
	s_clause 0x1
	s_load_b32 s19, s[0:1], 0x80
	s_load_b64 s[8:9], s[0:1], 0x30
	s_cselect_b32 s20, s4, s3
	s_cselect_b32 s2, ttmp9, s2
	s_wait_kmcnt 0x0
	s_abs_i32 s3, s6
	s_delay_alu instid0(SALU_CYCLE_1) | instskip(SKIP_1) | instid1(SALU_CYCLE_2)
	s_cvt_f32_u32 s4, s3
	s_sub_co_i32 s5, 0, s3
	v_rcp_iflag_f32_e32 v1, s4
	s_abs_i32 s10, s19
	v_nop
	s_delay_alu instid0(TRANS32_DEP_1) | instskip(SKIP_1) | instid1(SALU_CYCLE_3)
	v_readfirstlane_b32 s4, v1
	s_mul_f32 s4, s4, 0x4f7ffffe
	s_cvt_u32_f32 s4, s4
	s_delay_alu instid0(SALU_CYCLE_3) | instskip(NEXT) | instid1(SALU_CYCLE_1)
	s_mul_i32 s5, s5, s4
	s_mul_hi_u32 s5, s4, s5
	s_delay_alu instid0(SALU_CYCLE_1) | instskip(SKIP_4) | instid1(SALU_CYCLE_1)
	s_add_co_i32 s4, s4, s5
	s_xor_b32 s5, s19, s6
	s_mul_hi_u32 s4, s10, s4
	s_ashr_i32 s5, s5, 31
	s_mul_i32 s6, s4, s3
	s_sub_co_i32 s6, s10, s6
	s_add_co_i32 s10, s4, 1
	s_sub_co_i32 s11, s6, s3
	s_cmp_ge_u32 s6, s3
	s_cselect_b32 s4, s10, s4
	s_cselect_b32 s6, s11, s6
	s_add_co_i32 s10, s4, 1
	s_cmp_ge_u32 s6, s3
	s_mov_b32 s11, 0
	s_cselect_b32 s3, s10, s4
	s_abs_i32 s10, s2
	s_xor_b32 s3, s3, s5
	s_mov_b32 s13, s11
	s_sub_co_i32 s15, s3, s5
	s_load_b64 s[4:5], s[0:1], 0x40
	s_abs_i32 s14, s15
	s_mov_b32 s23, s11
	s_cvt_f32_u32 s3, s14
	s_sub_co_i32 s6, 0, s14
	s_delay_alu instid0(SALU_CYCLE_2) | instskip(SKIP_1) | instid1(TRANS32_DEP_1)
	v_rcp_iflag_f32_e32 v1, s3
	v_nop
	v_readfirstlane_b32 s3, v1
	s_mul_f32 s3, s3, 0x4f7ffffe
	s_delay_alu instid0(SALU_CYCLE_3) | instskip(NEXT) | instid1(SALU_CYCLE_3)
	s_cvt_u32_f32 s3, s3
	s_mul_i32 s6, s6, s3
	s_delay_alu instid0(SALU_CYCLE_1) | instskip(NEXT) | instid1(SALU_CYCLE_1)
	s_mul_hi_u32 s6, s3, s6
	s_add_co_i32 s12, s3, s6
	s_wait_kmcnt 0x0
	s_cmp_eq_u64 s[4:5], 0
	s_cbranch_scc1 .LBB63_2
; %bb.1:
	s_ashr_i32 s3, s2, 31
	s_delay_alu instid0(SALU_CYCLE_1) | instskip(NEXT) | instid1(SALU_CYCLE_1)
	s_lshl_b64 s[16:17], s[2:3], 2
	s_add_nc_u64 s[4:5], s[4:5], s[16:17]
	s_load_b32 s23, s[4:5], 0x0
.LBB63_2:
	s_load_b32 s21, s[8:9], s20 offset:0x0 scale_offset
	s_wait_xcnt 0x0
	s_load_b96 s[4:6], s[0:1], 0x48
	v_and_b32_e32 v4, 3, v0
	s_ashr_i32 s3, s2, 31
	s_ashr_i32 s15, s15, 31
	s_mul_u64 s[12:13], s[10:11], s[12:13]
	s_lshl_b32 s8, s2, 5
	s_mov_b32 s2, exec_lo
	v_cmpx_gt_u32_e32 16, v0
	s_cbranch_execz .LBB63_4
; %bb.3:
	s_load_b64 s[16:17], s[0:1], 0x8
	s_wait_kmcnt 0x0
	s_mul_i32 s24, s4, s20
	s_ashr_i32 s9, s8, 31
	s_ashr_i32 s25, s24, 31
	v_and_b32_e32 v2, 0x3fc, v0
	s_lshl_b64 s[24:25], s[24:25], 1
	s_delay_alu instid0(VALU_DEP_1) | instskip(SKIP_2) | instid1(SALU_CYCLE_1)
	v_lshl_add_u32 v2, v4, 4, v2
	s_add_nc_u64 s[16:17], s[16:17], s[24:25]
	s_lshl_b64 s[24:25], s[8:9], 1
	s_add_nc_u64 s[16:17], s[16:17], s[24:25]
	global_load_b32 v1, v0, s[16:17] scale_offset
	s_wait_loadcnt 0x0
	ds_store_b32 v2, v1
.LBB63_4:
	s_or_b32 exec_lo, exec_lo, s2
	s_wait_kmcnt 0x0
	s_add_co_i32 s2, s21, 7
	s_load_b32 s4, s[0:1], 0x38
	s_ashr_i32 s9, s2, 31
	s_mul_i32 s11, s13, s14
	s_lshr_b32 s9, s9, 29
	s_xor_b32 s3, s3, s15
	s_add_co_i32 s2, s2, s9
	s_sub_co_i32 s9, s10, s11
	s_ashr_i32 s22, s2, 3
	s_add_co_i32 s2, s13, 1
	s_sub_co_i32 s10, s9, s14
	s_cmp_ge_u32 s9, s14
	v_lshrrev_b32_e32 v12, 5, v0
	s_cselect_b32 s2, s2, s13
	s_cselect_b32 s9, s10, s9
	s_add_co_i32 s10, s2, 1
	s_cmp_ge_u32 s9, s14
	v_mbcnt_lo_u32_b32 v8, -1, 0
	s_cselect_b32 s2, s10, s2
	s_wait_dscnt 0x0
	s_xor_b32 s2, s2, s3
	s_wait_kmcnt 0x0
	s_mul_i32 s10, s4, s20
	s_sub_co_i32 s3, s2, s3
	v_cmp_gt_i32_e64 s2, s22, v12
	s_ashr_i32 s11, s10, 31
	s_mov_b32 s4, exec_lo
	s_barrier_signal -1
	s_barrier_wait -1
                                        ; implicit-def: $vgpr3
                                        ; implicit-def: $vgpr9
	v_cmpx_le_i32_e64 s22, v12
	s_xor_b32 s4, exec_lo, s4
; %bb.5:
	v_dual_mov_b32 v3, 0 :: v_dual_mov_b32 v9, 32
	v_mbcnt_lo_u32_b32 v8, -1, 0
                                        ; implicit-def: $vgpr4
; %bb.6:
	s_or_saveexec_b32 s24, s4
	s_clause 0x1
	s_load_b64 s[12:13], s[0:1], 0x28
	s_load_b32 s9, s[0:1], 0x88
	v_dual_mov_b32 v10, 0xff7fffff :: v_dual_lshrrev_b32 v1, 3, v0
	s_mul_i32 s14, s3, s6
	s_xor_b32 exec_lo, exec_lo, s24
	s_cbranch_execz .LBB63_12
; %bb.7:
	s_load_b64 s[26:27], s[0:1], 0x10
	v_bfe_u32 v6, v0, 2, 3
	s_ashr_i32 s15, s14, 31
	v_dual_mov_b32 v3, 0 :: v_dual_lshlrev_b32 v7, 2, v0
	s_delay_alu instid0(VALU_DEP_2)
	v_dual_lshlrev_b32 v11, 4, v4 :: v_dual_lshlrev_b32 v2, 4, v6
	s_lshl_b64 s[28:29], s[14:15], 1
	v_cmp_eq_u32_e32 vcc_lo, 0, v4
	v_lshlrev_b32_e32 v13, 2, v6
	s_ashr_i32 s17, s5, 31
	s_cmp_neq_f32 s23, 0
	v_dual_mov_b32 v10, 0xff7fffff :: v_dual_mov_b32 v9, 32
	v_xor_b32_e32 v15, 1, v8
	s_cselect_b32 s3, -1, 0
	s_mov_b32 s16, s5
	s_mov_b32 s6, 0
	s_sub_co_i32 s15, 1, s21
	v_mov_b32_e32 v16, v12
	s_wait_kmcnt 0x0
	s_add_nc_u64 s[26:27], s[26:27], s[28:29]
	s_delay_alu instid0(SALU_CYCLE_1)
	v_add_nc_u64_e32 v[4:5], s[26:27], v[2:3]
	v_and_b32_e32 v2, 12, v7
	v_lshl_or_b32 v7, v12, 5, v13
	s_lshl_b64 s[26:27], s[10:11], 2
	v_lshl_or_b32 v13, v12, 3, v6
	s_add_nc_u64 s[26:27], s[12:13], s[26:27]
	s_delay_alu instid0(VALU_DEP_4) | instskip(SKIP_2) | instid1(VALU_DEP_2)
	v_add_nc_u64_e32 v[4:5], v[4:5], v[2:3]
	v_and_b32_e32 v2, 0x7c, v1
	v_add_nc_u32_e32 v14, 0x60, v7
	v_add_nc_u64_e32 v[6:7], s[26:27], v[2:3]
	v_xor_b32_e32 v2, 2, v8
	s_branch .LBB63_9
.LBB63_8:                               ;   in Loop: Header=BB63_9 Depth=1
	s_or_b32 exec_lo, exec_lo, s25
	v_dual_add_nc_u32 v16, 4, v16 :: v_dual_add_nc_u32 v13, 32, v13
	v_add_nc_u64_e32 v[6:7], 16, v[6:7]
	v_add_nc_u32_e32 v14, 0x80, v14
	s_delay_alu instid0(VALU_DEP_3) | instskip(SKIP_1) | instid1(SALU_CYCLE_1)
	v_cmp_le_i32_e64 s4, s22, v16
	s_or_b32 s6, s4, s6
	s_and_not1_b32 exec_lo, exec_lo, s6
	s_cbranch_execz .LBB63_11
.LBB63_9:                               ; =>This Inner Loop Header: Depth=1
	s_wait_dscnt 0x0
	global_load_b32 v18, v[6:7], off
	v_cmp_gt_i32_e64 s4, 32, v2
	s_wait_loadcnt 0x0
	v_ashrrev_i32_e32 v19, 31, v18
	s_delay_alu instid0(VALU_DEP_1) | instskip(NEXT) | instid1(VALU_DEP_1)
	v_mul_u64_e32 v[18:19], s[16:17], v[18:19]
	v_lshl_add_u64 v[18:19], v[18:19], 1, v[4:5]
	s_clause 0x3
	global_load_b32 v17, v[18:19], off
	global_load_b32 v20, v[18:19], off offset:128
	global_load_b32 v21, v[18:19], off offset:256
	;; [unrolled: 1-line block ×3, first 2 shown]
	s_wait_xcnt 0x0
	ds_load_b32 v18, v11
	s_wait_dscnt 0x0
	v_and_b32_e32 v19, 0xffff, v18
	v_lshrrev_b32_e32 v18, 16, v18
	;;#ASMSTART
	v_cvt_f32_f16 v24, v19;
	;;#ASMEND
	;;#ASMSTART
	v_cvt_f32_f16 v25, v18;
	;;#ASMEND
	s_wait_loadcnt 0x3
	v_and_b32_e32 v23, 0xffff, v17
	v_lshrrev_b32_e32 v17, 16, v17
	;;#ASMSTART
	v_cvt_f32_f16 v23, v23;
	;;#ASMEND
	s_wait_loadcnt 0x2
	v_and_b32_e32 v19, 0xffff, v20
	v_lshrrev_b32_e32 v20, 16, v20
	;;#ASMSTART
	v_cvt_f32_f16 v26, v17;
	;;#ASMEND
	ds_load_b32 v17, v11 offset:4
	s_wait_loadcnt 0x1
	v_and_b32_e32 v29, 0xffff, v21
	v_lshrrev_b32_e32 v21, 16, v21
	s_wait_dscnt 0x0
	v_and_b32_e32 v18, 0xffff, v17
	;;#ASMSTART
	v_cvt_f32_f16 v18, v18;
	;;#ASMEND
	v_lshrrev_b32_e32 v17, 16, v17
	;;#ASMSTART
	v_cvt_f32_f16 v27, v17;
	;;#ASMEND
	;;#ASMSTART
	v_cvt_f32_f16 v19, v19;
	;;#ASMEND
	;; [unrolled: 3-line block ×3, first 2 shown]
	ds_load_b32 v17, v11 offset:8
	v_dual_mul_f32 v18, v18, v19 :: v_dual_mul_f32 v19, v27, v20
	v_cndmask_b32_e64 v20, v8, v2, s4
	s_wait_loadcnt 0x0
	v_lshrrev_b32_e32 v27, 16, v22
	v_and_b32_e32 v22, 0xffff, v22
	v_fmac_f32_e32 v18, v24, v23
	v_cmp_gt_i32_e64 s4, 32, v15
	s_wait_dscnt 0x0
	v_and_b32_e32 v28, 0xffff, v17
	v_lshrrev_b32_e32 v17, 16, v17
	;;#ASMSTART
	v_cvt_f32_f16 v28, v28;
	;;#ASMEND
	;;#ASMSTART
	v_cvt_f32_f16 v30, v17;
	;;#ASMEND
	;; [unrolled: 3-line block ×4, first 2 shown]
	ds_load_b32 v17, v11 offset:12
	v_fmac_f32_e32 v19, v25, v26
	s_wait_dscnt 0x0
	v_and_b32_e32 v23, 0xffff, v17
	v_lshrrev_b32_e32 v17, 16, v17
	s_delay_alu instid0(VALU_DEP_3)
	v_fmac_f32_e32 v19, v30, v21
	;;#ASMSTART
	v_cvt_f32_f16 v21, v23;
	;;#ASMEND
	;;#ASMSTART
	v_cvt_f32_f16 v17, v17;
	;;#ASMEND
	;; [unrolled: 3-line block ×4, first 2 shown]
	v_dual_fmac_f32 v18, v28, v29 :: v_dual_fmac_f32 v19, v17, v23
	s_delay_alu instid0(VALU_DEP_1) | instskip(NEXT) | instid1(VALU_DEP_1)
	v_dual_fmac_f32 v18, v21, v22 :: v_dual_lshlrev_b32 v17, 2, v20
	v_add_f32_e32 v18, v18, v19
	ds_bpermute_b32 v17, v17, v18
	s_wait_dscnt 0x0
	v_dual_cndmask_b32 v19, v8, v15, s4 :: v_dual_add_f32 v17, v18, v17
	s_delay_alu instid0(VALU_DEP_1)
	v_lshlrev_b32_e32 v18, 2, v19
	ds_bpermute_b32 v18, v18, v17
	s_and_saveexec_b32 s25, vcc_lo
	s_cbranch_execz .LBB63_8
; %bb.10:                               ;   in Loop: Header=BB63_9 Depth=1
	s_wait_dscnt 0x0
	v_dual_add_nc_u32 v19, s15, v13 :: v_dual_add_f32 v17, v17, v18
	v_cmp_gt_i32_e64 s4, s21, v13
	s_delay_alu instid0(VALU_DEP_2) | instskip(NEXT) | instid1(VALU_DEP_1)
	v_cvt_f32_i32_e32 v19, v19
	v_mul_f32_e32 v19, s23, v19
	s_delay_alu instid0(VALU_DEP_1) | instskip(NEXT) | instid1(VALU_DEP_1)
	v_dual_cndmask_b32 v18, 0, v19, s3 :: v_dual_max_num_f32 v19, v10, v10
	v_fmac_f32_e32 v18, s7, v17
	s_delay_alu instid0(VALU_DEP_1) | instskip(NEXT) | instid1(VALU_DEP_1)
	v_dual_max_num_f32 v17, v19, v18 :: v_dual_cndmask_b32 v18, 0, v18, s4
	v_cndmask_b32_e64 v10, v10, v17, s4
	ds_store_b32 v14, v18
	s_branch .LBB63_8
.LBB63_11:
	s_or_b32 exec_lo, exec_lo, s6
.LBB63_12:
	s_delay_alu instid0(SALU_CYCLE_1)
	s_or_b32 exec_lo, exec_lo, s24
	v_dual_max_num_f32 v6, v10, v10 :: v_dual_bitop2_b32 v2, 16, v8 bitop3:0x14
	s_clause 0x1
	s_load_b64 s[6:7], s[0:1], 0x0
	s_load_b64 s[16:17], s[0:1], 0x18
	v_and_b32_e32 v13, 31, v0
	v_xor_b32_e32 v5, 8, v8
	v_cmp_lt_i32_e32 vcc_lo, v2, v9
	v_cndmask_b32_e32 v2, v8, v2, vcc_lo
	s_delay_alu instid0(VALU_DEP_3) | instskip(NEXT) | instid1(VALU_DEP_2)
	v_cmp_lt_i32_e32 vcc_lo, v5, v9
	v_dual_cndmask_b32 v5, v8, v5 :: v_dual_lshlrev_b32 v2, 2, v2
	ds_bpermute_b32 v4, v2, v10
	s_wait_dscnt 0x0
	v_dual_max_num_f32 v7, v4, v4 :: v_dual_lshlrev_b32 v4, 2, v5
	s_delay_alu instid0(VALU_DEP_1)
	v_dual_max_num_f32 v5, v6, v7 :: v_dual_bitop2_b32 v7, 4, v8 bitop3:0x14
	ds_bpermute_b32 v6, v4, v5
	v_cmp_lt_i32_e32 vcc_lo, v7, v9
	v_cndmask_b32_e32 v7, v8, v7, vcc_lo
	v_cmp_eq_u32_e32 vcc_lo, 0, v13
	s_wait_dscnt 0x0
	s_delay_alu instid0(VALU_DEP_2) | instskip(NEXT) | instid1(VALU_DEP_1)
	v_dual_max_num_f32 v6, v6, v6 :: v_dual_lshlrev_b32 v7, 2, v7
	v_dual_max_num_f32 v6, v5, v6 :: v_dual_lshlrev_b32 v5, 2, v12
	ds_bpermute_b32 v10, v7, v6
	s_wait_xcnt 0x0
	s_and_saveexec_b32 s0, vcc_lo
	s_cbranch_execz .LBB63_14
; %bb.13:
	s_wait_dscnt 0x0
	v_max_num_f32_e32 v10, v10, v10
	v_max_num_f32_e32 v6, v6, v6
	s_delay_alu instid0(VALU_DEP_1)
	v_max_num_f32_e32 v6, v6, v10
	ds_store_b32 v5, v6 offset:64
.LBB63_14:
	s_or_b32 exec_lo, exec_lo, s0
	v_cmp_gt_u32_e64 s0, 4, v13
	v_dual_mov_b32 v11, 0xff7fffff :: v_dual_lshlrev_b32 v6, 2, v13
	s_wait_dscnt 0x0
	s_barrier_signal -1
	s_barrier_wait -1
	s_and_saveexec_b32 s1, s0
; %bb.15:
	ds_load_b32 v11, v6 offset:64
; %bb.16:
	s_or_b32 exec_lo, exec_lo, s1
	v_xor_b32_e32 v10, 2, v8
	v_dual_lshlrev_b32 v3, 2, v3 :: v_dual_bitop2_b32 v15, 1, v8 bitop3:0x14
	s_delay_alu instid0(VALU_DEP_2) | instskip(NEXT) | instid1(VALU_DEP_1)
	v_cmp_lt_i32_e64 s1, v10, v9
	v_cndmask_b32_e64 v10, v8, v10, s1
	s_delay_alu instid0(VALU_DEP_3) | instskip(NEXT) | instid1(VALU_DEP_1)
	v_cmp_lt_i32_e64 s1, v15, v9
	v_dual_lshlrev_b32 v10, 2, v10 :: v_dual_cndmask_b32 v9, v8, v15, s1
	s_lshl_b32 s1, s22, 3
	s_delay_alu instid0(SALU_CYCLE_1)
	s_min_i32 s4, s1, s21
	s_wait_dscnt 0x0
	ds_bpermute_b32 v14, v10, v11
	v_dual_max_num_f32 v11, v11, v11 :: v_dual_lshlrev_b32 v9, 2, v9
	v_cmp_gt_i32_e64 s1, s4, v0
	s_wait_dscnt 0x0
	v_max_num_f32_e32 v14, v14, v14
	s_delay_alu instid0(VALU_DEP_1) | instskip(SKIP_3) | instid1(VALU_DEP_1)
	v_max_num_f32_e32 v11, v11, v14
	ds_bpermute_b32 v14, v9, v11
	s_wait_dscnt 0x0
	v_max_num_f32_e32 v14, v14, v14
	v_max_num_f32_e32 v11, v11, v14
	ds_bpermute_b32 v11, v3, v11
	v_mov_b32_e32 v3, 0
	s_and_saveexec_b32 s15, s1
	s_cbranch_execz .LBB63_20
; %bb.17:
	v_lshl_add_u32 v14, v0, 2, 0x60
	v_dual_mov_b32 v3, 0 :: v_dual_mov_b32 v15, v0
	s_mov_b32 s23, 0
.LBB63_18:                              ; =>This Inner Loop Header: Depth=1
	ds_load_b32 v16, v14
	v_add_nc_u32_e32 v15, 0x80, v15
	s_delay_alu instid0(VALU_DEP_1) | instskip(SKIP_3) | instid1(VALU_DEP_1)
	v_cmp_le_i32_e64 s3, s4, v15
	s_or_b32 s23, s3, s23
	s_wait_dscnt 0x0
	v_sub_f32_e32 v16, v16, v11
	v_mul_f32_e32 v16, 0x3fb8aa3b, v16
	s_delay_alu instid0(VALU_DEP_1)
	v_exp_f32_e32 v16, v16
	ds_store_b32 v14, v16
	v_nop
	v_dual_add_f32 v3, v3, v16 :: v_dual_add_nc_u32 v14, 0x200, v14
	s_and_not1_b32 exec_lo, exec_lo, s23
	s_cbranch_execnz .LBB63_18
; %bb.19:
	s_or_b32 exec_lo, exec_lo, s23
.LBB63_20:
	s_delay_alu instid0(SALU_CYCLE_1)
	s_or_b32 exec_lo, exec_lo, s15
	ds_bpermute_b32 v2, v2, v3
	s_wait_dscnt 0x0
	v_add_f32_e32 v2, v3, v2
	ds_bpermute_b32 v3, v4, v2
	s_wait_dscnt 0x0
	v_add_f32_e32 v2, v2, v3
	;; [unrolled: 3-line block ×5, first 2 shown]
	s_and_saveexec_b32 s3, vcc_lo
; %bb.21:
	ds_store_b32 v5, v2 offset:80
; %bb.22:
	s_or_b32 exec_lo, exec_lo, s3
	s_wait_dscnt 0x0
	s_barrier_signal -1
	s_barrier_wait -1
	s_and_saveexec_b32 s3, s0
; %bb.23:
	ds_load_b32 v2, v6 offset:80
; %bb.24:
	s_or_b32 exec_lo, exec_lo, s3
	s_wait_dscnt 0x0
	ds_bpermute_b32 v3, v10, v2
	s_wait_dscnt 0x0
	v_dual_lshlrev_b32 v4, 2, v8 :: v_dual_add_f32 v2, v2, v3
	ds_bpermute_b32 v3, v9, v2
	s_wait_dscnt 0x0
	v_add_f32_e32 v2, v2, v3
	v_and_b32_e32 v3, 0xffffff80, v4
	ds_bpermute_b32 v2, v3, v2
	s_and_saveexec_b32 s0, s1
	s_cbranch_execz .LBB63_37
; %bb.25:
	s_wait_dscnt 0x0
	v_add_f32_e32 v2, 0x358637bd, v2
	s_mov_b32 s3, -1
	s_mov_b32 s1, exec_lo
	s_delay_alu instid0(VALU_DEP_1) | instskip(NEXT) | instid1(VALU_DEP_1)
	v_div_scale_f32 v3, null, v2, v2, 1.0
	v_rcp_f32_e32 v5, v3
	v_nop
	s_delay_alu instid0(TRANS32_DEP_1) | instskip(NEXT) | instid1(VALU_DEP_1)
	v_fma_f32 v4, -v3, v5, 1.0
	v_fmac_f32_e32 v5, v4, v5
	v_div_scale_f32 v6, vcc_lo, 1.0, v2, 1.0
	s_delay_alu instid0(VALU_DEP_1) | instskip(NEXT) | instid1(VALU_DEP_1)
	v_mul_f32_e32 v7, v6, v5
	v_fma_f32 v4, -v3, v7, v6
	s_delay_alu instid0(VALU_DEP_1) | instskip(SKIP_1) | instid1(VALU_DEP_2)
	v_fmac_f32_e32 v7, v4, v5
	v_xad_u32 v4, v0, -1, s4
	v_fma_f32 v3, -v3, v7, v6
	s_delay_alu instid0(VALU_DEP_1) | instskip(NEXT) | instid1(VALU_DEP_1)
	v_div_fmas_f32 v3, v3, v5, v7
	v_div_fixup_f32 v2, v3, v2, 1.0
	v_mov_b32_e32 v3, v0
	v_cmpx_lt_u32_e32 0x7f, v4
	s_cbranch_execz .LBB63_34
; %bb.26:
	s_delay_alu instid0(VALU_DEP_3) | instskip(NEXT) | instid1(VALU_DEP_1)
	v_dual_mov_b32 v3, v2 :: v_dual_lshrrev_b32 v4, 7, v4
	v_dual_mov_b32 v8, 0 :: v_dual_add_nc_u32 v5, -1, v4
	s_delay_alu instid0(VALU_DEP_1) | instskip(SKIP_1) | instid1(VALU_DEP_2)
	v_lshrrev_b32_e32 v6, 1, v5
	v_cmp_lt_u32_e32 vcc_lo, 13, v5
	v_add_nc_u32_e32 v5, 1, v6
	s_and_saveexec_b32 s3, vcc_lo
	s_cbranch_execz .LBB63_30
; %bb.27:
	s_delay_alu instid0(VALU_DEP_1)
	v_and_b32_e32 v6, -8, v5
	v_lshl_add_u32 v7, v0, 2, 0x60
	s_mov_b32 s15, 0
	s_mov_b32 s23, 0
.LBB63_28:                              ; =>This Inner Loop Header: Depth=1
	ds_load_2addr_stride64_b32 v[8:9], v7 offset1:2
	ds_load_2addr_stride64_b32 v[10:11], v7 offset0:4 offset1:6
	ds_load_2addr_stride64_b32 v[14:15], v7 offset0:8 offset1:10
	;; [unrolled: 1-line block ×7, first 2 shown]
	s_add_co_i32 s23, s23, 16
	v_add_nc_u32_e32 v6, -8, v6
	s_wait_dscnt 0x7
	v_pk_mul_f32 v[8:9], v[2:3], v[8:9]
	s_wait_dscnt 0x6
	v_pk_mul_f32 v[10:11], v[2:3], v[10:11]
	;; [unrolled: 2-line block ×8, first 2 shown]
	ds_store_2addr_stride64_b32 v7, v8, v9 offset1:2
	ds_store_2addr_stride64_b32 v7, v10, v11 offset0:4 offset1:6
	ds_store_2addr_stride64_b32 v7, v14, v15 offset0:8 offset1:10
	;; [unrolled: 1-line block ×7, first 2 shown]
	v_mov_b32_e32 v8, s23
	v_cmp_eq_u32_e32 vcc_lo, 0, v6
	v_add_nc_u32_e32 v7, 0x2000, v7
	s_or_b32 s15, vcc_lo, s15
	s_delay_alu instid0(SALU_CYCLE_1)
	s_and_not1_b32 exec_lo, exec_lo, s15
	s_cbranch_execnz .LBB63_28
; %bb.29:
	s_or_b32 exec_lo, exec_lo, s15
.LBB63_30:
	s_delay_alu instid0(SALU_CYCLE_1) | instskip(NEXT) | instid1(VALU_DEP_1)
	s_or_b32 exec_lo, exec_lo, s3
	v_and_b32_e32 v5, 7, v5
	s_mov_b32 s15, 0
	s_mov_b32 s3, exec_lo
	s_delay_alu instid0(VALU_DEP_1)
	v_cmpx_ne_u32_e32 0, v5
	s_cbranch_execz .LBB63_33
; %bb.31:
	v_lshlrev_b32_e32 v6, 9, v8
	v_lshlrev_b32_e32 v7, 2, v0
	s_delay_alu instid0(VALU_DEP_1)
	v_add3_u32 v6, v6, v7, 0x60
.LBB63_32:                              ; =>This Inner Loop Header: Depth=1
	ds_load_2addr_stride64_b32 v[8:9], v6 offset1:2
	v_add_nc_u32_e32 v5, -1, v5
	s_delay_alu instid0(VALU_DEP_1)
	v_cmp_eq_u32_e32 vcc_lo, 0, v5
	s_or_b32 s15, vcc_lo, s15
	s_wait_dscnt 0x0
	v_pk_mul_f32 v[8:9], v[2:3], v[8:9]
	ds_store_2addr_stride64_b32 v6, v8, v9 offset1:2
	v_add_nc_u32_e32 v6, 0x400, v6
	s_and_not1_b32 exec_lo, exec_lo, s15
	s_cbranch_execnz .LBB63_32
.LBB63_33:
	s_or_b32 exec_lo, exec_lo, s3
	v_add_nc_u32_e32 v3, 1, v4
	s_delay_alu instid0(VALU_DEP_1) | instskip(NEXT) | instid1(VALU_DEP_1)
	v_and_b32_e32 v4, 0x3fffffe, v3
	v_cmp_ne_u32_e32 vcc_lo, v3, v4
	v_lshl_add_u32 v3, v4, 7, v0
	s_or_not1_b32 s3, vcc_lo, exec_lo
.LBB63_34:
	s_or_b32 exec_lo, exec_lo, s1
	s_delay_alu instid0(SALU_CYCLE_1)
	s_and_b32 exec_lo, exec_lo, s3
	s_cbranch_execz .LBB63_37
; %bb.35:
	v_lshl_add_u32 v4, v3, 2, 0x60
	s_mov_b32 s1, 0
.LBB63_36:                              ; =>This Inner Loop Header: Depth=1
	ds_load_b32 v5, v4
	v_add_nc_u32_e32 v3, 0x80, v3
	s_delay_alu instid0(VALU_DEP_1)
	v_cmp_le_i32_e32 vcc_lo, s4, v3
	s_or_b32 s1, vcc_lo, s1
	s_wait_dscnt 0x0
	v_mul_f32_e32 v5, v2, v5
	ds_store_b32 v4, v5
	v_add_nc_u32_e32 v4, 0x200, v4
	s_and_not1_b32 exec_lo, exec_lo, s1
	s_cbranch_execnz .LBB63_36
.LBB63_37:
	s_or_b32 exec_lo, exec_lo, s0
	v_mov_b32_e32 v7, 0
	s_wait_dscnt 0x0
	s_barrier_signal -1
	s_barrier_wait -1
	s_and_saveexec_b32 s3, s2
	s_cbranch_execz .LBB63_43
; %bb.38:
	s_ashr_i32 s15, s14, 31
	v_dual_mov_b32 v7, 0 :: v_dual_lshlrev_b32 v6, 4, v13
	s_lshl_b64 s[0:1], s[14:15], 1
	s_lshl_b64 s[10:11], s[10:11], 2
	s_wait_kmcnt 0x0
	s_add_nc_u64 s[14:15], s[16:17], s[0:1]
	s_ashr_i32 s1, s5, 31
	v_add_nc_u64_e32 v[8:9], s[14:15], v[6:7]
	v_and_b32_e32 v6, 0x7c, v1
	s_mov_b32 s0, s5
	s_add_nc_u64 s[4:5], s[12:13], s[10:11]
	v_dual_lshlrev_b32 v14, 3, v12 :: v_dual_mov_b32 v16, v12
	s_delay_alu instid0(VALU_DEP_2)
	v_add_nc_u64_e32 v[10:11], s[4:5], v[6:7]
	v_lshl_add_u32 v15, v12, 5, 0x60
	s_add_co_i32 s2, s22, -1
	s_mov_b32 s5, s21
	s_mov_b32 s4, 0
	s_branch .LBB63_40
.LBB63_39:                              ;   in Loop: Header=BB63_40 Depth=1
	s_or_b32 exec_lo, exec_lo, s10
	v_and_b32_e32 v23, 0xffff, v23
	v_dual_lshlrev_b32 v6, 16, v6 :: v_dual_lshlrev_b32 v1, 16, v1
	v_and_b32_e32 v24, 0xffff, v24
	v_dual_lshlrev_b32 v17, 16, v17 :: v_dual_add_nc_u32 v16, 4, v16
	s_delay_alu instid0(VALU_DEP_4)
	v_lshl_or_b32 v23, v20, 16, v23
	v_and_b32_e32 v20, 0xffff, v21
	v_and_b32_e32 v25, 0xffff, v25
	v_and_or_b32 v2, 0xffff, v2, v6
	v_and_or_b32 v1, 0xffff, v3, v1
	v_lshl_or_b32 v22, v22, 16, v24
	v_and_or_b32 v3, 0xffff, v4, v17
	v_lshl_or_b32 v4, v18, 16, v20
	;;#ASMSTART
	v_pk_mul_f16 v2, v23, v2;

	;;#ASMEND
	;;#ASMSTART
	v_pk_mul_f16 v1, v22, v1;

	;;#ASMEND
	v_lshl_or_b32 v19, v19, 16, v25
	;;#ASMSTART
	v_pk_mul_f16 v3, v19, v3;

	;;#ASMEND
	;;#ASMSTART
	v_pk_mul_f16 v4, v4, v5;

	;;#ASMEND
	;;#ASMSTART
	v_pk_add_f16 v1, v2, v1;

	;;#ASMEND
	;;#ASMSTART
	v_pk_add_f16 v1, v1, v3;

	;;#ASMEND
	;;#ASMSTART
	v_pk_add_f16 v1, v1, v4;

	;;#ASMEND
	v_and_b32_e32 v2, 0xffff, v1
	v_dual_lshrrev_b32 v1, 16, v1 :: v_dual_add_nc_u32 v14, 32, v14
	;;#ASMSTART
	v_cvt_f32_f16 v2, v2;
	;;#ASMEND
	;;#ASMSTART
	v_cvt_f32_f16 v1, v1;
	;;#ASMEND
	s_delay_alu instid0(VALU_DEP_1) | instskip(SKIP_3) | instid1(VALU_DEP_4)
	v_add_f32_e32 v1, v2, v1
	v_cmp_le_i32_e32 vcc_lo, s22, v16
	v_add_nc_u64_e32 v[10:11], 16, v[10:11]
	v_add_nc_u32_e32 v15, 0x80, v15
	v_add_f32_e32 v7, v7, v1
	s_or_b32 s4, vcc_lo, s4
	s_delay_alu instid0(SALU_CYCLE_1)
	s_and_not1_b32 exec_lo, exec_lo, s4
	s_cbranch_execz .LBB63_42
.LBB63_40:                              ; =>This Inner Loop Header: Depth=1
	global_load_b32 v2, v[10:11], off
	s_mov_b32 s10, exec_lo
	s_wait_loadcnt 0x0
	v_ashrrev_i32_e32 v3, 31, v2
	s_delay_alu instid0(VALU_DEP_1)
	v_mul_u64_e32 v[18:19], s[0:1], v[2:3]
	ds_load_2addr_b64 v[2:5], v15 offset1:1
	ds_load_2addr_b64 v[26:29], v15 offset0:2 offset1:3
	s_wait_dscnt 0x1
	;;#ASMSTART
	v_cvt_f16_f32 v23, v2;

	;;#ASMEND
	;;#ASMSTART
	v_cvt_f16_f32 v20, v3;

	;;#ASMEND
	;; [unrolled: 4-line block ×4, first 2 shown]
	s_wait_dscnt 0x0
	;;#ASMSTART
	v_cvt_f16_f32 v25, v26;

	;;#ASMEND
	v_lshl_add_u64 v[2:3], v[18:19], 1, v[8:9]
	;;#ASMSTART
	v_cvt_f16_f32 v19, v27;

	;;#ASMEND
	;;#ASMSTART
	v_cvt_f16_f32 v21, v28;

	;;#ASMEND
	;; [unrolled: 4-line block ×3, first 2 shown]
	global_load_b128 v[2:5], v[2:3], off
	s_wait_loadcnt 0x0
	v_dual_lshrrev_b32 v1, 16, v3 :: v_dual_lshrrev_b32 v17, 16, v4
	v_lshrrev_b32_e32 v6, 16, v2
	v_cmpx_eq_u32_e64 s2, v16
	s_cbranch_execz .LBB63_39
; %bb.41:                               ;   in Loop: Header=BB63_40 Depth=1
	v_dual_add_nc_u32 v26, 2, v14 :: v_dual_bitop2_b32 v27, 3, v14 bitop3:0x54
	v_cmp_gt_i32_e32 vcc_lo, s21, v14
	v_dual_add_nc_u32 v29, 7, v14 :: v_dual_add_nc_u32 v30, 5, v14
	v_cndmask_b32_e32 v2, 0, v2, vcc_lo
	s_delay_alu instid0(VALU_DEP_4) | instskip(SKIP_4) | instid1(VALU_DEP_2)
	v_cmp_gt_i32_e32 vcc_lo, s21, v26
	v_dual_cndmask_b32 v3, 0, v3 :: v_dual_add_nc_u32 v26, 4, v14
	v_cmp_gt_i32_e32 vcc_lo, s5, v27
	v_dual_add_nc_u32 v27, 6, v14 :: v_dual_bitop2_b32 v28, 1, v14 bitop3:0x54
	v_cndmask_b32_e32 v1, 0, v1, vcc_lo
	v_cmp_gt_i32_e32 vcc_lo, s21, v28
	v_and_b32_e32 v28, 0xffff, v5
	v_and_b32_e32 v5, 0xffff0000, v5
	v_cndmask_b32_e32 v6, 0, v6, vcc_lo
	v_cmp_gt_i32_e32 vcc_lo, s21, v27
	s_delay_alu instid0(VALU_DEP_4)
	v_cndmask_b32_e32 v27, 0, v28, vcc_lo
	v_cmp_gt_i32_e32 vcc_lo, s21, v29
	v_cndmask_b32_e32 v5, 0, v5, vcc_lo
	v_cmp_gt_i32_e32 vcc_lo, s21, v26
	;; [unrolled: 2-line block ×3, first 2 shown]
	s_delay_alu instid0(VALU_DEP_4)
	v_or_b32_e32 v5, v27, v5
	v_cndmask_b32_e32 v17, 0, v17, vcc_lo
	s_branch .LBB63_39
.LBB63_42:
	s_or_b32 exec_lo, exec_lo, s4
.LBB63_43:
	s_delay_alu instid0(SALU_CYCLE_1)
	s_or_b32 exec_lo, exec_lo, s3
	v_and_b32_e32 v1, 0x3c0, v0
	v_lshl_add_u32 v2, v13, 2, 0x60
	s_mov_b32 s0, exec_lo
	s_barrier_signal -1
	s_barrier_wait -1
	v_cmpx_eq_u32_e32 64, v1
; %bb.44:
	v_lshlrev_b32_e32 v1, 7, v12
	s_delay_alu instid0(VALU_DEP_1)
	v_add3_u32 v1, v2, v1, 0xffffff00
	ds_store_b32 v1, v7
; %bb.45:
	s_or_b32 exec_lo, exec_lo, s0
	v_and_b32_e32 v3, 0x3e0, v0
	s_mov_b32 s0, exec_lo
	s_wait_dscnt 0x0
	s_barrier_signal -1
	s_barrier_wait -1
	v_lshl_add_u32 v1, v3, 2, v2
	v_cmpx_gt_u32_e32 64, v0
	s_cbranch_execz .LBB63_47
; %bb.46:
	ds_load_b32 v4, v1
	s_wait_dscnt 0x0
	v_add_f32_e32 v7, v7, v4
.LBB63_47:
	s_or_b32 exec_lo, exec_lo, s0
	s_delay_alu instid0(SALU_CYCLE_1)
	s_mov_b32 s0, exec_lo
	s_barrier_signal -1
	s_barrier_wait -1
	v_cmpx_eq_u32_e32 32, v3
; %bb.48:
	ds_store_b32 v2, v7
; %bb.49:
	s_or_b32 exec_lo, exec_lo, s0
	v_cmp_gt_u32_e32 vcc_lo, 32, v0
	s_wait_dscnt 0x0
	s_barrier_signal -1
	s_barrier_wait -1
	s_and_saveexec_b32 s0, vcc_lo
	s_cbranch_execz .LBB63_51
; %bb.50:
	ds_load_b32 v0, v1
	s_wait_dscnt 0x0
	v_add_f32_e32 v7, v7, v0
.LBB63_51:
	s_or_b32 exec_lo, exec_lo, s0
	s_barrier_signal -1
	s_barrier_wait -1
	s_and_saveexec_b32 s0, vcc_lo
	s_cbranch_execz .LBB63_53
; %bb.52:
	s_wait_kmcnt 0x0
	s_mul_i32 s1, s20, s9
	s_bfe_u32 s5, ttmp6, 0x40014
	s_mul_i32 s1, s1, s19
	s_mul_i32 s0, s9, s8
	s_lshl_b32 s2, s1, 5
	s_lshr_b32 s4, ttmp7, 16
	s_ashr_i32 s3, s2, 31
	s_add_co_i32 s5, s5, 1
	s_lshl_b64 s[2:3], s[2:3], 1
	s_ashr_i32 s1, s0, 31
	s_add_nc_u64 s[2:3], s[6:7], s[2:3]
	s_mul_i32 s5, s4, s5
	s_bfe_u32 s6, ttmp6, 0x40008
	s_lshl_b64 s[0:1], s[0:1], 1
	s_add_co_i32 s6, s6, s5
	s_cmp_eq_u32 s18, 0
	s_add_nc_u64 s[0:1], s[2:3], s[0:1]
	s_cselect_b32 s2, s4, s6
	s_mov_b32 s3, 0
	s_lshl_b32 s2, s2, 6
	;;#ASMSTART
	v_cvt_f16_f32 v0, v7;

	;;#ASMEND
	s_add_nc_u64 s[0:1], s[0:1], s[2:3]
	global_store_b16 v13, v0, s[0:1] scale_offset
.LBB63_53:
	s_endpgm
	.section	.rodata,"a",@progbits
	.p2align	6, 0x0
	.amdhsa_kernel _ZN4vllm25paged_attention_v1_kernelIttLi32ELi8ELi128ELNS_18Fp8KVCacheDataTypeE0ELb0EEEvPT_PKS2_PKT0_S8_ifPKiSA_iPKfiiiSC_SC_iiiii
		.amdhsa_group_segment_fixed_size 96
		.amdhsa_private_segment_fixed_size 0
		.amdhsa_kernarg_size 384
		.amdhsa_user_sgpr_count 2
		.amdhsa_user_sgpr_dispatch_ptr 0
		.amdhsa_user_sgpr_queue_ptr 0
		.amdhsa_user_sgpr_kernarg_segment_ptr 1
		.amdhsa_user_sgpr_dispatch_id 0
		.amdhsa_user_sgpr_kernarg_preload_length 0
		.amdhsa_user_sgpr_kernarg_preload_offset 0
		.amdhsa_user_sgpr_private_segment_size 0
		.amdhsa_wavefront_size32 1
		.amdhsa_uses_dynamic_stack 0
		.amdhsa_enable_private_segment 0
		.amdhsa_system_sgpr_workgroup_id_x 1
		.amdhsa_system_sgpr_workgroup_id_y 1
		.amdhsa_system_sgpr_workgroup_id_z 1
		.amdhsa_system_sgpr_workgroup_info 0
		.amdhsa_system_vgpr_workitem_id 0
		.amdhsa_next_free_vgpr 31
		.amdhsa_next_free_sgpr 30
		.amdhsa_named_barrier_count 0
		.amdhsa_reserve_vcc 1
		.amdhsa_float_round_mode_32 0
		.amdhsa_float_round_mode_16_64 0
		.amdhsa_float_denorm_mode_32 3
		.amdhsa_float_denorm_mode_16_64 3
		.amdhsa_fp16_overflow 0
		.amdhsa_memory_ordered 1
		.amdhsa_forward_progress 1
		.amdhsa_inst_pref_size 30
		.amdhsa_round_robin_scheduling 0
		.amdhsa_exception_fp_ieee_invalid_op 0
		.amdhsa_exception_fp_denorm_src 0
		.amdhsa_exception_fp_ieee_div_zero 0
		.amdhsa_exception_fp_ieee_overflow 0
		.amdhsa_exception_fp_ieee_underflow 0
		.amdhsa_exception_fp_ieee_inexact 0
		.amdhsa_exception_int_div_zero 0
	.end_amdhsa_kernel
	.section	.text._ZN4vllm25paged_attention_v1_kernelIttLi32ELi8ELi128ELNS_18Fp8KVCacheDataTypeE0ELb0EEEvPT_PKS2_PKT0_S8_ifPKiSA_iPKfiiiSC_SC_iiiii,"axG",@progbits,_ZN4vllm25paged_attention_v1_kernelIttLi32ELi8ELi128ELNS_18Fp8KVCacheDataTypeE0ELb0EEEvPT_PKS2_PKT0_S8_ifPKiSA_iPKfiiiSC_SC_iiiii,comdat
.Lfunc_end63:
	.size	_ZN4vllm25paged_attention_v1_kernelIttLi32ELi8ELi128ELNS_18Fp8KVCacheDataTypeE0ELb0EEEvPT_PKS2_PKT0_S8_ifPKiSA_iPKfiiiSC_SC_iiiii, .Lfunc_end63-_ZN4vllm25paged_attention_v1_kernelIttLi32ELi8ELi128ELNS_18Fp8KVCacheDataTypeE0ELb0EEEvPT_PKS2_PKT0_S8_ifPKiSA_iPKfiiiSC_SC_iiiii
                                        ; -- End function
	.set _ZN4vllm25paged_attention_v1_kernelIttLi32ELi8ELi128ELNS_18Fp8KVCacheDataTypeE0ELb0EEEvPT_PKS2_PKT0_S8_ifPKiSA_iPKfiiiSC_SC_iiiii.num_vgpr, 31
	.set _ZN4vllm25paged_attention_v1_kernelIttLi32ELi8ELi128ELNS_18Fp8KVCacheDataTypeE0ELb0EEEvPT_PKS2_PKT0_S8_ifPKiSA_iPKfiiiSC_SC_iiiii.num_agpr, 0
	.set _ZN4vllm25paged_attention_v1_kernelIttLi32ELi8ELi128ELNS_18Fp8KVCacheDataTypeE0ELb0EEEvPT_PKS2_PKT0_S8_ifPKiSA_iPKfiiiSC_SC_iiiii.numbered_sgpr, 30
	.set _ZN4vllm25paged_attention_v1_kernelIttLi32ELi8ELi128ELNS_18Fp8KVCacheDataTypeE0ELb0EEEvPT_PKS2_PKT0_S8_ifPKiSA_iPKfiiiSC_SC_iiiii.num_named_barrier, 0
	.set _ZN4vllm25paged_attention_v1_kernelIttLi32ELi8ELi128ELNS_18Fp8KVCacheDataTypeE0ELb0EEEvPT_PKS2_PKT0_S8_ifPKiSA_iPKfiiiSC_SC_iiiii.private_seg_size, 0
	.set _ZN4vllm25paged_attention_v1_kernelIttLi32ELi8ELi128ELNS_18Fp8KVCacheDataTypeE0ELb0EEEvPT_PKS2_PKT0_S8_ifPKiSA_iPKfiiiSC_SC_iiiii.uses_vcc, 1
	.set _ZN4vllm25paged_attention_v1_kernelIttLi32ELi8ELi128ELNS_18Fp8KVCacheDataTypeE0ELb0EEEvPT_PKS2_PKT0_S8_ifPKiSA_iPKfiiiSC_SC_iiiii.uses_flat_scratch, 0
	.set _ZN4vllm25paged_attention_v1_kernelIttLi32ELi8ELi128ELNS_18Fp8KVCacheDataTypeE0ELb0EEEvPT_PKS2_PKT0_S8_ifPKiSA_iPKfiiiSC_SC_iiiii.has_dyn_sized_stack, 0
	.set _ZN4vllm25paged_attention_v1_kernelIttLi32ELi8ELi128ELNS_18Fp8KVCacheDataTypeE0ELb0EEEvPT_PKS2_PKT0_S8_ifPKiSA_iPKfiiiSC_SC_iiiii.has_recursion, 0
	.set _ZN4vllm25paged_attention_v1_kernelIttLi32ELi8ELi128ELNS_18Fp8KVCacheDataTypeE0ELb0EEEvPT_PKS2_PKT0_S8_ifPKiSA_iPKfiiiSC_SC_iiiii.has_indirect_call, 0
	.section	.AMDGPU.csdata,"",@progbits
; Kernel info:
; codeLenInByte = 3788
; TotalNumSgprs: 32
; NumVgprs: 31
; ScratchSize: 0
; MemoryBound: 0
; FloatMode: 240
; IeeeMode: 1
; LDSByteSize: 96 bytes/workgroup (compile time only)
; SGPRBlocks: 0
; VGPRBlocks: 1
; NumSGPRsForWavesPerEU: 32
; NumVGPRsForWavesPerEU: 31
; NamedBarCnt: 0
; Occupancy: 16
; WaveLimiterHint : 1
; COMPUTE_PGM_RSRC2:SCRATCH_EN: 0
; COMPUTE_PGM_RSRC2:USER_SGPR: 2
; COMPUTE_PGM_RSRC2:TRAP_HANDLER: 0
; COMPUTE_PGM_RSRC2:TGID_X_EN: 1
; COMPUTE_PGM_RSRC2:TGID_Y_EN: 1
; COMPUTE_PGM_RSRC2:TGID_Z_EN: 1
; COMPUTE_PGM_RSRC2:TIDIG_COMP_CNT: 0
	.section	.text._ZN4vllm25paged_attention_v1_kernelIttLi64ELi8ELi128ELNS_18Fp8KVCacheDataTypeE0ELb0EEEvPT_PKS2_PKT0_S8_ifPKiSA_iPKfiiiSC_SC_iiiii,"axG",@progbits,_ZN4vllm25paged_attention_v1_kernelIttLi64ELi8ELi128ELNS_18Fp8KVCacheDataTypeE0ELb0EEEvPT_PKS2_PKT0_S8_ifPKiSA_iPKfiiiSC_SC_iiiii,comdat
	.protected	_ZN4vllm25paged_attention_v1_kernelIttLi64ELi8ELi128ELNS_18Fp8KVCacheDataTypeE0ELb0EEEvPT_PKS2_PKT0_S8_ifPKiSA_iPKfiiiSC_SC_iiiii ; -- Begin function _ZN4vllm25paged_attention_v1_kernelIttLi64ELi8ELi128ELNS_18Fp8KVCacheDataTypeE0ELb0EEEvPT_PKS2_PKT0_S8_ifPKiSA_iPKfiiiSC_SC_iiiii
	.globl	_ZN4vllm25paged_attention_v1_kernelIttLi64ELi8ELi128ELNS_18Fp8KVCacheDataTypeE0ELb0EEEvPT_PKS2_PKT0_S8_ifPKiSA_iPKfiiiSC_SC_iiiii
	.p2align	8
	.type	_ZN4vllm25paged_attention_v1_kernelIttLi64ELi8ELi128ELNS_18Fp8KVCacheDataTypeE0ELb0EEEvPT_PKS2_PKT0_S8_ifPKiSA_iPKfiiiSC_SC_iiiii,@function
_ZN4vllm25paged_attention_v1_kernelIttLi64ELi8ELi128ELNS_18Fp8KVCacheDataTypeE0ELb0EEEvPT_PKS2_PKT0_S8_ifPKiSA_iPKfiiiSC_SC_iiiii: ; @_ZN4vllm25paged_attention_v1_kernelIttLi64ELi8ELi128ELNS_18Fp8KVCacheDataTypeE0ELb0EEEvPT_PKS2_PKT0_S8_ifPKiSA_iPKfiiiSC_SC_iiiii
; %bb.0:
	s_load_b64 s[10:11], s[0:1], 0x20
	s_bfe_u32 s3, ttmp6, 0x4000c
	s_bfe_u32 s5, ttmp6, 0x40010
	s_and_b32 s4, ttmp7, 0xffff
	s_add_co_i32 s3, s3, 1
	s_add_co_i32 s5, s5, 1
	s_and_b32 s2, ttmp6, 15
	s_bfe_u32 s6, ttmp6, 0x40004
	s_mul_i32 s3, ttmp9, s3
	s_mul_i32 s5, s4, s5
	s_getreg_b32 s20, hwreg(HW_REG_IB_STS2, 6, 4)
	s_add_co_i32 s7, s2, s3
	s_add_co_i32 s6, s6, s5
	s_cmp_eq_u32 s20, 0
	s_clause 0x1
	s_load_b32 s21, s[0:1], 0x80
	s_load_b64 s[2:3], s[0:1], 0x30
	s_cselect_b32 s22, s4, s6
	s_cselect_b32 s4, ttmp9, s7
	s_mov_b32 s13, 0
	s_delay_alu instid0(SALU_CYCLE_1) | instskip(SKIP_2) | instid1(SALU_CYCLE_1)
	s_mov_b32 s24, s13
	s_wait_kmcnt 0x0
	s_abs_i32 s5, s10
	s_cvt_f32_u32 s6, s5
	s_sub_co_i32 s7, 0, s5
	s_delay_alu instid0(SALU_CYCLE_2) | instskip(SKIP_2) | instid1(TRANS32_DEP_1)
	v_rcp_iflag_f32_e32 v1, s6
	s_abs_i32 s8, s21
	v_nop
	v_readfirstlane_b32 s6, v1
	s_mul_f32 s6, s6, 0x4f7ffffe
	s_delay_alu instid0(SALU_CYCLE_3) | instskip(NEXT) | instid1(SALU_CYCLE_3)
	s_cvt_u32_f32 s6, s6
	s_mul_i32 s7, s7, s6
	s_delay_alu instid0(SALU_CYCLE_1) | instskip(NEXT) | instid1(SALU_CYCLE_1)
	s_mul_hi_u32 s7, s6, s7
	s_add_co_i32 s6, s6, s7
	s_xor_b32 s7, s21, s10
	s_mul_hi_u32 s6, s8, s6
	s_ashr_i32 s7, s7, 31
	s_mul_i32 s9, s6, s5
	s_delay_alu instid0(SALU_CYCLE_1)
	s_sub_co_i32 s8, s8, s9
	s_add_co_i32 s9, s6, 1
	s_sub_co_i32 s10, s8, s5
	s_cmp_ge_u32 s8, s5
	s_cselect_b32 s6, s9, s6
	s_cselect_b32 s8, s10, s8
	s_add_co_i32 s9, s6, 1
	s_cmp_ge_u32 s8, s5
	s_cselect_b32 s5, s9, s6
	s_load_b64 s[8:9], s[0:1], 0x40
	s_xor_b32 s5, s5, s7
	s_abs_i32 s12, s4
	s_sub_co_i32 s14, s5, s7
	s_mov_b32 s7, s13
	s_abs_i32 s16, s14
	s_delay_alu instid0(SALU_CYCLE_1) | instskip(SKIP_1) | instid1(SALU_CYCLE_2)
	s_cvt_f32_u32 s5, s16
	s_sub_co_i32 s6, 0, s16
	v_rcp_iflag_f32_e32 v1, s5
	v_nop
	s_delay_alu instid0(TRANS32_DEP_1) | instskip(SKIP_1) | instid1(SALU_CYCLE_3)
	v_readfirstlane_b32 s5, v1
	s_mul_f32 s5, s5, 0x4f7ffffe
	s_cvt_u32_f32 s5, s5
	s_delay_alu instid0(SALU_CYCLE_3) | instskip(NEXT) | instid1(SALU_CYCLE_1)
	s_mul_i32 s6, s6, s5
	s_mul_hi_u32 s6, s5, s6
	s_delay_alu instid0(SALU_CYCLE_1)
	s_add_co_i32 s6, s5, s6
	s_wait_kmcnt 0x0
	s_cmp_eq_u64 s[8:9], 0
	s_cbranch_scc1 .LBB64_2
; %bb.1:
	s_ashr_i32 s5, s4, 31
	s_delay_alu instid0(SALU_CYCLE_1) | instskip(NEXT) | instid1(SALU_CYCLE_1)
	s_lshl_b64 s[18:19], s[4:5], 2
	s_add_nc_u64 s[8:9], s[8:9], s[18:19]
	s_load_b32 s24, s[8:9], 0x0
.LBB64_2:
	s_load_b32 s23, s[2:3], s22 offset:0x0 scale_offset
	s_wait_xcnt 0x0
	s_load_b96 s[8:10], s[0:1], 0x48
	v_and_b32_e32 v4, 3, v0
	v_cmp_gt_u32_e64 s2, 32, v0
	s_ashr_i32 s3, s4, 31
	s_ashr_i32 s5, s14, 31
	s_mul_u64 s[14:15], s[12:13], s[6:7]
	s_lshl_b32 s6, s4, 6
	s_and_saveexec_b32 s4, s2
	s_cbranch_execz .LBB64_4
; %bb.3:
	s_load_b64 s[18:19], s[0:1], 0x8
	s_wait_kmcnt 0x0
	s_mul_i32 s26, s8, s22
	s_ashr_i32 s7, s6, 31
	s_ashr_i32 s27, s26, 31
	v_and_b32_e32 v2, 0x3fc, v0
	s_lshl_b64 s[26:27], s[26:27], 1
	s_delay_alu instid0(VALU_DEP_1) | instskip(SKIP_2) | instid1(SALU_CYCLE_1)
	v_lshl_add_u32 v2, v4, 5, v2
	s_add_nc_u64 s[18:19], s[18:19], s[26:27]
	s_lshl_b64 s[26:27], s[6:7], 1
	s_add_nc_u64 s[18:19], s[18:19], s[26:27]
	global_load_b32 v1, v0, s[18:19] scale_offset
	s_wait_loadcnt 0x0
	ds_store_b32 v2, v1
.LBB64_4:
	s_or_b32 exec_lo, exec_lo, s4
	s_wait_kmcnt 0x0
	s_add_co_i32 s4, s23, 7
	s_load_b32 s7, s[0:1], 0x38
	s_ashr_i32 s8, s4, 31
	s_xor_b32 s3, s3, s5
	s_lshr_b32 s5, s8, 29
	s_mul_i32 s8, s15, s16
	s_add_co_i32 s4, s4, s5
	s_sub_co_i32 s5, s12, s8
	s_ashr_i32 s8, s4, 3
	s_add_co_i32 s4, s15, 1
	s_sub_co_i32 s12, s5, s16
	s_cmp_ge_u32 s5, s16
	v_lshrrev_b32_e32 v15, 5, v0
	s_cselect_b32 s4, s4, s15
	s_cselect_b32 s5, s12, s5
	s_add_co_i32 s12, s4, 1
	s_cmp_ge_u32 s5, s16
	v_mbcnt_lo_u32_b32 v8, -1, 0
	s_cselect_b32 s4, s12, s4
	s_mov_b32 s5, exec_lo
	s_xor_b32 s4, s4, s3
	s_wait_kmcnt 0x0
	s_mul_i32 s12, s7, s22
	s_sub_co_i32 s4, s4, s3
	v_cmp_gt_i32_e64 s3, s8, v15
	s_ashr_i32 s13, s12, 31
	s_wait_dscnt 0x0
	s_barrier_signal -1
	s_barrier_wait -1
                                        ; implicit-def: $vgpr3
                                        ; implicit-def: $vgpr9
	v_cmpx_le_i32_e64 s8, v15
	s_xor_b32 s5, exec_lo, s5
; %bb.5:
	v_dual_mov_b32 v3, 0 :: v_dual_mov_b32 v9, 32
	v_mbcnt_lo_u32_b32 v8, -1, 0
                                        ; implicit-def: $vgpr4
; %bb.6:
	s_or_saveexec_b32 s25, s5
	s_clause 0x1
	s_load_b64 s[14:15], s[0:1], 0x28
	s_load_b32 s7, s[0:1], 0x88
	v_dual_mov_b32 v10, 0xff7fffff :: v_dual_lshrrev_b32 v1, 3, v0
	s_mul_i32 s16, s4, s10
	s_xor_b32 exec_lo, exec_lo, s25
	s_cbranch_execz .LBB64_12
; %bb.7:
	s_load_b64 s[4:5], s[0:1], 0x10
	v_bfe_u32 v6, v0, 2, 3
	s_ashr_i32 s17, s16, 31
	v_dual_mov_b32 v3, 0 :: v_dual_lshlrev_b32 v7, 2, v0
	s_delay_alu instid0(VALU_DEP_2)
	v_dual_lshlrev_b32 v11, 5, v4 :: v_dual_lshlrev_b32 v2, 4, v6
	s_lshl_b64 s[26:27], s[16:17], 1
	v_cmp_eq_u32_e32 vcc_lo, 0, v4
	v_lshlrev_b32_e32 v12, 2, v6
	s_ashr_i32 s19, s9, 31
	s_cmp_neq_f32 s24, 0
	v_dual_mov_b32 v10, 0xff7fffff :: v_dual_mov_b32 v9, 32
	v_xor_b32_e32 v14, 1, v8
	s_mov_b32 s18, s9
	s_mov_b32 s10, 0
	v_mov_b32_e32 v16, v15
	s_wait_kmcnt 0x0
	s_add_nc_u64 s[4:5], s[4:5], s[26:27]
	s_delay_alu instid0(SALU_CYCLE_1)
	v_add_nc_u64_e32 v[4:5], s[4:5], v[2:3]
	v_and_b32_e32 v2, 12, v7
	v_lshl_or_b32 v7, v15, 5, v12
	s_cselect_b32 s4, -1, 0
	s_lshl_b64 s[26:27], s[12:13], 2
	v_lshl_or_b32 v12, v15, 3, v6
	s_add_nc_u64 s[26:27], s[14:15], s[26:27]
	v_add_nc_u64_e32 v[4:5], v[4:5], v[2:3]
	v_and_b32_e32 v2, 0x7c, v1
	v_add_nc_u32_e32 v13, 0xa0, v7
	s_sub_co_i32 s17, 1, s23
	s_delay_alu instid0(VALU_DEP_2)
	v_add_nc_u64_e32 v[6:7], s[26:27], v[2:3]
	v_xor_b32_e32 v2, 2, v8
	s_branch .LBB64_9
.LBB64_8:                               ;   in Loop: Header=BB64_9 Depth=1
	s_or_b32 exec_lo, exec_lo, s26
	v_add_nc_u32_e32 v16, 4, v16
	v_add_nc_u64_e32 v[6:7], 16, v[6:7]
	v_add_nc_u32_e32 v12, 32, v12
	v_add_nc_u32_e32 v13, 0x80, v13
	s_delay_alu instid0(VALU_DEP_4) | instskip(SKIP_1) | instid1(SALU_CYCLE_1)
	v_cmp_le_i32_e64 s5, s8, v16
	s_or_b32 s10, s5, s10
	s_and_not1_b32 exec_lo, exec_lo, s10
	s_cbranch_execz .LBB64_11
.LBB64_9:                               ; =>This Inner Loop Header: Depth=1
	s_wait_dscnt 0x0
	global_load_b32 v18, v[6:7], off
	v_cmp_gt_i32_e64 s5, 32, v2
	s_wait_loadcnt 0x0
	v_ashrrev_i32_e32 v19, 31, v18
	s_delay_alu instid0(VALU_DEP_1) | instskip(NEXT) | instid1(VALU_DEP_1)
	v_mul_u64_e32 v[18:19], s[18:19], v[18:19]
	v_lshl_add_u64 v[18:19], v[18:19], 1, v[4:5]
	s_clause 0x7
	global_load_b32 v17, v[18:19], off
	global_load_b32 v20, v[18:19], off offset:128
	global_load_b32 v21, v[18:19], off offset:256
	;; [unrolled: 1-line block ×7, first 2 shown]
	s_wait_xcnt 0x0
	ds_load_b32 v18, v11
	s_wait_dscnt 0x0
	v_and_b32_e32 v19, 0xffff, v18
	v_lshrrev_b32_e32 v18, 16, v18
	;;#ASMSTART
	v_cvt_f32_f16 v28, v19;
	;;#ASMEND
	;;#ASMSTART
	v_cvt_f32_f16 v29, v18;
	;;#ASMEND
	s_wait_loadcnt 0x7
	v_and_b32_e32 v27, 0xffff, v17
	v_lshrrev_b32_e32 v17, 16, v17
	;;#ASMSTART
	v_cvt_f32_f16 v27, v27;
	;;#ASMEND
	s_wait_loadcnt 0x6
	v_and_b32_e32 v19, 0xffff, v20
	v_lshrrev_b32_e32 v20, 16, v20
	;;#ASMSTART
	v_cvt_f32_f16 v30, v17;
	;;#ASMEND
	ds_load_b32 v17, v11 offset:4
	s_wait_loadcnt 0x4
	v_and_b32_e32 v36, 0xffff, v22
	v_and_b32_e32 v33, 0xffff, v21
	v_lshrrev_b32_e32 v21, 16, v21
	s_wait_loadcnt 0x3
	v_and_b32_e32 v39, 0xffff, v23
	s_wait_loadcnt 0x2
	v_and_b32_e32 v42, 0xffff, v24
	v_dual_lshrrev_b32 v24, 16, v24 :: v_dual_lshrrev_b32 v22, 16, v22
	v_lshrrev_b32_e32 v23, 16, v23
	s_wait_dscnt 0x0
	v_and_b32_e32 v18, 0xffff, v17
	v_lshrrev_b32_e32 v17, 16, v17
	;;#ASMSTART
	v_cvt_f32_f16 v18, v18;
	;;#ASMEND
	;;#ASMSTART
	v_cvt_f32_f16 v31, v17;
	;;#ASMEND
	;; [unrolled: 3-line block ×4, first 2 shown]
	ds_load_b32 v17, v11 offset:8
	v_dual_mul_f32 v18, v18, v19 :: v_dual_mul_f32 v19, v31, v20
	s_wait_loadcnt 0x1
	v_lshrrev_b32_e32 v44, 16, v25
	v_and_b32_e32 v25, 0xffff, v25
	s_delay_alu instid0(VALU_DEP_3)
	v_dual_fmac_f32 v18, v28, v27 :: v_dual_fmac_f32 v19, v29, v30
	s_wait_dscnt 0x0
	v_and_b32_e32 v32, 0xffff, v17
	v_lshrrev_b32_e32 v17, 16, v17
	;;#ASMSTART
	v_cvt_f32_f16 v32, v32;
	;;#ASMEND
	;;#ASMSTART
	v_cvt_f32_f16 v34, v17;
	;;#ASMEND
	;;#ASMSTART
	v_cvt_f32_f16 v33, v33;
	;;#ASMEND
	;;#ASMSTART
	v_cvt_f32_f16 v21, v21;
	;;#ASMEND
	ds_load_b32 v17, v11 offset:12
	s_wait_loadcnt 0x0
	v_dual_fmac_f32 v19, v34, v21 :: v_dual_lshrrev_b32 v21, 16, v26
	s_wait_dscnt 0x0
	v_and_b32_e32 v35, 0xffff, v17
	v_lshrrev_b32_e32 v17, 16, v17
	;;#ASMSTART
	v_cvt_f32_f16 v35, v35;
	;;#ASMEND
	;;#ASMSTART
	v_cvt_f32_f16 v37, v17;
	;;#ASMEND
	;;#ASMSTART
	v_cvt_f32_f16 v36, v36;
	;;#ASMEND
	;;#ASMSTART
	v_cvt_f32_f16 v22, v22;
	;;#ASMEND
	ds_load_b32 v17, v11 offset:16
	s_wait_dscnt 0x0
	v_and_b32_e32 v38, 0xffff, v17
	v_lshrrev_b32_e32 v17, 16, v17
	;;#ASMSTART
	v_cvt_f32_f16 v38, v38;
	;;#ASMEND
	;;#ASMSTART
	v_cvt_f32_f16 v40, v17;
	;;#ASMEND
	;;#ASMSTART
	v_cvt_f32_f16 v39, v39;
	;;#ASMEND
	;;#ASMSTART
	v_cvt_f32_f16 v23, v23;
	;;#ASMEND
	ds_load_b32 v17, v11 offset:20
	;; [unrolled: 16-line block ×3, first 2 shown]
	s_wait_dscnt 0x0
	v_and_b32_e32 v20, 0xffff, v17
	;;#ASMSTART
	v_cvt_f32_f16 v27, v20;
	;;#ASMEND
	v_cndmask_b32_e64 v20, v8, v2, s5
	v_dual_fmac_f32 v18, v32, v33 :: v_dual_fmac_f32 v19, v37, v22
	v_lshrrev_b32_e32 v17, 16, v17
	v_cmp_gt_i32_e64 s5, 32, v14
	s_delay_alu instid0(VALU_DEP_3)
	v_fmac_f32_e32 v18, v35, v36
	;;#ASMSTART
	v_cvt_f32_f16 v28, v17;
	;;#ASMEND
	;;#ASMSTART
	v_cvt_f32_f16 v25, v25;
	;;#ASMEND
	;; [unrolled: 3-line block ×3, first 2 shown]
	ds_load_b32 v17, v11 offset:28
	v_fmac_f32_e32 v18, v38, v39
	v_fmac_f32_e32 v19, v40, v23
	v_and_b32_e32 v23, 0xffff, v26
	s_delay_alu instid0(VALU_DEP_2) | instskip(NEXT) | instid1(VALU_DEP_1)
	v_dual_fmac_f32 v18, v41, v42 :: v_dual_fmac_f32 v19, v43, v24
	v_fmac_f32_e32 v18, v27, v25
	s_wait_dscnt 0x0
	v_and_b32_e32 v22, 0xffff, v17
	v_lshrrev_b32_e32 v17, 16, v17
	;;#ASMSTART
	v_cvt_f32_f16 v22, v22;
	;;#ASMEND
	;;#ASMSTART
	v_cvt_f32_f16 v17, v17;
	;;#ASMEND
	;; [unrolled: 3-line block ×3, first 2 shown]
	v_fmac_f32_e32 v19, v28, v29
	;;#ASMSTART
	v_cvt_f32_f16 v21, v21;
	;;#ASMEND
	s_delay_alu instid0(VALU_DEP_1) | instskip(SKIP_1) | instid1(VALU_DEP_1)
	v_dual_fmac_f32 v19, v17, v21 :: v_dual_lshlrev_b32 v17, 2, v20
	v_fmac_f32_e32 v18, v22, v23
	v_dual_add_f32 v18, v18, v19 :: v_dual_cndmask_b32 v19, v8, v14, s5
	ds_bpermute_b32 v17, v17, v18
	s_wait_dscnt 0x0
	v_dual_add_f32 v17, v18, v17 :: v_dual_lshlrev_b32 v18, 2, v19
	ds_bpermute_b32 v18, v18, v17
	s_and_saveexec_b32 s26, vcc_lo
	s_cbranch_execz .LBB64_8
; %bb.10:                               ;   in Loop: Header=BB64_9 Depth=1
	s_wait_dscnt 0x0
	v_dual_add_nc_u32 v19, s17, v12 :: v_dual_add_f32 v17, v17, v18
	v_cmp_gt_i32_e64 s5, s23, v12
	s_delay_alu instid0(VALU_DEP_2) | instskip(NEXT) | instid1(VALU_DEP_1)
	v_cvt_f32_i32_e32 v19, v19
	v_mul_f32_e32 v19, s24, v19
	s_delay_alu instid0(VALU_DEP_1) | instskip(NEXT) | instid1(VALU_DEP_1)
	v_dual_cndmask_b32 v18, 0, v19, s4 :: v_dual_max_num_f32 v19, v10, v10
	v_fmac_f32_e32 v18, s11, v17
	s_delay_alu instid0(VALU_DEP_1) | instskip(NEXT) | instid1(VALU_DEP_1)
	v_dual_max_num_f32 v17, v19, v18 :: v_dual_cndmask_b32 v18, 0, v18, s5
	v_cndmask_b32_e64 v10, v10, v17, s5
	ds_store_b32 v13, v18
	s_branch .LBB64_8
.LBB64_11:
	s_or_b32 exec_lo, exec_lo, s10
.LBB64_12:
	s_delay_alu instid0(SALU_CYCLE_1)
	s_or_b32 exec_lo, exec_lo, s25
	v_dual_max_num_f32 v6, v10, v10 :: v_dual_bitop2_b32 v2, 16, v8 bitop3:0x14
	s_clause 0x1
	s_load_b64 s[10:11], s[0:1], 0x0
	s_load_b64 s[18:19], s[0:1], 0x18
	v_and_b32_e32 v16, 31, v0
	v_xor_b32_e32 v5, 8, v8
	v_cmp_lt_i32_e32 vcc_lo, v2, v9
	v_cndmask_b32_e32 v2, v8, v2, vcc_lo
	s_delay_alu instid0(VALU_DEP_3) | instskip(NEXT) | instid1(VALU_DEP_2)
	v_cmp_lt_i32_e32 vcc_lo, v5, v9
	v_dual_cndmask_b32 v5, v8, v5 :: v_dual_lshlrev_b32 v2, 2, v2
	ds_bpermute_b32 v4, v2, v10
	s_wait_dscnt 0x0
	v_dual_max_num_f32 v7, v4, v4 :: v_dual_lshlrev_b32 v4, 2, v5
	s_delay_alu instid0(VALU_DEP_1) | instskip(SKIP_4) | instid1(VALU_DEP_1)
	v_dual_max_num_f32 v5, v6, v7 :: v_dual_bitop2_b32 v7, 4, v8 bitop3:0x14
	ds_bpermute_b32 v6, v4, v5
	v_cmp_lt_i32_e32 vcc_lo, v7, v9
	v_cndmask_b32_e32 v7, v8, v7, vcc_lo
	s_wait_dscnt 0x0
	v_dual_max_num_f32 v6, v6, v6 :: v_dual_lshlrev_b32 v7, 2, v7
	s_delay_alu instid0(VALU_DEP_1)
	v_dual_max_num_f32 v6, v5, v6 :: v_dual_lshlrev_b32 v5, 2, v15
	v_cmp_eq_u32_e32 vcc_lo, 0, v16
	ds_bpermute_b32 v10, v7, v6
	s_wait_xcnt 0x0
	s_and_saveexec_b32 s0, vcc_lo
	s_cbranch_execz .LBB64_14
; %bb.13:
	s_wait_dscnt 0x0
	v_max_num_f32_e32 v10, v10, v10
	v_max_num_f32_e32 v6, v6, v6
	s_delay_alu instid0(VALU_DEP_1)
	v_max_num_f32_e32 v6, v6, v10
	ds_store_b32 v5, v6 offset:128
.LBB64_14:
	s_or_b32 exec_lo, exec_lo, s0
	v_cmp_gt_u32_e64 s0, 4, v16
	v_dual_mov_b32 v11, 0xff7fffff :: v_dual_lshlrev_b32 v6, 2, v16
	s_wait_dscnt 0x0
	s_barrier_signal -1
	s_barrier_wait -1
	s_and_saveexec_b32 s1, s0
; %bb.15:
	ds_load_b32 v11, v6 offset:128
; %bb.16:
	s_or_b32 exec_lo, exec_lo, s1
	v_xor_b32_e32 v10, 2, v8
	v_dual_lshlrev_b32 v3, 2, v3 :: v_dual_bitop2_b32 v13, 1, v8 bitop3:0x14
	s_delay_alu instid0(VALU_DEP_2) | instskip(NEXT) | instid1(VALU_DEP_1)
	v_cmp_lt_i32_e64 s1, v10, v9
	v_cndmask_b32_e64 v10, v8, v10, s1
	s_delay_alu instid0(VALU_DEP_3) | instskip(NEXT) | instid1(VALU_DEP_1)
	v_cmp_lt_i32_e64 s1, v13, v9
	v_dual_lshlrev_b32 v10, 2, v10 :: v_dual_cndmask_b32 v9, v8, v13, s1
	s_lshl_b32 s1, s8, 3
	s_delay_alu instid0(SALU_CYCLE_1)
	s_min_i32 s5, s1, s23
	s_wait_dscnt 0x0
	ds_bpermute_b32 v12, v10, v11
	v_dual_max_num_f32 v11, v11, v11 :: v_dual_lshlrev_b32 v9, 2, v9
	v_cmp_gt_i32_e64 s1, s5, v0
	s_wait_dscnt 0x0
	v_max_num_f32_e32 v12, v12, v12
	s_delay_alu instid0(VALU_DEP_1) | instskip(SKIP_3) | instid1(VALU_DEP_1)
	v_max_num_f32_e32 v11, v11, v12
	ds_bpermute_b32 v12, v9, v11
	s_wait_dscnt 0x0
	v_max_num_f32_e32 v12, v12, v12
	v_max_num_f32_e32 v11, v11, v12
	ds_bpermute_b32 v11, v3, v11
	v_mov_b32_e32 v3, 0
	s_and_saveexec_b32 s17, s1
	s_cbranch_execz .LBB64_20
; %bb.17:
	v_lshl_add_u32 v12, v0, 2, 0xa0
	v_dual_mov_b32 v3, 0 :: v_dual_mov_b32 v13, v0
	s_mov_b32 s24, 0
.LBB64_18:                              ; =>This Inner Loop Header: Depth=1
	ds_load_b32 v14, v12
	v_add_nc_u32_e32 v13, 0x80, v13
	s_delay_alu instid0(VALU_DEP_1) | instskip(SKIP_3) | instid1(VALU_DEP_1)
	v_cmp_le_i32_e64 s4, s5, v13
	s_or_b32 s24, s4, s24
	s_wait_dscnt 0x0
	v_sub_f32_e32 v14, v14, v11
	v_mul_f32_e32 v14, 0x3fb8aa3b, v14
	s_delay_alu instid0(VALU_DEP_1)
	v_exp_f32_e32 v14, v14
	ds_store_b32 v12, v14
	v_nop
	v_dual_add_f32 v3, v3, v14 :: v_dual_add_nc_u32 v12, 0x200, v12
	s_and_not1_b32 exec_lo, exec_lo, s24
	s_cbranch_execnz .LBB64_18
; %bb.19:
	s_or_b32 exec_lo, exec_lo, s24
.LBB64_20:
	s_delay_alu instid0(SALU_CYCLE_1)
	s_or_b32 exec_lo, exec_lo, s17
	ds_bpermute_b32 v2, v2, v3
	s_wait_dscnt 0x0
	v_add_f32_e32 v2, v3, v2
	ds_bpermute_b32 v3, v4, v2
	s_wait_dscnt 0x0
	v_add_f32_e32 v2, v2, v3
	;; [unrolled: 3-line block ×5, first 2 shown]
	s_and_saveexec_b32 s4, vcc_lo
; %bb.21:
	ds_store_b32 v5, v2 offset:144
; %bb.22:
	s_or_b32 exec_lo, exec_lo, s4
	s_wait_dscnt 0x0
	s_barrier_signal -1
	s_barrier_wait -1
	s_and_saveexec_b32 s4, s0
; %bb.23:
	ds_load_b32 v2, v6 offset:144
; %bb.24:
	s_or_b32 exec_lo, exec_lo, s4
	s_wait_dscnt 0x0
	ds_bpermute_b32 v3, v10, v2
	s_wait_dscnt 0x0
	v_dual_lshlrev_b32 v4, 2, v8 :: v_dual_add_f32 v2, v2, v3
	ds_bpermute_b32 v3, v9, v2
	s_wait_dscnt 0x0
	v_add_f32_e32 v2, v2, v3
	v_and_b32_e32 v3, 0xffffff80, v4
	ds_bpermute_b32 v2, v3, v2
	s_and_saveexec_b32 s0, s1
	s_cbranch_execz .LBB64_37
; %bb.25:
	s_wait_dscnt 0x0
	v_add_f32_e32 v2, 0x358637bd, v2
	s_mov_b32 s4, -1
	s_mov_b32 s1, exec_lo
	s_delay_alu instid0(VALU_DEP_1) | instskip(NEXT) | instid1(VALU_DEP_1)
	v_div_scale_f32 v3, null, v2, v2, 1.0
	v_rcp_f32_e32 v5, v3
	v_nop
	s_delay_alu instid0(TRANS32_DEP_1) | instskip(NEXT) | instid1(VALU_DEP_1)
	v_fma_f32 v4, -v3, v5, 1.0
	v_fmac_f32_e32 v5, v4, v5
	v_div_scale_f32 v6, vcc_lo, 1.0, v2, 1.0
	s_delay_alu instid0(VALU_DEP_1) | instskip(NEXT) | instid1(VALU_DEP_1)
	v_mul_f32_e32 v7, v6, v5
	v_fma_f32 v4, -v3, v7, v6
	s_delay_alu instid0(VALU_DEP_1) | instskip(SKIP_1) | instid1(VALU_DEP_2)
	v_fmac_f32_e32 v7, v4, v5
	v_xad_u32 v4, v0, -1, s5
	v_fma_f32 v3, -v3, v7, v6
	s_delay_alu instid0(VALU_DEP_1) | instskip(NEXT) | instid1(VALU_DEP_1)
	v_div_fmas_f32 v3, v3, v5, v7
	v_div_fixup_f32 v2, v3, v2, 1.0
	v_mov_b32_e32 v3, v0
	v_cmpx_lt_u32_e32 0x7f, v4
	s_cbranch_execz .LBB64_34
; %bb.26:
	s_delay_alu instid0(VALU_DEP_3) | instskip(NEXT) | instid1(VALU_DEP_1)
	v_dual_mov_b32 v3, v2 :: v_dual_lshrrev_b32 v4, 7, v4
	v_dual_mov_b32 v8, 0 :: v_dual_add_nc_u32 v5, -1, v4
	s_delay_alu instid0(VALU_DEP_1) | instskip(SKIP_1) | instid1(VALU_DEP_2)
	v_lshrrev_b32_e32 v6, 1, v5
	v_cmp_lt_u32_e32 vcc_lo, 13, v5
	v_add_nc_u32_e32 v5, 1, v6
	s_and_saveexec_b32 s4, vcc_lo
	s_cbranch_execz .LBB64_30
; %bb.27:
	s_delay_alu instid0(VALU_DEP_1)
	v_and_b32_e32 v6, -8, v5
	v_lshl_add_u32 v7, v0, 2, 0xa0
	s_mov_b32 s17, 0
	s_mov_b32 s24, 0
.LBB64_28:                              ; =>This Inner Loop Header: Depth=1
	ds_load_2addr_stride64_b32 v[8:9], v7 offset1:2
	ds_load_2addr_stride64_b32 v[10:11], v7 offset0:4 offset1:6
	ds_load_2addr_stride64_b32 v[12:13], v7 offset0:8 offset1:10
	;; [unrolled: 1-line block ×7, first 2 shown]
	s_add_co_i32 s24, s24, 16
	v_add_nc_u32_e32 v6, -8, v6
	s_wait_dscnt 0x7
	v_pk_mul_f32 v[8:9], v[2:3], v[8:9]
	s_wait_dscnt 0x6
	v_pk_mul_f32 v[10:11], v[2:3], v[10:11]
	;; [unrolled: 2-line block ×8, first 2 shown]
	ds_store_2addr_stride64_b32 v7, v8, v9 offset1:2
	ds_store_2addr_stride64_b32 v7, v10, v11 offset0:4 offset1:6
	ds_store_2addr_stride64_b32 v7, v12, v13 offset0:8 offset1:10
	;; [unrolled: 1-line block ×7, first 2 shown]
	v_mov_b32_e32 v8, s24
	v_cmp_eq_u32_e32 vcc_lo, 0, v6
	v_add_nc_u32_e32 v7, 0x2000, v7
	s_or_b32 s17, vcc_lo, s17
	s_delay_alu instid0(SALU_CYCLE_1)
	s_and_not1_b32 exec_lo, exec_lo, s17
	s_cbranch_execnz .LBB64_28
; %bb.29:
	s_or_b32 exec_lo, exec_lo, s17
.LBB64_30:
	s_delay_alu instid0(SALU_CYCLE_1) | instskip(NEXT) | instid1(VALU_DEP_1)
	s_or_b32 exec_lo, exec_lo, s4
	v_and_b32_e32 v5, 7, v5
	s_mov_b32 s17, 0
	s_mov_b32 s4, exec_lo
	s_delay_alu instid0(VALU_DEP_1)
	v_cmpx_ne_u32_e32 0, v5
	s_cbranch_execz .LBB64_33
; %bb.31:
	v_lshlrev_b32_e32 v6, 9, v8
	v_lshlrev_b32_e32 v7, 2, v0
	s_delay_alu instid0(VALU_DEP_1)
	v_add3_u32 v6, v6, v7, 0xa0
.LBB64_32:                              ; =>This Inner Loop Header: Depth=1
	ds_load_2addr_stride64_b32 v[8:9], v6 offset1:2
	v_add_nc_u32_e32 v5, -1, v5
	s_delay_alu instid0(VALU_DEP_1)
	v_cmp_eq_u32_e32 vcc_lo, 0, v5
	s_or_b32 s17, vcc_lo, s17
	s_wait_dscnt 0x0
	v_pk_mul_f32 v[8:9], v[2:3], v[8:9]
	ds_store_2addr_stride64_b32 v6, v8, v9 offset1:2
	v_add_nc_u32_e32 v6, 0x400, v6
	s_and_not1_b32 exec_lo, exec_lo, s17
	s_cbranch_execnz .LBB64_32
.LBB64_33:
	s_or_b32 exec_lo, exec_lo, s4
	v_add_nc_u32_e32 v3, 1, v4
	s_delay_alu instid0(VALU_DEP_1) | instskip(NEXT) | instid1(VALU_DEP_1)
	v_and_b32_e32 v4, 0x3fffffe, v3
	v_cmp_ne_u32_e32 vcc_lo, v3, v4
	v_lshl_add_u32 v3, v4, 7, v0
	s_or_not1_b32 s4, vcc_lo, exec_lo
.LBB64_34:
	s_or_b32 exec_lo, exec_lo, s1
	s_delay_alu instid0(SALU_CYCLE_1)
	s_and_b32 exec_lo, exec_lo, s4
	s_cbranch_execz .LBB64_37
; %bb.35:
	v_lshl_add_u32 v4, v3, 2, 0xa0
	s_mov_b32 s1, 0
.LBB64_36:                              ; =>This Inner Loop Header: Depth=1
	ds_load_b32 v5, v4
	v_add_nc_u32_e32 v3, 0x80, v3
	s_delay_alu instid0(VALU_DEP_1)
	v_cmp_le_i32_e32 vcc_lo, s5, v3
	s_or_b32 s1, vcc_lo, s1
	s_wait_dscnt 0x0
	v_mul_f32_e32 v5, v2, v5
	ds_store_b32 v4, v5
	v_add_nc_u32_e32 v4, 0x200, v4
	s_and_not1_b32 exec_lo, exec_lo, s1
	s_cbranch_execnz .LBB64_36
.LBB64_37:
	s_or_b32 exec_lo, exec_lo, s0
	v_mov_b64_e32 v[6:7], 0
	s_wait_dscnt 0x0
	s_barrier_signal -1
	s_barrier_wait -1
	s_and_saveexec_b32 s1, s3
	s_cbranch_execz .LBB64_45
; %bb.38:
	s_ashr_i32 s17, s16, 31
	v_dual_mov_b32 v7, 0 :: v_dual_lshlrev_b32 v6, 4, v16
	s_lshl_b64 s[16:17], s[16:17], 1
	s_lshl_b64 s[12:13], s[12:13], 2
	s_wait_kmcnt 0x0
	s_add_nc_u64 s[16:17], s[18:19], s[16:17]
	s_add_nc_u64 s[12:13], s[14:15], s[12:13]
	v_add_nc_u64_e32 v[8:9], s[16:17], v[6:7]
	v_and_b32_e32 v6, 0x7c, v1
	v_lshlrev_b32_e32 v17, 3, v15
	v_lshl_add_u32 v18, v15, 5, 0xa0
	v_mov_b32_e32 v19, v15
	s_ashr_i32 s5, s9, 31
	v_add_nc_u64_e32 v[10:11], s[12:13], v[6:7]
	v_mov_b32_e32 v6, v7
	s_mov_b32 s4, s9
	s_add_co_i32 s3, s8, -1
	s_mov_b32 s12, s23
	s_mov_b32 s9, 0
	s_branch .LBB64_40
.LBB64_39:                              ;   in Loop: Header=BB64_40 Depth=1
	s_or_b32 exec_lo, exec_lo, s0
	v_dual_lshlrev_b32 v12, 16, v12 :: v_dual_lshlrev_b32 v1, 16, v1
	s_delay_alu instid0(VALU_DEP_2) | instskip(SKIP_2) | instid1(VALU_DEP_4)
	v_lshlrev_b32_e32 v13, 16, v13
	v_add_nc_u64_e32 v[10:11], 16, v[10:11]
	v_add_nc_u32_e32 v18, 0x80, v18
	v_and_or_b32 v2, 0xffff, v2, v12
	v_and_or_b32 v1, 0xffff, v3, v1
	;; [unrolled: 1-line block ×3, first 2 shown]
	;;#ASMSTART
	v_pk_mul_f16 v2, v28, v2;

	;;#ASMEND
	;;#ASMSTART
	v_pk_mul_f16 v1, v14, v1;

	;;#ASMEND
	;; [unrolled: 4-line block ×4, first 2 shown]
	;;#ASMSTART
	v_pk_add_f16 v1, v2, v1;

	;;#ASMEND
	;;#ASMSTART
	v_pk_add_f16 v1, v1, v3;

	;;#ASMEND
	;; [unrolled: 4-line block ×3, first 2 shown]
	v_and_b32_e32 v2, 0xffff, v1
	v_dual_lshrrev_b32 v3, 16, v1 :: v_dual_add_nc_u32 v19, 4, v19
	;;#ASMSTART
	v_cvt_f32_f16 v2, v2;
	;;#ASMEND
	v_add_f32_e32 v1, v30, v31
	;;#ASMSTART
	v_cvt_f32_f16 v3, v3;
	;;#ASMEND
	s_delay_alu instid0(VALU_DEP_2) | instskip(SKIP_1) | instid1(VALU_DEP_2)
	v_dual_add_f32 v2, v2, v3 :: v_dual_add_nc_u32 v17, 32, v17
	v_cmp_le_i32_e32 vcc_lo, s8, v19
	v_dual_add_f32 v6, v6, v1 :: v_dual_add_f32 v7, v7, v2
	s_or_b32 s9, vcc_lo, s9
	s_delay_alu instid0(SALU_CYCLE_1)
	s_and_not1_b32 exec_lo, exec_lo, s9
	s_cbranch_execz .LBB64_44
.LBB64_40:                              ; =>This Inner Loop Header: Depth=1
	global_load_b32 v2, v[10:11], off
	v_cmp_eq_u32_e32 vcc_lo, s3, v19
	v_dual_add_nc_u32 v25, 2, v17 :: v_dual_bitop2_b32 v24, 1, v17 bitop3:0x54
	s_wait_loadcnt 0x0
	v_ashrrev_i32_e32 v3, 31, v2
	s_delay_alu instid0(VALU_DEP_1)
	v_mul_u64_e32 v[12:13], s[4:5], v[2:3]
	ds_load_2addr_b64 v[2:5], v18 offset1:1
	ds_load_2addr_b64 v[20:23], v18 offset0:2 offset1:3
	s_wait_dscnt 0x1
	;;#ASMSTART
	v_cvt_f16_f32 v33, v2;

	;;#ASMEND
	;;#ASMSTART
	v_cvt_f16_f32 v28, v3;

	;;#ASMEND
	;; [unrolled: 4-line block ×4, first 2 shown]
	s_wait_dscnt 0x0
	;;#ASMSTART
	v_cvt_f16_f32 v35, v20;

	;;#ASMEND
	;;#ASMSTART
	v_cvt_f16_f32 v30, v21;

	;;#ASMEND
	;; [unrolled: 4-line block ×4, first 2 shown]
	v_dual_add_nc_u32 v21, 4, v17 :: v_dual_add_nc_u32 v20, 5, v17
	v_dual_add_nc_u32 v23, 6, v17 :: v_dual_add_nc_u32 v22, 7, v17
	v_lshl_add_u64 v[12:13], v[12:13], 1, v[8:9]
	global_load_b128 v[2:5], v[12:13], off
	s_wait_loadcnt 0x0
	v_dual_lshrrev_b32 v1, 16, v3 :: v_dual_bitop2_b32 v26, 3, v17 bitop3:0x54
	v_dual_lshrrev_b32 v14, 16, v2 :: v_dual_lshrrev_b32 v27, 16, v4
	s_and_saveexec_b32 s13, vcc_lo
	s_cbranch_execz .LBB64_42
; %bb.41:                               ;   in Loop: Header=BB64_40 Depth=1
	v_cmp_gt_i32_e64 s0, s23, v17
	v_and_b32_e32 v36, 0xffff, v5
	v_and_b32_e32 v5, 0xffff0000, v5
	s_delay_alu instid0(VALU_DEP_3) | instskip(SKIP_1) | instid1(VALU_DEP_1)
	v_cndmask_b32_e64 v2, 0, v2, s0
	v_cmp_gt_i32_e64 s0, s23, v25
	v_cndmask_b32_e64 v3, 0, v3, s0
	v_cmp_gt_i32_e64 s0, s12, v26
	s_delay_alu instid0(VALU_DEP_1) | instskip(SKIP_1) | instid1(VALU_DEP_1)
	v_cndmask_b32_e64 v1, 0, v1, s0
	v_cmp_gt_i32_e64 s0, s23, v24
	v_cndmask_b32_e64 v14, 0, v14, s0
	v_cmp_gt_i32_e64 s0, s23, v23
	s_delay_alu instid0(VALU_DEP_1) | instskip(SKIP_1) | instid1(VALU_DEP_1)
	;; [unrolled: 5-line block ×3, first 2 shown]
	v_dual_cndmask_b32 v4, 0, v4, s0 :: v_dual_bitop2_b32 v5, v36, v5 bitop3:0x54
	v_cmp_gt_i32_e64 s0, s23, v20
	v_cndmask_b32_e64 v27, 0, v27, s0
.LBB64_42:                              ;   in Loop: Header=BB64_40 Depth=1
	s_or_b32 exec_lo, exec_lo, s13
	v_and_b32_e32 v34, 0xffff, v34
	v_dual_lshlrev_b32 v36, 16, v14 :: v_dual_lshlrev_b32 v1, 16, v1
	v_and_b32_e32 v33, 0xffff, v33
	v_and_b32_e32 v35, 0xffff, v35
	s_delay_alu instid0(VALU_DEP_4)
	v_lshl_or_b32 v14, v31, 16, v34
	v_lshlrev_b32_e32 v31, 16, v27
	v_and_b32_e32 v32, 0xffff, v32
	v_and_or_b32 v2, 0xffff, v2, v36
	v_and_or_b32 v1, 0xffff, v3, v1
	v_lshl_or_b32 v28, v28, 16, v33
	v_and_or_b32 v3, 0xffff, v4, v31
	;;#ASMSTART
	v_pk_mul_f16 v2, v28, v2;

	;;#ASMEND
	;;#ASMSTART
	v_pk_mul_f16 v1, v14, v1;

	;;#ASMEND
	v_lshl_or_b32 v27, v30, 16, v35
	v_lshl_or_b32 v29, v29, 16, v32
	;;#ASMSTART
	v_pk_mul_f16 v3, v27, v3;

	;;#ASMEND
	;;#ASMSTART
	v_pk_mul_f16 v4, v29, v5;

	;;#ASMEND
	;;#ASMSTART
	v_pk_add_f16 v1, v2, v1;

	;;#ASMEND
	;;#ASMSTART
	v_pk_add_f16 v1, v1, v3;
	;; [unrolled: 4-line block ×3, first 2 shown]

	;;#ASMEND
	v_and_b32_e32 v2, 0xffff, v1
	v_lshrrev_b32_e32 v1, 16, v1
	;;#ASMSTART
	v_cvt_f32_f16 v30, v2;
	;;#ASMEND
	;;#ASMSTART
	v_cvt_f32_f16 v31, v1;
	;;#ASMEND
	global_load_b128 v[2:5], v[12:13], off offset:512
	s_wait_loadcnt 0x0
	v_dual_lshrrev_b32 v1, 16, v3 :: v_dual_lshrrev_b32 v12, 16, v2
	v_lshrrev_b32_e32 v13, 16, v4
	s_and_saveexec_b32 s0, vcc_lo
	s_cbranch_execz .LBB64_39
; %bb.43:                               ;   in Loop: Header=BB64_40 Depth=1
	v_cmp_gt_i32_e32 vcc_lo, s23, v17
	v_cndmask_b32_e32 v2, 0, v2, vcc_lo
	v_cmp_gt_i32_e32 vcc_lo, s23, v25
	v_and_b32_e32 v25, 0xffff, v5
	v_and_b32_e32 v5, 0xffff0000, v5
	v_cndmask_b32_e32 v3, 0, v3, vcc_lo
	v_cmp_gt_i32_e32 vcc_lo, s12, v26
	v_cndmask_b32_e32 v1, 0, v1, vcc_lo
	v_cmp_gt_i32_e32 vcc_lo, s23, v24
	;; [unrolled: 2-line block ×6, first 2 shown]
	s_delay_alu instid0(VALU_DEP_4)
	v_or_b32_e32 v5, v23, v5
	v_cndmask_b32_e32 v13, 0, v13, vcc_lo
	s_branch .LBB64_39
.LBB64_44:
	s_or_b32 exec_lo, exec_lo, s9
.LBB64_45:
	s_delay_alu instid0(SALU_CYCLE_1) | instskip(SKIP_4) | instid1(VALU_DEP_2)
	s_or_b32 exec_lo, exec_lo, s1
	v_lshl_add_u32 v2, v16, 2, 0xa0
	v_and_b32_e32 v3, 0x3c0, v0
	s_mov_b32 s0, exec_lo
	s_barrier_signal -1
	v_lshl_add_u32 v1, v15, 8, v2
	s_barrier_wait -1
	v_cmpx_eq_u32_e32 64, v3
	s_cbranch_execz .LBB64_47
; %bb.46:
	s_delay_alu instid0(VALU_DEP_2)
	v_add_nc_u32_e32 v3, 0xfffffe00, v1
	v_add_nc_u32_e32 v4, 0xfffffe80, v1
	ds_store_b32 v3, v6
	ds_store_b32 v4, v7
.LBB64_47:
	s_or_b32 exec_lo, exec_lo, s0
	s_delay_alu instid0(SALU_CYCLE_1)
	s_mov_b32 s0, exec_lo
	s_wait_dscnt 0x0
	s_barrier_signal -1
	s_barrier_wait -1
	v_cmpx_gt_u32_e32 64, v0
	s_cbranch_execz .LBB64_49
; %bb.48:
	ds_load_2addr_b32 v[4:5], v1 offset1:32
	s_wait_dscnt 0x0
	v_pk_add_f32 v[6:7], v[6:7], v[4:5]
.LBB64_49:
	s_or_b32 exec_lo, exec_lo, s0
	v_and_b32_e32 v3, 0x3e0, v0
	s_mov_b32 s0, exec_lo
	s_barrier_signal -1
	s_barrier_wait -1
	s_delay_alu instid0(VALU_DEP_1)
	v_cmpx_eq_u32_e32 32, v3
; %bb.50:
	ds_store_2addr_b32 v2, v6, v7 offset1:32
; %bb.51:
	s_or_b32 exec_lo, exec_lo, s0
	s_wait_dscnt 0x0
	s_barrier_signal -1
	s_barrier_wait -1
	s_and_saveexec_b32 s0, s2
	s_cbranch_execz .LBB64_53
; %bb.52:
	ds_load_2addr_b32 v[2:3], v1 offset1:32
	s_wait_dscnt 0x0
	v_pk_add_f32 v[6:7], v[6:7], v[2:3]
.LBB64_53:
	s_or_b32 exec_lo, exec_lo, s0
	s_barrier_signal -1
	s_barrier_wait -1
	s_and_saveexec_b32 s0, s2
	s_cbranch_execz .LBB64_55
; %bb.54:
	s_wait_kmcnt 0x0
	s_mul_i32 s1, s22, s7
	s_bfe_u32 s5, ttmp6, 0x40014
	s_mul_i32 s1, s1, s21
	s_mul_i32 s0, s7, s6
	s_lshl_b32 s2, s1, 6
	s_lshr_b32 s4, ttmp7, 16
	s_add_co_i32 s5, s5, 1
	s_ashr_i32 s3, s2, 31
	s_ashr_i32 s1, s0, 31
	s_mul_i32 s5, s4, s5
	s_bfe_u32 s6, ttmp6, 0x40008
	s_lshl_b64 s[2:3], s[2:3], 1
	s_lshl_b64 s[0:1], s[0:1], 1
	s_add_co_i32 s6, s6, s5
	s_add_nc_u64 s[2:3], s[10:11], s[2:3]
	s_cmp_eq_u32 s20, 0
	s_add_nc_u64 s[0:1], s[2:3], s[0:1]
	s_cselect_b32 s2, s4, s6
	s_mov_b32 s3, 0
	s_lshl_b32 s2, s2, 7
	;;#ASMSTART
	v_cvt_f16_f32 v1, v6;

	;;#ASMEND
	s_add_nc_u64 s[0:1], s[0:1], s[2:3]
	global_store_b16 v0, v1, s[0:1] scale_offset
	s_wait_xcnt 0x0
	;;#ASMSTART
	v_cvt_f16_f32 v1, v7;

	;;#ASMEND
	global_store_b16 v0, v1, s[0:1] offset:64 scale_offset
.LBB64_55:
	s_endpgm
	.section	.rodata,"a",@progbits
	.p2align	6, 0x0
	.amdhsa_kernel _ZN4vllm25paged_attention_v1_kernelIttLi64ELi8ELi128ELNS_18Fp8KVCacheDataTypeE0ELb0EEEvPT_PKS2_PKT0_S8_ifPKiSA_iPKfiiiSC_SC_iiiii
		.amdhsa_group_segment_fixed_size 160
		.amdhsa_private_segment_fixed_size 0
		.amdhsa_kernarg_size 384
		.amdhsa_user_sgpr_count 2
		.amdhsa_user_sgpr_dispatch_ptr 0
		.amdhsa_user_sgpr_queue_ptr 0
		.amdhsa_user_sgpr_kernarg_segment_ptr 1
		.amdhsa_user_sgpr_dispatch_id 0
		.amdhsa_user_sgpr_kernarg_preload_length 0
		.amdhsa_user_sgpr_kernarg_preload_offset 0
		.amdhsa_user_sgpr_private_segment_size 0
		.amdhsa_wavefront_size32 1
		.amdhsa_uses_dynamic_stack 0
		.amdhsa_enable_private_segment 0
		.amdhsa_system_sgpr_workgroup_id_x 1
		.amdhsa_system_sgpr_workgroup_id_y 1
		.amdhsa_system_sgpr_workgroup_id_z 1
		.amdhsa_system_sgpr_workgroup_info 0
		.amdhsa_system_vgpr_workitem_id 0
		.amdhsa_next_free_vgpr 45
		.amdhsa_next_free_sgpr 28
		.amdhsa_named_barrier_count 0
		.amdhsa_reserve_vcc 1
		.amdhsa_float_round_mode_32 0
		.amdhsa_float_round_mode_16_64 0
		.amdhsa_float_denorm_mode_32 3
		.amdhsa_float_denorm_mode_16_64 3
		.amdhsa_fp16_overflow 0
		.amdhsa_memory_ordered 1
		.amdhsa_forward_progress 1
		.amdhsa_inst_pref_size 34
		.amdhsa_round_robin_scheduling 0
		.amdhsa_exception_fp_ieee_invalid_op 0
		.amdhsa_exception_fp_denorm_src 0
		.amdhsa_exception_fp_ieee_div_zero 0
		.amdhsa_exception_fp_ieee_overflow 0
		.amdhsa_exception_fp_ieee_underflow 0
		.amdhsa_exception_fp_ieee_inexact 0
		.amdhsa_exception_int_div_zero 0
	.end_amdhsa_kernel
	.section	.text._ZN4vllm25paged_attention_v1_kernelIttLi64ELi8ELi128ELNS_18Fp8KVCacheDataTypeE0ELb0EEEvPT_PKS2_PKT0_S8_ifPKiSA_iPKfiiiSC_SC_iiiii,"axG",@progbits,_ZN4vllm25paged_attention_v1_kernelIttLi64ELi8ELi128ELNS_18Fp8KVCacheDataTypeE0ELb0EEEvPT_PKS2_PKT0_S8_ifPKiSA_iPKfiiiSC_SC_iiiii,comdat
.Lfunc_end64:
	.size	_ZN4vllm25paged_attention_v1_kernelIttLi64ELi8ELi128ELNS_18Fp8KVCacheDataTypeE0ELb0EEEvPT_PKS2_PKT0_S8_ifPKiSA_iPKfiiiSC_SC_iiiii, .Lfunc_end64-_ZN4vllm25paged_attention_v1_kernelIttLi64ELi8ELi128ELNS_18Fp8KVCacheDataTypeE0ELb0EEEvPT_PKS2_PKT0_S8_ifPKiSA_iPKfiiiSC_SC_iiiii
                                        ; -- End function
	.set _ZN4vllm25paged_attention_v1_kernelIttLi64ELi8ELi128ELNS_18Fp8KVCacheDataTypeE0ELb0EEEvPT_PKS2_PKT0_S8_ifPKiSA_iPKfiiiSC_SC_iiiii.num_vgpr, 45
	.set _ZN4vllm25paged_attention_v1_kernelIttLi64ELi8ELi128ELNS_18Fp8KVCacheDataTypeE0ELb0EEEvPT_PKS2_PKT0_S8_ifPKiSA_iPKfiiiSC_SC_iiiii.num_agpr, 0
	.set _ZN4vllm25paged_attention_v1_kernelIttLi64ELi8ELi128ELNS_18Fp8KVCacheDataTypeE0ELb0EEEvPT_PKS2_PKT0_S8_ifPKiSA_iPKfiiiSC_SC_iiiii.numbered_sgpr, 28
	.set _ZN4vllm25paged_attention_v1_kernelIttLi64ELi8ELi128ELNS_18Fp8KVCacheDataTypeE0ELb0EEEvPT_PKS2_PKT0_S8_ifPKiSA_iPKfiiiSC_SC_iiiii.num_named_barrier, 0
	.set _ZN4vllm25paged_attention_v1_kernelIttLi64ELi8ELi128ELNS_18Fp8KVCacheDataTypeE0ELb0EEEvPT_PKS2_PKT0_S8_ifPKiSA_iPKfiiiSC_SC_iiiii.private_seg_size, 0
	.set _ZN4vllm25paged_attention_v1_kernelIttLi64ELi8ELi128ELNS_18Fp8KVCacheDataTypeE0ELb0EEEvPT_PKS2_PKT0_S8_ifPKiSA_iPKfiiiSC_SC_iiiii.uses_vcc, 1
	.set _ZN4vllm25paged_attention_v1_kernelIttLi64ELi8ELi128ELNS_18Fp8KVCacheDataTypeE0ELb0EEEvPT_PKS2_PKT0_S8_ifPKiSA_iPKfiiiSC_SC_iiiii.uses_flat_scratch, 0
	.set _ZN4vllm25paged_attention_v1_kernelIttLi64ELi8ELi128ELNS_18Fp8KVCacheDataTypeE0ELb0EEEvPT_PKS2_PKT0_S8_ifPKiSA_iPKfiiiSC_SC_iiiii.has_dyn_sized_stack, 0
	.set _ZN4vllm25paged_attention_v1_kernelIttLi64ELi8ELi128ELNS_18Fp8KVCacheDataTypeE0ELb0EEEvPT_PKS2_PKT0_S8_ifPKiSA_iPKfiiiSC_SC_iiiii.has_recursion, 0
	.set _ZN4vllm25paged_attention_v1_kernelIttLi64ELi8ELi128ELNS_18Fp8KVCacheDataTypeE0ELb0EEEvPT_PKS2_PKT0_S8_ifPKiSA_iPKfiiiSC_SC_iiiii.has_indirect_call, 0
	.section	.AMDGPU.csdata,"",@progbits
; Kernel info:
; codeLenInByte = 4352
; TotalNumSgprs: 30
; NumVgprs: 45
; ScratchSize: 0
; MemoryBound: 0
; FloatMode: 240
; IeeeMode: 1
; LDSByteSize: 160 bytes/workgroup (compile time only)
; SGPRBlocks: 0
; VGPRBlocks: 2
; NumSGPRsForWavesPerEU: 30
; NumVGPRsForWavesPerEU: 45
; NamedBarCnt: 0
; Occupancy: 16
; WaveLimiterHint : 1
; COMPUTE_PGM_RSRC2:SCRATCH_EN: 0
; COMPUTE_PGM_RSRC2:USER_SGPR: 2
; COMPUTE_PGM_RSRC2:TRAP_HANDLER: 0
; COMPUTE_PGM_RSRC2:TGID_X_EN: 1
; COMPUTE_PGM_RSRC2:TGID_Y_EN: 1
; COMPUTE_PGM_RSRC2:TGID_Z_EN: 1
; COMPUTE_PGM_RSRC2:TIDIG_COMP_CNT: 0
	.section	.text._ZN4vllm25paged_attention_v1_kernelIttLi80ELi8ELi128ELNS_18Fp8KVCacheDataTypeE0ELb0EEEvPT_PKS2_PKT0_S8_ifPKiSA_iPKfiiiSC_SC_iiiii,"axG",@progbits,_ZN4vllm25paged_attention_v1_kernelIttLi80ELi8ELi128ELNS_18Fp8KVCacheDataTypeE0ELb0EEEvPT_PKS2_PKT0_S8_ifPKiSA_iPKfiiiSC_SC_iiiii,comdat
	.protected	_ZN4vllm25paged_attention_v1_kernelIttLi80ELi8ELi128ELNS_18Fp8KVCacheDataTypeE0ELb0EEEvPT_PKS2_PKT0_S8_ifPKiSA_iPKfiiiSC_SC_iiiii ; -- Begin function _ZN4vllm25paged_attention_v1_kernelIttLi80ELi8ELi128ELNS_18Fp8KVCacheDataTypeE0ELb0EEEvPT_PKS2_PKT0_S8_ifPKiSA_iPKfiiiSC_SC_iiiii
	.globl	_ZN4vllm25paged_attention_v1_kernelIttLi80ELi8ELi128ELNS_18Fp8KVCacheDataTypeE0ELb0EEEvPT_PKS2_PKT0_S8_ifPKiSA_iPKfiiiSC_SC_iiiii
	.p2align	8
	.type	_ZN4vllm25paged_attention_v1_kernelIttLi80ELi8ELi128ELNS_18Fp8KVCacheDataTypeE0ELb0EEEvPT_PKS2_PKT0_S8_ifPKiSA_iPKfiiiSC_SC_iiiii,@function
_ZN4vllm25paged_attention_v1_kernelIttLi80ELi8ELi128ELNS_18Fp8KVCacheDataTypeE0ELb0EEEvPT_PKS2_PKT0_S8_ifPKiSA_iPKfiiiSC_SC_iiiii: ; @_ZN4vllm25paged_attention_v1_kernelIttLi80ELi8ELi128ELNS_18Fp8KVCacheDataTypeE0ELb0EEEvPT_PKS2_PKT0_S8_ifPKiSA_iPKfiiiSC_SC_iiiii
; %bb.0:
	s_load_b64 s[6:7], s[0:1], 0x20
	s_bfe_u32 s3, ttmp6, 0x4000c
	s_bfe_u32 s5, ttmp6, 0x40010
	s_and_b32 s4, ttmp7, 0xffff
	s_add_co_i32 s3, s3, 1
	s_add_co_i32 s5, s5, 1
	s_and_b32 s2, ttmp6, 15
	s_bfe_u32 s8, ttmp6, 0x40004
	s_mul_i32 s3, ttmp9, s3
	s_mul_i32 s5, s4, s5
	s_getreg_b32 s18, hwreg(HW_REG_IB_STS2, 6, 4)
	s_add_co_i32 s2, s2, s3
	s_add_co_i32 s3, s8, s5
	s_cmp_eq_u32 s18, 0
	s_clause 0x1
	s_load_b32 s19, s[0:1], 0x80
	s_load_b64 s[8:9], s[0:1], 0x30
	s_cselect_b32 s20, s4, s3
	s_cselect_b32 s2, ttmp9, s2
	s_wait_kmcnt 0x0
	s_abs_i32 s3, s6
	s_delay_alu instid0(SALU_CYCLE_1) | instskip(SKIP_1) | instid1(SALU_CYCLE_2)
	s_cvt_f32_u32 s4, s3
	s_sub_co_i32 s5, 0, s3
	v_rcp_iflag_f32_e32 v1, s4
	s_abs_i32 s10, s19
	v_nop
	s_delay_alu instid0(TRANS32_DEP_1) | instskip(SKIP_1) | instid1(SALU_CYCLE_3)
	v_readfirstlane_b32 s4, v1
	s_mul_f32 s4, s4, 0x4f7ffffe
	s_cvt_u32_f32 s4, s4
	s_delay_alu instid0(SALU_CYCLE_3) | instskip(NEXT) | instid1(SALU_CYCLE_1)
	s_mul_i32 s5, s5, s4
	s_mul_hi_u32 s5, s4, s5
	s_delay_alu instid0(SALU_CYCLE_1) | instskip(SKIP_4) | instid1(SALU_CYCLE_1)
	s_add_co_i32 s4, s4, s5
	s_xor_b32 s5, s19, s6
	s_mul_hi_u32 s4, s10, s4
	s_ashr_i32 s5, s5, 31
	s_mul_i32 s6, s4, s3
	s_sub_co_i32 s6, s10, s6
	s_add_co_i32 s10, s4, 1
	s_sub_co_i32 s11, s6, s3
	s_cmp_ge_u32 s6, s3
	s_cselect_b32 s4, s10, s4
	s_cselect_b32 s6, s11, s6
	s_add_co_i32 s10, s4, 1
	s_cmp_ge_u32 s6, s3
	s_mov_b32 s11, 0
	s_cselect_b32 s3, s10, s4
	s_abs_i32 s10, s2
	s_xor_b32 s3, s3, s5
	s_mov_b32 s13, s11
	s_sub_co_i32 s15, s3, s5
	s_load_b64 s[4:5], s[0:1], 0x40
	s_abs_i32 s14, s15
	s_mov_b32 s23, s11
	s_cvt_f32_u32 s3, s14
	s_sub_co_i32 s6, 0, s14
	s_delay_alu instid0(SALU_CYCLE_2) | instskip(SKIP_1) | instid1(TRANS32_DEP_1)
	v_rcp_iflag_f32_e32 v1, s3
	v_nop
	v_readfirstlane_b32 s3, v1
	s_mul_f32 s3, s3, 0x4f7ffffe
	s_delay_alu instid0(SALU_CYCLE_3) | instskip(NEXT) | instid1(SALU_CYCLE_3)
	s_cvt_u32_f32 s3, s3
	s_mul_i32 s6, s6, s3
	s_delay_alu instid0(SALU_CYCLE_1) | instskip(NEXT) | instid1(SALU_CYCLE_1)
	s_mul_hi_u32 s6, s3, s6
	s_add_co_i32 s12, s3, s6
	s_wait_kmcnt 0x0
	s_cmp_eq_u64 s[4:5], 0
	s_cbranch_scc1 .LBB65_2
; %bb.1:
	s_ashr_i32 s3, s2, 31
	s_delay_alu instid0(SALU_CYCLE_1) | instskip(NEXT) | instid1(SALU_CYCLE_1)
	s_lshl_b64 s[16:17], s[2:3], 2
	s_add_nc_u64 s[4:5], s[4:5], s[16:17]
	s_load_b32 s23, s[4:5], 0x0
.LBB65_2:
	s_load_b32 s21, s[8:9], s20 offset:0x0 scale_offset
	s_wait_xcnt 0x0
	s_load_b96 s[4:6], s[0:1], 0x48
	v_and_b32_e32 v4, 3, v0
	s_ashr_i32 s3, s2, 31
	s_ashr_i32 s15, s15, 31
	s_mul_u64 s[12:13], s[10:11], s[12:13]
	s_mul_i32 s8, s2, 0x50
	s_mov_b32 s2, exec_lo
	v_cmpx_gt_u32_e32 40, v0
	s_cbranch_execz .LBB65_4
; %bb.3:
	s_load_b64 s[16:17], s[0:1], 0x8
	s_wait_kmcnt 0x0
	s_mul_i32 s24, s4, s20
	s_ashr_i32 s9, s8, 31
	s_ashr_i32 s25, s24, 31
	v_and_b32_e32 v2, 0x3fc, v0
	s_lshl_b64 s[24:25], s[24:25], 1
	s_delay_alu instid0(VALU_DEP_1) | instskip(SKIP_2) | instid1(SALU_CYCLE_1)
	v_mad_u32_u24 v2, v4, 40, v2
	s_add_nc_u64 s[16:17], s[16:17], s[24:25]
	s_lshl_b64 s[24:25], s[8:9], 1
	s_add_nc_u64 s[16:17], s[16:17], s[24:25]
	global_load_b32 v1, v0, s[16:17] scale_offset
	s_wait_loadcnt 0x0
	ds_store_b32 v2, v1
.LBB65_4:
	s_or_b32 exec_lo, exec_lo, s2
	s_wait_kmcnt 0x0
	s_add_co_i32 s2, s21, 7
	s_load_b32 s4, s[0:1], 0x38
	s_ashr_i32 s9, s2, 31
	s_mul_i32 s11, s13, s14
	s_lshr_b32 s9, s9, 29
	s_xor_b32 s3, s3, s15
	s_add_co_i32 s2, s2, s9
	s_sub_co_i32 s9, s10, s11
	s_ashr_i32 s22, s2, 3
	s_add_co_i32 s2, s13, 1
	s_sub_co_i32 s10, s9, s14
	s_cmp_ge_u32 s9, s14
	v_lshrrev_b32_e32 v19, 5, v0
	s_cselect_b32 s2, s2, s13
	s_cselect_b32 s9, s10, s9
	s_add_co_i32 s10, s2, 1
	s_cmp_ge_u32 s9, s14
	v_mbcnt_lo_u32_b32 v8, -1, 0
	s_cselect_b32 s2, s10, s2
	s_wait_dscnt 0x0
	s_xor_b32 s2, s2, s3
	s_wait_kmcnt 0x0
	s_mul_i32 s10, s4, s20
	s_sub_co_i32 s3, s2, s3
	v_cmp_gt_i32_e64 s2, s22, v19
	s_ashr_i32 s11, s10, 31
	s_mov_b32 s4, exec_lo
	s_barrier_signal -1
	s_barrier_wait -1
                                        ; implicit-def: $vgpr3
                                        ; implicit-def: $vgpr9
	v_cmpx_le_i32_e64 s22, v19
	s_xor_b32 s4, exec_lo, s4
; %bb.5:
	v_dual_mov_b32 v3, 0 :: v_dual_mov_b32 v9, 32
	v_mbcnt_lo_u32_b32 v8, -1, 0
                                        ; implicit-def: $vgpr4
; %bb.6:
	s_or_saveexec_b32 s24, s4
	s_clause 0x1
	s_load_b64 s[12:13], s[0:1], 0x28
	s_load_b32 s9, s[0:1], 0x88
	v_dual_mov_b32 v10, 0xff7fffff :: v_dual_lshrrev_b32 v1, 3, v0
	s_mul_i32 s14, s3, s6
	s_xor_b32 exec_lo, exec_lo, s24
	s_cbranch_execz .LBB65_12
; %bb.7:
	s_load_b64 s[26:27], s[0:1], 0x10
	v_bfe_u32 v6, v0, 2, 3
	s_ashr_i32 s15, s14, 31
	v_dual_mov_b32 v3, 0 :: v_dual_lshlrev_b32 v7, 2, v0
	s_lshl_b64 s[28:29], s[14:15], 1
	s_delay_alu instid0(VALU_DEP_2)
	v_dual_lshlrev_b32 v2, 4, v6 :: v_dual_lshlrev_b32 v12, 2, v6
	v_mul_u32_u24_e32 v11, 40, v4
	v_cmp_eq_u32_e32 vcc_lo, 0, v4
	s_ashr_i32 s17, s5, 31
	s_cmp_neq_f32 s23, 0
	v_dual_mov_b32 v10, 0xff7fffff :: v_dual_mov_b32 v15, v19
	v_xor_b32_e32 v14, 1, v8
	s_cselect_b32 s3, -1, 0
	s_mov_b32 s16, s5
	s_mov_b32 s6, 0
	s_sub_co_i32 s15, 1, s21
	v_mov_b32_e32 v9, 32
	s_wait_kmcnt 0x0
	s_add_nc_u64 s[26:27], s[26:27], s[28:29]
	s_delay_alu instid0(SALU_CYCLE_1)
	v_add_nc_u64_e32 v[4:5], s[26:27], v[2:3]
	v_and_b32_e32 v2, 12, v7
	v_lshl_or_b32 v7, v19, 5, v12
	s_lshl_b64 s[26:27], s[10:11], 2
	v_lshl_or_b32 v12, v19, 3, v6
	s_add_nc_u64 s[26:27], s[12:13], s[26:27]
	s_delay_alu instid0(VALU_DEP_2) | instskip(SKIP_2) | instid1(VALU_DEP_1)
	v_add_nc_u32_e32 v13, 0xc0, v7
	v_add_nc_u64_e32 v[4:5], v[4:5], v[2:3]
	v_and_b32_e32 v2, 0x7c, v1
	v_add_nc_u64_e32 v[6:7], s[26:27], v[2:3]
	v_xor_b32_e32 v2, 2, v8
	s_branch .LBB65_9
.LBB65_8:                               ;   in Loop: Header=BB65_9 Depth=1
	s_or_b32 exec_lo, exec_lo, s25
	v_dual_add_nc_u32 v15, 4, v15 :: v_dual_add_nc_u32 v12, 32, v12
	v_add_nc_u64_e32 v[6:7], 16, v[6:7]
	v_add_nc_u32_e32 v13, 0x80, v13
	s_delay_alu instid0(VALU_DEP_3) | instskip(SKIP_1) | instid1(SALU_CYCLE_1)
	v_cmp_le_i32_e64 s4, s22, v15
	s_or_b32 s6, s4, s6
	s_and_not1_b32 exec_lo, exec_lo, s6
	s_cbranch_execz .LBB65_11
.LBB65_9:                               ; =>This Inner Loop Header: Depth=1
	global_load_b32 v16, v[6:7], off
	v_cmp_gt_i32_e64 s4, 32, v2
	s_wait_loadcnt_dscnt 0x0
	v_ashrrev_i32_e32 v17, 31, v16
	s_delay_alu instid0(VALU_DEP_1) | instskip(NEXT) | instid1(VALU_DEP_1)
	v_mul_u64_e32 v[16:17], s[16:17], v[16:17]
	v_lshl_add_u64 v[16:17], v[16:17], 1, v[4:5]
	s_clause 0x9
	global_load_b32 v18, v[16:17], off
	global_load_b32 v20, v[16:17], off offset:128
	global_load_b32 v21, v[16:17], off offset:256
	;; [unrolled: 1-line block ×9, first 2 shown]
	s_wait_xcnt 0x0
	ds_load_b32 v16, v11
	s_wait_dscnt 0x0
	v_and_b32_e32 v17, 0xffff, v16
	v_lshrrev_b32_e32 v16, 16, v16
	;;#ASMSTART
	v_cvt_f32_f16 v30, v17;
	;;#ASMEND
	;;#ASMSTART
	v_cvt_f32_f16 v31, v16;
	;;#ASMEND
	s_wait_loadcnt 0x9
	v_and_b32_e32 v29, 0xffff, v18
	v_lshrrev_b32_e32 v18, 16, v18
	;;#ASMSTART
	v_cvt_f32_f16 v29, v29;
	;;#ASMEND
	;;#ASMSTART
	v_cvt_f32_f16 v32, v18;
	;;#ASMEND
	ds_load_b32 v16, v11 offset:4
	s_wait_loadcnt 0x8
	v_and_b32_e32 v18, 0xffff, v20
	v_lshrrev_b32_e32 v20, 16, v20
	s_wait_loadcnt 0x7
	v_and_b32_e32 v35, 0xffff, v21
	v_lshrrev_b32_e32 v21, 16, v21
	s_wait_loadcnt 0x6
	v_and_b32_e32 v38, 0xffff, v22
	s_wait_loadcnt 0x5
	v_and_b32_e32 v41, 0xffff, v23
	;; [unrolled: 2-line block ×3, first 2 shown]
	v_and_b32_e32 v44, 0xffff, v24
	s_wait_loadcnt 0x2
	v_and_b32_e32 v50, 0xffff, v26
	v_dual_lshrrev_b32 v22, 16, v22 :: v_dual_lshrrev_b32 v23, 16, v23
	v_dual_lshrrev_b32 v25, 16, v25 :: v_dual_lshrrev_b32 v26, 16, v26
	s_wait_dscnt 0x0
	v_and_b32_e32 v17, 0xffff, v16
	v_lshrrev_b32_e32 v16, 16, v16
	;;#ASMSTART
	v_cvt_f32_f16 v17, v17;
	;;#ASMEND
	;;#ASMSTART
	v_cvt_f32_f16 v33, v16;
	;;#ASMEND
	;; [unrolled: 3-line block ×4, first 2 shown]
	ds_load_b32 v16, v11 offset:8
	v_dual_mul_f32 v17, v17, v18 :: v_dual_lshrrev_b32 v24, 16, v24
	s_delay_alu instid0(VALU_DEP_1)
	v_fmac_f32_e32 v17, v30, v29
	s_wait_dscnt 0x0
	v_and_b32_e32 v34, 0xffff, v16
	v_lshrrev_b32_e32 v16, 16, v16
	;;#ASMSTART
	v_cvt_f32_f16 v34, v34;
	;;#ASMEND
	;;#ASMSTART
	v_cvt_f32_f16 v36, v16;
	;;#ASMEND
	;; [unrolled: 3-line block ×4, first 2 shown]
	ds_load_b32 v16, v11 offset:12
	v_dual_mul_f32 v18, v33, v20 :: v_dual_fmac_f32 v17, v34, v35
	s_wait_loadcnt 0x1
	v_lshrrev_b32_e32 v20, 16, v27
	v_and_b32_e32 v27, 0xffff, v27
	s_wait_dscnt 0x0
	v_and_b32_e32 v37, 0xffff, v16
	v_lshrrev_b32_e32 v16, 16, v16
	;;#ASMSTART
	v_cvt_f32_f16 v37, v37;
	;;#ASMEND
	;;#ASMSTART
	v_cvt_f32_f16 v39, v16;
	;;#ASMEND
	;; [unrolled: 3-line block ×4, first 2 shown]
	ds_load_b32 v16, v11 offset:16
	v_dual_fmac_f32 v18, v31, v32 :: v_dual_fmac_f32 v17, v37, v38
	s_wait_dscnt 0x0
	v_and_b32_e32 v40, 0xffff, v16
	v_lshrrev_b32_e32 v16, 16, v16
	;;#ASMSTART
	v_cvt_f32_f16 v40, v40;
	;;#ASMEND
	;;#ASMSTART
	v_cvt_f32_f16 v42, v16;
	;;#ASMEND
	;;#ASMSTART
	v_cvt_f32_f16 v41, v41;
	;;#ASMEND
	;;#ASMSTART
	v_cvt_f32_f16 v23, v23;
	;;#ASMEND
	ds_load_b32 v16, v11 offset:20
	v_fmac_f32_e32 v17, v40, v41
	s_wait_dscnt 0x0
	v_and_b32_e32 v43, 0xffff, v16
	v_lshrrev_b32_e32 v16, 16, v16
	;;#ASMSTART
	v_cvt_f32_f16 v43, v43;
	;;#ASMEND
	;;#ASMSTART
	v_cvt_f32_f16 v45, v16;
	;;#ASMEND
	;;#ASMSTART
	v_cvt_f32_f16 v44, v44;
	;;#ASMEND
	;;#ASMSTART
	v_cvt_f32_f16 v24, v24;
	;;#ASMEND
	ds_load_b32 v16, v11 offset:24
	v_fmac_f32_e32 v17, v43, v44
	;; [unrolled: 17-line block ×4, first 2 shown]
	s_wait_dscnt 0x0
	v_and_b32_e32 v21, 0xffff, v16
	s_delay_alu instid0(VALU_DEP_2)
	v_dual_lshrrev_b32 v16, 16, v16 :: v_dual_fmac_f32 v18, v39, v22
	;;#ASMSTART
	v_cvt_f32_f16 v21, v21;
	;;#ASMEND
	;;#ASMSTART
	v_cvt_f32_f16 v22, v16;
	;;#ASMEND
	;; [unrolled: 3-line block ×4, first 2 shown]
	v_fmac_f32_e32 v18, v42, v23
	ds_load_b32 v16, v11 offset:36
	s_wait_loadcnt 0x0
	v_dual_lshrrev_b32 v23, 16, v28 :: v_dual_cndmask_b32 v20, v8, v2, s4
	v_cmp_gt_i32_e64 s4, 32, v14
	v_fmac_f32_e32 v18, v45, v24
	s_delay_alu instid0(VALU_DEP_1) | instskip(SKIP_1) | instid1(VALU_DEP_2)
	v_fmac_f32_e32 v18, v48, v25
	v_and_b32_e32 v25, 0xffff, v28
	v_fmac_f32_e32 v18, v51, v26
	s_delay_alu instid0(VALU_DEP_1) | instskip(NEXT) | instid1(VALU_DEP_1)
	v_dual_fmac_f32 v17, v49, v50 :: v_dual_fmac_f32 v18, v22, v29
	v_fmac_f32_e32 v17, v21, v27
	s_wait_dscnt 0x0
	v_and_b32_e32 v24, 0xffff, v16
	v_lshrrev_b32_e32 v16, 16, v16
	;;#ASMSTART
	v_cvt_f32_f16 v21, v24;
	;;#ASMEND
	;;#ASMSTART
	v_cvt_f32_f16 v16, v16;
	;;#ASMEND
	;; [unrolled: 3-line block ×4, first 2 shown]
	v_dual_fmac_f32 v17, v21, v22 :: v_dual_fmac_f32 v18, v16, v23
	s_delay_alu instid0(VALU_DEP_1) | instskip(SKIP_3) | instid1(VALU_DEP_1)
	v_dual_add_f32 v17, v17, v18 :: v_dual_lshlrev_b32 v16, 2, v20
	ds_bpermute_b32 v16, v16, v17
	s_wait_dscnt 0x0
	v_dual_cndmask_b32 v18, v8, v14, s4 :: v_dual_add_f32 v16, v17, v16
	v_lshlrev_b32_e32 v17, 2, v18
	ds_bpermute_b32 v17, v17, v16
	s_and_saveexec_b32 s25, vcc_lo
	s_cbranch_execz .LBB65_8
; %bb.10:                               ;   in Loop: Header=BB65_9 Depth=1
	s_wait_dscnt 0x0
	v_dual_add_nc_u32 v18, s15, v12 :: v_dual_add_f32 v16, v16, v17
	v_cmp_gt_i32_e64 s4, s21, v12
	s_delay_alu instid0(VALU_DEP_2) | instskip(NEXT) | instid1(VALU_DEP_1)
	v_cvt_f32_i32_e32 v18, v18
	v_mul_f32_e32 v18, s23, v18
	s_delay_alu instid0(VALU_DEP_1) | instskip(NEXT) | instid1(VALU_DEP_1)
	v_cndmask_b32_e64 v17, 0, v18, s3
	v_dual_fmac_f32 v17, s7, v16 :: v_dual_max_num_f32 v18, v10, v10
	s_delay_alu instid0(VALU_DEP_1) | instskip(NEXT) | instid1(VALU_DEP_1)
	v_dual_max_num_f32 v16, v18, v17 :: v_dual_cndmask_b32 v17, 0, v17, s4
	v_cndmask_b32_e64 v10, v10, v16, s4
	ds_store_b32 v13, v17
	s_branch .LBB65_8
.LBB65_11:
	s_or_b32 exec_lo, exec_lo, s6
.LBB65_12:
	s_delay_alu instid0(SALU_CYCLE_1)
	s_or_b32 exec_lo, exec_lo, s24
	v_dual_max_num_f32 v6, v10, v10 :: v_dual_bitop2_b32 v2, 16, v8 bitop3:0x14
	s_clause 0x1
	s_load_b64 s[6:7], s[0:1], 0x0
	s_load_b64 s[16:17], s[0:1], 0x18
	v_and_b32_e32 v20, 31, v0
	v_xor_b32_e32 v5, 8, v8
	v_cmp_lt_i32_e32 vcc_lo, v2, v9
	v_cndmask_b32_e32 v2, v8, v2, vcc_lo
	s_delay_alu instid0(VALU_DEP_3) | instskip(NEXT) | instid1(VALU_DEP_2)
	v_cmp_lt_i32_e32 vcc_lo, v5, v9
	v_dual_cndmask_b32 v5, v8, v5 :: v_dual_lshlrev_b32 v2, 2, v2
	ds_bpermute_b32 v4, v2, v10
	s_wait_dscnt 0x0
	v_dual_max_num_f32 v7, v4, v4 :: v_dual_lshlrev_b32 v4, 2, v5
	s_delay_alu instid0(VALU_DEP_1) | instskip(SKIP_4) | instid1(VALU_DEP_1)
	v_dual_max_num_f32 v5, v6, v7 :: v_dual_bitop2_b32 v7, 4, v8 bitop3:0x14
	ds_bpermute_b32 v6, v4, v5
	v_cmp_lt_i32_e32 vcc_lo, v7, v9
	v_cndmask_b32_e32 v7, v8, v7, vcc_lo
	s_wait_dscnt 0x0
	v_dual_max_num_f32 v6, v6, v6 :: v_dual_lshlrev_b32 v7, 2, v7
	s_delay_alu instid0(VALU_DEP_1)
	v_dual_max_num_f32 v6, v5, v6 :: v_dual_lshlrev_b32 v5, 2, v19
	v_cmp_eq_u32_e32 vcc_lo, 0, v20
	ds_bpermute_b32 v10, v7, v6
	s_wait_xcnt 0x0
	s_and_saveexec_b32 s0, vcc_lo
	s_cbranch_execz .LBB65_14
; %bb.13:
	s_wait_dscnt 0x0
	v_max_num_f32_e32 v10, v10, v10
	v_max_num_f32_e32 v6, v6, v6
	s_delay_alu instid0(VALU_DEP_1)
	v_max_num_f32_e32 v6, v6, v10
	ds_store_b32 v5, v6 offset:160
.LBB65_14:
	s_or_b32 exec_lo, exec_lo, s0
	v_cmp_gt_u32_e64 s0, 4, v20
	v_dual_mov_b32 v11, 0xff7fffff :: v_dual_lshlrev_b32 v6, 2, v20
	s_wait_dscnt 0x0
	s_barrier_signal -1
	s_barrier_wait -1
	s_and_saveexec_b32 s1, s0
; %bb.15:
	ds_load_b32 v11, v6 offset:160
; %bb.16:
	s_or_b32 exec_lo, exec_lo, s1
	v_xor_b32_e32 v10, 2, v8
	v_lshl_add_u32 v21, v0, 2, 0xc0
	v_dual_lshlrev_b32 v3, 2, v3 :: v_dual_bitop2_b32 v13, 1, v8 bitop3:0x14
	s_delay_alu instid0(VALU_DEP_3) | instskip(NEXT) | instid1(VALU_DEP_1)
	v_cmp_lt_i32_e64 s1, v10, v9
	v_cndmask_b32_e64 v10, v8, v10, s1
	s_delay_alu instid0(VALU_DEP_3) | instskip(NEXT) | instid1(VALU_DEP_1)
	v_cmp_lt_i32_e64 s1, v13, v9
	v_dual_lshlrev_b32 v10, 2, v10 :: v_dual_cndmask_b32 v9, v8, v13, s1
	s_lshl_b32 s1, s22, 3
	s_delay_alu instid0(SALU_CYCLE_1)
	s_min_i32 s4, s1, s21
	s_wait_dscnt 0x0
	ds_bpermute_b32 v12, v10, v11
	v_dual_max_num_f32 v11, v11, v11 :: v_dual_lshlrev_b32 v9, 2, v9
	v_cmp_gt_i32_e64 s1, s4, v0
	s_wait_dscnt 0x0
	v_max_num_f32_e32 v12, v12, v12
	s_delay_alu instid0(VALU_DEP_1) | instskip(SKIP_3) | instid1(VALU_DEP_1)
	v_max_num_f32_e32 v11, v11, v12
	ds_bpermute_b32 v12, v9, v11
	s_wait_dscnt 0x0
	v_max_num_f32_e32 v12, v12, v12
	v_max_num_f32_e32 v11, v11, v12
	ds_bpermute_b32 v11, v3, v11
	v_mov_b32_e32 v3, 0
	s_and_saveexec_b32 s15, s1
	s_cbranch_execz .LBB65_20
; %bb.17:
	v_lshl_add_u32 v12, v0, 2, 0xc0
	v_dual_mov_b32 v3, 0 :: v_dual_mov_b32 v13, v0
	s_mov_b32 s23, 0
.LBB65_18:                              ; =>This Inner Loop Header: Depth=1
	ds_load_b32 v14, v12
	v_add_nc_u32_e32 v13, 0x80, v13
	s_delay_alu instid0(VALU_DEP_1) | instskip(SKIP_3) | instid1(VALU_DEP_1)
	v_cmp_le_i32_e64 s3, s4, v13
	s_or_b32 s23, s3, s23
	s_wait_dscnt 0x0
	v_sub_f32_e32 v14, v14, v11
	v_mul_f32_e32 v14, 0x3fb8aa3b, v14
	s_delay_alu instid0(VALU_DEP_1)
	v_exp_f32_e32 v14, v14
	ds_store_b32 v12, v14
	v_nop
	v_dual_add_f32 v3, v3, v14 :: v_dual_add_nc_u32 v12, 0x200, v12
	s_and_not1_b32 exec_lo, exec_lo, s23
	s_cbranch_execnz .LBB65_18
; %bb.19:
	s_or_b32 exec_lo, exec_lo, s23
.LBB65_20:
	s_delay_alu instid0(SALU_CYCLE_1)
	s_or_b32 exec_lo, exec_lo, s15
	ds_bpermute_b32 v2, v2, v3
	s_wait_dscnt 0x0
	v_add_f32_e32 v2, v3, v2
	ds_bpermute_b32 v3, v4, v2
	s_wait_dscnt 0x0
	v_add_f32_e32 v2, v2, v3
	;; [unrolled: 3-line block ×5, first 2 shown]
	s_and_saveexec_b32 s3, vcc_lo
; %bb.21:
	ds_store_b32 v5, v2 offset:176
; %bb.22:
	s_or_b32 exec_lo, exec_lo, s3
	s_wait_dscnt 0x0
	s_barrier_signal -1
	s_barrier_wait -1
	s_and_saveexec_b32 s3, s0
; %bb.23:
	ds_load_b32 v2, v6 offset:176
; %bb.24:
	s_or_b32 exec_lo, exec_lo, s3
	s_wait_dscnt 0x0
	ds_bpermute_b32 v3, v10, v2
	s_wait_dscnt 0x0
	v_dual_lshlrev_b32 v4, 2, v8 :: v_dual_add_f32 v2, v2, v3
	ds_bpermute_b32 v3, v9, v2
	s_wait_dscnt 0x0
	v_add_f32_e32 v2, v2, v3
	v_and_b32_e32 v3, 0xffffff80, v4
	ds_bpermute_b32 v2, v3, v2
	s_and_saveexec_b32 s0, s1
	s_cbranch_execz .LBB65_37
; %bb.25:
	s_wait_dscnt 0x0
	v_add_f32_e32 v2, 0x358637bd, v2
	s_mov_b32 s3, -1
	s_mov_b32 s1, exec_lo
	s_delay_alu instid0(VALU_DEP_1) | instskip(NEXT) | instid1(VALU_DEP_1)
	v_div_scale_f32 v3, null, v2, v2, 1.0
	v_rcp_f32_e32 v5, v3
	v_nop
	s_delay_alu instid0(TRANS32_DEP_1) | instskip(NEXT) | instid1(VALU_DEP_1)
	v_fma_f32 v4, -v3, v5, 1.0
	v_fmac_f32_e32 v5, v4, v5
	v_div_scale_f32 v6, vcc_lo, 1.0, v2, 1.0
	s_delay_alu instid0(VALU_DEP_1) | instskip(NEXT) | instid1(VALU_DEP_1)
	v_mul_f32_e32 v7, v6, v5
	v_fma_f32 v4, -v3, v7, v6
	s_delay_alu instid0(VALU_DEP_1) | instskip(SKIP_1) | instid1(VALU_DEP_2)
	v_fmac_f32_e32 v7, v4, v5
	v_xad_u32 v4, v0, -1, s4
	v_fma_f32 v3, -v3, v7, v6
	s_delay_alu instid0(VALU_DEP_1) | instskip(NEXT) | instid1(VALU_DEP_1)
	v_div_fmas_f32 v3, v3, v5, v7
	v_div_fixup_f32 v2, v3, v2, 1.0
	v_mov_b32_e32 v3, v0
	v_cmpx_lt_u32_e32 0x7f, v4
	s_cbranch_execz .LBB65_34
; %bb.26:
	s_delay_alu instid0(VALU_DEP_3) | instskip(NEXT) | instid1(VALU_DEP_1)
	v_dual_mov_b32 v3, v2 :: v_dual_lshrrev_b32 v4, 7, v4
	v_dual_mov_b32 v8, 0 :: v_dual_add_nc_u32 v5, -1, v4
	s_delay_alu instid0(VALU_DEP_1) | instskip(SKIP_1) | instid1(VALU_DEP_2)
	v_lshrrev_b32_e32 v6, 1, v5
	v_cmp_lt_u32_e32 vcc_lo, 13, v5
	v_add_nc_u32_e32 v5, 1, v6
	s_and_saveexec_b32 s3, vcc_lo
	s_cbranch_execz .LBB65_30
; %bb.27:
	s_delay_alu instid0(VALU_DEP_1)
	v_dual_mov_b32 v7, v21 :: v_dual_bitop2_b32 v6, -8, v5 bitop3:0x40
	s_mov_b32 s15, 0
	s_mov_b32 s23, 0
.LBB65_28:                              ; =>This Inner Loop Header: Depth=1
	ds_load_2addr_stride64_b32 v[8:9], v7 offset1:2
	ds_load_2addr_stride64_b32 v[10:11], v7 offset0:4 offset1:6
	ds_load_2addr_stride64_b32 v[12:13], v7 offset0:8 offset1:10
	ds_load_2addr_stride64_b32 v[14:15], v7 offset0:12 offset1:14
	ds_load_2addr_stride64_b32 v[16:17], v7 offset0:16 offset1:18
	ds_load_2addr_stride64_b32 v[22:23], v7 offset0:20 offset1:22
	ds_load_2addr_stride64_b32 v[24:25], v7 offset0:24 offset1:26
	ds_load_2addr_stride64_b32 v[26:27], v7 offset0:28 offset1:30
	s_add_co_i32 s23, s23, 16
	v_add_nc_u32_e32 v6, -8, v6
	s_wait_dscnt 0x7
	v_pk_mul_f32 v[8:9], v[2:3], v[8:9]
	s_wait_dscnt 0x6
	v_pk_mul_f32 v[10:11], v[2:3], v[10:11]
	;; [unrolled: 2-line block ×8, first 2 shown]
	ds_store_2addr_stride64_b32 v7, v8, v9 offset1:2
	ds_store_2addr_stride64_b32 v7, v10, v11 offset0:4 offset1:6
	ds_store_2addr_stride64_b32 v7, v12, v13 offset0:8 offset1:10
	;; [unrolled: 1-line block ×7, first 2 shown]
	v_mov_b32_e32 v8, s23
	v_cmp_eq_u32_e32 vcc_lo, 0, v6
	v_add_nc_u32_e32 v7, 0x2000, v7
	s_or_b32 s15, vcc_lo, s15
	s_delay_alu instid0(SALU_CYCLE_1)
	s_and_not1_b32 exec_lo, exec_lo, s15
	s_cbranch_execnz .LBB65_28
; %bb.29:
	s_or_b32 exec_lo, exec_lo, s15
.LBB65_30:
	s_delay_alu instid0(SALU_CYCLE_1) | instskip(NEXT) | instid1(VALU_DEP_1)
	s_or_b32 exec_lo, exec_lo, s3
	v_and_b32_e32 v5, 7, v5
	s_mov_b32 s15, 0
	s_mov_b32 s3, exec_lo
	s_delay_alu instid0(VALU_DEP_1)
	v_cmpx_ne_u32_e32 0, v5
	s_cbranch_execz .LBB65_33
; %bb.31:
	v_lshlrev_b32_e32 v6, 9, v8
	v_lshlrev_b32_e32 v7, 2, v0
	s_delay_alu instid0(VALU_DEP_1)
	v_add3_u32 v6, v6, v7, 0xc0
.LBB65_32:                              ; =>This Inner Loop Header: Depth=1
	ds_load_2addr_stride64_b32 v[8:9], v6 offset1:2
	v_add_nc_u32_e32 v5, -1, v5
	s_delay_alu instid0(VALU_DEP_1)
	v_cmp_eq_u32_e32 vcc_lo, 0, v5
	s_or_b32 s15, vcc_lo, s15
	s_wait_dscnt 0x0
	v_pk_mul_f32 v[8:9], v[2:3], v[8:9]
	ds_store_2addr_stride64_b32 v6, v8, v9 offset1:2
	v_add_nc_u32_e32 v6, 0x400, v6
	s_and_not1_b32 exec_lo, exec_lo, s15
	s_cbranch_execnz .LBB65_32
.LBB65_33:
	s_or_b32 exec_lo, exec_lo, s3
	v_add_nc_u32_e32 v3, 1, v4
	s_delay_alu instid0(VALU_DEP_1) | instskip(NEXT) | instid1(VALU_DEP_1)
	v_and_b32_e32 v4, 0x3fffffe, v3
	v_cmp_ne_u32_e32 vcc_lo, v3, v4
	v_lshl_add_u32 v3, v4, 7, v0
	s_or_not1_b32 s3, vcc_lo, exec_lo
.LBB65_34:
	s_or_b32 exec_lo, exec_lo, s1
	s_delay_alu instid0(SALU_CYCLE_1)
	s_and_b32 exec_lo, exec_lo, s3
	s_cbranch_execz .LBB65_37
; %bb.35:
	v_lshl_add_u32 v4, v3, 2, 0xc0
	s_mov_b32 s1, 0
.LBB65_36:                              ; =>This Inner Loop Header: Depth=1
	ds_load_b32 v5, v4
	v_add_nc_u32_e32 v3, 0x80, v3
	s_delay_alu instid0(VALU_DEP_1)
	v_cmp_le_i32_e32 vcc_lo, s4, v3
	s_or_b32 s1, vcc_lo, s1
	s_wait_dscnt 0x0
	v_mul_f32_e32 v5, v2, v5
	ds_store_b32 v4, v5
	v_add_nc_u32_e32 v4, 0x200, v4
	s_and_not1_b32 exec_lo, exec_lo, s1
	s_cbranch_execnz .LBB65_36
.LBB65_37:
	s_or_b32 exec_lo, exec_lo, s0
	v_mov_b64_e32 v[6:7], 0
	v_dual_mov_b32 v27, 0 :: v_dual_bitop2_b32 v22, 64, v20 bitop3:0x54
	s_wait_dscnt 0x0
	s_barrier_signal -1
	s_barrier_wait -1
	s_and_saveexec_b32 s23, s2
	s_cbranch_execz .LBB65_49
; %bb.38:
	s_ashr_i32 s15, s14, 31
	v_dual_mov_b32 v9, 0 :: v_dual_lshlrev_b32 v2, 3, v20
	s_lshl_b64 s[0:1], s[14:15], 1
	v_and_b32_e32 v8, 0x7c, v1
	s_ashr_i32 s3, s5, 31
	s_mov_b32 s2, s5
	s_wait_kmcnt 0x0
	s_add_nc_u64 s[4:5], s[16:17], s[0:1]
	s_lshl_b64 s[0:1], s[10:11], 2
	v_dual_lshlrev_b32 v4, 3, v22 :: v_dual_lshlrev_b32 v23, 3, v19
	s_add_nc_u64 s[0:1], s[12:13], s[0:1]
	v_lshl_add_u32 v24, v19, 5, 0xc0
	v_add_nc_u64_e32 v[10:11], s[0:1], v[8:9]
	v_dual_mov_b32 v13, v9 :: v_dual_lshlrev_b32 v12, 1, v2
	v_dual_mov_b32 v27, v9 :: v_dual_lshlrev_b32 v8, 1, v4
	v_dual_mov_b32 v7, v9 :: v_dual_mov_b32 v6, v9
	v_mov_b32_e32 v25, v19
	s_add_co_i32 s10, s22, -1
	s_mov_b32 s12, s21
	s_mov_b32 s11, 0
	v_cmp_gt_u32_e32 vcc_lo, 0x50, v22
	s_branch .LBB65_41
.LBB65_39:                              ;   in Loop: Header=BB65_41 Depth=1
	s_or_b32 exec_lo, exec_lo, s13
	v_dual_lshlrev_b32 v14, 16, v14 :: v_dual_lshlrev_b32 v1, 16, v1
	s_delay_alu instid0(VALU_DEP_2) | instskip(NEXT) | instid1(VALU_DEP_2)
	v_lshlrev_b32_e32 v15, 16, v15
	v_and_or_b32 v2, 0xffff, v2, v14
	s_delay_alu instid0(VALU_DEP_3) | instskip(NEXT) | instid1(VALU_DEP_3)
	v_and_or_b32 v1, 0xffff, v3, v1
	v_and_or_b32 v3, 0xffff, v4, v15
	;;#ASMSTART
	v_pk_mul_f16 v2, v29, v2;

	;;#ASMEND
	;;#ASMSTART
	v_pk_mul_f16 v1, v28, v1;

	;;#ASMEND
	;; [unrolled: 4-line block ×4, first 2 shown]
	;;#ASMSTART
	v_pk_add_f16 v1, v2, v1;

	;;#ASMEND
	;;#ASMSTART
	v_pk_add_f16 v1, v1, v3;

	;;#ASMEND
	;;#ASMSTART
	v_pk_add_f16 v1, v1, v4;

	;;#ASMEND
	v_and_b32_e32 v2, 0xffff, v1
	v_lshrrev_b32_e32 v1, 16, v1
	;;#ASMSTART
	v_cvt_f32_f16 v2, v2;
	;;#ASMEND
	;;#ASMSTART
	v_cvt_f32_f16 v1, v1;
	;;#ASMEND
	s_delay_alu instid0(VALU_DEP_1) | instskip(NEXT) | instid1(VALU_DEP_1)
	v_add_f32_e32 v1, v2, v1
	v_add_f32_e32 v27, v27, v1
.LBB65_40:                              ;   in Loop: Header=BB65_41 Depth=1
	s_or_b32 exec_lo, exec_lo, s1
	v_dual_add_f32 v1, v16, v17 :: v_dual_add_f32 v2, v18, v26
	v_add_nc_u32_e32 v25, 4, v25
	v_add_nc_u64_e32 v[10:11], 16, v[10:11]
	s_delay_alu instid0(VALU_DEP_3) | instskip(NEXT) | instid1(VALU_DEP_4)
	v_dual_add_f32 v7, v7, v1 :: v_dual_add_nc_u32 v24, 0x80, v24
	v_dual_add_f32 v6, v6, v2 :: v_dual_add_nc_u32 v23, 32, v23
	s_delay_alu instid0(VALU_DEP_4) | instskip(SKIP_1) | instid1(SALU_CYCLE_1)
	v_cmp_le_i32_e64 s0, s22, v25
	s_or_b32 s11, s0, s11
	s_and_not1_b32 exec_lo, exec_lo, s11
	s_cbranch_execz .LBB65_48
.LBB65_41:                              ; =>This Inner Loop Header: Depth=1
	global_load_b32 v2, v[10:11], off
	v_cmp_eq_u32_e64 s0, s10, v25
	s_wait_loadcnt 0x0
	v_ashrrev_i32_e32 v3, 31, v2
	s_delay_alu instid0(VALU_DEP_1)
	v_mul_u64_e32 v[14:15], s[2:3], v[2:3]
	ds_load_2addr_b64 v[2:5], v24 offset1:1
	ds_load_2addr_b64 v[36:39], v24 offset0:2 offset1:3
	s_wait_dscnt 0x1
	;;#ASMSTART
	v_cvt_f16_f32 v29, v2;

	;;#ASMEND
	;;#ASMSTART
	v_cvt_f16_f32 v28, v3;

	;;#ASMEND
	;; [unrolled: 4-line block ×4, first 2 shown]
	s_wait_dscnt 0x0
	;;#ASMSTART
	v_cvt_f16_f32 v35, v36;

	;;#ASMEND
	;;#ASMSTART
	v_cvt_f16_f32 v30, v37;

	;;#ASMEND
	;; [unrolled: 4-line block ×4, first 2 shown]
	v_lshl_add_u64 v[14:15], v[14:15], 1, s[4:5]
	s_delay_alu instid0(VALU_DEP_1)
	v_add_nc_u64_e32 v[16:17], v[14:15], v[12:13]
	global_load_b128 v[2:5], v[16:17], off
	s_wait_loadcnt 0x0
	v_dual_lshrrev_b32 v1, 16, v3 :: v_dual_lshrrev_b32 v26, 16, v4
	v_lshrrev_b32_e32 v18, 16, v2
	s_and_saveexec_b32 s13, s0
	s_cbranch_execz .LBB65_43
; %bb.42:                               ;   in Loop: Header=BB65_41 Depth=1
	v_dual_add_nc_u32 v36, 2, v23 :: v_dual_bitop2_b32 v37, 3, v23 bitop3:0x54
	v_cmp_gt_i32_e64 s1, s21, v23
	v_dual_add_nc_u32 v39, 7, v23 :: v_dual_bitop2_b32 v38, 1, v23 bitop3:0x54
	s_delay_alu instid0(VALU_DEP_2) | instskip(NEXT) | instid1(VALU_DEP_4)
	v_cndmask_b32_e64 v2, 0, v2, s1
	v_cmp_gt_i32_e64 s1, s21, v36
	v_add_nc_u32_e32 v36, 4, v23
	s_delay_alu instid0(VALU_DEP_2) | instskip(SKIP_1) | instid1(VALU_DEP_1)
	v_cndmask_b32_e64 v3, 0, v3, s1
	v_cmp_gt_i32_e64 s1, s12, v37
	v_dual_add_nc_u32 v37, 6, v23 :: v_dual_cndmask_b32 v1, 0, v1, s1
	v_cmp_gt_i32_e64 s1, s21, v38
	v_and_b32_e32 v38, 0xffff, v5
	v_and_b32_e32 v5, 0xffff0000, v5
	s_delay_alu instid0(VALU_DEP_3) | instskip(SKIP_1) | instid1(VALU_DEP_1)
	v_cndmask_b32_e64 v18, 0, v18, s1
	v_cmp_gt_i32_e64 s1, s21, v37
	v_dual_add_nc_u32 v40, 5, v23 :: v_dual_cndmask_b32 v37, 0, v38, s1
	v_cmp_gt_i32_e64 s1, s21, v39
	s_delay_alu instid0(VALU_DEP_1) | instskip(SKIP_1) | instid1(VALU_DEP_1)
	v_cndmask_b32_e64 v5, 0, v5, s1
	v_cmp_gt_i32_e64 s1, s21, v36
	v_cndmask_b32_e64 v4, 0, v4, s1
	v_cmp_gt_i32_e64 s1, s21, v40
	s_delay_alu instid0(VALU_DEP_1)
	v_dual_cndmask_b32 v26, 0, v26, s1 :: v_dual_bitop2_b32 v5, v37, v5 bitop3:0x54
.LBB65_43:                              ;   in Loop: Header=BB65_41 Depth=1
	s_or_b32 exec_lo, exec_lo, s13
	s_delay_alu instid0(VALU_DEP_1)
	v_dual_lshlrev_b32 v18, 16, v18 :: v_dual_lshlrev_b32 v1, 16, v1
	v_and_b32_e32 v29, 0xffff, v29
	v_and_b32_e32 v34, 0xffff, v34
	v_lshlrev_b32_e32 v26, 16, v26
	v_and_b32_e32 v35, 0xffff, v35
	v_and_b32_e32 v32, 0xffff, v32
	v_and_or_b32 v2, 0xffff, v2, v18
	v_and_or_b32 v1, 0xffff, v3, v1
	v_lshl_or_b32 v29, v28, 16, v29
	v_lshl_or_b32 v28, v33, 16, v34
	v_and_or_b32 v3, 0xffff, v4, v26
	;;#ASMSTART
	v_pk_mul_f16 v2, v29, v2;

	;;#ASMEND
	;;#ASMSTART
	v_pk_mul_f16 v1, v28, v1;

	;;#ASMEND
	v_lshl_or_b32 v30, v30, 16, v35
	v_lshl_or_b32 v31, v31, 16, v32
	;;#ASMSTART
	v_pk_mul_f16 v3, v30, v3;

	;;#ASMEND
	;;#ASMSTART
	v_pk_mul_f16 v4, v31, v5;

	;;#ASMEND
	;;#ASMSTART
	v_pk_add_f16 v1, v2, v1;

	;;#ASMEND
	;;#ASMSTART
	v_pk_add_f16 v1, v1, v3;
	;; [unrolled: 4-line block ×3, first 2 shown]

	;;#ASMEND
	v_and_b32_e32 v2, 0xffff, v1
	v_lshrrev_b32_e32 v1, 16, v1
	;;#ASMSTART
	v_cvt_f32_f16 v18, v2;
	;;#ASMEND
	;;#ASMSTART
	v_cvt_f32_f16 v26, v1;
	;;#ASMEND
	global_load_b128 v[2:5], v[16:17], off offset:512
	s_wait_loadcnt 0x0
	v_dual_lshrrev_b32 v1, 16, v3 :: v_dual_lshrrev_b32 v16, 16, v2
	v_lshrrev_b32_e32 v17, 16, v4
	s_and_saveexec_b32 s13, s0
	s_cbranch_execz .LBB65_45
; %bb.44:                               ;   in Loop: Header=BB65_41 Depth=1
	v_dual_add_nc_u32 v32, 2, v23 :: v_dual_bitop2_b32 v33, 3, v23 bitop3:0x54
	v_cmp_gt_i32_e64 s1, s21, v23
	v_dual_add_nc_u32 v35, 7, v23 :: v_dual_bitop2_b32 v34, 1, v23 bitop3:0x54
	s_delay_alu instid0(VALU_DEP_2) | instskip(NEXT) | instid1(VALU_DEP_4)
	v_cndmask_b32_e64 v2, 0, v2, s1
	v_cmp_gt_i32_e64 s1, s21, v32
	v_add_nc_u32_e32 v32, 4, v23
	s_delay_alu instid0(VALU_DEP_2) | instskip(SKIP_1) | instid1(VALU_DEP_1)
	v_cndmask_b32_e64 v3, 0, v3, s1
	v_cmp_gt_i32_e64 s1, s12, v33
	v_dual_add_nc_u32 v33, 6, v23 :: v_dual_cndmask_b32 v1, 0, v1, s1
	v_cmp_gt_i32_e64 s1, s21, v34
	v_and_b32_e32 v34, 0xffff, v5
	v_and_b32_e32 v5, 0xffff0000, v5
	s_delay_alu instid0(VALU_DEP_3) | instskip(SKIP_1) | instid1(VALU_DEP_1)
	v_cndmask_b32_e64 v16, 0, v16, s1
	v_cmp_gt_i32_e64 s1, s21, v33
	v_dual_add_nc_u32 v36, 5, v23 :: v_dual_cndmask_b32 v33, 0, v34, s1
	v_cmp_gt_i32_e64 s1, s21, v35
	s_delay_alu instid0(VALU_DEP_1) | instskip(SKIP_1) | instid1(VALU_DEP_1)
	v_cndmask_b32_e64 v5, 0, v5, s1
	v_cmp_gt_i32_e64 s1, s21, v32
	v_cndmask_b32_e64 v4, 0, v4, s1
	v_cmp_gt_i32_e64 s1, s21, v36
	s_delay_alu instid0(VALU_DEP_4) | instskip(NEXT) | instid1(VALU_DEP_2)
	v_or_b32_e32 v5, v33, v5
	v_cndmask_b32_e64 v17, 0, v17, s1
.LBB65_45:                              ;   in Loop: Header=BB65_41 Depth=1
	s_or_b32 exec_lo, exec_lo, s13
	v_dual_lshlrev_b32 v16, 16, v16 :: v_dual_lshlrev_b32 v1, 16, v1
	s_delay_alu instid0(VALU_DEP_2) | instskip(NEXT) | instid1(VALU_DEP_2)
	v_lshlrev_b32_e32 v17, 16, v17
	v_and_or_b32 v2, 0xffff, v2, v16
	s_delay_alu instid0(VALU_DEP_3) | instskip(NEXT) | instid1(VALU_DEP_3)
	v_and_or_b32 v1, 0xffff, v3, v1
	v_and_or_b32 v3, 0xffff, v4, v17
	;;#ASMSTART
	v_pk_mul_f16 v2, v29, v2;

	;;#ASMEND
	;;#ASMSTART
	v_pk_mul_f16 v1, v28, v1;

	;;#ASMEND
	;; [unrolled: 4-line block ×4, first 2 shown]
	;;#ASMSTART
	v_pk_add_f16 v1, v2, v1;

	;;#ASMEND
	;;#ASMSTART
	v_pk_add_f16 v1, v1, v3;

	;;#ASMEND
	;; [unrolled: 4-line block ×3, first 2 shown]
	v_and_b32_e32 v2, 0xffff, v1
	v_lshrrev_b32_e32 v1, 16, v1
	;;#ASMSTART
	v_cvt_f32_f16 v16, v2;
	;;#ASMEND
	;;#ASMSTART
	v_cvt_f32_f16 v17, v1;
	;;#ASMEND
	s_and_saveexec_b32 s1, vcc_lo
	s_cbranch_execz .LBB65_40
; %bb.46:                               ;   in Loop: Header=BB65_41 Depth=1
	v_add_nc_u64_e32 v[2:3], v[14:15], v[8:9]
	global_load_b128 v[2:5], v[2:3], off
	s_wait_loadcnt 0x0
	v_dual_lshrrev_b32 v1, 16, v3 :: v_dual_lshrrev_b32 v14, 16, v2
	v_lshrrev_b32_e32 v15, 16, v4
	s_and_saveexec_b32 s13, s0
	s_cbranch_execz .LBB65_39
; %bb.47:                               ;   in Loop: Header=BB65_41 Depth=1
	v_dual_add_nc_u32 v32, 2, v23 :: v_dual_bitop2_b32 v33, 3, v23 bitop3:0x54
	v_cmp_gt_i32_e64 s0, s21, v23
	v_dual_add_nc_u32 v35, 7, v23 :: v_dual_bitop2_b32 v34, 1, v23 bitop3:0x54
	s_delay_alu instid0(VALU_DEP_2) | instskip(NEXT) | instid1(VALU_DEP_4)
	v_cndmask_b32_e64 v2, 0, v2, s0
	v_cmp_gt_i32_e64 s0, s21, v32
	v_add_nc_u32_e32 v32, 4, v23
	s_delay_alu instid0(VALU_DEP_2) | instskip(SKIP_1) | instid1(VALU_DEP_1)
	v_cndmask_b32_e64 v3, 0, v3, s0
	v_cmp_gt_i32_e64 s0, s12, v33
	v_dual_add_nc_u32 v33, 6, v23 :: v_dual_cndmask_b32 v1, 0, v1, s0
	v_cmp_gt_i32_e64 s0, s21, v34
	v_and_b32_e32 v34, 0xffff, v5
	v_and_b32_e32 v5, 0xffff0000, v5
	s_delay_alu instid0(VALU_DEP_3) | instskip(SKIP_1) | instid1(VALU_DEP_1)
	v_cndmask_b32_e64 v14, 0, v14, s0
	v_cmp_gt_i32_e64 s0, s21, v33
	v_dual_add_nc_u32 v36, 5, v23 :: v_dual_cndmask_b32 v33, 0, v34, s0
	v_cmp_gt_i32_e64 s0, s21, v35
	s_delay_alu instid0(VALU_DEP_1) | instskip(SKIP_1) | instid1(VALU_DEP_1)
	v_cndmask_b32_e64 v5, 0, v5, s0
	v_cmp_gt_i32_e64 s0, s21, v32
	v_cndmask_b32_e64 v4, 0, v4, s0
	v_cmp_gt_i32_e64 s0, s21, v36
	s_delay_alu instid0(VALU_DEP_1)
	v_dual_cndmask_b32 v15, 0, v15, s0 :: v_dual_bitop2_b32 v5, v33, v5 bitop3:0x54
	s_branch .LBB65_39
.LBB65_48:
	s_or_b32 exec_lo, exec_lo, s11
.LBB65_49:
	s_delay_alu instid0(SALU_CYCLE_1)
	s_or_b32 exec_lo, exec_lo, s23
	s_movk_i32 s0, 0x140
	v_and_b32_e32 v2, 0x3c0, v0
	v_mad_u32_u24 v1, v19, s0, 0xc0
	s_mov_b32 s0, exec_lo
	s_barrier_signal -1
	s_barrier_wait -1
	v_cmpx_eq_u32_e32 64, v2
	s_cbranch_execz .LBB65_52
; %bb.50:
	v_add_nc_u32_e32 v2, 0xfffffd80, v1
	v_cmp_gt_u32_e32 vcc_lo, 0x50, v22
	s_delay_alu instid0(VALU_DEP_2)
	v_lshl_add_u32 v3, v20, 2, v2
	ds_store_2addr_b32 v3, v6, v7 offset1:32
	s_and_b32 exec_lo, exec_lo, vcc_lo
; %bb.51:
	v_lshl_add_u32 v2, v22, 2, v2
	ds_store_b32 v2, v27
.LBB65_52:
	s_or_b32 exec_lo, exec_lo, s0
	v_lshl_add_u32 v5, v20, 2, v1
	s_mov_b32 s0, exec_lo
	s_wait_dscnt 0x0
	s_barrier_signal -1
	s_barrier_wait -1
	v_cmpx_gt_u32_e32 64, v0
	s_cbranch_execz .LBB65_56
; %bb.53:
	v_lshl_or_b32 v2, v0, 2, 0x80
	s_mov_b32 s1, exec_lo
	s_delay_alu instid0(VALU_DEP_1)
	v_add_nc_u32_e32 v3, v1, v2
	ds_load_b32 v2, v5
	ds_load_b32 v3, v3
	v_cmpx_gt_u32_e32 0x50, v22
	s_cbranch_execz .LBB65_55
; %bb.54:
	ds_load_b32 v4, v5 offset:256
	s_wait_dscnt 0x0
	v_add_f32_e32 v27, v27, v4
.LBB65_55:
	s_or_b32 exec_lo, exec_lo, s1
	s_wait_dscnt 0x0
	v_pk_add_f32 v[6:7], v[6:7], v[2:3]
.LBB65_56:
	s_or_b32 exec_lo, exec_lo, s0
	v_and_b32_e32 v2, 0x3e0, v0
	s_mov_b32 s0, exec_lo
	s_barrier_signal -1
	s_barrier_wait -1
	s_delay_alu instid0(VALU_DEP_1)
	v_cmpx_eq_u32_e32 32, v2
	s_cbranch_execz .LBB65_59
; %bb.57:
	v_lshl_add_u32 v2, v20, 2, 0xc0
	v_cmp_gt_u32_e32 vcc_lo, 0x50, v22
	ds_store_b32 v2, v6
	ds_store_b32 v21, v7
	s_and_b32 exec_lo, exec_lo, vcc_lo
; %bb.58:
	ds_store_b32 v2, v27 offset:256
.LBB65_59:
	s_or_b32 exec_lo, exec_lo, s0
	v_cmp_gt_u32_e32 vcc_lo, 32, v0
	v_or_b32_e32 v4, 64, v0
	s_wait_dscnt 0x0
	s_barrier_signal -1
	s_barrier_wait -1
	s_and_saveexec_b32 s1, vcc_lo
	s_cbranch_execz .LBB65_63
; %bb.60:
	v_lshl_add_u32 v1, v0, 2, v1
	s_mov_b32 s2, exec_lo
	ds_load_b32 v2, v5
	ds_load_b32 v3, v1 offset:128
	v_cmpx_gt_u32_e32 0x50, v4
	s_cbranch_execz .LBB65_62
; %bb.61:
	ds_load_b32 v1, v1 offset:256
	s_wait_dscnt 0x0
	v_add_f32_e32 v27, v27, v1
.LBB65_62:
	s_or_b32 exec_lo, exec_lo, s2
	s_wait_dscnt 0x0
	v_pk_add_f32 v[6:7], v[6:7], v[2:3]
.LBB65_63:
	s_or_b32 exec_lo, exec_lo, s1
	s_barrier_signal -1
	s_barrier_wait -1
	s_and_saveexec_b32 s0, vcc_lo
	s_cbranch_execz .LBB65_66
; %bb.64:
	s_wait_kmcnt 0x0
	s_mul_i32 s1, s20, s9
	s_bfe_u32 s5, ttmp6, 0x40014
	s_mul_i32 s1, s1, s19
	s_mul_i32 s0, s9, s8
	;; [unrolled: 1-line block ×3, first 2 shown]
	s_lshr_b32 s4, ttmp7, 16
	s_ashr_i32 s3, s2, 31
	s_add_co_i32 s5, s5, 1
	s_lshl_b64 s[2:3], s[2:3], 1
	s_ashr_i32 s1, s0, 31
	s_add_nc_u64 s[2:3], s[6:7], s[2:3]
	s_mul_i32 s5, s4, s5
	s_bfe_u32 s6, ttmp6, 0x40008
	s_lshl_b64 s[0:1], s[0:1], 1
	s_add_co_i32 s6, s6, s5
	s_cmp_eq_u32 s18, 0
	s_add_nc_u64 s[0:1], s[2:3], s[0:1]
	s_cselect_b32 s2, s4, s6
	v_cmp_gt_u32_e32 vcc_lo, 0x50, v4
	s_mov_b32 s3, 0
	s_mulk_i32 s2, 0xa0
	;;#ASMSTART
	v_cvt_f16_f32 v1, v6;

	;;#ASMEND
	s_add_nc_u64 s[0:1], s[0:1], s[2:3]
	global_store_b16 v0, v1, s[0:1] scale_offset
	s_wait_xcnt 0x0
	;;#ASMSTART
	v_cvt_f16_f32 v1, v7;

	;;#ASMEND
	global_store_b16 v0, v1, s[0:1] offset:64 scale_offset
	s_wait_xcnt 0x0
	s_and_b32 exec_lo, exec_lo, vcc_lo
	s_cbranch_execz .LBB65_66
; %bb.65:
	v_dual_mov_b32 v1, 0 :: v_dual_lshlrev_b32 v0, 1, v0
	;;#ASMSTART
	v_cvt_f16_f32 v2, v27;

	;;#ASMEND
	s_delay_alu instid0(VALU_DEP_1)
	v_add_nc_u64_e32 v[0:1], s[0:1], v[0:1]
	global_store_b16 v[0:1], v2, off offset:128
.LBB65_66:
	s_endpgm
	.section	.rodata,"a",@progbits
	.p2align	6, 0x0
	.amdhsa_kernel _ZN4vllm25paged_attention_v1_kernelIttLi80ELi8ELi128ELNS_18Fp8KVCacheDataTypeE0ELb0EEEvPT_PKS2_PKT0_S8_ifPKiSA_iPKfiiiSC_SC_iiiii
		.amdhsa_group_segment_fixed_size 192
		.amdhsa_private_segment_fixed_size 0
		.amdhsa_kernarg_size 384
		.amdhsa_user_sgpr_count 2
		.amdhsa_user_sgpr_dispatch_ptr 0
		.amdhsa_user_sgpr_queue_ptr 0
		.amdhsa_user_sgpr_kernarg_segment_ptr 1
		.amdhsa_user_sgpr_dispatch_id 0
		.amdhsa_user_sgpr_kernarg_preload_length 0
		.amdhsa_user_sgpr_kernarg_preload_offset 0
		.amdhsa_user_sgpr_private_segment_size 0
		.amdhsa_wavefront_size32 1
		.amdhsa_uses_dynamic_stack 0
		.amdhsa_enable_private_segment 0
		.amdhsa_system_sgpr_workgroup_id_x 1
		.amdhsa_system_sgpr_workgroup_id_y 1
		.amdhsa_system_sgpr_workgroup_id_z 1
		.amdhsa_system_sgpr_workgroup_info 0
		.amdhsa_system_vgpr_workitem_id 0
		.amdhsa_next_free_vgpr 52
		.amdhsa_next_free_sgpr 30
		.amdhsa_named_barrier_count 0
		.amdhsa_reserve_vcc 1
		.amdhsa_float_round_mode_32 0
		.amdhsa_float_round_mode_16_64 0
		.amdhsa_float_denorm_mode_32 3
		.amdhsa_float_denorm_mode_16_64 3
		.amdhsa_fp16_overflow 0
		.amdhsa_memory_ordered 1
		.amdhsa_forward_progress 1
		.amdhsa_inst_pref_size 41
		.amdhsa_round_robin_scheduling 0
		.amdhsa_exception_fp_ieee_invalid_op 0
		.amdhsa_exception_fp_denorm_src 0
		.amdhsa_exception_fp_ieee_div_zero 0
		.amdhsa_exception_fp_ieee_overflow 0
		.amdhsa_exception_fp_ieee_underflow 0
		.amdhsa_exception_fp_ieee_inexact 0
		.amdhsa_exception_int_div_zero 0
	.end_amdhsa_kernel
	.section	.text._ZN4vllm25paged_attention_v1_kernelIttLi80ELi8ELi128ELNS_18Fp8KVCacheDataTypeE0ELb0EEEvPT_PKS2_PKT0_S8_ifPKiSA_iPKfiiiSC_SC_iiiii,"axG",@progbits,_ZN4vllm25paged_attention_v1_kernelIttLi80ELi8ELi128ELNS_18Fp8KVCacheDataTypeE0ELb0EEEvPT_PKS2_PKT0_S8_ifPKiSA_iPKfiiiSC_SC_iiiii,comdat
.Lfunc_end65:
	.size	_ZN4vllm25paged_attention_v1_kernelIttLi80ELi8ELi128ELNS_18Fp8KVCacheDataTypeE0ELb0EEEvPT_PKS2_PKT0_S8_ifPKiSA_iPKfiiiSC_SC_iiiii, .Lfunc_end65-_ZN4vllm25paged_attention_v1_kernelIttLi80ELi8ELi128ELNS_18Fp8KVCacheDataTypeE0ELb0EEEvPT_PKS2_PKT0_S8_ifPKiSA_iPKfiiiSC_SC_iiiii
                                        ; -- End function
	.set _ZN4vllm25paged_attention_v1_kernelIttLi80ELi8ELi128ELNS_18Fp8KVCacheDataTypeE0ELb0EEEvPT_PKS2_PKT0_S8_ifPKiSA_iPKfiiiSC_SC_iiiii.num_vgpr, 52
	.set _ZN4vllm25paged_attention_v1_kernelIttLi80ELi8ELi128ELNS_18Fp8KVCacheDataTypeE0ELb0EEEvPT_PKS2_PKT0_S8_ifPKiSA_iPKfiiiSC_SC_iiiii.num_agpr, 0
	.set _ZN4vllm25paged_attention_v1_kernelIttLi80ELi8ELi128ELNS_18Fp8KVCacheDataTypeE0ELb0EEEvPT_PKS2_PKT0_S8_ifPKiSA_iPKfiiiSC_SC_iiiii.numbered_sgpr, 30
	.set _ZN4vllm25paged_attention_v1_kernelIttLi80ELi8ELi128ELNS_18Fp8KVCacheDataTypeE0ELb0EEEvPT_PKS2_PKT0_S8_ifPKiSA_iPKfiiiSC_SC_iiiii.num_named_barrier, 0
	.set _ZN4vllm25paged_attention_v1_kernelIttLi80ELi8ELi128ELNS_18Fp8KVCacheDataTypeE0ELb0EEEvPT_PKS2_PKT0_S8_ifPKiSA_iPKfiiiSC_SC_iiiii.private_seg_size, 0
	.set _ZN4vllm25paged_attention_v1_kernelIttLi80ELi8ELi128ELNS_18Fp8KVCacheDataTypeE0ELb0EEEvPT_PKS2_PKT0_S8_ifPKiSA_iPKfiiiSC_SC_iiiii.uses_vcc, 1
	.set _ZN4vllm25paged_attention_v1_kernelIttLi80ELi8ELi128ELNS_18Fp8KVCacheDataTypeE0ELb0EEEvPT_PKS2_PKT0_S8_ifPKiSA_iPKfiiiSC_SC_iiiii.uses_flat_scratch, 0
	.set _ZN4vllm25paged_attention_v1_kernelIttLi80ELi8ELi128ELNS_18Fp8KVCacheDataTypeE0ELb0EEEvPT_PKS2_PKT0_S8_ifPKiSA_iPKfiiiSC_SC_iiiii.has_dyn_sized_stack, 0
	.set _ZN4vllm25paged_attention_v1_kernelIttLi80ELi8ELi128ELNS_18Fp8KVCacheDataTypeE0ELb0EEEvPT_PKS2_PKT0_S8_ifPKiSA_iPKfiiiSC_SC_iiiii.has_recursion, 0
	.set _ZN4vllm25paged_attention_v1_kernelIttLi80ELi8ELi128ELNS_18Fp8KVCacheDataTypeE0ELb0EEEvPT_PKS2_PKT0_S8_ifPKiSA_iPKfiiiSC_SC_iiiii.has_indirect_call, 0
	.section	.AMDGPU.csdata,"",@progbits
; Kernel info:
; codeLenInByte = 5236
; TotalNumSgprs: 32
; NumVgprs: 52
; ScratchSize: 0
; MemoryBound: 0
; FloatMode: 240
; IeeeMode: 1
; LDSByteSize: 192 bytes/workgroup (compile time only)
; SGPRBlocks: 0
; VGPRBlocks: 3
; NumSGPRsForWavesPerEU: 32
; NumVGPRsForWavesPerEU: 52
; NamedBarCnt: 0
; Occupancy: 16
; WaveLimiterHint : 1
; COMPUTE_PGM_RSRC2:SCRATCH_EN: 0
; COMPUTE_PGM_RSRC2:USER_SGPR: 2
; COMPUTE_PGM_RSRC2:TRAP_HANDLER: 0
; COMPUTE_PGM_RSRC2:TGID_X_EN: 1
; COMPUTE_PGM_RSRC2:TGID_Y_EN: 1
; COMPUTE_PGM_RSRC2:TGID_Z_EN: 1
; COMPUTE_PGM_RSRC2:TIDIG_COMP_CNT: 0
	.section	.text._ZN4vllm25paged_attention_v1_kernelIttLi96ELi8ELi128ELNS_18Fp8KVCacheDataTypeE0ELb0EEEvPT_PKS2_PKT0_S8_ifPKiSA_iPKfiiiSC_SC_iiiii,"axG",@progbits,_ZN4vllm25paged_attention_v1_kernelIttLi96ELi8ELi128ELNS_18Fp8KVCacheDataTypeE0ELb0EEEvPT_PKS2_PKT0_S8_ifPKiSA_iPKfiiiSC_SC_iiiii,comdat
	.protected	_ZN4vllm25paged_attention_v1_kernelIttLi96ELi8ELi128ELNS_18Fp8KVCacheDataTypeE0ELb0EEEvPT_PKS2_PKT0_S8_ifPKiSA_iPKfiiiSC_SC_iiiii ; -- Begin function _ZN4vllm25paged_attention_v1_kernelIttLi96ELi8ELi128ELNS_18Fp8KVCacheDataTypeE0ELb0EEEvPT_PKS2_PKT0_S8_ifPKiSA_iPKfiiiSC_SC_iiiii
	.globl	_ZN4vllm25paged_attention_v1_kernelIttLi96ELi8ELi128ELNS_18Fp8KVCacheDataTypeE0ELb0EEEvPT_PKS2_PKT0_S8_ifPKiSA_iPKfiiiSC_SC_iiiii
	.p2align	8
	.type	_ZN4vllm25paged_attention_v1_kernelIttLi96ELi8ELi128ELNS_18Fp8KVCacheDataTypeE0ELb0EEEvPT_PKS2_PKT0_S8_ifPKiSA_iPKfiiiSC_SC_iiiii,@function
_ZN4vllm25paged_attention_v1_kernelIttLi96ELi8ELi128ELNS_18Fp8KVCacheDataTypeE0ELb0EEEvPT_PKS2_PKT0_S8_ifPKiSA_iPKfiiiSC_SC_iiiii: ; @_ZN4vllm25paged_attention_v1_kernelIttLi96ELi8ELi128ELNS_18Fp8KVCacheDataTypeE0ELb0EEEvPT_PKS2_PKT0_S8_ifPKiSA_iPKfiiiSC_SC_iiiii
; %bb.0:
	s_load_b64 s[6:7], s[0:1], 0x20
	s_bfe_u32 s3, ttmp6, 0x4000c
	s_bfe_u32 s5, ttmp6, 0x40010
	s_and_b32 s4, ttmp7, 0xffff
	s_add_co_i32 s3, s3, 1
	s_add_co_i32 s5, s5, 1
	s_and_b32 s2, ttmp6, 15
	s_bfe_u32 s8, ttmp6, 0x40004
	s_mul_i32 s3, ttmp9, s3
	s_mul_i32 s5, s4, s5
	s_getreg_b32 s18, hwreg(HW_REG_IB_STS2, 6, 4)
	s_add_co_i32 s2, s2, s3
	s_add_co_i32 s3, s8, s5
	s_cmp_eq_u32 s18, 0
	s_clause 0x1
	s_load_b32 s19, s[0:1], 0x80
	s_load_b64 s[8:9], s[0:1], 0x30
	s_cselect_b32 s20, s4, s3
	s_cselect_b32 s2, ttmp9, s2
	s_wait_kmcnt 0x0
	s_abs_i32 s3, s6
	s_delay_alu instid0(SALU_CYCLE_1) | instskip(SKIP_1) | instid1(SALU_CYCLE_2)
	s_cvt_f32_u32 s4, s3
	s_sub_co_i32 s5, 0, s3
	v_rcp_iflag_f32_e32 v1, s4
	s_abs_i32 s10, s19
	v_nop
	s_delay_alu instid0(TRANS32_DEP_1) | instskip(SKIP_1) | instid1(SALU_CYCLE_3)
	v_readfirstlane_b32 s4, v1
	s_mul_f32 s4, s4, 0x4f7ffffe
	s_cvt_u32_f32 s4, s4
	s_delay_alu instid0(SALU_CYCLE_3) | instskip(NEXT) | instid1(SALU_CYCLE_1)
	s_mul_i32 s5, s5, s4
	s_mul_hi_u32 s5, s4, s5
	s_delay_alu instid0(SALU_CYCLE_1) | instskip(SKIP_4) | instid1(SALU_CYCLE_1)
	s_add_co_i32 s4, s4, s5
	s_xor_b32 s5, s19, s6
	s_mul_hi_u32 s4, s10, s4
	s_ashr_i32 s5, s5, 31
	s_mul_i32 s6, s4, s3
	s_sub_co_i32 s6, s10, s6
	s_add_co_i32 s10, s4, 1
	s_sub_co_i32 s11, s6, s3
	s_cmp_ge_u32 s6, s3
	s_cselect_b32 s4, s10, s4
	s_cselect_b32 s6, s11, s6
	s_add_co_i32 s10, s4, 1
	s_cmp_ge_u32 s6, s3
	s_mov_b32 s11, 0
	s_cselect_b32 s3, s10, s4
	s_abs_i32 s10, s2
	s_xor_b32 s3, s3, s5
	s_mov_b32 s13, s11
	s_sub_co_i32 s15, s3, s5
	s_load_b64 s[4:5], s[0:1], 0x40
	s_abs_i32 s14, s15
	s_mov_b32 s23, s11
	s_cvt_f32_u32 s3, s14
	s_sub_co_i32 s6, 0, s14
	s_delay_alu instid0(SALU_CYCLE_2) | instskip(SKIP_1) | instid1(TRANS32_DEP_1)
	v_rcp_iflag_f32_e32 v1, s3
	v_nop
	v_readfirstlane_b32 s3, v1
	s_mul_f32 s3, s3, 0x4f7ffffe
	s_delay_alu instid0(SALU_CYCLE_3) | instskip(NEXT) | instid1(SALU_CYCLE_3)
	s_cvt_u32_f32 s3, s3
	s_mul_i32 s6, s6, s3
	s_delay_alu instid0(SALU_CYCLE_1) | instskip(NEXT) | instid1(SALU_CYCLE_1)
	s_mul_hi_u32 s6, s3, s6
	s_add_co_i32 s12, s3, s6
	s_wait_kmcnt 0x0
	s_cmp_eq_u64 s[4:5], 0
	s_cbranch_scc1 .LBB66_2
; %bb.1:
	s_ashr_i32 s3, s2, 31
	s_delay_alu instid0(SALU_CYCLE_1) | instskip(NEXT) | instid1(SALU_CYCLE_1)
	s_lshl_b64 s[16:17], s[2:3], 2
	s_add_nc_u64 s[4:5], s[4:5], s[16:17]
	s_load_b32 s23, s[4:5], 0x0
.LBB66_2:
	s_load_b32 s21, s[8:9], s20 offset:0x0 scale_offset
	s_wait_xcnt 0x0
	s_load_b96 s[4:6], s[0:1], 0x48
	v_and_b32_e32 v4, 3, v0
	s_ashr_i32 s3, s2, 31
	s_ashr_i32 s15, s15, 31
	s_mul_u64 s[12:13], s[10:11], s[12:13]
	s_mul_i32 s8, s2, 0x60
	s_mov_b32 s2, exec_lo
	v_cmpx_gt_u32_e32 48, v0
	s_cbranch_execz .LBB66_4
; %bb.3:
	s_load_b64 s[16:17], s[0:1], 0x8
	s_wait_kmcnt 0x0
	s_mul_i32 s24, s4, s20
	s_ashr_i32 s9, s8, 31
	s_ashr_i32 s25, s24, 31
	v_and_b32_e32 v2, 0x3fc, v0
	s_lshl_b64 s[24:25], s[24:25], 1
	s_delay_alu instid0(VALU_DEP_1) | instskip(SKIP_2) | instid1(SALU_CYCLE_1)
	v_mad_u32_u24 v2, v4, 48, v2
	s_add_nc_u64 s[16:17], s[16:17], s[24:25]
	s_lshl_b64 s[24:25], s[8:9], 1
	s_add_nc_u64 s[16:17], s[16:17], s[24:25]
	global_load_b32 v1, v0, s[16:17] scale_offset
	s_wait_loadcnt 0x0
	ds_store_b32 v2, v1
.LBB66_4:
	s_or_b32 exec_lo, exec_lo, s2
	s_wait_kmcnt 0x0
	s_add_co_i32 s2, s21, 7
	s_load_b32 s4, s[0:1], 0x38
	s_ashr_i32 s9, s2, 31
	s_mul_i32 s11, s13, s14
	s_lshr_b32 s9, s9, 29
	s_xor_b32 s3, s3, s15
	s_add_co_i32 s2, s2, s9
	s_sub_co_i32 s9, s10, s11
	s_ashr_i32 s22, s2, 3
	s_add_co_i32 s2, s13, 1
	s_sub_co_i32 s10, s9, s14
	s_cmp_ge_u32 s9, s14
	v_lshrrev_b32_e32 v16, 5, v0
	s_cselect_b32 s2, s2, s13
	s_cselect_b32 s9, s10, s9
	s_add_co_i32 s10, s2, 1
	s_cmp_ge_u32 s9, s14
	v_mbcnt_lo_u32_b32 v8, -1, 0
	s_cselect_b32 s2, s10, s2
	s_wait_dscnt 0x0
	s_xor_b32 s2, s2, s3
	s_wait_kmcnt 0x0
	s_mul_i32 s10, s4, s20
	s_sub_co_i32 s3, s2, s3
	v_cmp_gt_i32_e64 s2, s22, v16
	s_ashr_i32 s11, s10, 31
	s_mov_b32 s4, exec_lo
	s_barrier_signal -1
	s_barrier_wait -1
                                        ; implicit-def: $vgpr3
                                        ; implicit-def: $vgpr9
	v_cmpx_le_i32_e64 s22, v16
	s_xor_b32 s4, exec_lo, s4
; %bb.5:
	v_dual_mov_b32 v3, 0 :: v_dual_mov_b32 v9, 32
	v_mbcnt_lo_u32_b32 v8, -1, 0
                                        ; implicit-def: $vgpr4
; %bb.6:
	s_or_saveexec_b32 s24, s4
	s_clause 0x1
	s_load_b64 s[12:13], s[0:1], 0x28
	s_load_b32 s9, s[0:1], 0x88
	v_dual_mov_b32 v10, 0xff7fffff :: v_dual_lshrrev_b32 v1, 3, v0
	s_mul_i32 s14, s3, s6
	s_xor_b32 exec_lo, exec_lo, s24
	s_cbranch_execz .LBB66_12
; %bb.7:
	s_load_b64 s[26:27], s[0:1], 0x10
	v_bfe_u32 v6, v0, 2, 3
	s_ashr_i32 s15, s14, 31
	v_dual_mov_b32 v3, 0 :: v_dual_lshlrev_b32 v7, 2, v0
	s_lshl_b64 s[28:29], s[14:15], 1
	s_delay_alu instid0(VALU_DEP_2)
	v_dual_lshlrev_b32 v2, 4, v6 :: v_dual_lshlrev_b32 v12, 2, v6
	v_mul_u32_u24_e32 v11, 48, v4
	v_cmp_eq_u32_e32 vcc_lo, 0, v4
	s_ashr_i32 s17, s5, 31
	s_cmp_neq_f32 s23, 0
	v_dual_mov_b32 v10, 0xff7fffff :: v_dual_mov_b32 v15, v16
	v_xor_b32_e32 v14, 1, v8
	s_cselect_b32 s3, -1, 0
	s_mov_b32 s16, s5
	s_mov_b32 s6, 0
	s_sub_co_i32 s15, 1, s21
	v_mov_b32_e32 v9, 32
	s_wait_kmcnt 0x0
	s_add_nc_u64 s[26:27], s[26:27], s[28:29]
	s_delay_alu instid0(SALU_CYCLE_1)
	v_add_nc_u64_e32 v[4:5], s[26:27], v[2:3]
	v_and_b32_e32 v2, 12, v7
	v_lshl_or_b32 v7, v16, 5, v12
	s_lshl_b64 s[26:27], s[10:11], 2
	v_lshl_or_b32 v12, v16, 3, v6
	s_add_nc_u64 s[26:27], s[12:13], s[26:27]
	s_delay_alu instid0(VALU_DEP_2) | instskip(SKIP_2) | instid1(VALU_DEP_1)
	v_add_nc_u32_e32 v13, 0xe0, v7
	v_add_nc_u64_e32 v[4:5], v[4:5], v[2:3]
	v_and_b32_e32 v2, 0x7c, v1
	v_add_nc_u64_e32 v[6:7], s[26:27], v[2:3]
	v_xor_b32_e32 v2, 2, v8
	s_branch .LBB66_9
.LBB66_8:                               ;   in Loop: Header=BB66_9 Depth=1
	s_or_b32 exec_lo, exec_lo, s25
	v_dual_add_nc_u32 v15, 4, v15 :: v_dual_add_nc_u32 v12, 32, v12
	v_add_nc_u64_e32 v[6:7], 16, v[6:7]
	v_add_nc_u32_e32 v13, 0x80, v13
	s_delay_alu instid0(VALU_DEP_3) | instskip(SKIP_1) | instid1(SALU_CYCLE_1)
	v_cmp_le_i32_e64 s4, s22, v15
	s_or_b32 s6, s4, s6
	s_and_not1_b32 exec_lo, exec_lo, s6
	s_cbranch_execz .LBB66_11
.LBB66_9:                               ; =>This Inner Loop Header: Depth=1
	s_wait_dscnt 0x0
	global_load_b32 v18, v[6:7], off
	v_cmp_gt_i32_e64 s4, 32, v2
	s_wait_loadcnt 0x0
	v_ashrrev_i32_e32 v19, 31, v18
	s_delay_alu instid0(VALU_DEP_1) | instskip(NEXT) | instid1(VALU_DEP_1)
	v_mul_u64_e32 v[18:19], s[16:17], v[18:19]
	v_lshl_add_u64 v[18:19], v[18:19], 1, v[4:5]
	s_clause 0xb
	global_load_b32 v20, v[18:19], off
	global_load_b32 v21, v[18:19], off offset:128
	global_load_b32 v22, v[18:19], off offset:256
	;; [unrolled: 1-line block ×11, first 2 shown]
	ds_load_b32 v31, v11
	s_wait_dscnt 0x0
	s_wait_xcnt 0x0
	v_and_b32_e32 v18, 0xffff, v31
	v_lshrrev_b32_e32 v19, 16, v31
	;;#ASMSTART
	v_cvt_f32_f16 v32, v18;
	;;#ASMEND
	;;#ASMSTART
	v_cvt_f32_f16 v33, v19;
	;;#ASMEND
	s_wait_loadcnt 0xb
	v_and_b32_e32 v31, 0xffff, v20
	v_lshrrev_b32_e32 v20, 16, v20
	;;#ASMSTART
	v_cvt_f32_f16 v31, v31;
	;;#ASMEND
	;;#ASMSTART
	v_cvt_f32_f16 v34, v20;
	;;#ASMEND
	ds_load_b32 v18, v11 offset:4
	s_wait_loadcnt 0xa
	v_and_b32_e32 v20, 0xffff, v21
	v_lshrrev_b32_e32 v21, 16, v21
	s_wait_loadcnt 0x9
	v_and_b32_e32 v37, 0xffff, v22
	v_lshrrev_b32_e32 v22, 16, v22
	;; [unrolled: 3-line block ×3, first 2 shown]
	s_wait_loadcnt 0x7
	v_and_b32_e32 v43, 0xffff, v24
	s_wait_loadcnt 0x6
	v_and_b32_e32 v46, 0xffff, v25
	;; [unrolled: 2-line block ×3, first 2 shown]
	v_and_b32_e32 v49, 0xffff, v26
	s_wait_loadcnt 0x2
	v_dual_lshrrev_b32 v26, 16, v26 :: v_dual_lshrrev_b32 v57, 16, v29
	v_and_b32_e32 v55, 0xffff, v28
	v_and_b32_e32 v29, 0xffff, v29
	v_dual_lshrrev_b32 v24, 16, v24 :: v_dual_lshrrev_b32 v25, 16, v25
	v_dual_lshrrev_b32 v27, 16, v27 :: v_dual_lshrrev_b32 v28, 16, v28
	s_wait_dscnt 0x0
	v_and_b32_e32 v19, 0xffff, v18
	v_lshrrev_b32_e32 v18, 16, v18
	;;#ASMSTART
	v_cvt_f32_f16 v19, v19;
	;;#ASMEND
	;;#ASMSTART
	v_cvt_f32_f16 v35, v18;
	;;#ASMEND
	;;#ASMSTART
	v_cvt_f32_f16 v20, v20;
	;;#ASMEND
	;;#ASMSTART
	v_cvt_f32_f16 v21, v21;
	;;#ASMEND
	ds_load_b32 v18, v11 offset:8
	s_wait_dscnt 0x0
	v_and_b32_e32 v36, 0xffff, v18
	v_lshrrev_b32_e32 v18, 16, v18
	;;#ASMSTART
	v_cvt_f32_f16 v36, v36;
	;;#ASMEND
	;;#ASMSTART
	v_cvt_f32_f16 v38, v18;
	;;#ASMEND
	;;#ASMSTART
	v_cvt_f32_f16 v37, v37;
	;;#ASMEND
	;;#ASMSTART
	v_cvt_f32_f16 v22, v22;
	;;#ASMEND
	ds_load_b32 v18, v11 offset:12
	;; [unrolled: 16-line block ×8, first 2 shown]
	s_wait_dscnt 0x0
	v_and_b32_e32 v58, 0xffff, v18
	v_dual_mul_f32 v18, v19, v20 :: v_dual_lshrrev_b32 v59, 16, v18
	v_mul_f32_e32 v19, v35, v21
	;;#ASMSTART
	v_cvt_f32_f16 v35, v58;
	;;#ASMEND
	;;#ASMSTART
	v_cvt_f32_f16 v58, v59;
	;;#ASMEND
	;; [unrolled: 3-line block ×4, first 2 shown]
	ds_load_b32 v20, v11 offset:40
	v_dual_fmac_f32 v18, v32, v31 :: v_dual_fmac_f32 v19, v33, v34
	s_wait_loadcnt 0x1
	s_delay_alu instid0(VALU_DEP_1) | instskip(NEXT) | instid1(VALU_DEP_1)
	v_dual_fmac_f32 v18, v36, v37 :: v_dual_lshrrev_b32 v21, 16, v30
	v_dual_fmac_f32 v19, v38, v22 :: v_dual_fmac_f32 v18, v39, v40
	s_delay_alu instid0(VALU_DEP_1) | instskip(SKIP_1) | instid1(VALU_DEP_2)
	v_fmac_f32_e32 v19, v41, v23
	v_and_b32_e32 v23, 0xffff, v30
	v_dual_fmac_f32 v18, v42, v43 :: v_dual_fmac_f32 v19, v44, v24
	s_wait_dscnt 0x0
	v_and_b32_e32 v22, 0xffff, v20
	s_delay_alu instid0(VALU_DEP_2) | instskip(SKIP_3) | instid1(VALU_DEP_1)
	v_dual_lshrrev_b32 v20, 16, v20 :: v_dual_fmac_f32 v18, v45, v46
	;;#ASMSTART
	v_cvt_f32_f16 v22, v22;
	;;#ASMEND
	;;#ASMSTART
	v_cvt_f32_f16 v24, v20;
	;;#ASMEND
	;; [unrolled: 3-line block ×3, first 2 shown]
	v_fmac_f32_e32 v18, v48, v49
	s_delay_alu instid0(VALU_DEP_1)
	v_fmac_f32_e32 v18, v51, v52
	v_fmac_f32_e32 v19, v47, v25
	;;#ASMSTART
	v_cvt_f32_f16 v25, v21;
	;;#ASMEND
	ds_load_b32 v20, v11 offset:44
	v_fmac_f32_e32 v18, v54, v55
	v_fmac_f32_e32 v19, v50, v26
	s_wait_loadcnt 0x0
	v_dual_cndmask_b32 v21, v8, v2, s4 :: v_dual_lshrrev_b32 v26, 16, v17
	v_and_b32_e32 v17, 0xffff, v17
	s_delay_alu instid0(VALU_DEP_3) | instskip(SKIP_1) | instid1(VALU_DEP_2)
	v_dual_fmac_f32 v18, v35, v29 :: v_dual_fmac_f32 v19, v53, v27
	v_cmp_gt_i32_e64 s4, 32, v14
	v_fmac_f32_e32 v19, v56, v28
	s_delay_alu instid0(VALU_DEP_1) | instskip(SKIP_3) | instid1(VALU_DEP_3)
	v_fmac_f32_e32 v19, v58, v57
	s_wait_dscnt 0x0
	v_and_b32_e32 v27, 0xffff, v20
	v_dual_lshrrev_b32 v20, 16, v20 :: v_dual_fmac_f32 v18, v22, v23
	v_fmac_f32_e32 v19, v24, v25
	;;#ASMSTART
	v_cvt_f32_f16 v22, v27;
	;;#ASMEND
	;;#ASMSTART
	v_cvt_f32_f16 v20, v20;
	;;#ASMEND
	;; [unrolled: 3-line block ×4, first 2 shown]
	v_dual_fmac_f32 v18, v22, v17 :: v_dual_fmac_f32 v19, v20, v23
	s_delay_alu instid0(VALU_DEP_1) | instskip(SKIP_3) | instid1(VALU_DEP_1)
	v_dual_add_f32 v18, v18, v19 :: v_dual_lshlrev_b32 v17, 2, v21
	ds_bpermute_b32 v17, v17, v18
	s_wait_dscnt 0x0
	v_dual_cndmask_b32 v19, v8, v14, s4 :: v_dual_add_f32 v17, v18, v17
	v_lshlrev_b32_e32 v18, 2, v19
	ds_bpermute_b32 v18, v18, v17
	s_and_saveexec_b32 s25, vcc_lo
	s_cbranch_execz .LBB66_8
; %bb.10:                               ;   in Loop: Header=BB66_9 Depth=1
	s_wait_dscnt 0x0
	v_dual_add_nc_u32 v19, s15, v12 :: v_dual_add_f32 v17, v17, v18
	v_cmp_gt_i32_e64 s4, s21, v12
	s_delay_alu instid0(VALU_DEP_2) | instskip(NEXT) | instid1(VALU_DEP_1)
	v_cvt_f32_i32_e32 v19, v19
	v_mul_f32_e32 v19, s23, v19
	s_delay_alu instid0(VALU_DEP_1) | instskip(NEXT) | instid1(VALU_DEP_1)
	v_dual_cndmask_b32 v18, 0, v19, s3 :: v_dual_max_num_f32 v19, v10, v10
	v_fmac_f32_e32 v18, s7, v17
	s_delay_alu instid0(VALU_DEP_1) | instskip(NEXT) | instid1(VALU_DEP_1)
	v_dual_max_num_f32 v17, v19, v18 :: v_dual_cndmask_b32 v18, 0, v18, s4
	v_cndmask_b32_e64 v10, v10, v17, s4
	ds_store_b32 v13, v18
	s_branch .LBB66_8
.LBB66_11:
	s_or_b32 exec_lo, exec_lo, s6
.LBB66_12:
	s_delay_alu instid0(SALU_CYCLE_1)
	s_or_b32 exec_lo, exec_lo, s24
	v_dual_max_num_f32 v6, v10, v10 :: v_dual_bitop2_b32 v2, 16, v8 bitop3:0x14
	s_clause 0x1
	s_load_b64 s[6:7], s[0:1], 0x0
	s_load_b64 s[16:17], s[0:1], 0x18
	v_and_b32_e32 v17, 31, v0
	v_xor_b32_e32 v5, 8, v8
	v_cmp_lt_i32_e32 vcc_lo, v2, v9
	v_cndmask_b32_e32 v2, v8, v2, vcc_lo
	s_delay_alu instid0(VALU_DEP_3) | instskip(NEXT) | instid1(VALU_DEP_2)
	v_cmp_lt_i32_e32 vcc_lo, v5, v9
	v_dual_cndmask_b32 v5, v8, v5 :: v_dual_lshlrev_b32 v2, 2, v2
	ds_bpermute_b32 v4, v2, v10
	s_wait_dscnt 0x0
	v_dual_max_num_f32 v7, v4, v4 :: v_dual_lshlrev_b32 v4, 2, v5
	s_delay_alu instid0(VALU_DEP_1)
	v_dual_max_num_f32 v5, v6, v7 :: v_dual_bitop2_b32 v7, 4, v8 bitop3:0x14
	ds_bpermute_b32 v6, v4, v5
	v_cmp_lt_i32_e32 vcc_lo, v7, v9
	v_cndmask_b32_e32 v7, v8, v7, vcc_lo
	v_cmp_eq_u32_e32 vcc_lo, 0, v17
	s_wait_dscnt 0x0
	s_delay_alu instid0(VALU_DEP_2) | instskip(NEXT) | instid1(VALU_DEP_1)
	v_dual_max_num_f32 v6, v6, v6 :: v_dual_lshlrev_b32 v7, 2, v7
	v_dual_max_num_f32 v6, v5, v6 :: v_dual_lshlrev_b32 v5, 2, v16
	ds_bpermute_b32 v10, v7, v6
	s_wait_xcnt 0x0
	s_and_saveexec_b32 s0, vcc_lo
	s_cbranch_execz .LBB66_14
; %bb.13:
	s_wait_dscnt 0x0
	v_max_num_f32_e32 v10, v10, v10
	v_max_num_f32_e32 v6, v6, v6
	s_delay_alu instid0(VALU_DEP_1)
	v_max_num_f32_e32 v6, v6, v10
	ds_store_b32 v5, v6 offset:192
.LBB66_14:
	s_or_b32 exec_lo, exec_lo, s0
	v_cmp_gt_u32_e64 s0, 4, v17
	v_dual_mov_b32 v11, 0xff7fffff :: v_dual_lshlrev_b32 v6, 2, v17
	s_wait_dscnt 0x0
	s_barrier_signal -1
	s_barrier_wait -1
	s_and_saveexec_b32 s1, s0
; %bb.15:
	ds_load_b32 v11, v6 offset:192
; %bb.16:
	s_or_b32 exec_lo, exec_lo, s1
	v_xor_b32_e32 v10, 2, v8
	v_dual_lshlrev_b32 v3, 2, v3 :: v_dual_bitop2_b32 v13, 1, v8 bitop3:0x14
	s_delay_alu instid0(VALU_DEP_2) | instskip(NEXT) | instid1(VALU_DEP_1)
	v_cmp_lt_i32_e64 s1, v10, v9
	v_cndmask_b32_e64 v10, v8, v10, s1
	s_delay_alu instid0(VALU_DEP_3) | instskip(NEXT) | instid1(VALU_DEP_1)
	v_cmp_lt_i32_e64 s1, v13, v9
	v_dual_lshlrev_b32 v10, 2, v10 :: v_dual_cndmask_b32 v9, v8, v13, s1
	s_lshl_b32 s1, s22, 3
	s_delay_alu instid0(SALU_CYCLE_1)
	s_min_i32 s4, s1, s21
	s_wait_dscnt 0x0
	ds_bpermute_b32 v12, v10, v11
	v_dual_max_num_f32 v11, v11, v11 :: v_dual_lshlrev_b32 v9, 2, v9
	v_cmp_gt_i32_e64 s1, s4, v0
	s_wait_dscnt 0x0
	v_max_num_f32_e32 v12, v12, v12
	s_delay_alu instid0(VALU_DEP_1) | instskip(SKIP_3) | instid1(VALU_DEP_1)
	v_max_num_f32_e32 v11, v11, v12
	ds_bpermute_b32 v12, v9, v11
	s_wait_dscnt 0x0
	v_max_num_f32_e32 v12, v12, v12
	v_max_num_f32_e32 v11, v11, v12
	ds_bpermute_b32 v11, v3, v11
	v_mov_b32_e32 v3, 0
	s_and_saveexec_b32 s15, s1
	s_cbranch_execz .LBB66_20
; %bb.17:
	v_lshl_add_u32 v12, v0, 2, 0xe0
	v_dual_mov_b32 v3, 0 :: v_dual_mov_b32 v13, v0
	s_mov_b32 s23, 0
.LBB66_18:                              ; =>This Inner Loop Header: Depth=1
	ds_load_b32 v14, v12
	v_add_nc_u32_e32 v13, 0x80, v13
	s_delay_alu instid0(VALU_DEP_1) | instskip(SKIP_3) | instid1(VALU_DEP_1)
	v_cmp_le_i32_e64 s3, s4, v13
	s_or_b32 s23, s3, s23
	s_wait_dscnt 0x0
	v_sub_f32_e32 v14, v14, v11
	v_mul_f32_e32 v14, 0x3fb8aa3b, v14
	s_delay_alu instid0(VALU_DEP_1)
	v_exp_f32_e32 v14, v14
	ds_store_b32 v12, v14
	v_nop
	v_dual_add_f32 v3, v3, v14 :: v_dual_add_nc_u32 v12, 0x200, v12
	s_and_not1_b32 exec_lo, exec_lo, s23
	s_cbranch_execnz .LBB66_18
; %bb.19:
	s_or_b32 exec_lo, exec_lo, s23
.LBB66_20:
	s_delay_alu instid0(SALU_CYCLE_1)
	s_or_b32 exec_lo, exec_lo, s15
	ds_bpermute_b32 v2, v2, v3
	s_wait_dscnt 0x0
	v_add_f32_e32 v2, v3, v2
	ds_bpermute_b32 v3, v4, v2
	s_wait_dscnt 0x0
	v_add_f32_e32 v2, v2, v3
	;; [unrolled: 3-line block ×5, first 2 shown]
	s_and_saveexec_b32 s3, vcc_lo
; %bb.21:
	ds_store_b32 v5, v2 offset:208
; %bb.22:
	s_or_b32 exec_lo, exec_lo, s3
	s_wait_dscnt 0x0
	s_barrier_signal -1
	s_barrier_wait -1
	s_and_saveexec_b32 s3, s0
; %bb.23:
	ds_load_b32 v2, v6 offset:208
; %bb.24:
	s_or_b32 exec_lo, exec_lo, s3
	s_wait_dscnt 0x0
	ds_bpermute_b32 v3, v10, v2
	s_wait_dscnt 0x0
	v_dual_lshlrev_b32 v4, 2, v8 :: v_dual_add_f32 v2, v2, v3
	ds_bpermute_b32 v3, v9, v2
	s_wait_dscnt 0x0
	v_add_f32_e32 v2, v2, v3
	v_and_b32_e32 v3, 0xffffff80, v4
	ds_bpermute_b32 v2, v3, v2
	s_and_saveexec_b32 s0, s1
	s_cbranch_execz .LBB66_37
; %bb.25:
	s_wait_dscnt 0x0
	v_add_f32_e32 v2, 0x358637bd, v2
	s_mov_b32 s3, -1
	s_mov_b32 s1, exec_lo
	s_delay_alu instid0(VALU_DEP_1) | instskip(NEXT) | instid1(VALU_DEP_1)
	v_div_scale_f32 v3, null, v2, v2, 1.0
	v_rcp_f32_e32 v5, v3
	v_nop
	s_delay_alu instid0(TRANS32_DEP_1) | instskip(NEXT) | instid1(VALU_DEP_1)
	v_fma_f32 v4, -v3, v5, 1.0
	v_fmac_f32_e32 v5, v4, v5
	v_div_scale_f32 v6, vcc_lo, 1.0, v2, 1.0
	s_delay_alu instid0(VALU_DEP_1) | instskip(NEXT) | instid1(VALU_DEP_1)
	v_mul_f32_e32 v7, v6, v5
	v_fma_f32 v4, -v3, v7, v6
	s_delay_alu instid0(VALU_DEP_1) | instskip(SKIP_1) | instid1(VALU_DEP_2)
	v_fmac_f32_e32 v7, v4, v5
	v_xad_u32 v4, v0, -1, s4
	v_fma_f32 v3, -v3, v7, v6
	s_delay_alu instid0(VALU_DEP_1) | instskip(NEXT) | instid1(VALU_DEP_1)
	v_div_fmas_f32 v3, v3, v5, v7
	v_div_fixup_f32 v2, v3, v2, 1.0
	v_mov_b32_e32 v3, v0
	v_cmpx_lt_u32_e32 0x7f, v4
	s_cbranch_execz .LBB66_34
; %bb.26:
	s_delay_alu instid0(VALU_DEP_3) | instskip(NEXT) | instid1(VALU_DEP_1)
	v_dual_mov_b32 v3, v2 :: v_dual_lshrrev_b32 v4, 7, v4
	v_dual_mov_b32 v8, 0 :: v_dual_add_nc_u32 v5, -1, v4
	s_delay_alu instid0(VALU_DEP_1) | instskip(SKIP_1) | instid1(VALU_DEP_2)
	v_lshrrev_b32_e32 v6, 1, v5
	v_cmp_lt_u32_e32 vcc_lo, 13, v5
	v_add_nc_u32_e32 v5, 1, v6
	s_and_saveexec_b32 s3, vcc_lo
	s_cbranch_execz .LBB66_30
; %bb.27:
	s_delay_alu instid0(VALU_DEP_1)
	v_and_b32_e32 v6, -8, v5
	v_lshl_add_u32 v7, v0, 2, 0xe0
	s_mov_b32 s15, 0
	s_mov_b32 s23, 0
.LBB66_28:                              ; =>This Inner Loop Header: Depth=1
	ds_load_2addr_stride64_b32 v[8:9], v7 offset1:2
	ds_load_2addr_stride64_b32 v[10:11], v7 offset0:4 offset1:6
	ds_load_2addr_stride64_b32 v[12:13], v7 offset0:8 offset1:10
	;; [unrolled: 1-line block ×7, first 2 shown]
	s_add_co_i32 s23, s23, 16
	v_add_nc_u32_e32 v6, -8, v6
	s_wait_dscnt 0x7
	v_pk_mul_f32 v[8:9], v[2:3], v[8:9]
	s_wait_dscnt 0x6
	v_pk_mul_f32 v[10:11], v[2:3], v[10:11]
	;; [unrolled: 2-line block ×8, first 2 shown]
	ds_store_2addr_stride64_b32 v7, v8, v9 offset1:2
	ds_store_2addr_stride64_b32 v7, v10, v11 offset0:4 offset1:6
	ds_store_2addr_stride64_b32 v7, v12, v13 offset0:8 offset1:10
	;; [unrolled: 1-line block ×7, first 2 shown]
	v_mov_b32_e32 v8, s23
	v_cmp_eq_u32_e32 vcc_lo, 0, v6
	v_add_nc_u32_e32 v7, 0x2000, v7
	s_or_b32 s15, vcc_lo, s15
	s_delay_alu instid0(SALU_CYCLE_1)
	s_and_not1_b32 exec_lo, exec_lo, s15
	s_cbranch_execnz .LBB66_28
; %bb.29:
	s_or_b32 exec_lo, exec_lo, s15
.LBB66_30:
	s_delay_alu instid0(SALU_CYCLE_1) | instskip(NEXT) | instid1(VALU_DEP_1)
	s_or_b32 exec_lo, exec_lo, s3
	v_and_b32_e32 v5, 7, v5
	s_mov_b32 s15, 0
	s_mov_b32 s3, exec_lo
	s_delay_alu instid0(VALU_DEP_1)
	v_cmpx_ne_u32_e32 0, v5
	s_cbranch_execz .LBB66_33
; %bb.31:
	v_lshlrev_b32_e32 v6, 9, v8
	v_lshlrev_b32_e32 v7, 2, v0
	s_delay_alu instid0(VALU_DEP_1)
	v_add3_u32 v6, v6, v7, 0xe0
.LBB66_32:                              ; =>This Inner Loop Header: Depth=1
	ds_load_2addr_stride64_b32 v[8:9], v6 offset1:2
	v_add_nc_u32_e32 v5, -1, v5
	s_delay_alu instid0(VALU_DEP_1)
	v_cmp_eq_u32_e32 vcc_lo, 0, v5
	s_or_b32 s15, vcc_lo, s15
	s_wait_dscnt 0x0
	v_pk_mul_f32 v[8:9], v[2:3], v[8:9]
	ds_store_2addr_stride64_b32 v6, v8, v9 offset1:2
	v_add_nc_u32_e32 v6, 0x400, v6
	s_and_not1_b32 exec_lo, exec_lo, s15
	s_cbranch_execnz .LBB66_32
.LBB66_33:
	s_or_b32 exec_lo, exec_lo, s3
	v_add_nc_u32_e32 v3, 1, v4
	s_delay_alu instid0(VALU_DEP_1) | instskip(NEXT) | instid1(VALU_DEP_1)
	v_and_b32_e32 v4, 0x3fffffe, v3
	v_cmp_ne_u32_e32 vcc_lo, v3, v4
	v_lshl_add_u32 v3, v4, 7, v0
	s_or_not1_b32 s3, vcc_lo, exec_lo
.LBB66_34:
	s_or_b32 exec_lo, exec_lo, s1
	s_delay_alu instid0(SALU_CYCLE_1)
	s_and_b32 exec_lo, exec_lo, s3
	s_cbranch_execz .LBB66_37
; %bb.35:
	v_lshl_add_u32 v4, v3, 2, 0xe0
	s_mov_b32 s1, 0
.LBB66_36:                              ; =>This Inner Loop Header: Depth=1
	ds_load_b32 v5, v4
	v_add_nc_u32_e32 v3, 0x80, v3
	s_delay_alu instid0(VALU_DEP_1)
	v_cmp_le_i32_e32 vcc_lo, s4, v3
	s_or_b32 s1, vcc_lo, s1
	s_wait_dscnt 0x0
	v_mul_f32_e32 v5, v2, v5
	ds_store_b32 v4, v5
	v_add_nc_u32_e32 v4, 0x200, v4
	s_and_not1_b32 exec_lo, exec_lo, s1
	s_cbranch_execnz .LBB66_36
.LBB66_37:
	s_or_b32 exec_lo, exec_lo, s0
	v_mov_b64_e32 v[8:9], 0
	v_mov_b32_e32 v7, 0
	s_wait_dscnt 0x0
	s_barrier_signal -1
	s_barrier_wait -1
	s_and_saveexec_b32 s1, s2
	s_cbranch_execz .LBB66_47
; %bb.38:
	s_ashr_i32 s15, s14, 31
	v_dual_mov_b32 v7, 0 :: v_dual_lshlrev_b32 v6, 4, v17
	s_lshl_b64 s[14:15], s[14:15], 1
	s_ashr_i32 s3, s5, 31
	s_wait_kmcnt 0x0
	s_add_nc_u64 s[14:15], s[16:17], s[14:15]
	s_mov_b32 s2, s5
	v_add_nc_u64_e32 v[10:11], s[14:15], v[6:7]
	v_and_b32_e32 v6, 0x7c, v1
	s_lshl_b64 s[4:5], s[10:11], 2
	v_dual_mov_b32 v9, v7 :: v_dual_lshlrev_b32 v18, 3, v16
	s_add_nc_u64 s[4:5], s[12:13], s[4:5]
	v_lshl_add_u32 v19, v16, 5, 0xe0
	v_add_nc_u64_e32 v[12:13], s[4:5], v[6:7]
	v_dual_mov_b32 v8, v7 :: v_dual_mov_b32 v20, v16
	s_add_co_i32 s4, s22, -1
	s_mov_b32 s10, s21
	s_mov_b32 s5, 0
	s_branch .LBB66_40
.LBB66_39:                              ;   in Loop: Header=BB66_40 Depth=1
	s_or_b32 exec_lo, exec_lo, s0
	v_dual_lshlrev_b32 v6, 16, v6 :: v_dual_lshlrev_b32 v1, 16, v1
	s_delay_alu instid0(VALU_DEP_2) | instskip(SKIP_2) | instid1(VALU_DEP_4)
	v_lshlrev_b32_e32 v14, 16, v14
	v_add_nc_u64_e32 v[12:13], 16, v[12:13]
	v_add_nc_u32_e32 v19, 0x80, v19
	v_and_or_b32 v2, 0xffff, v2, v6
	v_and_or_b32 v1, 0xffff, v3, v1
	;; [unrolled: 1-line block ×3, first 2 shown]
	;;#ASMSTART
	v_pk_mul_f16 v2, v30, v2;

	;;#ASMEND
	;;#ASMSTART
	v_pk_mul_f16 v1, v29, v1;

	;;#ASMEND
	;; [unrolled: 4-line block ×4, first 2 shown]
	;;#ASMSTART
	v_pk_add_f16 v1, v2, v1;

	;;#ASMEND
	;;#ASMSTART
	v_pk_add_f16 v1, v1, v3;

	;;#ASMEND
	;; [unrolled: 4-line block ×3, first 2 shown]
	v_and_b32_e32 v3, 0xffff, v1
	v_dual_add_f32 v1, v28, v35 :: v_dual_lshrrev_b32 v4, 16, v1
	v_dual_add_f32 v2, v33, v34 :: v_dual_add_nc_u32 v20, 4, v20
	;;#ASMSTART
	v_cvt_f32_f16 v3, v3;
	;;#ASMEND
	;;#ASMSTART
	v_cvt_f32_f16 v4, v4;
	;;#ASMEND
	s_delay_alu instid0(VALU_DEP_1) | instskip(SKIP_2) | instid1(VALU_DEP_3)
	v_dual_add_f32 v3, v3, v4 :: v_dual_add_f32 v8, v8, v2
	v_add_f32_e32 v9, v9, v1
	v_cmp_le_i32_e32 vcc_lo, s22, v20
	v_dual_add_f32 v7, v7, v3 :: v_dual_add_nc_u32 v18, 32, v18
	s_or_b32 s5, vcc_lo, s5
	s_delay_alu instid0(SALU_CYCLE_1)
	s_and_not1_b32 exec_lo, exec_lo, s5
	s_cbranch_execz .LBB66_46
.LBB66_40:                              ; =>This Inner Loop Header: Depth=1
	global_load_b32 v2, v[12:13], off
	v_cmp_eq_u32_e32 vcc_lo, s4, v20
	v_dual_add_nc_u32 v26, 2, v18 :: v_dual_add_nc_u32 v21, 5, v18
	v_or_b32_e32 v27, 3, v18
	s_wait_loadcnt 0x0
	v_ashrrev_i32_e32 v3, 31, v2
	s_delay_alu instid0(VALU_DEP_1)
	v_mul_u64_e32 v[14:15], s[2:3], v[2:3]
	ds_load_2addr_b64 v[2:5], v19 offset1:1
	ds_load_2addr_b64 v[22:25], v19 offset0:2 offset1:3
	s_wait_dscnt 0x1
	;;#ASMSTART
	v_cvt_f16_f32 v30, v2;

	;;#ASMEND
	;;#ASMSTART
	v_cvt_f16_f32 v29, v3;

	;;#ASMEND
	;; [unrolled: 4-line block ×4, first 2 shown]
	s_wait_dscnt 0x0
	;;#ASMSTART
	v_cvt_f16_f32 v36, v22;

	;;#ASMEND
	;;#ASMSTART
	v_cvt_f16_f32 v31, v23;

	;;#ASMEND
	;; [unrolled: 4-line block ×4, first 2 shown]
	v_dual_add_nc_u32 v22, 4, v18 :: v_dual_add_nc_u32 v24, 6, v18
	v_dual_add_nc_u32 v23, 7, v18 :: v_dual_bitop2_b32 v25, 1, v18 bitop3:0x54
	v_lshl_add_u64 v[14:15], v[14:15], 1, v[10:11]
	global_load_b128 v[2:5], v[14:15], off
	s_wait_loadcnt 0x0
	v_dual_lshrrev_b32 v1, 16, v3 :: v_dual_lshrrev_b32 v28, 16, v4
	v_lshrrev_b32_e32 v6, 16, v2
	s_and_saveexec_b32 s11, vcc_lo
	s_cbranch_execz .LBB66_42
; %bb.41:                               ;   in Loop: Header=BB66_40 Depth=1
	v_cmp_gt_i32_e64 s0, s21, v18
	v_and_b32_e32 v37, 0xffff, v5
	v_and_b32_e32 v5, 0xffff0000, v5
	s_delay_alu instid0(VALU_DEP_3) | instskip(SKIP_1) | instid1(VALU_DEP_1)
	v_cndmask_b32_e64 v2, 0, v2, s0
	v_cmp_gt_i32_e64 s0, s21, v26
	v_cndmask_b32_e64 v3, 0, v3, s0
	v_cmp_gt_i32_e64 s0, s10, v27
	s_delay_alu instid0(VALU_DEP_1) | instskip(SKIP_1) | instid1(VALU_DEP_1)
	v_cndmask_b32_e64 v1, 0, v1, s0
	v_cmp_gt_i32_e64 s0, s21, v25
	v_cndmask_b32_e64 v6, 0, v6, s0
	v_cmp_gt_i32_e64 s0, s21, v24
	s_delay_alu instid0(VALU_DEP_1) | instskip(SKIP_1) | instid1(VALU_DEP_1)
	v_cndmask_b32_e64 v37, 0, v37, s0
	v_cmp_gt_i32_e64 s0, s21, v23
	v_cndmask_b32_e64 v5, 0, v5, s0
	v_cmp_gt_i32_e64 s0, s21, v22
	s_delay_alu instid0(VALU_DEP_1) | instskip(SKIP_1) | instid1(VALU_DEP_1)
	v_cndmask_b32_e64 v4, 0, v4, s0
	v_cmp_gt_i32_e64 s0, s21, v21
	v_dual_cndmask_b32 v28, 0, v28, s0 :: v_dual_bitop2_b32 v5, v37, v5 bitop3:0x54
.LBB66_42:                              ;   in Loop: Header=BB66_40 Depth=1
	s_or_b32 exec_lo, exec_lo, s11
	v_and_b32_e32 v30, 0xffff, v30
	v_and_b32_e32 v35, 0xffff, v35
	v_dual_lshlrev_b32 v6, 16, v6 :: v_dual_lshlrev_b32 v1, 16, v1
	v_lshlrev_b32_e32 v28, 16, v28
	v_and_b32_e32 v36, 0xffff, v36
	v_lshl_or_b32 v30, v29, 16, v30
	v_lshl_or_b32 v29, v33, 16, v35
	v_and_b32_e32 v33, 0xffff, v34
	v_and_or_b32 v2, 0xffff, v2, v6
	v_and_or_b32 v1, 0xffff, v3, v1
	v_and_or_b32 v3, 0xffff, v4, v28
	;;#ASMSTART
	v_pk_mul_f16 v2, v30, v2;

	;;#ASMEND
	;;#ASMSTART
	v_pk_mul_f16 v1, v29, v1;

	;;#ASMEND
	v_lshl_or_b32 v31, v31, 16, v36
	v_lshl_or_b32 v32, v32, 16, v33
	;;#ASMSTART
	v_pk_mul_f16 v3, v31, v3;

	;;#ASMEND
	;;#ASMSTART
	v_pk_mul_f16 v4, v32, v5;

	;;#ASMEND
	;;#ASMSTART
	v_pk_add_f16 v1, v2, v1;

	;;#ASMEND
	;;#ASMSTART
	v_pk_add_f16 v1, v1, v3;

	;;#ASMEND
	;;#ASMSTART
	v_pk_add_f16 v1, v1, v4;

	;;#ASMEND
	v_and_b32_e32 v2, 0xffff, v1
	v_lshrrev_b32_e32 v1, 16, v1
	;;#ASMSTART
	v_cvt_f32_f16 v33, v2;
	;;#ASMEND
	;;#ASMSTART
	v_cvt_f32_f16 v34, v1;
	;;#ASMEND
	global_load_b128 v[2:5], v[14:15], off offset:512
	s_wait_loadcnt 0x0
	v_dual_lshrrev_b32 v1, 16, v3 :: v_dual_lshrrev_b32 v6, 16, v2
	v_lshrrev_b32_e32 v28, 16, v4
	s_and_saveexec_b32 s11, vcc_lo
	s_cbranch_execz .LBB66_44
; %bb.43:                               ;   in Loop: Header=BB66_40 Depth=1
	v_cmp_gt_i32_e64 s0, s21, v18
	v_and_b32_e32 v35, 0xffff, v5
	v_and_b32_e32 v5, 0xffff0000, v5
	s_delay_alu instid0(VALU_DEP_3) | instskip(SKIP_1) | instid1(VALU_DEP_1)
	v_cndmask_b32_e64 v2, 0, v2, s0
	v_cmp_gt_i32_e64 s0, s21, v26
	v_cndmask_b32_e64 v3, 0, v3, s0
	v_cmp_gt_i32_e64 s0, s10, v27
	s_delay_alu instid0(VALU_DEP_1) | instskip(SKIP_1) | instid1(VALU_DEP_1)
	v_cndmask_b32_e64 v1, 0, v1, s0
	v_cmp_gt_i32_e64 s0, s21, v25
	v_cndmask_b32_e64 v6, 0, v6, s0
	v_cmp_gt_i32_e64 s0, s21, v24
	s_delay_alu instid0(VALU_DEP_1) | instskip(SKIP_1) | instid1(VALU_DEP_1)
	;; [unrolled: 5-line block ×3, first 2 shown]
	v_dual_cndmask_b32 v4, 0, v4, s0 :: v_dual_bitop2_b32 v5, v35, v5 bitop3:0x54
	v_cmp_gt_i32_e64 s0, s21, v21
	v_cndmask_b32_e64 v28, 0, v28, s0
.LBB66_44:                              ;   in Loop: Header=BB66_40 Depth=1
	s_or_b32 exec_lo, exec_lo, s11
	v_dual_lshlrev_b32 v6, 16, v6 :: v_dual_lshlrev_b32 v1, 16, v1
	s_delay_alu instid0(VALU_DEP_2) | instskip(NEXT) | instid1(VALU_DEP_2)
	v_lshlrev_b32_e32 v28, 16, v28
	v_and_or_b32 v2, 0xffff, v2, v6
	s_delay_alu instid0(VALU_DEP_3) | instskip(NEXT) | instid1(VALU_DEP_3)
	v_and_or_b32 v1, 0xffff, v3, v1
	v_and_or_b32 v3, 0xffff, v4, v28
	;;#ASMSTART
	v_pk_mul_f16 v2, v30, v2;

	;;#ASMEND
	;;#ASMSTART
	v_pk_mul_f16 v1, v29, v1;

	;;#ASMEND
	;; [unrolled: 4-line block ×4, first 2 shown]
	;;#ASMSTART
	v_pk_add_f16 v1, v2, v1;

	;;#ASMEND
	;;#ASMSTART
	v_pk_add_f16 v1, v1, v3;

	;;#ASMEND
	;; [unrolled: 4-line block ×3, first 2 shown]
	v_and_b32_e32 v2, 0xffff, v1
	v_lshrrev_b32_e32 v1, 16, v1
	;;#ASMSTART
	v_cvt_f32_f16 v28, v2;
	;;#ASMEND
	;;#ASMSTART
	v_cvt_f32_f16 v35, v1;
	;;#ASMEND
	global_load_b128 v[2:5], v[14:15], off offset:1024
	s_wait_loadcnt 0x0
	v_dual_lshrrev_b32 v1, 16, v3 :: v_dual_lshrrev_b32 v6, 16, v2
	v_lshrrev_b32_e32 v14, 16, v4
	s_and_saveexec_b32 s0, vcc_lo
	s_cbranch_execz .LBB66_39
; %bb.45:                               ;   in Loop: Header=BB66_40 Depth=1
	v_cmp_gt_i32_e32 vcc_lo, s21, v18
	v_and_b32_e32 v15, 0xffff, v5
	v_and_b32_e32 v5, 0xffff0000, v5
	v_cndmask_b32_e32 v2, 0, v2, vcc_lo
	v_cmp_gt_i32_e32 vcc_lo, s21, v26
	v_cndmask_b32_e32 v3, 0, v3, vcc_lo
	v_cmp_gt_i32_e32 vcc_lo, s10, v27
	;; [unrolled: 2-line block ×6, first 2 shown]
	s_delay_alu instid0(VALU_DEP_2)
	v_dual_cndmask_b32 v4, 0, v4, vcc_lo :: v_dual_bitop2_b32 v5, v15, v5 bitop3:0x54
	v_cmp_gt_i32_e32 vcc_lo, s21, v21
	v_cndmask_b32_e32 v14, 0, v14, vcc_lo
	s_branch .LBB66_39
.LBB66_46:
	s_or_b32 exec_lo, exec_lo, s5
.LBB66_47:
	s_delay_alu instid0(SALU_CYCLE_1) | instskip(SKIP_4) | instid1(VALU_DEP_2)
	s_or_b32 exec_lo, exec_lo, s1
	v_lshl_add_u32 v2, v17, 2, 0xe0
	v_and_b32_e32 v3, 0x3c0, v0
	s_mov_b32 s0, exec_lo
	s_barrier_signal -1
	v_mad_u32_u24 v1, 0x180, v16, v2
	s_barrier_wait -1
	v_cmpx_eq_u32_e32 64, v3
	s_cbranch_execz .LBB66_49
; %bb.48:
	s_delay_alu instid0(VALU_DEP_2)
	v_add_nc_u32_e32 v3, 0xfffffd00, v1
	v_add_nc_u32_e32 v4, 0xfffffd80, v1
	;; [unrolled: 1-line block ×3, first 2 shown]
	ds_store_b32 v3, v8
	ds_store_b32 v4, v9
	ds_store_b32 v5, v7
.LBB66_49:
	s_or_b32 exec_lo, exec_lo, s0
	s_delay_alu instid0(SALU_CYCLE_1)
	s_mov_b32 s0, exec_lo
	s_wait_dscnt 0x0
	s_barrier_signal -1
	s_barrier_wait -1
	v_cmpx_gt_u32_e32 64, v0
	s_cbranch_execz .LBB66_51
; %bb.50:
	ds_load_2addr_b32 v[4:5], v1 offset1:32
	ds_load_b32 v3, v1 offset:256
	s_wait_dscnt 0x1
	v_pk_add_f32 v[8:9], v[8:9], v[4:5]
	s_wait_dscnt 0x0
	v_add_f32_e32 v7, v7, v3
.LBB66_51:
	s_or_b32 exec_lo, exec_lo, s0
	v_and_b32_e32 v3, 0x3e0, v0
	s_mov_b32 s0, exec_lo
	s_barrier_signal -1
	s_barrier_wait -1
	s_delay_alu instid0(VALU_DEP_1)
	v_cmpx_eq_u32_e32 32, v3
	s_cbranch_execz .LBB66_53
; %bb.52:
	ds_store_2addr_b32 v2, v8, v9 offset1:32
	ds_store_b32 v2, v7 offset:256
.LBB66_53:
	s_or_b32 exec_lo, exec_lo, s0
	v_cmp_gt_u32_e32 vcc_lo, 32, v0
	s_wait_dscnt 0x0
	s_barrier_signal -1
	s_barrier_wait -1
	s_and_saveexec_b32 s0, vcc_lo
	s_cbranch_execz .LBB66_55
; %bb.54:
	ds_load_2addr_b32 v[2:3], v1 offset1:32
	ds_load_b32 v1, v1 offset:256
	s_wait_dscnt 0x1
	v_pk_add_f32 v[8:9], v[8:9], v[2:3]
	s_wait_dscnt 0x0
	v_add_f32_e32 v7, v7, v1
.LBB66_55:
	s_or_b32 exec_lo, exec_lo, s0
	s_barrier_signal -1
	s_barrier_wait -1
	s_and_saveexec_b32 s0, vcc_lo
	s_cbranch_execz .LBB66_57
; %bb.56:
	s_wait_kmcnt 0x0
	s_mul_i32 s1, s20, s9
	s_bfe_u32 s5, ttmp6, 0x40014
	s_mul_i32 s1, s1, s19
	s_mul_i32 s0, s9, s8
	;; [unrolled: 1-line block ×3, first 2 shown]
	s_lshr_b32 s4, ttmp7, 16
	s_ashr_i32 s3, s2, 31
	s_add_co_i32 s5, s5, 1
	s_lshl_b64 s[2:3], s[2:3], 1
	s_ashr_i32 s1, s0, 31
	s_add_nc_u64 s[2:3], s[6:7], s[2:3]
	s_mul_i32 s5, s4, s5
	s_bfe_u32 s6, ttmp6, 0x40008
	s_lshl_b64 s[0:1], s[0:1], 1
	s_add_co_i32 s6, s6, s5
	s_cmp_eq_u32 s18, 0
	s_add_nc_u64 s[0:1], s[2:3], s[0:1]
	s_cselect_b32 s2, s4, s6
	s_mov_b32 s3, 0
	s_mulk_i32 s2, 0xc0
	;;#ASMSTART
	v_cvt_f16_f32 v1, v8;

	;;#ASMEND
	s_add_nc_u64 s[0:1], s[0:1], s[2:3]
	global_store_b16 v0, v1, s[0:1] scale_offset
	s_wait_xcnt 0x0
	;;#ASMSTART
	v_cvt_f16_f32 v1, v9;

	;;#ASMEND
	global_store_b16 v0, v1, s[0:1] offset:64 scale_offset
	s_wait_xcnt 0x0
	;;#ASMSTART
	v_cvt_f16_f32 v1, v7;

	;;#ASMEND
	global_store_b16 v0, v1, s[0:1] offset:128 scale_offset
.LBB66_57:
	s_endpgm
	.section	.rodata,"a",@progbits
	.p2align	6, 0x0
	.amdhsa_kernel _ZN4vllm25paged_attention_v1_kernelIttLi96ELi8ELi128ELNS_18Fp8KVCacheDataTypeE0ELb0EEEvPT_PKS2_PKT0_S8_ifPKiSA_iPKfiiiSC_SC_iiiii
		.amdhsa_group_segment_fixed_size 224
		.amdhsa_private_segment_fixed_size 0
		.amdhsa_kernarg_size 384
		.amdhsa_user_sgpr_count 2
		.amdhsa_user_sgpr_dispatch_ptr 0
		.amdhsa_user_sgpr_queue_ptr 0
		.amdhsa_user_sgpr_kernarg_segment_ptr 1
		.amdhsa_user_sgpr_dispatch_id 0
		.amdhsa_user_sgpr_kernarg_preload_length 0
		.amdhsa_user_sgpr_kernarg_preload_offset 0
		.amdhsa_user_sgpr_private_segment_size 0
		.amdhsa_wavefront_size32 1
		.amdhsa_uses_dynamic_stack 0
		.amdhsa_enable_private_segment 0
		.amdhsa_system_sgpr_workgroup_id_x 1
		.amdhsa_system_sgpr_workgroup_id_y 1
		.amdhsa_system_sgpr_workgroup_id_z 1
		.amdhsa_system_sgpr_workgroup_info 0
		.amdhsa_system_vgpr_workitem_id 0
		.amdhsa_next_free_vgpr 60
		.amdhsa_next_free_sgpr 30
		.amdhsa_named_barrier_count 0
		.amdhsa_reserve_vcc 1
		.amdhsa_float_round_mode_32 0
		.amdhsa_float_round_mode_16_64 0
		.amdhsa_float_denorm_mode_32 3
		.amdhsa_float_denorm_mode_16_64 3
		.amdhsa_fp16_overflow 0
		.amdhsa_memory_ordered 1
		.amdhsa_forward_progress 1
		.amdhsa_inst_pref_size 39
		.amdhsa_round_robin_scheduling 0
		.amdhsa_exception_fp_ieee_invalid_op 0
		.amdhsa_exception_fp_denorm_src 0
		.amdhsa_exception_fp_ieee_div_zero 0
		.amdhsa_exception_fp_ieee_overflow 0
		.amdhsa_exception_fp_ieee_underflow 0
		.amdhsa_exception_fp_ieee_inexact 0
		.amdhsa_exception_int_div_zero 0
	.end_amdhsa_kernel
	.section	.text._ZN4vllm25paged_attention_v1_kernelIttLi96ELi8ELi128ELNS_18Fp8KVCacheDataTypeE0ELb0EEEvPT_PKS2_PKT0_S8_ifPKiSA_iPKfiiiSC_SC_iiiii,"axG",@progbits,_ZN4vllm25paged_attention_v1_kernelIttLi96ELi8ELi128ELNS_18Fp8KVCacheDataTypeE0ELb0EEEvPT_PKS2_PKT0_S8_ifPKiSA_iPKfiiiSC_SC_iiiii,comdat
.Lfunc_end66:
	.size	_ZN4vllm25paged_attention_v1_kernelIttLi96ELi8ELi128ELNS_18Fp8KVCacheDataTypeE0ELb0EEEvPT_PKS2_PKT0_S8_ifPKiSA_iPKfiiiSC_SC_iiiii, .Lfunc_end66-_ZN4vllm25paged_attention_v1_kernelIttLi96ELi8ELi128ELNS_18Fp8KVCacheDataTypeE0ELb0EEEvPT_PKS2_PKT0_S8_ifPKiSA_iPKfiiiSC_SC_iiiii
                                        ; -- End function
	.set _ZN4vllm25paged_attention_v1_kernelIttLi96ELi8ELi128ELNS_18Fp8KVCacheDataTypeE0ELb0EEEvPT_PKS2_PKT0_S8_ifPKiSA_iPKfiiiSC_SC_iiiii.num_vgpr, 60
	.set _ZN4vllm25paged_attention_v1_kernelIttLi96ELi8ELi128ELNS_18Fp8KVCacheDataTypeE0ELb0EEEvPT_PKS2_PKT0_S8_ifPKiSA_iPKfiiiSC_SC_iiiii.num_agpr, 0
	.set _ZN4vllm25paged_attention_v1_kernelIttLi96ELi8ELi128ELNS_18Fp8KVCacheDataTypeE0ELb0EEEvPT_PKS2_PKT0_S8_ifPKiSA_iPKfiiiSC_SC_iiiii.numbered_sgpr, 30
	.set _ZN4vllm25paged_attention_v1_kernelIttLi96ELi8ELi128ELNS_18Fp8KVCacheDataTypeE0ELb0EEEvPT_PKS2_PKT0_S8_ifPKiSA_iPKfiiiSC_SC_iiiii.num_named_barrier, 0
	.set _ZN4vllm25paged_attention_v1_kernelIttLi96ELi8ELi128ELNS_18Fp8KVCacheDataTypeE0ELb0EEEvPT_PKS2_PKT0_S8_ifPKiSA_iPKfiiiSC_SC_iiiii.private_seg_size, 0
	.set _ZN4vllm25paged_attention_v1_kernelIttLi96ELi8ELi128ELNS_18Fp8KVCacheDataTypeE0ELb0EEEvPT_PKS2_PKT0_S8_ifPKiSA_iPKfiiiSC_SC_iiiii.uses_vcc, 1
	.set _ZN4vllm25paged_attention_v1_kernelIttLi96ELi8ELi128ELNS_18Fp8KVCacheDataTypeE0ELb0EEEvPT_PKS2_PKT0_S8_ifPKiSA_iPKfiiiSC_SC_iiiii.uses_flat_scratch, 0
	.set _ZN4vllm25paged_attention_v1_kernelIttLi96ELi8ELi128ELNS_18Fp8KVCacheDataTypeE0ELb0EEEvPT_PKS2_PKT0_S8_ifPKiSA_iPKfiiiSC_SC_iiiii.has_dyn_sized_stack, 0
	.set _ZN4vllm25paged_attention_v1_kernelIttLi96ELi8ELi128ELNS_18Fp8KVCacheDataTypeE0ELb0EEEvPT_PKS2_PKT0_S8_ifPKiSA_iPKfiiiSC_SC_iiiii.has_recursion, 0
	.set _ZN4vllm25paged_attention_v1_kernelIttLi96ELi8ELi128ELNS_18Fp8KVCacheDataTypeE0ELb0EEEvPT_PKS2_PKT0_S8_ifPKiSA_iPKfiiiSC_SC_iiiii.has_indirect_call, 0
	.section	.AMDGPU.csdata,"",@progbits
; Kernel info:
; codeLenInByte = 4988
; TotalNumSgprs: 32
; NumVgprs: 60
; ScratchSize: 0
; MemoryBound: 0
; FloatMode: 240
; IeeeMode: 1
; LDSByteSize: 224 bytes/workgroup (compile time only)
; SGPRBlocks: 0
; VGPRBlocks: 3
; NumSGPRsForWavesPerEU: 32
; NumVGPRsForWavesPerEU: 60
; NamedBarCnt: 0
; Occupancy: 16
; WaveLimiterHint : 1
; COMPUTE_PGM_RSRC2:SCRATCH_EN: 0
; COMPUTE_PGM_RSRC2:USER_SGPR: 2
; COMPUTE_PGM_RSRC2:TRAP_HANDLER: 0
; COMPUTE_PGM_RSRC2:TGID_X_EN: 1
; COMPUTE_PGM_RSRC2:TGID_Y_EN: 1
; COMPUTE_PGM_RSRC2:TGID_Z_EN: 1
; COMPUTE_PGM_RSRC2:TIDIG_COMP_CNT: 0
	.section	.text._ZN4vllm25paged_attention_v1_kernelIttLi112ELi8ELi128ELNS_18Fp8KVCacheDataTypeE0ELb0EEEvPT_PKS2_PKT0_S8_ifPKiSA_iPKfiiiSC_SC_iiiii,"axG",@progbits,_ZN4vllm25paged_attention_v1_kernelIttLi112ELi8ELi128ELNS_18Fp8KVCacheDataTypeE0ELb0EEEvPT_PKS2_PKT0_S8_ifPKiSA_iPKfiiiSC_SC_iiiii,comdat
	.protected	_ZN4vllm25paged_attention_v1_kernelIttLi112ELi8ELi128ELNS_18Fp8KVCacheDataTypeE0ELb0EEEvPT_PKS2_PKT0_S8_ifPKiSA_iPKfiiiSC_SC_iiiii ; -- Begin function _ZN4vllm25paged_attention_v1_kernelIttLi112ELi8ELi128ELNS_18Fp8KVCacheDataTypeE0ELb0EEEvPT_PKS2_PKT0_S8_ifPKiSA_iPKfiiiSC_SC_iiiii
	.globl	_ZN4vllm25paged_attention_v1_kernelIttLi112ELi8ELi128ELNS_18Fp8KVCacheDataTypeE0ELb0EEEvPT_PKS2_PKT0_S8_ifPKiSA_iPKfiiiSC_SC_iiiii
	.p2align	8
	.type	_ZN4vllm25paged_attention_v1_kernelIttLi112ELi8ELi128ELNS_18Fp8KVCacheDataTypeE0ELb0EEEvPT_PKS2_PKT0_S8_ifPKiSA_iPKfiiiSC_SC_iiiii,@function
_ZN4vllm25paged_attention_v1_kernelIttLi112ELi8ELi128ELNS_18Fp8KVCacheDataTypeE0ELb0EEEvPT_PKS2_PKT0_S8_ifPKiSA_iPKfiiiSC_SC_iiiii: ; @_ZN4vllm25paged_attention_v1_kernelIttLi112ELi8ELi128ELNS_18Fp8KVCacheDataTypeE0ELb0EEEvPT_PKS2_PKT0_S8_ifPKiSA_iPKfiiiSC_SC_iiiii
; %bb.0:
	s_load_b64 s[6:7], s[0:1], 0x20
	s_bfe_u32 s3, ttmp6, 0x4000c
	s_bfe_u32 s5, ttmp6, 0x40010
	s_and_b32 s4, ttmp7, 0xffff
	s_add_co_i32 s3, s3, 1
	s_add_co_i32 s5, s5, 1
	s_and_b32 s2, ttmp6, 15
	s_bfe_u32 s8, ttmp6, 0x40004
	s_mul_i32 s3, ttmp9, s3
	s_mul_i32 s5, s4, s5
	s_getreg_b32 s18, hwreg(HW_REG_IB_STS2, 6, 4)
	s_add_co_i32 s2, s2, s3
	s_add_co_i32 s3, s8, s5
	s_cmp_eq_u32 s18, 0
	s_clause 0x1
	s_load_b32 s19, s[0:1], 0x80
	s_load_b64 s[8:9], s[0:1], 0x30
	s_cselect_b32 s20, s4, s3
	s_cselect_b32 s2, ttmp9, s2
	s_wait_kmcnt 0x0
	s_abs_i32 s3, s6
	s_delay_alu instid0(SALU_CYCLE_1) | instskip(SKIP_1) | instid1(SALU_CYCLE_2)
	s_cvt_f32_u32 s4, s3
	s_sub_co_i32 s5, 0, s3
	v_rcp_iflag_f32_e32 v1, s4
	s_abs_i32 s10, s19
	v_nop
	s_delay_alu instid0(TRANS32_DEP_1) | instskip(SKIP_1) | instid1(SALU_CYCLE_3)
	v_readfirstlane_b32 s4, v1
	s_mul_f32 s4, s4, 0x4f7ffffe
	s_cvt_u32_f32 s4, s4
	s_delay_alu instid0(SALU_CYCLE_3) | instskip(NEXT) | instid1(SALU_CYCLE_1)
	s_mul_i32 s5, s5, s4
	s_mul_hi_u32 s5, s4, s5
	s_delay_alu instid0(SALU_CYCLE_1) | instskip(SKIP_4) | instid1(SALU_CYCLE_1)
	s_add_co_i32 s4, s4, s5
	s_xor_b32 s5, s19, s6
	s_mul_hi_u32 s4, s10, s4
	s_ashr_i32 s5, s5, 31
	s_mul_i32 s6, s4, s3
	s_sub_co_i32 s6, s10, s6
	s_add_co_i32 s10, s4, 1
	s_sub_co_i32 s11, s6, s3
	s_cmp_ge_u32 s6, s3
	s_cselect_b32 s4, s10, s4
	s_cselect_b32 s6, s11, s6
	s_add_co_i32 s10, s4, 1
	s_cmp_ge_u32 s6, s3
	s_mov_b32 s11, 0
	s_cselect_b32 s3, s10, s4
	s_abs_i32 s10, s2
	s_xor_b32 s3, s3, s5
	s_mov_b32 s13, s11
	s_sub_co_i32 s15, s3, s5
	s_load_b64 s[4:5], s[0:1], 0x40
	s_abs_i32 s14, s15
	s_mov_b32 s23, s11
	s_cvt_f32_u32 s3, s14
	s_sub_co_i32 s6, 0, s14
	s_delay_alu instid0(SALU_CYCLE_2) | instskip(SKIP_1) | instid1(TRANS32_DEP_1)
	v_rcp_iflag_f32_e32 v1, s3
	v_nop
	v_readfirstlane_b32 s3, v1
	s_mul_f32 s3, s3, 0x4f7ffffe
	s_delay_alu instid0(SALU_CYCLE_3) | instskip(NEXT) | instid1(SALU_CYCLE_3)
	s_cvt_u32_f32 s3, s3
	s_mul_i32 s6, s6, s3
	s_delay_alu instid0(SALU_CYCLE_1) | instskip(NEXT) | instid1(SALU_CYCLE_1)
	s_mul_hi_u32 s6, s3, s6
	s_add_co_i32 s12, s3, s6
	s_wait_kmcnt 0x0
	s_cmp_eq_u64 s[4:5], 0
	s_cbranch_scc1 .LBB67_2
; %bb.1:
	s_ashr_i32 s3, s2, 31
	s_delay_alu instid0(SALU_CYCLE_1) | instskip(NEXT) | instid1(SALU_CYCLE_1)
	s_lshl_b64 s[16:17], s[2:3], 2
	s_add_nc_u64 s[4:5], s[4:5], s[16:17]
	s_load_b32 s23, s[4:5], 0x0
.LBB67_2:
	s_load_b32 s21, s[8:9], s20 offset:0x0 scale_offset
	s_wait_xcnt 0x0
	s_load_b96 s[4:6], s[0:1], 0x48
	v_and_b32_e32 v4, 3, v0
	s_ashr_i32 s3, s2, 31
	s_ashr_i32 s15, s15, 31
	s_mul_u64 s[12:13], s[10:11], s[12:13]
	s_mul_i32 s8, s2, 0x70
	s_mov_b32 s2, exec_lo
	v_cmpx_gt_u32_e32 56, v0
	s_cbranch_execz .LBB67_4
; %bb.3:
	s_load_b64 s[16:17], s[0:1], 0x8
	s_wait_kmcnt 0x0
	s_mul_i32 s24, s4, s20
	s_ashr_i32 s9, s8, 31
	s_ashr_i32 s25, s24, 31
	v_and_b32_e32 v2, 0x3fc, v0
	s_lshl_b64 s[24:25], s[24:25], 1
	s_delay_alu instid0(VALU_DEP_1) | instskip(SKIP_2) | instid1(SALU_CYCLE_1)
	v_mad_u32_u24 v2, v4, 56, v2
	s_add_nc_u64 s[16:17], s[16:17], s[24:25]
	s_lshl_b64 s[24:25], s[8:9], 1
	s_add_nc_u64 s[16:17], s[16:17], s[24:25]
	global_load_b32 v1, v0, s[16:17] scale_offset
	s_wait_loadcnt 0x0
	ds_store_b32 v2, v1
.LBB67_4:
	s_or_b32 exec_lo, exec_lo, s2
	s_wait_kmcnt 0x0
	s_add_co_i32 s2, s21, 7
	s_load_b32 s4, s[0:1], 0x38
	s_ashr_i32 s9, s2, 31
	s_mul_i32 s11, s13, s14
	s_lshr_b32 s9, s9, 29
	s_xor_b32 s3, s3, s15
	s_add_co_i32 s2, s2, s9
	s_sub_co_i32 s9, s10, s11
	s_ashr_i32 s22, s2, 3
	s_add_co_i32 s2, s13, 1
	s_sub_co_i32 s10, s9, s14
	s_cmp_ge_u32 s9, s14
	v_lshrrev_b32_e32 v19, 5, v0
	s_cselect_b32 s2, s2, s13
	s_cselect_b32 s9, s10, s9
	s_add_co_i32 s10, s2, 1
	s_cmp_ge_u32 s9, s14
	v_mbcnt_lo_u32_b32 v8, -1, 0
	s_cselect_b32 s2, s10, s2
	s_wait_dscnt 0x0
	s_xor_b32 s2, s2, s3
	s_wait_kmcnt 0x0
	s_mul_i32 s10, s4, s20
	s_sub_co_i32 s3, s2, s3
	v_cmp_gt_i32_e64 s2, s22, v19
	s_ashr_i32 s11, s10, 31
	s_mov_b32 s4, exec_lo
	s_barrier_signal -1
	s_barrier_wait -1
                                        ; implicit-def: $vgpr3
                                        ; implicit-def: $vgpr9
	v_cmpx_le_i32_e64 s22, v19
	s_xor_b32 s4, exec_lo, s4
; %bb.5:
	v_dual_mov_b32 v3, 0 :: v_dual_mov_b32 v9, 32
	v_mbcnt_lo_u32_b32 v8, -1, 0
                                        ; implicit-def: $vgpr4
; %bb.6:
	s_or_saveexec_b32 s24, s4
	s_clause 0x1
	s_load_b64 s[12:13], s[0:1], 0x28
	s_load_b32 s9, s[0:1], 0x88
	v_dual_mov_b32 v10, 0xff7fffff :: v_dual_lshrrev_b32 v1, 3, v0
	s_mul_i32 s14, s3, s6
	s_xor_b32 exec_lo, exec_lo, s24
	s_cbranch_execz .LBB67_12
; %bb.7:
	s_load_b64 s[26:27], s[0:1], 0x10
	v_bfe_u32 v6, v0, 2, 3
	s_ashr_i32 s15, s14, 31
	v_dual_mov_b32 v3, 0 :: v_dual_lshlrev_b32 v7, 2, v0
	s_lshl_b64 s[28:29], s[14:15], 1
	s_delay_alu instid0(VALU_DEP_2)
	v_dual_lshlrev_b32 v2, 4, v6 :: v_dual_lshlrev_b32 v12, 2, v6
	v_mul_u32_u24_e32 v11, 56, v4
	v_cmp_eq_u32_e32 vcc_lo, 0, v4
	s_ashr_i32 s17, s5, 31
	s_cmp_neq_f32 s23, 0
	v_dual_mov_b32 v10, 0xff7fffff :: v_dual_mov_b32 v15, v19
	v_xor_b32_e32 v14, 1, v8
	s_cselect_b32 s3, -1, 0
	s_mov_b32 s16, s5
	s_mov_b32 s6, 0
	s_sub_co_i32 s15, 1, s21
	v_mov_b32_e32 v9, 32
	s_wait_kmcnt 0x0
	s_add_nc_u64 s[26:27], s[26:27], s[28:29]
	s_delay_alu instid0(SALU_CYCLE_1)
	v_add_nc_u64_e32 v[4:5], s[26:27], v[2:3]
	v_and_b32_e32 v2, 12, v7
	v_lshl_or_b32 v7, v19, 5, v12
	s_lshl_b64 s[26:27], s[10:11], 2
	v_lshl_or_b32 v12, v19, 3, v6
	s_add_nc_u64 s[26:27], s[12:13], s[26:27]
	s_delay_alu instid0(VALU_DEP_2) | instskip(SKIP_2) | instid1(VALU_DEP_1)
	v_add_nc_u32_e32 v13, 0x100, v7
	v_add_nc_u64_e32 v[4:5], v[4:5], v[2:3]
	v_and_b32_e32 v2, 0x7c, v1
	v_add_nc_u64_e32 v[6:7], s[26:27], v[2:3]
	v_xor_b32_e32 v2, 2, v8
	s_branch .LBB67_9
.LBB67_8:                               ;   in Loop: Header=BB67_9 Depth=1
	s_or_b32 exec_lo, exec_lo, s25
	v_dual_add_nc_u32 v15, 4, v15 :: v_dual_add_nc_u32 v12, 32, v12
	v_add_nc_u64_e32 v[6:7], 16, v[6:7]
	v_add_nc_u32_e32 v13, 0x80, v13
	s_delay_alu instid0(VALU_DEP_3) | instskip(SKIP_1) | instid1(SALU_CYCLE_1)
	v_cmp_le_i32_e64 s4, s22, v15
	s_or_b32 s6, s4, s6
	s_and_not1_b32 exec_lo, exec_lo, s6
	s_cbranch_execz .LBB67_11
.LBB67_9:                               ; =>This Inner Loop Header: Depth=1
	global_load_b32 v16, v[6:7], off
	v_cmp_gt_i32_e64 s4, 32, v2
	s_wait_loadcnt_dscnt 0x0
	v_ashrrev_i32_e32 v17, 31, v16
	s_delay_alu instid0(VALU_DEP_1) | instskip(NEXT) | instid1(VALU_DEP_1)
	v_mul_u64_e32 v[16:17], s[16:17], v[16:17]
	v_lshl_add_u64 v[20:21], v[16:17], 1, v[4:5]
	s_clause 0xb
	global_load_b32 v16, v[20:21], off
	global_load_b32 v18, v[20:21], off offset:128
	global_load_b32 v22, v[20:21], off offset:256
	;; [unrolled: 1-line block ×11, first 2 shown]
	ds_load_b32 v17, v11
	s_wait_dscnt 0x0
	v_lshrrev_b32_e32 v32, 16, v17
	v_and_b32_e32 v33, 0xffff, v17
	s_wait_loadcnt 0xb
	v_lshrrev_b32_e32 v34, 16, v16
	v_and_b32_e32 v35, 0xffff, v16
	s_clause 0x1
	global_load_b32 v17, v[20:21], off offset:1536
	global_load_b32 v16, v[20:21], off offset:1664
	;;#ASMSTART
	v_cvt_f32_f16 v33, v33;
	;;#ASMEND
	;;#ASMSTART
	v_cvt_f32_f16 v32, v32;
	;;#ASMEND
	;; [unrolled: 3-line block ×4, first 2 shown]
	s_wait_xcnt 0x0
	ds_load_b32 v20, v11 offset:4
	s_wait_loadcnt 0xc
	v_and_b32_e32 v36, 0xffff, v18
	v_lshrrev_b32_e32 v18, 16, v18
	s_wait_loadcnt 0xa
	v_and_b32_e32 v42, 0xffff, v23
	v_lshrrev_b32_e32 v23, 16, v23
	v_and_b32_e32 v39, 0xffff, v22
	v_lshrrev_b32_e32 v22, 16, v22
	s_wait_loadcnt 0x9
	v_and_b32_e32 v45, 0xffff, v24
	s_wait_loadcnt 0x8
	v_and_b32_e32 v48, 0xffff, v25
	v_lshrrev_b32_e32 v25, 16, v25
	s_wait_loadcnt 0x6
	v_and_b32_e32 v54, 0xffff, v27
	s_wait_loadcnt 0x5
	v_and_b32_e32 v57, 0xffff, v28
	;; [unrolled: 2-line block ×3, first 2 shown]
	v_and_b32_e32 v51, 0xffff, v26
	s_wait_loadcnt 0x3
	v_and_b32_e32 v63, 0xffff, v30
	v_dual_lshrrev_b32 v24, 16, v24 :: v_dual_lshrrev_b32 v27, 16, v27
	v_dual_lshrrev_b32 v28, 16, v28 :: v_dual_lshrrev_b32 v29, 16, v29
	s_wait_dscnt 0x0
	v_and_b32_e32 v21, 0xffff, v20
	v_lshrrev_b32_e32 v20, 16, v20
	;;#ASMSTART
	v_cvt_f32_f16 v21, v21;
	;;#ASMEND
	;;#ASMSTART
	v_cvt_f32_f16 v37, v20;
	;;#ASMEND
	;; [unrolled: 3-line block ×4, first 2 shown]
	ds_load_b32 v18, v11 offset:8
	v_dual_lshrrev_b32 v26, 16, v26 :: v_dual_mul_f32 v20, v21, v20
	s_wait_loadcnt 0x2
	v_dual_mul_f32 v21, v37, v36 :: v_dual_lshrrev_b32 v36, 16, v31
	v_and_b32_e32 v31, 0xffff, v31
	s_delay_alu instid0(VALU_DEP_3)
	v_fmac_f32_e32 v20, v33, v35
	s_wait_dscnt 0x0
	v_and_b32_e32 v38, 0xffff, v18
	v_lshrrev_b32_e32 v18, 16, v18
	;;#ASMSTART
	v_cvt_f32_f16 v38, v38;
	;;#ASMEND
	;;#ASMSTART
	v_cvt_f32_f16 v40, v18;
	;;#ASMEND
	;; [unrolled: 3-line block ×4, first 2 shown]
	ds_load_b32 v18, v11 offset:12
	v_fmac_f32_e32 v20, v38, v39
	s_wait_dscnt 0x0
	v_and_b32_e32 v41, 0xffff, v18
	v_lshrrev_b32_e32 v18, 16, v18
	;;#ASMSTART
	v_cvt_f32_f16 v41, v41;
	;;#ASMEND
	;;#ASMSTART
	v_cvt_f32_f16 v43, v18;
	;;#ASMEND
	;;#ASMSTART
	v_cvt_f32_f16 v42, v42;
	;;#ASMEND
	;;#ASMSTART
	v_cvt_f32_f16 v23, v23;
	;;#ASMEND
	ds_load_b32 v18, v11 offset:16
	s_wait_dscnt 0x0
	v_and_b32_e32 v44, 0xffff, v18
	v_lshrrev_b32_e32 v18, 16, v18
	;;#ASMSTART
	v_cvt_f32_f16 v44, v44;
	;;#ASMEND
	;;#ASMSTART
	v_cvt_f32_f16 v46, v18;
	;;#ASMEND
	;;#ASMSTART
	v_cvt_f32_f16 v45, v45;
	;;#ASMEND
	;;#ASMSTART
	v_cvt_f32_f16 v24, v24;
	;;#ASMEND
	ds_load_b32 v18, v11 offset:20
	;; [unrolled: 16-line block ×5, first 2 shown]
	v_fmac_f32_e32 v20, v41, v42
	s_delay_alu instid0(VALU_DEP_1) | instskip(NEXT) | instid1(VALU_DEP_1)
	v_dual_lshrrev_b32 v30, 16, v30 :: v_dual_fmac_f32 v20, v44, v45
	v_dual_fmac_f32 v21, v32, v34 :: v_dual_fmac_f32 v20, v47, v48
	s_delay_alu instid0(VALU_DEP_1) | instskip(NEXT) | instid1(VALU_DEP_1)
	v_dual_fmac_f32 v21, v40, v22 :: v_dual_fmac_f32 v20, v50, v51
	v_fmac_f32_e32 v21, v43, v23
	s_wait_dscnt 0x0
	v_and_b32_e32 v56, 0xffff, v18
	v_lshrrev_b32_e32 v18, 16, v18
	;;#ASMSTART
	v_cvt_f32_f16 v56, v56;
	;;#ASMEND
	;;#ASMSTART
	v_cvt_f32_f16 v58, v18;
	;;#ASMEND
	;; [unrolled: 3-line block ×4, first 2 shown]
	ds_load_b32 v18, v11 offset:36
	v_dual_fmac_f32 v21, v46, v24 :: v_dual_fmac_f32 v20, v53, v54
	s_delay_alu instid0(VALU_DEP_1) | instskip(NEXT) | instid1(VALU_DEP_2)
	v_fmac_f32_e32 v21, v49, v25
	v_fmac_f32_e32 v20, v56, v57
	s_wait_dscnt 0x0
	v_and_b32_e32 v59, 0xffff, v18
	v_lshrrev_b32_e32 v18, 16, v18
	;;#ASMSTART
	v_cvt_f32_f16 v59, v59;
	;;#ASMEND
	;;#ASMSTART
	v_cvt_f32_f16 v61, v18;
	;;#ASMEND
	;; [unrolled: 3-line block ×4, first 2 shown]
	ds_load_b32 v18, v11 offset:40
	v_dual_fmac_f32 v21, v52, v26 :: v_dual_fmac_f32 v20, v59, v60
	s_delay_alu instid0(VALU_DEP_1) | instskip(NEXT) | instid1(VALU_DEP_1)
	v_fmac_f32_e32 v21, v55, v27
	v_fmac_f32_e32 v21, v58, v28
	s_wait_dscnt 0x0
	v_and_b32_e32 v62, 0xffff, v18
	v_lshrrev_b32_e32 v18, 16, v18
	;;#ASMSTART
	v_cvt_f32_f16 v62, v62;
	;;#ASMEND
	;;#ASMSTART
	v_cvt_f32_f16 v64, v18;
	;;#ASMEND
	;; [unrolled: 3-line block ×4, first 2 shown]
	ds_load_b32 v18, v11 offset:44
	v_dual_fmac_f32 v21, v61, v29 :: v_dual_fmac_f32 v20, v62, v63
	s_delay_alu instid0(VALU_DEP_1)
	v_fmac_f32_e32 v21, v64, v30
	s_wait_dscnt 0x0
	v_and_b32_e32 v32, 0xffff, v18
	v_lshrrev_b32_e32 v18, 16, v18
	;;#ASMSTART
	v_cvt_f32_f16 v22, v32;
	;;#ASMEND
	;;#ASMSTART
	v_cvt_f32_f16 v32, v18;
	;;#ASMEND
	;; [unrolled: 3-line block ×4, first 2 shown]
	ds_load_b32 v18, v11 offset:48
	v_fmac_f32_e32 v20, v22, v31
	s_wait_dscnt 0x0
	v_and_b32_e32 v24, 0xffff, v18
	v_lshrrev_b32_e32 v18, 16, v18
	;;#ASMSTART
	v_cvt_f32_f16 v24, v24;
	;;#ASMEND
	;;#ASMSTART
	v_cvt_f32_f16 v25, v18;
	;;#ASMEND
	v_cndmask_b32_e64 v18, v8, v2, s4
	v_cmp_gt_i32_e64 s4, 32, v14
	s_wait_loadcnt 0x1
	v_lshrrev_b32_e32 v23, 16, v17
	v_and_b32_e32 v17, 0xffff, v17
	;;#ASMSTART
	v_cvt_f32_f16 v26, v17;
	;;#ASMEND
	;;#ASMSTART
	v_cvt_f32_f16 v23, v23;
	;;#ASMEND
	ds_load_b32 v17, v11 offset:52
	s_wait_loadcnt 0x0
	v_lshrrev_b32_e32 v27, 16, v16
	v_and_b32_e32 v16, 0xffff, v16
	v_fmac_f32_e32 v20, v24, v26
	s_wait_dscnt 0x0
	v_and_b32_e32 v22, 0xffff, v17
	v_lshrrev_b32_e32 v17, 16, v17
	;;#ASMSTART
	v_cvt_f32_f16 v22, v22;
	;;#ASMEND
	;;#ASMSTART
	v_cvt_f32_f16 v17, v17;
	;;#ASMEND
	;; [unrolled: 3-line block ×3, first 2 shown]
	v_dual_fmac_f32 v21, v32, v33 :: v_dual_fmac_f32 v20, v22, v16
	v_lshlrev_b32_e32 v16, 2, v18
	s_delay_alu instid0(VALU_DEP_2) | instskip(SKIP_1) | instid1(VALU_DEP_1)
	v_dual_cndmask_b32 v18, v8, v14, s4 :: v_dual_fmac_f32 v21, v25, v23
	;;#ASMSTART
	v_cvt_f32_f16 v23, v27;
	;;#ASMEND
	v_fmac_f32_e32 v21, v17, v23
	s_delay_alu instid0(VALU_DEP_1)
	v_add_f32_e32 v17, v20, v21
	ds_bpermute_b32 v16, v16, v17
	s_wait_dscnt 0x0
	v_dual_add_f32 v16, v17, v16 :: v_dual_lshlrev_b32 v17, 2, v18
	ds_bpermute_b32 v17, v17, v16
	s_and_saveexec_b32 s25, vcc_lo
	s_cbranch_execz .LBB67_8
; %bb.10:                               ;   in Loop: Header=BB67_9 Depth=1
	s_wait_dscnt 0x0
	v_dual_add_nc_u32 v18, s15, v12 :: v_dual_add_f32 v16, v16, v17
	v_cmp_gt_i32_e64 s4, s21, v12
	s_delay_alu instid0(VALU_DEP_2) | instskip(NEXT) | instid1(VALU_DEP_1)
	v_cvt_f32_i32_e32 v18, v18
	v_mul_f32_e32 v18, s23, v18
	s_delay_alu instid0(VALU_DEP_1) | instskip(NEXT) | instid1(VALU_DEP_1)
	v_cndmask_b32_e64 v17, 0, v18, s3
	v_dual_fmac_f32 v17, s7, v16 :: v_dual_max_num_f32 v18, v10, v10
	s_delay_alu instid0(VALU_DEP_1) | instskip(NEXT) | instid1(VALU_DEP_1)
	v_dual_max_num_f32 v16, v18, v17 :: v_dual_cndmask_b32 v17, 0, v17, s4
	v_cndmask_b32_e64 v10, v10, v16, s4
	ds_store_b32 v13, v17
	s_branch .LBB67_8
.LBB67_11:
	s_or_b32 exec_lo, exec_lo, s6
.LBB67_12:
	s_delay_alu instid0(SALU_CYCLE_1)
	s_or_b32 exec_lo, exec_lo, s24
	v_dual_max_num_f32 v6, v10, v10 :: v_dual_bitop2_b32 v2, 16, v8 bitop3:0x14
	s_clause 0x1
	s_load_b64 s[6:7], s[0:1], 0x0
	s_load_b64 s[16:17], s[0:1], 0x18
	v_and_b32_e32 v20, 31, v0
	v_xor_b32_e32 v5, 8, v8
	v_cmp_lt_i32_e32 vcc_lo, v2, v9
	v_cndmask_b32_e32 v2, v8, v2, vcc_lo
	s_delay_alu instid0(VALU_DEP_3) | instskip(NEXT) | instid1(VALU_DEP_2)
	v_cmp_lt_i32_e32 vcc_lo, v5, v9
	v_dual_cndmask_b32 v5, v8, v5 :: v_dual_lshlrev_b32 v2, 2, v2
	ds_bpermute_b32 v4, v2, v10
	s_wait_dscnt 0x0
	v_dual_max_num_f32 v7, v4, v4 :: v_dual_lshlrev_b32 v4, 2, v5
	s_delay_alu instid0(VALU_DEP_1) | instskip(SKIP_4) | instid1(VALU_DEP_1)
	v_dual_max_num_f32 v5, v6, v7 :: v_dual_bitop2_b32 v7, 4, v8 bitop3:0x14
	ds_bpermute_b32 v6, v4, v5
	v_cmp_lt_i32_e32 vcc_lo, v7, v9
	v_cndmask_b32_e32 v7, v8, v7, vcc_lo
	s_wait_dscnt 0x0
	v_dual_max_num_f32 v6, v6, v6 :: v_dual_lshlrev_b32 v7, 2, v7
	s_delay_alu instid0(VALU_DEP_1)
	v_dual_max_num_f32 v6, v5, v6 :: v_dual_lshlrev_b32 v5, 2, v19
	v_cmp_eq_u32_e32 vcc_lo, 0, v20
	ds_bpermute_b32 v10, v7, v6
	s_wait_xcnt 0x0
	s_and_saveexec_b32 s0, vcc_lo
	s_cbranch_execz .LBB67_14
; %bb.13:
	s_wait_dscnt 0x0
	v_max_num_f32_e32 v10, v10, v10
	v_max_num_f32_e32 v6, v6, v6
	s_delay_alu instid0(VALU_DEP_1)
	v_max_num_f32_e32 v6, v6, v10
	ds_store_b32 v5, v6 offset:224
.LBB67_14:
	s_or_b32 exec_lo, exec_lo, s0
	v_cmp_gt_u32_e64 s0, 4, v20
	v_dual_mov_b32 v11, 0xff7fffff :: v_dual_lshlrev_b32 v6, 2, v20
	s_wait_dscnt 0x0
	s_barrier_signal -1
	s_barrier_wait -1
	s_and_saveexec_b32 s1, s0
; %bb.15:
	ds_load_b32 v11, v6 offset:224
; %bb.16:
	s_or_b32 exec_lo, exec_lo, s1
	v_xor_b32_e32 v10, 2, v8
	v_lshl_add_u32 v21, v0, 2, 0x100
	v_dual_lshlrev_b32 v3, 2, v3 :: v_dual_bitop2_b32 v13, 1, v8 bitop3:0x14
	s_delay_alu instid0(VALU_DEP_3) | instskip(NEXT) | instid1(VALU_DEP_1)
	v_cmp_lt_i32_e64 s1, v10, v9
	v_cndmask_b32_e64 v10, v8, v10, s1
	s_delay_alu instid0(VALU_DEP_3) | instskip(NEXT) | instid1(VALU_DEP_1)
	v_cmp_lt_i32_e64 s1, v13, v9
	v_dual_lshlrev_b32 v10, 2, v10 :: v_dual_cndmask_b32 v9, v8, v13, s1
	s_lshl_b32 s1, s22, 3
	s_delay_alu instid0(SALU_CYCLE_1)
	s_min_i32 s4, s1, s21
	s_wait_dscnt 0x0
	ds_bpermute_b32 v12, v10, v11
	v_dual_max_num_f32 v11, v11, v11 :: v_dual_lshlrev_b32 v9, 2, v9
	v_cmp_gt_i32_e64 s1, s4, v0
	s_wait_dscnt 0x0
	v_max_num_f32_e32 v12, v12, v12
	s_delay_alu instid0(VALU_DEP_1) | instskip(SKIP_3) | instid1(VALU_DEP_1)
	v_max_num_f32_e32 v11, v11, v12
	ds_bpermute_b32 v12, v9, v11
	s_wait_dscnt 0x0
	v_max_num_f32_e32 v12, v12, v12
	v_max_num_f32_e32 v11, v11, v12
	ds_bpermute_b32 v11, v3, v11
	v_mov_b32_e32 v3, 0
	s_and_saveexec_b32 s15, s1
	s_cbranch_execz .LBB67_20
; %bb.17:
	v_lshl_add_u32 v12, v0, 2, 0x100
	v_dual_mov_b32 v3, 0 :: v_dual_mov_b32 v13, v0
	s_mov_b32 s23, 0
.LBB67_18:                              ; =>This Inner Loop Header: Depth=1
	ds_load_b32 v14, v12
	v_add_nc_u32_e32 v13, 0x80, v13
	s_delay_alu instid0(VALU_DEP_1) | instskip(SKIP_3) | instid1(VALU_DEP_1)
	v_cmp_le_i32_e64 s3, s4, v13
	s_or_b32 s23, s3, s23
	s_wait_dscnt 0x0
	v_sub_f32_e32 v14, v14, v11
	v_mul_f32_e32 v14, 0x3fb8aa3b, v14
	s_delay_alu instid0(VALU_DEP_1)
	v_exp_f32_e32 v14, v14
	ds_store_b32 v12, v14
	v_nop
	v_dual_add_f32 v3, v3, v14 :: v_dual_add_nc_u32 v12, 0x200, v12
	s_and_not1_b32 exec_lo, exec_lo, s23
	s_cbranch_execnz .LBB67_18
; %bb.19:
	s_or_b32 exec_lo, exec_lo, s23
.LBB67_20:
	s_delay_alu instid0(SALU_CYCLE_1)
	s_or_b32 exec_lo, exec_lo, s15
	ds_bpermute_b32 v2, v2, v3
	s_wait_dscnt 0x0
	v_add_f32_e32 v2, v3, v2
	ds_bpermute_b32 v3, v4, v2
	s_wait_dscnt 0x0
	v_add_f32_e32 v2, v2, v3
	;; [unrolled: 3-line block ×5, first 2 shown]
	s_and_saveexec_b32 s3, vcc_lo
; %bb.21:
	ds_store_b32 v5, v2 offset:240
; %bb.22:
	s_or_b32 exec_lo, exec_lo, s3
	s_wait_dscnt 0x0
	s_barrier_signal -1
	s_barrier_wait -1
	s_and_saveexec_b32 s3, s0
; %bb.23:
	ds_load_b32 v2, v6 offset:240
; %bb.24:
	s_or_b32 exec_lo, exec_lo, s3
	s_wait_dscnt 0x0
	ds_bpermute_b32 v3, v10, v2
	s_wait_dscnt 0x0
	v_dual_lshlrev_b32 v4, 2, v8 :: v_dual_add_f32 v2, v2, v3
	ds_bpermute_b32 v3, v9, v2
	s_wait_dscnt 0x0
	v_add_f32_e32 v2, v2, v3
	v_and_b32_e32 v3, 0xffffff80, v4
	ds_bpermute_b32 v2, v3, v2
	s_and_saveexec_b32 s0, s1
	s_cbranch_execz .LBB67_37
; %bb.25:
	s_wait_dscnt 0x0
	v_add_f32_e32 v2, 0x358637bd, v2
	s_mov_b32 s3, -1
	s_mov_b32 s1, exec_lo
	s_delay_alu instid0(VALU_DEP_1) | instskip(NEXT) | instid1(VALU_DEP_1)
	v_div_scale_f32 v3, null, v2, v2, 1.0
	v_rcp_f32_e32 v5, v3
	v_nop
	s_delay_alu instid0(TRANS32_DEP_1) | instskip(NEXT) | instid1(VALU_DEP_1)
	v_fma_f32 v4, -v3, v5, 1.0
	v_fmac_f32_e32 v5, v4, v5
	v_div_scale_f32 v6, vcc_lo, 1.0, v2, 1.0
	s_delay_alu instid0(VALU_DEP_1) | instskip(NEXT) | instid1(VALU_DEP_1)
	v_mul_f32_e32 v7, v6, v5
	v_fma_f32 v4, -v3, v7, v6
	s_delay_alu instid0(VALU_DEP_1) | instskip(SKIP_1) | instid1(VALU_DEP_2)
	v_fmac_f32_e32 v7, v4, v5
	v_xad_u32 v4, v0, -1, s4
	v_fma_f32 v3, -v3, v7, v6
	s_delay_alu instid0(VALU_DEP_1) | instskip(NEXT) | instid1(VALU_DEP_1)
	v_div_fmas_f32 v3, v3, v5, v7
	v_div_fixup_f32 v2, v3, v2, 1.0
	v_mov_b32_e32 v3, v0
	v_cmpx_lt_u32_e32 0x7f, v4
	s_cbranch_execz .LBB67_34
; %bb.26:
	s_delay_alu instid0(VALU_DEP_3) | instskip(NEXT) | instid1(VALU_DEP_1)
	v_dual_mov_b32 v3, v2 :: v_dual_lshrrev_b32 v4, 7, v4
	v_dual_mov_b32 v8, 0 :: v_dual_add_nc_u32 v5, -1, v4
	s_delay_alu instid0(VALU_DEP_1) | instskip(SKIP_1) | instid1(VALU_DEP_2)
	v_lshrrev_b32_e32 v6, 1, v5
	v_cmp_lt_u32_e32 vcc_lo, 13, v5
	v_add_nc_u32_e32 v5, 1, v6
	s_and_saveexec_b32 s3, vcc_lo
	s_cbranch_execz .LBB67_30
; %bb.27:
	s_delay_alu instid0(VALU_DEP_1)
	v_dual_mov_b32 v7, v21 :: v_dual_bitop2_b32 v6, -8, v5 bitop3:0x40
	s_mov_b32 s15, 0
	s_mov_b32 s23, 0
.LBB67_28:                              ; =>This Inner Loop Header: Depth=1
	ds_load_2addr_stride64_b32 v[8:9], v7 offset1:2
	ds_load_2addr_stride64_b32 v[10:11], v7 offset0:4 offset1:6
	ds_load_2addr_stride64_b32 v[12:13], v7 offset0:8 offset1:10
	;; [unrolled: 1-line block ×7, first 2 shown]
	s_add_co_i32 s23, s23, 16
	v_add_nc_u32_e32 v6, -8, v6
	s_wait_dscnt 0x7
	v_pk_mul_f32 v[8:9], v[2:3], v[8:9]
	s_wait_dscnt 0x6
	v_pk_mul_f32 v[10:11], v[2:3], v[10:11]
	;; [unrolled: 2-line block ×8, first 2 shown]
	ds_store_2addr_stride64_b32 v7, v8, v9 offset1:2
	ds_store_2addr_stride64_b32 v7, v10, v11 offset0:4 offset1:6
	ds_store_2addr_stride64_b32 v7, v12, v13 offset0:8 offset1:10
	ds_store_2addr_stride64_b32 v7, v14, v15 offset0:12 offset1:14
	ds_store_2addr_stride64_b32 v7, v16, v17 offset0:16 offset1:18
	ds_store_2addr_stride64_b32 v7, v22, v23 offset0:20 offset1:22
	ds_store_2addr_stride64_b32 v7, v24, v25 offset0:24 offset1:26
	ds_store_2addr_stride64_b32 v7, v26, v27 offset0:28 offset1:30
	v_mov_b32_e32 v8, s23
	v_cmp_eq_u32_e32 vcc_lo, 0, v6
	v_add_nc_u32_e32 v7, 0x2000, v7
	s_or_b32 s15, vcc_lo, s15
	s_delay_alu instid0(SALU_CYCLE_1)
	s_and_not1_b32 exec_lo, exec_lo, s15
	s_cbranch_execnz .LBB67_28
; %bb.29:
	s_or_b32 exec_lo, exec_lo, s15
.LBB67_30:
	s_delay_alu instid0(SALU_CYCLE_1) | instskip(NEXT) | instid1(VALU_DEP_1)
	s_or_b32 exec_lo, exec_lo, s3
	v_and_b32_e32 v5, 7, v5
	s_mov_b32 s15, 0
	s_mov_b32 s3, exec_lo
	s_delay_alu instid0(VALU_DEP_1)
	v_cmpx_ne_u32_e32 0, v5
	s_cbranch_execz .LBB67_33
; %bb.31:
	v_lshlrev_b32_e32 v6, 9, v8
	v_lshlrev_b32_e32 v7, 2, v0
	s_delay_alu instid0(VALU_DEP_1)
	v_add3_u32 v6, v6, v7, 0x100
.LBB67_32:                              ; =>This Inner Loop Header: Depth=1
	ds_load_2addr_stride64_b32 v[8:9], v6 offset1:2
	v_add_nc_u32_e32 v5, -1, v5
	s_delay_alu instid0(VALU_DEP_1)
	v_cmp_eq_u32_e32 vcc_lo, 0, v5
	s_or_b32 s15, vcc_lo, s15
	s_wait_dscnt 0x0
	v_pk_mul_f32 v[8:9], v[2:3], v[8:9]
	ds_store_2addr_stride64_b32 v6, v8, v9 offset1:2
	v_add_nc_u32_e32 v6, 0x400, v6
	s_and_not1_b32 exec_lo, exec_lo, s15
	s_cbranch_execnz .LBB67_32
.LBB67_33:
	s_or_b32 exec_lo, exec_lo, s3
	v_add_nc_u32_e32 v3, 1, v4
	s_delay_alu instid0(VALU_DEP_1) | instskip(NEXT) | instid1(VALU_DEP_1)
	v_and_b32_e32 v4, 0x3fffffe, v3
	v_cmp_ne_u32_e32 vcc_lo, v3, v4
	v_lshl_add_u32 v3, v4, 7, v0
	s_or_not1_b32 s3, vcc_lo, exec_lo
.LBB67_34:
	s_or_b32 exec_lo, exec_lo, s1
	s_delay_alu instid0(SALU_CYCLE_1)
	s_and_b32 exec_lo, exec_lo, s3
	s_cbranch_execz .LBB67_37
; %bb.35:
	v_lshl_add_u32 v4, v3, 2, 0x100
	s_mov_b32 s1, 0
.LBB67_36:                              ; =>This Inner Loop Header: Depth=1
	ds_load_b32 v5, v4
	v_add_nc_u32_e32 v3, 0x80, v3
	s_delay_alu instid0(VALU_DEP_1)
	v_cmp_le_i32_e32 vcc_lo, s4, v3
	s_or_b32 s1, vcc_lo, s1
	s_wait_dscnt 0x0
	v_mul_f32_e32 v5, v2, v5
	ds_store_b32 v4, v5
	v_add_nc_u32_e32 v4, 0x200, v4
	s_and_not1_b32 exec_lo, exec_lo, s1
	s_cbranch_execnz .LBB67_36
.LBB67_37:
	s_or_b32 exec_lo, exec_lo, s0
	v_mov_b64_e32 v[6:7], 0
	v_dual_mov_b32 v27, 0 :: v_dual_mov_b32 v26, 0
	s_wait_dscnt 0x0
	s_barrier_signal -1
	s_barrier_wait -1
	s_and_saveexec_b32 s23, s2
	s_cbranch_execz .LBB67_51
; %bb.38:
	s_ashr_i32 s15, s14, 31
	v_or_b32_e32 v3, 0x60, v20
	s_lshl_b64 s[0:1], s[14:15], 1
	v_dual_mov_b32 v9, 0 :: v_dual_lshlrev_b32 v2, 3, v20
	v_and_b32_e32 v8, 0x7c, v1
	s_ashr_i32 s3, s5, 31
	s_mov_b32 s2, s5
	s_wait_kmcnt 0x0
	s_add_nc_u64 s[4:5], s[16:17], s[0:1]
	s_lshl_b64 s[0:1], s[10:11], 2
	v_dual_lshlrev_b32 v4, 3, v3 :: v_dual_lshlrev_b32 v12, 1, v2
	s_add_nc_u64 s[0:1], s[12:13], s[0:1]
	v_dual_mov_b32 v13, v9 :: v_dual_lshlrev_b32 v22, 3, v19
	v_add_nc_u64_e32 v[10:11], s[0:1], v[8:9]
	v_lshl_add_u32 v23, v19, 5, 0x100
	v_dual_lshlrev_b32 v8, 1, v4 :: v_dual_mov_b32 v26, v9
	v_dual_mov_b32 v27, v9 :: v_dual_mov_b32 v7, v9
	v_dual_mov_b32 v6, v9 :: v_dual_mov_b32 v24, v19
	s_add_co_i32 s10, s22, -1
	s_mov_b32 s12, s21
	s_mov_b32 s11, 0
	v_cmp_gt_u32_e32 vcc_lo, 0x70, v3
	s_branch .LBB67_41
.LBB67_39:                              ;   in Loop: Header=BB67_41 Depth=1
	s_or_b32 exec_lo, exec_lo, s13
	v_dual_lshlrev_b32 v14, 16, v14 :: v_dual_lshlrev_b32 v1, 16, v1
	s_delay_alu instid0(VALU_DEP_2) | instskip(NEXT) | instid1(VALU_DEP_2)
	v_lshlrev_b32_e32 v15, 16, v15
	v_and_or_b32 v2, 0xffff, v2, v14
	s_delay_alu instid0(VALU_DEP_3) | instskip(NEXT) | instid1(VALU_DEP_3)
	v_and_or_b32 v1, 0xffff, v3, v1
	v_and_or_b32 v3, 0xffff, v4, v15
	;;#ASMSTART
	v_pk_mul_f16 v2, v31, v2;

	;;#ASMEND
	;;#ASMSTART
	v_pk_mul_f16 v1, v30, v1;

	;;#ASMEND
	;; [unrolled: 4-line block ×4, first 2 shown]
	;;#ASMSTART
	v_pk_add_f16 v1, v2, v1;

	;;#ASMEND
	;;#ASMSTART
	v_pk_add_f16 v1, v1, v3;

	;;#ASMEND
	;; [unrolled: 4-line block ×3, first 2 shown]
	v_and_b32_e32 v2, 0xffff, v1
	v_lshrrev_b32_e32 v1, 16, v1
	;;#ASMSTART
	v_cvt_f32_f16 v2, v2;
	;;#ASMEND
	;;#ASMSTART
	v_cvt_f32_f16 v1, v1;
	;;#ASMEND
	s_delay_alu instid0(VALU_DEP_1) | instskip(NEXT) | instid1(VALU_DEP_1)
	v_add_f32_e32 v1, v2, v1
	v_add_f32_e32 v26, v26, v1
.LBB67_40:                              ;   in Loop: Header=BB67_41 Depth=1
	s_or_b32 exec_lo, exec_lo, s1
	v_dual_add_f32 v1, v16, v17 :: v_dual_add_nc_u32 v24, 4, v24
	v_dual_add_f32 v2, v18, v25 :: v_dual_add_nc_u32 v22, 32, v22
	v_add_f32_e32 v3, v28, v29
	v_add_nc_u64_e32 v[10:11], 16, v[10:11]
	s_delay_alu instid0(VALU_DEP_4) | instskip(NEXT) | instid1(VALU_DEP_4)
	v_cmp_le_i32_e64 s0, s22, v24
	v_add_f32_e32 v7, v7, v2
	s_delay_alu instid0(VALU_DEP_4) | instskip(SKIP_2) | instid1(SALU_CYCLE_1)
	v_dual_add_f32 v27, v27, v1 :: v_dual_add_f32 v6, v6, v3
	v_add_nc_u32_e32 v23, 0x80, v23
	s_or_b32 s11, s0, s11
	s_and_not1_b32 exec_lo, exec_lo, s11
	s_cbranch_execz .LBB67_50
.LBB67_41:                              ; =>This Inner Loop Header: Depth=1
	global_load_b32 v2, v[10:11], off
	v_cmp_eq_u32_e64 s0, s10, v24
	s_wait_loadcnt 0x0
	v_ashrrev_i32_e32 v3, 31, v2
	s_delay_alu instid0(VALU_DEP_1)
	v_mul_u64_e32 v[14:15], s[2:3], v[2:3]
	ds_load_2addr_b64 v[2:5], v23 offset1:1
	ds_load_2addr_b64 v[36:39], v23 offset0:2 offset1:3
	s_wait_dscnt 0x1
	;;#ASMSTART
	v_cvt_f16_f32 v31, v2;

	;;#ASMEND
	;;#ASMSTART
	v_cvt_f16_f32 v29, v3;

	;;#ASMEND
	;;#ASMSTART
	v_cvt_f16_f32 v34, v4;

	;;#ASMEND
	;;#ASMSTART
	v_cvt_f16_f32 v30, v5;

	;;#ASMEND
	s_wait_dscnt 0x0
	;;#ASMSTART
	v_cvt_f16_f32 v35, v36;

	;;#ASMEND
	;;#ASMSTART
	v_cvt_f16_f32 v32, v37;

	;;#ASMEND
	;; [unrolled: 4-line block ×4, first 2 shown]
	v_lshl_add_u64 v[14:15], v[14:15], 1, s[4:5]
	s_delay_alu instid0(VALU_DEP_1)
	v_add_nc_u64_e32 v[16:17], v[14:15], v[12:13]
	global_load_b128 v[2:5], v[16:17], off
	s_wait_loadcnt 0x0
	v_dual_lshrrev_b32 v1, 16, v3 :: v_dual_lshrrev_b32 v25, 16, v4
	v_lshrrev_b32_e32 v18, 16, v2
	s_and_saveexec_b32 s13, s0
	s_cbranch_execz .LBB67_43
; %bb.42:                               ;   in Loop: Header=BB67_41 Depth=1
	v_dual_add_nc_u32 v36, 2, v22 :: v_dual_bitop2_b32 v37, 3, v22 bitop3:0x54
	v_cmp_gt_i32_e64 s1, s21, v22
	v_dual_add_nc_u32 v39, 7, v22 :: v_dual_add_nc_u32 v40, 5, v22
	s_delay_alu instid0(VALU_DEP_2) | instskip(NEXT) | instid1(VALU_DEP_4)
	v_cndmask_b32_e64 v2, 0, v2, s1
	v_cmp_gt_i32_e64 s1, s21, v36
	s_delay_alu instid0(VALU_DEP_1) | instskip(SKIP_2) | instid1(VALU_DEP_2)
	v_dual_add_nc_u32 v36, 4, v22 :: v_dual_cndmask_b32 v3, 0, v3, s1
	v_cmp_gt_i32_e64 s1, s12, v37
	v_dual_add_nc_u32 v37, 6, v22 :: v_dual_bitop2_b32 v38, 1, v22 bitop3:0x54
	v_cndmask_b32_e64 v1, 0, v1, s1
	s_delay_alu instid0(VALU_DEP_2) | instskip(SKIP_2) | instid1(VALU_DEP_3)
	v_cmp_gt_i32_e64 s1, s21, v38
	v_and_b32_e32 v38, 0xffff, v5
	v_and_b32_e32 v5, 0xffff0000, v5
	v_cndmask_b32_e64 v18, 0, v18, s1
	v_cmp_gt_i32_e64 s1, s21, v37
	s_delay_alu instid0(VALU_DEP_1) | instskip(SKIP_1) | instid1(VALU_DEP_1)
	v_cndmask_b32_e64 v37, 0, v38, s1
	v_cmp_gt_i32_e64 s1, s21, v39
	v_cndmask_b32_e64 v5, 0, v5, s1
	v_cmp_gt_i32_e64 s1, s21, v36
	s_delay_alu instid0(VALU_DEP_1) | instskip(SKIP_1) | instid1(VALU_DEP_4)
	v_cndmask_b32_e64 v4, 0, v4, s1
	v_cmp_gt_i32_e64 s1, s21, v40
	v_or_b32_e32 v5, v37, v5
	s_delay_alu instid0(VALU_DEP_2)
	v_cndmask_b32_e64 v25, 0, v25, s1
.LBB67_43:                              ;   in Loop: Header=BB67_41 Depth=1
	s_or_b32 exec_lo, exec_lo, s13
	v_and_b32_e32 v31, 0xffff, v31
	v_dual_lshlrev_b32 v18, 16, v18 :: v_dual_lshlrev_b32 v1, 16, v1
	v_and_b32_e32 v34, 0xffff, v34
	v_lshlrev_b32_e32 v25, 16, v25
	v_and_b32_e32 v35, 0xffff, v35
	v_lshl_or_b32 v31, v29, 16, v31
	v_and_b32_e32 v29, 0xffff, v33
	v_and_or_b32 v2, 0xffff, v2, v18
	v_and_or_b32 v1, 0xffff, v3, v1
	v_lshl_or_b32 v30, v30, 16, v34
	v_and_or_b32 v3, 0xffff, v4, v25
	;;#ASMSTART
	v_pk_mul_f16 v2, v31, v2;

	;;#ASMEND
	;;#ASMSTART
	v_pk_mul_f16 v1, v30, v1;

	;;#ASMEND
	v_lshl_or_b32 v32, v32, 16, v35
	v_lshl_or_b32 v33, v28, 16, v29
	;;#ASMSTART
	v_pk_mul_f16 v3, v32, v3;

	;;#ASMEND
	;;#ASMSTART
	v_pk_mul_f16 v4, v33, v5;

	;;#ASMEND
	;;#ASMSTART
	v_pk_add_f16 v1, v2, v1;

	;;#ASMEND
	;;#ASMSTART
	v_pk_add_f16 v1, v1, v3;
	;; [unrolled: 4-line block ×3, first 2 shown]

	;;#ASMEND
	v_and_b32_e32 v2, 0xffff, v1
	v_lshrrev_b32_e32 v1, 16, v1
	;;#ASMSTART
	v_cvt_f32_f16 v28, v2;
	;;#ASMEND
	;;#ASMSTART
	v_cvt_f32_f16 v29, v1;
	;;#ASMEND
	global_load_b128 v[2:5], v[16:17], off offset:512
	s_wait_loadcnt 0x0
	v_dual_lshrrev_b32 v1, 16, v3 :: v_dual_lshrrev_b32 v18, 16, v2
	v_lshrrev_b32_e32 v25, 16, v4
	s_and_saveexec_b32 s13, s0
	s_cbranch_execz .LBB67_45
; %bb.44:                               ;   in Loop: Header=BB67_41 Depth=1
	v_dual_add_nc_u32 v34, 2, v22 :: v_dual_bitop2_b32 v35, 3, v22 bitop3:0x54
	v_cmp_gt_i32_e64 s1, s21, v22
	v_dual_add_nc_u32 v37, 7, v22 :: v_dual_add_nc_u32 v38, 5, v22
	s_delay_alu instid0(VALU_DEP_2) | instskip(NEXT) | instid1(VALU_DEP_4)
	v_cndmask_b32_e64 v2, 0, v2, s1
	v_cmp_gt_i32_e64 s1, s21, v34
	s_delay_alu instid0(VALU_DEP_1) | instskip(SKIP_2) | instid1(VALU_DEP_2)
	v_dual_add_nc_u32 v34, 4, v22 :: v_dual_cndmask_b32 v3, 0, v3, s1
	v_cmp_gt_i32_e64 s1, s12, v35
	v_dual_add_nc_u32 v35, 6, v22 :: v_dual_bitop2_b32 v36, 1, v22 bitop3:0x54
	v_cndmask_b32_e64 v1, 0, v1, s1
	s_delay_alu instid0(VALU_DEP_2) | instskip(SKIP_2) | instid1(VALU_DEP_3)
	v_cmp_gt_i32_e64 s1, s21, v36
	v_and_b32_e32 v36, 0xffff, v5
	v_and_b32_e32 v5, 0xffff0000, v5
	v_cndmask_b32_e64 v18, 0, v18, s1
	v_cmp_gt_i32_e64 s1, s21, v35
	s_delay_alu instid0(VALU_DEP_1) | instskip(SKIP_1) | instid1(VALU_DEP_1)
	v_cndmask_b32_e64 v35, 0, v36, s1
	v_cmp_gt_i32_e64 s1, s21, v37
	v_cndmask_b32_e64 v5, 0, v5, s1
	v_cmp_gt_i32_e64 s1, s21, v34
	s_delay_alu instid0(VALU_DEP_1) | instskip(SKIP_1) | instid1(VALU_DEP_4)
	v_cndmask_b32_e64 v4, 0, v4, s1
	v_cmp_gt_i32_e64 s1, s21, v38
	v_or_b32_e32 v5, v35, v5
	s_delay_alu instid0(VALU_DEP_2)
	v_cndmask_b32_e64 v25, 0, v25, s1
.LBB67_45:                              ;   in Loop: Header=BB67_41 Depth=1
	s_or_b32 exec_lo, exec_lo, s13
	v_dual_lshlrev_b32 v18, 16, v18 :: v_dual_lshlrev_b32 v1, 16, v1
	s_delay_alu instid0(VALU_DEP_2) | instskip(NEXT) | instid1(VALU_DEP_2)
	v_lshlrev_b32_e32 v25, 16, v25
	v_and_or_b32 v2, 0xffff, v2, v18
	s_delay_alu instid0(VALU_DEP_3) | instskip(NEXT) | instid1(VALU_DEP_3)
	v_and_or_b32 v1, 0xffff, v3, v1
	v_and_or_b32 v3, 0xffff, v4, v25
	;;#ASMSTART
	v_pk_mul_f16 v2, v31, v2;

	;;#ASMEND
	;;#ASMSTART
	v_pk_mul_f16 v1, v30, v1;

	;;#ASMEND
	;;#ASMSTART
	v_pk_mul_f16 v3, v32, v3;

	;;#ASMEND
	;;#ASMSTART
	v_pk_mul_f16 v4, v33, v5;

	;;#ASMEND
	;;#ASMSTART
	v_pk_add_f16 v1, v2, v1;

	;;#ASMEND
	;;#ASMSTART
	v_pk_add_f16 v1, v1, v3;

	;;#ASMEND
	;; [unrolled: 4-line block ×3, first 2 shown]
	v_and_b32_e32 v2, 0xffff, v1
	v_lshrrev_b32_e32 v1, 16, v1
	;;#ASMSTART
	v_cvt_f32_f16 v18, v2;
	;;#ASMEND
	;;#ASMSTART
	v_cvt_f32_f16 v25, v1;
	;;#ASMEND
	global_load_b128 v[2:5], v[16:17], off offset:1024
	s_wait_loadcnt 0x0
	v_dual_lshrrev_b32 v1, 16, v3 :: v_dual_lshrrev_b32 v16, 16, v2
	v_lshrrev_b32_e32 v17, 16, v4
	s_and_saveexec_b32 s13, s0
	s_cbranch_execz .LBB67_47
; %bb.46:                               ;   in Loop: Header=BB67_41 Depth=1
	v_dual_add_nc_u32 v34, 2, v22 :: v_dual_bitop2_b32 v35, 3, v22 bitop3:0x54
	v_cmp_gt_i32_e64 s1, s21, v22
	v_add_nc_u32_e32 v37, 7, v22
	s_delay_alu instid0(VALU_DEP_2) | instskip(NEXT) | instid1(VALU_DEP_4)
	v_cndmask_b32_e64 v2, 0, v2, s1
	v_cmp_gt_i32_e64 s1, s21, v34
	s_delay_alu instid0(VALU_DEP_1) | instskip(SKIP_2) | instid1(VALU_DEP_2)
	v_dual_add_nc_u32 v34, 4, v22 :: v_dual_cndmask_b32 v3, 0, v3, s1
	v_cmp_gt_i32_e64 s1, s12, v35
	v_dual_add_nc_u32 v35, 6, v22 :: v_dual_bitop2_b32 v36, 1, v22 bitop3:0x54
	v_cndmask_b32_e64 v1, 0, v1, s1
	s_delay_alu instid0(VALU_DEP_2) | instskip(SKIP_2) | instid1(VALU_DEP_3)
	v_cmp_gt_i32_e64 s1, s21, v36
	v_and_b32_e32 v36, 0xffff, v5
	v_and_b32_e32 v5, 0xffff0000, v5
	v_cndmask_b32_e64 v16, 0, v16, s1
	v_cmp_gt_i32_e64 s1, s21, v35
	s_delay_alu instid0(VALU_DEP_1) | instskip(SKIP_1) | instid1(VALU_DEP_1)
	v_dual_add_nc_u32 v38, 5, v22 :: v_dual_cndmask_b32 v35, 0, v36, s1
	v_cmp_gt_i32_e64 s1, s21, v37
	v_cndmask_b32_e64 v5, 0, v5, s1
	v_cmp_gt_i32_e64 s1, s21, v34
	s_delay_alu instid0(VALU_DEP_1) | instskip(SKIP_1) | instid1(VALU_DEP_4)
	v_cndmask_b32_e64 v4, 0, v4, s1
	v_cmp_gt_i32_e64 s1, s21, v38
	v_or_b32_e32 v5, v35, v5
	s_delay_alu instid0(VALU_DEP_2)
	v_cndmask_b32_e64 v17, 0, v17, s1
.LBB67_47:                              ;   in Loop: Header=BB67_41 Depth=1
	s_or_b32 exec_lo, exec_lo, s13
	v_dual_lshlrev_b32 v16, 16, v16 :: v_dual_lshlrev_b32 v1, 16, v1
	s_delay_alu instid0(VALU_DEP_2) | instskip(NEXT) | instid1(VALU_DEP_2)
	v_lshlrev_b32_e32 v17, 16, v17
	v_and_or_b32 v2, 0xffff, v2, v16
	s_delay_alu instid0(VALU_DEP_3) | instskip(NEXT) | instid1(VALU_DEP_3)
	v_and_or_b32 v1, 0xffff, v3, v1
	v_and_or_b32 v3, 0xffff, v4, v17
	;;#ASMSTART
	v_pk_mul_f16 v2, v31, v2;

	;;#ASMEND
	;;#ASMSTART
	v_pk_mul_f16 v1, v30, v1;

	;;#ASMEND
	;; [unrolled: 4-line block ×4, first 2 shown]
	;;#ASMSTART
	v_pk_add_f16 v1, v2, v1;

	;;#ASMEND
	;;#ASMSTART
	v_pk_add_f16 v1, v1, v3;

	;;#ASMEND
	;;#ASMSTART
	v_pk_add_f16 v1, v1, v4;

	;;#ASMEND
	v_and_b32_e32 v2, 0xffff, v1
	v_lshrrev_b32_e32 v1, 16, v1
	;;#ASMSTART
	v_cvt_f32_f16 v16, v2;
	;;#ASMEND
	;;#ASMSTART
	v_cvt_f32_f16 v17, v1;
	;;#ASMEND
	s_and_saveexec_b32 s1, vcc_lo
	s_cbranch_execz .LBB67_40
; %bb.48:                               ;   in Loop: Header=BB67_41 Depth=1
	v_add_nc_u64_e32 v[2:3], v[14:15], v[8:9]
	global_load_b128 v[2:5], v[2:3], off
	s_wait_loadcnt 0x0
	v_dual_lshrrev_b32 v1, 16, v3 :: v_dual_lshrrev_b32 v14, 16, v2
	v_lshrrev_b32_e32 v15, 16, v4
	s_and_saveexec_b32 s13, s0
	s_cbranch_execz .LBB67_39
; %bb.49:                               ;   in Loop: Header=BB67_41 Depth=1
	v_dual_add_nc_u32 v34, 2, v22 :: v_dual_bitop2_b32 v35, 3, v22 bitop3:0x54
	v_cmp_gt_i32_e64 s0, s21, v22
	v_dual_add_nc_u32 v37, 7, v22 :: v_dual_add_nc_u32 v38, 5, v22
	s_delay_alu instid0(VALU_DEP_2) | instskip(NEXT) | instid1(VALU_DEP_4)
	v_cndmask_b32_e64 v2, 0, v2, s0
	v_cmp_gt_i32_e64 s0, s21, v34
	s_delay_alu instid0(VALU_DEP_1) | instskip(SKIP_2) | instid1(VALU_DEP_2)
	v_dual_add_nc_u32 v34, 4, v22 :: v_dual_cndmask_b32 v3, 0, v3, s0
	v_cmp_gt_i32_e64 s0, s12, v35
	v_dual_add_nc_u32 v35, 6, v22 :: v_dual_bitop2_b32 v36, 1, v22 bitop3:0x54
	v_cndmask_b32_e64 v1, 0, v1, s0
	s_delay_alu instid0(VALU_DEP_2) | instskip(SKIP_2) | instid1(VALU_DEP_3)
	v_cmp_gt_i32_e64 s0, s21, v36
	v_and_b32_e32 v36, 0xffff, v5
	v_and_b32_e32 v5, 0xffff0000, v5
	v_cndmask_b32_e64 v14, 0, v14, s0
	v_cmp_gt_i32_e64 s0, s21, v35
	s_delay_alu instid0(VALU_DEP_1) | instskip(SKIP_1) | instid1(VALU_DEP_1)
	v_cndmask_b32_e64 v35, 0, v36, s0
	v_cmp_gt_i32_e64 s0, s21, v37
	v_cndmask_b32_e64 v5, 0, v5, s0
	v_cmp_gt_i32_e64 s0, s21, v34
	s_delay_alu instid0(VALU_DEP_1) | instskip(SKIP_1) | instid1(VALU_DEP_1)
	v_cndmask_b32_e64 v4, 0, v4, s0
	v_cmp_gt_i32_e64 s0, s21, v38
	v_dual_cndmask_b32 v15, 0, v15, s0 :: v_dual_bitop2_b32 v5, v35, v5 bitop3:0x54
	s_branch .LBB67_39
.LBB67_50:
	s_or_b32 exec_lo, exec_lo, s11
.LBB67_51:
	s_delay_alu instid0(SALU_CYCLE_1) | instskip(SKIP_2) | instid1(SALU_CYCLE_1)
	s_or_b32 exec_lo, exec_lo, s23
	v_and_b32_e32 v1, 0x3c0, v0
	s_movk_i32 s0, 0x1c0
	v_mad_u32_u24 v8, v19, s0, 0x100
	s_barrier_signal -1
	s_delay_alu instid0(VALU_DEP_2)
	v_cmp_eq_u32_e32 vcc_lo, 64, v1
	v_or_b32_e32 v1, 0x60, v0
	s_barrier_wait -1
	s_and_saveexec_b32 s0, vcc_lo
	s_cbranch_execz .LBB67_54
; %bb.52:
	v_add_nc_u32_e32 v2, 0xfffffc80, v8
	v_cmp_gt_u32_e32 vcc_lo, 0x70, v1
	s_delay_alu instid0(VALU_DEP_2)
	v_lshl_add_u32 v3, v20, 2, v2
	ds_store_2addr_b32 v3, v6, v7 offset1:32
	ds_store_b32 v3, v27 offset:256
	s_and_b32 exec_lo, exec_lo, vcc_lo
; %bb.53:
	v_lshl_add_u32 v2, v1, 2, v2
	ds_store_b32 v2, v26
.LBB67_54:
	s_or_b32 exec_lo, exec_lo, s0
	v_lshl_add_u32 v9, v20, 2, v8
	s_mov_b32 s0, exec_lo
	s_wait_dscnt 0x0
	s_barrier_signal -1
	s_barrier_wait -1
	v_cmpx_gt_u32_e32 64, v0
	s_cbranch_execz .LBB67_58
; %bb.55:
	v_lshl_or_b32 v4, v0, 2, 0x80
	ds_load_2addr_stride64_b32 v[2:3], v9 offset1:1
	s_mov_b32 s1, exec_lo
	v_add_nc_u32_e32 v4, v8, v4
	ds_load_b32 v5, v4
	s_wait_dscnt 0x1
	v_mov_b32_e32 v4, v2
	v_cmpx_gt_u32_e32 0x70, v1
	s_cbranch_execz .LBB67_57
; %bb.56:
	v_lshl_add_u32 v2, v1, 2, v8
	ds_load_b32 v2, v2
	s_wait_dscnt 0x0
	v_add_f32_e32 v26, v26, v2
.LBB67_57:
	s_or_b32 exec_lo, exec_lo, s1
	s_wait_dscnt 0x0
	v_pk_add_f32 v[6:7], v[6:7], v[4:5]
	v_add_f32_e32 v27, v27, v3
.LBB67_58:
	s_or_b32 exec_lo, exec_lo, s0
	v_and_b32_e32 v2, 0x3e0, v0
	s_mov_b32 s0, exec_lo
	s_barrier_signal -1
	s_barrier_wait -1
	s_delay_alu instid0(VALU_DEP_1)
	v_cmpx_eq_u32_e32 32, v2
	s_cbranch_execz .LBB67_61
; %bb.59:
	v_lshl_add_u32 v2, v20, 2, 0x100
	v_cmp_gt_u32_e32 vcc_lo, 0x70, v1
	ds_store_b32 v2, v6
	ds_store_b32 v21, v7
	ds_store_b32 v2, v27 offset:256
	s_and_b32 exec_lo, exec_lo, vcc_lo
; %bb.60:
	v_lshl_add_u32 v2, v1, 2, 0x100
	ds_store_b32 v2, v26
.LBB67_61:
	s_or_b32 exec_lo, exec_lo, s0
	v_cmp_gt_u32_e32 vcc_lo, 32, v0
	s_wait_dscnt 0x0
	s_barrier_signal -1
	s_barrier_wait -1
	s_and_saveexec_b32 s1, vcc_lo
	s_cbranch_execz .LBB67_65
; %bb.62:
	v_lshl_add_u32 v8, v0, 2, v8
	s_mov_b32 s2, exec_lo
	ds_load_2addr_b32 v[2:3], v8 offset0:32 offset1:64
	ds_load_b32 v4, v9
	s_wait_dscnt 0x1
	v_mov_b32_e32 v5, v2
	v_cmpx_gt_u32_e32 0x70, v1
	s_cbranch_execz .LBB67_64
; %bb.63:
	ds_load_b32 v2, v8 offset:384
	s_wait_dscnt 0x0
	v_add_f32_e32 v26, v26, v2
.LBB67_64:
	s_or_b32 exec_lo, exec_lo, s2
	s_wait_dscnt 0x0
	v_pk_add_f32 v[6:7], v[6:7], v[4:5]
	v_add_f32_e32 v27, v27, v3
.LBB67_65:
	s_or_b32 exec_lo, exec_lo, s1
	s_barrier_signal -1
	s_barrier_wait -1
	s_and_saveexec_b32 s0, vcc_lo
	s_cbranch_execz .LBB67_68
; %bb.66:
	s_wait_kmcnt 0x0
	s_mul_i32 s1, s20, s9
	s_bfe_u32 s5, ttmp6, 0x40014
	s_mul_i32 s1, s1, s19
	s_mul_i32 s0, s9, s8
	;; [unrolled: 1-line block ×3, first 2 shown]
	s_lshr_b32 s4, ttmp7, 16
	s_ashr_i32 s3, s2, 31
	s_add_co_i32 s5, s5, 1
	s_lshl_b64 s[2:3], s[2:3], 1
	s_ashr_i32 s1, s0, 31
	s_add_nc_u64 s[2:3], s[6:7], s[2:3]
	s_mul_i32 s5, s4, s5
	s_bfe_u32 s6, ttmp6, 0x40008
	s_lshl_b64 s[0:1], s[0:1], 1
	s_add_co_i32 s6, s6, s5
	s_cmp_eq_u32 s18, 0
	s_add_nc_u64 s[0:1], s[2:3], s[0:1]
	s_cselect_b32 s2, s4, s6
	s_mov_b32 s3, 0
	s_mulk_i32 s2, 0xe0
	v_cmp_gt_u32_e32 vcc_lo, 0x70, v1
	s_add_nc_u64 s[0:1], s[0:1], s[2:3]
	;;#ASMSTART
	v_cvt_f16_f32 v2, v6;

	;;#ASMEND
	global_store_b16 v0, v2, s[0:1] scale_offset
	;;#ASMSTART
	v_cvt_f16_f32 v1, v7;

	;;#ASMEND
	global_store_b16 v0, v1, s[0:1] offset:64 scale_offset
	s_wait_xcnt 0x0
	;;#ASMSTART
	v_cvt_f16_f32 v1, v27;

	;;#ASMEND
	global_store_b16 v0, v1, s[0:1] offset:128 scale_offset
	s_wait_xcnt 0x0
	s_and_b32 exec_lo, exec_lo, vcc_lo
	s_cbranch_execz .LBB67_68
; %bb.67:
	v_dual_mov_b32 v1, 0 :: v_dual_lshlrev_b32 v0, 1, v0
	;;#ASMSTART
	v_cvt_f16_f32 v2, v26;

	;;#ASMEND
	s_delay_alu instid0(VALU_DEP_1)
	v_add_nc_u64_e32 v[0:1], s[0:1], v[0:1]
	global_store_b16 v[0:1], v2, off offset:192
.LBB67_68:
	s_sendmsg sendmsg(MSG_DEALLOC_VGPRS)
	s_endpgm
	.section	.rodata,"a",@progbits
	.p2align	6, 0x0
	.amdhsa_kernel _ZN4vllm25paged_attention_v1_kernelIttLi112ELi8ELi128ELNS_18Fp8KVCacheDataTypeE0ELb0EEEvPT_PKS2_PKT0_S8_ifPKiSA_iPKfiiiSC_SC_iiiii
		.amdhsa_group_segment_fixed_size 256
		.amdhsa_private_segment_fixed_size 0
		.amdhsa_kernarg_size 384
		.amdhsa_user_sgpr_count 2
		.amdhsa_user_sgpr_dispatch_ptr 0
		.amdhsa_user_sgpr_queue_ptr 0
		.amdhsa_user_sgpr_kernarg_segment_ptr 1
		.amdhsa_user_sgpr_dispatch_id 0
		.amdhsa_user_sgpr_kernarg_preload_length 0
		.amdhsa_user_sgpr_kernarg_preload_offset 0
		.amdhsa_user_sgpr_private_segment_size 0
		.amdhsa_wavefront_size32 1
		.amdhsa_uses_dynamic_stack 0
		.amdhsa_enable_private_segment 0
		.amdhsa_system_sgpr_workgroup_id_x 1
		.amdhsa_system_sgpr_workgroup_id_y 1
		.amdhsa_system_sgpr_workgroup_id_z 1
		.amdhsa_system_sgpr_workgroup_info 0
		.amdhsa_system_vgpr_workitem_id 0
		.amdhsa_next_free_vgpr 65
		.amdhsa_next_free_sgpr 30
		.amdhsa_named_barrier_count 0
		.amdhsa_reserve_vcc 1
		.amdhsa_float_round_mode_32 0
		.amdhsa_float_round_mode_16_64 0
		.amdhsa_float_denorm_mode_32 3
		.amdhsa_float_denorm_mode_16_64 3
		.amdhsa_fp16_overflow 0
		.amdhsa_memory_ordered 1
		.amdhsa_forward_progress 1
		.amdhsa_inst_pref_size 47
		.amdhsa_round_robin_scheduling 0
		.amdhsa_exception_fp_ieee_invalid_op 0
		.amdhsa_exception_fp_denorm_src 0
		.amdhsa_exception_fp_ieee_div_zero 0
		.amdhsa_exception_fp_ieee_overflow 0
		.amdhsa_exception_fp_ieee_underflow 0
		.amdhsa_exception_fp_ieee_inexact 0
		.amdhsa_exception_int_div_zero 0
	.end_amdhsa_kernel
	.section	.text._ZN4vllm25paged_attention_v1_kernelIttLi112ELi8ELi128ELNS_18Fp8KVCacheDataTypeE0ELb0EEEvPT_PKS2_PKT0_S8_ifPKiSA_iPKfiiiSC_SC_iiiii,"axG",@progbits,_ZN4vllm25paged_attention_v1_kernelIttLi112ELi8ELi128ELNS_18Fp8KVCacheDataTypeE0ELb0EEEvPT_PKS2_PKT0_S8_ifPKiSA_iPKfiiiSC_SC_iiiii,comdat
.Lfunc_end67:
	.size	_ZN4vllm25paged_attention_v1_kernelIttLi112ELi8ELi128ELNS_18Fp8KVCacheDataTypeE0ELb0EEEvPT_PKS2_PKT0_S8_ifPKiSA_iPKfiiiSC_SC_iiiii, .Lfunc_end67-_ZN4vllm25paged_attention_v1_kernelIttLi112ELi8ELi128ELNS_18Fp8KVCacheDataTypeE0ELb0EEEvPT_PKS2_PKT0_S8_ifPKiSA_iPKfiiiSC_SC_iiiii
                                        ; -- End function
	.set _ZN4vllm25paged_attention_v1_kernelIttLi112ELi8ELi128ELNS_18Fp8KVCacheDataTypeE0ELb0EEEvPT_PKS2_PKT0_S8_ifPKiSA_iPKfiiiSC_SC_iiiii.num_vgpr, 65
	.set _ZN4vllm25paged_attention_v1_kernelIttLi112ELi8ELi128ELNS_18Fp8KVCacheDataTypeE0ELb0EEEvPT_PKS2_PKT0_S8_ifPKiSA_iPKfiiiSC_SC_iiiii.num_agpr, 0
	.set _ZN4vllm25paged_attention_v1_kernelIttLi112ELi8ELi128ELNS_18Fp8KVCacheDataTypeE0ELb0EEEvPT_PKS2_PKT0_S8_ifPKiSA_iPKfiiiSC_SC_iiiii.numbered_sgpr, 30
	.set _ZN4vllm25paged_attention_v1_kernelIttLi112ELi8ELi128ELNS_18Fp8KVCacheDataTypeE0ELb0EEEvPT_PKS2_PKT0_S8_ifPKiSA_iPKfiiiSC_SC_iiiii.num_named_barrier, 0
	.set _ZN4vllm25paged_attention_v1_kernelIttLi112ELi8ELi128ELNS_18Fp8KVCacheDataTypeE0ELb0EEEvPT_PKS2_PKT0_S8_ifPKiSA_iPKfiiiSC_SC_iiiii.private_seg_size, 0
	.set _ZN4vllm25paged_attention_v1_kernelIttLi112ELi8ELi128ELNS_18Fp8KVCacheDataTypeE0ELb0EEEvPT_PKS2_PKT0_S8_ifPKiSA_iPKfiiiSC_SC_iiiii.uses_vcc, 1
	.set _ZN4vllm25paged_attention_v1_kernelIttLi112ELi8ELi128ELNS_18Fp8KVCacheDataTypeE0ELb0EEEvPT_PKS2_PKT0_S8_ifPKiSA_iPKfiiiSC_SC_iiiii.uses_flat_scratch, 0
	.set _ZN4vllm25paged_attention_v1_kernelIttLi112ELi8ELi128ELNS_18Fp8KVCacheDataTypeE0ELb0EEEvPT_PKS2_PKT0_S8_ifPKiSA_iPKfiiiSC_SC_iiiii.has_dyn_sized_stack, 0
	.set _ZN4vllm25paged_attention_v1_kernelIttLi112ELi8ELi128ELNS_18Fp8KVCacheDataTypeE0ELb0EEEvPT_PKS2_PKT0_S8_ifPKiSA_iPKfiiiSC_SC_iiiii.has_recursion, 0
	.set _ZN4vllm25paged_attention_v1_kernelIttLi112ELi8ELi128ELNS_18Fp8KVCacheDataTypeE0ELb0EEEvPT_PKS2_PKT0_S8_ifPKiSA_iPKfiiiSC_SC_iiiii.has_indirect_call, 0
	.section	.AMDGPU.csdata,"",@progbits
; Kernel info:
; codeLenInByte = 5944
; TotalNumSgprs: 32
; NumVgprs: 65
; ScratchSize: 0
; MemoryBound: 0
; FloatMode: 240
; IeeeMode: 1
; LDSByteSize: 256 bytes/workgroup (compile time only)
; SGPRBlocks: 0
; VGPRBlocks: 4
; NumSGPRsForWavesPerEU: 32
; NumVGPRsForWavesPerEU: 65
; NamedBarCnt: 0
; Occupancy: 12
; WaveLimiterHint : 1
; COMPUTE_PGM_RSRC2:SCRATCH_EN: 0
; COMPUTE_PGM_RSRC2:USER_SGPR: 2
; COMPUTE_PGM_RSRC2:TRAP_HANDLER: 0
; COMPUTE_PGM_RSRC2:TGID_X_EN: 1
; COMPUTE_PGM_RSRC2:TGID_Y_EN: 1
; COMPUTE_PGM_RSRC2:TGID_Z_EN: 1
; COMPUTE_PGM_RSRC2:TIDIG_COMP_CNT: 0
	.section	.text._ZN4vllm25paged_attention_v1_kernelIttLi120ELi8ELi128ELNS_18Fp8KVCacheDataTypeE0ELb0EEEvPT_PKS2_PKT0_S8_ifPKiSA_iPKfiiiSC_SC_iiiii,"axG",@progbits,_ZN4vllm25paged_attention_v1_kernelIttLi120ELi8ELi128ELNS_18Fp8KVCacheDataTypeE0ELb0EEEvPT_PKS2_PKT0_S8_ifPKiSA_iPKfiiiSC_SC_iiiii,comdat
	.protected	_ZN4vllm25paged_attention_v1_kernelIttLi120ELi8ELi128ELNS_18Fp8KVCacheDataTypeE0ELb0EEEvPT_PKS2_PKT0_S8_ifPKiSA_iPKfiiiSC_SC_iiiii ; -- Begin function _ZN4vllm25paged_attention_v1_kernelIttLi120ELi8ELi128ELNS_18Fp8KVCacheDataTypeE0ELb0EEEvPT_PKS2_PKT0_S8_ifPKiSA_iPKfiiiSC_SC_iiiii
	.globl	_ZN4vllm25paged_attention_v1_kernelIttLi120ELi8ELi128ELNS_18Fp8KVCacheDataTypeE0ELb0EEEvPT_PKS2_PKT0_S8_ifPKiSA_iPKfiiiSC_SC_iiiii
	.p2align	8
	.type	_ZN4vllm25paged_attention_v1_kernelIttLi120ELi8ELi128ELNS_18Fp8KVCacheDataTypeE0ELb0EEEvPT_PKS2_PKT0_S8_ifPKiSA_iPKfiiiSC_SC_iiiii,@function
_ZN4vllm25paged_attention_v1_kernelIttLi120ELi8ELi128ELNS_18Fp8KVCacheDataTypeE0ELb0EEEvPT_PKS2_PKT0_S8_ifPKiSA_iPKfiiiSC_SC_iiiii: ; @_ZN4vllm25paged_attention_v1_kernelIttLi120ELi8ELi128ELNS_18Fp8KVCacheDataTypeE0ELb0EEEvPT_PKS2_PKT0_S8_ifPKiSA_iPKfiiiSC_SC_iiiii
; %bb.0:
	s_load_b64 s[6:7], s[0:1], 0x20
	s_bfe_u32 s3, ttmp6, 0x4000c
	s_bfe_u32 s5, ttmp6, 0x40010
	s_and_b32 s4, ttmp7, 0xffff
	s_add_co_i32 s3, s3, 1
	s_add_co_i32 s5, s5, 1
	s_and_b32 s2, ttmp6, 15
	s_bfe_u32 s8, ttmp6, 0x40004
	s_mul_i32 s3, ttmp9, s3
	s_mul_i32 s5, s4, s5
	s_getreg_b32 s18, hwreg(HW_REG_IB_STS2, 6, 4)
	s_add_co_i32 s2, s2, s3
	s_add_co_i32 s3, s8, s5
	s_cmp_eq_u32 s18, 0
	s_clause 0x1
	s_load_b32 s19, s[0:1], 0x80
	s_load_b64 s[8:9], s[0:1], 0x30
	s_cselect_b32 s20, s4, s3
	s_cselect_b32 s2, ttmp9, s2
	s_wait_kmcnt 0x0
	s_abs_i32 s3, s6
	s_delay_alu instid0(SALU_CYCLE_1) | instskip(SKIP_1) | instid1(SALU_CYCLE_2)
	s_cvt_f32_u32 s4, s3
	s_sub_co_i32 s5, 0, s3
	v_rcp_iflag_f32_e32 v1, s4
	s_abs_i32 s10, s19
	v_nop
	s_delay_alu instid0(TRANS32_DEP_1) | instskip(SKIP_1) | instid1(SALU_CYCLE_3)
	v_readfirstlane_b32 s4, v1
	s_mul_f32 s4, s4, 0x4f7ffffe
	s_cvt_u32_f32 s4, s4
	s_delay_alu instid0(SALU_CYCLE_3) | instskip(NEXT) | instid1(SALU_CYCLE_1)
	s_mul_i32 s5, s5, s4
	s_mul_hi_u32 s5, s4, s5
	s_delay_alu instid0(SALU_CYCLE_1) | instskip(SKIP_4) | instid1(SALU_CYCLE_1)
	s_add_co_i32 s4, s4, s5
	s_xor_b32 s5, s19, s6
	s_mul_hi_u32 s4, s10, s4
	s_ashr_i32 s5, s5, 31
	s_mul_i32 s6, s4, s3
	s_sub_co_i32 s6, s10, s6
	s_add_co_i32 s10, s4, 1
	s_sub_co_i32 s11, s6, s3
	s_cmp_ge_u32 s6, s3
	s_cselect_b32 s4, s10, s4
	s_cselect_b32 s6, s11, s6
	s_add_co_i32 s10, s4, 1
	s_cmp_ge_u32 s6, s3
	s_mov_b32 s11, 0
	s_cselect_b32 s3, s10, s4
	s_abs_i32 s10, s2
	s_xor_b32 s3, s3, s5
	s_mov_b32 s13, s11
	s_sub_co_i32 s15, s3, s5
	s_load_b64 s[4:5], s[0:1], 0x40
	s_abs_i32 s14, s15
	s_mov_b32 s23, s11
	s_cvt_f32_u32 s3, s14
	s_sub_co_i32 s6, 0, s14
	s_delay_alu instid0(SALU_CYCLE_2) | instskip(SKIP_1) | instid1(TRANS32_DEP_1)
	v_rcp_iflag_f32_e32 v1, s3
	v_nop
	v_readfirstlane_b32 s3, v1
	s_mul_f32 s3, s3, 0x4f7ffffe
	s_delay_alu instid0(SALU_CYCLE_3) | instskip(NEXT) | instid1(SALU_CYCLE_3)
	s_cvt_u32_f32 s3, s3
	s_mul_i32 s6, s6, s3
	s_delay_alu instid0(SALU_CYCLE_1) | instskip(NEXT) | instid1(SALU_CYCLE_1)
	s_mul_hi_u32 s6, s3, s6
	s_add_co_i32 s12, s3, s6
	s_wait_kmcnt 0x0
	s_cmp_eq_u64 s[4:5], 0
	s_cbranch_scc1 .LBB68_2
; %bb.1:
	s_ashr_i32 s3, s2, 31
	s_delay_alu instid0(SALU_CYCLE_1) | instskip(NEXT) | instid1(SALU_CYCLE_1)
	s_lshl_b64 s[16:17], s[2:3], 2
	s_add_nc_u64 s[4:5], s[4:5], s[16:17]
	s_load_b32 s23, s[4:5], 0x0
.LBB68_2:
	s_load_b32 s21, s[8:9], s20 offset:0x0 scale_offset
	s_wait_xcnt 0x0
	s_load_b96 s[4:6], s[0:1], 0x48
	v_and_b32_e32 v4, 3, v0
	s_ashr_i32 s3, s2, 31
	s_ashr_i32 s15, s15, 31
	s_mul_u64 s[12:13], s[10:11], s[12:13]
	s_mul_i32 s8, s2, 0x78
	s_mov_b32 s2, exec_lo
	v_cmpx_gt_u32_e32 60, v0
	s_cbranch_execz .LBB68_4
; %bb.3:
	s_load_b64 s[16:17], s[0:1], 0x8
	s_wait_kmcnt 0x0
	s_mul_i32 s24, s4, s20
	s_ashr_i32 s9, s8, 31
	s_ashr_i32 s25, s24, 31
	v_and_b32_e32 v2, 0x3fc, v0
	s_lshl_b64 s[24:25], s[24:25], 1
	s_delay_alu instid0(VALU_DEP_1) | instskip(SKIP_2) | instid1(SALU_CYCLE_1)
	v_mad_u32_u24 v2, v4, 60, v2
	s_add_nc_u64 s[16:17], s[16:17], s[24:25]
	s_lshl_b64 s[24:25], s[8:9], 1
	s_add_nc_u64 s[16:17], s[16:17], s[24:25]
	global_load_b32 v1, v0, s[16:17] scale_offset
	s_wait_loadcnt 0x0
	ds_store_b32 v2, v1
.LBB68_4:
	s_or_b32 exec_lo, exec_lo, s2
	s_wait_kmcnt 0x0
	s_add_co_i32 s2, s21, 7
	s_load_b32 s4, s[0:1], 0x38
	s_ashr_i32 s9, s2, 31
	s_mul_i32 s11, s13, s14
	s_lshr_b32 s9, s9, 29
	s_xor_b32 s3, s3, s15
	s_add_co_i32 s2, s2, s9
	s_sub_co_i32 s9, s10, s11
	s_ashr_i32 s22, s2, 3
	s_add_co_i32 s2, s13, 1
	s_sub_co_i32 s10, s9, s14
	s_cmp_ge_u32 s9, s14
	v_lshrrev_b32_e32 v19, 5, v0
	s_cselect_b32 s2, s2, s13
	s_cselect_b32 s9, s10, s9
	s_add_co_i32 s10, s2, 1
	s_cmp_ge_u32 s9, s14
	v_mbcnt_lo_u32_b32 v8, -1, 0
	s_cselect_b32 s2, s10, s2
	s_wait_dscnt 0x0
	s_xor_b32 s2, s2, s3
	s_wait_kmcnt 0x0
	s_mul_i32 s10, s4, s20
	s_sub_co_i32 s3, s2, s3
	v_cmp_gt_i32_e64 s2, s22, v19
	s_ashr_i32 s11, s10, 31
	s_mov_b32 s4, exec_lo
	s_barrier_signal -1
	s_barrier_wait -1
                                        ; implicit-def: $vgpr3
                                        ; implicit-def: $vgpr9
	v_cmpx_le_i32_e64 s22, v19
	s_xor_b32 s4, exec_lo, s4
; %bb.5:
	v_dual_mov_b32 v3, 0 :: v_dual_mov_b32 v9, 32
	v_mbcnt_lo_u32_b32 v8, -1, 0
                                        ; implicit-def: $vgpr4
; %bb.6:
	s_or_saveexec_b32 s24, s4
	s_clause 0x1
	s_load_b64 s[12:13], s[0:1], 0x28
	s_load_b32 s9, s[0:1], 0x88
	v_dual_mov_b32 v10, 0xff7fffff :: v_dual_lshrrev_b32 v1, 3, v0
	s_mul_i32 s14, s3, s6
	s_xor_b32 exec_lo, exec_lo, s24
	s_cbranch_execz .LBB68_12
; %bb.7:
	s_load_b64 s[26:27], s[0:1], 0x10
	v_bfe_u32 v6, v0, 2, 3
	s_ashr_i32 s15, s14, 31
	v_dual_mov_b32 v3, 0 :: v_dual_lshlrev_b32 v7, 2, v0
	s_lshl_b64 s[28:29], s[14:15], 1
	s_delay_alu instid0(VALU_DEP_2)
	v_dual_lshlrev_b32 v2, 4, v6 :: v_dual_lshlrev_b32 v12, 2, v6
	v_mul_u32_u24_e32 v11, 60, v4
	v_cmp_eq_u32_e32 vcc_lo, 0, v4
	s_ashr_i32 s17, s5, 31
	s_cmp_neq_f32 s23, 0
	v_dual_mov_b32 v10, 0xff7fffff :: v_dual_mov_b32 v15, v19
	v_xor_b32_e32 v14, 1, v8
	s_cselect_b32 s3, -1, 0
	s_mov_b32 s16, s5
	s_mov_b32 s6, 0
	s_sub_co_i32 s15, 1, s21
	v_mov_b32_e32 v9, 32
	s_wait_kmcnt 0x0
	s_add_nc_u64 s[26:27], s[26:27], s[28:29]
	s_delay_alu instid0(SALU_CYCLE_1)
	v_add_nc_u64_e32 v[4:5], s[26:27], v[2:3]
	v_and_b32_e32 v2, 12, v7
	v_lshl_or_b32 v7, v19, 5, v12
	s_lshl_b64 s[26:27], s[10:11], 2
	v_lshl_or_b32 v12, v19, 3, v6
	s_add_nc_u64 s[26:27], s[12:13], s[26:27]
	s_delay_alu instid0(VALU_DEP_2) | instskip(SKIP_2) | instid1(VALU_DEP_1)
	v_add_nc_u32_e32 v13, 0x110, v7
	v_add_nc_u64_e32 v[4:5], v[4:5], v[2:3]
	v_and_b32_e32 v2, 0x7c, v1
	v_add_nc_u64_e32 v[6:7], s[26:27], v[2:3]
	v_xor_b32_e32 v2, 2, v8
	s_branch .LBB68_9
.LBB68_8:                               ;   in Loop: Header=BB68_9 Depth=1
	s_or_b32 exec_lo, exec_lo, s25
	v_dual_add_nc_u32 v15, 4, v15 :: v_dual_add_nc_u32 v12, 32, v12
	v_add_nc_u64_e32 v[6:7], 16, v[6:7]
	v_add_nc_u32_e32 v13, 0x80, v13
	s_delay_alu instid0(VALU_DEP_3) | instskip(SKIP_1) | instid1(SALU_CYCLE_1)
	v_cmp_le_i32_e64 s4, s22, v15
	s_or_b32 s6, s4, s6
	s_and_not1_b32 exec_lo, exec_lo, s6
	s_cbranch_execz .LBB68_11
.LBB68_9:                               ; =>This Inner Loop Header: Depth=1
	global_load_b32 v16, v[6:7], off
	v_cmp_gt_i32_e64 s4, 32, v2
	s_wait_loadcnt_dscnt 0x0
	v_ashrrev_i32_e32 v17, 31, v16
	s_delay_alu instid0(VALU_DEP_1) | instskip(NEXT) | instid1(VALU_DEP_1)
	v_mul_u64_e32 v[16:17], s[16:17], v[16:17]
	v_lshl_add_u64 v[20:21], v[16:17], 1, v[4:5]
	s_clause 0xa
	global_load_b32 v16, v[20:21], off
	global_load_b32 v22, v[20:21], off offset:128
	global_load_b32 v23, v[20:21], off offset:256
	;; [unrolled: 1-line block ×10, first 2 shown]
	ds_load_b32 v17, v11
	s_wait_dscnt 0x0
	v_lshrrev_b32_e32 v33, 16, v17
	v_and_b32_e32 v34, 0xffff, v17
	s_wait_loadcnt 0xa
	v_lshrrev_b32_e32 v35, 16, v16
	v_and_b32_e32 v36, 0xffff, v16
	s_clause 0x3
	global_load_b32 v32, v[20:21], off offset:1408
	global_load_b32 v18, v[20:21], off offset:1536
	;; [unrolled: 1-line block ×4, first 2 shown]
	;;#ASMSTART
	v_cvt_f32_f16 v34, v34;
	;;#ASMEND
	;;#ASMSTART
	v_cvt_f32_f16 v33, v33;
	;;#ASMEND
	;; [unrolled: 3-line block ×4, first 2 shown]
	s_wait_xcnt 0x0
	ds_load_b32 v20, v11 offset:4
	s_wait_loadcnt 0xd
	v_and_b32_e32 v37, 0xffff, v22
	v_lshrrev_b32_e32 v22, 16, v22
	s_wait_loadcnt 0xc
	v_and_b32_e32 v40, 0xffff, v23
	v_lshrrev_b32_e32 v23, 16, v23
	;; [unrolled: 3-line block ×4, first 2 shown]
	s_wait_loadcnt 0x9
	v_and_b32_e32 v49, 0xffff, v26
	s_wait_loadcnt 0x8
	v_and_b32_e32 v52, 0xffff, v27
	;; [unrolled: 2-line block ×3, first 2 shown]
	v_and_b32_e32 v55, 0xffff, v28
	v_lshrrev_b32_e32 v28, 16, v28
	s_wait_loadcnt 0x5
	v_and_b32_e32 v61, 0xffff, v30
	s_wait_loadcnt 0x4
	v_and_b32_e32 v64, 0xffff, v31
	v_dual_lshrrev_b32 v31, 16, v31 :: v_dual_lshrrev_b32 v26, 16, v26
	v_dual_lshrrev_b32 v27, 16, v27 :: v_dual_lshrrev_b32 v29, 16, v29
	s_wait_dscnt 0x0
	v_and_b32_e32 v21, 0xffff, v20
	v_lshrrev_b32_e32 v20, 16, v20
	;;#ASMSTART
	v_cvt_f32_f16 v21, v21;
	;;#ASMEND
	;;#ASMSTART
	v_cvt_f32_f16 v38, v20;
	;;#ASMEND
	;; [unrolled: 3-line block ×4, first 2 shown]
	ds_load_b32 v20, v11 offset:8
	v_dual_mul_f32 v21, v21, v37 :: v_dual_lshrrev_b32 v30, 16, v30
	v_mul_f32_e32 v22, v38, v22
	s_delay_alu instid0(VALU_DEP_1)
	v_fmac_f32_e32 v22, v33, v35
	s_wait_dscnt 0x0
	v_and_b32_e32 v39, 0xffff, v20
	v_lshrrev_b32_e32 v20, 16, v20
	;;#ASMSTART
	v_cvt_f32_f16 v39, v39;
	;;#ASMEND
	;;#ASMSTART
	v_cvt_f32_f16 v41, v20;
	;;#ASMEND
	;; [unrolled: 3-line block ×4, first 2 shown]
	ds_load_b32 v20, v11 offset:12
	v_fmac_f32_e32 v22, v41, v23
	s_wait_dscnt 0x0
	v_and_b32_e32 v42, 0xffff, v20
	v_lshrrev_b32_e32 v20, 16, v20
	;;#ASMSTART
	v_cvt_f32_f16 v42, v42;
	;;#ASMEND
	;;#ASMSTART
	v_cvt_f32_f16 v44, v20;
	;;#ASMEND
	;; [unrolled: 3-line block ×4, first 2 shown]
	ds_load_b32 v20, v11 offset:16
	s_wait_dscnt 0x0
	v_and_b32_e32 v45, 0xffff, v20
	v_lshrrev_b32_e32 v20, 16, v20
	;;#ASMSTART
	v_cvt_f32_f16 v45, v45;
	;;#ASMEND
	;;#ASMSTART
	v_cvt_f32_f16 v47, v20;
	;;#ASMEND
	;; [unrolled: 3-line block ×4, first 2 shown]
	ds_load_b32 v20, v11 offset:20
	v_fmac_f32_e32 v22, v44, v24
	s_delay_alu instid0(VALU_DEP_1)
	v_dual_fmac_f32 v21, v34, v36 :: v_dual_fmac_f32 v22, v47, v25
	s_wait_dscnt 0x0
	v_and_b32_e32 v48, 0xffff, v20
	v_lshrrev_b32_e32 v20, 16, v20
	;;#ASMSTART
	v_cvt_f32_f16 v48, v48;
	;;#ASMEND
	;;#ASMSTART
	v_cvt_f32_f16 v50, v20;
	;;#ASMEND
	;; [unrolled: 3-line block ×4, first 2 shown]
	ds_load_b32 v20, v11 offset:24
	v_dual_fmac_f32 v21, v39, v40 :: v_dual_fmac_f32 v22, v50, v26
	s_delay_alu instid0(VALU_DEP_1) | instskip(NEXT) | instid1(VALU_DEP_1)
	v_fmac_f32_e32 v21, v42, v43
	v_fmac_f32_e32 v21, v45, v46
	s_wait_dscnt 0x0
	v_and_b32_e32 v51, 0xffff, v20
	v_lshrrev_b32_e32 v20, 16, v20
	;;#ASMSTART
	v_cvt_f32_f16 v51, v51;
	;;#ASMEND
	;;#ASMSTART
	v_cvt_f32_f16 v53, v20;
	;;#ASMEND
	;; [unrolled: 3-line block ×4, first 2 shown]
	ds_load_b32 v20, v11 offset:28
	v_dual_fmac_f32 v21, v48, v49 :: v_dual_fmac_f32 v22, v53, v27
	s_delay_alu instid0(VALU_DEP_1)
	v_fmac_f32_e32 v21, v51, v52
	s_wait_dscnt 0x0
	v_and_b32_e32 v54, 0xffff, v20
	v_lshrrev_b32_e32 v20, 16, v20
	;;#ASMSTART
	v_cvt_f32_f16 v54, v54;
	;;#ASMEND
	;;#ASMSTART
	v_cvt_f32_f16 v56, v20;
	;;#ASMEND
	;;#ASMSTART
	v_cvt_f32_f16 v55, v55;
	;;#ASMEND
	;;#ASMSTART
	v_cvt_f32_f16 v28, v28;
	;;#ASMEND
	ds_load_b32 v20, v11 offset:32
	v_fmac_f32_e32 v22, v56, v28
	s_wait_dscnt 0x0
	v_and_b32_e32 v57, 0xffff, v20
	v_lshrrev_b32_e32 v20, 16, v20
	;;#ASMSTART
	v_cvt_f32_f16 v57, v57;
	;;#ASMEND
	;;#ASMSTART
	v_cvt_f32_f16 v59, v20;
	;;#ASMEND
	;;#ASMSTART
	v_cvt_f32_f16 v58, v58;
	;;#ASMEND
	;;#ASMSTART
	v_cvt_f32_f16 v29, v29;
	;;#ASMEND
	ds_load_b32 v20, v11 offset:36
	;; [unrolled: 17-line block ×3, first 2 shown]
	s_wait_dscnt 0x0
	v_and_b32_e32 v63, 0xffff, v20
	v_lshrrev_b32_e32 v20, 16, v20
	;;#ASMSTART
	v_cvt_f32_f16 v63, v63;
	;;#ASMEND
	;;#ASMSTART
	v_cvt_f32_f16 v65, v20;
	;;#ASMEND
	;; [unrolled: 3-line block ×4, first 2 shown]
	ds_load_b32 v20, v11 offset:44
	v_fmac_f32_e32 v22, v62, v30
	s_delay_alu instid0(VALU_DEP_1)
	v_fmac_f32_e32 v22, v65, v31
	s_wait_dscnt 0x0
	v_and_b32_e32 v66, 0xffff, v20
	v_lshrrev_b32_e32 v20, 16, v20
	;;#ASMSTART
	v_cvt_f32_f16 v66, v66;
	;;#ASMEND
	s_wait_loadcnt 0x3
	v_and_b32_e32 v67, 0xffff, v32
	s_wait_loadcnt 0x2
	v_dual_lshrrev_b32 v32, 16, v32 :: v_dual_lshrrev_b32 v33, 16, v18
	;;#ASMSTART
	v_cvt_f32_f16 v68, v20;
	;;#ASMEND
	;;#ASMSTART
	v_cvt_f32_f16 v67, v67;
	;;#ASMEND
	;; [unrolled: 3-line block ×3, first 2 shown]
	ds_load_b32 v20, v11 offset:48
	v_and_b32_e32 v18, 0xffff, v18
	s_wait_loadcnt 0x1
	v_dual_lshrrev_b32 v25, 16, v17 :: v_dual_fmac_f32 v21, v54, v55
	v_and_b32_e32 v17, 0xffff, v17
	s_wait_loadcnt 0x0
	v_lshrrev_b32_e32 v29, 16, v16
	v_and_b32_e32 v16, 0xffff, v16
	s_wait_dscnt 0x0
	v_and_b32_e32 v23, 0xffff, v20
	v_lshrrev_b32_e32 v20, 16, v20
	;;#ASMSTART
	v_cvt_f32_f16 v23, v23;
	;;#ASMEND
	;;#ASMSTART
	v_cvt_f32_f16 v20, v20;
	;;#ASMEND
	;; [unrolled: 3-line block ×4, first 2 shown]
	ds_load_b32 v18, v11 offset:52
	s_wait_dscnt 0x0
	v_and_b32_e32 v26, 0xffff, v18
	v_lshrrev_b32_e32 v18, 16, v18
	;;#ASMSTART
	v_cvt_f32_f16 v26, v26;
	;;#ASMEND
	;;#ASMSTART
	v_cvt_f32_f16 v27, v18;
	;;#ASMEND
	v_cndmask_b32_e64 v18, v8, v2, s4
	v_dual_fmac_f32 v21, v57, v58 :: v_dual_fmac_f32 v22, v68, v32
	;;#ASMSTART
	v_cvt_f32_f16 v28, v17;
	;;#ASMEND
	;;#ASMSTART
	v_cvt_f32_f16 v25, v25;
	;;#ASMEND
	ds_load_b32 v17, v11 offset:56
	v_fmac_f32_e32 v21, v60, v61
	v_cmp_gt_i32_e64 s4, 32, v14
	s_delay_alu instid0(VALU_DEP_2) | instskip(NEXT) | instid1(VALU_DEP_1)
	v_dual_fmac_f32 v22, v20, v33 :: v_dual_fmac_f32 v21, v63, v64
	v_dual_fmac_f32 v22, v27, v25 :: v_dual_fmac_f32 v21, v66, v67
	s_delay_alu instid0(VALU_DEP_1) | instskip(SKIP_2) | instid1(VALU_DEP_2)
	v_fmac_f32_e32 v21, v23, v24
	s_wait_dscnt 0x0
	v_and_b32_e32 v20, 0xffff, v17
	v_dual_lshrrev_b32 v17, 16, v17 :: v_dual_fmac_f32 v21, v26, v28
	;;#ASMSTART
	v_cvt_f32_f16 v20, v20;
	;;#ASMEND
	;;#ASMSTART
	v_cvt_f32_f16 v17, v17;
	;;#ASMEND
	;; [unrolled: 3-line block ×4, first 2 shown]
	v_dual_fmac_f32 v21, v20, v16 :: v_dual_fmac_f32 v22, v17, v23
	v_lshlrev_b32_e32 v16, 2, v18
	s_delay_alu instid0(VALU_DEP_2) | instskip(SKIP_3) | instid1(VALU_DEP_1)
	v_add_f32_e32 v17, v21, v22
	ds_bpermute_b32 v16, v16, v17
	s_wait_dscnt 0x0
	v_dual_cndmask_b32 v18, v8, v14, s4 :: v_dual_add_f32 v16, v17, v16
	v_lshlrev_b32_e32 v17, 2, v18
	ds_bpermute_b32 v17, v17, v16
	s_and_saveexec_b32 s25, vcc_lo
	s_cbranch_execz .LBB68_8
; %bb.10:                               ;   in Loop: Header=BB68_9 Depth=1
	s_wait_dscnt 0x0
	v_dual_add_nc_u32 v18, s15, v12 :: v_dual_add_f32 v16, v16, v17
	v_cmp_gt_i32_e64 s4, s21, v12
	s_delay_alu instid0(VALU_DEP_2) | instskip(NEXT) | instid1(VALU_DEP_1)
	v_cvt_f32_i32_e32 v18, v18
	v_mul_f32_e32 v18, s23, v18
	s_delay_alu instid0(VALU_DEP_1) | instskip(NEXT) | instid1(VALU_DEP_1)
	v_cndmask_b32_e64 v17, 0, v18, s3
	v_dual_fmac_f32 v17, s7, v16 :: v_dual_max_num_f32 v18, v10, v10
	s_delay_alu instid0(VALU_DEP_1) | instskip(NEXT) | instid1(VALU_DEP_1)
	v_dual_max_num_f32 v16, v18, v17 :: v_dual_cndmask_b32 v17, 0, v17, s4
	v_cndmask_b32_e64 v10, v10, v16, s4
	ds_store_b32 v13, v17
	s_branch .LBB68_8
.LBB68_11:
	s_or_b32 exec_lo, exec_lo, s6
.LBB68_12:
	s_delay_alu instid0(SALU_CYCLE_1)
	s_or_b32 exec_lo, exec_lo, s24
	v_dual_max_num_f32 v6, v10, v10 :: v_dual_bitop2_b32 v2, 16, v8 bitop3:0x14
	s_clause 0x1
	s_load_b64 s[6:7], s[0:1], 0x0
	s_load_b64 s[16:17], s[0:1], 0x18
	v_and_b32_e32 v20, 31, v0
	v_xor_b32_e32 v5, 8, v8
	v_cmp_lt_i32_e32 vcc_lo, v2, v9
	v_cndmask_b32_e32 v2, v8, v2, vcc_lo
	s_delay_alu instid0(VALU_DEP_3) | instskip(NEXT) | instid1(VALU_DEP_2)
	v_cmp_lt_i32_e32 vcc_lo, v5, v9
	v_dual_cndmask_b32 v5, v8, v5 :: v_dual_lshlrev_b32 v2, 2, v2
	ds_bpermute_b32 v4, v2, v10
	s_wait_dscnt 0x0
	v_dual_max_num_f32 v7, v4, v4 :: v_dual_lshlrev_b32 v4, 2, v5
	s_delay_alu instid0(VALU_DEP_1) | instskip(SKIP_4) | instid1(VALU_DEP_1)
	v_dual_max_num_f32 v5, v6, v7 :: v_dual_bitop2_b32 v7, 4, v8 bitop3:0x14
	ds_bpermute_b32 v6, v4, v5
	v_cmp_lt_i32_e32 vcc_lo, v7, v9
	v_cndmask_b32_e32 v7, v8, v7, vcc_lo
	s_wait_dscnt 0x0
	v_dual_max_num_f32 v6, v6, v6 :: v_dual_lshlrev_b32 v7, 2, v7
	s_delay_alu instid0(VALU_DEP_1)
	v_dual_max_num_f32 v6, v5, v6 :: v_dual_lshlrev_b32 v5, 2, v19
	v_cmp_eq_u32_e32 vcc_lo, 0, v20
	ds_bpermute_b32 v10, v7, v6
	s_wait_xcnt 0x0
	s_and_saveexec_b32 s0, vcc_lo
	s_cbranch_execz .LBB68_14
; %bb.13:
	s_wait_dscnt 0x0
	v_max_num_f32_e32 v10, v10, v10
	v_max_num_f32_e32 v6, v6, v6
	s_delay_alu instid0(VALU_DEP_1)
	v_max_num_f32_e32 v6, v6, v10
	ds_store_b32 v5, v6 offset:240
.LBB68_14:
	s_or_b32 exec_lo, exec_lo, s0
	v_cmp_gt_u32_e64 s0, 4, v20
	v_dual_mov_b32 v11, 0xff7fffff :: v_dual_lshlrev_b32 v6, 2, v20
	s_wait_dscnt 0x0
	s_barrier_signal -1
	s_barrier_wait -1
	s_and_saveexec_b32 s1, s0
; %bb.15:
	ds_load_b32 v11, v6 offset:240
; %bb.16:
	s_or_b32 exec_lo, exec_lo, s1
	v_xor_b32_e32 v10, 2, v8
	v_lshl_add_u32 v21, v0, 2, 0x110
	v_dual_lshlrev_b32 v3, 2, v3 :: v_dual_bitop2_b32 v13, 1, v8 bitop3:0x14
	s_delay_alu instid0(VALU_DEP_3) | instskip(NEXT) | instid1(VALU_DEP_1)
	v_cmp_lt_i32_e64 s1, v10, v9
	v_cndmask_b32_e64 v10, v8, v10, s1
	s_delay_alu instid0(VALU_DEP_3) | instskip(NEXT) | instid1(VALU_DEP_1)
	v_cmp_lt_i32_e64 s1, v13, v9
	v_dual_lshlrev_b32 v10, 2, v10 :: v_dual_cndmask_b32 v9, v8, v13, s1
	s_lshl_b32 s1, s22, 3
	s_delay_alu instid0(SALU_CYCLE_1)
	s_min_i32 s4, s1, s21
	s_wait_dscnt 0x0
	ds_bpermute_b32 v12, v10, v11
	v_dual_max_num_f32 v11, v11, v11 :: v_dual_lshlrev_b32 v9, 2, v9
	v_cmp_gt_i32_e64 s1, s4, v0
	s_wait_dscnt 0x0
	v_max_num_f32_e32 v12, v12, v12
	s_delay_alu instid0(VALU_DEP_1) | instskip(SKIP_3) | instid1(VALU_DEP_1)
	v_max_num_f32_e32 v11, v11, v12
	ds_bpermute_b32 v12, v9, v11
	s_wait_dscnt 0x0
	v_max_num_f32_e32 v12, v12, v12
	v_max_num_f32_e32 v11, v11, v12
	ds_bpermute_b32 v11, v3, v11
	v_mov_b32_e32 v3, 0
	s_and_saveexec_b32 s15, s1
	s_cbranch_execz .LBB68_20
; %bb.17:
	v_lshl_add_u32 v12, v0, 2, 0x110
	v_dual_mov_b32 v3, 0 :: v_dual_mov_b32 v13, v0
	s_mov_b32 s23, 0
.LBB68_18:                              ; =>This Inner Loop Header: Depth=1
	ds_load_b32 v14, v12
	v_add_nc_u32_e32 v13, 0x80, v13
	s_delay_alu instid0(VALU_DEP_1) | instskip(SKIP_3) | instid1(VALU_DEP_1)
	v_cmp_le_i32_e64 s3, s4, v13
	s_or_b32 s23, s3, s23
	s_wait_dscnt 0x0
	v_sub_f32_e32 v14, v14, v11
	v_mul_f32_e32 v14, 0x3fb8aa3b, v14
	s_delay_alu instid0(VALU_DEP_1)
	v_exp_f32_e32 v14, v14
	ds_store_b32 v12, v14
	v_nop
	v_dual_add_f32 v3, v3, v14 :: v_dual_add_nc_u32 v12, 0x200, v12
	s_and_not1_b32 exec_lo, exec_lo, s23
	s_cbranch_execnz .LBB68_18
; %bb.19:
	s_or_b32 exec_lo, exec_lo, s23
.LBB68_20:
	s_delay_alu instid0(SALU_CYCLE_1)
	s_or_b32 exec_lo, exec_lo, s15
	ds_bpermute_b32 v2, v2, v3
	s_wait_dscnt 0x0
	v_add_f32_e32 v2, v3, v2
	ds_bpermute_b32 v3, v4, v2
	s_wait_dscnt 0x0
	v_add_f32_e32 v2, v2, v3
	;; [unrolled: 3-line block ×5, first 2 shown]
	s_and_saveexec_b32 s3, vcc_lo
; %bb.21:
	ds_store_b32 v5, v2 offset:256
; %bb.22:
	s_or_b32 exec_lo, exec_lo, s3
	s_wait_dscnt 0x0
	s_barrier_signal -1
	s_barrier_wait -1
	s_and_saveexec_b32 s3, s0
; %bb.23:
	ds_load_b32 v2, v6 offset:256
; %bb.24:
	s_or_b32 exec_lo, exec_lo, s3
	s_wait_dscnt 0x0
	ds_bpermute_b32 v3, v10, v2
	s_wait_dscnt 0x0
	v_dual_lshlrev_b32 v4, 2, v8 :: v_dual_add_f32 v2, v2, v3
	ds_bpermute_b32 v3, v9, v2
	s_wait_dscnt 0x0
	v_add_f32_e32 v2, v2, v3
	v_and_b32_e32 v3, 0xffffff80, v4
	ds_bpermute_b32 v2, v3, v2
	s_and_saveexec_b32 s0, s1
	s_cbranch_execz .LBB68_37
; %bb.25:
	s_wait_dscnt 0x0
	v_add_f32_e32 v2, 0x358637bd, v2
	s_mov_b32 s3, -1
	s_mov_b32 s1, exec_lo
	s_delay_alu instid0(VALU_DEP_1) | instskip(NEXT) | instid1(VALU_DEP_1)
	v_div_scale_f32 v3, null, v2, v2, 1.0
	v_rcp_f32_e32 v5, v3
	v_nop
	s_delay_alu instid0(TRANS32_DEP_1) | instskip(NEXT) | instid1(VALU_DEP_1)
	v_fma_f32 v4, -v3, v5, 1.0
	v_fmac_f32_e32 v5, v4, v5
	v_div_scale_f32 v6, vcc_lo, 1.0, v2, 1.0
	s_delay_alu instid0(VALU_DEP_1) | instskip(NEXT) | instid1(VALU_DEP_1)
	v_mul_f32_e32 v7, v6, v5
	v_fma_f32 v4, -v3, v7, v6
	s_delay_alu instid0(VALU_DEP_1) | instskip(SKIP_1) | instid1(VALU_DEP_2)
	v_fmac_f32_e32 v7, v4, v5
	v_xad_u32 v4, v0, -1, s4
	v_fma_f32 v3, -v3, v7, v6
	s_delay_alu instid0(VALU_DEP_1) | instskip(NEXT) | instid1(VALU_DEP_1)
	v_div_fmas_f32 v3, v3, v5, v7
	v_div_fixup_f32 v2, v3, v2, 1.0
	v_mov_b32_e32 v3, v0
	v_cmpx_lt_u32_e32 0x7f, v4
	s_cbranch_execz .LBB68_34
; %bb.26:
	s_delay_alu instid0(VALU_DEP_3) | instskip(NEXT) | instid1(VALU_DEP_1)
	v_dual_mov_b32 v3, v2 :: v_dual_lshrrev_b32 v4, 7, v4
	v_dual_mov_b32 v8, 0 :: v_dual_add_nc_u32 v5, -1, v4
	s_delay_alu instid0(VALU_DEP_1) | instskip(SKIP_1) | instid1(VALU_DEP_2)
	v_lshrrev_b32_e32 v6, 1, v5
	v_cmp_lt_u32_e32 vcc_lo, 13, v5
	v_add_nc_u32_e32 v5, 1, v6
	s_and_saveexec_b32 s3, vcc_lo
	s_cbranch_execz .LBB68_30
; %bb.27:
	s_delay_alu instid0(VALU_DEP_1)
	v_dual_mov_b32 v7, v21 :: v_dual_bitop2_b32 v6, -8, v5 bitop3:0x40
	s_mov_b32 s15, 0
	s_mov_b32 s23, 0
.LBB68_28:                              ; =>This Inner Loop Header: Depth=1
	ds_load_2addr_stride64_b32 v[8:9], v7 offset1:2
	ds_load_2addr_stride64_b32 v[10:11], v7 offset0:4 offset1:6
	ds_load_2addr_stride64_b32 v[12:13], v7 offset0:8 offset1:10
	ds_load_2addr_stride64_b32 v[14:15], v7 offset0:12 offset1:14
	ds_load_2addr_stride64_b32 v[16:17], v7 offset0:16 offset1:18
	ds_load_2addr_stride64_b32 v[22:23], v7 offset0:20 offset1:22
	ds_load_2addr_stride64_b32 v[24:25], v7 offset0:24 offset1:26
	ds_load_2addr_stride64_b32 v[26:27], v7 offset0:28 offset1:30
	s_add_co_i32 s23, s23, 16
	v_add_nc_u32_e32 v6, -8, v6
	s_wait_dscnt 0x7
	v_pk_mul_f32 v[8:9], v[2:3], v[8:9]
	s_wait_dscnt 0x6
	v_pk_mul_f32 v[10:11], v[2:3], v[10:11]
	;; [unrolled: 2-line block ×8, first 2 shown]
	ds_store_2addr_stride64_b32 v7, v8, v9 offset1:2
	ds_store_2addr_stride64_b32 v7, v10, v11 offset0:4 offset1:6
	ds_store_2addr_stride64_b32 v7, v12, v13 offset0:8 offset1:10
	ds_store_2addr_stride64_b32 v7, v14, v15 offset0:12 offset1:14
	ds_store_2addr_stride64_b32 v7, v16, v17 offset0:16 offset1:18
	ds_store_2addr_stride64_b32 v7, v22, v23 offset0:20 offset1:22
	ds_store_2addr_stride64_b32 v7, v24, v25 offset0:24 offset1:26
	ds_store_2addr_stride64_b32 v7, v26, v27 offset0:28 offset1:30
	v_mov_b32_e32 v8, s23
	v_cmp_eq_u32_e32 vcc_lo, 0, v6
	v_add_nc_u32_e32 v7, 0x2000, v7
	s_or_b32 s15, vcc_lo, s15
	s_delay_alu instid0(SALU_CYCLE_1)
	s_and_not1_b32 exec_lo, exec_lo, s15
	s_cbranch_execnz .LBB68_28
; %bb.29:
	s_or_b32 exec_lo, exec_lo, s15
.LBB68_30:
	s_delay_alu instid0(SALU_CYCLE_1) | instskip(NEXT) | instid1(VALU_DEP_1)
	s_or_b32 exec_lo, exec_lo, s3
	v_and_b32_e32 v5, 7, v5
	s_mov_b32 s15, 0
	s_mov_b32 s3, exec_lo
	s_delay_alu instid0(VALU_DEP_1)
	v_cmpx_ne_u32_e32 0, v5
	s_cbranch_execz .LBB68_33
; %bb.31:
	v_lshlrev_b32_e32 v6, 9, v8
	v_lshlrev_b32_e32 v7, 2, v0
	s_delay_alu instid0(VALU_DEP_1)
	v_add3_u32 v6, v6, v7, 0x110
.LBB68_32:                              ; =>This Inner Loop Header: Depth=1
	ds_load_2addr_stride64_b32 v[8:9], v6 offset1:2
	v_add_nc_u32_e32 v5, -1, v5
	s_delay_alu instid0(VALU_DEP_1)
	v_cmp_eq_u32_e32 vcc_lo, 0, v5
	s_or_b32 s15, vcc_lo, s15
	s_wait_dscnt 0x0
	v_pk_mul_f32 v[8:9], v[2:3], v[8:9]
	ds_store_2addr_stride64_b32 v6, v8, v9 offset1:2
	v_add_nc_u32_e32 v6, 0x400, v6
	s_and_not1_b32 exec_lo, exec_lo, s15
	s_cbranch_execnz .LBB68_32
.LBB68_33:
	s_or_b32 exec_lo, exec_lo, s3
	v_add_nc_u32_e32 v3, 1, v4
	s_delay_alu instid0(VALU_DEP_1) | instskip(NEXT) | instid1(VALU_DEP_1)
	v_and_b32_e32 v4, 0x3fffffe, v3
	v_cmp_ne_u32_e32 vcc_lo, v3, v4
	v_lshl_add_u32 v3, v4, 7, v0
	s_or_not1_b32 s3, vcc_lo, exec_lo
.LBB68_34:
	s_or_b32 exec_lo, exec_lo, s1
	s_delay_alu instid0(SALU_CYCLE_1)
	s_and_b32 exec_lo, exec_lo, s3
	s_cbranch_execz .LBB68_37
; %bb.35:
	v_lshl_add_u32 v4, v3, 2, 0x110
	s_mov_b32 s1, 0
.LBB68_36:                              ; =>This Inner Loop Header: Depth=1
	ds_load_b32 v5, v4
	v_add_nc_u32_e32 v3, 0x80, v3
	s_delay_alu instid0(VALU_DEP_1)
	v_cmp_le_i32_e32 vcc_lo, s4, v3
	s_or_b32 s1, vcc_lo, s1
	s_wait_dscnt 0x0
	v_mul_f32_e32 v5, v2, v5
	ds_store_b32 v4, v5
	v_add_nc_u32_e32 v4, 0x200, v4
	s_and_not1_b32 exec_lo, exec_lo, s1
	s_cbranch_execnz .LBB68_36
.LBB68_37:
	s_or_b32 exec_lo, exec_lo, s0
	v_mov_b64_e32 v[6:7], 0
	v_dual_mov_b32 v27, 0 :: v_dual_mov_b32 v26, 0
	s_wait_dscnt 0x0
	s_barrier_signal -1
	s_barrier_wait -1
	s_and_saveexec_b32 s23, s2
	s_cbranch_execz .LBB68_51
; %bb.38:
	s_ashr_i32 s15, s14, 31
	v_or_b32_e32 v3, 0x60, v20
	s_lshl_b64 s[0:1], s[14:15], 1
	v_dual_mov_b32 v9, 0 :: v_dual_lshlrev_b32 v2, 3, v20
	v_and_b32_e32 v8, 0x7c, v1
	s_ashr_i32 s3, s5, 31
	s_mov_b32 s2, s5
	s_wait_kmcnt 0x0
	s_add_nc_u64 s[4:5], s[16:17], s[0:1]
	s_lshl_b64 s[0:1], s[10:11], 2
	v_dual_lshlrev_b32 v4, 3, v3 :: v_dual_lshlrev_b32 v12, 1, v2
	s_add_nc_u64 s[0:1], s[12:13], s[0:1]
	v_dual_mov_b32 v13, v9 :: v_dual_lshlrev_b32 v22, 3, v19
	v_add_nc_u64_e32 v[10:11], s[0:1], v[8:9]
	v_lshl_add_u32 v23, v19, 5, 0x110
	v_dual_lshlrev_b32 v8, 1, v4 :: v_dual_mov_b32 v26, v9
	v_dual_mov_b32 v27, v9 :: v_dual_mov_b32 v7, v9
	v_dual_mov_b32 v6, v9 :: v_dual_mov_b32 v24, v19
	s_add_co_i32 s10, s22, -1
	s_mov_b32 s12, s21
	s_mov_b32 s11, 0
	v_cmp_gt_u32_e32 vcc_lo, 0x78, v3
	s_branch .LBB68_41
.LBB68_39:                              ;   in Loop: Header=BB68_41 Depth=1
	s_or_b32 exec_lo, exec_lo, s13
	v_dual_lshlrev_b32 v14, 16, v14 :: v_dual_lshlrev_b32 v1, 16, v1
	s_delay_alu instid0(VALU_DEP_2) | instskip(NEXT) | instid1(VALU_DEP_2)
	v_lshlrev_b32_e32 v15, 16, v15
	v_and_or_b32 v2, 0xffff, v2, v14
	s_delay_alu instid0(VALU_DEP_3) | instskip(NEXT) | instid1(VALU_DEP_3)
	v_and_or_b32 v1, 0xffff, v3, v1
	v_and_or_b32 v3, 0xffff, v4, v15
	;;#ASMSTART
	v_pk_mul_f16 v2, v31, v2;

	;;#ASMEND
	;;#ASMSTART
	v_pk_mul_f16 v1, v30, v1;

	;;#ASMEND
	;; [unrolled: 4-line block ×4, first 2 shown]
	;;#ASMSTART
	v_pk_add_f16 v1, v2, v1;

	;;#ASMEND
	;;#ASMSTART
	v_pk_add_f16 v1, v1, v3;

	;;#ASMEND
	;; [unrolled: 4-line block ×3, first 2 shown]
	v_and_b32_e32 v2, 0xffff, v1
	v_lshrrev_b32_e32 v1, 16, v1
	;;#ASMSTART
	v_cvt_f32_f16 v2, v2;
	;;#ASMEND
	;;#ASMSTART
	v_cvt_f32_f16 v1, v1;
	;;#ASMEND
	s_delay_alu instid0(VALU_DEP_1) | instskip(NEXT) | instid1(VALU_DEP_1)
	v_add_f32_e32 v1, v2, v1
	v_add_f32_e32 v26, v26, v1
.LBB68_40:                              ;   in Loop: Header=BB68_41 Depth=1
	s_or_b32 exec_lo, exec_lo, s1
	v_dual_add_f32 v1, v16, v17 :: v_dual_add_nc_u32 v24, 4, v24
	v_dual_add_f32 v2, v18, v25 :: v_dual_add_nc_u32 v22, 32, v22
	v_add_f32_e32 v3, v28, v29
	v_add_nc_u64_e32 v[10:11], 16, v[10:11]
	s_delay_alu instid0(VALU_DEP_4) | instskip(NEXT) | instid1(VALU_DEP_4)
	v_cmp_le_i32_e64 s0, s22, v24
	v_add_f32_e32 v7, v7, v2
	s_delay_alu instid0(VALU_DEP_4) | instskip(SKIP_2) | instid1(SALU_CYCLE_1)
	v_dual_add_f32 v27, v27, v1 :: v_dual_add_f32 v6, v6, v3
	v_add_nc_u32_e32 v23, 0x80, v23
	s_or_b32 s11, s0, s11
	s_and_not1_b32 exec_lo, exec_lo, s11
	s_cbranch_execz .LBB68_50
.LBB68_41:                              ; =>This Inner Loop Header: Depth=1
	global_load_b32 v2, v[10:11], off
	v_cmp_eq_u32_e64 s0, s10, v24
	s_wait_loadcnt 0x0
	v_ashrrev_i32_e32 v3, 31, v2
	s_delay_alu instid0(VALU_DEP_1)
	v_mul_u64_e32 v[14:15], s[2:3], v[2:3]
	ds_load_2addr_b64 v[2:5], v23 offset1:1
	ds_load_2addr_b64 v[36:39], v23 offset0:2 offset1:3
	s_wait_dscnt 0x1
	;;#ASMSTART
	v_cvt_f16_f32 v31, v2;

	;;#ASMEND
	;;#ASMSTART
	v_cvt_f16_f32 v29, v3;

	;;#ASMEND
	;; [unrolled: 4-line block ×4, first 2 shown]
	s_wait_dscnt 0x0
	;;#ASMSTART
	v_cvt_f16_f32 v35, v36;

	;;#ASMEND
	;;#ASMSTART
	v_cvt_f16_f32 v32, v37;

	;;#ASMEND
	;; [unrolled: 4-line block ×4, first 2 shown]
	v_lshl_add_u64 v[14:15], v[14:15], 1, s[4:5]
	s_delay_alu instid0(VALU_DEP_1)
	v_add_nc_u64_e32 v[16:17], v[14:15], v[12:13]
	global_load_b128 v[2:5], v[16:17], off
	s_wait_loadcnt 0x0
	v_dual_lshrrev_b32 v1, 16, v3 :: v_dual_lshrrev_b32 v25, 16, v4
	v_lshrrev_b32_e32 v18, 16, v2
	s_and_saveexec_b32 s13, s0
	s_cbranch_execz .LBB68_43
; %bb.42:                               ;   in Loop: Header=BB68_41 Depth=1
	v_dual_add_nc_u32 v36, 2, v22 :: v_dual_bitop2_b32 v37, 3, v22 bitop3:0x54
	v_cmp_gt_i32_e64 s1, s21, v22
	v_dual_add_nc_u32 v39, 7, v22 :: v_dual_add_nc_u32 v40, 5, v22
	s_delay_alu instid0(VALU_DEP_2) | instskip(NEXT) | instid1(VALU_DEP_4)
	v_cndmask_b32_e64 v2, 0, v2, s1
	v_cmp_gt_i32_e64 s1, s21, v36
	s_delay_alu instid0(VALU_DEP_1) | instskip(SKIP_2) | instid1(VALU_DEP_2)
	v_dual_add_nc_u32 v36, 4, v22 :: v_dual_cndmask_b32 v3, 0, v3, s1
	v_cmp_gt_i32_e64 s1, s12, v37
	v_dual_add_nc_u32 v37, 6, v22 :: v_dual_bitop2_b32 v38, 1, v22 bitop3:0x54
	v_cndmask_b32_e64 v1, 0, v1, s1
	s_delay_alu instid0(VALU_DEP_2) | instskip(SKIP_2) | instid1(VALU_DEP_3)
	v_cmp_gt_i32_e64 s1, s21, v38
	v_and_b32_e32 v38, 0xffff, v5
	v_and_b32_e32 v5, 0xffff0000, v5
	v_cndmask_b32_e64 v18, 0, v18, s1
	v_cmp_gt_i32_e64 s1, s21, v37
	s_delay_alu instid0(VALU_DEP_1) | instskip(SKIP_1) | instid1(VALU_DEP_1)
	v_cndmask_b32_e64 v37, 0, v38, s1
	v_cmp_gt_i32_e64 s1, s21, v39
	v_cndmask_b32_e64 v5, 0, v5, s1
	v_cmp_gt_i32_e64 s1, s21, v36
	s_delay_alu instid0(VALU_DEP_1) | instskip(SKIP_1) | instid1(VALU_DEP_4)
	v_cndmask_b32_e64 v4, 0, v4, s1
	v_cmp_gt_i32_e64 s1, s21, v40
	v_or_b32_e32 v5, v37, v5
	s_delay_alu instid0(VALU_DEP_2)
	v_cndmask_b32_e64 v25, 0, v25, s1
.LBB68_43:                              ;   in Loop: Header=BB68_41 Depth=1
	s_or_b32 exec_lo, exec_lo, s13
	v_and_b32_e32 v31, 0xffff, v31
	v_dual_lshlrev_b32 v18, 16, v18 :: v_dual_lshlrev_b32 v1, 16, v1
	v_and_b32_e32 v34, 0xffff, v34
	v_lshlrev_b32_e32 v25, 16, v25
	v_and_b32_e32 v35, 0xffff, v35
	v_lshl_or_b32 v31, v29, 16, v31
	v_and_b32_e32 v29, 0xffff, v33
	v_and_or_b32 v2, 0xffff, v2, v18
	v_and_or_b32 v1, 0xffff, v3, v1
	v_lshl_or_b32 v30, v30, 16, v34
	v_and_or_b32 v3, 0xffff, v4, v25
	;;#ASMSTART
	v_pk_mul_f16 v2, v31, v2;

	;;#ASMEND
	;;#ASMSTART
	v_pk_mul_f16 v1, v30, v1;

	;;#ASMEND
	v_lshl_or_b32 v32, v32, 16, v35
	v_lshl_or_b32 v33, v28, 16, v29
	;;#ASMSTART
	v_pk_mul_f16 v3, v32, v3;

	;;#ASMEND
	;;#ASMSTART
	v_pk_mul_f16 v4, v33, v5;

	;;#ASMEND
	;;#ASMSTART
	v_pk_add_f16 v1, v2, v1;

	;;#ASMEND
	;;#ASMSTART
	v_pk_add_f16 v1, v1, v3;
	;; [unrolled: 4-line block ×3, first 2 shown]

	;;#ASMEND
	v_and_b32_e32 v2, 0xffff, v1
	v_lshrrev_b32_e32 v1, 16, v1
	;;#ASMSTART
	v_cvt_f32_f16 v28, v2;
	;;#ASMEND
	;;#ASMSTART
	v_cvt_f32_f16 v29, v1;
	;;#ASMEND
	global_load_b128 v[2:5], v[16:17], off offset:512
	s_wait_loadcnt 0x0
	v_dual_lshrrev_b32 v1, 16, v3 :: v_dual_lshrrev_b32 v18, 16, v2
	v_lshrrev_b32_e32 v25, 16, v4
	s_and_saveexec_b32 s13, s0
	s_cbranch_execz .LBB68_45
; %bb.44:                               ;   in Loop: Header=BB68_41 Depth=1
	v_dual_add_nc_u32 v34, 2, v22 :: v_dual_bitop2_b32 v35, 3, v22 bitop3:0x54
	v_cmp_gt_i32_e64 s1, s21, v22
	v_dual_add_nc_u32 v37, 7, v22 :: v_dual_add_nc_u32 v38, 5, v22
	s_delay_alu instid0(VALU_DEP_2) | instskip(NEXT) | instid1(VALU_DEP_4)
	v_cndmask_b32_e64 v2, 0, v2, s1
	v_cmp_gt_i32_e64 s1, s21, v34
	s_delay_alu instid0(VALU_DEP_1) | instskip(SKIP_2) | instid1(VALU_DEP_2)
	v_dual_add_nc_u32 v34, 4, v22 :: v_dual_cndmask_b32 v3, 0, v3, s1
	v_cmp_gt_i32_e64 s1, s12, v35
	v_dual_add_nc_u32 v35, 6, v22 :: v_dual_bitop2_b32 v36, 1, v22 bitop3:0x54
	v_cndmask_b32_e64 v1, 0, v1, s1
	s_delay_alu instid0(VALU_DEP_2) | instskip(SKIP_2) | instid1(VALU_DEP_3)
	v_cmp_gt_i32_e64 s1, s21, v36
	v_and_b32_e32 v36, 0xffff, v5
	v_and_b32_e32 v5, 0xffff0000, v5
	v_cndmask_b32_e64 v18, 0, v18, s1
	v_cmp_gt_i32_e64 s1, s21, v35
	s_delay_alu instid0(VALU_DEP_1) | instskip(SKIP_1) | instid1(VALU_DEP_1)
	v_cndmask_b32_e64 v35, 0, v36, s1
	v_cmp_gt_i32_e64 s1, s21, v37
	v_cndmask_b32_e64 v5, 0, v5, s1
	v_cmp_gt_i32_e64 s1, s21, v34
	s_delay_alu instid0(VALU_DEP_1) | instskip(SKIP_1) | instid1(VALU_DEP_4)
	v_cndmask_b32_e64 v4, 0, v4, s1
	v_cmp_gt_i32_e64 s1, s21, v38
	v_or_b32_e32 v5, v35, v5
	s_delay_alu instid0(VALU_DEP_2)
	v_cndmask_b32_e64 v25, 0, v25, s1
.LBB68_45:                              ;   in Loop: Header=BB68_41 Depth=1
	s_or_b32 exec_lo, exec_lo, s13
	v_dual_lshlrev_b32 v18, 16, v18 :: v_dual_lshlrev_b32 v1, 16, v1
	s_delay_alu instid0(VALU_DEP_2) | instskip(NEXT) | instid1(VALU_DEP_2)
	v_lshlrev_b32_e32 v25, 16, v25
	v_and_or_b32 v2, 0xffff, v2, v18
	s_delay_alu instid0(VALU_DEP_3) | instskip(NEXT) | instid1(VALU_DEP_3)
	v_and_or_b32 v1, 0xffff, v3, v1
	v_and_or_b32 v3, 0xffff, v4, v25
	;;#ASMSTART
	v_pk_mul_f16 v2, v31, v2;

	;;#ASMEND
	;;#ASMSTART
	v_pk_mul_f16 v1, v30, v1;

	;;#ASMEND
	;; [unrolled: 4-line block ×4, first 2 shown]
	;;#ASMSTART
	v_pk_add_f16 v1, v2, v1;

	;;#ASMEND
	;;#ASMSTART
	v_pk_add_f16 v1, v1, v3;

	;;#ASMEND
	;; [unrolled: 4-line block ×3, first 2 shown]
	v_and_b32_e32 v2, 0xffff, v1
	v_lshrrev_b32_e32 v1, 16, v1
	;;#ASMSTART
	v_cvt_f32_f16 v18, v2;
	;;#ASMEND
	;;#ASMSTART
	v_cvt_f32_f16 v25, v1;
	;;#ASMEND
	global_load_b128 v[2:5], v[16:17], off offset:1024
	s_wait_loadcnt 0x0
	v_dual_lshrrev_b32 v1, 16, v3 :: v_dual_lshrrev_b32 v16, 16, v2
	v_lshrrev_b32_e32 v17, 16, v4
	s_and_saveexec_b32 s13, s0
	s_cbranch_execz .LBB68_47
; %bb.46:                               ;   in Loop: Header=BB68_41 Depth=1
	v_dual_add_nc_u32 v34, 2, v22 :: v_dual_bitop2_b32 v35, 3, v22 bitop3:0x54
	v_cmp_gt_i32_e64 s1, s21, v22
	v_add_nc_u32_e32 v37, 7, v22
	s_delay_alu instid0(VALU_DEP_2) | instskip(NEXT) | instid1(VALU_DEP_4)
	v_cndmask_b32_e64 v2, 0, v2, s1
	v_cmp_gt_i32_e64 s1, s21, v34
	s_delay_alu instid0(VALU_DEP_1) | instskip(SKIP_2) | instid1(VALU_DEP_2)
	v_dual_add_nc_u32 v34, 4, v22 :: v_dual_cndmask_b32 v3, 0, v3, s1
	v_cmp_gt_i32_e64 s1, s12, v35
	v_dual_add_nc_u32 v35, 6, v22 :: v_dual_bitop2_b32 v36, 1, v22 bitop3:0x54
	v_cndmask_b32_e64 v1, 0, v1, s1
	s_delay_alu instid0(VALU_DEP_2) | instskip(SKIP_2) | instid1(VALU_DEP_3)
	v_cmp_gt_i32_e64 s1, s21, v36
	v_and_b32_e32 v36, 0xffff, v5
	v_and_b32_e32 v5, 0xffff0000, v5
	v_cndmask_b32_e64 v16, 0, v16, s1
	v_cmp_gt_i32_e64 s1, s21, v35
	s_delay_alu instid0(VALU_DEP_1) | instskip(SKIP_1) | instid1(VALU_DEP_1)
	v_dual_add_nc_u32 v38, 5, v22 :: v_dual_cndmask_b32 v35, 0, v36, s1
	v_cmp_gt_i32_e64 s1, s21, v37
	v_cndmask_b32_e64 v5, 0, v5, s1
	v_cmp_gt_i32_e64 s1, s21, v34
	s_delay_alu instid0(VALU_DEP_1) | instskip(SKIP_1) | instid1(VALU_DEP_4)
	v_cndmask_b32_e64 v4, 0, v4, s1
	v_cmp_gt_i32_e64 s1, s21, v38
	v_or_b32_e32 v5, v35, v5
	s_delay_alu instid0(VALU_DEP_2)
	v_cndmask_b32_e64 v17, 0, v17, s1
.LBB68_47:                              ;   in Loop: Header=BB68_41 Depth=1
	s_or_b32 exec_lo, exec_lo, s13
	v_dual_lshlrev_b32 v16, 16, v16 :: v_dual_lshlrev_b32 v1, 16, v1
	s_delay_alu instid0(VALU_DEP_2) | instskip(NEXT) | instid1(VALU_DEP_2)
	v_lshlrev_b32_e32 v17, 16, v17
	v_and_or_b32 v2, 0xffff, v2, v16
	s_delay_alu instid0(VALU_DEP_3) | instskip(NEXT) | instid1(VALU_DEP_3)
	v_and_or_b32 v1, 0xffff, v3, v1
	v_and_or_b32 v3, 0xffff, v4, v17
	;;#ASMSTART
	v_pk_mul_f16 v2, v31, v2;

	;;#ASMEND
	;;#ASMSTART
	v_pk_mul_f16 v1, v30, v1;

	;;#ASMEND
	;; [unrolled: 4-line block ×4, first 2 shown]
	;;#ASMSTART
	v_pk_add_f16 v1, v2, v1;

	;;#ASMEND
	;;#ASMSTART
	v_pk_add_f16 v1, v1, v3;

	;;#ASMEND
	;;#ASMSTART
	v_pk_add_f16 v1, v1, v4;

	;;#ASMEND
	v_and_b32_e32 v2, 0xffff, v1
	v_lshrrev_b32_e32 v1, 16, v1
	;;#ASMSTART
	v_cvt_f32_f16 v16, v2;
	;;#ASMEND
	;;#ASMSTART
	v_cvt_f32_f16 v17, v1;
	;;#ASMEND
	s_and_saveexec_b32 s1, vcc_lo
	s_cbranch_execz .LBB68_40
; %bb.48:                               ;   in Loop: Header=BB68_41 Depth=1
	v_add_nc_u64_e32 v[2:3], v[14:15], v[8:9]
	global_load_b128 v[2:5], v[2:3], off
	s_wait_loadcnt 0x0
	v_dual_lshrrev_b32 v1, 16, v3 :: v_dual_lshrrev_b32 v14, 16, v2
	v_lshrrev_b32_e32 v15, 16, v4
	s_and_saveexec_b32 s13, s0
	s_cbranch_execz .LBB68_39
; %bb.49:                               ;   in Loop: Header=BB68_41 Depth=1
	v_dual_add_nc_u32 v34, 2, v22 :: v_dual_bitop2_b32 v35, 3, v22 bitop3:0x54
	v_cmp_gt_i32_e64 s0, s21, v22
	v_dual_add_nc_u32 v37, 7, v22 :: v_dual_add_nc_u32 v38, 5, v22
	s_delay_alu instid0(VALU_DEP_2) | instskip(NEXT) | instid1(VALU_DEP_4)
	v_cndmask_b32_e64 v2, 0, v2, s0
	v_cmp_gt_i32_e64 s0, s21, v34
	s_delay_alu instid0(VALU_DEP_1) | instskip(SKIP_2) | instid1(VALU_DEP_2)
	v_dual_add_nc_u32 v34, 4, v22 :: v_dual_cndmask_b32 v3, 0, v3, s0
	v_cmp_gt_i32_e64 s0, s12, v35
	v_dual_add_nc_u32 v35, 6, v22 :: v_dual_bitop2_b32 v36, 1, v22 bitop3:0x54
	v_cndmask_b32_e64 v1, 0, v1, s0
	s_delay_alu instid0(VALU_DEP_2) | instskip(SKIP_2) | instid1(VALU_DEP_3)
	v_cmp_gt_i32_e64 s0, s21, v36
	v_and_b32_e32 v36, 0xffff, v5
	v_and_b32_e32 v5, 0xffff0000, v5
	v_cndmask_b32_e64 v14, 0, v14, s0
	v_cmp_gt_i32_e64 s0, s21, v35
	s_delay_alu instid0(VALU_DEP_1) | instskip(SKIP_1) | instid1(VALU_DEP_1)
	v_cndmask_b32_e64 v35, 0, v36, s0
	v_cmp_gt_i32_e64 s0, s21, v37
	v_cndmask_b32_e64 v5, 0, v5, s0
	v_cmp_gt_i32_e64 s0, s21, v34
	s_delay_alu instid0(VALU_DEP_1) | instskip(SKIP_1) | instid1(VALU_DEP_1)
	v_cndmask_b32_e64 v4, 0, v4, s0
	v_cmp_gt_i32_e64 s0, s21, v38
	v_dual_cndmask_b32 v15, 0, v15, s0 :: v_dual_bitop2_b32 v5, v35, v5 bitop3:0x54
	s_branch .LBB68_39
.LBB68_50:
	s_or_b32 exec_lo, exec_lo, s11
.LBB68_51:
	s_delay_alu instid0(SALU_CYCLE_1) | instskip(SKIP_2) | instid1(SALU_CYCLE_1)
	s_or_b32 exec_lo, exec_lo, s23
	v_and_b32_e32 v1, 0x3c0, v0
	s_movk_i32 s0, 0x1e0
	v_mad_u32_u24 v8, v19, s0, 0x110
	s_barrier_signal -1
	s_delay_alu instid0(VALU_DEP_2)
	v_cmp_eq_u32_e32 vcc_lo, 64, v1
	v_or_b32_e32 v1, 0x60, v0
	s_barrier_wait -1
	s_and_saveexec_b32 s0, vcc_lo
	s_cbranch_execz .LBB68_54
; %bb.52:
	v_add_nc_u32_e32 v2, 0xfffffc40, v8
	v_cmp_gt_u32_e32 vcc_lo, 0x78, v1
	s_delay_alu instid0(VALU_DEP_2)
	v_lshl_add_u32 v3, v20, 2, v2
	ds_store_2addr_b32 v3, v6, v7 offset1:32
	ds_store_b32 v3, v27 offset:256
	s_and_b32 exec_lo, exec_lo, vcc_lo
; %bb.53:
	v_lshl_add_u32 v2, v1, 2, v2
	ds_store_b32 v2, v26
.LBB68_54:
	s_or_b32 exec_lo, exec_lo, s0
	v_lshl_add_u32 v9, v20, 2, v8
	s_mov_b32 s0, exec_lo
	s_wait_dscnt 0x0
	s_barrier_signal -1
	s_barrier_wait -1
	v_cmpx_gt_u32_e32 64, v0
	s_cbranch_execz .LBB68_58
; %bb.55:
	v_lshl_or_b32 v4, v0, 2, 0x80
	ds_load_2addr_stride64_b32 v[2:3], v9 offset1:1
	s_mov_b32 s1, exec_lo
	v_add_nc_u32_e32 v4, v8, v4
	ds_load_b32 v5, v4
	s_wait_dscnt 0x1
	v_mov_b32_e32 v4, v2
	v_cmpx_gt_u32_e32 0x78, v1
	s_cbranch_execz .LBB68_57
; %bb.56:
	v_lshl_add_u32 v2, v1, 2, v8
	ds_load_b32 v2, v2
	s_wait_dscnt 0x0
	v_add_f32_e32 v26, v26, v2
.LBB68_57:
	s_or_b32 exec_lo, exec_lo, s1
	s_wait_dscnt 0x0
	v_pk_add_f32 v[6:7], v[6:7], v[4:5]
	v_add_f32_e32 v27, v27, v3
.LBB68_58:
	s_or_b32 exec_lo, exec_lo, s0
	v_and_b32_e32 v2, 0x3e0, v0
	s_mov_b32 s0, exec_lo
	s_barrier_signal -1
	s_barrier_wait -1
	s_delay_alu instid0(VALU_DEP_1)
	v_cmpx_eq_u32_e32 32, v2
	s_cbranch_execz .LBB68_61
; %bb.59:
	v_lshl_add_u32 v2, v20, 2, 0x110
	v_cmp_gt_u32_e32 vcc_lo, 0x78, v1
	ds_store_b32 v2, v6
	ds_store_b32 v21, v7
	ds_store_b32 v2, v27 offset:256
	s_and_b32 exec_lo, exec_lo, vcc_lo
; %bb.60:
	v_lshl_add_u32 v2, v1, 2, 0x110
	ds_store_b32 v2, v26
.LBB68_61:
	s_or_b32 exec_lo, exec_lo, s0
	v_cmp_gt_u32_e32 vcc_lo, 32, v0
	s_wait_dscnt 0x0
	s_barrier_signal -1
	s_barrier_wait -1
	s_and_saveexec_b32 s1, vcc_lo
	s_cbranch_execz .LBB68_65
; %bb.62:
	v_lshl_add_u32 v8, v0, 2, v8
	s_mov_b32 s2, exec_lo
	ds_load_2addr_b32 v[2:3], v8 offset0:32 offset1:64
	ds_load_b32 v4, v9
	s_wait_dscnt 0x1
	v_mov_b32_e32 v5, v2
	v_cmpx_gt_u32_e32 0x78, v1
	s_cbranch_execz .LBB68_64
; %bb.63:
	ds_load_b32 v2, v8 offset:384
	s_wait_dscnt 0x0
	v_add_f32_e32 v26, v26, v2
.LBB68_64:
	s_or_b32 exec_lo, exec_lo, s2
	s_wait_dscnt 0x0
	v_pk_add_f32 v[6:7], v[6:7], v[4:5]
	v_add_f32_e32 v27, v27, v3
.LBB68_65:
	s_or_b32 exec_lo, exec_lo, s1
	s_barrier_signal -1
	s_barrier_wait -1
	s_and_saveexec_b32 s0, vcc_lo
	s_cbranch_execz .LBB68_68
; %bb.66:
	s_wait_kmcnt 0x0
	s_mul_i32 s1, s20, s9
	s_bfe_u32 s5, ttmp6, 0x40014
	s_mul_i32 s1, s1, s19
	s_mul_i32 s0, s9, s8
	;; [unrolled: 1-line block ×3, first 2 shown]
	s_lshr_b32 s4, ttmp7, 16
	s_ashr_i32 s3, s2, 31
	s_add_co_i32 s5, s5, 1
	s_lshl_b64 s[2:3], s[2:3], 1
	s_ashr_i32 s1, s0, 31
	s_add_nc_u64 s[2:3], s[6:7], s[2:3]
	s_mul_i32 s5, s4, s5
	s_bfe_u32 s6, ttmp6, 0x40008
	s_lshl_b64 s[0:1], s[0:1], 1
	s_add_co_i32 s6, s6, s5
	s_cmp_eq_u32 s18, 0
	s_add_nc_u64 s[0:1], s[2:3], s[0:1]
	s_cselect_b32 s2, s4, s6
	s_mov_b32 s3, 0
	s_mulk_i32 s2, 0xf0
	v_cmp_gt_u32_e32 vcc_lo, 0x78, v1
	s_add_nc_u64 s[0:1], s[0:1], s[2:3]
	;;#ASMSTART
	v_cvt_f16_f32 v2, v6;

	;;#ASMEND
	global_store_b16 v0, v2, s[0:1] scale_offset
	;;#ASMSTART
	v_cvt_f16_f32 v1, v7;

	;;#ASMEND
	global_store_b16 v0, v1, s[0:1] offset:64 scale_offset
	s_wait_xcnt 0x0
	;;#ASMSTART
	v_cvt_f16_f32 v1, v27;

	;;#ASMEND
	global_store_b16 v0, v1, s[0:1] offset:128 scale_offset
	s_wait_xcnt 0x0
	s_and_b32 exec_lo, exec_lo, vcc_lo
	s_cbranch_execz .LBB68_68
; %bb.67:
	v_dual_mov_b32 v1, 0 :: v_dual_lshlrev_b32 v0, 1, v0
	;;#ASMSTART
	v_cvt_f16_f32 v2, v26;

	;;#ASMEND
	s_delay_alu instid0(VALU_DEP_1)
	v_add_nc_u64_e32 v[0:1], s[0:1], v[0:1]
	global_store_b16 v[0:1], v2, off offset:192
.LBB68_68:
	s_sendmsg sendmsg(MSG_DEALLOC_VGPRS)
	s_endpgm
	.section	.rodata,"a",@progbits
	.p2align	6, 0x0
	.amdhsa_kernel _ZN4vllm25paged_attention_v1_kernelIttLi120ELi8ELi128ELNS_18Fp8KVCacheDataTypeE0ELb0EEEvPT_PKS2_PKT0_S8_ifPKiSA_iPKfiiiSC_SC_iiiii
		.amdhsa_group_segment_fixed_size 272
		.amdhsa_private_segment_fixed_size 0
		.amdhsa_kernarg_size 384
		.amdhsa_user_sgpr_count 2
		.amdhsa_user_sgpr_dispatch_ptr 0
		.amdhsa_user_sgpr_queue_ptr 0
		.amdhsa_user_sgpr_kernarg_segment_ptr 1
		.amdhsa_user_sgpr_dispatch_id 0
		.amdhsa_user_sgpr_kernarg_preload_length 0
		.amdhsa_user_sgpr_kernarg_preload_offset 0
		.amdhsa_user_sgpr_private_segment_size 0
		.amdhsa_wavefront_size32 1
		.amdhsa_uses_dynamic_stack 0
		.amdhsa_enable_private_segment 0
		.amdhsa_system_sgpr_workgroup_id_x 1
		.amdhsa_system_sgpr_workgroup_id_y 1
		.amdhsa_system_sgpr_workgroup_id_z 1
		.amdhsa_system_sgpr_workgroup_info 0
		.amdhsa_system_vgpr_workitem_id 0
		.amdhsa_next_free_vgpr 69
		.amdhsa_next_free_sgpr 30
		.amdhsa_named_barrier_count 0
		.amdhsa_reserve_vcc 1
		.amdhsa_float_round_mode_32 0
		.amdhsa_float_round_mode_16_64 0
		.amdhsa_float_denorm_mode_32 3
		.amdhsa_float_denorm_mode_16_64 3
		.amdhsa_fp16_overflow 0
		.amdhsa_memory_ordered 1
		.amdhsa_forward_progress 1
		.amdhsa_inst_pref_size 47
		.amdhsa_round_robin_scheduling 0
		.amdhsa_exception_fp_ieee_invalid_op 0
		.amdhsa_exception_fp_denorm_src 0
		.amdhsa_exception_fp_ieee_div_zero 0
		.amdhsa_exception_fp_ieee_overflow 0
		.amdhsa_exception_fp_ieee_underflow 0
		.amdhsa_exception_fp_ieee_inexact 0
		.amdhsa_exception_int_div_zero 0
	.end_amdhsa_kernel
	.section	.text._ZN4vllm25paged_attention_v1_kernelIttLi120ELi8ELi128ELNS_18Fp8KVCacheDataTypeE0ELb0EEEvPT_PKS2_PKT0_S8_ifPKiSA_iPKfiiiSC_SC_iiiii,"axG",@progbits,_ZN4vllm25paged_attention_v1_kernelIttLi120ELi8ELi128ELNS_18Fp8KVCacheDataTypeE0ELb0EEEvPT_PKS2_PKT0_S8_ifPKiSA_iPKfiiiSC_SC_iiiii,comdat
.Lfunc_end68:
	.size	_ZN4vllm25paged_attention_v1_kernelIttLi120ELi8ELi128ELNS_18Fp8KVCacheDataTypeE0ELb0EEEvPT_PKS2_PKT0_S8_ifPKiSA_iPKfiiiSC_SC_iiiii, .Lfunc_end68-_ZN4vllm25paged_attention_v1_kernelIttLi120ELi8ELi128ELNS_18Fp8KVCacheDataTypeE0ELb0EEEvPT_PKS2_PKT0_S8_ifPKiSA_iPKfiiiSC_SC_iiiii
                                        ; -- End function
	.set _ZN4vllm25paged_attention_v1_kernelIttLi120ELi8ELi128ELNS_18Fp8KVCacheDataTypeE0ELb0EEEvPT_PKS2_PKT0_S8_ifPKiSA_iPKfiiiSC_SC_iiiii.num_vgpr, 69
	.set _ZN4vllm25paged_attention_v1_kernelIttLi120ELi8ELi128ELNS_18Fp8KVCacheDataTypeE0ELb0EEEvPT_PKS2_PKT0_S8_ifPKiSA_iPKfiiiSC_SC_iiiii.num_agpr, 0
	.set _ZN4vllm25paged_attention_v1_kernelIttLi120ELi8ELi128ELNS_18Fp8KVCacheDataTypeE0ELb0EEEvPT_PKS2_PKT0_S8_ifPKiSA_iPKfiiiSC_SC_iiiii.numbered_sgpr, 30
	.set _ZN4vllm25paged_attention_v1_kernelIttLi120ELi8ELi128ELNS_18Fp8KVCacheDataTypeE0ELb0EEEvPT_PKS2_PKT0_S8_ifPKiSA_iPKfiiiSC_SC_iiiii.num_named_barrier, 0
	.set _ZN4vllm25paged_attention_v1_kernelIttLi120ELi8ELi128ELNS_18Fp8KVCacheDataTypeE0ELb0EEEvPT_PKS2_PKT0_S8_ifPKiSA_iPKfiiiSC_SC_iiiii.private_seg_size, 0
	.set _ZN4vllm25paged_attention_v1_kernelIttLi120ELi8ELi128ELNS_18Fp8KVCacheDataTypeE0ELb0EEEvPT_PKS2_PKT0_S8_ifPKiSA_iPKfiiiSC_SC_iiiii.uses_vcc, 1
	.set _ZN4vllm25paged_attention_v1_kernelIttLi120ELi8ELi128ELNS_18Fp8KVCacheDataTypeE0ELb0EEEvPT_PKS2_PKT0_S8_ifPKiSA_iPKfiiiSC_SC_iiiii.uses_flat_scratch, 0
	.set _ZN4vllm25paged_attention_v1_kernelIttLi120ELi8ELi128ELNS_18Fp8KVCacheDataTypeE0ELb0EEEvPT_PKS2_PKT0_S8_ifPKiSA_iPKfiiiSC_SC_iiiii.has_dyn_sized_stack, 0
	.set _ZN4vllm25paged_attention_v1_kernelIttLi120ELi8ELi128ELNS_18Fp8KVCacheDataTypeE0ELb0EEEvPT_PKS2_PKT0_S8_ifPKiSA_iPKfiiiSC_SC_iiiii.has_recursion, 0
	.set _ZN4vllm25paged_attention_v1_kernelIttLi120ELi8ELi128ELNS_18Fp8KVCacheDataTypeE0ELb0EEEvPT_PKS2_PKT0_S8_ifPKiSA_iPKfiiiSC_SC_iiiii.has_indirect_call, 0
	.section	.AMDGPU.csdata,"",@progbits
; Kernel info:
; codeLenInByte = 6012
; TotalNumSgprs: 32
; NumVgprs: 69
; ScratchSize: 0
; MemoryBound: 0
; FloatMode: 240
; IeeeMode: 1
; LDSByteSize: 272 bytes/workgroup (compile time only)
; SGPRBlocks: 0
; VGPRBlocks: 4
; NumSGPRsForWavesPerEU: 32
; NumVGPRsForWavesPerEU: 69
; NamedBarCnt: 0
; Occupancy: 12
; WaveLimiterHint : 1
; COMPUTE_PGM_RSRC2:SCRATCH_EN: 0
; COMPUTE_PGM_RSRC2:USER_SGPR: 2
; COMPUTE_PGM_RSRC2:TRAP_HANDLER: 0
; COMPUTE_PGM_RSRC2:TGID_X_EN: 1
; COMPUTE_PGM_RSRC2:TGID_Y_EN: 1
; COMPUTE_PGM_RSRC2:TGID_Z_EN: 1
; COMPUTE_PGM_RSRC2:TIDIG_COMP_CNT: 0
	.section	.text._ZN4vllm25paged_attention_v1_kernelIttLi128ELi8ELi128ELNS_18Fp8KVCacheDataTypeE0ELb0EEEvPT_PKS2_PKT0_S8_ifPKiSA_iPKfiiiSC_SC_iiiii,"axG",@progbits,_ZN4vllm25paged_attention_v1_kernelIttLi128ELi8ELi128ELNS_18Fp8KVCacheDataTypeE0ELb0EEEvPT_PKS2_PKT0_S8_ifPKiSA_iPKfiiiSC_SC_iiiii,comdat
	.protected	_ZN4vllm25paged_attention_v1_kernelIttLi128ELi8ELi128ELNS_18Fp8KVCacheDataTypeE0ELb0EEEvPT_PKS2_PKT0_S8_ifPKiSA_iPKfiiiSC_SC_iiiii ; -- Begin function _ZN4vllm25paged_attention_v1_kernelIttLi128ELi8ELi128ELNS_18Fp8KVCacheDataTypeE0ELb0EEEvPT_PKS2_PKT0_S8_ifPKiSA_iPKfiiiSC_SC_iiiii
	.globl	_ZN4vllm25paged_attention_v1_kernelIttLi128ELi8ELi128ELNS_18Fp8KVCacheDataTypeE0ELb0EEEvPT_PKS2_PKT0_S8_ifPKiSA_iPKfiiiSC_SC_iiiii
	.p2align	8
	.type	_ZN4vllm25paged_attention_v1_kernelIttLi128ELi8ELi128ELNS_18Fp8KVCacheDataTypeE0ELb0EEEvPT_PKS2_PKT0_S8_ifPKiSA_iPKfiiiSC_SC_iiiii,@function
_ZN4vllm25paged_attention_v1_kernelIttLi128ELi8ELi128ELNS_18Fp8KVCacheDataTypeE0ELb0EEEvPT_PKS2_PKT0_S8_ifPKiSA_iPKfiiiSC_SC_iiiii: ; @_ZN4vllm25paged_attention_v1_kernelIttLi128ELi8ELi128ELNS_18Fp8KVCacheDataTypeE0ELb0EEEvPT_PKS2_PKT0_S8_ifPKiSA_iPKfiiiSC_SC_iiiii
; %bb.0:
	s_load_b64 s[10:11], s[0:1], 0x20
	s_bfe_u32 s3, ttmp6, 0x4000c
	s_bfe_u32 s5, ttmp6, 0x40010
	s_and_b32 s4, ttmp7, 0xffff
	s_add_co_i32 s3, s3, 1
	s_add_co_i32 s5, s5, 1
	s_and_b32 s2, ttmp6, 15
	s_bfe_u32 s6, ttmp6, 0x40004
	s_mul_i32 s3, ttmp9, s3
	s_mul_i32 s5, s4, s5
	s_getreg_b32 s20, hwreg(HW_REG_IB_STS2, 6, 4)
	s_add_co_i32 s7, s2, s3
	s_add_co_i32 s6, s6, s5
	s_cmp_eq_u32 s20, 0
	s_clause 0x1
	s_load_b32 s21, s[0:1], 0x80
	s_load_b64 s[2:3], s[0:1], 0x30
	s_cselect_b32 s22, s4, s6
	s_cselect_b32 s4, ttmp9, s7
	s_mov_b32 s13, 0
	s_delay_alu instid0(SALU_CYCLE_1) | instskip(SKIP_2) | instid1(SALU_CYCLE_1)
	s_mov_b32 s24, s13
	s_wait_kmcnt 0x0
	s_abs_i32 s5, s10
	s_cvt_f32_u32 s6, s5
	s_sub_co_i32 s7, 0, s5
	s_delay_alu instid0(SALU_CYCLE_2) | instskip(SKIP_2) | instid1(TRANS32_DEP_1)
	v_rcp_iflag_f32_e32 v1, s6
	s_abs_i32 s8, s21
	v_nop
	v_readfirstlane_b32 s6, v1
	s_mul_f32 s6, s6, 0x4f7ffffe
	s_delay_alu instid0(SALU_CYCLE_3) | instskip(NEXT) | instid1(SALU_CYCLE_3)
	s_cvt_u32_f32 s6, s6
	s_mul_i32 s7, s7, s6
	s_delay_alu instid0(SALU_CYCLE_1) | instskip(NEXT) | instid1(SALU_CYCLE_1)
	s_mul_hi_u32 s7, s6, s7
	s_add_co_i32 s6, s6, s7
	s_xor_b32 s7, s21, s10
	s_mul_hi_u32 s6, s8, s6
	s_ashr_i32 s7, s7, 31
	s_mul_i32 s9, s6, s5
	s_delay_alu instid0(SALU_CYCLE_1)
	s_sub_co_i32 s8, s8, s9
	s_add_co_i32 s9, s6, 1
	s_sub_co_i32 s10, s8, s5
	s_cmp_ge_u32 s8, s5
	s_cselect_b32 s6, s9, s6
	s_cselect_b32 s8, s10, s8
	s_add_co_i32 s9, s6, 1
	s_cmp_ge_u32 s8, s5
	s_cselect_b32 s5, s9, s6
	s_load_b64 s[8:9], s[0:1], 0x40
	s_xor_b32 s5, s5, s7
	s_abs_i32 s12, s4
	s_sub_co_i32 s14, s5, s7
	s_mov_b32 s7, s13
	s_abs_i32 s16, s14
	s_delay_alu instid0(SALU_CYCLE_1) | instskip(SKIP_1) | instid1(SALU_CYCLE_2)
	s_cvt_f32_u32 s5, s16
	s_sub_co_i32 s6, 0, s16
	v_rcp_iflag_f32_e32 v1, s5
	v_nop
	s_delay_alu instid0(TRANS32_DEP_1) | instskip(SKIP_1) | instid1(SALU_CYCLE_3)
	v_readfirstlane_b32 s5, v1
	s_mul_f32 s5, s5, 0x4f7ffffe
	s_cvt_u32_f32 s5, s5
	s_delay_alu instid0(SALU_CYCLE_3) | instskip(NEXT) | instid1(SALU_CYCLE_1)
	s_mul_i32 s6, s6, s5
	s_mul_hi_u32 s6, s5, s6
	s_delay_alu instid0(SALU_CYCLE_1)
	s_add_co_i32 s6, s5, s6
	s_wait_kmcnt 0x0
	s_cmp_eq_u64 s[8:9], 0
	s_cbranch_scc1 .LBB69_2
; %bb.1:
	s_ashr_i32 s5, s4, 31
	s_delay_alu instid0(SALU_CYCLE_1) | instskip(NEXT) | instid1(SALU_CYCLE_1)
	s_lshl_b64 s[18:19], s[4:5], 2
	s_add_nc_u64 s[8:9], s[8:9], s[18:19]
	s_load_b32 s24, s[8:9], 0x0
.LBB69_2:
	s_load_b32 s23, s[2:3], s22 offset:0x0 scale_offset
	s_wait_xcnt 0x0
	s_load_b96 s[8:10], s[0:1], 0x48
	v_and_b32_e32 v4, 3, v0
	v_cmp_gt_u32_e64 s2, 64, v0
	s_ashr_i32 s3, s4, 31
	s_ashr_i32 s5, s14, 31
	s_mul_u64 s[14:15], s[12:13], s[6:7]
	s_lshl_b32 s6, s4, 7
	s_and_saveexec_b32 s4, s2
	s_cbranch_execz .LBB69_4
; %bb.3:
	s_load_b64 s[18:19], s[0:1], 0x8
	s_wait_kmcnt 0x0
	s_mul_i32 s26, s8, s22
	s_ashr_i32 s7, s6, 31
	s_ashr_i32 s27, s26, 31
	v_and_b32_e32 v2, 0x3fc, v0
	s_lshl_b64 s[26:27], s[26:27], 1
	s_delay_alu instid0(VALU_DEP_1) | instskip(SKIP_2) | instid1(SALU_CYCLE_1)
	v_lshl_add_u32 v2, v4, 6, v2
	s_add_nc_u64 s[18:19], s[18:19], s[26:27]
	s_lshl_b64 s[26:27], s[6:7], 1
	s_add_nc_u64 s[18:19], s[18:19], s[26:27]
	global_load_b32 v1, v0, s[18:19] scale_offset
	s_wait_loadcnt 0x0
	ds_store_b32 v2, v1
.LBB69_4:
	s_or_b32 exec_lo, exec_lo, s4
	s_wait_kmcnt 0x0
	s_add_co_i32 s4, s23, 7
	s_load_b32 s7, s[0:1], 0x38
	s_ashr_i32 s8, s4, 31
	s_xor_b32 s3, s3, s5
	s_lshr_b32 s5, s8, 29
	s_mul_i32 s8, s15, s16
	s_add_co_i32 s4, s4, s5
	s_sub_co_i32 s5, s12, s8
	s_ashr_i32 s8, s4, 3
	s_add_co_i32 s4, s15, 1
	s_sub_co_i32 s12, s5, s16
	s_cmp_ge_u32 s5, s16
	v_lshrrev_b32_e32 v17, 5, v0
	s_cselect_b32 s4, s4, s15
	s_cselect_b32 s5, s12, s5
	s_add_co_i32 s12, s4, 1
	s_cmp_ge_u32 s5, s16
	v_mbcnt_lo_u32_b32 v8, -1, 0
	s_cselect_b32 s4, s12, s4
	s_mov_b32 s5, exec_lo
	s_xor_b32 s4, s4, s3
	s_wait_kmcnt 0x0
	s_mul_i32 s12, s7, s22
	s_sub_co_i32 s4, s4, s3
	v_cmp_gt_i32_e64 s3, s8, v17
	s_ashr_i32 s13, s12, 31
	s_wait_dscnt 0x0
	s_barrier_signal -1
	s_barrier_wait -1
                                        ; implicit-def: $vgpr3
                                        ; implicit-def: $vgpr9
	v_cmpx_le_i32_e64 s8, v17
	s_xor_b32 s5, exec_lo, s5
; %bb.5:
	v_dual_mov_b32 v3, 0 :: v_dual_mov_b32 v9, 32
	v_mbcnt_lo_u32_b32 v8, -1, 0
                                        ; implicit-def: $vgpr4
; %bb.6:
	s_or_saveexec_b32 s25, s5
	s_clause 0x1
	s_load_b64 s[14:15], s[0:1], 0x28
	s_load_b32 s7, s[0:1], 0x88
	v_dual_mov_b32 v10, 0xff7fffff :: v_dual_lshrrev_b32 v1, 3, v0
	s_mul_i32 s16, s4, s10
	s_xor_b32 exec_lo, exec_lo, s25
	s_cbranch_execz .LBB69_12
; %bb.7:
	s_load_b64 s[4:5], s[0:1], 0x10
	v_bfe_u32 v6, v0, 2, 3
	s_ashr_i32 s17, s16, 31
	v_dual_mov_b32 v3, 0 :: v_dual_lshlrev_b32 v7, 2, v0
	s_delay_alu instid0(VALU_DEP_2)
	v_dual_lshlrev_b32 v11, 6, v4 :: v_dual_lshlrev_b32 v2, 4, v6
	s_lshl_b64 s[26:27], s[16:17], 1
	v_cmp_eq_u32_e32 vcc_lo, 0, v4
	v_lshlrev_b32_e32 v12, 2, v6
	s_ashr_i32 s19, s9, 31
	s_cmp_neq_f32 s24, 0
	v_dual_mov_b32 v10, 0xff7fffff :: v_dual_mov_b32 v9, 32
	v_xor_b32_e32 v14, 1, v8
	s_mov_b32 s18, s9
	s_mov_b32 s10, 0
	v_mov_b32_e32 v15, v17
	s_wait_kmcnt 0x0
	s_add_nc_u64 s[4:5], s[4:5], s[26:27]
	s_delay_alu instid0(SALU_CYCLE_1)
	v_add_nc_u64_e32 v[4:5], s[4:5], v[2:3]
	v_and_b32_e32 v2, 12, v7
	v_lshl_or_b32 v7, v17, 5, v12
	s_cselect_b32 s4, -1, 0
	s_lshl_b64 s[26:27], s[12:13], 2
	v_lshl_or_b32 v12, v17, 3, v6
	s_add_nc_u64 s[26:27], s[14:15], s[26:27]
	v_add_nc_u64_e32 v[4:5], v[4:5], v[2:3]
	v_and_b32_e32 v2, 0x7c, v1
	v_add_nc_u32_e32 v13, 0x120, v7
	s_sub_co_i32 s17, 1, s23
	s_delay_alu instid0(VALU_DEP_2)
	v_add_nc_u64_e32 v[6:7], s[26:27], v[2:3]
	v_xor_b32_e32 v2, 2, v8
	s_branch .LBB69_9
.LBB69_8:                               ;   in Loop: Header=BB69_9 Depth=1
	s_or_b32 exec_lo, exec_lo, s26
	v_dual_add_nc_u32 v15, 4, v15 :: v_dual_add_nc_u32 v12, 32, v12
	v_add_nc_u64_e32 v[6:7], 16, v[6:7]
	v_add_nc_u32_e32 v13, 0x80, v13
	s_delay_alu instid0(VALU_DEP_3) | instskip(SKIP_1) | instid1(SALU_CYCLE_1)
	v_cmp_le_i32_e64 s5, s8, v15
	s_or_b32 s10, s5, s10
	s_and_not1_b32 exec_lo, exec_lo, s10
	s_cbranch_execz .LBB69_11
.LBB69_9:                               ; =>This Inner Loop Header: Depth=1
	s_wait_dscnt 0x0
	global_load_b32 v18, v[6:7], off
	v_cmp_gt_i32_e64 s5, 32, v2
	s_wait_loadcnt 0x0
	v_ashrrev_i32_e32 v19, 31, v18
	s_delay_alu instid0(VALU_DEP_1) | instskip(NEXT) | instid1(VALU_DEP_1)
	v_mul_u64_e32 v[18:19], s[18:19], v[18:19]
	v_lshl_add_u64 v[24:25], v[18:19], 1, v[4:5]
	s_clause 0xa
	global_load_b32 v16, v[24:25], off
	global_load_b32 v28, v[24:25], off offset:128
	global_load_b32 v30, v[24:25], off offset:256
	;; [unrolled: 1-line block ×10, first 2 shown]
	ds_load_b32 v18, v11
	s_wait_dscnt 0x0
	v_lshrrev_b32_e32 v27, 16, v18
	v_and_b32_e32 v26, 0xffff, v18
	s_wait_loadcnt 0xa
	v_and_b32_e32 v29, 0xffff, v16
	v_lshrrev_b32_e32 v31, 16, v16
	s_clause 0x4
	global_load_b32 v21, v[24:25], off offset:1408
	global_load_b32 v20, v[24:25], off offset:1536
	global_load_b32 v19, v[24:25], off offset:1664
	global_load_b32 v18, v[24:25], off offset:1792
	global_load_b32 v16, v[24:25], off offset:1920
	;;#ASMSTART
	v_cvt_f32_f16 v26, v26;
	;;#ASMEND
	s_wait_xcnt 0x0
	;;#ASMSTART
	v_cvt_f32_f16 v24, v27;
	;;#ASMEND
	;;#ASMSTART
	v_cvt_f32_f16 v27, v29;
	;;#ASMEND
	;;#ASMSTART
	v_cvt_f32_f16 v25, v31;
	;;#ASMEND
	ds_load_b32 v29, v11 offset:4
	s_wait_loadcnt 0xe
	v_and_b32_e32 v32, 0xffff, v28
	s_wait_loadcnt 0xd
	v_dual_lshrrev_b32 v34, 16, v28 :: v_dual_lshrrev_b32 v37, 16, v30
	s_wait_loadcnt 0xc
	v_lshrrev_b32_e32 v45, 16, v36
	v_and_b32_e32 v44, 0xffff, v36
	s_wait_loadcnt 0xb
	v_and_b32_e32 v47, 0xffff, v38
	v_lshrrev_b32_e32 v38, 16, v38
	s_wait_loadcnt 0xa
	v_and_b32_e32 v50, 0xffff, v39
	v_lshrrev_b32_e32 v39, 16, v39
	s_wait_loadcnt 0x9
	v_and_b32_e32 v53, 0xffff, v40
	s_wait_loadcnt 0x8
	v_and_b32_e32 v56, 0xffff, v41
	;; [unrolled: 2-line block ×3, first 2 shown]
	v_and_b32_e32 v59, 0xffff, v42
	v_lshrrev_b32_e32 v42, 16, v42
	s_wait_loadcnt 0x5
	v_and_b32_e32 v65, 0xffff, v22
	v_dual_lshrrev_b32 v40, 16, v40 :: v_dual_lshrrev_b32 v41, 16, v41
	v_lshrrev_b32_e32 v23, 16, v23
	s_wait_dscnt 0x0
	v_and_b32_e32 v31, 0xffff, v29
	v_lshrrev_b32_e32 v29, 16, v29
	;;#ASMSTART
	v_cvt_f32_f16 v33, v31;
	;;#ASMEND
	;;#ASMSTART
	v_cvt_f32_f16 v28, v29;
	;;#ASMEND
	;; [unrolled: 3-line block ×4, first 2 shown]
	ds_load_b32 v31, v11 offset:8
	v_and_b32_e32 v34, 0xffff, v30
	s_wait_dscnt 0x0
	v_and_b32_e32 v32, 0xffff, v31
	v_lshrrev_b32_e32 v31, 16, v31
	;;#ASMSTART
	v_cvt_f32_f16 v30, v32;
	;;#ASMEND
	;;#ASMSTART
	v_cvt_f32_f16 v31, v31;
	;;#ASMEND
	;;#ASMSTART
	v_cvt_f32_f16 v32, v34;
	;;#ASMEND
	;;#ASMSTART
	v_cvt_f32_f16 v34, v37;
	;;#ASMEND
	ds_load_b32 v37, v11 offset:12
	s_wait_dscnt 0x0
	v_and_b32_e32 v43, 0xffff, v37
	v_lshrrev_b32_e32 v37, 16, v37
	;;#ASMSTART
	v_cvt_f32_f16 v36, v43;
	;;#ASMEND
	;;#ASMSTART
	v_cvt_f32_f16 v37, v37;
	;;#ASMEND
	;;#ASMSTART
	v_cvt_f32_f16 v44, v44;
	;;#ASMEND
	;;#ASMSTART
	v_cvt_f32_f16 v45, v45;
	;;#ASMEND
	ds_load_b32 v43, v11 offset:16
	;; [unrolled: 16-line block ×6, first 2 shown]
	s_wait_dscnt 0x0
	v_and_b32_e32 v58, 0xffff, v38
	v_lshrrev_b32_e32 v38, 16, v38
	;;#ASMSTART
	v_cvt_f32_f16 v58, v58;
	;;#ASMEND
	;;#ASMSTART
	v_cvt_f32_f16 v60, v38;
	;;#ASMEND
	;;#ASMSTART
	v_cvt_f32_f16 v59, v59;
	;;#ASMEND
	s_wait_loadcnt 0x4
	v_lshrrev_b32_e32 v69, 16, v21
	;;#ASMSTART
	v_cvt_f32_f16 v42, v42;
	;;#ASMEND
	ds_load_b32 v38, v11 offset:36
	v_and_b32_e32 v68, 0xffff, v21
	v_dual_mul_f32 v21, v33, v35 :: v_dual_lshrrev_b32 v22, 16, v22
	s_delay_alu instid0(VALU_DEP_1) | instskip(SKIP_2) | instid1(VALU_DEP_2)
	v_fmac_f32_e32 v21, v26, v27
	s_wait_loadcnt 0x3
	v_and_b32_e32 v27, 0xffff, v20
	v_fmac_f32_e32 v21, v30, v32
	s_wait_dscnt 0x0
	v_and_b32_e32 v61, 0xffff, v38
	v_lshrrev_b32_e32 v38, 16, v38
	;;#ASMSTART
	v_cvt_f32_f16 v61, v61;
	;;#ASMEND
	;;#ASMSTART
	v_cvt_f32_f16 v38, v38;
	;;#ASMEND
	;;#ASMSTART
	v_cvt_f32_f16 v62, v62;
	;;#ASMEND
	;;#ASMSTART
	v_cvt_f32_f16 v63, v23;
	;;#ASMEND
	ds_load_b32 v23, v11 offset:40
	s_wait_dscnt 0x0
	v_and_b32_e32 v64, 0xffff, v23
	v_lshrrev_b32_e32 v23, 16, v23
	;;#ASMSTART
	v_cvt_f32_f16 v64, v64;
	;;#ASMEND
	;;#ASMSTART
	v_cvt_f32_f16 v23, v23;
	;;#ASMEND
	;;#ASMSTART
	v_cvt_f32_f16 v65, v65;
	;;#ASMEND
	;;#ASMSTART
	v_cvt_f32_f16 v66, v22;
	;;#ASMEND
	ds_load_b32 v22, v11 offset:44
	;; [unrolled: 16-line block ×3, first 2 shown]
	v_dual_mul_f32 v20, v28, v29 :: v_dual_lshrrev_b32 v69, 16, v20
	s_wait_loadcnt 0x2
	s_delay_alu instid0(VALU_DEP_1) | instskip(SKIP_1) | instid1(VALU_DEP_2)
	v_dual_fmac_f32 v20, v24, v25 :: v_dual_lshrrev_b32 v24, 16, v19
	v_and_b32_e32 v19, 0xffff, v19
	v_dual_fmac_f32 v20, v31, v34 :: v_dual_fmac_f32 v21, v36, v44
	s_wait_loadcnt 0x1
	v_lshrrev_b32_e32 v31, 16, v18
	v_and_b32_e32 v18, 0xffff, v18
	s_delay_alu instid0(VALU_DEP_3)
	v_dual_fmac_f32 v20, v37, v45 :: v_dual_fmac_f32 v21, v46, v47
	s_wait_dscnt 0x0
	v_and_b32_e32 v26, 0xffff, v22
	v_lshrrev_b32_e32 v22, 16, v22
	;;#ASMSTART
	v_cvt_f32_f16 v26, v26;
	;;#ASMEND
	;;#ASMSTART
	v_cvt_f32_f16 v28, v22;
	;;#ASMEND
	;;#ASMSTART
	v_cvt_f32_f16 v27, v27;
	;;#ASMEND
	;;#ASMSTART
	v_cvt_f32_f16 v29, v69;
	;;#ASMEND
	ds_load_b32 v22, v11 offset:52
	v_dual_fmac_f32 v20, v43, v48 :: v_dual_fmac_f32 v21, v49, v50
	s_delay_alu instid0(VALU_DEP_1) | instskip(NEXT) | instid1(VALU_DEP_1)
	v_dual_fmac_f32 v20, v51, v39 :: v_dual_fmac_f32 v21, v52, v53
	v_fmac_f32_e32 v20, v54, v40
	s_delay_alu instid0(VALU_DEP_1) | instskip(NEXT) | instid1(VALU_DEP_1)
	v_dual_fmac_f32 v21, v55, v56 :: v_dual_fmac_f32 v20, v57, v41
	v_fmac_f32_e32 v21, v58, v59
	s_wait_dscnt 0x0
	v_and_b32_e32 v25, 0xffff, v22
	v_lshrrev_b32_e32 v22, 16, v22
	;;#ASMSTART
	v_cvt_f32_f16 v25, v25;
	;;#ASMEND
	;;#ASMSTART
	v_cvt_f32_f16 v22, v22;
	;;#ASMEND
	;; [unrolled: 3-line block ×4, first 2 shown]
	ds_load_b32 v19, v11 offset:56
	v_fmac_f32_e32 v20, v60, v42
	s_delay_alu instid0(VALU_DEP_1) | instskip(NEXT) | instid1(VALU_DEP_1)
	v_dual_fmac_f32 v21, v61, v62 :: v_dual_fmac_f32 v20, v38, v63
	v_dual_fmac_f32 v21, v64, v65 :: v_dual_fmac_f32 v20, v23, v66
	s_wait_loadcnt 0x0
	s_delay_alu instid0(VALU_DEP_1) | instskip(SKIP_1) | instid1(VALU_DEP_2)
	v_dual_fmac_f32 v21, v33, v67 :: v_dual_lshrrev_b32 v23, 16, v16
	v_and_b32_e32 v16, 0xffff, v16
	v_dual_fmac_f32 v20, v35, v68 :: v_dual_fmac_f32 v21, v26, v27
	s_wait_dscnt 0x0
	v_and_b32_e32 v32, 0xffff, v19
	v_lshrrev_b32_e32 v19, 16, v19
	;;#ASMSTART
	v_cvt_f32_f16 v32, v32;
	;;#ASMEND
	;;#ASMSTART
	v_cvt_f32_f16 v34, v19;
	;;#ASMEND
	;; [unrolled: 3-line block ×4, first 2 shown]
	ds_load_b32 v18, v11 offset:60
	v_fmac_f32_e32 v20, v28, v29
	v_cndmask_b32_e64 v19, v8, v2, s5
	v_cmp_gt_i32_e64 s5, 32, v14
	s_delay_alu instid0(VALU_DEP_3) | instskip(NEXT) | instid1(VALU_DEP_1)
	v_dual_fmac_f32 v20, v22, v24 :: v_dual_fmac_f32 v21, v25, v30
	v_dual_fmac_f32 v20, v34, v31 :: v_dual_fmac_f32 v21, v32, v36
	s_wait_dscnt 0x0
	v_and_b32_e32 v22, 0xffff, v18
	v_lshrrev_b32_e32 v18, 16, v18
	;;#ASMSTART
	v_cvt_f32_f16 v22, v22;
	;;#ASMEND
	;;#ASMSTART
	v_cvt_f32_f16 v18, v18;
	;;#ASMEND
	;; [unrolled: 3-line block ×4, first 2 shown]
	v_dual_fmac_f32 v21, v22, v16 :: v_dual_lshlrev_b32 v16, 2, v19
	v_dual_fmac_f32 v20, v18, v23 :: v_dual_cndmask_b32 v19, v8, v14, s5
	s_delay_alu instid0(VALU_DEP_1)
	v_add_f32_e32 v18, v21, v20
	ds_bpermute_b32 v16, v16, v18
	s_wait_dscnt 0x0
	v_dual_add_f32 v16, v18, v16 :: v_dual_lshlrev_b32 v18, 2, v19
	ds_bpermute_b32 v18, v18, v16
	s_and_saveexec_b32 s26, vcc_lo
	s_cbranch_execz .LBB69_8
; %bb.10:                               ;   in Loop: Header=BB69_9 Depth=1
	s_wait_dscnt 0x0
	v_dual_add_f32 v16, v16, v18 :: v_dual_add_nc_u32 v19, s17, v12
	v_cmp_gt_i32_e64 s5, s23, v12
	s_delay_alu instid0(VALU_DEP_2) | instskip(NEXT) | instid1(VALU_DEP_1)
	v_cvt_f32_i32_e32 v19, v19
	v_mul_f32_e32 v19, s24, v19
	s_delay_alu instid0(VALU_DEP_1) | instskip(NEXT) | instid1(VALU_DEP_1)
	v_dual_cndmask_b32 v18, 0, v19, s4 :: v_dual_max_num_f32 v19, v10, v10
	v_fmac_f32_e32 v18, s11, v16
	s_delay_alu instid0(VALU_DEP_1) | instskip(NEXT) | instid1(VALU_DEP_1)
	v_dual_max_num_f32 v16, v19, v18 :: v_dual_cndmask_b32 v18, 0, v18, s5
	v_cndmask_b32_e64 v10, v10, v16, s5
	ds_store_b32 v13, v18
	s_branch .LBB69_8
.LBB69_11:
	s_or_b32 exec_lo, exec_lo, s10
.LBB69_12:
	s_delay_alu instid0(SALU_CYCLE_1)
	s_or_b32 exec_lo, exec_lo, s25
	v_dual_max_num_f32 v6, v10, v10 :: v_dual_bitop2_b32 v2, 16, v8 bitop3:0x14
	s_clause 0x1
	s_load_b64 s[10:11], s[0:1], 0x0
	s_load_b64 s[18:19], s[0:1], 0x18
	s_wait_dscnt 0x0
	v_and_b32_e32 v18, 31, v0
	v_xor_b32_e32 v5, 8, v8
	v_cmp_lt_i32_e32 vcc_lo, v2, v9
	v_cndmask_b32_e32 v2, v8, v2, vcc_lo
	s_delay_alu instid0(VALU_DEP_3) | instskip(NEXT) | instid1(VALU_DEP_2)
	v_cmp_lt_i32_e32 vcc_lo, v5, v9
	v_dual_cndmask_b32 v5, v8, v5 :: v_dual_lshlrev_b32 v2, 2, v2
	ds_bpermute_b32 v4, v2, v10
	s_wait_dscnt 0x0
	v_dual_max_num_f32 v7, v4, v4 :: v_dual_lshlrev_b32 v4, 2, v5
	s_delay_alu instid0(VALU_DEP_1) | instskip(SKIP_4) | instid1(VALU_DEP_1)
	v_dual_max_num_f32 v5, v6, v7 :: v_dual_bitop2_b32 v7, 4, v8 bitop3:0x14
	ds_bpermute_b32 v6, v4, v5
	v_cmp_lt_i32_e32 vcc_lo, v7, v9
	v_cndmask_b32_e32 v7, v8, v7, vcc_lo
	s_wait_dscnt 0x0
	v_dual_max_num_f32 v6, v6, v6 :: v_dual_lshlrev_b32 v7, 2, v7
	s_delay_alu instid0(VALU_DEP_1)
	v_dual_max_num_f32 v6, v5, v6 :: v_dual_lshlrev_b32 v5, 2, v17
	v_cmp_eq_u32_e32 vcc_lo, 0, v18
	ds_bpermute_b32 v10, v7, v6
	s_wait_xcnt 0x0
	s_and_saveexec_b32 s0, vcc_lo
	s_cbranch_execz .LBB69_14
; %bb.13:
	s_wait_dscnt 0x0
	v_max_num_f32_e32 v10, v10, v10
	v_max_num_f32_e32 v6, v6, v6
	s_delay_alu instid0(VALU_DEP_1)
	v_max_num_f32_e32 v6, v6, v10
	ds_store_b32 v5, v6 offset:256
.LBB69_14:
	s_or_b32 exec_lo, exec_lo, s0
	v_cmp_gt_u32_e64 s0, 4, v18
	v_dual_mov_b32 v11, 0xff7fffff :: v_dual_lshlrev_b32 v6, 2, v18
	s_wait_dscnt 0x0
	s_barrier_signal -1
	s_barrier_wait -1
	s_and_saveexec_b32 s1, s0
; %bb.15:
	ds_load_b32 v11, v6 offset:256
; %bb.16:
	s_or_b32 exec_lo, exec_lo, s1
	v_xor_b32_e32 v10, 2, v8
	v_dual_lshlrev_b32 v3, 2, v3 :: v_dual_bitop2_b32 v13, 1, v8 bitop3:0x14
	s_delay_alu instid0(VALU_DEP_2) | instskip(NEXT) | instid1(VALU_DEP_1)
	v_cmp_lt_i32_e64 s1, v10, v9
	v_cndmask_b32_e64 v10, v8, v10, s1
	s_delay_alu instid0(VALU_DEP_3) | instskip(NEXT) | instid1(VALU_DEP_1)
	v_cmp_lt_i32_e64 s1, v13, v9
	v_dual_lshlrev_b32 v10, 2, v10 :: v_dual_cndmask_b32 v9, v8, v13, s1
	s_lshl_b32 s1, s8, 3
	s_delay_alu instid0(SALU_CYCLE_1)
	s_min_i32 s5, s1, s23
	s_wait_dscnt 0x0
	ds_bpermute_b32 v12, v10, v11
	v_dual_max_num_f32 v11, v11, v11 :: v_dual_lshlrev_b32 v9, 2, v9
	v_cmp_gt_i32_e64 s1, s5, v0
	s_wait_dscnt 0x0
	v_max_num_f32_e32 v12, v12, v12
	s_delay_alu instid0(VALU_DEP_1) | instskip(SKIP_3) | instid1(VALU_DEP_1)
	v_max_num_f32_e32 v11, v11, v12
	ds_bpermute_b32 v12, v9, v11
	s_wait_dscnt 0x0
	v_max_num_f32_e32 v12, v12, v12
	v_max_num_f32_e32 v11, v11, v12
	ds_bpermute_b32 v11, v3, v11
	v_mov_b32_e32 v3, 0
	s_and_saveexec_b32 s17, s1
	s_cbranch_execz .LBB69_20
; %bb.17:
	v_lshl_add_u32 v12, v0, 2, 0x120
	v_dual_mov_b32 v3, 0 :: v_dual_mov_b32 v13, v0
	s_mov_b32 s24, 0
.LBB69_18:                              ; =>This Inner Loop Header: Depth=1
	ds_load_b32 v14, v12
	v_add_nc_u32_e32 v13, 0x80, v13
	s_delay_alu instid0(VALU_DEP_1) | instskip(SKIP_3) | instid1(VALU_DEP_1)
	v_cmp_le_i32_e64 s4, s5, v13
	s_or_b32 s24, s4, s24
	s_wait_dscnt 0x0
	v_sub_f32_e32 v14, v14, v11
	v_mul_f32_e32 v14, 0x3fb8aa3b, v14
	s_delay_alu instid0(VALU_DEP_1)
	v_exp_f32_e32 v14, v14
	ds_store_b32 v12, v14
	v_nop
	v_dual_add_f32 v3, v3, v14 :: v_dual_add_nc_u32 v12, 0x200, v12
	s_and_not1_b32 exec_lo, exec_lo, s24
	s_cbranch_execnz .LBB69_18
; %bb.19:
	s_or_b32 exec_lo, exec_lo, s24
.LBB69_20:
	s_delay_alu instid0(SALU_CYCLE_1)
	s_or_b32 exec_lo, exec_lo, s17
	ds_bpermute_b32 v2, v2, v3
	s_wait_dscnt 0x0
	v_add_f32_e32 v2, v3, v2
	ds_bpermute_b32 v3, v4, v2
	s_wait_dscnt 0x0
	v_add_f32_e32 v2, v2, v3
	;; [unrolled: 3-line block ×5, first 2 shown]
	s_and_saveexec_b32 s4, vcc_lo
; %bb.21:
	ds_store_b32 v5, v2 offset:272
; %bb.22:
	s_or_b32 exec_lo, exec_lo, s4
	s_wait_dscnt 0x0
	s_barrier_signal -1
	s_barrier_wait -1
	s_and_saveexec_b32 s4, s0
; %bb.23:
	ds_load_b32 v2, v6 offset:272
; %bb.24:
	s_or_b32 exec_lo, exec_lo, s4
	s_wait_dscnt 0x0
	ds_bpermute_b32 v3, v10, v2
	s_wait_dscnt 0x0
	v_dual_lshlrev_b32 v4, 2, v8 :: v_dual_add_f32 v2, v2, v3
	ds_bpermute_b32 v3, v9, v2
	s_wait_dscnt 0x0
	v_add_f32_e32 v2, v2, v3
	v_and_b32_e32 v3, 0xffffff80, v4
	ds_bpermute_b32 v2, v3, v2
	s_and_saveexec_b32 s0, s1
	s_cbranch_execz .LBB69_37
; %bb.25:
	s_wait_dscnt 0x0
	v_add_f32_e32 v2, 0x358637bd, v2
	s_mov_b32 s4, -1
	s_mov_b32 s1, exec_lo
	s_delay_alu instid0(VALU_DEP_1) | instskip(NEXT) | instid1(VALU_DEP_1)
	v_div_scale_f32 v3, null, v2, v2, 1.0
	v_rcp_f32_e32 v5, v3
	v_nop
	s_delay_alu instid0(TRANS32_DEP_1) | instskip(NEXT) | instid1(VALU_DEP_1)
	v_fma_f32 v4, -v3, v5, 1.0
	v_fmac_f32_e32 v5, v4, v5
	v_div_scale_f32 v6, vcc_lo, 1.0, v2, 1.0
	s_delay_alu instid0(VALU_DEP_1) | instskip(NEXT) | instid1(VALU_DEP_1)
	v_mul_f32_e32 v7, v6, v5
	v_fma_f32 v4, -v3, v7, v6
	s_delay_alu instid0(VALU_DEP_1) | instskip(SKIP_1) | instid1(VALU_DEP_2)
	v_fmac_f32_e32 v7, v4, v5
	v_xad_u32 v4, v0, -1, s5
	v_fma_f32 v3, -v3, v7, v6
	s_delay_alu instid0(VALU_DEP_1) | instskip(NEXT) | instid1(VALU_DEP_1)
	v_div_fmas_f32 v3, v3, v5, v7
	v_div_fixup_f32 v2, v3, v2, 1.0
	v_mov_b32_e32 v3, v0
	v_cmpx_lt_u32_e32 0x7f, v4
	s_cbranch_execz .LBB69_34
; %bb.26:
	s_delay_alu instid0(VALU_DEP_3) | instskip(NEXT) | instid1(VALU_DEP_1)
	v_dual_mov_b32 v3, v2 :: v_dual_lshrrev_b32 v4, 7, v4
	v_dual_mov_b32 v8, 0 :: v_dual_add_nc_u32 v5, -1, v4
	s_delay_alu instid0(VALU_DEP_1) | instskip(SKIP_1) | instid1(VALU_DEP_2)
	v_lshrrev_b32_e32 v6, 1, v5
	v_cmp_lt_u32_e32 vcc_lo, 13, v5
	v_add_nc_u32_e32 v5, 1, v6
	s_and_saveexec_b32 s4, vcc_lo
	s_cbranch_execz .LBB69_30
; %bb.27:
	s_delay_alu instid0(VALU_DEP_1)
	v_and_b32_e32 v6, -8, v5
	v_lshl_add_u32 v7, v0, 2, 0x120
	s_mov_b32 s17, 0
	s_mov_b32 s24, 0
.LBB69_28:                              ; =>This Inner Loop Header: Depth=1
	ds_load_2addr_stride64_b32 v[8:9], v7 offset1:2
	ds_load_2addr_stride64_b32 v[10:11], v7 offset0:4 offset1:6
	ds_load_2addr_stride64_b32 v[12:13], v7 offset0:8 offset1:10
	;; [unrolled: 1-line block ×7, first 2 shown]
	s_add_co_i32 s24, s24, 16
	v_add_nc_u32_e32 v6, -8, v6
	s_wait_dscnt 0x7
	v_pk_mul_f32 v[8:9], v[2:3], v[8:9]
	s_wait_dscnt 0x6
	v_pk_mul_f32 v[10:11], v[2:3], v[10:11]
	;; [unrolled: 2-line block ×8, first 2 shown]
	ds_store_2addr_stride64_b32 v7, v8, v9 offset1:2
	ds_store_2addr_stride64_b32 v7, v10, v11 offset0:4 offset1:6
	ds_store_2addr_stride64_b32 v7, v12, v13 offset0:8 offset1:10
	;; [unrolled: 1-line block ×7, first 2 shown]
	v_mov_b32_e32 v8, s24
	v_cmp_eq_u32_e32 vcc_lo, 0, v6
	v_add_nc_u32_e32 v7, 0x2000, v7
	s_or_b32 s17, vcc_lo, s17
	s_delay_alu instid0(SALU_CYCLE_1)
	s_and_not1_b32 exec_lo, exec_lo, s17
	s_cbranch_execnz .LBB69_28
; %bb.29:
	s_or_b32 exec_lo, exec_lo, s17
.LBB69_30:
	s_delay_alu instid0(SALU_CYCLE_1) | instskip(NEXT) | instid1(VALU_DEP_1)
	s_or_b32 exec_lo, exec_lo, s4
	v_and_b32_e32 v5, 7, v5
	s_mov_b32 s17, 0
	s_mov_b32 s4, exec_lo
	s_delay_alu instid0(VALU_DEP_1)
	v_cmpx_ne_u32_e32 0, v5
	s_cbranch_execz .LBB69_33
; %bb.31:
	v_lshlrev_b32_e32 v6, 9, v8
	v_lshlrev_b32_e32 v7, 2, v0
	s_delay_alu instid0(VALU_DEP_1)
	v_add3_u32 v6, v6, v7, 0x120
.LBB69_32:                              ; =>This Inner Loop Header: Depth=1
	ds_load_2addr_stride64_b32 v[8:9], v6 offset1:2
	v_add_nc_u32_e32 v5, -1, v5
	s_delay_alu instid0(VALU_DEP_1)
	v_cmp_eq_u32_e32 vcc_lo, 0, v5
	s_or_b32 s17, vcc_lo, s17
	s_wait_dscnt 0x0
	v_pk_mul_f32 v[8:9], v[2:3], v[8:9]
	ds_store_2addr_stride64_b32 v6, v8, v9 offset1:2
	v_add_nc_u32_e32 v6, 0x400, v6
	s_and_not1_b32 exec_lo, exec_lo, s17
	s_cbranch_execnz .LBB69_32
.LBB69_33:
	s_or_b32 exec_lo, exec_lo, s4
	v_add_nc_u32_e32 v3, 1, v4
	s_delay_alu instid0(VALU_DEP_1) | instskip(NEXT) | instid1(VALU_DEP_1)
	v_and_b32_e32 v4, 0x3fffffe, v3
	v_cmp_ne_u32_e32 vcc_lo, v3, v4
	v_lshl_add_u32 v3, v4, 7, v0
	s_or_not1_b32 s4, vcc_lo, exec_lo
.LBB69_34:
	s_or_b32 exec_lo, exec_lo, s1
	s_delay_alu instid0(SALU_CYCLE_1)
	s_and_b32 exec_lo, exec_lo, s4
	s_cbranch_execz .LBB69_37
; %bb.35:
	v_lshl_add_u32 v4, v3, 2, 0x120
	s_mov_b32 s1, 0
.LBB69_36:                              ; =>This Inner Loop Header: Depth=1
	ds_load_b32 v5, v4
	v_add_nc_u32_e32 v3, 0x80, v3
	s_delay_alu instid0(VALU_DEP_1)
	v_cmp_le_i32_e32 vcc_lo, s5, v3
	s_or_b32 s1, vcc_lo, s1
	s_wait_dscnt 0x0
	v_mul_f32_e32 v5, v2, v5
	ds_store_b32 v4, v5
	v_add_nc_u32_e32 v4, 0x200, v4
	s_and_not1_b32 exec_lo, exec_lo, s1
	s_cbranch_execnz .LBB69_36
.LBB69_37:
	s_or_b32 exec_lo, exec_lo, s0
	v_mov_b64_e32 v[6:7], 0
	v_mov_b64_e32 v[8:9], 0
	s_wait_dscnt 0x0
	s_barrier_signal -1
	s_barrier_wait -1
	s_and_saveexec_b32 s1, s3
	s_cbranch_execz .LBB69_49
; %bb.38:
	s_ashr_i32 s17, s16, 31
	v_dual_mov_b32 v7, 0 :: v_dual_lshlrev_b32 v6, 4, v18
	s_lshl_b64 s[16:17], s[16:17], 1
	s_lshl_b64 s[12:13], s[12:13], 2
	s_wait_kmcnt 0x0
	s_add_nc_u64 s[16:17], s[18:19], s[16:17]
	s_add_nc_u64 s[12:13], s[14:15], s[12:13]
	v_add_nc_u64_e32 v[10:11], s[16:17], v[6:7]
	v_and_b32_e32 v6, 0x7c, v1
	v_lshlrev_b32_e32 v19, 3, v17
	v_lshl_add_u32 v20, v17, 5, 0x120
	v_dual_mov_b32 v9, v7 :: v_dual_mov_b32 v8, v7
	s_delay_alu instid0(VALU_DEP_4)
	v_add_nc_u64_e32 v[12:13], s[12:13], v[6:7]
	v_dual_mov_b32 v6, v7 :: v_dual_mov_b32 v21, v17
	s_ashr_i32 s5, s9, 31
	s_mov_b32 s4, s9
	s_add_co_i32 s3, s8, -1
	s_mov_b32 s12, s23
	s_mov_b32 s9, 0
	s_branch .LBB69_40
.LBB69_39:                              ;   in Loop: Header=BB69_40 Depth=1
	s_or_b32 exec_lo, exec_lo, s0
	v_dual_lshlrev_b32 v14, 16, v14 :: v_dual_lshlrev_b32 v1, 16, v1
	s_delay_alu instid0(VALU_DEP_2) | instskip(SKIP_2) | instid1(VALU_DEP_4)
	v_lshlrev_b32_e32 v15, 16, v15
	v_add_nc_u64_e32 v[12:13], 16, v[12:13]
	v_add_nc_u32_e32 v20, 0x80, v20
	v_and_or_b32 v2, 0xffff, v2, v14
	v_and_or_b32 v1, 0xffff, v3, v1
	;; [unrolled: 1-line block ×3, first 2 shown]
	;;#ASMSTART
	v_pk_mul_f16 v2, v31, v2;

	;;#ASMEND
	;;#ASMSTART
	v_pk_mul_f16 v1, v30, v1;

	;;#ASMEND
	;; [unrolled: 4-line block ×4, first 2 shown]
	;;#ASMSTART
	v_pk_add_f16 v1, v2, v1;

	;;#ASMEND
	;;#ASMSTART
	v_pk_add_f16 v1, v1, v3;

	;;#ASMEND
	;; [unrolled: 4-line block ×3, first 2 shown]
	v_and_b32_e32 v4, 0xffff, v1
	v_lshrrev_b32_e32 v5, 16, v1
	v_dual_add_f32 v1, v16, v29 :: v_dual_add_f32 v3, v34, v35
	v_add_nc_u32_e32 v21, 4, v21
	;;#ASMSTART
	v_cvt_f32_f16 v4, v4;
	;;#ASMEND
	;;#ASMSTART
	v_cvt_f32_f16 v5, v5;
	;;#ASMEND
	v_add_f32_e32 v4, v4, v5
	v_add_f32_e32 v2, v36, v37
	;; [unrolled: 1-line block ×3, first 2 shown]
	v_cmp_le_i32_e32 vcc_lo, s8, v21
	v_dual_add_f32 v6, v6, v1 :: v_dual_add_nc_u32 v19, 32, v19
	s_delay_alu instid0(VALU_DEP_4) | instskip(SKIP_1) | instid1(SALU_CYCLE_1)
	v_dual_add_f32 v7, v7, v4 :: v_dual_add_f32 v9, v9, v2
	s_or_b32 s9, vcc_lo, s9
	s_and_not1_b32 exec_lo, exec_lo, s9
	s_cbranch_execz .LBB69_48
.LBB69_40:                              ; =>This Inner Loop Header: Depth=1
	global_load_b32 v2, v[12:13], off
	v_cmp_eq_u32_e32 vcc_lo, s3, v21
	v_dual_add_nc_u32 v27, 2, v19 :: v_dual_bitop2_b32 v26, 1, v19 bitop3:0x54
	s_wait_loadcnt 0x0
	v_ashrrev_i32_e32 v3, 31, v2
	s_delay_alu instid0(VALU_DEP_1)
	v_mul_u64_e32 v[14:15], s[4:5], v[2:3]
	ds_load_2addr_b64 v[2:5], v20 offset1:1
	ds_load_2addr_b64 v[22:25], v20 offset0:2 offset1:3
	s_wait_dscnt 0x1
	;;#ASMSTART
	v_cvt_f16_f32 v31, v2;

	;;#ASMEND
	;;#ASMSTART
	v_cvt_f16_f32 v30, v3;

	;;#ASMEND
	;; [unrolled: 4-line block ×4, first 2 shown]
	s_wait_dscnt 0x0
	;;#ASMSTART
	v_cvt_f16_f32 v37, v22;

	;;#ASMEND
	;;#ASMSTART
	v_cvt_f16_f32 v32, v23;

	;;#ASMEND
	;; [unrolled: 4-line block ×4, first 2 shown]
	v_dual_add_nc_u32 v23, 4, v19 :: v_dual_add_nc_u32 v22, 5, v19
	v_dual_add_nc_u32 v25, 6, v19 :: v_dual_add_nc_u32 v24, 7, v19
	v_lshl_add_u64 v[14:15], v[14:15], 1, v[10:11]
	global_load_b128 v[2:5], v[14:15], off
	s_wait_loadcnt 0x0
	v_dual_lshrrev_b32 v16, 16, v2 :: v_dual_bitop2_b32 v28, 3, v19 bitop3:0x54
	v_dual_lshrrev_b32 v1, 16, v3 :: v_dual_lshrrev_b32 v29, 16, v4
	s_and_saveexec_b32 s13, vcc_lo
	s_cbranch_execz .LBB69_42
; %bb.41:                               ;   in Loop: Header=BB69_40 Depth=1
	v_cmp_gt_i32_e64 s0, s23, v19
	v_and_b32_e32 v38, 0xffff, v5
	v_and_b32_e32 v5, 0xffff0000, v5
	s_delay_alu instid0(VALU_DEP_3) | instskip(SKIP_1) | instid1(VALU_DEP_1)
	v_cndmask_b32_e64 v2, 0, v2, s0
	v_cmp_gt_i32_e64 s0, s23, v27
	v_cndmask_b32_e64 v3, 0, v3, s0
	v_cmp_gt_i32_e64 s0, s12, v28
	s_delay_alu instid0(VALU_DEP_1) | instskip(SKIP_1) | instid1(VALU_DEP_1)
	v_cndmask_b32_e64 v1, 0, v1, s0
	v_cmp_gt_i32_e64 s0, s23, v26
	v_cndmask_b32_e64 v16, 0, v16, s0
	v_cmp_gt_i32_e64 s0, s23, v25
	s_delay_alu instid0(VALU_DEP_1) | instskip(SKIP_1) | instid1(VALU_DEP_1)
	;; [unrolled: 5-line block ×3, first 2 shown]
	v_dual_cndmask_b32 v4, 0, v4, s0 :: v_dual_bitop2_b32 v5, v38, v5 bitop3:0x54
	v_cmp_gt_i32_e64 s0, s23, v22
	v_cndmask_b32_e64 v29, 0, v29, s0
.LBB69_42:                              ;   in Loop: Header=BB69_40 Depth=1
	s_or_b32 exec_lo, exec_lo, s13
	v_and_b32_e32 v31, 0xffff, v31
	v_and_b32_e32 v36, 0xffff, v36
	v_dual_lshlrev_b32 v16, 16, v16 :: v_dual_lshlrev_b32 v1, 16, v1
	v_lshlrev_b32_e32 v29, 16, v29
	v_and_b32_e32 v37, 0xffff, v37
	v_lshl_or_b32 v31, v30, 16, v31
	v_lshl_or_b32 v30, v34, 16, v36
	v_and_b32_e32 v34, 0xffff, v35
	v_and_or_b32 v2, 0xffff, v2, v16
	v_and_or_b32 v1, 0xffff, v3, v1
	;; [unrolled: 1-line block ×3, first 2 shown]
	;;#ASMSTART
	v_pk_mul_f16 v2, v31, v2;

	;;#ASMEND
	;;#ASMSTART
	v_pk_mul_f16 v1, v30, v1;

	;;#ASMEND
	v_lshl_or_b32 v32, v32, 16, v37
	v_lshl_or_b32 v33, v33, 16, v34
	;;#ASMSTART
	v_pk_mul_f16 v3, v32, v3;

	;;#ASMEND
	;;#ASMSTART
	v_pk_mul_f16 v4, v33, v5;

	;;#ASMEND
	;;#ASMSTART
	v_pk_add_f16 v1, v2, v1;

	;;#ASMEND
	;;#ASMSTART
	v_pk_add_f16 v1, v1, v3;
	;; [unrolled: 4-line block ×3, first 2 shown]

	;;#ASMEND
	v_and_b32_e32 v2, 0xffff, v1
	v_lshrrev_b32_e32 v1, 16, v1
	;;#ASMSTART
	v_cvt_f32_f16 v34, v2;
	;;#ASMEND
	;;#ASMSTART
	v_cvt_f32_f16 v35, v1;
	;;#ASMEND
	global_load_b128 v[2:5], v[14:15], off offset:512
	s_wait_loadcnt 0x0
	v_dual_lshrrev_b32 v1, 16, v3 :: v_dual_lshrrev_b32 v16, 16, v2
	v_lshrrev_b32_e32 v29, 16, v4
	s_and_saveexec_b32 s13, vcc_lo
	s_cbranch_execz .LBB69_44
; %bb.43:                               ;   in Loop: Header=BB69_40 Depth=1
	v_cmp_gt_i32_e64 s0, s23, v19
	v_and_b32_e32 v36, 0xffff, v5
	v_and_b32_e32 v5, 0xffff0000, v5
	s_delay_alu instid0(VALU_DEP_3) | instskip(SKIP_1) | instid1(VALU_DEP_1)
	v_cndmask_b32_e64 v2, 0, v2, s0
	v_cmp_gt_i32_e64 s0, s23, v27
	v_cndmask_b32_e64 v3, 0, v3, s0
	v_cmp_gt_i32_e64 s0, s12, v28
	s_delay_alu instid0(VALU_DEP_1) | instskip(SKIP_1) | instid1(VALU_DEP_1)
	v_cndmask_b32_e64 v1, 0, v1, s0
	v_cmp_gt_i32_e64 s0, s23, v26
	v_cndmask_b32_e64 v16, 0, v16, s0
	v_cmp_gt_i32_e64 s0, s23, v25
	s_delay_alu instid0(VALU_DEP_1) | instskip(SKIP_1) | instid1(VALU_DEP_1)
	;; [unrolled: 5-line block ×3, first 2 shown]
	v_dual_cndmask_b32 v4, 0, v4, s0 :: v_dual_bitop2_b32 v5, v36, v5 bitop3:0x54
	v_cmp_gt_i32_e64 s0, s23, v22
	v_cndmask_b32_e64 v29, 0, v29, s0
.LBB69_44:                              ;   in Loop: Header=BB69_40 Depth=1
	s_or_b32 exec_lo, exec_lo, s13
	v_dual_lshlrev_b32 v16, 16, v16 :: v_dual_lshlrev_b32 v1, 16, v1
	s_delay_alu instid0(VALU_DEP_2) | instskip(NEXT) | instid1(VALU_DEP_2)
	v_lshlrev_b32_e32 v29, 16, v29
	v_and_or_b32 v2, 0xffff, v2, v16
	s_delay_alu instid0(VALU_DEP_3) | instskip(NEXT) | instid1(VALU_DEP_3)
	v_and_or_b32 v1, 0xffff, v3, v1
	v_and_or_b32 v3, 0xffff, v4, v29
	;;#ASMSTART
	v_pk_mul_f16 v2, v31, v2;

	;;#ASMEND
	;;#ASMSTART
	v_pk_mul_f16 v1, v30, v1;

	;;#ASMEND
	;;#ASMSTART
	v_pk_mul_f16 v3, v32, v3;

	;;#ASMEND
	;;#ASMSTART
	v_pk_mul_f16 v4, v33, v5;

	;;#ASMEND
	;;#ASMSTART
	v_pk_add_f16 v1, v2, v1;

	;;#ASMEND
	;;#ASMSTART
	v_pk_add_f16 v1, v1, v3;

	;;#ASMEND
	;; [unrolled: 4-line block ×3, first 2 shown]
	v_and_b32_e32 v2, 0xffff, v1
	v_lshrrev_b32_e32 v1, 16, v1
	;;#ASMSTART
	v_cvt_f32_f16 v36, v2;
	;;#ASMEND
	;;#ASMSTART
	v_cvt_f32_f16 v37, v1;
	;;#ASMEND
	global_load_b128 v[2:5], v[14:15], off offset:1024
	s_wait_loadcnt 0x0
	v_dual_lshrrev_b32 v1, 16, v3 :: v_dual_lshrrev_b32 v16, 16, v2
	v_lshrrev_b32_e32 v29, 16, v4
	s_and_saveexec_b32 s13, vcc_lo
	s_cbranch_execz .LBB69_46
; %bb.45:                               ;   in Loop: Header=BB69_40 Depth=1
	v_cmp_gt_i32_e64 s0, s23, v19
	v_and_b32_e32 v38, 0xffff, v5
	v_and_b32_e32 v5, 0xffff0000, v5
	s_delay_alu instid0(VALU_DEP_3) | instskip(SKIP_1) | instid1(VALU_DEP_1)
	v_cndmask_b32_e64 v2, 0, v2, s0
	v_cmp_gt_i32_e64 s0, s23, v27
	v_cndmask_b32_e64 v3, 0, v3, s0
	v_cmp_gt_i32_e64 s0, s12, v28
	s_delay_alu instid0(VALU_DEP_1) | instskip(SKIP_1) | instid1(VALU_DEP_1)
	v_cndmask_b32_e64 v1, 0, v1, s0
	v_cmp_gt_i32_e64 s0, s23, v26
	v_cndmask_b32_e64 v16, 0, v16, s0
	v_cmp_gt_i32_e64 s0, s23, v25
	s_delay_alu instid0(VALU_DEP_1) | instskip(SKIP_1) | instid1(VALU_DEP_1)
	;; [unrolled: 5-line block ×3, first 2 shown]
	v_dual_cndmask_b32 v4, 0, v4, s0 :: v_dual_bitop2_b32 v5, v38, v5 bitop3:0x54
	v_cmp_gt_i32_e64 s0, s23, v22
	v_cndmask_b32_e64 v29, 0, v29, s0
.LBB69_46:                              ;   in Loop: Header=BB69_40 Depth=1
	s_or_b32 exec_lo, exec_lo, s13
	v_dual_lshlrev_b32 v16, 16, v16 :: v_dual_lshlrev_b32 v1, 16, v1
	s_delay_alu instid0(VALU_DEP_2) | instskip(NEXT) | instid1(VALU_DEP_2)
	v_lshlrev_b32_e32 v29, 16, v29
	v_and_or_b32 v2, 0xffff, v2, v16
	s_delay_alu instid0(VALU_DEP_3) | instskip(NEXT) | instid1(VALU_DEP_3)
	v_and_or_b32 v1, 0xffff, v3, v1
	v_and_or_b32 v3, 0xffff, v4, v29
	;;#ASMSTART
	v_pk_mul_f16 v2, v31, v2;

	;;#ASMEND
	;;#ASMSTART
	v_pk_mul_f16 v1, v30, v1;

	;;#ASMEND
	;; [unrolled: 4-line block ×4, first 2 shown]
	;;#ASMSTART
	v_pk_add_f16 v1, v2, v1;

	;;#ASMEND
	;;#ASMSTART
	v_pk_add_f16 v1, v1, v3;

	;;#ASMEND
	;; [unrolled: 4-line block ×3, first 2 shown]
	v_and_b32_e32 v2, 0xffff, v1
	v_lshrrev_b32_e32 v1, 16, v1
	;;#ASMSTART
	v_cvt_f32_f16 v16, v2;
	;;#ASMEND
	;;#ASMSTART
	v_cvt_f32_f16 v29, v1;
	;;#ASMEND
	global_load_b128 v[2:5], v[14:15], off offset:1536
	s_wait_loadcnt 0x0
	v_dual_lshrrev_b32 v1, 16, v3 :: v_dual_lshrrev_b32 v14, 16, v2
	v_lshrrev_b32_e32 v15, 16, v4
	s_and_saveexec_b32 s0, vcc_lo
	s_cbranch_execz .LBB69_39
; %bb.47:                               ;   in Loop: Header=BB69_40 Depth=1
	v_cmp_gt_i32_e32 vcc_lo, s23, v19
	v_cndmask_b32_e32 v2, 0, v2, vcc_lo
	v_cmp_gt_i32_e32 vcc_lo, s23, v27
	v_and_b32_e32 v27, 0xffff, v5
	v_and_b32_e32 v5, 0xffff0000, v5
	v_cndmask_b32_e32 v3, 0, v3, vcc_lo
	v_cmp_gt_i32_e32 vcc_lo, s12, v28
	v_cndmask_b32_e32 v1, 0, v1, vcc_lo
	v_cmp_gt_i32_e32 vcc_lo, s23, v26
	;; [unrolled: 2-line block ×5, first 2 shown]
	s_delay_alu instid0(VALU_DEP_2)
	v_dual_cndmask_b32 v4, 0, v4, vcc_lo :: v_dual_bitop2_b32 v5, v25, v5 bitop3:0x54
	v_cmp_gt_i32_e32 vcc_lo, s23, v22
	v_cndmask_b32_e32 v15, 0, v15, vcc_lo
	s_branch .LBB69_39
.LBB69_48:
	s_or_b32 exec_lo, exec_lo, s9
.LBB69_49:
	s_delay_alu instid0(SALU_CYCLE_1) | instskip(SKIP_4) | instid1(VALU_DEP_2)
	s_or_b32 exec_lo, exec_lo, s1
	v_lshl_add_u32 v2, v18, 2, 0x120
	v_and_b32_e32 v3, 0x3c0, v0
	s_mov_b32 s0, exec_lo
	s_barrier_signal -1
	v_lshl_add_u32 v1, v17, 9, v2
	s_barrier_wait -1
	v_cmpx_eq_u32_e32 64, v3
	s_cbranch_execz .LBB69_51
; %bb.50:
	s_delay_alu instid0(VALU_DEP_2)
	v_add_nc_u32_e32 v3, 0xfffffc00, v1
	v_add_nc_u32_e32 v4, 0xfffffc80, v1
	;; [unrolled: 1-line block ×4, first 2 shown]
	ds_store_b32 v3, v8
	ds_store_b32 v4, v9
	;; [unrolled: 1-line block ×4, first 2 shown]
.LBB69_51:
	s_or_b32 exec_lo, exec_lo, s0
	s_wait_dscnt 0x0
	s_barrier_signal -1
	s_barrier_wait -1
	s_and_saveexec_b32 s0, s2
	s_cbranch_execz .LBB69_53
; %bb.52:
	ds_load_2addr_b32 v[4:5], v1 offset1:32
	ds_load_2addr_b32 v[10:11], v1 offset0:64 offset1:96
	s_wait_dscnt 0x1
	v_pk_add_f32 v[8:9], v[8:9], v[4:5]
	s_wait_dscnt 0x0
	v_pk_add_f32 v[6:7], v[6:7], v[10:11]
.LBB69_53:
	s_or_b32 exec_lo, exec_lo, s0
	v_and_b32_e32 v3, 0x3e0, v0
	s_mov_b32 s0, exec_lo
	s_barrier_signal -1
	s_barrier_wait -1
	s_delay_alu instid0(VALU_DEP_1)
	v_cmpx_eq_u32_e32 32, v3
	s_cbranch_execz .LBB69_55
; %bb.54:
	ds_store_2addr_b32 v2, v8, v9 offset1:32
	ds_store_2addr_b32 v2, v6, v7 offset0:64 offset1:96
.LBB69_55:
	s_or_b32 exec_lo, exec_lo, s0
	v_cmp_gt_u32_e32 vcc_lo, 32, v0
	s_wait_dscnt 0x0
	s_barrier_signal -1
	s_barrier_wait -1
	s_and_saveexec_b32 s0, vcc_lo
	s_cbranch_execz .LBB69_57
; %bb.56:
	ds_load_2addr_b32 v[2:3], v1 offset1:32
	ds_load_2addr_b32 v[4:5], v1 offset0:64 offset1:96
	s_wait_dscnt 0x1
	v_pk_add_f32 v[8:9], v[8:9], v[2:3]
	s_wait_dscnt 0x0
	v_pk_add_f32 v[6:7], v[6:7], v[4:5]
.LBB69_57:
	s_or_b32 exec_lo, exec_lo, s0
	s_barrier_signal -1
	s_barrier_wait -1
	s_and_saveexec_b32 s0, vcc_lo
	s_cbranch_execz .LBB69_59
; %bb.58:
	s_wait_kmcnt 0x0
	s_mul_i32 s1, s22, s7
	s_bfe_u32 s5, ttmp6, 0x40014
	s_mul_i32 s1, s1, s21
	s_mul_i32 s0, s7, s6
	s_lshl_b32 s2, s1, 7
	s_lshr_b32 s4, ttmp7, 16
	s_add_co_i32 s5, s5, 1
	s_ashr_i32 s3, s2, 31
	s_ashr_i32 s1, s0, 31
	s_mul_i32 s5, s4, s5
	s_bfe_u32 s6, ttmp6, 0x40008
	s_lshl_b64 s[2:3], s[2:3], 1
	s_lshl_b64 s[0:1], s[0:1], 1
	s_add_co_i32 s6, s6, s5
	s_add_nc_u64 s[2:3], s[10:11], s[2:3]
	s_cmp_eq_u32 s20, 0
	s_add_nc_u64 s[0:1], s[2:3], s[0:1]
	s_cselect_b32 s2, s4, s6
	s_mov_b32 s3, 0
	s_lshl_b32 s2, s2, 8
	;;#ASMSTART
	v_cvt_f16_f32 v1, v8;

	;;#ASMEND
	s_add_nc_u64 s[0:1], s[0:1], s[2:3]
	global_store_b16 v0, v1, s[0:1] scale_offset
	s_wait_xcnt 0x0
	;;#ASMSTART
	v_cvt_f16_f32 v1, v9;

	;;#ASMEND
	global_store_b16 v0, v1, s[0:1] offset:64 scale_offset
	s_wait_xcnt 0x0
	;;#ASMSTART
	v_cvt_f16_f32 v1, v6;

	;;#ASMEND
	global_store_b16 v0, v1, s[0:1] offset:128 scale_offset
	;; [unrolled: 6-line block ×3, first 2 shown]
.LBB69_59:
	s_sendmsg sendmsg(MSG_DEALLOC_VGPRS)
	s_endpgm
	.section	.rodata,"a",@progbits
	.p2align	6, 0x0
	.amdhsa_kernel _ZN4vllm25paged_attention_v1_kernelIttLi128ELi8ELi128ELNS_18Fp8KVCacheDataTypeE0ELb0EEEvPT_PKS2_PKT0_S8_ifPKiSA_iPKfiiiSC_SC_iiiii
		.amdhsa_group_segment_fixed_size 288
		.amdhsa_private_segment_fixed_size 0
		.amdhsa_kernarg_size 384
		.amdhsa_user_sgpr_count 2
		.amdhsa_user_sgpr_dispatch_ptr 0
		.amdhsa_user_sgpr_queue_ptr 0
		.amdhsa_user_sgpr_kernarg_segment_ptr 1
		.amdhsa_user_sgpr_dispatch_id 0
		.amdhsa_user_sgpr_kernarg_preload_length 0
		.amdhsa_user_sgpr_kernarg_preload_offset 0
		.amdhsa_user_sgpr_private_segment_size 0
		.amdhsa_wavefront_size32 1
		.amdhsa_uses_dynamic_stack 0
		.amdhsa_enable_private_segment 0
		.amdhsa_system_sgpr_workgroup_id_x 1
		.amdhsa_system_sgpr_workgroup_id_y 1
		.amdhsa_system_sgpr_workgroup_id_z 1
		.amdhsa_system_sgpr_workgroup_info 0
		.amdhsa_system_vgpr_workitem_id 0
		.amdhsa_next_free_vgpr 70
		.amdhsa_next_free_sgpr 28
		.amdhsa_named_barrier_count 0
		.amdhsa_reserve_vcc 1
		.amdhsa_float_round_mode_32 0
		.amdhsa_float_round_mode_16_64 0
		.amdhsa_float_denorm_mode_32 3
		.amdhsa_float_denorm_mode_16_64 3
		.amdhsa_fp16_overflow 0
		.amdhsa_memory_ordered 1
		.amdhsa_forward_progress 1
		.amdhsa_inst_pref_size 44
		.amdhsa_round_robin_scheduling 0
		.amdhsa_exception_fp_ieee_invalid_op 0
		.amdhsa_exception_fp_denorm_src 0
		.amdhsa_exception_fp_ieee_div_zero 0
		.amdhsa_exception_fp_ieee_overflow 0
		.amdhsa_exception_fp_ieee_underflow 0
		.amdhsa_exception_fp_ieee_inexact 0
		.amdhsa_exception_int_div_zero 0
	.end_amdhsa_kernel
	.section	.text._ZN4vllm25paged_attention_v1_kernelIttLi128ELi8ELi128ELNS_18Fp8KVCacheDataTypeE0ELb0EEEvPT_PKS2_PKT0_S8_ifPKiSA_iPKfiiiSC_SC_iiiii,"axG",@progbits,_ZN4vllm25paged_attention_v1_kernelIttLi128ELi8ELi128ELNS_18Fp8KVCacheDataTypeE0ELb0EEEvPT_PKS2_PKT0_S8_ifPKiSA_iPKfiiiSC_SC_iiiii,comdat
.Lfunc_end69:
	.size	_ZN4vllm25paged_attention_v1_kernelIttLi128ELi8ELi128ELNS_18Fp8KVCacheDataTypeE0ELb0EEEvPT_PKS2_PKT0_S8_ifPKiSA_iPKfiiiSC_SC_iiiii, .Lfunc_end69-_ZN4vllm25paged_attention_v1_kernelIttLi128ELi8ELi128ELNS_18Fp8KVCacheDataTypeE0ELb0EEEvPT_PKS2_PKT0_S8_ifPKiSA_iPKfiiiSC_SC_iiiii
                                        ; -- End function
	.set _ZN4vllm25paged_attention_v1_kernelIttLi128ELi8ELi128ELNS_18Fp8KVCacheDataTypeE0ELb0EEEvPT_PKS2_PKT0_S8_ifPKiSA_iPKfiiiSC_SC_iiiii.num_vgpr, 70
	.set _ZN4vllm25paged_attention_v1_kernelIttLi128ELi8ELi128ELNS_18Fp8KVCacheDataTypeE0ELb0EEEvPT_PKS2_PKT0_S8_ifPKiSA_iPKfiiiSC_SC_iiiii.num_agpr, 0
	.set _ZN4vllm25paged_attention_v1_kernelIttLi128ELi8ELi128ELNS_18Fp8KVCacheDataTypeE0ELb0EEEvPT_PKS2_PKT0_S8_ifPKiSA_iPKfiiiSC_SC_iiiii.numbered_sgpr, 28
	.set _ZN4vllm25paged_attention_v1_kernelIttLi128ELi8ELi128ELNS_18Fp8KVCacheDataTypeE0ELb0EEEvPT_PKS2_PKT0_S8_ifPKiSA_iPKfiiiSC_SC_iiiii.num_named_barrier, 0
	.set _ZN4vllm25paged_attention_v1_kernelIttLi128ELi8ELi128ELNS_18Fp8KVCacheDataTypeE0ELb0EEEvPT_PKS2_PKT0_S8_ifPKiSA_iPKfiiiSC_SC_iiiii.private_seg_size, 0
	.set _ZN4vllm25paged_attention_v1_kernelIttLi128ELi8ELi128ELNS_18Fp8KVCacheDataTypeE0ELb0EEEvPT_PKS2_PKT0_S8_ifPKiSA_iPKfiiiSC_SC_iiiii.uses_vcc, 1
	.set _ZN4vllm25paged_attention_v1_kernelIttLi128ELi8ELi128ELNS_18Fp8KVCacheDataTypeE0ELb0EEEvPT_PKS2_PKT0_S8_ifPKiSA_iPKfiiiSC_SC_iiiii.uses_flat_scratch, 0
	.set _ZN4vllm25paged_attention_v1_kernelIttLi128ELi8ELi128ELNS_18Fp8KVCacheDataTypeE0ELb0EEEvPT_PKS2_PKT0_S8_ifPKiSA_iPKfiiiSC_SC_iiiii.has_dyn_sized_stack, 0
	.set _ZN4vllm25paged_attention_v1_kernelIttLi128ELi8ELi128ELNS_18Fp8KVCacheDataTypeE0ELb0EEEvPT_PKS2_PKT0_S8_ifPKiSA_iPKfiiiSC_SC_iiiii.has_recursion, 0
	.set _ZN4vllm25paged_attention_v1_kernelIttLi128ELi8ELi128ELNS_18Fp8KVCacheDataTypeE0ELb0EEEvPT_PKS2_PKT0_S8_ifPKiSA_iPKfiiiSC_SC_iiiii.has_indirect_call, 0
	.section	.AMDGPU.csdata,"",@progbits
; Kernel info:
; codeLenInByte = 5576
; TotalNumSgprs: 30
; NumVgprs: 70
; ScratchSize: 0
; MemoryBound: 0
; FloatMode: 240
; IeeeMode: 1
; LDSByteSize: 288 bytes/workgroup (compile time only)
; SGPRBlocks: 0
; VGPRBlocks: 4
; NumSGPRsForWavesPerEU: 30
; NumVGPRsForWavesPerEU: 70
; NamedBarCnt: 0
; Occupancy: 12
; WaveLimiterHint : 1
; COMPUTE_PGM_RSRC2:SCRATCH_EN: 0
; COMPUTE_PGM_RSRC2:USER_SGPR: 2
; COMPUTE_PGM_RSRC2:TRAP_HANDLER: 0
; COMPUTE_PGM_RSRC2:TGID_X_EN: 1
; COMPUTE_PGM_RSRC2:TGID_Y_EN: 1
; COMPUTE_PGM_RSRC2:TGID_Z_EN: 1
; COMPUTE_PGM_RSRC2:TIDIG_COMP_CNT: 0
	.section	.text._ZN4vllm25paged_attention_v1_kernelIttLi192ELi8ELi128ELNS_18Fp8KVCacheDataTypeE0ELb0EEEvPT_PKS2_PKT0_S8_ifPKiSA_iPKfiiiSC_SC_iiiii,"axG",@progbits,_ZN4vllm25paged_attention_v1_kernelIttLi192ELi8ELi128ELNS_18Fp8KVCacheDataTypeE0ELb0EEEvPT_PKS2_PKT0_S8_ifPKiSA_iPKfiiiSC_SC_iiiii,comdat
	.protected	_ZN4vllm25paged_attention_v1_kernelIttLi192ELi8ELi128ELNS_18Fp8KVCacheDataTypeE0ELb0EEEvPT_PKS2_PKT0_S8_ifPKiSA_iPKfiiiSC_SC_iiiii ; -- Begin function _ZN4vllm25paged_attention_v1_kernelIttLi192ELi8ELi128ELNS_18Fp8KVCacheDataTypeE0ELb0EEEvPT_PKS2_PKT0_S8_ifPKiSA_iPKfiiiSC_SC_iiiii
	.globl	_ZN4vllm25paged_attention_v1_kernelIttLi192ELi8ELi128ELNS_18Fp8KVCacheDataTypeE0ELb0EEEvPT_PKS2_PKT0_S8_ifPKiSA_iPKfiiiSC_SC_iiiii
	.p2align	8
	.type	_ZN4vllm25paged_attention_v1_kernelIttLi192ELi8ELi128ELNS_18Fp8KVCacheDataTypeE0ELb0EEEvPT_PKS2_PKT0_S8_ifPKiSA_iPKfiiiSC_SC_iiiii,@function
_ZN4vllm25paged_attention_v1_kernelIttLi192ELi8ELi128ELNS_18Fp8KVCacheDataTypeE0ELb0EEEvPT_PKS2_PKT0_S8_ifPKiSA_iPKfiiiSC_SC_iiiii: ; @_ZN4vllm25paged_attention_v1_kernelIttLi192ELi8ELi128ELNS_18Fp8KVCacheDataTypeE0ELb0EEEvPT_PKS2_PKT0_S8_ifPKiSA_iPKfiiiSC_SC_iiiii
; %bb.0:
	s_load_b64 s[6:7], s[0:1], 0x20
	s_bfe_u32 s3, ttmp6, 0x4000c
	s_bfe_u32 s5, ttmp6, 0x40010
	s_and_b32 s4, ttmp7, 0xffff
	s_add_co_i32 s3, s3, 1
	s_add_co_i32 s5, s5, 1
	s_and_b32 s2, ttmp6, 15
	s_bfe_u32 s8, ttmp6, 0x40004
	s_mul_i32 s3, ttmp9, s3
	s_mul_i32 s5, s4, s5
	s_getreg_b32 s18, hwreg(HW_REG_IB_STS2, 6, 4)
	s_add_co_i32 s2, s2, s3
	s_add_co_i32 s3, s8, s5
	s_cmp_eq_u32 s18, 0
	s_clause 0x1
	s_load_b32 s19, s[0:1], 0x80
	s_load_b64 s[8:9], s[0:1], 0x30
	s_cselect_b32 s20, s4, s3
	s_cselect_b32 s2, ttmp9, s2
	s_wait_kmcnt 0x0
	s_abs_i32 s3, s6
	s_delay_alu instid0(SALU_CYCLE_1) | instskip(SKIP_1) | instid1(SALU_CYCLE_2)
	s_cvt_f32_u32 s4, s3
	s_sub_co_i32 s5, 0, s3
	v_rcp_iflag_f32_e32 v1, s4
	s_abs_i32 s10, s19
	v_nop
	s_delay_alu instid0(TRANS32_DEP_1) | instskip(SKIP_1) | instid1(SALU_CYCLE_3)
	v_readfirstlane_b32 s4, v1
	s_mul_f32 s4, s4, 0x4f7ffffe
	s_cvt_u32_f32 s4, s4
	s_delay_alu instid0(SALU_CYCLE_3) | instskip(NEXT) | instid1(SALU_CYCLE_1)
	s_mul_i32 s5, s5, s4
	s_mul_hi_u32 s5, s4, s5
	s_delay_alu instid0(SALU_CYCLE_1) | instskip(SKIP_4) | instid1(SALU_CYCLE_1)
	s_add_co_i32 s4, s4, s5
	s_xor_b32 s5, s19, s6
	s_mul_hi_u32 s4, s10, s4
	s_ashr_i32 s5, s5, 31
	s_mul_i32 s6, s4, s3
	s_sub_co_i32 s6, s10, s6
	s_add_co_i32 s10, s4, 1
	s_sub_co_i32 s11, s6, s3
	s_cmp_ge_u32 s6, s3
	s_cselect_b32 s4, s10, s4
	s_cselect_b32 s6, s11, s6
	s_add_co_i32 s10, s4, 1
	s_cmp_ge_u32 s6, s3
	s_mov_b32 s11, 0
	s_cselect_b32 s3, s10, s4
	s_abs_i32 s10, s2
	s_xor_b32 s3, s3, s5
	s_mov_b32 s13, s11
	s_sub_co_i32 s15, s3, s5
	s_load_b64 s[4:5], s[0:1], 0x40
	s_abs_i32 s14, s15
	s_mov_b32 s23, s11
	s_cvt_f32_u32 s3, s14
	s_sub_co_i32 s6, 0, s14
	s_delay_alu instid0(SALU_CYCLE_2) | instskip(SKIP_1) | instid1(TRANS32_DEP_1)
	v_rcp_iflag_f32_e32 v1, s3
	v_nop
	v_readfirstlane_b32 s3, v1
	s_mul_f32 s3, s3, 0x4f7ffffe
	s_delay_alu instid0(SALU_CYCLE_3) | instskip(NEXT) | instid1(SALU_CYCLE_3)
	s_cvt_u32_f32 s3, s3
	s_mul_i32 s6, s6, s3
	s_delay_alu instid0(SALU_CYCLE_1) | instskip(NEXT) | instid1(SALU_CYCLE_1)
	s_mul_hi_u32 s6, s3, s6
	s_add_co_i32 s12, s3, s6
	s_wait_kmcnt 0x0
	s_cmp_eq_u64 s[4:5], 0
	s_cbranch_scc1 .LBB70_2
; %bb.1:
	s_ashr_i32 s3, s2, 31
	s_delay_alu instid0(SALU_CYCLE_1) | instskip(NEXT) | instid1(SALU_CYCLE_1)
	s_lshl_b64 s[16:17], s[2:3], 2
	s_add_nc_u64 s[4:5], s[4:5], s[16:17]
	s_load_b32 s23, s[4:5], 0x0
.LBB70_2:
	s_load_b32 s21, s[8:9], s20 offset:0x0 scale_offset
	s_wait_xcnt 0x0
	s_load_b96 s[4:6], s[0:1], 0x48
	v_and_b32_e32 v4, 3, v0
	s_ashr_i32 s3, s2, 31
	s_ashr_i32 s15, s15, 31
	s_mul_u64 s[12:13], s[10:11], s[12:13]
	s_mul_i32 s8, s2, 0xc0
	s_mov_b32 s2, exec_lo
	v_cmpx_gt_u32_e32 0x60, v0
	s_cbranch_execz .LBB70_4
; %bb.3:
	s_load_b64 s[16:17], s[0:1], 0x8
	s_wait_kmcnt 0x0
	s_mul_i32 s24, s4, s20
	s_ashr_i32 s9, s8, 31
	s_ashr_i32 s25, s24, 31
	v_and_b32_e32 v2, 0x3fc, v0
	s_lshl_b64 s[24:25], s[24:25], 1
	s_delay_alu instid0(VALU_DEP_1) | instskip(SKIP_2) | instid1(SALU_CYCLE_1)
	v_mad_u32_u24 v2, 0x60, v4, v2
	s_add_nc_u64 s[16:17], s[16:17], s[24:25]
	s_lshl_b64 s[24:25], s[8:9], 1
	s_add_nc_u64 s[16:17], s[16:17], s[24:25]
	global_load_b32 v1, v0, s[16:17] scale_offset
	s_wait_loadcnt 0x0
	ds_store_b32 v2, v1
.LBB70_4:
	s_or_b32 exec_lo, exec_lo, s2
	s_wait_kmcnt 0x0
	s_add_co_i32 s2, s21, 7
	s_load_b32 s4, s[0:1], 0x38
	s_ashr_i32 s9, s2, 31
	s_mul_i32 s11, s13, s14
	s_lshr_b32 s9, s9, 29
	s_xor_b32 s3, s3, s15
	s_add_co_i32 s2, s2, s9
	s_sub_co_i32 s9, s10, s11
	s_ashr_i32 s22, s2, 3
	s_add_co_i32 s2, s13, 1
	s_sub_co_i32 s10, s9, s14
	s_cmp_ge_u32 s9, s14
	v_lshrrev_b32_e32 v19, 5, v0
	s_cselect_b32 s2, s2, s13
	s_cselect_b32 s9, s10, s9
	s_add_co_i32 s10, s2, 1
	s_cmp_ge_u32 s9, s14
	v_mbcnt_lo_u32_b32 v8, -1, 0
	s_cselect_b32 s2, s10, s2
	s_wait_dscnt 0x0
	s_xor_b32 s2, s2, s3
	s_wait_kmcnt 0x0
	s_mul_i32 s10, s4, s20
	s_sub_co_i32 s3, s2, s3
	v_cmp_gt_i32_e64 s2, s22, v19
	s_ashr_i32 s11, s10, 31
	s_mov_b32 s4, exec_lo
	s_barrier_signal -1
	s_barrier_wait -1
                                        ; implicit-def: $vgpr3
                                        ; implicit-def: $vgpr9
	v_cmpx_le_i32_e64 s22, v19
	s_xor_b32 s4, exec_lo, s4
; %bb.5:
	v_dual_mov_b32 v3, 0 :: v_dual_mov_b32 v9, 32
	v_mbcnt_lo_u32_b32 v8, -1, 0
                                        ; implicit-def: $vgpr4
; %bb.6:
	s_or_saveexec_b32 s24, s4
	s_clause 0x1
	s_load_b64 s[12:13], s[0:1], 0x28
	s_load_b32 s9, s[0:1], 0x88
	v_dual_mov_b32 v10, 0xff7fffff :: v_dual_lshrrev_b32 v1, 3, v0
	s_mul_i32 s14, s3, s6
	s_xor_b32 exec_lo, exec_lo, s24
	s_cbranch_execz .LBB70_12
; %bb.7:
	s_load_b64 s[26:27], s[0:1], 0x10
	v_bfe_u32 v6, v0, 2, 3
	s_ashr_i32 s15, s14, 31
	v_dual_mov_b32 v3, 0 :: v_dual_lshlrev_b32 v7, 2, v0
	s_lshl_b64 s[28:29], s[14:15], 1
	s_delay_alu instid0(VALU_DEP_2)
	v_dual_lshlrev_b32 v2, 4, v6 :: v_dual_lshlrev_b32 v12, 2, v6
	v_mul_u32_u24_e32 v11, 0x60, v4
	v_cmp_eq_u32_e32 vcc_lo, 0, v4
	s_ashr_i32 s17, s5, 31
	s_cmp_neq_f32 s23, 0
	v_dual_mov_b32 v10, 0xff7fffff :: v_dual_mov_b32 v15, v19
	v_xor_b32_e32 v14, 1, v8
	s_cselect_b32 s3, -1, 0
	s_mov_b32 s16, s5
	s_mov_b32 s6, 0
	s_sub_co_i32 s15, 1, s21
	v_mov_b32_e32 v9, 32
	s_wait_kmcnt 0x0
	s_add_nc_u64 s[26:27], s[26:27], s[28:29]
	s_delay_alu instid0(SALU_CYCLE_1)
	v_add_nc_u64_e32 v[4:5], s[26:27], v[2:3]
	v_and_b32_e32 v2, 12, v7
	v_lshl_or_b32 v7, v19, 5, v12
	s_lshl_b64 s[26:27], s[10:11], 2
	v_lshl_or_b32 v12, v19, 3, v6
	s_add_nc_u64 s[26:27], s[12:13], s[26:27]
	s_delay_alu instid0(VALU_DEP_2) | instskip(SKIP_2) | instid1(VALU_DEP_1)
	v_add_nc_u32_e32 v13, 0x1a0, v7
	v_add_nc_u64_e32 v[4:5], v[4:5], v[2:3]
	v_and_b32_e32 v2, 0x7c, v1
	v_add_nc_u64_e32 v[6:7], s[26:27], v[2:3]
	v_xor_b32_e32 v2, 2, v8
	s_branch .LBB70_9
.LBB70_8:                               ;   in Loop: Header=BB70_9 Depth=1
	s_or_b32 exec_lo, exec_lo, s25
	v_dual_add_nc_u32 v15, 4, v15 :: v_dual_add_nc_u32 v12, 32, v12
	v_add_nc_u64_e32 v[6:7], 16, v[6:7]
	v_add_nc_u32_e32 v13, 0x80, v13
	s_delay_alu instid0(VALU_DEP_3) | instskip(SKIP_1) | instid1(SALU_CYCLE_1)
	v_cmp_le_i32_e64 s4, s22, v15
	s_or_b32 s6, s4, s6
	s_and_not1_b32 exec_lo, exec_lo, s6
	s_cbranch_execz .LBB70_11
.LBB70_9:                               ; =>This Inner Loop Header: Depth=1
	global_load_b32 v16, v[6:7], off
	v_cmp_gt_i32_e64 s4, 32, v2
	s_wait_loadcnt_dscnt 0x0
	v_ashrrev_i32_e32 v17, 31, v16
	s_delay_alu instid0(VALU_DEP_1) | instskip(NEXT) | instid1(VALU_DEP_1)
	v_mul_u64_e32 v[16:17], s[16:17], v[16:17]
	v_lshl_add_u64 v[34:35], v[16:17], 1, v[4:5]
	s_clause 0xa
	global_load_b32 v16, v[34:35], off
	global_load_b32 v33, v[34:35], off offset:128
	global_load_b32 v36, v[34:35], off offset:256
	;; [unrolled: 1-line block ×10, first 2 shown]
	ds_load_b32 v17, v11
	s_clause 0x4
	global_load_b32 v31, v[34:35], off offset:1408
	global_load_b32 v30, v[34:35], off offset:1536
	;; [unrolled: 1-line block ×5, first 2 shown]
	s_wait_dscnt 0x0
	v_lshrrev_b32_e32 v42, 16, v17
	v_and_b32_e32 v43, 0xffff, v17
	s_wait_loadcnt 0xf
	v_and_b32_e32 v44, 0xffff, v16
	v_lshrrev_b32_e32 v45, 16, v16
	s_clause 0x7
	global_load_b32 v24, v[34:35], off offset:2048
	global_load_b32 v23, v[34:35], off offset:2176
	;; [unrolled: 1-line block ×8, first 2 shown]
	;;#ASMSTART
	v_cvt_f32_f16 v46, v43;
	;;#ASMEND
	;;#ASMSTART
	v_cvt_f32_f16 v57, v42;
	;;#ASMEND
	;; [unrolled: 3-line block ×4, first 2 shown]
	s_wait_xcnt 0x0
	ds_load_b32 v34, v11 offset:4
	s_wait_loadcnt 0x16
	v_and_b32_e32 v42, 0xffff, v33
	v_lshrrev_b32_e32 v33, 16, v33
	s_wait_dscnt 0x0
	v_and_b32_e32 v35, 0xffff, v34
	v_lshrrev_b32_e32 v34, 16, v34
	;;#ASMSTART
	v_cvt_f32_f16 v45, v35;
	;;#ASMEND
	;;#ASMSTART
	v_cvt_f32_f16 v68, v34;
	;;#ASMEND
	;; [unrolled: 3-line block ×3, first 2 shown]
	s_wait_loadcnt 0x15
	v_and_b32_e32 v35, 0xffff, v36
	v_lshrrev_b32_e32 v36, 16, v36
	;;#ASMSTART
	v_cvt_f32_f16 v70, v33;
	;;#ASMEND
	ds_load_b32 v33, v11 offset:8
	s_wait_dscnt 0x0
	v_and_b32_e32 v34, 0xffff, v33
	v_lshrrev_b32_e32 v33, 16, v33
	;;#ASMSTART
	v_cvt_f32_f16 v64, v34;
	;;#ASMEND
	;;#ASMSTART
	v_cvt_f32_f16 v61, v33;
	;;#ASMEND
	;; [unrolled: 3-line block ×4, first 2 shown]
	ds_load_b32 v33, v11 offset:12
	s_wait_loadcnt 0x14
	v_and_b32_e32 v35, 0xffff, v37
	s_wait_loadcnt 0x12
	v_dual_lshrrev_b32 v36, 16, v37 :: v_dual_lshrrev_b32 v37, 16, v39
	s_wait_dscnt 0x0
	v_and_b32_e32 v34, 0xffff, v33
	v_lshrrev_b32_e32 v33, 16, v33
	;;#ASMSTART
	v_cvt_f32_f16 v65, v34;
	;;#ASMEND
	;;#ASMSTART
	v_cvt_f32_f16 v50, v33;
	;;#ASMEND
	;; [unrolled: 3-line block ×4, first 2 shown]
	ds_load_b32 v33, v11 offset:16
	v_and_b32_e32 v35, 0xffff, v38
	v_lshrrev_b32_e32 v36, 16, v38
	s_wait_loadcnt 0x11
	v_and_b32_e32 v38, 0xffff, v40
	v_lshrrev_b32_e32 v40, 16, v40
	s_wait_dscnt 0x0
	v_and_b32_e32 v34, 0xffff, v33
	v_lshrrev_b32_e32 v33, 16, v33
	;;#ASMSTART
	v_cvt_f32_f16 v55, v34;
	;;#ASMEND
	;;#ASMSTART
	v_cvt_f32_f16 v49, v33;
	;;#ASMEND
	;; [unrolled: 3-line block ×4, first 2 shown]
	ds_load_b32 v33, v11 offset:20
	v_and_b32_e32 v35, 0xffff, v39
	s_wait_dscnt 0x0
	v_and_b32_e32 v34, 0xffff, v33
	v_lshrrev_b32_e32 v33, 16, v33
	;;#ASMSTART
	v_cvt_f32_f16 v36, v34;
	;;#ASMEND
	;;#ASMSTART
	v_cvt_f32_f16 v33, v33;
	;;#ASMEND
	;; [unrolled: 3-line block ×4, first 2 shown]
	ds_load_b32 v35, v11 offset:24
	s_wait_dscnt 0x0
	v_and_b32_e32 v37, 0xffff, v35
	v_lshrrev_b32_e32 v35, 16, v35
	;;#ASMSTART
	v_cvt_f32_f16 v60, v37;
	;;#ASMEND
	;;#ASMSTART
	v_cvt_f32_f16 v43, v35;
	;;#ASMEND
	;; [unrolled: 3-line block ×4, first 2 shown]
	ds_load_b32 v35, v11 offset:28
	s_wait_loadcnt 0x10
	v_and_b32_e32 v38, 0xffff, v41
	v_lshrrev_b32_e32 v40, 16, v41
	s_wait_dscnt 0x0
	v_and_b32_e32 v37, 0xffff, v35
	v_lshrrev_b32_e32 v35, 16, v35
	;;#ASMSTART
	v_cvt_f32_f16 v51, v37;
	;;#ASMEND
	;;#ASMSTART
	v_cvt_f32_f16 v47, v35;
	;;#ASMEND
	;; [unrolled: 3-line block ×4, first 2 shown]
	ds_load_b32 v35, v11 offset:32
	s_wait_loadcnt 0xf
	v_and_b32_e32 v40, 0xffff, v26
	v_lshrrev_b32_e32 v26, 16, v26
	s_wait_dscnt 0x0
	v_and_b32_e32 v37, 0xffff, v35
	v_lshrrev_b32_e32 v35, 16, v35
	;;#ASMSTART
	v_cvt_f32_f16 v41, v37;
	;;#ASMEND
	;;#ASMSTART
	v_cvt_f32_f16 v38, v35;
	;;#ASMEND
	;; [unrolled: 3-line block ×4, first 2 shown]
	ds_load_b32 v35, v11 offset:36
	s_wait_loadcnt 0xc
	v_dual_mul_f32 v26, v45, v69 :: v_dual_lshrrev_b32 v69, 16, v31
	s_delay_alu instid0(VALU_DEP_1)
	v_fmac_f32_e32 v26, v46, v59
	v_and_b32_e32 v46, 0xffff, v28
	v_lshrrev_b32_e32 v28, 16, v28
	s_wait_dscnt 0x0
	v_and_b32_e32 v37, 0xffff, v35
	v_lshrrev_b32_e32 v35, 16, v35
	;;#ASMSTART
	v_cvt_f32_f16 v45, v37;
	;;#ASMEND
	;;#ASMSTART
	v_cvt_f32_f16 v35, v35;
	;;#ASMEND
	;; [unrolled: 3-line block ×4, first 2 shown]
	ds_load_b32 v59, v11 offset:40
	v_dual_mul_f32 v28, v68, v70 :: v_dual_lshrrev_b32 v68, 16, v32
	s_delay_alu instid0(VALU_DEP_1)
	v_dual_fmac_f32 v26, v64, v67 :: v_dual_fmac_f32 v28, v57, v58
	s_wait_dscnt 0x0
	v_lshrrev_b32_e32 v58, 16, v59
	v_and_b32_e32 v57, 0xffff, v59
	v_and_b32_e32 v59, 0xffff, v32
	;;#ASMSTART
	v_cvt_f32_f16 v32, v57;
	;;#ASMEND
	;;#ASMSTART
	v_cvt_f32_f16 v57, v58;
	;;#ASMEND
	;;#ASMSTART
	v_cvt_f32_f16 v58, v59;
	;;#ASMEND
	;;#ASMSTART
	v_cvt_f32_f16 v59, v68;
	;;#ASMEND
	ds_load_b32 v68, v11 offset:44
	v_fmac_f32_e32 v28, v61, v63
	s_wait_dscnt 0x0
	v_and_b32_e32 v64, 0xffff, v68
	v_lshrrev_b32_e32 v67, 16, v68
	v_and_b32_e32 v68, 0xffff, v31
	;;#ASMSTART
	v_cvt_f32_f16 v31, v64;
	;;#ASMEND
	;;#ASMSTART
	v_cvt_f32_f16 v61, v67;
	;;#ASMEND
	;; [unrolled: 3-line block ×4, first 2 shown]
	ds_load_b32 v67, v11 offset:48
	s_wait_dscnt 0x0
	v_dual_fmac_f32 v26, v65, v66 :: v_dual_lshrrev_b32 v66, 16, v67
	v_and_b32_e32 v65, 0xffff, v67
	s_wait_loadcnt 0xb
	v_and_b32_e32 v67, 0xffff, v30
	v_lshrrev_b32_e32 v30, 16, v30
	;;#ASMSTART
	v_cvt_f32_f16 v65, v65;
	;;#ASMEND
	;;#ASMSTART
	v_cvt_f32_f16 v66, v66;
	;;#ASMEND
	;; [unrolled: 3-line block ×4, first 2 shown]
	ds_load_b32 v30, v11 offset:52
	v_fmac_f32_e32 v28, v50, v54
	s_wait_loadcnt 0xa
	v_and_b32_e32 v54, 0xffff, v29
	v_dual_fmac_f32 v26, v55, v56 :: v_dual_lshrrev_b32 v29, 16, v29
	s_delay_alu instid0(VALU_DEP_3)
	v_fmac_f32_e32 v28, v49, v53
	s_wait_loadcnt 0x9
	v_and_b32_e32 v53, 0xffff, v27
	v_lshrrev_b32_e32 v27, 16, v27
	v_fmac_f32_e32 v26, v36, v39
	s_wait_loadcnt 0x8
	v_and_b32_e32 v39, 0xffff, v25
	v_dual_fmac_f32 v28, v33, v34 :: v_dual_lshrrev_b32 v25, 16, v25
	s_delay_alu instid0(VALU_DEP_3) | instskip(SKIP_3) | instid1(VALU_DEP_3)
	v_fmac_f32_e32 v26, v60, v62
	s_wait_loadcnt 0x7
	v_and_b32_e32 v60, 0xffff, v24
	v_lshrrev_b32_e32 v24, 16, v24
	v_fmac_f32_e32 v26, v51, v52
	s_wait_dscnt 0x0
	v_and_b32_e32 v50, 0xffff, v30
	v_lshrrev_b32_e32 v30, 16, v30
	;;#ASMSTART
	v_cvt_f32_f16 v50, v50;
	;;#ASMEND
	;;#ASMSTART
	v_cvt_f32_f16 v30, v30;
	;;#ASMEND
	;;#ASMSTART
	v_cvt_f32_f16 v54, v54;
	;;#ASMEND
	;;#ASMSTART
	v_cvt_f32_f16 v55, v29;
	;;#ASMEND
	ds_load_b32 v29, v11 offset:56
	s_wait_dscnt 0x0
	v_and_b32_e32 v49, 0xffff, v29
	v_lshrrev_b32_e32 v29, 16, v29
	;;#ASMSTART
	v_cvt_f32_f16 v49, v49;
	;;#ASMEND
	;;#ASMSTART
	v_cvt_f32_f16 v29, v29;
	;;#ASMEND
	;;#ASMSTART
	v_cvt_f32_f16 v53, v53;
	;;#ASMEND
	;;#ASMSTART
	v_cvt_f32_f16 v56, v27;
	;;#ASMEND
	ds_load_b32 v27, v11 offset:60
	;; [unrolled: 16-line block ×4, first 2 shown]
	v_fmac_f32_e32 v28, v43, v44
	s_wait_loadcnt 0x6
	v_and_b32_e32 v44, 0xffff, v23
	s_delay_alu instid0(VALU_DEP_2)
	v_dual_fmac_f32 v28, v47, v48 :: v_dual_lshrrev_b32 v23, 16, v23
	s_wait_loadcnt 0x5
	v_and_b32_e32 v48, 0xffff, v22
	v_lshrrev_b32_e32 v22, 16, v22
	v_fmac_f32_e32 v26, v41, v42
	s_wait_loadcnt 0x4
	v_and_b32_e32 v42, 0xffff, v21
	v_dual_fmac_f32 v28, v38, v40 :: v_dual_lshrrev_b32 v21, 16, v21
	s_delay_alu instid0(VALU_DEP_3) | instskip(SKIP_2) | instid1(VALU_DEP_3)
	v_fmac_f32_e32 v26, v45, v46
	s_wait_loadcnt 0x3
	v_and_b32_e32 v45, 0xffff, v20
	v_dual_lshrrev_b32 v20, 16, v20 :: v_dual_fmac_f32 v28, v35, v37
	s_delay_alu instid0(VALU_DEP_3)
	v_fmac_f32_e32 v26, v32, v58
	s_wait_dscnt 0x0
	v_and_b32_e32 v43, 0xffff, v24
	v_lshrrev_b32_e32 v24, 16, v24
	;;#ASMSTART
	v_cvt_f32_f16 v43, v43;
	;;#ASMEND
	;;#ASMSTART
	v_cvt_f32_f16 v24, v24;
	;;#ASMEND
	;; [unrolled: 3-line block ×4, first 2 shown]
	ds_load_b32 v23, v11 offset:72
	s_wait_loadcnt 0x2
	v_dual_fmac_f32 v28, v57, v59 :: v_dual_lshrrev_b32 v32, 16, v18
	v_fmac_f32_e32 v26, v31, v63
	v_and_b32_e32 v18, 0xffff, v18
	s_delay_alu instid0(VALU_DEP_3) | instskip(NEXT) | instid1(VALU_DEP_3)
	v_fmac_f32_e32 v28, v61, v64
	v_fmac_f32_e32 v26, v65, v67
	s_delay_alu instid0(VALU_DEP_1) | instskip(NEXT) | instid1(VALU_DEP_1)
	v_fmac_f32_e32 v26, v50, v54
	v_dual_fmac_f32 v28, v66, v68 :: v_dual_fmac_f32 v26, v49, v53
	s_delay_alu instid0(VALU_DEP_1)
	v_fmac_f32_e32 v28, v30, v55
	s_wait_dscnt 0x0
	v_and_b32_e32 v47, 0xffff, v23
	v_lshrrev_b32_e32 v23, 16, v23
	;;#ASMSTART
	v_cvt_f32_f16 v47, v47;
	;;#ASMEND
	;;#ASMSTART
	v_cvt_f32_f16 v23, v23;
	;;#ASMEND
	;; [unrolled: 3-line block ×4, first 2 shown]
	ds_load_b32 v22, v11 offset:76
	v_fmac_f32_e32 v26, v33, v34
	v_fmac_f32_e32 v28, v29, v56
	s_wait_loadcnt 0x1
	s_delay_alu instid0(VALU_DEP_1) | instskip(NEXT) | instid1(VALU_DEP_3)
	v_dual_fmac_f32 v28, v27, v36 :: v_dual_lshrrev_b32 v27, 16, v17
	v_fmac_f32_e32 v26, v39, v60
	v_and_b32_e32 v17, 0xffff, v17
	s_delay_alu instid0(VALU_DEP_2) | instskip(NEXT) | instid1(VALU_DEP_1)
	v_dual_fmac_f32 v28, v25, v62 :: v_dual_fmac_f32 v26, v43, v44
	v_dual_fmac_f32 v28, v24, v51 :: v_dual_fmac_f32 v26, v47, v48
	s_wait_dscnt 0x0
	v_and_b32_e32 v41, 0xffff, v22
	v_lshrrev_b32_e32 v22, 16, v22
	;;#ASMSTART
	v_cvt_f32_f16 v38, v41;
	;;#ASMEND
	;;#ASMSTART
	v_cvt_f32_f16 v22, v22;
	;;#ASMEND
	;; [unrolled: 3-line block ×4, first 2 shown]
	ds_load_b32 v21, v11 offset:80
	s_wait_dscnt 0x0
	v_and_b32_e32 v42, 0xffff, v21
	v_lshrrev_b32_e32 v21, 16, v21
	;;#ASMSTART
	v_cvt_f32_f16 v42, v42;
	;;#ASMEND
	;;#ASMSTART
	v_cvt_f32_f16 v21, v21;
	;;#ASMEND
	;; [unrolled: 3-line block ×4, first 2 shown]
	ds_load_b32 v20, v11 offset:84
	v_fmac_f32_e32 v26, v38, v40
	s_delay_alu instid0(VALU_DEP_1) | instskip(NEXT) | instid1(VALU_DEP_1)
	v_dual_fmac_f32 v28, v23, v52 :: v_dual_fmac_f32 v26, v42, v45
	v_fmac_f32_e32 v28, v22, v41
	s_wait_dscnt 0x0
	v_and_b32_e32 v31, 0xffff, v20
	v_lshrrev_b32_e32 v20, 16, v20
	;;#ASMSTART
	v_cvt_f32_f16 v31, v31;
	;;#ASMEND
	;;#ASMSTART
	v_cvt_f32_f16 v20, v20;
	;;#ASMEND
	;; [unrolled: 3-line block ×4, first 2 shown]
	ds_load_b32 v18, v11 offset:88
	v_fmac_f32_e32 v26, v31, v35
	s_wait_dscnt 0x0
	v_and_b32_e32 v25, 0xffff, v18
	v_lshrrev_b32_e32 v18, 16, v18
	;;#ASMSTART
	v_cvt_f32_f16 v24, v25;
	;;#ASMEND
	;;#ASMSTART
	v_cvt_f32_f16 v25, v18;
	;;#ASMEND
	;; [unrolled: 3-line block ×4, first 2 shown]
	ds_load_b32 v17, v11 offset:92
	v_cndmask_b32_e64 v18, v8, v2, s4
	s_wait_loadcnt 0x0
	v_dual_fmac_f32 v28, v21, v46 :: v_dual_lshrrev_b32 v21, 16, v16
	v_and_b32_e32 v16, 0xffff, v16
	v_cmp_gt_i32_e64 s4, 32, v14
	s_delay_alu instid0(VALU_DEP_3) | instskip(SKIP_3) | instid1(VALU_DEP_3)
	v_fmac_f32_e32 v28, v20, v32
	s_wait_dscnt 0x0
	v_and_b32_e32 v20, 0xffff, v17
	v_lshrrev_b32_e32 v17, 16, v17
	v_dual_fmac_f32 v26, v24, v29 :: v_dual_fmac_f32 v28, v25, v27
	;;#ASMSTART
	v_cvt_f32_f16 v20, v20;
	;;#ASMEND
	;;#ASMSTART
	v_cvt_f32_f16 v17, v17;
	;;#ASMEND
	;; [unrolled: 3-line block ×4, first 2 shown]
	v_dual_fmac_f32 v26, v20, v16 :: v_dual_fmac_f32 v28, v17, v21
	s_delay_alu instid0(VALU_DEP_1) | instskip(SKIP_3) | instid1(VALU_DEP_1)
	v_dual_add_f32 v17, v26, v28 :: v_dual_lshlrev_b32 v16, 2, v18
	ds_bpermute_b32 v16, v16, v17
	s_wait_dscnt 0x0
	v_dual_cndmask_b32 v18, v8, v14, s4 :: v_dual_add_f32 v16, v17, v16
	v_lshlrev_b32_e32 v17, 2, v18
	ds_bpermute_b32 v17, v17, v16
	s_and_saveexec_b32 s25, vcc_lo
	s_cbranch_execz .LBB70_8
; %bb.10:                               ;   in Loop: Header=BB70_9 Depth=1
	s_wait_dscnt 0x0
	v_dual_add_nc_u32 v18, s15, v12 :: v_dual_add_f32 v16, v16, v17
	v_cmp_gt_i32_e64 s4, s21, v12
	s_delay_alu instid0(VALU_DEP_2) | instskip(NEXT) | instid1(VALU_DEP_1)
	v_cvt_f32_i32_e32 v18, v18
	v_mul_f32_e32 v18, s23, v18
	s_delay_alu instid0(VALU_DEP_1) | instskip(NEXT) | instid1(VALU_DEP_1)
	v_cndmask_b32_e64 v17, 0, v18, s3
	v_dual_fmac_f32 v17, s7, v16 :: v_dual_max_num_f32 v18, v10, v10
	s_delay_alu instid0(VALU_DEP_1) | instskip(NEXT) | instid1(VALU_DEP_1)
	v_dual_max_num_f32 v16, v18, v17 :: v_dual_cndmask_b32 v17, 0, v17, s4
	v_cndmask_b32_e64 v10, v10, v16, s4
	ds_store_b32 v13, v17
	s_branch .LBB70_8
.LBB70_11:
	s_or_b32 exec_lo, exec_lo, s6
.LBB70_12:
	s_delay_alu instid0(SALU_CYCLE_1)
	s_or_b32 exec_lo, exec_lo, s24
	v_dual_max_num_f32 v6, v10, v10 :: v_dual_bitop2_b32 v2, 16, v8 bitop3:0x14
	s_clause 0x1
	s_load_b64 s[6:7], s[0:1], 0x0
	s_load_b64 s[16:17], s[0:1], 0x18
	v_and_b32_e32 v20, 31, v0
	v_xor_b32_e32 v5, 8, v8
	v_cmp_lt_i32_e32 vcc_lo, v2, v9
	v_cndmask_b32_e32 v2, v8, v2, vcc_lo
	s_delay_alu instid0(VALU_DEP_3) | instskip(NEXT) | instid1(VALU_DEP_2)
	v_cmp_lt_i32_e32 vcc_lo, v5, v9
	v_dual_cndmask_b32 v5, v8, v5 :: v_dual_lshlrev_b32 v2, 2, v2
	ds_bpermute_b32 v4, v2, v10
	s_wait_dscnt 0x0
	v_dual_max_num_f32 v7, v4, v4 :: v_dual_lshlrev_b32 v4, 2, v5
	s_delay_alu instid0(VALU_DEP_1) | instskip(SKIP_4) | instid1(VALU_DEP_1)
	v_dual_max_num_f32 v5, v6, v7 :: v_dual_bitop2_b32 v7, 4, v8 bitop3:0x14
	ds_bpermute_b32 v6, v4, v5
	v_cmp_lt_i32_e32 vcc_lo, v7, v9
	v_cndmask_b32_e32 v7, v8, v7, vcc_lo
	s_wait_dscnt 0x0
	v_dual_max_num_f32 v6, v6, v6 :: v_dual_lshlrev_b32 v7, 2, v7
	s_delay_alu instid0(VALU_DEP_1)
	v_dual_max_num_f32 v6, v5, v6 :: v_dual_lshlrev_b32 v5, 2, v19
	v_cmp_eq_u32_e32 vcc_lo, 0, v20
	ds_bpermute_b32 v10, v7, v6
	s_wait_xcnt 0x0
	s_and_saveexec_b32 s0, vcc_lo
	s_cbranch_execz .LBB70_14
; %bb.13:
	s_wait_dscnt 0x0
	v_max_num_f32_e32 v10, v10, v10
	v_max_num_f32_e32 v6, v6, v6
	s_delay_alu instid0(VALU_DEP_1)
	v_max_num_f32_e32 v6, v6, v10
	ds_store_b32 v5, v6 offset:384
.LBB70_14:
	s_or_b32 exec_lo, exec_lo, s0
	v_cmp_gt_u32_e64 s0, 4, v20
	v_dual_mov_b32 v11, 0xff7fffff :: v_dual_lshlrev_b32 v6, 2, v20
	s_wait_dscnt 0x0
	s_barrier_signal -1
	s_barrier_wait -1
	s_and_saveexec_b32 s1, s0
; %bb.15:
	ds_load_b32 v11, v6 offset:384
; %bb.16:
	s_or_b32 exec_lo, exec_lo, s1
	v_xor_b32_e32 v10, 2, v8
	v_dual_lshlrev_b32 v3, 2, v3 :: v_dual_bitop2_b32 v13, 1, v8 bitop3:0x14
	s_delay_alu instid0(VALU_DEP_2) | instskip(NEXT) | instid1(VALU_DEP_1)
	v_cmp_lt_i32_e64 s1, v10, v9
	v_cndmask_b32_e64 v10, v8, v10, s1
	s_delay_alu instid0(VALU_DEP_3) | instskip(NEXT) | instid1(VALU_DEP_1)
	v_cmp_lt_i32_e64 s1, v13, v9
	v_dual_lshlrev_b32 v10, 2, v10 :: v_dual_cndmask_b32 v9, v8, v13, s1
	s_lshl_b32 s1, s22, 3
	s_delay_alu instid0(SALU_CYCLE_1)
	s_min_i32 s4, s1, s21
	s_wait_dscnt 0x0
	ds_bpermute_b32 v12, v10, v11
	v_dual_max_num_f32 v11, v11, v11 :: v_dual_lshlrev_b32 v9, 2, v9
	v_cmp_gt_i32_e64 s1, s4, v0
	s_wait_dscnt 0x0
	v_max_num_f32_e32 v12, v12, v12
	s_delay_alu instid0(VALU_DEP_1) | instskip(SKIP_3) | instid1(VALU_DEP_1)
	v_max_num_f32_e32 v11, v11, v12
	ds_bpermute_b32 v12, v9, v11
	s_wait_dscnt 0x0
	v_max_num_f32_e32 v12, v12, v12
	v_max_num_f32_e32 v11, v11, v12
	ds_bpermute_b32 v11, v3, v11
	v_mov_b32_e32 v3, 0
	s_and_saveexec_b32 s15, s1
	s_cbranch_execz .LBB70_20
; %bb.17:
	v_lshl_add_u32 v12, v0, 2, 0x1a0
	v_dual_mov_b32 v3, 0 :: v_dual_mov_b32 v13, v0
	s_mov_b32 s23, 0
.LBB70_18:                              ; =>This Inner Loop Header: Depth=1
	ds_load_b32 v14, v12
	v_add_nc_u32_e32 v13, 0x80, v13
	s_delay_alu instid0(VALU_DEP_1) | instskip(SKIP_3) | instid1(VALU_DEP_1)
	v_cmp_le_i32_e64 s3, s4, v13
	s_or_b32 s23, s3, s23
	s_wait_dscnt 0x0
	v_sub_f32_e32 v14, v14, v11
	v_mul_f32_e32 v14, 0x3fb8aa3b, v14
	s_delay_alu instid0(VALU_DEP_1)
	v_exp_f32_e32 v14, v14
	ds_store_b32 v12, v14
	v_nop
	v_dual_add_f32 v3, v3, v14 :: v_dual_add_nc_u32 v12, 0x200, v12
	s_and_not1_b32 exec_lo, exec_lo, s23
	s_cbranch_execnz .LBB70_18
; %bb.19:
	s_or_b32 exec_lo, exec_lo, s23
.LBB70_20:
	s_delay_alu instid0(SALU_CYCLE_1)
	s_or_b32 exec_lo, exec_lo, s15
	ds_bpermute_b32 v2, v2, v3
	s_wait_dscnt 0x0
	v_add_f32_e32 v2, v3, v2
	ds_bpermute_b32 v3, v4, v2
	s_wait_dscnt 0x0
	v_add_f32_e32 v2, v2, v3
	;; [unrolled: 3-line block ×5, first 2 shown]
	s_and_saveexec_b32 s3, vcc_lo
; %bb.21:
	ds_store_b32 v5, v2 offset:400
; %bb.22:
	s_or_b32 exec_lo, exec_lo, s3
	s_wait_dscnt 0x0
	s_barrier_signal -1
	s_barrier_wait -1
	s_and_saveexec_b32 s3, s0
; %bb.23:
	ds_load_b32 v2, v6 offset:400
; %bb.24:
	s_or_b32 exec_lo, exec_lo, s3
	s_wait_dscnt 0x0
	ds_bpermute_b32 v3, v10, v2
	s_wait_dscnt 0x0
	v_dual_lshlrev_b32 v4, 2, v8 :: v_dual_add_f32 v2, v2, v3
	ds_bpermute_b32 v3, v9, v2
	s_wait_dscnt 0x0
	v_add_f32_e32 v2, v2, v3
	v_and_b32_e32 v3, 0xffffff80, v4
	ds_bpermute_b32 v2, v3, v2
	s_and_saveexec_b32 s0, s1
	s_cbranch_execz .LBB70_37
; %bb.25:
	s_wait_dscnt 0x0
	v_add_f32_e32 v2, 0x358637bd, v2
	s_mov_b32 s3, -1
	s_mov_b32 s1, exec_lo
	s_delay_alu instid0(VALU_DEP_1) | instskip(NEXT) | instid1(VALU_DEP_1)
	v_div_scale_f32 v3, null, v2, v2, 1.0
	v_rcp_f32_e32 v5, v3
	v_nop
	s_delay_alu instid0(TRANS32_DEP_1) | instskip(NEXT) | instid1(VALU_DEP_1)
	v_fma_f32 v4, -v3, v5, 1.0
	v_fmac_f32_e32 v5, v4, v5
	v_div_scale_f32 v6, vcc_lo, 1.0, v2, 1.0
	s_delay_alu instid0(VALU_DEP_1) | instskip(NEXT) | instid1(VALU_DEP_1)
	v_mul_f32_e32 v7, v6, v5
	v_fma_f32 v4, -v3, v7, v6
	s_delay_alu instid0(VALU_DEP_1) | instskip(SKIP_1) | instid1(VALU_DEP_2)
	v_fmac_f32_e32 v7, v4, v5
	v_xad_u32 v4, v0, -1, s4
	v_fma_f32 v3, -v3, v7, v6
	s_delay_alu instid0(VALU_DEP_1) | instskip(NEXT) | instid1(VALU_DEP_1)
	v_div_fmas_f32 v3, v3, v5, v7
	v_div_fixup_f32 v2, v3, v2, 1.0
	v_mov_b32_e32 v3, v0
	v_cmpx_lt_u32_e32 0x7f, v4
	s_cbranch_execz .LBB70_34
; %bb.26:
	s_delay_alu instid0(VALU_DEP_3) | instskip(NEXT) | instid1(VALU_DEP_1)
	v_dual_mov_b32 v3, v2 :: v_dual_lshrrev_b32 v4, 7, v4
	v_dual_mov_b32 v8, 0 :: v_dual_add_nc_u32 v5, -1, v4
	s_delay_alu instid0(VALU_DEP_1) | instskip(SKIP_1) | instid1(VALU_DEP_2)
	v_lshrrev_b32_e32 v6, 1, v5
	v_cmp_lt_u32_e32 vcc_lo, 13, v5
	v_add_nc_u32_e32 v5, 1, v6
	s_and_saveexec_b32 s3, vcc_lo
	s_cbranch_execz .LBB70_30
; %bb.27:
	s_delay_alu instid0(VALU_DEP_1)
	v_and_b32_e32 v6, -8, v5
	v_lshl_add_u32 v7, v0, 2, 0x1a0
	s_mov_b32 s15, 0
	s_mov_b32 s23, 0
.LBB70_28:                              ; =>This Inner Loop Header: Depth=1
	ds_load_2addr_stride64_b32 v[8:9], v7 offset1:2
	ds_load_2addr_stride64_b32 v[10:11], v7 offset0:4 offset1:6
	ds_load_2addr_stride64_b32 v[12:13], v7 offset0:8 offset1:10
	;; [unrolled: 1-line block ×7, first 2 shown]
	s_add_co_i32 s23, s23, 16
	v_add_nc_u32_e32 v6, -8, v6
	s_wait_dscnt 0x7
	v_pk_mul_f32 v[8:9], v[2:3], v[8:9]
	s_wait_dscnt 0x6
	v_pk_mul_f32 v[10:11], v[2:3], v[10:11]
	;; [unrolled: 2-line block ×8, first 2 shown]
	ds_store_2addr_stride64_b32 v7, v8, v9 offset1:2
	ds_store_2addr_stride64_b32 v7, v10, v11 offset0:4 offset1:6
	ds_store_2addr_stride64_b32 v7, v12, v13 offset0:8 offset1:10
	;; [unrolled: 1-line block ×7, first 2 shown]
	v_mov_b32_e32 v8, s23
	v_cmp_eq_u32_e32 vcc_lo, 0, v6
	v_add_nc_u32_e32 v7, 0x2000, v7
	s_or_b32 s15, vcc_lo, s15
	s_delay_alu instid0(SALU_CYCLE_1)
	s_and_not1_b32 exec_lo, exec_lo, s15
	s_cbranch_execnz .LBB70_28
; %bb.29:
	s_or_b32 exec_lo, exec_lo, s15
.LBB70_30:
	s_delay_alu instid0(SALU_CYCLE_1) | instskip(NEXT) | instid1(VALU_DEP_1)
	s_or_b32 exec_lo, exec_lo, s3
	v_and_b32_e32 v5, 7, v5
	s_mov_b32 s15, 0
	s_mov_b32 s3, exec_lo
	s_delay_alu instid0(VALU_DEP_1)
	v_cmpx_ne_u32_e32 0, v5
	s_cbranch_execz .LBB70_33
; %bb.31:
	v_lshlrev_b32_e32 v6, 9, v8
	v_lshlrev_b32_e32 v7, 2, v0
	s_delay_alu instid0(VALU_DEP_1)
	v_add3_u32 v6, v6, v7, 0x1a0
.LBB70_32:                              ; =>This Inner Loop Header: Depth=1
	ds_load_2addr_stride64_b32 v[8:9], v6 offset1:2
	v_add_nc_u32_e32 v5, -1, v5
	s_delay_alu instid0(VALU_DEP_1)
	v_cmp_eq_u32_e32 vcc_lo, 0, v5
	s_or_b32 s15, vcc_lo, s15
	s_wait_dscnt 0x0
	v_pk_mul_f32 v[8:9], v[2:3], v[8:9]
	ds_store_2addr_stride64_b32 v6, v8, v9 offset1:2
	v_add_nc_u32_e32 v6, 0x400, v6
	s_and_not1_b32 exec_lo, exec_lo, s15
	s_cbranch_execnz .LBB70_32
.LBB70_33:
	s_or_b32 exec_lo, exec_lo, s3
	v_add_nc_u32_e32 v3, 1, v4
	s_delay_alu instid0(VALU_DEP_1) | instskip(NEXT) | instid1(VALU_DEP_1)
	v_and_b32_e32 v4, 0x3fffffe, v3
	v_cmp_ne_u32_e32 vcc_lo, v3, v4
	v_lshl_add_u32 v3, v4, 7, v0
	s_or_not1_b32 s3, vcc_lo, exec_lo
.LBB70_34:
	s_or_b32 exec_lo, exec_lo, s1
	s_delay_alu instid0(SALU_CYCLE_1)
	s_and_b32 exec_lo, exec_lo, s3
	s_cbranch_execz .LBB70_37
; %bb.35:
	v_lshl_add_u32 v4, v3, 2, 0x1a0
	s_mov_b32 s1, 0
.LBB70_36:                              ; =>This Inner Loop Header: Depth=1
	ds_load_b32 v5, v4
	v_add_nc_u32_e32 v3, 0x80, v3
	s_delay_alu instid0(VALU_DEP_1)
	v_cmp_le_i32_e32 vcc_lo, s4, v3
	s_or_b32 s1, vcc_lo, s1
	s_wait_dscnt 0x0
	v_mul_f32_e32 v5, v2, v5
	ds_store_b32 v4, v5
	v_add_nc_u32_e32 v4, 0x200, v4
	s_and_not1_b32 exec_lo, exec_lo, s1
	s_cbranch_execnz .LBB70_36
.LBB70_37:
	s_or_b32 exec_lo, exec_lo, s0
	v_mov_b64_e32 v[6:7], 0
	v_mov_b64_e32 v[8:9], 0
	;; [unrolled: 1-line block ×3, first 2 shown]
	s_wait_dscnt 0x0
	s_barrier_signal -1
	s_barrier_wait -1
	s_and_saveexec_b32 s1, s2
	s_cbranch_execz .LBB70_53
; %bb.38:
	s_ashr_i32 s15, s14, 31
	v_dual_mov_b32 v7, 0 :: v_dual_lshlrev_b32 v6, 4, v20
	s_lshl_b64 s[14:15], s[14:15], 1
	s_ashr_i32 s3, s5, 31
	s_wait_kmcnt 0x0
	s_add_nc_u64 s[14:15], s[16:17], s[14:15]
	s_mov_b32 s2, s5
	v_add_nc_u64_e32 v[12:13], s[14:15], v[6:7]
	v_and_b32_e32 v6, 0x7c, v1
	s_lshl_b64 s[4:5], s[10:11], 2
	v_lshlrev_b32_e32 v21, 3, v19
	s_add_nc_u64 s[4:5], s[12:13], s[4:5]
	v_lshl_add_u32 v22, v19, 5, 0x1a0
	v_add_nc_u64_e32 v[14:15], s[4:5], v[6:7]
	v_dual_mov_b32 v6, v7 :: v_dual_mov_b32 v9, v7
	v_dual_mov_b32 v8, v7 :: v_dual_mov_b32 v11, v7
	v_dual_mov_b32 v10, v7 :: v_dual_mov_b32 v23, v19
	s_add_co_i32 s4, s22, -1
	s_mov_b32 s10, s21
	s_mov_b32 s5, 0
	s_branch .LBB70_40
.LBB70_39:                              ;   in Loop: Header=BB70_40 Depth=1
	s_or_b32 exec_lo, exec_lo, s0
	v_dual_lshlrev_b32 v16, 16, v16 :: v_dual_lshlrev_b32 v1, 16, v1
	s_delay_alu instid0(VALU_DEP_2) | instskip(SKIP_1) | instid1(VALU_DEP_3)
	v_dual_add_f32 v18, v18, v31 :: v_dual_lshlrev_b32 v17, 16, v17
	v_add_nc_u64_e32 v[14:15], 16, v[14:15]
	v_and_or_b32 v2, 0xffff, v2, v16
	s_delay_alu instid0(VALU_DEP_4) | instskip(NEXT) | instid1(VALU_DEP_4)
	v_and_or_b32 v1, 0xffff, v3, v1
	v_and_or_b32 v3, 0xffff, v4, v17
	;;#ASMSTART
	v_pk_mul_f16 v2, v33, v2;

	;;#ASMEND
	;;#ASMSTART
	v_pk_mul_f16 v1, v32, v1;

	;;#ASMEND
	;; [unrolled: 4-line block ×4, first 2 shown]
	;;#ASMSTART
	v_pk_add_f16 v1, v2, v1;

	;;#ASMEND
	;;#ASMSTART
	v_pk_add_f16 v1, v1, v3;

	;;#ASMEND
	;;#ASMSTART
	v_pk_add_f16 v1, v1, v4;

	;;#ASMEND
	v_and_b32_e32 v4, 0xffff, v1
	v_dual_add_f32 v3, v36, v37 :: v_dual_add_nc_u32 v23, 4, v23
	v_dual_add_f32 v24, v42, v43 :: v_dual_lshrrev_b32 v5, 16, v1
	;;#ASMSTART
	v_cvt_f32_f16 v4, v4;
	;;#ASMEND
	v_dual_add_f32 v1, v40, v41 :: v_dual_add_f32 v2, v38, v39
	;;#ASMSTART
	v_cvt_f32_f16 v5, v5;
	;;#ASMEND
	s_delay_alu instid0(VALU_DEP_2)
	v_add_f32_e32 v4, v4, v5
	v_cmp_le_i32_e32 vcc_lo, s22, v23
	v_dual_add_f32 v6, v6, v18 :: v_dual_add_f32 v9, v9, v24
	v_dual_add_f32 v8, v8, v1 :: v_dual_add_f32 v10, v10, v3
	v_add_f32_e32 v11, v11, v2
	v_dual_add_f32 v7, v7, v4 :: v_dual_add_nc_u32 v21, 32, v21
	v_add_nc_u32_e32 v22, 0x80, v22
	s_or_b32 s5, vcc_lo, s5
	s_delay_alu instid0(SALU_CYCLE_1)
	s_and_not1_b32 exec_lo, exec_lo, s5
	s_cbranch_execz .LBB70_52
.LBB70_40:                              ; =>This Inner Loop Header: Depth=1
	global_load_b32 v2, v[14:15], off
	v_cmp_eq_u32_e32 vcc_lo, s4, v23
	v_dual_add_nc_u32 v29, 2, v21 :: v_dual_bitop2_b32 v28, 1, v21 bitop3:0x54
	s_wait_loadcnt 0x0
	v_ashrrev_i32_e32 v3, 31, v2
	s_delay_alu instid0(VALU_DEP_1)
	v_mul_u64_e32 v[16:17], s[2:3], v[2:3]
	ds_load_2addr_b64 v[2:5], v22 offset1:1
	ds_load_2addr_b64 v[24:27], v22 offset0:2 offset1:3
	s_wait_dscnt 0x1
	;;#ASMSTART
	v_cvt_f16_f32 v33, v2;

	;;#ASMEND
	;;#ASMSTART
	v_cvt_f16_f32 v32, v3;

	;;#ASMEND
	;; [unrolled: 4-line block ×4, first 2 shown]
	s_wait_dscnt 0x0
	;;#ASMSTART
	v_cvt_f16_f32 v39, v24;

	;;#ASMEND
	;;#ASMSTART
	v_cvt_f16_f32 v34, v25;

	;;#ASMEND
	;; [unrolled: 4-line block ×4, first 2 shown]
	v_dual_add_nc_u32 v25, 4, v21 :: v_dual_add_nc_u32 v24, 5, v21
	v_dual_add_nc_u32 v27, 6, v21 :: v_dual_add_nc_u32 v26, 7, v21
	v_lshl_add_u64 v[16:17], v[16:17], 1, v[12:13]
	global_load_b128 v[2:5], v[16:17], off
	s_wait_loadcnt 0x0
	v_dual_lshrrev_b32 v1, 16, v3 :: v_dual_bitop2_b32 v30, 3, v21 bitop3:0x54
	v_dual_lshrrev_b32 v18, 16, v2 :: v_dual_lshrrev_b32 v31, 16, v4
	s_and_saveexec_b32 s11, vcc_lo
	s_cbranch_execz .LBB70_42
; %bb.41:                               ;   in Loop: Header=BB70_40 Depth=1
	v_cmp_gt_i32_e64 s0, s21, v21
	v_and_b32_e32 v40, 0xffff, v5
	v_and_b32_e32 v5, 0xffff0000, v5
	s_delay_alu instid0(VALU_DEP_3) | instskip(SKIP_1) | instid1(VALU_DEP_1)
	v_cndmask_b32_e64 v2, 0, v2, s0
	v_cmp_gt_i32_e64 s0, s21, v29
	v_cndmask_b32_e64 v3, 0, v3, s0
	v_cmp_gt_i32_e64 s0, s10, v30
	s_delay_alu instid0(VALU_DEP_1) | instskip(SKIP_1) | instid1(VALU_DEP_1)
	v_cndmask_b32_e64 v1, 0, v1, s0
	v_cmp_gt_i32_e64 s0, s21, v28
	v_cndmask_b32_e64 v18, 0, v18, s0
	v_cmp_gt_i32_e64 s0, s21, v27
	s_delay_alu instid0(VALU_DEP_1) | instskip(SKIP_1) | instid1(VALU_DEP_1)
	;; [unrolled: 5-line block ×3, first 2 shown]
	v_dual_cndmask_b32 v4, 0, v4, s0 :: v_dual_bitop2_b32 v5, v40, v5 bitop3:0x54
	v_cmp_gt_i32_e64 s0, s21, v24
	v_cndmask_b32_e64 v31, 0, v31, s0
.LBB70_42:                              ;   in Loop: Header=BB70_40 Depth=1
	s_or_b32 exec_lo, exec_lo, s11
	v_and_b32_e32 v33, 0xffff, v33
	v_and_b32_e32 v38, 0xffff, v38
	v_dual_lshlrev_b32 v18, 16, v18 :: v_dual_lshlrev_b32 v1, 16, v1
	v_lshlrev_b32_e32 v31, 16, v31
	v_and_b32_e32 v39, 0xffff, v39
	v_lshl_or_b32 v33, v32, 16, v33
	v_lshl_or_b32 v32, v36, 16, v38
	v_and_b32_e32 v36, 0xffff, v37
	v_and_or_b32 v2, 0xffff, v2, v18
	v_and_or_b32 v1, 0xffff, v3, v1
	;; [unrolled: 1-line block ×3, first 2 shown]
	;;#ASMSTART
	v_pk_mul_f16 v2, v33, v2;

	;;#ASMEND
	;;#ASMSTART
	v_pk_mul_f16 v1, v32, v1;

	;;#ASMEND
	v_lshl_or_b32 v34, v34, 16, v39
	v_lshl_or_b32 v35, v35, 16, v36
	;;#ASMSTART
	v_pk_mul_f16 v3, v34, v3;

	;;#ASMEND
	;;#ASMSTART
	v_pk_mul_f16 v4, v35, v5;

	;;#ASMEND
	;;#ASMSTART
	v_pk_add_f16 v1, v2, v1;

	;;#ASMEND
	;;#ASMSTART
	v_pk_add_f16 v1, v1, v3;
	;; [unrolled: 4-line block ×3, first 2 shown]

	;;#ASMEND
	v_and_b32_e32 v2, 0xffff, v1
	v_lshrrev_b32_e32 v1, 16, v1
	;;#ASMSTART
	v_cvt_f32_f16 v36, v2;
	;;#ASMEND
	;;#ASMSTART
	v_cvt_f32_f16 v37, v1;
	;;#ASMEND
	global_load_b128 v[2:5], v[16:17], off offset:512
	s_wait_loadcnt 0x0
	v_dual_lshrrev_b32 v1, 16, v3 :: v_dual_lshrrev_b32 v18, 16, v2
	v_lshrrev_b32_e32 v31, 16, v4
	s_and_saveexec_b32 s11, vcc_lo
	s_cbranch_execz .LBB70_44
; %bb.43:                               ;   in Loop: Header=BB70_40 Depth=1
	v_cmp_gt_i32_e64 s0, s21, v21
	v_and_b32_e32 v38, 0xffff, v5
	v_and_b32_e32 v5, 0xffff0000, v5
	s_delay_alu instid0(VALU_DEP_3) | instskip(SKIP_1) | instid1(VALU_DEP_1)
	v_cndmask_b32_e64 v2, 0, v2, s0
	v_cmp_gt_i32_e64 s0, s21, v29
	v_cndmask_b32_e64 v3, 0, v3, s0
	v_cmp_gt_i32_e64 s0, s10, v30
	s_delay_alu instid0(VALU_DEP_1) | instskip(SKIP_1) | instid1(VALU_DEP_1)
	v_cndmask_b32_e64 v1, 0, v1, s0
	v_cmp_gt_i32_e64 s0, s21, v28
	v_cndmask_b32_e64 v18, 0, v18, s0
	v_cmp_gt_i32_e64 s0, s21, v27
	s_delay_alu instid0(VALU_DEP_1) | instskip(SKIP_1) | instid1(VALU_DEP_1)
	;; [unrolled: 5-line block ×3, first 2 shown]
	v_dual_cndmask_b32 v4, 0, v4, s0 :: v_dual_bitop2_b32 v5, v38, v5 bitop3:0x54
	v_cmp_gt_i32_e64 s0, s21, v24
	v_cndmask_b32_e64 v31, 0, v31, s0
.LBB70_44:                              ;   in Loop: Header=BB70_40 Depth=1
	s_or_b32 exec_lo, exec_lo, s11
	v_dual_lshlrev_b32 v18, 16, v18 :: v_dual_lshlrev_b32 v1, 16, v1
	s_delay_alu instid0(VALU_DEP_2) | instskip(NEXT) | instid1(VALU_DEP_2)
	v_lshlrev_b32_e32 v31, 16, v31
	v_and_or_b32 v2, 0xffff, v2, v18
	s_delay_alu instid0(VALU_DEP_3) | instskip(NEXT) | instid1(VALU_DEP_3)
	v_and_or_b32 v1, 0xffff, v3, v1
	v_and_or_b32 v3, 0xffff, v4, v31
	;;#ASMSTART
	v_pk_mul_f16 v2, v33, v2;

	;;#ASMEND
	;;#ASMSTART
	v_pk_mul_f16 v1, v32, v1;

	;;#ASMEND
	;; [unrolled: 4-line block ×4, first 2 shown]
	;;#ASMSTART
	v_pk_add_f16 v1, v2, v1;

	;;#ASMEND
	;;#ASMSTART
	v_pk_add_f16 v1, v1, v3;

	;;#ASMEND
	;; [unrolled: 4-line block ×3, first 2 shown]
	v_and_b32_e32 v2, 0xffff, v1
	v_lshrrev_b32_e32 v1, 16, v1
	;;#ASMSTART
	v_cvt_f32_f16 v38, v2;
	;;#ASMEND
	;;#ASMSTART
	v_cvt_f32_f16 v39, v1;
	;;#ASMEND
	global_load_b128 v[2:5], v[16:17], off offset:1024
	s_wait_loadcnt 0x0
	v_dual_lshrrev_b32 v1, 16, v3 :: v_dual_lshrrev_b32 v18, 16, v2
	v_lshrrev_b32_e32 v31, 16, v4
	s_and_saveexec_b32 s11, vcc_lo
	s_cbranch_execz .LBB70_46
; %bb.45:                               ;   in Loop: Header=BB70_40 Depth=1
	v_cmp_gt_i32_e64 s0, s21, v21
	v_and_b32_e32 v40, 0xffff, v5
	v_and_b32_e32 v5, 0xffff0000, v5
	s_delay_alu instid0(VALU_DEP_3) | instskip(SKIP_1) | instid1(VALU_DEP_1)
	v_cndmask_b32_e64 v2, 0, v2, s0
	v_cmp_gt_i32_e64 s0, s21, v29
	v_cndmask_b32_e64 v3, 0, v3, s0
	v_cmp_gt_i32_e64 s0, s10, v30
	s_delay_alu instid0(VALU_DEP_1) | instskip(SKIP_1) | instid1(VALU_DEP_1)
	v_cndmask_b32_e64 v1, 0, v1, s0
	v_cmp_gt_i32_e64 s0, s21, v28
	v_cndmask_b32_e64 v18, 0, v18, s0
	v_cmp_gt_i32_e64 s0, s21, v27
	s_delay_alu instid0(VALU_DEP_1) | instskip(SKIP_1) | instid1(VALU_DEP_1)
	;; [unrolled: 5-line block ×3, first 2 shown]
	v_dual_cndmask_b32 v4, 0, v4, s0 :: v_dual_bitop2_b32 v5, v40, v5 bitop3:0x54
	v_cmp_gt_i32_e64 s0, s21, v24
	v_cndmask_b32_e64 v31, 0, v31, s0
.LBB70_46:                              ;   in Loop: Header=BB70_40 Depth=1
	s_or_b32 exec_lo, exec_lo, s11
	v_dual_lshlrev_b32 v18, 16, v18 :: v_dual_lshlrev_b32 v1, 16, v1
	s_delay_alu instid0(VALU_DEP_2) | instskip(NEXT) | instid1(VALU_DEP_2)
	v_lshlrev_b32_e32 v31, 16, v31
	v_and_or_b32 v2, 0xffff, v2, v18
	s_delay_alu instid0(VALU_DEP_3) | instskip(NEXT) | instid1(VALU_DEP_3)
	v_and_or_b32 v1, 0xffff, v3, v1
	v_and_or_b32 v3, 0xffff, v4, v31
	;;#ASMSTART
	v_pk_mul_f16 v2, v33, v2;

	;;#ASMEND
	;;#ASMSTART
	v_pk_mul_f16 v1, v32, v1;

	;;#ASMEND
	;;#ASMSTART
	v_pk_mul_f16 v3, v34, v3;

	;;#ASMEND
	;;#ASMSTART
	v_pk_mul_f16 v4, v35, v5;

	;;#ASMEND
	;;#ASMSTART
	v_pk_add_f16 v1, v2, v1;

	;;#ASMEND
	;;#ASMSTART
	v_pk_add_f16 v1, v1, v3;

	;;#ASMEND
	;; [unrolled: 4-line block ×3, first 2 shown]
	v_and_b32_e32 v2, 0xffff, v1
	v_lshrrev_b32_e32 v1, 16, v1
	;;#ASMSTART
	v_cvt_f32_f16 v40, v2;
	;;#ASMEND
	;;#ASMSTART
	v_cvt_f32_f16 v41, v1;
	;;#ASMEND
	global_load_b128 v[2:5], v[16:17], off offset:1536
	s_wait_loadcnt 0x0
	v_dual_lshrrev_b32 v1, 16, v3 :: v_dual_lshrrev_b32 v18, 16, v2
	v_lshrrev_b32_e32 v31, 16, v4
	s_and_saveexec_b32 s11, vcc_lo
	s_cbranch_execz .LBB70_48
; %bb.47:                               ;   in Loop: Header=BB70_40 Depth=1
	v_cmp_gt_i32_e64 s0, s21, v21
	v_and_b32_e32 v42, 0xffff, v5
	v_and_b32_e32 v5, 0xffff0000, v5
	s_delay_alu instid0(VALU_DEP_3) | instskip(SKIP_1) | instid1(VALU_DEP_1)
	v_cndmask_b32_e64 v2, 0, v2, s0
	v_cmp_gt_i32_e64 s0, s21, v29
	v_cndmask_b32_e64 v3, 0, v3, s0
	v_cmp_gt_i32_e64 s0, s10, v30
	s_delay_alu instid0(VALU_DEP_1) | instskip(SKIP_1) | instid1(VALU_DEP_1)
	v_cndmask_b32_e64 v1, 0, v1, s0
	v_cmp_gt_i32_e64 s0, s21, v28
	v_cndmask_b32_e64 v18, 0, v18, s0
	v_cmp_gt_i32_e64 s0, s21, v27
	s_delay_alu instid0(VALU_DEP_1) | instskip(SKIP_1) | instid1(VALU_DEP_1)
	;; [unrolled: 5-line block ×3, first 2 shown]
	v_dual_cndmask_b32 v4, 0, v4, s0 :: v_dual_bitop2_b32 v5, v42, v5 bitop3:0x54
	v_cmp_gt_i32_e64 s0, s21, v24
	v_cndmask_b32_e64 v31, 0, v31, s0
.LBB70_48:                              ;   in Loop: Header=BB70_40 Depth=1
	s_or_b32 exec_lo, exec_lo, s11
	v_dual_lshlrev_b32 v18, 16, v18 :: v_dual_lshlrev_b32 v1, 16, v1
	s_delay_alu instid0(VALU_DEP_2) | instskip(NEXT) | instid1(VALU_DEP_2)
	v_lshlrev_b32_e32 v31, 16, v31
	v_and_or_b32 v2, 0xffff, v2, v18
	s_delay_alu instid0(VALU_DEP_3) | instskip(NEXT) | instid1(VALU_DEP_3)
	v_and_or_b32 v1, 0xffff, v3, v1
	v_and_or_b32 v3, 0xffff, v4, v31
	;;#ASMSTART
	v_pk_mul_f16 v2, v33, v2;

	;;#ASMEND
	;;#ASMSTART
	v_pk_mul_f16 v1, v32, v1;

	;;#ASMEND
	;; [unrolled: 4-line block ×4, first 2 shown]
	;;#ASMSTART
	v_pk_add_f16 v1, v2, v1;

	;;#ASMEND
	;;#ASMSTART
	v_pk_add_f16 v1, v1, v3;

	;;#ASMEND
	;; [unrolled: 4-line block ×3, first 2 shown]
	v_and_b32_e32 v2, 0xffff, v1
	v_lshrrev_b32_e32 v1, 16, v1
	;;#ASMSTART
	v_cvt_f32_f16 v42, v2;
	;;#ASMEND
	;;#ASMSTART
	v_cvt_f32_f16 v43, v1;
	;;#ASMEND
	global_load_b128 v[2:5], v[16:17], off offset:2048
	s_wait_loadcnt 0x0
	v_dual_lshrrev_b32 v1, 16, v3 :: v_dual_lshrrev_b32 v18, 16, v2
	v_lshrrev_b32_e32 v31, 16, v4
	s_and_saveexec_b32 s11, vcc_lo
	s_cbranch_execz .LBB70_50
; %bb.49:                               ;   in Loop: Header=BB70_40 Depth=1
	v_cmp_gt_i32_e64 s0, s21, v21
	v_and_b32_e32 v44, 0xffff, v5
	v_and_b32_e32 v5, 0xffff0000, v5
	s_delay_alu instid0(VALU_DEP_3) | instskip(SKIP_1) | instid1(VALU_DEP_1)
	v_cndmask_b32_e64 v2, 0, v2, s0
	v_cmp_gt_i32_e64 s0, s21, v29
	v_cndmask_b32_e64 v3, 0, v3, s0
	v_cmp_gt_i32_e64 s0, s10, v30
	s_delay_alu instid0(VALU_DEP_1) | instskip(SKIP_1) | instid1(VALU_DEP_1)
	v_cndmask_b32_e64 v1, 0, v1, s0
	v_cmp_gt_i32_e64 s0, s21, v28
	v_cndmask_b32_e64 v18, 0, v18, s0
	v_cmp_gt_i32_e64 s0, s21, v27
	s_delay_alu instid0(VALU_DEP_1) | instskip(SKIP_1) | instid1(VALU_DEP_1)
	v_cndmask_b32_e64 v44, 0, v44, s0
	v_cmp_gt_i32_e64 s0, s21, v26
	v_cndmask_b32_e64 v5, 0, v5, s0
	v_cmp_gt_i32_e64 s0, s21, v25
	s_delay_alu instid0(VALU_DEP_1) | instskip(SKIP_1) | instid1(VALU_DEP_1)
	v_dual_cndmask_b32 v4, 0, v4, s0 :: v_dual_bitop2_b32 v5, v44, v5 bitop3:0x54
	v_cmp_gt_i32_e64 s0, s21, v24
	v_cndmask_b32_e64 v31, 0, v31, s0
.LBB70_50:                              ;   in Loop: Header=BB70_40 Depth=1
	s_or_b32 exec_lo, exec_lo, s11
	v_dual_lshlrev_b32 v18, 16, v18 :: v_dual_lshlrev_b32 v1, 16, v1
	s_delay_alu instid0(VALU_DEP_2) | instskip(NEXT) | instid1(VALU_DEP_2)
	v_lshlrev_b32_e32 v31, 16, v31
	v_and_or_b32 v2, 0xffff, v2, v18
	s_delay_alu instid0(VALU_DEP_3) | instskip(NEXT) | instid1(VALU_DEP_3)
	v_and_or_b32 v1, 0xffff, v3, v1
	v_and_or_b32 v3, 0xffff, v4, v31
	;;#ASMSTART
	v_pk_mul_f16 v2, v33, v2;

	;;#ASMEND
	;;#ASMSTART
	v_pk_mul_f16 v1, v32, v1;

	;;#ASMEND
	;; [unrolled: 4-line block ×4, first 2 shown]
	;;#ASMSTART
	v_pk_add_f16 v1, v2, v1;

	;;#ASMEND
	;;#ASMSTART
	v_pk_add_f16 v1, v1, v3;

	;;#ASMEND
	;; [unrolled: 4-line block ×3, first 2 shown]
	v_and_b32_e32 v2, 0xffff, v1
	v_lshrrev_b32_e32 v1, 16, v1
	;;#ASMSTART
	v_cvt_f32_f16 v18, v2;
	;;#ASMEND
	;;#ASMSTART
	v_cvt_f32_f16 v31, v1;
	;;#ASMEND
	global_load_b128 v[2:5], v[16:17], off offset:2560
	s_wait_loadcnt 0x0
	v_dual_lshrrev_b32 v1, 16, v3 :: v_dual_lshrrev_b32 v16, 16, v2
	v_lshrrev_b32_e32 v17, 16, v4
	s_and_saveexec_b32 s0, vcc_lo
	s_cbranch_execz .LBB70_39
; %bb.51:                               ;   in Loop: Header=BB70_40 Depth=1
	v_cmp_gt_i32_e32 vcc_lo, s21, v21
	v_cndmask_b32_e32 v2, 0, v2, vcc_lo
	v_cmp_gt_i32_e32 vcc_lo, s21, v29
	v_and_b32_e32 v29, 0xffff, v5
	v_and_b32_e32 v5, 0xffff0000, v5
	v_cndmask_b32_e32 v3, 0, v3, vcc_lo
	v_cmp_gt_i32_e32 vcc_lo, s10, v30
	v_cndmask_b32_e32 v1, 0, v1, vcc_lo
	v_cmp_gt_i32_e32 vcc_lo, s21, v28
	;; [unrolled: 2-line block ×6, first 2 shown]
	s_delay_alu instid0(VALU_DEP_4)
	v_or_b32_e32 v5, v27, v5
	v_cndmask_b32_e32 v17, 0, v17, vcc_lo
	s_branch .LBB70_39
.LBB70_52:
	s_or_b32 exec_lo, exec_lo, s5
.LBB70_53:
	s_delay_alu instid0(SALU_CYCLE_1) | instskip(SKIP_4) | instid1(VALU_DEP_2)
	s_or_b32 exec_lo, exec_lo, s1
	v_lshl_add_u32 v2, v20, 2, 0x1a0
	v_and_b32_e32 v3, 0x3c0, v0
	s_mov_b32 s0, exec_lo
	s_barrier_signal -1
	v_mad_u32_u24 v1, 0x300, v19, v2
	s_barrier_wait -1
	v_cmpx_eq_u32_e32 64, v3
	s_cbranch_execz .LBB70_55
; %bb.54:
	s_delay_alu instid0(VALU_DEP_2)
	v_add_nc_u32_e32 v3, 0xfffffa00, v1
	v_add_nc_u32_e32 v4, 0xfffffa80, v1
	;; [unrolled: 1-line block ×6, first 2 shown]
	ds_store_b32 v3, v10
	ds_store_b32 v4, v11
	;; [unrolled: 1-line block ×6, first 2 shown]
.LBB70_55:
	s_or_b32 exec_lo, exec_lo, s0
	s_delay_alu instid0(SALU_CYCLE_1)
	s_mov_b32 s0, exec_lo
	s_wait_dscnt 0x0
	s_barrier_signal -1
	s_barrier_wait -1
	v_cmpx_gt_u32_e32 64, v0
	s_cbranch_execz .LBB70_57
; %bb.56:
	ds_load_2addr_b32 v[4:5], v1 offset1:32
	ds_load_2addr_b32 v[12:13], v1 offset0:64 offset1:96
	ds_load_2addr_b32 v[14:15], v1 offset0:128 offset1:160
	s_wait_dscnt 0x2
	v_pk_add_f32 v[10:11], v[10:11], v[4:5]
	s_wait_dscnt 0x1
	v_pk_add_f32 v[8:9], v[8:9], v[12:13]
	;; [unrolled: 2-line block ×3, first 2 shown]
.LBB70_57:
	s_or_b32 exec_lo, exec_lo, s0
	v_and_b32_e32 v3, 0x3e0, v0
	s_mov_b32 s0, exec_lo
	s_barrier_signal -1
	s_barrier_wait -1
	s_delay_alu instid0(VALU_DEP_1)
	v_cmpx_eq_u32_e32 32, v3
	s_cbranch_execz .LBB70_59
; %bb.58:
	ds_store_2addr_b32 v2, v10, v11 offset1:32
	ds_store_2addr_b32 v2, v8, v9 offset0:64 offset1:96
	ds_store_2addr_b32 v2, v6, v7 offset0:128 offset1:160
.LBB70_59:
	s_or_b32 exec_lo, exec_lo, s0
	v_cmp_gt_u32_e32 vcc_lo, 32, v0
	s_wait_dscnt 0x0
	s_barrier_signal -1
	s_barrier_wait -1
	s_and_saveexec_b32 s0, vcc_lo
	s_cbranch_execz .LBB70_61
; %bb.60:
	ds_load_2addr_b32 v[2:3], v1 offset1:32
	ds_load_2addr_b32 v[4:5], v1 offset0:64 offset1:96
	ds_load_2addr_b32 v[12:13], v1 offset0:128 offset1:160
	s_wait_dscnt 0x2
	v_pk_add_f32 v[10:11], v[10:11], v[2:3]
	s_wait_dscnt 0x1
	v_pk_add_f32 v[8:9], v[8:9], v[4:5]
	;; [unrolled: 2-line block ×3, first 2 shown]
.LBB70_61:
	s_or_b32 exec_lo, exec_lo, s0
	s_barrier_signal -1
	s_barrier_wait -1
	s_and_saveexec_b32 s0, vcc_lo
	s_cbranch_execz .LBB70_63
; %bb.62:
	s_wait_kmcnt 0x0
	s_mul_i32 s1, s20, s9
	s_bfe_u32 s5, ttmp6, 0x40014
	s_mul_i32 s1, s1, s19
	s_mul_i32 s0, s9, s8
	;; [unrolled: 1-line block ×3, first 2 shown]
	s_lshr_b32 s4, ttmp7, 16
	s_ashr_i32 s3, s2, 31
	s_add_co_i32 s5, s5, 1
	s_lshl_b64 s[2:3], s[2:3], 1
	s_ashr_i32 s1, s0, 31
	s_add_nc_u64 s[2:3], s[6:7], s[2:3]
	s_mul_i32 s5, s4, s5
	s_bfe_u32 s6, ttmp6, 0x40008
	s_lshl_b64 s[0:1], s[0:1], 1
	s_add_co_i32 s6, s6, s5
	s_cmp_eq_u32 s18, 0
	s_add_nc_u64 s[0:1], s[2:3], s[0:1]
	s_cselect_b32 s2, s4, s6
	s_mov_b32 s3, 0
	s_mulk_i32 s2, 0x180
	;;#ASMSTART
	v_cvt_f16_f32 v1, v10;

	;;#ASMEND
	s_add_nc_u64 s[0:1], s[0:1], s[2:3]
	global_store_b16 v0, v1, s[0:1] scale_offset
	s_wait_xcnt 0x0
	;;#ASMSTART
	v_cvt_f16_f32 v1, v11;

	;;#ASMEND
	global_store_b16 v0, v1, s[0:1] offset:64 scale_offset
	s_wait_xcnt 0x0
	;;#ASMSTART
	v_cvt_f16_f32 v1, v8;

	;;#ASMEND
	global_store_b16 v0, v1, s[0:1] offset:128 scale_offset
	;; [unrolled: 6-line block ×5, first 2 shown]
.LBB70_63:
	s_sendmsg sendmsg(MSG_DEALLOC_VGPRS)
	s_endpgm
	.section	.rodata,"a",@progbits
	.p2align	6, 0x0
	.amdhsa_kernel _ZN4vllm25paged_attention_v1_kernelIttLi192ELi8ELi128ELNS_18Fp8KVCacheDataTypeE0ELb0EEEvPT_PKS2_PKT0_S8_ifPKiSA_iPKfiiiSC_SC_iiiii
		.amdhsa_group_segment_fixed_size 416
		.amdhsa_private_segment_fixed_size 0
		.amdhsa_kernarg_size 384
		.amdhsa_user_sgpr_count 2
		.amdhsa_user_sgpr_dispatch_ptr 0
		.amdhsa_user_sgpr_queue_ptr 0
		.amdhsa_user_sgpr_kernarg_segment_ptr 1
		.amdhsa_user_sgpr_dispatch_id 0
		.amdhsa_user_sgpr_kernarg_preload_length 0
		.amdhsa_user_sgpr_kernarg_preload_offset 0
		.amdhsa_user_sgpr_private_segment_size 0
		.amdhsa_wavefront_size32 1
		.amdhsa_uses_dynamic_stack 0
		.amdhsa_enable_private_segment 0
		.amdhsa_system_sgpr_workgroup_id_x 1
		.amdhsa_system_sgpr_workgroup_id_y 1
		.amdhsa_system_sgpr_workgroup_id_z 1
		.amdhsa_system_sgpr_workgroup_info 0
		.amdhsa_system_vgpr_workitem_id 0
		.amdhsa_next_free_vgpr 71
		.amdhsa_next_free_sgpr 30
		.amdhsa_named_barrier_count 0
		.amdhsa_reserve_vcc 1
		.amdhsa_float_round_mode_32 0
		.amdhsa_float_round_mode_16_64 0
		.amdhsa_float_denorm_mode_32 3
		.amdhsa_float_denorm_mode_16_64 3
		.amdhsa_fp16_overflow 0
		.amdhsa_memory_ordered 1
		.amdhsa_forward_progress 1
		.amdhsa_inst_pref_size 54
		.amdhsa_round_robin_scheduling 0
		.amdhsa_exception_fp_ieee_invalid_op 0
		.amdhsa_exception_fp_denorm_src 0
		.amdhsa_exception_fp_ieee_div_zero 0
		.amdhsa_exception_fp_ieee_overflow 0
		.amdhsa_exception_fp_ieee_underflow 0
		.amdhsa_exception_fp_ieee_inexact 0
		.amdhsa_exception_int_div_zero 0
	.end_amdhsa_kernel
	.section	.text._ZN4vllm25paged_attention_v1_kernelIttLi192ELi8ELi128ELNS_18Fp8KVCacheDataTypeE0ELb0EEEvPT_PKS2_PKT0_S8_ifPKiSA_iPKfiiiSC_SC_iiiii,"axG",@progbits,_ZN4vllm25paged_attention_v1_kernelIttLi192ELi8ELi128ELNS_18Fp8KVCacheDataTypeE0ELb0EEEvPT_PKS2_PKT0_S8_ifPKiSA_iPKfiiiSC_SC_iiiii,comdat
.Lfunc_end70:
	.size	_ZN4vllm25paged_attention_v1_kernelIttLi192ELi8ELi128ELNS_18Fp8KVCacheDataTypeE0ELb0EEEvPT_PKS2_PKT0_S8_ifPKiSA_iPKfiiiSC_SC_iiiii, .Lfunc_end70-_ZN4vllm25paged_attention_v1_kernelIttLi192ELi8ELi128ELNS_18Fp8KVCacheDataTypeE0ELb0EEEvPT_PKS2_PKT0_S8_ifPKiSA_iPKfiiiSC_SC_iiiii
                                        ; -- End function
	.set _ZN4vllm25paged_attention_v1_kernelIttLi192ELi8ELi128ELNS_18Fp8KVCacheDataTypeE0ELb0EEEvPT_PKS2_PKT0_S8_ifPKiSA_iPKfiiiSC_SC_iiiii.num_vgpr, 71
	.set _ZN4vllm25paged_attention_v1_kernelIttLi192ELi8ELi128ELNS_18Fp8KVCacheDataTypeE0ELb0EEEvPT_PKS2_PKT0_S8_ifPKiSA_iPKfiiiSC_SC_iiiii.num_agpr, 0
	.set _ZN4vllm25paged_attention_v1_kernelIttLi192ELi8ELi128ELNS_18Fp8KVCacheDataTypeE0ELb0EEEvPT_PKS2_PKT0_S8_ifPKiSA_iPKfiiiSC_SC_iiiii.numbered_sgpr, 30
	.set _ZN4vllm25paged_attention_v1_kernelIttLi192ELi8ELi128ELNS_18Fp8KVCacheDataTypeE0ELb0EEEvPT_PKS2_PKT0_S8_ifPKiSA_iPKfiiiSC_SC_iiiii.num_named_barrier, 0
	.set _ZN4vllm25paged_attention_v1_kernelIttLi192ELi8ELi128ELNS_18Fp8KVCacheDataTypeE0ELb0EEEvPT_PKS2_PKT0_S8_ifPKiSA_iPKfiiiSC_SC_iiiii.private_seg_size, 0
	.set _ZN4vllm25paged_attention_v1_kernelIttLi192ELi8ELi128ELNS_18Fp8KVCacheDataTypeE0ELb0EEEvPT_PKS2_PKT0_S8_ifPKiSA_iPKfiiiSC_SC_iiiii.uses_vcc, 1
	.set _ZN4vllm25paged_attention_v1_kernelIttLi192ELi8ELi128ELNS_18Fp8KVCacheDataTypeE0ELb0EEEvPT_PKS2_PKT0_S8_ifPKiSA_iPKfiiiSC_SC_iiiii.uses_flat_scratch, 0
	.set _ZN4vllm25paged_attention_v1_kernelIttLi192ELi8ELi128ELNS_18Fp8KVCacheDataTypeE0ELb0EEEvPT_PKS2_PKT0_S8_ifPKiSA_iPKfiiiSC_SC_iiiii.has_dyn_sized_stack, 0
	.set _ZN4vllm25paged_attention_v1_kernelIttLi192ELi8ELi128ELNS_18Fp8KVCacheDataTypeE0ELb0EEEvPT_PKS2_PKT0_S8_ifPKiSA_iPKfiiiSC_SC_iiiii.has_recursion, 0
	.set _ZN4vllm25paged_attention_v1_kernelIttLi192ELi8ELi128ELNS_18Fp8KVCacheDataTypeE0ELb0EEEvPT_PKS2_PKT0_S8_ifPKiSA_iPKfiiiSC_SC_iiiii.has_indirect_call, 0
	.section	.AMDGPU.csdata,"",@progbits
; Kernel info:
; codeLenInByte = 6824
; TotalNumSgprs: 32
; NumVgprs: 71
; ScratchSize: 0
; MemoryBound: 0
; FloatMode: 240
; IeeeMode: 1
; LDSByteSize: 416 bytes/workgroup (compile time only)
; SGPRBlocks: 0
; VGPRBlocks: 4
; NumSGPRsForWavesPerEU: 32
; NumVGPRsForWavesPerEU: 71
; NamedBarCnt: 0
; Occupancy: 12
; WaveLimiterHint : 1
; COMPUTE_PGM_RSRC2:SCRATCH_EN: 0
; COMPUTE_PGM_RSRC2:USER_SGPR: 2
; COMPUTE_PGM_RSRC2:TRAP_HANDLER: 0
; COMPUTE_PGM_RSRC2:TGID_X_EN: 1
; COMPUTE_PGM_RSRC2:TGID_Y_EN: 1
; COMPUTE_PGM_RSRC2:TGID_Z_EN: 1
; COMPUTE_PGM_RSRC2:TIDIG_COMP_CNT: 0
	.section	.text._ZN4vllm25paged_attention_v1_kernelIttLi256ELi8ELi128ELNS_18Fp8KVCacheDataTypeE0ELb0EEEvPT_PKS2_PKT0_S8_ifPKiSA_iPKfiiiSC_SC_iiiii,"axG",@progbits,_ZN4vllm25paged_attention_v1_kernelIttLi256ELi8ELi128ELNS_18Fp8KVCacheDataTypeE0ELb0EEEvPT_PKS2_PKT0_S8_ifPKiSA_iPKfiiiSC_SC_iiiii,comdat
	.protected	_ZN4vllm25paged_attention_v1_kernelIttLi256ELi8ELi128ELNS_18Fp8KVCacheDataTypeE0ELb0EEEvPT_PKS2_PKT0_S8_ifPKiSA_iPKfiiiSC_SC_iiiii ; -- Begin function _ZN4vllm25paged_attention_v1_kernelIttLi256ELi8ELi128ELNS_18Fp8KVCacheDataTypeE0ELb0EEEvPT_PKS2_PKT0_S8_ifPKiSA_iPKfiiiSC_SC_iiiii
	.globl	_ZN4vllm25paged_attention_v1_kernelIttLi256ELi8ELi128ELNS_18Fp8KVCacheDataTypeE0ELb0EEEvPT_PKS2_PKT0_S8_ifPKiSA_iPKfiiiSC_SC_iiiii
	.p2align	8
	.type	_ZN4vllm25paged_attention_v1_kernelIttLi256ELi8ELi128ELNS_18Fp8KVCacheDataTypeE0ELb0EEEvPT_PKS2_PKT0_S8_ifPKiSA_iPKfiiiSC_SC_iiiii,@function
_ZN4vllm25paged_attention_v1_kernelIttLi256ELi8ELi128ELNS_18Fp8KVCacheDataTypeE0ELb0EEEvPT_PKS2_PKT0_S8_ifPKiSA_iPKfiiiSC_SC_iiiii: ; @_ZN4vllm25paged_attention_v1_kernelIttLi256ELi8ELi128ELNS_18Fp8KVCacheDataTypeE0ELb0EEEvPT_PKS2_PKT0_S8_ifPKiSA_iPKfiiiSC_SC_iiiii
; %bb.0:
	s_load_b64 s[14:15], s[0:1], 0x20
	s_bfe_u32 s3, ttmp6, 0x4000c
	s_bfe_u32 s5, ttmp6, 0x40010
	s_and_b32 s4, ttmp7, 0xffff
	s_add_co_i32 s3, s3, 1
	s_add_co_i32 s5, s5, 1
	s_and_b32 s2, ttmp6, 15
	s_bfe_u32 s6, ttmp6, 0x40004
	s_mul_i32 s3, ttmp9, s3
	s_mul_i32 s5, s4, s5
	s_getreg_b32 s18, hwreg(HW_REG_IB_STS2, 6, 4)
	s_add_co_i32 s2, s2, s3
	s_add_co_i32 s6, s6, s5
	s_cmp_eq_u32 s18, 0
	s_clause 0x1
	s_load_b32 s19, s[0:1], 0x80
	s_load_b64 s[8:9], s[0:1], 0x30
	s_cselect_b32 s20, s4, s6
	s_cselect_b32 s2, ttmp9, s2
	s_mov_b32 s11, 0
	s_delay_alu instid0(SALU_CYCLE_1) | instskip(SKIP_2) | instid1(SALU_CYCLE_1)
	s_mov_b32 s13, s11
	s_wait_kmcnt 0x0
	s_abs_i32 s3, s14
	s_cvt_f32_u32 s4, s3
	s_sub_co_i32 s5, 0, s3
	s_delay_alu instid0(SALU_CYCLE_2) | instskip(SKIP_2) | instid1(TRANS32_DEP_1)
	v_rcp_iflag_f32_e32 v1, s4
	s_abs_i32 s6, s19
	v_nop
	v_readfirstlane_b32 s4, v1
	s_mul_f32 s4, s4, 0x4f7ffffe
	s_delay_alu instid0(SALU_CYCLE_3) | instskip(NEXT) | instid1(SALU_CYCLE_3)
	s_cvt_u32_f32 s4, s4
	s_mul_i32 s5, s5, s4
	s_delay_alu instid0(SALU_CYCLE_1) | instskip(NEXT) | instid1(SALU_CYCLE_1)
	s_mul_hi_u32 s5, s4, s5
	s_add_co_i32 s4, s4, s5
	s_xor_b32 s5, s19, s14
	s_mul_hi_u32 s4, s6, s4
	s_ashr_i32 s5, s5, 31
	s_mul_i32 s7, s4, s3
	s_mov_b32 s14, s11
	s_sub_co_i32 s6, s6, s7
	s_add_co_i32 s7, s4, 1
	s_sub_co_i32 s10, s6, s3
	s_cmp_ge_u32 s6, s3
	s_cselect_b32 s4, s7, s4
	s_cselect_b32 s6, s10, s6
	s_add_co_i32 s7, s4, 1
	s_cmp_ge_u32 s6, s3
	s_cselect_b32 s3, s7, s4
	s_abs_i32 s10, s2
	s_xor_b32 s3, s3, s5
	s_delay_alu instid0(SALU_CYCLE_1) | instskip(SKIP_2) | instid1(SALU_CYCLE_1)
	s_sub_co_i32 s16, s3, s5
	s_load_b64 s[4:5], s[0:1], 0x40
	s_abs_i32 s7, s16
	s_cvt_f32_u32 s3, s7
	s_sub_co_i32 s6, 0, s7
	s_delay_alu instid0(SALU_CYCLE_2) | instskip(SKIP_1) | instid1(TRANS32_DEP_1)
	v_rcp_iflag_f32_e32 v1, s3
	v_nop
	v_readfirstlane_b32 s3, v1
	s_mul_f32 s3, s3, 0x4f7ffffe
	s_delay_alu instid0(SALU_CYCLE_3) | instskip(NEXT) | instid1(SALU_CYCLE_3)
	s_cvt_u32_f32 s3, s3
	s_mul_i32 s6, s6, s3
	s_delay_alu instid0(SALU_CYCLE_1) | instskip(NEXT) | instid1(SALU_CYCLE_1)
	s_mul_hi_u32 s6, s3, s6
	s_add_co_i32 s12, s3, s6
	s_wait_kmcnt 0x0
	s_cmp_eq_u64 s[4:5], 0
	s_cbranch_scc1 .LBB71_2
; %bb.1:
	s_ashr_i32 s3, s2, 31
	s_delay_alu instid0(SALU_CYCLE_1) | instskip(NEXT) | instid1(SALU_CYCLE_1)
	s_lshl_b64 s[22:23], s[2:3], 2
	s_add_nc_u64 s[4:5], s[4:5], s[22:23]
	s_load_b32 s14, s[4:5], 0x0
.LBB71_2:
	s_load_b32 s21, s[8:9], s20 offset:0x0 scale_offset
	s_wait_xcnt 0x0
	s_load_b96 s[4:6], s[0:1], 0x48
	v_and_b32_e32 v4, 3, v0
	s_ashr_i32 s3, s2, 31
	s_ashr_i32 s16, s16, 31
	s_mul_u64 s[12:13], s[10:11], s[12:13]
	s_lshl_b32 s8, s2, 8
	s_mov_b32 s2, exec_lo
	v_cmpx_gt_u32_e32 0x80, v0
	s_cbranch_execz .LBB71_4
; %bb.3:
	s_load_b64 s[22:23], s[0:1], 0x8
	s_wait_kmcnt 0x0
	s_mul_i32 s24, s4, s20
	s_ashr_i32 s9, s8, 31
	s_ashr_i32 s25, s24, 31
	v_and_b32_e32 v2, 0x3fc, v0
	s_lshl_b64 s[24:25], s[24:25], 1
	s_delay_alu instid0(VALU_DEP_1) | instskip(SKIP_2) | instid1(SALU_CYCLE_1)
	v_lshl_add_u32 v2, v4, 7, v2
	s_add_nc_u64 s[22:23], s[22:23], s[24:25]
	s_lshl_b64 s[24:25], s[8:9], 1
	s_add_nc_u64 s[22:23], s[22:23], s[24:25]
	global_load_b32 v1, v0, s[22:23] scale_offset
	s_wait_loadcnt 0x0
	ds_store_b32 v2, v1
.LBB71_4:
	s_or_b32 exec_lo, exec_lo, s2
	s_wait_kmcnt 0x0
	s_add_co_i32 s2, s21, 7
	s_load_b32 s4, s[0:1], 0x38
	s_ashr_i32 s9, s2, 31
	s_mul_i32 s11, s13, s7
	s_lshr_b32 s9, s9, 29
	s_xor_b32 s3, s3, s16
	s_add_co_i32 s2, s2, s9
	s_sub_co_i32 s9, s10, s11
	s_ashr_i32 s22, s2, 3
	s_add_co_i32 s2, s13, 1
	s_sub_co_i32 s10, s9, s7
	s_cmp_ge_u32 s9, s7
	v_lshrrev_b32_e32 v21, 5, v0
	s_cselect_b32 s2, s2, s13
	s_cselect_b32 s9, s10, s9
	s_add_co_i32 s10, s2, 1
	s_cmp_ge_u32 s9, s7
	v_mbcnt_lo_u32_b32 v8, -1, 0
	s_cselect_b32 s2, s10, s2
	s_wait_dscnt 0x0
	s_xor_b32 s2, s2, s3
	s_wait_kmcnt 0x0
	s_mul_i32 s10, s4, s20
	s_sub_co_i32 s3, s2, s3
	v_cmp_gt_i32_e64 s2, s22, v21
	s_ashr_i32 s11, s10, 31
	s_mov_b32 s4, exec_lo
	s_barrier_signal -1
	s_barrier_wait -1
                                        ; implicit-def: $vgpr3
                                        ; implicit-def: $vgpr9
	v_cmpx_le_i32_e64 s22, v21
	s_xor_b32 s4, exec_lo, s4
; %bb.5:
	v_dual_mov_b32 v3, 0 :: v_dual_mov_b32 v9, 32
	v_mbcnt_lo_u32_b32 v8, -1, 0
                                        ; implicit-def: $vgpr4
; %bb.6:
	s_or_saveexec_b32 s23, s4
	s_clause 0x1
	s_load_b64 s[12:13], s[0:1], 0x28
	s_load_b32 s9, s[0:1], 0x88
	v_dual_mov_b32 v10, 0xff7fffff :: v_dual_lshrrev_b32 v1, 3, v0
	s_mul_i32 s6, s3, s6
	s_xor_b32 exec_lo, exec_lo, s23
	s_cbranch_execz .LBB71_12
; %bb.7:
	s_load_b64 s[24:25], s[0:1], 0x10
	v_bfe_u32 v6, v0, 2, 3
	s_ashr_i32 s7, s6, 31
	v_dual_mov_b32 v3, 0 :: v_dual_lshlrev_b32 v7, 2, v0
	s_delay_alu instid0(VALU_DEP_2)
	v_dual_lshlrev_b32 v11, 7, v4 :: v_dual_lshlrev_b32 v2, 4, v6
	s_lshl_b64 s[26:27], s[6:7], 1
	v_cmp_eq_u32_e32 vcc_lo, 0, v4
	v_lshlrev_b32_e32 v12, 2, v6
	s_ashr_i32 s17, s5, 31
	s_cmp_neq_f32 s14, 0
	v_dual_mov_b32 v10, 0xff7fffff :: v_dual_mov_b32 v9, 32
	v_xor_b32_e32 v14, 1, v8
	s_cselect_b32 s3, -1, 0
	s_mov_b32 s16, s5
	s_mov_b32 s7, 0
	v_mov_b32_e32 v15, v21
	s_wait_kmcnt 0x0
	s_add_nc_u64 s[24:25], s[24:25], s[26:27]
	s_delay_alu instid0(SALU_CYCLE_1)
	v_add_nc_u64_e32 v[4:5], s[24:25], v[2:3]
	v_and_b32_e32 v2, 12, v7
	v_lshl_or_b32 v7, v21, 5, v12
	s_lshl_b64 s[24:25], s[10:11], 2
	v_lshl_or_b32 v12, v21, 3, v6
	s_add_nc_u64 s[24:25], s[12:13], s[24:25]
	s_delay_alu instid0(VALU_DEP_4) | instskip(SKIP_2) | instid1(VALU_DEP_2)
	v_add_nc_u64_e32 v[4:5], v[4:5], v[2:3]
	v_and_b32_e32 v2, 0x7c, v1
	v_add_nc_u32_e32 v13, 0x220, v7
	v_add_nc_u64_e32 v[6:7], s[24:25], v[2:3]
	v_xor_b32_e32 v2, 2, v8
	s_sub_co_i32 s24, 1, s21
	s_branch .LBB71_9
.LBB71_8:                               ;   in Loop: Header=BB71_9 Depth=1
	s_or_b32 exec_lo, exec_lo, s25
	v_dual_add_nc_u32 v15, 4, v15 :: v_dual_add_nc_u32 v12, 32, v12
	v_add_nc_u64_e32 v[6:7], 16, v[6:7]
	v_add_nc_u32_e32 v13, 0x80, v13
	s_delay_alu instid0(VALU_DEP_3) | instskip(SKIP_1) | instid1(SALU_CYCLE_1)
	v_cmp_le_i32_e64 s4, s22, v15
	s_or_b32 s7, s4, s7
	s_and_not1_b32 exec_lo, exec_lo, s7
	s_cbranch_execz .LBB71_11
.LBB71_9:                               ; =>This Inner Loop Header: Depth=1
	global_load_b32 v16, v[6:7], off
	v_cmp_gt_i32_e64 s4, 32, v2
	s_wait_loadcnt_dscnt 0x0
	v_ashrrev_i32_e32 v17, 31, v16
	s_delay_alu instid0(VALU_DEP_1) | instskip(NEXT) | instid1(VALU_DEP_1)
	v_mul_u64_e32 v[16:17], s[16:17], v[16:17]
	v_lshl_add_u64 v[44:45], v[16:17], 1, v[4:5]
	s_clause 0xa
	global_load_b32 v16, v[44:45], off
	global_load_b32 v23, v[44:45], off offset:128
	global_load_b32 v25, v[44:45], off offset:256
	;; [unrolled: 1-line block ×10, first 2 shown]
	ds_load_b32 v17, v11
	s_clause 0xc
	global_load_b32 v39, v[44:45], off offset:1408
	global_load_b32 v38, v[44:45], off offset:1536
	;; [unrolled: 1-line block ×13, first 2 shown]
	s_wait_dscnt 0x0
	v_lshrrev_b32_e32 v50, 16, v17
	v_and_b32_e32 v51, 0xffff, v17
	s_wait_loadcnt 0x17
	v_and_b32_e32 v52, 0xffff, v16
	v_lshrrev_b32_e32 v53, 16, v16
	s_clause 0x7
	global_load_b32 v26, v[44:45], off offset:3072
	global_load_b32 v24, v[44:45], off offset:3200
	;; [unrolled: 1-line block ×8, first 2 shown]
	s_wait_xcnt 0x0
	;;#ASMSTART
	v_cvt_f32_f16 v45, v51;
	;;#ASMEND
	;;#ASMSTART
	v_cvt_f32_f16 v50, v50;
	;;#ASMEND
	;;#ASMSTART
	v_cvt_f32_f16 v51, v52;
	;;#ASMEND
	;;#ASMSTART
	v_cvt_f32_f16 v52, v53;
	;;#ASMEND
	ds_load_b32 v44, v11 offset:4
	s_wait_loadcnt 0x1e
	v_and_b32_e32 v54, 0xffff, v23
	v_lshrrev_b32_e32 v23, 16, v23
	s_wait_loadcnt 0x1d
	v_and_b32_e32 v57, 0xffff, v25
	v_lshrrev_b32_e32 v25, 16, v25
	s_wait_loadcnt 0x1c
	v_and_b32_e32 v60, 0xffff, v46
	s_wait_loadcnt 0x1b
	v_and_b32_e32 v63, 0xffff, v47
	v_lshrrev_b32_e32 v46, 16, v46
	s_wait_dscnt 0x0
	v_and_b32_e32 v53, 0xffff, v44
	v_lshrrev_b32_e32 v44, 16, v44
	;;#ASMSTART
	v_cvt_f32_f16 v53, v53;
	;;#ASMEND
	;;#ASMSTART
	v_cvt_f32_f16 v44, v44;
	;;#ASMEND
	;; [unrolled: 3-line block ×4, first 2 shown]
	ds_load_b32 v23, v11 offset:8
	v_lshrrev_b32_e32 v47, 16, v47
	s_wait_dscnt 0x0
	v_and_b32_e32 v56, 0xffff, v23
	v_lshrrev_b32_e32 v23, 16, v23
	;;#ASMSTART
	v_cvt_f32_f16 v56, v56;
	;;#ASMEND
	;;#ASMSTART
	v_cvt_f32_f16 v58, v23;
	;;#ASMEND
	;;#ASMSTART
	v_cvt_f32_f16 v57, v57;
	;;#ASMEND
	;;#ASMSTART
	v_cvt_f32_f16 v59, v25;
	;;#ASMEND
	ds_load_b32 v23, v11 offset:12
	s_wait_dscnt 0x0
	v_and_b32_e32 v25, 0xffff, v23
	v_lshrrev_b32_e32 v23, 16, v23
	;;#ASMSTART
	v_cvt_f32_f16 v61, v25;
	;;#ASMEND
	;;#ASMSTART
	v_cvt_f32_f16 v62, v23;
	;;#ASMEND
	;;#ASMSTART
	v_cvt_f32_f16 v60, v60;
	;;#ASMEND
	;;#ASMSTART
	v_cvt_f32_f16 v46, v46;
	;;#ASMEND
	ds_load_b32 v23, v11 offset:16
	;; [unrolled: 16-line block ×3, first 2 shown]
	s_wait_loadcnt 0x1a
	v_and_b32_e32 v47, 0xffff, v48
	v_lshrrev_b32_e32 v48, 16, v48
	s_wait_dscnt 0x0
	v_and_b32_e32 v25, 0xffff, v23
	v_lshrrev_b32_e32 v23, 16, v23
	;;#ASMSTART
	v_cvt_f32_f16 v71, v25;
	;;#ASMEND
	;;#ASMSTART
	v_cvt_f32_f16 v72, v23;
	;;#ASMEND
	;; [unrolled: 3-line block ×4, first 2 shown]
	ds_load_b32 v25, v11 offset:24
	v_mul_f32_e32 v23, v53, v54
	s_wait_loadcnt 0x19
	v_and_b32_e32 v53, 0xffff, v49
	v_lshrrev_b32_e32 v49, 16, v49
	s_wait_dscnt 0x0
	v_and_b32_e32 v47, 0xffff, v25
	v_dual_mul_f32 v25, v44, v55 :: v_dual_lshrrev_b32 v48, 16, v25
	;;#ASMSTART
	v_cvt_f32_f16 v75, v47;
	;;#ASMEND
	;;#ASMSTART
	v_cvt_f32_f16 v76, v48;
	;;#ASMEND
	;; [unrolled: 3-line block ×4, first 2 shown]
	ds_load_b32 v44, v11 offset:28
	v_fmac_f32_e32 v23, v45, v51
	s_wait_loadcnt 0x18
	v_and_b32_e32 v47, 0xffff, v43
	s_wait_loadcnt 0x16
	v_and_b32_e32 v49, 0xffff, v40
	s_wait_dscnt 0x0
	v_and_b32_e32 v45, 0xffff, v44
	v_lshrrev_b32_e32 v44, 16, v44
	v_dual_fmac_f32 v25, v50, v52 :: v_dual_lshrrev_b32 v48, 16, v43
	v_fmac_f32_e32 v23, v56, v57
	;;#ASMSTART
	v_cvt_f32_f16 v79, v45;
	;;#ASMEND
	;;#ASMSTART
	v_cvt_f32_f16 v43, v44;
	;;#ASMEND
	;; [unrolled: 3-line block ×4, first 2 shown]
	ds_load_b32 v44, v11 offset:32
	v_and_b32_e32 v48, 0xffff, v42
	v_dual_fmac_f32 v23, v61, v60 :: v_dual_lshrrev_b32 v42, 16, v42
	s_wait_dscnt 0x0
	v_and_b32_e32 v47, 0xffff, v44
	v_lshrrev_b32_e32 v44, 16, v44
	;;#ASMSTART
	v_cvt_f32_f16 v81, v47;
	;;#ASMEND
	;;#ASMSTART
	v_cvt_f32_f16 v47, v44;
	;;#ASMEND
	;; [unrolled: 3-line block ×4, first 2 shown]
	ds_load_b32 v42, v11 offset:36
	v_fmac_f32_e32 v25, v58, v59
	s_wait_dscnt 0x0
	v_and_b32_e32 v44, 0xffff, v42
	v_dual_lshrrev_b32 v42, 16, v42 :: v_dual_lshrrev_b32 v40, 16, v40
	s_delay_alu instid0(VALU_DEP_3)
	v_fmac_f32_e32 v25, v62, v46
	;;#ASMSTART
	v_cvt_f32_f16 v55, v44;
	;;#ASMEND
	;;#ASMSTART
	v_cvt_f32_f16 v53, v42;
	;;#ASMEND
	;; [unrolled: 3-line block ×4, first 2 shown]
	ds_load_b32 v40, v11 offset:40
	s_wait_loadcnt 0x15
	v_and_b32_e32 v44, 0xffff, v41
	v_lshrrev_b32_e32 v41, 16, v41
	v_dual_fmac_f32 v23, v65, v69 :: v_dual_fmac_f32 v25, v67, v70
	s_wait_loadcnt 0xe
	v_lshrrev_b32_e32 v69, 16, v33
	s_delay_alu instid0(VALU_DEP_2)
	v_fmac_f32_e32 v23, v71, v73
	s_wait_dscnt 0x0
	v_and_b32_e32 v42, 0xffff, v40
	v_lshrrev_b32_e32 v40, 16, v40
	;;#ASMSTART
	v_cvt_f32_f16 v64, v42;
	;;#ASMEND
	;;#ASMSTART
	v_cvt_f32_f16 v61, v40;
	;;#ASMEND
	;; [unrolled: 3-line block ×4, first 2 shown]
	ds_load_b32 v40, v11 offset:44
	v_and_b32_e32 v42, 0xffff, v39
	v_lshrrev_b32_e32 v39, 16, v39
	s_wait_dscnt 0x0
	v_and_b32_e32 v41, 0xffff, v40
	v_lshrrev_b32_e32 v40, 16, v40
	;;#ASMSTART
	v_cvt_f32_f16 v65, v41;
	;;#ASMEND
	;;#ASMSTART
	v_cvt_f32_f16 v50, v40;
	;;#ASMEND
	;; [unrolled: 3-line block ×4, first 2 shown]
	ds_load_b32 v39, v11 offset:48
	v_and_b32_e32 v41, 0xffff, v38
	v_dual_fmac_f32 v23, v75, v77 :: v_dual_lshrrev_b32 v38, 16, v38
	s_wait_dscnt 0x0
	v_and_b32_e32 v40, 0xffff, v39
	v_lshrrev_b32_e32 v39, 16, v39
	;;#ASMSTART
	v_cvt_f32_f16 v60, v40;
	;;#ASMEND
	;;#ASMSTART
	v_cvt_f32_f16 v57, v39;
	;;#ASMEND
	;;#ASMSTART
	v_cvt_f32_f16 v62, v41;
	;;#ASMEND
	;;#ASMSTART
	v_cvt_f32_f16 v59, v38;
	;;#ASMEND
	ds_load_b32 v38, v11 offset:52
	v_fmac_f32_e32 v25, v72, v74
	v_and_b32_e32 v40, 0xffff, v37
	v_lshrrev_b32_e32 v37, 16, v37
	s_wait_dscnt 0x0
	v_and_b32_e32 v39, 0xffff, v38
	v_lshrrev_b32_e32 v38, 16, v38
	;;#ASMSTART
	v_cvt_f32_f16 v49, v39;
	;;#ASMEND
	;;#ASMSTART
	v_cvt_f32_f16 v44, v38;
	;;#ASMEND
	;; [unrolled: 3-line block ×4, first 2 shown]
	ds_load_b32 v37, v11 offset:56
	v_and_b32_e32 v39, 0xffff, v36
	v_dual_fmac_f32 v25, v76, v78 :: v_dual_lshrrev_b32 v36, 16, v36
	v_and_b32_e32 v40, 0xffff, v35
	v_lshrrev_b32_e32 v35, 16, v35
	s_wait_dscnt 0x0
	v_and_b32_e32 v38, 0xffff, v37
	v_lshrrev_b32_e32 v37, 16, v37
	;;#ASMSTART
	v_cvt_f32_f16 v56, v38;
	;;#ASMEND
	;;#ASMSTART
	v_cvt_f32_f16 v38, v37;
	;;#ASMEND
	;; [unrolled: 3-line block ×4, first 2 shown]
	ds_load_b32 v36, v11 offset:60
	v_fmac_f32_e32 v25, v43, v45
	s_delay_alu instid0(VALU_DEP_1)
	v_fmac_f32_e32 v25, v47, v48
	v_and_b32_e32 v48, 0xffff, v33
	s_wait_dscnt 0x0
	v_and_b32_e32 v37, 0xffff, v36
	v_lshrrev_b32_e32 v36, 16, v36
	;;#ASMSTART
	v_cvt_f32_f16 v43, v37;
	;;#ASMEND
	;;#ASMSTART
	v_cvt_f32_f16 v39, v36;
	;;#ASMEND
	;; [unrolled: 3-line block ×4, first 2 shown]
	ds_load_b32 v35, v11 offset:64
	v_fmac_f32_e32 v23, v79, v80
	v_and_b32_e32 v40, 0xffff, v34
	v_lshrrev_b32_e32 v34, 16, v34
	s_wait_dscnt 0x0
	v_and_b32_e32 v36, 0xffff, v35
	v_lshrrev_b32_e32 v35, 16, v35
	;;#ASMSTART
	v_cvt_f32_f16 v37, v36;
	;;#ASMEND
	;;#ASMSTART
	v_cvt_f32_f16 v35, v35;
	;;#ASMEND
	;; [unrolled: 3-line block ×4, first 2 shown]
	ds_load_b32 v34, v11 offset:68
	v_fmac_f32_e32 v23, v81, v82
	s_delay_alu instid0(VALU_DEP_1) | instskip(SKIP_1) | instid1(VALU_DEP_1)
	v_fmac_f32_e32 v23, v55, v68
	s_wait_loadcnt 0xd
	v_dual_fmac_f32 v23, v64, v66 :: v_dual_lshrrev_b32 v68, 16, v32
	s_delay_alu instid0(VALU_DEP_1)
	v_fmac_f32_e32 v23, v65, v67
	s_wait_loadcnt 0xb
	v_and_b32_e32 v67, 0xffff, v30
	v_lshrrev_b32_e32 v30, 16, v30
	s_wait_dscnt 0x0
	v_and_b32_e32 v47, 0xffff, v34
	v_lshrrev_b32_e32 v34, 16, v34
	;;#ASMSTART
	v_cvt_f32_f16 v47, v47;
	;;#ASMEND
	;;#ASMSTART
	v_cvt_f32_f16 v33, v34;
	;;#ASMEND
	;; [unrolled: 3-line block ×4, first 2 shown]
	ds_load_b32 v55, v11 offset:72
	v_dual_fmac_f32 v25, v53, v54 :: v_dual_lshrrev_b32 v69, 16, v31
	v_fmac_f32_e32 v23, v60, v62
	s_delay_alu instid0(VALU_DEP_1)
	v_fmac_f32_e32 v23, v49, v51
	s_wait_loadcnt 0x8
	v_and_b32_e32 v51, 0xffff, v27
	v_lshrrev_b32_e32 v27, 16, v27
	s_wait_dscnt 0x0
	v_and_b32_e32 v53, 0xffff, v55
	v_lshrrev_b32_e32 v54, 16, v55
	v_and_b32_e32 v55, 0xffff, v32
	;;#ASMSTART
	v_cvt_f32_f16 v32, v53;
	;;#ASMEND
	;;#ASMSTART
	v_cvt_f32_f16 v53, v54;
	;;#ASMEND
	;; [unrolled: 3-line block ×4, first 2 shown]
	ds_load_b32 v68, v11 offset:76
	v_fmac_f32_e32 v25, v61, v63
	s_wait_dscnt 0x0
	v_and_b32_e32 v64, 0xffff, v68
	v_lshrrev_b32_e32 v66, 16, v68
	v_and_b32_e32 v68, 0xffff, v31
	;;#ASMSTART
	v_cvt_f32_f16 v31, v64;
	;;#ASMEND
	;;#ASMSTART
	v_cvt_f32_f16 v61, v66;
	;;#ASMEND
	;; [unrolled: 3-line block ×4, first 2 shown]
	ds_load_b32 v66, v11 offset:80
	s_wait_dscnt 0x0
	v_and_b32_e32 v65, 0xffff, v66
	v_lshrrev_b32_e32 v66, 16, v66
	;;#ASMSTART
	v_cvt_f32_f16 v65, v65;
	;;#ASMEND
	;;#ASMSTART
	v_cvt_f32_f16 v66, v66;
	;;#ASMEND
	;; [unrolled: 3-line block ×4, first 2 shown]
	ds_load_b32 v30, v11 offset:84
	v_fmac_f32_e32 v25, v50, v52
	v_and_b32_e32 v52, 0xffff, v29
	v_lshrrev_b32_e32 v29, 16, v29
	s_wait_dscnt 0x0
	v_and_b32_e32 v50, 0xffff, v30
	v_lshrrev_b32_e32 v30, 16, v30
	;;#ASMSTART
	v_cvt_f32_f16 v50, v50;
	;;#ASMEND
	;;#ASMSTART
	v_cvt_f32_f16 v30, v30;
	;;#ASMEND
	;; [unrolled: 3-line block ×4, first 2 shown]
	ds_load_b32 v29, v11 offset:88
	v_fmac_f32_e32 v25, v57, v59
	v_and_b32_e32 v59, 0xffff, v28
	v_lshrrev_b32_e32 v28, 16, v28
	s_wait_dscnt 0x0
	v_and_b32_e32 v57, 0xffff, v29
	v_lshrrev_b32_e32 v29, 16, v29
	;;#ASMSTART
	v_cvt_f32_f16 v57, v57;
	;;#ASMEND
	;;#ASMSTART
	v_cvt_f32_f16 v29, v29;
	;;#ASMEND
	;; [unrolled: 3-line block ×4, first 2 shown]
	ds_load_b32 v28, v11 offset:92
	v_fmac_f32_e32 v25, v44, v46
	s_wait_dscnt 0x0
	v_and_b32_e32 v49, 0xffff, v28
	v_lshrrev_b32_e32 v28, 16, v28
	;;#ASMSTART
	v_cvt_f32_f16 v44, v49;
	;;#ASMEND
	;;#ASMSTART
	v_cvt_f32_f16 v28, v28;
	;;#ASMEND
	;; [unrolled: 3-line block ×4, first 2 shown]
	ds_load_b32 v27, v11 offset:96
	s_wait_dscnt 0x0
	v_and_b32_e32 v51, 0xffff, v27
	v_dual_lshrrev_b32 v27, 16, v27 :: v_dual_fmac_f32 v23, v56, v58
	v_fmac_f32_e32 v25, v38, v41
	s_wait_loadcnt 0x7
	v_and_b32_e32 v56, 0xffff, v26
	v_lshrrev_b32_e32 v26, 16, v26
	;;#ASMSTART
	v_cvt_f32_f16 v51, v51;
	;;#ASMEND
	;;#ASMSTART
	v_cvt_f32_f16 v27, v27;
	;;#ASMEND
	;;#ASMSTART
	v_cvt_f32_f16 v56, v56;
	;;#ASMEND
	s_wait_loadcnt 0x6
	v_and_b32_e32 v41, 0xffff, v24
	v_lshrrev_b32_e32 v24, 16, v24
	;;#ASMSTART
	v_cvt_f32_f16 v58, v26;
	;;#ASMEND
	ds_load_b32 v26, v11 offset:100
	v_fmac_f32_e32 v23, v43, v45
	s_delay_alu instid0(VALU_DEP_1)
	v_fmac_f32_e32 v23, v37, v40
	s_wait_loadcnt 0x4
	v_and_b32_e32 v40, 0xffff, v20
	v_lshrrev_b32_e32 v20, 16, v20
	s_wait_dscnt 0x0
	v_and_b32_e32 v38, 0xffff, v26
	v_lshrrev_b32_e32 v26, 16, v26
	;;#ASMSTART
	v_cvt_f32_f16 v38, v38;
	;;#ASMEND
	;;#ASMSTART
	v_cvt_f32_f16 v26, v26;
	;;#ASMEND
	;;#ASMSTART
	v_cvt_f32_f16 v41, v41;
	;;#ASMEND
	;;#ASMSTART
	v_cvt_f32_f16 v43, v24;
	;;#ASMEND
	ds_load_b32 v24, v11 offset:104
	v_fmac_f32_e32 v25, v39, v42
	v_and_b32_e32 v42, 0xffff, v22
	v_lshrrev_b32_e32 v22, 16, v22
	s_wait_dscnt 0x0
	v_and_b32_e32 v39, 0xffff, v24
	v_lshrrev_b32_e32 v24, 16, v24
	;;#ASMSTART
	v_cvt_f32_f16 v39, v39;
	;;#ASMEND
	;;#ASMSTART
	v_cvt_f32_f16 v24, v24;
	;;#ASMEND
	;;#ASMSTART
	v_cvt_f32_f16 v42, v42;
	;;#ASMEND
	;;#ASMSTART
	v_cvt_f32_f16 v45, v22;
	;;#ASMEND
	ds_load_b32 v22, v11 offset:108
	v_fmac_f32_e32 v25, v35, v36
	v_fmac_f32_e32 v23, v47, v48
	s_wait_loadcnt 0x3
	v_and_b32_e32 v47, 0xffff, v19
	s_delay_alu instid0(VALU_DEP_3) | instskip(NEXT) | instid1(VALU_DEP_3)
	v_dual_lshrrev_b32 v19, 16, v19 :: v_dual_fmac_f32 v25, v33, v34
	v_fmac_f32_e32 v23, v32, v54
	s_wait_loadcnt 0x2
	v_lshrrev_b32_e32 v32, 16, v18
	v_and_b32_e32 v18, 0xffff, v18
	v_fmac_f32_e32 v25, v53, v55
	s_delay_alu instid0(VALU_DEP_1)
	v_dual_fmac_f32 v23, v31, v63 :: v_dual_fmac_f32 v25, v61, v64
	s_wait_dscnt 0x0
	v_and_b32_e32 v37, 0xffff, v22
	v_lshrrev_b32_e32 v22, 16, v22
	;;#ASMSTART
	v_cvt_f32_f16 v35, v37;
	;;#ASMEND
	;;#ASMSTART
	v_cvt_f32_f16 v22, v22;
	;;#ASMEND
	;; [unrolled: 3-line block ×4, first 2 shown]
	ds_load_b32 v20, v11 offset:112
	v_dual_fmac_f32 v25, v66, v68 :: v_dual_fmac_f32 v23, v65, v67
	s_delay_alu instid0(VALU_DEP_1) | instskip(NEXT) | instid1(VALU_DEP_1)
	v_fmac_f32_e32 v25, v30, v60
	v_dual_fmac_f32 v23, v50, v52 :: v_dual_fmac_f32 v25, v29, v62
	s_delay_alu instid0(VALU_DEP_1) | instskip(SKIP_1) | instid1(VALU_DEP_1)
	v_dual_fmac_f32 v23, v57, v59 :: v_dual_fmac_f32 v25, v28, v49
	s_wait_loadcnt 0x1
	v_dual_fmac_f32 v23, v44, v46 :: v_dual_lshrrev_b32 v28, 16, v17
	v_and_b32_e32 v17, 0xffff, v17
	s_wait_dscnt 0x0
	v_and_b32_e32 v40, 0xffff, v20
	v_lshrrev_b32_e32 v20, 16, v20
	;;#ASMSTART
	v_cvt_f32_f16 v40, v40;
	;;#ASMEND
	;;#ASMSTART
	v_cvt_f32_f16 v20, v20;
	;;#ASMEND
	;; [unrolled: 3-line block ×4, first 2 shown]
	ds_load_b32 v19, v11 offset:116
	s_wait_dscnt 0x0
	v_and_b32_e32 v31, 0xffff, v19
	v_lshrrev_b32_e32 v19, 16, v19
	;;#ASMSTART
	v_cvt_f32_f16 v31, v31;
	;;#ASMEND
	;;#ASMSTART
	v_cvt_f32_f16 v19, v19;
	;;#ASMEND
	;; [unrolled: 3-line block ×4, first 2 shown]
	ds_load_b32 v18, v11 offset:120
	v_fmac_f32_e32 v23, v51, v56
	v_fmac_f32_e32 v25, v27, v58
	s_wait_dscnt 0x0
	v_and_b32_e32 v27, 0xffff, v18
	s_delay_alu instid0(VALU_DEP_3) | instskip(NEXT) | instid1(VALU_DEP_3)
	v_dual_fmac_f32 v23, v38, v41 :: v_dual_lshrrev_b32 v18, 16, v18
	v_fmac_f32_e32 v25, v26, v43
	;;#ASMSTART
	v_cvt_f32_f16 v26, v27;
	;;#ASMEND
	;;#ASMSTART
	v_cvt_f32_f16 v27, v18;
	;;#ASMEND
	;; [unrolled: 3-line block ×4, first 2 shown]
	ds_load_b32 v17, v11 offset:124
	v_dual_fmac_f32 v23, v39, v42 :: v_dual_fmac_f32 v25, v24, v45
	v_cndmask_b32_e64 v18, v8, v2, s4
	v_cmp_gt_i32_e64 s4, 32, v14
	s_delay_alu instid0(VALU_DEP_3) | instskip(NEXT) | instid1(VALU_DEP_1)
	v_dual_fmac_f32 v23, v35, v36 :: v_dual_fmac_f32 v25, v22, v37
	v_fmac_f32_e32 v23, v40, v47
	s_delay_alu instid0(VALU_DEP_2)
	v_fmac_f32_e32 v25, v20, v48
	s_wait_loadcnt 0x0
	v_lshrrev_b32_e32 v20, 16, v16
	v_and_b32_e32 v16, 0xffff, v16
	v_fmac_f32_e32 v23, v31, v33
	v_fmac_f32_e32 v25, v19, v32
	s_wait_dscnt 0x0
	v_and_b32_e32 v19, 0xffff, v17
	v_lshrrev_b32_e32 v17, 16, v17
	s_delay_alu instid0(VALU_DEP_3)
	v_dual_fmac_f32 v23, v26, v29 :: v_dual_fmac_f32 v25, v27, v28
	;;#ASMSTART
	v_cvt_f32_f16 v19, v19;
	;;#ASMEND
	;;#ASMSTART
	v_cvt_f32_f16 v17, v17;
	;;#ASMEND
	;; [unrolled: 3-line block ×4, first 2 shown]
	v_dual_fmac_f32 v23, v19, v16 :: v_dual_lshlrev_b32 v16, 2, v18
	v_dual_fmac_f32 v25, v17, v20 :: v_dual_cndmask_b32 v18, v8, v14, s4
	s_delay_alu instid0(VALU_DEP_1)
	v_add_f32_e32 v17, v23, v25
	ds_bpermute_b32 v16, v16, v17
	s_wait_dscnt 0x0
	v_dual_add_f32 v16, v17, v16 :: v_dual_lshlrev_b32 v17, 2, v18
	ds_bpermute_b32 v17, v17, v16
	s_and_saveexec_b32 s25, vcc_lo
	s_cbranch_execz .LBB71_8
; %bb.10:                               ;   in Loop: Header=BB71_9 Depth=1
	s_wait_dscnt 0x0
	v_dual_add_nc_u32 v18, s24, v12 :: v_dual_add_f32 v16, v16, v17
	v_cmp_gt_i32_e64 s4, s21, v12
	s_delay_alu instid0(VALU_DEP_2) | instskip(NEXT) | instid1(VALU_DEP_1)
	v_cvt_f32_i32_e32 v18, v18
	v_mul_f32_e32 v18, s14, v18
	s_delay_alu instid0(VALU_DEP_1) | instskip(NEXT) | instid1(VALU_DEP_1)
	v_cndmask_b32_e64 v17, 0, v18, s3
	v_dual_fmac_f32 v17, s15, v16 :: v_dual_max_num_f32 v18, v10, v10
	s_delay_alu instid0(VALU_DEP_1) | instskip(NEXT) | instid1(VALU_DEP_1)
	v_dual_max_num_f32 v16, v18, v17 :: v_dual_cndmask_b32 v17, 0, v17, s4
	v_cndmask_b32_e64 v10, v10, v16, s4
	ds_store_b32 v13, v17
	s_branch .LBB71_8
.LBB71_11:
	s_or_b32 exec_lo, exec_lo, s7
.LBB71_12:
	s_delay_alu instid0(SALU_CYCLE_1)
	s_or_b32 exec_lo, exec_lo, s23
	v_dual_max_num_f32 v6, v10, v10 :: v_dual_bitop2_b32 v2, 16, v8 bitop3:0x14
	s_clause 0x1
	s_load_b64 s[14:15], s[0:1], 0x0
	s_load_b64 s[16:17], s[0:1], 0x18
	v_and_b32_e32 v22, 31, v0
	v_xor_b32_e32 v5, 8, v8
	v_cmp_lt_i32_e32 vcc_lo, v2, v9
	v_cndmask_b32_e32 v2, v8, v2, vcc_lo
	s_delay_alu instid0(VALU_DEP_3) | instskip(NEXT) | instid1(VALU_DEP_2)
	v_cmp_lt_i32_e32 vcc_lo, v5, v9
	v_dual_cndmask_b32 v5, v8, v5 :: v_dual_lshlrev_b32 v2, 2, v2
	ds_bpermute_b32 v4, v2, v10
	s_wait_dscnt 0x0
	v_dual_max_num_f32 v7, v4, v4 :: v_dual_lshlrev_b32 v4, 2, v5
	s_delay_alu instid0(VALU_DEP_1) | instskip(SKIP_4) | instid1(VALU_DEP_1)
	v_dual_max_num_f32 v5, v6, v7 :: v_dual_bitop2_b32 v7, 4, v8 bitop3:0x14
	ds_bpermute_b32 v6, v4, v5
	v_cmp_lt_i32_e32 vcc_lo, v7, v9
	v_cndmask_b32_e32 v7, v8, v7, vcc_lo
	s_wait_dscnt 0x0
	v_dual_max_num_f32 v6, v6, v6 :: v_dual_lshlrev_b32 v7, 2, v7
	s_delay_alu instid0(VALU_DEP_1)
	v_dual_max_num_f32 v6, v5, v6 :: v_dual_lshlrev_b32 v5, 2, v21
	v_cmp_eq_u32_e32 vcc_lo, 0, v22
	ds_bpermute_b32 v10, v7, v6
	s_wait_xcnt 0x0
	s_and_saveexec_b32 s0, vcc_lo
	s_cbranch_execz .LBB71_14
; %bb.13:
	s_wait_dscnt 0x0
	v_max_num_f32_e32 v10, v10, v10
	v_max_num_f32_e32 v6, v6, v6
	s_delay_alu instid0(VALU_DEP_1)
	v_max_num_f32_e32 v6, v6, v10
	ds_store_b32 v5, v6 offset:512
.LBB71_14:
	s_or_b32 exec_lo, exec_lo, s0
	v_cmp_gt_u32_e64 s0, 4, v22
	v_dual_mov_b32 v11, 0xff7fffff :: v_dual_lshlrev_b32 v6, 2, v22
	s_wait_dscnt 0x0
	s_barrier_signal -1
	s_barrier_wait -1
	s_and_saveexec_b32 s1, s0
; %bb.15:
	ds_load_b32 v11, v6 offset:512
; %bb.16:
	s_or_b32 exec_lo, exec_lo, s1
	v_xor_b32_e32 v10, 2, v8
	v_dual_lshlrev_b32 v3, 2, v3 :: v_dual_bitop2_b32 v13, 1, v8 bitop3:0x14
	s_delay_alu instid0(VALU_DEP_2) | instskip(NEXT) | instid1(VALU_DEP_1)
	v_cmp_lt_i32_e64 s1, v10, v9
	v_cndmask_b32_e64 v10, v8, v10, s1
	s_delay_alu instid0(VALU_DEP_3) | instskip(NEXT) | instid1(VALU_DEP_1)
	v_cmp_lt_i32_e64 s1, v13, v9
	v_dual_lshlrev_b32 v10, 2, v10 :: v_dual_cndmask_b32 v9, v8, v13, s1
	s_lshl_b32 s1, s22, 3
	s_delay_alu instid0(SALU_CYCLE_1)
	s_min_i32 s4, s1, s21
	s_wait_dscnt 0x0
	ds_bpermute_b32 v12, v10, v11
	v_dual_max_num_f32 v11, v11, v11 :: v_dual_lshlrev_b32 v9, 2, v9
	v_cmp_gt_i32_e64 s1, s4, v0
	s_wait_dscnt 0x0
	v_max_num_f32_e32 v12, v12, v12
	s_delay_alu instid0(VALU_DEP_1) | instskip(SKIP_3) | instid1(VALU_DEP_1)
	v_max_num_f32_e32 v11, v11, v12
	ds_bpermute_b32 v12, v9, v11
	s_wait_dscnt 0x0
	v_max_num_f32_e32 v12, v12, v12
	v_max_num_f32_e32 v11, v11, v12
	ds_bpermute_b32 v11, v3, v11
	v_mov_b32_e32 v3, 0
	s_and_saveexec_b32 s7, s1
	s_cbranch_execz .LBB71_20
; %bb.17:
	v_lshl_add_u32 v12, v0, 2, 0x220
	v_dual_mov_b32 v3, 0 :: v_dual_mov_b32 v13, v0
	s_mov_b32 s23, 0
.LBB71_18:                              ; =>This Inner Loop Header: Depth=1
	ds_load_b32 v14, v12
	v_add_nc_u32_e32 v13, 0x80, v13
	s_delay_alu instid0(VALU_DEP_1) | instskip(SKIP_3) | instid1(VALU_DEP_1)
	v_cmp_le_i32_e64 s3, s4, v13
	s_or_b32 s23, s3, s23
	s_wait_dscnt 0x0
	v_sub_f32_e32 v14, v14, v11
	v_mul_f32_e32 v14, 0x3fb8aa3b, v14
	s_delay_alu instid0(VALU_DEP_1)
	v_exp_f32_e32 v14, v14
	ds_store_b32 v12, v14
	v_nop
	v_dual_add_f32 v3, v3, v14 :: v_dual_add_nc_u32 v12, 0x200, v12
	s_and_not1_b32 exec_lo, exec_lo, s23
	s_cbranch_execnz .LBB71_18
; %bb.19:
	s_or_b32 exec_lo, exec_lo, s23
.LBB71_20:
	s_delay_alu instid0(SALU_CYCLE_1)
	s_or_b32 exec_lo, exec_lo, s7
	ds_bpermute_b32 v2, v2, v3
	s_wait_dscnt 0x0
	v_add_f32_e32 v2, v3, v2
	ds_bpermute_b32 v3, v4, v2
	s_wait_dscnt 0x0
	v_add_f32_e32 v2, v2, v3
	;; [unrolled: 3-line block ×5, first 2 shown]
	s_and_saveexec_b32 s3, vcc_lo
; %bb.21:
	ds_store_b32 v5, v2 offset:528
; %bb.22:
	s_or_b32 exec_lo, exec_lo, s3
	s_wait_dscnt 0x0
	s_barrier_signal -1
	s_barrier_wait -1
	s_and_saveexec_b32 s3, s0
; %bb.23:
	ds_load_b32 v2, v6 offset:528
; %bb.24:
	s_or_b32 exec_lo, exec_lo, s3
	s_wait_dscnt 0x0
	ds_bpermute_b32 v3, v10, v2
	s_wait_dscnt 0x0
	v_dual_lshlrev_b32 v4, 2, v8 :: v_dual_add_f32 v2, v2, v3
	ds_bpermute_b32 v3, v9, v2
	s_wait_dscnt 0x0
	v_add_f32_e32 v2, v2, v3
	v_and_b32_e32 v3, 0xffffff80, v4
	ds_bpermute_b32 v2, v3, v2
	s_and_saveexec_b32 s0, s1
	s_cbranch_execz .LBB71_37
; %bb.25:
	s_wait_dscnt 0x0
	v_add_f32_e32 v2, 0x358637bd, v2
	s_mov_b32 s3, -1
	s_mov_b32 s1, exec_lo
	s_delay_alu instid0(VALU_DEP_1) | instskip(NEXT) | instid1(VALU_DEP_1)
	v_div_scale_f32 v3, null, v2, v2, 1.0
	v_rcp_f32_e32 v5, v3
	v_nop
	s_delay_alu instid0(TRANS32_DEP_1) | instskip(NEXT) | instid1(VALU_DEP_1)
	v_fma_f32 v4, -v3, v5, 1.0
	v_fmac_f32_e32 v5, v4, v5
	v_div_scale_f32 v6, vcc_lo, 1.0, v2, 1.0
	s_delay_alu instid0(VALU_DEP_1) | instskip(NEXT) | instid1(VALU_DEP_1)
	v_mul_f32_e32 v7, v6, v5
	v_fma_f32 v4, -v3, v7, v6
	s_delay_alu instid0(VALU_DEP_1) | instskip(SKIP_1) | instid1(VALU_DEP_2)
	v_fmac_f32_e32 v7, v4, v5
	v_xad_u32 v4, v0, -1, s4
	v_fma_f32 v3, -v3, v7, v6
	s_delay_alu instid0(VALU_DEP_1) | instskip(NEXT) | instid1(VALU_DEP_1)
	v_div_fmas_f32 v3, v3, v5, v7
	v_div_fixup_f32 v2, v3, v2, 1.0
	v_mov_b32_e32 v3, v0
	v_cmpx_lt_u32_e32 0x7f, v4
	s_cbranch_execz .LBB71_34
; %bb.26:
	s_delay_alu instid0(VALU_DEP_3) | instskip(NEXT) | instid1(VALU_DEP_1)
	v_dual_mov_b32 v3, v2 :: v_dual_lshrrev_b32 v4, 7, v4
	v_dual_mov_b32 v8, 0 :: v_dual_add_nc_u32 v5, -1, v4
	s_delay_alu instid0(VALU_DEP_1) | instskip(SKIP_1) | instid1(VALU_DEP_2)
	v_lshrrev_b32_e32 v6, 1, v5
	v_cmp_lt_u32_e32 vcc_lo, 13, v5
	v_add_nc_u32_e32 v5, 1, v6
	s_and_saveexec_b32 s3, vcc_lo
	s_cbranch_execz .LBB71_30
; %bb.27:
	s_delay_alu instid0(VALU_DEP_1)
	v_and_b32_e32 v6, -8, v5
	v_lshl_add_u32 v7, v0, 2, 0x220
	s_mov_b32 s7, 0
	s_mov_b32 s23, 0
.LBB71_28:                              ; =>This Inner Loop Header: Depth=1
	ds_load_2addr_stride64_b32 v[8:9], v7 offset1:2
	ds_load_2addr_stride64_b32 v[10:11], v7 offset0:4 offset1:6
	ds_load_2addr_stride64_b32 v[12:13], v7 offset0:8 offset1:10
	;; [unrolled: 1-line block ×7, first 2 shown]
	s_add_co_i32 s23, s23, 16
	v_add_nc_u32_e32 v6, -8, v6
	s_wait_dscnt 0x7
	v_pk_mul_f32 v[8:9], v[2:3], v[8:9]
	s_wait_dscnt 0x6
	v_pk_mul_f32 v[10:11], v[2:3], v[10:11]
	;; [unrolled: 2-line block ×8, first 2 shown]
	ds_store_2addr_stride64_b32 v7, v8, v9 offset1:2
	ds_store_2addr_stride64_b32 v7, v10, v11 offset0:4 offset1:6
	ds_store_2addr_stride64_b32 v7, v12, v13 offset0:8 offset1:10
	;; [unrolled: 1-line block ×7, first 2 shown]
	v_mov_b32_e32 v8, s23
	v_cmp_eq_u32_e32 vcc_lo, 0, v6
	v_add_nc_u32_e32 v7, 0x2000, v7
	s_or_b32 s7, vcc_lo, s7
	s_delay_alu instid0(SALU_CYCLE_1)
	s_and_not1_b32 exec_lo, exec_lo, s7
	s_cbranch_execnz .LBB71_28
; %bb.29:
	s_or_b32 exec_lo, exec_lo, s7
.LBB71_30:
	s_delay_alu instid0(SALU_CYCLE_1) | instskip(NEXT) | instid1(VALU_DEP_1)
	s_or_b32 exec_lo, exec_lo, s3
	v_and_b32_e32 v5, 7, v5
	s_mov_b32 s7, 0
	s_mov_b32 s3, exec_lo
	s_delay_alu instid0(VALU_DEP_1)
	v_cmpx_ne_u32_e32 0, v5
	s_cbranch_execz .LBB71_33
; %bb.31:
	v_lshlrev_b32_e32 v6, 9, v8
	v_lshlrev_b32_e32 v7, 2, v0
	s_delay_alu instid0(VALU_DEP_1)
	v_add3_u32 v6, v6, v7, 0x220
.LBB71_32:                              ; =>This Inner Loop Header: Depth=1
	ds_load_2addr_stride64_b32 v[8:9], v6 offset1:2
	v_add_nc_u32_e32 v5, -1, v5
	s_delay_alu instid0(VALU_DEP_1)
	v_cmp_eq_u32_e32 vcc_lo, 0, v5
	s_or_b32 s7, vcc_lo, s7
	s_wait_dscnt 0x0
	v_pk_mul_f32 v[8:9], v[2:3], v[8:9]
	ds_store_2addr_stride64_b32 v6, v8, v9 offset1:2
	v_add_nc_u32_e32 v6, 0x400, v6
	s_and_not1_b32 exec_lo, exec_lo, s7
	s_cbranch_execnz .LBB71_32
.LBB71_33:
	s_or_b32 exec_lo, exec_lo, s3
	v_add_nc_u32_e32 v3, 1, v4
	s_delay_alu instid0(VALU_DEP_1) | instskip(NEXT) | instid1(VALU_DEP_1)
	v_and_b32_e32 v4, 0x3fffffe, v3
	v_cmp_ne_u32_e32 vcc_lo, v3, v4
	v_lshl_add_u32 v3, v4, 7, v0
	s_or_not1_b32 s3, vcc_lo, exec_lo
.LBB71_34:
	s_or_b32 exec_lo, exec_lo, s1
	s_delay_alu instid0(SALU_CYCLE_1)
	s_and_b32 exec_lo, exec_lo, s3
	s_cbranch_execz .LBB71_37
; %bb.35:
	v_lshl_add_u32 v4, v3, 2, 0x220
	s_mov_b32 s1, 0
.LBB71_36:                              ; =>This Inner Loop Header: Depth=1
	ds_load_b32 v5, v4
	v_add_nc_u32_e32 v3, 0x80, v3
	s_delay_alu instid0(VALU_DEP_1)
	v_cmp_le_i32_e32 vcc_lo, s4, v3
	s_or_b32 s1, vcc_lo, s1
	s_wait_dscnt 0x0
	v_mul_f32_e32 v5, v2, v5
	ds_store_b32 v4, v5
	v_add_nc_u32_e32 v4, 0x200, v4
	s_and_not1_b32 exec_lo, exec_lo, s1
	s_cbranch_execnz .LBB71_36
.LBB71_37:
	s_or_b32 exec_lo, exec_lo, s0
	v_mov_b64_e32 v[6:7], 0
	v_mov_b64_e32 v[8:9], 0
	;; [unrolled: 1-line block ×4, first 2 shown]
	s_wait_dscnt 0x0
	s_barrier_signal -1
	s_barrier_wait -1
	s_and_saveexec_b32 s1, s2
	s_cbranch_execz .LBB71_57
; %bb.38:
	s_ashr_i32 s7, s6, 31
	v_dual_mov_b32 v7, 0 :: v_dual_lshlrev_b32 v6, 4, v22
	s_lshl_b64 s[6:7], s[6:7], 1
	s_ashr_i32 s3, s5, 31
	s_wait_kmcnt 0x0
	s_add_nc_u64 s[6:7], s[16:17], s[6:7]
	s_mov_b32 s2, s5
	v_add_nc_u64_e32 v[14:15], s[6:7], v[6:7]
	v_and_b32_e32 v6, 0x7c, v1
	s_lshl_b64 s[4:5], s[10:11], 2
	v_lshlrev_b32_e32 v23, 3, v21
	s_add_nc_u64 s[4:5], s[12:13], s[4:5]
	v_lshl_add_u32 v24, v21, 5, 0x220
	v_add_nc_u64_e32 v[16:17], s[4:5], v[6:7]
	v_dual_mov_b32 v6, v7 :: v_dual_mov_b32 v9, v7
	v_dual_mov_b32 v8, v7 :: v_dual_mov_b32 v11, v7
	;; [unrolled: 1-line block ×4, first 2 shown]
	s_add_co_i32 s4, s22, -1
	s_mov_b32 s6, s21
	s_mov_b32 s5, 0
	s_branch .LBB71_40
.LBB71_39:                              ;   in Loop: Header=BB71_40 Depth=1
	s_or_b32 exec_lo, exec_lo, s0
	v_dual_add_f32 v20, v20, v33 :: v_dual_lshlrev_b32 v18, 16, v18
	s_delay_alu instid0(VALU_DEP_2) | instskip(SKIP_1) | instid1(VALU_DEP_3)
	v_dual_add_f32 v26, v48, v49 :: v_dual_lshlrev_b32 v19, 16, v19
	v_add_nc_u64_e32 v[16:17], 16, v[16:17]
	v_dual_add_f32 v6, v6, v20 :: v_dual_lshlrev_b32 v1, 16, v1
	s_delay_alu instid0(VALU_DEP_3) | instskip(SKIP_2) | instid1(VALU_DEP_4)
	v_dual_add_f32 v9, v9, v26 :: v_dual_add_f32 v26, v44, v45
	v_add_f32_e32 v20, v46, v47
	v_and_or_b32 v2, 0xffff, v2, v18
	v_and_or_b32 v1, 0xffff, v3, v1
	;; [unrolled: 1-line block ×3, first 2 shown]
	;;#ASMSTART
	v_pk_mul_f16 v2, v35, v2;

	;;#ASMEND
	;;#ASMSTART
	v_pk_mul_f16 v1, v34, v1;

	;;#ASMEND
	;; [unrolled: 4-line block ×4, first 2 shown]
	;;#ASMSTART
	v_pk_add_f16 v1, v2, v1;

	;;#ASMEND
	;;#ASMSTART
	v_pk_add_f16 v1, v1, v3;

	;;#ASMEND
	;; [unrolled: 4-line block ×3, first 2 shown]
	v_dual_add_f32 v11, v11, v26 :: v_dual_add_f32 v8, v8, v20
	v_lshrrev_b32_e32 v5, 16, v1
	v_and_b32_e32 v4, 0xffff, v1
	v_dual_add_f32 v1, v42, v43 :: v_dual_add_f32 v2, v40, v41
	v_add_nc_u32_e32 v25, 4, v25
	;;#ASMSTART
	v_cvt_f32_f16 v4, v4;
	;;#ASMEND
	;;#ASMSTART
	v_cvt_f32_f16 v5, v5;
	;;#ASMEND
	v_dual_add_f32 v3, v38, v39 :: v_dual_add_f32 v4, v4, v5
	v_add_f32_e32 v13, v13, v2
	v_cmp_le_i32_e32 vcc_lo, s22, v25
	s_delay_alu instid0(VALU_DEP_3) | instskip(NEXT) | instid1(VALU_DEP_4)
	v_dual_add_f32 v10, v10, v1 :: v_dual_add_f32 v12, v12, v3
	v_dual_add_f32 v7, v7, v4 :: v_dual_add_nc_u32 v23, 32, v23
	v_add_nc_u32_e32 v24, 0x80, v24
	s_or_b32 s5, vcc_lo, s5
	s_delay_alu instid0(SALU_CYCLE_1)
	s_and_not1_b32 exec_lo, exec_lo, s5
	s_cbranch_execz .LBB71_56
.LBB71_40:                              ; =>This Inner Loop Header: Depth=1
	global_load_b32 v2, v[16:17], off
	v_cmp_eq_u32_e32 vcc_lo, s4, v25
	v_dual_add_nc_u32 v31, 2, v23 :: v_dual_bitop2_b32 v30, 1, v23 bitop3:0x54
	s_wait_loadcnt 0x0
	v_ashrrev_i32_e32 v3, 31, v2
	s_delay_alu instid0(VALU_DEP_1)
	v_mul_u64_e32 v[18:19], s[2:3], v[2:3]
	ds_load_2addr_b64 v[2:5], v24 offset1:1
	ds_load_2addr_b64 v[26:29], v24 offset0:2 offset1:3
	s_wait_dscnt 0x1
	;;#ASMSTART
	v_cvt_f16_f32 v35, v2;

	;;#ASMEND
	;;#ASMSTART
	v_cvt_f16_f32 v34, v3;

	;;#ASMEND
	;; [unrolled: 4-line block ×4, first 2 shown]
	s_wait_dscnt 0x0
	;;#ASMSTART
	v_cvt_f16_f32 v41, v26;

	;;#ASMEND
	;;#ASMSTART
	v_cvt_f16_f32 v36, v27;

	;;#ASMEND
	;; [unrolled: 4-line block ×4, first 2 shown]
	v_dual_add_nc_u32 v27, 4, v23 :: v_dual_add_nc_u32 v26, 5, v23
	v_dual_add_nc_u32 v29, 6, v23 :: v_dual_add_nc_u32 v28, 7, v23
	v_lshl_add_u64 v[18:19], v[18:19], 1, v[14:15]
	global_load_b128 v[2:5], v[18:19], off
	s_wait_loadcnt 0x0
	v_dual_lshrrev_b32 v20, 16, v2 :: v_dual_bitop2_b32 v32, 3, v23 bitop3:0x54
	v_dual_lshrrev_b32 v1, 16, v3 :: v_dual_lshrrev_b32 v33, 16, v4
	s_and_saveexec_b32 s7, vcc_lo
	s_cbranch_execz .LBB71_42
; %bb.41:                               ;   in Loop: Header=BB71_40 Depth=1
	v_cmp_gt_i32_e64 s0, s21, v23
	v_and_b32_e32 v42, 0xffff, v5
	v_and_b32_e32 v5, 0xffff0000, v5
	s_delay_alu instid0(VALU_DEP_3) | instskip(SKIP_1) | instid1(VALU_DEP_1)
	v_cndmask_b32_e64 v2, 0, v2, s0
	v_cmp_gt_i32_e64 s0, s21, v31
	v_cndmask_b32_e64 v3, 0, v3, s0
	v_cmp_gt_i32_e64 s0, s6, v32
	s_delay_alu instid0(VALU_DEP_1) | instskip(SKIP_1) | instid1(VALU_DEP_1)
	v_cndmask_b32_e64 v1, 0, v1, s0
	v_cmp_gt_i32_e64 s0, s21, v30
	v_cndmask_b32_e64 v20, 0, v20, s0
	v_cmp_gt_i32_e64 s0, s21, v29
	s_delay_alu instid0(VALU_DEP_1) | instskip(SKIP_1) | instid1(VALU_DEP_1)
	;; [unrolled: 5-line block ×3, first 2 shown]
	v_dual_cndmask_b32 v4, 0, v4, s0 :: v_dual_bitop2_b32 v5, v42, v5 bitop3:0x54
	v_cmp_gt_i32_e64 s0, s21, v26
	v_cndmask_b32_e64 v33, 0, v33, s0
.LBB71_42:                              ;   in Loop: Header=BB71_40 Depth=1
	s_or_b32 exec_lo, exec_lo, s7
	v_and_b32_e32 v35, 0xffff, v35
	v_and_b32_e32 v40, 0xffff, v40
	v_dual_lshlrev_b32 v20, 16, v20 :: v_dual_lshlrev_b32 v1, 16, v1
	v_lshlrev_b32_e32 v33, 16, v33
	v_and_b32_e32 v41, 0xffff, v41
	v_lshl_or_b32 v35, v34, 16, v35
	v_lshl_or_b32 v34, v38, 16, v40
	v_and_b32_e32 v38, 0xffff, v39
	v_and_or_b32 v2, 0xffff, v2, v20
	v_and_or_b32 v1, 0xffff, v3, v1
	;; [unrolled: 1-line block ×3, first 2 shown]
	;;#ASMSTART
	v_pk_mul_f16 v2, v35, v2;

	;;#ASMEND
	;;#ASMSTART
	v_pk_mul_f16 v1, v34, v1;

	;;#ASMEND
	v_lshl_or_b32 v36, v36, 16, v41
	v_lshl_or_b32 v37, v37, 16, v38
	;;#ASMSTART
	v_pk_mul_f16 v3, v36, v3;

	;;#ASMEND
	;;#ASMSTART
	v_pk_mul_f16 v4, v37, v5;

	;;#ASMEND
	;;#ASMSTART
	v_pk_add_f16 v1, v2, v1;

	;;#ASMEND
	;;#ASMSTART
	v_pk_add_f16 v1, v1, v3;
	;; [unrolled: 4-line block ×3, first 2 shown]

	;;#ASMEND
	v_and_b32_e32 v2, 0xffff, v1
	v_lshrrev_b32_e32 v1, 16, v1
	;;#ASMSTART
	v_cvt_f32_f16 v38, v2;
	;;#ASMEND
	;;#ASMSTART
	v_cvt_f32_f16 v39, v1;
	;;#ASMEND
	global_load_b128 v[2:5], v[18:19], off offset:512
	s_wait_loadcnt 0x0
	v_dual_lshrrev_b32 v1, 16, v3 :: v_dual_lshrrev_b32 v20, 16, v2
	v_lshrrev_b32_e32 v33, 16, v4
	s_and_saveexec_b32 s7, vcc_lo
	s_cbranch_execz .LBB71_44
; %bb.43:                               ;   in Loop: Header=BB71_40 Depth=1
	v_cmp_gt_i32_e64 s0, s21, v23
	v_and_b32_e32 v40, 0xffff, v5
	v_and_b32_e32 v5, 0xffff0000, v5
	s_delay_alu instid0(VALU_DEP_3) | instskip(SKIP_1) | instid1(VALU_DEP_1)
	v_cndmask_b32_e64 v2, 0, v2, s0
	v_cmp_gt_i32_e64 s0, s21, v31
	v_cndmask_b32_e64 v3, 0, v3, s0
	v_cmp_gt_i32_e64 s0, s6, v32
	s_delay_alu instid0(VALU_DEP_1) | instskip(SKIP_1) | instid1(VALU_DEP_1)
	v_cndmask_b32_e64 v1, 0, v1, s0
	v_cmp_gt_i32_e64 s0, s21, v30
	v_cndmask_b32_e64 v20, 0, v20, s0
	v_cmp_gt_i32_e64 s0, s21, v29
	s_delay_alu instid0(VALU_DEP_1) | instskip(SKIP_1) | instid1(VALU_DEP_1)
	v_cndmask_b32_e64 v40, 0, v40, s0
	v_cmp_gt_i32_e64 s0, s21, v28
	v_cndmask_b32_e64 v5, 0, v5, s0
	v_cmp_gt_i32_e64 s0, s21, v27
	s_delay_alu instid0(VALU_DEP_1) | instskip(SKIP_1) | instid1(VALU_DEP_1)
	v_dual_cndmask_b32 v4, 0, v4, s0 :: v_dual_bitop2_b32 v5, v40, v5 bitop3:0x54
	v_cmp_gt_i32_e64 s0, s21, v26
	v_cndmask_b32_e64 v33, 0, v33, s0
.LBB71_44:                              ;   in Loop: Header=BB71_40 Depth=1
	s_or_b32 exec_lo, exec_lo, s7
	v_dual_lshlrev_b32 v20, 16, v20 :: v_dual_lshlrev_b32 v1, 16, v1
	s_delay_alu instid0(VALU_DEP_2) | instskip(NEXT) | instid1(VALU_DEP_2)
	v_lshlrev_b32_e32 v33, 16, v33
	v_and_or_b32 v2, 0xffff, v2, v20
	s_delay_alu instid0(VALU_DEP_3) | instskip(NEXT) | instid1(VALU_DEP_3)
	v_and_or_b32 v1, 0xffff, v3, v1
	v_and_or_b32 v3, 0xffff, v4, v33
	;;#ASMSTART
	v_pk_mul_f16 v2, v35, v2;

	;;#ASMEND
	;;#ASMSTART
	v_pk_mul_f16 v1, v34, v1;

	;;#ASMEND
	;; [unrolled: 4-line block ×4, first 2 shown]
	;;#ASMSTART
	v_pk_add_f16 v1, v2, v1;

	;;#ASMEND
	;;#ASMSTART
	v_pk_add_f16 v1, v1, v3;

	;;#ASMEND
	;; [unrolled: 4-line block ×3, first 2 shown]
	v_and_b32_e32 v2, 0xffff, v1
	v_lshrrev_b32_e32 v1, 16, v1
	;;#ASMSTART
	v_cvt_f32_f16 v40, v2;
	;;#ASMEND
	;;#ASMSTART
	v_cvt_f32_f16 v41, v1;
	;;#ASMEND
	global_load_b128 v[2:5], v[18:19], off offset:1024
	s_wait_loadcnt 0x0
	v_dual_lshrrev_b32 v1, 16, v3 :: v_dual_lshrrev_b32 v20, 16, v2
	v_lshrrev_b32_e32 v33, 16, v4
	s_and_saveexec_b32 s7, vcc_lo
	s_cbranch_execz .LBB71_46
; %bb.45:                               ;   in Loop: Header=BB71_40 Depth=1
	v_cmp_gt_i32_e64 s0, s21, v23
	v_and_b32_e32 v42, 0xffff, v5
	v_and_b32_e32 v5, 0xffff0000, v5
	s_delay_alu instid0(VALU_DEP_3) | instskip(SKIP_1) | instid1(VALU_DEP_1)
	v_cndmask_b32_e64 v2, 0, v2, s0
	v_cmp_gt_i32_e64 s0, s21, v31
	v_cndmask_b32_e64 v3, 0, v3, s0
	v_cmp_gt_i32_e64 s0, s6, v32
	s_delay_alu instid0(VALU_DEP_1) | instskip(SKIP_1) | instid1(VALU_DEP_1)
	v_cndmask_b32_e64 v1, 0, v1, s0
	v_cmp_gt_i32_e64 s0, s21, v30
	v_cndmask_b32_e64 v20, 0, v20, s0
	v_cmp_gt_i32_e64 s0, s21, v29
	s_delay_alu instid0(VALU_DEP_1) | instskip(SKIP_1) | instid1(VALU_DEP_1)
	;; [unrolled: 5-line block ×3, first 2 shown]
	v_dual_cndmask_b32 v4, 0, v4, s0 :: v_dual_bitop2_b32 v5, v42, v5 bitop3:0x54
	v_cmp_gt_i32_e64 s0, s21, v26
	v_cndmask_b32_e64 v33, 0, v33, s0
.LBB71_46:                              ;   in Loop: Header=BB71_40 Depth=1
	s_or_b32 exec_lo, exec_lo, s7
	v_dual_lshlrev_b32 v20, 16, v20 :: v_dual_lshlrev_b32 v1, 16, v1
	s_delay_alu instid0(VALU_DEP_2) | instskip(NEXT) | instid1(VALU_DEP_2)
	v_lshlrev_b32_e32 v33, 16, v33
	v_and_or_b32 v2, 0xffff, v2, v20
	s_delay_alu instid0(VALU_DEP_3) | instskip(NEXT) | instid1(VALU_DEP_3)
	v_and_or_b32 v1, 0xffff, v3, v1
	v_and_or_b32 v3, 0xffff, v4, v33
	;;#ASMSTART
	v_pk_mul_f16 v2, v35, v2;

	;;#ASMEND
	;;#ASMSTART
	v_pk_mul_f16 v1, v34, v1;

	;;#ASMEND
	;; [unrolled: 4-line block ×4, first 2 shown]
	;;#ASMSTART
	v_pk_add_f16 v1, v2, v1;

	;;#ASMEND
	;;#ASMSTART
	v_pk_add_f16 v1, v1, v3;

	;;#ASMEND
	;; [unrolled: 4-line block ×3, first 2 shown]
	v_and_b32_e32 v2, 0xffff, v1
	v_lshrrev_b32_e32 v1, 16, v1
	;;#ASMSTART
	v_cvt_f32_f16 v42, v2;
	;;#ASMEND
	;;#ASMSTART
	v_cvt_f32_f16 v43, v1;
	;;#ASMEND
	global_load_b128 v[2:5], v[18:19], off offset:1536
	s_wait_loadcnt 0x0
	v_dual_lshrrev_b32 v1, 16, v3 :: v_dual_lshrrev_b32 v20, 16, v2
	v_lshrrev_b32_e32 v33, 16, v4
	s_and_saveexec_b32 s7, vcc_lo
	s_cbranch_execz .LBB71_48
; %bb.47:                               ;   in Loop: Header=BB71_40 Depth=1
	v_cmp_gt_i32_e64 s0, s21, v23
	v_and_b32_e32 v44, 0xffff, v5
	v_and_b32_e32 v5, 0xffff0000, v5
	s_delay_alu instid0(VALU_DEP_3) | instskip(SKIP_1) | instid1(VALU_DEP_1)
	v_cndmask_b32_e64 v2, 0, v2, s0
	v_cmp_gt_i32_e64 s0, s21, v31
	v_cndmask_b32_e64 v3, 0, v3, s0
	v_cmp_gt_i32_e64 s0, s6, v32
	s_delay_alu instid0(VALU_DEP_1) | instskip(SKIP_1) | instid1(VALU_DEP_1)
	v_cndmask_b32_e64 v1, 0, v1, s0
	v_cmp_gt_i32_e64 s0, s21, v30
	v_cndmask_b32_e64 v20, 0, v20, s0
	v_cmp_gt_i32_e64 s0, s21, v29
	s_delay_alu instid0(VALU_DEP_1) | instskip(SKIP_1) | instid1(VALU_DEP_1)
	;; [unrolled: 5-line block ×3, first 2 shown]
	v_dual_cndmask_b32 v4, 0, v4, s0 :: v_dual_bitop2_b32 v5, v44, v5 bitop3:0x54
	v_cmp_gt_i32_e64 s0, s21, v26
	v_cndmask_b32_e64 v33, 0, v33, s0
.LBB71_48:                              ;   in Loop: Header=BB71_40 Depth=1
	s_or_b32 exec_lo, exec_lo, s7
	v_dual_lshlrev_b32 v20, 16, v20 :: v_dual_lshlrev_b32 v1, 16, v1
	s_delay_alu instid0(VALU_DEP_2) | instskip(NEXT) | instid1(VALU_DEP_2)
	v_lshlrev_b32_e32 v33, 16, v33
	v_and_or_b32 v2, 0xffff, v2, v20
	s_delay_alu instid0(VALU_DEP_3) | instskip(NEXT) | instid1(VALU_DEP_3)
	v_and_or_b32 v1, 0xffff, v3, v1
	v_and_or_b32 v3, 0xffff, v4, v33
	;;#ASMSTART
	v_pk_mul_f16 v2, v35, v2;

	;;#ASMEND
	;;#ASMSTART
	v_pk_mul_f16 v1, v34, v1;

	;;#ASMEND
	;; [unrolled: 4-line block ×4, first 2 shown]
	;;#ASMSTART
	v_pk_add_f16 v1, v2, v1;

	;;#ASMEND
	;;#ASMSTART
	v_pk_add_f16 v1, v1, v3;

	;;#ASMEND
	;; [unrolled: 4-line block ×3, first 2 shown]
	v_and_b32_e32 v2, 0xffff, v1
	v_lshrrev_b32_e32 v1, 16, v1
	;;#ASMSTART
	v_cvt_f32_f16 v44, v2;
	;;#ASMEND
	;;#ASMSTART
	v_cvt_f32_f16 v45, v1;
	;;#ASMEND
	global_load_b128 v[2:5], v[18:19], off offset:2048
	s_wait_loadcnt 0x0
	v_dual_lshrrev_b32 v1, 16, v3 :: v_dual_lshrrev_b32 v20, 16, v2
	v_lshrrev_b32_e32 v33, 16, v4
	s_and_saveexec_b32 s7, vcc_lo
	s_cbranch_execz .LBB71_50
; %bb.49:                               ;   in Loop: Header=BB71_40 Depth=1
	v_cmp_gt_i32_e64 s0, s21, v23
	v_and_b32_e32 v46, 0xffff, v5
	v_and_b32_e32 v5, 0xffff0000, v5
	s_delay_alu instid0(VALU_DEP_3) | instskip(SKIP_1) | instid1(VALU_DEP_1)
	v_cndmask_b32_e64 v2, 0, v2, s0
	v_cmp_gt_i32_e64 s0, s21, v31
	v_cndmask_b32_e64 v3, 0, v3, s0
	v_cmp_gt_i32_e64 s0, s6, v32
	s_delay_alu instid0(VALU_DEP_1) | instskip(SKIP_1) | instid1(VALU_DEP_1)
	v_cndmask_b32_e64 v1, 0, v1, s0
	v_cmp_gt_i32_e64 s0, s21, v30
	v_cndmask_b32_e64 v20, 0, v20, s0
	v_cmp_gt_i32_e64 s0, s21, v29
	s_delay_alu instid0(VALU_DEP_1) | instskip(SKIP_1) | instid1(VALU_DEP_1)
	;; [unrolled: 5-line block ×3, first 2 shown]
	v_dual_cndmask_b32 v4, 0, v4, s0 :: v_dual_bitop2_b32 v5, v46, v5 bitop3:0x54
	v_cmp_gt_i32_e64 s0, s21, v26
	v_cndmask_b32_e64 v33, 0, v33, s0
.LBB71_50:                              ;   in Loop: Header=BB71_40 Depth=1
	s_or_b32 exec_lo, exec_lo, s7
	v_dual_lshlrev_b32 v20, 16, v20 :: v_dual_lshlrev_b32 v1, 16, v1
	s_delay_alu instid0(VALU_DEP_2) | instskip(NEXT) | instid1(VALU_DEP_2)
	v_lshlrev_b32_e32 v33, 16, v33
	v_and_or_b32 v2, 0xffff, v2, v20
	s_delay_alu instid0(VALU_DEP_3) | instskip(NEXT) | instid1(VALU_DEP_3)
	v_and_or_b32 v1, 0xffff, v3, v1
	v_and_or_b32 v3, 0xffff, v4, v33
	;;#ASMSTART
	v_pk_mul_f16 v2, v35, v2;

	;;#ASMEND
	;;#ASMSTART
	v_pk_mul_f16 v1, v34, v1;

	;;#ASMEND
	;; [unrolled: 4-line block ×4, first 2 shown]
	;;#ASMSTART
	v_pk_add_f16 v1, v2, v1;

	;;#ASMEND
	;;#ASMSTART
	v_pk_add_f16 v1, v1, v3;

	;;#ASMEND
	;; [unrolled: 4-line block ×3, first 2 shown]
	v_and_b32_e32 v2, 0xffff, v1
	v_lshrrev_b32_e32 v1, 16, v1
	;;#ASMSTART
	v_cvt_f32_f16 v46, v2;
	;;#ASMEND
	;;#ASMSTART
	v_cvt_f32_f16 v47, v1;
	;;#ASMEND
	global_load_b128 v[2:5], v[18:19], off offset:2560
	s_wait_loadcnt 0x0
	v_dual_lshrrev_b32 v1, 16, v3 :: v_dual_lshrrev_b32 v20, 16, v2
	v_lshrrev_b32_e32 v33, 16, v4
	s_and_saveexec_b32 s7, vcc_lo
	s_cbranch_execz .LBB71_52
; %bb.51:                               ;   in Loop: Header=BB71_40 Depth=1
	v_cmp_gt_i32_e64 s0, s21, v23
	v_and_b32_e32 v48, 0xffff, v5
	v_and_b32_e32 v5, 0xffff0000, v5
	s_delay_alu instid0(VALU_DEP_3) | instskip(SKIP_1) | instid1(VALU_DEP_1)
	v_cndmask_b32_e64 v2, 0, v2, s0
	v_cmp_gt_i32_e64 s0, s21, v31
	v_cndmask_b32_e64 v3, 0, v3, s0
	v_cmp_gt_i32_e64 s0, s6, v32
	s_delay_alu instid0(VALU_DEP_1) | instskip(SKIP_1) | instid1(VALU_DEP_1)
	v_cndmask_b32_e64 v1, 0, v1, s0
	v_cmp_gt_i32_e64 s0, s21, v30
	v_cndmask_b32_e64 v20, 0, v20, s0
	v_cmp_gt_i32_e64 s0, s21, v29
	s_delay_alu instid0(VALU_DEP_1) | instskip(SKIP_1) | instid1(VALU_DEP_1)
	;; [unrolled: 5-line block ×3, first 2 shown]
	v_dual_cndmask_b32 v4, 0, v4, s0 :: v_dual_bitop2_b32 v5, v48, v5 bitop3:0x54
	v_cmp_gt_i32_e64 s0, s21, v26
	v_cndmask_b32_e64 v33, 0, v33, s0
.LBB71_52:                              ;   in Loop: Header=BB71_40 Depth=1
	s_or_b32 exec_lo, exec_lo, s7
	v_dual_lshlrev_b32 v20, 16, v20 :: v_dual_lshlrev_b32 v1, 16, v1
	s_delay_alu instid0(VALU_DEP_2) | instskip(NEXT) | instid1(VALU_DEP_2)
	v_lshlrev_b32_e32 v33, 16, v33
	v_and_or_b32 v2, 0xffff, v2, v20
	s_delay_alu instid0(VALU_DEP_3) | instskip(NEXT) | instid1(VALU_DEP_3)
	v_and_or_b32 v1, 0xffff, v3, v1
	v_and_or_b32 v3, 0xffff, v4, v33
	;;#ASMSTART
	v_pk_mul_f16 v2, v35, v2;

	;;#ASMEND
	;;#ASMSTART
	v_pk_mul_f16 v1, v34, v1;

	;;#ASMEND
	;; [unrolled: 4-line block ×4, first 2 shown]
	;;#ASMSTART
	v_pk_add_f16 v1, v2, v1;

	;;#ASMEND
	;;#ASMSTART
	v_pk_add_f16 v1, v1, v3;

	;;#ASMEND
	;; [unrolled: 4-line block ×3, first 2 shown]
	v_and_b32_e32 v2, 0xffff, v1
	v_lshrrev_b32_e32 v1, 16, v1
	;;#ASMSTART
	v_cvt_f32_f16 v48, v2;
	;;#ASMEND
	;;#ASMSTART
	v_cvt_f32_f16 v49, v1;
	;;#ASMEND
	global_load_b128 v[2:5], v[18:19], off offset:3072
	s_wait_loadcnt 0x0
	v_dual_lshrrev_b32 v1, 16, v3 :: v_dual_lshrrev_b32 v20, 16, v2
	v_lshrrev_b32_e32 v33, 16, v4
	s_and_saveexec_b32 s7, vcc_lo
	s_cbranch_execz .LBB71_54
; %bb.53:                               ;   in Loop: Header=BB71_40 Depth=1
	v_cmp_gt_i32_e64 s0, s21, v23
	v_and_b32_e32 v50, 0xffff, v5
	v_and_b32_e32 v5, 0xffff0000, v5
	s_delay_alu instid0(VALU_DEP_3) | instskip(SKIP_1) | instid1(VALU_DEP_1)
	v_cndmask_b32_e64 v2, 0, v2, s0
	v_cmp_gt_i32_e64 s0, s21, v31
	v_cndmask_b32_e64 v3, 0, v3, s0
	v_cmp_gt_i32_e64 s0, s6, v32
	s_delay_alu instid0(VALU_DEP_1) | instskip(SKIP_1) | instid1(VALU_DEP_1)
	v_cndmask_b32_e64 v1, 0, v1, s0
	v_cmp_gt_i32_e64 s0, s21, v30
	v_cndmask_b32_e64 v20, 0, v20, s0
	v_cmp_gt_i32_e64 s0, s21, v29
	s_delay_alu instid0(VALU_DEP_1) | instskip(SKIP_1) | instid1(VALU_DEP_1)
	;; [unrolled: 5-line block ×3, first 2 shown]
	v_dual_cndmask_b32 v4, 0, v4, s0 :: v_dual_bitop2_b32 v5, v50, v5 bitop3:0x54
	v_cmp_gt_i32_e64 s0, s21, v26
	v_cndmask_b32_e64 v33, 0, v33, s0
.LBB71_54:                              ;   in Loop: Header=BB71_40 Depth=1
	s_or_b32 exec_lo, exec_lo, s7
	v_dual_lshlrev_b32 v20, 16, v20 :: v_dual_lshlrev_b32 v1, 16, v1
	s_delay_alu instid0(VALU_DEP_2) | instskip(NEXT) | instid1(VALU_DEP_2)
	v_lshlrev_b32_e32 v33, 16, v33
	v_and_or_b32 v2, 0xffff, v2, v20
	s_delay_alu instid0(VALU_DEP_3) | instskip(NEXT) | instid1(VALU_DEP_3)
	v_and_or_b32 v1, 0xffff, v3, v1
	v_and_or_b32 v3, 0xffff, v4, v33
	;;#ASMSTART
	v_pk_mul_f16 v2, v35, v2;

	;;#ASMEND
	;;#ASMSTART
	v_pk_mul_f16 v1, v34, v1;

	;;#ASMEND
	;; [unrolled: 4-line block ×4, first 2 shown]
	;;#ASMSTART
	v_pk_add_f16 v1, v2, v1;

	;;#ASMEND
	;;#ASMSTART
	v_pk_add_f16 v1, v1, v3;

	;;#ASMEND
	;; [unrolled: 4-line block ×3, first 2 shown]
	v_and_b32_e32 v2, 0xffff, v1
	v_lshrrev_b32_e32 v1, 16, v1
	;;#ASMSTART
	v_cvt_f32_f16 v20, v2;
	;;#ASMEND
	;;#ASMSTART
	v_cvt_f32_f16 v33, v1;
	;;#ASMEND
	global_load_b128 v[2:5], v[18:19], off offset:3584
	s_wait_loadcnt 0x0
	v_dual_lshrrev_b32 v1, 16, v3 :: v_dual_lshrrev_b32 v18, 16, v2
	v_lshrrev_b32_e32 v19, 16, v4
	s_and_saveexec_b32 s0, vcc_lo
	s_cbranch_execz .LBB71_39
; %bb.55:                               ;   in Loop: Header=BB71_40 Depth=1
	v_cmp_gt_i32_e32 vcc_lo, s21, v23
	v_cndmask_b32_e32 v2, 0, v2, vcc_lo
	v_cmp_gt_i32_e32 vcc_lo, s21, v31
	v_and_b32_e32 v31, 0xffff, v5
	v_and_b32_e32 v5, 0xffff0000, v5
	v_cndmask_b32_e32 v3, 0, v3, vcc_lo
	v_cmp_gt_i32_e32 vcc_lo, s6, v32
	v_cndmask_b32_e32 v1, 0, v1, vcc_lo
	v_cmp_gt_i32_e32 vcc_lo, s21, v30
	;; [unrolled: 2-line block ×5, first 2 shown]
	s_delay_alu instid0(VALU_DEP_2)
	v_dual_cndmask_b32 v4, 0, v4, vcc_lo :: v_dual_bitop2_b32 v5, v29, v5 bitop3:0x54
	v_cmp_gt_i32_e32 vcc_lo, s21, v26
	v_cndmask_b32_e32 v19, 0, v19, vcc_lo
	s_branch .LBB71_39
.LBB71_56:
	s_or_b32 exec_lo, exec_lo, s5
.LBB71_57:
	s_delay_alu instid0(SALU_CYCLE_1) | instskip(SKIP_4) | instid1(VALU_DEP_2)
	s_or_b32 exec_lo, exec_lo, s1
	v_lshl_add_u32 v2, v22, 2, 0x220
	v_and_b32_e32 v3, 0x3c0, v0
	s_mov_b32 s0, exec_lo
	s_barrier_signal -1
	v_lshl_add_u32 v1, v21, 10, v2
	s_barrier_wait -1
	v_cmpx_eq_u32_e32 64, v3
	s_cbranch_execz .LBB71_59
; %bb.58:
	s_delay_alu instid0(VALU_DEP_2)
	v_add_nc_u32_e32 v3, 0xfffff800, v1
	v_add_nc_u32_e32 v4, 0xfffff880, v1
	;; [unrolled: 1-line block ×8, first 2 shown]
	ds_store_b32 v3, v12
	ds_store_b32 v4, v13
	;; [unrolled: 1-line block ×8, first 2 shown]
.LBB71_59:
	s_or_b32 exec_lo, exec_lo, s0
	s_delay_alu instid0(SALU_CYCLE_1)
	s_mov_b32 s0, exec_lo
	s_wait_dscnt 0x0
	s_barrier_signal -1
	s_barrier_wait -1
	v_cmpx_gt_u32_e32 64, v0
	s_cbranch_execz .LBB71_61
; %bb.60:
	ds_load_2addr_b32 v[4:5], v1 offset1:32
	ds_load_2addr_b32 v[14:15], v1 offset0:64 offset1:96
	ds_load_2addr_b32 v[16:17], v1 offset0:128 offset1:160
	;; [unrolled: 1-line block ×3, first 2 shown]
	s_wait_dscnt 0x3
	v_pk_add_f32 v[12:13], v[12:13], v[4:5]
	s_wait_dscnt 0x2
	v_pk_add_f32 v[10:11], v[10:11], v[14:15]
	;; [unrolled: 2-line block ×4, first 2 shown]
.LBB71_61:
	s_or_b32 exec_lo, exec_lo, s0
	v_and_b32_e32 v3, 0x3e0, v0
	s_mov_b32 s0, exec_lo
	s_barrier_signal -1
	s_barrier_wait -1
	s_delay_alu instid0(VALU_DEP_1)
	v_cmpx_eq_u32_e32 32, v3
	s_cbranch_execz .LBB71_63
; %bb.62:
	ds_store_2addr_b32 v2, v12, v13 offset1:32
	ds_store_2addr_b32 v2, v10, v11 offset0:64 offset1:96
	ds_store_2addr_b32 v2, v8, v9 offset0:128 offset1:160
	;; [unrolled: 1-line block ×3, first 2 shown]
.LBB71_63:
	s_or_b32 exec_lo, exec_lo, s0
	v_cmp_gt_u32_e32 vcc_lo, 32, v0
	s_wait_dscnt 0x0
	s_barrier_signal -1
	s_barrier_wait -1
	s_and_saveexec_b32 s0, vcc_lo
	s_cbranch_execz .LBB71_65
; %bb.64:
	ds_load_2addr_b32 v[2:3], v1 offset1:32
	ds_load_2addr_b32 v[4:5], v1 offset0:64 offset1:96
	ds_load_2addr_b32 v[14:15], v1 offset0:128 offset1:160
	;; [unrolled: 1-line block ×3, first 2 shown]
	s_wait_dscnt 0x3
	v_pk_add_f32 v[12:13], v[12:13], v[2:3]
	s_wait_dscnt 0x2
	v_pk_add_f32 v[10:11], v[10:11], v[4:5]
	s_wait_dscnt 0x1
	v_pk_add_f32 v[8:9], v[8:9], v[14:15]
	s_wait_dscnt 0x0
	v_pk_add_f32 v[6:7], v[6:7], v[16:17]
.LBB71_65:
	s_or_b32 exec_lo, exec_lo, s0
	s_barrier_signal -1
	s_barrier_wait -1
	s_and_saveexec_b32 s0, vcc_lo
	s_cbranch_execz .LBB71_67
; %bb.66:
	s_wait_kmcnt 0x0
	s_mul_i32 s1, s20, s9
	s_bfe_u32 s5, ttmp6, 0x40014
	s_mul_i32 s1, s1, s19
	s_mul_i32 s0, s9, s8
	s_lshl_b32 s2, s1, 8
	s_lshr_b32 s4, ttmp7, 16
	s_add_co_i32 s5, s5, 1
	s_ashr_i32 s3, s2, 31
	s_ashr_i32 s1, s0, 31
	s_mul_i32 s5, s4, s5
	s_bfe_u32 s6, ttmp6, 0x40008
	s_lshl_b64 s[2:3], s[2:3], 1
	s_lshl_b64 s[0:1], s[0:1], 1
	s_add_co_i32 s6, s6, s5
	s_add_nc_u64 s[2:3], s[14:15], s[2:3]
	s_cmp_eq_u32 s18, 0
	s_add_nc_u64 s[0:1], s[2:3], s[0:1]
	s_cselect_b32 s2, s4, s6
	s_mov_b32 s3, 0
	s_lshl_b32 s2, s2, 9
	;;#ASMSTART
	v_cvt_f16_f32 v1, v12;

	;;#ASMEND
	s_add_nc_u64 s[0:1], s[0:1], s[2:3]
	global_store_b16 v0, v1, s[0:1] scale_offset
	s_wait_xcnt 0x0
	;;#ASMSTART
	v_cvt_f16_f32 v1, v13;

	;;#ASMEND
	global_store_b16 v0, v1, s[0:1] offset:64 scale_offset
	s_wait_xcnt 0x0
	;;#ASMSTART
	v_cvt_f16_f32 v1, v10;

	;;#ASMEND
	global_store_b16 v0, v1, s[0:1] offset:128 scale_offset
	;; [unrolled: 6-line block ×7, first 2 shown]
.LBB71_67:
	s_sendmsg sendmsg(MSG_DEALLOC_VGPRS)
	s_endpgm
	.section	.rodata,"a",@progbits
	.p2align	6, 0x0
	.amdhsa_kernel _ZN4vllm25paged_attention_v1_kernelIttLi256ELi8ELi128ELNS_18Fp8KVCacheDataTypeE0ELb0EEEvPT_PKS2_PKT0_S8_ifPKiSA_iPKfiiiSC_SC_iiiii
		.amdhsa_group_segment_fixed_size 544
		.amdhsa_private_segment_fixed_size 0
		.amdhsa_kernarg_size 384
		.amdhsa_user_sgpr_count 2
		.amdhsa_user_sgpr_dispatch_ptr 0
		.amdhsa_user_sgpr_queue_ptr 0
		.amdhsa_user_sgpr_kernarg_segment_ptr 1
		.amdhsa_user_sgpr_dispatch_id 0
		.amdhsa_user_sgpr_kernarg_preload_length 0
		.amdhsa_user_sgpr_kernarg_preload_offset 0
		.amdhsa_user_sgpr_private_segment_size 0
		.amdhsa_wavefront_size32 1
		.amdhsa_uses_dynamic_stack 0
		.amdhsa_enable_private_segment 0
		.amdhsa_system_sgpr_workgroup_id_x 1
		.amdhsa_system_sgpr_workgroup_id_y 1
		.amdhsa_system_sgpr_workgroup_id_z 1
		.amdhsa_system_sgpr_workgroup_info 0
		.amdhsa_system_vgpr_workitem_id 0
		.amdhsa_next_free_vgpr 83
		.amdhsa_next_free_sgpr 28
		.amdhsa_named_barrier_count 0
		.amdhsa_reserve_vcc 1
		.amdhsa_float_round_mode_32 0
		.amdhsa_float_round_mode_16_64 0
		.amdhsa_float_denorm_mode_32 3
		.amdhsa_float_denorm_mode_16_64 3
		.amdhsa_fp16_overflow 0
		.amdhsa_memory_ordered 1
		.amdhsa_forward_progress 1
		.amdhsa_inst_pref_size 63
		.amdhsa_round_robin_scheduling 0
		.amdhsa_exception_fp_ieee_invalid_op 0
		.amdhsa_exception_fp_denorm_src 0
		.amdhsa_exception_fp_ieee_div_zero 0
		.amdhsa_exception_fp_ieee_overflow 0
		.amdhsa_exception_fp_ieee_underflow 0
		.amdhsa_exception_fp_ieee_inexact 0
		.amdhsa_exception_int_div_zero 0
	.end_amdhsa_kernel
	.section	.text._ZN4vllm25paged_attention_v1_kernelIttLi256ELi8ELi128ELNS_18Fp8KVCacheDataTypeE0ELb0EEEvPT_PKS2_PKT0_S8_ifPKiSA_iPKfiiiSC_SC_iiiii,"axG",@progbits,_ZN4vllm25paged_attention_v1_kernelIttLi256ELi8ELi128ELNS_18Fp8KVCacheDataTypeE0ELb0EEEvPT_PKS2_PKT0_S8_ifPKiSA_iPKfiiiSC_SC_iiiii,comdat
.Lfunc_end71:
	.size	_ZN4vllm25paged_attention_v1_kernelIttLi256ELi8ELi128ELNS_18Fp8KVCacheDataTypeE0ELb0EEEvPT_PKS2_PKT0_S8_ifPKiSA_iPKfiiiSC_SC_iiiii, .Lfunc_end71-_ZN4vllm25paged_attention_v1_kernelIttLi256ELi8ELi128ELNS_18Fp8KVCacheDataTypeE0ELb0EEEvPT_PKS2_PKT0_S8_ifPKiSA_iPKfiiiSC_SC_iiiii
                                        ; -- End function
	.set _ZN4vllm25paged_attention_v1_kernelIttLi256ELi8ELi128ELNS_18Fp8KVCacheDataTypeE0ELb0EEEvPT_PKS2_PKT0_S8_ifPKiSA_iPKfiiiSC_SC_iiiii.num_vgpr, 83
	.set _ZN4vllm25paged_attention_v1_kernelIttLi256ELi8ELi128ELNS_18Fp8KVCacheDataTypeE0ELb0EEEvPT_PKS2_PKT0_S8_ifPKiSA_iPKfiiiSC_SC_iiiii.num_agpr, 0
	.set _ZN4vllm25paged_attention_v1_kernelIttLi256ELi8ELi128ELNS_18Fp8KVCacheDataTypeE0ELb0EEEvPT_PKS2_PKT0_S8_ifPKiSA_iPKfiiiSC_SC_iiiii.numbered_sgpr, 28
	.set _ZN4vllm25paged_attention_v1_kernelIttLi256ELi8ELi128ELNS_18Fp8KVCacheDataTypeE0ELb0EEEvPT_PKS2_PKT0_S8_ifPKiSA_iPKfiiiSC_SC_iiiii.num_named_barrier, 0
	.set _ZN4vllm25paged_attention_v1_kernelIttLi256ELi8ELi128ELNS_18Fp8KVCacheDataTypeE0ELb0EEEvPT_PKS2_PKT0_S8_ifPKiSA_iPKfiiiSC_SC_iiiii.private_seg_size, 0
	.set _ZN4vllm25paged_attention_v1_kernelIttLi256ELi8ELi128ELNS_18Fp8KVCacheDataTypeE0ELb0EEEvPT_PKS2_PKT0_S8_ifPKiSA_iPKfiiiSC_SC_iiiii.uses_vcc, 1
	.set _ZN4vllm25paged_attention_v1_kernelIttLi256ELi8ELi128ELNS_18Fp8KVCacheDataTypeE0ELb0EEEvPT_PKS2_PKT0_S8_ifPKiSA_iPKfiiiSC_SC_iiiii.uses_flat_scratch, 0
	.set _ZN4vllm25paged_attention_v1_kernelIttLi256ELi8ELi128ELNS_18Fp8KVCacheDataTypeE0ELb0EEEvPT_PKS2_PKT0_S8_ifPKiSA_iPKfiiiSC_SC_iiiii.has_dyn_sized_stack, 0
	.set _ZN4vllm25paged_attention_v1_kernelIttLi256ELi8ELi128ELNS_18Fp8KVCacheDataTypeE0ELb0EEEvPT_PKS2_PKT0_S8_ifPKiSA_iPKfiiiSC_SC_iiiii.has_recursion, 0
	.set _ZN4vllm25paged_attention_v1_kernelIttLi256ELi8ELi128ELNS_18Fp8KVCacheDataTypeE0ELb0EEEvPT_PKS2_PKT0_S8_ifPKiSA_iPKfiiiSC_SC_iiiii.has_indirect_call, 0
	.section	.AMDGPU.csdata,"",@progbits
; Kernel info:
; codeLenInByte = 7960
; TotalNumSgprs: 30
; NumVgprs: 83
; ScratchSize: 0
; MemoryBound: 0
; FloatMode: 240
; IeeeMode: 1
; LDSByteSize: 544 bytes/workgroup (compile time only)
; SGPRBlocks: 0
; VGPRBlocks: 5
; NumSGPRsForWavesPerEU: 30
; NumVGPRsForWavesPerEU: 83
; NamedBarCnt: 0
; Occupancy: 10
; WaveLimiterHint : 1
; COMPUTE_PGM_RSRC2:SCRATCH_EN: 0
; COMPUTE_PGM_RSRC2:USER_SGPR: 2
; COMPUTE_PGM_RSRC2:TRAP_HANDLER: 0
; COMPUTE_PGM_RSRC2:TGID_X_EN: 1
; COMPUTE_PGM_RSRC2:TGID_Y_EN: 1
; COMPUTE_PGM_RSRC2:TGID_Z_EN: 1
; COMPUTE_PGM_RSRC2:TIDIG_COMP_CNT: 0
	.section	.text._ZN4vllm25paged_attention_v1_kernelIttLi32ELi16ELi128ELNS_18Fp8KVCacheDataTypeE0ELb1EEEvPT_PKS2_PKT0_S8_ifPKiSA_iPKfiiiSC_SC_iiiii,"axG",@progbits,_ZN4vllm25paged_attention_v1_kernelIttLi32ELi16ELi128ELNS_18Fp8KVCacheDataTypeE0ELb1EEEvPT_PKS2_PKT0_S8_ifPKiSA_iPKfiiiSC_SC_iiiii,comdat
	.protected	_ZN4vllm25paged_attention_v1_kernelIttLi32ELi16ELi128ELNS_18Fp8KVCacheDataTypeE0ELb1EEEvPT_PKS2_PKT0_S8_ifPKiSA_iPKfiiiSC_SC_iiiii ; -- Begin function _ZN4vllm25paged_attention_v1_kernelIttLi32ELi16ELi128ELNS_18Fp8KVCacheDataTypeE0ELb1EEEvPT_PKS2_PKT0_S8_ifPKiSA_iPKfiiiSC_SC_iiiii
	.globl	_ZN4vllm25paged_attention_v1_kernelIttLi32ELi16ELi128ELNS_18Fp8KVCacheDataTypeE0ELb1EEEvPT_PKS2_PKT0_S8_ifPKiSA_iPKfiiiSC_SC_iiiii
	.p2align	8
	.type	_ZN4vllm25paged_attention_v1_kernelIttLi32ELi16ELi128ELNS_18Fp8KVCacheDataTypeE0ELb1EEEvPT_PKS2_PKT0_S8_ifPKiSA_iPKfiiiSC_SC_iiiii,@function
_ZN4vllm25paged_attention_v1_kernelIttLi32ELi16ELi128ELNS_18Fp8KVCacheDataTypeE0ELb1EEEvPT_PKS2_PKT0_S8_ifPKiSA_iPKfiiiSC_SC_iiiii: ; @_ZN4vllm25paged_attention_v1_kernelIttLi32ELi16ELi128ELNS_18Fp8KVCacheDataTypeE0ELb1EEEvPT_PKS2_PKT0_S8_ifPKiSA_iPKfiiiSC_SC_iiiii
; %bb.0:
	s_load_b64 s[22:23], s[0:1], 0x20
	s_bfe_u32 s3, ttmp6, 0x4000c
	s_bfe_u32 s4, ttmp6, 0x40010
	s_and_b32 s6, ttmp7, 0xffff
	s_add_co_i32 s3, s3, 1
	s_add_co_i32 s4, s4, 1
	s_and_b32 s2, ttmp6, 15
	s_bfe_u32 s5, ttmp6, 0x40004
	s_mul_i32 s3, ttmp9, s3
	s_mul_i32 s4, s6, s4
	s_getreg_b32 s28, hwreg(HW_REG_IB_STS2, 6, 4)
	s_add_co_i32 s2, s2, s3
	s_add_co_i32 s3, s5, s4
	s_cmp_eq_u32 s28, 0
	s_clause 0x1
	s_load_b32 s29, s[0:1], 0x80
	s_load_b64 s[4:5], s[0:1], 0x30
	s_cselect_b32 s30, s6, s3
	s_cselect_b32 s2, ttmp9, s2
	s_mov_b32 s17, 0
	s_delay_alu instid0(SALU_CYCLE_1) | instskip(SKIP_2) | instid1(SALU_CYCLE_1)
	s_mov_b32 s35, s17
	s_wait_kmcnt 0x0
	s_abs_i32 s3, s22
	s_cvt_f32_u32 s6, s3
	s_sub_co_i32 s7, 0, s3
	s_delay_alu instid0(SALU_CYCLE_2) | instskip(SKIP_2) | instid1(TRANS32_DEP_1)
	v_rcp_iflag_f32_e32 v1, s6
	s_abs_i32 s8, s29
	v_nop
	v_readfirstlane_b32 s6, v1
	s_mul_f32 s6, s6, 0x4f7ffffe
	s_delay_alu instid0(SALU_CYCLE_3) | instskip(NEXT) | instid1(SALU_CYCLE_3)
	s_cvt_u32_f32 s6, s6
	s_mul_i32 s7, s7, s6
	s_delay_alu instid0(SALU_CYCLE_1) | instskip(NEXT) | instid1(SALU_CYCLE_1)
	s_mul_hi_u32 s7, s6, s7
	s_add_co_i32 s6, s6, s7
	s_xor_b32 s7, s29, s22
	s_mul_hi_u32 s6, s8, s6
	s_ashr_i32 s7, s7, 31
	s_mul_i32 s9, s6, s3
	s_delay_alu instid0(SALU_CYCLE_1)
	s_sub_co_i32 s8, s8, s9
	s_add_co_i32 s9, s6, 1
	s_sub_co_i32 s10, s8, s3
	s_cmp_ge_u32 s8, s3
	s_cselect_b32 s6, s9, s6
	s_cselect_b32 s8, s10, s8
	s_add_co_i32 s9, s6, 1
	s_cmp_ge_u32 s8, s3
	s_cselect_b32 s3, s9, s6
	s_load_b64 s[8:9], s[0:1], 0x40
	s_xor_b32 s3, s3, s7
	s_abs_i32 s16, s2
	s_sub_co_i32 s10, s3, s7
	s_mov_b32 s7, s17
	s_abs_i32 s15, s10
	s_delay_alu instid0(SALU_CYCLE_1) | instskip(SKIP_1) | instid1(SALU_CYCLE_2)
	s_cvt_f32_u32 s3, s15
	s_sub_co_i32 s6, 0, s15
	v_rcp_iflag_f32_e32 v1, s3
	v_nop
	s_delay_alu instid0(TRANS32_DEP_1) | instskip(SKIP_1) | instid1(SALU_CYCLE_3)
	v_readfirstlane_b32 s3, v1
	s_mul_f32 s3, s3, 0x4f7ffffe
	s_cvt_u32_f32 s3, s3
	s_delay_alu instid0(SALU_CYCLE_3) | instskip(NEXT) | instid1(SALU_CYCLE_1)
	s_mul_i32 s6, s6, s3
	s_mul_hi_u32 s6, s3, s6
	s_delay_alu instid0(SALU_CYCLE_1)
	s_add_co_i32 s6, s3, s6
	s_wait_kmcnt 0x0
	s_cmp_eq_u64 s[8:9], 0
	s_cbranch_scc1 .LBB72_2
; %bb.1:
	s_ashr_i32 s3, s2, 31
	s_delay_alu instid0(SALU_CYCLE_1) | instskip(NEXT) | instid1(SALU_CYCLE_1)
	s_lshl_b64 s[12:13], s[2:3], 2
	s_add_nc_u64 s[8:9], s[8:9], s[12:13]
	s_load_b32 s35, s[8:9], 0x0
.LBB72_2:
	s_load_b32 s31, s[4:5], s30 offset:0x0 scale_offset
	s_load_b96 s[12:14], s[0:1], 0x48
	v_dual_lshrrev_b32 v17, 1, v0 :: v_dual_bitop2_b32 v18, 1, v0 bitop3:0x40
	s_wait_xcnt 0x0
	s_mul_u64 s[4:5], s[16:17], s[6:7]
	s_ashr_i32 s3, s2, 31
	s_ashr_i32 s18, s10, 31
	s_lshl_b32 s6, s2, 5
	s_mov_b32 s4, exec_lo
	v_cmpx_gt_u32_e32 8, v0
	s_cbranch_execz .LBB72_4
; %bb.3:
	s_load_b64 s[8:9], s[0:1], 0x8
	s_wait_kmcnt 0x0
	s_mul_i32 s10, s12, s30
	s_ashr_i32 s7, s6, 31
	s_ashr_i32 s11, s10, 31
	v_lshlrev_b32_e32 v1, 3, v17
	s_lshl_b64 s[10:11], s[10:11], 1
	s_delay_alu instid0(VALU_DEP_1) | instskip(SKIP_2) | instid1(SALU_CYCLE_1)
	v_lshl_add_u32 v1, v18, 5, v1
	s_add_nc_u64 s[8:9], s[8:9], s[10:11]
	s_lshl_b64 s[10:11], s[6:7], 1
	s_add_nc_u64 s[8:9], s[8:9], s[10:11]
	global_load_b64 v[2:3], v0, s[8:9] scale_offset
	s_wait_loadcnt 0x0
	ds_store_b64 v1, v[2:3]
.LBB72_4:
	s_or_b32 exec_lo, exec_lo, s4
	s_load_b128 s[8:11], s[0:1], 0x68
	s_mul_i32 s4, s5, s15
	s_xor_b32 s3, s3, s18
	s_sub_co_i32 s4, s16, s4
	s_add_co_i32 s7, s5, 1
	s_wait_kmcnt 0x0
	s_sub_co_i32 s12, s4, s15
	s_cmp_ge_u32 s4, s15
	s_mov_b32 s18, -1
	s_cselect_b32 s5, s7, s5
	s_cselect_b32 s4, s12, s4
	s_add_co_i32 s12, s5, 1
	s_cmp_ge_u32 s4, s15
	s_load_b32 s7, s[0:1], 0x78
	s_cselect_b32 s4, s12, s5
	s_add_co_i32 s15, s31, -1
	s_xor_b32 s4, s4, s3
	s_wait_dscnt 0x0
	s_sub_co_i32 s3, s4, s3
	s_barrier_signal -1
	s_barrier_wait -1
	s_abs_i32 s12, s11
	s_delay_alu instid0(SALU_CYCLE_1) | instskip(NEXT) | instid1(SALU_CYCLE_3)
	s_cvt_f32_u32 s5, s12
                                        ; implicit-def: $sgpr33
	v_rcp_iflag_f32_e32 v1, s5
	v_nop
	s_delay_alu instid0(TRANS32_DEP_1) | instskip(SKIP_1) | instid1(SALU_CYCLE_3)
	v_readfirstlane_b32 s5, v1
	s_mul_f32 s4, s5, 0x4f7ffffe
	s_cvt_u32_f32 s16, s4
	s_sub_co_i32 s4, 0, s12
	s_delay_alu instid0(SALU_CYCLE_2)
	s_mul_i32 s5, s4, s16
	s_abs_i32 s4, s15
	s_mul_hi_u32 s17, s16, s5
	s_mov_b32 s5, 0
	s_add_co_i32 s16, s16, s17
	s_wait_kmcnt 0x0
	s_cmp_lt_i32 s7, 0
	s_mov_b32 s17, s5
	s_cbranch_scc0 .LBB72_6
; %bb.5:
	s_mul_i32 s18, s8, s22
	s_delay_alu instid0(SALU_CYCLE_1) | instskip(NEXT) | instid1(SALU_CYCLE_1)
	s_add_co_i32 s18, s3, s18
	s_mul_i32 s18, s18, s7
	s_delay_alu instid0(SALU_CYCLE_1)
	s_sub_co_i32 s33, 1, s18
	s_mov_b32 s18, s5
.LBB72_6:
	s_ashr_i32 s15, s15, 31
	s_ashr_i32 s11, s11, 31
	s_and_not1_b32 vcc_lo, exec_lo, s18
	s_mul_u64 s[24:25], s[4:5], s[16:17]
	s_cbranch_vccnz .LBB72_8
; %bb.7:
	s_mul_i32 s5, s29, s8
	s_delay_alu instid0(SALU_CYCLE_1) | instskip(NEXT) | instid1(SALU_CYCLE_1)
	s_add_co_i32 s2, s5, s2
	s_mul_i32 s2, s2, s7
	s_delay_alu instid0(SALU_CYCLE_1)
	s_add_co_i32 s33, s2, 1
.LBB72_8:
	s_load_b32 s2, s[0:1], 0x38
	s_mul_i32 s7, s25, s12
	s_xor_b32 s5, s15, s11
	s_sub_co_i32 s4, s4, s7
	s_add_co_i32 s8, s25, 1
	s_clause 0x1
	s_load_b64 s[18:19], s[0:1], 0x28
	s_load_b32 s7, s[0:1], 0x88
	v_dual_lshrrev_b32 v19, 5, v0 :: v_dual_lshlrev_b32 v7, 3, v0
	v_mov_b32_e32 v15, 0xff7fffff
	v_lshrrev_b32_e32 v1, 3, v0
	v_mbcnt_lo_u32_b32 v12, -1, 0
	s_delay_alu instid0(VALU_DEP_4)
	v_lshlrev_b32_e32 v6, 4, v19
	s_mul_i32 s14, s3, s14
	s_wait_kmcnt 0x0
	s_mul_i32 s20, s2, s30
	s_sub_co_i32 s2, s4, s12
	s_ashr_i32 s21, s20, 31
	s_cmp_ge_u32 s4, s12
	s_cselect_b32 s8, s8, s25
	s_cselect_b32 s2, s2, s4
	s_add_co_i32 s4, s8, 1
	s_cmp_ge_u32 s2, s12
	s_cselect_b32 s2, s4, s8
	s_add_co_i32 s4, s31, 15
	s_delay_alu instid0(SALU_CYCLE_1) | instskip(NEXT) | instid1(SALU_CYCLE_1)
	s_ashr_i32 s8, s4, 31
	s_lshr_b32 s8, s8, 28
	s_delay_alu instid0(SALU_CYCLE_1) | instskip(NEXT) | instid1(SALU_CYCLE_1)
	s_add_co_i32 s4, s4, s8
	s_ashr_i32 s34, s4, 4
	s_xor_b32 s4, s2, s5
	v_cmp_gt_i32_e64 s2, s34, v19
	s_sub_co_i32 s8, s4, s5
	s_and_saveexec_b32 s22, s2
	s_cbranch_execz .LBB72_20
; %bb.9:
	s_load_b64 s[4:5], s[0:1], 0x10
	s_ashr_i32 s15, s14, 31
	s_sub_co_i32 s36, s8, s9
	s_ashr_i32 s25, s13, 31
	s_lshl_b64 s[38:39], s[14:15], 1
	s_cmp_neq_f32 s35, 0
	v_bfe_u32 v13, v0, 1, 4
	v_dual_mov_b32 v3, 0 :: v_dual_lshlrev_b32 v14, 5, v18
	s_cselect_b32 vcc_lo, -1, 0
	s_abs_i32 s15, s10
	s_delay_alu instid0(VALU_DEP_2)
	v_lshlrev_b32_e32 v2, 4, v13
	s_cvt_f32_u32 s3, s15
	v_subrev_nc_u32_e32 v8, s31, v13
	v_lshlrev_b32_e32 v9, 2, v13
	s_sub_co_i32 s26, 0, s15
	v_rcp_iflag_f32_e32 v4, s3
	v_cmp_eq_u32_e64 s3, 0, v18
	v_xor_b32_e32 v22, 1, v12
	v_lshl_or_b32 v9, v19, 6, v9
	s_wait_kmcnt 0x0
	s_add_nc_u64 s[4:5], s[4:5], s[38:39]
	v_dual_mov_b32 v15, 0xff7fffff :: v_dual_add_nc_u32 v16, 1, v8
	v_readfirstlane_b32 s24, v4
	v_add_nc_u64_e32 v[4:5], s[4:5], v[2:3]
	v_and_b32_e32 v2, 8, v7
	s_lshl_b64 s[4:5], s[20:21], 2
	v_dual_mov_b32 v23, v19 :: v_dual_add_nc_u32 v20, 0x60, v9
	s_mul_f32 s24, s24, 0x4f7ffffe
	s_add_nc_u64 s[4:5], s[18:19], s[4:5]
	s_delay_alu instid0(VALU_DEP_3)
	v_add_nc_u64_e32 v[4:5], v[4:5], v[2:3]
	v_and_b32_e32 v2, 0x7c, v1
	s_cvt_u32_f32 s37, s24
	v_mov_b32_e32 v21, 0xff7fffff
	s_mov_b32 s27, 0
	s_mov_b32 s24, s13
	v_add_nc_u64_e32 v[8:9], s[4:5], v[2:3]
	s_mul_i32 s26, s26, s37
	v_lshlrev_b32_e32 v2, 4, v19
	s_mul_hi_u32 s4, s37, s26
	s_delay_alu instid0(SALU_CYCLE_1)
	s_add_co_i32 s26, s37, s4
	s_mov_b32 s37, s27
	s_branch .LBB72_12
.LBB72_10:                              ;   in Loop: Header=BB72_12 Depth=1
	s_or_b32 exec_lo, exec_lo, s38
.LBB72_11:                              ;   in Loop: Header=BB72_12 Depth=1
	s_delay_alu instid0(SALU_CYCLE_1) | instskip(SKIP_3) | instid1(VALU_DEP_3)
	s_or_b32 exec_lo, exec_lo, s5
	v_dual_add_nc_u32 v23, 4, v23 :: v_dual_add_nc_u32 v2, 64, v2
	v_add_nc_u64_e32 v[8:9], 16, v[8:9]
	v_add_nc_u32_e32 v20, 0x100, v20
	v_cmp_le_i32_e64 s4, s34, v23
	s_or_b32 s37, s4, s37
	s_delay_alu instid0(SALU_CYCLE_1)
	s_and_not1_b32 exec_lo, exec_lo, s37
	s_cbranch_execz .LBB72_19
.LBB72_12:                              ; =>This Inner Loop Header: Depth=1
	s_wait_dscnt 0x0
	v_mul_u64_e32 v[10:11], s[16:17], v[2:3]
	s_delay_alu instid0(VALU_DEP_1) | instskip(NEXT) | instid1(VALU_DEP_1)
	v_mul_lo_u32 v10, v11, s12
	v_dual_add_nc_u32 v24, 1, v11 :: v_dual_sub_nc_u32 v10, v2, v10
	s_delay_alu instid0(VALU_DEP_1) | instskip(SKIP_1) | instid1(VALU_DEP_1)
	v_subrev_nc_u32_e32 v25, s12, v10
	v_cmp_le_u32_e64 s4, s12, v10
	v_dual_cndmask_b32 v11, v11, v24, s4 :: v_dual_cndmask_b32 v10, v10, v25, s4
	s_delay_alu instid0(VALU_DEP_1) | instskip(NEXT) | instid1(VALU_DEP_2)
	v_add_nc_u32_e32 v24, 1, v11
	v_cmp_le_u32_e64 s4, s12, v10
	s_delay_alu instid0(VALU_DEP_1) | instskip(NEXT) | instid1(VALU_DEP_1)
	v_cndmask_b32_e64 v10, v11, v24, s4
	v_dual_mov_b32 v11, v3 :: v_dual_bitop2_b32 v10, s11, v10 bitop3:0x14
	s_delay_alu instid0(VALU_DEP_1) | instskip(NEXT) | instid1(VALU_DEP_1)
	v_subrev_nc_u32_e32 v26, s11, v10
	v_add_nc_u32_e32 v27, s33, v26
	v_cmp_ge_i32_e64 s5, s36, v26
	s_delay_alu instid0(VALU_DEP_2) | instskip(NEXT) | instid1(VALU_DEP_1)
	v_sub_nc_u32_e32 v10, 0, v27
	v_max_i32_e32 v10, v27, v10
	s_delay_alu instid0(VALU_DEP_1) | instskip(SKIP_1) | instid1(VALU_DEP_2)
	v_mul_u64_e32 v[24:25], s[26:27], v[10:11]
	v_ashrrev_i32_e32 v24, 31, v27
	v_mul_lo_u32 v11, v25, s15
	s_delay_alu instid0(VALU_DEP_1) | instskip(NEXT) | instid1(VALU_DEP_1)
	v_sub_nc_u32_e32 v10, v10, v11
	v_subrev_nc_u32_e32 v11, s15, v10
	v_cmp_le_u32_e64 s4, s15, v10
	s_delay_alu instid0(VALU_DEP_1) | instskip(NEXT) | instid1(VALU_DEP_1)
	v_cndmask_b32_e64 v10, v10, v11, s4
	v_subrev_nc_u32_e32 v11, s15, v10
	v_cmp_le_u32_e64 s4, s15, v10
	s_delay_alu instid0(VALU_DEP_1) | instskip(NEXT) | instid1(VALU_DEP_1)
	v_cndmask_b32_e64 v10, v10, v11, s4
	v_xor_b32_e32 v10, v10, v24
	s_delay_alu instid0(VALU_DEP_1) | instskip(NEXT) | instid1(VALU_DEP_1)
	v_sub_nc_u32_e32 v10, v10, v24
	v_cmp_ne_u32_e64 s4, 0, v10
	s_and_b32 s4, s4, s5
	s_delay_alu instid0(SALU_CYCLE_1) | instskip(NEXT) | instid1(SALU_CYCLE_1)
	s_and_saveexec_b32 s5, s4
	s_xor_b32 s4, exec_lo, s5
	s_cbranch_execz .LBB72_16
; %bb.13:                               ;   in Loop: Header=BB72_12 Depth=1
	s_and_saveexec_b32 s5, s3
; %bb.14:                               ;   in Loop: Header=BB72_12 Depth=1
	ds_store_b32 v20, v21
; %bb.15:                               ;   in Loop: Header=BB72_12 Depth=1
	s_or_b32 exec_lo, exec_lo, s5
.LBB72_16:                              ;   in Loop: Header=BB72_12 Depth=1
	s_and_not1_saveexec_b32 s5, s4
	s_cbranch_execz .LBB72_11
; %bb.17:                               ;   in Loop: Header=BB72_12 Depth=1
	global_load_b32 v10, v[8:9], off
	v_cmp_gt_i32_e64 s4, 32, v22
	s_wait_loadcnt 0x0
	v_ashrrev_i32_e32 v11, 31, v10
	s_delay_alu instid0(VALU_DEP_1) | instskip(NEXT) | instid1(VALU_DEP_1)
	v_mul_u64_e32 v[10:11], s[24:25], v[10:11]
	v_lshl_add_u64 v[24:25], v[10:11], 1, v[4:5]
	s_clause 0x3
	global_load_b64 v[26:27], v[24:25], off
	global_load_b64 v[28:29], v[24:25], off offset:256
	global_load_b64 v[30:31], v[24:25], off offset:512
	;; [unrolled: 1-line block ×3, first 2 shown]
	s_wait_xcnt 0x0
	ds_load_b64 v[24:25], v14
	s_wait_dscnt 0x0
	v_and_b32_e32 v32, 0xffff, v24
	v_dual_lshrrev_b32 v24, 16, v24 :: v_dual_lshrrev_b32 v33, 16, v25
	v_and_b32_e32 v25, 0xffff, v25
	;;#ASMSTART
	v_cvt_f32_f16 v32, v32;
	;;#ASMEND
	;;#ASMSTART
	v_cvt_f32_f16 v35, v24;
	;;#ASMEND
	s_wait_loadcnt 0x3
	v_and_b32_e32 v34, 0xffff, v26
	v_dual_lshrrev_b32 v26, 16, v26 :: v_dual_lshrrev_b32 v24, 16, v27
	v_and_b32_e32 v27, 0xffff, v27
	;;#ASMSTART
	v_cvt_f32_f16 v34, v34;
	;;#ASMEND
	;;#ASMSTART
	v_cvt_f32_f16 v36, v26;
	;;#ASMEND
	;; [unrolled: 3-line block ×5, first 2 shown]
	s_wait_loadcnt 0x2
	v_lshrrev_b32_e32 v26, 16, v28
	;;#ASMSTART
	v_cvt_f32_f16 v39, v24;
	;;#ASMEND
	ds_load_b64 v[24:25], v14 offset:8
	v_and_b32_e32 v27, 0xffff, v28
	v_lshrrev_b32_e32 v28, 16, v29
	v_and_b32_e32 v29, 0xffff, v29
	s_wait_loadcnt 0x0
	v_and_b32_e32 v51, 0xffff, v10
	v_lshrrev_b32_e32 v44, 16, v30
	v_and_b32_e32 v30, 0xffff, v30
	v_lshrrev_b32_e32 v50, 16, v10
	s_wait_dscnt 0x0
	v_and_b32_e32 v40, 0xffff, v24
	v_dual_lshrrev_b32 v24, 16, v24 :: v_dual_lshrrev_b32 v41, 16, v25
	v_and_b32_e32 v25, 0xffff, v25
	;;#ASMSTART
	v_cvt_f32_f16 v40, v40;
	;;#ASMEND
	;;#ASMSTART
	v_cvt_f32_f16 v42, v24;
	;;#ASMEND
	;; [unrolled: 3-line block ×8, first 2 shown]
	ds_load_b64 v[24:25], v14 offset:16
	v_lshrrev_b32_e32 v45, 16, v31
	v_and_b32_e32 v31, 0xffff, v31
	v_dual_mul_f32 v10, v40, v27 :: v_dual_mul_f32 v26, v42, v26
	v_dual_mul_f32 v27, v43, v29 :: v_dual_lshrrev_b32 v29, 16, v11
	s_delay_alu instid0(VALU_DEP_2) | instskip(NEXT) | instid1(VALU_DEP_2)
	v_dual_mul_f32 v28, v41, v28 :: v_dual_fmac_f32 v10, v32, v34
	v_dual_fmac_f32 v26, v35, v36 :: v_dual_fmac_f32 v27, v37, v38
	v_and_b32_e32 v11, 0xffff, v11
	s_wait_dscnt 0x0
	v_and_b32_e32 v46, 0xffff, v24
	v_dual_lshrrev_b32 v24, 16, v24 :: v_dual_lshrrev_b32 v47, 16, v25
	v_and_b32_e32 v25, 0xffff, v25
	;;#ASMSTART
	v_cvt_f32_f16 v46, v46;
	;;#ASMEND
	;;#ASMSTART
	v_cvt_f32_f16 v48, v24;
	;;#ASMEND
	;;#ASMSTART
	v_cvt_f32_f16 v30, v30;
	;;#ASMEND
	;;#ASMSTART
	v_cvt_f32_f16 v44, v44;
	;;#ASMEND
	;;#ASMSTART
	v_cvt_f32_f16 v49, v25;
	;;#ASMEND
	;;#ASMSTART
	v_cvt_f32_f16 v47, v47;
	;;#ASMEND
	;;#ASMSTART
	v_cvt_f32_f16 v31, v31;
	;;#ASMEND
	;;#ASMSTART
	v_cvt_f32_f16 v45, v45;
	;;#ASMEND
	ds_load_b64 v[24:25], v14 offset:24
	v_dual_fmac_f32 v28, v33, v39 :: v_dual_fmac_f32 v10, v46, v30
	v_dual_fmac_f32 v26, v48, v44 :: v_dual_fmac_f32 v27, v49, v31
	s_delay_alu instid0(VALU_DEP_2)
	v_fmac_f32_e32 v28, v47, v45
	s_wait_dscnt 0x0
	v_and_b32_e32 v30, 0xffff, v24
	v_lshrrev_b32_e32 v24, 16, v24
	;;#ASMSTART
	v_cvt_f32_f16 v30, v30;
	;;#ASMEND
	;;#ASMSTART
	v_cvt_f32_f16 v24, v24;
	;;#ASMEND
	;; [unrolled: 3-line block ×3, first 2 shown]
	v_dual_fmac_f32 v10, v30, v32 :: v_dual_lshrrev_b32 v31, 16, v25
	;;#ASMSTART
	v_cvt_f32_f16 v33, v50;
	;;#ASMEND
	v_fmac_f32_e32 v26, v24, v33
	v_and_b32_e32 v25, 0xffff, v25
	;;#ASMSTART
	v_cvt_f32_f16 v24, v25;
	;;#ASMEND
	;;#ASMSTART
	v_cvt_f32_f16 v25, v31;
	;;#ASMEND
	;; [unrolled: 3-line block ×3, first 2 shown]
	v_fmac_f32_e32 v27, v24, v11
	;;#ASMSTART
	v_cvt_f32_f16 v11, v29;
	;;#ASMEND
	v_dual_add_f32 v10, v10, v26 :: v_dual_fmac_f32 v28, v25, v11
	s_delay_alu instid0(VALU_DEP_1) | instskip(NEXT) | instid1(VALU_DEP_1)
	v_dual_cndmask_b32 v11, v12, v22, s4 :: v_dual_add_f32 v10, v10, v27
	v_dual_add_f32 v10, v28, v10 :: v_dual_lshlrev_b32 v11, 2, v11
	ds_bpermute_b32 v11, v11, v10
	s_and_saveexec_b32 s38, s3
	s_cbranch_execz .LBB72_10
; %bb.18:                               ;   in Loop: Header=BB72_12 Depth=1
	s_wait_dscnt 0x0
	v_dual_add_nc_u32 v24, v16, v2 :: v_dual_add_f32 v10, v10, v11
	s_delay_alu instid0(VALU_DEP_1) | instskip(NEXT) | instid1(VALU_DEP_1)
	v_cvt_f32_i32_e32 v24, v24
	v_mul_f32_e32 v24, s35, v24
	s_delay_alu instid0(VALU_DEP_1) | instskip(NEXT) | instid1(VALU_DEP_1)
	v_dual_cndmask_b32 v11, 0, v24 :: v_dual_max_num_f32 v24, v15, v15
	v_fmac_f32_e32 v11, s23, v10
	s_delay_alu instid0(VALU_DEP_1) | instskip(NEXT) | instid1(VALU_DEP_1)
	v_dual_add_nc_u32 v10, v13, v2 :: v_dual_max_num_f32 v24, v24, v11
	v_cmp_gt_i32_e64 s4, s31, v10
	s_delay_alu instid0(VALU_DEP_1)
	v_dual_cndmask_b32 v10, 0, v11, s4 :: v_dual_cndmask_b32 v15, v15, v24, s4
	ds_store_b32 v20, v10
	s_branch .LBB72_10
.LBB72_19:
	s_or_b32 exec_lo, exec_lo, s37
.LBB72_20:
	s_delay_alu instid0(SALU_CYCLE_1)
	s_or_b32 exec_lo, exec_lo, s22
	v_dual_max_num_f32 v5, v15, v15 :: v_dual_bitop2_b32 v2, 16, v12 bitop3:0x14
	s_clause 0x1
	s_load_b64 s[4:5], s[0:1], 0x0
	s_load_b64 s[22:23], s[0:1], 0x18
	v_and_b32_e32 v20, 31, v0
	v_xor_b32_e32 v4, 8, v12
	v_cmp_gt_i32_e32 vcc_lo, 32, v2
	v_dual_cndmask_b32 v2, v12, v2, vcc_lo :: v_dual_bitop2_b32 v8, 4, v12 bitop3:0x14
	s_delay_alu instid0(VALU_DEP_3) | instskip(NEXT) | instid1(VALU_DEP_2)
	v_cmp_gt_i32_e32 vcc_lo, 32, v4
	v_dual_cndmask_b32 v4, v12, v4 :: v_dual_lshlrev_b32 v3, 2, v2
	s_delay_alu instid0(VALU_DEP_3) | instskip(SKIP_3) | instid1(VALU_DEP_1)
	v_cmp_gt_i32_e32 vcc_lo, 32, v8
	ds_bpermute_b32 v2, v3, v15
	s_wait_dscnt 0x0
	v_dual_lshlrev_b32 v4, 2, v4 :: v_dual_max_num_f32 v2, v2, v2
	v_max_num_f32_e32 v2, v5, v2
	ds_bpermute_b32 v5, v4, v2
	s_wait_dscnt 0x0
	v_dual_cndmask_b32 v8, v12, v8 :: v_dual_max_num_f32 v9, v5, v5
	s_delay_alu instid0(VALU_DEP_1)
	v_dual_max_num_f32 v2, v2, v9 :: v_dual_lshlrev_b32 v5, 2, v8
	v_xor_b32_e32 v9, 2, v12
	ds_bpermute_b32 v8, v5, v2
	v_cmp_gt_i32_e32 vcc_lo, 32, v9
	s_wait_dscnt 0x0
	v_max_num_f32_e32 v8, v8, v8
	s_delay_alu instid0(VALU_DEP_1) | instskip(NEXT) | instid1(VALU_DEP_1)
	v_dual_cndmask_b32 v10, v12, v9 :: v_dual_max_num_f32 v9, v2, v8
	v_dual_lshlrev_b32 v2, 2, v10 :: v_dual_lshlrev_b32 v8, 2, v19
	v_cmp_eq_u32_e32 vcc_lo, 0, v20
	ds_bpermute_b32 v10, v2, v9
	s_wait_xcnt 0x0
	s_and_saveexec_b32 s0, vcc_lo
	s_cbranch_execz .LBB72_22
; %bb.21:
	s_wait_dscnt 0x0
	v_dual_max_num_f32 v10, v10, v10 :: v_dual_max_num_f32 v9, v9, v9
	s_delay_alu instid0(VALU_DEP_1)
	v_max_num_f32_e32 v9, v9, v10
	ds_store_b32 v8, v9 offset:64
.LBB72_22:
	s_or_b32 exec_lo, exec_lo, s0
	v_cmp_gt_u32_e64 s0, 4, v20
	s_wait_dscnt 0x0
	v_dual_mov_b32 v10, 0xff7fffff :: v_dual_lshlrev_b32 v9, 2, v20
	s_barrier_signal -1
	s_barrier_wait -1
	s_and_saveexec_b32 s1, s0
; %bb.23:
	ds_load_b32 v10, v9 offset:64
; %bb.24:
	s_or_b32 exec_lo, exec_lo, s1
	s_wait_dscnt 0x0
	ds_bpermute_b32 v11, v2, v10
	v_dual_max_num_f32 v10, v10, v10 :: v_dual_bitop2_b32 v13, 1, v12 bitop3:0x14
	s_delay_alu instid0(VALU_DEP_1) | instskip(NEXT) | instid1(VALU_DEP_1)
	v_cmp_gt_i32_e64 s1, 32, v13
	v_cndmask_b32_e64 v12, v12, v13, s1
	s_lshl_b32 s1, s34, 4
	s_delay_alu instid0(SALU_CYCLE_1) | instskip(NEXT) | instid1(SALU_CYCLE_1)
	s_min_i32 s15, s1, s31
	v_cmp_gt_i32_e64 s1, s15, v0
	s_wait_dscnt 0x0
	v_dual_max_num_f32 v11, v11, v11 :: v_dual_lshlrev_b32 v21, 2, v12
	s_delay_alu instid0(VALU_DEP_1) | instskip(SKIP_3) | instid1(VALU_DEP_1)
	v_max_num_f32_e32 v10, v10, v11
	ds_bpermute_b32 v11, v21, v10
	s_wait_dscnt 0x0
	v_max_num_f32_e32 v11, v11, v11
	v_dual_max_num_f32 v11, v10, v11 :: v_dual_mov_b32 v10, 0
	ds_bpermute_b32 v11, v10, v11
	s_and_saveexec_b32 s24, s1
	s_cbranch_execz .LBB72_28
; %bb.25:
	v_lshl_add_u32 v12, v0, 2, 0x60
	v_dual_mov_b32 v10, 0 :: v_dual_mov_b32 v13, v0
	s_mov_b32 s25, 0
.LBB72_26:                              ; =>This Inner Loop Header: Depth=1
	ds_load_b32 v14, v12
	v_add_nc_u32_e32 v13, 0x80, v13
	s_delay_alu instid0(VALU_DEP_1) | instskip(SKIP_3) | instid1(VALU_DEP_1)
	v_cmp_le_i32_e64 s3, s15, v13
	s_or_b32 s25, s3, s25
	s_wait_dscnt 0x0
	v_sub_f32_e32 v14, v14, v11
	v_mul_f32_e32 v14, 0x3fb8aa3b, v14
	s_delay_alu instid0(VALU_DEP_1)
	v_exp_f32_e32 v14, v14
	ds_store_b32 v12, v14
	v_nop
	v_add_f32_e32 v10, v10, v14
	v_add_nc_u32_e32 v12, 0x200, v12
	s_and_not1_b32 exec_lo, exec_lo, s25
	s_cbranch_execnz .LBB72_26
; %bb.27:
	s_or_b32 exec_lo, exec_lo, s25
.LBB72_28:
	s_delay_alu instid0(SALU_CYCLE_1)
	s_or_b32 exec_lo, exec_lo, s24
	ds_bpermute_b32 v3, v3, v10
	s_wait_dscnt 0x0
	v_add_f32_e32 v3, v10, v3
	ds_bpermute_b32 v4, v4, v3
	s_wait_dscnt 0x0
	v_add_f32_e32 v3, v3, v4
	ds_bpermute_b32 v4, v5, v3
	s_wait_dscnt 0x0
	v_add_f32_e32 v3, v3, v4
	ds_bpermute_b32 v4, v2, v3
	s_wait_dscnt 0x0
	v_add_f32_e32 v3, v3, v4
	ds_bpermute_b32 v4, v21, v3
	s_wait_dscnt 0x0
	v_add_f32_e32 v3, v3, v4
	s_and_saveexec_b32 s3, vcc_lo
; %bb.29:
	ds_store_b32 v8, v3 offset:80
; %bb.30:
	s_or_b32 exec_lo, exec_lo, s3
	s_wait_dscnt 0x0
	s_barrier_signal -1
	s_barrier_wait -1
	s_and_saveexec_b32 s3, s0
; %bb.31:
	ds_load_b32 v3, v9 offset:80
; %bb.32:
	s_or_b32 exec_lo, exec_lo, s3
	s_wait_dscnt 0x0
	ds_bpermute_b32 v2, v2, v3
	s_wait_dscnt 0x0
	v_dual_mov_b32 v9, 0 :: v_dual_add_f32 v2, v3, v2
	ds_bpermute_b32 v3, v21, v2
	s_wait_dscnt 0x0
	v_add_f32_e32 v2, v2, v3
	ds_bpermute_b32 v2, v9, v2
	s_and_saveexec_b32 s0, s1
	s_cbranch_execz .LBB72_45
; %bb.33:
	s_wait_dscnt 0x0
	v_add_f32_e32 v2, 0x358637bd, v2
	s_mov_b32 s3, -1
	s_mov_b32 s1, exec_lo
	s_delay_alu instid0(VALU_DEP_1) | instskip(NEXT) | instid1(VALU_DEP_1)
	v_div_scale_f32 v3, null, v2, v2, 1.0
	v_rcp_f32_e32 v5, v3
	v_nop
	s_delay_alu instid0(TRANS32_DEP_1) | instskip(NEXT) | instid1(VALU_DEP_1)
	v_fma_f32 v4, -v3, v5, 1.0
	v_fmac_f32_e32 v5, v4, v5
	v_div_scale_f32 v8, vcc_lo, 1.0, v2, 1.0
	s_delay_alu instid0(VALU_DEP_1) | instskip(NEXT) | instid1(VALU_DEP_1)
	v_mul_f32_e32 v10, v8, v5
	v_fma_f32 v4, -v3, v10, v8
	s_delay_alu instid0(VALU_DEP_1) | instskip(SKIP_1) | instid1(VALU_DEP_2)
	v_fmac_f32_e32 v10, v4, v5
	v_xad_u32 v4, v0, -1, s15
	v_fma_f32 v3, -v3, v10, v8
	s_delay_alu instid0(VALU_DEP_1) | instskip(NEXT) | instid1(VALU_DEP_1)
	v_div_fmas_f32 v3, v3, v5, v10
	v_div_fixup_f32 v2, v3, v2, 1.0
	v_mov_b32_e32 v3, v0
	v_cmpx_lt_u32_e32 0x7f, v4
	s_cbranch_execz .LBB72_42
; %bb.34:
	s_delay_alu instid0(VALU_DEP_3) | instskip(NEXT) | instid1(VALU_DEP_1)
	v_dual_mov_b32 v3, v2 :: v_dual_lshrrev_b32 v4, 7, v4
	v_dual_mov_b32 v11, 0 :: v_dual_add_nc_u32 v5, -1, v4
	s_delay_alu instid0(VALU_DEP_1) | instskip(SKIP_1) | instid1(VALU_DEP_2)
	v_lshrrev_b32_e32 v8, 1, v5
	v_cmp_lt_u32_e32 vcc_lo, 13, v5
	v_add_nc_u32_e32 v5, 1, v8
	s_and_saveexec_b32 s3, vcc_lo
	s_cbranch_execz .LBB72_38
; %bb.35:
	s_delay_alu instid0(VALU_DEP_1)
	v_and_b32_e32 v8, -8, v5
	v_lshl_add_u32 v10, v0, 2, 0x60
	s_mov_b32 s24, 0
	s_mov_b32 s25, 0
.LBB72_36:                              ; =>This Inner Loop Header: Depth=1
	ds_load_2addr_stride64_b32 v[12:13], v10 offset1:2
	ds_load_2addr_stride64_b32 v[14:15], v10 offset0:4 offset1:6
	ds_load_2addr_stride64_b32 v[22:23], v10 offset0:8 offset1:10
	;; [unrolled: 1-line block ×7, first 2 shown]
	s_add_co_i32 s25, s25, 16
	s_delay_alu instid0(SALU_CYCLE_1) | instskip(NEXT) | instid1(VALU_DEP_1)
	v_dual_mov_b32 v11, s25 :: v_dual_add_nc_u32 v8, -8, v8
	v_cmp_eq_u32_e32 vcc_lo, 0, v8
	s_or_b32 s24, vcc_lo, s24
	s_wait_dscnt 0x7
	v_pk_mul_f32 v[12:13], v[2:3], v[12:13]
	s_wait_dscnt 0x6
	v_pk_mul_f32 v[14:15], v[2:3], v[14:15]
	;; [unrolled: 2-line block ×8, first 2 shown]
	ds_store_2addr_stride64_b32 v10, v12, v13 offset1:2
	ds_store_2addr_stride64_b32 v10, v14, v15 offset0:4 offset1:6
	ds_store_2addr_stride64_b32 v10, v22, v23 offset0:8 offset1:10
	;; [unrolled: 1-line block ×7, first 2 shown]
	v_add_nc_u32_e32 v10, 0x2000, v10
	s_and_not1_b32 exec_lo, exec_lo, s24
	s_cbranch_execnz .LBB72_36
; %bb.37:
	s_or_b32 exec_lo, exec_lo, s24
.LBB72_38:
	s_delay_alu instid0(SALU_CYCLE_1) | instskip(NEXT) | instid1(VALU_DEP_1)
	s_or_b32 exec_lo, exec_lo, s3
	v_and_b32_e32 v5, 7, v5
	s_mov_b32 s24, 0
	s_mov_b32 s3, exec_lo
	s_delay_alu instid0(VALU_DEP_1)
	v_cmpx_ne_u32_e32 0, v5
	s_cbranch_execz .LBB72_41
; %bb.39:
	v_dual_lshlrev_b32 v8, 9, v11 :: v_dual_lshlrev_b32 v10, 2, v0
	s_delay_alu instid0(VALU_DEP_1)
	v_add3_u32 v8, v8, v10, 0x60
.LBB72_40:                              ; =>This Inner Loop Header: Depth=1
	ds_load_2addr_stride64_b32 v[10:11], v8 offset1:2
	v_add_nc_u32_e32 v5, -1, v5
	s_delay_alu instid0(VALU_DEP_1)
	v_cmp_eq_u32_e32 vcc_lo, 0, v5
	s_or_b32 s24, vcc_lo, s24
	s_wait_dscnt 0x0
	v_pk_mul_f32 v[10:11], v[2:3], v[10:11]
	ds_store_2addr_stride64_b32 v8, v10, v11 offset1:2
	v_add_nc_u32_e32 v8, 0x400, v8
	s_and_not1_b32 exec_lo, exec_lo, s24
	s_cbranch_execnz .LBB72_40
.LBB72_41:
	s_or_b32 exec_lo, exec_lo, s3
	v_add_nc_u32_e32 v3, 1, v4
	s_delay_alu instid0(VALU_DEP_1) | instskip(NEXT) | instid1(VALU_DEP_1)
	v_and_b32_e32 v4, 0x3fffffe, v3
	v_cmp_ne_u32_e32 vcc_lo, v3, v4
	v_lshl_add_u32 v3, v4, 7, v0
	s_or_not1_b32 s3, vcc_lo, exec_lo
.LBB72_42:
	s_or_b32 exec_lo, exec_lo, s1
	s_delay_alu instid0(SALU_CYCLE_1)
	s_and_b32 exec_lo, exec_lo, s3
	s_cbranch_execz .LBB72_45
; %bb.43:
	v_lshl_add_u32 v4, v3, 2, 0x60
	s_mov_b32 s1, 0
.LBB72_44:                              ; =>This Inner Loop Header: Depth=1
	ds_load_b32 v5, v4
	v_add_nc_u32_e32 v3, 0x80, v3
	s_delay_alu instid0(VALU_DEP_1)
	v_cmp_le_i32_e32 vcc_lo, s15, v3
	s_or_b32 s1, vcc_lo, s1
	s_wait_dscnt 0x0
	v_mul_f32_e32 v5, v2, v5
	ds_store_b32 v4, v5
	v_add_nc_u32_e32 v4, 0x200, v4
	s_and_not1_b32 exec_lo, exec_lo, s1
	s_cbranch_execnz .LBB72_44
.LBB72_45:
	s_or_b32 exec_lo, exec_lo, s0
	v_mov_b32_e32 v8, 0
	s_wait_dscnt 0x0
	s_barrier_signal -1
	s_barrier_wait -1
	s_and_saveexec_b32 s1, s2
	s_cbranch_execz .LBB72_55
; %bb.46:
	s_abs_i32 s10, s10
	v_dual_lshlrev_b32 v4, 4, v0 :: v_dual_bitop2_b32 v22, 8, v7 bitop3:0x40
	s_cvt_f32_u32 s0, s10
	v_mov_b32_e32 v7, 0
	v_and_b32_e32 v2, 0x7c, v1
	v_lshlrev_b32_e32 v1, 5, v18
	v_rcp_iflag_f32_e32 v3, s0
	s_ashr_i32 s15, s14, 31
	v_and_b32_e32 v4, 0x1f0, v4
	v_mov_b32_e32 v5, v7
	s_lshl_b64 s[20:21], s[20:21], 2
	s_lshl_b64 s[14:15], s[14:15], 1
	v_lshl_or_b32 v1, v19, 6, v1
	v_readfirstlane_b32 s0, v3
	v_mov_b32_e32 v3, v7
	s_add_nc_u64 s[18:19], s[18:19], s[20:21]
	s_wait_kmcnt 0x0
	s_add_nc_u64 s[14:15], s[22:23], s[14:15]
	s_sub_co_i32 s24, s8, s9
	s_mul_f32 s0, s0, 0x4f7ffffe
	s_sub_co_i32 s8, 0, s10
	v_add_nc_u64_e32 v[10:11], s[14:15], v[4:5]
	v_add_nc_u64_e32 v[12:13], s[18:19], v[2:3]
	s_cvt_u32_f32 s0, s0
	v_dual_mov_b32 v24, v19 :: v_dual_add_nc_u32 v23, 0x60, v1
	v_dual_mov_b32 v8, v7 :: v_dual_mov_b32 v9, v7
	s_delay_alu instid0(SALU_CYCLE_1)
	s_mul_i32 s8, s8, s0
	s_mov_b32 s9, 0
	s_mul_hi_u32 s8, s0, s8
	s_ashr_i32 s3, s13, 31
	s_mov_b32 s2, s13
	s_add_co_i32 s13, s34, -1
	s_mov_b32 s14, s31
	s_add_co_i32 s8, s0, s8
	s_mov_b32 s15, s9
	s_branch .LBB72_49
.LBB72_47:                              ;   in Loop: Header=BB72_49 Depth=1
	s_or_b32 exec_lo, exec_lo, s0
	v_dual_lshlrev_b32 v14, 16, v14 :: v_dual_lshlrev_b32 v1, 16, v1
	s_delay_alu instid0(VALU_DEP_2) | instskip(NEXT) | instid1(VALU_DEP_2)
	v_lshlrev_b32_e32 v15, 16, v15
	v_and_or_b32 v2, 0xffff, v2, v14
	s_delay_alu instid0(VALU_DEP_3) | instskip(NEXT) | instid1(VALU_DEP_3)
	v_and_or_b32 v1, 0xffff, v3, v1
	v_and_or_b32 v3, 0xffff, v4, v15
	;;#ASMSTART
	v_pk_mul_f16 v2, v34, v2;

	;;#ASMEND
	;;#ASMSTART
	v_pk_mul_f16 v1, v16, v1;

	;;#ASMEND
	;; [unrolled: 4-line block ×4, first 2 shown]
	;;#ASMSTART
	v_pk_add_f16 v1, v2, v1;

	;;#ASMEND
	;;#ASMSTART
	v_pk_add_f16 v1, v1, v3;

	;;#ASMEND
	;; [unrolled: 4-line block ×3, first 2 shown]
	v_and_b32_e32 v2, 0xffff, v1
	v_lshrrev_b32_e32 v3, 16, v1
	;;#ASMSTART
	v_cvt_f32_f16 v2, v2;
	;;#ASMEND
	;;#ASMSTART
	v_cvt_f32_f16 v3, v3;
	;;#ASMEND
	s_delay_alu instid0(VALU_DEP_1) | instskip(NEXT) | instid1(VALU_DEP_1)
	v_dual_add_f32 v1, v36, v37 :: v_dual_add_f32 v2, v2, v3
	v_dual_add_f32 v8, v8, v1 :: v_dual_add_f32 v9, v9, v2
.LBB72_48:                              ;   in Loop: Header=BB72_49 Depth=1
	s_or_b32 exec_lo, exec_lo, s18
	v_dual_add_nc_u32 v24, 4, v24 :: v_dual_add_nc_u32 v6, 64, v6
	v_add_nc_u64_e32 v[12:13], 16, v[12:13]
	v_add_nc_u32_e32 v23, 0x100, v23
	s_delay_alu instid0(VALU_DEP_3) | instskip(SKIP_1) | instid1(SALU_CYCLE_1)
	v_cmp_le_i32_e32 vcc_lo, s34, v24
	s_or_b32 s15, vcc_lo, s15
	s_and_not1_b32 exec_lo, exec_lo, s15
	s_cbranch_execz .LBB72_54
.LBB72_49:                              ; =>This Inner Loop Header: Depth=1
	v_mul_u64_e32 v[2:3], s[16:17], v[6:7]
	s_delay_alu instid0(VALU_DEP_1) | instskip(NEXT) | instid1(VALU_DEP_1)
	v_mul_lo_u32 v1, v3, s12
	v_dual_add_nc_u32 v2, 1, v3 :: v_dual_sub_nc_u32 v1, v6, v1
	s_delay_alu instid0(VALU_DEP_1) | instskip(SKIP_1) | instid1(VALU_DEP_2)
	v_subrev_nc_u32_e32 v4, s12, v1
	v_cmp_le_u32_e32 vcc_lo, s12, v1
	v_dual_cndmask_b32 v2, v3, v2 :: v_dual_cndmask_b32 v1, v1, v4
	s_delay_alu instid0(VALU_DEP_1) | instskip(NEXT) | instid1(VALU_DEP_2)
	v_add_nc_u32_e32 v3, 1, v2
	v_cmp_le_u32_e32 vcc_lo, s12, v1
	s_delay_alu instid0(VALU_DEP_2) | instskip(NEXT) | instid1(VALU_DEP_1)
	v_dual_cndmask_b32 v1, v2, v3, vcc_lo :: v_dual_mov_b32 v3, v7
	v_xor_b32_e32 v1, s11, v1
	s_delay_alu instid0(VALU_DEP_1) | instskip(NEXT) | instid1(VALU_DEP_1)
	v_subrev_nc_u32_e32 v1, s11, v1
	v_add_nc_u32_e32 v14, s33, v1
	v_cmp_lt_i32_e64 s0, s24, v1
	s_delay_alu instid0(VALU_DEP_2) | instskip(NEXT) | instid1(VALU_DEP_1)
	v_sub_nc_u32_e32 v2, 0, v14
	v_max_i32_e32 v2, v14, v2
	s_delay_alu instid0(VALU_DEP_1) | instskip(SKIP_1) | instid1(VALU_DEP_2)
	v_mul_u64_e32 v[4:5], s[8:9], v[2:3]
	v_ashrrev_i32_e32 v4, 31, v14
	v_mul_lo_u32 v3, v5, s10
	s_delay_alu instid0(VALU_DEP_1) | instskip(NEXT) | instid1(VALU_DEP_1)
	v_sub_nc_u32_e32 v2, v2, v3
	v_subrev_nc_u32_e32 v3, s10, v2
	v_cmp_le_u32_e32 vcc_lo, s10, v2
	s_delay_alu instid0(VALU_DEP_2) | instskip(NEXT) | instid1(VALU_DEP_1)
	v_cndmask_b32_e32 v2, v2, v3, vcc_lo
	v_subrev_nc_u32_e32 v3, s10, v2
	v_cmp_le_u32_e32 vcc_lo, s10, v2
	s_delay_alu instid0(VALU_DEP_2) | instskip(NEXT) | instid1(VALU_DEP_1)
	v_cndmask_b32_e32 v2, v2, v3, vcc_lo
	v_xor_b32_e32 v2, v2, v4
	s_delay_alu instid0(VALU_DEP_1) | instskip(NEXT) | instid1(VALU_DEP_1)
	v_sub_nc_u32_e32 v2, v2, v4
	v_cmp_eq_u32_e32 vcc_lo, 0, v2
	s_or_b32 s0, vcc_lo, s0
	s_delay_alu instid0(SALU_CYCLE_1)
	s_and_saveexec_b32 s18, s0
	s_cbranch_execz .LBB72_48
; %bb.50:                               ;   in Loop: Header=BB72_49 Depth=1
	global_load_b32 v2, v[12:13], off
	v_cmp_eq_u32_e32 vcc_lo, s13, v24
	s_wait_loadcnt 0x0
	v_ashrrev_i32_e32 v3, 31, v2
	s_delay_alu instid0(VALU_DEP_1)
	v_mul_u64_e32 v[14:15], s[2:3], v[2:3]
	ds_load_2addr_b64 v[2:5], v23 offset1:1
	ds_load_2addr_b64 v[26:29], v23 offset0:2 offset1:3
	s_wait_dscnt 0x1
	;;#ASMSTART
	v_cvt_f16_f32 v39, v2;

	;;#ASMEND
	;;#ASMSTART
	v_cvt_f16_f32 v34, v3;

	;;#ASMEND
	;; [unrolled: 4-line block ×4, first 2 shown]
	s_wait_dscnt 0x0
	;;#ASMSTART
	v_cvt_f16_f32 v41, v26;

	;;#ASMEND
	;;#ASMSTART
	v_cvt_f16_f32 v36, v27;

	;;#ASMEND
	;; [unrolled: 4-line block ×4, first 2 shown]
	v_lshl_add_u64 v[14:15], v[14:15], 1, v[10:11]
	global_load_b128 v[2:5], v[14:15], off
	s_wait_loadcnt 0x0
	v_dual_add_nc_u32 v29, v22, v6 :: v_dual_lshrrev_b32 v1, 16, v3
	s_delay_alu instid0(VALU_DEP_1)
	v_dual_add_nc_u32 v31, 2, v29 :: v_dual_add_nc_u32 v26, 4, v29
	v_dual_add_nc_u32 v25, 5, v29 :: v_dual_add_nc_u32 v28, 6, v29
	v_dual_add_nc_u32 v27, 7, v29 :: v_dual_bitop2_b32 v32, 3, v29 bitop3:0x54
	v_dual_lshrrev_b32 v16, 16, v2 :: v_dual_lshrrev_b32 v33, 16, v4
	v_or_b32_e32 v30, 1, v29
	s_and_saveexec_b32 s19, vcc_lo
	s_cbranch_execz .LBB72_52
; %bb.51:                               ;   in Loop: Header=BB72_49 Depth=1
	v_cmp_gt_i32_e64 s0, s31, v29
	v_and_b32_e32 v42, 0xffff, v5
	v_and_b32_e32 v5, 0xffff0000, v5
	s_delay_alu instid0(VALU_DEP_3) | instskip(SKIP_1) | instid1(VALU_DEP_1)
	v_cndmask_b32_e64 v2, 0, v2, s0
	v_cmp_gt_i32_e64 s0, s31, v31
	v_cndmask_b32_e64 v3, 0, v3, s0
	v_cmp_gt_i32_e64 s0, s14, v32
	s_delay_alu instid0(VALU_DEP_1) | instskip(SKIP_1) | instid1(VALU_DEP_1)
	v_cndmask_b32_e64 v1, 0, v1, s0
	v_cmp_gt_i32_e64 s0, s31, v30
	v_cndmask_b32_e64 v16, 0, v16, s0
	v_cmp_gt_i32_e64 s0, s31, v28
	s_delay_alu instid0(VALU_DEP_1) | instskip(SKIP_1) | instid1(VALU_DEP_1)
	;; [unrolled: 5-line block ×3, first 2 shown]
	v_dual_cndmask_b32 v4, 0, v4, s0 :: v_dual_bitop2_b32 v5, v42, v5 bitop3:0x54
	v_cmp_gt_i32_e64 s0, s31, v25
	v_cndmask_b32_e64 v33, 0, v33, s0
.LBB72_52:                              ;   in Loop: Header=BB72_49 Depth=1
	s_or_b32 exec_lo, exec_lo, s19
	v_and_b32_e32 v40, 0xffff, v40
	v_dual_lshlrev_b32 v42, 16, v16 :: v_dual_lshlrev_b32 v1, 16, v1
	v_and_b32_e32 v39, 0xffff, v39
	v_and_b32_e32 v41, 0xffff, v41
	s_delay_alu instid0(VALU_DEP_4)
	v_lshl_or_b32 v16, v37, 16, v40
	v_lshlrev_b32_e32 v37, 16, v33
	v_and_b32_e32 v38, 0xffff, v38
	v_and_or_b32 v2, 0xffff, v2, v42
	v_and_or_b32 v1, 0xffff, v3, v1
	v_lshl_or_b32 v34, v34, 16, v39
	v_and_or_b32 v3, 0xffff, v4, v37
	;;#ASMSTART
	v_pk_mul_f16 v2, v34, v2;

	;;#ASMEND
	;;#ASMSTART
	v_pk_mul_f16 v1, v16, v1;

	;;#ASMEND
	v_lshl_or_b32 v33, v36, 16, v41
	v_lshl_or_b32 v35, v35, 16, v38
	;;#ASMSTART
	v_pk_mul_f16 v3, v33, v3;

	;;#ASMEND
	;;#ASMSTART
	v_pk_mul_f16 v4, v35, v5;

	;;#ASMEND
	;;#ASMSTART
	v_pk_add_f16 v1, v2, v1;

	;;#ASMEND
	;;#ASMSTART
	v_pk_add_f16 v1, v1, v3;
	;; [unrolled: 4-line block ×3, first 2 shown]

	;;#ASMEND
	v_and_b32_e32 v2, 0xffff, v1
	v_lshrrev_b32_e32 v1, 16, v1
	;;#ASMSTART
	v_cvt_f32_f16 v36, v2;
	;;#ASMEND
	;;#ASMSTART
	v_cvt_f32_f16 v37, v1;
	;;#ASMEND
	global_load_b128 v[2:5], v[14:15], off offset:512
	s_wait_loadcnt 0x0
	v_dual_lshrrev_b32 v1, 16, v3 :: v_dual_lshrrev_b32 v14, 16, v2
	v_lshrrev_b32_e32 v15, 16, v4
	s_and_saveexec_b32 s0, vcc_lo
	s_cbranch_execz .LBB72_47
; %bb.53:                               ;   in Loop: Header=BB72_49 Depth=1
	v_cmp_gt_i32_e32 vcc_lo, s31, v29
	v_and_b32_e32 v29, 0xffff, v5
	v_and_b32_e32 v5, 0xffff0000, v5
	v_cndmask_b32_e32 v2, 0, v2, vcc_lo
	v_cmp_gt_i32_e32 vcc_lo, s31, v31
	v_cndmask_b32_e32 v3, 0, v3, vcc_lo
	v_cmp_gt_i32_e32 vcc_lo, s14, v32
	;; [unrolled: 2-line block ×7, first 2 shown]
	s_delay_alu instid0(VALU_DEP_4)
	v_dual_cndmask_b32 v15, 0, v15, vcc_lo :: v_dual_bitop2_b32 v5, v28, v5 bitop3:0x54
	s_branch .LBB72_47
.LBB72_54:
	s_or_b32 exec_lo, exec_lo, s15
.LBB72_55:
	s_delay_alu instid0(SALU_CYCLE_1)
	s_or_b32 exec_lo, exec_lo, s1
	ds_bpermute_b32 v2, v21, v8
	ds_bpermute_b32 v3, v21, v9
	v_lshrrev_b32_e32 v1, 1, v20
	v_and_b32_e32 v5, 0x3c1, v0
	s_mov_b32 s0, exec_lo
	s_wait_dscnt 0x0
	s_barrier_signal -1
	v_lshl_add_u32 v4, v1, 2, 0x60
	s_barrier_wait -1
	v_pk_add_f32 v[2:3], v[8:9], v[2:3]
	v_cmpx_eq_u32_e32 64, v5
	s_cbranch_execz .LBB72_57
; %bb.56:
	v_lshl_add_u32 v5, v19, 7, v4
	s_delay_alu instid0(VALU_DEP_1)
	v_add_nc_u32_e32 v6, 0xffffff00, v5
	v_add_nc_u32_e32 v5, 0xffffff40, v5
	ds_store_b32 v6, v2
	ds_store_b32 v5, v3
.LBB72_57:
	s_or_b32 exec_lo, exec_lo, s0
	v_and_b32_e32 v5, 0x3e0, v0
	v_lshlrev_b32_e32 v1, 2, v1
	s_mov_b32 s1, exec_lo
	v_cmp_eq_u32_e32 vcc_lo, 0, v18
	s_wait_dscnt 0x0
	v_lshlrev_b32_e32 v5, 2, v5
	s_barrier_signal -1
	s_barrier_wait -1
	s_delay_alu instid0(VALU_DEP_1)
	v_add3_u32 v1, 0x60, v5, v1
	v_cmpx_gt_u32_e32 64, v0
	s_cbranch_execz .LBB72_63
; %bb.58:
	s_and_saveexec_b32 s0, vcc_lo
	s_cbranch_execz .LBB72_60
; %bb.59:
	ds_load_b32 v5, v1
	s_wait_dscnt 0x0
	v_add_f32_e32 v2, v2, v5
.LBB72_60:
	s_or_b32 exec_lo, exec_lo, s0
	s_and_saveexec_b32 s0, vcc_lo
	s_cbranch_execz .LBB72_62
; %bb.61:
	ds_load_b32 v5, v1 offset:64
	s_wait_dscnt 0x0
	v_add_f32_e32 v3, v3, v5
.LBB72_62:
	s_or_b32 exec_lo, exec_lo, s0
.LBB72_63:
	s_delay_alu instid0(SALU_CYCLE_1) | instskip(SKIP_4) | instid1(VALU_DEP_1)
	s_or_b32 exec_lo, exec_lo, s1
	v_and_b32_e32 v5, 0x3e1, v0
	s_mov_b32 s1, exec_lo
	s_barrier_signal -1
	s_barrier_wait -1
	v_cmpx_eq_u32_e32 32, v5
; %bb.64:
	ds_store_2addr_b32 v4, v2, v3 offset1:16
; %bb.65:
	s_or_b32 exec_lo, exec_lo, s1
	s_delay_alu instid0(SALU_CYCLE_1)
	s_mov_b32 s1, exec_lo
	s_wait_dscnt 0x0
	s_barrier_signal -1
	s_barrier_wait -1
	v_cmpx_gt_u32_e32 32, v0
	s_cbranch_execz .LBB72_71
; %bb.66:
	s_and_saveexec_b32 s0, vcc_lo
	s_cbranch_execz .LBB72_68
; %bb.67:
	ds_load_b32 v0, v1
	s_wait_dscnt 0x0
	v_add_f32_e32 v2, v2, v0
.LBB72_68:
	s_or_b32 exec_lo, exec_lo, s0
	s_and_saveexec_b32 s0, vcc_lo
	s_cbranch_execz .LBB72_70
; %bb.69:
	ds_load_b32 v0, v1 offset:64
	s_wait_dscnt 0x0
	v_add_f32_e32 v3, v3, v0
.LBB72_70:
	s_or_b32 exec_lo, exec_lo, s0
.LBB72_71:
	s_delay_alu instid0(SALU_CYCLE_1)
	s_or_b32 exec_lo, exec_lo, s1
	s_mov_b32 s1, 0
	s_barrier_signal -1
	s_barrier_wait -1
	s_mov_b32 s0, exec_lo
	v_cmpx_eq_u32_e32 0, v5
	s_cbranch_execz .LBB72_73
; %bb.72:
	s_mul_i32 s0, s30, s7
	s_mul_i32 s2, s7, s6
	;; [unrolled: 1-line block ×3, first 2 shown]
	s_lshr_b32 s8, ttmp7, 16
	s_lshl_b32 s6, s0, 5
	s_bfe_u32 s0, ttmp6, 0x40014
	s_ashr_i32 s7, s6, 31
	s_add_co_i32 s0, s0, 1
	s_ashr_i32 s3, s2, 31
	s_mul_i32 s0, s8, s0
	s_bfe_u32 s9, ttmp6, 0x40008
	s_lshl_b64 s[6:7], s[6:7], 1
	s_lshl_b64 s[2:3], s[2:3], 1
	s_add_co_i32 s9, s9, s0
	s_cmp_eq_u32 s28, 0
	s_wait_kmcnt 0x0
	s_add_nc_u64 s[4:5], s[4:5], s[6:7]
	s_cselect_b32 s0, s8, s9
	s_add_nc_u64 s[2:3], s[4:5], s[2:3]
	s_lshl_b32 s0, s0, 6
	;;#ASMSTART
	v_cvt_f16_f32 v0, v2;

	;;#ASMEND
	s_add_nc_u64 s[0:1], s[2:3], s[0:1]
	global_store_b16 v17, v0, s[0:1] scale_offset
	s_wait_xcnt 0x0
	;;#ASMSTART
	v_cvt_f16_f32 v0, v3;

	;;#ASMEND
	global_store_b16 v17, v0, s[0:1] offset:32 scale_offset
.LBB72_73:
	s_endpgm
	.section	.rodata,"a",@progbits
	.p2align	6, 0x0
	.amdhsa_kernel _ZN4vllm25paged_attention_v1_kernelIttLi32ELi16ELi128ELNS_18Fp8KVCacheDataTypeE0ELb1EEEvPT_PKS2_PKT0_S8_ifPKiSA_iPKfiiiSC_SC_iiiii
		.amdhsa_group_segment_fixed_size 96
		.amdhsa_private_segment_fixed_size 0
		.amdhsa_kernarg_size 384
		.amdhsa_user_sgpr_count 2
		.amdhsa_user_sgpr_dispatch_ptr 0
		.amdhsa_user_sgpr_queue_ptr 0
		.amdhsa_user_sgpr_kernarg_segment_ptr 1
		.amdhsa_user_sgpr_dispatch_id 0
		.amdhsa_user_sgpr_kernarg_preload_length 0
		.amdhsa_user_sgpr_kernarg_preload_offset 0
		.amdhsa_user_sgpr_private_segment_size 0
		.amdhsa_wavefront_size32 1
		.amdhsa_uses_dynamic_stack 0
		.amdhsa_enable_private_segment 0
		.amdhsa_system_sgpr_workgroup_id_x 1
		.amdhsa_system_sgpr_workgroup_id_y 1
		.amdhsa_system_sgpr_workgroup_id_z 1
		.amdhsa_system_sgpr_workgroup_info 0
		.amdhsa_system_vgpr_workitem_id 0
		.amdhsa_next_free_vgpr 52
		.amdhsa_next_free_sgpr 40
		.amdhsa_named_barrier_count 0
		.amdhsa_reserve_vcc 1
		.amdhsa_float_round_mode_32 0
		.amdhsa_float_round_mode_16_64 0
		.amdhsa_float_denorm_mode_32 3
		.amdhsa_float_denorm_mode_16_64 3
		.amdhsa_fp16_overflow 0
		.amdhsa_memory_ordered 1
		.amdhsa_forward_progress 1
		.amdhsa_inst_pref_size 41
		.amdhsa_round_robin_scheduling 0
		.amdhsa_exception_fp_ieee_invalid_op 0
		.amdhsa_exception_fp_denorm_src 0
		.amdhsa_exception_fp_ieee_div_zero 0
		.amdhsa_exception_fp_ieee_overflow 0
		.amdhsa_exception_fp_ieee_underflow 0
		.amdhsa_exception_fp_ieee_inexact 0
		.amdhsa_exception_int_div_zero 0
	.end_amdhsa_kernel
	.section	.text._ZN4vllm25paged_attention_v1_kernelIttLi32ELi16ELi128ELNS_18Fp8KVCacheDataTypeE0ELb1EEEvPT_PKS2_PKT0_S8_ifPKiSA_iPKfiiiSC_SC_iiiii,"axG",@progbits,_ZN4vllm25paged_attention_v1_kernelIttLi32ELi16ELi128ELNS_18Fp8KVCacheDataTypeE0ELb1EEEvPT_PKS2_PKT0_S8_ifPKiSA_iPKfiiiSC_SC_iiiii,comdat
.Lfunc_end72:
	.size	_ZN4vllm25paged_attention_v1_kernelIttLi32ELi16ELi128ELNS_18Fp8KVCacheDataTypeE0ELb1EEEvPT_PKS2_PKT0_S8_ifPKiSA_iPKfiiiSC_SC_iiiii, .Lfunc_end72-_ZN4vllm25paged_attention_v1_kernelIttLi32ELi16ELi128ELNS_18Fp8KVCacheDataTypeE0ELb1EEEvPT_PKS2_PKT0_S8_ifPKiSA_iPKfiiiSC_SC_iiiii
                                        ; -- End function
	.set _ZN4vllm25paged_attention_v1_kernelIttLi32ELi16ELi128ELNS_18Fp8KVCacheDataTypeE0ELb1EEEvPT_PKS2_PKT0_S8_ifPKiSA_iPKfiiiSC_SC_iiiii.num_vgpr, 52
	.set _ZN4vllm25paged_attention_v1_kernelIttLi32ELi16ELi128ELNS_18Fp8KVCacheDataTypeE0ELb1EEEvPT_PKS2_PKT0_S8_ifPKiSA_iPKfiiiSC_SC_iiiii.num_agpr, 0
	.set _ZN4vllm25paged_attention_v1_kernelIttLi32ELi16ELi128ELNS_18Fp8KVCacheDataTypeE0ELb1EEEvPT_PKS2_PKT0_S8_ifPKiSA_iPKfiiiSC_SC_iiiii.numbered_sgpr, 40
	.set _ZN4vllm25paged_attention_v1_kernelIttLi32ELi16ELi128ELNS_18Fp8KVCacheDataTypeE0ELb1EEEvPT_PKS2_PKT0_S8_ifPKiSA_iPKfiiiSC_SC_iiiii.num_named_barrier, 0
	.set _ZN4vllm25paged_attention_v1_kernelIttLi32ELi16ELi128ELNS_18Fp8KVCacheDataTypeE0ELb1EEEvPT_PKS2_PKT0_S8_ifPKiSA_iPKfiiiSC_SC_iiiii.private_seg_size, 0
	.set _ZN4vllm25paged_attention_v1_kernelIttLi32ELi16ELi128ELNS_18Fp8KVCacheDataTypeE0ELb1EEEvPT_PKS2_PKT0_S8_ifPKiSA_iPKfiiiSC_SC_iiiii.uses_vcc, 1
	.set _ZN4vllm25paged_attention_v1_kernelIttLi32ELi16ELi128ELNS_18Fp8KVCacheDataTypeE0ELb1EEEvPT_PKS2_PKT0_S8_ifPKiSA_iPKfiiiSC_SC_iiiii.uses_flat_scratch, 0
	.set _ZN4vllm25paged_attention_v1_kernelIttLi32ELi16ELi128ELNS_18Fp8KVCacheDataTypeE0ELb1EEEvPT_PKS2_PKT0_S8_ifPKiSA_iPKfiiiSC_SC_iiiii.has_dyn_sized_stack, 0
	.set _ZN4vllm25paged_attention_v1_kernelIttLi32ELi16ELi128ELNS_18Fp8KVCacheDataTypeE0ELb1EEEvPT_PKS2_PKT0_S8_ifPKiSA_iPKfiiiSC_SC_iiiii.has_recursion, 0
	.set _ZN4vllm25paged_attention_v1_kernelIttLi32ELi16ELi128ELNS_18Fp8KVCacheDataTypeE0ELb1EEEvPT_PKS2_PKT0_S8_ifPKiSA_iPKfiiiSC_SC_iiiii.has_indirect_call, 0
	.section	.AMDGPU.csdata,"",@progbits
; Kernel info:
; codeLenInByte = 5248
; TotalNumSgprs: 42
; NumVgprs: 52
; ScratchSize: 0
; MemoryBound: 0
; FloatMode: 240
; IeeeMode: 1
; LDSByteSize: 96 bytes/workgroup (compile time only)
; SGPRBlocks: 0
; VGPRBlocks: 3
; NumSGPRsForWavesPerEU: 42
; NumVGPRsForWavesPerEU: 52
; NamedBarCnt: 0
; Occupancy: 16
; WaveLimiterHint : 1
; COMPUTE_PGM_RSRC2:SCRATCH_EN: 0
; COMPUTE_PGM_RSRC2:USER_SGPR: 2
; COMPUTE_PGM_RSRC2:TRAP_HANDLER: 0
; COMPUTE_PGM_RSRC2:TGID_X_EN: 1
; COMPUTE_PGM_RSRC2:TGID_Y_EN: 1
; COMPUTE_PGM_RSRC2:TGID_Z_EN: 1
; COMPUTE_PGM_RSRC2:TIDIG_COMP_CNT: 0
	.section	.text._ZN4vllm25paged_attention_v1_kernelIttLi64ELi16ELi128ELNS_18Fp8KVCacheDataTypeE0ELb1EEEvPT_PKS2_PKT0_S8_ifPKiSA_iPKfiiiSC_SC_iiiii,"axG",@progbits,_ZN4vllm25paged_attention_v1_kernelIttLi64ELi16ELi128ELNS_18Fp8KVCacheDataTypeE0ELb1EEEvPT_PKS2_PKT0_S8_ifPKiSA_iPKfiiiSC_SC_iiiii,comdat
	.protected	_ZN4vllm25paged_attention_v1_kernelIttLi64ELi16ELi128ELNS_18Fp8KVCacheDataTypeE0ELb1EEEvPT_PKS2_PKT0_S8_ifPKiSA_iPKfiiiSC_SC_iiiii ; -- Begin function _ZN4vllm25paged_attention_v1_kernelIttLi64ELi16ELi128ELNS_18Fp8KVCacheDataTypeE0ELb1EEEvPT_PKS2_PKT0_S8_ifPKiSA_iPKfiiiSC_SC_iiiii
	.globl	_ZN4vllm25paged_attention_v1_kernelIttLi64ELi16ELi128ELNS_18Fp8KVCacheDataTypeE0ELb1EEEvPT_PKS2_PKT0_S8_ifPKiSA_iPKfiiiSC_SC_iiiii
	.p2align	8
	.type	_ZN4vllm25paged_attention_v1_kernelIttLi64ELi16ELi128ELNS_18Fp8KVCacheDataTypeE0ELb1EEEvPT_PKS2_PKT0_S8_ifPKiSA_iPKfiiiSC_SC_iiiii,@function
_ZN4vllm25paged_attention_v1_kernelIttLi64ELi16ELi128ELNS_18Fp8KVCacheDataTypeE0ELb1EEEvPT_PKS2_PKT0_S8_ifPKiSA_iPKfiiiSC_SC_iiiii: ; @_ZN4vllm25paged_attention_v1_kernelIttLi64ELi16ELi128ELNS_18Fp8KVCacheDataTypeE0ELb1EEEvPT_PKS2_PKT0_S8_ifPKiSA_iPKfiiiSC_SC_iiiii
; %bb.0:
	s_load_b64 s[22:23], s[0:1], 0x20
	s_bfe_u32 s3, ttmp6, 0x4000c
	s_bfe_u32 s4, ttmp6, 0x40010
	s_and_b32 s6, ttmp7, 0xffff
	s_add_co_i32 s3, s3, 1
	s_add_co_i32 s4, s4, 1
	s_and_b32 s2, ttmp6, 15
	s_bfe_u32 s5, ttmp6, 0x40004
	s_mul_i32 s3, ttmp9, s3
	s_mul_i32 s4, s6, s4
	s_getreg_b32 s28, hwreg(HW_REG_IB_STS2, 6, 4)
	s_add_co_i32 s2, s2, s3
	s_add_co_i32 s3, s5, s4
	s_cmp_eq_u32 s28, 0
	s_clause 0x1
	s_load_b32 s29, s[0:1], 0x80
	s_load_b64 s[4:5], s[0:1], 0x30
	s_cselect_b32 s30, s6, s3
	s_cselect_b32 s2, ttmp9, s2
	s_mov_b32 s17, 0
	s_delay_alu instid0(SALU_CYCLE_1) | instskip(SKIP_2) | instid1(SALU_CYCLE_1)
	s_mov_b32 s35, s17
	s_wait_kmcnt 0x0
	s_abs_i32 s3, s22
	s_cvt_f32_u32 s6, s3
	s_sub_co_i32 s7, 0, s3
	s_delay_alu instid0(SALU_CYCLE_2) | instskip(SKIP_2) | instid1(TRANS32_DEP_1)
	v_rcp_iflag_f32_e32 v1, s6
	s_abs_i32 s8, s29
	v_nop
	v_readfirstlane_b32 s6, v1
	s_mul_f32 s6, s6, 0x4f7ffffe
	s_delay_alu instid0(SALU_CYCLE_3) | instskip(NEXT) | instid1(SALU_CYCLE_3)
	s_cvt_u32_f32 s6, s6
	s_mul_i32 s7, s7, s6
	s_delay_alu instid0(SALU_CYCLE_1) | instskip(NEXT) | instid1(SALU_CYCLE_1)
	s_mul_hi_u32 s7, s6, s7
	s_add_co_i32 s6, s6, s7
	s_xor_b32 s7, s29, s22
	s_mul_hi_u32 s6, s8, s6
	s_ashr_i32 s7, s7, 31
	s_mul_i32 s9, s6, s3
	s_delay_alu instid0(SALU_CYCLE_1)
	s_sub_co_i32 s8, s8, s9
	s_add_co_i32 s9, s6, 1
	s_sub_co_i32 s10, s8, s3
	s_cmp_ge_u32 s8, s3
	s_cselect_b32 s6, s9, s6
	s_cselect_b32 s8, s10, s8
	s_add_co_i32 s9, s6, 1
	s_cmp_ge_u32 s8, s3
	s_cselect_b32 s3, s9, s6
	s_load_b64 s[8:9], s[0:1], 0x40
	s_xor_b32 s3, s3, s7
	s_abs_i32 s16, s2
	s_sub_co_i32 s10, s3, s7
	s_mov_b32 s7, s17
	s_abs_i32 s15, s10
	s_delay_alu instid0(SALU_CYCLE_1) | instskip(SKIP_1) | instid1(SALU_CYCLE_2)
	s_cvt_f32_u32 s3, s15
	s_sub_co_i32 s6, 0, s15
	v_rcp_iflag_f32_e32 v1, s3
	v_nop
	s_delay_alu instid0(TRANS32_DEP_1) | instskip(SKIP_1) | instid1(SALU_CYCLE_3)
	v_readfirstlane_b32 s3, v1
	s_mul_f32 s3, s3, 0x4f7ffffe
	s_cvt_u32_f32 s3, s3
	s_delay_alu instid0(SALU_CYCLE_3) | instskip(NEXT) | instid1(SALU_CYCLE_1)
	s_mul_i32 s6, s6, s3
	s_mul_hi_u32 s6, s3, s6
	s_delay_alu instid0(SALU_CYCLE_1)
	s_add_co_i32 s6, s3, s6
	s_wait_kmcnt 0x0
	s_cmp_eq_u64 s[8:9], 0
	s_cbranch_scc1 .LBB73_2
; %bb.1:
	s_ashr_i32 s3, s2, 31
	s_delay_alu instid0(SALU_CYCLE_1) | instskip(NEXT) | instid1(SALU_CYCLE_1)
	s_lshl_b64 s[12:13], s[2:3], 2
	s_add_nc_u64 s[8:9], s[8:9], s[12:13]
	s_load_b32 s35, s[8:9], 0x0
.LBB73_2:
	s_load_b32 s31, s[4:5], s30 offset:0x0 scale_offset
	s_load_b96 s[12:14], s[0:1], 0x48
	v_dual_lshrrev_b32 v22, 1, v0 :: v_dual_bitop2_b32 v23, 1, v0 bitop3:0x40
	s_wait_xcnt 0x0
	s_mul_u64 s[4:5], s[16:17], s[6:7]
	s_ashr_i32 s3, s2, 31
	s_ashr_i32 s18, s10, 31
	s_lshl_b32 s6, s2, 6
	s_mov_b32 s4, exec_lo
	v_cmpx_gt_u32_e32 16, v0
	s_cbranch_execz .LBB73_4
; %bb.3:
	s_load_b64 s[8:9], s[0:1], 0x8
	s_wait_kmcnt 0x0
	s_mul_i32 s10, s12, s30
	s_ashr_i32 s7, s6, 31
	s_ashr_i32 s11, s10, 31
	v_lshlrev_b32_e32 v1, 3, v22
	s_lshl_b64 s[10:11], s[10:11], 1
	s_delay_alu instid0(VALU_DEP_1) | instskip(SKIP_2) | instid1(SALU_CYCLE_1)
	v_lshl_add_u32 v1, v23, 6, v1
	s_add_nc_u64 s[8:9], s[8:9], s[10:11]
	s_lshl_b64 s[10:11], s[6:7], 1
	s_add_nc_u64 s[8:9], s[8:9], s[10:11]
	global_load_b64 v[2:3], v0, s[8:9] scale_offset
	s_wait_loadcnt 0x0
	ds_store_b64 v1, v[2:3]
.LBB73_4:
	s_or_b32 exec_lo, exec_lo, s4
	s_load_b128 s[8:11], s[0:1], 0x68
	s_mul_i32 s4, s5, s15
	s_xor_b32 s3, s3, s18
	s_sub_co_i32 s4, s16, s4
	s_add_co_i32 s7, s5, 1
	s_wait_kmcnt 0x0
	s_sub_co_i32 s12, s4, s15
	s_cmp_ge_u32 s4, s15
	s_mov_b32 s18, -1
	s_cselect_b32 s5, s7, s5
	s_cselect_b32 s4, s12, s4
	s_add_co_i32 s12, s5, 1
	s_cmp_ge_u32 s4, s15
	s_load_b32 s7, s[0:1], 0x78
	s_cselect_b32 s4, s12, s5
	s_add_co_i32 s15, s31, -1
	s_xor_b32 s4, s4, s3
	s_wait_dscnt 0x0
	s_sub_co_i32 s3, s4, s3
	s_barrier_signal -1
	s_barrier_wait -1
	s_abs_i32 s12, s11
	s_delay_alu instid0(SALU_CYCLE_1) | instskip(NEXT) | instid1(SALU_CYCLE_3)
	s_cvt_f32_u32 s5, s12
                                        ; implicit-def: $sgpr33
	v_rcp_iflag_f32_e32 v1, s5
	v_nop
	s_delay_alu instid0(TRANS32_DEP_1) | instskip(SKIP_1) | instid1(SALU_CYCLE_3)
	v_readfirstlane_b32 s5, v1
	s_mul_f32 s4, s5, 0x4f7ffffe
	s_cvt_u32_f32 s16, s4
	s_sub_co_i32 s4, 0, s12
	s_delay_alu instid0(SALU_CYCLE_2)
	s_mul_i32 s5, s4, s16
	s_abs_i32 s4, s15
	s_mul_hi_u32 s17, s16, s5
	s_mov_b32 s5, 0
	s_add_co_i32 s16, s16, s17
	s_wait_kmcnt 0x0
	s_cmp_lt_i32 s7, 0
	s_mov_b32 s17, s5
	s_cbranch_scc0 .LBB73_6
; %bb.5:
	s_mul_i32 s18, s8, s22
	s_delay_alu instid0(SALU_CYCLE_1) | instskip(NEXT) | instid1(SALU_CYCLE_1)
	s_add_co_i32 s18, s3, s18
	s_mul_i32 s18, s18, s7
	s_delay_alu instid0(SALU_CYCLE_1)
	s_sub_co_i32 s33, 1, s18
	s_mov_b32 s18, s5
.LBB73_6:
	s_ashr_i32 s15, s15, 31
	s_ashr_i32 s11, s11, 31
	s_and_not1_b32 vcc_lo, exec_lo, s18
	s_mul_u64 s[24:25], s[4:5], s[16:17]
	s_cbranch_vccnz .LBB73_8
; %bb.7:
	s_mul_i32 s5, s29, s8
	s_delay_alu instid0(SALU_CYCLE_1) | instskip(NEXT) | instid1(SALU_CYCLE_1)
	s_add_co_i32 s2, s5, s2
	s_mul_i32 s2, s2, s7
	s_delay_alu instid0(SALU_CYCLE_1)
	s_add_co_i32 s33, s2, 1
.LBB73_8:
	s_load_b32 s2, s[0:1], 0x38
	s_mul_i32 s7, s25, s12
	s_xor_b32 s5, s15, s11
	s_sub_co_i32 s4, s4, s7
	s_add_co_i32 s8, s25, 1
	s_clause 0x1
	s_load_b64 s[18:19], s[0:1], 0x28
	s_load_b32 s7, s[0:1], 0x88
	v_dual_lshrrev_b32 v24, 5, v0 :: v_dual_lshlrev_b32 v7, 3, v0
	v_dual_mov_b32 v28, 0xff7fffff :: v_dual_lshrrev_b32 v1, 3, v0
	v_mbcnt_lo_u32_b32 v25, -1, 0
	s_delay_alu instid0(VALU_DEP_3)
	v_lshlrev_b32_e32 v6, 4, v24
	s_mul_i32 s14, s3, s14
	s_wait_kmcnt 0x0
	s_mul_i32 s20, s2, s30
	s_sub_co_i32 s2, s4, s12
	s_ashr_i32 s21, s20, 31
	s_cmp_ge_u32 s4, s12
	s_cselect_b32 s8, s8, s25
	s_cselect_b32 s2, s2, s4
	s_add_co_i32 s4, s8, 1
	s_cmp_ge_u32 s2, s12
	s_cselect_b32 s2, s4, s8
	s_add_co_i32 s4, s31, 15
	s_delay_alu instid0(SALU_CYCLE_1) | instskip(NEXT) | instid1(SALU_CYCLE_1)
	s_ashr_i32 s8, s4, 31
	s_lshr_b32 s8, s8, 28
	s_delay_alu instid0(SALU_CYCLE_1) | instskip(NEXT) | instid1(SALU_CYCLE_1)
	s_add_co_i32 s4, s4, s8
	s_ashr_i32 s34, s4, 4
	s_xor_b32 s4, s2, s5
	v_cmp_gt_i32_e64 s2, s34, v24
	s_sub_co_i32 s8, s4, s5
	s_and_saveexec_b32 s22, s2
	s_cbranch_execz .LBB73_20
; %bb.9:
	s_load_b64 s[4:5], s[0:1], 0x10
	s_ashr_i32 s15, s14, 31
	s_sub_co_i32 s36, s8, s9
	s_ashr_i32 s25, s13, 31
	s_lshl_b64 s[38:39], s[14:15], 1
	s_cmp_neq_f32 s35, 0
	v_bfe_u32 v26, v0, 1, 4
	v_dual_mov_b32 v3, 0 :: v_dual_lshlrev_b32 v27, 6, v23
	s_cselect_b32 vcc_lo, -1, 0
	s_abs_i32 s15, s10
	s_delay_alu instid0(VALU_DEP_2)
	v_lshlrev_b32_e32 v2, 4, v26
	s_cvt_f32_u32 s3, s15
	v_subrev_nc_u32_e32 v8, s31, v26
	v_lshlrev_b32_e32 v9, 2, v26
	s_sub_co_i32 s26, 0, s15
	v_rcp_iflag_f32_e32 v4, s3
	v_cmp_eq_u32_e64 s3, 0, v23
	v_xor_b32_e32 v32, 1, v25
	v_lshl_or_b32 v9, v24, 6, v9
	s_wait_kmcnt 0x0
	s_add_nc_u64 s[4:5], s[4:5], s[38:39]
	v_dual_mov_b32 v28, 0xff7fffff :: v_dual_add_nc_u32 v29, 1, v8
	v_readfirstlane_b32 s24, v4
	v_add_nc_u64_e32 v[4:5], s[4:5], v[2:3]
	v_and_b32_e32 v2, 8, v7
	s_lshl_b64 s[4:5], s[20:21], 2
	v_dual_mov_b32 v33, v24 :: v_dual_add_nc_u32 v30, 0xa0, v9
	s_mul_f32 s24, s24, 0x4f7ffffe
	s_add_nc_u64 s[4:5], s[18:19], s[4:5]
	s_delay_alu instid0(VALU_DEP_3)
	v_add_nc_u64_e32 v[4:5], v[4:5], v[2:3]
	v_and_b32_e32 v2, 0x7c, v1
	s_cvt_u32_f32 s37, s24
	v_mov_b32_e32 v31, 0xff7fffff
	s_mov_b32 s27, 0
	s_mov_b32 s24, s13
	v_add_nc_u64_e32 v[8:9], s[4:5], v[2:3]
	s_mul_i32 s26, s26, s37
	v_lshlrev_b32_e32 v2, 4, v24
	s_mul_hi_u32 s4, s37, s26
	s_delay_alu instid0(SALU_CYCLE_1)
	s_add_co_i32 s26, s37, s4
	s_mov_b32 s37, s27
	s_branch .LBB73_12
.LBB73_10:                              ;   in Loop: Header=BB73_12 Depth=1
	s_or_b32 exec_lo, exec_lo, s38
.LBB73_11:                              ;   in Loop: Header=BB73_12 Depth=1
	s_delay_alu instid0(SALU_CYCLE_1) | instskip(SKIP_3) | instid1(VALU_DEP_3)
	s_or_b32 exec_lo, exec_lo, s5
	v_dual_add_nc_u32 v33, 4, v33 :: v_dual_add_nc_u32 v2, 64, v2
	v_add_nc_u64_e32 v[8:9], 16, v[8:9]
	v_add_nc_u32_e32 v30, 0x100, v30
	v_cmp_le_i32_e64 s4, s34, v33
	s_or_b32 s37, s4, s37
	s_delay_alu instid0(SALU_CYCLE_1)
	s_and_not1_b32 exec_lo, exec_lo, s37
	s_cbranch_execz .LBB73_19
.LBB73_12:                              ; =>This Inner Loop Header: Depth=1
	s_wait_dscnt 0x0
	v_mul_u64_e32 v[10:11], s[16:17], v[2:3]
	s_delay_alu instid0(VALU_DEP_1) | instskip(NEXT) | instid1(VALU_DEP_1)
	v_mul_lo_u32 v10, v11, s12
	v_dual_add_nc_u32 v12, 1, v11 :: v_dual_sub_nc_u32 v10, v2, v10
	s_delay_alu instid0(VALU_DEP_1) | instskip(SKIP_1) | instid1(VALU_DEP_1)
	v_subrev_nc_u32_e32 v13, s12, v10
	v_cmp_le_u32_e64 s4, s12, v10
	v_dual_cndmask_b32 v11, v11, v12, s4 :: v_dual_cndmask_b32 v10, v10, v13, s4
	s_delay_alu instid0(VALU_DEP_1) | instskip(NEXT) | instid1(VALU_DEP_2)
	v_add_nc_u32_e32 v12, 1, v11
	v_cmp_le_u32_e64 s4, s12, v10
	s_delay_alu instid0(VALU_DEP_1) | instskip(NEXT) | instid1(VALU_DEP_1)
	v_cndmask_b32_e64 v10, v11, v12, s4
	v_dual_mov_b32 v11, v3 :: v_dual_bitop2_b32 v10, s11, v10 bitop3:0x14
	s_delay_alu instid0(VALU_DEP_1) | instskip(NEXT) | instid1(VALU_DEP_1)
	v_subrev_nc_u32_e32 v14, s11, v10
	v_add_nc_u32_e32 v15, s33, v14
	v_cmp_ge_i32_e64 s5, s36, v14
	s_delay_alu instid0(VALU_DEP_2) | instskip(NEXT) | instid1(VALU_DEP_1)
	v_sub_nc_u32_e32 v10, 0, v15
	v_max_i32_e32 v10, v15, v10
	s_delay_alu instid0(VALU_DEP_1) | instskip(SKIP_1) | instid1(VALU_DEP_2)
	v_mul_u64_e32 v[12:13], s[26:27], v[10:11]
	v_ashrrev_i32_e32 v12, 31, v15
	v_mul_lo_u32 v11, v13, s15
	s_delay_alu instid0(VALU_DEP_1) | instskip(NEXT) | instid1(VALU_DEP_1)
	v_sub_nc_u32_e32 v10, v10, v11
	v_subrev_nc_u32_e32 v11, s15, v10
	v_cmp_le_u32_e64 s4, s15, v10
	s_delay_alu instid0(VALU_DEP_1) | instskip(NEXT) | instid1(VALU_DEP_1)
	v_cndmask_b32_e64 v10, v10, v11, s4
	v_subrev_nc_u32_e32 v11, s15, v10
	v_cmp_le_u32_e64 s4, s15, v10
	s_delay_alu instid0(VALU_DEP_1) | instskip(NEXT) | instid1(VALU_DEP_1)
	v_cndmask_b32_e64 v10, v10, v11, s4
	v_xor_b32_e32 v10, v10, v12
	s_delay_alu instid0(VALU_DEP_1) | instskip(NEXT) | instid1(VALU_DEP_1)
	v_sub_nc_u32_e32 v10, v10, v12
	v_cmp_ne_u32_e64 s4, 0, v10
	s_and_b32 s4, s4, s5
	s_delay_alu instid0(SALU_CYCLE_1) | instskip(NEXT) | instid1(SALU_CYCLE_1)
	s_and_saveexec_b32 s5, s4
	s_xor_b32 s4, exec_lo, s5
	s_cbranch_execz .LBB73_16
; %bb.13:                               ;   in Loop: Header=BB73_12 Depth=1
	s_and_saveexec_b32 s5, s3
; %bb.14:                               ;   in Loop: Header=BB73_12 Depth=1
	ds_store_b32 v30, v31
; %bb.15:                               ;   in Loop: Header=BB73_12 Depth=1
	s_or_b32 exec_lo, exec_lo, s5
.LBB73_16:                              ;   in Loop: Header=BB73_12 Depth=1
	s_and_not1_saveexec_b32 s5, s4
	s_cbranch_execz .LBB73_11
; %bb.17:                               ;   in Loop: Header=BB73_12 Depth=1
	global_load_b32 v10, v[8:9], off
	v_cmp_gt_i32_e64 s4, 32, v32
	s_wait_loadcnt 0x0
	v_ashrrev_i32_e32 v11, 31, v10
	s_delay_alu instid0(VALU_DEP_1) | instskip(NEXT) | instid1(VALU_DEP_1)
	v_mul_u64_e32 v[10:11], s[24:25], v[10:11]
	v_lshl_add_u64 v[20:21], v[10:11], 1, v[4:5]
	s_clause 0x7
	global_load_b64 v[36:37], v[20:21], off
	global_load_b64 v[42:43], v[20:21], off offset:256
	global_load_b64 v[50:51], v[20:21], off offset:512
	global_load_b64 v[18:19], v[20:21], off offset:768
	global_load_b64 v[16:17], v[20:21], off offset:1024
	global_load_b64 v[14:15], v[20:21], off offset:1280
	global_load_b64 v[12:13], v[20:21], off offset:1536
	global_load_b64 v[10:11], v[20:21], off offset:1792
	s_wait_xcnt 0x0
	ds_load_b64 v[20:21], v27
	s_wait_dscnt 0x0
	v_and_b32_e32 v34, 0xffff, v20
	v_dual_lshrrev_b32 v20, 16, v20 :: v_dual_lshrrev_b32 v40, 16, v21
	v_and_b32_e32 v21, 0xffff, v21
	;;#ASMSTART
	v_cvt_f32_f16 v34, v34;
	;;#ASMEND
	;;#ASMSTART
	v_cvt_f32_f16 v35, v20;
	;;#ASMEND
	s_wait_loadcnt 0x7
	v_and_b32_e32 v38, 0xffff, v36
	v_dual_lshrrev_b32 v36, 16, v36 :: v_dual_lshrrev_b32 v20, 16, v37
	s_wait_loadcnt 0x6
	v_lshrrev_b32_e32 v44, 16, v42
	v_and_b32_e32 v41, 0xffff, v37
	;;#ASMSTART
	v_cvt_f32_f16 v38, v38;
	;;#ASMEND
	;;#ASMSTART
	v_cvt_f32_f16 v39, v36;
	;;#ASMEND
	;; [unrolled: 3-line block ×6, first 2 shown]
	ds_load_b64 v[20:21], v27 offset:8
	v_and_b32_e32 v45, 0xffff, v42
	v_lshrrev_b32_e32 v49, 16, v43
	v_and_b32_e32 v48, 0xffff, v43
	s_wait_loadcnt 0x5
	v_lshrrev_b32_e32 v53, 16, v51
	v_and_b32_e32 v51, 0xffff, v51
	s_wait_loadcnt 0x3
	;; [unrolled: 3-line block ×3, first 2 shown]
	v_lshrrev_b32_e32 v80, 16, v12
	v_and_b32_e32 v12, 0xffff, v12
	s_wait_dscnt 0x0
	v_and_b32_e32 v42, 0xffff, v20
	v_dual_lshrrev_b32 v20, 16, v20 :: v_dual_lshrrev_b32 v52, 16, v21
	v_and_b32_e32 v21, 0xffff, v21
	;;#ASMSTART
	v_cvt_f32_f16 v42, v42;
	;;#ASMEND
	;;#ASMSTART
	v_cvt_f32_f16 v43, v20;
	;;#ASMEND
	;;#ASMSTART
	v_cvt_f32_f16 v46, v45;
	;;#ASMEND
	;;#ASMSTART
	v_cvt_f32_f16 v47, v44;
	;;#ASMEND
	;;#ASMSTART
	v_cvt_f32_f16 v44, v21;
	;;#ASMEND
	;;#ASMSTART
	v_cvt_f32_f16 v45, v52;
	;;#ASMEND
	;;#ASMSTART
	v_cvt_f32_f16 v48, v48;
	;;#ASMEND
	;;#ASMSTART
	v_cvt_f32_f16 v49, v49;
	;;#ASMEND
	ds_load_b64 v[20:21], v27 offset:16
	v_lshrrev_b32_e32 v52, 16, v50
	v_and_b32_e32 v50, 0xffff, v50
	v_lshrrev_b32_e32 v81, 16, v13
	v_and_b32_e32 v13, 0xffff, v13
	s_wait_dscnt 0x0
	v_and_b32_e32 v54, 0xffff, v20
	v_dual_lshrrev_b32 v20, 16, v20 :: v_dual_lshrrev_b32 v55, 16, v21
	v_and_b32_e32 v21, 0xffff, v21
	;;#ASMSTART
	v_cvt_f32_f16 v54, v54;
	;;#ASMEND
	;;#ASMSTART
	v_cvt_f32_f16 v56, v20;
	;;#ASMEND
	;;#ASMSTART
	v_cvt_f32_f16 v57, v50;
	;;#ASMEND
	;;#ASMSTART
	v_cvt_f32_f16 v52, v52;
	;;#ASMEND
	;;#ASMSTART
	v_cvt_f32_f16 v58, v21;
	;;#ASMEND
	;;#ASMSTART
	v_cvt_f32_f16 v50, v55;
	;;#ASMEND
	;;#ASMSTART
	v_cvt_f32_f16 v55, v51;
	;;#ASMEND
	;;#ASMSTART
	v_cvt_f32_f16 v51, v53;
	;;#ASMEND
	ds_load_b64 v[20:21], v27 offset:24
	v_lshrrev_b32_e32 v53, 16, v18
	v_and_b32_e32 v18, 0xffff, v18
	;; [unrolled: 33-line block ×3, first 2 shown]
	s_wait_dscnt 0x0
	v_and_b32_e32 v66, 0xffff, v18
	v_dual_lshrrev_b32 v18, 16, v18 :: v_dual_lshrrev_b32 v67, 16, v19
	v_and_b32_e32 v19, 0xffff, v19
	;;#ASMSTART
	v_cvt_f32_f16 v66, v66;
	;;#ASMEND
	;;#ASMSTART
	v_cvt_f32_f16 v68, v18;
	;;#ASMEND
	;;#ASMSTART
	v_cvt_f32_f16 v69, v16;
	;;#ASMEND
	;;#ASMSTART
	v_cvt_f32_f16 v64, v64;
	;;#ASMEND
	;;#ASMSTART
	v_cvt_f32_f16 v70, v19;
	;;#ASMEND
	v_lshrrev_b32_e32 v18, 16, v14
	;;#ASMSTART
	v_cvt_f32_f16 v67, v67;
	;;#ASMEND
	;;#ASMSTART
	v_cvt_f32_f16 v71, v17;
	;;#ASMEND
	;; [unrolled: 3-line block ×3, first 2 shown]
	ds_load_b64 v[16:17], v27 offset:40
	v_and_b32_e32 v14, 0xffff, v14
	v_lshrrev_b32_e32 v19, 16, v15
	v_and_b32_e32 v15, 0xffff, v15
	s_wait_dscnt 0x0
	v_and_b32_e32 v72, 0xffff, v16
	v_dual_lshrrev_b32 v73, 16, v17 :: v_dual_lshrrev_b32 v16, 16, v16
	v_and_b32_e32 v17, 0xffff, v17
	;;#ASMSTART
	v_cvt_f32_f16 v72, v72;
	;;#ASMEND
	;;#ASMSTART
	v_cvt_f32_f16 v74, v16;
	;;#ASMEND
	;; [unrolled: 3-line block ×8, first 2 shown]
	ds_load_b64 v[14:15], v27 offset:48
	v_dual_mul_f32 v16, v42, v46 :: v_dual_mul_f32 v17, v43, v47
	v_dual_mul_f32 v18, v44, v48 :: v_dual_mul_f32 v19, v45, v49
	s_delay_alu instid0(VALU_DEP_2) | instskip(SKIP_1) | instid1(VALU_DEP_2)
	v_dual_fmac_f32 v16, v34, v38 :: v_dual_fmac_f32 v17, v35, v39
	s_wait_loadcnt 0x0
	v_dual_lshrrev_b32 v34, 16, v10 :: v_dual_fmac_f32 v18, v36, v40
	s_delay_alu instid0(VALU_DEP_3) | instskip(NEXT) | instid1(VALU_DEP_3)
	v_fmac_f32_e32 v19, v37, v41
	v_dual_fmac_f32 v16, v54, v57 :: v_dual_fmac_f32 v17, v56, v52
	v_and_b32_e32 v10, 0xffff, v10
	s_delay_alu instid0(VALU_DEP_4) | instskip(NEXT) | instid1(VALU_DEP_3)
	v_fmac_f32_e32 v18, v58, v55
	v_dual_fmac_f32 v19, v50, v51 :: v_dual_fmac_f32 v16, v60, v62
	s_delay_alu instid0(VALU_DEP_2)
	v_dual_fmac_f32 v17, v20, v53 :: v_dual_fmac_f32 v18, v21, v63
	s_wait_dscnt 0x0
	v_and_b32_e32 v35, 0xffff, v14
	v_dual_lshrrev_b32 v14, 16, v14 :: v_dual_lshrrev_b32 v36, 16, v15
	v_and_b32_e32 v15, 0xffff, v15
	;;#ASMSTART
	v_cvt_f32_f16 v35, v35;
	;;#ASMEND
	;;#ASMSTART
	v_cvt_f32_f16 v14, v14;
	;;#ASMEND
	;; [unrolled: 3-line block ×8, first 2 shown]
	ds_load_b64 v[12:13], v27 offset:56
	v_dual_fmac_f32 v19, v61, v59 :: v_dual_fmac_f32 v17, v68, v64
	v_fmac_f32_e32 v16, v66, v69
	v_fmac_f32_e32 v18, v70, v71
	s_delay_alu instid0(VALU_DEP_3) | instskip(NEXT) | instid1(VALU_DEP_3)
	v_dual_fmac_f32 v19, v67, v65 :: v_dual_lshrrev_b32 v20, 16, v11
	v_dual_fmac_f32 v17, v74, v76 :: v_dual_fmac_f32 v16, v72, v75
	s_delay_alu instid0(VALU_DEP_3) | instskip(SKIP_1) | instid1(VALU_DEP_3)
	v_fmac_f32_e32 v18, v77, v78
	v_and_b32_e32 v11, 0xffff, v11
	v_dual_fmac_f32 v19, v73, v79 :: v_dual_fmac_f32 v17, v14, v38
	s_delay_alu instid0(VALU_DEP_4) | instskip(NEXT) | instid1(VALU_DEP_4)
	v_fmac_f32_e32 v16, v35, v37
	v_fmac_f32_e32 v18, v15, v39
	s_wait_dscnt 0x0
	v_and_b32_e32 v14, 0xffff, v12
	v_dual_lshrrev_b32 v12, 16, v12 :: v_dual_lshrrev_b32 v15, 16, v13
	;;#ASMSTART
	v_cvt_f32_f16 v14, v14;
	;;#ASMEND
	;;#ASMSTART
	v_cvt_f32_f16 v12, v12;
	;;#ASMEND
	;; [unrolled: 3-line block ×3, first 2 shown]
	v_dual_fmac_f32 v19, v36, v40 :: v_dual_fmac_f32 v16, v14, v10
	v_and_b32_e32 v13, 0xffff, v13
	;;#ASMSTART
	v_cvt_f32_f16 v21, v34;
	;;#ASMEND
	;;#ASMSTART
	v_cvt_f32_f16 v10, v13;
	;;#ASMEND
	v_fmac_f32_e32 v17, v12, v21
	;;#ASMSTART
	v_cvt_f32_f16 v12, v15;
	;;#ASMEND
	;;#ASMSTART
	v_cvt_f32_f16 v11, v11;
	;;#ASMEND
	v_fmac_f32_e32 v18, v10, v11
	;;#ASMSTART
	v_cvt_f32_f16 v11, v20;
	;;#ASMEND
	v_add_f32_e32 v10, v16, v17
	v_dual_fmac_f32 v19, v12, v11 :: v_dual_cndmask_b32 v11, v25, v32, s4
	s_delay_alu instid0(VALU_DEP_1) | instskip(NEXT) | instid1(VALU_DEP_1)
	v_dual_add_f32 v10, v10, v18 :: v_dual_lshlrev_b32 v11, 2, v11
	v_add_f32_e32 v10, v19, v10
	ds_bpermute_b32 v11, v11, v10
	s_and_saveexec_b32 s38, s3
	s_cbranch_execz .LBB73_10
; %bb.18:                               ;   in Loop: Header=BB73_12 Depth=1
	s_wait_dscnt 0x0
	v_dual_add_nc_u32 v12, v29, v2 :: v_dual_add_f32 v10, v10, v11
	s_delay_alu instid0(VALU_DEP_1) | instskip(NEXT) | instid1(VALU_DEP_1)
	v_cvt_f32_i32_e32 v12, v12
	v_mul_f32_e32 v12, s35, v12
	s_delay_alu instid0(VALU_DEP_1) | instskip(NEXT) | instid1(VALU_DEP_1)
	v_cndmask_b32_e32 v11, 0, v12, vcc_lo
	v_fmac_f32_e32 v11, s23, v10
	v_add_nc_u32_e32 v10, v26, v2
	s_delay_alu instid0(VALU_DEP_1) | instskip(NEXT) | instid1(VALU_DEP_1)
	v_cmp_gt_i32_e64 s4, s31, v10
	v_dual_max_num_f32 v12, v28, v28 :: v_dual_cndmask_b32 v10, 0, v11, s4
	s_delay_alu instid0(VALU_DEP_1)
	v_max_num_f32_e32 v12, v12, v11
	ds_store_b32 v30, v10
	v_cndmask_b32_e64 v28, v28, v12, s4
	s_branch .LBB73_10
.LBB73_19:
	s_or_b32 exec_lo, exec_lo, s37
.LBB73_20:
	s_delay_alu instid0(SALU_CYCLE_1)
	s_or_b32 exec_lo, exec_lo, s22
	v_dual_max_num_f32 v5, v28, v28 :: v_dual_bitop2_b32 v2, 16, v25 bitop3:0x14
	s_clause 0x1
	s_load_b64 s[4:5], s[0:1], 0x0
	s_load_b64 s[22:23], s[0:1], 0x18
	v_xor_b32_e32 v4, 8, v25
	v_xor_b32_e32 v8, 4, v25
	v_cmp_gt_i32_e32 vcc_lo, 32, v2
	v_dual_cndmask_b32 v2, v25, v2, vcc_lo :: v_dual_bitop2_b32 v19, 31, v0 bitop3:0x40
	s_delay_alu instid0(VALU_DEP_4) | instskip(NEXT) | instid1(VALU_DEP_2)
	v_cmp_gt_i32_e32 vcc_lo, 32, v4
	v_dual_cndmask_b32 v4, v25, v4 :: v_dual_lshlrev_b32 v3, 2, v2
	v_cmp_gt_i32_e32 vcc_lo, 32, v8
	ds_bpermute_b32 v2, v3, v28
	s_wait_dscnt 0x0
	v_dual_lshlrev_b32 v4, 2, v4 :: v_dual_max_num_f32 v2, v2, v2
	s_delay_alu instid0(VALU_DEP_1) | instskip(SKIP_3) | instid1(VALU_DEP_1)
	v_max_num_f32_e32 v2, v5, v2
	ds_bpermute_b32 v5, v4, v2
	s_wait_dscnt 0x0
	v_max_num_f32_e32 v9, v5, v5
	v_dual_cndmask_b32 v8, v25, v8, vcc_lo :: v_dual_max_num_f32 v2, v2, v9
	s_delay_alu instid0(VALU_DEP_1) | instskip(SKIP_3) | instid1(VALU_DEP_1)
	v_lshlrev_b32_e32 v5, 2, v8
	ds_bpermute_b32 v8, v5, v2
	s_wait_dscnt 0x0
	v_dual_max_num_f32 v8, v8, v8 :: v_dual_bitop2_b32 v9, 2, v25 bitop3:0x14
	v_cmp_gt_i32_e32 vcc_lo, 32, v9
	s_delay_alu instid0(VALU_DEP_2) | instskip(SKIP_2) | instid1(VALU_DEP_3)
	v_dual_cndmask_b32 v10, v25, v9 :: v_dual_max_num_f32 v9, v2, v8
	v_lshlrev_b32_e32 v8, 2, v24
	v_cmp_eq_u32_e32 vcc_lo, 0, v19
	v_lshlrev_b32_e32 v2, 2, v10
	ds_bpermute_b32 v10, v2, v9
	s_wait_xcnt 0x0
	s_and_saveexec_b32 s0, vcc_lo
	s_cbranch_execz .LBB73_22
; %bb.21:
	s_wait_dscnt 0x0
	v_dual_max_num_f32 v10, v10, v10 :: v_dual_max_num_f32 v9, v9, v9
	s_delay_alu instid0(VALU_DEP_1)
	v_max_num_f32_e32 v9, v9, v10
	ds_store_b32 v8, v9 offset:128
.LBB73_22:
	s_or_b32 exec_lo, exec_lo, s0
	v_cmp_gt_u32_e64 s0, 4, v19
	s_wait_dscnt 0x0
	v_dual_mov_b32 v10, 0xff7fffff :: v_dual_lshlrev_b32 v9, 2, v19
	s_barrier_signal -1
	s_barrier_wait -1
	s_and_saveexec_b32 s1, s0
; %bb.23:
	ds_load_b32 v10, v9 offset:128
; %bb.24:
	s_or_b32 exec_lo, exec_lo, s1
	s_wait_dscnt 0x0
	ds_bpermute_b32 v11, v2, v10
	v_dual_max_num_f32 v10, v10, v10 :: v_dual_bitop2_b32 v12, 1, v25 bitop3:0x14
	s_delay_alu instid0(VALU_DEP_1) | instskip(NEXT) | instid1(VALU_DEP_1)
	v_cmp_gt_i32_e64 s1, 32, v12
	v_cndmask_b32_e64 v12, v25, v12, s1
	s_lshl_b32 s1, s34, 4
	s_delay_alu instid0(SALU_CYCLE_1) | instskip(NEXT) | instid1(SALU_CYCLE_1)
	s_min_i32 s15, s1, s31
	v_cmp_gt_i32_e64 s1, s15, v0
	s_wait_dscnt 0x0
	v_dual_max_num_f32 v11, v11, v11 :: v_dual_lshlrev_b32 v20, 2, v12
	s_delay_alu instid0(VALU_DEP_1) | instskip(SKIP_3) | instid1(VALU_DEP_1)
	v_max_num_f32_e32 v10, v10, v11
	ds_bpermute_b32 v11, v20, v10
	s_wait_dscnt 0x0
	v_max_num_f32_e32 v11, v11, v11
	v_dual_max_num_f32 v11, v10, v11 :: v_dual_mov_b32 v10, 0
	ds_bpermute_b32 v11, v10, v11
	s_and_saveexec_b32 s24, s1
	s_cbranch_execz .LBB73_28
; %bb.25:
	v_lshl_add_u32 v12, v0, 2, 0xa0
	v_dual_mov_b32 v10, 0 :: v_dual_mov_b32 v13, v0
	s_mov_b32 s25, 0
.LBB73_26:                              ; =>This Inner Loop Header: Depth=1
	ds_load_b32 v14, v12
	v_add_nc_u32_e32 v13, 0x80, v13
	s_delay_alu instid0(VALU_DEP_1) | instskip(SKIP_3) | instid1(VALU_DEP_1)
	v_cmp_le_i32_e64 s3, s15, v13
	s_or_b32 s25, s3, s25
	s_wait_dscnt 0x0
	v_sub_f32_e32 v14, v14, v11
	v_mul_f32_e32 v14, 0x3fb8aa3b, v14
	s_delay_alu instid0(VALU_DEP_1)
	v_exp_f32_e32 v14, v14
	ds_store_b32 v12, v14
	v_nop
	v_add_f32_e32 v10, v10, v14
	v_add_nc_u32_e32 v12, 0x200, v12
	s_and_not1_b32 exec_lo, exec_lo, s25
	s_cbranch_execnz .LBB73_26
; %bb.27:
	s_or_b32 exec_lo, exec_lo, s25
.LBB73_28:
	s_delay_alu instid0(SALU_CYCLE_1)
	s_or_b32 exec_lo, exec_lo, s24
	ds_bpermute_b32 v3, v3, v10
	s_wait_dscnt 0x0
	v_add_f32_e32 v3, v10, v3
	ds_bpermute_b32 v4, v4, v3
	s_wait_dscnt 0x0
	v_add_f32_e32 v3, v3, v4
	;; [unrolled: 3-line block ×5, first 2 shown]
	s_and_saveexec_b32 s3, vcc_lo
; %bb.29:
	ds_store_b32 v8, v3 offset:144
; %bb.30:
	s_or_b32 exec_lo, exec_lo, s3
	s_wait_dscnt 0x0
	s_barrier_signal -1
	s_barrier_wait -1
	s_and_saveexec_b32 s3, s0
; %bb.31:
	ds_load_b32 v3, v9 offset:144
; %bb.32:
	s_or_b32 exec_lo, exec_lo, s3
	s_wait_dscnt 0x0
	ds_bpermute_b32 v2, v2, v3
	s_wait_dscnt 0x0
	v_dual_mov_b32 v9, 0 :: v_dual_add_f32 v2, v3, v2
	ds_bpermute_b32 v3, v20, v2
	s_wait_dscnt 0x0
	v_add_f32_e32 v2, v2, v3
	ds_bpermute_b32 v2, v9, v2
	s_and_saveexec_b32 s0, s1
	s_cbranch_execz .LBB73_45
; %bb.33:
	s_wait_dscnt 0x0
	v_add_f32_e32 v2, 0x358637bd, v2
	s_mov_b32 s3, -1
	s_mov_b32 s1, exec_lo
	s_delay_alu instid0(VALU_DEP_1) | instskip(NEXT) | instid1(VALU_DEP_1)
	v_div_scale_f32 v3, null, v2, v2, 1.0
	v_rcp_f32_e32 v5, v3
	v_nop
	s_delay_alu instid0(TRANS32_DEP_1) | instskip(NEXT) | instid1(VALU_DEP_1)
	v_fma_f32 v4, -v3, v5, 1.0
	v_fmac_f32_e32 v5, v4, v5
	v_div_scale_f32 v8, vcc_lo, 1.0, v2, 1.0
	s_delay_alu instid0(VALU_DEP_1) | instskip(NEXT) | instid1(VALU_DEP_1)
	v_mul_f32_e32 v10, v8, v5
	v_fma_f32 v4, -v3, v10, v8
	s_delay_alu instid0(VALU_DEP_1) | instskip(SKIP_1) | instid1(VALU_DEP_2)
	v_fmac_f32_e32 v10, v4, v5
	v_xad_u32 v4, v0, -1, s15
	v_fma_f32 v3, -v3, v10, v8
	s_delay_alu instid0(VALU_DEP_1) | instskip(NEXT) | instid1(VALU_DEP_1)
	v_div_fmas_f32 v3, v3, v5, v10
	v_div_fixup_f32 v2, v3, v2, 1.0
	v_mov_b32_e32 v3, v0
	v_cmpx_lt_u32_e32 0x7f, v4
	s_cbranch_execz .LBB73_42
; %bb.34:
	s_delay_alu instid0(VALU_DEP_3) | instskip(NEXT) | instid1(VALU_DEP_1)
	v_dual_mov_b32 v3, v2 :: v_dual_lshrrev_b32 v4, 7, v4
	v_dual_mov_b32 v11, 0 :: v_dual_add_nc_u32 v5, -1, v4
	s_delay_alu instid0(VALU_DEP_1) | instskip(SKIP_1) | instid1(VALU_DEP_2)
	v_lshrrev_b32_e32 v8, 1, v5
	v_cmp_lt_u32_e32 vcc_lo, 13, v5
	v_add_nc_u32_e32 v5, 1, v8
	s_and_saveexec_b32 s3, vcc_lo
	s_cbranch_execz .LBB73_38
; %bb.35:
	s_delay_alu instid0(VALU_DEP_1)
	v_and_b32_e32 v8, -8, v5
	v_lshl_add_u32 v10, v0, 2, 0xa0
	s_mov_b32 s24, 0
	s_mov_b32 s25, 0
.LBB73_36:                              ; =>This Inner Loop Header: Depth=1
	ds_load_2addr_stride64_b32 v[12:13], v10 offset1:2
	ds_load_2addr_stride64_b32 v[14:15], v10 offset0:4 offset1:6
	ds_load_2addr_stride64_b32 v[16:17], v10 offset0:8 offset1:10
	;; [unrolled: 1-line block ×7, first 2 shown]
	s_add_co_i32 s25, s25, 16
	s_delay_alu instid0(SALU_CYCLE_1) | instskip(NEXT) | instid1(VALU_DEP_1)
	v_dual_mov_b32 v11, s25 :: v_dual_add_nc_u32 v8, -8, v8
	v_cmp_eq_u32_e32 vcc_lo, 0, v8
	s_or_b32 s24, vcc_lo, s24
	s_wait_dscnt 0x7
	v_pk_mul_f32 v[12:13], v[2:3], v[12:13]
	s_wait_dscnt 0x6
	v_pk_mul_f32 v[14:15], v[2:3], v[14:15]
	;; [unrolled: 2-line block ×8, first 2 shown]
	ds_store_2addr_stride64_b32 v10, v12, v13 offset1:2
	ds_store_2addr_stride64_b32 v10, v14, v15 offset0:4 offset1:6
	ds_store_2addr_stride64_b32 v10, v16, v17 offset0:8 offset1:10
	;; [unrolled: 1-line block ×7, first 2 shown]
	v_add_nc_u32_e32 v10, 0x2000, v10
	s_and_not1_b32 exec_lo, exec_lo, s24
	s_cbranch_execnz .LBB73_36
; %bb.37:
	s_or_b32 exec_lo, exec_lo, s24
.LBB73_38:
	s_delay_alu instid0(SALU_CYCLE_1) | instskip(NEXT) | instid1(VALU_DEP_1)
	s_or_b32 exec_lo, exec_lo, s3
	v_and_b32_e32 v5, 7, v5
	s_mov_b32 s24, 0
	s_mov_b32 s3, exec_lo
	s_delay_alu instid0(VALU_DEP_1)
	v_cmpx_ne_u32_e32 0, v5
	s_cbranch_execz .LBB73_41
; %bb.39:
	v_dual_lshlrev_b32 v8, 9, v11 :: v_dual_lshlrev_b32 v10, 2, v0
	s_delay_alu instid0(VALU_DEP_1)
	v_add3_u32 v8, v8, v10, 0xa0
.LBB73_40:                              ; =>This Inner Loop Header: Depth=1
	ds_load_2addr_stride64_b32 v[10:11], v8 offset1:2
	v_add_nc_u32_e32 v5, -1, v5
	s_delay_alu instid0(VALU_DEP_1)
	v_cmp_eq_u32_e32 vcc_lo, 0, v5
	s_or_b32 s24, vcc_lo, s24
	s_wait_dscnt 0x0
	v_pk_mul_f32 v[10:11], v[2:3], v[10:11]
	ds_store_2addr_stride64_b32 v8, v10, v11 offset1:2
	v_add_nc_u32_e32 v8, 0x400, v8
	s_and_not1_b32 exec_lo, exec_lo, s24
	s_cbranch_execnz .LBB73_40
.LBB73_41:
	s_or_b32 exec_lo, exec_lo, s3
	v_add_nc_u32_e32 v3, 1, v4
	s_delay_alu instid0(VALU_DEP_1) | instskip(NEXT) | instid1(VALU_DEP_1)
	v_and_b32_e32 v4, 0x3fffffe, v3
	v_cmp_ne_u32_e32 vcc_lo, v3, v4
	v_lshl_add_u32 v3, v4, 7, v0
	s_or_not1_b32 s3, vcc_lo, exec_lo
.LBB73_42:
	s_or_b32 exec_lo, exec_lo, s1
	s_delay_alu instid0(SALU_CYCLE_1)
	s_and_b32 exec_lo, exec_lo, s3
	s_cbranch_execz .LBB73_45
; %bb.43:
	v_lshl_add_u32 v4, v3, 2, 0xa0
	s_mov_b32 s1, 0
.LBB73_44:                              ; =>This Inner Loop Header: Depth=1
	ds_load_b32 v5, v4
	v_add_nc_u32_e32 v3, 0x80, v3
	s_delay_alu instid0(VALU_DEP_1)
	v_cmp_le_i32_e32 vcc_lo, s15, v3
	s_or_b32 s1, vcc_lo, s1
	s_wait_dscnt 0x0
	v_mul_f32_e32 v5, v2, v5
	ds_store_b32 v4, v5
	v_add_nc_u32_e32 v4, 0x200, v4
	s_and_not1_b32 exec_lo, exec_lo, s1
	s_cbranch_execnz .LBB73_44
.LBB73_45:
	s_or_b32 exec_lo, exec_lo, s0
	v_dual_mov_b32 v8, 0 :: v_dual_mov_b32 v11, 0
	v_mov_b32_e32 v10, 0
	s_wait_dscnt 0x0
	s_barrier_signal -1
	s_barrier_wait -1
	s_and_saveexec_b32 s1, s2
	s_cbranch_execz .LBB73_59
; %bb.46:
	s_abs_i32 s10, s10
	v_dual_lshlrev_b32 v4, 4, v0 :: v_dual_bitop2_b32 v21, 8, v7 bitop3:0x40
	s_cvt_f32_u32 s0, s10
	v_mov_b32_e32 v7, 0
	v_and_b32_e32 v2, 0x7c, v1
	v_lshlrev_b32_e32 v1, 5, v23
	v_rcp_iflag_f32_e32 v3, s0
	s_ashr_i32 s15, s14, 31
	v_and_b32_e32 v4, 0x1f0, v4
	v_mov_b32_e32 v5, v7
	s_lshl_b64 s[20:21], s[20:21], 2
	s_lshl_b64 s[14:15], s[14:15], 1
	v_lshl_or_b32 v1, v24, 6, v1
	v_readfirstlane_b32 s0, v3
	v_mov_b32_e32 v3, v7
	s_add_nc_u64 s[18:19], s[18:19], s[20:21]
	s_wait_kmcnt 0x0
	s_add_nc_u64 s[14:15], s[22:23], s[14:15]
	s_sub_co_i32 s24, s8, s9
	s_mul_f32 s0, s0, 0x4f7ffffe
	s_sub_co_i32 s8, 0, s10
	v_add_nc_u64_e32 v[12:13], s[14:15], v[4:5]
	v_add_nc_u64_e32 v[14:15], s[18:19], v[2:3]
	s_cvt_u32_f32 s0, s0
	v_dual_mov_b32 v26, v24 :: v_dual_add_nc_u32 v25, 0xa0, v1
	v_dual_mov_b32 v10, v7 :: v_dual_mov_b32 v11, v7
	s_delay_alu instid0(SALU_CYCLE_1)
	s_mul_i32 s8, s8, s0
	v_dual_mov_b32 v8, v7 :: v_dual_mov_b32 v9, v7
	s_mov_b32 s9, 0
	s_mul_hi_u32 s8, s0, s8
	s_ashr_i32 s3, s13, 31
	s_mov_b32 s2, s13
	s_add_co_i32 s13, s34, -1
	s_mov_b32 s14, s31
	s_add_co_i32 s8, s0, s8
	s_mov_b32 s15, s9
	s_branch .LBB73_49
.LBB73_47:                              ;   in Loop: Header=BB73_49 Depth=1
	s_or_b32 exec_lo, exec_lo, s0
	v_dual_lshlrev_b32 v16, 16, v16 :: v_dual_lshlrev_b32 v1, 16, v1
	s_delay_alu instid0(VALU_DEP_2) | instskip(NEXT) | instid1(VALU_DEP_2)
	v_lshlrev_b32_e32 v17, 16, v17
	v_and_or_b32 v2, 0xffff, v2, v16
	s_delay_alu instid0(VALU_DEP_3) | instskip(NEXT) | instid1(VALU_DEP_3)
	v_and_or_b32 v1, 0xffff, v3, v1
	v_and_or_b32 v3, 0xffff, v4, v17
	;;#ASMSTART
	v_pk_mul_f16 v2, v37, v2;

	;;#ASMEND
	;;#ASMSTART
	v_pk_mul_f16 v1, v36, v1;

	;;#ASMEND
	;;#ASMSTART
	v_pk_mul_f16 v3, v38, v3;

	;;#ASMEND
	;;#ASMSTART
	v_pk_mul_f16 v4, v39, v5;

	;;#ASMEND
	;;#ASMSTART
	v_pk_add_f16 v1, v2, v1;

	;;#ASMEND
	;;#ASMSTART
	v_pk_add_f16 v1, v1, v3;

	;;#ASMEND
	;; [unrolled: 4-line block ×3, first 2 shown]
	v_dual_add_f32 v2, v42, v43 :: v_dual_lshrrev_b32 v5, 16, v1
	v_and_b32_e32 v4, 0xffff, v1
	;;#ASMSTART
	v_cvt_f32_f16 v4, v4;
	;;#ASMEND
	v_dual_add_f32 v1, v18, v35 :: v_dual_add_f32 v3, v40, v41
	s_delay_alu instid0(VALU_DEP_3) | instskip(SKIP_1) | instid1(VALU_DEP_2)
	v_add_f32_e32 v11, v11, v2
	;;#ASMSTART
	v_cvt_f32_f16 v5, v5;
	;;#ASMEND
	v_dual_add_f32 v4, v4, v5 :: v_dual_add_f32 v10, v10, v3
	s_delay_alu instid0(VALU_DEP_1)
	v_dual_add_f32 v8, v8, v1 :: v_dual_add_f32 v9, v9, v4
.LBB73_48:                              ;   in Loop: Header=BB73_49 Depth=1
	s_or_b32 exec_lo, exec_lo, s18
	v_add_nc_u32_e32 v26, 4, v26
	v_add_nc_u64_e32 v[14:15], 16, v[14:15]
	v_add_nc_u32_e32 v6, 64, v6
	v_add_nc_u32_e32 v25, 0x100, v25
	s_delay_alu instid0(VALU_DEP_4) | instskip(SKIP_1) | instid1(SALU_CYCLE_1)
	v_cmp_le_i32_e32 vcc_lo, s34, v26
	s_or_b32 s15, vcc_lo, s15
	s_and_not1_b32 exec_lo, exec_lo, s15
	s_cbranch_execz .LBB73_58
.LBB73_49:                              ; =>This Inner Loop Header: Depth=1
	v_mul_u64_e32 v[2:3], s[16:17], v[6:7]
	s_delay_alu instid0(VALU_DEP_1) | instskip(NEXT) | instid1(VALU_DEP_1)
	v_mul_lo_u32 v1, v3, s12
	v_dual_add_nc_u32 v2, 1, v3 :: v_dual_sub_nc_u32 v1, v6, v1
	s_delay_alu instid0(VALU_DEP_1) | instskip(SKIP_1) | instid1(VALU_DEP_2)
	v_subrev_nc_u32_e32 v4, s12, v1
	v_cmp_le_u32_e32 vcc_lo, s12, v1
	v_dual_cndmask_b32 v2, v3, v2 :: v_dual_cndmask_b32 v1, v1, v4
	s_delay_alu instid0(VALU_DEP_1) | instskip(NEXT) | instid1(VALU_DEP_2)
	v_add_nc_u32_e32 v3, 1, v2
	v_cmp_le_u32_e32 vcc_lo, s12, v1
	s_delay_alu instid0(VALU_DEP_2) | instskip(NEXT) | instid1(VALU_DEP_1)
	v_dual_cndmask_b32 v1, v2, v3, vcc_lo :: v_dual_mov_b32 v3, v7
	v_xor_b32_e32 v1, s11, v1
	s_delay_alu instid0(VALU_DEP_1) | instskip(NEXT) | instid1(VALU_DEP_1)
	v_subrev_nc_u32_e32 v1, s11, v1
	v_add_nc_u32_e32 v16, s33, v1
	v_cmp_lt_i32_e64 s0, s24, v1
	s_delay_alu instid0(VALU_DEP_2) | instskip(NEXT) | instid1(VALU_DEP_1)
	v_sub_nc_u32_e32 v2, 0, v16
	v_max_i32_e32 v2, v16, v2
	s_delay_alu instid0(VALU_DEP_1) | instskip(SKIP_1) | instid1(VALU_DEP_2)
	v_mul_u64_e32 v[4:5], s[8:9], v[2:3]
	v_ashrrev_i32_e32 v4, 31, v16
	v_mul_lo_u32 v3, v5, s10
	s_delay_alu instid0(VALU_DEP_1) | instskip(NEXT) | instid1(VALU_DEP_1)
	v_sub_nc_u32_e32 v2, v2, v3
	v_subrev_nc_u32_e32 v3, s10, v2
	v_cmp_le_u32_e32 vcc_lo, s10, v2
	s_delay_alu instid0(VALU_DEP_2) | instskip(NEXT) | instid1(VALU_DEP_1)
	v_cndmask_b32_e32 v2, v2, v3, vcc_lo
	v_subrev_nc_u32_e32 v3, s10, v2
	v_cmp_le_u32_e32 vcc_lo, s10, v2
	s_delay_alu instid0(VALU_DEP_2) | instskip(NEXT) | instid1(VALU_DEP_1)
	v_cndmask_b32_e32 v2, v2, v3, vcc_lo
	v_xor_b32_e32 v2, v2, v4
	s_delay_alu instid0(VALU_DEP_1) | instskip(NEXT) | instid1(VALU_DEP_1)
	v_sub_nc_u32_e32 v2, v2, v4
	v_cmp_eq_u32_e32 vcc_lo, 0, v2
	s_or_b32 s0, vcc_lo, s0
	s_delay_alu instid0(SALU_CYCLE_1)
	s_and_saveexec_b32 s18, s0
	s_cbranch_execz .LBB73_48
; %bb.50:                               ;   in Loop: Header=BB73_49 Depth=1
	global_load_b32 v2, v[14:15], off
	v_cmp_eq_u32_e32 vcc_lo, s13, v26
	s_wait_loadcnt 0x0
	v_ashrrev_i32_e32 v3, 31, v2
	s_delay_alu instid0(VALU_DEP_1)
	v_mul_u64_e32 v[16:17], s[2:3], v[2:3]
	ds_load_2addr_b64 v[2:5], v25 offset1:1
	ds_load_2addr_b64 v[28:31], v25 offset0:2 offset1:3
	s_wait_dscnt 0x1
	;;#ASMSTART
	v_cvt_f16_f32 v37, v2;

	;;#ASMEND
	;;#ASMSTART
	v_cvt_f16_f32 v36, v3;

	;;#ASMEND
	;; [unrolled: 4-line block ×4, first 2 shown]
	s_wait_dscnt 0x0
	;;#ASMSTART
	v_cvt_f16_f32 v43, v28;

	;;#ASMEND
	;;#ASMSTART
	v_cvt_f16_f32 v38, v29;

	;;#ASMEND
	;; [unrolled: 4-line block ×4, first 2 shown]
	v_lshl_add_u64 v[16:17], v[16:17], 1, v[12:13]
	global_load_b128 v[2:5], v[16:17], off
	s_wait_loadcnt 0x0
	v_dual_add_nc_u32 v31, v21, v6 :: v_dual_lshrrev_b32 v1, 16, v3
	s_delay_alu instid0(VALU_DEP_1)
	v_dual_add_nc_u32 v33, 2, v31 :: v_dual_add_nc_u32 v28, 4, v31
	v_dual_add_nc_u32 v27, 5, v31 :: v_dual_add_nc_u32 v30, 6, v31
	v_dual_add_nc_u32 v29, 7, v31 :: v_dual_bitop2_b32 v34, 3, v31 bitop3:0x54
	v_dual_lshrrev_b32 v18, 16, v2 :: v_dual_lshrrev_b32 v35, 16, v4
	v_or_b32_e32 v32, 1, v31
	s_and_saveexec_b32 s19, vcc_lo
	s_cbranch_execz .LBB73_52
; %bb.51:                               ;   in Loop: Header=BB73_49 Depth=1
	v_cmp_gt_i32_e64 s0, s31, v31
	v_and_b32_e32 v44, 0xffff, v5
	v_and_b32_e32 v5, 0xffff0000, v5
	s_delay_alu instid0(VALU_DEP_3) | instskip(SKIP_1) | instid1(VALU_DEP_1)
	v_cndmask_b32_e64 v2, 0, v2, s0
	v_cmp_gt_i32_e64 s0, s31, v33
	v_cndmask_b32_e64 v3, 0, v3, s0
	v_cmp_gt_i32_e64 s0, s14, v34
	s_delay_alu instid0(VALU_DEP_1) | instskip(SKIP_1) | instid1(VALU_DEP_1)
	v_cndmask_b32_e64 v1, 0, v1, s0
	v_cmp_gt_i32_e64 s0, s31, v32
	v_cndmask_b32_e64 v18, 0, v18, s0
	v_cmp_gt_i32_e64 s0, s31, v30
	s_delay_alu instid0(VALU_DEP_1) | instskip(SKIP_1) | instid1(VALU_DEP_1)
	;; [unrolled: 5-line block ×3, first 2 shown]
	v_dual_cndmask_b32 v4, 0, v4, s0 :: v_dual_bitop2_b32 v5, v44, v5 bitop3:0x54
	v_cmp_gt_i32_e64 s0, s31, v27
	v_cndmask_b32_e64 v35, 0, v35, s0
.LBB73_52:                              ;   in Loop: Header=BB73_49 Depth=1
	s_or_b32 exec_lo, exec_lo, s19
	v_and_b32_e32 v37, 0xffff, v37
	v_and_b32_e32 v42, 0xffff, v42
	v_dual_lshlrev_b32 v18, 16, v18 :: v_dual_lshlrev_b32 v1, 16, v1
	v_lshlrev_b32_e32 v35, 16, v35
	v_and_b32_e32 v43, 0xffff, v43
	v_lshl_or_b32 v37, v36, 16, v37
	v_lshl_or_b32 v36, v40, 16, v42
	v_and_b32_e32 v40, 0xffff, v41
	v_and_or_b32 v2, 0xffff, v2, v18
	v_and_or_b32 v1, 0xffff, v3, v1
	;; [unrolled: 1-line block ×3, first 2 shown]
	;;#ASMSTART
	v_pk_mul_f16 v2, v37, v2;

	;;#ASMEND
	;;#ASMSTART
	v_pk_mul_f16 v1, v36, v1;

	;;#ASMEND
	v_lshl_or_b32 v38, v38, 16, v43
	v_lshl_or_b32 v39, v39, 16, v40
	;;#ASMSTART
	v_pk_mul_f16 v3, v38, v3;

	;;#ASMEND
	;;#ASMSTART
	v_pk_mul_f16 v4, v39, v5;

	;;#ASMEND
	;;#ASMSTART
	v_pk_add_f16 v1, v2, v1;

	;;#ASMEND
	;;#ASMSTART
	v_pk_add_f16 v1, v1, v3;
	;; [unrolled: 4-line block ×3, first 2 shown]

	;;#ASMEND
	v_and_b32_e32 v2, 0xffff, v1
	v_lshrrev_b32_e32 v1, 16, v1
	;;#ASMSTART
	v_cvt_f32_f16 v40, v2;
	;;#ASMEND
	;;#ASMSTART
	v_cvt_f32_f16 v41, v1;
	;;#ASMEND
	global_load_b128 v[2:5], v[16:17], off offset:512
	s_wait_loadcnt 0x0
	v_dual_lshrrev_b32 v1, 16, v3 :: v_dual_lshrrev_b32 v18, 16, v2
	v_lshrrev_b32_e32 v35, 16, v4
	s_and_saveexec_b32 s19, vcc_lo
	s_cbranch_execz .LBB73_54
; %bb.53:                               ;   in Loop: Header=BB73_49 Depth=1
	v_cmp_gt_i32_e64 s0, s31, v31
	v_and_b32_e32 v42, 0xffff, v5
	v_and_b32_e32 v5, 0xffff0000, v5
	s_delay_alu instid0(VALU_DEP_3) | instskip(SKIP_1) | instid1(VALU_DEP_1)
	v_cndmask_b32_e64 v2, 0, v2, s0
	v_cmp_gt_i32_e64 s0, s31, v33
	v_cndmask_b32_e64 v3, 0, v3, s0
	v_cmp_gt_i32_e64 s0, s14, v34
	s_delay_alu instid0(VALU_DEP_1) | instskip(SKIP_1) | instid1(VALU_DEP_1)
	v_cndmask_b32_e64 v1, 0, v1, s0
	v_cmp_gt_i32_e64 s0, s31, v32
	v_cndmask_b32_e64 v18, 0, v18, s0
	v_cmp_gt_i32_e64 s0, s31, v30
	s_delay_alu instid0(VALU_DEP_1) | instskip(SKIP_1) | instid1(VALU_DEP_1)
	;; [unrolled: 5-line block ×3, first 2 shown]
	v_dual_cndmask_b32 v4, 0, v4, s0 :: v_dual_bitop2_b32 v5, v42, v5 bitop3:0x54
	v_cmp_gt_i32_e64 s0, s31, v27
	v_cndmask_b32_e64 v35, 0, v35, s0
.LBB73_54:                              ;   in Loop: Header=BB73_49 Depth=1
	s_or_b32 exec_lo, exec_lo, s19
	v_dual_lshlrev_b32 v18, 16, v18 :: v_dual_lshlrev_b32 v1, 16, v1
	s_delay_alu instid0(VALU_DEP_2) | instskip(NEXT) | instid1(VALU_DEP_2)
	v_lshlrev_b32_e32 v35, 16, v35
	v_and_or_b32 v2, 0xffff, v2, v18
	s_delay_alu instid0(VALU_DEP_3) | instskip(NEXT) | instid1(VALU_DEP_3)
	v_and_or_b32 v1, 0xffff, v3, v1
	v_and_or_b32 v3, 0xffff, v4, v35
	;;#ASMSTART
	v_pk_mul_f16 v2, v37, v2;

	;;#ASMEND
	;;#ASMSTART
	v_pk_mul_f16 v1, v36, v1;

	;;#ASMEND
	;; [unrolled: 4-line block ×4, first 2 shown]
	;;#ASMSTART
	v_pk_add_f16 v1, v2, v1;

	;;#ASMEND
	;;#ASMSTART
	v_pk_add_f16 v1, v1, v3;

	;;#ASMEND
	;;#ASMSTART
	v_pk_add_f16 v1, v1, v4;

	;;#ASMEND
	v_and_b32_e32 v2, 0xffff, v1
	v_lshrrev_b32_e32 v1, 16, v1
	;;#ASMSTART
	v_cvt_f32_f16 v42, v2;
	;;#ASMEND
	;;#ASMSTART
	v_cvt_f32_f16 v43, v1;
	;;#ASMEND
	global_load_b128 v[2:5], v[16:17], off offset:1024
	s_wait_loadcnt 0x0
	v_dual_lshrrev_b32 v1, 16, v3 :: v_dual_lshrrev_b32 v18, 16, v2
	v_lshrrev_b32_e32 v35, 16, v4
	s_and_saveexec_b32 s19, vcc_lo
	s_cbranch_execz .LBB73_56
; %bb.55:                               ;   in Loop: Header=BB73_49 Depth=1
	v_cmp_gt_i32_e64 s0, s31, v31
	v_and_b32_e32 v44, 0xffff, v5
	v_and_b32_e32 v5, 0xffff0000, v5
	s_delay_alu instid0(VALU_DEP_3) | instskip(SKIP_1) | instid1(VALU_DEP_1)
	v_cndmask_b32_e64 v2, 0, v2, s0
	v_cmp_gt_i32_e64 s0, s31, v33
	v_cndmask_b32_e64 v3, 0, v3, s0
	v_cmp_gt_i32_e64 s0, s14, v34
	s_delay_alu instid0(VALU_DEP_1) | instskip(SKIP_1) | instid1(VALU_DEP_1)
	v_cndmask_b32_e64 v1, 0, v1, s0
	v_cmp_gt_i32_e64 s0, s31, v32
	v_cndmask_b32_e64 v18, 0, v18, s0
	v_cmp_gt_i32_e64 s0, s31, v30
	s_delay_alu instid0(VALU_DEP_1) | instskip(SKIP_1) | instid1(VALU_DEP_1)
	;; [unrolled: 5-line block ×3, first 2 shown]
	v_dual_cndmask_b32 v4, 0, v4, s0 :: v_dual_bitop2_b32 v5, v44, v5 bitop3:0x54
	v_cmp_gt_i32_e64 s0, s31, v27
	v_cndmask_b32_e64 v35, 0, v35, s0
.LBB73_56:                              ;   in Loop: Header=BB73_49 Depth=1
	s_or_b32 exec_lo, exec_lo, s19
	v_dual_lshlrev_b32 v18, 16, v18 :: v_dual_lshlrev_b32 v1, 16, v1
	s_delay_alu instid0(VALU_DEP_2) | instskip(NEXT) | instid1(VALU_DEP_2)
	v_lshlrev_b32_e32 v35, 16, v35
	v_and_or_b32 v2, 0xffff, v2, v18
	s_delay_alu instid0(VALU_DEP_3) | instskip(NEXT) | instid1(VALU_DEP_3)
	v_and_or_b32 v1, 0xffff, v3, v1
	v_and_or_b32 v3, 0xffff, v4, v35
	;;#ASMSTART
	v_pk_mul_f16 v2, v37, v2;

	;;#ASMEND
	;;#ASMSTART
	v_pk_mul_f16 v1, v36, v1;

	;;#ASMEND
	;; [unrolled: 4-line block ×4, first 2 shown]
	;;#ASMSTART
	v_pk_add_f16 v1, v2, v1;

	;;#ASMEND
	;;#ASMSTART
	v_pk_add_f16 v1, v1, v3;

	;;#ASMEND
	;; [unrolled: 4-line block ×3, first 2 shown]
	v_and_b32_e32 v2, 0xffff, v1
	v_lshrrev_b32_e32 v1, 16, v1
	;;#ASMSTART
	v_cvt_f32_f16 v18, v2;
	;;#ASMEND
	;;#ASMSTART
	v_cvt_f32_f16 v35, v1;
	;;#ASMEND
	global_load_b128 v[2:5], v[16:17], off offset:1536
	s_wait_loadcnt 0x0
	v_dual_lshrrev_b32 v1, 16, v3 :: v_dual_lshrrev_b32 v16, 16, v2
	v_lshrrev_b32_e32 v17, 16, v4
	s_and_saveexec_b32 s0, vcc_lo
	s_cbranch_execz .LBB73_47
; %bb.57:                               ;   in Loop: Header=BB73_49 Depth=1
	v_cmp_gt_i32_e32 vcc_lo, s31, v31
	v_and_b32_e32 v31, 0xffff, v5
	v_and_b32_e32 v5, 0xffff0000, v5
	v_cndmask_b32_e32 v2, 0, v2, vcc_lo
	v_cmp_gt_i32_e32 vcc_lo, s31, v33
	v_cndmask_b32_e32 v3, 0, v3, vcc_lo
	v_cmp_gt_i32_e32 vcc_lo, s14, v34
	;; [unrolled: 2-line block ×6, first 2 shown]
	s_delay_alu instid0(VALU_DEP_2)
	v_dual_cndmask_b32 v4, 0, v4, vcc_lo :: v_dual_bitop2_b32 v5, v30, v5 bitop3:0x54
	v_cmp_gt_i32_e32 vcc_lo, s31, v27
	v_cndmask_b32_e32 v17, 0, v17, vcc_lo
	s_branch .LBB73_47
.LBB73_58:
	s_or_b32 exec_lo, exec_lo, s15
.LBB73_59:
	s_delay_alu instid0(SALU_CYCLE_1)
	s_or_b32 exec_lo, exec_lo, s1
	ds_bpermute_b32 v2, v20, v10
	ds_bpermute_b32 v3, v20, v11
	;; [unrolled: 1-line block ×4, first 2 shown]
	v_and_b32_e32 v6, 0x3c1, v0
	v_lshrrev_b32_e32 v1, 1, v19
	s_mov_b32 s0, exec_lo
	s_wait_dscnt 0x0
	s_barrier_signal -1
	s_barrier_wait -1
	v_pk_add_f32 v[2:3], v[10:11], v[2:3]
	v_cmpx_ne_u32_e32 64, v6
	s_xor_b32 s0, exec_lo, s0
	s_delay_alu instid0(SALU_CYCLE_1)
	s_or_saveexec_b32 s0, s0
	v_pk_add_f32 v[4:5], v[8:9], v[4:5]
	v_lshl_add_u32 v6, v1, 2, 0xa0
	v_lshlrev_b32_e32 v7, 8, v24
	s_xor_b32 exec_lo, exec_lo, s0
	s_cbranch_execz .LBB73_61
; %bb.60:
	s_delay_alu instid0(VALU_DEP_1) | instskip(NEXT) | instid1(VALU_DEP_1)
	v_add_nc_u32_e32 v8, v6, v7
	v_add_nc_u32_e32 v9, 0xfffffe00, v8
	v_add_nc_u32_e32 v10, 0xfffffe40, v8
	v_add_nc_u32_e32 v11, 0xfffffe80, v8
	v_add_nc_u32_e32 v8, 0xfffffec0, v8
	ds_store_b32 v9, v2
	ds_store_b32 v10, v3
	;; [unrolled: 1-line block ×4, first 2 shown]
.LBB73_61:
	s_or_b32 exec_lo, exec_lo, s0
	v_lshlrev_b32_e32 v1, 2, v1
	s_mov_b32 s1, exec_lo
	v_cmp_eq_u32_e32 vcc_lo, 0, v23
	s_wait_dscnt 0x0
	s_barrier_signal -1
	v_add3_u32 v1, 0xa0, v7, v1
	s_barrier_wait -1
	v_cmpx_gt_u32_e32 64, v0
	s_cbranch_execz .LBB73_68
; %bb.62:
	s_and_saveexec_b32 s0, vcc_lo
	s_cbranch_execnz .LBB73_80
; %bb.63:
	s_or_b32 exec_lo, exec_lo, s0
	s_and_saveexec_b32 s0, vcc_lo
	s_cbranch_execnz .LBB73_81
.LBB73_64:
	s_or_b32 exec_lo, exec_lo, s0
	s_and_saveexec_b32 s0, vcc_lo
	s_cbranch_execnz .LBB73_82
.LBB73_65:
	s_or_b32 exec_lo, exec_lo, s0
	s_and_saveexec_b32 s0, vcc_lo
	s_cbranch_execz .LBB73_67
.LBB73_66:
	ds_load_b32 v7, v1 offset:192
	s_wait_dscnt 0x0
	v_add_f32_e32 v5, v5, v7
.LBB73_67:
	s_or_b32 exec_lo, exec_lo, s0
.LBB73_68:
	s_delay_alu instid0(SALU_CYCLE_1) | instskip(SKIP_4) | instid1(VALU_DEP_1)
	s_or_b32 exec_lo, exec_lo, s1
	v_and_b32_e32 v7, 0x3e1, v0
	s_mov_b32 s1, exec_lo
	s_barrier_signal -1
	s_barrier_wait -1
	v_cmpx_eq_u32_e32 32, v7
	s_cbranch_execz .LBB73_70
; %bb.69:
	ds_store_2addr_b32 v6, v2, v3 offset1:16
	ds_store_2addr_b32 v6, v4, v5 offset0:32 offset1:48
.LBB73_70:
	s_or_b32 exec_lo, exec_lo, s1
	s_delay_alu instid0(SALU_CYCLE_1)
	s_mov_b32 s1, exec_lo
	s_wait_dscnt 0x0
	s_barrier_signal -1
	s_barrier_wait -1
	v_cmpx_gt_u32_e32 32, v0
	s_cbranch_execz .LBB73_77
; %bb.71:
	s_and_saveexec_b32 s0, vcc_lo
	s_cbranch_execnz .LBB73_83
; %bb.72:
	s_or_b32 exec_lo, exec_lo, s0
	s_and_saveexec_b32 s0, vcc_lo
	s_cbranch_execnz .LBB73_84
.LBB73_73:
	s_or_b32 exec_lo, exec_lo, s0
	s_and_saveexec_b32 s0, vcc_lo
	s_cbranch_execnz .LBB73_85
.LBB73_74:
	s_or_b32 exec_lo, exec_lo, s0
	s_and_saveexec_b32 s0, vcc_lo
	s_cbranch_execz .LBB73_76
.LBB73_75:
	ds_load_b32 v0, v1 offset:192
	s_wait_dscnt 0x0
	v_add_f32_e32 v5, v5, v0
.LBB73_76:
	s_or_b32 exec_lo, exec_lo, s0
.LBB73_77:
	s_delay_alu instid0(SALU_CYCLE_1)
	s_or_b32 exec_lo, exec_lo, s1
	s_mov_b32 s1, 0
	s_barrier_signal -1
	s_barrier_wait -1
	s_mov_b32 s0, exec_lo
	v_cmpx_eq_u32_e32 0, v7
	s_cbranch_execz .LBB73_79
; %bb.78:
	s_mul_i32 s0, s30, s7
	s_mul_i32 s2, s7, s6
	;; [unrolled: 1-line block ×3, first 2 shown]
	s_lshr_b32 s8, ttmp7, 16
	s_lshl_b32 s6, s0, 6
	s_bfe_u32 s0, ttmp6, 0x40014
	s_ashr_i32 s7, s6, 31
	s_add_co_i32 s0, s0, 1
	s_ashr_i32 s3, s2, 31
	s_mul_i32 s0, s8, s0
	s_bfe_u32 s9, ttmp6, 0x40008
	s_lshl_b64 s[6:7], s[6:7], 1
	s_lshl_b64 s[2:3], s[2:3], 1
	s_add_co_i32 s9, s9, s0
	s_cmp_eq_u32 s28, 0
	s_wait_kmcnt 0x0
	s_add_nc_u64 s[4:5], s[4:5], s[6:7]
	s_cselect_b32 s0, s8, s9
	s_add_nc_u64 s[2:3], s[4:5], s[2:3]
	s_lshl_b32 s0, s0, 7
	;;#ASMSTART
	v_cvt_f16_f32 v0, v2;

	;;#ASMEND
	s_add_nc_u64 s[0:1], s[2:3], s[0:1]
	global_store_b16 v22, v0, s[0:1] scale_offset
	s_wait_xcnt 0x0
	;;#ASMSTART
	v_cvt_f16_f32 v0, v3;

	;;#ASMEND
	global_store_b16 v22, v0, s[0:1] offset:32 scale_offset
	s_wait_xcnt 0x0
	;;#ASMSTART
	v_cvt_f16_f32 v0, v4;

	;;#ASMEND
	global_store_b16 v22, v0, s[0:1] offset:64 scale_offset
	;; [unrolled: 6-line block ×3, first 2 shown]
.LBB73_79:
	s_sendmsg sendmsg(MSG_DEALLOC_VGPRS)
	s_endpgm
.LBB73_80:
	ds_load_b32 v7, v1
	s_wait_dscnt 0x0
	v_add_f32_e32 v2, v2, v7
	s_or_b32 exec_lo, exec_lo, s0
	s_and_saveexec_b32 s0, vcc_lo
	s_cbranch_execz .LBB73_64
.LBB73_81:
	ds_load_b32 v7, v1 offset:64
	s_wait_dscnt 0x0
	v_add_f32_e32 v3, v3, v7
	s_or_b32 exec_lo, exec_lo, s0
	s_and_saveexec_b32 s0, vcc_lo
	s_cbranch_execz .LBB73_65
.LBB73_82:
	ds_load_b32 v7, v1 offset:128
	s_wait_dscnt 0x0
	v_add_f32_e32 v4, v4, v7
	s_or_b32 exec_lo, exec_lo, s0
	s_and_saveexec_b32 s0, vcc_lo
	s_cbranch_execnz .LBB73_66
	s_branch .LBB73_67
.LBB73_83:
	ds_load_b32 v0, v1
	s_wait_dscnt 0x0
	v_add_f32_e32 v2, v2, v0
	s_or_b32 exec_lo, exec_lo, s0
	s_and_saveexec_b32 s0, vcc_lo
	s_cbranch_execz .LBB73_73
.LBB73_84:
	ds_load_b32 v0, v1 offset:64
	s_wait_dscnt 0x0
	v_add_f32_e32 v3, v3, v0
	s_or_b32 exec_lo, exec_lo, s0
	s_and_saveexec_b32 s0, vcc_lo
	s_cbranch_execz .LBB73_74
.LBB73_85:
	ds_load_b32 v0, v1 offset:128
	s_wait_dscnt 0x0
	v_add_f32_e32 v4, v4, v0
	s_or_b32 exec_lo, exec_lo, s0
	s_and_saveexec_b32 s0, vcc_lo
	s_cbranch_execnz .LBB73_75
	s_branch .LBB73_76
	.section	.rodata,"a",@progbits
	.p2align	6, 0x0
	.amdhsa_kernel _ZN4vllm25paged_attention_v1_kernelIttLi64ELi16ELi128ELNS_18Fp8KVCacheDataTypeE0ELb1EEEvPT_PKS2_PKT0_S8_ifPKiSA_iPKfiiiSC_SC_iiiii
		.amdhsa_group_segment_fixed_size 160
		.amdhsa_private_segment_fixed_size 0
		.amdhsa_kernarg_size 384
		.amdhsa_user_sgpr_count 2
		.amdhsa_user_sgpr_dispatch_ptr 0
		.amdhsa_user_sgpr_queue_ptr 0
		.amdhsa_user_sgpr_kernarg_segment_ptr 1
		.amdhsa_user_sgpr_dispatch_id 0
		.amdhsa_user_sgpr_kernarg_preload_length 0
		.amdhsa_user_sgpr_kernarg_preload_offset 0
		.amdhsa_user_sgpr_private_segment_size 0
		.amdhsa_wavefront_size32 1
		.amdhsa_uses_dynamic_stack 0
		.amdhsa_enable_private_segment 0
		.amdhsa_system_sgpr_workgroup_id_x 1
		.amdhsa_system_sgpr_workgroup_id_y 1
		.amdhsa_system_sgpr_workgroup_id_z 1
		.amdhsa_system_sgpr_workgroup_info 0
		.amdhsa_system_vgpr_workitem_id 0
		.amdhsa_next_free_vgpr 82
		.amdhsa_next_free_sgpr 40
		.amdhsa_named_barrier_count 0
		.amdhsa_reserve_vcc 1
		.amdhsa_float_round_mode_32 0
		.amdhsa_float_round_mode_16_64 0
		.amdhsa_float_denorm_mode_32 3
		.amdhsa_float_denorm_mode_16_64 3
		.amdhsa_fp16_overflow 0
		.amdhsa_memory_ordered 1
		.amdhsa_forward_progress 1
		.amdhsa_inst_pref_size 52
		.amdhsa_round_robin_scheduling 0
		.amdhsa_exception_fp_ieee_invalid_op 0
		.amdhsa_exception_fp_denorm_src 0
		.amdhsa_exception_fp_ieee_div_zero 0
		.amdhsa_exception_fp_ieee_overflow 0
		.amdhsa_exception_fp_ieee_underflow 0
		.amdhsa_exception_fp_ieee_inexact 0
		.amdhsa_exception_int_div_zero 0
	.end_amdhsa_kernel
	.section	.text._ZN4vllm25paged_attention_v1_kernelIttLi64ELi16ELi128ELNS_18Fp8KVCacheDataTypeE0ELb1EEEvPT_PKS2_PKT0_S8_ifPKiSA_iPKfiiiSC_SC_iiiii,"axG",@progbits,_ZN4vllm25paged_attention_v1_kernelIttLi64ELi16ELi128ELNS_18Fp8KVCacheDataTypeE0ELb1EEEvPT_PKS2_PKT0_S8_ifPKiSA_iPKfiiiSC_SC_iiiii,comdat
.Lfunc_end73:
	.size	_ZN4vllm25paged_attention_v1_kernelIttLi64ELi16ELi128ELNS_18Fp8KVCacheDataTypeE0ELb1EEEvPT_PKS2_PKT0_S8_ifPKiSA_iPKfiiiSC_SC_iiiii, .Lfunc_end73-_ZN4vllm25paged_attention_v1_kernelIttLi64ELi16ELi128ELNS_18Fp8KVCacheDataTypeE0ELb1EEEvPT_PKS2_PKT0_S8_ifPKiSA_iPKfiiiSC_SC_iiiii
                                        ; -- End function
	.set _ZN4vllm25paged_attention_v1_kernelIttLi64ELi16ELi128ELNS_18Fp8KVCacheDataTypeE0ELb1EEEvPT_PKS2_PKT0_S8_ifPKiSA_iPKfiiiSC_SC_iiiii.num_vgpr, 82
	.set _ZN4vllm25paged_attention_v1_kernelIttLi64ELi16ELi128ELNS_18Fp8KVCacheDataTypeE0ELb1EEEvPT_PKS2_PKT0_S8_ifPKiSA_iPKfiiiSC_SC_iiiii.num_agpr, 0
	.set _ZN4vllm25paged_attention_v1_kernelIttLi64ELi16ELi128ELNS_18Fp8KVCacheDataTypeE0ELb1EEEvPT_PKS2_PKT0_S8_ifPKiSA_iPKfiiiSC_SC_iiiii.numbered_sgpr, 40
	.set _ZN4vllm25paged_attention_v1_kernelIttLi64ELi16ELi128ELNS_18Fp8KVCacheDataTypeE0ELb1EEEvPT_PKS2_PKT0_S8_ifPKiSA_iPKfiiiSC_SC_iiiii.num_named_barrier, 0
	.set _ZN4vllm25paged_attention_v1_kernelIttLi64ELi16ELi128ELNS_18Fp8KVCacheDataTypeE0ELb1EEEvPT_PKS2_PKT0_S8_ifPKiSA_iPKfiiiSC_SC_iiiii.private_seg_size, 0
	.set _ZN4vllm25paged_attention_v1_kernelIttLi64ELi16ELi128ELNS_18Fp8KVCacheDataTypeE0ELb1EEEvPT_PKS2_PKT0_S8_ifPKiSA_iPKfiiiSC_SC_iiiii.uses_vcc, 1
	.set _ZN4vllm25paged_attention_v1_kernelIttLi64ELi16ELi128ELNS_18Fp8KVCacheDataTypeE0ELb1EEEvPT_PKS2_PKT0_S8_ifPKiSA_iPKfiiiSC_SC_iiiii.uses_flat_scratch, 0
	.set _ZN4vllm25paged_attention_v1_kernelIttLi64ELi16ELi128ELNS_18Fp8KVCacheDataTypeE0ELb1EEEvPT_PKS2_PKT0_S8_ifPKiSA_iPKfiiiSC_SC_iiiii.has_dyn_sized_stack, 0
	.set _ZN4vllm25paged_attention_v1_kernelIttLi64ELi16ELi128ELNS_18Fp8KVCacheDataTypeE0ELb1EEEvPT_PKS2_PKT0_S8_ifPKiSA_iPKfiiiSC_SC_iiiii.has_recursion, 0
	.set _ZN4vllm25paged_attention_v1_kernelIttLi64ELi16ELi128ELNS_18Fp8KVCacheDataTypeE0ELb1EEEvPT_PKS2_PKT0_S8_ifPKiSA_iPKfiiiSC_SC_iiiii.has_indirect_call, 0
	.section	.AMDGPU.csdata,"",@progbits
; Kernel info:
; codeLenInByte = 6540
; TotalNumSgprs: 42
; NumVgprs: 82
; ScratchSize: 0
; MemoryBound: 0
; FloatMode: 240
; IeeeMode: 1
; LDSByteSize: 160 bytes/workgroup (compile time only)
; SGPRBlocks: 0
; VGPRBlocks: 5
; NumSGPRsForWavesPerEU: 42
; NumVGPRsForWavesPerEU: 82
; NamedBarCnt: 0
; Occupancy: 10
; WaveLimiterHint : 1
; COMPUTE_PGM_RSRC2:SCRATCH_EN: 0
; COMPUTE_PGM_RSRC2:USER_SGPR: 2
; COMPUTE_PGM_RSRC2:TRAP_HANDLER: 0
; COMPUTE_PGM_RSRC2:TGID_X_EN: 1
; COMPUTE_PGM_RSRC2:TGID_Y_EN: 1
; COMPUTE_PGM_RSRC2:TGID_Z_EN: 1
; COMPUTE_PGM_RSRC2:TIDIG_COMP_CNT: 0
	.section	.text._ZN4vllm25paged_attention_v1_kernelIttLi80ELi16ELi128ELNS_18Fp8KVCacheDataTypeE0ELb1EEEvPT_PKS2_PKT0_S8_ifPKiSA_iPKfiiiSC_SC_iiiii,"axG",@progbits,_ZN4vllm25paged_attention_v1_kernelIttLi80ELi16ELi128ELNS_18Fp8KVCacheDataTypeE0ELb1EEEvPT_PKS2_PKT0_S8_ifPKiSA_iPKfiiiSC_SC_iiiii,comdat
	.protected	_ZN4vllm25paged_attention_v1_kernelIttLi80ELi16ELi128ELNS_18Fp8KVCacheDataTypeE0ELb1EEEvPT_PKS2_PKT0_S8_ifPKiSA_iPKfiiiSC_SC_iiiii ; -- Begin function _ZN4vllm25paged_attention_v1_kernelIttLi80ELi16ELi128ELNS_18Fp8KVCacheDataTypeE0ELb1EEEvPT_PKS2_PKT0_S8_ifPKiSA_iPKfiiiSC_SC_iiiii
	.globl	_ZN4vllm25paged_attention_v1_kernelIttLi80ELi16ELi128ELNS_18Fp8KVCacheDataTypeE0ELb1EEEvPT_PKS2_PKT0_S8_ifPKiSA_iPKfiiiSC_SC_iiiii
	.p2align	8
	.type	_ZN4vllm25paged_attention_v1_kernelIttLi80ELi16ELi128ELNS_18Fp8KVCacheDataTypeE0ELb1EEEvPT_PKS2_PKT0_S8_ifPKiSA_iPKfiiiSC_SC_iiiii,@function
_ZN4vllm25paged_attention_v1_kernelIttLi80ELi16ELi128ELNS_18Fp8KVCacheDataTypeE0ELb1EEEvPT_PKS2_PKT0_S8_ifPKiSA_iPKfiiiSC_SC_iiiii: ; @_ZN4vllm25paged_attention_v1_kernelIttLi80ELi16ELi128ELNS_18Fp8KVCacheDataTypeE0ELb1EEEvPT_PKS2_PKT0_S8_ifPKiSA_iPKfiiiSC_SC_iiiii
; %bb.0:
	s_load_b64 s[22:23], s[0:1], 0x20
	s_bfe_u32 s3, ttmp6, 0x4000c
	s_bfe_u32 s4, ttmp6, 0x40010
	s_and_b32 s6, ttmp7, 0xffff
	s_add_co_i32 s3, s3, 1
	s_add_co_i32 s4, s4, 1
	s_and_b32 s2, ttmp6, 15
	s_bfe_u32 s5, ttmp6, 0x40004
	s_mul_i32 s3, ttmp9, s3
	s_mul_i32 s4, s6, s4
	s_getreg_b32 s28, hwreg(HW_REG_IB_STS2, 6, 4)
	s_add_co_i32 s2, s2, s3
	s_add_co_i32 s3, s5, s4
	s_cmp_eq_u32 s28, 0
	s_clause 0x1
	s_load_b32 s29, s[0:1], 0x80
	s_load_b64 s[4:5], s[0:1], 0x30
	s_cselect_b32 s30, s6, s3
	s_cselect_b32 s2, ttmp9, s2
	s_mov_b32 s17, 0
	s_delay_alu instid0(SALU_CYCLE_1) | instskip(SKIP_2) | instid1(SALU_CYCLE_1)
	s_mov_b32 s35, s17
	s_wait_kmcnt 0x0
	s_abs_i32 s3, s22
	s_cvt_f32_u32 s6, s3
	s_sub_co_i32 s7, 0, s3
	s_delay_alu instid0(SALU_CYCLE_2) | instskip(SKIP_2) | instid1(TRANS32_DEP_1)
	v_rcp_iflag_f32_e32 v1, s6
	s_abs_i32 s8, s29
	v_nop
	v_readfirstlane_b32 s6, v1
	s_mul_f32 s6, s6, 0x4f7ffffe
	s_delay_alu instid0(SALU_CYCLE_3) | instskip(NEXT) | instid1(SALU_CYCLE_3)
	s_cvt_u32_f32 s6, s6
	s_mul_i32 s7, s7, s6
	s_delay_alu instid0(SALU_CYCLE_1) | instskip(NEXT) | instid1(SALU_CYCLE_1)
	s_mul_hi_u32 s7, s6, s7
	s_add_co_i32 s6, s6, s7
	s_xor_b32 s7, s29, s22
	s_mul_hi_u32 s6, s8, s6
	s_ashr_i32 s7, s7, 31
	s_mul_i32 s9, s6, s3
	s_delay_alu instid0(SALU_CYCLE_1)
	s_sub_co_i32 s8, s8, s9
	s_add_co_i32 s9, s6, 1
	s_sub_co_i32 s10, s8, s3
	s_cmp_ge_u32 s8, s3
	s_cselect_b32 s6, s9, s6
	s_cselect_b32 s8, s10, s8
	s_add_co_i32 s9, s6, 1
	s_cmp_ge_u32 s8, s3
	s_cselect_b32 s3, s9, s6
	s_load_b64 s[8:9], s[0:1], 0x40
	s_xor_b32 s3, s3, s7
	s_abs_i32 s16, s2
	s_sub_co_i32 s10, s3, s7
	s_mov_b32 s7, s17
	s_abs_i32 s15, s10
	s_delay_alu instid0(SALU_CYCLE_1) | instskip(SKIP_1) | instid1(SALU_CYCLE_2)
	s_cvt_f32_u32 s3, s15
	s_sub_co_i32 s6, 0, s15
	v_rcp_iflag_f32_e32 v1, s3
	v_nop
	s_delay_alu instid0(TRANS32_DEP_1) | instskip(SKIP_1) | instid1(SALU_CYCLE_3)
	v_readfirstlane_b32 s3, v1
	s_mul_f32 s3, s3, 0x4f7ffffe
	s_cvt_u32_f32 s3, s3
	s_delay_alu instid0(SALU_CYCLE_3) | instskip(NEXT) | instid1(SALU_CYCLE_1)
	s_mul_i32 s6, s6, s3
	s_mul_hi_u32 s6, s3, s6
	s_delay_alu instid0(SALU_CYCLE_1)
	s_add_co_i32 s6, s3, s6
	s_wait_kmcnt 0x0
	s_cmp_eq_u64 s[8:9], 0
	s_cbranch_scc1 .LBB74_2
; %bb.1:
	s_ashr_i32 s3, s2, 31
	s_delay_alu instid0(SALU_CYCLE_1) | instskip(NEXT) | instid1(SALU_CYCLE_1)
	s_lshl_b64 s[12:13], s[2:3], 2
	s_add_nc_u64 s[8:9], s[8:9], s[12:13]
	s_load_b32 s35, s[8:9], 0x0
.LBB74_2:
	s_load_b32 s31, s[4:5], s30 offset:0x0 scale_offset
	s_load_b96 s[12:14], s[0:1], 0x48
	v_dual_lshrrev_b32 v30, 1, v0 :: v_dual_bitop2_b32 v31, 1, v0 bitop3:0x40
	s_wait_xcnt 0x0
	s_mul_u64 s[4:5], s[16:17], s[6:7]
	s_ashr_i32 s3, s2, 31
	s_ashr_i32 s18, s10, 31
	s_mul_i32 s6, s2, 0x50
	s_mov_b32 s4, exec_lo
	v_cmpx_gt_u32_e32 20, v0
	s_cbranch_execz .LBB74_4
; %bb.3:
	s_load_b64 s[8:9], s[0:1], 0x8
	s_wait_kmcnt 0x0
	s_mul_i32 s10, s12, s30
	s_ashr_i32 s7, s6, 31
	s_ashr_i32 s11, s10, 31
	v_lshlrev_b32_e32 v1, 3, v30
	s_lshl_b64 s[10:11], s[10:11], 1
	s_delay_alu instid0(VALU_DEP_1) | instskip(SKIP_2) | instid1(SALU_CYCLE_1)
	v_mad_u32_u24 v1, 0x50, v31, v1
	s_add_nc_u64 s[8:9], s[8:9], s[10:11]
	s_lshl_b64 s[10:11], s[6:7], 1
	s_add_nc_u64 s[8:9], s[8:9], s[10:11]
	global_load_b64 v[2:3], v0, s[8:9] scale_offset
	s_wait_loadcnt 0x0
	ds_store_b64 v1, v[2:3]
.LBB74_4:
	s_or_b32 exec_lo, exec_lo, s4
	s_load_b128 s[8:11], s[0:1], 0x68
	s_mul_i32 s4, s5, s15
	s_xor_b32 s3, s3, s18
	s_sub_co_i32 s4, s16, s4
	s_add_co_i32 s7, s5, 1
	s_wait_kmcnt 0x0
	s_sub_co_i32 s12, s4, s15
	s_cmp_ge_u32 s4, s15
	s_mov_b32 s18, -1
	s_cselect_b32 s5, s7, s5
	s_cselect_b32 s4, s12, s4
	s_add_co_i32 s12, s5, 1
	s_cmp_ge_u32 s4, s15
	s_load_b32 s7, s[0:1], 0x78
	s_cselect_b32 s4, s12, s5
	s_add_co_i32 s15, s31, -1
	s_xor_b32 s4, s4, s3
	s_wait_dscnt 0x0
	s_sub_co_i32 s3, s4, s3
	s_barrier_signal -1
	s_barrier_wait -1
	s_abs_i32 s12, s11
	s_delay_alu instid0(SALU_CYCLE_1) | instskip(NEXT) | instid1(SALU_CYCLE_3)
	s_cvt_f32_u32 s5, s12
                                        ; implicit-def: $sgpr33
	v_rcp_iflag_f32_e32 v1, s5
	v_nop
	s_delay_alu instid0(TRANS32_DEP_1) | instskip(SKIP_1) | instid1(SALU_CYCLE_3)
	v_readfirstlane_b32 s5, v1
	s_mul_f32 s4, s5, 0x4f7ffffe
	s_cvt_u32_f32 s16, s4
	s_sub_co_i32 s4, 0, s12
	s_delay_alu instid0(SALU_CYCLE_2)
	s_mul_i32 s5, s4, s16
	s_abs_i32 s4, s15
	s_mul_hi_u32 s17, s16, s5
	s_mov_b32 s5, 0
	s_add_co_i32 s16, s16, s17
	s_wait_kmcnt 0x0
	s_cmp_lt_i32 s7, 0
	s_mov_b32 s17, s5
	s_cbranch_scc0 .LBB74_6
; %bb.5:
	s_mul_i32 s18, s8, s22
	s_delay_alu instid0(SALU_CYCLE_1) | instskip(NEXT) | instid1(SALU_CYCLE_1)
	s_add_co_i32 s18, s3, s18
	s_mul_i32 s18, s18, s7
	s_delay_alu instid0(SALU_CYCLE_1)
	s_sub_co_i32 s33, 1, s18
	s_mov_b32 s18, s5
.LBB74_6:
	s_ashr_i32 s15, s15, 31
	s_ashr_i32 s11, s11, 31
	s_and_not1_b32 vcc_lo, exec_lo, s18
	s_mul_u64 s[24:25], s[4:5], s[16:17]
	s_cbranch_vccnz .LBB74_8
; %bb.7:
	s_mul_i32 s5, s29, s8
	s_delay_alu instid0(SALU_CYCLE_1) | instskip(NEXT) | instid1(SALU_CYCLE_1)
	s_add_co_i32 s2, s5, s2
	s_mul_i32 s2, s2, s7
	s_delay_alu instid0(SALU_CYCLE_1)
	s_add_co_i32 s33, s2, 1
.LBB74_8:
	s_load_b32 s2, s[0:1], 0x38
	s_mul_i32 s7, s25, s12
	s_xor_b32 s5, s15, s11
	s_sub_co_i32 s4, s4, s7
	s_add_co_i32 s8, s25, 1
	s_clause 0x1
	s_load_b64 s[18:19], s[0:1], 0x28
	s_load_b32 s7, s[0:1], 0x88
	v_dual_lshrrev_b32 v32, 5, v0 :: v_dual_lshlrev_b32 v7, 3, v0
	v_dual_mov_b32 v36, 0xff7fffff :: v_dual_lshrrev_b32 v1, 3, v0
	v_mbcnt_lo_u32_b32 v33, -1, 0
	s_delay_alu instid0(VALU_DEP_3)
	v_lshlrev_b32_e32 v6, 4, v32
	s_mul_i32 s14, s3, s14
	s_wait_kmcnt 0x0
	s_mul_i32 s20, s2, s30
	s_sub_co_i32 s2, s4, s12
	s_ashr_i32 s21, s20, 31
	s_cmp_ge_u32 s4, s12
	s_cselect_b32 s8, s8, s25
	s_cselect_b32 s2, s2, s4
	s_add_co_i32 s4, s8, 1
	s_cmp_ge_u32 s2, s12
	s_cselect_b32 s2, s4, s8
	s_add_co_i32 s4, s31, 15
	s_delay_alu instid0(SALU_CYCLE_1) | instskip(NEXT) | instid1(SALU_CYCLE_1)
	s_ashr_i32 s8, s4, 31
	s_lshr_b32 s8, s8, 28
	s_delay_alu instid0(SALU_CYCLE_1) | instskip(NEXT) | instid1(SALU_CYCLE_1)
	s_add_co_i32 s4, s4, s8
	s_ashr_i32 s34, s4, 4
	s_xor_b32 s4, s2, s5
	v_cmp_gt_i32_e64 s2, s34, v32
	s_sub_co_i32 s8, s4, s5
	s_and_saveexec_b32 s22, s2
	s_cbranch_execz .LBB74_20
; %bb.9:
	s_load_b64 s[4:5], s[0:1], 0x10
	s_ashr_i32 s15, s14, 31
	s_sub_co_i32 s36, s8, s9
	s_ashr_i32 s25, s13, 31
	s_lshl_b64 s[38:39], s[14:15], 1
	s_cmp_neq_f32 s35, 0
	v_bfe_u32 v34, v0, 1, 4
	v_mov_b32_e32 v3, 0
	v_mul_u32_u24_e32 v35, 0x50, v31
	s_cselect_b32 vcc_lo, -1, 0
	s_abs_i32 s15, s10
	v_lshlrev_b32_e32 v2, 4, v34
	s_cvt_f32_u32 s3, s15
	v_lshlrev_b32_e32 v9, 2, v34
	v_subrev_nc_u32_e32 v8, s31, v34
	s_sub_co_i32 s26, 0, s15
	v_rcp_iflag_f32_e32 v4, s3
	v_cmp_eq_u32_e64 s3, 0, v31
	s_delay_alu instid0(VALU_DEP_2)
	v_dual_add_nc_u32 v37, 1, v8 :: v_dual_bitop2_b32 v40, 1, v33 bitop3:0x14
	s_wait_kmcnt 0x0
	s_add_nc_u64 s[4:5], s[4:5], s[38:39]
	v_mov_b32_e32 v36, 0xff7fffff
	s_mov_b32 s27, 0
	v_readfirstlane_b32 s24, v4
	v_add_nc_u64_e32 v[4:5], s[4:5], v[2:3]
	v_and_b32_e32 v2, 8, v7
	v_lshl_or_b32 v9, v32, 6, v9
	s_lshl_b64 s[4:5], s[20:21], 2
	s_mul_f32 s24, s24, 0x4f7ffffe
	s_add_nc_u64 s[4:5], s[18:19], s[4:5]
	s_delay_alu instid0(VALU_DEP_1)
	v_dual_mov_b32 v41, v32 :: v_dual_add_nc_u32 v38, 0xc0, v9
	v_add_nc_u64_e32 v[4:5], v[4:5], v[2:3]
	v_and_b32_e32 v2, 0x7c, v1
	s_cvt_u32_f32 s37, s24
	v_mov_b32_e32 v39, 0xff7fffff
	s_mov_b32 s24, s13
	s_delay_alu instid0(VALU_DEP_2) | instskip(SKIP_3) | instid1(SALU_CYCLE_1)
	v_add_nc_u64_e32 v[8:9], s[4:5], v[2:3]
	s_mul_i32 s26, s26, s37
	v_lshlrev_b32_e32 v2, 4, v32
	s_mul_hi_u32 s4, s37, s26
	s_add_co_i32 s26, s37, s4
	s_mov_b32 s37, s27
	s_branch .LBB74_12
.LBB74_10:                              ;   in Loop: Header=BB74_12 Depth=1
	s_or_b32 exec_lo, exec_lo, s38
.LBB74_11:                              ;   in Loop: Header=BB74_12 Depth=1
	s_delay_alu instid0(SALU_CYCLE_1) | instskip(SKIP_3) | instid1(VALU_DEP_3)
	s_or_b32 exec_lo, exec_lo, s5
	v_dual_add_nc_u32 v41, 4, v41 :: v_dual_add_nc_u32 v2, 64, v2
	v_add_nc_u64_e32 v[8:9], 16, v[8:9]
	v_add_nc_u32_e32 v38, 0x100, v38
	v_cmp_le_i32_e64 s4, s34, v41
	s_or_b32 s37, s4, s37
	s_delay_alu instid0(SALU_CYCLE_1)
	s_and_not1_b32 exec_lo, exec_lo, s37
	s_cbranch_execz .LBB74_19
.LBB74_12:                              ; =>This Inner Loop Header: Depth=1
	s_wait_dscnt 0x0
	v_mul_u64_e32 v[10:11], s[16:17], v[2:3]
	s_delay_alu instid0(VALU_DEP_1) | instskip(NEXT) | instid1(VALU_DEP_1)
	v_mul_lo_u32 v10, v11, s12
	v_dual_add_nc_u32 v12, 1, v11 :: v_dual_sub_nc_u32 v10, v2, v10
	s_delay_alu instid0(VALU_DEP_1) | instskip(SKIP_1) | instid1(VALU_DEP_1)
	v_subrev_nc_u32_e32 v13, s12, v10
	v_cmp_le_u32_e64 s4, s12, v10
	v_dual_cndmask_b32 v11, v11, v12, s4 :: v_dual_cndmask_b32 v10, v10, v13, s4
	s_delay_alu instid0(VALU_DEP_1) | instskip(NEXT) | instid1(VALU_DEP_2)
	v_add_nc_u32_e32 v12, 1, v11
	v_cmp_le_u32_e64 s4, s12, v10
	s_delay_alu instid0(VALU_DEP_1) | instskip(NEXT) | instid1(VALU_DEP_1)
	v_cndmask_b32_e64 v10, v11, v12, s4
	v_dual_mov_b32 v11, v3 :: v_dual_bitop2_b32 v10, s11, v10 bitop3:0x14
	s_delay_alu instid0(VALU_DEP_1) | instskip(NEXT) | instid1(VALU_DEP_1)
	v_subrev_nc_u32_e32 v14, s11, v10
	v_add_nc_u32_e32 v15, s33, v14
	v_cmp_ge_i32_e64 s5, s36, v14
	s_delay_alu instid0(VALU_DEP_2) | instskip(NEXT) | instid1(VALU_DEP_1)
	v_sub_nc_u32_e32 v10, 0, v15
	v_max_i32_e32 v10, v15, v10
	s_delay_alu instid0(VALU_DEP_1) | instskip(SKIP_1) | instid1(VALU_DEP_2)
	v_mul_u64_e32 v[12:13], s[26:27], v[10:11]
	v_ashrrev_i32_e32 v12, 31, v15
	v_mul_lo_u32 v11, v13, s15
	s_delay_alu instid0(VALU_DEP_1) | instskip(NEXT) | instid1(VALU_DEP_1)
	v_sub_nc_u32_e32 v10, v10, v11
	v_subrev_nc_u32_e32 v11, s15, v10
	v_cmp_le_u32_e64 s4, s15, v10
	s_delay_alu instid0(VALU_DEP_1) | instskip(NEXT) | instid1(VALU_DEP_1)
	v_cndmask_b32_e64 v10, v10, v11, s4
	v_subrev_nc_u32_e32 v11, s15, v10
	v_cmp_le_u32_e64 s4, s15, v10
	s_delay_alu instid0(VALU_DEP_1) | instskip(NEXT) | instid1(VALU_DEP_1)
	v_cndmask_b32_e64 v10, v10, v11, s4
	v_xor_b32_e32 v10, v10, v12
	s_delay_alu instid0(VALU_DEP_1) | instskip(NEXT) | instid1(VALU_DEP_1)
	v_sub_nc_u32_e32 v10, v10, v12
	v_cmp_ne_u32_e64 s4, 0, v10
	s_and_b32 s4, s4, s5
	s_delay_alu instid0(SALU_CYCLE_1) | instskip(NEXT) | instid1(SALU_CYCLE_1)
	s_and_saveexec_b32 s5, s4
	s_xor_b32 s4, exec_lo, s5
	s_cbranch_execz .LBB74_16
; %bb.13:                               ;   in Loop: Header=BB74_12 Depth=1
	s_and_saveexec_b32 s5, s3
; %bb.14:                               ;   in Loop: Header=BB74_12 Depth=1
	ds_store_b32 v38, v39
; %bb.15:                               ;   in Loop: Header=BB74_12 Depth=1
	s_or_b32 exec_lo, exec_lo, s5
.LBB74_16:                              ;   in Loop: Header=BB74_12 Depth=1
	s_and_not1_saveexec_b32 s5, s4
	s_cbranch_execz .LBB74_11
; %bb.17:                               ;   in Loop: Header=BB74_12 Depth=1
	global_load_b32 v10, v[8:9], off
	v_cmp_gt_i32_e64 s4, 32, v40
	s_wait_loadcnt 0x0
	v_ashrrev_i32_e32 v11, 31, v10
	s_delay_alu instid0(VALU_DEP_1) | instskip(NEXT) | instid1(VALU_DEP_1)
	v_mul_u64_e32 v[10:11], s[24:25], v[10:11]
	v_lshl_add_u64 v[28:29], v[10:11], 1, v[4:5]
	s_clause 0x9
	global_load_b64 v[44:45], v[28:29], off
	global_load_b64 v[26:27], v[28:29], off offset:256
	global_load_b64 v[24:25], v[28:29], off offset:512
	;; [unrolled: 1-line block ×9, first 2 shown]
	s_wait_xcnt 0x0
	ds_load_b64 v[28:29], v35
	s_wait_dscnt 0x0
	v_and_b32_e32 v42, 0xffff, v28
	v_dual_lshrrev_b32 v28, 16, v28 :: v_dual_lshrrev_b32 v48, 16, v29
	v_and_b32_e32 v29, 0xffff, v29
	;;#ASMSTART
	v_cvt_f32_f16 v42, v42;
	;;#ASMEND
	;;#ASMSTART
	v_cvt_f32_f16 v43, v28;
	;;#ASMEND
	s_wait_loadcnt 0x9
	v_and_b32_e32 v46, 0xffff, v44
	v_dual_lshrrev_b32 v44, 16, v44 :: v_dual_lshrrev_b32 v28, 16, v45
	s_wait_loadcnt 0x8
	v_lshrrev_b32_e32 v50, 16, v26
	v_and_b32_e32 v49, 0xffff, v45
	;;#ASMSTART
	v_cvt_f32_f16 v46, v46;
	;;#ASMEND
	;;#ASMSTART
	v_cvt_f32_f16 v47, v44;
	;;#ASMEND
	;; [unrolled: 3-line block ×6, first 2 shown]
	ds_load_b64 v[28:29], v35 offset:8
	v_and_b32_e32 v26, 0xffff, v26
	v_lshrrev_b32_e32 v51, 16, v27
	v_and_b32_e32 v27, 0xffff, v27
	s_wait_loadcnt 0x1
	v_dual_lshrrev_b32 v89, 16, v15 :: v_dual_lshrrev_b32 v90, 16, v12
	v_and_b32_e32 v15, 0xffff, v15
	v_and_b32_e32 v12, 0xffff, v12
	v_lshrrev_b32_e32 v56, 16, v24
	v_and_b32_e32 v24, 0xffff, v24
	v_lshrrev_b32_e32 v62, 16, v22
	;; [unrolled: 2-line block ×6, first 2 shown]
	v_and_b32_e32 v14, 0xffff, v14
	s_wait_dscnt 0x0
	v_and_b32_e32 v52, 0xffff, v28
	v_dual_lshrrev_b32 v28, 16, v28 :: v_dual_lshrrev_b32 v53, 16, v29
	v_and_b32_e32 v29, 0xffff, v29
	;;#ASMSTART
	v_cvt_f32_f16 v52, v52;
	;;#ASMEND
	;;#ASMSTART
	v_cvt_f32_f16 v28, v28;
	;;#ASMEND
	;;#ASMSTART
	v_cvt_f32_f16 v54, v26;
	;;#ASMEND
	;;#ASMSTART
	v_cvt_f32_f16 v50, v50;
	;;#ASMEND
	;;#ASMSTART
	v_cvt_f32_f16 v29, v29;
	;;#ASMEND
	;;#ASMSTART
	v_cvt_f32_f16 v53, v53;
	;;#ASMEND
	;;#ASMSTART
	v_cvt_f32_f16 v55, v27;
	;;#ASMEND
	;;#ASMSTART
	v_cvt_f32_f16 v51, v51;
	;;#ASMEND
	ds_load_b64 v[26:27], v35 offset:16
	v_lshrrev_b32_e32 v57, 16, v25
	v_and_b32_e32 v25, 0xffff, v25
	s_wait_dscnt 0x0
	v_and_b32_e32 v58, 0xffff, v26
	v_dual_lshrrev_b32 v26, 16, v26 :: v_dual_lshrrev_b32 v59, 16, v27
	v_and_b32_e32 v27, 0xffff, v27
	;;#ASMSTART
	v_cvt_f32_f16 v58, v58;
	;;#ASMEND
	;;#ASMSTART
	v_cvt_f32_f16 v26, v26;
	;;#ASMEND
	;;#ASMSTART
	v_cvt_f32_f16 v60, v24;
	;;#ASMEND
	;;#ASMSTART
	v_cvt_f32_f16 v56, v56;
	;;#ASMEND
	;;#ASMSTART
	v_cvt_f32_f16 v27, v27;
	;;#ASMEND
	;;#ASMSTART
	v_cvt_f32_f16 v59, v59;
	;;#ASMEND
	;;#ASMSTART
	v_cvt_f32_f16 v61, v25;
	;;#ASMEND
	;;#ASMSTART
	v_cvt_f32_f16 v57, v57;
	;;#ASMEND
	ds_load_b64 v[24:25], v35 offset:24
	v_lshrrev_b32_e32 v63, 16, v23
	;; [unrolled: 31-line block ×5, first 2 shown]
	v_and_b32_e32 v17, 0xffff, v17
	s_wait_dscnt 0x0
	v_and_b32_e32 v82, 0xffff, v18
	v_dual_lshrrev_b32 v83, 16, v19 :: v_dual_lshrrev_b32 v18, 16, v18
	v_and_b32_e32 v19, 0xffff, v19
	;;#ASMSTART
	v_cvt_f32_f16 v82, v82;
	;;#ASMEND
	;;#ASMSTART
	v_cvt_f32_f16 v84, v18;
	;;#ASMEND
	;; [unrolled: 3-line block ×8, first 2 shown]
	ds_load_b64 v[16:17], v35 offset:56
	v_mul_f32_e32 v18, v52, v54
	v_mul_f32_e32 v19, v28, v50
	s_wait_dscnt 0x0
	v_and_b32_e32 v28, 0xffff, v16
	v_dual_lshrrev_b32 v50, 16, v16 :: v_dual_mul_f32 v16, v29, v55
	v_lshrrev_b32_e32 v29, 16, v17
	v_and_b32_e32 v17, 0xffff, v17
	;;#ASMSTART
	v_cvt_f32_f16 v28, v28;
	;;#ASMEND
	;;#ASMSTART
	v_cvt_f32_f16 v50, v50;
	;;#ASMEND
	;; [unrolled: 3-line block ×5, first 2 shown]
	v_mul_f32_e32 v17, v53, v51
	;;#ASMSTART
	v_cvt_f32_f16 v29, v29;
	;;#ASMEND
	;;#ASMSTART
	v_cvt_f32_f16 v88, v15;
	;;#ASMEND
	;; [unrolled: 3-line block ×3, first 2 shown]
	ds_load_b64 v[14:15], v35 offset:64
	v_dual_fmac_f32 v18, v42, v46 :: v_dual_fmac_f32 v19, v43, v47
	v_dual_lshrrev_b32 v42, 16, v13 :: v_dual_fmac_f32 v16, v44, v48
	s_delay_alu instid0(VALU_DEP_2) | instskip(NEXT) | instid1(VALU_DEP_3)
	v_dual_fmac_f32 v17, v45, v49 :: v_dual_fmac_f32 v18, v58, v60
	v_fmac_f32_e32 v19, v26, v56
	v_and_b32_e32 v13, 0xffff, v13
	s_delay_alu instid0(VALU_DEP_4) | instskip(NEXT) | instid1(VALU_DEP_4)
	v_fmac_f32_e32 v16, v27, v61
	v_dual_fmac_f32 v17, v59, v57 :: v_dual_fmac_f32 v18, v64, v66
	s_delay_alu instid0(VALU_DEP_4) | instskip(SKIP_1) | instid1(VALU_DEP_3)
	v_fmac_f32_e32 v19, v24, v62
	s_wait_loadcnt 0x0
	v_dual_lshrrev_b32 v24, 16, v10 :: v_dual_fmac_f32 v16, v25, v67
	s_delay_alu instid0(VALU_DEP_3) | instskip(NEXT) | instid1(VALU_DEP_3)
	v_dual_fmac_f32 v17, v65, v63 :: v_dual_fmac_f32 v18, v70, v72
	v_fmac_f32_e32 v19, v22, v68
	v_and_b32_e32 v10, 0xffff, v10
	s_delay_alu instid0(VALU_DEP_4)
	v_fmac_f32_e32 v16, v23, v73
	s_wait_dscnt 0x0
	v_and_b32_e32 v22, 0xffff, v14
	v_dual_lshrrev_b32 v14, 16, v14 :: v_dual_lshrrev_b32 v23, 16, v15
	v_fmac_f32_e32 v17, v71, v69
	v_and_b32_e32 v15, 0xffff, v15
	;;#ASMSTART
	v_cvt_f32_f16 v22, v22;
	;;#ASMEND
	;;#ASMSTART
	v_cvt_f32_f16 v14, v14;
	;;#ASMEND
	;; [unrolled: 3-line block ×8, first 2 shown]
	ds_load_b64 v[12:13], v35 offset:72
	v_dual_fmac_f32 v18, v76, v78 :: v_dual_fmac_f32 v16, v21, v79
	v_dual_fmac_f32 v19, v20, v74 :: v_dual_fmac_f32 v17, v77, v75
	s_delay_alu instid0(VALU_DEP_2) | instskip(NEXT) | instid1(VALU_DEP_2)
	v_fmac_f32_e32 v18, v82, v85
	v_dual_fmac_f32 v16, v86, v87 :: v_dual_fmac_f32 v19, v84, v80
	s_delay_alu instid0(VALU_DEP_3) | instskip(NEXT) | instid1(VALU_DEP_3)
	v_dual_fmac_f32 v17, v83, v81 :: v_dual_lshrrev_b32 v20, 16, v11
	v_fmac_f32_e32 v18, v28, v52
	s_delay_alu instid0(VALU_DEP_3) | instskip(NEXT) | instid1(VALU_DEP_3)
	v_dual_fmac_f32 v16, v55, v88 :: v_dual_fmac_f32 v19, v50, v54
	v_fmac_f32_e32 v17, v29, v89
	v_and_b32_e32 v11, 0xffff, v11
	s_delay_alu instid0(VALU_DEP_3) | instskip(NEXT) | instid1(VALU_DEP_4)
	v_dual_fmac_f32 v18, v22, v25 :: v_dual_fmac_f32 v16, v15, v27
	v_fmac_f32_e32 v19, v14, v26
	s_delay_alu instid0(VALU_DEP_4)
	v_fmac_f32_e32 v17, v23, v42
	s_wait_dscnt 0x0
	v_and_b32_e32 v14, 0xffff, v12
	v_lshrrev_b32_e32 v12, 16, v12
	;;#ASMSTART
	v_cvt_f32_f16 v14, v14;
	;;#ASMEND
	;;#ASMSTART
	v_cvt_f32_f16 v12, v12;
	;;#ASMEND
	;;#ASMSTART
	v_cvt_f32_f16 v10, v10;
	;;#ASMEND
	v_dual_fmac_f32 v18, v14, v10 :: v_dual_lshrrev_b32 v15, 16, v13
	v_and_b32_e32 v13, 0xffff, v13
	;;#ASMSTART
	v_cvt_f32_f16 v21, v24;
	;;#ASMEND
	;;#ASMSTART
	v_cvt_f32_f16 v10, v13;
	;;#ASMEND
	v_fmac_f32_e32 v19, v12, v21
	;;#ASMSTART
	v_cvt_f32_f16 v12, v15;
	;;#ASMEND
	;;#ASMSTART
	v_cvt_f32_f16 v11, v11;
	;;#ASMEND
	v_fmac_f32_e32 v16, v10, v11
	;;#ASMSTART
	v_cvt_f32_f16 v11, v20;
	;;#ASMEND
	v_add_f32_e32 v10, v18, v19
	v_dual_fmac_f32 v17, v12, v11 :: v_dual_cndmask_b32 v11, v33, v40, s4
	s_delay_alu instid0(VALU_DEP_1) | instskip(NEXT) | instid1(VALU_DEP_1)
	v_dual_add_f32 v10, v10, v16 :: v_dual_lshlrev_b32 v11, 2, v11
	v_add_f32_e32 v10, v17, v10
	ds_bpermute_b32 v11, v11, v10
	s_and_saveexec_b32 s38, s3
	s_cbranch_execz .LBB74_10
; %bb.18:                               ;   in Loop: Header=BB74_12 Depth=1
	s_wait_dscnt 0x0
	v_dual_add_nc_u32 v12, v37, v2 :: v_dual_add_f32 v10, v10, v11
	s_delay_alu instid0(VALU_DEP_1) | instskip(NEXT) | instid1(VALU_DEP_1)
	v_cvt_f32_i32_e32 v12, v12
	v_mul_f32_e32 v12, s35, v12
	s_delay_alu instid0(VALU_DEP_1) | instskip(NEXT) | instid1(VALU_DEP_1)
	v_cndmask_b32_e32 v11, 0, v12, vcc_lo
	v_fmac_f32_e32 v11, s23, v10
	v_add_nc_u32_e32 v10, v34, v2
	s_delay_alu instid0(VALU_DEP_1) | instskip(NEXT) | instid1(VALU_DEP_1)
	v_cmp_gt_i32_e64 s4, s31, v10
	v_dual_max_num_f32 v12, v36, v36 :: v_dual_cndmask_b32 v10, 0, v11, s4
	s_delay_alu instid0(VALU_DEP_1)
	v_max_num_f32_e32 v12, v12, v11
	ds_store_b32 v38, v10
	v_cndmask_b32_e64 v36, v36, v12, s4
	s_branch .LBB74_10
.LBB74_19:
	s_or_b32 exec_lo, exec_lo, s37
.LBB74_20:
	s_delay_alu instid0(SALU_CYCLE_1)
	s_or_b32 exec_lo, exec_lo, s22
	v_dual_max_num_f32 v5, v36, v36 :: v_dual_bitop2_b32 v2, 16, v33 bitop3:0x14
	s_clause 0x1
	s_load_b64 s[4:5], s[0:1], 0x0
	s_load_b64 s[22:23], s[0:1], 0x18
	v_xor_b32_e32 v4, 8, v33
	v_xor_b32_e32 v8, 4, v33
	v_cmp_gt_i32_e32 vcc_lo, 32, v2
	v_dual_cndmask_b32 v2, v33, v2, vcc_lo :: v_dual_bitop2_b32 v19, 31, v0 bitop3:0x40
	s_delay_alu instid0(VALU_DEP_4) | instskip(NEXT) | instid1(VALU_DEP_2)
	v_cmp_gt_i32_e32 vcc_lo, 32, v4
	v_dual_cndmask_b32 v4, v33, v4 :: v_dual_lshlrev_b32 v3, 2, v2
	v_cmp_gt_i32_e32 vcc_lo, 32, v8
	ds_bpermute_b32 v2, v3, v36
	s_wait_dscnt 0x0
	v_dual_lshlrev_b32 v4, 2, v4 :: v_dual_max_num_f32 v2, v2, v2
	s_delay_alu instid0(VALU_DEP_1) | instskip(SKIP_3) | instid1(VALU_DEP_1)
	v_max_num_f32_e32 v2, v5, v2
	ds_bpermute_b32 v5, v4, v2
	s_wait_dscnt 0x0
	v_max_num_f32_e32 v9, v5, v5
	v_dual_cndmask_b32 v8, v33, v8, vcc_lo :: v_dual_max_num_f32 v2, v2, v9
	s_delay_alu instid0(VALU_DEP_1) | instskip(SKIP_3) | instid1(VALU_DEP_1)
	v_lshlrev_b32_e32 v5, 2, v8
	ds_bpermute_b32 v8, v5, v2
	s_wait_dscnt 0x0
	v_dual_max_num_f32 v8, v8, v8 :: v_dual_bitop2_b32 v9, 2, v33 bitop3:0x14
	v_cmp_gt_i32_e32 vcc_lo, 32, v9
	s_delay_alu instid0(VALU_DEP_2) | instskip(SKIP_2) | instid1(VALU_DEP_3)
	v_dual_cndmask_b32 v10, v33, v9 :: v_dual_max_num_f32 v9, v2, v8
	v_lshlrev_b32_e32 v8, 2, v32
	v_cmp_eq_u32_e32 vcc_lo, 0, v19
	v_lshlrev_b32_e32 v2, 2, v10
	ds_bpermute_b32 v10, v2, v9
	s_wait_xcnt 0x0
	s_and_saveexec_b32 s0, vcc_lo
	s_cbranch_execz .LBB74_22
; %bb.21:
	s_wait_dscnt 0x0
	v_dual_max_num_f32 v10, v10, v10 :: v_dual_max_num_f32 v9, v9, v9
	s_delay_alu instid0(VALU_DEP_1)
	v_max_num_f32_e32 v9, v9, v10
	ds_store_b32 v8, v9 offset:160
.LBB74_22:
	s_or_b32 exec_lo, exec_lo, s0
	v_cmp_gt_u32_e64 s0, 4, v19
	s_wait_dscnt 0x0
	v_dual_mov_b32 v10, 0xff7fffff :: v_dual_lshlrev_b32 v9, 2, v19
	s_barrier_signal -1
	s_barrier_wait -1
	s_and_saveexec_b32 s1, s0
; %bb.23:
	ds_load_b32 v10, v9 offset:160
; %bb.24:
	s_or_b32 exec_lo, exec_lo, s1
	s_wait_dscnt 0x0
	ds_bpermute_b32 v11, v2, v10
	v_dual_max_num_f32 v10, v10, v10 :: v_dual_bitop2_b32 v12, 1, v33 bitop3:0x14
	s_delay_alu instid0(VALU_DEP_1) | instskip(NEXT) | instid1(VALU_DEP_1)
	v_cmp_gt_i32_e64 s1, 32, v12
	v_cndmask_b32_e64 v12, v33, v12, s1
	s_lshl_b32 s1, s34, 4
	s_delay_alu instid0(SALU_CYCLE_1) | instskip(NEXT) | instid1(SALU_CYCLE_1)
	s_min_i32 s15, s1, s31
	v_cmp_gt_i32_e64 s1, s15, v0
	s_wait_dscnt 0x0
	v_dual_max_num_f32 v11, v11, v11 :: v_dual_lshlrev_b32 v20, 2, v12
	s_delay_alu instid0(VALU_DEP_1) | instskip(SKIP_3) | instid1(VALU_DEP_1)
	v_max_num_f32_e32 v10, v10, v11
	ds_bpermute_b32 v11, v20, v10
	s_wait_dscnt 0x0
	v_max_num_f32_e32 v11, v11, v11
	v_dual_max_num_f32 v11, v10, v11 :: v_dual_mov_b32 v10, 0
	ds_bpermute_b32 v11, v10, v11
	s_and_saveexec_b32 s24, s1
	s_cbranch_execz .LBB74_28
; %bb.25:
	v_lshl_add_u32 v12, v0, 2, 0xc0
	v_dual_mov_b32 v10, 0 :: v_dual_mov_b32 v13, v0
	s_mov_b32 s25, 0
.LBB74_26:                              ; =>This Inner Loop Header: Depth=1
	ds_load_b32 v14, v12
	v_add_nc_u32_e32 v13, 0x80, v13
	s_delay_alu instid0(VALU_DEP_1) | instskip(SKIP_3) | instid1(VALU_DEP_1)
	v_cmp_le_i32_e64 s3, s15, v13
	s_or_b32 s25, s3, s25
	s_wait_dscnt 0x0
	v_sub_f32_e32 v14, v14, v11
	v_mul_f32_e32 v14, 0x3fb8aa3b, v14
	s_delay_alu instid0(VALU_DEP_1)
	v_exp_f32_e32 v14, v14
	ds_store_b32 v12, v14
	v_nop
	v_add_f32_e32 v10, v10, v14
	v_add_nc_u32_e32 v12, 0x200, v12
	s_and_not1_b32 exec_lo, exec_lo, s25
	s_cbranch_execnz .LBB74_26
; %bb.27:
	s_or_b32 exec_lo, exec_lo, s25
.LBB74_28:
	s_delay_alu instid0(SALU_CYCLE_1)
	s_or_b32 exec_lo, exec_lo, s24
	ds_bpermute_b32 v3, v3, v10
	s_wait_dscnt 0x0
	v_add_f32_e32 v3, v10, v3
	ds_bpermute_b32 v4, v4, v3
	s_wait_dscnt 0x0
	v_add_f32_e32 v3, v3, v4
	;; [unrolled: 3-line block ×5, first 2 shown]
	s_and_saveexec_b32 s3, vcc_lo
; %bb.29:
	ds_store_b32 v8, v3 offset:176
; %bb.30:
	s_or_b32 exec_lo, exec_lo, s3
	s_wait_dscnt 0x0
	s_barrier_signal -1
	s_barrier_wait -1
	s_and_saveexec_b32 s3, s0
; %bb.31:
	ds_load_b32 v3, v9 offset:176
; %bb.32:
	s_or_b32 exec_lo, exec_lo, s3
	s_wait_dscnt 0x0
	ds_bpermute_b32 v2, v2, v3
	s_wait_dscnt 0x0
	v_dual_mov_b32 v9, 0 :: v_dual_add_f32 v2, v3, v2
	ds_bpermute_b32 v3, v20, v2
	s_wait_dscnt 0x0
	v_add_f32_e32 v2, v2, v3
	ds_bpermute_b32 v2, v9, v2
	s_and_saveexec_b32 s0, s1
	s_cbranch_execz .LBB74_45
; %bb.33:
	s_wait_dscnt 0x0
	v_add_f32_e32 v2, 0x358637bd, v2
	s_mov_b32 s3, -1
	s_mov_b32 s1, exec_lo
	s_delay_alu instid0(VALU_DEP_1) | instskip(NEXT) | instid1(VALU_DEP_1)
	v_div_scale_f32 v3, null, v2, v2, 1.0
	v_rcp_f32_e32 v5, v3
	v_nop
	s_delay_alu instid0(TRANS32_DEP_1) | instskip(NEXT) | instid1(VALU_DEP_1)
	v_fma_f32 v4, -v3, v5, 1.0
	v_fmac_f32_e32 v5, v4, v5
	v_div_scale_f32 v8, vcc_lo, 1.0, v2, 1.0
	s_delay_alu instid0(VALU_DEP_1) | instskip(NEXT) | instid1(VALU_DEP_1)
	v_mul_f32_e32 v10, v8, v5
	v_fma_f32 v4, -v3, v10, v8
	s_delay_alu instid0(VALU_DEP_1) | instskip(SKIP_1) | instid1(VALU_DEP_2)
	v_fmac_f32_e32 v10, v4, v5
	v_xad_u32 v4, v0, -1, s15
	v_fma_f32 v3, -v3, v10, v8
	s_delay_alu instid0(VALU_DEP_1) | instskip(NEXT) | instid1(VALU_DEP_1)
	v_div_fmas_f32 v3, v3, v5, v10
	v_div_fixup_f32 v2, v3, v2, 1.0
	v_mov_b32_e32 v3, v0
	v_cmpx_lt_u32_e32 0x7f, v4
	s_cbranch_execz .LBB74_42
; %bb.34:
	s_delay_alu instid0(VALU_DEP_3) | instskip(NEXT) | instid1(VALU_DEP_1)
	v_dual_mov_b32 v3, v2 :: v_dual_lshrrev_b32 v4, 7, v4
	v_dual_mov_b32 v11, 0 :: v_dual_add_nc_u32 v5, -1, v4
	s_delay_alu instid0(VALU_DEP_1) | instskip(SKIP_1) | instid1(VALU_DEP_2)
	v_lshrrev_b32_e32 v8, 1, v5
	v_cmp_lt_u32_e32 vcc_lo, 13, v5
	v_add_nc_u32_e32 v5, 1, v8
	s_and_saveexec_b32 s3, vcc_lo
	s_cbranch_execz .LBB74_38
; %bb.35:
	s_delay_alu instid0(VALU_DEP_1)
	v_and_b32_e32 v8, -8, v5
	v_lshl_add_u32 v10, v0, 2, 0xc0
	s_mov_b32 s24, 0
	s_mov_b32 s25, 0
.LBB74_36:                              ; =>This Inner Loop Header: Depth=1
	ds_load_2addr_stride64_b32 v[12:13], v10 offset1:2
	ds_load_2addr_stride64_b32 v[14:15], v10 offset0:4 offset1:6
	ds_load_2addr_stride64_b32 v[16:17], v10 offset0:8 offset1:10
	;; [unrolled: 1-line block ×7, first 2 shown]
	s_add_co_i32 s25, s25, 16
	s_delay_alu instid0(SALU_CYCLE_1) | instskip(NEXT) | instid1(VALU_DEP_1)
	v_dual_mov_b32 v11, s25 :: v_dual_add_nc_u32 v8, -8, v8
	v_cmp_eq_u32_e32 vcc_lo, 0, v8
	s_or_b32 s24, vcc_lo, s24
	s_wait_dscnt 0x7
	v_pk_mul_f32 v[12:13], v[2:3], v[12:13]
	s_wait_dscnt 0x6
	v_pk_mul_f32 v[14:15], v[2:3], v[14:15]
	;; [unrolled: 2-line block ×8, first 2 shown]
	ds_store_2addr_stride64_b32 v10, v12, v13 offset1:2
	ds_store_2addr_stride64_b32 v10, v14, v15 offset0:4 offset1:6
	ds_store_2addr_stride64_b32 v10, v16, v17 offset0:8 offset1:10
	;; [unrolled: 1-line block ×7, first 2 shown]
	v_add_nc_u32_e32 v10, 0x2000, v10
	s_and_not1_b32 exec_lo, exec_lo, s24
	s_cbranch_execnz .LBB74_36
; %bb.37:
	s_or_b32 exec_lo, exec_lo, s24
.LBB74_38:
	s_delay_alu instid0(SALU_CYCLE_1) | instskip(NEXT) | instid1(VALU_DEP_1)
	s_or_b32 exec_lo, exec_lo, s3
	v_and_b32_e32 v5, 7, v5
	s_mov_b32 s24, 0
	s_mov_b32 s3, exec_lo
	s_delay_alu instid0(VALU_DEP_1)
	v_cmpx_ne_u32_e32 0, v5
	s_cbranch_execz .LBB74_41
; %bb.39:
	v_dual_lshlrev_b32 v8, 9, v11 :: v_dual_lshlrev_b32 v10, 2, v0
	s_delay_alu instid0(VALU_DEP_1)
	v_add3_u32 v8, v8, v10, 0xc0
.LBB74_40:                              ; =>This Inner Loop Header: Depth=1
	ds_load_2addr_stride64_b32 v[10:11], v8 offset1:2
	v_add_nc_u32_e32 v5, -1, v5
	s_delay_alu instid0(VALU_DEP_1)
	v_cmp_eq_u32_e32 vcc_lo, 0, v5
	s_or_b32 s24, vcc_lo, s24
	s_wait_dscnt 0x0
	v_pk_mul_f32 v[10:11], v[2:3], v[10:11]
	ds_store_2addr_stride64_b32 v8, v10, v11 offset1:2
	v_add_nc_u32_e32 v8, 0x400, v8
	s_and_not1_b32 exec_lo, exec_lo, s24
	s_cbranch_execnz .LBB74_40
.LBB74_41:
	s_or_b32 exec_lo, exec_lo, s3
	v_add_nc_u32_e32 v3, 1, v4
	s_delay_alu instid0(VALU_DEP_1) | instskip(NEXT) | instid1(VALU_DEP_1)
	v_and_b32_e32 v4, 0x3fffffe, v3
	v_cmp_ne_u32_e32 vcc_lo, v3, v4
	v_lshl_add_u32 v3, v4, 7, v0
	s_or_not1_b32 s3, vcc_lo, exec_lo
.LBB74_42:
	s_or_b32 exec_lo, exec_lo, s1
	s_delay_alu instid0(SALU_CYCLE_1)
	s_and_b32 exec_lo, exec_lo, s3
	s_cbranch_execz .LBB74_45
; %bb.43:
	v_lshl_add_u32 v4, v3, 2, 0xc0
	s_mov_b32 s1, 0
.LBB74_44:                              ; =>This Inner Loop Header: Depth=1
	ds_load_b32 v5, v4
	v_add_nc_u32_e32 v3, 0x80, v3
	s_delay_alu instid0(VALU_DEP_1)
	v_cmp_le_i32_e32 vcc_lo, s15, v3
	s_or_b32 s1, vcc_lo, s1
	s_wait_dscnt 0x0
	v_mul_f32_e32 v5, v2, v5
	ds_store_b32 v4, v5
	v_add_nc_u32_e32 v4, 0x200, v4
	s_and_not1_b32 exec_lo, exec_lo, s1
	s_cbranch_execnz .LBB74_44
.LBB74_45:
	s_or_b32 exec_lo, exec_lo, s0
	v_dual_mov_b32 v8, 0 :: v_dual_mov_b32 v11, 0
	v_dual_mov_b32 v10, 0 :: v_dual_mov_b32 v21, 0
	s_wait_dscnt 0x0
	s_barrier_signal -1
	s_barrier_wait -1
	s_and_saveexec_b32 s1, s2
	s_cbranch_execz .LBB74_61
; %bb.46:
	s_abs_i32 s10, s10
	v_dual_lshlrev_b32 v4, 4, v0 :: v_dual_bitop2_b32 v22, 8, v7 bitop3:0x40
	s_cvt_f32_u32 s0, s10
	v_mov_b32_e32 v7, 0
	v_and_b32_e32 v2, 0x7c, v1
	v_lshlrev_b32_e32 v1, 5, v31
	v_rcp_iflag_f32_e32 v3, s0
	s_ashr_i32 s15, s14, 31
	v_and_b32_e32 v4, 0x1f0, v4
	v_mov_b32_e32 v5, v7
	s_lshl_b64 s[20:21], s[20:21], 2
	s_lshl_b64 s[14:15], s[14:15], 1
	v_lshl_or_b32 v1, v32, 6, v1
	v_readfirstlane_b32 s0, v3
	v_mov_b32_e32 v3, v7
	s_add_nc_u64 s[18:19], s[18:19], s[20:21]
	s_wait_kmcnt 0x0
	s_add_nc_u64 s[14:15], s[22:23], s[14:15]
	s_sub_co_i32 s24, s8, s9
	s_mul_f32 s0, s0, 0x4f7ffffe
	s_sub_co_i32 s8, 0, s10
	v_add_nc_u64_e32 v[12:13], s[14:15], v[4:5]
	v_add_nc_u64_e32 v[14:15], s[18:19], v[2:3]
	s_cvt_u32_f32 s0, s0
	v_dual_mov_b32 v24, v32 :: v_dual_add_nc_u32 v23, 0xc0, v1
	v_dual_mov_b32 v21, v7 :: v_dual_mov_b32 v10, v7
	s_delay_alu instid0(SALU_CYCLE_1)
	s_mul_i32 s8, s8, s0
	v_dual_mov_b32 v11, v7 :: v_dual_mov_b32 v8, v7
	v_mov_b32_e32 v9, v7
	s_mov_b32 s9, 0
	s_mul_hi_u32 s8, s0, s8
	s_ashr_i32 s3, s13, 31
	s_mov_b32 s2, s13
	s_add_co_i32 s13, s34, -1
	s_mov_b32 s14, s31
	s_add_co_i32 s8, s0, s8
	s_mov_b32 s15, s9
	s_branch .LBB74_49
.LBB74_47:                              ;   in Loop: Header=BB74_49 Depth=1
	s_or_b32 exec_lo, exec_lo, s0
	v_dual_lshlrev_b32 v16, 16, v16 :: v_dual_lshlrev_b32 v1, 16, v1
	s_delay_alu instid0(VALU_DEP_2) | instskip(NEXT) | instid1(VALU_DEP_2)
	v_lshlrev_b32_e32 v17, 16, v17
	v_and_or_b32 v2, 0xffff, v2, v16
	s_delay_alu instid0(VALU_DEP_3) | instskip(SKIP_1) | instid1(VALU_DEP_4)
	v_and_or_b32 v3, 0xffff, v3, v1
	v_add_f32_e32 v1, v18, v36
	v_and_or_b32 v4, 0xffff, v4, v17
	;;#ASMSTART
	v_pk_mul_f16 v2, v38, v2;

	;;#ASMEND
	;;#ASMSTART
	v_pk_mul_f16 v3, v37, v3;

	;;#ASMEND
	;; [unrolled: 4-line block ×4, first 2 shown]
	;;#ASMSTART
	v_pk_add_f16 v2, v2, v3;

	;;#ASMEND
	;;#ASMSTART
	v_pk_add_f16 v2, v2, v4;

	;;#ASMEND
	;; [unrolled: 4-line block ×3, first 2 shown]
	v_dual_add_f32 v3, v43, v44 :: v_dual_lshrrev_b32 v16, 16, v2
	v_and_b32_e32 v5, 0xffff, v2
	;;#ASMSTART
	v_cvt_f32_f16 v5, v5;
	;;#ASMEND
	v_add_f32_e32 v2, v45, v46
	v_add_f32_e32 v4, v41, v42
	;;#ASMSTART
	v_cvt_f32_f16 v16, v16;
	;;#ASMEND
	v_dual_add_f32 v11, v11, v3 :: v_dual_add_f32 v5, v5, v16
	s_delay_alu instid0(VALU_DEP_3) | instskip(NEXT) | instid1(VALU_DEP_2)
	v_dual_add_f32 v8, v8, v2 :: v_dual_add_f32 v9, v9, v1
	v_dual_add_f32 v10, v10, v4 :: v_dual_add_f32 v21, v21, v5
.LBB74_48:                              ;   in Loop: Header=BB74_49 Depth=1
	s_or_b32 exec_lo, exec_lo, s18
	v_dual_add_nc_u32 v24, 4, v24 :: v_dual_add_nc_u32 v6, 64, v6
	v_add_nc_u64_e32 v[14:15], 16, v[14:15]
	v_add_nc_u32_e32 v23, 0x100, v23
	s_delay_alu instid0(VALU_DEP_3) | instskip(SKIP_1) | instid1(SALU_CYCLE_1)
	v_cmp_le_i32_e32 vcc_lo, s34, v24
	s_or_b32 s15, vcc_lo, s15
	s_and_not1_b32 exec_lo, exec_lo, s15
	s_cbranch_execz .LBB74_60
.LBB74_49:                              ; =>This Inner Loop Header: Depth=1
	v_mul_u64_e32 v[2:3], s[16:17], v[6:7]
	s_delay_alu instid0(VALU_DEP_1) | instskip(NEXT) | instid1(VALU_DEP_1)
	v_mul_lo_u32 v1, v3, s12
	v_dual_add_nc_u32 v2, 1, v3 :: v_dual_sub_nc_u32 v1, v6, v1
	s_delay_alu instid0(VALU_DEP_1) | instskip(SKIP_1) | instid1(VALU_DEP_2)
	v_subrev_nc_u32_e32 v4, s12, v1
	v_cmp_le_u32_e32 vcc_lo, s12, v1
	v_dual_cndmask_b32 v2, v3, v2 :: v_dual_cndmask_b32 v1, v1, v4
	s_delay_alu instid0(VALU_DEP_1) | instskip(NEXT) | instid1(VALU_DEP_2)
	v_add_nc_u32_e32 v3, 1, v2
	v_cmp_le_u32_e32 vcc_lo, s12, v1
	s_delay_alu instid0(VALU_DEP_2) | instskip(NEXT) | instid1(VALU_DEP_1)
	v_dual_cndmask_b32 v1, v2, v3, vcc_lo :: v_dual_mov_b32 v3, v7
	v_xor_b32_e32 v1, s11, v1
	s_delay_alu instid0(VALU_DEP_1) | instskip(NEXT) | instid1(VALU_DEP_1)
	v_subrev_nc_u32_e32 v1, s11, v1
	v_add_nc_u32_e32 v16, s33, v1
	v_cmp_lt_i32_e64 s0, s24, v1
	s_delay_alu instid0(VALU_DEP_2) | instskip(NEXT) | instid1(VALU_DEP_1)
	v_sub_nc_u32_e32 v2, 0, v16
	v_max_i32_e32 v2, v16, v2
	s_delay_alu instid0(VALU_DEP_1) | instskip(SKIP_1) | instid1(VALU_DEP_2)
	v_mul_u64_e32 v[4:5], s[8:9], v[2:3]
	v_ashrrev_i32_e32 v4, 31, v16
	v_mul_lo_u32 v3, v5, s10
	s_delay_alu instid0(VALU_DEP_1) | instskip(NEXT) | instid1(VALU_DEP_1)
	v_sub_nc_u32_e32 v2, v2, v3
	v_subrev_nc_u32_e32 v3, s10, v2
	v_cmp_le_u32_e32 vcc_lo, s10, v2
	s_delay_alu instid0(VALU_DEP_2) | instskip(NEXT) | instid1(VALU_DEP_1)
	v_cndmask_b32_e32 v2, v2, v3, vcc_lo
	v_subrev_nc_u32_e32 v3, s10, v2
	v_cmp_le_u32_e32 vcc_lo, s10, v2
	s_delay_alu instid0(VALU_DEP_2) | instskip(NEXT) | instid1(VALU_DEP_1)
	v_cndmask_b32_e32 v2, v2, v3, vcc_lo
	v_xor_b32_e32 v2, v2, v4
	s_delay_alu instid0(VALU_DEP_1) | instskip(NEXT) | instid1(VALU_DEP_1)
	v_sub_nc_u32_e32 v2, v2, v4
	v_cmp_eq_u32_e32 vcc_lo, 0, v2
	s_or_b32 s0, vcc_lo, s0
	s_delay_alu instid0(SALU_CYCLE_1)
	s_and_saveexec_b32 s18, s0
	s_cbranch_execz .LBB74_48
; %bb.50:                               ;   in Loop: Header=BB74_49 Depth=1
	global_load_b32 v2, v[14:15], off
	v_cmp_eq_u32_e32 vcc_lo, s13, v24
	s_wait_loadcnt 0x0
	v_ashrrev_i32_e32 v3, 31, v2
	s_delay_alu instid0(VALU_DEP_1)
	v_mul_u64_e32 v[16:17], s[2:3], v[2:3]
	ds_load_2addr_b64 v[2:5], v23 offset1:1
	ds_load_2addr_b64 v[26:29], v23 offset0:2 offset1:3
	s_wait_dscnt 0x1
	;;#ASMSTART
	v_cvt_f16_f32 v38, v2;

	;;#ASMEND
	;;#ASMSTART
	v_cvt_f16_f32 v37, v3;

	;;#ASMEND
	;; [unrolled: 4-line block ×4, first 2 shown]
	s_wait_dscnt 0x0
	;;#ASMSTART
	v_cvt_f16_f32 v44, v26;

	;;#ASMEND
	;;#ASMSTART
	v_cvt_f16_f32 v39, v27;

	;;#ASMEND
	;; [unrolled: 4-line block ×4, first 2 shown]
	v_lshl_add_u64 v[16:17], v[16:17], 1, v[12:13]
	global_load_b128 v[2:5], v[16:17], off
	s_wait_loadcnt 0x0
	v_dual_add_nc_u32 v29, v22, v6 :: v_dual_lshrrev_b32 v1, 16, v3
	s_delay_alu instid0(VALU_DEP_1)
	v_dual_add_nc_u32 v34, 2, v29 :: v_dual_add_nc_u32 v26, 4, v29
	v_dual_add_nc_u32 v25, 5, v29 :: v_dual_add_nc_u32 v28, 6, v29
	v_dual_add_nc_u32 v27, 7, v29 :: v_dual_bitop2_b32 v35, 3, v29 bitop3:0x54
	v_dual_lshrrev_b32 v18, 16, v2 :: v_dual_lshrrev_b32 v36, 16, v4
	v_or_b32_e32 v33, 1, v29
	s_and_saveexec_b32 s19, vcc_lo
	s_cbranch_execz .LBB74_52
; %bb.51:                               ;   in Loop: Header=BB74_49 Depth=1
	v_cmp_gt_i32_e64 s0, s31, v29
	v_and_b32_e32 v45, 0xffff, v5
	v_and_b32_e32 v5, 0xffff0000, v5
	s_delay_alu instid0(VALU_DEP_3) | instskip(SKIP_1) | instid1(VALU_DEP_1)
	v_cndmask_b32_e64 v2, 0, v2, s0
	v_cmp_gt_i32_e64 s0, s31, v34
	v_cndmask_b32_e64 v3, 0, v3, s0
	v_cmp_gt_i32_e64 s0, s14, v35
	s_delay_alu instid0(VALU_DEP_1) | instskip(SKIP_1) | instid1(VALU_DEP_1)
	v_cndmask_b32_e64 v1, 0, v1, s0
	v_cmp_gt_i32_e64 s0, s31, v33
	v_cndmask_b32_e64 v18, 0, v18, s0
	v_cmp_gt_i32_e64 s0, s31, v28
	s_delay_alu instid0(VALU_DEP_1) | instskip(SKIP_1) | instid1(VALU_DEP_1)
	;; [unrolled: 5-line block ×3, first 2 shown]
	v_cndmask_b32_e64 v4, 0, v4, s0
	v_cmp_gt_i32_e64 s0, s31, v25
	v_dual_cndmask_b32 v36, 0, v36, s0 :: v_dual_bitop2_b32 v5, v45, v5 bitop3:0x54
.LBB74_52:                              ;   in Loop: Header=BB74_49 Depth=1
	s_or_b32 exec_lo, exec_lo, s19
	v_and_b32_e32 v38, 0xffff, v38
	v_and_b32_e32 v43, 0xffff, v43
	v_dual_lshlrev_b32 v18, 16, v18 :: v_dual_lshlrev_b32 v1, 16, v1
	v_lshlrev_b32_e32 v36, 16, v36
	v_and_b32_e32 v44, 0xffff, v44
	v_lshl_or_b32 v38, v37, 16, v38
	v_lshl_or_b32 v37, v41, 16, v43
	v_and_b32_e32 v41, 0xffff, v42
	v_and_or_b32 v2, 0xffff, v2, v18
	v_and_or_b32 v1, 0xffff, v3, v1
	;; [unrolled: 1-line block ×3, first 2 shown]
	;;#ASMSTART
	v_pk_mul_f16 v2, v38, v2;

	;;#ASMEND
	;;#ASMSTART
	v_pk_mul_f16 v1, v37, v1;

	;;#ASMEND
	v_lshl_or_b32 v39, v39, 16, v44
	v_lshl_or_b32 v40, v40, 16, v41
	;;#ASMSTART
	v_pk_mul_f16 v3, v39, v3;

	;;#ASMEND
	;;#ASMSTART
	v_pk_mul_f16 v4, v40, v5;

	;;#ASMEND
	;;#ASMSTART
	v_pk_add_f16 v1, v2, v1;

	;;#ASMEND
	;;#ASMSTART
	v_pk_add_f16 v1, v1, v3;
	;; [unrolled: 4-line block ×3, first 2 shown]

	;;#ASMEND
	v_and_b32_e32 v2, 0xffff, v1
	v_lshrrev_b32_e32 v1, 16, v1
	;;#ASMSTART
	v_cvt_f32_f16 v41, v2;
	;;#ASMEND
	;;#ASMSTART
	v_cvt_f32_f16 v42, v1;
	;;#ASMEND
	global_load_b128 v[2:5], v[16:17], off offset:512
	s_wait_loadcnt 0x0
	v_dual_lshrrev_b32 v1, 16, v3 :: v_dual_lshrrev_b32 v18, 16, v2
	v_lshrrev_b32_e32 v36, 16, v4
	s_and_saveexec_b32 s19, vcc_lo
	s_cbranch_execz .LBB74_54
; %bb.53:                               ;   in Loop: Header=BB74_49 Depth=1
	v_cmp_gt_i32_e64 s0, s31, v29
	v_and_b32_e32 v43, 0xffff, v5
	v_and_b32_e32 v5, 0xffff0000, v5
	s_delay_alu instid0(VALU_DEP_3) | instskip(SKIP_1) | instid1(VALU_DEP_1)
	v_cndmask_b32_e64 v2, 0, v2, s0
	v_cmp_gt_i32_e64 s0, s31, v34
	v_cndmask_b32_e64 v3, 0, v3, s0
	v_cmp_gt_i32_e64 s0, s14, v35
	s_delay_alu instid0(VALU_DEP_1) | instskip(SKIP_1) | instid1(VALU_DEP_1)
	v_cndmask_b32_e64 v1, 0, v1, s0
	v_cmp_gt_i32_e64 s0, s31, v33
	v_cndmask_b32_e64 v18, 0, v18, s0
	v_cmp_gt_i32_e64 s0, s31, v28
	s_delay_alu instid0(VALU_DEP_1) | instskip(SKIP_1) | instid1(VALU_DEP_1)
	;; [unrolled: 5-line block ×3, first 2 shown]
	v_dual_cndmask_b32 v4, 0, v4, s0 :: v_dual_bitop2_b32 v5, v43, v5 bitop3:0x54
	v_cmp_gt_i32_e64 s0, s31, v25
	v_cndmask_b32_e64 v36, 0, v36, s0
.LBB74_54:                              ;   in Loop: Header=BB74_49 Depth=1
	s_or_b32 exec_lo, exec_lo, s19
	v_dual_lshlrev_b32 v18, 16, v18 :: v_dual_lshlrev_b32 v1, 16, v1
	s_delay_alu instid0(VALU_DEP_2) | instskip(NEXT) | instid1(VALU_DEP_2)
	v_lshlrev_b32_e32 v36, 16, v36
	v_and_or_b32 v2, 0xffff, v2, v18
	s_delay_alu instid0(VALU_DEP_3) | instskip(NEXT) | instid1(VALU_DEP_3)
	v_and_or_b32 v1, 0xffff, v3, v1
	v_and_or_b32 v3, 0xffff, v4, v36
	;;#ASMSTART
	v_pk_mul_f16 v2, v38, v2;

	;;#ASMEND
	;;#ASMSTART
	v_pk_mul_f16 v1, v37, v1;

	;;#ASMEND
	;; [unrolled: 4-line block ×4, first 2 shown]
	;;#ASMSTART
	v_pk_add_f16 v1, v2, v1;

	;;#ASMEND
	;;#ASMSTART
	v_pk_add_f16 v1, v1, v3;

	;;#ASMEND
	;; [unrolled: 4-line block ×3, first 2 shown]
	v_and_b32_e32 v2, 0xffff, v1
	v_lshrrev_b32_e32 v1, 16, v1
	;;#ASMSTART
	v_cvt_f32_f16 v43, v2;
	;;#ASMEND
	;;#ASMSTART
	v_cvt_f32_f16 v44, v1;
	;;#ASMEND
	global_load_b128 v[2:5], v[16:17], off offset:1024
	s_wait_loadcnt 0x0
	v_dual_lshrrev_b32 v1, 16, v3 :: v_dual_lshrrev_b32 v18, 16, v2
	v_lshrrev_b32_e32 v36, 16, v4
	s_and_saveexec_b32 s19, vcc_lo
	s_cbranch_execz .LBB74_56
; %bb.55:                               ;   in Loop: Header=BB74_49 Depth=1
	v_cmp_gt_i32_e64 s0, s31, v29
	v_and_b32_e32 v45, 0xffff, v5
	v_and_b32_e32 v5, 0xffff0000, v5
	s_delay_alu instid0(VALU_DEP_3) | instskip(SKIP_1) | instid1(VALU_DEP_1)
	v_cndmask_b32_e64 v2, 0, v2, s0
	v_cmp_gt_i32_e64 s0, s31, v34
	v_cndmask_b32_e64 v3, 0, v3, s0
	v_cmp_gt_i32_e64 s0, s14, v35
	s_delay_alu instid0(VALU_DEP_1) | instskip(SKIP_1) | instid1(VALU_DEP_1)
	v_cndmask_b32_e64 v1, 0, v1, s0
	v_cmp_gt_i32_e64 s0, s31, v33
	v_cndmask_b32_e64 v18, 0, v18, s0
	v_cmp_gt_i32_e64 s0, s31, v28
	s_delay_alu instid0(VALU_DEP_1) | instskip(SKIP_1) | instid1(VALU_DEP_1)
	;; [unrolled: 5-line block ×3, first 2 shown]
	v_cndmask_b32_e64 v4, 0, v4, s0
	v_cmp_gt_i32_e64 s0, s31, v25
	v_dual_cndmask_b32 v36, 0, v36, s0 :: v_dual_bitop2_b32 v5, v45, v5 bitop3:0x54
.LBB74_56:                              ;   in Loop: Header=BB74_49 Depth=1
	s_or_b32 exec_lo, exec_lo, s19
	v_dual_lshlrev_b32 v18, 16, v18 :: v_dual_lshlrev_b32 v1, 16, v1
	s_delay_alu instid0(VALU_DEP_2) | instskip(NEXT) | instid1(VALU_DEP_2)
	v_lshlrev_b32_e32 v36, 16, v36
	v_and_or_b32 v2, 0xffff, v2, v18
	s_delay_alu instid0(VALU_DEP_3) | instskip(NEXT) | instid1(VALU_DEP_3)
	v_and_or_b32 v1, 0xffff, v3, v1
	v_and_or_b32 v3, 0xffff, v4, v36
	;;#ASMSTART
	v_pk_mul_f16 v2, v38, v2;

	;;#ASMEND
	;;#ASMSTART
	v_pk_mul_f16 v1, v37, v1;

	;;#ASMEND
	;; [unrolled: 4-line block ×4, first 2 shown]
	;;#ASMSTART
	v_pk_add_f16 v1, v2, v1;

	;;#ASMEND
	;;#ASMSTART
	v_pk_add_f16 v1, v1, v3;

	;;#ASMEND
	;; [unrolled: 4-line block ×3, first 2 shown]
	v_and_b32_e32 v2, 0xffff, v1
	v_lshrrev_b32_e32 v1, 16, v1
	;;#ASMSTART
	v_cvt_f32_f16 v45, v2;
	;;#ASMEND
	;;#ASMSTART
	v_cvt_f32_f16 v46, v1;
	;;#ASMEND
	global_load_b128 v[2:5], v[16:17], off offset:1536
	s_wait_loadcnt 0x0
	v_dual_lshrrev_b32 v1, 16, v3 :: v_dual_lshrrev_b32 v18, 16, v2
	v_lshrrev_b32_e32 v36, 16, v4
	s_and_saveexec_b32 s19, vcc_lo
	s_cbranch_execz .LBB74_58
; %bb.57:                               ;   in Loop: Header=BB74_49 Depth=1
	v_cmp_gt_i32_e64 s0, s31, v29
	v_and_b32_e32 v47, 0xffff, v5
	v_and_b32_e32 v5, 0xffff0000, v5
	s_delay_alu instid0(VALU_DEP_3) | instskip(SKIP_1) | instid1(VALU_DEP_1)
	v_cndmask_b32_e64 v2, 0, v2, s0
	v_cmp_gt_i32_e64 s0, s31, v34
	v_cndmask_b32_e64 v3, 0, v3, s0
	v_cmp_gt_i32_e64 s0, s14, v35
	s_delay_alu instid0(VALU_DEP_1) | instskip(SKIP_1) | instid1(VALU_DEP_1)
	v_cndmask_b32_e64 v1, 0, v1, s0
	v_cmp_gt_i32_e64 s0, s31, v33
	v_cndmask_b32_e64 v18, 0, v18, s0
	v_cmp_gt_i32_e64 s0, s31, v28
	s_delay_alu instid0(VALU_DEP_1) | instskip(SKIP_1) | instid1(VALU_DEP_1)
	;; [unrolled: 5-line block ×3, first 2 shown]
	v_dual_cndmask_b32 v4, 0, v4, s0 :: v_dual_bitop2_b32 v5, v47, v5 bitop3:0x54
	v_cmp_gt_i32_e64 s0, s31, v25
	v_cndmask_b32_e64 v36, 0, v36, s0
.LBB74_58:                              ;   in Loop: Header=BB74_49 Depth=1
	s_or_b32 exec_lo, exec_lo, s19
	v_dual_lshlrev_b32 v18, 16, v18 :: v_dual_lshlrev_b32 v1, 16, v1
	s_delay_alu instid0(VALU_DEP_2) | instskip(NEXT) | instid1(VALU_DEP_2)
	v_lshlrev_b32_e32 v36, 16, v36
	v_and_or_b32 v2, 0xffff, v2, v18
	s_delay_alu instid0(VALU_DEP_3) | instskip(NEXT) | instid1(VALU_DEP_3)
	v_and_or_b32 v1, 0xffff, v3, v1
	v_and_or_b32 v3, 0xffff, v4, v36
	;;#ASMSTART
	v_pk_mul_f16 v2, v38, v2;

	;;#ASMEND
	;;#ASMSTART
	v_pk_mul_f16 v1, v37, v1;

	;;#ASMEND
	;; [unrolled: 4-line block ×4, first 2 shown]
	;;#ASMSTART
	v_pk_add_f16 v1, v2, v1;

	;;#ASMEND
	;;#ASMSTART
	v_pk_add_f16 v1, v1, v3;

	;;#ASMEND
	;; [unrolled: 4-line block ×3, first 2 shown]
	v_and_b32_e32 v2, 0xffff, v1
	v_lshrrev_b32_e32 v1, 16, v1
	;;#ASMSTART
	v_cvt_f32_f16 v18, v2;
	;;#ASMEND
	;;#ASMSTART
	v_cvt_f32_f16 v36, v1;
	;;#ASMEND
	global_load_b128 v[2:5], v[16:17], off offset:2048
	s_wait_loadcnt 0x0
	v_dual_lshrrev_b32 v1, 16, v3 :: v_dual_lshrrev_b32 v16, 16, v2
	v_lshrrev_b32_e32 v17, 16, v4
	s_and_saveexec_b32 s0, vcc_lo
	s_cbranch_execz .LBB74_47
; %bb.59:                               ;   in Loop: Header=BB74_49 Depth=1
	v_cmp_gt_i32_e32 vcc_lo, s31, v29
	v_and_b32_e32 v29, 0xffff, v5
	v_and_b32_e32 v5, 0xffff0000, v5
	v_cndmask_b32_e32 v2, 0, v2, vcc_lo
	v_cmp_gt_i32_e32 vcc_lo, s31, v34
	v_cndmask_b32_e32 v3, 0, v3, vcc_lo
	v_cmp_gt_i32_e32 vcc_lo, s14, v35
	;; [unrolled: 2-line block ×7, first 2 shown]
	s_delay_alu instid0(VALU_DEP_4)
	v_or_b32_e32 v5, v28, v5
	v_cndmask_b32_e32 v17, 0, v17, vcc_lo
	s_branch .LBB74_47
.LBB74_60:
	s_or_b32 exec_lo, exec_lo, s15
.LBB74_61:
	s_delay_alu instid0(SALU_CYCLE_1)
	s_or_b32 exec_lo, exec_lo, s1
	ds_bpermute_b32 v2, v20, v10
	ds_bpermute_b32 v3, v20, v11
	;; [unrolled: 1-line block ×5, first 2 shown]
	v_and_b32_e32 v7, 0x3c1, v0
	v_lshrrev_b32_e32 v1, 1, v19
	s_mov_b32 s0, exec_lo
	s_wait_dscnt 0x0
	s_barrier_signal -1
	s_barrier_wait -1
	v_pk_add_f32 v[4:5], v[10:11], v[2:3]
	v_pk_add_f32 v[2:3], v[8:9], v[12:13]
	v_cmpx_ne_u32_e32 64, v7
	s_xor_b32 s0, exec_lo, s0
	s_delay_alu instid0(SALU_CYCLE_1)
	s_or_saveexec_b32 s0, s0
	v_add_f32_e32 v8, v21, v6
	v_lshl_add_u32 v6, v1, 2, 0xc0
	v_mul_u32_u24_e32 v7, 0x140, v32
	s_xor_b32 exec_lo, exec_lo, s0
	s_cbranch_execz .LBB74_63
; %bb.62:
	s_delay_alu instid0(VALU_DEP_1) | instskip(NEXT) | instid1(VALU_DEP_1)
	v_add_nc_u32_e32 v9, v6, v7
	v_add_nc_u32_e32 v10, 0xfffffd80, v9
	;; [unrolled: 1-line block ×6, first 2 shown]
	ds_store_b32 v10, v4
	ds_store_b32 v11, v5
	;; [unrolled: 1-line block ×5, first 2 shown]
.LBB74_63:
	s_or_b32 exec_lo, exec_lo, s0
	v_lshlrev_b32_e32 v1, 2, v1
	s_mov_b32 s1, exec_lo
	v_cmp_eq_u32_e32 vcc_lo, 0, v31
	s_wait_dscnt 0x0
	s_barrier_signal -1
	v_add3_u32 v1, 0xc0, v7, v1
	s_barrier_wait -1
	v_cmpx_gt_u32_e32 64, v0
	s_cbranch_execz .LBB74_71
; %bb.64:
	s_and_saveexec_b32 s0, vcc_lo
	s_cbranch_execnz .LBB74_84
; %bb.65:
	s_or_b32 exec_lo, exec_lo, s0
	s_and_saveexec_b32 s0, vcc_lo
	s_cbranch_execnz .LBB74_85
.LBB74_66:
	s_or_b32 exec_lo, exec_lo, s0
	s_and_saveexec_b32 s0, vcc_lo
	s_cbranch_execnz .LBB74_86
.LBB74_67:
	s_or_b32 exec_lo, exec_lo, s0
	s_and_saveexec_b32 s0, vcc_lo
	s_cbranch_execnz .LBB74_87
.LBB74_68:
	s_or_b32 exec_lo, exec_lo, s0
	s_and_saveexec_b32 s0, vcc_lo
	s_cbranch_execz .LBB74_70
.LBB74_69:
	ds_load_b32 v7, v1 offset:256
	s_wait_dscnt 0x0
	v_add_f32_e32 v8, v8, v7
.LBB74_70:
	s_or_b32 exec_lo, exec_lo, s0
.LBB74_71:
	s_delay_alu instid0(SALU_CYCLE_1) | instskip(SKIP_4) | instid1(VALU_DEP_1)
	s_or_b32 exec_lo, exec_lo, s1
	v_and_b32_e32 v7, 0x3e1, v0
	s_mov_b32 s1, exec_lo
	s_barrier_signal -1
	s_barrier_wait -1
	v_cmpx_eq_u32_e32 32, v7
	s_cbranch_execz .LBB74_73
; %bb.72:
	ds_store_2addr_b32 v6, v4, v5 offset1:16
	ds_store_2addr_b32 v6, v2, v3 offset0:32 offset1:48
	ds_store_b32 v6, v8 offset:256
.LBB74_73:
	s_or_b32 exec_lo, exec_lo, s1
	s_delay_alu instid0(SALU_CYCLE_1)
	s_mov_b32 s1, exec_lo
	s_wait_dscnt 0x0
	s_barrier_signal -1
	s_barrier_wait -1
	v_cmpx_gt_u32_e32 32, v0
	s_cbranch_execz .LBB74_81
; %bb.74:
	s_and_saveexec_b32 s0, vcc_lo
	s_cbranch_execnz .LBB74_88
; %bb.75:
	s_or_b32 exec_lo, exec_lo, s0
	s_and_saveexec_b32 s0, vcc_lo
	s_cbranch_execnz .LBB74_89
.LBB74_76:
	s_or_b32 exec_lo, exec_lo, s0
	s_and_saveexec_b32 s0, vcc_lo
	s_cbranch_execnz .LBB74_90
.LBB74_77:
	s_or_b32 exec_lo, exec_lo, s0
	s_and_saveexec_b32 s0, vcc_lo
	s_cbranch_execnz .LBB74_91
.LBB74_78:
	s_or_b32 exec_lo, exec_lo, s0
	s_and_saveexec_b32 s0, vcc_lo
	s_cbranch_execz .LBB74_80
.LBB74_79:
	ds_load_b32 v0, v1 offset:256
	s_wait_dscnt 0x0
	v_add_f32_e32 v8, v8, v0
.LBB74_80:
	s_or_b32 exec_lo, exec_lo, s0
.LBB74_81:
	s_delay_alu instid0(SALU_CYCLE_1)
	s_or_b32 exec_lo, exec_lo, s1
	s_mov_b32 s1, 0
	s_barrier_signal -1
	s_barrier_wait -1
	s_mov_b32 s0, exec_lo
	v_cmpx_eq_u32_e32 0, v7
	s_cbranch_execz .LBB74_83
; %bb.82:
	s_mul_i32 s0, s30, s7
	s_mul_i32 s2, s7, s6
	;; [unrolled: 1-line block ×3, first 2 shown]
	s_lshr_b32 s8, ttmp7, 16
	s_mul_i32 s6, s0, 0x50
	s_bfe_u32 s0, ttmp6, 0x40014
	s_ashr_i32 s7, s6, 31
	s_add_co_i32 s0, s0, 1
	s_ashr_i32 s3, s2, 31
	s_mul_i32 s0, s8, s0
	s_bfe_u32 s9, ttmp6, 0x40008
	s_lshl_b64 s[6:7], s[6:7], 1
	s_lshl_b64 s[2:3], s[2:3], 1
	s_add_co_i32 s9, s9, s0
	s_cmp_eq_u32 s28, 0
	s_wait_kmcnt 0x0
	s_add_nc_u64 s[4:5], s[4:5], s[6:7]
	s_cselect_b32 s0, s8, s9
	s_add_nc_u64 s[2:3], s[4:5], s[2:3]
	s_mulk_i32 s0, 0xa0
	;;#ASMSTART
	v_cvt_f16_f32 v0, v4;

	;;#ASMEND
	s_add_nc_u64 s[0:1], s[2:3], s[0:1]
	global_store_b16 v30, v0, s[0:1] scale_offset
	s_wait_xcnt 0x0
	;;#ASMSTART
	v_cvt_f16_f32 v0, v5;

	;;#ASMEND
	global_store_b16 v30, v0, s[0:1] offset:32 scale_offset
	s_wait_xcnt 0x0
	;;#ASMSTART
	v_cvt_f16_f32 v0, v2;

	;;#ASMEND
	global_store_b16 v30, v0, s[0:1] offset:64 scale_offset
	;; [unrolled: 6-line block ×4, first 2 shown]
.LBB74_83:
	s_sendmsg sendmsg(MSG_DEALLOC_VGPRS)
	s_endpgm
.LBB74_84:
	ds_load_b32 v7, v1
	s_wait_dscnt 0x0
	v_add_f32_e32 v4, v4, v7
	s_or_b32 exec_lo, exec_lo, s0
	s_and_saveexec_b32 s0, vcc_lo
	s_cbranch_execz .LBB74_66
.LBB74_85:
	ds_load_b32 v7, v1 offset:64
	s_wait_dscnt 0x0
	v_add_f32_e32 v5, v5, v7
	s_or_b32 exec_lo, exec_lo, s0
	s_and_saveexec_b32 s0, vcc_lo
	s_cbranch_execz .LBB74_67
.LBB74_86:
	ds_load_b32 v7, v1 offset:128
	s_wait_dscnt 0x0
	v_add_f32_e32 v2, v2, v7
	s_or_b32 exec_lo, exec_lo, s0
	s_and_saveexec_b32 s0, vcc_lo
	s_cbranch_execz .LBB74_68
.LBB74_87:
	ds_load_b32 v7, v1 offset:192
	s_wait_dscnt 0x0
	v_add_f32_e32 v3, v3, v7
	s_or_b32 exec_lo, exec_lo, s0
	s_and_saveexec_b32 s0, vcc_lo
	s_cbranch_execnz .LBB74_69
	s_branch .LBB74_70
.LBB74_88:
	ds_load_b32 v0, v1
	s_wait_dscnt 0x0
	v_add_f32_e32 v4, v4, v0
	s_or_b32 exec_lo, exec_lo, s0
	s_and_saveexec_b32 s0, vcc_lo
	s_cbranch_execz .LBB74_76
.LBB74_89:
	ds_load_b32 v0, v1 offset:64
	s_wait_dscnt 0x0
	v_add_f32_e32 v5, v5, v0
	s_or_b32 exec_lo, exec_lo, s0
	s_and_saveexec_b32 s0, vcc_lo
	s_cbranch_execz .LBB74_77
.LBB74_90:
	ds_load_b32 v0, v1 offset:128
	s_wait_dscnt 0x0
	v_add_f32_e32 v2, v2, v0
	s_or_b32 exec_lo, exec_lo, s0
	s_and_saveexec_b32 s0, vcc_lo
	s_cbranch_execz .LBB74_78
.LBB74_91:
	ds_load_b32 v0, v1 offset:192
	s_wait_dscnt 0x0
	v_add_f32_e32 v3, v3, v0
	s_or_b32 exec_lo, exec_lo, s0
	s_and_saveexec_b32 s0, vcc_lo
	s_cbranch_execnz .LBB74_79
	s_branch .LBB74_80
	.section	.rodata,"a",@progbits
	.p2align	6, 0x0
	.amdhsa_kernel _ZN4vllm25paged_attention_v1_kernelIttLi80ELi16ELi128ELNS_18Fp8KVCacheDataTypeE0ELb1EEEvPT_PKS2_PKT0_S8_ifPKiSA_iPKfiiiSC_SC_iiiii
		.amdhsa_group_segment_fixed_size 192
		.amdhsa_private_segment_fixed_size 0
		.amdhsa_kernarg_size 384
		.amdhsa_user_sgpr_count 2
		.amdhsa_user_sgpr_dispatch_ptr 0
		.amdhsa_user_sgpr_queue_ptr 0
		.amdhsa_user_sgpr_kernarg_segment_ptr 1
		.amdhsa_user_sgpr_dispatch_id 0
		.amdhsa_user_sgpr_kernarg_preload_length 0
		.amdhsa_user_sgpr_kernarg_preload_offset 0
		.amdhsa_user_sgpr_private_segment_size 0
		.amdhsa_wavefront_size32 1
		.amdhsa_uses_dynamic_stack 0
		.amdhsa_enable_private_segment 0
		.amdhsa_system_sgpr_workgroup_id_x 1
		.amdhsa_system_sgpr_workgroup_id_y 1
		.amdhsa_system_sgpr_workgroup_id_z 1
		.amdhsa_system_sgpr_workgroup_info 0
		.amdhsa_system_vgpr_workitem_id 0
		.amdhsa_next_free_vgpr 91
		.amdhsa_next_free_sgpr 40
		.amdhsa_named_barrier_count 0
		.amdhsa_reserve_vcc 1
		.amdhsa_float_round_mode_32 0
		.amdhsa_float_round_mode_16_64 0
		.amdhsa_float_denorm_mode_32 3
		.amdhsa_float_denorm_mode_16_64 3
		.amdhsa_fp16_overflow 0
		.amdhsa_memory_ordered 1
		.amdhsa_forward_progress 1
		.amdhsa_inst_pref_size 57
		.amdhsa_round_robin_scheduling 0
		.amdhsa_exception_fp_ieee_invalid_op 0
		.amdhsa_exception_fp_denorm_src 0
		.amdhsa_exception_fp_ieee_div_zero 0
		.amdhsa_exception_fp_ieee_overflow 0
		.amdhsa_exception_fp_ieee_underflow 0
		.amdhsa_exception_fp_ieee_inexact 0
		.amdhsa_exception_int_div_zero 0
	.end_amdhsa_kernel
	.section	.text._ZN4vllm25paged_attention_v1_kernelIttLi80ELi16ELi128ELNS_18Fp8KVCacheDataTypeE0ELb1EEEvPT_PKS2_PKT0_S8_ifPKiSA_iPKfiiiSC_SC_iiiii,"axG",@progbits,_ZN4vllm25paged_attention_v1_kernelIttLi80ELi16ELi128ELNS_18Fp8KVCacheDataTypeE0ELb1EEEvPT_PKS2_PKT0_S8_ifPKiSA_iPKfiiiSC_SC_iiiii,comdat
.Lfunc_end74:
	.size	_ZN4vllm25paged_attention_v1_kernelIttLi80ELi16ELi128ELNS_18Fp8KVCacheDataTypeE0ELb1EEEvPT_PKS2_PKT0_S8_ifPKiSA_iPKfiiiSC_SC_iiiii, .Lfunc_end74-_ZN4vllm25paged_attention_v1_kernelIttLi80ELi16ELi128ELNS_18Fp8KVCacheDataTypeE0ELb1EEEvPT_PKS2_PKT0_S8_ifPKiSA_iPKfiiiSC_SC_iiiii
                                        ; -- End function
	.set _ZN4vllm25paged_attention_v1_kernelIttLi80ELi16ELi128ELNS_18Fp8KVCacheDataTypeE0ELb1EEEvPT_PKS2_PKT0_S8_ifPKiSA_iPKfiiiSC_SC_iiiii.num_vgpr, 91
	.set _ZN4vllm25paged_attention_v1_kernelIttLi80ELi16ELi128ELNS_18Fp8KVCacheDataTypeE0ELb1EEEvPT_PKS2_PKT0_S8_ifPKiSA_iPKfiiiSC_SC_iiiii.num_agpr, 0
	.set _ZN4vllm25paged_attention_v1_kernelIttLi80ELi16ELi128ELNS_18Fp8KVCacheDataTypeE0ELb1EEEvPT_PKS2_PKT0_S8_ifPKiSA_iPKfiiiSC_SC_iiiii.numbered_sgpr, 40
	.set _ZN4vllm25paged_attention_v1_kernelIttLi80ELi16ELi128ELNS_18Fp8KVCacheDataTypeE0ELb1EEEvPT_PKS2_PKT0_S8_ifPKiSA_iPKfiiiSC_SC_iiiii.num_named_barrier, 0
	.set _ZN4vllm25paged_attention_v1_kernelIttLi80ELi16ELi128ELNS_18Fp8KVCacheDataTypeE0ELb1EEEvPT_PKS2_PKT0_S8_ifPKiSA_iPKfiiiSC_SC_iiiii.private_seg_size, 0
	.set _ZN4vllm25paged_attention_v1_kernelIttLi80ELi16ELi128ELNS_18Fp8KVCacheDataTypeE0ELb1EEEvPT_PKS2_PKT0_S8_ifPKiSA_iPKfiiiSC_SC_iiiii.uses_vcc, 1
	.set _ZN4vllm25paged_attention_v1_kernelIttLi80ELi16ELi128ELNS_18Fp8KVCacheDataTypeE0ELb1EEEvPT_PKS2_PKT0_S8_ifPKiSA_iPKfiiiSC_SC_iiiii.uses_flat_scratch, 0
	.set _ZN4vllm25paged_attention_v1_kernelIttLi80ELi16ELi128ELNS_18Fp8KVCacheDataTypeE0ELb1EEEvPT_PKS2_PKT0_S8_ifPKiSA_iPKfiiiSC_SC_iiiii.has_dyn_sized_stack, 0
	.set _ZN4vllm25paged_attention_v1_kernelIttLi80ELi16ELi128ELNS_18Fp8KVCacheDataTypeE0ELb1EEEvPT_PKS2_PKT0_S8_ifPKiSA_iPKfiiiSC_SC_iiiii.has_recursion, 0
	.set _ZN4vllm25paged_attention_v1_kernelIttLi80ELi16ELi128ELNS_18Fp8KVCacheDataTypeE0ELb1EEEvPT_PKS2_PKT0_S8_ifPKiSA_iPKfiiiSC_SC_iiiii.has_indirect_call, 0
	.section	.AMDGPU.csdata,"",@progbits
; Kernel info:
; codeLenInByte = 7176
; TotalNumSgprs: 42
; NumVgprs: 91
; ScratchSize: 0
; MemoryBound: 0
; FloatMode: 240
; IeeeMode: 1
; LDSByteSize: 192 bytes/workgroup (compile time only)
; SGPRBlocks: 0
; VGPRBlocks: 5
; NumSGPRsForWavesPerEU: 42
; NumVGPRsForWavesPerEU: 91
; NamedBarCnt: 0
; Occupancy: 10
; WaveLimiterHint : 1
; COMPUTE_PGM_RSRC2:SCRATCH_EN: 0
; COMPUTE_PGM_RSRC2:USER_SGPR: 2
; COMPUTE_PGM_RSRC2:TRAP_HANDLER: 0
; COMPUTE_PGM_RSRC2:TGID_X_EN: 1
; COMPUTE_PGM_RSRC2:TGID_Y_EN: 1
; COMPUTE_PGM_RSRC2:TGID_Z_EN: 1
; COMPUTE_PGM_RSRC2:TIDIG_COMP_CNT: 0
	.section	.text._ZN4vllm25paged_attention_v1_kernelIttLi96ELi16ELi128ELNS_18Fp8KVCacheDataTypeE0ELb1EEEvPT_PKS2_PKT0_S8_ifPKiSA_iPKfiiiSC_SC_iiiii,"axG",@progbits,_ZN4vllm25paged_attention_v1_kernelIttLi96ELi16ELi128ELNS_18Fp8KVCacheDataTypeE0ELb1EEEvPT_PKS2_PKT0_S8_ifPKiSA_iPKfiiiSC_SC_iiiii,comdat
	.protected	_ZN4vllm25paged_attention_v1_kernelIttLi96ELi16ELi128ELNS_18Fp8KVCacheDataTypeE0ELb1EEEvPT_PKS2_PKT0_S8_ifPKiSA_iPKfiiiSC_SC_iiiii ; -- Begin function _ZN4vllm25paged_attention_v1_kernelIttLi96ELi16ELi128ELNS_18Fp8KVCacheDataTypeE0ELb1EEEvPT_PKS2_PKT0_S8_ifPKiSA_iPKfiiiSC_SC_iiiii
	.globl	_ZN4vllm25paged_attention_v1_kernelIttLi96ELi16ELi128ELNS_18Fp8KVCacheDataTypeE0ELb1EEEvPT_PKS2_PKT0_S8_ifPKiSA_iPKfiiiSC_SC_iiiii
	.p2align	8
	.type	_ZN4vllm25paged_attention_v1_kernelIttLi96ELi16ELi128ELNS_18Fp8KVCacheDataTypeE0ELb1EEEvPT_PKS2_PKT0_S8_ifPKiSA_iPKfiiiSC_SC_iiiii,@function
_ZN4vllm25paged_attention_v1_kernelIttLi96ELi16ELi128ELNS_18Fp8KVCacheDataTypeE0ELb1EEEvPT_PKS2_PKT0_S8_ifPKiSA_iPKfiiiSC_SC_iiiii: ; @_ZN4vllm25paged_attention_v1_kernelIttLi96ELi16ELi128ELNS_18Fp8KVCacheDataTypeE0ELb1EEEvPT_PKS2_PKT0_S8_ifPKiSA_iPKfiiiSC_SC_iiiii
; %bb.0:
	s_load_b64 s[22:23], s[0:1], 0x20
	s_bfe_u32 s3, ttmp6, 0x4000c
	s_bfe_u32 s4, ttmp6, 0x40010
	s_and_b32 s6, ttmp7, 0xffff
	s_add_co_i32 s3, s3, 1
	s_add_co_i32 s4, s4, 1
	s_and_b32 s2, ttmp6, 15
	s_bfe_u32 s5, ttmp6, 0x40004
	s_mul_i32 s3, ttmp9, s3
	s_mul_i32 s4, s6, s4
	s_getreg_b32 s28, hwreg(HW_REG_IB_STS2, 6, 4)
	s_add_co_i32 s2, s2, s3
	s_add_co_i32 s3, s5, s4
	s_cmp_eq_u32 s28, 0
	s_clause 0x1
	s_load_b32 s29, s[0:1], 0x80
	s_load_b64 s[4:5], s[0:1], 0x30
	s_cselect_b32 s30, s6, s3
	s_cselect_b32 s2, ttmp9, s2
	s_mov_b32 s17, 0
	s_delay_alu instid0(SALU_CYCLE_1) | instskip(SKIP_2) | instid1(SALU_CYCLE_1)
	s_mov_b32 s35, s17
	s_wait_kmcnt 0x0
	s_abs_i32 s3, s22
	s_cvt_f32_u32 s6, s3
	s_sub_co_i32 s7, 0, s3
	s_delay_alu instid0(SALU_CYCLE_2) | instskip(SKIP_2) | instid1(TRANS32_DEP_1)
	v_rcp_iflag_f32_e32 v1, s6
	s_abs_i32 s8, s29
	v_nop
	v_readfirstlane_b32 s6, v1
	s_mul_f32 s6, s6, 0x4f7ffffe
	s_delay_alu instid0(SALU_CYCLE_3) | instskip(NEXT) | instid1(SALU_CYCLE_3)
	s_cvt_u32_f32 s6, s6
	s_mul_i32 s7, s7, s6
	s_delay_alu instid0(SALU_CYCLE_1) | instskip(NEXT) | instid1(SALU_CYCLE_1)
	s_mul_hi_u32 s7, s6, s7
	s_add_co_i32 s6, s6, s7
	s_xor_b32 s7, s29, s22
	s_mul_hi_u32 s6, s8, s6
	s_ashr_i32 s7, s7, 31
	s_mul_i32 s9, s6, s3
	s_delay_alu instid0(SALU_CYCLE_1)
	s_sub_co_i32 s8, s8, s9
	s_add_co_i32 s9, s6, 1
	s_sub_co_i32 s10, s8, s3
	s_cmp_ge_u32 s8, s3
	s_cselect_b32 s6, s9, s6
	s_cselect_b32 s8, s10, s8
	s_add_co_i32 s9, s6, 1
	s_cmp_ge_u32 s8, s3
	s_cselect_b32 s3, s9, s6
	s_load_b64 s[8:9], s[0:1], 0x40
	s_xor_b32 s3, s3, s7
	s_abs_i32 s16, s2
	s_sub_co_i32 s10, s3, s7
	s_mov_b32 s7, s17
	s_abs_i32 s15, s10
	s_delay_alu instid0(SALU_CYCLE_1) | instskip(SKIP_1) | instid1(SALU_CYCLE_2)
	s_cvt_f32_u32 s3, s15
	s_sub_co_i32 s6, 0, s15
	v_rcp_iflag_f32_e32 v1, s3
	v_nop
	s_delay_alu instid0(TRANS32_DEP_1) | instskip(SKIP_1) | instid1(SALU_CYCLE_3)
	v_readfirstlane_b32 s3, v1
	s_mul_f32 s3, s3, 0x4f7ffffe
	s_cvt_u32_f32 s3, s3
	s_delay_alu instid0(SALU_CYCLE_3) | instskip(NEXT) | instid1(SALU_CYCLE_1)
	s_mul_i32 s6, s6, s3
	s_mul_hi_u32 s6, s3, s6
	s_delay_alu instid0(SALU_CYCLE_1)
	s_add_co_i32 s6, s3, s6
	s_wait_kmcnt 0x0
	s_cmp_eq_u64 s[8:9], 0
	s_cbranch_scc1 .LBB75_2
; %bb.1:
	s_ashr_i32 s3, s2, 31
	s_delay_alu instid0(SALU_CYCLE_1) | instskip(NEXT) | instid1(SALU_CYCLE_1)
	s_lshl_b64 s[12:13], s[2:3], 2
	s_add_nc_u64 s[8:9], s[8:9], s[12:13]
	s_load_b32 s35, s[8:9], 0x0
.LBB75_2:
	s_load_b32 s31, s[4:5], s30 offset:0x0 scale_offset
	s_load_b96 s[12:14], s[0:1], 0x48
	v_dual_lshrrev_b32 v34, 1, v0 :: v_dual_bitop2_b32 v35, 1, v0 bitop3:0x40
	s_wait_xcnt 0x0
	s_mul_u64 s[4:5], s[16:17], s[6:7]
	s_ashr_i32 s3, s2, 31
	s_ashr_i32 s18, s10, 31
	s_mul_i32 s6, s2, 0x60
	s_mov_b32 s4, exec_lo
	v_cmpx_gt_u32_e32 24, v0
	s_cbranch_execz .LBB75_4
; %bb.3:
	s_load_b64 s[8:9], s[0:1], 0x8
	s_wait_kmcnt 0x0
	s_mul_i32 s10, s12, s30
	s_ashr_i32 s7, s6, 31
	s_ashr_i32 s11, s10, 31
	v_lshlrev_b32_e32 v1, 3, v34
	s_lshl_b64 s[10:11], s[10:11], 1
	s_delay_alu instid0(VALU_DEP_1) | instskip(SKIP_2) | instid1(SALU_CYCLE_1)
	v_mad_u32_u24 v1, 0x60, v35, v1
	s_add_nc_u64 s[8:9], s[8:9], s[10:11]
	s_lshl_b64 s[10:11], s[6:7], 1
	s_add_nc_u64 s[8:9], s[8:9], s[10:11]
	global_load_b64 v[2:3], v0, s[8:9] scale_offset
	s_wait_loadcnt 0x0
	ds_store_b64 v1, v[2:3]
.LBB75_4:
	s_or_b32 exec_lo, exec_lo, s4
	s_load_b128 s[8:11], s[0:1], 0x68
	s_mul_i32 s4, s5, s15
	s_xor_b32 s3, s3, s18
	s_sub_co_i32 s4, s16, s4
	s_add_co_i32 s7, s5, 1
	s_wait_kmcnt 0x0
	s_sub_co_i32 s12, s4, s15
	s_cmp_ge_u32 s4, s15
	s_mov_b32 s18, -1
	s_cselect_b32 s5, s7, s5
	s_cselect_b32 s4, s12, s4
	s_add_co_i32 s12, s5, 1
	s_cmp_ge_u32 s4, s15
	s_load_b32 s7, s[0:1], 0x78
	s_cselect_b32 s4, s12, s5
	s_add_co_i32 s15, s31, -1
	s_xor_b32 s4, s4, s3
	s_wait_dscnt 0x0
	s_sub_co_i32 s3, s4, s3
	s_barrier_signal -1
	s_barrier_wait -1
	s_abs_i32 s12, s11
	s_delay_alu instid0(SALU_CYCLE_1) | instskip(NEXT) | instid1(SALU_CYCLE_3)
	s_cvt_f32_u32 s5, s12
                                        ; implicit-def: $sgpr33
	v_rcp_iflag_f32_e32 v1, s5
	v_nop
	s_delay_alu instid0(TRANS32_DEP_1) | instskip(SKIP_1) | instid1(SALU_CYCLE_3)
	v_readfirstlane_b32 s5, v1
	s_mul_f32 s4, s5, 0x4f7ffffe
	s_cvt_u32_f32 s16, s4
	s_sub_co_i32 s4, 0, s12
	s_delay_alu instid0(SALU_CYCLE_2)
	s_mul_i32 s5, s4, s16
	s_abs_i32 s4, s15
	s_mul_hi_u32 s17, s16, s5
	s_mov_b32 s5, 0
	s_add_co_i32 s16, s16, s17
	s_wait_kmcnt 0x0
	s_cmp_lt_i32 s7, 0
	s_mov_b32 s17, s5
	s_cbranch_scc0 .LBB75_6
; %bb.5:
	s_mul_i32 s18, s8, s22
	s_delay_alu instid0(SALU_CYCLE_1) | instskip(NEXT) | instid1(SALU_CYCLE_1)
	s_add_co_i32 s18, s3, s18
	s_mul_i32 s18, s18, s7
	s_delay_alu instid0(SALU_CYCLE_1)
	s_sub_co_i32 s33, 1, s18
	s_mov_b32 s18, s5
.LBB75_6:
	s_ashr_i32 s15, s15, 31
	s_ashr_i32 s11, s11, 31
	s_and_not1_b32 vcc_lo, exec_lo, s18
	s_mul_u64 s[24:25], s[4:5], s[16:17]
	s_cbranch_vccnz .LBB75_8
; %bb.7:
	s_mul_i32 s5, s29, s8
	s_delay_alu instid0(SALU_CYCLE_1) | instskip(NEXT) | instid1(SALU_CYCLE_1)
	s_add_co_i32 s2, s5, s2
	s_mul_i32 s2, s2, s7
	s_delay_alu instid0(SALU_CYCLE_1)
	s_add_co_i32 s33, s2, 1
.LBB75_8:
	s_load_b32 s2, s[0:1], 0x38
	s_mul_i32 s7, s25, s12
	s_xor_b32 s5, s15, s11
	s_sub_co_i32 s4, s4, s7
	s_add_co_i32 s8, s25, 1
	s_clause 0x1
	s_load_b64 s[18:19], s[0:1], 0x28
	s_load_b32 s7, s[0:1], 0x88
	v_dual_lshrrev_b32 v36, 5, v0 :: v_dual_lshlrev_b32 v7, 3, v0
	v_dual_mov_b32 v40, 0xff7fffff :: v_dual_lshrrev_b32 v1, 3, v0
	v_mbcnt_lo_u32_b32 v37, -1, 0
	s_delay_alu instid0(VALU_DEP_3)
	v_lshlrev_b32_e32 v6, 4, v36
	s_mul_i32 s14, s3, s14
	s_wait_kmcnt 0x0
	s_mul_i32 s20, s2, s30
	s_sub_co_i32 s2, s4, s12
	s_ashr_i32 s21, s20, 31
	s_cmp_ge_u32 s4, s12
	s_cselect_b32 s8, s8, s25
	s_cselect_b32 s2, s2, s4
	s_add_co_i32 s4, s8, 1
	s_cmp_ge_u32 s2, s12
	s_cselect_b32 s2, s4, s8
	s_add_co_i32 s4, s31, 15
	s_delay_alu instid0(SALU_CYCLE_1) | instskip(NEXT) | instid1(SALU_CYCLE_1)
	s_ashr_i32 s8, s4, 31
	s_lshr_b32 s8, s8, 28
	s_delay_alu instid0(SALU_CYCLE_1) | instskip(NEXT) | instid1(SALU_CYCLE_1)
	s_add_co_i32 s4, s4, s8
	s_ashr_i32 s34, s4, 4
	s_xor_b32 s4, s2, s5
	v_cmp_gt_i32_e64 s2, s34, v36
	s_sub_co_i32 s8, s4, s5
	s_and_saveexec_b32 s22, s2
	s_cbranch_execz .LBB75_20
; %bb.9:
	s_load_b64 s[4:5], s[0:1], 0x10
	s_ashr_i32 s15, s14, 31
	s_sub_co_i32 s36, s8, s9
	s_ashr_i32 s25, s13, 31
	s_lshl_b64 s[38:39], s[14:15], 1
	s_cmp_neq_f32 s35, 0
	v_bfe_u32 v38, v0, 1, 4
	v_mov_b32_e32 v3, 0
	v_mul_u32_u24_e32 v39, 0x60, v35
	s_cselect_b32 vcc_lo, -1, 0
	s_abs_i32 s15, s10
	v_lshlrev_b32_e32 v2, 4, v38
	s_cvt_f32_u32 s3, s15
	v_lshlrev_b32_e32 v9, 2, v38
	v_subrev_nc_u32_e32 v8, s31, v38
	s_sub_co_i32 s26, 0, s15
	v_rcp_iflag_f32_e32 v4, s3
	v_cmp_eq_u32_e64 s3, 0, v35
	s_delay_alu instid0(VALU_DEP_2)
	v_dual_add_nc_u32 v41, 1, v8 :: v_dual_bitop2_b32 v44, 1, v37 bitop3:0x14
	s_wait_kmcnt 0x0
	s_add_nc_u64 s[4:5], s[4:5], s[38:39]
	v_mov_b32_e32 v40, 0xff7fffff
	s_mov_b32 s27, 0
	v_readfirstlane_b32 s24, v4
	v_add_nc_u64_e32 v[4:5], s[4:5], v[2:3]
	v_and_b32_e32 v2, 8, v7
	v_lshl_or_b32 v9, v36, 6, v9
	s_lshl_b64 s[4:5], s[20:21], 2
	s_mul_f32 s24, s24, 0x4f7ffffe
	s_add_nc_u64 s[4:5], s[18:19], s[4:5]
	s_delay_alu instid0(VALU_DEP_1)
	v_dual_mov_b32 v45, v36 :: v_dual_add_nc_u32 v42, 0xe0, v9
	v_add_nc_u64_e32 v[4:5], v[4:5], v[2:3]
	v_and_b32_e32 v2, 0x7c, v1
	s_cvt_u32_f32 s37, s24
	v_mov_b32_e32 v43, 0xff7fffff
	s_mov_b32 s24, s13
	s_delay_alu instid0(VALU_DEP_2) | instskip(SKIP_3) | instid1(SALU_CYCLE_1)
	v_add_nc_u64_e32 v[8:9], s[4:5], v[2:3]
	s_mul_i32 s26, s26, s37
	v_lshlrev_b32_e32 v2, 4, v36
	s_mul_hi_u32 s4, s37, s26
	s_add_co_i32 s26, s37, s4
	s_mov_b32 s37, s27
	s_branch .LBB75_12
.LBB75_10:                              ;   in Loop: Header=BB75_12 Depth=1
	s_or_b32 exec_lo, exec_lo, s38
.LBB75_11:                              ;   in Loop: Header=BB75_12 Depth=1
	s_delay_alu instid0(SALU_CYCLE_1) | instskip(SKIP_3) | instid1(VALU_DEP_3)
	s_or_b32 exec_lo, exec_lo, s5
	v_dual_add_nc_u32 v45, 4, v45 :: v_dual_add_nc_u32 v2, 64, v2
	v_add_nc_u64_e32 v[8:9], 16, v[8:9]
	v_add_nc_u32_e32 v42, 0x100, v42
	v_cmp_le_i32_e64 s4, s34, v45
	s_or_b32 s37, s4, s37
	s_delay_alu instid0(SALU_CYCLE_1)
	s_and_not1_b32 exec_lo, exec_lo, s37
	s_cbranch_execz .LBB75_19
.LBB75_12:                              ; =>This Inner Loop Header: Depth=1
	s_wait_dscnt 0x0
	v_mul_u64_e32 v[10:11], s[16:17], v[2:3]
	s_delay_alu instid0(VALU_DEP_1) | instskip(NEXT) | instid1(VALU_DEP_1)
	v_mul_lo_u32 v10, v11, s12
	v_dual_add_nc_u32 v12, 1, v11 :: v_dual_sub_nc_u32 v10, v2, v10
	s_delay_alu instid0(VALU_DEP_1) | instskip(SKIP_1) | instid1(VALU_DEP_1)
	v_subrev_nc_u32_e32 v13, s12, v10
	v_cmp_le_u32_e64 s4, s12, v10
	v_dual_cndmask_b32 v11, v11, v12, s4 :: v_dual_cndmask_b32 v10, v10, v13, s4
	s_delay_alu instid0(VALU_DEP_1) | instskip(NEXT) | instid1(VALU_DEP_2)
	v_add_nc_u32_e32 v12, 1, v11
	v_cmp_le_u32_e64 s4, s12, v10
	s_delay_alu instid0(VALU_DEP_1) | instskip(NEXT) | instid1(VALU_DEP_1)
	v_cndmask_b32_e64 v10, v11, v12, s4
	v_dual_mov_b32 v11, v3 :: v_dual_bitop2_b32 v10, s11, v10 bitop3:0x14
	s_delay_alu instid0(VALU_DEP_1) | instskip(NEXT) | instid1(VALU_DEP_1)
	v_subrev_nc_u32_e32 v14, s11, v10
	v_add_nc_u32_e32 v15, s33, v14
	v_cmp_ge_i32_e64 s5, s36, v14
	s_delay_alu instid0(VALU_DEP_2) | instskip(NEXT) | instid1(VALU_DEP_1)
	v_sub_nc_u32_e32 v10, 0, v15
	v_max_i32_e32 v10, v15, v10
	s_delay_alu instid0(VALU_DEP_1) | instskip(SKIP_1) | instid1(VALU_DEP_2)
	v_mul_u64_e32 v[12:13], s[26:27], v[10:11]
	v_ashrrev_i32_e32 v12, 31, v15
	v_mul_lo_u32 v11, v13, s15
	s_delay_alu instid0(VALU_DEP_1) | instskip(NEXT) | instid1(VALU_DEP_1)
	v_sub_nc_u32_e32 v10, v10, v11
	v_subrev_nc_u32_e32 v11, s15, v10
	v_cmp_le_u32_e64 s4, s15, v10
	s_delay_alu instid0(VALU_DEP_1) | instskip(NEXT) | instid1(VALU_DEP_1)
	v_cndmask_b32_e64 v10, v10, v11, s4
	v_subrev_nc_u32_e32 v11, s15, v10
	v_cmp_le_u32_e64 s4, s15, v10
	s_delay_alu instid0(VALU_DEP_1) | instskip(NEXT) | instid1(VALU_DEP_1)
	v_cndmask_b32_e64 v10, v10, v11, s4
	v_xor_b32_e32 v10, v10, v12
	s_delay_alu instid0(VALU_DEP_1) | instskip(NEXT) | instid1(VALU_DEP_1)
	v_sub_nc_u32_e32 v10, v10, v12
	v_cmp_ne_u32_e64 s4, 0, v10
	s_and_b32 s4, s4, s5
	s_delay_alu instid0(SALU_CYCLE_1) | instskip(NEXT) | instid1(SALU_CYCLE_1)
	s_and_saveexec_b32 s5, s4
	s_xor_b32 s4, exec_lo, s5
	s_cbranch_execz .LBB75_16
; %bb.13:                               ;   in Loop: Header=BB75_12 Depth=1
	s_and_saveexec_b32 s5, s3
; %bb.14:                               ;   in Loop: Header=BB75_12 Depth=1
	ds_store_b32 v42, v43
; %bb.15:                               ;   in Loop: Header=BB75_12 Depth=1
	s_or_b32 exec_lo, exec_lo, s5
.LBB75_16:                              ;   in Loop: Header=BB75_12 Depth=1
	s_and_not1_saveexec_b32 s5, s4
	s_cbranch_execz .LBB75_11
; %bb.17:                               ;   in Loop: Header=BB75_12 Depth=1
	global_load_b32 v10, v[8:9], off
	v_cmp_gt_i32_e64 s4, 32, v44
	s_wait_loadcnt 0x0
	v_ashrrev_i32_e32 v11, 31, v10
	s_delay_alu instid0(VALU_DEP_1) | instskip(NEXT) | instid1(VALU_DEP_1)
	v_mul_u64_e32 v[10:11], s[24:25], v[10:11]
	v_lshl_add_u64 v[10:11], v[10:11], 1, v[4:5]
	s_clause 0xb
	global_load_b64 v[30:31], v[10:11], off
	global_load_b64 v[32:33], v[10:11], off offset:256
	global_load_b64 v[28:29], v[10:11], off offset:512
	;; [unrolled: 1-line block ×11, first 2 shown]
	ds_load_b64 v[46:47], v39
	s_wait_dscnt 0x0
	v_and_b32_e32 v48, 0xffff, v46
	v_dual_lshrrev_b32 v49, 16, v46 :: v_dual_lshrrev_b32 v51, 16, v47
	v_and_b32_e32 v50, 0xffff, v47
	;;#ASMSTART
	v_cvt_f32_f16 v46, v48;
	;;#ASMEND
	s_wait_loadcnt 0xb
	v_and_b32_e32 v48, 0xffff, v30
	s_wait_loadcnt 0xa
	v_dual_lshrrev_b32 v30, 16, v30 :: v_dual_lshrrev_b32 v54, 16, v32
	;;#ASMSTART
	v_cvt_f32_f16 v47, v49;
	;;#ASMEND
	v_lshrrev_b32_e32 v49, 16, v31
	v_and_b32_e32 v31, 0xffff, v31
	;;#ASMSTART
	v_cvt_f32_f16 v53, v48;
	;;#ASMEND
	;;#ASMSTART
	v_cvt_f32_f16 v52, v30;
	;;#ASMEND
	;; [unrolled: 3-line block ×6, first 2 shown]
	ds_load_b64 v[30:31], v39 offset:8
	v_and_b32_e32 v55, 0xffff, v32
	v_lshrrev_b32_e32 v32, 16, v33
	v_and_b32_e32 v33, 0xffff, v33
	s_wait_loadcnt 0x9
	v_lshrrev_b32_e32 v60, 16, v28
	v_and_b32_e32 v28, 0xffff, v28
	s_wait_loadcnt 0x8
	;; [unrolled: 3-line block ×6, first 2 shown]
	v_lshrrev_b32_e32 v92, 16, v18
	v_and_b32_e32 v18, 0xffff, v18
	s_wait_dscnt 0x0
	v_and_b32_e32 v56, 0xffff, v30
	v_lshrrev_b32_e32 v30, 16, v30
	v_and_b32_e32 v57, 0xffff, v31
	v_lshrrev_b32_e32 v31, 16, v31
	;;#ASMSTART
	v_cvt_f32_f16 v56, v56;
	;;#ASMEND
	;;#ASMSTART
	v_cvt_f32_f16 v58, v30;
	;;#ASMEND
	;;#ASMSTART
	v_cvt_f32_f16 v55, v55;
	;;#ASMEND
	;;#ASMSTART
	v_cvt_f32_f16 v54, v54;
	;;#ASMEND
	;;#ASMSTART
	v_cvt_f32_f16 v57, v57;
	;;#ASMEND
	;;#ASMSTART
	v_cvt_f32_f16 v59, v31;
	;;#ASMEND
	;;#ASMSTART
	v_cvt_f32_f16 v33, v33;
	;;#ASMEND
	;;#ASMSTART
	v_cvt_f32_f16 v32, v32;
	;;#ASMEND
	ds_load_b64 v[30:31], v39 offset:16
	v_lshrrev_b32_e32 v61, 16, v29
	v_and_b32_e32 v29, 0xffff, v29
	s_wait_dscnt 0x0
	v_and_b32_e32 v62, 0xffff, v30
	v_dual_lshrrev_b32 v30, 16, v30 :: v_dual_lshrrev_b32 v63, 16, v31
	v_and_b32_e32 v31, 0xffff, v31
	;;#ASMSTART
	v_cvt_f32_f16 v62, v62;
	;;#ASMEND
	;;#ASMSTART
	v_cvt_f32_f16 v30, v30;
	;;#ASMEND
	;;#ASMSTART
	v_cvt_f32_f16 v64, v28;
	;;#ASMEND
	;;#ASMSTART
	v_cvt_f32_f16 v60, v60;
	;;#ASMEND
	;;#ASMSTART
	v_cvt_f32_f16 v31, v31;
	;;#ASMEND
	;;#ASMSTART
	v_cvt_f32_f16 v63, v63;
	;;#ASMEND
	;;#ASMSTART
	v_cvt_f32_f16 v65, v29;
	;;#ASMEND
	;;#ASMSTART
	v_cvt_f32_f16 v61, v61;
	;;#ASMEND
	ds_load_b64 v[28:29], v39 offset:24
	v_lshrrev_b32_e32 v67, 16, v27
	v_and_b32_e32 v27, 0xffff, v27
	s_wait_dscnt 0x0
	v_and_b32_e32 v68, 0xffff, v28
	v_dual_lshrrev_b32 v28, 16, v28 :: v_dual_lshrrev_b32 v69, 16, v29
	v_and_b32_e32 v29, 0xffff, v29
	;; [unrolled: 31-line block ×5, first 2 shown]
	;;#ASMSTART
	v_cvt_f32_f16 v86, v86;
	;;#ASMEND
	;;#ASMSTART
	v_cvt_f32_f16 v88, v22;
	;;#ASMEND
	;; [unrolled: 3-line block ×8, first 2 shown]
	ds_load_b64 v[20:21], v39 offset:56
	v_dual_mul_f32 v22, v56, v55 :: v_dual_mul_f32 v23, v58, v54
	v_lshrrev_b32_e32 v54, 16, v19
	v_and_b32_e32 v19, 0xffff, v19
	s_delay_alu instid0(VALU_DEP_3) | instskip(NEXT) | instid1(VALU_DEP_1)
	v_dual_fmac_f32 v22, v46, v53 :: v_dual_fmac_f32 v23, v47, v52
	v_fmac_f32_e32 v22, v62, v64
	s_wait_dscnt 0x0
	v_and_b32_e32 v46, 0xffff, v20
	v_dual_lshrrev_b32 v20, 16, v20 :: v_dual_lshrrev_b32 v47, 16, v21
	v_and_b32_e32 v21, 0xffff, v21
	;;#ASMSTART
	v_cvt_f32_f16 v46, v46;
	;;#ASMEND
	;;#ASMSTART
	v_cvt_f32_f16 v52, v20;
	;;#ASMEND
	;; [unrolled: 3-line block ×8, first 2 shown]
	ds_load_b64 v[18:19], v39 offset:64
	v_dual_mul_f32 v20, v57, v33 :: v_dual_mul_f32 v21, v59, v32
	s_wait_loadcnt 0x3
	v_dual_lshrrev_b32 v92, 16, v16 :: v_dual_lshrrev_b32 v32, 16, v17
	v_and_b32_e32 v16, 0xffff, v16
	v_and_b32_e32 v17, 0xffff, v17
	v_dual_fmac_f32 v20, v50, v51 :: v_dual_fmac_f32 v21, v48, v49
	s_wait_loadcnt 0x2
	v_lshrrev_b32_e32 v57, 16, v14
	v_and_b32_e32 v14, 0xffff, v14
	v_lshrrev_b32_e32 v59, 16, v15
	v_and_b32_e32 v15, 0xffff, v15
	s_wait_loadcnt 0x1
	v_dual_lshrrev_b32 v62, 16, v12 :: v_dual_fmac_f32 v20, v31, v65
	v_dual_fmac_f32 v21, v63, v61 :: v_dual_fmac_f32 v22, v68, v70
	v_and_b32_e32 v12, 0xffff, v12
	s_delay_alu instid0(VALU_DEP_3)
	v_fmac_f32_e32 v20, v29, v71
	s_wait_dscnt 0x0
	v_and_b32_e32 v33, 0xffff, v18
	v_dual_lshrrev_b32 v18, 16, v18 :: v_dual_lshrrev_b32 v48, 16, v19
	v_and_b32_e32 v19, 0xffff, v19
	;;#ASMSTART
	v_cvt_f32_f16 v33, v33;
	;;#ASMEND
	;;#ASMSTART
	v_cvt_f32_f16 v18, v18;
	;;#ASMEND
	;; [unrolled: 3-line block ×8, first 2 shown]
	ds_load_b64 v[16:17], v39 offset:72
	v_dual_fmac_f32 v23, v30, v60 :: v_dual_fmac_f32 v20, v27, v77
	s_delay_alu instid0(VALU_DEP_1) | instskip(NEXT) | instid1(VALU_DEP_1)
	v_fmac_f32_e32 v20, v25, v83
	v_fmac_f32_e32 v20, v90, v91
	s_wait_dscnt 0x0
	v_and_b32_e32 v30, 0xffff, v16
	v_dual_lshrrev_b32 v16, 16, v16 :: v_dual_lshrrev_b32 v31, 16, v17
	v_and_b32_e32 v17, 0xffff, v17
	;;#ASMSTART
	v_cvt_f32_f16 v30, v30;
	;;#ASMEND
	;;#ASMSTART
	v_cvt_f32_f16 v16, v16;
	;;#ASMEND
	;; [unrolled: 3-line block ×8, first 2 shown]
	ds_load_b64 v[14:15], v39 offset:80
	v_dual_fmac_f32 v23, v28, v66 :: v_dual_lshrrev_b32 v28, 16, v13
	v_dual_fmac_f32 v21, v69, v67 :: v_dual_fmac_f32 v22, v74, v76
	v_and_b32_e32 v13, 0xffff, v13
	s_delay_alu instid0(VALU_DEP_2) | instskip(NEXT) | instid1(VALU_DEP_3)
	v_dual_fmac_f32 v23, v26, v72 :: v_dual_fmac_f32 v21, v75, v73
	v_fmac_f32_e32 v22, v80, v82
	s_delay_alu instid0(VALU_DEP_2) | instskip(SKIP_1) | instid1(VALU_DEP_3)
	v_fmac_f32_e32 v23, v24, v78
	s_wait_loadcnt 0x0
	v_dual_fmac_f32 v21, v81, v79 :: v_dual_lshrrev_b32 v24, 16, v10
	s_delay_alu instid0(VALU_DEP_3) | instskip(SKIP_1) | instid1(VALU_DEP_3)
	v_fmac_f32_e32 v22, v86, v89
	v_and_b32_e32 v10, 0xffff, v10
	v_dual_fmac_f32 v23, v88, v84 :: v_dual_fmac_f32 v21, v87, v85
	s_delay_alu instid0(VALU_DEP_3)
	v_fmac_f32_e32 v22, v46, v53
	s_wait_dscnt 0x0
	v_and_b32_e32 v25, 0xffff, v14
	v_dual_lshrrev_b32 v14, 16, v14 :: v_dual_lshrrev_b32 v26, 16, v15
	v_and_b32_e32 v15, 0xffff, v15
	;;#ASMSTART
	v_cvt_f32_f16 v25, v25;
	;;#ASMEND
	;;#ASMSTART
	v_cvt_f32_f16 v14, v14;
	;;#ASMEND
	;;#ASMSTART
	v_cvt_f32_f16 v27, v12;
	;;#ASMEND
	;;#ASMSTART
	v_cvt_f32_f16 v29, v62;
	;;#ASMEND
	;;#ASMSTART
	v_cvt_f32_f16 v15, v15;
	;;#ASMEND
	;;#ASMSTART
	v_cvt_f32_f16 v26, v26;
	;;#ASMEND
	;;#ASMSTART
	v_cvt_f32_f16 v61, v13;
	;;#ASMEND
	;;#ASMSTART
	v_cvt_f32_f16 v28, v28;
	;;#ASMEND
	ds_load_b64 v[12:13], v39 offset:88
	v_fmac_f32_e32 v23, v52, v55
	v_dual_fmac_f32 v20, v56, v58 :: v_dual_fmac_f32 v22, v33, v49
	v_fmac_f32_e32 v21, v47, v54
	s_delay_alu instid0(VALU_DEP_2) | instskip(NEXT) | instid1(VALU_DEP_3)
	v_dual_fmac_f32 v23, v18, v50 :: v_dual_fmac_f32 v20, v19, v51
	v_dual_lshrrev_b32 v18, 16, v11 :: v_dual_fmac_f32 v22, v30, v60
	v_and_b32_e32 v11, 0xffff, v11
	s_delay_alu instid0(VALU_DEP_3) | instskip(NEXT) | instid1(VALU_DEP_3)
	v_fmac_f32_e32 v23, v16, v57
	v_dual_fmac_f32 v21, v48, v32 :: v_dual_fmac_f32 v22, v25, v27
	s_delay_alu instid0(VALU_DEP_2) | instskip(NEXT) | instid1(VALU_DEP_2)
	v_dual_fmac_f32 v20, v17, v64 :: v_dual_fmac_f32 v23, v14, v29
	v_fmac_f32_e32 v21, v31, v59
	s_wait_dscnt 0x0
	v_and_b32_e32 v14, 0xffff, v12
	v_lshrrev_b32_e32 v12, 16, v12
	;;#ASMSTART
	v_cvt_f32_f16 v14, v14;
	;;#ASMEND
	;;#ASMSTART
	v_cvt_f32_f16 v12, v12;
	;;#ASMEND
	;; [unrolled: 3-line block ×3, first 2 shown]
	v_dual_fmac_f32 v20, v15, v61 :: v_dual_fmac_f32 v21, v26, v28
	v_dual_fmac_f32 v22, v14, v10 :: v_dual_lshrrev_b32 v15, 16, v13
	v_and_b32_e32 v13, 0xffff, v13
	;;#ASMSTART
	v_cvt_f32_f16 v16, v24;
	;;#ASMEND
	;;#ASMSTART
	v_cvt_f32_f16 v10, v13;
	;;#ASMEND
	v_fmac_f32_e32 v23, v12, v16
	;;#ASMSTART
	v_cvt_f32_f16 v12, v15;
	;;#ASMEND
	;;#ASMSTART
	v_cvt_f32_f16 v11, v11;
	;;#ASMEND
	v_fmac_f32_e32 v20, v10, v11
	;;#ASMSTART
	v_cvt_f32_f16 v11, v18;
	;;#ASMEND
	v_add_f32_e32 v10, v22, v23
	v_dual_fmac_f32 v21, v12, v11 :: v_dual_cndmask_b32 v11, v37, v44, s4
	s_delay_alu instid0(VALU_DEP_1) | instskip(NEXT) | instid1(VALU_DEP_1)
	v_dual_add_f32 v10, v10, v20 :: v_dual_lshlrev_b32 v11, 2, v11
	v_add_f32_e32 v10, v21, v10
	ds_bpermute_b32 v11, v11, v10
	s_and_saveexec_b32 s38, s3
	s_cbranch_execz .LBB75_10
; %bb.18:                               ;   in Loop: Header=BB75_12 Depth=1
	s_wait_dscnt 0x0
	v_dual_add_nc_u32 v12, v41, v2 :: v_dual_add_f32 v10, v10, v11
	s_delay_alu instid0(VALU_DEP_1) | instskip(NEXT) | instid1(VALU_DEP_1)
	v_cvt_f32_i32_e32 v12, v12
	v_mul_f32_e32 v12, s35, v12
	s_delay_alu instid0(VALU_DEP_1) | instskip(NEXT) | instid1(VALU_DEP_1)
	v_cndmask_b32_e32 v11, 0, v12, vcc_lo
	v_fmac_f32_e32 v11, s23, v10
	v_add_nc_u32_e32 v10, v38, v2
	s_delay_alu instid0(VALU_DEP_1) | instskip(NEXT) | instid1(VALU_DEP_1)
	v_cmp_gt_i32_e64 s4, s31, v10
	v_dual_max_num_f32 v12, v40, v40 :: v_dual_cndmask_b32 v10, 0, v11, s4
	s_delay_alu instid0(VALU_DEP_1)
	v_max_num_f32_e32 v12, v12, v11
	ds_store_b32 v42, v10
	v_cndmask_b32_e64 v40, v40, v12, s4
	s_branch .LBB75_10
.LBB75_19:
	s_or_b32 exec_lo, exec_lo, s37
.LBB75_20:
	s_delay_alu instid0(SALU_CYCLE_1)
	s_or_b32 exec_lo, exec_lo, s22
	v_dual_max_num_f32 v5, v40, v40 :: v_dual_bitop2_b32 v2, 16, v37 bitop3:0x14
	s_clause 0x1
	s_load_b64 s[4:5], s[0:1], 0x0
	s_load_b64 s[22:23], s[0:1], 0x18
	v_xor_b32_e32 v4, 8, v37
	v_xor_b32_e32 v8, 4, v37
	v_cmp_gt_i32_e32 vcc_lo, 32, v2
	v_dual_cndmask_b32 v2, v37, v2, vcc_lo :: v_dual_bitop2_b32 v21, 31, v0 bitop3:0x40
	s_delay_alu instid0(VALU_DEP_4) | instskip(NEXT) | instid1(VALU_DEP_2)
	v_cmp_gt_i32_e32 vcc_lo, 32, v4
	v_dual_cndmask_b32 v4, v37, v4 :: v_dual_lshlrev_b32 v3, 2, v2
	v_cmp_gt_i32_e32 vcc_lo, 32, v8
	ds_bpermute_b32 v2, v3, v40
	s_wait_dscnt 0x0
	v_dual_lshlrev_b32 v4, 2, v4 :: v_dual_max_num_f32 v2, v2, v2
	s_delay_alu instid0(VALU_DEP_1) | instskip(SKIP_3) | instid1(VALU_DEP_1)
	v_max_num_f32_e32 v2, v5, v2
	ds_bpermute_b32 v5, v4, v2
	s_wait_dscnt 0x0
	v_max_num_f32_e32 v9, v5, v5
	v_dual_cndmask_b32 v8, v37, v8, vcc_lo :: v_dual_max_num_f32 v2, v2, v9
	s_delay_alu instid0(VALU_DEP_1) | instskip(SKIP_3) | instid1(VALU_DEP_1)
	v_lshlrev_b32_e32 v5, 2, v8
	ds_bpermute_b32 v8, v5, v2
	s_wait_dscnt 0x0
	v_dual_max_num_f32 v8, v8, v8 :: v_dual_bitop2_b32 v9, 2, v37 bitop3:0x14
	v_cmp_gt_i32_e32 vcc_lo, 32, v9
	s_delay_alu instid0(VALU_DEP_2) | instskip(SKIP_2) | instid1(VALU_DEP_3)
	v_dual_cndmask_b32 v10, v37, v9 :: v_dual_max_num_f32 v9, v2, v8
	v_lshlrev_b32_e32 v8, 2, v36
	v_cmp_eq_u32_e32 vcc_lo, 0, v21
	v_lshlrev_b32_e32 v2, 2, v10
	ds_bpermute_b32 v10, v2, v9
	s_wait_xcnt 0x0
	s_and_saveexec_b32 s0, vcc_lo
	s_cbranch_execz .LBB75_22
; %bb.21:
	s_wait_dscnt 0x0
	v_dual_max_num_f32 v10, v10, v10 :: v_dual_max_num_f32 v9, v9, v9
	s_delay_alu instid0(VALU_DEP_1)
	v_max_num_f32_e32 v9, v9, v10
	ds_store_b32 v8, v9 offset:192
.LBB75_22:
	s_or_b32 exec_lo, exec_lo, s0
	v_cmp_gt_u32_e64 s0, 4, v21
	s_wait_dscnt 0x0
	v_dual_mov_b32 v10, 0xff7fffff :: v_dual_lshlrev_b32 v9, 2, v21
	s_barrier_signal -1
	s_barrier_wait -1
	s_and_saveexec_b32 s1, s0
; %bb.23:
	ds_load_b32 v10, v9 offset:192
; %bb.24:
	s_or_b32 exec_lo, exec_lo, s1
	s_wait_dscnt 0x0
	ds_bpermute_b32 v11, v2, v10
	v_dual_max_num_f32 v10, v10, v10 :: v_dual_bitop2_b32 v12, 1, v37 bitop3:0x14
	s_delay_alu instid0(VALU_DEP_1) | instskip(NEXT) | instid1(VALU_DEP_1)
	v_cmp_gt_i32_e64 s1, 32, v12
	v_cndmask_b32_e64 v12, v37, v12, s1
	s_lshl_b32 s1, s34, 4
	s_delay_alu instid0(SALU_CYCLE_1) | instskip(NEXT) | instid1(SALU_CYCLE_1)
	s_min_i32 s15, s1, s31
	v_cmp_gt_i32_e64 s1, s15, v0
	s_wait_dscnt 0x0
	v_dual_max_num_f32 v11, v11, v11 :: v_dual_lshlrev_b32 v22, 2, v12
	s_delay_alu instid0(VALU_DEP_1) | instskip(SKIP_3) | instid1(VALU_DEP_1)
	v_max_num_f32_e32 v10, v10, v11
	ds_bpermute_b32 v11, v22, v10
	s_wait_dscnt 0x0
	v_max_num_f32_e32 v11, v11, v11
	v_dual_max_num_f32 v11, v10, v11 :: v_dual_mov_b32 v10, 0
	ds_bpermute_b32 v11, v10, v11
	s_and_saveexec_b32 s24, s1
	s_cbranch_execz .LBB75_28
; %bb.25:
	v_lshl_add_u32 v12, v0, 2, 0xe0
	v_dual_mov_b32 v10, 0 :: v_dual_mov_b32 v13, v0
	s_mov_b32 s25, 0
.LBB75_26:                              ; =>This Inner Loop Header: Depth=1
	ds_load_b32 v14, v12
	v_add_nc_u32_e32 v13, 0x80, v13
	s_delay_alu instid0(VALU_DEP_1) | instskip(SKIP_3) | instid1(VALU_DEP_1)
	v_cmp_le_i32_e64 s3, s15, v13
	s_or_b32 s25, s3, s25
	s_wait_dscnt 0x0
	v_sub_f32_e32 v14, v14, v11
	v_mul_f32_e32 v14, 0x3fb8aa3b, v14
	s_delay_alu instid0(VALU_DEP_1)
	v_exp_f32_e32 v14, v14
	ds_store_b32 v12, v14
	v_nop
	v_add_f32_e32 v10, v10, v14
	v_add_nc_u32_e32 v12, 0x200, v12
	s_and_not1_b32 exec_lo, exec_lo, s25
	s_cbranch_execnz .LBB75_26
; %bb.27:
	s_or_b32 exec_lo, exec_lo, s25
.LBB75_28:
	s_delay_alu instid0(SALU_CYCLE_1)
	s_or_b32 exec_lo, exec_lo, s24
	ds_bpermute_b32 v3, v3, v10
	s_wait_dscnt 0x0
	v_add_f32_e32 v3, v10, v3
	ds_bpermute_b32 v4, v4, v3
	s_wait_dscnt 0x0
	v_add_f32_e32 v3, v3, v4
	;; [unrolled: 3-line block ×5, first 2 shown]
	s_and_saveexec_b32 s3, vcc_lo
; %bb.29:
	ds_store_b32 v8, v3 offset:208
; %bb.30:
	s_or_b32 exec_lo, exec_lo, s3
	s_wait_dscnt 0x0
	s_barrier_signal -1
	s_barrier_wait -1
	s_and_saveexec_b32 s3, s0
; %bb.31:
	ds_load_b32 v3, v9 offset:208
; %bb.32:
	s_or_b32 exec_lo, exec_lo, s3
	s_wait_dscnt 0x0
	ds_bpermute_b32 v2, v2, v3
	s_wait_dscnt 0x0
	v_dual_mov_b32 v9, 0 :: v_dual_add_f32 v2, v3, v2
	ds_bpermute_b32 v3, v22, v2
	s_wait_dscnt 0x0
	v_add_f32_e32 v2, v2, v3
	ds_bpermute_b32 v2, v9, v2
	s_and_saveexec_b32 s0, s1
	s_cbranch_execz .LBB75_45
; %bb.33:
	s_wait_dscnt 0x0
	v_add_f32_e32 v2, 0x358637bd, v2
	s_mov_b32 s3, -1
	s_mov_b32 s1, exec_lo
	s_delay_alu instid0(VALU_DEP_1) | instskip(NEXT) | instid1(VALU_DEP_1)
	v_div_scale_f32 v3, null, v2, v2, 1.0
	v_rcp_f32_e32 v5, v3
	v_nop
	s_delay_alu instid0(TRANS32_DEP_1) | instskip(NEXT) | instid1(VALU_DEP_1)
	v_fma_f32 v4, -v3, v5, 1.0
	v_fmac_f32_e32 v5, v4, v5
	v_div_scale_f32 v8, vcc_lo, 1.0, v2, 1.0
	s_delay_alu instid0(VALU_DEP_1) | instskip(NEXT) | instid1(VALU_DEP_1)
	v_mul_f32_e32 v10, v8, v5
	v_fma_f32 v4, -v3, v10, v8
	s_delay_alu instid0(VALU_DEP_1) | instskip(SKIP_1) | instid1(VALU_DEP_2)
	v_fmac_f32_e32 v10, v4, v5
	v_xad_u32 v4, v0, -1, s15
	v_fma_f32 v3, -v3, v10, v8
	s_delay_alu instid0(VALU_DEP_1) | instskip(NEXT) | instid1(VALU_DEP_1)
	v_div_fmas_f32 v3, v3, v5, v10
	v_div_fixup_f32 v2, v3, v2, 1.0
	v_mov_b32_e32 v3, v0
	v_cmpx_lt_u32_e32 0x7f, v4
	s_cbranch_execz .LBB75_42
; %bb.34:
	s_delay_alu instid0(VALU_DEP_3) | instskip(NEXT) | instid1(VALU_DEP_1)
	v_dual_mov_b32 v3, v2 :: v_dual_lshrrev_b32 v4, 7, v4
	v_dual_mov_b32 v11, 0 :: v_dual_add_nc_u32 v5, -1, v4
	s_delay_alu instid0(VALU_DEP_1) | instskip(SKIP_1) | instid1(VALU_DEP_2)
	v_lshrrev_b32_e32 v8, 1, v5
	v_cmp_lt_u32_e32 vcc_lo, 13, v5
	v_add_nc_u32_e32 v5, 1, v8
	s_and_saveexec_b32 s3, vcc_lo
	s_cbranch_execz .LBB75_38
; %bb.35:
	s_delay_alu instid0(VALU_DEP_1)
	v_and_b32_e32 v8, -8, v5
	v_lshl_add_u32 v10, v0, 2, 0xe0
	s_mov_b32 s24, 0
	s_mov_b32 s25, 0
.LBB75_36:                              ; =>This Inner Loop Header: Depth=1
	ds_load_2addr_stride64_b32 v[12:13], v10 offset1:2
	ds_load_2addr_stride64_b32 v[14:15], v10 offset0:4 offset1:6
	ds_load_2addr_stride64_b32 v[16:17], v10 offset0:8 offset1:10
	;; [unrolled: 1-line block ×7, first 2 shown]
	s_add_co_i32 s25, s25, 16
	s_delay_alu instid0(SALU_CYCLE_1) | instskip(NEXT) | instid1(VALU_DEP_1)
	v_dual_mov_b32 v11, s25 :: v_dual_add_nc_u32 v8, -8, v8
	v_cmp_eq_u32_e32 vcc_lo, 0, v8
	s_or_b32 s24, vcc_lo, s24
	s_wait_dscnt 0x7
	v_pk_mul_f32 v[12:13], v[2:3], v[12:13]
	s_wait_dscnt 0x6
	v_pk_mul_f32 v[14:15], v[2:3], v[14:15]
	;; [unrolled: 2-line block ×8, first 2 shown]
	ds_store_2addr_stride64_b32 v10, v12, v13 offset1:2
	ds_store_2addr_stride64_b32 v10, v14, v15 offset0:4 offset1:6
	ds_store_2addr_stride64_b32 v10, v16, v17 offset0:8 offset1:10
	;; [unrolled: 1-line block ×7, first 2 shown]
	v_add_nc_u32_e32 v10, 0x2000, v10
	s_and_not1_b32 exec_lo, exec_lo, s24
	s_cbranch_execnz .LBB75_36
; %bb.37:
	s_or_b32 exec_lo, exec_lo, s24
.LBB75_38:
	s_delay_alu instid0(SALU_CYCLE_1) | instskip(NEXT) | instid1(VALU_DEP_1)
	s_or_b32 exec_lo, exec_lo, s3
	v_and_b32_e32 v5, 7, v5
	s_mov_b32 s24, 0
	s_mov_b32 s3, exec_lo
	s_delay_alu instid0(VALU_DEP_1)
	v_cmpx_ne_u32_e32 0, v5
	s_cbranch_execz .LBB75_41
; %bb.39:
	v_dual_lshlrev_b32 v8, 9, v11 :: v_dual_lshlrev_b32 v10, 2, v0
	s_delay_alu instid0(VALU_DEP_1)
	v_add3_u32 v8, v8, v10, 0xe0
.LBB75_40:                              ; =>This Inner Loop Header: Depth=1
	ds_load_2addr_stride64_b32 v[10:11], v8 offset1:2
	v_add_nc_u32_e32 v5, -1, v5
	s_delay_alu instid0(VALU_DEP_1)
	v_cmp_eq_u32_e32 vcc_lo, 0, v5
	s_or_b32 s24, vcc_lo, s24
	s_wait_dscnt 0x0
	v_pk_mul_f32 v[10:11], v[2:3], v[10:11]
	ds_store_2addr_stride64_b32 v8, v10, v11 offset1:2
	v_add_nc_u32_e32 v8, 0x400, v8
	s_and_not1_b32 exec_lo, exec_lo, s24
	s_cbranch_execnz .LBB75_40
.LBB75_41:
	s_or_b32 exec_lo, exec_lo, s3
	v_add_nc_u32_e32 v3, 1, v4
	s_delay_alu instid0(VALU_DEP_1) | instskip(NEXT) | instid1(VALU_DEP_1)
	v_and_b32_e32 v4, 0x3fffffe, v3
	v_cmp_ne_u32_e32 vcc_lo, v3, v4
	v_lshl_add_u32 v3, v4, 7, v0
	s_or_not1_b32 s3, vcc_lo, exec_lo
.LBB75_42:
	s_or_b32 exec_lo, exec_lo, s1
	s_delay_alu instid0(SALU_CYCLE_1)
	s_and_b32 exec_lo, exec_lo, s3
	s_cbranch_execz .LBB75_45
; %bb.43:
	v_lshl_add_u32 v4, v3, 2, 0xe0
	s_mov_b32 s1, 0
.LBB75_44:                              ; =>This Inner Loop Header: Depth=1
	ds_load_b32 v5, v4
	v_add_nc_u32_e32 v3, 0x80, v3
	s_delay_alu instid0(VALU_DEP_1)
	v_cmp_le_i32_e32 vcc_lo, s15, v3
	s_or_b32 s1, vcc_lo, s1
	s_wait_dscnt 0x0
	v_mul_f32_e32 v5, v2, v5
	ds_store_b32 v4, v5
	v_add_nc_u32_e32 v4, 0x200, v4
	s_and_not1_b32 exec_lo, exec_lo, s1
	s_cbranch_execnz .LBB75_44
.LBB75_45:
	s_or_b32 exec_lo, exec_lo, s0
	v_dual_mov_b32 v8, 0 :: v_dual_mov_b32 v11, 0
	v_dual_mov_b32 v10, 0 :: v_dual_mov_b32 v13, 0
	v_mov_b32_e32 v12, 0
	s_wait_dscnt 0x0
	s_barrier_signal -1
	s_barrier_wait -1
	s_and_saveexec_b32 s1, s2
	s_cbranch_execz .LBB75_63
; %bb.46:
	s_abs_i32 s10, s10
	v_dual_lshlrev_b32 v4, 4, v0 :: v_dual_bitop2_b32 v23, 8, v7 bitop3:0x40
	s_cvt_f32_u32 s0, s10
	v_mov_b32_e32 v7, 0
	v_and_b32_e32 v2, 0x7c, v1
	v_lshlrev_b32_e32 v1, 5, v35
	v_rcp_iflag_f32_e32 v3, s0
	s_ashr_i32 s15, s14, 31
	v_and_b32_e32 v4, 0x1f0, v4
	v_mov_b32_e32 v5, v7
	s_lshl_b64 s[20:21], s[20:21], 2
	s_lshl_b64 s[14:15], s[14:15], 1
	v_lshl_or_b32 v1, v36, 6, v1
	v_readfirstlane_b32 s0, v3
	v_mov_b32_e32 v3, v7
	s_add_nc_u64 s[18:19], s[18:19], s[20:21]
	s_wait_kmcnt 0x0
	s_add_nc_u64 s[14:15], s[22:23], s[14:15]
	s_sub_co_i32 s24, s8, s9
	s_mul_f32 s0, s0, 0x4f7ffffe
	s_sub_co_i32 s8, 0, s10
	v_add_nc_u64_e32 v[14:15], s[14:15], v[4:5]
	v_add_nc_u64_e32 v[16:17], s[18:19], v[2:3]
	s_cvt_u32_f32 s0, s0
	v_dual_mov_b32 v25, v36 :: v_dual_add_nc_u32 v24, 0xe0, v1
	v_dual_mov_b32 v12, v7 :: v_dual_mov_b32 v13, v7
	s_delay_alu instid0(SALU_CYCLE_1)
	s_mul_i32 s8, s8, s0
	v_dual_mov_b32 v10, v7 :: v_dual_mov_b32 v11, v7
	v_dual_mov_b32 v8, v7 :: v_dual_mov_b32 v9, v7
	s_mov_b32 s9, 0
	s_mul_hi_u32 s8, s0, s8
	s_ashr_i32 s3, s13, 31
	s_mov_b32 s2, s13
	s_add_co_i32 s13, s34, -1
	s_mov_b32 s14, s31
	s_add_co_i32 s8, s0, s8
	s_mov_b32 s15, s9
	s_branch .LBB75_49
.LBB75_47:                              ;   in Loop: Header=BB75_49 Depth=1
	s_or_b32 exec_lo, exec_lo, s0
	v_dual_lshlrev_b32 v18, 16, v18 :: v_dual_lshlrev_b32 v1, 16, v1
	s_delay_alu instid0(VALU_DEP_2) | instskip(NEXT) | instid1(VALU_DEP_2)
	v_dual_add_f32 v20, v20, v37 :: v_dual_lshlrev_b32 v19, 16, v19
	v_and_or_b32 v2, 0xffff, v2, v18
	s_delay_alu instid0(VALU_DEP_3) | instskip(NEXT) | instid1(VALU_DEP_3)
	v_and_or_b32 v3, 0xffff, v3, v1
	v_and_or_b32 v4, 0xffff, v4, v19
	;;#ASMSTART
	v_pk_mul_f16 v2, v39, v2;

	;;#ASMEND
	;;#ASMSTART
	v_pk_mul_f16 v3, v38, v3;

	;;#ASMEND
	;; [unrolled: 4-line block ×4, first 2 shown]
	;;#ASMSTART
	v_pk_add_f16 v2, v2, v3;

	;;#ASMEND
	;;#ASMSTART
	v_pk_add_f16 v2, v2, v4;

	;;#ASMEND
	;; [unrolled: 4-line block ×3, first 2 shown]
	v_and_b32_e32 v5, 0xffff, v2
	v_dual_add_f32 v1, v48, v49 :: v_dual_lshrrev_b32 v18, 16, v2
	;;#ASMSTART
	v_cvt_f32_f16 v5, v5;
	;;#ASMEND
	v_dual_add_f32 v8, v8, v20 :: v_dual_add_f32 v2, v46, v47
	v_dual_add_f32 v3, v44, v45 :: v_dual_add_f32 v4, v42, v43
	;;#ASMSTART
	v_cvt_f32_f16 v18, v18;
	;;#ASMEND
	v_dual_add_f32 v5, v5, v18 :: v_dual_add_f32 v11, v11, v1
	s_delay_alu instid0(VALU_DEP_2) | instskip(NEXT) | instid1(VALU_DEP_2)
	v_dual_add_f32 v10, v10, v2 :: v_dual_add_f32 v13, v13, v3
	v_dual_add_f32 v12, v12, v4 :: v_dual_add_f32 v9, v9, v5
.LBB75_48:                              ;   in Loop: Header=BB75_49 Depth=1
	s_or_b32 exec_lo, exec_lo, s18
	v_dual_add_nc_u32 v25, 4, v25 :: v_dual_add_nc_u32 v6, 64, v6
	v_add_nc_u64_e32 v[16:17], 16, v[16:17]
	v_add_nc_u32_e32 v24, 0x100, v24
	s_delay_alu instid0(VALU_DEP_3) | instskip(SKIP_1) | instid1(SALU_CYCLE_1)
	v_cmp_le_i32_e32 vcc_lo, s34, v25
	s_or_b32 s15, vcc_lo, s15
	s_and_not1_b32 exec_lo, exec_lo, s15
	s_cbranch_execz .LBB75_62
.LBB75_49:                              ; =>This Inner Loop Header: Depth=1
	v_mul_u64_e32 v[2:3], s[16:17], v[6:7]
	s_delay_alu instid0(VALU_DEP_1) | instskip(NEXT) | instid1(VALU_DEP_1)
	v_mul_lo_u32 v1, v3, s12
	v_dual_add_nc_u32 v2, 1, v3 :: v_dual_sub_nc_u32 v1, v6, v1
	s_delay_alu instid0(VALU_DEP_1) | instskip(SKIP_1) | instid1(VALU_DEP_2)
	v_subrev_nc_u32_e32 v4, s12, v1
	v_cmp_le_u32_e32 vcc_lo, s12, v1
	v_dual_cndmask_b32 v2, v3, v2 :: v_dual_cndmask_b32 v1, v1, v4
	s_delay_alu instid0(VALU_DEP_1) | instskip(NEXT) | instid1(VALU_DEP_2)
	v_add_nc_u32_e32 v3, 1, v2
	v_cmp_le_u32_e32 vcc_lo, s12, v1
	s_delay_alu instid0(VALU_DEP_2) | instskip(NEXT) | instid1(VALU_DEP_1)
	v_dual_cndmask_b32 v1, v2, v3, vcc_lo :: v_dual_mov_b32 v3, v7
	v_xor_b32_e32 v1, s11, v1
	s_delay_alu instid0(VALU_DEP_1) | instskip(NEXT) | instid1(VALU_DEP_1)
	v_subrev_nc_u32_e32 v1, s11, v1
	v_add_nc_u32_e32 v18, s33, v1
	v_cmp_lt_i32_e64 s0, s24, v1
	s_delay_alu instid0(VALU_DEP_2) | instskip(NEXT) | instid1(VALU_DEP_1)
	v_sub_nc_u32_e32 v2, 0, v18
	v_max_i32_e32 v2, v18, v2
	s_delay_alu instid0(VALU_DEP_1) | instskip(SKIP_1) | instid1(VALU_DEP_2)
	v_mul_u64_e32 v[4:5], s[8:9], v[2:3]
	v_ashrrev_i32_e32 v4, 31, v18
	v_mul_lo_u32 v3, v5, s10
	s_delay_alu instid0(VALU_DEP_1) | instskip(NEXT) | instid1(VALU_DEP_1)
	v_sub_nc_u32_e32 v2, v2, v3
	v_subrev_nc_u32_e32 v3, s10, v2
	v_cmp_le_u32_e32 vcc_lo, s10, v2
	s_delay_alu instid0(VALU_DEP_2) | instskip(NEXT) | instid1(VALU_DEP_1)
	v_cndmask_b32_e32 v2, v2, v3, vcc_lo
	v_subrev_nc_u32_e32 v3, s10, v2
	v_cmp_le_u32_e32 vcc_lo, s10, v2
	s_delay_alu instid0(VALU_DEP_2) | instskip(NEXT) | instid1(VALU_DEP_1)
	v_cndmask_b32_e32 v2, v2, v3, vcc_lo
	v_xor_b32_e32 v2, v2, v4
	s_delay_alu instid0(VALU_DEP_1) | instskip(NEXT) | instid1(VALU_DEP_1)
	v_sub_nc_u32_e32 v2, v2, v4
	v_cmp_eq_u32_e32 vcc_lo, 0, v2
	s_or_b32 s0, vcc_lo, s0
	s_delay_alu instid0(SALU_CYCLE_1)
	s_and_saveexec_b32 s18, s0
	s_cbranch_execz .LBB75_48
; %bb.50:                               ;   in Loop: Header=BB75_49 Depth=1
	global_load_b32 v2, v[16:17], off
	v_cmp_eq_u32_e32 vcc_lo, s13, v25
	s_wait_loadcnt 0x0
	v_ashrrev_i32_e32 v3, 31, v2
	s_delay_alu instid0(VALU_DEP_1)
	v_mul_u64_e32 v[18:19], s[2:3], v[2:3]
	ds_load_2addr_b64 v[2:5], v24 offset1:1
	ds_load_2addr_b64 v[26:29], v24 offset0:2 offset1:3
	s_wait_dscnt 0x1
	;;#ASMSTART
	v_cvt_f16_f32 v39, v2;

	;;#ASMEND
	;;#ASMSTART
	v_cvt_f16_f32 v38, v3;

	;;#ASMEND
	;; [unrolled: 4-line block ×4, first 2 shown]
	s_wait_dscnt 0x0
	;;#ASMSTART
	v_cvt_f16_f32 v45, v26;

	;;#ASMEND
	;;#ASMSTART
	v_cvt_f16_f32 v40, v27;

	;;#ASMEND
	;; [unrolled: 4-line block ×4, first 2 shown]
	v_lshl_add_u64 v[18:19], v[18:19], 1, v[14:15]
	global_load_b128 v[2:5], v[18:19], off
	s_wait_loadcnt 0x0
	v_dual_add_nc_u32 v30, v23, v6 :: v_dual_lshrrev_b32 v1, 16, v3
	s_delay_alu instid0(VALU_DEP_1)
	v_dual_add_nc_u32 v32, 2, v30 :: v_dual_add_nc_u32 v27, 4, v30
	v_dual_add_nc_u32 v26, 5, v30 :: v_dual_add_nc_u32 v29, 6, v30
	v_dual_add_nc_u32 v28, 7, v30 :: v_dual_bitop2_b32 v33, 3, v30 bitop3:0x54
	v_dual_lshrrev_b32 v20, 16, v2 :: v_dual_lshrrev_b32 v37, 16, v4
	v_or_b32_e32 v31, 1, v30
	s_and_saveexec_b32 s19, vcc_lo
	s_cbranch_execz .LBB75_52
; %bb.51:                               ;   in Loop: Header=BB75_49 Depth=1
	v_cmp_gt_i32_e64 s0, s31, v30
	v_and_b32_e32 v46, 0xffff, v5
	v_and_b32_e32 v5, 0xffff0000, v5
	s_delay_alu instid0(VALU_DEP_3) | instskip(SKIP_1) | instid1(VALU_DEP_1)
	v_cndmask_b32_e64 v2, 0, v2, s0
	v_cmp_gt_i32_e64 s0, s31, v32
	v_cndmask_b32_e64 v3, 0, v3, s0
	v_cmp_gt_i32_e64 s0, s14, v33
	s_delay_alu instid0(VALU_DEP_1) | instskip(SKIP_1) | instid1(VALU_DEP_1)
	v_cndmask_b32_e64 v1, 0, v1, s0
	v_cmp_gt_i32_e64 s0, s31, v31
	v_cndmask_b32_e64 v20, 0, v20, s0
	v_cmp_gt_i32_e64 s0, s31, v29
	s_delay_alu instid0(VALU_DEP_1) | instskip(SKIP_1) | instid1(VALU_DEP_1)
	;; [unrolled: 5-line block ×3, first 2 shown]
	v_dual_cndmask_b32 v4, 0, v4, s0 :: v_dual_bitop2_b32 v5, v46, v5 bitop3:0x54
	v_cmp_gt_i32_e64 s0, s31, v26
	v_cndmask_b32_e64 v37, 0, v37, s0
.LBB75_52:                              ;   in Loop: Header=BB75_49 Depth=1
	s_or_b32 exec_lo, exec_lo, s19
	v_and_b32_e32 v39, 0xffff, v39
	v_and_b32_e32 v44, 0xffff, v44
	v_dual_lshlrev_b32 v20, 16, v20 :: v_dual_lshlrev_b32 v1, 16, v1
	v_lshlrev_b32_e32 v37, 16, v37
	v_and_b32_e32 v45, 0xffff, v45
	v_lshl_or_b32 v39, v38, 16, v39
	v_lshl_or_b32 v38, v42, 16, v44
	v_and_b32_e32 v42, 0xffff, v43
	v_and_or_b32 v2, 0xffff, v2, v20
	v_and_or_b32 v1, 0xffff, v3, v1
	;; [unrolled: 1-line block ×3, first 2 shown]
	;;#ASMSTART
	v_pk_mul_f16 v2, v39, v2;

	;;#ASMEND
	;;#ASMSTART
	v_pk_mul_f16 v1, v38, v1;

	;;#ASMEND
	v_lshl_or_b32 v40, v40, 16, v45
	v_lshl_or_b32 v41, v41, 16, v42
	;;#ASMSTART
	v_pk_mul_f16 v3, v40, v3;

	;;#ASMEND
	;;#ASMSTART
	v_pk_mul_f16 v4, v41, v5;

	;;#ASMEND
	;;#ASMSTART
	v_pk_add_f16 v1, v2, v1;

	;;#ASMEND
	;;#ASMSTART
	v_pk_add_f16 v1, v1, v3;
	;; [unrolled: 4-line block ×3, first 2 shown]

	;;#ASMEND
	v_and_b32_e32 v2, 0xffff, v1
	v_lshrrev_b32_e32 v1, 16, v1
	;;#ASMSTART
	v_cvt_f32_f16 v42, v2;
	;;#ASMEND
	;;#ASMSTART
	v_cvt_f32_f16 v43, v1;
	;;#ASMEND
	global_load_b128 v[2:5], v[18:19], off offset:512
	s_wait_loadcnt 0x0
	v_dual_lshrrev_b32 v1, 16, v3 :: v_dual_lshrrev_b32 v20, 16, v2
	v_lshrrev_b32_e32 v37, 16, v4
	s_and_saveexec_b32 s19, vcc_lo
	s_cbranch_execz .LBB75_54
; %bb.53:                               ;   in Loop: Header=BB75_49 Depth=1
	v_cmp_gt_i32_e64 s0, s31, v30
	v_and_b32_e32 v44, 0xffff, v5
	v_and_b32_e32 v5, 0xffff0000, v5
	s_delay_alu instid0(VALU_DEP_3) | instskip(SKIP_1) | instid1(VALU_DEP_1)
	v_cndmask_b32_e64 v2, 0, v2, s0
	v_cmp_gt_i32_e64 s0, s31, v32
	v_cndmask_b32_e64 v3, 0, v3, s0
	v_cmp_gt_i32_e64 s0, s14, v33
	s_delay_alu instid0(VALU_DEP_1) | instskip(SKIP_1) | instid1(VALU_DEP_1)
	v_cndmask_b32_e64 v1, 0, v1, s0
	v_cmp_gt_i32_e64 s0, s31, v31
	v_cndmask_b32_e64 v20, 0, v20, s0
	v_cmp_gt_i32_e64 s0, s31, v29
	s_delay_alu instid0(VALU_DEP_1) | instskip(SKIP_1) | instid1(VALU_DEP_1)
	;; [unrolled: 5-line block ×3, first 2 shown]
	v_dual_cndmask_b32 v4, 0, v4, s0 :: v_dual_bitop2_b32 v5, v44, v5 bitop3:0x54
	v_cmp_gt_i32_e64 s0, s31, v26
	v_cndmask_b32_e64 v37, 0, v37, s0
.LBB75_54:                              ;   in Loop: Header=BB75_49 Depth=1
	s_or_b32 exec_lo, exec_lo, s19
	v_dual_lshlrev_b32 v20, 16, v20 :: v_dual_lshlrev_b32 v1, 16, v1
	s_delay_alu instid0(VALU_DEP_2) | instskip(NEXT) | instid1(VALU_DEP_2)
	v_lshlrev_b32_e32 v37, 16, v37
	v_and_or_b32 v2, 0xffff, v2, v20
	s_delay_alu instid0(VALU_DEP_3) | instskip(NEXT) | instid1(VALU_DEP_3)
	v_and_or_b32 v1, 0xffff, v3, v1
	v_and_or_b32 v3, 0xffff, v4, v37
	;;#ASMSTART
	v_pk_mul_f16 v2, v39, v2;

	;;#ASMEND
	;;#ASMSTART
	v_pk_mul_f16 v1, v38, v1;

	;;#ASMEND
	;;#ASMSTART
	v_pk_mul_f16 v3, v40, v3;

	;;#ASMEND
	;;#ASMSTART
	v_pk_mul_f16 v4, v41, v5;

	;;#ASMEND
	;;#ASMSTART
	v_pk_add_f16 v1, v2, v1;

	;;#ASMEND
	;;#ASMSTART
	v_pk_add_f16 v1, v1, v3;

	;;#ASMEND
	;; [unrolled: 4-line block ×3, first 2 shown]
	v_and_b32_e32 v2, 0xffff, v1
	v_lshrrev_b32_e32 v1, 16, v1
	;;#ASMSTART
	v_cvt_f32_f16 v44, v2;
	;;#ASMEND
	;;#ASMSTART
	v_cvt_f32_f16 v45, v1;
	;;#ASMEND
	global_load_b128 v[2:5], v[18:19], off offset:1024
	s_wait_loadcnt 0x0
	v_dual_lshrrev_b32 v1, 16, v3 :: v_dual_lshrrev_b32 v20, 16, v2
	v_lshrrev_b32_e32 v37, 16, v4
	s_and_saveexec_b32 s19, vcc_lo
	s_cbranch_execz .LBB75_56
; %bb.55:                               ;   in Loop: Header=BB75_49 Depth=1
	v_cmp_gt_i32_e64 s0, s31, v30
	v_and_b32_e32 v46, 0xffff, v5
	v_and_b32_e32 v5, 0xffff0000, v5
	s_delay_alu instid0(VALU_DEP_3) | instskip(SKIP_1) | instid1(VALU_DEP_1)
	v_cndmask_b32_e64 v2, 0, v2, s0
	v_cmp_gt_i32_e64 s0, s31, v32
	v_cndmask_b32_e64 v3, 0, v3, s0
	v_cmp_gt_i32_e64 s0, s14, v33
	s_delay_alu instid0(VALU_DEP_1) | instskip(SKIP_1) | instid1(VALU_DEP_1)
	v_cndmask_b32_e64 v1, 0, v1, s0
	v_cmp_gt_i32_e64 s0, s31, v31
	v_cndmask_b32_e64 v20, 0, v20, s0
	v_cmp_gt_i32_e64 s0, s31, v29
	s_delay_alu instid0(VALU_DEP_1) | instskip(SKIP_1) | instid1(VALU_DEP_1)
	;; [unrolled: 5-line block ×3, first 2 shown]
	v_dual_cndmask_b32 v4, 0, v4, s0 :: v_dual_bitop2_b32 v5, v46, v5 bitop3:0x54
	v_cmp_gt_i32_e64 s0, s31, v26
	v_cndmask_b32_e64 v37, 0, v37, s0
.LBB75_56:                              ;   in Loop: Header=BB75_49 Depth=1
	s_or_b32 exec_lo, exec_lo, s19
	v_dual_lshlrev_b32 v20, 16, v20 :: v_dual_lshlrev_b32 v1, 16, v1
	s_delay_alu instid0(VALU_DEP_2) | instskip(NEXT) | instid1(VALU_DEP_2)
	v_lshlrev_b32_e32 v37, 16, v37
	v_and_or_b32 v2, 0xffff, v2, v20
	s_delay_alu instid0(VALU_DEP_3) | instskip(NEXT) | instid1(VALU_DEP_3)
	v_and_or_b32 v1, 0xffff, v3, v1
	v_and_or_b32 v3, 0xffff, v4, v37
	;;#ASMSTART
	v_pk_mul_f16 v2, v39, v2;

	;;#ASMEND
	;;#ASMSTART
	v_pk_mul_f16 v1, v38, v1;

	;;#ASMEND
	;; [unrolled: 4-line block ×4, first 2 shown]
	;;#ASMSTART
	v_pk_add_f16 v1, v2, v1;

	;;#ASMEND
	;;#ASMSTART
	v_pk_add_f16 v1, v1, v3;

	;;#ASMEND
	;; [unrolled: 4-line block ×3, first 2 shown]
	v_and_b32_e32 v2, 0xffff, v1
	v_lshrrev_b32_e32 v1, 16, v1
	;;#ASMSTART
	v_cvt_f32_f16 v46, v2;
	;;#ASMEND
	;;#ASMSTART
	v_cvt_f32_f16 v47, v1;
	;;#ASMEND
	global_load_b128 v[2:5], v[18:19], off offset:1536
	s_wait_loadcnt 0x0
	v_dual_lshrrev_b32 v1, 16, v3 :: v_dual_lshrrev_b32 v20, 16, v2
	v_lshrrev_b32_e32 v37, 16, v4
	s_and_saveexec_b32 s19, vcc_lo
	s_cbranch_execz .LBB75_58
; %bb.57:                               ;   in Loop: Header=BB75_49 Depth=1
	v_cmp_gt_i32_e64 s0, s31, v30
	v_and_b32_e32 v48, 0xffff, v5
	v_and_b32_e32 v5, 0xffff0000, v5
	s_delay_alu instid0(VALU_DEP_3) | instskip(SKIP_1) | instid1(VALU_DEP_1)
	v_cndmask_b32_e64 v2, 0, v2, s0
	v_cmp_gt_i32_e64 s0, s31, v32
	v_cndmask_b32_e64 v3, 0, v3, s0
	v_cmp_gt_i32_e64 s0, s14, v33
	s_delay_alu instid0(VALU_DEP_1) | instskip(SKIP_1) | instid1(VALU_DEP_1)
	v_cndmask_b32_e64 v1, 0, v1, s0
	v_cmp_gt_i32_e64 s0, s31, v31
	v_cndmask_b32_e64 v20, 0, v20, s0
	v_cmp_gt_i32_e64 s0, s31, v29
	s_delay_alu instid0(VALU_DEP_1) | instskip(SKIP_1) | instid1(VALU_DEP_1)
	;; [unrolled: 5-line block ×3, first 2 shown]
	v_dual_cndmask_b32 v4, 0, v4, s0 :: v_dual_bitop2_b32 v5, v48, v5 bitop3:0x54
	v_cmp_gt_i32_e64 s0, s31, v26
	v_cndmask_b32_e64 v37, 0, v37, s0
.LBB75_58:                              ;   in Loop: Header=BB75_49 Depth=1
	s_or_b32 exec_lo, exec_lo, s19
	v_dual_lshlrev_b32 v20, 16, v20 :: v_dual_lshlrev_b32 v1, 16, v1
	s_delay_alu instid0(VALU_DEP_2) | instskip(NEXT) | instid1(VALU_DEP_2)
	v_lshlrev_b32_e32 v37, 16, v37
	v_and_or_b32 v2, 0xffff, v2, v20
	s_delay_alu instid0(VALU_DEP_3) | instskip(NEXT) | instid1(VALU_DEP_3)
	v_and_or_b32 v1, 0xffff, v3, v1
	v_and_or_b32 v3, 0xffff, v4, v37
	;;#ASMSTART
	v_pk_mul_f16 v2, v39, v2;

	;;#ASMEND
	;;#ASMSTART
	v_pk_mul_f16 v1, v38, v1;

	;;#ASMEND
	;; [unrolled: 4-line block ×4, first 2 shown]
	;;#ASMSTART
	v_pk_add_f16 v1, v2, v1;

	;;#ASMEND
	;;#ASMSTART
	v_pk_add_f16 v1, v1, v3;

	;;#ASMEND
	;; [unrolled: 4-line block ×3, first 2 shown]
	v_and_b32_e32 v2, 0xffff, v1
	v_lshrrev_b32_e32 v1, 16, v1
	;;#ASMSTART
	v_cvt_f32_f16 v48, v2;
	;;#ASMEND
	;;#ASMSTART
	v_cvt_f32_f16 v49, v1;
	;;#ASMEND
	global_load_b128 v[2:5], v[18:19], off offset:2048
	s_wait_loadcnt 0x0
	v_dual_lshrrev_b32 v1, 16, v3 :: v_dual_lshrrev_b32 v20, 16, v2
	v_lshrrev_b32_e32 v37, 16, v4
	s_and_saveexec_b32 s19, vcc_lo
	s_cbranch_execz .LBB75_60
; %bb.59:                               ;   in Loop: Header=BB75_49 Depth=1
	v_cmp_gt_i32_e64 s0, s31, v30
	v_and_b32_e32 v50, 0xffff, v5
	v_and_b32_e32 v5, 0xffff0000, v5
	s_delay_alu instid0(VALU_DEP_3) | instskip(SKIP_1) | instid1(VALU_DEP_1)
	v_cndmask_b32_e64 v2, 0, v2, s0
	v_cmp_gt_i32_e64 s0, s31, v32
	v_cndmask_b32_e64 v3, 0, v3, s0
	v_cmp_gt_i32_e64 s0, s14, v33
	s_delay_alu instid0(VALU_DEP_1) | instskip(SKIP_1) | instid1(VALU_DEP_1)
	v_cndmask_b32_e64 v1, 0, v1, s0
	v_cmp_gt_i32_e64 s0, s31, v31
	v_cndmask_b32_e64 v20, 0, v20, s0
	v_cmp_gt_i32_e64 s0, s31, v29
	s_delay_alu instid0(VALU_DEP_1) | instskip(SKIP_1) | instid1(VALU_DEP_1)
	v_cndmask_b32_e64 v50, 0, v50, s0
	v_cmp_gt_i32_e64 s0, s31, v28
	v_cndmask_b32_e64 v5, 0, v5, s0
	v_cmp_gt_i32_e64 s0, s31, v27
	s_delay_alu instid0(VALU_DEP_1) | instskip(SKIP_1) | instid1(VALU_DEP_1)
	v_dual_cndmask_b32 v4, 0, v4, s0 :: v_dual_bitop2_b32 v5, v50, v5 bitop3:0x54
	v_cmp_gt_i32_e64 s0, s31, v26
	v_cndmask_b32_e64 v37, 0, v37, s0
.LBB75_60:                              ;   in Loop: Header=BB75_49 Depth=1
	s_or_b32 exec_lo, exec_lo, s19
	v_dual_lshlrev_b32 v20, 16, v20 :: v_dual_lshlrev_b32 v1, 16, v1
	s_delay_alu instid0(VALU_DEP_2) | instskip(NEXT) | instid1(VALU_DEP_2)
	v_lshlrev_b32_e32 v37, 16, v37
	v_and_or_b32 v2, 0xffff, v2, v20
	s_delay_alu instid0(VALU_DEP_3) | instskip(NEXT) | instid1(VALU_DEP_3)
	v_and_or_b32 v1, 0xffff, v3, v1
	v_and_or_b32 v3, 0xffff, v4, v37
	;;#ASMSTART
	v_pk_mul_f16 v2, v39, v2;

	;;#ASMEND
	;;#ASMSTART
	v_pk_mul_f16 v1, v38, v1;

	;;#ASMEND
	;; [unrolled: 4-line block ×4, first 2 shown]
	;;#ASMSTART
	v_pk_add_f16 v1, v2, v1;

	;;#ASMEND
	;;#ASMSTART
	v_pk_add_f16 v1, v1, v3;

	;;#ASMEND
	;;#ASMSTART
	v_pk_add_f16 v1, v1, v4;

	;;#ASMEND
	v_and_b32_e32 v2, 0xffff, v1
	v_lshrrev_b32_e32 v1, 16, v1
	;;#ASMSTART
	v_cvt_f32_f16 v20, v2;
	;;#ASMEND
	;;#ASMSTART
	v_cvt_f32_f16 v37, v1;
	;;#ASMEND
	global_load_b128 v[2:5], v[18:19], off offset:2560
	s_wait_loadcnt 0x0
	v_dual_lshrrev_b32 v1, 16, v3 :: v_dual_lshrrev_b32 v18, 16, v2
	v_lshrrev_b32_e32 v19, 16, v4
	s_and_saveexec_b32 s0, vcc_lo
	s_cbranch_execz .LBB75_47
; %bb.61:                               ;   in Loop: Header=BB75_49 Depth=1
	v_cmp_gt_i32_e32 vcc_lo, s31, v30
	v_and_b32_e32 v30, 0xffff, v5
	v_and_b32_e32 v5, 0xffff0000, v5
	v_cndmask_b32_e32 v2, 0, v2, vcc_lo
	v_cmp_gt_i32_e32 vcc_lo, s31, v32
	v_cndmask_b32_e32 v3, 0, v3, vcc_lo
	v_cmp_gt_i32_e32 vcc_lo, s14, v33
	;; [unrolled: 2-line block ×6, first 2 shown]
	s_delay_alu instid0(VALU_DEP_2)
	v_dual_cndmask_b32 v4, 0, v4, vcc_lo :: v_dual_bitop2_b32 v5, v29, v5 bitop3:0x54
	v_cmp_gt_i32_e32 vcc_lo, s31, v26
	v_cndmask_b32_e32 v19, 0, v19, vcc_lo
	s_branch .LBB75_47
.LBB75_62:
	s_or_b32 exec_lo, exec_lo, s15
.LBB75_63:
	s_delay_alu instid0(SALU_CYCLE_1)
	s_or_b32 exec_lo, exec_lo, s1
	ds_bpermute_b32 v2, v22, v12
	ds_bpermute_b32 v3, v22, v13
	;; [unrolled: 1-line block ×6, first 2 shown]
	v_and_b32_e32 v16, 0x3c1, v0
	v_lshrrev_b32_e32 v1, 1, v21
	s_mov_b32 s0, exec_lo
	s_wait_dscnt 0x0
	s_barrier_signal -1
	s_barrier_wait -1
	v_pk_add_f32 v[4:5], v[12:13], v[2:3]
	v_pk_add_f32 v[2:3], v[10:11], v[14:15]
	v_cmpx_ne_u32_e32 64, v16
	s_xor_b32 s0, exec_lo, s0
	s_delay_alu instid0(SALU_CYCLE_1)
	s_or_saveexec_b32 s0, s0
	v_pk_add_f32 v[6:7], v[8:9], v[6:7]
	v_lshl_add_u32 v8, v1, 2, 0xe0
	v_mul_u32_u24_e32 v9, 0x180, v36
	s_xor_b32 exec_lo, exec_lo, s0
	s_cbranch_execz .LBB75_65
; %bb.64:
	s_delay_alu instid0(VALU_DEP_1) | instskip(NEXT) | instid1(VALU_DEP_1)
	v_add_nc_u32_e32 v10, v8, v9
	v_add_nc_u32_e32 v11, 0xfffffd00, v10
	;; [unrolled: 1-line block ×7, first 2 shown]
	ds_store_b32 v11, v4
	ds_store_b32 v12, v5
	;; [unrolled: 1-line block ×6, first 2 shown]
.LBB75_65:
	s_or_b32 exec_lo, exec_lo, s0
	v_lshlrev_b32_e32 v1, 2, v1
	s_mov_b32 s1, exec_lo
	v_cmp_eq_u32_e32 vcc_lo, 0, v35
	s_wait_dscnt 0x0
	s_barrier_signal -1
	v_add3_u32 v1, 0xe0, v9, v1
	s_barrier_wait -1
	v_cmpx_gt_u32_e32 64, v0
	s_cbranch_execz .LBB75_74
; %bb.66:
	s_and_saveexec_b32 s0, vcc_lo
	s_cbranch_execnz .LBB75_88
; %bb.67:
	s_or_b32 exec_lo, exec_lo, s0
	s_and_saveexec_b32 s0, vcc_lo
	s_cbranch_execnz .LBB75_89
.LBB75_68:
	s_or_b32 exec_lo, exec_lo, s0
	s_and_saveexec_b32 s0, vcc_lo
	s_cbranch_execnz .LBB75_90
.LBB75_69:
	s_or_b32 exec_lo, exec_lo, s0
	s_and_saveexec_b32 s0, vcc_lo
	s_cbranch_execnz .LBB75_91
.LBB75_70:
	s_or_b32 exec_lo, exec_lo, s0
	s_and_saveexec_b32 s0, vcc_lo
	s_cbranch_execnz .LBB75_92
.LBB75_71:
	s_or_b32 exec_lo, exec_lo, s0
	s_and_saveexec_b32 s0, vcc_lo
	s_cbranch_execz .LBB75_73
.LBB75_72:
	ds_load_b32 v9, v1 offset:320
	s_wait_dscnt 0x0
	v_add_f32_e32 v7, v7, v9
.LBB75_73:
	s_or_b32 exec_lo, exec_lo, s0
.LBB75_74:
	s_delay_alu instid0(SALU_CYCLE_1) | instskip(SKIP_4) | instid1(VALU_DEP_1)
	s_or_b32 exec_lo, exec_lo, s1
	v_and_b32_e32 v9, 0x3e1, v0
	s_mov_b32 s1, exec_lo
	s_barrier_signal -1
	s_barrier_wait -1
	v_cmpx_eq_u32_e32 32, v9
	s_cbranch_execz .LBB75_76
; %bb.75:
	ds_store_2addr_b32 v8, v4, v5 offset1:16
	ds_store_2addr_b32 v8, v2, v3 offset0:32 offset1:48
	ds_store_2addr_b32 v8, v6, v7 offset0:64 offset1:80
.LBB75_76:
	s_or_b32 exec_lo, exec_lo, s1
	s_delay_alu instid0(SALU_CYCLE_1)
	s_mov_b32 s1, exec_lo
	s_wait_dscnt 0x0
	s_barrier_signal -1
	s_barrier_wait -1
	v_cmpx_gt_u32_e32 32, v0
	s_cbranch_execz .LBB75_85
; %bb.77:
	s_and_saveexec_b32 s0, vcc_lo
	s_cbranch_execnz .LBB75_93
; %bb.78:
	s_or_b32 exec_lo, exec_lo, s0
	s_and_saveexec_b32 s0, vcc_lo
	s_cbranch_execnz .LBB75_94
.LBB75_79:
	s_or_b32 exec_lo, exec_lo, s0
	s_and_saveexec_b32 s0, vcc_lo
	s_cbranch_execnz .LBB75_95
.LBB75_80:
	s_or_b32 exec_lo, exec_lo, s0
	s_and_saveexec_b32 s0, vcc_lo
	s_cbranch_execnz .LBB75_96
.LBB75_81:
	s_or_b32 exec_lo, exec_lo, s0
	s_and_saveexec_b32 s0, vcc_lo
	s_cbranch_execnz .LBB75_97
.LBB75_82:
	s_or_b32 exec_lo, exec_lo, s0
	s_and_saveexec_b32 s0, vcc_lo
	s_cbranch_execz .LBB75_84
.LBB75_83:
	ds_load_b32 v0, v1 offset:320
	s_wait_dscnt 0x0
	v_add_f32_e32 v7, v7, v0
.LBB75_84:
	s_or_b32 exec_lo, exec_lo, s0
.LBB75_85:
	s_delay_alu instid0(SALU_CYCLE_1)
	s_or_b32 exec_lo, exec_lo, s1
	s_mov_b32 s1, 0
	s_barrier_signal -1
	s_barrier_wait -1
	s_mov_b32 s0, exec_lo
	v_cmpx_eq_u32_e32 0, v9
	s_cbranch_execz .LBB75_87
; %bb.86:
	s_mul_i32 s0, s30, s7
	s_mul_i32 s2, s7, s6
	s_mul_i32 s0, s0, s29
	s_lshr_b32 s8, ttmp7, 16
	s_mul_i32 s6, s0, 0x60
	s_bfe_u32 s0, ttmp6, 0x40014
	s_ashr_i32 s7, s6, 31
	s_add_co_i32 s0, s0, 1
	s_ashr_i32 s3, s2, 31
	s_mul_i32 s0, s8, s0
	s_bfe_u32 s9, ttmp6, 0x40008
	s_lshl_b64 s[6:7], s[6:7], 1
	s_lshl_b64 s[2:3], s[2:3], 1
	s_add_co_i32 s9, s9, s0
	s_cmp_eq_u32 s28, 0
	s_wait_kmcnt 0x0
	s_add_nc_u64 s[4:5], s[4:5], s[6:7]
	s_cselect_b32 s0, s8, s9
	s_add_nc_u64 s[2:3], s[4:5], s[2:3]
	s_mulk_i32 s0, 0xc0
	;;#ASMSTART
	v_cvt_f16_f32 v0, v4;

	;;#ASMEND
	s_add_nc_u64 s[0:1], s[2:3], s[0:1]
	global_store_b16 v34, v0, s[0:1] scale_offset
	s_wait_xcnt 0x0
	;;#ASMSTART
	v_cvt_f16_f32 v0, v5;

	;;#ASMEND
	global_store_b16 v34, v0, s[0:1] offset:32 scale_offset
	s_wait_xcnt 0x0
	;;#ASMSTART
	v_cvt_f16_f32 v0, v2;

	;;#ASMEND
	global_store_b16 v34, v0, s[0:1] offset:64 scale_offset
	;; [unrolled: 6-line block ×5, first 2 shown]
.LBB75_87:
	s_sendmsg sendmsg(MSG_DEALLOC_VGPRS)
	s_endpgm
.LBB75_88:
	ds_load_b32 v9, v1
	s_wait_dscnt 0x0
	v_add_f32_e32 v4, v4, v9
	s_or_b32 exec_lo, exec_lo, s0
	s_and_saveexec_b32 s0, vcc_lo
	s_cbranch_execz .LBB75_68
.LBB75_89:
	ds_load_b32 v9, v1 offset:64
	s_wait_dscnt 0x0
	v_add_f32_e32 v5, v5, v9
	s_or_b32 exec_lo, exec_lo, s0
	s_and_saveexec_b32 s0, vcc_lo
	s_cbranch_execz .LBB75_69
.LBB75_90:
	ds_load_b32 v9, v1 offset:128
	s_wait_dscnt 0x0
	v_add_f32_e32 v2, v2, v9
	s_or_b32 exec_lo, exec_lo, s0
	s_and_saveexec_b32 s0, vcc_lo
	s_cbranch_execz .LBB75_70
.LBB75_91:
	ds_load_b32 v9, v1 offset:192
	s_wait_dscnt 0x0
	v_add_f32_e32 v3, v3, v9
	s_or_b32 exec_lo, exec_lo, s0
	s_and_saveexec_b32 s0, vcc_lo
	s_cbranch_execz .LBB75_71
.LBB75_92:
	ds_load_b32 v9, v1 offset:256
	s_wait_dscnt 0x0
	v_add_f32_e32 v6, v6, v9
	s_or_b32 exec_lo, exec_lo, s0
	s_and_saveexec_b32 s0, vcc_lo
	s_cbranch_execnz .LBB75_72
	s_branch .LBB75_73
.LBB75_93:
	ds_load_b32 v0, v1
	s_wait_dscnt 0x0
	v_add_f32_e32 v4, v4, v0
	s_or_b32 exec_lo, exec_lo, s0
	s_and_saveexec_b32 s0, vcc_lo
	s_cbranch_execz .LBB75_79
.LBB75_94:
	ds_load_b32 v0, v1 offset:64
	s_wait_dscnt 0x0
	v_add_f32_e32 v5, v5, v0
	s_or_b32 exec_lo, exec_lo, s0
	s_and_saveexec_b32 s0, vcc_lo
	s_cbranch_execz .LBB75_80
.LBB75_95:
	ds_load_b32 v0, v1 offset:128
	s_wait_dscnt 0x0
	v_add_f32_e32 v2, v2, v0
	s_or_b32 exec_lo, exec_lo, s0
	s_and_saveexec_b32 s0, vcc_lo
	s_cbranch_execz .LBB75_81
.LBB75_96:
	ds_load_b32 v0, v1 offset:192
	s_wait_dscnt 0x0
	v_add_f32_e32 v3, v3, v0
	s_or_b32 exec_lo, exec_lo, s0
	s_and_saveexec_b32 s0, vcc_lo
	s_cbranch_execz .LBB75_82
.LBB75_97:
	ds_load_b32 v0, v1 offset:256
	s_wait_dscnt 0x0
	v_add_f32_e32 v6, v6, v0
	s_or_b32 exec_lo, exec_lo, s0
	s_and_saveexec_b32 s0, vcc_lo
	s_cbranch_execnz .LBB75_83
	s_branch .LBB75_84
	.section	.rodata,"a",@progbits
	.p2align	6, 0x0
	.amdhsa_kernel _ZN4vllm25paged_attention_v1_kernelIttLi96ELi16ELi128ELNS_18Fp8KVCacheDataTypeE0ELb1EEEvPT_PKS2_PKT0_S8_ifPKiSA_iPKfiiiSC_SC_iiiii
		.amdhsa_group_segment_fixed_size 224
		.amdhsa_private_segment_fixed_size 0
		.amdhsa_kernarg_size 384
		.amdhsa_user_sgpr_count 2
		.amdhsa_user_sgpr_dispatch_ptr 0
		.amdhsa_user_sgpr_queue_ptr 0
		.amdhsa_user_sgpr_kernarg_segment_ptr 1
		.amdhsa_user_sgpr_dispatch_id 0
		.amdhsa_user_sgpr_kernarg_preload_length 0
		.amdhsa_user_sgpr_kernarg_preload_offset 0
		.amdhsa_user_sgpr_private_segment_size 0
		.amdhsa_wavefront_size32 1
		.amdhsa_uses_dynamic_stack 0
		.amdhsa_enable_private_segment 0
		.amdhsa_system_sgpr_workgroup_id_x 1
		.amdhsa_system_sgpr_workgroup_id_y 1
		.amdhsa_system_sgpr_workgroup_id_z 1
		.amdhsa_system_sgpr_workgroup_info 0
		.amdhsa_system_vgpr_workitem_id 0
		.amdhsa_next_free_vgpr 93
		.amdhsa_next_free_sgpr 40
		.amdhsa_named_barrier_count 0
		.amdhsa_reserve_vcc 1
		.amdhsa_float_round_mode_32 0
		.amdhsa_float_round_mode_16_64 0
		.amdhsa_float_denorm_mode_32 3
		.amdhsa_float_denorm_mode_16_64 3
		.amdhsa_fp16_overflow 0
		.amdhsa_memory_ordered 1
		.amdhsa_forward_progress 1
		.amdhsa_inst_pref_size 62
		.amdhsa_round_robin_scheduling 0
		.amdhsa_exception_fp_ieee_invalid_op 0
		.amdhsa_exception_fp_denorm_src 0
		.amdhsa_exception_fp_ieee_div_zero 0
		.amdhsa_exception_fp_ieee_overflow 0
		.amdhsa_exception_fp_ieee_underflow 0
		.amdhsa_exception_fp_ieee_inexact 0
		.amdhsa_exception_int_div_zero 0
	.end_amdhsa_kernel
	.section	.text._ZN4vllm25paged_attention_v1_kernelIttLi96ELi16ELi128ELNS_18Fp8KVCacheDataTypeE0ELb1EEEvPT_PKS2_PKT0_S8_ifPKiSA_iPKfiiiSC_SC_iiiii,"axG",@progbits,_ZN4vllm25paged_attention_v1_kernelIttLi96ELi16ELi128ELNS_18Fp8KVCacheDataTypeE0ELb1EEEvPT_PKS2_PKT0_S8_ifPKiSA_iPKfiiiSC_SC_iiiii,comdat
.Lfunc_end75:
	.size	_ZN4vllm25paged_attention_v1_kernelIttLi96ELi16ELi128ELNS_18Fp8KVCacheDataTypeE0ELb1EEEvPT_PKS2_PKT0_S8_ifPKiSA_iPKfiiiSC_SC_iiiii, .Lfunc_end75-_ZN4vllm25paged_attention_v1_kernelIttLi96ELi16ELi128ELNS_18Fp8KVCacheDataTypeE0ELb1EEEvPT_PKS2_PKT0_S8_ifPKiSA_iPKfiiiSC_SC_iiiii
                                        ; -- End function
	.set _ZN4vllm25paged_attention_v1_kernelIttLi96ELi16ELi128ELNS_18Fp8KVCacheDataTypeE0ELb1EEEvPT_PKS2_PKT0_S8_ifPKiSA_iPKfiiiSC_SC_iiiii.num_vgpr, 93
	.set _ZN4vllm25paged_attention_v1_kernelIttLi96ELi16ELi128ELNS_18Fp8KVCacheDataTypeE0ELb1EEEvPT_PKS2_PKT0_S8_ifPKiSA_iPKfiiiSC_SC_iiiii.num_agpr, 0
	.set _ZN4vllm25paged_attention_v1_kernelIttLi96ELi16ELi128ELNS_18Fp8KVCacheDataTypeE0ELb1EEEvPT_PKS2_PKT0_S8_ifPKiSA_iPKfiiiSC_SC_iiiii.numbered_sgpr, 40
	.set _ZN4vllm25paged_attention_v1_kernelIttLi96ELi16ELi128ELNS_18Fp8KVCacheDataTypeE0ELb1EEEvPT_PKS2_PKT0_S8_ifPKiSA_iPKfiiiSC_SC_iiiii.num_named_barrier, 0
	.set _ZN4vllm25paged_attention_v1_kernelIttLi96ELi16ELi128ELNS_18Fp8KVCacheDataTypeE0ELb1EEEvPT_PKS2_PKT0_S8_ifPKiSA_iPKfiiiSC_SC_iiiii.private_seg_size, 0
	.set _ZN4vllm25paged_attention_v1_kernelIttLi96ELi16ELi128ELNS_18Fp8KVCacheDataTypeE0ELb1EEEvPT_PKS2_PKT0_S8_ifPKiSA_iPKfiiiSC_SC_iiiii.uses_vcc, 1
	.set _ZN4vllm25paged_attention_v1_kernelIttLi96ELi16ELi128ELNS_18Fp8KVCacheDataTypeE0ELb1EEEvPT_PKS2_PKT0_S8_ifPKiSA_iPKfiiiSC_SC_iiiii.uses_flat_scratch, 0
	.set _ZN4vllm25paged_attention_v1_kernelIttLi96ELi16ELi128ELNS_18Fp8KVCacheDataTypeE0ELb1EEEvPT_PKS2_PKT0_S8_ifPKiSA_iPKfiiiSC_SC_iiiii.has_dyn_sized_stack, 0
	.set _ZN4vllm25paged_attention_v1_kernelIttLi96ELi16ELi128ELNS_18Fp8KVCacheDataTypeE0ELb1EEEvPT_PKS2_PKT0_S8_ifPKiSA_iPKfiiiSC_SC_iiiii.has_recursion, 0
	.set _ZN4vllm25paged_attention_v1_kernelIttLi96ELi16ELi128ELNS_18Fp8KVCacheDataTypeE0ELb1EEEvPT_PKS2_PKT0_S8_ifPKiSA_iPKfiiiSC_SC_iiiii.has_indirect_call, 0
	.section	.AMDGPU.csdata,"",@progbits
; Kernel info:
; codeLenInByte = 7812
; TotalNumSgprs: 42
; NumVgprs: 93
; ScratchSize: 0
; MemoryBound: 0
; FloatMode: 240
; IeeeMode: 1
; LDSByteSize: 224 bytes/workgroup (compile time only)
; SGPRBlocks: 0
; VGPRBlocks: 5
; NumSGPRsForWavesPerEU: 42
; NumVGPRsForWavesPerEU: 93
; NamedBarCnt: 0
; Occupancy: 10
; WaveLimiterHint : 1
; COMPUTE_PGM_RSRC2:SCRATCH_EN: 0
; COMPUTE_PGM_RSRC2:USER_SGPR: 2
; COMPUTE_PGM_RSRC2:TRAP_HANDLER: 0
; COMPUTE_PGM_RSRC2:TGID_X_EN: 1
; COMPUTE_PGM_RSRC2:TGID_Y_EN: 1
; COMPUTE_PGM_RSRC2:TGID_Z_EN: 1
; COMPUTE_PGM_RSRC2:TIDIG_COMP_CNT: 0
	.section	.text._ZN4vllm25paged_attention_v1_kernelIttLi112ELi16ELi128ELNS_18Fp8KVCacheDataTypeE0ELb1EEEvPT_PKS2_PKT0_S8_ifPKiSA_iPKfiiiSC_SC_iiiii,"axG",@progbits,_ZN4vllm25paged_attention_v1_kernelIttLi112ELi16ELi128ELNS_18Fp8KVCacheDataTypeE0ELb1EEEvPT_PKS2_PKT0_S8_ifPKiSA_iPKfiiiSC_SC_iiiii,comdat
	.protected	_ZN4vllm25paged_attention_v1_kernelIttLi112ELi16ELi128ELNS_18Fp8KVCacheDataTypeE0ELb1EEEvPT_PKS2_PKT0_S8_ifPKiSA_iPKfiiiSC_SC_iiiii ; -- Begin function _ZN4vllm25paged_attention_v1_kernelIttLi112ELi16ELi128ELNS_18Fp8KVCacheDataTypeE0ELb1EEEvPT_PKS2_PKT0_S8_ifPKiSA_iPKfiiiSC_SC_iiiii
	.globl	_ZN4vllm25paged_attention_v1_kernelIttLi112ELi16ELi128ELNS_18Fp8KVCacheDataTypeE0ELb1EEEvPT_PKS2_PKT0_S8_ifPKiSA_iPKfiiiSC_SC_iiiii
	.p2align	8
	.type	_ZN4vllm25paged_attention_v1_kernelIttLi112ELi16ELi128ELNS_18Fp8KVCacheDataTypeE0ELb1EEEvPT_PKS2_PKT0_S8_ifPKiSA_iPKfiiiSC_SC_iiiii,@function
_ZN4vllm25paged_attention_v1_kernelIttLi112ELi16ELi128ELNS_18Fp8KVCacheDataTypeE0ELb1EEEvPT_PKS2_PKT0_S8_ifPKiSA_iPKfiiiSC_SC_iiiii: ; @_ZN4vllm25paged_attention_v1_kernelIttLi112ELi16ELi128ELNS_18Fp8KVCacheDataTypeE0ELb1EEEvPT_PKS2_PKT0_S8_ifPKiSA_iPKfiiiSC_SC_iiiii
; %bb.0:
	s_load_b64 s[22:23], s[0:1], 0x20
	s_bfe_u32 s3, ttmp6, 0x4000c
	s_bfe_u32 s4, ttmp6, 0x40010
	s_and_b32 s6, ttmp7, 0xffff
	s_add_co_i32 s3, s3, 1
	s_add_co_i32 s4, s4, 1
	s_and_b32 s2, ttmp6, 15
	s_bfe_u32 s5, ttmp6, 0x40004
	s_mul_i32 s3, ttmp9, s3
	s_mul_i32 s4, s6, s4
	s_getreg_b32 s28, hwreg(HW_REG_IB_STS2, 6, 4)
	s_add_co_i32 s2, s2, s3
	s_add_co_i32 s3, s5, s4
	s_cmp_eq_u32 s28, 0
	s_clause 0x1
	s_load_b32 s29, s[0:1], 0x80
	s_load_b64 s[4:5], s[0:1], 0x30
	s_cselect_b32 s30, s6, s3
	s_cselect_b32 s2, ttmp9, s2
	s_mov_b32 s17, 0
	s_delay_alu instid0(SALU_CYCLE_1) | instskip(SKIP_2) | instid1(SALU_CYCLE_1)
	s_mov_b32 s35, s17
	s_wait_kmcnt 0x0
	s_abs_i32 s3, s22
	s_cvt_f32_u32 s6, s3
	s_sub_co_i32 s7, 0, s3
	s_delay_alu instid0(SALU_CYCLE_2) | instskip(SKIP_2) | instid1(TRANS32_DEP_1)
	v_rcp_iflag_f32_e32 v1, s6
	s_abs_i32 s8, s29
	v_nop
	v_readfirstlane_b32 s6, v1
	s_mul_f32 s6, s6, 0x4f7ffffe
	s_delay_alu instid0(SALU_CYCLE_3) | instskip(NEXT) | instid1(SALU_CYCLE_3)
	s_cvt_u32_f32 s6, s6
	s_mul_i32 s7, s7, s6
	s_delay_alu instid0(SALU_CYCLE_1) | instskip(NEXT) | instid1(SALU_CYCLE_1)
	s_mul_hi_u32 s7, s6, s7
	s_add_co_i32 s6, s6, s7
	s_xor_b32 s7, s29, s22
	s_mul_hi_u32 s6, s8, s6
	s_ashr_i32 s7, s7, 31
	s_mul_i32 s9, s6, s3
	s_delay_alu instid0(SALU_CYCLE_1)
	s_sub_co_i32 s8, s8, s9
	s_add_co_i32 s9, s6, 1
	s_sub_co_i32 s10, s8, s3
	s_cmp_ge_u32 s8, s3
	s_cselect_b32 s6, s9, s6
	s_cselect_b32 s8, s10, s8
	s_add_co_i32 s9, s6, 1
	s_cmp_ge_u32 s8, s3
	s_cselect_b32 s3, s9, s6
	s_load_b64 s[8:9], s[0:1], 0x40
	s_xor_b32 s3, s3, s7
	s_abs_i32 s16, s2
	s_sub_co_i32 s10, s3, s7
	s_mov_b32 s7, s17
	s_abs_i32 s15, s10
	s_delay_alu instid0(SALU_CYCLE_1) | instskip(SKIP_1) | instid1(SALU_CYCLE_2)
	s_cvt_f32_u32 s3, s15
	s_sub_co_i32 s6, 0, s15
	v_rcp_iflag_f32_e32 v1, s3
	v_nop
	s_delay_alu instid0(TRANS32_DEP_1) | instskip(SKIP_1) | instid1(SALU_CYCLE_3)
	v_readfirstlane_b32 s3, v1
	s_mul_f32 s3, s3, 0x4f7ffffe
	s_cvt_u32_f32 s3, s3
	s_delay_alu instid0(SALU_CYCLE_3) | instskip(NEXT) | instid1(SALU_CYCLE_1)
	s_mul_i32 s6, s6, s3
	s_mul_hi_u32 s6, s3, s6
	s_delay_alu instid0(SALU_CYCLE_1)
	s_add_co_i32 s6, s3, s6
	s_wait_kmcnt 0x0
	s_cmp_eq_u64 s[8:9], 0
	s_cbranch_scc1 .LBB76_2
; %bb.1:
	s_ashr_i32 s3, s2, 31
	s_delay_alu instid0(SALU_CYCLE_1) | instskip(NEXT) | instid1(SALU_CYCLE_1)
	s_lshl_b64 s[12:13], s[2:3], 2
	s_add_nc_u64 s[8:9], s[8:9], s[12:13]
	s_load_b32 s35, s[8:9], 0x0
.LBB76_2:
	s_load_b32 s31, s[4:5], s30 offset:0x0 scale_offset
	s_load_b96 s[12:14], s[0:1], 0x48
	v_dual_lshrrev_b32 v38, 1, v0 :: v_dual_bitop2_b32 v39, 1, v0 bitop3:0x40
	s_wait_xcnt 0x0
	s_mul_u64 s[4:5], s[16:17], s[6:7]
	s_ashr_i32 s3, s2, 31
	s_ashr_i32 s18, s10, 31
	s_mul_i32 s6, s2, 0x70
	s_mov_b32 s4, exec_lo
	v_cmpx_gt_u32_e32 28, v0
	s_cbranch_execz .LBB76_4
; %bb.3:
	s_load_b64 s[8:9], s[0:1], 0x8
	s_wait_kmcnt 0x0
	s_mul_i32 s10, s12, s30
	s_ashr_i32 s7, s6, 31
	s_ashr_i32 s11, s10, 31
	v_lshlrev_b32_e32 v1, 3, v38
	s_lshl_b64 s[10:11], s[10:11], 1
	s_delay_alu instid0(VALU_DEP_1) | instskip(SKIP_2) | instid1(SALU_CYCLE_1)
	v_mad_u32_u24 v1, 0x70, v39, v1
	s_add_nc_u64 s[8:9], s[8:9], s[10:11]
	s_lshl_b64 s[10:11], s[6:7], 1
	s_add_nc_u64 s[8:9], s[8:9], s[10:11]
	global_load_b64 v[2:3], v0, s[8:9] scale_offset
	s_wait_loadcnt 0x0
	ds_store_b64 v1, v[2:3]
.LBB76_4:
	s_or_b32 exec_lo, exec_lo, s4
	s_load_b128 s[8:11], s[0:1], 0x68
	s_mul_i32 s4, s5, s15
	s_xor_b32 s3, s3, s18
	s_sub_co_i32 s4, s16, s4
	s_add_co_i32 s7, s5, 1
	s_wait_kmcnt 0x0
	s_sub_co_i32 s12, s4, s15
	s_cmp_ge_u32 s4, s15
	s_mov_b32 s18, -1
	s_cselect_b32 s5, s7, s5
	s_cselect_b32 s4, s12, s4
	s_add_co_i32 s12, s5, 1
	s_cmp_ge_u32 s4, s15
	s_load_b32 s7, s[0:1], 0x78
	s_cselect_b32 s4, s12, s5
	s_add_co_i32 s15, s31, -1
	s_xor_b32 s4, s4, s3
	s_wait_dscnt 0x0
	s_sub_co_i32 s3, s4, s3
	s_barrier_signal -1
	s_barrier_wait -1
	s_abs_i32 s12, s11
	s_delay_alu instid0(SALU_CYCLE_1) | instskip(NEXT) | instid1(SALU_CYCLE_3)
	s_cvt_f32_u32 s5, s12
                                        ; implicit-def: $sgpr33
	v_rcp_iflag_f32_e32 v1, s5
	v_nop
	s_delay_alu instid0(TRANS32_DEP_1) | instskip(SKIP_1) | instid1(SALU_CYCLE_3)
	v_readfirstlane_b32 s5, v1
	s_mul_f32 s4, s5, 0x4f7ffffe
	s_cvt_u32_f32 s16, s4
	s_sub_co_i32 s4, 0, s12
	s_delay_alu instid0(SALU_CYCLE_2)
	s_mul_i32 s5, s4, s16
	s_abs_i32 s4, s15
	s_mul_hi_u32 s17, s16, s5
	s_mov_b32 s5, 0
	s_add_co_i32 s16, s16, s17
	s_wait_kmcnt 0x0
	s_cmp_lt_i32 s7, 0
	s_mov_b32 s17, s5
	s_cbranch_scc0 .LBB76_6
; %bb.5:
	s_mul_i32 s18, s8, s22
	s_delay_alu instid0(SALU_CYCLE_1) | instskip(NEXT) | instid1(SALU_CYCLE_1)
	s_add_co_i32 s18, s3, s18
	s_mul_i32 s18, s18, s7
	s_delay_alu instid0(SALU_CYCLE_1)
	s_sub_co_i32 s33, 1, s18
	s_mov_b32 s18, s5
.LBB76_6:
	s_ashr_i32 s15, s15, 31
	s_ashr_i32 s11, s11, 31
	s_and_not1_b32 vcc_lo, exec_lo, s18
	s_mul_u64 s[24:25], s[4:5], s[16:17]
	s_cbranch_vccnz .LBB76_8
; %bb.7:
	s_mul_i32 s5, s29, s8
	s_delay_alu instid0(SALU_CYCLE_1) | instskip(NEXT) | instid1(SALU_CYCLE_1)
	s_add_co_i32 s2, s5, s2
	s_mul_i32 s2, s2, s7
	s_delay_alu instid0(SALU_CYCLE_1)
	s_add_co_i32 s33, s2, 1
.LBB76_8:
	s_load_b32 s2, s[0:1], 0x38
	s_mul_i32 s7, s25, s12
	s_xor_b32 s5, s15, s11
	s_sub_co_i32 s4, s4, s7
	s_add_co_i32 s8, s25, 1
	s_clause 0x1
	s_load_b64 s[18:19], s[0:1], 0x28
	s_load_b32 s7, s[0:1], 0x88
	v_dual_lshrrev_b32 v40, 5, v0 :: v_dual_lshlrev_b32 v7, 3, v0
	v_dual_mov_b32 v44, 0xff7fffff :: v_dual_lshrrev_b32 v1, 3, v0
	v_mbcnt_lo_u32_b32 v41, -1, 0
	s_delay_alu instid0(VALU_DEP_3)
	v_lshlrev_b32_e32 v6, 4, v40
	s_mul_i32 s14, s3, s14
	s_wait_kmcnt 0x0
	s_mul_i32 s20, s2, s30
	s_sub_co_i32 s2, s4, s12
	s_ashr_i32 s21, s20, 31
	s_cmp_ge_u32 s4, s12
	s_cselect_b32 s8, s8, s25
	s_cselect_b32 s2, s2, s4
	s_add_co_i32 s4, s8, 1
	s_cmp_ge_u32 s2, s12
	s_cselect_b32 s2, s4, s8
	s_add_co_i32 s4, s31, 15
	s_delay_alu instid0(SALU_CYCLE_1) | instskip(NEXT) | instid1(SALU_CYCLE_1)
	s_ashr_i32 s8, s4, 31
	s_lshr_b32 s8, s8, 28
	s_delay_alu instid0(SALU_CYCLE_1) | instskip(NEXT) | instid1(SALU_CYCLE_1)
	s_add_co_i32 s4, s4, s8
	s_ashr_i32 s34, s4, 4
	s_xor_b32 s4, s2, s5
	v_cmp_gt_i32_e64 s2, s34, v40
	s_sub_co_i32 s8, s4, s5
	s_and_saveexec_b32 s22, s2
	s_cbranch_execz .LBB76_20
; %bb.9:
	s_load_b64 s[4:5], s[0:1], 0x10
	s_ashr_i32 s15, s14, 31
	s_sub_co_i32 s36, s8, s9
	s_ashr_i32 s25, s13, 31
	s_lshl_b64 s[38:39], s[14:15], 1
	s_cmp_neq_f32 s35, 0
	v_bfe_u32 v42, v0, 1, 4
	v_mov_b32_e32 v3, 0
	v_mul_u32_u24_e32 v43, 0x70, v39
	s_cselect_b32 vcc_lo, -1, 0
	s_abs_i32 s15, s10
	v_lshlrev_b32_e32 v2, 4, v42
	s_cvt_f32_u32 s3, s15
	v_lshlrev_b32_e32 v9, 2, v42
	v_subrev_nc_u32_e32 v8, s31, v42
	s_sub_co_i32 s26, 0, s15
	v_rcp_iflag_f32_e32 v4, s3
	v_cmp_eq_u32_e64 s3, 0, v39
	s_delay_alu instid0(VALU_DEP_2)
	v_dual_add_nc_u32 v45, 1, v8 :: v_dual_bitop2_b32 v48, 1, v41 bitop3:0x14
	s_wait_kmcnt 0x0
	s_add_nc_u64 s[4:5], s[4:5], s[38:39]
	v_mov_b32_e32 v44, 0xff7fffff
	s_mov_b32 s27, 0
	v_readfirstlane_b32 s24, v4
	v_add_nc_u64_e32 v[4:5], s[4:5], v[2:3]
	v_and_b32_e32 v2, 8, v7
	v_lshl_or_b32 v9, v40, 6, v9
	s_lshl_b64 s[4:5], s[20:21], 2
	s_mul_f32 s24, s24, 0x4f7ffffe
	s_add_nc_u64 s[4:5], s[18:19], s[4:5]
	s_delay_alu instid0(VALU_DEP_1)
	v_dual_mov_b32 v49, v40 :: v_dual_add_nc_u32 v46, 0x100, v9
	v_add_nc_u64_e32 v[4:5], v[4:5], v[2:3]
	v_and_b32_e32 v2, 0x7c, v1
	s_cvt_u32_f32 s37, s24
	v_mov_b32_e32 v47, 0xff7fffff
	s_mov_b32 s24, s13
	s_delay_alu instid0(VALU_DEP_2) | instskip(SKIP_3) | instid1(SALU_CYCLE_1)
	v_add_nc_u64_e32 v[8:9], s[4:5], v[2:3]
	s_mul_i32 s26, s26, s37
	v_lshlrev_b32_e32 v2, 4, v40
	s_mul_hi_u32 s4, s37, s26
	s_add_co_i32 s26, s37, s4
	s_mov_b32 s37, s27
	s_branch .LBB76_12
.LBB76_10:                              ;   in Loop: Header=BB76_12 Depth=1
	s_or_b32 exec_lo, exec_lo, s38
.LBB76_11:                              ;   in Loop: Header=BB76_12 Depth=1
	s_delay_alu instid0(SALU_CYCLE_1) | instskip(SKIP_3) | instid1(VALU_DEP_3)
	s_or_b32 exec_lo, exec_lo, s5
	v_dual_add_nc_u32 v49, 4, v49 :: v_dual_add_nc_u32 v2, 64, v2
	v_add_nc_u64_e32 v[8:9], 16, v[8:9]
	v_add_nc_u32_e32 v46, 0x100, v46
	v_cmp_le_i32_e64 s4, s34, v49
	s_or_b32 s37, s4, s37
	s_delay_alu instid0(SALU_CYCLE_1)
	s_and_not1_b32 exec_lo, exec_lo, s37
	s_cbranch_execz .LBB76_19
.LBB76_12:                              ; =>This Inner Loop Header: Depth=1
	s_wait_dscnt 0x0
	v_mul_u64_e32 v[10:11], s[16:17], v[2:3]
	s_delay_alu instid0(VALU_DEP_1) | instskip(NEXT) | instid1(VALU_DEP_1)
	v_mul_lo_u32 v10, v11, s12
	v_dual_add_nc_u32 v12, 1, v11 :: v_dual_sub_nc_u32 v10, v2, v10
	s_delay_alu instid0(VALU_DEP_1) | instskip(SKIP_1) | instid1(VALU_DEP_1)
	v_subrev_nc_u32_e32 v13, s12, v10
	v_cmp_le_u32_e64 s4, s12, v10
	v_dual_cndmask_b32 v11, v11, v12, s4 :: v_dual_cndmask_b32 v10, v10, v13, s4
	s_delay_alu instid0(VALU_DEP_1) | instskip(NEXT) | instid1(VALU_DEP_2)
	v_add_nc_u32_e32 v12, 1, v11
	v_cmp_le_u32_e64 s4, s12, v10
	s_delay_alu instid0(VALU_DEP_1) | instskip(NEXT) | instid1(VALU_DEP_1)
	v_cndmask_b32_e64 v10, v11, v12, s4
	v_dual_mov_b32 v11, v3 :: v_dual_bitop2_b32 v10, s11, v10 bitop3:0x14
	s_delay_alu instid0(VALU_DEP_1) | instskip(NEXT) | instid1(VALU_DEP_1)
	v_subrev_nc_u32_e32 v14, s11, v10
	v_add_nc_u32_e32 v15, s33, v14
	v_cmp_ge_i32_e64 s5, s36, v14
	s_delay_alu instid0(VALU_DEP_2) | instskip(NEXT) | instid1(VALU_DEP_1)
	v_sub_nc_u32_e32 v10, 0, v15
	v_max_i32_e32 v10, v15, v10
	s_delay_alu instid0(VALU_DEP_1) | instskip(SKIP_1) | instid1(VALU_DEP_2)
	v_mul_u64_e32 v[12:13], s[26:27], v[10:11]
	v_ashrrev_i32_e32 v12, 31, v15
	v_mul_lo_u32 v11, v13, s15
	s_delay_alu instid0(VALU_DEP_1) | instskip(NEXT) | instid1(VALU_DEP_1)
	v_sub_nc_u32_e32 v10, v10, v11
	v_subrev_nc_u32_e32 v11, s15, v10
	v_cmp_le_u32_e64 s4, s15, v10
	s_delay_alu instid0(VALU_DEP_1) | instskip(NEXT) | instid1(VALU_DEP_1)
	v_cndmask_b32_e64 v10, v10, v11, s4
	v_subrev_nc_u32_e32 v11, s15, v10
	v_cmp_le_u32_e64 s4, s15, v10
	s_delay_alu instid0(VALU_DEP_1) | instskip(NEXT) | instid1(VALU_DEP_1)
	v_cndmask_b32_e64 v10, v10, v11, s4
	v_xor_b32_e32 v10, v10, v12
	s_delay_alu instid0(VALU_DEP_1) | instskip(NEXT) | instid1(VALU_DEP_1)
	v_sub_nc_u32_e32 v10, v10, v12
	v_cmp_ne_u32_e64 s4, 0, v10
	s_and_b32 s4, s4, s5
	s_delay_alu instid0(SALU_CYCLE_1) | instskip(NEXT) | instid1(SALU_CYCLE_1)
	s_and_saveexec_b32 s5, s4
	s_xor_b32 s4, exec_lo, s5
	s_cbranch_execz .LBB76_16
; %bb.13:                               ;   in Loop: Header=BB76_12 Depth=1
	s_and_saveexec_b32 s5, s3
; %bb.14:                               ;   in Loop: Header=BB76_12 Depth=1
	ds_store_b32 v46, v47
; %bb.15:                               ;   in Loop: Header=BB76_12 Depth=1
	s_or_b32 exec_lo, exec_lo, s5
.LBB76_16:                              ;   in Loop: Header=BB76_12 Depth=1
	s_and_not1_saveexec_b32 s5, s4
	s_cbranch_execz .LBB76_11
; %bb.17:                               ;   in Loop: Header=BB76_12 Depth=1
	global_load_b32 v10, v[8:9], off
	v_cmp_gt_i32_e64 s4, 32, v48
	s_wait_loadcnt 0x0
	v_ashrrev_i32_e32 v11, 31, v10
	s_delay_alu instid0(VALU_DEP_1) | instskip(NEXT) | instid1(VALU_DEP_1)
	v_mul_u64_e32 v[10:11], s[24:25], v[10:11]
	v_lshl_add_u64 v[34:35], v[10:11], 1, v[4:5]
	s_clause 0x9
	global_load_b64 v[50:51], v[34:35], off
	global_load_b64 v[36:37], v[34:35], off offset:256
	global_load_b64 v[32:33], v[34:35], off offset:512
	;; [unrolled: 1-line block ×9, first 2 shown]
	ds_load_b64 v[10:11], v43
	s_wait_dscnt 0x0
	v_and_b32_e32 v52, 0xffff, v10
	v_dual_lshrrev_b32 v53, 16, v10 :: v_dual_lshrrev_b32 v55, 16, v11
	v_and_b32_e32 v58, 0xffff, v11
	s_clause 0x3
	global_load_b64 v[18:19], v[34:35], off offset:2560
	global_load_b64 v[14:15], v[34:35], off offset:2816
	;; [unrolled: 1-line block ×4, first 2 shown]
	;;#ASMSTART
	v_cvt_f32_f16 v56, v52;
	;;#ASMEND
	;;#ASMSTART
	v_cvt_f32_f16 v52, v53;
	;;#ASMEND
	s_wait_loadcnt 0xd
	s_wait_xcnt 0x0
	v_and_b32_e32 v34, 0xffff, v50
	v_dual_lshrrev_b32 v35, 16, v50 :: v_dual_lshrrev_b32 v59, 16, v51
	s_wait_loadcnt 0xc
	v_lshrrev_b32_e32 v60, 16, v36
	v_and_b32_e32 v51, 0xffff, v51
	;;#ASMSTART
	v_cvt_f32_f16 v57, v34;
	;;#ASMEND
	;;#ASMSTART
	v_cvt_f32_f16 v54, v35;
	;;#ASMEND
	;; [unrolled: 3-line block ×6, first 2 shown]
	ds_load_b64 v[34:35], v43 offset:8
	v_and_b32_e32 v36, 0xffff, v36
	v_lshrrev_b32_e32 v58, 16, v37
	v_and_b32_e32 v61, 0xffff, v37
	s_wait_loadcnt 0x7
	v_dual_lshrrev_b32 v83, 16, v27 :: v_dual_lshrrev_b32 v84, 16, v24
	s_wait_loadcnt 0x6
	v_dual_lshrrev_b32 v86, 16, v25 :: v_dual_lshrrev_b32 v88, 16, v22
	v_and_b32_e32 v89, 0xffff, v22
	v_and_b32_e32 v91, 0xffff, v23
	v_lshrrev_b32_e32 v64, 16, v32
	v_and_b32_e32 v32, 0xffff, v32
	v_and_b32_e32 v27, 0xffff, v27
	;; [unrolled: 1-line block ×4, first 2 shown]
	v_lshrrev_b32_e32 v70, 16, v30
	v_and_b32_e32 v30, 0xffff, v30
	v_lshrrev_b32_e32 v76, 16, v28
	v_and_b32_e32 v28, 0xffff, v28
	v_lshrrev_b32_e32 v82, 16, v26
	s_wait_dscnt 0x0
	v_and_b32_e32 v59, 0xffff, v34
	v_lshrrev_b32_e32 v34, 16, v34
	v_and_b32_e32 v62, 0xffff, v35
	v_lshrrev_b32_e32 v63, 16, v35
	;;#ASMSTART
	v_cvt_f32_f16 v37, v59;
	;;#ASMEND
	;;#ASMSTART
	v_cvt_f32_f16 v35, v34;
	;;#ASMEND
	;; [unrolled: 3-line block ×8, first 2 shown]
	ds_load_b64 v[62:63], v43 offset:16
	v_lshrrev_b32_e32 v65, 16, v33
	v_and_b32_e32 v33, 0xffff, v33
	v_and_b32_e32 v26, 0xffff, v26
	s_wait_dscnt 0x0
	v_and_b32_e32 v66, 0xffff, v62
	v_lshrrev_b32_e32 v62, 16, v62
	v_and_b32_e32 v67, 0xffff, v63
	v_lshrrev_b32_e32 v63, 16, v63
	;;#ASMSTART
	v_cvt_f32_f16 v66, v66;
	;;#ASMEND
	;;#ASMSTART
	v_cvt_f32_f16 v62, v62;
	;;#ASMEND
	;; [unrolled: 3-line block ×8, first 2 shown]
	ds_load_b64 v[32:33], v43 offset:24
	v_lshrrev_b32_e32 v71, 16, v31
	v_and_b32_e32 v31, 0xffff, v31
	s_wait_dscnt 0x0
	v_and_b32_e32 v72, 0xffff, v32
	v_lshrrev_b32_e32 v32, 16, v32
	v_and_b32_e32 v73, 0xffff, v33
	v_lshrrev_b32_e32 v33, 16, v33
	;;#ASMSTART
	v_cvt_f32_f16 v72, v72;
	;;#ASMEND
	;;#ASMSTART
	v_cvt_f32_f16 v32, v32;
	;;#ASMEND
	;; [unrolled: 3-line block ×8, first 2 shown]
	ds_load_b64 v[30:31], v43 offset:32
	v_lshrrev_b32_e32 v77, 16, v29
	v_and_b32_e32 v29, 0xffff, v29
	s_wait_dscnt 0x0
	v_and_b32_e32 v78, 0xffff, v30
	v_dual_lshrrev_b32 v30, 16, v30 :: v_dual_lshrrev_b32 v79, 16, v31
	v_and_b32_e32 v31, 0xffff, v31
	;;#ASMSTART
	v_cvt_f32_f16 v78, v78;
	;;#ASMEND
	;;#ASMSTART
	v_cvt_f32_f16 v30, v30;
	;;#ASMEND
	;; [unrolled: 3-line block ×8, first 2 shown]
	ds_load_b64 v[28:29], v43 offset:40
	v_lshrrev_b32_e32 v90, 16, v23
	s_wait_dscnt 0x0
	v_dual_mul_f32 v24, v37, v59 :: v_dual_lshrrev_b32 v25, 16, v29
	v_and_b32_e32 v22, 0xffff, v28
	v_lshrrev_b32_e32 v23, 16, v28
	v_and_b32_e32 v28, 0xffff, v29
	;;#ASMSTART
	v_cvt_f32_f16 v29, v22;
	;;#ASMEND
	;;#ASMSTART
	v_cvt_f32_f16 v37, v23;
	;;#ASMEND
	;; [unrolled: 3-line block ×8, first 2 shown]
	ds_load_b64 v[22:23], v43 offset:48
	v_dual_mul_f32 v25, v35, v36 :: v_dual_mul_f32 v26, v60, v61
	v_fmac_f32_e32 v24, v56, v57
	s_delay_alu instid0(VALU_DEP_2) | instskip(NEXT) | instid1(VALU_DEP_2)
	v_dual_fmac_f32 v25, v52, v54 :: v_dual_fmac_f32 v26, v53, v55
	v_fmac_f32_e32 v24, v66, v68
	s_wait_loadcnt 0x4
	v_lshrrev_b32_e32 v66, 16, v16
	v_and_b32_e32 v16, 0xffff, v16
	s_delay_alu instid0(VALU_DEP_3)
	v_dual_fmac_f32 v25, v62, v64 :: v_dual_fmac_f32 v24, v72, v74
	s_wait_loadcnt 0x3
	v_lshrrev_b32_e32 v72, 16, v18
	v_and_b32_e32 v18, 0xffff, v18
	s_wait_loadcnt 0x2
	v_lshrrev_b32_e32 v74, 16, v14
	v_and_b32_e32 v14, 0xffff, v14
	v_dual_fmac_f32 v25, v32, v70 :: v_dual_fmac_f32 v24, v78, v80
	s_wait_dscnt 0x0
	v_and_b32_e32 v27, 0xffff, v22
	v_dual_lshrrev_b32 v22, 16, v22 :: v_dual_lshrrev_b32 v35, 16, v23
	v_and_b32_e32 v23, 0xffff, v23
	;;#ASMSTART
	v_cvt_f32_f16 v36, v27;
	;;#ASMEND
	;;#ASMSTART
	v_cvt_f32_f16 v56, v22;
	;;#ASMEND
	;; [unrolled: 3-line block ×8, first 2 shown]
	ds_load_b64 v[22:23], v43 offset:56
	s_wait_dscnt 0x0
	v_and_b32_e32 v27, 0xffff, v22
	v_dual_lshrrev_b32 v22, 16, v22 :: v_dual_lshrrev_b32 v52, 16, v23
	v_and_b32_e32 v23, 0xffff, v23
	;;#ASMSTART
	v_cvt_f32_f16 v53, v27;
	;;#ASMEND
	;;#ASMSTART
	v_cvt_f32_f16 v54, v22;
	;;#ASMEND
	;;#ASMSTART
	v_cvt_f32_f16 v55, v89;
	;;#ASMEND
	;;#ASMSTART
	v_cvt_f32_f16 v86, v88;
	;;#ASMEND
	;;#ASMSTART
	v_cvt_f32_f16 v87, v23;
	;;#ASMEND
	v_mul_f32_e32 v27, v34, v58
	;;#ASMSTART
	v_cvt_f32_f16 v52, v52;
	;;#ASMEND
	;;#ASMSTART
	v_cvt_f32_f16 v88, v91;
	;;#ASMEND
	;; [unrolled: 3-line block ×3, first 2 shown]
	ds_load_b64 v[22:23], v43 offset:64
	v_dual_fmac_f32 v27, v50, v51 :: v_dual_lshrrev_b32 v34, 16, v20
	v_and_b32_e32 v20, 0xffff, v20
	v_lshrrev_b32_e32 v50, 16, v21
	v_and_b32_e32 v21, 0xffff, v21
	s_delay_alu instid0(VALU_DEP_4) | instskip(NEXT) | instid1(VALU_DEP_1)
	v_fmac_f32_e32 v27, v63, v65
	v_fmac_f32_e32 v27, v33, v71
	s_delay_alu instid0(VALU_DEP_1)
	v_fmac_f32_e32 v27, v79, v77
	s_wait_dscnt 0x0
	v_and_b32_e32 v51, 0xffff, v22
	v_dual_lshrrev_b32 v22, 16, v22 :: v_dual_lshrrev_b32 v58, 16, v23
	v_and_b32_e32 v23, 0xffff, v23
	;;#ASMSTART
	v_cvt_f32_f16 v51, v51;
	;;#ASMEND
	;;#ASMSTART
	v_cvt_f32_f16 v22, v22;
	;;#ASMEND
	;; [unrolled: 3-line block ×8, first 2 shown]
	ds_load_b64 v[20:21], v43 offset:72
	v_fmac_f32_e32 v26, v67, v69
	v_lshrrev_b32_e32 v67, 16, v17
	v_and_b32_e32 v17, 0xffff, v17
	s_wait_dscnt 0x0
	v_and_b32_e32 v63, 0xffff, v20
	v_dual_lshrrev_b32 v20, 16, v20 :: v_dual_lshrrev_b32 v65, 16, v21
	v_and_b32_e32 v21, 0xffff, v21
	;;#ASMSTART
	v_cvt_f32_f16 v63, v63;
	;;#ASMEND
	;;#ASMSTART
	v_cvt_f32_f16 v20, v20;
	;;#ASMEND
	;; [unrolled: 3-line block ×8, first 2 shown]
	ds_load_b64 v[16:17], v43 offset:80
	v_lshrrev_b32_e32 v32, 16, v19
	v_and_b32_e32 v19, 0xffff, v19
	v_fmac_f32_e32 v26, v73, v75
	v_lshrrev_b32_e32 v75, 16, v15
	v_and_b32_e32 v15, 0xffff, v15
	s_wait_loadcnt 0x1
	v_dual_fmac_f32 v24, v29, v59 :: v_dual_lshrrev_b32 v29, 16, v13
	v_and_b32_e32 v13, 0xffff, v13
	s_wait_dscnt 0x0
	v_and_b32_e32 v70, 0xffff, v16
	v_dual_lshrrev_b32 v16, 16, v16 :: v_dual_lshrrev_b32 v33, 16, v17
	v_and_b32_e32 v17, 0xffff, v17
	;;#ASMSTART
	v_cvt_f32_f16 v70, v70;
	;;#ASMEND
	;;#ASMSTART
	v_cvt_f32_f16 v71, v16;
	;;#ASMEND
	;; [unrolled: 3-line block ×8, first 2 shown]
	ds_load_b64 v[16:17], v43 offset:88
	v_dual_lshrrev_b32 v78, 16, v12 :: v_dual_fmac_f32 v26, v31, v81
	v_fmac_f32_e32 v25, v30, v76
	v_and_b32_e32 v12, 0xffff, v12
	s_delay_alu instid0(VALU_DEP_3) | instskip(SKIP_3) | instid1(VALU_DEP_2)
	v_fmac_f32_e32 v26, v28, v93
	s_wait_loadcnt 0x0
	v_dual_fmac_f32 v27, v92, v83 :: v_dual_lshrrev_b32 v28, 16, v10
	v_and_b32_e32 v10, 0xffff, v10
	v_dual_fmac_f32 v26, v61, v84 :: v_dual_fmac_f32 v27, v35, v85
	s_delay_alu instid0(VALU_DEP_1)
	v_dual_fmac_f32 v26, v87, v88 :: v_dual_fmac_f32 v27, v52, v89
	s_wait_dscnt 0x0
	v_and_b32_e32 v30, 0xffff, v16
	v_dual_lshrrev_b32 v16, 16, v16 :: v_dual_lshrrev_b32 v31, 16, v17
	v_and_b32_e32 v17, 0xffff, v17
	;;#ASMSTART
	v_cvt_f32_f16 v30, v30;
	;;#ASMEND
	;;#ASMSTART
	v_cvt_f32_f16 v16, v16;
	;;#ASMEND
	;; [unrolled: 3-line block ×8, first 2 shown]
	ds_load_b64 v[14:15], v43 offset:96
	v_dual_fmac_f32 v25, v37, v82 :: v_dual_fmac_f32 v26, v23, v64
	s_delay_alu instid0(VALU_DEP_1) | instskip(SKIP_1) | instid1(VALU_DEP_3)
	v_dual_fmac_f32 v27, v58, v50 :: v_dual_fmac_f32 v25, v56, v60
	v_fmac_f32_e32 v24, v36, v57
	v_fmac_f32_e32 v26, v21, v69
	s_delay_alu instid0(VALU_DEP_3) | instskip(NEXT) | instid1(VALU_DEP_3)
	v_dual_fmac_f32 v27, v65, v67 :: v_dual_fmac_f32 v25, v54, v86
	v_fmac_f32_e32 v24, v53, v55
	s_delay_alu instid0(VALU_DEP_2) | instskip(SKIP_1) | instid1(VALU_DEP_2)
	v_dual_fmac_f32 v27, v33, v32 :: v_dual_fmac_f32 v25, v22, v34
	s_wait_dscnt 0x0
	v_dual_fmac_f32 v24, v51, v62 :: v_dual_lshrrev_b32 v23, 16, v15
	v_and_b32_e32 v22, 0xffff, v14
	s_delay_alu instid0(VALU_DEP_2)
	v_dual_lshrrev_b32 v14, 16, v14 :: v_dual_fmac_f32 v24, v63, v68
	v_and_b32_e32 v15, 0xffff, v15
	;;#ASMSTART
	v_cvt_f32_f16 v22, v22;
	;;#ASMEND
	;;#ASMSTART
	v_cvt_f32_f16 v14, v14;
	;;#ASMEND
	;; [unrolled: 3-line block ×8, first 2 shown]
	ds_load_b64 v[12:13], v43 offset:104
	v_fmac_f32_e32 v25, v20, v66
	v_dual_fmac_f32 v24, v70, v18 :: v_dual_lshrrev_b32 v18, 16, v11
	v_and_b32_e32 v11, 0xffff, v11
	s_delay_alu instid0(VALU_DEP_3) | instskip(NEXT) | instid1(VALU_DEP_3)
	v_dual_fmac_f32 v25, v71, v72 :: v_dual_fmac_f32 v26, v73, v19
	v_dual_fmac_f32 v24, v30, v76 :: v_dual_fmac_f32 v27, v31, v75
	s_delay_alu instid0(VALU_DEP_2) | instskip(NEXT) | instid1(VALU_DEP_2)
	v_dual_fmac_f32 v25, v16, v74 :: v_dual_fmac_f32 v26, v17, v80
	v_dual_fmac_f32 v24, v22, v34 :: v_dual_fmac_f32 v27, v23, v29
	s_delay_alu instid0(VALU_DEP_2)
	v_dual_fmac_f32 v25, v14, v35 :: v_dual_fmac_f32 v26, v15, v36
	s_wait_dscnt 0x0
	v_and_b32_e32 v14, 0xffff, v12
	v_lshrrev_b32_e32 v12, 16, v12
	;;#ASMSTART
	v_cvt_f32_f16 v14, v14;
	;;#ASMEND
	;;#ASMSTART
	v_cvt_f32_f16 v12, v12;
	;;#ASMEND
	;; [unrolled: 3-line block ×3, first 2 shown]
	v_dual_fmac_f32 v24, v14, v10 :: v_dual_lshrrev_b32 v15, 16, v13
	v_and_b32_e32 v13, 0xffff, v13
	;;#ASMSTART
	v_cvt_f32_f16 v16, v28;
	;;#ASMEND
	;;#ASMSTART
	v_cvt_f32_f16 v10, v13;
	;;#ASMEND
	v_fmac_f32_e32 v25, v12, v16
	;;#ASMSTART
	v_cvt_f32_f16 v12, v15;
	;;#ASMEND
	;;#ASMSTART
	v_cvt_f32_f16 v11, v11;
	;;#ASMEND
	v_fmac_f32_e32 v26, v10, v11
	;;#ASMSTART
	v_cvt_f32_f16 v11, v18;
	;;#ASMEND
	v_add_f32_e32 v10, v24, v25
	v_dual_fmac_f32 v27, v12, v11 :: v_dual_cndmask_b32 v11, v41, v48, s4
	s_delay_alu instid0(VALU_DEP_1) | instskip(NEXT) | instid1(VALU_DEP_1)
	v_dual_add_f32 v10, v10, v26 :: v_dual_lshlrev_b32 v11, 2, v11
	v_add_f32_e32 v10, v27, v10
	ds_bpermute_b32 v11, v11, v10
	s_and_saveexec_b32 s38, s3
	s_cbranch_execz .LBB76_10
; %bb.18:                               ;   in Loop: Header=BB76_12 Depth=1
	s_wait_dscnt 0x0
	v_dual_add_nc_u32 v12, v45, v2 :: v_dual_add_f32 v10, v10, v11
	s_delay_alu instid0(VALU_DEP_1) | instskip(NEXT) | instid1(VALU_DEP_1)
	v_cvt_f32_i32_e32 v12, v12
	v_mul_f32_e32 v12, s35, v12
	s_delay_alu instid0(VALU_DEP_1) | instskip(NEXT) | instid1(VALU_DEP_1)
	v_cndmask_b32_e32 v11, 0, v12, vcc_lo
	v_fmac_f32_e32 v11, s23, v10
	v_add_nc_u32_e32 v10, v42, v2
	s_delay_alu instid0(VALU_DEP_1) | instskip(NEXT) | instid1(VALU_DEP_1)
	v_cmp_gt_i32_e64 s4, s31, v10
	v_dual_max_num_f32 v12, v44, v44 :: v_dual_cndmask_b32 v10, 0, v11, s4
	s_delay_alu instid0(VALU_DEP_1)
	v_max_num_f32_e32 v12, v12, v11
	ds_store_b32 v46, v10
	v_cndmask_b32_e64 v44, v44, v12, s4
	s_branch .LBB76_10
.LBB76_19:
	s_or_b32 exec_lo, exec_lo, s37
.LBB76_20:
	s_delay_alu instid0(SALU_CYCLE_1)
	s_or_b32 exec_lo, exec_lo, s22
	v_dual_max_num_f32 v5, v44, v44 :: v_dual_bitop2_b32 v2, 16, v41 bitop3:0x14
	s_clause 0x1
	s_load_b64 s[4:5], s[0:1], 0x0
	s_load_b64 s[22:23], s[0:1], 0x18
	v_xor_b32_e32 v4, 8, v41
	v_xor_b32_e32 v8, 4, v41
	v_cmp_gt_i32_e32 vcc_lo, 32, v2
	v_dual_cndmask_b32 v2, v41, v2, vcc_lo :: v_dual_bitop2_b32 v21, 31, v0 bitop3:0x40
	s_delay_alu instid0(VALU_DEP_4) | instskip(NEXT) | instid1(VALU_DEP_2)
	v_cmp_gt_i32_e32 vcc_lo, 32, v4
	v_dual_cndmask_b32 v4, v41, v4 :: v_dual_lshlrev_b32 v3, 2, v2
	v_cmp_gt_i32_e32 vcc_lo, 32, v8
	ds_bpermute_b32 v2, v3, v44
	s_wait_dscnt 0x0
	v_dual_lshlrev_b32 v4, 2, v4 :: v_dual_max_num_f32 v2, v2, v2
	s_delay_alu instid0(VALU_DEP_1) | instskip(SKIP_3) | instid1(VALU_DEP_1)
	v_max_num_f32_e32 v2, v5, v2
	ds_bpermute_b32 v5, v4, v2
	s_wait_dscnt 0x0
	v_max_num_f32_e32 v9, v5, v5
	v_dual_cndmask_b32 v8, v41, v8, vcc_lo :: v_dual_max_num_f32 v2, v2, v9
	s_delay_alu instid0(VALU_DEP_1) | instskip(SKIP_3) | instid1(VALU_DEP_1)
	v_lshlrev_b32_e32 v5, 2, v8
	ds_bpermute_b32 v8, v5, v2
	s_wait_dscnt 0x0
	v_dual_max_num_f32 v8, v8, v8 :: v_dual_bitop2_b32 v9, 2, v41 bitop3:0x14
	v_cmp_gt_i32_e32 vcc_lo, 32, v9
	s_delay_alu instid0(VALU_DEP_2) | instskip(SKIP_2) | instid1(VALU_DEP_3)
	v_dual_cndmask_b32 v10, v41, v9 :: v_dual_max_num_f32 v9, v2, v8
	v_lshlrev_b32_e32 v8, 2, v40
	v_cmp_eq_u32_e32 vcc_lo, 0, v21
	v_lshlrev_b32_e32 v2, 2, v10
	ds_bpermute_b32 v10, v2, v9
	s_wait_xcnt 0x0
	s_and_saveexec_b32 s0, vcc_lo
	s_cbranch_execz .LBB76_22
; %bb.21:
	s_wait_dscnt 0x0
	v_dual_max_num_f32 v10, v10, v10 :: v_dual_max_num_f32 v9, v9, v9
	s_delay_alu instid0(VALU_DEP_1)
	v_max_num_f32_e32 v9, v9, v10
	ds_store_b32 v8, v9 offset:224
.LBB76_22:
	s_or_b32 exec_lo, exec_lo, s0
	v_cmp_gt_u32_e64 s0, 4, v21
	s_wait_dscnt 0x0
	v_dual_mov_b32 v10, 0xff7fffff :: v_dual_lshlrev_b32 v9, 2, v21
	s_barrier_signal -1
	s_barrier_wait -1
	s_and_saveexec_b32 s1, s0
; %bb.23:
	ds_load_b32 v10, v9 offset:224
; %bb.24:
	s_or_b32 exec_lo, exec_lo, s1
	s_wait_dscnt 0x0
	ds_bpermute_b32 v11, v2, v10
	v_dual_max_num_f32 v10, v10, v10 :: v_dual_bitop2_b32 v12, 1, v41 bitop3:0x14
	s_delay_alu instid0(VALU_DEP_1) | instskip(NEXT) | instid1(VALU_DEP_1)
	v_cmp_gt_i32_e64 s1, 32, v12
	v_cndmask_b32_e64 v12, v41, v12, s1
	s_lshl_b32 s1, s34, 4
	s_delay_alu instid0(SALU_CYCLE_1) | instskip(NEXT) | instid1(SALU_CYCLE_1)
	s_min_i32 s15, s1, s31
	v_cmp_gt_i32_e64 s1, s15, v0
	s_wait_dscnt 0x0
	v_dual_max_num_f32 v11, v11, v11 :: v_dual_lshlrev_b32 v22, 2, v12
	s_delay_alu instid0(VALU_DEP_1) | instskip(SKIP_3) | instid1(VALU_DEP_1)
	v_max_num_f32_e32 v10, v10, v11
	ds_bpermute_b32 v11, v22, v10
	s_wait_dscnt 0x0
	v_max_num_f32_e32 v11, v11, v11
	v_dual_max_num_f32 v11, v10, v11 :: v_dual_mov_b32 v10, 0
	ds_bpermute_b32 v11, v10, v11
	s_and_saveexec_b32 s24, s1
	s_cbranch_execz .LBB76_28
; %bb.25:
	v_lshl_add_u32 v12, v0, 2, 0x100
	v_dual_mov_b32 v10, 0 :: v_dual_mov_b32 v13, v0
	s_mov_b32 s25, 0
.LBB76_26:                              ; =>This Inner Loop Header: Depth=1
	ds_load_b32 v14, v12
	v_add_nc_u32_e32 v13, 0x80, v13
	s_delay_alu instid0(VALU_DEP_1) | instskip(SKIP_3) | instid1(VALU_DEP_1)
	v_cmp_le_i32_e64 s3, s15, v13
	s_or_b32 s25, s3, s25
	s_wait_dscnt 0x0
	v_sub_f32_e32 v14, v14, v11
	v_mul_f32_e32 v14, 0x3fb8aa3b, v14
	s_delay_alu instid0(VALU_DEP_1)
	v_exp_f32_e32 v14, v14
	ds_store_b32 v12, v14
	v_nop
	v_add_f32_e32 v10, v10, v14
	v_add_nc_u32_e32 v12, 0x200, v12
	s_and_not1_b32 exec_lo, exec_lo, s25
	s_cbranch_execnz .LBB76_26
; %bb.27:
	s_or_b32 exec_lo, exec_lo, s25
.LBB76_28:
	s_delay_alu instid0(SALU_CYCLE_1)
	s_or_b32 exec_lo, exec_lo, s24
	ds_bpermute_b32 v3, v3, v10
	s_wait_dscnt 0x0
	v_add_f32_e32 v3, v10, v3
	ds_bpermute_b32 v4, v4, v3
	s_wait_dscnt 0x0
	v_add_f32_e32 v3, v3, v4
	;; [unrolled: 3-line block ×5, first 2 shown]
	s_and_saveexec_b32 s3, vcc_lo
; %bb.29:
	ds_store_b32 v8, v3 offset:240
; %bb.30:
	s_or_b32 exec_lo, exec_lo, s3
	s_wait_dscnt 0x0
	s_barrier_signal -1
	s_barrier_wait -1
	s_and_saveexec_b32 s3, s0
; %bb.31:
	ds_load_b32 v3, v9 offset:240
; %bb.32:
	s_or_b32 exec_lo, exec_lo, s3
	s_wait_dscnt 0x0
	ds_bpermute_b32 v2, v2, v3
	s_wait_dscnt 0x0
	v_dual_mov_b32 v9, 0 :: v_dual_add_f32 v2, v3, v2
	ds_bpermute_b32 v3, v22, v2
	s_wait_dscnt 0x0
	v_add_f32_e32 v2, v2, v3
	ds_bpermute_b32 v2, v9, v2
	s_and_saveexec_b32 s0, s1
	s_cbranch_execz .LBB76_45
; %bb.33:
	s_wait_dscnt 0x0
	v_add_f32_e32 v2, 0x358637bd, v2
	s_mov_b32 s3, -1
	s_mov_b32 s1, exec_lo
	s_delay_alu instid0(VALU_DEP_1) | instskip(NEXT) | instid1(VALU_DEP_1)
	v_div_scale_f32 v3, null, v2, v2, 1.0
	v_rcp_f32_e32 v5, v3
	v_nop
	s_delay_alu instid0(TRANS32_DEP_1) | instskip(NEXT) | instid1(VALU_DEP_1)
	v_fma_f32 v4, -v3, v5, 1.0
	v_fmac_f32_e32 v5, v4, v5
	v_div_scale_f32 v8, vcc_lo, 1.0, v2, 1.0
	s_delay_alu instid0(VALU_DEP_1) | instskip(NEXT) | instid1(VALU_DEP_1)
	v_mul_f32_e32 v10, v8, v5
	v_fma_f32 v4, -v3, v10, v8
	s_delay_alu instid0(VALU_DEP_1) | instskip(SKIP_1) | instid1(VALU_DEP_2)
	v_fmac_f32_e32 v10, v4, v5
	v_xad_u32 v4, v0, -1, s15
	v_fma_f32 v3, -v3, v10, v8
	s_delay_alu instid0(VALU_DEP_1) | instskip(NEXT) | instid1(VALU_DEP_1)
	v_div_fmas_f32 v3, v3, v5, v10
	v_div_fixup_f32 v2, v3, v2, 1.0
	v_mov_b32_e32 v3, v0
	v_cmpx_lt_u32_e32 0x7f, v4
	s_cbranch_execz .LBB76_42
; %bb.34:
	s_delay_alu instid0(VALU_DEP_3) | instskip(NEXT) | instid1(VALU_DEP_1)
	v_dual_mov_b32 v3, v2 :: v_dual_lshrrev_b32 v4, 7, v4
	v_dual_mov_b32 v11, 0 :: v_dual_add_nc_u32 v5, -1, v4
	s_delay_alu instid0(VALU_DEP_1) | instskip(SKIP_1) | instid1(VALU_DEP_2)
	v_lshrrev_b32_e32 v8, 1, v5
	v_cmp_lt_u32_e32 vcc_lo, 13, v5
	v_add_nc_u32_e32 v5, 1, v8
	s_and_saveexec_b32 s3, vcc_lo
	s_cbranch_execz .LBB76_38
; %bb.35:
	s_delay_alu instid0(VALU_DEP_1)
	v_and_b32_e32 v8, -8, v5
	v_lshl_add_u32 v10, v0, 2, 0x100
	s_mov_b32 s24, 0
	s_mov_b32 s25, 0
.LBB76_36:                              ; =>This Inner Loop Header: Depth=1
	ds_load_2addr_stride64_b32 v[12:13], v10 offset1:2
	ds_load_2addr_stride64_b32 v[14:15], v10 offset0:4 offset1:6
	ds_load_2addr_stride64_b32 v[16:17], v10 offset0:8 offset1:10
	;; [unrolled: 1-line block ×7, first 2 shown]
	s_add_co_i32 s25, s25, 16
	s_delay_alu instid0(SALU_CYCLE_1) | instskip(NEXT) | instid1(VALU_DEP_1)
	v_dual_mov_b32 v11, s25 :: v_dual_add_nc_u32 v8, -8, v8
	v_cmp_eq_u32_e32 vcc_lo, 0, v8
	s_or_b32 s24, vcc_lo, s24
	s_wait_dscnt 0x7
	v_pk_mul_f32 v[12:13], v[2:3], v[12:13]
	s_wait_dscnt 0x6
	v_pk_mul_f32 v[14:15], v[2:3], v[14:15]
	;; [unrolled: 2-line block ×8, first 2 shown]
	ds_store_2addr_stride64_b32 v10, v12, v13 offset1:2
	ds_store_2addr_stride64_b32 v10, v14, v15 offset0:4 offset1:6
	ds_store_2addr_stride64_b32 v10, v16, v17 offset0:8 offset1:10
	;; [unrolled: 1-line block ×7, first 2 shown]
	v_add_nc_u32_e32 v10, 0x2000, v10
	s_and_not1_b32 exec_lo, exec_lo, s24
	s_cbranch_execnz .LBB76_36
; %bb.37:
	s_or_b32 exec_lo, exec_lo, s24
.LBB76_38:
	s_delay_alu instid0(SALU_CYCLE_1) | instskip(NEXT) | instid1(VALU_DEP_1)
	s_or_b32 exec_lo, exec_lo, s3
	v_and_b32_e32 v5, 7, v5
	s_mov_b32 s24, 0
	s_mov_b32 s3, exec_lo
	s_delay_alu instid0(VALU_DEP_1)
	v_cmpx_ne_u32_e32 0, v5
	s_cbranch_execz .LBB76_41
; %bb.39:
	v_dual_lshlrev_b32 v8, 9, v11 :: v_dual_lshlrev_b32 v10, 2, v0
	s_delay_alu instid0(VALU_DEP_1)
	v_add3_u32 v8, v8, v10, 0x100
.LBB76_40:                              ; =>This Inner Loop Header: Depth=1
	ds_load_2addr_stride64_b32 v[10:11], v8 offset1:2
	v_add_nc_u32_e32 v5, -1, v5
	s_delay_alu instid0(VALU_DEP_1)
	v_cmp_eq_u32_e32 vcc_lo, 0, v5
	s_or_b32 s24, vcc_lo, s24
	s_wait_dscnt 0x0
	v_pk_mul_f32 v[10:11], v[2:3], v[10:11]
	ds_store_2addr_stride64_b32 v8, v10, v11 offset1:2
	v_add_nc_u32_e32 v8, 0x400, v8
	s_and_not1_b32 exec_lo, exec_lo, s24
	s_cbranch_execnz .LBB76_40
.LBB76_41:
	s_or_b32 exec_lo, exec_lo, s3
	v_add_nc_u32_e32 v3, 1, v4
	s_delay_alu instid0(VALU_DEP_1) | instskip(NEXT) | instid1(VALU_DEP_1)
	v_and_b32_e32 v4, 0x3fffffe, v3
	v_cmp_ne_u32_e32 vcc_lo, v3, v4
	v_lshl_add_u32 v3, v4, 7, v0
	s_or_not1_b32 s3, vcc_lo, exec_lo
.LBB76_42:
	s_or_b32 exec_lo, exec_lo, s1
	s_delay_alu instid0(SALU_CYCLE_1)
	s_and_b32 exec_lo, exec_lo, s3
	s_cbranch_execz .LBB76_45
; %bb.43:
	v_lshl_add_u32 v4, v3, 2, 0x100
	s_mov_b32 s1, 0
.LBB76_44:                              ; =>This Inner Loop Header: Depth=1
	ds_load_b32 v5, v4
	v_add_nc_u32_e32 v3, 0x80, v3
	s_delay_alu instid0(VALU_DEP_1)
	v_cmp_le_i32_e32 vcc_lo, s15, v3
	s_or_b32 s1, vcc_lo, s1
	s_wait_dscnt 0x0
	v_mul_f32_e32 v5, v2, v5
	ds_store_b32 v4, v5
	v_add_nc_u32_e32 v4, 0x200, v4
	s_and_not1_b32 exec_lo, exec_lo, s1
	s_cbranch_execnz .LBB76_44
.LBB76_45:
	s_or_b32 exec_lo, exec_lo, s0
	v_dual_mov_b32 v8, 0 :: v_dual_mov_b32 v11, 0
	v_dual_mov_b32 v10, 0 :: v_dual_mov_b32 v13, 0
	;; [unrolled: 1-line block ×3, first 2 shown]
	s_wait_dscnt 0x0
	s_barrier_signal -1
	s_barrier_wait -1
	s_and_saveexec_b32 s1, s2
	s_cbranch_execz .LBB76_65
; %bb.46:
	s_abs_i32 s10, s10
	v_dual_lshlrev_b32 v4, 4, v0 :: v_dual_bitop2_b32 v24, 8, v7 bitop3:0x40
	s_cvt_f32_u32 s0, s10
	v_mov_b32_e32 v7, 0
	v_and_b32_e32 v2, 0x7c, v1
	v_lshlrev_b32_e32 v1, 5, v39
	v_rcp_iflag_f32_e32 v3, s0
	s_ashr_i32 s15, s14, 31
	v_and_b32_e32 v4, 0x1f0, v4
	v_mov_b32_e32 v5, v7
	s_lshl_b64 s[20:21], s[20:21], 2
	s_lshl_b64 s[14:15], s[14:15], 1
	v_lshl_or_b32 v1, v40, 6, v1
	v_readfirstlane_b32 s0, v3
	v_mov_b32_e32 v3, v7
	s_add_nc_u64 s[18:19], s[18:19], s[20:21]
	s_wait_kmcnt 0x0
	s_add_nc_u64 s[14:15], s[22:23], s[14:15]
	s_sub_co_i32 s24, s8, s9
	s_mul_f32 s0, s0, 0x4f7ffffe
	s_sub_co_i32 s8, 0, s10
	v_add_nc_u64_e32 v[14:15], s[14:15], v[4:5]
	v_add_nc_u64_e32 v[16:17], s[18:19], v[2:3]
	s_cvt_u32_f32 s0, s0
	v_dual_mov_b32 v26, v40 :: v_dual_add_nc_u32 v25, 0x100, v1
	v_dual_mov_b32 v23, v7 :: v_dual_mov_b32 v12, v7
	s_delay_alu instid0(SALU_CYCLE_1)
	s_mul_i32 s8, s8, s0
	v_dual_mov_b32 v13, v7 :: v_dual_mov_b32 v10, v7
	v_dual_mov_b32 v11, v7 :: v_dual_mov_b32 v8, v7
	v_mov_b32_e32 v9, v7
	s_mov_b32 s9, 0
	s_mul_hi_u32 s8, s0, s8
	s_ashr_i32 s3, s13, 31
	s_mov_b32 s2, s13
	s_add_co_i32 s13, s34, -1
	s_mov_b32 s14, s31
	s_add_co_i32 s8, s0, s8
	s_mov_b32 s15, s9
	s_branch .LBB76_49
.LBB76_47:                              ;   in Loop: Header=BB76_49 Depth=1
	s_or_b32 exec_lo, exec_lo, s0
	v_dual_add_f32 v20, v20, v35 :: v_dual_lshlrev_b32 v18, 16, v18
	s_delay_alu instid0(VALU_DEP_2) | instskip(SKIP_1) | instid1(VALU_DEP_3)
	v_dual_lshlrev_b32 v1, 16, v1 :: v_dual_lshlrev_b32 v19, 16, v19
	v_add_f32_e32 v27, v51, v52
	v_and_or_b32 v2, 0xffff, v2, v18
	s_delay_alu instid0(VALU_DEP_3) | instskip(NEXT) | instid1(VALU_DEP_4)
	v_and_or_b32 v3, 0xffff, v3, v1
	v_and_or_b32 v4, 0xffff, v4, v19
	;;#ASMSTART
	v_pk_mul_f16 v2, v37, v2;

	;;#ASMEND
	;;#ASMSTART
	v_pk_mul_f16 v3, v36, v3;

	;;#ASMEND
	;; [unrolled: 4-line block ×4, first 2 shown]
	;;#ASMSTART
	v_pk_add_f16 v2, v2, v3;

	;;#ASMEND
	;;#ASMSTART
	v_pk_add_f16 v2, v2, v4;

	;;#ASMEND
	;; [unrolled: 4-line block ×3, first 2 shown]
	v_and_b32_e32 v5, 0xffff, v2
	v_dual_lshrrev_b32 v18, 16, v2 :: v_dual_add_f32 v2, v47, v48
	;;#ASMSTART
	v_cvt_f32_f16 v5, v5;
	;;#ASMEND
	v_add_f32_e32 v1, v49, v50
	v_dual_add_f32 v3, v45, v46 :: v_dual_add_f32 v4, v43, v44
	;;#ASMSTART
	v_cvt_f32_f16 v18, v18;
	;;#ASMEND
	s_delay_alu instid0(VALU_DEP_2) | instskip(SKIP_1) | instid1(VALU_DEP_3)
	v_dual_add_f32 v5, v5, v18 :: v_dual_add_f32 v11, v11, v1
	v_dual_add_f32 v9, v9, v20 :: v_dual_add_f32 v8, v8, v27
	;; [unrolled: 1-line block ×3, first 2 shown]
	s_delay_alu instid0(VALU_DEP_3)
	v_dual_add_f32 v12, v12, v4 :: v_dual_add_f32 v23, v23, v5
.LBB76_48:                              ;   in Loop: Header=BB76_49 Depth=1
	s_or_b32 exec_lo, exec_lo, s18
	v_add_nc_u32_e32 v26, 4, v26
	v_add_nc_u64_e32 v[16:17], 16, v[16:17]
	v_add_nc_u32_e32 v6, 64, v6
	v_add_nc_u32_e32 v25, 0x100, v25
	s_delay_alu instid0(VALU_DEP_4) | instskip(SKIP_1) | instid1(SALU_CYCLE_1)
	v_cmp_le_i32_e32 vcc_lo, s34, v26
	s_or_b32 s15, vcc_lo, s15
	s_and_not1_b32 exec_lo, exec_lo, s15
	s_cbranch_execz .LBB76_64
.LBB76_49:                              ; =>This Inner Loop Header: Depth=1
	v_mul_u64_e32 v[2:3], s[16:17], v[6:7]
	s_delay_alu instid0(VALU_DEP_1) | instskip(NEXT) | instid1(VALU_DEP_1)
	v_mul_lo_u32 v1, v3, s12
	v_dual_add_nc_u32 v2, 1, v3 :: v_dual_sub_nc_u32 v1, v6, v1
	s_delay_alu instid0(VALU_DEP_1) | instskip(SKIP_1) | instid1(VALU_DEP_2)
	v_subrev_nc_u32_e32 v4, s12, v1
	v_cmp_le_u32_e32 vcc_lo, s12, v1
	v_dual_cndmask_b32 v2, v3, v2 :: v_dual_cndmask_b32 v1, v1, v4
	s_delay_alu instid0(VALU_DEP_1) | instskip(NEXT) | instid1(VALU_DEP_2)
	v_add_nc_u32_e32 v3, 1, v2
	v_cmp_le_u32_e32 vcc_lo, s12, v1
	s_delay_alu instid0(VALU_DEP_2) | instskip(NEXT) | instid1(VALU_DEP_1)
	v_dual_cndmask_b32 v1, v2, v3, vcc_lo :: v_dual_mov_b32 v3, v7
	v_xor_b32_e32 v1, s11, v1
	s_delay_alu instid0(VALU_DEP_1) | instskip(NEXT) | instid1(VALU_DEP_1)
	v_subrev_nc_u32_e32 v1, s11, v1
	v_add_nc_u32_e32 v18, s33, v1
	v_cmp_lt_i32_e64 s0, s24, v1
	s_delay_alu instid0(VALU_DEP_2) | instskip(NEXT) | instid1(VALU_DEP_1)
	v_sub_nc_u32_e32 v2, 0, v18
	v_max_i32_e32 v2, v18, v2
	s_delay_alu instid0(VALU_DEP_1) | instskip(SKIP_1) | instid1(VALU_DEP_2)
	v_mul_u64_e32 v[4:5], s[8:9], v[2:3]
	v_ashrrev_i32_e32 v4, 31, v18
	v_mul_lo_u32 v3, v5, s10
	s_delay_alu instid0(VALU_DEP_1) | instskip(NEXT) | instid1(VALU_DEP_1)
	v_sub_nc_u32_e32 v2, v2, v3
	v_subrev_nc_u32_e32 v3, s10, v2
	v_cmp_le_u32_e32 vcc_lo, s10, v2
	s_delay_alu instid0(VALU_DEP_2) | instskip(NEXT) | instid1(VALU_DEP_1)
	v_cndmask_b32_e32 v2, v2, v3, vcc_lo
	v_subrev_nc_u32_e32 v3, s10, v2
	v_cmp_le_u32_e32 vcc_lo, s10, v2
	s_delay_alu instid0(VALU_DEP_2) | instskip(NEXT) | instid1(VALU_DEP_1)
	v_cndmask_b32_e32 v2, v2, v3, vcc_lo
	v_xor_b32_e32 v2, v2, v4
	s_delay_alu instid0(VALU_DEP_1) | instskip(NEXT) | instid1(VALU_DEP_1)
	v_sub_nc_u32_e32 v2, v2, v4
	v_cmp_eq_u32_e32 vcc_lo, 0, v2
	s_or_b32 s0, vcc_lo, s0
	s_delay_alu instid0(SALU_CYCLE_1)
	s_and_saveexec_b32 s18, s0
	s_cbranch_execz .LBB76_48
; %bb.50:                               ;   in Loop: Header=BB76_49 Depth=1
	global_load_b32 v2, v[16:17], off
	v_cmp_eq_u32_e32 vcc_lo, s13, v26
	s_wait_loadcnt 0x0
	v_ashrrev_i32_e32 v3, 31, v2
	s_delay_alu instid0(VALU_DEP_1)
	v_mul_u64_e32 v[18:19], s[2:3], v[2:3]
	ds_load_2addr_b64 v[2:5], v25 offset1:1
	ds_load_2addr_b64 v[28:31], v25 offset0:2 offset1:3
	s_wait_dscnt 0x1
	;;#ASMSTART
	v_cvt_f16_f32 v37, v2;

	;;#ASMEND
	;;#ASMSTART
	v_cvt_f16_f32 v36, v3;

	;;#ASMEND
	;; [unrolled: 4-line block ×4, first 2 shown]
	s_wait_dscnt 0x0
	;;#ASMSTART
	v_cvt_f16_f32 v46, v28;

	;;#ASMEND
	;;#ASMSTART
	v_cvt_f16_f32 v41, v29;

	;;#ASMEND
	;; [unrolled: 4-line block ×4, first 2 shown]
	v_lshl_add_u64 v[18:19], v[18:19], 1, v[14:15]
	global_load_b128 v[2:5], v[18:19], off
	s_wait_loadcnt 0x0
	v_dual_add_nc_u32 v31, v24, v6 :: v_dual_lshrrev_b32 v1, 16, v3
	s_delay_alu instid0(VALU_DEP_1)
	v_dual_add_nc_u32 v33, 2, v31 :: v_dual_add_nc_u32 v28, 4, v31
	v_dual_add_nc_u32 v27, 5, v31 :: v_dual_add_nc_u32 v30, 6, v31
	v_dual_add_nc_u32 v29, 7, v31 :: v_dual_bitop2_b32 v34, 3, v31 bitop3:0x54
	v_dual_lshrrev_b32 v20, 16, v2 :: v_dual_lshrrev_b32 v35, 16, v4
	v_or_b32_e32 v32, 1, v31
	s_and_saveexec_b32 s19, vcc_lo
	s_cbranch_execz .LBB76_52
; %bb.51:                               ;   in Loop: Header=BB76_49 Depth=1
	v_cmp_gt_i32_e64 s0, s31, v31
	v_and_b32_e32 v47, 0xffff, v5
	v_and_b32_e32 v5, 0xffff0000, v5
	s_delay_alu instid0(VALU_DEP_3) | instskip(SKIP_1) | instid1(VALU_DEP_1)
	v_cndmask_b32_e64 v2, 0, v2, s0
	v_cmp_gt_i32_e64 s0, s31, v33
	v_cndmask_b32_e64 v3, 0, v3, s0
	v_cmp_gt_i32_e64 s0, s14, v34
	s_delay_alu instid0(VALU_DEP_1) | instskip(SKIP_1) | instid1(VALU_DEP_1)
	v_cndmask_b32_e64 v1, 0, v1, s0
	v_cmp_gt_i32_e64 s0, s31, v32
	v_cndmask_b32_e64 v20, 0, v20, s0
	v_cmp_gt_i32_e64 s0, s31, v30
	s_delay_alu instid0(VALU_DEP_1) | instskip(SKIP_1) | instid1(VALU_DEP_1)
	;; [unrolled: 5-line block ×3, first 2 shown]
	v_dual_cndmask_b32 v4, 0, v4, s0 :: v_dual_bitop2_b32 v5, v47, v5 bitop3:0x54
	v_cmp_gt_i32_e64 s0, s31, v27
	v_cndmask_b32_e64 v35, 0, v35, s0
.LBB76_52:                              ;   in Loop: Header=BB76_49 Depth=1
	s_or_b32 exec_lo, exec_lo, s19
	v_and_b32_e32 v37, 0xffff, v37
	v_and_b32_e32 v45, 0xffff, v45
	v_dual_lshlrev_b32 v20, 16, v20 :: v_dual_lshlrev_b32 v1, 16, v1
	v_lshlrev_b32_e32 v35, 16, v35
	v_and_b32_e32 v46, 0xffff, v46
	v_lshl_or_b32 v37, v36, 16, v37
	v_lshl_or_b32 v36, v43, 16, v45
	v_and_b32_e32 v43, 0xffff, v44
	v_and_or_b32 v2, 0xffff, v2, v20
	v_and_or_b32 v1, 0xffff, v3, v1
	;; [unrolled: 1-line block ×3, first 2 shown]
	;;#ASMSTART
	v_pk_mul_f16 v2, v37, v2;

	;;#ASMEND
	;;#ASMSTART
	v_pk_mul_f16 v1, v36, v1;

	;;#ASMEND
	v_lshl_or_b32 v41, v41, 16, v46
	v_lshl_or_b32 v42, v42, 16, v43
	;;#ASMSTART
	v_pk_mul_f16 v3, v41, v3;

	;;#ASMEND
	;;#ASMSTART
	v_pk_mul_f16 v4, v42, v5;

	;;#ASMEND
	;;#ASMSTART
	v_pk_add_f16 v1, v2, v1;

	;;#ASMEND
	;;#ASMSTART
	v_pk_add_f16 v1, v1, v3;
	;; [unrolled: 4-line block ×3, first 2 shown]

	;;#ASMEND
	v_and_b32_e32 v2, 0xffff, v1
	v_lshrrev_b32_e32 v1, 16, v1
	;;#ASMSTART
	v_cvt_f32_f16 v43, v2;
	;;#ASMEND
	;;#ASMSTART
	v_cvt_f32_f16 v44, v1;
	;;#ASMEND
	global_load_b128 v[2:5], v[18:19], off offset:512
	s_wait_loadcnt 0x0
	v_dual_lshrrev_b32 v1, 16, v3 :: v_dual_lshrrev_b32 v20, 16, v2
	v_lshrrev_b32_e32 v35, 16, v4
	s_and_saveexec_b32 s19, vcc_lo
	s_cbranch_execz .LBB76_54
; %bb.53:                               ;   in Loop: Header=BB76_49 Depth=1
	v_cmp_gt_i32_e64 s0, s31, v31
	v_and_b32_e32 v45, 0xffff, v5
	v_and_b32_e32 v5, 0xffff0000, v5
	s_delay_alu instid0(VALU_DEP_3) | instskip(SKIP_1) | instid1(VALU_DEP_1)
	v_cndmask_b32_e64 v2, 0, v2, s0
	v_cmp_gt_i32_e64 s0, s31, v33
	v_cndmask_b32_e64 v3, 0, v3, s0
	v_cmp_gt_i32_e64 s0, s14, v34
	s_delay_alu instid0(VALU_DEP_1) | instskip(SKIP_1) | instid1(VALU_DEP_1)
	v_cndmask_b32_e64 v1, 0, v1, s0
	v_cmp_gt_i32_e64 s0, s31, v32
	v_cndmask_b32_e64 v20, 0, v20, s0
	v_cmp_gt_i32_e64 s0, s31, v30
	s_delay_alu instid0(VALU_DEP_1) | instskip(SKIP_1) | instid1(VALU_DEP_1)
	;; [unrolled: 5-line block ×3, first 2 shown]
	v_cndmask_b32_e64 v4, 0, v4, s0
	v_cmp_gt_i32_e64 s0, s31, v27
	v_dual_cndmask_b32 v35, 0, v35, s0 :: v_dual_bitop2_b32 v5, v45, v5 bitop3:0x54
.LBB76_54:                              ;   in Loop: Header=BB76_49 Depth=1
	s_or_b32 exec_lo, exec_lo, s19
	v_dual_lshlrev_b32 v20, 16, v20 :: v_dual_lshlrev_b32 v1, 16, v1
	s_delay_alu instid0(VALU_DEP_2) | instskip(NEXT) | instid1(VALU_DEP_2)
	v_lshlrev_b32_e32 v35, 16, v35
	v_and_or_b32 v2, 0xffff, v2, v20
	s_delay_alu instid0(VALU_DEP_3) | instskip(NEXT) | instid1(VALU_DEP_3)
	v_and_or_b32 v1, 0xffff, v3, v1
	v_and_or_b32 v3, 0xffff, v4, v35
	;;#ASMSTART
	v_pk_mul_f16 v2, v37, v2;

	;;#ASMEND
	;;#ASMSTART
	v_pk_mul_f16 v1, v36, v1;

	;;#ASMEND
	;; [unrolled: 4-line block ×4, first 2 shown]
	;;#ASMSTART
	v_pk_add_f16 v1, v2, v1;

	;;#ASMEND
	;;#ASMSTART
	v_pk_add_f16 v1, v1, v3;

	;;#ASMEND
	;; [unrolled: 4-line block ×3, first 2 shown]
	v_and_b32_e32 v2, 0xffff, v1
	v_lshrrev_b32_e32 v1, 16, v1
	;;#ASMSTART
	v_cvt_f32_f16 v45, v2;
	;;#ASMEND
	;;#ASMSTART
	v_cvt_f32_f16 v46, v1;
	;;#ASMEND
	global_load_b128 v[2:5], v[18:19], off offset:1024
	s_wait_loadcnt 0x0
	v_dual_lshrrev_b32 v1, 16, v3 :: v_dual_lshrrev_b32 v20, 16, v2
	v_lshrrev_b32_e32 v35, 16, v4
	s_and_saveexec_b32 s19, vcc_lo
	s_cbranch_execz .LBB76_56
; %bb.55:                               ;   in Loop: Header=BB76_49 Depth=1
	v_cmp_gt_i32_e64 s0, s31, v31
	v_and_b32_e32 v47, 0xffff, v5
	v_and_b32_e32 v5, 0xffff0000, v5
	s_delay_alu instid0(VALU_DEP_3) | instskip(SKIP_1) | instid1(VALU_DEP_1)
	v_cndmask_b32_e64 v2, 0, v2, s0
	v_cmp_gt_i32_e64 s0, s31, v33
	v_cndmask_b32_e64 v3, 0, v3, s0
	v_cmp_gt_i32_e64 s0, s14, v34
	s_delay_alu instid0(VALU_DEP_1) | instskip(SKIP_1) | instid1(VALU_DEP_1)
	v_cndmask_b32_e64 v1, 0, v1, s0
	v_cmp_gt_i32_e64 s0, s31, v32
	v_cndmask_b32_e64 v20, 0, v20, s0
	v_cmp_gt_i32_e64 s0, s31, v30
	s_delay_alu instid0(VALU_DEP_1) | instskip(SKIP_1) | instid1(VALU_DEP_1)
	;; [unrolled: 5-line block ×3, first 2 shown]
	v_dual_cndmask_b32 v4, 0, v4, s0 :: v_dual_bitop2_b32 v5, v47, v5 bitop3:0x54
	v_cmp_gt_i32_e64 s0, s31, v27
	v_cndmask_b32_e64 v35, 0, v35, s0
.LBB76_56:                              ;   in Loop: Header=BB76_49 Depth=1
	s_or_b32 exec_lo, exec_lo, s19
	v_dual_lshlrev_b32 v20, 16, v20 :: v_dual_lshlrev_b32 v1, 16, v1
	s_delay_alu instid0(VALU_DEP_2) | instskip(NEXT) | instid1(VALU_DEP_2)
	v_lshlrev_b32_e32 v35, 16, v35
	v_and_or_b32 v2, 0xffff, v2, v20
	s_delay_alu instid0(VALU_DEP_3) | instskip(NEXT) | instid1(VALU_DEP_3)
	v_and_or_b32 v1, 0xffff, v3, v1
	v_and_or_b32 v3, 0xffff, v4, v35
	;;#ASMSTART
	v_pk_mul_f16 v2, v37, v2;

	;;#ASMEND
	;;#ASMSTART
	v_pk_mul_f16 v1, v36, v1;

	;;#ASMEND
	;; [unrolled: 4-line block ×4, first 2 shown]
	;;#ASMSTART
	v_pk_add_f16 v1, v2, v1;

	;;#ASMEND
	;;#ASMSTART
	v_pk_add_f16 v1, v1, v3;

	;;#ASMEND
	;; [unrolled: 4-line block ×3, first 2 shown]
	v_and_b32_e32 v2, 0xffff, v1
	v_lshrrev_b32_e32 v1, 16, v1
	;;#ASMSTART
	v_cvt_f32_f16 v47, v2;
	;;#ASMEND
	;;#ASMSTART
	v_cvt_f32_f16 v48, v1;
	;;#ASMEND
	global_load_b128 v[2:5], v[18:19], off offset:1536
	s_wait_loadcnt 0x0
	v_dual_lshrrev_b32 v1, 16, v3 :: v_dual_lshrrev_b32 v20, 16, v2
	v_lshrrev_b32_e32 v35, 16, v4
	s_and_saveexec_b32 s19, vcc_lo
	s_cbranch_execz .LBB76_58
; %bb.57:                               ;   in Loop: Header=BB76_49 Depth=1
	v_cmp_gt_i32_e64 s0, s31, v31
	v_and_b32_e32 v49, 0xffff, v5
	v_and_b32_e32 v5, 0xffff0000, v5
	s_delay_alu instid0(VALU_DEP_3) | instskip(SKIP_1) | instid1(VALU_DEP_1)
	v_cndmask_b32_e64 v2, 0, v2, s0
	v_cmp_gt_i32_e64 s0, s31, v33
	v_cndmask_b32_e64 v3, 0, v3, s0
	v_cmp_gt_i32_e64 s0, s14, v34
	s_delay_alu instid0(VALU_DEP_1) | instskip(SKIP_1) | instid1(VALU_DEP_1)
	v_cndmask_b32_e64 v1, 0, v1, s0
	v_cmp_gt_i32_e64 s0, s31, v32
	v_cndmask_b32_e64 v20, 0, v20, s0
	v_cmp_gt_i32_e64 s0, s31, v30
	s_delay_alu instid0(VALU_DEP_1) | instskip(SKIP_1) | instid1(VALU_DEP_1)
	;; [unrolled: 5-line block ×3, first 2 shown]
	v_cndmask_b32_e64 v4, 0, v4, s0
	v_cmp_gt_i32_e64 s0, s31, v27
	v_dual_cndmask_b32 v35, 0, v35, s0 :: v_dual_bitop2_b32 v5, v49, v5 bitop3:0x54
.LBB76_58:                              ;   in Loop: Header=BB76_49 Depth=1
	s_or_b32 exec_lo, exec_lo, s19
	v_dual_lshlrev_b32 v20, 16, v20 :: v_dual_lshlrev_b32 v1, 16, v1
	s_delay_alu instid0(VALU_DEP_2) | instskip(NEXT) | instid1(VALU_DEP_2)
	v_lshlrev_b32_e32 v35, 16, v35
	v_and_or_b32 v2, 0xffff, v2, v20
	s_delay_alu instid0(VALU_DEP_3) | instskip(NEXT) | instid1(VALU_DEP_3)
	v_and_or_b32 v1, 0xffff, v3, v1
	v_and_or_b32 v3, 0xffff, v4, v35
	;;#ASMSTART
	v_pk_mul_f16 v2, v37, v2;

	;;#ASMEND
	;;#ASMSTART
	v_pk_mul_f16 v1, v36, v1;

	;;#ASMEND
	;; [unrolled: 4-line block ×4, first 2 shown]
	;;#ASMSTART
	v_pk_add_f16 v1, v2, v1;

	;;#ASMEND
	;;#ASMSTART
	v_pk_add_f16 v1, v1, v3;

	;;#ASMEND
	;; [unrolled: 4-line block ×3, first 2 shown]
	v_and_b32_e32 v2, 0xffff, v1
	v_lshrrev_b32_e32 v1, 16, v1
	;;#ASMSTART
	v_cvt_f32_f16 v49, v2;
	;;#ASMEND
	;;#ASMSTART
	v_cvt_f32_f16 v50, v1;
	;;#ASMEND
	global_load_b128 v[2:5], v[18:19], off offset:2048
	s_wait_loadcnt 0x0
	v_dual_lshrrev_b32 v1, 16, v3 :: v_dual_lshrrev_b32 v20, 16, v2
	v_lshrrev_b32_e32 v35, 16, v4
	s_and_saveexec_b32 s19, vcc_lo
	s_cbranch_execz .LBB76_60
; %bb.59:                               ;   in Loop: Header=BB76_49 Depth=1
	v_cmp_gt_i32_e64 s0, s31, v31
	v_and_b32_e32 v51, 0xffff, v5
	v_and_b32_e32 v5, 0xffff0000, v5
	s_delay_alu instid0(VALU_DEP_3) | instskip(SKIP_1) | instid1(VALU_DEP_1)
	v_cndmask_b32_e64 v2, 0, v2, s0
	v_cmp_gt_i32_e64 s0, s31, v33
	v_cndmask_b32_e64 v3, 0, v3, s0
	v_cmp_gt_i32_e64 s0, s14, v34
	s_delay_alu instid0(VALU_DEP_1) | instskip(SKIP_1) | instid1(VALU_DEP_1)
	v_cndmask_b32_e64 v1, 0, v1, s0
	v_cmp_gt_i32_e64 s0, s31, v32
	v_cndmask_b32_e64 v20, 0, v20, s0
	v_cmp_gt_i32_e64 s0, s31, v30
	s_delay_alu instid0(VALU_DEP_1) | instskip(SKIP_1) | instid1(VALU_DEP_1)
	;; [unrolled: 5-line block ×3, first 2 shown]
	v_dual_cndmask_b32 v4, 0, v4, s0 :: v_dual_bitop2_b32 v5, v51, v5 bitop3:0x54
	v_cmp_gt_i32_e64 s0, s31, v27
	v_cndmask_b32_e64 v35, 0, v35, s0
.LBB76_60:                              ;   in Loop: Header=BB76_49 Depth=1
	s_or_b32 exec_lo, exec_lo, s19
	v_dual_lshlrev_b32 v20, 16, v20 :: v_dual_lshlrev_b32 v1, 16, v1
	s_delay_alu instid0(VALU_DEP_2) | instskip(NEXT) | instid1(VALU_DEP_2)
	v_lshlrev_b32_e32 v35, 16, v35
	v_and_or_b32 v2, 0xffff, v2, v20
	s_delay_alu instid0(VALU_DEP_3) | instskip(NEXT) | instid1(VALU_DEP_3)
	v_and_or_b32 v1, 0xffff, v3, v1
	v_and_or_b32 v3, 0xffff, v4, v35
	;;#ASMSTART
	v_pk_mul_f16 v2, v37, v2;

	;;#ASMEND
	;;#ASMSTART
	v_pk_mul_f16 v1, v36, v1;

	;;#ASMEND
	;; [unrolled: 4-line block ×4, first 2 shown]
	;;#ASMSTART
	v_pk_add_f16 v1, v2, v1;

	;;#ASMEND
	;;#ASMSTART
	v_pk_add_f16 v1, v1, v3;

	;;#ASMEND
	;; [unrolled: 4-line block ×3, first 2 shown]
	v_and_b32_e32 v2, 0xffff, v1
	v_lshrrev_b32_e32 v1, 16, v1
	;;#ASMSTART
	v_cvt_f32_f16 v51, v2;
	;;#ASMEND
	;;#ASMSTART
	v_cvt_f32_f16 v52, v1;
	;;#ASMEND
	global_load_b128 v[2:5], v[18:19], off offset:2560
	s_wait_loadcnt 0x0
	v_dual_lshrrev_b32 v1, 16, v3 :: v_dual_lshrrev_b32 v20, 16, v2
	v_lshrrev_b32_e32 v35, 16, v4
	s_and_saveexec_b32 s19, vcc_lo
	s_cbranch_execz .LBB76_62
; %bb.61:                               ;   in Loop: Header=BB76_49 Depth=1
	v_cmp_gt_i32_e64 s0, s31, v31
	v_and_b32_e32 v53, 0xffff, v5
	v_and_b32_e32 v5, 0xffff0000, v5
	s_delay_alu instid0(VALU_DEP_3) | instskip(SKIP_1) | instid1(VALU_DEP_1)
	v_cndmask_b32_e64 v2, 0, v2, s0
	v_cmp_gt_i32_e64 s0, s31, v33
	v_cndmask_b32_e64 v3, 0, v3, s0
	v_cmp_gt_i32_e64 s0, s14, v34
	s_delay_alu instid0(VALU_DEP_1) | instskip(SKIP_1) | instid1(VALU_DEP_1)
	v_cndmask_b32_e64 v1, 0, v1, s0
	v_cmp_gt_i32_e64 s0, s31, v32
	v_cndmask_b32_e64 v20, 0, v20, s0
	v_cmp_gt_i32_e64 s0, s31, v30
	s_delay_alu instid0(VALU_DEP_1) | instskip(SKIP_1) | instid1(VALU_DEP_1)
	;; [unrolled: 5-line block ×3, first 2 shown]
	v_cndmask_b32_e64 v4, 0, v4, s0
	v_cmp_gt_i32_e64 s0, s31, v27
	v_dual_cndmask_b32 v35, 0, v35, s0 :: v_dual_bitop2_b32 v5, v53, v5 bitop3:0x54
.LBB76_62:                              ;   in Loop: Header=BB76_49 Depth=1
	s_or_b32 exec_lo, exec_lo, s19
	v_dual_lshlrev_b32 v20, 16, v20 :: v_dual_lshlrev_b32 v1, 16, v1
	s_delay_alu instid0(VALU_DEP_2) | instskip(NEXT) | instid1(VALU_DEP_2)
	v_lshlrev_b32_e32 v35, 16, v35
	v_and_or_b32 v2, 0xffff, v2, v20
	s_delay_alu instid0(VALU_DEP_3) | instskip(NEXT) | instid1(VALU_DEP_3)
	v_and_or_b32 v1, 0xffff, v3, v1
	v_and_or_b32 v3, 0xffff, v4, v35
	;;#ASMSTART
	v_pk_mul_f16 v2, v37, v2;

	;;#ASMEND
	;;#ASMSTART
	v_pk_mul_f16 v1, v36, v1;

	;;#ASMEND
	;; [unrolled: 4-line block ×4, first 2 shown]
	;;#ASMSTART
	v_pk_add_f16 v1, v2, v1;

	;;#ASMEND
	;;#ASMSTART
	v_pk_add_f16 v1, v1, v3;

	;;#ASMEND
	;;#ASMSTART
	v_pk_add_f16 v1, v1, v4;

	;;#ASMEND
	v_and_b32_e32 v2, 0xffff, v1
	v_lshrrev_b32_e32 v1, 16, v1
	;;#ASMSTART
	v_cvt_f32_f16 v20, v2;
	;;#ASMEND
	;;#ASMSTART
	v_cvt_f32_f16 v35, v1;
	;;#ASMEND
	global_load_b128 v[2:5], v[18:19], off offset:3072
	s_wait_loadcnt 0x0
	v_dual_lshrrev_b32 v1, 16, v3 :: v_dual_lshrrev_b32 v18, 16, v2
	v_lshrrev_b32_e32 v19, 16, v4
	s_and_saveexec_b32 s0, vcc_lo
	s_cbranch_execz .LBB76_47
; %bb.63:                               ;   in Loop: Header=BB76_49 Depth=1
	v_cmp_gt_i32_e32 vcc_lo, s31, v31
	v_and_b32_e32 v31, 0xffff, v5
	v_and_b32_e32 v5, 0xffff0000, v5
	v_cndmask_b32_e32 v2, 0, v2, vcc_lo
	v_cmp_gt_i32_e32 vcc_lo, s31, v33
	v_cndmask_b32_e32 v3, 0, v3, vcc_lo
	v_cmp_gt_i32_e32 vcc_lo, s14, v34
	;; [unrolled: 2-line block ×6, first 2 shown]
	s_delay_alu instid0(VALU_DEP_2)
	v_dual_cndmask_b32 v4, 0, v4, vcc_lo :: v_dual_bitop2_b32 v5, v30, v5 bitop3:0x54
	v_cmp_gt_i32_e32 vcc_lo, s31, v27
	v_cndmask_b32_e32 v19, 0, v19, vcc_lo
	s_branch .LBB76_47
.LBB76_64:
	s_or_b32 exec_lo, exec_lo, s15
.LBB76_65:
	s_delay_alu instid0(SALU_CYCLE_1)
	s_or_b32 exec_lo, exec_lo, s1
	ds_bpermute_b32 v2, v22, v12
	ds_bpermute_b32 v3, v22, v13
	;; [unrolled: 1-line block ×6, first 2 shown]
	v_and_b32_e32 v15, 0x3c1, v0
	v_lshrrev_b32_e32 v1, 1, v21
	s_mov_b32 s0, exec_lo
	ds_bpermute_b32 v14, v22, v23
	s_wait_dscnt 0x0
	s_barrier_signal -1
	s_barrier_wait -1
	v_pk_add_f32 v[6:7], v[12:13], v[2:3]
	v_pk_add_f32 v[4:5], v[10:11], v[4:5]
	;; [unrolled: 1-line block ×3, first 2 shown]
	v_cmpx_ne_u32_e32 64, v15
	s_xor_b32 s0, exec_lo, s0
	s_delay_alu instid0(SALU_CYCLE_1)
	s_or_saveexec_b32 s0, s0
	v_add_f32_e32 v10, v23, v14
	v_lshl_add_u32 v8, v1, 2, 0x100
	v_mul_u32_u24_e32 v9, 0x1c0, v40
	s_xor_b32 exec_lo, exec_lo, s0
	s_cbranch_execz .LBB76_67
; %bb.66:
	s_delay_alu instid0(VALU_DEP_1) | instskip(NEXT) | instid1(VALU_DEP_1)
	v_add_nc_u32_e32 v11, v8, v9
	v_add_nc_u32_e32 v12, 0xfffffc80, v11
	v_add_nc_u32_e32 v13, 0xfffffcc0, v11
	v_add_nc_u32_e32 v14, 0xfffffd00, v11
	v_add_nc_u32_e32 v15, 0xfffffd40, v11
	v_add_nc_u32_e32 v16, 0xfffffd80, v11
	v_add_nc_u32_e32 v17, 0xfffffdc0, v11
	v_add_nc_u32_e32 v11, 0xfffffe00, v11
	ds_store_b32 v12, v6
	ds_store_b32 v13, v7
	;; [unrolled: 1-line block ×7, first 2 shown]
.LBB76_67:
	s_or_b32 exec_lo, exec_lo, s0
	v_lshlrev_b32_e32 v1, 2, v1
	s_mov_b32 s1, exec_lo
	v_cmp_eq_u32_e32 vcc_lo, 0, v39
	s_wait_dscnt 0x0
	s_barrier_signal -1
	v_add3_u32 v1, 0x100, v9, v1
	s_barrier_wait -1
	v_cmpx_gt_u32_e32 64, v0
	s_cbranch_execz .LBB76_77
; %bb.68:
	s_and_saveexec_b32 s0, vcc_lo
	s_cbranch_execnz .LBB76_92
; %bb.69:
	s_or_b32 exec_lo, exec_lo, s0
	s_and_saveexec_b32 s0, vcc_lo
	s_cbranch_execnz .LBB76_93
.LBB76_70:
	s_or_b32 exec_lo, exec_lo, s0
	s_and_saveexec_b32 s0, vcc_lo
	s_cbranch_execnz .LBB76_94
.LBB76_71:
	s_or_b32 exec_lo, exec_lo, s0
	s_and_saveexec_b32 s0, vcc_lo
	s_cbranch_execnz .LBB76_95
.LBB76_72:
	s_or_b32 exec_lo, exec_lo, s0
	s_and_saveexec_b32 s0, vcc_lo
	s_cbranch_execnz .LBB76_96
.LBB76_73:
	s_or_b32 exec_lo, exec_lo, s0
	s_and_saveexec_b32 s0, vcc_lo
	s_cbranch_execnz .LBB76_97
.LBB76_74:
	s_or_b32 exec_lo, exec_lo, s0
	s_and_saveexec_b32 s0, vcc_lo
	s_cbranch_execz .LBB76_76
.LBB76_75:
	ds_load_b32 v9, v1 offset:384
	s_wait_dscnt 0x0
	v_add_f32_e32 v10, v10, v9
.LBB76_76:
	s_or_b32 exec_lo, exec_lo, s0
.LBB76_77:
	s_delay_alu instid0(SALU_CYCLE_1) | instskip(SKIP_4) | instid1(VALU_DEP_1)
	s_or_b32 exec_lo, exec_lo, s1
	v_and_b32_e32 v9, 0x3e1, v0
	s_mov_b32 s1, exec_lo
	s_barrier_signal -1
	s_barrier_wait -1
	v_cmpx_eq_u32_e32 32, v9
	s_cbranch_execz .LBB76_79
; %bb.78:
	ds_store_2addr_b32 v8, v6, v7 offset1:16
	ds_store_2addr_b32 v8, v4, v5 offset0:32 offset1:48
	ds_store_2addr_b32 v8, v2, v3 offset0:64 offset1:80
	ds_store_b32 v8, v10 offset:384
.LBB76_79:
	s_or_b32 exec_lo, exec_lo, s1
	s_delay_alu instid0(SALU_CYCLE_1)
	s_mov_b32 s1, exec_lo
	s_wait_dscnt 0x0
	s_barrier_signal -1
	s_barrier_wait -1
	v_cmpx_gt_u32_e32 32, v0
	s_cbranch_execz .LBB76_89
; %bb.80:
	s_and_saveexec_b32 s0, vcc_lo
	s_cbranch_execnz .LBB76_98
; %bb.81:
	s_or_b32 exec_lo, exec_lo, s0
	s_and_saveexec_b32 s0, vcc_lo
	s_cbranch_execnz .LBB76_99
.LBB76_82:
	s_or_b32 exec_lo, exec_lo, s0
	s_and_saveexec_b32 s0, vcc_lo
	s_cbranch_execnz .LBB76_100
.LBB76_83:
	s_or_b32 exec_lo, exec_lo, s0
	s_and_saveexec_b32 s0, vcc_lo
	s_cbranch_execnz .LBB76_101
.LBB76_84:
	s_or_b32 exec_lo, exec_lo, s0
	s_and_saveexec_b32 s0, vcc_lo
	s_cbranch_execnz .LBB76_102
.LBB76_85:
	s_or_b32 exec_lo, exec_lo, s0
	s_and_saveexec_b32 s0, vcc_lo
	s_cbranch_execnz .LBB76_103
.LBB76_86:
	s_or_b32 exec_lo, exec_lo, s0
	s_and_saveexec_b32 s0, vcc_lo
	s_cbranch_execz .LBB76_88
.LBB76_87:
	ds_load_b32 v0, v1 offset:384
	s_wait_dscnt 0x0
	v_add_f32_e32 v10, v10, v0
.LBB76_88:
	s_or_b32 exec_lo, exec_lo, s0
.LBB76_89:
	s_delay_alu instid0(SALU_CYCLE_1)
	s_or_b32 exec_lo, exec_lo, s1
	s_mov_b32 s1, 0
	s_barrier_signal -1
	s_barrier_wait -1
	s_mov_b32 s0, exec_lo
	v_cmpx_eq_u32_e32 0, v9
	s_cbranch_execz .LBB76_91
; %bb.90:
	s_mul_i32 s0, s30, s7
	s_mul_i32 s2, s7, s6
	;; [unrolled: 1-line block ×3, first 2 shown]
	s_lshr_b32 s8, ttmp7, 16
	s_mul_i32 s6, s0, 0x70
	s_bfe_u32 s0, ttmp6, 0x40014
	s_ashr_i32 s7, s6, 31
	s_add_co_i32 s0, s0, 1
	s_ashr_i32 s3, s2, 31
	s_mul_i32 s0, s8, s0
	s_bfe_u32 s9, ttmp6, 0x40008
	s_lshl_b64 s[6:7], s[6:7], 1
	s_lshl_b64 s[2:3], s[2:3], 1
	s_add_co_i32 s9, s9, s0
	s_cmp_eq_u32 s28, 0
	s_wait_kmcnt 0x0
	s_add_nc_u64 s[4:5], s[4:5], s[6:7]
	s_cselect_b32 s0, s8, s9
	s_add_nc_u64 s[2:3], s[4:5], s[2:3]
	s_mulk_i32 s0, 0xe0
	;;#ASMSTART
	v_cvt_f16_f32 v0, v6;

	;;#ASMEND
	s_add_nc_u64 s[0:1], s[2:3], s[0:1]
	global_store_b16 v38, v0, s[0:1] scale_offset
	s_wait_xcnt 0x0
	;;#ASMSTART
	v_cvt_f16_f32 v0, v7;

	;;#ASMEND
	global_store_b16 v38, v0, s[0:1] offset:32 scale_offset
	s_wait_xcnt 0x0
	;;#ASMSTART
	v_cvt_f16_f32 v0, v4;

	;;#ASMEND
	global_store_b16 v38, v0, s[0:1] offset:64 scale_offset
	;; [unrolled: 6-line block ×6, first 2 shown]
.LBB76_91:
	s_sendmsg sendmsg(MSG_DEALLOC_VGPRS)
	s_endpgm
.LBB76_92:
	ds_load_b32 v9, v1
	s_wait_dscnt 0x0
	v_add_f32_e32 v6, v6, v9
	s_or_b32 exec_lo, exec_lo, s0
	s_and_saveexec_b32 s0, vcc_lo
	s_cbranch_execz .LBB76_70
.LBB76_93:
	ds_load_b32 v9, v1 offset:64
	s_wait_dscnt 0x0
	v_add_f32_e32 v7, v7, v9
	s_or_b32 exec_lo, exec_lo, s0
	s_and_saveexec_b32 s0, vcc_lo
	s_cbranch_execz .LBB76_71
.LBB76_94:
	ds_load_b32 v9, v1 offset:128
	s_wait_dscnt 0x0
	v_add_f32_e32 v4, v4, v9
	s_or_b32 exec_lo, exec_lo, s0
	s_and_saveexec_b32 s0, vcc_lo
	s_cbranch_execz .LBB76_72
.LBB76_95:
	ds_load_b32 v9, v1 offset:192
	s_wait_dscnt 0x0
	v_add_f32_e32 v5, v5, v9
	s_or_b32 exec_lo, exec_lo, s0
	s_and_saveexec_b32 s0, vcc_lo
	s_cbranch_execz .LBB76_73
.LBB76_96:
	ds_load_b32 v9, v1 offset:256
	s_wait_dscnt 0x0
	v_add_f32_e32 v2, v2, v9
	s_or_b32 exec_lo, exec_lo, s0
	s_and_saveexec_b32 s0, vcc_lo
	s_cbranch_execz .LBB76_74
.LBB76_97:
	ds_load_b32 v9, v1 offset:320
	s_wait_dscnt 0x0
	v_add_f32_e32 v3, v3, v9
	s_or_b32 exec_lo, exec_lo, s0
	s_and_saveexec_b32 s0, vcc_lo
	s_cbranch_execnz .LBB76_75
	s_branch .LBB76_76
.LBB76_98:
	ds_load_b32 v0, v1
	s_wait_dscnt 0x0
	v_add_f32_e32 v6, v6, v0
	s_or_b32 exec_lo, exec_lo, s0
	s_and_saveexec_b32 s0, vcc_lo
	s_cbranch_execz .LBB76_82
.LBB76_99:
	ds_load_b32 v0, v1 offset:64
	s_wait_dscnt 0x0
	v_add_f32_e32 v7, v7, v0
	s_or_b32 exec_lo, exec_lo, s0
	s_and_saveexec_b32 s0, vcc_lo
	s_cbranch_execz .LBB76_83
.LBB76_100:
	ds_load_b32 v0, v1 offset:128
	s_wait_dscnt 0x0
	v_add_f32_e32 v4, v4, v0
	s_or_b32 exec_lo, exec_lo, s0
	s_and_saveexec_b32 s0, vcc_lo
	s_cbranch_execz .LBB76_84
.LBB76_101:
	ds_load_b32 v0, v1 offset:192
	s_wait_dscnt 0x0
	v_add_f32_e32 v5, v5, v0
	s_or_b32 exec_lo, exec_lo, s0
	s_and_saveexec_b32 s0, vcc_lo
	s_cbranch_execz .LBB76_85
.LBB76_102:
	ds_load_b32 v0, v1 offset:256
	s_wait_dscnt 0x0
	v_add_f32_e32 v2, v2, v0
	s_or_b32 exec_lo, exec_lo, s0
	s_and_saveexec_b32 s0, vcc_lo
	s_cbranch_execz .LBB76_86
.LBB76_103:
	ds_load_b32 v0, v1 offset:320
	s_wait_dscnt 0x0
	v_add_f32_e32 v3, v3, v0
	s_or_b32 exec_lo, exec_lo, s0
	s_and_saveexec_b32 s0, vcc_lo
	s_cbranch_execnz .LBB76_87
	s_branch .LBB76_88
	.section	.rodata,"a",@progbits
	.p2align	6, 0x0
	.amdhsa_kernel _ZN4vllm25paged_attention_v1_kernelIttLi112ELi16ELi128ELNS_18Fp8KVCacheDataTypeE0ELb1EEEvPT_PKS2_PKT0_S8_ifPKiSA_iPKfiiiSC_SC_iiiii
		.amdhsa_group_segment_fixed_size 256
		.amdhsa_private_segment_fixed_size 0
		.amdhsa_kernarg_size 384
		.amdhsa_user_sgpr_count 2
		.amdhsa_user_sgpr_dispatch_ptr 0
		.amdhsa_user_sgpr_queue_ptr 0
		.amdhsa_user_sgpr_kernarg_segment_ptr 1
		.amdhsa_user_sgpr_dispatch_id 0
		.amdhsa_user_sgpr_kernarg_preload_length 0
		.amdhsa_user_sgpr_kernarg_preload_offset 0
		.amdhsa_user_sgpr_private_segment_size 0
		.amdhsa_wavefront_size32 1
		.amdhsa_uses_dynamic_stack 0
		.amdhsa_enable_private_segment 0
		.amdhsa_system_sgpr_workgroup_id_x 1
		.amdhsa_system_sgpr_workgroup_id_y 1
		.amdhsa_system_sgpr_workgroup_id_z 1
		.amdhsa_system_sgpr_workgroup_info 0
		.amdhsa_system_vgpr_workitem_id 0
		.amdhsa_next_free_vgpr 94
		.amdhsa_next_free_sgpr 40
		.amdhsa_named_barrier_count 0
		.amdhsa_reserve_vcc 1
		.amdhsa_float_round_mode_32 0
		.amdhsa_float_round_mode_16_64 0
		.amdhsa_float_denorm_mode_32 3
		.amdhsa_float_denorm_mode_16_64 3
		.amdhsa_fp16_overflow 0
		.amdhsa_memory_ordered 1
		.amdhsa_forward_progress 1
		.amdhsa_inst_pref_size 66
		.amdhsa_round_robin_scheduling 0
		.amdhsa_exception_fp_ieee_invalid_op 0
		.amdhsa_exception_fp_denorm_src 0
		.amdhsa_exception_fp_ieee_div_zero 0
		.amdhsa_exception_fp_ieee_overflow 0
		.amdhsa_exception_fp_ieee_underflow 0
		.amdhsa_exception_fp_ieee_inexact 0
		.amdhsa_exception_int_div_zero 0
	.end_amdhsa_kernel
	.section	.text._ZN4vllm25paged_attention_v1_kernelIttLi112ELi16ELi128ELNS_18Fp8KVCacheDataTypeE0ELb1EEEvPT_PKS2_PKT0_S8_ifPKiSA_iPKfiiiSC_SC_iiiii,"axG",@progbits,_ZN4vllm25paged_attention_v1_kernelIttLi112ELi16ELi128ELNS_18Fp8KVCacheDataTypeE0ELb1EEEvPT_PKS2_PKT0_S8_ifPKiSA_iPKfiiiSC_SC_iiiii,comdat
.Lfunc_end76:
	.size	_ZN4vllm25paged_attention_v1_kernelIttLi112ELi16ELi128ELNS_18Fp8KVCacheDataTypeE0ELb1EEEvPT_PKS2_PKT0_S8_ifPKiSA_iPKfiiiSC_SC_iiiii, .Lfunc_end76-_ZN4vllm25paged_attention_v1_kernelIttLi112ELi16ELi128ELNS_18Fp8KVCacheDataTypeE0ELb1EEEvPT_PKS2_PKT0_S8_ifPKiSA_iPKfiiiSC_SC_iiiii
                                        ; -- End function
	.set _ZN4vllm25paged_attention_v1_kernelIttLi112ELi16ELi128ELNS_18Fp8KVCacheDataTypeE0ELb1EEEvPT_PKS2_PKT0_S8_ifPKiSA_iPKfiiiSC_SC_iiiii.num_vgpr, 94
	.set _ZN4vllm25paged_attention_v1_kernelIttLi112ELi16ELi128ELNS_18Fp8KVCacheDataTypeE0ELb1EEEvPT_PKS2_PKT0_S8_ifPKiSA_iPKfiiiSC_SC_iiiii.num_agpr, 0
	.set _ZN4vllm25paged_attention_v1_kernelIttLi112ELi16ELi128ELNS_18Fp8KVCacheDataTypeE0ELb1EEEvPT_PKS2_PKT0_S8_ifPKiSA_iPKfiiiSC_SC_iiiii.numbered_sgpr, 40
	.set _ZN4vllm25paged_attention_v1_kernelIttLi112ELi16ELi128ELNS_18Fp8KVCacheDataTypeE0ELb1EEEvPT_PKS2_PKT0_S8_ifPKiSA_iPKfiiiSC_SC_iiiii.num_named_barrier, 0
	.set _ZN4vllm25paged_attention_v1_kernelIttLi112ELi16ELi128ELNS_18Fp8KVCacheDataTypeE0ELb1EEEvPT_PKS2_PKT0_S8_ifPKiSA_iPKfiiiSC_SC_iiiii.private_seg_size, 0
	.set _ZN4vllm25paged_attention_v1_kernelIttLi112ELi16ELi128ELNS_18Fp8KVCacheDataTypeE0ELb1EEEvPT_PKS2_PKT0_S8_ifPKiSA_iPKfiiiSC_SC_iiiii.uses_vcc, 1
	.set _ZN4vllm25paged_attention_v1_kernelIttLi112ELi16ELi128ELNS_18Fp8KVCacheDataTypeE0ELb1EEEvPT_PKS2_PKT0_S8_ifPKiSA_iPKfiiiSC_SC_iiiii.uses_flat_scratch, 0
	.set _ZN4vllm25paged_attention_v1_kernelIttLi112ELi16ELi128ELNS_18Fp8KVCacheDataTypeE0ELb1EEEvPT_PKS2_PKT0_S8_ifPKiSA_iPKfiiiSC_SC_iiiii.has_dyn_sized_stack, 0
	.set _ZN4vllm25paged_attention_v1_kernelIttLi112ELi16ELi128ELNS_18Fp8KVCacheDataTypeE0ELb1EEEvPT_PKS2_PKT0_S8_ifPKiSA_iPKfiiiSC_SC_iiiii.has_recursion, 0
	.set _ZN4vllm25paged_attention_v1_kernelIttLi112ELi16ELi128ELNS_18Fp8KVCacheDataTypeE0ELb1EEEvPT_PKS2_PKT0_S8_ifPKiSA_iPKfiiiSC_SC_iiiii.has_indirect_call, 0
	.section	.AMDGPU.csdata,"",@progbits
; Kernel info:
; codeLenInByte = 8428
; TotalNumSgprs: 42
; NumVgprs: 94
; ScratchSize: 0
; MemoryBound: 0
; FloatMode: 240
; IeeeMode: 1
; LDSByteSize: 256 bytes/workgroup (compile time only)
; SGPRBlocks: 0
; VGPRBlocks: 5
; NumSGPRsForWavesPerEU: 42
; NumVGPRsForWavesPerEU: 94
; NamedBarCnt: 0
; Occupancy: 10
; WaveLimiterHint : 1
; COMPUTE_PGM_RSRC2:SCRATCH_EN: 0
; COMPUTE_PGM_RSRC2:USER_SGPR: 2
; COMPUTE_PGM_RSRC2:TRAP_HANDLER: 0
; COMPUTE_PGM_RSRC2:TGID_X_EN: 1
; COMPUTE_PGM_RSRC2:TGID_Y_EN: 1
; COMPUTE_PGM_RSRC2:TGID_Z_EN: 1
; COMPUTE_PGM_RSRC2:TIDIG_COMP_CNT: 0
	.section	.text._ZN4vllm25paged_attention_v1_kernelIttLi120ELi16ELi128ELNS_18Fp8KVCacheDataTypeE0ELb1EEEvPT_PKS2_PKT0_S8_ifPKiSA_iPKfiiiSC_SC_iiiii,"axG",@progbits,_ZN4vllm25paged_attention_v1_kernelIttLi120ELi16ELi128ELNS_18Fp8KVCacheDataTypeE0ELb1EEEvPT_PKS2_PKT0_S8_ifPKiSA_iPKfiiiSC_SC_iiiii,comdat
	.protected	_ZN4vllm25paged_attention_v1_kernelIttLi120ELi16ELi128ELNS_18Fp8KVCacheDataTypeE0ELb1EEEvPT_PKS2_PKT0_S8_ifPKiSA_iPKfiiiSC_SC_iiiii ; -- Begin function _ZN4vllm25paged_attention_v1_kernelIttLi120ELi16ELi128ELNS_18Fp8KVCacheDataTypeE0ELb1EEEvPT_PKS2_PKT0_S8_ifPKiSA_iPKfiiiSC_SC_iiiii
	.globl	_ZN4vllm25paged_attention_v1_kernelIttLi120ELi16ELi128ELNS_18Fp8KVCacheDataTypeE0ELb1EEEvPT_PKS2_PKT0_S8_ifPKiSA_iPKfiiiSC_SC_iiiii
	.p2align	8
	.type	_ZN4vllm25paged_attention_v1_kernelIttLi120ELi16ELi128ELNS_18Fp8KVCacheDataTypeE0ELb1EEEvPT_PKS2_PKT0_S8_ifPKiSA_iPKfiiiSC_SC_iiiii,@function
_ZN4vllm25paged_attention_v1_kernelIttLi120ELi16ELi128ELNS_18Fp8KVCacheDataTypeE0ELb1EEEvPT_PKS2_PKT0_S8_ifPKiSA_iPKfiiiSC_SC_iiiii: ; @_ZN4vllm25paged_attention_v1_kernelIttLi120ELi16ELi128ELNS_18Fp8KVCacheDataTypeE0ELb1EEEvPT_PKS2_PKT0_S8_ifPKiSA_iPKfiiiSC_SC_iiiii
; %bb.0:
	s_load_b64 s[22:23], s[0:1], 0x20
	s_bfe_u32 s3, ttmp6, 0x4000c
	s_bfe_u32 s4, ttmp6, 0x40010
	s_and_b32 s6, ttmp7, 0xffff
	s_add_co_i32 s3, s3, 1
	s_add_co_i32 s4, s4, 1
	s_and_b32 s2, ttmp6, 15
	s_bfe_u32 s5, ttmp6, 0x40004
	s_mul_i32 s3, ttmp9, s3
	s_mul_i32 s4, s6, s4
	s_getreg_b32 s28, hwreg(HW_REG_IB_STS2, 6, 4)
	s_add_co_i32 s2, s2, s3
	s_add_co_i32 s3, s5, s4
	s_cmp_eq_u32 s28, 0
	s_clause 0x1
	s_load_b32 s29, s[0:1], 0x80
	s_load_b64 s[4:5], s[0:1], 0x30
	s_cselect_b32 s30, s6, s3
	s_cselect_b32 s2, ttmp9, s2
	s_mov_b32 s17, 0
	s_delay_alu instid0(SALU_CYCLE_1) | instskip(SKIP_2) | instid1(SALU_CYCLE_1)
	s_mov_b32 s36, s17
	s_wait_kmcnt 0x0
	s_abs_i32 s3, s22
	s_cvt_f32_u32 s6, s3
	s_sub_co_i32 s7, 0, s3
	s_delay_alu instid0(SALU_CYCLE_2) | instskip(SKIP_2) | instid1(TRANS32_DEP_1)
	v_rcp_iflag_f32_e32 v1, s6
	s_abs_i32 s8, s29
	v_nop
	v_readfirstlane_b32 s6, v1
	s_mul_f32 s6, s6, 0x4f7ffffe
	s_delay_alu instid0(SALU_CYCLE_3) | instskip(NEXT) | instid1(SALU_CYCLE_3)
	s_cvt_u32_f32 s6, s6
	s_mul_i32 s7, s7, s6
	s_delay_alu instid0(SALU_CYCLE_1) | instskip(NEXT) | instid1(SALU_CYCLE_1)
	s_mul_hi_u32 s7, s6, s7
	s_add_co_i32 s6, s6, s7
	s_xor_b32 s7, s29, s22
	s_mul_hi_u32 s6, s8, s6
	s_ashr_i32 s7, s7, 31
	s_mul_i32 s9, s6, s3
	s_delay_alu instid0(SALU_CYCLE_1)
	s_sub_co_i32 s8, s8, s9
	s_add_co_i32 s9, s6, 1
	s_sub_co_i32 s10, s8, s3
	s_cmp_ge_u32 s8, s3
	s_cselect_b32 s6, s9, s6
	s_cselect_b32 s8, s10, s8
	s_add_co_i32 s9, s6, 1
	s_cmp_ge_u32 s8, s3
	s_cselect_b32 s3, s9, s6
	s_load_b64 s[8:9], s[0:1], 0x40
	s_xor_b32 s3, s3, s7
	s_abs_i32 s16, s2
	s_sub_co_i32 s10, s3, s7
	s_mov_b32 s7, s17
	s_abs_i32 s15, s10
	s_delay_alu instid0(SALU_CYCLE_1) | instskip(SKIP_1) | instid1(SALU_CYCLE_2)
	s_cvt_f32_u32 s3, s15
	s_sub_co_i32 s6, 0, s15
	v_rcp_iflag_f32_e32 v1, s3
	v_nop
	s_delay_alu instid0(TRANS32_DEP_1) | instskip(SKIP_1) | instid1(SALU_CYCLE_3)
	v_readfirstlane_b32 s3, v1
	s_mul_f32 s3, s3, 0x4f7ffffe
	s_cvt_u32_f32 s3, s3
	s_delay_alu instid0(SALU_CYCLE_3) | instskip(NEXT) | instid1(SALU_CYCLE_1)
	s_mul_i32 s6, s6, s3
	s_mul_hi_u32 s6, s3, s6
	s_delay_alu instid0(SALU_CYCLE_1)
	s_add_co_i32 s6, s3, s6
	s_wait_kmcnt 0x0
	s_cmp_eq_u64 s[8:9], 0
	s_cbranch_scc1 .LBB77_2
; %bb.1:
	s_ashr_i32 s3, s2, 31
	s_delay_alu instid0(SALU_CYCLE_1) | instskip(NEXT) | instid1(SALU_CYCLE_1)
	s_lshl_b64 s[12:13], s[2:3], 2
	s_add_nc_u64 s[8:9], s[8:9], s[12:13]
	s_load_b32 s36, s[8:9], 0x0
.LBB77_2:
	s_load_b32 s31, s[4:5], s30 offset:0x0 scale_offset
	s_load_b96 s[12:14], s[0:1], 0x48
	v_dual_lshrrev_b32 v40, 1, v0 :: v_dual_bitop2_b32 v41, 1, v0 bitop3:0x40
	s_wait_xcnt 0x0
	s_mul_u64 s[4:5], s[16:17], s[6:7]
	s_ashr_i32 s3, s2, 31
	s_ashr_i32 s18, s10, 31
	s_mul_i32 s6, s2, 0x78
	s_mov_b32 s4, exec_lo
	v_cmpx_gt_u32_e32 30, v0
	s_cbranch_execz .LBB77_4
; %bb.3:
	s_load_b64 s[8:9], s[0:1], 0x8
	s_wait_kmcnt 0x0
	s_mul_i32 s10, s12, s30
	s_ashr_i32 s7, s6, 31
	s_ashr_i32 s11, s10, 31
	v_lshlrev_b32_e32 v1, 3, v40
	s_lshl_b64 s[10:11], s[10:11], 1
	s_delay_alu instid0(VALU_DEP_1) | instskip(SKIP_2) | instid1(SALU_CYCLE_1)
	v_mad_u32_u24 v1, 0x78, v41, v1
	s_add_nc_u64 s[8:9], s[8:9], s[10:11]
	s_lshl_b64 s[10:11], s[6:7], 1
	s_add_nc_u64 s[8:9], s[8:9], s[10:11]
	global_load_b64 v[2:3], v0, s[8:9] scale_offset
	s_wait_loadcnt 0x0
	ds_store_b64 v1, v[2:3]
.LBB77_4:
	s_or_b32 exec_lo, exec_lo, s4
	s_load_b128 s[8:11], s[0:1], 0x68
	s_mul_i32 s4, s5, s15
	s_xor_b32 s3, s3, s18
	s_sub_co_i32 s4, s16, s4
	s_add_co_i32 s7, s5, 1
	s_wait_kmcnt 0x0
	s_sub_co_i32 s12, s4, s15
	s_cmp_ge_u32 s4, s15
	s_mov_b32 s18, -1
	s_cselect_b32 s5, s7, s5
	s_cselect_b32 s4, s12, s4
	s_add_co_i32 s12, s5, 1
	s_cmp_ge_u32 s4, s15
	s_load_b32 s7, s[0:1], 0x78
	s_cselect_b32 s4, s12, s5
	s_add_co_i32 s15, s31, -1
	s_xor_b32 s4, s4, s3
	s_wait_dscnt 0x0
	s_sub_co_i32 s3, s4, s3
	s_barrier_signal -1
	s_barrier_wait -1
	s_abs_i32 s12, s11
	s_delay_alu instid0(SALU_CYCLE_1) | instskip(NEXT) | instid1(SALU_CYCLE_3)
	s_cvt_f32_u32 s5, s12
                                        ; implicit-def: $sgpr33
	v_rcp_iflag_f32_e32 v1, s5
	v_nop
	s_delay_alu instid0(TRANS32_DEP_1) | instskip(SKIP_1) | instid1(SALU_CYCLE_3)
	v_readfirstlane_b32 s5, v1
	s_mul_f32 s4, s5, 0x4f7ffffe
	s_cvt_u32_f32 s16, s4
	s_sub_co_i32 s4, 0, s12
	s_delay_alu instid0(SALU_CYCLE_2)
	s_mul_i32 s5, s4, s16
	s_abs_i32 s4, s15
	s_mul_hi_u32 s17, s16, s5
	s_mov_b32 s5, 0
	s_add_co_i32 s16, s16, s17
	s_wait_kmcnt 0x0
	s_cmp_lt_i32 s7, 0
	s_mov_b32 s17, s5
	s_cbranch_scc0 .LBB77_6
; %bb.5:
	s_mul_i32 s18, s8, s22
	s_delay_alu instid0(SALU_CYCLE_1) | instskip(NEXT) | instid1(SALU_CYCLE_1)
	s_add_co_i32 s18, s3, s18
	s_mul_i32 s18, s18, s7
	s_delay_alu instid0(SALU_CYCLE_1)
	s_sub_co_i32 s33, 1, s18
	s_mov_b32 s18, s5
.LBB77_6:
	s_ashr_i32 s15, s15, 31
	s_ashr_i32 s34, s11, 31
	s_and_not1_b32 vcc_lo, exec_lo, s18
	s_mul_u64 s[24:25], s[4:5], s[16:17]
	s_cbranch_vccnz .LBB77_8
; %bb.7:
	s_mul_i32 s5, s29, s8
	s_delay_alu instid0(SALU_CYCLE_1) | instskip(NEXT) | instid1(SALU_CYCLE_1)
	s_add_co_i32 s2, s5, s2
	s_mul_i32 s2, s2, s7
	s_delay_alu instid0(SALU_CYCLE_1)
	s_add_co_i32 s33, s2, 1
.LBB77_8:
	s_load_b32 s2, s[0:1], 0x38
	s_mul_i32 s7, s25, s12
	s_xor_b32 s5, s15, s34
	s_sub_co_i32 s4, s4, s7
	s_add_co_i32 s8, s25, 1
	s_clause 0x1
	s_load_b64 s[18:19], s[0:1], 0x28
	s_load_b32 s7, s[0:1], 0x88
	v_dual_lshrrev_b32 v42, 5, v0 :: v_dual_lshlrev_b32 v7, 3, v0
	v_dual_mov_b32 v46, 0xff7fffff :: v_dual_lshrrev_b32 v1, 3, v0
	v_mbcnt_lo_u32_b32 v43, -1, 0
	s_delay_alu instid0(VALU_DEP_3)
	v_lshlrev_b32_e32 v6, 4, v42
	s_mul_i32 s14, s3, s14
	s_mov_b32 s11, exec_lo
	s_wait_kmcnt 0x0
	s_mul_i32 s20, s2, s30
	s_sub_co_i32 s2, s4, s12
	s_ashr_i32 s21, s20, 31
	s_cmp_ge_u32 s4, s12
	s_cselect_b32 s8, s8, s25
	s_cselect_b32 s2, s2, s4
	s_add_co_i32 s4, s8, 1
	s_cmp_ge_u32 s2, s12
	s_cselect_b32 s2, s4, s8
	s_add_co_i32 s4, s31, 15
	s_delay_alu instid0(SALU_CYCLE_1) | instskip(NEXT) | instid1(SALU_CYCLE_1)
	s_ashr_i32 s8, s4, 31
	s_lshr_b32 s8, s8, 28
	s_delay_alu instid0(SALU_CYCLE_1) | instskip(NEXT) | instid1(SALU_CYCLE_1)
	s_add_co_i32 s4, s4, s8
	s_ashr_i32 s35, s4, 4
	s_xor_b32 s4, s2, s5
	v_cmp_le_i32_e64 s2, s35, v42
	s_sub_co_i32 s8, s4, s5
	v_cmpx_gt_i32_e64 s35, v42
	s_cbranch_execz .LBB77_20
; %bb.9:
	s_load_b64 s[4:5], s[0:1], 0x10
	s_ashr_i32 s15, s14, 31
	s_sub_co_i32 s22, s8, s9
	s_ashr_i32 s25, s13, 31
	s_lshl_b64 s[38:39], s[14:15], 1
	s_cmp_neq_f32 s36, 0
	v_bfe_u32 v44, v0, 1, 4
	v_mov_b32_e32 v3, 0
	v_mul_u32_u24_e32 v45, 0x78, v41
	s_cselect_b32 vcc_lo, -1, 0
	s_abs_i32 s15, s10
	v_lshlrev_b32_e32 v2, 4, v44
	s_cvt_f32_u32 s3, s15
	v_lshlrev_b32_e32 v9, 2, v44
	v_subrev_nc_u32_e32 v8, s31, v44
	s_sub_co_i32 s26, 0, s15
	v_rcp_iflag_f32_e32 v4, s3
	v_cmp_eq_u32_e64 s3, 0, v41
	v_dual_mov_b32 v49, 0xff7fffff :: v_dual_mov_b32 v46, 0xff7fffff
	s_wait_kmcnt 0x0
	s_add_nc_u64 s[4:5], s[4:5], s[38:39]
	v_dual_add_nc_u32 v47, 1, v8 :: v_dual_bitop2_b32 v50, 1, v43 bitop3:0x14
	s_delay_alu instid0(TRANS32_DEP_1)
	v_readfirstlane_b32 s24, v4
	v_add_nc_u64_e32 v[4:5], s[4:5], v[2:3]
	v_and_b32_e32 v2, 8, v7
	v_lshl_or_b32 v9, v42, 6, v9
	s_lshl_b64 s[4:5], s[20:21], 2
	s_mul_f32 s24, s24, 0x4f7ffffe
	s_add_nc_u64 s[4:5], s[18:19], s[4:5]
	s_delay_alu instid0(VALU_DEP_1)
	v_dual_mov_b32 v51, v42 :: v_dual_add_nc_u32 v48, 0x110, v9
	v_add_nc_u64_e32 v[4:5], v[4:5], v[2:3]
	v_and_b32_e32 v2, 0x7c, v1
	s_cvt_u32_f32 s37, s24
	s_mov_b32 s27, 0
	s_mov_b32 s24, s13
	s_delay_alu instid0(VALU_DEP_1) | instskip(SKIP_3) | instid1(SALU_CYCLE_1)
	v_add_nc_u64_e32 v[8:9], s[4:5], v[2:3]
	s_mul_i32 s26, s26, s37
	v_lshlrev_b32_e32 v2, 4, v42
	s_mul_hi_u32 s4, s37, s26
	s_add_co_i32 s26, s37, s4
	s_mov_b32 s37, s27
	s_branch .LBB77_12
.LBB77_10:                              ;   in Loop: Header=BB77_12 Depth=1
	s_or_b32 exec_lo, exec_lo, s38
.LBB77_11:                              ;   in Loop: Header=BB77_12 Depth=1
	s_delay_alu instid0(SALU_CYCLE_1) | instskip(SKIP_3) | instid1(VALU_DEP_3)
	s_or_b32 exec_lo, exec_lo, s5
	v_dual_add_nc_u32 v51, 4, v51 :: v_dual_add_nc_u32 v2, 64, v2
	v_add_nc_u64_e32 v[8:9], 16, v[8:9]
	v_add_nc_u32_e32 v48, 0x100, v48
	v_cmp_le_i32_e64 s4, s35, v51
	s_or_b32 s37, s4, s37
	s_delay_alu instid0(SALU_CYCLE_1)
	s_and_not1_b32 exec_lo, exec_lo, s37
	s_cbranch_execz .LBB77_19
.LBB77_12:                              ; =>This Inner Loop Header: Depth=1
	s_wait_dscnt 0x0
	v_mul_u64_e32 v[10:11], s[16:17], v[2:3]
	s_delay_alu instid0(VALU_DEP_1) | instskip(NEXT) | instid1(VALU_DEP_1)
	v_mul_lo_u32 v10, v11, s12
	v_dual_add_nc_u32 v12, 1, v11 :: v_dual_sub_nc_u32 v10, v2, v10
	s_delay_alu instid0(VALU_DEP_1) | instskip(SKIP_1) | instid1(VALU_DEP_1)
	v_subrev_nc_u32_e32 v13, s12, v10
	v_cmp_le_u32_e64 s4, s12, v10
	v_dual_cndmask_b32 v11, v11, v12, s4 :: v_dual_cndmask_b32 v10, v10, v13, s4
	s_delay_alu instid0(VALU_DEP_1) | instskip(NEXT) | instid1(VALU_DEP_2)
	v_add_nc_u32_e32 v12, 1, v11
	v_cmp_le_u32_e64 s4, s12, v10
	s_delay_alu instid0(VALU_DEP_1) | instskip(NEXT) | instid1(VALU_DEP_1)
	v_cndmask_b32_e64 v10, v11, v12, s4
	v_dual_mov_b32 v11, v3 :: v_dual_bitop2_b32 v10, s34, v10 bitop3:0x14
	s_delay_alu instid0(VALU_DEP_1) | instskip(NEXT) | instid1(VALU_DEP_1)
	v_subrev_nc_u32_e32 v14, s34, v10
	v_add_nc_u32_e32 v15, s33, v14
	v_cmp_ge_i32_e64 s5, s22, v14
	s_delay_alu instid0(VALU_DEP_2) | instskip(NEXT) | instid1(VALU_DEP_1)
	v_sub_nc_u32_e32 v10, 0, v15
	v_max_i32_e32 v10, v15, v10
	s_delay_alu instid0(VALU_DEP_1) | instskip(SKIP_1) | instid1(VALU_DEP_2)
	v_mul_u64_e32 v[12:13], s[26:27], v[10:11]
	v_ashrrev_i32_e32 v12, 31, v15
	v_mul_lo_u32 v11, v13, s15
	s_delay_alu instid0(VALU_DEP_1) | instskip(NEXT) | instid1(VALU_DEP_1)
	v_sub_nc_u32_e32 v10, v10, v11
	v_subrev_nc_u32_e32 v11, s15, v10
	v_cmp_le_u32_e64 s4, s15, v10
	s_delay_alu instid0(VALU_DEP_1) | instskip(NEXT) | instid1(VALU_DEP_1)
	v_cndmask_b32_e64 v10, v10, v11, s4
	v_subrev_nc_u32_e32 v11, s15, v10
	v_cmp_le_u32_e64 s4, s15, v10
	s_delay_alu instid0(VALU_DEP_1) | instskip(NEXT) | instid1(VALU_DEP_1)
	v_cndmask_b32_e64 v10, v10, v11, s4
	v_xor_b32_e32 v10, v10, v12
	s_delay_alu instid0(VALU_DEP_1) | instskip(NEXT) | instid1(VALU_DEP_1)
	v_sub_nc_u32_e32 v10, v10, v12
	v_cmp_ne_u32_e64 s4, 0, v10
	s_and_b32 s4, s4, s5
	s_delay_alu instid0(SALU_CYCLE_1) | instskip(NEXT) | instid1(SALU_CYCLE_1)
	s_and_saveexec_b32 s5, s4
	s_xor_b32 s4, exec_lo, s5
	s_cbranch_execz .LBB77_16
; %bb.13:                               ;   in Loop: Header=BB77_12 Depth=1
	s_and_saveexec_b32 s5, s3
; %bb.14:                               ;   in Loop: Header=BB77_12 Depth=1
	ds_store_b32 v48, v49
; %bb.15:                               ;   in Loop: Header=BB77_12 Depth=1
	s_or_b32 exec_lo, exec_lo, s5
.LBB77_16:                              ;   in Loop: Header=BB77_12 Depth=1
	s_and_not1_saveexec_b32 s5, s4
	s_cbranch_execz .LBB77_11
; %bb.17:                               ;   in Loop: Header=BB77_12 Depth=1
	global_load_b32 v10, v[8:9], off
	v_cmp_gt_i32_e64 s4, 32, v50
	s_wait_loadcnt 0x0
	v_ashrrev_i32_e32 v11, 31, v10
	s_delay_alu instid0(VALU_DEP_1) | instskip(NEXT) | instid1(VALU_DEP_1)
	v_mul_u64_e32 v[10:11], s[24:25], v[10:11]
	v_lshl_add_u64 v[36:37], v[10:11], 1, v[4:5]
	s_clause 0x9
	global_load_b64 v[52:53], v[36:37], off
	global_load_b64 v[38:39], v[36:37], off offset:256
	global_load_b64 v[34:35], v[36:37], off offset:512
	;; [unrolled: 1-line block ×9, first 2 shown]
	ds_load_b64 v[10:11], v45
	s_wait_dscnt 0x0
	v_and_b32_e32 v54, 0xffff, v10
	v_dual_lshrrev_b32 v55, 16, v10 :: v_dual_lshrrev_b32 v60, 16, v11
	v_and_b32_e32 v61, 0xffff, v11
	s_clause 0x4
	global_load_b64 v[20:21], v[36:37], off offset:2560
	global_load_b64 v[16:17], v[36:37], off offset:2816
	;; [unrolled: 1-line block ×5, first 2 shown]
	;;#ASMSTART
	v_cvt_f32_f16 v57, v54;
	;;#ASMEND
	;;#ASMSTART
	v_cvt_f32_f16 v56, v55;
	;;#ASMEND
	s_wait_loadcnt 0xe
	s_wait_xcnt 0x0
	v_and_b32_e32 v36, 0xffff, v52
	v_dual_lshrrev_b32 v37, 16, v52 :: v_dual_lshrrev_b32 v54, 16, v53
	v_and_b32_e32 v55, 0xffff, v53
	;;#ASMSTART
	v_cvt_f32_f16 v59, v36;
	;;#ASMEND
	;;#ASMSTART
	v_cvt_f32_f16 v58, v37;
	;;#ASMEND
	;; [unrolled: 3-line block ×5, first 2 shown]
	s_wait_loadcnt 0xd
	v_lshrrev_b32_e32 v60, 16, v38
	;;#ASMSTART
	v_cvt_f32_f16 v54, v54;
	;;#ASMEND
	ds_load_b64 v[36:37], v45 offset:8
	v_and_b32_e32 v38, 0xffff, v38
	v_lshrrev_b32_e32 v63, 16, v39
	v_and_b32_e32 v64, 0xffff, v39
	s_wait_loadcnt 0xc
	v_and_b32_e32 v69, 0xffff, v35
	s_wait_loadcnt 0xb
	v_dual_lshrrev_b32 v67, 16, v34 :: v_dual_lshrrev_b32 v72, 16, v32
	v_and_b32_e32 v32, 0xffff, v32
	s_wait_loadcnt 0xa
	v_lshrrev_b32_e32 v78, 16, v30
	v_and_b32_e32 v30, 0xffff, v30
	s_wait_loadcnt 0x9
	v_lshrrev_b32_e32 v84, 16, v28
	;; [unrolled: 3-line block ×3, first 2 shown]
	v_and_b32_e32 v24, 0xffff, v24
	s_wait_dscnt 0x0
	v_and_b32_e32 v61, 0xffff, v36
	v_lshrrev_b32_e32 v36, 16, v36
	v_and_b32_e32 v65, 0xffff, v37
	v_lshrrev_b32_e32 v66, 16, v37
	;;#ASMSTART
	v_cvt_f32_f16 v39, v61;
	;;#ASMEND
	;;#ASMSTART
	v_cvt_f32_f16 v37, v36;
	;;#ASMEND
	;; [unrolled: 3-line block ×8, first 2 shown]
	ds_load_b64 v[64:65], v45 offset:16
	v_and_b32_e32 v66, 0xffff, v34
	s_wait_dscnt 0x0
	v_dual_lshrrev_b32 v70, 16, v35 :: v_dual_lshrrev_b32 v68, 16, v64
	v_and_b32_e32 v34, 0xffff, v64
	v_and_b32_e32 v71, 0xffff, v65
	v_lshrrev_b32_e32 v65, 16, v65
	;;#ASMSTART
	v_cvt_f32_f16 v64, v34;
	;;#ASMEND
	;;#ASMSTART
	v_cvt_f32_f16 v34, v68;
	;;#ASMEND
	;; [unrolled: 3-line block ×8, first 2 shown]
	ds_load_b64 v[70:71], v45 offset:24
	v_lshrrev_b32_e32 v73, 16, v33
	v_and_b32_e32 v33, 0xffff, v33
	s_wait_dscnt 0x0
	v_and_b32_e32 v74, 0xffff, v70
	v_lshrrev_b32_e32 v70, 16, v70
	v_and_b32_e32 v75, 0xffff, v71
	v_lshrrev_b32_e32 v71, 16, v71
	;;#ASMSTART
	v_cvt_f32_f16 v74, v74;
	;;#ASMEND
	;;#ASMSTART
	v_cvt_f32_f16 v70, v70;
	;;#ASMEND
	;; [unrolled: 3-line block ×8, first 2 shown]
	ds_load_b64 v[32:33], v45 offset:32
	v_lshrrev_b32_e32 v79, 16, v31
	v_and_b32_e32 v31, 0xffff, v31
	s_wait_dscnt 0x0
	v_and_b32_e32 v80, 0xffff, v32
	v_lshrrev_b32_e32 v32, 16, v32
	v_and_b32_e32 v81, 0xffff, v33
	v_lshrrev_b32_e32 v33, 16, v33
	;;#ASMSTART
	v_cvt_f32_f16 v80, v80;
	;;#ASMEND
	;;#ASMSTART
	v_cvt_f32_f16 v32, v32;
	;;#ASMEND
	;; [unrolled: 3-line block ×8, first 2 shown]
	ds_load_b64 v[30:31], v45 offset:40
	v_lshrrev_b32_e32 v85, 16, v29
	v_and_b32_e32 v29, 0xffff, v29
	s_wait_dscnt 0x0
	v_and_b32_e32 v86, 0xffff, v30
	v_dual_lshrrev_b32 v30, 16, v30 :: v_dual_lshrrev_b32 v87, 16, v31
	v_and_b32_e32 v31, 0xffff, v31
	;;#ASMSTART
	v_cvt_f32_f16 v86, v86;
	;;#ASMEND
	;;#ASMSTART
	v_cvt_f32_f16 v88, v30;
	;;#ASMEND
	;; [unrolled: 3-line block ×8, first 2 shown]
	ds_load_b64 v[30:31], v45 offset:48
	v_lshrrev_b32_e32 v29, 16, v26
	v_mul_f32_e32 v28, v39, v62
	v_and_b32_e32 v39, 0xffff, v26
	v_dual_mul_f32 v26, v37, v60 :: v_dual_lshrrev_b32 v37, 16, v27
	v_and_b32_e32 v27, 0xffff, v27
	s_delay_alu instid0(VALU_DEP_2) | instskip(NEXT) | instid1(VALU_DEP_1)
	v_dual_fmac_f32 v28, v57, v59 :: v_dual_fmac_f32 v26, v56, v58
	v_fmac_f32_e32 v26, v34, v35
	s_delay_alu instid0(VALU_DEP_1)
	v_fmac_f32_e32 v26, v70, v72
	s_wait_dscnt 0x0
	v_and_b32_e32 v57, 0xffff, v30
	v_dual_lshrrev_b32 v30, 16, v30 :: v_dual_lshrrev_b32 v56, 16, v31
	v_and_b32_e32 v31, 0xffff, v31
	;;#ASMSTART
	v_cvt_f32_f16 v57, v57;
	;;#ASMEND
	;;#ASMSTART
	v_cvt_f32_f16 v58, v30;
	;;#ASMEND
	;; [unrolled: 3-line block ×8, first 2 shown]
	ds_load_b64 v[30:31], v45 offset:56
	v_dual_mul_f32 v27, v38, v61 :: v_dual_mul_f32 v29, v36, v63
	v_lshrrev_b32_e32 v36, 16, v25
	v_and_b32_e32 v25, 0xffff, v25
	s_wait_loadcnt 0x6
	s_delay_alu instid0(VALU_DEP_3)
	v_dual_lshrrev_b32 v61, 16, v22 :: v_dual_fmac_f32 v27, v53, v55
	v_dual_fmac_f32 v29, v52, v54 :: v_dual_lshrrev_b32 v63, 16, v23
	v_and_b32_e32 v22, 0xffff, v22
	v_and_b32_e32 v23, 0xffff, v23
	s_wait_loadcnt 0x5
	v_dual_fmac_f32 v27, v68, v69 :: v_dual_lshrrev_b32 v68, 16, v18
	v_fmac_f32_e32 v29, v65, v67
	v_and_b32_e32 v18, 0xffff, v18
	v_fmac_f32_e32 v26, v32, v78
	s_wait_dscnt 0x0
	v_and_b32_e32 v38, 0xffff, v30
	v_dual_lshrrev_b32 v30, 16, v30 :: v_dual_lshrrev_b32 v52, 16, v31
	v_and_b32_e32 v31, 0xffff, v31
	;;#ASMSTART
	v_cvt_f32_f16 v38, v38;
	;;#ASMEND
	;;#ASMSTART
	v_cvt_f32_f16 v30, v30;
	;;#ASMEND
	;; [unrolled: 3-line block ×8, first 2 shown]
	ds_load_b64 v[24:25], v45 offset:64
	v_fmac_f32_e32 v28, v64, v66
	s_wait_dscnt 0x0
	v_and_b32_e32 v34, 0xffff, v24
	v_dual_lshrrev_b32 v24, 16, v24 :: v_dual_lshrrev_b32 v35, 16, v25
	v_and_b32_e32 v25, 0xffff, v25
	;;#ASMSTART
	v_cvt_f32_f16 v34, v34;
	;;#ASMEND
	;;#ASMSTART
	v_cvt_f32_f16 v24, v24;
	;;#ASMEND
	;; [unrolled: 3-line block ×8, first 2 shown]
	ds_load_b64 v[22:23], v45 offset:72
	v_dual_fmac_f32 v28, v74, v76 :: v_dual_lshrrev_b32 v65, 16, v19
	v_and_b32_e32 v19, 0xffff, v19
	s_wait_loadcnt 0x4
	v_lshrrev_b32_e32 v74, 16, v20
	v_and_b32_e32 v20, 0xffff, v20
	s_wait_loadcnt 0x3
	v_dual_fmac_f32 v28, v80, v82 :: v_dual_lshrrev_b32 v80, 16, v16
	v_and_b32_e32 v16, 0xffff, v16
	s_wait_loadcnt 0x2
	v_lshrrev_b32_e32 v82, 16, v14
	v_and_b32_e32 v14, 0xffff, v14
	v_fmac_f32_e32 v28, v86, v89
	s_wait_dscnt 0x0
	v_and_b32_e32 v67, 0xffff, v22
	v_dual_lshrrev_b32 v22, 16, v22 :: v_dual_lshrrev_b32 v69, 16, v23
	v_and_b32_e32 v23, 0xffff, v23
	;;#ASMSTART
	v_cvt_f32_f16 v67, v67;
	;;#ASMEND
	;;#ASMSTART
	v_cvt_f32_f16 v22, v22;
	;;#ASMEND
	;;#ASMSTART
	v_cvt_f32_f16 v70, v18;
	;;#ASMEND
	;;#ASMSTART
	v_cvt_f32_f16 v68, v68;
	;;#ASMEND
	;;#ASMSTART
	v_cvt_f32_f16 v23, v23;
	;;#ASMEND
	;;#ASMSTART
	v_cvt_f32_f16 v69, v69;
	;;#ASMEND
	;;#ASMSTART
	v_cvt_f32_f16 v72, v19;
	;;#ASMEND
	;;#ASMSTART
	v_cvt_f32_f16 v65, v65;
	;;#ASMEND
	ds_load_b64 v[18:19], v45 offset:80
	v_fmac_f32_e32 v27, v75, v77
	v_lshrrev_b32_e32 v75, 16, v21
	v_and_b32_e32 v21, 0xffff, v21
	s_wait_dscnt 0x0
	v_dual_fmac_f32 v29, v71, v73 :: v_dual_lshrrev_b32 v73, 16, v19
	v_and_b32_e32 v71, 0xffff, v18
	v_lshrrev_b32_e32 v18, 16, v18
	v_and_b32_e32 v19, 0xffff, v19
	;;#ASMSTART
	v_cvt_f32_f16 v71, v71;
	;;#ASMEND
	;;#ASMSTART
	v_cvt_f32_f16 v76, v18;
	;;#ASMEND
	;; [unrolled: 3-line block ×8, first 2 shown]
	ds_load_b64 v[18:19], v45 offset:88
	v_dual_fmac_f32 v27, v81, v83 :: v_dual_lshrrev_b32 v32, 16, v17
	v_and_b32_e32 v17, 0xffff, v17
	v_fmac_f32_e32 v29, v33, v79
	v_lshrrev_b32_e32 v83, 16, v15
	v_and_b32_e32 v15, 0xffff, v15
	s_wait_loadcnt 0x1
	v_dual_fmac_f32 v27, v90, v91 :: v_dual_lshrrev_b32 v86, 16, v12
	v_dual_fmac_f32 v29, v87, v85 :: v_dual_fmac_f32 v28, v57, v39
	v_lshrrev_b32_e32 v39, 16, v13
	v_and_b32_e32 v12, 0xffff, v12
	s_delay_alu instid0(VALU_DEP_4) | instskip(SKIP_1) | instid1(VALU_DEP_2)
	v_fmac_f32_e32 v27, v60, v62
	v_and_b32_e32 v13, 0xffff, v13
	v_dual_fmac_f32 v28, v38, v53 :: v_dual_fmac_f32 v27, v31, v55
	s_wait_dscnt 0x0
	v_and_b32_e32 v78, 0xffff, v18
	v_dual_lshrrev_b32 v18, 16, v18 :: v_dual_lshrrev_b32 v33, 16, v19
	v_and_b32_e32 v19, 0xffff, v19
	;;#ASMSTART
	v_cvt_f32_f16 v78, v78;
	;;#ASMEND
	;;#ASMSTART
	v_cvt_f32_f16 v18, v18;
	;;#ASMEND
	;; [unrolled: 3-line block ×8, first 2 shown]
	ds_load_b64 v[16:17], v45 offset:96
	s_wait_dscnt 0x0
	v_dual_fmac_f32 v26, v88, v84 :: v_dual_lshrrev_b32 v88, 16, v17
	v_and_b32_e32 v84, 0xffff, v16
	v_lshrrev_b32_e32 v16, 16, v16
	v_and_b32_e32 v17, 0xffff, v17
	;;#ASMSTART
	v_cvt_f32_f16 v84, v84;
	;;#ASMEND
	;;#ASMSTART
	v_cvt_f32_f16 v16, v16;
	;;#ASMEND
	;; [unrolled: 3-line block ×8, first 2 shown]
	ds_load_b64 v[14:15], v45 offset:104
	v_dual_fmac_f32 v26, v58, v59 :: v_dual_fmac_f32 v29, v56, v37
	s_delay_alu instid0(VALU_DEP_1) | instskip(NEXT) | instid1(VALU_DEP_1)
	v_dual_fmac_f32 v26, v30, v54 :: v_dual_fmac_f32 v29, v52, v36
	v_dual_fmac_f32 v28, v34, v64 :: v_dual_fmac_f32 v26, v24, v61
	s_wait_loadcnt 0x0
	v_lshrrev_b32_e32 v24, 16, v10
	s_delay_alu instid0(VALU_DEP_3) | instskip(NEXT) | instid1(VALU_DEP_3)
	v_dual_fmac_f32 v27, v25, v66 :: v_dual_fmac_f32 v29, v35, v63
	v_dual_fmac_f32 v28, v67, v70 :: v_dual_fmac_f32 v26, v22, v68
	v_and_b32_e32 v10, 0xffff, v10
	s_delay_alu instid0(VALU_DEP_3)
	v_dual_fmac_f32 v27, v23, v72 :: v_dual_fmac_f32 v29, v69, v65
	s_wait_dscnt 0x0
	v_lshrrev_b32_e32 v23, 16, v15
	v_and_b32_e32 v22, 0xffff, v14
	v_lshrrev_b32_e32 v14, 16, v14
	v_and_b32_e32 v15, 0xffff, v15
	;;#ASMSTART
	v_cvt_f32_f16 v22, v22;
	;;#ASMEND
	;;#ASMSTART
	v_cvt_f32_f16 v14, v14;
	;;#ASMEND
	;; [unrolled: 3-line block ×8, first 2 shown]
	ds_load_b64 v[12:13], v45 offset:112
	v_dual_fmac_f32 v28, v71, v20 :: v_dual_fmac_f32 v26, v76, v74
	v_fmac_f32_e32 v27, v77, v21
	v_fmac_f32_e32 v29, v73, v75
	s_delay_alu instid0(VALU_DEP_3) | instskip(NEXT) | instid1(VALU_DEP_3)
	v_fmac_f32_e32 v28, v78, v79
	v_dual_fmac_f32 v26, v18, v80 :: v_dual_fmac_f32 v27, v19, v81
	s_delay_alu instid0(VALU_DEP_3) | instskip(NEXT) | instid1(VALU_DEP_3)
	v_dual_fmac_f32 v29, v33, v32 :: v_dual_lshrrev_b32 v18, 16, v11
	v_fmac_f32_e32 v28, v84, v89
	s_delay_alu instid0(VALU_DEP_3) | instskip(NEXT) | instid1(VALU_DEP_4)
	v_fmac_f32_e32 v26, v16, v82
	v_fmac_f32_e32 v27, v17, v90
	v_and_b32_e32 v11, 0xffff, v11
	s_delay_alu instid0(VALU_DEP_4) | instskip(NEXT) | instid1(VALU_DEP_3)
	v_dual_fmac_f32 v29, v88, v83 :: v_dual_fmac_f32 v28, v22, v25
	v_dual_fmac_f32 v26, v14, v30 :: v_dual_fmac_f32 v27, v15, v31
	s_wait_dscnt 0x0
	v_and_b32_e32 v14, 0xffff, v12
	s_delay_alu instid0(VALU_DEP_3)
	v_dual_fmac_f32 v29, v23, v34 :: v_dual_lshrrev_b32 v12, 16, v12
	;;#ASMSTART
	v_cvt_f32_f16 v14, v14;
	;;#ASMEND
	;;#ASMSTART
	v_cvt_f32_f16 v12, v12;
	;;#ASMEND
	;;#ASMSTART
	v_cvt_f32_f16 v10, v10;
	;;#ASMEND
	v_dual_fmac_f32 v28, v14, v10 :: v_dual_lshrrev_b32 v15, 16, v13
	v_and_b32_e32 v13, 0xffff, v13
	;;#ASMSTART
	v_cvt_f32_f16 v16, v24;
	;;#ASMEND
	;;#ASMSTART
	v_cvt_f32_f16 v10, v13;
	;;#ASMEND
	v_fmac_f32_e32 v26, v12, v16
	;;#ASMSTART
	v_cvt_f32_f16 v12, v15;
	;;#ASMEND
	;;#ASMSTART
	v_cvt_f32_f16 v11, v11;
	;;#ASMEND
	v_fmac_f32_e32 v27, v10, v11
	;;#ASMSTART
	v_cvt_f32_f16 v11, v18;
	;;#ASMEND
	v_dual_fmac_f32 v29, v12, v11 :: v_dual_cndmask_b32 v11, v43, v50, s4
	s_delay_alu instid0(VALU_DEP_1) | instskip(NEXT) | instid1(VALU_DEP_1)
	v_dual_add_f32 v10, v28, v26 :: v_dual_lshlrev_b32 v11, 2, v11
	v_add_f32_e32 v10, v10, v27
	s_delay_alu instid0(VALU_DEP_1)
	v_add_f32_e32 v10, v29, v10
	ds_bpermute_b32 v11, v11, v10
	s_and_saveexec_b32 s38, s3
	s_cbranch_execz .LBB77_10
; %bb.18:                               ;   in Loop: Header=BB77_12 Depth=1
	s_wait_dscnt 0x0
	v_dual_add_nc_u32 v12, v47, v2 :: v_dual_add_f32 v10, v10, v11
	s_delay_alu instid0(VALU_DEP_1) | instskip(NEXT) | instid1(VALU_DEP_1)
	v_cvt_f32_i32_e32 v12, v12
	v_mul_f32_e32 v12, s36, v12
	s_delay_alu instid0(VALU_DEP_1) | instskip(NEXT) | instid1(VALU_DEP_1)
	v_dual_cndmask_b32 v11, 0, v12 :: v_dual_max_num_f32 v12, v46, v46
	v_fmac_f32_e32 v11, s23, v10
	s_delay_alu instid0(VALU_DEP_1) | instskip(SKIP_1) | instid1(VALU_DEP_1)
	v_max_num_f32_e32 v12, v12, v11
	v_add_nc_u32_e32 v10, v44, v2
	v_cmp_gt_i32_e64 s4, s31, v10
	s_delay_alu instid0(VALU_DEP_1)
	v_dual_cndmask_b32 v10, 0, v11, s4 :: v_dual_cndmask_b32 v46, v46, v12, s4
	ds_store_b32 v48, v10
	s_branch .LBB77_10
.LBB77_19:
	s_or_b32 exec_lo, exec_lo, s37
.LBB77_20:
	s_delay_alu instid0(SALU_CYCLE_1)
	s_or_b32 exec_lo, exec_lo, s11
	v_dual_max_num_f32 v8, v46, v46 :: v_dual_bitop2_b32 v2, 16, v43 bitop3:0x14
	s_clause 0x1
	s_load_b64 s[4:5], s[0:1], 0x0
	s_load_b64 s[22:23], s[0:1], 0x18
	v_xor_b32_e32 v4, 8, v43
	v_xor_b32_e32 v9, 2, v43
	v_cmp_gt_i32_e32 vcc_lo, 32, v2
	v_cndmask_b32_e32 v2, v43, v2, vcc_lo
	s_delay_alu instid0(VALU_DEP_4) | instskip(NEXT) | instid1(VALU_DEP_2)
	v_cmp_gt_i32_e32 vcc_lo, 32, v4
	v_dual_cndmask_b32 v4, v43, v4 :: v_dual_lshlrev_b32 v3, 2, v2
	ds_bpermute_b32 v2, v3, v46
	s_wait_dscnt 0x0
	v_dual_max_num_f32 v2, v2, v2 :: v_dual_lshlrev_b32 v5, 2, v4
	s_delay_alu instid0(VALU_DEP_1) | instskip(SKIP_4) | instid1(VALU_DEP_2)
	v_dual_max_num_f32 v2, v8, v2 :: v_dual_bitop2_b32 v8, 4, v43 bitop3:0x14
	ds_bpermute_b32 v4, v5, v2
	v_cmp_gt_i32_e32 vcc_lo, 32, v8
	v_cndmask_b32_e32 v8, v43, v8, vcc_lo
	v_cmp_gt_i32_e32 vcc_lo, 32, v9
	v_dual_cndmask_b32 v9, v43, v9 :: v_dual_lshlrev_b32 v8, 2, v8
	s_wait_dscnt 0x0
	v_max_num_f32_e32 v4, v4, v4
	s_delay_alu instid0(VALU_DEP_1) | instskip(SKIP_3) | instid1(VALU_DEP_1)
	v_max_num_f32_e32 v2, v2, v4
	ds_bpermute_b32 v4, v8, v2
	s_wait_dscnt 0x0
	v_max_num_f32_e32 v4, v4, v4
	v_dual_max_num_f32 v10, v2, v4 :: v_dual_lshlrev_b32 v2, 2, v9
	v_dual_lshlrev_b32 v9, 2, v42 :: v_dual_bitop2_b32 v4, 31, v0 bitop3:0x40
	ds_bpermute_b32 v11, v2, v10
	v_cmp_eq_u32_e32 vcc_lo, 0, v4
	s_wait_xcnt 0x0
	s_and_saveexec_b32 s0, vcc_lo
	s_cbranch_execz .LBB77_22
; %bb.21:
	s_wait_dscnt 0x0
	v_dual_max_num_f32 v11, v11, v11 :: v_dual_max_num_f32 v10, v10, v10
	s_delay_alu instid0(VALU_DEP_1)
	v_max_num_f32_e32 v10, v10, v11
	ds_store_b32 v9, v10 offset:240
.LBB77_22:
	s_or_b32 exec_lo, exec_lo, s0
	v_cmp_gt_u32_e64 s0, 4, v4
	s_wait_dscnt 0x0
	v_dual_mov_b32 v11, 0xff7fffff :: v_dual_lshlrev_b32 v10, 2, v4
	s_barrier_signal -1
	s_barrier_wait -1
	s_and_saveexec_b32 s1, s0
; %bb.23:
	ds_load_b32 v11, v10 offset:240
; %bb.24:
	s_or_b32 exec_lo, exec_lo, s1
	s_wait_dscnt 0x0
	ds_bpermute_b32 v12, v2, v11
	s_wait_dscnt 0x0
	v_dual_max_num_f32 v12, v12, v12 :: v_dual_bitop2_b32 v13, 1, v43 bitop3:0x14
	s_delay_alu instid0(VALU_DEP_1) | instskip(NEXT) | instid1(VALU_DEP_1)
	v_cmp_gt_i32_e64 s1, 32, v13
	v_cndmask_b32_e64 v13, v43, v13, s1
	v_max_num_f32_e32 v11, v11, v11
	s_lshl_b32 s1, s35, 4
	s_delay_alu instid0(SALU_CYCLE_1) | instskip(NEXT) | instid1(VALU_DEP_1)
	s_min_i32 s11, s1, s31
	v_dual_max_num_f32 v11, v11, v12 :: v_dual_lshlrev_b32 v28, 2, v13
	v_cmp_gt_i32_e64 s1, s11, v0
	ds_bpermute_b32 v12, v28, v11
	s_wait_dscnt 0x0
	v_max_num_f32_e32 v12, v12, v12
	s_delay_alu instid0(VALU_DEP_1)
	v_dual_max_num_f32 v12, v11, v12 :: v_dual_mov_b32 v11, 0
	ds_bpermute_b32 v12, v11, v12
	s_and_saveexec_b32 s15, s1
	s_cbranch_execz .LBB77_28
; %bb.25:
	v_lshl_add_u32 v13, v0, 2, 0x110
	v_dual_mov_b32 v11, 0 :: v_dual_mov_b32 v14, v0
	s_mov_b32 s24, 0
.LBB77_26:                              ; =>This Inner Loop Header: Depth=1
	ds_load_b32 v15, v13
	v_add_nc_u32_e32 v14, 0x80, v14
	s_delay_alu instid0(VALU_DEP_1) | instskip(SKIP_3) | instid1(VALU_DEP_1)
	v_cmp_le_i32_e64 s3, s11, v14
	s_or_b32 s24, s3, s24
	s_wait_dscnt 0x0
	v_sub_f32_e32 v15, v15, v12
	v_mul_f32_e32 v15, 0x3fb8aa3b, v15
	s_delay_alu instid0(VALU_DEP_1)
	v_exp_f32_e32 v15, v15
	ds_store_b32 v13, v15
	v_nop
	v_add_f32_e32 v11, v11, v15
	v_add_nc_u32_e32 v13, 0x200, v13
	s_and_not1_b32 exec_lo, exec_lo, s24
	s_cbranch_execnz .LBB77_26
; %bb.27:
	s_or_b32 exec_lo, exec_lo, s24
.LBB77_28:
	s_delay_alu instid0(SALU_CYCLE_1)
	s_or_b32 exec_lo, exec_lo, s15
	ds_bpermute_b32 v3, v3, v11
	s_wait_dscnt 0x0
	v_add_f32_e32 v3, v11, v3
	ds_bpermute_b32 v5, v5, v3
	s_wait_dscnt 0x0
	v_add_f32_e32 v3, v3, v5
	;; [unrolled: 3-line block ×5, first 2 shown]
	s_and_saveexec_b32 s3, vcc_lo
; %bb.29:
	ds_store_b32 v9, v3 offset:256
; %bb.30:
	s_or_b32 exec_lo, exec_lo, s3
	s_wait_dscnt 0x0
	s_barrier_signal -1
	s_barrier_wait -1
	s_and_saveexec_b32 s3, s0
; %bb.31:
	ds_load_b32 v3, v10 offset:256
; %bb.32:
	s_or_b32 exec_lo, exec_lo, s3
	s_wait_dscnt 0x0
	ds_bpermute_b32 v2, v2, v3
	s_wait_dscnt 0x0
	v_add_f32_e32 v2, v3, v2
	ds_bpermute_b32 v3, v28, v2
	s_wait_dscnt 0x0
	v_dual_add_f32 v2, v2, v3 :: v_dual_mov_b32 v3, 0
	ds_bpermute_b32 v2, v3, v2
	s_and_saveexec_b32 s0, s1
	s_cbranch_execz .LBB77_45
; %bb.33:
	s_wait_dscnt 0x0
	v_add_f32_e32 v2, 0x358637bd, v2
	s_mov_b32 s3, -1
	s_mov_b32 s1, exec_lo
	s_delay_alu instid0(VALU_DEP_1) | instskip(SKIP_1) | instid1(VALU_DEP_2)
	v_div_scale_f32 v3, null, v2, v2, 1.0
	v_div_scale_f32 v9, vcc_lo, 1.0, v2, 1.0
	v_rcp_f32_e32 v8, v3
	v_nop
	s_delay_alu instid0(TRANS32_DEP_1) | instskip(NEXT) | instid1(VALU_DEP_1)
	v_fma_f32 v5, -v3, v8, 1.0
	v_fmac_f32_e32 v8, v5, v8
	s_delay_alu instid0(VALU_DEP_1) | instskip(NEXT) | instid1(VALU_DEP_1)
	v_mul_f32_e32 v10, v9, v8
	v_fma_f32 v5, -v3, v10, v9
	s_delay_alu instid0(VALU_DEP_1) | instskip(SKIP_1) | instid1(VALU_DEP_2)
	v_fmac_f32_e32 v10, v5, v8
	v_xad_u32 v5, v0, -1, s11
	v_fma_f32 v3, -v3, v10, v9
	s_delay_alu instid0(VALU_DEP_1) | instskip(NEXT) | instid1(VALU_DEP_1)
	v_div_fmas_f32 v3, v3, v8, v10
	v_div_fixup_f32 v2, v3, v2, 1.0
	v_mov_b32_e32 v3, v0
	v_cmpx_lt_u32_e32 0x7f, v5
	s_cbranch_execz .LBB77_42
; %bb.34:
	s_delay_alu instid0(VALU_DEP_3) | instskip(NEXT) | instid1(VALU_DEP_1)
	v_dual_lshrrev_b32 v5, 7, v5 :: v_dual_mov_b32 v3, v2
	v_dual_mov_b32 v11, 0 :: v_dual_add_nc_u32 v8, -1, v5
	s_delay_alu instid0(VALU_DEP_1) | instskip(SKIP_1) | instid1(VALU_DEP_2)
	v_lshrrev_b32_e32 v9, 1, v8
	v_cmp_lt_u32_e32 vcc_lo, 13, v8
	v_add_nc_u32_e32 v8, 1, v9
	s_and_saveexec_b32 s3, vcc_lo
	s_cbranch_execz .LBB77_38
; %bb.35:
	s_delay_alu instid0(VALU_DEP_1)
	v_and_b32_e32 v9, -8, v8
	v_lshl_add_u32 v10, v0, 2, 0x110
	s_mov_b32 s15, 0
	s_mov_b32 s24, 0
.LBB77_36:                              ; =>This Inner Loop Header: Depth=1
	ds_load_2addr_stride64_b32 v[12:13], v10 offset1:2
	ds_load_2addr_stride64_b32 v[14:15], v10 offset0:4 offset1:6
	ds_load_2addr_stride64_b32 v[16:17], v10 offset0:8 offset1:10
	;; [unrolled: 1-line block ×7, first 2 shown]
	s_add_co_i32 s24, s24, 16
	s_delay_alu instid0(SALU_CYCLE_1) | instskip(NEXT) | instid1(VALU_DEP_1)
	v_dual_add_nc_u32 v9, -8, v9 :: v_dual_mov_b32 v11, s24
	v_cmp_eq_u32_e32 vcc_lo, 0, v9
	s_or_b32 s15, vcc_lo, s15
	s_wait_dscnt 0x7
	v_pk_mul_f32 v[12:13], v[2:3], v[12:13]
	s_wait_dscnt 0x6
	v_pk_mul_f32 v[14:15], v[2:3], v[14:15]
	;; [unrolled: 2-line block ×8, first 2 shown]
	ds_store_2addr_stride64_b32 v10, v12, v13 offset1:2
	ds_store_2addr_stride64_b32 v10, v14, v15 offset0:4 offset1:6
	ds_store_2addr_stride64_b32 v10, v16, v17 offset0:8 offset1:10
	;; [unrolled: 1-line block ×7, first 2 shown]
	v_add_nc_u32_e32 v10, 0x2000, v10
	s_and_not1_b32 exec_lo, exec_lo, s15
	s_cbranch_execnz .LBB77_36
; %bb.37:
	s_or_b32 exec_lo, exec_lo, s15
.LBB77_38:
	s_delay_alu instid0(SALU_CYCLE_1) | instskip(NEXT) | instid1(VALU_DEP_1)
	s_or_b32 exec_lo, exec_lo, s3
	v_and_b32_e32 v8, 7, v8
	s_mov_b32 s15, 0
	s_mov_b32 s3, exec_lo
	s_delay_alu instid0(VALU_DEP_1)
	v_cmpx_ne_u32_e32 0, v8
	s_cbranch_execz .LBB77_41
; %bb.39:
	v_dual_lshlrev_b32 v9, 9, v11 :: v_dual_lshlrev_b32 v10, 2, v0
	s_delay_alu instid0(VALU_DEP_1)
	v_add3_u32 v9, v9, v10, 0x110
.LBB77_40:                              ; =>This Inner Loop Header: Depth=1
	ds_load_2addr_stride64_b32 v[10:11], v9 offset1:2
	v_add_nc_u32_e32 v8, -1, v8
	s_delay_alu instid0(VALU_DEP_1)
	v_cmp_eq_u32_e32 vcc_lo, 0, v8
	s_or_b32 s15, vcc_lo, s15
	s_wait_dscnt 0x0
	v_pk_mul_f32 v[10:11], v[2:3], v[10:11]
	ds_store_2addr_stride64_b32 v9, v10, v11 offset1:2
	v_add_nc_u32_e32 v9, 0x400, v9
	s_and_not1_b32 exec_lo, exec_lo, s15
	s_cbranch_execnz .LBB77_40
.LBB77_41:
	s_or_b32 exec_lo, exec_lo, s3
	v_add_nc_u32_e32 v3, 1, v5
	s_delay_alu instid0(VALU_DEP_1) | instskip(NEXT) | instid1(VALU_DEP_1)
	v_and_b32_e32 v5, 0x3fffffe, v3
	v_cmp_ne_u32_e32 vcc_lo, v3, v5
	v_lshl_add_u32 v3, v5, 7, v0
	s_or_not1_b32 s3, vcc_lo, exec_lo
.LBB77_42:
	s_or_b32 exec_lo, exec_lo, s1
	s_delay_alu instid0(SALU_CYCLE_1)
	s_and_b32 exec_lo, exec_lo, s3
	s_cbranch_execz .LBB77_45
; %bb.43:
	v_lshl_add_u32 v5, v3, 2, 0x110
	s_mov_b32 s1, 0
.LBB77_44:                              ; =>This Inner Loop Header: Depth=1
	ds_load_b32 v8, v5
	s_wait_dscnt 0x0
	v_dual_mul_f32 v8, v2, v8 :: v_dual_add_nc_u32 v3, 0x80, v3
	s_delay_alu instid0(VALU_DEP_1) | instskip(SKIP_3) | instid1(SALU_CYCLE_1)
	v_cmp_le_i32_e32 vcc_lo, s11, v3
	ds_store_b32 v5, v8
	v_add_nc_u32_e32 v5, 0x200, v5
	s_or_b32 s1, vcc_lo, s1
	s_and_not1_b32 exec_lo, exec_lo, s1
	s_cbranch_execnz .LBB77_44
.LBB77_45:
	s_or_b32 exec_lo, exec_lo, s0
	v_lshrrev_b32_e32 v27, 1, v4
	s_wait_dscnt 0x0
	s_barrier_signal -1
	s_barrier_wait -1
	s_and_saveexec_b32 s0, s2
	s_delay_alu instid0(SALU_CYCLE_1)
	s_xor_b32 s0, exec_lo, s0
; %bb.46:
	v_lshrrev_b32_e32 v27, 1, v4
                                        ; implicit-def: $vgpr6
                                        ; implicit-def: $vgpr7
                                        ; implicit-def: $vgpr1
; %bb.47:
	s_or_saveexec_b32 s24, s0
	v_dual_mov_b32 v9, 0 :: v_dual_mov_b32 v8, 0
	v_dual_mov_b32 v11, 0 :: v_dual_mov_b32 v10, 0
	;; [unrolled: 1-line block ×4, first 2 shown]
	s_xor_b32 exec_lo, exec_lo, s24
	s_cbranch_execz .LBB77_71
; %bb.48:
	s_abs_i32 s25, s10
	s_sub_co_i32 s26, s8, s9
	s_cvt_f32_u32 s0, s25
	v_dual_mov_b32 v7, 0 :: v_dual_bitop2_b32 v29, 8, v7 bitop3:0x40
	v_or_b32_e32 v5, 0x70, v27
	s_delay_alu instid0(SALU_CYCLE_1)
	v_rcp_iflag_f32_e32 v3, s0
	v_and_b32_e32 v2, 0x7c, v1
	v_lshlrev_b32_e32 v1, 5, v41
	s_lshl_b64 s[0:1], s[20:21], 2
	s_ashr_i32 s15, s14, 31
	v_lshl_or_b32 v4, v27, 4, v29
	v_lshl_or_b32 v8, v5, 4, v29
	v_readfirstlane_b32 s8, v3
	v_mov_b32_e32 v3, v7
	v_lshl_or_b32 v1, v42, 6, v1
	s_add_nc_u64 s[0:1], s[18:19], s[0:1]
	s_lshl_b64 s[10:11], s[14:15], 1
	s_mul_f32 s8, s8, 0x4f7ffffe
	s_sub_co_i32 s14, 0, s25
	v_add_nc_u64_e32 v[16:17], s[0:1], v[2:3]
	v_dual_mov_b32 v31, v42 :: v_dual_add_nc_u32 v30, 0x110, v1
	s_cvt_u32_f32 s8, s8
	v_dual_lshlrev_b32 v18, 1, v4 :: v_dual_mov_b32 v14, v7
	v_dual_mov_b32 v15, v7 :: v_dual_lshlrev_b32 v20, 1, v8
	s_delay_alu instid0(SALU_CYCLE_1)
	s_mul_i32 s14, s14, s8
	v_dual_mov_b32 v12, v7 :: v_dual_mov_b32 v13, v7
	v_dual_mov_b32 v10, v7 :: v_dual_mov_b32 v11, v7
	;; [unrolled: 1-line block ×3, first 2 shown]
	s_mov_b32 s9, 0
	s_mul_hi_u32 s15, s8, s14
	s_ashr_i32 s3, s13, 31
	s_mov_b32 s2, s13
	s_add_co_i32 s13, s35, -1
	s_wait_kmcnt 0x0
	s_add_nc_u64 s[10:11], s[22:23], s[10:11]
	s_mov_b32 s14, s31
	s_add_co_i32 s8, s8, s15
	s_mov_b32 s15, s9
	v_cmp_gt_u32_e32 vcc_lo, 0x78, v5
	s_branch .LBB77_52
.LBB77_49:                              ;   in Loop: Header=BB77_52 Depth=1
	s_or_b32 exec_lo, exec_lo, s19
	v_dual_lshlrev_b32 v19, 16, v22 :: v_dual_lshlrev_b32 v1, 16, v1
	s_delay_alu instid0(VALU_DEP_2) | instskip(NEXT) | instid1(VALU_DEP_2)
	v_lshlrev_b32_e32 v21, 16, v21
	v_and_or_b32 v2, 0xffff, v2, v19
	s_delay_alu instid0(VALU_DEP_3) | instskip(NEXT) | instid1(VALU_DEP_3)
	v_and_or_b32 v1, 0xffff, v3, v1
	v_and_or_b32 v3, 0xffff, v4, v21
	;;#ASMSTART
	v_pk_mul_f16 v2, v35, v2;

	;;#ASMEND
	;;#ASMSTART
	v_pk_mul_f16 v1, v34, v1;

	;;#ASMEND
	;; [unrolled: 4-line block ×4, first 2 shown]
	;;#ASMSTART
	v_pk_add_f16 v1, v2, v1;

	;;#ASMEND
	;;#ASMSTART
	v_pk_add_f16 v1, v1, v3;

	;;#ASMEND
	;;#ASMSTART
	v_pk_add_f16 v1, v1, v4;

	;;#ASMEND
	v_and_b32_e32 v2, 0xffff, v1
	v_lshrrev_b32_e32 v1, 16, v1
	;;#ASMSTART
	v_cvt_f32_f16 v2, v2;
	;;#ASMEND
	;;#ASMSTART
	v_cvt_f32_f16 v1, v1;
	;;#ASMEND
	s_delay_alu instid0(VALU_DEP_1) | instskip(NEXT) | instid1(VALU_DEP_1)
	v_add_f32_e32 v1, v2, v1
	v_add_f32_e32 v9, v9, v1
.LBB77_50:                              ;   in Loop: Header=BB77_52 Depth=1
	s_or_b32 exec_lo, exec_lo, s1
	v_dual_add_f32 v1, v26, v49 :: v_dual_add_f32 v2, v47, v48
	v_dual_add_f32 v3, v45, v46 :: v_dual_add_f32 v4, v43, v44
	v_add_f32_e32 v5, v24, v25
	s_delay_alu instid0(VALU_DEP_3) | instskip(SKIP_1) | instid1(VALU_DEP_4)
	v_dual_add_f32 v11, v11, v1 :: v_dual_add_f32 v10, v10, v2
	v_dual_add_f32 v1, v38, v39 :: v_dual_add_f32 v2, v32, v33
	;; [unrolled: 1-line block ×3, first 2 shown]
	s_delay_alu instid0(VALU_DEP_4) | instskip(NEXT) | instid1(VALU_DEP_3)
	v_add_f32_e32 v8, v8, v5
	v_dual_add_f32 v15, v15, v1 :: v_dual_add_f32 v14, v14, v2
.LBB77_51:                              ;   in Loop: Header=BB77_52 Depth=1
	s_or_b32 exec_lo, exec_lo, s18
	v_dual_add_nc_u32 v31, 4, v31 :: v_dual_add_nc_u32 v6, 64, v6
	v_add_nc_u64_e32 v[16:17], 16, v[16:17]
	v_add_nc_u32_e32 v30, 0x100, v30
	s_delay_alu instid0(VALU_DEP_3) | instskip(SKIP_1) | instid1(SALU_CYCLE_1)
	v_cmp_le_i32_e64 s0, s35, v31
	s_or_b32 s15, s0, s15
	s_and_not1_b32 exec_lo, exec_lo, s15
	s_cbranch_execz .LBB77_70
.LBB77_52:                              ; =>This Inner Loop Header: Depth=1
	v_mul_u64_e32 v[2:3], s[16:17], v[6:7]
	s_delay_alu instid0(VALU_DEP_1) | instskip(NEXT) | instid1(VALU_DEP_1)
	v_mul_lo_u32 v1, v3, s12
	v_dual_add_nc_u32 v2, 1, v3 :: v_dual_sub_nc_u32 v1, v6, v1
	s_delay_alu instid0(VALU_DEP_1) | instskip(SKIP_1) | instid1(VALU_DEP_1)
	v_subrev_nc_u32_e32 v4, s12, v1
	v_cmp_le_u32_e64 s0, s12, v1
	v_dual_cndmask_b32 v2, v3, v2, s0 :: v_dual_cndmask_b32 v1, v1, v4, s0
	s_delay_alu instid0(VALU_DEP_1) | instskip(NEXT) | instid1(VALU_DEP_2)
	v_add_nc_u32_e32 v3, 1, v2
	v_cmp_le_u32_e64 s0, s12, v1
	s_delay_alu instid0(VALU_DEP_1) | instskip(NEXT) | instid1(VALU_DEP_1)
	v_dual_cndmask_b32 v1, v2, v3, s0 :: v_dual_mov_b32 v3, v7
	v_xor_b32_e32 v1, s34, v1
	s_delay_alu instid0(VALU_DEP_1) | instskip(NEXT) | instid1(VALU_DEP_1)
	v_subrev_nc_u32_e32 v1, s34, v1
	v_add_nc_u32_e32 v19, s33, v1
	v_cmp_lt_i32_e64 s1, s26, v1
	s_delay_alu instid0(VALU_DEP_2) | instskip(NEXT) | instid1(VALU_DEP_1)
	v_sub_nc_u32_e32 v2, 0, v19
	v_max_i32_e32 v2, v19, v2
	s_delay_alu instid0(VALU_DEP_1) | instskip(NEXT) | instid1(VALU_DEP_1)
	v_mul_u64_e32 v[4:5], s[8:9], v[2:3]
	v_mul_lo_u32 v3, v5, s25
	s_delay_alu instid0(VALU_DEP_1) | instskip(SKIP_1) | instid1(VALU_DEP_2)
	v_sub_nc_u32_e32 v2, v2, v3
	v_ashrrev_i32_e32 v4, 31, v19
	v_subrev_nc_u32_e32 v3, s25, v2
	v_cmp_le_u32_e64 s0, s25, v2
	s_delay_alu instid0(VALU_DEP_1) | instskip(NEXT) | instid1(VALU_DEP_1)
	v_cndmask_b32_e64 v2, v2, v3, s0
	v_subrev_nc_u32_e32 v3, s25, v2
	v_cmp_le_u32_e64 s0, s25, v2
	s_delay_alu instid0(VALU_DEP_1) | instskip(NEXT) | instid1(VALU_DEP_1)
	v_cndmask_b32_e64 v2, v2, v3, s0
	v_xor_b32_e32 v2, v2, v4
	s_delay_alu instid0(VALU_DEP_1) | instskip(NEXT) | instid1(VALU_DEP_1)
	v_sub_nc_u32_e32 v2, v2, v4
	v_cmp_eq_u32_e64 s0, 0, v2
	s_or_b32 s0, s0, s1
	s_delay_alu instid0(SALU_CYCLE_1)
	s_and_saveexec_b32 s18, s0
	s_cbranch_execz .LBB77_51
; %bb.53:                               ;   in Loop: Header=BB77_52 Depth=1
	global_load_b32 v2, v[16:17], off
	v_cmp_eq_u32_e64 s0, s13, v31
	s_wait_loadcnt 0x0
	v_dual_mov_b32 v19, v7 :: v_dual_ashrrev_i32 v3, 31, v2
	s_delay_alu instid0(VALU_DEP_1)
	v_mul_u64_e32 v[22:23], s[2:3], v[2:3]
	ds_load_2addr_b64 v[2:5], v30 offset1:1
	ds_load_2addr_b64 v[44:47], v30 offset0:2 offset1:3
	s_wait_dscnt 0x1
	;;#ASMSTART
	v_cvt_f16_f32 v35, v2;

	;;#ASMEND
	;;#ASMSTART
	v_cvt_f16_f32 v34, v3;

	;;#ASMEND
	;; [unrolled: 4-line block ×4, first 2 shown]
	s_wait_dscnt 0x0
	;;#ASMSTART
	v_cvt_f16_f32 v39, v44;

	;;#ASMEND
	;;#ASMSTART
	v_cvt_f16_f32 v33, v45;

	;;#ASMEND
	;;#ASMSTART
	v_cvt_f16_f32 v36, v46;

	;;#ASMEND
	;;#ASMSTART
	v_cvt_f16_f32 v32, v47;

	;;#ASMEND
	v_lshl_add_u64 v[22:23], v[22:23], 1, s[10:11]
	s_delay_alu instid0(VALU_DEP_1)
	v_add_nc_u64_e32 v[24:25], v[22:23], v[18:19]
	global_load_b128 v[2:5], v[24:25], off
	s_wait_loadcnt 0x0
	v_dual_add_nc_u32 v19, v29, v6 :: v_dual_lshrrev_b32 v1, 16, v3
	v_dual_lshrrev_b32 v26, 16, v2 :: v_dual_lshrrev_b32 v21, 16, v4
	s_and_saveexec_b32 s19, s0
	s_cbranch_execz .LBB77_55
; %bb.54:                               ;   in Loop: Header=BB77_52 Depth=1
	s_delay_alu instid0(VALU_DEP_2) | instskip(SKIP_2) | instid1(VALU_DEP_2)
	v_dual_add_nc_u32 v43, 2, v19 :: v_dual_bitop2_b32 v44, 3, v19 bitop3:0x54
	v_cmp_gt_i32_e64 s1, s31, v19
	v_dual_add_nc_u32 v46, 7, v19 :: v_dual_bitop2_b32 v45, 1, v19 bitop3:0x54
	v_cndmask_b32_e64 v2, 0, v2, s1
	s_delay_alu instid0(VALU_DEP_4) | instskip(SKIP_1) | instid1(VALU_DEP_2)
	v_cmp_gt_i32_e64 s1, s31, v43
	v_add_nc_u32_e32 v43, 4, v19
	v_cndmask_b32_e64 v3, 0, v3, s1
	v_cmp_gt_i32_e64 s1, s14, v44
	s_delay_alu instid0(VALU_DEP_1) | instskip(SKIP_3) | instid1(VALU_DEP_3)
	v_dual_add_nc_u32 v44, 6, v19 :: v_dual_cndmask_b32 v1, 0, v1, s1
	v_cmp_gt_i32_e64 s1, s31, v45
	v_and_b32_e32 v45, 0xffff, v5
	v_and_b32_e32 v5, 0xffff0000, v5
	v_cndmask_b32_e64 v26, 0, v26, s1
	v_cmp_gt_i32_e64 s1, s31, v44
	s_delay_alu instid0(VALU_DEP_1) | instskip(SKIP_1) | instid1(VALU_DEP_1)
	v_dual_add_nc_u32 v47, 5, v19 :: v_dual_cndmask_b32 v44, 0, v45, s1
	v_cmp_gt_i32_e64 s1, s31, v46
	v_cndmask_b32_e64 v5, 0, v5, s1
	v_cmp_gt_i32_e64 s1, s31, v43
	s_delay_alu instid0(VALU_DEP_1) | instskip(SKIP_1) | instid1(VALU_DEP_4)
	v_cndmask_b32_e64 v4, 0, v4, s1
	v_cmp_gt_i32_e64 s1, s31, v47
	v_or_b32_e32 v5, v44, v5
	s_delay_alu instid0(VALU_DEP_2)
	v_cndmask_b32_e64 v21, 0, v21, s1
.LBB77_55:                              ;   in Loop: Header=BB77_52 Depth=1
	s_or_b32 exec_lo, exec_lo, s19
	v_and_b32_e32 v35, 0xffff, v35
	v_and_b32_e32 v38, 0xffff, v38
	v_dual_lshlrev_b32 v26, 16, v26 :: v_dual_lshlrev_b32 v1, 16, v1
	v_lshlrev_b32_e32 v21, 16, v21
	v_and_b32_e32 v39, 0xffff, v39
	v_lshl_or_b32 v35, v34, 16, v35
	v_lshl_or_b32 v34, v37, 16, v38
	v_and_b32_e32 v37, 0xffff, v36
	v_and_or_b32 v2, 0xffff, v2, v26
	v_and_or_b32 v1, 0xffff, v3, v1
	;; [unrolled: 1-line block ×3, first 2 shown]
	;;#ASMSTART
	v_pk_mul_f16 v2, v35, v2;

	;;#ASMEND
	;;#ASMSTART
	v_pk_mul_f16 v1, v34, v1;

	;;#ASMEND
	v_lshl_or_b32 v36, v33, 16, v39
	v_lshl_or_b32 v37, v32, 16, v37
	;;#ASMSTART
	v_pk_mul_f16 v3, v36, v3;

	;;#ASMEND
	;;#ASMSTART
	v_pk_mul_f16 v4, v37, v5;

	;;#ASMEND
	;;#ASMSTART
	v_pk_add_f16 v1, v2, v1;

	;;#ASMEND
	;;#ASMSTART
	v_pk_add_f16 v1, v1, v3;
	;; [unrolled: 4-line block ×3, first 2 shown]

	;;#ASMEND
	v_and_b32_e32 v2, 0xffff, v1
	v_lshrrev_b32_e32 v1, 16, v1
	;;#ASMSTART
	v_cvt_f32_f16 v32, v2;
	;;#ASMEND
	;;#ASMSTART
	v_cvt_f32_f16 v33, v1;
	;;#ASMEND
	global_load_b128 v[2:5], v[24:25], off offset:512
	s_wait_loadcnt 0x0
	v_dual_lshrrev_b32 v1, 16, v3 :: v_dual_lshrrev_b32 v26, 16, v2
	v_lshrrev_b32_e32 v21, 16, v4
	s_and_saveexec_b32 s19, s0
	s_cbranch_execz .LBB77_57
; %bb.56:                               ;   in Loop: Header=BB77_52 Depth=1
	v_dual_add_nc_u32 v38, 2, v19 :: v_dual_bitop2_b32 v39, 3, v19 bitop3:0x54
	v_cmp_gt_i32_e64 s1, s31, v19
	v_dual_add_nc_u32 v44, 7, v19 :: v_dual_bitop2_b32 v43, 1, v19 bitop3:0x54
	s_delay_alu instid0(VALU_DEP_2) | instskip(NEXT) | instid1(VALU_DEP_4)
	v_cndmask_b32_e64 v2, 0, v2, s1
	v_cmp_gt_i32_e64 s1, s31, v38
	v_add_nc_u32_e32 v38, 4, v19
	s_delay_alu instid0(VALU_DEP_2) | instskip(SKIP_1) | instid1(VALU_DEP_1)
	v_cndmask_b32_e64 v3, 0, v3, s1
	v_cmp_gt_i32_e64 s1, s14, v39
	v_dual_add_nc_u32 v39, 6, v19 :: v_dual_cndmask_b32 v1, 0, v1, s1
	v_cmp_gt_i32_e64 s1, s31, v43
	v_and_b32_e32 v43, 0xffff, v5
	v_and_b32_e32 v5, 0xffff0000, v5
	s_delay_alu instid0(VALU_DEP_3) | instskip(SKIP_1) | instid1(VALU_DEP_1)
	v_cndmask_b32_e64 v26, 0, v26, s1
	v_cmp_gt_i32_e64 s1, s31, v39
	v_cndmask_b32_e64 v39, 0, v43, s1
	v_cmp_gt_i32_e64 s1, s31, v44
	s_delay_alu instid0(VALU_DEP_1) | instskip(SKIP_1) | instid1(VALU_DEP_1)
	v_dual_add_nc_u32 v45, 5, v19 :: v_dual_cndmask_b32 v5, 0, v5, s1
	v_cmp_gt_i32_e64 s1, s31, v38
	v_cndmask_b32_e64 v4, 0, v4, s1
	s_delay_alu instid0(VALU_DEP_3) | instskip(NEXT) | instid1(VALU_DEP_4)
	v_cmp_gt_i32_e64 s1, s31, v45
	v_or_b32_e32 v5, v39, v5
	s_delay_alu instid0(VALU_DEP_2)
	v_cndmask_b32_e64 v21, 0, v21, s1
.LBB77_57:                              ;   in Loop: Header=BB77_52 Depth=1
	s_or_b32 exec_lo, exec_lo, s19
	v_dual_lshlrev_b32 v26, 16, v26 :: v_dual_lshlrev_b32 v1, 16, v1
	s_delay_alu instid0(VALU_DEP_2) | instskip(NEXT) | instid1(VALU_DEP_2)
	v_lshlrev_b32_e32 v21, 16, v21
	v_and_or_b32 v2, 0xffff, v2, v26
	s_delay_alu instid0(VALU_DEP_3) | instskip(NEXT) | instid1(VALU_DEP_3)
	v_and_or_b32 v1, 0xffff, v3, v1
	v_and_or_b32 v3, 0xffff, v4, v21
	;;#ASMSTART
	v_pk_mul_f16 v2, v35, v2;

	;;#ASMEND
	;;#ASMSTART
	v_pk_mul_f16 v1, v34, v1;

	;;#ASMEND
	;; [unrolled: 4-line block ×4, first 2 shown]
	;;#ASMSTART
	v_pk_add_f16 v1, v2, v1;

	;;#ASMEND
	;;#ASMSTART
	v_pk_add_f16 v1, v1, v3;

	;;#ASMEND
	;; [unrolled: 4-line block ×3, first 2 shown]
	v_and_b32_e32 v2, 0xffff, v1
	v_lshrrev_b32_e32 v1, 16, v1
	;;#ASMSTART
	v_cvt_f32_f16 v38, v2;
	;;#ASMEND
	;;#ASMSTART
	v_cvt_f32_f16 v39, v1;
	;;#ASMEND
	global_load_b128 v[2:5], v[24:25], off offset:1024
	s_wait_loadcnt 0x0
	v_dual_lshrrev_b32 v1, 16, v3 :: v_dual_lshrrev_b32 v26, 16, v2
	v_lshrrev_b32_e32 v21, 16, v4
	s_and_saveexec_b32 s19, s0
	s_cbranch_execz .LBB77_59
; %bb.58:                               ;   in Loop: Header=BB77_52 Depth=1
	v_dual_add_nc_u32 v43, 2, v19 :: v_dual_bitop2_b32 v44, 3, v19 bitop3:0x54
	v_cmp_gt_i32_e64 s1, s31, v19
	v_dual_add_nc_u32 v46, 7, v19 :: v_dual_bitop2_b32 v45, 1, v19 bitop3:0x54
	s_delay_alu instid0(VALU_DEP_2) | instskip(NEXT) | instid1(VALU_DEP_4)
	v_cndmask_b32_e64 v2, 0, v2, s1
	v_cmp_gt_i32_e64 s1, s31, v43
	v_add_nc_u32_e32 v43, 4, v19
	s_delay_alu instid0(VALU_DEP_2) | instskip(SKIP_1) | instid1(VALU_DEP_1)
	v_cndmask_b32_e64 v3, 0, v3, s1
	v_cmp_gt_i32_e64 s1, s14, v44
	v_dual_add_nc_u32 v44, 6, v19 :: v_dual_cndmask_b32 v1, 0, v1, s1
	v_cmp_gt_i32_e64 s1, s31, v45
	v_and_b32_e32 v45, 0xffff, v5
	v_and_b32_e32 v5, 0xffff0000, v5
	s_delay_alu instid0(VALU_DEP_3) | instskip(SKIP_1) | instid1(VALU_DEP_1)
	v_cndmask_b32_e64 v26, 0, v26, s1
	v_cmp_gt_i32_e64 s1, s31, v44
	v_dual_add_nc_u32 v47, 5, v19 :: v_dual_cndmask_b32 v44, 0, v45, s1
	v_cmp_gt_i32_e64 s1, s31, v46
	s_delay_alu instid0(VALU_DEP_1) | instskip(SKIP_1) | instid1(VALU_DEP_1)
	v_cndmask_b32_e64 v5, 0, v5, s1
	v_cmp_gt_i32_e64 s1, s31, v43
	v_cndmask_b32_e64 v4, 0, v4, s1
	v_cmp_gt_i32_e64 s1, s31, v47
	s_delay_alu instid0(VALU_DEP_4) | instskip(NEXT) | instid1(VALU_DEP_2)
	v_or_b32_e32 v5, v44, v5
	v_cndmask_b32_e64 v21, 0, v21, s1
.LBB77_59:                              ;   in Loop: Header=BB77_52 Depth=1
	s_or_b32 exec_lo, exec_lo, s19
	v_dual_lshlrev_b32 v26, 16, v26 :: v_dual_lshlrev_b32 v1, 16, v1
	s_delay_alu instid0(VALU_DEP_2) | instskip(NEXT) | instid1(VALU_DEP_2)
	v_lshlrev_b32_e32 v21, 16, v21
	v_and_or_b32 v2, 0xffff, v2, v26
	s_delay_alu instid0(VALU_DEP_3) | instskip(NEXT) | instid1(VALU_DEP_3)
	v_and_or_b32 v1, 0xffff, v3, v1
	v_and_or_b32 v3, 0xffff, v4, v21
	;;#ASMSTART
	v_pk_mul_f16 v2, v35, v2;

	;;#ASMEND
	;;#ASMSTART
	v_pk_mul_f16 v1, v34, v1;

	;;#ASMEND
	;; [unrolled: 4-line block ×4, first 2 shown]
	;;#ASMSTART
	v_pk_add_f16 v1, v2, v1;

	;;#ASMEND
	;;#ASMSTART
	v_pk_add_f16 v1, v1, v3;

	;;#ASMEND
	;; [unrolled: 4-line block ×3, first 2 shown]
	v_and_b32_e32 v2, 0xffff, v1
	v_lshrrev_b32_e32 v1, 16, v1
	;;#ASMSTART
	v_cvt_f32_f16 v43, v2;
	;;#ASMEND
	;;#ASMSTART
	v_cvt_f32_f16 v44, v1;
	;;#ASMEND
	global_load_b128 v[2:5], v[24:25], off offset:1536
	s_wait_loadcnt 0x0
	v_dual_lshrrev_b32 v1, 16, v3 :: v_dual_lshrrev_b32 v26, 16, v2
	v_lshrrev_b32_e32 v21, 16, v4
	s_and_saveexec_b32 s19, s0
	s_cbranch_execz .LBB77_61
; %bb.60:                               ;   in Loop: Header=BB77_52 Depth=1
	v_dual_add_nc_u32 v45, 2, v19 :: v_dual_bitop2_b32 v46, 3, v19 bitop3:0x54
	v_cmp_gt_i32_e64 s1, s31, v19
	v_dual_add_nc_u32 v48, 7, v19 :: v_dual_bitop2_b32 v47, 1, v19 bitop3:0x54
	s_delay_alu instid0(VALU_DEP_2) | instskip(NEXT) | instid1(VALU_DEP_4)
	v_cndmask_b32_e64 v2, 0, v2, s1
	v_cmp_gt_i32_e64 s1, s31, v45
	v_add_nc_u32_e32 v45, 4, v19
	s_delay_alu instid0(VALU_DEP_2) | instskip(SKIP_1) | instid1(VALU_DEP_1)
	v_cndmask_b32_e64 v3, 0, v3, s1
	v_cmp_gt_i32_e64 s1, s14, v46
	v_dual_add_nc_u32 v46, 6, v19 :: v_dual_cndmask_b32 v1, 0, v1, s1
	v_cmp_gt_i32_e64 s1, s31, v47
	v_and_b32_e32 v47, 0xffff, v5
	v_and_b32_e32 v5, 0xffff0000, v5
	s_delay_alu instid0(VALU_DEP_3) | instskip(SKIP_1) | instid1(VALU_DEP_1)
	v_cndmask_b32_e64 v26, 0, v26, s1
	v_cmp_gt_i32_e64 s1, s31, v46
	v_cndmask_b32_e64 v46, 0, v47, s1
	v_cmp_gt_i32_e64 s1, s31, v48
	s_delay_alu instid0(VALU_DEP_1) | instskip(SKIP_1) | instid1(VALU_DEP_1)
	v_dual_add_nc_u32 v49, 5, v19 :: v_dual_cndmask_b32 v5, 0, v5, s1
	v_cmp_gt_i32_e64 s1, s31, v45
	v_cndmask_b32_e64 v4, 0, v4, s1
	s_delay_alu instid0(VALU_DEP_3) | instskip(NEXT) | instid1(VALU_DEP_4)
	v_cmp_gt_i32_e64 s1, s31, v49
	v_or_b32_e32 v5, v46, v5
	s_delay_alu instid0(VALU_DEP_2)
	v_cndmask_b32_e64 v21, 0, v21, s1
.LBB77_61:                              ;   in Loop: Header=BB77_52 Depth=1
	s_or_b32 exec_lo, exec_lo, s19
	v_dual_lshlrev_b32 v26, 16, v26 :: v_dual_lshlrev_b32 v1, 16, v1
	s_delay_alu instid0(VALU_DEP_2) | instskip(NEXT) | instid1(VALU_DEP_2)
	v_lshlrev_b32_e32 v21, 16, v21
	v_and_or_b32 v2, 0xffff, v2, v26
	s_delay_alu instid0(VALU_DEP_3) | instskip(NEXT) | instid1(VALU_DEP_3)
	v_and_or_b32 v1, 0xffff, v3, v1
	v_and_or_b32 v3, 0xffff, v4, v21
	;;#ASMSTART
	v_pk_mul_f16 v2, v35, v2;

	;;#ASMEND
	;;#ASMSTART
	v_pk_mul_f16 v1, v34, v1;

	;;#ASMEND
	;; [unrolled: 4-line block ×4, first 2 shown]
	;;#ASMSTART
	v_pk_add_f16 v1, v2, v1;

	;;#ASMEND
	;;#ASMSTART
	v_pk_add_f16 v1, v1, v3;

	;;#ASMEND
	;; [unrolled: 4-line block ×3, first 2 shown]
	v_and_b32_e32 v2, 0xffff, v1
	v_lshrrev_b32_e32 v1, 16, v1
	;;#ASMSTART
	v_cvt_f32_f16 v45, v2;
	;;#ASMEND
	;;#ASMSTART
	v_cvt_f32_f16 v46, v1;
	;;#ASMEND
	global_load_b128 v[2:5], v[24:25], off offset:2048
	s_wait_loadcnt 0x0
	v_dual_lshrrev_b32 v1, 16, v3 :: v_dual_lshrrev_b32 v26, 16, v2
	v_lshrrev_b32_e32 v21, 16, v4
	s_and_saveexec_b32 s19, s0
	s_cbranch_execz .LBB77_63
; %bb.62:                               ;   in Loop: Header=BB77_52 Depth=1
	v_dual_add_nc_u32 v47, 2, v19 :: v_dual_bitop2_b32 v48, 3, v19 bitop3:0x54
	v_cmp_gt_i32_e64 s1, s31, v19
	v_dual_add_nc_u32 v50, 7, v19 :: v_dual_bitop2_b32 v49, 1, v19 bitop3:0x54
	s_delay_alu instid0(VALU_DEP_2) | instskip(NEXT) | instid1(VALU_DEP_4)
	v_cndmask_b32_e64 v2, 0, v2, s1
	v_cmp_gt_i32_e64 s1, s31, v47
	v_add_nc_u32_e32 v47, 4, v19
	s_delay_alu instid0(VALU_DEP_2) | instskip(SKIP_1) | instid1(VALU_DEP_1)
	v_cndmask_b32_e64 v3, 0, v3, s1
	v_cmp_gt_i32_e64 s1, s14, v48
	v_dual_add_nc_u32 v48, 6, v19 :: v_dual_cndmask_b32 v1, 0, v1, s1
	v_cmp_gt_i32_e64 s1, s31, v49
	v_and_b32_e32 v49, 0xffff, v5
	v_and_b32_e32 v5, 0xffff0000, v5
	s_delay_alu instid0(VALU_DEP_3) | instskip(SKIP_1) | instid1(VALU_DEP_1)
	v_cndmask_b32_e64 v26, 0, v26, s1
	v_cmp_gt_i32_e64 s1, s31, v48
	v_dual_add_nc_u32 v51, 5, v19 :: v_dual_cndmask_b32 v48, 0, v49, s1
	v_cmp_gt_i32_e64 s1, s31, v50
	s_delay_alu instid0(VALU_DEP_1) | instskip(SKIP_1) | instid1(VALU_DEP_1)
	v_cndmask_b32_e64 v5, 0, v5, s1
	v_cmp_gt_i32_e64 s1, s31, v47
	v_cndmask_b32_e64 v4, 0, v4, s1
	v_cmp_gt_i32_e64 s1, s31, v51
	s_delay_alu instid0(VALU_DEP_4) | instskip(NEXT) | instid1(VALU_DEP_2)
	v_or_b32_e32 v5, v48, v5
	v_cndmask_b32_e64 v21, 0, v21, s1
.LBB77_63:                              ;   in Loop: Header=BB77_52 Depth=1
	s_or_b32 exec_lo, exec_lo, s19
	v_dual_lshlrev_b32 v26, 16, v26 :: v_dual_lshlrev_b32 v1, 16, v1
	s_delay_alu instid0(VALU_DEP_2) | instskip(NEXT) | instid1(VALU_DEP_2)
	v_lshlrev_b32_e32 v21, 16, v21
	v_and_or_b32 v2, 0xffff, v2, v26
	s_delay_alu instid0(VALU_DEP_3) | instskip(NEXT) | instid1(VALU_DEP_3)
	v_and_or_b32 v1, 0xffff, v3, v1
	v_and_or_b32 v3, 0xffff, v4, v21
	;;#ASMSTART
	v_pk_mul_f16 v2, v35, v2;

	;;#ASMEND
	;;#ASMSTART
	v_pk_mul_f16 v1, v34, v1;

	;;#ASMEND
	;;#ASMSTART
	v_pk_mul_f16 v3, v36, v3;

	;;#ASMEND
	;;#ASMSTART
	v_pk_mul_f16 v4, v37, v5;

	;;#ASMEND
	;;#ASMSTART
	v_pk_add_f16 v1, v2, v1;

	;;#ASMEND
	;;#ASMSTART
	v_pk_add_f16 v1, v1, v3;

	;;#ASMEND
	;;#ASMSTART
	v_pk_add_f16 v1, v1, v4;

	;;#ASMEND
	v_and_b32_e32 v2, 0xffff, v1
	v_lshrrev_b32_e32 v1, 16, v1
	;;#ASMSTART
	v_cvt_f32_f16 v47, v2;
	;;#ASMEND
	;;#ASMSTART
	v_cvt_f32_f16 v48, v1;
	;;#ASMEND
	global_load_b128 v[2:5], v[24:25], off offset:2560
	s_wait_loadcnt 0x0
	v_dual_lshrrev_b32 v1, 16, v3 :: v_dual_lshrrev_b32 v26, 16, v2
	v_lshrrev_b32_e32 v21, 16, v4
	s_and_saveexec_b32 s19, s0
	s_cbranch_execz .LBB77_65
; %bb.64:                               ;   in Loop: Header=BB77_52 Depth=1
	v_dual_add_nc_u32 v49, 2, v19 :: v_dual_bitop2_b32 v50, 3, v19 bitop3:0x54
	v_cmp_gt_i32_e64 s1, s31, v19
	v_dual_add_nc_u32 v52, 7, v19 :: v_dual_bitop2_b32 v51, 1, v19 bitop3:0x54
	s_delay_alu instid0(VALU_DEP_2) | instskip(NEXT) | instid1(VALU_DEP_4)
	v_cndmask_b32_e64 v2, 0, v2, s1
	v_cmp_gt_i32_e64 s1, s31, v49
	v_add_nc_u32_e32 v49, 4, v19
	s_delay_alu instid0(VALU_DEP_2) | instskip(SKIP_1) | instid1(VALU_DEP_1)
	v_cndmask_b32_e64 v3, 0, v3, s1
	v_cmp_gt_i32_e64 s1, s14, v50
	v_dual_add_nc_u32 v50, 6, v19 :: v_dual_cndmask_b32 v1, 0, v1, s1
	v_cmp_gt_i32_e64 s1, s31, v51
	v_and_b32_e32 v51, 0xffff, v5
	v_and_b32_e32 v5, 0xffff0000, v5
	s_delay_alu instid0(VALU_DEP_3) | instskip(SKIP_1) | instid1(VALU_DEP_1)
	v_cndmask_b32_e64 v26, 0, v26, s1
	v_cmp_gt_i32_e64 s1, s31, v50
	v_cndmask_b32_e64 v50, 0, v51, s1
	v_cmp_gt_i32_e64 s1, s31, v52
	s_delay_alu instid0(VALU_DEP_1) | instskip(SKIP_1) | instid1(VALU_DEP_1)
	v_dual_add_nc_u32 v53, 5, v19 :: v_dual_cndmask_b32 v5, 0, v5, s1
	v_cmp_gt_i32_e64 s1, s31, v49
	v_cndmask_b32_e64 v4, 0, v4, s1
	s_delay_alu instid0(VALU_DEP_3) | instskip(NEXT) | instid1(VALU_DEP_4)
	v_cmp_gt_i32_e64 s1, s31, v53
	v_or_b32_e32 v5, v50, v5
	s_delay_alu instid0(VALU_DEP_2)
	v_cndmask_b32_e64 v21, 0, v21, s1
.LBB77_65:                              ;   in Loop: Header=BB77_52 Depth=1
	s_or_b32 exec_lo, exec_lo, s19
	v_dual_lshlrev_b32 v26, 16, v26 :: v_dual_lshlrev_b32 v1, 16, v1
	s_delay_alu instid0(VALU_DEP_2) | instskip(NEXT) | instid1(VALU_DEP_2)
	v_lshlrev_b32_e32 v21, 16, v21
	v_and_or_b32 v2, 0xffff, v2, v26
	s_delay_alu instid0(VALU_DEP_3) | instskip(NEXT) | instid1(VALU_DEP_3)
	v_and_or_b32 v1, 0xffff, v3, v1
	v_and_or_b32 v3, 0xffff, v4, v21
	;;#ASMSTART
	v_pk_mul_f16 v2, v35, v2;

	;;#ASMEND
	;;#ASMSTART
	v_pk_mul_f16 v1, v34, v1;

	;;#ASMEND
	;; [unrolled: 4-line block ×4, first 2 shown]
	;;#ASMSTART
	v_pk_add_f16 v1, v2, v1;

	;;#ASMEND
	;;#ASMSTART
	v_pk_add_f16 v1, v1, v3;

	;;#ASMEND
	;; [unrolled: 4-line block ×3, first 2 shown]
	v_and_b32_e32 v2, 0xffff, v1
	v_lshrrev_b32_e32 v1, 16, v1
	;;#ASMSTART
	v_cvt_f32_f16 v26, v2;
	;;#ASMEND
	;;#ASMSTART
	v_cvt_f32_f16 v49, v1;
	;;#ASMEND
	global_load_b128 v[2:5], v[24:25], off offset:3072
	s_wait_loadcnt 0x0
	v_dual_lshrrev_b32 v1, 16, v3 :: v_dual_lshrrev_b32 v24, 16, v2
	v_lshrrev_b32_e32 v21, 16, v4
	s_and_saveexec_b32 s19, s0
	s_cbranch_execz .LBB77_67
; %bb.66:                               ;   in Loop: Header=BB77_52 Depth=1
	v_dual_add_nc_u32 v25, 2, v19 :: v_dual_bitop2_b32 v50, 3, v19 bitop3:0x54
	v_cmp_gt_i32_e64 s1, s31, v19
	v_dual_add_nc_u32 v52, 7, v19 :: v_dual_bitop2_b32 v51, 1, v19 bitop3:0x54
	s_delay_alu instid0(VALU_DEP_2) | instskip(NEXT) | instid1(VALU_DEP_4)
	v_cndmask_b32_e64 v2, 0, v2, s1
	v_cmp_gt_i32_e64 s1, s31, v25
	v_add_nc_u32_e32 v25, 4, v19
	s_delay_alu instid0(VALU_DEP_2) | instskip(SKIP_1) | instid1(VALU_DEP_1)
	v_cndmask_b32_e64 v3, 0, v3, s1
	v_cmp_gt_i32_e64 s1, s14, v50
	v_dual_add_nc_u32 v50, 6, v19 :: v_dual_cndmask_b32 v1, 0, v1, s1
	v_cmp_gt_i32_e64 s1, s31, v51
	v_and_b32_e32 v51, 0xffff, v5
	v_and_b32_e32 v5, 0xffff0000, v5
	s_delay_alu instid0(VALU_DEP_3) | instskip(SKIP_1) | instid1(VALU_DEP_1)
	v_cndmask_b32_e64 v24, 0, v24, s1
	v_cmp_gt_i32_e64 s1, s31, v50
	v_cndmask_b32_e64 v50, 0, v51, s1
	v_cmp_gt_i32_e64 s1, s31, v52
	s_delay_alu instid0(VALU_DEP_1) | instskip(SKIP_1) | instid1(VALU_DEP_1)
	v_dual_add_nc_u32 v53, 5, v19 :: v_dual_cndmask_b32 v5, 0, v5, s1
	v_cmp_gt_i32_e64 s1, s31, v25
	v_cndmask_b32_e64 v4, 0, v4, s1
	s_delay_alu instid0(VALU_DEP_3) | instskip(NEXT) | instid1(VALU_DEP_4)
	v_cmp_gt_i32_e64 s1, s31, v53
	v_or_b32_e32 v5, v50, v5
	s_delay_alu instid0(VALU_DEP_2)
	v_cndmask_b32_e64 v21, 0, v21, s1
.LBB77_67:                              ;   in Loop: Header=BB77_52 Depth=1
	s_or_b32 exec_lo, exec_lo, s19
	v_dual_lshlrev_b32 v24, 16, v24 :: v_dual_lshlrev_b32 v1, 16, v1
	s_delay_alu instid0(VALU_DEP_2) | instskip(NEXT) | instid1(VALU_DEP_2)
	v_lshlrev_b32_e32 v21, 16, v21
	v_and_or_b32 v2, 0xffff, v2, v24
	s_delay_alu instid0(VALU_DEP_3) | instskip(NEXT) | instid1(VALU_DEP_3)
	v_and_or_b32 v1, 0xffff, v3, v1
	v_and_or_b32 v3, 0xffff, v4, v21
	;;#ASMSTART
	v_pk_mul_f16 v2, v35, v2;

	;;#ASMEND
	;;#ASMSTART
	v_pk_mul_f16 v1, v34, v1;

	;;#ASMEND
	;; [unrolled: 4-line block ×4, first 2 shown]
	;;#ASMSTART
	v_pk_add_f16 v1, v2, v1;

	;;#ASMEND
	;;#ASMSTART
	v_pk_add_f16 v1, v1, v3;

	;;#ASMEND
	;; [unrolled: 4-line block ×3, first 2 shown]
	v_and_b32_e32 v2, 0xffff, v1
	v_lshrrev_b32_e32 v1, 16, v1
	;;#ASMSTART
	v_cvt_f32_f16 v24, v2;
	;;#ASMEND
	;;#ASMSTART
	v_cvt_f32_f16 v25, v1;
	;;#ASMEND
	s_and_saveexec_b32 s1, vcc_lo
	s_cbranch_execz .LBB77_50
; %bb.68:                               ;   in Loop: Header=BB77_52 Depth=1
	v_mov_b32_e32 v21, v7
	s_delay_alu instid0(VALU_DEP_1)
	v_add_nc_u64_e32 v[2:3], v[22:23], v[20:21]
	global_load_b128 v[2:5], v[2:3], off
	s_wait_loadcnt 0x0
	v_dual_lshrrev_b32 v1, 16, v3 :: v_dual_lshrrev_b32 v22, 16, v2
	v_lshrrev_b32_e32 v21, 16, v4
	s_and_saveexec_b32 s19, s0
	s_cbranch_execz .LBB77_49
; %bb.69:                               ;   in Loop: Header=BB77_52 Depth=1
	v_dual_add_nc_u32 v23, 2, v19 :: v_dual_bitop2_b32 v50, 3, v19 bitop3:0x54
	v_cmp_gt_i32_e64 s0, s31, v19
	v_dual_add_nc_u32 v52, 7, v19 :: v_dual_bitop2_b32 v51, 1, v19 bitop3:0x54
	s_delay_alu instid0(VALU_DEP_2) | instskip(NEXT) | instid1(VALU_DEP_4)
	v_cndmask_b32_e64 v2, 0, v2, s0
	v_cmp_gt_i32_e64 s0, s31, v23
	v_add_nc_u32_e32 v23, 4, v19
	s_delay_alu instid0(VALU_DEP_2) | instskip(SKIP_1) | instid1(VALU_DEP_1)
	v_cndmask_b32_e64 v3, 0, v3, s0
	v_cmp_gt_i32_e64 s0, s14, v50
	v_dual_add_nc_u32 v50, 6, v19 :: v_dual_cndmask_b32 v1, 0, v1, s0
	v_cmp_gt_i32_e64 s0, s31, v51
	v_and_b32_e32 v51, 0xffff, v5
	v_and_b32_e32 v5, 0xffff0000, v5
	s_delay_alu instid0(VALU_DEP_3) | instskip(SKIP_1) | instid1(VALU_DEP_1)
	v_cndmask_b32_e64 v22, 0, v22, s0
	v_cmp_gt_i32_e64 s0, s31, v50
	v_cndmask_b32_e64 v50, 0, v51, s0
	v_cmp_gt_i32_e64 s0, s31, v52
	s_delay_alu instid0(VALU_DEP_1) | instskip(SKIP_1) | instid1(VALU_DEP_1)
	v_dual_add_nc_u32 v19, 5, v19 :: v_dual_cndmask_b32 v5, 0, v5, s0
	v_cmp_gt_i32_e64 s0, s31, v23
	v_cndmask_b32_e64 v4, 0, v4, s0
	s_delay_alu instid0(VALU_DEP_3) | instskip(NEXT) | instid1(VALU_DEP_4)
	v_cmp_gt_i32_e64 s0, s31, v19
	v_or_b32_e32 v5, v50, v5
	s_delay_alu instid0(VALU_DEP_2)
	v_cndmask_b32_e64 v21, 0, v21, s0
	s_branch .LBB77_49
.LBB77_70:
	s_or_b32 exec_lo, exec_lo, s15
.LBB77_71:
	s_delay_alu instid0(SALU_CYCLE_1)
	s_or_b32 exec_lo, exec_lo, s24
	ds_bpermute_b32 v2, v28, v14
	ds_bpermute_b32 v3, v28, v15
	;; [unrolled: 1-line block ×8, first 2 shown]
	s_movk_i32 s0, 0x1e0
	v_and_b32_e32 v20, 0x3c0, v0
	v_mad_u32_u24 v1, v42, s0, 0x110
	s_mov_b32 s1, exec_lo
	v_cmp_eq_u32_e32 vcc_lo, 0, v41
	s_wait_dscnt 0x0
	s_barrier_signal -1
	s_barrier_wait -1
	v_pk_add_f32 v[14:15], v[14:15], v[2:3]
	v_pk_add_f32 v[6:7], v[12:13], v[4:5]
	;; [unrolled: 1-line block ×4, first 2 shown]
	v_cmpx_eq_u32_e32 64, v20
	s_cbranch_execz .LBB77_76
; %bb.72:
	v_add_nc_u32_e32 v8, 0xfffffc40, v1
	s_and_saveexec_b32 s0, vcc_lo
	s_cbranch_execz .LBB77_74
; %bb.73:
	s_delay_alu instid0(VALU_DEP_1)
	v_lshl_add_u32 v9, v27, 2, v8
	ds_store_2addr_b32 v9, v14, v15 offset1:16
	ds_store_2addr_b32 v9, v6, v7 offset0:32 offset1:48
	ds_store_2addr_b32 v9, v4, v5 offset0:64 offset1:80
	ds_store_b32 v9, v2 offset:384
.LBB77_74:
	s_or_b32 exec_lo, exec_lo, s0
	v_or_b32_e32 v9, 0x70, v27
	s_delay_alu instid0(VALU_DEP_1) | instskip(SKIP_1) | instid1(SALU_CYCLE_1)
	v_cmp_gt_u32_e64 s0, 0x78, v9
	s_and_b32 s0, vcc_lo, s0
	s_and_b32 exec_lo, exec_lo, s0
; %bb.75:
	v_lshl_add_u32 v8, v9, 2, v8
	ds_store_b32 v8, v3
.LBB77_76:
	s_or_b32 exec_lo, exec_lo, s1
	s_delay_alu instid0(SALU_CYCLE_1)
	s_mov_b32 s1, exec_lo
	s_wait_dscnt 0x0
	s_barrier_signal -1
	s_barrier_wait -1
	v_cmpx_gt_u32_e32 64, v0
	s_cbranch_execz .LBB77_88
; %bb.77:
	s_and_saveexec_b32 s0, vcc_lo
	s_cbranch_execnz .LBB77_123
; %bb.78:
	s_or_b32 exec_lo, exec_lo, s0
	s_and_saveexec_b32 s0, vcc_lo
	s_cbranch_execnz .LBB77_124
.LBB77_79:
	s_or_b32 exec_lo, exec_lo, s0
	s_and_saveexec_b32 s0, vcc_lo
	s_cbranch_execnz .LBB77_125
.LBB77_80:
	s_or_b32 exec_lo, exec_lo, s0
	s_and_saveexec_b32 s0, vcc_lo
	s_cbranch_execnz .LBB77_126
.LBB77_81:
	s_or_b32 exec_lo, exec_lo, s0
	s_and_saveexec_b32 s0, vcc_lo
	s_cbranch_execnz .LBB77_127
.LBB77_82:
	s_or_b32 exec_lo, exec_lo, s0
	s_and_saveexec_b32 s0, vcc_lo
	s_cbranch_execnz .LBB77_128
.LBB77_83:
	s_or_b32 exec_lo, exec_lo, s0
	s_and_saveexec_b32 s0, vcc_lo
	s_cbranch_execz .LBB77_85
.LBB77_84:
	v_lshl_add_u32 v8, v27, 2, v1
	ds_load_b32 v8, v8 offset:384
	s_wait_dscnt 0x0
	v_add_f32_e32 v2, v2, v8
.LBB77_85:
	s_or_b32 exec_lo, exec_lo, s0
	v_or_b32_e32 v8, 0x70, v27
	s_delay_alu instid0(VALU_DEP_1) | instskip(SKIP_1) | instid1(SALU_CYCLE_1)
	v_cmp_gt_u32_e64 s0, 0x78, v8
	s_and_b32 s2, vcc_lo, s0
	s_and_saveexec_b32 s0, s2
	s_cbranch_execz .LBB77_87
; %bb.86:
	v_lshl_add_u32 v8, v27, 2, v1
	ds_load_b32 v8, v8 offset:448
	s_wait_dscnt 0x0
	v_add_f32_e32 v3, v3, v8
.LBB77_87:
	s_or_b32 exec_lo, exec_lo, s0
.LBB77_88:
	s_delay_alu instid0(SALU_CYCLE_1) | instskip(SKIP_4) | instid1(VALU_DEP_1)
	s_or_b32 exec_lo, exec_lo, s1
	v_and_b32_e32 v8, 0x3e0, v0
	s_mov_b32 s1, exec_lo
	s_barrier_signal -1
	s_barrier_wait -1
	v_cmpx_eq_u32_e32 32, v8
	s_cbranch_execz .LBB77_93
; %bb.89:
	v_lshl_add_u32 v8, v27, 2, 0x110
	s_and_saveexec_b32 s0, vcc_lo
	s_cbranch_execz .LBB77_91
; %bb.90:
	ds_store_2addr_b32 v8, v14, v15 offset1:16
	ds_store_2addr_b32 v8, v6, v7 offset0:32 offset1:48
	ds_store_2addr_b32 v8, v4, v5 offset0:64 offset1:80
	ds_store_b32 v8, v2 offset:384
.LBB77_91:
	s_or_b32 exec_lo, exec_lo, s0
	v_or_b32_e32 v9, 0x70, v27
	s_delay_alu instid0(VALU_DEP_1) | instskip(SKIP_1) | instid1(SALU_CYCLE_1)
	v_cmp_gt_u32_e64 s0, 0x78, v9
	s_and_b32 s0, vcc_lo, s0
	s_and_b32 exec_lo, exec_lo, s0
; %bb.92:
	ds_store_b32 v8, v3 offset:448
.LBB77_93:
	s_or_b32 exec_lo, exec_lo, s1
	v_cmp_gt_u32_e64 s0, 32, v0
	s_wait_dscnt 0x0
	s_barrier_signal -1
	s_barrier_wait -1
	s_and_saveexec_b32 s2, s0
	s_cbranch_execz .LBB77_105
; %bb.94:
	v_lshl_add_u32 v0, v27, 2, v1
	s_and_saveexec_b32 s1, vcc_lo
	s_cbranch_execnz .LBB77_129
; %bb.95:
	s_or_b32 exec_lo, exec_lo, s1
	s_and_saveexec_b32 s1, vcc_lo
	s_cbranch_execnz .LBB77_130
.LBB77_96:
	s_or_b32 exec_lo, exec_lo, s1
	s_and_saveexec_b32 s1, vcc_lo
	s_cbranch_execnz .LBB77_131
.LBB77_97:
	s_or_b32 exec_lo, exec_lo, s1
	s_and_saveexec_b32 s1, vcc_lo
	s_cbranch_execnz .LBB77_132
.LBB77_98:
	s_or_b32 exec_lo, exec_lo, s1
	s_and_saveexec_b32 s1, vcc_lo
	s_cbranch_execnz .LBB77_133
.LBB77_99:
	s_or_b32 exec_lo, exec_lo, s1
	s_and_saveexec_b32 s1, vcc_lo
	s_cbranch_execnz .LBB77_134
.LBB77_100:
	s_or_b32 exec_lo, exec_lo, s1
	s_and_saveexec_b32 s1, vcc_lo
	s_cbranch_execz .LBB77_102
.LBB77_101:
	ds_load_b32 v1, v0 offset:384
	s_wait_dscnt 0x0
	v_add_f32_e32 v2, v2, v1
.LBB77_102:
	s_or_b32 exec_lo, exec_lo, s1
	v_or_b32_e32 v1, 0x70, v27
	s_delay_alu instid0(VALU_DEP_1) | instskip(SKIP_1) | instid1(SALU_CYCLE_1)
	v_cmp_gt_u32_e64 s1, 0x78, v1
	s_and_b32 s3, vcc_lo, s1
	s_and_saveexec_b32 s1, s3
	s_cbranch_execz .LBB77_104
; %bb.103:
	ds_load_b32 v0, v0 offset:448
	s_wait_dscnt 0x0
	v_add_f32_e32 v3, v3, v0
.LBB77_104:
	s_or_b32 exec_lo, exec_lo, s1
.LBB77_105:
	s_delay_alu instid0(SALU_CYCLE_1)
	s_or_b32 exec_lo, exec_lo, s2
	s_barrier_signal -1
	s_barrier_wait -1
	s_and_saveexec_b32 s1, s0
	s_cbranch_execz .LBB77_122
; %bb.106:
	s_mul_i32 s1, s30, s7
	s_mul_i32 s0, s7, s6
	;; [unrolled: 1-line block ×3, first 2 shown]
	s_bfe_u32 s7, ttmp6, 0x40014
	s_mul_i32 s2, s1, 0x78
	s_lshr_b32 s6, ttmp7, 16
	s_ashr_i32 s3, s2, 31
	s_add_co_i32 s7, s7, 1
	s_lshl_b64 s[2:3], s[2:3], 1
	s_ashr_i32 s1, s0, 31
	s_wait_kmcnt 0x0
	s_add_nc_u64 s[2:3], s[4:5], s[2:3]
	s_mul_i32 s4, s6, s7
	s_bfe_u32 s5, ttmp6, 0x40008
	s_lshl_b64 s[0:1], s[0:1], 1
	s_add_co_i32 s5, s5, s4
	s_cmp_eq_u32 s28, 0
	s_add_nc_u64 s[0:1], s[2:3], s[0:1]
	s_cselect_b32 s2, s6, s5
	s_mov_b32 s3, 0
	s_mulk_i32 s2, 0xf0
	s_delay_alu instid0(SALU_CYCLE_1)
	s_add_nc_u64 s[2:3], s[0:1], s[2:3]
	s_and_saveexec_b32 s0, vcc_lo
	s_cbranch_execz .LBB77_108
; %bb.107:
	;;#ASMSTART
	v_cvt_f16_f32 v0, v14;

	;;#ASMEND
	global_store_b16 v40, v0, s[2:3] scale_offset
.LBB77_108:
	s_wait_xcnt 0x0
	s_or_b32 exec_lo, exec_lo, s0
	v_or_b32_e32 v0, 16, v40
	s_delay_alu instid0(VALU_DEP_1) | instskip(SKIP_1) | instid1(SALU_CYCLE_1)
	v_cmp_gt_u32_e64 s0, 0x78, v0
	s_and_b32 s1, vcc_lo, s0
	s_and_saveexec_b32 s0, s1
	s_cbranch_execz .LBB77_110
; %bb.109:
	;;#ASMSTART
	v_cvt_f16_f32 v0, v15;

	;;#ASMEND
	global_store_b16 v40, v0, s[2:3] offset:32 scale_offset
.LBB77_110:
	s_wait_xcnt 0x0
	s_or_b32 exec_lo, exec_lo, s0
	v_or_b32_e32 v0, 32, v40
	s_delay_alu instid0(VALU_DEP_1) | instskip(SKIP_1) | instid1(SALU_CYCLE_1)
	v_cmp_gt_u32_e64 s0, 0x78, v0
	s_and_b32 s1, vcc_lo, s0
	s_and_saveexec_b32 s0, s1
	s_cbranch_execz .LBB77_112
; %bb.111:
	;;#ASMSTART
	v_cvt_f16_f32 v0, v6;

	;;#ASMEND
	global_store_b16 v40, v0, s[2:3] offset:64 scale_offset
.LBB77_112:
	;; [unrolled: 15-line block ×6, first 2 shown]
	s_wait_xcnt 0x0
	s_or_b32 exec_lo, exec_lo, s0
	v_or_b32_e32 v0, 0x70, v40
	s_delay_alu instid0(VALU_DEP_1) | instskip(SKIP_1) | instid1(SALU_CYCLE_1)
	v_cmp_gt_u32_e64 s0, 0x78, v0
	s_and_b32 s0, vcc_lo, s0
	s_and_b32 exec_lo, exec_lo, s0
	s_cbranch_execz .LBB77_122
; %bb.121:
	;;#ASMSTART
	v_cvt_f16_f32 v0, v3;

	;;#ASMEND
	global_store_b16 v40, v0, s[2:3] offset:224 scale_offset
.LBB77_122:
	s_sendmsg sendmsg(MSG_DEALLOC_VGPRS)
	s_endpgm
.LBB77_123:
	v_lshl_add_u32 v8, v27, 2, v1
	ds_load_b32 v8, v8
	s_wait_dscnt 0x0
	v_add_f32_e32 v14, v14, v8
	s_or_b32 exec_lo, exec_lo, s0
	s_and_saveexec_b32 s0, vcc_lo
	s_cbranch_execz .LBB77_79
.LBB77_124:
	v_lshl_add_u32 v8, v27, 2, v1
	ds_load_b32 v8, v8 offset:64
	s_wait_dscnt 0x0
	v_add_f32_e32 v15, v15, v8
	s_or_b32 exec_lo, exec_lo, s0
	s_and_saveexec_b32 s0, vcc_lo
	s_cbranch_execz .LBB77_80
.LBB77_125:
	v_lshl_add_u32 v8, v27, 2, v1
	ds_load_b32 v8, v8 offset:128
	s_wait_dscnt 0x0
	v_add_f32_e32 v6, v6, v8
	s_or_b32 exec_lo, exec_lo, s0
	s_and_saveexec_b32 s0, vcc_lo
	s_cbranch_execz .LBB77_81
.LBB77_126:
	v_lshl_add_u32 v8, v27, 2, v1
	ds_load_b32 v8, v8 offset:192
	s_wait_dscnt 0x0
	v_add_f32_e32 v7, v7, v8
	s_or_b32 exec_lo, exec_lo, s0
	s_and_saveexec_b32 s0, vcc_lo
	s_cbranch_execz .LBB77_82
.LBB77_127:
	v_lshl_add_u32 v8, v27, 2, v1
	ds_load_b32 v8, v8 offset:256
	s_wait_dscnt 0x0
	v_add_f32_e32 v4, v4, v8
	s_or_b32 exec_lo, exec_lo, s0
	s_and_saveexec_b32 s0, vcc_lo
	s_cbranch_execz .LBB77_83
.LBB77_128:
	v_lshl_add_u32 v8, v27, 2, v1
	ds_load_b32 v8, v8 offset:320
	s_wait_dscnt 0x0
	v_add_f32_e32 v5, v5, v8
	s_or_b32 exec_lo, exec_lo, s0
	s_and_saveexec_b32 s0, vcc_lo
	s_cbranch_execnz .LBB77_84
	s_branch .LBB77_85
.LBB77_129:
	ds_load_b32 v1, v0
	s_wait_dscnt 0x0
	v_add_f32_e32 v14, v14, v1
	s_or_b32 exec_lo, exec_lo, s1
	s_and_saveexec_b32 s1, vcc_lo
	s_cbranch_execz .LBB77_96
.LBB77_130:
	ds_load_b32 v1, v0 offset:64
	s_wait_dscnt 0x0
	v_add_f32_e32 v15, v15, v1
	s_or_b32 exec_lo, exec_lo, s1
	s_and_saveexec_b32 s1, vcc_lo
	s_cbranch_execz .LBB77_97
.LBB77_131:
	ds_load_b32 v1, v0 offset:128
	s_wait_dscnt 0x0
	v_add_f32_e32 v6, v6, v1
	s_or_b32 exec_lo, exec_lo, s1
	s_and_saveexec_b32 s1, vcc_lo
	s_cbranch_execz .LBB77_98
.LBB77_132:
	ds_load_b32 v1, v0 offset:192
	s_wait_dscnt 0x0
	v_add_f32_e32 v7, v7, v1
	s_or_b32 exec_lo, exec_lo, s1
	s_and_saveexec_b32 s1, vcc_lo
	s_cbranch_execz .LBB77_99
.LBB77_133:
	ds_load_b32 v1, v0 offset:256
	s_wait_dscnt 0x0
	v_add_f32_e32 v4, v4, v1
	s_or_b32 exec_lo, exec_lo, s1
	s_and_saveexec_b32 s1, vcc_lo
	s_cbranch_execz .LBB77_100
.LBB77_134:
	ds_load_b32 v1, v0 offset:320
	s_wait_dscnt 0x0
	v_add_f32_e32 v5, v5, v1
	s_or_b32 exec_lo, exec_lo, s1
	s_and_saveexec_b32 s1, vcc_lo
	s_cbranch_execnz .LBB77_101
	s_branch .LBB77_102
	.section	.rodata,"a",@progbits
	.p2align	6, 0x0
	.amdhsa_kernel _ZN4vllm25paged_attention_v1_kernelIttLi120ELi16ELi128ELNS_18Fp8KVCacheDataTypeE0ELb1EEEvPT_PKS2_PKT0_S8_ifPKiSA_iPKfiiiSC_SC_iiiii
		.amdhsa_group_segment_fixed_size 272
		.amdhsa_private_segment_fixed_size 0
		.amdhsa_kernarg_size 384
		.amdhsa_user_sgpr_count 2
		.amdhsa_user_sgpr_dispatch_ptr 0
		.amdhsa_user_sgpr_queue_ptr 0
		.amdhsa_user_sgpr_kernarg_segment_ptr 1
		.amdhsa_user_sgpr_dispatch_id 0
		.amdhsa_user_sgpr_kernarg_preload_length 0
		.amdhsa_user_sgpr_kernarg_preload_offset 0
		.amdhsa_user_sgpr_private_segment_size 0
		.amdhsa_wavefront_size32 1
		.amdhsa_uses_dynamic_stack 0
		.amdhsa_enable_private_segment 0
		.amdhsa_system_sgpr_workgroup_id_x 1
		.amdhsa_system_sgpr_workgroup_id_y 1
		.amdhsa_system_sgpr_workgroup_id_z 1
		.amdhsa_system_sgpr_workgroup_info 0
		.amdhsa_system_vgpr_workitem_id 0
		.amdhsa_next_free_vgpr 93
		.amdhsa_next_free_sgpr 40
		.amdhsa_named_barrier_count 0
		.amdhsa_reserve_vcc 1
		.amdhsa_float_round_mode_32 0
		.amdhsa_float_round_mode_16_64 0
		.amdhsa_float_denorm_mode_32 3
		.amdhsa_float_denorm_mode_16_64 3
		.amdhsa_fp16_overflow 0
		.amdhsa_memory_ordered 1
		.amdhsa_forward_progress 1
		.amdhsa_inst_pref_size 77
		.amdhsa_round_robin_scheduling 0
		.amdhsa_exception_fp_ieee_invalid_op 0
		.amdhsa_exception_fp_denorm_src 0
		.amdhsa_exception_fp_ieee_div_zero 0
		.amdhsa_exception_fp_ieee_overflow 0
		.amdhsa_exception_fp_ieee_underflow 0
		.amdhsa_exception_fp_ieee_inexact 0
		.amdhsa_exception_int_div_zero 0
	.end_amdhsa_kernel
	.section	.text._ZN4vllm25paged_attention_v1_kernelIttLi120ELi16ELi128ELNS_18Fp8KVCacheDataTypeE0ELb1EEEvPT_PKS2_PKT0_S8_ifPKiSA_iPKfiiiSC_SC_iiiii,"axG",@progbits,_ZN4vllm25paged_attention_v1_kernelIttLi120ELi16ELi128ELNS_18Fp8KVCacheDataTypeE0ELb1EEEvPT_PKS2_PKT0_S8_ifPKiSA_iPKfiiiSC_SC_iiiii,comdat
.Lfunc_end77:
	.size	_ZN4vllm25paged_attention_v1_kernelIttLi120ELi16ELi128ELNS_18Fp8KVCacheDataTypeE0ELb1EEEvPT_PKS2_PKT0_S8_ifPKiSA_iPKfiiiSC_SC_iiiii, .Lfunc_end77-_ZN4vllm25paged_attention_v1_kernelIttLi120ELi16ELi128ELNS_18Fp8KVCacheDataTypeE0ELb1EEEvPT_PKS2_PKT0_S8_ifPKiSA_iPKfiiiSC_SC_iiiii
                                        ; -- End function
	.set _ZN4vllm25paged_attention_v1_kernelIttLi120ELi16ELi128ELNS_18Fp8KVCacheDataTypeE0ELb1EEEvPT_PKS2_PKT0_S8_ifPKiSA_iPKfiiiSC_SC_iiiii.num_vgpr, 93
	.set _ZN4vllm25paged_attention_v1_kernelIttLi120ELi16ELi128ELNS_18Fp8KVCacheDataTypeE0ELb1EEEvPT_PKS2_PKT0_S8_ifPKiSA_iPKfiiiSC_SC_iiiii.num_agpr, 0
	.set _ZN4vllm25paged_attention_v1_kernelIttLi120ELi16ELi128ELNS_18Fp8KVCacheDataTypeE0ELb1EEEvPT_PKS2_PKT0_S8_ifPKiSA_iPKfiiiSC_SC_iiiii.numbered_sgpr, 40
	.set _ZN4vllm25paged_attention_v1_kernelIttLi120ELi16ELi128ELNS_18Fp8KVCacheDataTypeE0ELb1EEEvPT_PKS2_PKT0_S8_ifPKiSA_iPKfiiiSC_SC_iiiii.num_named_barrier, 0
	.set _ZN4vllm25paged_attention_v1_kernelIttLi120ELi16ELi128ELNS_18Fp8KVCacheDataTypeE0ELb1EEEvPT_PKS2_PKT0_S8_ifPKiSA_iPKfiiiSC_SC_iiiii.private_seg_size, 0
	.set _ZN4vllm25paged_attention_v1_kernelIttLi120ELi16ELi128ELNS_18Fp8KVCacheDataTypeE0ELb1EEEvPT_PKS2_PKT0_S8_ifPKiSA_iPKfiiiSC_SC_iiiii.uses_vcc, 1
	.set _ZN4vllm25paged_attention_v1_kernelIttLi120ELi16ELi128ELNS_18Fp8KVCacheDataTypeE0ELb1EEEvPT_PKS2_PKT0_S8_ifPKiSA_iPKfiiiSC_SC_iiiii.uses_flat_scratch, 0
	.set _ZN4vllm25paged_attention_v1_kernelIttLi120ELi16ELi128ELNS_18Fp8KVCacheDataTypeE0ELb1EEEvPT_PKS2_PKT0_S8_ifPKiSA_iPKfiiiSC_SC_iiiii.has_dyn_sized_stack, 0
	.set _ZN4vllm25paged_attention_v1_kernelIttLi120ELi16ELi128ELNS_18Fp8KVCacheDataTypeE0ELb1EEEvPT_PKS2_PKT0_S8_ifPKiSA_iPKfiiiSC_SC_iiiii.has_recursion, 0
	.set _ZN4vllm25paged_attention_v1_kernelIttLi120ELi16ELi128ELNS_18Fp8KVCacheDataTypeE0ELb1EEEvPT_PKS2_PKT0_S8_ifPKiSA_iPKfiiiSC_SC_iiiii.has_indirect_call, 0
	.section	.AMDGPU.csdata,"",@progbits
; Kernel info:
; codeLenInByte = 9856
; TotalNumSgprs: 42
; NumVgprs: 93
; ScratchSize: 0
; MemoryBound: 0
; FloatMode: 240
; IeeeMode: 1
; LDSByteSize: 272 bytes/workgroup (compile time only)
; SGPRBlocks: 0
; VGPRBlocks: 5
; NumSGPRsForWavesPerEU: 42
; NumVGPRsForWavesPerEU: 93
; NamedBarCnt: 0
; Occupancy: 10
; WaveLimiterHint : 1
; COMPUTE_PGM_RSRC2:SCRATCH_EN: 0
; COMPUTE_PGM_RSRC2:USER_SGPR: 2
; COMPUTE_PGM_RSRC2:TRAP_HANDLER: 0
; COMPUTE_PGM_RSRC2:TGID_X_EN: 1
; COMPUTE_PGM_RSRC2:TGID_Y_EN: 1
; COMPUTE_PGM_RSRC2:TGID_Z_EN: 1
; COMPUTE_PGM_RSRC2:TIDIG_COMP_CNT: 0
	.section	.text._ZN4vllm25paged_attention_v1_kernelIttLi128ELi16ELi128ELNS_18Fp8KVCacheDataTypeE0ELb1EEEvPT_PKS2_PKT0_S8_ifPKiSA_iPKfiiiSC_SC_iiiii,"axG",@progbits,_ZN4vllm25paged_attention_v1_kernelIttLi128ELi16ELi128ELNS_18Fp8KVCacheDataTypeE0ELb1EEEvPT_PKS2_PKT0_S8_ifPKiSA_iPKfiiiSC_SC_iiiii,comdat
	.protected	_ZN4vllm25paged_attention_v1_kernelIttLi128ELi16ELi128ELNS_18Fp8KVCacheDataTypeE0ELb1EEEvPT_PKS2_PKT0_S8_ifPKiSA_iPKfiiiSC_SC_iiiii ; -- Begin function _ZN4vllm25paged_attention_v1_kernelIttLi128ELi16ELi128ELNS_18Fp8KVCacheDataTypeE0ELb1EEEvPT_PKS2_PKT0_S8_ifPKiSA_iPKfiiiSC_SC_iiiii
	.globl	_ZN4vllm25paged_attention_v1_kernelIttLi128ELi16ELi128ELNS_18Fp8KVCacheDataTypeE0ELb1EEEvPT_PKS2_PKT0_S8_ifPKiSA_iPKfiiiSC_SC_iiiii
	.p2align	8
	.type	_ZN4vllm25paged_attention_v1_kernelIttLi128ELi16ELi128ELNS_18Fp8KVCacheDataTypeE0ELb1EEEvPT_PKS2_PKT0_S8_ifPKiSA_iPKfiiiSC_SC_iiiii,@function
_ZN4vllm25paged_attention_v1_kernelIttLi128ELi16ELi128ELNS_18Fp8KVCacheDataTypeE0ELb1EEEvPT_PKS2_PKT0_S8_ifPKiSA_iPKfiiiSC_SC_iiiii: ; @_ZN4vllm25paged_attention_v1_kernelIttLi128ELi16ELi128ELNS_18Fp8KVCacheDataTypeE0ELb1EEEvPT_PKS2_PKT0_S8_ifPKiSA_iPKfiiiSC_SC_iiiii
; %bb.0:
	s_load_b64 s[6:7], s[0:1], 0x20
	s_bfe_u32 s3, ttmp6, 0x4000c
	s_bfe_u32 s5, ttmp6, 0x40010
	s_and_b32 s4, ttmp7, 0xffff
	s_add_co_i32 s3, s3, 1
	s_add_co_i32 s5, s5, 1
	s_and_b32 s2, ttmp6, 15
	s_bfe_u32 s8, ttmp6, 0x40004
	s_mul_i32 s3, ttmp9, s3
	s_mul_i32 s5, s4, s5
	s_getreg_b32 s28, hwreg(HW_REG_IB_STS2, 6, 4)
	s_add_co_i32 s9, s2, s3
	s_add_co_i32 s8, s8, s5
	s_cmp_eq_u32 s28, 0
	s_clause 0x1
	s_load_b32 s29, s[0:1], 0x80
	s_load_b64 s[2:3], s[0:1], 0x30
	s_cselect_b32 s30, s4, s8
	s_cselect_b32 s4, ttmp9, s9
	s_mov_b32 s19, 0
	s_delay_alu instid0(SALU_CYCLE_1) | instskip(SKIP_2) | instid1(SALU_CYCLE_1)
	s_mov_b32 s35, s19
	s_wait_kmcnt 0x0
	s_abs_i32 s5, s6
	s_cvt_f32_u32 s8, s5
	s_sub_co_i32 s9, 0, s5
	s_delay_alu instid0(SALU_CYCLE_2) | instskip(SKIP_2) | instid1(TRANS32_DEP_1)
	v_rcp_iflag_f32_e32 v1, s8
	s_abs_i32 s10, s29
	v_nop
	v_readfirstlane_b32 s8, v1
	s_mul_f32 s8, s8, 0x4f7ffffe
	s_delay_alu instid0(SALU_CYCLE_3) | instskip(NEXT) | instid1(SALU_CYCLE_3)
	s_cvt_u32_f32 s8, s8
	s_mul_i32 s9, s9, s8
	s_delay_alu instid0(SALU_CYCLE_1) | instskip(NEXT) | instid1(SALU_CYCLE_1)
	s_mul_hi_u32 s9, s8, s9
	s_add_co_i32 s8, s8, s9
	s_xor_b32 s9, s29, s6
	s_mul_hi_u32 s8, s10, s8
	s_ashr_i32 s9, s9, 31
	s_mul_i32 s11, s8, s5
	s_delay_alu instid0(SALU_CYCLE_1)
	s_sub_co_i32 s10, s10, s11
	s_add_co_i32 s11, s8, 1
	s_sub_co_i32 s12, s10, s5
	s_cmp_ge_u32 s10, s5
	s_cselect_b32 s8, s11, s8
	s_cselect_b32 s10, s12, s10
	s_add_co_i32 s11, s8, 1
	s_cmp_ge_u32 s10, s5
	s_cselect_b32 s5, s11, s8
	s_load_b64 s[10:11], s[0:1], 0x40
	s_xor_b32 s5, s5, s9
	s_abs_i32 s18, s4
	s_sub_co_i32 s16, s5, s9
	s_mov_b32 s9, s19
	s_abs_i32 s15, s16
	s_delay_alu instid0(SALU_CYCLE_1) | instskip(SKIP_1) | instid1(SALU_CYCLE_2)
	s_cvt_f32_u32 s5, s15
	s_sub_co_i32 s8, 0, s15
	v_rcp_iflag_f32_e32 v1, s5
	v_nop
	s_delay_alu instid0(TRANS32_DEP_1) | instskip(SKIP_1) | instid1(SALU_CYCLE_3)
	v_readfirstlane_b32 s5, v1
	s_mul_f32 s5, s5, 0x4f7ffffe
	s_cvt_u32_f32 s5, s5
	s_delay_alu instid0(SALU_CYCLE_3) | instskip(NEXT) | instid1(SALU_CYCLE_1)
	s_mul_i32 s8, s8, s5
	s_mul_hi_u32 s8, s5, s8
	s_delay_alu instid0(SALU_CYCLE_1)
	s_add_co_i32 s8, s5, s8
	s_wait_kmcnt 0x0
	s_cmp_eq_u64 s[10:11], 0
	s_cbranch_scc1 .LBB78_2
; %bb.1:
	s_ashr_i32 s5, s4, 31
	s_delay_alu instid0(SALU_CYCLE_1) | instskip(NEXT) | instid1(SALU_CYCLE_1)
	s_lshl_b64 s[12:13], s[4:5], 2
	s_add_nc_u64 s[10:11], s[10:11], s[12:13]
	s_load_b32 s35, s[10:11], 0x0
.LBB78_2:
	s_load_b32 s31, s[2:3], s30 offset:0x0 scale_offset
	s_load_b96 s[12:14], s[0:1], 0x48
	v_dual_lshrrev_b32 v42, 1, v0 :: v_dual_bitop2_b32 v43, 1, v0 bitop3:0x40
	s_wait_xcnt 0x0
	v_cmp_gt_u32_e64 s2, 32, v0
	s_ashr_i32 s3, s4, 31
	s_ashr_i32 s5, s16, 31
	s_mul_u64 s[20:21], s[18:19], s[8:9]
	s_lshl_b32 s16, s4, 7
	s_and_saveexec_b32 s8, s2
	s_cbranch_execz .LBB78_4
; %bb.3:
	s_load_b64 s[10:11], s[0:1], 0x8
	s_wait_kmcnt 0x0
	s_mul_i32 s22, s12, s30
	s_ashr_i32 s17, s16, 31
	s_ashr_i32 s23, s22, 31
	v_lshlrev_b32_e32 v1, 3, v42
	s_lshl_b64 s[22:23], s[22:23], 1
	s_delay_alu instid0(VALU_DEP_1) | instskip(SKIP_2) | instid1(SALU_CYCLE_1)
	v_lshl_add_u32 v1, v43, 7, v1
	s_add_nc_u64 s[10:11], s[10:11], s[22:23]
	s_lshl_b64 s[22:23], s[16:17], 1
	s_add_nc_u64 s[10:11], s[10:11], s[22:23]
	global_load_b64 v[2:3], v0, s[10:11] scale_offset
	s_wait_loadcnt 0x0
	ds_store_b64 v1, v[2:3]
.LBB78_4:
	s_or_b32 exec_lo, exec_lo, s8
	s_load_b128 s[8:11], s[0:1], 0x68
	s_wait_kmcnt 0x0
	s_mul_i32 s12, s21, s15
	s_xor_b32 s5, s3, s5
	s_sub_co_i32 s3, s18, s12
	s_add_co_i32 s12, s21, 1
	s_sub_co_i32 s17, s3, s15
	s_cmp_ge_u32 s3, s15
	s_mov_b32 s22, -1
	s_cselect_b32 s12, s12, s21
	s_cselect_b32 s3, s17, s3
	s_add_co_i32 s17, s12, 1
	s_cmp_ge_u32 s3, s15
	s_load_b32 s3, s[0:1], 0x78
	s_cselect_b32 s15, s17, s12
	s_mov_b32 s21, 0
	s_xor_b32 s15, s15, s5
	s_mov_b32 s19, s21
	s_sub_co_i32 s5, s15, s5
	s_wait_dscnt 0x0
	s_barrier_signal -1
	s_abs_i32 s12, s11
	s_barrier_wait -1
	s_cvt_f32_u32 s17, s12
	s_sub_co_i32 s18, 0, s12
	s_delay_alu instid0(SALU_CYCLE_2) | instskip(SKIP_1) | instid1(TRANS32_DEP_1)
	v_rcp_iflag_f32_e32 v1, s17
	v_nop
	v_readfirstlane_b32 s17, v1
	s_mul_f32 s15, s17, 0x4f7ffffe
	s_delay_alu instid0(SALU_CYCLE_3) | instskip(SKIP_1) | instid1(SALU_CYCLE_1)
	s_cvt_u32_f32 s17, s15
	s_add_co_i32 s15, s31, -1
	s_abs_i32 s20, s15
	s_delay_alu instid0(SALU_CYCLE_1) | instskip(NEXT) | instid1(SALU_CYCLE_1)
	s_mul_i32 s18, s18, s17
	s_mul_hi_u32 s18, s17, s18
	s_delay_alu instid0(SALU_CYCLE_1)
	s_add_co_i32 s18, s17, s18
	s_wait_kmcnt 0x0
	s_cmp_lt_i32 s3, 0
                                        ; implicit-def: $sgpr17
	s_cbranch_scc0 .LBB78_6
; %bb.5:
	s_mul_i32 s6, s8, s6
	s_mov_b32 s22, s21
	s_add_co_i32 s6, s5, s6
	s_delay_alu instid0(SALU_CYCLE_1) | instskip(NEXT) | instid1(SALU_CYCLE_1)
	s_mul_i32 s6, s6, s3
	s_sub_co_i32 s17, 1, s6
.LBB78_6:
	s_ashr_i32 s6, s15, 31
	s_ashr_i32 s33, s11, 31
	s_and_not1_b32 vcc_lo, exec_lo, s22
	s_mul_u64 s[24:25], s[20:21], s[18:19]
	s_cbranch_vccnz .LBB78_8
; %bb.7:
	s_mul_i32 s8, s29, s8
	s_delay_alu instid0(SALU_CYCLE_1) | instskip(NEXT) | instid1(SALU_CYCLE_1)
	s_add_co_i32 s4, s8, s4
	s_mul_i32 s3, s4, s3
	s_delay_alu instid0(SALU_CYCLE_1)
	s_add_co_i32 s17, s3, 1
.LBB78_8:
	s_load_b32 s3, s[0:1], 0x38
	s_xor_b32 s4, s6, s33
	s_mul_i32 s6, s25, s12
	s_add_co_i32 s8, s25, 1
	s_sub_co_i32 s6, s20, s6
	s_clause 0x1
	s_load_b64 s[20:21], s[0:1], 0x28
	s_load_b32 s11, s[0:1], 0x88
	v_dual_lshrrev_b32 v44, 5, v0 :: v_dual_lshlrev_b32 v7, 3, v0
	v_dual_mov_b32 v48, 0xff7fffff :: v_dual_lshrrev_b32 v1, 3, v0
	v_mbcnt_lo_u32_b32 v45, -1, 0
	s_delay_alu instid0(VALU_DEP_3)
	v_lshlrev_b32_e32 v6, 4, v44
	s_mul_i32 s14, s5, s14
	s_wait_kmcnt 0x0
	s_mul_i32 s22, s3, s30
	s_sub_co_i32 s3, s6, s12
	s_ashr_i32 s23, s22, 31
	s_cmp_ge_u32 s6, s12
	s_cselect_b32 s8, s8, s25
	s_cselect_b32 s3, s3, s6
	s_add_co_i32 s6, s8, 1
	s_cmp_ge_u32 s3, s12
	s_cselect_b32 s3, s6, s8
	s_add_co_i32 s6, s31, 15
	s_delay_alu instid0(SALU_CYCLE_1) | instskip(NEXT) | instid1(SALU_CYCLE_1)
	s_ashr_i32 s8, s6, 31
	s_lshr_b32 s8, s8, 28
	s_delay_alu instid0(SALU_CYCLE_1) | instskip(NEXT) | instid1(SALU_CYCLE_1)
	s_add_co_i32 s6, s6, s8
	s_ashr_i32 s34, s6, 4
	s_xor_b32 s6, s3, s4
	v_cmp_gt_i32_e64 s3, s34, v44
	s_sub_co_i32 s8, s6, s4
	s_and_saveexec_b32 s36, s3
	s_cbranch_execz .LBB78_20
; %bb.9:
	s_load_b64 s[38:39], s[0:1], 0x10
	s_ashr_i32 s15, s14, 31
	s_sub_co_i32 s37, s8, s9
	s_ashr_i32 s25, s13, 31
	s_lshl_b64 s[40:41], s[14:15], 1
	s_cmp_neq_f32 s35, 0
	v_bfe_u32 v46, v0, 1, 4
	v_dual_mov_b32 v3, 0 :: v_dual_lshlrev_b32 v47, 7, v43
	s_cselect_b32 vcc_lo, -1, 0
	s_abs_i32 s15, s10
	s_delay_alu instid0(VALU_DEP_2)
	v_lshlrev_b32_e32 v2, 4, v46
	s_cvt_f32_u32 s4, s15
	v_subrev_nc_u32_e32 v8, s31, v46
	v_lshlrev_b32_e32 v9, 2, v46
	s_sub_co_i32 s6, 0, s15
	v_rcp_iflag_f32_e32 v4, s4
	v_cmp_eq_u32_e64 s4, 0, v43
	v_xor_b32_e32 v52, 1, v45
	v_lshl_or_b32 v9, v44, 6, v9
	s_wait_kmcnt 0x0
	s_add_nc_u64 s[38:39], s[38:39], s[40:41]
	v_dual_mov_b32 v48, 0xff7fffff :: v_dual_add_nc_u32 v49, 1, v8
	v_readfirstlane_b32 s5, v4
	v_add_nc_u64_e32 v[4:5], s[38:39], v[2:3]
	v_and_b32_e32 v2, 8, v7
	s_lshl_b64 s[38:39], s[22:23], 2
	v_dual_mov_b32 v53, v44 :: v_dual_add_nc_u32 v50, 0x120, v9
	s_mul_f32 s5, s5, 0x4f7ffffe
	s_add_nc_u64 s[38:39], s[20:21], s[38:39]
	s_delay_alu instid0(VALU_DEP_3)
	v_add_nc_u64_e32 v[4:5], v[4:5], v[2:3]
	v_and_b32_e32 v2, 0x7c, v1
	s_cvt_u32_f32 s5, s5
	v_mov_b32_e32 v51, 0xff7fffff
	s_mov_b32 s27, 0
	s_mov_b32 s24, s13
	v_add_nc_u64_e32 v[8:9], s[38:39], v[2:3]
	s_mul_i32 s6, s6, s5
	v_lshlrev_b32_e32 v2, 4, v44
	s_mul_hi_u32 s6, s5, s6
	s_mov_b32 s38, s27
	s_add_co_i32 s26, s5, s6
	s_branch .LBB78_12
.LBB78_10:                              ;   in Loop: Header=BB78_12 Depth=1
	s_or_b32 exec_lo, exec_lo, s39
.LBB78_11:                              ;   in Loop: Header=BB78_12 Depth=1
	s_delay_alu instid0(SALU_CYCLE_1) | instskip(SKIP_3) | instid1(VALU_DEP_3)
	s_or_b32 exec_lo, exec_lo, s6
	v_dual_add_nc_u32 v53, 4, v53 :: v_dual_add_nc_u32 v2, 64, v2
	v_add_nc_u64_e32 v[8:9], 16, v[8:9]
	v_add_nc_u32_e32 v50, 0x100, v50
	v_cmp_le_i32_e64 s5, s34, v53
	s_or_b32 s38, s5, s38
	s_delay_alu instid0(SALU_CYCLE_1)
	s_and_not1_b32 exec_lo, exec_lo, s38
	s_cbranch_execz .LBB78_19
.LBB78_12:                              ; =>This Inner Loop Header: Depth=1
	s_wait_dscnt 0x0
	v_mul_u64_e32 v[10:11], s[18:19], v[2:3]
	s_delay_alu instid0(VALU_DEP_1) | instskip(NEXT) | instid1(VALU_DEP_1)
	v_mul_lo_u32 v10, v11, s12
	v_dual_add_nc_u32 v12, 1, v11 :: v_dual_sub_nc_u32 v10, v2, v10
	s_delay_alu instid0(VALU_DEP_1) | instskip(SKIP_1) | instid1(VALU_DEP_1)
	v_subrev_nc_u32_e32 v13, s12, v10
	v_cmp_le_u32_e64 s5, s12, v10
	v_dual_cndmask_b32 v11, v11, v12, s5 :: v_dual_cndmask_b32 v10, v10, v13, s5
	s_delay_alu instid0(VALU_DEP_1) | instskip(NEXT) | instid1(VALU_DEP_2)
	v_add_nc_u32_e32 v12, 1, v11
	v_cmp_le_u32_e64 s5, s12, v10
	s_delay_alu instid0(VALU_DEP_1) | instskip(NEXT) | instid1(VALU_DEP_1)
	v_cndmask_b32_e64 v10, v11, v12, s5
	v_dual_mov_b32 v11, v3 :: v_dual_bitop2_b32 v10, s33, v10 bitop3:0x14
	s_delay_alu instid0(VALU_DEP_1) | instskip(NEXT) | instid1(VALU_DEP_1)
	v_subrev_nc_u32_e32 v14, s33, v10
	v_add_nc_u32_e32 v15, s17, v14
	v_cmp_ge_i32_e64 s6, s37, v14
	s_delay_alu instid0(VALU_DEP_2) | instskip(NEXT) | instid1(VALU_DEP_1)
	v_sub_nc_u32_e32 v10, 0, v15
	v_max_i32_e32 v10, v15, v10
	s_delay_alu instid0(VALU_DEP_1) | instskip(SKIP_1) | instid1(VALU_DEP_2)
	v_mul_u64_e32 v[12:13], s[26:27], v[10:11]
	v_ashrrev_i32_e32 v12, 31, v15
	v_mul_lo_u32 v11, v13, s15
	s_delay_alu instid0(VALU_DEP_1) | instskip(NEXT) | instid1(VALU_DEP_1)
	v_sub_nc_u32_e32 v10, v10, v11
	v_subrev_nc_u32_e32 v11, s15, v10
	v_cmp_le_u32_e64 s5, s15, v10
	s_delay_alu instid0(VALU_DEP_1) | instskip(NEXT) | instid1(VALU_DEP_1)
	v_cndmask_b32_e64 v10, v10, v11, s5
	v_subrev_nc_u32_e32 v11, s15, v10
	v_cmp_le_u32_e64 s5, s15, v10
	s_delay_alu instid0(VALU_DEP_1) | instskip(NEXT) | instid1(VALU_DEP_1)
	v_cndmask_b32_e64 v10, v10, v11, s5
	v_xor_b32_e32 v10, v10, v12
	s_delay_alu instid0(VALU_DEP_1) | instskip(NEXT) | instid1(VALU_DEP_1)
	v_sub_nc_u32_e32 v10, v10, v12
	v_cmp_ne_u32_e64 s5, 0, v10
	s_and_b32 s5, s5, s6
	s_delay_alu instid0(SALU_CYCLE_1) | instskip(NEXT) | instid1(SALU_CYCLE_1)
	s_and_saveexec_b32 s6, s5
	s_xor_b32 s5, exec_lo, s6
	s_cbranch_execz .LBB78_16
; %bb.13:                               ;   in Loop: Header=BB78_12 Depth=1
	s_and_saveexec_b32 s6, s4
; %bb.14:                               ;   in Loop: Header=BB78_12 Depth=1
	ds_store_b32 v50, v51
; %bb.15:                               ;   in Loop: Header=BB78_12 Depth=1
	s_or_b32 exec_lo, exec_lo, s6
.LBB78_16:                              ;   in Loop: Header=BB78_12 Depth=1
	s_and_not1_saveexec_b32 s6, s5
	s_cbranch_execz .LBB78_11
; %bb.17:                               ;   in Loop: Header=BB78_12 Depth=1
	global_load_b32 v10, v[8:9], off
	v_cmp_gt_i32_e64 s5, 32, v52
	s_wait_loadcnt 0x0
	v_ashrrev_i32_e32 v11, 31, v10
	s_delay_alu instid0(VALU_DEP_1) | instskip(NEXT) | instid1(VALU_DEP_1)
	v_mul_u64_e32 v[10:11], s[24:25], v[10:11]
	v_lshl_add_u64 v[38:39], v[10:11], 1, v[4:5]
	s_clause 0x9
	global_load_b64 v[54:55], v[38:39], off
	global_load_b64 v[40:41], v[38:39], off offset:256
	global_load_b64 v[36:37], v[38:39], off offset:512
	;; [unrolled: 1-line block ×9, first 2 shown]
	ds_load_b64 v[10:11], v47
	s_wait_dscnt 0x0
	v_and_b32_e32 v56, 0xffff, v10
	v_dual_lshrrev_b32 v57, 16, v10 :: v_dual_lshrrev_b32 v62, 16, v11
	v_and_b32_e32 v63, 0xffff, v11
	s_clause 0x5
	global_load_b64 v[20:21], v[38:39], off offset:2560
	global_load_b64 v[18:19], v[38:39], off offset:2816
	;; [unrolled: 1-line block ×6, first 2 shown]
	;;#ASMSTART
	v_cvt_f32_f16 v59, v56;
	;;#ASMEND
	;;#ASMSTART
	v_cvt_f32_f16 v58, v57;
	;;#ASMEND
	s_wait_loadcnt 0xf
	s_wait_xcnt 0x0
	v_and_b32_e32 v38, 0xffff, v54
	v_dual_lshrrev_b32 v39, 16, v54 :: v_dual_lshrrev_b32 v56, 16, v55
	v_and_b32_e32 v57, 0xffff, v55
	;;#ASMSTART
	v_cvt_f32_f16 v61, v38;
	;;#ASMEND
	;;#ASMSTART
	v_cvt_f32_f16 v60, v39;
	;;#ASMEND
	;; [unrolled: 3-line block ×5, first 2 shown]
	s_wait_loadcnt 0xe
	v_lshrrev_b32_e32 v63, 16, v40
	;;#ASMSTART
	v_cvt_f32_f16 v56, v56;
	;;#ASMEND
	ds_load_b64 v[38:39], v47 offset:8
	v_and_b32_e32 v62, 0xffff, v40
	v_lshrrev_b32_e32 v66, 16, v41
	v_and_b32_e32 v65, 0xffff, v41
	s_wait_loadcnt 0xd
	v_and_b32_e32 v68, 0xffff, v36
	v_and_b32_e32 v71, 0xffff, v37
	s_wait_loadcnt 0xc
	v_and_b32_e32 v74, 0xffff, v34
	;; [unrolled: 3-line block ×3, first 2 shown]
	s_wait_loadcnt 0x9
	v_and_b32_e32 v92, 0xffff, v29
	v_dual_lshrrev_b32 v69, 16, v36 :: v_dual_lshrrev_b32 v88, 16, v31
	v_lshrrev_b32_e32 v89, 16, v28
	v_and_b32_e32 v31, 0xffff, v31
	v_and_b32_e32 v90, 0xffff, v28
	v_dual_lshrrev_b32 v75, 16, v34 :: v_dual_lshrrev_b32 v80, 16, v32
	v_and_b32_e32 v32, 0xffff, v32
	v_lshrrev_b32_e32 v86, 16, v30
	s_wait_dscnt 0x0
	v_and_b32_e32 v40, 0xffff, v38
	v_lshrrev_b32_e32 v38, 16, v38
	v_and_b32_e32 v64, 0xffff, v39
	v_lshrrev_b32_e32 v39, 16, v39
	;;#ASMSTART
	v_cvt_f32_f16 v40, v40;
	;;#ASMEND
	;;#ASMSTART
	v_cvt_f32_f16 v41, v38;
	;;#ASMEND
	;; [unrolled: 3-line block ×8, first 2 shown]
	ds_load_b64 v[66:67], v47 offset:16
	v_lshrrev_b32_e32 v72, 16, v37
	v_dual_lshrrev_b32 v91, 16, v29 :: v_dual_mul_f32 v29, v40, v62
	v_mul_f32_e32 v28, v64, v65
	s_delay_alu instid0(VALU_DEP_2)
	v_fmac_f32_e32 v29, v59, v61
	s_wait_dscnt 0x0
	v_and_b32_e32 v36, 0xffff, v66
	v_lshrrev_b32_e32 v70, 16, v66
	v_and_b32_e32 v73, 0xffff, v67
	v_lshrrev_b32_e32 v67, 16, v67
	;;#ASMSTART
	v_cvt_f32_f16 v66, v36;
	;;#ASMEND
	;;#ASMSTART
	v_cvt_f32_f16 v36, v70;
	;;#ASMEND
	;; [unrolled: 3-line block ×8, first 2 shown]
	ds_load_b64 v[72:73], v47 offset:24
	s_wait_dscnt 0x0
	v_dual_lshrrev_b32 v78, 16, v35 :: v_dual_lshrrev_b32 v76, 16, v72
	v_and_b32_e32 v34, 0xffff, v72
	v_and_b32_e32 v79, 0xffff, v73
	v_lshrrev_b32_e32 v73, 16, v73
	;;#ASMSTART
	v_cvt_f32_f16 v72, v34;
	;;#ASMEND
	;;#ASMSTART
	v_cvt_f32_f16 v34, v76;
	;;#ASMEND
	;; [unrolled: 3-line block ×8, first 2 shown]
	ds_load_b64 v[78:79], v47 offset:32
	v_lshrrev_b32_e32 v81, 16, v33
	v_and_b32_e32 v33, 0xffff, v33
	s_wait_dscnt 0x0
	v_and_b32_e32 v82, 0xffff, v78
	v_lshrrev_b32_e32 v78, 16, v78
	v_and_b32_e32 v83, 0xffff, v79
	v_lshrrev_b32_e32 v79, 16, v79
	;;#ASMSTART
	v_cvt_f32_f16 v82, v82;
	;;#ASMEND
	;;#ASMSTART
	v_cvt_f32_f16 v78, v78;
	;;#ASMEND
	;; [unrolled: 3-line block ×8, first 2 shown]
	ds_load_b64 v[32:33], v47 offset:40
	v_mul_f32_e32 v30, v41, v63
	s_wait_dscnt 0x0
	v_and_b32_e32 v40, 0xffff, v32
	v_lshrrev_b32_e32 v32, 16, v32
	v_and_b32_e32 v41, 0xffff, v33
	v_dual_fmac_f32 v30, v58, v60 :: v_dual_lshrrev_b32 v33, 16, v33
	;;#ASMSTART
	v_cvt_f32_f16 v40, v40;
	;;#ASMEND
	;;#ASMSTART
	v_cvt_f32_f16 v62, v32;
	;;#ASMEND
	;; [unrolled: 3-line block ×8, first 2 shown]
	ds_load_b64 v[32:33], v47 offset:48
	v_fmac_f32_e32 v30, v36, v37
	s_wait_dscnt 0x0
	v_and_b32_e32 v31, 0xffff, v32
	v_dual_lshrrev_b32 v32, 16, v32 :: v_dual_lshrrev_b32 v58, 16, v33
	v_and_b32_e32 v33, 0xffff, v33
	;;#ASMSTART
	v_cvt_f32_f16 v59, v31;
	;;#ASMEND
	;;#ASMSTART
	v_cvt_f32_f16 v60, v32;
	;;#ASMEND
	;; [unrolled: 3-line block ×5, first 2 shown]
	s_wait_loadcnt 0x8
	v_dual_mul_f32 v31, v38, v39 :: v_dual_lshrrev_b32 v38, 16, v26
	;;#ASMSTART
	v_cvt_f32_f16 v58, v58;
	;;#ASMEND
	;;#ASMSTART
	v_cvt_f32_f16 v90, v92;
	;;#ASMEND
	;; [unrolled: 3-line block ×3, first 2 shown]
	ds_load_b64 v[32:33], v47 offset:56
	v_dual_fmac_f32 v28, v55, v57 :: v_dual_lshrrev_b32 v39, 16, v27
	v_and_b32_e32 v26, 0xffff, v26
	v_and_b32_e32 v27, 0xffff, v27
	v_fmac_f32_e32 v31, v54, v56
	s_wait_loadcnt 0x7
	v_dual_fmac_f32 v29, v66, v68 :: v_dual_lshrrev_b32 v66, 16, v22
	v_and_b32_e32 v22, 0xffff, v22
	s_delay_alu instid0(VALU_DEP_2)
	v_fmac_f32_e32 v29, v72, v74
	s_wait_dscnt 0x0
	v_and_b32_e32 v54, 0xffff, v32
	v_dual_lshrrev_b32 v32, 16, v32 :: v_dual_lshrrev_b32 v55, 16, v33
	v_and_b32_e32 v33, 0xffff, v33
	;;#ASMSTART
	v_cvt_f32_f16 v54, v54;
	;;#ASMEND
	;;#ASMSTART
	v_cvt_f32_f16 v32, v32;
	;;#ASMEND
	;; [unrolled: 3-line block ×8, first 2 shown]
	ds_load_b64 v[26:27], v47 offset:64
	v_lshrrev_b32_e32 v36, 16, v23
	v_and_b32_e32 v23, 0xffff, v23
	v_dual_fmac_f32 v28, v70, v71 :: v_dual_fmac_f32 v31, v67, v69
	s_wait_loadcnt 0x6
	v_lshrrev_b32_e32 v70, 16, v24
	v_and_b32_e32 v24, 0xffff, v24
	v_lshrrev_b32_e32 v71, 16, v25
	v_and_b32_e32 v25, 0xffff, v25
	s_wait_loadcnt 0x5
	v_dual_fmac_f32 v31, v73, v75 :: v_dual_lshrrev_b32 v73, 16, v21
	v_fmac_f32_e32 v29, v82, v84
	v_and_b32_e32 v21, 0xffff, v21
	s_wait_loadcnt 0x4
	v_lshrrev_b32_e32 v82, 16, v18
	v_and_b32_e32 v18, 0xffff, v18
	s_wait_loadcnt 0x3
	v_lshrrev_b32_e32 v84, 16, v16
	v_and_b32_e32 v16, 0xffff, v16
	s_wait_dscnt 0x0
	v_and_b32_e32 v37, 0xffff, v26
	v_dual_lshrrev_b32 v26, 16, v26 :: v_dual_lshrrev_b32 v67, 16, v27
	v_and_b32_e32 v27, 0xffff, v27
	;;#ASMSTART
	v_cvt_f32_f16 v37, v37;
	;;#ASMEND
	;;#ASMSTART
	v_cvt_f32_f16 v26, v26;
	;;#ASMEND
	;; [unrolled: 3-line block ×8, first 2 shown]
	ds_load_b64 v[22:23], v47 offset:72
	v_dual_fmac_f32 v30, v34, v35 :: v_dual_fmac_f32 v28, v76, v77
	v_lshrrev_b32_e32 v76, 16, v20
	v_and_b32_e32 v20, 0xffff, v20
	s_wait_dscnt 0x0
	v_and_b32_e32 v34, 0xffff, v22
	v_dual_lshrrev_b32 v22, 16, v22 :: v_dual_lshrrev_b32 v35, 16, v23
	v_and_b32_e32 v23, 0xffff, v23
	;;#ASMSTART
	v_cvt_f32_f16 v34, v34;
	;;#ASMEND
	;;#ASMSTART
	v_cvt_f32_f16 v72, v22;
	;;#ASMEND
	;; [unrolled: 3-line block ×8, first 2 shown]
	ds_load_b64 v[22:23], v47 offset:80
	v_dual_fmac_f32 v30, v78, v80 :: v_dual_fmac_f32 v28, v83, v85
	v_lshrrev_b32_e32 v83, 16, v19
	v_and_b32_e32 v19, 0xffff, v19
	s_delay_alu instid0(VALU_DEP_3)
	v_dual_fmac_f32 v30, v62, v64 :: v_dual_fmac_f32 v28, v41, v86
	v_lshrrev_b32_e32 v62, 16, v17
	v_and_b32_e32 v17, 0xffff, v17
	s_wait_loadcnt 0x2
	v_lshrrev_b32_e32 v86, 16, v14
	v_and_b32_e32 v14, 0xffff, v14
	v_fmac_f32_e32 v28, v89, v90
	s_wait_dscnt 0x0
	v_and_b32_e32 v75, 0xffff, v22
	v_dual_lshrrev_b32 v22, 16, v22 :: v_dual_lshrrev_b32 v77, 16, v23
	v_and_b32_e32 v23, 0xffff, v23
	;;#ASMSTART
	v_cvt_f32_f16 v75, v75;
	;;#ASMEND
	;;#ASMSTART
	v_cvt_f32_f16 v22, v22;
	;;#ASMEND
	;;#ASMSTART
	v_cvt_f32_f16 v78, v20;
	;;#ASMEND
	;;#ASMSTART
	v_cvt_f32_f16 v76, v76;
	;;#ASMEND
	;;#ASMSTART
	v_cvt_f32_f16 v23, v23;
	;;#ASMEND
	;;#ASMSTART
	v_cvt_f32_f16 v77, v77;
	;;#ASMEND
	;;#ASMSTART
	v_cvt_f32_f16 v80, v21;
	;;#ASMEND
	;;#ASMSTART
	v_cvt_f32_f16 v73, v73;
	;;#ASMEND
	ds_load_b64 v[20:21], v47 offset:88
	v_dual_fmac_f32 v31, v79, v81 :: v_dual_fmac_f32 v29, v40, v63
	s_wait_dscnt 0x0
	v_lshrrev_b32_e32 v40, 16, v21
	v_and_b32_e32 v79, 0xffff, v20
	v_lshrrev_b32_e32 v20, 16, v20
	v_and_b32_e32 v21, 0xffff, v21
	;;#ASMSTART
	v_cvt_f32_f16 v63, v79;
	;;#ASMEND
	;;#ASMSTART
	v_cvt_f32_f16 v20, v20;
	;;#ASMEND
	;; [unrolled: 3-line block ×8, first 2 shown]
	ds_load_b64 v[18:19], v47 offset:96
	v_dual_fmac_f32 v31, v65, v87 :: v_dual_fmac_f32 v29, v59, v61
	v_lshrrev_b32_e32 v59, 16, v15
	v_and_b32_e32 v15, 0xffff, v15
	s_wait_loadcnt 0x1
	s_delay_alu instid0(VALU_DEP_3) | instskip(SKIP_1) | instid1(VALU_DEP_2)
	v_dual_lshrrev_b32 v61, 16, v12 :: v_dual_fmac_f32 v31, v58, v91
	v_and_b32_e32 v12, 0xffff, v12
	v_fmac_f32_e32 v31, v55, v39
	s_wait_dscnt 0x0
	v_and_b32_e32 v41, 0xffff, v18
	v_dual_lshrrev_b32 v18, 16, v18 :: v_dual_lshrrev_b32 v64, 16, v19
	v_and_b32_e32 v19, 0xffff, v19
	;;#ASMSTART
	v_cvt_f32_f16 v41, v41;
	;;#ASMEND
	;;#ASMSTART
	v_cvt_f32_f16 v18, v18;
	;;#ASMEND
	;; [unrolled: 3-line block ×8, first 2 shown]
	ds_load_b64 v[16:17], v47 offset:104
	s_wait_dscnt 0x0
	v_dual_fmac_f32 v30, v60, v88 :: v_dual_lshrrev_b32 v87, 16, v17
	v_and_b32_e32 v60, 0xffff, v16
	v_lshrrev_b32_e32 v16, 16, v16
	v_and_b32_e32 v17, 0xffff, v17
	;;#ASMSTART
	v_cvt_f32_f16 v60, v60;
	;;#ASMEND
	;;#ASMSTART
	v_cvt_f32_f16 v16, v16;
	;;#ASMEND
	;; [unrolled: 3-line block ×8, first 2 shown]
	ds_load_b64 v[14:15], v47 offset:112
	v_dual_fmac_f32 v29, v54, v56 :: v_dual_fmac_f32 v30, v32, v38
	v_lshrrev_b32_e32 v32, 16, v13
	v_fmac_f32_e32 v28, v33, v57
	v_and_b32_e32 v13, 0xffff, v13
	s_delay_alu instid0(VALU_DEP_4) | instskip(NEXT) | instid1(VALU_DEP_3)
	v_dual_fmac_f32 v30, v26, v66 :: v_dual_fmac_f32 v29, v37, v68
	v_fmac_f32_e32 v28, v27, v69
	s_delay_alu instid0(VALU_DEP_2) | instskip(SKIP_1) | instid1(VALU_DEP_3)
	v_dual_fmac_f32 v31, v67, v36 :: v_dual_fmac_f32 v30, v72, v70
	s_wait_loadcnt 0x0
	v_dual_fmac_f32 v29, v34, v24 :: v_dual_lshrrev_b32 v24, 16, v10
	s_delay_alu instid0(VALU_DEP_2) | instskip(NEXT) | instid1(VALU_DEP_2)
	v_dual_fmac_f32 v28, v74, v25 :: v_dual_fmac_f32 v31, v35, v71
	v_dual_fmac_f32 v30, v22, v76 :: v_dual_fmac_f32 v29, v75, v78
	v_and_b32_e32 v10, 0xffff, v10
	s_wait_dscnt 0x0
	v_and_b32_e32 v22, 0xffff, v14
	v_dual_lshrrev_b32 v14, 16, v14 :: v_dual_fmac_f32 v28, v23, v80
	v_dual_lshrrev_b32 v23, 16, v15 :: v_dual_fmac_f32 v31, v77, v73
	v_and_b32_e32 v15, 0xffff, v15
	;;#ASMSTART
	v_cvt_f32_f16 v22, v22;
	;;#ASMEND
	;;#ASMSTART
	v_cvt_f32_f16 v14, v14;
	;;#ASMEND
	;; [unrolled: 3-line block ×8, first 2 shown]
	ds_load_b64 v[12:13], v47 offset:120
	v_dual_fmac_f32 v29, v63, v79 :: v_dual_fmac_f32 v30, v20, v81
	v_dual_fmac_f32 v28, v21, v82 :: v_dual_fmac_f32 v31, v40, v83
	s_delay_alu instid0(VALU_DEP_2) | instskip(NEXT) | instid1(VALU_DEP_2)
	v_dual_fmac_f32 v29, v41, v65 :: v_dual_fmac_f32 v30, v18, v84
	v_dual_fmac_f32 v28, v19, v85 :: v_dual_lshrrev_b32 v18, 16, v11
	s_delay_alu instid0(VALU_DEP_3) | instskip(SKIP_1) | instid1(VALU_DEP_3)
	v_fmac_f32_e32 v31, v64, v62
	v_and_b32_e32 v11, 0xffff, v11
	v_dual_fmac_f32 v28, v17, v89 :: v_dual_fmac_f32 v29, v60, v88
	s_delay_alu instid0(VALU_DEP_3) | instskip(NEXT) | instid1(VALU_DEP_2)
	v_dual_fmac_f32 v31, v87, v59 :: v_dual_fmac_f32 v30, v16, v86
	v_dual_fmac_f32 v28, v15, v27 :: v_dual_fmac_f32 v29, v22, v25
	s_wait_dscnt 0x0
	s_delay_alu instid0(VALU_DEP_2)
	v_dual_fmac_f32 v30, v14, v26 :: v_dual_lshrrev_b32 v15, 16, v13
	v_and_b32_e32 v14, 0xffff, v12
	v_lshrrev_b32_e32 v12, 16, v12
	;;#ASMSTART
	v_cvt_f32_f16 v14, v14;
	;;#ASMEND
	;;#ASMSTART
	v_cvt_f32_f16 v12, v12;
	;;#ASMEND
	;; [unrolled: 3-line block ×3, first 2 shown]
	v_dual_fmac_f32 v31, v23, v32 :: v_dual_fmac_f32 v29, v14, v10
	v_and_b32_e32 v13, 0xffff, v13
	;;#ASMSTART
	v_cvt_f32_f16 v16, v24;
	;;#ASMEND
	;;#ASMSTART
	v_cvt_f32_f16 v10, v13;
	;;#ASMEND
	v_fmac_f32_e32 v30, v12, v16
	;;#ASMSTART
	v_cvt_f32_f16 v12, v15;
	;;#ASMEND
	;;#ASMSTART
	v_cvt_f32_f16 v11, v11;
	;;#ASMEND
	v_fmac_f32_e32 v28, v10, v11
	;;#ASMSTART
	v_cvt_f32_f16 v11, v18;
	;;#ASMEND
	v_dual_add_f32 v10, v29, v30 :: v_dual_fmac_f32 v31, v12, v11
	v_cndmask_b32_e64 v11, v45, v52, s5
	s_delay_alu instid0(VALU_DEP_1) | instskip(NEXT) | instid1(VALU_DEP_1)
	v_dual_add_f32 v10, v10, v28 :: v_dual_lshlrev_b32 v11, 2, v11
	v_add_f32_e32 v10, v31, v10
	ds_bpermute_b32 v11, v11, v10
	s_and_saveexec_b32 s39, s4
	s_cbranch_execz .LBB78_10
; %bb.18:                               ;   in Loop: Header=BB78_12 Depth=1
	s_wait_dscnt 0x0
	v_dual_add_nc_u32 v12, v49, v2 :: v_dual_add_f32 v10, v10, v11
	s_delay_alu instid0(VALU_DEP_1) | instskip(NEXT) | instid1(VALU_DEP_1)
	v_cvt_f32_i32_e32 v12, v12
	v_mul_f32_e32 v12, s35, v12
	s_delay_alu instid0(VALU_DEP_1) | instskip(NEXT) | instid1(VALU_DEP_1)
	v_cndmask_b32_e32 v11, 0, v12, vcc_lo
	v_fmac_f32_e32 v11, s7, v10
	v_add_nc_u32_e32 v10, v46, v2
	s_delay_alu instid0(VALU_DEP_1) | instskip(NEXT) | instid1(VALU_DEP_1)
	v_cmp_gt_i32_e64 s5, s31, v10
	v_dual_max_num_f32 v12, v48, v48 :: v_dual_cndmask_b32 v10, 0, v11, s5
	s_delay_alu instid0(VALU_DEP_1)
	v_max_num_f32_e32 v12, v12, v11
	ds_store_b32 v50, v10
	v_cndmask_b32_e64 v48, v48, v12, s5
	s_branch .LBB78_10
.LBB78_19:
	s_or_b32 exec_lo, exec_lo, s38
.LBB78_20:
	s_delay_alu instid0(SALU_CYCLE_1)
	s_or_b32 exec_lo, exec_lo, s36
	v_dual_max_num_f32 v5, v48, v48 :: v_dual_bitop2_b32 v2, 16, v45 bitop3:0x14
	s_clause 0x1
	s_load_b64 s[6:7], s[0:1], 0x0
	s_load_b64 s[24:25], s[0:1], 0x18
	v_xor_b32_e32 v4, 8, v45
	v_xor_b32_e32 v8, 4, v45
	v_cmp_gt_i32_e32 vcc_lo, 32, v2
	v_dual_cndmask_b32 v2, v45, v2, vcc_lo :: v_dual_bitop2_b32 v23, 31, v0 bitop3:0x40
	s_delay_alu instid0(VALU_DEP_4) | instskip(NEXT) | instid1(VALU_DEP_2)
	v_cmp_gt_i32_e32 vcc_lo, 32, v4
	v_dual_cndmask_b32 v4, v45, v4 :: v_dual_lshlrev_b32 v3, 2, v2
	v_cmp_gt_i32_e32 vcc_lo, 32, v8
	ds_bpermute_b32 v2, v3, v48
	s_wait_dscnt 0x0
	v_dual_lshlrev_b32 v4, 2, v4 :: v_dual_max_num_f32 v2, v2, v2
	s_delay_alu instid0(VALU_DEP_1) | instskip(SKIP_3) | instid1(VALU_DEP_1)
	v_max_num_f32_e32 v2, v5, v2
	ds_bpermute_b32 v5, v4, v2
	s_wait_dscnt 0x0
	v_max_num_f32_e32 v9, v5, v5
	v_dual_cndmask_b32 v8, v45, v8, vcc_lo :: v_dual_max_num_f32 v2, v2, v9
	s_delay_alu instid0(VALU_DEP_1) | instskip(SKIP_3) | instid1(VALU_DEP_1)
	v_lshlrev_b32_e32 v5, 2, v8
	ds_bpermute_b32 v8, v5, v2
	s_wait_dscnt 0x0
	v_dual_max_num_f32 v8, v8, v8 :: v_dual_bitop2_b32 v9, 2, v45 bitop3:0x14
	v_cmp_gt_i32_e32 vcc_lo, 32, v9
	s_delay_alu instid0(VALU_DEP_2) | instskip(SKIP_2) | instid1(VALU_DEP_3)
	v_dual_cndmask_b32 v10, v45, v9 :: v_dual_max_num_f32 v9, v2, v8
	v_lshlrev_b32_e32 v8, 2, v44
	v_cmp_eq_u32_e32 vcc_lo, 0, v23
	v_lshlrev_b32_e32 v2, 2, v10
	ds_bpermute_b32 v10, v2, v9
	s_wait_xcnt 0x0
	s_and_saveexec_b32 s0, vcc_lo
	s_cbranch_execz .LBB78_22
; %bb.21:
	s_wait_dscnt 0x0
	v_dual_max_num_f32 v10, v10, v10 :: v_dual_max_num_f32 v9, v9, v9
	s_delay_alu instid0(VALU_DEP_1)
	v_max_num_f32_e32 v9, v9, v10
	ds_store_b32 v8, v9 offset:256
.LBB78_22:
	s_or_b32 exec_lo, exec_lo, s0
	v_cmp_gt_u32_e64 s0, 4, v23
	s_wait_dscnt 0x0
	v_dual_mov_b32 v10, 0xff7fffff :: v_dual_lshlrev_b32 v9, 2, v23
	s_barrier_signal -1
	s_barrier_wait -1
	s_and_saveexec_b32 s1, s0
; %bb.23:
	ds_load_b32 v10, v9 offset:256
; %bb.24:
	s_or_b32 exec_lo, exec_lo, s1
	s_wait_dscnt 0x0
	ds_bpermute_b32 v11, v2, v10
	v_dual_max_num_f32 v10, v10, v10 :: v_dual_bitop2_b32 v12, 1, v45 bitop3:0x14
	s_delay_alu instid0(VALU_DEP_1) | instskip(NEXT) | instid1(VALU_DEP_1)
	v_cmp_gt_i32_e64 s1, 32, v12
	v_cndmask_b32_e64 v12, v45, v12, s1
	s_lshl_b32 s1, s34, 4
	s_delay_alu instid0(SALU_CYCLE_1) | instskip(NEXT) | instid1(SALU_CYCLE_1)
	s_min_i32 s5, s1, s31
	v_cmp_gt_i32_e64 s1, s5, v0
	s_wait_dscnt 0x0
	v_dual_max_num_f32 v11, v11, v11 :: v_dual_lshlrev_b32 v24, 2, v12
	s_delay_alu instid0(VALU_DEP_1) | instskip(SKIP_3) | instid1(VALU_DEP_1)
	v_max_num_f32_e32 v10, v10, v11
	ds_bpermute_b32 v11, v24, v10
	s_wait_dscnt 0x0
	v_max_num_f32_e32 v11, v11, v11
	v_dual_max_num_f32 v11, v10, v11 :: v_dual_mov_b32 v10, 0
	ds_bpermute_b32 v11, v10, v11
	s_and_saveexec_b32 s15, s1
	s_cbranch_execz .LBB78_28
; %bb.25:
	v_lshl_add_u32 v12, v0, 2, 0x120
	v_dual_mov_b32 v10, 0 :: v_dual_mov_b32 v13, v0
	s_mov_b32 s26, 0
.LBB78_26:                              ; =>This Inner Loop Header: Depth=1
	ds_load_b32 v14, v12
	v_add_nc_u32_e32 v13, 0x80, v13
	s_delay_alu instid0(VALU_DEP_1) | instskip(SKIP_3) | instid1(VALU_DEP_1)
	v_cmp_le_i32_e64 s4, s5, v13
	s_or_b32 s26, s4, s26
	s_wait_dscnt 0x0
	v_sub_f32_e32 v14, v14, v11
	v_mul_f32_e32 v14, 0x3fb8aa3b, v14
	s_delay_alu instid0(VALU_DEP_1)
	v_exp_f32_e32 v14, v14
	ds_store_b32 v12, v14
	v_nop
	v_add_f32_e32 v10, v10, v14
	v_add_nc_u32_e32 v12, 0x200, v12
	s_and_not1_b32 exec_lo, exec_lo, s26
	s_cbranch_execnz .LBB78_26
; %bb.27:
	s_or_b32 exec_lo, exec_lo, s26
.LBB78_28:
	s_delay_alu instid0(SALU_CYCLE_1)
	s_or_b32 exec_lo, exec_lo, s15
	ds_bpermute_b32 v3, v3, v10
	s_wait_dscnt 0x0
	v_add_f32_e32 v3, v10, v3
	ds_bpermute_b32 v4, v4, v3
	s_wait_dscnt 0x0
	v_add_f32_e32 v3, v3, v4
	;; [unrolled: 3-line block ×5, first 2 shown]
	s_and_saveexec_b32 s4, vcc_lo
; %bb.29:
	ds_store_b32 v8, v3 offset:272
; %bb.30:
	s_or_b32 exec_lo, exec_lo, s4
	s_wait_dscnt 0x0
	s_barrier_signal -1
	s_barrier_wait -1
	s_and_saveexec_b32 s4, s0
; %bb.31:
	ds_load_b32 v3, v9 offset:272
; %bb.32:
	s_or_b32 exec_lo, exec_lo, s4
	s_wait_dscnt 0x0
	ds_bpermute_b32 v2, v2, v3
	s_wait_dscnt 0x0
	v_dual_mov_b32 v9, 0 :: v_dual_add_f32 v2, v3, v2
	ds_bpermute_b32 v3, v24, v2
	s_wait_dscnt 0x0
	v_add_f32_e32 v2, v2, v3
	ds_bpermute_b32 v2, v9, v2
	s_and_saveexec_b32 s0, s1
	s_cbranch_execz .LBB78_45
; %bb.33:
	s_wait_dscnt 0x0
	v_add_f32_e32 v2, 0x358637bd, v2
	s_mov_b32 s4, -1
	s_mov_b32 s1, exec_lo
	s_delay_alu instid0(VALU_DEP_1) | instskip(NEXT) | instid1(VALU_DEP_1)
	v_div_scale_f32 v3, null, v2, v2, 1.0
	v_rcp_f32_e32 v5, v3
	v_nop
	s_delay_alu instid0(TRANS32_DEP_1) | instskip(NEXT) | instid1(VALU_DEP_1)
	v_fma_f32 v4, -v3, v5, 1.0
	v_fmac_f32_e32 v5, v4, v5
	v_div_scale_f32 v8, vcc_lo, 1.0, v2, 1.0
	s_delay_alu instid0(VALU_DEP_1) | instskip(NEXT) | instid1(VALU_DEP_1)
	v_mul_f32_e32 v10, v8, v5
	v_fma_f32 v4, -v3, v10, v8
	s_delay_alu instid0(VALU_DEP_1) | instskip(SKIP_1) | instid1(VALU_DEP_2)
	v_fmac_f32_e32 v10, v4, v5
	v_xad_u32 v4, v0, -1, s5
	v_fma_f32 v3, -v3, v10, v8
	s_delay_alu instid0(VALU_DEP_1) | instskip(NEXT) | instid1(VALU_DEP_1)
	v_div_fmas_f32 v3, v3, v5, v10
	v_div_fixup_f32 v2, v3, v2, 1.0
	v_mov_b32_e32 v3, v0
	v_cmpx_lt_u32_e32 0x7f, v4
	s_cbranch_execz .LBB78_42
; %bb.34:
	s_delay_alu instid0(VALU_DEP_3) | instskip(NEXT) | instid1(VALU_DEP_1)
	v_dual_mov_b32 v3, v2 :: v_dual_lshrrev_b32 v4, 7, v4
	v_dual_mov_b32 v11, 0 :: v_dual_add_nc_u32 v5, -1, v4
	s_delay_alu instid0(VALU_DEP_1) | instskip(SKIP_1) | instid1(VALU_DEP_2)
	v_lshrrev_b32_e32 v8, 1, v5
	v_cmp_lt_u32_e32 vcc_lo, 13, v5
	v_add_nc_u32_e32 v5, 1, v8
	s_and_saveexec_b32 s4, vcc_lo
	s_cbranch_execz .LBB78_38
; %bb.35:
	s_delay_alu instid0(VALU_DEP_1)
	v_and_b32_e32 v8, -8, v5
	v_lshl_add_u32 v10, v0, 2, 0x120
	s_mov_b32 s15, 0
	s_mov_b32 s26, 0
.LBB78_36:                              ; =>This Inner Loop Header: Depth=1
	ds_load_2addr_stride64_b32 v[12:13], v10 offset1:2
	ds_load_2addr_stride64_b32 v[14:15], v10 offset0:4 offset1:6
	ds_load_2addr_stride64_b32 v[16:17], v10 offset0:8 offset1:10
	;; [unrolled: 1-line block ×7, first 2 shown]
	s_add_co_i32 s26, s26, 16
	s_delay_alu instid0(SALU_CYCLE_1) | instskip(NEXT) | instid1(VALU_DEP_1)
	v_dual_mov_b32 v11, s26 :: v_dual_add_nc_u32 v8, -8, v8
	v_cmp_eq_u32_e32 vcc_lo, 0, v8
	s_or_b32 s15, vcc_lo, s15
	s_wait_dscnt 0x7
	v_pk_mul_f32 v[12:13], v[2:3], v[12:13]
	s_wait_dscnt 0x6
	v_pk_mul_f32 v[14:15], v[2:3], v[14:15]
	;; [unrolled: 2-line block ×8, first 2 shown]
	ds_store_2addr_stride64_b32 v10, v12, v13 offset1:2
	ds_store_2addr_stride64_b32 v10, v14, v15 offset0:4 offset1:6
	ds_store_2addr_stride64_b32 v10, v16, v17 offset0:8 offset1:10
	;; [unrolled: 1-line block ×7, first 2 shown]
	v_add_nc_u32_e32 v10, 0x2000, v10
	s_and_not1_b32 exec_lo, exec_lo, s15
	s_cbranch_execnz .LBB78_36
; %bb.37:
	s_or_b32 exec_lo, exec_lo, s15
.LBB78_38:
	s_delay_alu instid0(SALU_CYCLE_1) | instskip(NEXT) | instid1(VALU_DEP_1)
	s_or_b32 exec_lo, exec_lo, s4
	v_and_b32_e32 v5, 7, v5
	s_mov_b32 s15, 0
	s_mov_b32 s4, exec_lo
	s_delay_alu instid0(VALU_DEP_1)
	v_cmpx_ne_u32_e32 0, v5
	s_cbranch_execz .LBB78_41
; %bb.39:
	v_dual_lshlrev_b32 v8, 9, v11 :: v_dual_lshlrev_b32 v10, 2, v0
	s_delay_alu instid0(VALU_DEP_1)
	v_add3_u32 v8, v8, v10, 0x120
.LBB78_40:                              ; =>This Inner Loop Header: Depth=1
	ds_load_2addr_stride64_b32 v[10:11], v8 offset1:2
	v_add_nc_u32_e32 v5, -1, v5
	s_delay_alu instid0(VALU_DEP_1)
	v_cmp_eq_u32_e32 vcc_lo, 0, v5
	s_or_b32 s15, vcc_lo, s15
	s_wait_dscnt 0x0
	v_pk_mul_f32 v[10:11], v[2:3], v[10:11]
	ds_store_2addr_stride64_b32 v8, v10, v11 offset1:2
	v_add_nc_u32_e32 v8, 0x400, v8
	s_and_not1_b32 exec_lo, exec_lo, s15
	s_cbranch_execnz .LBB78_40
.LBB78_41:
	s_or_b32 exec_lo, exec_lo, s4
	v_add_nc_u32_e32 v3, 1, v4
	s_delay_alu instid0(VALU_DEP_1) | instskip(NEXT) | instid1(VALU_DEP_1)
	v_and_b32_e32 v4, 0x3fffffe, v3
	v_cmp_ne_u32_e32 vcc_lo, v3, v4
	v_lshl_add_u32 v3, v4, 7, v0
	s_or_not1_b32 s4, vcc_lo, exec_lo
.LBB78_42:
	s_or_b32 exec_lo, exec_lo, s1
	s_delay_alu instid0(SALU_CYCLE_1)
	s_and_b32 exec_lo, exec_lo, s4
	s_cbranch_execz .LBB78_45
; %bb.43:
	v_lshl_add_u32 v4, v3, 2, 0x120
	s_mov_b32 s1, 0
.LBB78_44:                              ; =>This Inner Loop Header: Depth=1
	ds_load_b32 v5, v4
	v_add_nc_u32_e32 v3, 0x80, v3
	s_delay_alu instid0(VALU_DEP_1)
	v_cmp_le_i32_e32 vcc_lo, s5, v3
	s_or_b32 s1, vcc_lo, s1
	s_wait_dscnt 0x0
	v_mul_f32_e32 v5, v2, v5
	ds_store_b32 v4, v5
	v_add_nc_u32_e32 v4, 0x200, v4
	s_and_not1_b32 exec_lo, exec_lo, s1
	s_cbranch_execnz .LBB78_44
.LBB78_45:
	s_or_b32 exec_lo, exec_lo, s0
	v_dual_mov_b32 v8, 0 :: v_dual_mov_b32 v11, 0
	v_dual_mov_b32 v10, 0 :: v_dual_mov_b32 v13, 0
	;; [unrolled: 1-line block ×3, first 2 shown]
	v_mov_b32_e32 v14, 0
	s_wait_dscnt 0x0
	s_barrier_signal -1
	s_barrier_wait -1
	s_and_saveexec_b32 s1, s3
	s_cbranch_execz .LBB78_67
; %bb.46:
	s_abs_i32 s3, s10
	v_dual_lshlrev_b32 v4, 4, v0 :: v_dual_bitop2_b32 v25, 8, v7 bitop3:0x40
	s_cvt_f32_u32 s0, s3
	v_mov_b32_e32 v7, 0
	v_and_b32_e32 v2, 0x7c, v1
	v_lshlrev_b32_e32 v1, 5, v43
	v_rcp_iflag_f32_e32 v3, s0
	s_ashr_i32 s15, s14, 31
	v_and_b32_e32 v4, 0x1f0, v4
	v_mov_b32_e32 v5, v7
	s_lshl_b64 s[22:23], s[22:23], 2
	s_lshl_b64 s[14:15], s[14:15], 1
	v_lshl_or_b32 v1, v44, 6, v1
	v_readfirstlane_b32 s0, v3
	v_mov_b32_e32 v3, v7
	s_add_nc_u64 s[20:21], s[20:21], s[22:23]
	s_wait_kmcnt 0x0
	s_add_nc_u64 s[14:15], s[24:25], s[14:15]
	s_sub_co_i32 s10, s8, s9
	s_mul_f32 s0, s0, 0x4f7ffffe
	s_sub_co_i32 s8, 0, s3
	v_add_nc_u64_e32 v[16:17], s[14:15], v[4:5]
	v_add_nc_u64_e32 v[18:19], s[20:21], v[2:3]
	s_cvt_u32_f32 s0, s0
	v_dual_mov_b32 v27, v44 :: v_dual_add_nc_u32 v26, 0x120, v1
	v_dual_mov_b32 v14, v7 :: v_dual_mov_b32 v15, v7
	s_delay_alu instid0(SALU_CYCLE_1)
	s_mul_i32 s8, s8, s0
	v_dual_mov_b32 v12, v7 :: v_dual_mov_b32 v13, v7
	v_dual_mov_b32 v10, v7 :: v_dual_mov_b32 v11, v7
	;; [unrolled: 1-line block ×3, first 2 shown]
	s_mov_b32 s9, 0
	s_mul_hi_u32 s8, s0, s8
	s_ashr_i32 s5, s13, 31
	s_mov_b32 s4, s13
	s_add_co_i32 s13, s34, -1
	s_mov_b32 s14, s31
	s_add_co_i32 s8, s0, s8
	s_mov_b32 s15, s9
	s_branch .LBB78_49
.LBB78_47:                              ;   in Loop: Header=BB78_49 Depth=1
	s_or_b32 exec_lo, exec_lo, s0
	v_dual_add_f32 v28, v54, v55 :: v_dual_lshlrev_b32 v20, 16, v20
	v_dual_add_f32 v22, v22, v36 :: v_dual_lshlrev_b32 v1, 16, v1
	s_delay_alu instid0(VALU_DEP_2) | instskip(NEXT) | instid1(VALU_DEP_3)
	v_dual_lshlrev_b32 v21, 16, v21 :: v_dual_add_f32 v11, v11, v28
	v_and_or_b32 v2, 0xffff, v2, v20
	s_delay_alu instid0(VALU_DEP_3)
	v_add_f32_e32 v8, v8, v22
	v_add_f32_e32 v22, v52, v53
	v_and_or_b32 v3, 0xffff, v3, v1
	v_and_or_b32 v4, 0xffff, v4, v21
	;;#ASMSTART
	v_pk_mul_f16 v2, v38, v2;

	;;#ASMEND
	;;#ASMSTART
	v_pk_mul_f16 v3, v37, v3;

	;;#ASMEND
	;; [unrolled: 4-line block ×4, first 2 shown]
	;;#ASMSTART
	v_pk_add_f16 v2, v2, v3;

	;;#ASMEND
	;;#ASMSTART
	v_pk_add_f16 v2, v2, v4;

	;;#ASMEND
	;; [unrolled: 4-line block ×3, first 2 shown]
	v_and_b32_e32 v5, 0xffff, v2
	v_dual_add_f32 v1, v50, v51 :: v_dual_lshrrev_b32 v20, 16, v2
	;;#ASMSTART
	v_cvt_f32_f16 v5, v5;
	;;#ASMEND
	v_dual_add_f32 v10, v10, v22 :: v_dual_add_f32 v2, v48, v49
	v_dual_add_f32 v3, v46, v47 :: v_dual_add_f32 v4, v41, v45
	;;#ASMSTART
	v_cvt_f32_f16 v20, v20;
	;;#ASMEND
	s_delay_alu instid0(VALU_DEP_2) | instskip(NEXT) | instid1(VALU_DEP_2)
	v_dual_add_f32 v5, v5, v20 :: v_dual_add_f32 v12, v12, v2
	v_dual_add_f32 v13, v13, v1 :: v_dual_add_f32 v15, v15, v3
	s_delay_alu instid0(VALU_DEP_2)
	v_dual_add_f32 v14, v14, v4 :: v_dual_add_f32 v9, v9, v5
.LBB78_48:                              ;   in Loop: Header=BB78_49 Depth=1
	s_or_b32 exec_lo, exec_lo, s20
	v_dual_add_nc_u32 v27, 4, v27 :: v_dual_add_nc_u32 v6, 64, v6
	v_add_nc_u64_e32 v[18:19], 16, v[18:19]
	v_add_nc_u32_e32 v26, 0x100, v26
	s_delay_alu instid0(VALU_DEP_3) | instskip(SKIP_1) | instid1(SALU_CYCLE_1)
	v_cmp_le_i32_e32 vcc_lo, s34, v27
	s_or_b32 s15, vcc_lo, s15
	s_and_not1_b32 exec_lo, exec_lo, s15
	s_cbranch_execz .LBB78_66
.LBB78_49:                              ; =>This Inner Loop Header: Depth=1
	v_mul_u64_e32 v[2:3], s[18:19], v[6:7]
	s_delay_alu instid0(VALU_DEP_1) | instskip(NEXT) | instid1(VALU_DEP_1)
	v_mul_lo_u32 v1, v3, s12
	v_dual_add_nc_u32 v2, 1, v3 :: v_dual_sub_nc_u32 v1, v6, v1
	s_delay_alu instid0(VALU_DEP_1) | instskip(SKIP_1) | instid1(VALU_DEP_2)
	v_subrev_nc_u32_e32 v4, s12, v1
	v_cmp_le_u32_e32 vcc_lo, s12, v1
	v_dual_cndmask_b32 v2, v3, v2 :: v_dual_cndmask_b32 v1, v1, v4
	s_delay_alu instid0(VALU_DEP_1) | instskip(NEXT) | instid1(VALU_DEP_2)
	v_add_nc_u32_e32 v3, 1, v2
	v_cmp_le_u32_e32 vcc_lo, s12, v1
	s_delay_alu instid0(VALU_DEP_2) | instskip(NEXT) | instid1(VALU_DEP_1)
	v_dual_cndmask_b32 v1, v2, v3, vcc_lo :: v_dual_mov_b32 v3, v7
	v_xor_b32_e32 v1, s33, v1
	s_delay_alu instid0(VALU_DEP_1) | instskip(NEXT) | instid1(VALU_DEP_1)
	v_subrev_nc_u32_e32 v1, s33, v1
	v_add_nc_u32_e32 v20, s17, v1
	v_cmp_lt_i32_e64 s0, s10, v1
	s_delay_alu instid0(VALU_DEP_2) | instskip(NEXT) | instid1(VALU_DEP_1)
	v_sub_nc_u32_e32 v2, 0, v20
	v_max_i32_e32 v2, v20, v2
	s_delay_alu instid0(VALU_DEP_1) | instskip(SKIP_1) | instid1(VALU_DEP_2)
	v_mul_u64_e32 v[4:5], s[8:9], v[2:3]
	v_ashrrev_i32_e32 v4, 31, v20
	v_mul_lo_u32 v3, v5, s3
	s_delay_alu instid0(VALU_DEP_1) | instskip(NEXT) | instid1(VALU_DEP_1)
	v_sub_nc_u32_e32 v2, v2, v3
	v_subrev_nc_u32_e32 v3, s3, v2
	v_cmp_le_u32_e32 vcc_lo, s3, v2
	s_delay_alu instid0(VALU_DEP_2) | instskip(NEXT) | instid1(VALU_DEP_1)
	v_cndmask_b32_e32 v2, v2, v3, vcc_lo
	v_subrev_nc_u32_e32 v3, s3, v2
	v_cmp_le_u32_e32 vcc_lo, s3, v2
	s_delay_alu instid0(VALU_DEP_2) | instskip(NEXT) | instid1(VALU_DEP_1)
	v_cndmask_b32_e32 v2, v2, v3, vcc_lo
	v_xor_b32_e32 v2, v2, v4
	s_delay_alu instid0(VALU_DEP_1) | instskip(NEXT) | instid1(VALU_DEP_1)
	v_sub_nc_u32_e32 v2, v2, v4
	v_cmp_eq_u32_e32 vcc_lo, 0, v2
	s_or_b32 s0, vcc_lo, s0
	s_delay_alu instid0(SALU_CYCLE_1)
	s_and_saveexec_b32 s20, s0
	s_cbranch_execz .LBB78_48
; %bb.50:                               ;   in Loop: Header=BB78_49 Depth=1
	global_load_b32 v2, v[18:19], off
	v_add_nc_u32_e32 v32, v25, v6
	v_cmp_eq_u32_e32 vcc_lo, s13, v27
	s_wait_loadcnt 0x0
	s_delay_alu instid0(VALU_DEP_2) | instskip(NEXT) | instid1(VALU_DEP_1)
	v_dual_add_nc_u32 v34, 2, v32 :: v_dual_ashrrev_i32 v3, 31, v2
	v_mul_u64_e32 v[20:21], s[4:5], v[2:3]
	ds_load_2addr_b64 v[2:5], v26 offset1:1
	ds_load_2addr_b64 v[28:31], v26 offset0:2 offset1:3
	s_wait_dscnt 0x1
	;;#ASMSTART
	v_cvt_f16_f32 v38, v2;

	;;#ASMEND
	;;#ASMSTART
	v_cvt_f16_f32 v37, v3;

	;;#ASMEND
	;; [unrolled: 4-line block ×4, first 2 shown]
	s_wait_dscnt 0x0
	;;#ASMSTART
	v_cvt_f16_f32 v47, v28;

	;;#ASMEND
	;;#ASMSTART
	v_cvt_f16_f32 v39, v29;

	;;#ASMEND
	;; [unrolled: 4-line block ×4, first 2 shown]
	v_lshl_add_u64 v[20:21], v[20:21], 1, v[16:17]
	global_load_b128 v[2:5], v[20:21], off
	s_wait_loadcnt 0x0
	v_dual_lshrrev_b32 v1, 16, v3 :: v_dual_add_nc_u32 v29, 4, v32
	v_dual_add_nc_u32 v28, 5, v32 :: v_dual_add_nc_u32 v31, 6, v32
	v_dual_add_nc_u32 v30, 7, v32 :: v_dual_bitop2_b32 v35, 3, v32 bitop3:0x54
	v_dual_lshrrev_b32 v22, 16, v2 :: v_dual_lshrrev_b32 v36, 16, v4
	v_or_b32_e32 v33, 1, v32
	s_and_saveexec_b32 s21, vcc_lo
	s_cbranch_execz .LBB78_52
; %bb.51:                               ;   in Loop: Header=BB78_49 Depth=1
	v_cmp_gt_i32_e64 s0, s31, v32
	v_and_b32_e32 v48, 0xffff, v5
	v_and_b32_e32 v5, 0xffff0000, v5
	s_delay_alu instid0(VALU_DEP_3) | instskip(SKIP_1) | instid1(VALU_DEP_1)
	v_cndmask_b32_e64 v2, 0, v2, s0
	v_cmp_gt_i32_e64 s0, s31, v34
	v_cndmask_b32_e64 v3, 0, v3, s0
	v_cmp_gt_i32_e64 s0, s14, v35
	s_delay_alu instid0(VALU_DEP_1) | instskip(SKIP_1) | instid1(VALU_DEP_1)
	v_cndmask_b32_e64 v1, 0, v1, s0
	v_cmp_gt_i32_e64 s0, s31, v33
	v_cndmask_b32_e64 v22, 0, v22, s0
	v_cmp_gt_i32_e64 s0, s31, v31
	s_delay_alu instid0(VALU_DEP_1) | instskip(SKIP_1) | instid1(VALU_DEP_1)
	;; [unrolled: 5-line block ×3, first 2 shown]
	v_dual_cndmask_b32 v4, 0, v4, s0 :: v_dual_bitop2_b32 v5, v48, v5 bitop3:0x54
	v_cmp_gt_i32_e64 s0, s31, v28
	v_cndmask_b32_e64 v36, 0, v36, s0
.LBB78_52:                              ;   in Loop: Header=BB78_49 Depth=1
	s_or_b32 exec_lo, exec_lo, s21
	v_and_b32_e32 v38, 0xffff, v38
	v_and_b32_e32 v46, 0xffff, v46
	v_dual_lshlrev_b32 v22, 16, v22 :: v_dual_lshlrev_b32 v1, 16, v1
	v_lshlrev_b32_e32 v36, 16, v36
	v_and_b32_e32 v47, 0xffff, v47
	v_lshl_or_b32 v38, v37, 16, v38
	v_lshl_or_b32 v37, v41, 16, v46
	v_and_b32_e32 v41, 0xffff, v45
	v_and_or_b32 v2, 0xffff, v2, v22
	v_and_or_b32 v1, 0xffff, v3, v1
	;; [unrolled: 1-line block ×3, first 2 shown]
	;;#ASMSTART
	v_pk_mul_f16 v2, v38, v2;

	;;#ASMEND
	;;#ASMSTART
	v_pk_mul_f16 v1, v37, v1;

	;;#ASMEND
	v_lshl_or_b32 v39, v39, 16, v47
	v_lshl_or_b32 v40, v40, 16, v41
	;;#ASMSTART
	v_pk_mul_f16 v3, v39, v3;

	;;#ASMEND
	;;#ASMSTART
	v_pk_mul_f16 v4, v40, v5;

	;;#ASMEND
	;;#ASMSTART
	v_pk_add_f16 v1, v2, v1;

	;;#ASMEND
	;;#ASMSTART
	v_pk_add_f16 v1, v1, v3;
	;; [unrolled: 4-line block ×3, first 2 shown]

	;;#ASMEND
	v_and_b32_e32 v2, 0xffff, v1
	v_lshrrev_b32_e32 v1, 16, v1
	;;#ASMSTART
	v_cvt_f32_f16 v41, v2;
	;;#ASMEND
	;;#ASMSTART
	v_cvt_f32_f16 v45, v1;
	;;#ASMEND
	global_load_b128 v[2:5], v[20:21], off offset:512
	s_wait_loadcnt 0x0
	v_dual_lshrrev_b32 v1, 16, v3 :: v_dual_lshrrev_b32 v22, 16, v2
	v_lshrrev_b32_e32 v36, 16, v4
	s_and_saveexec_b32 s21, vcc_lo
	s_cbranch_execz .LBB78_54
; %bb.53:                               ;   in Loop: Header=BB78_49 Depth=1
	v_cmp_gt_i32_e64 s0, s31, v32
	v_and_b32_e32 v46, 0xffff, v5
	v_and_b32_e32 v5, 0xffff0000, v5
	s_delay_alu instid0(VALU_DEP_3) | instskip(SKIP_1) | instid1(VALU_DEP_1)
	v_cndmask_b32_e64 v2, 0, v2, s0
	v_cmp_gt_i32_e64 s0, s31, v34
	v_cndmask_b32_e64 v3, 0, v3, s0
	v_cmp_gt_i32_e64 s0, s14, v35
	s_delay_alu instid0(VALU_DEP_1) | instskip(SKIP_1) | instid1(VALU_DEP_1)
	v_cndmask_b32_e64 v1, 0, v1, s0
	v_cmp_gt_i32_e64 s0, s31, v33
	v_cndmask_b32_e64 v22, 0, v22, s0
	v_cmp_gt_i32_e64 s0, s31, v31
	s_delay_alu instid0(VALU_DEP_1) | instskip(SKIP_1) | instid1(VALU_DEP_1)
	;; [unrolled: 5-line block ×3, first 2 shown]
	v_dual_cndmask_b32 v4, 0, v4, s0 :: v_dual_bitop2_b32 v5, v46, v5 bitop3:0x54
	v_cmp_gt_i32_e64 s0, s31, v28
	v_cndmask_b32_e64 v36, 0, v36, s0
.LBB78_54:                              ;   in Loop: Header=BB78_49 Depth=1
	s_or_b32 exec_lo, exec_lo, s21
	v_dual_lshlrev_b32 v22, 16, v22 :: v_dual_lshlrev_b32 v1, 16, v1
	s_delay_alu instid0(VALU_DEP_2) | instskip(NEXT) | instid1(VALU_DEP_2)
	v_lshlrev_b32_e32 v36, 16, v36
	v_and_or_b32 v2, 0xffff, v2, v22
	s_delay_alu instid0(VALU_DEP_3) | instskip(NEXT) | instid1(VALU_DEP_3)
	v_and_or_b32 v1, 0xffff, v3, v1
	v_and_or_b32 v3, 0xffff, v4, v36
	;;#ASMSTART
	v_pk_mul_f16 v2, v38, v2;

	;;#ASMEND
	;;#ASMSTART
	v_pk_mul_f16 v1, v37, v1;

	;;#ASMEND
	;; [unrolled: 4-line block ×4, first 2 shown]
	;;#ASMSTART
	v_pk_add_f16 v1, v2, v1;

	;;#ASMEND
	;;#ASMSTART
	v_pk_add_f16 v1, v1, v3;

	;;#ASMEND
	;; [unrolled: 4-line block ×3, first 2 shown]
	v_and_b32_e32 v2, 0xffff, v1
	v_lshrrev_b32_e32 v1, 16, v1
	;;#ASMSTART
	v_cvt_f32_f16 v46, v2;
	;;#ASMEND
	;;#ASMSTART
	v_cvt_f32_f16 v47, v1;
	;;#ASMEND
	global_load_b128 v[2:5], v[20:21], off offset:1024
	s_wait_loadcnt 0x0
	v_dual_lshrrev_b32 v1, 16, v3 :: v_dual_lshrrev_b32 v22, 16, v2
	v_lshrrev_b32_e32 v36, 16, v4
	s_and_saveexec_b32 s21, vcc_lo
	s_cbranch_execz .LBB78_56
; %bb.55:                               ;   in Loop: Header=BB78_49 Depth=1
	v_cmp_gt_i32_e64 s0, s31, v32
	v_and_b32_e32 v48, 0xffff, v5
	v_and_b32_e32 v5, 0xffff0000, v5
	s_delay_alu instid0(VALU_DEP_3) | instskip(SKIP_1) | instid1(VALU_DEP_1)
	v_cndmask_b32_e64 v2, 0, v2, s0
	v_cmp_gt_i32_e64 s0, s31, v34
	v_cndmask_b32_e64 v3, 0, v3, s0
	v_cmp_gt_i32_e64 s0, s14, v35
	s_delay_alu instid0(VALU_DEP_1) | instskip(SKIP_1) | instid1(VALU_DEP_1)
	v_cndmask_b32_e64 v1, 0, v1, s0
	v_cmp_gt_i32_e64 s0, s31, v33
	v_cndmask_b32_e64 v22, 0, v22, s0
	v_cmp_gt_i32_e64 s0, s31, v31
	s_delay_alu instid0(VALU_DEP_1) | instskip(SKIP_1) | instid1(VALU_DEP_1)
	v_cndmask_b32_e64 v48, 0, v48, s0
	v_cmp_gt_i32_e64 s0, s31, v30
	v_cndmask_b32_e64 v5, 0, v5, s0
	v_cmp_gt_i32_e64 s0, s31, v29
	s_delay_alu instid0(VALU_DEP_1) | instskip(SKIP_1) | instid1(VALU_DEP_1)
	v_dual_cndmask_b32 v4, 0, v4, s0 :: v_dual_bitop2_b32 v5, v48, v5 bitop3:0x54
	v_cmp_gt_i32_e64 s0, s31, v28
	v_cndmask_b32_e64 v36, 0, v36, s0
.LBB78_56:                              ;   in Loop: Header=BB78_49 Depth=1
	s_or_b32 exec_lo, exec_lo, s21
	v_dual_lshlrev_b32 v22, 16, v22 :: v_dual_lshlrev_b32 v1, 16, v1
	s_delay_alu instid0(VALU_DEP_2) | instskip(NEXT) | instid1(VALU_DEP_2)
	v_lshlrev_b32_e32 v36, 16, v36
	v_and_or_b32 v2, 0xffff, v2, v22
	s_delay_alu instid0(VALU_DEP_3) | instskip(NEXT) | instid1(VALU_DEP_3)
	v_and_or_b32 v1, 0xffff, v3, v1
	v_and_or_b32 v3, 0xffff, v4, v36
	;;#ASMSTART
	v_pk_mul_f16 v2, v38, v2;

	;;#ASMEND
	;;#ASMSTART
	v_pk_mul_f16 v1, v37, v1;

	;;#ASMEND
	;; [unrolled: 4-line block ×4, first 2 shown]
	;;#ASMSTART
	v_pk_add_f16 v1, v2, v1;

	;;#ASMEND
	;;#ASMSTART
	v_pk_add_f16 v1, v1, v3;

	;;#ASMEND
	;; [unrolled: 4-line block ×3, first 2 shown]
	v_and_b32_e32 v2, 0xffff, v1
	v_lshrrev_b32_e32 v1, 16, v1
	;;#ASMSTART
	v_cvt_f32_f16 v48, v2;
	;;#ASMEND
	;;#ASMSTART
	v_cvt_f32_f16 v49, v1;
	;;#ASMEND
	global_load_b128 v[2:5], v[20:21], off offset:1536
	s_wait_loadcnt 0x0
	v_dual_lshrrev_b32 v1, 16, v3 :: v_dual_lshrrev_b32 v22, 16, v2
	v_lshrrev_b32_e32 v36, 16, v4
	s_and_saveexec_b32 s21, vcc_lo
	s_cbranch_execz .LBB78_58
; %bb.57:                               ;   in Loop: Header=BB78_49 Depth=1
	v_cmp_gt_i32_e64 s0, s31, v32
	v_and_b32_e32 v50, 0xffff, v5
	v_and_b32_e32 v5, 0xffff0000, v5
	s_delay_alu instid0(VALU_DEP_3) | instskip(SKIP_1) | instid1(VALU_DEP_1)
	v_cndmask_b32_e64 v2, 0, v2, s0
	v_cmp_gt_i32_e64 s0, s31, v34
	v_cndmask_b32_e64 v3, 0, v3, s0
	v_cmp_gt_i32_e64 s0, s14, v35
	s_delay_alu instid0(VALU_DEP_1) | instskip(SKIP_1) | instid1(VALU_DEP_1)
	v_cndmask_b32_e64 v1, 0, v1, s0
	v_cmp_gt_i32_e64 s0, s31, v33
	v_cndmask_b32_e64 v22, 0, v22, s0
	v_cmp_gt_i32_e64 s0, s31, v31
	s_delay_alu instid0(VALU_DEP_1) | instskip(SKIP_1) | instid1(VALU_DEP_1)
	;; [unrolled: 5-line block ×3, first 2 shown]
	v_dual_cndmask_b32 v4, 0, v4, s0 :: v_dual_bitop2_b32 v5, v50, v5 bitop3:0x54
	v_cmp_gt_i32_e64 s0, s31, v28
	v_cndmask_b32_e64 v36, 0, v36, s0
.LBB78_58:                              ;   in Loop: Header=BB78_49 Depth=1
	s_or_b32 exec_lo, exec_lo, s21
	v_dual_lshlrev_b32 v22, 16, v22 :: v_dual_lshlrev_b32 v1, 16, v1
	s_delay_alu instid0(VALU_DEP_2) | instskip(NEXT) | instid1(VALU_DEP_2)
	v_lshlrev_b32_e32 v36, 16, v36
	v_and_or_b32 v2, 0xffff, v2, v22
	s_delay_alu instid0(VALU_DEP_3) | instskip(NEXT) | instid1(VALU_DEP_3)
	v_and_or_b32 v1, 0xffff, v3, v1
	v_and_or_b32 v3, 0xffff, v4, v36
	;;#ASMSTART
	v_pk_mul_f16 v2, v38, v2;

	;;#ASMEND
	;;#ASMSTART
	v_pk_mul_f16 v1, v37, v1;

	;;#ASMEND
	;; [unrolled: 4-line block ×4, first 2 shown]
	;;#ASMSTART
	v_pk_add_f16 v1, v2, v1;

	;;#ASMEND
	;;#ASMSTART
	v_pk_add_f16 v1, v1, v3;

	;;#ASMEND
	;; [unrolled: 4-line block ×3, first 2 shown]
	v_and_b32_e32 v2, 0xffff, v1
	v_lshrrev_b32_e32 v1, 16, v1
	;;#ASMSTART
	v_cvt_f32_f16 v50, v2;
	;;#ASMEND
	;;#ASMSTART
	v_cvt_f32_f16 v51, v1;
	;;#ASMEND
	global_load_b128 v[2:5], v[20:21], off offset:2048
	s_wait_loadcnt 0x0
	v_dual_lshrrev_b32 v1, 16, v3 :: v_dual_lshrrev_b32 v22, 16, v2
	v_lshrrev_b32_e32 v36, 16, v4
	s_and_saveexec_b32 s21, vcc_lo
	s_cbranch_execz .LBB78_60
; %bb.59:                               ;   in Loop: Header=BB78_49 Depth=1
	v_cmp_gt_i32_e64 s0, s31, v32
	v_and_b32_e32 v52, 0xffff, v5
	v_and_b32_e32 v5, 0xffff0000, v5
	s_delay_alu instid0(VALU_DEP_3) | instskip(SKIP_1) | instid1(VALU_DEP_1)
	v_cndmask_b32_e64 v2, 0, v2, s0
	v_cmp_gt_i32_e64 s0, s31, v34
	v_cndmask_b32_e64 v3, 0, v3, s0
	v_cmp_gt_i32_e64 s0, s14, v35
	s_delay_alu instid0(VALU_DEP_1) | instskip(SKIP_1) | instid1(VALU_DEP_1)
	v_cndmask_b32_e64 v1, 0, v1, s0
	v_cmp_gt_i32_e64 s0, s31, v33
	v_cndmask_b32_e64 v22, 0, v22, s0
	v_cmp_gt_i32_e64 s0, s31, v31
	s_delay_alu instid0(VALU_DEP_1) | instskip(SKIP_1) | instid1(VALU_DEP_1)
	;; [unrolled: 5-line block ×3, first 2 shown]
	v_dual_cndmask_b32 v4, 0, v4, s0 :: v_dual_bitop2_b32 v5, v52, v5 bitop3:0x54
	v_cmp_gt_i32_e64 s0, s31, v28
	v_cndmask_b32_e64 v36, 0, v36, s0
.LBB78_60:                              ;   in Loop: Header=BB78_49 Depth=1
	s_or_b32 exec_lo, exec_lo, s21
	v_dual_lshlrev_b32 v22, 16, v22 :: v_dual_lshlrev_b32 v1, 16, v1
	s_delay_alu instid0(VALU_DEP_2) | instskip(NEXT) | instid1(VALU_DEP_2)
	v_lshlrev_b32_e32 v36, 16, v36
	v_and_or_b32 v2, 0xffff, v2, v22
	s_delay_alu instid0(VALU_DEP_3) | instskip(NEXT) | instid1(VALU_DEP_3)
	v_and_or_b32 v1, 0xffff, v3, v1
	v_and_or_b32 v3, 0xffff, v4, v36
	;;#ASMSTART
	v_pk_mul_f16 v2, v38, v2;

	;;#ASMEND
	;;#ASMSTART
	v_pk_mul_f16 v1, v37, v1;

	;;#ASMEND
	;; [unrolled: 4-line block ×4, first 2 shown]
	;;#ASMSTART
	v_pk_add_f16 v1, v2, v1;

	;;#ASMEND
	;;#ASMSTART
	v_pk_add_f16 v1, v1, v3;

	;;#ASMEND
	;; [unrolled: 4-line block ×3, first 2 shown]
	v_and_b32_e32 v2, 0xffff, v1
	v_lshrrev_b32_e32 v1, 16, v1
	;;#ASMSTART
	v_cvt_f32_f16 v52, v2;
	;;#ASMEND
	;;#ASMSTART
	v_cvt_f32_f16 v53, v1;
	;;#ASMEND
	global_load_b128 v[2:5], v[20:21], off offset:2560
	s_wait_loadcnt 0x0
	v_dual_lshrrev_b32 v1, 16, v3 :: v_dual_lshrrev_b32 v22, 16, v2
	v_lshrrev_b32_e32 v36, 16, v4
	s_and_saveexec_b32 s21, vcc_lo
	s_cbranch_execz .LBB78_62
; %bb.61:                               ;   in Loop: Header=BB78_49 Depth=1
	v_cmp_gt_i32_e64 s0, s31, v32
	v_and_b32_e32 v54, 0xffff, v5
	v_and_b32_e32 v5, 0xffff0000, v5
	s_delay_alu instid0(VALU_DEP_3) | instskip(SKIP_1) | instid1(VALU_DEP_1)
	v_cndmask_b32_e64 v2, 0, v2, s0
	v_cmp_gt_i32_e64 s0, s31, v34
	v_cndmask_b32_e64 v3, 0, v3, s0
	v_cmp_gt_i32_e64 s0, s14, v35
	s_delay_alu instid0(VALU_DEP_1) | instskip(SKIP_1) | instid1(VALU_DEP_1)
	v_cndmask_b32_e64 v1, 0, v1, s0
	v_cmp_gt_i32_e64 s0, s31, v33
	v_cndmask_b32_e64 v22, 0, v22, s0
	v_cmp_gt_i32_e64 s0, s31, v31
	s_delay_alu instid0(VALU_DEP_1) | instskip(SKIP_1) | instid1(VALU_DEP_1)
	;; [unrolled: 5-line block ×3, first 2 shown]
	v_dual_cndmask_b32 v4, 0, v4, s0 :: v_dual_bitop2_b32 v5, v54, v5 bitop3:0x54
	v_cmp_gt_i32_e64 s0, s31, v28
	v_cndmask_b32_e64 v36, 0, v36, s0
.LBB78_62:                              ;   in Loop: Header=BB78_49 Depth=1
	s_or_b32 exec_lo, exec_lo, s21
	v_dual_lshlrev_b32 v22, 16, v22 :: v_dual_lshlrev_b32 v1, 16, v1
	s_delay_alu instid0(VALU_DEP_2) | instskip(NEXT) | instid1(VALU_DEP_2)
	v_lshlrev_b32_e32 v36, 16, v36
	v_and_or_b32 v2, 0xffff, v2, v22
	s_delay_alu instid0(VALU_DEP_3) | instskip(NEXT) | instid1(VALU_DEP_3)
	v_and_or_b32 v1, 0xffff, v3, v1
	v_and_or_b32 v3, 0xffff, v4, v36
	;;#ASMSTART
	v_pk_mul_f16 v2, v38, v2;

	;;#ASMEND
	;;#ASMSTART
	v_pk_mul_f16 v1, v37, v1;

	;;#ASMEND
	;; [unrolled: 4-line block ×4, first 2 shown]
	;;#ASMSTART
	v_pk_add_f16 v1, v2, v1;

	;;#ASMEND
	;;#ASMSTART
	v_pk_add_f16 v1, v1, v3;

	;;#ASMEND
	;; [unrolled: 4-line block ×3, first 2 shown]
	v_and_b32_e32 v2, 0xffff, v1
	v_lshrrev_b32_e32 v1, 16, v1
	;;#ASMSTART
	v_cvt_f32_f16 v54, v2;
	;;#ASMEND
	;;#ASMSTART
	v_cvt_f32_f16 v55, v1;
	;;#ASMEND
	global_load_b128 v[2:5], v[20:21], off offset:3072
	s_wait_loadcnt 0x0
	v_dual_lshrrev_b32 v1, 16, v3 :: v_dual_lshrrev_b32 v22, 16, v2
	v_lshrrev_b32_e32 v36, 16, v4
	s_and_saveexec_b32 s21, vcc_lo
	s_cbranch_execz .LBB78_64
; %bb.63:                               ;   in Loop: Header=BB78_49 Depth=1
	v_cmp_gt_i32_e64 s0, s31, v32
	v_and_b32_e32 v56, 0xffff, v5
	v_and_b32_e32 v5, 0xffff0000, v5
	s_delay_alu instid0(VALU_DEP_3) | instskip(SKIP_1) | instid1(VALU_DEP_1)
	v_cndmask_b32_e64 v2, 0, v2, s0
	v_cmp_gt_i32_e64 s0, s31, v34
	v_cndmask_b32_e64 v3, 0, v3, s0
	v_cmp_gt_i32_e64 s0, s14, v35
	s_delay_alu instid0(VALU_DEP_1) | instskip(SKIP_1) | instid1(VALU_DEP_1)
	v_cndmask_b32_e64 v1, 0, v1, s0
	v_cmp_gt_i32_e64 s0, s31, v33
	v_cndmask_b32_e64 v22, 0, v22, s0
	v_cmp_gt_i32_e64 s0, s31, v31
	s_delay_alu instid0(VALU_DEP_1) | instskip(SKIP_1) | instid1(VALU_DEP_1)
	;; [unrolled: 5-line block ×3, first 2 shown]
	v_dual_cndmask_b32 v4, 0, v4, s0 :: v_dual_bitop2_b32 v5, v56, v5 bitop3:0x54
	v_cmp_gt_i32_e64 s0, s31, v28
	v_cndmask_b32_e64 v36, 0, v36, s0
.LBB78_64:                              ;   in Loop: Header=BB78_49 Depth=1
	s_or_b32 exec_lo, exec_lo, s21
	v_dual_lshlrev_b32 v22, 16, v22 :: v_dual_lshlrev_b32 v1, 16, v1
	s_delay_alu instid0(VALU_DEP_2) | instskip(NEXT) | instid1(VALU_DEP_2)
	v_lshlrev_b32_e32 v36, 16, v36
	v_and_or_b32 v2, 0xffff, v2, v22
	s_delay_alu instid0(VALU_DEP_3) | instskip(NEXT) | instid1(VALU_DEP_3)
	v_and_or_b32 v1, 0xffff, v3, v1
	v_and_or_b32 v3, 0xffff, v4, v36
	;;#ASMSTART
	v_pk_mul_f16 v2, v38, v2;

	;;#ASMEND
	;;#ASMSTART
	v_pk_mul_f16 v1, v37, v1;

	;;#ASMEND
	;; [unrolled: 4-line block ×4, first 2 shown]
	;;#ASMSTART
	v_pk_add_f16 v1, v2, v1;

	;;#ASMEND
	;;#ASMSTART
	v_pk_add_f16 v1, v1, v3;

	;;#ASMEND
	;; [unrolled: 4-line block ×3, first 2 shown]
	v_and_b32_e32 v2, 0xffff, v1
	v_lshrrev_b32_e32 v1, 16, v1
	;;#ASMSTART
	v_cvt_f32_f16 v22, v2;
	;;#ASMEND
	;;#ASMSTART
	v_cvt_f32_f16 v36, v1;
	;;#ASMEND
	global_load_b128 v[2:5], v[20:21], off offset:3584
	s_wait_loadcnt 0x0
	v_dual_lshrrev_b32 v1, 16, v3 :: v_dual_lshrrev_b32 v20, 16, v2
	v_lshrrev_b32_e32 v21, 16, v4
	s_and_saveexec_b32 s0, vcc_lo
	s_cbranch_execz .LBB78_47
; %bb.65:                               ;   in Loop: Header=BB78_49 Depth=1
	v_cmp_gt_i32_e32 vcc_lo, s31, v32
	v_and_b32_e32 v32, 0xffff, v5
	v_and_b32_e32 v5, 0xffff0000, v5
	v_cndmask_b32_e32 v2, 0, v2, vcc_lo
	v_cmp_gt_i32_e32 vcc_lo, s31, v34
	v_cndmask_b32_e32 v3, 0, v3, vcc_lo
	v_cmp_gt_i32_e32 vcc_lo, s14, v35
	v_cndmask_b32_e32 v1, 0, v1, vcc_lo
	v_cmp_gt_i32_e32 vcc_lo, s31, v33
	v_cndmask_b32_e32 v20, 0, v20, vcc_lo
	v_cmp_gt_i32_e32 vcc_lo, s31, v31
	v_cndmask_b32_e32 v31, 0, v32, vcc_lo
	v_cmp_gt_i32_e32 vcc_lo, s31, v30
	v_cndmask_b32_e32 v5, 0, v5, vcc_lo
	v_cmp_gt_i32_e32 vcc_lo, s31, v29
	s_delay_alu instid0(VALU_DEP_2)
	v_dual_cndmask_b32 v4, 0, v4, vcc_lo :: v_dual_bitop2_b32 v5, v31, v5 bitop3:0x54
	v_cmp_gt_i32_e32 vcc_lo, s31, v28
	v_cndmask_b32_e32 v21, 0, v21, vcc_lo
	s_branch .LBB78_47
.LBB78_66:
	s_or_b32 exec_lo, exec_lo, s15
.LBB78_67:
	s_delay_alu instid0(SALU_CYCLE_1)
	s_or_b32 exec_lo, exec_lo, s1
	ds_bpermute_b32 v2, v24, v14
	ds_bpermute_b32 v3, v24, v15
	;; [unrolled: 1-line block ×6, first 2 shown]
	v_and_b32_e32 v20, 0x3c1, v0
	v_lshrrev_b32_e32 v1, 1, v23
	s_mov_b32 s0, exec_lo
	ds_bpermute_b32 v16, v24, v8
	ds_bpermute_b32 v17, v24, v9
	s_wait_dscnt 0x0
	s_barrier_signal -1
	s_barrier_wait -1
	v_pk_add_f32 v[6:7], v[14:15], v[2:3]
	v_pk_add_f32 v[4:5], v[12:13], v[4:5]
	;; [unrolled: 1-line block ×3, first 2 shown]
	v_cmpx_ne_u32_e32 64, v20
	s_xor_b32 s0, exec_lo, s0
	s_delay_alu instid0(SALU_CYCLE_1)
	s_or_saveexec_b32 s0, s0
	v_pk_add_f32 v[8:9], v[8:9], v[16:17]
	v_lshl_add_u32 v10, v1, 2, 0x120
	v_lshlrev_b32_e32 v11, 9, v44
	s_xor_b32 exec_lo, exec_lo, s0
	s_cbranch_execz .LBB78_69
; %bb.68:
	s_delay_alu instid0(VALU_DEP_1) | instskip(NEXT) | instid1(VALU_DEP_1)
	v_add_nc_u32_e32 v12, v10, v11
	v_add_nc_u32_e32 v13, 0xfffffc00, v12
	;; [unrolled: 1-line block ×9, first 2 shown]
	ds_store_b32 v13, v6
	ds_store_b32 v14, v7
	;; [unrolled: 1-line block ×8, first 2 shown]
.LBB78_69:
	s_or_b32 exec_lo, exec_lo, s0
	v_lshlrev_b32_e32 v1, 2, v1
	s_mov_b32 s1, exec_lo
	v_cmp_eq_u32_e32 vcc_lo, 0, v43
	s_wait_dscnt 0x0
	s_barrier_signal -1
	v_add3_u32 v1, 0x120, v11, v1
	s_barrier_wait -1
	v_cmpx_gt_u32_e32 64, v0
	s_cbranch_execz .LBB78_80
; %bb.70:
	s_and_saveexec_b32 s0, vcc_lo
	s_cbranch_execnz .LBB78_96
; %bb.71:
	s_or_b32 exec_lo, exec_lo, s0
	s_and_saveexec_b32 s0, vcc_lo
	s_cbranch_execnz .LBB78_97
.LBB78_72:
	s_or_b32 exec_lo, exec_lo, s0
	s_and_saveexec_b32 s0, vcc_lo
	s_cbranch_execnz .LBB78_98
.LBB78_73:
	s_or_b32 exec_lo, exec_lo, s0
	s_and_saveexec_b32 s0, vcc_lo
	s_cbranch_execnz .LBB78_99
.LBB78_74:
	s_or_b32 exec_lo, exec_lo, s0
	s_and_saveexec_b32 s0, vcc_lo
	s_cbranch_execnz .LBB78_100
.LBB78_75:
	s_or_b32 exec_lo, exec_lo, s0
	s_and_saveexec_b32 s0, vcc_lo
	s_cbranch_execnz .LBB78_101
.LBB78_76:
	s_or_b32 exec_lo, exec_lo, s0
	s_and_saveexec_b32 s0, vcc_lo
	s_cbranch_execnz .LBB78_102
.LBB78_77:
	s_or_b32 exec_lo, exec_lo, s0
	s_and_saveexec_b32 s0, vcc_lo
	s_cbranch_execz .LBB78_79
.LBB78_78:
	ds_load_b32 v11, v1 offset:448
	s_wait_dscnt 0x0
	v_add_f32_e32 v9, v9, v11
.LBB78_79:
	s_or_b32 exec_lo, exec_lo, s0
.LBB78_80:
	s_delay_alu instid0(SALU_CYCLE_1) | instskip(SKIP_4) | instid1(VALU_DEP_1)
	s_or_b32 exec_lo, exec_lo, s1
	v_and_b32_e32 v0, 0x3e1, v0
	s_mov_b32 s1, exec_lo
	s_barrier_signal -1
	s_barrier_wait -1
	v_cmpx_eq_u32_e32 32, v0
	s_cbranch_execz .LBB78_82
; %bb.81:
	ds_store_2addr_b32 v10, v6, v7 offset1:16
	ds_store_2addr_b32 v10, v4, v5 offset0:32 offset1:48
	ds_store_2addr_b32 v10, v2, v3 offset0:64 offset1:80
	;; [unrolled: 1-line block ×3, first 2 shown]
.LBB78_82:
	s_or_b32 exec_lo, exec_lo, s1
	s_wait_dscnt 0x0
	s_barrier_signal -1
	s_barrier_wait -1
	s_and_saveexec_b32 s0, s2
	s_cbranch_execz .LBB78_93
; %bb.83:
	s_and_saveexec_b32 s1, vcc_lo
	s_cbranch_execnz .LBB78_103
; %bb.84:
	s_or_b32 exec_lo, exec_lo, s1
	s_and_saveexec_b32 s1, vcc_lo
	s_cbranch_execnz .LBB78_104
.LBB78_85:
	s_or_b32 exec_lo, exec_lo, s1
	s_and_saveexec_b32 s1, vcc_lo
	s_cbranch_execnz .LBB78_105
.LBB78_86:
	s_or_b32 exec_lo, exec_lo, s1
	s_and_saveexec_b32 s1, vcc_lo
	s_cbranch_execnz .LBB78_106
.LBB78_87:
	s_or_b32 exec_lo, exec_lo, s1
	s_and_saveexec_b32 s1, vcc_lo
	s_cbranch_execnz .LBB78_107
.LBB78_88:
	s_or_b32 exec_lo, exec_lo, s1
	s_and_saveexec_b32 s1, vcc_lo
	s_cbranch_execnz .LBB78_108
.LBB78_89:
	s_or_b32 exec_lo, exec_lo, s1
	s_and_saveexec_b32 s1, vcc_lo
	s_cbranch_execnz .LBB78_109
.LBB78_90:
	s_or_b32 exec_lo, exec_lo, s1
	s_and_saveexec_b32 s1, vcc_lo
	s_cbranch_execz .LBB78_92
.LBB78_91:
	ds_load_b32 v1, v1 offset:448
	s_wait_dscnt 0x0
	v_add_f32_e32 v9, v9, v1
.LBB78_92:
	s_or_b32 exec_lo, exec_lo, s1
.LBB78_93:
	s_delay_alu instid0(SALU_CYCLE_1)
	s_or_b32 exec_lo, exec_lo, s0
	s_mov_b32 s1, 0
	s_barrier_signal -1
	s_barrier_wait -1
	s_mov_b32 s0, exec_lo
	v_cmpx_eq_u32_e32 0, v0
	s_cbranch_execz .LBB78_95
; %bb.94:
	s_mul_i32 s0, s30, s11
	s_mul_i32 s2, s11, s16
	;; [unrolled: 1-line block ×3, first 2 shown]
	s_lshr_b32 s8, ttmp7, 16
	s_lshl_b32 s4, s0, 7
	s_bfe_u32 s0, ttmp6, 0x40014
	s_ashr_i32 s5, s4, 31
	s_add_co_i32 s0, s0, 1
	s_ashr_i32 s3, s2, 31
	s_mul_i32 s0, s8, s0
	s_bfe_u32 s9, ttmp6, 0x40008
	s_lshl_b64 s[4:5], s[4:5], 1
	s_lshl_b64 s[2:3], s[2:3], 1
	s_add_co_i32 s9, s9, s0
	s_cmp_eq_u32 s28, 0
	s_wait_kmcnt 0x0
	s_add_nc_u64 s[4:5], s[6:7], s[4:5]
	s_cselect_b32 s0, s8, s9
	s_add_nc_u64 s[2:3], s[4:5], s[2:3]
	s_lshl_b32 s0, s0, 8
	;;#ASMSTART
	v_cvt_f16_f32 v0, v6;

	;;#ASMEND
	s_add_nc_u64 s[0:1], s[2:3], s[0:1]
	global_store_b16 v42, v0, s[0:1] scale_offset
	s_wait_xcnt 0x0
	;;#ASMSTART
	v_cvt_f16_f32 v0, v7;

	;;#ASMEND
	global_store_b16 v42, v0, s[0:1] offset:32 scale_offset
	s_wait_xcnt 0x0
	;;#ASMSTART
	v_cvt_f16_f32 v0, v4;

	;;#ASMEND
	global_store_b16 v42, v0, s[0:1] offset:64 scale_offset
	;; [unrolled: 6-line block ×7, first 2 shown]
.LBB78_95:
	s_sendmsg sendmsg(MSG_DEALLOC_VGPRS)
	s_endpgm
.LBB78_96:
	ds_load_b32 v11, v1
	s_wait_dscnt 0x0
	v_add_f32_e32 v6, v6, v11
	s_or_b32 exec_lo, exec_lo, s0
	s_and_saveexec_b32 s0, vcc_lo
	s_cbranch_execz .LBB78_72
.LBB78_97:
	ds_load_b32 v11, v1 offset:64
	s_wait_dscnt 0x0
	v_add_f32_e32 v7, v7, v11
	s_or_b32 exec_lo, exec_lo, s0
	s_and_saveexec_b32 s0, vcc_lo
	s_cbranch_execz .LBB78_73
.LBB78_98:
	ds_load_b32 v11, v1 offset:128
	s_wait_dscnt 0x0
	v_add_f32_e32 v4, v4, v11
	s_or_b32 exec_lo, exec_lo, s0
	s_and_saveexec_b32 s0, vcc_lo
	s_cbranch_execz .LBB78_74
.LBB78_99:
	ds_load_b32 v11, v1 offset:192
	s_wait_dscnt 0x0
	v_add_f32_e32 v5, v5, v11
	s_or_b32 exec_lo, exec_lo, s0
	s_and_saveexec_b32 s0, vcc_lo
	s_cbranch_execz .LBB78_75
.LBB78_100:
	ds_load_b32 v11, v1 offset:256
	s_wait_dscnt 0x0
	v_add_f32_e32 v2, v2, v11
	s_or_b32 exec_lo, exec_lo, s0
	s_and_saveexec_b32 s0, vcc_lo
	s_cbranch_execz .LBB78_76
.LBB78_101:
	ds_load_b32 v11, v1 offset:320
	s_wait_dscnt 0x0
	v_add_f32_e32 v3, v3, v11
	s_or_b32 exec_lo, exec_lo, s0
	s_and_saveexec_b32 s0, vcc_lo
	s_cbranch_execz .LBB78_77
.LBB78_102:
	ds_load_b32 v11, v1 offset:384
	s_wait_dscnt 0x0
	v_add_f32_e32 v8, v8, v11
	s_or_b32 exec_lo, exec_lo, s0
	s_and_saveexec_b32 s0, vcc_lo
	s_cbranch_execnz .LBB78_78
	s_branch .LBB78_79
.LBB78_103:
	ds_load_b32 v10, v1
	s_wait_dscnt 0x0
	v_add_f32_e32 v6, v6, v10
	s_or_b32 exec_lo, exec_lo, s1
	s_and_saveexec_b32 s1, vcc_lo
	s_cbranch_execz .LBB78_85
.LBB78_104:
	ds_load_b32 v10, v1 offset:64
	s_wait_dscnt 0x0
	v_add_f32_e32 v7, v7, v10
	s_or_b32 exec_lo, exec_lo, s1
	s_and_saveexec_b32 s1, vcc_lo
	s_cbranch_execz .LBB78_86
.LBB78_105:
	ds_load_b32 v10, v1 offset:128
	s_wait_dscnt 0x0
	v_add_f32_e32 v4, v4, v10
	s_or_b32 exec_lo, exec_lo, s1
	s_and_saveexec_b32 s1, vcc_lo
	s_cbranch_execz .LBB78_87
.LBB78_106:
	ds_load_b32 v10, v1 offset:192
	s_wait_dscnt 0x0
	v_add_f32_e32 v5, v5, v10
	s_or_b32 exec_lo, exec_lo, s1
	s_and_saveexec_b32 s1, vcc_lo
	s_cbranch_execz .LBB78_88
.LBB78_107:
	ds_load_b32 v10, v1 offset:256
	s_wait_dscnt 0x0
	v_add_f32_e32 v2, v2, v10
	s_or_b32 exec_lo, exec_lo, s1
	s_and_saveexec_b32 s1, vcc_lo
	s_cbranch_execz .LBB78_89
.LBB78_108:
	ds_load_b32 v10, v1 offset:320
	s_wait_dscnt 0x0
	v_add_f32_e32 v3, v3, v10
	s_or_b32 exec_lo, exec_lo, s1
	s_and_saveexec_b32 s1, vcc_lo
	s_cbranch_execz .LBB78_90
.LBB78_109:
	ds_load_b32 v10, v1 offset:384
	s_wait_dscnt 0x0
	v_add_f32_e32 v8, v8, v10
	s_or_b32 exec_lo, exec_lo, s1
	s_and_saveexec_b32 s1, vcc_lo
	s_cbranch_execnz .LBB78_91
	s_branch .LBB78_92
	.section	.rodata,"a",@progbits
	.p2align	6, 0x0
	.amdhsa_kernel _ZN4vllm25paged_attention_v1_kernelIttLi128ELi16ELi128ELNS_18Fp8KVCacheDataTypeE0ELb1EEEvPT_PKS2_PKT0_S8_ifPKiSA_iPKfiiiSC_SC_iiiii
		.amdhsa_group_segment_fixed_size 288
		.amdhsa_private_segment_fixed_size 0
		.amdhsa_kernarg_size 384
		.amdhsa_user_sgpr_count 2
		.amdhsa_user_sgpr_dispatch_ptr 0
		.amdhsa_user_sgpr_queue_ptr 0
		.amdhsa_user_sgpr_kernarg_segment_ptr 1
		.amdhsa_user_sgpr_dispatch_id 0
		.amdhsa_user_sgpr_kernarg_preload_length 0
		.amdhsa_user_sgpr_kernarg_preload_offset 0
		.amdhsa_user_sgpr_private_segment_size 0
		.amdhsa_wavefront_size32 1
		.amdhsa_uses_dynamic_stack 0
		.amdhsa_enable_private_segment 0
		.amdhsa_system_sgpr_workgroup_id_x 1
		.amdhsa_system_sgpr_workgroup_id_y 1
		.amdhsa_system_sgpr_workgroup_id_z 1
		.amdhsa_system_sgpr_workgroup_info 0
		.amdhsa_system_vgpr_workitem_id 0
		.amdhsa_next_free_vgpr 93
		.amdhsa_next_free_sgpr 42
		.amdhsa_named_barrier_count 0
		.amdhsa_reserve_vcc 1
		.amdhsa_float_round_mode_32 0
		.amdhsa_float_round_mode_16_64 0
		.amdhsa_float_denorm_mode_32 3
		.amdhsa_float_denorm_mode_16_64 3
		.amdhsa_fp16_overflow 0
		.amdhsa_memory_ordered 1
		.amdhsa_forward_progress 1
		.amdhsa_inst_pref_size 71
		.amdhsa_round_robin_scheduling 0
		.amdhsa_exception_fp_ieee_invalid_op 0
		.amdhsa_exception_fp_denorm_src 0
		.amdhsa_exception_fp_ieee_div_zero 0
		.amdhsa_exception_fp_ieee_overflow 0
		.amdhsa_exception_fp_ieee_underflow 0
		.amdhsa_exception_fp_ieee_inexact 0
		.amdhsa_exception_int_div_zero 0
	.end_amdhsa_kernel
	.section	.text._ZN4vllm25paged_attention_v1_kernelIttLi128ELi16ELi128ELNS_18Fp8KVCacheDataTypeE0ELb1EEEvPT_PKS2_PKT0_S8_ifPKiSA_iPKfiiiSC_SC_iiiii,"axG",@progbits,_ZN4vllm25paged_attention_v1_kernelIttLi128ELi16ELi128ELNS_18Fp8KVCacheDataTypeE0ELb1EEEvPT_PKS2_PKT0_S8_ifPKiSA_iPKfiiiSC_SC_iiiii,comdat
.Lfunc_end78:
	.size	_ZN4vllm25paged_attention_v1_kernelIttLi128ELi16ELi128ELNS_18Fp8KVCacheDataTypeE0ELb1EEEvPT_PKS2_PKT0_S8_ifPKiSA_iPKfiiiSC_SC_iiiii, .Lfunc_end78-_ZN4vllm25paged_attention_v1_kernelIttLi128ELi16ELi128ELNS_18Fp8KVCacheDataTypeE0ELb1EEEvPT_PKS2_PKT0_S8_ifPKiSA_iPKfiiiSC_SC_iiiii
                                        ; -- End function
	.set _ZN4vllm25paged_attention_v1_kernelIttLi128ELi16ELi128ELNS_18Fp8KVCacheDataTypeE0ELb1EEEvPT_PKS2_PKT0_S8_ifPKiSA_iPKfiiiSC_SC_iiiii.num_vgpr, 93
	.set _ZN4vllm25paged_attention_v1_kernelIttLi128ELi16ELi128ELNS_18Fp8KVCacheDataTypeE0ELb1EEEvPT_PKS2_PKT0_S8_ifPKiSA_iPKfiiiSC_SC_iiiii.num_agpr, 0
	.set _ZN4vllm25paged_attention_v1_kernelIttLi128ELi16ELi128ELNS_18Fp8KVCacheDataTypeE0ELb1EEEvPT_PKS2_PKT0_S8_ifPKiSA_iPKfiiiSC_SC_iiiii.numbered_sgpr, 42
	.set _ZN4vllm25paged_attention_v1_kernelIttLi128ELi16ELi128ELNS_18Fp8KVCacheDataTypeE0ELb1EEEvPT_PKS2_PKT0_S8_ifPKiSA_iPKfiiiSC_SC_iiiii.num_named_barrier, 0
	.set _ZN4vllm25paged_attention_v1_kernelIttLi128ELi16ELi128ELNS_18Fp8KVCacheDataTypeE0ELb1EEEvPT_PKS2_PKT0_S8_ifPKiSA_iPKfiiiSC_SC_iiiii.private_seg_size, 0
	.set _ZN4vllm25paged_attention_v1_kernelIttLi128ELi16ELi128ELNS_18Fp8KVCacheDataTypeE0ELb1EEEvPT_PKS2_PKT0_S8_ifPKiSA_iPKfiiiSC_SC_iiiii.uses_vcc, 1
	.set _ZN4vllm25paged_attention_v1_kernelIttLi128ELi16ELi128ELNS_18Fp8KVCacheDataTypeE0ELb1EEEvPT_PKS2_PKT0_S8_ifPKiSA_iPKfiiiSC_SC_iiiii.uses_flat_scratch, 0
	.set _ZN4vllm25paged_attention_v1_kernelIttLi128ELi16ELi128ELNS_18Fp8KVCacheDataTypeE0ELb1EEEvPT_PKS2_PKT0_S8_ifPKiSA_iPKfiiiSC_SC_iiiii.has_dyn_sized_stack, 0
	.set _ZN4vllm25paged_attention_v1_kernelIttLi128ELi16ELi128ELNS_18Fp8KVCacheDataTypeE0ELb1EEEvPT_PKS2_PKT0_S8_ifPKiSA_iPKfiiiSC_SC_iiiii.has_recursion, 0
	.set _ZN4vllm25paged_attention_v1_kernelIttLi128ELi16ELi128ELNS_18Fp8KVCacheDataTypeE0ELb1EEEvPT_PKS2_PKT0_S8_ifPKiSA_iPKfiiiSC_SC_iiiii.has_indirect_call, 0
	.section	.AMDGPU.csdata,"",@progbits
; Kernel info:
; codeLenInByte = 9036
; TotalNumSgprs: 44
; NumVgprs: 93
; ScratchSize: 0
; MemoryBound: 0
; FloatMode: 240
; IeeeMode: 1
; LDSByteSize: 288 bytes/workgroup (compile time only)
; SGPRBlocks: 0
; VGPRBlocks: 5
; NumSGPRsForWavesPerEU: 44
; NumVGPRsForWavesPerEU: 93
; NamedBarCnt: 0
; Occupancy: 10
; WaveLimiterHint : 1
; COMPUTE_PGM_RSRC2:SCRATCH_EN: 0
; COMPUTE_PGM_RSRC2:USER_SGPR: 2
; COMPUTE_PGM_RSRC2:TRAP_HANDLER: 0
; COMPUTE_PGM_RSRC2:TGID_X_EN: 1
; COMPUTE_PGM_RSRC2:TGID_Y_EN: 1
; COMPUTE_PGM_RSRC2:TGID_Z_EN: 1
; COMPUTE_PGM_RSRC2:TIDIG_COMP_CNT: 0
	.section	.text._ZN4vllm25paged_attention_v1_kernelIttLi192ELi16ELi128ELNS_18Fp8KVCacheDataTypeE0ELb1EEEvPT_PKS2_PKT0_S8_ifPKiSA_iPKfiiiSC_SC_iiiii,"axG",@progbits,_ZN4vllm25paged_attention_v1_kernelIttLi192ELi16ELi128ELNS_18Fp8KVCacheDataTypeE0ELb1EEEvPT_PKS2_PKT0_S8_ifPKiSA_iPKfiiiSC_SC_iiiii,comdat
	.protected	_ZN4vllm25paged_attention_v1_kernelIttLi192ELi16ELi128ELNS_18Fp8KVCacheDataTypeE0ELb1EEEvPT_PKS2_PKT0_S8_ifPKiSA_iPKfiiiSC_SC_iiiii ; -- Begin function _ZN4vllm25paged_attention_v1_kernelIttLi192ELi16ELi128ELNS_18Fp8KVCacheDataTypeE0ELb1EEEvPT_PKS2_PKT0_S8_ifPKiSA_iPKfiiiSC_SC_iiiii
	.globl	_ZN4vllm25paged_attention_v1_kernelIttLi192ELi16ELi128ELNS_18Fp8KVCacheDataTypeE0ELb1EEEvPT_PKS2_PKT0_S8_ifPKiSA_iPKfiiiSC_SC_iiiii
	.p2align	8
	.type	_ZN4vllm25paged_attention_v1_kernelIttLi192ELi16ELi128ELNS_18Fp8KVCacheDataTypeE0ELb1EEEvPT_PKS2_PKT0_S8_ifPKiSA_iPKfiiiSC_SC_iiiii,@function
_ZN4vllm25paged_attention_v1_kernelIttLi192ELi16ELi128ELNS_18Fp8KVCacheDataTypeE0ELb1EEEvPT_PKS2_PKT0_S8_ifPKiSA_iPKfiiiSC_SC_iiiii: ; @_ZN4vllm25paged_attention_v1_kernelIttLi192ELi16ELi128ELNS_18Fp8KVCacheDataTypeE0ELb1EEEvPT_PKS2_PKT0_S8_ifPKiSA_iPKfiiiSC_SC_iiiii
; %bb.0:
	s_load_b64 s[22:23], s[0:1], 0x20
	s_bfe_u32 s3, ttmp6, 0x4000c
	s_bfe_u32 s4, ttmp6, 0x40010
	s_and_b32 s6, ttmp7, 0xffff
	s_add_co_i32 s3, s3, 1
	s_add_co_i32 s4, s4, 1
	s_and_b32 s2, ttmp6, 15
	s_bfe_u32 s5, ttmp6, 0x40004
	s_mul_i32 s3, ttmp9, s3
	s_mul_i32 s4, s6, s4
	s_getreg_b32 s28, hwreg(HW_REG_IB_STS2, 6, 4)
	s_add_co_i32 s2, s2, s3
	s_add_co_i32 s3, s5, s4
	s_cmp_eq_u32 s28, 0
	s_clause 0x1
	s_load_b32 s29, s[0:1], 0x80
	s_load_b64 s[4:5], s[0:1], 0x30
	s_cselect_b32 s30, s6, s3
	s_cselect_b32 s2, ttmp9, s2
	s_mov_b32 s17, 0
	s_delay_alu instid0(SALU_CYCLE_1) | instskip(SKIP_2) | instid1(SALU_CYCLE_1)
	s_mov_b32 s35, s17
	s_wait_kmcnt 0x0
	s_abs_i32 s3, s22
	s_cvt_f32_u32 s6, s3
	s_sub_co_i32 s7, 0, s3
	s_delay_alu instid0(SALU_CYCLE_2) | instskip(SKIP_2) | instid1(TRANS32_DEP_1)
	v_rcp_iflag_f32_e32 v1, s6
	s_abs_i32 s8, s29
	v_nop
	v_readfirstlane_b32 s6, v1
	s_mul_f32 s6, s6, 0x4f7ffffe
	s_delay_alu instid0(SALU_CYCLE_3) | instskip(NEXT) | instid1(SALU_CYCLE_3)
	s_cvt_u32_f32 s6, s6
	s_mul_i32 s7, s7, s6
	s_delay_alu instid0(SALU_CYCLE_1) | instskip(NEXT) | instid1(SALU_CYCLE_1)
	s_mul_hi_u32 s7, s6, s7
	s_add_co_i32 s6, s6, s7
	s_xor_b32 s7, s29, s22
	s_mul_hi_u32 s6, s8, s6
	s_ashr_i32 s7, s7, 31
	s_mul_i32 s9, s6, s3
	s_delay_alu instid0(SALU_CYCLE_1)
	s_sub_co_i32 s8, s8, s9
	s_add_co_i32 s9, s6, 1
	s_sub_co_i32 s10, s8, s3
	s_cmp_ge_u32 s8, s3
	s_cselect_b32 s6, s9, s6
	s_cselect_b32 s8, s10, s8
	s_add_co_i32 s9, s6, 1
	s_cmp_ge_u32 s8, s3
	s_cselect_b32 s3, s9, s6
	s_load_b64 s[8:9], s[0:1], 0x40
	s_xor_b32 s3, s3, s7
	s_abs_i32 s16, s2
	s_sub_co_i32 s10, s3, s7
	s_mov_b32 s7, s17
	s_abs_i32 s15, s10
	s_delay_alu instid0(SALU_CYCLE_1) | instskip(SKIP_1) | instid1(SALU_CYCLE_2)
	s_cvt_f32_u32 s3, s15
	s_sub_co_i32 s6, 0, s15
	v_rcp_iflag_f32_e32 v1, s3
	v_nop
	s_delay_alu instid0(TRANS32_DEP_1) | instskip(SKIP_1) | instid1(SALU_CYCLE_3)
	v_readfirstlane_b32 s3, v1
	s_mul_f32 s3, s3, 0x4f7ffffe
	s_cvt_u32_f32 s3, s3
	s_delay_alu instid0(SALU_CYCLE_3) | instskip(NEXT) | instid1(SALU_CYCLE_1)
	s_mul_i32 s6, s6, s3
	s_mul_hi_u32 s6, s3, s6
	s_delay_alu instid0(SALU_CYCLE_1)
	s_add_co_i32 s6, s3, s6
	s_wait_kmcnt 0x0
	s_cmp_eq_u64 s[8:9], 0
	s_cbranch_scc1 .LBB79_2
; %bb.1:
	s_ashr_i32 s3, s2, 31
	s_delay_alu instid0(SALU_CYCLE_1) | instskip(NEXT) | instid1(SALU_CYCLE_1)
	s_lshl_b64 s[12:13], s[2:3], 2
	s_add_nc_u64 s[8:9], s[8:9], s[12:13]
	s_load_b32 s35, s[8:9], 0x0
.LBB79_2:
	s_load_b32 s31, s[4:5], s30 offset:0x0 scale_offset
	s_load_b96 s[12:14], s[0:1], 0x48
	v_dual_lshrrev_b32 v58, 1, v0 :: v_dual_bitop2_b32 v59, 1, v0 bitop3:0x40
	s_wait_xcnt 0x0
	s_mul_u64 s[4:5], s[16:17], s[6:7]
	s_ashr_i32 s3, s2, 31
	s_ashr_i32 s18, s10, 31
	s_mul_i32 s6, s2, 0xc0
	s_mov_b32 s4, exec_lo
	v_cmpx_gt_u32_e32 48, v0
	s_cbranch_execz .LBB79_4
; %bb.3:
	s_load_b64 s[8:9], s[0:1], 0x8
	s_wait_kmcnt 0x0
	s_mul_i32 s10, s12, s30
	s_ashr_i32 s7, s6, 31
	s_ashr_i32 s11, s10, 31
	v_lshlrev_b32_e32 v1, 3, v58
	s_lshl_b64 s[10:11], s[10:11], 1
	s_delay_alu instid0(VALU_DEP_1) | instskip(SKIP_2) | instid1(SALU_CYCLE_1)
	v_mad_u32_u24 v1, 0xc0, v59, v1
	s_add_nc_u64 s[8:9], s[8:9], s[10:11]
	s_lshl_b64 s[10:11], s[6:7], 1
	s_add_nc_u64 s[8:9], s[8:9], s[10:11]
	global_load_b64 v[2:3], v0, s[8:9] scale_offset
	s_wait_loadcnt 0x0
	ds_store_b64 v1, v[2:3]
.LBB79_4:
	s_or_b32 exec_lo, exec_lo, s4
	s_load_b128 s[8:11], s[0:1], 0x68
	s_mul_i32 s4, s5, s15
	s_xor_b32 s3, s3, s18
	s_sub_co_i32 s4, s16, s4
	s_add_co_i32 s7, s5, 1
	s_wait_kmcnt 0x0
	s_sub_co_i32 s12, s4, s15
	s_cmp_ge_u32 s4, s15
	s_mov_b32 s18, -1
	s_cselect_b32 s5, s7, s5
	s_cselect_b32 s4, s12, s4
	s_add_co_i32 s12, s5, 1
	s_cmp_ge_u32 s4, s15
	s_load_b32 s7, s[0:1], 0x78
	s_cselect_b32 s4, s12, s5
	s_add_co_i32 s15, s31, -1
	s_xor_b32 s4, s4, s3
	s_wait_dscnt 0x0
	s_sub_co_i32 s3, s4, s3
	s_barrier_signal -1
	s_barrier_wait -1
	s_abs_i32 s12, s11
	s_delay_alu instid0(SALU_CYCLE_1) | instskip(NEXT) | instid1(SALU_CYCLE_3)
	s_cvt_f32_u32 s5, s12
                                        ; implicit-def: $sgpr33
	v_rcp_iflag_f32_e32 v1, s5
	v_nop
	s_delay_alu instid0(TRANS32_DEP_1) | instskip(SKIP_1) | instid1(SALU_CYCLE_3)
	v_readfirstlane_b32 s5, v1
	s_mul_f32 s4, s5, 0x4f7ffffe
	s_cvt_u32_f32 s16, s4
	s_sub_co_i32 s4, 0, s12
	s_delay_alu instid0(SALU_CYCLE_2)
	s_mul_i32 s5, s4, s16
	s_abs_i32 s4, s15
	s_mul_hi_u32 s17, s16, s5
	s_mov_b32 s5, 0
	s_add_co_i32 s16, s16, s17
	s_wait_kmcnt 0x0
	s_cmp_lt_i32 s7, 0
	s_mov_b32 s17, s5
	s_cbranch_scc0 .LBB79_6
; %bb.5:
	s_mul_i32 s18, s8, s22
	s_delay_alu instid0(SALU_CYCLE_1) | instskip(NEXT) | instid1(SALU_CYCLE_1)
	s_add_co_i32 s18, s3, s18
	s_mul_i32 s18, s18, s7
	s_delay_alu instid0(SALU_CYCLE_1)
	s_sub_co_i32 s33, 1, s18
	s_mov_b32 s18, s5
.LBB79_6:
	s_ashr_i32 s15, s15, 31
	s_ashr_i32 s11, s11, 31
	s_and_not1_b32 vcc_lo, exec_lo, s18
	s_mul_u64 s[24:25], s[4:5], s[16:17]
	s_cbranch_vccnz .LBB79_8
; %bb.7:
	s_mul_i32 s5, s29, s8
	s_delay_alu instid0(SALU_CYCLE_1) | instskip(NEXT) | instid1(SALU_CYCLE_1)
	s_add_co_i32 s2, s5, s2
	s_mul_i32 s2, s2, s7
	s_delay_alu instid0(SALU_CYCLE_1)
	s_add_co_i32 s33, s2, 1
.LBB79_8:
	s_load_b32 s2, s[0:1], 0x38
	s_mul_i32 s7, s25, s12
	s_xor_b32 s5, s15, s11
	s_sub_co_i32 s4, s4, s7
	s_add_co_i32 s8, s25, 1
	s_clause 0x1
	s_load_b64 s[18:19], s[0:1], 0x28
	s_load_b32 s7, s[0:1], 0x88
	v_dual_lshrrev_b32 v60, 5, v0 :: v_dual_lshlrev_b32 v7, 3, v0
	v_dual_mov_b32 v64, 0xff7fffff :: v_dual_lshrrev_b32 v1, 3, v0
	v_mbcnt_lo_u32_b32 v61, -1, 0
	s_delay_alu instid0(VALU_DEP_3)
	v_lshlrev_b32_e32 v6, 4, v60
	s_mul_i32 s14, s3, s14
	s_wait_kmcnt 0x0
	s_mul_i32 s20, s2, s30
	s_sub_co_i32 s2, s4, s12
	s_ashr_i32 s21, s20, 31
	s_cmp_ge_u32 s4, s12
	s_cselect_b32 s8, s8, s25
	s_cselect_b32 s2, s2, s4
	s_add_co_i32 s4, s8, 1
	s_cmp_ge_u32 s2, s12
	s_cselect_b32 s2, s4, s8
	s_add_co_i32 s4, s31, 15
	s_delay_alu instid0(SALU_CYCLE_1) | instskip(NEXT) | instid1(SALU_CYCLE_1)
	s_ashr_i32 s8, s4, 31
	s_lshr_b32 s8, s8, 28
	s_delay_alu instid0(SALU_CYCLE_1) | instskip(NEXT) | instid1(SALU_CYCLE_1)
	s_add_co_i32 s4, s4, s8
	s_ashr_i32 s34, s4, 4
	s_xor_b32 s4, s2, s5
	v_cmp_gt_i32_e64 s2, s34, v60
	s_sub_co_i32 s8, s4, s5
	s_and_saveexec_b32 s22, s2
	s_cbranch_execz .LBB79_20
; %bb.9:
	s_load_b64 s[4:5], s[0:1], 0x10
	s_ashr_i32 s15, s14, 31
	s_sub_co_i32 s36, s8, s9
	s_ashr_i32 s25, s13, 31
	s_lshl_b64 s[38:39], s[14:15], 1
	s_cmp_neq_f32 s35, 0
	v_bfe_u32 v62, v0, 1, 4
	v_mov_b32_e32 v3, 0
	v_mul_u32_u24_e32 v63, 0xc0, v59
	s_cselect_b32 vcc_lo, -1, 0
	s_abs_i32 s15, s10
	v_lshlrev_b32_e32 v2, 4, v62
	s_cvt_f32_u32 s3, s15
	v_lshlrev_b32_e32 v9, 2, v62
	v_subrev_nc_u32_e32 v8, s31, v62
	s_sub_co_i32 s26, 0, s15
	v_rcp_iflag_f32_e32 v4, s3
	v_cmp_eq_u32_e64 s3, 0, v59
	s_delay_alu instid0(VALU_DEP_2)
	v_dual_add_nc_u32 v65, 1, v8 :: v_dual_bitop2_b32 v68, 1, v61 bitop3:0x14
	s_wait_kmcnt 0x0
	s_add_nc_u64 s[4:5], s[4:5], s[38:39]
	v_mov_b32_e32 v64, 0xff7fffff
	s_mov_b32 s27, 0
	v_readfirstlane_b32 s24, v4
	v_add_nc_u64_e32 v[4:5], s[4:5], v[2:3]
	v_and_b32_e32 v2, 8, v7
	v_lshl_or_b32 v9, v60, 6, v9
	s_lshl_b64 s[4:5], s[20:21], 2
	s_mul_f32 s24, s24, 0x4f7ffffe
	s_add_nc_u64 s[4:5], s[18:19], s[4:5]
	s_delay_alu instid0(VALU_DEP_1)
	v_dual_mov_b32 v69, v60 :: v_dual_add_nc_u32 v66, 0x1a0, v9
	v_add_nc_u64_e32 v[4:5], v[4:5], v[2:3]
	v_and_b32_e32 v2, 0x7c, v1
	s_cvt_u32_f32 s37, s24
	v_mov_b32_e32 v67, 0xff7fffff
	s_mov_b32 s24, s13
	s_delay_alu instid0(VALU_DEP_2) | instskip(SKIP_3) | instid1(SALU_CYCLE_1)
	v_add_nc_u64_e32 v[8:9], s[4:5], v[2:3]
	s_mul_i32 s26, s26, s37
	v_lshlrev_b32_e32 v2, 4, v60
	s_mul_hi_u32 s4, s37, s26
	s_add_co_i32 s26, s37, s4
	s_mov_b32 s37, s27
	s_branch .LBB79_12
.LBB79_10:                              ;   in Loop: Header=BB79_12 Depth=1
	s_or_b32 exec_lo, exec_lo, s38
.LBB79_11:                              ;   in Loop: Header=BB79_12 Depth=1
	s_delay_alu instid0(SALU_CYCLE_1) | instskip(SKIP_3) | instid1(VALU_DEP_3)
	s_or_b32 exec_lo, exec_lo, s5
	v_dual_add_nc_u32 v69, 4, v69 :: v_dual_add_nc_u32 v2, 64, v2
	v_add_nc_u64_e32 v[8:9], 16, v[8:9]
	v_add_nc_u32_e32 v66, 0x100, v66
	v_cmp_le_i32_e64 s4, s34, v69
	s_or_b32 s37, s4, s37
	s_delay_alu instid0(SALU_CYCLE_1)
	s_and_not1_b32 exec_lo, exec_lo, s37
	s_cbranch_execz .LBB79_19
.LBB79_12:                              ; =>This Inner Loop Header: Depth=1
	s_wait_dscnt 0x0
	v_mul_u64_e32 v[10:11], s[16:17], v[2:3]
	s_delay_alu instid0(VALU_DEP_1) | instskip(NEXT) | instid1(VALU_DEP_1)
	v_mul_lo_u32 v10, v11, s12
	v_dual_add_nc_u32 v12, 1, v11 :: v_dual_sub_nc_u32 v10, v2, v10
	s_delay_alu instid0(VALU_DEP_1) | instskip(SKIP_1) | instid1(VALU_DEP_1)
	v_subrev_nc_u32_e32 v13, s12, v10
	v_cmp_le_u32_e64 s4, s12, v10
	v_dual_cndmask_b32 v11, v11, v12, s4 :: v_dual_cndmask_b32 v10, v10, v13, s4
	s_delay_alu instid0(VALU_DEP_1) | instskip(NEXT) | instid1(VALU_DEP_2)
	v_add_nc_u32_e32 v12, 1, v11
	v_cmp_le_u32_e64 s4, s12, v10
	s_delay_alu instid0(VALU_DEP_1) | instskip(NEXT) | instid1(VALU_DEP_1)
	v_cndmask_b32_e64 v10, v11, v12, s4
	v_dual_mov_b32 v11, v3 :: v_dual_bitop2_b32 v10, s11, v10 bitop3:0x14
	s_delay_alu instid0(VALU_DEP_1) | instskip(NEXT) | instid1(VALU_DEP_1)
	v_subrev_nc_u32_e32 v14, s11, v10
	v_add_nc_u32_e32 v15, s33, v14
	v_cmp_ge_i32_e64 s5, s36, v14
	s_delay_alu instid0(VALU_DEP_2) | instskip(NEXT) | instid1(VALU_DEP_1)
	v_sub_nc_u32_e32 v10, 0, v15
	v_max_i32_e32 v10, v15, v10
	s_delay_alu instid0(VALU_DEP_1) | instskip(SKIP_1) | instid1(VALU_DEP_2)
	v_mul_u64_e32 v[12:13], s[26:27], v[10:11]
	v_ashrrev_i32_e32 v12, 31, v15
	v_mul_lo_u32 v11, v13, s15
	s_delay_alu instid0(VALU_DEP_1) | instskip(NEXT) | instid1(VALU_DEP_1)
	v_sub_nc_u32_e32 v10, v10, v11
	v_subrev_nc_u32_e32 v11, s15, v10
	v_cmp_le_u32_e64 s4, s15, v10
	s_delay_alu instid0(VALU_DEP_1) | instskip(NEXT) | instid1(VALU_DEP_1)
	v_cndmask_b32_e64 v10, v10, v11, s4
	v_subrev_nc_u32_e32 v11, s15, v10
	v_cmp_le_u32_e64 s4, s15, v10
	s_delay_alu instid0(VALU_DEP_1) | instskip(NEXT) | instid1(VALU_DEP_1)
	v_cndmask_b32_e64 v10, v10, v11, s4
	v_xor_b32_e32 v10, v10, v12
	s_delay_alu instid0(VALU_DEP_1) | instskip(NEXT) | instid1(VALU_DEP_1)
	v_sub_nc_u32_e32 v10, v10, v12
	v_cmp_ne_u32_e64 s4, 0, v10
	s_and_b32 s4, s4, s5
	s_delay_alu instid0(SALU_CYCLE_1) | instskip(NEXT) | instid1(SALU_CYCLE_1)
	s_and_saveexec_b32 s5, s4
	s_xor_b32 s4, exec_lo, s5
	s_cbranch_execz .LBB79_16
; %bb.13:                               ;   in Loop: Header=BB79_12 Depth=1
	s_and_saveexec_b32 s5, s3
; %bb.14:                               ;   in Loop: Header=BB79_12 Depth=1
	ds_store_b32 v66, v67
; %bb.15:                               ;   in Loop: Header=BB79_12 Depth=1
	s_or_b32 exec_lo, exec_lo, s5
.LBB79_16:                              ;   in Loop: Header=BB79_12 Depth=1
	s_and_not1_saveexec_b32 s5, s4
	s_cbranch_execz .LBB79_11
; %bb.17:                               ;   in Loop: Header=BB79_12 Depth=1
	global_load_b32 v10, v[8:9], off
	v_cmp_gt_i32_e64 s4, 32, v68
	s_wait_loadcnt 0x0
	v_ashrrev_i32_e32 v11, 31, v10
	s_delay_alu instid0(VALU_DEP_1) | instskip(NEXT) | instid1(VALU_DEP_1)
	v_mul_u64_e32 v[10:11], s[24:25], v[10:11]
	v_lshl_add_u64 v[10:11], v[10:11], 1, v[4:5]
	s_clause 0x9
	global_load_b64 v[54:55], v[10:11], off
	global_load_b64 v[56:57], v[10:11], off offset:256
	global_load_b64 v[52:53], v[10:11], off offset:512
	;; [unrolled: 1-line block ×9, first 2 shown]
	ds_load_b64 v[12:13], v63
	s_wait_dscnt 0x0
	v_lshrrev_b32_e32 v70, 16, v12
	v_and_b32_e32 v71, 0xffff, v12
	v_lshrrev_b32_e32 v72, 16, v13
	v_and_b32_e32 v73, 0xffff, v13
	s_clause 0xd
	global_load_b64 v[36:37], v[10:11], off offset:2560
	global_load_b64 v[34:35], v[10:11], off offset:2816
	;; [unrolled: 1-line block ×14, first 2 shown]
	;;#ASMSTART
	v_cvt_f32_f16 v75, v71;
	;;#ASMEND
	;;#ASMSTART
	v_cvt_f32_f16 v74, v70;
	;;#ASMEND
	s_wait_loadcnt 0x17
	v_and_b32_e32 v71, 0xffff, v54
	v_dual_lshrrev_b32 v54, 16, v54 :: v_dual_lshrrev_b32 v78, 16, v55
	v_and_b32_e32 v55, 0xffff, v55
	;;#ASMSTART
	v_cvt_f32_f16 v77, v71;
	;;#ASMEND
	;;#ASMSTART
	v_cvt_f32_f16 v76, v54;
	;;#ASMEND
	;; [unrolled: 3-line block ×6, first 2 shown]
	ds_load_b64 v[54:55], v63 offset:8
	s_wait_loadcnt 0x16
	v_and_b32_e32 v78, 0xffff, v56
	v_lshrrev_b32_e32 v56, 16, v56
	v_and_b32_e32 v79, 0xffff, v57
	s_wait_loadcnt 0x13
	v_and_b32_e32 v88, 0xffff, v48
	v_and_b32_e32 v91, 0xffff, v49
	s_wait_loadcnt 0x12
	v_and_b32_e32 v103, 0xffff, v46
	s_wait_loadcnt 0x11
	v_dual_lshrrev_b32 v104, 16, v47 :: v_dual_lshrrev_b32 v105, 16, v44
	v_and_b32_e32 v106, 0xffff, v44
	v_and_b32_e32 v108, 0xffff, v45
	v_lshrrev_b32_e32 v57, 16, v57
	v_and_b32_e32 v47, 0xffff, v47
	s_wait_loadcnt 0x10
	v_and_b32_e32 v109, 0xffff, v43
	v_dual_lshrrev_b32 v89, 16, v48 :: v_dual_lshrrev_b32 v102, 16, v46
	s_wait_dscnt 0x0
	v_and_b32_e32 v80, 0xffff, v54
	v_lshrrev_b32_e32 v54, 16, v54
	v_and_b32_e32 v81, 0xffff, v55
	v_lshrrev_b32_e32 v55, 16, v55
	;;#ASMSTART
	v_cvt_f32_f16 v94, v80;
	;;#ASMEND
	;;#ASMSTART
	v_cvt_f32_f16 v95, v54;
	;;#ASMEND
	;; [unrolled: 3-line block ×8, first 2 shown]
	ds_load_b64 v[56:57], v63 offset:16
	v_and_b32_e32 v55, 0xffff, v52
	v_lshrrev_b32_e32 v52, 16, v52
	v_and_b32_e32 v79, 0xffff, v53
	v_lshrrev_b32_e32 v53, 16, v53
	v_dual_lshrrev_b32 v107, 16, v45 :: v_dual_mul_f32 v45, v94, v96
	s_wait_dscnt 0x0
	v_and_b32_e32 v78, 0xffff, v56
	v_dual_lshrrev_b32 v56, 16, v56 :: v_dual_lshrrev_b32 v81, 16, v57
	v_and_b32_e32 v80, 0xffff, v57
	;;#ASMSTART
	v_cvt_f32_f16 v92, v78;
	;;#ASMEND
	;;#ASMSTART
	v_cvt_f32_f16 v57, v56;
	;;#ASMEND
	;; [unrolled: 3-line block ×8, first 2 shown]
	ds_load_b64 v[52:53], v63 offset:24
	v_lshrrev_b32_e32 v79, 16, v50
	v_and_b32_e32 v50, 0xffff, v50
	v_lshrrev_b32_e32 v86, 16, v51
	v_and_b32_e32 v51, 0xffff, v51
	s_wait_dscnt 0x0
	v_and_b32_e32 v55, 0xffff, v52
	v_lshrrev_b32_e32 v52, 16, v52
	v_and_b32_e32 v80, 0xffff, v53
	v_lshrrev_b32_e32 v87, 16, v53
	;;#ASMSTART
	v_cvt_f32_f16 v55, v55;
	;;#ASMEND
	;;#ASMSTART
	v_cvt_f32_f16 v52, v52;
	;;#ASMEND
	;;#ASMSTART
	v_cvt_f32_f16 v56, v50;
	;;#ASMEND
	;;#ASMSTART
	v_cvt_f32_f16 v53, v79;
	;;#ASMEND
	;;#ASMSTART
	v_cvt_f32_f16 v79, v80;
	;;#ASMEND
	;;#ASMSTART
	v_cvt_f32_f16 v50, v87;
	;;#ASMEND
	;;#ASMSTART
	v_cvt_f32_f16 v80, v51;
	;;#ASMEND
	;;#ASMSTART
	v_cvt_f32_f16 v51, v86;
	;;#ASMEND
	ds_load_b64 v[86:87], v63 offset:32
	s_wait_dscnt 0x0
	v_dual_lshrrev_b32 v100, 16, v49 :: v_dual_lshrrev_b32 v90, 16, v86
	v_and_b32_e32 v48, 0xffff, v86
	v_and_b32_e32 v101, 0xffff, v87
	v_lshrrev_b32_e32 v87, 16, v87
	;;#ASMSTART
	v_cvt_f32_f16 v86, v48;
	;;#ASMEND
	;;#ASMSTART
	v_cvt_f32_f16 v48, v90;
	;;#ASMEND
	;; [unrolled: 3-line block ×8, first 2 shown]
	ds_load_b64 v[100:101], v63 offset:40
	v_dual_mul_f32 v46, v95, v97 :: v_dual_mul_f32 v44, v98, v99
	s_wait_dscnt 0x0
	v_lshrrev_b32_e32 v99, 16, v101
	v_and_b32_e32 v94, 0xffff, v100
	v_lshrrev_b32_e32 v95, 16, v100
	v_and_b32_e32 v97, 0xffff, v101
	;;#ASMSTART
	v_cvt_f32_f16 v96, v94;
	;;#ASMEND
	;;#ASMSTART
	v_cvt_f32_f16 v94, v95;
	;;#ASMEND
	;; [unrolled: 3-line block ×8, first 2 shown]
	ds_load_b64 v[102:103], v63 offset:48
	v_dual_fmac_f32 v45, v75, v77 :: v_dual_fmac_f32 v46, v74, v76
	v_fmac_f32_e32 v44, v71, v73
	v_and_b32_e32 v71, 0xffff, v42
	s_wait_dscnt 0x0
	v_lshrrev_b32_e32 v75, 16, v102
	v_and_b32_e32 v77, 0xffff, v103
	v_lshrrev_b32_e32 v103, 16, v103
	v_and_b32_e32 v47, 0xffff, v102
	;;#ASMSTART
	v_cvt_f32_f16 v76, v47;
	;;#ASMEND
	;;#ASMSTART
	v_cvt_f32_f16 v74, v75;
	;;#ASMEND
	;; [unrolled: 3-line block ×8, first 2 shown]
	ds_load_b64 v[106:107], v63 offset:56
	v_dual_mul_f32 v47, v54, v85 :: v_dual_lshrrev_b32 v85, 16, v42
	v_dual_fmac_f32 v45, v92, v93 :: v_dual_lshrrev_b32 v108, 16, v43
	s_delay_alu instid0(VALU_DEP_2)
	v_dual_fmac_f32 v46, v57, v78 :: v_dual_fmac_f32 v47, v70, v72
	s_wait_loadcnt 0xf
	v_dual_fmac_f32 v44, v83, v84 :: v_dual_lshrrev_b32 v57, 16, v41
	v_and_b32_e32 v41, 0xffff, v41
	s_wait_dscnt 0x0
	v_and_b32_e32 v42, 0xffff, v106
	v_lshrrev_b32_e32 v43, 16, v106
	v_and_b32_e32 v70, 0xffff, v107
	v_lshrrev_b32_e32 v72, 16, v107
	;;#ASMSTART
	v_cvt_f32_f16 v54, v42;
	;;#ASMEND
	;;#ASMSTART
	v_cvt_f32_f16 v42, v43;
	;;#ASMEND
	;; [unrolled: 3-line block ×8, first 2 shown]
	ds_load_b64 v[92:93], v63 offset:64
	v_lshrrev_b32_e32 v106, 16, v40
	v_and_b32_e32 v40, 0xffff, v40
	v_dual_fmac_f32 v47, v81, v82 :: v_dual_fmac_f32 v45, v55, v56
	s_wait_loadcnt 0xe
	v_lshrrev_b32_e32 v55, 16, v39
	v_and_b32_e32 v39, 0xffff, v39
	s_wait_loadcnt 0xd
	v_dual_fmac_f32 v47, v50, v51 :: v_dual_lshrrev_b32 v50, 16, v37
	v_fmac_f32_e32 v45, v86, v88
	v_and_b32_e32 v37, 0xffff, v37
	s_delay_alu instid0(VALU_DEP_3) | instskip(NEXT) | instid1(VALU_DEP_1)
	v_fmac_f32_e32 v47, v87, v89
	v_fmac_f32_e32 v47, v97, v99
	s_wait_dscnt 0x0
	v_and_b32_e32 v78, 0xffff, v92
	v_lshrrev_b32_e32 v83, 16, v92
	v_and_b32_e32 v81, 0xffff, v93
	v_lshrrev_b32_e32 v82, 16, v93
	;;#ASMSTART
	v_cvt_f32_f16 v78, v78;
	;;#ASMEND
	;;#ASMSTART
	v_cvt_f32_f16 v83, v83;
	;;#ASMEND
	;; [unrolled: 3-line block ×5, first 2 shown]
	v_lshrrev_b32_e32 v106, 16, v38
	;;#ASMSTART
	v_cvt_f32_f16 v82, v82;
	;;#ASMEND
	;;#ASMSTART
	v_cvt_f32_f16 v93, v41;
	;;#ASMEND
	;; [unrolled: 3-line block ×3, first 2 shown]
	ds_load_b64 v[40:41], v63 offset:72
	v_and_b32_e32 v38, 0xffff, v38
	v_dual_fmac_f32 v46, v52, v53 :: v_dual_fmac_f32 v44, v79, v80
	v_fmac_f32_e32 v47, v77, v103
	s_wait_dscnt 0x0
	v_and_b32_e32 v52, 0xffff, v40
	v_dual_lshrrev_b32 v40, 16, v40 :: v_dual_lshrrev_b32 v53, 16, v41
	v_and_b32_e32 v41, 0xffff, v41
	;;#ASMSTART
	v_cvt_f32_f16 v52, v52;
	;;#ASMEND
	;;#ASMSTART
	v_cvt_f32_f16 v40, v40;
	;;#ASMEND
	;; [unrolled: 3-line block ×8, first 2 shown]
	ds_load_b64 v[38:39], v63 offset:80
	v_lshrrev_b32_e32 v106, 16, v36
	v_and_b32_e32 v36, 0xffff, v36
	v_dual_fmac_f32 v46, v48, v49 :: v_dual_fmac_f32 v44, v90, v91
	s_delay_alu instid0(VALU_DEP_1) | instskip(NEXT) | instid1(VALU_DEP_1)
	v_dual_fmac_f32 v46, v94, v95 :: v_dual_fmac_f32 v44, v100, v101
	v_fmac_f32_e32 v44, v104, v105
	s_wait_dscnt 0x0
	v_and_b32_e32 v51, 0xffff, v38
	v_dual_lshrrev_b32 v38, 16, v38 :: v_dual_lshrrev_b32 v48, 16, v39
	v_and_b32_e32 v39, 0xffff, v39
	;;#ASMSTART
	v_cvt_f32_f16 v49, v51;
	;;#ASMEND
	;;#ASMSTART
	v_cvt_f32_f16 v38, v38;
	;;#ASMEND
	;; [unrolled: 3-line block ×5, first 2 shown]
	s_wait_loadcnt 0xc
	v_lshrrev_b32_e32 v106, 16, v34
	;;#ASMSTART
	v_cvt_f32_f16 v48, v48;
	;;#ASMEND
	;;#ASMSTART
	v_cvt_f32_f16 v88, v37;
	;;#ASMEND
	;; [unrolled: 3-line block ×3, first 2 shown]
	ds_load_b64 v[36:37], v63 offset:88
	v_and_b32_e32 v34, 0xffff, v34
	v_lshrrev_b32_e32 v90, 16, v35
	v_and_b32_e32 v35, 0xffff, v35
	s_wait_dscnt 0x0
	v_dual_fmac_f32 v45, v96, v98 :: v_dual_lshrrev_b32 v89, 16, v37
	v_and_b32_e32 v87, 0xffff, v36
	v_lshrrev_b32_e32 v36, 16, v36
	v_and_b32_e32 v37, 0xffff, v37
	;;#ASMSTART
	v_cvt_f32_f16 v87, v87;
	;;#ASMEND
	;;#ASMSTART
	v_cvt_f32_f16 v36, v36;
	;;#ASMEND
	;; [unrolled: 3-line block ×8, first 2 shown]
	ds_load_b64 v[34:35], v63 offset:96
	s_wait_loadcnt 0xb
	v_lshrrev_b32_e32 v106, 16, v32
	v_and_b32_e32 v32, 0xffff, v32
	v_lshrrev_b32_e32 v94, 16, v33
	v_and_b32_e32 v33, 0xffff, v33
	s_wait_loadcnt 0xa
	v_dual_fmac_f32 v45, v76, v102 :: v_dual_lshrrev_b32 v76, 16, v31
	v_and_b32_e32 v31, 0xffff, v31
	s_wait_loadcnt 0x9
	v_lshrrev_b32_e32 v77, 16, v29
	v_and_b32_e32 v29, 0xffff, v29
	v_fmac_f32_e32 v45, v54, v71
	s_wait_dscnt 0x0
	v_and_b32_e32 v95, 0xffff, v34
	v_dual_lshrrev_b32 v34, 16, v34 :: v_dual_lshrrev_b32 v97, 16, v35
	v_and_b32_e32 v35, 0xffff, v35
	;;#ASMSTART
	v_cvt_f32_f16 v95, v95;
	;;#ASMEND
	;;#ASMSTART
	v_cvt_f32_f16 v34, v34;
	;;#ASMEND
	;; [unrolled: 3-line block ×5, first 2 shown]
	v_lshrrev_b32_e32 v106, 16, v30
	;;#ASMSTART
	v_cvt_f32_f16 v97, v97;
	;;#ASMEND
	;;#ASMSTART
	v_cvt_f32_f16 v101, v33;
	;;#ASMEND
	;; [unrolled: 3-line block ×3, first 2 shown]
	ds_load_b64 v[32:33], v63 offset:104
	v_and_b32_e32 v30, 0xffff, v30
	v_fmac_f32_e32 v46, v74, v75
	s_wait_dscnt 0x0
	v_and_b32_e32 v74, 0xffff, v32
	v_dual_lshrrev_b32 v32, 16, v32 :: v_dual_lshrrev_b32 v75, 16, v33
	v_and_b32_e32 v33, 0xffff, v33
	;;#ASMSTART
	v_cvt_f32_f16 v74, v74;
	;;#ASMEND
	;;#ASMSTART
	v_cvt_f32_f16 v32, v32;
	;;#ASMEND
	;; [unrolled: 3-line block ×8, first 2 shown]
	ds_load_b64 v[30:31], v63 offset:112
	v_lshrrev_b32_e32 v106, 16, v28
	v_and_b32_e32 v28, 0xffff, v28
	v_dual_fmac_f32 v46, v42, v43 :: v_dual_fmac_f32 v44, v73, v85
	s_wait_loadcnt 0x8
	v_lshrrev_b32_e32 v73, 16, v27
	v_and_b32_e32 v27, 0xffff, v27
	s_delay_alu instid0(VALU_DEP_3) | instskip(SKIP_1) | instid1(VALU_DEP_1)
	v_dual_fmac_f32 v45, v78, v84 :: v_dual_fmac_f32 v44, v81, v93
	s_wait_loadcnt 0x6
	v_dual_fmac_f32 v45, v52, v56 :: v_dual_lshrrev_b32 v52, 16, v23
	v_and_b32_e32 v23, 0xffff, v23
	s_delay_alu instid0(VALU_DEP_2)
	v_fmac_f32_e32 v45, v49, v51
	s_wait_dscnt 0x0
	v_and_b32_e32 v54, 0xffff, v30
	v_dual_lshrrev_b32 v30, 16, v30 :: v_dual_lshrrev_b32 v42, 16, v31
	v_and_b32_e32 v31, 0xffff, v31
	;;#ASMSTART
	v_cvt_f32_f16 v43, v54;
	;;#ASMEND
	;;#ASMSTART
	v_cvt_f32_f16 v30, v30;
	;;#ASMEND
	;; [unrolled: 3-line block ×5, first 2 shown]
	v_lshrrev_b32_e32 v106, 16, v26
	;;#ASMSTART
	v_cvt_f32_f16 v42, v42;
	;;#ASMEND
	;;#ASMSTART
	v_cvt_f32_f16 v103, v29;
	;;#ASMEND
	;; [unrolled: 3-line block ×3, first 2 shown]
	ds_load_b64 v[28:29], v63 offset:120
	v_and_b32_e32 v26, 0xffff, v26
	s_wait_dscnt 0x0
	v_dual_fmac_f32 v47, v70, v72 :: v_dual_lshrrev_b32 v72, 16, v29
	v_and_b32_e32 v70, 0xffff, v28
	v_lshrrev_b32_e32 v28, 16, v28
	v_and_b32_e32 v29, 0xffff, v29
	;;#ASMSTART
	v_cvt_f32_f16 v70, v70;
	;;#ASMEND
	v_dual_fmac_f32 v46, v83, v92 :: v_dual_fmac_f32 v47, v82, v57
	v_lshrrev_b32_e32 v83, 16, v25
	;;#ASMSTART
	v_cvt_f32_f16 v28, v28;
	;;#ASMEND
	;;#ASMSTART
	v_cvt_f32_f16 v78, v26;
	;;#ASMEND
	;; [unrolled: 3-line block ×7, first 2 shown]
	ds_load_b64 v[26:27], v63 offset:128
	v_lshrrev_b32_e32 v106, 16, v24
	v_and_b32_e32 v24, 0xffff, v24
	v_and_b32_e32 v25, 0xffff, v25
	s_wait_loadcnt 0x5
	v_dual_fmac_f32 v47, v53, v55 :: v_dual_lshrrev_b32 v53, 16, v21
	v_and_b32_e32 v21, 0xffff, v21
	s_wait_dscnt 0x0
	v_and_b32_e32 v81, 0xffff, v26
	v_dual_lshrrev_b32 v26, 16, v26 :: v_dual_lshrrev_b32 v57, 16, v27
	v_and_b32_e32 v27, 0xffff, v27
	;;#ASMSTART
	v_cvt_f32_f16 v81, v81;
	;;#ASMEND
	;;#ASMSTART
	v_cvt_f32_f16 v26, v26;
	;;#ASMEND
	;; [unrolled: 3-line block ×5, first 2 shown]
	v_lshrrev_b32_e32 v106, 16, v22
	;;#ASMSTART
	v_cvt_f32_f16 v57, v57;
	;;#ASMEND
	;;#ASMSTART
	v_cvt_f32_f16 v93, v25;
	;;#ASMEND
	;; [unrolled: 3-line block ×3, first 2 shown]
	ds_load_b64 v[24:25], v63 offset:136
	v_and_b32_e32 v22, 0xffff, v22
	v_dual_fmac_f32 v46, v40, v79 :: v_dual_fmac_f32 v44, v41, v80
	s_wait_dscnt 0x0
	v_lshrrev_b32_e32 v41, 16, v25
	v_and_b32_e32 v40, 0xffff, v24
	v_lshrrev_b32_e32 v24, 16, v24
	v_and_b32_e32 v25, 0xffff, v25
	;;#ASMSTART
	v_cvt_f32_f16 v40, v40;
	;;#ASMEND
	;;#ASMSTART
	v_cvt_f32_f16 v24, v24;
	;;#ASMEND
	;; [unrolled: 3-line block ×8, first 2 shown]
	ds_load_b64 v[22:23], v63 offset:144
	v_lshrrev_b32_e32 v106, 16, v20
	v_and_b32_e32 v20, 0xffff, v20
	v_dual_fmac_f32 v46, v38, v86 :: v_dual_fmac_f32 v44, v39, v88
	s_wait_loadcnt 0x4
	v_lshrrev_b32_e32 v39, 16, v19
	v_and_b32_e32 v19, 0xffff, v19
	s_delay_alu instid0(VALU_DEP_3) | instskip(SKIP_3) | instid1(VALU_DEP_3)
	v_dual_fmac_f32 v46, v36, v96 :: v_dual_fmac_f32 v44, v37, v98
	s_wait_loadcnt 0x3
	v_lshrrev_b32_e32 v36, 16, v17
	v_and_b32_e32 v17, 0xffff, v17
	v_fmac_f32_e32 v44, v35, v101
	s_wait_dscnt 0x0
	v_and_b32_e32 v49, 0xffff, v22
	v_dual_lshrrev_b32 v22, 16, v22 :: v_dual_lshrrev_b32 v38, 16, v23
	v_and_b32_e32 v23, 0xffff, v23
	;;#ASMSTART
	v_cvt_f32_f16 v49, v49;
	;;#ASMEND
	;;#ASMSTART
	v_cvt_f32_f16 v22, v22;
	;;#ASMEND
	;;#ASMSTART
	v_cvt_f32_f16 v51, v20;
	;;#ASMEND
	;;#ASMSTART
	v_cvt_f32_f16 v55, v106;
	;;#ASMEND
	;;#ASMSTART
	v_cvt_f32_f16 v23, v23;
	;;#ASMEND
	;;#ASMSTART
	v_cvt_f32_f16 v38, v38;
	;;#ASMEND
	;;#ASMSTART
	v_cvt_f32_f16 v86, v21;
	;;#ASMEND
	;;#ASMSTART
	v_cvt_f32_f16 v53, v53;
	;;#ASMEND
	ds_load_b64 v[20:21], v63 offset:152
	v_lshrrev_b32_e32 v106, 16, v18
	v_and_b32_e32 v18, 0xffff, v18
	v_dual_fmac_f32 v47, v48, v50 :: v_dual_fmac_f32 v45, v87, v91
	s_wait_dscnt 0x0
	v_lshrrev_b32_e32 v50, 16, v21
	v_and_b32_e32 v48, 0xffff, v20
	v_lshrrev_b32_e32 v20, 16, v20
	v_and_b32_e32 v21, 0xffff, v21
	;;#ASMSTART
	v_cvt_f32_f16 v48, v48;
	;;#ASMEND
	;;#ASMSTART
	v_cvt_f32_f16 v20, v20;
	;;#ASMEND
	;; [unrolled: 3-line block ×8, first 2 shown]
	ds_load_b64 v[18:19], v63 offset:160
	v_lshrrev_b32_e32 v106, 16, v16
	v_and_b32_e32 v16, 0xffff, v16
	v_dual_fmac_f32 v47, v89, v90 :: v_dual_fmac_f32 v45, v95, v99
	v_fmac_f32_e32 v46, v34, v100
	s_wait_loadcnt 0x1
	v_dual_lshrrev_b32 v99, 16, v12 :: v_dual_lshrrev_b32 v95, 16, v15
	s_delay_alu instid0(VALU_DEP_3) | instskip(NEXT) | instid1(VALU_DEP_3)
	v_fmac_f32_e32 v47, v97, v94
	v_dual_fmac_f32 v45, v74, v102 :: v_dual_fmac_f32 v46, v32, v104
	v_fmac_f32_e32 v44, v33, v105
	v_and_b32_e32 v15, 0xffff, v15
	s_delay_alu instid0(VALU_DEP_4) | instskip(SKIP_1) | instid1(VALU_DEP_2)
	v_fmac_f32_e32 v47, v75, v76
	v_and_b32_e32 v12, 0xffff, v12
	v_dual_fmac_f32 v44, v31, v103 :: v_dual_fmac_f32 v47, v42, v77
	s_wait_dscnt 0x0
	v_and_b32_e32 v37, 0xffff, v18
	v_dual_lshrrev_b32 v18, 16, v18 :: v_dual_lshrrev_b32 v89, 16, v19
	v_and_b32_e32 v19, 0xffff, v19
	;;#ASMSTART
	v_cvt_f32_f16 v37, v37;
	;;#ASMEND
	;;#ASMSTART
	v_cvt_f32_f16 v18, v18;
	;;#ASMEND
	;; [unrolled: 3-line block ×8, first 2 shown]
	ds_load_b64 v[16:17], v63 offset:168
	v_dual_fmac_f32 v45, v43, v54 :: v_dual_fmac_f32 v46, v30, v71
	v_lshrrev_b32_e32 v106, 16, v14
	v_and_b32_e32 v14, 0xffff, v14
	v_fmac_f32_e32 v47, v72, v73
	s_wait_dscnt 0x0
	v_and_b32_e32 v32, 0xffff, v16
	v_dual_lshrrev_b32 v16, 16, v16 :: v_dual_lshrrev_b32 v30, 16, v17
	v_dual_fmac_f32 v45, v70, v78 :: v_dual_fmac_f32 v46, v28, v84
	v_and_b32_e32 v17, 0xffff, v17
	;;#ASMSTART
	v_cvt_f32_f16 v32, v32;
	;;#ASMEND
	;;#ASMSTART
	v_cvt_f32_f16 v16, v16;
	;;#ASMEND
	;; [unrolled: 3-line block ×8, first 2 shown]
	ds_load_b64 v[14:15], v63 offset:176
	v_dual_fmac_f32 v44, v29, v85 :: v_dual_fmac_f32 v46, v26, v92
	v_dual_fmac_f32 v45, v81, v82 :: v_dual_lshrrev_b32 v28, 16, v13
	v_and_b32_e32 v13, 0xffff, v13
	s_wait_loadcnt 0x0
	s_delay_alu instid0(VALU_DEP_3) | instskip(SKIP_2) | instid1(VALU_DEP_2)
	v_dual_fmac_f32 v46, v24, v79 :: v_dual_lshrrev_b32 v24, 16, v10
	v_dual_fmac_f32 v44, v27, v93 :: v_dual_fmac_f32 v47, v57, v83
	v_and_b32_e32 v10, 0xffff, v10
	v_fmac_f32_e32 v44, v25, v80
	s_delay_alu instid0(VALU_DEP_4) | instskip(NEXT) | instid1(VALU_DEP_2)
	v_dual_fmac_f32 v45, v40, v56 :: v_dual_fmac_f32 v46, v22, v55
	v_dual_fmac_f32 v47, v41, v52 :: v_dual_fmac_f32 v44, v23, v86
	s_delay_alu instid0(VALU_DEP_2)
	v_fmac_f32_e32 v45, v49, v51
	s_wait_dscnt 0x0
	v_and_b32_e32 v22, 0xffff, v14
	v_dual_lshrrev_b32 v14, 16, v14 :: v_dual_lshrrev_b32 v23, 16, v15
	v_fmac_f32_e32 v47, v38, v53
	v_and_b32_e32 v15, 0xffff, v15
	;;#ASMSTART
	v_cvt_f32_f16 v22, v22;
	;;#ASMEND
	;;#ASMSTART
	v_cvt_f32_f16 v14, v14;
	;;#ASMEND
	;; [unrolled: 3-line block ×8, first 2 shown]
	ds_load_b64 v[12:13], v63 offset:184
	v_dual_fmac_f32 v46, v20, v88 :: v_dual_fmac_f32 v44, v21, v91
	s_delay_alu instid0(VALU_DEP_1) | instskip(NEXT) | instid1(VALU_DEP_1)
	v_dual_fmac_f32 v45, v48, v87 :: v_dual_fmac_f32 v46, v18, v96
	v_dual_fmac_f32 v47, v50, v39 :: v_dual_fmac_f32 v45, v37, v90
	s_delay_alu instid0(VALU_DEP_3) | instskip(NEXT) | instid1(VALU_DEP_2)
	v_dual_fmac_f32 v44, v19, v98 :: v_dual_lshrrev_b32 v18, 16, v11
	v_dual_fmac_f32 v46, v16, v34 :: v_dual_fmac_f32 v47, v89, v36
	s_delay_alu instid0(VALU_DEP_2) | instskip(SKIP_1) | instid1(VALU_DEP_3)
	v_dual_fmac_f32 v45, v32, v33 :: v_dual_fmac_f32 v44, v17, v35
	v_and_b32_e32 v11, 0xffff, v11
	v_fmac_f32_e32 v47, v30, v43
	s_delay_alu instid0(VALU_DEP_3)
	v_dual_fmac_f32 v45, v22, v25 :: v_dual_fmac_f32 v44, v15, v27
	v_fmac_f32_e32 v46, v14, v26
	s_wait_dscnt 0x0
	v_and_b32_e32 v14, 0xffff, v12
	v_lshrrev_b32_e32 v12, 16, v12
	;;#ASMSTART
	v_cvt_f32_f16 v14, v14;
	;;#ASMEND
	;;#ASMSTART
	v_cvt_f32_f16 v12, v12;
	;;#ASMEND
	;;#ASMSTART
	v_cvt_f32_f16 v10, v10;
	;;#ASMEND
	v_dual_fmac_f32 v47, v23, v28 :: v_dual_lshrrev_b32 v15, 16, v13
	v_fmac_f32_e32 v45, v14, v10
	v_and_b32_e32 v13, 0xffff, v13
	;;#ASMSTART
	v_cvt_f32_f16 v16, v24;
	;;#ASMEND
	;;#ASMSTART
	v_cvt_f32_f16 v10, v13;
	;;#ASMEND
	v_fmac_f32_e32 v46, v12, v16
	;;#ASMSTART
	v_cvt_f32_f16 v12, v15;
	;;#ASMEND
	;;#ASMSTART
	v_cvt_f32_f16 v11, v11;
	;;#ASMEND
	v_fmac_f32_e32 v44, v10, v11
	;;#ASMSTART
	v_cvt_f32_f16 v11, v18;
	;;#ASMEND
	v_dual_add_f32 v10, v45, v46 :: v_dual_fmac_f32 v47, v12, v11
	v_cndmask_b32_e64 v11, v61, v68, s4
	s_delay_alu instid0(VALU_DEP_1) | instskip(NEXT) | instid1(VALU_DEP_1)
	v_dual_add_f32 v10, v10, v44 :: v_dual_lshlrev_b32 v11, 2, v11
	v_add_f32_e32 v10, v47, v10
	ds_bpermute_b32 v11, v11, v10
	s_and_saveexec_b32 s38, s3
	s_cbranch_execz .LBB79_10
; %bb.18:                               ;   in Loop: Header=BB79_12 Depth=1
	s_wait_dscnt 0x0
	v_dual_add_nc_u32 v12, v65, v2 :: v_dual_add_f32 v10, v10, v11
	s_delay_alu instid0(VALU_DEP_1) | instskip(NEXT) | instid1(VALU_DEP_1)
	v_cvt_f32_i32_e32 v12, v12
	v_mul_f32_e32 v12, s35, v12
	s_delay_alu instid0(VALU_DEP_1) | instskip(NEXT) | instid1(VALU_DEP_1)
	v_cndmask_b32_e32 v11, 0, v12, vcc_lo
	v_fmac_f32_e32 v11, s23, v10
	v_add_nc_u32_e32 v10, v62, v2
	s_delay_alu instid0(VALU_DEP_1) | instskip(NEXT) | instid1(VALU_DEP_1)
	v_cmp_gt_i32_e64 s4, s31, v10
	v_dual_max_num_f32 v12, v64, v64 :: v_dual_cndmask_b32 v10, 0, v11, s4
	s_delay_alu instid0(VALU_DEP_1)
	v_max_num_f32_e32 v12, v12, v11
	ds_store_b32 v66, v10
	v_cndmask_b32_e64 v64, v64, v12, s4
	s_branch .LBB79_10
.LBB79_19:
	s_or_b32 exec_lo, exec_lo, s37
.LBB79_20:
	s_delay_alu instid0(SALU_CYCLE_1)
	s_or_b32 exec_lo, exec_lo, s22
	v_dual_max_num_f32 v5, v64, v64 :: v_dual_bitop2_b32 v2, 16, v61 bitop3:0x14
	s_clause 0x1
	s_load_b64 s[4:5], s[0:1], 0x0
	s_load_b64 s[22:23], s[0:1], 0x18
	v_xor_b32_e32 v4, 8, v61
	v_xor_b32_e32 v8, 4, v61
	v_cmp_gt_i32_e32 vcc_lo, 32, v2
	v_dual_cndmask_b32 v2, v61, v2, vcc_lo :: v_dual_bitop2_b32 v27, 31, v0 bitop3:0x40
	s_delay_alu instid0(VALU_DEP_4) | instskip(NEXT) | instid1(VALU_DEP_2)
	v_cmp_gt_i32_e32 vcc_lo, 32, v4
	v_dual_cndmask_b32 v4, v61, v4 :: v_dual_lshlrev_b32 v3, 2, v2
	v_cmp_gt_i32_e32 vcc_lo, 32, v8
	ds_bpermute_b32 v2, v3, v64
	s_wait_dscnt 0x0
	v_dual_lshlrev_b32 v4, 2, v4 :: v_dual_max_num_f32 v2, v2, v2
	s_delay_alu instid0(VALU_DEP_1) | instskip(SKIP_3) | instid1(VALU_DEP_1)
	v_max_num_f32_e32 v2, v5, v2
	ds_bpermute_b32 v5, v4, v2
	s_wait_dscnt 0x0
	v_max_num_f32_e32 v9, v5, v5
	v_dual_cndmask_b32 v8, v61, v8, vcc_lo :: v_dual_max_num_f32 v2, v2, v9
	s_delay_alu instid0(VALU_DEP_1) | instskip(SKIP_3) | instid1(VALU_DEP_1)
	v_lshlrev_b32_e32 v5, 2, v8
	ds_bpermute_b32 v8, v5, v2
	s_wait_dscnt 0x0
	v_dual_max_num_f32 v8, v8, v8 :: v_dual_bitop2_b32 v9, 2, v61 bitop3:0x14
	v_cmp_gt_i32_e32 vcc_lo, 32, v9
	s_delay_alu instid0(VALU_DEP_2) | instskip(SKIP_2) | instid1(VALU_DEP_3)
	v_dual_cndmask_b32 v10, v61, v9 :: v_dual_max_num_f32 v9, v2, v8
	v_lshlrev_b32_e32 v8, 2, v60
	v_cmp_eq_u32_e32 vcc_lo, 0, v27
	v_lshlrev_b32_e32 v2, 2, v10
	ds_bpermute_b32 v10, v2, v9
	s_wait_xcnt 0x0
	s_and_saveexec_b32 s0, vcc_lo
	s_cbranch_execz .LBB79_22
; %bb.21:
	s_wait_dscnt 0x0
	v_dual_max_num_f32 v10, v10, v10 :: v_dual_max_num_f32 v9, v9, v9
	s_delay_alu instid0(VALU_DEP_1)
	v_max_num_f32_e32 v9, v9, v10
	ds_store_b32 v8, v9 offset:384
.LBB79_22:
	s_or_b32 exec_lo, exec_lo, s0
	v_cmp_gt_u32_e64 s0, 4, v27
	s_wait_dscnt 0x0
	v_dual_mov_b32 v10, 0xff7fffff :: v_dual_lshlrev_b32 v9, 2, v27
	s_barrier_signal -1
	s_barrier_wait -1
	s_and_saveexec_b32 s1, s0
; %bb.23:
	ds_load_b32 v10, v9 offset:384
; %bb.24:
	s_or_b32 exec_lo, exec_lo, s1
	s_wait_dscnt 0x0
	ds_bpermute_b32 v11, v2, v10
	v_dual_max_num_f32 v10, v10, v10 :: v_dual_bitop2_b32 v12, 1, v61 bitop3:0x14
	s_delay_alu instid0(VALU_DEP_1) | instskip(NEXT) | instid1(VALU_DEP_1)
	v_cmp_gt_i32_e64 s1, 32, v12
	v_cndmask_b32_e64 v12, v61, v12, s1
	s_lshl_b32 s1, s34, 4
	s_delay_alu instid0(SALU_CYCLE_1) | instskip(NEXT) | instid1(SALU_CYCLE_1)
	s_min_i32 s15, s1, s31
	v_cmp_gt_i32_e64 s1, s15, v0
	s_wait_dscnt 0x0
	v_dual_max_num_f32 v11, v11, v11 :: v_dual_lshlrev_b32 v28, 2, v12
	s_delay_alu instid0(VALU_DEP_1) | instskip(SKIP_3) | instid1(VALU_DEP_1)
	v_max_num_f32_e32 v10, v10, v11
	ds_bpermute_b32 v11, v28, v10
	s_wait_dscnt 0x0
	v_max_num_f32_e32 v11, v11, v11
	v_dual_max_num_f32 v11, v10, v11 :: v_dual_mov_b32 v10, 0
	ds_bpermute_b32 v11, v10, v11
	s_and_saveexec_b32 s24, s1
	s_cbranch_execz .LBB79_28
; %bb.25:
	v_lshl_add_u32 v12, v0, 2, 0x1a0
	v_dual_mov_b32 v10, 0 :: v_dual_mov_b32 v13, v0
	s_mov_b32 s25, 0
.LBB79_26:                              ; =>This Inner Loop Header: Depth=1
	ds_load_b32 v14, v12
	v_add_nc_u32_e32 v13, 0x80, v13
	s_delay_alu instid0(VALU_DEP_1) | instskip(SKIP_3) | instid1(VALU_DEP_1)
	v_cmp_le_i32_e64 s3, s15, v13
	s_or_b32 s25, s3, s25
	s_wait_dscnt 0x0
	v_sub_f32_e32 v14, v14, v11
	v_mul_f32_e32 v14, 0x3fb8aa3b, v14
	s_delay_alu instid0(VALU_DEP_1)
	v_exp_f32_e32 v14, v14
	ds_store_b32 v12, v14
	v_nop
	v_add_f32_e32 v10, v10, v14
	v_add_nc_u32_e32 v12, 0x200, v12
	s_and_not1_b32 exec_lo, exec_lo, s25
	s_cbranch_execnz .LBB79_26
; %bb.27:
	s_or_b32 exec_lo, exec_lo, s25
.LBB79_28:
	s_delay_alu instid0(SALU_CYCLE_1)
	s_or_b32 exec_lo, exec_lo, s24
	ds_bpermute_b32 v3, v3, v10
	s_wait_dscnt 0x0
	v_add_f32_e32 v3, v10, v3
	ds_bpermute_b32 v4, v4, v3
	s_wait_dscnt 0x0
	v_add_f32_e32 v3, v3, v4
	;; [unrolled: 3-line block ×5, first 2 shown]
	s_and_saveexec_b32 s3, vcc_lo
; %bb.29:
	ds_store_b32 v8, v3 offset:400
; %bb.30:
	s_or_b32 exec_lo, exec_lo, s3
	s_wait_dscnt 0x0
	s_barrier_signal -1
	s_barrier_wait -1
	s_and_saveexec_b32 s3, s0
; %bb.31:
	ds_load_b32 v3, v9 offset:400
; %bb.32:
	s_or_b32 exec_lo, exec_lo, s3
	s_wait_dscnt 0x0
	ds_bpermute_b32 v2, v2, v3
	s_wait_dscnt 0x0
	v_dual_mov_b32 v9, 0 :: v_dual_add_f32 v2, v3, v2
	ds_bpermute_b32 v3, v28, v2
	s_wait_dscnt 0x0
	v_add_f32_e32 v2, v2, v3
	ds_bpermute_b32 v2, v9, v2
	s_and_saveexec_b32 s0, s1
	s_cbranch_execz .LBB79_45
; %bb.33:
	s_wait_dscnt 0x0
	v_add_f32_e32 v2, 0x358637bd, v2
	s_mov_b32 s3, -1
	s_mov_b32 s1, exec_lo
	s_delay_alu instid0(VALU_DEP_1) | instskip(NEXT) | instid1(VALU_DEP_1)
	v_div_scale_f32 v3, null, v2, v2, 1.0
	v_rcp_f32_e32 v5, v3
	v_nop
	s_delay_alu instid0(TRANS32_DEP_1) | instskip(NEXT) | instid1(VALU_DEP_1)
	v_fma_f32 v4, -v3, v5, 1.0
	v_fmac_f32_e32 v5, v4, v5
	v_div_scale_f32 v8, vcc_lo, 1.0, v2, 1.0
	s_delay_alu instid0(VALU_DEP_1) | instskip(NEXT) | instid1(VALU_DEP_1)
	v_mul_f32_e32 v10, v8, v5
	v_fma_f32 v4, -v3, v10, v8
	s_delay_alu instid0(VALU_DEP_1) | instskip(SKIP_1) | instid1(VALU_DEP_2)
	v_fmac_f32_e32 v10, v4, v5
	v_xad_u32 v4, v0, -1, s15
	v_fma_f32 v3, -v3, v10, v8
	s_delay_alu instid0(VALU_DEP_1) | instskip(NEXT) | instid1(VALU_DEP_1)
	v_div_fmas_f32 v3, v3, v5, v10
	v_div_fixup_f32 v2, v3, v2, 1.0
	v_mov_b32_e32 v3, v0
	v_cmpx_lt_u32_e32 0x7f, v4
	s_cbranch_execz .LBB79_42
; %bb.34:
	s_delay_alu instid0(VALU_DEP_3) | instskip(NEXT) | instid1(VALU_DEP_1)
	v_dual_mov_b32 v3, v2 :: v_dual_lshrrev_b32 v4, 7, v4
	v_dual_mov_b32 v11, 0 :: v_dual_add_nc_u32 v5, -1, v4
	s_delay_alu instid0(VALU_DEP_1) | instskip(SKIP_1) | instid1(VALU_DEP_2)
	v_lshrrev_b32_e32 v8, 1, v5
	v_cmp_lt_u32_e32 vcc_lo, 13, v5
	v_add_nc_u32_e32 v5, 1, v8
	s_and_saveexec_b32 s3, vcc_lo
	s_cbranch_execz .LBB79_38
; %bb.35:
	s_delay_alu instid0(VALU_DEP_1)
	v_and_b32_e32 v8, -8, v5
	v_lshl_add_u32 v10, v0, 2, 0x1a0
	s_mov_b32 s24, 0
	s_mov_b32 s25, 0
.LBB79_36:                              ; =>This Inner Loop Header: Depth=1
	ds_load_2addr_stride64_b32 v[12:13], v10 offset1:2
	ds_load_2addr_stride64_b32 v[14:15], v10 offset0:4 offset1:6
	ds_load_2addr_stride64_b32 v[16:17], v10 offset0:8 offset1:10
	;; [unrolled: 1-line block ×7, first 2 shown]
	s_add_co_i32 s25, s25, 16
	s_delay_alu instid0(SALU_CYCLE_1) | instskip(NEXT) | instid1(VALU_DEP_1)
	v_dual_mov_b32 v11, s25 :: v_dual_add_nc_u32 v8, -8, v8
	v_cmp_eq_u32_e32 vcc_lo, 0, v8
	s_or_b32 s24, vcc_lo, s24
	s_wait_dscnt 0x7
	v_pk_mul_f32 v[12:13], v[2:3], v[12:13]
	s_wait_dscnt 0x6
	v_pk_mul_f32 v[14:15], v[2:3], v[14:15]
	;; [unrolled: 2-line block ×8, first 2 shown]
	ds_store_2addr_stride64_b32 v10, v12, v13 offset1:2
	ds_store_2addr_stride64_b32 v10, v14, v15 offset0:4 offset1:6
	ds_store_2addr_stride64_b32 v10, v16, v17 offset0:8 offset1:10
	;; [unrolled: 1-line block ×7, first 2 shown]
	v_add_nc_u32_e32 v10, 0x2000, v10
	s_and_not1_b32 exec_lo, exec_lo, s24
	s_cbranch_execnz .LBB79_36
; %bb.37:
	s_or_b32 exec_lo, exec_lo, s24
.LBB79_38:
	s_delay_alu instid0(SALU_CYCLE_1) | instskip(NEXT) | instid1(VALU_DEP_1)
	s_or_b32 exec_lo, exec_lo, s3
	v_and_b32_e32 v5, 7, v5
	s_mov_b32 s24, 0
	s_mov_b32 s3, exec_lo
	s_delay_alu instid0(VALU_DEP_1)
	v_cmpx_ne_u32_e32 0, v5
	s_cbranch_execz .LBB79_41
; %bb.39:
	v_dual_lshlrev_b32 v8, 9, v11 :: v_dual_lshlrev_b32 v10, 2, v0
	s_delay_alu instid0(VALU_DEP_1)
	v_add3_u32 v8, v8, v10, 0x1a0
.LBB79_40:                              ; =>This Inner Loop Header: Depth=1
	ds_load_2addr_stride64_b32 v[10:11], v8 offset1:2
	v_add_nc_u32_e32 v5, -1, v5
	s_delay_alu instid0(VALU_DEP_1)
	v_cmp_eq_u32_e32 vcc_lo, 0, v5
	s_or_b32 s24, vcc_lo, s24
	s_wait_dscnt 0x0
	v_pk_mul_f32 v[10:11], v[2:3], v[10:11]
	ds_store_2addr_stride64_b32 v8, v10, v11 offset1:2
	v_add_nc_u32_e32 v8, 0x400, v8
	s_and_not1_b32 exec_lo, exec_lo, s24
	s_cbranch_execnz .LBB79_40
.LBB79_41:
	s_or_b32 exec_lo, exec_lo, s3
	v_add_nc_u32_e32 v3, 1, v4
	s_delay_alu instid0(VALU_DEP_1) | instskip(NEXT) | instid1(VALU_DEP_1)
	v_and_b32_e32 v4, 0x3fffffe, v3
	v_cmp_ne_u32_e32 vcc_lo, v3, v4
	v_lshl_add_u32 v3, v4, 7, v0
	s_or_not1_b32 s3, vcc_lo, exec_lo
.LBB79_42:
	s_or_b32 exec_lo, exec_lo, s1
	s_delay_alu instid0(SALU_CYCLE_1)
	s_and_b32 exec_lo, exec_lo, s3
	s_cbranch_execz .LBB79_45
; %bb.43:
	v_lshl_add_u32 v4, v3, 2, 0x1a0
	s_mov_b32 s1, 0
.LBB79_44:                              ; =>This Inner Loop Header: Depth=1
	ds_load_b32 v5, v4
	v_add_nc_u32_e32 v3, 0x80, v3
	s_delay_alu instid0(VALU_DEP_1)
	v_cmp_le_i32_e32 vcc_lo, s15, v3
	s_or_b32 s1, vcc_lo, s1
	s_wait_dscnt 0x0
	v_mul_f32_e32 v5, v2, v5
	ds_store_b32 v4, v5
	v_add_nc_u32_e32 v4, 0x200, v4
	s_and_not1_b32 exec_lo, exec_lo, s1
	s_cbranch_execnz .LBB79_44
.LBB79_45:
	s_or_b32 exec_lo, exec_lo, s0
	v_dual_mov_b32 v8, 0 :: v_dual_mov_b32 v11, 0
	v_dual_mov_b32 v10, 0 :: v_dual_mov_b32 v13, 0
	;; [unrolled: 1-line block ×5, first 2 shown]
	v_mov_b32_e32 v18, 0
	s_wait_dscnt 0x0
	s_barrier_signal -1
	s_barrier_wait -1
	s_and_saveexec_b32 s1, s2
	s_cbranch_execz .LBB79_75
; %bb.46:
	s_abs_i32 s10, s10
	v_dual_lshlrev_b32 v4, 4, v0 :: v_dual_bitop2_b32 v29, 8, v7 bitop3:0x40
	s_cvt_f32_u32 s0, s10
	v_mov_b32_e32 v7, 0
	v_and_b32_e32 v2, 0x7c, v1
	v_lshlrev_b32_e32 v1, 5, v59
	v_rcp_iflag_f32_e32 v3, s0
	s_ashr_i32 s15, s14, 31
	v_and_b32_e32 v4, 0x1f0, v4
	v_mov_b32_e32 v5, v7
	s_lshl_b64 s[20:21], s[20:21], 2
	s_lshl_b64 s[14:15], s[14:15], 1
	v_lshl_or_b32 v1, v60, 6, v1
	v_readfirstlane_b32 s0, v3
	v_mov_b32_e32 v3, v7
	s_add_nc_u64 s[18:19], s[18:19], s[20:21]
	s_wait_kmcnt 0x0
	s_add_nc_u64 s[14:15], s[22:23], s[14:15]
	s_sub_co_i32 s24, s8, s9
	s_mul_f32 s0, s0, 0x4f7ffffe
	s_sub_co_i32 s8, 0, s10
	v_add_nc_u64_e32 v[20:21], s[14:15], v[4:5]
	v_add_nc_u64_e32 v[22:23], s[18:19], v[2:3]
	s_cvt_u32_f32 s0, s0
	v_dual_mov_b32 v31, v60 :: v_dual_add_nc_u32 v30, 0x1a0, v1
	v_dual_mov_b32 v18, v7 :: v_dual_mov_b32 v19, v7
	s_delay_alu instid0(SALU_CYCLE_1)
	s_mul_i32 s8, s8, s0
	v_dual_mov_b32 v16, v7 :: v_dual_mov_b32 v17, v7
	v_dual_mov_b32 v14, v7 :: v_dual_mov_b32 v15, v7
	;; [unrolled: 1-line block ×5, first 2 shown]
	s_mov_b32 s9, 0
	s_mul_hi_u32 s8, s0, s8
	s_ashr_i32 s3, s13, 31
	s_mov_b32 s2, s13
	s_add_co_i32 s13, s34, -1
	s_mov_b32 s14, s31
	s_add_co_i32 s8, s0, s8
	s_mov_b32 s15, s9
	s_branch .LBB79_49
.LBB79_47:                              ;   in Loop: Header=BB79_49 Depth=1
	s_or_b32 exec_lo, exec_lo, s0
	v_dual_add_f32 v26, v26, v40 :: v_dual_add_f32 v33, v64, v65
	s_delay_alu instid0(VALU_DEP_2) | instskip(NEXT) | instid1(VALU_DEP_2)
	v_dual_lshlrev_b32 v24, 16, v24 :: v_dual_lshlrev_b32 v25, 16, v25
	v_dual_add_f32 v34, v62, v63 :: v_dual_add_f32 v8, v8, v26
	v_dual_add_f32 v26, v55, v56 :: v_dual_lshlrev_b32 v1, 16, v1
	s_delay_alu instid0(VALU_DEP_3) | instskip(NEXT) | instid1(VALU_DEP_4)
	v_and_or_b32 v2, 0xffff, v2, v24
	v_and_or_b32 v4, 0xffff, v4, v25
	;;#ASMSTART
	v_pk_mul_f16 v2, v42, v2;

	;;#ASMEND
	v_dual_add_f32 v32, v66, v67 :: v_dual_add_f32 v35, v57, v61
	v_and_or_b32 v3, 0xffff, v3, v1
	;;#ASMSTART
	v_pk_mul_f16 v3, v41, v3;

	;;#ASMEND
	;;#ASMSTART
	v_pk_mul_f16 v4, v43, v4;

	;;#ASMEND
	;; [unrolled: 4-line block ×3, first 2 shown]
	;;#ASMSTART
	v_pk_add_f16 v2, v2, v3;

	;;#ASMEND
	;;#ASMSTART
	v_pk_add_f16 v2, v2, v4;

	;;#ASMEND
	;; [unrolled: 4-line block ×3, first 2 shown]
	v_dual_add_f32 v3, v47, v48 :: v_dual_lshrrev_b32 v24, 16, v2
	v_and_b32_e32 v5, 0xffff, v2
	;;#ASMSTART
	v_cvt_f32_f16 v5, v5;
	;;#ASMEND
	v_dual_add_f32 v11, v11, v32 :: v_dual_add_f32 v10, v10, v33
	v_dual_add_f32 v32, v53, v54 :: v_dual_add_f32 v1, v51, v52
	;; [unrolled: 1-line block ×3, first 2 shown]
	v_add_f32_e32 v4, v45, v46
	;;#ASMSTART
	v_cvt_f32_f16 v24, v24;
	;;#ASMEND
	s_delay_alu instid0(VALU_DEP_2) | instskip(SKIP_3) | instid1(VALU_DEP_4)
	v_dual_add_f32 v5, v5, v24 :: v_dual_add_f32 v16, v16, v2
	v_dual_add_f32 v13, v13, v34 :: v_dual_add_f32 v12, v12, v35
	;; [unrolled: 1-line block ×4, first 2 shown]
	v_add_f32_e32 v9, v9, v5
.LBB79_48:                              ;   in Loop: Header=BB79_49 Depth=1
	s_or_b32 exec_lo, exec_lo, s18
	v_dual_add_nc_u32 v31, 4, v31 :: v_dual_add_nc_u32 v6, 64, v6
	v_add_nc_u64_e32 v[22:23], 16, v[22:23]
	v_add_nc_u32_e32 v30, 0x100, v30
	s_delay_alu instid0(VALU_DEP_3) | instskip(SKIP_1) | instid1(SALU_CYCLE_1)
	v_cmp_le_i32_e32 vcc_lo, s34, v31
	s_or_b32 s15, vcc_lo, s15
	s_and_not1_b32 exec_lo, exec_lo, s15
	s_cbranch_execz .LBB79_74
.LBB79_49:                              ; =>This Inner Loop Header: Depth=1
	v_mul_u64_e32 v[2:3], s[16:17], v[6:7]
	s_delay_alu instid0(VALU_DEP_1) | instskip(NEXT) | instid1(VALU_DEP_1)
	v_mul_lo_u32 v1, v3, s12
	v_dual_add_nc_u32 v2, 1, v3 :: v_dual_sub_nc_u32 v1, v6, v1
	s_delay_alu instid0(VALU_DEP_1) | instskip(SKIP_1) | instid1(VALU_DEP_2)
	v_subrev_nc_u32_e32 v4, s12, v1
	v_cmp_le_u32_e32 vcc_lo, s12, v1
	v_dual_cndmask_b32 v2, v3, v2 :: v_dual_cndmask_b32 v1, v1, v4
	s_delay_alu instid0(VALU_DEP_1) | instskip(NEXT) | instid1(VALU_DEP_2)
	v_add_nc_u32_e32 v3, 1, v2
	v_cmp_le_u32_e32 vcc_lo, s12, v1
	s_delay_alu instid0(VALU_DEP_2) | instskip(NEXT) | instid1(VALU_DEP_1)
	v_dual_cndmask_b32 v1, v2, v3, vcc_lo :: v_dual_mov_b32 v3, v7
	v_xor_b32_e32 v1, s11, v1
	s_delay_alu instid0(VALU_DEP_1) | instskip(NEXT) | instid1(VALU_DEP_1)
	v_subrev_nc_u32_e32 v1, s11, v1
	v_add_nc_u32_e32 v24, s33, v1
	v_cmp_lt_i32_e64 s0, s24, v1
	s_delay_alu instid0(VALU_DEP_2) | instskip(NEXT) | instid1(VALU_DEP_1)
	v_sub_nc_u32_e32 v2, 0, v24
	v_max_i32_e32 v2, v24, v2
	s_delay_alu instid0(VALU_DEP_1) | instskip(SKIP_1) | instid1(VALU_DEP_2)
	v_mul_u64_e32 v[4:5], s[8:9], v[2:3]
	v_ashrrev_i32_e32 v4, 31, v24
	v_mul_lo_u32 v3, v5, s10
	s_delay_alu instid0(VALU_DEP_1) | instskip(NEXT) | instid1(VALU_DEP_1)
	v_sub_nc_u32_e32 v2, v2, v3
	v_subrev_nc_u32_e32 v3, s10, v2
	v_cmp_le_u32_e32 vcc_lo, s10, v2
	s_delay_alu instid0(VALU_DEP_2) | instskip(NEXT) | instid1(VALU_DEP_1)
	v_cndmask_b32_e32 v2, v2, v3, vcc_lo
	v_subrev_nc_u32_e32 v3, s10, v2
	v_cmp_le_u32_e32 vcc_lo, s10, v2
	s_delay_alu instid0(VALU_DEP_2) | instskip(NEXT) | instid1(VALU_DEP_1)
	v_cndmask_b32_e32 v2, v2, v3, vcc_lo
	v_xor_b32_e32 v2, v2, v4
	s_delay_alu instid0(VALU_DEP_1) | instskip(NEXT) | instid1(VALU_DEP_1)
	v_sub_nc_u32_e32 v2, v2, v4
	v_cmp_eq_u32_e32 vcc_lo, 0, v2
	s_or_b32 s0, vcc_lo, s0
	s_delay_alu instid0(SALU_CYCLE_1)
	s_and_saveexec_b32 s18, s0
	s_cbranch_execz .LBB79_48
; %bb.50:                               ;   in Loop: Header=BB79_49 Depth=1
	global_load_b32 v2, v[22:23], off
	v_add_nc_u32_e32 v36, v29, v6
	v_cmp_eq_u32_e32 vcc_lo, s13, v31
	s_wait_loadcnt 0x0
	s_delay_alu instid0(VALU_DEP_2) | instskip(NEXT) | instid1(VALU_DEP_1)
	v_dual_add_nc_u32 v38, 2, v36 :: v_dual_ashrrev_i32 v3, 31, v2
	v_mul_u64_e32 v[24:25], s[2:3], v[2:3]
	ds_load_2addr_b64 v[2:5], v30 offset1:1
	ds_load_2addr_b64 v[32:35], v30 offset0:2 offset1:3
	s_wait_dscnt 0x1
	;;#ASMSTART
	v_cvt_f16_f32 v42, v2;

	;;#ASMEND
	;;#ASMSTART
	v_cvt_f16_f32 v41, v3;

	;;#ASMEND
	;; [unrolled: 4-line block ×4, first 2 shown]
	s_wait_dscnt 0x0
	;;#ASMSTART
	v_cvt_f16_f32 v48, v32;

	;;#ASMEND
	;;#ASMSTART
	v_cvt_f16_f32 v43, v33;

	;;#ASMEND
	;; [unrolled: 4-line block ×4, first 2 shown]
	v_lshl_add_u64 v[24:25], v[24:25], 1, v[20:21]
	global_load_b128 v[2:5], v[24:25], off
	s_wait_loadcnt 0x0
	v_dual_lshrrev_b32 v1, 16, v3 :: v_dual_add_nc_u32 v33, 4, v36
	v_dual_add_nc_u32 v32, 5, v36 :: v_dual_add_nc_u32 v35, 6, v36
	v_dual_add_nc_u32 v34, 7, v36 :: v_dual_bitop2_b32 v39, 3, v36 bitop3:0x54
	v_dual_lshrrev_b32 v26, 16, v2 :: v_dual_lshrrev_b32 v40, 16, v4
	v_or_b32_e32 v37, 1, v36
	s_and_saveexec_b32 s19, vcc_lo
	s_cbranch_execz .LBB79_52
; %bb.51:                               ;   in Loop: Header=BB79_49 Depth=1
	v_cmp_gt_i32_e64 s0, s31, v36
	v_and_b32_e32 v49, 0xffff, v5
	v_and_b32_e32 v5, 0xffff0000, v5
	s_delay_alu instid0(VALU_DEP_3) | instskip(SKIP_1) | instid1(VALU_DEP_1)
	v_cndmask_b32_e64 v2, 0, v2, s0
	v_cmp_gt_i32_e64 s0, s31, v38
	v_cndmask_b32_e64 v3, 0, v3, s0
	v_cmp_gt_i32_e64 s0, s14, v39
	s_delay_alu instid0(VALU_DEP_1) | instskip(SKIP_1) | instid1(VALU_DEP_1)
	v_cndmask_b32_e64 v1, 0, v1, s0
	v_cmp_gt_i32_e64 s0, s31, v37
	v_cndmask_b32_e64 v26, 0, v26, s0
	v_cmp_gt_i32_e64 s0, s31, v35
	s_delay_alu instid0(VALU_DEP_1) | instskip(SKIP_1) | instid1(VALU_DEP_1)
	;; [unrolled: 5-line block ×3, first 2 shown]
	v_cndmask_b32_e64 v4, 0, v4, s0
	v_cmp_gt_i32_e64 s0, s31, v32
	v_dual_cndmask_b32 v40, 0, v40, s0 :: v_dual_bitop2_b32 v5, v49, v5 bitop3:0x54
.LBB79_52:                              ;   in Loop: Header=BB79_49 Depth=1
	s_or_b32 exec_lo, exec_lo, s19
	v_and_b32_e32 v42, 0xffff, v42
	v_and_b32_e32 v47, 0xffff, v47
	v_dual_lshlrev_b32 v26, 16, v26 :: v_dual_lshlrev_b32 v1, 16, v1
	v_lshlrev_b32_e32 v40, 16, v40
	v_and_b32_e32 v48, 0xffff, v48
	v_lshl_or_b32 v42, v41, 16, v42
	v_lshl_or_b32 v41, v45, 16, v47
	v_and_b32_e32 v45, 0xffff, v46
	v_and_or_b32 v2, 0xffff, v2, v26
	v_and_or_b32 v1, 0xffff, v3, v1
	;; [unrolled: 1-line block ×3, first 2 shown]
	;;#ASMSTART
	v_pk_mul_f16 v2, v42, v2;

	;;#ASMEND
	;;#ASMSTART
	v_pk_mul_f16 v1, v41, v1;

	;;#ASMEND
	v_lshl_or_b32 v43, v43, 16, v48
	v_lshl_or_b32 v44, v44, 16, v45
	;;#ASMSTART
	v_pk_mul_f16 v3, v43, v3;

	;;#ASMEND
	;;#ASMSTART
	v_pk_mul_f16 v4, v44, v5;

	;;#ASMEND
	;;#ASMSTART
	v_pk_add_f16 v1, v2, v1;

	;;#ASMEND
	;;#ASMSTART
	v_pk_add_f16 v1, v1, v3;
	;; [unrolled: 4-line block ×3, first 2 shown]

	;;#ASMEND
	v_and_b32_e32 v2, 0xffff, v1
	v_lshrrev_b32_e32 v1, 16, v1
	;;#ASMSTART
	v_cvt_f32_f16 v45, v2;
	;;#ASMEND
	;;#ASMSTART
	v_cvt_f32_f16 v46, v1;
	;;#ASMEND
	global_load_b128 v[2:5], v[24:25], off offset:512
	s_wait_loadcnt 0x0
	v_dual_lshrrev_b32 v1, 16, v3 :: v_dual_lshrrev_b32 v26, 16, v2
	v_lshrrev_b32_e32 v40, 16, v4
	s_and_saveexec_b32 s19, vcc_lo
	s_cbranch_execz .LBB79_54
; %bb.53:                               ;   in Loop: Header=BB79_49 Depth=1
	v_cmp_gt_i32_e64 s0, s31, v36
	v_and_b32_e32 v47, 0xffff, v5
	v_and_b32_e32 v5, 0xffff0000, v5
	s_delay_alu instid0(VALU_DEP_3) | instskip(SKIP_1) | instid1(VALU_DEP_1)
	v_cndmask_b32_e64 v2, 0, v2, s0
	v_cmp_gt_i32_e64 s0, s31, v38
	v_cndmask_b32_e64 v3, 0, v3, s0
	v_cmp_gt_i32_e64 s0, s14, v39
	s_delay_alu instid0(VALU_DEP_1) | instskip(SKIP_1) | instid1(VALU_DEP_1)
	v_cndmask_b32_e64 v1, 0, v1, s0
	v_cmp_gt_i32_e64 s0, s31, v37
	v_cndmask_b32_e64 v26, 0, v26, s0
	v_cmp_gt_i32_e64 s0, s31, v35
	s_delay_alu instid0(VALU_DEP_1) | instskip(SKIP_1) | instid1(VALU_DEP_1)
	;; [unrolled: 5-line block ×3, first 2 shown]
	v_dual_cndmask_b32 v4, 0, v4, s0 :: v_dual_bitop2_b32 v5, v47, v5 bitop3:0x54
	v_cmp_gt_i32_e64 s0, s31, v32
	v_cndmask_b32_e64 v40, 0, v40, s0
.LBB79_54:                              ;   in Loop: Header=BB79_49 Depth=1
	s_or_b32 exec_lo, exec_lo, s19
	v_dual_lshlrev_b32 v26, 16, v26 :: v_dual_lshlrev_b32 v1, 16, v1
	s_delay_alu instid0(VALU_DEP_2) | instskip(NEXT) | instid1(VALU_DEP_2)
	v_lshlrev_b32_e32 v40, 16, v40
	v_and_or_b32 v2, 0xffff, v2, v26
	s_delay_alu instid0(VALU_DEP_3) | instskip(NEXT) | instid1(VALU_DEP_3)
	v_and_or_b32 v1, 0xffff, v3, v1
	v_and_or_b32 v3, 0xffff, v4, v40
	;;#ASMSTART
	v_pk_mul_f16 v2, v42, v2;

	;;#ASMEND
	;;#ASMSTART
	v_pk_mul_f16 v1, v41, v1;

	;;#ASMEND
	;; [unrolled: 4-line block ×4, first 2 shown]
	;;#ASMSTART
	v_pk_add_f16 v1, v2, v1;

	;;#ASMEND
	;;#ASMSTART
	v_pk_add_f16 v1, v1, v3;

	;;#ASMEND
	;; [unrolled: 4-line block ×3, first 2 shown]
	v_and_b32_e32 v2, 0xffff, v1
	v_lshrrev_b32_e32 v1, 16, v1
	;;#ASMSTART
	v_cvt_f32_f16 v47, v2;
	;;#ASMEND
	;;#ASMSTART
	v_cvt_f32_f16 v48, v1;
	;;#ASMEND
	global_load_b128 v[2:5], v[24:25], off offset:1024
	s_wait_loadcnt 0x0
	v_dual_lshrrev_b32 v1, 16, v3 :: v_dual_lshrrev_b32 v26, 16, v2
	v_lshrrev_b32_e32 v40, 16, v4
	s_and_saveexec_b32 s19, vcc_lo
	s_cbranch_execz .LBB79_56
; %bb.55:                               ;   in Loop: Header=BB79_49 Depth=1
	v_cmp_gt_i32_e64 s0, s31, v36
	v_and_b32_e32 v49, 0xffff, v5
	v_and_b32_e32 v5, 0xffff0000, v5
	s_delay_alu instid0(VALU_DEP_3) | instskip(SKIP_1) | instid1(VALU_DEP_1)
	v_cndmask_b32_e64 v2, 0, v2, s0
	v_cmp_gt_i32_e64 s0, s31, v38
	v_cndmask_b32_e64 v3, 0, v3, s0
	v_cmp_gt_i32_e64 s0, s14, v39
	s_delay_alu instid0(VALU_DEP_1) | instskip(SKIP_1) | instid1(VALU_DEP_1)
	v_cndmask_b32_e64 v1, 0, v1, s0
	v_cmp_gt_i32_e64 s0, s31, v37
	v_cndmask_b32_e64 v26, 0, v26, s0
	v_cmp_gt_i32_e64 s0, s31, v35
	s_delay_alu instid0(VALU_DEP_1) | instskip(SKIP_1) | instid1(VALU_DEP_1)
	;; [unrolled: 5-line block ×3, first 2 shown]
	v_cndmask_b32_e64 v4, 0, v4, s0
	v_cmp_gt_i32_e64 s0, s31, v32
	v_dual_cndmask_b32 v40, 0, v40, s0 :: v_dual_bitop2_b32 v5, v49, v5 bitop3:0x54
.LBB79_56:                              ;   in Loop: Header=BB79_49 Depth=1
	s_or_b32 exec_lo, exec_lo, s19
	v_dual_lshlrev_b32 v26, 16, v26 :: v_dual_lshlrev_b32 v1, 16, v1
	s_delay_alu instid0(VALU_DEP_2) | instskip(NEXT) | instid1(VALU_DEP_2)
	v_lshlrev_b32_e32 v40, 16, v40
	v_and_or_b32 v2, 0xffff, v2, v26
	s_delay_alu instid0(VALU_DEP_3) | instskip(NEXT) | instid1(VALU_DEP_3)
	v_and_or_b32 v1, 0xffff, v3, v1
	v_and_or_b32 v3, 0xffff, v4, v40
	;;#ASMSTART
	v_pk_mul_f16 v2, v42, v2;

	;;#ASMEND
	;;#ASMSTART
	v_pk_mul_f16 v1, v41, v1;

	;;#ASMEND
	;; [unrolled: 4-line block ×4, first 2 shown]
	;;#ASMSTART
	v_pk_add_f16 v1, v2, v1;

	;;#ASMEND
	;;#ASMSTART
	v_pk_add_f16 v1, v1, v3;

	;;#ASMEND
	;; [unrolled: 4-line block ×3, first 2 shown]
	v_and_b32_e32 v2, 0xffff, v1
	v_lshrrev_b32_e32 v1, 16, v1
	;;#ASMSTART
	v_cvt_f32_f16 v49, v2;
	;;#ASMEND
	;;#ASMSTART
	v_cvt_f32_f16 v50, v1;
	;;#ASMEND
	global_load_b128 v[2:5], v[24:25], off offset:1536
	s_wait_loadcnt 0x0
	v_dual_lshrrev_b32 v1, 16, v3 :: v_dual_lshrrev_b32 v26, 16, v2
	v_lshrrev_b32_e32 v40, 16, v4
	s_and_saveexec_b32 s19, vcc_lo
	s_cbranch_execz .LBB79_58
; %bb.57:                               ;   in Loop: Header=BB79_49 Depth=1
	v_cmp_gt_i32_e64 s0, s31, v36
	v_and_b32_e32 v51, 0xffff, v5
	v_and_b32_e32 v5, 0xffff0000, v5
	s_delay_alu instid0(VALU_DEP_3) | instskip(SKIP_1) | instid1(VALU_DEP_1)
	v_cndmask_b32_e64 v2, 0, v2, s0
	v_cmp_gt_i32_e64 s0, s31, v38
	v_cndmask_b32_e64 v3, 0, v3, s0
	v_cmp_gt_i32_e64 s0, s14, v39
	s_delay_alu instid0(VALU_DEP_1) | instskip(SKIP_1) | instid1(VALU_DEP_1)
	v_cndmask_b32_e64 v1, 0, v1, s0
	v_cmp_gt_i32_e64 s0, s31, v37
	v_cndmask_b32_e64 v26, 0, v26, s0
	v_cmp_gt_i32_e64 s0, s31, v35
	s_delay_alu instid0(VALU_DEP_1) | instskip(SKIP_1) | instid1(VALU_DEP_1)
	;; [unrolled: 5-line block ×3, first 2 shown]
	v_dual_cndmask_b32 v4, 0, v4, s0 :: v_dual_bitop2_b32 v5, v51, v5 bitop3:0x54
	v_cmp_gt_i32_e64 s0, s31, v32
	v_cndmask_b32_e64 v40, 0, v40, s0
.LBB79_58:                              ;   in Loop: Header=BB79_49 Depth=1
	s_or_b32 exec_lo, exec_lo, s19
	v_dual_lshlrev_b32 v26, 16, v26 :: v_dual_lshlrev_b32 v1, 16, v1
	s_delay_alu instid0(VALU_DEP_2) | instskip(NEXT) | instid1(VALU_DEP_2)
	v_lshlrev_b32_e32 v40, 16, v40
	v_and_or_b32 v2, 0xffff, v2, v26
	s_delay_alu instid0(VALU_DEP_3) | instskip(NEXT) | instid1(VALU_DEP_3)
	v_and_or_b32 v1, 0xffff, v3, v1
	v_and_or_b32 v3, 0xffff, v4, v40
	;;#ASMSTART
	v_pk_mul_f16 v2, v42, v2;

	;;#ASMEND
	;;#ASMSTART
	v_pk_mul_f16 v1, v41, v1;

	;;#ASMEND
	;; [unrolled: 4-line block ×4, first 2 shown]
	;;#ASMSTART
	v_pk_add_f16 v1, v2, v1;

	;;#ASMEND
	;;#ASMSTART
	v_pk_add_f16 v1, v1, v3;

	;;#ASMEND
	;; [unrolled: 4-line block ×3, first 2 shown]
	v_and_b32_e32 v2, 0xffff, v1
	v_lshrrev_b32_e32 v1, 16, v1
	;;#ASMSTART
	v_cvt_f32_f16 v51, v2;
	;;#ASMEND
	;;#ASMSTART
	v_cvt_f32_f16 v52, v1;
	;;#ASMEND
	global_load_b128 v[2:5], v[24:25], off offset:2048
	s_wait_loadcnt 0x0
	v_dual_lshrrev_b32 v1, 16, v3 :: v_dual_lshrrev_b32 v26, 16, v2
	v_lshrrev_b32_e32 v40, 16, v4
	s_and_saveexec_b32 s19, vcc_lo
	s_cbranch_execz .LBB79_60
; %bb.59:                               ;   in Loop: Header=BB79_49 Depth=1
	v_cmp_gt_i32_e64 s0, s31, v36
	v_and_b32_e32 v53, 0xffff, v5
	v_and_b32_e32 v5, 0xffff0000, v5
	s_delay_alu instid0(VALU_DEP_3) | instskip(SKIP_1) | instid1(VALU_DEP_1)
	v_cndmask_b32_e64 v2, 0, v2, s0
	v_cmp_gt_i32_e64 s0, s31, v38
	v_cndmask_b32_e64 v3, 0, v3, s0
	v_cmp_gt_i32_e64 s0, s14, v39
	s_delay_alu instid0(VALU_DEP_1) | instskip(SKIP_1) | instid1(VALU_DEP_1)
	v_cndmask_b32_e64 v1, 0, v1, s0
	v_cmp_gt_i32_e64 s0, s31, v37
	v_cndmask_b32_e64 v26, 0, v26, s0
	v_cmp_gt_i32_e64 s0, s31, v35
	s_delay_alu instid0(VALU_DEP_1) | instskip(SKIP_1) | instid1(VALU_DEP_1)
	;; [unrolled: 5-line block ×3, first 2 shown]
	v_cndmask_b32_e64 v4, 0, v4, s0
	v_cmp_gt_i32_e64 s0, s31, v32
	v_dual_cndmask_b32 v40, 0, v40, s0 :: v_dual_bitop2_b32 v5, v53, v5 bitop3:0x54
.LBB79_60:                              ;   in Loop: Header=BB79_49 Depth=1
	s_or_b32 exec_lo, exec_lo, s19
	v_dual_lshlrev_b32 v26, 16, v26 :: v_dual_lshlrev_b32 v1, 16, v1
	s_delay_alu instid0(VALU_DEP_2) | instskip(NEXT) | instid1(VALU_DEP_2)
	v_lshlrev_b32_e32 v40, 16, v40
	v_and_or_b32 v2, 0xffff, v2, v26
	s_delay_alu instid0(VALU_DEP_3) | instskip(NEXT) | instid1(VALU_DEP_3)
	v_and_or_b32 v1, 0xffff, v3, v1
	v_and_or_b32 v3, 0xffff, v4, v40
	;;#ASMSTART
	v_pk_mul_f16 v2, v42, v2;

	;;#ASMEND
	;;#ASMSTART
	v_pk_mul_f16 v1, v41, v1;

	;;#ASMEND
	;; [unrolled: 4-line block ×4, first 2 shown]
	;;#ASMSTART
	v_pk_add_f16 v1, v2, v1;

	;;#ASMEND
	;;#ASMSTART
	v_pk_add_f16 v1, v1, v3;

	;;#ASMEND
	;;#ASMSTART
	v_pk_add_f16 v1, v1, v4;

	;;#ASMEND
	v_and_b32_e32 v2, 0xffff, v1
	v_lshrrev_b32_e32 v1, 16, v1
	;;#ASMSTART
	v_cvt_f32_f16 v53, v2;
	;;#ASMEND
	;;#ASMSTART
	v_cvt_f32_f16 v54, v1;
	;;#ASMEND
	global_load_b128 v[2:5], v[24:25], off offset:2560
	s_wait_loadcnt 0x0
	v_dual_lshrrev_b32 v1, 16, v3 :: v_dual_lshrrev_b32 v26, 16, v2
	v_lshrrev_b32_e32 v40, 16, v4
	s_and_saveexec_b32 s19, vcc_lo
	s_cbranch_execz .LBB79_62
; %bb.61:                               ;   in Loop: Header=BB79_49 Depth=1
	v_cmp_gt_i32_e64 s0, s31, v36
	v_and_b32_e32 v55, 0xffff, v5
	v_and_b32_e32 v5, 0xffff0000, v5
	s_delay_alu instid0(VALU_DEP_3) | instskip(SKIP_1) | instid1(VALU_DEP_1)
	v_cndmask_b32_e64 v2, 0, v2, s0
	v_cmp_gt_i32_e64 s0, s31, v38
	v_cndmask_b32_e64 v3, 0, v3, s0
	v_cmp_gt_i32_e64 s0, s14, v39
	s_delay_alu instid0(VALU_DEP_1) | instskip(SKIP_1) | instid1(VALU_DEP_1)
	v_cndmask_b32_e64 v1, 0, v1, s0
	v_cmp_gt_i32_e64 s0, s31, v37
	v_cndmask_b32_e64 v26, 0, v26, s0
	v_cmp_gt_i32_e64 s0, s31, v35
	s_delay_alu instid0(VALU_DEP_1) | instskip(SKIP_1) | instid1(VALU_DEP_1)
	;; [unrolled: 5-line block ×3, first 2 shown]
	v_dual_cndmask_b32 v4, 0, v4, s0 :: v_dual_bitop2_b32 v5, v55, v5 bitop3:0x54
	v_cmp_gt_i32_e64 s0, s31, v32
	v_cndmask_b32_e64 v40, 0, v40, s0
.LBB79_62:                              ;   in Loop: Header=BB79_49 Depth=1
	s_or_b32 exec_lo, exec_lo, s19
	v_dual_lshlrev_b32 v26, 16, v26 :: v_dual_lshlrev_b32 v1, 16, v1
	s_delay_alu instid0(VALU_DEP_2) | instskip(NEXT) | instid1(VALU_DEP_2)
	v_lshlrev_b32_e32 v40, 16, v40
	v_and_or_b32 v2, 0xffff, v2, v26
	s_delay_alu instid0(VALU_DEP_3) | instskip(NEXT) | instid1(VALU_DEP_3)
	v_and_or_b32 v1, 0xffff, v3, v1
	v_and_or_b32 v3, 0xffff, v4, v40
	;;#ASMSTART
	v_pk_mul_f16 v2, v42, v2;

	;;#ASMEND
	;;#ASMSTART
	v_pk_mul_f16 v1, v41, v1;

	;;#ASMEND
	;; [unrolled: 4-line block ×4, first 2 shown]
	;;#ASMSTART
	v_pk_add_f16 v1, v2, v1;

	;;#ASMEND
	;;#ASMSTART
	v_pk_add_f16 v1, v1, v3;

	;;#ASMEND
	;; [unrolled: 4-line block ×3, first 2 shown]
	v_and_b32_e32 v2, 0xffff, v1
	v_lshrrev_b32_e32 v1, 16, v1
	;;#ASMSTART
	v_cvt_f32_f16 v55, v2;
	;;#ASMEND
	;;#ASMSTART
	v_cvt_f32_f16 v56, v1;
	;;#ASMEND
	global_load_b128 v[2:5], v[24:25], off offset:3072
	s_wait_loadcnt 0x0
	v_dual_lshrrev_b32 v1, 16, v3 :: v_dual_lshrrev_b32 v26, 16, v2
	v_lshrrev_b32_e32 v40, 16, v4
	s_and_saveexec_b32 s19, vcc_lo
	s_cbranch_execz .LBB79_64
; %bb.63:                               ;   in Loop: Header=BB79_49 Depth=1
	v_cmp_gt_i32_e64 s0, s31, v36
	v_and_b32_e32 v57, 0xffff, v5
	v_and_b32_e32 v5, 0xffff0000, v5
	s_delay_alu instid0(VALU_DEP_3) | instskip(SKIP_1) | instid1(VALU_DEP_1)
	v_cndmask_b32_e64 v2, 0, v2, s0
	v_cmp_gt_i32_e64 s0, s31, v38
	v_cndmask_b32_e64 v3, 0, v3, s0
	v_cmp_gt_i32_e64 s0, s14, v39
	s_delay_alu instid0(VALU_DEP_1) | instskip(SKIP_1) | instid1(VALU_DEP_1)
	v_cndmask_b32_e64 v1, 0, v1, s0
	v_cmp_gt_i32_e64 s0, s31, v37
	v_cndmask_b32_e64 v26, 0, v26, s0
	v_cmp_gt_i32_e64 s0, s31, v35
	s_delay_alu instid0(VALU_DEP_1) | instskip(SKIP_1) | instid1(VALU_DEP_1)
	;; [unrolled: 5-line block ×3, first 2 shown]
	v_cndmask_b32_e64 v4, 0, v4, s0
	v_cmp_gt_i32_e64 s0, s31, v32
	v_dual_cndmask_b32 v40, 0, v40, s0 :: v_dual_bitop2_b32 v5, v57, v5 bitop3:0x54
.LBB79_64:                              ;   in Loop: Header=BB79_49 Depth=1
	s_or_b32 exec_lo, exec_lo, s19
	v_dual_lshlrev_b32 v26, 16, v26 :: v_dual_lshlrev_b32 v1, 16, v1
	s_delay_alu instid0(VALU_DEP_2) | instskip(NEXT) | instid1(VALU_DEP_2)
	v_lshlrev_b32_e32 v40, 16, v40
	v_and_or_b32 v2, 0xffff, v2, v26
	s_delay_alu instid0(VALU_DEP_3) | instskip(NEXT) | instid1(VALU_DEP_3)
	v_and_or_b32 v1, 0xffff, v3, v1
	v_and_or_b32 v3, 0xffff, v4, v40
	;;#ASMSTART
	v_pk_mul_f16 v2, v42, v2;

	;;#ASMEND
	;;#ASMSTART
	v_pk_mul_f16 v1, v41, v1;

	;;#ASMEND
	;;#ASMSTART
	v_pk_mul_f16 v3, v43, v3;

	;;#ASMEND
	;;#ASMSTART
	v_pk_mul_f16 v4, v44, v5;

	;;#ASMEND
	;;#ASMSTART
	v_pk_add_f16 v1, v2, v1;

	;;#ASMEND
	;;#ASMSTART
	v_pk_add_f16 v1, v1, v3;

	;;#ASMEND
	;; [unrolled: 4-line block ×3, first 2 shown]
	v_and_b32_e32 v2, 0xffff, v1
	v_lshrrev_b32_e32 v1, 16, v1
	;;#ASMSTART
	v_cvt_f32_f16 v57, v2;
	;;#ASMEND
	;;#ASMSTART
	v_cvt_f32_f16 v61, v1;
	;;#ASMEND
	global_load_b128 v[2:5], v[24:25], off offset:3584
	s_wait_loadcnt 0x0
	v_dual_lshrrev_b32 v1, 16, v3 :: v_dual_lshrrev_b32 v26, 16, v2
	v_lshrrev_b32_e32 v40, 16, v4
	s_and_saveexec_b32 s19, vcc_lo
	s_cbranch_execz .LBB79_66
; %bb.65:                               ;   in Loop: Header=BB79_49 Depth=1
	v_cmp_gt_i32_e64 s0, s31, v36
	v_and_b32_e32 v62, 0xffff, v5
	v_and_b32_e32 v5, 0xffff0000, v5
	s_delay_alu instid0(VALU_DEP_3) | instskip(SKIP_1) | instid1(VALU_DEP_1)
	v_cndmask_b32_e64 v2, 0, v2, s0
	v_cmp_gt_i32_e64 s0, s31, v38
	v_cndmask_b32_e64 v3, 0, v3, s0
	v_cmp_gt_i32_e64 s0, s14, v39
	s_delay_alu instid0(VALU_DEP_1) | instskip(SKIP_1) | instid1(VALU_DEP_1)
	v_cndmask_b32_e64 v1, 0, v1, s0
	v_cmp_gt_i32_e64 s0, s31, v37
	v_cndmask_b32_e64 v26, 0, v26, s0
	v_cmp_gt_i32_e64 s0, s31, v35
	s_delay_alu instid0(VALU_DEP_1) | instskip(SKIP_1) | instid1(VALU_DEP_1)
	v_cndmask_b32_e64 v62, 0, v62, s0
	v_cmp_gt_i32_e64 s0, s31, v34
	v_cndmask_b32_e64 v5, 0, v5, s0
	v_cmp_gt_i32_e64 s0, s31, v33
	s_delay_alu instid0(VALU_DEP_1) | instskip(SKIP_1) | instid1(VALU_DEP_1)
	v_dual_cndmask_b32 v4, 0, v4, s0 :: v_dual_bitop2_b32 v5, v62, v5 bitop3:0x54
	v_cmp_gt_i32_e64 s0, s31, v32
	v_cndmask_b32_e64 v40, 0, v40, s0
.LBB79_66:                              ;   in Loop: Header=BB79_49 Depth=1
	s_or_b32 exec_lo, exec_lo, s19
	v_dual_lshlrev_b32 v26, 16, v26 :: v_dual_lshlrev_b32 v1, 16, v1
	s_delay_alu instid0(VALU_DEP_2) | instskip(NEXT) | instid1(VALU_DEP_2)
	v_lshlrev_b32_e32 v40, 16, v40
	v_and_or_b32 v2, 0xffff, v2, v26
	s_delay_alu instid0(VALU_DEP_3) | instskip(NEXT) | instid1(VALU_DEP_3)
	v_and_or_b32 v1, 0xffff, v3, v1
	v_and_or_b32 v3, 0xffff, v4, v40
	;;#ASMSTART
	v_pk_mul_f16 v2, v42, v2;

	;;#ASMEND
	;;#ASMSTART
	v_pk_mul_f16 v1, v41, v1;

	;;#ASMEND
	;; [unrolled: 4-line block ×4, first 2 shown]
	;;#ASMSTART
	v_pk_add_f16 v1, v2, v1;

	;;#ASMEND
	;;#ASMSTART
	v_pk_add_f16 v1, v1, v3;

	;;#ASMEND
	;; [unrolled: 4-line block ×3, first 2 shown]
	v_and_b32_e32 v2, 0xffff, v1
	v_lshrrev_b32_e32 v1, 16, v1
	;;#ASMSTART
	v_cvt_f32_f16 v62, v2;
	;;#ASMEND
	;;#ASMSTART
	v_cvt_f32_f16 v63, v1;
	;;#ASMEND
	global_load_b128 v[2:5], v[24:25], off offset:4096
	s_wait_loadcnt 0x0
	v_dual_lshrrev_b32 v1, 16, v3 :: v_dual_lshrrev_b32 v26, 16, v2
	v_lshrrev_b32_e32 v40, 16, v4
	s_and_saveexec_b32 s19, vcc_lo
	s_cbranch_execz .LBB79_68
; %bb.67:                               ;   in Loop: Header=BB79_49 Depth=1
	v_cmp_gt_i32_e64 s0, s31, v36
	v_and_b32_e32 v64, 0xffff, v5
	v_and_b32_e32 v5, 0xffff0000, v5
	s_delay_alu instid0(VALU_DEP_3) | instskip(SKIP_1) | instid1(VALU_DEP_1)
	v_cndmask_b32_e64 v2, 0, v2, s0
	v_cmp_gt_i32_e64 s0, s31, v38
	v_cndmask_b32_e64 v3, 0, v3, s0
	v_cmp_gt_i32_e64 s0, s14, v39
	s_delay_alu instid0(VALU_DEP_1) | instskip(SKIP_1) | instid1(VALU_DEP_1)
	v_cndmask_b32_e64 v1, 0, v1, s0
	v_cmp_gt_i32_e64 s0, s31, v37
	v_cndmask_b32_e64 v26, 0, v26, s0
	v_cmp_gt_i32_e64 s0, s31, v35
	s_delay_alu instid0(VALU_DEP_1) | instskip(SKIP_1) | instid1(VALU_DEP_1)
	;; [unrolled: 5-line block ×3, first 2 shown]
	v_dual_cndmask_b32 v4, 0, v4, s0 :: v_dual_bitop2_b32 v5, v64, v5 bitop3:0x54
	v_cmp_gt_i32_e64 s0, s31, v32
	v_cndmask_b32_e64 v40, 0, v40, s0
.LBB79_68:                              ;   in Loop: Header=BB79_49 Depth=1
	s_or_b32 exec_lo, exec_lo, s19
	v_dual_lshlrev_b32 v26, 16, v26 :: v_dual_lshlrev_b32 v1, 16, v1
	s_delay_alu instid0(VALU_DEP_2) | instskip(NEXT) | instid1(VALU_DEP_2)
	v_lshlrev_b32_e32 v40, 16, v40
	v_and_or_b32 v2, 0xffff, v2, v26
	s_delay_alu instid0(VALU_DEP_3) | instskip(NEXT) | instid1(VALU_DEP_3)
	v_and_or_b32 v1, 0xffff, v3, v1
	v_and_or_b32 v3, 0xffff, v4, v40
	;;#ASMSTART
	v_pk_mul_f16 v2, v42, v2;

	;;#ASMEND
	;;#ASMSTART
	v_pk_mul_f16 v1, v41, v1;

	;;#ASMEND
	;; [unrolled: 4-line block ×4, first 2 shown]
	;;#ASMSTART
	v_pk_add_f16 v1, v2, v1;

	;;#ASMEND
	;;#ASMSTART
	v_pk_add_f16 v1, v1, v3;

	;;#ASMEND
	;; [unrolled: 4-line block ×3, first 2 shown]
	v_and_b32_e32 v2, 0xffff, v1
	v_lshrrev_b32_e32 v1, 16, v1
	;;#ASMSTART
	v_cvt_f32_f16 v64, v2;
	;;#ASMEND
	;;#ASMSTART
	v_cvt_f32_f16 v65, v1;
	;;#ASMEND
	global_load_b128 v[2:5], v[24:25], off offset:4608
	s_wait_loadcnt 0x0
	v_dual_lshrrev_b32 v1, 16, v3 :: v_dual_lshrrev_b32 v26, 16, v2
	v_lshrrev_b32_e32 v40, 16, v4
	s_and_saveexec_b32 s19, vcc_lo
	s_cbranch_execz .LBB79_70
; %bb.69:                               ;   in Loop: Header=BB79_49 Depth=1
	v_cmp_gt_i32_e64 s0, s31, v36
	v_and_b32_e32 v66, 0xffff, v5
	v_and_b32_e32 v5, 0xffff0000, v5
	s_delay_alu instid0(VALU_DEP_3) | instskip(SKIP_1) | instid1(VALU_DEP_1)
	v_cndmask_b32_e64 v2, 0, v2, s0
	v_cmp_gt_i32_e64 s0, s31, v38
	v_cndmask_b32_e64 v3, 0, v3, s0
	v_cmp_gt_i32_e64 s0, s14, v39
	s_delay_alu instid0(VALU_DEP_1) | instskip(SKIP_1) | instid1(VALU_DEP_1)
	v_cndmask_b32_e64 v1, 0, v1, s0
	v_cmp_gt_i32_e64 s0, s31, v37
	v_cndmask_b32_e64 v26, 0, v26, s0
	v_cmp_gt_i32_e64 s0, s31, v35
	s_delay_alu instid0(VALU_DEP_1) | instskip(SKIP_1) | instid1(VALU_DEP_1)
	;; [unrolled: 5-line block ×3, first 2 shown]
	v_dual_cndmask_b32 v4, 0, v4, s0 :: v_dual_bitop2_b32 v5, v66, v5 bitop3:0x54
	v_cmp_gt_i32_e64 s0, s31, v32
	v_cndmask_b32_e64 v40, 0, v40, s0
.LBB79_70:                              ;   in Loop: Header=BB79_49 Depth=1
	s_or_b32 exec_lo, exec_lo, s19
	v_dual_lshlrev_b32 v26, 16, v26 :: v_dual_lshlrev_b32 v1, 16, v1
	s_delay_alu instid0(VALU_DEP_2) | instskip(NEXT) | instid1(VALU_DEP_2)
	v_lshlrev_b32_e32 v40, 16, v40
	v_and_or_b32 v2, 0xffff, v2, v26
	s_delay_alu instid0(VALU_DEP_3) | instskip(NEXT) | instid1(VALU_DEP_3)
	v_and_or_b32 v1, 0xffff, v3, v1
	v_and_or_b32 v3, 0xffff, v4, v40
	;;#ASMSTART
	v_pk_mul_f16 v2, v42, v2;

	;;#ASMEND
	;;#ASMSTART
	v_pk_mul_f16 v1, v41, v1;

	;;#ASMEND
	;; [unrolled: 4-line block ×4, first 2 shown]
	;;#ASMSTART
	v_pk_add_f16 v1, v2, v1;

	;;#ASMEND
	;;#ASMSTART
	v_pk_add_f16 v1, v1, v3;

	;;#ASMEND
	;; [unrolled: 4-line block ×3, first 2 shown]
	v_and_b32_e32 v2, 0xffff, v1
	v_lshrrev_b32_e32 v1, 16, v1
	;;#ASMSTART
	v_cvt_f32_f16 v66, v2;
	;;#ASMEND
	;;#ASMSTART
	v_cvt_f32_f16 v67, v1;
	;;#ASMEND
	global_load_b128 v[2:5], v[24:25], off offset:5120
	s_wait_loadcnt 0x0
	v_dual_lshrrev_b32 v1, 16, v3 :: v_dual_lshrrev_b32 v26, 16, v2
	v_lshrrev_b32_e32 v40, 16, v4
	s_and_saveexec_b32 s19, vcc_lo
	s_cbranch_execz .LBB79_72
; %bb.71:                               ;   in Loop: Header=BB79_49 Depth=1
	v_cmp_gt_i32_e64 s0, s31, v36
	v_and_b32_e32 v68, 0xffff, v5
	v_and_b32_e32 v5, 0xffff0000, v5
	s_delay_alu instid0(VALU_DEP_3) | instskip(SKIP_1) | instid1(VALU_DEP_1)
	v_cndmask_b32_e64 v2, 0, v2, s0
	v_cmp_gt_i32_e64 s0, s31, v38
	v_cndmask_b32_e64 v3, 0, v3, s0
	v_cmp_gt_i32_e64 s0, s14, v39
	s_delay_alu instid0(VALU_DEP_1) | instskip(SKIP_1) | instid1(VALU_DEP_1)
	v_cndmask_b32_e64 v1, 0, v1, s0
	v_cmp_gt_i32_e64 s0, s31, v37
	v_cndmask_b32_e64 v26, 0, v26, s0
	v_cmp_gt_i32_e64 s0, s31, v35
	s_delay_alu instid0(VALU_DEP_1) | instskip(SKIP_1) | instid1(VALU_DEP_1)
	;; [unrolled: 5-line block ×3, first 2 shown]
	v_dual_cndmask_b32 v4, 0, v4, s0 :: v_dual_bitop2_b32 v5, v68, v5 bitop3:0x54
	v_cmp_gt_i32_e64 s0, s31, v32
	v_cndmask_b32_e64 v40, 0, v40, s0
.LBB79_72:                              ;   in Loop: Header=BB79_49 Depth=1
	s_or_b32 exec_lo, exec_lo, s19
	v_dual_lshlrev_b32 v26, 16, v26 :: v_dual_lshlrev_b32 v1, 16, v1
	s_delay_alu instid0(VALU_DEP_2) | instskip(NEXT) | instid1(VALU_DEP_2)
	v_lshlrev_b32_e32 v40, 16, v40
	v_and_or_b32 v2, 0xffff, v2, v26
	s_delay_alu instid0(VALU_DEP_3) | instskip(NEXT) | instid1(VALU_DEP_3)
	v_and_or_b32 v1, 0xffff, v3, v1
	v_and_or_b32 v3, 0xffff, v4, v40
	;;#ASMSTART
	v_pk_mul_f16 v2, v42, v2;

	;;#ASMEND
	;;#ASMSTART
	v_pk_mul_f16 v1, v41, v1;

	;;#ASMEND
	;; [unrolled: 4-line block ×4, first 2 shown]
	;;#ASMSTART
	v_pk_add_f16 v1, v2, v1;

	;;#ASMEND
	;;#ASMSTART
	v_pk_add_f16 v1, v1, v3;

	;;#ASMEND
	;; [unrolled: 4-line block ×3, first 2 shown]
	v_and_b32_e32 v2, 0xffff, v1
	v_lshrrev_b32_e32 v1, 16, v1
	;;#ASMSTART
	v_cvt_f32_f16 v26, v2;
	;;#ASMEND
	;;#ASMSTART
	v_cvt_f32_f16 v40, v1;
	;;#ASMEND
	global_load_b128 v[2:5], v[24:25], off offset:5632
	s_wait_loadcnt 0x0
	v_dual_lshrrev_b32 v1, 16, v3 :: v_dual_lshrrev_b32 v24, 16, v2
	v_lshrrev_b32_e32 v25, 16, v4
	s_and_saveexec_b32 s0, vcc_lo
	s_cbranch_execz .LBB79_47
; %bb.73:                               ;   in Loop: Header=BB79_49 Depth=1
	v_cmp_gt_i32_e32 vcc_lo, s31, v36
	v_and_b32_e32 v36, 0xffff, v5
	v_and_b32_e32 v5, 0xffff0000, v5
	v_cndmask_b32_e32 v2, 0, v2, vcc_lo
	v_cmp_gt_i32_e32 vcc_lo, s31, v38
	v_cndmask_b32_e32 v3, 0, v3, vcc_lo
	v_cmp_gt_i32_e32 vcc_lo, s14, v39
	;; [unrolled: 2-line block ×6, first 2 shown]
	s_delay_alu instid0(VALU_DEP_2)
	v_dual_cndmask_b32 v4, 0, v4, vcc_lo :: v_dual_bitop2_b32 v5, v35, v5 bitop3:0x54
	v_cmp_gt_i32_e32 vcc_lo, s31, v32
	v_cndmask_b32_e32 v25, 0, v25, vcc_lo
	s_branch .LBB79_47
.LBB79_74:
	s_or_b32 exec_lo, exec_lo, s15
.LBB79_75:
	s_delay_alu instid0(SALU_CYCLE_1)
	s_or_b32 exec_lo, exec_lo, s1
	ds_bpermute_b32 v2, v28, v18
	ds_bpermute_b32 v3, v28, v19
	;; [unrolled: 1-line block ×10, first 2 shown]
	v_lshrrev_b32_e32 v1, 1, v27
	v_and_b32_e32 v26, 0x3c1, v0
	s_mov_b32 s0, exec_lo
	ds_bpermute_b32 v20, v28, v8
	ds_bpermute_b32 v21, v28, v9
	s_wait_dscnt 0x0
	s_barrier_signal -1
	s_barrier_wait -1
	v_pk_add_f32 v[18:19], v[18:19], v[2:3]
	v_pk_add_f32 v[16:17], v[16:17], v[4:5]
	;; [unrolled: 1-line block ×5, first 2 shown]
	v_cmpx_ne_u32_e32 64, v26
	s_xor_b32 s0, exec_lo, s0
	s_delay_alu instid0(SALU_CYCLE_1)
	s_or_saveexec_b32 s0, s0
	v_pk_add_f32 v[8:9], v[8:9], v[20:21]
	v_lshl_add_u32 v10, v1, 2, 0x1a0
	v_mul_u32_u24_e32 v11, 0x300, v60
	s_xor_b32 exec_lo, exec_lo, s0
	s_cbranch_execz .LBB79_77
; %bb.76:
	s_delay_alu instid0(VALU_DEP_1) | instskip(NEXT) | instid1(VALU_DEP_1)
	v_add_nc_u32_e32 v12, v10, v11
	v_add_nc_u32_e32 v13, 0xfffffa00, v12
	;; [unrolled: 1-line block ×13, first 2 shown]
	ds_store_b32 v13, v18
	ds_store_b32 v14, v19
	;; [unrolled: 1-line block ×12, first 2 shown]
.LBB79_77:
	s_or_b32 exec_lo, exec_lo, s0
	v_lshlrev_b32_e32 v1, 2, v1
	s_mov_b32 s1, exec_lo
	v_cmp_eq_u32_e32 vcc_lo, 0, v59
	s_wait_dscnt 0x0
	s_barrier_signal -1
	v_add3_u32 v1, 0x1a0, v11, v1
	s_barrier_wait -1
	v_cmpx_gt_u32_e32 64, v0
	s_cbranch_execz .LBB79_92
; %bb.78:
	s_and_saveexec_b32 s0, vcc_lo
	s_cbranch_execnz .LBB79_112
; %bb.79:
	s_or_b32 exec_lo, exec_lo, s0
	s_and_saveexec_b32 s0, vcc_lo
	s_cbranch_execnz .LBB79_113
.LBB79_80:
	s_or_b32 exec_lo, exec_lo, s0
	s_and_saveexec_b32 s0, vcc_lo
	s_cbranch_execnz .LBB79_114
.LBB79_81:
	s_or_b32 exec_lo, exec_lo, s0
	s_and_saveexec_b32 s0, vcc_lo
	s_cbranch_execnz .LBB79_115
.LBB79_82:
	s_or_b32 exec_lo, exec_lo, s0
	s_and_saveexec_b32 s0, vcc_lo
	s_cbranch_execnz .LBB79_116
.LBB79_83:
	s_or_b32 exec_lo, exec_lo, s0
	s_and_saveexec_b32 s0, vcc_lo
	s_cbranch_execnz .LBB79_117
.LBB79_84:
	s_or_b32 exec_lo, exec_lo, s0
	s_and_saveexec_b32 s0, vcc_lo
	s_cbranch_execnz .LBB79_118
.LBB79_85:
	s_or_b32 exec_lo, exec_lo, s0
	s_and_saveexec_b32 s0, vcc_lo
	s_cbranch_execnz .LBB79_119
.LBB79_86:
	s_or_b32 exec_lo, exec_lo, s0
	s_and_saveexec_b32 s0, vcc_lo
	s_cbranch_execnz .LBB79_120
.LBB79_87:
	s_or_b32 exec_lo, exec_lo, s0
	s_and_saveexec_b32 s0, vcc_lo
	s_cbranch_execnz .LBB79_121
.LBB79_88:
	s_or_b32 exec_lo, exec_lo, s0
	s_and_saveexec_b32 s0, vcc_lo
	s_cbranch_execnz .LBB79_122
.LBB79_89:
	s_or_b32 exec_lo, exec_lo, s0
	s_and_saveexec_b32 s0, vcc_lo
	s_cbranch_execz .LBB79_91
.LBB79_90:
	ds_load_b32 v11, v1 offset:704
	s_wait_dscnt 0x0
	v_add_f32_e32 v9, v9, v11
.LBB79_91:
	s_or_b32 exec_lo, exec_lo, s0
.LBB79_92:
	s_delay_alu instid0(SALU_CYCLE_1) | instskip(SKIP_4) | instid1(VALU_DEP_1)
	s_or_b32 exec_lo, exec_lo, s1
	v_and_b32_e32 v11, 0x3e1, v0
	s_mov_b32 s1, exec_lo
	s_barrier_signal -1
	s_barrier_wait -1
	v_cmpx_eq_u32_e32 32, v11
	s_cbranch_execz .LBB79_94
; %bb.93:
	ds_store_2addr_b32 v10, v18, v19 offset1:16
	ds_store_2addr_b32 v10, v16, v17 offset0:32 offset1:48
	ds_store_2addr_b32 v10, v6, v7 offset0:64 offset1:80
	;; [unrolled: 1-line block ×5, first 2 shown]
.LBB79_94:
	s_or_b32 exec_lo, exec_lo, s1
	s_delay_alu instid0(SALU_CYCLE_1)
	s_mov_b32 s1, exec_lo
	s_wait_dscnt 0x0
	s_barrier_signal -1
	s_barrier_wait -1
	v_cmpx_gt_u32_e32 32, v0
	s_cbranch_execz .LBB79_109
; %bb.95:
	s_and_saveexec_b32 s0, vcc_lo
	s_cbranch_execnz .LBB79_123
; %bb.96:
	s_or_b32 exec_lo, exec_lo, s0
	s_and_saveexec_b32 s0, vcc_lo
	s_cbranch_execnz .LBB79_124
.LBB79_97:
	s_or_b32 exec_lo, exec_lo, s0
	s_and_saveexec_b32 s0, vcc_lo
	s_cbranch_execnz .LBB79_125
.LBB79_98:
	s_or_b32 exec_lo, exec_lo, s0
	s_and_saveexec_b32 s0, vcc_lo
	s_cbranch_execnz .LBB79_126
.LBB79_99:
	s_or_b32 exec_lo, exec_lo, s0
	s_and_saveexec_b32 s0, vcc_lo
	s_cbranch_execnz .LBB79_127
.LBB79_100:
	s_or_b32 exec_lo, exec_lo, s0
	s_and_saveexec_b32 s0, vcc_lo
	s_cbranch_execnz .LBB79_128
.LBB79_101:
	s_or_b32 exec_lo, exec_lo, s0
	s_and_saveexec_b32 s0, vcc_lo
	s_cbranch_execnz .LBB79_129
.LBB79_102:
	s_or_b32 exec_lo, exec_lo, s0
	s_and_saveexec_b32 s0, vcc_lo
	s_cbranch_execnz .LBB79_130
.LBB79_103:
	s_or_b32 exec_lo, exec_lo, s0
	s_and_saveexec_b32 s0, vcc_lo
	s_cbranch_execnz .LBB79_131
.LBB79_104:
	s_or_b32 exec_lo, exec_lo, s0
	s_and_saveexec_b32 s0, vcc_lo
	s_cbranch_execnz .LBB79_132
.LBB79_105:
	s_or_b32 exec_lo, exec_lo, s0
	s_and_saveexec_b32 s0, vcc_lo
	s_cbranch_execnz .LBB79_133
.LBB79_106:
	s_or_b32 exec_lo, exec_lo, s0
	s_and_saveexec_b32 s0, vcc_lo
	s_cbranch_execz .LBB79_108
.LBB79_107:
	ds_load_b32 v0, v1 offset:704
	s_wait_dscnt 0x0
	v_add_f32_e32 v9, v9, v0
.LBB79_108:
	s_or_b32 exec_lo, exec_lo, s0
.LBB79_109:
	s_delay_alu instid0(SALU_CYCLE_1)
	s_or_b32 exec_lo, exec_lo, s1
	s_mov_b32 s1, 0
	s_barrier_signal -1
	s_barrier_wait -1
	s_mov_b32 s0, exec_lo
	v_cmpx_eq_u32_e32 0, v11
	s_cbranch_execz .LBB79_111
; %bb.110:
	s_mul_i32 s0, s30, s7
	s_mul_i32 s2, s7, s6
	s_mul_i32 s0, s0, s29
	s_lshr_b32 s8, ttmp7, 16
	s_mul_i32 s6, s0, 0xc0
	s_bfe_u32 s0, ttmp6, 0x40014
	s_ashr_i32 s7, s6, 31
	s_add_co_i32 s0, s0, 1
	s_ashr_i32 s3, s2, 31
	s_mul_i32 s0, s8, s0
	s_bfe_u32 s9, ttmp6, 0x40008
	s_lshl_b64 s[6:7], s[6:7], 1
	s_lshl_b64 s[2:3], s[2:3], 1
	s_add_co_i32 s9, s9, s0
	s_cmp_eq_u32 s28, 0
	s_wait_kmcnt 0x0
	s_add_nc_u64 s[4:5], s[4:5], s[6:7]
	s_cselect_b32 s0, s8, s9
	s_add_nc_u64 s[2:3], s[4:5], s[2:3]
	s_mulk_i32 s0, 0x180
	;;#ASMSTART
	v_cvt_f16_f32 v0, v18;

	;;#ASMEND
	s_add_nc_u64 s[0:1], s[2:3], s[0:1]
	global_store_b16 v58, v0, s[0:1] scale_offset
	s_wait_xcnt 0x0
	;;#ASMSTART
	v_cvt_f16_f32 v0, v19;

	;;#ASMEND
	global_store_b16 v58, v0, s[0:1] offset:32 scale_offset
	s_wait_xcnt 0x0
	;;#ASMSTART
	v_cvt_f16_f32 v0, v16;

	;;#ASMEND
	global_store_b16 v58, v0, s[0:1] offset:64 scale_offset
	s_wait_xcnt 0x0
	;;#ASMSTART
	v_cvt_f16_f32 v0, v17;

	;;#ASMEND
	global_store_b16 v58, v0, s[0:1] offset:96 scale_offset
	s_wait_xcnt 0x0
	;;#ASMSTART
	v_cvt_f16_f32 v0, v6;

	;;#ASMEND
	global_store_b16 v58, v0, s[0:1] offset:128 scale_offset
	s_wait_xcnt 0x0
	;;#ASMSTART
	v_cvt_f16_f32 v0, v7;

	;;#ASMEND
	global_store_b16 v58, v0, s[0:1] offset:160 scale_offset
	s_wait_xcnt 0x0
	;;#ASMSTART
	v_cvt_f16_f32 v0, v4;

	;;#ASMEND
	global_store_b16 v58, v0, s[0:1] offset:192 scale_offset
	s_wait_xcnt 0x0
	;;#ASMSTART
	v_cvt_f16_f32 v0, v5;

	;;#ASMEND
	global_store_b16 v58, v0, s[0:1] offset:224 scale_offset
	s_wait_xcnt 0x0
	;;#ASMSTART
	v_cvt_f16_f32 v0, v2;

	;;#ASMEND
	global_store_b16 v58, v0, s[0:1] offset:256 scale_offset
	s_wait_xcnt 0x0
	;;#ASMSTART
	v_cvt_f16_f32 v0, v3;

	;;#ASMEND
	global_store_b16 v58, v0, s[0:1] offset:288 scale_offset
	s_wait_xcnt 0x0
	;;#ASMSTART
	v_cvt_f16_f32 v0, v8;

	;;#ASMEND
	global_store_b16 v58, v0, s[0:1] offset:320 scale_offset
	s_wait_xcnt 0x0
	;;#ASMSTART
	v_cvt_f16_f32 v0, v9;

	;;#ASMEND
	global_store_b16 v58, v0, s[0:1] offset:352 scale_offset
.LBB79_111:
	s_sendmsg sendmsg(MSG_DEALLOC_VGPRS)
	s_endpgm
.LBB79_112:
	ds_load_b32 v11, v1
	s_wait_dscnt 0x0
	v_add_f32_e32 v18, v18, v11
	s_or_b32 exec_lo, exec_lo, s0
	s_and_saveexec_b32 s0, vcc_lo
	s_cbranch_execz .LBB79_80
.LBB79_113:
	ds_load_b32 v11, v1 offset:64
	s_wait_dscnt 0x0
	v_add_f32_e32 v19, v19, v11
	s_or_b32 exec_lo, exec_lo, s0
	s_and_saveexec_b32 s0, vcc_lo
	s_cbranch_execz .LBB79_81
.LBB79_114:
	ds_load_b32 v11, v1 offset:128
	s_wait_dscnt 0x0
	v_add_f32_e32 v16, v16, v11
	s_or_b32 exec_lo, exec_lo, s0
	s_and_saveexec_b32 s0, vcc_lo
	s_cbranch_execz .LBB79_82
.LBB79_115:
	ds_load_b32 v11, v1 offset:192
	s_wait_dscnt 0x0
	v_add_f32_e32 v17, v17, v11
	s_or_b32 exec_lo, exec_lo, s0
	s_and_saveexec_b32 s0, vcc_lo
	s_cbranch_execz .LBB79_83
.LBB79_116:
	ds_load_b32 v11, v1 offset:256
	s_wait_dscnt 0x0
	v_add_f32_e32 v6, v6, v11
	s_or_b32 exec_lo, exec_lo, s0
	s_and_saveexec_b32 s0, vcc_lo
	s_cbranch_execz .LBB79_84
.LBB79_117:
	ds_load_b32 v11, v1 offset:320
	s_wait_dscnt 0x0
	v_add_f32_e32 v7, v7, v11
	s_or_b32 exec_lo, exec_lo, s0
	s_and_saveexec_b32 s0, vcc_lo
	s_cbranch_execz .LBB79_85
.LBB79_118:
	ds_load_b32 v11, v1 offset:384
	s_wait_dscnt 0x0
	v_add_f32_e32 v4, v4, v11
	s_or_b32 exec_lo, exec_lo, s0
	s_and_saveexec_b32 s0, vcc_lo
	s_cbranch_execz .LBB79_86
.LBB79_119:
	ds_load_b32 v11, v1 offset:448
	s_wait_dscnt 0x0
	v_add_f32_e32 v5, v5, v11
	s_or_b32 exec_lo, exec_lo, s0
	s_and_saveexec_b32 s0, vcc_lo
	s_cbranch_execz .LBB79_87
.LBB79_120:
	ds_load_b32 v11, v1 offset:512
	s_wait_dscnt 0x0
	v_add_f32_e32 v2, v2, v11
	s_or_b32 exec_lo, exec_lo, s0
	s_and_saveexec_b32 s0, vcc_lo
	s_cbranch_execz .LBB79_88
.LBB79_121:
	ds_load_b32 v11, v1 offset:576
	s_wait_dscnt 0x0
	v_add_f32_e32 v3, v3, v11
	s_or_b32 exec_lo, exec_lo, s0
	s_and_saveexec_b32 s0, vcc_lo
	s_cbranch_execz .LBB79_89
.LBB79_122:
	ds_load_b32 v11, v1 offset:640
	s_wait_dscnt 0x0
	v_add_f32_e32 v8, v8, v11
	s_or_b32 exec_lo, exec_lo, s0
	s_and_saveexec_b32 s0, vcc_lo
	s_cbranch_execnz .LBB79_90
	s_branch .LBB79_91
.LBB79_123:
	ds_load_b32 v0, v1
	s_wait_dscnt 0x0
	v_add_f32_e32 v18, v18, v0
	s_or_b32 exec_lo, exec_lo, s0
	s_and_saveexec_b32 s0, vcc_lo
	s_cbranch_execz .LBB79_97
.LBB79_124:
	ds_load_b32 v0, v1 offset:64
	s_wait_dscnt 0x0
	v_add_f32_e32 v19, v19, v0
	s_or_b32 exec_lo, exec_lo, s0
	s_and_saveexec_b32 s0, vcc_lo
	s_cbranch_execz .LBB79_98
.LBB79_125:
	ds_load_b32 v0, v1 offset:128
	s_wait_dscnt 0x0
	v_add_f32_e32 v16, v16, v0
	s_or_b32 exec_lo, exec_lo, s0
	s_and_saveexec_b32 s0, vcc_lo
	s_cbranch_execz .LBB79_99
.LBB79_126:
	ds_load_b32 v0, v1 offset:192
	s_wait_dscnt 0x0
	v_add_f32_e32 v17, v17, v0
	s_or_b32 exec_lo, exec_lo, s0
	s_and_saveexec_b32 s0, vcc_lo
	s_cbranch_execz .LBB79_100
.LBB79_127:
	ds_load_b32 v0, v1 offset:256
	s_wait_dscnt 0x0
	v_add_f32_e32 v6, v6, v0
	s_or_b32 exec_lo, exec_lo, s0
	s_and_saveexec_b32 s0, vcc_lo
	s_cbranch_execz .LBB79_101
.LBB79_128:
	ds_load_b32 v0, v1 offset:320
	s_wait_dscnt 0x0
	v_add_f32_e32 v7, v7, v0
	s_or_b32 exec_lo, exec_lo, s0
	s_and_saveexec_b32 s0, vcc_lo
	s_cbranch_execz .LBB79_102
.LBB79_129:
	ds_load_b32 v0, v1 offset:384
	s_wait_dscnt 0x0
	v_add_f32_e32 v4, v4, v0
	s_or_b32 exec_lo, exec_lo, s0
	s_and_saveexec_b32 s0, vcc_lo
	s_cbranch_execz .LBB79_103
.LBB79_130:
	ds_load_b32 v0, v1 offset:448
	s_wait_dscnt 0x0
	v_add_f32_e32 v5, v5, v0
	s_or_b32 exec_lo, exec_lo, s0
	s_and_saveexec_b32 s0, vcc_lo
	s_cbranch_execz .LBB79_104
.LBB79_131:
	ds_load_b32 v0, v1 offset:512
	s_wait_dscnt 0x0
	v_add_f32_e32 v2, v2, v0
	s_or_b32 exec_lo, exec_lo, s0
	s_and_saveexec_b32 s0, vcc_lo
	s_cbranch_execz .LBB79_105
.LBB79_132:
	ds_load_b32 v0, v1 offset:576
	s_wait_dscnt 0x0
	v_add_f32_e32 v3, v3, v0
	s_or_b32 exec_lo, exec_lo, s0
	s_and_saveexec_b32 s0, vcc_lo
	s_cbranch_execz .LBB79_106
.LBB79_133:
	ds_load_b32 v0, v1 offset:640
	s_wait_dscnt 0x0
	v_add_f32_e32 v8, v8, v0
	s_or_b32 exec_lo, exec_lo, s0
	s_and_saveexec_b32 s0, vcc_lo
	s_cbranch_execnz .LBB79_107
	s_branch .LBB79_108
	.section	.rodata,"a",@progbits
	.p2align	6, 0x0
	.amdhsa_kernel _ZN4vllm25paged_attention_v1_kernelIttLi192ELi16ELi128ELNS_18Fp8KVCacheDataTypeE0ELb1EEEvPT_PKS2_PKT0_S8_ifPKiSA_iPKfiiiSC_SC_iiiii
		.amdhsa_group_segment_fixed_size 416
		.amdhsa_private_segment_fixed_size 0
		.amdhsa_kernarg_size 384
		.amdhsa_user_sgpr_count 2
		.amdhsa_user_sgpr_dispatch_ptr 0
		.amdhsa_user_sgpr_queue_ptr 0
		.amdhsa_user_sgpr_kernarg_segment_ptr 1
		.amdhsa_user_sgpr_dispatch_id 0
		.amdhsa_user_sgpr_kernarg_preload_length 0
		.amdhsa_user_sgpr_kernarg_preload_offset 0
		.amdhsa_user_sgpr_private_segment_size 0
		.amdhsa_wavefront_size32 1
		.amdhsa_uses_dynamic_stack 0
		.amdhsa_enable_private_segment 0
		.amdhsa_system_sgpr_workgroup_id_x 1
		.amdhsa_system_sgpr_workgroup_id_y 1
		.amdhsa_system_sgpr_workgroup_id_z 1
		.amdhsa_system_sgpr_workgroup_info 0
		.amdhsa_system_vgpr_workitem_id 0
		.amdhsa_next_free_vgpr 110
		.amdhsa_next_free_sgpr 40
		.amdhsa_named_barrier_count 0
		.amdhsa_reserve_vcc 1
		.amdhsa_float_round_mode_32 0
		.amdhsa_float_round_mode_16_64 0
		.amdhsa_float_denorm_mode_32 3
		.amdhsa_float_denorm_mode_16_64 3
		.amdhsa_fp16_overflow 0
		.amdhsa_memory_ordered 1
		.amdhsa_forward_progress 1
		.amdhsa_inst_pref_size 91
		.amdhsa_round_robin_scheduling 0
		.amdhsa_exception_fp_ieee_invalid_op 0
		.amdhsa_exception_fp_denorm_src 0
		.amdhsa_exception_fp_ieee_div_zero 0
		.amdhsa_exception_fp_ieee_overflow 0
		.amdhsa_exception_fp_ieee_underflow 0
		.amdhsa_exception_fp_ieee_inexact 0
		.amdhsa_exception_int_div_zero 0
	.end_amdhsa_kernel
	.section	.text._ZN4vllm25paged_attention_v1_kernelIttLi192ELi16ELi128ELNS_18Fp8KVCacheDataTypeE0ELb1EEEvPT_PKS2_PKT0_S8_ifPKiSA_iPKfiiiSC_SC_iiiii,"axG",@progbits,_ZN4vllm25paged_attention_v1_kernelIttLi192ELi16ELi128ELNS_18Fp8KVCacheDataTypeE0ELb1EEEvPT_PKS2_PKT0_S8_ifPKiSA_iPKfiiiSC_SC_iiiii,comdat
.Lfunc_end79:
	.size	_ZN4vllm25paged_attention_v1_kernelIttLi192ELi16ELi128ELNS_18Fp8KVCacheDataTypeE0ELb1EEEvPT_PKS2_PKT0_S8_ifPKiSA_iPKfiiiSC_SC_iiiii, .Lfunc_end79-_ZN4vllm25paged_attention_v1_kernelIttLi192ELi16ELi128ELNS_18Fp8KVCacheDataTypeE0ELb1EEEvPT_PKS2_PKT0_S8_ifPKiSA_iPKfiiiSC_SC_iiiii
                                        ; -- End function
	.set _ZN4vllm25paged_attention_v1_kernelIttLi192ELi16ELi128ELNS_18Fp8KVCacheDataTypeE0ELb1EEEvPT_PKS2_PKT0_S8_ifPKiSA_iPKfiiiSC_SC_iiiii.num_vgpr, 110
	.set _ZN4vllm25paged_attention_v1_kernelIttLi192ELi16ELi128ELNS_18Fp8KVCacheDataTypeE0ELb1EEEvPT_PKS2_PKT0_S8_ifPKiSA_iPKfiiiSC_SC_iiiii.num_agpr, 0
	.set _ZN4vllm25paged_attention_v1_kernelIttLi192ELi16ELi128ELNS_18Fp8KVCacheDataTypeE0ELb1EEEvPT_PKS2_PKT0_S8_ifPKiSA_iPKfiiiSC_SC_iiiii.numbered_sgpr, 40
	.set _ZN4vllm25paged_attention_v1_kernelIttLi192ELi16ELi128ELNS_18Fp8KVCacheDataTypeE0ELb1EEEvPT_PKS2_PKT0_S8_ifPKiSA_iPKfiiiSC_SC_iiiii.num_named_barrier, 0
	.set _ZN4vllm25paged_attention_v1_kernelIttLi192ELi16ELi128ELNS_18Fp8KVCacheDataTypeE0ELb1EEEvPT_PKS2_PKT0_S8_ifPKiSA_iPKfiiiSC_SC_iiiii.private_seg_size, 0
	.set _ZN4vllm25paged_attention_v1_kernelIttLi192ELi16ELi128ELNS_18Fp8KVCacheDataTypeE0ELb1EEEvPT_PKS2_PKT0_S8_ifPKiSA_iPKfiiiSC_SC_iiiii.uses_vcc, 1
	.set _ZN4vllm25paged_attention_v1_kernelIttLi192ELi16ELi128ELNS_18Fp8KVCacheDataTypeE0ELb1EEEvPT_PKS2_PKT0_S8_ifPKiSA_iPKfiiiSC_SC_iiiii.uses_flat_scratch, 0
	.set _ZN4vllm25paged_attention_v1_kernelIttLi192ELi16ELi128ELNS_18Fp8KVCacheDataTypeE0ELb1EEEvPT_PKS2_PKT0_S8_ifPKiSA_iPKfiiiSC_SC_iiiii.has_dyn_sized_stack, 0
	.set _ZN4vllm25paged_attention_v1_kernelIttLi192ELi16ELi128ELNS_18Fp8KVCacheDataTypeE0ELb1EEEvPT_PKS2_PKT0_S8_ifPKiSA_iPKfiiiSC_SC_iiiii.has_recursion, 0
	.set _ZN4vllm25paged_attention_v1_kernelIttLi192ELi16ELi128ELNS_18Fp8KVCacheDataTypeE0ELb1EEEvPT_PKS2_PKT0_S8_ifPKiSA_iPKfiiiSC_SC_iiiii.has_indirect_call, 0
	.section	.AMDGPU.csdata,"",@progbits
; Kernel info:
; codeLenInByte = 11540
; TotalNumSgprs: 42
; NumVgprs: 110
; ScratchSize: 0
; MemoryBound: 0
; FloatMode: 240
; IeeeMode: 1
; LDSByteSize: 416 bytes/workgroup (compile time only)
; SGPRBlocks: 0
; VGPRBlocks: 6
; NumSGPRsForWavesPerEU: 42
; NumVGPRsForWavesPerEU: 110
; NamedBarCnt: 0
; Occupancy: 9
; WaveLimiterHint : 1
; COMPUTE_PGM_RSRC2:SCRATCH_EN: 0
; COMPUTE_PGM_RSRC2:USER_SGPR: 2
; COMPUTE_PGM_RSRC2:TRAP_HANDLER: 0
; COMPUTE_PGM_RSRC2:TGID_X_EN: 1
; COMPUTE_PGM_RSRC2:TGID_Y_EN: 1
; COMPUTE_PGM_RSRC2:TGID_Z_EN: 1
; COMPUTE_PGM_RSRC2:TIDIG_COMP_CNT: 0
	.section	.text._ZN4vllm25paged_attention_v1_kernelIttLi256ELi16ELi128ELNS_18Fp8KVCacheDataTypeE0ELb1EEEvPT_PKS2_PKT0_S8_ifPKiSA_iPKfiiiSC_SC_iiiii,"axG",@progbits,_ZN4vllm25paged_attention_v1_kernelIttLi256ELi16ELi128ELNS_18Fp8KVCacheDataTypeE0ELb1EEEvPT_PKS2_PKT0_S8_ifPKiSA_iPKfiiiSC_SC_iiiii,comdat
	.protected	_ZN4vllm25paged_attention_v1_kernelIttLi256ELi16ELi128ELNS_18Fp8KVCacheDataTypeE0ELb1EEEvPT_PKS2_PKT0_S8_ifPKiSA_iPKfiiiSC_SC_iiiii ; -- Begin function _ZN4vllm25paged_attention_v1_kernelIttLi256ELi16ELi128ELNS_18Fp8KVCacheDataTypeE0ELb1EEEvPT_PKS2_PKT0_S8_ifPKiSA_iPKfiiiSC_SC_iiiii
	.globl	_ZN4vllm25paged_attention_v1_kernelIttLi256ELi16ELi128ELNS_18Fp8KVCacheDataTypeE0ELb1EEEvPT_PKS2_PKT0_S8_ifPKiSA_iPKfiiiSC_SC_iiiii
	.p2align	8
	.type	_ZN4vllm25paged_attention_v1_kernelIttLi256ELi16ELi128ELNS_18Fp8KVCacheDataTypeE0ELb1EEEvPT_PKS2_PKT0_S8_ifPKiSA_iPKfiiiSC_SC_iiiii,@function
_ZN4vllm25paged_attention_v1_kernelIttLi256ELi16ELi128ELNS_18Fp8KVCacheDataTypeE0ELb1EEEvPT_PKS2_PKT0_S8_ifPKiSA_iPKfiiiSC_SC_iiiii: ; @_ZN4vllm25paged_attention_v1_kernelIttLi256ELi16ELi128ELNS_18Fp8KVCacheDataTypeE0ELb1EEEvPT_PKS2_PKT0_S8_ifPKiSA_iPKfiiiSC_SC_iiiii
; %bb.0:
	s_load_b64 s[6:7], s[0:1], 0x20
	s_bfe_u32 s3, ttmp6, 0x4000c
	s_bfe_u32 s5, ttmp6, 0x40010
	s_and_b32 s4, ttmp7, 0xffff
	s_add_co_i32 s3, s3, 1
	s_add_co_i32 s5, s5, 1
	s_and_b32 s2, ttmp6, 15
	s_bfe_u32 s8, ttmp6, 0x40004
	s_mul_i32 s3, ttmp9, s3
	s_mul_i32 s5, s4, s5
	s_getreg_b32 s28, hwreg(HW_REG_IB_STS2, 6, 4)
	s_add_co_i32 s9, s2, s3
	s_add_co_i32 s8, s8, s5
	s_cmp_eq_u32 s28, 0
	s_clause 0x1
	s_load_b32 s29, s[0:1], 0x80
	s_load_b64 s[2:3], s[0:1], 0x30
	s_cselect_b32 s30, s4, s8
	s_cselect_b32 s4, ttmp9, s9
	s_mov_b32 s19, 0
	s_delay_alu instid0(SALU_CYCLE_1) | instskip(SKIP_2) | instid1(SALU_CYCLE_1)
	s_mov_b32 s35, s19
	s_wait_kmcnt 0x0
	s_abs_i32 s5, s6
	s_cvt_f32_u32 s8, s5
	s_sub_co_i32 s9, 0, s5
	s_delay_alu instid0(SALU_CYCLE_2) | instskip(SKIP_2) | instid1(TRANS32_DEP_1)
	v_rcp_iflag_f32_e32 v1, s8
	s_abs_i32 s10, s29
	v_nop
	v_readfirstlane_b32 s8, v1
	s_mul_f32 s8, s8, 0x4f7ffffe
	s_delay_alu instid0(SALU_CYCLE_3) | instskip(NEXT) | instid1(SALU_CYCLE_3)
	s_cvt_u32_f32 s8, s8
	s_mul_i32 s9, s9, s8
	s_delay_alu instid0(SALU_CYCLE_1) | instskip(NEXT) | instid1(SALU_CYCLE_1)
	s_mul_hi_u32 s9, s8, s9
	s_add_co_i32 s8, s8, s9
	s_xor_b32 s9, s29, s6
	s_mul_hi_u32 s8, s10, s8
	s_ashr_i32 s9, s9, 31
	s_mul_i32 s11, s8, s5
	s_delay_alu instid0(SALU_CYCLE_1)
	s_sub_co_i32 s10, s10, s11
	s_add_co_i32 s11, s8, 1
	s_sub_co_i32 s12, s10, s5
	s_cmp_ge_u32 s10, s5
	s_cselect_b32 s8, s11, s8
	s_cselect_b32 s10, s12, s10
	s_add_co_i32 s11, s8, 1
	s_cmp_ge_u32 s10, s5
	s_cselect_b32 s5, s11, s8
	s_load_b64 s[10:11], s[0:1], 0x40
	s_xor_b32 s5, s5, s9
	s_abs_i32 s18, s4
	s_sub_co_i32 s16, s5, s9
	s_mov_b32 s9, s19
	s_abs_i32 s15, s16
	s_delay_alu instid0(SALU_CYCLE_1) | instskip(SKIP_1) | instid1(SALU_CYCLE_2)
	s_cvt_f32_u32 s5, s15
	s_sub_co_i32 s8, 0, s15
	v_rcp_iflag_f32_e32 v1, s5
	v_nop
	s_delay_alu instid0(TRANS32_DEP_1) | instskip(SKIP_1) | instid1(SALU_CYCLE_3)
	v_readfirstlane_b32 s5, v1
	s_mul_f32 s5, s5, 0x4f7ffffe
	s_cvt_u32_f32 s5, s5
	s_delay_alu instid0(SALU_CYCLE_3) | instskip(NEXT) | instid1(SALU_CYCLE_1)
	s_mul_i32 s8, s8, s5
	s_mul_hi_u32 s8, s5, s8
	s_delay_alu instid0(SALU_CYCLE_1)
	s_add_co_i32 s8, s5, s8
	s_wait_kmcnt 0x0
	s_cmp_eq_u64 s[10:11], 0
	s_cbranch_scc1 .LBB80_2
; %bb.1:
	s_ashr_i32 s5, s4, 31
	s_delay_alu instid0(SALU_CYCLE_1) | instskip(NEXT) | instid1(SALU_CYCLE_1)
	s_lshl_b64 s[12:13], s[4:5], 2
	s_add_nc_u64 s[10:11], s[10:11], s[12:13]
	s_load_b32 s35, s[10:11], 0x0
.LBB80_2:
	s_load_b32 s31, s[2:3], s30 offset:0x0 scale_offset
	s_load_b96 s[12:14], s[0:1], 0x48
	v_dual_lshrrev_b32 v74, 1, v0 :: v_dual_bitop2_b32 v75, 1, v0 bitop3:0x40
	s_wait_xcnt 0x0
	v_cmp_gt_u32_e64 s2, 64, v0
	s_ashr_i32 s3, s4, 31
	s_ashr_i32 s5, s16, 31
	s_mul_u64 s[20:21], s[18:19], s[8:9]
	s_lshl_b32 s16, s4, 8
	s_and_saveexec_b32 s8, s2
	s_cbranch_execz .LBB80_4
; %bb.3:
	s_load_b64 s[10:11], s[0:1], 0x8
	s_wait_kmcnt 0x0
	s_mul_i32 s22, s12, s30
	s_ashr_i32 s17, s16, 31
	s_ashr_i32 s23, s22, 31
	v_lshlrev_b32_e32 v1, 3, v74
	s_lshl_b64 s[22:23], s[22:23], 1
	s_delay_alu instid0(VALU_DEP_1) | instskip(SKIP_2) | instid1(SALU_CYCLE_1)
	v_lshl_add_u32 v1, v75, 8, v1
	s_add_nc_u64 s[10:11], s[10:11], s[22:23]
	s_lshl_b64 s[22:23], s[16:17], 1
	s_add_nc_u64 s[10:11], s[10:11], s[22:23]
	global_load_b64 v[2:3], v0, s[10:11] scale_offset
	s_wait_loadcnt 0x0
	ds_store_b64 v1, v[2:3]
.LBB80_4:
	s_or_b32 exec_lo, exec_lo, s8
	s_load_b128 s[8:11], s[0:1], 0x68
	s_wait_kmcnt 0x0
	s_mul_i32 s12, s21, s15
	s_xor_b32 s5, s3, s5
	s_sub_co_i32 s3, s18, s12
	s_add_co_i32 s12, s21, 1
	s_sub_co_i32 s17, s3, s15
	s_cmp_ge_u32 s3, s15
	s_mov_b32 s22, -1
	s_cselect_b32 s12, s12, s21
	s_cselect_b32 s3, s17, s3
	s_add_co_i32 s17, s12, 1
	s_cmp_ge_u32 s3, s15
	s_load_b32 s3, s[0:1], 0x78
	s_cselect_b32 s15, s17, s12
	s_mov_b32 s21, 0
	s_xor_b32 s15, s15, s5
	s_mov_b32 s19, s21
	s_sub_co_i32 s5, s15, s5
	s_wait_dscnt 0x0
	s_barrier_signal -1
	s_abs_i32 s12, s11
	s_barrier_wait -1
	s_cvt_f32_u32 s17, s12
	s_sub_co_i32 s18, 0, s12
	s_delay_alu instid0(SALU_CYCLE_2) | instskip(SKIP_1) | instid1(TRANS32_DEP_1)
	v_rcp_iflag_f32_e32 v1, s17
	v_nop
	v_readfirstlane_b32 s17, v1
	s_mul_f32 s15, s17, 0x4f7ffffe
	s_delay_alu instid0(SALU_CYCLE_3) | instskip(SKIP_1) | instid1(SALU_CYCLE_1)
	s_cvt_u32_f32 s17, s15
	s_add_co_i32 s15, s31, -1
	s_abs_i32 s20, s15
	s_delay_alu instid0(SALU_CYCLE_1) | instskip(NEXT) | instid1(SALU_CYCLE_1)
	s_mul_i32 s18, s18, s17
	s_mul_hi_u32 s18, s17, s18
	s_delay_alu instid0(SALU_CYCLE_1)
	s_add_co_i32 s18, s17, s18
	s_wait_kmcnt 0x0
	s_cmp_lt_i32 s3, 0
                                        ; implicit-def: $sgpr17
	s_cbranch_scc0 .LBB80_6
; %bb.5:
	s_mul_i32 s6, s8, s6
	s_mov_b32 s22, s21
	s_add_co_i32 s6, s5, s6
	s_delay_alu instid0(SALU_CYCLE_1) | instskip(NEXT) | instid1(SALU_CYCLE_1)
	s_mul_i32 s6, s6, s3
	s_sub_co_i32 s17, 1, s6
.LBB80_6:
	s_ashr_i32 s6, s15, 31
	s_ashr_i32 s33, s11, 31
	s_and_not1_b32 vcc_lo, exec_lo, s22
	s_mul_u64 s[24:25], s[20:21], s[18:19]
	s_cbranch_vccnz .LBB80_8
; %bb.7:
	s_mul_i32 s8, s29, s8
	s_delay_alu instid0(SALU_CYCLE_1) | instskip(NEXT) | instid1(SALU_CYCLE_1)
	s_add_co_i32 s4, s8, s4
	s_mul_i32 s3, s4, s3
	s_delay_alu instid0(SALU_CYCLE_1)
	s_add_co_i32 s17, s3, 1
.LBB80_8:
	s_load_b32 s3, s[0:1], 0x38
	s_xor_b32 s4, s6, s33
	s_mul_i32 s6, s25, s12
	s_add_co_i32 s8, s25, 1
	s_sub_co_i32 s6, s20, s6
	s_clause 0x1
	s_load_b64 s[20:21], s[0:1], 0x28
	s_load_b32 s11, s[0:1], 0x88
	v_dual_lshrrev_b32 v76, 5, v0 :: v_dual_lshlrev_b32 v7, 3, v0
	v_dual_mov_b32 v80, 0xff7fffff :: v_dual_lshrrev_b32 v1, 3, v0
	v_mbcnt_lo_u32_b32 v77, -1, 0
	s_delay_alu instid0(VALU_DEP_3)
	v_lshlrev_b32_e32 v6, 4, v76
	s_mul_i32 s14, s5, s14
	s_wait_kmcnt 0x0
	s_mul_i32 s22, s3, s30
	s_sub_co_i32 s3, s6, s12
	s_ashr_i32 s23, s22, 31
	s_cmp_ge_u32 s6, s12
	s_cselect_b32 s8, s8, s25
	s_cselect_b32 s3, s3, s6
	s_add_co_i32 s6, s8, 1
	s_cmp_ge_u32 s3, s12
	s_cselect_b32 s3, s6, s8
	s_add_co_i32 s6, s31, 15
	s_delay_alu instid0(SALU_CYCLE_1) | instskip(NEXT) | instid1(SALU_CYCLE_1)
	s_ashr_i32 s8, s6, 31
	s_lshr_b32 s8, s8, 28
	s_delay_alu instid0(SALU_CYCLE_1) | instskip(NEXT) | instid1(SALU_CYCLE_1)
	s_add_co_i32 s6, s6, s8
	s_ashr_i32 s34, s6, 4
	s_xor_b32 s6, s3, s4
	v_cmp_gt_i32_e64 s3, s34, v76
	s_sub_co_i32 s8, s6, s4
	s_and_saveexec_b32 s36, s3
	s_cbranch_execz .LBB80_20
; %bb.9:
	s_load_b64 s[38:39], s[0:1], 0x10
	s_ashr_i32 s15, s14, 31
	s_sub_co_i32 s37, s8, s9
	s_ashr_i32 s25, s13, 31
	s_lshl_b64 s[40:41], s[14:15], 1
	s_cmp_neq_f32 s35, 0
	v_bfe_u32 v78, v0, 1, 4
	v_dual_mov_b32 v3, 0 :: v_dual_lshlrev_b32 v79, 8, v75
	s_cselect_b32 vcc_lo, -1, 0
	s_abs_i32 s15, s10
	s_delay_alu instid0(VALU_DEP_2)
	v_lshlrev_b32_e32 v2, 4, v78
	s_cvt_f32_u32 s4, s15
	v_subrev_nc_u32_e32 v8, s31, v78
	v_lshlrev_b32_e32 v9, 2, v78
	s_sub_co_i32 s6, 0, s15
	v_rcp_iflag_f32_e32 v4, s4
	v_cmp_eq_u32_e64 s4, 0, v75
	v_xor_b32_e32 v84, 1, v77
	v_lshl_or_b32 v9, v76, 6, v9
	s_wait_kmcnt 0x0
	s_add_nc_u64 s[38:39], s[38:39], s[40:41]
	v_dual_mov_b32 v80, 0xff7fffff :: v_dual_add_nc_u32 v81, 1, v8
	v_readfirstlane_b32 s5, v4
	v_add_nc_u64_e32 v[4:5], s[38:39], v[2:3]
	v_and_b32_e32 v2, 8, v7
	s_lshl_b64 s[38:39], s[22:23], 2
	v_dual_mov_b32 v85, v76 :: v_dual_add_nc_u32 v82, 0x220, v9
	s_mul_f32 s5, s5, 0x4f7ffffe
	s_add_nc_u64 s[38:39], s[20:21], s[38:39]
	s_delay_alu instid0(VALU_DEP_3)
	v_add_nc_u64_e32 v[4:5], v[4:5], v[2:3]
	v_and_b32_e32 v2, 0x7c, v1
	s_cvt_u32_f32 s5, s5
	v_mov_b32_e32 v83, 0xff7fffff
	s_mov_b32 s27, 0
	s_mov_b32 s24, s13
	v_add_nc_u64_e32 v[8:9], s[38:39], v[2:3]
	s_mul_i32 s6, s6, s5
	v_lshlrev_b32_e32 v2, 4, v76
	s_mul_hi_u32 s6, s5, s6
	s_mov_b32 s38, s27
	s_add_co_i32 s26, s5, s6
	s_branch .LBB80_12
.LBB80_10:                              ;   in Loop: Header=BB80_12 Depth=1
	s_or_b32 exec_lo, exec_lo, s39
.LBB80_11:                              ;   in Loop: Header=BB80_12 Depth=1
	s_delay_alu instid0(SALU_CYCLE_1) | instskip(SKIP_3) | instid1(VALU_DEP_3)
	s_or_b32 exec_lo, exec_lo, s6
	v_dual_add_nc_u32 v85, 4, v85 :: v_dual_add_nc_u32 v2, 64, v2
	v_add_nc_u64_e32 v[8:9], 16, v[8:9]
	v_add_nc_u32_e32 v82, 0x100, v82
	v_cmp_le_i32_e64 s5, s34, v85
	s_or_b32 s38, s5, s38
	s_delay_alu instid0(SALU_CYCLE_1)
	s_and_not1_b32 exec_lo, exec_lo, s38
	s_cbranch_execz .LBB80_19
.LBB80_12:                              ; =>This Inner Loop Header: Depth=1
	s_wait_dscnt 0x0
	v_mul_u64_e32 v[10:11], s[18:19], v[2:3]
	s_delay_alu instid0(VALU_DEP_1) | instskip(NEXT) | instid1(VALU_DEP_1)
	v_mul_lo_u32 v10, v11, s12
	v_dual_add_nc_u32 v12, 1, v11 :: v_dual_sub_nc_u32 v10, v2, v10
	s_delay_alu instid0(VALU_DEP_1) | instskip(SKIP_1) | instid1(VALU_DEP_1)
	v_subrev_nc_u32_e32 v13, s12, v10
	v_cmp_le_u32_e64 s5, s12, v10
	v_dual_cndmask_b32 v11, v11, v12, s5 :: v_dual_cndmask_b32 v10, v10, v13, s5
	s_delay_alu instid0(VALU_DEP_1) | instskip(NEXT) | instid1(VALU_DEP_2)
	v_add_nc_u32_e32 v12, 1, v11
	v_cmp_le_u32_e64 s5, s12, v10
	s_delay_alu instid0(VALU_DEP_1) | instskip(NEXT) | instid1(VALU_DEP_1)
	v_cndmask_b32_e64 v10, v11, v12, s5
	v_dual_mov_b32 v11, v3 :: v_dual_bitop2_b32 v10, s33, v10 bitop3:0x14
	s_delay_alu instid0(VALU_DEP_1) | instskip(NEXT) | instid1(VALU_DEP_1)
	v_subrev_nc_u32_e32 v14, s33, v10
	v_add_nc_u32_e32 v15, s17, v14
	v_cmp_ge_i32_e64 s6, s37, v14
	s_delay_alu instid0(VALU_DEP_2) | instskip(NEXT) | instid1(VALU_DEP_1)
	v_sub_nc_u32_e32 v10, 0, v15
	v_max_i32_e32 v10, v15, v10
	s_delay_alu instid0(VALU_DEP_1) | instskip(SKIP_1) | instid1(VALU_DEP_2)
	v_mul_u64_e32 v[12:13], s[26:27], v[10:11]
	v_ashrrev_i32_e32 v12, 31, v15
	v_mul_lo_u32 v11, v13, s15
	s_delay_alu instid0(VALU_DEP_1) | instskip(NEXT) | instid1(VALU_DEP_1)
	v_sub_nc_u32_e32 v10, v10, v11
	v_subrev_nc_u32_e32 v11, s15, v10
	v_cmp_le_u32_e64 s5, s15, v10
	s_delay_alu instid0(VALU_DEP_1) | instskip(NEXT) | instid1(VALU_DEP_1)
	v_cndmask_b32_e64 v10, v10, v11, s5
	v_subrev_nc_u32_e32 v11, s15, v10
	v_cmp_le_u32_e64 s5, s15, v10
	s_delay_alu instid0(VALU_DEP_1) | instskip(NEXT) | instid1(VALU_DEP_1)
	v_cndmask_b32_e64 v10, v10, v11, s5
	v_xor_b32_e32 v10, v10, v12
	s_delay_alu instid0(VALU_DEP_1) | instskip(NEXT) | instid1(VALU_DEP_1)
	v_sub_nc_u32_e32 v10, v10, v12
	v_cmp_ne_u32_e64 s5, 0, v10
	s_and_b32 s5, s5, s6
	s_delay_alu instid0(SALU_CYCLE_1) | instskip(NEXT) | instid1(SALU_CYCLE_1)
	s_and_saveexec_b32 s6, s5
	s_xor_b32 s5, exec_lo, s6
	s_cbranch_execz .LBB80_16
; %bb.13:                               ;   in Loop: Header=BB80_12 Depth=1
	s_and_saveexec_b32 s6, s4
; %bb.14:                               ;   in Loop: Header=BB80_12 Depth=1
	ds_store_b32 v82, v83
; %bb.15:                               ;   in Loop: Header=BB80_12 Depth=1
	s_or_b32 exec_lo, exec_lo, s6
.LBB80_16:                              ;   in Loop: Header=BB80_12 Depth=1
	s_and_not1_saveexec_b32 s6, s5
	s_cbranch_execz .LBB80_11
; %bb.17:                               ;   in Loop: Header=BB80_12 Depth=1
	global_load_b32 v10, v[8:9], off
	v_cmp_gt_i32_e64 s5, 32, v84
	s_wait_loadcnt 0x0
	v_ashrrev_i32_e32 v11, 31, v10
	s_delay_alu instid0(VALU_DEP_1) | instskip(NEXT) | instid1(VALU_DEP_1)
	v_mul_u64_e32 v[10:11], s[24:25], v[10:11]
	v_lshl_add_u64 v[10:11], v[10:11], 1, v[4:5]
	s_clause 0x9
	global_load_b64 v[72:73], v[10:11], off
	global_load_b64 v[70:71], v[10:11], off offset:256
	global_load_b64 v[68:69], v[10:11], off offset:512
	;; [unrolled: 1-line block ×9, first 2 shown]
	ds_load_b64 v[12:13], v79
	s_wait_dscnt 0x0
	v_lshrrev_b32_e32 v86, 16, v12
	v_and_b32_e32 v87, 0xffff, v12
	v_lshrrev_b32_e32 v88, 16, v13
	v_and_b32_e32 v89, 0xffff, v13
	s_clause 0x15
	global_load_b64 v[52:53], v[10:11], off offset:2560
	global_load_b64 v[50:51], v[10:11], off offset:2816
	global_load_b64 v[48:49], v[10:11], off offset:3072
	global_load_b64 v[46:47], v[10:11], off offset:3328
	global_load_b64 v[44:45], v[10:11], off offset:3584
	global_load_b64 v[42:43], v[10:11], off offset:3840
	global_load_b64 v[40:41], v[10:11], off offset:4096
	global_load_b64 v[38:39], v[10:11], off offset:4352
	global_load_b64 v[36:37], v[10:11], off offset:4608
	global_load_b64 v[34:35], v[10:11], off offset:4864
	global_load_b64 v[32:33], v[10:11], off offset:5120
	global_load_b64 v[30:31], v[10:11], off offset:5376
	global_load_b64 v[28:29], v[10:11], off offset:5632
	global_load_b64 v[26:27], v[10:11], off offset:5888
	global_load_b64 v[24:25], v[10:11], off offset:6144
	global_load_b64 v[22:23], v[10:11], off offset:6400
	global_load_b64 v[20:21], v[10:11], off offset:6656
	global_load_b64 v[18:19], v[10:11], off offset:6912
	global_load_b64 v[16:17], v[10:11], off offset:7168
	global_load_b64 v[14:15], v[10:11], off offset:7424
	global_load_b64 v[12:13], v[10:11], off offset:7680
	global_load_b64 v[10:11], v[10:11], off offset:7936
	;;#ASMSTART
	v_cvt_f32_f16 v101, v87;
	;;#ASMEND
	;;#ASMSTART
	v_cvt_f32_f16 v100, v86;
	;;#ASMEND
	s_wait_loadcnt 0x1f
	v_and_b32_e32 v87, 0xffff, v72
	v_dual_lshrrev_b32 v72, 16, v72 :: v_dual_lshrrev_b32 v90, 16, v73
	s_wait_loadcnt 0x1e
	v_lshrrev_b32_e32 v91, 16, v70
	v_and_b32_e32 v73, 0xffff, v73
	;;#ASMSTART
	v_cvt_f32_f16 v103, v87;
	;;#ASMEND
	;;#ASMSTART
	v_cvt_f32_f16 v102, v72;
	;;#ASMEND
	;; [unrolled: 3-line block ×6, first 2 shown]
	ds_load_b64 v[72:73], v79 offset:8
	v_and_b32_e32 v90, 0xffff, v70
	v_and_b32_e32 v92, 0xffff, v71
	s_wait_loadcnt 0x19
	v_and_b32_e32 v127, 0xffff, v61
	v_dual_lshrrev_b32 v94, 16, v71 :: v_dual_lshrrev_b32 v126, 16, v60
	s_wait_dscnt 0x0
	v_and_b32_e32 v70, 0xffff, v72
	v_lshrrev_b32_e32 v72, 16, v72
	v_and_b32_e32 v93, 0xffff, v73
	v_lshrrev_b32_e32 v95, 16, v73
	;;#ASMSTART
	v_cvt_f32_f16 v70, v70;
	;;#ASMEND
	;;#ASMSTART
	v_cvt_f32_f16 v71, v72;
	;;#ASMEND
	;; [unrolled: 3-line block ×5, first 2 shown]
	v_and_b32_e32 v90, 0xffff, v68
	v_lshrrev_b32_e32 v68, 16, v68
	;;#ASMSTART
	v_cvt_f32_f16 v116, v95;
	;;#ASMEND
	;;#ASMSTART
	v_cvt_f32_f16 v93, v92;
	;;#ASMEND
	;; [unrolled: 3-line block ×3, first 2 shown]
	ds_load_b64 v[94:95], v79 offset:16
	v_and_b32_e32 v92, 0xffff, v69
	v_lshrrev_b32_e32 v69, 16, v69
	v_dual_lshrrev_b32 v1, 16, v61 :: v_dual_mul_f32 v61, v70, v72
	s_delay_alu instid0(VALU_DEP_1)
	v_fmac_f32_e32 v61, v101, v103
	s_wait_dscnt 0x0
	v_and_b32_e32 v96, 0xffff, v94
	v_lshrrev_b32_e32 v94, 16, v94
	v_and_b32_e32 v97, 0xffff, v95
	v_lshrrev_b32_e32 v95, 16, v95
	;;#ASMSTART
	v_cvt_f32_f16 v124, v96;
	;;#ASMEND
	;;#ASMSTART
	v_cvt_f32_f16 v114, v94;
	;;#ASMEND
	;;#ASMSTART
	v_cvt_f32_f16 v125, v90;
	;;#ASMEND
	;;#ASMSTART
	v_cvt_f32_f16 v115, v68;
	;;#ASMEND
	;;#ASMSTART
	v_cvt_f32_f16 v121, v97;
	;;#ASMEND
	v_and_b32_e32 v90, 0xffff, v66
	v_lshrrev_b32_e32 v66, 16, v66
	;;#ASMSTART
	v_cvt_f32_f16 v117, v95;
	;;#ASMEND
	;;#ASMSTART
	v_cvt_f32_f16 v122, v92;
	;;#ASMEND
	;;#ASMSTART
	v_cvt_f32_f16 v120, v69;
	;;#ASMEND
	ds_load_b64 v[68:69], v79 offset:24
	v_and_b32_e32 v92, 0xffff, v67
	v_dual_lshrrev_b32 v67, 16, v67 :: v_dual_fmac_f32 v61, v124, v125
	s_wait_dscnt 0x0
	v_and_b32_e32 v94, 0xffff, v68
	v_lshrrev_b32_e32 v68, 16, v68
	v_and_b32_e32 v95, 0xffff, v69
	v_lshrrev_b32_e32 v69, 16, v69
	;;#ASMSTART
	v_cvt_f32_f16 v112, v94;
	;;#ASMEND
	;;#ASMSTART
	v_cvt_f32_f16 v110, v68;
	;;#ASMEND
	;; [unrolled: 3-line block ×5, first 2 shown]
	v_and_b32_e32 v68, 0xffff, v64
	v_lshrrev_b32_e32 v64, 16, v64
	;;#ASMSTART
	v_cvt_f32_f16 v98, v69;
	;;#ASMEND
	;;#ASMSTART
	v_cvt_f32_f16 v119, v92;
	;;#ASMEND
	;; [unrolled: 3-line block ×3, first 2 shown]
	ds_load_b64 v[66:67], v79 offset:32
	v_and_b32_e32 v69, 0xffff, v65
	v_lshrrev_b32_e32 v65, 16, v65
	s_wait_loadcnt 0x16
	v_dual_fmac_f32 v61, v112, v113 :: v_dual_lshrrev_b32 v113, 16, v54
	s_wait_dscnt 0x0
	v_and_b32_e32 v90, 0xffff, v66
	v_lshrrev_b32_e32 v66, 16, v66
	v_and_b32_e32 v92, 0xffff, v67
	v_lshrrev_b32_e32 v67, 16, v67
	;;#ASMSTART
	v_cvt_f32_f16 v106, v90;
	;;#ASMEND
	;;#ASMSTART
	v_cvt_f32_f16 v104, v66;
	;;#ASMEND
	;; [unrolled: 3-line block ×8, first 2 shown]
	ds_load_b64 v[64:65], v79 offset:40
	v_and_b32_e32 v66, 0xffff, v62
	v_dual_mul_f32 v62, v71, v73 :: v_dual_lshrrev_b32 v67, 16, v62
	v_and_b32_e32 v68, 0xffff, v63
	v_lshrrev_b32_e32 v63, 16, v63
	v_and_b32_e32 v69, 0xffff, v60
	v_dual_mul_f32 v60, v91, v93 :: v_dual_fmac_f32 v61, v106, v108
	s_delay_alu instid0(VALU_DEP_1) | instskip(SKIP_1) | instid1(VALU_DEP_2)
	v_dual_fmac_f32 v60, v87, v89 :: v_dual_lshrrev_b32 v87, 16, v58
	v_and_b32_e32 v89, 0xffff, v59
	v_dual_lshrrev_b32 v124, 16, v57 :: v_dual_fmac_f32 v60, v121, v122
	v_and_b32_e32 v122, 0xffff, v55
	s_wait_dscnt 0x0
	v_and_b32_e32 v70, 0xffff, v64
	v_lshrrev_b32_e32 v64, 16, v64
	v_and_b32_e32 v72, 0xffff, v65
	v_lshrrev_b32_e32 v65, 16, v65
	;;#ASMSTART
	v_cvt_f32_f16 v107, v70;
	;;#ASMEND
	;;#ASMSTART
	v_cvt_f32_f16 v70, v64;
	;;#ASMEND
	;; [unrolled: 3-line block ×8, first 2 shown]
	ds_load_b64 v[64:65], v79 offset:48
	v_dual_fmac_f32 v62, v100, v102 :: v_dual_lshrrev_b32 v102, 16, v59
	v_fmac_f32_e32 v61, v107, v109
	s_wait_dscnt 0x0
	v_and_b32_e32 v63, 0xffff, v64
	v_lshrrev_b32_e32 v64, 16, v64
	v_and_b32_e32 v72, 0xffff, v65
	v_lshrrev_b32_e32 v65, 16, v65
	;;#ASMSTART
	v_cvt_f32_f16 v68, v63;
	;;#ASMEND
	;;#ASMSTART
	v_cvt_f32_f16 v66, v64;
	;;#ASMEND
	;; [unrolled: 3-line block ×8, first 2 shown]
	ds_load_b64 v[100:101], v79 offset:56
	v_mul_f32_e32 v63, v116, v123
	v_and_b32_e32 v1, 0xffff, v58
	v_dual_fmac_f32 v62, v114, v115 :: v_dual_lshrrev_b32 v115, 16, v56
	v_and_b32_e32 v123, 0xffff, v57
	s_delay_alu instid0(VALU_DEP_4) | instskip(NEXT) | instid1(VALU_DEP_1)
	v_fmac_f32_e32 v63, v86, v88
	v_fmac_f32_e32 v63, v117, v120
	s_wait_loadcnt 0x15
	s_delay_alu instid0(VALU_DEP_1)
	v_dual_fmac_f32 v63, v98, v99 :: v_dual_lshrrev_b32 v99, 16, v52
	s_wait_dscnt 0x0
	v_and_b32_e32 v58, 0xffff, v100
	v_lshrrev_b32_e32 v59, 16, v100
	v_and_b32_e32 v100, 0xffff, v101
	v_lshrrev_b32_e32 v101, 16, v101
	;;#ASMSTART
	v_cvt_f32_f16 v86, v58;
	;;#ASMEND
	;;#ASMSTART
	v_cvt_f32_f16 v58, v59;
	;;#ASMEND
	;; [unrolled: 3-line block ×8, first 2 shown]
	ds_load_b64 v[102:103], v79 offset:64
	v_and_b32_e32 v1, 0xffff, v56
	v_fmac_f32_e32 v63, v90, v92
	s_delay_alu instid0(VALU_DEP_1)
	v_fmac_f32_e32 v63, v91, v93
	s_wait_dscnt 0x0
	v_and_b32_e32 v56, 0xffff, v102
	v_lshrrev_b32_e32 v57, 16, v102
	v_and_b32_e32 v116, 0xffff, v103
	v_lshrrev_b32_e32 v103, 16, v103
	;;#ASMSTART
	v_cvt_f32_f16 v102, v56;
	;;#ASMEND
	;;#ASMSTART
	v_cvt_f32_f16 v56, v57;
	;;#ASMEND
	;; [unrolled: 3-line block ×8, first 2 shown]
	ds_load_b64 v[120:121], v79 offset:72
	v_and_b32_e32 v1, 0xffff, v54
	v_lshrrev_b32_e32 v123, 16, v55
	v_fmac_f32_e32 v62, v110, v111
	s_wait_dscnt 0x0
	v_dual_fmac_f32 v60, v118, v119 :: v_dual_lshrrev_b32 v119, 16, v121
	v_and_b32_e32 v54, 0xffff, v120
	v_lshrrev_b32_e32 v55, 16, v120
	v_and_b32_e32 v111, 0xffff, v121
	;;#ASMSTART
	v_cvt_f32_f16 v110, v54;
	;;#ASMEND
	;;#ASMSTART
	v_cvt_f32_f16 v54, v55;
	;;#ASMEND
	;; [unrolled: 3-line block ×8, first 2 shown]
	ds_load_b64 v[120:121], v79 offset:80
	v_and_b32_e32 v1, 0xffff, v52
	v_and_b32_e32 v122, 0xffff, v53
	v_lshrrev_b32_e32 v123, 16, v53
	v_dual_fmac_f32 v62, v104, v105 :: v_dual_fmac_f32 v60, v94, v96
	s_wait_loadcnt 0x14
	v_lshrrev_b32_e32 v96, 16, v51
	v_and_b32_e32 v94, 0xffff, v50
	s_delay_alu instid0(VALU_DEP_3) | instskip(SKIP_2) | instid1(VALU_DEP_2)
	v_fmac_f32_e32 v62, v70, v71
	s_wait_loadcnt 0x13
	v_and_b32_e32 v70, 0xffff, v48
	v_dual_fmac_f32 v60, v95, v97 :: v_dual_fmac_f32 v62, v66, v67
	s_delay_alu instid0(VALU_DEP_1)
	v_fmac_f32_e32 v62, v58, v59
	s_wait_dscnt 0x0
	v_and_b32_e32 v52, 0xffff, v120
	v_lshrrev_b32_e32 v53, 16, v120
	v_and_b32_e32 v105, 0xffff, v121
	v_lshrrev_b32_e32 v108, 16, v121
	;;#ASMSTART
	v_cvt_f32_f16 v98, v52;
	;;#ASMEND
	;;#ASMSTART
	v_cvt_f32_f16 v52, v53;
	;;#ASMEND
	;;#ASMSTART
	v_cvt_f32_f16 v104, v1;
	;;#ASMEND
	;;#ASMSTART
	v_cvt_f32_f16 v53, v99;
	;;#ASMEND
	;;#ASMSTART
	v_cvt_f32_f16 v106, v105;
	;;#ASMEND
	v_lshrrev_b32_e32 v1, 16, v50
	;;#ASMSTART
	v_cvt_f32_f16 v99, v108;
	;;#ASMEND
	;;#ASMSTART
	v_cvt_f32_f16 v108, v122;
	;;#ASMEND
	;; [unrolled: 3-line block ×3, first 2 shown]
	ds_load_b64 v[120:121], v79 offset:88
	v_and_b32_e32 v122, 0xffff, v51
	v_fmac_f32_e32 v62, v56, v57
	s_wait_dscnt 0x0
	v_and_b32_e32 v50, 0xffff, v120
	v_dual_lshrrev_b32 v51, 16, v120 :: v_dual_lshrrev_b32 v109, 16, v121
	v_and_b32_e32 v92, 0xffff, v121
	;;#ASMSTART
	v_cvt_f32_f16 v90, v50;
	;;#ASMEND
	;;#ASMSTART
	v_cvt_f32_f16 v50, v51;
	;;#ASMEND
	;; [unrolled: 3-line block ×8, first 2 shown]
	ds_load_b64 v[120:121], v79 offset:96
	v_dual_lshrrev_b32 v1, 16, v48 :: v_dual_lshrrev_b32 v71, 16, v49
	v_and_b32_e32 v49, 0xffff, v49
	s_wait_dscnt 0x0
	v_and_b32_e32 v48, 0xffff, v120
	v_lshrrev_b32_e32 v95, 16, v120
	v_and_b32_e32 v91, 0xffff, v121
	v_lshrrev_b32_e32 v93, 16, v121
	;;#ASMSTART
	v_cvt_f32_f16 v97, v48;
	;;#ASMEND
	;;#ASMSTART
	v_cvt_f32_f16 v48, v95;
	;;#ASMEND
	;; [unrolled: 3-line block ×8, first 2 shown]
	ds_load_b64 v[70:71], v79 offset:104
	s_wait_loadcnt 0x12
	v_dual_lshrrev_b32 v121, 16, v46 :: v_dual_fmac_f32 v61, v68, v69
	v_and_b32_e32 v46, 0xffff, v46
	v_lshrrev_b32_e32 v68, 16, v47
	v_and_b32_e32 v47, 0xffff, v47
	v_fmac_f32_e32 v60, v72, v73
	v_fmac_f32_e32 v63, v64, v65
	s_wait_dscnt 0x0
	v_and_b32_e32 v66, 0xffff, v70
	v_dual_lshrrev_b32 v67, 16, v70 :: v_dual_lshrrev_b32 v69, 16, v71
	v_and_b32_e32 v70, 0xffff, v71
	;;#ASMSTART
	v_cvt_f32_f16 v66, v66;
	;;#ASMEND
	;;#ASMSTART
	v_cvt_f32_f16 v67, v67;
	;;#ASMEND
	;; [unrolled: 3-line block ×8, first 2 shown]
	ds_load_b64 v[46:47], v79 offset:112
	s_wait_loadcnt 0x11
	v_lshrrev_b32_e32 v121, 16, v44
	v_and_b32_e32 v44, 0xffff, v44
	v_dual_fmac_f32 v61, v86, v88 :: v_dual_lshrrev_b32 v64, 16, v45
	v_and_b32_e32 v45, 0xffff, v45
	s_wait_loadcnt 0x10
	v_dual_fmac_f32 v60, v100, v101 :: v_dual_lshrrev_b32 v100, 16, v43
	v_and_b32_e32 v43, 0xffff, v43
	s_wait_dscnt 0x0
	v_and_b32_e32 v65, 0xffff, v46
	v_dual_lshrrev_b32 v46, 16, v46 :: v_dual_lshrrev_b32 v58, 16, v47
	v_and_b32_e32 v47, 0xffff, v47
	;;#ASMSTART
	v_cvt_f32_f16 v59, v65;
	;;#ASMEND
	;;#ASMSTART
	v_cvt_f32_f16 v46, v46;
	;;#ASMEND
	;; [unrolled: 3-line block ×5, first 2 shown]
	v_lshrrev_b32_e32 v121, 16, v42
	;;#ASMSTART
	v_cvt_f32_f16 v58, v58;
	;;#ASMEND
	;;#ASMSTART
	v_cvt_f32_f16 v88, v45;
	;;#ASMEND
	;; [unrolled: 3-line block ×3, first 2 shown]
	ds_load_b64 v[44:45], v79 offset:120
	v_and_b32_e32 v42, 0xffff, v42
	v_dual_fmac_f32 v63, v87, v89 :: v_dual_fmac_f32 v61, v102, v114
	s_wait_dscnt 0x0
	v_lshrrev_b32_e32 v89, 16, v45
	v_and_b32_e32 v87, 0xffff, v44
	v_lshrrev_b32_e32 v44, 16, v44
	v_and_b32_e32 v45, 0xffff, v45
	;;#ASMSTART
	v_cvt_f32_f16 v87, v87;
	;;#ASMEND
	;;#ASMSTART
	v_cvt_f32_f16 v44, v44;
	;;#ASMEND
	;; [unrolled: 3-line block ×8, first 2 shown]
	ds_load_b64 v[42:43], v79 offset:128
	s_wait_loadcnt 0xf
	v_lshrrev_b32_e32 v121, 16, v40
	v_and_b32_e32 v40, 0xffff, v40
	v_lshrrev_b32_e32 v56, 16, v41
	v_and_b32_e32 v41, 0xffff, v41
	v_dual_fmac_f32 v60, v116, v117 :: v_dual_fmac_f32 v63, v103, v115
	s_wait_loadcnt 0xe
	v_dual_fmac_f32 v61, v110, v112 :: v_dual_lshrrev_b32 v110, 16, v39
	v_and_b32_e32 v39, 0xffff, v39
	s_delay_alu instid0(VALU_DEP_3) | instskip(SKIP_1) | instid1(VALU_DEP_3)
	v_fmac_f32_e32 v63, v111, v113
	s_wait_loadcnt 0xd
	v_dual_lshrrev_b32 v111, 16, v37 :: v_dual_fmac_f32 v61, v98, v104
	v_and_b32_e32 v37, 0xffff, v37
	s_wait_dscnt 0x0
	v_and_b32_e32 v57, 0xffff, v42
	v_dual_lshrrev_b32 v42, 16, v42 :: v_dual_lshrrev_b32 v103, 16, v43
	v_and_b32_e32 v43, 0xffff, v43
	;;#ASMSTART
	v_cvt_f32_f16 v57, v57;
	;;#ASMEND
	;;#ASMSTART
	v_cvt_f32_f16 v42, v42;
	;;#ASMEND
	;; [unrolled: 3-line block ×5, first 2 shown]
	v_lshrrev_b32_e32 v121, 16, v38
	;;#ASMSTART
	v_cvt_f32_f16 v103, v103;
	;;#ASMEND
	;;#ASMSTART
	v_cvt_f32_f16 v117, v41;
	;;#ASMEND
	;; [unrolled: 3-line block ×3, first 2 shown]
	ds_load_b64 v[40:41], v79 offset:136
	v_and_b32_e32 v38, 0xffff, v38
	v_fmac_f32_e32 v62, v54, v55
	s_wait_dscnt 0x0
	v_dual_fmac_f32 v60, v118, v119 :: v_dual_lshrrev_b32 v55, 16, v41
	v_and_b32_e32 v54, 0xffff, v40
	v_lshrrev_b32_e32 v40, 16, v40
	v_and_b32_e32 v41, 0xffff, v41
	;;#ASMSTART
	v_cvt_f32_f16 v54, v54;
	;;#ASMEND
	;;#ASMSTART
	v_cvt_f32_f16 v40, v40;
	;;#ASMEND
	;; [unrolled: 3-line block ×8, first 2 shown]
	ds_load_b64 v[38:39], v79 offset:144
	v_lshrrev_b32_e32 v121, 16, v36
	v_and_b32_e32 v36, 0xffff, v36
	v_dual_fmac_f32 v62, v52, v53 :: v_dual_fmac_f32 v60, v106, v108
	s_wait_loadcnt 0xc
	v_lshrrev_b32_e32 v106, 16, v35
	v_and_b32_e32 v35, 0xffff, v35
	s_delay_alu instid0(VALU_DEP_3) | instskip(NEXT) | instid1(VALU_DEP_1)
	v_fmac_f32_e32 v62, v50, v51
	v_fmac_f32_e32 v62, v48, v1
	s_delay_alu instid0(VALU_DEP_1)
	v_fmac_f32_e32 v62, v67, v72
	s_wait_dscnt 0x0
	v_and_b32_e32 v98, 0xffff, v38
	v_dual_lshrrev_b32 v38, 16, v38 :: v_dual_lshrrev_b32 v52, 16, v39
	v_and_b32_e32 v39, 0xffff, v39
	;;#ASMSTART
	v_cvt_f32_f16 v53, v98;
	;;#ASMEND
	;;#ASMSTART
	v_cvt_f32_f16 v38, v38;
	;;#ASMEND
	;; [unrolled: 3-line block ×5, first 2 shown]
	v_lshrrev_b32_e32 v121, 16, v34
	;;#ASMSTART
	v_cvt_f32_f16 v52, v52;
	;;#ASMEND
	;;#ASMSTART
	v_cvt_f32_f16 v113, v37;
	;;#ASMEND
	;; [unrolled: 3-line block ×3, first 2 shown]
	ds_load_b64 v[36:37], v79 offset:152
	v_and_b32_e32 v34, 0xffff, v34
	v_dual_fmac_f32 v63, v99, v105 :: v_dual_fmac_f32 v61, v90, v94
	v_fmac_f32_e32 v62, v46, v86
	s_wait_dscnt 0x0
	v_and_b32_e32 v99, 0xffff, v36
	v_dual_lshrrev_b32 v36, 16, v36 :: v_dual_lshrrev_b32 v90, 16, v37
	v_and_b32_e32 v37, 0xffff, v37
	;;#ASMSTART
	v_cvt_f32_f16 v94, v99;
	;;#ASMEND
	;;#ASMSTART
	v_cvt_f32_f16 v36, v36;
	;;#ASMEND
	;; [unrolled: 3-line block ×8, first 2 shown]
	ds_load_b64 v[34:35], v79 offset:160
	s_wait_loadcnt 0xb
	v_lshrrev_b32_e32 v121, 16, v32
	v_and_b32_e32 v32, 0xffff, v32
	v_lshrrev_b32_e32 v50, 16, v33
	v_and_b32_e32 v33, 0xffff, v33
	v_dual_fmac_f32 v60, v107, v109 :: v_dual_fmac_f32 v63, v92, v96
	s_delay_alu instid0(VALU_DEP_1) | instskip(SKIP_1) | instid1(VALU_DEP_2)
	v_dual_fmac_f32 v61, v97, v95 :: v_dual_fmac_f32 v60, v91, v49
	s_wait_loadcnt 0x9
	v_dual_fmac_f32 v63, v93, v120 :: v_dual_lshrrev_b32 v93, 16, v29
	s_delay_alu instid0(VALU_DEP_2) | instskip(SKIP_1) | instid1(VALU_DEP_2)
	v_fmac_f32_e32 v61, v66, v71
	v_and_b32_e32 v29, 0xffff, v29
	v_dual_fmac_f32 v63, v69, v68 :: v_dual_fmac_f32 v61, v59, v65
	s_wait_dscnt 0x0
	v_and_b32_e32 v51, 0xffff, v34
	v_dual_lshrrev_b32 v34, 16, v34 :: v_dual_lshrrev_b32 v92, 16, v35
	v_and_b32_e32 v35, 0xffff, v35
	;;#ASMSTART
	v_cvt_f32_f16 v51, v51;
	;;#ASMEND
	;;#ASMSTART
	v_cvt_f32_f16 v34, v34;
	;;#ASMEND
	;; [unrolled: 3-line block ×5, first 2 shown]
	v_lshrrev_b32_e32 v121, 16, v30
	;;#ASMSTART
	v_cvt_f32_f16 v92, v92;
	;;#ASMEND
	;;#ASMSTART
	v_cvt_f32_f16 v109, v33;
	;;#ASMEND
	;; [unrolled: 3-line block ×3, first 2 shown]
	ds_load_b64 v[32:33], v79 offset:168
	v_and_b32_e32 v30, 0xffff, v30
	v_lshrrev_b32_e32 v95, 16, v31
	v_and_b32_e32 v31, 0xffff, v31
	v_dual_fmac_f32 v63, v58, v64 :: v_dual_fmac_f32 v61, v87, v101
	s_wait_loadcnt 0x6
	v_lshrrev_b32_e32 v87, 16, v23
	v_and_b32_e32 v23, 0xffff, v23
	s_wait_dscnt 0x0
	v_and_b32_e32 v1, 0xffff, v32
	v_dual_lshrrev_b32 v32, 16, v32 :: v_dual_lshrrev_b32 v48, 16, v33
	v_and_b32_e32 v33, 0xffff, v33
	;;#ASMSTART
	v_cvt_f32_f16 v1, v1;
	;;#ASMEND
	;;#ASMSTART
	v_cvt_f32_f16 v32, v32;
	;;#ASMEND
	;; [unrolled: 3-line block ×8, first 2 shown]
	ds_load_b64 v[30:31], v79 offset:176
	v_lshrrev_b32_e32 v121, 16, v28
	v_and_b32_e32 v28, 0xffff, v28
	v_dual_fmac_f32 v60, v70, v73 :: v_dual_lshrrev_b32 v70, 16, v27
	v_and_b32_e32 v27, 0xffff, v27
	v_lshrrev_b32_e32 v46, 16, v25
	v_and_b32_e32 v25, 0xffff, v25
	s_delay_alu instid0(VALU_DEP_4)
	v_fmac_f32_e32 v60, v47, v88
	s_wait_dscnt 0x0
	v_and_b32_e32 v66, 0xffff, v30
	v_dual_lshrrev_b32 v30, 16, v30 :: v_dual_lshrrev_b32 v67, 16, v31
	v_and_b32_e32 v31, 0xffff, v31
	;;#ASMSTART
	v_cvt_f32_f16 v66, v66;
	;;#ASMEND
	;;#ASMSTART
	v_cvt_f32_f16 v30, v30;
	;;#ASMEND
	;;#ASMSTART
	v_cvt_f32_f16 v71, v28;
	;;#ASMEND
	;;#ASMSTART
	v_cvt_f32_f16 v72, v121;
	;;#ASMEND
	;;#ASMSTART
	v_cvt_f32_f16 v31, v31;
	;;#ASMEND
	v_lshrrev_b32_e32 v121, 16, v26
	;;#ASMSTART
	v_cvt_f32_f16 v67, v67;
	;;#ASMEND
	;;#ASMSTART
	v_cvt_f32_f16 v120, v29;
	;;#ASMEND
	;; [unrolled: 3-line block ×3, first 2 shown]
	ds_load_b64 v[28:29], v79 offset:184
	v_and_b32_e32 v26, 0xffff, v26
	s_wait_dscnt 0x0
	v_and_b32_e32 v68, 0xffff, v28
	v_dual_lshrrev_b32 v28, 16, v28 :: v_dual_lshrrev_b32 v59, 16, v29
	v_and_b32_e32 v29, 0xffff, v29
	;;#ASMSTART
	v_cvt_f32_f16 v65, v68;
	;;#ASMEND
	;;#ASMSTART
	v_cvt_f32_f16 v28, v28;
	;;#ASMEND
	;;#ASMSTART
	v_cvt_f32_f16 v68, v26;
	;;#ASMEND
	;;#ASMSTART
	v_cvt_f32_f16 v69, v121;
	;;#ASMEND
	;;#ASMSTART
	v_cvt_f32_f16 v29, v29;
	;;#ASMEND
	;;#ASMSTART
	v_cvt_f32_f16 v59, v59;
	;;#ASMEND
	;;#ASMSTART
	v_cvt_f32_f16 v73, v27;
	;;#ASMEND
	;;#ASMSTART
	v_cvt_f32_f16 v70, v70;
	;;#ASMEND
	ds_load_b64 v[26:27], v79 offset:192
	v_lshrrev_b32_e32 v121, 16, v24
	v_and_b32_e32 v24, 0xffff, v24
	s_wait_dscnt 0x0
	v_and_b32_e32 v47, 0xffff, v26
	v_dual_lshrrev_b32 v26, 16, v26 :: v_dual_lshrrev_b32 v58, 16, v27
	v_and_b32_e32 v27, 0xffff, v27
	;;#ASMSTART
	v_cvt_f32_f16 v47, v47;
	;;#ASMEND
	;;#ASMSTART
	v_cvt_f32_f16 v26, v26;
	;;#ASMEND
	;; [unrolled: 3-line block ×5, first 2 shown]
	v_lshrrev_b32_e32 v121, 16, v22
	;;#ASMSTART
	v_cvt_f32_f16 v58, v58;
	;;#ASMEND
	;;#ASMSTART
	v_cvt_f32_f16 v88, v25;
	;;#ASMEND
	;; [unrolled: 3-line block ×3, first 2 shown]
	ds_load_b64 v[24:25], v79 offset:200
	v_and_b32_e32 v22, 0xffff, v22
	v_fmac_f32_e32 v62, v44, v102
	s_wait_dscnt 0x0
	v_dual_fmac_f32 v60, v45, v114 :: v_dual_lshrrev_b32 v45, 16, v25
	v_and_b32_e32 v44, 0xffff, v24
	v_lshrrev_b32_e32 v24, 16, v24
	v_and_b32_e32 v25, 0xffff, v25
	;;#ASMSTART
	v_cvt_f32_f16 v44, v44;
	;;#ASMEND
	;;#ASMSTART
	v_cvt_f32_f16 v24, v24;
	;;#ASMEND
	;;#ASMSTART
	v_cvt_f32_f16 v101, v22;
	;;#ASMEND
	;;#ASMSTART
	v_cvt_f32_f16 v102, v121;
	;;#ASMEND
	;;#ASMSTART
	v_cvt_f32_f16 v25, v25;
	;;#ASMEND
	;;#ASMSTART
	v_cvt_f32_f16 v45, v45;
	;;#ASMEND
	;;#ASMSTART
	v_cvt_f32_f16 v114, v23;
	;;#ASMEND
	;;#ASMSTART
	v_cvt_f32_f16 v87, v87;
	;;#ASMEND
	ds_load_b64 v[22:23], v79 offset:208
	s_wait_loadcnt 0x5
	v_lshrrev_b32_e32 v121, 16, v20
	v_fmac_f32_e32 v63, v89, v100
	v_and_b32_e32 v20, 0xffff, v20
	v_lshrrev_b32_e32 v89, 16, v21
	v_and_b32_e32 v21, 0xffff, v21
	v_dual_fmac_f32 v61, v57, v115 :: v_dual_fmac_f32 v62, v42, v116
	s_wait_loadcnt 0x4
	v_dual_fmac_f32 v60, v43, v117 :: v_dual_lshrrev_b32 v43, 16, v19
	v_and_b32_e32 v19, 0xffff, v19
	s_delay_alu instid0(VALU_DEP_3)
	v_dual_fmac_f32 v61, v54, v112 :: v_dual_fmac_f32 v62, v40, v118
	s_wait_loadcnt 0x3
	v_lshrrev_b32_e32 v40, 16, v17
	v_and_b32_e32 v17, 0xffff, v17
	s_wait_loadcnt 0x2
	v_lshrrev_b32_e32 v118, 16, v14
	v_and_b32_e32 v14, 0xffff, v14
	s_wait_dscnt 0x0
	v_and_b32_e32 v57, 0xffff, v22
	v_dual_lshrrev_b32 v22, 16, v22 :: v_dual_lshrrev_b32 v42, 16, v23
	v_and_b32_e32 v23, 0xffff, v23
	;;#ASMSTART
	v_cvt_f32_f16 v57, v57;
	;;#ASMEND
	;;#ASMSTART
	v_cvt_f32_f16 v22, v22;
	;;#ASMEND
	;; [unrolled: 3-line block ×5, first 2 shown]
	v_lshrrev_b32_e32 v121, 16, v18
	;;#ASMSTART
	v_cvt_f32_f16 v42, v42;
	;;#ASMEND
	;;#ASMSTART
	v_cvt_f32_f16 v116, v21;
	;;#ASMEND
	;; [unrolled: 3-line block ×3, first 2 shown]
	ds_load_b64 v[20:21], v79 offset:216
	v_and_b32_e32 v18, 0xffff, v18
	s_wait_dscnt 0x0
	v_dual_fmac_f32 v63, v103, v56 :: v_dual_lshrrev_b32 v54, 16, v21
	v_and_b32_e32 v56, 0xffff, v20
	v_lshrrev_b32_e32 v20, 16, v20
	v_and_b32_e32 v21, 0xffff, v21
	;;#ASMSTART
	v_cvt_f32_f16 v56, v56;
	;;#ASMEND
	;;#ASMSTART
	v_cvt_f32_f16 v20, v20;
	;;#ASMEND
	;; [unrolled: 3-line block ×8, first 2 shown]
	ds_load_b64 v[18:19], v79 offset:224
	v_dual_fmac_f32 v60, v41, v119 :: v_dual_fmac_f32 v63, v55, v110
	v_lshrrev_b32_e32 v121, 16, v16
	v_and_b32_e32 v16, 0xffff, v16
	v_dual_lshrrev_b32 v41, 16, v15 :: v_dual_fmac_f32 v61, v53, v98
	s_delay_alu instid0(VALU_DEP_4) | instskip(SKIP_2) | instid1(VALU_DEP_3)
	v_dual_fmac_f32 v62, v38, v104 :: v_dual_fmac_f32 v60, v39, v113
	v_fmac_f32_e32 v63, v52, v111
	v_and_b32_e32 v15, 0xffff, v15
	v_dual_fmac_f32 v62, v36, v105 :: v_dual_fmac_f32 v60, v37, v108
	s_wait_loadcnt 0x1
	s_delay_alu instid0(VALU_DEP_1)
	v_dual_lshrrev_b32 v36, 16, v12 :: v_dual_fmac_f32 v62, v34, v107
	s_wait_dscnt 0x0
	v_and_b32_e32 v55, 0xffff, v18
	v_dual_lshrrev_b32 v18, 16, v18 :: v_dual_lshrrev_b32 v53, 16, v19
	v_and_b32_e32 v19, 0xffff, v19
	;;#ASMSTART
	v_cvt_f32_f16 v55, v55;
	;;#ASMEND
	;;#ASMSTART
	v_cvt_f32_f16 v18, v18;
	;;#ASMEND
	;;#ASMSTART
	v_cvt_f32_f16 v98, v16;
	;;#ASMEND
	;;#ASMSTART
	v_cvt_f32_f16 v110, v121;
	;;#ASMEND
	;;#ASMSTART
	v_cvt_f32_f16 v19, v19;
	;;#ASMEND
	;;#ASMSTART
	v_cvt_f32_f16 v53, v53;
	;;#ASMEND
	;;#ASMSTART
	v_cvt_f32_f16 v119, v17;
	;;#ASMEND
	;;#ASMSTART
	v_cvt_f32_f16 v40, v40;
	;;#ASMEND
	ds_load_b64 v[16:17], v79 offset:232
	v_fmac_f32_e32 v61, v94, v99
	v_dual_fmac_f32 v63, v90, v106 :: v_dual_fmac_f32 v62, v32, v91
	s_delay_alu instid0(VALU_DEP_2) | instskip(NEXT) | instid1(VALU_DEP_2)
	v_fmac_f32_e32 v61, v51, v96
	v_dual_fmac_f32 v60, v35, v109 :: v_dual_fmac_f32 v63, v92, v50
	s_delay_alu instid0(VALU_DEP_2) | instskip(NEXT) | instid1(VALU_DEP_2)
	v_dual_fmac_f32 v62, v30, v72 :: v_dual_fmac_f32 v61, v1, v49
	v_dual_fmac_f32 v60, v33, v97 :: v_dual_fmac_f32 v63, v48, v95
	v_and_b32_e32 v1, 0xffff, v12
	s_delay_alu instid0(VALU_DEP_3)
	v_fmac_f32_e32 v61, v66, v71
	s_wait_dscnt 0x0
	v_and_b32_e32 v12, 0xffff, v16
	v_dual_lshrrev_b32 v16, 16, v16 :: v_dual_lshrrev_b32 v30, 16, v17
	v_and_b32_e32 v17, 0xffff, v17
	;;#ASMSTART
	v_cvt_f32_f16 v32, v12;
	;;#ASMEND
	;;#ASMSTART
	v_cvt_f32_f16 v16, v16;
	;;#ASMEND
	;; [unrolled: 3-line block ×8, first 2 shown]
	ds_load_b64 v[14:15], v79 offset:240
	v_dual_fmac_f32 v60, v31, v120 :: v_dual_fmac_f32 v62, v28, v69
	v_dual_fmac_f32 v63, v67, v93 :: v_dual_fmac_f32 v61, v65, v68
	v_lshrrev_b32_e32 v12, 16, v13
	s_delay_alu instid0(VALU_DEP_3) | instskip(SKIP_1) | instid1(VALU_DEP_4)
	v_fmac_f32_e32 v60, v29, v73
	v_and_b32_e32 v13, 0xffff, v13
	v_fmac_f32_e32 v63, v59, v70
	v_dual_fmac_f32 v61, v47, v64 :: v_dual_fmac_f32 v62, v26, v86
	s_delay_alu instid0(VALU_DEP_2) | instskip(NEXT) | instid1(VALU_DEP_2)
	v_dual_fmac_f32 v60, v27, v88 :: v_dual_fmac_f32 v63, v58, v46
	v_fmac_f32_e32 v61, v44, v101
	s_delay_alu instid0(VALU_DEP_3)
	v_fmac_f32_e32 v62, v24, v102
	s_wait_loadcnt 0x0
	v_lshrrev_b32_e32 v24, 16, v10
	v_and_b32_e32 v10, 0xffff, v10
	v_fmac_f32_e32 v63, v45, v87
	v_dual_fmac_f32 v60, v25, v114 :: v_dual_fmac_f32 v62, v22, v115
	v_fmac_f32_e32 v61, v57, v100
	s_wait_dscnt 0x0
	v_and_b32_e32 v22, 0xffff, v14
	s_delay_alu instid0(VALU_DEP_3)
	v_dual_lshrrev_b32 v14, 16, v14 :: v_dual_fmac_f32 v60, v23, v116
	v_dual_lshrrev_b32 v23, 16, v15 :: v_dual_fmac_f32 v63, v42, v89
	v_and_b32_e32 v15, 0xffff, v15
	;;#ASMSTART
	v_cvt_f32_f16 v22, v22;
	;;#ASMEND
	;;#ASMSTART
	v_cvt_f32_f16 v14, v14;
	;;#ASMEND
	;; [unrolled: 3-line block ×8, first 2 shown]
	ds_load_b64 v[12:13], v79 offset:248
	v_dual_fmac_f32 v61, v56, v103 :: v_dual_fmac_f32 v60, v21, v117
	v_dual_fmac_f32 v62, v20, v112 :: v_dual_fmac_f32 v63, v54, v43
	s_delay_alu instid0(VALU_DEP_2) | instskip(NEXT) | instid1(VALU_DEP_2)
	v_fmac_f32_e32 v61, v55, v98
	v_dual_fmac_f32 v60, v19, v119 :: v_dual_fmac_f32 v62, v18, v110
	s_delay_alu instid0(VALU_DEP_3) | instskip(NEXT) | instid1(VALU_DEP_2)
	v_dual_fmac_f32 v63, v53, v40 :: v_dual_lshrrev_b32 v18, 16, v11
	v_dual_fmac_f32 v61, v32, v33 :: v_dual_fmac_f32 v60, v17, v35
	s_delay_alu instid0(VALU_DEP_3) | instskip(SKIP_1) | instid1(VALU_DEP_4)
	v_fmac_f32_e32 v62, v16, v34
	v_and_b32_e32 v11, 0xffff, v11
	v_fmac_f32_e32 v63, v30, v37
	s_delay_alu instid0(VALU_DEP_4) | instskip(NEXT) | instid1(VALU_DEP_2)
	v_dual_fmac_f32 v61, v22, v1 :: v_dual_fmac_f32 v60, v15, v26
	v_dual_fmac_f32 v62, v14, v25 :: v_dual_fmac_f32 v63, v23, v27
	s_wait_dscnt 0x0
	v_and_b32_e32 v1, 0xffff, v12
	v_lshrrev_b32_e32 v12, 16, v12
	;;#ASMSTART
	v_cvt_f32_f16 v1, v1;
	;;#ASMEND
	;;#ASMSTART
	v_cvt_f32_f16 v12, v12;
	;;#ASMEND
	;; [unrolled: 3-line block ×3, first 2 shown]
	v_dual_fmac_f32 v61, v1, v10 :: v_dual_lshrrev_b32 v14, 16, v13
	v_and_b32_e32 v13, 0xffff, v13
	;;#ASMSTART
	v_cvt_f32_f16 v15, v24;
	;;#ASMEND
	;;#ASMSTART
	v_cvt_f32_f16 v1, v13;
	;;#ASMEND
	v_fmac_f32_e32 v62, v12, v15
	;;#ASMSTART
	v_cvt_f32_f16 v12, v14;
	;;#ASMEND
	;;#ASMSTART
	v_cvt_f32_f16 v10, v11;
	;;#ASMEND
	v_fmac_f32_e32 v60, v1, v10
	;;#ASMSTART
	v_cvt_f32_f16 v1, v18;
	;;#ASMEND
	v_dual_add_f32 v10, v61, v62 :: v_dual_fmac_f32 v63, v12, v1
	v_cndmask_b32_e64 v11, v77, v84, s5
	s_delay_alu instid0(VALU_DEP_1) | instskip(NEXT) | instid1(VALU_DEP_1)
	v_dual_add_f32 v10, v10, v60 :: v_dual_lshlrev_b32 v11, 2, v11
	v_add_f32_e32 v10, v63, v10
	ds_bpermute_b32 v11, v11, v10
	s_and_saveexec_b32 s39, s4
	s_cbranch_execz .LBB80_10
; %bb.18:                               ;   in Loop: Header=BB80_12 Depth=1
	s_wait_dscnt 0x0
	v_dual_add_nc_u32 v12, v81, v2 :: v_dual_add_f32 v10, v10, v11
	s_delay_alu instid0(VALU_DEP_1) | instskip(NEXT) | instid1(VALU_DEP_1)
	v_cvt_f32_i32_e32 v12, v12
	v_mul_f32_e32 v12, s35, v12
	s_delay_alu instid0(VALU_DEP_1) | instskip(NEXT) | instid1(VALU_DEP_1)
	v_cndmask_b32_e32 v11, 0, v12, vcc_lo
	v_fmac_f32_e32 v11, s7, v10
	v_add_nc_u32_e32 v10, v78, v2
	s_delay_alu instid0(VALU_DEP_1) | instskip(NEXT) | instid1(VALU_DEP_1)
	v_cmp_gt_i32_e64 s5, s31, v10
	v_dual_max_num_f32 v12, v80, v80 :: v_dual_cndmask_b32 v10, 0, v11, s5
	s_delay_alu instid0(VALU_DEP_1)
	v_max_num_f32_e32 v12, v12, v11
	ds_store_b32 v82, v10
	v_cndmask_b32_e64 v80, v80, v12, s5
	s_branch .LBB80_10
.LBB80_19:
	s_or_b32 exec_lo, exec_lo, s38
	v_lshrrev_b32_e32 v1, 3, v0
.LBB80_20:
	s_or_b32 exec_lo, exec_lo, s36
	v_dual_max_num_f32 v5, v80, v80 :: v_dual_bitop2_b32 v2, 16, v77 bitop3:0x14
	s_clause 0x1
	s_load_b64 s[6:7], s[0:1], 0x0
	s_load_b64 s[24:25], s[0:1], 0x18
	v_xor_b32_e32 v4, 8, v77
	v_xor_b32_e32 v8, 4, v77
	v_cmp_gt_i32_e32 vcc_lo, 32, v2
	v_dual_cndmask_b32 v2, v77, v2, vcc_lo :: v_dual_bitop2_b32 v31, 31, v0 bitop3:0x40
	s_delay_alu instid0(VALU_DEP_4) | instskip(NEXT) | instid1(VALU_DEP_2)
	v_cmp_gt_i32_e32 vcc_lo, 32, v4
	v_dual_cndmask_b32 v4, v77, v4 :: v_dual_lshlrev_b32 v3, 2, v2
	v_cmp_gt_i32_e32 vcc_lo, 32, v8
	ds_bpermute_b32 v2, v3, v80
	s_wait_dscnt 0x0
	v_dual_lshlrev_b32 v4, 2, v4 :: v_dual_max_num_f32 v2, v2, v2
	s_delay_alu instid0(VALU_DEP_1) | instskip(SKIP_3) | instid1(VALU_DEP_1)
	v_max_num_f32_e32 v2, v5, v2
	ds_bpermute_b32 v5, v4, v2
	s_wait_dscnt 0x0
	v_max_num_f32_e32 v9, v5, v5
	v_dual_cndmask_b32 v8, v77, v8, vcc_lo :: v_dual_max_num_f32 v2, v2, v9
	s_delay_alu instid0(VALU_DEP_1) | instskip(SKIP_3) | instid1(VALU_DEP_1)
	v_lshlrev_b32_e32 v5, 2, v8
	ds_bpermute_b32 v8, v5, v2
	s_wait_dscnt 0x0
	v_dual_max_num_f32 v8, v8, v8 :: v_dual_bitop2_b32 v9, 2, v77 bitop3:0x14
	v_cmp_gt_i32_e32 vcc_lo, 32, v9
	s_delay_alu instid0(VALU_DEP_2) | instskip(SKIP_2) | instid1(VALU_DEP_3)
	v_dual_cndmask_b32 v10, v77, v9 :: v_dual_max_num_f32 v9, v2, v8
	v_lshlrev_b32_e32 v8, 2, v76
	v_cmp_eq_u32_e32 vcc_lo, 0, v31
	v_lshlrev_b32_e32 v2, 2, v10
	ds_bpermute_b32 v10, v2, v9
	s_wait_xcnt 0x0
	s_and_saveexec_b32 s0, vcc_lo
	s_cbranch_execz .LBB80_22
; %bb.21:
	s_wait_dscnt 0x0
	v_dual_max_num_f32 v10, v10, v10 :: v_dual_max_num_f32 v9, v9, v9
	s_delay_alu instid0(VALU_DEP_1)
	v_max_num_f32_e32 v9, v9, v10
	ds_store_b32 v8, v9 offset:512
.LBB80_22:
	s_or_b32 exec_lo, exec_lo, s0
	v_cmp_gt_u32_e64 s0, 4, v31
	s_wait_dscnt 0x0
	v_dual_mov_b32 v10, 0xff7fffff :: v_dual_lshlrev_b32 v9, 2, v31
	s_barrier_signal -1
	s_barrier_wait -1
	s_and_saveexec_b32 s1, s0
; %bb.23:
	ds_load_b32 v10, v9 offset:512
; %bb.24:
	s_or_b32 exec_lo, exec_lo, s1
	s_wait_dscnt 0x0
	ds_bpermute_b32 v11, v2, v10
	v_dual_max_num_f32 v10, v10, v10 :: v_dual_bitop2_b32 v12, 1, v77 bitop3:0x14
	s_delay_alu instid0(VALU_DEP_1) | instskip(NEXT) | instid1(VALU_DEP_1)
	v_cmp_gt_i32_e64 s1, 32, v12
	v_cndmask_b32_e64 v12, v77, v12, s1
	s_lshl_b32 s1, s34, 4
	s_delay_alu instid0(SALU_CYCLE_1) | instskip(NEXT) | instid1(SALU_CYCLE_1)
	s_min_i32 s5, s1, s31
	v_cmp_gt_i32_e64 s1, s5, v0
	s_wait_dscnt 0x0
	v_dual_max_num_f32 v11, v11, v11 :: v_dual_lshlrev_b32 v32, 2, v12
	s_delay_alu instid0(VALU_DEP_1) | instskip(SKIP_3) | instid1(VALU_DEP_1)
	v_max_num_f32_e32 v10, v10, v11
	ds_bpermute_b32 v11, v32, v10
	s_wait_dscnt 0x0
	v_max_num_f32_e32 v11, v11, v11
	v_dual_max_num_f32 v11, v10, v11 :: v_dual_mov_b32 v10, 0
	ds_bpermute_b32 v11, v10, v11
	s_and_saveexec_b32 s15, s1
	s_cbranch_execz .LBB80_28
; %bb.25:
	v_lshl_add_u32 v12, v0, 2, 0x220
	v_dual_mov_b32 v10, 0 :: v_dual_mov_b32 v13, v0
	s_mov_b32 s26, 0
.LBB80_26:                              ; =>This Inner Loop Header: Depth=1
	ds_load_b32 v14, v12
	v_add_nc_u32_e32 v13, 0x80, v13
	s_delay_alu instid0(VALU_DEP_1) | instskip(SKIP_3) | instid1(VALU_DEP_1)
	v_cmp_le_i32_e64 s4, s5, v13
	s_or_b32 s26, s4, s26
	s_wait_dscnt 0x0
	v_sub_f32_e32 v14, v14, v11
	v_mul_f32_e32 v14, 0x3fb8aa3b, v14
	s_delay_alu instid0(VALU_DEP_1)
	v_exp_f32_e32 v14, v14
	ds_store_b32 v12, v14
	v_nop
	v_add_f32_e32 v10, v10, v14
	v_add_nc_u32_e32 v12, 0x200, v12
	s_and_not1_b32 exec_lo, exec_lo, s26
	s_cbranch_execnz .LBB80_26
; %bb.27:
	s_or_b32 exec_lo, exec_lo, s26
.LBB80_28:
	s_delay_alu instid0(SALU_CYCLE_1)
	s_or_b32 exec_lo, exec_lo, s15
	ds_bpermute_b32 v3, v3, v10
	s_wait_dscnt 0x0
	v_add_f32_e32 v3, v10, v3
	ds_bpermute_b32 v4, v4, v3
	s_wait_dscnt 0x0
	v_add_f32_e32 v3, v3, v4
	ds_bpermute_b32 v4, v5, v3
	s_wait_dscnt 0x0
	v_add_f32_e32 v3, v3, v4
	ds_bpermute_b32 v4, v2, v3
	s_wait_dscnt 0x0
	v_add_f32_e32 v3, v3, v4
	ds_bpermute_b32 v4, v32, v3
	s_wait_dscnt 0x0
	v_add_f32_e32 v3, v3, v4
	s_and_saveexec_b32 s4, vcc_lo
; %bb.29:
	ds_store_b32 v8, v3 offset:528
; %bb.30:
	s_or_b32 exec_lo, exec_lo, s4
	s_wait_dscnt 0x0
	s_barrier_signal -1
	s_barrier_wait -1
	s_and_saveexec_b32 s4, s0
; %bb.31:
	ds_load_b32 v3, v9 offset:528
; %bb.32:
	s_or_b32 exec_lo, exec_lo, s4
	s_wait_dscnt 0x0
	ds_bpermute_b32 v2, v2, v3
	s_wait_dscnt 0x0
	v_dual_mov_b32 v9, 0 :: v_dual_add_f32 v2, v3, v2
	ds_bpermute_b32 v3, v32, v2
	s_wait_dscnt 0x0
	v_add_f32_e32 v2, v2, v3
	ds_bpermute_b32 v2, v9, v2
	s_and_saveexec_b32 s0, s1
	s_cbranch_execz .LBB80_45
; %bb.33:
	s_wait_dscnt 0x0
	v_add_f32_e32 v2, 0x358637bd, v2
	s_mov_b32 s4, -1
	s_mov_b32 s1, exec_lo
	s_delay_alu instid0(VALU_DEP_1) | instskip(NEXT) | instid1(VALU_DEP_1)
	v_div_scale_f32 v3, null, v2, v2, 1.0
	v_rcp_f32_e32 v5, v3
	v_nop
	s_delay_alu instid0(TRANS32_DEP_1) | instskip(NEXT) | instid1(VALU_DEP_1)
	v_fma_f32 v4, -v3, v5, 1.0
	v_fmac_f32_e32 v5, v4, v5
	v_div_scale_f32 v8, vcc_lo, 1.0, v2, 1.0
	s_delay_alu instid0(VALU_DEP_1) | instskip(NEXT) | instid1(VALU_DEP_1)
	v_mul_f32_e32 v10, v8, v5
	v_fma_f32 v4, -v3, v10, v8
	s_delay_alu instid0(VALU_DEP_1) | instskip(SKIP_1) | instid1(VALU_DEP_2)
	v_fmac_f32_e32 v10, v4, v5
	v_xad_u32 v4, v0, -1, s5
	v_fma_f32 v3, -v3, v10, v8
	s_delay_alu instid0(VALU_DEP_1) | instskip(NEXT) | instid1(VALU_DEP_1)
	v_div_fmas_f32 v3, v3, v5, v10
	v_div_fixup_f32 v2, v3, v2, 1.0
	v_mov_b32_e32 v3, v0
	v_cmpx_lt_u32_e32 0x7f, v4
	s_cbranch_execz .LBB80_42
; %bb.34:
	s_delay_alu instid0(VALU_DEP_3) | instskip(NEXT) | instid1(VALU_DEP_1)
	v_dual_mov_b32 v3, v2 :: v_dual_lshrrev_b32 v4, 7, v4
	v_dual_mov_b32 v11, 0 :: v_dual_add_nc_u32 v5, -1, v4
	s_delay_alu instid0(VALU_DEP_1) | instskip(SKIP_1) | instid1(VALU_DEP_2)
	v_lshrrev_b32_e32 v8, 1, v5
	v_cmp_lt_u32_e32 vcc_lo, 13, v5
	v_add_nc_u32_e32 v5, 1, v8
	s_and_saveexec_b32 s4, vcc_lo
	s_cbranch_execz .LBB80_38
; %bb.35:
	s_delay_alu instid0(VALU_DEP_1)
	v_and_b32_e32 v8, -8, v5
	v_lshl_add_u32 v10, v0, 2, 0x220
	s_mov_b32 s15, 0
	s_mov_b32 s26, 0
.LBB80_36:                              ; =>This Inner Loop Header: Depth=1
	ds_load_2addr_stride64_b32 v[12:13], v10 offset1:2
	ds_load_2addr_stride64_b32 v[14:15], v10 offset0:4 offset1:6
	ds_load_2addr_stride64_b32 v[16:17], v10 offset0:8 offset1:10
	;; [unrolled: 1-line block ×7, first 2 shown]
	s_add_co_i32 s26, s26, 16
	s_delay_alu instid0(SALU_CYCLE_1) | instskip(NEXT) | instid1(VALU_DEP_1)
	v_dual_mov_b32 v11, s26 :: v_dual_add_nc_u32 v8, -8, v8
	v_cmp_eq_u32_e32 vcc_lo, 0, v8
	s_or_b32 s15, vcc_lo, s15
	s_wait_dscnt 0x7
	v_pk_mul_f32 v[12:13], v[2:3], v[12:13]
	s_wait_dscnt 0x6
	v_pk_mul_f32 v[14:15], v[2:3], v[14:15]
	s_wait_dscnt 0x5
	v_pk_mul_f32 v[16:17], v[2:3], v[16:17]
	s_wait_dscnt 0x4
	v_pk_mul_f32 v[18:19], v[2:3], v[18:19]
	s_wait_dscnt 0x3
	v_pk_mul_f32 v[20:21], v[2:3], v[20:21]
	s_wait_dscnt 0x2
	v_pk_mul_f32 v[22:23], v[2:3], v[22:23]
	s_wait_dscnt 0x1
	v_pk_mul_f32 v[24:25], v[2:3], v[24:25]
	s_wait_dscnt 0x0
	v_pk_mul_f32 v[26:27], v[2:3], v[26:27]
	ds_store_2addr_stride64_b32 v10, v12, v13 offset1:2
	ds_store_2addr_stride64_b32 v10, v14, v15 offset0:4 offset1:6
	ds_store_2addr_stride64_b32 v10, v16, v17 offset0:8 offset1:10
	;; [unrolled: 1-line block ×7, first 2 shown]
	v_add_nc_u32_e32 v10, 0x2000, v10
	s_and_not1_b32 exec_lo, exec_lo, s15
	s_cbranch_execnz .LBB80_36
; %bb.37:
	s_or_b32 exec_lo, exec_lo, s15
.LBB80_38:
	s_delay_alu instid0(SALU_CYCLE_1) | instskip(NEXT) | instid1(VALU_DEP_1)
	s_or_b32 exec_lo, exec_lo, s4
	v_and_b32_e32 v5, 7, v5
	s_mov_b32 s15, 0
	s_mov_b32 s4, exec_lo
	s_delay_alu instid0(VALU_DEP_1)
	v_cmpx_ne_u32_e32 0, v5
	s_cbranch_execz .LBB80_41
; %bb.39:
	v_dual_lshlrev_b32 v8, 9, v11 :: v_dual_lshlrev_b32 v10, 2, v0
	s_delay_alu instid0(VALU_DEP_1)
	v_add3_u32 v8, v8, v10, 0x220
.LBB80_40:                              ; =>This Inner Loop Header: Depth=1
	ds_load_2addr_stride64_b32 v[10:11], v8 offset1:2
	v_add_nc_u32_e32 v5, -1, v5
	s_delay_alu instid0(VALU_DEP_1)
	v_cmp_eq_u32_e32 vcc_lo, 0, v5
	s_or_b32 s15, vcc_lo, s15
	s_wait_dscnt 0x0
	v_pk_mul_f32 v[10:11], v[2:3], v[10:11]
	ds_store_2addr_stride64_b32 v8, v10, v11 offset1:2
	v_add_nc_u32_e32 v8, 0x400, v8
	s_and_not1_b32 exec_lo, exec_lo, s15
	s_cbranch_execnz .LBB80_40
.LBB80_41:
	s_or_b32 exec_lo, exec_lo, s4
	v_add_nc_u32_e32 v3, 1, v4
	s_delay_alu instid0(VALU_DEP_1) | instskip(NEXT) | instid1(VALU_DEP_1)
	v_and_b32_e32 v4, 0x3fffffe, v3
	v_cmp_ne_u32_e32 vcc_lo, v3, v4
	v_lshl_add_u32 v3, v4, 7, v0
	s_or_not1_b32 s4, vcc_lo, exec_lo
.LBB80_42:
	s_or_b32 exec_lo, exec_lo, s1
	s_delay_alu instid0(SALU_CYCLE_1)
	s_and_b32 exec_lo, exec_lo, s4
	s_cbranch_execz .LBB80_45
; %bb.43:
	v_lshl_add_u32 v4, v3, 2, 0x220
	s_mov_b32 s1, 0
.LBB80_44:                              ; =>This Inner Loop Header: Depth=1
	ds_load_b32 v5, v4
	v_add_nc_u32_e32 v3, 0x80, v3
	s_delay_alu instid0(VALU_DEP_1)
	v_cmp_le_i32_e32 vcc_lo, s5, v3
	s_or_b32 s1, vcc_lo, s1
	s_wait_dscnt 0x0
	v_mul_f32_e32 v5, v2, v5
	ds_store_b32 v4, v5
	v_add_nc_u32_e32 v4, 0x200, v4
	s_and_not1_b32 exec_lo, exec_lo, s1
	s_cbranch_execnz .LBB80_44
.LBB80_45:
	s_or_b32 exec_lo, exec_lo, s0
	v_dual_mov_b32 v8, 0 :: v_dual_mov_b32 v11, 0
	v_dual_mov_b32 v10, 0 :: v_dual_mov_b32 v13, 0
	;; [unrolled: 1-line block ×7, first 2 shown]
	v_mov_b32_e32 v22, 0
	s_wait_dscnt 0x0
	s_barrier_signal -1
	s_barrier_wait -1
	s_and_saveexec_b32 s1, s3
	s_cbranch_execz .LBB80_83
; %bb.46:
	s_abs_i32 s3, s10
	v_dual_lshlrev_b32 v4, 4, v0 :: v_dual_bitop2_b32 v33, 8, v7 bitop3:0x40
	s_cvt_f32_u32 s0, s3
	v_mov_b32_e32 v7, 0
	v_and_b32_e32 v2, 0x7c, v1
	v_lshlrev_b32_e32 v1, 5, v75
	v_rcp_iflag_f32_e32 v3, s0
	s_ashr_i32 s15, s14, 31
	v_and_b32_e32 v4, 0x1f0, v4
	v_mov_b32_e32 v5, v7
	s_lshl_b64 s[22:23], s[22:23], 2
	s_lshl_b64 s[14:15], s[14:15], 1
	v_lshl_or_b32 v1, v76, 6, v1
	v_readfirstlane_b32 s0, v3
	v_mov_b32_e32 v3, v7
	s_add_nc_u64 s[20:21], s[20:21], s[22:23]
	s_wait_kmcnt 0x0
	s_add_nc_u64 s[14:15], s[24:25], s[14:15]
	s_sub_co_i32 s10, s8, s9
	s_mul_f32 s0, s0, 0x4f7ffffe
	s_sub_co_i32 s8, 0, s3
	v_add_nc_u64_e32 v[24:25], s[14:15], v[4:5]
	v_add_nc_u64_e32 v[26:27], s[20:21], v[2:3]
	s_cvt_u32_f32 s0, s0
	v_dual_mov_b32 v35, v76 :: v_dual_add_nc_u32 v34, 0x220, v1
	v_dual_mov_b32 v22, v7 :: v_dual_mov_b32 v23, v7
	s_delay_alu instid0(SALU_CYCLE_1)
	s_mul_i32 s8, s8, s0
	v_dual_mov_b32 v20, v7 :: v_dual_mov_b32 v21, v7
	v_dual_mov_b32 v18, v7 :: v_dual_mov_b32 v19, v7
	;; [unrolled: 1-line block ×7, first 2 shown]
	s_mov_b32 s9, 0
	s_mul_hi_u32 s8, s0, s8
	s_ashr_i32 s5, s13, 31
	s_mov_b32 s4, s13
	s_add_co_i32 s13, s34, -1
	s_mov_b32 s14, s31
	s_add_co_i32 s8, s0, s8
	s_mov_b32 s15, s9
	s_branch .LBB80_49
.LBB80_47:                              ;   in Loop: Header=BB80_49 Depth=1
	s_or_b32 exec_lo, exec_lo, s0
	v_dual_add_f32 v30, v30, v44 :: v_dual_add_f32 v37, v73, v77
	v_dual_add_f32 v36, v78, v79 :: v_dual_add_f32 v38, v71, v72
	v_dual_lshlrev_b32 v28, 16, v28 :: v_dual_lshlrev_b32 v29, 16, v29
	s_delay_alu instid0(VALU_DEP_2) | instskip(SKIP_1) | instid1(VALU_DEP_4)
	v_dual_add_f32 v8, v8, v30 :: v_dual_add_f32 v11, v11, v36
	v_dual_add_f32 v30, v69, v70 :: v_dual_add_f32 v36, v67, v68
	;; [unrolled: 1-line block ×4, first 2 shown]
	s_delay_alu instid0(VALU_DEP_3)
	v_dual_add_f32 v12, v12, v30 :: v_dual_add_f32 v30, v59, v60
	v_lshlrev_b32_e32 v1, 16, v1
	v_and_or_b32 v2, 0xffff, v2, v28
	v_and_or_b32 v4, 0xffff, v4, v29
	;;#ASMSTART
	v_pk_mul_f16 v2, v46, v2;

	;;#ASMEND
	v_dual_add_f32 v39, v61, v62 :: v_dual_add_f32 v15, v15, v36
	v_and_or_b32 v3, 0xffff, v3, v1
	;;#ASMSTART
	v_pk_mul_f16 v3, v45, v3;

	;;#ASMEND
	;;#ASMSTART
	v_pk_mul_f16 v4, v47, v4;

	;;#ASMEND
	;;#ASMSTART
	v_pk_mul_f16 v5, v48, v5;

	;;#ASMEND
	;;#ASMSTART
	v_pk_add_f16 v2, v2, v3;

	;;#ASMEND
	;;#ASMSTART
	v_pk_add_f16 v2, v2, v4;

	;;#ASMEND
	;; [unrolled: 4-line block ×3, first 2 shown]
	v_dual_add_f32 v3, v51, v52 :: v_dual_lshrrev_b32 v28, 16, v2
	v_and_b32_e32 v5, 0xffff, v2
	;;#ASMSTART
	v_cvt_f32_f16 v5, v5;
	;;#ASMEND
	v_dual_add_f32 v36, v57, v58 :: v_dual_add_f32 v1, v55, v56
	s_delay_alu instid0(VALU_DEP_3) | instskip(SKIP_2) | instid1(VALU_DEP_2)
	v_dual_add_f32 v2, v53, v54 :: v_dual_add_f32 v23, v23, v3
	v_add_f32_e32 v4, v49, v50
	;;#ASMSTART
	v_cvt_f32_f16 v28, v28;
	;;#ASMEND
	v_dual_add_f32 v5, v5, v28 :: v_dual_add_f32 v20, v20, v2
	v_dual_add_f32 v14, v14, v37 :: v_dual_add_f32 v17, v17, v38
	;; [unrolled: 1-line block ×4, first 2 shown]
	s_delay_alu instid0(VALU_DEP_4)
	v_dual_add_f32 v22, v22, v4 :: v_dual_add_f32 v9, v9, v5
.LBB80_48:                              ;   in Loop: Header=BB80_49 Depth=1
	s_or_b32 exec_lo, exec_lo, s20
	v_dual_add_nc_u32 v35, 4, v35 :: v_dual_add_nc_u32 v6, 64, v6
	v_add_nc_u64_e32 v[26:27], 16, v[26:27]
	v_add_nc_u32_e32 v34, 0x100, v34
	s_delay_alu instid0(VALU_DEP_3) | instskip(SKIP_1) | instid1(SALU_CYCLE_1)
	v_cmp_le_i32_e32 vcc_lo, s34, v35
	s_or_b32 s15, vcc_lo, s15
	s_and_not1_b32 exec_lo, exec_lo, s15
	s_cbranch_execz .LBB80_82
.LBB80_49:                              ; =>This Inner Loop Header: Depth=1
	v_mul_u64_e32 v[2:3], s[18:19], v[6:7]
	s_delay_alu instid0(VALU_DEP_1) | instskip(NEXT) | instid1(VALU_DEP_1)
	v_mul_lo_u32 v1, v3, s12
	v_dual_add_nc_u32 v2, 1, v3 :: v_dual_sub_nc_u32 v1, v6, v1
	s_delay_alu instid0(VALU_DEP_1) | instskip(SKIP_1) | instid1(VALU_DEP_2)
	v_subrev_nc_u32_e32 v4, s12, v1
	v_cmp_le_u32_e32 vcc_lo, s12, v1
	v_dual_cndmask_b32 v2, v3, v2 :: v_dual_cndmask_b32 v1, v1, v4
	s_delay_alu instid0(VALU_DEP_1) | instskip(NEXT) | instid1(VALU_DEP_2)
	v_add_nc_u32_e32 v3, 1, v2
	v_cmp_le_u32_e32 vcc_lo, s12, v1
	s_delay_alu instid0(VALU_DEP_2) | instskip(NEXT) | instid1(VALU_DEP_1)
	v_dual_cndmask_b32 v1, v2, v3, vcc_lo :: v_dual_mov_b32 v3, v7
	v_xor_b32_e32 v1, s33, v1
	s_delay_alu instid0(VALU_DEP_1) | instskip(NEXT) | instid1(VALU_DEP_1)
	v_subrev_nc_u32_e32 v1, s33, v1
	v_add_nc_u32_e32 v28, s17, v1
	v_cmp_lt_i32_e64 s0, s10, v1
	s_delay_alu instid0(VALU_DEP_2) | instskip(NEXT) | instid1(VALU_DEP_1)
	v_sub_nc_u32_e32 v2, 0, v28
	v_max_i32_e32 v2, v28, v2
	s_delay_alu instid0(VALU_DEP_1) | instskip(SKIP_1) | instid1(VALU_DEP_2)
	v_mul_u64_e32 v[4:5], s[8:9], v[2:3]
	v_ashrrev_i32_e32 v4, 31, v28
	v_mul_lo_u32 v3, v5, s3
	s_delay_alu instid0(VALU_DEP_1) | instskip(NEXT) | instid1(VALU_DEP_1)
	v_sub_nc_u32_e32 v2, v2, v3
	v_subrev_nc_u32_e32 v3, s3, v2
	v_cmp_le_u32_e32 vcc_lo, s3, v2
	s_delay_alu instid0(VALU_DEP_2) | instskip(NEXT) | instid1(VALU_DEP_1)
	v_cndmask_b32_e32 v2, v2, v3, vcc_lo
	v_subrev_nc_u32_e32 v3, s3, v2
	v_cmp_le_u32_e32 vcc_lo, s3, v2
	s_delay_alu instid0(VALU_DEP_2) | instskip(NEXT) | instid1(VALU_DEP_1)
	v_cndmask_b32_e32 v2, v2, v3, vcc_lo
	v_xor_b32_e32 v2, v2, v4
	s_delay_alu instid0(VALU_DEP_1) | instskip(NEXT) | instid1(VALU_DEP_1)
	v_sub_nc_u32_e32 v2, v2, v4
	v_cmp_eq_u32_e32 vcc_lo, 0, v2
	s_or_b32 s0, vcc_lo, s0
	s_delay_alu instid0(SALU_CYCLE_1)
	s_and_saveexec_b32 s20, s0
	s_cbranch_execz .LBB80_48
; %bb.50:                               ;   in Loop: Header=BB80_49 Depth=1
	global_load_b32 v2, v[26:27], off
	v_add_nc_u32_e32 v40, v33, v6
	v_cmp_eq_u32_e32 vcc_lo, s13, v35
	s_wait_loadcnt 0x0
	s_delay_alu instid0(VALU_DEP_2) | instskip(NEXT) | instid1(VALU_DEP_1)
	v_dual_add_nc_u32 v42, 2, v40 :: v_dual_ashrrev_i32 v3, 31, v2
	v_mul_u64_e32 v[28:29], s[4:5], v[2:3]
	ds_load_2addr_b64 v[2:5], v34 offset1:1
	ds_load_2addr_b64 v[36:39], v34 offset0:2 offset1:3
	s_wait_dscnt 0x1
	;;#ASMSTART
	v_cvt_f16_f32 v46, v2;

	;;#ASMEND
	;;#ASMSTART
	v_cvt_f16_f32 v45, v3;

	;;#ASMEND
	;; [unrolled: 4-line block ×4, first 2 shown]
	s_wait_dscnt 0x0
	;;#ASMSTART
	v_cvt_f16_f32 v52, v36;

	;;#ASMEND
	;;#ASMSTART
	v_cvt_f16_f32 v47, v37;

	;;#ASMEND
	;; [unrolled: 4-line block ×4, first 2 shown]
	v_lshl_add_u64 v[28:29], v[28:29], 1, v[24:25]
	global_load_b128 v[2:5], v[28:29], off
	s_wait_loadcnt 0x0
	v_dual_lshrrev_b32 v1, 16, v3 :: v_dual_add_nc_u32 v37, 4, v40
	v_dual_add_nc_u32 v36, 5, v40 :: v_dual_add_nc_u32 v39, 6, v40
	v_dual_add_nc_u32 v38, 7, v40 :: v_dual_bitop2_b32 v43, 3, v40 bitop3:0x54
	v_dual_lshrrev_b32 v30, 16, v2 :: v_dual_lshrrev_b32 v44, 16, v4
	v_or_b32_e32 v41, 1, v40
	s_and_saveexec_b32 s21, vcc_lo
	s_cbranch_execz .LBB80_52
; %bb.51:                               ;   in Loop: Header=BB80_49 Depth=1
	v_cmp_gt_i32_e64 s0, s31, v40
	v_and_b32_e32 v53, 0xffff, v5
	v_and_b32_e32 v5, 0xffff0000, v5
	s_delay_alu instid0(VALU_DEP_3) | instskip(SKIP_1) | instid1(VALU_DEP_1)
	v_cndmask_b32_e64 v2, 0, v2, s0
	v_cmp_gt_i32_e64 s0, s31, v42
	v_cndmask_b32_e64 v3, 0, v3, s0
	v_cmp_gt_i32_e64 s0, s14, v43
	s_delay_alu instid0(VALU_DEP_1) | instskip(SKIP_1) | instid1(VALU_DEP_1)
	v_cndmask_b32_e64 v1, 0, v1, s0
	v_cmp_gt_i32_e64 s0, s31, v41
	v_cndmask_b32_e64 v30, 0, v30, s0
	v_cmp_gt_i32_e64 s0, s31, v39
	s_delay_alu instid0(VALU_DEP_1) | instskip(SKIP_1) | instid1(VALU_DEP_1)
	v_cndmask_b32_e64 v53, 0, v53, s0
	v_cmp_gt_i32_e64 s0, s31, v38
	v_cndmask_b32_e64 v5, 0, v5, s0
	v_cmp_gt_i32_e64 s0, s31, v37
	s_delay_alu instid0(VALU_DEP_1) | instskip(SKIP_1) | instid1(VALU_DEP_1)
	v_cndmask_b32_e64 v4, 0, v4, s0
	v_cmp_gt_i32_e64 s0, s31, v36
	v_dual_cndmask_b32 v44, 0, v44, s0 :: v_dual_bitop2_b32 v5, v53, v5 bitop3:0x54
.LBB80_52:                              ;   in Loop: Header=BB80_49 Depth=1
	s_or_b32 exec_lo, exec_lo, s21
	v_and_b32_e32 v46, 0xffff, v46
	v_and_b32_e32 v51, 0xffff, v51
	v_dual_lshlrev_b32 v30, 16, v30 :: v_dual_lshlrev_b32 v1, 16, v1
	v_lshlrev_b32_e32 v44, 16, v44
	v_and_b32_e32 v52, 0xffff, v52
	v_lshl_or_b32 v46, v45, 16, v46
	v_lshl_or_b32 v45, v49, 16, v51
	v_and_b32_e32 v49, 0xffff, v50
	v_and_or_b32 v2, 0xffff, v2, v30
	v_and_or_b32 v1, 0xffff, v3, v1
	;; [unrolled: 1-line block ×3, first 2 shown]
	;;#ASMSTART
	v_pk_mul_f16 v2, v46, v2;

	;;#ASMEND
	;;#ASMSTART
	v_pk_mul_f16 v1, v45, v1;

	;;#ASMEND
	v_lshl_or_b32 v47, v47, 16, v52
	v_lshl_or_b32 v48, v48, 16, v49
	;;#ASMSTART
	v_pk_mul_f16 v3, v47, v3;

	;;#ASMEND
	;;#ASMSTART
	v_pk_mul_f16 v4, v48, v5;

	;;#ASMEND
	;;#ASMSTART
	v_pk_add_f16 v1, v2, v1;

	;;#ASMEND
	;;#ASMSTART
	v_pk_add_f16 v1, v1, v3;
	;; [unrolled: 4-line block ×3, first 2 shown]

	;;#ASMEND
	v_and_b32_e32 v2, 0xffff, v1
	v_lshrrev_b32_e32 v1, 16, v1
	;;#ASMSTART
	v_cvt_f32_f16 v49, v2;
	;;#ASMEND
	;;#ASMSTART
	v_cvt_f32_f16 v50, v1;
	;;#ASMEND
	global_load_b128 v[2:5], v[28:29], off offset:512
	s_wait_loadcnt 0x0
	v_dual_lshrrev_b32 v1, 16, v3 :: v_dual_lshrrev_b32 v30, 16, v2
	v_lshrrev_b32_e32 v44, 16, v4
	s_and_saveexec_b32 s21, vcc_lo
	s_cbranch_execz .LBB80_54
; %bb.53:                               ;   in Loop: Header=BB80_49 Depth=1
	v_cmp_gt_i32_e64 s0, s31, v40
	v_and_b32_e32 v51, 0xffff, v5
	v_and_b32_e32 v5, 0xffff0000, v5
	s_delay_alu instid0(VALU_DEP_3) | instskip(SKIP_1) | instid1(VALU_DEP_1)
	v_cndmask_b32_e64 v2, 0, v2, s0
	v_cmp_gt_i32_e64 s0, s31, v42
	v_cndmask_b32_e64 v3, 0, v3, s0
	v_cmp_gt_i32_e64 s0, s14, v43
	s_delay_alu instid0(VALU_DEP_1) | instskip(SKIP_1) | instid1(VALU_DEP_1)
	v_cndmask_b32_e64 v1, 0, v1, s0
	v_cmp_gt_i32_e64 s0, s31, v41
	v_cndmask_b32_e64 v30, 0, v30, s0
	v_cmp_gt_i32_e64 s0, s31, v39
	s_delay_alu instid0(VALU_DEP_1) | instskip(SKIP_1) | instid1(VALU_DEP_1)
	v_cndmask_b32_e64 v51, 0, v51, s0
	v_cmp_gt_i32_e64 s0, s31, v38
	v_cndmask_b32_e64 v5, 0, v5, s0
	v_cmp_gt_i32_e64 s0, s31, v37
	s_delay_alu instid0(VALU_DEP_1) | instskip(SKIP_1) | instid1(VALU_DEP_1)
	v_dual_cndmask_b32 v4, 0, v4, s0 :: v_dual_bitop2_b32 v5, v51, v5 bitop3:0x54
	v_cmp_gt_i32_e64 s0, s31, v36
	v_cndmask_b32_e64 v44, 0, v44, s0
.LBB80_54:                              ;   in Loop: Header=BB80_49 Depth=1
	s_or_b32 exec_lo, exec_lo, s21
	v_dual_lshlrev_b32 v30, 16, v30 :: v_dual_lshlrev_b32 v1, 16, v1
	s_delay_alu instid0(VALU_DEP_2) | instskip(NEXT) | instid1(VALU_DEP_2)
	v_lshlrev_b32_e32 v44, 16, v44
	v_and_or_b32 v2, 0xffff, v2, v30
	s_delay_alu instid0(VALU_DEP_3) | instskip(NEXT) | instid1(VALU_DEP_3)
	v_and_or_b32 v1, 0xffff, v3, v1
	v_and_or_b32 v3, 0xffff, v4, v44
	;;#ASMSTART
	v_pk_mul_f16 v2, v46, v2;

	;;#ASMEND
	;;#ASMSTART
	v_pk_mul_f16 v1, v45, v1;

	;;#ASMEND
	;; [unrolled: 4-line block ×4, first 2 shown]
	;;#ASMSTART
	v_pk_add_f16 v1, v2, v1;

	;;#ASMEND
	;;#ASMSTART
	v_pk_add_f16 v1, v1, v3;

	;;#ASMEND
	;; [unrolled: 4-line block ×3, first 2 shown]
	v_and_b32_e32 v2, 0xffff, v1
	v_lshrrev_b32_e32 v1, 16, v1
	;;#ASMSTART
	v_cvt_f32_f16 v51, v2;
	;;#ASMEND
	;;#ASMSTART
	v_cvt_f32_f16 v52, v1;
	;;#ASMEND
	global_load_b128 v[2:5], v[28:29], off offset:1024
	s_wait_loadcnt 0x0
	v_dual_lshrrev_b32 v1, 16, v3 :: v_dual_lshrrev_b32 v30, 16, v2
	v_lshrrev_b32_e32 v44, 16, v4
	s_and_saveexec_b32 s21, vcc_lo
	s_cbranch_execz .LBB80_56
; %bb.55:                               ;   in Loop: Header=BB80_49 Depth=1
	v_cmp_gt_i32_e64 s0, s31, v40
	v_and_b32_e32 v53, 0xffff, v5
	v_and_b32_e32 v5, 0xffff0000, v5
	s_delay_alu instid0(VALU_DEP_3) | instskip(SKIP_1) | instid1(VALU_DEP_1)
	v_cndmask_b32_e64 v2, 0, v2, s0
	v_cmp_gt_i32_e64 s0, s31, v42
	v_cndmask_b32_e64 v3, 0, v3, s0
	v_cmp_gt_i32_e64 s0, s14, v43
	s_delay_alu instid0(VALU_DEP_1) | instskip(SKIP_1) | instid1(VALU_DEP_1)
	v_cndmask_b32_e64 v1, 0, v1, s0
	v_cmp_gt_i32_e64 s0, s31, v41
	v_cndmask_b32_e64 v30, 0, v30, s0
	v_cmp_gt_i32_e64 s0, s31, v39
	s_delay_alu instid0(VALU_DEP_1) | instskip(SKIP_1) | instid1(VALU_DEP_1)
	v_cndmask_b32_e64 v53, 0, v53, s0
	v_cmp_gt_i32_e64 s0, s31, v38
	v_cndmask_b32_e64 v5, 0, v5, s0
	v_cmp_gt_i32_e64 s0, s31, v37
	s_delay_alu instid0(VALU_DEP_1) | instskip(SKIP_1) | instid1(VALU_DEP_1)
	v_cndmask_b32_e64 v4, 0, v4, s0
	v_cmp_gt_i32_e64 s0, s31, v36
	v_dual_cndmask_b32 v44, 0, v44, s0 :: v_dual_bitop2_b32 v5, v53, v5 bitop3:0x54
.LBB80_56:                              ;   in Loop: Header=BB80_49 Depth=1
	s_or_b32 exec_lo, exec_lo, s21
	v_dual_lshlrev_b32 v30, 16, v30 :: v_dual_lshlrev_b32 v1, 16, v1
	s_delay_alu instid0(VALU_DEP_2) | instskip(NEXT) | instid1(VALU_DEP_2)
	v_lshlrev_b32_e32 v44, 16, v44
	v_and_or_b32 v2, 0xffff, v2, v30
	s_delay_alu instid0(VALU_DEP_3) | instskip(NEXT) | instid1(VALU_DEP_3)
	v_and_or_b32 v1, 0xffff, v3, v1
	v_and_or_b32 v3, 0xffff, v4, v44
	;;#ASMSTART
	v_pk_mul_f16 v2, v46, v2;

	;;#ASMEND
	;;#ASMSTART
	v_pk_mul_f16 v1, v45, v1;

	;;#ASMEND
	;; [unrolled: 4-line block ×4, first 2 shown]
	;;#ASMSTART
	v_pk_add_f16 v1, v2, v1;

	;;#ASMEND
	;;#ASMSTART
	v_pk_add_f16 v1, v1, v3;

	;;#ASMEND
	;; [unrolled: 4-line block ×3, first 2 shown]
	v_and_b32_e32 v2, 0xffff, v1
	v_lshrrev_b32_e32 v1, 16, v1
	;;#ASMSTART
	v_cvt_f32_f16 v53, v2;
	;;#ASMEND
	;;#ASMSTART
	v_cvt_f32_f16 v54, v1;
	;;#ASMEND
	global_load_b128 v[2:5], v[28:29], off offset:1536
	s_wait_loadcnt 0x0
	v_dual_lshrrev_b32 v1, 16, v3 :: v_dual_lshrrev_b32 v30, 16, v2
	v_lshrrev_b32_e32 v44, 16, v4
	s_and_saveexec_b32 s21, vcc_lo
	s_cbranch_execz .LBB80_58
; %bb.57:                               ;   in Loop: Header=BB80_49 Depth=1
	v_cmp_gt_i32_e64 s0, s31, v40
	v_and_b32_e32 v55, 0xffff, v5
	v_and_b32_e32 v5, 0xffff0000, v5
	s_delay_alu instid0(VALU_DEP_3) | instskip(SKIP_1) | instid1(VALU_DEP_1)
	v_cndmask_b32_e64 v2, 0, v2, s0
	v_cmp_gt_i32_e64 s0, s31, v42
	v_cndmask_b32_e64 v3, 0, v3, s0
	v_cmp_gt_i32_e64 s0, s14, v43
	s_delay_alu instid0(VALU_DEP_1) | instskip(SKIP_1) | instid1(VALU_DEP_1)
	v_cndmask_b32_e64 v1, 0, v1, s0
	v_cmp_gt_i32_e64 s0, s31, v41
	v_cndmask_b32_e64 v30, 0, v30, s0
	v_cmp_gt_i32_e64 s0, s31, v39
	s_delay_alu instid0(VALU_DEP_1) | instskip(SKIP_1) | instid1(VALU_DEP_1)
	;; [unrolled: 5-line block ×3, first 2 shown]
	v_dual_cndmask_b32 v4, 0, v4, s0 :: v_dual_bitop2_b32 v5, v55, v5 bitop3:0x54
	v_cmp_gt_i32_e64 s0, s31, v36
	v_cndmask_b32_e64 v44, 0, v44, s0
.LBB80_58:                              ;   in Loop: Header=BB80_49 Depth=1
	s_or_b32 exec_lo, exec_lo, s21
	v_dual_lshlrev_b32 v30, 16, v30 :: v_dual_lshlrev_b32 v1, 16, v1
	s_delay_alu instid0(VALU_DEP_2) | instskip(NEXT) | instid1(VALU_DEP_2)
	v_lshlrev_b32_e32 v44, 16, v44
	v_and_or_b32 v2, 0xffff, v2, v30
	s_delay_alu instid0(VALU_DEP_3) | instskip(NEXT) | instid1(VALU_DEP_3)
	v_and_or_b32 v1, 0xffff, v3, v1
	v_and_or_b32 v3, 0xffff, v4, v44
	;;#ASMSTART
	v_pk_mul_f16 v2, v46, v2;

	;;#ASMEND
	;;#ASMSTART
	v_pk_mul_f16 v1, v45, v1;

	;;#ASMEND
	;; [unrolled: 4-line block ×4, first 2 shown]
	;;#ASMSTART
	v_pk_add_f16 v1, v2, v1;

	;;#ASMEND
	;;#ASMSTART
	v_pk_add_f16 v1, v1, v3;

	;;#ASMEND
	;; [unrolled: 4-line block ×3, first 2 shown]
	v_and_b32_e32 v2, 0xffff, v1
	v_lshrrev_b32_e32 v1, 16, v1
	;;#ASMSTART
	v_cvt_f32_f16 v55, v2;
	;;#ASMEND
	;;#ASMSTART
	v_cvt_f32_f16 v56, v1;
	;;#ASMEND
	global_load_b128 v[2:5], v[28:29], off offset:2048
	s_wait_loadcnt 0x0
	v_dual_lshrrev_b32 v1, 16, v3 :: v_dual_lshrrev_b32 v30, 16, v2
	v_lshrrev_b32_e32 v44, 16, v4
	s_and_saveexec_b32 s21, vcc_lo
	s_cbranch_execz .LBB80_60
; %bb.59:                               ;   in Loop: Header=BB80_49 Depth=1
	v_cmp_gt_i32_e64 s0, s31, v40
	v_and_b32_e32 v57, 0xffff, v5
	v_and_b32_e32 v5, 0xffff0000, v5
	s_delay_alu instid0(VALU_DEP_3) | instskip(SKIP_1) | instid1(VALU_DEP_1)
	v_cndmask_b32_e64 v2, 0, v2, s0
	v_cmp_gt_i32_e64 s0, s31, v42
	v_cndmask_b32_e64 v3, 0, v3, s0
	v_cmp_gt_i32_e64 s0, s14, v43
	s_delay_alu instid0(VALU_DEP_1) | instskip(SKIP_1) | instid1(VALU_DEP_1)
	v_cndmask_b32_e64 v1, 0, v1, s0
	v_cmp_gt_i32_e64 s0, s31, v41
	v_cndmask_b32_e64 v30, 0, v30, s0
	v_cmp_gt_i32_e64 s0, s31, v39
	s_delay_alu instid0(VALU_DEP_1) | instskip(SKIP_1) | instid1(VALU_DEP_1)
	;; [unrolled: 5-line block ×3, first 2 shown]
	v_cndmask_b32_e64 v4, 0, v4, s0
	v_cmp_gt_i32_e64 s0, s31, v36
	v_dual_cndmask_b32 v44, 0, v44, s0 :: v_dual_bitop2_b32 v5, v57, v5 bitop3:0x54
.LBB80_60:                              ;   in Loop: Header=BB80_49 Depth=1
	s_or_b32 exec_lo, exec_lo, s21
	v_dual_lshlrev_b32 v30, 16, v30 :: v_dual_lshlrev_b32 v1, 16, v1
	s_delay_alu instid0(VALU_DEP_2) | instskip(NEXT) | instid1(VALU_DEP_2)
	v_lshlrev_b32_e32 v44, 16, v44
	v_and_or_b32 v2, 0xffff, v2, v30
	s_delay_alu instid0(VALU_DEP_3) | instskip(NEXT) | instid1(VALU_DEP_3)
	v_and_or_b32 v1, 0xffff, v3, v1
	v_and_or_b32 v3, 0xffff, v4, v44
	;;#ASMSTART
	v_pk_mul_f16 v2, v46, v2;

	;;#ASMEND
	;;#ASMSTART
	v_pk_mul_f16 v1, v45, v1;

	;;#ASMEND
	;; [unrolled: 4-line block ×4, first 2 shown]
	;;#ASMSTART
	v_pk_add_f16 v1, v2, v1;

	;;#ASMEND
	;;#ASMSTART
	v_pk_add_f16 v1, v1, v3;

	;;#ASMEND
	;; [unrolled: 4-line block ×3, first 2 shown]
	v_and_b32_e32 v2, 0xffff, v1
	v_lshrrev_b32_e32 v1, 16, v1
	;;#ASMSTART
	v_cvt_f32_f16 v57, v2;
	;;#ASMEND
	;;#ASMSTART
	v_cvt_f32_f16 v58, v1;
	;;#ASMEND
	global_load_b128 v[2:5], v[28:29], off offset:2560
	s_wait_loadcnt 0x0
	v_dual_lshrrev_b32 v1, 16, v3 :: v_dual_lshrrev_b32 v30, 16, v2
	v_lshrrev_b32_e32 v44, 16, v4
	s_and_saveexec_b32 s21, vcc_lo
	s_cbranch_execz .LBB80_62
; %bb.61:                               ;   in Loop: Header=BB80_49 Depth=1
	v_cmp_gt_i32_e64 s0, s31, v40
	v_and_b32_e32 v59, 0xffff, v5
	v_and_b32_e32 v5, 0xffff0000, v5
	s_delay_alu instid0(VALU_DEP_3) | instskip(SKIP_1) | instid1(VALU_DEP_1)
	v_cndmask_b32_e64 v2, 0, v2, s0
	v_cmp_gt_i32_e64 s0, s31, v42
	v_cndmask_b32_e64 v3, 0, v3, s0
	v_cmp_gt_i32_e64 s0, s14, v43
	s_delay_alu instid0(VALU_DEP_1) | instskip(SKIP_1) | instid1(VALU_DEP_1)
	v_cndmask_b32_e64 v1, 0, v1, s0
	v_cmp_gt_i32_e64 s0, s31, v41
	v_cndmask_b32_e64 v30, 0, v30, s0
	v_cmp_gt_i32_e64 s0, s31, v39
	s_delay_alu instid0(VALU_DEP_1) | instskip(SKIP_1) | instid1(VALU_DEP_1)
	;; [unrolled: 5-line block ×3, first 2 shown]
	v_dual_cndmask_b32 v4, 0, v4, s0 :: v_dual_bitop2_b32 v5, v59, v5 bitop3:0x54
	v_cmp_gt_i32_e64 s0, s31, v36
	v_cndmask_b32_e64 v44, 0, v44, s0
.LBB80_62:                              ;   in Loop: Header=BB80_49 Depth=1
	s_or_b32 exec_lo, exec_lo, s21
	v_dual_lshlrev_b32 v30, 16, v30 :: v_dual_lshlrev_b32 v1, 16, v1
	s_delay_alu instid0(VALU_DEP_2) | instskip(NEXT) | instid1(VALU_DEP_2)
	v_lshlrev_b32_e32 v44, 16, v44
	v_and_or_b32 v2, 0xffff, v2, v30
	s_delay_alu instid0(VALU_DEP_3) | instskip(NEXT) | instid1(VALU_DEP_3)
	v_and_or_b32 v1, 0xffff, v3, v1
	v_and_or_b32 v3, 0xffff, v4, v44
	;;#ASMSTART
	v_pk_mul_f16 v2, v46, v2;

	;;#ASMEND
	;;#ASMSTART
	v_pk_mul_f16 v1, v45, v1;

	;;#ASMEND
	;; [unrolled: 4-line block ×4, first 2 shown]
	;;#ASMSTART
	v_pk_add_f16 v1, v2, v1;

	;;#ASMEND
	;;#ASMSTART
	v_pk_add_f16 v1, v1, v3;

	;;#ASMEND
	;; [unrolled: 4-line block ×3, first 2 shown]
	v_and_b32_e32 v2, 0xffff, v1
	v_lshrrev_b32_e32 v1, 16, v1
	;;#ASMSTART
	v_cvt_f32_f16 v59, v2;
	;;#ASMEND
	;;#ASMSTART
	v_cvt_f32_f16 v60, v1;
	;;#ASMEND
	global_load_b128 v[2:5], v[28:29], off offset:3072
	s_wait_loadcnt 0x0
	v_dual_lshrrev_b32 v1, 16, v3 :: v_dual_lshrrev_b32 v30, 16, v2
	v_lshrrev_b32_e32 v44, 16, v4
	s_and_saveexec_b32 s21, vcc_lo
	s_cbranch_execz .LBB80_64
; %bb.63:                               ;   in Loop: Header=BB80_49 Depth=1
	v_cmp_gt_i32_e64 s0, s31, v40
	v_and_b32_e32 v61, 0xffff, v5
	v_and_b32_e32 v5, 0xffff0000, v5
	s_delay_alu instid0(VALU_DEP_3) | instskip(SKIP_1) | instid1(VALU_DEP_1)
	v_cndmask_b32_e64 v2, 0, v2, s0
	v_cmp_gt_i32_e64 s0, s31, v42
	v_cndmask_b32_e64 v3, 0, v3, s0
	v_cmp_gt_i32_e64 s0, s14, v43
	s_delay_alu instid0(VALU_DEP_1) | instskip(SKIP_1) | instid1(VALU_DEP_1)
	v_cndmask_b32_e64 v1, 0, v1, s0
	v_cmp_gt_i32_e64 s0, s31, v41
	v_cndmask_b32_e64 v30, 0, v30, s0
	v_cmp_gt_i32_e64 s0, s31, v39
	s_delay_alu instid0(VALU_DEP_1) | instskip(SKIP_1) | instid1(VALU_DEP_1)
	;; [unrolled: 5-line block ×3, first 2 shown]
	v_cndmask_b32_e64 v4, 0, v4, s0
	v_cmp_gt_i32_e64 s0, s31, v36
	v_dual_cndmask_b32 v44, 0, v44, s0 :: v_dual_bitop2_b32 v5, v61, v5 bitop3:0x54
.LBB80_64:                              ;   in Loop: Header=BB80_49 Depth=1
	s_or_b32 exec_lo, exec_lo, s21
	v_dual_lshlrev_b32 v30, 16, v30 :: v_dual_lshlrev_b32 v1, 16, v1
	s_delay_alu instid0(VALU_DEP_2) | instskip(NEXT) | instid1(VALU_DEP_2)
	v_lshlrev_b32_e32 v44, 16, v44
	v_and_or_b32 v2, 0xffff, v2, v30
	s_delay_alu instid0(VALU_DEP_3) | instskip(NEXT) | instid1(VALU_DEP_3)
	v_and_or_b32 v1, 0xffff, v3, v1
	v_and_or_b32 v3, 0xffff, v4, v44
	;;#ASMSTART
	v_pk_mul_f16 v2, v46, v2;

	;;#ASMEND
	;;#ASMSTART
	v_pk_mul_f16 v1, v45, v1;

	;;#ASMEND
	;; [unrolled: 4-line block ×4, first 2 shown]
	;;#ASMSTART
	v_pk_add_f16 v1, v2, v1;

	;;#ASMEND
	;;#ASMSTART
	v_pk_add_f16 v1, v1, v3;

	;;#ASMEND
	;; [unrolled: 4-line block ×3, first 2 shown]
	v_and_b32_e32 v2, 0xffff, v1
	v_lshrrev_b32_e32 v1, 16, v1
	;;#ASMSTART
	v_cvt_f32_f16 v61, v2;
	;;#ASMEND
	;;#ASMSTART
	v_cvt_f32_f16 v62, v1;
	;;#ASMEND
	global_load_b128 v[2:5], v[28:29], off offset:3584
	s_wait_loadcnt 0x0
	v_dual_lshrrev_b32 v1, 16, v3 :: v_dual_lshrrev_b32 v30, 16, v2
	v_lshrrev_b32_e32 v44, 16, v4
	s_and_saveexec_b32 s21, vcc_lo
	s_cbranch_execz .LBB80_66
; %bb.65:                               ;   in Loop: Header=BB80_49 Depth=1
	v_cmp_gt_i32_e64 s0, s31, v40
	v_and_b32_e32 v63, 0xffff, v5
	v_and_b32_e32 v5, 0xffff0000, v5
	s_delay_alu instid0(VALU_DEP_3) | instskip(SKIP_1) | instid1(VALU_DEP_1)
	v_cndmask_b32_e64 v2, 0, v2, s0
	v_cmp_gt_i32_e64 s0, s31, v42
	v_cndmask_b32_e64 v3, 0, v3, s0
	v_cmp_gt_i32_e64 s0, s14, v43
	s_delay_alu instid0(VALU_DEP_1) | instskip(SKIP_1) | instid1(VALU_DEP_1)
	v_cndmask_b32_e64 v1, 0, v1, s0
	v_cmp_gt_i32_e64 s0, s31, v41
	v_cndmask_b32_e64 v30, 0, v30, s0
	v_cmp_gt_i32_e64 s0, s31, v39
	s_delay_alu instid0(VALU_DEP_1) | instskip(SKIP_1) | instid1(VALU_DEP_1)
	;; [unrolled: 5-line block ×3, first 2 shown]
	v_dual_cndmask_b32 v4, 0, v4, s0 :: v_dual_bitop2_b32 v5, v63, v5 bitop3:0x54
	v_cmp_gt_i32_e64 s0, s31, v36
	v_cndmask_b32_e64 v44, 0, v44, s0
.LBB80_66:                              ;   in Loop: Header=BB80_49 Depth=1
	s_or_b32 exec_lo, exec_lo, s21
	v_dual_lshlrev_b32 v30, 16, v30 :: v_dual_lshlrev_b32 v1, 16, v1
	s_delay_alu instid0(VALU_DEP_2) | instskip(NEXT) | instid1(VALU_DEP_2)
	v_lshlrev_b32_e32 v44, 16, v44
	v_and_or_b32 v2, 0xffff, v2, v30
	s_delay_alu instid0(VALU_DEP_3) | instskip(NEXT) | instid1(VALU_DEP_3)
	v_and_or_b32 v1, 0xffff, v3, v1
	v_and_or_b32 v3, 0xffff, v4, v44
	;;#ASMSTART
	v_pk_mul_f16 v2, v46, v2;

	;;#ASMEND
	;;#ASMSTART
	v_pk_mul_f16 v1, v45, v1;

	;;#ASMEND
	;; [unrolled: 4-line block ×4, first 2 shown]
	;;#ASMSTART
	v_pk_add_f16 v1, v2, v1;

	;;#ASMEND
	;;#ASMSTART
	v_pk_add_f16 v1, v1, v3;

	;;#ASMEND
	;; [unrolled: 4-line block ×3, first 2 shown]
	v_and_b32_e32 v2, 0xffff, v1
	v_lshrrev_b32_e32 v1, 16, v1
	;;#ASMSTART
	v_cvt_f32_f16 v63, v2;
	;;#ASMEND
	;;#ASMSTART
	v_cvt_f32_f16 v64, v1;
	;;#ASMEND
	global_load_b128 v[2:5], v[28:29], off offset:4096
	s_wait_loadcnt 0x0
	v_dual_lshrrev_b32 v1, 16, v3 :: v_dual_lshrrev_b32 v30, 16, v2
	v_lshrrev_b32_e32 v44, 16, v4
	s_and_saveexec_b32 s21, vcc_lo
	s_cbranch_execz .LBB80_68
; %bb.67:                               ;   in Loop: Header=BB80_49 Depth=1
	v_cmp_gt_i32_e64 s0, s31, v40
	v_and_b32_e32 v65, 0xffff, v5
	v_and_b32_e32 v5, 0xffff0000, v5
	s_delay_alu instid0(VALU_DEP_3) | instskip(SKIP_1) | instid1(VALU_DEP_1)
	v_cndmask_b32_e64 v2, 0, v2, s0
	v_cmp_gt_i32_e64 s0, s31, v42
	v_cndmask_b32_e64 v3, 0, v3, s0
	v_cmp_gt_i32_e64 s0, s14, v43
	s_delay_alu instid0(VALU_DEP_1) | instskip(SKIP_1) | instid1(VALU_DEP_1)
	v_cndmask_b32_e64 v1, 0, v1, s0
	v_cmp_gt_i32_e64 s0, s31, v41
	v_cndmask_b32_e64 v30, 0, v30, s0
	v_cmp_gt_i32_e64 s0, s31, v39
	s_delay_alu instid0(VALU_DEP_1) | instskip(SKIP_1) | instid1(VALU_DEP_1)
	;; [unrolled: 5-line block ×3, first 2 shown]
	v_cndmask_b32_e64 v4, 0, v4, s0
	v_cmp_gt_i32_e64 s0, s31, v36
	v_dual_cndmask_b32 v44, 0, v44, s0 :: v_dual_bitop2_b32 v5, v65, v5 bitop3:0x54
.LBB80_68:                              ;   in Loop: Header=BB80_49 Depth=1
	s_or_b32 exec_lo, exec_lo, s21
	v_dual_lshlrev_b32 v30, 16, v30 :: v_dual_lshlrev_b32 v1, 16, v1
	s_delay_alu instid0(VALU_DEP_2) | instskip(NEXT) | instid1(VALU_DEP_2)
	v_lshlrev_b32_e32 v44, 16, v44
	v_and_or_b32 v2, 0xffff, v2, v30
	s_delay_alu instid0(VALU_DEP_3) | instskip(NEXT) | instid1(VALU_DEP_3)
	v_and_or_b32 v1, 0xffff, v3, v1
	v_and_or_b32 v3, 0xffff, v4, v44
	;;#ASMSTART
	v_pk_mul_f16 v2, v46, v2;

	;;#ASMEND
	;;#ASMSTART
	v_pk_mul_f16 v1, v45, v1;

	;;#ASMEND
	;; [unrolled: 4-line block ×4, first 2 shown]
	;;#ASMSTART
	v_pk_add_f16 v1, v2, v1;

	;;#ASMEND
	;;#ASMSTART
	v_pk_add_f16 v1, v1, v3;

	;;#ASMEND
	;; [unrolled: 4-line block ×3, first 2 shown]
	v_and_b32_e32 v2, 0xffff, v1
	v_lshrrev_b32_e32 v1, 16, v1
	;;#ASMSTART
	v_cvt_f32_f16 v65, v2;
	;;#ASMEND
	;;#ASMSTART
	v_cvt_f32_f16 v66, v1;
	;;#ASMEND
	global_load_b128 v[2:5], v[28:29], off offset:4608
	s_wait_loadcnt 0x0
	v_dual_lshrrev_b32 v1, 16, v3 :: v_dual_lshrrev_b32 v30, 16, v2
	v_lshrrev_b32_e32 v44, 16, v4
	s_and_saveexec_b32 s21, vcc_lo
	s_cbranch_execz .LBB80_70
; %bb.69:                               ;   in Loop: Header=BB80_49 Depth=1
	v_cmp_gt_i32_e64 s0, s31, v40
	v_and_b32_e32 v67, 0xffff, v5
	v_and_b32_e32 v5, 0xffff0000, v5
	s_delay_alu instid0(VALU_DEP_3) | instskip(SKIP_1) | instid1(VALU_DEP_1)
	v_cndmask_b32_e64 v2, 0, v2, s0
	v_cmp_gt_i32_e64 s0, s31, v42
	v_cndmask_b32_e64 v3, 0, v3, s0
	v_cmp_gt_i32_e64 s0, s14, v43
	s_delay_alu instid0(VALU_DEP_1) | instskip(SKIP_1) | instid1(VALU_DEP_1)
	v_cndmask_b32_e64 v1, 0, v1, s0
	v_cmp_gt_i32_e64 s0, s31, v41
	v_cndmask_b32_e64 v30, 0, v30, s0
	v_cmp_gt_i32_e64 s0, s31, v39
	s_delay_alu instid0(VALU_DEP_1) | instskip(SKIP_1) | instid1(VALU_DEP_1)
	;; [unrolled: 5-line block ×3, first 2 shown]
	v_dual_cndmask_b32 v4, 0, v4, s0 :: v_dual_bitop2_b32 v5, v67, v5 bitop3:0x54
	v_cmp_gt_i32_e64 s0, s31, v36
	v_cndmask_b32_e64 v44, 0, v44, s0
.LBB80_70:                              ;   in Loop: Header=BB80_49 Depth=1
	s_or_b32 exec_lo, exec_lo, s21
	v_dual_lshlrev_b32 v30, 16, v30 :: v_dual_lshlrev_b32 v1, 16, v1
	s_delay_alu instid0(VALU_DEP_2) | instskip(NEXT) | instid1(VALU_DEP_2)
	v_lshlrev_b32_e32 v44, 16, v44
	v_and_or_b32 v2, 0xffff, v2, v30
	s_delay_alu instid0(VALU_DEP_3) | instskip(NEXT) | instid1(VALU_DEP_3)
	v_and_or_b32 v1, 0xffff, v3, v1
	v_and_or_b32 v3, 0xffff, v4, v44
	;;#ASMSTART
	v_pk_mul_f16 v2, v46, v2;

	;;#ASMEND
	;;#ASMSTART
	v_pk_mul_f16 v1, v45, v1;

	;;#ASMEND
	;; [unrolled: 4-line block ×4, first 2 shown]
	;;#ASMSTART
	v_pk_add_f16 v1, v2, v1;

	;;#ASMEND
	;;#ASMSTART
	v_pk_add_f16 v1, v1, v3;

	;;#ASMEND
	;; [unrolled: 4-line block ×3, first 2 shown]
	v_and_b32_e32 v2, 0xffff, v1
	v_lshrrev_b32_e32 v1, 16, v1
	;;#ASMSTART
	v_cvt_f32_f16 v67, v2;
	;;#ASMEND
	;;#ASMSTART
	v_cvt_f32_f16 v68, v1;
	;;#ASMEND
	global_load_b128 v[2:5], v[28:29], off offset:5120
	s_wait_loadcnt 0x0
	v_dual_lshrrev_b32 v1, 16, v3 :: v_dual_lshrrev_b32 v30, 16, v2
	v_lshrrev_b32_e32 v44, 16, v4
	s_and_saveexec_b32 s21, vcc_lo
	s_cbranch_execz .LBB80_72
; %bb.71:                               ;   in Loop: Header=BB80_49 Depth=1
	v_cmp_gt_i32_e64 s0, s31, v40
	v_and_b32_e32 v69, 0xffff, v5
	v_and_b32_e32 v5, 0xffff0000, v5
	s_delay_alu instid0(VALU_DEP_3) | instskip(SKIP_1) | instid1(VALU_DEP_1)
	v_cndmask_b32_e64 v2, 0, v2, s0
	v_cmp_gt_i32_e64 s0, s31, v42
	v_cndmask_b32_e64 v3, 0, v3, s0
	v_cmp_gt_i32_e64 s0, s14, v43
	s_delay_alu instid0(VALU_DEP_1) | instskip(SKIP_1) | instid1(VALU_DEP_1)
	v_cndmask_b32_e64 v1, 0, v1, s0
	v_cmp_gt_i32_e64 s0, s31, v41
	v_cndmask_b32_e64 v30, 0, v30, s0
	v_cmp_gt_i32_e64 s0, s31, v39
	s_delay_alu instid0(VALU_DEP_1) | instskip(SKIP_1) | instid1(VALU_DEP_1)
	;; [unrolled: 5-line block ×3, first 2 shown]
	v_cndmask_b32_e64 v4, 0, v4, s0
	v_cmp_gt_i32_e64 s0, s31, v36
	v_dual_cndmask_b32 v44, 0, v44, s0 :: v_dual_bitop2_b32 v5, v69, v5 bitop3:0x54
.LBB80_72:                              ;   in Loop: Header=BB80_49 Depth=1
	s_or_b32 exec_lo, exec_lo, s21
	v_dual_lshlrev_b32 v30, 16, v30 :: v_dual_lshlrev_b32 v1, 16, v1
	s_delay_alu instid0(VALU_DEP_2) | instskip(NEXT) | instid1(VALU_DEP_2)
	v_lshlrev_b32_e32 v44, 16, v44
	v_and_or_b32 v2, 0xffff, v2, v30
	s_delay_alu instid0(VALU_DEP_3) | instskip(NEXT) | instid1(VALU_DEP_3)
	v_and_or_b32 v1, 0xffff, v3, v1
	v_and_or_b32 v3, 0xffff, v4, v44
	;;#ASMSTART
	v_pk_mul_f16 v2, v46, v2;

	;;#ASMEND
	;;#ASMSTART
	v_pk_mul_f16 v1, v45, v1;

	;;#ASMEND
	;; [unrolled: 4-line block ×4, first 2 shown]
	;;#ASMSTART
	v_pk_add_f16 v1, v2, v1;

	;;#ASMEND
	;;#ASMSTART
	v_pk_add_f16 v1, v1, v3;

	;;#ASMEND
	;;#ASMSTART
	v_pk_add_f16 v1, v1, v4;

	;;#ASMEND
	v_and_b32_e32 v2, 0xffff, v1
	v_lshrrev_b32_e32 v1, 16, v1
	;;#ASMSTART
	v_cvt_f32_f16 v69, v2;
	;;#ASMEND
	;;#ASMSTART
	v_cvt_f32_f16 v70, v1;
	;;#ASMEND
	global_load_b128 v[2:5], v[28:29], off offset:5632
	s_wait_loadcnt 0x0
	v_dual_lshrrev_b32 v1, 16, v3 :: v_dual_lshrrev_b32 v30, 16, v2
	v_lshrrev_b32_e32 v44, 16, v4
	s_and_saveexec_b32 s21, vcc_lo
	s_cbranch_execz .LBB80_74
; %bb.73:                               ;   in Loop: Header=BB80_49 Depth=1
	v_cmp_gt_i32_e64 s0, s31, v40
	v_and_b32_e32 v71, 0xffff, v5
	v_and_b32_e32 v5, 0xffff0000, v5
	s_delay_alu instid0(VALU_DEP_3) | instskip(SKIP_1) | instid1(VALU_DEP_1)
	v_cndmask_b32_e64 v2, 0, v2, s0
	v_cmp_gt_i32_e64 s0, s31, v42
	v_cndmask_b32_e64 v3, 0, v3, s0
	v_cmp_gt_i32_e64 s0, s14, v43
	s_delay_alu instid0(VALU_DEP_1) | instskip(SKIP_1) | instid1(VALU_DEP_1)
	v_cndmask_b32_e64 v1, 0, v1, s0
	v_cmp_gt_i32_e64 s0, s31, v41
	v_cndmask_b32_e64 v30, 0, v30, s0
	v_cmp_gt_i32_e64 s0, s31, v39
	s_delay_alu instid0(VALU_DEP_1) | instskip(SKIP_1) | instid1(VALU_DEP_1)
	;; [unrolled: 5-line block ×3, first 2 shown]
	v_dual_cndmask_b32 v4, 0, v4, s0 :: v_dual_bitop2_b32 v5, v71, v5 bitop3:0x54
	v_cmp_gt_i32_e64 s0, s31, v36
	v_cndmask_b32_e64 v44, 0, v44, s0
.LBB80_74:                              ;   in Loop: Header=BB80_49 Depth=1
	s_or_b32 exec_lo, exec_lo, s21
	v_dual_lshlrev_b32 v30, 16, v30 :: v_dual_lshlrev_b32 v1, 16, v1
	s_delay_alu instid0(VALU_DEP_2) | instskip(NEXT) | instid1(VALU_DEP_2)
	v_lshlrev_b32_e32 v44, 16, v44
	v_and_or_b32 v2, 0xffff, v2, v30
	s_delay_alu instid0(VALU_DEP_3) | instskip(NEXT) | instid1(VALU_DEP_3)
	v_and_or_b32 v1, 0xffff, v3, v1
	v_and_or_b32 v3, 0xffff, v4, v44
	;;#ASMSTART
	v_pk_mul_f16 v2, v46, v2;

	;;#ASMEND
	;;#ASMSTART
	v_pk_mul_f16 v1, v45, v1;

	;;#ASMEND
	;;#ASMSTART
	v_pk_mul_f16 v3, v47, v3;

	;;#ASMEND
	;;#ASMSTART
	v_pk_mul_f16 v4, v48, v5;

	;;#ASMEND
	;;#ASMSTART
	v_pk_add_f16 v1, v2, v1;

	;;#ASMEND
	;;#ASMSTART
	v_pk_add_f16 v1, v1, v3;

	;;#ASMEND
	;; [unrolled: 4-line block ×3, first 2 shown]
	v_and_b32_e32 v2, 0xffff, v1
	v_lshrrev_b32_e32 v1, 16, v1
	;;#ASMSTART
	v_cvt_f32_f16 v71, v2;
	;;#ASMEND
	;;#ASMSTART
	v_cvt_f32_f16 v72, v1;
	;;#ASMEND
	global_load_b128 v[2:5], v[28:29], off offset:6144
	s_wait_loadcnt 0x0
	v_dual_lshrrev_b32 v1, 16, v3 :: v_dual_lshrrev_b32 v30, 16, v2
	v_lshrrev_b32_e32 v44, 16, v4
	s_and_saveexec_b32 s21, vcc_lo
	s_cbranch_execz .LBB80_76
; %bb.75:                               ;   in Loop: Header=BB80_49 Depth=1
	v_cmp_gt_i32_e64 s0, s31, v40
	v_and_b32_e32 v73, 0xffff, v5
	v_and_b32_e32 v5, 0xffff0000, v5
	s_delay_alu instid0(VALU_DEP_3) | instskip(SKIP_1) | instid1(VALU_DEP_1)
	v_cndmask_b32_e64 v2, 0, v2, s0
	v_cmp_gt_i32_e64 s0, s31, v42
	v_cndmask_b32_e64 v3, 0, v3, s0
	v_cmp_gt_i32_e64 s0, s14, v43
	s_delay_alu instid0(VALU_DEP_1) | instskip(SKIP_1) | instid1(VALU_DEP_1)
	v_cndmask_b32_e64 v1, 0, v1, s0
	v_cmp_gt_i32_e64 s0, s31, v41
	v_cndmask_b32_e64 v30, 0, v30, s0
	v_cmp_gt_i32_e64 s0, s31, v39
	s_delay_alu instid0(VALU_DEP_1) | instskip(SKIP_1) | instid1(VALU_DEP_1)
	;; [unrolled: 5-line block ×3, first 2 shown]
	v_cndmask_b32_e64 v4, 0, v4, s0
	v_cmp_gt_i32_e64 s0, s31, v36
	v_dual_cndmask_b32 v44, 0, v44, s0 :: v_dual_bitop2_b32 v5, v73, v5 bitop3:0x54
.LBB80_76:                              ;   in Loop: Header=BB80_49 Depth=1
	s_or_b32 exec_lo, exec_lo, s21
	v_dual_lshlrev_b32 v30, 16, v30 :: v_dual_lshlrev_b32 v1, 16, v1
	s_delay_alu instid0(VALU_DEP_2) | instskip(NEXT) | instid1(VALU_DEP_2)
	v_lshlrev_b32_e32 v44, 16, v44
	v_and_or_b32 v2, 0xffff, v2, v30
	s_delay_alu instid0(VALU_DEP_3) | instskip(NEXT) | instid1(VALU_DEP_3)
	v_and_or_b32 v1, 0xffff, v3, v1
	v_and_or_b32 v3, 0xffff, v4, v44
	;;#ASMSTART
	v_pk_mul_f16 v2, v46, v2;

	;;#ASMEND
	;;#ASMSTART
	v_pk_mul_f16 v1, v45, v1;

	;;#ASMEND
	;; [unrolled: 4-line block ×4, first 2 shown]
	;;#ASMSTART
	v_pk_add_f16 v1, v2, v1;

	;;#ASMEND
	;;#ASMSTART
	v_pk_add_f16 v1, v1, v3;

	;;#ASMEND
	;; [unrolled: 4-line block ×3, first 2 shown]
	v_and_b32_e32 v2, 0xffff, v1
	v_lshrrev_b32_e32 v1, 16, v1
	;;#ASMSTART
	v_cvt_f32_f16 v73, v2;
	;;#ASMEND
	;;#ASMSTART
	v_cvt_f32_f16 v77, v1;
	;;#ASMEND
	global_load_b128 v[2:5], v[28:29], off offset:6656
	s_wait_loadcnt 0x0
	v_dual_lshrrev_b32 v1, 16, v3 :: v_dual_lshrrev_b32 v30, 16, v2
	v_lshrrev_b32_e32 v44, 16, v4
	s_and_saveexec_b32 s21, vcc_lo
	s_cbranch_execz .LBB80_78
; %bb.77:                               ;   in Loop: Header=BB80_49 Depth=1
	v_cmp_gt_i32_e64 s0, s31, v40
	v_and_b32_e32 v78, 0xffff, v5
	v_and_b32_e32 v5, 0xffff0000, v5
	s_delay_alu instid0(VALU_DEP_3) | instskip(SKIP_1) | instid1(VALU_DEP_1)
	v_cndmask_b32_e64 v2, 0, v2, s0
	v_cmp_gt_i32_e64 s0, s31, v42
	v_cndmask_b32_e64 v3, 0, v3, s0
	v_cmp_gt_i32_e64 s0, s14, v43
	s_delay_alu instid0(VALU_DEP_1) | instskip(SKIP_1) | instid1(VALU_DEP_1)
	v_cndmask_b32_e64 v1, 0, v1, s0
	v_cmp_gt_i32_e64 s0, s31, v41
	v_cndmask_b32_e64 v30, 0, v30, s0
	v_cmp_gt_i32_e64 s0, s31, v39
	s_delay_alu instid0(VALU_DEP_1) | instskip(SKIP_1) | instid1(VALU_DEP_1)
	;; [unrolled: 5-line block ×3, first 2 shown]
	v_dual_cndmask_b32 v4, 0, v4, s0 :: v_dual_bitop2_b32 v5, v78, v5 bitop3:0x54
	v_cmp_gt_i32_e64 s0, s31, v36
	v_cndmask_b32_e64 v44, 0, v44, s0
.LBB80_78:                              ;   in Loop: Header=BB80_49 Depth=1
	s_or_b32 exec_lo, exec_lo, s21
	v_dual_lshlrev_b32 v30, 16, v30 :: v_dual_lshlrev_b32 v1, 16, v1
	s_delay_alu instid0(VALU_DEP_2) | instskip(NEXT) | instid1(VALU_DEP_2)
	v_lshlrev_b32_e32 v44, 16, v44
	v_and_or_b32 v2, 0xffff, v2, v30
	s_delay_alu instid0(VALU_DEP_3) | instskip(NEXT) | instid1(VALU_DEP_3)
	v_and_or_b32 v1, 0xffff, v3, v1
	v_and_or_b32 v3, 0xffff, v4, v44
	;;#ASMSTART
	v_pk_mul_f16 v2, v46, v2;

	;;#ASMEND
	;;#ASMSTART
	v_pk_mul_f16 v1, v45, v1;

	;;#ASMEND
	;; [unrolled: 4-line block ×4, first 2 shown]
	;;#ASMSTART
	v_pk_add_f16 v1, v2, v1;

	;;#ASMEND
	;;#ASMSTART
	v_pk_add_f16 v1, v1, v3;

	;;#ASMEND
	;; [unrolled: 4-line block ×3, first 2 shown]
	v_and_b32_e32 v2, 0xffff, v1
	v_lshrrev_b32_e32 v1, 16, v1
	;;#ASMSTART
	v_cvt_f32_f16 v78, v2;
	;;#ASMEND
	;;#ASMSTART
	v_cvt_f32_f16 v79, v1;
	;;#ASMEND
	global_load_b128 v[2:5], v[28:29], off offset:7168
	s_wait_loadcnt 0x0
	v_dual_lshrrev_b32 v1, 16, v3 :: v_dual_lshrrev_b32 v30, 16, v2
	v_lshrrev_b32_e32 v44, 16, v4
	s_and_saveexec_b32 s21, vcc_lo
	s_cbranch_execz .LBB80_80
; %bb.79:                               ;   in Loop: Header=BB80_49 Depth=1
	v_cmp_gt_i32_e64 s0, s31, v40
	v_and_b32_e32 v80, 0xffff, v5
	v_and_b32_e32 v5, 0xffff0000, v5
	s_delay_alu instid0(VALU_DEP_3) | instskip(SKIP_1) | instid1(VALU_DEP_1)
	v_cndmask_b32_e64 v2, 0, v2, s0
	v_cmp_gt_i32_e64 s0, s31, v42
	v_cndmask_b32_e64 v3, 0, v3, s0
	v_cmp_gt_i32_e64 s0, s14, v43
	s_delay_alu instid0(VALU_DEP_1) | instskip(SKIP_1) | instid1(VALU_DEP_1)
	v_cndmask_b32_e64 v1, 0, v1, s0
	v_cmp_gt_i32_e64 s0, s31, v41
	v_cndmask_b32_e64 v30, 0, v30, s0
	v_cmp_gt_i32_e64 s0, s31, v39
	s_delay_alu instid0(VALU_DEP_1) | instskip(SKIP_1) | instid1(VALU_DEP_1)
	;; [unrolled: 5-line block ×3, first 2 shown]
	v_dual_cndmask_b32 v4, 0, v4, s0 :: v_dual_bitop2_b32 v5, v80, v5 bitop3:0x54
	v_cmp_gt_i32_e64 s0, s31, v36
	v_cndmask_b32_e64 v44, 0, v44, s0
.LBB80_80:                              ;   in Loop: Header=BB80_49 Depth=1
	s_or_b32 exec_lo, exec_lo, s21
	v_dual_lshlrev_b32 v30, 16, v30 :: v_dual_lshlrev_b32 v1, 16, v1
	s_delay_alu instid0(VALU_DEP_2) | instskip(NEXT) | instid1(VALU_DEP_2)
	v_lshlrev_b32_e32 v44, 16, v44
	v_and_or_b32 v2, 0xffff, v2, v30
	s_delay_alu instid0(VALU_DEP_3) | instskip(NEXT) | instid1(VALU_DEP_3)
	v_and_or_b32 v1, 0xffff, v3, v1
	v_and_or_b32 v3, 0xffff, v4, v44
	;;#ASMSTART
	v_pk_mul_f16 v2, v46, v2;

	;;#ASMEND
	;;#ASMSTART
	v_pk_mul_f16 v1, v45, v1;

	;;#ASMEND
	;; [unrolled: 4-line block ×4, first 2 shown]
	;;#ASMSTART
	v_pk_add_f16 v1, v2, v1;

	;;#ASMEND
	;;#ASMSTART
	v_pk_add_f16 v1, v1, v3;

	;;#ASMEND
	;; [unrolled: 4-line block ×3, first 2 shown]
	v_and_b32_e32 v2, 0xffff, v1
	v_lshrrev_b32_e32 v1, 16, v1
	;;#ASMSTART
	v_cvt_f32_f16 v30, v2;
	;;#ASMEND
	;;#ASMSTART
	v_cvt_f32_f16 v44, v1;
	;;#ASMEND
	global_load_b128 v[2:5], v[28:29], off offset:7680
	s_wait_loadcnt 0x0
	v_dual_lshrrev_b32 v1, 16, v3 :: v_dual_lshrrev_b32 v28, 16, v2
	v_lshrrev_b32_e32 v29, 16, v4
	s_and_saveexec_b32 s0, vcc_lo
	s_cbranch_execz .LBB80_47
; %bb.81:                               ;   in Loop: Header=BB80_49 Depth=1
	v_cmp_gt_i32_e32 vcc_lo, s31, v40
	v_and_b32_e32 v40, 0xffff, v5
	v_and_b32_e32 v5, 0xffff0000, v5
	v_cndmask_b32_e32 v2, 0, v2, vcc_lo
	v_cmp_gt_i32_e32 vcc_lo, s31, v42
	v_cndmask_b32_e32 v3, 0, v3, vcc_lo
	v_cmp_gt_i32_e32 vcc_lo, s14, v43
	;; [unrolled: 2-line block ×6, first 2 shown]
	s_delay_alu instid0(VALU_DEP_2)
	v_dual_cndmask_b32 v4, 0, v4, vcc_lo :: v_dual_bitop2_b32 v5, v39, v5 bitop3:0x54
	v_cmp_gt_i32_e32 vcc_lo, s31, v36
	v_cndmask_b32_e32 v29, 0, v29, vcc_lo
	s_branch .LBB80_47
.LBB80_82:
	s_or_b32 exec_lo, exec_lo, s15
.LBB80_83:
	s_delay_alu instid0(SALU_CYCLE_1)
	s_or_b32 exec_lo, exec_lo, s1
	ds_bpermute_b32 v2, v32, v22
	ds_bpermute_b32 v3, v32, v23
	ds_bpermute_b32 v4, v32, v20
	ds_bpermute_b32 v5, v32, v21
	ds_bpermute_b32 v6, v32, v18
	ds_bpermute_b32 v7, v32, v19
	ds_bpermute_b32 v26, v32, v16
	ds_bpermute_b32 v27, v32, v17
	ds_bpermute_b32 v28, v32, v14
	ds_bpermute_b32 v29, v32, v15
	ds_bpermute_b32 v34, v32, v12
	ds_bpermute_b32 v35, v32, v13
	ds_bpermute_b32 v36, v32, v10
	ds_bpermute_b32 v37, v32, v11
	v_and_b32_e32 v30, 0x3c1, v0
	v_lshrrev_b32_e32 v1, 1, v31
	s_mov_b32 s0, exec_lo
	ds_bpermute_b32 v24, v32, v8
	ds_bpermute_b32 v25, v32, v9
	s_wait_dscnt 0x0
	s_barrier_signal -1
	v_pk_add_f32 v[22:23], v[22:23], v[2:3]
	s_barrier_wait -1
	v_pk_add_f32 v[20:21], v[20:21], v[4:5]
	v_pk_add_f32 v[18:19], v[18:19], v[6:7]
	;; [unrolled: 1-line block ×6, first 2 shown]
	v_cmpx_ne_u32_e32 64, v30
	s_xor_b32 s0, exec_lo, s0
	s_delay_alu instid0(SALU_CYCLE_1)
	s_or_saveexec_b32 s0, s0
	v_pk_add_f32 v[8:9], v[8:9], v[24:25]
	v_lshl_add_u32 v10, v1, 2, 0x220
	v_lshlrev_b32_e32 v11, 10, v76
	s_xor_b32 exec_lo, exec_lo, s0
	s_cbranch_execz .LBB80_85
; %bb.84:
	s_delay_alu instid0(VALU_DEP_1) | instskip(NEXT) | instid1(VALU_DEP_1)
	v_add_nc_u32_e32 v12, v10, v11
	v_add_nc_u32_e32 v13, 0xfffff800, v12
	;; [unrolled: 1-line block ×9, first 2 shown]
	ds_store_b32 v13, v22
	ds_store_b32 v14, v23
	;; [unrolled: 1-line block ×8, first 2 shown]
	v_add_nc_u32_e32 v13, 0xfffffa00, v12
	v_add_nc_u32_e32 v14, 0xfffffa40, v12
	;; [unrolled: 1-line block ×8, first 2 shown]
	ds_store_b32 v13, v6
	ds_store_b32 v14, v7
	;; [unrolled: 1-line block ×8, first 2 shown]
.LBB80_85:
	s_or_b32 exec_lo, exec_lo, s0
	v_lshlrev_b32_e32 v1, 2, v1
	v_cmp_eq_u32_e32 vcc_lo, 0, v75
	s_wait_dscnt 0x0
	s_barrier_signal -1
	s_barrier_wait -1
	v_add3_u32 v1, 0x220, v11, v1
	s_and_saveexec_b32 s0, s2
	s_cbranch_execz .LBB80_104
; %bb.86:
	s_and_saveexec_b32 s1, vcc_lo
	s_cbranch_execnz .LBB80_128
; %bb.87:
	s_or_b32 exec_lo, exec_lo, s1
	s_and_saveexec_b32 s1, vcc_lo
	s_cbranch_execnz .LBB80_129
.LBB80_88:
	s_or_b32 exec_lo, exec_lo, s1
	s_and_saveexec_b32 s1, vcc_lo
	s_cbranch_execnz .LBB80_130
.LBB80_89:
	s_or_b32 exec_lo, exec_lo, s1
	s_and_saveexec_b32 s1, vcc_lo
	s_cbranch_execnz .LBB80_131
.LBB80_90:
	s_or_b32 exec_lo, exec_lo, s1
	s_and_saveexec_b32 s1, vcc_lo
	s_cbranch_execnz .LBB80_132
.LBB80_91:
	s_or_b32 exec_lo, exec_lo, s1
	s_and_saveexec_b32 s1, vcc_lo
	s_cbranch_execnz .LBB80_133
.LBB80_92:
	s_or_b32 exec_lo, exec_lo, s1
	s_and_saveexec_b32 s1, vcc_lo
	s_cbranch_execnz .LBB80_134
.LBB80_93:
	s_or_b32 exec_lo, exec_lo, s1
	s_and_saveexec_b32 s1, vcc_lo
	s_cbranch_execnz .LBB80_135
.LBB80_94:
	s_or_b32 exec_lo, exec_lo, s1
	s_and_saveexec_b32 s1, vcc_lo
	s_cbranch_execnz .LBB80_136
.LBB80_95:
	s_or_b32 exec_lo, exec_lo, s1
	s_and_saveexec_b32 s1, vcc_lo
	s_cbranch_execnz .LBB80_137
.LBB80_96:
	s_or_b32 exec_lo, exec_lo, s1
	s_and_saveexec_b32 s1, vcc_lo
	s_cbranch_execnz .LBB80_138
.LBB80_97:
	s_or_b32 exec_lo, exec_lo, s1
	s_and_saveexec_b32 s1, vcc_lo
	s_cbranch_execnz .LBB80_139
.LBB80_98:
	s_or_b32 exec_lo, exec_lo, s1
	s_and_saveexec_b32 s1, vcc_lo
	s_cbranch_execnz .LBB80_140
.LBB80_99:
	s_or_b32 exec_lo, exec_lo, s1
	s_and_saveexec_b32 s1, vcc_lo
	s_cbranch_execnz .LBB80_141
.LBB80_100:
	s_or_b32 exec_lo, exec_lo, s1
	s_and_saveexec_b32 s1, vcc_lo
	s_cbranch_execnz .LBB80_142
.LBB80_101:
	s_or_b32 exec_lo, exec_lo, s1
	s_and_saveexec_b32 s1, vcc_lo
	s_cbranch_execz .LBB80_103
.LBB80_102:
	ds_load_b32 v11, v1 offset:960
	s_wait_dscnt 0x0
	v_add_f32_e32 v9, v9, v11
.LBB80_103:
	s_or_b32 exec_lo, exec_lo, s1
.LBB80_104:
	s_delay_alu instid0(SALU_CYCLE_1) | instskip(SKIP_4) | instid1(VALU_DEP_1)
	s_or_b32 exec_lo, exec_lo, s0
	v_and_b32_e32 v11, 0x3e1, v0
	s_mov_b32 s1, exec_lo
	s_barrier_signal -1
	s_barrier_wait -1
	v_cmpx_eq_u32_e32 32, v11
	s_cbranch_execz .LBB80_106
; %bb.105:
	ds_store_2addr_b32 v10, v22, v23 offset1:16
	ds_store_2addr_b32 v10, v20, v21 offset0:32 offset1:48
	ds_store_2addr_b32 v10, v18, v19 offset0:64 offset1:80
	;; [unrolled: 1-line block ×7, first 2 shown]
.LBB80_106:
	s_or_b32 exec_lo, exec_lo, s1
	s_delay_alu instid0(SALU_CYCLE_1)
	s_mov_b32 s1, exec_lo
	s_wait_dscnt 0x0
	s_barrier_signal -1
	s_barrier_wait -1
	v_cmpx_gt_u32_e32 32, v0
	s_cbranch_execz .LBB80_125
; %bb.107:
	s_and_saveexec_b32 s0, vcc_lo
	s_cbranch_execnz .LBB80_143
; %bb.108:
	s_or_b32 exec_lo, exec_lo, s0
	s_and_saveexec_b32 s0, vcc_lo
	s_cbranch_execnz .LBB80_144
.LBB80_109:
	s_or_b32 exec_lo, exec_lo, s0
	s_and_saveexec_b32 s0, vcc_lo
	s_cbranch_execnz .LBB80_145
.LBB80_110:
	s_or_b32 exec_lo, exec_lo, s0
	s_and_saveexec_b32 s0, vcc_lo
	s_cbranch_execnz .LBB80_146
.LBB80_111:
	s_or_b32 exec_lo, exec_lo, s0
	s_and_saveexec_b32 s0, vcc_lo
	s_cbranch_execnz .LBB80_147
.LBB80_112:
	s_or_b32 exec_lo, exec_lo, s0
	s_and_saveexec_b32 s0, vcc_lo
	s_cbranch_execnz .LBB80_148
.LBB80_113:
	s_or_b32 exec_lo, exec_lo, s0
	s_and_saveexec_b32 s0, vcc_lo
	s_cbranch_execnz .LBB80_149
.LBB80_114:
	s_or_b32 exec_lo, exec_lo, s0
	s_and_saveexec_b32 s0, vcc_lo
	s_cbranch_execnz .LBB80_150
.LBB80_115:
	s_or_b32 exec_lo, exec_lo, s0
	s_and_saveexec_b32 s0, vcc_lo
	s_cbranch_execnz .LBB80_151
.LBB80_116:
	s_or_b32 exec_lo, exec_lo, s0
	s_and_saveexec_b32 s0, vcc_lo
	s_cbranch_execnz .LBB80_152
.LBB80_117:
	s_or_b32 exec_lo, exec_lo, s0
	s_and_saveexec_b32 s0, vcc_lo
	s_cbranch_execnz .LBB80_153
.LBB80_118:
	s_or_b32 exec_lo, exec_lo, s0
	s_and_saveexec_b32 s0, vcc_lo
	s_cbranch_execnz .LBB80_154
.LBB80_119:
	s_or_b32 exec_lo, exec_lo, s0
	s_and_saveexec_b32 s0, vcc_lo
	s_cbranch_execnz .LBB80_155
.LBB80_120:
	s_or_b32 exec_lo, exec_lo, s0
	s_and_saveexec_b32 s0, vcc_lo
	s_cbranch_execnz .LBB80_156
.LBB80_121:
	s_or_b32 exec_lo, exec_lo, s0
	s_and_saveexec_b32 s0, vcc_lo
	s_cbranch_execnz .LBB80_157
.LBB80_122:
	s_or_b32 exec_lo, exec_lo, s0
	s_and_saveexec_b32 s0, vcc_lo
	s_cbranch_execz .LBB80_124
.LBB80_123:
	ds_load_b32 v0, v1 offset:960
	s_wait_dscnt 0x0
	v_add_f32_e32 v9, v9, v0
.LBB80_124:
	s_or_b32 exec_lo, exec_lo, s0
.LBB80_125:
	s_delay_alu instid0(SALU_CYCLE_1)
	s_or_b32 exec_lo, exec_lo, s1
	s_mov_b32 s1, 0
	s_barrier_signal -1
	s_barrier_wait -1
	s_mov_b32 s0, exec_lo
	v_cmpx_eq_u32_e32 0, v11
	s_cbranch_execz .LBB80_127
; %bb.126:
	s_mul_i32 s0, s30, s11
	s_mul_i32 s2, s11, s16
	;; [unrolled: 1-line block ×3, first 2 shown]
	s_lshr_b32 s8, ttmp7, 16
	s_lshl_b32 s4, s0, 8
	s_bfe_u32 s0, ttmp6, 0x40014
	s_ashr_i32 s5, s4, 31
	s_add_co_i32 s0, s0, 1
	s_ashr_i32 s3, s2, 31
	s_mul_i32 s0, s8, s0
	s_bfe_u32 s9, ttmp6, 0x40008
	s_lshl_b64 s[4:5], s[4:5], 1
	s_lshl_b64 s[2:3], s[2:3], 1
	s_add_co_i32 s9, s9, s0
	s_cmp_eq_u32 s28, 0
	s_wait_kmcnt 0x0
	s_add_nc_u64 s[4:5], s[6:7], s[4:5]
	s_cselect_b32 s0, s8, s9
	s_add_nc_u64 s[2:3], s[4:5], s[2:3]
	s_lshl_b32 s0, s0, 9
	;;#ASMSTART
	v_cvt_f16_f32 v0, v22;

	;;#ASMEND
	s_add_nc_u64 s[0:1], s[2:3], s[0:1]
	global_store_b16 v74, v0, s[0:1] scale_offset
	s_wait_xcnt 0x0
	;;#ASMSTART
	v_cvt_f16_f32 v0, v23;

	;;#ASMEND
	global_store_b16 v74, v0, s[0:1] offset:32 scale_offset
	s_wait_xcnt 0x0
	;;#ASMSTART
	v_cvt_f16_f32 v0, v20;

	;;#ASMEND
	global_store_b16 v74, v0, s[0:1] offset:64 scale_offset
	s_wait_xcnt 0x0
	;;#ASMSTART
	v_cvt_f16_f32 v0, v21;

	;;#ASMEND
	global_store_b16 v74, v0, s[0:1] offset:96 scale_offset
	s_wait_xcnt 0x0
	;;#ASMSTART
	v_cvt_f16_f32 v0, v18;

	;;#ASMEND
	global_store_b16 v74, v0, s[0:1] offset:128 scale_offset
	s_wait_xcnt 0x0
	;;#ASMSTART
	v_cvt_f16_f32 v0, v19;

	;;#ASMEND
	global_store_b16 v74, v0, s[0:1] offset:160 scale_offset
	s_wait_xcnt 0x0
	;;#ASMSTART
	v_cvt_f16_f32 v0, v16;

	;;#ASMEND
	global_store_b16 v74, v0, s[0:1] offset:192 scale_offset
	s_wait_xcnt 0x0
	;;#ASMSTART
	v_cvt_f16_f32 v0, v17;

	;;#ASMEND
	global_store_b16 v74, v0, s[0:1] offset:224 scale_offset
	s_wait_xcnt 0x0
	;;#ASMSTART
	v_cvt_f16_f32 v0, v6;

	;;#ASMEND
	global_store_b16 v74, v0, s[0:1] offset:256 scale_offset
	s_wait_xcnt 0x0
	;;#ASMSTART
	v_cvt_f16_f32 v0, v7;

	;;#ASMEND
	global_store_b16 v74, v0, s[0:1] offset:288 scale_offset
	s_wait_xcnt 0x0
	;;#ASMSTART
	v_cvt_f16_f32 v0, v4;

	;;#ASMEND
	global_store_b16 v74, v0, s[0:1] offset:320 scale_offset
	s_wait_xcnt 0x0
	;;#ASMSTART
	v_cvt_f16_f32 v0, v5;

	;;#ASMEND
	global_store_b16 v74, v0, s[0:1] offset:352 scale_offset
	s_wait_xcnt 0x0
	;;#ASMSTART
	v_cvt_f16_f32 v0, v2;

	;;#ASMEND
	global_store_b16 v74, v0, s[0:1] offset:384 scale_offset
	s_wait_xcnt 0x0
	;;#ASMSTART
	v_cvt_f16_f32 v0, v3;

	;;#ASMEND
	global_store_b16 v74, v0, s[0:1] offset:416 scale_offset
	s_wait_xcnt 0x0
	;;#ASMSTART
	v_cvt_f16_f32 v0, v8;

	;;#ASMEND
	global_store_b16 v74, v0, s[0:1] offset:448 scale_offset
	s_wait_xcnt 0x0
	;;#ASMSTART
	v_cvt_f16_f32 v0, v9;

	;;#ASMEND
	global_store_b16 v74, v0, s[0:1] offset:480 scale_offset
.LBB80_127:
	s_sendmsg sendmsg(MSG_DEALLOC_VGPRS)
	s_endpgm
.LBB80_128:
	ds_load_b32 v11, v1
	s_wait_dscnt 0x0
	v_add_f32_e32 v22, v22, v11
	s_or_b32 exec_lo, exec_lo, s1
	s_and_saveexec_b32 s1, vcc_lo
	s_cbranch_execz .LBB80_88
.LBB80_129:
	ds_load_b32 v11, v1 offset:64
	s_wait_dscnt 0x0
	v_add_f32_e32 v23, v23, v11
	s_or_b32 exec_lo, exec_lo, s1
	s_and_saveexec_b32 s1, vcc_lo
	s_cbranch_execz .LBB80_89
.LBB80_130:
	ds_load_b32 v11, v1 offset:128
	s_wait_dscnt 0x0
	v_add_f32_e32 v20, v20, v11
	s_or_b32 exec_lo, exec_lo, s1
	s_and_saveexec_b32 s1, vcc_lo
	s_cbranch_execz .LBB80_90
.LBB80_131:
	ds_load_b32 v11, v1 offset:192
	s_wait_dscnt 0x0
	v_add_f32_e32 v21, v21, v11
	s_or_b32 exec_lo, exec_lo, s1
	s_and_saveexec_b32 s1, vcc_lo
	s_cbranch_execz .LBB80_91
.LBB80_132:
	ds_load_b32 v11, v1 offset:256
	s_wait_dscnt 0x0
	v_add_f32_e32 v18, v18, v11
	s_or_b32 exec_lo, exec_lo, s1
	s_and_saveexec_b32 s1, vcc_lo
	s_cbranch_execz .LBB80_92
.LBB80_133:
	ds_load_b32 v11, v1 offset:320
	s_wait_dscnt 0x0
	v_add_f32_e32 v19, v19, v11
	s_or_b32 exec_lo, exec_lo, s1
	s_and_saveexec_b32 s1, vcc_lo
	s_cbranch_execz .LBB80_93
.LBB80_134:
	ds_load_b32 v11, v1 offset:384
	s_wait_dscnt 0x0
	v_add_f32_e32 v16, v16, v11
	s_or_b32 exec_lo, exec_lo, s1
	s_and_saveexec_b32 s1, vcc_lo
	s_cbranch_execz .LBB80_94
.LBB80_135:
	ds_load_b32 v11, v1 offset:448
	s_wait_dscnt 0x0
	v_add_f32_e32 v17, v17, v11
	s_or_b32 exec_lo, exec_lo, s1
	s_and_saveexec_b32 s1, vcc_lo
	s_cbranch_execz .LBB80_95
.LBB80_136:
	ds_load_b32 v11, v1 offset:512
	s_wait_dscnt 0x0
	v_add_f32_e32 v6, v6, v11
	s_or_b32 exec_lo, exec_lo, s1
	s_and_saveexec_b32 s1, vcc_lo
	s_cbranch_execz .LBB80_96
.LBB80_137:
	ds_load_b32 v11, v1 offset:576
	s_wait_dscnt 0x0
	v_add_f32_e32 v7, v7, v11
	s_or_b32 exec_lo, exec_lo, s1
	s_and_saveexec_b32 s1, vcc_lo
	s_cbranch_execz .LBB80_97
.LBB80_138:
	ds_load_b32 v11, v1 offset:640
	s_wait_dscnt 0x0
	v_add_f32_e32 v4, v4, v11
	s_or_b32 exec_lo, exec_lo, s1
	s_and_saveexec_b32 s1, vcc_lo
	s_cbranch_execz .LBB80_98
.LBB80_139:
	ds_load_b32 v11, v1 offset:704
	s_wait_dscnt 0x0
	v_add_f32_e32 v5, v5, v11
	s_or_b32 exec_lo, exec_lo, s1
	s_and_saveexec_b32 s1, vcc_lo
	s_cbranch_execz .LBB80_99
.LBB80_140:
	ds_load_b32 v11, v1 offset:768
	s_wait_dscnt 0x0
	v_add_f32_e32 v2, v2, v11
	s_or_b32 exec_lo, exec_lo, s1
	s_and_saveexec_b32 s1, vcc_lo
	s_cbranch_execz .LBB80_100
.LBB80_141:
	ds_load_b32 v11, v1 offset:832
	s_wait_dscnt 0x0
	v_add_f32_e32 v3, v3, v11
	s_or_b32 exec_lo, exec_lo, s1
	s_and_saveexec_b32 s1, vcc_lo
	s_cbranch_execz .LBB80_101
.LBB80_142:
	ds_load_b32 v11, v1 offset:896
	s_wait_dscnt 0x0
	v_add_f32_e32 v8, v8, v11
	s_or_b32 exec_lo, exec_lo, s1
	s_and_saveexec_b32 s1, vcc_lo
	s_cbranch_execnz .LBB80_102
	s_branch .LBB80_103
.LBB80_143:
	ds_load_b32 v0, v1
	s_wait_dscnt 0x0
	v_add_f32_e32 v22, v22, v0
	s_or_b32 exec_lo, exec_lo, s0
	s_and_saveexec_b32 s0, vcc_lo
	s_cbranch_execz .LBB80_109
.LBB80_144:
	ds_load_b32 v0, v1 offset:64
	s_wait_dscnt 0x0
	v_add_f32_e32 v23, v23, v0
	s_or_b32 exec_lo, exec_lo, s0
	s_and_saveexec_b32 s0, vcc_lo
	s_cbranch_execz .LBB80_110
.LBB80_145:
	ds_load_b32 v0, v1 offset:128
	s_wait_dscnt 0x0
	v_add_f32_e32 v20, v20, v0
	s_or_b32 exec_lo, exec_lo, s0
	s_and_saveexec_b32 s0, vcc_lo
	s_cbranch_execz .LBB80_111
.LBB80_146:
	ds_load_b32 v0, v1 offset:192
	s_wait_dscnt 0x0
	v_add_f32_e32 v21, v21, v0
	s_or_b32 exec_lo, exec_lo, s0
	s_and_saveexec_b32 s0, vcc_lo
	s_cbranch_execz .LBB80_112
.LBB80_147:
	ds_load_b32 v0, v1 offset:256
	s_wait_dscnt 0x0
	v_add_f32_e32 v18, v18, v0
	s_or_b32 exec_lo, exec_lo, s0
	s_and_saveexec_b32 s0, vcc_lo
	s_cbranch_execz .LBB80_113
.LBB80_148:
	ds_load_b32 v0, v1 offset:320
	s_wait_dscnt 0x0
	v_add_f32_e32 v19, v19, v0
	s_or_b32 exec_lo, exec_lo, s0
	s_and_saveexec_b32 s0, vcc_lo
	s_cbranch_execz .LBB80_114
.LBB80_149:
	ds_load_b32 v0, v1 offset:384
	s_wait_dscnt 0x0
	v_add_f32_e32 v16, v16, v0
	s_or_b32 exec_lo, exec_lo, s0
	s_and_saveexec_b32 s0, vcc_lo
	s_cbranch_execz .LBB80_115
.LBB80_150:
	ds_load_b32 v0, v1 offset:448
	s_wait_dscnt 0x0
	v_add_f32_e32 v17, v17, v0
	s_or_b32 exec_lo, exec_lo, s0
	s_and_saveexec_b32 s0, vcc_lo
	s_cbranch_execz .LBB80_116
.LBB80_151:
	ds_load_b32 v0, v1 offset:512
	s_wait_dscnt 0x0
	v_add_f32_e32 v6, v6, v0
	s_or_b32 exec_lo, exec_lo, s0
	s_and_saveexec_b32 s0, vcc_lo
	s_cbranch_execz .LBB80_117
.LBB80_152:
	ds_load_b32 v0, v1 offset:576
	s_wait_dscnt 0x0
	v_add_f32_e32 v7, v7, v0
	s_or_b32 exec_lo, exec_lo, s0
	s_and_saveexec_b32 s0, vcc_lo
	s_cbranch_execz .LBB80_118
.LBB80_153:
	ds_load_b32 v0, v1 offset:640
	s_wait_dscnt 0x0
	v_add_f32_e32 v4, v4, v0
	s_or_b32 exec_lo, exec_lo, s0
	s_and_saveexec_b32 s0, vcc_lo
	s_cbranch_execz .LBB80_119
.LBB80_154:
	ds_load_b32 v0, v1 offset:704
	s_wait_dscnt 0x0
	v_add_f32_e32 v5, v5, v0
	s_or_b32 exec_lo, exec_lo, s0
	s_and_saveexec_b32 s0, vcc_lo
	s_cbranch_execz .LBB80_120
.LBB80_155:
	ds_load_b32 v0, v1 offset:768
	s_wait_dscnt 0x0
	v_add_f32_e32 v2, v2, v0
	s_or_b32 exec_lo, exec_lo, s0
	s_and_saveexec_b32 s0, vcc_lo
	s_cbranch_execz .LBB80_121
.LBB80_156:
	ds_load_b32 v0, v1 offset:832
	s_wait_dscnt 0x0
	v_add_f32_e32 v3, v3, v0
	s_or_b32 exec_lo, exec_lo, s0
	s_and_saveexec_b32 s0, vcc_lo
	s_cbranch_execz .LBB80_122
.LBB80_157:
	ds_load_b32 v0, v1 offset:896
	s_wait_dscnt 0x0
	v_add_f32_e32 v8, v8, v0
	s_or_b32 exec_lo, exec_lo, s0
	s_and_saveexec_b32 s0, vcc_lo
	s_cbranch_execnz .LBB80_123
	s_branch .LBB80_124
	.section	.rodata,"a",@progbits
	.p2align	6, 0x0
	.amdhsa_kernel _ZN4vllm25paged_attention_v1_kernelIttLi256ELi16ELi128ELNS_18Fp8KVCacheDataTypeE0ELb1EEEvPT_PKS2_PKT0_S8_ifPKiSA_iPKfiiiSC_SC_iiiii
		.amdhsa_group_segment_fixed_size 544
		.amdhsa_private_segment_fixed_size 0
		.amdhsa_kernarg_size 384
		.amdhsa_user_sgpr_count 2
		.amdhsa_user_sgpr_dispatch_ptr 0
		.amdhsa_user_sgpr_queue_ptr 0
		.amdhsa_user_sgpr_kernarg_segment_ptr 1
		.amdhsa_user_sgpr_dispatch_id 0
		.amdhsa_user_sgpr_kernarg_preload_length 0
		.amdhsa_user_sgpr_kernarg_preload_offset 0
		.amdhsa_user_sgpr_private_segment_size 0
		.amdhsa_wavefront_size32 1
		.amdhsa_uses_dynamic_stack 0
		.amdhsa_enable_private_segment 0
		.amdhsa_system_sgpr_workgroup_id_x 1
		.amdhsa_system_sgpr_workgroup_id_y 1
		.amdhsa_system_sgpr_workgroup_id_z 1
		.amdhsa_system_sgpr_workgroup_info 0
		.amdhsa_system_vgpr_workitem_id 0
		.amdhsa_next_free_vgpr 128
		.amdhsa_next_free_sgpr 42
		.amdhsa_named_barrier_count 0
		.amdhsa_reserve_vcc 1
		.amdhsa_float_round_mode_32 0
		.amdhsa_float_round_mode_16_64 0
		.amdhsa_float_denorm_mode_32 3
		.amdhsa_float_denorm_mode_16_64 3
		.amdhsa_fp16_overflow 0
		.amdhsa_memory_ordered 1
		.amdhsa_forward_progress 1
		.amdhsa_inst_pref_size 110
		.amdhsa_round_robin_scheduling 0
		.amdhsa_exception_fp_ieee_invalid_op 0
		.amdhsa_exception_fp_denorm_src 0
		.amdhsa_exception_fp_ieee_div_zero 0
		.amdhsa_exception_fp_ieee_overflow 0
		.amdhsa_exception_fp_ieee_underflow 0
		.amdhsa_exception_fp_ieee_inexact 0
		.amdhsa_exception_int_div_zero 0
	.end_amdhsa_kernel
	.section	.text._ZN4vllm25paged_attention_v1_kernelIttLi256ELi16ELi128ELNS_18Fp8KVCacheDataTypeE0ELb1EEEvPT_PKS2_PKT0_S8_ifPKiSA_iPKfiiiSC_SC_iiiii,"axG",@progbits,_ZN4vllm25paged_attention_v1_kernelIttLi256ELi16ELi128ELNS_18Fp8KVCacheDataTypeE0ELb1EEEvPT_PKS2_PKT0_S8_ifPKiSA_iPKfiiiSC_SC_iiiii,comdat
.Lfunc_end80:
	.size	_ZN4vllm25paged_attention_v1_kernelIttLi256ELi16ELi128ELNS_18Fp8KVCacheDataTypeE0ELb1EEEvPT_PKS2_PKT0_S8_ifPKiSA_iPKfiiiSC_SC_iiiii, .Lfunc_end80-_ZN4vllm25paged_attention_v1_kernelIttLi256ELi16ELi128ELNS_18Fp8KVCacheDataTypeE0ELb1EEEvPT_PKS2_PKT0_S8_ifPKiSA_iPKfiiiSC_SC_iiiii
                                        ; -- End function
	.set _ZN4vllm25paged_attention_v1_kernelIttLi256ELi16ELi128ELNS_18Fp8KVCacheDataTypeE0ELb1EEEvPT_PKS2_PKT0_S8_ifPKiSA_iPKfiiiSC_SC_iiiii.num_vgpr, 128
	.set _ZN4vllm25paged_attention_v1_kernelIttLi256ELi16ELi128ELNS_18Fp8KVCacheDataTypeE0ELb1EEEvPT_PKS2_PKT0_S8_ifPKiSA_iPKfiiiSC_SC_iiiii.num_agpr, 0
	.set _ZN4vllm25paged_attention_v1_kernelIttLi256ELi16ELi128ELNS_18Fp8KVCacheDataTypeE0ELb1EEEvPT_PKS2_PKT0_S8_ifPKiSA_iPKfiiiSC_SC_iiiii.numbered_sgpr, 42
	.set _ZN4vllm25paged_attention_v1_kernelIttLi256ELi16ELi128ELNS_18Fp8KVCacheDataTypeE0ELb1EEEvPT_PKS2_PKT0_S8_ifPKiSA_iPKfiiiSC_SC_iiiii.num_named_barrier, 0
	.set _ZN4vllm25paged_attention_v1_kernelIttLi256ELi16ELi128ELNS_18Fp8KVCacheDataTypeE0ELb1EEEvPT_PKS2_PKT0_S8_ifPKiSA_iPKfiiiSC_SC_iiiii.private_seg_size, 0
	.set _ZN4vllm25paged_attention_v1_kernelIttLi256ELi16ELi128ELNS_18Fp8KVCacheDataTypeE0ELb1EEEvPT_PKS2_PKT0_S8_ifPKiSA_iPKfiiiSC_SC_iiiii.uses_vcc, 1
	.set _ZN4vllm25paged_attention_v1_kernelIttLi256ELi16ELi128ELNS_18Fp8KVCacheDataTypeE0ELb1EEEvPT_PKS2_PKT0_S8_ifPKiSA_iPKfiiiSC_SC_iiiii.uses_flat_scratch, 0
	.set _ZN4vllm25paged_attention_v1_kernelIttLi256ELi16ELi128ELNS_18Fp8KVCacheDataTypeE0ELb1EEEvPT_PKS2_PKT0_S8_ifPKiSA_iPKfiiiSC_SC_iiiii.has_dyn_sized_stack, 0
	.set _ZN4vllm25paged_attention_v1_kernelIttLi256ELi16ELi128ELNS_18Fp8KVCacheDataTypeE0ELb1EEEvPT_PKS2_PKT0_S8_ifPKiSA_iPKfiiiSC_SC_iiiii.has_recursion, 0
	.set _ZN4vllm25paged_attention_v1_kernelIttLi256ELi16ELi128ELNS_18Fp8KVCacheDataTypeE0ELb1EEEvPT_PKS2_PKT0_S8_ifPKiSA_iPKfiiiSC_SC_iiiii.has_indirect_call, 0
	.section	.AMDGPU.csdata,"",@progbits
; Kernel info:
; codeLenInByte = 14024
; TotalNumSgprs: 44
; NumVgprs: 128
; ScratchSize: 0
; MemoryBound: 0
; FloatMode: 240
; IeeeMode: 1
; LDSByteSize: 544 bytes/workgroup (compile time only)
; SGPRBlocks: 0
; VGPRBlocks: 7
; NumSGPRsForWavesPerEU: 44
; NumVGPRsForWavesPerEU: 128
; NamedBarCnt: 0
; Occupancy: 8
; WaveLimiterHint : 1
; COMPUTE_PGM_RSRC2:SCRATCH_EN: 0
; COMPUTE_PGM_RSRC2:USER_SGPR: 2
; COMPUTE_PGM_RSRC2:TRAP_HANDLER: 0
; COMPUTE_PGM_RSRC2:TGID_X_EN: 1
; COMPUTE_PGM_RSRC2:TGID_Y_EN: 1
; COMPUTE_PGM_RSRC2:TGID_Z_EN: 1
; COMPUTE_PGM_RSRC2:TIDIG_COMP_CNT: 0
	.section	.text._ZN4vllm25paged_attention_v1_kernelIttLi32ELi16ELi128ELNS_18Fp8KVCacheDataTypeE0ELb0EEEvPT_PKS2_PKT0_S8_ifPKiSA_iPKfiiiSC_SC_iiiii,"axG",@progbits,_ZN4vllm25paged_attention_v1_kernelIttLi32ELi16ELi128ELNS_18Fp8KVCacheDataTypeE0ELb0EEEvPT_PKS2_PKT0_S8_ifPKiSA_iPKfiiiSC_SC_iiiii,comdat
	.protected	_ZN4vllm25paged_attention_v1_kernelIttLi32ELi16ELi128ELNS_18Fp8KVCacheDataTypeE0ELb0EEEvPT_PKS2_PKT0_S8_ifPKiSA_iPKfiiiSC_SC_iiiii ; -- Begin function _ZN4vllm25paged_attention_v1_kernelIttLi32ELi16ELi128ELNS_18Fp8KVCacheDataTypeE0ELb0EEEvPT_PKS2_PKT0_S8_ifPKiSA_iPKfiiiSC_SC_iiiii
	.globl	_ZN4vllm25paged_attention_v1_kernelIttLi32ELi16ELi128ELNS_18Fp8KVCacheDataTypeE0ELb0EEEvPT_PKS2_PKT0_S8_ifPKiSA_iPKfiiiSC_SC_iiiii
	.p2align	8
	.type	_ZN4vllm25paged_attention_v1_kernelIttLi32ELi16ELi128ELNS_18Fp8KVCacheDataTypeE0ELb0EEEvPT_PKS2_PKT0_S8_ifPKiSA_iPKfiiiSC_SC_iiiii,@function
_ZN4vllm25paged_attention_v1_kernelIttLi32ELi16ELi128ELNS_18Fp8KVCacheDataTypeE0ELb0EEEvPT_PKS2_PKT0_S8_ifPKiSA_iPKfiiiSC_SC_iiiii: ; @_ZN4vllm25paged_attention_v1_kernelIttLi32ELi16ELi128ELNS_18Fp8KVCacheDataTypeE0ELb0EEEvPT_PKS2_PKT0_S8_ifPKiSA_iPKfiiiSC_SC_iiiii
; %bb.0:
	s_load_b64 s[6:7], s[0:1], 0x20
	s_bfe_u32 s3, ttmp6, 0x4000c
	s_bfe_u32 s5, ttmp6, 0x40010
	s_and_b32 s4, ttmp7, 0xffff
	s_add_co_i32 s3, s3, 1
	s_add_co_i32 s5, s5, 1
	s_and_b32 s2, ttmp6, 15
	s_bfe_u32 s8, ttmp6, 0x40004
	s_mul_i32 s3, ttmp9, s3
	s_mul_i32 s5, s4, s5
	s_getreg_b32 s18, hwreg(HW_REG_IB_STS2, 6, 4)
	s_add_co_i32 s2, s2, s3
	s_add_co_i32 s8, s8, s5
	s_cmp_eq_u32 s18, 0
	s_clause 0x1
	s_load_b32 s19, s[0:1], 0x80
	s_load_b64 s[10:11], s[0:1], 0x30
	s_cselect_b32 s20, s4, s8
	s_cselect_b32 s8, ttmp9, s2
	s_wait_kmcnt 0x0
	s_abs_i32 s2, s6
	s_delay_alu instid0(SALU_CYCLE_1) | instskip(SKIP_1) | instid1(SALU_CYCLE_2)
	s_cvt_f32_u32 s3, s2
	s_sub_co_i32 s4, 0, s2
	v_rcp_iflag_f32_e32 v1, s3
	s_abs_i32 s5, s19
	v_nop
	s_delay_alu instid0(TRANS32_DEP_1) | instskip(SKIP_1) | instid1(SALU_CYCLE_3)
	v_readfirstlane_b32 s3, v1
	s_mul_f32 s3, s3, 0x4f7ffffe
	s_cvt_u32_f32 s3, s3
	s_delay_alu instid0(SALU_CYCLE_3) | instskip(NEXT) | instid1(SALU_CYCLE_1)
	s_mul_i32 s4, s4, s3
	s_mul_hi_u32 s4, s3, s4
	s_delay_alu instid0(SALU_CYCLE_1) | instskip(SKIP_4) | instid1(SALU_CYCLE_1)
	s_add_co_i32 s3, s3, s4
	s_xor_b32 s4, s19, s6
	s_mul_hi_u32 s3, s5, s3
	s_ashr_i32 s4, s4, 31
	s_mul_i32 s6, s3, s2
	s_sub_co_i32 s5, s5, s6
	s_add_co_i32 s6, s3, 1
	s_sub_co_i32 s9, s5, s2
	s_cmp_ge_u32 s5, s2
	s_cselect_b32 s3, s6, s3
	s_cselect_b32 s5, s9, s5
	s_add_co_i32 s6, s3, 1
	s_cmp_ge_u32 s5, s2
	s_cselect_b32 s2, s6, s3
	s_mov_b32 s3, 0
	s_xor_b32 s2, s2, s4
	s_mov_b32 s13, s3
	s_sub_co_i32 s15, s2, s4
	s_load_b64 s[4:5], s[0:1], 0x40
	s_abs_i32 s14, s15
	s_mov_b32 s23, s3
	s_cvt_f32_u32 s2, s14
	s_delay_alu instid0(SALU_CYCLE_3) | instskip(SKIP_1) | instid1(TRANS32_DEP_1)
	v_rcp_iflag_f32_e32 v1, s2
	v_nop
	v_readfirstlane_b32 s2, v1
	s_mul_f32 s2, s2, 0x4f7ffffe
	s_delay_alu instid0(SALU_CYCLE_3) | instskip(SKIP_1) | instid1(SALU_CYCLE_2)
	s_cvt_u32_f32 s6, s2
	s_sub_co_i32 s2, 0, s14
	s_mul_i32 s2, s2, s6
	s_delay_alu instid0(SALU_CYCLE_1)
	s_mul_hi_u32 s9, s6, s2
	s_abs_i32 s2, s8
	s_add_co_i32 s12, s6, s9
	s_wait_kmcnt 0x0
	s_cmp_eq_u64 s[4:5], 0
	s_cbranch_scc1 .LBB81_2
; %bb.1:
	s_ashr_i32 s9, s8, 31
	s_delay_alu instid0(SALU_CYCLE_1) | instskip(NEXT) | instid1(SALU_CYCLE_1)
	s_lshl_b64 s[16:17], s[8:9], 2
	s_add_nc_u64 s[4:5], s[4:5], s[16:17]
	s_load_b32 s23, s[4:5], 0x0
.LBB81_2:
	s_load_b32 s21, s[10:11], s20 offset:0x0 scale_offset
	s_wait_xcnt 0x0
	s_load_b96 s[4:6], s[0:1], 0x48
	v_dual_lshrrev_b32 v15, 1, v0 :: v_dual_bitop2_b32 v16, 1, v0 bitop3:0x40
	s_ashr_i32 s16, s8, 31
	s_ashr_i32 s15, s15, 31
	s_mul_u64 s[10:11], s[2:3], s[12:13]
	s_lshl_b32 s8, s8, 5
	s_mov_b32 s3, exec_lo
	v_cmpx_gt_u32_e32 8, v0
	s_cbranch_execz .LBB81_4
; %bb.3:
	s_load_b64 s[12:13], s[0:1], 0x8
	s_wait_kmcnt 0x0
	s_mul_i32 s24, s4, s20
	s_ashr_i32 s9, s8, 31
	s_ashr_i32 s25, s24, 31
	v_lshlrev_b32_e32 v1, 3, v15
	s_lshl_b64 s[24:25], s[24:25], 1
	s_delay_alu instid0(VALU_DEP_1) | instskip(SKIP_2) | instid1(SALU_CYCLE_1)
	v_lshl_add_u32 v1, v16, 5, v1
	s_add_nc_u64 s[12:13], s[12:13], s[24:25]
	s_lshl_b64 s[24:25], s[8:9], 1
	s_add_nc_u64 s[12:13], s[12:13], s[24:25]
	global_load_b64 v[2:3], v0, s[12:13] scale_offset
	s_wait_loadcnt 0x0
	ds_store_b64 v1, v[2:3]
.LBB81_4:
	s_or_b32 exec_lo, exec_lo, s3
	s_wait_kmcnt 0x0
	s_add_co_i32 s3, s21, 15
	s_load_b32 s4, s[0:1], 0x38
	s_ashr_i32 s9, s3, 31
	s_mul_i32 s12, s11, s14
	s_lshr_b32 s9, s9, 28
	s_sub_co_i32 s2, s2, s12
	s_add_co_i32 s3, s3, s9
	s_xor_b32 s10, s16, s15
	s_ashr_i32 s22, s3, 4
	s_add_co_i32 s3, s11, 1
	s_sub_co_i32 s9, s2, s14
	s_cmp_ge_u32 s2, s14
	v_lshrrev_b32_e32 v17, 5, v0
	s_cselect_b32 s3, s3, s11
	s_cselect_b32 s2, s9, s2
	s_add_co_i32 s9, s3, 1
	s_cmp_ge_u32 s2, s14
	v_mbcnt_lo_u32_b32 v11, -1, 0
	s_cselect_b32 s2, s9, s3
	s_wait_dscnt 0x0
	s_xor_b32 s2, s2, s10
	s_barrier_signal -1
	s_sub_co_i32 s3, s2, s10
	v_cmp_gt_i32_e64 s2, s22, v17
	s_wait_kmcnt 0x0
	s_mul_i32 s10, s4, s20
	s_mov_b32 s4, exec_lo
	s_ashr_i32 s11, s10, 31
	s_barrier_wait -1
                                        ; implicit-def: $vgpr3
                                        ; implicit-def: $vgpr2
	v_cmpx_le_i32_e64 s22, v17
	s_xor_b32 s4, exec_lo, s4
; %bb.5:
	v_dual_mov_b32 v3, 0 :: v_dual_mov_b32 v2, 32
	v_mbcnt_lo_u32_b32 v11, -1, 0
; %bb.6:
	s_or_saveexec_b32 s24, s4
	s_clause 0x1
	s_load_b64 s[12:13], s[0:1], 0x28
	s_load_b32 s9, s[0:1], 0x88
	v_dual_mov_b32 v12, 0xff7fffff :: v_dual_lshrrev_b32 v1, 3, v0
	v_lshlrev_b32_e32 v10, 3, v0
	s_mul_i32 s14, s3, s6
	s_xor_b32 exec_lo, exec_lo, s24
	s_cbranch_execz .LBB81_12
; %bb.7:
	s_load_b64 s[26:27], s[0:1], 0x10
	v_bfe_u32 v6, v0, 1, 4
	s_ashr_i32 s15, s14, 31
	v_mov_b32_e32 v3, 0
	s_lshl_b64 s[28:29], s[14:15], 1
	s_delay_alu instid0(VALU_DEP_2)
	v_dual_lshlrev_b32 v13, 5, v16 :: v_dual_lshlrev_b32 v7, 2, v6
	v_lshlrev_b32_e32 v2, 4, v6
	s_ashr_i32 s17, s5, 31
	s_cmp_neq_f32 s23, 0
	v_lshl_or_b32 v14, v17, 4, v6
	v_lshl_or_b32 v7, v17, 6, v7
	v_mov_b32_e32 v12, 0xff7fffff
	s_cselect_b32 s3, -1, 0
	v_xor_b32_e32 v19, 1, v11
	s_mov_b32 s16, s5
	v_add_nc_u32_e32 v18, 0x60, v7
	s_mov_b32 s6, 0
	s_sub_co_i32 s15, 1, s21
	v_cmp_eq_u32_e32 vcc_lo, 0, v16
	s_wait_kmcnt 0x0
	s_add_nc_u64 s[26:27], s[26:27], s[28:29]
	v_mov_b32_e32 v20, v17
	v_add_nc_u64_e32 v[4:5], s[26:27], v[2:3]
	v_and_b32_e32 v2, 8, v10
	s_lshl_b64 s[26:27], s[10:11], 2
	s_delay_alu instid0(SALU_CYCLE_1) | instskip(NEXT) | instid1(VALU_DEP_1)
	s_add_nc_u64 s[26:27], s[12:13], s[26:27]
	v_add_nc_u64_e32 v[4:5], v[4:5], v[2:3]
	v_and_b32_e32 v2, 0x7c, v1
	s_delay_alu instid0(VALU_DEP_1)
	v_add_nc_u64_e32 v[6:7], s[26:27], v[2:3]
	v_mov_b32_e32 v2, 32
	s_branch .LBB81_9
.LBB81_8:                               ;   in Loop: Header=BB81_9 Depth=1
	s_or_b32 exec_lo, exec_lo, s25
	v_dual_add_nc_u32 v20, 4, v20 :: v_dual_add_nc_u32 v14, 64, v14
	v_add_nc_u64_e32 v[6:7], 16, v[6:7]
	v_add_nc_u32_e32 v18, 0x100, v18
	s_delay_alu instid0(VALU_DEP_3) | instskip(SKIP_1) | instid1(SALU_CYCLE_1)
	v_cmp_le_i32_e64 s4, s22, v20
	s_or_b32 s6, s4, s6
	s_and_not1_b32 exec_lo, exec_lo, s6
	s_cbranch_execz .LBB81_11
.LBB81_9:                               ; =>This Inner Loop Header: Depth=1
	global_load_b32 v8, v[6:7], off
	v_cmp_gt_i32_e64 s4, 32, v19
	s_wait_loadcnt_dscnt 0x0
	v_ashrrev_i32_e32 v9, 31, v8
	s_delay_alu instid0(VALU_DEP_1) | instskip(NEXT) | instid1(VALU_DEP_1)
	v_mul_u64_e32 v[8:9], s[16:17], v[8:9]
	v_lshl_add_u64 v[22:23], v[8:9], 1, v[4:5]
	s_clause 0x3
	global_load_b64 v[24:25], v[22:23], off
	global_load_b64 v[26:27], v[22:23], off offset:256
	global_load_b64 v[28:29], v[22:23], off offset:512
	;; [unrolled: 1-line block ×3, first 2 shown]
	s_wait_xcnt 0x0
	ds_load_b64 v[22:23], v13
	s_wait_dscnt 0x0
	v_and_b32_e32 v21, 0xffff, v22
	v_dual_lshrrev_b32 v22, 16, v22 :: v_dual_lshrrev_b32 v30, 16, v23
	v_and_b32_e32 v23, 0xffff, v23
	;;#ASMSTART
	v_cvt_f32_f16 v31, v21;
	;;#ASMEND
	;;#ASMSTART
	v_cvt_f32_f16 v32, v22;
	;;#ASMEND
	s_wait_loadcnt 0x3
	v_and_b32_e32 v21, 0xffff, v24
	v_dual_lshrrev_b32 v22, 16, v25 :: v_dual_lshrrev_b32 v24, 16, v24
	v_and_b32_e32 v25, 0xffff, v25
	;;#ASMSTART
	v_cvt_f32_f16 v33, v21;
	;;#ASMEND
	;;#ASMSTART
	v_cvt_f32_f16 v34, v24;
	;;#ASMEND
	;; [unrolled: 3-line block ×5, first 2 shown]
	s_wait_loadcnt 0x2
	v_lshrrev_b32_e32 v21, 16, v26
	;;#ASMSTART
	v_cvt_f32_f16 v37, v22;
	;;#ASMEND
	ds_load_b64 v[22:23], v13 offset:8
	v_and_b32_e32 v24, 0xffff, v26
	v_lshrrev_b32_e32 v25, 16, v27
	v_and_b32_e32 v27, 0xffff, v27
	s_wait_loadcnt 0x0
	v_and_b32_e32 v48, 0xffff, v8
	v_lshrrev_b32_e32 v41, 16, v28
	v_and_b32_e32 v28, 0xffff, v28
	v_lshrrev_b32_e32 v47, 16, v8
	s_wait_dscnt 0x0
	v_and_b32_e32 v26, 0xffff, v22
	v_dual_lshrrev_b32 v22, 16, v22 :: v_dual_lshrrev_b32 v38, 16, v23
	v_and_b32_e32 v23, 0xffff, v23
	;;#ASMSTART
	v_cvt_f32_f16 v26, v26;
	;;#ASMEND
	;;#ASMSTART
	v_cvt_f32_f16 v39, v22;
	;;#ASMEND
	;; [unrolled: 3-line block ×8, first 2 shown]
	ds_load_b64 v[22:23], v13 offset:16
	v_lshrrev_b32_e32 v42, 16, v29
	v_and_b32_e32 v29, 0xffff, v29
	v_dual_mul_f32 v8, v26, v24 :: v_dual_mul_f32 v21, v39, v21
	v_dual_mul_f32 v24, v40, v27 :: v_dual_lshrrev_b32 v26, 16, v9
	v_mul_f32_e32 v25, v38, v25
	v_and_b32_e32 v9, 0xffff, v9
	s_delay_alu instid0(VALU_DEP_3) | instskip(NEXT) | instid1(VALU_DEP_3)
	v_dual_fmac_f32 v21, v32, v34 :: v_dual_fmac_f32 v24, v35, v36
	v_fmac_f32_e32 v25, v30, v37
	s_wait_dscnt 0x0
	v_and_b32_e32 v43, 0xffff, v22
	v_dual_lshrrev_b32 v22, 16, v22 :: v_dual_lshrrev_b32 v44, 16, v23
	v_and_b32_e32 v23, 0xffff, v23
	;;#ASMSTART
	v_cvt_f32_f16 v43, v43;
	;;#ASMEND
	;;#ASMSTART
	v_cvt_f32_f16 v45, v22;
	;;#ASMEND
	;; [unrolled: 3-line block ×8, first 2 shown]
	ds_load_b64 v[22:23], v13 offset:24
	v_fmac_f32_e32 v8, v31, v33
	v_fmac_f32_e32 v21, v45, v41
	v_dual_fmac_f32 v24, v46, v29 :: v_dual_fmac_f32 v25, v44, v42
	s_wait_dscnt 0x0
	v_and_b32_e32 v27, 0xffff, v22
	v_dual_lshrrev_b32 v22, 16, v22 :: v_dual_fmac_f32 v8, v43, v28
	;;#ASMSTART
	v_cvt_f32_f16 v27, v27;
	;;#ASMEND
	;;#ASMSTART
	v_cvt_f32_f16 v22, v22;
	;;#ASMEND
	;; [unrolled: 3-line block ×3, first 2 shown]
	s_delay_alu instid0(VALU_DEP_1)
	v_dual_lshrrev_b32 v28, 16, v23 :: v_dual_fmac_f32 v8, v27, v29
	;;#ASMSTART
	v_cvt_f32_f16 v30, v47;
	;;#ASMEND
	v_fmac_f32_e32 v21, v22, v30
	v_and_b32_e32 v23, 0xffff, v23
	;;#ASMSTART
	v_cvt_f32_f16 v22, v23;
	;;#ASMEND
	;;#ASMSTART
	v_cvt_f32_f16 v23, v28;
	;;#ASMEND
	;; [unrolled: 3-line block ×3, first 2 shown]
	v_fmac_f32_e32 v24, v22, v9
	v_add_f32_e32 v8, v8, v21
	;;#ASMSTART
	v_cvt_f32_f16 v9, v26;
	;;#ASMEND
	v_fmac_f32_e32 v25, v23, v9
	s_delay_alu instid0(VALU_DEP_2) | instskip(NEXT) | instid1(VALU_DEP_1)
	v_dual_cndmask_b32 v9, v11, v19, s4 :: v_dual_add_f32 v8, v8, v24
	v_dual_add_f32 v8, v25, v8 :: v_dual_lshlrev_b32 v9, 2, v9
	ds_bpermute_b32 v9, v9, v8
	s_and_saveexec_b32 s25, vcc_lo
	s_cbranch_execz .LBB81_8
; %bb.10:                               ;   in Loop: Header=BB81_9 Depth=1
	s_wait_dscnt 0x0
	v_dual_add_f32 v8, v8, v9 :: v_dual_add_nc_u32 v21, s15, v14
	v_cmp_gt_i32_e64 s4, s21, v14
	s_delay_alu instid0(VALU_DEP_2) | instskip(NEXT) | instid1(VALU_DEP_1)
	v_cvt_f32_i32_e32 v21, v21
	v_mul_f32_e32 v21, s23, v21
	s_delay_alu instid0(VALU_DEP_1) | instskip(NEXT) | instid1(VALU_DEP_1)
	v_dual_cndmask_b32 v9, 0, v21, s3 :: v_dual_max_num_f32 v21, v12, v12
	v_fmac_f32_e32 v9, s7, v8
	s_delay_alu instid0(VALU_DEP_1) | instskip(NEXT) | instid1(VALU_DEP_1)
	v_dual_max_num_f32 v8, v21, v9 :: v_dual_cndmask_b32 v9, 0, v9, s4
	v_cndmask_b32_e64 v12, v12, v8, s4
	ds_store_b32 v18, v9
	s_branch .LBB81_8
.LBB81_11:
	s_or_b32 exec_lo, exec_lo, s6
.LBB81_12:
	s_delay_alu instid0(SALU_CYCLE_1)
	s_or_b32 exec_lo, exec_lo, s24
	v_dual_max_num_f32 v7, v12, v12 :: v_dual_bitop2_b32 v4, 16, v11 bitop3:0x14
	s_clause 0x1
	s_load_b64 s[6:7], s[0:1], 0x0
	s_load_b64 s[16:17], s[0:1], 0x18
	v_and_b32_e32 v18, 31, v0
	v_xor_b32_e32 v6, 8, v11
	v_cmp_lt_i32_e32 vcc_lo, v4, v2
	v_dual_cndmask_b32 v4, v11, v4, vcc_lo :: v_dual_bitop2_b32 v8, 4, v11 bitop3:0x14
	s_delay_alu instid0(VALU_DEP_3) | instskip(NEXT) | instid1(VALU_DEP_2)
	v_cmp_lt_i32_e32 vcc_lo, v6, v2
	v_dual_cndmask_b32 v6, v11, v6 :: v_dual_lshlrev_b32 v5, 2, v4
	s_delay_alu instid0(VALU_DEP_3) | instskip(SKIP_3) | instid1(VALU_DEP_1)
	v_cmp_lt_i32_e32 vcc_lo, v8, v2
	ds_bpermute_b32 v4, v5, v12
	s_wait_dscnt 0x0
	v_dual_lshlrev_b32 v6, 2, v6 :: v_dual_max_num_f32 v4, v4, v4
	v_max_num_f32_e32 v4, v7, v4
	ds_bpermute_b32 v7, v6, v4
	s_wait_dscnt 0x0
	v_max_num_f32_e32 v9, v7, v7
	s_delay_alu instid0(VALU_DEP_1) | instskip(NEXT) | instid1(VALU_DEP_1)
	v_dual_cndmask_b32 v8, v11, v8, vcc_lo :: v_dual_max_num_f32 v4, v4, v9
	v_lshlrev_b32_e32 v7, 2, v8
	ds_bpermute_b32 v8, v7, v4
	s_wait_dscnt 0x0
	v_dual_max_num_f32 v8, v8, v8 :: v_dual_bitop2_b32 v9, 2, v11 bitop3:0x14
	s_delay_alu instid0(VALU_DEP_1) | instskip(NEXT) | instid1(VALU_DEP_2)
	v_cmp_lt_i32_e32 vcc_lo, v9, v2
	v_dual_cndmask_b32 v12, v11, v9 :: v_dual_max_num_f32 v9, v4, v8
	v_cmp_eq_u32_e32 vcc_lo, 0, v18
	s_delay_alu instid0(VALU_DEP_2)
	v_dual_lshlrev_b32 v8, 2, v17 :: v_dual_lshlrev_b32 v4, 2, v12
	ds_bpermute_b32 v12, v4, v9
	s_wait_xcnt 0x0
	s_and_saveexec_b32 s0, vcc_lo
	s_cbranch_execz .LBB81_14
; %bb.13:
	s_wait_dscnt 0x0
	v_dual_max_num_f32 v12, v12, v12 :: v_dual_max_num_f32 v9, v9, v9
	s_delay_alu instid0(VALU_DEP_1)
	v_max_num_f32_e32 v9, v9, v12
	ds_store_b32 v8, v9 offset:64
.LBB81_14:
	s_or_b32 exec_lo, exec_lo, s0
	v_cmp_gt_u32_e64 s0, 4, v18
	s_wait_dscnt 0x0
	v_dual_mov_b32 v12, 0xff7fffff :: v_dual_lshlrev_b32 v9, 2, v18
	s_barrier_signal -1
	s_barrier_wait -1
	s_and_saveexec_b32 s1, s0
; %bb.15:
	ds_load_b32 v12, v9 offset:64
; %bb.16:
	s_or_b32 exec_lo, exec_lo, s1
	s_wait_dscnt 0x0
	ds_bpermute_b32 v13, v4, v12
	v_dual_max_num_f32 v12, v12, v12 :: v_dual_bitop2_b32 v14, 1, v11 bitop3:0x14
	v_lshlrev_b32_e32 v3, 2, v3
	s_delay_alu instid0(VALU_DEP_2) | instskip(NEXT) | instid1(VALU_DEP_1)
	v_cmp_lt_i32_e64 s1, v14, v2
	v_cndmask_b32_e64 v2, v11, v14, s1
	s_lshl_b32 s1, s22, 4
	s_delay_alu instid0(SALU_CYCLE_1) | instskip(NEXT) | instid1(SALU_CYCLE_1)
	s_min_i32 s4, s1, s21
	v_cmp_gt_i32_e64 s1, s4, v0
	s_wait_dscnt 0x0
	v_dual_max_num_f32 v13, v13, v13 :: v_dual_lshlrev_b32 v19, 2, v2
	s_delay_alu instid0(VALU_DEP_1) | instskip(SKIP_3) | instid1(VALU_DEP_1)
	v_max_num_f32_e32 v2, v12, v13
	ds_bpermute_b32 v12, v19, v2
	s_wait_dscnt 0x0
	v_max_num_f32_e32 v12, v12, v12
	v_max_num_f32_e32 v2, v2, v12
	ds_bpermute_b32 v3, v3, v2
	v_mov_b32_e32 v2, 0
	s_and_saveexec_b32 s15, s1
	s_cbranch_execz .LBB81_20
; %bb.17:
	v_lshl_add_u32 v12, v0, 2, 0x60
	v_dual_mov_b32 v2, 0 :: v_dual_mov_b32 v13, v0
	s_mov_b32 s23, 0
.LBB81_18:                              ; =>This Inner Loop Header: Depth=1
	ds_load_b32 v14, v12
	v_add_nc_u32_e32 v13, 0x80, v13
	s_delay_alu instid0(VALU_DEP_1) | instskip(SKIP_3) | instid1(VALU_DEP_1)
	v_cmp_le_i32_e64 s3, s4, v13
	s_or_b32 s23, s3, s23
	s_wait_dscnt 0x0
	v_sub_f32_e32 v14, v14, v3
	v_mul_f32_e32 v14, 0x3fb8aa3b, v14
	s_delay_alu instid0(VALU_DEP_1)
	v_exp_f32_e32 v14, v14
	ds_store_b32 v12, v14
	v_nop
	v_add_f32_e32 v2, v2, v14
	v_add_nc_u32_e32 v12, 0x200, v12
	s_and_not1_b32 exec_lo, exec_lo, s23
	s_cbranch_execnz .LBB81_18
; %bb.19:
	s_or_b32 exec_lo, exec_lo, s23
.LBB81_20:
	s_delay_alu instid0(SALU_CYCLE_1)
	s_or_b32 exec_lo, exec_lo, s15
	s_wait_dscnt 0x0
	ds_bpermute_b32 v3, v5, v2
	s_wait_dscnt 0x0
	v_add_f32_e32 v2, v2, v3
	ds_bpermute_b32 v3, v6, v2
	s_wait_dscnt 0x0
	v_add_f32_e32 v2, v2, v3
	;; [unrolled: 3-line block ×5, first 2 shown]
	s_and_saveexec_b32 s3, vcc_lo
; %bb.21:
	ds_store_b32 v8, v2 offset:80
; %bb.22:
	s_or_b32 exec_lo, exec_lo, s3
	s_wait_dscnt 0x0
	s_barrier_signal -1
	s_barrier_wait -1
	s_and_saveexec_b32 s3, s0
; %bb.23:
	ds_load_b32 v2, v9 offset:80
; %bb.24:
	s_or_b32 exec_lo, exec_lo, s3
	s_wait_dscnt 0x0
	ds_bpermute_b32 v3, v4, v2
	v_lshlrev_b32_e32 v4, 2, v11
	s_wait_dscnt 0x0
	v_add_f32_e32 v2, v2, v3
	ds_bpermute_b32 v3, v19, v2
	s_wait_dscnt 0x0
	v_add_f32_e32 v2, v2, v3
	v_and_b32_e32 v3, 0xffffff80, v4
	ds_bpermute_b32 v2, v3, v2
	s_and_saveexec_b32 s0, s1
	s_cbranch_execz .LBB81_37
; %bb.25:
	s_wait_dscnt 0x0
	v_add_f32_e32 v2, 0x358637bd, v2
	s_mov_b32 s3, -1
	s_mov_b32 s1, exec_lo
	s_delay_alu instid0(VALU_DEP_1) | instskip(NEXT) | instid1(VALU_DEP_1)
	v_div_scale_f32 v3, null, v2, v2, 1.0
	v_rcp_f32_e32 v5, v3
	v_nop
	s_delay_alu instid0(TRANS32_DEP_1) | instskip(NEXT) | instid1(VALU_DEP_1)
	v_fma_f32 v4, -v3, v5, 1.0
	v_fmac_f32_e32 v5, v4, v5
	v_div_scale_f32 v6, vcc_lo, 1.0, v2, 1.0
	s_delay_alu instid0(VALU_DEP_1) | instskip(NEXT) | instid1(VALU_DEP_1)
	v_mul_f32_e32 v7, v6, v5
	v_fma_f32 v4, -v3, v7, v6
	s_delay_alu instid0(VALU_DEP_1) | instskip(SKIP_1) | instid1(VALU_DEP_2)
	v_fmac_f32_e32 v7, v4, v5
	v_xad_u32 v4, v0, -1, s4
	v_fma_f32 v3, -v3, v7, v6
	s_delay_alu instid0(VALU_DEP_1) | instskip(NEXT) | instid1(VALU_DEP_1)
	v_div_fmas_f32 v3, v3, v5, v7
	v_div_fixup_f32 v2, v3, v2, 1.0
	v_mov_b32_e32 v3, v0
	v_cmpx_lt_u32_e32 0x7f, v4
	s_cbranch_execz .LBB81_34
; %bb.26:
	s_delay_alu instid0(VALU_DEP_3) | instskip(NEXT) | instid1(VALU_DEP_1)
	v_dual_mov_b32 v3, v2 :: v_dual_lshrrev_b32 v4, 7, v4
	v_dual_mov_b32 v8, 0 :: v_dual_add_nc_u32 v5, -1, v4
	s_delay_alu instid0(VALU_DEP_1) | instskip(SKIP_1) | instid1(VALU_DEP_2)
	v_lshrrev_b32_e32 v6, 1, v5
	v_cmp_lt_u32_e32 vcc_lo, 13, v5
	v_add_nc_u32_e32 v5, 1, v6
	s_and_saveexec_b32 s3, vcc_lo
	s_cbranch_execz .LBB81_30
; %bb.27:
	s_delay_alu instid0(VALU_DEP_1)
	v_and_b32_e32 v6, -8, v5
	v_lshl_add_u32 v7, v0, 2, 0x60
	s_mov_b32 s15, 0
	s_mov_b32 s23, 0
.LBB81_28:                              ; =>This Inner Loop Header: Depth=1
	ds_load_2addr_stride64_b32 v[8:9], v7 offset1:2
	ds_load_2addr_stride64_b32 v[12:13], v7 offset0:4 offset1:6
	ds_load_2addr_stride64_b32 v[20:21], v7 offset0:8 offset1:10
	;; [unrolled: 1-line block ×7, first 2 shown]
	s_add_co_i32 s23, s23, 16
	v_add_nc_u32_e32 v6, -8, v6
	s_wait_dscnt 0x7
	v_pk_mul_f32 v[8:9], v[2:3], v[8:9]
	s_wait_dscnt 0x6
	v_pk_mul_f32 v[12:13], v[2:3], v[12:13]
	;; [unrolled: 2-line block ×8, first 2 shown]
	ds_store_2addr_stride64_b32 v7, v8, v9 offset1:2
	ds_store_2addr_stride64_b32 v7, v12, v13 offset0:4 offset1:6
	ds_store_2addr_stride64_b32 v7, v20, v21 offset0:8 offset1:10
	;; [unrolled: 1-line block ×7, first 2 shown]
	v_mov_b32_e32 v8, s23
	v_cmp_eq_u32_e32 vcc_lo, 0, v6
	v_add_nc_u32_e32 v7, 0x2000, v7
	s_or_b32 s15, vcc_lo, s15
	s_delay_alu instid0(SALU_CYCLE_1)
	s_and_not1_b32 exec_lo, exec_lo, s15
	s_cbranch_execnz .LBB81_28
; %bb.29:
	s_or_b32 exec_lo, exec_lo, s15
.LBB81_30:
	s_delay_alu instid0(SALU_CYCLE_1) | instskip(NEXT) | instid1(VALU_DEP_1)
	s_or_b32 exec_lo, exec_lo, s3
	v_and_b32_e32 v5, 7, v5
	s_mov_b32 s15, 0
	s_mov_b32 s3, exec_lo
	s_delay_alu instid0(VALU_DEP_1)
	v_cmpx_ne_u32_e32 0, v5
	s_cbranch_execz .LBB81_33
; %bb.31:
	v_lshlrev_b32_e32 v6, 9, v8
	v_lshlrev_b32_e32 v7, 2, v0
	s_delay_alu instid0(VALU_DEP_1)
	v_add3_u32 v6, v6, v7, 0x60
.LBB81_32:                              ; =>This Inner Loop Header: Depth=1
	ds_load_2addr_stride64_b32 v[8:9], v6 offset1:2
	v_add_nc_u32_e32 v5, -1, v5
	s_delay_alu instid0(VALU_DEP_1)
	v_cmp_eq_u32_e32 vcc_lo, 0, v5
	s_or_b32 s15, vcc_lo, s15
	s_wait_dscnt 0x0
	v_pk_mul_f32 v[8:9], v[2:3], v[8:9]
	ds_store_2addr_stride64_b32 v6, v8, v9 offset1:2
	v_add_nc_u32_e32 v6, 0x400, v6
	s_and_not1_b32 exec_lo, exec_lo, s15
	s_cbranch_execnz .LBB81_32
.LBB81_33:
	s_or_b32 exec_lo, exec_lo, s3
	v_add_nc_u32_e32 v3, 1, v4
	s_delay_alu instid0(VALU_DEP_1) | instskip(NEXT) | instid1(VALU_DEP_1)
	v_and_b32_e32 v4, 0x3fffffe, v3
	v_cmp_ne_u32_e32 vcc_lo, v3, v4
	v_lshl_add_u32 v3, v4, 7, v0
	s_or_not1_b32 s3, vcc_lo, exec_lo
.LBB81_34:
	s_or_b32 exec_lo, exec_lo, s1
	s_delay_alu instid0(SALU_CYCLE_1)
	s_and_b32 exec_lo, exec_lo, s3
	s_cbranch_execz .LBB81_37
; %bb.35:
	v_lshl_add_u32 v4, v3, 2, 0x60
	s_mov_b32 s1, 0
.LBB81_36:                              ; =>This Inner Loop Header: Depth=1
	ds_load_b32 v5, v4
	v_add_nc_u32_e32 v3, 0x80, v3
	s_delay_alu instid0(VALU_DEP_1)
	v_cmp_le_i32_e32 vcc_lo, s4, v3
	s_or_b32 s1, vcc_lo, s1
	s_wait_dscnt 0x0
	v_mul_f32_e32 v5, v2, v5
	ds_store_b32 v4, v5
	v_add_nc_u32_e32 v4, 0x200, v4
	s_and_not1_b32 exec_lo, exec_lo, s1
	s_cbranch_execnz .LBB81_36
.LBB81_37:
	s_or_b32 exec_lo, exec_lo, s0
	v_dual_mov_b32 v7, 0 :: v_dual_mov_b32 v6, 0
	s_wait_dscnt 0x0
	s_barrier_signal -1
	s_barrier_wait -1
	s_and_saveexec_b32 s1, s2
	s_cbranch_execz .LBB81_45
; %bb.38:
	v_dual_lshlrev_b32 v2, 4, v0 :: v_dual_bitop2_b32 v3, 8, v10 bitop3:0x40
	s_ashr_i32 s15, s14, 31
	v_dual_mov_b32 v7, 0 :: v_dual_lshlrev_b32 v4, 5, v16
	s_delay_alu instid0(VALU_DEP_2)
	v_and_b32_e32 v6, 0x1f0, v2
	s_lshl_b64 s[14:15], s[14:15], 1
	s_ashr_i32 s3, s5, 31
	s_wait_kmcnt 0x0
	s_add_nc_u64 s[14:15], s[16:17], s[14:15]
	s_mov_b32 s2, s5
	v_add_nc_u64_e32 v[8:9], s[14:15], v[6:7]
	v_and_b32_e32 v6, 0x7c, v1
	s_lshl_b64 s[4:5], s[10:11], 2
	v_lshl_or_b32 v2, v17, 6, v4
	s_add_nc_u64 s[4:5], s[12:13], s[4:5]
	v_lshl_or_b32 v20, v17, 4, v3
	v_add_nc_u64_e32 v[10:11], s[4:5], v[6:7]
	s_delay_alu instid0(VALU_DEP_3)
	v_dual_mov_b32 v22, v17 :: v_dual_add_nc_u32 v21, 0x60, v2
	v_mov_b32_e32 v6, v7
	s_add_co_i32 s4, s22, -1
	s_mov_b32 s10, s21
	s_mov_b32 s5, 0
	s_branch .LBB81_40
.LBB81_39:                              ;   in Loop: Header=BB81_40 Depth=1
	s_or_b32 exec_lo, exec_lo, s0
	v_dual_lshlrev_b32 v12, 16, v12 :: v_dual_lshlrev_b32 v1, 16, v1
	s_delay_alu instid0(VALU_DEP_2) | instskip(SKIP_2) | instid1(VALU_DEP_4)
	v_lshlrev_b32_e32 v13, 16, v13
	v_add_nc_u64_e32 v[10:11], 16, v[10:11]
	v_add_nc_u32_e32 v21, 0x100, v21
	v_and_or_b32 v2, 0xffff, v2, v12
	v_and_or_b32 v1, 0xffff, v3, v1
	;; [unrolled: 1-line block ×3, first 2 shown]
	;;#ASMSTART
	v_pk_mul_f16 v2, v31, v2;

	;;#ASMEND
	;;#ASMSTART
	v_pk_mul_f16 v1, v14, v1;

	;;#ASMEND
	;; [unrolled: 4-line block ×4, first 2 shown]
	;;#ASMSTART
	v_pk_add_f16 v1, v2, v1;

	;;#ASMEND
	;;#ASMSTART
	v_pk_add_f16 v1, v1, v3;

	;;#ASMEND
	;; [unrolled: 4-line block ×3, first 2 shown]
	v_and_b32_e32 v2, 0xffff, v1
	v_dual_lshrrev_b32 v3, 16, v1 :: v_dual_add_nc_u32 v22, 4, v22
	;;#ASMSTART
	v_cvt_f32_f16 v2, v2;
	;;#ASMEND
	v_add_f32_e32 v1, v33, v34
	;;#ASMSTART
	v_cvt_f32_f16 v3, v3;
	;;#ASMEND
	s_delay_alu instid0(VALU_DEP_2) | instskip(SKIP_1) | instid1(VALU_DEP_2)
	v_dual_add_f32 v2, v2, v3 :: v_dual_add_nc_u32 v20, 64, v20
	v_cmp_le_i32_e32 vcc_lo, s22, v22
	v_dual_add_f32 v6, v6, v1 :: v_dual_add_f32 v7, v7, v2
	s_or_b32 s5, vcc_lo, s5
	s_delay_alu instid0(SALU_CYCLE_1)
	s_and_not1_b32 exec_lo, exec_lo, s5
	s_cbranch_execz .LBB81_44
.LBB81_40:                              ; =>This Inner Loop Header: Depth=1
	global_load_b32 v2, v[10:11], off
	v_cmp_eq_u32_e32 vcc_lo, s4, v22
	v_dual_add_nc_u32 v28, 2, v20 :: v_dual_add_nc_u32 v23, 5, v20
	s_wait_loadcnt 0x0
	v_ashrrev_i32_e32 v3, 31, v2
	s_delay_alu instid0(VALU_DEP_1)
	v_mul_u64_e32 v[12:13], s[2:3], v[2:3]
	ds_load_2addr_b64 v[2:5], v21 offset1:1
	ds_load_2addr_b64 v[24:27], v21 offset0:2 offset1:3
	s_wait_dscnt 0x1
	;;#ASMSTART
	v_cvt_f16_f32 v36, v2;

	;;#ASMEND
	;;#ASMSTART
	v_cvt_f16_f32 v31, v3;

	;;#ASMEND
	;; [unrolled: 4-line block ×4, first 2 shown]
	s_wait_dscnt 0x0
	;;#ASMSTART
	v_cvt_f16_f32 v38, v24;

	;;#ASMEND
	;;#ASMSTART
	v_cvt_f16_f32 v33, v25;

	;;#ASMEND
	;; [unrolled: 4-line block ×4, first 2 shown]
	v_dual_add_nc_u32 v24, 4, v20 :: v_dual_add_nc_u32 v26, 6, v20
	v_dual_add_nc_u32 v25, 7, v20 :: v_dual_bitop2_b32 v27, 1, v20 bitop3:0x54
	v_lshl_add_u64 v[12:13], v[12:13], 1, v[8:9]
	global_load_b128 v[2:5], v[12:13], off
	s_wait_loadcnt 0x0
	v_dual_lshrrev_b32 v1, 16, v3 :: v_dual_bitop2_b32 v29, 3, v20 bitop3:0x54
	v_dual_lshrrev_b32 v14, 16, v2 :: v_dual_lshrrev_b32 v30, 16, v4
	s_and_saveexec_b32 s11, vcc_lo
	s_cbranch_execz .LBB81_42
; %bb.41:                               ;   in Loop: Header=BB81_40 Depth=1
	v_cmp_gt_i32_e64 s0, s21, v20
	v_and_b32_e32 v39, 0xffff, v5
	v_and_b32_e32 v5, 0xffff0000, v5
	s_delay_alu instid0(VALU_DEP_3) | instskip(SKIP_1) | instid1(VALU_DEP_1)
	v_cndmask_b32_e64 v2, 0, v2, s0
	v_cmp_gt_i32_e64 s0, s21, v28
	v_cndmask_b32_e64 v3, 0, v3, s0
	v_cmp_gt_i32_e64 s0, s10, v29
	s_delay_alu instid0(VALU_DEP_1) | instskip(SKIP_1) | instid1(VALU_DEP_1)
	v_cndmask_b32_e64 v1, 0, v1, s0
	v_cmp_gt_i32_e64 s0, s21, v27
	v_cndmask_b32_e64 v14, 0, v14, s0
	v_cmp_gt_i32_e64 s0, s21, v26
	s_delay_alu instid0(VALU_DEP_1) | instskip(SKIP_1) | instid1(VALU_DEP_1)
	;; [unrolled: 5-line block ×3, first 2 shown]
	v_dual_cndmask_b32 v4, 0, v4, s0 :: v_dual_bitop2_b32 v5, v39, v5 bitop3:0x54
	v_cmp_gt_i32_e64 s0, s21, v23
	v_cndmask_b32_e64 v30, 0, v30, s0
.LBB81_42:                              ;   in Loop: Header=BB81_40 Depth=1
	s_or_b32 exec_lo, exec_lo, s11
	v_and_b32_e32 v37, 0xffff, v37
	v_dual_lshlrev_b32 v39, 16, v14 :: v_dual_lshlrev_b32 v1, 16, v1
	v_and_b32_e32 v36, 0xffff, v36
	v_and_b32_e32 v38, 0xffff, v38
	s_delay_alu instid0(VALU_DEP_4)
	v_lshl_or_b32 v14, v34, 16, v37
	v_lshlrev_b32_e32 v34, 16, v30
	v_and_b32_e32 v35, 0xffff, v35
	v_and_or_b32 v2, 0xffff, v2, v39
	v_and_or_b32 v1, 0xffff, v3, v1
	v_lshl_or_b32 v31, v31, 16, v36
	v_and_or_b32 v3, 0xffff, v4, v34
	;;#ASMSTART
	v_pk_mul_f16 v2, v31, v2;

	;;#ASMEND
	;;#ASMSTART
	v_pk_mul_f16 v1, v14, v1;

	;;#ASMEND
	v_lshl_or_b32 v30, v33, 16, v38
	v_lshl_or_b32 v32, v32, 16, v35
	;;#ASMSTART
	v_pk_mul_f16 v3, v30, v3;

	;;#ASMEND
	;;#ASMSTART
	v_pk_mul_f16 v4, v32, v5;

	;;#ASMEND
	;;#ASMSTART
	v_pk_add_f16 v1, v2, v1;

	;;#ASMEND
	;;#ASMSTART
	v_pk_add_f16 v1, v1, v3;
	;; [unrolled: 4-line block ×3, first 2 shown]

	;;#ASMEND
	v_and_b32_e32 v2, 0xffff, v1
	v_lshrrev_b32_e32 v1, 16, v1
	;;#ASMSTART
	v_cvt_f32_f16 v33, v2;
	;;#ASMEND
	;;#ASMSTART
	v_cvt_f32_f16 v34, v1;
	;;#ASMEND
	global_load_b128 v[2:5], v[12:13], off offset:512
	s_wait_loadcnt 0x0
	v_dual_lshrrev_b32 v1, 16, v3 :: v_dual_lshrrev_b32 v12, 16, v2
	v_lshrrev_b32_e32 v13, 16, v4
	s_and_saveexec_b32 s0, vcc_lo
	s_cbranch_execz .LBB81_39
; %bb.43:                               ;   in Loop: Header=BB81_40 Depth=1
	v_cmp_gt_i32_e32 vcc_lo, s21, v20
	v_cndmask_b32_e32 v2, 0, v2, vcc_lo
	v_cmp_gt_i32_e32 vcc_lo, s21, v28
	v_and_b32_e32 v28, 0xffff, v5
	v_and_b32_e32 v5, 0xffff0000, v5
	v_cndmask_b32_e32 v3, 0, v3, vcc_lo
	v_cmp_gt_i32_e32 vcc_lo, s10, v29
	v_cndmask_b32_e32 v1, 0, v1, vcc_lo
	v_cmp_gt_i32_e32 vcc_lo, s21, v27
	;; [unrolled: 2-line block ×5, first 2 shown]
	s_delay_alu instid0(VALU_DEP_2)
	v_dual_cndmask_b32 v4, 0, v4, vcc_lo :: v_dual_bitop2_b32 v5, v26, v5 bitop3:0x54
	v_cmp_gt_i32_e32 vcc_lo, s21, v23
	v_cndmask_b32_e32 v13, 0, v13, vcc_lo
	s_branch .LBB81_39
.LBB81_44:
	s_or_b32 exec_lo, exec_lo, s5
.LBB81_45:
	s_delay_alu instid0(SALU_CYCLE_1)
	s_or_b32 exec_lo, exec_lo, s1
	ds_bpermute_b32 v2, v19, v6
	ds_bpermute_b32 v3, v19, v7
	v_lshrrev_b32_e32 v1, 1, v18
	v_and_b32_e32 v5, 0x3c1, v0
	s_mov_b32 s0, exec_lo
	s_wait_dscnt 0x0
	s_barrier_signal -1
	v_lshl_add_u32 v4, v1, 2, 0x60
	s_barrier_wait -1
	v_pk_add_f32 v[2:3], v[6:7], v[2:3]
	v_cmpx_eq_u32_e32 64, v5
	s_cbranch_execz .LBB81_47
; %bb.46:
	v_lshl_add_u32 v5, v17, 7, v4
	s_delay_alu instid0(VALU_DEP_1)
	v_add_nc_u32_e32 v6, 0xffffff00, v5
	v_add_nc_u32_e32 v5, 0xffffff40, v5
	ds_store_b32 v6, v2
	ds_store_b32 v5, v3
.LBB81_47:
	s_or_b32 exec_lo, exec_lo, s0
	v_and_b32_e32 v5, 0x3e0, v0
	v_lshlrev_b32_e32 v1, 2, v1
	s_mov_b32 s1, exec_lo
	v_cmp_eq_u32_e32 vcc_lo, 0, v16
	s_wait_dscnt 0x0
	v_lshlrev_b32_e32 v5, 2, v5
	s_barrier_signal -1
	s_barrier_wait -1
	s_delay_alu instid0(VALU_DEP_1)
	v_add3_u32 v1, 0x60, v5, v1
	v_cmpx_gt_u32_e32 64, v0
	s_cbranch_execz .LBB81_53
; %bb.48:
	s_and_saveexec_b32 s0, vcc_lo
	s_cbranch_execz .LBB81_50
; %bb.49:
	ds_load_b32 v5, v1
	s_wait_dscnt 0x0
	v_add_f32_e32 v2, v2, v5
.LBB81_50:
	s_or_b32 exec_lo, exec_lo, s0
	s_and_saveexec_b32 s0, vcc_lo
	s_cbranch_execz .LBB81_52
; %bb.51:
	ds_load_b32 v5, v1 offset:64
	s_wait_dscnt 0x0
	v_add_f32_e32 v3, v3, v5
.LBB81_52:
	s_or_b32 exec_lo, exec_lo, s0
.LBB81_53:
	s_delay_alu instid0(SALU_CYCLE_1) | instskip(SKIP_4) | instid1(VALU_DEP_1)
	s_or_b32 exec_lo, exec_lo, s1
	v_and_b32_e32 v5, 0x3e1, v0
	s_mov_b32 s1, exec_lo
	s_barrier_signal -1
	s_barrier_wait -1
	v_cmpx_eq_u32_e32 32, v5
; %bb.54:
	ds_store_2addr_b32 v4, v2, v3 offset1:16
; %bb.55:
	s_or_b32 exec_lo, exec_lo, s1
	s_delay_alu instid0(SALU_CYCLE_1)
	s_mov_b32 s1, exec_lo
	s_wait_dscnt 0x0
	s_barrier_signal -1
	s_barrier_wait -1
	v_cmpx_gt_u32_e32 32, v0
	s_cbranch_execz .LBB81_61
; %bb.56:
	s_and_saveexec_b32 s0, vcc_lo
	s_cbranch_execz .LBB81_58
; %bb.57:
	ds_load_b32 v0, v1
	s_wait_dscnt 0x0
	v_add_f32_e32 v2, v2, v0
.LBB81_58:
	s_or_b32 exec_lo, exec_lo, s0
	s_and_saveexec_b32 s0, vcc_lo
	s_cbranch_execz .LBB81_60
; %bb.59:
	ds_load_b32 v0, v1 offset:64
	s_wait_dscnt 0x0
	v_add_f32_e32 v3, v3, v0
.LBB81_60:
	s_or_b32 exec_lo, exec_lo, s0
.LBB81_61:
	s_delay_alu instid0(SALU_CYCLE_1)
	s_or_b32 exec_lo, exec_lo, s1
	s_mov_b32 s1, 0
	s_barrier_signal -1
	s_barrier_wait -1
	s_mov_b32 s0, exec_lo
	v_cmpx_eq_u32_e32 0, v5
	s_cbranch_execz .LBB81_63
; %bb.62:
	s_wait_kmcnt 0x0
	s_mul_i32 s0, s20, s9
	s_mul_i32 s2, s9, s8
	;; [unrolled: 1-line block ×3, first 2 shown]
	s_lshr_b32 s8, ttmp7, 16
	s_lshl_b32 s4, s0, 5
	s_bfe_u32 s0, ttmp6, 0x40014
	s_ashr_i32 s5, s4, 31
	s_add_co_i32 s0, s0, 1
	s_ashr_i32 s3, s2, 31
	s_mul_i32 s0, s8, s0
	s_bfe_u32 s9, ttmp6, 0x40008
	s_lshl_b64 s[4:5], s[4:5], 1
	s_lshl_b64 s[2:3], s[2:3], 1
	s_add_co_i32 s9, s9, s0
	s_cmp_eq_u32 s18, 0
	s_add_nc_u64 s[4:5], s[6:7], s[4:5]
	s_cselect_b32 s0, s8, s9
	s_add_nc_u64 s[2:3], s[4:5], s[2:3]
	s_lshl_b32 s0, s0, 6
	;;#ASMSTART
	v_cvt_f16_f32 v0, v2;

	;;#ASMEND
	s_add_nc_u64 s[0:1], s[2:3], s[0:1]
	global_store_b16 v15, v0, s[0:1] scale_offset
	s_wait_xcnt 0x0
	;;#ASMSTART
	v_cvt_f16_f32 v0, v3;

	;;#ASMEND
	global_store_b16 v15, v0, s[0:1] offset:32 scale_offset
.LBB81_63:
	s_endpgm
	.section	.rodata,"a",@progbits
	.p2align	6, 0x0
	.amdhsa_kernel _ZN4vllm25paged_attention_v1_kernelIttLi32ELi16ELi128ELNS_18Fp8KVCacheDataTypeE0ELb0EEEvPT_PKS2_PKT0_S8_ifPKiSA_iPKfiiiSC_SC_iiiii
		.amdhsa_group_segment_fixed_size 96
		.amdhsa_private_segment_fixed_size 0
		.amdhsa_kernarg_size 384
		.amdhsa_user_sgpr_count 2
		.amdhsa_user_sgpr_dispatch_ptr 0
		.amdhsa_user_sgpr_queue_ptr 0
		.amdhsa_user_sgpr_kernarg_segment_ptr 1
		.amdhsa_user_sgpr_dispatch_id 0
		.amdhsa_user_sgpr_kernarg_preload_length 0
		.amdhsa_user_sgpr_kernarg_preload_offset 0
		.amdhsa_user_sgpr_private_segment_size 0
		.amdhsa_wavefront_size32 1
		.amdhsa_uses_dynamic_stack 0
		.amdhsa_enable_private_segment 0
		.amdhsa_system_sgpr_workgroup_id_x 1
		.amdhsa_system_sgpr_workgroup_id_y 1
		.amdhsa_system_sgpr_workgroup_id_z 1
		.amdhsa_system_sgpr_workgroup_info 0
		.amdhsa_system_vgpr_workitem_id 0
		.amdhsa_next_free_vgpr 49
		.amdhsa_next_free_sgpr 30
		.amdhsa_named_barrier_count 0
		.amdhsa_reserve_vcc 1
		.amdhsa_float_round_mode_32 0
		.amdhsa_float_round_mode_16_64 0
		.amdhsa_float_denorm_mode_32 3
		.amdhsa_float_denorm_mode_16_64 3
		.amdhsa_fp16_overflow 0
		.amdhsa_memory_ordered 1
		.amdhsa_forward_progress 1
		.amdhsa_inst_pref_size 35
		.amdhsa_round_robin_scheduling 0
		.amdhsa_exception_fp_ieee_invalid_op 0
		.amdhsa_exception_fp_denorm_src 0
		.amdhsa_exception_fp_ieee_div_zero 0
		.amdhsa_exception_fp_ieee_overflow 0
		.amdhsa_exception_fp_ieee_underflow 0
		.amdhsa_exception_fp_ieee_inexact 0
		.amdhsa_exception_int_div_zero 0
	.end_amdhsa_kernel
	.section	.text._ZN4vllm25paged_attention_v1_kernelIttLi32ELi16ELi128ELNS_18Fp8KVCacheDataTypeE0ELb0EEEvPT_PKS2_PKT0_S8_ifPKiSA_iPKfiiiSC_SC_iiiii,"axG",@progbits,_ZN4vllm25paged_attention_v1_kernelIttLi32ELi16ELi128ELNS_18Fp8KVCacheDataTypeE0ELb0EEEvPT_PKS2_PKT0_S8_ifPKiSA_iPKfiiiSC_SC_iiiii,comdat
.Lfunc_end81:
	.size	_ZN4vllm25paged_attention_v1_kernelIttLi32ELi16ELi128ELNS_18Fp8KVCacheDataTypeE0ELb0EEEvPT_PKS2_PKT0_S8_ifPKiSA_iPKfiiiSC_SC_iiiii, .Lfunc_end81-_ZN4vllm25paged_attention_v1_kernelIttLi32ELi16ELi128ELNS_18Fp8KVCacheDataTypeE0ELb0EEEvPT_PKS2_PKT0_S8_ifPKiSA_iPKfiiiSC_SC_iiiii
                                        ; -- End function
	.set _ZN4vllm25paged_attention_v1_kernelIttLi32ELi16ELi128ELNS_18Fp8KVCacheDataTypeE0ELb0EEEvPT_PKS2_PKT0_S8_ifPKiSA_iPKfiiiSC_SC_iiiii.num_vgpr, 49
	.set _ZN4vllm25paged_attention_v1_kernelIttLi32ELi16ELi128ELNS_18Fp8KVCacheDataTypeE0ELb0EEEvPT_PKS2_PKT0_S8_ifPKiSA_iPKfiiiSC_SC_iiiii.num_agpr, 0
	.set _ZN4vllm25paged_attention_v1_kernelIttLi32ELi16ELi128ELNS_18Fp8KVCacheDataTypeE0ELb0EEEvPT_PKS2_PKT0_S8_ifPKiSA_iPKfiiiSC_SC_iiiii.numbered_sgpr, 30
	.set _ZN4vllm25paged_attention_v1_kernelIttLi32ELi16ELi128ELNS_18Fp8KVCacheDataTypeE0ELb0EEEvPT_PKS2_PKT0_S8_ifPKiSA_iPKfiiiSC_SC_iiiii.num_named_barrier, 0
	.set _ZN4vllm25paged_attention_v1_kernelIttLi32ELi16ELi128ELNS_18Fp8KVCacheDataTypeE0ELb0EEEvPT_PKS2_PKT0_S8_ifPKiSA_iPKfiiiSC_SC_iiiii.private_seg_size, 0
	.set _ZN4vllm25paged_attention_v1_kernelIttLi32ELi16ELi128ELNS_18Fp8KVCacheDataTypeE0ELb0EEEvPT_PKS2_PKT0_S8_ifPKiSA_iPKfiiiSC_SC_iiiii.uses_vcc, 1
	.set _ZN4vllm25paged_attention_v1_kernelIttLi32ELi16ELi128ELNS_18Fp8KVCacheDataTypeE0ELb0EEEvPT_PKS2_PKT0_S8_ifPKiSA_iPKfiiiSC_SC_iiiii.uses_flat_scratch, 0
	.set _ZN4vllm25paged_attention_v1_kernelIttLi32ELi16ELi128ELNS_18Fp8KVCacheDataTypeE0ELb0EEEvPT_PKS2_PKT0_S8_ifPKiSA_iPKfiiiSC_SC_iiiii.has_dyn_sized_stack, 0
	.set _ZN4vllm25paged_attention_v1_kernelIttLi32ELi16ELi128ELNS_18Fp8KVCacheDataTypeE0ELb0EEEvPT_PKS2_PKT0_S8_ifPKiSA_iPKfiiiSC_SC_iiiii.has_recursion, 0
	.set _ZN4vllm25paged_attention_v1_kernelIttLi32ELi16ELi128ELNS_18Fp8KVCacheDataTypeE0ELb0EEEvPT_PKS2_PKT0_S8_ifPKiSA_iPKfiiiSC_SC_iiiii.has_indirect_call, 0
	.section	.AMDGPU.csdata,"",@progbits
; Kernel info:
; codeLenInByte = 4428
; TotalNumSgprs: 32
; NumVgprs: 49
; ScratchSize: 0
; MemoryBound: 0
; FloatMode: 240
; IeeeMode: 1
; LDSByteSize: 96 bytes/workgroup (compile time only)
; SGPRBlocks: 0
; VGPRBlocks: 3
; NumSGPRsForWavesPerEU: 32
; NumVGPRsForWavesPerEU: 49
; NamedBarCnt: 0
; Occupancy: 16
; WaveLimiterHint : 1
; COMPUTE_PGM_RSRC2:SCRATCH_EN: 0
; COMPUTE_PGM_RSRC2:USER_SGPR: 2
; COMPUTE_PGM_RSRC2:TRAP_HANDLER: 0
; COMPUTE_PGM_RSRC2:TGID_X_EN: 1
; COMPUTE_PGM_RSRC2:TGID_Y_EN: 1
; COMPUTE_PGM_RSRC2:TGID_Z_EN: 1
; COMPUTE_PGM_RSRC2:TIDIG_COMP_CNT: 0
	.section	.text._ZN4vllm25paged_attention_v1_kernelIttLi64ELi16ELi128ELNS_18Fp8KVCacheDataTypeE0ELb0EEEvPT_PKS2_PKT0_S8_ifPKiSA_iPKfiiiSC_SC_iiiii,"axG",@progbits,_ZN4vllm25paged_attention_v1_kernelIttLi64ELi16ELi128ELNS_18Fp8KVCacheDataTypeE0ELb0EEEvPT_PKS2_PKT0_S8_ifPKiSA_iPKfiiiSC_SC_iiiii,comdat
	.protected	_ZN4vllm25paged_attention_v1_kernelIttLi64ELi16ELi128ELNS_18Fp8KVCacheDataTypeE0ELb0EEEvPT_PKS2_PKT0_S8_ifPKiSA_iPKfiiiSC_SC_iiiii ; -- Begin function _ZN4vllm25paged_attention_v1_kernelIttLi64ELi16ELi128ELNS_18Fp8KVCacheDataTypeE0ELb0EEEvPT_PKS2_PKT0_S8_ifPKiSA_iPKfiiiSC_SC_iiiii
	.globl	_ZN4vllm25paged_attention_v1_kernelIttLi64ELi16ELi128ELNS_18Fp8KVCacheDataTypeE0ELb0EEEvPT_PKS2_PKT0_S8_ifPKiSA_iPKfiiiSC_SC_iiiii
	.p2align	8
	.type	_ZN4vllm25paged_attention_v1_kernelIttLi64ELi16ELi128ELNS_18Fp8KVCacheDataTypeE0ELb0EEEvPT_PKS2_PKT0_S8_ifPKiSA_iPKfiiiSC_SC_iiiii,@function
_ZN4vllm25paged_attention_v1_kernelIttLi64ELi16ELi128ELNS_18Fp8KVCacheDataTypeE0ELb0EEEvPT_PKS2_PKT0_S8_ifPKiSA_iPKfiiiSC_SC_iiiii: ; @_ZN4vllm25paged_attention_v1_kernelIttLi64ELi16ELi128ELNS_18Fp8KVCacheDataTypeE0ELb0EEEvPT_PKS2_PKT0_S8_ifPKiSA_iPKfiiiSC_SC_iiiii
; %bb.0:
	s_load_b64 s[6:7], s[0:1], 0x20
	s_bfe_u32 s3, ttmp6, 0x4000c
	s_bfe_u32 s5, ttmp6, 0x40010
	s_and_b32 s4, ttmp7, 0xffff
	s_add_co_i32 s3, s3, 1
	s_add_co_i32 s5, s5, 1
	s_and_b32 s2, ttmp6, 15
	s_bfe_u32 s8, ttmp6, 0x40004
	s_mul_i32 s3, ttmp9, s3
	s_mul_i32 s5, s4, s5
	s_getreg_b32 s18, hwreg(HW_REG_IB_STS2, 6, 4)
	s_add_co_i32 s2, s2, s3
	s_add_co_i32 s8, s8, s5
	s_cmp_eq_u32 s18, 0
	s_clause 0x1
	s_load_b32 s19, s[0:1], 0x80
	s_load_b64 s[10:11], s[0:1], 0x30
	s_cselect_b32 s20, s4, s8
	s_cselect_b32 s8, ttmp9, s2
	s_wait_kmcnt 0x0
	s_abs_i32 s2, s6
	s_delay_alu instid0(SALU_CYCLE_1) | instskip(SKIP_1) | instid1(SALU_CYCLE_2)
	s_cvt_f32_u32 s3, s2
	s_sub_co_i32 s4, 0, s2
	v_rcp_iflag_f32_e32 v1, s3
	s_abs_i32 s5, s19
	v_nop
	s_delay_alu instid0(TRANS32_DEP_1) | instskip(SKIP_1) | instid1(SALU_CYCLE_3)
	v_readfirstlane_b32 s3, v1
	s_mul_f32 s3, s3, 0x4f7ffffe
	s_cvt_u32_f32 s3, s3
	s_delay_alu instid0(SALU_CYCLE_3) | instskip(NEXT) | instid1(SALU_CYCLE_1)
	s_mul_i32 s4, s4, s3
	s_mul_hi_u32 s4, s3, s4
	s_delay_alu instid0(SALU_CYCLE_1) | instskip(SKIP_4) | instid1(SALU_CYCLE_1)
	s_add_co_i32 s3, s3, s4
	s_xor_b32 s4, s19, s6
	s_mul_hi_u32 s3, s5, s3
	s_ashr_i32 s4, s4, 31
	s_mul_i32 s6, s3, s2
	s_sub_co_i32 s5, s5, s6
	s_add_co_i32 s6, s3, 1
	s_sub_co_i32 s9, s5, s2
	s_cmp_ge_u32 s5, s2
	s_cselect_b32 s3, s6, s3
	s_cselect_b32 s5, s9, s5
	s_add_co_i32 s6, s3, 1
	s_cmp_ge_u32 s5, s2
	s_cselect_b32 s2, s6, s3
	s_mov_b32 s3, 0
	s_xor_b32 s2, s2, s4
	s_mov_b32 s13, s3
	s_sub_co_i32 s15, s2, s4
	s_load_b64 s[4:5], s[0:1], 0x40
	s_abs_i32 s14, s15
	s_mov_b32 s23, s3
	s_cvt_f32_u32 s2, s14
	s_delay_alu instid0(SALU_CYCLE_3) | instskip(SKIP_1) | instid1(TRANS32_DEP_1)
	v_rcp_iflag_f32_e32 v1, s2
	v_nop
	v_readfirstlane_b32 s2, v1
	s_mul_f32 s2, s2, 0x4f7ffffe
	s_delay_alu instid0(SALU_CYCLE_3) | instskip(SKIP_1) | instid1(SALU_CYCLE_2)
	s_cvt_u32_f32 s6, s2
	s_sub_co_i32 s2, 0, s14
	s_mul_i32 s2, s2, s6
	s_delay_alu instid0(SALU_CYCLE_1)
	s_mul_hi_u32 s9, s6, s2
	s_abs_i32 s2, s8
	s_add_co_i32 s12, s6, s9
	s_wait_kmcnt 0x0
	s_cmp_eq_u64 s[4:5], 0
	s_cbranch_scc1 .LBB82_2
; %bb.1:
	s_ashr_i32 s9, s8, 31
	s_delay_alu instid0(SALU_CYCLE_1) | instskip(NEXT) | instid1(SALU_CYCLE_1)
	s_lshl_b64 s[16:17], s[8:9], 2
	s_add_nc_u64 s[4:5], s[4:5], s[16:17]
	s_load_b32 s23, s[4:5], 0x0
.LBB82_2:
	s_load_b32 s21, s[10:11], s20 offset:0x0 scale_offset
	s_wait_xcnt 0x0
	s_load_b96 s[4:6], s[0:1], 0x48
	v_dual_lshrrev_b32 v20, 1, v0 :: v_dual_bitop2_b32 v21, 1, v0 bitop3:0x40
	s_ashr_i32 s16, s8, 31
	s_ashr_i32 s15, s15, 31
	s_mul_u64 s[10:11], s[2:3], s[12:13]
	s_lshl_b32 s8, s8, 6
	s_mov_b32 s3, exec_lo
	v_cmpx_gt_u32_e32 16, v0
	s_cbranch_execz .LBB82_4
; %bb.3:
	s_load_b64 s[12:13], s[0:1], 0x8
	s_wait_kmcnt 0x0
	s_mul_i32 s24, s4, s20
	s_ashr_i32 s9, s8, 31
	s_ashr_i32 s25, s24, 31
	v_lshlrev_b32_e32 v1, 3, v20
	s_lshl_b64 s[24:25], s[24:25], 1
	s_delay_alu instid0(VALU_DEP_1) | instskip(SKIP_2) | instid1(SALU_CYCLE_1)
	v_lshl_add_u32 v1, v21, 6, v1
	s_add_nc_u64 s[12:13], s[12:13], s[24:25]
	s_lshl_b64 s[24:25], s[8:9], 1
	s_add_nc_u64 s[12:13], s[12:13], s[24:25]
	global_load_b64 v[2:3], v0, s[12:13] scale_offset
	s_wait_loadcnt 0x0
	ds_store_b64 v1, v[2:3]
.LBB82_4:
	s_or_b32 exec_lo, exec_lo, s3
	s_wait_kmcnt 0x0
	s_add_co_i32 s3, s21, 15
	s_load_b32 s4, s[0:1], 0x38
	s_ashr_i32 s9, s3, 31
	s_mul_i32 s12, s11, s14
	s_lshr_b32 s9, s9, 28
	s_sub_co_i32 s2, s2, s12
	s_add_co_i32 s3, s3, s9
	s_xor_b32 s10, s16, s15
	s_ashr_i32 s22, s3, 4
	s_add_co_i32 s3, s11, 1
	s_sub_co_i32 s9, s2, s14
	s_cmp_ge_u32 s2, s14
	v_lshrrev_b32_e32 v22, 5, v0
	s_cselect_b32 s3, s3, s11
	s_cselect_b32 s2, s9, s2
	s_add_co_i32 s9, s3, 1
	s_cmp_ge_u32 s2, s14
	v_mbcnt_lo_u32_b32 v24, -1, 0
	s_cselect_b32 s2, s9, s3
	s_wait_dscnt 0x0
	s_xor_b32 s2, s2, s10
	s_barrier_signal -1
	s_sub_co_i32 s3, s2, s10
	v_cmp_gt_i32_e64 s2, s22, v22
	s_wait_kmcnt 0x0
	s_mul_i32 s10, s4, s20
	s_mov_b32 s4, exec_lo
	s_ashr_i32 s11, s10, 31
	s_barrier_wait -1
                                        ; implicit-def: $vgpr3
                                        ; implicit-def: $vgpr2
	v_cmpx_le_i32_e64 s22, v22
	s_xor_b32 s4, exec_lo, s4
; %bb.5:
	v_dual_mov_b32 v3, 0 :: v_dual_mov_b32 v2, 32
	v_mbcnt_lo_u32_b32 v24, -1, 0
; %bb.6:
	s_or_saveexec_b32 s24, s4
	s_clause 0x1
	s_load_b64 s[12:13], s[0:1], 0x28
	s_load_b32 s9, s[0:1], 0x88
	v_mov_b32_e32 v25, 0xff7fffff
	v_dual_lshlrev_b32 v23, 3, v0 :: v_dual_lshrrev_b32 v1, 3, v0
	s_mul_i32 s14, s3, s6
	s_xor_b32 exec_lo, exec_lo, s24
	s_cbranch_execz .LBB82_12
; %bb.7:
	s_load_b64 s[26:27], s[0:1], 0x10
	v_bfe_u32 v6, v0, 1, 4
	s_ashr_i32 s15, s14, 31
	v_mov_b32_e32 v3, 0
	s_lshl_b64 s[28:29], s[14:15], 1
	s_delay_alu instid0(VALU_DEP_2)
	v_dual_lshlrev_b32 v26, 6, v21 :: v_dual_lshlrev_b32 v7, 2, v6
	v_lshlrev_b32_e32 v2, 4, v6
	s_ashr_i32 s17, s5, 31
	s_cmp_neq_f32 s23, 0
	v_lshl_or_b32 v27, v22, 4, v6
	v_lshl_or_b32 v7, v22, 6, v7
	v_mov_b32_e32 v25, 0xff7fffff
	s_cselect_b32 s3, -1, 0
	v_xor_b32_e32 v29, 1, v24
	s_mov_b32 s16, s5
	v_add_nc_u32_e32 v28, 0xa0, v7
	s_mov_b32 s6, 0
	s_sub_co_i32 s15, 1, s21
	v_cmp_eq_u32_e32 vcc_lo, 0, v21
	s_wait_kmcnt 0x0
	s_add_nc_u64 s[26:27], s[26:27], s[28:29]
	v_mov_b32_e32 v30, v22
	v_add_nc_u64_e32 v[4:5], s[26:27], v[2:3]
	v_and_b32_e32 v2, 8, v23
	s_lshl_b64 s[26:27], s[10:11], 2
	s_delay_alu instid0(SALU_CYCLE_1) | instskip(NEXT) | instid1(VALU_DEP_1)
	s_add_nc_u64 s[26:27], s[12:13], s[26:27]
	v_add_nc_u64_e32 v[4:5], v[4:5], v[2:3]
	v_and_b32_e32 v2, 0x7c, v1
	s_delay_alu instid0(VALU_DEP_1)
	v_add_nc_u64_e32 v[6:7], s[26:27], v[2:3]
	v_mov_b32_e32 v2, 32
	s_branch .LBB82_9
.LBB82_8:                               ;   in Loop: Header=BB82_9 Depth=1
	s_or_b32 exec_lo, exec_lo, s25
	v_dual_add_nc_u32 v30, 4, v30 :: v_dual_add_nc_u32 v27, 64, v27
	v_add_nc_u64_e32 v[6:7], 16, v[6:7]
	v_add_nc_u32_e32 v28, 0x100, v28
	s_delay_alu instid0(VALU_DEP_3) | instskip(SKIP_1) | instid1(SALU_CYCLE_1)
	v_cmp_le_i32_e64 s4, s22, v30
	s_or_b32 s6, s4, s6
	s_and_not1_b32 exec_lo, exec_lo, s6
	s_cbranch_execz .LBB82_11
.LBB82_9:                               ; =>This Inner Loop Header: Depth=1
	global_load_b32 v8, v[6:7], off
	v_cmp_gt_i32_e64 s4, 32, v29
	s_wait_loadcnt_dscnt 0x0
	v_ashrrev_i32_e32 v9, 31, v8
	s_delay_alu instid0(VALU_DEP_1) | instskip(NEXT) | instid1(VALU_DEP_1)
	v_mul_u64_e32 v[8:9], s[16:17], v[8:9]
	v_lshl_add_u64 v[18:19], v[8:9], 1, v[4:5]
	s_clause 0x7
	global_load_b64 v[32:33], v[18:19], off
	global_load_b64 v[40:41], v[18:19], off offset:256
	global_load_b64 v[48:49], v[18:19], off offset:512
	;; [unrolled: 1-line block ×7, first 2 shown]
	s_wait_xcnt 0x0
	ds_load_b64 v[18:19], v26
	s_wait_dscnt 0x0
	v_and_b32_e32 v31, 0xffff, v18
	v_dual_lshrrev_b32 v18, 16, v18 :: v_dual_lshrrev_b32 v34, 16, v19
	v_and_b32_e32 v19, 0xffff, v19
	;;#ASMSTART
	v_cvt_f32_f16 v31, v31;
	;;#ASMEND
	s_wait_loadcnt 0x7
	v_and_b32_e32 v35, 0xffff, v32
	v_lshrrev_b32_e32 v36, 16, v32
	;;#ASMSTART
	v_cvt_f32_f16 v32, v18;
	;;#ASMEND
	s_wait_loadcnt 0x6
	v_dual_lshrrev_b32 v18, 16, v33 :: v_dual_lshrrev_b32 v42, 16, v40
	v_and_b32_e32 v37, 0xffff, v33
	;;#ASMSTART
	v_cvt_f32_f16 v35, v35;
	;;#ASMEND
	;;#ASMSTART
	v_cvt_f32_f16 v36, v36;
	;;#ASMEND
	;; [unrolled: 3-line block ×6, first 2 shown]
	ds_load_b64 v[18:19], v26 offset:8
	v_and_b32_e32 v43, 0xffff, v40
	v_lshrrev_b32_e32 v46, 16, v41
	v_and_b32_e32 v45, 0xffff, v41
	s_wait_loadcnt 0x5
	v_lshrrev_b32_e32 v50, 16, v49
	v_and_b32_e32 v49, 0xffff, v49
	s_wait_loadcnt 0x3
	;; [unrolled: 3-line block ×3, first 2 shown]
	v_lshrrev_b32_e32 v77, 16, v10
	v_and_b32_e32 v10, 0xffff, v10
	s_wait_dscnt 0x0
	v_and_b32_e32 v39, 0xffff, v18
	v_dual_lshrrev_b32 v18, 16, v18 :: v_dual_lshrrev_b32 v47, 16, v19
	v_and_b32_e32 v19, 0xffff, v19
	;;#ASMSTART
	v_cvt_f32_f16 v39, v39;
	;;#ASMEND
	;;#ASMSTART
	v_cvt_f32_f16 v40, v18;
	;;#ASMEND
	;;#ASMSTART
	v_cvt_f32_f16 v43, v43;
	;;#ASMEND
	;;#ASMSTART
	v_cvt_f32_f16 v44, v42;
	;;#ASMEND
	;;#ASMSTART
	v_cvt_f32_f16 v41, v19;
	;;#ASMEND
	;;#ASMSTART
	v_cvt_f32_f16 v42, v47;
	;;#ASMEND
	;;#ASMSTART
	v_cvt_f32_f16 v45, v45;
	;;#ASMEND
	;;#ASMSTART
	v_cvt_f32_f16 v46, v46;
	;;#ASMEND
	ds_load_b64 v[18:19], v26 offset:16
	v_lshrrev_b32_e32 v47, 16, v48
	v_and_b32_e32 v48, 0xffff, v48
	v_lshrrev_b32_e32 v78, 16, v11
	v_and_b32_e32 v11, 0xffff, v11
	s_wait_dscnt 0x0
	v_and_b32_e32 v51, 0xffff, v18
	v_dual_lshrrev_b32 v18, 16, v18 :: v_dual_lshrrev_b32 v52, 16, v19
	v_and_b32_e32 v19, 0xffff, v19
	;;#ASMSTART
	v_cvt_f32_f16 v51, v51;
	;;#ASMEND
	;;#ASMSTART
	v_cvt_f32_f16 v53, v18;
	;;#ASMEND
	;;#ASMSTART
	v_cvt_f32_f16 v54, v48;
	;;#ASMEND
	;;#ASMSTART
	v_cvt_f32_f16 v55, v47;
	;;#ASMEND
	;;#ASMSTART
	v_cvt_f32_f16 v56, v19;
	;;#ASMEND
	;;#ASMSTART
	v_cvt_f32_f16 v47, v52;
	;;#ASMEND
	;;#ASMSTART
	v_cvt_f32_f16 v49, v49;
	;;#ASMEND
	;;#ASMSTART
	v_cvt_f32_f16 v48, v50;
	;;#ASMEND
	ds_load_b64 v[18:19], v26 offset:24
	v_lshrrev_b32_e32 v50, 16, v16
	v_and_b32_e32 v16, 0xffff, v16
	;; [unrolled: 33-line block ×3, first 2 shown]
	s_wait_dscnt 0x0
	v_and_b32_e32 v63, 0xffff, v16
	v_dual_lshrrev_b32 v16, 16, v16 :: v_dual_lshrrev_b32 v64, 16, v17
	v_and_b32_e32 v17, 0xffff, v17
	;;#ASMSTART
	v_cvt_f32_f16 v63, v63;
	;;#ASMEND
	;;#ASMSTART
	v_cvt_f32_f16 v65, v16;
	;;#ASMEND
	;; [unrolled: 3-line block ×5, first 2 shown]
	v_lshrrev_b32_e32 v16, 16, v12
	;;#ASMSTART
	v_cvt_f32_f16 v64, v64;
	;;#ASMEND
	;;#ASMSTART
	v_cvt_f32_f16 v68, v15;
	;;#ASMEND
	;; [unrolled: 3-line block ×3, first 2 shown]
	ds_load_b64 v[14:15], v26 offset:40
	v_and_b32_e32 v12, 0xffff, v12
	v_lshrrev_b32_e32 v17, 16, v13
	v_and_b32_e32 v13, 0xffff, v13
	s_wait_dscnt 0x0
	v_and_b32_e32 v69, 0xffff, v14
	v_dual_lshrrev_b32 v70, 16, v15 :: v_dual_lshrrev_b32 v14, 16, v14
	v_and_b32_e32 v15, 0xffff, v15
	;;#ASMSTART
	v_cvt_f32_f16 v69, v69;
	;;#ASMEND
	;;#ASMSTART
	v_cvt_f32_f16 v71, v14;
	;;#ASMEND
	;; [unrolled: 3-line block ×8, first 2 shown]
	ds_load_b64 v[12:13], v26 offset:48
	v_dual_mul_f32 v14, v39, v43 :: v_dual_mul_f32 v16, v41, v45
	v_dual_mul_f32 v15, v40, v44 :: v_dual_mul_f32 v17, v42, v46
	s_wait_loadcnt 0x0
	s_delay_alu instid0(VALU_DEP_2) | instskip(NEXT) | instid1(VALU_DEP_2)
	v_dual_fmac_f32 v14, v31, v35 :: v_dual_lshrrev_b32 v31, 16, v8
	v_dual_fmac_f32 v15, v32, v36 :: v_dual_fmac_f32 v16, v33, v37
	s_delay_alu instid0(VALU_DEP_3) | instskip(NEXT) | instid1(VALU_DEP_3)
	v_fmac_f32_e32 v17, v34, v38
	v_fmac_f32_e32 v14, v51, v54
	v_and_b32_e32 v8, 0xffff, v8
	s_delay_alu instid0(VALU_DEP_4) | instskip(NEXT) | instid1(VALU_DEP_3)
	v_dual_fmac_f32 v15, v53, v55 :: v_dual_fmac_f32 v16, v56, v49
	v_dual_fmac_f32 v17, v47, v48 :: v_dual_fmac_f32 v14, v57, v59
	s_delay_alu instid0(VALU_DEP_2)
	v_dual_fmac_f32 v15, v18, v50 :: v_dual_fmac_f32 v16, v19, v60
	s_wait_dscnt 0x0
	v_and_b32_e32 v32, 0xffff, v12
	v_dual_lshrrev_b32 v12, 16, v12 :: v_dual_lshrrev_b32 v33, 16, v13
	v_and_b32_e32 v13, 0xffff, v13
	;;#ASMSTART
	v_cvt_f32_f16 v32, v32;
	;;#ASMEND
	;;#ASMSTART
	v_cvt_f32_f16 v12, v12;
	;;#ASMEND
	;; [unrolled: 3-line block ×8, first 2 shown]
	ds_load_b64 v[10:11], v26 offset:56
	v_dual_fmac_f32 v17, v58, v52 :: v_dual_fmac_f32 v14, v63, v66
	v_dual_fmac_f32 v15, v65, v61 :: v_dual_fmac_f32 v16, v67, v68
	s_delay_alu instid0(VALU_DEP_2) | instskip(NEXT) | instid1(VALU_DEP_2)
	v_dual_fmac_f32 v17, v64, v62 :: v_dual_lshrrev_b32 v18, 16, v9
	v_dual_fmac_f32 v14, v69, v72 :: v_dual_fmac_f32 v15, v71, v73
	s_delay_alu instid0(VALU_DEP_3) | instskip(SKIP_1) | instid1(VALU_DEP_3)
	v_fmac_f32_e32 v16, v74, v75
	v_and_b32_e32 v9, 0xffff, v9
	v_dual_fmac_f32 v17, v70, v76 :: v_dual_fmac_f32 v14, v32, v34
	s_delay_alu instid0(VALU_DEP_3) | instskip(NEXT) | instid1(VALU_DEP_2)
	v_dual_fmac_f32 v15, v12, v35 :: v_dual_fmac_f32 v16, v13, v36
	v_fmac_f32_e32 v17, v33, v37
	s_wait_dscnt 0x0
	v_and_b32_e32 v12, 0xffff, v10
	v_lshrrev_b32_e32 v10, 16, v10
	;;#ASMSTART
	v_cvt_f32_f16 v12, v12;
	;;#ASMEND
	;;#ASMSTART
	v_cvt_f32_f16 v10, v10;
	;;#ASMEND
	;;#ASMSTART
	v_cvt_f32_f16 v8, v8;
	;;#ASMEND
	v_dual_fmac_f32 v14, v12, v8 :: v_dual_lshrrev_b32 v13, 16, v11
	v_and_b32_e32 v11, 0xffff, v11
	;;#ASMSTART
	v_cvt_f32_f16 v19, v31;
	;;#ASMEND
	;;#ASMSTART
	v_cvt_f32_f16 v8, v11;
	;;#ASMEND
	v_fmac_f32_e32 v15, v10, v19
	;;#ASMSTART
	v_cvt_f32_f16 v10, v13;
	;;#ASMEND
	;;#ASMSTART
	v_cvt_f32_f16 v9, v9;
	;;#ASMEND
	v_fmac_f32_e32 v16, v8, v9
	;;#ASMSTART
	v_cvt_f32_f16 v9, v18;
	;;#ASMEND
	v_add_f32_e32 v8, v14, v15
	v_fmac_f32_e32 v17, v10, v9
	v_cndmask_b32_e64 v9, v24, v29, s4
	s_delay_alu instid0(VALU_DEP_1) | instskip(NEXT) | instid1(VALU_DEP_1)
	v_dual_add_f32 v8, v8, v16 :: v_dual_lshlrev_b32 v9, 2, v9
	v_add_f32_e32 v8, v17, v8
	ds_bpermute_b32 v9, v9, v8
	s_and_saveexec_b32 s25, vcc_lo
	s_cbranch_execz .LBB82_8
; %bb.10:                               ;   in Loop: Header=BB82_9 Depth=1
	s_wait_dscnt 0x0
	v_dual_add_nc_u32 v10, s15, v27 :: v_dual_add_f32 v8, v8, v9
	v_cmp_gt_i32_e64 s4, s21, v27
	s_delay_alu instid0(VALU_DEP_2) | instskip(NEXT) | instid1(VALU_DEP_1)
	v_cvt_f32_i32_e32 v10, v10
	v_mul_f32_e32 v10, s23, v10
	s_delay_alu instid0(VALU_DEP_1) | instskip(NEXT) | instid1(VALU_DEP_1)
	v_dual_cndmask_b32 v9, 0, v10, s3 :: v_dual_max_num_f32 v10, v25, v25
	v_fmac_f32_e32 v9, s7, v8
	s_delay_alu instid0(VALU_DEP_1) | instskip(NEXT) | instid1(VALU_DEP_1)
	v_dual_max_num_f32 v8, v10, v9 :: v_dual_cndmask_b32 v9, 0, v9, s4
	v_cndmask_b32_e64 v25, v25, v8, s4
	ds_store_b32 v28, v9
	s_branch .LBB82_8
.LBB82_11:
	s_or_b32 exec_lo, exec_lo, s6
.LBB82_12:
	s_delay_alu instid0(SALU_CYCLE_1)
	s_or_b32 exec_lo, exec_lo, s24
	v_dual_max_num_f32 v7, v25, v25 :: v_dual_bitop2_b32 v4, 16, v24 bitop3:0x14
	v_xor_b32_e32 v6, 8, v24
	s_clause 0x1
	s_load_b64 s[6:7], s[0:1], 0x0
	s_load_b64 s[16:17], s[0:1], 0x18
	v_and_b32_e32 v17, 31, v0
	v_cmp_lt_i32_e32 vcc_lo, v4, v2
	v_cndmask_b32_e32 v4, v24, v4, vcc_lo
	v_cmp_lt_i32_e32 vcc_lo, v6, v2
	s_delay_alu instid0(VALU_DEP_2) | instskip(SKIP_3) | instid1(VALU_DEP_1)
	v_dual_cndmask_b32 v6, v24, v6 :: v_dual_lshlrev_b32 v5, 2, v4
	ds_bpermute_b32 v4, v5, v25
	s_wait_dscnt 0x0
	v_dual_max_num_f32 v4, v4, v4 :: v_dual_lshlrev_b32 v6, 2, v6
	v_max_num_f32_e32 v4, v7, v4
	ds_bpermute_b32 v7, v6, v4
	s_wait_dscnt 0x0
	v_dual_max_num_f32 v9, v7, v7 :: v_dual_bitop2_b32 v8, 4, v24 bitop3:0x14
	s_delay_alu instid0(VALU_DEP_1) | instskip(NEXT) | instid1(VALU_DEP_2)
	v_max_num_f32_e32 v4, v4, v9
	v_cmp_lt_i32_e32 vcc_lo, v8, v2
	v_xor_b32_e32 v9, 2, v24
	v_cndmask_b32_e32 v8, v24, v8, vcc_lo
	s_delay_alu instid0(VALU_DEP_2) | instskip(NEXT) | instid1(VALU_DEP_2)
	v_cmp_lt_i32_e32 vcc_lo, v9, v2
	v_dual_cndmask_b32 v10, v24, v9 :: v_dual_lshlrev_b32 v7, 2, v8
	v_cmp_eq_u32_e32 vcc_lo, 0, v17
	ds_bpermute_b32 v8, v7, v4
	s_wait_dscnt 0x0
	v_max_num_f32_e32 v8, v8, v8
	s_delay_alu instid0(VALU_DEP_1)
	v_dual_max_num_f32 v9, v4, v8 :: v_dual_lshlrev_b32 v8, 2, v22
	v_lshlrev_b32_e32 v4, 2, v10
	ds_bpermute_b32 v10, v4, v9
	s_wait_xcnt 0x0
	s_and_saveexec_b32 s0, vcc_lo
	s_cbranch_execz .LBB82_14
; %bb.13:
	s_wait_dscnt 0x0
	v_dual_max_num_f32 v10, v10, v10 :: v_dual_max_num_f32 v9, v9, v9
	s_delay_alu instid0(VALU_DEP_1)
	v_max_num_f32_e32 v9, v9, v10
	ds_store_b32 v8, v9 offset:128
.LBB82_14:
	s_or_b32 exec_lo, exec_lo, s0
	v_cmp_gt_u32_e64 s0, 4, v17
	s_wait_dscnt 0x0
	v_dual_mov_b32 v10, 0xff7fffff :: v_dual_lshlrev_b32 v9, 2, v17
	s_barrier_signal -1
	s_barrier_wait -1
	s_and_saveexec_b32 s1, s0
; %bb.15:
	ds_load_b32 v10, v9 offset:128
; %bb.16:
	s_or_b32 exec_lo, exec_lo, s1
	s_wait_dscnt 0x0
	ds_bpermute_b32 v11, v4, v10
	v_dual_max_num_f32 v10, v10, v10 :: v_dual_bitop2_b32 v12, 1, v24 bitop3:0x14
	v_lshlrev_b32_e32 v3, 2, v3
	s_delay_alu instid0(VALU_DEP_2) | instskip(NEXT) | instid1(VALU_DEP_1)
	v_cmp_lt_i32_e64 s1, v12, v2
	v_cndmask_b32_e64 v2, v24, v12, s1
	s_lshl_b32 s1, s22, 4
	s_delay_alu instid0(SALU_CYCLE_1) | instskip(NEXT) | instid1(SALU_CYCLE_1)
	s_min_i32 s4, s1, s21
	v_cmp_gt_i32_e64 s1, s4, v0
	s_wait_dscnt 0x0
	v_dual_max_num_f32 v11, v11, v11 :: v_dual_lshlrev_b32 v18, 2, v2
	s_delay_alu instid0(VALU_DEP_1) | instskip(SKIP_3) | instid1(VALU_DEP_1)
	v_max_num_f32_e32 v2, v10, v11
	ds_bpermute_b32 v10, v18, v2
	s_wait_dscnt 0x0
	v_max_num_f32_e32 v10, v10, v10
	v_max_num_f32_e32 v2, v2, v10
	ds_bpermute_b32 v3, v3, v2
	v_mov_b32_e32 v2, 0
	s_and_saveexec_b32 s15, s1
	s_cbranch_execz .LBB82_20
; %bb.17:
	v_lshl_add_u32 v10, v0, 2, 0xa0
	v_dual_mov_b32 v2, 0 :: v_dual_mov_b32 v11, v0
	s_mov_b32 s23, 0
.LBB82_18:                              ; =>This Inner Loop Header: Depth=1
	ds_load_b32 v12, v10
	s_wait_dscnt 0x0
	v_sub_f32_e32 v12, v12, v3
	s_delay_alu instid0(VALU_DEP_1) | instskip(NEXT) | instid1(VALU_DEP_1)
	v_mul_f32_e32 v12, 0x3fb8aa3b, v12
	v_exp_f32_e32 v12, v12
	v_nop
	s_delay_alu instid0(TRANS32_DEP_1) | instskip(NEXT) | instid1(VALU_DEP_1)
	v_dual_add_f32 v2, v2, v12 :: v_dual_add_nc_u32 v11, 0x80, v11
	v_cmp_le_i32_e64 s3, s4, v11
	ds_store_b32 v10, v12
	v_add_nc_u32_e32 v10, 0x200, v10
	s_or_b32 s23, s3, s23
	s_delay_alu instid0(SALU_CYCLE_1)
	s_and_not1_b32 exec_lo, exec_lo, s23
	s_cbranch_execnz .LBB82_18
; %bb.19:
	s_or_b32 exec_lo, exec_lo, s23
.LBB82_20:
	s_delay_alu instid0(SALU_CYCLE_1)
	s_or_b32 exec_lo, exec_lo, s15
	s_wait_dscnt 0x0
	ds_bpermute_b32 v3, v5, v2
	s_wait_dscnt 0x0
	v_add_f32_e32 v2, v2, v3
	ds_bpermute_b32 v3, v6, v2
	s_wait_dscnt 0x0
	v_add_f32_e32 v2, v2, v3
	;; [unrolled: 3-line block ×5, first 2 shown]
	s_and_saveexec_b32 s3, vcc_lo
; %bb.21:
	ds_store_b32 v8, v2 offset:144
; %bb.22:
	s_or_b32 exec_lo, exec_lo, s3
	s_wait_dscnt 0x0
	s_barrier_signal -1
	s_barrier_wait -1
	s_and_saveexec_b32 s3, s0
; %bb.23:
	ds_load_b32 v2, v9 offset:144
; %bb.24:
	s_or_b32 exec_lo, exec_lo, s3
	s_wait_dscnt 0x0
	ds_bpermute_b32 v3, v4, v2
	s_wait_dscnt 0x0
	v_dual_lshlrev_b32 v4, 2, v24 :: v_dual_add_f32 v2, v2, v3
	ds_bpermute_b32 v3, v18, v2
	s_wait_dscnt 0x0
	v_add_f32_e32 v2, v2, v3
	v_and_b32_e32 v3, 0xffffff80, v4
	ds_bpermute_b32 v2, v3, v2
	s_and_saveexec_b32 s0, s1
	s_cbranch_execz .LBB82_37
; %bb.25:
	s_wait_dscnt 0x0
	v_add_f32_e32 v2, 0x358637bd, v2
	s_mov_b32 s3, -1
	s_mov_b32 s1, exec_lo
	s_delay_alu instid0(VALU_DEP_1) | instskip(NEXT) | instid1(VALU_DEP_1)
	v_div_scale_f32 v3, null, v2, v2, 1.0
	v_rcp_f32_e32 v5, v3
	v_nop
	s_delay_alu instid0(TRANS32_DEP_1) | instskip(NEXT) | instid1(VALU_DEP_1)
	v_fma_f32 v4, -v3, v5, 1.0
	v_fmac_f32_e32 v5, v4, v5
	v_div_scale_f32 v6, vcc_lo, 1.0, v2, 1.0
	s_delay_alu instid0(VALU_DEP_1) | instskip(NEXT) | instid1(VALU_DEP_1)
	v_mul_f32_e32 v7, v6, v5
	v_fma_f32 v4, -v3, v7, v6
	s_delay_alu instid0(VALU_DEP_1) | instskip(SKIP_1) | instid1(VALU_DEP_2)
	v_fmac_f32_e32 v7, v4, v5
	v_xad_u32 v4, v0, -1, s4
	v_fma_f32 v3, -v3, v7, v6
	s_delay_alu instid0(VALU_DEP_1) | instskip(NEXT) | instid1(VALU_DEP_1)
	v_div_fmas_f32 v3, v3, v5, v7
	v_div_fixup_f32 v2, v3, v2, 1.0
	v_mov_b32_e32 v3, v0
	v_cmpx_lt_u32_e32 0x7f, v4
	s_cbranch_execz .LBB82_34
; %bb.26:
	s_delay_alu instid0(VALU_DEP_3) | instskip(NEXT) | instid1(VALU_DEP_1)
	v_dual_mov_b32 v3, v2 :: v_dual_lshrrev_b32 v4, 7, v4
	v_dual_mov_b32 v8, 0 :: v_dual_add_nc_u32 v5, -1, v4
	s_delay_alu instid0(VALU_DEP_1) | instskip(SKIP_1) | instid1(VALU_DEP_2)
	v_lshrrev_b32_e32 v6, 1, v5
	v_cmp_lt_u32_e32 vcc_lo, 13, v5
	v_add_nc_u32_e32 v5, 1, v6
	s_and_saveexec_b32 s3, vcc_lo
	s_cbranch_execz .LBB82_30
; %bb.27:
	s_delay_alu instid0(VALU_DEP_1)
	v_and_b32_e32 v6, -8, v5
	v_lshl_add_u32 v7, v0, 2, 0xa0
	s_mov_b32 s15, 0
	s_mov_b32 s23, 0
.LBB82_28:                              ; =>This Inner Loop Header: Depth=1
	ds_load_2addr_stride64_b32 v[8:9], v7 offset1:2
	ds_load_2addr_stride64_b32 v[10:11], v7 offset0:4 offset1:6
	ds_load_2addr_stride64_b32 v[12:13], v7 offset0:8 offset1:10
	ds_load_2addr_stride64_b32 v[14:15], v7 offset0:12 offset1:14
	ds_load_2addr_stride64_b32 v[24:25], v7 offset0:16 offset1:18
	ds_load_2addr_stride64_b32 v[26:27], v7 offset0:20 offset1:22
	ds_load_2addr_stride64_b32 v[28:29], v7 offset0:24 offset1:26
	ds_load_2addr_stride64_b32 v[30:31], v7 offset0:28 offset1:30
	s_add_co_i32 s23, s23, 16
	v_add_nc_u32_e32 v6, -8, v6
	s_wait_dscnt 0x7
	v_pk_mul_f32 v[8:9], v[2:3], v[8:9]
	s_wait_dscnt 0x6
	v_pk_mul_f32 v[10:11], v[2:3], v[10:11]
	;; [unrolled: 2-line block ×8, first 2 shown]
	ds_store_2addr_stride64_b32 v7, v8, v9 offset1:2
	ds_store_2addr_stride64_b32 v7, v10, v11 offset0:4 offset1:6
	ds_store_2addr_stride64_b32 v7, v12, v13 offset0:8 offset1:10
	;; [unrolled: 1-line block ×7, first 2 shown]
	v_mov_b32_e32 v8, s23
	v_cmp_eq_u32_e32 vcc_lo, 0, v6
	v_add_nc_u32_e32 v7, 0x2000, v7
	s_or_b32 s15, vcc_lo, s15
	s_delay_alu instid0(SALU_CYCLE_1)
	s_and_not1_b32 exec_lo, exec_lo, s15
	s_cbranch_execnz .LBB82_28
; %bb.29:
	s_or_b32 exec_lo, exec_lo, s15
.LBB82_30:
	s_delay_alu instid0(SALU_CYCLE_1) | instskip(NEXT) | instid1(VALU_DEP_1)
	s_or_b32 exec_lo, exec_lo, s3
	v_and_b32_e32 v5, 7, v5
	s_mov_b32 s15, 0
	s_mov_b32 s3, exec_lo
	s_delay_alu instid0(VALU_DEP_1)
	v_cmpx_ne_u32_e32 0, v5
	s_cbranch_execz .LBB82_33
; %bb.31:
	v_lshlrev_b32_e32 v6, 9, v8
	v_lshlrev_b32_e32 v7, 2, v0
	s_delay_alu instid0(VALU_DEP_1)
	v_add3_u32 v6, v6, v7, 0xa0
.LBB82_32:                              ; =>This Inner Loop Header: Depth=1
	ds_load_2addr_stride64_b32 v[8:9], v6 offset1:2
	v_add_nc_u32_e32 v5, -1, v5
	s_delay_alu instid0(VALU_DEP_1)
	v_cmp_eq_u32_e32 vcc_lo, 0, v5
	s_or_b32 s15, vcc_lo, s15
	s_wait_dscnt 0x0
	v_pk_mul_f32 v[8:9], v[2:3], v[8:9]
	ds_store_2addr_stride64_b32 v6, v8, v9 offset1:2
	v_add_nc_u32_e32 v6, 0x400, v6
	s_and_not1_b32 exec_lo, exec_lo, s15
	s_cbranch_execnz .LBB82_32
.LBB82_33:
	s_or_b32 exec_lo, exec_lo, s3
	v_add_nc_u32_e32 v3, 1, v4
	s_delay_alu instid0(VALU_DEP_1) | instskip(NEXT) | instid1(VALU_DEP_1)
	v_and_b32_e32 v4, 0x3fffffe, v3
	v_cmp_ne_u32_e32 vcc_lo, v3, v4
	v_lshl_add_u32 v3, v4, 7, v0
	s_or_not1_b32 s3, vcc_lo, exec_lo
.LBB82_34:
	s_or_b32 exec_lo, exec_lo, s1
	s_delay_alu instid0(SALU_CYCLE_1)
	s_and_b32 exec_lo, exec_lo, s3
	s_cbranch_execz .LBB82_37
; %bb.35:
	v_lshl_add_u32 v4, v3, 2, 0xa0
	s_mov_b32 s1, 0
.LBB82_36:                              ; =>This Inner Loop Header: Depth=1
	ds_load_b32 v5, v4
	v_add_nc_u32_e32 v3, 0x80, v3
	s_delay_alu instid0(VALU_DEP_1)
	v_cmp_le_i32_e32 vcc_lo, s4, v3
	s_or_b32 s1, vcc_lo, s1
	s_wait_dscnt 0x0
	v_mul_f32_e32 v5, v2, v5
	ds_store_b32 v4, v5
	v_add_nc_u32_e32 v4, 0x200, v4
	s_and_not1_b32 exec_lo, exec_lo, s1
	s_cbranch_execnz .LBB82_36
.LBB82_37:
	s_or_b32 exec_lo, exec_lo, s0
	v_mov_b32_e32 v7, 0
	s_wait_dscnt 0x0
	s_barrier_signal -1
	s_barrier_wait -1
	s_delay_alu instid0(VALU_DEP_1)
	v_dual_mov_b32 v6, v7 :: v_dual_mov_b32 v9, v7
	v_mov_b32_e32 v8, v7
	s_and_saveexec_b32 s1, s2
	s_cbranch_execz .LBB82_49
; %bb.38:
	v_dual_lshlrev_b32 v2, 4, v0 :: v_dual_bitop2_b32 v3, 8, v23 bitop3:0x40
	s_ashr_i32 s15, s14, 31
	v_dual_mov_b32 v7, 0 :: v_dual_lshlrev_b32 v4, 5, v21
	s_delay_alu instid0(VALU_DEP_2)
	v_and_b32_e32 v6, 0x1f0, v2
	s_lshl_b64 s[14:15], s[14:15], 1
	s_ashr_i32 s3, s5, 31
	s_wait_kmcnt 0x0
	s_add_nc_u64 s[14:15], s[16:17], s[14:15]
	s_mov_b32 s2, s5
	v_add_nc_u64_e32 v[10:11], s[14:15], v[6:7]
	v_and_b32_e32 v6, 0x7c, v1
	s_lshl_b64 s[4:5], s[10:11], 2
	v_lshl_or_b32 v2, v22, 6, v4
	s_add_nc_u64 s[4:5], s[12:13], s[4:5]
	v_lshl_or_b32 v19, v22, 4, v3
	v_add_nc_u64_e32 v[12:13], s[4:5], v[6:7]
	s_delay_alu instid0(VALU_DEP_3)
	v_dual_mov_b32 v6, v7 :: v_dual_add_nc_u32 v23, 0xa0, v2
	v_dual_mov_b32 v9, v7 :: v_dual_mov_b32 v8, v7
	v_mov_b32_e32 v24, v22
	s_add_co_i32 s4, s22, -1
	s_mov_b32 s10, s21
	s_mov_b32 s5, 0
	s_branch .LBB82_40
.LBB82_39:                              ;   in Loop: Header=BB82_40 Depth=1
	s_or_b32 exec_lo, exec_lo, s0
	v_dual_lshlrev_b32 v14, 16, v14 :: v_dual_lshlrev_b32 v1, 16, v1
	s_delay_alu instid0(VALU_DEP_2) | instskip(SKIP_2) | instid1(VALU_DEP_4)
	v_lshlrev_b32_e32 v15, 16, v15
	v_add_nc_u64_e32 v[12:13], 16, v[12:13]
	v_add_nc_u32_e32 v23, 0x100, v23
	v_and_or_b32 v2, 0xffff, v2, v14
	v_and_or_b32 v1, 0xffff, v3, v1
	;; [unrolled: 1-line block ×3, first 2 shown]
	;;#ASMSTART
	v_pk_mul_f16 v2, v34, v2;

	;;#ASMEND
	;;#ASMSTART
	v_pk_mul_f16 v1, v33, v1;

	;;#ASMEND
	;; [unrolled: 4-line block ×4, first 2 shown]
	;;#ASMSTART
	v_pk_add_f16 v1, v2, v1;

	;;#ASMEND
	;;#ASMSTART
	v_pk_add_f16 v1, v1, v3;

	;;#ASMEND
	;; [unrolled: 4-line block ×3, first 2 shown]
	v_and_b32_e32 v4, 0xffff, v1
	v_dual_lshrrev_b32 v5, 16, v1 :: v_dual_add_f32 v1, v16, v32
	v_dual_add_f32 v3, v37, v38 :: v_dual_add_nc_u32 v24, 4, v24
	;;#ASMSTART
	v_cvt_f32_f16 v4, v4;
	;;#ASMEND
	;;#ASMSTART
	v_cvt_f32_f16 v5, v5;
	;;#ASMEND
	s_delay_alu instid0(VALU_DEP_2) | instskip(SKIP_2) | instid1(VALU_DEP_3)
	v_dual_add_f32 v2, v39, v40 :: v_dual_add_f32 v4, v4, v5
	v_add_f32_e32 v6, v6, v1
	v_cmp_le_i32_e32 vcc_lo, s22, v24
	v_dual_add_f32 v8, v8, v3 :: v_dual_add_f32 v9, v9, v2
	s_delay_alu instid0(VALU_DEP_4) | instskip(SKIP_1) | instid1(SALU_CYCLE_1)
	v_dual_add_f32 v7, v7, v4 :: v_dual_add_nc_u32 v19, 64, v19
	s_or_b32 s5, vcc_lo, s5
	s_and_not1_b32 exec_lo, exec_lo, s5
	s_cbranch_execz .LBB82_48
.LBB82_40:                              ; =>This Inner Loop Header: Depth=1
	global_load_b32 v2, v[12:13], off
	v_cmp_eq_u32_e32 vcc_lo, s4, v24
	v_dual_add_nc_u32 v30, 2, v19 :: v_dual_add_nc_u32 v25, 5, v19
	s_wait_loadcnt 0x0
	v_ashrrev_i32_e32 v3, 31, v2
	s_delay_alu instid0(VALU_DEP_1)
	v_mul_u64_e32 v[14:15], s[2:3], v[2:3]
	ds_load_2addr_b64 v[2:5], v23 offset1:1
	ds_load_2addr_b64 v[26:29], v23 offset0:2 offset1:3
	s_wait_dscnt 0x1
	;;#ASMSTART
	v_cvt_f16_f32 v34, v2;

	;;#ASMEND
	;;#ASMSTART
	v_cvt_f16_f32 v33, v3;

	;;#ASMEND
	;; [unrolled: 4-line block ×4, first 2 shown]
	s_wait_dscnt 0x0
	;;#ASMSTART
	v_cvt_f16_f32 v40, v26;

	;;#ASMEND
	;;#ASMSTART
	v_cvt_f16_f32 v35, v27;

	;;#ASMEND
	;; [unrolled: 4-line block ×4, first 2 shown]
	v_dual_add_nc_u32 v26, 4, v19 :: v_dual_add_nc_u32 v28, 6, v19
	v_dual_add_nc_u32 v27, 7, v19 :: v_dual_bitop2_b32 v29, 1, v19 bitop3:0x54
	v_lshl_add_u64 v[14:15], v[14:15], 1, v[10:11]
	global_load_b128 v[2:5], v[14:15], off
	s_wait_loadcnt 0x0
	v_dual_lshrrev_b32 v16, 16, v2 :: v_dual_bitop2_b32 v31, 3, v19 bitop3:0x54
	v_dual_lshrrev_b32 v1, 16, v3 :: v_dual_lshrrev_b32 v32, 16, v4
	s_and_saveexec_b32 s11, vcc_lo
	s_cbranch_execz .LBB82_42
; %bb.41:                               ;   in Loop: Header=BB82_40 Depth=1
	v_cmp_gt_i32_e64 s0, s21, v19
	v_and_b32_e32 v41, 0xffff, v5
	v_and_b32_e32 v5, 0xffff0000, v5
	s_delay_alu instid0(VALU_DEP_3) | instskip(SKIP_1) | instid1(VALU_DEP_1)
	v_cndmask_b32_e64 v2, 0, v2, s0
	v_cmp_gt_i32_e64 s0, s21, v30
	v_cndmask_b32_e64 v3, 0, v3, s0
	v_cmp_gt_i32_e64 s0, s10, v31
	s_delay_alu instid0(VALU_DEP_1) | instskip(SKIP_1) | instid1(VALU_DEP_1)
	v_cndmask_b32_e64 v1, 0, v1, s0
	v_cmp_gt_i32_e64 s0, s21, v29
	v_cndmask_b32_e64 v16, 0, v16, s0
	v_cmp_gt_i32_e64 s0, s21, v28
	s_delay_alu instid0(VALU_DEP_1) | instskip(SKIP_1) | instid1(VALU_DEP_1)
	;; [unrolled: 5-line block ×3, first 2 shown]
	v_cndmask_b32_e64 v4, 0, v4, s0
	v_cmp_gt_i32_e64 s0, s21, v25
	v_dual_cndmask_b32 v32, 0, v32, s0 :: v_dual_bitop2_b32 v5, v41, v5 bitop3:0x54
.LBB82_42:                              ;   in Loop: Header=BB82_40 Depth=1
	s_or_b32 exec_lo, exec_lo, s11
	v_and_b32_e32 v34, 0xffff, v34
	v_and_b32_e32 v39, 0xffff, v39
	v_dual_lshlrev_b32 v16, 16, v16 :: v_dual_lshlrev_b32 v1, 16, v1
	v_lshlrev_b32_e32 v32, 16, v32
	v_and_b32_e32 v40, 0xffff, v40
	v_lshl_or_b32 v34, v33, 16, v34
	v_lshl_or_b32 v33, v37, 16, v39
	v_and_b32_e32 v37, 0xffff, v38
	v_and_or_b32 v2, 0xffff, v2, v16
	v_and_or_b32 v1, 0xffff, v3, v1
	;; [unrolled: 1-line block ×3, first 2 shown]
	;;#ASMSTART
	v_pk_mul_f16 v2, v34, v2;

	;;#ASMEND
	;;#ASMSTART
	v_pk_mul_f16 v1, v33, v1;

	;;#ASMEND
	v_lshl_or_b32 v35, v35, 16, v40
	v_lshl_or_b32 v36, v36, 16, v37
	;;#ASMSTART
	v_pk_mul_f16 v3, v35, v3;

	;;#ASMEND
	;;#ASMSTART
	v_pk_mul_f16 v4, v36, v5;

	;;#ASMEND
	;;#ASMSTART
	v_pk_add_f16 v1, v2, v1;

	;;#ASMEND
	;;#ASMSTART
	v_pk_add_f16 v1, v1, v3;
	;; [unrolled: 4-line block ×3, first 2 shown]

	;;#ASMEND
	v_and_b32_e32 v2, 0xffff, v1
	v_lshrrev_b32_e32 v1, 16, v1
	;;#ASMSTART
	v_cvt_f32_f16 v37, v2;
	;;#ASMEND
	;;#ASMSTART
	v_cvt_f32_f16 v38, v1;
	;;#ASMEND
	global_load_b128 v[2:5], v[14:15], off offset:512
	s_wait_loadcnt 0x0
	v_dual_lshrrev_b32 v1, 16, v3 :: v_dual_lshrrev_b32 v16, 16, v2
	v_lshrrev_b32_e32 v32, 16, v4
	s_and_saveexec_b32 s11, vcc_lo
	s_cbranch_execz .LBB82_44
; %bb.43:                               ;   in Loop: Header=BB82_40 Depth=1
	v_cmp_gt_i32_e64 s0, s21, v19
	v_and_b32_e32 v39, 0xffff, v5
	v_and_b32_e32 v5, 0xffff0000, v5
	s_delay_alu instid0(VALU_DEP_3) | instskip(SKIP_1) | instid1(VALU_DEP_1)
	v_cndmask_b32_e64 v2, 0, v2, s0
	v_cmp_gt_i32_e64 s0, s21, v30
	v_cndmask_b32_e64 v3, 0, v3, s0
	v_cmp_gt_i32_e64 s0, s10, v31
	s_delay_alu instid0(VALU_DEP_1) | instskip(SKIP_1) | instid1(VALU_DEP_1)
	v_cndmask_b32_e64 v1, 0, v1, s0
	v_cmp_gt_i32_e64 s0, s21, v29
	v_cndmask_b32_e64 v16, 0, v16, s0
	v_cmp_gt_i32_e64 s0, s21, v28
	s_delay_alu instid0(VALU_DEP_1) | instskip(SKIP_1) | instid1(VALU_DEP_1)
	;; [unrolled: 5-line block ×3, first 2 shown]
	v_dual_cndmask_b32 v4, 0, v4, s0 :: v_dual_bitop2_b32 v5, v39, v5 bitop3:0x54
	v_cmp_gt_i32_e64 s0, s21, v25
	v_cndmask_b32_e64 v32, 0, v32, s0
.LBB82_44:                              ;   in Loop: Header=BB82_40 Depth=1
	s_or_b32 exec_lo, exec_lo, s11
	v_dual_lshlrev_b32 v16, 16, v16 :: v_dual_lshlrev_b32 v1, 16, v1
	s_delay_alu instid0(VALU_DEP_2) | instskip(NEXT) | instid1(VALU_DEP_2)
	v_lshlrev_b32_e32 v32, 16, v32
	v_and_or_b32 v2, 0xffff, v2, v16
	s_delay_alu instid0(VALU_DEP_3) | instskip(NEXT) | instid1(VALU_DEP_3)
	v_and_or_b32 v1, 0xffff, v3, v1
	v_and_or_b32 v3, 0xffff, v4, v32
	;;#ASMSTART
	v_pk_mul_f16 v2, v34, v2;

	;;#ASMEND
	;;#ASMSTART
	v_pk_mul_f16 v1, v33, v1;

	;;#ASMEND
	;; [unrolled: 4-line block ×4, first 2 shown]
	;;#ASMSTART
	v_pk_add_f16 v1, v2, v1;

	;;#ASMEND
	;;#ASMSTART
	v_pk_add_f16 v1, v1, v3;

	;;#ASMEND
	;; [unrolled: 4-line block ×3, first 2 shown]
	v_and_b32_e32 v2, 0xffff, v1
	v_lshrrev_b32_e32 v1, 16, v1
	;;#ASMSTART
	v_cvt_f32_f16 v39, v2;
	;;#ASMEND
	;;#ASMSTART
	v_cvt_f32_f16 v40, v1;
	;;#ASMEND
	global_load_b128 v[2:5], v[14:15], off offset:1024
	s_wait_loadcnt 0x0
	v_dual_lshrrev_b32 v1, 16, v3 :: v_dual_lshrrev_b32 v16, 16, v2
	v_lshrrev_b32_e32 v32, 16, v4
	s_and_saveexec_b32 s11, vcc_lo
	s_cbranch_execz .LBB82_46
; %bb.45:                               ;   in Loop: Header=BB82_40 Depth=1
	v_cmp_gt_i32_e64 s0, s21, v19
	v_and_b32_e32 v41, 0xffff, v5
	v_and_b32_e32 v5, 0xffff0000, v5
	s_delay_alu instid0(VALU_DEP_3) | instskip(SKIP_1) | instid1(VALU_DEP_1)
	v_cndmask_b32_e64 v2, 0, v2, s0
	v_cmp_gt_i32_e64 s0, s21, v30
	v_cndmask_b32_e64 v3, 0, v3, s0
	v_cmp_gt_i32_e64 s0, s10, v31
	s_delay_alu instid0(VALU_DEP_1) | instskip(SKIP_1) | instid1(VALU_DEP_1)
	v_cndmask_b32_e64 v1, 0, v1, s0
	v_cmp_gt_i32_e64 s0, s21, v29
	v_cndmask_b32_e64 v16, 0, v16, s0
	v_cmp_gt_i32_e64 s0, s21, v28
	s_delay_alu instid0(VALU_DEP_1) | instskip(SKIP_1) | instid1(VALU_DEP_1)
	;; [unrolled: 5-line block ×3, first 2 shown]
	v_cndmask_b32_e64 v4, 0, v4, s0
	v_cmp_gt_i32_e64 s0, s21, v25
	v_dual_cndmask_b32 v32, 0, v32, s0 :: v_dual_bitop2_b32 v5, v41, v5 bitop3:0x54
.LBB82_46:                              ;   in Loop: Header=BB82_40 Depth=1
	s_or_b32 exec_lo, exec_lo, s11
	v_dual_lshlrev_b32 v16, 16, v16 :: v_dual_lshlrev_b32 v1, 16, v1
	s_delay_alu instid0(VALU_DEP_2) | instskip(NEXT) | instid1(VALU_DEP_2)
	v_lshlrev_b32_e32 v32, 16, v32
	v_and_or_b32 v2, 0xffff, v2, v16
	s_delay_alu instid0(VALU_DEP_3) | instskip(NEXT) | instid1(VALU_DEP_3)
	v_and_or_b32 v1, 0xffff, v3, v1
	v_and_or_b32 v3, 0xffff, v4, v32
	;;#ASMSTART
	v_pk_mul_f16 v2, v34, v2;

	;;#ASMEND
	;;#ASMSTART
	v_pk_mul_f16 v1, v33, v1;

	;;#ASMEND
	;; [unrolled: 4-line block ×4, first 2 shown]
	;;#ASMSTART
	v_pk_add_f16 v1, v2, v1;

	;;#ASMEND
	;;#ASMSTART
	v_pk_add_f16 v1, v1, v3;

	;;#ASMEND
	;;#ASMSTART
	v_pk_add_f16 v1, v1, v4;

	;;#ASMEND
	v_and_b32_e32 v2, 0xffff, v1
	v_lshrrev_b32_e32 v1, 16, v1
	;;#ASMSTART
	v_cvt_f32_f16 v16, v2;
	;;#ASMEND
	;;#ASMSTART
	v_cvt_f32_f16 v32, v1;
	;;#ASMEND
	global_load_b128 v[2:5], v[14:15], off offset:1536
	s_wait_loadcnt 0x0
	v_dual_lshrrev_b32 v1, 16, v3 :: v_dual_lshrrev_b32 v14, 16, v2
	v_lshrrev_b32_e32 v15, 16, v4
	s_and_saveexec_b32 s0, vcc_lo
	s_cbranch_execz .LBB82_39
; %bb.47:                               ;   in Loop: Header=BB82_40 Depth=1
	v_cmp_gt_i32_e32 vcc_lo, s21, v19
	v_cndmask_b32_e32 v2, 0, v2, vcc_lo
	v_cmp_gt_i32_e32 vcc_lo, s21, v30
	v_and_b32_e32 v30, 0xffff, v5
	v_and_b32_e32 v5, 0xffff0000, v5
	v_cndmask_b32_e32 v3, 0, v3, vcc_lo
	v_cmp_gt_i32_e32 vcc_lo, s10, v31
	v_cndmask_b32_e32 v1, 0, v1, vcc_lo
	v_cmp_gt_i32_e32 vcc_lo, s21, v29
	;; [unrolled: 2-line block ×5, first 2 shown]
	s_delay_alu instid0(VALU_DEP_2)
	v_dual_cndmask_b32 v4, 0, v4, vcc_lo :: v_dual_bitop2_b32 v5, v28, v5 bitop3:0x54
	v_cmp_gt_i32_e32 vcc_lo, s21, v25
	v_cndmask_b32_e32 v15, 0, v15, vcc_lo
	s_branch .LBB82_39
.LBB82_48:
	s_or_b32 exec_lo, exec_lo, s5
.LBB82_49:
	s_delay_alu instid0(SALU_CYCLE_1)
	s_or_b32 exec_lo, exec_lo, s1
	ds_bpermute_b32 v2, v18, v8
	ds_bpermute_b32 v3, v18, v9
	ds_bpermute_b32 v4, v18, v6
	ds_bpermute_b32 v5, v18, v7
	v_and_b32_e32 v10, 0x3c1, v0
	v_lshrrev_b32_e32 v1, 1, v17
	s_mov_b32 s0, exec_lo
	s_wait_dscnt 0x0
	s_barrier_signal -1
	s_barrier_wait -1
	v_pk_add_f32 v[2:3], v[8:9], v[2:3]
	v_cmpx_ne_u32_e32 64, v10
	s_xor_b32 s0, exec_lo, s0
	s_delay_alu instid0(SALU_CYCLE_1)
	s_or_saveexec_b32 s0, s0
	v_pk_add_f32 v[4:5], v[6:7], v[4:5]
	v_lshl_add_u32 v6, v1, 2, 0xa0
	v_lshlrev_b32_e32 v7, 8, v22
	s_xor_b32 exec_lo, exec_lo, s0
	s_cbranch_execz .LBB82_51
; %bb.50:
	s_delay_alu instid0(VALU_DEP_1) | instskip(NEXT) | instid1(VALU_DEP_1)
	v_add_nc_u32_e32 v8, v6, v7
	v_add_nc_u32_e32 v9, 0xfffffe00, v8
	;; [unrolled: 1-line block ×5, first 2 shown]
	ds_store_b32 v9, v2
	ds_store_b32 v10, v3
	;; [unrolled: 1-line block ×4, first 2 shown]
.LBB82_51:
	s_or_b32 exec_lo, exec_lo, s0
	v_lshlrev_b32_e32 v1, 2, v1
	s_mov_b32 s1, exec_lo
	v_cmp_eq_u32_e32 vcc_lo, 0, v21
	s_wait_dscnt 0x0
	s_barrier_signal -1
	v_add3_u32 v1, 0xa0, v7, v1
	s_barrier_wait -1
	v_cmpx_gt_u32_e32 64, v0
	s_cbranch_execz .LBB82_58
; %bb.52:
	s_and_saveexec_b32 s0, vcc_lo
	s_cbranch_execnz .LBB82_70
; %bb.53:
	s_or_b32 exec_lo, exec_lo, s0
	s_and_saveexec_b32 s0, vcc_lo
	s_cbranch_execnz .LBB82_71
.LBB82_54:
	s_or_b32 exec_lo, exec_lo, s0
	s_and_saveexec_b32 s0, vcc_lo
	s_cbranch_execnz .LBB82_72
.LBB82_55:
	s_or_b32 exec_lo, exec_lo, s0
	s_and_saveexec_b32 s0, vcc_lo
	s_cbranch_execz .LBB82_57
.LBB82_56:
	ds_load_b32 v7, v1 offset:192
	s_wait_dscnt 0x0
	v_add_f32_e32 v5, v5, v7
.LBB82_57:
	s_or_b32 exec_lo, exec_lo, s0
.LBB82_58:
	s_delay_alu instid0(SALU_CYCLE_1) | instskip(SKIP_4) | instid1(VALU_DEP_1)
	s_or_b32 exec_lo, exec_lo, s1
	v_and_b32_e32 v7, 0x3e1, v0
	s_mov_b32 s1, exec_lo
	s_barrier_signal -1
	s_barrier_wait -1
	v_cmpx_eq_u32_e32 32, v7
	s_cbranch_execz .LBB82_60
; %bb.59:
	ds_store_2addr_b32 v6, v2, v3 offset1:16
	ds_store_2addr_b32 v6, v4, v5 offset0:32 offset1:48
.LBB82_60:
	s_or_b32 exec_lo, exec_lo, s1
	s_delay_alu instid0(SALU_CYCLE_1)
	s_mov_b32 s1, exec_lo
	s_wait_dscnt 0x0
	s_barrier_signal -1
	s_barrier_wait -1
	v_cmpx_gt_u32_e32 32, v0
	s_cbranch_execz .LBB82_67
; %bb.61:
	s_and_saveexec_b32 s0, vcc_lo
	s_cbranch_execnz .LBB82_73
; %bb.62:
	s_or_b32 exec_lo, exec_lo, s0
	s_and_saveexec_b32 s0, vcc_lo
	s_cbranch_execnz .LBB82_74
.LBB82_63:
	s_or_b32 exec_lo, exec_lo, s0
	s_and_saveexec_b32 s0, vcc_lo
	s_cbranch_execnz .LBB82_75
.LBB82_64:
	s_or_b32 exec_lo, exec_lo, s0
	s_and_saveexec_b32 s0, vcc_lo
	s_cbranch_execz .LBB82_66
.LBB82_65:
	ds_load_b32 v0, v1 offset:192
	s_wait_dscnt 0x0
	v_add_f32_e32 v5, v5, v0
.LBB82_66:
	s_or_b32 exec_lo, exec_lo, s0
.LBB82_67:
	s_delay_alu instid0(SALU_CYCLE_1)
	s_or_b32 exec_lo, exec_lo, s1
	s_mov_b32 s1, 0
	s_barrier_signal -1
	s_barrier_wait -1
	s_mov_b32 s0, exec_lo
	v_cmpx_eq_u32_e32 0, v7
	s_cbranch_execz .LBB82_69
; %bb.68:
	s_wait_kmcnt 0x0
	s_mul_i32 s0, s20, s9
	s_mul_i32 s2, s9, s8
	;; [unrolled: 1-line block ×3, first 2 shown]
	s_lshr_b32 s8, ttmp7, 16
	s_lshl_b32 s4, s0, 6
	s_bfe_u32 s0, ttmp6, 0x40014
	s_ashr_i32 s5, s4, 31
	s_add_co_i32 s0, s0, 1
	s_ashr_i32 s3, s2, 31
	s_mul_i32 s0, s8, s0
	s_bfe_u32 s9, ttmp6, 0x40008
	s_lshl_b64 s[4:5], s[4:5], 1
	s_lshl_b64 s[2:3], s[2:3], 1
	s_add_co_i32 s9, s9, s0
	s_cmp_eq_u32 s18, 0
	s_add_nc_u64 s[4:5], s[6:7], s[4:5]
	s_cselect_b32 s0, s8, s9
	s_add_nc_u64 s[2:3], s[4:5], s[2:3]
	s_lshl_b32 s0, s0, 7
	;;#ASMSTART
	v_cvt_f16_f32 v0, v2;

	;;#ASMEND
	s_add_nc_u64 s[0:1], s[2:3], s[0:1]
	global_store_b16 v20, v0, s[0:1] scale_offset
	s_wait_xcnt 0x0
	;;#ASMSTART
	v_cvt_f16_f32 v0, v3;

	;;#ASMEND
	global_store_b16 v20, v0, s[0:1] offset:32 scale_offset
	s_wait_xcnt 0x0
	;;#ASMSTART
	v_cvt_f16_f32 v0, v4;

	;;#ASMEND
	global_store_b16 v20, v0, s[0:1] offset:64 scale_offset
	s_wait_xcnt 0x0
	;;#ASMSTART
	v_cvt_f16_f32 v0, v5;

	;;#ASMEND
	global_store_b16 v20, v0, s[0:1] offset:96 scale_offset
.LBB82_69:
	s_sendmsg sendmsg(MSG_DEALLOC_VGPRS)
	s_endpgm
.LBB82_70:
	ds_load_b32 v7, v1
	s_wait_dscnt 0x0
	v_add_f32_e32 v2, v2, v7
	s_or_b32 exec_lo, exec_lo, s0
	s_and_saveexec_b32 s0, vcc_lo
	s_cbranch_execz .LBB82_54
.LBB82_71:
	ds_load_b32 v7, v1 offset:64
	s_wait_dscnt 0x0
	v_add_f32_e32 v3, v3, v7
	s_or_b32 exec_lo, exec_lo, s0
	s_and_saveexec_b32 s0, vcc_lo
	s_cbranch_execz .LBB82_55
.LBB82_72:
	ds_load_b32 v7, v1 offset:128
	s_wait_dscnt 0x0
	v_add_f32_e32 v4, v4, v7
	s_or_b32 exec_lo, exec_lo, s0
	s_and_saveexec_b32 s0, vcc_lo
	s_cbranch_execnz .LBB82_56
	s_branch .LBB82_57
.LBB82_73:
	ds_load_b32 v0, v1
	s_wait_dscnt 0x0
	v_add_f32_e32 v2, v2, v0
	s_or_b32 exec_lo, exec_lo, s0
	s_and_saveexec_b32 s0, vcc_lo
	s_cbranch_execz .LBB82_63
.LBB82_74:
	ds_load_b32 v0, v1 offset:64
	s_wait_dscnt 0x0
	v_add_f32_e32 v3, v3, v0
	s_or_b32 exec_lo, exec_lo, s0
	s_and_saveexec_b32 s0, vcc_lo
	s_cbranch_execz .LBB82_64
.LBB82_75:
	ds_load_b32 v0, v1 offset:128
	s_wait_dscnt 0x0
	v_add_f32_e32 v4, v4, v0
	s_or_b32 exec_lo, exec_lo, s0
	s_and_saveexec_b32 s0, vcc_lo
	s_cbranch_execnz .LBB82_65
	s_branch .LBB82_66
	.section	.rodata,"a",@progbits
	.p2align	6, 0x0
	.amdhsa_kernel _ZN4vllm25paged_attention_v1_kernelIttLi64ELi16ELi128ELNS_18Fp8KVCacheDataTypeE0ELb0EEEvPT_PKS2_PKT0_S8_ifPKiSA_iPKfiiiSC_SC_iiiii
		.amdhsa_group_segment_fixed_size 160
		.amdhsa_private_segment_fixed_size 0
		.amdhsa_kernarg_size 384
		.amdhsa_user_sgpr_count 2
		.amdhsa_user_sgpr_dispatch_ptr 0
		.amdhsa_user_sgpr_queue_ptr 0
		.amdhsa_user_sgpr_kernarg_segment_ptr 1
		.amdhsa_user_sgpr_dispatch_id 0
		.amdhsa_user_sgpr_kernarg_preload_length 0
		.amdhsa_user_sgpr_kernarg_preload_offset 0
		.amdhsa_user_sgpr_private_segment_size 0
		.amdhsa_wavefront_size32 1
		.amdhsa_uses_dynamic_stack 0
		.amdhsa_enable_private_segment 0
		.amdhsa_system_sgpr_workgroup_id_x 1
		.amdhsa_system_sgpr_workgroup_id_y 1
		.amdhsa_system_sgpr_workgroup_id_z 1
		.amdhsa_system_sgpr_workgroup_info 0
		.amdhsa_system_vgpr_workitem_id 0
		.amdhsa_next_free_vgpr 79
		.amdhsa_next_free_sgpr 30
		.amdhsa_named_barrier_count 0
		.amdhsa_reserve_vcc 1
		.amdhsa_float_round_mode_32 0
		.amdhsa_float_round_mode_16_64 0
		.amdhsa_float_denorm_mode_32 3
		.amdhsa_float_denorm_mode_16_64 3
		.amdhsa_fp16_overflow 0
		.amdhsa_memory_ordered 1
		.amdhsa_forward_progress 1
		.amdhsa_inst_pref_size 45
		.amdhsa_round_robin_scheduling 0
		.amdhsa_exception_fp_ieee_invalid_op 0
		.amdhsa_exception_fp_denorm_src 0
		.amdhsa_exception_fp_ieee_div_zero 0
		.amdhsa_exception_fp_ieee_overflow 0
		.amdhsa_exception_fp_ieee_underflow 0
		.amdhsa_exception_fp_ieee_inexact 0
		.amdhsa_exception_int_div_zero 0
	.end_amdhsa_kernel
	.section	.text._ZN4vllm25paged_attention_v1_kernelIttLi64ELi16ELi128ELNS_18Fp8KVCacheDataTypeE0ELb0EEEvPT_PKS2_PKT0_S8_ifPKiSA_iPKfiiiSC_SC_iiiii,"axG",@progbits,_ZN4vllm25paged_attention_v1_kernelIttLi64ELi16ELi128ELNS_18Fp8KVCacheDataTypeE0ELb0EEEvPT_PKS2_PKT0_S8_ifPKiSA_iPKfiiiSC_SC_iiiii,comdat
.Lfunc_end82:
	.size	_ZN4vllm25paged_attention_v1_kernelIttLi64ELi16ELi128ELNS_18Fp8KVCacheDataTypeE0ELb0EEEvPT_PKS2_PKT0_S8_ifPKiSA_iPKfiiiSC_SC_iiiii, .Lfunc_end82-_ZN4vllm25paged_attention_v1_kernelIttLi64ELi16ELi128ELNS_18Fp8KVCacheDataTypeE0ELb0EEEvPT_PKS2_PKT0_S8_ifPKiSA_iPKfiiiSC_SC_iiiii
                                        ; -- End function
	.set _ZN4vllm25paged_attention_v1_kernelIttLi64ELi16ELi128ELNS_18Fp8KVCacheDataTypeE0ELb0EEEvPT_PKS2_PKT0_S8_ifPKiSA_iPKfiiiSC_SC_iiiii.num_vgpr, 79
	.set _ZN4vllm25paged_attention_v1_kernelIttLi64ELi16ELi128ELNS_18Fp8KVCacheDataTypeE0ELb0EEEvPT_PKS2_PKT0_S8_ifPKiSA_iPKfiiiSC_SC_iiiii.num_agpr, 0
	.set _ZN4vllm25paged_attention_v1_kernelIttLi64ELi16ELi128ELNS_18Fp8KVCacheDataTypeE0ELb0EEEvPT_PKS2_PKT0_S8_ifPKiSA_iPKfiiiSC_SC_iiiii.numbered_sgpr, 30
	.set _ZN4vllm25paged_attention_v1_kernelIttLi64ELi16ELi128ELNS_18Fp8KVCacheDataTypeE0ELb0EEEvPT_PKS2_PKT0_S8_ifPKiSA_iPKfiiiSC_SC_iiiii.num_named_barrier, 0
	.set _ZN4vllm25paged_attention_v1_kernelIttLi64ELi16ELi128ELNS_18Fp8KVCacheDataTypeE0ELb0EEEvPT_PKS2_PKT0_S8_ifPKiSA_iPKfiiiSC_SC_iiiii.private_seg_size, 0
	.set _ZN4vllm25paged_attention_v1_kernelIttLi64ELi16ELi128ELNS_18Fp8KVCacheDataTypeE0ELb0EEEvPT_PKS2_PKT0_S8_ifPKiSA_iPKfiiiSC_SC_iiiii.uses_vcc, 1
	.set _ZN4vllm25paged_attention_v1_kernelIttLi64ELi16ELi128ELNS_18Fp8KVCacheDataTypeE0ELb0EEEvPT_PKS2_PKT0_S8_ifPKiSA_iPKfiiiSC_SC_iiiii.uses_flat_scratch, 0
	.set _ZN4vllm25paged_attention_v1_kernelIttLi64ELi16ELi128ELNS_18Fp8KVCacheDataTypeE0ELb0EEEvPT_PKS2_PKT0_S8_ifPKiSA_iPKfiiiSC_SC_iiiii.has_dyn_sized_stack, 0
	.set _ZN4vllm25paged_attention_v1_kernelIttLi64ELi16ELi128ELNS_18Fp8KVCacheDataTypeE0ELb0EEEvPT_PKS2_PKT0_S8_ifPKiSA_iPKfiiiSC_SC_iiiii.has_recursion, 0
	.set _ZN4vllm25paged_attention_v1_kernelIttLi64ELi16ELi128ELNS_18Fp8KVCacheDataTypeE0ELb0EEEvPT_PKS2_PKT0_S8_ifPKiSA_iPKfiiiSC_SC_iiiii.has_indirect_call, 0
	.section	.AMDGPU.csdata,"",@progbits
; Kernel info:
; codeLenInByte = 5712
; TotalNumSgprs: 32
; NumVgprs: 79
; ScratchSize: 0
; MemoryBound: 0
; FloatMode: 240
; IeeeMode: 1
; LDSByteSize: 160 bytes/workgroup (compile time only)
; SGPRBlocks: 0
; VGPRBlocks: 4
; NumSGPRsForWavesPerEU: 32
; NumVGPRsForWavesPerEU: 79
; NamedBarCnt: 0
; Occupancy: 12
; WaveLimiterHint : 1
; COMPUTE_PGM_RSRC2:SCRATCH_EN: 0
; COMPUTE_PGM_RSRC2:USER_SGPR: 2
; COMPUTE_PGM_RSRC2:TRAP_HANDLER: 0
; COMPUTE_PGM_RSRC2:TGID_X_EN: 1
; COMPUTE_PGM_RSRC2:TGID_Y_EN: 1
; COMPUTE_PGM_RSRC2:TGID_Z_EN: 1
; COMPUTE_PGM_RSRC2:TIDIG_COMP_CNT: 0
	.section	.text._ZN4vllm25paged_attention_v1_kernelIttLi80ELi16ELi128ELNS_18Fp8KVCacheDataTypeE0ELb0EEEvPT_PKS2_PKT0_S8_ifPKiSA_iPKfiiiSC_SC_iiiii,"axG",@progbits,_ZN4vllm25paged_attention_v1_kernelIttLi80ELi16ELi128ELNS_18Fp8KVCacheDataTypeE0ELb0EEEvPT_PKS2_PKT0_S8_ifPKiSA_iPKfiiiSC_SC_iiiii,comdat
	.protected	_ZN4vllm25paged_attention_v1_kernelIttLi80ELi16ELi128ELNS_18Fp8KVCacheDataTypeE0ELb0EEEvPT_PKS2_PKT0_S8_ifPKiSA_iPKfiiiSC_SC_iiiii ; -- Begin function _ZN4vllm25paged_attention_v1_kernelIttLi80ELi16ELi128ELNS_18Fp8KVCacheDataTypeE0ELb0EEEvPT_PKS2_PKT0_S8_ifPKiSA_iPKfiiiSC_SC_iiiii
	.globl	_ZN4vllm25paged_attention_v1_kernelIttLi80ELi16ELi128ELNS_18Fp8KVCacheDataTypeE0ELb0EEEvPT_PKS2_PKT0_S8_ifPKiSA_iPKfiiiSC_SC_iiiii
	.p2align	8
	.type	_ZN4vllm25paged_attention_v1_kernelIttLi80ELi16ELi128ELNS_18Fp8KVCacheDataTypeE0ELb0EEEvPT_PKS2_PKT0_S8_ifPKiSA_iPKfiiiSC_SC_iiiii,@function
_ZN4vllm25paged_attention_v1_kernelIttLi80ELi16ELi128ELNS_18Fp8KVCacheDataTypeE0ELb0EEEvPT_PKS2_PKT0_S8_ifPKiSA_iPKfiiiSC_SC_iiiii: ; @_ZN4vllm25paged_attention_v1_kernelIttLi80ELi16ELi128ELNS_18Fp8KVCacheDataTypeE0ELb0EEEvPT_PKS2_PKT0_S8_ifPKiSA_iPKfiiiSC_SC_iiiii
; %bb.0:
	s_load_b64 s[6:7], s[0:1], 0x20
	s_bfe_u32 s3, ttmp6, 0x4000c
	s_bfe_u32 s5, ttmp6, 0x40010
	s_and_b32 s4, ttmp7, 0xffff
	s_add_co_i32 s3, s3, 1
	s_add_co_i32 s5, s5, 1
	s_and_b32 s2, ttmp6, 15
	s_bfe_u32 s8, ttmp6, 0x40004
	s_mul_i32 s3, ttmp9, s3
	s_mul_i32 s5, s4, s5
	s_getreg_b32 s18, hwreg(HW_REG_IB_STS2, 6, 4)
	s_add_co_i32 s2, s2, s3
	s_add_co_i32 s8, s8, s5
	s_cmp_eq_u32 s18, 0
	s_clause 0x1
	s_load_b32 s19, s[0:1], 0x80
	s_load_b64 s[10:11], s[0:1], 0x30
	s_cselect_b32 s20, s4, s8
	s_cselect_b32 s8, ttmp9, s2
	s_wait_kmcnt 0x0
	s_abs_i32 s2, s6
	s_delay_alu instid0(SALU_CYCLE_1) | instskip(SKIP_1) | instid1(SALU_CYCLE_2)
	s_cvt_f32_u32 s3, s2
	s_sub_co_i32 s4, 0, s2
	v_rcp_iflag_f32_e32 v1, s3
	s_abs_i32 s5, s19
	v_nop
	s_delay_alu instid0(TRANS32_DEP_1) | instskip(SKIP_1) | instid1(SALU_CYCLE_3)
	v_readfirstlane_b32 s3, v1
	s_mul_f32 s3, s3, 0x4f7ffffe
	s_cvt_u32_f32 s3, s3
	s_delay_alu instid0(SALU_CYCLE_3) | instskip(NEXT) | instid1(SALU_CYCLE_1)
	s_mul_i32 s4, s4, s3
	s_mul_hi_u32 s4, s3, s4
	s_delay_alu instid0(SALU_CYCLE_1) | instskip(SKIP_4) | instid1(SALU_CYCLE_1)
	s_add_co_i32 s3, s3, s4
	s_xor_b32 s4, s19, s6
	s_mul_hi_u32 s3, s5, s3
	s_ashr_i32 s4, s4, 31
	s_mul_i32 s6, s3, s2
	s_sub_co_i32 s5, s5, s6
	s_add_co_i32 s6, s3, 1
	s_sub_co_i32 s9, s5, s2
	s_cmp_ge_u32 s5, s2
	s_cselect_b32 s3, s6, s3
	s_cselect_b32 s5, s9, s5
	s_add_co_i32 s6, s3, 1
	s_cmp_ge_u32 s5, s2
	s_cselect_b32 s2, s6, s3
	s_mov_b32 s3, 0
	s_xor_b32 s2, s2, s4
	s_mov_b32 s13, s3
	s_sub_co_i32 s15, s2, s4
	s_load_b64 s[4:5], s[0:1], 0x40
	s_abs_i32 s14, s15
	s_mov_b32 s23, s3
	s_cvt_f32_u32 s2, s14
	s_delay_alu instid0(SALU_CYCLE_3) | instskip(SKIP_1) | instid1(TRANS32_DEP_1)
	v_rcp_iflag_f32_e32 v1, s2
	v_nop
	v_readfirstlane_b32 s2, v1
	s_mul_f32 s2, s2, 0x4f7ffffe
	s_delay_alu instid0(SALU_CYCLE_3) | instskip(SKIP_1) | instid1(SALU_CYCLE_2)
	s_cvt_u32_f32 s6, s2
	s_sub_co_i32 s2, 0, s14
	s_mul_i32 s2, s2, s6
	s_delay_alu instid0(SALU_CYCLE_1)
	s_mul_hi_u32 s9, s6, s2
	s_abs_i32 s2, s8
	s_add_co_i32 s12, s6, s9
	s_wait_kmcnt 0x0
	s_cmp_eq_u64 s[4:5], 0
	s_cbranch_scc1 .LBB83_2
; %bb.1:
	s_ashr_i32 s9, s8, 31
	s_delay_alu instid0(SALU_CYCLE_1) | instskip(NEXT) | instid1(SALU_CYCLE_1)
	s_lshl_b64 s[16:17], s[8:9], 2
	s_add_nc_u64 s[4:5], s[4:5], s[16:17]
	s_load_b32 s23, s[4:5], 0x0
.LBB83_2:
	s_load_b32 s21, s[10:11], s20 offset:0x0 scale_offset
	s_wait_xcnt 0x0
	s_load_b96 s[4:6], s[0:1], 0x48
	v_dual_lshrrev_b32 v28, 1, v0 :: v_dual_bitop2_b32 v29, 1, v0 bitop3:0x40
	s_ashr_i32 s16, s8, 31
	s_ashr_i32 s15, s15, 31
	s_mul_u64 s[10:11], s[2:3], s[12:13]
	s_mulk_i32 s8, 0x50
	s_mov_b32 s3, exec_lo
	v_cmpx_gt_u32_e32 20, v0
	s_cbranch_execz .LBB83_4
; %bb.3:
	s_load_b64 s[12:13], s[0:1], 0x8
	s_wait_kmcnt 0x0
	s_mul_i32 s24, s4, s20
	s_ashr_i32 s9, s8, 31
	s_ashr_i32 s25, s24, 31
	v_lshlrev_b32_e32 v1, 3, v28
	s_lshl_b64 s[24:25], s[24:25], 1
	s_delay_alu instid0(VALU_DEP_1) | instskip(SKIP_2) | instid1(SALU_CYCLE_1)
	v_mad_u32_u24 v1, 0x50, v29, v1
	s_add_nc_u64 s[12:13], s[12:13], s[24:25]
	s_lshl_b64 s[24:25], s[8:9], 1
	s_add_nc_u64 s[12:13], s[12:13], s[24:25]
	global_load_b64 v[2:3], v0, s[12:13] scale_offset
	s_wait_loadcnt 0x0
	ds_store_b64 v1, v[2:3]
.LBB83_4:
	s_or_b32 exec_lo, exec_lo, s3
	s_wait_kmcnt 0x0
	s_add_co_i32 s3, s21, 15
	s_load_b32 s4, s[0:1], 0x38
	s_ashr_i32 s9, s3, 31
	s_mul_i32 s12, s11, s14
	s_lshr_b32 s9, s9, 28
	s_sub_co_i32 s2, s2, s12
	s_add_co_i32 s3, s3, s9
	s_xor_b32 s10, s16, s15
	s_ashr_i32 s22, s3, 4
	s_add_co_i32 s3, s11, 1
	s_sub_co_i32 s9, s2, s14
	s_cmp_ge_u32 s2, s14
	v_lshrrev_b32_e32 v30, 5, v0
	s_cselect_b32 s3, s3, s11
	s_cselect_b32 s2, s9, s2
	s_add_co_i32 s9, s3, 1
	s_cmp_ge_u32 s2, s14
	v_mbcnt_lo_u32_b32 v32, -1, 0
	s_cselect_b32 s2, s9, s3
	s_wait_dscnt 0x0
	s_xor_b32 s2, s2, s10
	s_barrier_signal -1
	s_sub_co_i32 s3, s2, s10
	v_cmp_gt_i32_e64 s2, s22, v30
	s_wait_kmcnt 0x0
	s_mul_i32 s10, s4, s20
	s_mov_b32 s4, exec_lo
	s_ashr_i32 s11, s10, 31
	s_barrier_wait -1
                                        ; implicit-def: $vgpr3
                                        ; implicit-def: $vgpr2
	v_cmpx_le_i32_e64 s22, v30
	s_xor_b32 s4, exec_lo, s4
; %bb.5:
	v_dual_mov_b32 v3, 0 :: v_dual_mov_b32 v2, 32
	v_mbcnt_lo_u32_b32 v32, -1, 0
; %bb.6:
	s_or_saveexec_b32 s24, s4
	s_clause 0x1
	s_load_b64 s[12:13], s[0:1], 0x28
	s_load_b32 s9, s[0:1], 0x88
	v_mov_b32_e32 v33, 0xff7fffff
	v_dual_lshlrev_b32 v31, 3, v0 :: v_dual_lshrrev_b32 v1, 3, v0
	s_mul_i32 s14, s3, s6
	s_xor_b32 exec_lo, exec_lo, s24
	s_cbranch_execz .LBB83_12
; %bb.7:
	s_load_b64 s[26:27], s[0:1], 0x10
	v_bfe_u32 v6, v0, 1, 4
	s_ashr_i32 s15, s14, 31
	v_mov_b32_e32 v3, 0
	s_lshl_b64 s[28:29], s[14:15], 1
	s_ashr_i32 s17, s5, 31
	v_dual_lshlrev_b32 v2, 4, v6 :: v_dual_lshlrev_b32 v7, 2, v6
	s_cmp_neq_f32 s23, 0
	v_lshl_or_b32 v35, v30, 4, v6
	v_mul_u32_u24_e32 v34, 0x50, v29
	v_mov_b32_e32 v33, 0xff7fffff
	s_cselect_b32 s3, -1, 0
	v_dual_mov_b32 v38, v30 :: v_dual_bitop2_b32 v37, 1, v32 bitop3:0x14
	s_mov_b32 s16, s5
	s_mov_b32 s6, 0
	s_sub_co_i32 s15, 1, s21
	v_cmp_eq_u32_e32 vcc_lo, 0, v29
	s_wait_kmcnt 0x0
	s_add_nc_u64 s[26:27], s[26:27], s[28:29]
	s_delay_alu instid0(SALU_CYCLE_1) | instskip(SKIP_3) | instid1(SALU_CYCLE_1)
	v_add_nc_u64_e32 v[4:5], s[26:27], v[2:3]
	v_and_b32_e32 v2, 8, v31
	v_lshl_or_b32 v7, v30, 6, v7
	s_lshl_b64 s[26:27], s[10:11], 2
	s_add_nc_u64 s[26:27], s[12:13], s[26:27]
	s_delay_alu instid0(VALU_DEP_1) | instskip(NEXT) | instid1(VALU_DEP_4)
	v_add_nc_u32_e32 v36, 0xc0, v7
	v_add_nc_u64_e32 v[4:5], v[4:5], v[2:3]
	v_and_b32_e32 v2, 0x7c, v1
	s_delay_alu instid0(VALU_DEP_1)
	v_add_nc_u64_e32 v[6:7], s[26:27], v[2:3]
	v_mov_b32_e32 v2, 32
	s_branch .LBB83_9
.LBB83_8:                               ;   in Loop: Header=BB83_9 Depth=1
	s_or_b32 exec_lo, exec_lo, s25
	v_dual_add_nc_u32 v38, 4, v38 :: v_dual_add_nc_u32 v35, 64, v35
	v_add_nc_u64_e32 v[6:7], 16, v[6:7]
	v_add_nc_u32_e32 v36, 0x100, v36
	s_delay_alu instid0(VALU_DEP_3) | instskip(SKIP_1) | instid1(SALU_CYCLE_1)
	v_cmp_le_i32_e64 s4, s22, v38
	s_or_b32 s6, s4, s6
	s_and_not1_b32 exec_lo, exec_lo, s6
	s_cbranch_execz .LBB83_11
.LBB83_9:                               ; =>This Inner Loop Header: Depth=1
	global_load_b32 v8, v[6:7], off
	v_cmp_gt_i32_e64 s4, 32, v37
	s_wait_loadcnt_dscnt 0x0
	v_ashrrev_i32_e32 v9, 31, v8
	s_delay_alu instid0(VALU_DEP_1) | instskip(NEXT) | instid1(VALU_DEP_1)
	v_mul_u64_e32 v[8:9], s[16:17], v[8:9]
	v_lshl_add_u64 v[26:27], v[8:9], 1, v[4:5]
	s_clause 0x9
	global_load_b64 v[40:41], v[26:27], off
	global_load_b64 v[24:25], v[26:27], off offset:256
	global_load_b64 v[22:23], v[26:27], off offset:512
	;; [unrolled: 1-line block ×9, first 2 shown]
	s_wait_xcnt 0x0
	ds_load_b64 v[26:27], v34
	s_wait_dscnt 0x0
	v_and_b32_e32 v39, 0xffff, v26
	v_dual_lshrrev_b32 v26, 16, v26 :: v_dual_lshrrev_b32 v42, 16, v27
	v_and_b32_e32 v27, 0xffff, v27
	;;#ASMSTART
	v_cvt_f32_f16 v39, v39;
	;;#ASMEND
	s_wait_loadcnt 0x9
	v_and_b32_e32 v43, 0xffff, v40
	v_lshrrev_b32_e32 v44, 16, v40
	;;#ASMSTART
	v_cvt_f32_f16 v40, v26;
	;;#ASMEND
	s_wait_loadcnt 0x8
	v_dual_lshrrev_b32 v26, 16, v41 :: v_dual_lshrrev_b32 v47, 16, v24
	v_and_b32_e32 v45, 0xffff, v41
	;;#ASMSTART
	v_cvt_f32_f16 v43, v43;
	;;#ASMEND
	;;#ASMSTART
	v_cvt_f32_f16 v44, v44;
	;;#ASMEND
	;; [unrolled: 3-line block ×6, first 2 shown]
	ds_load_b64 v[26:27], v34 offset:8
	v_and_b32_e32 v24, 0xffff, v24
	v_lshrrev_b32_e32 v48, 16, v25
	v_and_b32_e32 v25, 0xffff, v25
	s_wait_loadcnt 0x1
	v_dual_lshrrev_b32 v86, 16, v13 :: v_dual_lshrrev_b32 v87, 16, v10
	v_and_b32_e32 v13, 0xffff, v13
	v_and_b32_e32 v10, 0xffff, v10
	v_lshrrev_b32_e32 v53, 16, v22
	v_and_b32_e32 v22, 0xffff, v22
	v_lshrrev_b32_e32 v59, 16, v20
	v_and_b32_e32 v20, 0xffff, v20
	v_lshrrev_b32_e32 v65, 16, v18
	v_and_b32_e32 v18, 0xffff, v18
	v_lshrrev_b32_e32 v71, 16, v16
	v_and_b32_e32 v16, 0xffff, v16
	v_lshrrev_b32_e32 v77, 16, v14
	v_and_b32_e32 v14, 0xffff, v14
	v_lshrrev_b32_e32 v85, 16, v12
	v_and_b32_e32 v12, 0xffff, v12
	s_wait_dscnt 0x0
	v_and_b32_e32 v49, 0xffff, v26
	v_dual_lshrrev_b32 v26, 16, v26 :: v_dual_lshrrev_b32 v50, 16, v27
	v_and_b32_e32 v27, 0xffff, v27
	;;#ASMSTART
	v_cvt_f32_f16 v49, v49;
	;;#ASMEND
	;;#ASMSTART
	v_cvt_f32_f16 v26, v26;
	;;#ASMEND
	;;#ASMSTART
	v_cvt_f32_f16 v51, v24;
	;;#ASMEND
	;;#ASMSTART
	v_cvt_f32_f16 v47, v47;
	;;#ASMEND
	;;#ASMSTART
	v_cvt_f32_f16 v27, v27;
	;;#ASMEND
	;;#ASMSTART
	v_cvt_f32_f16 v50, v50;
	;;#ASMEND
	;;#ASMSTART
	v_cvt_f32_f16 v52, v25;
	;;#ASMEND
	;;#ASMSTART
	v_cvt_f32_f16 v48, v48;
	;;#ASMEND
	ds_load_b64 v[24:25], v34 offset:16
	v_lshrrev_b32_e32 v54, 16, v23
	v_and_b32_e32 v23, 0xffff, v23
	s_wait_dscnt 0x0
	v_and_b32_e32 v55, 0xffff, v24
	v_dual_lshrrev_b32 v24, 16, v24 :: v_dual_lshrrev_b32 v56, 16, v25
	v_and_b32_e32 v25, 0xffff, v25
	;;#ASMSTART
	v_cvt_f32_f16 v55, v55;
	;;#ASMEND
	;;#ASMSTART
	v_cvt_f32_f16 v24, v24;
	;;#ASMEND
	;;#ASMSTART
	v_cvt_f32_f16 v57, v22;
	;;#ASMEND
	;;#ASMSTART
	v_cvt_f32_f16 v53, v53;
	;;#ASMEND
	;;#ASMSTART
	v_cvt_f32_f16 v25, v25;
	;;#ASMEND
	;;#ASMSTART
	v_cvt_f32_f16 v56, v56;
	;;#ASMEND
	;;#ASMSTART
	v_cvt_f32_f16 v58, v23;
	;;#ASMEND
	;;#ASMSTART
	v_cvt_f32_f16 v54, v54;
	;;#ASMEND
	ds_load_b64 v[22:23], v34 offset:24
	v_lshrrev_b32_e32 v60, 16, v21
	;; [unrolled: 31-line block ×5, first 2 shown]
	v_and_b32_e32 v15, 0xffff, v15
	s_wait_dscnt 0x0
	v_and_b32_e32 v79, 0xffff, v16
	v_dual_lshrrev_b32 v80, 16, v17 :: v_dual_lshrrev_b32 v16, 16, v16
	v_and_b32_e32 v17, 0xffff, v17
	;;#ASMSTART
	v_cvt_f32_f16 v79, v79;
	;;#ASMEND
	;;#ASMSTART
	v_cvt_f32_f16 v81, v16;
	;;#ASMEND
	;; [unrolled: 3-line block ×8, first 2 shown]
	ds_load_b64 v[14:15], v34 offset:56
	v_mul_f32_e32 v16, v49, v51
	v_mul_f32_e32 v17, v26, v47
	s_wait_dscnt 0x0
	v_and_b32_e32 v26, 0xffff, v14
	v_dual_mul_f32 v14, v27, v52 :: v_dual_lshrrev_b32 v47, 16, v14
	v_lshrrev_b32_e32 v27, 16, v15
	v_and_b32_e32 v15, 0xffff, v15
	;;#ASMSTART
	v_cvt_f32_f16 v26, v26;
	;;#ASMEND
	;;#ASMSTART
	v_cvt_f32_f16 v47, v47;
	;;#ASMEND
	;; [unrolled: 3-line block ×5, first 2 shown]
	v_mul_f32_e32 v15, v50, v48
	;;#ASMSTART
	v_cvt_f32_f16 v27, v27;
	;;#ASMEND
	;;#ASMSTART
	v_cvt_f32_f16 v85, v13;
	;;#ASMEND
	;; [unrolled: 3-line block ×3, first 2 shown]
	ds_load_b64 v[12:13], v34 offset:64
	v_dual_fmac_f32 v16, v39, v43 :: v_dual_fmac_f32 v17, v40, v44
	v_dual_fmac_f32 v14, v41, v45 :: v_dual_lshrrev_b32 v39, 16, v11
	s_delay_alu instid0(VALU_DEP_2) | instskip(NEXT) | instid1(VALU_DEP_3)
	v_dual_fmac_f32 v15, v42, v46 :: v_dual_fmac_f32 v16, v55, v57
	v_fmac_f32_e32 v17, v24, v53
	v_and_b32_e32 v11, 0xffff, v11
	s_delay_alu instid0(VALU_DEP_4) | instskip(NEXT) | instid1(VALU_DEP_4)
	v_fmac_f32_e32 v14, v25, v58
	v_dual_fmac_f32 v15, v56, v54 :: v_dual_fmac_f32 v16, v61, v63
	s_wait_loadcnt 0x0
	v_dual_fmac_f32 v17, v22, v59 :: v_dual_lshrrev_b32 v22, 16, v8
	s_delay_alu instid0(VALU_DEP_3) | instskip(NEXT) | instid1(VALU_DEP_3)
	v_fmac_f32_e32 v14, v23, v64
	v_dual_fmac_f32 v15, v62, v60 :: v_dual_fmac_f32 v16, v67, v69
	s_delay_alu instid0(VALU_DEP_3) | instskip(SKIP_1) | instid1(VALU_DEP_4)
	v_fmac_f32_e32 v17, v20, v65
	v_and_b32_e32 v8, 0xffff, v8
	v_fmac_f32_e32 v14, v21, v70
	s_wait_dscnt 0x0
	v_and_b32_e32 v20, 0xffff, v12
	v_dual_lshrrev_b32 v12, 16, v12 :: v_dual_lshrrev_b32 v21, 16, v13
	v_fmac_f32_e32 v15, v68, v66
	v_and_b32_e32 v13, 0xffff, v13
	;;#ASMSTART
	v_cvt_f32_f16 v20, v20;
	;;#ASMEND
	;;#ASMSTART
	v_cvt_f32_f16 v12, v12;
	;;#ASMEND
	;; [unrolled: 3-line block ×8, first 2 shown]
	ds_load_b64 v[10:11], v34 offset:72
	v_dual_fmac_f32 v16, v73, v75 :: v_dual_fmac_f32 v14, v19, v76
	v_dual_fmac_f32 v17, v18, v71 :: v_dual_lshrrev_b32 v18, 16, v9
	v_and_b32_e32 v9, 0xffff, v9
	s_delay_alu instid0(VALU_DEP_3) | instskip(NEXT) | instid1(VALU_DEP_3)
	v_dual_fmac_f32 v16, v79, v82 :: v_dual_fmac_f32 v15, v74, v72
	v_dual_fmac_f32 v17, v81, v77 :: v_dual_fmac_f32 v14, v83, v84
	s_delay_alu instid0(VALU_DEP_2) | instskip(NEXT) | instid1(VALU_DEP_2)
	v_dual_fmac_f32 v16, v26, v49 :: v_dual_fmac_f32 v15, v80, v78
	v_dual_fmac_f32 v17, v47, v51 :: v_dual_fmac_f32 v14, v52, v85
	s_delay_alu instid0(VALU_DEP_2) | instskip(NEXT) | instid1(VALU_DEP_2)
	v_dual_fmac_f32 v16, v20, v23 :: v_dual_fmac_f32 v15, v27, v86
	v_dual_fmac_f32 v17, v12, v24 :: v_dual_fmac_f32 v14, v13, v25
	s_wait_dscnt 0x0
	v_and_b32_e32 v12, 0xffff, v10
	s_delay_alu instid0(VALU_DEP_3)
	v_dual_fmac_f32 v15, v21, v39 :: v_dual_lshrrev_b32 v10, 16, v10
	;;#ASMSTART
	v_cvt_f32_f16 v12, v12;
	;;#ASMEND
	;;#ASMSTART
	v_cvt_f32_f16 v10, v10;
	;;#ASMEND
	;;#ASMSTART
	v_cvt_f32_f16 v8, v8;
	;;#ASMEND
	v_dual_fmac_f32 v16, v12, v8 :: v_dual_lshrrev_b32 v13, 16, v11
	v_and_b32_e32 v11, 0xffff, v11
	;;#ASMSTART
	v_cvt_f32_f16 v19, v22;
	;;#ASMEND
	;;#ASMSTART
	v_cvt_f32_f16 v8, v11;
	;;#ASMEND
	v_fmac_f32_e32 v17, v10, v19
	;;#ASMSTART
	v_cvt_f32_f16 v10, v13;
	;;#ASMEND
	;;#ASMSTART
	v_cvt_f32_f16 v9, v9;
	;;#ASMEND
	v_fmac_f32_e32 v14, v8, v9
	;;#ASMSTART
	v_cvt_f32_f16 v9, v18;
	;;#ASMEND
	v_add_f32_e32 v8, v16, v17
	s_delay_alu instid0(VALU_DEP_1) | instskip(NEXT) | instid1(VALU_DEP_1)
	v_dual_fmac_f32 v15, v10, v9 :: v_dual_add_f32 v8, v8, v14
	v_dual_cndmask_b32 v9, v32, v37, s4 :: v_dual_add_f32 v8, v15, v8
	s_delay_alu instid0(VALU_DEP_1)
	v_lshlrev_b32_e32 v9, 2, v9
	ds_bpermute_b32 v9, v9, v8
	s_and_saveexec_b32 s25, vcc_lo
	s_cbranch_execz .LBB83_8
; %bb.10:                               ;   in Loop: Header=BB83_9 Depth=1
	s_wait_dscnt 0x0
	v_dual_add_nc_u32 v10, s15, v35 :: v_dual_add_f32 v8, v8, v9
	v_cmp_gt_i32_e64 s4, s21, v35
	s_delay_alu instid0(VALU_DEP_2) | instskip(NEXT) | instid1(VALU_DEP_1)
	v_cvt_f32_i32_e32 v10, v10
	v_mul_f32_e32 v10, s23, v10
	s_delay_alu instid0(VALU_DEP_1) | instskip(NEXT) | instid1(VALU_DEP_1)
	v_dual_cndmask_b32 v9, 0, v10, s3 :: v_dual_max_num_f32 v10, v33, v33
	v_fmac_f32_e32 v9, s7, v8
	s_delay_alu instid0(VALU_DEP_1) | instskip(NEXT) | instid1(VALU_DEP_1)
	v_dual_max_num_f32 v8, v10, v9 :: v_dual_cndmask_b32 v9, 0, v9, s4
	v_cndmask_b32_e64 v33, v33, v8, s4
	ds_store_b32 v36, v9
	s_branch .LBB83_8
.LBB83_11:
	s_or_b32 exec_lo, exec_lo, s6
.LBB83_12:
	s_delay_alu instid0(SALU_CYCLE_1)
	s_or_b32 exec_lo, exec_lo, s24
	v_dual_max_num_f32 v7, v33, v33 :: v_dual_bitop2_b32 v4, 16, v32 bitop3:0x14
	v_xor_b32_e32 v6, 8, v32
	s_clause 0x1
	s_load_b64 s[6:7], s[0:1], 0x0
	s_load_b64 s[16:17], s[0:1], 0x18
	v_and_b32_e32 v18, 31, v0
	v_cmp_lt_i32_e32 vcc_lo, v4, v2
	v_cndmask_b32_e32 v4, v32, v4, vcc_lo
	v_cmp_lt_i32_e32 vcc_lo, v6, v2
	s_delay_alu instid0(VALU_DEP_2) | instskip(SKIP_3) | instid1(VALU_DEP_1)
	v_dual_cndmask_b32 v6, v32, v6 :: v_dual_lshlrev_b32 v5, 2, v4
	ds_bpermute_b32 v4, v5, v33
	s_wait_dscnt 0x0
	v_dual_max_num_f32 v4, v4, v4 :: v_dual_lshlrev_b32 v6, 2, v6
	v_max_num_f32_e32 v4, v7, v4
	ds_bpermute_b32 v7, v6, v4
	s_wait_dscnt 0x0
	v_dual_max_num_f32 v9, v7, v7 :: v_dual_bitop2_b32 v8, 4, v32 bitop3:0x14
	s_delay_alu instid0(VALU_DEP_1) | instskip(NEXT) | instid1(VALU_DEP_2)
	v_max_num_f32_e32 v4, v4, v9
	v_cmp_lt_i32_e32 vcc_lo, v8, v2
	v_xor_b32_e32 v9, 2, v32
	v_cndmask_b32_e32 v8, v32, v8, vcc_lo
	s_delay_alu instid0(VALU_DEP_2) | instskip(NEXT) | instid1(VALU_DEP_2)
	v_cmp_lt_i32_e32 vcc_lo, v9, v2
	v_dual_cndmask_b32 v10, v32, v9 :: v_dual_lshlrev_b32 v7, 2, v8
	v_cmp_eq_u32_e32 vcc_lo, 0, v18
	ds_bpermute_b32 v8, v7, v4
	s_wait_dscnt 0x0
	v_max_num_f32_e32 v8, v8, v8
	s_delay_alu instid0(VALU_DEP_1)
	v_dual_max_num_f32 v9, v4, v8 :: v_dual_lshlrev_b32 v8, 2, v30
	v_lshlrev_b32_e32 v4, 2, v10
	ds_bpermute_b32 v10, v4, v9
	s_wait_xcnt 0x0
	s_and_saveexec_b32 s0, vcc_lo
	s_cbranch_execz .LBB83_14
; %bb.13:
	s_wait_dscnt 0x0
	v_dual_max_num_f32 v10, v10, v10 :: v_dual_max_num_f32 v9, v9, v9
	s_delay_alu instid0(VALU_DEP_1)
	v_max_num_f32_e32 v9, v9, v10
	ds_store_b32 v8, v9 offset:160
.LBB83_14:
	s_or_b32 exec_lo, exec_lo, s0
	v_cmp_gt_u32_e64 s0, 4, v18
	s_wait_dscnt 0x0
	v_dual_mov_b32 v10, 0xff7fffff :: v_dual_lshlrev_b32 v9, 2, v18
	s_barrier_signal -1
	s_barrier_wait -1
	s_and_saveexec_b32 s1, s0
; %bb.15:
	ds_load_b32 v10, v9 offset:160
; %bb.16:
	s_or_b32 exec_lo, exec_lo, s1
	s_wait_dscnt 0x0
	ds_bpermute_b32 v11, v4, v10
	v_dual_max_num_f32 v10, v10, v10 :: v_dual_bitop2_b32 v12, 1, v32 bitop3:0x14
	v_lshlrev_b32_e32 v3, 2, v3
	s_delay_alu instid0(VALU_DEP_2) | instskip(NEXT) | instid1(VALU_DEP_1)
	v_cmp_lt_i32_e64 s1, v12, v2
	v_cndmask_b32_e64 v2, v32, v12, s1
	s_lshl_b32 s1, s22, 4
	s_delay_alu instid0(SALU_CYCLE_1) | instskip(NEXT) | instid1(SALU_CYCLE_1)
	s_min_i32 s4, s1, s21
	v_cmp_gt_i32_e64 s1, s4, v0
	s_wait_dscnt 0x0
	v_dual_max_num_f32 v11, v11, v11 :: v_dual_lshlrev_b32 v19, 2, v2
	s_delay_alu instid0(VALU_DEP_1) | instskip(SKIP_3) | instid1(VALU_DEP_1)
	v_max_num_f32_e32 v2, v10, v11
	ds_bpermute_b32 v10, v19, v2
	s_wait_dscnt 0x0
	v_max_num_f32_e32 v10, v10, v10
	v_max_num_f32_e32 v2, v2, v10
	ds_bpermute_b32 v3, v3, v2
	v_mov_b32_e32 v2, 0
	s_and_saveexec_b32 s15, s1
	s_cbranch_execz .LBB83_20
; %bb.17:
	v_lshl_add_u32 v10, v0, 2, 0xc0
	v_dual_mov_b32 v2, 0 :: v_dual_mov_b32 v11, v0
	s_mov_b32 s23, 0
.LBB83_18:                              ; =>This Inner Loop Header: Depth=1
	ds_load_b32 v12, v10
	s_wait_dscnt 0x0
	v_sub_f32_e32 v12, v12, v3
	s_delay_alu instid0(VALU_DEP_1) | instskip(NEXT) | instid1(VALU_DEP_1)
	v_mul_f32_e32 v12, 0x3fb8aa3b, v12
	v_exp_f32_e32 v12, v12
	v_nop
	s_delay_alu instid0(TRANS32_DEP_1) | instskip(NEXT) | instid1(VALU_DEP_1)
	v_dual_add_f32 v2, v2, v12 :: v_dual_add_nc_u32 v11, 0x80, v11
	v_cmp_le_i32_e64 s3, s4, v11
	ds_store_b32 v10, v12
	v_add_nc_u32_e32 v10, 0x200, v10
	s_or_b32 s23, s3, s23
	s_delay_alu instid0(SALU_CYCLE_1)
	s_and_not1_b32 exec_lo, exec_lo, s23
	s_cbranch_execnz .LBB83_18
; %bb.19:
	s_or_b32 exec_lo, exec_lo, s23
.LBB83_20:
	s_delay_alu instid0(SALU_CYCLE_1)
	s_or_b32 exec_lo, exec_lo, s15
	s_wait_dscnt 0x0
	ds_bpermute_b32 v3, v5, v2
	s_wait_dscnt 0x0
	v_add_f32_e32 v2, v2, v3
	ds_bpermute_b32 v3, v6, v2
	s_wait_dscnt 0x0
	v_add_f32_e32 v2, v2, v3
	;; [unrolled: 3-line block ×5, first 2 shown]
	s_and_saveexec_b32 s3, vcc_lo
; %bb.21:
	ds_store_b32 v8, v2 offset:176
; %bb.22:
	s_or_b32 exec_lo, exec_lo, s3
	s_wait_dscnt 0x0
	s_barrier_signal -1
	s_barrier_wait -1
	s_and_saveexec_b32 s3, s0
; %bb.23:
	ds_load_b32 v2, v9 offset:176
; %bb.24:
	s_or_b32 exec_lo, exec_lo, s3
	s_wait_dscnt 0x0
	ds_bpermute_b32 v3, v4, v2
	s_wait_dscnt 0x0
	v_dual_lshlrev_b32 v4, 2, v32 :: v_dual_add_f32 v2, v2, v3
	ds_bpermute_b32 v3, v19, v2
	s_wait_dscnt 0x0
	v_add_f32_e32 v2, v2, v3
	v_and_b32_e32 v3, 0xffffff80, v4
	ds_bpermute_b32 v2, v3, v2
	s_and_saveexec_b32 s0, s1
	s_cbranch_execz .LBB83_37
; %bb.25:
	s_wait_dscnt 0x0
	v_add_f32_e32 v2, 0x358637bd, v2
	s_mov_b32 s3, -1
	s_mov_b32 s1, exec_lo
	s_delay_alu instid0(VALU_DEP_1) | instskip(NEXT) | instid1(VALU_DEP_1)
	v_div_scale_f32 v3, null, v2, v2, 1.0
	v_rcp_f32_e32 v5, v3
	v_nop
	s_delay_alu instid0(TRANS32_DEP_1) | instskip(NEXT) | instid1(VALU_DEP_1)
	v_fma_f32 v4, -v3, v5, 1.0
	v_fmac_f32_e32 v5, v4, v5
	v_div_scale_f32 v6, vcc_lo, 1.0, v2, 1.0
	s_delay_alu instid0(VALU_DEP_1) | instskip(NEXT) | instid1(VALU_DEP_1)
	v_mul_f32_e32 v7, v6, v5
	v_fma_f32 v4, -v3, v7, v6
	s_delay_alu instid0(VALU_DEP_1) | instskip(SKIP_1) | instid1(VALU_DEP_2)
	v_fmac_f32_e32 v7, v4, v5
	v_xad_u32 v4, v0, -1, s4
	v_fma_f32 v3, -v3, v7, v6
	s_delay_alu instid0(VALU_DEP_1) | instskip(NEXT) | instid1(VALU_DEP_1)
	v_div_fmas_f32 v3, v3, v5, v7
	v_div_fixup_f32 v2, v3, v2, 1.0
	v_mov_b32_e32 v3, v0
	v_cmpx_lt_u32_e32 0x7f, v4
	s_cbranch_execz .LBB83_34
; %bb.26:
	s_delay_alu instid0(VALU_DEP_3) | instskip(NEXT) | instid1(VALU_DEP_1)
	v_dual_mov_b32 v3, v2 :: v_dual_lshrrev_b32 v4, 7, v4
	v_dual_mov_b32 v8, 0 :: v_dual_add_nc_u32 v5, -1, v4
	s_delay_alu instid0(VALU_DEP_1) | instskip(SKIP_1) | instid1(VALU_DEP_2)
	v_lshrrev_b32_e32 v6, 1, v5
	v_cmp_lt_u32_e32 vcc_lo, 13, v5
	v_add_nc_u32_e32 v5, 1, v6
	s_and_saveexec_b32 s3, vcc_lo
	s_cbranch_execz .LBB83_30
; %bb.27:
	s_delay_alu instid0(VALU_DEP_1)
	v_and_b32_e32 v6, -8, v5
	v_lshl_add_u32 v7, v0, 2, 0xc0
	s_mov_b32 s15, 0
	s_mov_b32 s23, 0
.LBB83_28:                              ; =>This Inner Loop Header: Depth=1
	ds_load_2addr_stride64_b32 v[8:9], v7 offset1:2
	ds_load_2addr_stride64_b32 v[10:11], v7 offset0:4 offset1:6
	ds_load_2addr_stride64_b32 v[12:13], v7 offset0:8 offset1:10
	;; [unrolled: 1-line block ×7, first 2 shown]
	s_add_co_i32 s23, s23, 16
	v_add_nc_u32_e32 v6, -8, v6
	s_wait_dscnt 0x7
	v_pk_mul_f32 v[8:9], v[2:3], v[8:9]
	s_wait_dscnt 0x6
	v_pk_mul_f32 v[10:11], v[2:3], v[10:11]
	;; [unrolled: 2-line block ×8, first 2 shown]
	ds_store_2addr_stride64_b32 v7, v8, v9 offset1:2
	ds_store_2addr_stride64_b32 v7, v10, v11 offset0:4 offset1:6
	ds_store_2addr_stride64_b32 v7, v12, v13 offset0:8 offset1:10
	;; [unrolled: 1-line block ×7, first 2 shown]
	v_mov_b32_e32 v8, s23
	v_cmp_eq_u32_e32 vcc_lo, 0, v6
	v_add_nc_u32_e32 v7, 0x2000, v7
	s_or_b32 s15, vcc_lo, s15
	s_delay_alu instid0(SALU_CYCLE_1)
	s_and_not1_b32 exec_lo, exec_lo, s15
	s_cbranch_execnz .LBB83_28
; %bb.29:
	s_or_b32 exec_lo, exec_lo, s15
.LBB83_30:
	s_delay_alu instid0(SALU_CYCLE_1) | instskip(NEXT) | instid1(VALU_DEP_1)
	s_or_b32 exec_lo, exec_lo, s3
	v_and_b32_e32 v5, 7, v5
	s_mov_b32 s15, 0
	s_mov_b32 s3, exec_lo
	s_delay_alu instid0(VALU_DEP_1)
	v_cmpx_ne_u32_e32 0, v5
	s_cbranch_execz .LBB83_33
; %bb.31:
	v_lshlrev_b32_e32 v6, 9, v8
	v_lshlrev_b32_e32 v7, 2, v0
	s_delay_alu instid0(VALU_DEP_1)
	v_add3_u32 v6, v6, v7, 0xc0
.LBB83_32:                              ; =>This Inner Loop Header: Depth=1
	ds_load_2addr_stride64_b32 v[8:9], v6 offset1:2
	v_add_nc_u32_e32 v5, -1, v5
	s_delay_alu instid0(VALU_DEP_1)
	v_cmp_eq_u32_e32 vcc_lo, 0, v5
	s_or_b32 s15, vcc_lo, s15
	s_wait_dscnt 0x0
	v_pk_mul_f32 v[8:9], v[2:3], v[8:9]
	ds_store_2addr_stride64_b32 v6, v8, v9 offset1:2
	v_add_nc_u32_e32 v6, 0x400, v6
	s_and_not1_b32 exec_lo, exec_lo, s15
	s_cbranch_execnz .LBB83_32
.LBB83_33:
	s_or_b32 exec_lo, exec_lo, s3
	v_add_nc_u32_e32 v3, 1, v4
	s_delay_alu instid0(VALU_DEP_1) | instskip(NEXT) | instid1(VALU_DEP_1)
	v_and_b32_e32 v4, 0x3fffffe, v3
	v_cmp_ne_u32_e32 vcc_lo, v3, v4
	v_lshl_add_u32 v3, v4, 7, v0
	s_or_not1_b32 s3, vcc_lo, exec_lo
.LBB83_34:
	s_or_b32 exec_lo, exec_lo, s1
	s_delay_alu instid0(SALU_CYCLE_1)
	s_and_b32 exec_lo, exec_lo, s3
	s_cbranch_execz .LBB83_37
; %bb.35:
	v_lshl_add_u32 v4, v3, 2, 0xc0
	s_mov_b32 s1, 0
.LBB83_36:                              ; =>This Inner Loop Header: Depth=1
	ds_load_b32 v5, v4
	v_add_nc_u32_e32 v3, 0x80, v3
	s_delay_alu instid0(VALU_DEP_1)
	v_cmp_le_i32_e32 vcc_lo, s4, v3
	s_or_b32 s1, vcc_lo, s1
	s_wait_dscnt 0x0
	v_mul_f32_e32 v5, v2, v5
	ds_store_b32 v4, v5
	v_add_nc_u32_e32 v4, 0x200, v4
	s_and_not1_b32 exec_lo, exec_lo, s1
	s_cbranch_execnz .LBB83_36
.LBB83_37:
	s_or_b32 exec_lo, exec_lo, s0
	v_dual_mov_b32 v9, 0 :: v_dual_mov_b32 v8, 0
	v_dual_mov_b32 v11, 0 :: v_dual_mov_b32 v10, 0
	v_mov_b32_e32 v7, 0
	s_wait_dscnt 0x0
	s_barrier_signal -1
	s_barrier_wait -1
	s_and_saveexec_b32 s1, s2
	s_cbranch_execz .LBB83_51
; %bb.38:
	v_dual_lshlrev_b32 v2, 4, v0 :: v_dual_bitop2_b32 v3, 8, v31 bitop3:0x40
	s_ashr_i32 s15, s14, 31
	v_dual_mov_b32 v7, 0 :: v_dual_lshlrev_b32 v4, 5, v29
	s_delay_alu instid0(VALU_DEP_2)
	v_and_b32_e32 v6, 0x1f0, v2
	s_lshl_b64 s[14:15], s[14:15], 1
	s_ashr_i32 s3, s5, 31
	s_wait_kmcnt 0x0
	s_add_nc_u64 s[14:15], s[16:17], s[14:15]
	s_mov_b32 s2, s5
	v_add_nc_u64_e32 v[12:13], s[14:15], v[6:7]
	v_and_b32_e32 v6, 0x7c, v1
	s_lshl_b64 s[4:5], s[10:11], 2
	v_lshl_or_b32 v2, v30, 6, v4
	s_add_nc_u64 s[4:5], s[12:13], s[4:5]
	v_lshl_or_b32 v20, v30, 4, v3
	v_add_nc_u64_e32 v[14:15], s[4:5], v[6:7]
	v_dual_mov_b32 v9, v7 :: v_dual_mov_b32 v11, v7
	v_dual_mov_b32 v8, v7 :: v_dual_add_nc_u32 v21, 0xc0, v2
	v_dual_mov_b32 v10, v7 :: v_dual_mov_b32 v22, v30
	s_add_co_i32 s4, s22, -1
	s_mov_b32 s10, s21
	s_mov_b32 s5, 0
	s_branch .LBB83_40
.LBB83_39:                              ;   in Loop: Header=BB83_40 Depth=1
	s_or_b32 exec_lo, exec_lo, s0
	v_dual_lshlrev_b32 v6, 16, v6 :: v_dual_lshlrev_b32 v1, 16, v1
	v_add_f32_e32 v17, v33, v44
	v_lshlrev_b32_e32 v16, 16, v16
	v_add_nc_u64_e32 v[14:15], 16, v[14:15]
	s_delay_alu instid0(VALU_DEP_4)
	v_and_or_b32 v2, 0xffff, v2, v6
	v_and_or_b32 v1, 0xffff, v3, v1
	v_add_f32_e32 v9, v9, v17
	v_and_or_b32 v3, 0xffff, v4, v16
	;;#ASMSTART
	v_pk_mul_f16 v2, v35, v2;

	;;#ASMEND
	;;#ASMSTART
	v_pk_mul_f16 v1, v34, v1;

	;;#ASMEND
	;; [unrolled: 4-line block ×4, first 2 shown]
	;;#ASMSTART
	v_pk_add_f16 v1, v2, v1;

	;;#ASMEND
	;;#ASMSTART
	v_pk_add_f16 v1, v1, v3;

	;;#ASMEND
	;; [unrolled: 4-line block ×3, first 2 shown]
	v_and_b32_e32 v4, 0xffff, v1
	v_dual_lshrrev_b32 v5, 16, v1 :: v_dual_add_f32 v1, v42, v43
	v_dual_add_f32 v2, v40, v41 :: v_dual_add_nc_u32 v22, 4, v22
	;;#ASMSTART
	v_cvt_f32_f16 v4, v4;
	;;#ASMEND
	;;#ASMSTART
	v_cvt_f32_f16 v5, v5;
	;;#ASMEND
	s_delay_alu instid0(VALU_DEP_2) | instskip(SKIP_2) | instid1(VALU_DEP_3)
	v_dual_add_f32 v3, v38, v39 :: v_dual_add_f32 v4, v4, v5
	v_add_f32_e32 v8, v8, v1
	v_cmp_le_i32_e32 vcc_lo, s22, v22
	v_dual_add_f32 v11, v11, v2 :: v_dual_add_f32 v10, v10, v3
	s_delay_alu instid0(VALU_DEP_4) | instskip(SKIP_3) | instid1(SALU_CYCLE_1)
	v_add_f32_e32 v7, v7, v4
	v_add_nc_u32_e32 v20, 64, v20
	v_add_nc_u32_e32 v21, 0x100, v21
	s_or_b32 s5, vcc_lo, s5
	s_and_not1_b32 exec_lo, exec_lo, s5
	s_cbranch_execz .LBB83_50
.LBB83_40:                              ; =>This Inner Loop Header: Depth=1
	global_load_b32 v2, v[14:15], off
	v_cmp_eq_u32_e32 vcc_lo, s4, v22
	v_dual_add_nc_u32 v31, 2, v20 :: v_dual_add_nc_u32 v23, 5, v20
	s_wait_loadcnt 0x0
	v_ashrrev_i32_e32 v3, 31, v2
	s_delay_alu instid0(VALU_DEP_1)
	v_mul_u64_e32 v[16:17], s[2:3], v[2:3]
	ds_load_2addr_b64 v[2:5], v21 offset1:1
	ds_load_2addr_b64 v[24:27], v21 offset0:2 offset1:3
	s_wait_dscnt 0x1
	;;#ASMSTART
	v_cvt_f16_f32 v35, v2;

	;;#ASMEND
	;;#ASMSTART
	v_cvt_f16_f32 v34, v3;

	;;#ASMEND
	;; [unrolled: 4-line block ×4, first 2 shown]
	s_wait_dscnt 0x0
	;;#ASMSTART
	v_cvt_f16_f32 v41, v24;

	;;#ASMEND
	;;#ASMSTART
	v_cvt_f16_f32 v36, v25;

	;;#ASMEND
	;; [unrolled: 4-line block ×4, first 2 shown]
	v_dual_add_nc_u32 v24, 4, v20 :: v_dual_add_nc_u32 v26, 6, v20
	v_dual_add_nc_u32 v25, 7, v20 :: v_dual_bitop2_b32 v27, 1, v20 bitop3:0x54
	v_lshl_add_u64 v[16:17], v[16:17], 1, v[12:13]
	global_load_b128 v[2:5], v[16:17], off
	s_wait_loadcnt 0x0
	v_dual_lshrrev_b32 v1, 16, v3 :: v_dual_bitop2_b32 v32, 3, v20 bitop3:0x54
	v_dual_lshrrev_b32 v6, 16, v2 :: v_dual_lshrrev_b32 v33, 16, v4
	s_and_saveexec_b32 s11, vcc_lo
	s_cbranch_execz .LBB83_42
; %bb.41:                               ;   in Loop: Header=BB83_40 Depth=1
	v_cmp_gt_i32_e64 s0, s21, v20
	v_and_b32_e32 v42, 0xffff, v5
	v_and_b32_e32 v5, 0xffff0000, v5
	s_delay_alu instid0(VALU_DEP_3) | instskip(SKIP_1) | instid1(VALU_DEP_1)
	v_cndmask_b32_e64 v2, 0, v2, s0
	v_cmp_gt_i32_e64 s0, s21, v31
	v_cndmask_b32_e64 v3, 0, v3, s0
	v_cmp_gt_i32_e64 s0, s10, v32
	s_delay_alu instid0(VALU_DEP_1) | instskip(SKIP_1) | instid1(VALU_DEP_1)
	v_cndmask_b32_e64 v1, 0, v1, s0
	v_cmp_gt_i32_e64 s0, s21, v27
	v_cndmask_b32_e64 v6, 0, v6, s0
	v_cmp_gt_i32_e64 s0, s21, v26
	s_delay_alu instid0(VALU_DEP_1) | instskip(SKIP_1) | instid1(VALU_DEP_1)
	;; [unrolled: 5-line block ×3, first 2 shown]
	v_dual_cndmask_b32 v4, 0, v4, s0 :: v_dual_bitop2_b32 v5, v42, v5 bitop3:0x54
	v_cmp_gt_i32_e64 s0, s21, v23
	v_cndmask_b32_e64 v33, 0, v33, s0
.LBB83_42:                              ;   in Loop: Header=BB83_40 Depth=1
	s_or_b32 exec_lo, exec_lo, s11
	v_and_b32_e32 v35, 0xffff, v35
	v_and_b32_e32 v40, 0xffff, v40
	v_dual_lshlrev_b32 v6, 16, v6 :: v_dual_lshlrev_b32 v1, 16, v1
	v_lshlrev_b32_e32 v33, 16, v33
	v_and_b32_e32 v41, 0xffff, v41
	v_lshl_or_b32 v35, v34, 16, v35
	v_lshl_or_b32 v34, v38, 16, v40
	v_and_b32_e32 v38, 0xffff, v39
	v_and_or_b32 v2, 0xffff, v2, v6
	v_and_or_b32 v1, 0xffff, v3, v1
	;; [unrolled: 1-line block ×3, first 2 shown]
	;;#ASMSTART
	v_pk_mul_f16 v2, v35, v2;

	;;#ASMEND
	;;#ASMSTART
	v_pk_mul_f16 v1, v34, v1;

	;;#ASMEND
	v_lshl_or_b32 v36, v36, 16, v41
	v_lshl_or_b32 v37, v37, 16, v38
	;;#ASMSTART
	v_pk_mul_f16 v3, v36, v3;

	;;#ASMEND
	;;#ASMSTART
	v_pk_mul_f16 v4, v37, v5;

	;;#ASMEND
	;;#ASMSTART
	v_pk_add_f16 v1, v2, v1;

	;;#ASMEND
	;;#ASMSTART
	v_pk_add_f16 v1, v1, v3;
	;; [unrolled: 4-line block ×3, first 2 shown]

	;;#ASMEND
	v_and_b32_e32 v2, 0xffff, v1
	v_lshrrev_b32_e32 v1, 16, v1
	;;#ASMSTART
	v_cvt_f32_f16 v38, v2;
	;;#ASMEND
	;;#ASMSTART
	v_cvt_f32_f16 v39, v1;
	;;#ASMEND
	global_load_b128 v[2:5], v[16:17], off offset:512
	s_wait_loadcnt 0x0
	v_dual_lshrrev_b32 v1, 16, v3 :: v_dual_lshrrev_b32 v6, 16, v2
	v_lshrrev_b32_e32 v33, 16, v4
	s_and_saveexec_b32 s11, vcc_lo
	s_cbranch_execz .LBB83_44
; %bb.43:                               ;   in Loop: Header=BB83_40 Depth=1
	v_cmp_gt_i32_e64 s0, s21, v20
	v_and_b32_e32 v40, 0xffff, v5
	v_and_b32_e32 v5, 0xffff0000, v5
	s_delay_alu instid0(VALU_DEP_3) | instskip(SKIP_1) | instid1(VALU_DEP_1)
	v_cndmask_b32_e64 v2, 0, v2, s0
	v_cmp_gt_i32_e64 s0, s21, v31
	v_cndmask_b32_e64 v3, 0, v3, s0
	v_cmp_gt_i32_e64 s0, s10, v32
	s_delay_alu instid0(VALU_DEP_1) | instskip(SKIP_1) | instid1(VALU_DEP_1)
	v_cndmask_b32_e64 v1, 0, v1, s0
	v_cmp_gt_i32_e64 s0, s21, v27
	v_cndmask_b32_e64 v6, 0, v6, s0
	v_cmp_gt_i32_e64 s0, s21, v26
	s_delay_alu instid0(VALU_DEP_1) | instskip(SKIP_1) | instid1(VALU_DEP_1)
	;; [unrolled: 5-line block ×3, first 2 shown]
	v_dual_cndmask_b32 v4, 0, v4, s0 :: v_dual_bitop2_b32 v5, v40, v5 bitop3:0x54
	v_cmp_gt_i32_e64 s0, s21, v23
	v_cndmask_b32_e64 v33, 0, v33, s0
.LBB83_44:                              ;   in Loop: Header=BB83_40 Depth=1
	s_or_b32 exec_lo, exec_lo, s11
	v_dual_lshlrev_b32 v6, 16, v6 :: v_dual_lshlrev_b32 v1, 16, v1
	s_delay_alu instid0(VALU_DEP_2) | instskip(NEXT) | instid1(VALU_DEP_2)
	v_lshlrev_b32_e32 v33, 16, v33
	v_and_or_b32 v2, 0xffff, v2, v6
	s_delay_alu instid0(VALU_DEP_3) | instskip(NEXT) | instid1(VALU_DEP_3)
	v_and_or_b32 v1, 0xffff, v3, v1
	v_and_or_b32 v3, 0xffff, v4, v33
	;;#ASMSTART
	v_pk_mul_f16 v2, v35, v2;

	;;#ASMEND
	;;#ASMSTART
	v_pk_mul_f16 v1, v34, v1;

	;;#ASMEND
	;;#ASMSTART
	v_pk_mul_f16 v3, v36, v3;

	;;#ASMEND
	;;#ASMSTART
	v_pk_mul_f16 v4, v37, v5;

	;;#ASMEND
	;;#ASMSTART
	v_pk_add_f16 v1, v2, v1;

	;;#ASMEND
	;;#ASMSTART
	v_pk_add_f16 v1, v1, v3;

	;;#ASMEND
	;; [unrolled: 4-line block ×3, first 2 shown]
	v_and_b32_e32 v2, 0xffff, v1
	v_lshrrev_b32_e32 v1, 16, v1
	;;#ASMSTART
	v_cvt_f32_f16 v40, v2;
	;;#ASMEND
	;;#ASMSTART
	v_cvt_f32_f16 v41, v1;
	;;#ASMEND
	global_load_b128 v[2:5], v[16:17], off offset:1024
	s_wait_loadcnt 0x0
	v_dual_lshrrev_b32 v1, 16, v3 :: v_dual_lshrrev_b32 v6, 16, v2
	v_lshrrev_b32_e32 v33, 16, v4
	s_and_saveexec_b32 s11, vcc_lo
	s_cbranch_execz .LBB83_46
; %bb.45:                               ;   in Loop: Header=BB83_40 Depth=1
	v_cmp_gt_i32_e64 s0, s21, v20
	v_and_b32_e32 v42, 0xffff, v5
	v_and_b32_e32 v5, 0xffff0000, v5
	s_delay_alu instid0(VALU_DEP_3) | instskip(SKIP_1) | instid1(VALU_DEP_1)
	v_cndmask_b32_e64 v2, 0, v2, s0
	v_cmp_gt_i32_e64 s0, s21, v31
	v_cndmask_b32_e64 v3, 0, v3, s0
	v_cmp_gt_i32_e64 s0, s10, v32
	s_delay_alu instid0(VALU_DEP_1) | instskip(SKIP_1) | instid1(VALU_DEP_1)
	v_cndmask_b32_e64 v1, 0, v1, s0
	v_cmp_gt_i32_e64 s0, s21, v27
	v_cndmask_b32_e64 v6, 0, v6, s0
	v_cmp_gt_i32_e64 s0, s21, v26
	s_delay_alu instid0(VALU_DEP_1) | instskip(SKIP_1) | instid1(VALU_DEP_1)
	;; [unrolled: 5-line block ×3, first 2 shown]
	v_dual_cndmask_b32 v4, 0, v4, s0 :: v_dual_bitop2_b32 v5, v42, v5 bitop3:0x54
	v_cmp_gt_i32_e64 s0, s21, v23
	v_cndmask_b32_e64 v33, 0, v33, s0
.LBB83_46:                              ;   in Loop: Header=BB83_40 Depth=1
	s_or_b32 exec_lo, exec_lo, s11
	v_dual_lshlrev_b32 v6, 16, v6 :: v_dual_lshlrev_b32 v1, 16, v1
	s_delay_alu instid0(VALU_DEP_2) | instskip(NEXT) | instid1(VALU_DEP_2)
	v_lshlrev_b32_e32 v33, 16, v33
	v_and_or_b32 v2, 0xffff, v2, v6
	s_delay_alu instid0(VALU_DEP_3) | instskip(NEXT) | instid1(VALU_DEP_3)
	v_and_or_b32 v1, 0xffff, v3, v1
	v_and_or_b32 v3, 0xffff, v4, v33
	;;#ASMSTART
	v_pk_mul_f16 v2, v35, v2;

	;;#ASMEND
	;;#ASMSTART
	v_pk_mul_f16 v1, v34, v1;

	;;#ASMEND
	;; [unrolled: 4-line block ×4, first 2 shown]
	;;#ASMSTART
	v_pk_add_f16 v1, v2, v1;

	;;#ASMEND
	;;#ASMSTART
	v_pk_add_f16 v1, v1, v3;

	;;#ASMEND
	;; [unrolled: 4-line block ×3, first 2 shown]
	v_and_b32_e32 v2, 0xffff, v1
	v_lshrrev_b32_e32 v1, 16, v1
	;;#ASMSTART
	v_cvt_f32_f16 v42, v2;
	;;#ASMEND
	;;#ASMSTART
	v_cvt_f32_f16 v43, v1;
	;;#ASMEND
	global_load_b128 v[2:5], v[16:17], off offset:1536
	s_wait_loadcnt 0x0
	v_dual_lshrrev_b32 v1, 16, v3 :: v_dual_lshrrev_b32 v6, 16, v2
	v_lshrrev_b32_e32 v33, 16, v4
	s_and_saveexec_b32 s11, vcc_lo
	s_cbranch_execz .LBB83_48
; %bb.47:                               ;   in Loop: Header=BB83_40 Depth=1
	v_cmp_gt_i32_e64 s0, s21, v20
	v_and_b32_e32 v44, 0xffff, v5
	v_and_b32_e32 v5, 0xffff0000, v5
	s_delay_alu instid0(VALU_DEP_3) | instskip(SKIP_1) | instid1(VALU_DEP_1)
	v_cndmask_b32_e64 v2, 0, v2, s0
	v_cmp_gt_i32_e64 s0, s21, v31
	v_cndmask_b32_e64 v3, 0, v3, s0
	v_cmp_gt_i32_e64 s0, s10, v32
	s_delay_alu instid0(VALU_DEP_1) | instskip(SKIP_1) | instid1(VALU_DEP_1)
	v_cndmask_b32_e64 v1, 0, v1, s0
	v_cmp_gt_i32_e64 s0, s21, v27
	v_cndmask_b32_e64 v6, 0, v6, s0
	v_cmp_gt_i32_e64 s0, s21, v26
	s_delay_alu instid0(VALU_DEP_1) | instskip(SKIP_1) | instid1(VALU_DEP_1)
	;; [unrolled: 5-line block ×3, first 2 shown]
	v_dual_cndmask_b32 v4, 0, v4, s0 :: v_dual_bitop2_b32 v5, v44, v5 bitop3:0x54
	v_cmp_gt_i32_e64 s0, s21, v23
	v_cndmask_b32_e64 v33, 0, v33, s0
.LBB83_48:                              ;   in Loop: Header=BB83_40 Depth=1
	s_or_b32 exec_lo, exec_lo, s11
	v_dual_lshlrev_b32 v6, 16, v6 :: v_dual_lshlrev_b32 v1, 16, v1
	s_delay_alu instid0(VALU_DEP_2) | instskip(NEXT) | instid1(VALU_DEP_2)
	v_lshlrev_b32_e32 v33, 16, v33
	v_and_or_b32 v2, 0xffff, v2, v6
	s_delay_alu instid0(VALU_DEP_3) | instskip(NEXT) | instid1(VALU_DEP_3)
	v_and_or_b32 v1, 0xffff, v3, v1
	v_and_or_b32 v3, 0xffff, v4, v33
	;;#ASMSTART
	v_pk_mul_f16 v2, v35, v2;

	;;#ASMEND
	;;#ASMSTART
	v_pk_mul_f16 v1, v34, v1;

	;;#ASMEND
	;; [unrolled: 4-line block ×4, first 2 shown]
	;;#ASMSTART
	v_pk_add_f16 v1, v2, v1;

	;;#ASMEND
	;;#ASMSTART
	v_pk_add_f16 v1, v1, v3;

	;;#ASMEND
	;; [unrolled: 4-line block ×3, first 2 shown]
	v_and_b32_e32 v2, 0xffff, v1
	v_lshrrev_b32_e32 v1, 16, v1
	;;#ASMSTART
	v_cvt_f32_f16 v33, v2;
	;;#ASMEND
	;;#ASMSTART
	v_cvt_f32_f16 v44, v1;
	;;#ASMEND
	global_load_b128 v[2:5], v[16:17], off offset:2048
	s_wait_loadcnt 0x0
	v_dual_lshrrev_b32 v1, 16, v3 :: v_dual_lshrrev_b32 v6, 16, v2
	v_lshrrev_b32_e32 v16, 16, v4
	s_and_saveexec_b32 s0, vcc_lo
	s_cbranch_execz .LBB83_39
; %bb.49:                               ;   in Loop: Header=BB83_40 Depth=1
	v_cmp_gt_i32_e32 vcc_lo, s21, v20
	v_and_b32_e32 v17, 0xffff, v5
	v_and_b32_e32 v5, 0xffff0000, v5
	v_cndmask_b32_e32 v2, 0, v2, vcc_lo
	v_cmp_gt_i32_e32 vcc_lo, s21, v31
	v_cndmask_b32_e32 v3, 0, v3, vcc_lo
	v_cmp_gt_i32_e32 vcc_lo, s10, v32
	;; [unrolled: 2-line block ×7, first 2 shown]
	s_delay_alu instid0(VALU_DEP_4)
	v_dual_cndmask_b32 v16, 0, v16, vcc_lo :: v_dual_bitop2_b32 v5, v17, v5 bitop3:0x54
	s_branch .LBB83_39
.LBB83_50:
	s_or_b32 exec_lo, exec_lo, s5
.LBB83_51:
	s_delay_alu instid0(SALU_CYCLE_1)
	s_or_b32 exec_lo, exec_lo, s1
	ds_bpermute_b32 v2, v19, v10
	ds_bpermute_b32 v3, v19, v11
	;; [unrolled: 1-line block ×5, first 2 shown]
	v_and_b32_e32 v14, 0x3c1, v0
	v_lshrrev_b32_e32 v1, 1, v18
	s_mov_b32 s0, exec_lo
	s_wait_dscnt 0x0
	s_barrier_signal -1
	s_barrier_wait -1
	v_pk_add_f32 v[4:5], v[10:11], v[2:3]
	v_pk_add_f32 v[2:3], v[8:9], v[12:13]
	v_cmpx_ne_u32_e32 64, v14
	s_xor_b32 s0, exec_lo, s0
	s_delay_alu instid0(SALU_CYCLE_1)
	s_or_saveexec_b32 s0, s0
	v_add_f32_e32 v8, v7, v6
	v_lshl_add_u32 v6, v1, 2, 0xc0
	v_mul_u32_u24_e32 v7, 0x140, v30
	s_xor_b32 exec_lo, exec_lo, s0
	s_cbranch_execz .LBB83_53
; %bb.52:
	s_delay_alu instid0(VALU_DEP_1) | instskip(NEXT) | instid1(VALU_DEP_1)
	v_add_nc_u32_e32 v9, v6, v7
	v_add_nc_u32_e32 v10, 0xfffffd80, v9
	;; [unrolled: 1-line block ×6, first 2 shown]
	ds_store_b32 v10, v4
	ds_store_b32 v11, v5
	;; [unrolled: 1-line block ×5, first 2 shown]
.LBB83_53:
	s_or_b32 exec_lo, exec_lo, s0
	v_lshlrev_b32_e32 v1, 2, v1
	s_mov_b32 s1, exec_lo
	v_cmp_eq_u32_e32 vcc_lo, 0, v29
	s_wait_dscnt 0x0
	s_barrier_signal -1
	v_add3_u32 v1, 0xc0, v7, v1
	s_barrier_wait -1
	v_cmpx_gt_u32_e32 64, v0
	s_cbranch_execz .LBB83_61
; %bb.54:
	s_and_saveexec_b32 s0, vcc_lo
	s_cbranch_execnz .LBB83_74
; %bb.55:
	s_or_b32 exec_lo, exec_lo, s0
	s_and_saveexec_b32 s0, vcc_lo
	s_cbranch_execnz .LBB83_75
.LBB83_56:
	s_or_b32 exec_lo, exec_lo, s0
	s_and_saveexec_b32 s0, vcc_lo
	s_cbranch_execnz .LBB83_76
.LBB83_57:
	s_or_b32 exec_lo, exec_lo, s0
	s_and_saveexec_b32 s0, vcc_lo
	s_cbranch_execnz .LBB83_77
.LBB83_58:
	s_or_b32 exec_lo, exec_lo, s0
	s_and_saveexec_b32 s0, vcc_lo
	s_cbranch_execz .LBB83_60
.LBB83_59:
	ds_load_b32 v7, v1 offset:256
	s_wait_dscnt 0x0
	v_add_f32_e32 v8, v8, v7
.LBB83_60:
	s_or_b32 exec_lo, exec_lo, s0
.LBB83_61:
	s_delay_alu instid0(SALU_CYCLE_1) | instskip(SKIP_4) | instid1(VALU_DEP_1)
	s_or_b32 exec_lo, exec_lo, s1
	v_and_b32_e32 v7, 0x3e1, v0
	s_mov_b32 s1, exec_lo
	s_barrier_signal -1
	s_barrier_wait -1
	v_cmpx_eq_u32_e32 32, v7
	s_cbranch_execz .LBB83_63
; %bb.62:
	ds_store_2addr_b32 v6, v4, v5 offset1:16
	ds_store_2addr_b32 v6, v2, v3 offset0:32 offset1:48
	ds_store_b32 v6, v8 offset:256
.LBB83_63:
	s_or_b32 exec_lo, exec_lo, s1
	s_delay_alu instid0(SALU_CYCLE_1)
	s_mov_b32 s1, exec_lo
	s_wait_dscnt 0x0
	s_barrier_signal -1
	s_barrier_wait -1
	v_cmpx_gt_u32_e32 32, v0
	s_cbranch_execz .LBB83_71
; %bb.64:
	s_and_saveexec_b32 s0, vcc_lo
	s_cbranch_execnz .LBB83_78
; %bb.65:
	s_or_b32 exec_lo, exec_lo, s0
	s_and_saveexec_b32 s0, vcc_lo
	s_cbranch_execnz .LBB83_79
.LBB83_66:
	s_or_b32 exec_lo, exec_lo, s0
	s_and_saveexec_b32 s0, vcc_lo
	s_cbranch_execnz .LBB83_80
.LBB83_67:
	s_or_b32 exec_lo, exec_lo, s0
	s_and_saveexec_b32 s0, vcc_lo
	s_cbranch_execnz .LBB83_81
.LBB83_68:
	s_or_b32 exec_lo, exec_lo, s0
	s_and_saveexec_b32 s0, vcc_lo
	s_cbranch_execz .LBB83_70
.LBB83_69:
	ds_load_b32 v0, v1 offset:256
	s_wait_dscnt 0x0
	v_add_f32_e32 v8, v8, v0
.LBB83_70:
	s_or_b32 exec_lo, exec_lo, s0
.LBB83_71:
	s_delay_alu instid0(SALU_CYCLE_1)
	s_or_b32 exec_lo, exec_lo, s1
	s_mov_b32 s1, 0
	s_barrier_signal -1
	s_barrier_wait -1
	s_mov_b32 s0, exec_lo
	v_cmpx_eq_u32_e32 0, v7
	s_cbranch_execz .LBB83_73
; %bb.72:
	s_wait_kmcnt 0x0
	s_mul_i32 s0, s20, s9
	s_mul_i32 s2, s9, s8
	;; [unrolled: 1-line block ×3, first 2 shown]
	s_lshr_b32 s8, ttmp7, 16
	s_mul_i32 s4, s0, 0x50
	s_bfe_u32 s0, ttmp6, 0x40014
	s_ashr_i32 s5, s4, 31
	s_add_co_i32 s0, s0, 1
	s_ashr_i32 s3, s2, 31
	s_mul_i32 s0, s8, s0
	s_bfe_u32 s9, ttmp6, 0x40008
	s_lshl_b64 s[4:5], s[4:5], 1
	s_lshl_b64 s[2:3], s[2:3], 1
	s_add_co_i32 s9, s9, s0
	s_cmp_eq_u32 s18, 0
	s_add_nc_u64 s[4:5], s[6:7], s[4:5]
	s_cselect_b32 s0, s8, s9
	s_add_nc_u64 s[2:3], s[4:5], s[2:3]
	s_mulk_i32 s0, 0xa0
	;;#ASMSTART
	v_cvt_f16_f32 v0, v4;

	;;#ASMEND
	s_add_nc_u64 s[0:1], s[2:3], s[0:1]
	global_store_b16 v28, v0, s[0:1] scale_offset
	s_wait_xcnt 0x0
	;;#ASMSTART
	v_cvt_f16_f32 v0, v5;

	;;#ASMEND
	global_store_b16 v28, v0, s[0:1] offset:32 scale_offset
	s_wait_xcnt 0x0
	;;#ASMSTART
	v_cvt_f16_f32 v0, v2;

	;;#ASMEND
	global_store_b16 v28, v0, s[0:1] offset:64 scale_offset
	;; [unrolled: 6-line block ×4, first 2 shown]
.LBB83_73:
	s_sendmsg sendmsg(MSG_DEALLOC_VGPRS)
	s_endpgm
.LBB83_74:
	ds_load_b32 v7, v1
	s_wait_dscnt 0x0
	v_add_f32_e32 v4, v4, v7
	s_or_b32 exec_lo, exec_lo, s0
	s_and_saveexec_b32 s0, vcc_lo
	s_cbranch_execz .LBB83_56
.LBB83_75:
	ds_load_b32 v7, v1 offset:64
	s_wait_dscnt 0x0
	v_add_f32_e32 v5, v5, v7
	s_or_b32 exec_lo, exec_lo, s0
	s_and_saveexec_b32 s0, vcc_lo
	s_cbranch_execz .LBB83_57
.LBB83_76:
	ds_load_b32 v7, v1 offset:128
	s_wait_dscnt 0x0
	v_add_f32_e32 v2, v2, v7
	s_or_b32 exec_lo, exec_lo, s0
	s_and_saveexec_b32 s0, vcc_lo
	s_cbranch_execz .LBB83_58
.LBB83_77:
	ds_load_b32 v7, v1 offset:192
	s_wait_dscnt 0x0
	v_add_f32_e32 v3, v3, v7
	s_or_b32 exec_lo, exec_lo, s0
	s_and_saveexec_b32 s0, vcc_lo
	s_cbranch_execnz .LBB83_59
	s_branch .LBB83_60
.LBB83_78:
	ds_load_b32 v0, v1
	s_wait_dscnt 0x0
	v_add_f32_e32 v4, v4, v0
	s_or_b32 exec_lo, exec_lo, s0
	s_and_saveexec_b32 s0, vcc_lo
	s_cbranch_execz .LBB83_66
.LBB83_79:
	ds_load_b32 v0, v1 offset:64
	s_wait_dscnt 0x0
	v_add_f32_e32 v5, v5, v0
	s_or_b32 exec_lo, exec_lo, s0
	s_and_saveexec_b32 s0, vcc_lo
	s_cbranch_execz .LBB83_67
.LBB83_80:
	ds_load_b32 v0, v1 offset:128
	s_wait_dscnt 0x0
	v_add_f32_e32 v2, v2, v0
	s_or_b32 exec_lo, exec_lo, s0
	s_and_saveexec_b32 s0, vcc_lo
	s_cbranch_execz .LBB83_68
.LBB83_81:
	ds_load_b32 v0, v1 offset:192
	s_wait_dscnt 0x0
	v_add_f32_e32 v3, v3, v0
	s_or_b32 exec_lo, exec_lo, s0
	s_and_saveexec_b32 s0, vcc_lo
	s_cbranch_execnz .LBB83_69
	s_branch .LBB83_70
	.section	.rodata,"a",@progbits
	.p2align	6, 0x0
	.amdhsa_kernel _ZN4vllm25paged_attention_v1_kernelIttLi80ELi16ELi128ELNS_18Fp8KVCacheDataTypeE0ELb0EEEvPT_PKS2_PKT0_S8_ifPKiSA_iPKfiiiSC_SC_iiiii
		.amdhsa_group_segment_fixed_size 192
		.amdhsa_private_segment_fixed_size 0
		.amdhsa_kernarg_size 384
		.amdhsa_user_sgpr_count 2
		.amdhsa_user_sgpr_dispatch_ptr 0
		.amdhsa_user_sgpr_queue_ptr 0
		.amdhsa_user_sgpr_kernarg_segment_ptr 1
		.amdhsa_user_sgpr_dispatch_id 0
		.amdhsa_user_sgpr_kernarg_preload_length 0
		.amdhsa_user_sgpr_kernarg_preload_offset 0
		.amdhsa_user_sgpr_private_segment_size 0
		.amdhsa_wavefront_size32 1
		.amdhsa_uses_dynamic_stack 0
		.amdhsa_enable_private_segment 0
		.amdhsa_system_sgpr_workgroup_id_x 1
		.amdhsa_system_sgpr_workgroup_id_y 1
		.amdhsa_system_sgpr_workgroup_id_z 1
		.amdhsa_system_sgpr_workgroup_info 0
		.amdhsa_system_vgpr_workitem_id 0
		.amdhsa_next_free_vgpr 88
		.amdhsa_next_free_sgpr 30
		.amdhsa_named_barrier_count 0
		.amdhsa_reserve_vcc 1
		.amdhsa_float_round_mode_32 0
		.amdhsa_float_round_mode_16_64 0
		.amdhsa_float_denorm_mode_32 3
		.amdhsa_float_denorm_mode_16_64 3
		.amdhsa_fp16_overflow 0
		.amdhsa_memory_ordered 1
		.amdhsa_forward_progress 1
		.amdhsa_inst_pref_size 50
		.amdhsa_round_robin_scheduling 0
		.amdhsa_exception_fp_ieee_invalid_op 0
		.amdhsa_exception_fp_denorm_src 0
		.amdhsa_exception_fp_ieee_div_zero 0
		.amdhsa_exception_fp_ieee_overflow 0
		.amdhsa_exception_fp_ieee_underflow 0
		.amdhsa_exception_fp_ieee_inexact 0
		.amdhsa_exception_int_div_zero 0
	.end_amdhsa_kernel
	.section	.text._ZN4vllm25paged_attention_v1_kernelIttLi80ELi16ELi128ELNS_18Fp8KVCacheDataTypeE0ELb0EEEvPT_PKS2_PKT0_S8_ifPKiSA_iPKfiiiSC_SC_iiiii,"axG",@progbits,_ZN4vllm25paged_attention_v1_kernelIttLi80ELi16ELi128ELNS_18Fp8KVCacheDataTypeE0ELb0EEEvPT_PKS2_PKT0_S8_ifPKiSA_iPKfiiiSC_SC_iiiii,comdat
.Lfunc_end83:
	.size	_ZN4vllm25paged_attention_v1_kernelIttLi80ELi16ELi128ELNS_18Fp8KVCacheDataTypeE0ELb0EEEvPT_PKS2_PKT0_S8_ifPKiSA_iPKfiiiSC_SC_iiiii, .Lfunc_end83-_ZN4vllm25paged_attention_v1_kernelIttLi80ELi16ELi128ELNS_18Fp8KVCacheDataTypeE0ELb0EEEvPT_PKS2_PKT0_S8_ifPKiSA_iPKfiiiSC_SC_iiiii
                                        ; -- End function
	.set _ZN4vllm25paged_attention_v1_kernelIttLi80ELi16ELi128ELNS_18Fp8KVCacheDataTypeE0ELb0EEEvPT_PKS2_PKT0_S8_ifPKiSA_iPKfiiiSC_SC_iiiii.num_vgpr, 88
	.set _ZN4vllm25paged_attention_v1_kernelIttLi80ELi16ELi128ELNS_18Fp8KVCacheDataTypeE0ELb0EEEvPT_PKS2_PKT0_S8_ifPKiSA_iPKfiiiSC_SC_iiiii.num_agpr, 0
	.set _ZN4vllm25paged_attention_v1_kernelIttLi80ELi16ELi128ELNS_18Fp8KVCacheDataTypeE0ELb0EEEvPT_PKS2_PKT0_S8_ifPKiSA_iPKfiiiSC_SC_iiiii.numbered_sgpr, 30
	.set _ZN4vllm25paged_attention_v1_kernelIttLi80ELi16ELi128ELNS_18Fp8KVCacheDataTypeE0ELb0EEEvPT_PKS2_PKT0_S8_ifPKiSA_iPKfiiiSC_SC_iiiii.num_named_barrier, 0
	.set _ZN4vllm25paged_attention_v1_kernelIttLi80ELi16ELi128ELNS_18Fp8KVCacheDataTypeE0ELb0EEEvPT_PKS2_PKT0_S8_ifPKiSA_iPKfiiiSC_SC_iiiii.private_seg_size, 0
	.set _ZN4vllm25paged_attention_v1_kernelIttLi80ELi16ELi128ELNS_18Fp8KVCacheDataTypeE0ELb0EEEvPT_PKS2_PKT0_S8_ifPKiSA_iPKfiiiSC_SC_iiiii.uses_vcc, 1
	.set _ZN4vllm25paged_attention_v1_kernelIttLi80ELi16ELi128ELNS_18Fp8KVCacheDataTypeE0ELb0EEEvPT_PKS2_PKT0_S8_ifPKiSA_iPKfiiiSC_SC_iiiii.uses_flat_scratch, 0
	.set _ZN4vllm25paged_attention_v1_kernelIttLi80ELi16ELi128ELNS_18Fp8KVCacheDataTypeE0ELb0EEEvPT_PKS2_PKT0_S8_ifPKiSA_iPKfiiiSC_SC_iiiii.has_dyn_sized_stack, 0
	.set _ZN4vllm25paged_attention_v1_kernelIttLi80ELi16ELi128ELNS_18Fp8KVCacheDataTypeE0ELb0EEEvPT_PKS2_PKT0_S8_ifPKiSA_iPKfiiiSC_SC_iiiii.has_recursion, 0
	.set _ZN4vllm25paged_attention_v1_kernelIttLi80ELi16ELi128ELNS_18Fp8KVCacheDataTypeE0ELb0EEEvPT_PKS2_PKT0_S8_ifPKiSA_iPKfiiiSC_SC_iiiii.has_indirect_call, 0
	.section	.AMDGPU.csdata,"",@progbits
; Kernel info:
; codeLenInByte = 6340
; TotalNumSgprs: 32
; NumVgprs: 88
; ScratchSize: 0
; MemoryBound: 0
; FloatMode: 240
; IeeeMode: 1
; LDSByteSize: 192 bytes/workgroup (compile time only)
; SGPRBlocks: 0
; VGPRBlocks: 5
; NumSGPRsForWavesPerEU: 32
; NumVGPRsForWavesPerEU: 88
; NamedBarCnt: 0
; Occupancy: 10
; WaveLimiterHint : 1
; COMPUTE_PGM_RSRC2:SCRATCH_EN: 0
; COMPUTE_PGM_RSRC2:USER_SGPR: 2
; COMPUTE_PGM_RSRC2:TRAP_HANDLER: 0
; COMPUTE_PGM_RSRC2:TGID_X_EN: 1
; COMPUTE_PGM_RSRC2:TGID_Y_EN: 1
; COMPUTE_PGM_RSRC2:TGID_Z_EN: 1
; COMPUTE_PGM_RSRC2:TIDIG_COMP_CNT: 0
	.section	.text._ZN4vllm25paged_attention_v1_kernelIttLi96ELi16ELi128ELNS_18Fp8KVCacheDataTypeE0ELb0EEEvPT_PKS2_PKT0_S8_ifPKiSA_iPKfiiiSC_SC_iiiii,"axG",@progbits,_ZN4vllm25paged_attention_v1_kernelIttLi96ELi16ELi128ELNS_18Fp8KVCacheDataTypeE0ELb0EEEvPT_PKS2_PKT0_S8_ifPKiSA_iPKfiiiSC_SC_iiiii,comdat
	.protected	_ZN4vllm25paged_attention_v1_kernelIttLi96ELi16ELi128ELNS_18Fp8KVCacheDataTypeE0ELb0EEEvPT_PKS2_PKT0_S8_ifPKiSA_iPKfiiiSC_SC_iiiii ; -- Begin function _ZN4vllm25paged_attention_v1_kernelIttLi96ELi16ELi128ELNS_18Fp8KVCacheDataTypeE0ELb0EEEvPT_PKS2_PKT0_S8_ifPKiSA_iPKfiiiSC_SC_iiiii
	.globl	_ZN4vllm25paged_attention_v1_kernelIttLi96ELi16ELi128ELNS_18Fp8KVCacheDataTypeE0ELb0EEEvPT_PKS2_PKT0_S8_ifPKiSA_iPKfiiiSC_SC_iiiii
	.p2align	8
	.type	_ZN4vllm25paged_attention_v1_kernelIttLi96ELi16ELi128ELNS_18Fp8KVCacheDataTypeE0ELb0EEEvPT_PKS2_PKT0_S8_ifPKiSA_iPKfiiiSC_SC_iiiii,@function
_ZN4vllm25paged_attention_v1_kernelIttLi96ELi16ELi128ELNS_18Fp8KVCacheDataTypeE0ELb0EEEvPT_PKS2_PKT0_S8_ifPKiSA_iPKfiiiSC_SC_iiiii: ; @_ZN4vllm25paged_attention_v1_kernelIttLi96ELi16ELi128ELNS_18Fp8KVCacheDataTypeE0ELb0EEEvPT_PKS2_PKT0_S8_ifPKiSA_iPKfiiiSC_SC_iiiii
; %bb.0:
	s_load_b64 s[6:7], s[0:1], 0x20
	s_bfe_u32 s3, ttmp6, 0x4000c
	s_bfe_u32 s5, ttmp6, 0x40010
	s_and_b32 s4, ttmp7, 0xffff
	s_add_co_i32 s3, s3, 1
	s_add_co_i32 s5, s5, 1
	s_and_b32 s2, ttmp6, 15
	s_bfe_u32 s8, ttmp6, 0x40004
	s_mul_i32 s3, ttmp9, s3
	s_mul_i32 s5, s4, s5
	s_getreg_b32 s18, hwreg(HW_REG_IB_STS2, 6, 4)
	s_add_co_i32 s2, s2, s3
	s_add_co_i32 s8, s8, s5
	s_cmp_eq_u32 s18, 0
	s_clause 0x1
	s_load_b32 s19, s[0:1], 0x80
	s_load_b64 s[10:11], s[0:1], 0x30
	s_cselect_b32 s20, s4, s8
	s_cselect_b32 s8, ttmp9, s2
	s_wait_kmcnt 0x0
	s_abs_i32 s2, s6
	s_delay_alu instid0(SALU_CYCLE_1) | instskip(SKIP_1) | instid1(SALU_CYCLE_2)
	s_cvt_f32_u32 s3, s2
	s_sub_co_i32 s4, 0, s2
	v_rcp_iflag_f32_e32 v1, s3
	s_abs_i32 s5, s19
	v_nop
	s_delay_alu instid0(TRANS32_DEP_1) | instskip(SKIP_1) | instid1(SALU_CYCLE_3)
	v_readfirstlane_b32 s3, v1
	s_mul_f32 s3, s3, 0x4f7ffffe
	s_cvt_u32_f32 s3, s3
	s_delay_alu instid0(SALU_CYCLE_3) | instskip(NEXT) | instid1(SALU_CYCLE_1)
	s_mul_i32 s4, s4, s3
	s_mul_hi_u32 s4, s3, s4
	s_delay_alu instid0(SALU_CYCLE_1) | instskip(SKIP_4) | instid1(SALU_CYCLE_1)
	s_add_co_i32 s3, s3, s4
	s_xor_b32 s4, s19, s6
	s_mul_hi_u32 s3, s5, s3
	s_ashr_i32 s4, s4, 31
	s_mul_i32 s6, s3, s2
	s_sub_co_i32 s5, s5, s6
	s_add_co_i32 s6, s3, 1
	s_sub_co_i32 s9, s5, s2
	s_cmp_ge_u32 s5, s2
	s_cselect_b32 s3, s6, s3
	s_cselect_b32 s5, s9, s5
	s_add_co_i32 s6, s3, 1
	s_cmp_ge_u32 s5, s2
	s_cselect_b32 s2, s6, s3
	s_mov_b32 s3, 0
	s_xor_b32 s2, s2, s4
	s_mov_b32 s13, s3
	s_sub_co_i32 s15, s2, s4
	s_load_b64 s[4:5], s[0:1], 0x40
	s_abs_i32 s14, s15
	s_mov_b32 s23, s3
	s_cvt_f32_u32 s2, s14
	s_delay_alu instid0(SALU_CYCLE_3) | instskip(SKIP_1) | instid1(TRANS32_DEP_1)
	v_rcp_iflag_f32_e32 v1, s2
	v_nop
	v_readfirstlane_b32 s2, v1
	s_mul_f32 s2, s2, 0x4f7ffffe
	s_delay_alu instid0(SALU_CYCLE_3) | instskip(SKIP_1) | instid1(SALU_CYCLE_2)
	s_cvt_u32_f32 s6, s2
	s_sub_co_i32 s2, 0, s14
	s_mul_i32 s2, s2, s6
	s_delay_alu instid0(SALU_CYCLE_1)
	s_mul_hi_u32 s9, s6, s2
	s_abs_i32 s2, s8
	s_add_co_i32 s12, s6, s9
	s_wait_kmcnt 0x0
	s_cmp_eq_u64 s[4:5], 0
	s_cbranch_scc1 .LBB84_2
; %bb.1:
	s_ashr_i32 s9, s8, 31
	s_delay_alu instid0(SALU_CYCLE_1) | instskip(NEXT) | instid1(SALU_CYCLE_1)
	s_lshl_b64 s[16:17], s[8:9], 2
	s_add_nc_u64 s[4:5], s[4:5], s[16:17]
	s_load_b32 s23, s[4:5], 0x0
.LBB84_2:
	s_load_b32 s21, s[10:11], s20 offset:0x0 scale_offset
	s_wait_xcnt 0x0
	s_load_b96 s[4:6], s[0:1], 0x48
	v_dual_lshrrev_b32 v32, 1, v0 :: v_dual_bitop2_b32 v33, 1, v0 bitop3:0x40
	s_ashr_i32 s16, s8, 31
	s_ashr_i32 s15, s15, 31
	s_mul_u64 s[10:11], s[2:3], s[12:13]
	s_mulk_i32 s8, 0x60
	s_mov_b32 s3, exec_lo
	v_cmpx_gt_u32_e32 24, v0
	s_cbranch_execz .LBB84_4
; %bb.3:
	s_load_b64 s[12:13], s[0:1], 0x8
	s_wait_kmcnt 0x0
	s_mul_i32 s24, s4, s20
	s_ashr_i32 s9, s8, 31
	s_ashr_i32 s25, s24, 31
	v_lshlrev_b32_e32 v1, 3, v32
	s_lshl_b64 s[24:25], s[24:25], 1
	s_delay_alu instid0(VALU_DEP_1) | instskip(SKIP_2) | instid1(SALU_CYCLE_1)
	v_mad_u32_u24 v1, 0x60, v33, v1
	s_add_nc_u64 s[12:13], s[12:13], s[24:25]
	s_lshl_b64 s[24:25], s[8:9], 1
	s_add_nc_u64 s[12:13], s[12:13], s[24:25]
	global_load_b64 v[2:3], v0, s[12:13] scale_offset
	s_wait_loadcnt 0x0
	ds_store_b64 v1, v[2:3]
.LBB84_4:
	s_or_b32 exec_lo, exec_lo, s3
	s_wait_kmcnt 0x0
	s_add_co_i32 s3, s21, 15
	s_load_b32 s4, s[0:1], 0x38
	s_ashr_i32 s9, s3, 31
	s_mul_i32 s12, s11, s14
	s_lshr_b32 s9, s9, 28
	s_sub_co_i32 s2, s2, s12
	s_add_co_i32 s3, s3, s9
	s_xor_b32 s10, s16, s15
	s_ashr_i32 s22, s3, 4
	s_add_co_i32 s3, s11, 1
	s_sub_co_i32 s9, s2, s14
	s_cmp_ge_u32 s2, s14
	v_lshrrev_b32_e32 v34, 5, v0
	s_cselect_b32 s3, s3, s11
	s_cselect_b32 s2, s9, s2
	s_add_co_i32 s9, s3, 1
	s_cmp_ge_u32 s2, s14
	v_mbcnt_lo_u32_b32 v36, -1, 0
	s_cselect_b32 s2, s9, s3
	s_wait_dscnt 0x0
	s_xor_b32 s2, s2, s10
	s_barrier_signal -1
	s_sub_co_i32 s3, s2, s10
	v_cmp_gt_i32_e64 s2, s22, v34
	s_wait_kmcnt 0x0
	s_mul_i32 s10, s4, s20
	s_mov_b32 s4, exec_lo
	s_ashr_i32 s11, s10, 31
	s_barrier_wait -1
                                        ; implicit-def: $vgpr3
                                        ; implicit-def: $vgpr2
	v_cmpx_le_i32_e64 s22, v34
	s_xor_b32 s4, exec_lo, s4
; %bb.5:
	v_dual_mov_b32 v3, 0 :: v_dual_mov_b32 v2, 32
	v_mbcnt_lo_u32_b32 v36, -1, 0
; %bb.6:
	s_or_saveexec_b32 s24, s4
	s_clause 0x1
	s_load_b64 s[12:13], s[0:1], 0x28
	s_load_b32 s9, s[0:1], 0x88
	v_mov_b32_e32 v37, 0xff7fffff
	v_dual_lshlrev_b32 v35, 3, v0 :: v_dual_lshrrev_b32 v1, 3, v0
	s_mul_i32 s14, s3, s6
	s_xor_b32 exec_lo, exec_lo, s24
	s_cbranch_execz .LBB84_12
; %bb.7:
	s_load_b64 s[26:27], s[0:1], 0x10
	v_bfe_u32 v6, v0, 1, 4
	s_ashr_i32 s15, s14, 31
	v_mov_b32_e32 v3, 0
	s_lshl_b64 s[28:29], s[14:15], 1
	s_ashr_i32 s17, s5, 31
	v_dual_lshlrev_b32 v2, 4, v6 :: v_dual_lshlrev_b32 v7, 2, v6
	s_cmp_neq_f32 s23, 0
	v_lshl_or_b32 v39, v34, 4, v6
	v_mul_u32_u24_e32 v38, 0x60, v33
	v_mov_b32_e32 v37, 0xff7fffff
	s_cselect_b32 s3, -1, 0
	v_dual_mov_b32 v42, v34 :: v_dual_bitop2_b32 v41, 1, v36 bitop3:0x14
	s_mov_b32 s16, s5
	s_mov_b32 s6, 0
	s_sub_co_i32 s15, 1, s21
	v_cmp_eq_u32_e32 vcc_lo, 0, v33
	s_wait_kmcnt 0x0
	s_add_nc_u64 s[26:27], s[26:27], s[28:29]
	s_delay_alu instid0(SALU_CYCLE_1) | instskip(SKIP_3) | instid1(SALU_CYCLE_1)
	v_add_nc_u64_e32 v[4:5], s[26:27], v[2:3]
	v_and_b32_e32 v2, 8, v35
	v_lshl_or_b32 v7, v34, 6, v7
	s_lshl_b64 s[26:27], s[10:11], 2
	s_add_nc_u64 s[26:27], s[12:13], s[26:27]
	s_delay_alu instid0(VALU_DEP_1) | instskip(NEXT) | instid1(VALU_DEP_4)
	v_add_nc_u32_e32 v40, 0xe0, v7
	v_add_nc_u64_e32 v[4:5], v[4:5], v[2:3]
	v_and_b32_e32 v2, 0x7c, v1
	s_delay_alu instid0(VALU_DEP_1)
	v_add_nc_u64_e32 v[6:7], s[26:27], v[2:3]
	v_mov_b32_e32 v2, 32
	s_branch .LBB84_9
.LBB84_8:                               ;   in Loop: Header=BB84_9 Depth=1
	s_or_b32 exec_lo, exec_lo, s25
	v_dual_add_nc_u32 v42, 4, v42 :: v_dual_add_nc_u32 v39, 64, v39
	v_add_nc_u64_e32 v[6:7], 16, v[6:7]
	v_add_nc_u32_e32 v40, 0x100, v40
	s_delay_alu instid0(VALU_DEP_3) | instskip(SKIP_1) | instid1(SALU_CYCLE_1)
	v_cmp_le_i32_e64 s4, s22, v42
	s_or_b32 s6, s4, s6
	s_and_not1_b32 exec_lo, exec_lo, s6
	s_cbranch_execz .LBB84_11
.LBB84_9:                               ; =>This Inner Loop Header: Depth=1
	global_load_b32 v8, v[6:7], off
	v_cmp_gt_i32_e64 s4, 32, v41
	s_wait_loadcnt_dscnt 0x0
	v_ashrrev_i32_e32 v9, 31, v8
	s_delay_alu instid0(VALU_DEP_1) | instskip(NEXT) | instid1(VALU_DEP_1)
	v_mul_u64_e32 v[8:9], s[16:17], v[8:9]
	v_lshl_add_u64 v[8:9], v[8:9], 1, v[4:5]
	s_clause 0xb
	global_load_b64 v[28:29], v[8:9], off
	global_load_b64 v[30:31], v[8:9], off offset:256
	global_load_b64 v[26:27], v[8:9], off offset:512
	;; [unrolled: 1-line block ×11, first 2 shown]
	ds_load_b64 v[44:45], v38
	s_wait_dscnt 0x0
	v_and_b32_e32 v43, 0xffff, v44
	v_dual_lshrrev_b32 v44, 16, v44 :: v_dual_lshrrev_b32 v46, 16, v45
	v_and_b32_e32 v45, 0xffff, v45
	;;#ASMSTART
	v_cvt_f32_f16 v43, v43;
	;;#ASMEND
	s_wait_loadcnt 0xb
	v_and_b32_e32 v47, 0xffff, v28
	v_dual_lshrrev_b32 v28, 16, v28 :: v_dual_lshrrev_b32 v51, 16, v29
	v_and_b32_e32 v29, 0xffff, v29
	;;#ASMSTART
	v_cvt_f32_f16 v44, v44;
	;;#ASMEND
	;;#ASMSTART
	v_cvt_f32_f16 v50, v47;
	;;#ASMEND
	;; [unrolled: 3-line block ×7, first 2 shown]
	ds_load_b64 v[28:29], v38 offset:8
	s_wait_loadcnt 0xa
	v_lshrrev_b32_e32 v51, 16, v30
	v_and_b32_e32 v52, 0xffff, v30
	v_lshrrev_b32_e32 v30, 16, v31
	v_and_b32_e32 v31, 0xffff, v31
	s_wait_loadcnt 0x9
	v_lshrrev_b32_e32 v57, 16, v26
	v_and_b32_e32 v26, 0xffff, v26
	s_wait_loadcnt 0x8
	;; [unrolled: 3-line block ×6, first 2 shown]
	v_lshrrev_b32_e32 v89, 16, v16
	v_and_b32_e32 v16, 0xffff, v16
	s_wait_dscnt 0x0
	v_and_b32_e32 v53, 0xffff, v28
	v_lshrrev_b32_e32 v28, 16, v28
	v_and_b32_e32 v54, 0xffff, v29
	v_lshrrev_b32_e32 v29, 16, v29
	;;#ASMSTART
	v_cvt_f32_f16 v53, v53;
	;;#ASMEND
	;;#ASMSTART
	v_cvt_f32_f16 v55, v28;
	;;#ASMEND
	;;#ASMSTART
	v_cvt_f32_f16 v52, v52;
	;;#ASMEND
	;;#ASMSTART
	v_cvt_f32_f16 v51, v51;
	;;#ASMEND
	;;#ASMSTART
	v_cvt_f32_f16 v54, v54;
	;;#ASMEND
	;;#ASMSTART
	v_cvt_f32_f16 v56, v29;
	;;#ASMEND
	;;#ASMSTART
	v_cvt_f32_f16 v31, v31;
	;;#ASMEND
	;;#ASMSTART
	v_cvt_f32_f16 v30, v30;
	;;#ASMEND
	ds_load_b64 v[28:29], v38 offset:16
	v_lshrrev_b32_e32 v58, 16, v27
	v_and_b32_e32 v27, 0xffff, v27
	s_wait_dscnt 0x0
	v_and_b32_e32 v59, 0xffff, v28
	v_dual_lshrrev_b32 v28, 16, v28 :: v_dual_lshrrev_b32 v60, 16, v29
	v_and_b32_e32 v29, 0xffff, v29
	;;#ASMSTART
	v_cvt_f32_f16 v59, v59;
	;;#ASMEND
	;;#ASMSTART
	v_cvt_f32_f16 v28, v28;
	;;#ASMEND
	;;#ASMSTART
	v_cvt_f32_f16 v61, v26;
	;;#ASMEND
	;;#ASMSTART
	v_cvt_f32_f16 v57, v57;
	;;#ASMEND
	;;#ASMSTART
	v_cvt_f32_f16 v29, v29;
	;;#ASMEND
	;;#ASMSTART
	v_cvt_f32_f16 v60, v60;
	;;#ASMEND
	;;#ASMSTART
	v_cvt_f32_f16 v62, v27;
	;;#ASMEND
	;;#ASMSTART
	v_cvt_f32_f16 v58, v58;
	;;#ASMEND
	ds_load_b64 v[26:27], v38 offset:24
	v_lshrrev_b32_e32 v64, 16, v25
	v_and_b32_e32 v25, 0xffff, v25
	s_wait_dscnt 0x0
	v_and_b32_e32 v65, 0xffff, v26
	v_dual_lshrrev_b32 v26, 16, v26 :: v_dual_lshrrev_b32 v66, 16, v27
	v_and_b32_e32 v27, 0xffff, v27
	;; [unrolled: 31-line block ×5, first 2 shown]
	;;#ASMSTART
	v_cvt_f32_f16 v83, v83;
	;;#ASMEND
	;;#ASMSTART
	v_cvt_f32_f16 v85, v20;
	;;#ASMEND
	;; [unrolled: 3-line block ×8, first 2 shown]
	ds_load_b64 v[18:19], v38 offset:56
	v_dual_mul_f32 v20, v53, v52 :: v_dual_mul_f32 v21, v55, v51
	v_lshrrev_b32_e32 v51, 16, v17
	v_and_b32_e32 v17, 0xffff, v17
	s_delay_alu instid0(VALU_DEP_3) | instskip(SKIP_1) | instid1(VALU_DEP_1)
	v_dual_fmac_f32 v20, v43, v50 :: v_dual_fmac_f32 v21, v44, v49
	s_wait_loadcnt 0x1
	v_dual_fmac_f32 v20, v59, v61 :: v_dual_lshrrev_b32 v59, 16, v10
	v_and_b32_e32 v10, 0xffff, v10
	s_wait_dscnt 0x0
	v_and_b32_e32 v43, 0xffff, v18
	v_dual_lshrrev_b32 v18, 16, v18 :: v_dual_lshrrev_b32 v44, 16, v19
	v_and_b32_e32 v19, 0xffff, v19
	;;#ASMSTART
	v_cvt_f32_f16 v43, v43;
	;;#ASMEND
	;;#ASMSTART
	v_cvt_f32_f16 v49, v18;
	;;#ASMEND
	;;#ASMSTART
	v_cvt_f32_f16 v50, v16;
	;;#ASMEND
	;;#ASMSTART
	v_cvt_f32_f16 v52, v89;
	;;#ASMEND
	;;#ASMSTART
	v_cvt_f32_f16 v53, v19;
	;;#ASMEND
	v_lshrrev_b32_e32 v89, 16, v14
	;;#ASMSTART
	v_cvt_f32_f16 v44, v44;
	;;#ASMEND
	;;#ASMSTART
	v_cvt_f32_f16 v55, v17;
	;;#ASMEND
	;; [unrolled: 3-line block ×3, first 2 shown]
	ds_load_b64 v[16:17], v38 offset:64
	v_dual_mul_f32 v18, v54, v31 :: v_dual_mul_f32 v19, v56, v30
	v_and_b32_e32 v14, 0xffff, v14
	v_lshrrev_b32_e32 v30, 16, v15
	v_and_b32_e32 v15, 0xffff, v15
	s_delay_alu instid0(VALU_DEP_4) | instskip(SKIP_2) | instid1(VALU_DEP_3)
	v_dual_fmac_f32 v18, v47, v48 :: v_dual_fmac_f32 v19, v45, v46
	v_dual_fmac_f32 v21, v28, v57 :: v_dual_lshrrev_b32 v54, 16, v12
	v_and_b32_e32 v12, 0xffff, v12
	v_fmac_f32_e32 v18, v29, v62
	s_delay_alu instid0(VALU_DEP_4) | instskip(NEXT) | instid1(VALU_DEP_2)
	v_dual_fmac_f32 v19, v60, v58 :: v_dual_fmac_f32 v20, v65, v67
	v_dual_fmac_f32 v18, v27, v68 :: v_dual_fmac_f32 v21, v26, v63
	s_delay_alu instid0(VALU_DEP_2) | instskip(NEXT) | instid1(VALU_DEP_3)
	v_dual_fmac_f32 v20, v71, v73 :: v_dual_lshrrev_b32 v26, 16, v11
	v_fmac_f32_e32 v19, v66, v64
	s_wait_dscnt 0x0
	v_and_b32_e32 v31, 0xffff, v16
	v_dual_lshrrev_b32 v16, 16, v16 :: v_dual_lshrrev_b32 v45, 16, v17
	v_and_b32_e32 v17, 0xffff, v17
	;;#ASMSTART
	v_cvt_f32_f16 v31, v31;
	;;#ASMEND
	;;#ASMSTART
	v_cvt_f32_f16 v16, v16;
	;;#ASMEND
	;; [unrolled: 3-line block ×8, first 2 shown]
	ds_load_b64 v[14:15], v38 offset:72
	v_lshrrev_b32_e32 v56, 16, v13
	v_and_b32_e32 v13, 0xffff, v13
	v_dual_fmac_f32 v21, v24, v69 :: v_dual_fmac_f32 v18, v25, v74
	v_dual_fmac_f32 v19, v72, v70 :: v_dual_fmac_f32 v20, v77, v79
	v_and_b32_e32 v11, 0xffff, v11
	s_wait_loadcnt 0x0
	s_delay_alu instid0(VALU_DEP_3) | instskip(SKIP_2) | instid1(VALU_DEP_3)
	v_dual_fmac_f32 v21, v22, v75 :: v_dual_lshrrev_b32 v22, 16, v8
	v_fmac_f32_e32 v18, v23, v80
	v_dual_fmac_f32 v19, v78, v76 :: v_dual_fmac_f32 v20, v83, v86
	v_fmac_f32_e32 v21, v85, v81
	s_wait_xcnt 0x0
	v_and_b32_e32 v8, 0xffff, v8
	s_delay_alu instid0(VALU_DEP_3) | instskip(NEXT) | instid1(VALU_DEP_3)
	v_dual_fmac_f32 v18, v87, v88 :: v_dual_fmac_f32 v19, v84, v82
	v_dual_fmac_f32 v20, v43, v50 :: v_dual_fmac_f32 v21, v49, v52
	s_wait_dscnt 0x0
	v_and_b32_e32 v28, 0xffff, v14
	v_dual_lshrrev_b32 v14, 16, v14 :: v_dual_lshrrev_b32 v29, 16, v15
	v_and_b32_e32 v15, 0xffff, v15
	;;#ASMSTART
	v_cvt_f32_f16 v28, v28;
	;;#ASMEND
	;;#ASMSTART
	v_cvt_f32_f16 v14, v14;
	;;#ASMEND
	;; [unrolled: 3-line block ×8, first 2 shown]
	ds_load_b64 v[12:13], v38 offset:80
	v_dual_fmac_f32 v18, v53, v55 :: v_dual_fmac_f32 v20, v31, v46
	v_fmac_f32_e32 v19, v44, v51
	v_dual_fmac_f32 v21, v16, v47 :: v_dual_lshrrev_b32 v16, 16, v9
	s_delay_alu instid0(VALU_DEP_3) | instskip(NEXT) | instid1(VALU_DEP_3)
	v_dual_fmac_f32 v18, v17, v48 :: v_dual_fmac_f32 v20, v28, v57
	v_fmac_f32_e32 v19, v45, v30
	s_delay_alu instid0(VALU_DEP_3) | instskip(SKIP_1) | instid1(VALU_DEP_4)
	v_fmac_f32_e32 v21, v14, v54
	v_and_b32_e32 v9, 0xffff, v9
	v_fmac_f32_e32 v18, v15, v61
	s_wait_dscnt 0x0
	v_and_b32_e32 v23, 0xffff, v12
	v_dual_lshrrev_b32 v12, 16, v12 :: v_dual_lshrrev_b32 v24, 16, v13
	v_and_b32_e32 v13, 0xffff, v13
	;;#ASMSTART
	v_cvt_f32_f16 v23, v23;
	;;#ASMEND
	;;#ASMSTART
	v_cvt_f32_f16 v12, v12;
	;;#ASMEND
	;; [unrolled: 3-line block ×8, first 2 shown]
	ds_load_b64 v[10:11], v38 offset:88
	v_dual_fmac_f32 v19, v29, v56 :: v_dual_fmac_f32 v20, v23, v25
	v_dual_fmac_f32 v21, v12, v27 :: v_dual_fmac_f32 v18, v13, v58
	s_delay_alu instid0(VALU_DEP_2)
	v_fmac_f32_e32 v19, v24, v26
	s_wait_dscnt 0x0
	v_and_b32_e32 v12, 0xffff, v10
	v_dual_lshrrev_b32 v10, 16, v10 :: v_dual_lshrrev_b32 v13, 16, v11
	;;#ASMSTART
	v_cvt_f32_f16 v12, v12;
	;;#ASMEND
	;;#ASMSTART
	v_cvt_f32_f16 v10, v10;
	;;#ASMEND
	;; [unrolled: 3-line block ×4, first 2 shown]
	v_dual_fmac_f32 v20, v12, v8 :: v_dual_fmac_f32 v21, v10, v14
	v_and_b32_e32 v11, 0xffff, v11
	;;#ASMSTART
	v_cvt_f32_f16 v8, v11;
	;;#ASMEND
	;;#ASMSTART
	v_cvt_f32_f16 v10, v13;
	;;#ASMEND
	;; [unrolled: 3-line block ×3, first 2 shown]
	v_fmac_f32_e32 v18, v8, v9
	v_add_f32_e32 v8, v20, v21
	;;#ASMSTART
	v_cvt_f32_f16 v9, v16;
	;;#ASMEND
	s_delay_alu instid0(VALU_DEP_1) | instskip(NEXT) | instid1(VALU_DEP_1)
	v_dual_fmac_f32 v19, v10, v9 :: v_dual_add_f32 v8, v8, v18
	v_dual_cndmask_b32 v9, v36, v41, s4 :: v_dual_add_f32 v8, v19, v8
	s_delay_alu instid0(VALU_DEP_1)
	v_lshlrev_b32_e32 v9, 2, v9
	ds_bpermute_b32 v9, v9, v8
	s_and_saveexec_b32 s25, vcc_lo
	s_cbranch_execz .LBB84_8
; %bb.10:                               ;   in Loop: Header=BB84_9 Depth=1
	s_wait_dscnt 0x0
	v_dual_add_nc_u32 v10, s15, v39 :: v_dual_add_f32 v8, v8, v9
	v_cmp_gt_i32_e64 s4, s21, v39
	s_delay_alu instid0(VALU_DEP_2) | instskip(NEXT) | instid1(VALU_DEP_1)
	v_cvt_f32_i32_e32 v10, v10
	v_mul_f32_e32 v10, s23, v10
	s_delay_alu instid0(VALU_DEP_1) | instskip(NEXT) | instid1(VALU_DEP_1)
	v_dual_cndmask_b32 v9, 0, v10, s3 :: v_dual_max_num_f32 v10, v37, v37
	v_fmac_f32_e32 v9, s7, v8
	s_delay_alu instid0(VALU_DEP_1) | instskip(NEXT) | instid1(VALU_DEP_1)
	v_dual_max_num_f32 v8, v10, v9 :: v_dual_cndmask_b32 v9, 0, v9, s4
	v_cndmask_b32_e64 v37, v37, v8, s4
	ds_store_b32 v40, v9
	s_branch .LBB84_8
.LBB84_11:
	s_or_b32 exec_lo, exec_lo, s6
.LBB84_12:
	s_delay_alu instid0(SALU_CYCLE_1)
	s_or_b32 exec_lo, exec_lo, s24
	v_dual_max_num_f32 v7, v37, v37 :: v_dual_bitop2_b32 v4, 16, v36 bitop3:0x14
	v_xor_b32_e32 v6, 8, v36
	s_clause 0x1
	s_load_b64 s[6:7], s[0:1], 0x0
	s_load_b64 s[16:17], s[0:1], 0x18
	v_and_b32_e32 v19, 31, v0
	v_cmp_lt_i32_e32 vcc_lo, v4, v2
	v_cndmask_b32_e32 v4, v36, v4, vcc_lo
	v_cmp_lt_i32_e32 vcc_lo, v6, v2
	s_delay_alu instid0(VALU_DEP_2) | instskip(SKIP_3) | instid1(VALU_DEP_1)
	v_dual_cndmask_b32 v6, v36, v6 :: v_dual_lshlrev_b32 v5, 2, v4
	ds_bpermute_b32 v4, v5, v37
	s_wait_dscnt 0x0
	v_dual_max_num_f32 v4, v4, v4 :: v_dual_lshlrev_b32 v6, 2, v6
	v_max_num_f32_e32 v4, v7, v4
	ds_bpermute_b32 v7, v6, v4
	s_wait_dscnt 0x0
	v_dual_max_num_f32 v9, v7, v7 :: v_dual_bitop2_b32 v8, 4, v36 bitop3:0x14
	s_delay_alu instid0(VALU_DEP_1) | instskip(NEXT) | instid1(VALU_DEP_2)
	v_max_num_f32_e32 v4, v4, v9
	v_cmp_lt_i32_e32 vcc_lo, v8, v2
	v_xor_b32_e32 v9, 2, v36
	v_cndmask_b32_e32 v8, v36, v8, vcc_lo
	s_delay_alu instid0(VALU_DEP_2) | instskip(NEXT) | instid1(VALU_DEP_2)
	v_cmp_lt_i32_e32 vcc_lo, v9, v2
	v_dual_cndmask_b32 v10, v36, v9 :: v_dual_lshlrev_b32 v7, 2, v8
	v_cmp_eq_u32_e32 vcc_lo, 0, v19
	ds_bpermute_b32 v8, v7, v4
	s_wait_dscnt 0x0
	v_max_num_f32_e32 v8, v8, v8
	s_delay_alu instid0(VALU_DEP_1)
	v_dual_max_num_f32 v9, v4, v8 :: v_dual_lshlrev_b32 v8, 2, v34
	v_lshlrev_b32_e32 v4, 2, v10
	ds_bpermute_b32 v10, v4, v9
	s_wait_xcnt 0x0
	s_and_saveexec_b32 s0, vcc_lo
	s_cbranch_execz .LBB84_14
; %bb.13:
	s_wait_dscnt 0x0
	v_dual_max_num_f32 v10, v10, v10 :: v_dual_max_num_f32 v9, v9, v9
	s_delay_alu instid0(VALU_DEP_1)
	v_max_num_f32_e32 v9, v9, v10
	ds_store_b32 v8, v9 offset:192
.LBB84_14:
	s_or_b32 exec_lo, exec_lo, s0
	v_cmp_gt_u32_e64 s0, 4, v19
	s_wait_dscnt 0x0
	v_dual_mov_b32 v10, 0xff7fffff :: v_dual_lshlrev_b32 v9, 2, v19
	s_barrier_signal -1
	s_barrier_wait -1
	s_and_saveexec_b32 s1, s0
; %bb.15:
	ds_load_b32 v10, v9 offset:192
; %bb.16:
	s_or_b32 exec_lo, exec_lo, s1
	s_wait_dscnt 0x0
	ds_bpermute_b32 v11, v4, v10
	v_dual_max_num_f32 v10, v10, v10 :: v_dual_bitop2_b32 v12, 1, v36 bitop3:0x14
	v_lshlrev_b32_e32 v3, 2, v3
	s_delay_alu instid0(VALU_DEP_2) | instskip(NEXT) | instid1(VALU_DEP_1)
	v_cmp_lt_i32_e64 s1, v12, v2
	v_cndmask_b32_e64 v2, v36, v12, s1
	s_lshl_b32 s1, s22, 4
	s_delay_alu instid0(SALU_CYCLE_1) | instskip(NEXT) | instid1(SALU_CYCLE_1)
	s_min_i32 s4, s1, s21
	v_cmp_gt_i32_e64 s1, s4, v0
	s_wait_dscnt 0x0
	v_dual_max_num_f32 v11, v11, v11 :: v_dual_lshlrev_b32 v20, 2, v2
	s_delay_alu instid0(VALU_DEP_1) | instskip(SKIP_3) | instid1(VALU_DEP_1)
	v_max_num_f32_e32 v2, v10, v11
	ds_bpermute_b32 v10, v20, v2
	s_wait_dscnt 0x0
	v_max_num_f32_e32 v10, v10, v10
	v_max_num_f32_e32 v2, v2, v10
	ds_bpermute_b32 v3, v3, v2
	v_mov_b32_e32 v2, 0
	s_and_saveexec_b32 s15, s1
	s_cbranch_execz .LBB84_20
; %bb.17:
	v_lshl_add_u32 v10, v0, 2, 0xe0
	v_dual_mov_b32 v2, 0 :: v_dual_mov_b32 v11, v0
	s_mov_b32 s23, 0
.LBB84_18:                              ; =>This Inner Loop Header: Depth=1
	ds_load_b32 v12, v10
	s_wait_dscnt 0x0
	v_sub_f32_e32 v12, v12, v3
	s_delay_alu instid0(VALU_DEP_1) | instskip(NEXT) | instid1(VALU_DEP_1)
	v_mul_f32_e32 v12, 0x3fb8aa3b, v12
	v_exp_f32_e32 v12, v12
	v_nop
	s_delay_alu instid0(TRANS32_DEP_1) | instskip(NEXT) | instid1(VALU_DEP_1)
	v_dual_add_f32 v2, v2, v12 :: v_dual_add_nc_u32 v11, 0x80, v11
	v_cmp_le_i32_e64 s3, s4, v11
	ds_store_b32 v10, v12
	v_add_nc_u32_e32 v10, 0x200, v10
	s_or_b32 s23, s3, s23
	s_delay_alu instid0(SALU_CYCLE_1)
	s_and_not1_b32 exec_lo, exec_lo, s23
	s_cbranch_execnz .LBB84_18
; %bb.19:
	s_or_b32 exec_lo, exec_lo, s23
.LBB84_20:
	s_delay_alu instid0(SALU_CYCLE_1)
	s_or_b32 exec_lo, exec_lo, s15
	s_wait_dscnt 0x0
	ds_bpermute_b32 v3, v5, v2
	s_wait_dscnt 0x0
	v_add_f32_e32 v2, v2, v3
	ds_bpermute_b32 v3, v6, v2
	s_wait_dscnt 0x0
	v_add_f32_e32 v2, v2, v3
	;; [unrolled: 3-line block ×5, first 2 shown]
	s_and_saveexec_b32 s3, vcc_lo
; %bb.21:
	ds_store_b32 v8, v2 offset:208
; %bb.22:
	s_or_b32 exec_lo, exec_lo, s3
	s_wait_dscnt 0x0
	s_barrier_signal -1
	s_barrier_wait -1
	s_and_saveexec_b32 s3, s0
; %bb.23:
	ds_load_b32 v2, v9 offset:208
; %bb.24:
	s_or_b32 exec_lo, exec_lo, s3
	s_wait_dscnt 0x0
	ds_bpermute_b32 v3, v4, v2
	s_wait_dscnt 0x0
	v_dual_lshlrev_b32 v4, 2, v36 :: v_dual_add_f32 v2, v2, v3
	ds_bpermute_b32 v3, v20, v2
	s_wait_dscnt 0x0
	v_add_f32_e32 v2, v2, v3
	v_and_b32_e32 v3, 0xffffff80, v4
	ds_bpermute_b32 v2, v3, v2
	s_and_saveexec_b32 s0, s1
	s_cbranch_execz .LBB84_37
; %bb.25:
	s_wait_dscnt 0x0
	v_add_f32_e32 v2, 0x358637bd, v2
	s_mov_b32 s3, -1
	s_mov_b32 s1, exec_lo
	s_delay_alu instid0(VALU_DEP_1) | instskip(NEXT) | instid1(VALU_DEP_1)
	v_div_scale_f32 v3, null, v2, v2, 1.0
	v_rcp_f32_e32 v5, v3
	v_nop
	s_delay_alu instid0(TRANS32_DEP_1) | instskip(NEXT) | instid1(VALU_DEP_1)
	v_fma_f32 v4, -v3, v5, 1.0
	v_fmac_f32_e32 v5, v4, v5
	v_div_scale_f32 v6, vcc_lo, 1.0, v2, 1.0
	s_delay_alu instid0(VALU_DEP_1) | instskip(NEXT) | instid1(VALU_DEP_1)
	v_mul_f32_e32 v7, v6, v5
	v_fma_f32 v4, -v3, v7, v6
	s_delay_alu instid0(VALU_DEP_1) | instskip(SKIP_1) | instid1(VALU_DEP_2)
	v_fmac_f32_e32 v7, v4, v5
	v_xad_u32 v4, v0, -1, s4
	v_fma_f32 v3, -v3, v7, v6
	s_delay_alu instid0(VALU_DEP_1) | instskip(NEXT) | instid1(VALU_DEP_1)
	v_div_fmas_f32 v3, v3, v5, v7
	v_div_fixup_f32 v2, v3, v2, 1.0
	v_mov_b32_e32 v3, v0
	v_cmpx_lt_u32_e32 0x7f, v4
	s_cbranch_execz .LBB84_34
; %bb.26:
	s_delay_alu instid0(VALU_DEP_3) | instskip(NEXT) | instid1(VALU_DEP_1)
	v_dual_mov_b32 v3, v2 :: v_dual_lshrrev_b32 v4, 7, v4
	v_dual_mov_b32 v8, 0 :: v_dual_add_nc_u32 v5, -1, v4
	s_delay_alu instid0(VALU_DEP_1) | instskip(SKIP_1) | instid1(VALU_DEP_2)
	v_lshrrev_b32_e32 v6, 1, v5
	v_cmp_lt_u32_e32 vcc_lo, 13, v5
	v_add_nc_u32_e32 v5, 1, v6
	s_and_saveexec_b32 s3, vcc_lo
	s_cbranch_execz .LBB84_30
; %bb.27:
	s_delay_alu instid0(VALU_DEP_1)
	v_and_b32_e32 v6, -8, v5
	v_lshl_add_u32 v7, v0, 2, 0xe0
	s_mov_b32 s15, 0
	s_mov_b32 s23, 0
.LBB84_28:                              ; =>This Inner Loop Header: Depth=1
	ds_load_2addr_stride64_b32 v[8:9], v7 offset1:2
	ds_load_2addr_stride64_b32 v[10:11], v7 offset0:4 offset1:6
	ds_load_2addr_stride64_b32 v[12:13], v7 offset0:8 offset1:10
	;; [unrolled: 1-line block ×7, first 2 shown]
	s_add_co_i32 s23, s23, 16
	v_add_nc_u32_e32 v6, -8, v6
	s_wait_dscnt 0x7
	v_pk_mul_f32 v[8:9], v[2:3], v[8:9]
	s_wait_dscnt 0x6
	v_pk_mul_f32 v[10:11], v[2:3], v[10:11]
	;; [unrolled: 2-line block ×8, first 2 shown]
	ds_store_2addr_stride64_b32 v7, v8, v9 offset1:2
	ds_store_2addr_stride64_b32 v7, v10, v11 offset0:4 offset1:6
	ds_store_2addr_stride64_b32 v7, v12, v13 offset0:8 offset1:10
	;; [unrolled: 1-line block ×7, first 2 shown]
	v_mov_b32_e32 v8, s23
	v_cmp_eq_u32_e32 vcc_lo, 0, v6
	v_add_nc_u32_e32 v7, 0x2000, v7
	s_or_b32 s15, vcc_lo, s15
	s_delay_alu instid0(SALU_CYCLE_1)
	s_and_not1_b32 exec_lo, exec_lo, s15
	s_cbranch_execnz .LBB84_28
; %bb.29:
	s_or_b32 exec_lo, exec_lo, s15
.LBB84_30:
	s_delay_alu instid0(SALU_CYCLE_1) | instskip(NEXT) | instid1(VALU_DEP_1)
	s_or_b32 exec_lo, exec_lo, s3
	v_and_b32_e32 v5, 7, v5
	s_mov_b32 s15, 0
	s_mov_b32 s3, exec_lo
	s_delay_alu instid0(VALU_DEP_1)
	v_cmpx_ne_u32_e32 0, v5
	s_cbranch_execz .LBB84_33
; %bb.31:
	v_lshlrev_b32_e32 v6, 9, v8
	v_lshlrev_b32_e32 v7, 2, v0
	s_delay_alu instid0(VALU_DEP_1)
	v_add3_u32 v6, v6, v7, 0xe0
.LBB84_32:                              ; =>This Inner Loop Header: Depth=1
	ds_load_2addr_stride64_b32 v[8:9], v6 offset1:2
	v_add_nc_u32_e32 v5, -1, v5
	s_delay_alu instid0(VALU_DEP_1)
	v_cmp_eq_u32_e32 vcc_lo, 0, v5
	s_or_b32 s15, vcc_lo, s15
	s_wait_dscnt 0x0
	v_pk_mul_f32 v[8:9], v[2:3], v[8:9]
	ds_store_2addr_stride64_b32 v6, v8, v9 offset1:2
	v_add_nc_u32_e32 v6, 0x400, v6
	s_and_not1_b32 exec_lo, exec_lo, s15
	s_cbranch_execnz .LBB84_32
.LBB84_33:
	s_or_b32 exec_lo, exec_lo, s3
	v_add_nc_u32_e32 v3, 1, v4
	s_delay_alu instid0(VALU_DEP_1) | instskip(NEXT) | instid1(VALU_DEP_1)
	v_and_b32_e32 v4, 0x3fffffe, v3
	v_cmp_ne_u32_e32 vcc_lo, v3, v4
	v_lshl_add_u32 v3, v4, 7, v0
	s_or_not1_b32 s3, vcc_lo, exec_lo
.LBB84_34:
	s_or_b32 exec_lo, exec_lo, s1
	s_delay_alu instid0(SALU_CYCLE_1)
	s_and_b32 exec_lo, exec_lo, s3
	s_cbranch_execz .LBB84_37
; %bb.35:
	v_lshl_add_u32 v4, v3, 2, 0xe0
	s_mov_b32 s1, 0
.LBB84_36:                              ; =>This Inner Loop Header: Depth=1
	ds_load_b32 v5, v4
	v_add_nc_u32_e32 v3, 0x80, v3
	s_delay_alu instid0(VALU_DEP_1)
	v_cmp_le_i32_e32 vcc_lo, s4, v3
	s_or_b32 s1, vcc_lo, s1
	s_wait_dscnt 0x0
	v_mul_f32_e32 v5, v2, v5
	ds_store_b32 v4, v5
	v_add_nc_u32_e32 v4, 0x200, v4
	s_and_not1_b32 exec_lo, exec_lo, s1
	s_cbranch_execnz .LBB84_36
.LBB84_37:
	s_or_b32 exec_lo, exec_lo, s0
	v_mov_b32_e32 v7, 0
	s_wait_dscnt 0x0
	s_barrier_signal -1
	s_barrier_wait -1
	s_delay_alu instid0(VALU_DEP_1)
	v_dual_mov_b32 v6, v7 :: v_dual_mov_b32 v9, v7
	v_dual_mov_b32 v8, v7 :: v_dual_mov_b32 v11, v7
	v_mov_b32_e32 v10, v7
	s_and_saveexec_b32 s1, s2
	s_cbranch_execz .LBB84_53
; %bb.38:
	v_dual_lshlrev_b32 v2, 4, v0 :: v_dual_bitop2_b32 v3, 8, v35 bitop3:0x40
	s_ashr_i32 s15, s14, 31
	v_dual_mov_b32 v7, 0 :: v_dual_lshlrev_b32 v4, 5, v33
	s_delay_alu instid0(VALU_DEP_2)
	v_and_b32_e32 v6, 0x1f0, v2
	s_lshl_b64 s[14:15], s[14:15], 1
	s_ashr_i32 s3, s5, 31
	s_wait_kmcnt 0x0
	s_add_nc_u64 s[14:15], s[16:17], s[14:15]
	s_mov_b32 s2, s5
	v_add_nc_u64_e32 v[12:13], s[14:15], v[6:7]
	v_and_b32_e32 v6, 0x7c, v1
	s_lshl_b64 s[4:5], s[10:11], 2
	v_lshl_or_b32 v2, v34, 6, v4
	s_add_nc_u64 s[4:5], s[12:13], s[4:5]
	v_lshl_or_b32 v21, v34, 4, v3
	v_add_nc_u64_e32 v[14:15], s[4:5], v[6:7]
	v_dual_mov_b32 v6, v7 :: v_dual_mov_b32 v8, v7
	v_dual_mov_b32 v9, v7 :: v_dual_add_nc_u32 v22, 0xe0, v2
	v_dual_mov_b32 v11, v7 :: v_dual_mov_b32 v10, v7
	v_mov_b32_e32 v23, v34
	s_add_co_i32 s4, s22, -1
	s_mov_b32 s10, s21
	s_mov_b32 s5, 0
	s_branch .LBB84_40
.LBB84_39:                              ;   in Loop: Header=BB84_40 Depth=1
	s_or_b32 exec_lo, exec_lo, s0
	v_dual_lshlrev_b32 v16, 16, v16 :: v_dual_lshlrev_b32 v1, 16, v1
	s_delay_alu instid0(VALU_DEP_2) | instskip(SKIP_1) | instid1(VALU_DEP_3)
	v_dual_add_f32 v18, v18, v31 :: v_dual_lshlrev_b32 v17, 16, v17
	v_add_nc_u64_e32 v[14:15], 16, v[14:15]
	v_and_or_b32 v2, 0xffff, v2, v16
	s_delay_alu instid0(VALU_DEP_4) | instskip(NEXT) | instid1(VALU_DEP_4)
	v_and_or_b32 v1, 0xffff, v3, v1
	v_and_or_b32 v3, 0xffff, v4, v17
	;;#ASMSTART
	v_pk_mul_f16 v2, v36, v2;

	;;#ASMEND
	;;#ASMSTART
	v_pk_mul_f16 v1, v35, v1;

	;;#ASMEND
	;; [unrolled: 4-line block ×4, first 2 shown]
	;;#ASMSTART
	v_pk_add_f16 v1, v2, v1;

	;;#ASMEND
	;;#ASMSTART
	v_pk_add_f16 v1, v1, v3;

	;;#ASMEND
	;; [unrolled: 4-line block ×3, first 2 shown]
	v_dual_add_f32 v24, v45, v46 :: v_dual_lshrrev_b32 v5, 16, v1
	v_and_b32_e32 v4, 0xffff, v1
	v_dual_add_f32 v1, v43, v44 :: v_dual_add_f32 v2, v41, v42
	v_add_nc_u32_e32 v23, 4, v23
	;;#ASMSTART
	v_cvt_f32_f16 v4, v4;
	;;#ASMEND
	;;#ASMSTART
	v_cvt_f32_f16 v5, v5;
	;;#ASMEND
	v_dual_add_f32 v3, v39, v40 :: v_dual_add_f32 v4, v4, v5
	v_add_f32_e32 v8, v8, v1
	v_cmp_le_i32_e32 vcc_lo, s22, v23
	v_dual_add_f32 v6, v6, v18 :: v_dual_add_f32 v9, v9, v24
	s_delay_alu instid0(VALU_DEP_4) | instskip(SKIP_3) | instid1(SALU_CYCLE_1)
	v_dual_add_f32 v11, v11, v2 :: v_dual_add_f32 v10, v10, v3
	v_dual_add_f32 v7, v7, v4 :: v_dual_add_nc_u32 v21, 64, v21
	v_add_nc_u32_e32 v22, 0x100, v22
	s_or_b32 s5, vcc_lo, s5
	s_and_not1_b32 exec_lo, exec_lo, s5
	s_cbranch_execz .LBB84_52
.LBB84_40:                              ; =>This Inner Loop Header: Depth=1
	global_load_b32 v2, v[14:15], off
	v_cmp_eq_u32_e32 vcc_lo, s4, v23
	v_dual_add_nc_u32 v29, 2, v21 :: v_dual_bitop2_b32 v28, 1, v21 bitop3:0x54
	s_wait_loadcnt 0x0
	v_ashrrev_i32_e32 v3, 31, v2
	s_delay_alu instid0(VALU_DEP_1)
	v_mul_u64_e32 v[16:17], s[2:3], v[2:3]
	ds_load_2addr_b64 v[2:5], v22 offset1:1
	ds_load_2addr_b64 v[24:27], v22 offset0:2 offset1:3
	s_wait_dscnt 0x1
	;;#ASMSTART
	v_cvt_f16_f32 v36, v2;

	;;#ASMEND
	;;#ASMSTART
	v_cvt_f16_f32 v35, v3;

	;;#ASMEND
	;; [unrolled: 4-line block ×4, first 2 shown]
	s_wait_dscnt 0x0
	;;#ASMSTART
	v_cvt_f16_f32 v42, v24;

	;;#ASMEND
	;;#ASMSTART
	v_cvt_f16_f32 v37, v25;

	;;#ASMEND
	;; [unrolled: 4-line block ×4, first 2 shown]
	v_dual_add_nc_u32 v25, 4, v21 :: v_dual_add_nc_u32 v24, 5, v21
	v_dual_add_nc_u32 v27, 6, v21 :: v_dual_add_nc_u32 v26, 7, v21
	v_lshl_add_u64 v[16:17], v[16:17], 1, v[12:13]
	global_load_b128 v[2:5], v[16:17], off
	s_wait_loadcnt 0x0
	v_dual_lshrrev_b32 v1, 16, v3 :: v_dual_bitop2_b32 v30, 3, v21 bitop3:0x54
	v_dual_lshrrev_b32 v18, 16, v2 :: v_dual_lshrrev_b32 v31, 16, v4
	s_and_saveexec_b32 s11, vcc_lo
	s_cbranch_execz .LBB84_42
; %bb.41:                               ;   in Loop: Header=BB84_40 Depth=1
	v_cmp_gt_i32_e64 s0, s21, v21
	v_and_b32_e32 v43, 0xffff, v5
	v_and_b32_e32 v5, 0xffff0000, v5
	s_delay_alu instid0(VALU_DEP_3) | instskip(SKIP_1) | instid1(VALU_DEP_1)
	v_cndmask_b32_e64 v2, 0, v2, s0
	v_cmp_gt_i32_e64 s0, s21, v29
	v_cndmask_b32_e64 v3, 0, v3, s0
	v_cmp_gt_i32_e64 s0, s10, v30
	s_delay_alu instid0(VALU_DEP_1) | instskip(SKIP_1) | instid1(VALU_DEP_1)
	v_cndmask_b32_e64 v1, 0, v1, s0
	v_cmp_gt_i32_e64 s0, s21, v28
	v_cndmask_b32_e64 v18, 0, v18, s0
	v_cmp_gt_i32_e64 s0, s21, v27
	s_delay_alu instid0(VALU_DEP_1) | instskip(SKIP_1) | instid1(VALU_DEP_1)
	;; [unrolled: 5-line block ×3, first 2 shown]
	v_dual_cndmask_b32 v4, 0, v4, s0 :: v_dual_bitop2_b32 v5, v43, v5 bitop3:0x54
	v_cmp_gt_i32_e64 s0, s21, v24
	v_cndmask_b32_e64 v31, 0, v31, s0
.LBB84_42:                              ;   in Loop: Header=BB84_40 Depth=1
	s_or_b32 exec_lo, exec_lo, s11
	v_and_b32_e32 v36, 0xffff, v36
	v_and_b32_e32 v41, 0xffff, v41
	v_dual_lshlrev_b32 v18, 16, v18 :: v_dual_lshlrev_b32 v1, 16, v1
	v_lshlrev_b32_e32 v31, 16, v31
	v_and_b32_e32 v42, 0xffff, v42
	v_lshl_or_b32 v36, v35, 16, v36
	v_lshl_or_b32 v35, v39, 16, v41
	v_and_b32_e32 v39, 0xffff, v40
	v_and_or_b32 v2, 0xffff, v2, v18
	v_and_or_b32 v1, 0xffff, v3, v1
	;; [unrolled: 1-line block ×3, first 2 shown]
	;;#ASMSTART
	v_pk_mul_f16 v2, v36, v2;

	;;#ASMEND
	;;#ASMSTART
	v_pk_mul_f16 v1, v35, v1;

	;;#ASMEND
	v_lshl_or_b32 v37, v37, 16, v42
	v_lshl_or_b32 v38, v38, 16, v39
	;;#ASMSTART
	v_pk_mul_f16 v3, v37, v3;

	;;#ASMEND
	;;#ASMSTART
	v_pk_mul_f16 v4, v38, v5;

	;;#ASMEND
	;;#ASMSTART
	v_pk_add_f16 v1, v2, v1;

	;;#ASMEND
	;;#ASMSTART
	v_pk_add_f16 v1, v1, v3;
	;; [unrolled: 4-line block ×3, first 2 shown]

	;;#ASMEND
	v_and_b32_e32 v2, 0xffff, v1
	v_lshrrev_b32_e32 v1, 16, v1
	;;#ASMSTART
	v_cvt_f32_f16 v39, v2;
	;;#ASMEND
	;;#ASMSTART
	v_cvt_f32_f16 v40, v1;
	;;#ASMEND
	global_load_b128 v[2:5], v[16:17], off offset:512
	s_wait_loadcnt 0x0
	v_dual_lshrrev_b32 v1, 16, v3 :: v_dual_lshrrev_b32 v18, 16, v2
	v_lshrrev_b32_e32 v31, 16, v4
	s_and_saveexec_b32 s11, vcc_lo
	s_cbranch_execz .LBB84_44
; %bb.43:                               ;   in Loop: Header=BB84_40 Depth=1
	v_cmp_gt_i32_e64 s0, s21, v21
	v_and_b32_e32 v41, 0xffff, v5
	v_and_b32_e32 v5, 0xffff0000, v5
	s_delay_alu instid0(VALU_DEP_3) | instskip(SKIP_1) | instid1(VALU_DEP_1)
	v_cndmask_b32_e64 v2, 0, v2, s0
	v_cmp_gt_i32_e64 s0, s21, v29
	v_cndmask_b32_e64 v3, 0, v3, s0
	v_cmp_gt_i32_e64 s0, s10, v30
	s_delay_alu instid0(VALU_DEP_1) | instskip(SKIP_1) | instid1(VALU_DEP_1)
	v_cndmask_b32_e64 v1, 0, v1, s0
	v_cmp_gt_i32_e64 s0, s21, v28
	v_cndmask_b32_e64 v18, 0, v18, s0
	v_cmp_gt_i32_e64 s0, s21, v27
	s_delay_alu instid0(VALU_DEP_1) | instskip(SKIP_1) | instid1(VALU_DEP_1)
	;; [unrolled: 5-line block ×3, first 2 shown]
	v_cndmask_b32_e64 v4, 0, v4, s0
	v_cmp_gt_i32_e64 s0, s21, v24
	v_dual_cndmask_b32 v31, 0, v31, s0 :: v_dual_bitop2_b32 v5, v41, v5 bitop3:0x54
.LBB84_44:                              ;   in Loop: Header=BB84_40 Depth=1
	s_or_b32 exec_lo, exec_lo, s11
	v_dual_lshlrev_b32 v18, 16, v18 :: v_dual_lshlrev_b32 v1, 16, v1
	s_delay_alu instid0(VALU_DEP_2) | instskip(NEXT) | instid1(VALU_DEP_2)
	v_lshlrev_b32_e32 v31, 16, v31
	v_and_or_b32 v2, 0xffff, v2, v18
	s_delay_alu instid0(VALU_DEP_3) | instskip(NEXT) | instid1(VALU_DEP_3)
	v_and_or_b32 v1, 0xffff, v3, v1
	v_and_or_b32 v3, 0xffff, v4, v31
	;;#ASMSTART
	v_pk_mul_f16 v2, v36, v2;

	;;#ASMEND
	;;#ASMSTART
	v_pk_mul_f16 v1, v35, v1;

	;;#ASMEND
	;; [unrolled: 4-line block ×4, first 2 shown]
	;;#ASMSTART
	v_pk_add_f16 v1, v2, v1;

	;;#ASMEND
	;;#ASMSTART
	v_pk_add_f16 v1, v1, v3;

	;;#ASMEND
	;; [unrolled: 4-line block ×3, first 2 shown]
	v_and_b32_e32 v2, 0xffff, v1
	v_lshrrev_b32_e32 v1, 16, v1
	;;#ASMSTART
	v_cvt_f32_f16 v41, v2;
	;;#ASMEND
	;;#ASMSTART
	v_cvt_f32_f16 v42, v1;
	;;#ASMEND
	global_load_b128 v[2:5], v[16:17], off offset:1024
	s_wait_loadcnt 0x0
	v_dual_lshrrev_b32 v1, 16, v3 :: v_dual_lshrrev_b32 v18, 16, v2
	v_lshrrev_b32_e32 v31, 16, v4
	s_and_saveexec_b32 s11, vcc_lo
	s_cbranch_execz .LBB84_46
; %bb.45:                               ;   in Loop: Header=BB84_40 Depth=1
	v_cmp_gt_i32_e64 s0, s21, v21
	v_and_b32_e32 v43, 0xffff, v5
	v_and_b32_e32 v5, 0xffff0000, v5
	s_delay_alu instid0(VALU_DEP_3) | instskip(SKIP_1) | instid1(VALU_DEP_1)
	v_cndmask_b32_e64 v2, 0, v2, s0
	v_cmp_gt_i32_e64 s0, s21, v29
	v_cndmask_b32_e64 v3, 0, v3, s0
	v_cmp_gt_i32_e64 s0, s10, v30
	s_delay_alu instid0(VALU_DEP_1) | instskip(SKIP_1) | instid1(VALU_DEP_1)
	v_cndmask_b32_e64 v1, 0, v1, s0
	v_cmp_gt_i32_e64 s0, s21, v28
	v_cndmask_b32_e64 v18, 0, v18, s0
	v_cmp_gt_i32_e64 s0, s21, v27
	s_delay_alu instid0(VALU_DEP_1) | instskip(SKIP_1) | instid1(VALU_DEP_1)
	;; [unrolled: 5-line block ×3, first 2 shown]
	v_dual_cndmask_b32 v4, 0, v4, s0 :: v_dual_bitop2_b32 v5, v43, v5 bitop3:0x54
	v_cmp_gt_i32_e64 s0, s21, v24
	v_cndmask_b32_e64 v31, 0, v31, s0
.LBB84_46:                              ;   in Loop: Header=BB84_40 Depth=1
	s_or_b32 exec_lo, exec_lo, s11
	v_dual_lshlrev_b32 v18, 16, v18 :: v_dual_lshlrev_b32 v1, 16, v1
	s_delay_alu instid0(VALU_DEP_2) | instskip(NEXT) | instid1(VALU_DEP_2)
	v_lshlrev_b32_e32 v31, 16, v31
	v_and_or_b32 v2, 0xffff, v2, v18
	s_delay_alu instid0(VALU_DEP_3) | instskip(NEXT) | instid1(VALU_DEP_3)
	v_and_or_b32 v1, 0xffff, v3, v1
	v_and_or_b32 v3, 0xffff, v4, v31
	;;#ASMSTART
	v_pk_mul_f16 v2, v36, v2;

	;;#ASMEND
	;;#ASMSTART
	v_pk_mul_f16 v1, v35, v1;

	;;#ASMEND
	;; [unrolled: 4-line block ×4, first 2 shown]
	;;#ASMSTART
	v_pk_add_f16 v1, v2, v1;

	;;#ASMEND
	;;#ASMSTART
	v_pk_add_f16 v1, v1, v3;

	;;#ASMEND
	;; [unrolled: 4-line block ×3, first 2 shown]
	v_and_b32_e32 v2, 0xffff, v1
	v_lshrrev_b32_e32 v1, 16, v1
	;;#ASMSTART
	v_cvt_f32_f16 v43, v2;
	;;#ASMEND
	;;#ASMSTART
	v_cvt_f32_f16 v44, v1;
	;;#ASMEND
	global_load_b128 v[2:5], v[16:17], off offset:1536
	s_wait_loadcnt 0x0
	v_dual_lshrrev_b32 v1, 16, v3 :: v_dual_lshrrev_b32 v18, 16, v2
	v_lshrrev_b32_e32 v31, 16, v4
	s_and_saveexec_b32 s11, vcc_lo
	s_cbranch_execz .LBB84_48
; %bb.47:                               ;   in Loop: Header=BB84_40 Depth=1
	v_cmp_gt_i32_e64 s0, s21, v21
	v_and_b32_e32 v45, 0xffff, v5
	v_and_b32_e32 v5, 0xffff0000, v5
	s_delay_alu instid0(VALU_DEP_3) | instskip(SKIP_1) | instid1(VALU_DEP_1)
	v_cndmask_b32_e64 v2, 0, v2, s0
	v_cmp_gt_i32_e64 s0, s21, v29
	v_cndmask_b32_e64 v3, 0, v3, s0
	v_cmp_gt_i32_e64 s0, s10, v30
	s_delay_alu instid0(VALU_DEP_1) | instskip(SKIP_1) | instid1(VALU_DEP_1)
	v_cndmask_b32_e64 v1, 0, v1, s0
	v_cmp_gt_i32_e64 s0, s21, v28
	v_cndmask_b32_e64 v18, 0, v18, s0
	v_cmp_gt_i32_e64 s0, s21, v27
	s_delay_alu instid0(VALU_DEP_1) | instskip(SKIP_1) | instid1(VALU_DEP_1)
	v_cndmask_b32_e64 v45, 0, v45, s0
	v_cmp_gt_i32_e64 s0, s21, v26
	v_cndmask_b32_e64 v5, 0, v5, s0
	v_cmp_gt_i32_e64 s0, s21, v25
	s_delay_alu instid0(VALU_DEP_1) | instskip(SKIP_1) | instid1(VALU_DEP_1)
	v_cndmask_b32_e64 v4, 0, v4, s0
	v_cmp_gt_i32_e64 s0, s21, v24
	v_dual_cndmask_b32 v31, 0, v31, s0 :: v_dual_bitop2_b32 v5, v45, v5 bitop3:0x54
.LBB84_48:                              ;   in Loop: Header=BB84_40 Depth=1
	s_or_b32 exec_lo, exec_lo, s11
	v_dual_lshlrev_b32 v18, 16, v18 :: v_dual_lshlrev_b32 v1, 16, v1
	s_delay_alu instid0(VALU_DEP_2) | instskip(NEXT) | instid1(VALU_DEP_2)
	v_lshlrev_b32_e32 v31, 16, v31
	v_and_or_b32 v2, 0xffff, v2, v18
	s_delay_alu instid0(VALU_DEP_3) | instskip(NEXT) | instid1(VALU_DEP_3)
	v_and_or_b32 v1, 0xffff, v3, v1
	v_and_or_b32 v3, 0xffff, v4, v31
	;;#ASMSTART
	v_pk_mul_f16 v2, v36, v2;

	;;#ASMEND
	;;#ASMSTART
	v_pk_mul_f16 v1, v35, v1;

	;;#ASMEND
	;; [unrolled: 4-line block ×4, first 2 shown]
	;;#ASMSTART
	v_pk_add_f16 v1, v2, v1;

	;;#ASMEND
	;;#ASMSTART
	v_pk_add_f16 v1, v1, v3;

	;;#ASMEND
	;; [unrolled: 4-line block ×3, first 2 shown]
	v_and_b32_e32 v2, 0xffff, v1
	v_lshrrev_b32_e32 v1, 16, v1
	;;#ASMSTART
	v_cvt_f32_f16 v45, v2;
	;;#ASMEND
	;;#ASMSTART
	v_cvt_f32_f16 v46, v1;
	;;#ASMEND
	global_load_b128 v[2:5], v[16:17], off offset:2048
	s_wait_loadcnt 0x0
	v_dual_lshrrev_b32 v1, 16, v3 :: v_dual_lshrrev_b32 v18, 16, v2
	v_lshrrev_b32_e32 v31, 16, v4
	s_and_saveexec_b32 s11, vcc_lo
	s_cbranch_execz .LBB84_50
; %bb.49:                               ;   in Loop: Header=BB84_40 Depth=1
	v_cmp_gt_i32_e64 s0, s21, v21
	v_and_b32_e32 v47, 0xffff, v5
	v_and_b32_e32 v5, 0xffff0000, v5
	s_delay_alu instid0(VALU_DEP_3) | instskip(SKIP_1) | instid1(VALU_DEP_1)
	v_cndmask_b32_e64 v2, 0, v2, s0
	v_cmp_gt_i32_e64 s0, s21, v29
	v_cndmask_b32_e64 v3, 0, v3, s0
	v_cmp_gt_i32_e64 s0, s10, v30
	s_delay_alu instid0(VALU_DEP_1) | instskip(SKIP_1) | instid1(VALU_DEP_1)
	v_cndmask_b32_e64 v1, 0, v1, s0
	v_cmp_gt_i32_e64 s0, s21, v28
	v_cndmask_b32_e64 v18, 0, v18, s0
	v_cmp_gt_i32_e64 s0, s21, v27
	s_delay_alu instid0(VALU_DEP_1) | instskip(SKIP_1) | instid1(VALU_DEP_1)
	;; [unrolled: 5-line block ×3, first 2 shown]
	v_dual_cndmask_b32 v4, 0, v4, s0 :: v_dual_bitop2_b32 v5, v47, v5 bitop3:0x54
	v_cmp_gt_i32_e64 s0, s21, v24
	v_cndmask_b32_e64 v31, 0, v31, s0
.LBB84_50:                              ;   in Loop: Header=BB84_40 Depth=1
	s_or_b32 exec_lo, exec_lo, s11
	v_dual_lshlrev_b32 v18, 16, v18 :: v_dual_lshlrev_b32 v1, 16, v1
	s_delay_alu instid0(VALU_DEP_2) | instskip(NEXT) | instid1(VALU_DEP_2)
	v_lshlrev_b32_e32 v31, 16, v31
	v_and_or_b32 v2, 0xffff, v2, v18
	s_delay_alu instid0(VALU_DEP_3) | instskip(NEXT) | instid1(VALU_DEP_3)
	v_and_or_b32 v1, 0xffff, v3, v1
	v_and_or_b32 v3, 0xffff, v4, v31
	;;#ASMSTART
	v_pk_mul_f16 v2, v36, v2;

	;;#ASMEND
	;;#ASMSTART
	v_pk_mul_f16 v1, v35, v1;

	;;#ASMEND
	;; [unrolled: 4-line block ×4, first 2 shown]
	;;#ASMSTART
	v_pk_add_f16 v1, v2, v1;

	;;#ASMEND
	;;#ASMSTART
	v_pk_add_f16 v1, v1, v3;

	;;#ASMEND
	;; [unrolled: 4-line block ×3, first 2 shown]
	v_and_b32_e32 v2, 0xffff, v1
	v_lshrrev_b32_e32 v1, 16, v1
	;;#ASMSTART
	v_cvt_f32_f16 v18, v2;
	;;#ASMEND
	;;#ASMSTART
	v_cvt_f32_f16 v31, v1;
	;;#ASMEND
	global_load_b128 v[2:5], v[16:17], off offset:2560
	s_wait_loadcnt 0x0
	v_dual_lshrrev_b32 v1, 16, v3 :: v_dual_lshrrev_b32 v16, 16, v2
	v_lshrrev_b32_e32 v17, 16, v4
	s_and_saveexec_b32 s0, vcc_lo
	s_cbranch_execz .LBB84_39
; %bb.51:                               ;   in Loop: Header=BB84_40 Depth=1
	v_cmp_gt_i32_e32 vcc_lo, s21, v21
	v_cndmask_b32_e32 v2, 0, v2, vcc_lo
	v_cmp_gt_i32_e32 vcc_lo, s21, v29
	v_and_b32_e32 v29, 0xffff, v5
	v_and_b32_e32 v5, 0xffff0000, v5
	v_cndmask_b32_e32 v3, 0, v3, vcc_lo
	v_cmp_gt_i32_e32 vcc_lo, s10, v30
	v_cndmask_b32_e32 v1, 0, v1, vcc_lo
	v_cmp_gt_i32_e32 vcc_lo, s21, v28
	;; [unrolled: 2-line block ×6, first 2 shown]
	s_delay_alu instid0(VALU_DEP_4)
	v_or_b32_e32 v5, v27, v5
	v_cndmask_b32_e32 v17, 0, v17, vcc_lo
	s_branch .LBB84_39
.LBB84_52:
	s_or_b32 exec_lo, exec_lo, s5
.LBB84_53:
	s_delay_alu instid0(SALU_CYCLE_1)
	s_or_b32 exec_lo, exec_lo, s1
	ds_bpermute_b32 v2, v20, v10
	ds_bpermute_b32 v3, v20, v11
	;; [unrolled: 1-line block ×4, first 2 shown]
	v_and_b32_e32 v16, 0x3c1, v0
	v_lshrrev_b32_e32 v1, 1, v19
	s_mov_b32 s0, exec_lo
	ds_bpermute_b32 v12, v20, v6
	ds_bpermute_b32 v13, v20, v7
	s_wait_dscnt 0x0
	s_barrier_signal -1
	s_barrier_wait -1
	v_pk_add_f32 v[4:5], v[10:11], v[2:3]
	v_pk_add_f32 v[2:3], v[8:9], v[14:15]
	v_cmpx_ne_u32_e32 64, v16
	s_xor_b32 s0, exec_lo, s0
	s_delay_alu instid0(SALU_CYCLE_1)
	s_or_saveexec_b32 s0, s0
	v_pk_add_f32 v[6:7], v[6:7], v[12:13]
	v_lshl_add_u32 v8, v1, 2, 0xe0
	v_mul_u32_u24_e32 v9, 0x180, v34
	s_xor_b32 exec_lo, exec_lo, s0
	s_cbranch_execz .LBB84_55
; %bb.54:
	s_delay_alu instid0(VALU_DEP_1) | instskip(NEXT) | instid1(VALU_DEP_1)
	v_add_nc_u32_e32 v10, v8, v9
	v_add_nc_u32_e32 v11, 0xfffffd00, v10
	;; [unrolled: 1-line block ×7, first 2 shown]
	ds_store_b32 v11, v4
	ds_store_b32 v12, v5
	ds_store_b32 v13, v2
	ds_store_b32 v14, v3
	ds_store_b32 v15, v6
	ds_store_b32 v10, v7
.LBB84_55:
	s_or_b32 exec_lo, exec_lo, s0
	v_lshlrev_b32_e32 v1, 2, v1
	s_mov_b32 s1, exec_lo
	v_cmp_eq_u32_e32 vcc_lo, 0, v33
	s_wait_dscnt 0x0
	s_barrier_signal -1
	v_add3_u32 v1, 0xe0, v9, v1
	s_barrier_wait -1
	v_cmpx_gt_u32_e32 64, v0
	s_cbranch_execz .LBB84_64
; %bb.56:
	s_and_saveexec_b32 s0, vcc_lo
	s_cbranch_execnz .LBB84_78
; %bb.57:
	s_or_b32 exec_lo, exec_lo, s0
	s_and_saveexec_b32 s0, vcc_lo
	s_cbranch_execnz .LBB84_79
.LBB84_58:
	s_or_b32 exec_lo, exec_lo, s0
	s_and_saveexec_b32 s0, vcc_lo
	s_cbranch_execnz .LBB84_80
.LBB84_59:
	s_or_b32 exec_lo, exec_lo, s0
	s_and_saveexec_b32 s0, vcc_lo
	s_cbranch_execnz .LBB84_81
.LBB84_60:
	s_or_b32 exec_lo, exec_lo, s0
	s_and_saveexec_b32 s0, vcc_lo
	s_cbranch_execnz .LBB84_82
.LBB84_61:
	s_or_b32 exec_lo, exec_lo, s0
	s_and_saveexec_b32 s0, vcc_lo
	s_cbranch_execz .LBB84_63
.LBB84_62:
	ds_load_b32 v9, v1 offset:320
	s_wait_dscnt 0x0
	v_add_f32_e32 v7, v7, v9
.LBB84_63:
	s_or_b32 exec_lo, exec_lo, s0
.LBB84_64:
	s_delay_alu instid0(SALU_CYCLE_1) | instskip(SKIP_4) | instid1(VALU_DEP_1)
	s_or_b32 exec_lo, exec_lo, s1
	v_and_b32_e32 v9, 0x3e1, v0
	s_mov_b32 s1, exec_lo
	s_barrier_signal -1
	s_barrier_wait -1
	v_cmpx_eq_u32_e32 32, v9
	s_cbranch_execz .LBB84_66
; %bb.65:
	ds_store_2addr_b32 v8, v4, v5 offset1:16
	ds_store_2addr_b32 v8, v2, v3 offset0:32 offset1:48
	ds_store_2addr_b32 v8, v6, v7 offset0:64 offset1:80
.LBB84_66:
	s_or_b32 exec_lo, exec_lo, s1
	s_delay_alu instid0(SALU_CYCLE_1)
	s_mov_b32 s1, exec_lo
	s_wait_dscnt 0x0
	s_barrier_signal -1
	s_barrier_wait -1
	v_cmpx_gt_u32_e32 32, v0
	s_cbranch_execz .LBB84_75
; %bb.67:
	s_and_saveexec_b32 s0, vcc_lo
	s_cbranch_execnz .LBB84_83
; %bb.68:
	s_or_b32 exec_lo, exec_lo, s0
	s_and_saveexec_b32 s0, vcc_lo
	s_cbranch_execnz .LBB84_84
.LBB84_69:
	s_or_b32 exec_lo, exec_lo, s0
	s_and_saveexec_b32 s0, vcc_lo
	s_cbranch_execnz .LBB84_85
.LBB84_70:
	s_or_b32 exec_lo, exec_lo, s0
	s_and_saveexec_b32 s0, vcc_lo
	s_cbranch_execnz .LBB84_86
.LBB84_71:
	s_or_b32 exec_lo, exec_lo, s0
	s_and_saveexec_b32 s0, vcc_lo
	s_cbranch_execnz .LBB84_87
.LBB84_72:
	s_or_b32 exec_lo, exec_lo, s0
	s_and_saveexec_b32 s0, vcc_lo
	s_cbranch_execz .LBB84_74
.LBB84_73:
	ds_load_b32 v0, v1 offset:320
	s_wait_dscnt 0x0
	v_add_f32_e32 v7, v7, v0
.LBB84_74:
	s_or_b32 exec_lo, exec_lo, s0
.LBB84_75:
	s_delay_alu instid0(SALU_CYCLE_1)
	s_or_b32 exec_lo, exec_lo, s1
	s_mov_b32 s1, 0
	s_barrier_signal -1
	s_barrier_wait -1
	s_mov_b32 s0, exec_lo
	v_cmpx_eq_u32_e32 0, v9
	s_cbranch_execz .LBB84_77
; %bb.76:
	s_wait_kmcnt 0x0
	s_mul_i32 s0, s20, s9
	s_mul_i32 s2, s9, s8
	;; [unrolled: 1-line block ×3, first 2 shown]
	s_lshr_b32 s8, ttmp7, 16
	s_mul_i32 s4, s0, 0x60
	s_bfe_u32 s0, ttmp6, 0x40014
	s_ashr_i32 s5, s4, 31
	s_add_co_i32 s0, s0, 1
	s_ashr_i32 s3, s2, 31
	s_mul_i32 s0, s8, s0
	s_bfe_u32 s9, ttmp6, 0x40008
	s_lshl_b64 s[4:5], s[4:5], 1
	s_lshl_b64 s[2:3], s[2:3], 1
	s_add_co_i32 s9, s9, s0
	s_cmp_eq_u32 s18, 0
	s_add_nc_u64 s[4:5], s[6:7], s[4:5]
	s_cselect_b32 s0, s8, s9
	s_add_nc_u64 s[2:3], s[4:5], s[2:3]
	s_mulk_i32 s0, 0xc0
	;;#ASMSTART
	v_cvt_f16_f32 v0, v4;

	;;#ASMEND
	s_add_nc_u64 s[0:1], s[2:3], s[0:1]
	global_store_b16 v32, v0, s[0:1] scale_offset
	s_wait_xcnt 0x0
	;;#ASMSTART
	v_cvt_f16_f32 v0, v5;

	;;#ASMEND
	global_store_b16 v32, v0, s[0:1] offset:32 scale_offset
	s_wait_xcnt 0x0
	;;#ASMSTART
	v_cvt_f16_f32 v0, v2;

	;;#ASMEND
	global_store_b16 v32, v0, s[0:1] offset:64 scale_offset
	;; [unrolled: 6-line block ×5, first 2 shown]
.LBB84_77:
	s_sendmsg sendmsg(MSG_DEALLOC_VGPRS)
	s_endpgm
.LBB84_78:
	ds_load_b32 v9, v1
	s_wait_dscnt 0x0
	v_add_f32_e32 v4, v4, v9
	s_or_b32 exec_lo, exec_lo, s0
	s_and_saveexec_b32 s0, vcc_lo
	s_cbranch_execz .LBB84_58
.LBB84_79:
	ds_load_b32 v9, v1 offset:64
	s_wait_dscnt 0x0
	v_add_f32_e32 v5, v5, v9
	s_or_b32 exec_lo, exec_lo, s0
	s_and_saveexec_b32 s0, vcc_lo
	s_cbranch_execz .LBB84_59
.LBB84_80:
	ds_load_b32 v9, v1 offset:128
	s_wait_dscnt 0x0
	v_add_f32_e32 v2, v2, v9
	s_or_b32 exec_lo, exec_lo, s0
	s_and_saveexec_b32 s0, vcc_lo
	s_cbranch_execz .LBB84_60
.LBB84_81:
	ds_load_b32 v9, v1 offset:192
	s_wait_dscnt 0x0
	v_add_f32_e32 v3, v3, v9
	s_or_b32 exec_lo, exec_lo, s0
	s_and_saveexec_b32 s0, vcc_lo
	s_cbranch_execz .LBB84_61
.LBB84_82:
	ds_load_b32 v9, v1 offset:256
	s_wait_dscnt 0x0
	v_add_f32_e32 v6, v6, v9
	s_or_b32 exec_lo, exec_lo, s0
	s_and_saveexec_b32 s0, vcc_lo
	s_cbranch_execnz .LBB84_62
	s_branch .LBB84_63
.LBB84_83:
	ds_load_b32 v0, v1
	s_wait_dscnt 0x0
	v_add_f32_e32 v4, v4, v0
	s_or_b32 exec_lo, exec_lo, s0
	s_and_saveexec_b32 s0, vcc_lo
	s_cbranch_execz .LBB84_69
.LBB84_84:
	ds_load_b32 v0, v1 offset:64
	s_wait_dscnt 0x0
	v_add_f32_e32 v5, v5, v0
	s_or_b32 exec_lo, exec_lo, s0
	s_and_saveexec_b32 s0, vcc_lo
	s_cbranch_execz .LBB84_70
.LBB84_85:
	ds_load_b32 v0, v1 offset:128
	s_wait_dscnt 0x0
	v_add_f32_e32 v2, v2, v0
	s_or_b32 exec_lo, exec_lo, s0
	s_and_saveexec_b32 s0, vcc_lo
	s_cbranch_execz .LBB84_71
.LBB84_86:
	ds_load_b32 v0, v1 offset:192
	s_wait_dscnt 0x0
	v_add_f32_e32 v3, v3, v0
	s_or_b32 exec_lo, exec_lo, s0
	s_and_saveexec_b32 s0, vcc_lo
	s_cbranch_execz .LBB84_72
.LBB84_87:
	ds_load_b32 v0, v1 offset:256
	s_wait_dscnt 0x0
	v_add_f32_e32 v6, v6, v0
	s_or_b32 exec_lo, exec_lo, s0
	s_and_saveexec_b32 s0, vcc_lo
	s_cbranch_execnz .LBB84_73
	s_branch .LBB84_74
	.section	.rodata,"a",@progbits
	.p2align	6, 0x0
	.amdhsa_kernel _ZN4vllm25paged_attention_v1_kernelIttLi96ELi16ELi128ELNS_18Fp8KVCacheDataTypeE0ELb0EEEvPT_PKS2_PKT0_S8_ifPKiSA_iPKfiiiSC_SC_iiiii
		.amdhsa_group_segment_fixed_size 224
		.amdhsa_private_segment_fixed_size 0
		.amdhsa_kernarg_size 384
		.amdhsa_user_sgpr_count 2
		.amdhsa_user_sgpr_dispatch_ptr 0
		.amdhsa_user_sgpr_queue_ptr 0
		.amdhsa_user_sgpr_kernarg_segment_ptr 1
		.amdhsa_user_sgpr_dispatch_id 0
		.amdhsa_user_sgpr_kernarg_preload_length 0
		.amdhsa_user_sgpr_kernarg_preload_offset 0
		.amdhsa_user_sgpr_private_segment_size 0
		.amdhsa_wavefront_size32 1
		.amdhsa_uses_dynamic_stack 0
		.amdhsa_enable_private_segment 0
		.amdhsa_system_sgpr_workgroup_id_x 1
		.amdhsa_system_sgpr_workgroup_id_y 1
		.amdhsa_system_sgpr_workgroup_id_z 1
		.amdhsa_system_sgpr_workgroup_info 0
		.amdhsa_system_vgpr_workitem_id 0
		.amdhsa_next_free_vgpr 90
		.amdhsa_next_free_sgpr 30
		.amdhsa_named_barrier_count 0
		.amdhsa_reserve_vcc 1
		.amdhsa_float_round_mode_32 0
		.amdhsa_float_round_mode_16_64 0
		.amdhsa_float_denorm_mode_32 3
		.amdhsa_float_denorm_mode_16_64 3
		.amdhsa_fp16_overflow 0
		.amdhsa_memory_ordered 1
		.amdhsa_forward_progress 1
		.amdhsa_inst_pref_size 55
		.amdhsa_round_robin_scheduling 0
		.amdhsa_exception_fp_ieee_invalid_op 0
		.amdhsa_exception_fp_denorm_src 0
		.amdhsa_exception_fp_ieee_div_zero 0
		.amdhsa_exception_fp_ieee_overflow 0
		.amdhsa_exception_fp_ieee_underflow 0
		.amdhsa_exception_fp_ieee_inexact 0
		.amdhsa_exception_int_div_zero 0
	.end_amdhsa_kernel
	.section	.text._ZN4vllm25paged_attention_v1_kernelIttLi96ELi16ELi128ELNS_18Fp8KVCacheDataTypeE0ELb0EEEvPT_PKS2_PKT0_S8_ifPKiSA_iPKfiiiSC_SC_iiiii,"axG",@progbits,_ZN4vllm25paged_attention_v1_kernelIttLi96ELi16ELi128ELNS_18Fp8KVCacheDataTypeE0ELb0EEEvPT_PKS2_PKT0_S8_ifPKiSA_iPKfiiiSC_SC_iiiii,comdat
.Lfunc_end84:
	.size	_ZN4vllm25paged_attention_v1_kernelIttLi96ELi16ELi128ELNS_18Fp8KVCacheDataTypeE0ELb0EEEvPT_PKS2_PKT0_S8_ifPKiSA_iPKfiiiSC_SC_iiiii, .Lfunc_end84-_ZN4vllm25paged_attention_v1_kernelIttLi96ELi16ELi128ELNS_18Fp8KVCacheDataTypeE0ELb0EEEvPT_PKS2_PKT0_S8_ifPKiSA_iPKfiiiSC_SC_iiiii
                                        ; -- End function
	.set _ZN4vllm25paged_attention_v1_kernelIttLi96ELi16ELi128ELNS_18Fp8KVCacheDataTypeE0ELb0EEEvPT_PKS2_PKT0_S8_ifPKiSA_iPKfiiiSC_SC_iiiii.num_vgpr, 90
	.set _ZN4vllm25paged_attention_v1_kernelIttLi96ELi16ELi128ELNS_18Fp8KVCacheDataTypeE0ELb0EEEvPT_PKS2_PKT0_S8_ifPKiSA_iPKfiiiSC_SC_iiiii.num_agpr, 0
	.set _ZN4vllm25paged_attention_v1_kernelIttLi96ELi16ELi128ELNS_18Fp8KVCacheDataTypeE0ELb0EEEvPT_PKS2_PKT0_S8_ifPKiSA_iPKfiiiSC_SC_iiiii.numbered_sgpr, 30
	.set _ZN4vllm25paged_attention_v1_kernelIttLi96ELi16ELi128ELNS_18Fp8KVCacheDataTypeE0ELb0EEEvPT_PKS2_PKT0_S8_ifPKiSA_iPKfiiiSC_SC_iiiii.num_named_barrier, 0
	.set _ZN4vllm25paged_attention_v1_kernelIttLi96ELi16ELi128ELNS_18Fp8KVCacheDataTypeE0ELb0EEEvPT_PKS2_PKT0_S8_ifPKiSA_iPKfiiiSC_SC_iiiii.private_seg_size, 0
	.set _ZN4vllm25paged_attention_v1_kernelIttLi96ELi16ELi128ELNS_18Fp8KVCacheDataTypeE0ELb0EEEvPT_PKS2_PKT0_S8_ifPKiSA_iPKfiiiSC_SC_iiiii.uses_vcc, 1
	.set _ZN4vllm25paged_attention_v1_kernelIttLi96ELi16ELi128ELNS_18Fp8KVCacheDataTypeE0ELb0EEEvPT_PKS2_PKT0_S8_ifPKiSA_iPKfiiiSC_SC_iiiii.uses_flat_scratch, 0
	.set _ZN4vllm25paged_attention_v1_kernelIttLi96ELi16ELi128ELNS_18Fp8KVCacheDataTypeE0ELb0EEEvPT_PKS2_PKT0_S8_ifPKiSA_iPKfiiiSC_SC_iiiii.has_dyn_sized_stack, 0
	.set _ZN4vllm25paged_attention_v1_kernelIttLi96ELi16ELi128ELNS_18Fp8KVCacheDataTypeE0ELb0EEEvPT_PKS2_PKT0_S8_ifPKiSA_iPKfiiiSC_SC_iiiii.has_recursion, 0
	.set _ZN4vllm25paged_attention_v1_kernelIttLi96ELi16ELi128ELNS_18Fp8KVCacheDataTypeE0ELb0EEEvPT_PKS2_PKT0_S8_ifPKiSA_iPKfiiiSC_SC_iiiii.has_indirect_call, 0
	.section	.AMDGPU.csdata,"",@progbits
; Kernel info:
; codeLenInByte = 6968
; TotalNumSgprs: 32
; NumVgprs: 90
; ScratchSize: 0
; MemoryBound: 0
; FloatMode: 240
; IeeeMode: 1
; LDSByteSize: 224 bytes/workgroup (compile time only)
; SGPRBlocks: 0
; VGPRBlocks: 5
; NumSGPRsForWavesPerEU: 32
; NumVGPRsForWavesPerEU: 90
; NamedBarCnt: 0
; Occupancy: 10
; WaveLimiterHint : 1
; COMPUTE_PGM_RSRC2:SCRATCH_EN: 0
; COMPUTE_PGM_RSRC2:USER_SGPR: 2
; COMPUTE_PGM_RSRC2:TRAP_HANDLER: 0
; COMPUTE_PGM_RSRC2:TGID_X_EN: 1
; COMPUTE_PGM_RSRC2:TGID_Y_EN: 1
; COMPUTE_PGM_RSRC2:TGID_Z_EN: 1
; COMPUTE_PGM_RSRC2:TIDIG_COMP_CNT: 0
	.section	.text._ZN4vllm25paged_attention_v1_kernelIttLi112ELi16ELi128ELNS_18Fp8KVCacheDataTypeE0ELb0EEEvPT_PKS2_PKT0_S8_ifPKiSA_iPKfiiiSC_SC_iiiii,"axG",@progbits,_ZN4vllm25paged_attention_v1_kernelIttLi112ELi16ELi128ELNS_18Fp8KVCacheDataTypeE0ELb0EEEvPT_PKS2_PKT0_S8_ifPKiSA_iPKfiiiSC_SC_iiiii,comdat
	.protected	_ZN4vllm25paged_attention_v1_kernelIttLi112ELi16ELi128ELNS_18Fp8KVCacheDataTypeE0ELb0EEEvPT_PKS2_PKT0_S8_ifPKiSA_iPKfiiiSC_SC_iiiii ; -- Begin function _ZN4vllm25paged_attention_v1_kernelIttLi112ELi16ELi128ELNS_18Fp8KVCacheDataTypeE0ELb0EEEvPT_PKS2_PKT0_S8_ifPKiSA_iPKfiiiSC_SC_iiiii
	.globl	_ZN4vllm25paged_attention_v1_kernelIttLi112ELi16ELi128ELNS_18Fp8KVCacheDataTypeE0ELb0EEEvPT_PKS2_PKT0_S8_ifPKiSA_iPKfiiiSC_SC_iiiii
	.p2align	8
	.type	_ZN4vllm25paged_attention_v1_kernelIttLi112ELi16ELi128ELNS_18Fp8KVCacheDataTypeE0ELb0EEEvPT_PKS2_PKT0_S8_ifPKiSA_iPKfiiiSC_SC_iiiii,@function
_ZN4vllm25paged_attention_v1_kernelIttLi112ELi16ELi128ELNS_18Fp8KVCacheDataTypeE0ELb0EEEvPT_PKS2_PKT0_S8_ifPKiSA_iPKfiiiSC_SC_iiiii: ; @_ZN4vllm25paged_attention_v1_kernelIttLi112ELi16ELi128ELNS_18Fp8KVCacheDataTypeE0ELb0EEEvPT_PKS2_PKT0_S8_ifPKiSA_iPKfiiiSC_SC_iiiii
; %bb.0:
	s_load_b64 s[6:7], s[0:1], 0x20
	s_bfe_u32 s3, ttmp6, 0x4000c
	s_bfe_u32 s5, ttmp6, 0x40010
	s_and_b32 s4, ttmp7, 0xffff
	s_add_co_i32 s3, s3, 1
	s_add_co_i32 s5, s5, 1
	s_and_b32 s2, ttmp6, 15
	s_bfe_u32 s8, ttmp6, 0x40004
	s_mul_i32 s3, ttmp9, s3
	s_mul_i32 s5, s4, s5
	s_getreg_b32 s18, hwreg(HW_REG_IB_STS2, 6, 4)
	s_add_co_i32 s2, s2, s3
	s_add_co_i32 s8, s8, s5
	s_cmp_eq_u32 s18, 0
	s_clause 0x1
	s_load_b32 s19, s[0:1], 0x80
	s_load_b64 s[10:11], s[0:1], 0x30
	s_cselect_b32 s20, s4, s8
	s_cselect_b32 s8, ttmp9, s2
	s_wait_kmcnt 0x0
	s_abs_i32 s2, s6
	s_delay_alu instid0(SALU_CYCLE_1) | instskip(SKIP_1) | instid1(SALU_CYCLE_2)
	s_cvt_f32_u32 s3, s2
	s_sub_co_i32 s4, 0, s2
	v_rcp_iflag_f32_e32 v1, s3
	s_abs_i32 s5, s19
	v_nop
	s_delay_alu instid0(TRANS32_DEP_1) | instskip(SKIP_1) | instid1(SALU_CYCLE_3)
	v_readfirstlane_b32 s3, v1
	s_mul_f32 s3, s3, 0x4f7ffffe
	s_cvt_u32_f32 s3, s3
	s_delay_alu instid0(SALU_CYCLE_3) | instskip(NEXT) | instid1(SALU_CYCLE_1)
	s_mul_i32 s4, s4, s3
	s_mul_hi_u32 s4, s3, s4
	s_delay_alu instid0(SALU_CYCLE_1) | instskip(SKIP_4) | instid1(SALU_CYCLE_1)
	s_add_co_i32 s3, s3, s4
	s_xor_b32 s4, s19, s6
	s_mul_hi_u32 s3, s5, s3
	s_ashr_i32 s4, s4, 31
	s_mul_i32 s6, s3, s2
	s_sub_co_i32 s5, s5, s6
	s_add_co_i32 s6, s3, 1
	s_sub_co_i32 s9, s5, s2
	s_cmp_ge_u32 s5, s2
	s_cselect_b32 s3, s6, s3
	s_cselect_b32 s5, s9, s5
	s_add_co_i32 s6, s3, 1
	s_cmp_ge_u32 s5, s2
	s_cselect_b32 s2, s6, s3
	s_mov_b32 s3, 0
	s_xor_b32 s2, s2, s4
	s_mov_b32 s13, s3
	s_sub_co_i32 s15, s2, s4
	s_load_b64 s[4:5], s[0:1], 0x40
	s_abs_i32 s14, s15
	s_mov_b32 s23, s3
	s_cvt_f32_u32 s2, s14
	s_delay_alu instid0(SALU_CYCLE_3) | instskip(SKIP_1) | instid1(TRANS32_DEP_1)
	v_rcp_iflag_f32_e32 v1, s2
	v_nop
	v_readfirstlane_b32 s2, v1
	s_mul_f32 s2, s2, 0x4f7ffffe
	s_delay_alu instid0(SALU_CYCLE_3) | instskip(SKIP_1) | instid1(SALU_CYCLE_2)
	s_cvt_u32_f32 s6, s2
	s_sub_co_i32 s2, 0, s14
	s_mul_i32 s2, s2, s6
	s_delay_alu instid0(SALU_CYCLE_1)
	s_mul_hi_u32 s9, s6, s2
	s_abs_i32 s2, s8
	s_add_co_i32 s12, s6, s9
	s_wait_kmcnt 0x0
	s_cmp_eq_u64 s[4:5], 0
	s_cbranch_scc1 .LBB85_2
; %bb.1:
	s_ashr_i32 s9, s8, 31
	s_delay_alu instid0(SALU_CYCLE_1) | instskip(NEXT) | instid1(SALU_CYCLE_1)
	s_lshl_b64 s[16:17], s[8:9], 2
	s_add_nc_u64 s[4:5], s[4:5], s[16:17]
	s_load_b32 s23, s[4:5], 0x0
.LBB85_2:
	s_load_b32 s21, s[10:11], s20 offset:0x0 scale_offset
	s_wait_xcnt 0x0
	s_load_b96 s[4:6], s[0:1], 0x48
	v_dual_lshrrev_b32 v36, 1, v0 :: v_dual_bitop2_b32 v37, 1, v0 bitop3:0x40
	s_ashr_i32 s16, s8, 31
	s_ashr_i32 s15, s15, 31
	s_mul_u64 s[10:11], s[2:3], s[12:13]
	s_mulk_i32 s8, 0x70
	s_mov_b32 s3, exec_lo
	v_cmpx_gt_u32_e32 28, v0
	s_cbranch_execz .LBB85_4
; %bb.3:
	s_load_b64 s[12:13], s[0:1], 0x8
	s_wait_kmcnt 0x0
	s_mul_i32 s24, s4, s20
	s_ashr_i32 s9, s8, 31
	s_ashr_i32 s25, s24, 31
	v_lshlrev_b32_e32 v1, 3, v36
	s_lshl_b64 s[24:25], s[24:25], 1
	s_delay_alu instid0(VALU_DEP_1) | instskip(SKIP_2) | instid1(SALU_CYCLE_1)
	v_mad_u32_u24 v1, 0x70, v37, v1
	s_add_nc_u64 s[12:13], s[12:13], s[24:25]
	s_lshl_b64 s[24:25], s[8:9], 1
	s_add_nc_u64 s[12:13], s[12:13], s[24:25]
	global_load_b64 v[2:3], v0, s[12:13] scale_offset
	s_wait_loadcnt 0x0
	ds_store_b64 v1, v[2:3]
.LBB85_4:
	s_or_b32 exec_lo, exec_lo, s3
	s_wait_kmcnt 0x0
	s_add_co_i32 s3, s21, 15
	s_load_b32 s4, s[0:1], 0x38
	s_ashr_i32 s9, s3, 31
	s_mul_i32 s12, s11, s14
	s_lshr_b32 s9, s9, 28
	s_sub_co_i32 s2, s2, s12
	s_add_co_i32 s3, s3, s9
	s_xor_b32 s10, s16, s15
	s_ashr_i32 s22, s3, 4
	s_add_co_i32 s3, s11, 1
	s_sub_co_i32 s9, s2, s14
	s_cmp_ge_u32 s2, s14
	v_lshrrev_b32_e32 v38, 5, v0
	s_cselect_b32 s3, s3, s11
	s_cselect_b32 s2, s9, s2
	s_add_co_i32 s9, s3, 1
	s_cmp_ge_u32 s2, s14
	v_mbcnt_lo_u32_b32 v40, -1, 0
	s_cselect_b32 s2, s9, s3
	s_wait_dscnt 0x0
	s_xor_b32 s2, s2, s10
	s_barrier_signal -1
	s_sub_co_i32 s3, s2, s10
	v_cmp_gt_i32_e64 s2, s22, v38
	s_wait_kmcnt 0x0
	s_mul_i32 s10, s4, s20
	s_mov_b32 s4, exec_lo
	s_ashr_i32 s11, s10, 31
	s_barrier_wait -1
                                        ; implicit-def: $vgpr3
                                        ; implicit-def: $vgpr2
	v_cmpx_le_i32_e64 s22, v38
	s_xor_b32 s4, exec_lo, s4
; %bb.5:
	v_dual_mov_b32 v3, 0 :: v_dual_mov_b32 v2, 32
	v_mbcnt_lo_u32_b32 v40, -1, 0
; %bb.6:
	s_or_saveexec_b32 s24, s4
	s_clause 0x1
	s_load_b64 s[12:13], s[0:1], 0x28
	s_load_b32 s9, s[0:1], 0x88
	v_mov_b32_e32 v41, 0xff7fffff
	v_dual_lshlrev_b32 v39, 3, v0 :: v_dual_lshrrev_b32 v1, 3, v0
	s_mul_i32 s14, s3, s6
	s_xor_b32 exec_lo, exec_lo, s24
	s_cbranch_execz .LBB85_12
; %bb.7:
	s_load_b64 s[26:27], s[0:1], 0x10
	v_bfe_u32 v6, v0, 1, 4
	s_ashr_i32 s15, s14, 31
	v_mov_b32_e32 v3, 0
	s_lshl_b64 s[28:29], s[14:15], 1
	s_ashr_i32 s17, s5, 31
	v_dual_lshlrev_b32 v2, 4, v6 :: v_dual_lshlrev_b32 v7, 2, v6
	s_cmp_neq_f32 s23, 0
	v_lshl_or_b32 v43, v38, 4, v6
	v_mul_u32_u24_e32 v42, 0x70, v37
	v_mov_b32_e32 v41, 0xff7fffff
	s_cselect_b32 s3, -1, 0
	v_dual_mov_b32 v46, v38 :: v_dual_bitop2_b32 v45, 1, v40 bitop3:0x14
	s_mov_b32 s16, s5
	s_mov_b32 s6, 0
	s_sub_co_i32 s15, 1, s21
	v_cmp_eq_u32_e32 vcc_lo, 0, v37
	s_wait_kmcnt 0x0
	s_add_nc_u64 s[26:27], s[26:27], s[28:29]
	s_delay_alu instid0(SALU_CYCLE_1) | instskip(SKIP_3) | instid1(SALU_CYCLE_1)
	v_add_nc_u64_e32 v[4:5], s[26:27], v[2:3]
	v_and_b32_e32 v2, 8, v39
	v_lshl_or_b32 v7, v38, 6, v7
	s_lshl_b64 s[26:27], s[10:11], 2
	s_add_nc_u64 s[26:27], s[12:13], s[26:27]
	s_delay_alu instid0(VALU_DEP_1) | instskip(NEXT) | instid1(VALU_DEP_4)
	v_add_nc_u32_e32 v44, 0x100, v7
	v_add_nc_u64_e32 v[4:5], v[4:5], v[2:3]
	v_and_b32_e32 v2, 0x7c, v1
	s_delay_alu instid0(VALU_DEP_1)
	v_add_nc_u64_e32 v[6:7], s[26:27], v[2:3]
	v_mov_b32_e32 v2, 32
	s_branch .LBB85_9
.LBB85_8:                               ;   in Loop: Header=BB85_9 Depth=1
	s_or_b32 exec_lo, exec_lo, s25
	v_dual_add_nc_u32 v46, 4, v46 :: v_dual_add_nc_u32 v43, 64, v43
	v_add_nc_u64_e32 v[6:7], 16, v[6:7]
	v_add_nc_u32_e32 v44, 0x100, v44
	s_delay_alu instid0(VALU_DEP_3) | instskip(SKIP_1) | instid1(SALU_CYCLE_1)
	v_cmp_le_i32_e64 s4, s22, v46
	s_or_b32 s6, s4, s6
	s_and_not1_b32 exec_lo, exec_lo, s6
	s_cbranch_execz .LBB85_11
.LBB85_9:                               ; =>This Inner Loop Header: Depth=1
	global_load_b32 v8, v[6:7], off
	v_cmp_gt_i32_e64 s4, 32, v45
	s_wait_loadcnt_dscnt 0x0
	v_ashrrev_i32_e32 v9, 31, v8
	s_delay_alu instid0(VALU_DEP_1) | instskip(NEXT) | instid1(VALU_DEP_1)
	v_mul_u64_e32 v[8:9], s[16:17], v[8:9]
	v_lshl_add_u64 v[32:33], v[8:9], 1, v[4:5]
	s_clause 0x9
	global_load_b64 v[50:51], v[32:33], off
	global_load_b64 v[34:35], v[32:33], off offset:256
	global_load_b64 v[30:31], v[32:33], off offset:512
	;; [unrolled: 1-line block ×9, first 2 shown]
	ds_load_b64 v[8:9], v42
	s_wait_dscnt 0x0
	v_and_b32_e32 v47, 0xffff, v8
	v_dual_lshrrev_b32 v48, 16, v8 :: v_dual_lshrrev_b32 v52, 16, v9
	v_and_b32_e32 v55, 0xffff, v9
	s_clause 0x3
	global_load_b64 v[16:17], v[32:33], off offset:2560
	global_load_b64 v[12:13], v[32:33], off offset:2816
	;; [unrolled: 1-line block ×4, first 2 shown]
	;;#ASMSTART
	v_cvt_f32_f16 v53, v47;
	;;#ASMEND
	;;#ASMSTART
	v_cvt_f32_f16 v49, v48;
	;;#ASMEND
	s_wait_loadcnt 0xd
	s_wait_xcnt 0x0
	v_and_b32_e32 v32, 0xffff, v50
	v_dual_lshrrev_b32 v33, 16, v50 :: v_dual_lshrrev_b32 v48, 16, v51
	s_wait_loadcnt 0xc
	v_lshrrev_b32_e32 v57, 16, v34
	v_and_b32_e32 v56, 0xffff, v51
	;;#ASMSTART
	v_cvt_f32_f16 v54, v32;
	;;#ASMEND
	;;#ASMSTART
	v_cvt_f32_f16 v51, v33;
	;;#ASMEND
	;; [unrolled: 3-line block ×6, first 2 shown]
	ds_load_b64 v[32:33], v42 offset:8
	v_and_b32_e32 v34, 0xffff, v34
	v_lshrrev_b32_e32 v55, 16, v35
	v_and_b32_e32 v58, 0xffff, v35
	s_wait_loadcnt 0x7
	v_dual_lshrrev_b32 v80, 16, v25 :: v_dual_lshrrev_b32 v81, 16, v22
	s_wait_loadcnt 0x6
	v_dual_lshrrev_b32 v83, 16, v23 :: v_dual_lshrrev_b32 v85, 16, v20
	v_and_b32_e32 v86, 0xffff, v20
	v_and_b32_e32 v88, 0xffff, v21
	;; [unrolled: 1-line block ×5, first 2 shown]
	v_lshrrev_b32_e32 v67, 16, v28
	v_and_b32_e32 v28, 0xffff, v28
	v_lshrrev_b32_e32 v73, 16, v26
	v_and_b32_e32 v26, 0xffff, v26
	;; [unrolled: 2-line block ×3, first 2 shown]
	s_wait_dscnt 0x0
	v_and_b32_e32 v56, 0xffff, v32
	v_lshrrev_b32_e32 v32, 16, v32
	v_and_b32_e32 v59, 0xffff, v33
	v_lshrrev_b32_e32 v60, 16, v33
	;;#ASMSTART
	v_cvt_f32_f16 v35, v56;
	;;#ASMEND
	;;#ASMSTART
	v_cvt_f32_f16 v33, v32;
	;;#ASMEND
	;; [unrolled: 3-line block ×5, first 2 shown]
	v_lshrrev_b32_e32 v59, 16, v30
	;;#ASMSTART
	v_cvt_f32_f16 v32, v60;
	;;#ASMEND
	;;#ASMSTART
	v_cvt_f32_f16 v58, v58;
	;;#ASMEND
	;; [unrolled: 3-line block ×3, first 2 shown]
	ds_load_b64 v[60:61], v42 offset:16
	v_and_b32_e32 v30, 0xffff, v30
	v_lshrrev_b32_e32 v62, 16, v31
	v_and_b32_e32 v31, 0xffff, v31
	s_wait_dscnt 0x0
	v_and_b32_e32 v63, 0xffff, v60
	v_lshrrev_b32_e32 v60, 16, v60
	v_and_b32_e32 v64, 0xffff, v61
	v_lshrrev_b32_e32 v61, 16, v61
	;;#ASMSTART
	v_cvt_f32_f16 v63, v63;
	;;#ASMEND
	;;#ASMSTART
	v_cvt_f32_f16 v60, v60;
	;;#ASMEND
	;; [unrolled: 3-line block ×8, first 2 shown]
	ds_load_b64 v[30:31], v42 offset:24
	v_lshrrev_b32_e32 v68, 16, v29
	v_and_b32_e32 v29, 0xffff, v29
	s_wait_dscnt 0x0
	v_and_b32_e32 v69, 0xffff, v30
	v_lshrrev_b32_e32 v30, 16, v30
	v_and_b32_e32 v70, 0xffff, v31
	v_lshrrev_b32_e32 v31, 16, v31
	;;#ASMSTART
	v_cvt_f32_f16 v69, v69;
	;;#ASMEND
	;;#ASMSTART
	v_cvt_f32_f16 v30, v30;
	;;#ASMEND
	;;#ASMSTART
	v_cvt_f32_f16 v71, v28;
	;;#ASMEND
	;;#ASMSTART
	v_cvt_f32_f16 v67, v67;
	;;#ASMEND
	;;#ASMSTART
	v_cvt_f32_f16 v70, v70;
	;;#ASMEND
	;;#ASMSTART
	v_cvt_f32_f16 v31, v31;
	;;#ASMEND
	;;#ASMSTART
	v_cvt_f32_f16 v72, v29;
	;;#ASMEND
	;;#ASMSTART
	v_cvt_f32_f16 v68, v68;
	;;#ASMEND
	ds_load_b64 v[28:29], v42 offset:32
	v_lshrrev_b32_e32 v74, 16, v27
	v_and_b32_e32 v27, 0xffff, v27
	s_wait_dscnt 0x0
	v_and_b32_e32 v75, 0xffff, v28
	v_dual_lshrrev_b32 v28, 16, v28 :: v_dual_lshrrev_b32 v76, 16, v29
	v_and_b32_e32 v29, 0xffff, v29
	;;#ASMSTART
	v_cvt_f32_f16 v75, v75;
	;;#ASMEND
	;;#ASMSTART
	v_cvt_f32_f16 v28, v28;
	;;#ASMEND
	;; [unrolled: 3-line block ×8, first 2 shown]
	ds_load_b64 v[26:27], v42 offset:40
	v_dual_mul_f32 v22, v35, v56 :: v_dual_lshrrev_b32 v87, 16, v21
	s_wait_dscnt 0x0
	v_lshrrev_b32_e32 v23, 16, v27
	v_and_b32_e32 v20, 0xffff, v26
	v_lshrrev_b32_e32 v21, 16, v26
	v_and_b32_e32 v26, 0xffff, v27
	;;#ASMSTART
	v_cvt_f32_f16 v27, v20;
	;;#ASMEND
	;;#ASMSTART
	v_cvt_f32_f16 v35, v21;
	;;#ASMEND
	;; [unrolled: 3-line block ×8, first 2 shown]
	ds_load_b64 v[20:21], v42 offset:48
	v_mul_f32_e32 v23, v33, v34
	v_mul_f32_e32 v24, v57, v58
	v_fmac_f32_e32 v22, v53, v54
	s_wait_dscnt 0x0
	v_and_b32_e32 v25, 0xffff, v20
	v_dual_lshrrev_b32 v20, 16, v20 :: v_dual_lshrrev_b32 v33, 16, v21
	v_and_b32_e32 v21, 0xffff, v21
	;;#ASMSTART
	v_cvt_f32_f16 v34, v25;
	;;#ASMEND
	;;#ASMSTART
	v_cvt_f32_f16 v53, v20;
	;;#ASMEND
	;; [unrolled: 3-line block ×8, first 2 shown]
	ds_load_b64 v[20:21], v42 offset:56
	v_dual_fmac_f32 v23, v49, v51 :: v_dual_fmac_f32 v24, v50, v52
	s_delay_alu instid0(VALU_DEP_1) | instskip(SKIP_1) | instid1(VALU_DEP_2)
	v_fmac_f32_e32 v23, v60, v59
	s_wait_loadcnt 0x4
	v_dual_fmac_f32 v24, v64, v66 :: v_dual_lshrrev_b32 v64, 16, v15
	v_and_b32_e32 v15, 0xffff, v15
	s_wait_loadcnt 0x3
	v_dual_fmac_f32 v23, v30, v67 :: v_dual_lshrrev_b32 v30, 16, v17
	s_delay_alu instid0(VALU_DEP_3) | instskip(SKIP_1) | instid1(VALU_DEP_2)
	v_fmac_f32_e32 v24, v70, v72
	v_and_b32_e32 v17, 0xffff, v17
	v_dual_fmac_f32 v23, v28, v73 :: v_dual_fmac_f32 v24, v29, v78
	s_wait_dscnt 0x0
	v_and_b32_e32 v25, 0xffff, v20
	v_dual_lshrrev_b32 v20, 16, v20 :: v_dual_lshrrev_b32 v49, 16, v21
	v_and_b32_e32 v21, 0xffff, v21
	;;#ASMSTART
	v_cvt_f32_f16 v50, v25;
	;;#ASMEND
	;;#ASMSTART
	v_cvt_f32_f16 v51, v20;
	;;#ASMEND
	;; [unrolled: 3-line block ×5, first 2 shown]
	v_mul_f32_e32 v25, v32, v55
	;;#ASMSTART
	v_cvt_f32_f16 v49, v49;
	;;#ASMEND
	;;#ASMSTART
	v_cvt_f32_f16 v85, v88;
	;;#ASMEND
	;; [unrolled: 3-line block ×3, first 2 shown]
	ds_load_b64 v[20:21], v42 offset:64
	v_dual_fmac_f32 v25, v47, v48 :: v_dual_lshrrev_b32 v32, 16, v18
	v_and_b32_e32 v18, 0xffff, v18
	v_dual_fmac_f32 v22, v63, v65 :: v_dual_lshrrev_b32 v47, 16, v19
	v_and_b32_e32 v19, 0xffff, v19
	v_lshrrev_b32_e32 v63, 16, v14
	v_and_b32_e32 v14, 0xffff, v14
	v_dual_fmac_f32 v23, v35, v79 :: v_dual_fmac_f32 v24, v26, v90
	v_dual_fmac_f32 v22, v69, v71 :: v_dual_lshrrev_b32 v69, 16, v16
	v_and_b32_e32 v16, 0xffff, v16
	s_wait_loadcnt 0x2
	v_lshrrev_b32_e32 v71, 16, v12
	v_and_b32_e32 v12, 0xffff, v12
	s_wait_loadcnt 0x1
	v_dual_fmac_f32 v22, v75, v77 :: v_dual_lshrrev_b32 v75, 16, v10
	s_wait_loadcnt 0x0
	v_lshrrev_b32_e32 v26, 16, v8
	v_and_b32_e32 v10, 0xffff, v10
	s_wait_dscnt 0x0
	v_and_b32_e32 v48, 0xffff, v20
	v_dual_lshrrev_b32 v20, 16, v20 :: v_dual_lshrrev_b32 v55, 16, v21
	v_and_b32_e32 v21, 0xffff, v21
	;;#ASMSTART
	v_cvt_f32_f16 v48, v48;
	;;#ASMEND
	;;#ASMSTART
	v_cvt_f32_f16 v20, v20;
	;;#ASMEND
	;; [unrolled: 3-line block ×8, first 2 shown]
	ds_load_b64 v[18:19], v42 offset:72
	v_dual_fmac_f32 v25, v61, v62 :: v_dual_fmac_f32 v22, v27, v56
	v_lshrrev_b32_e32 v27, 16, v11
	v_and_b32_e32 v11, 0xffff, v11
	v_and_b32_e32 v8, 0xffff, v8
	s_delay_alu instid0(VALU_DEP_4) | instskip(NEXT) | instid1(VALU_DEP_1)
	v_dual_fmac_f32 v22, v34, v54 :: v_dual_fmac_f32 v23, v53, v57
	v_dual_fmac_f32 v22, v50, v52 :: v_dual_fmac_f32 v23, v51, v83
	s_wait_dscnt 0x0
	v_and_b32_e32 v61, 0xffff, v18
	v_dual_lshrrev_b32 v18, 16, v18 :: v_dual_lshrrev_b32 v62, 16, v19
	v_and_b32_e32 v19, 0xffff, v19
	;;#ASMSTART
	v_cvt_f32_f16 v61, v61;
	;;#ASMEND
	;;#ASMSTART
	v_cvt_f32_f16 v18, v18;
	;;#ASMEND
	;; [unrolled: 3-line block ×8, first 2 shown]
	ds_load_b64 v[14:15], v42 offset:80
	v_fmac_f32_e32 v25, v31, v68
	s_delay_alu instid0(VALU_DEP_1) | instskip(NEXT) | instid1(VALU_DEP_1)
	v_fmac_f32_e32 v25, v76, v74
	v_dual_fmac_f32 v25, v89, v80 :: v_dual_fmac_f32 v24, v58, v81
	s_delay_alu instid0(VALU_DEP_1)
	v_dual_fmac_f32 v25, v33, v82 :: v_dual_fmac_f32 v24, v84, v85
	s_wait_dscnt 0x0
	v_and_b32_e32 v67, 0xffff, v14
	v_dual_lshrrev_b32 v14, 16, v14 :: v_dual_lshrrev_b32 v31, 16, v15
	v_and_b32_e32 v15, 0xffff, v15
	;;#ASMSTART
	v_cvt_f32_f16 v67, v67;
	;;#ASMEND
	;;#ASMSTART
	v_cvt_f32_f16 v68, v14;
	;;#ASMEND
	;; [unrolled: 3-line block ×8, first 2 shown]
	ds_load_b64 v[14:15], v42 offset:88
	v_lshrrev_b32_e32 v72, 16, v13
	v_and_b32_e32 v13, 0xffff, v13
	v_fmac_f32_e32 v25, v49, v86
	s_delay_alu instid0(VALU_DEP_1) | instskip(NEXT) | instid1(VALU_DEP_1)
	v_dual_fmac_f32 v24, v21, v60 :: v_dual_fmac_f32 v25, v55, v47
	v_dual_fmac_f32 v24, v19, v66 :: v_dual_fmac_f32 v25, v62, v64
	s_delay_alu instid0(VALU_DEP_1)
	v_dual_fmac_f32 v24, v70, v17 :: v_dual_fmac_f32 v25, v31, v30
	s_wait_dscnt 0x0
	v_and_b32_e32 v28, 0xffff, v14
	v_dual_lshrrev_b32 v14, 16, v14 :: v_dual_lshrrev_b32 v29, 16, v15
	v_and_b32_e32 v15, 0xffff, v15
	;;#ASMSTART
	v_cvt_f32_f16 v28, v28;
	;;#ASMEND
	;;#ASMSTART
	v_cvt_f32_f16 v14, v14;
	;;#ASMEND
	;; [unrolled: 3-line block ×8, first 2 shown]
	ds_load_b64 v[12:13], v42 offset:96
	v_fmac_f32_e32 v22, v48, v59
	v_fmac_f32_e32 v23, v20, v32
	;; [unrolled: 1-line block ×3, first 2 shown]
	s_wait_dscnt 0x0
	v_and_b32_e32 v20, 0xffff, v12
	v_dual_lshrrev_b32 v12, 16, v12 :: v_dual_lshrrev_b32 v21, 16, v13
	v_and_b32_e32 v13, 0xffff, v13
	;;#ASMSTART
	v_cvt_f32_f16 v20, v20;
	;;#ASMEND
	;;#ASMSTART
	v_cvt_f32_f16 v12, v12;
	;;#ASMEND
	;; [unrolled: 3-line block ×8, first 2 shown]
	ds_load_b64 v[10:11], v42 offset:104
	v_dual_fmac_f32 v22, v61, v65 :: v_dual_fmac_f32 v23, v18, v63
	s_delay_alu instid0(VALU_DEP_1) | instskip(NEXT) | instid1(VALU_DEP_2)
	v_dual_fmac_f32 v25, v21, v27 :: v_dual_fmac_f32 v22, v67, v16
	v_fmac_f32_e32 v23, v68, v69
	v_lshrrev_b32_e32 v16, 16, v9
	v_and_b32_e32 v9, 0xffff, v9
	s_delay_alu instid0(VALU_DEP_3) | instskip(NEXT) | instid1(VALU_DEP_1)
	v_dual_fmac_f32 v22, v28, v73 :: v_dual_fmac_f32 v23, v14, v71
	v_dual_fmac_f32 v24, v15, v77 :: v_dual_fmac_f32 v22, v20, v32
	s_delay_alu instid0(VALU_DEP_1)
	v_dual_fmac_f32 v23, v12, v33 :: v_dual_fmac_f32 v24, v13, v34
	s_wait_dscnt 0x0
	v_and_b32_e32 v12, 0xffff, v10
	v_lshrrev_b32_e32 v10, 16, v10
	;;#ASMSTART
	v_cvt_f32_f16 v12, v12;
	;;#ASMEND
	;;#ASMSTART
	v_cvt_f32_f16 v10, v10;
	;;#ASMEND
	;; [unrolled: 3-line block ×3, first 2 shown]
	v_dual_fmac_f32 v22, v12, v8 :: v_dual_lshrrev_b32 v13, 16, v11
	v_and_b32_e32 v11, 0xffff, v11
	;;#ASMSTART
	v_cvt_f32_f16 v14, v26;
	;;#ASMEND
	;;#ASMSTART
	v_cvt_f32_f16 v8, v11;
	;;#ASMEND
	v_fmac_f32_e32 v23, v10, v14
	;;#ASMSTART
	v_cvt_f32_f16 v10, v13;
	;;#ASMEND
	;;#ASMSTART
	v_cvt_f32_f16 v9, v9;
	;;#ASMEND
	v_fmac_f32_e32 v24, v8, v9
	;;#ASMSTART
	v_cvt_f32_f16 v9, v16;
	;;#ASMEND
	v_add_f32_e32 v8, v22, v23
	v_fmac_f32_e32 v25, v10, v9
	v_cndmask_b32_e64 v9, v40, v45, s4
	s_delay_alu instid0(VALU_DEP_1) | instskip(NEXT) | instid1(VALU_DEP_1)
	v_dual_add_f32 v8, v8, v24 :: v_dual_lshlrev_b32 v9, 2, v9
	v_add_f32_e32 v8, v25, v8
	ds_bpermute_b32 v9, v9, v8
	s_and_saveexec_b32 s25, vcc_lo
	s_cbranch_execz .LBB85_8
; %bb.10:                               ;   in Loop: Header=BB85_9 Depth=1
	s_wait_dscnt 0x0
	v_dual_add_nc_u32 v10, s15, v43 :: v_dual_add_f32 v8, v8, v9
	v_cmp_gt_i32_e64 s4, s21, v43
	s_delay_alu instid0(VALU_DEP_2) | instskip(NEXT) | instid1(VALU_DEP_1)
	v_cvt_f32_i32_e32 v10, v10
	v_mul_f32_e32 v10, s23, v10
	s_delay_alu instid0(VALU_DEP_1) | instskip(NEXT) | instid1(VALU_DEP_1)
	v_dual_cndmask_b32 v9, 0, v10, s3 :: v_dual_max_num_f32 v10, v41, v41
	v_fmac_f32_e32 v9, s7, v8
	s_delay_alu instid0(VALU_DEP_1) | instskip(NEXT) | instid1(VALU_DEP_1)
	v_dual_max_num_f32 v8, v10, v9 :: v_dual_cndmask_b32 v9, 0, v9, s4
	v_cndmask_b32_e64 v41, v41, v8, s4
	ds_store_b32 v44, v9
	s_branch .LBB85_8
.LBB85_11:
	s_or_b32 exec_lo, exec_lo, s6
.LBB85_12:
	s_delay_alu instid0(SALU_CYCLE_1)
	s_or_b32 exec_lo, exec_lo, s24
	v_dual_max_num_f32 v7, v41, v41 :: v_dual_bitop2_b32 v4, 16, v40 bitop3:0x14
	v_xor_b32_e32 v6, 8, v40
	s_clause 0x1
	s_load_b64 s[6:7], s[0:1], 0x0
	s_load_b64 s[16:17], s[0:1], 0x18
	v_and_b32_e32 v20, 31, v0
	v_cmp_lt_i32_e32 vcc_lo, v4, v2
	v_cndmask_b32_e32 v4, v40, v4, vcc_lo
	v_cmp_lt_i32_e32 vcc_lo, v6, v2
	s_delay_alu instid0(VALU_DEP_2) | instskip(SKIP_3) | instid1(VALU_DEP_1)
	v_dual_cndmask_b32 v6, v40, v6 :: v_dual_lshlrev_b32 v5, 2, v4
	ds_bpermute_b32 v4, v5, v41
	s_wait_dscnt 0x0
	v_dual_max_num_f32 v4, v4, v4 :: v_dual_lshlrev_b32 v6, 2, v6
	v_max_num_f32_e32 v4, v7, v4
	ds_bpermute_b32 v7, v6, v4
	s_wait_dscnt 0x0
	v_dual_max_num_f32 v9, v7, v7 :: v_dual_bitop2_b32 v8, 4, v40 bitop3:0x14
	s_delay_alu instid0(VALU_DEP_1) | instskip(NEXT) | instid1(VALU_DEP_2)
	v_max_num_f32_e32 v4, v4, v9
	v_cmp_lt_i32_e32 vcc_lo, v8, v2
	v_xor_b32_e32 v9, 2, v40
	v_cndmask_b32_e32 v8, v40, v8, vcc_lo
	s_delay_alu instid0(VALU_DEP_2) | instskip(NEXT) | instid1(VALU_DEP_2)
	v_cmp_lt_i32_e32 vcc_lo, v9, v2
	v_dual_cndmask_b32 v10, v40, v9 :: v_dual_lshlrev_b32 v7, 2, v8
	v_cmp_eq_u32_e32 vcc_lo, 0, v20
	ds_bpermute_b32 v8, v7, v4
	s_wait_dscnt 0x0
	v_max_num_f32_e32 v8, v8, v8
	s_delay_alu instid0(VALU_DEP_1)
	v_dual_max_num_f32 v9, v4, v8 :: v_dual_lshlrev_b32 v8, 2, v38
	v_lshlrev_b32_e32 v4, 2, v10
	ds_bpermute_b32 v10, v4, v9
	s_wait_xcnt 0x0
	s_and_saveexec_b32 s0, vcc_lo
	s_cbranch_execz .LBB85_14
; %bb.13:
	s_wait_dscnt 0x0
	v_dual_max_num_f32 v10, v10, v10 :: v_dual_max_num_f32 v9, v9, v9
	s_delay_alu instid0(VALU_DEP_1)
	v_max_num_f32_e32 v9, v9, v10
	ds_store_b32 v8, v9 offset:224
.LBB85_14:
	s_or_b32 exec_lo, exec_lo, s0
	v_cmp_gt_u32_e64 s0, 4, v20
	s_wait_dscnt 0x0
	v_dual_mov_b32 v10, 0xff7fffff :: v_dual_lshlrev_b32 v9, 2, v20
	s_barrier_signal -1
	s_barrier_wait -1
	s_and_saveexec_b32 s1, s0
; %bb.15:
	ds_load_b32 v10, v9 offset:224
; %bb.16:
	s_or_b32 exec_lo, exec_lo, s1
	s_wait_dscnt 0x0
	ds_bpermute_b32 v11, v4, v10
	v_dual_max_num_f32 v10, v10, v10 :: v_dual_bitop2_b32 v12, 1, v40 bitop3:0x14
	v_lshlrev_b32_e32 v3, 2, v3
	s_delay_alu instid0(VALU_DEP_2) | instskip(NEXT) | instid1(VALU_DEP_1)
	v_cmp_lt_i32_e64 s1, v12, v2
	v_cndmask_b32_e64 v2, v40, v12, s1
	s_lshl_b32 s1, s22, 4
	s_delay_alu instid0(SALU_CYCLE_1) | instskip(NEXT) | instid1(SALU_CYCLE_1)
	s_min_i32 s4, s1, s21
	v_cmp_gt_i32_e64 s1, s4, v0
	s_wait_dscnt 0x0
	v_dual_max_num_f32 v11, v11, v11 :: v_dual_lshlrev_b32 v21, 2, v2
	s_delay_alu instid0(VALU_DEP_1) | instskip(SKIP_3) | instid1(VALU_DEP_1)
	v_max_num_f32_e32 v2, v10, v11
	ds_bpermute_b32 v10, v21, v2
	s_wait_dscnt 0x0
	v_max_num_f32_e32 v10, v10, v10
	v_max_num_f32_e32 v2, v2, v10
	ds_bpermute_b32 v3, v3, v2
	v_mov_b32_e32 v2, 0
	s_and_saveexec_b32 s15, s1
	s_cbranch_execz .LBB85_20
; %bb.17:
	v_lshl_add_u32 v10, v0, 2, 0x100
	v_dual_mov_b32 v2, 0 :: v_dual_mov_b32 v11, v0
	s_mov_b32 s23, 0
.LBB85_18:                              ; =>This Inner Loop Header: Depth=1
	ds_load_b32 v12, v10
	s_wait_dscnt 0x0
	v_sub_f32_e32 v12, v12, v3
	s_delay_alu instid0(VALU_DEP_1) | instskip(NEXT) | instid1(VALU_DEP_1)
	v_mul_f32_e32 v12, 0x3fb8aa3b, v12
	v_exp_f32_e32 v12, v12
	v_nop
	s_delay_alu instid0(TRANS32_DEP_1) | instskip(NEXT) | instid1(VALU_DEP_1)
	v_dual_add_f32 v2, v2, v12 :: v_dual_add_nc_u32 v11, 0x80, v11
	v_cmp_le_i32_e64 s3, s4, v11
	ds_store_b32 v10, v12
	v_add_nc_u32_e32 v10, 0x200, v10
	s_or_b32 s23, s3, s23
	s_delay_alu instid0(SALU_CYCLE_1)
	s_and_not1_b32 exec_lo, exec_lo, s23
	s_cbranch_execnz .LBB85_18
; %bb.19:
	s_or_b32 exec_lo, exec_lo, s23
.LBB85_20:
	s_delay_alu instid0(SALU_CYCLE_1)
	s_or_b32 exec_lo, exec_lo, s15
	s_wait_dscnt 0x0
	ds_bpermute_b32 v3, v5, v2
	s_wait_dscnt 0x0
	v_add_f32_e32 v2, v2, v3
	ds_bpermute_b32 v3, v6, v2
	s_wait_dscnt 0x0
	v_add_f32_e32 v2, v2, v3
	;; [unrolled: 3-line block ×5, first 2 shown]
	s_and_saveexec_b32 s3, vcc_lo
; %bb.21:
	ds_store_b32 v8, v2 offset:240
; %bb.22:
	s_or_b32 exec_lo, exec_lo, s3
	s_wait_dscnt 0x0
	s_barrier_signal -1
	s_barrier_wait -1
	s_and_saveexec_b32 s3, s0
; %bb.23:
	ds_load_b32 v2, v9 offset:240
; %bb.24:
	s_or_b32 exec_lo, exec_lo, s3
	s_wait_dscnt 0x0
	ds_bpermute_b32 v3, v4, v2
	s_wait_dscnt 0x0
	v_dual_lshlrev_b32 v4, 2, v40 :: v_dual_add_f32 v2, v2, v3
	ds_bpermute_b32 v3, v21, v2
	s_wait_dscnt 0x0
	v_add_f32_e32 v2, v2, v3
	v_and_b32_e32 v3, 0xffffff80, v4
	ds_bpermute_b32 v2, v3, v2
	s_and_saveexec_b32 s0, s1
	s_cbranch_execz .LBB85_37
; %bb.25:
	s_wait_dscnt 0x0
	v_add_f32_e32 v2, 0x358637bd, v2
	s_mov_b32 s3, -1
	s_mov_b32 s1, exec_lo
	s_delay_alu instid0(VALU_DEP_1) | instskip(NEXT) | instid1(VALU_DEP_1)
	v_div_scale_f32 v3, null, v2, v2, 1.0
	v_rcp_f32_e32 v5, v3
	v_nop
	s_delay_alu instid0(TRANS32_DEP_1) | instskip(NEXT) | instid1(VALU_DEP_1)
	v_fma_f32 v4, -v3, v5, 1.0
	v_fmac_f32_e32 v5, v4, v5
	v_div_scale_f32 v6, vcc_lo, 1.0, v2, 1.0
	s_delay_alu instid0(VALU_DEP_1) | instskip(NEXT) | instid1(VALU_DEP_1)
	v_mul_f32_e32 v7, v6, v5
	v_fma_f32 v4, -v3, v7, v6
	s_delay_alu instid0(VALU_DEP_1) | instskip(SKIP_1) | instid1(VALU_DEP_2)
	v_fmac_f32_e32 v7, v4, v5
	v_xad_u32 v4, v0, -1, s4
	v_fma_f32 v3, -v3, v7, v6
	s_delay_alu instid0(VALU_DEP_1) | instskip(NEXT) | instid1(VALU_DEP_1)
	v_div_fmas_f32 v3, v3, v5, v7
	v_div_fixup_f32 v2, v3, v2, 1.0
	v_mov_b32_e32 v3, v0
	v_cmpx_lt_u32_e32 0x7f, v4
	s_cbranch_execz .LBB85_34
; %bb.26:
	s_delay_alu instid0(VALU_DEP_3) | instskip(NEXT) | instid1(VALU_DEP_1)
	v_dual_mov_b32 v3, v2 :: v_dual_lshrrev_b32 v4, 7, v4
	v_dual_mov_b32 v8, 0 :: v_dual_add_nc_u32 v5, -1, v4
	s_delay_alu instid0(VALU_DEP_1) | instskip(SKIP_1) | instid1(VALU_DEP_2)
	v_lshrrev_b32_e32 v6, 1, v5
	v_cmp_lt_u32_e32 vcc_lo, 13, v5
	v_add_nc_u32_e32 v5, 1, v6
	s_and_saveexec_b32 s3, vcc_lo
	s_cbranch_execz .LBB85_30
; %bb.27:
	s_delay_alu instid0(VALU_DEP_1)
	v_and_b32_e32 v6, -8, v5
	v_lshl_add_u32 v7, v0, 2, 0x100
	s_mov_b32 s15, 0
	s_mov_b32 s23, 0
.LBB85_28:                              ; =>This Inner Loop Header: Depth=1
	ds_load_2addr_stride64_b32 v[8:9], v7 offset1:2
	ds_load_2addr_stride64_b32 v[10:11], v7 offset0:4 offset1:6
	ds_load_2addr_stride64_b32 v[12:13], v7 offset0:8 offset1:10
	;; [unrolled: 1-line block ×7, first 2 shown]
	s_add_co_i32 s23, s23, 16
	v_add_nc_u32_e32 v6, -8, v6
	s_wait_dscnt 0x7
	v_pk_mul_f32 v[8:9], v[2:3], v[8:9]
	s_wait_dscnt 0x6
	v_pk_mul_f32 v[10:11], v[2:3], v[10:11]
	;; [unrolled: 2-line block ×8, first 2 shown]
	ds_store_2addr_stride64_b32 v7, v8, v9 offset1:2
	ds_store_2addr_stride64_b32 v7, v10, v11 offset0:4 offset1:6
	ds_store_2addr_stride64_b32 v7, v12, v13 offset0:8 offset1:10
	ds_store_2addr_stride64_b32 v7, v14, v15 offset0:12 offset1:14
	ds_store_2addr_stride64_b32 v7, v16, v17 offset0:16 offset1:18
	ds_store_2addr_stride64_b32 v7, v18, v19 offset0:20 offset1:22
	ds_store_2addr_stride64_b32 v7, v22, v23 offset0:24 offset1:26
	ds_store_2addr_stride64_b32 v7, v24, v25 offset0:28 offset1:30
	v_mov_b32_e32 v8, s23
	v_cmp_eq_u32_e32 vcc_lo, 0, v6
	v_add_nc_u32_e32 v7, 0x2000, v7
	s_or_b32 s15, vcc_lo, s15
	s_delay_alu instid0(SALU_CYCLE_1)
	s_and_not1_b32 exec_lo, exec_lo, s15
	s_cbranch_execnz .LBB85_28
; %bb.29:
	s_or_b32 exec_lo, exec_lo, s15
.LBB85_30:
	s_delay_alu instid0(SALU_CYCLE_1) | instskip(NEXT) | instid1(VALU_DEP_1)
	s_or_b32 exec_lo, exec_lo, s3
	v_and_b32_e32 v5, 7, v5
	s_mov_b32 s15, 0
	s_mov_b32 s3, exec_lo
	s_delay_alu instid0(VALU_DEP_1)
	v_cmpx_ne_u32_e32 0, v5
	s_cbranch_execz .LBB85_33
; %bb.31:
	v_lshlrev_b32_e32 v6, 9, v8
	v_lshlrev_b32_e32 v7, 2, v0
	s_delay_alu instid0(VALU_DEP_1)
	v_add3_u32 v6, v6, v7, 0x100
.LBB85_32:                              ; =>This Inner Loop Header: Depth=1
	ds_load_2addr_stride64_b32 v[8:9], v6 offset1:2
	v_add_nc_u32_e32 v5, -1, v5
	s_delay_alu instid0(VALU_DEP_1)
	v_cmp_eq_u32_e32 vcc_lo, 0, v5
	s_or_b32 s15, vcc_lo, s15
	s_wait_dscnt 0x0
	v_pk_mul_f32 v[8:9], v[2:3], v[8:9]
	ds_store_2addr_stride64_b32 v6, v8, v9 offset1:2
	v_add_nc_u32_e32 v6, 0x400, v6
	s_and_not1_b32 exec_lo, exec_lo, s15
	s_cbranch_execnz .LBB85_32
.LBB85_33:
	s_or_b32 exec_lo, exec_lo, s3
	v_add_nc_u32_e32 v3, 1, v4
	s_delay_alu instid0(VALU_DEP_1) | instskip(NEXT) | instid1(VALU_DEP_1)
	v_and_b32_e32 v4, 0x3fffffe, v3
	v_cmp_ne_u32_e32 vcc_lo, v3, v4
	v_lshl_add_u32 v3, v4, 7, v0
	s_or_not1_b32 s3, vcc_lo, exec_lo
.LBB85_34:
	s_or_b32 exec_lo, exec_lo, s1
	s_delay_alu instid0(SALU_CYCLE_1)
	s_and_b32 exec_lo, exec_lo, s3
	s_cbranch_execz .LBB85_37
; %bb.35:
	v_lshl_add_u32 v4, v3, 2, 0x100
	s_mov_b32 s1, 0
.LBB85_36:                              ; =>This Inner Loop Header: Depth=1
	ds_load_b32 v5, v4
	v_add_nc_u32_e32 v3, 0x80, v3
	s_delay_alu instid0(VALU_DEP_1)
	v_cmp_le_i32_e32 vcc_lo, s4, v3
	s_or_b32 s1, vcc_lo, s1
	s_wait_dscnt 0x0
	v_mul_f32_e32 v5, v2, v5
	ds_store_b32 v4, v5
	v_add_nc_u32_e32 v4, 0x200, v4
	s_and_not1_b32 exec_lo, exec_lo, s1
	s_cbranch_execnz .LBB85_36
.LBB85_37:
	s_or_b32 exec_lo, exec_lo, s0
	v_dual_mov_b32 v9, 0 :: v_dual_mov_b32 v8, 0
	v_dual_mov_b32 v11, 0 :: v_dual_mov_b32 v10, 0
	;; [unrolled: 1-line block ×3, first 2 shown]
	v_mov_b32_e32 v7, 0
	s_wait_dscnt 0x0
	s_barrier_signal -1
	s_barrier_wait -1
	s_and_saveexec_b32 s1, s2
	s_cbranch_execz .LBB85_55
; %bb.38:
	v_dual_lshlrev_b32 v2, 4, v0 :: v_dual_bitop2_b32 v3, 8, v39 bitop3:0x40
	s_ashr_i32 s15, s14, 31
	v_dual_mov_b32 v7, 0 :: v_dual_lshlrev_b32 v4, 5, v37
	s_delay_alu instid0(VALU_DEP_2)
	v_and_b32_e32 v6, 0x1f0, v2
	s_lshl_b64 s[14:15], s[14:15], 1
	s_ashr_i32 s3, s5, 31
	s_wait_kmcnt 0x0
	s_add_nc_u64 s[14:15], s[16:17], s[14:15]
	s_mov_b32 s2, s5
	v_add_nc_u64_e32 v[14:15], s[14:15], v[6:7]
	v_and_b32_e32 v6, 0x7c, v1
	s_lshl_b64 s[4:5], s[10:11], 2
	v_lshl_or_b32 v2, v38, 6, v4
	s_add_nc_u64 s[4:5], s[12:13], s[4:5]
	v_lshl_or_b32 v22, v38, 4, v3
	v_add_nc_u64_e32 v[16:17], s[4:5], v[6:7]
	v_dual_mov_b32 v9, v7 :: v_dual_mov_b32 v11, v7
	v_dual_mov_b32 v8, v7 :: v_dual_add_nc_u32 v23, 0x100, v2
	v_dual_mov_b32 v10, v7 :: v_dual_mov_b32 v13, v7
	v_dual_mov_b32 v12, v7 :: v_dual_mov_b32 v24, v38
	s_add_co_i32 s4, s22, -1
	s_mov_b32 s10, s21
	s_mov_b32 s5, 0
	s_branch .LBB85_40
.LBB85_39:                              ;   in Loop: Header=BB85_40 Depth=1
	s_or_b32 exec_lo, exec_lo, s0
	v_dual_add_f32 v19, v32, v50 :: v_dual_lshlrev_b32 v1, 16, v1
	v_dual_add_f32 v25, v48, v49 :: v_dual_lshlrev_b32 v6, 16, v6
	s_delay_alu instid0(VALU_DEP_2) | instskip(NEXT) | instid1(VALU_DEP_2)
	v_dual_add_f32 v9, v9, v19 :: v_dual_lshlrev_b32 v18, 16, v18
	v_dual_add_f32 v19, v46, v47 :: v_dual_add_f32 v8, v8, v25
	s_delay_alu instid0(VALU_DEP_3) | instskip(SKIP_1) | instid1(VALU_DEP_4)
	v_and_or_b32 v2, 0xffff, v2, v6
	v_and_or_b32 v1, 0xffff, v3, v1
	v_and_or_b32 v3, 0xffff, v4, v18
	;;#ASMSTART
	v_pk_mul_f16 v2, v34, v2;

	;;#ASMEND
	;;#ASMSTART
	v_pk_mul_f16 v1, v33, v1;

	;;#ASMEND
	;; [unrolled: 4-line block ×4, first 2 shown]
	;;#ASMSTART
	v_pk_add_f16 v1, v2, v1;

	;;#ASMEND
	;;#ASMSTART
	v_pk_add_f16 v1, v1, v3;

	;;#ASMEND
	;; [unrolled: 4-line block ×3, first 2 shown]
	v_and_b32_e32 v4, 0xffff, v1
	v_dual_add_f32 v3, v40, v41 :: v_dual_add_nc_u32 v24, 4, v24
	v_dual_add_f32 v11, v11, v19 :: v_dual_lshrrev_b32 v5, 16, v1
	;;#ASMSTART
	v_cvt_f32_f16 v4, v4;
	;;#ASMEND
	v_dual_add_f32 v1, v44, v45 :: v_dual_add_f32 v2, v42, v43
	;;#ASMSTART
	v_cvt_f32_f16 v5, v5;
	;;#ASMEND
	s_delay_alu instid0(VALU_DEP_2) | instskip(SKIP_3) | instid1(VALU_DEP_4)
	v_add_f32_e32 v4, v4, v5
	v_cmp_le_i32_e32 vcc_lo, s22, v24
	v_add_nc_u64_e32 v[16:17], 16, v[16:17]
	v_dual_add_f32 v10, v10, v1 :: v_dual_add_f32 v12, v12, v3
	v_dual_add_f32 v13, v13, v2 :: v_dual_add_f32 v7, v7, v4
	v_add_nc_u32_e32 v22, 64, v22
	v_add_nc_u32_e32 v23, 0x100, v23
	s_or_b32 s5, vcc_lo, s5
	s_delay_alu instid0(SALU_CYCLE_1)
	s_and_not1_b32 exec_lo, exec_lo, s5
	s_cbranch_execz .LBB85_54
.LBB85_40:                              ; =>This Inner Loop Header: Depth=1
	global_load_b32 v2, v[16:17], off
	v_cmp_eq_u32_e32 vcc_lo, s4, v24
	v_dual_add_nc_u32 v30, 2, v22 :: v_dual_add_nc_u32 v25, 5, v22
	v_or_b32_e32 v31, 3, v22
	s_wait_loadcnt 0x0
	v_ashrrev_i32_e32 v3, 31, v2
	s_delay_alu instid0(VALU_DEP_1)
	v_mul_u64_e32 v[18:19], s[2:3], v[2:3]
	ds_load_2addr_b64 v[2:5], v23 offset1:1
	ds_load_2addr_b64 v[26:29], v23 offset0:2 offset1:3
	s_wait_dscnt 0x1
	;;#ASMSTART
	v_cvt_f16_f32 v34, v2;

	;;#ASMEND
	;;#ASMSTART
	v_cvt_f16_f32 v33, v3;

	;;#ASMEND
	;; [unrolled: 4-line block ×4, first 2 shown]
	s_wait_dscnt 0x0
	;;#ASMSTART
	v_cvt_f16_f32 v43, v26;

	;;#ASMEND
	;;#ASMSTART
	v_cvt_f16_f32 v35, v27;

	;;#ASMEND
	;; [unrolled: 4-line block ×4, first 2 shown]
	v_dual_add_nc_u32 v26, 4, v22 :: v_dual_add_nc_u32 v28, 6, v22
	v_dual_add_nc_u32 v27, 7, v22 :: v_dual_bitop2_b32 v29, 1, v22 bitop3:0x54
	v_lshl_add_u64 v[18:19], v[18:19], 1, v[14:15]
	global_load_b128 v[2:5], v[18:19], off
	s_wait_loadcnt 0x0
	v_dual_lshrrev_b32 v1, 16, v3 :: v_dual_lshrrev_b32 v32, 16, v4
	v_lshrrev_b32_e32 v6, 16, v2
	s_and_saveexec_b32 s11, vcc_lo
	s_cbranch_execz .LBB85_42
; %bb.41:                               ;   in Loop: Header=BB85_40 Depth=1
	v_cmp_gt_i32_e64 s0, s21, v22
	v_and_b32_e32 v44, 0xffff, v5
	v_and_b32_e32 v5, 0xffff0000, v5
	s_delay_alu instid0(VALU_DEP_3) | instskip(SKIP_1) | instid1(VALU_DEP_1)
	v_cndmask_b32_e64 v2, 0, v2, s0
	v_cmp_gt_i32_e64 s0, s21, v30
	v_cndmask_b32_e64 v3, 0, v3, s0
	v_cmp_gt_i32_e64 s0, s10, v31
	s_delay_alu instid0(VALU_DEP_1) | instskip(SKIP_1) | instid1(VALU_DEP_1)
	v_cndmask_b32_e64 v1, 0, v1, s0
	v_cmp_gt_i32_e64 s0, s21, v29
	v_cndmask_b32_e64 v6, 0, v6, s0
	v_cmp_gt_i32_e64 s0, s21, v28
	s_delay_alu instid0(VALU_DEP_1) | instskip(SKIP_1) | instid1(VALU_DEP_1)
	;; [unrolled: 5-line block ×3, first 2 shown]
	v_dual_cndmask_b32 v4, 0, v4, s0 :: v_dual_bitop2_b32 v5, v44, v5 bitop3:0x54
	v_cmp_gt_i32_e64 s0, s21, v25
	v_cndmask_b32_e64 v32, 0, v32, s0
.LBB85_42:                              ;   in Loop: Header=BB85_40 Depth=1
	s_or_b32 exec_lo, exec_lo, s11
	v_and_b32_e32 v34, 0xffff, v34
	v_and_b32_e32 v42, 0xffff, v42
	v_dual_lshlrev_b32 v6, 16, v6 :: v_dual_lshlrev_b32 v1, 16, v1
	v_lshlrev_b32_e32 v32, 16, v32
	v_and_b32_e32 v43, 0xffff, v43
	v_lshl_or_b32 v34, v33, 16, v34
	v_lshl_or_b32 v33, v40, 16, v42
	v_and_b32_e32 v40, 0xffff, v41
	v_and_or_b32 v2, 0xffff, v2, v6
	v_and_or_b32 v1, 0xffff, v3, v1
	;; [unrolled: 1-line block ×3, first 2 shown]
	;;#ASMSTART
	v_pk_mul_f16 v2, v34, v2;

	;;#ASMEND
	;;#ASMSTART
	v_pk_mul_f16 v1, v33, v1;

	;;#ASMEND
	v_lshl_or_b32 v35, v35, 16, v43
	v_lshl_or_b32 v39, v39, 16, v40
	;;#ASMSTART
	v_pk_mul_f16 v3, v35, v3;

	;;#ASMEND
	;;#ASMSTART
	v_pk_mul_f16 v4, v39, v5;

	;;#ASMEND
	;;#ASMSTART
	v_pk_add_f16 v1, v2, v1;

	;;#ASMEND
	;;#ASMSTART
	v_pk_add_f16 v1, v1, v3;

	;;#ASMEND
	;;#ASMSTART
	v_pk_add_f16 v1, v1, v4;

	;;#ASMEND
	v_and_b32_e32 v2, 0xffff, v1
	v_lshrrev_b32_e32 v1, 16, v1
	;;#ASMSTART
	v_cvt_f32_f16 v40, v2;
	;;#ASMEND
	;;#ASMSTART
	v_cvt_f32_f16 v41, v1;
	;;#ASMEND
	global_load_b128 v[2:5], v[18:19], off offset:512
	s_wait_loadcnt 0x0
	v_dual_lshrrev_b32 v1, 16, v3 :: v_dual_lshrrev_b32 v6, 16, v2
	v_lshrrev_b32_e32 v32, 16, v4
	s_and_saveexec_b32 s11, vcc_lo
	s_cbranch_execz .LBB85_44
; %bb.43:                               ;   in Loop: Header=BB85_40 Depth=1
	v_cmp_gt_i32_e64 s0, s21, v22
	v_and_b32_e32 v42, 0xffff, v5
	v_and_b32_e32 v5, 0xffff0000, v5
	s_delay_alu instid0(VALU_DEP_3) | instskip(SKIP_1) | instid1(VALU_DEP_1)
	v_cndmask_b32_e64 v2, 0, v2, s0
	v_cmp_gt_i32_e64 s0, s21, v30
	v_cndmask_b32_e64 v3, 0, v3, s0
	v_cmp_gt_i32_e64 s0, s10, v31
	s_delay_alu instid0(VALU_DEP_1) | instskip(SKIP_1) | instid1(VALU_DEP_1)
	v_cndmask_b32_e64 v1, 0, v1, s0
	v_cmp_gt_i32_e64 s0, s21, v29
	v_cndmask_b32_e64 v6, 0, v6, s0
	v_cmp_gt_i32_e64 s0, s21, v28
	s_delay_alu instid0(VALU_DEP_1) | instskip(SKIP_1) | instid1(VALU_DEP_1)
	;; [unrolled: 5-line block ×3, first 2 shown]
	v_dual_cndmask_b32 v4, 0, v4, s0 :: v_dual_bitop2_b32 v5, v42, v5 bitop3:0x54
	v_cmp_gt_i32_e64 s0, s21, v25
	v_cndmask_b32_e64 v32, 0, v32, s0
.LBB85_44:                              ;   in Loop: Header=BB85_40 Depth=1
	s_or_b32 exec_lo, exec_lo, s11
	v_dual_lshlrev_b32 v6, 16, v6 :: v_dual_lshlrev_b32 v1, 16, v1
	s_delay_alu instid0(VALU_DEP_2) | instskip(NEXT) | instid1(VALU_DEP_2)
	v_lshlrev_b32_e32 v32, 16, v32
	v_and_or_b32 v2, 0xffff, v2, v6
	s_delay_alu instid0(VALU_DEP_3) | instskip(NEXT) | instid1(VALU_DEP_3)
	v_and_or_b32 v1, 0xffff, v3, v1
	v_and_or_b32 v3, 0xffff, v4, v32
	;;#ASMSTART
	v_pk_mul_f16 v2, v34, v2;

	;;#ASMEND
	;;#ASMSTART
	v_pk_mul_f16 v1, v33, v1;

	;;#ASMEND
	;; [unrolled: 4-line block ×4, first 2 shown]
	;;#ASMSTART
	v_pk_add_f16 v1, v2, v1;

	;;#ASMEND
	;;#ASMSTART
	v_pk_add_f16 v1, v1, v3;

	;;#ASMEND
	;; [unrolled: 4-line block ×3, first 2 shown]
	v_and_b32_e32 v2, 0xffff, v1
	v_lshrrev_b32_e32 v1, 16, v1
	;;#ASMSTART
	v_cvt_f32_f16 v42, v2;
	;;#ASMEND
	;;#ASMSTART
	v_cvt_f32_f16 v43, v1;
	;;#ASMEND
	global_load_b128 v[2:5], v[18:19], off offset:1024
	s_wait_loadcnt 0x0
	v_dual_lshrrev_b32 v1, 16, v3 :: v_dual_lshrrev_b32 v6, 16, v2
	v_lshrrev_b32_e32 v32, 16, v4
	s_and_saveexec_b32 s11, vcc_lo
	s_cbranch_execz .LBB85_46
; %bb.45:                               ;   in Loop: Header=BB85_40 Depth=1
	v_cmp_gt_i32_e64 s0, s21, v22
	v_and_b32_e32 v44, 0xffff, v5
	v_and_b32_e32 v5, 0xffff0000, v5
	s_delay_alu instid0(VALU_DEP_3) | instskip(SKIP_1) | instid1(VALU_DEP_1)
	v_cndmask_b32_e64 v2, 0, v2, s0
	v_cmp_gt_i32_e64 s0, s21, v30
	v_cndmask_b32_e64 v3, 0, v3, s0
	v_cmp_gt_i32_e64 s0, s10, v31
	s_delay_alu instid0(VALU_DEP_1) | instskip(SKIP_1) | instid1(VALU_DEP_1)
	v_cndmask_b32_e64 v1, 0, v1, s0
	v_cmp_gt_i32_e64 s0, s21, v29
	v_cndmask_b32_e64 v6, 0, v6, s0
	v_cmp_gt_i32_e64 s0, s21, v28
	s_delay_alu instid0(VALU_DEP_1) | instskip(SKIP_1) | instid1(VALU_DEP_1)
	;; [unrolled: 5-line block ×3, first 2 shown]
	v_dual_cndmask_b32 v4, 0, v4, s0 :: v_dual_bitop2_b32 v5, v44, v5 bitop3:0x54
	v_cmp_gt_i32_e64 s0, s21, v25
	v_cndmask_b32_e64 v32, 0, v32, s0
.LBB85_46:                              ;   in Loop: Header=BB85_40 Depth=1
	s_or_b32 exec_lo, exec_lo, s11
	v_dual_lshlrev_b32 v6, 16, v6 :: v_dual_lshlrev_b32 v1, 16, v1
	s_delay_alu instid0(VALU_DEP_2) | instskip(NEXT) | instid1(VALU_DEP_2)
	v_lshlrev_b32_e32 v32, 16, v32
	v_and_or_b32 v2, 0xffff, v2, v6
	s_delay_alu instid0(VALU_DEP_3) | instskip(NEXT) | instid1(VALU_DEP_3)
	v_and_or_b32 v1, 0xffff, v3, v1
	v_and_or_b32 v3, 0xffff, v4, v32
	;;#ASMSTART
	v_pk_mul_f16 v2, v34, v2;

	;;#ASMEND
	;;#ASMSTART
	v_pk_mul_f16 v1, v33, v1;

	;;#ASMEND
	;;#ASMSTART
	v_pk_mul_f16 v3, v35, v3;

	;;#ASMEND
	;;#ASMSTART
	v_pk_mul_f16 v4, v39, v5;

	;;#ASMEND
	;;#ASMSTART
	v_pk_add_f16 v1, v2, v1;

	;;#ASMEND
	;;#ASMSTART
	v_pk_add_f16 v1, v1, v3;

	;;#ASMEND
	;; [unrolled: 4-line block ×3, first 2 shown]
	v_and_b32_e32 v2, 0xffff, v1
	v_lshrrev_b32_e32 v1, 16, v1
	;;#ASMSTART
	v_cvt_f32_f16 v44, v2;
	;;#ASMEND
	;;#ASMSTART
	v_cvt_f32_f16 v45, v1;
	;;#ASMEND
	global_load_b128 v[2:5], v[18:19], off offset:1536
	s_wait_loadcnt 0x0
	v_dual_lshrrev_b32 v1, 16, v3 :: v_dual_lshrrev_b32 v6, 16, v2
	v_lshrrev_b32_e32 v32, 16, v4
	s_and_saveexec_b32 s11, vcc_lo
	s_cbranch_execz .LBB85_48
; %bb.47:                               ;   in Loop: Header=BB85_40 Depth=1
	v_cmp_gt_i32_e64 s0, s21, v22
	v_and_b32_e32 v46, 0xffff, v5
	v_and_b32_e32 v5, 0xffff0000, v5
	s_delay_alu instid0(VALU_DEP_3) | instskip(SKIP_1) | instid1(VALU_DEP_1)
	v_cndmask_b32_e64 v2, 0, v2, s0
	v_cmp_gt_i32_e64 s0, s21, v30
	v_cndmask_b32_e64 v3, 0, v3, s0
	v_cmp_gt_i32_e64 s0, s10, v31
	s_delay_alu instid0(VALU_DEP_1) | instskip(SKIP_1) | instid1(VALU_DEP_1)
	v_cndmask_b32_e64 v1, 0, v1, s0
	v_cmp_gt_i32_e64 s0, s21, v29
	v_cndmask_b32_e64 v6, 0, v6, s0
	v_cmp_gt_i32_e64 s0, s21, v28
	s_delay_alu instid0(VALU_DEP_1) | instskip(SKIP_1) | instid1(VALU_DEP_1)
	;; [unrolled: 5-line block ×3, first 2 shown]
	v_dual_cndmask_b32 v4, 0, v4, s0 :: v_dual_bitop2_b32 v5, v46, v5 bitop3:0x54
	v_cmp_gt_i32_e64 s0, s21, v25
	v_cndmask_b32_e64 v32, 0, v32, s0
.LBB85_48:                              ;   in Loop: Header=BB85_40 Depth=1
	s_or_b32 exec_lo, exec_lo, s11
	v_dual_lshlrev_b32 v6, 16, v6 :: v_dual_lshlrev_b32 v1, 16, v1
	s_delay_alu instid0(VALU_DEP_2) | instskip(NEXT) | instid1(VALU_DEP_2)
	v_lshlrev_b32_e32 v32, 16, v32
	v_and_or_b32 v2, 0xffff, v2, v6
	s_delay_alu instid0(VALU_DEP_3) | instskip(NEXT) | instid1(VALU_DEP_3)
	v_and_or_b32 v1, 0xffff, v3, v1
	v_and_or_b32 v3, 0xffff, v4, v32
	;;#ASMSTART
	v_pk_mul_f16 v2, v34, v2;

	;;#ASMEND
	;;#ASMSTART
	v_pk_mul_f16 v1, v33, v1;

	;;#ASMEND
	;; [unrolled: 4-line block ×4, first 2 shown]
	;;#ASMSTART
	v_pk_add_f16 v1, v2, v1;

	;;#ASMEND
	;;#ASMSTART
	v_pk_add_f16 v1, v1, v3;

	;;#ASMEND
	;; [unrolled: 4-line block ×3, first 2 shown]
	v_and_b32_e32 v2, 0xffff, v1
	v_lshrrev_b32_e32 v1, 16, v1
	;;#ASMSTART
	v_cvt_f32_f16 v46, v2;
	;;#ASMEND
	;;#ASMSTART
	v_cvt_f32_f16 v47, v1;
	;;#ASMEND
	global_load_b128 v[2:5], v[18:19], off offset:2048
	s_wait_loadcnt 0x0
	v_dual_lshrrev_b32 v1, 16, v3 :: v_dual_lshrrev_b32 v6, 16, v2
	v_lshrrev_b32_e32 v32, 16, v4
	s_and_saveexec_b32 s11, vcc_lo
	s_cbranch_execz .LBB85_50
; %bb.49:                               ;   in Loop: Header=BB85_40 Depth=1
	v_cmp_gt_i32_e64 s0, s21, v22
	v_and_b32_e32 v48, 0xffff, v5
	v_and_b32_e32 v5, 0xffff0000, v5
	s_delay_alu instid0(VALU_DEP_3) | instskip(SKIP_1) | instid1(VALU_DEP_1)
	v_cndmask_b32_e64 v2, 0, v2, s0
	v_cmp_gt_i32_e64 s0, s21, v30
	v_cndmask_b32_e64 v3, 0, v3, s0
	v_cmp_gt_i32_e64 s0, s10, v31
	s_delay_alu instid0(VALU_DEP_1) | instskip(SKIP_1) | instid1(VALU_DEP_1)
	v_cndmask_b32_e64 v1, 0, v1, s0
	v_cmp_gt_i32_e64 s0, s21, v29
	v_cndmask_b32_e64 v6, 0, v6, s0
	v_cmp_gt_i32_e64 s0, s21, v28
	s_delay_alu instid0(VALU_DEP_1) | instskip(SKIP_1) | instid1(VALU_DEP_1)
	v_cndmask_b32_e64 v48, 0, v48, s0
	v_cmp_gt_i32_e64 s0, s21, v27
	v_cndmask_b32_e64 v5, 0, v5, s0
	v_cmp_gt_i32_e64 s0, s21, v26
	s_delay_alu instid0(VALU_DEP_1) | instskip(SKIP_1) | instid1(VALU_DEP_1)
	v_dual_cndmask_b32 v4, 0, v4, s0 :: v_dual_bitop2_b32 v5, v48, v5 bitop3:0x54
	v_cmp_gt_i32_e64 s0, s21, v25
	v_cndmask_b32_e64 v32, 0, v32, s0
.LBB85_50:                              ;   in Loop: Header=BB85_40 Depth=1
	s_or_b32 exec_lo, exec_lo, s11
	v_dual_lshlrev_b32 v6, 16, v6 :: v_dual_lshlrev_b32 v1, 16, v1
	s_delay_alu instid0(VALU_DEP_2) | instskip(NEXT) | instid1(VALU_DEP_2)
	v_lshlrev_b32_e32 v32, 16, v32
	v_and_or_b32 v2, 0xffff, v2, v6
	s_delay_alu instid0(VALU_DEP_3) | instskip(NEXT) | instid1(VALU_DEP_3)
	v_and_or_b32 v1, 0xffff, v3, v1
	v_and_or_b32 v3, 0xffff, v4, v32
	;;#ASMSTART
	v_pk_mul_f16 v2, v34, v2;

	;;#ASMEND
	;;#ASMSTART
	v_pk_mul_f16 v1, v33, v1;

	;;#ASMEND
	;; [unrolled: 4-line block ×4, first 2 shown]
	;;#ASMSTART
	v_pk_add_f16 v1, v2, v1;

	;;#ASMEND
	;;#ASMSTART
	v_pk_add_f16 v1, v1, v3;

	;;#ASMEND
	;; [unrolled: 4-line block ×3, first 2 shown]
	v_and_b32_e32 v2, 0xffff, v1
	v_lshrrev_b32_e32 v1, 16, v1
	;;#ASMSTART
	v_cvt_f32_f16 v48, v2;
	;;#ASMEND
	;;#ASMSTART
	v_cvt_f32_f16 v49, v1;
	;;#ASMEND
	global_load_b128 v[2:5], v[18:19], off offset:2560
	s_wait_loadcnt 0x0
	v_dual_lshrrev_b32 v1, 16, v3 :: v_dual_lshrrev_b32 v6, 16, v2
	v_lshrrev_b32_e32 v32, 16, v4
	s_and_saveexec_b32 s11, vcc_lo
	s_cbranch_execz .LBB85_52
; %bb.51:                               ;   in Loop: Header=BB85_40 Depth=1
	v_cmp_gt_i32_e64 s0, s21, v22
	v_and_b32_e32 v50, 0xffff, v5
	v_and_b32_e32 v5, 0xffff0000, v5
	s_delay_alu instid0(VALU_DEP_3) | instskip(SKIP_1) | instid1(VALU_DEP_1)
	v_cndmask_b32_e64 v2, 0, v2, s0
	v_cmp_gt_i32_e64 s0, s21, v30
	v_cndmask_b32_e64 v3, 0, v3, s0
	v_cmp_gt_i32_e64 s0, s10, v31
	s_delay_alu instid0(VALU_DEP_1) | instskip(SKIP_1) | instid1(VALU_DEP_1)
	v_cndmask_b32_e64 v1, 0, v1, s0
	v_cmp_gt_i32_e64 s0, s21, v29
	v_cndmask_b32_e64 v6, 0, v6, s0
	v_cmp_gt_i32_e64 s0, s21, v28
	s_delay_alu instid0(VALU_DEP_1) | instskip(SKIP_1) | instid1(VALU_DEP_1)
	;; [unrolled: 5-line block ×3, first 2 shown]
	v_dual_cndmask_b32 v4, 0, v4, s0 :: v_dual_bitop2_b32 v5, v50, v5 bitop3:0x54
	v_cmp_gt_i32_e64 s0, s21, v25
	v_cndmask_b32_e64 v32, 0, v32, s0
.LBB85_52:                              ;   in Loop: Header=BB85_40 Depth=1
	s_or_b32 exec_lo, exec_lo, s11
	v_dual_lshlrev_b32 v6, 16, v6 :: v_dual_lshlrev_b32 v1, 16, v1
	s_delay_alu instid0(VALU_DEP_2) | instskip(NEXT) | instid1(VALU_DEP_2)
	v_lshlrev_b32_e32 v32, 16, v32
	v_and_or_b32 v2, 0xffff, v2, v6
	s_delay_alu instid0(VALU_DEP_3) | instskip(NEXT) | instid1(VALU_DEP_3)
	v_and_or_b32 v1, 0xffff, v3, v1
	v_and_or_b32 v3, 0xffff, v4, v32
	;;#ASMSTART
	v_pk_mul_f16 v2, v34, v2;

	;;#ASMEND
	;;#ASMSTART
	v_pk_mul_f16 v1, v33, v1;

	;;#ASMEND
	;; [unrolled: 4-line block ×4, first 2 shown]
	;;#ASMSTART
	v_pk_add_f16 v1, v2, v1;

	;;#ASMEND
	;;#ASMSTART
	v_pk_add_f16 v1, v1, v3;

	;;#ASMEND
	;; [unrolled: 4-line block ×3, first 2 shown]
	v_and_b32_e32 v2, 0xffff, v1
	v_lshrrev_b32_e32 v1, 16, v1
	;;#ASMSTART
	v_cvt_f32_f16 v32, v2;
	;;#ASMEND
	;;#ASMSTART
	v_cvt_f32_f16 v50, v1;
	;;#ASMEND
	global_load_b128 v[2:5], v[18:19], off offset:3072
	s_wait_loadcnt 0x0
	v_dual_lshrrev_b32 v1, 16, v3 :: v_dual_lshrrev_b32 v6, 16, v2
	v_lshrrev_b32_e32 v18, 16, v4
	s_and_saveexec_b32 s0, vcc_lo
	s_cbranch_execz .LBB85_39
; %bb.53:                               ;   in Loop: Header=BB85_40 Depth=1
	v_cmp_gt_i32_e32 vcc_lo, s21, v22
	v_and_b32_e32 v19, 0xffff, v5
	v_and_b32_e32 v5, 0xffff0000, v5
	v_cndmask_b32_e32 v2, 0, v2, vcc_lo
	v_cmp_gt_i32_e32 vcc_lo, s21, v30
	v_cndmask_b32_e32 v3, 0, v3, vcc_lo
	v_cmp_gt_i32_e32 vcc_lo, s10, v31
	;; [unrolled: 2-line block ×6, first 2 shown]
	s_delay_alu instid0(VALU_DEP_2)
	v_dual_cndmask_b32 v4, 0, v4, vcc_lo :: v_dual_bitop2_b32 v5, v19, v5 bitop3:0x54
	v_cmp_gt_i32_e32 vcc_lo, s21, v25
	v_cndmask_b32_e32 v18, 0, v18, vcc_lo
	s_branch .LBB85_39
.LBB85_54:
	s_or_b32 exec_lo, exec_lo, s5
.LBB85_55:
	s_delay_alu instid0(SALU_CYCLE_1)
	s_or_b32 exec_lo, exec_lo, s1
	ds_bpermute_b32 v2, v21, v12
	ds_bpermute_b32 v3, v21, v13
	;; [unrolled: 1-line block ×7, first 2 shown]
	v_and_b32_e32 v16, 0x3c1, v0
	v_lshrrev_b32_e32 v1, 1, v20
	s_mov_b32 s0, exec_lo
	s_wait_dscnt 0x0
	s_barrier_signal -1
	s_barrier_wait -1
	v_pk_add_f32 v[12:13], v[12:13], v[2:3]
	v_pk_add_f32 v[4:5], v[10:11], v[4:5]
	;; [unrolled: 1-line block ×3, first 2 shown]
	v_cmpx_ne_u32_e32 64, v16
	s_xor_b32 s0, exec_lo, s0
	s_delay_alu instid0(SALU_CYCLE_1)
	s_or_saveexec_b32 s0, s0
	v_add_f32_e32 v8, v7, v6
	v_lshl_add_u32 v6, v1, 2, 0x100
	v_mul_u32_u24_e32 v7, 0x1c0, v38
	s_xor_b32 exec_lo, exec_lo, s0
	s_cbranch_execz .LBB85_57
; %bb.56:
	s_delay_alu instid0(VALU_DEP_1) | instskip(NEXT) | instid1(VALU_DEP_1)
	v_add_nc_u32_e32 v9, v6, v7
	v_add_nc_u32_e32 v10, 0xfffffc80, v9
	;; [unrolled: 1-line block ×8, first 2 shown]
	ds_store_b32 v10, v12
	ds_store_b32 v11, v13
	;; [unrolled: 1-line block ×7, first 2 shown]
.LBB85_57:
	s_or_b32 exec_lo, exec_lo, s0
	v_lshlrev_b32_e32 v1, 2, v1
	s_mov_b32 s1, exec_lo
	v_cmp_eq_u32_e32 vcc_lo, 0, v37
	s_wait_dscnt 0x0
	s_barrier_signal -1
	v_add3_u32 v1, 0x100, v7, v1
	s_barrier_wait -1
	v_cmpx_gt_u32_e32 64, v0
	s_cbranch_execz .LBB85_67
; %bb.58:
	s_and_saveexec_b32 s0, vcc_lo
	s_cbranch_execnz .LBB85_82
; %bb.59:
	s_or_b32 exec_lo, exec_lo, s0
	s_and_saveexec_b32 s0, vcc_lo
	s_cbranch_execnz .LBB85_83
.LBB85_60:
	s_or_b32 exec_lo, exec_lo, s0
	s_and_saveexec_b32 s0, vcc_lo
	s_cbranch_execnz .LBB85_84
.LBB85_61:
	s_or_b32 exec_lo, exec_lo, s0
	s_and_saveexec_b32 s0, vcc_lo
	s_cbranch_execnz .LBB85_85
.LBB85_62:
	s_or_b32 exec_lo, exec_lo, s0
	s_and_saveexec_b32 s0, vcc_lo
	s_cbranch_execnz .LBB85_86
.LBB85_63:
	s_or_b32 exec_lo, exec_lo, s0
	s_and_saveexec_b32 s0, vcc_lo
	s_cbranch_execnz .LBB85_87
.LBB85_64:
	s_or_b32 exec_lo, exec_lo, s0
	s_and_saveexec_b32 s0, vcc_lo
	s_cbranch_execz .LBB85_66
.LBB85_65:
	ds_load_b32 v7, v1 offset:384
	s_wait_dscnt 0x0
	v_add_f32_e32 v8, v8, v7
.LBB85_66:
	s_or_b32 exec_lo, exec_lo, s0
.LBB85_67:
	s_delay_alu instid0(SALU_CYCLE_1) | instskip(SKIP_4) | instid1(VALU_DEP_1)
	s_or_b32 exec_lo, exec_lo, s1
	v_and_b32_e32 v7, 0x3e1, v0
	s_mov_b32 s1, exec_lo
	s_barrier_signal -1
	s_barrier_wait -1
	v_cmpx_eq_u32_e32 32, v7
	s_cbranch_execz .LBB85_69
; %bb.68:
	ds_store_2addr_b32 v6, v12, v13 offset1:16
	ds_store_2addr_b32 v6, v4, v5 offset0:32 offset1:48
	ds_store_2addr_b32 v6, v2, v3 offset0:64 offset1:80
	ds_store_b32 v6, v8 offset:384
.LBB85_69:
	s_or_b32 exec_lo, exec_lo, s1
	s_delay_alu instid0(SALU_CYCLE_1)
	s_mov_b32 s1, exec_lo
	s_wait_dscnt 0x0
	s_barrier_signal -1
	s_barrier_wait -1
	v_cmpx_gt_u32_e32 32, v0
	s_cbranch_execz .LBB85_79
; %bb.70:
	s_and_saveexec_b32 s0, vcc_lo
	s_cbranch_execnz .LBB85_88
; %bb.71:
	s_or_b32 exec_lo, exec_lo, s0
	s_and_saveexec_b32 s0, vcc_lo
	s_cbranch_execnz .LBB85_89
.LBB85_72:
	s_or_b32 exec_lo, exec_lo, s0
	s_and_saveexec_b32 s0, vcc_lo
	s_cbranch_execnz .LBB85_90
.LBB85_73:
	s_or_b32 exec_lo, exec_lo, s0
	s_and_saveexec_b32 s0, vcc_lo
	s_cbranch_execnz .LBB85_91
.LBB85_74:
	s_or_b32 exec_lo, exec_lo, s0
	s_and_saveexec_b32 s0, vcc_lo
	s_cbranch_execnz .LBB85_92
.LBB85_75:
	s_or_b32 exec_lo, exec_lo, s0
	s_and_saveexec_b32 s0, vcc_lo
	s_cbranch_execnz .LBB85_93
.LBB85_76:
	s_or_b32 exec_lo, exec_lo, s0
	s_and_saveexec_b32 s0, vcc_lo
	s_cbranch_execz .LBB85_78
.LBB85_77:
	ds_load_b32 v0, v1 offset:384
	s_wait_dscnt 0x0
	v_add_f32_e32 v8, v8, v0
.LBB85_78:
	s_or_b32 exec_lo, exec_lo, s0
.LBB85_79:
	s_delay_alu instid0(SALU_CYCLE_1)
	s_or_b32 exec_lo, exec_lo, s1
	s_mov_b32 s1, 0
	s_barrier_signal -1
	s_barrier_wait -1
	s_mov_b32 s0, exec_lo
	v_cmpx_eq_u32_e32 0, v7
	s_cbranch_execz .LBB85_81
; %bb.80:
	s_wait_kmcnt 0x0
	s_mul_i32 s0, s20, s9
	s_mul_i32 s2, s9, s8
	s_mul_i32 s0, s0, s19
	s_lshr_b32 s8, ttmp7, 16
	s_mul_i32 s4, s0, 0x70
	s_bfe_u32 s0, ttmp6, 0x40014
	s_ashr_i32 s5, s4, 31
	s_add_co_i32 s0, s0, 1
	s_ashr_i32 s3, s2, 31
	s_mul_i32 s0, s8, s0
	s_bfe_u32 s9, ttmp6, 0x40008
	s_lshl_b64 s[4:5], s[4:5], 1
	s_lshl_b64 s[2:3], s[2:3], 1
	s_add_co_i32 s9, s9, s0
	s_cmp_eq_u32 s18, 0
	s_add_nc_u64 s[4:5], s[6:7], s[4:5]
	s_cselect_b32 s0, s8, s9
	s_add_nc_u64 s[2:3], s[4:5], s[2:3]
	s_mulk_i32 s0, 0xe0
	;;#ASMSTART
	v_cvt_f16_f32 v0, v12;

	;;#ASMEND
	s_add_nc_u64 s[0:1], s[2:3], s[0:1]
	global_store_b16 v36, v0, s[0:1] scale_offset
	s_wait_xcnt 0x0
	;;#ASMSTART
	v_cvt_f16_f32 v0, v13;

	;;#ASMEND
	global_store_b16 v36, v0, s[0:1] offset:32 scale_offset
	s_wait_xcnt 0x0
	;;#ASMSTART
	v_cvt_f16_f32 v0, v4;

	;;#ASMEND
	global_store_b16 v36, v0, s[0:1] offset:64 scale_offset
	;; [unrolled: 6-line block ×6, first 2 shown]
.LBB85_81:
	s_sendmsg sendmsg(MSG_DEALLOC_VGPRS)
	s_endpgm
.LBB85_82:
	ds_load_b32 v7, v1
	s_wait_dscnt 0x0
	v_add_f32_e32 v12, v12, v7
	s_or_b32 exec_lo, exec_lo, s0
	s_and_saveexec_b32 s0, vcc_lo
	s_cbranch_execz .LBB85_60
.LBB85_83:
	ds_load_b32 v7, v1 offset:64
	s_wait_dscnt 0x0
	v_add_f32_e32 v13, v13, v7
	s_or_b32 exec_lo, exec_lo, s0
	s_and_saveexec_b32 s0, vcc_lo
	s_cbranch_execz .LBB85_61
.LBB85_84:
	ds_load_b32 v7, v1 offset:128
	s_wait_dscnt 0x0
	v_add_f32_e32 v4, v4, v7
	s_or_b32 exec_lo, exec_lo, s0
	s_and_saveexec_b32 s0, vcc_lo
	s_cbranch_execz .LBB85_62
.LBB85_85:
	ds_load_b32 v7, v1 offset:192
	s_wait_dscnt 0x0
	v_add_f32_e32 v5, v5, v7
	s_or_b32 exec_lo, exec_lo, s0
	s_and_saveexec_b32 s0, vcc_lo
	s_cbranch_execz .LBB85_63
.LBB85_86:
	ds_load_b32 v7, v1 offset:256
	s_wait_dscnt 0x0
	v_add_f32_e32 v2, v2, v7
	s_or_b32 exec_lo, exec_lo, s0
	s_and_saveexec_b32 s0, vcc_lo
	s_cbranch_execz .LBB85_64
.LBB85_87:
	ds_load_b32 v7, v1 offset:320
	s_wait_dscnt 0x0
	v_add_f32_e32 v3, v3, v7
	s_or_b32 exec_lo, exec_lo, s0
	s_and_saveexec_b32 s0, vcc_lo
	s_cbranch_execnz .LBB85_65
	s_branch .LBB85_66
.LBB85_88:
	ds_load_b32 v0, v1
	s_wait_dscnt 0x0
	v_add_f32_e32 v12, v12, v0
	s_or_b32 exec_lo, exec_lo, s0
	s_and_saveexec_b32 s0, vcc_lo
	s_cbranch_execz .LBB85_72
.LBB85_89:
	ds_load_b32 v0, v1 offset:64
	s_wait_dscnt 0x0
	v_add_f32_e32 v13, v13, v0
	s_or_b32 exec_lo, exec_lo, s0
	s_and_saveexec_b32 s0, vcc_lo
	s_cbranch_execz .LBB85_73
.LBB85_90:
	ds_load_b32 v0, v1 offset:128
	s_wait_dscnt 0x0
	v_add_f32_e32 v4, v4, v0
	s_or_b32 exec_lo, exec_lo, s0
	s_and_saveexec_b32 s0, vcc_lo
	s_cbranch_execz .LBB85_74
.LBB85_91:
	ds_load_b32 v0, v1 offset:192
	s_wait_dscnt 0x0
	v_add_f32_e32 v5, v5, v0
	s_or_b32 exec_lo, exec_lo, s0
	s_and_saveexec_b32 s0, vcc_lo
	s_cbranch_execz .LBB85_75
.LBB85_92:
	ds_load_b32 v0, v1 offset:256
	s_wait_dscnt 0x0
	v_add_f32_e32 v2, v2, v0
	s_or_b32 exec_lo, exec_lo, s0
	s_and_saveexec_b32 s0, vcc_lo
	s_cbranch_execz .LBB85_76
.LBB85_93:
	ds_load_b32 v0, v1 offset:320
	s_wait_dscnt 0x0
	v_add_f32_e32 v3, v3, v0
	s_or_b32 exec_lo, exec_lo, s0
	s_and_saveexec_b32 s0, vcc_lo
	s_cbranch_execnz .LBB85_77
	s_branch .LBB85_78
	.section	.rodata,"a",@progbits
	.p2align	6, 0x0
	.amdhsa_kernel _ZN4vllm25paged_attention_v1_kernelIttLi112ELi16ELi128ELNS_18Fp8KVCacheDataTypeE0ELb0EEEvPT_PKS2_PKT0_S8_ifPKiSA_iPKfiiiSC_SC_iiiii
		.amdhsa_group_segment_fixed_size 256
		.amdhsa_private_segment_fixed_size 0
		.amdhsa_kernarg_size 384
		.amdhsa_user_sgpr_count 2
		.amdhsa_user_sgpr_dispatch_ptr 0
		.amdhsa_user_sgpr_queue_ptr 0
		.amdhsa_user_sgpr_kernarg_segment_ptr 1
		.amdhsa_user_sgpr_dispatch_id 0
		.amdhsa_user_sgpr_kernarg_preload_length 0
		.amdhsa_user_sgpr_kernarg_preload_offset 0
		.amdhsa_user_sgpr_private_segment_size 0
		.amdhsa_wavefront_size32 1
		.amdhsa_uses_dynamic_stack 0
		.amdhsa_enable_private_segment 0
		.amdhsa_system_sgpr_workgroup_id_x 1
		.amdhsa_system_sgpr_workgroup_id_y 1
		.amdhsa_system_sgpr_workgroup_id_z 1
		.amdhsa_system_sgpr_workgroup_info 0
		.amdhsa_system_vgpr_workitem_id 0
		.amdhsa_next_free_vgpr 91
		.amdhsa_next_free_sgpr 30
		.amdhsa_named_barrier_count 0
		.amdhsa_reserve_vcc 1
		.amdhsa_float_round_mode_32 0
		.amdhsa_float_round_mode_16_64 0
		.amdhsa_float_denorm_mode_32 3
		.amdhsa_float_denorm_mode_16_64 3
		.amdhsa_fp16_overflow 0
		.amdhsa_memory_ordered 1
		.amdhsa_forward_progress 1
		.amdhsa_inst_pref_size 60
		.amdhsa_round_robin_scheduling 0
		.amdhsa_exception_fp_ieee_invalid_op 0
		.amdhsa_exception_fp_denorm_src 0
		.amdhsa_exception_fp_ieee_div_zero 0
		.amdhsa_exception_fp_ieee_overflow 0
		.amdhsa_exception_fp_ieee_underflow 0
		.amdhsa_exception_fp_ieee_inexact 0
		.amdhsa_exception_int_div_zero 0
	.end_amdhsa_kernel
	.section	.text._ZN4vllm25paged_attention_v1_kernelIttLi112ELi16ELi128ELNS_18Fp8KVCacheDataTypeE0ELb0EEEvPT_PKS2_PKT0_S8_ifPKiSA_iPKfiiiSC_SC_iiiii,"axG",@progbits,_ZN4vllm25paged_attention_v1_kernelIttLi112ELi16ELi128ELNS_18Fp8KVCacheDataTypeE0ELb0EEEvPT_PKS2_PKT0_S8_ifPKiSA_iPKfiiiSC_SC_iiiii,comdat
.Lfunc_end85:
	.size	_ZN4vllm25paged_attention_v1_kernelIttLi112ELi16ELi128ELNS_18Fp8KVCacheDataTypeE0ELb0EEEvPT_PKS2_PKT0_S8_ifPKiSA_iPKfiiiSC_SC_iiiii, .Lfunc_end85-_ZN4vllm25paged_attention_v1_kernelIttLi112ELi16ELi128ELNS_18Fp8KVCacheDataTypeE0ELb0EEEvPT_PKS2_PKT0_S8_ifPKiSA_iPKfiiiSC_SC_iiiii
                                        ; -- End function
	.set _ZN4vllm25paged_attention_v1_kernelIttLi112ELi16ELi128ELNS_18Fp8KVCacheDataTypeE0ELb0EEEvPT_PKS2_PKT0_S8_ifPKiSA_iPKfiiiSC_SC_iiiii.num_vgpr, 91
	.set _ZN4vllm25paged_attention_v1_kernelIttLi112ELi16ELi128ELNS_18Fp8KVCacheDataTypeE0ELb0EEEvPT_PKS2_PKT0_S8_ifPKiSA_iPKfiiiSC_SC_iiiii.num_agpr, 0
	.set _ZN4vllm25paged_attention_v1_kernelIttLi112ELi16ELi128ELNS_18Fp8KVCacheDataTypeE0ELb0EEEvPT_PKS2_PKT0_S8_ifPKiSA_iPKfiiiSC_SC_iiiii.numbered_sgpr, 30
	.set _ZN4vllm25paged_attention_v1_kernelIttLi112ELi16ELi128ELNS_18Fp8KVCacheDataTypeE0ELb0EEEvPT_PKS2_PKT0_S8_ifPKiSA_iPKfiiiSC_SC_iiiii.num_named_barrier, 0
	.set _ZN4vllm25paged_attention_v1_kernelIttLi112ELi16ELi128ELNS_18Fp8KVCacheDataTypeE0ELb0EEEvPT_PKS2_PKT0_S8_ifPKiSA_iPKfiiiSC_SC_iiiii.private_seg_size, 0
	.set _ZN4vllm25paged_attention_v1_kernelIttLi112ELi16ELi128ELNS_18Fp8KVCacheDataTypeE0ELb0EEEvPT_PKS2_PKT0_S8_ifPKiSA_iPKfiiiSC_SC_iiiii.uses_vcc, 1
	.set _ZN4vllm25paged_attention_v1_kernelIttLi112ELi16ELi128ELNS_18Fp8KVCacheDataTypeE0ELb0EEEvPT_PKS2_PKT0_S8_ifPKiSA_iPKfiiiSC_SC_iiiii.uses_flat_scratch, 0
	.set _ZN4vllm25paged_attention_v1_kernelIttLi112ELi16ELi128ELNS_18Fp8KVCacheDataTypeE0ELb0EEEvPT_PKS2_PKT0_S8_ifPKiSA_iPKfiiiSC_SC_iiiii.has_dyn_sized_stack, 0
	.set _ZN4vllm25paged_attention_v1_kernelIttLi112ELi16ELi128ELNS_18Fp8KVCacheDataTypeE0ELb0EEEvPT_PKS2_PKT0_S8_ifPKiSA_iPKfiiiSC_SC_iiiii.has_recursion, 0
	.set _ZN4vllm25paged_attention_v1_kernelIttLi112ELi16ELi128ELNS_18Fp8KVCacheDataTypeE0ELb0EEEvPT_PKS2_PKT0_S8_ifPKiSA_iPKfiiiSC_SC_iiiii.has_indirect_call, 0
	.section	.AMDGPU.csdata,"",@progbits
; Kernel info:
; codeLenInByte = 7584
; TotalNumSgprs: 32
; NumVgprs: 91
; ScratchSize: 0
; MemoryBound: 0
; FloatMode: 240
; IeeeMode: 1
; LDSByteSize: 256 bytes/workgroup (compile time only)
; SGPRBlocks: 0
; VGPRBlocks: 5
; NumSGPRsForWavesPerEU: 32
; NumVGPRsForWavesPerEU: 91
; NamedBarCnt: 0
; Occupancy: 10
; WaveLimiterHint : 1
; COMPUTE_PGM_RSRC2:SCRATCH_EN: 0
; COMPUTE_PGM_RSRC2:USER_SGPR: 2
; COMPUTE_PGM_RSRC2:TRAP_HANDLER: 0
; COMPUTE_PGM_RSRC2:TGID_X_EN: 1
; COMPUTE_PGM_RSRC2:TGID_Y_EN: 1
; COMPUTE_PGM_RSRC2:TGID_Z_EN: 1
; COMPUTE_PGM_RSRC2:TIDIG_COMP_CNT: 0
	.section	.text._ZN4vllm25paged_attention_v1_kernelIttLi120ELi16ELi128ELNS_18Fp8KVCacheDataTypeE0ELb0EEEvPT_PKS2_PKT0_S8_ifPKiSA_iPKfiiiSC_SC_iiiii,"axG",@progbits,_ZN4vllm25paged_attention_v1_kernelIttLi120ELi16ELi128ELNS_18Fp8KVCacheDataTypeE0ELb0EEEvPT_PKS2_PKT0_S8_ifPKiSA_iPKfiiiSC_SC_iiiii,comdat
	.protected	_ZN4vllm25paged_attention_v1_kernelIttLi120ELi16ELi128ELNS_18Fp8KVCacheDataTypeE0ELb0EEEvPT_PKS2_PKT0_S8_ifPKiSA_iPKfiiiSC_SC_iiiii ; -- Begin function _ZN4vllm25paged_attention_v1_kernelIttLi120ELi16ELi128ELNS_18Fp8KVCacheDataTypeE0ELb0EEEvPT_PKS2_PKT0_S8_ifPKiSA_iPKfiiiSC_SC_iiiii
	.globl	_ZN4vllm25paged_attention_v1_kernelIttLi120ELi16ELi128ELNS_18Fp8KVCacheDataTypeE0ELb0EEEvPT_PKS2_PKT0_S8_ifPKiSA_iPKfiiiSC_SC_iiiii
	.p2align	8
	.type	_ZN4vllm25paged_attention_v1_kernelIttLi120ELi16ELi128ELNS_18Fp8KVCacheDataTypeE0ELb0EEEvPT_PKS2_PKT0_S8_ifPKiSA_iPKfiiiSC_SC_iiiii,@function
_ZN4vllm25paged_attention_v1_kernelIttLi120ELi16ELi128ELNS_18Fp8KVCacheDataTypeE0ELb0EEEvPT_PKS2_PKT0_S8_ifPKiSA_iPKfiiiSC_SC_iiiii: ; @_ZN4vllm25paged_attention_v1_kernelIttLi120ELi16ELi128ELNS_18Fp8KVCacheDataTypeE0ELb0EEEvPT_PKS2_PKT0_S8_ifPKiSA_iPKfiiiSC_SC_iiiii
; %bb.0:
	s_load_b64 s[6:7], s[0:1], 0x20
	s_bfe_u32 s3, ttmp6, 0x4000c
	s_bfe_u32 s5, ttmp6, 0x40010
	s_and_b32 s4, ttmp7, 0xffff
	s_add_co_i32 s3, s3, 1
	s_add_co_i32 s5, s5, 1
	s_and_b32 s2, ttmp6, 15
	s_bfe_u32 s8, ttmp6, 0x40004
	s_mul_i32 s3, ttmp9, s3
	s_mul_i32 s5, s4, s5
	s_getreg_b32 s18, hwreg(HW_REG_IB_STS2, 6, 4)
	s_add_co_i32 s2, s2, s3
	s_add_co_i32 s8, s8, s5
	s_cmp_eq_u32 s18, 0
	s_clause 0x1
	s_load_b32 s19, s[0:1], 0x80
	s_load_b64 s[10:11], s[0:1], 0x30
	s_cselect_b32 s20, s4, s8
	s_cselect_b32 s8, ttmp9, s2
	s_wait_kmcnt 0x0
	s_abs_i32 s2, s6
	s_delay_alu instid0(SALU_CYCLE_1) | instskip(SKIP_1) | instid1(SALU_CYCLE_2)
	s_cvt_f32_u32 s3, s2
	s_sub_co_i32 s4, 0, s2
	v_rcp_iflag_f32_e32 v1, s3
	s_abs_i32 s5, s19
	v_nop
	s_delay_alu instid0(TRANS32_DEP_1) | instskip(SKIP_1) | instid1(SALU_CYCLE_3)
	v_readfirstlane_b32 s3, v1
	s_mul_f32 s3, s3, 0x4f7ffffe
	s_cvt_u32_f32 s3, s3
	s_delay_alu instid0(SALU_CYCLE_3) | instskip(NEXT) | instid1(SALU_CYCLE_1)
	s_mul_i32 s4, s4, s3
	s_mul_hi_u32 s4, s3, s4
	s_delay_alu instid0(SALU_CYCLE_1) | instskip(SKIP_4) | instid1(SALU_CYCLE_1)
	s_add_co_i32 s3, s3, s4
	s_xor_b32 s4, s19, s6
	s_mul_hi_u32 s3, s5, s3
	s_ashr_i32 s4, s4, 31
	s_mul_i32 s6, s3, s2
	s_sub_co_i32 s5, s5, s6
	s_add_co_i32 s6, s3, 1
	s_sub_co_i32 s9, s5, s2
	s_cmp_ge_u32 s5, s2
	s_cselect_b32 s3, s6, s3
	s_cselect_b32 s5, s9, s5
	s_add_co_i32 s6, s3, 1
	s_cmp_ge_u32 s5, s2
	s_cselect_b32 s2, s6, s3
	s_mov_b32 s3, 0
	s_xor_b32 s2, s2, s4
	s_mov_b32 s13, s3
	s_sub_co_i32 s15, s2, s4
	s_load_b64 s[4:5], s[0:1], 0x40
	s_abs_i32 s14, s15
	s_mov_b32 s23, s3
	s_cvt_f32_u32 s2, s14
	s_delay_alu instid0(SALU_CYCLE_3) | instskip(SKIP_1) | instid1(TRANS32_DEP_1)
	v_rcp_iflag_f32_e32 v1, s2
	v_nop
	v_readfirstlane_b32 s2, v1
	s_mul_f32 s2, s2, 0x4f7ffffe
	s_delay_alu instid0(SALU_CYCLE_3) | instskip(SKIP_1) | instid1(SALU_CYCLE_2)
	s_cvt_u32_f32 s6, s2
	s_sub_co_i32 s2, 0, s14
	s_mul_i32 s2, s2, s6
	s_delay_alu instid0(SALU_CYCLE_1)
	s_mul_hi_u32 s9, s6, s2
	s_abs_i32 s2, s8
	s_add_co_i32 s12, s6, s9
	s_wait_kmcnt 0x0
	s_cmp_eq_u64 s[4:5], 0
	s_cbranch_scc1 .LBB86_2
; %bb.1:
	s_ashr_i32 s9, s8, 31
	s_delay_alu instid0(SALU_CYCLE_1) | instskip(NEXT) | instid1(SALU_CYCLE_1)
	s_lshl_b64 s[16:17], s[8:9], 2
	s_add_nc_u64 s[4:5], s[4:5], s[16:17]
	s_load_b32 s23, s[4:5], 0x0
.LBB86_2:
	s_load_b32 s21, s[10:11], s20 offset:0x0 scale_offset
	s_wait_xcnt 0x0
	s_load_b96 s[4:6], s[0:1], 0x48
	v_dual_lshrrev_b32 v38, 1, v0 :: v_dual_bitop2_b32 v39, 1, v0 bitop3:0x40
	s_ashr_i32 s16, s8, 31
	s_ashr_i32 s15, s15, 31
	s_mul_u64 s[10:11], s[2:3], s[12:13]
	s_mulk_i32 s8, 0x78
	s_mov_b32 s3, exec_lo
	v_cmpx_gt_u32_e32 30, v0
	s_cbranch_execz .LBB86_4
; %bb.3:
	s_load_b64 s[12:13], s[0:1], 0x8
	s_wait_kmcnt 0x0
	s_mul_i32 s24, s4, s20
	s_ashr_i32 s9, s8, 31
	s_ashr_i32 s25, s24, 31
	v_lshlrev_b32_e32 v1, 3, v38
	s_lshl_b64 s[24:25], s[24:25], 1
	s_delay_alu instid0(VALU_DEP_1) | instskip(SKIP_2) | instid1(SALU_CYCLE_1)
	v_mad_u32_u24 v1, 0x78, v39, v1
	s_add_nc_u64 s[12:13], s[12:13], s[24:25]
	s_lshl_b64 s[24:25], s[8:9], 1
	s_add_nc_u64 s[12:13], s[12:13], s[24:25]
	global_load_b64 v[2:3], v0, s[12:13] scale_offset
	s_wait_loadcnt 0x0
	ds_store_b64 v1, v[2:3]
.LBB86_4:
	s_or_b32 exec_lo, exec_lo, s3
	s_wait_kmcnt 0x0
	s_add_co_i32 s3, s21, 15
	s_load_b32 s4, s[0:1], 0x38
	s_ashr_i32 s9, s3, 31
	s_mul_i32 s12, s11, s14
	s_lshr_b32 s9, s9, 28
	s_sub_co_i32 s2, s2, s12
	s_add_co_i32 s3, s3, s9
	s_xor_b32 s10, s16, s15
	s_ashr_i32 s22, s3, 4
	s_add_co_i32 s3, s11, 1
	s_sub_co_i32 s9, s2, s14
	s_cmp_ge_u32 s2, s14
	v_lshrrev_b32_e32 v40, 5, v0
	s_cselect_b32 s3, s3, s11
	s_cselect_b32 s2, s9, s2
	s_add_co_i32 s9, s3, 1
	s_cmp_ge_u32 s2, s14
	v_mbcnt_lo_u32_b32 v42, -1, 0
	s_cselect_b32 s2, s9, s3
	s_wait_dscnt 0x0
	s_xor_b32 s2, s2, s10
	s_barrier_signal -1
	s_sub_co_i32 s3, s2, s10
	v_cmp_le_i32_e64 s2, s22, v40
	s_wait_kmcnt 0x0
	s_mul_i32 s10, s4, s20
	s_barrier_wait -1
	s_ashr_i32 s11, s10, 31
                                        ; implicit-def: $vgpr3
                                        ; implicit-def: $vgpr2
	s_and_saveexec_b32 s4, s2
	s_delay_alu instid0(SALU_CYCLE_1)
	s_xor_b32 s4, exec_lo, s4
; %bb.5:
	v_dual_mov_b32 v3, 0 :: v_dual_mov_b32 v2, 32
	v_mbcnt_lo_u32_b32 v42, -1, 0
; %bb.6:
	s_or_saveexec_b32 s24, s4
	s_clause 0x1
	s_load_b64 s[12:13], s[0:1], 0x28
	s_load_b32 s9, s[0:1], 0x88
	v_mov_b32_e32 v43, 0xff7fffff
	v_dual_lshlrev_b32 v41, 3, v0 :: v_dual_lshrrev_b32 v1, 3, v0
	s_mul_i32 s14, s3, s6
	s_xor_b32 exec_lo, exec_lo, s24
	s_cbranch_execz .LBB86_12
; %bb.7:
	s_load_b64 s[26:27], s[0:1], 0x10
	v_bfe_u32 v6, v0, 1, 4
	s_ashr_i32 s15, s14, 31
	v_mov_b32_e32 v3, 0
	s_lshl_b64 s[28:29], s[14:15], 1
	s_ashr_i32 s17, s5, 31
	v_dual_lshlrev_b32 v2, 4, v6 :: v_dual_lshlrev_b32 v7, 2, v6
	s_cmp_neq_f32 s23, 0
	v_lshl_or_b32 v45, v40, 4, v6
	v_mul_u32_u24_e32 v44, 0x78, v39
	v_mov_b32_e32 v43, 0xff7fffff
	s_cselect_b32 s3, -1, 0
	v_dual_mov_b32 v48, v40 :: v_dual_bitop2_b32 v47, 1, v42 bitop3:0x14
	s_mov_b32 s16, s5
	s_mov_b32 s6, 0
	s_sub_co_i32 s15, 1, s21
	v_cmp_eq_u32_e32 vcc_lo, 0, v39
	s_wait_kmcnt 0x0
	s_add_nc_u64 s[26:27], s[26:27], s[28:29]
	s_delay_alu instid0(SALU_CYCLE_1) | instskip(SKIP_3) | instid1(SALU_CYCLE_1)
	v_add_nc_u64_e32 v[4:5], s[26:27], v[2:3]
	v_and_b32_e32 v2, 8, v41
	v_lshl_or_b32 v7, v40, 6, v7
	s_lshl_b64 s[26:27], s[10:11], 2
	s_add_nc_u64 s[26:27], s[12:13], s[26:27]
	s_delay_alu instid0(VALU_DEP_1) | instskip(NEXT) | instid1(VALU_DEP_4)
	v_add_nc_u32_e32 v46, 0x110, v7
	v_add_nc_u64_e32 v[4:5], v[4:5], v[2:3]
	v_and_b32_e32 v2, 0x7c, v1
	s_delay_alu instid0(VALU_DEP_1)
	v_add_nc_u64_e32 v[6:7], s[26:27], v[2:3]
	v_mov_b32_e32 v2, 32
	s_branch .LBB86_9
.LBB86_8:                               ;   in Loop: Header=BB86_9 Depth=1
	s_or_b32 exec_lo, exec_lo, s25
	v_dual_add_nc_u32 v48, 4, v48 :: v_dual_add_nc_u32 v45, 64, v45
	v_add_nc_u64_e32 v[6:7], 16, v[6:7]
	v_add_nc_u32_e32 v46, 0x100, v46
	s_delay_alu instid0(VALU_DEP_3) | instskip(SKIP_1) | instid1(SALU_CYCLE_1)
	v_cmp_le_i32_e64 s4, s22, v48
	s_or_b32 s6, s4, s6
	s_and_not1_b32 exec_lo, exec_lo, s6
	s_cbranch_execz .LBB86_11
.LBB86_9:                               ; =>This Inner Loop Header: Depth=1
	global_load_b32 v8, v[6:7], off
	v_cmp_gt_i32_e64 s4, 32, v47
	s_wait_loadcnt_dscnt 0x0
	v_ashrrev_i32_e32 v9, 31, v8
	s_delay_alu instid0(VALU_DEP_1) | instskip(NEXT) | instid1(VALU_DEP_1)
	v_mul_u64_e32 v[8:9], s[16:17], v[8:9]
	v_lshl_add_u64 v[34:35], v[8:9], 1, v[4:5]
	s_clause 0x9
	global_load_b64 v[50:51], v[34:35], off
	global_load_b64 v[36:37], v[34:35], off offset:256
	global_load_b64 v[32:33], v[34:35], off offset:512
	;; [unrolled: 1-line block ×9, first 2 shown]
	ds_load_b64 v[8:9], v44
	s_wait_dscnt 0x0
	v_and_b32_e32 v49, 0xffff, v8
	v_dual_lshrrev_b32 v52, 16, v8 :: v_dual_lshrrev_b32 v57, 16, v9
	v_and_b32_e32 v58, 0xffff, v9
	s_clause 0x4
	global_load_b64 v[18:19], v[34:35], off offset:2560
	global_load_b64 v[14:15], v[34:35], off offset:2816
	;; [unrolled: 1-line block ×5, first 2 shown]
	;;#ASMSTART
	v_cvt_f32_f16 v54, v49;
	;;#ASMEND
	;;#ASMSTART
	v_cvt_f32_f16 v53, v52;
	;;#ASMEND
	s_wait_loadcnt 0xe
	s_wait_xcnt 0x0
	v_and_b32_e32 v34, 0xffff, v50
	v_dual_lshrrev_b32 v35, 16, v50 :: v_dual_lshrrev_b32 v59, 16, v51
	v_and_b32_e32 v51, 0xffff, v51
	;;#ASMSTART
	v_cvt_f32_f16 v56, v34;
	;;#ASMEND
	;;#ASMSTART
	v_cvt_f32_f16 v55, v35;
	;;#ASMEND
	;; [unrolled: 3-line block ×5, first 2 shown]
	s_wait_loadcnt 0xd
	v_lshrrev_b32_e32 v57, 16, v36
	;;#ASMSTART
	v_cvt_f32_f16 v51, v59;
	;;#ASMEND
	ds_load_b64 v[34:35], v44 offset:8
	v_and_b32_e32 v36, 0xffff, v36
	v_lshrrev_b32_e32 v60, 16, v37
	v_and_b32_e32 v61, 0xffff, v37
	s_wait_loadcnt 0xc
	v_and_b32_e32 v65, 0xffff, v32
	v_and_b32_e32 v66, 0xffff, v33
	v_lshrrev_b32_e32 v64, 16, v32
	s_wait_loadcnt 0xa
	v_lshrrev_b32_e32 v75, 16, v28
	v_and_b32_e32 v28, 0xffff, v28
	s_wait_loadcnt 0x9
	v_lshrrev_b32_e32 v81, 16, v26
	v_and_b32_e32 v26, 0xffff, v26
	s_wait_loadcnt 0x7
	v_lshrrev_b32_e32 v89, 16, v22
	v_and_b32_e32 v22, 0xffff, v22
	s_wait_dscnt 0x0
	v_and_b32_e32 v58, 0xffff, v34
	v_lshrrev_b32_e32 v34, 16, v34
	v_and_b32_e32 v62, 0xffff, v35
	v_lshrrev_b32_e32 v63, 16, v35
	;;#ASMSTART
	v_cvt_f32_f16 v37, v58;
	;;#ASMEND
	;;#ASMSTART
	v_cvt_f32_f16 v35, v34;
	;;#ASMEND
	;; [unrolled: 3-line block ×8, first 2 shown]
	ds_load_b64 v[62:63], v44 offset:16
	v_lshrrev_b32_e32 v67, 16, v33
	s_wait_dscnt 0x0
	v_and_b32_e32 v32, 0xffff, v62
	v_lshrrev_b32_e32 v62, 16, v62
	v_and_b32_e32 v68, 0xffff, v63
	v_lshrrev_b32_e32 v69, 16, v63
	;;#ASMSTART
	v_cvt_f32_f16 v61, v32;
	;;#ASMEND
	;;#ASMSTART
	v_cvt_f32_f16 v32, v62;
	;;#ASMEND
	;; [unrolled: 3-line block ×8, first 2 shown]
	ds_load_b64 v[68:69], v44 offset:24
	v_lshrrev_b32_e32 v67, 16, v30
	v_and_b32_e32 v30, 0xffff, v30
	v_lshrrev_b32_e32 v70, 16, v31
	v_and_b32_e32 v31, 0xffff, v31
	s_wait_dscnt 0x0
	v_and_b32_e32 v71, 0xffff, v68
	v_lshrrev_b32_e32 v68, 16, v68
	v_and_b32_e32 v72, 0xffff, v69
	v_lshrrev_b32_e32 v69, 16, v69
	;;#ASMSTART
	v_cvt_f32_f16 v71, v71;
	;;#ASMEND
	;;#ASMSTART
	v_cvt_f32_f16 v68, v68;
	;;#ASMEND
	;; [unrolled: 3-line block ×8, first 2 shown]
	ds_load_b64 v[30:31], v44 offset:32
	v_lshrrev_b32_e32 v76, 16, v29
	v_and_b32_e32 v29, 0xffff, v29
	s_wait_dscnt 0x0
	v_and_b32_e32 v77, 0xffff, v30
	v_lshrrev_b32_e32 v30, 16, v30
	v_and_b32_e32 v78, 0xffff, v31
	v_lshrrev_b32_e32 v31, 16, v31
	;;#ASMSTART
	v_cvt_f32_f16 v77, v77;
	;;#ASMEND
	;;#ASMSTART
	v_cvt_f32_f16 v30, v30;
	;;#ASMEND
	;; [unrolled: 3-line block ×8, first 2 shown]
	ds_load_b64 v[28:29], v44 offset:40
	v_lshrrev_b32_e32 v82, 16, v27
	v_and_b32_e32 v27, 0xffff, v27
	s_wait_dscnt 0x0
	v_and_b32_e32 v83, 0xffff, v28
	v_dual_lshrrev_b32 v28, 16, v28 :: v_dual_lshrrev_b32 v84, 16, v29
	v_and_b32_e32 v29, 0xffff, v29
	;;#ASMSTART
	v_cvt_f32_f16 v83, v83;
	;;#ASMEND
	;;#ASMSTART
	v_cvt_f32_f16 v85, v28;
	;;#ASMEND
	;; [unrolled: 3-line block ×8, first 2 shown]
	ds_load_b64 v[28:29], v44 offset:48
	v_dual_mul_f32 v26, v37, v59 :: v_dual_lshrrev_b32 v27, 16, v24
	v_and_b32_e32 v37, 0xffff, v24
	v_mul_f32_e32 v24, v35, v57
	v_lshrrev_b32_e32 v35, 16, v25
	v_and_b32_e32 v25, 0xffff, v25
	s_delay_alu instid0(VALU_DEP_3) | instskip(NEXT) | instid1(VALU_DEP_1)
	v_dual_fmac_f32 v26, v54, v56 :: v_dual_fmac_f32 v24, v53, v55
	v_fmac_f32_e32 v26, v61, v63
	s_wait_dscnt 0x0
	v_and_b32_e32 v54, 0xffff, v28
	v_dual_lshrrev_b32 v28, 16, v28 :: v_dual_lshrrev_b32 v53, 16, v29
	v_and_b32_e32 v29, 0xffff, v29
	;;#ASMSTART
	v_cvt_f32_f16 v54, v54;
	;;#ASMEND
	;;#ASMSTART
	v_cvt_f32_f16 v55, v28;
	;;#ASMEND
	;; [unrolled: 3-line block ×8, first 2 shown]
	ds_load_b64 v[28:29], v44 offset:56
	v_dual_mul_f32 v25, v36, v58 :: v_dual_mul_f32 v27, v34, v60
	v_lshrrev_b32_e32 v34, 16, v23
	v_and_b32_e32 v23, 0xffff, v23
	s_wait_loadcnt 0x6
	v_lshrrev_b32_e32 v58, 16, v20
	v_dual_fmac_f32 v25, v50, v52 :: v_dual_fmac_f32 v27, v49, v51
	v_and_b32_e32 v20, 0xffff, v20
	v_lshrrev_b32_e32 v60, 16, v21
	v_and_b32_e32 v21, 0xffff, v21
	s_delay_alu instid0(VALU_DEP_4)
	v_dual_fmac_f32 v26, v71, v73 :: v_dual_fmac_f32 v27, v62, v64
	s_wait_loadcnt 0x5
	v_lshrrev_b32_e32 v62, 16, v17
	v_and_b32_e32 v17, 0xffff, v17
	s_wait_loadcnt 0x4
	v_lshrrev_b32_e32 v71, 16, v18
	v_and_b32_e32 v18, 0xffff, v18
	s_wait_dscnt 0x0
	v_and_b32_e32 v36, 0xffff, v28
	v_dual_lshrrev_b32 v28, 16, v28 :: v_dual_lshrrev_b32 v49, 16, v29
	v_and_b32_e32 v29, 0xffff, v29
	;;#ASMSTART
	v_cvt_f32_f16 v36, v36;
	;;#ASMEND
	;;#ASMSTART
	v_cvt_f32_f16 v28, v28;
	;;#ASMEND
	;; [unrolled: 3-line block ×8, first 2 shown]
	ds_load_b64 v[22:23], v44 offset:64
	v_dual_fmac_f32 v24, v32, v33 :: v_dual_fmac_f32 v25, v65, v66
	v_lshrrev_b32_e32 v65, 16, v16
	v_and_b32_e32 v16, 0xffff, v16
	s_wait_dscnt 0x0
	v_and_b32_e32 v32, 0xffff, v22
	v_dual_lshrrev_b32 v22, 16, v22 :: v_dual_lshrrev_b32 v33, 16, v23
	v_and_b32_e32 v23, 0xffff, v23
	;;#ASMSTART
	v_cvt_f32_f16 v32, v32;
	;;#ASMEND
	;;#ASMSTART
	v_cvt_f32_f16 v22, v22;
	;;#ASMEND
	;; [unrolled: 3-line block ×8, first 2 shown]
	ds_load_b64 v[20:21], v44 offset:72
	v_fmac_f32_e32 v24, v68, v67
	v_dual_fmac_f32 v25, v72, v74 :: v_dual_lshrrev_b32 v72, 16, v19
	v_and_b32_e32 v19, 0xffff, v19
	s_delay_alu instid0(VALU_DEP_3) | instskip(SKIP_1) | instid1(VALU_DEP_3)
	v_fmac_f32_e32 v24, v30, v75
	s_wait_loadcnt 0x3
	v_dual_fmac_f32 v25, v78, v80 :: v_dual_lshrrev_b32 v30, 16, v15
	v_and_b32_e32 v15, 0xffff, v15
	s_wait_loadcnt 0x2
	v_lshrrev_b32_e32 v80, 16, v13
	v_fmac_f32_e32 v24, v85, v81
	v_and_b32_e32 v13, 0xffff, v13
	v_fmac_f32_e32 v25, v87, v88
	s_delay_alu instid0(VALU_DEP_3)
	v_fmac_f32_e32 v24, v55, v56
	s_wait_dscnt 0x0
	v_and_b32_e32 v64, 0xffff, v20
	v_dual_lshrrev_b32 v20, 16, v20 :: v_dual_lshrrev_b32 v66, 16, v21
	v_and_b32_e32 v21, 0xffff, v21
	;;#ASMSTART
	v_cvt_f32_f16 v64, v64;
	;;#ASMEND
	;;#ASMSTART
	v_cvt_f32_f16 v20, v20;
	;;#ASMEND
	;; [unrolled: 3-line block ×8, first 2 shown]
	ds_load_b64 v[16:17], v44 offset:80
	v_fmac_f32_e32 v27, v69, v70
	v_dual_fmac_f32 v26, v77, v79 :: v_dual_lshrrev_b32 v77, 16, v14
	v_and_b32_e32 v14, 0xffff, v14
	s_wait_dscnt 0x0
	v_and_b32_e32 v69, 0xffff, v16
	v_dual_lshrrev_b32 v16, 16, v16 :: v_dual_lshrrev_b32 v70, 16, v17
	v_and_b32_e32 v17, 0xffff, v17
	;;#ASMSTART
	v_cvt_f32_f16 v69, v69;
	;;#ASMEND
	;;#ASMSTART
	v_cvt_f32_f16 v73, v16;
	;;#ASMEND
	;; [unrolled: 3-line block ×8, first 2 shown]
	ds_load_b64 v[16:17], v44 offset:88
	v_fmac_f32_e32 v27, v31, v76
	v_dual_fmac_f32 v26, v83, v86 :: v_dual_lshrrev_b32 v79, 16, v12
	s_wait_loadcnt 0x1
	v_lshrrev_b32_e32 v83, 16, v10
	v_and_b32_e32 v12, 0xffff, v12
	v_fmac_f32_e32 v27, v84, v82
	v_and_b32_e32 v10, 0xffff, v10
	v_dual_fmac_f32 v26, v54, v37 :: v_dual_lshrrev_b32 v37, 16, v11
	v_and_b32_e32 v11, 0xffff, v11
	s_delay_alu instid0(VALU_DEP_2) | instskip(NEXT) | instid1(VALU_DEP_1)
	v_dual_fmac_f32 v26, v36, v50 :: v_dual_fmac_f32 v25, v57, v59
	v_fmac_f32_e32 v26, v32, v61
	s_delay_alu instid0(VALU_DEP_2)
	v_dual_fmac_f32 v24, v28, v51 :: v_dual_fmac_f32 v25, v29, v52
	s_wait_dscnt 0x0
	v_and_b32_e32 v75, 0xffff, v16
	v_dual_lshrrev_b32 v16, 16, v16 :: v_dual_lshrrev_b32 v31, 16, v17
	v_and_b32_e32 v17, 0xffff, v17
	;;#ASMSTART
	v_cvt_f32_f16 v75, v75;
	;;#ASMEND
	;;#ASMSTART
	v_cvt_f32_f16 v16, v16;
	;;#ASMEND
	;; [unrolled: 3-line block ×8, first 2 shown]
	ds_load_b64 v[14:15], v44 offset:96
	v_dual_fmac_f32 v27, v53, v35 :: v_dual_fmac_f32 v24, v22, v58
	s_wait_loadcnt 0x0
	v_lshrrev_b32_e32 v22, 16, v8
	v_and_b32_e32 v8, 0xffff, v8
	s_delay_alu instid0(VALU_DEP_3) | instskip(NEXT) | instid1(VALU_DEP_1)
	v_dual_fmac_f32 v27, v49, v34 :: v_dual_fmac_f32 v25, v23, v63
	v_dual_fmac_f32 v27, v33, v60 :: v_dual_fmac_f32 v24, v20, v65
	s_delay_alu instid0(VALU_DEP_1) | instskip(NEXT) | instid1(VALU_DEP_2)
	v_dual_fmac_f32 v25, v21, v68 :: v_dual_fmac_f32 v27, v66, v62
	v_fmac_f32_e32 v24, v73, v71
	s_delay_alu instid0(VALU_DEP_2)
	v_fmac_f32_e32 v25, v74, v19
	s_wait_dscnt 0x0
	v_and_b32_e32 v81, 0xffff, v14
	v_dual_lshrrev_b32 v14, 16, v14 :: v_dual_lshrrev_b32 v85, 16, v15
	v_and_b32_e32 v15, 0xffff, v15
	;;#ASMSTART
	v_cvt_f32_f16 v81, v81;
	;;#ASMEND
	;;#ASMSTART
	v_cvt_f32_f16 v14, v14;
	;;#ASMEND
	;; [unrolled: 3-line block ×8, first 2 shown]
	ds_load_b64 v[12:13], v44 offset:104
	v_dual_fmac_f32 v26, v64, v67 :: v_dual_fmac_f32 v27, v70, v72
	v_dual_fmac_f32 v24, v16, v77 :: v_dual_fmac_f32 v25, v17, v78
	v_lshrrev_b32_e32 v16, 16, v9
	v_and_b32_e32 v9, 0xffff, v9
	s_delay_alu instid0(VALU_DEP_3) | instskip(NEXT) | instid1(VALU_DEP_4)
	v_dual_fmac_f32 v27, v31, v30 :: v_dual_fmac_f32 v24, v14, v79
	v_fmac_f32_e32 v25, v15, v87
	s_wait_dscnt 0x0
	v_and_b32_e32 v20, 0xffff, v12
	v_dual_lshrrev_b32 v12, 16, v12 :: v_dual_lshrrev_b32 v21, 16, v13
	v_and_b32_e32 v13, 0xffff, v13
	;;#ASMSTART
	v_cvt_f32_f16 v20, v20;
	;;#ASMEND
	;;#ASMSTART
	v_cvt_f32_f16 v12, v12;
	;;#ASMEND
	;; [unrolled: 3-line block ×8, first 2 shown]
	ds_load_b64 v[10:11], v44 offset:112
	v_dual_fmac_f32 v26, v69, v18 :: v_dual_fmac_f32 v24, v12, v28
	s_delay_alu instid0(VALU_DEP_1) | instskip(NEXT) | instid1(VALU_DEP_1)
	v_dual_fmac_f32 v25, v13, v29 :: v_dual_fmac_f32 v26, v75, v76
	v_fmac_f32_e32 v26, v81, v86
	s_delay_alu instid0(VALU_DEP_1) | instskip(NEXT) | instid1(VALU_DEP_1)
	v_dual_fmac_f32 v27, v85, v80 :: v_dual_fmac_f32 v26, v20, v23
	v_fmac_f32_e32 v27, v21, v32
	s_wait_dscnt 0x0
	v_and_b32_e32 v12, 0xffff, v10
	v_lshrrev_b32_e32 v10, 16, v10
	;;#ASMSTART
	v_cvt_f32_f16 v12, v12;
	;;#ASMEND
	;;#ASMSTART
	v_cvt_f32_f16 v10, v10;
	;;#ASMEND
	;; [unrolled: 3-line block ×3, first 2 shown]
	v_dual_fmac_f32 v26, v12, v8 :: v_dual_lshrrev_b32 v13, 16, v11
	v_and_b32_e32 v11, 0xffff, v11
	;;#ASMSTART
	v_cvt_f32_f16 v14, v22;
	;;#ASMEND
	;;#ASMSTART
	v_cvt_f32_f16 v8, v11;
	;;#ASMEND
	v_fmac_f32_e32 v24, v10, v14
	;;#ASMSTART
	v_cvt_f32_f16 v10, v13;
	;;#ASMEND
	;;#ASMSTART
	v_cvt_f32_f16 v9, v9;
	;;#ASMEND
	v_fmac_f32_e32 v25, v8, v9
	;;#ASMSTART
	v_cvt_f32_f16 v9, v16;
	;;#ASMEND
	v_fmac_f32_e32 v27, v10, v9
	v_cndmask_b32_e64 v9, v42, v47, s4
	s_delay_alu instid0(VALU_DEP_1) | instskip(NEXT) | instid1(VALU_DEP_1)
	v_dual_add_f32 v8, v26, v24 :: v_dual_lshlrev_b32 v9, 2, v9
	v_add_f32_e32 v8, v8, v25
	s_delay_alu instid0(VALU_DEP_1)
	v_add_f32_e32 v8, v27, v8
	ds_bpermute_b32 v9, v9, v8
	s_and_saveexec_b32 s25, vcc_lo
	s_cbranch_execz .LBB86_8
; %bb.10:                               ;   in Loop: Header=BB86_9 Depth=1
	s_wait_dscnt 0x0
	v_add_f32_e32 v8, v8, v9
	v_add_nc_u32_e32 v10, s15, v45
	v_cmp_gt_i32_e64 s4, s21, v45
	s_delay_alu instid0(VALU_DEP_2) | instskip(NEXT) | instid1(VALU_DEP_1)
	v_cvt_f32_i32_e32 v10, v10
	v_mul_f32_e32 v10, s23, v10
	s_delay_alu instid0(VALU_DEP_1) | instskip(NEXT) | instid1(VALU_DEP_1)
	v_dual_cndmask_b32 v9, 0, v10, s3 :: v_dual_max_num_f32 v10, v43, v43
	v_fmac_f32_e32 v9, s7, v8
	s_delay_alu instid0(VALU_DEP_1) | instskip(NEXT) | instid1(VALU_DEP_1)
	v_dual_max_num_f32 v8, v10, v9 :: v_dual_cndmask_b32 v9, 0, v9, s4
	v_cndmask_b32_e64 v43, v43, v8, s4
	ds_store_b32 v46, v9
	s_branch .LBB86_8
.LBB86_11:
	s_or_b32 exec_lo, exec_lo, s6
.LBB86_12:
	s_delay_alu instid0(SALU_CYCLE_1)
	s_or_b32 exec_lo, exec_lo, s24
	v_dual_max_num_f32 v8, v43, v43 :: v_dual_bitop2_b32 v4, 16, v42 bitop3:0x14
	s_clause 0x1
	s_load_b64 s[6:7], s[0:1], 0x0
	s_load_b64 s[16:17], s[0:1], 0x18
	v_xor_b32_e32 v5, 8, v42
	v_cmp_lt_i32_e32 vcc_lo, v4, v2
	v_cndmask_b32_e32 v4, v42, v4, vcc_lo
	s_delay_alu instid0(VALU_DEP_3) | instskip(NEXT) | instid1(VALU_DEP_2)
	v_cmp_lt_i32_e32 vcc_lo, v5, v2
	v_dual_cndmask_b32 v5, v42, v5 :: v_dual_lshlrev_b32 v6, 2, v4
	ds_bpermute_b32 v4, v6, v43
	s_wait_dscnt 0x0
	v_dual_max_num_f32 v4, v4, v4 :: v_dual_lshlrev_b32 v7, 2, v5
	s_delay_alu instid0(VALU_DEP_1) | instskip(SKIP_4) | instid1(VALU_DEP_1)
	v_dual_max_num_f32 v4, v8, v4 :: v_dual_bitop2_b32 v8, 4, v42 bitop3:0x14
	ds_bpermute_b32 v5, v7, v4
	v_cmp_lt_i32_e32 vcc_lo, v8, v2
	s_wait_dscnt 0x0
	v_dual_cndmask_b32 v8, v42, v8 :: v_dual_max_num_f32 v5, v5, v5
	v_dual_lshlrev_b32 v8, 2, v8 :: v_dual_max_num_f32 v4, v4, v5
	ds_bpermute_b32 v5, v8, v4
	s_wait_dscnt 0x0
	v_dual_max_num_f32 v5, v5, v5 :: v_dual_bitop2_b32 v9, 2, v42 bitop3:0x14
	s_delay_alu instid0(VALU_DEP_1) | instskip(NEXT) | instid1(VALU_DEP_2)
	v_cmp_lt_i32_e32 vcc_lo, v9, v2
	v_max_num_f32_e32 v10, v4, v5
	v_dual_cndmask_b32 v9, v42, v9, vcc_lo :: v_dual_bitop2_b32 v4, 31, v0 bitop3:0x40
	s_delay_alu instid0(VALU_DEP_1) | instskip(NEXT) | instid1(VALU_DEP_2)
	v_dual_lshlrev_b32 v5, 2, v9 :: v_dual_lshlrev_b32 v9, 2, v40
	v_cmp_eq_u32_e32 vcc_lo, 0, v4
	ds_bpermute_b32 v11, v5, v10
	s_wait_xcnt 0x0
	s_and_saveexec_b32 s0, vcc_lo
	s_cbranch_execz .LBB86_14
; %bb.13:
	s_wait_dscnt 0x0
	v_dual_max_num_f32 v11, v11, v11 :: v_dual_max_num_f32 v10, v10, v10
	s_delay_alu instid0(VALU_DEP_1)
	v_max_num_f32_e32 v10, v10, v11
	ds_store_b32 v9, v10 offset:240
.LBB86_14:
	s_or_b32 exec_lo, exec_lo, s0
	v_cmp_gt_u32_e64 s0, 4, v4
	s_wait_dscnt 0x0
	v_dual_mov_b32 v11, 0xff7fffff :: v_dual_lshlrev_b32 v10, 2, v4
	s_barrier_signal -1
	s_barrier_wait -1
	s_and_saveexec_b32 s1, s0
; %bb.15:
	ds_load_b32 v11, v10 offset:240
; %bb.16:
	s_or_b32 exec_lo, exec_lo, s1
	s_wait_dscnt 0x0
	ds_bpermute_b32 v12, v5, v11
	v_dual_max_num_f32 v11, v11, v11 :: v_dual_bitop2_b32 v13, 1, v42 bitop3:0x14
	v_lshlrev_b32_e32 v3, 2, v3
	s_delay_alu instid0(VALU_DEP_2) | instskip(NEXT) | instid1(VALU_DEP_1)
	v_cmp_lt_i32_e64 s1, v13, v2
	v_cndmask_b32_e64 v2, v42, v13, s1
	s_lshl_b32 s1, s22, 4
	s_delay_alu instid0(SALU_CYCLE_1) | instskip(NEXT) | instid1(SALU_CYCLE_1)
	s_min_i32 s4, s1, s21
	v_cmp_gt_i32_e64 s1, s4, v0
	s_wait_dscnt 0x0
	v_dual_max_num_f32 v12, v12, v12 :: v_dual_lshlrev_b32 v26, 2, v2
	s_delay_alu instid0(VALU_DEP_1) | instskip(SKIP_3) | instid1(VALU_DEP_1)
	v_max_num_f32_e32 v2, v11, v12
	ds_bpermute_b32 v11, v26, v2
	s_wait_dscnt 0x0
	v_max_num_f32_e32 v11, v11, v11
	v_max_num_f32_e32 v2, v2, v11
	ds_bpermute_b32 v3, v3, v2
	v_mov_b32_e32 v2, 0
	s_and_saveexec_b32 s15, s1
	s_cbranch_execz .LBB86_20
; %bb.17:
	v_lshl_add_u32 v11, v0, 2, 0x110
	v_dual_mov_b32 v2, 0 :: v_dual_mov_b32 v12, v0
	s_mov_b32 s23, 0
.LBB86_18:                              ; =>This Inner Loop Header: Depth=1
	ds_load_b32 v13, v11
	v_add_nc_u32_e32 v12, 0x80, v12
	s_delay_alu instid0(VALU_DEP_1) | instskip(SKIP_3) | instid1(VALU_DEP_1)
	v_cmp_le_i32_e64 s3, s4, v12
	s_or_b32 s23, s3, s23
	s_wait_dscnt 0x0
	v_sub_f32_e32 v13, v13, v3
	v_mul_f32_e32 v13, 0x3fb8aa3b, v13
	s_delay_alu instid0(VALU_DEP_1)
	v_exp_f32_e32 v13, v13
	ds_store_b32 v11, v13
	v_nop
	v_dual_add_f32 v2, v2, v13 :: v_dual_add_nc_u32 v11, 0x200, v11
	s_and_not1_b32 exec_lo, exec_lo, s23
	s_cbranch_execnz .LBB86_18
; %bb.19:
	s_or_b32 exec_lo, exec_lo, s23
.LBB86_20:
	s_delay_alu instid0(SALU_CYCLE_1)
	s_or_b32 exec_lo, exec_lo, s15
	s_wait_dscnt 0x0
	ds_bpermute_b32 v3, v6, v2
	s_wait_dscnt 0x0
	v_add_f32_e32 v2, v2, v3
	ds_bpermute_b32 v3, v7, v2
	s_wait_dscnt 0x0
	v_add_f32_e32 v2, v2, v3
	;; [unrolled: 3-line block ×5, first 2 shown]
	s_and_saveexec_b32 s3, vcc_lo
; %bb.21:
	ds_store_b32 v9, v2 offset:256
; %bb.22:
	s_or_b32 exec_lo, exec_lo, s3
	s_wait_dscnt 0x0
	s_barrier_signal -1
	s_barrier_wait -1
	s_and_saveexec_b32 s3, s0
; %bb.23:
	ds_load_b32 v2, v10 offset:256
; %bb.24:
	s_or_b32 exec_lo, exec_lo, s3
	s_wait_dscnt 0x0
	ds_bpermute_b32 v3, v5, v2
	s_wait_dscnt 0x0
	v_dual_add_f32 v2, v2, v3 :: v_dual_lshlrev_b32 v5, 2, v42
	ds_bpermute_b32 v3, v26, v2
	s_wait_dscnt 0x0
	v_add_f32_e32 v2, v2, v3
	v_and_b32_e32 v3, 0xffffff80, v5
	ds_bpermute_b32 v2, v3, v2
	s_and_saveexec_b32 s0, s1
	s_cbranch_execz .LBB86_37
; %bb.25:
	s_wait_dscnt 0x0
	v_add_f32_e32 v2, 0x358637bd, v2
	s_mov_b32 s3, -1
	s_mov_b32 s1, exec_lo
	s_delay_alu instid0(VALU_DEP_1) | instskip(SKIP_1) | instid1(VALU_DEP_2)
	v_div_scale_f32 v3, null, v2, v2, 1.0
	v_div_scale_f32 v7, vcc_lo, 1.0, v2, 1.0
	v_rcp_f32_e32 v6, v3
	v_nop
	s_delay_alu instid0(TRANS32_DEP_1) | instskip(NEXT) | instid1(VALU_DEP_1)
	v_fma_f32 v5, -v3, v6, 1.0
	v_fmac_f32_e32 v6, v5, v6
	s_delay_alu instid0(VALU_DEP_1) | instskip(NEXT) | instid1(VALU_DEP_1)
	v_mul_f32_e32 v8, v7, v6
	v_fma_f32 v5, -v3, v8, v7
	s_delay_alu instid0(VALU_DEP_1) | instskip(SKIP_1) | instid1(VALU_DEP_2)
	v_fmac_f32_e32 v8, v5, v6
	v_xad_u32 v5, v0, -1, s4
	v_fma_f32 v3, -v3, v8, v7
	s_delay_alu instid0(VALU_DEP_1) | instskip(NEXT) | instid1(VALU_DEP_1)
	v_div_fmas_f32 v3, v3, v6, v8
	v_div_fixup_f32 v2, v3, v2, 1.0
	v_mov_b32_e32 v3, v0
	v_cmpx_lt_u32_e32 0x7f, v5
	s_cbranch_execz .LBB86_34
; %bb.26:
	s_delay_alu instid0(VALU_DEP_3) | instskip(NEXT) | instid1(VALU_DEP_1)
	v_dual_lshrrev_b32 v5, 7, v5 :: v_dual_mov_b32 v3, v2
	v_dual_mov_b32 v9, 0 :: v_dual_add_nc_u32 v6, -1, v5
	s_delay_alu instid0(VALU_DEP_1) | instskip(SKIP_1) | instid1(VALU_DEP_2)
	v_lshrrev_b32_e32 v7, 1, v6
	v_cmp_lt_u32_e32 vcc_lo, 13, v6
	v_add_nc_u32_e32 v6, 1, v7
	s_and_saveexec_b32 s3, vcc_lo
	s_cbranch_execz .LBB86_30
; %bb.27:
	s_delay_alu instid0(VALU_DEP_1)
	v_and_b32_e32 v7, -8, v6
	v_lshl_add_u32 v8, v0, 2, 0x110
	s_mov_b32 s15, 0
	s_mov_b32 s23, 0
.LBB86_28:                              ; =>This Inner Loop Header: Depth=1
	ds_load_2addr_stride64_b32 v[10:11], v8 offset1:2
	ds_load_2addr_stride64_b32 v[12:13], v8 offset0:4 offset1:6
	ds_load_2addr_stride64_b32 v[14:15], v8 offset0:8 offset1:10
	;; [unrolled: 1-line block ×7, first 2 shown]
	s_add_co_i32 s23, s23, 16
	s_delay_alu instid0(SALU_CYCLE_1) | instskip(NEXT) | instid1(VALU_DEP_1)
	v_dual_add_nc_u32 v7, -8, v7 :: v_dual_mov_b32 v9, s23
	v_cmp_eq_u32_e32 vcc_lo, 0, v7
	s_or_b32 s15, vcc_lo, s15
	s_wait_dscnt 0x7
	v_pk_mul_f32 v[10:11], v[2:3], v[10:11]
	s_wait_dscnt 0x6
	v_pk_mul_f32 v[12:13], v[2:3], v[12:13]
	;; [unrolled: 2-line block ×8, first 2 shown]
	ds_store_2addr_stride64_b32 v8, v10, v11 offset1:2
	ds_store_2addr_stride64_b32 v8, v12, v13 offset0:4 offset1:6
	ds_store_2addr_stride64_b32 v8, v14, v15 offset0:8 offset1:10
	;; [unrolled: 1-line block ×7, first 2 shown]
	v_add_nc_u32_e32 v8, 0x2000, v8
	s_and_not1_b32 exec_lo, exec_lo, s15
	s_cbranch_execnz .LBB86_28
; %bb.29:
	s_or_b32 exec_lo, exec_lo, s15
.LBB86_30:
	s_delay_alu instid0(SALU_CYCLE_1) | instskip(NEXT) | instid1(VALU_DEP_1)
	s_or_b32 exec_lo, exec_lo, s3
	v_and_b32_e32 v6, 7, v6
	s_mov_b32 s15, 0
	s_mov_b32 s3, exec_lo
	s_delay_alu instid0(VALU_DEP_1)
	v_cmpx_ne_u32_e32 0, v6
	s_cbranch_execz .LBB86_33
; %bb.31:
	v_dual_lshlrev_b32 v7, 9, v9 :: v_dual_lshlrev_b32 v8, 2, v0
	s_delay_alu instid0(VALU_DEP_1)
	v_add3_u32 v7, v7, v8, 0x110
.LBB86_32:                              ; =>This Inner Loop Header: Depth=1
	ds_load_2addr_stride64_b32 v[8:9], v7 offset1:2
	v_add_nc_u32_e32 v6, -1, v6
	s_delay_alu instid0(VALU_DEP_1)
	v_cmp_eq_u32_e32 vcc_lo, 0, v6
	s_or_b32 s15, vcc_lo, s15
	s_wait_dscnt 0x0
	v_pk_mul_f32 v[8:9], v[2:3], v[8:9]
	ds_store_2addr_stride64_b32 v7, v8, v9 offset1:2
	v_add_nc_u32_e32 v7, 0x400, v7
	s_and_not1_b32 exec_lo, exec_lo, s15
	s_cbranch_execnz .LBB86_32
.LBB86_33:
	s_or_b32 exec_lo, exec_lo, s3
	v_add_nc_u32_e32 v3, 1, v5
	s_delay_alu instid0(VALU_DEP_1) | instskip(NEXT) | instid1(VALU_DEP_1)
	v_and_b32_e32 v5, 0x3fffffe, v3
	v_cmp_ne_u32_e32 vcc_lo, v3, v5
	v_lshl_add_u32 v3, v5, 7, v0
	s_or_not1_b32 s3, vcc_lo, exec_lo
.LBB86_34:
	s_or_b32 exec_lo, exec_lo, s1
	s_delay_alu instid0(SALU_CYCLE_1)
	s_and_b32 exec_lo, exec_lo, s3
	s_cbranch_execz .LBB86_37
; %bb.35:
	v_lshl_add_u32 v5, v3, 2, 0x110
	s_mov_b32 s1, 0
.LBB86_36:                              ; =>This Inner Loop Header: Depth=1
	ds_load_b32 v6, v5
	s_wait_dscnt 0x0
	v_dual_mul_f32 v6, v2, v6 :: v_dual_add_nc_u32 v3, 0x80, v3
	s_delay_alu instid0(VALU_DEP_1) | instskip(SKIP_3) | instid1(SALU_CYCLE_1)
	v_cmp_le_i32_e32 vcc_lo, s4, v3
	ds_store_b32 v5, v6
	v_add_nc_u32_e32 v5, 0x200, v5
	s_or_b32 s1, vcc_lo, s1
	s_and_not1_b32 exec_lo, exec_lo, s1
	s_cbranch_execnz .LBB86_36
.LBB86_37:
	s_or_b32 exec_lo, exec_lo, s0
	v_lshrrev_b32_e32 v25, 1, v4
	s_wait_dscnt 0x0
	s_barrier_signal -1
	s_barrier_wait -1
	s_and_saveexec_b32 s0, s2
	s_delay_alu instid0(SALU_CYCLE_1)
	s_xor_b32 s0, exec_lo, s0
; %bb.38:
	v_lshrrev_b32_e32 v25, 1, v4
                                        ; implicit-def: $vgpr41
                                        ; implicit-def: $vgpr1
; %bb.39:
	s_or_saveexec_b32 s23, s0
	v_dual_mov_b32 v7, 0 :: v_dual_mov_b32 v6, 0
	v_dual_mov_b32 v9, 0 :: v_dual_mov_b32 v8, 0
	;; [unrolled: 1-line block ×4, first 2 shown]
	s_xor_b32 exec_lo, exec_lo, s23
	s_cbranch_execz .LBB86_61
; %bb.40:
	v_dual_lshlrev_b32 v5, 5, v39 :: v_dual_bitop2_b32 v3, 8, v41 bitop3:0x40
	s_ashr_i32 s15, s14, 31
	v_or_b32_e32 v4, 0x70, v25
	s_lshl_b64 s[0:1], s[14:15], 1
	v_and_b32_e32 v14, 0x7c, v1
	v_lshl_or_b32 v5, v40, 6, v5
	v_mov_b32_e32 v15, 0
	s_ashr_i32 s3, s5, 31
	s_mov_b32 s2, s5
	s_wait_kmcnt 0x0
	s_add_nc_u64 s[4:5], s[16:17], s[0:1]
	s_lshl_b64 s[0:1], s[10:11], 2
	v_lshl_or_b32 v2, v25, 4, v3
	v_cmp_gt_u32_e32 vcc_lo, 0x78, v4
	v_lshl_or_b32 v4, v4, 4, v3
	s_add_nc_u64 s[0:1], s[12:13], s[0:1]
	v_add_nc_u32_e32 v28, 0x110, v5
	v_add_nc_u64_e32 v[16:17], s[0:1], v[14:15]
	v_lshl_or_b32 v27, v40, 4, v3
	v_dual_mov_b32 v19, v15 :: v_dual_lshlrev_b32 v18, 1, v2
	v_dual_mov_b32 v7, v15 :: v_dual_lshlrev_b32 v14, 1, v4
	v_dual_mov_b32 v6, v15 :: v_dual_mov_b32 v9, v15
	v_dual_mov_b32 v8, v15 :: v_dual_mov_b32 v11, v15
	;; [unrolled: 1-line block ×4, first 2 shown]
	s_add_co_i32 s10, s22, -1
	s_mov_b32 s12, s21
	s_mov_b32 s11, 0
	s_branch .LBB86_43
.LBB86_41:                              ;   in Loop: Header=BB86_43 Depth=1
	s_or_b32 exec_lo, exec_lo, s13
	v_dual_lshlrev_b32 v20, 16, v20 :: v_dual_lshlrev_b32 v1, 16, v1
	s_delay_alu instid0(VALU_DEP_2) | instskip(NEXT) | instid1(VALU_DEP_2)
	v_lshlrev_b32_e32 v21, 16, v21
	v_and_or_b32 v2, 0xffff, v2, v20
	s_delay_alu instid0(VALU_DEP_3) | instskip(NEXT) | instid1(VALU_DEP_3)
	v_and_or_b32 v1, 0xffff, v3, v1
	v_and_or_b32 v3, 0xffff, v4, v21
	;;#ASMSTART
	v_pk_mul_f16 v2, v34, v2;

	;;#ASMEND
	;;#ASMSTART
	v_pk_mul_f16 v1, v33, v1;

	;;#ASMEND
	;; [unrolled: 4-line block ×4, first 2 shown]
	;;#ASMSTART
	v_pk_add_f16 v1, v2, v1;

	;;#ASMEND
	;;#ASMSTART
	v_pk_add_f16 v1, v1, v3;

	;;#ASMEND
	;; [unrolled: 4-line block ×3, first 2 shown]
	v_and_b32_e32 v2, 0xffff, v1
	v_lshrrev_b32_e32 v1, 16, v1
	;;#ASMSTART
	v_cvt_f32_f16 v2, v2;
	;;#ASMEND
	;;#ASMSTART
	v_cvt_f32_f16 v1, v1;
	;;#ASMEND
	s_delay_alu instid0(VALU_DEP_1) | instskip(NEXT) | instid1(VALU_DEP_1)
	v_add_f32_e32 v1, v2, v1
	v_add_f32_e32 v7, v7, v1
.LBB86_42:                              ;   in Loop: Header=BB86_43 Depth=1
	s_or_b32 exec_lo, exec_lo, s1
	v_dual_add_f32 v1, v22, v23 :: v_dual_add_f32 v2, v24, v30
	v_add_f32_e32 v3, v46, v47
	v_add_nc_u64_e32 v[16:17], 16, v[16:17]
	v_add_nc_u32_e32 v28, 0x100, v28
	s_delay_alu instid0(VALU_DEP_4) | instskip(NEXT) | instid1(VALU_DEP_4)
	v_dual_add_f32 v4, v31, v32 :: v_dual_add_f32 v9, v9, v2
	v_dual_add_f32 v6, v6, v1 :: v_dual_add_f32 v8, v8, v3
	;; [unrolled: 1-line block ×3, first 2 shown]
	v_add_nc_u32_e32 v29, 4, v29
	s_delay_alu instid0(VALU_DEP_4) | instskip(NEXT) | instid1(VALU_DEP_3)
	v_dual_add_f32 v3, v37, v41 :: v_dual_add_f32 v12, v12, v4
	v_dual_add_f32 v10, v10, v2 :: v_dual_add_nc_u32 v27, 64, v27
	s_delay_alu instid0(VALU_DEP_3) | instskip(NEXT) | instid1(VALU_DEP_3)
	v_cmp_le_i32_e64 s0, s22, v29
	v_dual_add_f32 v11, v11, v1 :: v_dual_add_f32 v13, v13, v3
	s_or_b32 s11, s0, s11
	s_delay_alu instid0(SALU_CYCLE_1)
	s_and_not1_b32 exec_lo, exec_lo, s11
	s_cbranch_execz .LBB86_60
.LBB86_43:                              ; =>This Inner Loop Header: Depth=1
	global_load_b32 v2, v[16:17], off
	v_cmp_eq_u32_e64 s0, s10, v29
	s_wait_loadcnt 0x0
	v_ashrrev_i32_e32 v3, 31, v2
	s_delay_alu instid0(VALU_DEP_1)
	v_mul_u64_e32 v[20:21], s[2:3], v[2:3]
	ds_load_2addr_b64 v[2:5], v28 offset1:1
	ds_load_2addr_b64 v[42:45], v28 offset0:2 offset1:3
	s_wait_dscnt 0x1
	;;#ASMSTART
	v_cvt_f16_f32 v34, v2;

	;;#ASMEND
	;;#ASMSTART
	v_cvt_f16_f32 v32, v3;

	;;#ASMEND
	;; [unrolled: 4-line block ×4, first 2 shown]
	s_wait_dscnt 0x0
	;;#ASMSTART
	v_cvt_f16_f32 v41, v42;

	;;#ASMEND
	;;#ASMSTART
	v_cvt_f16_f32 v35, v43;

	;;#ASMEND
	;; [unrolled: 4-line block ×4, first 2 shown]
	v_lshl_add_u64 v[20:21], v[20:21], 1, s[4:5]
	s_delay_alu instid0(VALU_DEP_1)
	v_add_nc_u64_e32 v[22:23], v[20:21], v[18:19]
	global_load_b128 v[2:5], v[22:23], off
	s_wait_loadcnt 0x0
	v_dual_lshrrev_b32 v1, 16, v3 :: v_dual_lshrrev_b32 v30, 16, v4
	v_lshrrev_b32_e32 v24, 16, v2
	s_and_saveexec_b32 s13, s0
	s_cbranch_execz .LBB86_45
; %bb.44:                               ;   in Loop: Header=BB86_43 Depth=1
	v_dual_add_nc_u32 v42, 2, v27 :: v_dual_bitop2_b32 v43, 3, v27 bitop3:0x54
	v_cmp_gt_i32_e64 s1, s21, v27
	v_dual_add_nc_u32 v45, 7, v27 :: v_dual_bitop2_b32 v44, 1, v27 bitop3:0x54
	s_delay_alu instid0(VALU_DEP_2) | instskip(NEXT) | instid1(VALU_DEP_4)
	v_cndmask_b32_e64 v2, 0, v2, s1
	v_cmp_gt_i32_e64 s1, s21, v42
	v_add_nc_u32_e32 v42, 4, v27
	s_delay_alu instid0(VALU_DEP_2) | instskip(SKIP_1) | instid1(VALU_DEP_1)
	v_cndmask_b32_e64 v3, 0, v3, s1
	v_cmp_gt_i32_e64 s1, s12, v43
	v_dual_add_nc_u32 v43, 6, v27 :: v_dual_cndmask_b32 v1, 0, v1, s1
	v_cmp_gt_i32_e64 s1, s21, v44
	v_and_b32_e32 v44, 0xffff, v5
	v_and_b32_e32 v5, 0xffff0000, v5
	s_delay_alu instid0(VALU_DEP_3) | instskip(SKIP_1) | instid1(VALU_DEP_1)
	v_cndmask_b32_e64 v24, 0, v24, s1
	v_cmp_gt_i32_e64 s1, s21, v43
	v_dual_add_nc_u32 v46, 5, v27 :: v_dual_cndmask_b32 v43, 0, v44, s1
	v_cmp_gt_i32_e64 s1, s21, v45
	s_delay_alu instid0(VALU_DEP_1) | instskip(SKIP_1) | instid1(VALU_DEP_1)
	v_cndmask_b32_e64 v5, 0, v5, s1
	v_cmp_gt_i32_e64 s1, s21, v42
	v_cndmask_b32_e64 v4, 0, v4, s1
	v_cmp_gt_i32_e64 s1, s21, v46
	s_delay_alu instid0(VALU_DEP_1)
	v_dual_cndmask_b32 v30, 0, v30, s1 :: v_dual_bitop2_b32 v5, v43, v5 bitop3:0x54
.LBB86_45:                              ;   in Loop: Header=BB86_43 Depth=1
	s_or_b32 exec_lo, exec_lo, s13
	v_and_b32_e32 v34, 0xffff, v34
	v_dual_lshlrev_b32 v24, 16, v24 :: v_dual_lshlrev_b32 v1, 16, v1
	v_and_b32_e32 v37, 0xffff, v37
	v_lshlrev_b32_e32 v30, 16, v30
	v_and_b32_e32 v41, 0xffff, v41
	v_lshl_or_b32 v34, v32, 16, v34
	v_and_b32_e32 v32, 0xffff, v36
	v_and_or_b32 v2, 0xffff, v2, v24
	v_and_or_b32 v1, 0xffff, v3, v1
	v_lshl_or_b32 v33, v33, 16, v37
	v_and_or_b32 v3, 0xffff, v4, v30
	;;#ASMSTART
	v_pk_mul_f16 v2, v34, v2;

	;;#ASMEND
	;;#ASMSTART
	v_pk_mul_f16 v1, v33, v1;

	;;#ASMEND
	v_lshl_or_b32 v35, v35, 16, v41
	v_lshl_or_b32 v36, v31, 16, v32
	;;#ASMSTART
	v_pk_mul_f16 v3, v35, v3;

	;;#ASMEND
	;;#ASMSTART
	v_pk_mul_f16 v4, v36, v5;

	;;#ASMEND
	;;#ASMSTART
	v_pk_add_f16 v1, v2, v1;

	;;#ASMEND
	;;#ASMSTART
	v_pk_add_f16 v1, v1, v3;
	;; [unrolled: 4-line block ×3, first 2 shown]

	;;#ASMEND
	v_and_b32_e32 v2, 0xffff, v1
	v_lshrrev_b32_e32 v1, 16, v1
	;;#ASMSTART
	v_cvt_f32_f16 v31, v2;
	;;#ASMEND
	;;#ASMSTART
	v_cvt_f32_f16 v32, v1;
	;;#ASMEND
	global_load_b128 v[2:5], v[22:23], off offset:512
	s_wait_loadcnt 0x0
	v_dual_lshrrev_b32 v1, 16, v3 :: v_dual_lshrrev_b32 v24, 16, v2
	v_lshrrev_b32_e32 v30, 16, v4
	s_and_saveexec_b32 s13, s0
	s_cbranch_execz .LBB86_47
; %bb.46:                               ;   in Loop: Header=BB86_43 Depth=1
	v_dual_add_nc_u32 v37, 2, v27 :: v_dual_bitop2_b32 v41, 3, v27 bitop3:0x54
	v_cmp_gt_i32_e64 s1, s21, v27
	v_dual_add_nc_u32 v43, 7, v27 :: v_dual_bitop2_b32 v42, 1, v27 bitop3:0x54
	s_delay_alu instid0(VALU_DEP_2) | instskip(NEXT) | instid1(VALU_DEP_4)
	v_cndmask_b32_e64 v2, 0, v2, s1
	v_cmp_gt_i32_e64 s1, s21, v37
	v_add_nc_u32_e32 v37, 4, v27
	s_delay_alu instid0(VALU_DEP_2) | instskip(SKIP_1) | instid1(VALU_DEP_1)
	v_cndmask_b32_e64 v3, 0, v3, s1
	v_cmp_gt_i32_e64 s1, s12, v41
	v_dual_add_nc_u32 v41, 6, v27 :: v_dual_cndmask_b32 v1, 0, v1, s1
	v_cmp_gt_i32_e64 s1, s21, v42
	v_and_b32_e32 v42, 0xffff, v5
	v_and_b32_e32 v5, 0xffff0000, v5
	s_delay_alu instid0(VALU_DEP_3) | instskip(SKIP_1) | instid1(VALU_DEP_1)
	v_cndmask_b32_e64 v24, 0, v24, s1
	v_cmp_gt_i32_e64 s1, s21, v41
	v_dual_add_nc_u32 v44, 5, v27 :: v_dual_cndmask_b32 v41, 0, v42, s1
	v_cmp_gt_i32_e64 s1, s21, v43
	s_delay_alu instid0(VALU_DEP_1) | instskip(SKIP_1) | instid1(VALU_DEP_1)
	v_cndmask_b32_e64 v5, 0, v5, s1
	v_cmp_gt_i32_e64 s1, s21, v37
	v_cndmask_b32_e64 v4, 0, v4, s1
	v_cmp_gt_i32_e64 s1, s21, v44
	s_delay_alu instid0(VALU_DEP_1)
	v_dual_cndmask_b32 v30, 0, v30, s1 :: v_dual_bitop2_b32 v5, v41, v5 bitop3:0x54
.LBB86_47:                              ;   in Loop: Header=BB86_43 Depth=1
	s_or_b32 exec_lo, exec_lo, s13
	v_dual_lshlrev_b32 v24, 16, v24 :: v_dual_lshlrev_b32 v1, 16, v1
	s_delay_alu instid0(VALU_DEP_2) | instskip(NEXT) | instid1(VALU_DEP_2)
	v_lshlrev_b32_e32 v30, 16, v30
	v_and_or_b32 v2, 0xffff, v2, v24
	s_delay_alu instid0(VALU_DEP_3) | instskip(NEXT) | instid1(VALU_DEP_3)
	v_and_or_b32 v1, 0xffff, v3, v1
	v_and_or_b32 v3, 0xffff, v4, v30
	;;#ASMSTART
	v_pk_mul_f16 v2, v34, v2;

	;;#ASMEND
	;;#ASMSTART
	v_pk_mul_f16 v1, v33, v1;

	;;#ASMEND
	;; [unrolled: 4-line block ×4, first 2 shown]
	;;#ASMSTART
	v_pk_add_f16 v1, v2, v1;

	;;#ASMEND
	;;#ASMSTART
	v_pk_add_f16 v1, v1, v3;

	;;#ASMEND
	;; [unrolled: 4-line block ×3, first 2 shown]
	v_and_b32_e32 v2, 0xffff, v1
	v_lshrrev_b32_e32 v1, 16, v1
	;;#ASMSTART
	v_cvt_f32_f16 v37, v2;
	;;#ASMEND
	;;#ASMSTART
	v_cvt_f32_f16 v41, v1;
	;;#ASMEND
	global_load_b128 v[2:5], v[22:23], off offset:1024
	s_wait_loadcnt 0x0
	v_dual_lshrrev_b32 v1, 16, v3 :: v_dual_lshrrev_b32 v24, 16, v2
	v_lshrrev_b32_e32 v30, 16, v4
	s_and_saveexec_b32 s13, s0
	s_cbranch_execz .LBB86_49
; %bb.48:                               ;   in Loop: Header=BB86_43 Depth=1
	v_dual_add_nc_u32 v42, 2, v27 :: v_dual_bitop2_b32 v43, 3, v27 bitop3:0x54
	v_cmp_gt_i32_e64 s1, s21, v27
	v_dual_add_nc_u32 v45, 7, v27 :: v_dual_bitop2_b32 v44, 1, v27 bitop3:0x54
	s_delay_alu instid0(VALU_DEP_2) | instskip(NEXT) | instid1(VALU_DEP_4)
	v_cndmask_b32_e64 v2, 0, v2, s1
	v_cmp_gt_i32_e64 s1, s21, v42
	v_add_nc_u32_e32 v42, 4, v27
	s_delay_alu instid0(VALU_DEP_2) | instskip(SKIP_1) | instid1(VALU_DEP_1)
	v_cndmask_b32_e64 v3, 0, v3, s1
	v_cmp_gt_i32_e64 s1, s12, v43
	v_dual_add_nc_u32 v43, 6, v27 :: v_dual_cndmask_b32 v1, 0, v1, s1
	v_cmp_gt_i32_e64 s1, s21, v44
	v_and_b32_e32 v44, 0xffff, v5
	v_and_b32_e32 v5, 0xffff0000, v5
	s_delay_alu instid0(VALU_DEP_3) | instskip(SKIP_1) | instid1(VALU_DEP_1)
	v_cndmask_b32_e64 v24, 0, v24, s1
	v_cmp_gt_i32_e64 s1, s21, v43
	v_dual_add_nc_u32 v46, 5, v27 :: v_dual_cndmask_b32 v43, 0, v44, s1
	v_cmp_gt_i32_e64 s1, s21, v45
	s_delay_alu instid0(VALU_DEP_1) | instskip(SKIP_1) | instid1(VALU_DEP_1)
	v_cndmask_b32_e64 v5, 0, v5, s1
	v_cmp_gt_i32_e64 s1, s21, v42
	v_cndmask_b32_e64 v4, 0, v4, s1
	v_cmp_gt_i32_e64 s1, s21, v46
	s_delay_alu instid0(VALU_DEP_1)
	v_dual_cndmask_b32 v30, 0, v30, s1 :: v_dual_bitop2_b32 v5, v43, v5 bitop3:0x54
.LBB86_49:                              ;   in Loop: Header=BB86_43 Depth=1
	s_or_b32 exec_lo, exec_lo, s13
	v_dual_lshlrev_b32 v24, 16, v24 :: v_dual_lshlrev_b32 v1, 16, v1
	s_delay_alu instid0(VALU_DEP_2) | instskip(NEXT) | instid1(VALU_DEP_2)
	v_lshlrev_b32_e32 v30, 16, v30
	v_and_or_b32 v2, 0xffff, v2, v24
	s_delay_alu instid0(VALU_DEP_3) | instskip(NEXT) | instid1(VALU_DEP_3)
	v_and_or_b32 v1, 0xffff, v3, v1
	v_and_or_b32 v3, 0xffff, v4, v30
	;;#ASMSTART
	v_pk_mul_f16 v2, v34, v2;

	;;#ASMEND
	;;#ASMSTART
	v_pk_mul_f16 v1, v33, v1;

	;;#ASMEND
	;; [unrolled: 4-line block ×4, first 2 shown]
	;;#ASMSTART
	v_pk_add_f16 v1, v2, v1;

	;;#ASMEND
	;;#ASMSTART
	v_pk_add_f16 v1, v1, v3;

	;;#ASMEND
	;; [unrolled: 4-line block ×3, first 2 shown]
	v_and_b32_e32 v2, 0xffff, v1
	v_lshrrev_b32_e32 v1, 16, v1
	;;#ASMSTART
	v_cvt_f32_f16 v42, v2;
	;;#ASMEND
	;;#ASMSTART
	v_cvt_f32_f16 v43, v1;
	;;#ASMEND
	global_load_b128 v[2:5], v[22:23], off offset:1536
	s_wait_loadcnt 0x0
	v_dual_lshrrev_b32 v1, 16, v3 :: v_dual_lshrrev_b32 v24, 16, v2
	v_lshrrev_b32_e32 v30, 16, v4
	s_and_saveexec_b32 s13, s0
	s_cbranch_execz .LBB86_51
; %bb.50:                               ;   in Loop: Header=BB86_43 Depth=1
	v_dual_add_nc_u32 v44, 2, v27 :: v_dual_bitop2_b32 v45, 3, v27 bitop3:0x54
	v_cmp_gt_i32_e64 s1, s21, v27
	v_dual_add_nc_u32 v47, 7, v27 :: v_dual_bitop2_b32 v46, 1, v27 bitop3:0x54
	s_delay_alu instid0(VALU_DEP_2) | instskip(NEXT) | instid1(VALU_DEP_4)
	v_cndmask_b32_e64 v2, 0, v2, s1
	v_cmp_gt_i32_e64 s1, s21, v44
	v_add_nc_u32_e32 v44, 4, v27
	s_delay_alu instid0(VALU_DEP_2) | instskip(SKIP_1) | instid1(VALU_DEP_1)
	v_cndmask_b32_e64 v3, 0, v3, s1
	v_cmp_gt_i32_e64 s1, s12, v45
	v_dual_add_nc_u32 v45, 6, v27 :: v_dual_cndmask_b32 v1, 0, v1, s1
	v_cmp_gt_i32_e64 s1, s21, v46
	v_and_b32_e32 v46, 0xffff, v5
	v_and_b32_e32 v5, 0xffff0000, v5
	s_delay_alu instid0(VALU_DEP_3) | instskip(SKIP_1) | instid1(VALU_DEP_1)
	v_cndmask_b32_e64 v24, 0, v24, s1
	v_cmp_gt_i32_e64 s1, s21, v45
	v_dual_add_nc_u32 v48, 5, v27 :: v_dual_cndmask_b32 v45, 0, v46, s1
	v_cmp_gt_i32_e64 s1, s21, v47
	s_delay_alu instid0(VALU_DEP_1) | instskip(SKIP_1) | instid1(VALU_DEP_1)
	v_cndmask_b32_e64 v5, 0, v5, s1
	v_cmp_gt_i32_e64 s1, s21, v44
	v_cndmask_b32_e64 v4, 0, v4, s1
	v_cmp_gt_i32_e64 s1, s21, v48
	s_delay_alu instid0(VALU_DEP_1)
	v_dual_cndmask_b32 v30, 0, v30, s1 :: v_dual_bitop2_b32 v5, v45, v5 bitop3:0x54
.LBB86_51:                              ;   in Loop: Header=BB86_43 Depth=1
	s_or_b32 exec_lo, exec_lo, s13
	v_dual_lshlrev_b32 v24, 16, v24 :: v_dual_lshlrev_b32 v1, 16, v1
	s_delay_alu instid0(VALU_DEP_2) | instskip(NEXT) | instid1(VALU_DEP_2)
	v_lshlrev_b32_e32 v30, 16, v30
	v_and_or_b32 v2, 0xffff, v2, v24
	s_delay_alu instid0(VALU_DEP_3) | instskip(NEXT) | instid1(VALU_DEP_3)
	v_and_or_b32 v1, 0xffff, v3, v1
	v_and_or_b32 v3, 0xffff, v4, v30
	;;#ASMSTART
	v_pk_mul_f16 v2, v34, v2;

	;;#ASMEND
	;;#ASMSTART
	v_pk_mul_f16 v1, v33, v1;

	;;#ASMEND
	;; [unrolled: 4-line block ×4, first 2 shown]
	;;#ASMSTART
	v_pk_add_f16 v1, v2, v1;

	;;#ASMEND
	;;#ASMSTART
	v_pk_add_f16 v1, v1, v3;

	;;#ASMEND
	;;#ASMSTART
	v_pk_add_f16 v1, v1, v4;

	;;#ASMEND
	v_and_b32_e32 v2, 0xffff, v1
	v_lshrrev_b32_e32 v1, 16, v1
	;;#ASMSTART
	v_cvt_f32_f16 v44, v2;
	;;#ASMEND
	;;#ASMSTART
	v_cvt_f32_f16 v45, v1;
	;;#ASMEND
	global_load_b128 v[2:5], v[22:23], off offset:2048
	s_wait_loadcnt 0x0
	v_dual_lshrrev_b32 v1, 16, v3 :: v_dual_lshrrev_b32 v24, 16, v2
	v_lshrrev_b32_e32 v30, 16, v4
	s_and_saveexec_b32 s13, s0
	s_cbranch_execz .LBB86_53
; %bb.52:                               ;   in Loop: Header=BB86_43 Depth=1
	v_dual_add_nc_u32 v46, 2, v27 :: v_dual_bitop2_b32 v47, 3, v27 bitop3:0x54
	v_cmp_gt_i32_e64 s1, s21, v27
	v_dual_add_nc_u32 v49, 7, v27 :: v_dual_bitop2_b32 v48, 1, v27 bitop3:0x54
	s_delay_alu instid0(VALU_DEP_2) | instskip(NEXT) | instid1(VALU_DEP_4)
	v_cndmask_b32_e64 v2, 0, v2, s1
	v_cmp_gt_i32_e64 s1, s21, v46
	v_add_nc_u32_e32 v46, 4, v27
	s_delay_alu instid0(VALU_DEP_2) | instskip(SKIP_1) | instid1(VALU_DEP_1)
	v_cndmask_b32_e64 v3, 0, v3, s1
	v_cmp_gt_i32_e64 s1, s12, v47
	v_dual_add_nc_u32 v47, 6, v27 :: v_dual_cndmask_b32 v1, 0, v1, s1
	v_cmp_gt_i32_e64 s1, s21, v48
	v_and_b32_e32 v48, 0xffff, v5
	v_and_b32_e32 v5, 0xffff0000, v5
	s_delay_alu instid0(VALU_DEP_3) | instskip(SKIP_1) | instid1(VALU_DEP_1)
	v_cndmask_b32_e64 v24, 0, v24, s1
	v_cmp_gt_i32_e64 s1, s21, v47
	v_dual_add_nc_u32 v50, 5, v27 :: v_dual_cndmask_b32 v47, 0, v48, s1
	v_cmp_gt_i32_e64 s1, s21, v49
	s_delay_alu instid0(VALU_DEP_1) | instskip(SKIP_1) | instid1(VALU_DEP_1)
	v_cndmask_b32_e64 v5, 0, v5, s1
	v_cmp_gt_i32_e64 s1, s21, v46
	v_cndmask_b32_e64 v4, 0, v4, s1
	v_cmp_gt_i32_e64 s1, s21, v50
	s_delay_alu instid0(VALU_DEP_1)
	v_dual_cndmask_b32 v30, 0, v30, s1 :: v_dual_bitop2_b32 v5, v47, v5 bitop3:0x54
.LBB86_53:                              ;   in Loop: Header=BB86_43 Depth=1
	s_or_b32 exec_lo, exec_lo, s13
	v_dual_lshlrev_b32 v24, 16, v24 :: v_dual_lshlrev_b32 v1, 16, v1
	s_delay_alu instid0(VALU_DEP_2) | instskip(NEXT) | instid1(VALU_DEP_2)
	v_lshlrev_b32_e32 v30, 16, v30
	v_and_or_b32 v2, 0xffff, v2, v24
	s_delay_alu instid0(VALU_DEP_3) | instskip(NEXT) | instid1(VALU_DEP_3)
	v_and_or_b32 v1, 0xffff, v3, v1
	v_and_or_b32 v3, 0xffff, v4, v30
	;;#ASMSTART
	v_pk_mul_f16 v2, v34, v2;

	;;#ASMEND
	;;#ASMSTART
	v_pk_mul_f16 v1, v33, v1;

	;;#ASMEND
	;; [unrolled: 4-line block ×4, first 2 shown]
	;;#ASMSTART
	v_pk_add_f16 v1, v2, v1;

	;;#ASMEND
	;;#ASMSTART
	v_pk_add_f16 v1, v1, v3;

	;;#ASMEND
	;; [unrolled: 4-line block ×3, first 2 shown]
	v_and_b32_e32 v2, 0xffff, v1
	v_lshrrev_b32_e32 v1, 16, v1
	;;#ASMSTART
	v_cvt_f32_f16 v46, v2;
	;;#ASMEND
	;;#ASMSTART
	v_cvt_f32_f16 v47, v1;
	;;#ASMEND
	global_load_b128 v[2:5], v[22:23], off offset:2560
	s_wait_loadcnt 0x0
	v_dual_lshrrev_b32 v1, 16, v3 :: v_dual_lshrrev_b32 v24, 16, v2
	v_lshrrev_b32_e32 v30, 16, v4
	s_and_saveexec_b32 s13, s0
	s_cbranch_execz .LBB86_55
; %bb.54:                               ;   in Loop: Header=BB86_43 Depth=1
	v_dual_add_nc_u32 v48, 2, v27 :: v_dual_bitop2_b32 v49, 3, v27 bitop3:0x54
	v_cmp_gt_i32_e64 s1, s21, v27
	v_dual_add_nc_u32 v51, 7, v27 :: v_dual_bitop2_b32 v50, 1, v27 bitop3:0x54
	s_delay_alu instid0(VALU_DEP_2) | instskip(NEXT) | instid1(VALU_DEP_4)
	v_cndmask_b32_e64 v2, 0, v2, s1
	v_cmp_gt_i32_e64 s1, s21, v48
	v_add_nc_u32_e32 v48, 4, v27
	s_delay_alu instid0(VALU_DEP_2) | instskip(SKIP_1) | instid1(VALU_DEP_1)
	v_cndmask_b32_e64 v3, 0, v3, s1
	v_cmp_gt_i32_e64 s1, s12, v49
	v_dual_add_nc_u32 v49, 6, v27 :: v_dual_cndmask_b32 v1, 0, v1, s1
	v_cmp_gt_i32_e64 s1, s21, v50
	v_and_b32_e32 v50, 0xffff, v5
	v_and_b32_e32 v5, 0xffff0000, v5
	s_delay_alu instid0(VALU_DEP_3) | instskip(SKIP_1) | instid1(VALU_DEP_1)
	v_cndmask_b32_e64 v24, 0, v24, s1
	v_cmp_gt_i32_e64 s1, s21, v49
	v_dual_add_nc_u32 v52, 5, v27 :: v_dual_cndmask_b32 v49, 0, v50, s1
	v_cmp_gt_i32_e64 s1, s21, v51
	s_delay_alu instid0(VALU_DEP_1) | instskip(SKIP_1) | instid1(VALU_DEP_1)
	v_cndmask_b32_e64 v5, 0, v5, s1
	v_cmp_gt_i32_e64 s1, s21, v48
	v_cndmask_b32_e64 v4, 0, v4, s1
	v_cmp_gt_i32_e64 s1, s21, v52
	s_delay_alu instid0(VALU_DEP_1)
	v_dual_cndmask_b32 v30, 0, v30, s1 :: v_dual_bitop2_b32 v5, v49, v5 bitop3:0x54
.LBB86_55:                              ;   in Loop: Header=BB86_43 Depth=1
	s_or_b32 exec_lo, exec_lo, s13
	v_dual_lshlrev_b32 v24, 16, v24 :: v_dual_lshlrev_b32 v1, 16, v1
	s_delay_alu instid0(VALU_DEP_2) | instskip(NEXT) | instid1(VALU_DEP_2)
	v_lshlrev_b32_e32 v30, 16, v30
	v_and_or_b32 v2, 0xffff, v2, v24
	s_delay_alu instid0(VALU_DEP_3) | instskip(NEXT) | instid1(VALU_DEP_3)
	v_and_or_b32 v1, 0xffff, v3, v1
	v_and_or_b32 v3, 0xffff, v4, v30
	;;#ASMSTART
	v_pk_mul_f16 v2, v34, v2;

	;;#ASMEND
	;;#ASMSTART
	v_pk_mul_f16 v1, v33, v1;

	;;#ASMEND
	;; [unrolled: 4-line block ×4, first 2 shown]
	;;#ASMSTART
	v_pk_add_f16 v1, v2, v1;

	;;#ASMEND
	;;#ASMSTART
	v_pk_add_f16 v1, v1, v3;

	;;#ASMEND
	;; [unrolled: 4-line block ×3, first 2 shown]
	v_and_b32_e32 v2, 0xffff, v1
	v_lshrrev_b32_e32 v1, 16, v1
	;;#ASMSTART
	v_cvt_f32_f16 v24, v2;
	;;#ASMEND
	;;#ASMSTART
	v_cvt_f32_f16 v30, v1;
	;;#ASMEND
	global_load_b128 v[2:5], v[22:23], off offset:3072
	s_wait_loadcnt 0x0
	v_dual_lshrrev_b32 v1, 16, v3 :: v_dual_lshrrev_b32 v22, 16, v2
	v_lshrrev_b32_e32 v23, 16, v4
	s_and_saveexec_b32 s13, s0
	s_cbranch_execz .LBB86_57
; %bb.56:                               ;   in Loop: Header=BB86_43 Depth=1
	v_dual_add_nc_u32 v48, 2, v27 :: v_dual_bitop2_b32 v49, 3, v27 bitop3:0x54
	v_cmp_gt_i32_e64 s1, s21, v27
	v_dual_add_nc_u32 v51, 7, v27 :: v_dual_bitop2_b32 v50, 1, v27 bitop3:0x54
	s_delay_alu instid0(VALU_DEP_2) | instskip(NEXT) | instid1(VALU_DEP_4)
	v_cndmask_b32_e64 v2, 0, v2, s1
	v_cmp_gt_i32_e64 s1, s21, v48
	v_add_nc_u32_e32 v48, 4, v27
	s_delay_alu instid0(VALU_DEP_2) | instskip(SKIP_1) | instid1(VALU_DEP_1)
	v_cndmask_b32_e64 v3, 0, v3, s1
	v_cmp_gt_i32_e64 s1, s12, v49
	v_dual_add_nc_u32 v49, 6, v27 :: v_dual_cndmask_b32 v1, 0, v1, s1
	v_cmp_gt_i32_e64 s1, s21, v50
	v_and_b32_e32 v50, 0xffff, v5
	v_and_b32_e32 v5, 0xffff0000, v5
	s_delay_alu instid0(VALU_DEP_3) | instskip(SKIP_1) | instid1(VALU_DEP_1)
	v_cndmask_b32_e64 v22, 0, v22, s1
	v_cmp_gt_i32_e64 s1, s21, v49
	v_dual_add_nc_u32 v52, 5, v27 :: v_dual_cndmask_b32 v49, 0, v50, s1
	v_cmp_gt_i32_e64 s1, s21, v51
	s_delay_alu instid0(VALU_DEP_1) | instskip(SKIP_1) | instid1(VALU_DEP_1)
	v_cndmask_b32_e64 v5, 0, v5, s1
	v_cmp_gt_i32_e64 s1, s21, v48
	v_cndmask_b32_e64 v4, 0, v4, s1
	v_cmp_gt_i32_e64 s1, s21, v52
	s_delay_alu instid0(VALU_DEP_1)
	v_dual_cndmask_b32 v23, 0, v23, s1 :: v_dual_bitop2_b32 v5, v49, v5 bitop3:0x54
.LBB86_57:                              ;   in Loop: Header=BB86_43 Depth=1
	s_or_b32 exec_lo, exec_lo, s13
	v_dual_lshlrev_b32 v22, 16, v22 :: v_dual_lshlrev_b32 v1, 16, v1
	s_delay_alu instid0(VALU_DEP_2) | instskip(NEXT) | instid1(VALU_DEP_2)
	v_lshlrev_b32_e32 v23, 16, v23
	v_and_or_b32 v2, 0xffff, v2, v22
	s_delay_alu instid0(VALU_DEP_3) | instskip(NEXT) | instid1(VALU_DEP_3)
	v_and_or_b32 v1, 0xffff, v3, v1
	v_and_or_b32 v3, 0xffff, v4, v23
	;;#ASMSTART
	v_pk_mul_f16 v2, v34, v2;

	;;#ASMEND
	;;#ASMSTART
	v_pk_mul_f16 v1, v33, v1;

	;;#ASMEND
	;; [unrolled: 4-line block ×4, first 2 shown]
	;;#ASMSTART
	v_pk_add_f16 v1, v2, v1;

	;;#ASMEND
	;;#ASMSTART
	v_pk_add_f16 v1, v1, v3;

	;;#ASMEND
	;; [unrolled: 4-line block ×3, first 2 shown]
	v_and_b32_e32 v2, 0xffff, v1
	v_lshrrev_b32_e32 v1, 16, v1
	;;#ASMSTART
	v_cvt_f32_f16 v22, v2;
	;;#ASMEND
	;;#ASMSTART
	v_cvt_f32_f16 v23, v1;
	;;#ASMEND
	s_and_saveexec_b32 s1, vcc_lo
	s_cbranch_execz .LBB86_42
; %bb.58:                               ;   in Loop: Header=BB86_43 Depth=1
	v_add_nc_u64_e32 v[2:3], v[20:21], v[14:15]
	global_load_b128 v[2:5], v[2:3], off
	s_wait_loadcnt 0x0
	v_dual_lshrrev_b32 v1, 16, v3 :: v_dual_lshrrev_b32 v20, 16, v2
	v_lshrrev_b32_e32 v21, 16, v4
	s_and_saveexec_b32 s13, s0
	s_cbranch_execz .LBB86_41
; %bb.59:                               ;   in Loop: Header=BB86_43 Depth=1
	v_dual_add_nc_u32 v48, 2, v27 :: v_dual_bitop2_b32 v49, 3, v27 bitop3:0x54
	v_cmp_gt_i32_e64 s0, s21, v27
	v_dual_add_nc_u32 v51, 7, v27 :: v_dual_bitop2_b32 v50, 1, v27 bitop3:0x54
	s_delay_alu instid0(VALU_DEP_2) | instskip(NEXT) | instid1(VALU_DEP_4)
	v_cndmask_b32_e64 v2, 0, v2, s0
	v_cmp_gt_i32_e64 s0, s21, v48
	v_add_nc_u32_e32 v48, 4, v27
	s_delay_alu instid0(VALU_DEP_2) | instskip(SKIP_1) | instid1(VALU_DEP_1)
	v_cndmask_b32_e64 v3, 0, v3, s0
	v_cmp_gt_i32_e64 s0, s12, v49
	v_dual_add_nc_u32 v49, 6, v27 :: v_dual_cndmask_b32 v1, 0, v1, s0
	v_cmp_gt_i32_e64 s0, s21, v50
	v_and_b32_e32 v50, 0xffff, v5
	v_and_b32_e32 v5, 0xffff0000, v5
	s_delay_alu instid0(VALU_DEP_3) | instskip(SKIP_1) | instid1(VALU_DEP_1)
	v_cndmask_b32_e64 v20, 0, v20, s0
	v_cmp_gt_i32_e64 s0, s21, v49
	v_dual_add_nc_u32 v52, 5, v27 :: v_dual_cndmask_b32 v49, 0, v50, s0
	v_cmp_gt_i32_e64 s0, s21, v51
	s_delay_alu instid0(VALU_DEP_1) | instskip(SKIP_1) | instid1(VALU_DEP_1)
	v_cndmask_b32_e64 v5, 0, v5, s0
	v_cmp_gt_i32_e64 s0, s21, v48
	v_cndmask_b32_e64 v4, 0, v4, s0
	v_cmp_gt_i32_e64 s0, s21, v52
	s_delay_alu instid0(VALU_DEP_4) | instskip(NEXT) | instid1(VALU_DEP_2)
	v_or_b32_e32 v5, v49, v5
	v_cndmask_b32_e64 v21, 0, v21, s0
	s_branch .LBB86_41
.LBB86_60:
	s_or_b32 exec_lo, exec_lo, s11
.LBB86_61:
	s_delay_alu instid0(SALU_CYCLE_1)
	s_or_b32 exec_lo, exec_lo, s23
	ds_bpermute_b32 v2, v26, v12
	ds_bpermute_b32 v3, v26, v13
	ds_bpermute_b32 v4, v26, v10
	ds_bpermute_b32 v5, v26, v11
	ds_bpermute_b32 v14, v26, v8
	ds_bpermute_b32 v15, v26, v9
	ds_bpermute_b32 v16, v26, v6
	ds_bpermute_b32 v17, v26, v7
	s_movk_i32 s0, 0x1e0
	v_and_b32_e32 v18, 0x3c0, v0
	v_mad_u32_u24 v1, v40, s0, 0x110
	s_mov_b32 s1, exec_lo
	v_cmp_eq_u32_e32 vcc_lo, 0, v39
	s_wait_dscnt 0x0
	s_barrier_signal -1
	s_barrier_wait -1
	v_pk_add_f32 v[12:13], v[12:13], v[2:3]
	v_pk_add_f32 v[10:11], v[10:11], v[4:5]
	;; [unrolled: 1-line block ×4, first 2 shown]
	v_cmpx_eq_u32_e32 64, v18
	s_cbranch_execz .LBB86_66
; %bb.62:
	v_add_nc_u32_e32 v6, 0xfffffc40, v1
	s_and_saveexec_b32 s0, vcc_lo
	s_cbranch_execz .LBB86_64
; %bb.63:
	s_delay_alu instid0(VALU_DEP_1)
	v_lshl_add_u32 v7, v25, 2, v6
	ds_store_2addr_b32 v7, v12, v13 offset1:16
	ds_store_2addr_b32 v7, v10, v11 offset0:32 offset1:48
	ds_store_2addr_b32 v7, v4, v5 offset0:64 offset1:80
	ds_store_b32 v7, v2 offset:384
.LBB86_64:
	s_or_b32 exec_lo, exec_lo, s0
	v_or_b32_e32 v7, 0x70, v25
	s_delay_alu instid0(VALU_DEP_1) | instskip(SKIP_1) | instid1(SALU_CYCLE_1)
	v_cmp_gt_u32_e64 s0, 0x78, v7
	s_and_b32 s0, vcc_lo, s0
	s_and_b32 exec_lo, exec_lo, s0
; %bb.65:
	v_lshl_add_u32 v6, v7, 2, v6
	ds_store_b32 v6, v3
.LBB86_66:
	s_or_b32 exec_lo, exec_lo, s1
	s_delay_alu instid0(SALU_CYCLE_1)
	s_mov_b32 s1, exec_lo
	s_wait_dscnt 0x0
	s_barrier_signal -1
	s_barrier_wait -1
	v_cmpx_gt_u32_e32 64, v0
	s_cbranch_execz .LBB86_78
; %bb.67:
	s_and_saveexec_b32 s0, vcc_lo
	s_cbranch_execnz .LBB86_113
; %bb.68:
	s_or_b32 exec_lo, exec_lo, s0
	s_and_saveexec_b32 s0, vcc_lo
	s_cbranch_execnz .LBB86_114
.LBB86_69:
	s_or_b32 exec_lo, exec_lo, s0
	s_and_saveexec_b32 s0, vcc_lo
	s_cbranch_execnz .LBB86_115
.LBB86_70:
	s_or_b32 exec_lo, exec_lo, s0
	s_and_saveexec_b32 s0, vcc_lo
	s_cbranch_execnz .LBB86_116
.LBB86_71:
	s_or_b32 exec_lo, exec_lo, s0
	s_and_saveexec_b32 s0, vcc_lo
	s_cbranch_execnz .LBB86_117
.LBB86_72:
	s_or_b32 exec_lo, exec_lo, s0
	s_and_saveexec_b32 s0, vcc_lo
	s_cbranch_execnz .LBB86_118
.LBB86_73:
	s_or_b32 exec_lo, exec_lo, s0
	s_and_saveexec_b32 s0, vcc_lo
	s_cbranch_execz .LBB86_75
.LBB86_74:
	v_lshl_add_u32 v6, v25, 2, v1
	ds_load_b32 v6, v6 offset:384
	s_wait_dscnt 0x0
	v_add_f32_e32 v2, v2, v6
.LBB86_75:
	s_or_b32 exec_lo, exec_lo, s0
	v_or_b32_e32 v6, 0x70, v25
	s_delay_alu instid0(VALU_DEP_1) | instskip(SKIP_1) | instid1(SALU_CYCLE_1)
	v_cmp_gt_u32_e64 s0, 0x78, v6
	s_and_b32 s2, vcc_lo, s0
	s_and_saveexec_b32 s0, s2
	s_cbranch_execz .LBB86_77
; %bb.76:
	v_lshl_add_u32 v6, v25, 2, v1
	ds_load_b32 v6, v6 offset:448
	s_wait_dscnt 0x0
	v_add_f32_e32 v3, v3, v6
.LBB86_77:
	s_or_b32 exec_lo, exec_lo, s0
.LBB86_78:
	s_delay_alu instid0(SALU_CYCLE_1) | instskip(SKIP_4) | instid1(VALU_DEP_1)
	s_or_b32 exec_lo, exec_lo, s1
	v_and_b32_e32 v6, 0x3e0, v0
	s_mov_b32 s1, exec_lo
	s_barrier_signal -1
	s_barrier_wait -1
	v_cmpx_eq_u32_e32 32, v6
	s_cbranch_execz .LBB86_83
; %bb.79:
	v_lshl_add_u32 v6, v25, 2, 0x110
	s_and_saveexec_b32 s0, vcc_lo
	s_cbranch_execz .LBB86_81
; %bb.80:
	ds_store_2addr_b32 v6, v12, v13 offset1:16
	ds_store_2addr_b32 v6, v10, v11 offset0:32 offset1:48
	ds_store_2addr_b32 v6, v4, v5 offset0:64 offset1:80
	ds_store_b32 v6, v2 offset:384
.LBB86_81:
	s_or_b32 exec_lo, exec_lo, s0
	v_or_b32_e32 v7, 0x70, v25
	s_delay_alu instid0(VALU_DEP_1) | instskip(SKIP_1) | instid1(SALU_CYCLE_1)
	v_cmp_gt_u32_e64 s0, 0x78, v7
	s_and_b32 s0, vcc_lo, s0
	s_and_b32 exec_lo, exec_lo, s0
; %bb.82:
	ds_store_b32 v6, v3 offset:448
.LBB86_83:
	s_or_b32 exec_lo, exec_lo, s1
	v_cmp_gt_u32_e64 s0, 32, v0
	s_wait_dscnt 0x0
	s_barrier_signal -1
	s_barrier_wait -1
	s_and_saveexec_b32 s2, s0
	s_cbranch_execz .LBB86_95
; %bb.84:
	v_lshl_add_u32 v0, v25, 2, v1
	s_and_saveexec_b32 s1, vcc_lo
	s_cbranch_execnz .LBB86_119
; %bb.85:
	s_or_b32 exec_lo, exec_lo, s1
	s_and_saveexec_b32 s1, vcc_lo
	s_cbranch_execnz .LBB86_120
.LBB86_86:
	s_or_b32 exec_lo, exec_lo, s1
	s_and_saveexec_b32 s1, vcc_lo
	s_cbranch_execnz .LBB86_121
.LBB86_87:
	s_or_b32 exec_lo, exec_lo, s1
	s_and_saveexec_b32 s1, vcc_lo
	s_cbranch_execnz .LBB86_122
.LBB86_88:
	s_or_b32 exec_lo, exec_lo, s1
	s_and_saveexec_b32 s1, vcc_lo
	s_cbranch_execnz .LBB86_123
.LBB86_89:
	s_or_b32 exec_lo, exec_lo, s1
	s_and_saveexec_b32 s1, vcc_lo
	s_cbranch_execnz .LBB86_124
.LBB86_90:
	s_or_b32 exec_lo, exec_lo, s1
	s_and_saveexec_b32 s1, vcc_lo
	s_cbranch_execz .LBB86_92
.LBB86_91:
	ds_load_b32 v1, v0 offset:384
	s_wait_dscnt 0x0
	v_add_f32_e32 v2, v2, v1
.LBB86_92:
	s_or_b32 exec_lo, exec_lo, s1
	v_or_b32_e32 v1, 0x70, v25
	s_delay_alu instid0(VALU_DEP_1) | instskip(SKIP_1) | instid1(SALU_CYCLE_1)
	v_cmp_gt_u32_e64 s1, 0x78, v1
	s_and_b32 s3, vcc_lo, s1
	s_and_saveexec_b32 s1, s3
	s_cbranch_execz .LBB86_94
; %bb.93:
	ds_load_b32 v0, v0 offset:448
	s_wait_dscnt 0x0
	v_add_f32_e32 v3, v3, v0
.LBB86_94:
	s_or_b32 exec_lo, exec_lo, s1
.LBB86_95:
	s_delay_alu instid0(SALU_CYCLE_1)
	s_or_b32 exec_lo, exec_lo, s2
	s_barrier_signal -1
	s_barrier_wait -1
	s_and_saveexec_b32 s1, s0
	s_cbranch_execz .LBB86_112
; %bb.96:
	s_wait_kmcnt 0x0
	s_mul_i32 s1, s20, s9
	s_bfe_u32 s5, ttmp6, 0x40014
	s_mul_i32 s1, s1, s19
	s_mul_i32 s0, s9, s8
	;; [unrolled: 1-line block ×3, first 2 shown]
	s_lshr_b32 s4, ttmp7, 16
	s_ashr_i32 s3, s2, 31
	s_add_co_i32 s5, s5, 1
	s_lshl_b64 s[2:3], s[2:3], 1
	s_ashr_i32 s1, s0, 31
	s_add_nc_u64 s[2:3], s[6:7], s[2:3]
	s_mul_i32 s5, s4, s5
	s_bfe_u32 s6, ttmp6, 0x40008
	s_lshl_b64 s[0:1], s[0:1], 1
	s_add_co_i32 s6, s6, s5
	s_cmp_eq_u32 s18, 0
	s_add_nc_u64 s[0:1], s[2:3], s[0:1]
	s_cselect_b32 s2, s4, s6
	s_mov_b32 s3, 0
	s_mulk_i32 s2, 0xf0
	s_delay_alu instid0(SALU_CYCLE_1)
	s_add_nc_u64 s[2:3], s[0:1], s[2:3]
	s_and_saveexec_b32 s0, vcc_lo
	s_cbranch_execz .LBB86_98
; %bb.97:
	;;#ASMSTART
	v_cvt_f16_f32 v0, v12;

	;;#ASMEND
	global_store_b16 v38, v0, s[2:3] scale_offset
.LBB86_98:
	s_wait_xcnt 0x0
	s_or_b32 exec_lo, exec_lo, s0
	v_or_b32_e32 v0, 16, v38
	s_delay_alu instid0(VALU_DEP_1) | instskip(SKIP_1) | instid1(SALU_CYCLE_1)
	v_cmp_gt_u32_e64 s0, 0x78, v0
	s_and_b32 s1, vcc_lo, s0
	s_and_saveexec_b32 s0, s1
	s_cbranch_execz .LBB86_100
; %bb.99:
	;;#ASMSTART
	v_cvt_f16_f32 v0, v13;

	;;#ASMEND
	global_store_b16 v38, v0, s[2:3] offset:32 scale_offset
.LBB86_100:
	s_wait_xcnt 0x0
	s_or_b32 exec_lo, exec_lo, s0
	v_or_b32_e32 v0, 32, v38
	s_delay_alu instid0(VALU_DEP_1) | instskip(SKIP_1) | instid1(SALU_CYCLE_1)
	v_cmp_gt_u32_e64 s0, 0x78, v0
	s_and_b32 s1, vcc_lo, s0
	s_and_saveexec_b32 s0, s1
	s_cbranch_execz .LBB86_102
; %bb.101:
	;;#ASMSTART
	v_cvt_f16_f32 v0, v10;

	;;#ASMEND
	global_store_b16 v38, v0, s[2:3] offset:64 scale_offset
.LBB86_102:
	;; [unrolled: 15-line block ×6, first 2 shown]
	s_wait_xcnt 0x0
	s_or_b32 exec_lo, exec_lo, s0
	v_or_b32_e32 v0, 0x70, v38
	s_delay_alu instid0(VALU_DEP_1) | instskip(SKIP_1) | instid1(SALU_CYCLE_1)
	v_cmp_gt_u32_e64 s0, 0x78, v0
	s_and_b32 s0, vcc_lo, s0
	s_and_b32 exec_lo, exec_lo, s0
	s_cbranch_execz .LBB86_112
; %bb.111:
	;;#ASMSTART
	v_cvt_f16_f32 v0, v3;

	;;#ASMEND
	global_store_b16 v38, v0, s[2:3] offset:224 scale_offset
.LBB86_112:
	s_sendmsg sendmsg(MSG_DEALLOC_VGPRS)
	s_endpgm
.LBB86_113:
	v_lshl_add_u32 v6, v25, 2, v1
	ds_load_b32 v6, v6
	s_wait_dscnt 0x0
	v_add_f32_e32 v12, v12, v6
	s_or_b32 exec_lo, exec_lo, s0
	s_and_saveexec_b32 s0, vcc_lo
	s_cbranch_execz .LBB86_69
.LBB86_114:
	v_lshl_add_u32 v6, v25, 2, v1
	ds_load_b32 v6, v6 offset:64
	s_wait_dscnt 0x0
	v_add_f32_e32 v13, v13, v6
	s_or_b32 exec_lo, exec_lo, s0
	s_and_saveexec_b32 s0, vcc_lo
	s_cbranch_execz .LBB86_70
.LBB86_115:
	v_lshl_add_u32 v6, v25, 2, v1
	ds_load_b32 v6, v6 offset:128
	s_wait_dscnt 0x0
	v_add_f32_e32 v10, v10, v6
	s_or_b32 exec_lo, exec_lo, s0
	s_and_saveexec_b32 s0, vcc_lo
	s_cbranch_execz .LBB86_71
.LBB86_116:
	v_lshl_add_u32 v6, v25, 2, v1
	ds_load_b32 v6, v6 offset:192
	s_wait_dscnt 0x0
	v_add_f32_e32 v11, v11, v6
	s_or_b32 exec_lo, exec_lo, s0
	s_and_saveexec_b32 s0, vcc_lo
	s_cbranch_execz .LBB86_72
.LBB86_117:
	v_lshl_add_u32 v6, v25, 2, v1
	ds_load_b32 v6, v6 offset:256
	s_wait_dscnt 0x0
	v_add_f32_e32 v4, v4, v6
	s_or_b32 exec_lo, exec_lo, s0
	s_and_saveexec_b32 s0, vcc_lo
	s_cbranch_execz .LBB86_73
.LBB86_118:
	v_lshl_add_u32 v6, v25, 2, v1
	ds_load_b32 v6, v6 offset:320
	s_wait_dscnt 0x0
	v_add_f32_e32 v5, v5, v6
	s_or_b32 exec_lo, exec_lo, s0
	s_and_saveexec_b32 s0, vcc_lo
	s_cbranch_execnz .LBB86_74
	s_branch .LBB86_75
.LBB86_119:
	ds_load_b32 v1, v0
	s_wait_dscnt 0x0
	v_add_f32_e32 v12, v12, v1
	s_or_b32 exec_lo, exec_lo, s1
	s_and_saveexec_b32 s1, vcc_lo
	s_cbranch_execz .LBB86_86
.LBB86_120:
	ds_load_b32 v1, v0 offset:64
	s_wait_dscnt 0x0
	v_add_f32_e32 v13, v13, v1
	s_or_b32 exec_lo, exec_lo, s1
	s_and_saveexec_b32 s1, vcc_lo
	s_cbranch_execz .LBB86_87
.LBB86_121:
	ds_load_b32 v1, v0 offset:128
	s_wait_dscnt 0x0
	v_add_f32_e32 v10, v10, v1
	s_or_b32 exec_lo, exec_lo, s1
	s_and_saveexec_b32 s1, vcc_lo
	s_cbranch_execz .LBB86_88
.LBB86_122:
	ds_load_b32 v1, v0 offset:192
	s_wait_dscnt 0x0
	v_add_f32_e32 v11, v11, v1
	s_or_b32 exec_lo, exec_lo, s1
	s_and_saveexec_b32 s1, vcc_lo
	s_cbranch_execz .LBB86_89
.LBB86_123:
	ds_load_b32 v1, v0 offset:256
	s_wait_dscnt 0x0
	v_add_f32_e32 v4, v4, v1
	s_or_b32 exec_lo, exec_lo, s1
	s_and_saveexec_b32 s1, vcc_lo
	s_cbranch_execz .LBB86_90
.LBB86_124:
	ds_load_b32 v1, v0 offset:320
	s_wait_dscnt 0x0
	v_add_f32_e32 v5, v5, v1
	s_or_b32 exec_lo, exec_lo, s1
	s_and_saveexec_b32 s1, vcc_lo
	s_cbranch_execnz .LBB86_91
	s_branch .LBB86_92
	.section	.rodata,"a",@progbits
	.p2align	6, 0x0
	.amdhsa_kernel _ZN4vllm25paged_attention_v1_kernelIttLi120ELi16ELi128ELNS_18Fp8KVCacheDataTypeE0ELb0EEEvPT_PKS2_PKT0_S8_ifPKiSA_iPKfiiiSC_SC_iiiii
		.amdhsa_group_segment_fixed_size 272
		.amdhsa_private_segment_fixed_size 0
		.amdhsa_kernarg_size 384
		.amdhsa_user_sgpr_count 2
		.amdhsa_user_sgpr_dispatch_ptr 0
		.amdhsa_user_sgpr_queue_ptr 0
		.amdhsa_user_sgpr_kernarg_segment_ptr 1
		.amdhsa_user_sgpr_dispatch_id 0
		.amdhsa_user_sgpr_kernarg_preload_length 0
		.amdhsa_user_sgpr_kernarg_preload_offset 0
		.amdhsa_user_sgpr_private_segment_size 0
		.amdhsa_wavefront_size32 1
		.amdhsa_uses_dynamic_stack 0
		.amdhsa_enable_private_segment 0
		.amdhsa_system_sgpr_workgroup_id_x 1
		.amdhsa_system_sgpr_workgroup_id_y 1
		.amdhsa_system_sgpr_workgroup_id_z 1
		.amdhsa_system_sgpr_workgroup_info 0
		.amdhsa_system_vgpr_workitem_id 0
		.amdhsa_next_free_vgpr 90
		.amdhsa_next_free_sgpr 30
		.amdhsa_named_barrier_count 0
		.amdhsa_reserve_vcc 1
		.amdhsa_float_round_mode_32 0
		.amdhsa_float_round_mode_16_64 0
		.amdhsa_float_denorm_mode_32 3
		.amdhsa_float_denorm_mode_16_64 3
		.amdhsa_fp16_overflow 0
		.amdhsa_memory_ordered 1
		.amdhsa_forward_progress 1
		.amdhsa_inst_pref_size 70
		.amdhsa_round_robin_scheduling 0
		.amdhsa_exception_fp_ieee_invalid_op 0
		.amdhsa_exception_fp_denorm_src 0
		.amdhsa_exception_fp_ieee_div_zero 0
		.amdhsa_exception_fp_ieee_overflow 0
		.amdhsa_exception_fp_ieee_underflow 0
		.amdhsa_exception_fp_ieee_inexact 0
		.amdhsa_exception_int_div_zero 0
	.end_amdhsa_kernel
	.section	.text._ZN4vllm25paged_attention_v1_kernelIttLi120ELi16ELi128ELNS_18Fp8KVCacheDataTypeE0ELb0EEEvPT_PKS2_PKT0_S8_ifPKiSA_iPKfiiiSC_SC_iiiii,"axG",@progbits,_ZN4vllm25paged_attention_v1_kernelIttLi120ELi16ELi128ELNS_18Fp8KVCacheDataTypeE0ELb0EEEvPT_PKS2_PKT0_S8_ifPKiSA_iPKfiiiSC_SC_iiiii,comdat
.Lfunc_end86:
	.size	_ZN4vllm25paged_attention_v1_kernelIttLi120ELi16ELi128ELNS_18Fp8KVCacheDataTypeE0ELb0EEEvPT_PKS2_PKT0_S8_ifPKiSA_iPKfiiiSC_SC_iiiii, .Lfunc_end86-_ZN4vllm25paged_attention_v1_kernelIttLi120ELi16ELi128ELNS_18Fp8KVCacheDataTypeE0ELb0EEEvPT_PKS2_PKT0_S8_ifPKiSA_iPKfiiiSC_SC_iiiii
                                        ; -- End function
	.set _ZN4vllm25paged_attention_v1_kernelIttLi120ELi16ELi128ELNS_18Fp8KVCacheDataTypeE0ELb0EEEvPT_PKS2_PKT0_S8_ifPKiSA_iPKfiiiSC_SC_iiiii.num_vgpr, 90
	.set _ZN4vllm25paged_attention_v1_kernelIttLi120ELi16ELi128ELNS_18Fp8KVCacheDataTypeE0ELb0EEEvPT_PKS2_PKT0_S8_ifPKiSA_iPKfiiiSC_SC_iiiii.num_agpr, 0
	.set _ZN4vllm25paged_attention_v1_kernelIttLi120ELi16ELi128ELNS_18Fp8KVCacheDataTypeE0ELb0EEEvPT_PKS2_PKT0_S8_ifPKiSA_iPKfiiiSC_SC_iiiii.numbered_sgpr, 30
	.set _ZN4vllm25paged_attention_v1_kernelIttLi120ELi16ELi128ELNS_18Fp8KVCacheDataTypeE0ELb0EEEvPT_PKS2_PKT0_S8_ifPKiSA_iPKfiiiSC_SC_iiiii.num_named_barrier, 0
	.set _ZN4vllm25paged_attention_v1_kernelIttLi120ELi16ELi128ELNS_18Fp8KVCacheDataTypeE0ELb0EEEvPT_PKS2_PKT0_S8_ifPKiSA_iPKfiiiSC_SC_iiiii.private_seg_size, 0
	.set _ZN4vllm25paged_attention_v1_kernelIttLi120ELi16ELi128ELNS_18Fp8KVCacheDataTypeE0ELb0EEEvPT_PKS2_PKT0_S8_ifPKiSA_iPKfiiiSC_SC_iiiii.uses_vcc, 1
	.set _ZN4vllm25paged_attention_v1_kernelIttLi120ELi16ELi128ELNS_18Fp8KVCacheDataTypeE0ELb0EEEvPT_PKS2_PKT0_S8_ifPKiSA_iPKfiiiSC_SC_iiiii.uses_flat_scratch, 0
	.set _ZN4vllm25paged_attention_v1_kernelIttLi120ELi16ELi128ELNS_18Fp8KVCacheDataTypeE0ELb0EEEvPT_PKS2_PKT0_S8_ifPKiSA_iPKfiiiSC_SC_iiiii.has_dyn_sized_stack, 0
	.set _ZN4vllm25paged_attention_v1_kernelIttLi120ELi16ELi128ELNS_18Fp8KVCacheDataTypeE0ELb0EEEvPT_PKS2_PKT0_S8_ifPKiSA_iPKfiiiSC_SC_iiiii.has_recursion, 0
	.set _ZN4vllm25paged_attention_v1_kernelIttLi120ELi16ELi128ELNS_18Fp8KVCacheDataTypeE0ELb0EEEvPT_PKS2_PKT0_S8_ifPKiSA_iPKfiiiSC_SC_iiiii.has_indirect_call, 0
	.section	.AMDGPU.csdata,"",@progbits
; Kernel info:
; codeLenInByte = 8960
; TotalNumSgprs: 32
; NumVgprs: 90
; ScratchSize: 0
; MemoryBound: 0
; FloatMode: 240
; IeeeMode: 1
; LDSByteSize: 272 bytes/workgroup (compile time only)
; SGPRBlocks: 0
; VGPRBlocks: 5
; NumSGPRsForWavesPerEU: 32
; NumVGPRsForWavesPerEU: 90
; NamedBarCnt: 0
; Occupancy: 10
; WaveLimiterHint : 1
; COMPUTE_PGM_RSRC2:SCRATCH_EN: 0
; COMPUTE_PGM_RSRC2:USER_SGPR: 2
; COMPUTE_PGM_RSRC2:TRAP_HANDLER: 0
; COMPUTE_PGM_RSRC2:TGID_X_EN: 1
; COMPUTE_PGM_RSRC2:TGID_Y_EN: 1
; COMPUTE_PGM_RSRC2:TGID_Z_EN: 1
; COMPUTE_PGM_RSRC2:TIDIG_COMP_CNT: 0
	.section	.text._ZN4vllm25paged_attention_v1_kernelIttLi128ELi16ELi128ELNS_18Fp8KVCacheDataTypeE0ELb0EEEvPT_PKS2_PKT0_S8_ifPKiSA_iPKfiiiSC_SC_iiiii,"axG",@progbits,_ZN4vllm25paged_attention_v1_kernelIttLi128ELi16ELi128ELNS_18Fp8KVCacheDataTypeE0ELb0EEEvPT_PKS2_PKT0_S8_ifPKiSA_iPKfiiiSC_SC_iiiii,comdat
	.protected	_ZN4vllm25paged_attention_v1_kernelIttLi128ELi16ELi128ELNS_18Fp8KVCacheDataTypeE0ELb0EEEvPT_PKS2_PKT0_S8_ifPKiSA_iPKfiiiSC_SC_iiiii ; -- Begin function _ZN4vllm25paged_attention_v1_kernelIttLi128ELi16ELi128ELNS_18Fp8KVCacheDataTypeE0ELb0EEEvPT_PKS2_PKT0_S8_ifPKiSA_iPKfiiiSC_SC_iiiii
	.globl	_ZN4vllm25paged_attention_v1_kernelIttLi128ELi16ELi128ELNS_18Fp8KVCacheDataTypeE0ELb0EEEvPT_PKS2_PKT0_S8_ifPKiSA_iPKfiiiSC_SC_iiiii
	.p2align	8
	.type	_ZN4vllm25paged_attention_v1_kernelIttLi128ELi16ELi128ELNS_18Fp8KVCacheDataTypeE0ELb0EEEvPT_PKS2_PKT0_S8_ifPKiSA_iPKfiiiSC_SC_iiiii,@function
_ZN4vllm25paged_attention_v1_kernelIttLi128ELi16ELi128ELNS_18Fp8KVCacheDataTypeE0ELb0EEEvPT_PKS2_PKT0_S8_ifPKiSA_iPKfiiiSC_SC_iiiii: ; @_ZN4vllm25paged_attention_v1_kernelIttLi128ELi16ELi128ELNS_18Fp8KVCacheDataTypeE0ELb0EEEvPT_PKS2_PKT0_S8_ifPKiSA_iPKfiiiSC_SC_iiiii
; %bb.0:
	s_load_b64 s[10:11], s[0:1], 0x20
	s_bfe_u32 s3, ttmp6, 0x4000c
	s_bfe_u32 s5, ttmp6, 0x40010
	s_and_b32 s4, ttmp7, 0xffff
	s_add_co_i32 s3, s3, 1
	s_add_co_i32 s5, s5, 1
	s_and_b32 s2, ttmp6, 15
	s_bfe_u32 s6, ttmp6, 0x40004
	s_mul_i32 s3, ttmp9, s3
	s_mul_i32 s5, s4, s5
	s_getreg_b32 s20, hwreg(HW_REG_IB_STS2, 6, 4)
	s_add_co_i32 s7, s2, s3
	s_add_co_i32 s6, s6, s5
	s_cmp_eq_u32 s20, 0
	s_clause 0x1
	s_load_b32 s21, s[0:1], 0x80
	s_load_b64 s[2:3], s[0:1], 0x30
	s_cselect_b32 s22, s4, s6
	s_cselect_b32 s6, ttmp9, s7
	s_wait_kmcnt 0x0
	s_abs_i32 s4, s10
	s_delay_alu instid0(SALU_CYCLE_1) | instskip(SKIP_1) | instid1(SALU_CYCLE_2)
	s_cvt_f32_u32 s5, s4
	s_sub_co_i32 s7, 0, s4
	v_rcp_iflag_f32_e32 v1, s5
	s_abs_i32 s8, s21
	v_nop
	s_delay_alu instid0(TRANS32_DEP_1) | instskip(SKIP_1) | instid1(SALU_CYCLE_3)
	v_readfirstlane_b32 s5, v1
	s_mul_f32 s5, s5, 0x4f7ffffe
	s_cvt_u32_f32 s5, s5
	s_delay_alu instid0(SALU_CYCLE_3) | instskip(NEXT) | instid1(SALU_CYCLE_1)
	s_mul_i32 s7, s7, s5
	s_mul_hi_u32 s7, s5, s7
	s_delay_alu instid0(SALU_CYCLE_1) | instskip(SKIP_4) | instid1(SALU_CYCLE_1)
	s_add_co_i32 s5, s5, s7
	s_xor_b32 s7, s21, s10
	s_mul_hi_u32 s5, s8, s5
	s_ashr_i32 s7, s7, 31
	s_mul_i32 s9, s5, s4
	s_sub_co_i32 s8, s8, s9
	s_add_co_i32 s9, s5, 1
	s_sub_co_i32 s10, s8, s4
	s_cmp_ge_u32 s8, s4
	s_cselect_b32 s5, s9, s5
	s_cselect_b32 s8, s10, s8
	s_add_co_i32 s9, s5, 1
	s_cmp_ge_u32 s8, s4
	s_cselect_b32 s4, s9, s5
	s_load_b64 s[8:9], s[0:1], 0x40
	s_xor_b32 s4, s4, s7
	s_mov_b32 s5, 0
	s_sub_co_i32 s15, s4, s7
	s_mov_b32 s13, s5
	s_abs_i32 s14, s15
	s_mov_b32 s24, s5
	s_cvt_f32_u32 s4, s14
	s_delay_alu instid0(SALU_CYCLE_3) | instskip(SKIP_1) | instid1(TRANS32_DEP_1)
	v_rcp_iflag_f32_e32 v1, s4
	v_nop
	v_readfirstlane_b32 s4, v1
	s_mul_f32 s4, s4, 0x4f7ffffe
	s_delay_alu instid0(SALU_CYCLE_3) | instskip(SKIP_1) | instid1(SALU_CYCLE_2)
	s_cvt_u32_f32 s7, s4
	s_sub_co_i32 s4, 0, s14
	s_mul_i32 s4, s4, s7
	s_delay_alu instid0(SALU_CYCLE_1)
	s_mul_hi_u32 s10, s7, s4
	s_abs_i32 s4, s6
	s_add_co_i32 s12, s7, s10
	s_wait_kmcnt 0x0
	s_cmp_eq_u64 s[8:9], 0
	s_cbranch_scc1 .LBB87_2
; %bb.1:
	s_ashr_i32 s7, s6, 31
	s_delay_alu instid0(SALU_CYCLE_1) | instskip(NEXT) | instid1(SALU_CYCLE_1)
	s_lshl_b64 s[16:17], s[6:7], 2
	s_add_nc_u64 s[8:9], s[8:9], s[16:17]
	s_load_b32 s24, s[8:9], 0x0
.LBB87_2:
	s_load_b32 s23, s[2:3], s22 offset:0x0 scale_offset
	s_wait_xcnt 0x0
	s_load_b96 s[8:10], s[0:1], 0x48
	v_dual_lshrrev_b32 v40, 1, v0 :: v_dual_bitop2_b32 v41, 1, v0 bitop3:0x40
	v_cmp_gt_u32_e64 s2, 32, v0
	s_ashr_i32 s3, s6, 31
	s_ashr_i32 s15, s15, 31
	s_mul_u64 s[12:13], s[4:5], s[12:13]
	s_lshl_b32 s6, s6, 7
	s_and_saveexec_b32 s5, s2
	s_cbranch_execz .LBB87_4
; %bb.3:
	s_load_b64 s[16:17], s[0:1], 0x8
	s_wait_kmcnt 0x0
	s_mul_i32 s18, s8, s22
	s_ashr_i32 s7, s6, 31
	s_ashr_i32 s19, s18, 31
	v_lshlrev_b32_e32 v1, 3, v40
	s_lshl_b64 s[18:19], s[18:19], 1
	s_delay_alu instid0(VALU_DEP_1) | instskip(SKIP_2) | instid1(SALU_CYCLE_1)
	v_lshl_add_u32 v1, v41, 7, v1
	s_add_nc_u64 s[16:17], s[16:17], s[18:19]
	s_lshl_b64 s[18:19], s[6:7], 1
	s_add_nc_u64 s[16:17], s[16:17], s[18:19]
	global_load_b64 v[2:3], v0, s[16:17] scale_offset
	s_wait_loadcnt 0x0
	ds_store_b64 v1, v[2:3]
.LBB87_4:
	s_or_b32 exec_lo, exec_lo, s5
	s_wait_kmcnt 0x0
	s_add_co_i32 s5, s23, 15
	s_load_b32 s7, s[0:1], 0x38
	s_ashr_i32 s8, s5, 31
	s_mul_i32 s12, s13, s14
	s_lshr_b32 s8, s8, 28
	s_sub_co_i32 s4, s4, s12
	s_add_co_i32 s5, s5, s8
	s_xor_b32 s3, s3, s15
	s_ashr_i32 s8, s5, 4
	s_add_co_i32 s5, s13, 1
	s_sub_co_i32 s12, s4, s14
	s_cmp_ge_u32 s4, s14
	v_lshrrev_b32_e32 v42, 5, v0
	s_cselect_b32 s5, s5, s13
	s_cselect_b32 s4, s12, s4
	s_add_co_i32 s12, s5, 1
	s_cmp_ge_u32 s4, s14
	v_mbcnt_lo_u32_b32 v44, -1, 0
	s_cselect_b32 s4, s12, s5
	s_mov_b32 s5, exec_lo
	s_xor_b32 s4, s4, s3
	s_wait_kmcnt 0x0
	s_mul_i32 s12, s7, s22
	s_sub_co_i32 s4, s4, s3
	v_cmp_gt_i32_e64 s3, s8, v42
	s_ashr_i32 s13, s12, 31
	s_wait_dscnt 0x0
	s_barrier_signal -1
	s_barrier_wait -1
                                        ; implicit-def: $vgpr3
                                        ; implicit-def: $vgpr2
	v_cmpx_le_i32_e64 s8, v42
	s_xor_b32 s5, exec_lo, s5
; %bb.5:
	v_dual_mov_b32 v3, 0 :: v_dual_mov_b32 v2, 32
	v_mbcnt_lo_u32_b32 v44, -1, 0
; %bb.6:
	s_or_saveexec_b32 s25, s5
	s_clause 0x1
	s_load_b64 s[14:15], s[0:1], 0x28
	s_load_b32 s7, s[0:1], 0x88
	v_mov_b32_e32 v45, 0xff7fffff
	v_dual_lshlrev_b32 v43, 3, v0 :: v_dual_lshrrev_b32 v1, 3, v0
	s_mul_i32 s16, s4, s10
	s_xor_b32 exec_lo, exec_lo, s25
	s_cbranch_execz .LBB87_12
; %bb.7:
	s_load_b64 s[4:5], s[0:1], 0x10
	v_bfe_u32 v6, v0, 1, 4
	s_ashr_i32 s17, s16, 31
	v_mov_b32_e32 v3, 0
	s_lshl_b64 s[26:27], s[16:17], 1
	s_delay_alu instid0(VALU_DEP_2)
	v_dual_lshlrev_b32 v46, 7, v41 :: v_dual_lshlrev_b32 v7, 2, v6
	v_lshlrev_b32_e32 v2, 4, v6
	s_ashr_i32 s19, s9, 31
	s_cmp_neq_f32 s24, 0
	v_lshl_or_b32 v47, v42, 4, v6
	v_lshl_or_b32 v7, v42, 6, v7
	v_mov_b32_e32 v45, 0xff7fffff
	v_xor_b32_e32 v49, 1, v44
	s_mov_b32 s18, s9
	s_mov_b32 s10, 0
	v_add_nc_u32_e32 v48, 0x120, v7
	v_cmp_eq_u32_e32 vcc_lo, 0, v41
	v_mov_b32_e32 v50, v42
	s_wait_kmcnt 0x0
	s_add_nc_u64 s[4:5], s[4:5], s[26:27]
	s_delay_alu instid0(SALU_CYCLE_1)
	v_add_nc_u64_e32 v[4:5], s[4:5], v[2:3]
	v_and_b32_e32 v2, 8, v43
	s_cselect_b32 s4, -1, 0
	s_lshl_b64 s[26:27], s[12:13], 2
	s_sub_co_i32 s17, 1, s23
	s_add_nc_u64 s[26:27], s[14:15], s[26:27]
	s_delay_alu instid0(VALU_DEP_2) | instskip(SKIP_1) | instid1(VALU_DEP_1)
	v_add_nc_u64_e32 v[4:5], v[4:5], v[2:3]
	v_and_b32_e32 v2, 0x7c, v1
	v_add_nc_u64_e32 v[6:7], s[26:27], v[2:3]
	v_mov_b32_e32 v2, 32
	s_branch .LBB87_9
.LBB87_8:                               ;   in Loop: Header=BB87_9 Depth=1
	s_or_b32 exec_lo, exec_lo, s26
	v_dual_add_nc_u32 v50, 4, v50 :: v_dual_add_nc_u32 v47, 64, v47
	v_add_nc_u64_e32 v[6:7], 16, v[6:7]
	v_add_nc_u32_e32 v48, 0x100, v48
	s_delay_alu instid0(VALU_DEP_3) | instskip(SKIP_1) | instid1(SALU_CYCLE_1)
	v_cmp_le_i32_e64 s5, s8, v50
	s_or_b32 s10, s5, s10
	s_and_not1_b32 exec_lo, exec_lo, s10
	s_cbranch_execz .LBB87_11
.LBB87_9:                               ; =>This Inner Loop Header: Depth=1
	global_load_b32 v8, v[6:7], off
	v_cmp_gt_i32_e64 s5, 32, v49
	s_wait_loadcnt_dscnt 0x0
	v_ashrrev_i32_e32 v9, 31, v8
	s_delay_alu instid0(VALU_DEP_1) | instskip(NEXT) | instid1(VALU_DEP_1)
	v_mul_u64_e32 v[8:9], s[18:19], v[8:9]
	v_lshl_add_u64 v[36:37], v[8:9], 1, v[4:5]
	s_clause 0x9
	global_load_b64 v[52:53], v[36:37], off
	global_load_b64 v[38:39], v[36:37], off offset:256
	global_load_b64 v[34:35], v[36:37], off offset:512
	;; [unrolled: 1-line block ×9, first 2 shown]
	ds_load_b64 v[8:9], v46
	s_wait_dscnt 0x0
	v_and_b32_e32 v51, 0xffff, v8
	v_dual_lshrrev_b32 v54, 16, v8 :: v_dual_lshrrev_b32 v59, 16, v9
	v_and_b32_e32 v60, 0xffff, v9
	s_clause 0x5
	global_load_b64 v[18:19], v[36:37], off offset:2560
	global_load_b64 v[16:17], v[36:37], off offset:2816
	;; [unrolled: 1-line block ×6, first 2 shown]
	;;#ASMSTART
	v_cvt_f32_f16 v56, v51;
	;;#ASMEND
	;;#ASMSTART
	v_cvt_f32_f16 v55, v54;
	;;#ASMEND
	s_wait_loadcnt 0xf
	s_wait_xcnt 0x0
	v_and_b32_e32 v36, 0xffff, v52
	v_dual_lshrrev_b32 v37, 16, v52 :: v_dual_lshrrev_b32 v61, 16, v53
	v_and_b32_e32 v53, 0xffff, v53
	;;#ASMSTART
	v_cvt_f32_f16 v58, v36;
	;;#ASMEND
	;;#ASMSTART
	v_cvt_f32_f16 v57, v37;
	;;#ASMEND
	;; [unrolled: 3-line block ×5, first 2 shown]
	s_wait_loadcnt 0xe
	v_lshrrev_b32_e32 v60, 16, v38
	;;#ASMSTART
	v_cvt_f32_f16 v53, v61;
	;;#ASMEND
	ds_load_b64 v[36:37], v46 offset:8
	v_and_b32_e32 v59, 0xffff, v38
	v_lshrrev_b32_e32 v63, 16, v39
	v_and_b32_e32 v62, 0xffff, v39
	s_wait_loadcnt 0xd
	v_and_b32_e32 v67, 0xffff, v34
	v_and_b32_e32 v68, 0xffff, v35
	s_wait_loadcnt 0xc
	v_and_b32_e32 v73, 0xffff, v32
	;; [unrolled: 3-line block ×3, first 2 shown]
	s_wait_loadcnt 0x9
	v_dual_lshrrev_b32 v85, 16, v29 :: v_dual_lshrrev_b32 v86, 16, v26
	v_lshrrev_b32_e32 v66, 16, v34
	v_and_b32_e32 v87, 0xffff, v26
	v_and_b32_e32 v89, 0xffff, v27
	;; [unrolled: 1-line block ×3, first 2 shown]
	v_lshrrev_b32_e32 v72, 16, v32
	v_lshrrev_b32_e32 v83, 16, v28
	s_wait_dscnt 0x0
	v_and_b32_e32 v38, 0xffff, v36
	v_lshrrev_b32_e32 v36, 16, v36
	v_and_b32_e32 v61, 0xffff, v37
	v_lshrrev_b32_e32 v37, 16, v37
	;;#ASMSTART
	v_cvt_f32_f16 v38, v38;
	;;#ASMEND
	;;#ASMSTART
	v_cvt_f32_f16 v39, v36;
	;;#ASMEND
	;; [unrolled: 3-line block ×8, first 2 shown]
	ds_load_b64 v[64:65], v46 offset:16
	v_lshrrev_b32_e32 v69, 16, v35
	v_dual_lshrrev_b32 v88, 16, v27 :: v_dual_mul_f32 v28, v39, v60
	s_delay_alu instid0(VALU_DEP_1)
	v_fmac_f32_e32 v28, v55, v57
	s_wait_dscnt 0x0
	v_and_b32_e32 v34, 0xffff, v64
	v_lshrrev_b32_e32 v64, 16, v64
	v_and_b32_e32 v70, 0xffff, v65
	v_lshrrev_b32_e32 v71, 16, v65
	;;#ASMSTART
	v_cvt_f32_f16 v63, v34;
	;;#ASMEND
	;;#ASMSTART
	v_cvt_f32_f16 v34, v64;
	;;#ASMEND
	;; [unrolled: 3-line block ×8, first 2 shown]
	ds_load_b64 v[70:71], v46 offset:24
	v_dual_fmac_f32 v28, v34, v35 :: v_dual_lshrrev_b32 v75, 16, v33
	s_wait_dscnt 0x0
	v_and_b32_e32 v32, 0xffff, v70
	v_lshrrev_b32_e32 v70, 16, v70
	v_and_b32_e32 v76, 0xffff, v71
	v_lshrrev_b32_e32 v77, 16, v71
	;;#ASMSTART
	v_cvt_f32_f16 v69, v32;
	;;#ASMEND
	;;#ASMSTART
	v_cvt_f32_f16 v32, v70;
	;;#ASMEND
	;; [unrolled: 3-line block ×8, first 2 shown]
	ds_load_b64 v[76:77], v46 offset:32
	v_lshrrev_b32_e32 v75, 16, v30
	v_and_b32_e32 v30, 0xffff, v30
	v_lshrrev_b32_e32 v78, 16, v31
	v_and_b32_e32 v31, 0xffff, v31
	v_fmac_f32_e32 v28, v32, v33
	s_wait_dscnt 0x0
	v_and_b32_e32 v79, 0xffff, v76
	v_lshrrev_b32_e32 v76, 16, v76
	v_and_b32_e32 v80, 0xffff, v77
	v_lshrrev_b32_e32 v77, 16, v77
	;;#ASMSTART
	v_cvt_f32_f16 v79, v79;
	;;#ASMEND
	;;#ASMSTART
	v_cvt_f32_f16 v76, v76;
	;;#ASMEND
	;; [unrolled: 3-line block ×8, first 2 shown]
	ds_load_b64 v[30:31], v46 offset:40
	v_dual_mul_f32 v27, v38, v59 :: v_dual_mul_f32 v26, v61, v62
	v_fmac_f32_e32 v28, v76, v75
	s_wait_dscnt 0x0
	v_and_b32_e32 v38, 0xffff, v30
	v_lshrrev_b32_e32 v30, 16, v30
	v_and_b32_e32 v39, 0xffff, v31
	v_lshrrev_b32_e32 v31, 16, v31
	;;#ASMSTART
	v_cvt_f32_f16 v38, v38;
	;;#ASMEND
	;;#ASMSTART
	v_cvt_f32_f16 v59, v30;
	;;#ASMEND
	;; [unrolled: 3-line block ×8, first 2 shown]
	ds_load_b64 v[30:31], v46 offset:48
	v_fmac_f32_e32 v27, v56, v58
	v_dual_fmac_f32 v26, v52, v54 :: v_dual_fmac_f32 v28, v59, v61
	s_wait_dscnt 0x0
	v_and_b32_e32 v29, 0xffff, v30
	v_dual_lshrrev_b32 v30, 16, v30 :: v_dual_lshrrev_b32 v55, 16, v31
	v_and_b32_e32 v31, 0xffff, v31
	;;#ASMSTART
	v_cvt_f32_f16 v56, v29;
	;;#ASMEND
	;;#ASMSTART
	v_cvt_f32_f16 v57, v30;
	;;#ASMEND
	;; [unrolled: 3-line block ×8, first 2 shown]
	ds_load_b64 v[30:31], v46 offset:56
	s_wait_loadcnt 0x8
	v_dual_mul_f32 v29, v36, v37 :: v_dual_lshrrev_b32 v36, 16, v24
	v_and_b32_e32 v24, 0xffff, v24
	v_lshrrev_b32_e32 v37, 16, v25
	v_and_b32_e32 v25, 0xffff, v25
	s_delay_alu instid0(VALU_DEP_4)
	v_fmac_f32_e32 v29, v51, v53
	s_wait_loadcnt 0x7
	v_dual_fmac_f32 v27, v63, v65 :: v_dual_lshrrev_b32 v63, 16, v20
	v_and_b32_e32 v20, 0xffff, v20
	v_dual_lshrrev_b32 v34, 16, v21 :: v_dual_fmac_f32 v26, v67, v68
	v_and_b32_e32 v21, 0xffff, v21
	s_wait_loadcnt 0x6
	v_lshrrev_b32_e32 v67, 16, v22
	v_and_b32_e32 v22, 0xffff, v22
	v_fmac_f32_e32 v28, v57, v85
	s_wait_dscnt 0x0
	v_and_b32_e32 v51, 0xffff, v30
	v_dual_lshrrev_b32 v30, 16, v30 :: v_dual_lshrrev_b32 v52, 16, v31
	v_and_b32_e32 v31, 0xffff, v31
	;;#ASMSTART
	v_cvt_f32_f16 v51, v51;
	;;#ASMEND
	;;#ASMSTART
	v_cvt_f32_f16 v30, v30;
	;;#ASMEND
	;; [unrolled: 3-line block ×8, first 2 shown]
	ds_load_b64 v[24:25], v46 offset:64
	v_dual_fmac_f32 v29, v64, v66 :: v_dual_fmac_f32 v27, v69, v71
	v_fmac_f32_e32 v28, v30, v36
	s_wait_loadcnt 0x5
	s_delay_alu instid0(VALU_DEP_2) | instskip(NEXT) | instid1(VALU_DEP_3)
	v_dual_fmac_f32 v29, v70, v72 :: v_dual_lshrrev_b32 v70, 16, v19
	v_fmac_f32_e32 v27, v79, v81
	v_and_b32_e32 v19, 0xffff, v19
	s_wait_loadcnt 0x4
	v_lshrrev_b32_e32 v79, 16, v16
	v_and_b32_e32 v16, 0xffff, v16
	v_dual_fmac_f32 v29, v77, v78 :: v_dual_fmac_f32 v27, v38, v60
	s_wait_loadcnt 0x3
	v_lshrrev_b32_e32 v81, 16, v14
	v_and_b32_e32 v14, 0xffff, v14
	s_delay_alu instid0(VALU_DEP_3)
	v_dual_fmac_f32 v29, v62, v84 :: v_dual_fmac_f32 v27, v56, v58
	s_wait_loadcnt 0x2
	v_lshrrev_b32_e32 v56, 16, v13
	s_wait_dscnt 0x0
	v_and_b32_e32 v35, 0xffff, v24
	v_dual_lshrrev_b32 v24, 16, v24 :: v_dual_lshrrev_b32 v64, 16, v25
	v_and_b32_e32 v25, 0xffff, v25
	;;#ASMSTART
	v_cvt_f32_f16 v35, v35;
	;;#ASMEND
	;;#ASMSTART
	v_cvt_f32_f16 v24, v24;
	;;#ASMEND
	;; [unrolled: 3-line block ×8, first 2 shown]
	ds_load_b64 v[20:21], v46 offset:72
	v_lshrrev_b32_e32 v68, 16, v23
	v_and_b32_e32 v23, 0xffff, v23
	v_fmac_f32_e32 v26, v73, v74
	v_lshrrev_b32_e32 v73, 16, v18
	v_and_b32_e32 v18, 0xffff, v18
	s_wait_loadcnt 0x1
	v_lshrrev_b32_e32 v58, 16, v10
	v_and_b32_e32 v13, 0xffff, v13
	v_fmac_f32_e32 v29, v55, v88
	v_dual_fmac_f32 v27, v51, v53 :: v_dual_fmac_f32 v28, v24, v63
	v_and_b32_e32 v10, 0xffff, v10
	s_delay_alu instid0(VALU_DEP_2)
	v_fmac_f32_e32 v27, v35, v65
	s_wait_dscnt 0x0
	v_and_b32_e32 v32, 0xffff, v20
	v_dual_lshrrev_b32 v20, 16, v20 :: v_dual_lshrrev_b32 v33, 16, v21
	v_and_b32_e32 v21, 0xffff, v21
	;;#ASMSTART
	v_cvt_f32_f16 v32, v32;
	;;#ASMEND
	;;#ASMSTART
	v_cvt_f32_f16 v69, v20;
	;;#ASMEND
	;; [unrolled: 3-line block ×8, first 2 shown]
	ds_load_b64 v[20:21], v46 offset:80
	v_dual_fmac_f32 v26, v80, v82 :: v_dual_lshrrev_b32 v80, 16, v17
	v_and_b32_e32 v17, 0xffff, v17
	s_wait_loadcnt 0x0
	v_dual_fmac_f32 v27, v32, v22 :: v_dual_lshrrev_b32 v22, 16, v8
	s_delay_alu instid0(VALU_DEP_3) | instskip(SKIP_3) | instid1(VALU_DEP_4)
	v_dual_fmac_f32 v26, v39, v83 :: v_dual_lshrrev_b32 v83, 16, v12
	v_and_b32_e32 v12, 0xffff, v12
	v_fmac_f32_e32 v28, v69, v67
	v_and_b32_e32 v8, 0xffff, v8
	v_fmac_f32_e32 v26, v86, v87
	v_lshrrev_b32_e32 v30, 16, v11
	v_and_b32_e32 v11, 0xffff, v11
	s_delay_alu instid0(VALU_DEP_3)
	v_dual_fmac_f32 v26, v31, v54 :: v_dual_fmac_f32 v29, v52, v37
	s_wait_dscnt 0x0
	v_and_b32_e32 v72, 0xffff, v20
	v_dual_lshrrev_b32 v20, 16, v20 :: v_dual_lshrrev_b32 v74, 16, v21
	v_and_b32_e32 v21, 0xffff, v21
	;;#ASMSTART
	v_cvt_f32_f16 v72, v72;
	;;#ASMEND
	;;#ASMSTART
	v_cvt_f32_f16 v20, v20;
	;;#ASMEND
	;; [unrolled: 3-line block ×8, first 2 shown]
	ds_load_b64 v[18:19], v46 offset:88
	v_fmac_f32_e32 v26, v25, v66
	s_delay_alu instid0(VALU_DEP_1) | instskip(NEXT) | instid1(VALU_DEP_1)
	v_dual_fmac_f32 v29, v64, v34 :: v_dual_fmac_f32 v26, v71, v23
	v_dual_fmac_f32 v29, v33, v68 :: v_dual_fmac_f32 v28, v20, v73
	s_delay_alu instid0(VALU_DEP_1)
	v_dual_fmac_f32 v26, v21, v76 :: v_dual_fmac_f32 v29, v74, v70
	s_wait_dscnt 0x0
	v_and_b32_e32 v77, 0xffff, v18
	v_dual_lshrrev_b32 v18, 16, v18 :: v_dual_lshrrev_b32 v38, 16, v19
	v_and_b32_e32 v19, 0xffff, v19
	;;#ASMSTART
	v_cvt_f32_f16 v60, v77;
	;;#ASMEND
	;;#ASMSTART
	v_cvt_f32_f16 v18, v18;
	;;#ASMEND
	;; [unrolled: 3-line block ×8, first 2 shown]
	ds_load_b64 v[16:17], v46 offset:96
	v_lshrrev_b32_e32 v59, 16, v15
	v_and_b32_e32 v15, 0xffff, v15
	v_dual_fmac_f32 v28, v18, v78 :: v_dual_fmac_f32 v26, v19, v79
	v_fmac_f32_e32 v29, v38, v80
	s_wait_dscnt 0x0
	v_and_b32_e32 v39, 0xffff, v16
	v_dual_lshrrev_b32 v16, 16, v16 :: v_dual_lshrrev_b32 v61, 16, v17
	v_and_b32_e32 v17, 0xffff, v17
	;;#ASMSTART
	v_cvt_f32_f16 v39, v39;
	;;#ASMEND
	;;#ASMSTART
	v_cvt_f32_f16 v16, v16;
	;;#ASMEND
	;; [unrolled: 3-line block ×8, first 2 shown]
	ds_load_b64 v[14:15], v46 offset:104
	v_dual_fmac_f32 v28, v16, v81 :: v_dual_fmac_f32 v26, v17, v82
	v_lshrrev_b32_e32 v16, 16, v9
	v_and_b32_e32 v9, 0xffff, v9
	s_wait_dscnt 0x0
	v_and_b32_e32 v57, 0xffff, v14
	v_dual_lshrrev_b32 v14, 16, v14 :: v_dual_lshrrev_b32 v84, 16, v15
	v_and_b32_e32 v15, 0xffff, v15
	;;#ASMSTART
	v_cvt_f32_f16 v57, v57;
	;;#ASMEND
	;;#ASMSTART
	v_cvt_f32_f16 v14, v14;
	;;#ASMEND
	;;#ASMSTART
	v_cvt_f32_f16 v85, v12;
	;;#ASMEND
	;;#ASMSTART
	v_cvt_f32_f16 v83, v83;
	;;#ASMEND
	;;#ASMSTART
	v_cvt_f32_f16 v15, v15;
	;;#ASMEND
	;;#ASMSTART
	v_cvt_f32_f16 v84, v84;
	;;#ASMEND
	;;#ASMSTART
	v_cvt_f32_f16 v86, v13;
	;;#ASMEND
	;;#ASMSTART
	v_cvt_f32_f16 v56, v56;
	;;#ASMEND
	ds_load_b64 v[12:13], v46 offset:112
	v_fmac_f32_e32 v27, v72, v75
	v_dual_fmac_f32 v29, v61, v59 :: v_dual_fmac_f32 v26, v15, v86
	v_fmac_f32_e32 v28, v14, v83
	s_wait_dscnt 0x0
	v_and_b32_e32 v20, 0xffff, v12
	v_dual_lshrrev_b32 v12, 16, v12 :: v_dual_lshrrev_b32 v21, 16, v13
	v_and_b32_e32 v13, 0xffff, v13
	;;#ASMSTART
	v_cvt_f32_f16 v20, v20;
	;;#ASMEND
	;;#ASMSTART
	v_cvt_f32_f16 v12, v12;
	;;#ASMEND
	;; [unrolled: 3-line block ×8, first 2 shown]
	ds_load_b64 v[10:11], v46 offset:120
	v_fmac_f32_e32 v27, v60, v77
	v_dual_fmac_f32 v29, v84, v56 :: v_dual_fmac_f32 v26, v13, v25
	s_delay_alu instid0(VALU_DEP_2) | instskip(NEXT) | instid1(VALU_DEP_2)
	v_dual_fmac_f32 v28, v12, v24 :: v_dual_fmac_f32 v27, v39, v62
	v_fmac_f32_e32 v29, v21, v30
	s_delay_alu instid0(VALU_DEP_2) | instskip(NEXT) | instid1(VALU_DEP_1)
	v_fmac_f32_e32 v27, v57, v85
	v_fmac_f32_e32 v27, v20, v23
	s_wait_dscnt 0x0
	v_and_b32_e32 v12, 0xffff, v10
	v_lshrrev_b32_e32 v10, 16, v10
	;;#ASMSTART
	v_cvt_f32_f16 v12, v12;
	;;#ASMEND
	;;#ASMSTART
	v_cvt_f32_f16 v10, v10;
	;;#ASMEND
	;; [unrolled: 3-line block ×3, first 2 shown]
	v_dual_lshrrev_b32 v13, 16, v11 :: v_dual_fmac_f32 v27, v12, v8
	v_and_b32_e32 v11, 0xffff, v11
	;;#ASMSTART
	v_cvt_f32_f16 v14, v22;
	;;#ASMEND
	;;#ASMSTART
	v_cvt_f32_f16 v8, v11;
	;;#ASMEND
	v_fmac_f32_e32 v28, v10, v14
	;;#ASMSTART
	v_cvt_f32_f16 v10, v13;
	;;#ASMEND
	;;#ASMSTART
	v_cvt_f32_f16 v9, v9;
	;;#ASMEND
	v_fmac_f32_e32 v26, v8, v9
	;;#ASMSTART
	v_cvt_f32_f16 v9, v16;
	;;#ASMEND
	v_dual_add_f32 v8, v27, v28 :: v_dual_fmac_f32 v29, v10, v9
	v_cndmask_b32_e64 v9, v44, v49, s5
	s_delay_alu instid0(VALU_DEP_1) | instskip(NEXT) | instid1(VALU_DEP_1)
	v_dual_add_f32 v8, v8, v26 :: v_dual_lshlrev_b32 v9, 2, v9
	v_add_f32_e32 v8, v29, v8
	ds_bpermute_b32 v9, v9, v8
	s_and_saveexec_b32 s26, vcc_lo
	s_cbranch_execz .LBB87_8
; %bb.10:                               ;   in Loop: Header=BB87_9 Depth=1
	s_wait_dscnt 0x0
	v_dual_add_nc_u32 v10, s17, v47 :: v_dual_add_f32 v8, v8, v9
	v_cmp_gt_i32_e64 s5, s23, v47
	s_delay_alu instid0(VALU_DEP_2) | instskip(NEXT) | instid1(VALU_DEP_1)
	v_cvt_f32_i32_e32 v10, v10
	v_mul_f32_e32 v10, s24, v10
	s_delay_alu instid0(VALU_DEP_1) | instskip(NEXT) | instid1(VALU_DEP_1)
	v_dual_cndmask_b32 v9, 0, v10, s4 :: v_dual_max_num_f32 v10, v45, v45
	v_fmac_f32_e32 v9, s11, v8
	s_delay_alu instid0(VALU_DEP_1) | instskip(NEXT) | instid1(VALU_DEP_1)
	v_dual_max_num_f32 v8, v10, v9 :: v_dual_cndmask_b32 v9, 0, v9, s5
	v_cndmask_b32_e64 v45, v45, v8, s5
	ds_store_b32 v48, v9
	s_branch .LBB87_8
.LBB87_11:
	s_or_b32 exec_lo, exec_lo, s10
.LBB87_12:
	s_delay_alu instid0(SALU_CYCLE_1)
	s_or_b32 exec_lo, exec_lo, s25
	v_dual_max_num_f32 v7, v45, v45 :: v_dual_bitop2_b32 v4, 16, v44 bitop3:0x14
	v_xor_b32_e32 v6, 8, v44
	s_clause 0x1
	s_load_b64 s[10:11], s[0:1], 0x0
	s_load_b64 s[18:19], s[0:1], 0x18
	v_and_b32_e32 v21, 31, v0
	v_cmp_lt_i32_e32 vcc_lo, v4, v2
	v_cndmask_b32_e32 v4, v44, v4, vcc_lo
	v_cmp_lt_i32_e32 vcc_lo, v6, v2
	s_delay_alu instid0(VALU_DEP_2) | instskip(SKIP_3) | instid1(VALU_DEP_1)
	v_dual_cndmask_b32 v6, v44, v6 :: v_dual_lshlrev_b32 v5, 2, v4
	ds_bpermute_b32 v4, v5, v45
	s_wait_dscnt 0x0
	v_dual_max_num_f32 v4, v4, v4 :: v_dual_lshlrev_b32 v6, 2, v6
	v_max_num_f32_e32 v4, v7, v4
	ds_bpermute_b32 v7, v6, v4
	s_wait_dscnt 0x0
	v_dual_max_num_f32 v9, v7, v7 :: v_dual_bitop2_b32 v8, 4, v44 bitop3:0x14
	s_delay_alu instid0(VALU_DEP_1) | instskip(NEXT) | instid1(VALU_DEP_2)
	v_max_num_f32_e32 v4, v4, v9
	v_cmp_lt_i32_e32 vcc_lo, v8, v2
	v_xor_b32_e32 v9, 2, v44
	v_cndmask_b32_e32 v8, v44, v8, vcc_lo
	s_delay_alu instid0(VALU_DEP_2) | instskip(NEXT) | instid1(VALU_DEP_2)
	v_cmp_lt_i32_e32 vcc_lo, v9, v2
	v_dual_cndmask_b32 v10, v44, v9 :: v_dual_lshlrev_b32 v7, 2, v8
	v_cmp_eq_u32_e32 vcc_lo, 0, v21
	ds_bpermute_b32 v8, v7, v4
	s_wait_dscnt 0x0
	v_max_num_f32_e32 v8, v8, v8
	s_delay_alu instid0(VALU_DEP_1)
	v_dual_max_num_f32 v9, v4, v8 :: v_dual_lshlrev_b32 v8, 2, v42
	v_lshlrev_b32_e32 v4, 2, v10
	ds_bpermute_b32 v10, v4, v9
	s_wait_xcnt 0x0
	s_and_saveexec_b32 s0, vcc_lo
	s_cbranch_execz .LBB87_14
; %bb.13:
	s_wait_dscnt 0x0
	v_dual_max_num_f32 v10, v10, v10 :: v_dual_max_num_f32 v9, v9, v9
	s_delay_alu instid0(VALU_DEP_1)
	v_max_num_f32_e32 v9, v9, v10
	ds_store_b32 v8, v9 offset:256
.LBB87_14:
	s_or_b32 exec_lo, exec_lo, s0
	v_cmp_gt_u32_e64 s0, 4, v21
	s_wait_dscnt 0x0
	v_dual_mov_b32 v10, 0xff7fffff :: v_dual_lshlrev_b32 v9, 2, v21
	s_barrier_signal -1
	s_barrier_wait -1
	s_and_saveexec_b32 s1, s0
; %bb.15:
	ds_load_b32 v10, v9 offset:256
; %bb.16:
	s_or_b32 exec_lo, exec_lo, s1
	s_wait_dscnt 0x0
	ds_bpermute_b32 v11, v4, v10
	v_dual_max_num_f32 v10, v10, v10 :: v_dual_bitop2_b32 v12, 1, v44 bitop3:0x14
	v_lshlrev_b32_e32 v3, 2, v3
	s_delay_alu instid0(VALU_DEP_2) | instskip(NEXT) | instid1(VALU_DEP_1)
	v_cmp_lt_i32_e64 s1, v12, v2
	v_cndmask_b32_e64 v2, v44, v12, s1
	s_lshl_b32 s1, s8, 4
	s_delay_alu instid0(SALU_CYCLE_1) | instskip(NEXT) | instid1(SALU_CYCLE_1)
	s_min_i32 s5, s1, s23
	v_cmp_gt_i32_e64 s1, s5, v0
	s_wait_dscnt 0x0
	v_dual_max_num_f32 v11, v11, v11 :: v_dual_lshlrev_b32 v22, 2, v2
	s_delay_alu instid0(VALU_DEP_1) | instskip(SKIP_3) | instid1(VALU_DEP_1)
	v_max_num_f32_e32 v2, v10, v11
	ds_bpermute_b32 v10, v22, v2
	s_wait_dscnt 0x0
	v_max_num_f32_e32 v10, v10, v10
	v_max_num_f32_e32 v2, v2, v10
	ds_bpermute_b32 v3, v3, v2
	v_mov_b32_e32 v2, 0
	s_and_saveexec_b32 s17, s1
	s_cbranch_execz .LBB87_20
; %bb.17:
	v_lshl_add_u32 v10, v0, 2, 0x120
	v_dual_mov_b32 v2, 0 :: v_dual_mov_b32 v11, v0
	s_mov_b32 s24, 0
.LBB87_18:                              ; =>This Inner Loop Header: Depth=1
	ds_load_b32 v12, v10
	s_wait_dscnt 0x0
	v_sub_f32_e32 v12, v12, v3
	s_delay_alu instid0(VALU_DEP_1) | instskip(NEXT) | instid1(VALU_DEP_1)
	v_mul_f32_e32 v12, 0x3fb8aa3b, v12
	v_exp_f32_e32 v12, v12
	v_nop
	s_delay_alu instid0(TRANS32_DEP_1) | instskip(NEXT) | instid1(VALU_DEP_1)
	v_dual_add_f32 v2, v2, v12 :: v_dual_add_nc_u32 v11, 0x80, v11
	v_cmp_le_i32_e64 s4, s5, v11
	ds_store_b32 v10, v12
	v_add_nc_u32_e32 v10, 0x200, v10
	s_or_b32 s24, s4, s24
	s_delay_alu instid0(SALU_CYCLE_1)
	s_and_not1_b32 exec_lo, exec_lo, s24
	s_cbranch_execnz .LBB87_18
; %bb.19:
	s_or_b32 exec_lo, exec_lo, s24
.LBB87_20:
	s_delay_alu instid0(SALU_CYCLE_1)
	s_or_b32 exec_lo, exec_lo, s17
	s_wait_dscnt 0x0
	ds_bpermute_b32 v3, v5, v2
	s_wait_dscnt 0x0
	v_add_f32_e32 v2, v2, v3
	ds_bpermute_b32 v3, v6, v2
	s_wait_dscnt 0x0
	v_add_f32_e32 v2, v2, v3
	;; [unrolled: 3-line block ×5, first 2 shown]
	s_and_saveexec_b32 s4, vcc_lo
; %bb.21:
	ds_store_b32 v8, v2 offset:272
; %bb.22:
	s_or_b32 exec_lo, exec_lo, s4
	s_wait_dscnt 0x0
	s_barrier_signal -1
	s_barrier_wait -1
	s_and_saveexec_b32 s4, s0
; %bb.23:
	ds_load_b32 v2, v9 offset:272
; %bb.24:
	s_or_b32 exec_lo, exec_lo, s4
	s_wait_dscnt 0x0
	ds_bpermute_b32 v3, v4, v2
	s_wait_dscnt 0x0
	v_dual_lshlrev_b32 v4, 2, v44 :: v_dual_add_f32 v2, v2, v3
	ds_bpermute_b32 v3, v22, v2
	s_wait_dscnt 0x0
	v_add_f32_e32 v2, v2, v3
	v_and_b32_e32 v3, 0xffffff80, v4
	ds_bpermute_b32 v2, v3, v2
	s_and_saveexec_b32 s0, s1
	s_cbranch_execz .LBB87_37
; %bb.25:
	s_wait_dscnt 0x0
	v_add_f32_e32 v2, 0x358637bd, v2
	s_mov_b32 s4, -1
	s_mov_b32 s1, exec_lo
	s_delay_alu instid0(VALU_DEP_1) | instskip(NEXT) | instid1(VALU_DEP_1)
	v_div_scale_f32 v3, null, v2, v2, 1.0
	v_rcp_f32_e32 v5, v3
	v_nop
	s_delay_alu instid0(TRANS32_DEP_1) | instskip(NEXT) | instid1(VALU_DEP_1)
	v_fma_f32 v4, -v3, v5, 1.0
	v_fmac_f32_e32 v5, v4, v5
	v_div_scale_f32 v6, vcc_lo, 1.0, v2, 1.0
	s_delay_alu instid0(VALU_DEP_1) | instskip(NEXT) | instid1(VALU_DEP_1)
	v_mul_f32_e32 v7, v6, v5
	v_fma_f32 v4, -v3, v7, v6
	s_delay_alu instid0(VALU_DEP_1) | instskip(SKIP_1) | instid1(VALU_DEP_2)
	v_fmac_f32_e32 v7, v4, v5
	v_xad_u32 v4, v0, -1, s5
	v_fma_f32 v3, -v3, v7, v6
	s_delay_alu instid0(VALU_DEP_1) | instskip(NEXT) | instid1(VALU_DEP_1)
	v_div_fmas_f32 v3, v3, v5, v7
	v_div_fixup_f32 v2, v3, v2, 1.0
	v_mov_b32_e32 v3, v0
	v_cmpx_lt_u32_e32 0x7f, v4
	s_cbranch_execz .LBB87_34
; %bb.26:
	s_delay_alu instid0(VALU_DEP_3) | instskip(NEXT) | instid1(VALU_DEP_1)
	v_dual_mov_b32 v3, v2 :: v_dual_lshrrev_b32 v4, 7, v4
	v_dual_mov_b32 v8, 0 :: v_dual_add_nc_u32 v5, -1, v4
	s_delay_alu instid0(VALU_DEP_1) | instskip(SKIP_1) | instid1(VALU_DEP_2)
	v_lshrrev_b32_e32 v6, 1, v5
	v_cmp_lt_u32_e32 vcc_lo, 13, v5
	v_add_nc_u32_e32 v5, 1, v6
	s_and_saveexec_b32 s4, vcc_lo
	s_cbranch_execz .LBB87_30
; %bb.27:
	s_delay_alu instid0(VALU_DEP_1)
	v_and_b32_e32 v6, -8, v5
	v_lshl_add_u32 v7, v0, 2, 0x120
	s_mov_b32 s17, 0
	s_mov_b32 s24, 0
.LBB87_28:                              ; =>This Inner Loop Header: Depth=1
	ds_load_2addr_stride64_b32 v[8:9], v7 offset1:2
	ds_load_2addr_stride64_b32 v[10:11], v7 offset0:4 offset1:6
	ds_load_2addr_stride64_b32 v[12:13], v7 offset0:8 offset1:10
	;; [unrolled: 1-line block ×7, first 2 shown]
	s_add_co_i32 s24, s24, 16
	v_add_nc_u32_e32 v6, -8, v6
	s_wait_dscnt 0x7
	v_pk_mul_f32 v[8:9], v[2:3], v[8:9]
	s_wait_dscnt 0x6
	v_pk_mul_f32 v[10:11], v[2:3], v[10:11]
	s_wait_dscnt 0x5
	v_pk_mul_f32 v[12:13], v[2:3], v[12:13]
	s_wait_dscnt 0x4
	v_pk_mul_f32 v[14:15], v[2:3], v[14:15]
	s_wait_dscnt 0x3
	v_pk_mul_f32 v[16:17], v[2:3], v[16:17]
	s_wait_dscnt 0x2
	v_pk_mul_f32 v[18:19], v[2:3], v[18:19]
	s_wait_dscnt 0x1
	v_pk_mul_f32 v[24:25], v[2:3], v[24:25]
	s_wait_dscnt 0x0
	v_pk_mul_f32 v[26:27], v[2:3], v[26:27]
	ds_store_2addr_stride64_b32 v7, v8, v9 offset1:2
	ds_store_2addr_stride64_b32 v7, v10, v11 offset0:4 offset1:6
	ds_store_2addr_stride64_b32 v7, v12, v13 offset0:8 offset1:10
	ds_store_2addr_stride64_b32 v7, v14, v15 offset0:12 offset1:14
	ds_store_2addr_stride64_b32 v7, v16, v17 offset0:16 offset1:18
	ds_store_2addr_stride64_b32 v7, v18, v19 offset0:20 offset1:22
	ds_store_2addr_stride64_b32 v7, v24, v25 offset0:24 offset1:26
	ds_store_2addr_stride64_b32 v7, v26, v27 offset0:28 offset1:30
	v_mov_b32_e32 v8, s24
	v_cmp_eq_u32_e32 vcc_lo, 0, v6
	v_add_nc_u32_e32 v7, 0x2000, v7
	s_or_b32 s17, vcc_lo, s17
	s_delay_alu instid0(SALU_CYCLE_1)
	s_and_not1_b32 exec_lo, exec_lo, s17
	s_cbranch_execnz .LBB87_28
; %bb.29:
	s_or_b32 exec_lo, exec_lo, s17
.LBB87_30:
	s_delay_alu instid0(SALU_CYCLE_1) | instskip(NEXT) | instid1(VALU_DEP_1)
	s_or_b32 exec_lo, exec_lo, s4
	v_and_b32_e32 v5, 7, v5
	s_mov_b32 s17, 0
	s_mov_b32 s4, exec_lo
	s_delay_alu instid0(VALU_DEP_1)
	v_cmpx_ne_u32_e32 0, v5
	s_cbranch_execz .LBB87_33
; %bb.31:
	v_lshlrev_b32_e32 v6, 9, v8
	v_lshlrev_b32_e32 v7, 2, v0
	s_delay_alu instid0(VALU_DEP_1)
	v_add3_u32 v6, v6, v7, 0x120
.LBB87_32:                              ; =>This Inner Loop Header: Depth=1
	ds_load_2addr_stride64_b32 v[8:9], v6 offset1:2
	v_add_nc_u32_e32 v5, -1, v5
	s_delay_alu instid0(VALU_DEP_1)
	v_cmp_eq_u32_e32 vcc_lo, 0, v5
	s_or_b32 s17, vcc_lo, s17
	s_wait_dscnt 0x0
	v_pk_mul_f32 v[8:9], v[2:3], v[8:9]
	ds_store_2addr_stride64_b32 v6, v8, v9 offset1:2
	v_add_nc_u32_e32 v6, 0x400, v6
	s_and_not1_b32 exec_lo, exec_lo, s17
	s_cbranch_execnz .LBB87_32
.LBB87_33:
	s_or_b32 exec_lo, exec_lo, s4
	v_add_nc_u32_e32 v3, 1, v4
	s_delay_alu instid0(VALU_DEP_1) | instskip(NEXT) | instid1(VALU_DEP_1)
	v_and_b32_e32 v4, 0x3fffffe, v3
	v_cmp_ne_u32_e32 vcc_lo, v3, v4
	v_lshl_add_u32 v3, v4, 7, v0
	s_or_not1_b32 s4, vcc_lo, exec_lo
.LBB87_34:
	s_or_b32 exec_lo, exec_lo, s1
	s_delay_alu instid0(SALU_CYCLE_1)
	s_and_b32 exec_lo, exec_lo, s4
	s_cbranch_execz .LBB87_37
; %bb.35:
	v_lshl_add_u32 v4, v3, 2, 0x120
	s_mov_b32 s1, 0
.LBB87_36:                              ; =>This Inner Loop Header: Depth=1
	ds_load_b32 v5, v4
	v_add_nc_u32_e32 v3, 0x80, v3
	s_delay_alu instid0(VALU_DEP_1)
	v_cmp_le_i32_e32 vcc_lo, s5, v3
	s_or_b32 s1, vcc_lo, s1
	s_wait_dscnt 0x0
	v_mul_f32_e32 v5, v2, v5
	ds_store_b32 v4, v5
	v_add_nc_u32_e32 v4, 0x200, v4
	s_and_not1_b32 exec_lo, exec_lo, s1
	s_cbranch_execnz .LBB87_36
.LBB87_37:
	s_or_b32 exec_lo, exec_lo, s0
	v_mov_b32_e32 v7, 0
	s_wait_dscnt 0x0
	s_barrier_signal -1
	s_barrier_wait -1
	s_delay_alu instid0(VALU_DEP_1)
	v_dual_mov_b32 v6, v7 :: v_dual_mov_b32 v9, v7
	v_dual_mov_b32 v8, v7 :: v_dual_mov_b32 v11, v7
	;; [unrolled: 1-line block ×3, first 2 shown]
	v_mov_b32_e32 v12, v7
	s_and_saveexec_b32 s1, s3
	s_cbranch_execz .LBB87_57
; %bb.38:
	v_dual_lshlrev_b32 v2, 4, v0 :: v_dual_bitop2_b32 v3, 8, v43 bitop3:0x40
	s_ashr_i32 s17, s16, 31
	v_dual_mov_b32 v7, 0 :: v_dual_lshlrev_b32 v4, 5, v41
	s_delay_alu instid0(VALU_DEP_2)
	v_and_b32_e32 v6, 0x1f0, v2
	s_lshl_b64 s[16:17], s[16:17], 1
	s_lshl_b64 s[12:13], s[12:13], 2
	s_wait_kmcnt 0x0
	s_add_nc_u64 s[16:17], s[18:19], s[16:17]
	v_lshl_or_b32 v2, v42, 6, v4
	v_add_nc_u64_e32 v[14:15], s[16:17], v[6:7]
	v_and_b32_e32 v6, 0x7c, v1
	s_add_nc_u64 s[12:13], s[14:15], s[12:13]
	v_lshl_or_b32 v23, v42, 4, v3
	v_dual_mov_b32 v9, v7 :: v_dual_add_nc_u32 v24, 0x120, v2
	s_delay_alu instid0(VALU_DEP_3)
	v_add_nc_u64_e32 v[16:17], s[12:13], v[6:7]
	v_dual_mov_b32 v6, v7 :: v_dual_mov_b32 v8, v7
	v_dual_mov_b32 v11, v7 :: v_dual_mov_b32 v10, v7
	;; [unrolled: 1-line block ×3, first 2 shown]
	v_mov_b32_e32 v25, v42
	s_ashr_i32 s5, s9, 31
	s_mov_b32 s4, s9
	s_add_co_i32 s3, s8, -1
	s_mov_b32 s12, s23
	s_mov_b32 s9, 0
	s_branch .LBB87_40
.LBB87_39:                              ;   in Loop: Header=BB87_40 Depth=1
	s_or_b32 exec_lo, exec_lo, s0
	v_dual_lshlrev_b32 v18, 16, v18 :: v_dual_lshlrev_b32 v1, 16, v1
	v_dual_add_f32 v20, v20, v33 :: v_dual_add_f32 v26, v51, v52
	v_lshlrev_b32_e32 v19, 16, v19
	s_delay_alu instid0(VALU_DEP_3) | instskip(NEXT) | instid1(VALU_DEP_4)
	v_and_or_b32 v2, 0xffff, v2, v18
	v_and_or_b32 v1, 0xffff, v3, v1
	s_delay_alu instid0(VALU_DEP_4)
	v_dual_add_f32 v6, v6, v20 :: v_dual_add_f32 v9, v9, v26
	v_add_f32_e32 v20, v49, v50
	v_and_or_b32 v3, 0xffff, v4, v19
	;;#ASMSTART
	v_pk_mul_f16 v2, v35, v2;

	;;#ASMEND
	;;#ASMSTART
	v_pk_mul_f16 v1, v34, v1;

	;;#ASMEND
	;; [unrolled: 4-line block ×4, first 2 shown]
	;;#ASMSTART
	v_pk_add_f16 v1, v2, v1;

	;;#ASMEND
	;;#ASMSTART
	v_pk_add_f16 v1, v1, v3;

	;;#ASMEND
	;; [unrolled: 4-line block ×3, first 2 shown]
	v_dual_add_f32 v26, v47, v48 :: v_dual_lshrrev_b32 v5, 16, v1
	v_and_b32_e32 v4, 0xffff, v1
	v_dual_add_f32 v1, v45, v46 :: v_dual_add_f32 v2, v43, v44
	v_add_nc_u32_e32 v25, 4, v25
	;;#ASMSTART
	v_cvt_f32_f16 v4, v4;
	;;#ASMEND
	;;#ASMSTART
	v_cvt_f32_f16 v5, v5;
	;;#ASMEND
	v_dual_add_f32 v3, v38, v39 :: v_dual_add_f32 v4, v4, v5
	v_add_f32_e32 v13, v13, v2
	v_cmp_le_i32_e32 vcc_lo, s8, v25
	v_add_nc_u64_e32 v[16:17], 16, v[16:17]
	v_dual_add_f32 v8, v8, v20 :: v_dual_add_f32 v11, v11, v26
	v_dual_add_f32 v10, v10, v1 :: v_dual_add_f32 v12, v12, v3
	v_dual_add_f32 v7, v7, v4 :: v_dual_add_nc_u32 v23, 64, v23
	v_add_nc_u32_e32 v24, 0x100, v24
	s_or_b32 s9, vcc_lo, s9
	s_delay_alu instid0(SALU_CYCLE_1)
	s_and_not1_b32 exec_lo, exec_lo, s9
	s_cbranch_execz .LBB87_56
.LBB87_40:                              ; =>This Inner Loop Header: Depth=1
	global_load_b32 v2, v[16:17], off
	v_cmp_eq_u32_e32 vcc_lo, s3, v25
	v_dual_add_nc_u32 v31, 2, v23 :: v_dual_bitop2_b32 v30, 1, v23 bitop3:0x54
	s_wait_loadcnt 0x0
	v_ashrrev_i32_e32 v3, 31, v2
	s_delay_alu instid0(VALU_DEP_1)
	v_mul_u64_e32 v[18:19], s[4:5], v[2:3]
	ds_load_2addr_b64 v[2:5], v24 offset1:1
	ds_load_2addr_b64 v[26:29], v24 offset0:2 offset1:3
	s_wait_dscnt 0x1
	;;#ASMSTART
	v_cvt_f16_f32 v35, v2;

	;;#ASMEND
	;;#ASMSTART
	v_cvt_f16_f32 v34, v3;

	;;#ASMEND
	;; [unrolled: 4-line block ×4, first 2 shown]
	s_wait_dscnt 0x0
	;;#ASMSTART
	v_cvt_f16_f32 v44, v26;

	;;#ASMEND
	;;#ASMSTART
	v_cvt_f16_f32 v36, v27;

	;;#ASMEND
	;; [unrolled: 4-line block ×4, first 2 shown]
	v_dual_add_nc_u32 v27, 4, v23 :: v_dual_add_nc_u32 v26, 5, v23
	v_dual_add_nc_u32 v29, 6, v23 :: v_dual_add_nc_u32 v28, 7, v23
	v_lshl_add_u64 v[18:19], v[18:19], 1, v[14:15]
	global_load_b128 v[2:5], v[18:19], off
	s_wait_loadcnt 0x0
	v_dual_lshrrev_b32 v20, 16, v2 :: v_dual_bitop2_b32 v32, 3, v23 bitop3:0x54
	v_dual_lshrrev_b32 v1, 16, v3 :: v_dual_lshrrev_b32 v33, 16, v4
	s_and_saveexec_b32 s13, vcc_lo
	s_cbranch_execz .LBB87_42
; %bb.41:                               ;   in Loop: Header=BB87_40 Depth=1
	v_cmp_gt_i32_e64 s0, s23, v23
	v_and_b32_e32 v45, 0xffff, v5
	v_and_b32_e32 v5, 0xffff0000, v5
	s_delay_alu instid0(VALU_DEP_3) | instskip(SKIP_1) | instid1(VALU_DEP_1)
	v_cndmask_b32_e64 v2, 0, v2, s0
	v_cmp_gt_i32_e64 s0, s23, v31
	v_cndmask_b32_e64 v3, 0, v3, s0
	v_cmp_gt_i32_e64 s0, s12, v32
	s_delay_alu instid0(VALU_DEP_1) | instskip(SKIP_1) | instid1(VALU_DEP_1)
	v_cndmask_b32_e64 v1, 0, v1, s0
	v_cmp_gt_i32_e64 s0, s23, v30
	v_cndmask_b32_e64 v20, 0, v20, s0
	v_cmp_gt_i32_e64 s0, s23, v29
	s_delay_alu instid0(VALU_DEP_1) | instskip(SKIP_1) | instid1(VALU_DEP_1)
	v_cndmask_b32_e64 v45, 0, v45, s0
	v_cmp_gt_i32_e64 s0, s23, v28
	v_cndmask_b32_e64 v5, 0, v5, s0
	v_cmp_gt_i32_e64 s0, s23, v27
	s_delay_alu instid0(VALU_DEP_1) | instskip(SKIP_1) | instid1(VALU_DEP_4)
	v_cndmask_b32_e64 v4, 0, v4, s0
	v_cmp_gt_i32_e64 s0, s23, v26
	v_or_b32_e32 v5, v45, v5
	s_delay_alu instid0(VALU_DEP_2)
	v_cndmask_b32_e64 v33, 0, v33, s0
.LBB87_42:                              ;   in Loop: Header=BB87_40 Depth=1
	s_or_b32 exec_lo, exec_lo, s13
	v_and_b32_e32 v35, 0xffff, v35
	v_and_b32_e32 v43, 0xffff, v43
	v_dual_lshlrev_b32 v20, 16, v20 :: v_dual_lshlrev_b32 v1, 16, v1
	v_lshlrev_b32_e32 v33, 16, v33
	v_and_b32_e32 v44, 0xffff, v44
	v_lshl_or_b32 v35, v34, 16, v35
	v_lshl_or_b32 v34, v38, 16, v43
	v_and_b32_e32 v38, 0xffff, v39
	v_and_or_b32 v2, 0xffff, v2, v20
	v_and_or_b32 v1, 0xffff, v3, v1
	;; [unrolled: 1-line block ×3, first 2 shown]
	;;#ASMSTART
	v_pk_mul_f16 v2, v35, v2;

	;;#ASMEND
	;;#ASMSTART
	v_pk_mul_f16 v1, v34, v1;

	;;#ASMEND
	v_lshl_or_b32 v36, v36, 16, v44
	v_lshl_or_b32 v37, v37, 16, v38
	;;#ASMSTART
	v_pk_mul_f16 v3, v36, v3;

	;;#ASMEND
	;;#ASMSTART
	v_pk_mul_f16 v4, v37, v5;

	;;#ASMEND
	;;#ASMSTART
	v_pk_add_f16 v1, v2, v1;

	;;#ASMEND
	;;#ASMSTART
	v_pk_add_f16 v1, v1, v3;
	;; [unrolled: 4-line block ×3, first 2 shown]

	;;#ASMEND
	v_and_b32_e32 v2, 0xffff, v1
	v_lshrrev_b32_e32 v1, 16, v1
	;;#ASMSTART
	v_cvt_f32_f16 v38, v2;
	;;#ASMEND
	;;#ASMSTART
	v_cvt_f32_f16 v39, v1;
	;;#ASMEND
	global_load_b128 v[2:5], v[18:19], off offset:512
	s_wait_loadcnt 0x0
	v_dual_lshrrev_b32 v1, 16, v3 :: v_dual_lshrrev_b32 v20, 16, v2
	v_lshrrev_b32_e32 v33, 16, v4
	s_and_saveexec_b32 s13, vcc_lo
	s_cbranch_execz .LBB87_44
; %bb.43:                               ;   in Loop: Header=BB87_40 Depth=1
	v_cmp_gt_i32_e64 s0, s23, v23
	v_and_b32_e32 v43, 0xffff, v5
	v_and_b32_e32 v5, 0xffff0000, v5
	s_delay_alu instid0(VALU_DEP_3) | instskip(SKIP_1) | instid1(VALU_DEP_1)
	v_cndmask_b32_e64 v2, 0, v2, s0
	v_cmp_gt_i32_e64 s0, s23, v31
	v_cndmask_b32_e64 v3, 0, v3, s0
	v_cmp_gt_i32_e64 s0, s12, v32
	s_delay_alu instid0(VALU_DEP_1) | instskip(SKIP_1) | instid1(VALU_DEP_1)
	v_cndmask_b32_e64 v1, 0, v1, s0
	v_cmp_gt_i32_e64 s0, s23, v30
	v_cndmask_b32_e64 v20, 0, v20, s0
	v_cmp_gt_i32_e64 s0, s23, v29
	s_delay_alu instid0(VALU_DEP_1) | instskip(SKIP_1) | instid1(VALU_DEP_1)
	;; [unrolled: 5-line block ×3, first 2 shown]
	v_dual_cndmask_b32 v4, 0, v4, s0 :: v_dual_bitop2_b32 v5, v43, v5 bitop3:0x54
	v_cmp_gt_i32_e64 s0, s23, v26
	v_cndmask_b32_e64 v33, 0, v33, s0
.LBB87_44:                              ;   in Loop: Header=BB87_40 Depth=1
	s_or_b32 exec_lo, exec_lo, s13
	v_dual_lshlrev_b32 v20, 16, v20 :: v_dual_lshlrev_b32 v1, 16, v1
	s_delay_alu instid0(VALU_DEP_2) | instskip(NEXT) | instid1(VALU_DEP_2)
	v_lshlrev_b32_e32 v33, 16, v33
	v_and_or_b32 v2, 0xffff, v2, v20
	s_delay_alu instid0(VALU_DEP_3) | instskip(NEXT) | instid1(VALU_DEP_3)
	v_and_or_b32 v1, 0xffff, v3, v1
	v_and_or_b32 v3, 0xffff, v4, v33
	;;#ASMSTART
	v_pk_mul_f16 v2, v35, v2;

	;;#ASMEND
	;;#ASMSTART
	v_pk_mul_f16 v1, v34, v1;

	;;#ASMEND
	;;#ASMSTART
	v_pk_mul_f16 v3, v36, v3;

	;;#ASMEND
	;;#ASMSTART
	v_pk_mul_f16 v4, v37, v5;

	;;#ASMEND
	;;#ASMSTART
	v_pk_add_f16 v1, v2, v1;

	;;#ASMEND
	;;#ASMSTART
	v_pk_add_f16 v1, v1, v3;

	;;#ASMEND
	;; [unrolled: 4-line block ×3, first 2 shown]
	v_and_b32_e32 v2, 0xffff, v1
	v_lshrrev_b32_e32 v1, 16, v1
	;;#ASMSTART
	v_cvt_f32_f16 v43, v2;
	;;#ASMEND
	;;#ASMSTART
	v_cvt_f32_f16 v44, v1;
	;;#ASMEND
	global_load_b128 v[2:5], v[18:19], off offset:1024
	s_wait_loadcnt 0x0
	v_dual_lshrrev_b32 v1, 16, v3 :: v_dual_lshrrev_b32 v20, 16, v2
	v_lshrrev_b32_e32 v33, 16, v4
	s_and_saveexec_b32 s13, vcc_lo
	s_cbranch_execz .LBB87_46
; %bb.45:                               ;   in Loop: Header=BB87_40 Depth=1
	v_cmp_gt_i32_e64 s0, s23, v23
	v_and_b32_e32 v45, 0xffff, v5
	v_and_b32_e32 v5, 0xffff0000, v5
	s_delay_alu instid0(VALU_DEP_3) | instskip(SKIP_1) | instid1(VALU_DEP_1)
	v_cndmask_b32_e64 v2, 0, v2, s0
	v_cmp_gt_i32_e64 s0, s23, v31
	v_cndmask_b32_e64 v3, 0, v3, s0
	v_cmp_gt_i32_e64 s0, s12, v32
	s_delay_alu instid0(VALU_DEP_1) | instskip(SKIP_1) | instid1(VALU_DEP_1)
	v_cndmask_b32_e64 v1, 0, v1, s0
	v_cmp_gt_i32_e64 s0, s23, v30
	v_cndmask_b32_e64 v20, 0, v20, s0
	v_cmp_gt_i32_e64 s0, s23, v29
	s_delay_alu instid0(VALU_DEP_1) | instskip(SKIP_1) | instid1(VALU_DEP_1)
	v_cndmask_b32_e64 v45, 0, v45, s0
	v_cmp_gt_i32_e64 s0, s23, v28
	v_cndmask_b32_e64 v5, 0, v5, s0
	v_cmp_gt_i32_e64 s0, s23, v27
	s_delay_alu instid0(VALU_DEP_1) | instskip(SKIP_1) | instid1(VALU_DEP_4)
	v_cndmask_b32_e64 v4, 0, v4, s0
	v_cmp_gt_i32_e64 s0, s23, v26
	v_or_b32_e32 v5, v45, v5
	s_delay_alu instid0(VALU_DEP_2)
	v_cndmask_b32_e64 v33, 0, v33, s0
.LBB87_46:                              ;   in Loop: Header=BB87_40 Depth=1
	s_or_b32 exec_lo, exec_lo, s13
	v_dual_lshlrev_b32 v20, 16, v20 :: v_dual_lshlrev_b32 v1, 16, v1
	s_delay_alu instid0(VALU_DEP_2) | instskip(NEXT) | instid1(VALU_DEP_2)
	v_lshlrev_b32_e32 v33, 16, v33
	v_and_or_b32 v2, 0xffff, v2, v20
	s_delay_alu instid0(VALU_DEP_3) | instskip(NEXT) | instid1(VALU_DEP_3)
	v_and_or_b32 v1, 0xffff, v3, v1
	v_and_or_b32 v3, 0xffff, v4, v33
	;;#ASMSTART
	v_pk_mul_f16 v2, v35, v2;

	;;#ASMEND
	;;#ASMSTART
	v_pk_mul_f16 v1, v34, v1;

	;;#ASMEND
	;; [unrolled: 4-line block ×4, first 2 shown]
	;;#ASMSTART
	v_pk_add_f16 v1, v2, v1;

	;;#ASMEND
	;;#ASMSTART
	v_pk_add_f16 v1, v1, v3;

	;;#ASMEND
	;; [unrolled: 4-line block ×3, first 2 shown]
	v_and_b32_e32 v2, 0xffff, v1
	v_lshrrev_b32_e32 v1, 16, v1
	;;#ASMSTART
	v_cvt_f32_f16 v45, v2;
	;;#ASMEND
	;;#ASMSTART
	v_cvt_f32_f16 v46, v1;
	;;#ASMEND
	global_load_b128 v[2:5], v[18:19], off offset:1536
	s_wait_loadcnt 0x0
	v_dual_lshrrev_b32 v1, 16, v3 :: v_dual_lshrrev_b32 v20, 16, v2
	v_lshrrev_b32_e32 v33, 16, v4
	s_and_saveexec_b32 s13, vcc_lo
	s_cbranch_execz .LBB87_48
; %bb.47:                               ;   in Loop: Header=BB87_40 Depth=1
	v_cmp_gt_i32_e64 s0, s23, v23
	v_and_b32_e32 v47, 0xffff, v5
	v_and_b32_e32 v5, 0xffff0000, v5
	s_delay_alu instid0(VALU_DEP_3) | instskip(SKIP_1) | instid1(VALU_DEP_1)
	v_cndmask_b32_e64 v2, 0, v2, s0
	v_cmp_gt_i32_e64 s0, s23, v31
	v_cndmask_b32_e64 v3, 0, v3, s0
	v_cmp_gt_i32_e64 s0, s12, v32
	s_delay_alu instid0(VALU_DEP_1) | instskip(SKIP_1) | instid1(VALU_DEP_1)
	v_cndmask_b32_e64 v1, 0, v1, s0
	v_cmp_gt_i32_e64 s0, s23, v30
	v_cndmask_b32_e64 v20, 0, v20, s0
	v_cmp_gt_i32_e64 s0, s23, v29
	s_delay_alu instid0(VALU_DEP_1) | instskip(SKIP_1) | instid1(VALU_DEP_1)
	v_cndmask_b32_e64 v47, 0, v47, s0
	v_cmp_gt_i32_e64 s0, s23, v28
	v_cndmask_b32_e64 v5, 0, v5, s0
	v_cmp_gt_i32_e64 s0, s23, v27
	s_delay_alu instid0(VALU_DEP_1) | instskip(SKIP_1) | instid1(VALU_DEP_1)
	v_dual_cndmask_b32 v4, 0, v4, s0 :: v_dual_bitop2_b32 v5, v47, v5 bitop3:0x54
	v_cmp_gt_i32_e64 s0, s23, v26
	v_cndmask_b32_e64 v33, 0, v33, s0
.LBB87_48:                              ;   in Loop: Header=BB87_40 Depth=1
	s_or_b32 exec_lo, exec_lo, s13
	v_dual_lshlrev_b32 v20, 16, v20 :: v_dual_lshlrev_b32 v1, 16, v1
	s_delay_alu instid0(VALU_DEP_2) | instskip(NEXT) | instid1(VALU_DEP_2)
	v_lshlrev_b32_e32 v33, 16, v33
	v_and_or_b32 v2, 0xffff, v2, v20
	s_delay_alu instid0(VALU_DEP_3) | instskip(NEXT) | instid1(VALU_DEP_3)
	v_and_or_b32 v1, 0xffff, v3, v1
	v_and_or_b32 v3, 0xffff, v4, v33
	;;#ASMSTART
	v_pk_mul_f16 v2, v35, v2;

	;;#ASMEND
	;;#ASMSTART
	v_pk_mul_f16 v1, v34, v1;

	;;#ASMEND
	;; [unrolled: 4-line block ×4, first 2 shown]
	;;#ASMSTART
	v_pk_add_f16 v1, v2, v1;

	;;#ASMEND
	;;#ASMSTART
	v_pk_add_f16 v1, v1, v3;

	;;#ASMEND
	;; [unrolled: 4-line block ×3, first 2 shown]
	v_and_b32_e32 v2, 0xffff, v1
	v_lshrrev_b32_e32 v1, 16, v1
	;;#ASMSTART
	v_cvt_f32_f16 v47, v2;
	;;#ASMEND
	;;#ASMSTART
	v_cvt_f32_f16 v48, v1;
	;;#ASMEND
	global_load_b128 v[2:5], v[18:19], off offset:2048
	s_wait_loadcnt 0x0
	v_dual_lshrrev_b32 v1, 16, v3 :: v_dual_lshrrev_b32 v20, 16, v2
	v_lshrrev_b32_e32 v33, 16, v4
	s_and_saveexec_b32 s13, vcc_lo
	s_cbranch_execz .LBB87_50
; %bb.49:                               ;   in Loop: Header=BB87_40 Depth=1
	v_cmp_gt_i32_e64 s0, s23, v23
	v_and_b32_e32 v49, 0xffff, v5
	v_and_b32_e32 v5, 0xffff0000, v5
	s_delay_alu instid0(VALU_DEP_3) | instskip(SKIP_1) | instid1(VALU_DEP_1)
	v_cndmask_b32_e64 v2, 0, v2, s0
	v_cmp_gt_i32_e64 s0, s23, v31
	v_cndmask_b32_e64 v3, 0, v3, s0
	v_cmp_gt_i32_e64 s0, s12, v32
	s_delay_alu instid0(VALU_DEP_1) | instskip(SKIP_1) | instid1(VALU_DEP_1)
	v_cndmask_b32_e64 v1, 0, v1, s0
	v_cmp_gt_i32_e64 s0, s23, v30
	v_cndmask_b32_e64 v20, 0, v20, s0
	v_cmp_gt_i32_e64 s0, s23, v29
	s_delay_alu instid0(VALU_DEP_1) | instskip(SKIP_1) | instid1(VALU_DEP_1)
	v_cndmask_b32_e64 v49, 0, v49, s0
	v_cmp_gt_i32_e64 s0, s23, v28
	v_cndmask_b32_e64 v5, 0, v5, s0
	v_cmp_gt_i32_e64 s0, s23, v27
	s_delay_alu instid0(VALU_DEP_1) | instskip(SKIP_1) | instid1(VALU_DEP_4)
	v_cndmask_b32_e64 v4, 0, v4, s0
	v_cmp_gt_i32_e64 s0, s23, v26
	v_or_b32_e32 v5, v49, v5
	s_delay_alu instid0(VALU_DEP_2)
	v_cndmask_b32_e64 v33, 0, v33, s0
.LBB87_50:                              ;   in Loop: Header=BB87_40 Depth=1
	s_or_b32 exec_lo, exec_lo, s13
	v_dual_lshlrev_b32 v20, 16, v20 :: v_dual_lshlrev_b32 v1, 16, v1
	s_delay_alu instid0(VALU_DEP_2) | instskip(NEXT) | instid1(VALU_DEP_2)
	v_lshlrev_b32_e32 v33, 16, v33
	v_and_or_b32 v2, 0xffff, v2, v20
	s_delay_alu instid0(VALU_DEP_3) | instskip(NEXT) | instid1(VALU_DEP_3)
	v_and_or_b32 v1, 0xffff, v3, v1
	v_and_or_b32 v3, 0xffff, v4, v33
	;;#ASMSTART
	v_pk_mul_f16 v2, v35, v2;

	;;#ASMEND
	;;#ASMSTART
	v_pk_mul_f16 v1, v34, v1;

	;;#ASMEND
	;;#ASMSTART
	v_pk_mul_f16 v3, v36, v3;

	;;#ASMEND
	;;#ASMSTART
	v_pk_mul_f16 v4, v37, v5;

	;;#ASMEND
	;;#ASMSTART
	v_pk_add_f16 v1, v2, v1;

	;;#ASMEND
	;;#ASMSTART
	v_pk_add_f16 v1, v1, v3;

	;;#ASMEND
	;; [unrolled: 4-line block ×3, first 2 shown]
	v_and_b32_e32 v2, 0xffff, v1
	v_lshrrev_b32_e32 v1, 16, v1
	;;#ASMSTART
	v_cvt_f32_f16 v49, v2;
	;;#ASMEND
	;;#ASMSTART
	v_cvt_f32_f16 v50, v1;
	;;#ASMEND
	global_load_b128 v[2:5], v[18:19], off offset:2560
	s_wait_loadcnt 0x0
	v_dual_lshrrev_b32 v1, 16, v3 :: v_dual_lshrrev_b32 v20, 16, v2
	v_lshrrev_b32_e32 v33, 16, v4
	s_and_saveexec_b32 s13, vcc_lo
	s_cbranch_execz .LBB87_52
; %bb.51:                               ;   in Loop: Header=BB87_40 Depth=1
	v_cmp_gt_i32_e64 s0, s23, v23
	v_and_b32_e32 v51, 0xffff, v5
	v_and_b32_e32 v5, 0xffff0000, v5
	s_delay_alu instid0(VALU_DEP_3) | instskip(SKIP_1) | instid1(VALU_DEP_1)
	v_cndmask_b32_e64 v2, 0, v2, s0
	v_cmp_gt_i32_e64 s0, s23, v31
	v_cndmask_b32_e64 v3, 0, v3, s0
	v_cmp_gt_i32_e64 s0, s12, v32
	s_delay_alu instid0(VALU_DEP_1) | instskip(SKIP_1) | instid1(VALU_DEP_1)
	v_cndmask_b32_e64 v1, 0, v1, s0
	v_cmp_gt_i32_e64 s0, s23, v30
	v_cndmask_b32_e64 v20, 0, v20, s0
	v_cmp_gt_i32_e64 s0, s23, v29
	s_delay_alu instid0(VALU_DEP_1) | instskip(SKIP_1) | instid1(VALU_DEP_1)
	;; [unrolled: 5-line block ×3, first 2 shown]
	v_dual_cndmask_b32 v4, 0, v4, s0 :: v_dual_bitop2_b32 v5, v51, v5 bitop3:0x54
	v_cmp_gt_i32_e64 s0, s23, v26
	v_cndmask_b32_e64 v33, 0, v33, s0
.LBB87_52:                              ;   in Loop: Header=BB87_40 Depth=1
	s_or_b32 exec_lo, exec_lo, s13
	v_dual_lshlrev_b32 v20, 16, v20 :: v_dual_lshlrev_b32 v1, 16, v1
	s_delay_alu instid0(VALU_DEP_2) | instskip(NEXT) | instid1(VALU_DEP_2)
	v_lshlrev_b32_e32 v33, 16, v33
	v_and_or_b32 v2, 0xffff, v2, v20
	s_delay_alu instid0(VALU_DEP_3) | instskip(NEXT) | instid1(VALU_DEP_3)
	v_and_or_b32 v1, 0xffff, v3, v1
	v_and_or_b32 v3, 0xffff, v4, v33
	;;#ASMSTART
	v_pk_mul_f16 v2, v35, v2;

	;;#ASMEND
	;;#ASMSTART
	v_pk_mul_f16 v1, v34, v1;

	;;#ASMEND
	;; [unrolled: 4-line block ×4, first 2 shown]
	;;#ASMSTART
	v_pk_add_f16 v1, v2, v1;

	;;#ASMEND
	;;#ASMSTART
	v_pk_add_f16 v1, v1, v3;

	;;#ASMEND
	;; [unrolled: 4-line block ×3, first 2 shown]
	v_and_b32_e32 v2, 0xffff, v1
	v_lshrrev_b32_e32 v1, 16, v1
	;;#ASMSTART
	v_cvt_f32_f16 v51, v2;
	;;#ASMEND
	;;#ASMSTART
	v_cvt_f32_f16 v52, v1;
	;;#ASMEND
	global_load_b128 v[2:5], v[18:19], off offset:3072
	s_wait_loadcnt 0x0
	v_dual_lshrrev_b32 v1, 16, v3 :: v_dual_lshrrev_b32 v20, 16, v2
	v_lshrrev_b32_e32 v33, 16, v4
	s_and_saveexec_b32 s13, vcc_lo
	s_cbranch_execz .LBB87_54
; %bb.53:                               ;   in Loop: Header=BB87_40 Depth=1
	v_cmp_gt_i32_e64 s0, s23, v23
	v_and_b32_e32 v53, 0xffff, v5
	v_and_b32_e32 v5, 0xffff0000, v5
	s_delay_alu instid0(VALU_DEP_3) | instskip(SKIP_1) | instid1(VALU_DEP_1)
	v_cndmask_b32_e64 v2, 0, v2, s0
	v_cmp_gt_i32_e64 s0, s23, v31
	v_cndmask_b32_e64 v3, 0, v3, s0
	v_cmp_gt_i32_e64 s0, s12, v32
	s_delay_alu instid0(VALU_DEP_1) | instskip(SKIP_1) | instid1(VALU_DEP_1)
	v_cndmask_b32_e64 v1, 0, v1, s0
	v_cmp_gt_i32_e64 s0, s23, v30
	v_cndmask_b32_e64 v20, 0, v20, s0
	v_cmp_gt_i32_e64 s0, s23, v29
	s_delay_alu instid0(VALU_DEP_1) | instskip(SKIP_1) | instid1(VALU_DEP_1)
	v_cndmask_b32_e64 v53, 0, v53, s0
	v_cmp_gt_i32_e64 s0, s23, v28
	v_cndmask_b32_e64 v5, 0, v5, s0
	v_cmp_gt_i32_e64 s0, s23, v27
	s_delay_alu instid0(VALU_DEP_1) | instskip(SKIP_1) | instid1(VALU_DEP_4)
	v_cndmask_b32_e64 v4, 0, v4, s0
	v_cmp_gt_i32_e64 s0, s23, v26
	v_or_b32_e32 v5, v53, v5
	s_delay_alu instid0(VALU_DEP_2)
	v_cndmask_b32_e64 v33, 0, v33, s0
.LBB87_54:                              ;   in Loop: Header=BB87_40 Depth=1
	s_or_b32 exec_lo, exec_lo, s13
	v_dual_lshlrev_b32 v20, 16, v20 :: v_dual_lshlrev_b32 v1, 16, v1
	s_delay_alu instid0(VALU_DEP_2) | instskip(NEXT) | instid1(VALU_DEP_2)
	v_lshlrev_b32_e32 v33, 16, v33
	v_and_or_b32 v2, 0xffff, v2, v20
	s_delay_alu instid0(VALU_DEP_3) | instskip(NEXT) | instid1(VALU_DEP_3)
	v_and_or_b32 v1, 0xffff, v3, v1
	v_and_or_b32 v3, 0xffff, v4, v33
	;;#ASMSTART
	v_pk_mul_f16 v2, v35, v2;

	;;#ASMEND
	;;#ASMSTART
	v_pk_mul_f16 v1, v34, v1;

	;;#ASMEND
	;; [unrolled: 4-line block ×4, first 2 shown]
	;;#ASMSTART
	v_pk_add_f16 v1, v2, v1;

	;;#ASMEND
	;;#ASMSTART
	v_pk_add_f16 v1, v1, v3;

	;;#ASMEND
	;; [unrolled: 4-line block ×3, first 2 shown]
	v_and_b32_e32 v2, 0xffff, v1
	v_lshrrev_b32_e32 v1, 16, v1
	;;#ASMSTART
	v_cvt_f32_f16 v20, v2;
	;;#ASMEND
	;;#ASMSTART
	v_cvt_f32_f16 v33, v1;
	;;#ASMEND
	global_load_b128 v[2:5], v[18:19], off offset:3584
	s_wait_loadcnt 0x0
	v_dual_lshrrev_b32 v1, 16, v3 :: v_dual_lshrrev_b32 v18, 16, v2
	v_lshrrev_b32_e32 v19, 16, v4
	s_and_saveexec_b32 s0, vcc_lo
	s_cbranch_execz .LBB87_39
; %bb.55:                               ;   in Loop: Header=BB87_40 Depth=1
	v_cmp_gt_i32_e32 vcc_lo, s23, v23
	v_cndmask_b32_e32 v2, 0, v2, vcc_lo
	v_cmp_gt_i32_e32 vcc_lo, s23, v31
	v_and_b32_e32 v31, 0xffff, v5
	v_and_b32_e32 v5, 0xffff0000, v5
	v_cndmask_b32_e32 v3, 0, v3, vcc_lo
	v_cmp_gt_i32_e32 vcc_lo, s12, v32
	v_cndmask_b32_e32 v1, 0, v1, vcc_lo
	v_cmp_gt_i32_e32 vcc_lo, s23, v30
	;; [unrolled: 2-line block ×5, first 2 shown]
	s_delay_alu instid0(VALU_DEP_2)
	v_dual_cndmask_b32 v4, 0, v4, vcc_lo :: v_dual_bitop2_b32 v5, v29, v5 bitop3:0x54
	v_cmp_gt_i32_e32 vcc_lo, s23, v26
	v_cndmask_b32_e32 v19, 0, v19, vcc_lo
	s_branch .LBB87_39
.LBB87_56:
	s_or_b32 exec_lo, exec_lo, s9
.LBB87_57:
	s_delay_alu instid0(SALU_CYCLE_1)
	s_or_b32 exec_lo, exec_lo, s1
	ds_bpermute_b32 v2, v22, v12
	ds_bpermute_b32 v3, v22, v13
	ds_bpermute_b32 v4, v22, v10
	ds_bpermute_b32 v5, v22, v11
	ds_bpermute_b32 v16, v22, v8
	ds_bpermute_b32 v17, v22, v9
	v_and_b32_e32 v18, 0x3c1, v0
	v_lshrrev_b32_e32 v1, 1, v21
	s_mov_b32 s0, exec_lo
	ds_bpermute_b32 v14, v22, v6
	ds_bpermute_b32 v15, v22, v7
	s_wait_dscnt 0x0
	s_barrier_signal -1
	s_barrier_wait -1
	v_pk_add_f32 v[12:13], v[12:13], v[2:3]
	v_pk_add_f32 v[4:5], v[10:11], v[4:5]
	;; [unrolled: 1-line block ×3, first 2 shown]
	v_cmpx_ne_u32_e32 64, v18
	s_xor_b32 s0, exec_lo, s0
	s_delay_alu instid0(SALU_CYCLE_1)
	s_or_saveexec_b32 s0, s0
	v_pk_add_f32 v[6:7], v[6:7], v[14:15]
	v_lshl_add_u32 v8, v1, 2, 0x120
	v_lshlrev_b32_e32 v9, 9, v42
	s_xor_b32 exec_lo, exec_lo, s0
	s_cbranch_execz .LBB87_59
; %bb.58:
	s_delay_alu instid0(VALU_DEP_1) | instskip(NEXT) | instid1(VALU_DEP_1)
	v_add_nc_u32_e32 v10, v8, v9
	v_add_nc_u32_e32 v11, 0xfffffc00, v10
	;; [unrolled: 1-line block ×9, first 2 shown]
	ds_store_b32 v11, v12
	ds_store_b32 v14, v13
	;; [unrolled: 1-line block ×8, first 2 shown]
.LBB87_59:
	s_or_b32 exec_lo, exec_lo, s0
	v_lshlrev_b32_e32 v1, 2, v1
	s_mov_b32 s1, exec_lo
	v_cmp_eq_u32_e32 vcc_lo, 0, v41
	s_wait_dscnt 0x0
	s_barrier_signal -1
	v_add3_u32 v1, 0x120, v9, v1
	s_barrier_wait -1
	v_cmpx_gt_u32_e32 64, v0
	s_cbranch_execz .LBB87_70
; %bb.60:
	s_and_saveexec_b32 s0, vcc_lo
	s_cbranch_execnz .LBB87_86
; %bb.61:
	s_or_b32 exec_lo, exec_lo, s0
	s_and_saveexec_b32 s0, vcc_lo
	s_cbranch_execnz .LBB87_87
.LBB87_62:
	s_or_b32 exec_lo, exec_lo, s0
	s_and_saveexec_b32 s0, vcc_lo
	s_cbranch_execnz .LBB87_88
.LBB87_63:
	s_or_b32 exec_lo, exec_lo, s0
	s_and_saveexec_b32 s0, vcc_lo
	s_cbranch_execnz .LBB87_89
.LBB87_64:
	s_or_b32 exec_lo, exec_lo, s0
	s_and_saveexec_b32 s0, vcc_lo
	s_cbranch_execnz .LBB87_90
.LBB87_65:
	s_or_b32 exec_lo, exec_lo, s0
	s_and_saveexec_b32 s0, vcc_lo
	s_cbranch_execnz .LBB87_91
.LBB87_66:
	s_or_b32 exec_lo, exec_lo, s0
	s_and_saveexec_b32 s0, vcc_lo
	s_cbranch_execnz .LBB87_92
.LBB87_67:
	s_or_b32 exec_lo, exec_lo, s0
	s_and_saveexec_b32 s0, vcc_lo
	s_cbranch_execz .LBB87_69
.LBB87_68:
	ds_load_b32 v9, v1 offset:448
	s_wait_dscnt 0x0
	v_add_f32_e32 v7, v7, v9
.LBB87_69:
	s_or_b32 exec_lo, exec_lo, s0
.LBB87_70:
	s_delay_alu instid0(SALU_CYCLE_1) | instskip(SKIP_4) | instid1(VALU_DEP_1)
	s_or_b32 exec_lo, exec_lo, s1
	v_and_b32_e32 v0, 0x3e1, v0
	s_mov_b32 s1, exec_lo
	s_barrier_signal -1
	s_barrier_wait -1
	v_cmpx_eq_u32_e32 32, v0
	s_cbranch_execz .LBB87_72
; %bb.71:
	ds_store_2addr_b32 v8, v12, v13 offset1:16
	ds_store_2addr_b32 v8, v4, v5 offset0:32 offset1:48
	ds_store_2addr_b32 v8, v2, v3 offset0:64 offset1:80
	ds_store_2addr_b32 v8, v6, v7 offset0:96 offset1:112
.LBB87_72:
	s_or_b32 exec_lo, exec_lo, s1
	s_wait_dscnt 0x0
	s_barrier_signal -1
	s_barrier_wait -1
	s_and_saveexec_b32 s0, s2
	s_cbranch_execz .LBB87_83
; %bb.73:
	s_and_saveexec_b32 s1, vcc_lo
	s_cbranch_execnz .LBB87_93
; %bb.74:
	s_or_b32 exec_lo, exec_lo, s1
	s_and_saveexec_b32 s1, vcc_lo
	s_cbranch_execnz .LBB87_94
.LBB87_75:
	s_or_b32 exec_lo, exec_lo, s1
	s_and_saveexec_b32 s1, vcc_lo
	s_cbranch_execnz .LBB87_95
.LBB87_76:
	s_or_b32 exec_lo, exec_lo, s1
	s_and_saveexec_b32 s1, vcc_lo
	s_cbranch_execnz .LBB87_96
.LBB87_77:
	s_or_b32 exec_lo, exec_lo, s1
	s_and_saveexec_b32 s1, vcc_lo
	s_cbranch_execnz .LBB87_97
.LBB87_78:
	s_or_b32 exec_lo, exec_lo, s1
	s_and_saveexec_b32 s1, vcc_lo
	s_cbranch_execnz .LBB87_98
.LBB87_79:
	s_or_b32 exec_lo, exec_lo, s1
	s_and_saveexec_b32 s1, vcc_lo
	s_cbranch_execnz .LBB87_99
.LBB87_80:
	s_or_b32 exec_lo, exec_lo, s1
	s_and_saveexec_b32 s1, vcc_lo
	s_cbranch_execz .LBB87_82
.LBB87_81:
	ds_load_b32 v1, v1 offset:448
	s_wait_dscnt 0x0
	v_add_f32_e32 v7, v7, v1
.LBB87_82:
	s_or_b32 exec_lo, exec_lo, s1
.LBB87_83:
	s_delay_alu instid0(SALU_CYCLE_1)
	s_or_b32 exec_lo, exec_lo, s0
	s_mov_b32 s1, 0
	s_barrier_signal -1
	s_barrier_wait -1
	s_mov_b32 s0, exec_lo
	v_cmpx_eq_u32_e32 0, v0
	s_cbranch_execz .LBB87_85
; %bb.84:
	s_wait_kmcnt 0x0
	s_mul_i32 s0, s22, s7
	s_mul_i32 s2, s7, s6
	;; [unrolled: 1-line block ×3, first 2 shown]
	s_lshr_b32 s6, ttmp7, 16
	s_lshl_b32 s4, s0, 7
	s_bfe_u32 s0, ttmp6, 0x40014
	s_ashr_i32 s5, s4, 31
	s_add_co_i32 s0, s0, 1
	s_ashr_i32 s3, s2, 31
	s_mul_i32 s0, s6, s0
	s_bfe_u32 s7, ttmp6, 0x40008
	s_lshl_b64 s[4:5], s[4:5], 1
	s_lshl_b64 s[2:3], s[2:3], 1
	s_add_co_i32 s7, s7, s0
	s_cmp_eq_u32 s20, 0
	s_add_nc_u64 s[4:5], s[10:11], s[4:5]
	s_cselect_b32 s0, s6, s7
	s_add_nc_u64 s[2:3], s[4:5], s[2:3]
	s_lshl_b32 s0, s0, 8
	;;#ASMSTART
	v_cvt_f16_f32 v0, v12;

	;;#ASMEND
	s_add_nc_u64 s[0:1], s[2:3], s[0:1]
	global_store_b16 v40, v0, s[0:1] scale_offset
	s_wait_xcnt 0x0
	;;#ASMSTART
	v_cvt_f16_f32 v0, v13;

	;;#ASMEND
	global_store_b16 v40, v0, s[0:1] offset:32 scale_offset
	s_wait_xcnt 0x0
	;;#ASMSTART
	v_cvt_f16_f32 v0, v4;

	;;#ASMEND
	global_store_b16 v40, v0, s[0:1] offset:64 scale_offset
	;; [unrolled: 6-line block ×7, first 2 shown]
.LBB87_85:
	s_sendmsg sendmsg(MSG_DEALLOC_VGPRS)
	s_endpgm
.LBB87_86:
	ds_load_b32 v9, v1
	s_wait_dscnt 0x0
	v_add_f32_e32 v12, v12, v9
	s_or_b32 exec_lo, exec_lo, s0
	s_and_saveexec_b32 s0, vcc_lo
	s_cbranch_execz .LBB87_62
.LBB87_87:
	ds_load_b32 v9, v1 offset:64
	s_wait_dscnt 0x0
	v_add_f32_e32 v13, v13, v9
	s_or_b32 exec_lo, exec_lo, s0
	s_and_saveexec_b32 s0, vcc_lo
	s_cbranch_execz .LBB87_63
.LBB87_88:
	ds_load_b32 v9, v1 offset:128
	s_wait_dscnt 0x0
	v_add_f32_e32 v4, v4, v9
	s_or_b32 exec_lo, exec_lo, s0
	s_and_saveexec_b32 s0, vcc_lo
	s_cbranch_execz .LBB87_64
.LBB87_89:
	ds_load_b32 v9, v1 offset:192
	s_wait_dscnt 0x0
	v_add_f32_e32 v5, v5, v9
	s_or_b32 exec_lo, exec_lo, s0
	s_and_saveexec_b32 s0, vcc_lo
	s_cbranch_execz .LBB87_65
.LBB87_90:
	ds_load_b32 v9, v1 offset:256
	s_wait_dscnt 0x0
	v_add_f32_e32 v2, v2, v9
	s_or_b32 exec_lo, exec_lo, s0
	s_and_saveexec_b32 s0, vcc_lo
	s_cbranch_execz .LBB87_66
.LBB87_91:
	ds_load_b32 v9, v1 offset:320
	s_wait_dscnt 0x0
	v_add_f32_e32 v3, v3, v9
	s_or_b32 exec_lo, exec_lo, s0
	s_and_saveexec_b32 s0, vcc_lo
	s_cbranch_execz .LBB87_67
.LBB87_92:
	ds_load_b32 v9, v1 offset:384
	s_wait_dscnt 0x0
	v_add_f32_e32 v6, v6, v9
	s_or_b32 exec_lo, exec_lo, s0
	s_and_saveexec_b32 s0, vcc_lo
	s_cbranch_execnz .LBB87_68
	s_branch .LBB87_69
.LBB87_93:
	ds_load_b32 v8, v1
	s_wait_dscnt 0x0
	v_add_f32_e32 v12, v12, v8
	s_or_b32 exec_lo, exec_lo, s1
	s_and_saveexec_b32 s1, vcc_lo
	s_cbranch_execz .LBB87_75
.LBB87_94:
	ds_load_b32 v8, v1 offset:64
	s_wait_dscnt 0x0
	v_add_f32_e32 v13, v13, v8
	s_or_b32 exec_lo, exec_lo, s1
	s_and_saveexec_b32 s1, vcc_lo
	s_cbranch_execz .LBB87_76
.LBB87_95:
	ds_load_b32 v8, v1 offset:128
	s_wait_dscnt 0x0
	v_add_f32_e32 v4, v4, v8
	s_or_b32 exec_lo, exec_lo, s1
	s_and_saveexec_b32 s1, vcc_lo
	s_cbranch_execz .LBB87_77
.LBB87_96:
	ds_load_b32 v8, v1 offset:192
	s_wait_dscnt 0x0
	v_add_f32_e32 v5, v5, v8
	s_or_b32 exec_lo, exec_lo, s1
	s_and_saveexec_b32 s1, vcc_lo
	s_cbranch_execz .LBB87_78
.LBB87_97:
	ds_load_b32 v8, v1 offset:256
	s_wait_dscnt 0x0
	v_add_f32_e32 v2, v2, v8
	s_or_b32 exec_lo, exec_lo, s1
	s_and_saveexec_b32 s1, vcc_lo
	s_cbranch_execz .LBB87_79
.LBB87_98:
	ds_load_b32 v8, v1 offset:320
	s_wait_dscnt 0x0
	v_add_f32_e32 v3, v3, v8
	s_or_b32 exec_lo, exec_lo, s1
	s_and_saveexec_b32 s1, vcc_lo
	s_cbranch_execz .LBB87_80
.LBB87_99:
	ds_load_b32 v8, v1 offset:384
	s_wait_dscnt 0x0
	v_add_f32_e32 v6, v6, v8
	s_or_b32 exec_lo, exec_lo, s1
	s_and_saveexec_b32 s1, vcc_lo
	s_cbranch_execnz .LBB87_81
	s_branch .LBB87_82
	.section	.rodata,"a",@progbits
	.p2align	6, 0x0
	.amdhsa_kernel _ZN4vllm25paged_attention_v1_kernelIttLi128ELi16ELi128ELNS_18Fp8KVCacheDataTypeE0ELb0EEEvPT_PKS2_PKT0_S8_ifPKiSA_iPKfiiiSC_SC_iiiii
		.amdhsa_group_segment_fixed_size 288
		.amdhsa_private_segment_fixed_size 0
		.amdhsa_kernarg_size 384
		.amdhsa_user_sgpr_count 2
		.amdhsa_user_sgpr_dispatch_ptr 0
		.amdhsa_user_sgpr_queue_ptr 0
		.amdhsa_user_sgpr_kernarg_segment_ptr 1
		.amdhsa_user_sgpr_dispatch_id 0
		.amdhsa_user_sgpr_kernarg_preload_length 0
		.amdhsa_user_sgpr_kernarg_preload_offset 0
		.amdhsa_user_sgpr_private_segment_size 0
		.amdhsa_wavefront_size32 1
		.amdhsa_uses_dynamic_stack 0
		.amdhsa_enable_private_segment 0
		.amdhsa_system_sgpr_workgroup_id_x 1
		.amdhsa_system_sgpr_workgroup_id_y 1
		.amdhsa_system_sgpr_workgroup_id_z 1
		.amdhsa_system_sgpr_workgroup_info 0
		.amdhsa_system_vgpr_workitem_id 0
		.amdhsa_next_free_vgpr 90
		.amdhsa_next_free_sgpr 28
		.amdhsa_named_barrier_count 0
		.amdhsa_reserve_vcc 1
		.amdhsa_float_round_mode_32 0
		.amdhsa_float_round_mode_16_64 0
		.amdhsa_float_denorm_mode_32 3
		.amdhsa_float_denorm_mode_16_64 3
		.amdhsa_fp16_overflow 0
		.amdhsa_memory_ordered 1
		.amdhsa_forward_progress 1
		.amdhsa_inst_pref_size 65
		.amdhsa_round_robin_scheduling 0
		.amdhsa_exception_fp_ieee_invalid_op 0
		.amdhsa_exception_fp_denorm_src 0
		.amdhsa_exception_fp_ieee_div_zero 0
		.amdhsa_exception_fp_ieee_overflow 0
		.amdhsa_exception_fp_ieee_underflow 0
		.amdhsa_exception_fp_ieee_inexact 0
		.amdhsa_exception_int_div_zero 0
	.end_amdhsa_kernel
	.section	.text._ZN4vllm25paged_attention_v1_kernelIttLi128ELi16ELi128ELNS_18Fp8KVCacheDataTypeE0ELb0EEEvPT_PKS2_PKT0_S8_ifPKiSA_iPKfiiiSC_SC_iiiii,"axG",@progbits,_ZN4vllm25paged_attention_v1_kernelIttLi128ELi16ELi128ELNS_18Fp8KVCacheDataTypeE0ELb0EEEvPT_PKS2_PKT0_S8_ifPKiSA_iPKfiiiSC_SC_iiiii,comdat
.Lfunc_end87:
	.size	_ZN4vllm25paged_attention_v1_kernelIttLi128ELi16ELi128ELNS_18Fp8KVCacheDataTypeE0ELb0EEEvPT_PKS2_PKT0_S8_ifPKiSA_iPKfiiiSC_SC_iiiii, .Lfunc_end87-_ZN4vllm25paged_attention_v1_kernelIttLi128ELi16ELi128ELNS_18Fp8KVCacheDataTypeE0ELb0EEEvPT_PKS2_PKT0_S8_ifPKiSA_iPKfiiiSC_SC_iiiii
                                        ; -- End function
	.set _ZN4vllm25paged_attention_v1_kernelIttLi128ELi16ELi128ELNS_18Fp8KVCacheDataTypeE0ELb0EEEvPT_PKS2_PKT0_S8_ifPKiSA_iPKfiiiSC_SC_iiiii.num_vgpr, 90
	.set _ZN4vllm25paged_attention_v1_kernelIttLi128ELi16ELi128ELNS_18Fp8KVCacheDataTypeE0ELb0EEEvPT_PKS2_PKT0_S8_ifPKiSA_iPKfiiiSC_SC_iiiii.num_agpr, 0
	.set _ZN4vllm25paged_attention_v1_kernelIttLi128ELi16ELi128ELNS_18Fp8KVCacheDataTypeE0ELb0EEEvPT_PKS2_PKT0_S8_ifPKiSA_iPKfiiiSC_SC_iiiii.numbered_sgpr, 28
	.set _ZN4vllm25paged_attention_v1_kernelIttLi128ELi16ELi128ELNS_18Fp8KVCacheDataTypeE0ELb0EEEvPT_PKS2_PKT0_S8_ifPKiSA_iPKfiiiSC_SC_iiiii.num_named_barrier, 0
	.set _ZN4vllm25paged_attention_v1_kernelIttLi128ELi16ELi128ELNS_18Fp8KVCacheDataTypeE0ELb0EEEvPT_PKS2_PKT0_S8_ifPKiSA_iPKfiiiSC_SC_iiiii.private_seg_size, 0
	.set _ZN4vllm25paged_attention_v1_kernelIttLi128ELi16ELi128ELNS_18Fp8KVCacheDataTypeE0ELb0EEEvPT_PKS2_PKT0_S8_ifPKiSA_iPKfiiiSC_SC_iiiii.uses_vcc, 1
	.set _ZN4vllm25paged_attention_v1_kernelIttLi128ELi16ELi128ELNS_18Fp8KVCacheDataTypeE0ELb0EEEvPT_PKS2_PKT0_S8_ifPKiSA_iPKfiiiSC_SC_iiiii.uses_flat_scratch, 0
	.set _ZN4vllm25paged_attention_v1_kernelIttLi128ELi16ELi128ELNS_18Fp8KVCacheDataTypeE0ELb0EEEvPT_PKS2_PKT0_S8_ifPKiSA_iPKfiiiSC_SC_iiiii.has_dyn_sized_stack, 0
	.set _ZN4vllm25paged_attention_v1_kernelIttLi128ELi16ELi128ELNS_18Fp8KVCacheDataTypeE0ELb0EEEvPT_PKS2_PKT0_S8_ifPKiSA_iPKfiiiSC_SC_iiiii.has_recursion, 0
	.set _ZN4vllm25paged_attention_v1_kernelIttLi128ELi16ELi128ELNS_18Fp8KVCacheDataTypeE0ELb0EEEvPT_PKS2_PKT0_S8_ifPKiSA_iPKfiiiSC_SC_iiiii.has_indirect_call, 0
	.section	.AMDGPU.csdata,"",@progbits
; Kernel info:
; codeLenInByte = 8236
; TotalNumSgprs: 30
; NumVgprs: 90
; ScratchSize: 0
; MemoryBound: 0
; FloatMode: 240
; IeeeMode: 1
; LDSByteSize: 288 bytes/workgroup (compile time only)
; SGPRBlocks: 0
; VGPRBlocks: 5
; NumSGPRsForWavesPerEU: 30
; NumVGPRsForWavesPerEU: 90
; NamedBarCnt: 0
; Occupancy: 10
; WaveLimiterHint : 1
; COMPUTE_PGM_RSRC2:SCRATCH_EN: 0
; COMPUTE_PGM_RSRC2:USER_SGPR: 2
; COMPUTE_PGM_RSRC2:TRAP_HANDLER: 0
; COMPUTE_PGM_RSRC2:TGID_X_EN: 1
; COMPUTE_PGM_RSRC2:TGID_Y_EN: 1
; COMPUTE_PGM_RSRC2:TGID_Z_EN: 1
; COMPUTE_PGM_RSRC2:TIDIG_COMP_CNT: 0
	.section	.text._ZN4vllm25paged_attention_v1_kernelIttLi192ELi16ELi128ELNS_18Fp8KVCacheDataTypeE0ELb0EEEvPT_PKS2_PKT0_S8_ifPKiSA_iPKfiiiSC_SC_iiiii,"axG",@progbits,_ZN4vllm25paged_attention_v1_kernelIttLi192ELi16ELi128ELNS_18Fp8KVCacheDataTypeE0ELb0EEEvPT_PKS2_PKT0_S8_ifPKiSA_iPKfiiiSC_SC_iiiii,comdat
	.protected	_ZN4vllm25paged_attention_v1_kernelIttLi192ELi16ELi128ELNS_18Fp8KVCacheDataTypeE0ELb0EEEvPT_PKS2_PKT0_S8_ifPKiSA_iPKfiiiSC_SC_iiiii ; -- Begin function _ZN4vllm25paged_attention_v1_kernelIttLi192ELi16ELi128ELNS_18Fp8KVCacheDataTypeE0ELb0EEEvPT_PKS2_PKT0_S8_ifPKiSA_iPKfiiiSC_SC_iiiii
	.globl	_ZN4vllm25paged_attention_v1_kernelIttLi192ELi16ELi128ELNS_18Fp8KVCacheDataTypeE0ELb0EEEvPT_PKS2_PKT0_S8_ifPKiSA_iPKfiiiSC_SC_iiiii
	.p2align	8
	.type	_ZN4vllm25paged_attention_v1_kernelIttLi192ELi16ELi128ELNS_18Fp8KVCacheDataTypeE0ELb0EEEvPT_PKS2_PKT0_S8_ifPKiSA_iPKfiiiSC_SC_iiiii,@function
_ZN4vllm25paged_attention_v1_kernelIttLi192ELi16ELi128ELNS_18Fp8KVCacheDataTypeE0ELb0EEEvPT_PKS2_PKT0_S8_ifPKiSA_iPKfiiiSC_SC_iiiii: ; @_ZN4vllm25paged_attention_v1_kernelIttLi192ELi16ELi128ELNS_18Fp8KVCacheDataTypeE0ELb0EEEvPT_PKS2_PKT0_S8_ifPKiSA_iPKfiiiSC_SC_iiiii
; %bb.0:
	s_load_b64 s[6:7], s[0:1], 0x20
	s_bfe_u32 s3, ttmp6, 0x4000c
	s_bfe_u32 s5, ttmp6, 0x40010
	s_and_b32 s4, ttmp7, 0xffff
	s_add_co_i32 s3, s3, 1
	s_add_co_i32 s5, s5, 1
	s_and_b32 s2, ttmp6, 15
	s_bfe_u32 s8, ttmp6, 0x40004
	s_mul_i32 s3, ttmp9, s3
	s_mul_i32 s5, s4, s5
	s_getreg_b32 s18, hwreg(HW_REG_IB_STS2, 6, 4)
	s_add_co_i32 s2, s2, s3
	s_add_co_i32 s8, s8, s5
	s_cmp_eq_u32 s18, 0
	s_clause 0x1
	s_load_b32 s19, s[0:1], 0x80
	s_load_b64 s[10:11], s[0:1], 0x30
	s_cselect_b32 s20, s4, s8
	s_cselect_b32 s8, ttmp9, s2
	s_wait_kmcnt 0x0
	s_abs_i32 s2, s6
	s_delay_alu instid0(SALU_CYCLE_1) | instskip(SKIP_1) | instid1(SALU_CYCLE_2)
	s_cvt_f32_u32 s3, s2
	s_sub_co_i32 s4, 0, s2
	v_rcp_iflag_f32_e32 v1, s3
	s_abs_i32 s5, s19
	v_nop
	s_delay_alu instid0(TRANS32_DEP_1) | instskip(SKIP_1) | instid1(SALU_CYCLE_3)
	v_readfirstlane_b32 s3, v1
	s_mul_f32 s3, s3, 0x4f7ffffe
	s_cvt_u32_f32 s3, s3
	s_delay_alu instid0(SALU_CYCLE_3) | instskip(NEXT) | instid1(SALU_CYCLE_1)
	s_mul_i32 s4, s4, s3
	s_mul_hi_u32 s4, s3, s4
	s_delay_alu instid0(SALU_CYCLE_1) | instskip(SKIP_4) | instid1(SALU_CYCLE_1)
	s_add_co_i32 s3, s3, s4
	s_xor_b32 s4, s19, s6
	s_mul_hi_u32 s3, s5, s3
	s_ashr_i32 s4, s4, 31
	s_mul_i32 s6, s3, s2
	s_sub_co_i32 s5, s5, s6
	s_add_co_i32 s6, s3, 1
	s_sub_co_i32 s9, s5, s2
	s_cmp_ge_u32 s5, s2
	s_cselect_b32 s3, s6, s3
	s_cselect_b32 s5, s9, s5
	s_add_co_i32 s6, s3, 1
	s_cmp_ge_u32 s5, s2
	s_cselect_b32 s2, s6, s3
	s_mov_b32 s3, 0
	s_xor_b32 s2, s2, s4
	s_mov_b32 s13, s3
	s_sub_co_i32 s15, s2, s4
	s_load_b64 s[4:5], s[0:1], 0x40
	s_abs_i32 s14, s15
	s_mov_b32 s23, s3
	s_cvt_f32_u32 s2, s14
	s_delay_alu instid0(SALU_CYCLE_3) | instskip(SKIP_1) | instid1(TRANS32_DEP_1)
	v_rcp_iflag_f32_e32 v1, s2
	v_nop
	v_readfirstlane_b32 s2, v1
	s_mul_f32 s2, s2, 0x4f7ffffe
	s_delay_alu instid0(SALU_CYCLE_3) | instskip(SKIP_1) | instid1(SALU_CYCLE_2)
	s_cvt_u32_f32 s6, s2
	s_sub_co_i32 s2, 0, s14
	s_mul_i32 s2, s2, s6
	s_delay_alu instid0(SALU_CYCLE_1)
	s_mul_hi_u32 s9, s6, s2
	s_abs_i32 s2, s8
	s_add_co_i32 s12, s6, s9
	s_wait_kmcnt 0x0
	s_cmp_eq_u64 s[4:5], 0
	s_cbranch_scc1 .LBB88_2
; %bb.1:
	s_ashr_i32 s9, s8, 31
	s_delay_alu instid0(SALU_CYCLE_1) | instskip(NEXT) | instid1(SALU_CYCLE_1)
	s_lshl_b64 s[16:17], s[8:9], 2
	s_add_nc_u64 s[4:5], s[4:5], s[16:17]
	s_load_b32 s23, s[4:5], 0x0
.LBB88_2:
	s_load_b32 s21, s[10:11], s20 offset:0x0 scale_offset
	s_wait_xcnt 0x0
	s_load_b96 s[4:6], s[0:1], 0x48
	v_dual_lshrrev_b32 v54, 1, v0 :: v_dual_bitop2_b32 v55, 1, v0 bitop3:0x40
	s_ashr_i32 s16, s8, 31
	s_ashr_i32 s15, s15, 31
	s_mul_u64 s[10:11], s[2:3], s[12:13]
	s_mulk_i32 s8, 0xc0
	s_mov_b32 s3, exec_lo
	v_cmpx_gt_u32_e32 48, v0
	s_cbranch_execz .LBB88_4
; %bb.3:
	s_load_b64 s[12:13], s[0:1], 0x8
	s_wait_kmcnt 0x0
	s_mul_i32 s24, s4, s20
	s_ashr_i32 s9, s8, 31
	s_ashr_i32 s25, s24, 31
	v_lshlrev_b32_e32 v1, 3, v54
	s_lshl_b64 s[24:25], s[24:25], 1
	s_delay_alu instid0(VALU_DEP_1) | instskip(SKIP_2) | instid1(SALU_CYCLE_1)
	v_mad_u32_u24 v1, 0xc0, v55, v1
	s_add_nc_u64 s[12:13], s[12:13], s[24:25]
	s_lshl_b64 s[24:25], s[8:9], 1
	s_add_nc_u64 s[12:13], s[12:13], s[24:25]
	global_load_b64 v[2:3], v0, s[12:13] scale_offset
	s_wait_loadcnt 0x0
	ds_store_b64 v1, v[2:3]
.LBB88_4:
	s_or_b32 exec_lo, exec_lo, s3
	s_wait_kmcnt 0x0
	s_add_co_i32 s3, s21, 15
	s_load_b32 s4, s[0:1], 0x38
	s_ashr_i32 s9, s3, 31
	s_mul_i32 s12, s11, s14
	s_lshr_b32 s9, s9, 28
	s_sub_co_i32 s2, s2, s12
	s_add_co_i32 s3, s3, s9
	s_xor_b32 s10, s16, s15
	s_ashr_i32 s22, s3, 4
	s_add_co_i32 s3, s11, 1
	s_sub_co_i32 s9, s2, s14
	s_cmp_ge_u32 s2, s14
	v_lshrrev_b32_e32 v56, 5, v0
	s_cselect_b32 s3, s3, s11
	s_cselect_b32 s2, s9, s2
	s_add_co_i32 s9, s3, 1
	s_cmp_ge_u32 s2, s14
	v_mbcnt_lo_u32_b32 v58, -1, 0
	s_cselect_b32 s2, s9, s3
	s_wait_dscnt 0x0
	s_xor_b32 s2, s2, s10
	s_barrier_signal -1
	s_sub_co_i32 s3, s2, s10
	v_cmp_gt_i32_e64 s2, s22, v56
	s_wait_kmcnt 0x0
	s_mul_i32 s10, s4, s20
	s_mov_b32 s4, exec_lo
	s_ashr_i32 s11, s10, 31
	s_barrier_wait -1
                                        ; implicit-def: $vgpr3
                                        ; implicit-def: $vgpr2
	v_cmpx_le_i32_e64 s22, v56
	s_xor_b32 s4, exec_lo, s4
; %bb.5:
	v_dual_mov_b32 v3, 0 :: v_dual_mov_b32 v2, 32
	v_mbcnt_lo_u32_b32 v58, -1, 0
; %bb.6:
	s_or_saveexec_b32 s24, s4
	s_clause 0x1
	s_load_b64 s[12:13], s[0:1], 0x28
	s_load_b32 s9, s[0:1], 0x88
	v_mov_b32_e32 v59, 0xff7fffff
	v_dual_lshlrev_b32 v57, 3, v0 :: v_dual_lshrrev_b32 v1, 3, v0
	s_mul_i32 s14, s3, s6
	s_xor_b32 exec_lo, exec_lo, s24
	s_cbranch_execz .LBB88_12
; %bb.7:
	s_load_b64 s[26:27], s[0:1], 0x10
	v_bfe_u32 v6, v0, 1, 4
	s_ashr_i32 s15, s14, 31
	v_mov_b32_e32 v3, 0
	s_lshl_b64 s[28:29], s[14:15], 1
	s_ashr_i32 s17, s5, 31
	v_dual_lshlrev_b32 v2, 4, v6 :: v_dual_lshlrev_b32 v7, 2, v6
	s_cmp_neq_f32 s23, 0
	v_lshl_or_b32 v61, v56, 4, v6
	v_mul_u32_u24_e32 v60, 0xc0, v55
	v_mov_b32_e32 v59, 0xff7fffff
	s_cselect_b32 s3, -1, 0
	v_dual_mov_b32 v64, v56 :: v_dual_bitop2_b32 v63, 1, v58 bitop3:0x14
	s_mov_b32 s16, s5
	s_mov_b32 s6, 0
	s_sub_co_i32 s15, 1, s21
	v_cmp_eq_u32_e32 vcc_lo, 0, v55
	s_wait_kmcnt 0x0
	s_add_nc_u64 s[26:27], s[26:27], s[28:29]
	s_delay_alu instid0(SALU_CYCLE_1) | instskip(SKIP_3) | instid1(SALU_CYCLE_1)
	v_add_nc_u64_e32 v[4:5], s[26:27], v[2:3]
	v_and_b32_e32 v2, 8, v57
	v_lshl_or_b32 v7, v56, 6, v7
	s_lshl_b64 s[26:27], s[10:11], 2
	s_add_nc_u64 s[26:27], s[12:13], s[26:27]
	s_delay_alu instid0(VALU_DEP_1) | instskip(NEXT) | instid1(VALU_DEP_4)
	v_add_nc_u32_e32 v62, 0x1a0, v7
	v_add_nc_u64_e32 v[4:5], v[4:5], v[2:3]
	v_and_b32_e32 v2, 0x7c, v1
	s_delay_alu instid0(VALU_DEP_1)
	v_add_nc_u64_e32 v[6:7], s[26:27], v[2:3]
	v_mov_b32_e32 v2, 32
	s_branch .LBB88_9
.LBB88_8:                               ;   in Loop: Header=BB88_9 Depth=1
	s_or_b32 exec_lo, exec_lo, s25
	v_dual_add_nc_u32 v64, 4, v64 :: v_dual_add_nc_u32 v61, 64, v61
	v_add_nc_u64_e32 v[6:7], 16, v[6:7]
	v_add_nc_u32_e32 v62, 0x100, v62
	s_delay_alu instid0(VALU_DEP_3) | instskip(SKIP_1) | instid1(SALU_CYCLE_1)
	v_cmp_le_i32_e64 s4, s22, v64
	s_or_b32 s6, s4, s6
	s_and_not1_b32 exec_lo, exec_lo, s6
	s_cbranch_execz .LBB88_11
.LBB88_9:                               ; =>This Inner Loop Header: Depth=1
	global_load_b32 v8, v[6:7], off
	v_cmp_gt_i32_e64 s4, 32, v63
	s_wait_loadcnt_dscnt 0x0
	v_ashrrev_i32_e32 v9, 31, v8
	s_delay_alu instid0(VALU_DEP_1) | instskip(NEXT) | instid1(VALU_DEP_1)
	v_mul_u64_e32 v[8:9], s[16:17], v[8:9]
	v_lshl_add_u64 v[8:9], v[8:9], 1, v[4:5]
	s_clause 0x9
	global_load_b64 v[66:67], v[8:9], off
	global_load_b64 v[52:53], v[8:9], off offset:256
	global_load_b64 v[50:51], v[8:9], off offset:512
	global_load_b64 v[48:49], v[8:9], off offset:768
	global_load_b64 v[46:47], v[8:9], off offset:1024
	global_load_b64 v[44:45], v[8:9], off offset:1280
	global_load_b64 v[42:43], v[8:9], off offset:1536
	global_load_b64 v[40:41], v[8:9], off offset:1792
	global_load_b64 v[38:39], v[8:9], off offset:2048
	global_load_b64 v[36:37], v[8:9], off offset:2304
	ds_load_b64 v[10:11], v60
	s_wait_dscnt 0x0
	v_lshrrev_b32_e32 v65, 16, v10
	v_and_b32_e32 v68, 0xffff, v10
	v_lshrrev_b32_e32 v69, 16, v11
	v_and_b32_e32 v70, 0xffff, v11
	s_clause 0xd
	global_load_b64 v[34:35], v[8:9], off offset:2560
	global_load_b64 v[32:33], v[8:9], off offset:2816
	global_load_b64 v[30:31], v[8:9], off offset:3072
	global_load_b64 v[28:29], v[8:9], off offset:3328
	global_load_b64 v[26:27], v[8:9], off offset:3584
	global_load_b64 v[24:25], v[8:9], off offset:3840
	global_load_b64 v[22:23], v[8:9], off offset:4096
	global_load_b64 v[20:21], v[8:9], off offset:4352
	global_load_b64 v[18:19], v[8:9], off offset:4608
	global_load_b64 v[16:17], v[8:9], off offset:4864
	global_load_b64 v[14:15], v[8:9], off offset:5120
	global_load_b64 v[12:13], v[8:9], off offset:5376
	global_load_b64 v[10:11], v[8:9], off offset:5632
	global_load_b64 v[8:9], v[8:9], off offset:5888
	;;#ASMSTART
	v_cvt_f32_f16 v74, v68;
	;;#ASMEND
	;;#ASMSTART
	v_cvt_f32_f16 v75, v65;
	;;#ASMEND
	s_wait_loadcnt 0x17
	v_and_b32_e32 v68, 0xffff, v66
	v_dual_lshrrev_b32 v66, 16, v66 :: v_dual_lshrrev_b32 v71, 16, v67
	v_and_b32_e32 v67, 0xffff, v67
	;;#ASMSTART
	v_cvt_f32_f16 v76, v68;
	;;#ASMEND
	;;#ASMSTART
	v_cvt_f32_f16 v77, v66;
	;;#ASMEND
	;; [unrolled: 3-line block ×5, first 2 shown]
	s_wait_loadcnt 0x16
	v_and_b32_e32 v69, 0xffff, v52
	v_lshrrev_b32_e32 v52, 16, v52
	;;#ASMSTART
	v_cvt_f32_f16 v67, v71;
	;;#ASMEND
	ds_load_b64 v[70:71], v60 offset:8
	v_and_b32_e32 v72, 0xffff, v53
	v_lshrrev_b32_e32 v53, 16, v53
	s_wait_dscnt 0x0
	v_and_b32_e32 v73, 0xffff, v70
	v_lshrrev_b32_e32 v70, 16, v70
	v_and_b32_e32 v78, 0xffff, v71
	v_lshrrev_b32_e32 v71, 16, v71
	;;#ASMSTART
	v_cvt_f32_f16 v79, v73;
	;;#ASMEND
	;;#ASMSTART
	v_cvt_f32_f16 v70, v70;
	;;#ASMEND
	;;#ASMSTART
	v_cvt_f32_f16 v69, v69;
	;;#ASMEND
	;;#ASMSTART
	v_cvt_f32_f16 v80, v52;
	;;#ASMEND
	;;#ASMSTART
	v_cvt_f32_f16 v78, v78;
	;;#ASMEND
	;;#ASMSTART
	v_cvt_f32_f16 v81, v71;
	;;#ASMEND
	;;#ASMSTART
	v_cvt_f32_f16 v82, v72;
	;;#ASMEND
	;;#ASMSTART
	v_cvt_f32_f16 v84, v53;
	;;#ASMEND
	ds_load_b64 v[52:53], v60 offset:16
	s_wait_loadcnt 0x15
	v_and_b32_e32 v71, 0xffff, v50
	v_lshrrev_b32_e32 v50, 16, v50
	v_and_b32_e32 v73, 0xffff, v51
	v_lshrrev_b32_e32 v51, 16, v51
	s_wait_dscnt 0x0
	v_and_b32_e32 v72, 0xffff, v52
	v_lshrrev_b32_e32 v52, 16, v52
	v_and_b32_e32 v83, 0xffff, v53
	v_lshrrev_b32_e32 v53, 16, v53
	;;#ASMSTART
	v_cvt_f32_f16 v85, v72;
	;;#ASMEND
	;;#ASMSTART
	v_cvt_f32_f16 v86, v52;
	;;#ASMEND
	;; [unrolled: 3-line block ×5, first 2 shown]
	s_wait_loadcnt 0x14
	v_dual_mul_f32 v50, v79, v69 :: v_dual_lshrrev_b32 v69, 16, v48
	;;#ASMSTART
	v_cvt_f32_f16 v72, v53;
	;;#ASMEND
	;;#ASMSTART
	v_cvt_f32_f16 v92, v73;
	;;#ASMEND
	;;#ASMSTART
	v_cvt_f32_f16 v73, v51;
	;;#ASMEND
	ds_load_b64 v[52:53], v60 offset:24
	v_and_b32_e32 v51, 0xffff, v48
	v_mul_f32_e32 v48, v70, v80
	v_and_b32_e32 v70, 0xffff, v49
	v_dual_fmac_f32 v50, v74, v76 :: v_dual_lshrrev_b32 v49, 16, v49
	s_delay_alu instid0(VALU_DEP_3) | instskip(SKIP_2) | instid1(VALU_DEP_3)
	v_fmac_f32_e32 v48, v75, v77
	s_wait_loadcnt 0x13
	v_and_b32_e32 v77, 0xffff, v47
	v_fmac_f32_e32 v50, v85, v87
	s_wait_dscnt 0x0
	v_and_b32_e32 v71, 0xffff, v52
	v_lshrrev_b32_e32 v52, 16, v52
	v_and_b32_e32 v74, 0xffff, v53
	v_lshrrev_b32_e32 v53, 16, v53
	;;#ASMSTART
	v_cvt_f32_f16 v76, v71;
	;;#ASMEND
	;;#ASMSTART
	v_cvt_f32_f16 v79, v52;
	;;#ASMEND
	;; [unrolled: 3-line block ×8, first 2 shown]
	ds_load_b64 v[74:75], v60 offset:32
	v_mul_f32_e32 v49, v78, v82
	v_and_b32_e32 v51, 0xffff, v46
	v_dual_mul_f32 v46, v81, v84 :: v_dual_lshrrev_b32 v53, 16, v46
	s_delay_alu instid0(VALU_DEP_3) | instskip(SKIP_2) | instid1(VALU_DEP_3)
	v_dual_fmac_f32 v49, v66, v68 :: v_dual_lshrrev_b32 v78, 16, v47
	s_wait_loadcnt 0x10
	v_dual_fmac_f32 v48, v86, v90 :: v_dual_lshrrev_b32 v90, 16, v41
	v_fmac_f32_e32 v46, v65, v67
	v_and_b32_e32 v41, 0xffff, v41
	v_fmac_f32_e32 v49, v91, v92
	s_delay_alu instid0(VALU_DEP_4) | instskip(NEXT) | instid1(VALU_DEP_2)
	v_fmac_f32_e32 v48, v79, v93
	v_dual_fmac_f32 v46, v72, v73 :: v_dual_fmac_f32 v49, v71, v83
	s_wait_dscnt 0x0
	v_and_b32_e32 v47, 0xffff, v74
	v_lshrrev_b32_e32 v66, 16, v74
	v_and_b32_e32 v65, 0xffff, v75
	v_lshrrev_b32_e32 v68, 16, v75
	;;#ASMSTART
	v_cvt_f32_f16 v84, v47;
	;;#ASMEND
	;;#ASMSTART
	v_cvt_f32_f16 v69, v66;
	;;#ASMEND
	;; [unrolled: 3-line block ×5, first 2 shown]
	v_and_b32_e32 v51, 0xffff, v44
	v_lshrrev_b32_e32 v44, 16, v44
	;;#ASMSTART
	v_cvt_f32_f16 v47, v68;
	;;#ASMEND
	;;#ASMSTART
	v_cvt_f32_f16 v88, v77;
	;;#ASMEND
	;; [unrolled: 3-line block ×3, first 2 shown]
	ds_load_b64 v[74:75], v60 offset:40
	v_lshrrev_b32_e32 v68, 16, v45
	v_and_b32_e32 v78, 0xffff, v45
	v_dual_fmac_f32 v50, v76, v80 :: v_dual_fmac_f32 v48, v69, v89
	v_fmac_f32_e32 v49, v67, v88
	s_wait_loadcnt 0xe
	v_and_b32_e32 v89, 0xffff, v37
	s_delay_alu instid0(VALU_DEP_3)
	v_dual_lshrrev_b32 v88, 16, v36 :: v_dual_fmac_f32 v50, v84, v66
	s_wait_dscnt 0x0
	v_and_b32_e32 v45, 0xffff, v74
	v_lshrrev_b32_e32 v65, 16, v74
	v_and_b32_e32 v74, 0xffff, v75
	v_lshrrev_b32_e32 v75, 16, v75
	;;#ASMSTART
	v_cvt_f32_f16 v85, v45;
	;;#ASMEND
	;;#ASMSTART
	v_cvt_f32_f16 v45, v65;
	;;#ASMEND
	;; [unrolled: 3-line block ×8, first 2 shown]
	ds_load_b64 v[74:75], v60 offset:48
	v_lshrrev_b32_e32 v44, 16, v42
	v_and_b32_e32 v42, 0xffff, v42
	v_lshrrev_b32_e32 v68, 16, v43
	v_and_b32_e32 v43, 0xffff, v43
	s_wait_dscnt 0x0
	v_and_b32_e32 v72, 0xffff, v74
	v_lshrrev_b32_e32 v73, 16, v74
	v_and_b32_e32 v74, 0xffff, v75
	v_lshrrev_b32_e32 v76, 16, v75
	;;#ASMSTART
	v_cvt_f32_f16 v81, v72;
	;;#ASMEND
	;;#ASMSTART
	v_cvt_f32_f16 v79, v73;
	;;#ASMEND
	;; [unrolled: 3-line block ×5, first 2 shown]
	v_lshrrev_b32_e32 v44, 16, v40
	;;#ASMSTART
	v_cvt_f32_f16 v73, v76;
	;;#ASMEND
	;;#ASMSTART
	v_cvt_f32_f16 v76, v43;
	;;#ASMEND
	;; [unrolled: 3-line block ×3, first 2 shown]
	ds_load_b64 v[42:43], v60 offset:56
	v_and_b32_e32 v40, 0xffff, v40
	v_fmac_f32_e32 v46, v52, v70
	s_wait_dscnt 0x0
	v_and_b32_e32 v52, 0xffff, v42
	v_and_b32_e32 v68, 0xffff, v43
	v_dual_lshrrev_b32 v42, 16, v42 :: v_dual_lshrrev_b32 v43, 16, v43
	;;#ASMSTART
	v_cvt_f32_f16 v83, v52;
	;;#ASMEND
	;;#ASMSTART
	v_cvt_f32_f16 v52, v42;
	;;#ASMEND
	;; [unrolled: 3-line block ×8, first 2 shown]
	ds_load_b64 v[40:41], v60 offset:64
	v_lshrrev_b32_e32 v42, 16, v38
	v_and_b32_e32 v38, 0xffff, v38
	v_lshrrev_b32_e32 v43, 16, v39
	v_and_b32_e32 v39, 0xffff, v39
	v_fmac_f32_e32 v46, v47, v53
	v_dual_fmac_f32 v50, v85, v87 :: v_dual_lshrrev_b32 v87, 16, v37
	v_and_b32_e32 v85, 0xffff, v36
	s_wait_dscnt 0x0
	v_and_b32_e32 v44, 0xffff, v40
	v_and_b32_e32 v67, 0xffff, v41
	v_dual_lshrrev_b32 v69, 16, v41 :: v_dual_lshrrev_b32 v40, 16, v40
	;;#ASMSTART
	v_cvt_f32_f16 v47, v44;
	;;#ASMEND
	;;#ASMSTART
	v_cvt_f32_f16 v41, v40;
	;;#ASMEND
	;; [unrolled: 3-line block ×8, first 2 shown]
	ds_load_b64 v[42:43], v60 offset:72
	v_fmac_f32_e32 v48, v45, v51
	s_wait_dscnt 0x0
	v_dual_fmac_f32 v49, v65, v86 :: v_dual_lshrrev_b32 v45, 16, v43
	v_and_b32_e32 v36, 0xffff, v42
	v_lshrrev_b32_e32 v37, 16, v42
	v_and_b32_e32 v42, 0xffff, v43
	;;#ASMSTART
	v_cvt_f32_f16 v40, v36;
	;;#ASMEND
	;;#ASMSTART
	v_cvt_f32_f16 v36, v37;
	;;#ASMEND
	;; [unrolled: 3-line block ×8, first 2 shown]
	ds_load_b64 v[86:87], v60 offset:80
	s_wait_loadcnt 0xd
	v_dual_lshrrev_b32 v85, 16, v34 :: v_dual_lshrrev_b32 v88, 16, v35
	v_dual_fmac_f32 v46, v77, v78 :: v_dual_fmac_f32 v48, v79, v80
	v_and_b32_e32 v78, 0xffff, v34
	v_and_b32_e32 v89, 0xffff, v35
	v_dual_fmac_f32 v50, v81, v82 :: v_dual_fmac_f32 v49, v75, v76
	s_wait_loadcnt 0xc
	v_lshrrev_b32_e32 v76, 16, v33
	v_and_b32_e32 v75, 0xffff, v32
	s_wait_loadcnt 0xb
	v_dual_fmac_f32 v48, v52, v66 :: v_dual_lshrrev_b32 v52, 16, v31
	v_and_b32_e32 v31, 0xffff, v31
	v_fmac_f32_e32 v49, v71, v72
	s_delay_alu instid0(VALU_DEP_3)
	v_fmac_f32_e32 v48, v41, v44
	s_wait_dscnt 0x0
	v_and_b32_e32 v34, 0xffff, v86
	v_lshrrev_b32_e32 v35, 16, v86
	v_and_b32_e32 v80, 0xffff, v87
	v_lshrrev_b32_e32 v82, 16, v87
	;;#ASMSTART
	v_cvt_f32_f16 v77, v34;
	;;#ASMEND
	;;#ASMSTART
	v_cvt_f32_f16 v34, v35;
	;;#ASMEND
	;; [unrolled: 3-line block ×8, first 2 shown]
	ds_load_b64 v[86:87], v60 offset:88
	v_lshrrev_b32_e32 v85, 16, v32
	v_and_b32_e32 v88, 0xffff, v33
	v_fmac_f32_e32 v46, v73, v74
	v_dual_fmac_f32 v50, v83, v84 :: v_dual_fmac_f32 v48, v36, v37
	s_delay_alu instid0(VALU_DEP_1)
	v_fmac_f32_e32 v50, v47, v53
	s_wait_dscnt 0x0
	v_and_b32_e32 v32, 0xffff, v86
	v_lshrrev_b32_e32 v33, 16, v86
	v_and_b32_e32 v74, 0xffff, v87
	v_lshrrev_b32_e32 v84, 16, v87
	;;#ASMSTART
	v_cvt_f32_f16 v73, v32;
	;;#ASMEND
	;;#ASMSTART
	v_cvt_f32_f16 v32, v33;
	;;#ASMEND
	;; [unrolled: 3-line block ×8, first 2 shown]
	ds_load_b64 v[86:87], v60 offset:96
	v_lshrrev_b32_e32 v85, 16, v30
	v_and_b32_e32 v30, 0xffff, v30
	v_fmac_f32_e32 v46, v68, v70
	s_wait_dscnt 0x0
	v_and_b32_e32 v66, 0xffff, v86
	v_dual_lshrrev_b32 v71, 16, v86 :: v_dual_lshrrev_b32 v70, 16, v87
	v_and_b32_e32 v68, 0xffff, v87
	;;#ASMSTART
	v_cvt_f32_f16 v66, v66;
	;;#ASMEND
	;;#ASMSTART
	v_cvt_f32_f16 v71, v71;
	;;#ASMEND
	;; [unrolled: 3-line block ×8, first 2 shown]
	ds_load_b64 v[30:31], v60 offset:104
	s_wait_loadcnt 0xa
	v_lshrrev_b32_e32 v87, 16, v28
	v_and_b32_e32 v28, 0xffff, v28
	v_lshrrev_b32_e32 v47, 16, v29
	v_and_b32_e32 v29, 0xffff, v29
	v_dual_fmac_f32 v49, v67, v69 :: v_dual_fmac_f32 v46, v38, v39
	s_wait_dscnt 0x0
	v_and_b32_e32 v41, 0xffff, v30
	v_lshrrev_b32_e32 v30, 16, v30
	v_and_b32_e32 v44, 0xffff, v31
	v_lshrrev_b32_e32 v31, 16, v31
	;;#ASMSTART
	v_cvt_f32_f16 v41, v41;
	;;#ASMEND
	;;#ASMSTART
	v_cvt_f32_f16 v30, v30;
	;;#ASMEND
	;; [unrolled: 3-line block ×8, first 2 shown]
	ds_load_b64 v[28:29], v60 offset:112
	s_wait_loadcnt 0x9
	v_lshrrev_b32_e32 v87, 16, v26
	v_and_b32_e32 v26, 0xffff, v26
	v_lshrrev_b32_e32 v38, 16, v27
	v_and_b32_e32 v27, 0xffff, v27
	s_wait_dscnt 0x0
	v_dual_fmac_f32 v50, v40, v43 :: v_dual_lshrrev_b32 v36, 16, v29
	v_and_b32_e32 v39, 0xffff, v28
	v_lshrrev_b32_e32 v28, 16, v28
	v_and_b32_e32 v29, 0xffff, v29
	;;#ASMSTART
	v_cvt_f32_f16 v37, v39;
	;;#ASMEND
	;;#ASMSTART
	v_cvt_f32_f16 v28, v28;
	;;#ASMEND
	;; [unrolled: 3-line block ×8, first 2 shown]
	ds_load_b64 v[26:27], v60 offset:120
	s_wait_loadcnt 0x8
	v_dual_lshrrev_b32 v87, 16, v24 :: v_dual_fmac_f32 v49, v51, v65
	v_and_b32_e32 v24, 0xffff, v24
	v_dual_fmac_f32 v50, v77, v79 :: v_dual_lshrrev_b32 v51, 16, v25
	v_and_b32_e32 v25, 0xffff, v25
	v_fmac_f32_e32 v46, v42, v45
	v_fmac_f32_e32 v48, v34, v35
	s_wait_loadcnt 0x6
	v_dual_fmac_f32 v50, v73, v75 :: v_dual_lshrrev_b32 v73, 16, v21
	v_and_b32_e32 v21, 0xffff, v21
	s_delay_alu instid0(VALU_DEP_2)
	v_fmac_f32_e32 v50, v66, v72
	s_wait_dscnt 0x0
	v_and_b32_e32 v42, 0xffff, v26
	v_dual_lshrrev_b32 v26, 16, v26 :: v_dual_lshrrev_b32 v45, 16, v27
	v_and_b32_e32 v27, 0xffff, v27
	;;#ASMSTART
	v_cvt_f32_f16 v42, v42;
	;;#ASMEND
	;;#ASMSTART
	v_cvt_f32_f16 v26, v26;
	;;#ASMEND
	;; [unrolled: 3-line block ×8, first 2 shown]
	ds_load_b64 v[24:25], v60 offset:128
	v_lshrrev_b32_e32 v87, 16, v22
	v_and_b32_e32 v22, 0xffff, v22
	v_dual_fmac_f32 v49, v81, v82 :: v_dual_lshrrev_b32 v34, 16, v23
	v_and_b32_e32 v23, 0xffff, v23
	v_fmac_f32_e32 v46, v78, v80
	s_wait_loadcnt 0x5
	s_delay_alu instid0(VALU_DEP_1)
	v_dual_fmac_f32 v46, v74, v76 :: v_dual_lshrrev_b32 v74, 16, v19
	v_and_b32_e32 v19, 0xffff, v19
	s_wait_dscnt 0x0
	v_and_b32_e32 v35, 0xffff, v24
	v_dual_lshrrev_b32 v24, 16, v24 :: v_dual_lshrrev_b32 v78, 16, v25
	v_and_b32_e32 v25, 0xffff, v25
	;;#ASMSTART
	v_cvt_f32_f16 v35, v35;
	;;#ASMEND
	;;#ASMSTART
	v_cvt_f32_f16 v24, v24;
	;;#ASMEND
	;; [unrolled: 3-line block ×8, first 2 shown]
	ds_load_b64 v[22:23], v60 offset:136
	v_lshrrev_b32_e32 v87, 16, v20
	v_and_b32_e32 v20, 0xffff, v20
	v_dual_fmac_f32 v48, v32, v33 :: v_dual_fmac_f32 v49, v83, v84
	s_wait_dscnt 0x0
	v_lshrrev_b32_e32 v33, 16, v23
	v_and_b32_e32 v32, 0xffff, v22
	v_lshrrev_b32_e32 v22, 16, v22
	v_and_b32_e32 v23, 0xffff, v23
	;;#ASMSTART
	v_cvt_f32_f16 v32, v32;
	;;#ASMEND
	;;#ASMSTART
	v_cvt_f32_f16 v22, v22;
	;;#ASMEND
	;; [unrolled: 3-line block ×8, first 2 shown]
	ds_load_b64 v[20:21], v60 offset:144
	v_lshrrev_b32_e32 v87, 16, v18
	v_and_b32_e32 v18, 0xffff, v18
	v_dual_fmac_f32 v48, v71, v85 :: v_dual_fmac_f32 v49, v68, v86
	s_wait_loadcnt 0x4
	v_lshrrev_b32_e32 v68, 16, v17
	v_and_b32_e32 v17, 0xffff, v17
	s_delay_alu instid0(VALU_DEP_3) | instskip(SKIP_3) | instid1(VALU_DEP_2)
	v_fmac_f32_e32 v48, v30, v67
	s_wait_loadcnt 0x3
	v_dual_fmac_f32 v49, v44, v69 :: v_dual_lshrrev_b32 v30, 16, v15
	v_and_b32_e32 v15, 0xffff, v15
	v_dual_fmac_f32 v48, v28, v40 :: v_dual_fmac_f32 v49, v29, v43
	s_wait_loadcnt 0x1
	s_delay_alu instid0(VALU_DEP_1)
	v_dual_fmac_f32 v48, v26, v77 :: v_dual_lshrrev_b32 v26, 16, v11
	s_wait_dscnt 0x0
	v_and_b32_e32 v66, 0xffff, v20
	v_dual_lshrrev_b32 v20, 16, v20 :: v_dual_lshrrev_b32 v71, 16, v21
	v_and_b32_e32 v21, 0xffff, v21
	;;#ASMSTART
	v_cvt_f32_f16 v66, v66;
	;;#ASMEND
	;;#ASMSTART
	v_cvt_f32_f16 v20, v20;
	;;#ASMEND
	;; [unrolled: 3-line block ×5, first 2 shown]
	v_lshrrev_b32_e32 v87, 16, v16
	;;#ASMSTART
	v_cvt_f32_f16 v71, v71;
	;;#ASMEND
	;;#ASMSTART
	v_cvt_f32_f16 v85, v19;
	;;#ASMEND
	;; [unrolled: 3-line block ×3, first 2 shown]
	ds_load_b64 v[18:19], v60 offset:152
	v_and_b32_e32 v16, 0xffff, v16
	v_fmac_f32_e32 v46, v70, v52
	v_dual_fmac_f32 v50, v41, v53 :: v_dual_fmac_f32 v49, v27, v79
	v_fmac_f32_e32 v48, v24, v81
	v_and_b32_e32 v11, 0xffff, v11
	s_delay_alu instid0(VALU_DEP_3) | instskip(NEXT) | instid1(VALU_DEP_1)
	v_fmac_f32_e32 v49, v25, v82
	v_fmac_f32_e32 v49, v23, v84
	s_delay_alu instid0(VALU_DEP_1)
	v_fmac_f32_e32 v49, v21, v85
	s_wait_dscnt 0x0
	v_and_b32_e32 v52, 0xffff, v18
	v_dual_lshrrev_b32 v18, 16, v18 :: v_dual_lshrrev_b32 v41, 16, v19
	v_and_b32_e32 v19, 0xffff, v19
	;;#ASMSTART
	v_cvt_f32_f16 v52, v52;
	;;#ASMEND
	;;#ASMSTART
	v_cvt_f32_f16 v18, v18;
	;;#ASMEND
	;; [unrolled: 3-line block ×8, first 2 shown]
	ds_load_b64 v[16:17], v60 offset:160
	v_lshrrev_b32_e32 v87, 16, v14
	v_and_b32_e32 v14, 0xffff, v14
	v_fmac_f32_e32 v46, v31, v47
	v_dual_fmac_f32 v50, v37, v39 :: v_dual_lshrrev_b32 v37, 16, v13
	v_lshrrev_b32_e32 v39, 16, v10
	v_and_b32_e32 v13, 0xffff, v13
	s_delay_alu instid0(VALU_DEP_4) | instskip(NEXT) | instid1(VALU_DEP_4)
	v_fmac_f32_e32 v46, v36, v38
	v_fmac_f32_e32 v50, v42, v65
	v_and_b32_e32 v10, 0xffff, v10
	s_delay_alu instid0(VALU_DEP_3) | instskip(NEXT) | instid1(VALU_DEP_3)
	v_fmac_f32_e32 v46, v45, v51
	v_fmac_f32_e32 v50, v35, v80
	s_delay_alu instid0(VALU_DEP_2) | instskip(NEXT) | instid1(VALU_DEP_2)
	v_fmac_f32_e32 v46, v78, v34
	v_fmac_f32_e32 v50, v32, v75
	s_wait_dscnt 0x0
	v_and_b32_e32 v44, 0xffff, v16
	v_dual_lshrrev_b32 v16, 16, v16 :: v_dual_lshrrev_b32 v31, 16, v17
	v_and_b32_e32 v17, 0xffff, v17
	;;#ASMSTART
	v_cvt_f32_f16 v44, v44;
	;;#ASMEND
	;;#ASMSTART
	v_cvt_f32_f16 v16, v16;
	;;#ASMEND
	;;#ASMSTART
	v_cvt_f32_f16 v47, v14;
	;;#ASMEND
	;;#ASMSTART
	v_cvt_f32_f16 v67, v87;
	;;#ASMEND
	;;#ASMSTART
	v_cvt_f32_f16 v17, v17;
	;;#ASMEND
	v_lshrrev_b32_e32 v87, 16, v12
	;;#ASMSTART
	v_cvt_f32_f16 v31, v31;
	;;#ASMEND
	;;#ASMSTART
	v_cvt_f32_f16 v69, v15;
	;;#ASMEND
	;; [unrolled: 3-line block ×3, first 2 shown]
	ds_load_b64 v[14:15], v60 offset:168
	v_and_b32_e32 v12, 0xffff, v12
	s_wait_loadcnt 0x0
	v_dual_fmac_f32 v48, v22, v83 :: v_dual_lshrrev_b32 v22, 16, v8
	v_fmac_f32_e32 v46, v33, v73
	v_fmac_f32_e32 v50, v66, v72
	s_wait_xcnt 0x0
	v_and_b32_e32 v8, 0xffff, v8
	s_delay_alu instid0(VALU_DEP_3) | instskip(NEXT) | instid1(VALU_DEP_1)
	v_fmac_f32_e32 v46, v71, v74
	v_dual_fmac_f32 v49, v19, v86 :: v_dual_fmac_f32 v46, v41, v68
	s_delay_alu instid0(VALU_DEP_1)
	v_fmac_f32_e32 v49, v17, v69
	s_wait_dscnt 0x0
	v_and_b32_e32 v28, 0xffff, v14
	v_dual_lshrrev_b32 v14, 16, v14 :: v_dual_lshrrev_b32 v29, 16, v15
	v_and_b32_e32 v15, 0xffff, v15
	;;#ASMSTART
	v_cvt_f32_f16 v28, v28;
	;;#ASMEND
	;;#ASMSTART
	v_cvt_f32_f16 v14, v14;
	;;#ASMEND
	;;#ASMSTART
	v_cvt_f32_f16 v40, v12;
	;;#ASMEND
	;;#ASMSTART
	v_cvt_f32_f16 v43, v87;
	;;#ASMEND
	;;#ASMSTART
	v_cvt_f32_f16 v15, v15;
	;;#ASMEND
	;;#ASMSTART
	v_cvt_f32_f16 v29, v29;
	;;#ASMEND
	;;#ASMSTART
	v_cvt_f32_f16 v87, v13;
	;;#ASMEND
	;;#ASMSTART
	v_cvt_f32_f16 v37, v37;
	;;#ASMEND
	ds_load_b64 v[12:13], v60 offset:176
	v_dual_fmac_f32 v48, v20, v76 :: v_dual_fmac_f32 v49, v15, v87
	s_wait_dscnt 0x0
	v_and_b32_e32 v20, 0xffff, v12
	v_dual_lshrrev_b32 v12, 16, v12 :: v_dual_lshrrev_b32 v21, 16, v13
	v_and_b32_e32 v13, 0xffff, v13
	;;#ASMSTART
	v_cvt_f32_f16 v20, v20;
	;;#ASMEND
	;;#ASMSTART
	v_cvt_f32_f16 v12, v12;
	;;#ASMEND
	;;#ASMSTART
	v_cvt_f32_f16 v23, v10;
	;;#ASMEND
	;;#ASMSTART
	v_cvt_f32_f16 v24, v39;
	;;#ASMEND
	;;#ASMSTART
	v_cvt_f32_f16 v13, v13;
	;;#ASMEND
	;;#ASMSTART
	v_cvt_f32_f16 v21, v21;
	;;#ASMEND
	;;#ASMSTART
	v_cvt_f32_f16 v25, v11;
	;;#ASMEND
	;;#ASMSTART
	v_cvt_f32_f16 v26, v26;
	;;#ASMEND
	ds_load_b64 v[10:11], v60 offset:184
	v_dual_fmac_f32 v50, v52, v53 :: v_dual_fmac_f32 v48, v18, v70
	s_delay_alu instid0(VALU_DEP_1) | instskip(NEXT) | instid1(VALU_DEP_2)
	v_dual_fmac_f32 v49, v13, v25 :: v_dual_fmac_f32 v50, v44, v47
	v_dual_fmac_f32 v48, v16, v67 :: v_dual_lshrrev_b32 v16, 16, v9
	v_fmac_f32_e32 v46, v31, v30
	v_and_b32_e32 v9, 0xffff, v9
	s_delay_alu instid0(VALU_DEP_3) | instskip(NEXT) | instid1(VALU_DEP_3)
	v_dual_fmac_f32 v50, v28, v40 :: v_dual_fmac_f32 v48, v14, v43
	v_fmac_f32_e32 v46, v29, v37
	s_delay_alu instid0(VALU_DEP_2) | instskip(NEXT) | instid1(VALU_DEP_3)
	v_fmac_f32_e32 v50, v20, v23
	v_fmac_f32_e32 v48, v12, v24
	s_wait_dscnt 0x0
	v_and_b32_e32 v12, 0xffff, v10
	v_dual_lshrrev_b32 v10, 16, v10 :: v_dual_lshrrev_b32 v13, 16, v11
	;;#ASMSTART
	v_cvt_f32_f16 v12, v12;
	;;#ASMEND
	;;#ASMSTART
	v_cvt_f32_f16 v10, v10;
	;;#ASMEND
	;; [unrolled: 3-line block ×3, first 2 shown]
	v_and_b32_e32 v11, 0xffff, v11
	;;#ASMSTART
	v_cvt_f32_f16 v14, v22;
	;;#ASMEND
	v_dual_fmac_f32 v50, v12, v8 :: v_dual_fmac_f32 v48, v10, v14
	;;#ASMSTART
	v_cvt_f32_f16 v8, v11;
	;;#ASMEND
	;;#ASMSTART
	v_cvt_f32_f16 v10, v13;
	;;#ASMEND
	;; [unrolled: 3-line block ×3, first 2 shown]
	v_dual_fmac_f32 v46, v21, v26 :: v_dual_fmac_f32 v49, v8, v9
	;;#ASMSTART
	v_cvt_f32_f16 v9, v16;
	;;#ASMEND
	s_delay_alu instid0(VALU_DEP_1) | instskip(SKIP_1) | instid1(VALU_DEP_1)
	v_fmac_f32_e32 v46, v10, v9
	v_cndmask_b32_e64 v9, v58, v63, s4
	v_dual_add_f32 v8, v50, v48 :: v_dual_lshlrev_b32 v9, 2, v9
	s_delay_alu instid0(VALU_DEP_1) | instskip(NEXT) | instid1(VALU_DEP_1)
	v_add_f32_e32 v8, v8, v49
	v_add_f32_e32 v8, v46, v8
	ds_bpermute_b32 v9, v9, v8
	s_and_saveexec_b32 s25, vcc_lo
	s_cbranch_execz .LBB88_8
; %bb.10:                               ;   in Loop: Header=BB88_9 Depth=1
	s_wait_dscnt 0x0
	v_add_f32_e32 v8, v8, v9
	v_add_nc_u32_e32 v10, s15, v61
	v_cmp_gt_i32_e64 s4, s21, v61
	s_delay_alu instid0(VALU_DEP_2) | instskip(NEXT) | instid1(VALU_DEP_1)
	v_cvt_f32_i32_e32 v10, v10
	v_mul_f32_e32 v10, s23, v10
	s_delay_alu instid0(VALU_DEP_1) | instskip(NEXT) | instid1(VALU_DEP_1)
	v_dual_cndmask_b32 v9, 0, v10, s3 :: v_dual_max_num_f32 v10, v59, v59
	v_fmac_f32_e32 v9, s7, v8
	s_delay_alu instid0(VALU_DEP_1) | instskip(NEXT) | instid1(VALU_DEP_1)
	v_dual_max_num_f32 v8, v10, v9 :: v_dual_cndmask_b32 v9, 0, v9, s4
	v_cndmask_b32_e64 v59, v59, v8, s4
	ds_store_b32 v62, v9
	s_branch .LBB88_8
.LBB88_11:
	s_or_b32 exec_lo, exec_lo, s6
.LBB88_12:
	s_delay_alu instid0(SALU_CYCLE_1)
	s_or_b32 exec_lo, exec_lo, s24
	v_dual_max_num_f32 v7, v59, v59 :: v_dual_bitop2_b32 v4, 16, v58 bitop3:0x14
	s_clause 0x1
	s_load_b64 s[6:7], s[0:1], 0x0
	s_load_b64 s[16:17], s[0:1], 0x18
	v_xor_b32_e32 v6, 8, v58
	v_xor_b32_e32 v8, 4, v58
	v_cmp_lt_i32_e32 vcc_lo, v4, v2
	v_and_b32_e32 v25, 31, v0
	v_cndmask_b32_e32 v4, v58, v4, vcc_lo
	v_cmp_lt_i32_e32 vcc_lo, v6, v2
	s_delay_alu instid0(VALU_DEP_2) | instskip(SKIP_4) | instid1(VALU_DEP_1)
	v_dual_cndmask_b32 v6, v58, v6 :: v_dual_lshlrev_b32 v5, 2, v4
	v_cmp_lt_i32_e32 vcc_lo, v8, v2
	ds_bpermute_b32 v4, v5, v59
	s_wait_dscnt 0x0
	v_dual_lshlrev_b32 v6, 2, v6 :: v_dual_max_num_f32 v4, v4, v4
	v_max_num_f32_e32 v4, v7, v4
	ds_bpermute_b32 v7, v6, v4
	s_wait_dscnt 0x0
	v_dual_cndmask_b32 v8, v58, v8 :: v_dual_max_num_f32 v9, v7, v7
	s_delay_alu instid0(VALU_DEP_1) | instskip(SKIP_3) | instid1(VALU_DEP_1)
	v_dual_max_num_f32 v4, v4, v9 :: v_dual_lshlrev_b32 v7, 2, v8
	ds_bpermute_b32 v8, v7, v4
	s_wait_dscnt 0x0
	v_dual_max_num_f32 v8, v8, v8 :: v_dual_bitop2_b32 v9, 2, v58 bitop3:0x14
	v_cmp_lt_i32_e32 vcc_lo, v9, v2
	s_delay_alu instid0(VALU_DEP_2) | instskip(SKIP_2) | instid1(VALU_DEP_3)
	v_dual_cndmask_b32 v10, v58, v9 :: v_dual_max_num_f32 v9, v4, v8
	v_lshlrev_b32_e32 v8, 2, v56
	v_cmp_eq_u32_e32 vcc_lo, 0, v25
	v_lshlrev_b32_e32 v4, 2, v10
	ds_bpermute_b32 v10, v4, v9
	s_wait_xcnt 0x0
	s_and_saveexec_b32 s0, vcc_lo
	s_cbranch_execz .LBB88_14
; %bb.13:
	s_wait_dscnt 0x0
	v_dual_max_num_f32 v10, v10, v10 :: v_dual_max_num_f32 v9, v9, v9
	s_delay_alu instid0(VALU_DEP_1)
	v_max_num_f32_e32 v9, v9, v10
	ds_store_b32 v8, v9 offset:384
.LBB88_14:
	s_or_b32 exec_lo, exec_lo, s0
	v_cmp_gt_u32_e64 s0, 4, v25
	s_wait_dscnt 0x0
	v_dual_mov_b32 v10, 0xff7fffff :: v_dual_lshlrev_b32 v9, 2, v25
	s_barrier_signal -1
	s_barrier_wait -1
	s_and_saveexec_b32 s1, s0
; %bb.15:
	ds_load_b32 v10, v9 offset:384
; %bb.16:
	s_or_b32 exec_lo, exec_lo, s1
	s_wait_dscnt 0x0
	ds_bpermute_b32 v11, v4, v10
	v_xor_b32_e32 v12, 1, v58
	v_dual_max_num_f32 v10, v10, v10 :: v_dual_lshlrev_b32 v3, 2, v3
	s_wait_dscnt 0x0
	v_max_num_f32_e32 v11, v11, v11
	s_delay_alu instid0(VALU_DEP_3) | instskip(NEXT) | instid1(VALU_DEP_1)
	v_cmp_lt_i32_e64 s1, v12, v2
	v_cndmask_b32_e64 v2, v58, v12, s1
	s_lshl_b32 s1, s22, 4
	s_delay_alu instid0(SALU_CYCLE_1) | instskip(NEXT) | instid1(VALU_DEP_1)
	s_min_i32 s4, s1, s21
	v_dual_lshlrev_b32 v26, 2, v2 :: v_dual_max_num_f32 v2, v10, v11
	v_cmp_gt_i32_e64 s1, s4, v0
	ds_bpermute_b32 v10, v26, v2
	s_wait_dscnt 0x0
	v_max_num_f32_e32 v10, v10, v10
	s_delay_alu instid0(VALU_DEP_1)
	v_max_num_f32_e32 v2, v2, v10
	ds_bpermute_b32 v3, v3, v2
	v_mov_b32_e32 v2, 0
	s_and_saveexec_b32 s15, s1
	s_cbranch_execz .LBB88_20
; %bb.17:
	v_lshl_add_u32 v10, v0, 2, 0x1a0
	v_dual_mov_b32 v2, 0 :: v_dual_mov_b32 v11, v0
	s_mov_b32 s23, 0
.LBB88_18:                              ; =>This Inner Loop Header: Depth=1
	ds_load_b32 v12, v10
	s_wait_dscnt 0x0
	v_sub_f32_e32 v12, v12, v3
	s_delay_alu instid0(VALU_DEP_1) | instskip(NEXT) | instid1(VALU_DEP_1)
	v_mul_f32_e32 v12, 0x3fb8aa3b, v12
	v_exp_f32_e32 v12, v12
	v_nop
	s_delay_alu instid0(TRANS32_DEP_1) | instskip(NEXT) | instid1(VALU_DEP_1)
	v_dual_add_f32 v2, v2, v12 :: v_dual_add_nc_u32 v11, 0x80, v11
	v_cmp_le_i32_e64 s3, s4, v11
	ds_store_b32 v10, v12
	v_add_nc_u32_e32 v10, 0x200, v10
	s_or_b32 s23, s3, s23
	s_delay_alu instid0(SALU_CYCLE_1)
	s_and_not1_b32 exec_lo, exec_lo, s23
	s_cbranch_execnz .LBB88_18
; %bb.19:
	s_or_b32 exec_lo, exec_lo, s23
.LBB88_20:
	s_delay_alu instid0(SALU_CYCLE_1)
	s_or_b32 exec_lo, exec_lo, s15
	s_wait_dscnt 0x0
	ds_bpermute_b32 v3, v5, v2
	s_wait_dscnt 0x0
	v_add_f32_e32 v2, v2, v3
	ds_bpermute_b32 v3, v6, v2
	s_wait_dscnt 0x0
	v_add_f32_e32 v2, v2, v3
	;; [unrolled: 3-line block ×5, first 2 shown]
	s_and_saveexec_b32 s3, vcc_lo
; %bb.21:
	ds_store_b32 v8, v2 offset:400
; %bb.22:
	s_or_b32 exec_lo, exec_lo, s3
	s_wait_dscnt 0x0
	s_barrier_signal -1
	s_barrier_wait -1
	s_and_saveexec_b32 s3, s0
; %bb.23:
	ds_load_b32 v2, v9 offset:400
; %bb.24:
	s_or_b32 exec_lo, exec_lo, s3
	s_wait_dscnt 0x0
	ds_bpermute_b32 v3, v4, v2
	s_wait_dscnt 0x0
	v_dual_lshlrev_b32 v4, 2, v58 :: v_dual_add_f32 v2, v2, v3
	ds_bpermute_b32 v3, v26, v2
	s_wait_dscnt 0x0
	v_add_f32_e32 v2, v2, v3
	v_and_b32_e32 v3, 0xffffff80, v4
	ds_bpermute_b32 v2, v3, v2
	s_and_saveexec_b32 s0, s1
	s_cbranch_execz .LBB88_37
; %bb.25:
	s_wait_dscnt 0x0
	v_add_f32_e32 v2, 0x358637bd, v2
	s_mov_b32 s3, -1
	s_mov_b32 s1, exec_lo
	s_delay_alu instid0(VALU_DEP_1) | instskip(NEXT) | instid1(VALU_DEP_1)
	v_div_scale_f32 v3, null, v2, v2, 1.0
	v_rcp_f32_e32 v5, v3
	v_nop
	s_delay_alu instid0(TRANS32_DEP_1) | instskip(NEXT) | instid1(VALU_DEP_1)
	v_fma_f32 v4, -v3, v5, 1.0
	v_fmac_f32_e32 v5, v4, v5
	v_div_scale_f32 v6, vcc_lo, 1.0, v2, 1.0
	s_delay_alu instid0(VALU_DEP_1) | instskip(NEXT) | instid1(VALU_DEP_1)
	v_mul_f32_e32 v7, v6, v5
	v_fma_f32 v4, -v3, v7, v6
	s_delay_alu instid0(VALU_DEP_1) | instskip(SKIP_1) | instid1(VALU_DEP_2)
	v_fmac_f32_e32 v7, v4, v5
	v_xad_u32 v4, v0, -1, s4
	v_fma_f32 v3, -v3, v7, v6
	s_delay_alu instid0(VALU_DEP_1) | instskip(NEXT) | instid1(VALU_DEP_1)
	v_div_fmas_f32 v3, v3, v5, v7
	v_div_fixup_f32 v2, v3, v2, 1.0
	v_mov_b32_e32 v3, v0
	v_cmpx_lt_u32_e32 0x7f, v4
	s_cbranch_execz .LBB88_34
; %bb.26:
	s_delay_alu instid0(VALU_DEP_3) | instskip(NEXT) | instid1(VALU_DEP_1)
	v_dual_mov_b32 v3, v2 :: v_dual_lshrrev_b32 v4, 7, v4
	v_dual_mov_b32 v8, 0 :: v_dual_add_nc_u32 v5, -1, v4
	s_delay_alu instid0(VALU_DEP_1) | instskip(SKIP_1) | instid1(VALU_DEP_2)
	v_lshrrev_b32_e32 v6, 1, v5
	v_cmp_lt_u32_e32 vcc_lo, 13, v5
	v_add_nc_u32_e32 v5, 1, v6
	s_and_saveexec_b32 s3, vcc_lo
	s_cbranch_execz .LBB88_30
; %bb.27:
	s_delay_alu instid0(VALU_DEP_1)
	v_and_b32_e32 v6, -8, v5
	v_lshl_add_u32 v7, v0, 2, 0x1a0
	s_mov_b32 s15, 0
	s_mov_b32 s23, 0
.LBB88_28:                              ; =>This Inner Loop Header: Depth=1
	ds_load_2addr_stride64_b32 v[8:9], v7 offset1:2
	ds_load_2addr_stride64_b32 v[10:11], v7 offset0:4 offset1:6
	ds_load_2addr_stride64_b32 v[12:13], v7 offset0:8 offset1:10
	;; [unrolled: 1-line block ×7, first 2 shown]
	s_add_co_i32 s23, s23, 16
	v_add_nc_u32_e32 v6, -8, v6
	s_wait_dscnt 0x7
	v_pk_mul_f32 v[8:9], v[2:3], v[8:9]
	s_wait_dscnt 0x6
	v_pk_mul_f32 v[10:11], v[2:3], v[10:11]
	;; [unrolled: 2-line block ×8, first 2 shown]
	ds_store_2addr_stride64_b32 v7, v8, v9 offset1:2
	ds_store_2addr_stride64_b32 v7, v10, v11 offset0:4 offset1:6
	ds_store_2addr_stride64_b32 v7, v12, v13 offset0:8 offset1:10
	ds_store_2addr_stride64_b32 v7, v14, v15 offset0:12 offset1:14
	ds_store_2addr_stride64_b32 v7, v16, v17 offset0:16 offset1:18
	ds_store_2addr_stride64_b32 v7, v18, v19 offset0:20 offset1:22
	ds_store_2addr_stride64_b32 v7, v20, v21 offset0:24 offset1:26
	ds_store_2addr_stride64_b32 v7, v22, v23 offset0:28 offset1:30
	v_mov_b32_e32 v8, s23
	v_cmp_eq_u32_e32 vcc_lo, 0, v6
	v_add_nc_u32_e32 v7, 0x2000, v7
	s_or_b32 s15, vcc_lo, s15
	s_delay_alu instid0(SALU_CYCLE_1)
	s_and_not1_b32 exec_lo, exec_lo, s15
	s_cbranch_execnz .LBB88_28
; %bb.29:
	s_or_b32 exec_lo, exec_lo, s15
.LBB88_30:
	s_delay_alu instid0(SALU_CYCLE_1) | instskip(NEXT) | instid1(VALU_DEP_1)
	s_or_b32 exec_lo, exec_lo, s3
	v_and_b32_e32 v5, 7, v5
	s_mov_b32 s15, 0
	s_mov_b32 s3, exec_lo
	s_delay_alu instid0(VALU_DEP_1)
	v_cmpx_ne_u32_e32 0, v5
	s_cbranch_execz .LBB88_33
; %bb.31:
	v_lshlrev_b32_e32 v6, 9, v8
	v_lshlrev_b32_e32 v7, 2, v0
	s_delay_alu instid0(VALU_DEP_1)
	v_add3_u32 v6, v6, v7, 0x1a0
.LBB88_32:                              ; =>This Inner Loop Header: Depth=1
	ds_load_2addr_stride64_b32 v[8:9], v6 offset1:2
	v_add_nc_u32_e32 v5, -1, v5
	s_delay_alu instid0(VALU_DEP_1)
	v_cmp_eq_u32_e32 vcc_lo, 0, v5
	s_or_b32 s15, vcc_lo, s15
	s_wait_dscnt 0x0
	v_pk_mul_f32 v[8:9], v[2:3], v[8:9]
	ds_store_2addr_stride64_b32 v6, v8, v9 offset1:2
	v_add_nc_u32_e32 v6, 0x400, v6
	s_and_not1_b32 exec_lo, exec_lo, s15
	s_cbranch_execnz .LBB88_32
.LBB88_33:
	s_or_b32 exec_lo, exec_lo, s3
	v_add_nc_u32_e32 v3, 1, v4
	s_delay_alu instid0(VALU_DEP_1) | instskip(NEXT) | instid1(VALU_DEP_1)
	v_and_b32_e32 v4, 0x3fffffe, v3
	v_cmp_ne_u32_e32 vcc_lo, v3, v4
	v_lshl_add_u32 v3, v4, 7, v0
	s_or_not1_b32 s3, vcc_lo, exec_lo
.LBB88_34:
	s_or_b32 exec_lo, exec_lo, s1
	s_delay_alu instid0(SALU_CYCLE_1)
	s_and_b32 exec_lo, exec_lo, s3
	s_cbranch_execz .LBB88_37
; %bb.35:
	v_lshl_add_u32 v4, v3, 2, 0x1a0
	s_mov_b32 s1, 0
.LBB88_36:                              ; =>This Inner Loop Header: Depth=1
	ds_load_b32 v5, v4
	v_add_nc_u32_e32 v3, 0x80, v3
	s_delay_alu instid0(VALU_DEP_1)
	v_cmp_le_i32_e32 vcc_lo, s4, v3
	s_or_b32 s1, vcc_lo, s1
	s_wait_dscnt 0x0
	v_mul_f32_e32 v5, v2, v5
	ds_store_b32 v4, v5
	v_add_nc_u32_e32 v4, 0x200, v4
	s_and_not1_b32 exec_lo, exec_lo, s1
	s_cbranch_execnz .LBB88_36
.LBB88_37:
	s_or_b32 exec_lo, exec_lo, s0
	v_mov_b32_e32 v7, 0
	s_wait_dscnt 0x0
	s_barrier_signal -1
	s_barrier_wait -1
	s_delay_alu instid0(VALU_DEP_1)
	v_dual_mov_b32 v6, v7 :: v_dual_mov_b32 v9, v7
	v_dual_mov_b32 v8, v7 :: v_dual_mov_b32 v11, v7
	;; [unrolled: 1-line block ×5, first 2 shown]
	v_mov_b32_e32 v16, v7
	s_and_saveexec_b32 s1, s2
	s_cbranch_execz .LBB88_65
; %bb.38:
	v_dual_lshlrev_b32 v2, 4, v0 :: v_dual_bitop2_b32 v3, 8, v57 bitop3:0x40
	s_ashr_i32 s15, s14, 31
	v_dual_mov_b32 v7, 0 :: v_dual_lshlrev_b32 v4, 5, v55
	s_delay_alu instid0(VALU_DEP_2)
	v_and_b32_e32 v6, 0x1f0, v2
	s_lshl_b64 s[14:15], s[14:15], 1
	s_ashr_i32 s3, s5, 31
	s_wait_kmcnt 0x0
	s_add_nc_u64 s[14:15], s[16:17], s[14:15]
	s_mov_b32 s2, s5
	v_add_nc_u64_e32 v[18:19], s[14:15], v[6:7]
	v_and_b32_e32 v6, 0x7c, v1
	s_lshl_b64 s[4:5], s[10:11], 2
	v_lshl_or_b32 v2, v56, 6, v4
	s_add_nc_u64 s[4:5], s[12:13], s[4:5]
	v_lshl_or_b32 v27, v56, 4, v3
	v_add_nc_u64_e32 v[20:21], s[4:5], v[6:7]
	v_dual_mov_b32 v6, v7 :: v_dual_mov_b32 v8, v7
	v_dual_mov_b32 v9, v7 :: v_dual_add_nc_u32 v28, 0x1a0, v2
	v_dual_mov_b32 v11, v7 :: v_dual_mov_b32 v10, v7
	v_dual_mov_b32 v13, v7 :: v_dual_mov_b32 v12, v7
	;; [unrolled: 1-line block ×4, first 2 shown]
	v_mov_b32_e32 v29, v56
	s_add_co_i32 s4, s22, -1
	s_mov_b32 s10, s21
	s_mov_b32 s5, 0
	s_branch .LBB88_40
.LBB88_39:                              ;   in Loop: Header=BB88_40 Depth=1
	s_or_b32 exec_lo, exec_lo, s0
	v_dual_add_f32 v24, v24, v37 :: v_dual_add_f32 v30, v63, v64
	v_add_f32_e32 v33, v57, v58
	v_dual_lshlrev_b32 v22, 16, v22 :: v_dual_lshlrev_b32 v1, 16, v1
	s_delay_alu instid0(VALU_DEP_3) | instskip(NEXT) | instid1(VALU_DEP_4)
	v_dual_add_f32 v6, v6, v24 :: v_dual_add_f32 v24, v52, v53
	v_dual_add_f32 v9, v9, v30 :: v_dual_lshlrev_b32 v23, 16, v23
	v_add_f32_e32 v30, v48, v49
	s_delay_alu instid0(VALU_DEP_3)
	v_dual_add_f32 v10, v10, v33 :: v_dual_add_f32 v13, v13, v24
	v_add_f32_e32 v24, v50, v51
	v_and_or_b32 v2, 0xffff, v2, v22
	v_and_or_b32 v1, 0xffff, v3, v1
	;; [unrolled: 1-line block ×3, first 2 shown]
	;;#ASMSTART
	v_pk_mul_f16 v2, v39, v2;

	;;#ASMEND
	;;#ASMSTART
	v_pk_mul_f16 v1, v38, v1;

	;;#ASMEND
	;; [unrolled: 4-line block ×4, first 2 shown]
	;;#ASMSTART
	v_pk_add_f16 v1, v2, v1;

	;;#ASMEND
	;;#ASMSTART
	v_pk_add_f16 v1, v1, v3;

	;;#ASMEND
	;; [unrolled: 4-line block ×3, first 2 shown]
	v_dual_add_f32 v15, v15, v30 :: v_dual_add_f32 v12, v12, v24
	v_lshrrev_b32_e32 v5, 16, v1
	v_and_b32_e32 v4, 0xffff, v1
	v_dual_add_f32 v1, v46, v47 :: v_dual_add_f32 v2, v44, v45
	v_add_nc_u32_e32 v29, 4, v29
	;;#ASMSTART
	v_cvt_f32_f16 v4, v4;
	;;#ASMEND
	v_dual_add_f32 v31, v61, v62 :: v_dual_add_f32 v32, v59, v60
	;;#ASMSTART
	v_cvt_f32_f16 v5, v5;
	;;#ASMEND
	v_dual_add_f32 v3, v42, v43 :: v_dual_add_f32 v4, v4, v5
	v_add_f32_e32 v17, v17, v2
	v_cmp_le_i32_e32 vcc_lo, s22, v29
	v_add_nc_u64_e32 v[20:21], 16, v[20:21]
	v_dual_add_f32 v8, v8, v31 :: v_dual_add_f32 v11, v11, v32
	v_dual_add_f32 v14, v14, v1 :: v_dual_add_f32 v16, v16, v3
	v_dual_add_f32 v7, v7, v4 :: v_dual_add_nc_u32 v27, 64, v27
	v_add_nc_u32_e32 v28, 0x100, v28
	s_or_b32 s5, vcc_lo, s5
	s_delay_alu instid0(SALU_CYCLE_1)
	s_and_not1_b32 exec_lo, exec_lo, s5
	s_cbranch_execz .LBB88_64
.LBB88_40:                              ; =>This Inner Loop Header: Depth=1
	global_load_b32 v2, v[20:21], off
	v_cmp_eq_u32_e32 vcc_lo, s4, v29
	v_dual_add_nc_u32 v35, 2, v27 :: v_dual_bitop2_b32 v34, 1, v27 bitop3:0x54
	s_wait_loadcnt 0x0
	v_ashrrev_i32_e32 v3, 31, v2
	s_delay_alu instid0(VALU_DEP_1)
	v_mul_u64_e32 v[22:23], s[2:3], v[2:3]
	ds_load_2addr_b64 v[2:5], v28 offset1:1
	ds_load_2addr_b64 v[30:33], v28 offset0:2 offset1:3
	s_wait_dscnt 0x1
	;;#ASMSTART
	v_cvt_f16_f32 v39, v2;

	;;#ASMEND
	;;#ASMSTART
	v_cvt_f16_f32 v38, v3;

	;;#ASMEND
	;; [unrolled: 4-line block ×4, first 2 shown]
	s_wait_dscnt 0x0
	;;#ASMSTART
	v_cvt_f16_f32 v45, v30;

	;;#ASMEND
	;;#ASMSTART
	v_cvt_f16_f32 v40, v31;

	;;#ASMEND
	;; [unrolled: 4-line block ×4, first 2 shown]
	v_dual_add_nc_u32 v31, 4, v27 :: v_dual_add_nc_u32 v30, 5, v27
	v_dual_add_nc_u32 v33, 6, v27 :: v_dual_add_nc_u32 v32, 7, v27
	v_lshl_add_u64 v[22:23], v[22:23], 1, v[18:19]
	global_load_b128 v[2:5], v[22:23], off
	s_wait_loadcnt 0x0
	v_dual_lshrrev_b32 v24, 16, v2 :: v_dual_bitop2_b32 v36, 3, v27 bitop3:0x54
	v_dual_lshrrev_b32 v1, 16, v3 :: v_dual_lshrrev_b32 v37, 16, v4
	s_and_saveexec_b32 s11, vcc_lo
	s_cbranch_execz .LBB88_42
; %bb.41:                               ;   in Loop: Header=BB88_40 Depth=1
	v_cmp_gt_i32_e64 s0, s21, v27
	v_and_b32_e32 v46, 0xffff, v5
	v_and_b32_e32 v5, 0xffff0000, v5
	s_delay_alu instid0(VALU_DEP_3) | instskip(SKIP_1) | instid1(VALU_DEP_1)
	v_cndmask_b32_e64 v2, 0, v2, s0
	v_cmp_gt_i32_e64 s0, s21, v35
	v_cndmask_b32_e64 v3, 0, v3, s0
	v_cmp_gt_i32_e64 s0, s10, v36
	s_delay_alu instid0(VALU_DEP_1) | instskip(SKIP_1) | instid1(VALU_DEP_1)
	v_cndmask_b32_e64 v1, 0, v1, s0
	v_cmp_gt_i32_e64 s0, s21, v34
	v_cndmask_b32_e64 v24, 0, v24, s0
	v_cmp_gt_i32_e64 s0, s21, v33
	s_delay_alu instid0(VALU_DEP_1) | instskip(SKIP_1) | instid1(VALU_DEP_1)
	;; [unrolled: 5-line block ×3, first 2 shown]
	v_dual_cndmask_b32 v4, 0, v4, s0 :: v_dual_bitop2_b32 v5, v46, v5 bitop3:0x54
	v_cmp_gt_i32_e64 s0, s21, v30
	v_cndmask_b32_e64 v37, 0, v37, s0
.LBB88_42:                              ;   in Loop: Header=BB88_40 Depth=1
	s_or_b32 exec_lo, exec_lo, s11
	v_and_b32_e32 v39, 0xffff, v39
	v_and_b32_e32 v44, 0xffff, v44
	v_dual_lshlrev_b32 v24, 16, v24 :: v_dual_lshlrev_b32 v1, 16, v1
	v_lshlrev_b32_e32 v37, 16, v37
	v_and_b32_e32 v45, 0xffff, v45
	v_lshl_or_b32 v39, v38, 16, v39
	v_lshl_or_b32 v38, v42, 16, v44
	v_and_b32_e32 v42, 0xffff, v43
	v_and_or_b32 v2, 0xffff, v2, v24
	v_and_or_b32 v1, 0xffff, v3, v1
	;; [unrolled: 1-line block ×3, first 2 shown]
	;;#ASMSTART
	v_pk_mul_f16 v2, v39, v2;

	;;#ASMEND
	;;#ASMSTART
	v_pk_mul_f16 v1, v38, v1;

	;;#ASMEND
	v_lshl_or_b32 v40, v40, 16, v45
	v_lshl_or_b32 v41, v41, 16, v42
	;;#ASMSTART
	v_pk_mul_f16 v3, v40, v3;

	;;#ASMEND
	;;#ASMSTART
	v_pk_mul_f16 v4, v41, v5;

	;;#ASMEND
	;;#ASMSTART
	v_pk_add_f16 v1, v2, v1;

	;;#ASMEND
	;;#ASMSTART
	v_pk_add_f16 v1, v1, v3;
	;; [unrolled: 4-line block ×3, first 2 shown]

	;;#ASMEND
	v_and_b32_e32 v2, 0xffff, v1
	v_lshrrev_b32_e32 v1, 16, v1
	;;#ASMSTART
	v_cvt_f32_f16 v42, v2;
	;;#ASMEND
	;;#ASMSTART
	v_cvt_f32_f16 v43, v1;
	;;#ASMEND
	global_load_b128 v[2:5], v[22:23], off offset:512
	s_wait_loadcnt 0x0
	v_dual_lshrrev_b32 v1, 16, v3 :: v_dual_lshrrev_b32 v24, 16, v2
	v_lshrrev_b32_e32 v37, 16, v4
	s_and_saveexec_b32 s11, vcc_lo
	s_cbranch_execz .LBB88_44
; %bb.43:                               ;   in Loop: Header=BB88_40 Depth=1
	v_cmp_gt_i32_e64 s0, s21, v27
	v_and_b32_e32 v44, 0xffff, v5
	v_and_b32_e32 v5, 0xffff0000, v5
	s_delay_alu instid0(VALU_DEP_3) | instskip(SKIP_1) | instid1(VALU_DEP_1)
	v_cndmask_b32_e64 v2, 0, v2, s0
	v_cmp_gt_i32_e64 s0, s21, v35
	v_cndmask_b32_e64 v3, 0, v3, s0
	v_cmp_gt_i32_e64 s0, s10, v36
	s_delay_alu instid0(VALU_DEP_1) | instskip(SKIP_1) | instid1(VALU_DEP_1)
	v_cndmask_b32_e64 v1, 0, v1, s0
	v_cmp_gt_i32_e64 s0, s21, v34
	v_cndmask_b32_e64 v24, 0, v24, s0
	v_cmp_gt_i32_e64 s0, s21, v33
	s_delay_alu instid0(VALU_DEP_1) | instskip(SKIP_1) | instid1(VALU_DEP_1)
	;; [unrolled: 5-line block ×3, first 2 shown]
	v_dual_cndmask_b32 v4, 0, v4, s0 :: v_dual_bitop2_b32 v5, v44, v5 bitop3:0x54
	v_cmp_gt_i32_e64 s0, s21, v30
	v_cndmask_b32_e64 v37, 0, v37, s0
.LBB88_44:                              ;   in Loop: Header=BB88_40 Depth=1
	s_or_b32 exec_lo, exec_lo, s11
	v_dual_lshlrev_b32 v24, 16, v24 :: v_dual_lshlrev_b32 v1, 16, v1
	s_delay_alu instid0(VALU_DEP_2) | instskip(NEXT) | instid1(VALU_DEP_2)
	v_lshlrev_b32_e32 v37, 16, v37
	v_and_or_b32 v2, 0xffff, v2, v24
	s_delay_alu instid0(VALU_DEP_3) | instskip(NEXT) | instid1(VALU_DEP_3)
	v_and_or_b32 v1, 0xffff, v3, v1
	v_and_or_b32 v3, 0xffff, v4, v37
	;;#ASMSTART
	v_pk_mul_f16 v2, v39, v2;

	;;#ASMEND
	;;#ASMSTART
	v_pk_mul_f16 v1, v38, v1;

	;;#ASMEND
	;; [unrolled: 4-line block ×4, first 2 shown]
	;;#ASMSTART
	v_pk_add_f16 v1, v2, v1;

	;;#ASMEND
	;;#ASMSTART
	v_pk_add_f16 v1, v1, v3;

	;;#ASMEND
	;; [unrolled: 4-line block ×3, first 2 shown]
	v_and_b32_e32 v2, 0xffff, v1
	v_lshrrev_b32_e32 v1, 16, v1
	;;#ASMSTART
	v_cvt_f32_f16 v44, v2;
	;;#ASMEND
	;;#ASMSTART
	v_cvt_f32_f16 v45, v1;
	;;#ASMEND
	global_load_b128 v[2:5], v[22:23], off offset:1024
	s_wait_loadcnt 0x0
	v_dual_lshrrev_b32 v1, 16, v3 :: v_dual_lshrrev_b32 v24, 16, v2
	v_lshrrev_b32_e32 v37, 16, v4
	s_and_saveexec_b32 s11, vcc_lo
	s_cbranch_execz .LBB88_46
; %bb.45:                               ;   in Loop: Header=BB88_40 Depth=1
	v_cmp_gt_i32_e64 s0, s21, v27
	v_and_b32_e32 v46, 0xffff, v5
	v_and_b32_e32 v5, 0xffff0000, v5
	s_delay_alu instid0(VALU_DEP_3) | instskip(SKIP_1) | instid1(VALU_DEP_1)
	v_cndmask_b32_e64 v2, 0, v2, s0
	v_cmp_gt_i32_e64 s0, s21, v35
	v_cndmask_b32_e64 v3, 0, v3, s0
	v_cmp_gt_i32_e64 s0, s10, v36
	s_delay_alu instid0(VALU_DEP_1) | instskip(SKIP_1) | instid1(VALU_DEP_1)
	v_cndmask_b32_e64 v1, 0, v1, s0
	v_cmp_gt_i32_e64 s0, s21, v34
	v_cndmask_b32_e64 v24, 0, v24, s0
	v_cmp_gt_i32_e64 s0, s21, v33
	s_delay_alu instid0(VALU_DEP_1) | instskip(SKIP_1) | instid1(VALU_DEP_1)
	;; [unrolled: 5-line block ×3, first 2 shown]
	v_dual_cndmask_b32 v4, 0, v4, s0 :: v_dual_bitop2_b32 v5, v46, v5 bitop3:0x54
	v_cmp_gt_i32_e64 s0, s21, v30
	v_cndmask_b32_e64 v37, 0, v37, s0
.LBB88_46:                              ;   in Loop: Header=BB88_40 Depth=1
	s_or_b32 exec_lo, exec_lo, s11
	v_dual_lshlrev_b32 v24, 16, v24 :: v_dual_lshlrev_b32 v1, 16, v1
	s_delay_alu instid0(VALU_DEP_2) | instskip(NEXT) | instid1(VALU_DEP_2)
	v_lshlrev_b32_e32 v37, 16, v37
	v_and_or_b32 v2, 0xffff, v2, v24
	s_delay_alu instid0(VALU_DEP_3) | instskip(NEXT) | instid1(VALU_DEP_3)
	v_and_or_b32 v1, 0xffff, v3, v1
	v_and_or_b32 v3, 0xffff, v4, v37
	;;#ASMSTART
	v_pk_mul_f16 v2, v39, v2;

	;;#ASMEND
	;;#ASMSTART
	v_pk_mul_f16 v1, v38, v1;

	;;#ASMEND
	;; [unrolled: 4-line block ×4, first 2 shown]
	;;#ASMSTART
	v_pk_add_f16 v1, v2, v1;

	;;#ASMEND
	;;#ASMSTART
	v_pk_add_f16 v1, v1, v3;

	;;#ASMEND
	;; [unrolled: 4-line block ×3, first 2 shown]
	v_and_b32_e32 v2, 0xffff, v1
	v_lshrrev_b32_e32 v1, 16, v1
	;;#ASMSTART
	v_cvt_f32_f16 v46, v2;
	;;#ASMEND
	;;#ASMSTART
	v_cvt_f32_f16 v47, v1;
	;;#ASMEND
	global_load_b128 v[2:5], v[22:23], off offset:1536
	s_wait_loadcnt 0x0
	v_dual_lshrrev_b32 v1, 16, v3 :: v_dual_lshrrev_b32 v24, 16, v2
	v_lshrrev_b32_e32 v37, 16, v4
	s_and_saveexec_b32 s11, vcc_lo
	s_cbranch_execz .LBB88_48
; %bb.47:                               ;   in Loop: Header=BB88_40 Depth=1
	v_cmp_gt_i32_e64 s0, s21, v27
	v_and_b32_e32 v48, 0xffff, v5
	v_and_b32_e32 v5, 0xffff0000, v5
	s_delay_alu instid0(VALU_DEP_3) | instskip(SKIP_1) | instid1(VALU_DEP_1)
	v_cndmask_b32_e64 v2, 0, v2, s0
	v_cmp_gt_i32_e64 s0, s21, v35
	v_cndmask_b32_e64 v3, 0, v3, s0
	v_cmp_gt_i32_e64 s0, s10, v36
	s_delay_alu instid0(VALU_DEP_1) | instskip(SKIP_1) | instid1(VALU_DEP_1)
	v_cndmask_b32_e64 v1, 0, v1, s0
	v_cmp_gt_i32_e64 s0, s21, v34
	v_cndmask_b32_e64 v24, 0, v24, s0
	v_cmp_gt_i32_e64 s0, s21, v33
	s_delay_alu instid0(VALU_DEP_1) | instskip(SKIP_1) | instid1(VALU_DEP_1)
	;; [unrolled: 5-line block ×3, first 2 shown]
	v_dual_cndmask_b32 v4, 0, v4, s0 :: v_dual_bitop2_b32 v5, v48, v5 bitop3:0x54
	v_cmp_gt_i32_e64 s0, s21, v30
	v_cndmask_b32_e64 v37, 0, v37, s0
.LBB88_48:                              ;   in Loop: Header=BB88_40 Depth=1
	s_or_b32 exec_lo, exec_lo, s11
	v_dual_lshlrev_b32 v24, 16, v24 :: v_dual_lshlrev_b32 v1, 16, v1
	s_delay_alu instid0(VALU_DEP_2) | instskip(NEXT) | instid1(VALU_DEP_2)
	v_lshlrev_b32_e32 v37, 16, v37
	v_and_or_b32 v2, 0xffff, v2, v24
	s_delay_alu instid0(VALU_DEP_3) | instskip(NEXT) | instid1(VALU_DEP_3)
	v_and_or_b32 v1, 0xffff, v3, v1
	v_and_or_b32 v3, 0xffff, v4, v37
	;;#ASMSTART
	v_pk_mul_f16 v2, v39, v2;

	;;#ASMEND
	;;#ASMSTART
	v_pk_mul_f16 v1, v38, v1;

	;;#ASMEND
	;; [unrolled: 4-line block ×4, first 2 shown]
	;;#ASMSTART
	v_pk_add_f16 v1, v2, v1;

	;;#ASMEND
	;;#ASMSTART
	v_pk_add_f16 v1, v1, v3;

	;;#ASMEND
	;; [unrolled: 4-line block ×3, first 2 shown]
	v_and_b32_e32 v2, 0xffff, v1
	v_lshrrev_b32_e32 v1, 16, v1
	;;#ASMSTART
	v_cvt_f32_f16 v48, v2;
	;;#ASMEND
	;;#ASMSTART
	v_cvt_f32_f16 v49, v1;
	;;#ASMEND
	global_load_b128 v[2:5], v[22:23], off offset:2048
	s_wait_loadcnt 0x0
	v_dual_lshrrev_b32 v1, 16, v3 :: v_dual_lshrrev_b32 v24, 16, v2
	v_lshrrev_b32_e32 v37, 16, v4
	s_and_saveexec_b32 s11, vcc_lo
	s_cbranch_execz .LBB88_50
; %bb.49:                               ;   in Loop: Header=BB88_40 Depth=1
	v_cmp_gt_i32_e64 s0, s21, v27
	v_and_b32_e32 v50, 0xffff, v5
	v_and_b32_e32 v5, 0xffff0000, v5
	s_delay_alu instid0(VALU_DEP_3) | instskip(SKIP_1) | instid1(VALU_DEP_1)
	v_cndmask_b32_e64 v2, 0, v2, s0
	v_cmp_gt_i32_e64 s0, s21, v35
	v_cndmask_b32_e64 v3, 0, v3, s0
	v_cmp_gt_i32_e64 s0, s10, v36
	s_delay_alu instid0(VALU_DEP_1) | instskip(SKIP_1) | instid1(VALU_DEP_1)
	v_cndmask_b32_e64 v1, 0, v1, s0
	v_cmp_gt_i32_e64 s0, s21, v34
	v_cndmask_b32_e64 v24, 0, v24, s0
	v_cmp_gt_i32_e64 s0, s21, v33
	s_delay_alu instid0(VALU_DEP_1) | instskip(SKIP_1) | instid1(VALU_DEP_1)
	;; [unrolled: 5-line block ×3, first 2 shown]
	v_dual_cndmask_b32 v4, 0, v4, s0 :: v_dual_bitop2_b32 v5, v50, v5 bitop3:0x54
	v_cmp_gt_i32_e64 s0, s21, v30
	v_cndmask_b32_e64 v37, 0, v37, s0
.LBB88_50:                              ;   in Loop: Header=BB88_40 Depth=1
	s_or_b32 exec_lo, exec_lo, s11
	v_dual_lshlrev_b32 v24, 16, v24 :: v_dual_lshlrev_b32 v1, 16, v1
	s_delay_alu instid0(VALU_DEP_2) | instskip(NEXT) | instid1(VALU_DEP_2)
	v_lshlrev_b32_e32 v37, 16, v37
	v_and_or_b32 v2, 0xffff, v2, v24
	s_delay_alu instid0(VALU_DEP_3) | instskip(NEXT) | instid1(VALU_DEP_3)
	v_and_or_b32 v1, 0xffff, v3, v1
	v_and_or_b32 v3, 0xffff, v4, v37
	;;#ASMSTART
	v_pk_mul_f16 v2, v39, v2;

	;;#ASMEND
	;;#ASMSTART
	v_pk_mul_f16 v1, v38, v1;

	;;#ASMEND
	;; [unrolled: 4-line block ×4, first 2 shown]
	;;#ASMSTART
	v_pk_add_f16 v1, v2, v1;

	;;#ASMEND
	;;#ASMSTART
	v_pk_add_f16 v1, v1, v3;

	;;#ASMEND
	;; [unrolled: 4-line block ×3, first 2 shown]
	v_and_b32_e32 v2, 0xffff, v1
	v_lshrrev_b32_e32 v1, 16, v1
	;;#ASMSTART
	v_cvt_f32_f16 v50, v2;
	;;#ASMEND
	;;#ASMSTART
	v_cvt_f32_f16 v51, v1;
	;;#ASMEND
	global_load_b128 v[2:5], v[22:23], off offset:2560
	s_wait_loadcnt 0x0
	v_dual_lshrrev_b32 v1, 16, v3 :: v_dual_lshrrev_b32 v24, 16, v2
	v_lshrrev_b32_e32 v37, 16, v4
	s_and_saveexec_b32 s11, vcc_lo
	s_cbranch_execz .LBB88_52
; %bb.51:                               ;   in Loop: Header=BB88_40 Depth=1
	v_cmp_gt_i32_e64 s0, s21, v27
	v_and_b32_e32 v52, 0xffff, v5
	v_and_b32_e32 v5, 0xffff0000, v5
	s_delay_alu instid0(VALU_DEP_3) | instskip(SKIP_1) | instid1(VALU_DEP_1)
	v_cndmask_b32_e64 v2, 0, v2, s0
	v_cmp_gt_i32_e64 s0, s21, v35
	v_cndmask_b32_e64 v3, 0, v3, s0
	v_cmp_gt_i32_e64 s0, s10, v36
	s_delay_alu instid0(VALU_DEP_1) | instskip(SKIP_1) | instid1(VALU_DEP_1)
	v_cndmask_b32_e64 v1, 0, v1, s0
	v_cmp_gt_i32_e64 s0, s21, v34
	v_cndmask_b32_e64 v24, 0, v24, s0
	v_cmp_gt_i32_e64 s0, s21, v33
	s_delay_alu instid0(VALU_DEP_1) | instskip(SKIP_1) | instid1(VALU_DEP_1)
	;; [unrolled: 5-line block ×3, first 2 shown]
	v_dual_cndmask_b32 v4, 0, v4, s0 :: v_dual_bitop2_b32 v5, v52, v5 bitop3:0x54
	v_cmp_gt_i32_e64 s0, s21, v30
	v_cndmask_b32_e64 v37, 0, v37, s0
.LBB88_52:                              ;   in Loop: Header=BB88_40 Depth=1
	s_or_b32 exec_lo, exec_lo, s11
	v_dual_lshlrev_b32 v24, 16, v24 :: v_dual_lshlrev_b32 v1, 16, v1
	s_delay_alu instid0(VALU_DEP_2) | instskip(NEXT) | instid1(VALU_DEP_2)
	v_lshlrev_b32_e32 v37, 16, v37
	v_and_or_b32 v2, 0xffff, v2, v24
	s_delay_alu instid0(VALU_DEP_3) | instskip(NEXT) | instid1(VALU_DEP_3)
	v_and_or_b32 v1, 0xffff, v3, v1
	v_and_or_b32 v3, 0xffff, v4, v37
	;;#ASMSTART
	v_pk_mul_f16 v2, v39, v2;

	;;#ASMEND
	;;#ASMSTART
	v_pk_mul_f16 v1, v38, v1;

	;;#ASMEND
	;;#ASMSTART
	v_pk_mul_f16 v3, v40, v3;

	;;#ASMEND
	;;#ASMSTART
	v_pk_mul_f16 v4, v41, v5;

	;;#ASMEND
	;;#ASMSTART
	v_pk_add_f16 v1, v2, v1;

	;;#ASMEND
	;;#ASMSTART
	v_pk_add_f16 v1, v1, v3;

	;;#ASMEND
	;; [unrolled: 4-line block ×3, first 2 shown]
	v_and_b32_e32 v2, 0xffff, v1
	v_lshrrev_b32_e32 v1, 16, v1
	;;#ASMSTART
	v_cvt_f32_f16 v52, v2;
	;;#ASMEND
	;;#ASMSTART
	v_cvt_f32_f16 v53, v1;
	;;#ASMEND
	global_load_b128 v[2:5], v[22:23], off offset:3072
	s_wait_loadcnt 0x0
	v_dual_lshrrev_b32 v1, 16, v3 :: v_dual_lshrrev_b32 v24, 16, v2
	v_lshrrev_b32_e32 v37, 16, v4
	s_and_saveexec_b32 s11, vcc_lo
	s_cbranch_execz .LBB88_54
; %bb.53:                               ;   in Loop: Header=BB88_40 Depth=1
	v_cmp_gt_i32_e64 s0, s21, v27
	v_and_b32_e32 v57, 0xffff, v5
	v_and_b32_e32 v5, 0xffff0000, v5
	s_delay_alu instid0(VALU_DEP_3) | instskip(SKIP_1) | instid1(VALU_DEP_1)
	v_cndmask_b32_e64 v2, 0, v2, s0
	v_cmp_gt_i32_e64 s0, s21, v35
	v_cndmask_b32_e64 v3, 0, v3, s0
	v_cmp_gt_i32_e64 s0, s10, v36
	s_delay_alu instid0(VALU_DEP_1) | instskip(SKIP_1) | instid1(VALU_DEP_1)
	v_cndmask_b32_e64 v1, 0, v1, s0
	v_cmp_gt_i32_e64 s0, s21, v34
	v_cndmask_b32_e64 v24, 0, v24, s0
	v_cmp_gt_i32_e64 s0, s21, v33
	s_delay_alu instid0(VALU_DEP_1) | instskip(SKIP_1) | instid1(VALU_DEP_1)
	v_cndmask_b32_e64 v57, 0, v57, s0
	v_cmp_gt_i32_e64 s0, s21, v32
	v_cndmask_b32_e64 v5, 0, v5, s0
	v_cmp_gt_i32_e64 s0, s21, v31
	s_delay_alu instid0(VALU_DEP_1) | instskip(SKIP_1) | instid1(VALU_DEP_4)
	v_cndmask_b32_e64 v4, 0, v4, s0
	v_cmp_gt_i32_e64 s0, s21, v30
	v_or_b32_e32 v5, v57, v5
	s_delay_alu instid0(VALU_DEP_2)
	v_cndmask_b32_e64 v37, 0, v37, s0
.LBB88_54:                              ;   in Loop: Header=BB88_40 Depth=1
	s_or_b32 exec_lo, exec_lo, s11
	v_dual_lshlrev_b32 v24, 16, v24 :: v_dual_lshlrev_b32 v1, 16, v1
	s_delay_alu instid0(VALU_DEP_2) | instskip(NEXT) | instid1(VALU_DEP_2)
	v_lshlrev_b32_e32 v37, 16, v37
	v_and_or_b32 v2, 0xffff, v2, v24
	s_delay_alu instid0(VALU_DEP_3) | instskip(NEXT) | instid1(VALU_DEP_3)
	v_and_or_b32 v1, 0xffff, v3, v1
	v_and_or_b32 v3, 0xffff, v4, v37
	;;#ASMSTART
	v_pk_mul_f16 v2, v39, v2;

	;;#ASMEND
	;;#ASMSTART
	v_pk_mul_f16 v1, v38, v1;

	;;#ASMEND
	;; [unrolled: 4-line block ×4, first 2 shown]
	;;#ASMSTART
	v_pk_add_f16 v1, v2, v1;

	;;#ASMEND
	;;#ASMSTART
	v_pk_add_f16 v1, v1, v3;

	;;#ASMEND
	;; [unrolled: 4-line block ×3, first 2 shown]
	v_and_b32_e32 v2, 0xffff, v1
	v_lshrrev_b32_e32 v1, 16, v1
	;;#ASMSTART
	v_cvt_f32_f16 v57, v2;
	;;#ASMEND
	;;#ASMSTART
	v_cvt_f32_f16 v58, v1;
	;;#ASMEND
	global_load_b128 v[2:5], v[22:23], off offset:3584
	s_wait_loadcnt 0x0
	v_dual_lshrrev_b32 v1, 16, v3 :: v_dual_lshrrev_b32 v24, 16, v2
	v_lshrrev_b32_e32 v37, 16, v4
	s_and_saveexec_b32 s11, vcc_lo
	s_cbranch_execz .LBB88_56
; %bb.55:                               ;   in Loop: Header=BB88_40 Depth=1
	v_cmp_gt_i32_e64 s0, s21, v27
	v_and_b32_e32 v59, 0xffff, v5
	v_and_b32_e32 v5, 0xffff0000, v5
	s_delay_alu instid0(VALU_DEP_3) | instskip(SKIP_1) | instid1(VALU_DEP_1)
	v_cndmask_b32_e64 v2, 0, v2, s0
	v_cmp_gt_i32_e64 s0, s21, v35
	v_cndmask_b32_e64 v3, 0, v3, s0
	v_cmp_gt_i32_e64 s0, s10, v36
	s_delay_alu instid0(VALU_DEP_1) | instskip(SKIP_1) | instid1(VALU_DEP_1)
	v_cndmask_b32_e64 v1, 0, v1, s0
	v_cmp_gt_i32_e64 s0, s21, v34
	v_cndmask_b32_e64 v24, 0, v24, s0
	v_cmp_gt_i32_e64 s0, s21, v33
	s_delay_alu instid0(VALU_DEP_1) | instskip(SKIP_1) | instid1(VALU_DEP_1)
	;; [unrolled: 5-line block ×3, first 2 shown]
	v_dual_cndmask_b32 v4, 0, v4, s0 :: v_dual_bitop2_b32 v5, v59, v5 bitop3:0x54
	v_cmp_gt_i32_e64 s0, s21, v30
	v_cndmask_b32_e64 v37, 0, v37, s0
.LBB88_56:                              ;   in Loop: Header=BB88_40 Depth=1
	s_or_b32 exec_lo, exec_lo, s11
	v_dual_lshlrev_b32 v24, 16, v24 :: v_dual_lshlrev_b32 v1, 16, v1
	s_delay_alu instid0(VALU_DEP_2) | instskip(NEXT) | instid1(VALU_DEP_2)
	v_lshlrev_b32_e32 v37, 16, v37
	v_and_or_b32 v2, 0xffff, v2, v24
	s_delay_alu instid0(VALU_DEP_3) | instskip(NEXT) | instid1(VALU_DEP_3)
	v_and_or_b32 v1, 0xffff, v3, v1
	v_and_or_b32 v3, 0xffff, v4, v37
	;;#ASMSTART
	v_pk_mul_f16 v2, v39, v2;

	;;#ASMEND
	;;#ASMSTART
	v_pk_mul_f16 v1, v38, v1;

	;;#ASMEND
	;;#ASMSTART
	v_pk_mul_f16 v3, v40, v3;

	;;#ASMEND
	;;#ASMSTART
	v_pk_mul_f16 v4, v41, v5;

	;;#ASMEND
	;;#ASMSTART
	v_pk_add_f16 v1, v2, v1;

	;;#ASMEND
	;;#ASMSTART
	v_pk_add_f16 v1, v1, v3;

	;;#ASMEND
	;; [unrolled: 4-line block ×3, first 2 shown]
	v_and_b32_e32 v2, 0xffff, v1
	v_lshrrev_b32_e32 v1, 16, v1
	;;#ASMSTART
	v_cvt_f32_f16 v59, v2;
	;;#ASMEND
	;;#ASMSTART
	v_cvt_f32_f16 v60, v1;
	;;#ASMEND
	global_load_b128 v[2:5], v[22:23], off offset:4096
	s_wait_loadcnt 0x0
	v_dual_lshrrev_b32 v1, 16, v3 :: v_dual_lshrrev_b32 v24, 16, v2
	v_lshrrev_b32_e32 v37, 16, v4
	s_and_saveexec_b32 s11, vcc_lo
	s_cbranch_execz .LBB88_58
; %bb.57:                               ;   in Loop: Header=BB88_40 Depth=1
	v_cmp_gt_i32_e64 s0, s21, v27
	v_and_b32_e32 v61, 0xffff, v5
	v_and_b32_e32 v5, 0xffff0000, v5
	s_delay_alu instid0(VALU_DEP_3) | instskip(SKIP_1) | instid1(VALU_DEP_1)
	v_cndmask_b32_e64 v2, 0, v2, s0
	v_cmp_gt_i32_e64 s0, s21, v35
	v_cndmask_b32_e64 v3, 0, v3, s0
	v_cmp_gt_i32_e64 s0, s10, v36
	s_delay_alu instid0(VALU_DEP_1) | instskip(SKIP_1) | instid1(VALU_DEP_1)
	v_cndmask_b32_e64 v1, 0, v1, s0
	v_cmp_gt_i32_e64 s0, s21, v34
	v_cndmask_b32_e64 v24, 0, v24, s0
	v_cmp_gt_i32_e64 s0, s21, v33
	s_delay_alu instid0(VALU_DEP_1) | instskip(SKIP_1) | instid1(VALU_DEP_1)
	v_cndmask_b32_e64 v61, 0, v61, s0
	v_cmp_gt_i32_e64 s0, s21, v32
	v_cndmask_b32_e64 v5, 0, v5, s0
	v_cmp_gt_i32_e64 s0, s21, v31
	s_delay_alu instid0(VALU_DEP_1) | instskip(SKIP_1) | instid1(VALU_DEP_4)
	v_cndmask_b32_e64 v4, 0, v4, s0
	v_cmp_gt_i32_e64 s0, s21, v30
	v_or_b32_e32 v5, v61, v5
	s_delay_alu instid0(VALU_DEP_2)
	v_cndmask_b32_e64 v37, 0, v37, s0
.LBB88_58:                              ;   in Loop: Header=BB88_40 Depth=1
	s_or_b32 exec_lo, exec_lo, s11
	v_dual_lshlrev_b32 v24, 16, v24 :: v_dual_lshlrev_b32 v1, 16, v1
	s_delay_alu instid0(VALU_DEP_2) | instskip(NEXT) | instid1(VALU_DEP_2)
	v_lshlrev_b32_e32 v37, 16, v37
	v_and_or_b32 v2, 0xffff, v2, v24
	s_delay_alu instid0(VALU_DEP_3) | instskip(NEXT) | instid1(VALU_DEP_3)
	v_and_or_b32 v1, 0xffff, v3, v1
	v_and_or_b32 v3, 0xffff, v4, v37
	;;#ASMSTART
	v_pk_mul_f16 v2, v39, v2;

	;;#ASMEND
	;;#ASMSTART
	v_pk_mul_f16 v1, v38, v1;

	;;#ASMEND
	;;#ASMSTART
	v_pk_mul_f16 v3, v40, v3;

	;;#ASMEND
	;;#ASMSTART
	v_pk_mul_f16 v4, v41, v5;

	;;#ASMEND
	;;#ASMSTART
	v_pk_add_f16 v1, v2, v1;

	;;#ASMEND
	;;#ASMSTART
	v_pk_add_f16 v1, v1, v3;

	;;#ASMEND
	;; [unrolled: 4-line block ×3, first 2 shown]
	v_and_b32_e32 v2, 0xffff, v1
	v_lshrrev_b32_e32 v1, 16, v1
	;;#ASMSTART
	v_cvt_f32_f16 v61, v2;
	;;#ASMEND
	;;#ASMSTART
	v_cvt_f32_f16 v62, v1;
	;;#ASMEND
	global_load_b128 v[2:5], v[22:23], off offset:4608
	s_wait_loadcnt 0x0
	v_dual_lshrrev_b32 v1, 16, v3 :: v_dual_lshrrev_b32 v24, 16, v2
	v_lshrrev_b32_e32 v37, 16, v4
	s_and_saveexec_b32 s11, vcc_lo
	s_cbranch_execz .LBB88_60
; %bb.59:                               ;   in Loop: Header=BB88_40 Depth=1
	v_cmp_gt_i32_e64 s0, s21, v27
	v_and_b32_e32 v63, 0xffff, v5
	v_and_b32_e32 v5, 0xffff0000, v5
	s_delay_alu instid0(VALU_DEP_3) | instskip(SKIP_1) | instid1(VALU_DEP_1)
	v_cndmask_b32_e64 v2, 0, v2, s0
	v_cmp_gt_i32_e64 s0, s21, v35
	v_cndmask_b32_e64 v3, 0, v3, s0
	v_cmp_gt_i32_e64 s0, s10, v36
	s_delay_alu instid0(VALU_DEP_1) | instskip(SKIP_1) | instid1(VALU_DEP_1)
	v_cndmask_b32_e64 v1, 0, v1, s0
	v_cmp_gt_i32_e64 s0, s21, v34
	v_cndmask_b32_e64 v24, 0, v24, s0
	v_cmp_gt_i32_e64 s0, s21, v33
	s_delay_alu instid0(VALU_DEP_1) | instskip(SKIP_1) | instid1(VALU_DEP_1)
	;; [unrolled: 5-line block ×3, first 2 shown]
	v_dual_cndmask_b32 v4, 0, v4, s0 :: v_dual_bitop2_b32 v5, v63, v5 bitop3:0x54
	v_cmp_gt_i32_e64 s0, s21, v30
	v_cndmask_b32_e64 v37, 0, v37, s0
.LBB88_60:                              ;   in Loop: Header=BB88_40 Depth=1
	s_or_b32 exec_lo, exec_lo, s11
	v_dual_lshlrev_b32 v24, 16, v24 :: v_dual_lshlrev_b32 v1, 16, v1
	s_delay_alu instid0(VALU_DEP_2) | instskip(NEXT) | instid1(VALU_DEP_2)
	v_lshlrev_b32_e32 v37, 16, v37
	v_and_or_b32 v2, 0xffff, v2, v24
	s_delay_alu instid0(VALU_DEP_3) | instskip(NEXT) | instid1(VALU_DEP_3)
	v_and_or_b32 v1, 0xffff, v3, v1
	v_and_or_b32 v3, 0xffff, v4, v37
	;;#ASMSTART
	v_pk_mul_f16 v2, v39, v2;

	;;#ASMEND
	;;#ASMSTART
	v_pk_mul_f16 v1, v38, v1;

	;;#ASMEND
	;; [unrolled: 4-line block ×4, first 2 shown]
	;;#ASMSTART
	v_pk_add_f16 v1, v2, v1;

	;;#ASMEND
	;;#ASMSTART
	v_pk_add_f16 v1, v1, v3;

	;;#ASMEND
	;; [unrolled: 4-line block ×3, first 2 shown]
	v_and_b32_e32 v2, 0xffff, v1
	v_lshrrev_b32_e32 v1, 16, v1
	;;#ASMSTART
	v_cvt_f32_f16 v63, v2;
	;;#ASMEND
	;;#ASMSTART
	v_cvt_f32_f16 v64, v1;
	;;#ASMEND
	global_load_b128 v[2:5], v[22:23], off offset:5120
	s_wait_loadcnt 0x0
	v_dual_lshrrev_b32 v1, 16, v3 :: v_dual_lshrrev_b32 v24, 16, v2
	v_lshrrev_b32_e32 v37, 16, v4
	s_and_saveexec_b32 s11, vcc_lo
	s_cbranch_execz .LBB88_62
; %bb.61:                               ;   in Loop: Header=BB88_40 Depth=1
	v_cmp_gt_i32_e64 s0, s21, v27
	v_and_b32_e32 v65, 0xffff, v5
	v_and_b32_e32 v5, 0xffff0000, v5
	s_delay_alu instid0(VALU_DEP_3) | instskip(SKIP_1) | instid1(VALU_DEP_1)
	v_cndmask_b32_e64 v2, 0, v2, s0
	v_cmp_gt_i32_e64 s0, s21, v35
	v_cndmask_b32_e64 v3, 0, v3, s0
	v_cmp_gt_i32_e64 s0, s10, v36
	s_delay_alu instid0(VALU_DEP_1) | instskip(SKIP_1) | instid1(VALU_DEP_1)
	v_cndmask_b32_e64 v1, 0, v1, s0
	v_cmp_gt_i32_e64 s0, s21, v34
	v_cndmask_b32_e64 v24, 0, v24, s0
	v_cmp_gt_i32_e64 s0, s21, v33
	s_delay_alu instid0(VALU_DEP_1) | instskip(SKIP_1) | instid1(VALU_DEP_1)
	v_cndmask_b32_e64 v65, 0, v65, s0
	v_cmp_gt_i32_e64 s0, s21, v32
	v_cndmask_b32_e64 v5, 0, v5, s0
	v_cmp_gt_i32_e64 s0, s21, v31
	s_delay_alu instid0(VALU_DEP_1) | instskip(SKIP_1) | instid1(VALU_DEP_4)
	v_cndmask_b32_e64 v4, 0, v4, s0
	v_cmp_gt_i32_e64 s0, s21, v30
	v_or_b32_e32 v5, v65, v5
	s_delay_alu instid0(VALU_DEP_2)
	v_cndmask_b32_e64 v37, 0, v37, s0
.LBB88_62:                              ;   in Loop: Header=BB88_40 Depth=1
	s_or_b32 exec_lo, exec_lo, s11
	v_dual_lshlrev_b32 v24, 16, v24 :: v_dual_lshlrev_b32 v1, 16, v1
	s_delay_alu instid0(VALU_DEP_2) | instskip(NEXT) | instid1(VALU_DEP_2)
	v_lshlrev_b32_e32 v37, 16, v37
	v_and_or_b32 v2, 0xffff, v2, v24
	s_delay_alu instid0(VALU_DEP_3) | instskip(NEXT) | instid1(VALU_DEP_3)
	v_and_or_b32 v1, 0xffff, v3, v1
	v_and_or_b32 v3, 0xffff, v4, v37
	;;#ASMSTART
	v_pk_mul_f16 v2, v39, v2;

	;;#ASMEND
	;;#ASMSTART
	v_pk_mul_f16 v1, v38, v1;

	;;#ASMEND
	;; [unrolled: 4-line block ×4, first 2 shown]
	;;#ASMSTART
	v_pk_add_f16 v1, v2, v1;

	;;#ASMEND
	;;#ASMSTART
	v_pk_add_f16 v1, v1, v3;

	;;#ASMEND
	;; [unrolled: 4-line block ×3, first 2 shown]
	v_and_b32_e32 v2, 0xffff, v1
	v_lshrrev_b32_e32 v1, 16, v1
	;;#ASMSTART
	v_cvt_f32_f16 v24, v2;
	;;#ASMEND
	;;#ASMSTART
	v_cvt_f32_f16 v37, v1;
	;;#ASMEND
	global_load_b128 v[2:5], v[22:23], off offset:5632
	s_wait_loadcnt 0x0
	v_dual_lshrrev_b32 v1, 16, v3 :: v_dual_lshrrev_b32 v22, 16, v2
	v_lshrrev_b32_e32 v23, 16, v4
	s_and_saveexec_b32 s0, vcc_lo
	s_cbranch_execz .LBB88_39
; %bb.63:                               ;   in Loop: Header=BB88_40 Depth=1
	v_cmp_gt_i32_e32 vcc_lo, s21, v27
	v_cndmask_b32_e32 v2, 0, v2, vcc_lo
	v_cmp_gt_i32_e32 vcc_lo, s21, v35
	v_and_b32_e32 v35, 0xffff, v5
	v_and_b32_e32 v5, 0xffff0000, v5
	v_cndmask_b32_e32 v3, 0, v3, vcc_lo
	v_cmp_gt_i32_e32 vcc_lo, s10, v36
	v_cndmask_b32_e32 v1, 0, v1, vcc_lo
	v_cmp_gt_i32_e32 vcc_lo, s21, v34
	;; [unrolled: 2-line block ×5, first 2 shown]
	s_delay_alu instid0(VALU_DEP_2)
	v_dual_cndmask_b32 v4, 0, v4, vcc_lo :: v_dual_bitop2_b32 v5, v33, v5 bitop3:0x54
	v_cmp_gt_i32_e32 vcc_lo, s21, v30
	v_cndmask_b32_e32 v23, 0, v23, vcc_lo
	s_branch .LBB88_39
.LBB88_64:
	s_or_b32 exec_lo, exec_lo, s5
.LBB88_65:
	s_delay_alu instid0(SALU_CYCLE_1)
	s_or_b32 exec_lo, exec_lo, s1
	ds_bpermute_b32 v2, v26, v16
	ds_bpermute_b32 v3, v26, v17
	ds_bpermute_b32 v4, v26, v14
	ds_bpermute_b32 v5, v26, v15
	ds_bpermute_b32 v20, v26, v12
	ds_bpermute_b32 v21, v26, v13
	ds_bpermute_b32 v22, v26, v10
	ds_bpermute_b32 v23, v26, v11
	ds_bpermute_b32 v28, v26, v8
	ds_bpermute_b32 v29, v26, v9
	v_lshrrev_b32_e32 v1, 1, v25
	v_and_b32_e32 v24, 0x3c1, v0
	s_mov_b32 s0, exec_lo
	ds_bpermute_b32 v18, v26, v6
	ds_bpermute_b32 v19, v26, v7
	s_wait_dscnt 0x0
	s_barrier_signal -1
	s_barrier_wait -1
	v_pk_add_f32 v[16:17], v[16:17], v[2:3]
	v_pk_add_f32 v[14:15], v[14:15], v[4:5]
	;; [unrolled: 1-line block ×5, first 2 shown]
	v_cmpx_ne_u32_e32 64, v24
	s_xor_b32 s0, exec_lo, s0
	s_delay_alu instid0(SALU_CYCLE_1)
	s_or_saveexec_b32 s0, s0
	v_pk_add_f32 v[6:7], v[6:7], v[18:19]
	v_lshl_add_u32 v8, v1, 2, 0x1a0
	v_mul_u32_u24_e32 v9, 0x300, v56
	s_xor_b32 exec_lo, exec_lo, s0
	s_cbranch_execz .LBB88_67
; %bb.66:
	s_delay_alu instid0(VALU_DEP_1) | instskip(NEXT) | instid1(VALU_DEP_1)
	v_add_nc_u32_e32 v10, v8, v9
	v_add_nc_u32_e32 v11, 0xfffffa00, v10
	;; [unrolled: 1-line block ×13, first 2 shown]
	ds_store_b32 v11, v16
	ds_store_b32 v18, v17
	;; [unrolled: 1-line block ×12, first 2 shown]
.LBB88_67:
	s_or_b32 exec_lo, exec_lo, s0
	v_lshlrev_b32_e32 v1, 2, v1
	s_mov_b32 s1, exec_lo
	v_cmp_eq_u32_e32 vcc_lo, 0, v55
	s_wait_dscnt 0x0
	s_barrier_signal -1
	v_add3_u32 v1, 0x1a0, v9, v1
	s_barrier_wait -1
	v_cmpx_gt_u32_e32 64, v0
	s_cbranch_execz .LBB88_82
; %bb.68:
	s_and_saveexec_b32 s0, vcc_lo
	s_cbranch_execnz .LBB88_102
; %bb.69:
	s_or_b32 exec_lo, exec_lo, s0
	s_and_saveexec_b32 s0, vcc_lo
	s_cbranch_execnz .LBB88_103
.LBB88_70:
	s_or_b32 exec_lo, exec_lo, s0
	s_and_saveexec_b32 s0, vcc_lo
	s_cbranch_execnz .LBB88_104
.LBB88_71:
	s_or_b32 exec_lo, exec_lo, s0
	s_and_saveexec_b32 s0, vcc_lo
	s_cbranch_execnz .LBB88_105
.LBB88_72:
	s_or_b32 exec_lo, exec_lo, s0
	s_and_saveexec_b32 s0, vcc_lo
	s_cbranch_execnz .LBB88_106
.LBB88_73:
	s_or_b32 exec_lo, exec_lo, s0
	s_and_saveexec_b32 s0, vcc_lo
	s_cbranch_execnz .LBB88_107
.LBB88_74:
	s_or_b32 exec_lo, exec_lo, s0
	s_and_saveexec_b32 s0, vcc_lo
	s_cbranch_execnz .LBB88_108
.LBB88_75:
	s_or_b32 exec_lo, exec_lo, s0
	s_and_saveexec_b32 s0, vcc_lo
	s_cbranch_execnz .LBB88_109
.LBB88_76:
	s_or_b32 exec_lo, exec_lo, s0
	s_and_saveexec_b32 s0, vcc_lo
	s_cbranch_execnz .LBB88_110
.LBB88_77:
	s_or_b32 exec_lo, exec_lo, s0
	s_and_saveexec_b32 s0, vcc_lo
	s_cbranch_execnz .LBB88_111
.LBB88_78:
	s_or_b32 exec_lo, exec_lo, s0
	s_and_saveexec_b32 s0, vcc_lo
	s_cbranch_execnz .LBB88_112
.LBB88_79:
	s_or_b32 exec_lo, exec_lo, s0
	s_and_saveexec_b32 s0, vcc_lo
	s_cbranch_execz .LBB88_81
.LBB88_80:
	ds_load_b32 v9, v1 offset:704
	s_wait_dscnt 0x0
	v_add_f32_e32 v7, v7, v9
.LBB88_81:
	s_or_b32 exec_lo, exec_lo, s0
.LBB88_82:
	s_delay_alu instid0(SALU_CYCLE_1) | instskip(SKIP_4) | instid1(VALU_DEP_1)
	s_or_b32 exec_lo, exec_lo, s1
	v_and_b32_e32 v9, 0x3e1, v0
	s_mov_b32 s1, exec_lo
	s_barrier_signal -1
	s_barrier_wait -1
	v_cmpx_eq_u32_e32 32, v9
	s_cbranch_execz .LBB88_84
; %bb.83:
	ds_store_2addr_b32 v8, v16, v17 offset1:16
	ds_store_2addr_b32 v8, v14, v15 offset0:32 offset1:48
	ds_store_2addr_b32 v8, v12, v13 offset0:64 offset1:80
	;; [unrolled: 1-line block ×5, first 2 shown]
.LBB88_84:
	s_or_b32 exec_lo, exec_lo, s1
	s_delay_alu instid0(SALU_CYCLE_1)
	s_mov_b32 s1, exec_lo
	s_wait_dscnt 0x0
	s_barrier_signal -1
	s_barrier_wait -1
	v_cmpx_gt_u32_e32 32, v0
	s_cbranch_execz .LBB88_99
; %bb.85:
	s_and_saveexec_b32 s0, vcc_lo
	s_cbranch_execnz .LBB88_113
; %bb.86:
	s_or_b32 exec_lo, exec_lo, s0
	s_and_saveexec_b32 s0, vcc_lo
	s_cbranch_execnz .LBB88_114
.LBB88_87:
	s_or_b32 exec_lo, exec_lo, s0
	s_and_saveexec_b32 s0, vcc_lo
	s_cbranch_execnz .LBB88_115
.LBB88_88:
	s_or_b32 exec_lo, exec_lo, s0
	s_and_saveexec_b32 s0, vcc_lo
	s_cbranch_execnz .LBB88_116
.LBB88_89:
	s_or_b32 exec_lo, exec_lo, s0
	s_and_saveexec_b32 s0, vcc_lo
	s_cbranch_execnz .LBB88_117
.LBB88_90:
	s_or_b32 exec_lo, exec_lo, s0
	s_and_saveexec_b32 s0, vcc_lo
	s_cbranch_execnz .LBB88_118
.LBB88_91:
	s_or_b32 exec_lo, exec_lo, s0
	s_and_saveexec_b32 s0, vcc_lo
	s_cbranch_execnz .LBB88_119
.LBB88_92:
	s_or_b32 exec_lo, exec_lo, s0
	s_and_saveexec_b32 s0, vcc_lo
	s_cbranch_execnz .LBB88_120
.LBB88_93:
	s_or_b32 exec_lo, exec_lo, s0
	s_and_saveexec_b32 s0, vcc_lo
	s_cbranch_execnz .LBB88_121
.LBB88_94:
	s_or_b32 exec_lo, exec_lo, s0
	s_and_saveexec_b32 s0, vcc_lo
	s_cbranch_execnz .LBB88_122
.LBB88_95:
	s_or_b32 exec_lo, exec_lo, s0
	s_and_saveexec_b32 s0, vcc_lo
	s_cbranch_execnz .LBB88_123
.LBB88_96:
	s_or_b32 exec_lo, exec_lo, s0
	s_and_saveexec_b32 s0, vcc_lo
	s_cbranch_execz .LBB88_98
.LBB88_97:
	ds_load_b32 v0, v1 offset:704
	s_wait_dscnt 0x0
	v_add_f32_e32 v7, v7, v0
.LBB88_98:
	s_or_b32 exec_lo, exec_lo, s0
.LBB88_99:
	s_delay_alu instid0(SALU_CYCLE_1)
	s_or_b32 exec_lo, exec_lo, s1
	s_mov_b32 s1, 0
	s_barrier_signal -1
	s_barrier_wait -1
	s_mov_b32 s0, exec_lo
	v_cmpx_eq_u32_e32 0, v9
	s_cbranch_execz .LBB88_101
; %bb.100:
	s_wait_kmcnt 0x0
	s_mul_i32 s0, s20, s9
	s_mul_i32 s2, s9, s8
	;; [unrolled: 1-line block ×3, first 2 shown]
	s_lshr_b32 s8, ttmp7, 16
	s_mul_i32 s4, s0, 0xc0
	s_bfe_u32 s0, ttmp6, 0x40014
	s_ashr_i32 s5, s4, 31
	s_add_co_i32 s0, s0, 1
	s_ashr_i32 s3, s2, 31
	s_mul_i32 s0, s8, s0
	s_bfe_u32 s9, ttmp6, 0x40008
	s_lshl_b64 s[4:5], s[4:5], 1
	s_lshl_b64 s[2:3], s[2:3], 1
	s_add_co_i32 s9, s9, s0
	s_cmp_eq_u32 s18, 0
	s_add_nc_u64 s[4:5], s[6:7], s[4:5]
	s_cselect_b32 s0, s8, s9
	s_add_nc_u64 s[2:3], s[4:5], s[2:3]
	s_mulk_i32 s0, 0x180
	;;#ASMSTART
	v_cvt_f16_f32 v0, v16;

	;;#ASMEND
	s_add_nc_u64 s[0:1], s[2:3], s[0:1]
	global_store_b16 v54, v0, s[0:1] scale_offset
	s_wait_xcnt 0x0
	;;#ASMSTART
	v_cvt_f16_f32 v0, v17;

	;;#ASMEND
	global_store_b16 v54, v0, s[0:1] offset:32 scale_offset
	s_wait_xcnt 0x0
	;;#ASMSTART
	v_cvt_f16_f32 v0, v14;

	;;#ASMEND
	global_store_b16 v54, v0, s[0:1] offset:64 scale_offset
	;; [unrolled: 6-line block ×11, first 2 shown]
.LBB88_101:
	s_sendmsg sendmsg(MSG_DEALLOC_VGPRS)
	s_endpgm
.LBB88_102:
	ds_load_b32 v9, v1
	s_wait_dscnt 0x0
	v_add_f32_e32 v16, v16, v9
	s_or_b32 exec_lo, exec_lo, s0
	s_and_saveexec_b32 s0, vcc_lo
	s_cbranch_execz .LBB88_70
.LBB88_103:
	ds_load_b32 v9, v1 offset:64
	s_wait_dscnt 0x0
	v_add_f32_e32 v17, v17, v9
	s_or_b32 exec_lo, exec_lo, s0
	s_and_saveexec_b32 s0, vcc_lo
	s_cbranch_execz .LBB88_71
.LBB88_104:
	ds_load_b32 v9, v1 offset:128
	s_wait_dscnt 0x0
	v_add_f32_e32 v14, v14, v9
	s_or_b32 exec_lo, exec_lo, s0
	s_and_saveexec_b32 s0, vcc_lo
	s_cbranch_execz .LBB88_72
.LBB88_105:
	ds_load_b32 v9, v1 offset:192
	s_wait_dscnt 0x0
	v_add_f32_e32 v15, v15, v9
	s_or_b32 exec_lo, exec_lo, s0
	s_and_saveexec_b32 s0, vcc_lo
	s_cbranch_execz .LBB88_73
.LBB88_106:
	ds_load_b32 v9, v1 offset:256
	s_wait_dscnt 0x0
	v_add_f32_e32 v12, v12, v9
	s_or_b32 exec_lo, exec_lo, s0
	s_and_saveexec_b32 s0, vcc_lo
	s_cbranch_execz .LBB88_74
.LBB88_107:
	ds_load_b32 v9, v1 offset:320
	s_wait_dscnt 0x0
	v_add_f32_e32 v13, v13, v9
	s_or_b32 exec_lo, exec_lo, s0
	s_and_saveexec_b32 s0, vcc_lo
	s_cbranch_execz .LBB88_75
.LBB88_108:
	ds_load_b32 v9, v1 offset:384
	s_wait_dscnt 0x0
	v_add_f32_e32 v4, v4, v9
	s_or_b32 exec_lo, exec_lo, s0
	s_and_saveexec_b32 s0, vcc_lo
	s_cbranch_execz .LBB88_76
.LBB88_109:
	ds_load_b32 v9, v1 offset:448
	s_wait_dscnt 0x0
	v_add_f32_e32 v5, v5, v9
	s_or_b32 exec_lo, exec_lo, s0
	s_and_saveexec_b32 s0, vcc_lo
	s_cbranch_execz .LBB88_77
.LBB88_110:
	ds_load_b32 v9, v1 offset:512
	s_wait_dscnt 0x0
	v_add_f32_e32 v2, v2, v9
	s_or_b32 exec_lo, exec_lo, s0
	s_and_saveexec_b32 s0, vcc_lo
	s_cbranch_execz .LBB88_78
.LBB88_111:
	ds_load_b32 v9, v1 offset:576
	s_wait_dscnt 0x0
	v_add_f32_e32 v3, v3, v9
	s_or_b32 exec_lo, exec_lo, s0
	s_and_saveexec_b32 s0, vcc_lo
	s_cbranch_execz .LBB88_79
.LBB88_112:
	ds_load_b32 v9, v1 offset:640
	s_wait_dscnt 0x0
	v_add_f32_e32 v6, v6, v9
	s_or_b32 exec_lo, exec_lo, s0
	s_and_saveexec_b32 s0, vcc_lo
	s_cbranch_execnz .LBB88_80
	s_branch .LBB88_81
.LBB88_113:
	ds_load_b32 v0, v1
	s_wait_dscnt 0x0
	v_add_f32_e32 v16, v16, v0
	s_or_b32 exec_lo, exec_lo, s0
	s_and_saveexec_b32 s0, vcc_lo
	s_cbranch_execz .LBB88_87
.LBB88_114:
	ds_load_b32 v0, v1 offset:64
	s_wait_dscnt 0x0
	v_add_f32_e32 v17, v17, v0
	s_or_b32 exec_lo, exec_lo, s0
	s_and_saveexec_b32 s0, vcc_lo
	s_cbranch_execz .LBB88_88
.LBB88_115:
	ds_load_b32 v0, v1 offset:128
	s_wait_dscnt 0x0
	v_add_f32_e32 v14, v14, v0
	s_or_b32 exec_lo, exec_lo, s0
	s_and_saveexec_b32 s0, vcc_lo
	s_cbranch_execz .LBB88_89
.LBB88_116:
	ds_load_b32 v0, v1 offset:192
	s_wait_dscnt 0x0
	v_add_f32_e32 v15, v15, v0
	s_or_b32 exec_lo, exec_lo, s0
	s_and_saveexec_b32 s0, vcc_lo
	s_cbranch_execz .LBB88_90
.LBB88_117:
	ds_load_b32 v0, v1 offset:256
	s_wait_dscnt 0x0
	v_add_f32_e32 v12, v12, v0
	s_or_b32 exec_lo, exec_lo, s0
	s_and_saveexec_b32 s0, vcc_lo
	s_cbranch_execz .LBB88_91
.LBB88_118:
	ds_load_b32 v0, v1 offset:320
	s_wait_dscnt 0x0
	v_add_f32_e32 v13, v13, v0
	s_or_b32 exec_lo, exec_lo, s0
	s_and_saveexec_b32 s0, vcc_lo
	s_cbranch_execz .LBB88_92
.LBB88_119:
	ds_load_b32 v0, v1 offset:384
	s_wait_dscnt 0x0
	v_add_f32_e32 v4, v4, v0
	s_or_b32 exec_lo, exec_lo, s0
	s_and_saveexec_b32 s0, vcc_lo
	s_cbranch_execz .LBB88_93
.LBB88_120:
	ds_load_b32 v0, v1 offset:448
	s_wait_dscnt 0x0
	v_add_f32_e32 v5, v5, v0
	s_or_b32 exec_lo, exec_lo, s0
	s_and_saveexec_b32 s0, vcc_lo
	s_cbranch_execz .LBB88_94
.LBB88_121:
	ds_load_b32 v0, v1 offset:512
	s_wait_dscnt 0x0
	v_add_f32_e32 v2, v2, v0
	s_or_b32 exec_lo, exec_lo, s0
	s_and_saveexec_b32 s0, vcc_lo
	s_cbranch_execz .LBB88_95
.LBB88_122:
	ds_load_b32 v0, v1 offset:576
	s_wait_dscnt 0x0
	v_add_f32_e32 v3, v3, v0
	s_or_b32 exec_lo, exec_lo, s0
	s_and_saveexec_b32 s0, vcc_lo
	s_cbranch_execz .LBB88_96
.LBB88_123:
	ds_load_b32 v0, v1 offset:640
	s_wait_dscnt 0x0
	v_add_f32_e32 v6, v6, v0
	s_or_b32 exec_lo, exec_lo, s0
	s_and_saveexec_b32 s0, vcc_lo
	s_cbranch_execnz .LBB88_97
	s_branch .LBB88_98
	.section	.rodata,"a",@progbits
	.p2align	6, 0x0
	.amdhsa_kernel _ZN4vllm25paged_attention_v1_kernelIttLi192ELi16ELi128ELNS_18Fp8KVCacheDataTypeE0ELb0EEEvPT_PKS2_PKT0_S8_ifPKiSA_iPKfiiiSC_SC_iiiii
		.amdhsa_group_segment_fixed_size 416
		.amdhsa_private_segment_fixed_size 0
		.amdhsa_kernarg_size 384
		.amdhsa_user_sgpr_count 2
		.amdhsa_user_sgpr_dispatch_ptr 0
		.amdhsa_user_sgpr_queue_ptr 0
		.amdhsa_user_sgpr_kernarg_segment_ptr 1
		.amdhsa_user_sgpr_dispatch_id 0
		.amdhsa_user_sgpr_kernarg_preload_length 0
		.amdhsa_user_sgpr_kernarg_preload_offset 0
		.amdhsa_user_sgpr_private_segment_size 0
		.amdhsa_wavefront_size32 1
		.amdhsa_uses_dynamic_stack 0
		.amdhsa_enable_private_segment 0
		.amdhsa_system_sgpr_workgroup_id_x 1
		.amdhsa_system_sgpr_workgroup_id_y 1
		.amdhsa_system_sgpr_workgroup_id_z 1
		.amdhsa_system_sgpr_workgroup_info 0
		.amdhsa_system_vgpr_workitem_id 0
		.amdhsa_next_free_vgpr 94
		.amdhsa_next_free_sgpr 30
		.amdhsa_named_barrier_count 0
		.amdhsa_reserve_vcc 1
		.amdhsa_float_round_mode_32 0
		.amdhsa_float_round_mode_16_64 0
		.amdhsa_float_denorm_mode_32 3
		.amdhsa_float_denorm_mode_16_64 3
		.amdhsa_fp16_overflow 0
		.amdhsa_memory_ordered 1
		.amdhsa_forward_progress 1
		.amdhsa_inst_pref_size 84
		.amdhsa_round_robin_scheduling 0
		.amdhsa_exception_fp_ieee_invalid_op 0
		.amdhsa_exception_fp_denorm_src 0
		.amdhsa_exception_fp_ieee_div_zero 0
		.amdhsa_exception_fp_ieee_overflow 0
		.amdhsa_exception_fp_ieee_underflow 0
		.amdhsa_exception_fp_ieee_inexact 0
		.amdhsa_exception_int_div_zero 0
	.end_amdhsa_kernel
	.section	.text._ZN4vllm25paged_attention_v1_kernelIttLi192ELi16ELi128ELNS_18Fp8KVCacheDataTypeE0ELb0EEEvPT_PKS2_PKT0_S8_ifPKiSA_iPKfiiiSC_SC_iiiii,"axG",@progbits,_ZN4vllm25paged_attention_v1_kernelIttLi192ELi16ELi128ELNS_18Fp8KVCacheDataTypeE0ELb0EEEvPT_PKS2_PKT0_S8_ifPKiSA_iPKfiiiSC_SC_iiiii,comdat
.Lfunc_end88:
	.size	_ZN4vllm25paged_attention_v1_kernelIttLi192ELi16ELi128ELNS_18Fp8KVCacheDataTypeE0ELb0EEEvPT_PKS2_PKT0_S8_ifPKiSA_iPKfiiiSC_SC_iiiii, .Lfunc_end88-_ZN4vllm25paged_attention_v1_kernelIttLi192ELi16ELi128ELNS_18Fp8KVCacheDataTypeE0ELb0EEEvPT_PKS2_PKT0_S8_ifPKiSA_iPKfiiiSC_SC_iiiii
                                        ; -- End function
	.set _ZN4vllm25paged_attention_v1_kernelIttLi192ELi16ELi128ELNS_18Fp8KVCacheDataTypeE0ELb0EEEvPT_PKS2_PKT0_S8_ifPKiSA_iPKfiiiSC_SC_iiiii.num_vgpr, 94
	.set _ZN4vllm25paged_attention_v1_kernelIttLi192ELi16ELi128ELNS_18Fp8KVCacheDataTypeE0ELb0EEEvPT_PKS2_PKT0_S8_ifPKiSA_iPKfiiiSC_SC_iiiii.num_agpr, 0
	.set _ZN4vllm25paged_attention_v1_kernelIttLi192ELi16ELi128ELNS_18Fp8KVCacheDataTypeE0ELb0EEEvPT_PKS2_PKT0_S8_ifPKiSA_iPKfiiiSC_SC_iiiii.numbered_sgpr, 30
	.set _ZN4vllm25paged_attention_v1_kernelIttLi192ELi16ELi128ELNS_18Fp8KVCacheDataTypeE0ELb0EEEvPT_PKS2_PKT0_S8_ifPKiSA_iPKfiiiSC_SC_iiiii.num_named_barrier, 0
	.set _ZN4vllm25paged_attention_v1_kernelIttLi192ELi16ELi128ELNS_18Fp8KVCacheDataTypeE0ELb0EEEvPT_PKS2_PKT0_S8_ifPKiSA_iPKfiiiSC_SC_iiiii.private_seg_size, 0
	.set _ZN4vllm25paged_attention_v1_kernelIttLi192ELi16ELi128ELNS_18Fp8KVCacheDataTypeE0ELb0EEEvPT_PKS2_PKT0_S8_ifPKiSA_iPKfiiiSC_SC_iiiii.uses_vcc, 1
	.set _ZN4vllm25paged_attention_v1_kernelIttLi192ELi16ELi128ELNS_18Fp8KVCacheDataTypeE0ELb0EEEvPT_PKS2_PKT0_S8_ifPKiSA_iPKfiiiSC_SC_iiiii.uses_flat_scratch, 0
	.set _ZN4vllm25paged_attention_v1_kernelIttLi192ELi16ELi128ELNS_18Fp8KVCacheDataTypeE0ELb0EEEvPT_PKS2_PKT0_S8_ifPKiSA_iPKfiiiSC_SC_iiiii.has_dyn_sized_stack, 0
	.set _ZN4vllm25paged_attention_v1_kernelIttLi192ELi16ELi128ELNS_18Fp8KVCacheDataTypeE0ELb0EEEvPT_PKS2_PKT0_S8_ifPKiSA_iPKfiiiSC_SC_iiiii.has_recursion, 0
	.set _ZN4vllm25paged_attention_v1_kernelIttLi192ELi16ELi128ELNS_18Fp8KVCacheDataTypeE0ELb0EEEvPT_PKS2_PKT0_S8_ifPKiSA_iPKfiiiSC_SC_iiiii.has_indirect_call, 0
	.section	.AMDGPU.csdata,"",@progbits
; Kernel info:
; codeLenInByte = 10732
; TotalNumSgprs: 32
; NumVgprs: 94
; ScratchSize: 0
; MemoryBound: 0
; FloatMode: 240
; IeeeMode: 1
; LDSByteSize: 416 bytes/workgroup (compile time only)
; SGPRBlocks: 0
; VGPRBlocks: 5
; NumSGPRsForWavesPerEU: 32
; NumVGPRsForWavesPerEU: 94
; NamedBarCnt: 0
; Occupancy: 10
; WaveLimiterHint : 1
; COMPUTE_PGM_RSRC2:SCRATCH_EN: 0
; COMPUTE_PGM_RSRC2:USER_SGPR: 2
; COMPUTE_PGM_RSRC2:TRAP_HANDLER: 0
; COMPUTE_PGM_RSRC2:TGID_X_EN: 1
; COMPUTE_PGM_RSRC2:TGID_Y_EN: 1
; COMPUTE_PGM_RSRC2:TGID_Z_EN: 1
; COMPUTE_PGM_RSRC2:TIDIG_COMP_CNT: 0
	.section	.text._ZN4vllm25paged_attention_v1_kernelIttLi256ELi16ELi128ELNS_18Fp8KVCacheDataTypeE0ELb0EEEvPT_PKS2_PKT0_S8_ifPKiSA_iPKfiiiSC_SC_iiiii,"axG",@progbits,_ZN4vllm25paged_attention_v1_kernelIttLi256ELi16ELi128ELNS_18Fp8KVCacheDataTypeE0ELb0EEEvPT_PKS2_PKT0_S8_ifPKiSA_iPKfiiiSC_SC_iiiii,comdat
	.protected	_ZN4vllm25paged_attention_v1_kernelIttLi256ELi16ELi128ELNS_18Fp8KVCacheDataTypeE0ELb0EEEvPT_PKS2_PKT0_S8_ifPKiSA_iPKfiiiSC_SC_iiiii ; -- Begin function _ZN4vllm25paged_attention_v1_kernelIttLi256ELi16ELi128ELNS_18Fp8KVCacheDataTypeE0ELb0EEEvPT_PKS2_PKT0_S8_ifPKiSA_iPKfiiiSC_SC_iiiii
	.globl	_ZN4vllm25paged_attention_v1_kernelIttLi256ELi16ELi128ELNS_18Fp8KVCacheDataTypeE0ELb0EEEvPT_PKS2_PKT0_S8_ifPKiSA_iPKfiiiSC_SC_iiiii
	.p2align	8
	.type	_ZN4vllm25paged_attention_v1_kernelIttLi256ELi16ELi128ELNS_18Fp8KVCacheDataTypeE0ELb0EEEvPT_PKS2_PKT0_S8_ifPKiSA_iPKfiiiSC_SC_iiiii,@function
_ZN4vllm25paged_attention_v1_kernelIttLi256ELi16ELi128ELNS_18Fp8KVCacheDataTypeE0ELb0EEEvPT_PKS2_PKT0_S8_ifPKiSA_iPKfiiiSC_SC_iiiii: ; @_ZN4vllm25paged_attention_v1_kernelIttLi256ELi16ELi128ELNS_18Fp8KVCacheDataTypeE0ELb0EEEvPT_PKS2_PKT0_S8_ifPKiSA_iPKfiiiSC_SC_iiiii
; %bb.0:
	s_load_b64 s[10:11], s[0:1], 0x20
	s_bfe_u32 s3, ttmp6, 0x4000c
	s_bfe_u32 s5, ttmp6, 0x40010
	s_and_b32 s4, ttmp7, 0xffff
	s_add_co_i32 s3, s3, 1
	s_add_co_i32 s5, s5, 1
	s_and_b32 s2, ttmp6, 15
	s_bfe_u32 s6, ttmp6, 0x40004
	s_mul_i32 s3, ttmp9, s3
	s_mul_i32 s5, s4, s5
	s_getreg_b32 s20, hwreg(HW_REG_IB_STS2, 6, 4)
	s_add_co_i32 s7, s2, s3
	s_add_co_i32 s6, s6, s5
	s_cmp_eq_u32 s20, 0
	s_clause 0x1
	s_load_b32 s21, s[0:1], 0x80
	s_load_b64 s[2:3], s[0:1], 0x30
	s_cselect_b32 s22, s4, s6
	s_cselect_b32 s6, ttmp9, s7
	s_wait_kmcnt 0x0
	s_abs_i32 s4, s10
	s_delay_alu instid0(SALU_CYCLE_1) | instskip(SKIP_1) | instid1(SALU_CYCLE_2)
	s_cvt_f32_u32 s5, s4
	s_sub_co_i32 s7, 0, s4
	v_rcp_iflag_f32_e32 v1, s5
	s_abs_i32 s8, s21
	v_nop
	s_delay_alu instid0(TRANS32_DEP_1) | instskip(SKIP_1) | instid1(SALU_CYCLE_3)
	v_readfirstlane_b32 s5, v1
	s_mul_f32 s5, s5, 0x4f7ffffe
	s_cvt_u32_f32 s5, s5
	s_delay_alu instid0(SALU_CYCLE_3) | instskip(NEXT) | instid1(SALU_CYCLE_1)
	s_mul_i32 s7, s7, s5
	s_mul_hi_u32 s7, s5, s7
	s_delay_alu instid0(SALU_CYCLE_1) | instskip(SKIP_4) | instid1(SALU_CYCLE_1)
	s_add_co_i32 s5, s5, s7
	s_xor_b32 s7, s21, s10
	s_mul_hi_u32 s5, s8, s5
	s_ashr_i32 s7, s7, 31
	s_mul_i32 s9, s5, s4
	s_sub_co_i32 s8, s8, s9
	s_add_co_i32 s9, s5, 1
	s_sub_co_i32 s10, s8, s4
	s_cmp_ge_u32 s8, s4
	s_cselect_b32 s5, s9, s5
	s_cselect_b32 s8, s10, s8
	s_add_co_i32 s9, s5, 1
	s_cmp_ge_u32 s8, s4
	s_cselect_b32 s4, s9, s5
	s_load_b64 s[8:9], s[0:1], 0x40
	s_xor_b32 s4, s4, s7
	s_mov_b32 s5, 0
	s_sub_co_i32 s15, s4, s7
	s_mov_b32 s13, s5
	s_abs_i32 s14, s15
	s_mov_b32 s24, s5
	s_cvt_f32_u32 s4, s14
	s_delay_alu instid0(SALU_CYCLE_3) | instskip(SKIP_1) | instid1(TRANS32_DEP_1)
	v_rcp_iflag_f32_e32 v1, s4
	v_nop
	v_readfirstlane_b32 s4, v1
	s_mul_f32 s4, s4, 0x4f7ffffe
	s_delay_alu instid0(SALU_CYCLE_3) | instskip(SKIP_1) | instid1(SALU_CYCLE_2)
	s_cvt_u32_f32 s7, s4
	s_sub_co_i32 s4, 0, s14
	s_mul_i32 s4, s4, s7
	s_delay_alu instid0(SALU_CYCLE_1)
	s_mul_hi_u32 s10, s7, s4
	s_abs_i32 s4, s6
	s_add_co_i32 s12, s7, s10
	s_wait_kmcnt 0x0
	s_cmp_eq_u64 s[8:9], 0
	s_cbranch_scc1 .LBB89_2
; %bb.1:
	s_ashr_i32 s7, s6, 31
	s_delay_alu instid0(SALU_CYCLE_1) | instskip(NEXT) | instid1(SALU_CYCLE_1)
	s_lshl_b64 s[16:17], s[6:7], 2
	s_add_nc_u64 s[8:9], s[8:9], s[16:17]
	s_load_b32 s24, s[8:9], 0x0
.LBB89_2:
	s_load_b32 s23, s[2:3], s22 offset:0x0 scale_offset
	s_wait_xcnt 0x0
	s_load_b96 s[8:10], s[0:1], 0x48
	v_dual_lshrrev_b32 v70, 1, v0 :: v_dual_bitop2_b32 v71, 1, v0 bitop3:0x40
	v_cmp_gt_u32_e64 s2, 64, v0
	s_ashr_i32 s3, s6, 31
	s_ashr_i32 s15, s15, 31
	s_mul_u64 s[12:13], s[4:5], s[12:13]
	s_lshl_b32 s6, s6, 8
	s_and_saveexec_b32 s5, s2
	s_cbranch_execz .LBB89_4
; %bb.3:
	s_load_b64 s[16:17], s[0:1], 0x8
	s_wait_kmcnt 0x0
	s_mul_i32 s18, s8, s22
	s_ashr_i32 s7, s6, 31
	s_ashr_i32 s19, s18, 31
	v_lshlrev_b32_e32 v1, 3, v70
	s_lshl_b64 s[18:19], s[18:19], 1
	s_delay_alu instid0(VALU_DEP_1) | instskip(SKIP_2) | instid1(SALU_CYCLE_1)
	v_lshl_add_u32 v1, v71, 8, v1
	s_add_nc_u64 s[16:17], s[16:17], s[18:19]
	s_lshl_b64 s[18:19], s[6:7], 1
	s_add_nc_u64 s[16:17], s[16:17], s[18:19]
	global_load_b64 v[2:3], v0, s[16:17] scale_offset
	s_wait_loadcnt 0x0
	ds_store_b64 v1, v[2:3]
.LBB89_4:
	s_or_b32 exec_lo, exec_lo, s5
	s_wait_kmcnt 0x0
	s_add_co_i32 s5, s23, 15
	s_load_b32 s7, s[0:1], 0x38
	s_ashr_i32 s8, s5, 31
	s_mul_i32 s12, s13, s14
	s_lshr_b32 s8, s8, 28
	s_sub_co_i32 s4, s4, s12
	s_add_co_i32 s5, s5, s8
	s_xor_b32 s3, s3, s15
	s_ashr_i32 s8, s5, 4
	s_add_co_i32 s5, s13, 1
	s_sub_co_i32 s12, s4, s14
	s_cmp_ge_u32 s4, s14
	v_lshrrev_b32_e32 v72, 5, v0
	s_cselect_b32 s5, s5, s13
	s_cselect_b32 s4, s12, s4
	s_add_co_i32 s12, s5, 1
	s_cmp_ge_u32 s4, s14
	v_mbcnt_lo_u32_b32 v74, -1, 0
	s_cselect_b32 s4, s12, s5
	s_mov_b32 s5, exec_lo
	s_xor_b32 s4, s4, s3
	s_wait_kmcnt 0x0
	s_mul_i32 s12, s7, s22
	s_sub_co_i32 s4, s4, s3
	v_cmp_gt_i32_e64 s3, s8, v72
	s_ashr_i32 s13, s12, 31
	s_wait_dscnt 0x0
	s_barrier_signal -1
	s_barrier_wait -1
                                        ; implicit-def: $vgpr3
                                        ; implicit-def: $vgpr2
	v_cmpx_le_i32_e64 s8, v72
	s_xor_b32 s5, exec_lo, s5
; %bb.5:
	v_dual_mov_b32 v3, 0 :: v_dual_mov_b32 v2, 32
	v_mbcnt_lo_u32_b32 v74, -1, 0
; %bb.6:
	s_or_saveexec_b32 s25, s5
	s_clause 0x1
	s_load_b64 s[14:15], s[0:1], 0x28
	s_load_b32 s7, s[0:1], 0x88
	v_mov_b32_e32 v75, 0xff7fffff
	v_dual_lshlrev_b32 v73, 3, v0 :: v_dual_lshrrev_b32 v1, 3, v0
	s_mul_i32 s16, s4, s10
	s_xor_b32 exec_lo, exec_lo, s25
	s_cbranch_execz .LBB89_12
; %bb.7:
	s_load_b64 s[4:5], s[0:1], 0x10
	v_bfe_u32 v6, v0, 1, 4
	s_ashr_i32 s17, s16, 31
	v_mov_b32_e32 v3, 0
	s_lshl_b64 s[26:27], s[16:17], 1
	s_delay_alu instid0(VALU_DEP_2)
	v_dual_lshlrev_b32 v76, 8, v71 :: v_dual_lshlrev_b32 v7, 2, v6
	v_lshlrev_b32_e32 v2, 4, v6
	s_ashr_i32 s19, s9, 31
	s_cmp_neq_f32 s24, 0
	v_lshl_or_b32 v77, v72, 4, v6
	v_lshl_or_b32 v7, v72, 6, v7
	v_mov_b32_e32 v75, 0xff7fffff
	v_xor_b32_e32 v79, 1, v74
	s_mov_b32 s18, s9
	s_mov_b32 s10, 0
	v_add_nc_u32_e32 v78, 0x220, v7
	v_cmp_eq_u32_e32 vcc_lo, 0, v71
	v_mov_b32_e32 v80, v72
	s_wait_kmcnt 0x0
	s_add_nc_u64 s[4:5], s[4:5], s[26:27]
	s_delay_alu instid0(SALU_CYCLE_1)
	v_add_nc_u64_e32 v[4:5], s[4:5], v[2:3]
	v_and_b32_e32 v2, 8, v73
	s_cselect_b32 s4, -1, 0
	s_lshl_b64 s[26:27], s[12:13], 2
	s_sub_co_i32 s17, 1, s23
	s_add_nc_u64 s[26:27], s[14:15], s[26:27]
	s_delay_alu instid0(VALU_DEP_2) | instskip(SKIP_1) | instid1(VALU_DEP_1)
	v_add_nc_u64_e32 v[4:5], v[4:5], v[2:3]
	v_and_b32_e32 v2, 0x7c, v1
	v_add_nc_u64_e32 v[6:7], s[26:27], v[2:3]
	v_mov_b32_e32 v2, 32
	s_branch .LBB89_9
.LBB89_8:                               ;   in Loop: Header=BB89_9 Depth=1
	s_or_b32 exec_lo, exec_lo, s26
	v_dual_add_nc_u32 v80, 4, v80 :: v_dual_add_nc_u32 v77, 64, v77
	v_add_nc_u64_e32 v[6:7], 16, v[6:7]
	v_add_nc_u32_e32 v78, 0x100, v78
	s_delay_alu instid0(VALU_DEP_3) | instskip(SKIP_1) | instid1(SALU_CYCLE_1)
	v_cmp_le_i32_e64 s5, s8, v80
	s_or_b32 s10, s5, s10
	s_and_not1_b32 exec_lo, exec_lo, s10
	s_cbranch_execz .LBB89_11
.LBB89_9:                               ; =>This Inner Loop Header: Depth=1
	global_load_b32 v8, v[6:7], off
	v_cmp_gt_i32_e64 s5, 32, v79
	s_wait_loadcnt_dscnt 0x0
	v_ashrrev_i32_e32 v9, 31, v8
	s_delay_alu instid0(VALU_DEP_1) | instskip(NEXT) | instid1(VALU_DEP_1)
	v_mul_u64_e32 v[8:9], s[18:19], v[8:9]
	v_lshl_add_u64 v[8:9], v[8:9], 1, v[4:5]
	s_clause 0x9
	global_load_b64 v[82:83], v[8:9], off
	global_load_b64 v[68:69], v[8:9], off offset:256
	global_load_b64 v[66:67], v[8:9], off offset:512
	;; [unrolled: 1-line block ×9, first 2 shown]
	ds_load_b64 v[10:11], v76
	s_wait_dscnt 0x0
	v_lshrrev_b32_e32 v81, 16, v10
	v_and_b32_e32 v84, 0xffff, v10
	v_lshrrev_b32_e32 v85, 16, v11
	v_and_b32_e32 v86, 0xffff, v11
	s_clause 0x15
	global_load_b64 v[50:51], v[8:9], off offset:2560
	global_load_b64 v[48:49], v[8:9], off offset:2816
	;; [unrolled: 1-line block ×22, first 2 shown]
	;;#ASMSTART
	v_cvt_f32_f16 v84, v84;
	;;#ASMEND
	;;#ASMSTART
	v_cvt_f32_f16 v81, v81;
	;;#ASMEND
	s_wait_loadcnt 0x1f
	v_and_b32_e32 v87, 0xffff, v82
	v_dual_lshrrev_b32 v82, 16, v82 :: v_dual_lshrrev_b32 v88, 16, v83
	v_and_b32_e32 v83, 0xffff, v83
	;;#ASMSTART
	v_cvt_f32_f16 v87, v87;
	;;#ASMEND
	;;#ASMSTART
	v_cvt_f32_f16 v89, v82;
	;;#ASMEND
	;; [unrolled: 3-line block ×5, first 2 shown]
	s_wait_loadcnt 0x1e
	v_and_b32_e32 v85, 0xffff, v68
	v_lshrrev_b32_e32 v68, 16, v68
	;;#ASMSTART
	v_cvt_f32_f16 v88, v88;
	;;#ASMEND
	ds_load_b64 v[82:83], v76 offset:8
	v_and_b32_e32 v86, 0xffff, v69
	v_lshrrev_b32_e32 v69, 16, v69
	s_wait_dscnt 0x0
	v_and_b32_e32 v93, 0xffff, v82
	v_lshrrev_b32_e32 v82, 16, v82
	v_and_b32_e32 v94, 0xffff, v83
	v_lshrrev_b32_e32 v83, 16, v83
	;;#ASMSTART
	v_cvt_f32_f16 v93, v93;
	;;#ASMEND
	;;#ASMSTART
	v_cvt_f32_f16 v82, v82;
	;;#ASMEND
	;;#ASMSTART
	v_cvt_f32_f16 v85, v85;
	;;#ASMEND
	;;#ASMSTART
	v_cvt_f32_f16 v95, v68;
	;;#ASMEND
	;;#ASMSTART
	v_cvt_f32_f16 v94, v94;
	;;#ASMEND
	;;#ASMSTART
	v_cvt_f32_f16 v96, v83;
	;;#ASMEND
	;;#ASMSTART
	v_cvt_f32_f16 v97, v86;
	;;#ASMEND
	;;#ASMSTART
	v_cvt_f32_f16 v98, v69;
	;;#ASMEND
	ds_load_b64 v[68:69], v76 offset:16
	s_wait_loadcnt 0x1d
	v_and_b32_e32 v83, 0xffff, v66
	v_lshrrev_b32_e32 v66, 16, v66
	v_and_b32_e32 v86, 0xffff, v67
	v_lshrrev_b32_e32 v67, 16, v67
	s_wait_dscnt 0x0
	v_and_b32_e32 v99, 0xffff, v68
	v_lshrrev_b32_e32 v68, 16, v68
	v_and_b32_e32 v100, 0xffff, v69
	v_lshrrev_b32_e32 v69, 16, v69
	;;#ASMSTART
	v_cvt_f32_f16 v99, v99;
	;;#ASMEND
	;;#ASMSTART
	v_cvt_f32_f16 v101, v68;
	;;#ASMEND
	;; [unrolled: 3-line block ×5, first 2 shown]
	s_wait_loadcnt 0x1c
	v_lshrrev_b32_e32 v83, 16, v64
	;;#ASMSTART
	v_cvt_f32_f16 v104, v69;
	;;#ASMEND
	;;#ASMSTART
	v_cvt_f32_f16 v105, v86;
	;;#ASMEND
	;; [unrolled: 3-line block ×3, first 2 shown]
	ds_load_b64 v[68:69], v76 offset:24
	v_and_b32_e32 v67, 0xffff, v64
	v_dual_mul_f32 v66, v93, v85 :: v_dual_mul_f32 v64, v82, v95
	v_and_b32_e32 v82, 0xffff, v65
	s_delay_alu instid0(VALU_DEP_2) | instskip(NEXT) | instid1(VALU_DEP_1)
	v_dual_fmac_f32 v66, v84, v87 :: v_dual_lshrrev_b32 v65, 16, v65
	v_dual_fmac_f32 v64, v81, v89 :: v_dual_fmac_f32 v66, v99, v102
	s_wait_loadcnt 0x19
	v_and_b32_e32 v99, 0xffff, v59
	s_wait_dscnt 0x0
	v_and_b32_e32 v84, 0xffff, v68
	v_lshrrev_b32_e32 v68, 16, v68
	v_and_b32_e32 v81, 0xffff, v69
	v_lshrrev_b32_e32 v69, 16, v69
	;;#ASMSTART
	v_cvt_f32_f16 v87, v84;
	;;#ASMEND
	;;#ASMSTART
	v_cvt_f32_f16 v107, v68;
	;;#ASMEND
	;;#ASMSTART
	v_cvt_f32_f16 v108, v67;
	;;#ASMEND
	;;#ASMSTART
	v_cvt_f32_f16 v109, v83;
	;;#ASMEND
	;;#ASMSTART
	v_cvt_f32_f16 v85, v81;
	;;#ASMEND
	v_lshrrev_b32_e32 v81, 16, v62
	;;#ASMSTART
	v_cvt_f32_f16 v83, v69;
	;;#ASMEND
	;;#ASMSTART
	v_cvt_f32_f16 v86, v82;
	;;#ASMEND
	;; [unrolled: 3-line block ×3, first 2 shown]
	ds_load_b64 v[68:69], v76 offset:32
	v_and_b32_e32 v67, 0xffff, v62
	v_dual_mul_f32 v65, v94, v97 :: v_dual_mul_f32 v62, v96, v98
	v_and_b32_e32 v82, 0xffff, v63
	v_dual_lshrrev_b32 v63, 16, v63 :: v_dual_lshrrev_b32 v98, 16, v61
	s_delay_alu instid0(VALU_DEP_3) | instskip(NEXT) | instid1(VALU_DEP_4)
	v_fmac_f32_e32 v65, v90, v92
	v_fmac_f32_e32 v62, v91, v88
	v_and_b32_e32 v91, 0xffff, v61
	s_delay_alu instid0(VALU_DEP_3) | instskip(NEXT) | instid1(VALU_DEP_3)
	v_fmac_f32_e32 v65, v100, v105
	v_fmac_f32_e32 v62, v104, v106
	s_wait_dscnt 0x0
	v_and_b32_e32 v89, 0xffff, v68
	v_lshrrev_b32_e32 v68, 16, v68
	v_and_b32_e32 v88, 0xffff, v69
	v_lshrrev_b32_e32 v69, 16, v69
	;;#ASMSTART
	v_cvt_f32_f16 v97, v89;
	;;#ASMEND
	;;#ASMSTART
	v_cvt_f32_f16 v94, v68;
	;;#ASMEND
	;; [unrolled: 3-line block ×8, first 2 shown]
	ds_load_b64 v[88:89], v76 offset:40
	v_and_b32_e32 v63, 0xffff, v60
	v_dual_lshrrev_b32 v60, 16, v60 :: v_dual_fmac_f32 v64, v101, v103
	v_dual_lshrrev_b32 v100, 16, v59 :: v_dual_fmac_f32 v66, v87, v108
	s_wait_dscnt 0x0
	v_and_b32_e32 v61, 0xffff, v88
	v_lshrrev_b32_e32 v67, 16, v88
	v_and_b32_e32 v88, 0xffff, v89
	v_lshrrev_b32_e32 v89, 16, v89
	;;#ASMSTART
	v_cvt_f32_f16 v68, v61;
	;;#ASMEND
	;;#ASMSTART
	v_cvt_f32_f16 v61, v67;
	;;#ASMEND
	;; [unrolled: 3-line block ×8, first 2 shown]
	ds_load_b64 v[88:89], v76 offset:48
	v_and_b32_e32 v98, 0xffff, v58
	v_dual_lshrrev_b32 v58, 16, v58 :: v_dual_fmac_f32 v64, v107, v109
	s_wait_loadcnt 0x18
	v_dual_fmac_f32 v65, v85, v86 :: v_dual_lshrrev_b32 v85, 16, v56
	v_and_b32_e32 v86, 0xffff, v57
	s_delay_alu instid0(VALU_DEP_3)
	v_dual_fmac_f32 v64, v94, v96 :: v_dual_lshrrev_b32 v57, 16, v57
	s_wait_dscnt 0x0
	v_and_b32_e32 v59, 0xffff, v88
	v_dual_lshrrev_b32 v101, 16, v89 :: v_dual_lshrrev_b32 v87, 16, v88
	v_and_b32_e32 v88, 0xffff, v89
	;;#ASMSTART
	v_cvt_f32_f16 v91, v59;
	;;#ASMEND
	;;#ASMSTART
	v_cvt_f32_f16 v59, v87;
	;;#ASMEND
	;; [unrolled: 3-line block ×8, first 2 shown]
	ds_load_b64 v[98:99], v76 offset:56
	v_and_b32_e32 v87, 0xffff, v56
	v_fmac_f32_e32 v62, v83, v84
	v_fmac_f32_e32 v66, v97, v110
	s_wait_loadcnt 0x17
	v_and_b32_e32 v100, 0xffff, v55
	s_wait_dscnt 0x0
	v_and_b32_e32 v56, 0xffff, v98
	v_lshrrev_b32_e32 v83, 16, v98
	v_and_b32_e32 v88, 0xffff, v99
	v_lshrrev_b32_e32 v97, 16, v99
	;;#ASMSTART
	v_cvt_f32_f16 v56, v56;
	;;#ASMEND
	;;#ASMSTART
	v_cvt_f32_f16 v83, v83;
	;;#ASMEND
	;; [unrolled: 3-line block ×8, first 2 shown]
	ds_load_b64 v[98:99], v76 offset:64
	v_and_b32_e32 v57, 0xffff, v54
	v_dual_lshrrev_b32 v54, 16, v54 :: v_dual_lshrrev_b32 v55, 16, v55
	v_fmac_f32_e32 v62, v69, v82
	v_dual_fmac_f32 v65, v93, v95 :: v_dual_fmac_f32 v66, v68, v81
	s_wait_loadcnt 0x16
	v_and_b32_e32 v81, 0xffff, v53
	v_lshrrev_b32_e32 v53, 16, v53
	s_wait_loadcnt 0x14
	v_dual_fmac_f32 v66, v91, v105 :: v_dual_lshrrev_b32 v105, 16, v48
	v_and_b32_e32 v48, 0xffff, v48
	s_wait_dscnt 0x0
	v_lshrrev_b32_e32 v94, 16, v98
	v_and_b32_e32 v69, 0xffff, v99
	v_lshrrev_b32_e32 v82, 16, v99
	v_and_b32_e32 v93, 0xffff, v98
	;;#ASMSTART
	v_cvt_f32_f16 v97, v93;
	;;#ASMEND
	;;#ASMSTART
	v_cvt_f32_f16 v94, v94;
	;;#ASMEND
	;; [unrolled: 3-line block ×8, first 2 shown]
	ds_load_b64 v[54:55], v76 offset:72
	v_and_b32_e32 v57, 0xffff, v52
	v_dual_lshrrev_b32 v52, 16, v52 :: v_dual_fmac_f32 v64, v61, v67
	v_dual_fmac_f32 v65, v90, v92 :: v_dual_fmac_f32 v62, v60, v63
	v_and_b32_e32 v63, 0xffff, v51
	v_lshrrev_b32_e32 v51, 16, v51
	s_wait_dscnt 0x0
	v_and_b32_e32 v61, 0xffff, v54
	v_and_b32_e32 v67, 0xffff, v55
	v_dual_lshrrev_b32 v54, 16, v54 :: v_dual_lshrrev_b32 v55, 16, v55
	;;#ASMSTART
	v_cvt_f32_f16 v93, v61;
	;;#ASMEND
	;;#ASMSTART
	v_cvt_f32_f16 v90, v54;
	;;#ASMEND
	;; [unrolled: 3-line block ×8, first 2 shown]
	ds_load_b64 v[52:53], v76 offset:80
	v_and_b32_e32 v54, 0xffff, v50
	v_dual_lshrrev_b32 v50, 16, v50 :: v_dual_fmac_f32 v64, v59, v89
	v_dual_fmac_f32 v65, v102, v103 :: v_dual_lshrrev_b32 v102, 16, v49
	v_and_b32_e32 v49, 0xffff, v49
	s_delay_alu instid0(VALU_DEP_3)
	v_fmac_f32_e32 v64, v83, v84
	s_wait_loadcnt 0x13
	v_and_b32_e32 v84, 0xffff, v46
	v_fmac_f32_e32 v65, v87, v88
	s_wait_dscnt 0x0
	v_and_b32_e32 v55, 0xffff, v52
	v_lshrrev_b32_e32 v52, 16, v52
	v_and_b32_e32 v57, 0xffff, v53
	v_lshrrev_b32_e32 v59, 16, v53
	;;#ASMSTART
	v_cvt_f32_f16 v89, v55;
	;;#ASMEND
	;;#ASMSTART
	v_cvt_f32_f16 v53, v52;
	;;#ASMEND
	;; [unrolled: 3-line block ×8, first 2 shown]
	ds_load_b64 v[50:51], v76 offset:88
	v_fmac_f32_e32 v62, v58, v101
	v_dual_fmac_f32 v66, v56, v104 :: v_dual_lshrrev_b32 v101, 16, v46
	v_lshrrev_b32_e32 v104, 16, v47
	s_wait_dscnt 0x0
	v_and_b32_e32 v52, 0xffff, v50
	v_lshrrev_b32_e32 v50, 16, v50
	v_and_b32_e32 v56, 0xffff, v51
	v_lshrrev_b32_e32 v58, 16, v51
	;;#ASMSTART
	v_cvt_f32_f16 v52, v52;
	;;#ASMEND
	;;#ASMSTART
	v_cvt_f32_f16 v50, v50;
	;;#ASMEND
	;; [unrolled: 3-line block ×8, first 2 shown]
	ds_load_b64 v[102:103], v76 offset:96
	v_and_b32_e32 v105, 0xffff, v47
	v_fmac_f32_e32 v62, v85, v86
	s_wait_loadcnt 0x12
	v_dual_fmac_f32 v66, v97, v98 :: v_dual_lshrrev_b32 v98, 16, v45
	v_and_b32_e32 v97, 0xffff, v44
	s_wait_dscnt 0x0
	v_and_b32_e32 v46, 0xffff, v102
	v_dual_lshrrev_b32 v47, 16, v102 :: v_dual_lshrrev_b32 v88, 16, v103
	v_and_b32_e32 v86, 0xffff, v103
	;;#ASMSTART
	v_cvt_f32_f16 v83, v46;
	;;#ASMEND
	;;#ASMSTART
	v_cvt_f32_f16 v46, v47;
	;;#ASMEND
	;; [unrolled: 3-line block ×8, first 2 shown]
	ds_load_b64 v[102:103], v76 offset:104
	v_lshrrev_b32_e32 v101, 16, v44
	v_and_b32_e32 v104, 0xffff, v45
	v_fmac_f32_e32 v64, v94, v96
	v_fmac_f32_e32 v65, v99, v100
	s_wait_loadcnt 0x11
	v_and_b32_e32 v105, 0xffff, v43
	s_wait_dscnt 0x0
	v_and_b32_e32 v44, 0xffff, v102
	v_lshrrev_b32_e32 v45, 16, v102
	v_and_b32_e32 v96, 0xffff, v103
	v_lshrrev_b32_e32 v100, 16, v103
	;;#ASMSTART
	v_cvt_f32_f16 v94, v44;
	;;#ASMEND
	;;#ASMSTART
	v_cvt_f32_f16 v44, v45;
	;;#ASMEND
	;; [unrolled: 3-line block ×8, first 2 shown]
	ds_load_b64 v[102:103], v76 offset:112
	v_dual_lshrrev_b32 v101, 16, v42 :: v_dual_lshrrev_b32 v104, 16, v43
	v_dual_fmac_f32 v62, v69, v82 :: v_dual_fmac_f32 v64, v90, v92
	v_and_b32_e32 v82, 0xffff, v42
	v_dual_fmac_f32 v66, v93, v95 :: v_dual_fmac_f32 v65, v68, v81
	s_delay_alu instid0(VALU_DEP_3)
	v_fmac_f32_e32 v62, v61, v67
	s_wait_loadcnt 0x10
	v_and_b32_e32 v68, 0xffff, v40
	v_fmac_f32_e32 v64, v53, v55
	v_fmac_f32_e32 v65, v60, v63
	;; [unrolled: 1-line block ×3, first 2 shown]
	s_wait_dscnt 0x0
	v_and_b32_e32 v42, 0xffff, v102
	v_lshrrev_b32_e32 v43, 16, v102
	v_and_b32_e32 v92, 0xffff, v103
	v_lshrrev_b32_e32 v95, 16, v103
	;;#ASMSTART
	v_cvt_f32_f16 v69, v42;
	;;#ASMEND
	;;#ASMSTART
	v_cvt_f32_f16 v42, v43;
	;;#ASMEND
	;;#ASMSTART
	v_cvt_f32_f16 v90, v82;
	;;#ASMEND
	;;#ASMSTART
	v_cvt_f32_f16 v43, v101;
	;;#ASMEND
	;;#ASMSTART
	v_cvt_f32_f16 v93, v92;
	;;#ASMEND
	v_lshrrev_b32_e32 v101, 16, v40
	;;#ASMSTART
	v_cvt_f32_f16 v82, v95;
	;;#ASMEND
	;;#ASMSTART
	v_cvt_f32_f16 v95, v105;
	;;#ASMEND
	;; [unrolled: 3-line block ×3, first 2 shown]
	ds_load_b64 v[102:103], v76 offset:120
	v_lshrrev_b32_e32 v81, 16, v41
	v_and_b32_e32 v104, 0xffff, v41
	v_fmac_f32_e32 v66, v89, v91
	s_wait_dscnt 0x0
	v_and_b32_e32 v40, 0xffff, v102
	v_lshrrev_b32_e32 v41, 16, v102
	v_and_b32_e32 v67, 0xffff, v103
	v_lshrrev_b32_e32 v91, 16, v103
	;;#ASMSTART
	v_cvt_f32_f16 v61, v40;
	;;#ASMEND
	;;#ASMSTART
	v_cvt_f32_f16 v40, v41;
	;;#ASMEND
	;; [unrolled: 3-line block ×8, first 2 shown]
	ds_load_b64 v[102:103], v76 offset:128
	s_wait_loadcnt 0xf
	v_lshrrev_b32_e32 v101, 16, v38
	v_and_b32_e32 v38, 0xffff, v38
	v_dual_fmac_f32 v66, v52, v54 :: v_dual_lshrrev_b32 v53, 16, v39
	v_and_b32_e32 v39, 0xffff, v39
	s_wait_loadcnt 0xe
	v_dual_fmac_f32 v65, v56, v58 :: v_dual_lshrrev_b32 v52, 16, v37
	v_and_b32_e32 v37, 0xffff, v37
	v_fmac_f32_e32 v66, v83, v85
	s_wait_loadcnt 0xc
	s_delay_alu instid0(VALU_DEP_3) | instskip(SKIP_1) | instid1(VALU_DEP_2)
	v_dual_fmac_f32 v65, v87, v88 :: v_dual_lshrrev_b32 v87, 16, v33
	v_and_b32_e32 v33, 0xffff, v33
	v_dual_fmac_f32 v66, v94, v97 :: v_dual_fmac_f32 v65, v99, v100
	s_wait_dscnt 0x0
	v_and_b32_e32 v55, 0xffff, v102
	v_lshrrev_b32_e32 v60, 16, v102
	v_and_b32_e32 v57, 0xffff, v103
	v_lshrrev_b32_e32 v59, 16, v103
	;;#ASMSTART
	v_cvt_f32_f16 v55, v55;
	;;#ASMEND
	;;#ASMSTART
	v_cvt_f32_f16 v60, v60;
	;;#ASMEND
	;; [unrolled: 3-line block ×8, first 2 shown]
	ds_load_b64 v[38:39], v76 offset:136
	v_lshrrev_b32_e32 v103, 16, v36
	v_and_b32_e32 v36, 0xffff, v36
	v_dual_fmac_f32 v64, v50, v51 :: v_dual_fmac_f32 v66, v69, v90
	s_wait_loadcnt 0xa
	v_lshrrev_b32_e32 v69, 16, v29
	v_and_b32_e32 v29, 0xffff, v29
	v_fmac_f32_e32 v65, v93, v95
	v_fmac_f32_e32 v66, v61, v68
	s_delay_alu instid0(VALU_DEP_1)
	v_fmac_f32_e32 v66, v55, v63
	s_wait_dscnt 0x0
	v_and_b32_e32 v50, 0xffff, v38
	v_dual_lshrrev_b32 v38, 16, v38 :: v_dual_lshrrev_b32 v51, 16, v39
	v_fmac_f32_e32 v62, v48, v49
	v_and_b32_e32 v39, 0xffff, v39
	;;#ASMSTART
	v_cvt_f32_f16 v50, v50;
	;;#ASMEND
	;;#ASMSTART
	v_cvt_f32_f16 v38, v38;
	;;#ASMEND
	;; [unrolled: 3-line block ×8, first 2 shown]
	ds_load_b64 v[36:37], v76 offset:144
	v_lshrrev_b32_e32 v103, 16, v34
	v_and_b32_e32 v34, 0xffff, v34
	v_lshrrev_b32_e32 v48, 16, v35
	v_and_b32_e32 v35, 0xffff, v35
	v_fmac_f32_e32 v64, v46, v47
	s_delay_alu instid0(VALU_DEP_1)
	v_dual_fmac_f32 v64, v44, v45 :: v_dual_lshrrev_b32 v44, 16, v31
	v_and_b32_e32 v31, 0xffff, v31
	s_wait_dscnt 0x0
	v_and_b32_e32 v49, 0xffff, v36
	v_dual_lshrrev_b32 v36, 16, v36 :: v_dual_lshrrev_b32 v46, 16, v37
	v_and_b32_e32 v37, 0xffff, v37
	;;#ASMSTART
	v_cvt_f32_f16 v47, v49;
	;;#ASMEND
	;;#ASMSTART
	v_cvt_f32_f16 v36, v36;
	;;#ASMEND
	;; [unrolled: 3-line block ×5, first 2 shown]
	v_lshrrev_b32_e32 v103, 16, v32
	;;#ASMSTART
	v_cvt_f32_f16 v46, v46;
	;;#ASMEND
	;;#ASMSTART
	v_cvt_f32_f16 v85, v35;
	;;#ASMEND
	;; [unrolled: 3-line block ×3, first 2 shown]
	ds_load_b64 v[34:35], v76 offset:152
	v_and_b32_e32 v32, 0xffff, v32
	s_wait_dscnt 0x0
	v_dual_fmac_f32 v62, v84, v86 :: v_dual_lshrrev_b32 v86, 16, v35
	v_and_b32_e32 v84, 0xffff, v34
	v_lshrrev_b32_e32 v34, 16, v34
	v_and_b32_e32 v35, 0xffff, v35
	;;#ASMSTART
	v_cvt_f32_f16 v84, v84;
	;;#ASMEND
	;;#ASMSTART
	v_cvt_f32_f16 v34, v34;
	;;#ASMEND
	;; [unrolled: 3-line block ×8, first 2 shown]
	ds_load_b64 v[32:33], v76 offset:160
	v_lshrrev_b32_e32 v103, 16, v30
	v_and_b32_e32 v30, 0xffff, v30
	v_fmac_f32_e32 v62, v96, v98
	s_wait_loadcnt 0x9
	s_delay_alu instid0(VALU_DEP_1)
	v_dual_fmac_f32 v62, v82, v92 :: v_dual_lshrrev_b32 v82, 16, v27
	v_and_b32_e32 v27, 0xffff, v27
	s_wait_dscnt 0x0
	v_and_b32_e32 v45, 0xffff, v32
	v_dual_lshrrev_b32 v32, 16, v32 :: v_dual_lshrrev_b32 v96, 16, v33
	v_and_b32_e32 v33, 0xffff, v33
	;;#ASMSTART
	v_cvt_f32_f16 v45, v45;
	;;#ASMEND
	;;#ASMSTART
	v_cvt_f32_f16 v32, v32;
	;;#ASMEND
	;; [unrolled: 3-line block ×5, first 2 shown]
	v_lshrrev_b32_e32 v103, 16, v28
	;;#ASMSTART
	v_cvt_f32_f16 v96, v96;
	;;#ASMEND
	;;#ASMSTART
	v_cvt_f32_f16 v100, v31;
	;;#ASMEND
	;; [unrolled: 3-line block ×3, first 2 shown]
	ds_load_b64 v[30:31], v76 offset:168
	v_and_b32_e32 v28, 0xffff, v28
	v_fmac_f32_e32 v64, v42, v43
	s_wait_dscnt 0x0
	v_and_b32_e32 v42, 0xffff, v30
	v_dual_lshrrev_b32 v30, 16, v30 :: v_dual_lshrrev_b32 v43, 16, v31
	v_and_b32_e32 v31, 0xffff, v31
	;;#ASMSTART
	v_cvt_f32_f16 v42, v42;
	;;#ASMEND
	;;#ASMSTART
	v_cvt_f32_f16 v30, v30;
	;;#ASMEND
	;; [unrolled: 3-line block ×8, first 2 shown]
	ds_load_b64 v[28:29], v76 offset:176
	v_lshrrev_b32_e32 v103, 16, v26
	v_and_b32_e32 v26, 0xffff, v26
	v_dual_fmac_f32 v64, v40, v41 :: v_dual_fmac_f32 v65, v89, v91
	s_wait_loadcnt 0x8
	v_lshrrev_b32_e32 v89, 16, v25
	v_and_b32_e32 v25, 0xffff, v25
	s_wait_loadcnt 0x7
	v_dual_fmac_f32 v64, v60, v101 :: v_dual_lshrrev_b32 v60, 16, v23
	v_fmac_f32_e32 v65, v57, v102
	v_and_b32_e32 v23, 0xffff, v23
	s_wait_dscnt 0x0
	v_and_b32_e32 v61, 0xffff, v28
	v_dual_lshrrev_b32 v28, 16, v28 :: v_dual_lshrrev_b32 v40, 16, v29
	v_and_b32_e32 v29, 0xffff, v29
	;;#ASMSTART
	v_cvt_f32_f16 v41, v61;
	;;#ASMEND
	;;#ASMSTART
	v_cvt_f32_f16 v28, v28;
	;;#ASMEND
	;;#ASMSTART
	v_cvt_f32_f16 v61, v26;
	;;#ASMEND
	;;#ASMSTART
	v_cvt_f32_f16 v68, v103;
	;;#ASMEND
	;;#ASMSTART
	v_cvt_f32_f16 v29, v29;
	;;#ASMEND
	v_lshrrev_b32_e32 v103, 16, v24
	;;#ASMSTART
	v_cvt_f32_f16 v40, v40;
	;;#ASMEND
	;;#ASMSTART
	v_cvt_f32_f16 v92, v27;
	;;#ASMEND
	;; [unrolled: 3-line block ×3, first 2 shown]
	ds_load_b64 v[26:27], v76 offset:184
	v_and_b32_e32 v24, 0xffff, v24
	v_fmac_f32_e32 v62, v67, v81
	s_wait_dscnt 0x0
	v_and_b32_e32 v67, 0xffff, v26
	v_dual_lshrrev_b32 v26, 16, v26 :: v_dual_lshrrev_b32 v55, 16, v27
	v_and_b32_e32 v27, 0xffff, v27
	;;#ASMSTART
	v_cvt_f32_f16 v63, v67;
	;;#ASMEND
	;;#ASMSTART
	v_cvt_f32_f16 v26, v26;
	;;#ASMEND
	;; [unrolled: 3-line block ×8, first 2 shown]
	ds_load_b64 v[24:25], v76 offset:192
	v_lshrrev_b32_e32 v103, 16, v22
	v_and_b32_e32 v22, 0xffff, v22
	v_fmac_f32_e32 v62, v59, v53
	s_wait_loadcnt 0x6
	v_dual_fmac_f32 v66, v50, v54 :: v_dual_lshrrev_b32 v50, 16, v21
	v_and_b32_e32 v21, 0xffff, v21
	s_wait_loadcnt 0x5
	v_dual_fmac_f32 v62, v51, v52 :: v_dual_lshrrev_b32 v51, 16, v19
	s_delay_alu instid0(VALU_DEP_3) | instskip(SKIP_1) | instid1(VALU_DEP_3)
	v_fmac_f32_e32 v66, v47, v49
	v_and_b32_e32 v19, 0xffff, v19
	v_fmac_f32_e32 v62, v46, v48
	s_delay_alu instid0(VALU_DEP_1)
	v_fmac_f32_e32 v62, v86, v87
	s_wait_dscnt 0x0
	v_and_b32_e32 v57, 0xffff, v24
	v_dual_lshrrev_b32 v24, 16, v24 :: v_dual_lshrrev_b32 v53, 16, v25
	v_and_b32_e32 v25, 0xffff, v25
	;;#ASMSTART
	v_cvt_f32_f16 v57, v57;
	;;#ASMEND
	;;#ASMSTART
	v_cvt_f32_f16 v24, v24;
	;;#ASMEND
	;; [unrolled: 3-line block ×5, first 2 shown]
	v_lshrrev_b32_e32 v103, 16, v20
	;;#ASMSTART
	v_cvt_f32_f16 v53, v53;
	;;#ASMEND
	;;#ASMSTART
	v_cvt_f32_f16 v102, v23;
	;;#ASMEND
	;;#ASMSTART
	v_cvt_f32_f16 v60, v60;
	;;#ASMEND
	ds_load_b64 v[22:23], v76 offset:200
	v_and_b32_e32 v20, 0xffff, v20
	v_dual_fmac_f32 v64, v38, v56 :: v_dual_fmac_f32 v65, v39, v58
	s_wait_dscnt 0x0
	v_lshrrev_b32_e32 v39, 16, v23
	v_and_b32_e32 v38, 0xffff, v22
	v_lshrrev_b32_e32 v22, 16, v22
	v_and_b32_e32 v23, 0xffff, v23
	;;#ASMSTART
	v_cvt_f32_f16 v38, v38;
	;;#ASMEND
	;;#ASMSTART
	v_cvt_f32_f16 v22, v22;
	;;#ASMEND
	;;#ASMSTART
	v_cvt_f32_f16 v54, v20;
	;;#ASMEND
	;;#ASMSTART
	v_cvt_f32_f16 v56, v103;
	;;#ASMEND
	;;#ASMSTART
	v_cvt_f32_f16 v23, v23;
	;;#ASMEND
	;;#ASMSTART
	v_cvt_f32_f16 v39, v39;
	;;#ASMEND
	;;#ASMSTART
	v_cvt_f32_f16 v58, v21;
	;;#ASMEND
	;;#ASMSTART
	v_cvt_f32_f16 v50, v50;
	;;#ASMEND
	ds_load_b64 v[20:21], v76 offset:208
	v_lshrrev_b32_e32 v103, 16, v18
	v_and_b32_e32 v18, 0xffff, v18
	v_dual_fmac_f32 v64, v36, v83 :: v_dual_fmac_f32 v65, v37, v85
	s_delay_alu instid0(VALU_DEP_1) | instskip(SKIP_3) | instid1(VALU_DEP_3)
	v_dual_fmac_f32 v64, v34, v94 :: v_dual_fmac_f32 v65, v35, v97
	s_wait_loadcnt 0x3
	v_lshrrev_b32_e32 v34, 16, v15
	v_and_b32_e32 v15, 0xffff, v15
	v_fmac_f32_e32 v64, v32, v99
	s_delay_alu instid0(VALU_DEP_1)
	v_dual_fmac_f32 v62, v96, v44 :: v_dual_fmac_f32 v64, v30, v93
	s_wait_dscnt 0x0
	v_and_b32_e32 v47, 0xffff, v20
	v_dual_lshrrev_b32 v20, 16, v20 :: v_dual_lshrrev_b32 v36, 16, v21
	v_and_b32_e32 v21, 0xffff, v21
	;;#ASMSTART
	v_cvt_f32_f16 v47, v47;
	;;#ASMEND
	;;#ASMSTART
	v_cvt_f32_f16 v20, v20;
	;;#ASMEND
	;; [unrolled: 3-line block ×5, first 2 shown]
	v_lshrrev_b32_e32 v103, 16, v16
	;;#ASMSTART
	v_cvt_f32_f16 v36, v36;
	;;#ASMEND
	;;#ASMSTART
	v_cvt_f32_f16 v83, v19;
	;;#ASMEND
	;; [unrolled: 3-line block ×3, first 2 shown]
	ds_load_b64 v[18:19], v76 offset:216
	v_and_b32_e32 v16, 0xffff, v16
	v_lshrrev_b32_e32 v37, 16, v17
	v_and_b32_e32 v17, 0xffff, v17
	s_wait_dscnt 0x0
	v_dual_fmac_f32 v66, v84, v88 :: v_dual_lshrrev_b32 v48, 16, v19
	v_and_b32_e32 v46, 0xffff, v18
	v_lshrrev_b32_e32 v18, 16, v18
	v_and_b32_e32 v19, 0xffff, v19
	;;#ASMSTART
	v_cvt_f32_f16 v46, v46;
	;;#ASMEND
	;;#ASMSTART
	v_cvt_f32_f16 v18, v18;
	;;#ASMEND
	;; [unrolled: 3-line block ×8, first 2 shown]
	ds_load_b64 v[16:17], v76 offset:224
	v_lshrrev_b32_e32 v103, 16, v14
	v_and_b32_e32 v14, 0xffff, v14
	s_wait_loadcnt 0x2
	v_dual_fmac_f32 v66, v45, v98 :: v_dual_lshrrev_b32 v45, 16, v13
	s_wait_loadcnt 0x1
	v_dual_fmac_f32 v65, v33, v100 :: v_dual_lshrrev_b32 v98, 16, v10
	v_and_b32_e32 v13, 0xffff, v13
	s_delay_alu instid0(VALU_DEP_3) | instskip(SKIP_1) | instid1(VALU_DEP_2)
	v_fmac_f32_e32 v66, v42, v90
	v_and_b32_e32 v10, 0xffff, v10
	v_dual_fmac_f32 v65, v31, v95 :: v_dual_fmac_f32 v66, v41, v61
	s_wait_dscnt 0x0
	v_and_b32_e32 v35, 0xffff, v16
	v_dual_lshrrev_b32 v16, 16, v16 :: v_dual_lshrrev_b32 v86, 16, v17
	v_and_b32_e32 v17, 0xffff, v17
	;;#ASMSTART
	v_cvt_f32_f16 v35, v35;
	;;#ASMEND
	;;#ASMSTART
	v_cvt_f32_f16 v16, v16;
	;;#ASMEND
	;; [unrolled: 3-line block ×5, first 2 shown]
	v_lshrrev_b32_e32 v103, 16, v12
	;;#ASMSTART
	v_cvt_f32_f16 v86, v86;
	;;#ASMEND
	;;#ASMSTART
	v_cvt_f32_f16 v97, v15;
	;;#ASMEND
	;;#ASMSTART
	v_cvt_f32_f16 v34, v34;
	;;#ASMEND
	ds_load_b64 v[14:15], v76 offset:232
	v_dual_fmac_f32 v62, v43, v69 :: v_dual_fmac_f32 v64, v28, v68
	v_and_b32_e32 v12, 0xffff, v12
	s_wait_dscnt 0x0
	v_and_b32_e32 v30, 0xffff, v14
	v_dual_fmac_f32 v65, v29, v92 :: v_dual_lshrrev_b32 v14, 16, v14
	v_dual_fmac_f32 v62, v40, v82 :: v_dual_lshrrev_b32 v28, 16, v15
	v_and_b32_e32 v15, 0xffff, v15
	;;#ASMSTART
	v_cvt_f32_f16 v30, v30;
	;;#ASMEND
	;;#ASMSTART
	v_cvt_f32_f16 v14, v14;
	;;#ASMEND
	;; [unrolled: 3-line block ×8, first 2 shown]
	ds_load_b64 v[12:13], v76 offset:240
	v_dual_fmac_f32 v66, v63, v67 :: v_dual_fmac_f32 v64, v26, v81
	v_fmac_f32_e32 v65, v27, v91
	v_dual_lshrrev_b32 v26, 16, v11 :: v_dual_fmac_f32 v62, v55, v89
	v_and_b32_e32 v11, 0xffff, v11
	s_delay_alu instid0(VALU_DEP_4) | instskip(NEXT) | instid1(VALU_DEP_1)
	v_dual_fmac_f32 v64, v24, v101 :: v_dual_fmac_f32 v66, v57, v59
	v_dual_fmac_f32 v65, v25, v102 :: v_dual_fmac_f32 v64, v22, v56
	s_wait_loadcnt 0x0
	v_lshrrev_b32_e32 v22, 16, v8
	s_delay_alu instid0(VALU_DEP_2) | instskip(NEXT) | instid1(VALU_DEP_3)
	v_dual_fmac_f32 v62, v53, v60 :: v_dual_fmac_f32 v65, v23, v58
	v_dual_fmac_f32 v66, v38, v54 :: v_dual_fmac_f32 v64, v20, v52
	s_wait_xcnt 0x0
	v_and_b32_e32 v8, 0xffff, v8
	s_delay_alu instid0(VALU_DEP_3) | instskip(NEXT) | instid1(VALU_DEP_3)
	v_dual_fmac_f32 v62, v39, v50 :: v_dual_fmac_f32 v65, v21, v83
	v_fmac_f32_e32 v66, v47, v49
	s_wait_dscnt 0x0
	v_and_b32_e32 v20, 0xffff, v12
	v_dual_lshrrev_b32 v12, 16, v12 :: v_dual_lshrrev_b32 v21, 16, v13
	v_fmac_f32_e32 v62, v36, v51
	v_and_b32_e32 v13, 0xffff, v13
	;;#ASMSTART
	v_cvt_f32_f16 v20, v20;
	;;#ASMEND
	;;#ASMSTART
	v_cvt_f32_f16 v12, v12;
	;;#ASMEND
	;; [unrolled: 3-line block ×8, first 2 shown]
	ds_load_b64 v[10:11], v76 offset:248
	v_dual_fmac_f32 v64, v18, v85 :: v_dual_fmac_f32 v65, v19, v88
	s_delay_alu instid0(VALU_DEP_1) | instskip(SKIP_1) | instid1(VALU_DEP_2)
	v_dual_fmac_f32 v66, v46, v84 :: v_dual_fmac_f32 v64, v16, v94
	v_fmac_f32_e32 v62, v48, v37
	v_dual_fmac_f32 v66, v35, v87 :: v_dual_fmac_f32 v65, v17, v97
	s_delay_alu instid0(VALU_DEP_3) | instskip(NEXT) | instid1(VALU_DEP_3)
	v_dual_fmac_f32 v64, v14, v32 :: v_dual_lshrrev_b32 v16, 16, v9
	v_fmac_f32_e32 v62, v86, v34
	s_delay_alu instid0(VALU_DEP_3) | instskip(SKIP_1) | instid1(VALU_DEP_3)
	v_dual_fmac_f32 v66, v30, v31 :: v_dual_fmac_f32 v65, v15, v33
	v_and_b32_e32 v9, 0xffff, v9
	v_fmac_f32_e32 v62, v28, v41
	s_delay_alu instid0(VALU_DEP_3)
	v_dual_fmac_f32 v66, v20, v23 :: v_dual_fmac_f32 v65, v13, v25
	v_fmac_f32_e32 v64, v12, v24
	s_wait_dscnt 0x0
	v_and_b32_e32 v12, 0xffff, v10
	v_lshrrev_b32_e32 v10, 16, v10
	;;#ASMSTART
	v_cvt_f32_f16 v12, v12;
	;;#ASMEND
	;;#ASMSTART
	v_cvt_f32_f16 v10, v10;
	;;#ASMEND
	;; [unrolled: 3-line block ×3, first 2 shown]
	v_dual_fmac_f32 v62, v21, v26 :: v_dual_lshrrev_b32 v13, 16, v11
	v_fmac_f32_e32 v66, v12, v8
	v_and_b32_e32 v11, 0xffff, v11
	;;#ASMSTART
	v_cvt_f32_f16 v14, v22;
	;;#ASMEND
	;;#ASMSTART
	v_cvt_f32_f16 v8, v11;
	;;#ASMEND
	v_fmac_f32_e32 v64, v10, v14
	;;#ASMSTART
	v_cvt_f32_f16 v10, v13;
	;;#ASMEND
	;;#ASMSTART
	v_cvt_f32_f16 v9, v9;
	;;#ASMEND
	v_fmac_f32_e32 v65, v8, v9
	;;#ASMSTART
	v_cvt_f32_f16 v9, v16;
	;;#ASMEND
	v_fmac_f32_e32 v62, v10, v9
	v_cndmask_b32_e64 v9, v74, v79, s5
	s_delay_alu instid0(VALU_DEP_1) | instskip(NEXT) | instid1(VALU_DEP_1)
	v_dual_add_f32 v8, v66, v64 :: v_dual_lshlrev_b32 v9, 2, v9
	v_add_f32_e32 v8, v8, v65
	s_delay_alu instid0(VALU_DEP_1)
	v_add_f32_e32 v8, v62, v8
	ds_bpermute_b32 v9, v9, v8
	s_and_saveexec_b32 s26, vcc_lo
	s_cbranch_execz .LBB89_8
; %bb.10:                               ;   in Loop: Header=BB89_9 Depth=1
	s_wait_dscnt 0x0
	v_add_f32_e32 v8, v8, v9
	v_add_nc_u32_e32 v10, s17, v77
	v_cmp_gt_i32_e64 s5, s23, v77
	s_delay_alu instid0(VALU_DEP_2) | instskip(NEXT) | instid1(VALU_DEP_1)
	v_cvt_f32_i32_e32 v10, v10
	v_mul_f32_e32 v10, s24, v10
	s_delay_alu instid0(VALU_DEP_1) | instskip(NEXT) | instid1(VALU_DEP_1)
	v_dual_cndmask_b32 v9, 0, v10, s4 :: v_dual_max_num_f32 v10, v75, v75
	v_fmac_f32_e32 v9, s11, v8
	s_delay_alu instid0(VALU_DEP_1) | instskip(NEXT) | instid1(VALU_DEP_1)
	v_dual_max_num_f32 v8, v10, v9 :: v_dual_cndmask_b32 v9, 0, v9, s5
	v_cndmask_b32_e64 v75, v75, v8, s5
	ds_store_b32 v78, v9
	s_branch .LBB89_8
.LBB89_11:
	s_or_b32 exec_lo, exec_lo, s10
.LBB89_12:
	s_delay_alu instid0(SALU_CYCLE_1)
	s_or_b32 exec_lo, exec_lo, s25
	v_dual_max_num_f32 v7, v75, v75 :: v_dual_bitop2_b32 v4, 16, v74 bitop3:0x14
	s_clause 0x1
	s_load_b64 s[10:11], s[0:1], 0x0
	s_load_b64 s[18:19], s[0:1], 0x18
	v_xor_b32_e32 v6, 8, v74
	v_xor_b32_e32 v8, 4, v74
	v_cmp_lt_i32_e32 vcc_lo, v4, v2
	v_and_b32_e32 v29, 31, v0
	v_cndmask_b32_e32 v4, v74, v4, vcc_lo
	v_cmp_lt_i32_e32 vcc_lo, v6, v2
	s_delay_alu instid0(VALU_DEP_2) | instskip(SKIP_4) | instid1(VALU_DEP_1)
	v_dual_cndmask_b32 v6, v74, v6 :: v_dual_lshlrev_b32 v5, 2, v4
	v_cmp_lt_i32_e32 vcc_lo, v8, v2
	ds_bpermute_b32 v4, v5, v75
	s_wait_dscnt 0x0
	v_dual_lshlrev_b32 v6, 2, v6 :: v_dual_max_num_f32 v4, v4, v4
	v_max_num_f32_e32 v4, v7, v4
	ds_bpermute_b32 v7, v6, v4
	s_wait_dscnt 0x0
	v_dual_cndmask_b32 v8, v74, v8 :: v_dual_max_num_f32 v9, v7, v7
	s_delay_alu instid0(VALU_DEP_1) | instskip(SKIP_3) | instid1(VALU_DEP_1)
	v_dual_max_num_f32 v4, v4, v9 :: v_dual_lshlrev_b32 v7, 2, v8
	ds_bpermute_b32 v8, v7, v4
	s_wait_dscnt 0x0
	v_dual_max_num_f32 v8, v8, v8 :: v_dual_bitop2_b32 v9, 2, v74 bitop3:0x14
	v_cmp_lt_i32_e32 vcc_lo, v9, v2
	s_delay_alu instid0(VALU_DEP_2) | instskip(SKIP_2) | instid1(VALU_DEP_3)
	v_dual_cndmask_b32 v10, v74, v9 :: v_dual_max_num_f32 v9, v4, v8
	v_lshlrev_b32_e32 v8, 2, v72
	v_cmp_eq_u32_e32 vcc_lo, 0, v29
	v_lshlrev_b32_e32 v4, 2, v10
	ds_bpermute_b32 v10, v4, v9
	s_wait_xcnt 0x0
	s_and_saveexec_b32 s0, vcc_lo
	s_cbranch_execz .LBB89_14
; %bb.13:
	s_wait_dscnt 0x0
	v_dual_max_num_f32 v10, v10, v10 :: v_dual_max_num_f32 v9, v9, v9
	s_delay_alu instid0(VALU_DEP_1)
	v_max_num_f32_e32 v9, v9, v10
	ds_store_b32 v8, v9 offset:512
.LBB89_14:
	s_or_b32 exec_lo, exec_lo, s0
	v_cmp_gt_u32_e64 s0, 4, v29
	s_wait_dscnt 0x0
	v_dual_mov_b32 v10, 0xff7fffff :: v_dual_lshlrev_b32 v9, 2, v29
	s_barrier_signal -1
	s_barrier_wait -1
	s_and_saveexec_b32 s1, s0
; %bb.15:
	ds_load_b32 v10, v9 offset:512
; %bb.16:
	s_or_b32 exec_lo, exec_lo, s1
	s_wait_dscnt 0x0
	ds_bpermute_b32 v11, v4, v10
	v_xor_b32_e32 v12, 1, v74
	v_dual_max_num_f32 v10, v10, v10 :: v_dual_lshlrev_b32 v3, 2, v3
	s_wait_dscnt 0x0
	v_max_num_f32_e32 v11, v11, v11
	s_delay_alu instid0(VALU_DEP_3) | instskip(NEXT) | instid1(VALU_DEP_1)
	v_cmp_lt_i32_e64 s1, v12, v2
	v_cndmask_b32_e64 v2, v74, v12, s1
	s_lshl_b32 s1, s8, 4
	s_delay_alu instid0(SALU_CYCLE_1) | instskip(NEXT) | instid1(VALU_DEP_1)
	s_min_i32 s5, s1, s23
	v_dual_lshlrev_b32 v30, 2, v2 :: v_dual_max_num_f32 v2, v10, v11
	v_cmp_gt_i32_e64 s1, s5, v0
	ds_bpermute_b32 v10, v30, v2
	s_wait_dscnt 0x0
	v_max_num_f32_e32 v10, v10, v10
	s_delay_alu instid0(VALU_DEP_1)
	v_max_num_f32_e32 v2, v2, v10
	ds_bpermute_b32 v3, v3, v2
	v_mov_b32_e32 v2, 0
	s_and_saveexec_b32 s17, s1
	s_cbranch_execz .LBB89_20
; %bb.17:
	v_lshl_add_u32 v10, v0, 2, 0x220
	v_dual_mov_b32 v2, 0 :: v_dual_mov_b32 v11, v0
	s_mov_b32 s24, 0
.LBB89_18:                              ; =>This Inner Loop Header: Depth=1
	ds_load_b32 v12, v10
	s_wait_dscnt 0x0
	v_sub_f32_e32 v12, v12, v3
	s_delay_alu instid0(VALU_DEP_1) | instskip(NEXT) | instid1(VALU_DEP_1)
	v_mul_f32_e32 v12, 0x3fb8aa3b, v12
	v_exp_f32_e32 v12, v12
	v_nop
	s_delay_alu instid0(TRANS32_DEP_1) | instskip(NEXT) | instid1(VALU_DEP_1)
	v_dual_add_f32 v2, v2, v12 :: v_dual_add_nc_u32 v11, 0x80, v11
	v_cmp_le_i32_e64 s4, s5, v11
	ds_store_b32 v10, v12
	v_add_nc_u32_e32 v10, 0x200, v10
	s_or_b32 s24, s4, s24
	s_delay_alu instid0(SALU_CYCLE_1)
	s_and_not1_b32 exec_lo, exec_lo, s24
	s_cbranch_execnz .LBB89_18
; %bb.19:
	s_or_b32 exec_lo, exec_lo, s24
.LBB89_20:
	s_delay_alu instid0(SALU_CYCLE_1)
	s_or_b32 exec_lo, exec_lo, s17
	s_wait_dscnt 0x0
	ds_bpermute_b32 v3, v5, v2
	s_wait_dscnt 0x0
	v_add_f32_e32 v2, v2, v3
	ds_bpermute_b32 v3, v6, v2
	s_wait_dscnt 0x0
	v_add_f32_e32 v2, v2, v3
	;; [unrolled: 3-line block ×5, first 2 shown]
	s_and_saveexec_b32 s4, vcc_lo
; %bb.21:
	ds_store_b32 v8, v2 offset:528
; %bb.22:
	s_or_b32 exec_lo, exec_lo, s4
	s_wait_dscnt 0x0
	s_barrier_signal -1
	s_barrier_wait -1
	s_and_saveexec_b32 s4, s0
; %bb.23:
	ds_load_b32 v2, v9 offset:528
; %bb.24:
	s_or_b32 exec_lo, exec_lo, s4
	s_wait_dscnt 0x0
	ds_bpermute_b32 v3, v4, v2
	s_wait_dscnt 0x0
	v_dual_lshlrev_b32 v4, 2, v74 :: v_dual_add_f32 v2, v2, v3
	ds_bpermute_b32 v3, v30, v2
	s_wait_dscnt 0x0
	v_add_f32_e32 v2, v2, v3
	v_and_b32_e32 v3, 0xffffff80, v4
	ds_bpermute_b32 v2, v3, v2
	s_and_saveexec_b32 s0, s1
	s_cbranch_execz .LBB89_37
; %bb.25:
	s_wait_dscnt 0x0
	v_add_f32_e32 v2, 0x358637bd, v2
	s_mov_b32 s4, -1
	s_mov_b32 s1, exec_lo
	s_delay_alu instid0(VALU_DEP_1) | instskip(NEXT) | instid1(VALU_DEP_1)
	v_div_scale_f32 v3, null, v2, v2, 1.0
	v_rcp_f32_e32 v5, v3
	v_nop
	s_delay_alu instid0(TRANS32_DEP_1) | instskip(NEXT) | instid1(VALU_DEP_1)
	v_fma_f32 v4, -v3, v5, 1.0
	v_fmac_f32_e32 v5, v4, v5
	v_div_scale_f32 v6, vcc_lo, 1.0, v2, 1.0
	s_delay_alu instid0(VALU_DEP_1) | instskip(NEXT) | instid1(VALU_DEP_1)
	v_mul_f32_e32 v7, v6, v5
	v_fma_f32 v4, -v3, v7, v6
	s_delay_alu instid0(VALU_DEP_1) | instskip(SKIP_1) | instid1(VALU_DEP_2)
	v_fmac_f32_e32 v7, v4, v5
	v_xad_u32 v4, v0, -1, s5
	v_fma_f32 v3, -v3, v7, v6
	s_delay_alu instid0(VALU_DEP_1) | instskip(NEXT) | instid1(VALU_DEP_1)
	v_div_fmas_f32 v3, v3, v5, v7
	v_div_fixup_f32 v2, v3, v2, 1.0
	v_mov_b32_e32 v3, v0
	v_cmpx_lt_u32_e32 0x7f, v4
	s_cbranch_execz .LBB89_34
; %bb.26:
	s_delay_alu instid0(VALU_DEP_3) | instskip(NEXT) | instid1(VALU_DEP_1)
	v_dual_mov_b32 v3, v2 :: v_dual_lshrrev_b32 v4, 7, v4
	v_dual_mov_b32 v8, 0 :: v_dual_add_nc_u32 v5, -1, v4
	s_delay_alu instid0(VALU_DEP_1) | instskip(SKIP_1) | instid1(VALU_DEP_2)
	v_lshrrev_b32_e32 v6, 1, v5
	v_cmp_lt_u32_e32 vcc_lo, 13, v5
	v_add_nc_u32_e32 v5, 1, v6
	s_and_saveexec_b32 s4, vcc_lo
	s_cbranch_execz .LBB89_30
; %bb.27:
	s_delay_alu instid0(VALU_DEP_1)
	v_and_b32_e32 v6, -8, v5
	v_lshl_add_u32 v7, v0, 2, 0x220
	s_mov_b32 s17, 0
	s_mov_b32 s24, 0
.LBB89_28:                              ; =>This Inner Loop Header: Depth=1
	ds_load_2addr_stride64_b32 v[8:9], v7 offset1:2
	ds_load_2addr_stride64_b32 v[10:11], v7 offset0:4 offset1:6
	ds_load_2addr_stride64_b32 v[12:13], v7 offset0:8 offset1:10
	;; [unrolled: 1-line block ×7, first 2 shown]
	s_add_co_i32 s24, s24, 16
	v_add_nc_u32_e32 v6, -8, v6
	s_wait_dscnt 0x7
	v_pk_mul_f32 v[8:9], v[2:3], v[8:9]
	s_wait_dscnt 0x6
	v_pk_mul_f32 v[10:11], v[2:3], v[10:11]
	s_wait_dscnt 0x5
	v_pk_mul_f32 v[12:13], v[2:3], v[12:13]
	s_wait_dscnt 0x4
	v_pk_mul_f32 v[14:15], v[2:3], v[14:15]
	s_wait_dscnt 0x3
	v_pk_mul_f32 v[16:17], v[2:3], v[16:17]
	s_wait_dscnt 0x2
	v_pk_mul_f32 v[18:19], v[2:3], v[18:19]
	s_wait_dscnt 0x1
	v_pk_mul_f32 v[20:21], v[2:3], v[20:21]
	s_wait_dscnt 0x0
	v_pk_mul_f32 v[22:23], v[2:3], v[22:23]
	ds_store_2addr_stride64_b32 v7, v8, v9 offset1:2
	ds_store_2addr_stride64_b32 v7, v10, v11 offset0:4 offset1:6
	ds_store_2addr_stride64_b32 v7, v12, v13 offset0:8 offset1:10
	;; [unrolled: 1-line block ×7, first 2 shown]
	v_mov_b32_e32 v8, s24
	v_cmp_eq_u32_e32 vcc_lo, 0, v6
	v_add_nc_u32_e32 v7, 0x2000, v7
	s_or_b32 s17, vcc_lo, s17
	s_delay_alu instid0(SALU_CYCLE_1)
	s_and_not1_b32 exec_lo, exec_lo, s17
	s_cbranch_execnz .LBB89_28
; %bb.29:
	s_or_b32 exec_lo, exec_lo, s17
.LBB89_30:
	s_delay_alu instid0(SALU_CYCLE_1) | instskip(NEXT) | instid1(VALU_DEP_1)
	s_or_b32 exec_lo, exec_lo, s4
	v_and_b32_e32 v5, 7, v5
	s_mov_b32 s17, 0
	s_mov_b32 s4, exec_lo
	s_delay_alu instid0(VALU_DEP_1)
	v_cmpx_ne_u32_e32 0, v5
	s_cbranch_execz .LBB89_33
; %bb.31:
	v_lshlrev_b32_e32 v6, 9, v8
	v_lshlrev_b32_e32 v7, 2, v0
	s_delay_alu instid0(VALU_DEP_1)
	v_add3_u32 v6, v6, v7, 0x220
.LBB89_32:                              ; =>This Inner Loop Header: Depth=1
	ds_load_2addr_stride64_b32 v[8:9], v6 offset1:2
	v_add_nc_u32_e32 v5, -1, v5
	s_delay_alu instid0(VALU_DEP_1)
	v_cmp_eq_u32_e32 vcc_lo, 0, v5
	s_or_b32 s17, vcc_lo, s17
	s_wait_dscnt 0x0
	v_pk_mul_f32 v[8:9], v[2:3], v[8:9]
	ds_store_2addr_stride64_b32 v6, v8, v9 offset1:2
	v_add_nc_u32_e32 v6, 0x400, v6
	s_and_not1_b32 exec_lo, exec_lo, s17
	s_cbranch_execnz .LBB89_32
.LBB89_33:
	s_or_b32 exec_lo, exec_lo, s4
	v_add_nc_u32_e32 v3, 1, v4
	s_delay_alu instid0(VALU_DEP_1) | instskip(NEXT) | instid1(VALU_DEP_1)
	v_and_b32_e32 v4, 0x3fffffe, v3
	v_cmp_ne_u32_e32 vcc_lo, v3, v4
	v_lshl_add_u32 v3, v4, 7, v0
	s_or_not1_b32 s4, vcc_lo, exec_lo
.LBB89_34:
	s_or_b32 exec_lo, exec_lo, s1
	s_delay_alu instid0(SALU_CYCLE_1)
	s_and_b32 exec_lo, exec_lo, s4
	s_cbranch_execz .LBB89_37
; %bb.35:
	v_lshl_add_u32 v4, v3, 2, 0x220
	s_mov_b32 s1, 0
.LBB89_36:                              ; =>This Inner Loop Header: Depth=1
	ds_load_b32 v5, v4
	v_add_nc_u32_e32 v3, 0x80, v3
	s_delay_alu instid0(VALU_DEP_1)
	v_cmp_le_i32_e32 vcc_lo, s5, v3
	s_or_b32 s1, vcc_lo, s1
	s_wait_dscnt 0x0
	v_mul_f32_e32 v5, v2, v5
	ds_store_b32 v4, v5
	v_add_nc_u32_e32 v4, 0x200, v4
	s_and_not1_b32 exec_lo, exec_lo, s1
	s_cbranch_execnz .LBB89_36
.LBB89_37:
	s_or_b32 exec_lo, exec_lo, s0
	v_mov_b32_e32 v7, 0
	s_wait_dscnt 0x0
	s_barrier_signal -1
	s_barrier_wait -1
	s_delay_alu instid0(VALU_DEP_1)
	v_dual_mov_b32 v6, v7 :: v_dual_mov_b32 v9, v7
	v_dual_mov_b32 v8, v7 :: v_dual_mov_b32 v11, v7
	v_dual_mov_b32 v10, v7 :: v_dual_mov_b32 v13, v7
	v_dual_mov_b32 v12, v7 :: v_dual_mov_b32 v15, v7
	v_dual_mov_b32 v14, v7 :: v_dual_mov_b32 v17, v7
	v_dual_mov_b32 v16, v7 :: v_dual_mov_b32 v19, v7
	v_dual_mov_b32 v18, v7 :: v_dual_mov_b32 v21, v7
	v_mov_b32_e32 v20, v7
	s_and_saveexec_b32 s1, s3
	s_cbranch_execz .LBB89_73
; %bb.38:
	v_dual_lshlrev_b32 v2, 4, v0 :: v_dual_bitop2_b32 v3, 8, v73 bitop3:0x40
	s_ashr_i32 s17, s16, 31
	v_dual_mov_b32 v7, 0 :: v_dual_lshlrev_b32 v4, 5, v71
	s_delay_alu instid0(VALU_DEP_2)
	v_and_b32_e32 v6, 0x1f0, v2
	s_lshl_b64 s[16:17], s[16:17], 1
	s_lshl_b64 s[12:13], s[12:13], 2
	s_wait_kmcnt 0x0
	s_add_nc_u64 s[16:17], s[18:19], s[16:17]
	v_lshl_or_b32 v2, v72, 6, v4
	v_add_nc_u64_e32 v[22:23], s[16:17], v[6:7]
	v_and_b32_e32 v6, 0x7c, v1
	s_add_nc_u64 s[12:13], s[14:15], s[12:13]
	v_lshl_or_b32 v31, v72, 4, v3
	v_dual_mov_b32 v9, v7 :: v_dual_add_nc_u32 v32, 0x220, v2
	s_delay_alu instid0(VALU_DEP_3)
	v_add_nc_u64_e32 v[24:25], s[12:13], v[6:7]
	v_dual_mov_b32 v6, v7 :: v_dual_mov_b32 v8, v7
	v_dual_mov_b32 v11, v7 :: v_dual_mov_b32 v10, v7
	;; [unrolled: 1-line block ×7, first 2 shown]
	v_mov_b32_e32 v33, v72
	s_ashr_i32 s5, s9, 31
	s_mov_b32 s4, s9
	s_add_co_i32 s3, s8, -1
	s_mov_b32 s12, s23
	s_mov_b32 s9, 0
	s_branch .LBB89_40
.LBB89_39:                              ;   in Loop: Header=BB89_40 Depth=1
	s_or_b32 exec_lo, exec_lo, s0
	v_dual_add_f32 v28, v28, v41 :: v_dual_add_f32 v34, v75, v76
	v_dual_add_f32 v35, v73, v74 :: v_dual_add_f32 v36, v68, v69
	v_add_f32_e32 v37, v66, v67
	s_delay_alu instid0(VALU_DEP_3)
	v_dual_add_f32 v6, v6, v28 :: v_dual_add_f32 v9, v9, v34
	v_dual_add_f32 v28, v64, v65 :: v_dual_add_f32 v34, v62, v63
	v_dual_lshlrev_b32 v26, 16, v26 :: v_dual_lshlrev_b32 v1, 16, v1
	v_lshlrev_b32_e32 v27, 16, v27
	v_dual_add_f32 v8, v8, v35 :: v_dual_add_f32 v11, v11, v36
	v_add_f32_e32 v10, v10, v37
	v_dual_add_f32 v35, v60, v61 :: v_dual_add_f32 v36, v58, v59
	v_dual_add_f32 v37, v56, v57 :: v_dual_add_f32 v13, v13, v28
	s_delay_alu instid0(VALU_DEP_2)
	v_dual_add_f32 v12, v12, v34 :: v_dual_add_f32 v15, v15, v35
	v_dual_add_f32 v34, v52, v53 :: v_dual_add_f32 v28, v54, v55
	v_and_or_b32 v2, 0xffff, v2, v26
	v_and_or_b32 v1, 0xffff, v3, v1
	;; [unrolled: 1-line block ×3, first 2 shown]
	;;#ASMSTART
	v_pk_mul_f16 v2, v43, v2;

	;;#ASMEND
	;;#ASMSTART
	v_pk_mul_f16 v1, v42, v1;

	;;#ASMEND
	;; [unrolled: 4-line block ×4, first 2 shown]
	;;#ASMSTART
	v_pk_add_f16 v1, v2, v1;

	;;#ASMEND
	;;#ASMSTART
	v_pk_add_f16 v1, v1, v3;

	;;#ASMEND
	;; [unrolled: 4-line block ×3, first 2 shown]
	v_dual_add_f32 v19, v19, v34 :: v_dual_add_f32 v16, v16, v28
	v_lshrrev_b32_e32 v5, 16, v1
	v_and_b32_e32 v4, 0xffff, v1
	v_dual_add_f32 v1, v50, v51 :: v_dual_add_f32 v2, v48, v49
	v_add_nc_u32_e32 v33, 4, v33
	;;#ASMSTART
	v_cvt_f32_f16 v4, v4;
	;;#ASMEND
	;;#ASMSTART
	v_cvt_f32_f16 v5, v5;
	;;#ASMEND
	v_dual_add_f32 v3, v46, v47 :: v_dual_add_f32 v4, v4, v5
	v_add_f32_e32 v21, v21, v2
	v_cmp_le_i32_e32 vcc_lo, s8, v33
	v_add_nc_u64_e32 v[24:25], 16, v[24:25]
	v_dual_add_f32 v14, v14, v36 :: v_dual_add_f32 v17, v17, v37
	v_dual_add_f32 v18, v18, v1 :: v_dual_add_f32 v20, v20, v3
	v_dual_add_f32 v7, v7, v4 :: v_dual_add_nc_u32 v31, 64, v31
	v_add_nc_u32_e32 v32, 0x100, v32
	s_or_b32 s9, vcc_lo, s9
	s_delay_alu instid0(SALU_CYCLE_1)
	s_and_not1_b32 exec_lo, exec_lo, s9
	s_cbranch_execz .LBB89_72
.LBB89_40:                              ; =>This Inner Loop Header: Depth=1
	global_load_b32 v2, v[24:25], off
	v_cmp_eq_u32_e32 vcc_lo, s3, v33
	v_dual_add_nc_u32 v39, 2, v31 :: v_dual_bitop2_b32 v38, 1, v31 bitop3:0x54
	s_wait_loadcnt 0x0
	v_ashrrev_i32_e32 v3, 31, v2
	s_delay_alu instid0(VALU_DEP_1)
	v_mul_u64_e32 v[26:27], s[4:5], v[2:3]
	ds_load_2addr_b64 v[2:5], v32 offset1:1
	ds_load_2addr_b64 v[34:37], v32 offset0:2 offset1:3
	s_wait_dscnt 0x1
	;;#ASMSTART
	v_cvt_f16_f32 v43, v2;

	;;#ASMEND
	;;#ASMSTART
	v_cvt_f16_f32 v42, v3;

	;;#ASMEND
	;; [unrolled: 4-line block ×4, first 2 shown]
	s_wait_dscnt 0x0
	;;#ASMSTART
	v_cvt_f16_f32 v49, v34;

	;;#ASMEND
	;;#ASMSTART
	v_cvt_f16_f32 v44, v35;

	;;#ASMEND
	;; [unrolled: 4-line block ×4, first 2 shown]
	v_dual_add_nc_u32 v35, 4, v31 :: v_dual_add_nc_u32 v34, 5, v31
	v_dual_add_nc_u32 v37, 6, v31 :: v_dual_add_nc_u32 v36, 7, v31
	v_lshl_add_u64 v[26:27], v[26:27], 1, v[22:23]
	global_load_b128 v[2:5], v[26:27], off
	s_wait_loadcnt 0x0
	v_dual_lshrrev_b32 v28, 16, v2 :: v_dual_bitop2_b32 v40, 3, v31 bitop3:0x54
	v_dual_lshrrev_b32 v1, 16, v3 :: v_dual_lshrrev_b32 v41, 16, v4
	s_and_saveexec_b32 s13, vcc_lo
	s_cbranch_execz .LBB89_42
; %bb.41:                               ;   in Loop: Header=BB89_40 Depth=1
	v_cmp_gt_i32_e64 s0, s23, v31
	v_and_b32_e32 v50, 0xffff, v5
	v_and_b32_e32 v5, 0xffff0000, v5
	s_delay_alu instid0(VALU_DEP_3) | instskip(SKIP_1) | instid1(VALU_DEP_1)
	v_cndmask_b32_e64 v2, 0, v2, s0
	v_cmp_gt_i32_e64 s0, s23, v39
	v_cndmask_b32_e64 v3, 0, v3, s0
	v_cmp_gt_i32_e64 s0, s12, v40
	s_delay_alu instid0(VALU_DEP_1) | instskip(SKIP_1) | instid1(VALU_DEP_1)
	v_cndmask_b32_e64 v1, 0, v1, s0
	v_cmp_gt_i32_e64 s0, s23, v38
	v_cndmask_b32_e64 v28, 0, v28, s0
	v_cmp_gt_i32_e64 s0, s23, v37
	s_delay_alu instid0(VALU_DEP_1) | instskip(SKIP_1) | instid1(VALU_DEP_1)
	;; [unrolled: 5-line block ×3, first 2 shown]
	v_dual_cndmask_b32 v4, 0, v4, s0 :: v_dual_bitop2_b32 v5, v50, v5 bitop3:0x54
	v_cmp_gt_i32_e64 s0, s23, v34
	v_cndmask_b32_e64 v41, 0, v41, s0
.LBB89_42:                              ;   in Loop: Header=BB89_40 Depth=1
	s_or_b32 exec_lo, exec_lo, s13
	v_and_b32_e32 v43, 0xffff, v43
	v_and_b32_e32 v48, 0xffff, v48
	v_dual_lshlrev_b32 v28, 16, v28 :: v_dual_lshlrev_b32 v1, 16, v1
	v_lshlrev_b32_e32 v41, 16, v41
	v_and_b32_e32 v49, 0xffff, v49
	v_lshl_or_b32 v43, v42, 16, v43
	v_lshl_or_b32 v42, v46, 16, v48
	v_and_b32_e32 v46, 0xffff, v47
	v_and_or_b32 v2, 0xffff, v2, v28
	v_and_or_b32 v1, 0xffff, v3, v1
	v_and_or_b32 v3, 0xffff, v4, v41
	;;#ASMSTART
	v_pk_mul_f16 v2, v43, v2;

	;;#ASMEND
	;;#ASMSTART
	v_pk_mul_f16 v1, v42, v1;

	;;#ASMEND
	v_lshl_or_b32 v44, v44, 16, v49
	v_lshl_or_b32 v45, v45, 16, v46
	;;#ASMSTART
	v_pk_mul_f16 v3, v44, v3;

	;;#ASMEND
	;;#ASMSTART
	v_pk_mul_f16 v4, v45, v5;

	;;#ASMEND
	;;#ASMSTART
	v_pk_add_f16 v1, v2, v1;

	;;#ASMEND
	;;#ASMSTART
	v_pk_add_f16 v1, v1, v3;
	;; [unrolled: 4-line block ×3, first 2 shown]

	;;#ASMEND
	v_and_b32_e32 v2, 0xffff, v1
	v_lshrrev_b32_e32 v1, 16, v1
	;;#ASMSTART
	v_cvt_f32_f16 v46, v2;
	;;#ASMEND
	;;#ASMSTART
	v_cvt_f32_f16 v47, v1;
	;;#ASMEND
	global_load_b128 v[2:5], v[26:27], off offset:512
	s_wait_loadcnt 0x0
	v_dual_lshrrev_b32 v1, 16, v3 :: v_dual_lshrrev_b32 v28, 16, v2
	v_lshrrev_b32_e32 v41, 16, v4
	s_and_saveexec_b32 s13, vcc_lo
	s_cbranch_execz .LBB89_44
; %bb.43:                               ;   in Loop: Header=BB89_40 Depth=1
	v_cmp_gt_i32_e64 s0, s23, v31
	v_and_b32_e32 v48, 0xffff, v5
	v_and_b32_e32 v5, 0xffff0000, v5
	s_delay_alu instid0(VALU_DEP_3) | instskip(SKIP_1) | instid1(VALU_DEP_1)
	v_cndmask_b32_e64 v2, 0, v2, s0
	v_cmp_gt_i32_e64 s0, s23, v39
	v_cndmask_b32_e64 v3, 0, v3, s0
	v_cmp_gt_i32_e64 s0, s12, v40
	s_delay_alu instid0(VALU_DEP_1) | instskip(SKIP_1) | instid1(VALU_DEP_1)
	v_cndmask_b32_e64 v1, 0, v1, s0
	v_cmp_gt_i32_e64 s0, s23, v38
	v_cndmask_b32_e64 v28, 0, v28, s0
	v_cmp_gt_i32_e64 s0, s23, v37
	s_delay_alu instid0(VALU_DEP_1) | instskip(SKIP_1) | instid1(VALU_DEP_1)
	v_cndmask_b32_e64 v48, 0, v48, s0
	v_cmp_gt_i32_e64 s0, s23, v36
	v_cndmask_b32_e64 v5, 0, v5, s0
	v_cmp_gt_i32_e64 s0, s23, v35
	s_delay_alu instid0(VALU_DEP_1) | instskip(SKIP_1) | instid1(VALU_DEP_1)
	v_dual_cndmask_b32 v4, 0, v4, s0 :: v_dual_bitop2_b32 v5, v48, v5 bitop3:0x54
	v_cmp_gt_i32_e64 s0, s23, v34
	v_cndmask_b32_e64 v41, 0, v41, s0
.LBB89_44:                              ;   in Loop: Header=BB89_40 Depth=1
	s_or_b32 exec_lo, exec_lo, s13
	v_dual_lshlrev_b32 v28, 16, v28 :: v_dual_lshlrev_b32 v1, 16, v1
	s_delay_alu instid0(VALU_DEP_2) | instskip(NEXT) | instid1(VALU_DEP_2)
	v_lshlrev_b32_e32 v41, 16, v41
	v_and_or_b32 v2, 0xffff, v2, v28
	s_delay_alu instid0(VALU_DEP_3) | instskip(NEXT) | instid1(VALU_DEP_3)
	v_and_or_b32 v1, 0xffff, v3, v1
	v_and_or_b32 v3, 0xffff, v4, v41
	;;#ASMSTART
	v_pk_mul_f16 v2, v43, v2;

	;;#ASMEND
	;;#ASMSTART
	v_pk_mul_f16 v1, v42, v1;

	;;#ASMEND
	;;#ASMSTART
	v_pk_mul_f16 v3, v44, v3;

	;;#ASMEND
	;;#ASMSTART
	v_pk_mul_f16 v4, v45, v5;

	;;#ASMEND
	;;#ASMSTART
	v_pk_add_f16 v1, v2, v1;

	;;#ASMEND
	;;#ASMSTART
	v_pk_add_f16 v1, v1, v3;

	;;#ASMEND
	;; [unrolled: 4-line block ×3, first 2 shown]
	v_and_b32_e32 v2, 0xffff, v1
	v_lshrrev_b32_e32 v1, 16, v1
	;;#ASMSTART
	v_cvt_f32_f16 v48, v2;
	;;#ASMEND
	;;#ASMSTART
	v_cvt_f32_f16 v49, v1;
	;;#ASMEND
	global_load_b128 v[2:5], v[26:27], off offset:1024
	s_wait_loadcnt 0x0
	v_dual_lshrrev_b32 v1, 16, v3 :: v_dual_lshrrev_b32 v28, 16, v2
	v_lshrrev_b32_e32 v41, 16, v4
	s_and_saveexec_b32 s13, vcc_lo
	s_cbranch_execz .LBB89_46
; %bb.45:                               ;   in Loop: Header=BB89_40 Depth=1
	v_cmp_gt_i32_e64 s0, s23, v31
	v_and_b32_e32 v50, 0xffff, v5
	v_and_b32_e32 v5, 0xffff0000, v5
	s_delay_alu instid0(VALU_DEP_3) | instskip(SKIP_1) | instid1(VALU_DEP_1)
	v_cndmask_b32_e64 v2, 0, v2, s0
	v_cmp_gt_i32_e64 s0, s23, v39
	v_cndmask_b32_e64 v3, 0, v3, s0
	v_cmp_gt_i32_e64 s0, s12, v40
	s_delay_alu instid0(VALU_DEP_1) | instskip(SKIP_1) | instid1(VALU_DEP_1)
	v_cndmask_b32_e64 v1, 0, v1, s0
	v_cmp_gt_i32_e64 s0, s23, v38
	v_cndmask_b32_e64 v28, 0, v28, s0
	v_cmp_gt_i32_e64 s0, s23, v37
	s_delay_alu instid0(VALU_DEP_1) | instskip(SKIP_1) | instid1(VALU_DEP_1)
	;; [unrolled: 5-line block ×3, first 2 shown]
	v_dual_cndmask_b32 v4, 0, v4, s0 :: v_dual_bitop2_b32 v5, v50, v5 bitop3:0x54
	v_cmp_gt_i32_e64 s0, s23, v34
	v_cndmask_b32_e64 v41, 0, v41, s0
.LBB89_46:                              ;   in Loop: Header=BB89_40 Depth=1
	s_or_b32 exec_lo, exec_lo, s13
	v_dual_lshlrev_b32 v28, 16, v28 :: v_dual_lshlrev_b32 v1, 16, v1
	s_delay_alu instid0(VALU_DEP_2) | instskip(NEXT) | instid1(VALU_DEP_2)
	v_lshlrev_b32_e32 v41, 16, v41
	v_and_or_b32 v2, 0xffff, v2, v28
	s_delay_alu instid0(VALU_DEP_3) | instskip(NEXT) | instid1(VALU_DEP_3)
	v_and_or_b32 v1, 0xffff, v3, v1
	v_and_or_b32 v3, 0xffff, v4, v41
	;;#ASMSTART
	v_pk_mul_f16 v2, v43, v2;

	;;#ASMEND
	;;#ASMSTART
	v_pk_mul_f16 v1, v42, v1;

	;;#ASMEND
	;; [unrolled: 4-line block ×4, first 2 shown]
	;;#ASMSTART
	v_pk_add_f16 v1, v2, v1;

	;;#ASMEND
	;;#ASMSTART
	v_pk_add_f16 v1, v1, v3;

	;;#ASMEND
	;; [unrolled: 4-line block ×3, first 2 shown]
	v_and_b32_e32 v2, 0xffff, v1
	v_lshrrev_b32_e32 v1, 16, v1
	;;#ASMSTART
	v_cvt_f32_f16 v50, v2;
	;;#ASMEND
	;;#ASMSTART
	v_cvt_f32_f16 v51, v1;
	;;#ASMEND
	global_load_b128 v[2:5], v[26:27], off offset:1536
	s_wait_loadcnt 0x0
	v_dual_lshrrev_b32 v1, 16, v3 :: v_dual_lshrrev_b32 v28, 16, v2
	v_lshrrev_b32_e32 v41, 16, v4
	s_and_saveexec_b32 s13, vcc_lo
	s_cbranch_execz .LBB89_48
; %bb.47:                               ;   in Loop: Header=BB89_40 Depth=1
	v_cmp_gt_i32_e64 s0, s23, v31
	v_and_b32_e32 v52, 0xffff, v5
	v_and_b32_e32 v5, 0xffff0000, v5
	s_delay_alu instid0(VALU_DEP_3) | instskip(SKIP_1) | instid1(VALU_DEP_1)
	v_cndmask_b32_e64 v2, 0, v2, s0
	v_cmp_gt_i32_e64 s0, s23, v39
	v_cndmask_b32_e64 v3, 0, v3, s0
	v_cmp_gt_i32_e64 s0, s12, v40
	s_delay_alu instid0(VALU_DEP_1) | instskip(SKIP_1) | instid1(VALU_DEP_1)
	v_cndmask_b32_e64 v1, 0, v1, s0
	v_cmp_gt_i32_e64 s0, s23, v38
	v_cndmask_b32_e64 v28, 0, v28, s0
	v_cmp_gt_i32_e64 s0, s23, v37
	s_delay_alu instid0(VALU_DEP_1) | instskip(SKIP_1) | instid1(VALU_DEP_1)
	;; [unrolled: 5-line block ×3, first 2 shown]
	v_dual_cndmask_b32 v4, 0, v4, s0 :: v_dual_bitop2_b32 v5, v52, v5 bitop3:0x54
	v_cmp_gt_i32_e64 s0, s23, v34
	v_cndmask_b32_e64 v41, 0, v41, s0
.LBB89_48:                              ;   in Loop: Header=BB89_40 Depth=1
	s_or_b32 exec_lo, exec_lo, s13
	v_dual_lshlrev_b32 v28, 16, v28 :: v_dual_lshlrev_b32 v1, 16, v1
	s_delay_alu instid0(VALU_DEP_2) | instskip(NEXT) | instid1(VALU_DEP_2)
	v_lshlrev_b32_e32 v41, 16, v41
	v_and_or_b32 v2, 0xffff, v2, v28
	s_delay_alu instid0(VALU_DEP_3) | instskip(NEXT) | instid1(VALU_DEP_3)
	v_and_or_b32 v1, 0xffff, v3, v1
	v_and_or_b32 v3, 0xffff, v4, v41
	;;#ASMSTART
	v_pk_mul_f16 v2, v43, v2;

	;;#ASMEND
	;;#ASMSTART
	v_pk_mul_f16 v1, v42, v1;

	;;#ASMEND
	;;#ASMSTART
	v_pk_mul_f16 v3, v44, v3;

	;;#ASMEND
	;;#ASMSTART
	v_pk_mul_f16 v4, v45, v5;

	;;#ASMEND
	;;#ASMSTART
	v_pk_add_f16 v1, v2, v1;

	;;#ASMEND
	;;#ASMSTART
	v_pk_add_f16 v1, v1, v3;

	;;#ASMEND
	;; [unrolled: 4-line block ×3, first 2 shown]
	v_and_b32_e32 v2, 0xffff, v1
	v_lshrrev_b32_e32 v1, 16, v1
	;;#ASMSTART
	v_cvt_f32_f16 v52, v2;
	;;#ASMEND
	;;#ASMSTART
	v_cvt_f32_f16 v53, v1;
	;;#ASMEND
	global_load_b128 v[2:5], v[26:27], off offset:2048
	s_wait_loadcnt 0x0
	v_dual_lshrrev_b32 v1, 16, v3 :: v_dual_lshrrev_b32 v28, 16, v2
	v_lshrrev_b32_e32 v41, 16, v4
	s_and_saveexec_b32 s13, vcc_lo
	s_cbranch_execz .LBB89_50
; %bb.49:                               ;   in Loop: Header=BB89_40 Depth=1
	v_cmp_gt_i32_e64 s0, s23, v31
	v_and_b32_e32 v54, 0xffff, v5
	v_and_b32_e32 v5, 0xffff0000, v5
	s_delay_alu instid0(VALU_DEP_3) | instskip(SKIP_1) | instid1(VALU_DEP_1)
	v_cndmask_b32_e64 v2, 0, v2, s0
	v_cmp_gt_i32_e64 s0, s23, v39
	v_cndmask_b32_e64 v3, 0, v3, s0
	v_cmp_gt_i32_e64 s0, s12, v40
	s_delay_alu instid0(VALU_DEP_1) | instskip(SKIP_1) | instid1(VALU_DEP_1)
	v_cndmask_b32_e64 v1, 0, v1, s0
	v_cmp_gt_i32_e64 s0, s23, v38
	v_cndmask_b32_e64 v28, 0, v28, s0
	v_cmp_gt_i32_e64 s0, s23, v37
	s_delay_alu instid0(VALU_DEP_1) | instskip(SKIP_1) | instid1(VALU_DEP_1)
	;; [unrolled: 5-line block ×3, first 2 shown]
	v_dual_cndmask_b32 v4, 0, v4, s0 :: v_dual_bitop2_b32 v5, v54, v5 bitop3:0x54
	v_cmp_gt_i32_e64 s0, s23, v34
	v_cndmask_b32_e64 v41, 0, v41, s0
.LBB89_50:                              ;   in Loop: Header=BB89_40 Depth=1
	s_or_b32 exec_lo, exec_lo, s13
	v_dual_lshlrev_b32 v28, 16, v28 :: v_dual_lshlrev_b32 v1, 16, v1
	s_delay_alu instid0(VALU_DEP_2) | instskip(NEXT) | instid1(VALU_DEP_2)
	v_lshlrev_b32_e32 v41, 16, v41
	v_and_or_b32 v2, 0xffff, v2, v28
	s_delay_alu instid0(VALU_DEP_3) | instskip(NEXT) | instid1(VALU_DEP_3)
	v_and_or_b32 v1, 0xffff, v3, v1
	v_and_or_b32 v3, 0xffff, v4, v41
	;;#ASMSTART
	v_pk_mul_f16 v2, v43, v2;

	;;#ASMEND
	;;#ASMSTART
	v_pk_mul_f16 v1, v42, v1;

	;;#ASMEND
	;; [unrolled: 4-line block ×4, first 2 shown]
	;;#ASMSTART
	v_pk_add_f16 v1, v2, v1;

	;;#ASMEND
	;;#ASMSTART
	v_pk_add_f16 v1, v1, v3;

	;;#ASMEND
	;; [unrolled: 4-line block ×3, first 2 shown]
	v_and_b32_e32 v2, 0xffff, v1
	v_lshrrev_b32_e32 v1, 16, v1
	;;#ASMSTART
	v_cvt_f32_f16 v54, v2;
	;;#ASMEND
	;;#ASMSTART
	v_cvt_f32_f16 v55, v1;
	;;#ASMEND
	global_load_b128 v[2:5], v[26:27], off offset:2560
	s_wait_loadcnt 0x0
	v_dual_lshrrev_b32 v1, 16, v3 :: v_dual_lshrrev_b32 v28, 16, v2
	v_lshrrev_b32_e32 v41, 16, v4
	s_and_saveexec_b32 s13, vcc_lo
	s_cbranch_execz .LBB89_52
; %bb.51:                               ;   in Loop: Header=BB89_40 Depth=1
	v_cmp_gt_i32_e64 s0, s23, v31
	v_and_b32_e32 v56, 0xffff, v5
	v_and_b32_e32 v5, 0xffff0000, v5
	s_delay_alu instid0(VALU_DEP_3) | instskip(SKIP_1) | instid1(VALU_DEP_1)
	v_cndmask_b32_e64 v2, 0, v2, s0
	v_cmp_gt_i32_e64 s0, s23, v39
	v_cndmask_b32_e64 v3, 0, v3, s0
	v_cmp_gt_i32_e64 s0, s12, v40
	s_delay_alu instid0(VALU_DEP_1) | instskip(SKIP_1) | instid1(VALU_DEP_1)
	v_cndmask_b32_e64 v1, 0, v1, s0
	v_cmp_gt_i32_e64 s0, s23, v38
	v_cndmask_b32_e64 v28, 0, v28, s0
	v_cmp_gt_i32_e64 s0, s23, v37
	s_delay_alu instid0(VALU_DEP_1) | instskip(SKIP_1) | instid1(VALU_DEP_1)
	;; [unrolled: 5-line block ×3, first 2 shown]
	v_dual_cndmask_b32 v4, 0, v4, s0 :: v_dual_bitop2_b32 v5, v56, v5 bitop3:0x54
	v_cmp_gt_i32_e64 s0, s23, v34
	v_cndmask_b32_e64 v41, 0, v41, s0
.LBB89_52:                              ;   in Loop: Header=BB89_40 Depth=1
	s_or_b32 exec_lo, exec_lo, s13
	v_dual_lshlrev_b32 v28, 16, v28 :: v_dual_lshlrev_b32 v1, 16, v1
	s_delay_alu instid0(VALU_DEP_2) | instskip(NEXT) | instid1(VALU_DEP_2)
	v_lshlrev_b32_e32 v41, 16, v41
	v_and_or_b32 v2, 0xffff, v2, v28
	s_delay_alu instid0(VALU_DEP_3) | instskip(NEXT) | instid1(VALU_DEP_3)
	v_and_or_b32 v1, 0xffff, v3, v1
	v_and_or_b32 v3, 0xffff, v4, v41
	;;#ASMSTART
	v_pk_mul_f16 v2, v43, v2;

	;;#ASMEND
	;;#ASMSTART
	v_pk_mul_f16 v1, v42, v1;

	;;#ASMEND
	;; [unrolled: 4-line block ×4, first 2 shown]
	;;#ASMSTART
	v_pk_add_f16 v1, v2, v1;

	;;#ASMEND
	;;#ASMSTART
	v_pk_add_f16 v1, v1, v3;

	;;#ASMEND
	;; [unrolled: 4-line block ×3, first 2 shown]
	v_and_b32_e32 v2, 0xffff, v1
	v_lshrrev_b32_e32 v1, 16, v1
	;;#ASMSTART
	v_cvt_f32_f16 v56, v2;
	;;#ASMEND
	;;#ASMSTART
	v_cvt_f32_f16 v57, v1;
	;;#ASMEND
	global_load_b128 v[2:5], v[26:27], off offset:3072
	s_wait_loadcnt 0x0
	v_dual_lshrrev_b32 v1, 16, v3 :: v_dual_lshrrev_b32 v28, 16, v2
	v_lshrrev_b32_e32 v41, 16, v4
	s_and_saveexec_b32 s13, vcc_lo
	s_cbranch_execz .LBB89_54
; %bb.53:                               ;   in Loop: Header=BB89_40 Depth=1
	v_cmp_gt_i32_e64 s0, s23, v31
	v_and_b32_e32 v58, 0xffff, v5
	v_and_b32_e32 v5, 0xffff0000, v5
	s_delay_alu instid0(VALU_DEP_3) | instskip(SKIP_1) | instid1(VALU_DEP_1)
	v_cndmask_b32_e64 v2, 0, v2, s0
	v_cmp_gt_i32_e64 s0, s23, v39
	v_cndmask_b32_e64 v3, 0, v3, s0
	v_cmp_gt_i32_e64 s0, s12, v40
	s_delay_alu instid0(VALU_DEP_1) | instskip(SKIP_1) | instid1(VALU_DEP_1)
	v_cndmask_b32_e64 v1, 0, v1, s0
	v_cmp_gt_i32_e64 s0, s23, v38
	v_cndmask_b32_e64 v28, 0, v28, s0
	v_cmp_gt_i32_e64 s0, s23, v37
	s_delay_alu instid0(VALU_DEP_1) | instskip(SKIP_1) | instid1(VALU_DEP_1)
	v_cndmask_b32_e64 v58, 0, v58, s0
	v_cmp_gt_i32_e64 s0, s23, v36
	v_cndmask_b32_e64 v5, 0, v5, s0
	v_cmp_gt_i32_e64 s0, s23, v35
	s_delay_alu instid0(VALU_DEP_1) | instskip(SKIP_1) | instid1(VALU_DEP_1)
	v_dual_cndmask_b32 v4, 0, v4, s0 :: v_dual_bitop2_b32 v5, v58, v5 bitop3:0x54
	v_cmp_gt_i32_e64 s0, s23, v34
	v_cndmask_b32_e64 v41, 0, v41, s0
.LBB89_54:                              ;   in Loop: Header=BB89_40 Depth=1
	s_or_b32 exec_lo, exec_lo, s13
	v_dual_lshlrev_b32 v28, 16, v28 :: v_dual_lshlrev_b32 v1, 16, v1
	s_delay_alu instid0(VALU_DEP_2) | instskip(NEXT) | instid1(VALU_DEP_2)
	v_lshlrev_b32_e32 v41, 16, v41
	v_and_or_b32 v2, 0xffff, v2, v28
	s_delay_alu instid0(VALU_DEP_3) | instskip(NEXT) | instid1(VALU_DEP_3)
	v_and_or_b32 v1, 0xffff, v3, v1
	v_and_or_b32 v3, 0xffff, v4, v41
	;;#ASMSTART
	v_pk_mul_f16 v2, v43, v2;

	;;#ASMEND
	;;#ASMSTART
	v_pk_mul_f16 v1, v42, v1;

	;;#ASMEND
	;; [unrolled: 4-line block ×4, first 2 shown]
	;;#ASMSTART
	v_pk_add_f16 v1, v2, v1;

	;;#ASMEND
	;;#ASMSTART
	v_pk_add_f16 v1, v1, v3;

	;;#ASMEND
	;; [unrolled: 4-line block ×3, first 2 shown]
	v_and_b32_e32 v2, 0xffff, v1
	v_lshrrev_b32_e32 v1, 16, v1
	;;#ASMSTART
	v_cvt_f32_f16 v58, v2;
	;;#ASMEND
	;;#ASMSTART
	v_cvt_f32_f16 v59, v1;
	;;#ASMEND
	global_load_b128 v[2:5], v[26:27], off offset:3584
	s_wait_loadcnt 0x0
	v_dual_lshrrev_b32 v1, 16, v3 :: v_dual_lshrrev_b32 v28, 16, v2
	v_lshrrev_b32_e32 v41, 16, v4
	s_and_saveexec_b32 s13, vcc_lo
	s_cbranch_execz .LBB89_56
; %bb.55:                               ;   in Loop: Header=BB89_40 Depth=1
	v_cmp_gt_i32_e64 s0, s23, v31
	v_and_b32_e32 v60, 0xffff, v5
	v_and_b32_e32 v5, 0xffff0000, v5
	s_delay_alu instid0(VALU_DEP_3) | instskip(SKIP_1) | instid1(VALU_DEP_1)
	v_cndmask_b32_e64 v2, 0, v2, s0
	v_cmp_gt_i32_e64 s0, s23, v39
	v_cndmask_b32_e64 v3, 0, v3, s0
	v_cmp_gt_i32_e64 s0, s12, v40
	s_delay_alu instid0(VALU_DEP_1) | instskip(SKIP_1) | instid1(VALU_DEP_1)
	v_cndmask_b32_e64 v1, 0, v1, s0
	v_cmp_gt_i32_e64 s0, s23, v38
	v_cndmask_b32_e64 v28, 0, v28, s0
	v_cmp_gt_i32_e64 s0, s23, v37
	s_delay_alu instid0(VALU_DEP_1) | instskip(SKIP_1) | instid1(VALU_DEP_1)
	;; [unrolled: 5-line block ×3, first 2 shown]
	v_dual_cndmask_b32 v4, 0, v4, s0 :: v_dual_bitop2_b32 v5, v60, v5 bitop3:0x54
	v_cmp_gt_i32_e64 s0, s23, v34
	v_cndmask_b32_e64 v41, 0, v41, s0
.LBB89_56:                              ;   in Loop: Header=BB89_40 Depth=1
	s_or_b32 exec_lo, exec_lo, s13
	v_dual_lshlrev_b32 v28, 16, v28 :: v_dual_lshlrev_b32 v1, 16, v1
	s_delay_alu instid0(VALU_DEP_2) | instskip(NEXT) | instid1(VALU_DEP_2)
	v_lshlrev_b32_e32 v41, 16, v41
	v_and_or_b32 v2, 0xffff, v2, v28
	s_delay_alu instid0(VALU_DEP_3) | instskip(NEXT) | instid1(VALU_DEP_3)
	v_and_or_b32 v1, 0xffff, v3, v1
	v_and_or_b32 v3, 0xffff, v4, v41
	;;#ASMSTART
	v_pk_mul_f16 v2, v43, v2;

	;;#ASMEND
	;;#ASMSTART
	v_pk_mul_f16 v1, v42, v1;

	;;#ASMEND
	;; [unrolled: 4-line block ×4, first 2 shown]
	;;#ASMSTART
	v_pk_add_f16 v1, v2, v1;

	;;#ASMEND
	;;#ASMSTART
	v_pk_add_f16 v1, v1, v3;

	;;#ASMEND
	;; [unrolled: 4-line block ×3, first 2 shown]
	v_and_b32_e32 v2, 0xffff, v1
	v_lshrrev_b32_e32 v1, 16, v1
	;;#ASMSTART
	v_cvt_f32_f16 v60, v2;
	;;#ASMEND
	;;#ASMSTART
	v_cvt_f32_f16 v61, v1;
	;;#ASMEND
	global_load_b128 v[2:5], v[26:27], off offset:4096
	s_wait_loadcnt 0x0
	v_dual_lshrrev_b32 v1, 16, v3 :: v_dual_lshrrev_b32 v28, 16, v2
	v_lshrrev_b32_e32 v41, 16, v4
	s_and_saveexec_b32 s13, vcc_lo
	s_cbranch_execz .LBB89_58
; %bb.57:                               ;   in Loop: Header=BB89_40 Depth=1
	v_cmp_gt_i32_e64 s0, s23, v31
	v_and_b32_e32 v62, 0xffff, v5
	v_and_b32_e32 v5, 0xffff0000, v5
	s_delay_alu instid0(VALU_DEP_3) | instskip(SKIP_1) | instid1(VALU_DEP_1)
	v_cndmask_b32_e64 v2, 0, v2, s0
	v_cmp_gt_i32_e64 s0, s23, v39
	v_cndmask_b32_e64 v3, 0, v3, s0
	v_cmp_gt_i32_e64 s0, s12, v40
	s_delay_alu instid0(VALU_DEP_1) | instskip(SKIP_1) | instid1(VALU_DEP_1)
	v_cndmask_b32_e64 v1, 0, v1, s0
	v_cmp_gt_i32_e64 s0, s23, v38
	v_cndmask_b32_e64 v28, 0, v28, s0
	v_cmp_gt_i32_e64 s0, s23, v37
	s_delay_alu instid0(VALU_DEP_1) | instskip(SKIP_1) | instid1(VALU_DEP_1)
	;; [unrolled: 5-line block ×3, first 2 shown]
	v_dual_cndmask_b32 v4, 0, v4, s0 :: v_dual_bitop2_b32 v5, v62, v5 bitop3:0x54
	v_cmp_gt_i32_e64 s0, s23, v34
	v_cndmask_b32_e64 v41, 0, v41, s0
.LBB89_58:                              ;   in Loop: Header=BB89_40 Depth=1
	s_or_b32 exec_lo, exec_lo, s13
	v_dual_lshlrev_b32 v28, 16, v28 :: v_dual_lshlrev_b32 v1, 16, v1
	s_delay_alu instid0(VALU_DEP_2) | instskip(NEXT) | instid1(VALU_DEP_2)
	v_lshlrev_b32_e32 v41, 16, v41
	v_and_or_b32 v2, 0xffff, v2, v28
	s_delay_alu instid0(VALU_DEP_3) | instskip(NEXT) | instid1(VALU_DEP_3)
	v_and_or_b32 v1, 0xffff, v3, v1
	v_and_or_b32 v3, 0xffff, v4, v41
	;;#ASMSTART
	v_pk_mul_f16 v2, v43, v2;

	;;#ASMEND
	;;#ASMSTART
	v_pk_mul_f16 v1, v42, v1;

	;;#ASMEND
	;; [unrolled: 4-line block ×4, first 2 shown]
	;;#ASMSTART
	v_pk_add_f16 v1, v2, v1;

	;;#ASMEND
	;;#ASMSTART
	v_pk_add_f16 v1, v1, v3;

	;;#ASMEND
	;; [unrolled: 4-line block ×3, first 2 shown]
	v_and_b32_e32 v2, 0xffff, v1
	v_lshrrev_b32_e32 v1, 16, v1
	;;#ASMSTART
	v_cvt_f32_f16 v62, v2;
	;;#ASMEND
	;;#ASMSTART
	v_cvt_f32_f16 v63, v1;
	;;#ASMEND
	global_load_b128 v[2:5], v[26:27], off offset:4608
	s_wait_loadcnt 0x0
	v_dual_lshrrev_b32 v1, 16, v3 :: v_dual_lshrrev_b32 v28, 16, v2
	v_lshrrev_b32_e32 v41, 16, v4
	s_and_saveexec_b32 s13, vcc_lo
	s_cbranch_execz .LBB89_60
; %bb.59:                               ;   in Loop: Header=BB89_40 Depth=1
	v_cmp_gt_i32_e64 s0, s23, v31
	v_and_b32_e32 v64, 0xffff, v5
	v_and_b32_e32 v5, 0xffff0000, v5
	s_delay_alu instid0(VALU_DEP_3) | instskip(SKIP_1) | instid1(VALU_DEP_1)
	v_cndmask_b32_e64 v2, 0, v2, s0
	v_cmp_gt_i32_e64 s0, s23, v39
	v_cndmask_b32_e64 v3, 0, v3, s0
	v_cmp_gt_i32_e64 s0, s12, v40
	s_delay_alu instid0(VALU_DEP_1) | instskip(SKIP_1) | instid1(VALU_DEP_1)
	v_cndmask_b32_e64 v1, 0, v1, s0
	v_cmp_gt_i32_e64 s0, s23, v38
	v_cndmask_b32_e64 v28, 0, v28, s0
	v_cmp_gt_i32_e64 s0, s23, v37
	s_delay_alu instid0(VALU_DEP_1) | instskip(SKIP_1) | instid1(VALU_DEP_1)
	;; [unrolled: 5-line block ×3, first 2 shown]
	v_dual_cndmask_b32 v4, 0, v4, s0 :: v_dual_bitop2_b32 v5, v64, v5 bitop3:0x54
	v_cmp_gt_i32_e64 s0, s23, v34
	v_cndmask_b32_e64 v41, 0, v41, s0
.LBB89_60:                              ;   in Loop: Header=BB89_40 Depth=1
	s_or_b32 exec_lo, exec_lo, s13
	v_dual_lshlrev_b32 v28, 16, v28 :: v_dual_lshlrev_b32 v1, 16, v1
	s_delay_alu instid0(VALU_DEP_2) | instskip(NEXT) | instid1(VALU_DEP_2)
	v_lshlrev_b32_e32 v41, 16, v41
	v_and_or_b32 v2, 0xffff, v2, v28
	s_delay_alu instid0(VALU_DEP_3) | instskip(NEXT) | instid1(VALU_DEP_3)
	v_and_or_b32 v1, 0xffff, v3, v1
	v_and_or_b32 v3, 0xffff, v4, v41
	;;#ASMSTART
	v_pk_mul_f16 v2, v43, v2;

	;;#ASMEND
	;;#ASMSTART
	v_pk_mul_f16 v1, v42, v1;

	;;#ASMEND
	;; [unrolled: 4-line block ×4, first 2 shown]
	;;#ASMSTART
	v_pk_add_f16 v1, v2, v1;

	;;#ASMEND
	;;#ASMSTART
	v_pk_add_f16 v1, v1, v3;

	;;#ASMEND
	;; [unrolled: 4-line block ×3, first 2 shown]
	v_and_b32_e32 v2, 0xffff, v1
	v_lshrrev_b32_e32 v1, 16, v1
	;;#ASMSTART
	v_cvt_f32_f16 v64, v2;
	;;#ASMEND
	;;#ASMSTART
	v_cvt_f32_f16 v65, v1;
	;;#ASMEND
	global_load_b128 v[2:5], v[26:27], off offset:5120
	s_wait_loadcnt 0x0
	v_dual_lshrrev_b32 v1, 16, v3 :: v_dual_lshrrev_b32 v28, 16, v2
	v_lshrrev_b32_e32 v41, 16, v4
	s_and_saveexec_b32 s13, vcc_lo
	s_cbranch_execz .LBB89_62
; %bb.61:                               ;   in Loop: Header=BB89_40 Depth=1
	v_cmp_gt_i32_e64 s0, s23, v31
	v_and_b32_e32 v66, 0xffff, v5
	v_and_b32_e32 v5, 0xffff0000, v5
	s_delay_alu instid0(VALU_DEP_3) | instskip(SKIP_1) | instid1(VALU_DEP_1)
	v_cndmask_b32_e64 v2, 0, v2, s0
	v_cmp_gt_i32_e64 s0, s23, v39
	v_cndmask_b32_e64 v3, 0, v3, s0
	v_cmp_gt_i32_e64 s0, s12, v40
	s_delay_alu instid0(VALU_DEP_1) | instskip(SKIP_1) | instid1(VALU_DEP_1)
	v_cndmask_b32_e64 v1, 0, v1, s0
	v_cmp_gt_i32_e64 s0, s23, v38
	v_cndmask_b32_e64 v28, 0, v28, s0
	v_cmp_gt_i32_e64 s0, s23, v37
	s_delay_alu instid0(VALU_DEP_1) | instskip(SKIP_1) | instid1(VALU_DEP_1)
	;; [unrolled: 5-line block ×3, first 2 shown]
	v_dual_cndmask_b32 v4, 0, v4, s0 :: v_dual_bitop2_b32 v5, v66, v5 bitop3:0x54
	v_cmp_gt_i32_e64 s0, s23, v34
	v_cndmask_b32_e64 v41, 0, v41, s0
.LBB89_62:                              ;   in Loop: Header=BB89_40 Depth=1
	s_or_b32 exec_lo, exec_lo, s13
	v_dual_lshlrev_b32 v28, 16, v28 :: v_dual_lshlrev_b32 v1, 16, v1
	s_delay_alu instid0(VALU_DEP_2) | instskip(NEXT) | instid1(VALU_DEP_2)
	v_lshlrev_b32_e32 v41, 16, v41
	v_and_or_b32 v2, 0xffff, v2, v28
	s_delay_alu instid0(VALU_DEP_3) | instskip(NEXT) | instid1(VALU_DEP_3)
	v_and_or_b32 v1, 0xffff, v3, v1
	v_and_or_b32 v3, 0xffff, v4, v41
	;;#ASMSTART
	v_pk_mul_f16 v2, v43, v2;

	;;#ASMEND
	;;#ASMSTART
	v_pk_mul_f16 v1, v42, v1;

	;;#ASMEND
	;;#ASMSTART
	v_pk_mul_f16 v3, v44, v3;

	;;#ASMEND
	;;#ASMSTART
	v_pk_mul_f16 v4, v45, v5;

	;;#ASMEND
	;;#ASMSTART
	v_pk_add_f16 v1, v2, v1;

	;;#ASMEND
	;;#ASMSTART
	v_pk_add_f16 v1, v1, v3;

	;;#ASMEND
	;; [unrolled: 4-line block ×3, first 2 shown]
	v_and_b32_e32 v2, 0xffff, v1
	v_lshrrev_b32_e32 v1, 16, v1
	;;#ASMSTART
	v_cvt_f32_f16 v66, v2;
	;;#ASMEND
	;;#ASMSTART
	v_cvt_f32_f16 v67, v1;
	;;#ASMEND
	global_load_b128 v[2:5], v[26:27], off offset:5632
	s_wait_loadcnt 0x0
	v_dual_lshrrev_b32 v1, 16, v3 :: v_dual_lshrrev_b32 v28, 16, v2
	v_lshrrev_b32_e32 v41, 16, v4
	s_and_saveexec_b32 s13, vcc_lo
	s_cbranch_execz .LBB89_64
; %bb.63:                               ;   in Loop: Header=BB89_40 Depth=1
	v_cmp_gt_i32_e64 s0, s23, v31
	v_and_b32_e32 v68, 0xffff, v5
	v_and_b32_e32 v5, 0xffff0000, v5
	s_delay_alu instid0(VALU_DEP_3) | instskip(SKIP_1) | instid1(VALU_DEP_1)
	v_cndmask_b32_e64 v2, 0, v2, s0
	v_cmp_gt_i32_e64 s0, s23, v39
	v_cndmask_b32_e64 v3, 0, v3, s0
	v_cmp_gt_i32_e64 s0, s12, v40
	s_delay_alu instid0(VALU_DEP_1) | instskip(SKIP_1) | instid1(VALU_DEP_1)
	v_cndmask_b32_e64 v1, 0, v1, s0
	v_cmp_gt_i32_e64 s0, s23, v38
	v_cndmask_b32_e64 v28, 0, v28, s0
	v_cmp_gt_i32_e64 s0, s23, v37
	s_delay_alu instid0(VALU_DEP_1) | instskip(SKIP_1) | instid1(VALU_DEP_1)
	;; [unrolled: 5-line block ×3, first 2 shown]
	v_dual_cndmask_b32 v4, 0, v4, s0 :: v_dual_bitop2_b32 v5, v68, v5 bitop3:0x54
	v_cmp_gt_i32_e64 s0, s23, v34
	v_cndmask_b32_e64 v41, 0, v41, s0
.LBB89_64:                              ;   in Loop: Header=BB89_40 Depth=1
	s_or_b32 exec_lo, exec_lo, s13
	v_dual_lshlrev_b32 v28, 16, v28 :: v_dual_lshlrev_b32 v1, 16, v1
	s_delay_alu instid0(VALU_DEP_2) | instskip(NEXT) | instid1(VALU_DEP_2)
	v_lshlrev_b32_e32 v41, 16, v41
	v_and_or_b32 v2, 0xffff, v2, v28
	s_delay_alu instid0(VALU_DEP_3) | instskip(NEXT) | instid1(VALU_DEP_3)
	v_and_or_b32 v1, 0xffff, v3, v1
	v_and_or_b32 v3, 0xffff, v4, v41
	;;#ASMSTART
	v_pk_mul_f16 v2, v43, v2;

	;;#ASMEND
	;;#ASMSTART
	v_pk_mul_f16 v1, v42, v1;

	;;#ASMEND
	;; [unrolled: 4-line block ×4, first 2 shown]
	;;#ASMSTART
	v_pk_add_f16 v1, v2, v1;

	;;#ASMEND
	;;#ASMSTART
	v_pk_add_f16 v1, v1, v3;

	;;#ASMEND
	;;#ASMSTART
	v_pk_add_f16 v1, v1, v4;

	;;#ASMEND
	v_and_b32_e32 v2, 0xffff, v1
	v_lshrrev_b32_e32 v1, 16, v1
	;;#ASMSTART
	v_cvt_f32_f16 v68, v2;
	;;#ASMEND
	;;#ASMSTART
	v_cvt_f32_f16 v69, v1;
	;;#ASMEND
	global_load_b128 v[2:5], v[26:27], off offset:6144
	s_wait_loadcnt 0x0
	v_dual_lshrrev_b32 v1, 16, v3 :: v_dual_lshrrev_b32 v28, 16, v2
	v_lshrrev_b32_e32 v41, 16, v4
	s_and_saveexec_b32 s13, vcc_lo
	s_cbranch_execz .LBB89_66
; %bb.65:                               ;   in Loop: Header=BB89_40 Depth=1
	v_cmp_gt_i32_e64 s0, s23, v31
	v_and_b32_e32 v73, 0xffff, v5
	v_and_b32_e32 v5, 0xffff0000, v5
	s_delay_alu instid0(VALU_DEP_3) | instskip(SKIP_1) | instid1(VALU_DEP_1)
	v_cndmask_b32_e64 v2, 0, v2, s0
	v_cmp_gt_i32_e64 s0, s23, v39
	v_cndmask_b32_e64 v3, 0, v3, s0
	v_cmp_gt_i32_e64 s0, s12, v40
	s_delay_alu instid0(VALU_DEP_1) | instskip(SKIP_1) | instid1(VALU_DEP_1)
	v_cndmask_b32_e64 v1, 0, v1, s0
	v_cmp_gt_i32_e64 s0, s23, v38
	v_cndmask_b32_e64 v28, 0, v28, s0
	v_cmp_gt_i32_e64 s0, s23, v37
	s_delay_alu instid0(VALU_DEP_1) | instskip(SKIP_1) | instid1(VALU_DEP_1)
	v_cndmask_b32_e64 v73, 0, v73, s0
	v_cmp_gt_i32_e64 s0, s23, v36
	v_cndmask_b32_e64 v5, 0, v5, s0
	v_cmp_gt_i32_e64 s0, s23, v35
	s_delay_alu instid0(VALU_DEP_1) | instskip(SKIP_1) | instid1(VALU_DEP_4)
	v_cndmask_b32_e64 v4, 0, v4, s0
	v_cmp_gt_i32_e64 s0, s23, v34
	v_or_b32_e32 v5, v73, v5
	s_delay_alu instid0(VALU_DEP_2)
	v_cndmask_b32_e64 v41, 0, v41, s0
.LBB89_66:                              ;   in Loop: Header=BB89_40 Depth=1
	s_or_b32 exec_lo, exec_lo, s13
	v_dual_lshlrev_b32 v28, 16, v28 :: v_dual_lshlrev_b32 v1, 16, v1
	s_delay_alu instid0(VALU_DEP_2) | instskip(NEXT) | instid1(VALU_DEP_2)
	v_lshlrev_b32_e32 v41, 16, v41
	v_and_or_b32 v2, 0xffff, v2, v28
	s_delay_alu instid0(VALU_DEP_3) | instskip(NEXT) | instid1(VALU_DEP_3)
	v_and_or_b32 v1, 0xffff, v3, v1
	v_and_or_b32 v3, 0xffff, v4, v41
	;;#ASMSTART
	v_pk_mul_f16 v2, v43, v2;

	;;#ASMEND
	;;#ASMSTART
	v_pk_mul_f16 v1, v42, v1;

	;;#ASMEND
	;; [unrolled: 4-line block ×4, first 2 shown]
	;;#ASMSTART
	v_pk_add_f16 v1, v2, v1;

	;;#ASMEND
	;;#ASMSTART
	v_pk_add_f16 v1, v1, v3;

	;;#ASMEND
	;; [unrolled: 4-line block ×3, first 2 shown]
	v_and_b32_e32 v2, 0xffff, v1
	v_lshrrev_b32_e32 v1, 16, v1
	;;#ASMSTART
	v_cvt_f32_f16 v73, v2;
	;;#ASMEND
	;;#ASMSTART
	v_cvt_f32_f16 v74, v1;
	;;#ASMEND
	global_load_b128 v[2:5], v[26:27], off offset:6656
	s_wait_loadcnt 0x0
	v_dual_lshrrev_b32 v1, 16, v3 :: v_dual_lshrrev_b32 v28, 16, v2
	v_lshrrev_b32_e32 v41, 16, v4
	s_and_saveexec_b32 s13, vcc_lo
	s_cbranch_execz .LBB89_68
; %bb.67:                               ;   in Loop: Header=BB89_40 Depth=1
	v_cmp_gt_i32_e64 s0, s23, v31
	v_and_b32_e32 v75, 0xffff, v5
	v_and_b32_e32 v5, 0xffff0000, v5
	s_delay_alu instid0(VALU_DEP_3) | instskip(SKIP_1) | instid1(VALU_DEP_1)
	v_cndmask_b32_e64 v2, 0, v2, s0
	v_cmp_gt_i32_e64 s0, s23, v39
	v_cndmask_b32_e64 v3, 0, v3, s0
	v_cmp_gt_i32_e64 s0, s12, v40
	s_delay_alu instid0(VALU_DEP_1) | instskip(SKIP_1) | instid1(VALU_DEP_1)
	v_cndmask_b32_e64 v1, 0, v1, s0
	v_cmp_gt_i32_e64 s0, s23, v38
	v_cndmask_b32_e64 v28, 0, v28, s0
	v_cmp_gt_i32_e64 s0, s23, v37
	s_delay_alu instid0(VALU_DEP_1) | instskip(SKIP_1) | instid1(VALU_DEP_1)
	v_cndmask_b32_e64 v75, 0, v75, s0
	v_cmp_gt_i32_e64 s0, s23, v36
	v_cndmask_b32_e64 v5, 0, v5, s0
	v_cmp_gt_i32_e64 s0, s23, v35
	s_delay_alu instid0(VALU_DEP_1) | instskip(SKIP_1) | instid1(VALU_DEP_1)
	v_dual_cndmask_b32 v4, 0, v4, s0 :: v_dual_bitop2_b32 v5, v75, v5 bitop3:0x54
	v_cmp_gt_i32_e64 s0, s23, v34
	v_cndmask_b32_e64 v41, 0, v41, s0
.LBB89_68:                              ;   in Loop: Header=BB89_40 Depth=1
	s_or_b32 exec_lo, exec_lo, s13
	v_dual_lshlrev_b32 v28, 16, v28 :: v_dual_lshlrev_b32 v1, 16, v1
	s_delay_alu instid0(VALU_DEP_2) | instskip(NEXT) | instid1(VALU_DEP_2)
	v_lshlrev_b32_e32 v41, 16, v41
	v_and_or_b32 v2, 0xffff, v2, v28
	s_delay_alu instid0(VALU_DEP_3) | instskip(NEXT) | instid1(VALU_DEP_3)
	v_and_or_b32 v1, 0xffff, v3, v1
	v_and_or_b32 v3, 0xffff, v4, v41
	;;#ASMSTART
	v_pk_mul_f16 v2, v43, v2;

	;;#ASMEND
	;;#ASMSTART
	v_pk_mul_f16 v1, v42, v1;

	;;#ASMEND
	;; [unrolled: 4-line block ×4, first 2 shown]
	;;#ASMSTART
	v_pk_add_f16 v1, v2, v1;

	;;#ASMEND
	;;#ASMSTART
	v_pk_add_f16 v1, v1, v3;

	;;#ASMEND
	;; [unrolled: 4-line block ×3, first 2 shown]
	v_and_b32_e32 v2, 0xffff, v1
	v_lshrrev_b32_e32 v1, 16, v1
	;;#ASMSTART
	v_cvt_f32_f16 v75, v2;
	;;#ASMEND
	;;#ASMSTART
	v_cvt_f32_f16 v76, v1;
	;;#ASMEND
	global_load_b128 v[2:5], v[26:27], off offset:7168
	s_wait_loadcnt 0x0
	v_dual_lshrrev_b32 v1, 16, v3 :: v_dual_lshrrev_b32 v28, 16, v2
	v_lshrrev_b32_e32 v41, 16, v4
	s_and_saveexec_b32 s13, vcc_lo
	s_cbranch_execz .LBB89_70
; %bb.69:                               ;   in Loop: Header=BB89_40 Depth=1
	v_cmp_gt_i32_e64 s0, s23, v31
	v_and_b32_e32 v77, 0xffff, v5
	v_and_b32_e32 v5, 0xffff0000, v5
	s_delay_alu instid0(VALU_DEP_3) | instskip(SKIP_1) | instid1(VALU_DEP_1)
	v_cndmask_b32_e64 v2, 0, v2, s0
	v_cmp_gt_i32_e64 s0, s23, v39
	v_cndmask_b32_e64 v3, 0, v3, s0
	v_cmp_gt_i32_e64 s0, s12, v40
	s_delay_alu instid0(VALU_DEP_1) | instskip(SKIP_1) | instid1(VALU_DEP_1)
	v_cndmask_b32_e64 v1, 0, v1, s0
	v_cmp_gt_i32_e64 s0, s23, v38
	v_cndmask_b32_e64 v28, 0, v28, s0
	v_cmp_gt_i32_e64 s0, s23, v37
	s_delay_alu instid0(VALU_DEP_1) | instskip(SKIP_1) | instid1(VALU_DEP_1)
	v_cndmask_b32_e64 v77, 0, v77, s0
	v_cmp_gt_i32_e64 s0, s23, v36
	v_cndmask_b32_e64 v5, 0, v5, s0
	v_cmp_gt_i32_e64 s0, s23, v35
	s_delay_alu instid0(VALU_DEP_1) | instskip(SKIP_1) | instid1(VALU_DEP_4)
	v_cndmask_b32_e64 v4, 0, v4, s0
	v_cmp_gt_i32_e64 s0, s23, v34
	v_or_b32_e32 v5, v77, v5
	s_delay_alu instid0(VALU_DEP_2)
	v_cndmask_b32_e64 v41, 0, v41, s0
.LBB89_70:                              ;   in Loop: Header=BB89_40 Depth=1
	s_or_b32 exec_lo, exec_lo, s13
	v_dual_lshlrev_b32 v28, 16, v28 :: v_dual_lshlrev_b32 v1, 16, v1
	s_delay_alu instid0(VALU_DEP_2) | instskip(NEXT) | instid1(VALU_DEP_2)
	v_lshlrev_b32_e32 v41, 16, v41
	v_and_or_b32 v2, 0xffff, v2, v28
	s_delay_alu instid0(VALU_DEP_3) | instskip(NEXT) | instid1(VALU_DEP_3)
	v_and_or_b32 v1, 0xffff, v3, v1
	v_and_or_b32 v3, 0xffff, v4, v41
	;;#ASMSTART
	v_pk_mul_f16 v2, v43, v2;

	;;#ASMEND
	;;#ASMSTART
	v_pk_mul_f16 v1, v42, v1;

	;;#ASMEND
	;; [unrolled: 4-line block ×4, first 2 shown]
	;;#ASMSTART
	v_pk_add_f16 v1, v2, v1;

	;;#ASMEND
	;;#ASMSTART
	v_pk_add_f16 v1, v1, v3;

	;;#ASMEND
	;; [unrolled: 4-line block ×3, first 2 shown]
	v_and_b32_e32 v2, 0xffff, v1
	v_lshrrev_b32_e32 v1, 16, v1
	;;#ASMSTART
	v_cvt_f32_f16 v28, v2;
	;;#ASMEND
	;;#ASMSTART
	v_cvt_f32_f16 v41, v1;
	;;#ASMEND
	global_load_b128 v[2:5], v[26:27], off offset:7680
	s_wait_loadcnt 0x0
	v_dual_lshrrev_b32 v1, 16, v3 :: v_dual_lshrrev_b32 v26, 16, v2
	v_lshrrev_b32_e32 v27, 16, v4
	s_and_saveexec_b32 s0, vcc_lo
	s_cbranch_execz .LBB89_39
; %bb.71:                               ;   in Loop: Header=BB89_40 Depth=1
	v_cmp_gt_i32_e32 vcc_lo, s23, v31
	v_cndmask_b32_e32 v2, 0, v2, vcc_lo
	v_cmp_gt_i32_e32 vcc_lo, s23, v39
	v_and_b32_e32 v39, 0xffff, v5
	v_and_b32_e32 v5, 0xffff0000, v5
	v_cndmask_b32_e32 v3, 0, v3, vcc_lo
	v_cmp_gt_i32_e32 vcc_lo, s12, v40
	v_cndmask_b32_e32 v1, 0, v1, vcc_lo
	v_cmp_gt_i32_e32 vcc_lo, s23, v38
	;; [unrolled: 2-line block ×5, first 2 shown]
	s_delay_alu instid0(VALU_DEP_2)
	v_dual_cndmask_b32 v4, 0, v4, vcc_lo :: v_dual_bitop2_b32 v5, v37, v5 bitop3:0x54
	v_cmp_gt_i32_e32 vcc_lo, s23, v34
	v_cndmask_b32_e32 v27, 0, v27, vcc_lo
	s_branch .LBB89_39
.LBB89_72:
	s_or_b32 exec_lo, exec_lo, s9
.LBB89_73:
	s_delay_alu instid0(SALU_CYCLE_1)
	s_or_b32 exec_lo, exec_lo, s1
	ds_bpermute_b32 v2, v30, v20
	ds_bpermute_b32 v3, v30, v21
	;; [unrolled: 1-line block ×14, first 2 shown]
	v_and_b32_e32 v28, 0x3c1, v0
	v_lshrrev_b32_e32 v1, 1, v29
	s_mov_b32 s0, exec_lo
	ds_bpermute_b32 v22, v30, v6
	ds_bpermute_b32 v23, v30, v7
	s_wait_dscnt 0x0
	s_barrier_signal -1
	v_pk_add_f32 v[20:21], v[20:21], v[2:3]
	s_barrier_wait -1
	v_pk_add_f32 v[18:19], v[18:19], v[4:5]
	v_pk_add_f32 v[16:17], v[16:17], v[24:25]
	;; [unrolled: 1-line block ×6, first 2 shown]
	v_cmpx_ne_u32_e32 64, v28
	s_xor_b32 s0, exec_lo, s0
	s_delay_alu instid0(SALU_CYCLE_1)
	s_or_saveexec_b32 s0, s0
	v_pk_add_f32 v[6:7], v[6:7], v[22:23]
	v_lshl_add_u32 v8, v1, 2, 0x220
	v_lshlrev_b32_e32 v9, 10, v72
	s_xor_b32 exec_lo, exec_lo, s0
	s_cbranch_execz .LBB89_75
; %bb.74:
	s_delay_alu instid0(VALU_DEP_1) | instskip(NEXT) | instid1(VALU_DEP_1)
	v_add_nc_u32_e32 v10, v8, v9
	v_add_nc_u32_e32 v11, 0xfffff800, v10
	;; [unrolled: 1-line block ×9, first 2 shown]
	ds_store_b32 v11, v20
	ds_store_b32 v22, v21
	;; [unrolled: 1-line block ×8, first 2 shown]
	v_add_nc_u32_e32 v11, 0xfffffa00, v10
	v_add_nc_u32_e32 v22, 0xfffffa40, v10
	;; [unrolled: 1-line block ×8, first 2 shown]
	ds_store_b32 v11, v12
	ds_store_b32 v22, v13
	;; [unrolled: 1-line block ×8, first 2 shown]
.LBB89_75:
	s_or_b32 exec_lo, exec_lo, s0
	v_lshlrev_b32_e32 v1, 2, v1
	v_cmp_eq_u32_e32 vcc_lo, 0, v71
	s_wait_dscnt 0x0
	s_barrier_signal -1
	s_barrier_wait -1
	v_add3_u32 v1, 0x220, v9, v1
	s_and_saveexec_b32 s0, s2
	s_cbranch_execz .LBB89_94
; %bb.76:
	s_and_saveexec_b32 s1, vcc_lo
	s_cbranch_execnz .LBB89_118
; %bb.77:
	s_or_b32 exec_lo, exec_lo, s1
	s_and_saveexec_b32 s1, vcc_lo
	s_cbranch_execnz .LBB89_119
.LBB89_78:
	s_or_b32 exec_lo, exec_lo, s1
	s_and_saveexec_b32 s1, vcc_lo
	s_cbranch_execnz .LBB89_120
.LBB89_79:
	s_or_b32 exec_lo, exec_lo, s1
	s_and_saveexec_b32 s1, vcc_lo
	s_cbranch_execnz .LBB89_121
.LBB89_80:
	s_or_b32 exec_lo, exec_lo, s1
	s_and_saveexec_b32 s1, vcc_lo
	s_cbranch_execnz .LBB89_122
.LBB89_81:
	s_or_b32 exec_lo, exec_lo, s1
	s_and_saveexec_b32 s1, vcc_lo
	s_cbranch_execnz .LBB89_123
.LBB89_82:
	s_or_b32 exec_lo, exec_lo, s1
	s_and_saveexec_b32 s1, vcc_lo
	s_cbranch_execnz .LBB89_124
.LBB89_83:
	s_or_b32 exec_lo, exec_lo, s1
	s_and_saveexec_b32 s1, vcc_lo
	s_cbranch_execnz .LBB89_125
.LBB89_84:
	s_or_b32 exec_lo, exec_lo, s1
	s_and_saveexec_b32 s1, vcc_lo
	s_cbranch_execnz .LBB89_126
.LBB89_85:
	s_or_b32 exec_lo, exec_lo, s1
	s_and_saveexec_b32 s1, vcc_lo
	s_cbranch_execnz .LBB89_127
.LBB89_86:
	s_or_b32 exec_lo, exec_lo, s1
	s_and_saveexec_b32 s1, vcc_lo
	s_cbranch_execnz .LBB89_128
.LBB89_87:
	s_or_b32 exec_lo, exec_lo, s1
	s_and_saveexec_b32 s1, vcc_lo
	s_cbranch_execnz .LBB89_129
.LBB89_88:
	s_or_b32 exec_lo, exec_lo, s1
	s_and_saveexec_b32 s1, vcc_lo
	s_cbranch_execnz .LBB89_130
.LBB89_89:
	s_or_b32 exec_lo, exec_lo, s1
	s_and_saveexec_b32 s1, vcc_lo
	s_cbranch_execnz .LBB89_131
.LBB89_90:
	s_or_b32 exec_lo, exec_lo, s1
	s_and_saveexec_b32 s1, vcc_lo
	s_cbranch_execnz .LBB89_132
.LBB89_91:
	s_or_b32 exec_lo, exec_lo, s1
	s_and_saveexec_b32 s1, vcc_lo
	s_cbranch_execz .LBB89_93
.LBB89_92:
	ds_load_b32 v9, v1 offset:960
	s_wait_dscnt 0x0
	v_add_f32_e32 v7, v7, v9
.LBB89_93:
	s_or_b32 exec_lo, exec_lo, s1
.LBB89_94:
	s_delay_alu instid0(SALU_CYCLE_1) | instskip(SKIP_4) | instid1(VALU_DEP_1)
	s_or_b32 exec_lo, exec_lo, s0
	v_and_b32_e32 v9, 0x3e1, v0
	s_mov_b32 s1, exec_lo
	s_barrier_signal -1
	s_barrier_wait -1
	v_cmpx_eq_u32_e32 32, v9
	s_cbranch_execz .LBB89_96
; %bb.95:
	ds_store_2addr_b32 v8, v20, v21 offset1:16
	ds_store_2addr_b32 v8, v18, v19 offset0:32 offset1:48
	ds_store_2addr_b32 v8, v16, v17 offset0:64 offset1:80
	;; [unrolled: 1-line block ×7, first 2 shown]
.LBB89_96:
	s_or_b32 exec_lo, exec_lo, s1
	s_delay_alu instid0(SALU_CYCLE_1)
	s_mov_b32 s1, exec_lo
	s_wait_dscnt 0x0
	s_barrier_signal -1
	s_barrier_wait -1
	v_cmpx_gt_u32_e32 32, v0
	s_cbranch_execz .LBB89_115
; %bb.97:
	s_and_saveexec_b32 s0, vcc_lo
	s_cbranch_execnz .LBB89_133
; %bb.98:
	s_or_b32 exec_lo, exec_lo, s0
	s_and_saveexec_b32 s0, vcc_lo
	s_cbranch_execnz .LBB89_134
.LBB89_99:
	s_or_b32 exec_lo, exec_lo, s0
	s_and_saveexec_b32 s0, vcc_lo
	s_cbranch_execnz .LBB89_135
.LBB89_100:
	s_or_b32 exec_lo, exec_lo, s0
	s_and_saveexec_b32 s0, vcc_lo
	s_cbranch_execnz .LBB89_136
.LBB89_101:
	s_or_b32 exec_lo, exec_lo, s0
	s_and_saveexec_b32 s0, vcc_lo
	s_cbranch_execnz .LBB89_137
.LBB89_102:
	s_or_b32 exec_lo, exec_lo, s0
	s_and_saveexec_b32 s0, vcc_lo
	s_cbranch_execnz .LBB89_138
.LBB89_103:
	s_or_b32 exec_lo, exec_lo, s0
	s_and_saveexec_b32 s0, vcc_lo
	s_cbranch_execnz .LBB89_139
.LBB89_104:
	s_or_b32 exec_lo, exec_lo, s0
	s_and_saveexec_b32 s0, vcc_lo
	s_cbranch_execnz .LBB89_140
.LBB89_105:
	s_or_b32 exec_lo, exec_lo, s0
	s_and_saveexec_b32 s0, vcc_lo
	s_cbranch_execnz .LBB89_141
.LBB89_106:
	s_or_b32 exec_lo, exec_lo, s0
	s_and_saveexec_b32 s0, vcc_lo
	s_cbranch_execnz .LBB89_142
.LBB89_107:
	s_or_b32 exec_lo, exec_lo, s0
	s_and_saveexec_b32 s0, vcc_lo
	s_cbranch_execnz .LBB89_143
.LBB89_108:
	s_or_b32 exec_lo, exec_lo, s0
	s_and_saveexec_b32 s0, vcc_lo
	s_cbranch_execnz .LBB89_144
.LBB89_109:
	s_or_b32 exec_lo, exec_lo, s0
	s_and_saveexec_b32 s0, vcc_lo
	s_cbranch_execnz .LBB89_145
.LBB89_110:
	s_or_b32 exec_lo, exec_lo, s0
	s_and_saveexec_b32 s0, vcc_lo
	s_cbranch_execnz .LBB89_146
.LBB89_111:
	s_or_b32 exec_lo, exec_lo, s0
	s_and_saveexec_b32 s0, vcc_lo
	s_cbranch_execnz .LBB89_147
.LBB89_112:
	s_or_b32 exec_lo, exec_lo, s0
	s_and_saveexec_b32 s0, vcc_lo
	s_cbranch_execz .LBB89_114
.LBB89_113:
	ds_load_b32 v0, v1 offset:960
	s_wait_dscnt 0x0
	v_add_f32_e32 v7, v7, v0
.LBB89_114:
	s_or_b32 exec_lo, exec_lo, s0
.LBB89_115:
	s_delay_alu instid0(SALU_CYCLE_1)
	s_or_b32 exec_lo, exec_lo, s1
	s_mov_b32 s1, 0
	s_barrier_signal -1
	s_barrier_wait -1
	s_mov_b32 s0, exec_lo
	v_cmpx_eq_u32_e32 0, v9
	s_cbranch_execz .LBB89_117
; %bb.116:
	s_wait_kmcnt 0x0
	s_mul_i32 s0, s22, s7
	s_mul_i32 s2, s7, s6
	;; [unrolled: 1-line block ×3, first 2 shown]
	s_lshr_b32 s6, ttmp7, 16
	s_lshl_b32 s4, s0, 8
	s_bfe_u32 s0, ttmp6, 0x40014
	s_ashr_i32 s5, s4, 31
	s_add_co_i32 s0, s0, 1
	s_ashr_i32 s3, s2, 31
	s_mul_i32 s0, s6, s0
	s_bfe_u32 s7, ttmp6, 0x40008
	s_lshl_b64 s[4:5], s[4:5], 1
	s_lshl_b64 s[2:3], s[2:3], 1
	s_add_co_i32 s7, s7, s0
	s_cmp_eq_u32 s20, 0
	s_add_nc_u64 s[4:5], s[10:11], s[4:5]
	s_cselect_b32 s0, s6, s7
	s_add_nc_u64 s[2:3], s[4:5], s[2:3]
	s_lshl_b32 s0, s0, 9
	;;#ASMSTART
	v_cvt_f16_f32 v0, v20;

	;;#ASMEND
	s_add_nc_u64 s[0:1], s[2:3], s[0:1]
	global_store_b16 v70, v0, s[0:1] scale_offset
	s_wait_xcnt 0x0
	;;#ASMSTART
	v_cvt_f16_f32 v0, v21;

	;;#ASMEND
	global_store_b16 v70, v0, s[0:1] offset:32 scale_offset
	s_wait_xcnt 0x0
	;;#ASMSTART
	v_cvt_f16_f32 v0, v18;

	;;#ASMEND
	global_store_b16 v70, v0, s[0:1] offset:64 scale_offset
	;; [unrolled: 6-line block ×15, first 2 shown]
.LBB89_117:
	s_sendmsg sendmsg(MSG_DEALLOC_VGPRS)
	s_endpgm
.LBB89_118:
	ds_load_b32 v9, v1
	s_wait_dscnt 0x0
	v_add_f32_e32 v20, v20, v9
	s_or_b32 exec_lo, exec_lo, s1
	s_and_saveexec_b32 s1, vcc_lo
	s_cbranch_execz .LBB89_78
.LBB89_119:
	ds_load_b32 v9, v1 offset:64
	s_wait_dscnt 0x0
	v_add_f32_e32 v21, v21, v9
	s_or_b32 exec_lo, exec_lo, s1
	s_and_saveexec_b32 s1, vcc_lo
	s_cbranch_execz .LBB89_79
.LBB89_120:
	ds_load_b32 v9, v1 offset:128
	s_wait_dscnt 0x0
	v_add_f32_e32 v18, v18, v9
	s_or_b32 exec_lo, exec_lo, s1
	s_and_saveexec_b32 s1, vcc_lo
	s_cbranch_execz .LBB89_80
.LBB89_121:
	ds_load_b32 v9, v1 offset:192
	s_wait_dscnt 0x0
	v_add_f32_e32 v19, v19, v9
	s_or_b32 exec_lo, exec_lo, s1
	s_and_saveexec_b32 s1, vcc_lo
	s_cbranch_execz .LBB89_81
.LBB89_122:
	ds_load_b32 v9, v1 offset:256
	s_wait_dscnt 0x0
	v_add_f32_e32 v16, v16, v9
	s_or_b32 exec_lo, exec_lo, s1
	s_and_saveexec_b32 s1, vcc_lo
	s_cbranch_execz .LBB89_82
.LBB89_123:
	ds_load_b32 v9, v1 offset:320
	s_wait_dscnt 0x0
	v_add_f32_e32 v17, v17, v9
	s_or_b32 exec_lo, exec_lo, s1
	s_and_saveexec_b32 s1, vcc_lo
	s_cbranch_execz .LBB89_83
.LBB89_124:
	ds_load_b32 v9, v1 offset:384
	s_wait_dscnt 0x0
	v_add_f32_e32 v14, v14, v9
	s_or_b32 exec_lo, exec_lo, s1
	s_and_saveexec_b32 s1, vcc_lo
	s_cbranch_execz .LBB89_84
.LBB89_125:
	ds_load_b32 v9, v1 offset:448
	s_wait_dscnt 0x0
	v_add_f32_e32 v15, v15, v9
	s_or_b32 exec_lo, exec_lo, s1
	s_and_saveexec_b32 s1, vcc_lo
	s_cbranch_execz .LBB89_85
.LBB89_126:
	ds_load_b32 v9, v1 offset:512
	s_wait_dscnt 0x0
	v_add_f32_e32 v12, v12, v9
	s_or_b32 exec_lo, exec_lo, s1
	s_and_saveexec_b32 s1, vcc_lo
	s_cbranch_execz .LBB89_86
.LBB89_127:
	ds_load_b32 v9, v1 offset:576
	s_wait_dscnt 0x0
	v_add_f32_e32 v13, v13, v9
	s_or_b32 exec_lo, exec_lo, s1
	s_and_saveexec_b32 s1, vcc_lo
	s_cbranch_execz .LBB89_87
.LBB89_128:
	ds_load_b32 v9, v1 offset:640
	s_wait_dscnt 0x0
	v_add_f32_e32 v4, v4, v9
	s_or_b32 exec_lo, exec_lo, s1
	s_and_saveexec_b32 s1, vcc_lo
	s_cbranch_execz .LBB89_88
.LBB89_129:
	ds_load_b32 v9, v1 offset:704
	s_wait_dscnt 0x0
	v_add_f32_e32 v5, v5, v9
	s_or_b32 exec_lo, exec_lo, s1
	s_and_saveexec_b32 s1, vcc_lo
	s_cbranch_execz .LBB89_89
.LBB89_130:
	ds_load_b32 v9, v1 offset:768
	s_wait_dscnt 0x0
	v_add_f32_e32 v2, v2, v9
	s_or_b32 exec_lo, exec_lo, s1
	s_and_saveexec_b32 s1, vcc_lo
	s_cbranch_execz .LBB89_90
.LBB89_131:
	ds_load_b32 v9, v1 offset:832
	s_wait_dscnt 0x0
	v_add_f32_e32 v3, v3, v9
	s_or_b32 exec_lo, exec_lo, s1
	s_and_saveexec_b32 s1, vcc_lo
	s_cbranch_execz .LBB89_91
.LBB89_132:
	ds_load_b32 v9, v1 offset:896
	s_wait_dscnt 0x0
	v_add_f32_e32 v6, v6, v9
	s_or_b32 exec_lo, exec_lo, s1
	s_and_saveexec_b32 s1, vcc_lo
	s_cbranch_execnz .LBB89_92
	s_branch .LBB89_93
.LBB89_133:
	ds_load_b32 v0, v1
	s_wait_dscnt 0x0
	v_add_f32_e32 v20, v20, v0
	s_or_b32 exec_lo, exec_lo, s0
	s_and_saveexec_b32 s0, vcc_lo
	s_cbranch_execz .LBB89_99
.LBB89_134:
	ds_load_b32 v0, v1 offset:64
	s_wait_dscnt 0x0
	v_add_f32_e32 v21, v21, v0
	s_or_b32 exec_lo, exec_lo, s0
	s_and_saveexec_b32 s0, vcc_lo
	s_cbranch_execz .LBB89_100
.LBB89_135:
	ds_load_b32 v0, v1 offset:128
	s_wait_dscnt 0x0
	v_add_f32_e32 v18, v18, v0
	s_or_b32 exec_lo, exec_lo, s0
	s_and_saveexec_b32 s0, vcc_lo
	s_cbranch_execz .LBB89_101
.LBB89_136:
	ds_load_b32 v0, v1 offset:192
	s_wait_dscnt 0x0
	v_add_f32_e32 v19, v19, v0
	s_or_b32 exec_lo, exec_lo, s0
	s_and_saveexec_b32 s0, vcc_lo
	s_cbranch_execz .LBB89_102
.LBB89_137:
	ds_load_b32 v0, v1 offset:256
	s_wait_dscnt 0x0
	v_add_f32_e32 v16, v16, v0
	s_or_b32 exec_lo, exec_lo, s0
	s_and_saveexec_b32 s0, vcc_lo
	s_cbranch_execz .LBB89_103
.LBB89_138:
	ds_load_b32 v0, v1 offset:320
	s_wait_dscnt 0x0
	v_add_f32_e32 v17, v17, v0
	s_or_b32 exec_lo, exec_lo, s0
	s_and_saveexec_b32 s0, vcc_lo
	s_cbranch_execz .LBB89_104
.LBB89_139:
	ds_load_b32 v0, v1 offset:384
	s_wait_dscnt 0x0
	v_add_f32_e32 v14, v14, v0
	s_or_b32 exec_lo, exec_lo, s0
	s_and_saveexec_b32 s0, vcc_lo
	s_cbranch_execz .LBB89_105
.LBB89_140:
	ds_load_b32 v0, v1 offset:448
	s_wait_dscnt 0x0
	v_add_f32_e32 v15, v15, v0
	s_or_b32 exec_lo, exec_lo, s0
	s_and_saveexec_b32 s0, vcc_lo
	s_cbranch_execz .LBB89_106
.LBB89_141:
	ds_load_b32 v0, v1 offset:512
	s_wait_dscnt 0x0
	v_add_f32_e32 v12, v12, v0
	s_or_b32 exec_lo, exec_lo, s0
	s_and_saveexec_b32 s0, vcc_lo
	s_cbranch_execz .LBB89_107
.LBB89_142:
	ds_load_b32 v0, v1 offset:576
	s_wait_dscnt 0x0
	v_add_f32_e32 v13, v13, v0
	s_or_b32 exec_lo, exec_lo, s0
	s_and_saveexec_b32 s0, vcc_lo
	s_cbranch_execz .LBB89_108
.LBB89_143:
	ds_load_b32 v0, v1 offset:640
	s_wait_dscnt 0x0
	v_add_f32_e32 v4, v4, v0
	s_or_b32 exec_lo, exec_lo, s0
	s_and_saveexec_b32 s0, vcc_lo
	s_cbranch_execz .LBB89_109
.LBB89_144:
	ds_load_b32 v0, v1 offset:704
	s_wait_dscnt 0x0
	v_add_f32_e32 v5, v5, v0
	s_or_b32 exec_lo, exec_lo, s0
	s_and_saveexec_b32 s0, vcc_lo
	s_cbranch_execz .LBB89_110
.LBB89_145:
	ds_load_b32 v0, v1 offset:768
	s_wait_dscnt 0x0
	v_add_f32_e32 v2, v2, v0
	s_or_b32 exec_lo, exec_lo, s0
	s_and_saveexec_b32 s0, vcc_lo
	s_cbranch_execz .LBB89_111
.LBB89_146:
	ds_load_b32 v0, v1 offset:832
	s_wait_dscnt 0x0
	v_add_f32_e32 v3, v3, v0
	s_or_b32 exec_lo, exec_lo, s0
	s_and_saveexec_b32 s0, vcc_lo
	s_cbranch_execz .LBB89_112
.LBB89_147:
	ds_load_b32 v0, v1 offset:896
	s_wait_dscnt 0x0
	v_add_f32_e32 v6, v6, v0
	s_or_b32 exec_lo, exec_lo, s0
	s_and_saveexec_b32 s0, vcc_lo
	s_cbranch_execnz .LBB89_113
	s_branch .LBB89_114
	.section	.rodata,"a",@progbits
	.p2align	6, 0x0
	.amdhsa_kernel _ZN4vllm25paged_attention_v1_kernelIttLi256ELi16ELi128ELNS_18Fp8KVCacheDataTypeE0ELb0EEEvPT_PKS2_PKT0_S8_ifPKiSA_iPKfiiiSC_SC_iiiii
		.amdhsa_group_segment_fixed_size 544
		.amdhsa_private_segment_fixed_size 0
		.amdhsa_kernarg_size 384
		.amdhsa_user_sgpr_count 2
		.amdhsa_user_sgpr_dispatch_ptr 0
		.amdhsa_user_sgpr_queue_ptr 0
		.amdhsa_user_sgpr_kernarg_segment_ptr 1
		.amdhsa_user_sgpr_dispatch_id 0
		.amdhsa_user_sgpr_kernarg_preload_length 0
		.amdhsa_user_sgpr_kernarg_preload_offset 0
		.amdhsa_user_sgpr_private_segment_size 0
		.amdhsa_wavefront_size32 1
		.amdhsa_uses_dynamic_stack 0
		.amdhsa_enable_private_segment 0
		.amdhsa_system_sgpr_workgroup_id_x 1
		.amdhsa_system_sgpr_workgroup_id_y 1
		.amdhsa_system_sgpr_workgroup_id_z 1
		.amdhsa_system_sgpr_workgroup_info 0
		.amdhsa_system_vgpr_workitem_id 0
		.amdhsa_next_free_vgpr 111
		.amdhsa_next_free_sgpr 28
		.amdhsa_named_barrier_count 0
		.amdhsa_reserve_vcc 1
		.amdhsa_float_round_mode_32 0
		.amdhsa_float_round_mode_16_64 0
		.amdhsa_float_denorm_mode_32 3
		.amdhsa_float_denorm_mode_16_64 3
		.amdhsa_fp16_overflow 0
		.amdhsa_memory_ordered 1
		.amdhsa_forward_progress 1
		.amdhsa_inst_pref_size 104
		.amdhsa_round_robin_scheduling 0
		.amdhsa_exception_fp_ieee_invalid_op 0
		.amdhsa_exception_fp_denorm_src 0
		.amdhsa_exception_fp_ieee_div_zero 0
		.amdhsa_exception_fp_ieee_overflow 0
		.amdhsa_exception_fp_ieee_underflow 0
		.amdhsa_exception_fp_ieee_inexact 0
		.amdhsa_exception_int_div_zero 0
	.end_amdhsa_kernel
	.section	.text._ZN4vllm25paged_attention_v1_kernelIttLi256ELi16ELi128ELNS_18Fp8KVCacheDataTypeE0ELb0EEEvPT_PKS2_PKT0_S8_ifPKiSA_iPKfiiiSC_SC_iiiii,"axG",@progbits,_ZN4vllm25paged_attention_v1_kernelIttLi256ELi16ELi128ELNS_18Fp8KVCacheDataTypeE0ELb0EEEvPT_PKS2_PKT0_S8_ifPKiSA_iPKfiiiSC_SC_iiiii,comdat
.Lfunc_end89:
	.size	_ZN4vllm25paged_attention_v1_kernelIttLi256ELi16ELi128ELNS_18Fp8KVCacheDataTypeE0ELb0EEEvPT_PKS2_PKT0_S8_ifPKiSA_iPKfiiiSC_SC_iiiii, .Lfunc_end89-_ZN4vllm25paged_attention_v1_kernelIttLi256ELi16ELi128ELNS_18Fp8KVCacheDataTypeE0ELb0EEEvPT_PKS2_PKT0_S8_ifPKiSA_iPKfiiiSC_SC_iiiii
                                        ; -- End function
	.set _ZN4vllm25paged_attention_v1_kernelIttLi256ELi16ELi128ELNS_18Fp8KVCacheDataTypeE0ELb0EEEvPT_PKS2_PKT0_S8_ifPKiSA_iPKfiiiSC_SC_iiiii.num_vgpr, 111
	.set _ZN4vllm25paged_attention_v1_kernelIttLi256ELi16ELi128ELNS_18Fp8KVCacheDataTypeE0ELb0EEEvPT_PKS2_PKT0_S8_ifPKiSA_iPKfiiiSC_SC_iiiii.num_agpr, 0
	.set _ZN4vllm25paged_attention_v1_kernelIttLi256ELi16ELi128ELNS_18Fp8KVCacheDataTypeE0ELb0EEEvPT_PKS2_PKT0_S8_ifPKiSA_iPKfiiiSC_SC_iiiii.numbered_sgpr, 28
	.set _ZN4vllm25paged_attention_v1_kernelIttLi256ELi16ELi128ELNS_18Fp8KVCacheDataTypeE0ELb0EEEvPT_PKS2_PKT0_S8_ifPKiSA_iPKfiiiSC_SC_iiiii.num_named_barrier, 0
	.set _ZN4vllm25paged_attention_v1_kernelIttLi256ELi16ELi128ELNS_18Fp8KVCacheDataTypeE0ELb0EEEvPT_PKS2_PKT0_S8_ifPKiSA_iPKfiiiSC_SC_iiiii.private_seg_size, 0
	.set _ZN4vllm25paged_attention_v1_kernelIttLi256ELi16ELi128ELNS_18Fp8KVCacheDataTypeE0ELb0EEEvPT_PKS2_PKT0_S8_ifPKiSA_iPKfiiiSC_SC_iiiii.uses_vcc, 1
	.set _ZN4vllm25paged_attention_v1_kernelIttLi256ELi16ELi128ELNS_18Fp8KVCacheDataTypeE0ELb0EEEvPT_PKS2_PKT0_S8_ifPKiSA_iPKfiiiSC_SC_iiiii.uses_flat_scratch, 0
	.set _ZN4vllm25paged_attention_v1_kernelIttLi256ELi16ELi128ELNS_18Fp8KVCacheDataTypeE0ELb0EEEvPT_PKS2_PKT0_S8_ifPKiSA_iPKfiiiSC_SC_iiiii.has_dyn_sized_stack, 0
	.set _ZN4vllm25paged_attention_v1_kernelIttLi256ELi16ELi128ELNS_18Fp8KVCacheDataTypeE0ELb0EEEvPT_PKS2_PKT0_S8_ifPKiSA_iPKfiiiSC_SC_iiiii.has_recursion, 0
	.set _ZN4vllm25paged_attention_v1_kernelIttLi256ELi16ELi128ELNS_18Fp8KVCacheDataTypeE0ELb0EEEvPT_PKS2_PKT0_S8_ifPKiSA_iPKfiiiSC_SC_iiiii.has_indirect_call, 0
	.section	.AMDGPU.csdata,"",@progbits
; Kernel info:
; codeLenInByte = 13212
; TotalNumSgprs: 30
; NumVgprs: 111
; ScratchSize: 0
; MemoryBound: 0
; FloatMode: 240
; IeeeMode: 1
; LDSByteSize: 544 bytes/workgroup (compile time only)
; SGPRBlocks: 0
; VGPRBlocks: 6
; NumSGPRsForWavesPerEU: 30
; NumVGPRsForWavesPerEU: 111
; NamedBarCnt: 0
; Occupancy: 9
; WaveLimiterHint : 1
; COMPUTE_PGM_RSRC2:SCRATCH_EN: 0
; COMPUTE_PGM_RSRC2:USER_SGPR: 2
; COMPUTE_PGM_RSRC2:TRAP_HANDLER: 0
; COMPUTE_PGM_RSRC2:TGID_X_EN: 1
; COMPUTE_PGM_RSRC2:TGID_Y_EN: 1
; COMPUTE_PGM_RSRC2:TGID_Z_EN: 1
; COMPUTE_PGM_RSRC2:TIDIG_COMP_CNT: 0
	.section	.text._ZN4vllm25paged_attention_v1_kernelIttLi32ELi32ELi128ELNS_18Fp8KVCacheDataTypeE0ELb1EEEvPT_PKS2_PKT0_S8_ifPKiSA_iPKfiiiSC_SC_iiiii,"axG",@progbits,_ZN4vllm25paged_attention_v1_kernelIttLi32ELi32ELi128ELNS_18Fp8KVCacheDataTypeE0ELb1EEEvPT_PKS2_PKT0_S8_ifPKiSA_iPKfiiiSC_SC_iiiii,comdat
	.protected	_ZN4vllm25paged_attention_v1_kernelIttLi32ELi32ELi128ELNS_18Fp8KVCacheDataTypeE0ELb1EEEvPT_PKS2_PKT0_S8_ifPKiSA_iPKfiiiSC_SC_iiiii ; -- Begin function _ZN4vllm25paged_attention_v1_kernelIttLi32ELi32ELi128ELNS_18Fp8KVCacheDataTypeE0ELb1EEEvPT_PKS2_PKT0_S8_ifPKiSA_iPKfiiiSC_SC_iiiii
	.globl	_ZN4vllm25paged_attention_v1_kernelIttLi32ELi32ELi128ELNS_18Fp8KVCacheDataTypeE0ELb1EEEvPT_PKS2_PKT0_S8_ifPKiSA_iPKfiiiSC_SC_iiiii
	.p2align	8
	.type	_ZN4vllm25paged_attention_v1_kernelIttLi32ELi32ELi128ELNS_18Fp8KVCacheDataTypeE0ELb1EEEvPT_PKS2_PKT0_S8_ifPKiSA_iPKfiiiSC_SC_iiiii,@function
_ZN4vllm25paged_attention_v1_kernelIttLi32ELi32ELi128ELNS_18Fp8KVCacheDataTypeE0ELb1EEEvPT_PKS2_PKT0_S8_ifPKiSA_iPKfiiiSC_SC_iiiii: ; @_ZN4vllm25paged_attention_v1_kernelIttLi32ELi32ELi128ELNS_18Fp8KVCacheDataTypeE0ELb1EEEvPT_PKS2_PKT0_S8_ifPKiSA_iPKfiiiSC_SC_iiiii
; %bb.0:
	s_load_b64 s[22:23], s[0:1], 0x20
	s_bfe_u32 s3, ttmp6, 0x4000c
	s_bfe_u32 s4, ttmp6, 0x40010
	s_and_b32 s6, ttmp7, 0xffff
	s_add_co_i32 s3, s3, 1
	s_add_co_i32 s4, s4, 1
	s_and_b32 s2, ttmp6, 15
	s_bfe_u32 s5, ttmp6, 0x40004
	s_mul_i32 s3, ttmp9, s3
	s_mul_i32 s4, s6, s4
	s_getreg_b32 s26, hwreg(HW_REG_IB_STS2, 6, 4)
	s_add_co_i32 s2, s2, s3
	s_add_co_i32 s3, s5, s4
	s_cmp_eq_u32 s26, 0
	s_clause 0x1
	s_load_b32 s27, s[0:1], 0x80
	s_load_b64 s[4:5], s[0:1], 0x30
	s_cselect_b32 s28, s6, s3
	s_cselect_b32 s2, ttmp9, s2
	s_mov_b32 s15, 0
	s_delay_alu instid0(SALU_CYCLE_1) | instskip(SKIP_2) | instid1(SALU_CYCLE_1)
	s_mov_b32 s34, s15
	s_wait_kmcnt 0x0
	s_abs_i32 s3, s22
	s_cvt_f32_u32 s6, s3
	s_sub_co_i32 s7, 0, s3
	s_delay_alu instid0(SALU_CYCLE_2) | instskip(SKIP_2) | instid1(TRANS32_DEP_1)
	v_rcp_iflag_f32_e32 v1, s6
	s_abs_i32 s8, s27
	v_nop
	v_readfirstlane_b32 s6, v1
	s_mul_f32 s6, s6, 0x4f7ffffe
	s_delay_alu instid0(SALU_CYCLE_3) | instskip(NEXT) | instid1(SALU_CYCLE_3)
	s_cvt_u32_f32 s6, s6
	s_mul_i32 s7, s7, s6
	s_delay_alu instid0(SALU_CYCLE_1) | instskip(NEXT) | instid1(SALU_CYCLE_1)
	s_mul_hi_u32 s7, s6, s7
	s_add_co_i32 s6, s6, s7
	s_xor_b32 s7, s27, s22
	s_mul_hi_u32 s6, s8, s6
	s_ashr_i32 s7, s7, 31
	s_mul_i32 s9, s6, s3
	s_delay_alu instid0(SALU_CYCLE_1)
	s_sub_co_i32 s8, s8, s9
	s_add_co_i32 s9, s6, 1
	s_sub_co_i32 s10, s8, s3
	s_cmp_ge_u32 s8, s3
	s_cselect_b32 s6, s9, s6
	s_cselect_b32 s8, s10, s8
	s_add_co_i32 s9, s6, 1
	s_cmp_ge_u32 s8, s3
	s_cselect_b32 s3, s9, s6
	s_load_b64 s[8:9], s[0:1], 0x40
	s_xor_b32 s3, s3, s7
	s_abs_i32 s14, s2
	s_sub_co_i32 s12, s3, s7
	s_mov_b32 s7, s15
	s_abs_i32 s11, s12
	s_delay_alu instid0(SALU_CYCLE_1) | instskip(SKIP_1) | instid1(SALU_CYCLE_2)
	s_cvt_f32_u32 s3, s11
	s_sub_co_i32 s6, 0, s11
	v_rcp_iflag_f32_e32 v1, s3
	v_nop
	s_delay_alu instid0(TRANS32_DEP_1) | instskip(SKIP_1) | instid1(SALU_CYCLE_3)
	v_readfirstlane_b32 s3, v1
	s_mul_f32 s3, s3, 0x4f7ffffe
	s_cvt_u32_f32 s3, s3
	s_delay_alu instid0(SALU_CYCLE_3) | instskip(NEXT) | instid1(SALU_CYCLE_1)
	s_mul_i32 s6, s6, s3
	s_mul_hi_u32 s6, s3, s6
	s_delay_alu instid0(SALU_CYCLE_1)
	s_add_co_i32 s6, s3, s6
	s_wait_kmcnt 0x0
	s_cmp_eq_u64 s[8:9], 0
	s_cbranch_scc1 .LBB90_2
; %bb.1:
	s_ashr_i32 s3, s2, 31
	s_delay_alu instid0(SALU_CYCLE_1) | instskip(NEXT) | instid1(SALU_CYCLE_1)
	s_lshl_b64 s[16:17], s[2:3], 2
	s_add_nc_u64 s[8:9], s[8:9], s[16:17]
	s_load_b32 s34, s[8:9], 0x0
.LBB90_2:
	s_load_b32 s29, s[4:5], s28 offset:0x0 scale_offset
	s_wait_xcnt 0x0
	s_load_b96 s[8:10], s[0:1], 0x48
	v_lshlrev_b32_e32 v1, 4, v0
	s_ashr_i32 s3, s2, 31
	s_ashr_i32 s18, s12, 31
	s_mul_u64 s[16:17], s[14:15], s[6:7]
	s_lshl_b32 s12, s2, 5
	s_mov_b32 s4, exec_lo
	v_cmpx_gt_u32_e32 4, v0
	s_cbranch_execz .LBB90_4
; %bb.3:
	s_load_b64 s[6:7], s[0:1], 0x8
	s_wait_kmcnt 0x0
	s_mul_i32 s20, s8, s28
	s_ashr_i32 s13, s12, 31
	s_ashr_i32 s21, s20, 31
	s_delay_alu instid0(SALU_CYCLE_1) | instskip(NEXT) | instid1(SALU_CYCLE_1)
	s_lshl_b64 s[20:21], s[20:21], 1
	s_add_nc_u64 s[6:7], s[6:7], s[20:21]
	s_lshl_b64 s[20:21], s[12:13], 1
	s_delay_alu instid0(SALU_CYCLE_1)
	s_add_nc_u64 s[6:7], s[6:7], s[20:21]
	global_load_b128 v[2:5], v0, s[6:7] scale_offset
	s_wait_loadcnt 0x0
	ds_store_b128 v1, v[2:5]
.LBB90_4:
	s_or_b32 exec_lo, exec_lo, s4
	s_load_b128 s[4:7], s[0:1], 0x68
	s_wait_kmcnt 0x0
	s_mul_i32 s8, s17, s11
	s_xor_b32 s3, s3, s18
	s_sub_co_i32 s8, s14, s8
	s_add_co_i32 s13, s17, 1
	s_sub_co_i32 s14, s8, s11
	s_cmp_ge_u32 s8, s11
	s_mov_b32 s19, -1
	s_cselect_b32 s13, s13, s17
	s_cselect_b32 s8, s14, s8
	s_add_co_i32 s14, s13, 1
	s_cmp_ge_u32 s8, s11
	s_load_b32 s11, s[0:1], 0x78
	s_cselect_b32 s13, s14, s13
	s_add_co_i32 s18, s29, -1
	s_xor_b32 s13, s13, s3
	s_mov_b32 s17, 0
	s_sub_co_i32 s3, s13, s3
	s_abs_i32 s16, s18
	s_mov_b32 s15, s17
	s_abs_i32 s8, s7
	s_wait_dscnt 0x0
	s_cvt_f32_u32 s14, s8
	s_barrier_signal -1
	s_barrier_wait -1
	s_delay_alu instid0(SALU_CYCLE_1) | instskip(SKIP_1) | instid1(TRANS32_DEP_1)
	v_rcp_iflag_f32_e32 v2, s14
	v_nop
	v_readfirstlane_b32 s14, v2
	s_mul_f32 s13, s14, 0x4f7ffffe
	s_sub_co_i32 s14, 0, s8
	s_delay_alu instid0(SALU_CYCLE_2) | instskip(NEXT) | instid1(SALU_CYCLE_3)
	s_cvt_u32_f32 s13, s13
	s_mul_i32 s14, s14, s13
	s_delay_alu instid0(SALU_CYCLE_1) | instskip(NEXT) | instid1(SALU_CYCLE_1)
	s_mul_hi_u32 s14, s13, s14
	s_add_co_i32 s14, s13, s14
	s_wait_kmcnt 0x0
	s_cmp_lt_i32 s11, 0
                                        ; implicit-def: $sgpr13
	s_cbranch_scc0 .LBB90_6
; %bb.5:
	s_mul_i32 s13, s4, s22
	s_mov_b32 s19, s17
	s_add_co_i32 s13, s3, s13
	s_delay_alu instid0(SALU_CYCLE_1) | instskip(NEXT) | instid1(SALU_CYCLE_1)
	s_mul_i32 s13, s13, s11
	s_sub_co_i32 s13, 1, s13
.LBB90_6:
	s_ashr_i32 s18, s18, 31
	s_ashr_i32 s30, s7, 31
	s_and_not1_b32 vcc_lo, exec_lo, s19
	s_mul_u64 s[20:21], s[16:17], s[14:15]
	s_cbranch_vccnz .LBB90_8
; %bb.7:
	s_mul_i32 s4, s27, s4
	s_delay_alu instid0(SALU_CYCLE_1) | instskip(NEXT) | instid1(SALU_CYCLE_1)
	s_add_co_i32 s2, s4, s2
	s_mul_i32 s2, s2, s11
	s_delay_alu instid0(SALU_CYCLE_1)
	s_add_co_i32 s13, s2, 1
.LBB90_8:
	s_load_b32 s2, s[0:1], 0x38
	s_mul_i32 s7, s21, s8
	s_xor_b32 s4, s18, s30
	s_sub_co_i32 s20, s16, s7
	s_add_co_i32 s11, s21, 1
	s_clause 0x1
	s_load_b64 s[16:17], s[0:1], 0x28
	s_load_b32 s7, s[0:1], 0x88
	v_dual_lshrrev_b32 v50, 5, v0 :: v_dual_bitop2_b32 v51, 31, v0 bitop3:0x40
	v_dual_mov_b32 v53, 0xff7fffff :: v_dual_lshrrev_b32 v52, 3, v0
	s_delay_alu instid0(VALU_DEP_2)
	v_dual_lshlrev_b32 v14, 5, v50 :: v_dual_lshlrev_b32 v15, 2, v51
	s_wait_kmcnt 0x0
	s_mul_i32 s18, s2, s28
	s_sub_co_i32 s2, s20, s8
	s_ashr_i32 s19, s18, 31
	s_cmp_ge_u32 s20, s8
	s_cselect_b32 s11, s11, s21
	s_cselect_b32 s2, s2, s20
	s_add_co_i32 s20, s11, 1
	s_cmp_ge_u32 s2, s8
	s_cselect_b32 s2, s20, s11
	s_add_co_i32 s11, s29, 31
	s_delay_alu instid0(SALU_CYCLE_1) | instskip(NEXT) | instid1(SALU_CYCLE_1)
	s_ashr_i32 s20, s11, 31
	s_lshr_b32 s20, s20, 27
	s_delay_alu instid0(SALU_CYCLE_1)
	s_add_co_i32 s11, s11, s20
	s_mul_i32 s20, s3, s10
	s_ashr_i32 s31, s11, 5
	s_xor_b32 s11, s2, s4
	v_cmp_gt_i32_e64 s2, s31, v50
	s_sub_co_i32 s33, s11, s4
	s_and_saveexec_b32 s22, s2
	s_cbranch_execz .LBB90_16
; %bb.9:
	s_ashr_i32 s21, s20, 31
	s_sub_co_i32 s35, s33, s5
	s_ashr_i32 s11, s9, 31
	s_lshl_b64 s[24:25], s[20:21], 1
	s_cmp_neq_f32 s34, 0
	s_load_b64 s[36:37], s[0:1], 0x10
	v_dual_mov_b32 v17, 0 :: v_dual_lshlrev_b32 v16, 4, v51
	s_cselect_b32 vcc_lo, -1, 0
	s_abs_i32 s21, s6
	v_subrev_nc_u32_e32 v3, s29, v51
	s_cvt_f32_u32 s3, s21
	v_lshl_or_b32 v4, v50, 7, v15
	s_sub_co_i32 s4, 0, s21
	v_dual_mov_b32 v54, 0xff7fffff :: v_dual_mov_b32 v53, 0xff7fffff
	v_rcp_iflag_f32_e32 v2, s3
	v_dual_mov_b32 v55, v50 :: v_dual_add_nc_u32 v56, 1, v3
	v_add_nc_u32_e32 v57, 0x60, v4
	s_mov_b32 s10, s9
	s_delay_alu instid0(TRANS32_DEP_1) | instskip(SKIP_2) | instid1(SALU_CYCLE_1)
	v_readfirstlane_b32 s3, v2
	s_wait_kmcnt 0x0
	s_add_nc_u64 s[24:25], s[36:37], s[24:25]
	v_add_nc_u64_e32 v[18:19], s[24:25], v[16:17]
	s_mul_f32 s3, s3, 0x4f7ffffe
	v_and_b32_e32 v16, 0x7c, v52
	s_lshl_b64 s[24:25], s[18:19], 2
	s_delay_alu instid0(SALU_CYCLE_1)
	s_cvt_u32_f32 s3, s3
	s_add_nc_u64 s[24:25], s[16:17], s[24:25]
	s_delay_alu instid0(VALU_DEP_1) | instid1(SALU_CYCLE_1)
	v_add_nc_u64_e32 v[20:21], s[24:25], v[16:17]
	s_delay_alu instid0(SALU_CYCLE_1)
	s_mul_i32 s4, s4, s3
	v_lshlrev_b32_e32 v16, 5, v50
	s_mul_hi_u32 s4, s3, s4
	s_mov_b32 s25, 0
	s_add_co_i32 s24, s3, s4
	s_mov_b32 s36, s25
	s_branch .LBB90_11
.LBB90_10:                              ;   in Loop: Header=BB90_11 Depth=1
	s_or_b32 exec_lo, exec_lo, s4
	v_add_nc_u32_e32 v55, 4, v55
	v_add_nc_u64_e32 v[20:21], 16, v[20:21]
	v_add_nc_u32_e32 v16, 0x80, v16
	v_add_nc_u32_e32 v57, 0x200, v57
	s_delay_alu instid0(VALU_DEP_4) | instskip(SKIP_1) | instid1(SALU_CYCLE_1)
	v_cmp_le_i32_e64 s3, s31, v55
	s_or_b32 s36, s3, s36
	s_and_not1_b32 exec_lo, exec_lo, s36
	s_cbranch_execz .LBB90_15
.LBB90_11:                              ; =>This Inner Loop Header: Depth=1
	v_mul_u64_e32 v[2:3], s[14:15], v[16:17]
	s_delay_alu instid0(VALU_DEP_1) | instskip(NEXT) | instid1(VALU_DEP_1)
	v_mul_lo_u32 v2, v3, s8
	v_dual_add_nc_u32 v4, 1, v3 :: v_dual_sub_nc_u32 v2, v16, v2
	s_delay_alu instid0(VALU_DEP_1) | instskip(SKIP_1) | instid1(VALU_DEP_1)
	v_subrev_nc_u32_e32 v5, s8, v2
	v_cmp_le_u32_e64 s3, s8, v2
	v_dual_cndmask_b32 v3, v3, v4, s3 :: v_dual_cndmask_b32 v2, v2, v5, s3
	s_delay_alu instid0(VALU_DEP_1) | instskip(NEXT) | instid1(VALU_DEP_2)
	v_add_nc_u32_e32 v4, 1, v3
	v_cmp_le_u32_e64 s3, s8, v2
	s_delay_alu instid0(VALU_DEP_1) | instskip(NEXT) | instid1(VALU_DEP_1)
	v_dual_cndmask_b32 v2, v3, v4, s3 :: v_dual_mov_b32 v3, v17
	v_xor_b32_e32 v2, s30, v2
	s_delay_alu instid0(VALU_DEP_1) | instskip(NEXT) | instid1(VALU_DEP_1)
	v_subrev_nc_u32_e32 v6, s30, v2
	v_add_nc_u32_e32 v7, s13, v6
	v_cmp_ge_i32_e64 s4, s35, v6
	s_delay_alu instid0(VALU_DEP_2) | instskip(NEXT) | instid1(VALU_DEP_1)
	v_sub_nc_u32_e32 v2, 0, v7
	v_max_i32_e32 v2, v7, v2
	s_delay_alu instid0(VALU_DEP_1) | instskip(SKIP_1) | instid1(VALU_DEP_2)
	v_mul_u64_e32 v[4:5], s[24:25], v[2:3]
	v_ashrrev_i32_e32 v4, 31, v7
	v_mul_lo_u32 v3, v5, s21
	s_delay_alu instid0(VALU_DEP_1) | instskip(NEXT) | instid1(VALU_DEP_1)
	v_sub_nc_u32_e32 v2, v2, v3
	v_subrev_nc_u32_e32 v3, s21, v2
	v_cmp_le_u32_e64 s3, s21, v2
	s_delay_alu instid0(VALU_DEP_1) | instskip(NEXT) | instid1(VALU_DEP_1)
	v_cndmask_b32_e64 v2, v2, v3, s3
	v_subrev_nc_u32_e32 v3, s21, v2
	v_cmp_le_u32_e64 s3, s21, v2
	s_delay_alu instid0(VALU_DEP_1) | instskip(NEXT) | instid1(VALU_DEP_1)
	v_cndmask_b32_e64 v2, v2, v3, s3
	v_xor_b32_e32 v2, v2, v4
	s_delay_alu instid0(VALU_DEP_1) | instskip(NEXT) | instid1(VALU_DEP_1)
	v_sub_nc_u32_e32 v2, v2, v4
	v_cmp_ne_u32_e64 s3, 0, v2
	s_and_b32 s3, s3, s4
	s_delay_alu instid0(SALU_CYCLE_1) | instskip(NEXT) | instid1(SALU_CYCLE_1)
	s_and_saveexec_b32 s4, s3
	s_xor_b32 s3, exec_lo, s4
; %bb.12:                               ;   in Loop: Header=BB90_11 Depth=1
	ds_store_b32 v57, v54
; %bb.13:                               ;   in Loop: Header=BB90_11 Depth=1
	s_and_not1_saveexec_b32 s4, s3
	s_cbranch_execz .LBB90_10
; %bb.14:                               ;   in Loop: Header=BB90_11 Depth=1
	global_load_b32 v2, v[20:21], off
	v_add_nc_u32_e32 v66, v56, v16
	s_delay_alu instid0(VALU_DEP_1) | instskip(SKIP_2) | instid1(VALU_DEP_1)
	v_cvt_f32_i32_e32 v66, v66
	s_wait_loadcnt 0x0
	v_ashrrev_i32_e32 v3, 31, v2
	v_mul_u64_e32 v[2:3], s[10:11], v[2:3]
	s_delay_alu instid0(VALU_DEP_1)
	v_lshl_add_u64 v[22:23], v[2:3], 1, v[18:19]
	s_clause 0x3
	global_load_b128 v[10:13], v[22:23], off
	global_load_b128 v[38:41], v[22:23], off offset:512
	global_load_b128 v[6:9], v[22:23], off offset:1024
	;; [unrolled: 1-line block ×3, first 2 shown]
	s_wait_xcnt 0x0
	ds_load_b128 v[22:25], v17
	s_wait_dscnt 0x0
	v_dual_lshrrev_b32 v26, 16, v22 :: v_dual_lshrrev_b32 v30, 16, v24
	v_and_b32_e32 v22, 0xffff, v22
	v_lshrrev_b32_e32 v27, 16, v23
	v_and_b32_e32 v23, 0xffff, v23
	v_and_b32_e32 v31, 0xffff, v24
	v_lshrrev_b32_e32 v32, 16, v25
	v_and_b32_e32 v33, 0xffff, v25
	;;#ASMSTART
	v_cvt_f32_f16 v34, v22;
	;;#ASMEND
	;;#ASMSTART
	v_cvt_f32_f16 v35, v26;
	;;#ASMEND
	s_wait_loadcnt 0x3
	v_lshrrev_b32_e32 v22, 16, v10
	v_and_b32_e32 v10, 0xffff, v10
	v_dual_lshrrev_b32 v26, 16, v11 :: v_dual_lshrrev_b32 v42, 16, v12
	v_and_b32_e32 v11, 0xffff, v11
	v_and_b32_e32 v12, 0xffff, v12
	s_wait_loadcnt 0x2
	v_dual_lshrrev_b32 v43, 16, v13 :: v_dual_lshrrev_b32 v44, 16, v38
	v_and_b32_e32 v13, 0xffff, v13
	;;#ASMSTART
	v_cvt_f32_f16 v36, v10;
	;;#ASMEND
	;;#ASMSTART
	v_cvt_f32_f16 v37, v22;
	;;#ASMEND
	;; [unrolled: 3-line block ×14, first 2 shown]
	ds_load_b128 v[10:13], v17 offset:16
	v_and_b32_e32 v38, 0xffff, v38
	v_dual_lshrrev_b32 v48, 16, v39 :: v_dual_lshrrev_b32 v58, 16, v40
	v_and_b32_e32 v39, 0xffff, v39
	v_and_b32_e32 v40, 0xffff, v40
	v_lshrrev_b32_e32 v59, 16, v41
	v_and_b32_e32 v60, 0xffff, v41
	s_wait_loadcnt 0x1
	v_and_b32_e32 v63, 0xffff, v6
	v_lshrrev_b32_e32 v64, 16, v7
	v_and_b32_e32 v65, 0xffff, v7
	v_dual_lshrrev_b32 v67, 16, v8 :: v_dual_lshrrev_b32 v68, 16, v9
	v_and_b32_e32 v8, 0xffff, v8
	v_and_b32_e32 v9, 0xffff, v9
	s_wait_dscnt 0x0
	v_lshrrev_b32_e32 v41, 16, v10
	v_and_b32_e32 v10, 0xffff, v10
	v_dual_lshrrev_b32 v49, 16, v11 :: v_dual_lshrrev_b32 v61, 16, v12
	v_and_b32_e32 v11, 0xffff, v11
	v_and_b32_e32 v12, 0xffff, v12
	v_lshrrev_b32_e32 v62, 16, v13
	v_and_b32_e32 v13, 0xffff, v13
	;;#ASMSTART
	v_cvt_f32_f16 v42, v10;
	;;#ASMEND
	;;#ASMSTART
	v_cvt_f32_f16 v43, v41;
	;;#ASMEND
	;; [unrolled: 3-line block ×16, first 2 shown]
	ds_load_b128 v[58:61], v17 offset:32
	v_lshrrev_b32_e32 v62, 16, v6
	v_pk_mul_f32 v[6:7], v[42:43], v[46:47]
	v_pk_mul_f32 v[42:43], v[44:45], v[48:49]
	;; [unrolled: 1-line block ×3, first 2 shown]
	s_wait_loadcnt 0x0
	v_and_b32_e32 v40, 0xffff, v2
	v_lshrrev_b32_e32 v41, 16, v3
	v_pk_fma_f32 v[34:35], v[34:35], v[36:37], v[6:7]
	v_pk_mul_f32 v[10:11], v[10:11], v[12:13]
	v_pk_fma_f32 v[12:13], v[22:23], v[26:27], v[38:39]
	s_delay_alu instid0(VALU_DEP_2)
	v_pk_fma_f32 v[10:11], v[30:31], v[32:33], v[10:11]
	s_wait_dscnt 0x0
	v_dual_lshrrev_b32 v6, 16, v58 :: v_dual_lshrrev_b32 v46, 16, v59
	v_and_b32_e32 v7, 0xffff, v58
	v_and_b32_e32 v47, 0xffff, v59
	v_dual_lshrrev_b32 v58, 16, v60 :: v_dual_lshrrev_b32 v69, 16, v61
	v_and_b32_e32 v59, 0xffff, v60
	v_and_b32_e32 v70, 0xffff, v61
	;;#ASMSTART
	v_cvt_f32_f16 v36, v7;
	;;#ASMEND
	;;#ASMSTART
	v_cvt_f32_f16 v37, v6;
	;;#ASMEND
	;;#ASMSTART
	v_cvt_f32_f16 v44, v63;
	;;#ASMEND
	;;#ASMSTART
	v_cvt_f32_f16 v45, v62;
	;;#ASMEND
	;;#ASMSTART
	v_cvt_f32_f16 v47, v47;
	;;#ASMEND
	;;#ASMSTART
	v_cvt_f32_f16 v46, v46;
	;;#ASMEND
	;;#ASMSTART
	v_cvt_f32_f16 v49, v65;
	;;#ASMEND
	;;#ASMSTART
	v_cvt_f32_f16 v48, v64;
	;;#ASMEND
	;;#ASMSTART
	v_cvt_f32_f16 v59, v59;
	;;#ASMEND
	;;#ASMSTART
	v_cvt_f32_f16 v58, v58;
	;;#ASMEND
	;;#ASMSTART
	v_cvt_f32_f16 v61, v8;
	;;#ASMEND
	;;#ASMSTART
	v_cvt_f32_f16 v60, v67;
	;;#ASMEND
	;;#ASMSTART
	v_cvt_f32_f16 v63, v70;
	;;#ASMEND
	;;#ASMSTART
	v_cvt_f32_f16 v62, v69;
	;;#ASMEND
	;;#ASMSTART
	v_cvt_f32_f16 v65, v9;
	;;#ASMEND
	;;#ASMSTART
	v_cvt_f32_f16 v64, v68;
	;;#ASMEND
	ds_load_b128 v[6:9], v17 offset:48
	v_lshrrev_b32_e32 v67, 16, v2
	v_and_b32_e32 v68, 0xffff, v3
	v_pk_fma_f32 v[2:3], v[24:25], v[28:29], v[42:43]
	v_pk_fma_f32 v[22:23], v[36:37], v[44:45], v[34:35]
	v_dual_lshrrev_b32 v69, 16, v4 :: v_dual_lshrrev_b32 v29, 16, v5
	v_and_b32_e32 v28, 0xffff, v4
	s_delay_alu instid0(VALU_DEP_4)
	v_pk_fma_f32 v[2:3], v[46:47], v[48:49], v[2:3]
	s_wait_dscnt 0x0
	v_and_b32_e32 v4, 0xffff, v6
	v_dual_lshrrev_b32 v24, 16, v6 :: v_dual_lshrrev_b32 v26, 16, v7
	v_and_b32_e32 v27, 0xffff, v7
	;;#ASMSTART
	v_cvt_f32_f16 v6, v4;
	;;#ASMEND
	;;#ASMSTART
	v_cvt_f32_f16 v7, v24;
	;;#ASMEND
	;;#ASMSTART
	v_cvt_f32_f16 v24, v40;
	;;#ASMEND
	;;#ASMSTART
	v_cvt_f32_f16 v25, v67;
	;;#ASMEND
	v_pk_fma_f32 v[6:7], v[6:7], v[24:25], v[22:23]
	;;#ASMSTART
	v_cvt_f32_f16 v27, v27;
	;;#ASMEND
	;;#ASMSTART
	v_cvt_f32_f16 v26, v26;
	;;#ASMEND
	;;#ASMSTART
	v_cvt_f32_f16 v23, v68;
	;;#ASMEND
	;;#ASMSTART
	v_cvt_f32_f16 v22, v41;
	;;#ASMEND
	v_pk_fma_f32 v[2:3], v[26:27], v[22:23], v[2:3]
	v_add_f32_e32 v4, v6, v7
	v_and_b32_e32 v30, 0xffff, v8
	v_lshrrev_b32_e32 v8, 16, v8
	v_pk_fma_f32 v[6:7], v[58:59], v[60:61], v[12:13]
	;;#ASMSTART
	v_cvt_f32_f16 v13, v30;
	;;#ASMEND
	v_add_f32_e32 v3, v4, v3
	;;#ASMSTART
	v_cvt_f32_f16 v12, v8;
	;;#ASMEND
	;;#ASMSTART
	v_cvt_f32_f16 v23, v28;
	;;#ASMEND
	;;#ASMSTART
	v_cvt_f32_f16 v22, v69;
	;;#ASMEND
	v_pk_fma_f32 v[6:7], v[12:13], v[22:23], v[6:7]
	v_dual_lshrrev_b32 v8, 16, v9 :: v_dual_add_f32 v4, v2, v3
	v_pk_fma_f32 v[2:3], v[62:63], v[64:65], v[10:11]
	v_and_b32_e32 v24, 0xffff, v9
	v_and_b32_e32 v9, 0xffff, v5
	;;#ASMSTART
	v_cvt_f32_f16 v5, v24;
	;;#ASMEND
	v_add_f32_e32 v7, v4, v7
	;;#ASMSTART
	v_cvt_f32_f16 v4, v8;
	;;#ASMEND
	;;#ASMSTART
	v_cvt_f32_f16 v9, v9;
	;;#ASMEND
	;; [unrolled: 3-line block ×3, first 2 shown]
	v_pk_fma_f32 v[2:3], v[4:5], v[8:9], v[2:3]
	v_dual_add_f32 v4, v6, v7 :: v_dual_mul_f32 v5, s34, v66
	s_delay_alu instid0(VALU_DEP_1) | instskip(NEXT) | instid1(VALU_DEP_1)
	v_dual_add_f32 v3, v4, v3 :: v_dual_cndmask_b32 v4, 0, v5
	v_dual_add_f32 v2, v2, v3 :: v_dual_max_num_f32 v3, v53, v53
	s_delay_alu instid0(VALU_DEP_1) | instskip(NEXT) | instid1(VALU_DEP_1)
	v_fmac_f32_e32 v4, s23, v2
	v_max_num_f32_e32 v3, v3, v4
	v_add_nc_u32_e32 v2, v51, v16
	s_delay_alu instid0(VALU_DEP_1) | instskip(NEXT) | instid1(VALU_DEP_1)
	v_cmp_gt_i32_e64 s3, s29, v2
	v_dual_cndmask_b32 v2, 0, v4, s3 :: v_dual_cndmask_b32 v53, v53, v3, s3
	ds_store_b32 v57, v2
	s_branch .LBB90_10
.LBB90_15:
	s_or_b32 exec_lo, exec_lo, s36
.LBB90_16:
	s_delay_alu instid0(SALU_CYCLE_1)
	s_or_b32 exec_lo, exec_lo, s22
	v_mbcnt_lo_u32_b32 v5, -1, 0
	s_clause 0x1
	s_load_b64 s[10:11], s[0:1], 0x0
	s_load_b64 s[22:23], s[0:1], 0x18
	v_max_num_f32_e32 v6, v53, v53
	v_xor_b32_e32 v4, 8, v5
	v_xor_b32_e32 v2, 16, v5
	s_delay_alu instid0(VALU_DEP_1) | instskip(SKIP_1) | instid1(VALU_DEP_1)
	v_cmp_gt_i32_e32 vcc_lo, 32, v2
	v_cndmask_b32_e32 v2, v5, v2, vcc_lo
	v_lshlrev_b32_e32 v2, 2, v2
	ds_bpermute_b32 v3, v2, v53
	s_wait_dscnt 0x0
	v_max_num_f32_e32 v7, v3, v3
	s_delay_alu instid0(VALU_DEP_1) | instskip(SKIP_2) | instid1(VALU_DEP_1)
	v_max_num_f32_e32 v6, v6, v7
	v_cmp_gt_i32_e32 vcc_lo, 32, v4
	v_dual_cndmask_b32 v4, v5, v4, vcc_lo :: v_dual_bitop2_b32 v7, 4, v5 bitop3:0x14
	v_cmp_gt_i32_e32 vcc_lo, 32, v7
	s_delay_alu instid0(VALU_DEP_2) | instskip(SKIP_3) | instid1(VALU_DEP_1)
	v_lshlrev_b32_e32 v3, 2, v4
	ds_bpermute_b32 v4, v3, v6
	s_wait_dscnt 0x0
	v_dual_cndmask_b32 v7, v5, v7 :: v_dual_max_num_f32 v8, v4, v4
	v_dual_lshlrev_b32 v4, 2, v7 :: v_dual_max_num_f32 v6, v6, v8
	ds_bpermute_b32 v7, v4, v6
	s_wait_dscnt 0x0
	v_dual_max_num_f32 v7, v7, v7 :: v_dual_bitop2_b32 v8, 2, v5 bitop3:0x14
	s_delay_alu instid0(VALU_DEP_1) | instskip(NEXT) | instid1(VALU_DEP_2)
	v_cmp_gt_i32_e32 vcc_lo, 32, v8
	v_dual_max_num_f32 v6, v6, v7 :: v_dual_cndmask_b32 v8, v5, v8, vcc_lo
	s_delay_alu instid0(VALU_DEP_1) | instskip(SKIP_4) | instid1(VALU_DEP_2)
	v_dual_lshlrev_b32 v19, 2, v8 :: v_dual_bitop2_b32 v8, 1, v5 bitop3:0x14
	ds_bpermute_b32 v7, v19, v6
	v_cmp_gt_i32_e32 vcc_lo, 32, v8
	v_cndmask_b32_e32 v5, v5, v8, vcc_lo
	v_cmp_eq_u32_e32 vcc_lo, 0, v51
	v_dual_lshlrev_b32 v20, 2, v5 :: v_dual_lshlrev_b32 v5, 2, v50
	s_wait_dscnt 0x0
	v_max_num_f32_e32 v7, v7, v7
	s_delay_alu instid0(VALU_DEP_1)
	v_max_num_f32_e32 v6, v6, v7
	ds_bpermute_b32 v7, v20, v6
	s_wait_xcnt 0x0
	s_and_saveexec_b32 s0, vcc_lo
	s_cbranch_execz .LBB90_18
; %bb.17:
	s_wait_dscnt 0x0
	v_dual_max_num_f32 v7, v7, v7 :: v_dual_max_num_f32 v6, v6, v6
	s_delay_alu instid0(VALU_DEP_1)
	v_max_num_f32_e32 v6, v6, v7
	ds_store_b32 v5, v6 offset:64
.LBB90_18:
	s_or_b32 exec_lo, exec_lo, s0
	v_cmp_gt_u32_e64 s0, 4, v51
	v_mov_b32_e32 v6, 0xff7fffff
	s_wait_dscnt 0x0
	s_barrier_signal -1
	s_barrier_wait -1
	s_and_saveexec_b32 s1, s0
; %bb.19:
	ds_load_b32 v6, v15 offset:64
; %bb.20:
	s_or_b32 exec_lo, exec_lo, s1
	s_wait_dscnt 0x0
	ds_bpermute_b32 v7, v19, v6
	v_max_num_f32_e32 v6, v6, v6
	s_lshl_b32 s1, s31, 5
	s_delay_alu instid0(SALU_CYCLE_1) | instskip(NEXT) | instid1(SALU_CYCLE_1)
	s_min_i32 s4, s1, s29
	v_cmp_gt_i32_e64 s1, s4, v0
	s_wait_dscnt 0x0
	v_max_num_f32_e32 v7, v7, v7
	s_delay_alu instid0(VALU_DEP_1) | instskip(SKIP_3) | instid1(VALU_DEP_1)
	v_max_num_f32_e32 v6, v6, v7
	ds_bpermute_b32 v7, v20, v6
	s_wait_dscnt 0x0
	v_max_num_f32_e32 v7, v7, v7
	v_dual_max_num_f32 v7, v6, v7 :: v_dual_mov_b32 v6, 0
	ds_bpermute_b32 v7, v6, v7
	s_and_saveexec_b32 s21, s1
	s_cbranch_execz .LBB90_24
; %bb.21:
	v_lshl_add_u32 v8, v0, 2, 0x60
	v_dual_mov_b32 v6, 0 :: v_dual_mov_b32 v9, v0
	s_mov_b32 s24, 0
.LBB90_22:                              ; =>This Inner Loop Header: Depth=1
	ds_load_b32 v10, v8
	v_add_nc_u32_e32 v9, 0x80, v9
	s_delay_alu instid0(VALU_DEP_1) | instskip(SKIP_3) | instid1(VALU_DEP_1)
	v_cmp_le_i32_e64 s3, s4, v9
	s_or_b32 s24, s3, s24
	s_wait_dscnt 0x0
	v_sub_f32_e32 v10, v10, v7
	v_mul_f32_e32 v10, 0x3fb8aa3b, v10
	s_delay_alu instid0(VALU_DEP_1)
	v_exp_f32_e32 v10, v10
	ds_store_b32 v8, v10
	v_nop
	v_add_f32_e32 v6, v6, v10
	v_add_nc_u32_e32 v8, 0x200, v8
	s_and_not1_b32 exec_lo, exec_lo, s24
	s_cbranch_execnz .LBB90_22
; %bb.23:
	s_or_b32 exec_lo, exec_lo, s24
.LBB90_24:
	s_delay_alu instid0(SALU_CYCLE_1)
	s_or_b32 exec_lo, exec_lo, s21
	ds_bpermute_b32 v2, v2, v6
	s_wait_dscnt 0x0
	v_add_f32_e32 v2, v6, v2
	ds_bpermute_b32 v3, v3, v2
	s_wait_dscnt 0x0
	v_add_f32_e32 v2, v2, v3
	;; [unrolled: 3-line block ×5, first 2 shown]
	s_and_saveexec_b32 s3, vcc_lo
; %bb.25:
	ds_store_b32 v5, v2 offset:80
; %bb.26:
	s_or_b32 exec_lo, exec_lo, s3
	s_wait_dscnt 0x0
	s_barrier_signal -1
	s_barrier_wait -1
	s_and_saveexec_b32 s3, s0
; %bb.27:
	ds_load_b32 v2, v15 offset:80
; %bb.28:
	s_or_b32 exec_lo, exec_lo, s3
	s_wait_dscnt 0x0
	ds_bpermute_b32 v3, v19, v2
	s_wait_dscnt 0x0
	v_dual_mov_b32 v7, 0 :: v_dual_add_f32 v2, v2, v3
	ds_bpermute_b32 v3, v20, v2
	s_wait_dscnt 0x0
	v_add_f32_e32 v2, v2, v3
	ds_bpermute_b32 v2, v7, v2
	s_and_saveexec_b32 s0, s1
	s_cbranch_execz .LBB90_41
; %bb.29:
	s_wait_dscnt 0x0
	v_add_f32_e32 v2, 0x358637bd, v2
	s_mov_b32 s3, -1
	s_mov_b32 s1, exec_lo
	s_delay_alu instid0(VALU_DEP_1) | instskip(NEXT) | instid1(VALU_DEP_1)
	v_div_scale_f32 v3, null, v2, v2, 1.0
	v_rcp_f32_e32 v5, v3
	v_nop
	s_delay_alu instid0(TRANS32_DEP_1) | instskip(NEXT) | instid1(VALU_DEP_1)
	v_fma_f32 v4, -v3, v5, 1.0
	v_fmac_f32_e32 v5, v4, v5
	v_div_scale_f32 v6, vcc_lo, 1.0, v2, 1.0
	s_delay_alu instid0(VALU_DEP_1) | instskip(NEXT) | instid1(VALU_DEP_1)
	v_mul_f32_e32 v8, v6, v5
	v_fma_f32 v4, -v3, v8, v6
	s_delay_alu instid0(VALU_DEP_1) | instskip(SKIP_1) | instid1(VALU_DEP_2)
	v_fmac_f32_e32 v8, v4, v5
	v_xad_u32 v4, v0, -1, s4
	v_fma_f32 v3, -v3, v8, v6
	s_delay_alu instid0(VALU_DEP_1) | instskip(NEXT) | instid1(VALU_DEP_1)
	v_div_fmas_f32 v3, v3, v5, v8
	v_div_fixup_f32 v2, v3, v2, 1.0
	v_mov_b32_e32 v3, v0
	v_cmpx_lt_u32_e32 0x7f, v4
	s_cbranch_execz .LBB90_38
; %bb.30:
	s_delay_alu instid0(VALU_DEP_3) | instskip(NEXT) | instid1(VALU_DEP_1)
	v_dual_mov_b32 v3, v2 :: v_dual_lshrrev_b32 v4, 7, v4
	v_dual_mov_b32 v9, 0 :: v_dual_add_nc_u32 v5, -1, v4
	s_delay_alu instid0(VALU_DEP_1) | instskip(SKIP_1) | instid1(VALU_DEP_2)
	v_lshrrev_b32_e32 v6, 1, v5
	v_cmp_lt_u32_e32 vcc_lo, 13, v5
	v_add_nc_u32_e32 v5, 1, v6
	s_and_saveexec_b32 s3, vcc_lo
	s_cbranch_execz .LBB90_34
; %bb.31:
	s_delay_alu instid0(VALU_DEP_1)
	v_and_b32_e32 v6, -8, v5
	v_lshl_add_u32 v8, v0, 2, 0x60
	s_mov_b32 s21, 0
	s_mov_b32 s24, 0
.LBB90_32:                              ; =>This Inner Loop Header: Depth=1
	ds_load_2addr_stride64_b32 v[10:11], v8 offset1:2
	ds_load_2addr_stride64_b32 v[12:13], v8 offset0:4 offset1:6
	ds_load_2addr_stride64_b32 v[16:17], v8 offset0:8 offset1:10
	;; [unrolled: 1-line block ×7, first 2 shown]
	s_add_co_i32 s24, s24, 16
	s_delay_alu instid0(SALU_CYCLE_1) | instskip(NEXT) | instid1(VALU_DEP_1)
	v_dual_mov_b32 v9, s24 :: v_dual_add_nc_u32 v6, -8, v6
	v_cmp_eq_u32_e32 vcc_lo, 0, v6
	s_or_b32 s21, vcc_lo, s21
	s_wait_dscnt 0x7
	v_pk_mul_f32 v[10:11], v[2:3], v[10:11]
	s_wait_dscnt 0x6
	v_pk_mul_f32 v[12:13], v[2:3], v[12:13]
	;; [unrolled: 2-line block ×8, first 2 shown]
	ds_store_2addr_stride64_b32 v8, v10, v11 offset1:2
	ds_store_2addr_stride64_b32 v8, v12, v13 offset0:4 offset1:6
	ds_store_2addr_stride64_b32 v8, v16, v17 offset0:8 offset1:10
	;; [unrolled: 1-line block ×7, first 2 shown]
	v_add_nc_u32_e32 v8, 0x2000, v8
	s_and_not1_b32 exec_lo, exec_lo, s21
	s_cbranch_execnz .LBB90_32
; %bb.33:
	s_or_b32 exec_lo, exec_lo, s21
.LBB90_34:
	s_delay_alu instid0(SALU_CYCLE_1) | instskip(NEXT) | instid1(VALU_DEP_1)
	s_or_b32 exec_lo, exec_lo, s3
	v_and_b32_e32 v5, 7, v5
	s_mov_b32 s21, 0
	s_mov_b32 s3, exec_lo
	s_delay_alu instid0(VALU_DEP_1)
	v_cmpx_ne_u32_e32 0, v5
	s_cbranch_execz .LBB90_37
; %bb.35:
	v_dual_lshlrev_b32 v6, 9, v9 :: v_dual_lshlrev_b32 v8, 2, v0
	s_delay_alu instid0(VALU_DEP_1)
	v_add3_u32 v6, v6, v8, 0x60
.LBB90_36:                              ; =>This Inner Loop Header: Depth=1
	ds_load_2addr_stride64_b32 v[8:9], v6 offset1:2
	v_add_nc_u32_e32 v5, -1, v5
	s_delay_alu instid0(VALU_DEP_1)
	v_cmp_eq_u32_e32 vcc_lo, 0, v5
	s_or_b32 s21, vcc_lo, s21
	s_wait_dscnt 0x0
	v_pk_mul_f32 v[8:9], v[2:3], v[8:9]
	ds_store_2addr_stride64_b32 v6, v8, v9 offset1:2
	v_add_nc_u32_e32 v6, 0x400, v6
	s_and_not1_b32 exec_lo, exec_lo, s21
	s_cbranch_execnz .LBB90_36
.LBB90_37:
	s_or_b32 exec_lo, exec_lo, s3
	v_add_nc_u32_e32 v3, 1, v4
	s_delay_alu instid0(VALU_DEP_1) | instskip(NEXT) | instid1(VALU_DEP_1)
	v_and_b32_e32 v4, 0x3fffffe, v3
	v_cmp_ne_u32_e32 vcc_lo, v3, v4
	v_lshl_add_u32 v3, v4, 7, v0
	s_or_not1_b32 s3, vcc_lo, exec_lo
.LBB90_38:
	s_or_b32 exec_lo, exec_lo, s1
	s_delay_alu instid0(SALU_CYCLE_1)
	s_and_b32 exec_lo, exec_lo, s3
	s_cbranch_execz .LBB90_41
; %bb.39:
	v_lshl_add_u32 v4, v3, 2, 0x60
	s_mov_b32 s1, 0
.LBB90_40:                              ; =>This Inner Loop Header: Depth=1
	ds_load_b32 v5, v4
	v_add_nc_u32_e32 v3, 0x80, v3
	s_delay_alu instid0(VALU_DEP_1)
	v_cmp_le_i32_e32 vcc_lo, s4, v3
	s_or_b32 s1, vcc_lo, s1
	s_wait_dscnt 0x0
	v_mul_f32_e32 v5, v2, v5
	ds_store_b32 v4, v5
	v_add_nc_u32_e32 v4, 0x200, v4
	s_and_not1_b32 exec_lo, exec_lo, s1
	s_cbranch_execnz .LBB90_40
.LBB90_41:
	s_or_b32 exec_lo, exec_lo, s0
	v_dual_mov_b32 v6, 0 :: v_dual_bitop2_b32 v21, 3, v0 bitop3:0x40
	v_dual_mov_b32 v9, 0 :: v_dual_mov_b32 v8, 0
	s_wait_dscnt 0x0
	s_barrier_signal -1
	s_barrier_wait -1
	s_and_saveexec_b32 s1, s2
	s_cbranch_execz .LBB90_55
; %bb.42:
	s_abs_i32 s6, s6
	v_dual_lshlrev_b32 v5, 3, v0 :: v_dual_mov_b32 v15, 0
	s_cvt_f32_u32 s0, s6
	v_and_b32_e32 v2, 0x1f0, v1
	v_lshlrev_b32_e32 v1, 5, v21
	s_ashr_i32 s21, s20, 31
	v_rcp_iflag_f32_e32 v3, s0
	v_and_b32_e32 v4, 0x7c, v52
	v_dual_mov_b32 v5, v15 :: v_dual_bitop2_b32 v22, 24, v5 bitop3:0x40
	s_lshl_b64 s[18:19], s[18:19], 2
	s_lshl_b64 s[20:21], s[20:21], 1
	s_add_nc_u64 s[16:17], s[16:17], s[18:19]
	s_delay_alu instid0(TRANS32_DEP_1)
	v_readfirstlane_b32 s0, v3
	v_mov_b32_e32 v3, v15
	v_lshl_or_b32 v1, v50, 7, v1
	s_wait_kmcnt 0x0
	s_add_nc_u64 s[18:19], s[22:23], s[20:21]
	s_sub_co_i32 s4, 0, s6
	s_mul_f32 s0, s0, 0x4f7ffffe
	v_add_nc_u64_e32 v[10:11], s[18:19], v[2:3]
	v_add_nc_u64_e32 v[12:13], s[16:17], v[4:5]
	v_dual_mov_b32 v24, v50 :: v_dual_add_nc_u32 v23, 0x60, v1
	s_cvt_u32_f32 s0, s0
	v_dual_mov_b32 v8, v15 :: v_dual_mov_b32 v9, v15
	v_dual_mov_b32 v6, v15 :: v_dual_mov_b32 v7, v15
	s_delay_alu instid0(SALU_CYCLE_1)
	s_mul_i32 s4, s4, s0
	s_sub_co_i32 s24, s33, s5
	s_mov_b32 s5, 0
	s_mul_hi_u32 s4, s0, s4
	s_ashr_i32 s3, s9, 31
	s_mov_b32 s2, s9
	s_add_co_i32 s9, s31, -1
	s_mov_b32 s16, s29
	s_add_co_i32 s4, s0, s4
	s_mov_b32 s17, s5
	s_branch .LBB90_45
.LBB90_43:                              ;   in Loop: Header=BB90_45 Depth=1
	s_or_b32 exec_lo, exec_lo, s0
	v_dual_lshlrev_b32 v16, 16, v16 :: v_dual_lshlrev_b32 v1, 16, v1
	s_delay_alu instid0(VALU_DEP_2) | instskip(NEXT) | instid1(VALU_DEP_2)
	v_lshlrev_b32_e32 v17, 16, v17
	v_and_or_b32 v2, 0xffff, v2, v16
	s_delay_alu instid0(VALU_DEP_3) | instskip(NEXT) | instid1(VALU_DEP_3)
	v_and_or_b32 v1, 0xffff, v3, v1
	v_and_or_b32 v3, 0xffff, v4, v17
	;;#ASMSTART
	v_pk_mul_f16 v2, v35, v2;

	;;#ASMEND
	;;#ASMSTART
	v_pk_mul_f16 v1, v34, v1;

	;;#ASMEND
	;; [unrolled: 4-line block ×4, first 2 shown]
	;;#ASMSTART
	v_pk_add_f16 v1, v2, v1;

	;;#ASMEND
	;;#ASMSTART
	v_pk_add_f16 v1, v1, v3;

	;;#ASMEND
	;; [unrolled: 4-line block ×3, first 2 shown]
	v_and_b32_e32 v4, 0xffff, v1
	v_lshrrev_b32_e32 v5, 16, v1
	v_add_f32_e32 v2, v40, v41
	v_add_f32_e32 v1, v18, v33
	;;#ASMSTART
	v_cvt_f32_f16 v4, v4;
	;;#ASMEND
	s_delay_alu instid0(VALU_DEP_2) | instskip(NEXT) | instid1(VALU_DEP_2)
	v_dual_add_f32 v3, v38, v39 :: v_dual_add_f32 v9, v9, v2
	v_add_f32_e32 v6, v6, v1
	;;#ASMSTART
	v_cvt_f32_f16 v5, v5;
	;;#ASMEND
	v_add_f32_e32 v4, v4, v5
	s_delay_alu instid0(VALU_DEP_1)
	v_dual_add_f32 v8, v8, v3 :: v_dual_add_f32 v7, v7, v4
.LBB90_44:                              ;   in Loop: Header=BB90_45 Depth=1
	s_or_b32 exec_lo, exec_lo, s18
	v_add_nc_u32_e32 v24, 4, v24
	v_add_nc_u64_e32 v[12:13], 16, v[12:13]
	v_add_nc_u32_e32 v14, 0x80, v14
	v_add_nc_u32_e32 v23, 0x200, v23
	s_delay_alu instid0(VALU_DEP_4) | instskip(SKIP_1) | instid1(SALU_CYCLE_1)
	v_cmp_le_i32_e32 vcc_lo, s31, v24
	s_or_b32 s17, vcc_lo, s17
	s_and_not1_b32 exec_lo, exec_lo, s17
	s_cbranch_execz .LBB90_54
.LBB90_45:                              ; =>This Inner Loop Header: Depth=1
	v_mul_u64_e32 v[2:3], s[14:15], v[14:15]
	s_delay_alu instid0(VALU_DEP_1) | instskip(NEXT) | instid1(VALU_DEP_1)
	v_mul_lo_u32 v1, v3, s8
	v_dual_add_nc_u32 v2, 1, v3 :: v_dual_sub_nc_u32 v1, v14, v1
	s_delay_alu instid0(VALU_DEP_1) | instskip(SKIP_1) | instid1(VALU_DEP_2)
	v_subrev_nc_u32_e32 v4, s8, v1
	v_cmp_le_u32_e32 vcc_lo, s8, v1
	v_dual_cndmask_b32 v2, v3, v2 :: v_dual_cndmask_b32 v1, v1, v4
	s_delay_alu instid0(VALU_DEP_1) | instskip(NEXT) | instid1(VALU_DEP_2)
	v_add_nc_u32_e32 v3, 1, v2
	v_cmp_le_u32_e32 vcc_lo, s8, v1
	s_delay_alu instid0(VALU_DEP_2) | instskip(NEXT) | instid1(VALU_DEP_1)
	v_dual_cndmask_b32 v1, v2, v3, vcc_lo :: v_dual_mov_b32 v3, v15
	v_xor_b32_e32 v1, s30, v1
	s_delay_alu instid0(VALU_DEP_1) | instskip(NEXT) | instid1(VALU_DEP_1)
	v_subrev_nc_u32_e32 v1, s30, v1
	v_add_nc_u32_e32 v16, s13, v1
	v_cmp_lt_i32_e64 s0, s24, v1
	s_delay_alu instid0(VALU_DEP_2) | instskip(NEXT) | instid1(VALU_DEP_1)
	v_sub_nc_u32_e32 v2, 0, v16
	v_max_i32_e32 v2, v16, v2
	s_delay_alu instid0(VALU_DEP_1) | instskip(SKIP_1) | instid1(VALU_DEP_2)
	v_mul_u64_e32 v[4:5], s[4:5], v[2:3]
	v_ashrrev_i32_e32 v4, 31, v16
	v_mul_lo_u32 v3, v5, s6
	s_delay_alu instid0(VALU_DEP_1) | instskip(NEXT) | instid1(VALU_DEP_1)
	v_sub_nc_u32_e32 v2, v2, v3
	v_subrev_nc_u32_e32 v3, s6, v2
	v_cmp_le_u32_e32 vcc_lo, s6, v2
	s_delay_alu instid0(VALU_DEP_2) | instskip(NEXT) | instid1(VALU_DEP_1)
	v_cndmask_b32_e32 v2, v2, v3, vcc_lo
	v_subrev_nc_u32_e32 v3, s6, v2
	v_cmp_le_u32_e32 vcc_lo, s6, v2
	s_delay_alu instid0(VALU_DEP_2) | instskip(NEXT) | instid1(VALU_DEP_1)
	v_cndmask_b32_e32 v2, v2, v3, vcc_lo
	v_xor_b32_e32 v2, v2, v4
	s_delay_alu instid0(VALU_DEP_1) | instskip(NEXT) | instid1(VALU_DEP_1)
	v_sub_nc_u32_e32 v2, v2, v4
	v_cmp_eq_u32_e32 vcc_lo, 0, v2
	s_or_b32 s0, vcc_lo, s0
	s_delay_alu instid0(SALU_CYCLE_1)
	s_and_saveexec_b32 s18, s0
	s_cbranch_execz .LBB90_44
; %bb.46:                               ;   in Loop: Header=BB90_45 Depth=1
	global_load_b32 v2, v[12:13], off
	v_cmp_eq_u32_e32 vcc_lo, s9, v24
	s_wait_loadcnt 0x0
	v_ashrrev_i32_e32 v3, 31, v2
	s_delay_alu instid0(VALU_DEP_1)
	v_mul_u64_e32 v[16:17], s[2:3], v[2:3]
	ds_load_2addr_b64 v[2:5], v23 offset1:1
	ds_load_2addr_b64 v[26:29], v23 offset0:2 offset1:3
	s_wait_dscnt 0x1
	;;#ASMSTART
	v_cvt_f16_f32 v35, v2;

	;;#ASMEND
	;;#ASMSTART
	v_cvt_f16_f32 v34, v3;

	;;#ASMEND
	;; [unrolled: 4-line block ×4, first 2 shown]
	s_wait_dscnt 0x0
	;;#ASMSTART
	v_cvt_f16_f32 v41, v26;

	;;#ASMEND
	;;#ASMSTART
	v_cvt_f16_f32 v36, v27;

	;;#ASMEND
	;; [unrolled: 4-line block ×4, first 2 shown]
	v_lshl_add_u64 v[16:17], v[16:17], 1, v[10:11]
	global_load_b128 v[2:5], v[16:17], off
	s_wait_loadcnt 0x0
	v_dual_add_nc_u32 v29, v22, v14 :: v_dual_lshrrev_b32 v1, 16, v3
	s_delay_alu instid0(VALU_DEP_1)
	v_dual_add_nc_u32 v31, 2, v29 :: v_dual_add_nc_u32 v26, 4, v29
	v_dual_add_nc_u32 v25, 5, v29 :: v_dual_add_nc_u32 v28, 6, v29
	v_dual_add_nc_u32 v27, 7, v29 :: v_dual_bitop2_b32 v32, 3, v29 bitop3:0x54
	v_dual_lshrrev_b32 v18, 16, v2 :: v_dual_lshrrev_b32 v33, 16, v4
	v_or_b32_e32 v30, 1, v29
	s_and_saveexec_b32 s19, vcc_lo
	s_cbranch_execz .LBB90_48
; %bb.47:                               ;   in Loop: Header=BB90_45 Depth=1
	v_cmp_gt_i32_e64 s0, s29, v29
	v_and_b32_e32 v42, 0xffff, v5
	v_and_b32_e32 v5, 0xffff0000, v5
	s_delay_alu instid0(VALU_DEP_3) | instskip(SKIP_1) | instid1(VALU_DEP_1)
	v_cndmask_b32_e64 v2, 0, v2, s0
	v_cmp_gt_i32_e64 s0, s29, v31
	v_cndmask_b32_e64 v3, 0, v3, s0
	v_cmp_gt_i32_e64 s0, s16, v32
	s_delay_alu instid0(VALU_DEP_1) | instskip(SKIP_1) | instid1(VALU_DEP_1)
	v_cndmask_b32_e64 v1, 0, v1, s0
	v_cmp_gt_i32_e64 s0, s29, v30
	v_cndmask_b32_e64 v18, 0, v18, s0
	v_cmp_gt_i32_e64 s0, s29, v28
	s_delay_alu instid0(VALU_DEP_1) | instskip(SKIP_1) | instid1(VALU_DEP_1)
	;; [unrolled: 5-line block ×3, first 2 shown]
	v_dual_cndmask_b32 v4, 0, v4, s0 :: v_dual_bitop2_b32 v5, v42, v5 bitop3:0x54
	v_cmp_gt_i32_e64 s0, s29, v25
	v_cndmask_b32_e64 v33, 0, v33, s0
.LBB90_48:                              ;   in Loop: Header=BB90_45 Depth=1
	s_or_b32 exec_lo, exec_lo, s19
	v_and_b32_e32 v35, 0xffff, v35
	v_and_b32_e32 v40, 0xffff, v40
	v_dual_lshlrev_b32 v18, 16, v18 :: v_dual_lshlrev_b32 v1, 16, v1
	v_lshlrev_b32_e32 v33, 16, v33
	v_and_b32_e32 v41, 0xffff, v41
	v_lshl_or_b32 v35, v34, 16, v35
	v_lshl_or_b32 v34, v38, 16, v40
	v_and_b32_e32 v38, 0xffff, v39
	v_and_or_b32 v2, 0xffff, v2, v18
	v_and_or_b32 v1, 0xffff, v3, v1
	;; [unrolled: 1-line block ×3, first 2 shown]
	;;#ASMSTART
	v_pk_mul_f16 v2, v35, v2;

	;;#ASMEND
	;;#ASMSTART
	v_pk_mul_f16 v1, v34, v1;

	;;#ASMEND
	v_lshl_or_b32 v36, v36, 16, v41
	v_lshl_or_b32 v37, v37, 16, v38
	;;#ASMSTART
	v_pk_mul_f16 v3, v36, v3;

	;;#ASMEND
	;;#ASMSTART
	v_pk_mul_f16 v4, v37, v5;

	;;#ASMEND
	;;#ASMSTART
	v_pk_add_f16 v1, v2, v1;

	;;#ASMEND
	;;#ASMSTART
	v_pk_add_f16 v1, v1, v3;
	;; [unrolled: 4-line block ×3, first 2 shown]

	;;#ASMEND
	v_and_b32_e32 v2, 0xffff, v1
	v_lshrrev_b32_e32 v1, 16, v1
	;;#ASMSTART
	v_cvt_f32_f16 v38, v2;
	;;#ASMEND
	;;#ASMSTART
	v_cvt_f32_f16 v39, v1;
	;;#ASMEND
	global_load_b128 v[2:5], v[16:17], off offset:512
	s_wait_loadcnt 0x0
	v_dual_lshrrev_b32 v1, 16, v3 :: v_dual_lshrrev_b32 v18, 16, v2
	v_lshrrev_b32_e32 v33, 16, v4
	s_and_saveexec_b32 s19, vcc_lo
	s_cbranch_execz .LBB90_50
; %bb.49:                               ;   in Loop: Header=BB90_45 Depth=1
	v_cmp_gt_i32_e64 s0, s29, v29
	v_and_b32_e32 v40, 0xffff, v5
	v_and_b32_e32 v5, 0xffff0000, v5
	s_delay_alu instid0(VALU_DEP_3) | instskip(SKIP_1) | instid1(VALU_DEP_1)
	v_cndmask_b32_e64 v2, 0, v2, s0
	v_cmp_gt_i32_e64 s0, s29, v31
	v_cndmask_b32_e64 v3, 0, v3, s0
	v_cmp_gt_i32_e64 s0, s16, v32
	s_delay_alu instid0(VALU_DEP_1) | instskip(SKIP_1) | instid1(VALU_DEP_1)
	v_cndmask_b32_e64 v1, 0, v1, s0
	v_cmp_gt_i32_e64 s0, s29, v30
	v_cndmask_b32_e64 v18, 0, v18, s0
	v_cmp_gt_i32_e64 s0, s29, v28
	s_delay_alu instid0(VALU_DEP_1) | instskip(SKIP_1) | instid1(VALU_DEP_1)
	;; [unrolled: 5-line block ×3, first 2 shown]
	v_dual_cndmask_b32 v4, 0, v4, s0 :: v_dual_bitop2_b32 v5, v40, v5 bitop3:0x54
	v_cmp_gt_i32_e64 s0, s29, v25
	v_cndmask_b32_e64 v33, 0, v33, s0
.LBB90_50:                              ;   in Loop: Header=BB90_45 Depth=1
	s_or_b32 exec_lo, exec_lo, s19
	v_dual_lshlrev_b32 v18, 16, v18 :: v_dual_lshlrev_b32 v1, 16, v1
	s_delay_alu instid0(VALU_DEP_2) | instskip(NEXT) | instid1(VALU_DEP_2)
	v_lshlrev_b32_e32 v33, 16, v33
	v_and_or_b32 v2, 0xffff, v2, v18
	s_delay_alu instid0(VALU_DEP_3) | instskip(NEXT) | instid1(VALU_DEP_3)
	v_and_or_b32 v1, 0xffff, v3, v1
	v_and_or_b32 v3, 0xffff, v4, v33
	;;#ASMSTART
	v_pk_mul_f16 v2, v35, v2;

	;;#ASMEND
	;;#ASMSTART
	v_pk_mul_f16 v1, v34, v1;

	;;#ASMEND
	;; [unrolled: 4-line block ×4, first 2 shown]
	;;#ASMSTART
	v_pk_add_f16 v1, v2, v1;

	;;#ASMEND
	;;#ASMSTART
	v_pk_add_f16 v1, v1, v3;

	;;#ASMEND
	;; [unrolled: 4-line block ×3, first 2 shown]
	v_and_b32_e32 v2, 0xffff, v1
	v_lshrrev_b32_e32 v1, 16, v1
	;;#ASMSTART
	v_cvt_f32_f16 v40, v2;
	;;#ASMEND
	;;#ASMSTART
	v_cvt_f32_f16 v41, v1;
	;;#ASMEND
	global_load_b128 v[2:5], v[16:17], off offset:1024
	s_wait_loadcnt 0x0
	v_dual_lshrrev_b32 v1, 16, v3 :: v_dual_lshrrev_b32 v18, 16, v2
	v_lshrrev_b32_e32 v33, 16, v4
	s_and_saveexec_b32 s19, vcc_lo
	s_cbranch_execz .LBB90_52
; %bb.51:                               ;   in Loop: Header=BB90_45 Depth=1
	v_cmp_gt_i32_e64 s0, s29, v29
	v_and_b32_e32 v42, 0xffff, v5
	v_and_b32_e32 v5, 0xffff0000, v5
	s_delay_alu instid0(VALU_DEP_3) | instskip(SKIP_1) | instid1(VALU_DEP_1)
	v_cndmask_b32_e64 v2, 0, v2, s0
	v_cmp_gt_i32_e64 s0, s29, v31
	v_cndmask_b32_e64 v3, 0, v3, s0
	v_cmp_gt_i32_e64 s0, s16, v32
	s_delay_alu instid0(VALU_DEP_1) | instskip(SKIP_1) | instid1(VALU_DEP_1)
	v_cndmask_b32_e64 v1, 0, v1, s0
	v_cmp_gt_i32_e64 s0, s29, v30
	v_cndmask_b32_e64 v18, 0, v18, s0
	v_cmp_gt_i32_e64 s0, s29, v28
	s_delay_alu instid0(VALU_DEP_1) | instskip(SKIP_1) | instid1(VALU_DEP_1)
	v_cndmask_b32_e64 v42, 0, v42, s0
	v_cmp_gt_i32_e64 s0, s29, v27
	v_cndmask_b32_e64 v5, 0, v5, s0
	v_cmp_gt_i32_e64 s0, s29, v26
	s_delay_alu instid0(VALU_DEP_1) | instskip(SKIP_1) | instid1(VALU_DEP_1)
	v_dual_cndmask_b32 v4, 0, v4, s0 :: v_dual_bitop2_b32 v5, v42, v5 bitop3:0x54
	v_cmp_gt_i32_e64 s0, s29, v25
	v_cndmask_b32_e64 v33, 0, v33, s0
.LBB90_52:                              ;   in Loop: Header=BB90_45 Depth=1
	s_or_b32 exec_lo, exec_lo, s19
	v_dual_lshlrev_b32 v18, 16, v18 :: v_dual_lshlrev_b32 v1, 16, v1
	s_delay_alu instid0(VALU_DEP_2) | instskip(NEXT) | instid1(VALU_DEP_2)
	v_lshlrev_b32_e32 v33, 16, v33
	v_and_or_b32 v2, 0xffff, v2, v18
	s_delay_alu instid0(VALU_DEP_3) | instskip(NEXT) | instid1(VALU_DEP_3)
	v_and_or_b32 v1, 0xffff, v3, v1
	v_and_or_b32 v3, 0xffff, v4, v33
	;;#ASMSTART
	v_pk_mul_f16 v2, v35, v2;

	;;#ASMEND
	;;#ASMSTART
	v_pk_mul_f16 v1, v34, v1;

	;;#ASMEND
	;; [unrolled: 4-line block ×4, first 2 shown]
	;;#ASMSTART
	v_pk_add_f16 v1, v2, v1;

	;;#ASMEND
	;;#ASMSTART
	v_pk_add_f16 v1, v1, v3;

	;;#ASMEND
	;; [unrolled: 4-line block ×3, first 2 shown]
	v_and_b32_e32 v2, 0xffff, v1
	v_lshrrev_b32_e32 v1, 16, v1
	;;#ASMSTART
	v_cvt_f32_f16 v18, v2;
	;;#ASMEND
	;;#ASMSTART
	v_cvt_f32_f16 v33, v1;
	;;#ASMEND
	global_load_b128 v[2:5], v[16:17], off offset:1536
	s_wait_loadcnt 0x0
	v_dual_lshrrev_b32 v1, 16, v3 :: v_dual_lshrrev_b32 v16, 16, v2
	v_lshrrev_b32_e32 v17, 16, v4
	s_and_saveexec_b32 s0, vcc_lo
	s_cbranch_execz .LBB90_43
; %bb.53:                               ;   in Loop: Header=BB90_45 Depth=1
	v_cmp_gt_i32_e32 vcc_lo, s29, v29
	v_and_b32_e32 v29, 0xffff, v5
	v_and_b32_e32 v5, 0xffff0000, v5
	v_cndmask_b32_e32 v2, 0, v2, vcc_lo
	v_cmp_gt_i32_e32 vcc_lo, s29, v31
	v_cndmask_b32_e32 v3, 0, v3, vcc_lo
	v_cmp_gt_i32_e32 vcc_lo, s16, v32
	;; [unrolled: 2-line block ×7, first 2 shown]
	s_delay_alu instid0(VALU_DEP_4)
	v_or_b32_e32 v5, v28, v5
	v_cndmask_b32_e32 v17, 0, v17, vcc_lo
	s_branch .LBB90_43
.LBB90_54:
	s_or_b32 exec_lo, exec_lo, s17
.LBB90_55:
	s_delay_alu instid0(SALU_CYCLE_1)
	s_or_b32 exec_lo, exec_lo, s1
	ds_bpermute_b32 v2, v19, v8
	ds_bpermute_b32 v3, v19, v9
	;; [unrolled: 1-line block ×4, first 2 shown]
	v_and_b32_e32 v10, 0x3c3, v0
	v_and_b32_e32 v1, 28, v51
	s_mov_b32 s0, exec_lo
	s_wait_dscnt 0x0
	s_barrier_signal -1
	s_barrier_wait -1
	v_pk_add_f32 v[2:3], v[8:9], v[2:3]
	v_pk_add_f32 v[4:5], v[6:7], v[4:5]
	ds_bpermute_b32 v8, v20, v2
	ds_bpermute_b32 v9, v20, v3
	ds_bpermute_b32 v6, v20, v4
	ds_bpermute_b32 v7, v20, v5
	s_wait_dscnt 0x2
	v_pk_add_f32 v[2:3], v[2:3], v[8:9]
	v_cmpx_ne_u32_e32 64, v10
	s_xor_b32 s0, exec_lo, s0
; %bb.56:
                                        ; implicit-def: $vgpr50
; %bb.57:
	s_delay_alu instid0(SALU_CYCLE_1)
	s_or_saveexec_b32 s0, s0
	s_wait_dscnt 0x0
	v_pk_add_f32 v[4:5], v[4:5], v[6:7]
	v_lshrrev_b32_e32 v7, 2, v51
	v_add_nc_u32_e32 v6, 0x60, v1
	s_xor_b32 exec_lo, exec_lo, s0
	s_cbranch_execz .LBB90_59
; %bb.58:
	s_delay_alu instid0(VALU_DEP_1) | instskip(NEXT) | instid1(VALU_DEP_1)
	v_lshl_add_u32 v1, v50, 7, v6
	v_add_nc_u32_e32 v8, 0xffffff00, v1
	v_add_nc_u32_e32 v9, 0xffffff20, v1
	;; [unrolled: 1-line block ×4, first 2 shown]
	ds_store_b32 v8, v2
	ds_store_b32 v9, v3
	;; [unrolled: 1-line block ×4, first 2 shown]
.LBB90_59:
	s_or_b32 exec_lo, exec_lo, s0
	v_and_b32_e32 v1, 0x3e0, v0
	v_lshlrev_b32_e32 v7, 2, v7
	s_mov_b32 s1, exec_lo
	v_cmp_eq_u32_e32 vcc_lo, 0, v21
	s_wait_dscnt 0x0
	v_lshlrev_b32_e32 v1, 2, v1
	s_barrier_signal -1
	s_barrier_wait -1
	s_delay_alu instid0(VALU_DEP_1)
	v_add3_u32 v1, 0x60, v1, v7
	v_cmpx_gt_u32_e32 64, v0
	s_cbranch_execz .LBB90_66
; %bb.60:
	s_and_saveexec_b32 s0, vcc_lo
	s_cbranch_execnz .LBB90_78
; %bb.61:
	s_or_b32 exec_lo, exec_lo, s0
	s_and_saveexec_b32 s0, vcc_lo
	s_cbranch_execnz .LBB90_79
.LBB90_62:
	s_or_b32 exec_lo, exec_lo, s0
	s_and_saveexec_b32 s0, vcc_lo
	s_cbranch_execnz .LBB90_80
.LBB90_63:
	s_or_b32 exec_lo, exec_lo, s0
	s_and_saveexec_b32 s0, vcc_lo
	s_cbranch_execz .LBB90_65
.LBB90_64:
	ds_load_b32 v7, v1 offset:96
	s_wait_dscnt 0x0
	v_add_f32_e32 v5, v5, v7
.LBB90_65:
	s_or_b32 exec_lo, exec_lo, s0
.LBB90_66:
	s_delay_alu instid0(SALU_CYCLE_1) | instskip(SKIP_4) | instid1(VALU_DEP_1)
	s_or_b32 exec_lo, exec_lo, s1
	v_and_b32_e32 v7, 0x3e3, v0
	s_mov_b32 s1, exec_lo
	s_barrier_signal -1
	s_barrier_wait -1
	v_cmpx_eq_u32_e32 32, v7
	s_cbranch_execz .LBB90_68
; %bb.67:
	ds_store_2addr_b32 v6, v2, v3 offset1:8
	ds_store_2addr_b32 v6, v4, v5 offset0:16 offset1:24
.LBB90_68:
	s_or_b32 exec_lo, exec_lo, s1
	s_delay_alu instid0(SALU_CYCLE_1)
	s_mov_b32 s1, exec_lo
	s_wait_dscnt 0x0
	s_barrier_signal -1
	s_barrier_wait -1
	v_cmpx_gt_u32_e32 32, v0
	s_cbranch_execz .LBB90_75
; %bb.69:
	s_and_saveexec_b32 s0, vcc_lo
	s_cbranch_execnz .LBB90_81
; %bb.70:
	s_or_b32 exec_lo, exec_lo, s0
	s_and_saveexec_b32 s0, vcc_lo
	s_cbranch_execnz .LBB90_82
.LBB90_71:
	s_or_b32 exec_lo, exec_lo, s0
	s_and_saveexec_b32 s0, vcc_lo
	s_cbranch_execnz .LBB90_83
.LBB90_72:
	s_or_b32 exec_lo, exec_lo, s0
	s_and_saveexec_b32 s0, vcc_lo
	s_cbranch_execz .LBB90_74
.LBB90_73:
	ds_load_b32 v1, v1 offset:96
	s_wait_dscnt 0x0
	v_add_f32_e32 v5, v5, v1
.LBB90_74:
	s_or_b32 exec_lo, exec_lo, s0
.LBB90_75:
	s_delay_alu instid0(SALU_CYCLE_1)
	s_or_b32 exec_lo, exec_lo, s1
	s_mov_b32 s1, 0
	s_barrier_signal -1
	s_barrier_wait -1
	s_mov_b32 s0, exec_lo
	v_cmpx_eq_u32_e32 0, v7
	s_cbranch_execz .LBB90_77
; %bb.76:
	s_mul_i32 s0, s28, s7
	s_mul_i32 s2, s7, s12
	;; [unrolled: 1-line block ×3, first 2 shown]
	s_lshr_b32 s6, ttmp7, 16
	s_lshl_b32 s4, s0, 5
	s_bfe_u32 s0, ttmp6, 0x40014
	s_ashr_i32 s5, s4, 31
	s_add_co_i32 s0, s0, 1
	s_ashr_i32 s3, s2, 31
	s_mul_i32 s0, s6, s0
	s_bfe_u32 s7, ttmp6, 0x40008
	s_lshl_b64 s[4:5], s[4:5], 1
	s_lshl_b64 s[2:3], s[2:3], 1
	s_add_co_i32 s7, s7, s0
	s_cmp_eq_u32 s26, 0
	s_wait_kmcnt 0x0
	s_add_nc_u64 s[4:5], s[10:11], s[4:5]
	s_cselect_b32 s0, s6, s7
	v_lshrrev_b32_e32 v0, 1, v0
	s_add_nc_u64 s[2:3], s[4:5], s[2:3]
	s_lshl_b32 s0, s0, 6
	;;#ASMSTART
	v_cvt_f16_f32 v1, v2;

	;;#ASMEND
	s_add_nc_u64 s[0:1], s[2:3], s[0:1]
	global_store_b16 v0, v1, s[0:1]
	s_wait_xcnt 0x0
	;;#ASMSTART
	v_cvt_f16_f32 v1, v3;

	;;#ASMEND
	global_store_b16 v0, v1, s[0:1] offset:16
	s_wait_xcnt 0x0
	;;#ASMSTART
	v_cvt_f16_f32 v1, v4;

	;;#ASMEND
	global_store_b16 v0, v1, s[0:1] offset:32
	;; [unrolled: 6-line block ×3, first 2 shown]
.LBB90_77:
	s_sendmsg sendmsg(MSG_DEALLOC_VGPRS)
	s_endpgm
.LBB90_78:
	ds_load_b32 v7, v1
	s_wait_dscnt 0x0
	v_add_f32_e32 v2, v2, v7
	s_or_b32 exec_lo, exec_lo, s0
	s_and_saveexec_b32 s0, vcc_lo
	s_cbranch_execz .LBB90_62
.LBB90_79:
	ds_load_b32 v7, v1 offset:32
	s_wait_dscnt 0x0
	v_add_f32_e32 v3, v3, v7
	s_or_b32 exec_lo, exec_lo, s0
	s_and_saveexec_b32 s0, vcc_lo
	s_cbranch_execz .LBB90_63
.LBB90_80:
	ds_load_b32 v7, v1 offset:64
	s_wait_dscnt 0x0
	v_add_f32_e32 v4, v4, v7
	s_or_b32 exec_lo, exec_lo, s0
	s_and_saveexec_b32 s0, vcc_lo
	s_cbranch_execnz .LBB90_64
	s_branch .LBB90_65
.LBB90_81:
	ds_load_b32 v6, v1
	s_wait_dscnt 0x0
	v_add_f32_e32 v2, v2, v6
	s_or_b32 exec_lo, exec_lo, s0
	s_and_saveexec_b32 s0, vcc_lo
	s_cbranch_execz .LBB90_71
.LBB90_82:
	ds_load_b32 v6, v1 offset:32
	s_wait_dscnt 0x0
	v_add_f32_e32 v3, v3, v6
	s_or_b32 exec_lo, exec_lo, s0
	s_and_saveexec_b32 s0, vcc_lo
	s_cbranch_execz .LBB90_72
.LBB90_83:
	ds_load_b32 v6, v1 offset:64
	s_wait_dscnt 0x0
	v_add_f32_e32 v4, v4, v6
	s_or_b32 exec_lo, exec_lo, s0
	s_and_saveexec_b32 s0, vcc_lo
	s_cbranch_execnz .LBB90_73
	s_branch .LBB90_74
	.section	.rodata,"a",@progbits
	.p2align	6, 0x0
	.amdhsa_kernel _ZN4vllm25paged_attention_v1_kernelIttLi32ELi32ELi128ELNS_18Fp8KVCacheDataTypeE0ELb1EEEvPT_PKS2_PKT0_S8_ifPKiSA_iPKfiiiSC_SC_iiiii
		.amdhsa_group_segment_fixed_size 96
		.amdhsa_private_segment_fixed_size 0
		.amdhsa_kernarg_size 384
		.amdhsa_user_sgpr_count 2
		.amdhsa_user_sgpr_dispatch_ptr 0
		.amdhsa_user_sgpr_queue_ptr 0
		.amdhsa_user_sgpr_kernarg_segment_ptr 1
		.amdhsa_user_sgpr_dispatch_id 0
		.amdhsa_user_sgpr_kernarg_preload_length 0
		.amdhsa_user_sgpr_kernarg_preload_offset 0
		.amdhsa_user_sgpr_private_segment_size 0
		.amdhsa_wavefront_size32 1
		.amdhsa_uses_dynamic_stack 0
		.amdhsa_enable_private_segment 0
		.amdhsa_system_sgpr_workgroup_id_x 1
		.amdhsa_system_sgpr_workgroup_id_y 1
		.amdhsa_system_sgpr_workgroup_id_z 1
		.amdhsa_system_sgpr_workgroup_info 0
		.amdhsa_system_vgpr_workitem_id 0
		.amdhsa_next_free_vgpr 71
		.amdhsa_next_free_sgpr 38
		.amdhsa_named_barrier_count 0
		.amdhsa_reserve_vcc 1
		.amdhsa_float_round_mode_32 0
		.amdhsa_float_round_mode_16_64 0
		.amdhsa_float_denorm_mode_32 3
		.amdhsa_float_denorm_mode_16_64 3
		.amdhsa_fp16_overflow 0
		.amdhsa_memory_ordered 1
		.amdhsa_forward_progress 1
		.amdhsa_inst_pref_size 50
		.amdhsa_round_robin_scheduling 0
		.amdhsa_exception_fp_ieee_invalid_op 0
		.amdhsa_exception_fp_denorm_src 0
		.amdhsa_exception_fp_ieee_div_zero 0
		.amdhsa_exception_fp_ieee_overflow 0
		.amdhsa_exception_fp_ieee_underflow 0
		.amdhsa_exception_fp_ieee_inexact 0
		.amdhsa_exception_int_div_zero 0
	.end_amdhsa_kernel
	.section	.text._ZN4vllm25paged_attention_v1_kernelIttLi32ELi32ELi128ELNS_18Fp8KVCacheDataTypeE0ELb1EEEvPT_PKS2_PKT0_S8_ifPKiSA_iPKfiiiSC_SC_iiiii,"axG",@progbits,_ZN4vllm25paged_attention_v1_kernelIttLi32ELi32ELi128ELNS_18Fp8KVCacheDataTypeE0ELb1EEEvPT_PKS2_PKT0_S8_ifPKiSA_iPKfiiiSC_SC_iiiii,comdat
.Lfunc_end90:
	.size	_ZN4vllm25paged_attention_v1_kernelIttLi32ELi32ELi128ELNS_18Fp8KVCacheDataTypeE0ELb1EEEvPT_PKS2_PKT0_S8_ifPKiSA_iPKfiiiSC_SC_iiiii, .Lfunc_end90-_ZN4vllm25paged_attention_v1_kernelIttLi32ELi32ELi128ELNS_18Fp8KVCacheDataTypeE0ELb1EEEvPT_PKS2_PKT0_S8_ifPKiSA_iPKfiiiSC_SC_iiiii
                                        ; -- End function
	.set _ZN4vllm25paged_attention_v1_kernelIttLi32ELi32ELi128ELNS_18Fp8KVCacheDataTypeE0ELb1EEEvPT_PKS2_PKT0_S8_ifPKiSA_iPKfiiiSC_SC_iiiii.num_vgpr, 71
	.set _ZN4vllm25paged_attention_v1_kernelIttLi32ELi32ELi128ELNS_18Fp8KVCacheDataTypeE0ELb1EEEvPT_PKS2_PKT0_S8_ifPKiSA_iPKfiiiSC_SC_iiiii.num_agpr, 0
	.set _ZN4vllm25paged_attention_v1_kernelIttLi32ELi32ELi128ELNS_18Fp8KVCacheDataTypeE0ELb1EEEvPT_PKS2_PKT0_S8_ifPKiSA_iPKfiiiSC_SC_iiiii.numbered_sgpr, 38
	.set _ZN4vllm25paged_attention_v1_kernelIttLi32ELi32ELi128ELNS_18Fp8KVCacheDataTypeE0ELb1EEEvPT_PKS2_PKT0_S8_ifPKiSA_iPKfiiiSC_SC_iiiii.num_named_barrier, 0
	.set _ZN4vllm25paged_attention_v1_kernelIttLi32ELi32ELi128ELNS_18Fp8KVCacheDataTypeE0ELb1EEEvPT_PKS2_PKT0_S8_ifPKiSA_iPKfiiiSC_SC_iiiii.private_seg_size, 0
	.set _ZN4vllm25paged_attention_v1_kernelIttLi32ELi32ELi128ELNS_18Fp8KVCacheDataTypeE0ELb1EEEvPT_PKS2_PKT0_S8_ifPKiSA_iPKfiiiSC_SC_iiiii.uses_vcc, 1
	.set _ZN4vllm25paged_attention_v1_kernelIttLi32ELi32ELi128ELNS_18Fp8KVCacheDataTypeE0ELb1EEEvPT_PKS2_PKT0_S8_ifPKiSA_iPKfiiiSC_SC_iiiii.uses_flat_scratch, 0
	.set _ZN4vllm25paged_attention_v1_kernelIttLi32ELi32ELi128ELNS_18Fp8KVCacheDataTypeE0ELb1EEEvPT_PKS2_PKT0_S8_ifPKiSA_iPKfiiiSC_SC_iiiii.has_dyn_sized_stack, 0
	.set _ZN4vllm25paged_attention_v1_kernelIttLi32ELi32ELi128ELNS_18Fp8KVCacheDataTypeE0ELb1EEEvPT_PKS2_PKT0_S8_ifPKiSA_iPKfiiiSC_SC_iiiii.has_recursion, 0
	.set _ZN4vllm25paged_attention_v1_kernelIttLi32ELi32ELi128ELNS_18Fp8KVCacheDataTypeE0ELb1EEEvPT_PKS2_PKT0_S8_ifPKiSA_iPKfiiiSC_SC_iiiii.has_indirect_call, 0
	.section	.AMDGPU.csdata,"",@progbits
; Kernel info:
; codeLenInByte = 6388
; TotalNumSgprs: 40
; NumVgprs: 71
; ScratchSize: 0
; MemoryBound: 0
; FloatMode: 240
; IeeeMode: 1
; LDSByteSize: 96 bytes/workgroup (compile time only)
; SGPRBlocks: 0
; VGPRBlocks: 4
; NumSGPRsForWavesPerEU: 40
; NumVGPRsForWavesPerEU: 71
; NamedBarCnt: 0
; Occupancy: 12
; WaveLimiterHint : 1
; COMPUTE_PGM_RSRC2:SCRATCH_EN: 0
; COMPUTE_PGM_RSRC2:USER_SGPR: 2
; COMPUTE_PGM_RSRC2:TRAP_HANDLER: 0
; COMPUTE_PGM_RSRC2:TGID_X_EN: 1
; COMPUTE_PGM_RSRC2:TGID_Y_EN: 1
; COMPUTE_PGM_RSRC2:TGID_Z_EN: 1
; COMPUTE_PGM_RSRC2:TIDIG_COMP_CNT: 0
	.section	.text._ZN4vllm25paged_attention_v1_kernelIttLi64ELi32ELi128ELNS_18Fp8KVCacheDataTypeE0ELb1EEEvPT_PKS2_PKT0_S8_ifPKiSA_iPKfiiiSC_SC_iiiii,"axG",@progbits,_ZN4vllm25paged_attention_v1_kernelIttLi64ELi32ELi128ELNS_18Fp8KVCacheDataTypeE0ELb1EEEvPT_PKS2_PKT0_S8_ifPKiSA_iPKfiiiSC_SC_iiiii,comdat
	.protected	_ZN4vllm25paged_attention_v1_kernelIttLi64ELi32ELi128ELNS_18Fp8KVCacheDataTypeE0ELb1EEEvPT_PKS2_PKT0_S8_ifPKiSA_iPKfiiiSC_SC_iiiii ; -- Begin function _ZN4vllm25paged_attention_v1_kernelIttLi64ELi32ELi128ELNS_18Fp8KVCacheDataTypeE0ELb1EEEvPT_PKS2_PKT0_S8_ifPKiSA_iPKfiiiSC_SC_iiiii
	.globl	_ZN4vllm25paged_attention_v1_kernelIttLi64ELi32ELi128ELNS_18Fp8KVCacheDataTypeE0ELb1EEEvPT_PKS2_PKT0_S8_ifPKiSA_iPKfiiiSC_SC_iiiii
	.p2align	8
	.type	_ZN4vllm25paged_attention_v1_kernelIttLi64ELi32ELi128ELNS_18Fp8KVCacheDataTypeE0ELb1EEEvPT_PKS2_PKT0_S8_ifPKiSA_iPKfiiiSC_SC_iiiii,@function
_ZN4vllm25paged_attention_v1_kernelIttLi64ELi32ELi128ELNS_18Fp8KVCacheDataTypeE0ELb1EEEvPT_PKS2_PKT0_S8_ifPKiSA_iPKfiiiSC_SC_iiiii: ; @_ZN4vllm25paged_attention_v1_kernelIttLi64ELi32ELi128ELNS_18Fp8KVCacheDataTypeE0ELb1EEEvPT_PKS2_PKT0_S8_ifPKiSA_iPKfiiiSC_SC_iiiii
; %bb.0:
	s_load_b64 s[22:23], s[0:1], 0x20
	s_bfe_u32 s3, ttmp6, 0x4000c
	s_bfe_u32 s4, ttmp6, 0x40010
	s_and_b32 s6, ttmp7, 0xffff
	s_add_co_i32 s3, s3, 1
	s_add_co_i32 s4, s4, 1
	s_and_b32 s2, ttmp6, 15
	s_bfe_u32 s5, ttmp6, 0x40004
	s_mul_i32 s3, ttmp9, s3
	s_mul_i32 s4, s6, s4
	s_getreg_b32 s26, hwreg(HW_REG_IB_STS2, 6, 4)
	s_add_co_i32 s2, s2, s3
	s_add_co_i32 s3, s5, s4
	s_cmp_eq_u32 s26, 0
	s_clause 0x1
	s_load_b32 s27, s[0:1], 0x80
	s_load_b64 s[4:5], s[0:1], 0x30
	s_cselect_b32 s28, s6, s3
	s_cselect_b32 s2, ttmp9, s2
	s_mov_b32 s15, 0
	s_delay_alu instid0(SALU_CYCLE_1) | instskip(SKIP_2) | instid1(SALU_CYCLE_1)
	s_mov_b32 s34, s15
	s_wait_kmcnt 0x0
	s_abs_i32 s3, s22
	s_cvt_f32_u32 s6, s3
	s_sub_co_i32 s7, 0, s3
	s_delay_alu instid0(SALU_CYCLE_2) | instskip(SKIP_2) | instid1(TRANS32_DEP_1)
	v_rcp_iflag_f32_e32 v1, s6
	s_abs_i32 s8, s27
	v_nop
	v_readfirstlane_b32 s6, v1
	s_mul_f32 s6, s6, 0x4f7ffffe
	s_delay_alu instid0(SALU_CYCLE_3) | instskip(NEXT) | instid1(SALU_CYCLE_3)
	s_cvt_u32_f32 s6, s6
	s_mul_i32 s7, s7, s6
	s_delay_alu instid0(SALU_CYCLE_1) | instskip(NEXT) | instid1(SALU_CYCLE_1)
	s_mul_hi_u32 s7, s6, s7
	s_add_co_i32 s6, s6, s7
	s_xor_b32 s7, s27, s22
	s_mul_hi_u32 s6, s8, s6
	s_ashr_i32 s7, s7, 31
	s_mul_i32 s9, s6, s3
	s_delay_alu instid0(SALU_CYCLE_1)
	s_sub_co_i32 s8, s8, s9
	s_add_co_i32 s9, s6, 1
	s_sub_co_i32 s10, s8, s3
	s_cmp_ge_u32 s8, s3
	s_cselect_b32 s6, s9, s6
	s_cselect_b32 s8, s10, s8
	s_add_co_i32 s9, s6, 1
	s_cmp_ge_u32 s8, s3
	s_cselect_b32 s3, s9, s6
	s_load_b64 s[8:9], s[0:1], 0x40
	s_xor_b32 s3, s3, s7
	s_abs_i32 s14, s2
	s_sub_co_i32 s12, s3, s7
	s_mov_b32 s7, s15
	s_abs_i32 s11, s12
	s_delay_alu instid0(SALU_CYCLE_1) | instskip(SKIP_1) | instid1(SALU_CYCLE_2)
	s_cvt_f32_u32 s3, s11
	s_sub_co_i32 s6, 0, s11
	v_rcp_iflag_f32_e32 v1, s3
	v_nop
	s_delay_alu instid0(TRANS32_DEP_1) | instskip(SKIP_1) | instid1(SALU_CYCLE_3)
	v_readfirstlane_b32 s3, v1
	s_mul_f32 s3, s3, 0x4f7ffffe
	s_cvt_u32_f32 s3, s3
	s_delay_alu instid0(SALU_CYCLE_3) | instskip(NEXT) | instid1(SALU_CYCLE_1)
	s_mul_i32 s6, s6, s3
	s_mul_hi_u32 s6, s3, s6
	s_delay_alu instid0(SALU_CYCLE_1)
	s_add_co_i32 s6, s3, s6
	s_wait_kmcnt 0x0
	s_cmp_eq_u64 s[8:9], 0
	s_cbranch_scc1 .LBB91_2
; %bb.1:
	s_ashr_i32 s3, s2, 31
	s_delay_alu instid0(SALU_CYCLE_1) | instskip(NEXT) | instid1(SALU_CYCLE_1)
	s_lshl_b64 s[16:17], s[2:3], 2
	s_add_nc_u64 s[8:9], s[8:9], s[16:17]
	s_load_b32 s34, s[8:9], 0x0
.LBB91_2:
	s_load_b32 s29, s[4:5], s28 offset:0x0 scale_offset
	s_wait_xcnt 0x0
	s_load_b96 s[8:10], s[0:1], 0x48
	v_lshlrev_b32_e32 v1, 4, v0
	s_ashr_i32 s3, s2, 31
	s_ashr_i32 s18, s12, 31
	s_mul_u64 s[16:17], s[14:15], s[6:7]
	s_lshl_b32 s12, s2, 6
	s_mov_b32 s4, exec_lo
	v_cmpx_gt_u32_e32 8, v0
	s_cbranch_execz .LBB91_4
; %bb.3:
	s_load_b64 s[6:7], s[0:1], 0x8
	s_wait_kmcnt 0x0
	s_mul_i32 s20, s8, s28
	s_ashr_i32 s13, s12, 31
	s_ashr_i32 s21, s20, 31
	s_delay_alu instid0(SALU_CYCLE_1) | instskip(NEXT) | instid1(SALU_CYCLE_1)
	s_lshl_b64 s[20:21], s[20:21], 1
	s_add_nc_u64 s[6:7], s[6:7], s[20:21]
	s_lshl_b64 s[20:21], s[12:13], 1
	s_delay_alu instid0(SALU_CYCLE_1)
	s_add_nc_u64 s[6:7], s[6:7], s[20:21]
	global_load_b128 v[2:5], v0, s[6:7] scale_offset
	s_wait_loadcnt 0x0
	ds_store_b128 v1, v[2:5]
.LBB91_4:
	s_or_b32 exec_lo, exec_lo, s4
	s_load_b128 s[4:7], s[0:1], 0x68
	s_wait_kmcnt 0x0
	s_mul_i32 s8, s17, s11
	s_xor_b32 s3, s3, s18
	s_sub_co_i32 s8, s14, s8
	s_add_co_i32 s13, s17, 1
	s_sub_co_i32 s14, s8, s11
	s_cmp_ge_u32 s8, s11
	s_mov_b32 s19, -1
	s_cselect_b32 s13, s13, s17
	s_cselect_b32 s8, s14, s8
	s_add_co_i32 s14, s13, 1
	s_cmp_ge_u32 s8, s11
	s_load_b32 s11, s[0:1], 0x78
	s_cselect_b32 s13, s14, s13
	s_add_co_i32 s18, s29, -1
	s_xor_b32 s13, s13, s3
	s_mov_b32 s17, 0
	s_sub_co_i32 s3, s13, s3
	s_abs_i32 s16, s18
	s_mov_b32 s15, s17
	s_abs_i32 s8, s7
	s_wait_dscnt 0x0
	s_cvt_f32_u32 s14, s8
	s_barrier_signal -1
	s_barrier_wait -1
	s_delay_alu instid0(SALU_CYCLE_1) | instskip(SKIP_1) | instid1(TRANS32_DEP_1)
	v_rcp_iflag_f32_e32 v2, s14
	v_nop
	v_readfirstlane_b32 s14, v2
	s_mul_f32 s13, s14, 0x4f7ffffe
	s_sub_co_i32 s14, 0, s8
	s_delay_alu instid0(SALU_CYCLE_2) | instskip(NEXT) | instid1(SALU_CYCLE_3)
	s_cvt_u32_f32 s13, s13
	s_mul_i32 s14, s14, s13
	s_delay_alu instid0(SALU_CYCLE_1) | instskip(NEXT) | instid1(SALU_CYCLE_1)
	s_mul_hi_u32 s14, s13, s14
	s_add_co_i32 s14, s13, s14
	s_wait_kmcnt 0x0
	s_cmp_lt_i32 s11, 0
                                        ; implicit-def: $sgpr13
	s_cbranch_scc0 .LBB91_6
; %bb.5:
	s_mul_i32 s13, s4, s22
	s_mov_b32 s19, s17
	s_add_co_i32 s13, s3, s13
	s_delay_alu instid0(SALU_CYCLE_1) | instskip(NEXT) | instid1(SALU_CYCLE_1)
	s_mul_i32 s13, s13, s11
	s_sub_co_i32 s13, 1, s13
.LBB91_6:
	s_ashr_i32 s18, s18, 31
	s_ashr_i32 s30, s7, 31
	s_and_not1_b32 vcc_lo, exec_lo, s19
	s_mul_u64 s[20:21], s[16:17], s[14:15]
	s_cbranch_vccnz .LBB91_8
; %bb.7:
	s_mul_i32 s4, s27, s4
	s_delay_alu instid0(SALU_CYCLE_1) | instskip(NEXT) | instid1(SALU_CYCLE_1)
	s_add_co_i32 s2, s4, s2
	s_mul_i32 s2, s2, s11
	s_delay_alu instid0(SALU_CYCLE_1)
	s_add_co_i32 s13, s2, 1
.LBB91_8:
	s_load_b32 s2, s[0:1], 0x38
	s_mul_i32 s7, s21, s8
	s_xor_b32 s4, s18, s30
	s_sub_co_i32 s20, s16, s7
	s_add_co_i32 s11, s21, 1
	s_clause 0x1
	s_load_b64 s[16:17], s[0:1], 0x28
	s_load_b32 s7, s[0:1], 0x88
	v_dual_lshrrev_b32 v40, 5, v0 :: v_dual_bitop2_b32 v41, 31, v0 bitop3:0x40
	v_dual_mov_b32 v43, 0xff7fffff :: v_dual_lshrrev_b32 v42, 3, v0
	s_delay_alu instid0(VALU_DEP_2)
	v_dual_lshlrev_b32 v30, 5, v40 :: v_dual_lshlrev_b32 v31, 2, v41
	s_wait_kmcnt 0x0
	s_mul_i32 s18, s2, s28
	s_sub_co_i32 s2, s20, s8
	s_ashr_i32 s19, s18, 31
	s_cmp_ge_u32 s20, s8
	s_cselect_b32 s11, s11, s21
	s_cselect_b32 s2, s2, s20
	s_add_co_i32 s20, s11, 1
	s_cmp_ge_u32 s2, s8
	s_cselect_b32 s2, s20, s11
	s_add_co_i32 s11, s29, 31
	s_delay_alu instid0(SALU_CYCLE_1) | instskip(NEXT) | instid1(SALU_CYCLE_1)
	s_ashr_i32 s20, s11, 31
	s_lshr_b32 s20, s20, 27
	s_delay_alu instid0(SALU_CYCLE_1)
	s_add_co_i32 s11, s11, s20
	s_mul_i32 s20, s3, s10
	s_ashr_i32 s31, s11, 5
	s_xor_b32 s11, s2, s4
	v_cmp_gt_i32_e64 s2, s31, v40
	s_sub_co_i32 s33, s11, s4
	s_and_saveexec_b32 s22, s2
	s_cbranch_execz .LBB91_16
; %bb.9:
	s_ashr_i32 s21, s20, 31
	s_sub_co_i32 s35, s33, s5
	s_ashr_i32 s11, s9, 31
	s_lshl_b64 s[24:25], s[20:21], 1
	s_cmp_neq_f32 s34, 0
	s_load_b64 s[36:37], s[0:1], 0x10
	v_dual_mov_b32 v33, 0 :: v_dual_lshlrev_b32 v32, 4, v41
	s_cselect_b32 vcc_lo, -1, 0
	s_abs_i32 s21, s6
	v_subrev_nc_u32_e32 v3, s29, v41
	s_cvt_f32_u32 s3, s21
	v_lshl_or_b32 v4, v40, 7, v31
	s_sub_co_i32 s4, 0, s21
	v_dual_mov_b32 v44, 0xff7fffff :: v_dual_mov_b32 v43, 0xff7fffff
	v_rcp_iflag_f32_e32 v2, s3
	v_dual_mov_b32 v45, v40 :: v_dual_add_nc_u32 v46, 1, v3
	v_add_nc_u32_e32 v47, 0xa0, v4
	s_mov_b32 s10, s9
	s_delay_alu instid0(TRANS32_DEP_1) | instskip(SKIP_2) | instid1(SALU_CYCLE_1)
	v_readfirstlane_b32 s3, v2
	s_wait_kmcnt 0x0
	s_add_nc_u64 s[24:25], s[36:37], s[24:25]
	v_add_nc_u64_e32 v[34:35], s[24:25], v[32:33]
	s_mul_f32 s3, s3, 0x4f7ffffe
	v_and_b32_e32 v32, 0x7c, v42
	s_lshl_b64 s[24:25], s[18:19], 2
	s_delay_alu instid0(SALU_CYCLE_1)
	s_cvt_u32_f32 s3, s3
	s_add_nc_u64 s[24:25], s[16:17], s[24:25]
	s_delay_alu instid0(VALU_DEP_1) | instid1(SALU_CYCLE_1)
	v_add_nc_u64_e32 v[36:37], s[24:25], v[32:33]
	s_delay_alu instid0(SALU_CYCLE_1)
	s_mul_i32 s4, s4, s3
	v_lshlrev_b32_e32 v32, 5, v40
	s_mul_hi_u32 s4, s3, s4
	s_mov_b32 s25, 0
	s_add_co_i32 s24, s3, s4
	s_mov_b32 s36, s25
	s_branch .LBB91_11
.LBB91_10:                              ;   in Loop: Header=BB91_11 Depth=1
	s_or_b32 exec_lo, exec_lo, s4
	v_add_nc_u32_e32 v45, 4, v45
	v_add_nc_u64_e32 v[36:37], 16, v[36:37]
	v_add_nc_u32_e32 v32, 0x80, v32
	v_add_nc_u32_e32 v47, 0x200, v47
	s_delay_alu instid0(VALU_DEP_4) | instskip(SKIP_1) | instid1(SALU_CYCLE_1)
	v_cmp_le_i32_e64 s3, s31, v45
	s_or_b32 s36, s3, s36
	s_and_not1_b32 exec_lo, exec_lo, s36
	s_cbranch_execz .LBB91_15
.LBB91_11:                              ; =>This Inner Loop Header: Depth=1
	v_mul_u64_e32 v[2:3], s[14:15], v[32:33]
	s_delay_alu instid0(VALU_DEP_1) | instskip(NEXT) | instid1(VALU_DEP_1)
	v_mul_lo_u32 v2, v3, s8
	v_dual_add_nc_u32 v4, 1, v3 :: v_dual_sub_nc_u32 v2, v32, v2
	s_delay_alu instid0(VALU_DEP_1) | instskip(SKIP_1) | instid1(VALU_DEP_1)
	v_subrev_nc_u32_e32 v5, s8, v2
	v_cmp_le_u32_e64 s3, s8, v2
	v_dual_cndmask_b32 v3, v3, v4, s3 :: v_dual_cndmask_b32 v2, v2, v5, s3
	s_delay_alu instid0(VALU_DEP_1) | instskip(NEXT) | instid1(VALU_DEP_2)
	v_add_nc_u32_e32 v4, 1, v3
	v_cmp_le_u32_e64 s3, s8, v2
	s_delay_alu instid0(VALU_DEP_1) | instskip(NEXT) | instid1(VALU_DEP_1)
	v_dual_cndmask_b32 v2, v3, v4, s3 :: v_dual_mov_b32 v3, v33
	v_xor_b32_e32 v2, s30, v2
	s_delay_alu instid0(VALU_DEP_1) | instskip(NEXT) | instid1(VALU_DEP_1)
	v_subrev_nc_u32_e32 v6, s30, v2
	v_add_nc_u32_e32 v7, s13, v6
	v_cmp_ge_i32_e64 s4, s35, v6
	s_delay_alu instid0(VALU_DEP_2) | instskip(NEXT) | instid1(VALU_DEP_1)
	v_sub_nc_u32_e32 v2, 0, v7
	v_max_i32_e32 v2, v7, v2
	s_delay_alu instid0(VALU_DEP_1) | instskip(SKIP_1) | instid1(VALU_DEP_2)
	v_mul_u64_e32 v[4:5], s[24:25], v[2:3]
	v_ashrrev_i32_e32 v4, 31, v7
	v_mul_lo_u32 v3, v5, s21
	s_delay_alu instid0(VALU_DEP_1) | instskip(NEXT) | instid1(VALU_DEP_1)
	v_sub_nc_u32_e32 v2, v2, v3
	v_subrev_nc_u32_e32 v3, s21, v2
	v_cmp_le_u32_e64 s3, s21, v2
	s_delay_alu instid0(VALU_DEP_1) | instskip(NEXT) | instid1(VALU_DEP_1)
	v_cndmask_b32_e64 v2, v2, v3, s3
	v_subrev_nc_u32_e32 v3, s21, v2
	v_cmp_le_u32_e64 s3, s21, v2
	s_delay_alu instid0(VALU_DEP_1) | instskip(NEXT) | instid1(VALU_DEP_1)
	v_cndmask_b32_e64 v2, v2, v3, s3
	v_xor_b32_e32 v2, v2, v4
	s_delay_alu instid0(VALU_DEP_1) | instskip(NEXT) | instid1(VALU_DEP_1)
	v_sub_nc_u32_e32 v2, v2, v4
	v_cmp_ne_u32_e64 s3, 0, v2
	s_and_b32 s3, s3, s4
	s_delay_alu instid0(SALU_CYCLE_1) | instskip(NEXT) | instid1(SALU_CYCLE_1)
	s_and_saveexec_b32 s4, s3
	s_xor_b32 s3, exec_lo, s4
; %bb.12:                               ;   in Loop: Header=BB91_11 Depth=1
	ds_store_b32 v47, v44
; %bb.13:                               ;   in Loop: Header=BB91_11 Depth=1
	s_and_not1_saveexec_b32 s4, s3
	s_cbranch_execz .LBB91_10
; %bb.14:                               ;   in Loop: Header=BB91_11 Depth=1
	global_load_b32 v2, v[36:37], off
	s_wait_loadcnt 0x0
	v_ashrrev_i32_e32 v3, 31, v2
	s_delay_alu instid0(VALU_DEP_1) | instskip(NEXT) | instid1(VALU_DEP_1)
	v_mul_u64_e32 v[2:3], s[10:11], v[2:3]
	v_lshl_add_u64 v[38:39], v[2:3], 1, v[34:35]
	s_clause 0x6
	global_load_b128 v[62:65], v[38:39], off
	global_load_b128 v[26:29], v[38:39], off offset:512
	global_load_b128 v[22:25], v[38:39], off offset:1024
	;; [unrolled: 1-line block ×6, first 2 shown]
	ds_load_b128 v[2:5], v33
	s_wait_dscnt 0x0
	v_lshrrev_b32_e32 v54, 16, v2
	v_and_b32_e32 v55, 0xffff, v2
	v_dual_lshrrev_b32 v51, 16, v3 :: v_dual_lshrrev_b32 v49, 16, v4
	v_and_b32_e32 v53, 0xffff, v3
	v_and_b32_e32 v52, 0xffff, v4
	v_lshrrev_b32_e32 v48, 16, v5
	v_and_b32_e32 v50, 0xffff, v5
	global_load_b128 v[2:5], v[38:39], off offset:3584
	s_wait_xcnt 0x0
	;;#ASMSTART
	v_cvt_f32_f16 v38, v55;
	;;#ASMEND
	;;#ASMSTART
	v_cvt_f32_f16 v39, v54;
	;;#ASMEND
	s_wait_loadcnt 0x7
	v_lshrrev_b32_e32 v59, 16, v62
	v_and_b32_e32 v61, 0xffff, v62
	v_dual_lshrrev_b32 v57, 16, v63 :: v_dual_lshrrev_b32 v55, 16, v64
	v_and_b32_e32 v60, 0xffff, v63
	v_and_b32_e32 v58, 0xffff, v64
	v_lshrrev_b32_e32 v54, 16, v65
	v_and_b32_e32 v56, 0xffff, v65
	s_wait_loadcnt 0x6
	v_and_b32_e32 v62, 0xffff, v26
	v_lshrrev_b32_e32 v26, 16, v26
	v_and_b32_e32 v63, 0xffff, v27
	v_dual_lshrrev_b32 v27, 16, v27 :: v_dual_lshrrev_b32 v64, 16, v28
	v_and_b32_e32 v65, 0xffff, v28
	s_wait_loadcnt 0x5
	v_dual_lshrrev_b32 v28, 16, v29 :: v_dual_lshrrev_b32 v71, 16, v22
	v_and_b32_e32 v73, 0xffff, v22
	v_dual_lshrrev_b32 v69, 16, v23 :: v_dual_lshrrev_b32 v67, 16, v24
	v_and_b32_e32 v72, 0xffff, v23
	v_and_b32_e32 v70, 0xffff, v24
	s_wait_loadcnt 0x4
	v_dual_lshrrev_b32 v66, 16, v25 :: v_dual_lshrrev_b32 v76, 16, v18
	v_and_b32_e32 v68, 0xffff, v25
	v_and_b32_e32 v77, 0xffff, v18
	v_dual_lshrrev_b32 v78, 16, v19 :: v_dual_lshrrev_b32 v80, 16, v20
	v_and_b32_e32 v79, 0xffff, v19
	v_and_b32_e32 v81, 0xffff, v20
	s_wait_loadcnt 0x3
	v_dual_lshrrev_b32 v82, 16, v21 :: v_dual_lshrrev_b32 v84, 16, v14
	v_and_b32_e32 v83, 0xffff, v21
	v_and_b32_e32 v85, 0xffff, v14
	v_dual_lshrrev_b32 v86, 16, v15 :: v_dual_lshrrev_b32 v88, 16, v16
	v_and_b32_e32 v87, 0xffff, v15
	v_and_b32_e32 v89, 0xffff, v16
	v_lshrrev_b32_e32 v90, 16, v17
	v_and_b32_e32 v91, 0xffff, v17
	;;#ASMSTART
	v_cvt_f32_f16 v74, v61;
	;;#ASMEND
	;;#ASMSTART
	v_cvt_f32_f16 v75, v59;
	;;#ASMEND
	;; [unrolled: 3-line block ×14, first 2 shown]
	ds_load_b128 v[48:51], v33 offset:16
	s_wait_loadcnt 0x1
	v_dual_lshrrev_b32 v98, 16, v6 :: v_dual_lshrrev_b32 v100, 16, v7
	v_and_b32_e32 v99, 0xffff, v6
	v_lshrrev_b32_e32 v92, 16, v10
	v_and_b32_e32 v101, 0xffff, v7
	v_dual_lshrrev_b32 v102, 16, v8 :: v_dual_lshrrev_b32 v104, 16, v9
	v_and_b32_e32 v103, 0xffff, v8
	v_and_b32_e32 v105, 0xffff, v9
	;; [unrolled: 1-line block ×3, first 2 shown]
	v_dual_lshrrev_b32 v94, 16, v12 :: v_dual_lshrrev_b32 v96, 16, v13
	v_and_b32_e32 v95, 0xffff, v12
	v_and_b32_e32 v97, 0xffff, v13
	v_and_b32_e32 v29, 0xffff, v29
	s_wait_dscnt 0x0
	v_and_b32_e32 v52, 0xffff, v48
	v_lshrrev_b32_e32 v48, 16, v48
	;;#ASMSTART
	v_cvt_f32_f16 v52, v52;
	;;#ASMEND
	;;#ASMSTART
	v_cvt_f32_f16 v53, v48;
	;;#ASMEND
	;; [unrolled: 3-line block ×4, first 2 shown]
	v_pk_mul_f32 v[52:53], v[52:53], v[54:55]
	v_and_b32_e32 v6, 0xffff, v49
	v_lshrrev_b32_e32 v8, 16, v49
	;;#ASMSTART
	v_cvt_f32_f16 v7, v6;
	;;#ASMEND
	v_and_b32_e32 v10, 0xffff, v50
	v_pk_fma_f32 v[38:39], v[38:39], v[74:75], v[52:53]
	v_lshrrev_b32_e32 v74, 16, v11
	v_and_b32_e32 v75, 0xffff, v11
	v_lshrrev_b32_e32 v11, 16, v50
	;;#ASMSTART
	v_cvt_f32_f16 v6, v8;
	;;#ASMEND
	;;#ASMSTART
	v_cvt_f32_f16 v9, v63;
	;;#ASMEND
	;; [unrolled: 3-line block ×3, first 2 shown]
	v_pk_mul_f32 v[6:7], v[6:7], v[8:9]
	v_lshrrev_b32_e32 v12, 16, v51
	v_and_b32_e32 v13, 0xffff, v51
	;;#ASMSTART
	v_cvt_f32_f16 v9, v10;
	;;#ASMEND
	;;#ASMSTART
	v_cvt_f32_f16 v8, v11;
	;;#ASMEND
	;; [unrolled: 3-line block ×4, first 2 shown]
	v_pk_mul_f32 v[10:11], v[8:9], v[10:11]
	;;#ASMSTART
	v_cvt_f32_f16 v13, v13;
	;;#ASMEND
	;;#ASMSTART
	v_cvt_f32_f16 v12, v12;
	;;#ASMEND
	;; [unrolled: 3-line block ×4, first 2 shown]
	v_pk_fma_f32 v[14:15], v[14:15], v[18:19], v[6:7]
	ds_load_b128 v[6:9], v33 offset:32
	v_pk_mul_f32 v[12:13], v[12:13], v[26:27]
	v_pk_fma_f32 v[10:11], v[16:17], v[20:21], v[10:11]
	s_delay_alu instid0(VALU_DEP_2)
	v_pk_fma_f32 v[12:13], v[22:23], v[24:25], v[12:13]
	s_wait_dscnt 0x0
	v_and_b32_e32 v16, 0xffff, v6
	v_lshrrev_b32_e32 v6, 16, v6
	v_and_b32_e32 v20, 0xffff, v7
	v_lshrrev_b32_e32 v7, 16, v7
	v_and_b32_e32 v24, 0xffff, v8
	v_dual_lshrrev_b32 v8, 16, v8 :: v_dual_lshrrev_b32 v28, 16, v9
	v_and_b32_e32 v9, 0xffff, v9
	;;#ASMSTART
	v_cvt_f32_f16 v16, v16;
	;;#ASMEND
	;;#ASMSTART
	v_cvt_f32_f16 v17, v6;
	;;#ASMEND
	;; [unrolled: 3-line block ×16, first 2 shown]
	ds_load_b128 v[6:9], v33 offset:48
	v_pk_fma_f32 v[38:39], v[16:17], v[18:19], v[38:39]
	v_pk_fma_f32 v[50:51], v[20:21], v[22:23], v[14:15]
	;; [unrolled: 1-line block ×4, first 2 shown]
	s_wait_dscnt 0x0
	v_and_b32_e32 v14, 0xffff, v6
	v_dual_lshrrev_b32 v6, 16, v6 :: v_dual_lshrrev_b32 v15, 16, v7
	v_lshrrev_b32_e32 v16, 16, v8
	v_and_b32_e32 v7, 0xffff, v7
	v_and_b32_e32 v8, 0xffff, v8
	v_lshrrev_b32_e32 v17, 16, v9
	v_and_b32_e32 v9, 0xffff, v9
	;;#ASMSTART
	v_cvt_f32_f16 v52, v14;
	;;#ASMEND
	;;#ASMSTART
	v_cvt_f32_f16 v53, v6;
	;;#ASMEND
	;; [unrolled: 3-line block ×16, first 2 shown]
	ds_load_b128 v[6:9], v33 offset:64
	v_pk_fma_f32 v[38:39], v[52:53], v[54:55], v[38:39]
	v_pk_fma_f32 v[48:49], v[56:57], v[58:59], v[50:51]
	v_add_nc_u32_e32 v82, v46, v32
	v_pk_fma_f32 v[26:27], v[60:61], v[62:63], v[26:27]
	v_pk_fma_f32 v[28:29], v[64:65], v[66:67], v[28:29]
	s_wait_loadcnt 0x0
	v_lshrrev_b32_e32 v83, 16, v2
	v_cvt_f32_i32_e32 v82, v82
	s_wait_dscnt 0x0
	v_lshrrev_b32_e32 v10, 16, v6
	v_and_b32_e32 v6, 0xffff, v6
	v_dual_lshrrev_b32 v11, 16, v7 :: v_dual_lshrrev_b32 v12, 16, v8
	v_and_b32_e32 v7, 0xffff, v7
	v_and_b32_e32 v8, 0xffff, v8
	v_lshrrev_b32_e32 v16, 16, v9
	v_and_b32_e32 v17, 0xffff, v9
	;;#ASMSTART
	v_cvt_f32_f16 v14, v6;
	;;#ASMEND
	;;#ASMSTART
	v_cvt_f32_f16 v15, v10;
	;;#ASMEND
	;; [unrolled: 3-line block ×16, first 2 shown]
	ds_load_b128 v[22:25], v33 offset:80
	v_pk_fma_f32 v[14:15], v[14:15], v[18:19], v[38:39]
	v_and_b32_e32 v18, 0xffff, v2
	v_lshrrev_b32_e32 v19, 16, v3
	v_and_b32_e32 v38, 0xffff, v3
	v_pk_fma_f32 v[2:3], v[6:7], v[10:11], v[48:49]
	v_pk_fma_f32 v[6:7], v[8:9], v[12:13], v[26:27]
	v_lshrrev_b32_e32 v39, 16, v4
	v_and_b32_e32 v48, 0xffff, v4
	v_pk_fma_f32 v[8:9], v[16:17], v[20:21], v[28:29]
	s_wait_dscnt 0x0
	v_dual_lshrrev_b32 v20, 16, v5 :: v_dual_lshrrev_b32 v51, 16, v22
	v_and_b32_e32 v22, 0xffff, v22
	v_dual_lshrrev_b32 v54, 16, v23 :: v_dual_lshrrev_b32 v58, 16, v24
	v_and_b32_e32 v23, 0xffff, v23
	v_and_b32_e32 v24, 0xffff, v24
	v_lshrrev_b32_e32 v70, 16, v25
	v_and_b32_e32 v25, 0xffff, v25
	;;#ASMSTART
	v_cvt_f32_f16 v50, v22;
	;;#ASMEND
	;;#ASMSTART
	v_cvt_f32_f16 v51, v51;
	;;#ASMEND
	;; [unrolled: 3-line block ×16, first 2 shown]
	ds_load_b128 v[22:25], v33 offset:96
	v_pk_fma_f32 v[10:11], v[50:51], v[52:53], v[14:15]
	v_pk_fma_f32 v[2:3], v[54:55], v[56:57], v[2:3]
	;; [unrolled: 1-line block ×4, first 2 shown]
	s_wait_dscnt 0x0
	v_dual_lshrrev_b32 v61, 16, v22 :: v_dual_lshrrev_b32 v64, 16, v23
	v_and_b32_e32 v22, 0xffff, v22
	v_and_b32_e32 v23, 0xffff, v23
	v_dual_lshrrev_b32 v74, 16, v24 :: v_dual_lshrrev_b32 v78, 16, v25
	v_and_b32_e32 v24, 0xffff, v24
	v_and_b32_e32 v25, 0xffff, v25
	;;#ASMSTART
	v_cvt_f32_f16 v60, v22;
	;;#ASMEND
	;;#ASMSTART
	v_cvt_f32_f16 v61, v61;
	;;#ASMEND
	;; [unrolled: 3-line block ×16, first 2 shown]
	ds_load_b128 v[22:25], v33 offset:112
	v_pk_fma_f32 v[10:11], v[60:61], v[62:63], v[10:11]
	v_pk_fma_f32 v[2:3], v[64:65], v[66:67], v[2:3]
	;; [unrolled: 1-line block ×3, first 2 shown]
	s_wait_dscnt 0x0
	v_dual_lshrrev_b32 v13, 16, v22 :: v_dual_lshrrev_b32 v16, 16, v23
	v_and_b32_e32 v4, 0xffff, v22
	;;#ASMSTART
	v_cvt_f32_f16 v12, v4;
	;;#ASMEND
	;;#ASMSTART
	v_cvt_f32_f16 v13, v13;
	;;#ASMEND
	;; [unrolled: 3-line block ×4, first 2 shown]
	v_pk_fma_f32 v[10:11], v[12:13], v[14:15], v[10:11]
	v_and_b32_e32 v17, 0xffff, v23
	;;#ASMSTART
	v_cvt_f32_f16 v17, v17;
	;;#ASMEND
	;;#ASMSTART
	v_cvt_f32_f16 v16, v16;
	;;#ASMEND
	;; [unrolled: 3-line block ×4, first 2 shown]
	v_pk_fma_f32 v[2:3], v[16:17], v[12:13], v[2:3]
	v_dual_add_f32 v4, v10, v11 :: v_dual_lshrrev_b32 v10, 16, v24
	v_and_b32_e32 v21, 0xffff, v24
	;;#ASMSTART
	v_cvt_f32_f16 v11, v21;
	;;#ASMEND
	;;#ASMSTART
	v_cvt_f32_f16 v10, v10;
	;;#ASMEND
	s_delay_alu instid0(VALU_DEP_2) | instskip(SKIP_3) | instid1(VALU_DEP_2)
	v_add_f32_e32 v3, v4, v3
	;;#ASMSTART
	v_cvt_f32_f16 v13, v48;
	;;#ASMEND
	;;#ASMSTART
	v_cvt_f32_f16 v12, v39;
	;;#ASMEND
	v_pk_fma_f32 v[6:7], v[10:11], v[12:13], v[6:7]
	v_dual_lshrrev_b32 v10, 16, v25 :: v_dual_add_f32 v4, v2, v3
	v_pk_fma_f32 v[2:3], v[78:79], v[80:81], v[8:9]
	v_and_b32_e32 v14, 0xffff, v25
	v_and_b32_e32 v11, 0xffff, v5
	;;#ASMSTART
	v_cvt_f32_f16 v5, v14;
	;;#ASMEND
	v_add_f32_e32 v7, v4, v7
	;;#ASMSTART
	v_cvt_f32_f16 v4, v10;
	;;#ASMEND
	;;#ASMSTART
	v_cvt_f32_f16 v9, v11;
	;;#ASMEND
	;; [unrolled: 3-line block ×3, first 2 shown]
	v_pk_fma_f32 v[2:3], v[4:5], v[8:9], v[2:3]
	v_dual_add_f32 v4, v6, v7 :: v_dual_mul_f32 v5, s34, v82
	s_delay_alu instid0(VALU_DEP_1) | instskip(NEXT) | instid1(VALU_DEP_1)
	v_dual_add_f32 v3, v4, v3 :: v_dual_cndmask_b32 v4, 0, v5
	v_add_f32_e32 v2, v2, v3
	s_delay_alu instid0(VALU_DEP_1) | instskip(NEXT) | instid1(VALU_DEP_1)
	v_dual_fmac_f32 v4, s23, v2 :: v_dual_add_nc_u32 v2, v41, v32
	v_cmp_gt_i32_e64 s3, s29, v2
	s_delay_alu instid0(VALU_DEP_1) | instskip(NEXT) | instid1(VALU_DEP_1)
	v_dual_max_num_f32 v3, v43, v43 :: v_dual_cndmask_b32 v2, 0, v4, s3
	v_max_num_f32_e32 v3, v3, v4
	ds_store_b32 v47, v2
	v_cndmask_b32_e64 v43, v43, v3, s3
	s_branch .LBB91_10
.LBB91_15:
	s_or_b32 exec_lo, exec_lo, s36
.LBB91_16:
	s_delay_alu instid0(SALU_CYCLE_1) | instskip(SKIP_4) | instid1(VALU_DEP_1)
	s_or_b32 exec_lo, exec_lo, s22
	v_mbcnt_lo_u32_b32 v5, -1, 0
	s_clause 0x1
	s_load_b64 s[10:11], s[0:1], 0x0
	s_load_b64 s[22:23], s[0:1], 0x18
	v_dual_max_num_f32 v6, v43, v43 :: v_dual_bitop2_b32 v2, 16, v5 bitop3:0x14
	v_xor_b32_e32 v4, 8, v5
	s_delay_alu instid0(VALU_DEP_2) | instskip(SKIP_1) | instid1(VALU_DEP_3)
	v_cmp_gt_i32_e32 vcc_lo, 32, v2
	v_cndmask_b32_e32 v2, v5, v2, vcc_lo
	v_cmp_gt_i32_e32 vcc_lo, 32, v4
	s_delay_alu instid0(VALU_DEP_2) | instskip(SKIP_3) | instid1(VALU_DEP_1)
	v_dual_lshlrev_b32 v2, 2, v2 :: v_dual_cndmask_b32 v4, v5, v4, vcc_lo
	ds_bpermute_b32 v3, v2, v43
	s_wait_dscnt 0x0
	v_dual_max_num_f32 v7, v3, v3 :: v_dual_lshlrev_b32 v3, 2, v4
	v_dual_max_num_f32 v6, v6, v7 :: v_dual_bitop2_b32 v7, 4, v5 bitop3:0x14
	ds_bpermute_b32 v4, v3, v6
	v_cmp_gt_i32_e32 vcc_lo, 32, v7
	s_wait_dscnt 0x0
	v_dual_cndmask_b32 v7, v5, v7 :: v_dual_max_num_f32 v8, v4, v4
	s_delay_alu instid0(VALU_DEP_1) | instskip(SKIP_3) | instid1(VALU_DEP_1)
	v_dual_lshlrev_b32 v4, 2, v7 :: v_dual_max_num_f32 v6, v6, v8
	ds_bpermute_b32 v7, v4, v6
	s_wait_dscnt 0x0
	v_dual_max_num_f32 v7, v7, v7 :: v_dual_bitop2_b32 v8, 2, v5 bitop3:0x14
	v_cmp_gt_i32_e32 vcc_lo, 32, v8
	s_delay_alu instid0(VALU_DEP_2) | instskip(NEXT) | instid1(VALU_DEP_1)
	v_dual_max_num_f32 v6, v6, v7 :: v_dual_cndmask_b32 v8, v5, v8, vcc_lo
	v_dual_lshlrev_b32 v22, 2, v8 :: v_dual_bitop2_b32 v8, 1, v5 bitop3:0x14
	ds_bpermute_b32 v7, v22, v6
	v_cmp_gt_i32_e32 vcc_lo, 32, v8
	v_cndmask_b32_e32 v5, v5, v8, vcc_lo
	v_cmp_eq_u32_e32 vcc_lo, 0, v41
	s_delay_alu instid0(VALU_DEP_2) | instskip(SKIP_2) | instid1(VALU_DEP_1)
	v_dual_lshlrev_b32 v21, 2, v5 :: v_dual_lshlrev_b32 v5, 2, v40
	s_wait_dscnt 0x0
	v_max_num_f32_e32 v7, v7, v7
	v_max_num_f32_e32 v6, v6, v7
	ds_bpermute_b32 v7, v21, v6
	s_wait_xcnt 0x0
	s_and_saveexec_b32 s0, vcc_lo
	s_cbranch_execz .LBB91_18
; %bb.17:
	s_wait_dscnt 0x0
	v_dual_max_num_f32 v7, v7, v7 :: v_dual_max_num_f32 v6, v6, v6
	s_delay_alu instid0(VALU_DEP_1)
	v_max_num_f32_e32 v6, v6, v7
	ds_store_b32 v5, v6 offset:128
.LBB91_18:
	s_or_b32 exec_lo, exec_lo, s0
	v_cmp_gt_u32_e64 s0, 4, v41
	v_mov_b32_e32 v6, 0xff7fffff
	s_wait_dscnt 0x0
	s_barrier_signal -1
	s_barrier_wait -1
	s_and_saveexec_b32 s1, s0
; %bb.19:
	ds_load_b32 v6, v31 offset:128
; %bb.20:
	s_or_b32 exec_lo, exec_lo, s1
	s_wait_dscnt 0x0
	ds_bpermute_b32 v7, v22, v6
	v_max_num_f32_e32 v6, v6, v6
	s_lshl_b32 s1, s31, 5
	s_delay_alu instid0(SALU_CYCLE_1) | instskip(NEXT) | instid1(SALU_CYCLE_1)
	s_min_i32 s4, s1, s29
	v_cmp_gt_i32_e64 s1, s4, v0
	s_wait_dscnt 0x0
	v_max_num_f32_e32 v7, v7, v7
	s_delay_alu instid0(VALU_DEP_1) | instskip(SKIP_3) | instid1(VALU_DEP_1)
	v_max_num_f32_e32 v6, v6, v7
	ds_bpermute_b32 v7, v21, v6
	s_wait_dscnt 0x0
	v_max_num_f32_e32 v7, v7, v7
	v_dual_max_num_f32 v7, v6, v7 :: v_dual_mov_b32 v6, 0
	ds_bpermute_b32 v7, v6, v7
	s_and_saveexec_b32 s21, s1
	s_cbranch_execz .LBB91_24
; %bb.21:
	v_lshl_add_u32 v8, v0, 2, 0xa0
	v_dual_mov_b32 v6, 0 :: v_dual_mov_b32 v9, v0
	s_mov_b32 s24, 0
.LBB91_22:                              ; =>This Inner Loop Header: Depth=1
	ds_load_b32 v10, v8
	v_add_nc_u32_e32 v9, 0x80, v9
	s_delay_alu instid0(VALU_DEP_1) | instskip(SKIP_3) | instid1(VALU_DEP_1)
	v_cmp_le_i32_e64 s3, s4, v9
	s_or_b32 s24, s3, s24
	s_wait_dscnt 0x0
	v_sub_f32_e32 v10, v10, v7
	v_mul_f32_e32 v10, 0x3fb8aa3b, v10
	s_delay_alu instid0(VALU_DEP_1)
	v_exp_f32_e32 v10, v10
	ds_store_b32 v8, v10
	v_nop
	v_add_f32_e32 v6, v6, v10
	v_add_nc_u32_e32 v8, 0x200, v8
	s_and_not1_b32 exec_lo, exec_lo, s24
	s_cbranch_execnz .LBB91_22
; %bb.23:
	s_or_b32 exec_lo, exec_lo, s24
.LBB91_24:
	s_delay_alu instid0(SALU_CYCLE_1)
	s_or_b32 exec_lo, exec_lo, s21
	ds_bpermute_b32 v2, v2, v6
	s_wait_dscnt 0x0
	v_add_f32_e32 v2, v6, v2
	ds_bpermute_b32 v3, v3, v2
	s_wait_dscnt 0x0
	v_add_f32_e32 v2, v2, v3
	;; [unrolled: 3-line block ×5, first 2 shown]
	s_and_saveexec_b32 s3, vcc_lo
; %bb.25:
	ds_store_b32 v5, v2 offset:144
; %bb.26:
	s_or_b32 exec_lo, exec_lo, s3
	s_wait_dscnt 0x0
	s_barrier_signal -1
	s_barrier_wait -1
	s_and_saveexec_b32 s3, s0
; %bb.27:
	ds_load_b32 v2, v31 offset:144
; %bb.28:
	s_or_b32 exec_lo, exec_lo, s3
	s_wait_dscnt 0x0
	ds_bpermute_b32 v3, v22, v2
	s_wait_dscnt 0x0
	v_dual_mov_b32 v7, 0 :: v_dual_add_f32 v2, v2, v3
	ds_bpermute_b32 v3, v21, v2
	s_wait_dscnt 0x0
	v_add_f32_e32 v2, v2, v3
	ds_bpermute_b32 v2, v7, v2
	s_and_saveexec_b32 s0, s1
	s_cbranch_execz .LBB91_41
; %bb.29:
	s_wait_dscnt 0x0
	v_add_f32_e32 v2, 0x358637bd, v2
	s_mov_b32 s3, -1
	s_mov_b32 s1, exec_lo
	s_delay_alu instid0(VALU_DEP_1) | instskip(NEXT) | instid1(VALU_DEP_1)
	v_div_scale_f32 v3, null, v2, v2, 1.0
	v_rcp_f32_e32 v5, v3
	v_nop
	s_delay_alu instid0(TRANS32_DEP_1) | instskip(NEXT) | instid1(VALU_DEP_1)
	v_fma_f32 v4, -v3, v5, 1.0
	v_fmac_f32_e32 v5, v4, v5
	v_div_scale_f32 v6, vcc_lo, 1.0, v2, 1.0
	s_delay_alu instid0(VALU_DEP_1) | instskip(NEXT) | instid1(VALU_DEP_1)
	v_mul_f32_e32 v8, v6, v5
	v_fma_f32 v4, -v3, v8, v6
	s_delay_alu instid0(VALU_DEP_1) | instskip(SKIP_1) | instid1(VALU_DEP_2)
	v_fmac_f32_e32 v8, v4, v5
	v_xad_u32 v4, v0, -1, s4
	v_fma_f32 v3, -v3, v8, v6
	s_delay_alu instid0(VALU_DEP_1) | instskip(NEXT) | instid1(VALU_DEP_1)
	v_div_fmas_f32 v3, v3, v5, v8
	v_div_fixup_f32 v2, v3, v2, 1.0
	v_mov_b32_e32 v3, v0
	v_cmpx_lt_u32_e32 0x7f, v4
	s_cbranch_execz .LBB91_38
; %bb.30:
	s_delay_alu instid0(VALU_DEP_3) | instskip(NEXT) | instid1(VALU_DEP_1)
	v_dual_mov_b32 v3, v2 :: v_dual_lshrrev_b32 v4, 7, v4
	v_dual_mov_b32 v9, 0 :: v_dual_add_nc_u32 v5, -1, v4
	s_delay_alu instid0(VALU_DEP_1) | instskip(SKIP_1) | instid1(VALU_DEP_2)
	v_lshrrev_b32_e32 v6, 1, v5
	v_cmp_lt_u32_e32 vcc_lo, 13, v5
	v_add_nc_u32_e32 v5, 1, v6
	s_and_saveexec_b32 s3, vcc_lo
	s_cbranch_execz .LBB91_34
; %bb.31:
	s_delay_alu instid0(VALU_DEP_1)
	v_and_b32_e32 v6, -8, v5
	v_lshl_add_u32 v8, v0, 2, 0xa0
	s_mov_b32 s21, 0
	s_mov_b32 s24, 0
.LBB91_32:                              ; =>This Inner Loop Header: Depth=1
	ds_load_2addr_stride64_b32 v[10:11], v8 offset1:2
	ds_load_2addr_stride64_b32 v[12:13], v8 offset0:4 offset1:6
	ds_load_2addr_stride64_b32 v[14:15], v8 offset0:8 offset1:10
	;; [unrolled: 1-line block ×7, first 2 shown]
	s_add_co_i32 s24, s24, 16
	s_delay_alu instid0(SALU_CYCLE_1) | instskip(NEXT) | instid1(VALU_DEP_1)
	v_dual_mov_b32 v9, s24 :: v_dual_add_nc_u32 v6, -8, v6
	v_cmp_eq_u32_e32 vcc_lo, 0, v6
	s_or_b32 s21, vcc_lo, s21
	s_wait_dscnt 0x7
	v_pk_mul_f32 v[10:11], v[2:3], v[10:11]
	s_wait_dscnt 0x6
	v_pk_mul_f32 v[12:13], v[2:3], v[12:13]
	;; [unrolled: 2-line block ×8, first 2 shown]
	ds_store_2addr_stride64_b32 v8, v10, v11 offset1:2
	ds_store_2addr_stride64_b32 v8, v12, v13 offset0:4 offset1:6
	ds_store_2addr_stride64_b32 v8, v14, v15 offset0:8 offset1:10
	ds_store_2addr_stride64_b32 v8, v16, v17 offset0:12 offset1:14
	ds_store_2addr_stride64_b32 v8, v18, v19 offset0:16 offset1:18
	ds_store_2addr_stride64_b32 v8, v24, v25 offset0:20 offset1:22
	ds_store_2addr_stride64_b32 v8, v26, v27 offset0:24 offset1:26
	ds_store_2addr_stride64_b32 v8, v28, v29 offset0:28 offset1:30
	v_add_nc_u32_e32 v8, 0x2000, v8
	s_and_not1_b32 exec_lo, exec_lo, s21
	s_cbranch_execnz .LBB91_32
; %bb.33:
	s_or_b32 exec_lo, exec_lo, s21
.LBB91_34:
	s_delay_alu instid0(SALU_CYCLE_1) | instskip(NEXT) | instid1(VALU_DEP_1)
	s_or_b32 exec_lo, exec_lo, s3
	v_and_b32_e32 v5, 7, v5
	s_mov_b32 s21, 0
	s_mov_b32 s3, exec_lo
	s_delay_alu instid0(VALU_DEP_1)
	v_cmpx_ne_u32_e32 0, v5
	s_cbranch_execz .LBB91_37
; %bb.35:
	v_dual_lshlrev_b32 v6, 9, v9 :: v_dual_lshlrev_b32 v8, 2, v0
	s_delay_alu instid0(VALU_DEP_1)
	v_add3_u32 v6, v6, v8, 0xa0
.LBB91_36:                              ; =>This Inner Loop Header: Depth=1
	ds_load_2addr_stride64_b32 v[8:9], v6 offset1:2
	v_add_nc_u32_e32 v5, -1, v5
	s_delay_alu instid0(VALU_DEP_1)
	v_cmp_eq_u32_e32 vcc_lo, 0, v5
	s_or_b32 s21, vcc_lo, s21
	s_wait_dscnt 0x0
	v_pk_mul_f32 v[8:9], v[2:3], v[8:9]
	ds_store_2addr_stride64_b32 v6, v8, v9 offset1:2
	v_add_nc_u32_e32 v6, 0x400, v6
	s_and_not1_b32 exec_lo, exec_lo, s21
	s_cbranch_execnz .LBB91_36
.LBB91_37:
	s_or_b32 exec_lo, exec_lo, s3
	v_add_nc_u32_e32 v3, 1, v4
	s_delay_alu instid0(VALU_DEP_1) | instskip(NEXT) | instid1(VALU_DEP_1)
	v_and_b32_e32 v4, 0x3fffffe, v3
	v_cmp_ne_u32_e32 vcc_lo, v3, v4
	v_lshl_add_u32 v3, v4, 7, v0
	s_or_not1_b32 s3, vcc_lo, exec_lo
.LBB91_38:
	s_or_b32 exec_lo, exec_lo, s1
	s_delay_alu instid0(SALU_CYCLE_1)
	s_and_b32 exec_lo, exec_lo, s3
	s_cbranch_execz .LBB91_41
; %bb.39:
	v_lshl_add_u32 v4, v3, 2, 0xa0
	s_mov_b32 s1, 0
.LBB91_40:                              ; =>This Inner Loop Header: Depth=1
	ds_load_b32 v5, v4
	v_add_nc_u32_e32 v3, 0x80, v3
	s_delay_alu instid0(VALU_DEP_1)
	v_cmp_le_i32_e32 vcc_lo, s4, v3
	s_or_b32 s1, vcc_lo, s1
	s_wait_dscnt 0x0
	v_mul_f32_e32 v5, v2, v5
	ds_store_b32 v4, v5
	v_add_nc_u32_e32 v4, 0x200, v4
	s_and_not1_b32 exec_lo, exec_lo, s1
	s_cbranch_execnz .LBB91_40
.LBB91_41:
	s_or_b32 exec_lo, exec_lo, s0
	v_dual_mov_b32 v6, 0 :: v_dual_bitop2_b32 v23, 3, v0 bitop3:0x40
	v_dual_mov_b32 v9, 0 :: v_dual_mov_b32 v8, 0
	v_dual_mov_b32 v11, 0 :: v_dual_mov_b32 v10, 0
	;; [unrolled: 1-line block ×3, first 2 shown]
	s_wait_dscnt 0x0
	s_barrier_signal -1
	s_barrier_wait -1
	s_and_saveexec_b32 s1, s2
	s_cbranch_execz .LBB91_63
; %bb.42:
	s_abs_i32 s6, s6
	v_dual_lshlrev_b32 v5, 3, v0 :: v_dual_mov_b32 v31, 0
	s_cvt_f32_u32 s0, s6
	v_and_b32_e32 v2, 0x1f0, v1
	v_lshlrev_b32_e32 v1, 5, v23
	s_ashr_i32 s21, s20, 31
	v_rcp_iflag_f32_e32 v3, s0
	v_and_b32_e32 v4, 0x7c, v42
	v_dual_mov_b32 v5, v31 :: v_dual_bitop2_b32 v24, 24, v5 bitop3:0x40
	s_lshl_b64 s[18:19], s[18:19], 2
	s_lshl_b64 s[20:21], s[20:21], 1
	s_add_nc_u64 s[16:17], s[16:17], s[18:19]
	s_delay_alu instid0(TRANS32_DEP_1)
	v_readfirstlane_b32 s0, v3
	v_mov_b32_e32 v3, v31
	v_lshl_or_b32 v1, v40, 7, v1
	s_wait_kmcnt 0x0
	s_add_nc_u64 s[18:19], s[22:23], s[20:21]
	s_sub_co_i32 s4, 0, s6
	s_mul_f32 s0, s0, 0x4f7ffffe
	v_add_nc_u64_e32 v[14:15], s[18:19], v[2:3]
	v_add_nc_u64_e32 v[16:17], s[16:17], v[4:5]
	v_dual_mov_b32 v26, v40 :: v_dual_add_nc_u32 v25, 0xa0, v1
	s_cvt_u32_f32 s0, s0
	v_dual_mov_b32 v12, v31 :: v_dual_mov_b32 v13, v31
	v_dual_mov_b32 v10, v31 :: v_dual_mov_b32 v11, v31
	s_delay_alu instid0(SALU_CYCLE_1)
	s_mul_i32 s4, s4, s0
	v_dual_mov_b32 v8, v31 :: v_dual_mov_b32 v9, v31
	v_dual_mov_b32 v6, v31 :: v_dual_mov_b32 v7, v31
	s_sub_co_i32 s24, s33, s5
	s_mov_b32 s5, 0
	s_mul_hi_u32 s4, s0, s4
	s_ashr_i32 s3, s9, 31
	s_mov_b32 s2, s9
	s_add_co_i32 s9, s31, -1
	s_mov_b32 s16, s29
	s_add_co_i32 s4, s0, s4
	s_mov_b32 s17, s5
	s_branch .LBB91_45
.LBB91_43:                              ;   in Loop: Header=BB91_45 Depth=1
	s_or_b32 exec_lo, exec_lo, s0
	v_dual_lshlrev_b32 v18, 16, v18 :: v_dual_lshlrev_b32 v1, 16, v1
	v_dual_add_f32 v20, v20, v37 :: v_dual_add_f32 v27, v54, v55
	v_lshlrev_b32_e32 v19, 16, v19
	s_delay_alu instid0(VALU_DEP_3) | instskip(NEXT) | instid1(VALU_DEP_4)
	v_and_or_b32 v2, 0xffff, v2, v18
	v_and_or_b32 v3, 0xffff, v3, v1
	s_delay_alu instid0(VALU_DEP_4)
	v_dual_add_f32 v6, v6, v20 :: v_dual_add_f32 v20, v52, v53
	v_add_f32_e32 v9, v9, v27
	v_and_or_b32 v4, 0xffff, v4, v19
	;;#ASMSTART
	v_pk_mul_f16 v2, v39, v2;

	;;#ASMEND
	;;#ASMSTART
	v_pk_mul_f16 v3, v38, v3;

	;;#ASMEND
	;; [unrolled: 4-line block ×4, first 2 shown]
	;;#ASMSTART
	v_pk_add_f16 v2, v2, v3;

	;;#ASMEND
	;;#ASMSTART
	v_pk_add_f16 v2, v2, v4;

	;;#ASMEND
	;; [unrolled: 4-line block ×3, first 2 shown]
	v_and_b32_e32 v5, 0xffff, v2
	v_dual_lshrrev_b32 v18, 16, v2 :: v_dual_add_f32 v2, v48, v49
	;;#ASMSTART
	v_cvt_f32_f16 v5, v5;
	;;#ASMEND
	v_dual_add_f32 v8, v8, v20 :: v_dual_add_f32 v1, v50, v51
	v_dual_add_f32 v3, v46, v47 :: v_dual_add_f32 v4, v44, v45
	;;#ASMSTART
	v_cvt_f32_f16 v18, v18;
	;;#ASMEND
	s_delay_alu instid0(VALU_DEP_2) | instskip(NEXT) | instid1(VALU_DEP_2)
	v_dual_add_f32 v5, v5, v18 :: v_dual_add_f32 v11, v11, v1
	v_dual_add_f32 v10, v10, v2 :: v_dual_add_f32 v13, v13, v3
	s_delay_alu instid0(VALU_DEP_2)
	v_dual_add_f32 v12, v12, v4 :: v_dual_add_f32 v7, v7, v5
.LBB91_44:                              ;   in Loop: Header=BB91_45 Depth=1
	s_or_b32 exec_lo, exec_lo, s18
	v_add_nc_u32_e32 v26, 4, v26
	v_add_nc_u64_e32 v[16:17], 16, v[16:17]
	v_add_nc_u32_e32 v30, 0x80, v30
	v_add_nc_u32_e32 v25, 0x200, v25
	s_delay_alu instid0(VALU_DEP_4) | instskip(SKIP_1) | instid1(SALU_CYCLE_1)
	v_cmp_le_i32_e32 vcc_lo, s31, v26
	s_or_b32 s17, vcc_lo, s17
	s_and_not1_b32 exec_lo, exec_lo, s17
	s_cbranch_execz .LBB91_62
.LBB91_45:                              ; =>This Inner Loop Header: Depth=1
	v_mul_u64_e32 v[2:3], s[14:15], v[30:31]
	s_delay_alu instid0(VALU_DEP_1) | instskip(NEXT) | instid1(VALU_DEP_1)
	v_mul_lo_u32 v1, v3, s8
	v_dual_add_nc_u32 v2, 1, v3 :: v_dual_sub_nc_u32 v1, v30, v1
	s_delay_alu instid0(VALU_DEP_1) | instskip(SKIP_1) | instid1(VALU_DEP_2)
	v_subrev_nc_u32_e32 v4, s8, v1
	v_cmp_le_u32_e32 vcc_lo, s8, v1
	v_dual_cndmask_b32 v2, v3, v2 :: v_dual_cndmask_b32 v1, v1, v4
	s_delay_alu instid0(VALU_DEP_1) | instskip(NEXT) | instid1(VALU_DEP_2)
	v_add_nc_u32_e32 v3, 1, v2
	v_cmp_le_u32_e32 vcc_lo, s8, v1
	s_delay_alu instid0(VALU_DEP_2) | instskip(NEXT) | instid1(VALU_DEP_1)
	v_dual_cndmask_b32 v1, v2, v3, vcc_lo :: v_dual_mov_b32 v3, v31
	v_xor_b32_e32 v1, s30, v1
	s_delay_alu instid0(VALU_DEP_1) | instskip(NEXT) | instid1(VALU_DEP_1)
	v_subrev_nc_u32_e32 v1, s30, v1
	v_add_nc_u32_e32 v18, s13, v1
	v_cmp_lt_i32_e64 s0, s24, v1
	s_delay_alu instid0(VALU_DEP_2) | instskip(NEXT) | instid1(VALU_DEP_1)
	v_sub_nc_u32_e32 v2, 0, v18
	v_max_i32_e32 v2, v18, v2
	s_delay_alu instid0(VALU_DEP_1) | instskip(SKIP_1) | instid1(VALU_DEP_2)
	v_mul_u64_e32 v[4:5], s[4:5], v[2:3]
	v_ashrrev_i32_e32 v4, 31, v18
	v_mul_lo_u32 v3, v5, s6
	s_delay_alu instid0(VALU_DEP_1) | instskip(NEXT) | instid1(VALU_DEP_1)
	v_sub_nc_u32_e32 v2, v2, v3
	v_subrev_nc_u32_e32 v3, s6, v2
	v_cmp_le_u32_e32 vcc_lo, s6, v2
	s_delay_alu instid0(VALU_DEP_2) | instskip(NEXT) | instid1(VALU_DEP_1)
	v_cndmask_b32_e32 v2, v2, v3, vcc_lo
	v_subrev_nc_u32_e32 v3, s6, v2
	v_cmp_le_u32_e32 vcc_lo, s6, v2
	s_delay_alu instid0(VALU_DEP_2) | instskip(NEXT) | instid1(VALU_DEP_1)
	v_cndmask_b32_e32 v2, v2, v3, vcc_lo
	v_xor_b32_e32 v2, v2, v4
	s_delay_alu instid0(VALU_DEP_1) | instskip(NEXT) | instid1(VALU_DEP_1)
	v_sub_nc_u32_e32 v2, v2, v4
	v_cmp_eq_u32_e32 vcc_lo, 0, v2
	s_or_b32 s0, vcc_lo, s0
	s_delay_alu instid0(SALU_CYCLE_1)
	s_and_saveexec_b32 s18, s0
	s_cbranch_execz .LBB91_44
; %bb.46:                               ;   in Loop: Header=BB91_45 Depth=1
	global_load_b32 v2, v[16:17], off
	v_cmp_eq_u32_e32 vcc_lo, s9, v26
	s_wait_loadcnt 0x0
	v_ashrrev_i32_e32 v3, 31, v2
	s_delay_alu instid0(VALU_DEP_1)
	v_mul_u64_e32 v[18:19], s[2:3], v[2:3]
	ds_load_2addr_b64 v[2:5], v25 offset1:1
	ds_load_2addr_b64 v[32:35], v25 offset0:2 offset1:3
	s_wait_dscnt 0x1
	;;#ASMSTART
	v_cvt_f16_f32 v39, v2;

	;;#ASMEND
	;;#ASMSTART
	v_cvt_f16_f32 v38, v3;

	;;#ASMEND
	;; [unrolled: 4-line block ×4, first 2 shown]
	s_wait_dscnt 0x0
	;;#ASMSTART
	v_cvt_f16_f32 v47, v32;

	;;#ASMEND
	;;#ASMSTART
	v_cvt_f16_f32 v42, v33;

	;;#ASMEND
	;; [unrolled: 4-line block ×4, first 2 shown]
	v_lshl_add_u64 v[18:19], v[18:19], 1, v[14:15]
	global_load_b128 v[2:5], v[18:19], off
	s_wait_loadcnt 0x0
	v_dual_add_nc_u32 v33, v24, v30 :: v_dual_lshrrev_b32 v1, 16, v3
	s_delay_alu instid0(VALU_DEP_1)
	v_dual_add_nc_u32 v35, 2, v33 :: v_dual_add_nc_u32 v28, 4, v33
	v_dual_add_nc_u32 v27, 5, v33 :: v_dual_add_nc_u32 v32, 6, v33
	v_dual_add_nc_u32 v29, 7, v33 :: v_dual_bitop2_b32 v36, 3, v33 bitop3:0x54
	v_dual_lshrrev_b32 v20, 16, v2 :: v_dual_lshrrev_b32 v37, 16, v4
	v_or_b32_e32 v34, 1, v33
	s_and_saveexec_b32 s19, vcc_lo
	s_cbranch_execz .LBB91_48
; %bb.47:                               ;   in Loop: Header=BB91_45 Depth=1
	v_cmp_gt_i32_e64 s0, s29, v33
	v_and_b32_e32 v48, 0xffff, v5
	v_and_b32_e32 v5, 0xffff0000, v5
	s_delay_alu instid0(VALU_DEP_3) | instskip(SKIP_1) | instid1(VALU_DEP_1)
	v_cndmask_b32_e64 v2, 0, v2, s0
	v_cmp_gt_i32_e64 s0, s29, v35
	v_cndmask_b32_e64 v3, 0, v3, s0
	v_cmp_gt_i32_e64 s0, s16, v36
	s_delay_alu instid0(VALU_DEP_1) | instskip(SKIP_1) | instid1(VALU_DEP_1)
	v_cndmask_b32_e64 v1, 0, v1, s0
	v_cmp_gt_i32_e64 s0, s29, v34
	v_cndmask_b32_e64 v20, 0, v20, s0
	v_cmp_gt_i32_e64 s0, s29, v32
	s_delay_alu instid0(VALU_DEP_1) | instskip(SKIP_1) | instid1(VALU_DEP_1)
	;; [unrolled: 5-line block ×3, first 2 shown]
	v_dual_cndmask_b32 v4, 0, v4, s0 :: v_dual_bitop2_b32 v5, v48, v5 bitop3:0x54
	v_cmp_gt_i32_e64 s0, s29, v27
	v_cndmask_b32_e64 v37, 0, v37, s0
.LBB91_48:                              ;   in Loop: Header=BB91_45 Depth=1
	s_or_b32 exec_lo, exec_lo, s19
	v_and_b32_e32 v39, 0xffff, v39
	v_and_b32_e32 v46, 0xffff, v46
	v_dual_lshlrev_b32 v20, 16, v20 :: v_dual_lshlrev_b32 v1, 16, v1
	v_lshlrev_b32_e32 v37, 16, v37
	v_and_b32_e32 v47, 0xffff, v47
	v_lshl_or_b32 v39, v38, 16, v39
	v_lshl_or_b32 v38, v44, 16, v46
	v_and_b32_e32 v44, 0xffff, v45
	v_and_or_b32 v2, 0xffff, v2, v20
	v_and_or_b32 v1, 0xffff, v3, v1
	;; [unrolled: 1-line block ×3, first 2 shown]
	;;#ASMSTART
	v_pk_mul_f16 v2, v39, v2;

	;;#ASMEND
	;;#ASMSTART
	v_pk_mul_f16 v1, v38, v1;

	;;#ASMEND
	v_lshl_or_b32 v42, v42, 16, v47
	v_lshl_or_b32 v43, v43, 16, v44
	;;#ASMSTART
	v_pk_mul_f16 v3, v42, v3;

	;;#ASMEND
	;;#ASMSTART
	v_pk_mul_f16 v4, v43, v5;

	;;#ASMEND
	;;#ASMSTART
	v_pk_add_f16 v1, v2, v1;

	;;#ASMEND
	;;#ASMSTART
	v_pk_add_f16 v1, v1, v3;
	;; [unrolled: 4-line block ×3, first 2 shown]

	;;#ASMEND
	v_and_b32_e32 v2, 0xffff, v1
	v_lshrrev_b32_e32 v1, 16, v1
	;;#ASMSTART
	v_cvt_f32_f16 v44, v2;
	;;#ASMEND
	;;#ASMSTART
	v_cvt_f32_f16 v45, v1;
	;;#ASMEND
	global_load_b128 v[2:5], v[18:19], off offset:512
	s_wait_loadcnt 0x0
	v_dual_lshrrev_b32 v1, 16, v3 :: v_dual_lshrrev_b32 v20, 16, v2
	v_lshrrev_b32_e32 v37, 16, v4
	s_and_saveexec_b32 s19, vcc_lo
	s_cbranch_execz .LBB91_50
; %bb.49:                               ;   in Loop: Header=BB91_45 Depth=1
	v_cmp_gt_i32_e64 s0, s29, v33
	v_and_b32_e32 v46, 0xffff, v5
	v_and_b32_e32 v5, 0xffff0000, v5
	s_delay_alu instid0(VALU_DEP_3) | instskip(SKIP_1) | instid1(VALU_DEP_1)
	v_cndmask_b32_e64 v2, 0, v2, s0
	v_cmp_gt_i32_e64 s0, s29, v35
	v_cndmask_b32_e64 v3, 0, v3, s0
	v_cmp_gt_i32_e64 s0, s16, v36
	s_delay_alu instid0(VALU_DEP_1) | instskip(SKIP_1) | instid1(VALU_DEP_1)
	v_cndmask_b32_e64 v1, 0, v1, s0
	v_cmp_gt_i32_e64 s0, s29, v34
	v_cndmask_b32_e64 v20, 0, v20, s0
	v_cmp_gt_i32_e64 s0, s29, v32
	s_delay_alu instid0(VALU_DEP_1) | instskip(SKIP_1) | instid1(VALU_DEP_1)
	;; [unrolled: 5-line block ×3, first 2 shown]
	v_dual_cndmask_b32 v4, 0, v4, s0 :: v_dual_bitop2_b32 v5, v46, v5 bitop3:0x54
	v_cmp_gt_i32_e64 s0, s29, v27
	v_cndmask_b32_e64 v37, 0, v37, s0
.LBB91_50:                              ;   in Loop: Header=BB91_45 Depth=1
	s_or_b32 exec_lo, exec_lo, s19
	v_dual_lshlrev_b32 v20, 16, v20 :: v_dual_lshlrev_b32 v1, 16, v1
	s_delay_alu instid0(VALU_DEP_2) | instskip(NEXT) | instid1(VALU_DEP_2)
	v_lshlrev_b32_e32 v37, 16, v37
	v_and_or_b32 v2, 0xffff, v2, v20
	s_delay_alu instid0(VALU_DEP_3) | instskip(NEXT) | instid1(VALU_DEP_3)
	v_and_or_b32 v1, 0xffff, v3, v1
	v_and_or_b32 v3, 0xffff, v4, v37
	;;#ASMSTART
	v_pk_mul_f16 v2, v39, v2;

	;;#ASMEND
	;;#ASMSTART
	v_pk_mul_f16 v1, v38, v1;

	;;#ASMEND
	;;#ASMSTART
	v_pk_mul_f16 v3, v42, v3;

	;;#ASMEND
	;;#ASMSTART
	v_pk_mul_f16 v4, v43, v5;

	;;#ASMEND
	;;#ASMSTART
	v_pk_add_f16 v1, v2, v1;

	;;#ASMEND
	;;#ASMSTART
	v_pk_add_f16 v1, v1, v3;

	;;#ASMEND
	;; [unrolled: 4-line block ×3, first 2 shown]
	v_and_b32_e32 v2, 0xffff, v1
	v_lshrrev_b32_e32 v1, 16, v1
	;;#ASMSTART
	v_cvt_f32_f16 v46, v2;
	;;#ASMEND
	;;#ASMSTART
	v_cvt_f32_f16 v47, v1;
	;;#ASMEND
	global_load_b128 v[2:5], v[18:19], off offset:1024
	s_wait_loadcnt 0x0
	v_dual_lshrrev_b32 v1, 16, v3 :: v_dual_lshrrev_b32 v20, 16, v2
	v_lshrrev_b32_e32 v37, 16, v4
	s_and_saveexec_b32 s19, vcc_lo
	s_cbranch_execz .LBB91_52
; %bb.51:                               ;   in Loop: Header=BB91_45 Depth=1
	v_cmp_gt_i32_e64 s0, s29, v33
	v_and_b32_e32 v48, 0xffff, v5
	v_and_b32_e32 v5, 0xffff0000, v5
	s_delay_alu instid0(VALU_DEP_3) | instskip(SKIP_1) | instid1(VALU_DEP_1)
	v_cndmask_b32_e64 v2, 0, v2, s0
	v_cmp_gt_i32_e64 s0, s29, v35
	v_cndmask_b32_e64 v3, 0, v3, s0
	v_cmp_gt_i32_e64 s0, s16, v36
	s_delay_alu instid0(VALU_DEP_1) | instskip(SKIP_1) | instid1(VALU_DEP_1)
	v_cndmask_b32_e64 v1, 0, v1, s0
	v_cmp_gt_i32_e64 s0, s29, v34
	v_cndmask_b32_e64 v20, 0, v20, s0
	v_cmp_gt_i32_e64 s0, s29, v32
	s_delay_alu instid0(VALU_DEP_1) | instskip(SKIP_1) | instid1(VALU_DEP_1)
	;; [unrolled: 5-line block ×3, first 2 shown]
	v_dual_cndmask_b32 v4, 0, v4, s0 :: v_dual_bitop2_b32 v5, v48, v5 bitop3:0x54
	v_cmp_gt_i32_e64 s0, s29, v27
	v_cndmask_b32_e64 v37, 0, v37, s0
.LBB91_52:                              ;   in Loop: Header=BB91_45 Depth=1
	s_or_b32 exec_lo, exec_lo, s19
	v_dual_lshlrev_b32 v20, 16, v20 :: v_dual_lshlrev_b32 v1, 16, v1
	s_delay_alu instid0(VALU_DEP_2) | instskip(NEXT) | instid1(VALU_DEP_2)
	v_lshlrev_b32_e32 v37, 16, v37
	v_and_or_b32 v2, 0xffff, v2, v20
	s_delay_alu instid0(VALU_DEP_3) | instskip(NEXT) | instid1(VALU_DEP_3)
	v_and_or_b32 v1, 0xffff, v3, v1
	v_and_or_b32 v3, 0xffff, v4, v37
	;;#ASMSTART
	v_pk_mul_f16 v2, v39, v2;

	;;#ASMEND
	;;#ASMSTART
	v_pk_mul_f16 v1, v38, v1;

	;;#ASMEND
	;; [unrolled: 4-line block ×4, first 2 shown]
	;;#ASMSTART
	v_pk_add_f16 v1, v2, v1;

	;;#ASMEND
	;;#ASMSTART
	v_pk_add_f16 v1, v1, v3;

	;;#ASMEND
	;; [unrolled: 4-line block ×3, first 2 shown]
	v_and_b32_e32 v2, 0xffff, v1
	v_lshrrev_b32_e32 v1, 16, v1
	;;#ASMSTART
	v_cvt_f32_f16 v48, v2;
	;;#ASMEND
	;;#ASMSTART
	v_cvt_f32_f16 v49, v1;
	;;#ASMEND
	global_load_b128 v[2:5], v[18:19], off offset:1536
	s_wait_loadcnt 0x0
	v_dual_lshrrev_b32 v1, 16, v3 :: v_dual_lshrrev_b32 v20, 16, v2
	v_lshrrev_b32_e32 v37, 16, v4
	s_and_saveexec_b32 s19, vcc_lo
	s_cbranch_execz .LBB91_54
; %bb.53:                               ;   in Loop: Header=BB91_45 Depth=1
	v_cmp_gt_i32_e64 s0, s29, v33
	v_and_b32_e32 v50, 0xffff, v5
	v_and_b32_e32 v5, 0xffff0000, v5
	s_delay_alu instid0(VALU_DEP_3) | instskip(SKIP_1) | instid1(VALU_DEP_1)
	v_cndmask_b32_e64 v2, 0, v2, s0
	v_cmp_gt_i32_e64 s0, s29, v35
	v_cndmask_b32_e64 v3, 0, v3, s0
	v_cmp_gt_i32_e64 s0, s16, v36
	s_delay_alu instid0(VALU_DEP_1) | instskip(SKIP_1) | instid1(VALU_DEP_1)
	v_cndmask_b32_e64 v1, 0, v1, s0
	v_cmp_gt_i32_e64 s0, s29, v34
	v_cndmask_b32_e64 v20, 0, v20, s0
	v_cmp_gt_i32_e64 s0, s29, v32
	s_delay_alu instid0(VALU_DEP_1) | instskip(SKIP_1) | instid1(VALU_DEP_1)
	;; [unrolled: 5-line block ×3, first 2 shown]
	v_dual_cndmask_b32 v4, 0, v4, s0 :: v_dual_bitop2_b32 v5, v50, v5 bitop3:0x54
	v_cmp_gt_i32_e64 s0, s29, v27
	v_cndmask_b32_e64 v37, 0, v37, s0
.LBB91_54:                              ;   in Loop: Header=BB91_45 Depth=1
	s_or_b32 exec_lo, exec_lo, s19
	v_dual_lshlrev_b32 v20, 16, v20 :: v_dual_lshlrev_b32 v1, 16, v1
	s_delay_alu instid0(VALU_DEP_2) | instskip(NEXT) | instid1(VALU_DEP_2)
	v_lshlrev_b32_e32 v37, 16, v37
	v_and_or_b32 v2, 0xffff, v2, v20
	s_delay_alu instid0(VALU_DEP_3) | instskip(NEXT) | instid1(VALU_DEP_3)
	v_and_or_b32 v1, 0xffff, v3, v1
	v_and_or_b32 v3, 0xffff, v4, v37
	;;#ASMSTART
	v_pk_mul_f16 v2, v39, v2;

	;;#ASMEND
	;;#ASMSTART
	v_pk_mul_f16 v1, v38, v1;

	;;#ASMEND
	;; [unrolled: 4-line block ×4, first 2 shown]
	;;#ASMSTART
	v_pk_add_f16 v1, v2, v1;

	;;#ASMEND
	;;#ASMSTART
	v_pk_add_f16 v1, v1, v3;

	;;#ASMEND
	;; [unrolled: 4-line block ×3, first 2 shown]
	v_and_b32_e32 v2, 0xffff, v1
	v_lshrrev_b32_e32 v1, 16, v1
	;;#ASMSTART
	v_cvt_f32_f16 v50, v2;
	;;#ASMEND
	;;#ASMSTART
	v_cvt_f32_f16 v51, v1;
	;;#ASMEND
	global_load_b128 v[2:5], v[18:19], off offset:2048
	s_wait_loadcnt 0x0
	v_dual_lshrrev_b32 v1, 16, v3 :: v_dual_lshrrev_b32 v20, 16, v2
	v_lshrrev_b32_e32 v37, 16, v4
	s_and_saveexec_b32 s19, vcc_lo
	s_cbranch_execz .LBB91_56
; %bb.55:                               ;   in Loop: Header=BB91_45 Depth=1
	v_cmp_gt_i32_e64 s0, s29, v33
	v_and_b32_e32 v52, 0xffff, v5
	v_and_b32_e32 v5, 0xffff0000, v5
	s_delay_alu instid0(VALU_DEP_3) | instskip(SKIP_1) | instid1(VALU_DEP_1)
	v_cndmask_b32_e64 v2, 0, v2, s0
	v_cmp_gt_i32_e64 s0, s29, v35
	v_cndmask_b32_e64 v3, 0, v3, s0
	v_cmp_gt_i32_e64 s0, s16, v36
	s_delay_alu instid0(VALU_DEP_1) | instskip(SKIP_1) | instid1(VALU_DEP_1)
	v_cndmask_b32_e64 v1, 0, v1, s0
	v_cmp_gt_i32_e64 s0, s29, v34
	v_cndmask_b32_e64 v20, 0, v20, s0
	v_cmp_gt_i32_e64 s0, s29, v32
	s_delay_alu instid0(VALU_DEP_1) | instskip(SKIP_1) | instid1(VALU_DEP_1)
	;; [unrolled: 5-line block ×3, first 2 shown]
	v_dual_cndmask_b32 v4, 0, v4, s0 :: v_dual_bitop2_b32 v5, v52, v5 bitop3:0x54
	v_cmp_gt_i32_e64 s0, s29, v27
	v_cndmask_b32_e64 v37, 0, v37, s0
.LBB91_56:                              ;   in Loop: Header=BB91_45 Depth=1
	s_or_b32 exec_lo, exec_lo, s19
	v_dual_lshlrev_b32 v20, 16, v20 :: v_dual_lshlrev_b32 v1, 16, v1
	s_delay_alu instid0(VALU_DEP_2) | instskip(NEXT) | instid1(VALU_DEP_2)
	v_lshlrev_b32_e32 v37, 16, v37
	v_and_or_b32 v2, 0xffff, v2, v20
	s_delay_alu instid0(VALU_DEP_3) | instskip(NEXT) | instid1(VALU_DEP_3)
	v_and_or_b32 v1, 0xffff, v3, v1
	v_and_or_b32 v3, 0xffff, v4, v37
	;;#ASMSTART
	v_pk_mul_f16 v2, v39, v2;

	;;#ASMEND
	;;#ASMSTART
	v_pk_mul_f16 v1, v38, v1;

	;;#ASMEND
	;; [unrolled: 4-line block ×4, first 2 shown]
	;;#ASMSTART
	v_pk_add_f16 v1, v2, v1;

	;;#ASMEND
	;;#ASMSTART
	v_pk_add_f16 v1, v1, v3;

	;;#ASMEND
	;; [unrolled: 4-line block ×3, first 2 shown]
	v_and_b32_e32 v2, 0xffff, v1
	v_lshrrev_b32_e32 v1, 16, v1
	;;#ASMSTART
	v_cvt_f32_f16 v52, v2;
	;;#ASMEND
	;;#ASMSTART
	v_cvt_f32_f16 v53, v1;
	;;#ASMEND
	global_load_b128 v[2:5], v[18:19], off offset:2560
	s_wait_loadcnt 0x0
	v_dual_lshrrev_b32 v1, 16, v3 :: v_dual_lshrrev_b32 v20, 16, v2
	v_lshrrev_b32_e32 v37, 16, v4
	s_and_saveexec_b32 s19, vcc_lo
	s_cbranch_execz .LBB91_58
; %bb.57:                               ;   in Loop: Header=BB91_45 Depth=1
	v_cmp_gt_i32_e64 s0, s29, v33
	v_and_b32_e32 v54, 0xffff, v5
	v_and_b32_e32 v5, 0xffff0000, v5
	s_delay_alu instid0(VALU_DEP_3) | instskip(SKIP_1) | instid1(VALU_DEP_1)
	v_cndmask_b32_e64 v2, 0, v2, s0
	v_cmp_gt_i32_e64 s0, s29, v35
	v_cndmask_b32_e64 v3, 0, v3, s0
	v_cmp_gt_i32_e64 s0, s16, v36
	s_delay_alu instid0(VALU_DEP_1) | instskip(SKIP_1) | instid1(VALU_DEP_1)
	v_cndmask_b32_e64 v1, 0, v1, s0
	v_cmp_gt_i32_e64 s0, s29, v34
	v_cndmask_b32_e64 v20, 0, v20, s0
	v_cmp_gt_i32_e64 s0, s29, v32
	s_delay_alu instid0(VALU_DEP_1) | instskip(SKIP_1) | instid1(VALU_DEP_1)
	;; [unrolled: 5-line block ×3, first 2 shown]
	v_dual_cndmask_b32 v4, 0, v4, s0 :: v_dual_bitop2_b32 v5, v54, v5 bitop3:0x54
	v_cmp_gt_i32_e64 s0, s29, v27
	v_cndmask_b32_e64 v37, 0, v37, s0
.LBB91_58:                              ;   in Loop: Header=BB91_45 Depth=1
	s_or_b32 exec_lo, exec_lo, s19
	v_dual_lshlrev_b32 v20, 16, v20 :: v_dual_lshlrev_b32 v1, 16, v1
	s_delay_alu instid0(VALU_DEP_2) | instskip(NEXT) | instid1(VALU_DEP_2)
	v_lshlrev_b32_e32 v37, 16, v37
	v_and_or_b32 v2, 0xffff, v2, v20
	s_delay_alu instid0(VALU_DEP_3) | instskip(NEXT) | instid1(VALU_DEP_3)
	v_and_or_b32 v1, 0xffff, v3, v1
	v_and_or_b32 v3, 0xffff, v4, v37
	;;#ASMSTART
	v_pk_mul_f16 v2, v39, v2;

	;;#ASMEND
	;;#ASMSTART
	v_pk_mul_f16 v1, v38, v1;

	;;#ASMEND
	;; [unrolled: 4-line block ×4, first 2 shown]
	;;#ASMSTART
	v_pk_add_f16 v1, v2, v1;

	;;#ASMEND
	;;#ASMSTART
	v_pk_add_f16 v1, v1, v3;

	;;#ASMEND
	;;#ASMSTART
	v_pk_add_f16 v1, v1, v4;

	;;#ASMEND
	v_and_b32_e32 v2, 0xffff, v1
	v_lshrrev_b32_e32 v1, 16, v1
	;;#ASMSTART
	v_cvt_f32_f16 v54, v2;
	;;#ASMEND
	;;#ASMSTART
	v_cvt_f32_f16 v55, v1;
	;;#ASMEND
	global_load_b128 v[2:5], v[18:19], off offset:3072
	s_wait_loadcnt 0x0
	v_dual_lshrrev_b32 v1, 16, v3 :: v_dual_lshrrev_b32 v20, 16, v2
	v_lshrrev_b32_e32 v37, 16, v4
	s_and_saveexec_b32 s19, vcc_lo
	s_cbranch_execz .LBB91_60
; %bb.59:                               ;   in Loop: Header=BB91_45 Depth=1
	v_cmp_gt_i32_e64 s0, s29, v33
	v_and_b32_e32 v56, 0xffff, v5
	v_and_b32_e32 v5, 0xffff0000, v5
	s_delay_alu instid0(VALU_DEP_3) | instskip(SKIP_1) | instid1(VALU_DEP_1)
	v_cndmask_b32_e64 v2, 0, v2, s0
	v_cmp_gt_i32_e64 s0, s29, v35
	v_cndmask_b32_e64 v3, 0, v3, s0
	v_cmp_gt_i32_e64 s0, s16, v36
	s_delay_alu instid0(VALU_DEP_1) | instskip(SKIP_1) | instid1(VALU_DEP_1)
	v_cndmask_b32_e64 v1, 0, v1, s0
	v_cmp_gt_i32_e64 s0, s29, v34
	v_cndmask_b32_e64 v20, 0, v20, s0
	v_cmp_gt_i32_e64 s0, s29, v32
	s_delay_alu instid0(VALU_DEP_1) | instskip(SKIP_1) | instid1(VALU_DEP_1)
	;; [unrolled: 5-line block ×3, first 2 shown]
	v_dual_cndmask_b32 v4, 0, v4, s0 :: v_dual_bitop2_b32 v5, v56, v5 bitop3:0x54
	v_cmp_gt_i32_e64 s0, s29, v27
	v_cndmask_b32_e64 v37, 0, v37, s0
.LBB91_60:                              ;   in Loop: Header=BB91_45 Depth=1
	s_or_b32 exec_lo, exec_lo, s19
	v_dual_lshlrev_b32 v20, 16, v20 :: v_dual_lshlrev_b32 v1, 16, v1
	s_delay_alu instid0(VALU_DEP_2) | instskip(NEXT) | instid1(VALU_DEP_2)
	v_lshlrev_b32_e32 v37, 16, v37
	v_and_or_b32 v2, 0xffff, v2, v20
	s_delay_alu instid0(VALU_DEP_3) | instskip(NEXT) | instid1(VALU_DEP_3)
	v_and_or_b32 v1, 0xffff, v3, v1
	v_and_or_b32 v3, 0xffff, v4, v37
	;;#ASMSTART
	v_pk_mul_f16 v2, v39, v2;

	;;#ASMEND
	;;#ASMSTART
	v_pk_mul_f16 v1, v38, v1;

	;;#ASMEND
	;; [unrolled: 4-line block ×4, first 2 shown]
	;;#ASMSTART
	v_pk_add_f16 v1, v2, v1;

	;;#ASMEND
	;;#ASMSTART
	v_pk_add_f16 v1, v1, v3;

	;;#ASMEND
	;;#ASMSTART
	v_pk_add_f16 v1, v1, v4;

	;;#ASMEND
	v_and_b32_e32 v2, 0xffff, v1
	v_lshrrev_b32_e32 v1, 16, v1
	;;#ASMSTART
	v_cvt_f32_f16 v20, v2;
	;;#ASMEND
	;;#ASMSTART
	v_cvt_f32_f16 v37, v1;
	;;#ASMEND
	global_load_b128 v[2:5], v[18:19], off offset:3584
	s_wait_loadcnt 0x0
	v_dual_lshrrev_b32 v1, 16, v3 :: v_dual_lshrrev_b32 v18, 16, v2
	v_lshrrev_b32_e32 v19, 16, v4
	s_and_saveexec_b32 s0, vcc_lo
	s_cbranch_execz .LBB91_43
; %bb.61:                               ;   in Loop: Header=BB91_45 Depth=1
	v_cmp_gt_i32_e32 vcc_lo, s29, v33
	v_and_b32_e32 v33, 0xffff, v5
	v_and_b32_e32 v5, 0xffff0000, v5
	v_cndmask_b32_e32 v2, 0, v2, vcc_lo
	v_cmp_gt_i32_e32 vcc_lo, s29, v35
	v_cndmask_b32_e32 v3, 0, v3, vcc_lo
	v_cmp_gt_i32_e32 vcc_lo, s16, v36
	;; [unrolled: 2-line block ×7, first 2 shown]
	s_delay_alu instid0(VALU_DEP_4)
	v_dual_cndmask_b32 v19, 0, v19, vcc_lo :: v_dual_bitop2_b32 v5, v32, v5 bitop3:0x54
	s_branch .LBB91_43
.LBB91_62:
	s_or_b32 exec_lo, exec_lo, s17
.LBB91_63:
	s_delay_alu instid0(SALU_CYCLE_1)
	s_or_b32 exec_lo, exec_lo, s1
	ds_bpermute_b32 v2, v22, v12
	ds_bpermute_b32 v3, v22, v13
	;; [unrolled: 1-line block ×8, first 2 shown]
	v_and_b32_e32 v18, 0x3c3, v0
	v_and_b32_e32 v1, 28, v41
	s_mov_b32 s0, exec_lo
	s_wait_dscnt 0x0
	s_barrier_signal -1
	s_barrier_wait -1
	v_pk_add_f32 v[2:3], v[12:13], v[2:3]
	v_pk_add_f32 v[4:5], v[10:11], v[4:5]
	;; [unrolled: 1-line block ×4, first 2 shown]
	ds_bpermute_b32 v6, v21, v2
	ds_bpermute_b32 v7, v21, v3
	;; [unrolled: 1-line block ×8, first 2 shown]
	s_wait_dscnt 0x6
	v_pk_add_f32 v[6:7], v[2:3], v[6:7]
	s_wait_dscnt 0x4
	v_pk_add_f32 v[4:5], v[4:5], v[14:15]
	;; [unrolled: 2-line block ×3, first 2 shown]
	v_cmpx_ne_u32_e32 64, v18
	s_xor_b32 s0, exec_lo, s0
	s_delay_alu instid0(SALU_CYCLE_1)
	s_or_saveexec_b32 s0, s0
	s_wait_dscnt 0x0
	v_pk_add_f32 v[8:9], v[8:9], v[10:11]
	v_lshrrev_b32_e32 v11, 2, v41
	v_add_nc_u32_e32 v10, 0xa0, v1
	v_lshlrev_b32_e32 v1, 8, v40
	s_xor_b32 exec_lo, exec_lo, s0
	s_cbranch_execz .LBB91_65
; %bb.64:
	s_delay_alu instid0(VALU_DEP_1) | instskip(NEXT) | instid1(VALU_DEP_1)
	v_add_nc_u32_e32 v12, v10, v1
	v_add_nc_u32_e32 v13, 0xfffffe00, v12
	;; [unrolled: 1-line block ×9, first 2 shown]
	ds_store_b32 v13, v6
	ds_store_b32 v14, v7
	ds_store_b32 v15, v4
	ds_store_b32 v16, v5
	ds_store_b32 v17, v2
	ds_store_b32 v18, v3
	ds_store_b32 v19, v8
	ds_store_b32 v12, v9
.LBB91_65:
	s_or_b32 exec_lo, exec_lo, s0
	v_lshlrev_b32_e32 v11, 2, v11
	s_mov_b32 s1, exec_lo
	v_cmp_eq_u32_e32 vcc_lo, 0, v23
	s_wait_dscnt 0x0
	s_barrier_signal -1
	v_add3_u32 v1, 0xa0, v1, v11
	s_barrier_wait -1
	v_cmpx_gt_u32_e32 64, v0
	s_cbranch_execz .LBB91_76
; %bb.66:
	s_and_saveexec_b32 s0, vcc_lo
	s_cbranch_execnz .LBB91_92
; %bb.67:
	s_or_b32 exec_lo, exec_lo, s0
	s_and_saveexec_b32 s0, vcc_lo
	s_cbranch_execnz .LBB91_93
.LBB91_68:
	s_or_b32 exec_lo, exec_lo, s0
	s_and_saveexec_b32 s0, vcc_lo
	s_cbranch_execnz .LBB91_94
.LBB91_69:
	s_or_b32 exec_lo, exec_lo, s0
	s_and_saveexec_b32 s0, vcc_lo
	s_cbranch_execnz .LBB91_95
.LBB91_70:
	s_or_b32 exec_lo, exec_lo, s0
	s_and_saveexec_b32 s0, vcc_lo
	s_cbranch_execnz .LBB91_96
.LBB91_71:
	s_or_b32 exec_lo, exec_lo, s0
	s_and_saveexec_b32 s0, vcc_lo
	s_cbranch_execnz .LBB91_97
.LBB91_72:
	s_or_b32 exec_lo, exec_lo, s0
	s_and_saveexec_b32 s0, vcc_lo
	s_cbranch_execnz .LBB91_98
.LBB91_73:
	s_or_b32 exec_lo, exec_lo, s0
	s_and_saveexec_b32 s0, vcc_lo
	s_cbranch_execz .LBB91_75
.LBB91_74:
	ds_load_b32 v11, v1 offset:224
	s_wait_dscnt 0x0
	v_add_f32_e32 v9, v9, v11
.LBB91_75:
	s_or_b32 exec_lo, exec_lo, s0
.LBB91_76:
	s_delay_alu instid0(SALU_CYCLE_1) | instskip(SKIP_4) | instid1(VALU_DEP_1)
	s_or_b32 exec_lo, exec_lo, s1
	v_and_b32_e32 v11, 0x3e3, v0
	s_mov_b32 s1, exec_lo
	s_barrier_signal -1
	s_barrier_wait -1
	v_cmpx_eq_u32_e32 32, v11
	s_cbranch_execz .LBB91_78
; %bb.77:
	ds_store_2addr_b32 v10, v6, v7 offset1:8
	ds_store_2addr_b32 v10, v4, v5 offset0:16 offset1:24
	ds_store_2addr_b32 v10, v2, v3 offset0:32 offset1:40
	;; [unrolled: 1-line block ×3, first 2 shown]
.LBB91_78:
	s_or_b32 exec_lo, exec_lo, s1
	s_delay_alu instid0(SALU_CYCLE_1)
	s_mov_b32 s1, exec_lo
	s_wait_dscnt 0x0
	s_barrier_signal -1
	s_barrier_wait -1
	v_cmpx_gt_u32_e32 32, v0
	s_cbranch_execz .LBB91_89
; %bb.79:
	s_and_saveexec_b32 s0, vcc_lo
	s_cbranch_execnz .LBB91_99
; %bb.80:
	s_or_b32 exec_lo, exec_lo, s0
	s_and_saveexec_b32 s0, vcc_lo
	s_cbranch_execnz .LBB91_100
.LBB91_81:
	s_or_b32 exec_lo, exec_lo, s0
	s_and_saveexec_b32 s0, vcc_lo
	s_cbranch_execnz .LBB91_101
.LBB91_82:
	s_or_b32 exec_lo, exec_lo, s0
	s_and_saveexec_b32 s0, vcc_lo
	s_cbranch_execnz .LBB91_102
.LBB91_83:
	s_or_b32 exec_lo, exec_lo, s0
	s_and_saveexec_b32 s0, vcc_lo
	s_cbranch_execnz .LBB91_103
.LBB91_84:
	s_or_b32 exec_lo, exec_lo, s0
	s_and_saveexec_b32 s0, vcc_lo
	s_cbranch_execnz .LBB91_104
.LBB91_85:
	s_or_b32 exec_lo, exec_lo, s0
	s_and_saveexec_b32 s0, vcc_lo
	s_cbranch_execnz .LBB91_105
.LBB91_86:
	s_or_b32 exec_lo, exec_lo, s0
	s_and_saveexec_b32 s0, vcc_lo
	s_cbranch_execz .LBB91_88
.LBB91_87:
	ds_load_b32 v1, v1 offset:224
	s_wait_dscnt 0x0
	v_add_f32_e32 v9, v9, v1
.LBB91_88:
	s_or_b32 exec_lo, exec_lo, s0
.LBB91_89:
	s_delay_alu instid0(SALU_CYCLE_1)
	s_or_b32 exec_lo, exec_lo, s1
	s_mov_b32 s1, 0
	s_barrier_signal -1
	s_barrier_wait -1
	s_mov_b32 s0, exec_lo
	v_cmpx_eq_u32_e32 0, v11
	s_cbranch_execz .LBB91_91
; %bb.90:
	s_mul_i32 s0, s28, s7
	s_mul_i32 s2, s7, s12
	;; [unrolled: 1-line block ×3, first 2 shown]
	s_lshr_b32 s6, ttmp7, 16
	s_lshl_b32 s4, s0, 6
	s_bfe_u32 s0, ttmp6, 0x40014
	s_ashr_i32 s5, s4, 31
	s_add_co_i32 s0, s0, 1
	s_ashr_i32 s3, s2, 31
	s_mul_i32 s0, s6, s0
	s_bfe_u32 s7, ttmp6, 0x40008
	s_lshl_b64 s[4:5], s[4:5], 1
	s_lshl_b64 s[2:3], s[2:3], 1
	s_add_co_i32 s7, s7, s0
	s_cmp_eq_u32 s26, 0
	s_wait_kmcnt 0x0
	s_add_nc_u64 s[4:5], s[10:11], s[4:5]
	s_cselect_b32 s0, s6, s7
	v_lshrrev_b32_e32 v0, 1, v0
	s_add_nc_u64 s[2:3], s[4:5], s[2:3]
	s_lshl_b32 s0, s0, 7
	;;#ASMSTART
	v_cvt_f16_f32 v1, v6;

	;;#ASMEND
	s_add_nc_u64 s[0:1], s[2:3], s[0:1]
	global_store_b16 v0, v1, s[0:1]
	s_wait_xcnt 0x0
	;;#ASMSTART
	v_cvt_f16_f32 v1, v7;

	;;#ASMEND
	global_store_b16 v0, v1, s[0:1] offset:16
	s_wait_xcnt 0x0
	;;#ASMSTART
	v_cvt_f16_f32 v1, v4;

	;;#ASMEND
	global_store_b16 v0, v1, s[0:1] offset:32
	;; [unrolled: 6-line block ×7, first 2 shown]
.LBB91_91:
	s_sendmsg sendmsg(MSG_DEALLOC_VGPRS)
	s_endpgm
.LBB91_92:
	ds_load_b32 v11, v1
	s_wait_dscnt 0x0
	v_add_f32_e32 v6, v6, v11
	s_or_b32 exec_lo, exec_lo, s0
	s_and_saveexec_b32 s0, vcc_lo
	s_cbranch_execz .LBB91_68
.LBB91_93:
	ds_load_b32 v11, v1 offset:32
	s_wait_dscnt 0x0
	v_add_f32_e32 v7, v7, v11
	s_or_b32 exec_lo, exec_lo, s0
	s_and_saveexec_b32 s0, vcc_lo
	s_cbranch_execz .LBB91_69
.LBB91_94:
	ds_load_b32 v11, v1 offset:64
	s_wait_dscnt 0x0
	v_add_f32_e32 v4, v4, v11
	s_or_b32 exec_lo, exec_lo, s0
	s_and_saveexec_b32 s0, vcc_lo
	s_cbranch_execz .LBB91_70
.LBB91_95:
	ds_load_b32 v11, v1 offset:96
	s_wait_dscnt 0x0
	v_add_f32_e32 v5, v5, v11
	s_or_b32 exec_lo, exec_lo, s0
	s_and_saveexec_b32 s0, vcc_lo
	s_cbranch_execz .LBB91_71
.LBB91_96:
	ds_load_b32 v11, v1 offset:128
	s_wait_dscnt 0x0
	v_add_f32_e32 v2, v2, v11
	s_or_b32 exec_lo, exec_lo, s0
	s_and_saveexec_b32 s0, vcc_lo
	s_cbranch_execz .LBB91_72
.LBB91_97:
	ds_load_b32 v11, v1 offset:160
	s_wait_dscnt 0x0
	v_add_f32_e32 v3, v3, v11
	s_or_b32 exec_lo, exec_lo, s0
	s_and_saveexec_b32 s0, vcc_lo
	s_cbranch_execz .LBB91_73
.LBB91_98:
	ds_load_b32 v11, v1 offset:192
	s_wait_dscnt 0x0
	v_add_f32_e32 v8, v8, v11
	s_or_b32 exec_lo, exec_lo, s0
	s_and_saveexec_b32 s0, vcc_lo
	s_cbranch_execnz .LBB91_74
	s_branch .LBB91_75
.LBB91_99:
	ds_load_b32 v10, v1
	s_wait_dscnt 0x0
	v_add_f32_e32 v6, v6, v10
	s_or_b32 exec_lo, exec_lo, s0
	s_and_saveexec_b32 s0, vcc_lo
	s_cbranch_execz .LBB91_81
.LBB91_100:
	ds_load_b32 v10, v1 offset:32
	s_wait_dscnt 0x0
	v_add_f32_e32 v7, v7, v10
	s_or_b32 exec_lo, exec_lo, s0
	s_and_saveexec_b32 s0, vcc_lo
	s_cbranch_execz .LBB91_82
.LBB91_101:
	ds_load_b32 v10, v1 offset:64
	s_wait_dscnt 0x0
	v_add_f32_e32 v4, v4, v10
	s_or_b32 exec_lo, exec_lo, s0
	s_and_saveexec_b32 s0, vcc_lo
	s_cbranch_execz .LBB91_83
.LBB91_102:
	ds_load_b32 v10, v1 offset:96
	s_wait_dscnt 0x0
	v_add_f32_e32 v5, v5, v10
	s_or_b32 exec_lo, exec_lo, s0
	s_and_saveexec_b32 s0, vcc_lo
	s_cbranch_execz .LBB91_84
.LBB91_103:
	ds_load_b32 v10, v1 offset:128
	s_wait_dscnt 0x0
	v_add_f32_e32 v2, v2, v10
	s_or_b32 exec_lo, exec_lo, s0
	s_and_saveexec_b32 s0, vcc_lo
	s_cbranch_execz .LBB91_85
.LBB91_104:
	ds_load_b32 v10, v1 offset:160
	s_wait_dscnt 0x0
	v_add_f32_e32 v3, v3, v10
	s_or_b32 exec_lo, exec_lo, s0
	s_and_saveexec_b32 s0, vcc_lo
	s_cbranch_execz .LBB91_86
.LBB91_105:
	ds_load_b32 v10, v1 offset:192
	s_wait_dscnt 0x0
	v_add_f32_e32 v8, v8, v10
	s_or_b32 exec_lo, exec_lo, s0
	s_and_saveexec_b32 s0, vcc_lo
	s_cbranch_execnz .LBB91_87
	s_branch .LBB91_88
	.section	.rodata,"a",@progbits
	.p2align	6, 0x0
	.amdhsa_kernel _ZN4vllm25paged_attention_v1_kernelIttLi64ELi32ELi128ELNS_18Fp8KVCacheDataTypeE0ELb1EEEvPT_PKS2_PKT0_S8_ifPKiSA_iPKfiiiSC_SC_iiiii
		.amdhsa_group_segment_fixed_size 160
		.amdhsa_private_segment_fixed_size 0
		.amdhsa_kernarg_size 384
		.amdhsa_user_sgpr_count 2
		.amdhsa_user_sgpr_dispatch_ptr 0
		.amdhsa_user_sgpr_queue_ptr 0
		.amdhsa_user_sgpr_kernarg_segment_ptr 1
		.amdhsa_user_sgpr_dispatch_id 0
		.amdhsa_user_sgpr_kernarg_preload_length 0
		.amdhsa_user_sgpr_kernarg_preload_offset 0
		.amdhsa_user_sgpr_private_segment_size 0
		.amdhsa_wavefront_size32 1
		.amdhsa_uses_dynamic_stack 0
		.amdhsa_enable_private_segment 0
		.amdhsa_system_sgpr_workgroup_id_x 1
		.amdhsa_system_sgpr_workgroup_id_y 1
		.amdhsa_system_sgpr_workgroup_id_z 1
		.amdhsa_system_sgpr_workgroup_info 0
		.amdhsa_system_vgpr_workitem_id 0
		.amdhsa_next_free_vgpr 106
		.amdhsa_next_free_sgpr 38
		.amdhsa_named_barrier_count 0
		.amdhsa_reserve_vcc 1
		.amdhsa_float_round_mode_32 0
		.amdhsa_float_round_mode_16_64 0
		.amdhsa_float_denorm_mode_32 3
		.amdhsa_float_denorm_mode_16_64 3
		.amdhsa_fp16_overflow 0
		.amdhsa_memory_ordered 1
		.amdhsa_forward_progress 1
		.amdhsa_inst_pref_size 69
		.amdhsa_round_robin_scheduling 0
		.amdhsa_exception_fp_ieee_invalid_op 0
		.amdhsa_exception_fp_denorm_src 0
		.amdhsa_exception_fp_ieee_div_zero 0
		.amdhsa_exception_fp_ieee_overflow 0
		.amdhsa_exception_fp_ieee_underflow 0
		.amdhsa_exception_fp_ieee_inexact 0
		.amdhsa_exception_int_div_zero 0
	.end_amdhsa_kernel
	.section	.text._ZN4vllm25paged_attention_v1_kernelIttLi64ELi32ELi128ELNS_18Fp8KVCacheDataTypeE0ELb1EEEvPT_PKS2_PKT0_S8_ifPKiSA_iPKfiiiSC_SC_iiiii,"axG",@progbits,_ZN4vllm25paged_attention_v1_kernelIttLi64ELi32ELi128ELNS_18Fp8KVCacheDataTypeE0ELb1EEEvPT_PKS2_PKT0_S8_ifPKiSA_iPKfiiiSC_SC_iiiii,comdat
.Lfunc_end91:
	.size	_ZN4vllm25paged_attention_v1_kernelIttLi64ELi32ELi128ELNS_18Fp8KVCacheDataTypeE0ELb1EEEvPT_PKS2_PKT0_S8_ifPKiSA_iPKfiiiSC_SC_iiiii, .Lfunc_end91-_ZN4vllm25paged_attention_v1_kernelIttLi64ELi32ELi128ELNS_18Fp8KVCacheDataTypeE0ELb1EEEvPT_PKS2_PKT0_S8_ifPKiSA_iPKfiiiSC_SC_iiiii
                                        ; -- End function
	.set _ZN4vllm25paged_attention_v1_kernelIttLi64ELi32ELi128ELNS_18Fp8KVCacheDataTypeE0ELb1EEEvPT_PKS2_PKT0_S8_ifPKiSA_iPKfiiiSC_SC_iiiii.num_vgpr, 106
	.set _ZN4vllm25paged_attention_v1_kernelIttLi64ELi32ELi128ELNS_18Fp8KVCacheDataTypeE0ELb1EEEvPT_PKS2_PKT0_S8_ifPKiSA_iPKfiiiSC_SC_iiiii.num_agpr, 0
	.set _ZN4vllm25paged_attention_v1_kernelIttLi64ELi32ELi128ELNS_18Fp8KVCacheDataTypeE0ELb1EEEvPT_PKS2_PKT0_S8_ifPKiSA_iPKfiiiSC_SC_iiiii.numbered_sgpr, 38
	.set _ZN4vllm25paged_attention_v1_kernelIttLi64ELi32ELi128ELNS_18Fp8KVCacheDataTypeE0ELb1EEEvPT_PKS2_PKT0_S8_ifPKiSA_iPKfiiiSC_SC_iiiii.num_named_barrier, 0
	.set _ZN4vllm25paged_attention_v1_kernelIttLi64ELi32ELi128ELNS_18Fp8KVCacheDataTypeE0ELb1EEEvPT_PKS2_PKT0_S8_ifPKiSA_iPKfiiiSC_SC_iiiii.private_seg_size, 0
	.set _ZN4vllm25paged_attention_v1_kernelIttLi64ELi32ELi128ELNS_18Fp8KVCacheDataTypeE0ELb1EEEvPT_PKS2_PKT0_S8_ifPKiSA_iPKfiiiSC_SC_iiiii.uses_vcc, 1
	.set _ZN4vllm25paged_attention_v1_kernelIttLi64ELi32ELi128ELNS_18Fp8KVCacheDataTypeE0ELb1EEEvPT_PKS2_PKT0_S8_ifPKiSA_iPKfiiiSC_SC_iiiii.uses_flat_scratch, 0
	.set _ZN4vllm25paged_attention_v1_kernelIttLi64ELi32ELi128ELNS_18Fp8KVCacheDataTypeE0ELb1EEEvPT_PKS2_PKT0_S8_ifPKiSA_iPKfiiiSC_SC_iiiii.has_dyn_sized_stack, 0
	.set _ZN4vllm25paged_attention_v1_kernelIttLi64ELi32ELi128ELNS_18Fp8KVCacheDataTypeE0ELb1EEEvPT_PKS2_PKT0_S8_ifPKiSA_iPKfiiiSC_SC_iiiii.has_recursion, 0
	.set _ZN4vllm25paged_attention_v1_kernelIttLi64ELi32ELi128ELNS_18Fp8KVCacheDataTypeE0ELb1EEEvPT_PKS2_PKT0_S8_ifPKiSA_iPKfiiiSC_SC_iiiii.has_indirect_call, 0
	.section	.AMDGPU.csdata,"",@progbits
; Kernel info:
; codeLenInByte = 8812
; TotalNumSgprs: 40
; NumVgprs: 106
; ScratchSize: 0
; MemoryBound: 0
; FloatMode: 240
; IeeeMode: 1
; LDSByteSize: 160 bytes/workgroup (compile time only)
; SGPRBlocks: 0
; VGPRBlocks: 6
; NumSGPRsForWavesPerEU: 40
; NumVGPRsForWavesPerEU: 106
; NamedBarCnt: 0
; Occupancy: 9
; WaveLimiterHint : 1
; COMPUTE_PGM_RSRC2:SCRATCH_EN: 0
; COMPUTE_PGM_RSRC2:USER_SGPR: 2
; COMPUTE_PGM_RSRC2:TRAP_HANDLER: 0
; COMPUTE_PGM_RSRC2:TGID_X_EN: 1
; COMPUTE_PGM_RSRC2:TGID_Y_EN: 1
; COMPUTE_PGM_RSRC2:TGID_Z_EN: 1
; COMPUTE_PGM_RSRC2:TIDIG_COMP_CNT: 0
	.section	.text._ZN4vllm25paged_attention_v1_kernelIttLi80ELi32ELi128ELNS_18Fp8KVCacheDataTypeE0ELb1EEEvPT_PKS2_PKT0_S8_ifPKiSA_iPKfiiiSC_SC_iiiii,"axG",@progbits,_ZN4vllm25paged_attention_v1_kernelIttLi80ELi32ELi128ELNS_18Fp8KVCacheDataTypeE0ELb1EEEvPT_PKS2_PKT0_S8_ifPKiSA_iPKfiiiSC_SC_iiiii,comdat
	.protected	_ZN4vllm25paged_attention_v1_kernelIttLi80ELi32ELi128ELNS_18Fp8KVCacheDataTypeE0ELb1EEEvPT_PKS2_PKT0_S8_ifPKiSA_iPKfiiiSC_SC_iiiii ; -- Begin function _ZN4vllm25paged_attention_v1_kernelIttLi80ELi32ELi128ELNS_18Fp8KVCacheDataTypeE0ELb1EEEvPT_PKS2_PKT0_S8_ifPKiSA_iPKfiiiSC_SC_iiiii
	.globl	_ZN4vllm25paged_attention_v1_kernelIttLi80ELi32ELi128ELNS_18Fp8KVCacheDataTypeE0ELb1EEEvPT_PKS2_PKT0_S8_ifPKiSA_iPKfiiiSC_SC_iiiii
	.p2align	8
	.type	_ZN4vllm25paged_attention_v1_kernelIttLi80ELi32ELi128ELNS_18Fp8KVCacheDataTypeE0ELb1EEEvPT_PKS2_PKT0_S8_ifPKiSA_iPKfiiiSC_SC_iiiii,@function
_ZN4vllm25paged_attention_v1_kernelIttLi80ELi32ELi128ELNS_18Fp8KVCacheDataTypeE0ELb1EEEvPT_PKS2_PKT0_S8_ifPKiSA_iPKfiiiSC_SC_iiiii: ; @_ZN4vllm25paged_attention_v1_kernelIttLi80ELi32ELi128ELNS_18Fp8KVCacheDataTypeE0ELb1EEEvPT_PKS2_PKT0_S8_ifPKiSA_iPKfiiiSC_SC_iiiii
; %bb.0:
	s_load_b64 s[22:23], s[0:1], 0x20
	s_bfe_u32 s3, ttmp6, 0x4000c
	s_bfe_u32 s4, ttmp6, 0x40010
	s_and_b32 s6, ttmp7, 0xffff
	s_add_co_i32 s3, s3, 1
	s_add_co_i32 s4, s4, 1
	s_and_b32 s2, ttmp6, 15
	s_bfe_u32 s5, ttmp6, 0x40004
	s_mul_i32 s3, ttmp9, s3
	s_mul_i32 s4, s6, s4
	s_getreg_b32 s26, hwreg(HW_REG_IB_STS2, 6, 4)
	s_add_co_i32 s2, s2, s3
	s_add_co_i32 s3, s5, s4
	s_cmp_eq_u32 s26, 0
	s_clause 0x1
	s_load_b32 s27, s[0:1], 0x80
	s_load_b64 s[4:5], s[0:1], 0x30
	s_cselect_b32 s28, s6, s3
	s_cselect_b32 s2, ttmp9, s2
	s_mov_b32 s15, 0
	s_delay_alu instid0(SALU_CYCLE_1) | instskip(SKIP_2) | instid1(SALU_CYCLE_1)
	s_mov_b32 s34, s15
	s_wait_kmcnt 0x0
	s_abs_i32 s3, s22
	s_cvt_f32_u32 s6, s3
	s_sub_co_i32 s7, 0, s3
	s_delay_alu instid0(SALU_CYCLE_2) | instskip(SKIP_2) | instid1(TRANS32_DEP_1)
	v_rcp_iflag_f32_e32 v1, s6
	s_abs_i32 s8, s27
	v_nop
	v_readfirstlane_b32 s6, v1
	s_mul_f32 s6, s6, 0x4f7ffffe
	s_delay_alu instid0(SALU_CYCLE_3) | instskip(NEXT) | instid1(SALU_CYCLE_3)
	s_cvt_u32_f32 s6, s6
	s_mul_i32 s7, s7, s6
	s_delay_alu instid0(SALU_CYCLE_1) | instskip(NEXT) | instid1(SALU_CYCLE_1)
	s_mul_hi_u32 s7, s6, s7
	s_add_co_i32 s6, s6, s7
	s_xor_b32 s7, s27, s22
	s_mul_hi_u32 s6, s8, s6
	s_ashr_i32 s7, s7, 31
	s_mul_i32 s9, s6, s3
	s_delay_alu instid0(SALU_CYCLE_1)
	s_sub_co_i32 s8, s8, s9
	s_add_co_i32 s9, s6, 1
	s_sub_co_i32 s10, s8, s3
	s_cmp_ge_u32 s8, s3
	s_cselect_b32 s6, s9, s6
	s_cselect_b32 s8, s10, s8
	s_add_co_i32 s9, s6, 1
	s_cmp_ge_u32 s8, s3
	s_cselect_b32 s3, s9, s6
	s_load_b64 s[8:9], s[0:1], 0x40
	s_xor_b32 s3, s3, s7
	s_abs_i32 s14, s2
	s_sub_co_i32 s12, s3, s7
	s_mov_b32 s7, s15
	s_abs_i32 s11, s12
	s_delay_alu instid0(SALU_CYCLE_1) | instskip(SKIP_1) | instid1(SALU_CYCLE_2)
	s_cvt_f32_u32 s3, s11
	s_sub_co_i32 s6, 0, s11
	v_rcp_iflag_f32_e32 v1, s3
	v_nop
	s_delay_alu instid0(TRANS32_DEP_1) | instskip(SKIP_1) | instid1(SALU_CYCLE_3)
	v_readfirstlane_b32 s3, v1
	s_mul_f32 s3, s3, 0x4f7ffffe
	s_cvt_u32_f32 s3, s3
	s_delay_alu instid0(SALU_CYCLE_3) | instskip(NEXT) | instid1(SALU_CYCLE_1)
	s_mul_i32 s6, s6, s3
	s_mul_hi_u32 s6, s3, s6
	s_delay_alu instid0(SALU_CYCLE_1)
	s_add_co_i32 s6, s3, s6
	s_wait_kmcnt 0x0
	s_cmp_eq_u64 s[8:9], 0
	s_cbranch_scc1 .LBB92_2
; %bb.1:
	s_ashr_i32 s3, s2, 31
	s_delay_alu instid0(SALU_CYCLE_1) | instskip(NEXT) | instid1(SALU_CYCLE_1)
	s_lshl_b64 s[16:17], s[2:3], 2
	s_add_nc_u64 s[8:9], s[8:9], s[16:17]
	s_load_b32 s34, s[8:9], 0x0
.LBB92_2:
	s_load_b32 s29, s[4:5], s28 offset:0x0 scale_offset
	s_wait_xcnt 0x0
	s_load_b96 s[8:10], s[0:1], 0x48
	v_lshlrev_b32_e32 v1, 4, v0
	s_ashr_i32 s3, s2, 31
	s_ashr_i32 s18, s12, 31
	s_mul_u64 s[16:17], s[14:15], s[6:7]
	s_mul_i32 s12, s2, 0x50
	s_mov_b32 s4, exec_lo
	v_cmpx_gt_u32_e32 10, v0
	s_cbranch_execz .LBB92_4
; %bb.3:
	s_load_b64 s[6:7], s[0:1], 0x8
	s_wait_kmcnt 0x0
	s_mul_i32 s20, s8, s28
	s_ashr_i32 s13, s12, 31
	s_ashr_i32 s21, s20, 31
	s_delay_alu instid0(SALU_CYCLE_1) | instskip(NEXT) | instid1(SALU_CYCLE_1)
	s_lshl_b64 s[20:21], s[20:21], 1
	s_add_nc_u64 s[6:7], s[6:7], s[20:21]
	s_lshl_b64 s[20:21], s[12:13], 1
	s_delay_alu instid0(SALU_CYCLE_1)
	s_add_nc_u64 s[6:7], s[6:7], s[20:21]
	global_load_b128 v[2:5], v0, s[6:7] scale_offset
	s_wait_loadcnt 0x0
	ds_store_b128 v1, v[2:5]
.LBB92_4:
	s_or_b32 exec_lo, exec_lo, s4
	s_load_b128 s[4:7], s[0:1], 0x68
	s_wait_kmcnt 0x0
	s_mul_i32 s8, s17, s11
	s_xor_b32 s3, s3, s18
	s_sub_co_i32 s8, s14, s8
	s_add_co_i32 s13, s17, 1
	s_sub_co_i32 s14, s8, s11
	s_cmp_ge_u32 s8, s11
	s_mov_b32 s19, -1
	s_cselect_b32 s13, s13, s17
	s_cselect_b32 s8, s14, s8
	s_add_co_i32 s14, s13, 1
	s_cmp_ge_u32 s8, s11
	s_load_b32 s11, s[0:1], 0x78
	s_cselect_b32 s13, s14, s13
	s_add_co_i32 s18, s29, -1
	s_xor_b32 s13, s13, s3
	s_mov_b32 s17, 0
	s_sub_co_i32 s3, s13, s3
	s_abs_i32 s16, s18
	s_mov_b32 s15, s17
	s_abs_i32 s8, s7
	s_wait_dscnt 0x0
	s_cvt_f32_u32 s14, s8
	s_barrier_signal -1
	s_barrier_wait -1
	s_delay_alu instid0(SALU_CYCLE_1) | instskip(SKIP_1) | instid1(TRANS32_DEP_1)
	v_rcp_iflag_f32_e32 v2, s14
	v_nop
	v_readfirstlane_b32 s14, v2
	s_mul_f32 s13, s14, 0x4f7ffffe
	s_sub_co_i32 s14, 0, s8
	s_delay_alu instid0(SALU_CYCLE_2) | instskip(NEXT) | instid1(SALU_CYCLE_3)
	s_cvt_u32_f32 s13, s13
	s_mul_i32 s14, s14, s13
	s_delay_alu instid0(SALU_CYCLE_1) | instskip(NEXT) | instid1(SALU_CYCLE_1)
	s_mul_hi_u32 s14, s13, s14
	s_add_co_i32 s14, s13, s14
	s_wait_kmcnt 0x0
	s_cmp_lt_i32 s11, 0
                                        ; implicit-def: $sgpr13
	s_cbranch_scc0 .LBB92_6
; %bb.5:
	s_mul_i32 s13, s4, s22
	s_mov_b32 s19, s17
	s_add_co_i32 s13, s3, s13
	s_delay_alu instid0(SALU_CYCLE_1) | instskip(NEXT) | instid1(SALU_CYCLE_1)
	s_mul_i32 s13, s13, s11
	s_sub_co_i32 s13, 1, s13
.LBB92_6:
	s_ashr_i32 s18, s18, 31
	s_ashr_i32 s30, s7, 31
	s_and_not1_b32 vcc_lo, exec_lo, s19
	s_mul_u64 s[20:21], s[16:17], s[14:15]
	s_cbranch_vccnz .LBB92_8
; %bb.7:
	s_mul_i32 s4, s27, s4
	s_delay_alu instid0(SALU_CYCLE_1) | instskip(NEXT) | instid1(SALU_CYCLE_1)
	s_add_co_i32 s2, s4, s2
	s_mul_i32 s2, s2, s11
	s_delay_alu instid0(SALU_CYCLE_1)
	s_add_co_i32 s13, s2, 1
.LBB92_8:
	s_load_b32 s2, s[0:1], 0x38
	s_mul_i32 s7, s21, s8
	s_xor_b32 s4, s18, s30
	s_sub_co_i32 s20, s16, s7
	s_add_co_i32 s11, s21, 1
	s_clause 0x1
	s_load_b64 s[16:17], s[0:1], 0x28
	s_load_b32 s7, s[0:1], 0x88
	v_dual_lshrrev_b32 v52, 5, v0 :: v_dual_bitop2_b32 v53, 31, v0 bitop3:0x40
	v_dual_mov_b32 v55, 0xff7fffff :: v_dual_lshrrev_b32 v54, 3, v0
	s_delay_alu instid0(VALU_DEP_2)
	v_dual_lshlrev_b32 v38, 5, v52 :: v_dual_lshlrev_b32 v39, 2, v53
	s_wait_kmcnt 0x0
	s_mul_i32 s18, s2, s28
	s_sub_co_i32 s2, s20, s8
	s_ashr_i32 s19, s18, 31
	s_cmp_ge_u32 s20, s8
	s_cselect_b32 s11, s11, s21
	s_cselect_b32 s2, s2, s20
	s_add_co_i32 s20, s11, 1
	s_cmp_ge_u32 s2, s8
	s_cselect_b32 s2, s20, s11
	s_add_co_i32 s11, s29, 31
	s_delay_alu instid0(SALU_CYCLE_1) | instskip(NEXT) | instid1(SALU_CYCLE_1)
	s_ashr_i32 s20, s11, 31
	s_lshr_b32 s20, s20, 27
	s_delay_alu instid0(SALU_CYCLE_1)
	s_add_co_i32 s11, s11, s20
	s_mul_i32 s20, s3, s10
	s_ashr_i32 s31, s11, 5
	s_xor_b32 s11, s2, s4
	v_cmp_gt_i32_e64 s2, s31, v52
	s_sub_co_i32 s33, s11, s4
	s_and_saveexec_b32 s22, s2
	s_cbranch_execz .LBB92_16
; %bb.9:
	s_ashr_i32 s21, s20, 31
	s_sub_co_i32 s35, s33, s5
	s_ashr_i32 s11, s9, 31
	s_lshl_b64 s[24:25], s[20:21], 1
	s_cmp_neq_f32 s34, 0
	s_load_b64 s[36:37], s[0:1], 0x10
	v_dual_mov_b32 v41, 0 :: v_dual_lshlrev_b32 v40, 4, v53
	s_cselect_b32 vcc_lo, -1, 0
	s_abs_i32 s21, s6
	v_subrev_nc_u32_e32 v3, s29, v53
	s_cvt_f32_u32 s3, s21
	v_lshl_or_b32 v4, v52, 7, v39
	s_sub_co_i32 s4, 0, s21
	v_dual_mov_b32 v56, 0xff7fffff :: v_dual_mov_b32 v55, 0xff7fffff
	v_rcp_iflag_f32_e32 v2, s3
	v_dual_mov_b32 v57, v52 :: v_dual_add_nc_u32 v58, 1, v3
	v_add_nc_u32_e32 v59, 0xc0, v4
	s_mov_b32 s10, s9
	s_delay_alu instid0(TRANS32_DEP_1) | instskip(SKIP_2) | instid1(SALU_CYCLE_1)
	v_readfirstlane_b32 s3, v2
	s_wait_kmcnt 0x0
	s_add_nc_u64 s[24:25], s[36:37], s[24:25]
	v_add_nc_u64_e32 v[42:43], s[24:25], v[40:41]
	s_mul_f32 s3, s3, 0x4f7ffffe
	v_and_b32_e32 v40, 0x7c, v54
	s_lshl_b64 s[24:25], s[18:19], 2
	s_delay_alu instid0(SALU_CYCLE_1)
	s_cvt_u32_f32 s3, s3
	s_add_nc_u64 s[24:25], s[16:17], s[24:25]
	s_delay_alu instid0(VALU_DEP_1) | instid1(SALU_CYCLE_1)
	v_add_nc_u64_e32 v[44:45], s[24:25], v[40:41]
	s_delay_alu instid0(SALU_CYCLE_1)
	s_mul_i32 s4, s4, s3
	v_lshlrev_b32_e32 v40, 5, v52
	s_mul_hi_u32 s4, s3, s4
	s_mov_b32 s25, 0
	s_add_co_i32 s24, s3, s4
	s_mov_b32 s36, s25
	s_branch .LBB92_11
.LBB92_10:                              ;   in Loop: Header=BB92_11 Depth=1
	s_or_b32 exec_lo, exec_lo, s4
	v_add_nc_u32_e32 v57, 4, v57
	v_add_nc_u64_e32 v[44:45], 16, v[44:45]
	v_add_nc_u32_e32 v40, 0x80, v40
	v_add_nc_u32_e32 v59, 0x200, v59
	s_delay_alu instid0(VALU_DEP_4) | instskip(SKIP_1) | instid1(SALU_CYCLE_1)
	v_cmp_le_i32_e64 s3, s31, v57
	s_or_b32 s36, s3, s36
	s_and_not1_b32 exec_lo, exec_lo, s36
	s_cbranch_execz .LBB92_15
.LBB92_11:                              ; =>This Inner Loop Header: Depth=1
	v_mul_u64_e32 v[2:3], s[14:15], v[40:41]
	s_delay_alu instid0(VALU_DEP_1) | instskip(NEXT) | instid1(VALU_DEP_1)
	v_mul_lo_u32 v2, v3, s8
	v_dual_add_nc_u32 v4, 1, v3 :: v_dual_sub_nc_u32 v2, v40, v2
	s_delay_alu instid0(VALU_DEP_1) | instskip(SKIP_1) | instid1(VALU_DEP_1)
	v_subrev_nc_u32_e32 v5, s8, v2
	v_cmp_le_u32_e64 s3, s8, v2
	v_dual_cndmask_b32 v3, v3, v4, s3 :: v_dual_cndmask_b32 v2, v2, v5, s3
	s_delay_alu instid0(VALU_DEP_1) | instskip(NEXT) | instid1(VALU_DEP_2)
	v_add_nc_u32_e32 v4, 1, v3
	v_cmp_le_u32_e64 s3, s8, v2
	s_delay_alu instid0(VALU_DEP_1) | instskip(NEXT) | instid1(VALU_DEP_1)
	v_dual_cndmask_b32 v2, v3, v4, s3 :: v_dual_mov_b32 v3, v41
	v_xor_b32_e32 v2, s30, v2
	s_delay_alu instid0(VALU_DEP_1) | instskip(NEXT) | instid1(VALU_DEP_1)
	v_subrev_nc_u32_e32 v6, s30, v2
	v_add_nc_u32_e32 v7, s13, v6
	v_cmp_ge_i32_e64 s4, s35, v6
	s_delay_alu instid0(VALU_DEP_2) | instskip(NEXT) | instid1(VALU_DEP_1)
	v_sub_nc_u32_e32 v2, 0, v7
	v_max_i32_e32 v2, v7, v2
	s_delay_alu instid0(VALU_DEP_1) | instskip(SKIP_1) | instid1(VALU_DEP_2)
	v_mul_u64_e32 v[4:5], s[24:25], v[2:3]
	v_ashrrev_i32_e32 v4, 31, v7
	v_mul_lo_u32 v3, v5, s21
	s_delay_alu instid0(VALU_DEP_1) | instskip(NEXT) | instid1(VALU_DEP_1)
	v_sub_nc_u32_e32 v2, v2, v3
	v_subrev_nc_u32_e32 v3, s21, v2
	v_cmp_le_u32_e64 s3, s21, v2
	s_delay_alu instid0(VALU_DEP_1) | instskip(NEXT) | instid1(VALU_DEP_1)
	v_cndmask_b32_e64 v2, v2, v3, s3
	v_subrev_nc_u32_e32 v3, s21, v2
	v_cmp_le_u32_e64 s3, s21, v2
	s_delay_alu instid0(VALU_DEP_1) | instskip(NEXT) | instid1(VALU_DEP_1)
	v_cndmask_b32_e64 v2, v2, v3, s3
	v_xor_b32_e32 v2, v2, v4
	s_delay_alu instid0(VALU_DEP_1) | instskip(NEXT) | instid1(VALU_DEP_1)
	v_sub_nc_u32_e32 v2, v2, v4
	v_cmp_ne_u32_e64 s3, 0, v2
	s_and_b32 s3, s3, s4
	s_delay_alu instid0(SALU_CYCLE_1) | instskip(NEXT) | instid1(SALU_CYCLE_1)
	s_and_saveexec_b32 s4, s3
	s_xor_b32 s3, exec_lo, s4
; %bb.12:                               ;   in Loop: Header=BB92_11 Depth=1
	ds_store_b32 v59, v56
; %bb.13:                               ;   in Loop: Header=BB92_11 Depth=1
	s_and_not1_saveexec_b32 s4, s3
	s_cbranch_execz .LBB92_10
; %bb.14:                               ;   in Loop: Header=BB92_11 Depth=1
	global_load_b32 v2, v[44:45], off
	s_wait_loadcnt 0x0
	v_ashrrev_i32_e32 v3, 31, v2
	s_delay_alu instid0(VALU_DEP_1) | instskip(NEXT) | instid1(VALU_DEP_1)
	v_mul_u64_e32 v[2:3], s[10:11], v[2:3]
	v_lshl_add_u64 v[46:47], v[2:3], 1, v[42:43]
	s_clause 0x8
	global_load_b128 v[70:73], v[46:47], off
	global_load_b128 v[34:37], v[46:47], off offset:512
	global_load_b128 v[30:33], v[46:47], off offset:1024
	;; [unrolled: 1-line block ×8, first 2 shown]
	ds_load_b128 v[2:5], v41
	s_wait_dscnt 0x0
	v_lshrrev_b32_e32 v62, 16, v2
	v_and_b32_e32 v63, 0xffff, v2
	v_dual_lshrrev_b32 v49, 16, v3 :: v_dual_lshrrev_b32 v48, 16, v4
	v_and_b32_e32 v51, 0xffff, v3
	v_and_b32_e32 v50, 0xffff, v4
	v_lshrrev_b32_e32 v60, 16, v5
	v_and_b32_e32 v61, 0xffff, v5
	global_load_b128 v[2:5], v[46:47], off offset:4608
	s_wait_xcnt 0x0
	;;#ASMSTART
	v_cvt_f32_f16 v46, v63;
	;;#ASMEND
	;;#ASMSTART
	v_cvt_f32_f16 v47, v62;
	;;#ASMEND
	s_wait_loadcnt 0x9
	v_and_b32_e32 v69, 0xffff, v70
	v_and_b32_e32 v68, 0xffff, v71
	v_dual_lshrrev_b32 v67, 16, v70 :: v_dual_lshrrev_b32 v65, 16, v71
	v_lshrrev_b32_e32 v63, 16, v72
	v_and_b32_e32 v66, 0xffff, v72
	s_wait_loadcnt 0x8
	v_dual_lshrrev_b32 v62, 16, v73 :: v_dual_lshrrev_b32 v71, 16, v34
	v_and_b32_e32 v64, 0xffff, v73
	v_and_b32_e32 v70, 0xffff, v34
	;; [unrolled: 1-line block ×3, first 2 shown]
	v_dual_lshrrev_b32 v77, 16, v35 :: v_dual_lshrrev_b32 v83, 16, v36
	v_and_b32_e32 v82, 0xffff, v36
	v_and_b32_e32 v74, 0xffff, v37
	s_wait_loadcnt 0x7
	v_dual_lshrrev_b32 v75, 16, v37 :: v_dual_lshrrev_b32 v85, 16, v30
	v_and_b32_e32 v84, 0xffff, v30
	v_and_b32_e32 v78, 0xffff, v31
	v_dual_lshrrev_b32 v79, 16, v31 :: v_dual_lshrrev_b32 v81, 16, v32
	v_and_b32_e32 v80, 0xffff, v32
	v_and_b32_e32 v72, 0xffff, v33
	v_lshrrev_b32_e32 v73, 16, v33
	;;#ASMSTART
	v_cvt_f32_f16 v86, v69;
	;;#ASMEND
	;;#ASMSTART
	v_cvt_f32_f16 v87, v67;
	;;#ASMEND
	;;#ASMSTART
	v_cvt_f32_f16 v89, v51;
	;;#ASMEND
	;;#ASMSTART
	v_cvt_f32_f16 v88, v49;
	;;#ASMEND
	;;#ASMSTART
	v_cvt_f32_f16 v69, v68;
	;;#ASMEND
	;;#ASMSTART
	v_cvt_f32_f16 v68, v65;
	;;#ASMEND
	;;#ASMSTART
	v_cvt_f32_f16 v49, v50;
	;;#ASMEND
	;;#ASMSTART
	v_cvt_f32_f16 v48, v48;
	;;#ASMEND
	;;#ASMSTART
	v_cvt_f32_f16 v51, v66;
	;;#ASMEND
	;;#ASMSTART
	v_cvt_f32_f16 v50, v63;
	;;#ASMEND
	;;#ASMSTART
	v_cvt_f32_f16 v35, v61;
	;;#ASMEND
	;;#ASMSTART
	v_cvt_f32_f16 v34, v60;
	;;#ASMEND
	;;#ASMSTART
	v_cvt_f32_f16 v37, v64;
	;;#ASMEND
	;;#ASMSTART
	v_cvt_f32_f16 v36, v62;
	;;#ASMEND
	ds_load_b128 v[30:33], v41 offset:16
	s_wait_loadcnt 0x5
	v_lshrrev_b32_e32 v65, 16, v22
	s_wait_loadcnt 0x1
	v_and_b32_e32 v90, 0xffff, v7
	v_and_b32_e32 v92, 0xffff, v8
	v_lshrrev_b32_e32 v93, 16, v9
	v_and_b32_e32 v94, 0xffff, v9
	v_and_b32_e32 v64, 0xffff, v28
	v_lshrrev_b32_e32 v91, 16, v8
	s_wait_dscnt 0x0
	v_and_b32_e32 v60, 0xffff, v30
	v_lshrrev_b32_e32 v30, 16, v30
	;;#ASMSTART
	v_cvt_f32_f16 v60, v60;
	;;#ASMEND
	;;#ASMSTART
	v_cvt_f32_f16 v61, v30;
	;;#ASMEND
	;; [unrolled: 3-line block ×4, first 2 shown]
	v_pk_mul_f32 v[62:63], v[60:61], v[62:63]
	v_and_b32_e32 v30, 0xffff, v26
	v_lshrrev_b32_e32 v60, 16, v26
	v_and_b32_e32 v26, 0xffff, v31
	v_and_b32_e32 v61, 0xffff, v27
	v_pk_fma_f32 v[46:47], v[46:47], v[86:87], v[62:63]
	v_lshrrev_b32_e32 v62, 16, v27
	v_lshrrev_b32_e32 v31, 16, v31
	;;#ASMSTART
	v_cvt_f32_f16 v27, v26;
	;;#ASMEND
	;;#ASMSTART
	v_cvt_f32_f16 v26, v31;
	;;#ASMEND
	;;#ASMSTART
	v_cvt_f32_f16 v67, v76;
	;;#ASMEND
	;;#ASMSTART
	v_cvt_f32_f16 v66, v77;
	;;#ASMEND
	v_pk_mul_f32 v[26:27], v[26:27], v[66:67]
	v_and_b32_e32 v67, 0xffff, v22
	v_lshrrev_b32_e32 v31, 16, v23
	v_and_b32_e32 v66, 0xffff, v24
	v_lshrrev_b32_e32 v22, 16, v25
	v_pk_fma_f32 v[26:27], v[88:89], v[68:69], v[26:27]
	v_and_b32_e32 v68, 0xffff, v23
	v_lshrrev_b32_e32 v23, 16, v24
	v_and_b32_e32 v24, 0xffff, v25
	v_and_b32_e32 v25, 0xffff, v32
	v_lshrrev_b32_e32 v32, 16, v32
	;;#ASMSTART
	v_cvt_f32_f16 v71, v25;
	;;#ASMEND
	;;#ASMSTART
	v_cvt_f32_f16 v70, v32;
	;;#ASMEND
	;; [unrolled: 3-line block ×4, first 2 shown]
	v_pk_mul_f32 v[70:71], v[70:71], v[76:77]
	v_dual_lshrrev_b32 v32, 16, v18 :: v_dual_lshrrev_b32 v25, 16, v19
	v_and_b32_e32 v69, 0xffff, v18
	v_lshrrev_b32_e32 v18, 16, v21
	s_delay_alu instid0(VALU_DEP_4)
	v_pk_fma_f32 v[50:51], v[48:49], v[50:51], v[70:71]
	v_and_b32_e32 v49, 0xffff, v19
	v_lshrrev_b32_e32 v19, 16, v20
	v_and_b32_e32 v48, 0xffff, v20
	v_and_b32_e32 v20, 0xffff, v21
	v_lshrrev_b32_e32 v21, 16, v14
	v_and_b32_e32 v70, 0xffff, v33
	v_lshrrev_b32_e32 v33, 16, v33
	v_and_b32_e32 v76, 0xffff, v14
	v_dual_lshrrev_b32 v77, 16, v15 :: v_dual_lshrrev_b32 v83, 16, v16
	v_and_b32_e32 v82, 0xffff, v15
	;;#ASMSTART
	v_cvt_f32_f16 v15, v70;
	;;#ASMEND
	;;#ASMSTART
	v_cvt_f32_f16 v14, v33;
	;;#ASMEND
	v_and_b32_e32 v86, 0xffff, v16
	v_lshrrev_b32_e32 v87, 16, v17
	v_and_b32_e32 v88, 0xffff, v17
	;;#ASMSTART
	v_cvt_f32_f16 v17, v74;
	;;#ASMEND
	;;#ASMSTART
	v_cvt_f32_f16 v16, v75;
	;;#ASMEND
	v_pk_mul_f32 v[14:15], v[14:15], v[16:17]
	v_lshrrev_b32_e32 v74, 16, v11
	v_and_b32_e32 v75, 0xffff, v11
	v_dual_lshrrev_b32 v89, 16, v7 :: v_dual_lshrrev_b32 v63, 16, v28
	v_lshrrev_b32_e32 v28, 16, v29
	v_pk_fma_f32 v[16:17], v[34:35], v[36:37], v[14:15]
	ds_load_b128 v[34:37], v41 offset:32
	v_and_b32_e32 v29, 0xffff, v29
	s_wait_dscnt 0x0
	v_and_b32_e32 v14, 0xffff, v34
	v_lshrrev_b32_e32 v15, 16, v34
	;;#ASMSTART
	v_cvt_f32_f16 v14, v14;
	;;#ASMEND
	;;#ASMSTART
	v_cvt_f32_f16 v15, v15;
	;;#ASMEND
	;; [unrolled: 3-line block ×4, first 2 shown]
	v_lshrrev_b32_e32 v34, 16, v35
	v_pk_fma_f32 v[14:15], v[14:15], v[70:71], v[46:47]
	v_and_b32_e32 v33, 0xffff, v35
	v_lshrrev_b32_e32 v70, 16, v10
	;;#ASMSTART
	v_cvt_f32_f16 v35, v33;
	;;#ASMEND
	;;#ASMSTART
	v_cvt_f32_f16 v34, v34;
	;;#ASMEND
	;; [unrolled: 3-line block ×4, first 2 shown]
	v_and_b32_e32 v71, 0xffff, v10
	v_lshrrev_b32_e32 v78, 16, v12
	v_and_b32_e32 v79, 0xffff, v12
	v_dual_lshrrev_b32 v84, 16, v13 :: v_dual_lshrrev_b32 v12, 16, v36
	v_and_b32_e32 v10, 0xffff, v36
	v_and_b32_e32 v85, 0xffff, v13
	;;#ASMSTART
	v_cvt_f32_f16 v11, v10;
	;;#ASMEND
	;;#ASMSTART
	v_cvt_f32_f16 v10, v12;
	;;#ASMEND
	;; [unrolled: 3-line block ×4, first 2 shown]
	v_lshrrev_b32_e32 v80, 16, v6
	v_and_b32_e32 v81, 0xffff, v6
	v_and_b32_e32 v6, 0xffff, v37
	v_pk_fma_f32 v[10:11], v[10:11], v[12:13], v[50:51]
	v_lshrrev_b32_e32 v12, 16, v37
	;;#ASMSTART
	v_cvt_f32_f16 v7, v6;
	;;#ASMEND
	;;#ASMSTART
	v_cvt_f32_f16 v6, v12;
	;;#ASMEND
	;; [unrolled: 3-line block ×4, first 2 shown]
	v_pk_fma_f32 v[12:13], v[6:7], v[8:9], v[16:17]
	ds_load_b128 v[6:9], v41 offset:48
	v_pk_fma_f32 v[26:27], v[34:35], v[46:47], v[26:27]
	s_wait_dscnt 0x0
	v_and_b32_e32 v16, 0xffff, v6
	v_lshrrev_b32_e32 v6, 16, v6
	;;#ASMSTART
	v_cvt_f32_f16 v16, v16;
	;;#ASMEND
	;;#ASMSTART
	v_cvt_f32_f16 v17, v6;
	;;#ASMEND
	v_and_b32_e32 v6, 0xffff, v7
	;;#ASMSTART
	v_cvt_f32_f16 v34, v30;
	;;#ASMEND
	;;#ASMSTART
	v_cvt_f32_f16 v35, v60;
	;;#ASMEND
	v_pk_fma_f32 v[14:15], v[16:17], v[34:35], v[14:15]
	v_dual_lshrrev_b32 v16, 16, v7 :: v_dual_lshrrev_b32 v30, 16, v8
	v_and_b32_e32 v17, 0xffff, v8
	v_lshrrev_b32_e32 v33, 16, v9
	v_and_b32_e32 v36, 0xffff, v9
	;;#ASMSTART
	v_cvt_f32_f16 v7, v6;
	;;#ASMEND
	;;#ASMSTART
	v_cvt_f32_f16 v6, v16;
	;;#ASMEND
	;; [unrolled: 3-line block ×12, first 2 shown]
	v_pk_fma_f32 v[26:27], v[6:7], v[8:9], v[26:27]
	ds_load_b128 v[6:9], v41 offset:64
	v_pk_fma_f32 v[10:11], v[16:17], v[34:35], v[10:11]
	v_pk_fma_f32 v[12:13], v[36:37], v[28:29], v[12:13]
	s_wait_dscnt 0x0
	v_and_b32_e32 v16, 0xffff, v6
	v_lshrrev_b32_e32 v6, 16, v6
	v_and_b32_e32 v30, 0xffff, v7
	v_lshrrev_b32_e32 v7, 16, v7
	v_and_b32_e32 v33, 0xffff, v8
	v_dual_lshrrev_b32 v8, 16, v8 :: v_dual_lshrrev_b32 v50, 16, v9
	v_and_b32_e32 v9, 0xffff, v9
	;;#ASMSTART
	v_cvt_f32_f16 v16, v16;
	;;#ASMEND
	;;#ASMSTART
	v_cvt_f32_f16 v17, v6;
	;;#ASMEND
	;; [unrolled: 3-line block ×16, first 2 shown]
	ds_load_b128 v[6:9], v41 offset:80
	v_pk_fma_f32 v[28:29], v[16:17], v[28:29], v[14:15]
	v_pk_fma_f32 v[26:27], v[34:35], v[36:37], v[26:27]
	;; [unrolled: 1-line block ×4, first 2 shown]
	s_wait_dscnt 0x0
	v_and_b32_e32 v14, 0xffff, v6
	v_dual_lshrrev_b32 v6, 16, v6 :: v_dual_lshrrev_b32 v15, 16, v7
	v_lshrrev_b32_e32 v16, 16, v8
	v_and_b32_e32 v7, 0xffff, v7
	v_and_b32_e32 v8, 0xffff, v8
	v_lshrrev_b32_e32 v17, 16, v9
	v_and_b32_e32 v9, 0xffff, v9
	;;#ASMSTART
	v_cvt_f32_f16 v34, v14;
	;;#ASMEND
	;;#ASMSTART
	v_cvt_f32_f16 v35, v6;
	;;#ASMEND
	;;#ASMSTART
	v_cvt_f32_f16 v36, v69;
	;;#ASMEND
	;;#ASMSTART
	v_cvt_f32_f16 v37, v32;
	;;#ASMEND
	;;#ASMSTART
	v_cvt_f32_f16 v33, v7;
	;;#ASMEND
	;;#ASMSTART
	v_cvt_f32_f16 v32, v15;
	;;#ASMEND
	;;#ASMSTART
	v_cvt_f32_f16 v61, v49;
	;;#ASMEND
	;;#ASMSTART
	v_cvt_f32_f16 v60, v25;
	;;#ASMEND
	;;#ASMSTART
	v_cvt_f32_f16 v63, v8;
	;;#ASMEND
	;;#ASMSTART
	v_cvt_f32_f16 v62, v16;
	;;#ASMEND
	;;#ASMSTART
	v_cvt_f32_f16 v49, v48;
	;;#ASMEND
	;;#ASMSTART
	v_cvt_f32_f16 v48, v19;
	;;#ASMEND
	;;#ASMSTART
	v_cvt_f32_f16 v65, v9;
	;;#ASMEND
	;;#ASMSTART
	v_cvt_f32_f16 v64, v17;
	;;#ASMEND
	;;#ASMSTART
	v_cvt_f32_f16 v67, v20;
	;;#ASMEND
	;;#ASMSTART
	v_cvt_f32_f16 v66, v18;
	;;#ASMEND
	ds_load_b128 v[6:9], v41 offset:96
	v_pk_fma_f32 v[28:29], v[34:35], v[36:37], v[28:29]
	v_pk_fma_f32 v[26:27], v[32:33], v[60:61], v[26:27]
	;; [unrolled: 1-line block ×4, first 2 shown]
	s_wait_dscnt 0x0
	v_lshrrev_b32_e32 v10, 16, v6
	v_and_b32_e32 v6, 0xffff, v6
	v_dual_lshrrev_b32 v11, 16, v7 :: v_dual_lshrrev_b32 v12, 16, v8
	v_and_b32_e32 v7, 0xffff, v7
	v_and_b32_e32 v8, 0xffff, v8
	v_lshrrev_b32_e32 v16, 16, v9
	v_and_b32_e32 v17, 0xffff, v9
	;;#ASMSTART
	v_cvt_f32_f16 v14, v6;
	;;#ASMEND
	;;#ASMSTART
	v_cvt_f32_f16 v15, v10;
	;;#ASMEND
	;; [unrolled: 3-line block ×16, first 2 shown]
	ds_load_b128 v[22:25], v41 offset:112
	v_add_nc_u32_e32 v82, v58, v40
	v_pk_fma_f32 v[14:15], v[14:15], v[18:19], v[28:29]
	s_wait_loadcnt 0x0
	v_dual_lshrrev_b32 v83, 16, v2 :: v_dual_lshrrev_b32 v19, 16, v3
	v_and_b32_e32 v18, 0xffff, v2
	v_and_b32_e32 v28, 0xffff, v3
	v_pk_fma_f32 v[2:3], v[6:7], v[10:11], v[26:27]
	v_pk_fma_f32 v[6:7], v[8:9], v[12:13], v[30:31]
	v_lshrrev_b32_e32 v29, 16, v4
	v_and_b32_e32 v26, 0xffff, v4
	v_pk_fma_f32 v[8:9], v[16:17], v[20:21], v[46:47]
	v_cvt_f32_i32_e32 v82, v82
	s_wait_dscnt 0x0
	v_dual_lshrrev_b32 v20, 16, v5 :: v_dual_lshrrev_b32 v33, 16, v22
	v_and_b32_e32 v22, 0xffff, v22
	v_dual_lshrrev_b32 v36, 16, v23 :: v_dual_lshrrev_b32 v60, 16, v24
	v_and_b32_e32 v23, 0xffff, v23
	v_and_b32_e32 v24, 0xffff, v24
	v_lshrrev_b32_e32 v72, 16, v25
	v_and_b32_e32 v25, 0xffff, v25
	;;#ASMSTART
	v_cvt_f32_f16 v32, v22;
	;;#ASMEND
	;;#ASMSTART
	v_cvt_f32_f16 v33, v33;
	;;#ASMEND
	;; [unrolled: 3-line block ×16, first 2 shown]
	ds_load_b128 v[22:25], v41 offset:128
	v_pk_fma_f32 v[10:11], v[32:33], v[34:35], v[14:15]
	v_pk_fma_f32 v[2:3], v[36:37], v[50:51], v[2:3]
	;; [unrolled: 1-line block ×4, first 2 shown]
	s_wait_dscnt 0x0
	v_dual_lshrrev_b32 v49, 16, v22 :: v_dual_lshrrev_b32 v64, 16, v23
	v_and_b32_e32 v22, 0xffff, v22
	v_and_b32_e32 v23, 0xffff, v23
	v_dual_lshrrev_b32 v74, 16, v24 :: v_dual_lshrrev_b32 v78, 16, v25
	v_and_b32_e32 v24, 0xffff, v24
	v_and_b32_e32 v25, 0xffff, v25
	;;#ASMSTART
	v_cvt_f32_f16 v48, v22;
	;;#ASMEND
	;;#ASMSTART
	v_cvt_f32_f16 v49, v49;
	;;#ASMEND
	;; [unrolled: 3-line block ×16, first 2 shown]
	ds_load_b128 v[22:25], v41 offset:144
	v_pk_fma_f32 v[10:11], v[48:49], v[62:63], v[10:11]
	v_pk_fma_f32 v[2:3], v[64:65], v[66:67], v[2:3]
	;; [unrolled: 1-line block ×3, first 2 shown]
	s_wait_dscnt 0x0
	v_dual_lshrrev_b32 v13, 16, v22 :: v_dual_lshrrev_b32 v16, 16, v23
	v_and_b32_e32 v4, 0xffff, v22
	;;#ASMSTART
	v_cvt_f32_f16 v12, v4;
	;;#ASMEND
	;;#ASMSTART
	v_cvt_f32_f16 v13, v13;
	;;#ASMEND
	;; [unrolled: 3-line block ×4, first 2 shown]
	v_pk_fma_f32 v[10:11], v[12:13], v[14:15], v[10:11]
	v_and_b32_e32 v17, 0xffff, v23
	;;#ASMSTART
	v_cvt_f32_f16 v17, v17;
	;;#ASMEND
	;;#ASMSTART
	v_cvt_f32_f16 v16, v16;
	;;#ASMEND
	;; [unrolled: 3-line block ×4, first 2 shown]
	v_pk_fma_f32 v[2:3], v[16:17], v[12:13], v[2:3]
	v_dual_add_f32 v4, v10, v11 :: v_dual_lshrrev_b32 v10, 16, v24
	v_and_b32_e32 v21, 0xffff, v24
	;;#ASMSTART
	v_cvt_f32_f16 v11, v21;
	;;#ASMEND
	;;#ASMSTART
	v_cvt_f32_f16 v10, v10;
	;;#ASMEND
	s_delay_alu instid0(VALU_DEP_2) | instskip(SKIP_3) | instid1(VALU_DEP_2)
	v_add_f32_e32 v3, v4, v3
	;;#ASMSTART
	v_cvt_f32_f16 v13, v26;
	;;#ASMEND
	;;#ASMSTART
	v_cvt_f32_f16 v12, v29;
	;;#ASMEND
	v_pk_fma_f32 v[6:7], v[10:11], v[12:13], v[6:7]
	v_dual_lshrrev_b32 v10, 16, v25 :: v_dual_add_f32 v4, v2, v3
	v_pk_fma_f32 v[2:3], v[78:79], v[80:81], v[8:9]
	v_and_b32_e32 v14, 0xffff, v25
	v_and_b32_e32 v11, 0xffff, v5
	;;#ASMSTART
	v_cvt_f32_f16 v5, v14;
	;;#ASMEND
	v_add_f32_e32 v7, v4, v7
	;;#ASMSTART
	v_cvt_f32_f16 v4, v10;
	;;#ASMEND
	;;#ASMSTART
	v_cvt_f32_f16 v9, v11;
	;;#ASMEND
	;; [unrolled: 3-line block ×3, first 2 shown]
	v_pk_fma_f32 v[2:3], v[4:5], v[8:9], v[2:3]
	v_dual_add_f32 v4, v6, v7 :: v_dual_mul_f32 v5, s34, v82
	s_delay_alu instid0(VALU_DEP_1) | instskip(NEXT) | instid1(VALU_DEP_1)
	v_dual_add_f32 v3, v4, v3 :: v_dual_cndmask_b32 v4, 0, v5
	v_add_f32_e32 v2, v2, v3
	s_delay_alu instid0(VALU_DEP_1) | instskip(NEXT) | instid1(VALU_DEP_1)
	v_dual_fmac_f32 v4, s23, v2 :: v_dual_add_nc_u32 v2, v53, v40
	v_cmp_gt_i32_e64 s3, s29, v2
	s_delay_alu instid0(VALU_DEP_1) | instskip(NEXT) | instid1(VALU_DEP_1)
	v_dual_max_num_f32 v3, v55, v55 :: v_dual_cndmask_b32 v2, 0, v4, s3
	v_max_num_f32_e32 v3, v3, v4
	ds_store_b32 v59, v2
	v_cndmask_b32_e64 v55, v55, v3, s3
	s_branch .LBB92_10
.LBB92_15:
	s_or_b32 exec_lo, exec_lo, s36
.LBB92_16:
	s_delay_alu instid0(SALU_CYCLE_1) | instskip(SKIP_4) | instid1(VALU_DEP_1)
	s_or_b32 exec_lo, exec_lo, s22
	v_mbcnt_lo_u32_b32 v5, -1, 0
	s_clause 0x1
	s_load_b64 s[10:11], s[0:1], 0x0
	s_load_b64 s[22:23], s[0:1], 0x18
	v_dual_max_num_f32 v6, v55, v55 :: v_dual_bitop2_b32 v2, 16, v5 bitop3:0x14
	v_xor_b32_e32 v4, 8, v5
	s_delay_alu instid0(VALU_DEP_2) | instskip(SKIP_1) | instid1(VALU_DEP_3)
	v_cmp_gt_i32_e32 vcc_lo, 32, v2
	v_cndmask_b32_e32 v2, v5, v2, vcc_lo
	v_cmp_gt_i32_e32 vcc_lo, 32, v4
	s_delay_alu instid0(VALU_DEP_2) | instskip(SKIP_3) | instid1(VALU_DEP_1)
	v_dual_lshlrev_b32 v2, 2, v2 :: v_dual_cndmask_b32 v4, v5, v4, vcc_lo
	ds_bpermute_b32 v3, v2, v55
	s_wait_dscnt 0x0
	v_dual_max_num_f32 v7, v3, v3 :: v_dual_lshlrev_b32 v3, 2, v4
	v_dual_max_num_f32 v6, v6, v7 :: v_dual_bitop2_b32 v7, 4, v5 bitop3:0x14
	ds_bpermute_b32 v4, v3, v6
	v_cmp_gt_i32_e32 vcc_lo, 32, v7
	s_wait_dscnt 0x0
	v_dual_cndmask_b32 v7, v5, v7 :: v_dual_max_num_f32 v8, v4, v4
	s_delay_alu instid0(VALU_DEP_1) | instskip(SKIP_3) | instid1(VALU_DEP_1)
	v_dual_lshlrev_b32 v4, 2, v7 :: v_dual_max_num_f32 v6, v6, v8
	ds_bpermute_b32 v7, v4, v6
	s_wait_dscnt 0x0
	v_dual_max_num_f32 v7, v7, v7 :: v_dual_bitop2_b32 v8, 2, v5 bitop3:0x14
	v_cmp_gt_i32_e32 vcc_lo, 32, v8
	s_delay_alu instid0(VALU_DEP_2) | instskip(NEXT) | instid1(VALU_DEP_1)
	v_dual_max_num_f32 v6, v6, v7 :: v_dual_cndmask_b32 v8, v5, v8, vcc_lo
	v_dual_lshlrev_b32 v24, 2, v8 :: v_dual_bitop2_b32 v8, 1, v5 bitop3:0x14
	ds_bpermute_b32 v7, v24, v6
	v_cmp_gt_i32_e32 vcc_lo, 32, v8
	v_cndmask_b32_e32 v5, v5, v8, vcc_lo
	v_cmp_eq_u32_e32 vcc_lo, 0, v53
	s_delay_alu instid0(VALU_DEP_2) | instskip(SKIP_2) | instid1(VALU_DEP_1)
	v_dual_lshlrev_b32 v23, 2, v5 :: v_dual_lshlrev_b32 v5, 2, v52
	s_wait_dscnt 0x0
	v_max_num_f32_e32 v7, v7, v7
	v_max_num_f32_e32 v6, v6, v7
	ds_bpermute_b32 v7, v23, v6
	s_wait_xcnt 0x0
	s_and_saveexec_b32 s0, vcc_lo
	s_cbranch_execz .LBB92_18
; %bb.17:
	s_wait_dscnt 0x0
	v_dual_max_num_f32 v7, v7, v7 :: v_dual_max_num_f32 v6, v6, v6
	s_delay_alu instid0(VALU_DEP_1)
	v_max_num_f32_e32 v6, v6, v7
	ds_store_b32 v5, v6 offset:160
.LBB92_18:
	s_or_b32 exec_lo, exec_lo, s0
	v_cmp_gt_u32_e64 s0, 4, v53
	v_mov_b32_e32 v6, 0xff7fffff
	s_wait_dscnt 0x0
	s_barrier_signal -1
	s_barrier_wait -1
	s_and_saveexec_b32 s1, s0
; %bb.19:
	ds_load_b32 v6, v39 offset:160
; %bb.20:
	s_or_b32 exec_lo, exec_lo, s1
	s_wait_dscnt 0x0
	ds_bpermute_b32 v7, v24, v6
	v_max_num_f32_e32 v6, v6, v6
	s_lshl_b32 s1, s31, 5
	s_delay_alu instid0(SALU_CYCLE_1) | instskip(NEXT) | instid1(SALU_CYCLE_1)
	s_min_i32 s4, s1, s29
	v_cmp_gt_i32_e64 s1, s4, v0
	s_wait_dscnt 0x0
	v_max_num_f32_e32 v7, v7, v7
	s_delay_alu instid0(VALU_DEP_1) | instskip(SKIP_3) | instid1(VALU_DEP_1)
	v_max_num_f32_e32 v6, v6, v7
	ds_bpermute_b32 v7, v23, v6
	s_wait_dscnt 0x0
	v_max_num_f32_e32 v7, v7, v7
	v_dual_max_num_f32 v7, v6, v7 :: v_dual_mov_b32 v6, 0
	ds_bpermute_b32 v7, v6, v7
	s_and_saveexec_b32 s21, s1
	s_cbranch_execz .LBB92_24
; %bb.21:
	v_lshl_add_u32 v8, v0, 2, 0xc0
	v_dual_mov_b32 v6, 0 :: v_dual_mov_b32 v9, v0
	s_mov_b32 s24, 0
.LBB92_22:                              ; =>This Inner Loop Header: Depth=1
	ds_load_b32 v10, v8
	v_add_nc_u32_e32 v9, 0x80, v9
	s_delay_alu instid0(VALU_DEP_1) | instskip(SKIP_3) | instid1(VALU_DEP_1)
	v_cmp_le_i32_e64 s3, s4, v9
	s_or_b32 s24, s3, s24
	s_wait_dscnt 0x0
	v_sub_f32_e32 v10, v10, v7
	v_mul_f32_e32 v10, 0x3fb8aa3b, v10
	s_delay_alu instid0(VALU_DEP_1)
	v_exp_f32_e32 v10, v10
	ds_store_b32 v8, v10
	v_nop
	v_add_f32_e32 v6, v6, v10
	v_add_nc_u32_e32 v8, 0x200, v8
	s_and_not1_b32 exec_lo, exec_lo, s24
	s_cbranch_execnz .LBB92_22
; %bb.23:
	s_or_b32 exec_lo, exec_lo, s24
.LBB92_24:
	s_delay_alu instid0(SALU_CYCLE_1)
	s_or_b32 exec_lo, exec_lo, s21
	ds_bpermute_b32 v2, v2, v6
	s_wait_dscnt 0x0
	v_add_f32_e32 v2, v6, v2
	ds_bpermute_b32 v3, v3, v2
	s_wait_dscnt 0x0
	v_add_f32_e32 v2, v2, v3
	;; [unrolled: 3-line block ×5, first 2 shown]
	s_and_saveexec_b32 s3, vcc_lo
; %bb.25:
	ds_store_b32 v5, v2 offset:176
; %bb.26:
	s_or_b32 exec_lo, exec_lo, s3
	s_wait_dscnt 0x0
	s_barrier_signal -1
	s_barrier_wait -1
	s_and_saveexec_b32 s3, s0
; %bb.27:
	ds_load_b32 v2, v39 offset:176
; %bb.28:
	s_or_b32 exec_lo, exec_lo, s3
	s_wait_dscnt 0x0
	ds_bpermute_b32 v3, v24, v2
	s_wait_dscnt 0x0
	v_dual_mov_b32 v7, 0 :: v_dual_add_f32 v2, v2, v3
	ds_bpermute_b32 v3, v23, v2
	s_wait_dscnt 0x0
	v_add_f32_e32 v2, v2, v3
	ds_bpermute_b32 v2, v7, v2
	s_and_saveexec_b32 s0, s1
	s_cbranch_execz .LBB92_41
; %bb.29:
	s_wait_dscnt 0x0
	v_add_f32_e32 v2, 0x358637bd, v2
	s_mov_b32 s3, -1
	s_mov_b32 s1, exec_lo
	s_delay_alu instid0(VALU_DEP_1) | instskip(NEXT) | instid1(VALU_DEP_1)
	v_div_scale_f32 v3, null, v2, v2, 1.0
	v_rcp_f32_e32 v5, v3
	v_nop
	s_delay_alu instid0(TRANS32_DEP_1) | instskip(NEXT) | instid1(VALU_DEP_1)
	v_fma_f32 v4, -v3, v5, 1.0
	v_fmac_f32_e32 v5, v4, v5
	v_div_scale_f32 v6, vcc_lo, 1.0, v2, 1.0
	s_delay_alu instid0(VALU_DEP_1) | instskip(NEXT) | instid1(VALU_DEP_1)
	v_mul_f32_e32 v8, v6, v5
	v_fma_f32 v4, -v3, v8, v6
	s_delay_alu instid0(VALU_DEP_1) | instskip(SKIP_1) | instid1(VALU_DEP_2)
	v_fmac_f32_e32 v8, v4, v5
	v_xad_u32 v4, v0, -1, s4
	v_fma_f32 v3, -v3, v8, v6
	s_delay_alu instid0(VALU_DEP_1) | instskip(NEXT) | instid1(VALU_DEP_1)
	v_div_fmas_f32 v3, v3, v5, v8
	v_div_fixup_f32 v2, v3, v2, 1.0
	v_mov_b32_e32 v3, v0
	v_cmpx_lt_u32_e32 0x7f, v4
	s_cbranch_execz .LBB92_38
; %bb.30:
	s_delay_alu instid0(VALU_DEP_3) | instskip(NEXT) | instid1(VALU_DEP_1)
	v_dual_mov_b32 v3, v2 :: v_dual_lshrrev_b32 v4, 7, v4
	v_dual_mov_b32 v9, 0 :: v_dual_add_nc_u32 v5, -1, v4
	s_delay_alu instid0(VALU_DEP_1) | instskip(SKIP_1) | instid1(VALU_DEP_2)
	v_lshrrev_b32_e32 v6, 1, v5
	v_cmp_lt_u32_e32 vcc_lo, 13, v5
	v_add_nc_u32_e32 v5, 1, v6
	s_and_saveexec_b32 s3, vcc_lo
	s_cbranch_execz .LBB92_34
; %bb.31:
	s_delay_alu instid0(VALU_DEP_1)
	v_and_b32_e32 v6, -8, v5
	v_lshl_add_u32 v8, v0, 2, 0xc0
	s_mov_b32 s21, 0
	s_mov_b32 s24, 0
.LBB92_32:                              ; =>This Inner Loop Header: Depth=1
	ds_load_2addr_stride64_b32 v[10:11], v8 offset1:2
	ds_load_2addr_stride64_b32 v[12:13], v8 offset0:4 offset1:6
	ds_load_2addr_stride64_b32 v[14:15], v8 offset0:8 offset1:10
	;; [unrolled: 1-line block ×7, first 2 shown]
	s_add_co_i32 s24, s24, 16
	s_delay_alu instid0(SALU_CYCLE_1) | instskip(NEXT) | instid1(VALU_DEP_1)
	v_dual_mov_b32 v9, s24 :: v_dual_add_nc_u32 v6, -8, v6
	v_cmp_eq_u32_e32 vcc_lo, 0, v6
	s_or_b32 s21, vcc_lo, s21
	s_wait_dscnt 0x7
	v_pk_mul_f32 v[10:11], v[2:3], v[10:11]
	s_wait_dscnt 0x6
	v_pk_mul_f32 v[12:13], v[2:3], v[12:13]
	;; [unrolled: 2-line block ×8, first 2 shown]
	ds_store_2addr_stride64_b32 v8, v10, v11 offset1:2
	ds_store_2addr_stride64_b32 v8, v12, v13 offset0:4 offset1:6
	ds_store_2addr_stride64_b32 v8, v14, v15 offset0:8 offset1:10
	;; [unrolled: 1-line block ×7, first 2 shown]
	v_add_nc_u32_e32 v8, 0x2000, v8
	s_and_not1_b32 exec_lo, exec_lo, s21
	s_cbranch_execnz .LBB92_32
; %bb.33:
	s_or_b32 exec_lo, exec_lo, s21
.LBB92_34:
	s_delay_alu instid0(SALU_CYCLE_1) | instskip(NEXT) | instid1(VALU_DEP_1)
	s_or_b32 exec_lo, exec_lo, s3
	v_and_b32_e32 v5, 7, v5
	s_mov_b32 s21, 0
	s_mov_b32 s3, exec_lo
	s_delay_alu instid0(VALU_DEP_1)
	v_cmpx_ne_u32_e32 0, v5
	s_cbranch_execz .LBB92_37
; %bb.35:
	v_dual_lshlrev_b32 v6, 9, v9 :: v_dual_lshlrev_b32 v8, 2, v0
	s_delay_alu instid0(VALU_DEP_1)
	v_add3_u32 v6, v6, v8, 0xc0
.LBB92_36:                              ; =>This Inner Loop Header: Depth=1
	ds_load_2addr_stride64_b32 v[8:9], v6 offset1:2
	v_add_nc_u32_e32 v5, -1, v5
	s_delay_alu instid0(VALU_DEP_1)
	v_cmp_eq_u32_e32 vcc_lo, 0, v5
	s_or_b32 s21, vcc_lo, s21
	s_wait_dscnt 0x0
	v_pk_mul_f32 v[8:9], v[2:3], v[8:9]
	ds_store_2addr_stride64_b32 v6, v8, v9 offset1:2
	v_add_nc_u32_e32 v6, 0x400, v6
	s_and_not1_b32 exec_lo, exec_lo, s21
	s_cbranch_execnz .LBB92_36
.LBB92_37:
	s_or_b32 exec_lo, exec_lo, s3
	v_add_nc_u32_e32 v3, 1, v4
	s_delay_alu instid0(VALU_DEP_1) | instskip(NEXT) | instid1(VALU_DEP_1)
	v_and_b32_e32 v4, 0x3fffffe, v3
	v_cmp_ne_u32_e32 vcc_lo, v3, v4
	v_lshl_add_u32 v3, v4, 7, v0
	s_or_not1_b32 s3, vcc_lo, exec_lo
.LBB92_38:
	s_or_b32 exec_lo, exec_lo, s1
	s_delay_alu instid0(SALU_CYCLE_1)
	s_and_b32 exec_lo, exec_lo, s3
	s_cbranch_execz .LBB92_41
; %bb.39:
	v_lshl_add_u32 v4, v3, 2, 0xc0
	s_mov_b32 s1, 0
.LBB92_40:                              ; =>This Inner Loop Header: Depth=1
	ds_load_b32 v5, v4
	v_add_nc_u32_e32 v3, 0x80, v3
	s_delay_alu instid0(VALU_DEP_1)
	v_cmp_le_i32_e32 vcc_lo, s4, v3
	s_or_b32 s1, vcc_lo, s1
	s_wait_dscnt 0x0
	v_mul_f32_e32 v5, v2, v5
	ds_store_b32 v4, v5
	v_add_nc_u32_e32 v4, 0x200, v4
	s_and_not1_b32 exec_lo, exec_lo, s1
	s_cbranch_execnz .LBB92_40
.LBB92_41:
	s_or_b32 exec_lo, exec_lo, s0
	v_dual_mov_b32 v6, 0 :: v_dual_bitop2_b32 v25, 3, v0 bitop3:0x40
	v_dual_mov_b32 v9, 0 :: v_dual_mov_b32 v8, 0
	v_dual_mov_b32 v11, 0 :: v_dual_mov_b32 v10, 0
	;; [unrolled: 1-line block ×4, first 2 shown]
	s_wait_dscnt 0x0
	s_barrier_signal -1
	s_barrier_wait -1
	s_and_saveexec_b32 s1, s2
	s_cbranch_execz .LBB92_67
; %bb.42:
	s_abs_i32 s6, s6
	v_dual_lshlrev_b32 v5, 3, v0 :: v_dual_mov_b32 v39, 0
	s_cvt_f32_u32 s0, s6
	v_and_b32_e32 v2, 0x1f0, v1
	v_lshlrev_b32_e32 v1, 5, v25
	s_ashr_i32 s21, s20, 31
	v_rcp_iflag_f32_e32 v3, s0
	v_and_b32_e32 v4, 0x7c, v54
	v_dual_mov_b32 v5, v39 :: v_dual_bitop2_b32 v26, 24, v5 bitop3:0x40
	s_lshl_b64 s[18:19], s[18:19], 2
	s_lshl_b64 s[20:21], s[20:21], 1
	s_add_nc_u64 s[16:17], s[16:17], s[18:19]
	s_delay_alu instid0(TRANS32_DEP_1)
	v_readfirstlane_b32 s0, v3
	v_mov_b32_e32 v3, v39
	v_lshl_or_b32 v1, v52, 7, v1
	s_wait_kmcnt 0x0
	s_add_nc_u64 s[18:19], s[22:23], s[20:21]
	s_sub_co_i32 s4, 0, s6
	s_mul_f32 s0, s0, 0x4f7ffffe
	v_add_nc_u64_e32 v[16:17], s[18:19], v[2:3]
	v_add_nc_u64_e32 v[18:19], s[16:17], v[4:5]
	v_dual_mov_b32 v28, v52 :: v_dual_add_nc_u32 v27, 0xc0, v1
	s_cvt_u32_f32 s0, s0
	v_dual_mov_b32 v14, v39 :: v_dual_mov_b32 v15, v39
	v_dual_mov_b32 v12, v39 :: v_dual_mov_b32 v13, v39
	s_delay_alu instid0(SALU_CYCLE_1)
	s_mul_i32 s4, s4, s0
	v_dual_mov_b32 v10, v39 :: v_dual_mov_b32 v11, v39
	v_dual_mov_b32 v8, v39 :: v_dual_mov_b32 v9, v39
	;; [unrolled: 1-line block ×3, first 2 shown]
	s_sub_co_i32 s24, s33, s5
	s_mov_b32 s5, 0
	s_mul_hi_u32 s4, s0, s4
	s_ashr_i32 s3, s9, 31
	s_mov_b32 s2, s9
	s_add_co_i32 s9, s31, -1
	s_mov_b32 s16, s29
	s_add_co_i32 s4, s0, s4
	s_mov_b32 s17, s5
	s_branch .LBB92_45
.LBB92_43:                              ;   in Loop: Header=BB92_45 Depth=1
	s_or_b32 exec_lo, exec_lo, s0
	v_dual_add_f32 v29, v60, v61 :: v_dual_add_f32 v30, v58, v59
	v_add_f32_e32 v22, v22, v37
	v_dual_lshlrev_b32 v1, 16, v1 :: v_dual_lshlrev_b32 v20, 16, v20
	s_delay_alu instid0(VALU_DEP_3) | instskip(NEXT) | instid1(VALU_DEP_3)
	v_dual_add_f32 v9, v9, v29 :: v_dual_add_f32 v8, v8, v30
	v_dual_add_f32 v6, v6, v22 :: v_dual_add_f32 v22, v56, v57
	v_dual_lshlrev_b32 v21, 16, v21 :: v_dual_add_f32 v29, v54, v55
	s_delay_alu instid0(VALU_DEP_4) | instskip(SKIP_1) | instid1(VALU_DEP_4)
	v_and_or_b32 v2, 0xffff, v2, v20
	v_and_or_b32 v3, 0xffff, v3, v1
	v_add_f32_e32 v11, v11, v22
	s_delay_alu instid0(VALU_DEP_4)
	v_and_or_b32 v4, 0xffff, v4, v21
	;;#ASMSTART
	v_pk_mul_f16 v2, v41, v2;

	;;#ASMEND
	;;#ASMSTART
	v_pk_mul_f16 v3, v40, v3;

	;;#ASMEND
	;; [unrolled: 4-line block ×4, first 2 shown]
	;;#ASMSTART
	v_pk_add_f16 v2, v2, v3;

	;;#ASMEND
	;;#ASMSTART
	v_pk_add_f16 v2, v2, v4;

	;;#ASMEND
	;; [unrolled: 4-line block ×3, first 2 shown]
	v_and_b32_e32 v5, 0xffff, v2
	v_dual_add_f32 v10, v10, v29 :: v_dual_lshrrev_b32 v20, 16, v2
	;;#ASMSTART
	v_cvt_f32_f16 v5, v5;
	;;#ASMEND
	v_dual_add_f32 v1, v50, v51 :: v_dual_add_f32 v2, v48, v49
	v_dual_add_f32 v3, v46, v47 :: v_dual_add_f32 v4, v44, v45
	;;#ASMSTART
	v_cvt_f32_f16 v20, v20;
	;;#ASMEND
	s_delay_alu instid0(VALU_DEP_2) | instskip(NEXT) | instid1(VALU_DEP_2)
	v_dual_add_f32 v5, v5, v20 :: v_dual_add_f32 v12, v12, v2
	v_dual_add_f32 v13, v13, v1 :: v_dual_add_f32 v15, v15, v3
	s_delay_alu instid0(VALU_DEP_2)
	v_dual_add_f32 v14, v14, v4 :: v_dual_add_f32 v7, v7, v5
.LBB92_44:                              ;   in Loop: Header=BB92_45 Depth=1
	s_or_b32 exec_lo, exec_lo, s18
	v_add_nc_u32_e32 v28, 4, v28
	v_add_nc_u64_e32 v[18:19], 16, v[18:19]
	v_add_nc_u32_e32 v38, 0x80, v38
	v_add_nc_u32_e32 v27, 0x200, v27
	s_delay_alu instid0(VALU_DEP_4) | instskip(SKIP_1) | instid1(SALU_CYCLE_1)
	v_cmp_le_i32_e32 vcc_lo, s31, v28
	s_or_b32 s17, vcc_lo, s17
	s_and_not1_b32 exec_lo, exec_lo, s17
	s_cbranch_execz .LBB92_66
.LBB92_45:                              ; =>This Inner Loop Header: Depth=1
	v_mul_u64_e32 v[2:3], s[14:15], v[38:39]
	s_delay_alu instid0(VALU_DEP_1) | instskip(NEXT) | instid1(VALU_DEP_1)
	v_mul_lo_u32 v1, v3, s8
	v_dual_add_nc_u32 v2, 1, v3 :: v_dual_sub_nc_u32 v1, v38, v1
	s_delay_alu instid0(VALU_DEP_1) | instskip(SKIP_1) | instid1(VALU_DEP_2)
	v_subrev_nc_u32_e32 v4, s8, v1
	v_cmp_le_u32_e32 vcc_lo, s8, v1
	v_dual_cndmask_b32 v2, v3, v2 :: v_dual_cndmask_b32 v1, v1, v4
	s_delay_alu instid0(VALU_DEP_1) | instskip(NEXT) | instid1(VALU_DEP_2)
	v_add_nc_u32_e32 v3, 1, v2
	v_cmp_le_u32_e32 vcc_lo, s8, v1
	s_delay_alu instid0(VALU_DEP_2) | instskip(NEXT) | instid1(VALU_DEP_1)
	v_dual_cndmask_b32 v1, v2, v3, vcc_lo :: v_dual_mov_b32 v3, v39
	v_xor_b32_e32 v1, s30, v1
	s_delay_alu instid0(VALU_DEP_1) | instskip(NEXT) | instid1(VALU_DEP_1)
	v_subrev_nc_u32_e32 v1, s30, v1
	v_add_nc_u32_e32 v20, s13, v1
	v_cmp_lt_i32_e64 s0, s24, v1
	s_delay_alu instid0(VALU_DEP_2) | instskip(NEXT) | instid1(VALU_DEP_1)
	v_sub_nc_u32_e32 v2, 0, v20
	v_max_i32_e32 v2, v20, v2
	s_delay_alu instid0(VALU_DEP_1) | instskip(SKIP_1) | instid1(VALU_DEP_2)
	v_mul_u64_e32 v[4:5], s[4:5], v[2:3]
	v_ashrrev_i32_e32 v4, 31, v20
	v_mul_lo_u32 v3, v5, s6
	s_delay_alu instid0(VALU_DEP_1) | instskip(NEXT) | instid1(VALU_DEP_1)
	v_sub_nc_u32_e32 v2, v2, v3
	v_subrev_nc_u32_e32 v3, s6, v2
	v_cmp_le_u32_e32 vcc_lo, s6, v2
	s_delay_alu instid0(VALU_DEP_2) | instskip(NEXT) | instid1(VALU_DEP_1)
	v_cndmask_b32_e32 v2, v2, v3, vcc_lo
	v_subrev_nc_u32_e32 v3, s6, v2
	v_cmp_le_u32_e32 vcc_lo, s6, v2
	s_delay_alu instid0(VALU_DEP_2) | instskip(NEXT) | instid1(VALU_DEP_1)
	v_cndmask_b32_e32 v2, v2, v3, vcc_lo
	v_xor_b32_e32 v2, v2, v4
	s_delay_alu instid0(VALU_DEP_1) | instskip(NEXT) | instid1(VALU_DEP_1)
	v_sub_nc_u32_e32 v2, v2, v4
	v_cmp_eq_u32_e32 vcc_lo, 0, v2
	s_or_b32 s0, vcc_lo, s0
	s_delay_alu instid0(SALU_CYCLE_1)
	s_and_saveexec_b32 s18, s0
	s_cbranch_execz .LBB92_44
; %bb.46:                               ;   in Loop: Header=BB92_45 Depth=1
	global_load_b32 v2, v[18:19], off
	v_cmp_eq_u32_e32 vcc_lo, s9, v28
	s_wait_loadcnt 0x0
	v_ashrrev_i32_e32 v3, 31, v2
	s_delay_alu instid0(VALU_DEP_1)
	v_mul_u64_e32 v[20:21], s[2:3], v[2:3]
	ds_load_2addr_b64 v[2:5], v27 offset1:1
	ds_load_2addr_b64 v[30:33], v27 offset0:2 offset1:3
	s_wait_dscnt 0x1
	;;#ASMSTART
	v_cvt_f16_f32 v41, v2;

	;;#ASMEND
	;;#ASMSTART
	v_cvt_f16_f32 v40, v3;

	;;#ASMEND
	;; [unrolled: 4-line block ×4, first 2 shown]
	s_wait_dscnt 0x0
	;;#ASMSTART
	v_cvt_f16_f32 v47, v30;

	;;#ASMEND
	;;#ASMSTART
	v_cvt_f16_f32 v42, v31;

	;;#ASMEND
	;; [unrolled: 4-line block ×4, first 2 shown]
	v_lshl_add_u64 v[20:21], v[20:21], 1, v[16:17]
	global_load_b128 v[2:5], v[20:21], off
	s_wait_loadcnt 0x0
	v_dual_add_nc_u32 v33, v26, v38 :: v_dual_lshrrev_b32 v1, 16, v3
	s_delay_alu instid0(VALU_DEP_1)
	v_dual_add_nc_u32 v35, 2, v33 :: v_dual_add_nc_u32 v30, 4, v33
	v_dual_add_nc_u32 v29, 5, v33 :: v_dual_add_nc_u32 v32, 6, v33
	v_dual_add_nc_u32 v31, 7, v33 :: v_dual_bitop2_b32 v36, 3, v33 bitop3:0x54
	v_dual_lshrrev_b32 v22, 16, v2 :: v_dual_lshrrev_b32 v37, 16, v4
	v_or_b32_e32 v34, 1, v33
	s_and_saveexec_b32 s19, vcc_lo
	s_cbranch_execz .LBB92_48
; %bb.47:                               ;   in Loop: Header=BB92_45 Depth=1
	v_cmp_gt_i32_e64 s0, s29, v33
	v_and_b32_e32 v48, 0xffff, v5
	v_and_b32_e32 v5, 0xffff0000, v5
	s_delay_alu instid0(VALU_DEP_3) | instskip(SKIP_1) | instid1(VALU_DEP_1)
	v_cndmask_b32_e64 v2, 0, v2, s0
	v_cmp_gt_i32_e64 s0, s29, v35
	v_cndmask_b32_e64 v3, 0, v3, s0
	v_cmp_gt_i32_e64 s0, s16, v36
	s_delay_alu instid0(VALU_DEP_1) | instskip(SKIP_1) | instid1(VALU_DEP_1)
	v_cndmask_b32_e64 v1, 0, v1, s0
	v_cmp_gt_i32_e64 s0, s29, v34
	v_cndmask_b32_e64 v22, 0, v22, s0
	v_cmp_gt_i32_e64 s0, s29, v32
	s_delay_alu instid0(VALU_DEP_1) | instskip(SKIP_1) | instid1(VALU_DEP_1)
	;; [unrolled: 5-line block ×3, first 2 shown]
	v_dual_cndmask_b32 v4, 0, v4, s0 :: v_dual_bitop2_b32 v5, v48, v5 bitop3:0x54
	v_cmp_gt_i32_e64 s0, s29, v29
	v_cndmask_b32_e64 v37, 0, v37, s0
.LBB92_48:                              ;   in Loop: Header=BB92_45 Depth=1
	s_or_b32 exec_lo, exec_lo, s19
	v_and_b32_e32 v41, 0xffff, v41
	v_and_b32_e32 v46, 0xffff, v46
	v_dual_lshlrev_b32 v22, 16, v22 :: v_dual_lshlrev_b32 v1, 16, v1
	v_lshlrev_b32_e32 v37, 16, v37
	v_and_b32_e32 v47, 0xffff, v47
	v_lshl_or_b32 v41, v40, 16, v41
	v_lshl_or_b32 v40, v44, 16, v46
	v_and_b32_e32 v44, 0xffff, v45
	v_and_or_b32 v2, 0xffff, v2, v22
	v_and_or_b32 v1, 0xffff, v3, v1
	;; [unrolled: 1-line block ×3, first 2 shown]
	;;#ASMSTART
	v_pk_mul_f16 v2, v41, v2;

	;;#ASMEND
	;;#ASMSTART
	v_pk_mul_f16 v1, v40, v1;

	;;#ASMEND
	v_lshl_or_b32 v42, v42, 16, v47
	v_lshl_or_b32 v43, v43, 16, v44
	;;#ASMSTART
	v_pk_mul_f16 v3, v42, v3;

	;;#ASMEND
	;;#ASMSTART
	v_pk_mul_f16 v4, v43, v5;

	;;#ASMEND
	;;#ASMSTART
	v_pk_add_f16 v1, v2, v1;

	;;#ASMEND
	;;#ASMSTART
	v_pk_add_f16 v1, v1, v3;
	;; [unrolled: 4-line block ×3, first 2 shown]

	;;#ASMEND
	v_and_b32_e32 v2, 0xffff, v1
	v_lshrrev_b32_e32 v1, 16, v1
	;;#ASMSTART
	v_cvt_f32_f16 v44, v2;
	;;#ASMEND
	;;#ASMSTART
	v_cvt_f32_f16 v45, v1;
	;;#ASMEND
	global_load_b128 v[2:5], v[20:21], off offset:512
	s_wait_loadcnt 0x0
	v_dual_lshrrev_b32 v1, 16, v3 :: v_dual_lshrrev_b32 v22, 16, v2
	v_lshrrev_b32_e32 v37, 16, v4
	s_and_saveexec_b32 s19, vcc_lo
	s_cbranch_execz .LBB92_50
; %bb.49:                               ;   in Loop: Header=BB92_45 Depth=1
	v_cmp_gt_i32_e64 s0, s29, v33
	v_and_b32_e32 v46, 0xffff, v5
	v_and_b32_e32 v5, 0xffff0000, v5
	s_delay_alu instid0(VALU_DEP_3) | instskip(SKIP_1) | instid1(VALU_DEP_1)
	v_cndmask_b32_e64 v2, 0, v2, s0
	v_cmp_gt_i32_e64 s0, s29, v35
	v_cndmask_b32_e64 v3, 0, v3, s0
	v_cmp_gt_i32_e64 s0, s16, v36
	s_delay_alu instid0(VALU_DEP_1) | instskip(SKIP_1) | instid1(VALU_DEP_1)
	v_cndmask_b32_e64 v1, 0, v1, s0
	v_cmp_gt_i32_e64 s0, s29, v34
	v_cndmask_b32_e64 v22, 0, v22, s0
	v_cmp_gt_i32_e64 s0, s29, v32
	s_delay_alu instid0(VALU_DEP_1) | instskip(SKIP_1) | instid1(VALU_DEP_1)
	;; [unrolled: 5-line block ×3, first 2 shown]
	v_dual_cndmask_b32 v4, 0, v4, s0 :: v_dual_bitop2_b32 v5, v46, v5 bitop3:0x54
	v_cmp_gt_i32_e64 s0, s29, v29
	v_cndmask_b32_e64 v37, 0, v37, s0
.LBB92_50:                              ;   in Loop: Header=BB92_45 Depth=1
	s_or_b32 exec_lo, exec_lo, s19
	v_dual_lshlrev_b32 v22, 16, v22 :: v_dual_lshlrev_b32 v1, 16, v1
	s_delay_alu instid0(VALU_DEP_2) | instskip(NEXT) | instid1(VALU_DEP_2)
	v_lshlrev_b32_e32 v37, 16, v37
	v_and_or_b32 v2, 0xffff, v2, v22
	s_delay_alu instid0(VALU_DEP_3) | instskip(NEXT) | instid1(VALU_DEP_3)
	v_and_or_b32 v1, 0xffff, v3, v1
	v_and_or_b32 v3, 0xffff, v4, v37
	;;#ASMSTART
	v_pk_mul_f16 v2, v41, v2;

	;;#ASMEND
	;;#ASMSTART
	v_pk_mul_f16 v1, v40, v1;

	;;#ASMEND
	;; [unrolled: 4-line block ×4, first 2 shown]
	;;#ASMSTART
	v_pk_add_f16 v1, v2, v1;

	;;#ASMEND
	;;#ASMSTART
	v_pk_add_f16 v1, v1, v3;

	;;#ASMEND
	;; [unrolled: 4-line block ×3, first 2 shown]
	v_and_b32_e32 v2, 0xffff, v1
	v_lshrrev_b32_e32 v1, 16, v1
	;;#ASMSTART
	v_cvt_f32_f16 v46, v2;
	;;#ASMEND
	;;#ASMSTART
	v_cvt_f32_f16 v47, v1;
	;;#ASMEND
	global_load_b128 v[2:5], v[20:21], off offset:1024
	s_wait_loadcnt 0x0
	v_dual_lshrrev_b32 v1, 16, v3 :: v_dual_lshrrev_b32 v22, 16, v2
	v_lshrrev_b32_e32 v37, 16, v4
	s_and_saveexec_b32 s19, vcc_lo
	s_cbranch_execz .LBB92_52
; %bb.51:                               ;   in Loop: Header=BB92_45 Depth=1
	v_cmp_gt_i32_e64 s0, s29, v33
	v_and_b32_e32 v48, 0xffff, v5
	v_and_b32_e32 v5, 0xffff0000, v5
	s_delay_alu instid0(VALU_DEP_3) | instskip(SKIP_1) | instid1(VALU_DEP_1)
	v_cndmask_b32_e64 v2, 0, v2, s0
	v_cmp_gt_i32_e64 s0, s29, v35
	v_cndmask_b32_e64 v3, 0, v3, s0
	v_cmp_gt_i32_e64 s0, s16, v36
	s_delay_alu instid0(VALU_DEP_1) | instskip(SKIP_1) | instid1(VALU_DEP_1)
	v_cndmask_b32_e64 v1, 0, v1, s0
	v_cmp_gt_i32_e64 s0, s29, v34
	v_cndmask_b32_e64 v22, 0, v22, s0
	v_cmp_gt_i32_e64 s0, s29, v32
	s_delay_alu instid0(VALU_DEP_1) | instskip(SKIP_1) | instid1(VALU_DEP_1)
	;; [unrolled: 5-line block ×3, first 2 shown]
	v_dual_cndmask_b32 v4, 0, v4, s0 :: v_dual_bitop2_b32 v5, v48, v5 bitop3:0x54
	v_cmp_gt_i32_e64 s0, s29, v29
	v_cndmask_b32_e64 v37, 0, v37, s0
.LBB92_52:                              ;   in Loop: Header=BB92_45 Depth=1
	s_or_b32 exec_lo, exec_lo, s19
	v_dual_lshlrev_b32 v22, 16, v22 :: v_dual_lshlrev_b32 v1, 16, v1
	s_delay_alu instid0(VALU_DEP_2) | instskip(NEXT) | instid1(VALU_DEP_2)
	v_lshlrev_b32_e32 v37, 16, v37
	v_and_or_b32 v2, 0xffff, v2, v22
	s_delay_alu instid0(VALU_DEP_3) | instskip(NEXT) | instid1(VALU_DEP_3)
	v_and_or_b32 v1, 0xffff, v3, v1
	v_and_or_b32 v3, 0xffff, v4, v37
	;;#ASMSTART
	v_pk_mul_f16 v2, v41, v2;

	;;#ASMEND
	;;#ASMSTART
	v_pk_mul_f16 v1, v40, v1;

	;;#ASMEND
	;; [unrolled: 4-line block ×4, first 2 shown]
	;;#ASMSTART
	v_pk_add_f16 v1, v2, v1;

	;;#ASMEND
	;;#ASMSTART
	v_pk_add_f16 v1, v1, v3;

	;;#ASMEND
	;; [unrolled: 4-line block ×3, first 2 shown]
	v_and_b32_e32 v2, 0xffff, v1
	v_lshrrev_b32_e32 v1, 16, v1
	;;#ASMSTART
	v_cvt_f32_f16 v48, v2;
	;;#ASMEND
	;;#ASMSTART
	v_cvt_f32_f16 v49, v1;
	;;#ASMEND
	global_load_b128 v[2:5], v[20:21], off offset:1536
	s_wait_loadcnt 0x0
	v_dual_lshrrev_b32 v1, 16, v3 :: v_dual_lshrrev_b32 v22, 16, v2
	v_lshrrev_b32_e32 v37, 16, v4
	s_and_saveexec_b32 s19, vcc_lo
	s_cbranch_execz .LBB92_54
; %bb.53:                               ;   in Loop: Header=BB92_45 Depth=1
	v_cmp_gt_i32_e64 s0, s29, v33
	v_and_b32_e32 v50, 0xffff, v5
	v_and_b32_e32 v5, 0xffff0000, v5
	s_delay_alu instid0(VALU_DEP_3) | instskip(SKIP_1) | instid1(VALU_DEP_1)
	v_cndmask_b32_e64 v2, 0, v2, s0
	v_cmp_gt_i32_e64 s0, s29, v35
	v_cndmask_b32_e64 v3, 0, v3, s0
	v_cmp_gt_i32_e64 s0, s16, v36
	s_delay_alu instid0(VALU_DEP_1) | instskip(SKIP_1) | instid1(VALU_DEP_1)
	v_cndmask_b32_e64 v1, 0, v1, s0
	v_cmp_gt_i32_e64 s0, s29, v34
	v_cndmask_b32_e64 v22, 0, v22, s0
	v_cmp_gt_i32_e64 s0, s29, v32
	s_delay_alu instid0(VALU_DEP_1) | instskip(SKIP_1) | instid1(VALU_DEP_1)
	;; [unrolled: 5-line block ×3, first 2 shown]
	v_dual_cndmask_b32 v4, 0, v4, s0 :: v_dual_bitop2_b32 v5, v50, v5 bitop3:0x54
	v_cmp_gt_i32_e64 s0, s29, v29
	v_cndmask_b32_e64 v37, 0, v37, s0
.LBB92_54:                              ;   in Loop: Header=BB92_45 Depth=1
	s_or_b32 exec_lo, exec_lo, s19
	v_dual_lshlrev_b32 v22, 16, v22 :: v_dual_lshlrev_b32 v1, 16, v1
	s_delay_alu instid0(VALU_DEP_2) | instskip(NEXT) | instid1(VALU_DEP_2)
	v_lshlrev_b32_e32 v37, 16, v37
	v_and_or_b32 v2, 0xffff, v2, v22
	s_delay_alu instid0(VALU_DEP_3) | instskip(NEXT) | instid1(VALU_DEP_3)
	v_and_or_b32 v1, 0xffff, v3, v1
	v_and_or_b32 v3, 0xffff, v4, v37
	;;#ASMSTART
	v_pk_mul_f16 v2, v41, v2;

	;;#ASMEND
	;;#ASMSTART
	v_pk_mul_f16 v1, v40, v1;

	;;#ASMEND
	;; [unrolled: 4-line block ×4, first 2 shown]
	;;#ASMSTART
	v_pk_add_f16 v1, v2, v1;

	;;#ASMEND
	;;#ASMSTART
	v_pk_add_f16 v1, v1, v3;

	;;#ASMEND
	;; [unrolled: 4-line block ×3, first 2 shown]
	v_and_b32_e32 v2, 0xffff, v1
	v_lshrrev_b32_e32 v1, 16, v1
	;;#ASMSTART
	v_cvt_f32_f16 v50, v2;
	;;#ASMEND
	;;#ASMSTART
	v_cvt_f32_f16 v51, v1;
	;;#ASMEND
	global_load_b128 v[2:5], v[20:21], off offset:2048
	s_wait_loadcnt 0x0
	v_dual_lshrrev_b32 v1, 16, v3 :: v_dual_lshrrev_b32 v22, 16, v2
	v_lshrrev_b32_e32 v37, 16, v4
	s_and_saveexec_b32 s19, vcc_lo
	s_cbranch_execz .LBB92_56
; %bb.55:                               ;   in Loop: Header=BB92_45 Depth=1
	v_cmp_gt_i32_e64 s0, s29, v33
	v_and_b32_e32 v54, 0xffff, v5
	v_and_b32_e32 v5, 0xffff0000, v5
	s_delay_alu instid0(VALU_DEP_3) | instskip(SKIP_1) | instid1(VALU_DEP_1)
	v_cndmask_b32_e64 v2, 0, v2, s0
	v_cmp_gt_i32_e64 s0, s29, v35
	v_cndmask_b32_e64 v3, 0, v3, s0
	v_cmp_gt_i32_e64 s0, s16, v36
	s_delay_alu instid0(VALU_DEP_1) | instskip(SKIP_1) | instid1(VALU_DEP_1)
	v_cndmask_b32_e64 v1, 0, v1, s0
	v_cmp_gt_i32_e64 s0, s29, v34
	v_cndmask_b32_e64 v22, 0, v22, s0
	v_cmp_gt_i32_e64 s0, s29, v32
	s_delay_alu instid0(VALU_DEP_1) | instskip(SKIP_1) | instid1(VALU_DEP_1)
	v_cndmask_b32_e64 v54, 0, v54, s0
	v_cmp_gt_i32_e64 s0, s29, v31
	v_cndmask_b32_e64 v5, 0, v5, s0
	v_cmp_gt_i32_e64 s0, s29, v30
	s_delay_alu instid0(VALU_DEP_1) | instskip(SKIP_1) | instid1(VALU_DEP_1)
	v_dual_cndmask_b32 v4, 0, v4, s0 :: v_dual_bitop2_b32 v5, v54, v5 bitop3:0x54
	v_cmp_gt_i32_e64 s0, s29, v29
	v_cndmask_b32_e64 v37, 0, v37, s0
.LBB92_56:                              ;   in Loop: Header=BB92_45 Depth=1
	s_or_b32 exec_lo, exec_lo, s19
	v_dual_lshlrev_b32 v22, 16, v22 :: v_dual_lshlrev_b32 v1, 16, v1
	s_delay_alu instid0(VALU_DEP_2) | instskip(NEXT) | instid1(VALU_DEP_2)
	v_lshlrev_b32_e32 v37, 16, v37
	v_and_or_b32 v2, 0xffff, v2, v22
	s_delay_alu instid0(VALU_DEP_3) | instskip(NEXT) | instid1(VALU_DEP_3)
	v_and_or_b32 v1, 0xffff, v3, v1
	v_and_or_b32 v3, 0xffff, v4, v37
	;;#ASMSTART
	v_pk_mul_f16 v2, v41, v2;

	;;#ASMEND
	;;#ASMSTART
	v_pk_mul_f16 v1, v40, v1;

	;;#ASMEND
	;; [unrolled: 4-line block ×4, first 2 shown]
	;;#ASMSTART
	v_pk_add_f16 v1, v2, v1;

	;;#ASMEND
	;;#ASMSTART
	v_pk_add_f16 v1, v1, v3;

	;;#ASMEND
	;;#ASMSTART
	v_pk_add_f16 v1, v1, v4;

	;;#ASMEND
	v_and_b32_e32 v2, 0xffff, v1
	v_lshrrev_b32_e32 v1, 16, v1
	;;#ASMSTART
	v_cvt_f32_f16 v54, v2;
	;;#ASMEND
	;;#ASMSTART
	v_cvt_f32_f16 v55, v1;
	;;#ASMEND
	global_load_b128 v[2:5], v[20:21], off offset:2560
	s_wait_loadcnt 0x0
	v_dual_lshrrev_b32 v1, 16, v3 :: v_dual_lshrrev_b32 v22, 16, v2
	v_lshrrev_b32_e32 v37, 16, v4
	s_and_saveexec_b32 s19, vcc_lo
	s_cbranch_execz .LBB92_58
; %bb.57:                               ;   in Loop: Header=BB92_45 Depth=1
	v_cmp_gt_i32_e64 s0, s29, v33
	v_and_b32_e32 v56, 0xffff, v5
	v_and_b32_e32 v5, 0xffff0000, v5
	s_delay_alu instid0(VALU_DEP_3) | instskip(SKIP_1) | instid1(VALU_DEP_1)
	v_cndmask_b32_e64 v2, 0, v2, s0
	v_cmp_gt_i32_e64 s0, s29, v35
	v_cndmask_b32_e64 v3, 0, v3, s0
	v_cmp_gt_i32_e64 s0, s16, v36
	s_delay_alu instid0(VALU_DEP_1) | instskip(SKIP_1) | instid1(VALU_DEP_1)
	v_cndmask_b32_e64 v1, 0, v1, s0
	v_cmp_gt_i32_e64 s0, s29, v34
	v_cndmask_b32_e64 v22, 0, v22, s0
	v_cmp_gt_i32_e64 s0, s29, v32
	s_delay_alu instid0(VALU_DEP_1) | instskip(SKIP_1) | instid1(VALU_DEP_1)
	;; [unrolled: 5-line block ×3, first 2 shown]
	v_dual_cndmask_b32 v4, 0, v4, s0 :: v_dual_bitop2_b32 v5, v56, v5 bitop3:0x54
	v_cmp_gt_i32_e64 s0, s29, v29
	v_cndmask_b32_e64 v37, 0, v37, s0
.LBB92_58:                              ;   in Loop: Header=BB92_45 Depth=1
	s_or_b32 exec_lo, exec_lo, s19
	v_dual_lshlrev_b32 v22, 16, v22 :: v_dual_lshlrev_b32 v1, 16, v1
	s_delay_alu instid0(VALU_DEP_2) | instskip(NEXT) | instid1(VALU_DEP_2)
	v_lshlrev_b32_e32 v37, 16, v37
	v_and_or_b32 v2, 0xffff, v2, v22
	s_delay_alu instid0(VALU_DEP_3) | instskip(NEXT) | instid1(VALU_DEP_3)
	v_and_or_b32 v1, 0xffff, v3, v1
	v_and_or_b32 v3, 0xffff, v4, v37
	;;#ASMSTART
	v_pk_mul_f16 v2, v41, v2;

	;;#ASMEND
	;;#ASMSTART
	v_pk_mul_f16 v1, v40, v1;

	;;#ASMEND
	;; [unrolled: 4-line block ×4, first 2 shown]
	;;#ASMSTART
	v_pk_add_f16 v1, v2, v1;

	;;#ASMEND
	;;#ASMSTART
	v_pk_add_f16 v1, v1, v3;

	;;#ASMEND
	;; [unrolled: 4-line block ×3, first 2 shown]
	v_and_b32_e32 v2, 0xffff, v1
	v_lshrrev_b32_e32 v1, 16, v1
	;;#ASMSTART
	v_cvt_f32_f16 v56, v2;
	;;#ASMEND
	;;#ASMSTART
	v_cvt_f32_f16 v57, v1;
	;;#ASMEND
	global_load_b128 v[2:5], v[20:21], off offset:3072
	s_wait_loadcnt 0x0
	v_dual_lshrrev_b32 v1, 16, v3 :: v_dual_lshrrev_b32 v22, 16, v2
	v_lshrrev_b32_e32 v37, 16, v4
	s_and_saveexec_b32 s19, vcc_lo
	s_cbranch_execz .LBB92_60
; %bb.59:                               ;   in Loop: Header=BB92_45 Depth=1
	v_cmp_gt_i32_e64 s0, s29, v33
	v_and_b32_e32 v58, 0xffff, v5
	v_and_b32_e32 v5, 0xffff0000, v5
	s_delay_alu instid0(VALU_DEP_3) | instskip(SKIP_1) | instid1(VALU_DEP_1)
	v_cndmask_b32_e64 v2, 0, v2, s0
	v_cmp_gt_i32_e64 s0, s29, v35
	v_cndmask_b32_e64 v3, 0, v3, s0
	v_cmp_gt_i32_e64 s0, s16, v36
	s_delay_alu instid0(VALU_DEP_1) | instskip(SKIP_1) | instid1(VALU_DEP_1)
	v_cndmask_b32_e64 v1, 0, v1, s0
	v_cmp_gt_i32_e64 s0, s29, v34
	v_cndmask_b32_e64 v22, 0, v22, s0
	v_cmp_gt_i32_e64 s0, s29, v32
	s_delay_alu instid0(VALU_DEP_1) | instskip(SKIP_1) | instid1(VALU_DEP_1)
	;; [unrolled: 5-line block ×3, first 2 shown]
	v_dual_cndmask_b32 v4, 0, v4, s0 :: v_dual_bitop2_b32 v5, v58, v5 bitop3:0x54
	v_cmp_gt_i32_e64 s0, s29, v29
	v_cndmask_b32_e64 v37, 0, v37, s0
.LBB92_60:                              ;   in Loop: Header=BB92_45 Depth=1
	s_or_b32 exec_lo, exec_lo, s19
	v_dual_lshlrev_b32 v22, 16, v22 :: v_dual_lshlrev_b32 v1, 16, v1
	s_delay_alu instid0(VALU_DEP_2) | instskip(NEXT) | instid1(VALU_DEP_2)
	v_lshlrev_b32_e32 v37, 16, v37
	v_and_or_b32 v2, 0xffff, v2, v22
	s_delay_alu instid0(VALU_DEP_3) | instskip(NEXT) | instid1(VALU_DEP_3)
	v_and_or_b32 v1, 0xffff, v3, v1
	v_and_or_b32 v3, 0xffff, v4, v37
	;;#ASMSTART
	v_pk_mul_f16 v2, v41, v2;

	;;#ASMEND
	;;#ASMSTART
	v_pk_mul_f16 v1, v40, v1;

	;;#ASMEND
	;;#ASMSTART
	v_pk_mul_f16 v3, v42, v3;

	;;#ASMEND
	;;#ASMSTART
	v_pk_mul_f16 v4, v43, v5;

	;;#ASMEND
	;;#ASMSTART
	v_pk_add_f16 v1, v2, v1;

	;;#ASMEND
	;;#ASMSTART
	v_pk_add_f16 v1, v1, v3;

	;;#ASMEND
	;; [unrolled: 4-line block ×3, first 2 shown]
	v_and_b32_e32 v2, 0xffff, v1
	v_lshrrev_b32_e32 v1, 16, v1
	;;#ASMSTART
	v_cvt_f32_f16 v58, v2;
	;;#ASMEND
	;;#ASMSTART
	v_cvt_f32_f16 v59, v1;
	;;#ASMEND
	global_load_b128 v[2:5], v[20:21], off offset:3584
	s_wait_loadcnt 0x0
	v_dual_lshrrev_b32 v1, 16, v3 :: v_dual_lshrrev_b32 v22, 16, v2
	v_lshrrev_b32_e32 v37, 16, v4
	s_and_saveexec_b32 s19, vcc_lo
	s_cbranch_execz .LBB92_62
; %bb.61:                               ;   in Loop: Header=BB92_45 Depth=1
	v_cmp_gt_i32_e64 s0, s29, v33
	v_and_b32_e32 v60, 0xffff, v5
	v_and_b32_e32 v5, 0xffff0000, v5
	s_delay_alu instid0(VALU_DEP_3) | instskip(SKIP_1) | instid1(VALU_DEP_1)
	v_cndmask_b32_e64 v2, 0, v2, s0
	v_cmp_gt_i32_e64 s0, s29, v35
	v_cndmask_b32_e64 v3, 0, v3, s0
	v_cmp_gt_i32_e64 s0, s16, v36
	s_delay_alu instid0(VALU_DEP_1) | instskip(SKIP_1) | instid1(VALU_DEP_1)
	v_cndmask_b32_e64 v1, 0, v1, s0
	v_cmp_gt_i32_e64 s0, s29, v34
	v_cndmask_b32_e64 v22, 0, v22, s0
	v_cmp_gt_i32_e64 s0, s29, v32
	s_delay_alu instid0(VALU_DEP_1) | instskip(SKIP_1) | instid1(VALU_DEP_1)
	;; [unrolled: 5-line block ×3, first 2 shown]
	v_dual_cndmask_b32 v4, 0, v4, s0 :: v_dual_bitop2_b32 v5, v60, v5 bitop3:0x54
	v_cmp_gt_i32_e64 s0, s29, v29
	v_cndmask_b32_e64 v37, 0, v37, s0
.LBB92_62:                              ;   in Loop: Header=BB92_45 Depth=1
	s_or_b32 exec_lo, exec_lo, s19
	v_dual_lshlrev_b32 v22, 16, v22 :: v_dual_lshlrev_b32 v1, 16, v1
	s_delay_alu instid0(VALU_DEP_2) | instskip(NEXT) | instid1(VALU_DEP_2)
	v_lshlrev_b32_e32 v37, 16, v37
	v_and_or_b32 v2, 0xffff, v2, v22
	s_delay_alu instid0(VALU_DEP_3) | instskip(NEXT) | instid1(VALU_DEP_3)
	v_and_or_b32 v1, 0xffff, v3, v1
	v_and_or_b32 v3, 0xffff, v4, v37
	;;#ASMSTART
	v_pk_mul_f16 v2, v41, v2;

	;;#ASMEND
	;;#ASMSTART
	v_pk_mul_f16 v1, v40, v1;

	;;#ASMEND
	;; [unrolled: 4-line block ×4, first 2 shown]
	;;#ASMSTART
	v_pk_add_f16 v1, v2, v1;

	;;#ASMEND
	;;#ASMSTART
	v_pk_add_f16 v1, v1, v3;

	;;#ASMEND
	;; [unrolled: 4-line block ×3, first 2 shown]
	v_and_b32_e32 v2, 0xffff, v1
	v_lshrrev_b32_e32 v1, 16, v1
	;;#ASMSTART
	v_cvt_f32_f16 v60, v2;
	;;#ASMEND
	;;#ASMSTART
	v_cvt_f32_f16 v61, v1;
	;;#ASMEND
	global_load_b128 v[2:5], v[20:21], off offset:4096
	s_wait_loadcnt 0x0
	v_dual_lshrrev_b32 v1, 16, v3 :: v_dual_lshrrev_b32 v22, 16, v2
	v_lshrrev_b32_e32 v37, 16, v4
	s_and_saveexec_b32 s19, vcc_lo
	s_cbranch_execz .LBB92_64
; %bb.63:                               ;   in Loop: Header=BB92_45 Depth=1
	v_cmp_gt_i32_e64 s0, s29, v33
	v_and_b32_e32 v62, 0xffff, v5
	v_and_b32_e32 v5, 0xffff0000, v5
	s_delay_alu instid0(VALU_DEP_3) | instskip(SKIP_1) | instid1(VALU_DEP_1)
	v_cndmask_b32_e64 v2, 0, v2, s0
	v_cmp_gt_i32_e64 s0, s29, v35
	v_cndmask_b32_e64 v3, 0, v3, s0
	v_cmp_gt_i32_e64 s0, s16, v36
	s_delay_alu instid0(VALU_DEP_1) | instskip(SKIP_1) | instid1(VALU_DEP_1)
	v_cndmask_b32_e64 v1, 0, v1, s0
	v_cmp_gt_i32_e64 s0, s29, v34
	v_cndmask_b32_e64 v22, 0, v22, s0
	v_cmp_gt_i32_e64 s0, s29, v32
	s_delay_alu instid0(VALU_DEP_1) | instskip(SKIP_1) | instid1(VALU_DEP_1)
	;; [unrolled: 5-line block ×3, first 2 shown]
	v_dual_cndmask_b32 v4, 0, v4, s0 :: v_dual_bitop2_b32 v5, v62, v5 bitop3:0x54
	v_cmp_gt_i32_e64 s0, s29, v29
	v_cndmask_b32_e64 v37, 0, v37, s0
.LBB92_64:                              ;   in Loop: Header=BB92_45 Depth=1
	s_or_b32 exec_lo, exec_lo, s19
	v_dual_lshlrev_b32 v22, 16, v22 :: v_dual_lshlrev_b32 v1, 16, v1
	s_delay_alu instid0(VALU_DEP_2) | instskip(NEXT) | instid1(VALU_DEP_2)
	v_lshlrev_b32_e32 v37, 16, v37
	v_and_or_b32 v2, 0xffff, v2, v22
	s_delay_alu instid0(VALU_DEP_3) | instskip(NEXT) | instid1(VALU_DEP_3)
	v_and_or_b32 v1, 0xffff, v3, v1
	v_and_or_b32 v3, 0xffff, v4, v37
	;;#ASMSTART
	v_pk_mul_f16 v2, v41, v2;

	;;#ASMEND
	;;#ASMSTART
	v_pk_mul_f16 v1, v40, v1;

	;;#ASMEND
	;;#ASMSTART
	v_pk_mul_f16 v3, v42, v3;

	;;#ASMEND
	;;#ASMSTART
	v_pk_mul_f16 v4, v43, v5;

	;;#ASMEND
	;;#ASMSTART
	v_pk_add_f16 v1, v2, v1;

	;;#ASMEND
	;;#ASMSTART
	v_pk_add_f16 v1, v1, v3;

	;;#ASMEND
	;; [unrolled: 4-line block ×3, first 2 shown]
	v_and_b32_e32 v2, 0xffff, v1
	v_lshrrev_b32_e32 v1, 16, v1
	;;#ASMSTART
	v_cvt_f32_f16 v22, v2;
	;;#ASMEND
	;;#ASMSTART
	v_cvt_f32_f16 v37, v1;
	;;#ASMEND
	global_load_b128 v[2:5], v[20:21], off offset:4608
	s_wait_loadcnt 0x0
	v_dual_lshrrev_b32 v1, 16, v3 :: v_dual_lshrrev_b32 v20, 16, v2
	v_lshrrev_b32_e32 v21, 16, v4
	s_and_saveexec_b32 s0, vcc_lo
	s_cbranch_execz .LBB92_43
; %bb.65:                               ;   in Loop: Header=BB92_45 Depth=1
	v_cmp_gt_i32_e32 vcc_lo, s29, v33
	v_and_b32_e32 v33, 0xffff, v5
	v_and_b32_e32 v5, 0xffff0000, v5
	v_cndmask_b32_e32 v2, 0, v2, vcc_lo
	v_cmp_gt_i32_e32 vcc_lo, s29, v35
	v_cndmask_b32_e32 v3, 0, v3, vcc_lo
	v_cmp_gt_i32_e32 vcc_lo, s16, v36
	;; [unrolled: 2-line block ×7, first 2 shown]
	s_delay_alu instid0(VALU_DEP_4)
	v_or_b32_e32 v5, v32, v5
	v_cndmask_b32_e32 v21, 0, v21, vcc_lo
	s_branch .LBB92_43
.LBB92_66:
	s_or_b32 exec_lo, exec_lo, s17
.LBB92_67:
	s_delay_alu instid0(SALU_CYCLE_1)
	s_or_b32 exec_lo, exec_lo, s1
	ds_bpermute_b32 v2, v24, v14
	ds_bpermute_b32 v3, v24, v15
	;; [unrolled: 1-line block ×10, first 2 shown]
	v_and_b32_e32 v1, 28, v53
	v_and_b32_e32 v22, 0x3c3, v0
	s_mov_b32 s0, exec_lo
	s_wait_dscnt 0x0
	s_barrier_signal -1
	s_barrier_wait -1
	v_pk_add_f32 v[2:3], v[14:15], v[2:3]
	v_pk_add_f32 v[4:5], v[12:13], v[4:5]
	;; [unrolled: 1-line block ×4, first 2 shown]
	ds_bpermute_b32 v18, v23, v4
	v_pk_add_f32 v[10:11], v[6:7], v[20:21]
	ds_bpermute_b32 v6, v23, v2
	ds_bpermute_b32 v7, v23, v3
	;; [unrolled: 1-line block ×9, first 2 shown]
	s_wait_dscnt 0x7
	v_pk_add_f32 v[8:9], v[2:3], v[6:7]
	s_wait_dscnt 0x6
	v_pk_add_f32 v[6:7], v[4:5], v[18:19]
	;; [unrolled: 2-line block ×4, first 2 shown]
	v_cmpx_ne_u32_e32 64, v22
	s_xor_b32 s0, exec_lo, s0
	s_delay_alu instid0(SALU_CYCLE_1)
	s_or_saveexec_b32 s0, s0
	s_wait_dscnt 0x0
	v_pk_add_f32 v[10:11], v[10:11], v[12:13]
	v_lshrrev_b32_e32 v13, 2, v53
	v_add_nc_u32_e32 v12, 0xc0, v1
	v_mul_u32_u24_e32 v1, 0x140, v52
	s_xor_b32 exec_lo, exec_lo, s0
	s_cbranch_execz .LBB92_69
; %bb.68:
	s_delay_alu instid0(VALU_DEP_1) | instskip(NEXT) | instid1(VALU_DEP_1)
	v_add_nc_u32_e32 v14, v12, v1
	v_add_nc_u32_e32 v15, 0xfffffd80, v14
	v_add_nc_u32_e32 v16, 0xfffffda0, v14
	v_add_nc_u32_e32 v17, 0xfffffdc0, v14
	v_add_nc_u32_e32 v18, 0xfffffde0, v14
	v_add_nc_u32_e32 v19, 0xfffffe00, v14
	v_add_nc_u32_e32 v20, 0xfffffe20, v14
	v_add_nc_u32_e32 v21, 0xfffffe40, v14
	v_add_nc_u32_e32 v22, 0xfffffe60, v14
	v_add_nc_u32_e32 v23, 0xfffffe80, v14
	v_add_nc_u32_e32 v14, 0xfffffea0, v14
	ds_store_b32 v15, v8
	ds_store_b32 v16, v9
	;; [unrolled: 1-line block ×10, first 2 shown]
.LBB92_69:
	s_or_b32 exec_lo, exec_lo, s0
	v_lshlrev_b32_e32 v13, 2, v13
	s_mov_b32 s1, exec_lo
	v_cmp_eq_u32_e32 vcc_lo, 0, v25
	s_wait_dscnt 0x0
	s_barrier_signal -1
	v_add3_u32 v1, 0xc0, v1, v13
	s_barrier_wait -1
	v_cmpx_gt_u32_e32 64, v0
	s_cbranch_execz .LBB92_82
; %bb.70:
	s_and_saveexec_b32 s0, vcc_lo
	s_cbranch_execnz .LBB92_100
; %bb.71:
	s_or_b32 exec_lo, exec_lo, s0
	s_and_saveexec_b32 s0, vcc_lo
	s_cbranch_execnz .LBB92_101
.LBB92_72:
	s_or_b32 exec_lo, exec_lo, s0
	s_and_saveexec_b32 s0, vcc_lo
	s_cbranch_execnz .LBB92_102
.LBB92_73:
	s_or_b32 exec_lo, exec_lo, s0
	s_and_saveexec_b32 s0, vcc_lo
	s_cbranch_execnz .LBB92_103
.LBB92_74:
	s_or_b32 exec_lo, exec_lo, s0
	s_and_saveexec_b32 s0, vcc_lo
	s_cbranch_execnz .LBB92_104
.LBB92_75:
	s_or_b32 exec_lo, exec_lo, s0
	s_and_saveexec_b32 s0, vcc_lo
	s_cbranch_execnz .LBB92_105
.LBB92_76:
	s_or_b32 exec_lo, exec_lo, s0
	s_and_saveexec_b32 s0, vcc_lo
	s_cbranch_execnz .LBB92_106
.LBB92_77:
	s_or_b32 exec_lo, exec_lo, s0
	s_and_saveexec_b32 s0, vcc_lo
	s_cbranch_execnz .LBB92_107
.LBB92_78:
	s_or_b32 exec_lo, exec_lo, s0
	s_and_saveexec_b32 s0, vcc_lo
	s_cbranch_execnz .LBB92_108
.LBB92_79:
	s_or_b32 exec_lo, exec_lo, s0
	s_and_saveexec_b32 s0, vcc_lo
	s_cbranch_execz .LBB92_81
.LBB92_80:
	ds_load_b32 v13, v1 offset:288
	s_wait_dscnt 0x0
	v_add_f32_e32 v11, v11, v13
.LBB92_81:
	s_or_b32 exec_lo, exec_lo, s0
.LBB92_82:
	s_delay_alu instid0(SALU_CYCLE_1) | instskip(SKIP_4) | instid1(VALU_DEP_1)
	s_or_b32 exec_lo, exec_lo, s1
	v_and_b32_e32 v13, 0x3e3, v0
	s_mov_b32 s1, exec_lo
	s_barrier_signal -1
	s_barrier_wait -1
	v_cmpx_eq_u32_e32 32, v13
	s_cbranch_execz .LBB92_84
; %bb.83:
	ds_store_2addr_b32 v12, v8, v9 offset1:8
	ds_store_2addr_b32 v12, v6, v7 offset0:16 offset1:24
	ds_store_2addr_b32 v12, v4, v5 offset0:32 offset1:40
	;; [unrolled: 1-line block ×4, first 2 shown]
.LBB92_84:
	s_or_b32 exec_lo, exec_lo, s1
	s_delay_alu instid0(SALU_CYCLE_1)
	s_mov_b32 s1, exec_lo
	s_wait_dscnt 0x0
	s_barrier_signal -1
	s_barrier_wait -1
	v_cmpx_gt_u32_e32 32, v0
	s_cbranch_execz .LBB92_97
; %bb.85:
	s_and_saveexec_b32 s0, vcc_lo
	s_cbranch_execnz .LBB92_109
; %bb.86:
	s_or_b32 exec_lo, exec_lo, s0
	s_and_saveexec_b32 s0, vcc_lo
	s_cbranch_execnz .LBB92_110
.LBB92_87:
	s_or_b32 exec_lo, exec_lo, s0
	s_and_saveexec_b32 s0, vcc_lo
	s_cbranch_execnz .LBB92_111
.LBB92_88:
	s_or_b32 exec_lo, exec_lo, s0
	s_and_saveexec_b32 s0, vcc_lo
	s_cbranch_execnz .LBB92_112
.LBB92_89:
	s_or_b32 exec_lo, exec_lo, s0
	s_and_saveexec_b32 s0, vcc_lo
	s_cbranch_execnz .LBB92_113
.LBB92_90:
	s_or_b32 exec_lo, exec_lo, s0
	s_and_saveexec_b32 s0, vcc_lo
	s_cbranch_execnz .LBB92_114
.LBB92_91:
	s_or_b32 exec_lo, exec_lo, s0
	s_and_saveexec_b32 s0, vcc_lo
	s_cbranch_execnz .LBB92_115
.LBB92_92:
	s_or_b32 exec_lo, exec_lo, s0
	s_and_saveexec_b32 s0, vcc_lo
	s_cbranch_execnz .LBB92_116
.LBB92_93:
	s_or_b32 exec_lo, exec_lo, s0
	s_and_saveexec_b32 s0, vcc_lo
	s_cbranch_execnz .LBB92_117
.LBB92_94:
	s_or_b32 exec_lo, exec_lo, s0
	s_and_saveexec_b32 s0, vcc_lo
	s_cbranch_execz .LBB92_96
.LBB92_95:
	ds_load_b32 v1, v1 offset:288
	s_wait_dscnt 0x0
	v_add_f32_e32 v11, v11, v1
.LBB92_96:
	s_or_b32 exec_lo, exec_lo, s0
.LBB92_97:
	s_delay_alu instid0(SALU_CYCLE_1)
	s_or_b32 exec_lo, exec_lo, s1
	s_mov_b32 s1, 0
	s_barrier_signal -1
	s_barrier_wait -1
	s_mov_b32 s0, exec_lo
	v_cmpx_eq_u32_e32 0, v13
	s_cbranch_execz .LBB92_99
; %bb.98:
	s_mul_i32 s0, s28, s7
	s_mul_i32 s2, s7, s12
	;; [unrolled: 1-line block ×3, first 2 shown]
	s_lshr_b32 s6, ttmp7, 16
	s_mul_i32 s4, s0, 0x50
	s_bfe_u32 s0, ttmp6, 0x40014
	s_ashr_i32 s5, s4, 31
	s_add_co_i32 s0, s0, 1
	s_ashr_i32 s3, s2, 31
	s_mul_i32 s0, s6, s0
	s_bfe_u32 s7, ttmp6, 0x40008
	s_lshl_b64 s[4:5], s[4:5], 1
	s_lshl_b64 s[2:3], s[2:3], 1
	s_add_co_i32 s7, s7, s0
	s_cmp_eq_u32 s26, 0
	s_wait_kmcnt 0x0
	s_add_nc_u64 s[4:5], s[10:11], s[4:5]
	s_cselect_b32 s0, s6, s7
	v_lshrrev_b32_e32 v0, 1, v0
	s_add_nc_u64 s[2:3], s[4:5], s[2:3]
	s_mulk_i32 s0, 0xa0
	;;#ASMSTART
	v_cvt_f16_f32 v1, v8;

	;;#ASMEND
	s_add_nc_u64 s[0:1], s[2:3], s[0:1]
	global_store_b16 v0, v1, s[0:1]
	s_wait_xcnt 0x0
	;;#ASMSTART
	v_cvt_f16_f32 v1, v9;

	;;#ASMEND
	global_store_b16 v0, v1, s[0:1] offset:16
	s_wait_xcnt 0x0
	;;#ASMSTART
	v_cvt_f16_f32 v1, v6;

	;;#ASMEND
	global_store_b16 v0, v1, s[0:1] offset:32
	;; [unrolled: 6-line block ×9, first 2 shown]
.LBB92_99:
	s_sendmsg sendmsg(MSG_DEALLOC_VGPRS)
	s_endpgm
.LBB92_100:
	ds_load_b32 v13, v1
	s_wait_dscnt 0x0
	v_add_f32_e32 v8, v8, v13
	s_or_b32 exec_lo, exec_lo, s0
	s_and_saveexec_b32 s0, vcc_lo
	s_cbranch_execz .LBB92_72
.LBB92_101:
	ds_load_b32 v13, v1 offset:32
	s_wait_dscnt 0x0
	v_add_f32_e32 v9, v9, v13
	s_or_b32 exec_lo, exec_lo, s0
	s_and_saveexec_b32 s0, vcc_lo
	s_cbranch_execz .LBB92_73
.LBB92_102:
	ds_load_b32 v13, v1 offset:64
	s_wait_dscnt 0x0
	v_add_f32_e32 v6, v6, v13
	s_or_b32 exec_lo, exec_lo, s0
	s_and_saveexec_b32 s0, vcc_lo
	s_cbranch_execz .LBB92_74
.LBB92_103:
	ds_load_b32 v13, v1 offset:96
	s_wait_dscnt 0x0
	v_add_f32_e32 v7, v7, v13
	s_or_b32 exec_lo, exec_lo, s0
	s_and_saveexec_b32 s0, vcc_lo
	s_cbranch_execz .LBB92_75
.LBB92_104:
	ds_load_b32 v13, v1 offset:128
	s_wait_dscnt 0x0
	v_add_f32_e32 v4, v4, v13
	s_or_b32 exec_lo, exec_lo, s0
	s_and_saveexec_b32 s0, vcc_lo
	s_cbranch_execz .LBB92_76
.LBB92_105:
	ds_load_b32 v13, v1 offset:160
	s_wait_dscnt 0x0
	v_add_f32_e32 v5, v5, v13
	s_or_b32 exec_lo, exec_lo, s0
	s_and_saveexec_b32 s0, vcc_lo
	s_cbranch_execz .LBB92_77
.LBB92_106:
	ds_load_b32 v13, v1 offset:192
	s_wait_dscnt 0x0
	v_add_f32_e32 v2, v2, v13
	s_or_b32 exec_lo, exec_lo, s0
	s_and_saveexec_b32 s0, vcc_lo
	s_cbranch_execz .LBB92_78
.LBB92_107:
	ds_load_b32 v13, v1 offset:224
	s_wait_dscnt 0x0
	v_add_f32_e32 v3, v3, v13
	s_or_b32 exec_lo, exec_lo, s0
	s_and_saveexec_b32 s0, vcc_lo
	s_cbranch_execz .LBB92_79
.LBB92_108:
	ds_load_b32 v13, v1 offset:256
	s_wait_dscnt 0x0
	v_add_f32_e32 v10, v10, v13
	s_or_b32 exec_lo, exec_lo, s0
	s_and_saveexec_b32 s0, vcc_lo
	s_cbranch_execnz .LBB92_80
	s_branch .LBB92_81
.LBB92_109:
	ds_load_b32 v12, v1
	s_wait_dscnt 0x0
	v_add_f32_e32 v8, v8, v12
	s_or_b32 exec_lo, exec_lo, s0
	s_and_saveexec_b32 s0, vcc_lo
	s_cbranch_execz .LBB92_87
.LBB92_110:
	ds_load_b32 v12, v1 offset:32
	s_wait_dscnt 0x0
	v_add_f32_e32 v9, v9, v12
	s_or_b32 exec_lo, exec_lo, s0
	s_and_saveexec_b32 s0, vcc_lo
	s_cbranch_execz .LBB92_88
.LBB92_111:
	ds_load_b32 v12, v1 offset:64
	s_wait_dscnt 0x0
	v_add_f32_e32 v6, v6, v12
	s_or_b32 exec_lo, exec_lo, s0
	s_and_saveexec_b32 s0, vcc_lo
	s_cbranch_execz .LBB92_89
.LBB92_112:
	ds_load_b32 v12, v1 offset:96
	s_wait_dscnt 0x0
	v_add_f32_e32 v7, v7, v12
	s_or_b32 exec_lo, exec_lo, s0
	s_and_saveexec_b32 s0, vcc_lo
	s_cbranch_execz .LBB92_90
.LBB92_113:
	ds_load_b32 v12, v1 offset:128
	s_wait_dscnt 0x0
	v_add_f32_e32 v4, v4, v12
	s_or_b32 exec_lo, exec_lo, s0
	s_and_saveexec_b32 s0, vcc_lo
	s_cbranch_execz .LBB92_91
.LBB92_114:
	ds_load_b32 v12, v1 offset:160
	s_wait_dscnt 0x0
	v_add_f32_e32 v5, v5, v12
	s_or_b32 exec_lo, exec_lo, s0
	s_and_saveexec_b32 s0, vcc_lo
	s_cbranch_execz .LBB92_92
.LBB92_115:
	ds_load_b32 v12, v1 offset:192
	s_wait_dscnt 0x0
	v_add_f32_e32 v2, v2, v12
	s_or_b32 exec_lo, exec_lo, s0
	s_and_saveexec_b32 s0, vcc_lo
	s_cbranch_execz .LBB92_93
.LBB92_116:
	ds_load_b32 v12, v1 offset:224
	s_wait_dscnt 0x0
	v_add_f32_e32 v3, v3, v12
	s_or_b32 exec_lo, exec_lo, s0
	s_and_saveexec_b32 s0, vcc_lo
	s_cbranch_execz .LBB92_94
.LBB92_117:
	ds_load_b32 v12, v1 offset:256
	s_wait_dscnt 0x0
	v_add_f32_e32 v10, v10, v12
	s_or_b32 exec_lo, exec_lo, s0
	s_and_saveexec_b32 s0, vcc_lo
	s_cbranch_execnz .LBB92_95
	s_branch .LBB92_96
	.section	.rodata,"a",@progbits
	.p2align	6, 0x0
	.amdhsa_kernel _ZN4vllm25paged_attention_v1_kernelIttLi80ELi32ELi128ELNS_18Fp8KVCacheDataTypeE0ELb1EEEvPT_PKS2_PKT0_S8_ifPKiSA_iPKfiiiSC_SC_iiiii
		.amdhsa_group_segment_fixed_size 192
		.amdhsa_private_segment_fixed_size 0
		.amdhsa_kernarg_size 384
		.amdhsa_user_sgpr_count 2
		.amdhsa_user_sgpr_dispatch_ptr 0
		.amdhsa_user_sgpr_queue_ptr 0
		.amdhsa_user_sgpr_kernarg_segment_ptr 1
		.amdhsa_user_sgpr_dispatch_id 0
		.amdhsa_user_sgpr_kernarg_preload_length 0
		.amdhsa_user_sgpr_kernarg_preload_offset 0
		.amdhsa_user_sgpr_private_segment_size 0
		.amdhsa_wavefront_size32 1
		.amdhsa_uses_dynamic_stack 0
		.amdhsa_enable_private_segment 0
		.amdhsa_system_sgpr_workgroup_id_x 1
		.amdhsa_system_sgpr_workgroup_id_y 1
		.amdhsa_system_sgpr_workgroup_id_z 1
		.amdhsa_system_sgpr_workgroup_info 0
		.amdhsa_system_vgpr_workitem_id 0
		.amdhsa_next_free_vgpr 95
		.amdhsa_next_free_sgpr 38
		.amdhsa_named_barrier_count 0
		.amdhsa_reserve_vcc 1
		.amdhsa_float_round_mode_32 0
		.amdhsa_float_round_mode_16_64 0
		.amdhsa_float_denorm_mode_32 3
		.amdhsa_float_denorm_mode_16_64 3
		.amdhsa_fp16_overflow 0
		.amdhsa_memory_ordered 1
		.amdhsa_forward_progress 1
		.amdhsa_inst_pref_size 79
		.amdhsa_round_robin_scheduling 0
		.amdhsa_exception_fp_ieee_invalid_op 0
		.amdhsa_exception_fp_denorm_src 0
		.amdhsa_exception_fp_ieee_div_zero 0
		.amdhsa_exception_fp_ieee_overflow 0
		.amdhsa_exception_fp_ieee_underflow 0
		.amdhsa_exception_fp_ieee_inexact 0
		.amdhsa_exception_int_div_zero 0
	.end_amdhsa_kernel
	.section	.text._ZN4vllm25paged_attention_v1_kernelIttLi80ELi32ELi128ELNS_18Fp8KVCacheDataTypeE0ELb1EEEvPT_PKS2_PKT0_S8_ifPKiSA_iPKfiiiSC_SC_iiiii,"axG",@progbits,_ZN4vllm25paged_attention_v1_kernelIttLi80ELi32ELi128ELNS_18Fp8KVCacheDataTypeE0ELb1EEEvPT_PKS2_PKT0_S8_ifPKiSA_iPKfiiiSC_SC_iiiii,comdat
.Lfunc_end92:
	.size	_ZN4vllm25paged_attention_v1_kernelIttLi80ELi32ELi128ELNS_18Fp8KVCacheDataTypeE0ELb1EEEvPT_PKS2_PKT0_S8_ifPKiSA_iPKfiiiSC_SC_iiiii, .Lfunc_end92-_ZN4vllm25paged_attention_v1_kernelIttLi80ELi32ELi128ELNS_18Fp8KVCacheDataTypeE0ELb1EEEvPT_PKS2_PKT0_S8_ifPKiSA_iPKfiiiSC_SC_iiiii
                                        ; -- End function
	.set _ZN4vllm25paged_attention_v1_kernelIttLi80ELi32ELi128ELNS_18Fp8KVCacheDataTypeE0ELb1EEEvPT_PKS2_PKT0_S8_ifPKiSA_iPKfiiiSC_SC_iiiii.num_vgpr, 95
	.set _ZN4vllm25paged_attention_v1_kernelIttLi80ELi32ELi128ELNS_18Fp8KVCacheDataTypeE0ELb1EEEvPT_PKS2_PKT0_S8_ifPKiSA_iPKfiiiSC_SC_iiiii.num_agpr, 0
	.set _ZN4vllm25paged_attention_v1_kernelIttLi80ELi32ELi128ELNS_18Fp8KVCacheDataTypeE0ELb1EEEvPT_PKS2_PKT0_S8_ifPKiSA_iPKfiiiSC_SC_iiiii.numbered_sgpr, 38
	.set _ZN4vllm25paged_attention_v1_kernelIttLi80ELi32ELi128ELNS_18Fp8KVCacheDataTypeE0ELb1EEEvPT_PKS2_PKT0_S8_ifPKiSA_iPKfiiiSC_SC_iiiii.num_named_barrier, 0
	.set _ZN4vllm25paged_attention_v1_kernelIttLi80ELi32ELi128ELNS_18Fp8KVCacheDataTypeE0ELb1EEEvPT_PKS2_PKT0_S8_ifPKiSA_iPKfiiiSC_SC_iiiii.private_seg_size, 0
	.set _ZN4vllm25paged_attention_v1_kernelIttLi80ELi32ELi128ELNS_18Fp8KVCacheDataTypeE0ELb1EEEvPT_PKS2_PKT0_S8_ifPKiSA_iPKfiiiSC_SC_iiiii.uses_vcc, 1
	.set _ZN4vllm25paged_attention_v1_kernelIttLi80ELi32ELi128ELNS_18Fp8KVCacheDataTypeE0ELb1EEEvPT_PKS2_PKT0_S8_ifPKiSA_iPKfiiiSC_SC_iiiii.uses_flat_scratch, 0
	.set _ZN4vllm25paged_attention_v1_kernelIttLi80ELi32ELi128ELNS_18Fp8KVCacheDataTypeE0ELb1EEEvPT_PKS2_PKT0_S8_ifPKiSA_iPKfiiiSC_SC_iiiii.has_dyn_sized_stack, 0
	.set _ZN4vllm25paged_attention_v1_kernelIttLi80ELi32ELi128ELNS_18Fp8KVCacheDataTypeE0ELb1EEEvPT_PKS2_PKT0_S8_ifPKiSA_iPKfiiiSC_SC_iiiii.has_recursion, 0
	.set _ZN4vllm25paged_attention_v1_kernelIttLi80ELi32ELi128ELNS_18Fp8KVCacheDataTypeE0ELb1EEEvPT_PKS2_PKT0_S8_ifPKiSA_iPKfiiiSC_SC_iiiii.has_indirect_call, 0
	.section	.AMDGPU.csdata,"",@progbits
; Kernel info:
; codeLenInByte = 10004
; TotalNumSgprs: 40
; NumVgprs: 95
; ScratchSize: 0
; MemoryBound: 0
; FloatMode: 240
; IeeeMode: 1
; LDSByteSize: 192 bytes/workgroup (compile time only)
; SGPRBlocks: 0
; VGPRBlocks: 5
; NumSGPRsForWavesPerEU: 40
; NumVGPRsForWavesPerEU: 95
; NamedBarCnt: 0
; Occupancy: 10
; WaveLimiterHint : 1
; COMPUTE_PGM_RSRC2:SCRATCH_EN: 0
; COMPUTE_PGM_RSRC2:USER_SGPR: 2
; COMPUTE_PGM_RSRC2:TRAP_HANDLER: 0
; COMPUTE_PGM_RSRC2:TGID_X_EN: 1
; COMPUTE_PGM_RSRC2:TGID_Y_EN: 1
; COMPUTE_PGM_RSRC2:TGID_Z_EN: 1
; COMPUTE_PGM_RSRC2:TIDIG_COMP_CNT: 0
	.section	.text._ZN4vllm25paged_attention_v1_kernelIttLi96ELi32ELi128ELNS_18Fp8KVCacheDataTypeE0ELb1EEEvPT_PKS2_PKT0_S8_ifPKiSA_iPKfiiiSC_SC_iiiii,"axG",@progbits,_ZN4vllm25paged_attention_v1_kernelIttLi96ELi32ELi128ELNS_18Fp8KVCacheDataTypeE0ELb1EEEvPT_PKS2_PKT0_S8_ifPKiSA_iPKfiiiSC_SC_iiiii,comdat
	.protected	_ZN4vllm25paged_attention_v1_kernelIttLi96ELi32ELi128ELNS_18Fp8KVCacheDataTypeE0ELb1EEEvPT_PKS2_PKT0_S8_ifPKiSA_iPKfiiiSC_SC_iiiii ; -- Begin function _ZN4vllm25paged_attention_v1_kernelIttLi96ELi32ELi128ELNS_18Fp8KVCacheDataTypeE0ELb1EEEvPT_PKS2_PKT0_S8_ifPKiSA_iPKfiiiSC_SC_iiiii
	.globl	_ZN4vllm25paged_attention_v1_kernelIttLi96ELi32ELi128ELNS_18Fp8KVCacheDataTypeE0ELb1EEEvPT_PKS2_PKT0_S8_ifPKiSA_iPKfiiiSC_SC_iiiii
	.p2align	8
	.type	_ZN4vllm25paged_attention_v1_kernelIttLi96ELi32ELi128ELNS_18Fp8KVCacheDataTypeE0ELb1EEEvPT_PKS2_PKT0_S8_ifPKiSA_iPKfiiiSC_SC_iiiii,@function
_ZN4vllm25paged_attention_v1_kernelIttLi96ELi32ELi128ELNS_18Fp8KVCacheDataTypeE0ELb1EEEvPT_PKS2_PKT0_S8_ifPKiSA_iPKfiiiSC_SC_iiiii: ; @_ZN4vllm25paged_attention_v1_kernelIttLi96ELi32ELi128ELNS_18Fp8KVCacheDataTypeE0ELb1EEEvPT_PKS2_PKT0_S8_ifPKiSA_iPKfiiiSC_SC_iiiii
; %bb.0:
	s_load_b64 s[22:23], s[0:1], 0x20
	s_bfe_u32 s3, ttmp6, 0x4000c
	s_bfe_u32 s4, ttmp6, 0x40010
	s_and_b32 s6, ttmp7, 0xffff
	s_add_co_i32 s3, s3, 1
	s_add_co_i32 s4, s4, 1
	s_and_b32 s2, ttmp6, 15
	s_bfe_u32 s5, ttmp6, 0x40004
	s_mul_i32 s3, ttmp9, s3
	s_mul_i32 s4, s6, s4
	s_getreg_b32 s26, hwreg(HW_REG_IB_STS2, 6, 4)
	s_add_co_i32 s2, s2, s3
	s_add_co_i32 s3, s5, s4
	s_cmp_eq_u32 s26, 0
	s_clause 0x1
	s_load_b32 s27, s[0:1], 0x80
	s_load_b64 s[4:5], s[0:1], 0x30
	s_cselect_b32 s28, s6, s3
	s_cselect_b32 s2, ttmp9, s2
	s_mov_b32 s15, 0
	s_delay_alu instid0(SALU_CYCLE_1) | instskip(SKIP_2) | instid1(SALU_CYCLE_1)
	s_mov_b32 s34, s15
	s_wait_kmcnt 0x0
	s_abs_i32 s3, s22
	s_cvt_f32_u32 s6, s3
	s_sub_co_i32 s7, 0, s3
	s_delay_alu instid0(SALU_CYCLE_2) | instskip(SKIP_2) | instid1(TRANS32_DEP_1)
	v_rcp_iflag_f32_e32 v1, s6
	s_abs_i32 s8, s27
	v_nop
	v_readfirstlane_b32 s6, v1
	s_mul_f32 s6, s6, 0x4f7ffffe
	s_delay_alu instid0(SALU_CYCLE_3) | instskip(NEXT) | instid1(SALU_CYCLE_3)
	s_cvt_u32_f32 s6, s6
	s_mul_i32 s7, s7, s6
	s_delay_alu instid0(SALU_CYCLE_1) | instskip(NEXT) | instid1(SALU_CYCLE_1)
	s_mul_hi_u32 s7, s6, s7
	s_add_co_i32 s6, s6, s7
	s_xor_b32 s7, s27, s22
	s_mul_hi_u32 s6, s8, s6
	s_ashr_i32 s7, s7, 31
	s_mul_i32 s9, s6, s3
	s_delay_alu instid0(SALU_CYCLE_1)
	s_sub_co_i32 s8, s8, s9
	s_add_co_i32 s9, s6, 1
	s_sub_co_i32 s10, s8, s3
	s_cmp_ge_u32 s8, s3
	s_cselect_b32 s6, s9, s6
	s_cselect_b32 s8, s10, s8
	s_add_co_i32 s9, s6, 1
	s_cmp_ge_u32 s8, s3
	s_cselect_b32 s3, s9, s6
	s_load_b64 s[8:9], s[0:1], 0x40
	s_xor_b32 s3, s3, s7
	s_abs_i32 s14, s2
	s_sub_co_i32 s12, s3, s7
	s_mov_b32 s7, s15
	s_abs_i32 s11, s12
	s_delay_alu instid0(SALU_CYCLE_1) | instskip(SKIP_1) | instid1(SALU_CYCLE_2)
	s_cvt_f32_u32 s3, s11
	s_sub_co_i32 s6, 0, s11
	v_rcp_iflag_f32_e32 v1, s3
	v_nop
	s_delay_alu instid0(TRANS32_DEP_1) | instskip(SKIP_1) | instid1(SALU_CYCLE_3)
	v_readfirstlane_b32 s3, v1
	s_mul_f32 s3, s3, 0x4f7ffffe
	s_cvt_u32_f32 s3, s3
	s_delay_alu instid0(SALU_CYCLE_3) | instskip(NEXT) | instid1(SALU_CYCLE_1)
	s_mul_i32 s6, s6, s3
	s_mul_hi_u32 s6, s3, s6
	s_delay_alu instid0(SALU_CYCLE_1)
	s_add_co_i32 s6, s3, s6
	s_wait_kmcnt 0x0
	s_cmp_eq_u64 s[8:9], 0
	s_cbranch_scc1 .LBB93_2
; %bb.1:
	s_ashr_i32 s3, s2, 31
	s_delay_alu instid0(SALU_CYCLE_1) | instskip(NEXT) | instid1(SALU_CYCLE_1)
	s_lshl_b64 s[16:17], s[2:3], 2
	s_add_nc_u64 s[8:9], s[8:9], s[16:17]
	s_load_b32 s34, s[8:9], 0x0
.LBB93_2:
	s_load_b32 s29, s[4:5], s28 offset:0x0 scale_offset
	s_wait_xcnt 0x0
	s_load_b96 s[8:10], s[0:1], 0x48
	v_lshlrev_b32_e32 v1, 4, v0
	s_ashr_i32 s3, s2, 31
	s_ashr_i32 s18, s12, 31
	s_mul_u64 s[16:17], s[14:15], s[6:7]
	s_mul_i32 s12, s2, 0x60
	s_mov_b32 s4, exec_lo
	v_cmpx_gt_u32_e32 12, v0
	s_cbranch_execz .LBB93_4
; %bb.3:
	s_load_b64 s[6:7], s[0:1], 0x8
	s_wait_kmcnt 0x0
	s_mul_i32 s20, s8, s28
	s_ashr_i32 s13, s12, 31
	s_ashr_i32 s21, s20, 31
	s_delay_alu instid0(SALU_CYCLE_1) | instskip(NEXT) | instid1(SALU_CYCLE_1)
	s_lshl_b64 s[20:21], s[20:21], 1
	s_add_nc_u64 s[6:7], s[6:7], s[20:21]
	s_lshl_b64 s[20:21], s[12:13], 1
	s_delay_alu instid0(SALU_CYCLE_1)
	s_add_nc_u64 s[6:7], s[6:7], s[20:21]
	global_load_b128 v[2:5], v0, s[6:7] scale_offset
	s_wait_loadcnt 0x0
	ds_store_b128 v1, v[2:5]
.LBB93_4:
	s_or_b32 exec_lo, exec_lo, s4
	s_load_b128 s[4:7], s[0:1], 0x68
	s_wait_kmcnt 0x0
	s_mul_i32 s8, s17, s11
	s_xor_b32 s3, s3, s18
	s_sub_co_i32 s8, s14, s8
	s_add_co_i32 s13, s17, 1
	s_sub_co_i32 s14, s8, s11
	s_cmp_ge_u32 s8, s11
	s_mov_b32 s19, -1
	s_cselect_b32 s13, s13, s17
	s_cselect_b32 s8, s14, s8
	s_add_co_i32 s14, s13, 1
	s_cmp_ge_u32 s8, s11
	s_load_b32 s11, s[0:1], 0x78
	s_cselect_b32 s13, s14, s13
	s_add_co_i32 s18, s29, -1
	s_xor_b32 s13, s13, s3
	s_mov_b32 s17, 0
	s_sub_co_i32 s3, s13, s3
	s_abs_i32 s16, s18
	s_mov_b32 s15, s17
	s_abs_i32 s8, s7
	s_wait_dscnt 0x0
	s_cvt_f32_u32 s14, s8
	s_barrier_signal -1
	s_barrier_wait -1
	s_delay_alu instid0(SALU_CYCLE_1) | instskip(SKIP_1) | instid1(TRANS32_DEP_1)
	v_rcp_iflag_f32_e32 v2, s14
	v_nop
	v_readfirstlane_b32 s14, v2
	s_mul_f32 s13, s14, 0x4f7ffffe
	s_sub_co_i32 s14, 0, s8
	s_delay_alu instid0(SALU_CYCLE_2) | instskip(NEXT) | instid1(SALU_CYCLE_3)
	s_cvt_u32_f32 s13, s13
	s_mul_i32 s14, s14, s13
	s_delay_alu instid0(SALU_CYCLE_1) | instskip(NEXT) | instid1(SALU_CYCLE_1)
	s_mul_hi_u32 s14, s13, s14
	s_add_co_i32 s14, s13, s14
	s_wait_kmcnt 0x0
	s_cmp_lt_i32 s11, 0
                                        ; implicit-def: $sgpr13
	s_cbranch_scc0 .LBB93_6
; %bb.5:
	s_mul_i32 s13, s4, s22
	s_mov_b32 s19, s17
	s_add_co_i32 s13, s3, s13
	s_delay_alu instid0(SALU_CYCLE_1) | instskip(NEXT) | instid1(SALU_CYCLE_1)
	s_mul_i32 s13, s13, s11
	s_sub_co_i32 s13, 1, s13
.LBB93_6:
	s_ashr_i32 s18, s18, 31
	s_ashr_i32 s30, s7, 31
	s_and_not1_b32 vcc_lo, exec_lo, s19
	s_mul_u64 s[20:21], s[16:17], s[14:15]
	s_cbranch_vccnz .LBB93_8
; %bb.7:
	s_mul_i32 s4, s27, s4
	s_delay_alu instid0(SALU_CYCLE_1) | instskip(NEXT) | instid1(SALU_CYCLE_1)
	s_add_co_i32 s2, s4, s2
	s_mul_i32 s2, s2, s11
	s_delay_alu instid0(SALU_CYCLE_1)
	s_add_co_i32 s13, s2, 1
.LBB93_8:
	s_load_b32 s2, s[0:1], 0x38
	s_mul_i32 s7, s21, s8
	s_xor_b32 s4, s18, s30
	s_sub_co_i32 s20, s16, s7
	s_add_co_i32 s11, s21, 1
	s_clause 0x1
	s_load_b64 s[16:17], s[0:1], 0x28
	s_load_b32 s7, s[0:1], 0x88
	v_dual_lshrrev_b32 v58, 5, v0 :: v_dual_bitop2_b32 v59, 31, v0 bitop3:0x40
	v_dual_mov_b32 v61, 0xff7fffff :: v_dual_lshrrev_b32 v60, 3, v0
	s_delay_alu instid0(VALU_DEP_2)
	v_dual_lshlrev_b32 v46, 5, v58 :: v_dual_lshlrev_b32 v47, 2, v59
	s_wait_kmcnt 0x0
	s_mul_i32 s18, s2, s28
	s_sub_co_i32 s2, s20, s8
	s_ashr_i32 s19, s18, 31
	s_cmp_ge_u32 s20, s8
	s_cselect_b32 s11, s11, s21
	s_cselect_b32 s2, s2, s20
	s_add_co_i32 s20, s11, 1
	s_cmp_ge_u32 s2, s8
	s_cselect_b32 s2, s20, s11
	s_add_co_i32 s11, s29, 31
	s_delay_alu instid0(SALU_CYCLE_1) | instskip(NEXT) | instid1(SALU_CYCLE_1)
	s_ashr_i32 s20, s11, 31
	s_lshr_b32 s20, s20, 27
	s_delay_alu instid0(SALU_CYCLE_1)
	s_add_co_i32 s11, s11, s20
	s_mul_i32 s20, s3, s10
	s_ashr_i32 s31, s11, 5
	s_xor_b32 s11, s2, s4
	v_cmp_gt_i32_e64 s2, s31, v58
	s_sub_co_i32 s33, s11, s4
	s_and_saveexec_b32 s22, s2
	s_cbranch_execz .LBB93_16
; %bb.9:
	s_ashr_i32 s21, s20, 31
	s_sub_co_i32 s35, s33, s5
	s_ashr_i32 s11, s9, 31
	s_lshl_b64 s[24:25], s[20:21], 1
	s_cmp_neq_f32 s34, 0
	s_load_b64 s[36:37], s[0:1], 0x10
	v_dual_mov_b32 v49, 0 :: v_dual_lshlrev_b32 v48, 4, v59
	s_cselect_b32 vcc_lo, -1, 0
	s_abs_i32 s21, s6
	v_subrev_nc_u32_e32 v3, s29, v59
	s_cvt_f32_u32 s3, s21
	v_lshl_or_b32 v4, v58, 7, v47
	s_sub_co_i32 s4, 0, s21
	v_dual_mov_b32 v62, 0xff7fffff :: v_dual_mov_b32 v61, 0xff7fffff
	v_rcp_iflag_f32_e32 v2, s3
	v_dual_mov_b32 v63, v58 :: v_dual_add_nc_u32 v64, 1, v3
	v_add_nc_u32_e32 v65, 0xe0, v4
	s_mov_b32 s10, s9
	s_delay_alu instid0(TRANS32_DEP_1) | instskip(SKIP_2) | instid1(SALU_CYCLE_1)
	v_readfirstlane_b32 s3, v2
	s_wait_kmcnt 0x0
	s_add_nc_u64 s[24:25], s[36:37], s[24:25]
	v_add_nc_u64_e32 v[50:51], s[24:25], v[48:49]
	s_mul_f32 s3, s3, 0x4f7ffffe
	v_and_b32_e32 v48, 0x7c, v60
	s_lshl_b64 s[24:25], s[18:19], 2
	s_delay_alu instid0(SALU_CYCLE_1)
	s_cvt_u32_f32 s3, s3
	s_add_nc_u64 s[24:25], s[16:17], s[24:25]
	s_delay_alu instid0(VALU_DEP_1) | instid1(SALU_CYCLE_1)
	v_add_nc_u64_e32 v[52:53], s[24:25], v[48:49]
	s_delay_alu instid0(SALU_CYCLE_1)
	s_mul_i32 s4, s4, s3
	v_lshlrev_b32_e32 v48, 5, v58
	s_mul_hi_u32 s4, s3, s4
	s_mov_b32 s25, 0
	s_add_co_i32 s24, s3, s4
	s_mov_b32 s36, s25
	s_branch .LBB93_11
.LBB93_10:                              ;   in Loop: Header=BB93_11 Depth=1
	s_or_b32 exec_lo, exec_lo, s4
	v_add_nc_u32_e32 v63, 4, v63
	v_add_nc_u64_e32 v[52:53], 16, v[52:53]
	v_add_nc_u32_e32 v48, 0x80, v48
	v_add_nc_u32_e32 v65, 0x200, v65
	s_delay_alu instid0(VALU_DEP_4) | instskip(SKIP_1) | instid1(SALU_CYCLE_1)
	v_cmp_le_i32_e64 s3, s31, v63
	s_or_b32 s36, s3, s36
	s_and_not1_b32 exec_lo, exec_lo, s36
	s_cbranch_execz .LBB93_15
.LBB93_11:                              ; =>This Inner Loop Header: Depth=1
	v_mul_u64_e32 v[2:3], s[14:15], v[48:49]
	s_delay_alu instid0(VALU_DEP_1) | instskip(NEXT) | instid1(VALU_DEP_1)
	v_mul_lo_u32 v2, v3, s8
	v_dual_add_nc_u32 v4, 1, v3 :: v_dual_sub_nc_u32 v2, v48, v2
	s_delay_alu instid0(VALU_DEP_1) | instskip(SKIP_1) | instid1(VALU_DEP_1)
	v_subrev_nc_u32_e32 v5, s8, v2
	v_cmp_le_u32_e64 s3, s8, v2
	v_dual_cndmask_b32 v3, v3, v4, s3 :: v_dual_cndmask_b32 v2, v2, v5, s3
	s_delay_alu instid0(VALU_DEP_1) | instskip(NEXT) | instid1(VALU_DEP_2)
	v_add_nc_u32_e32 v4, 1, v3
	v_cmp_le_u32_e64 s3, s8, v2
	s_delay_alu instid0(VALU_DEP_1) | instskip(NEXT) | instid1(VALU_DEP_1)
	v_dual_cndmask_b32 v2, v3, v4, s3 :: v_dual_mov_b32 v3, v49
	v_xor_b32_e32 v2, s30, v2
	s_delay_alu instid0(VALU_DEP_1) | instskip(NEXT) | instid1(VALU_DEP_1)
	v_subrev_nc_u32_e32 v6, s30, v2
	v_add_nc_u32_e32 v7, s13, v6
	v_cmp_ge_i32_e64 s4, s35, v6
	s_delay_alu instid0(VALU_DEP_2) | instskip(NEXT) | instid1(VALU_DEP_1)
	v_sub_nc_u32_e32 v2, 0, v7
	v_max_i32_e32 v2, v7, v2
	s_delay_alu instid0(VALU_DEP_1) | instskip(SKIP_1) | instid1(VALU_DEP_2)
	v_mul_u64_e32 v[4:5], s[24:25], v[2:3]
	v_ashrrev_i32_e32 v4, 31, v7
	v_mul_lo_u32 v3, v5, s21
	s_delay_alu instid0(VALU_DEP_1) | instskip(NEXT) | instid1(VALU_DEP_1)
	v_sub_nc_u32_e32 v2, v2, v3
	v_subrev_nc_u32_e32 v3, s21, v2
	v_cmp_le_u32_e64 s3, s21, v2
	s_delay_alu instid0(VALU_DEP_1) | instskip(NEXT) | instid1(VALU_DEP_1)
	v_cndmask_b32_e64 v2, v2, v3, s3
	v_subrev_nc_u32_e32 v3, s21, v2
	v_cmp_le_u32_e64 s3, s21, v2
	s_delay_alu instid0(VALU_DEP_1) | instskip(NEXT) | instid1(VALU_DEP_1)
	v_cndmask_b32_e64 v2, v2, v3, s3
	v_xor_b32_e32 v2, v2, v4
	s_delay_alu instid0(VALU_DEP_1) | instskip(NEXT) | instid1(VALU_DEP_1)
	v_sub_nc_u32_e32 v2, v2, v4
	v_cmp_ne_u32_e64 s3, 0, v2
	s_and_b32 s3, s3, s4
	s_delay_alu instid0(SALU_CYCLE_1) | instskip(NEXT) | instid1(SALU_CYCLE_1)
	s_and_saveexec_b32 s4, s3
	s_xor_b32 s3, exec_lo, s4
; %bb.12:                               ;   in Loop: Header=BB93_11 Depth=1
	ds_store_b32 v65, v62
; %bb.13:                               ;   in Loop: Header=BB93_11 Depth=1
	s_and_not1_saveexec_b32 s4, s3
	s_cbranch_execz .LBB93_10
; %bb.14:                               ;   in Loop: Header=BB93_11 Depth=1
	global_load_b32 v2, v[52:53], off
	s_wait_loadcnt 0x0
	v_ashrrev_i32_e32 v3, 31, v2
	s_delay_alu instid0(VALU_DEP_1) | instskip(NEXT) | instid1(VALU_DEP_1)
	v_mul_u64_e32 v[2:3], s[10:11], v[2:3]
	v_lshl_add_u64 v[54:55], v[2:3], 1, v[50:51]
	s_clause 0xa
	global_load_b128 v[78:81], v[54:55], off
	global_load_b128 v[42:45], v[54:55], off offset:512
	global_load_b128 v[38:41], v[54:55], off offset:1024
	;; [unrolled: 1-line block ×10, first 2 shown]
	ds_load_b128 v[2:5], v49
	s_wait_dscnt 0x0
	v_lshrrev_b32_e32 v70, 16, v2
	v_and_b32_e32 v71, 0xffff, v2
	v_dual_lshrrev_b32 v56, 16, v3 :: v_dual_lshrrev_b32 v67, 16, v4
	v_and_b32_e32 v57, 0xffff, v3
	v_and_b32_e32 v69, 0xffff, v4
	v_lshrrev_b32_e32 v66, 16, v5
	v_and_b32_e32 v68, 0xffff, v5
	global_load_b128 v[2:5], v[54:55], off offset:5632
	s_wait_xcnt 0x0
	;;#ASMSTART
	v_cvt_f32_f16 v54, v71;
	;;#ASMEND
	;;#ASMSTART
	v_cvt_f32_f16 v55, v70;
	;;#ASMEND
	s_wait_loadcnt 0xb
	v_lshrrev_b32_e32 v75, 16, v78
	v_and_b32_e32 v77, 0xffff, v78
	v_dual_lshrrev_b32 v73, 16, v79 :: v_dual_lshrrev_b32 v71, 16, v80
	v_and_b32_e32 v76, 0xffff, v79
	v_and_b32_e32 v74, 0xffff, v80
	v_lshrrev_b32_e32 v70, 16, v81
	v_and_b32_e32 v72, 0xffff, v81
	s_wait_loadcnt 0xa
	v_and_b32_e32 v78, 0xffff, v42
	v_dual_lshrrev_b32 v42, 16, v42 :: v_dual_lshrrev_b32 v92, 16, v43
	v_lshrrev_b32_e32 v94, 16, v44
	v_and_b32_e32 v93, 0xffff, v44
	v_and_b32_e32 v79, 0xffff, v45
	s_wait_loadcnt 0x9
	v_dual_lshrrev_b32 v80, 16, v45 :: v_dual_lshrrev_b32 v108, 16, v38
	v_and_b32_e32 v107, 0xffff, v38
	v_and_b32_e32 v97, 0xffff, v39
	v_dual_lshrrev_b32 v98, 16, v39 :: v_dual_lshrrev_b32 v96, 16, v40
	v_and_b32_e32 v95, 0xffff, v40
	v_and_b32_e32 v81, 0xffff, v41
	s_wait_loadcnt 0x8
	v_dual_lshrrev_b32 v82, 16, v41 :: v_dual_lshrrev_b32 v89, 16, v34
	v_and_b32_e32 v88, 0xffff, v34
	v_and_b32_e32 v84, 0xffff, v35
	v_dual_lshrrev_b32 v85, 16, v35 :: v_dual_lshrrev_b32 v86, 16, v36
	v_and_b32_e32 v90, 0xffff, v36
	s_wait_loadcnt 0x7
	v_dual_lshrrev_b32 v83, 16, v37 :: v_dual_lshrrev_b32 v104, 16, v30
	v_and_b32_e32 v87, 0xffff, v37
	v_and_b32_e32 v106, 0xffff, v30
	v_dual_lshrrev_b32 v102, 16, v31 :: v_dual_lshrrev_b32 v100, 16, v32
	v_and_b32_e32 v105, 0xffff, v31
	v_and_b32_e32 v103, 0xffff, v32
	v_lshrrev_b32_e32 v99, 16, v33
	v_and_b32_e32 v101, 0xffff, v33
	;;#ASMSTART
	v_cvt_f32_f16 v110, v77;
	;;#ASMEND
	;;#ASMSTART
	v_cvt_f32_f16 v111, v75;
	;;#ASMEND
	;;#ASMSTART
	v_cvt_f32_f16 v45, v57;
	;;#ASMEND
	;;#ASMSTART
	v_cvt_f32_f16 v44, v56;
	;;#ASMEND
	;;#ASMSTART
	v_cvt_f32_f16 v57, v76;
	;;#ASMEND
	;;#ASMSTART
	v_cvt_f32_f16 v56, v73;
	;;#ASMEND
	;;#ASMSTART
	v_cvt_f32_f16 v39, v69;
	;;#ASMEND
	;;#ASMSTART
	v_cvt_f32_f16 v38, v67;
	;;#ASMEND
	;;#ASMSTART
	v_cvt_f32_f16 v41, v74;
	;;#ASMEND
	;;#ASMSTART
	v_cvt_f32_f16 v40, v71;
	;;#ASMEND
	;;#ASMSTART
	v_cvt_f32_f16 v35, v68;
	;;#ASMEND
	;;#ASMSTART
	v_cvt_f32_f16 v34, v66;
	;;#ASMEND
	;;#ASMSTART
	v_cvt_f32_f16 v37, v72;
	;;#ASMEND
	;;#ASMSTART
	v_cvt_f32_f16 v36, v70;
	;;#ASMEND
	ds_load_b128 v[30:33], v49 offset:16
	v_and_b32_e32 v91, 0xffff, v43
	s_wait_loadcnt 0x3
	v_and_b32_e32 v109, 0xffff, v16
	s_wait_loadcnt 0x2
	v_dual_lshrrev_b32 v112, 16, v11 :: v_dual_lshrrev_b32 v114, 16, v12
	v_and_b32_e32 v115, 0xffff, v12
	v_and_b32_e32 v113, 0xffff, v11
	;; [unrolled: 1-line block ×3, first 2 shown]
	s_wait_loadcnt 0x1
	v_dual_lshrrev_b32 v77, 16, v6 :: v_dual_lshrrev_b32 v74, 16, v7
	v_and_b32_e32 v76, 0xffff, v9
	v_lshrrev_b32_e32 v75, 16, v8
	s_wait_dscnt 0x0
	v_and_b32_e32 v43, 0xffff, v30
	v_lshrrev_b32_e32 v30, 16, v30
	;;#ASMSTART
	v_cvt_f32_f16 v66, v43;
	;;#ASMEND
	;;#ASMSTART
	v_cvt_f32_f16 v67, v30;
	;;#ASMEND
	;; [unrolled: 3-line block ×4, first 2 shown]
	v_pk_mul_f32 v[42:43], v[66:67], v[68:69]
	v_lshrrev_b32_e32 v66, 16, v26
	v_and_b32_e32 v67, 0xffff, v26
	v_and_b32_e32 v26, 0xffff, v31
	;; [unrolled: 1-line block ×3, first 2 shown]
	v_pk_fma_f32 v[42:43], v[54:55], v[110:111], v[42:43]
	v_lshrrev_b32_e32 v54, 16, v27
	v_dual_lshrrev_b32 v31, 16, v31 :: v_dual_lshrrev_b32 v69, 16, v22
	;;#ASMSTART
	v_cvt_f32_f16 v27, v26;
	;;#ASMEND
	;;#ASMSTART
	v_cvt_f32_f16 v26, v31;
	;;#ASMEND
	;;#ASMSTART
	v_cvt_f32_f16 v71, v91;
	;;#ASMEND
	;;#ASMSTART
	v_cvt_f32_f16 v70, v92;
	;;#ASMEND
	v_pk_mul_f32 v[26:27], v[26:27], v[70:71]
	v_and_b32_e32 v70, 0xffff, v22
	v_dual_lshrrev_b32 v31, 16, v23 :: v_dual_lshrrev_b32 v22, 16, v24
	v_and_b32_e32 v71, 0xffff, v18
	s_delay_alu instid0(VALU_DEP_4)
	v_pk_fma_f32 v[26:27], v[44:45], v[56:57], v[26:27]
	v_and_b32_e32 v44, 0xffff, v23
	v_and_b32_e32 v23, 0xffff, v24
	v_lshrrev_b32_e32 v24, 16, v25
	v_and_b32_e32 v45, 0xffff, v32
	v_lshrrev_b32_e32 v32, 16, v32
	;;#ASMSTART
	v_cvt_f32_f16 v57, v45;
	;;#ASMEND
	;;#ASMSTART
	v_cvt_f32_f16 v56, v32;
	;;#ASMEND
	;;#ASMSTART
	v_cvt_f32_f16 v73, v93;
	;;#ASMEND
	;;#ASMSTART
	v_cvt_f32_f16 v72, v94;
	;;#ASMEND
	v_pk_mul_f32 v[56:57], v[56:57], v[72:73]
	v_lshrrev_b32_e32 v45, 16, v18
	v_and_b32_e32 v72, 0xffff, v19
	v_lshrrev_b32_e32 v94, 16, v14
	v_and_b32_e32 v18, 0xffff, v33
	v_pk_fma_f32 v[40:41], v[38:39], v[40:41], v[56:57]
	v_dual_lshrrev_b32 v56, 16, v19 :: v_dual_lshrrev_b32 v19, 16, v33
	v_and_b32_e32 v111, 0xffff, v14
	v_dual_lshrrev_b32 v33, 16, v15 :: v_dual_lshrrev_b32 v92, 16, v16
	v_and_b32_e32 v110, 0xffff, v15
	;;#ASMSTART
	v_cvt_f32_f16 v15, v18;
	;;#ASMEND
	;;#ASMSTART
	v_cvt_f32_f16 v14, v19;
	;;#ASMEND
	v_lshrrev_b32_e32 v91, 16, v17
	v_and_b32_e32 v93, 0xffff, v17
	;;#ASMSTART
	v_cvt_f32_f16 v17, v79;
	;;#ASMEND
	;;#ASMSTART
	v_cvt_f32_f16 v16, v80;
	;;#ASMEND
	v_pk_mul_f32 v[14:15], v[14:15], v[16:17]
	v_dual_lshrrev_b32 v38, 16, v20 :: v_dual_lshrrev_b32 v32, 16, v21
	v_and_b32_e32 v57, 0xffff, v20
	v_and_b32_e32 v39, 0xffff, v21
	s_delay_alu instid0(VALU_DEP_4)
	v_pk_fma_f32 v[18:19], v[34:35], v[36:37], v[14:15]
	ds_load_b128 v[14:17], v49 offset:32
	v_lshrrev_b32_e32 v116, 16, v13
	v_and_b32_e32 v79, 0xffff, v6
	v_and_b32_e32 v80, 0xffff, v7
	;; [unrolled: 1-line block ×3, first 2 shown]
	v_lshrrev_b32_e32 v73, 16, v9
	v_and_b32_e32 v55, 0xffff, v28
	v_dual_lshrrev_b32 v30, 16, v28 :: v_dual_lshrrev_b32 v28, 16, v29
	v_and_b32_e32 v29, 0xffff, v29
	v_and_b32_e32 v25, 0xffff, v25
	s_wait_dscnt 0x0
	v_and_b32_e32 v20, 0xffff, v14
	v_lshrrev_b32_e32 v14, 16, v14
	;;#ASMSTART
	v_cvt_f32_f16 v20, v20;
	;;#ASMEND
	;;#ASMSTART
	v_cvt_f32_f16 v21, v14;
	;;#ASMEND
	;; [unrolled: 3-line block ×4, first 2 shown]
	v_pk_fma_f32 v[20:21], v[20:21], v[34:35], v[42:43]
	v_and_b32_e32 v14, 0xffff, v15
	v_dual_lshrrev_b32 v34, 16, v15 :: v_dual_lshrrev_b32 v107, 16, v10
	v_and_b32_e32 v108, 0xffff, v10
	v_and_b32_e32 v10, 0xffff, v16
	v_lshrrev_b32_e32 v12, 16, v16
	;;#ASMSTART
	v_cvt_f32_f16 v15, v14;
	;;#ASMEND
	;;#ASMSTART
	v_cvt_f32_f16 v14, v34;
	;;#ASMEND
	;; [unrolled: 3-line block ×8, first 2 shown]
	v_and_b32_e32 v6, 0xffff, v17
	v_pk_fma_f32 v[10:11], v[10:11], v[12:13], v[40:41]
	v_lshrrev_b32_e32 v12, 16, v17
	;;#ASMSTART
	v_cvt_f32_f16 v7, v6;
	;;#ASMEND
	;;#ASMSTART
	v_cvt_f32_f16 v6, v12;
	;;#ASMEND
	;; [unrolled: 3-line block ×4, first 2 shown]
	v_pk_fma_f32 v[12:13], v[6:7], v[8:9], v[18:19]
	ds_load_b128 v[6:9], v49 offset:48
	v_pk_fma_f32 v[14:15], v[14:15], v[34:35], v[26:27]
	s_wait_dscnt 0x0
	v_and_b32_e32 v16, 0xffff, v6
	v_lshrrev_b32_e32 v6, 16, v6
	;;#ASMSTART
	v_cvt_f32_f16 v16, v16;
	;;#ASMEND
	;;#ASMSTART
	v_cvt_f32_f16 v17, v6;
	;;#ASMEND
	;;#ASMSTART
	v_cvt_f32_f16 v18, v88;
	;;#ASMEND
	;;#ASMSTART
	v_cvt_f32_f16 v19, v89;
	;;#ASMEND
	v_and_b32_e32 v6, 0xffff, v7
	v_pk_fma_f32 v[16:17], v[16:17], v[18:19], v[20:21]
	v_dual_lshrrev_b32 v18, 16, v7 :: v_dual_lshrrev_b32 v20, 16, v8
	v_and_b32_e32 v19, 0xffff, v8
	v_lshrrev_b32_e32 v26, 16, v9
	v_and_b32_e32 v27, 0xffff, v9
	;;#ASMSTART
	v_cvt_f32_f16 v7, v6;
	;;#ASMEND
	;;#ASMSTART
	v_cvt_f32_f16 v6, v18;
	;;#ASMEND
	;; [unrolled: 3-line block ×12, first 2 shown]
	v_pk_fma_f32 v[14:15], v[6:7], v[8:9], v[14:15]
	ds_load_b128 v[6:9], v49 offset:64
	v_pk_fma_f32 v[10:11], v[18:19], v[20:21], v[10:11]
	v_pk_fma_f32 v[12:13], v[26:27], v[34:35], v[12:13]
	s_wait_dscnt 0x0
	v_and_b32_e32 v18, 0xffff, v6
	v_lshrrev_b32_e32 v6, 16, v6
	v_and_b32_e32 v26, 0xffff, v7
	v_lshrrev_b32_e32 v7, 16, v7
	v_and_b32_e32 v36, 0xffff, v8
	v_dual_lshrrev_b32 v8, 16, v8 :: v_dual_lshrrev_b32 v42, 16, v9
	v_and_b32_e32 v9, 0xffff, v9
	;;#ASMSTART
	v_cvt_f32_f16 v18, v18;
	;;#ASMEND
	;;#ASMSTART
	v_cvt_f32_f16 v19, v6;
	;;#ASMEND
	;; [unrolled: 3-line block ×16, first 2 shown]
	ds_load_b128 v[6:9], v49 offset:80
	v_pk_fma_f32 v[16:17], v[18:19], v[20:21], v[16:17]
	v_pk_fma_f32 v[14:15], v[26:27], v[34:35], v[14:15]
	;; [unrolled: 1-line block ×4, first 2 shown]
	s_wait_dscnt 0x0
	v_and_b32_e32 v18, 0xffff, v6
	v_lshrrev_b32_e32 v6, 16, v6
	v_and_b32_e32 v19, 0xffff, v7
	v_lshrrev_b32_e32 v7, 16, v7
	v_and_b32_e32 v20, 0xffff, v8
	v_dual_lshrrev_b32 v8, 16, v8 :: v_dual_lshrrev_b32 v21, 16, v9
	v_and_b32_e32 v9, 0xffff, v9
	;;#ASMSTART
	v_cvt_f32_f16 v26, v18;
	;;#ASMEND
	;;#ASMSTART
	v_cvt_f32_f16 v27, v6;
	;;#ASMEND
	;; [unrolled: 3-line block ×16, first 2 shown]
	ds_load_b128 v[6:9], v49 offset:96
	v_pk_fma_f32 v[66:67], v[66:67], v[84:85], v[14:15]
	v_pk_fma_f32 v[102:103], v[26:27], v[34:35], v[16:17]
	;; [unrolled: 1-line block ×3, first 2 shown]
	s_wait_dscnt 0x0
	v_and_b32_e32 v10, 0xffff, v6
	v_lshrrev_b32_e32 v6, 16, v6
	v_and_b32_e32 v11, 0xffff, v7
	v_lshrrev_b32_e32 v7, 16, v7
	v_and_b32_e32 v12, 0xffff, v8
	v_dual_lshrrev_b32 v8, 16, v8 :: v_dual_lshrrev_b32 v13, 16, v9
	v_and_b32_e32 v9, 0xffff, v9
	;;#ASMSTART
	v_cvt_f32_f16 v82, v10;
	;;#ASMEND
	;;#ASMSTART
	v_cvt_f32_f16 v83, v6;
	;;#ASMEND
	;; [unrolled: 3-line block ×16, first 2 shown]
	ds_load_b128 v[6:9], v49 offset:112
	v_pk_fma_f32 v[68:69], v[82:83], v[68:69], v[102:103]
	v_pk_fma_f32 v[66:67], v[98:99], v[100:101], v[66:67]
	;; [unrolled: 1-line block ×3, first 2 shown]
	s_wait_dscnt 0x0
	v_and_b32_e32 v10, 0xffff, v6
	v_dual_lshrrev_b32 v6, 16, v6 :: v_dual_lshrrev_b32 v11, 16, v7
	v_lshrrev_b32_e32 v12, 16, v8
	v_and_b32_e32 v7, 0xffff, v7
	v_and_b32_e32 v8, 0xffff, v8
	v_lshrrev_b32_e32 v14, 16, v9
	v_and_b32_e32 v15, 0xffff, v9
	;;#ASMSTART
	v_cvt_f32_f16 v40, v10;
	;;#ASMEND
	;;#ASMSTART
	v_cvt_f32_f16 v41, v6;
	;;#ASMEND
	;; [unrolled: 3-line block ×16, first 2 shown]
	ds_load_b128 v[26:29], v49 offset:128
	v_pk_fma_f32 v[70:71], v[86:87], v[54:55], v[36:37]
	v_pk_fma_f32 v[24:25], v[40:41], v[44:45], v[68:69]
	s_delay_alu instid0(VALU_DEP_2)
	v_pk_fma_f32 v[70:71], v[18:19], v[20:21], v[70:71]
	s_wait_dscnt 0x0
	v_lshrrev_b32_e32 v30, 16, v26
	v_and_b32_e32 v26, 0xffff, v26
	v_dual_lshrrev_b32 v32, 16, v27 :: v_dual_lshrrev_b32 v36, 16, v28
	v_and_b32_e32 v31, 0xffff, v27
	v_and_b32_e32 v37, 0xffff, v28
	v_lshrrev_b32_e32 v38, 16, v29
	v_and_b32_e32 v39, 0xffff, v29
	;;#ASMSTART
	v_cvt_f32_f16 v26, v26;
	;;#ASMEND
	;;#ASMSTART
	v_cvt_f32_f16 v27, v30;
	;;#ASMEND
	;; [unrolled: 3-line block ×16, first 2 shown]
	ds_load_b128 v[54:57], v49 offset:144
	s_wait_dscnt 0x0
	v_lshrrev_b32_e32 v72, 16, v54
	v_and_b32_e32 v54, 0xffff, v54
	v_dual_lshrrev_b32 v81, 16, v55 :: v_dual_lshrrev_b32 v92, 16, v56
	v_and_b32_e32 v55, 0xffff, v55
	v_and_b32_e32 v56, 0xffff, v56
	v_lshrrev_b32_e32 v96, 16, v57
	v_and_b32_e32 v57, 0xffff, v57
	;;#ASMSTART
	v_cvt_f32_f16 v82, v54;
	;;#ASMEND
	;;#ASMSTART
	v_cvt_f32_f16 v83, v72;
	;;#ASMEND
	;; [unrolled: 3-line block ×13, first 2 shown]
	v_add_nc_u32_e32 v72, v64, v48
	;;#ASMSTART
	v_cvt_f32_f16 v96, v96;
	;;#ASMEND
	;;#ASMSTART
	v_cvt_f32_f16 v99, v117;
	;;#ASMEND
	;; [unrolled: 3-line block ×3, first 2 shown]
	ds_load_b128 v[54:57], v49 offset:160
	s_wait_loadcnt 0x0
	v_lshrrev_b32_e32 v81, 16, v2
	v_cvt_f32_i32_e32 v72, v72
	s_wait_dscnt 0x0
	v_dual_lshrrev_b32 v18, 16, v54 :: v_dual_lshrrev_b32 v68, 16, v56
	v_and_b32_e32 v19, 0xffff, v54
	v_lshrrev_b32_e32 v20, 16, v55
	v_and_b32_e32 v21, 0xffff, v55
	v_and_b32_e32 v69, 0xffff, v56
	v_lshrrev_b32_e32 v84, 16, v57
	v_and_b32_e32 v85, 0xffff, v57
	;;#ASMSTART
	v_cvt_f32_f16 v40, v19;
	;;#ASMEND
	;;#ASMSTART
	v_cvt_f32_f16 v41, v18;
	;;#ASMEND
	;;#ASMSTART
	v_cvt_f32_f16 v44, v79;
	;;#ASMEND
	;;#ASMSTART
	v_cvt_f32_f16 v45, v77;
	;;#ASMEND
	;;#ASMSTART
	v_cvt_f32_f16 v55, v21;
	;;#ASMEND
	;;#ASMSTART
	v_cvt_f32_f16 v54, v20;
	;;#ASMEND
	;;#ASMSTART
	v_cvt_f32_f16 v57, v80;
	;;#ASMEND
	;;#ASMSTART
	v_cvt_f32_f16 v56, v74;
	;;#ASMEND
	;;#ASMSTART
	v_cvt_f32_f16 v69, v69;
	;;#ASMEND
	;;#ASMSTART
	v_cvt_f32_f16 v68, v68;
	;;#ASMEND
	;;#ASMSTART
	v_cvt_f32_f16 v79, v78;
	;;#ASMEND
	;;#ASMSTART
	v_cvt_f32_f16 v78, v75;
	;;#ASMEND
	;;#ASMSTART
	v_cvt_f32_f16 v75, v85;
	;;#ASMEND
	v_lshrrev_b32_e32 v80, 16, v3
	;;#ASMSTART
	v_cvt_f32_f16 v74, v84;
	;;#ASMEND
	;;#ASMSTART
	v_cvt_f32_f16 v77, v76;
	;;#ASMEND
	;; [unrolled: 3-line block ×3, first 2 shown]
	ds_load_b128 v[18:21], v49 offset:176
	v_and_b32_e32 v73, 0xffff, v2
	v_and_b32_e32 v84, 0xffff, v3
	v_pk_fma_f32 v[2:3], v[6:7], v[10:11], v[66:67]
	v_pk_fma_f32 v[10:11], v[26:27], v[28:29], v[24:25]
	;; [unrolled: 1-line block ×3, first 2 shown]
	v_lshrrev_b32_e32 v66, 16, v4
	v_pk_fma_f32 v[8:9], v[14:15], v[16:17], v[22:23]
	v_pk_fma_f32 v[2:3], v[30:31], v[34:35], v[2:3]
	;; [unrolled: 1-line block ×3, first 2 shown]
	v_and_b32_e32 v22, 0xffff, v4
	v_pk_fma_f32 v[6:7], v[32:33], v[36:37], v[6:7]
	v_pk_fma_f32 v[8:9], v[38:39], v[42:43], v[8:9]
	;; [unrolled: 1-line block ×4, first 2 shown]
	v_lshrrev_b32_e32 v23, 16, v5
	v_pk_fma_f32 v[6:7], v[92:93], v[94:95], v[6:7]
	v_pk_fma_f32 v[8:9], v[96:97], v[98:99], v[8:9]
	;; [unrolled: 1-line block ×3, first 2 shown]
	s_wait_dscnt 0x0
	v_dual_lshrrev_b32 v13, 16, v18 :: v_dual_lshrrev_b32 v16, 16, v19
	v_and_b32_e32 v4, 0xffff, v18
	;;#ASMSTART
	v_cvt_f32_f16 v12, v4;
	;;#ASMEND
	;;#ASMSTART
	v_cvt_f32_f16 v13, v13;
	;;#ASMEND
	;; [unrolled: 3-line block ×4, first 2 shown]
	v_pk_fma_f32 v[10:11], v[12:13], v[14:15], v[10:11]
	v_and_b32_e32 v17, 0xffff, v19
	;;#ASMSTART
	v_cvt_f32_f16 v17, v17;
	;;#ASMEND
	;;#ASMSTART
	v_cvt_f32_f16 v16, v16;
	;;#ASMEND
	;; [unrolled: 3-line block ×4, first 2 shown]
	v_pk_fma_f32 v[2:3], v[16:17], v[12:13], v[2:3]
	v_dual_add_f32 v4, v10, v11 :: v_dual_lshrrev_b32 v10, 16, v20
	v_pk_fma_f32 v[6:7], v[68:69], v[78:79], v[6:7]
	v_and_b32_e32 v18, 0xffff, v20
	;;#ASMSTART
	v_cvt_f32_f16 v11, v18;
	;;#ASMEND
	s_delay_alu instid0(VALU_DEP_3)
	v_add_f32_e32 v3, v4, v3
	;;#ASMSTART
	v_cvt_f32_f16 v10, v10;
	;;#ASMEND
	;;#ASMSTART
	v_cvt_f32_f16 v13, v22;
	;;#ASMEND
	;;#ASMSTART
	v_cvt_f32_f16 v12, v66;
	;;#ASMEND
	v_pk_fma_f32 v[6:7], v[10:11], v[12:13], v[6:7]
	v_dual_lshrrev_b32 v10, 16, v21 :: v_dual_add_f32 v4, v2, v3
	v_pk_fma_f32 v[2:3], v[74:75], v[76:77], v[8:9]
	v_and_b32_e32 v14, 0xffff, v21
	v_and_b32_e32 v11, 0xffff, v5
	;;#ASMSTART
	v_cvt_f32_f16 v5, v14;
	;;#ASMEND
	v_add_f32_e32 v7, v4, v7
	;;#ASMSTART
	v_cvt_f32_f16 v4, v10;
	;;#ASMEND
	;;#ASMSTART
	v_cvt_f32_f16 v9, v11;
	;;#ASMEND
	;; [unrolled: 3-line block ×3, first 2 shown]
	v_pk_fma_f32 v[2:3], v[4:5], v[8:9], v[2:3]
	v_dual_add_f32 v4, v6, v7 :: v_dual_mul_f32 v5, s34, v72
	s_delay_alu instid0(VALU_DEP_1) | instskip(NEXT) | instid1(VALU_DEP_1)
	v_dual_add_f32 v3, v4, v3 :: v_dual_cndmask_b32 v4, 0, v5
	v_dual_add_f32 v2, v2, v3 :: v_dual_max_num_f32 v3, v61, v61
	s_delay_alu instid0(VALU_DEP_1) | instskip(NEXT) | instid1(VALU_DEP_1)
	v_fmac_f32_e32 v4, s23, v2
	v_max_num_f32_e32 v3, v3, v4
	v_add_nc_u32_e32 v2, v59, v48
	s_delay_alu instid0(VALU_DEP_1) | instskip(NEXT) | instid1(VALU_DEP_1)
	v_cmp_gt_i32_e64 s3, s29, v2
	v_dual_cndmask_b32 v2, 0, v4, s3 :: v_dual_cndmask_b32 v61, v61, v3, s3
	ds_store_b32 v65, v2
	s_branch .LBB93_10
.LBB93_15:
	s_or_b32 exec_lo, exec_lo, s36
.LBB93_16:
	s_delay_alu instid0(SALU_CYCLE_1)
	s_or_b32 exec_lo, exec_lo, s22
	v_mbcnt_lo_u32_b32 v5, -1, 0
	s_clause 0x1
	s_load_b64 s[10:11], s[0:1], 0x0
	s_load_b64 s[22:23], s[0:1], 0x18
	v_max_num_f32_e32 v6, v61, v61
	v_xor_b32_e32 v4, 8, v5
	v_xor_b32_e32 v2, 16, v5
	s_delay_alu instid0(VALU_DEP_1) | instskip(SKIP_1) | instid1(VALU_DEP_1)
	v_cmp_gt_i32_e32 vcc_lo, 32, v2
	v_cndmask_b32_e32 v2, v5, v2, vcc_lo
	v_lshlrev_b32_e32 v2, 2, v2
	ds_bpermute_b32 v3, v2, v61
	s_wait_dscnt 0x0
	v_max_num_f32_e32 v7, v3, v3
	s_delay_alu instid0(VALU_DEP_1) | instskip(SKIP_2) | instid1(VALU_DEP_1)
	v_max_num_f32_e32 v6, v6, v7
	v_cmp_gt_i32_e32 vcc_lo, 32, v4
	v_dual_cndmask_b32 v4, v5, v4, vcc_lo :: v_dual_bitop2_b32 v7, 4, v5 bitop3:0x14
	v_cmp_gt_i32_e32 vcc_lo, 32, v7
	s_delay_alu instid0(VALU_DEP_2) | instskip(SKIP_3) | instid1(VALU_DEP_1)
	v_lshlrev_b32_e32 v3, 2, v4
	ds_bpermute_b32 v4, v3, v6
	s_wait_dscnt 0x0
	v_dual_cndmask_b32 v7, v5, v7 :: v_dual_max_num_f32 v8, v4, v4
	v_dual_lshlrev_b32 v4, 2, v7 :: v_dual_max_num_f32 v6, v6, v8
	ds_bpermute_b32 v7, v4, v6
	s_wait_dscnt 0x0
	v_dual_max_num_f32 v7, v7, v7 :: v_dual_bitop2_b32 v8, 2, v5 bitop3:0x14
	s_delay_alu instid0(VALU_DEP_1) | instskip(NEXT) | instid1(VALU_DEP_2)
	v_cmp_gt_i32_e32 vcc_lo, 32, v8
	v_dual_max_num_f32 v6, v6, v7 :: v_dual_cndmask_b32 v8, v5, v8, vcc_lo
	s_delay_alu instid0(VALU_DEP_1) | instskip(SKIP_4) | instid1(VALU_DEP_2)
	v_dual_lshlrev_b32 v26, 2, v8 :: v_dual_bitop2_b32 v8, 1, v5 bitop3:0x14
	ds_bpermute_b32 v7, v26, v6
	v_cmp_gt_i32_e32 vcc_lo, 32, v8
	v_cndmask_b32_e32 v5, v5, v8, vcc_lo
	v_cmp_eq_u32_e32 vcc_lo, 0, v59
	v_dual_lshlrev_b32 v25, 2, v5 :: v_dual_lshlrev_b32 v5, 2, v58
	s_wait_dscnt 0x0
	v_max_num_f32_e32 v7, v7, v7
	s_delay_alu instid0(VALU_DEP_1)
	v_max_num_f32_e32 v6, v6, v7
	ds_bpermute_b32 v7, v25, v6
	s_wait_xcnt 0x0
	s_and_saveexec_b32 s0, vcc_lo
	s_cbranch_execz .LBB93_18
; %bb.17:
	s_wait_dscnt 0x0
	v_dual_max_num_f32 v7, v7, v7 :: v_dual_max_num_f32 v6, v6, v6
	s_delay_alu instid0(VALU_DEP_1)
	v_max_num_f32_e32 v6, v6, v7
	ds_store_b32 v5, v6 offset:192
.LBB93_18:
	s_or_b32 exec_lo, exec_lo, s0
	v_cmp_gt_u32_e64 s0, 4, v59
	v_mov_b32_e32 v6, 0xff7fffff
	s_wait_dscnt 0x0
	s_barrier_signal -1
	s_barrier_wait -1
	s_and_saveexec_b32 s1, s0
; %bb.19:
	ds_load_b32 v6, v47 offset:192
; %bb.20:
	s_or_b32 exec_lo, exec_lo, s1
	s_wait_dscnt 0x0
	ds_bpermute_b32 v7, v26, v6
	v_max_num_f32_e32 v6, v6, v6
	s_lshl_b32 s1, s31, 5
	s_delay_alu instid0(SALU_CYCLE_1) | instskip(NEXT) | instid1(SALU_CYCLE_1)
	s_min_i32 s4, s1, s29
	v_cmp_gt_i32_e64 s1, s4, v0
	s_wait_dscnt 0x0
	v_max_num_f32_e32 v7, v7, v7
	s_delay_alu instid0(VALU_DEP_1) | instskip(SKIP_3) | instid1(VALU_DEP_1)
	v_max_num_f32_e32 v6, v6, v7
	ds_bpermute_b32 v7, v25, v6
	s_wait_dscnt 0x0
	v_max_num_f32_e32 v7, v7, v7
	v_dual_max_num_f32 v7, v6, v7 :: v_dual_mov_b32 v6, 0
	ds_bpermute_b32 v7, v6, v7
	s_and_saveexec_b32 s21, s1
	s_cbranch_execz .LBB93_24
; %bb.21:
	v_lshl_add_u32 v8, v0, 2, 0xe0
	v_dual_mov_b32 v6, 0 :: v_dual_mov_b32 v9, v0
	s_mov_b32 s24, 0
.LBB93_22:                              ; =>This Inner Loop Header: Depth=1
	ds_load_b32 v10, v8
	v_add_nc_u32_e32 v9, 0x80, v9
	s_delay_alu instid0(VALU_DEP_1) | instskip(SKIP_3) | instid1(VALU_DEP_1)
	v_cmp_le_i32_e64 s3, s4, v9
	s_or_b32 s24, s3, s24
	s_wait_dscnt 0x0
	v_sub_f32_e32 v10, v10, v7
	v_mul_f32_e32 v10, 0x3fb8aa3b, v10
	s_delay_alu instid0(VALU_DEP_1)
	v_exp_f32_e32 v10, v10
	ds_store_b32 v8, v10
	v_nop
	v_add_f32_e32 v6, v6, v10
	v_add_nc_u32_e32 v8, 0x200, v8
	s_and_not1_b32 exec_lo, exec_lo, s24
	s_cbranch_execnz .LBB93_22
; %bb.23:
	s_or_b32 exec_lo, exec_lo, s24
.LBB93_24:
	s_delay_alu instid0(SALU_CYCLE_1)
	s_or_b32 exec_lo, exec_lo, s21
	ds_bpermute_b32 v2, v2, v6
	s_wait_dscnt 0x0
	v_add_f32_e32 v2, v6, v2
	ds_bpermute_b32 v3, v3, v2
	s_wait_dscnt 0x0
	v_add_f32_e32 v2, v2, v3
	;; [unrolled: 3-line block ×5, first 2 shown]
	s_and_saveexec_b32 s3, vcc_lo
; %bb.25:
	ds_store_b32 v5, v2 offset:208
; %bb.26:
	s_or_b32 exec_lo, exec_lo, s3
	s_wait_dscnt 0x0
	s_barrier_signal -1
	s_barrier_wait -1
	s_and_saveexec_b32 s3, s0
; %bb.27:
	ds_load_b32 v2, v47 offset:208
; %bb.28:
	s_or_b32 exec_lo, exec_lo, s3
	s_wait_dscnt 0x0
	ds_bpermute_b32 v3, v26, v2
	s_wait_dscnt 0x0
	v_dual_mov_b32 v7, 0 :: v_dual_add_f32 v2, v2, v3
	ds_bpermute_b32 v3, v25, v2
	s_wait_dscnt 0x0
	v_add_f32_e32 v2, v2, v3
	ds_bpermute_b32 v2, v7, v2
	s_and_saveexec_b32 s0, s1
	s_cbranch_execz .LBB93_41
; %bb.29:
	s_wait_dscnt 0x0
	v_add_f32_e32 v2, 0x358637bd, v2
	s_mov_b32 s3, -1
	s_mov_b32 s1, exec_lo
	s_delay_alu instid0(VALU_DEP_1) | instskip(NEXT) | instid1(VALU_DEP_1)
	v_div_scale_f32 v3, null, v2, v2, 1.0
	v_rcp_f32_e32 v5, v3
	v_nop
	s_delay_alu instid0(TRANS32_DEP_1) | instskip(NEXT) | instid1(VALU_DEP_1)
	v_fma_f32 v4, -v3, v5, 1.0
	v_fmac_f32_e32 v5, v4, v5
	v_div_scale_f32 v6, vcc_lo, 1.0, v2, 1.0
	s_delay_alu instid0(VALU_DEP_1) | instskip(NEXT) | instid1(VALU_DEP_1)
	v_mul_f32_e32 v8, v6, v5
	v_fma_f32 v4, -v3, v8, v6
	s_delay_alu instid0(VALU_DEP_1) | instskip(SKIP_1) | instid1(VALU_DEP_2)
	v_fmac_f32_e32 v8, v4, v5
	v_xad_u32 v4, v0, -1, s4
	v_fma_f32 v3, -v3, v8, v6
	s_delay_alu instid0(VALU_DEP_1) | instskip(NEXT) | instid1(VALU_DEP_1)
	v_div_fmas_f32 v3, v3, v5, v8
	v_div_fixup_f32 v2, v3, v2, 1.0
	v_mov_b32_e32 v3, v0
	v_cmpx_lt_u32_e32 0x7f, v4
	s_cbranch_execz .LBB93_38
; %bb.30:
	s_delay_alu instid0(VALU_DEP_3) | instskip(NEXT) | instid1(VALU_DEP_1)
	v_dual_mov_b32 v3, v2 :: v_dual_lshrrev_b32 v4, 7, v4
	v_dual_mov_b32 v9, 0 :: v_dual_add_nc_u32 v5, -1, v4
	s_delay_alu instid0(VALU_DEP_1) | instskip(SKIP_1) | instid1(VALU_DEP_2)
	v_lshrrev_b32_e32 v6, 1, v5
	v_cmp_lt_u32_e32 vcc_lo, 13, v5
	v_add_nc_u32_e32 v5, 1, v6
	s_and_saveexec_b32 s3, vcc_lo
	s_cbranch_execz .LBB93_34
; %bb.31:
	s_delay_alu instid0(VALU_DEP_1)
	v_and_b32_e32 v6, -8, v5
	v_lshl_add_u32 v8, v0, 2, 0xe0
	s_mov_b32 s21, 0
	s_mov_b32 s24, 0
.LBB93_32:                              ; =>This Inner Loop Header: Depth=1
	ds_load_2addr_stride64_b32 v[10:11], v8 offset1:2
	ds_load_2addr_stride64_b32 v[12:13], v8 offset0:4 offset1:6
	ds_load_2addr_stride64_b32 v[14:15], v8 offset0:8 offset1:10
	;; [unrolled: 1-line block ×7, first 2 shown]
	s_add_co_i32 s24, s24, 16
	s_delay_alu instid0(SALU_CYCLE_1) | instskip(NEXT) | instid1(VALU_DEP_1)
	v_dual_mov_b32 v9, s24 :: v_dual_add_nc_u32 v6, -8, v6
	v_cmp_eq_u32_e32 vcc_lo, 0, v6
	s_or_b32 s21, vcc_lo, s21
	s_wait_dscnt 0x7
	v_pk_mul_f32 v[10:11], v[2:3], v[10:11]
	s_wait_dscnt 0x6
	v_pk_mul_f32 v[12:13], v[2:3], v[12:13]
	;; [unrolled: 2-line block ×8, first 2 shown]
	ds_store_2addr_stride64_b32 v8, v10, v11 offset1:2
	ds_store_2addr_stride64_b32 v8, v12, v13 offset0:4 offset1:6
	ds_store_2addr_stride64_b32 v8, v14, v15 offset0:8 offset1:10
	;; [unrolled: 1-line block ×7, first 2 shown]
	v_add_nc_u32_e32 v8, 0x2000, v8
	s_and_not1_b32 exec_lo, exec_lo, s21
	s_cbranch_execnz .LBB93_32
; %bb.33:
	s_or_b32 exec_lo, exec_lo, s21
.LBB93_34:
	s_delay_alu instid0(SALU_CYCLE_1) | instskip(NEXT) | instid1(VALU_DEP_1)
	s_or_b32 exec_lo, exec_lo, s3
	v_and_b32_e32 v5, 7, v5
	s_mov_b32 s21, 0
	s_mov_b32 s3, exec_lo
	s_delay_alu instid0(VALU_DEP_1)
	v_cmpx_ne_u32_e32 0, v5
	s_cbranch_execz .LBB93_37
; %bb.35:
	v_dual_lshlrev_b32 v6, 9, v9 :: v_dual_lshlrev_b32 v8, 2, v0
	s_delay_alu instid0(VALU_DEP_1)
	v_add3_u32 v6, v6, v8, 0xe0
.LBB93_36:                              ; =>This Inner Loop Header: Depth=1
	ds_load_2addr_stride64_b32 v[8:9], v6 offset1:2
	v_add_nc_u32_e32 v5, -1, v5
	s_delay_alu instid0(VALU_DEP_1)
	v_cmp_eq_u32_e32 vcc_lo, 0, v5
	s_or_b32 s21, vcc_lo, s21
	s_wait_dscnt 0x0
	v_pk_mul_f32 v[8:9], v[2:3], v[8:9]
	ds_store_2addr_stride64_b32 v6, v8, v9 offset1:2
	v_add_nc_u32_e32 v6, 0x400, v6
	s_and_not1_b32 exec_lo, exec_lo, s21
	s_cbranch_execnz .LBB93_36
.LBB93_37:
	s_or_b32 exec_lo, exec_lo, s3
	v_add_nc_u32_e32 v3, 1, v4
	s_delay_alu instid0(VALU_DEP_1) | instskip(NEXT) | instid1(VALU_DEP_1)
	v_and_b32_e32 v4, 0x3fffffe, v3
	v_cmp_ne_u32_e32 vcc_lo, v3, v4
	v_lshl_add_u32 v3, v4, 7, v0
	s_or_not1_b32 s3, vcc_lo, exec_lo
.LBB93_38:
	s_or_b32 exec_lo, exec_lo, s1
	s_delay_alu instid0(SALU_CYCLE_1)
	s_and_b32 exec_lo, exec_lo, s3
	s_cbranch_execz .LBB93_41
; %bb.39:
	v_lshl_add_u32 v4, v3, 2, 0xe0
	s_mov_b32 s1, 0
.LBB93_40:                              ; =>This Inner Loop Header: Depth=1
	ds_load_b32 v5, v4
	v_add_nc_u32_e32 v3, 0x80, v3
	s_delay_alu instid0(VALU_DEP_1)
	v_cmp_le_i32_e32 vcc_lo, s4, v3
	s_or_b32 s1, vcc_lo, s1
	s_wait_dscnt 0x0
	v_mul_f32_e32 v5, v2, v5
	ds_store_b32 v4, v5
	v_add_nc_u32_e32 v4, 0x200, v4
	s_and_not1_b32 exec_lo, exec_lo, s1
	s_cbranch_execnz .LBB93_40
.LBB93_41:
	s_or_b32 exec_lo, exec_lo, s0
	v_dual_mov_b32 v6, 0 :: v_dual_bitop2_b32 v27, 3, v0 bitop3:0x40
	v_dual_mov_b32 v9, 0 :: v_dual_mov_b32 v8, 0
	v_dual_mov_b32 v11, 0 :: v_dual_mov_b32 v10, 0
	;; [unrolled: 1-line block ×5, first 2 shown]
	s_wait_dscnt 0x0
	s_barrier_signal -1
	s_barrier_wait -1
	s_and_saveexec_b32 s1, s2
	s_cbranch_execz .LBB93_71
; %bb.42:
	s_abs_i32 s6, s6
	v_dual_lshlrev_b32 v5, 3, v0 :: v_dual_mov_b32 v47, 0
	s_cvt_f32_u32 s0, s6
	v_and_b32_e32 v2, 0x1f0, v1
	v_lshlrev_b32_e32 v1, 5, v27
	s_ashr_i32 s21, s20, 31
	v_rcp_iflag_f32_e32 v3, s0
	v_and_b32_e32 v4, 0x7c, v60
	v_dual_mov_b32 v5, v47 :: v_dual_bitop2_b32 v28, 24, v5 bitop3:0x40
	s_lshl_b64 s[18:19], s[18:19], 2
	s_lshl_b64 s[20:21], s[20:21], 1
	s_add_nc_u64 s[16:17], s[16:17], s[18:19]
	s_delay_alu instid0(TRANS32_DEP_1)
	v_readfirstlane_b32 s0, v3
	v_mov_b32_e32 v3, v47
	v_lshl_or_b32 v1, v58, 7, v1
	s_wait_kmcnt 0x0
	s_add_nc_u64 s[18:19], s[22:23], s[20:21]
	s_sub_co_i32 s4, 0, s6
	s_mul_f32 s0, s0, 0x4f7ffffe
	v_add_nc_u64_e32 v[18:19], s[18:19], v[2:3]
	v_add_nc_u64_e32 v[20:21], s[16:17], v[4:5]
	v_dual_mov_b32 v30, v58 :: v_dual_add_nc_u32 v29, 0xe0, v1
	s_cvt_u32_f32 s0, s0
	v_dual_mov_b32 v16, v47 :: v_dual_mov_b32 v17, v47
	v_dual_mov_b32 v14, v47 :: v_dual_mov_b32 v15, v47
	s_delay_alu instid0(SALU_CYCLE_1)
	s_mul_i32 s4, s4, s0
	v_dual_mov_b32 v12, v47 :: v_dual_mov_b32 v13, v47
	v_dual_mov_b32 v10, v47 :: v_dual_mov_b32 v11, v47
	;; [unrolled: 1-line block ×4, first 2 shown]
	s_sub_co_i32 s24, s33, s5
	s_mov_b32 s5, 0
	s_mul_hi_u32 s4, s0, s4
	s_ashr_i32 s3, s9, 31
	s_mov_b32 s2, s9
	s_add_co_i32 s9, s31, -1
	s_mov_b32 s16, s29
	s_add_co_i32 s4, s0, s4
	s_mov_b32 s17, s5
	s_branch .LBB93_45
.LBB93_43:                              ;   in Loop: Header=BB93_45 Depth=1
	s_or_b32 exec_lo, exec_lo, s0
	v_dual_add_f32 v33, v62, v63 :: v_dual_add_f32 v34, v60, v61
	v_add_f32_e32 v24, v24, v39
	v_dual_add_f32 v31, v66, v67 :: v_dual_add_f32 v32, v64, v65
	s_delay_alu instid0(VALU_DEP_3) | instskip(NEXT) | instid1(VALU_DEP_2)
	v_dual_add_f32 v11, v11, v33 :: v_dual_lshlrev_b32 v22, 16, v22
	v_dual_add_f32 v6, v6, v24 :: v_dual_add_f32 v9, v9, v31
	v_add_f32_e32 v24, v56, v57
	v_dual_lshlrev_b32 v1, 16, v1 :: v_dual_lshlrev_b32 v23, 16, v23
	v_add_f32_e32 v31, v54, v55
	v_and_or_b32 v2, 0xffff, v2, v22
	;;#ASMSTART
	v_pk_mul_f16 v2, v41, v2;

	;;#ASMEND
	s_delay_alu instid0(VALU_DEP_3)
	v_and_or_b32 v3, 0xffff, v3, v1
	v_and_or_b32 v4, 0xffff, v4, v23
	;;#ASMSTART
	v_pk_mul_f16 v3, v40, v3;

	;;#ASMEND
	;;#ASMSTART
	v_pk_mul_f16 v4, v42, v4;

	;;#ASMEND
	;; [unrolled: 4-line block ×3, first 2 shown]
	;;#ASMSTART
	v_pk_add_f16 v2, v2, v3;

	;;#ASMEND
	;;#ASMSTART
	v_pk_add_f16 v2, v2, v4;

	;;#ASMEND
	;; [unrolled: 4-line block ×3, first 2 shown]
	v_and_b32_e32 v5, 0xffff, v2
	v_dual_add_f32 v13, v13, v24 :: v_dual_add_f32 v12, v12, v31
	v_lshrrev_b32_e32 v22, 16, v2
	;;#ASMSTART
	v_cvt_f32_f16 v5, v5;
	;;#ASMEND
	v_dual_add_f32 v1, v52, v53 :: v_dual_add_f32 v2, v50, v51
	v_add_f32_e32 v4, v44, v45
	;;#ASMSTART
	v_cvt_f32_f16 v22, v22;
	;;#ASMEND
	v_dual_add_f32 v3, v48, v49 :: v_dual_add_f32 v5, v5, v22
	v_dual_add_f32 v8, v8, v32 :: v_dual_add_f32 v10, v10, v34
	s_delay_alu instid0(VALU_DEP_2) | instskip(SKIP_1) | instid1(VALU_DEP_4)
	v_dual_add_f32 v15, v15, v1 :: v_dual_add_f32 v17, v17, v3
	v_dual_add_f32 v14, v14, v2 :: v_dual_add_f32 v16, v16, v4
	v_add_f32_e32 v7, v7, v5
.LBB93_44:                              ;   in Loop: Header=BB93_45 Depth=1
	s_or_b32 exec_lo, exec_lo, s18
	v_add_nc_u32_e32 v30, 4, v30
	v_add_nc_u64_e32 v[20:21], 16, v[20:21]
	v_add_nc_u32_e32 v46, 0x80, v46
	v_add_nc_u32_e32 v29, 0x200, v29
	s_delay_alu instid0(VALU_DEP_4) | instskip(SKIP_1) | instid1(SALU_CYCLE_1)
	v_cmp_le_i32_e32 vcc_lo, s31, v30
	s_or_b32 s17, vcc_lo, s17
	s_and_not1_b32 exec_lo, exec_lo, s17
	s_cbranch_execz .LBB93_70
.LBB93_45:                              ; =>This Inner Loop Header: Depth=1
	v_mul_u64_e32 v[2:3], s[14:15], v[46:47]
	s_delay_alu instid0(VALU_DEP_1) | instskip(NEXT) | instid1(VALU_DEP_1)
	v_mul_lo_u32 v1, v3, s8
	v_dual_add_nc_u32 v2, 1, v3 :: v_dual_sub_nc_u32 v1, v46, v1
	s_delay_alu instid0(VALU_DEP_1) | instskip(SKIP_1) | instid1(VALU_DEP_2)
	v_subrev_nc_u32_e32 v4, s8, v1
	v_cmp_le_u32_e32 vcc_lo, s8, v1
	v_dual_cndmask_b32 v2, v3, v2 :: v_dual_cndmask_b32 v1, v1, v4
	s_delay_alu instid0(VALU_DEP_1) | instskip(NEXT) | instid1(VALU_DEP_2)
	v_add_nc_u32_e32 v3, 1, v2
	v_cmp_le_u32_e32 vcc_lo, s8, v1
	s_delay_alu instid0(VALU_DEP_2) | instskip(NEXT) | instid1(VALU_DEP_1)
	v_dual_cndmask_b32 v1, v2, v3, vcc_lo :: v_dual_mov_b32 v3, v47
	v_xor_b32_e32 v1, s30, v1
	s_delay_alu instid0(VALU_DEP_1) | instskip(NEXT) | instid1(VALU_DEP_1)
	v_subrev_nc_u32_e32 v1, s30, v1
	v_add_nc_u32_e32 v22, s13, v1
	v_cmp_lt_i32_e64 s0, s24, v1
	s_delay_alu instid0(VALU_DEP_2) | instskip(NEXT) | instid1(VALU_DEP_1)
	v_sub_nc_u32_e32 v2, 0, v22
	v_max_i32_e32 v2, v22, v2
	s_delay_alu instid0(VALU_DEP_1) | instskip(SKIP_1) | instid1(VALU_DEP_2)
	v_mul_u64_e32 v[4:5], s[4:5], v[2:3]
	v_ashrrev_i32_e32 v4, 31, v22
	v_mul_lo_u32 v3, v5, s6
	s_delay_alu instid0(VALU_DEP_1) | instskip(NEXT) | instid1(VALU_DEP_1)
	v_sub_nc_u32_e32 v2, v2, v3
	v_subrev_nc_u32_e32 v3, s6, v2
	v_cmp_le_u32_e32 vcc_lo, s6, v2
	s_delay_alu instid0(VALU_DEP_2) | instskip(NEXT) | instid1(VALU_DEP_1)
	v_cndmask_b32_e32 v2, v2, v3, vcc_lo
	v_subrev_nc_u32_e32 v3, s6, v2
	v_cmp_le_u32_e32 vcc_lo, s6, v2
	s_delay_alu instid0(VALU_DEP_2) | instskip(NEXT) | instid1(VALU_DEP_1)
	v_cndmask_b32_e32 v2, v2, v3, vcc_lo
	v_xor_b32_e32 v2, v2, v4
	s_delay_alu instid0(VALU_DEP_1) | instskip(NEXT) | instid1(VALU_DEP_1)
	v_sub_nc_u32_e32 v2, v2, v4
	v_cmp_eq_u32_e32 vcc_lo, 0, v2
	s_or_b32 s0, vcc_lo, s0
	s_delay_alu instid0(SALU_CYCLE_1)
	s_and_saveexec_b32 s18, s0
	s_cbranch_execz .LBB93_44
; %bb.46:                               ;   in Loop: Header=BB93_45 Depth=1
	global_load_b32 v2, v[20:21], off
	v_cmp_eq_u32_e32 vcc_lo, s9, v30
	s_wait_loadcnt 0x0
	v_ashrrev_i32_e32 v3, 31, v2
	s_delay_alu instid0(VALU_DEP_1)
	v_mul_u64_e32 v[22:23], s[2:3], v[2:3]
	ds_load_2addr_b64 v[2:5], v29 offset1:1
	ds_load_2addr_b64 v[32:35], v29 offset0:2 offset1:3
	s_wait_dscnt 0x1
	;;#ASMSTART
	v_cvt_f16_f32 v41, v2;

	;;#ASMEND
	;;#ASMSTART
	v_cvt_f16_f32 v40, v3;

	;;#ASMEND
	;;#ASMSTART
	v_cvt_f16_f32 v48, v4;

	;;#ASMEND
	;;#ASMSTART
	v_cvt_f16_f32 v44, v5;

	;;#ASMEND
	s_wait_dscnt 0x0
	;;#ASMSTART
	v_cvt_f16_f32 v49, v32;

	;;#ASMEND
	;;#ASMSTART
	v_cvt_f16_f32 v42, v33;

	;;#ASMEND
	;; [unrolled: 4-line block ×4, first 2 shown]
	v_lshl_add_u64 v[22:23], v[22:23], 1, v[18:19]
	global_load_b128 v[2:5], v[22:23], off
	s_wait_loadcnt 0x0
	v_dual_add_nc_u32 v35, v28, v46 :: v_dual_lshrrev_b32 v1, 16, v3
	s_delay_alu instid0(VALU_DEP_1)
	v_dual_add_nc_u32 v37, 2, v35 :: v_dual_add_nc_u32 v32, 4, v35
	v_dual_add_nc_u32 v31, 5, v35 :: v_dual_add_nc_u32 v34, 6, v35
	v_dual_add_nc_u32 v33, 7, v35 :: v_dual_bitop2_b32 v38, 3, v35 bitop3:0x54
	v_dual_lshrrev_b32 v24, 16, v2 :: v_dual_lshrrev_b32 v39, 16, v4
	v_or_b32_e32 v36, 1, v35
	s_and_saveexec_b32 s19, vcc_lo
	s_cbranch_execz .LBB93_48
; %bb.47:                               ;   in Loop: Header=BB93_45 Depth=1
	v_cmp_gt_i32_e64 s0, s29, v35
	v_and_b32_e32 v50, 0xffff, v5
	v_and_b32_e32 v5, 0xffff0000, v5
	s_delay_alu instid0(VALU_DEP_3) | instskip(SKIP_1) | instid1(VALU_DEP_1)
	v_cndmask_b32_e64 v2, 0, v2, s0
	v_cmp_gt_i32_e64 s0, s29, v37
	v_cndmask_b32_e64 v3, 0, v3, s0
	v_cmp_gt_i32_e64 s0, s16, v38
	s_delay_alu instid0(VALU_DEP_1) | instskip(SKIP_1) | instid1(VALU_DEP_1)
	v_cndmask_b32_e64 v1, 0, v1, s0
	v_cmp_gt_i32_e64 s0, s29, v36
	v_cndmask_b32_e64 v24, 0, v24, s0
	v_cmp_gt_i32_e64 s0, s29, v34
	s_delay_alu instid0(VALU_DEP_1) | instskip(SKIP_1) | instid1(VALU_DEP_1)
	;; [unrolled: 5-line block ×3, first 2 shown]
	v_dual_cndmask_b32 v4, 0, v4, s0 :: v_dual_bitop2_b32 v5, v50, v5 bitop3:0x54
	v_cmp_gt_i32_e64 s0, s29, v31
	v_cndmask_b32_e64 v39, 0, v39, s0
.LBB93_48:                              ;   in Loop: Header=BB93_45 Depth=1
	s_or_b32 exec_lo, exec_lo, s19
	v_and_b32_e32 v41, 0xffff, v41
	v_and_b32_e32 v48, 0xffff, v48
	v_dual_lshlrev_b32 v24, 16, v24 :: v_dual_lshlrev_b32 v1, 16, v1
	v_lshlrev_b32_e32 v39, 16, v39
	v_and_b32_e32 v49, 0xffff, v49
	v_lshl_or_b32 v41, v40, 16, v41
	v_lshl_or_b32 v40, v44, 16, v48
	v_and_b32_e32 v44, 0xffff, v45
	v_and_or_b32 v2, 0xffff, v2, v24
	v_and_or_b32 v1, 0xffff, v3, v1
	;; [unrolled: 1-line block ×3, first 2 shown]
	;;#ASMSTART
	v_pk_mul_f16 v2, v41, v2;

	;;#ASMEND
	;;#ASMSTART
	v_pk_mul_f16 v1, v40, v1;

	;;#ASMEND
	v_lshl_or_b32 v42, v42, 16, v49
	v_lshl_or_b32 v43, v43, 16, v44
	;;#ASMSTART
	v_pk_mul_f16 v3, v42, v3;

	;;#ASMEND
	;;#ASMSTART
	v_pk_mul_f16 v4, v43, v5;

	;;#ASMEND
	;;#ASMSTART
	v_pk_add_f16 v1, v2, v1;

	;;#ASMEND
	;;#ASMSTART
	v_pk_add_f16 v1, v1, v3;
	;; [unrolled: 4-line block ×3, first 2 shown]

	;;#ASMEND
	v_and_b32_e32 v2, 0xffff, v1
	v_lshrrev_b32_e32 v1, 16, v1
	;;#ASMSTART
	v_cvt_f32_f16 v44, v2;
	;;#ASMEND
	;;#ASMSTART
	v_cvt_f32_f16 v45, v1;
	;;#ASMEND
	global_load_b128 v[2:5], v[22:23], off offset:512
	s_wait_loadcnt 0x0
	v_dual_lshrrev_b32 v1, 16, v3 :: v_dual_lshrrev_b32 v24, 16, v2
	v_lshrrev_b32_e32 v39, 16, v4
	s_and_saveexec_b32 s19, vcc_lo
	s_cbranch_execz .LBB93_50
; %bb.49:                               ;   in Loop: Header=BB93_45 Depth=1
	v_cmp_gt_i32_e64 s0, s29, v35
	v_and_b32_e32 v48, 0xffff, v5
	v_and_b32_e32 v5, 0xffff0000, v5
	s_delay_alu instid0(VALU_DEP_3) | instskip(SKIP_1) | instid1(VALU_DEP_1)
	v_cndmask_b32_e64 v2, 0, v2, s0
	v_cmp_gt_i32_e64 s0, s29, v37
	v_cndmask_b32_e64 v3, 0, v3, s0
	v_cmp_gt_i32_e64 s0, s16, v38
	s_delay_alu instid0(VALU_DEP_1) | instskip(SKIP_1) | instid1(VALU_DEP_1)
	v_cndmask_b32_e64 v1, 0, v1, s0
	v_cmp_gt_i32_e64 s0, s29, v36
	v_cndmask_b32_e64 v24, 0, v24, s0
	v_cmp_gt_i32_e64 s0, s29, v34
	s_delay_alu instid0(VALU_DEP_1) | instskip(SKIP_1) | instid1(VALU_DEP_1)
	;; [unrolled: 5-line block ×3, first 2 shown]
	v_dual_cndmask_b32 v4, 0, v4, s0 :: v_dual_bitop2_b32 v5, v48, v5 bitop3:0x54
	v_cmp_gt_i32_e64 s0, s29, v31
	v_cndmask_b32_e64 v39, 0, v39, s0
.LBB93_50:                              ;   in Loop: Header=BB93_45 Depth=1
	s_or_b32 exec_lo, exec_lo, s19
	v_dual_lshlrev_b32 v24, 16, v24 :: v_dual_lshlrev_b32 v1, 16, v1
	s_delay_alu instid0(VALU_DEP_2) | instskip(NEXT) | instid1(VALU_DEP_2)
	v_lshlrev_b32_e32 v39, 16, v39
	v_and_or_b32 v2, 0xffff, v2, v24
	s_delay_alu instid0(VALU_DEP_3) | instskip(NEXT) | instid1(VALU_DEP_3)
	v_and_or_b32 v1, 0xffff, v3, v1
	v_and_or_b32 v3, 0xffff, v4, v39
	;;#ASMSTART
	v_pk_mul_f16 v2, v41, v2;

	;;#ASMEND
	;;#ASMSTART
	v_pk_mul_f16 v1, v40, v1;

	;;#ASMEND
	;; [unrolled: 4-line block ×4, first 2 shown]
	;;#ASMSTART
	v_pk_add_f16 v1, v2, v1;

	;;#ASMEND
	;;#ASMSTART
	v_pk_add_f16 v1, v1, v3;

	;;#ASMEND
	;; [unrolled: 4-line block ×3, first 2 shown]
	v_and_b32_e32 v2, 0xffff, v1
	v_lshrrev_b32_e32 v1, 16, v1
	;;#ASMSTART
	v_cvt_f32_f16 v48, v2;
	;;#ASMEND
	;;#ASMSTART
	v_cvt_f32_f16 v49, v1;
	;;#ASMEND
	global_load_b128 v[2:5], v[22:23], off offset:1024
	s_wait_loadcnt 0x0
	v_dual_lshrrev_b32 v1, 16, v3 :: v_dual_lshrrev_b32 v24, 16, v2
	v_lshrrev_b32_e32 v39, 16, v4
	s_and_saveexec_b32 s19, vcc_lo
	s_cbranch_execz .LBB93_52
; %bb.51:                               ;   in Loop: Header=BB93_45 Depth=1
	v_cmp_gt_i32_e64 s0, s29, v35
	v_and_b32_e32 v50, 0xffff, v5
	v_and_b32_e32 v5, 0xffff0000, v5
	s_delay_alu instid0(VALU_DEP_3) | instskip(SKIP_1) | instid1(VALU_DEP_1)
	v_cndmask_b32_e64 v2, 0, v2, s0
	v_cmp_gt_i32_e64 s0, s29, v37
	v_cndmask_b32_e64 v3, 0, v3, s0
	v_cmp_gt_i32_e64 s0, s16, v38
	s_delay_alu instid0(VALU_DEP_1) | instskip(SKIP_1) | instid1(VALU_DEP_1)
	v_cndmask_b32_e64 v1, 0, v1, s0
	v_cmp_gt_i32_e64 s0, s29, v36
	v_cndmask_b32_e64 v24, 0, v24, s0
	v_cmp_gt_i32_e64 s0, s29, v34
	s_delay_alu instid0(VALU_DEP_1) | instskip(SKIP_1) | instid1(VALU_DEP_1)
	;; [unrolled: 5-line block ×3, first 2 shown]
	v_dual_cndmask_b32 v4, 0, v4, s0 :: v_dual_bitop2_b32 v5, v50, v5 bitop3:0x54
	v_cmp_gt_i32_e64 s0, s29, v31
	v_cndmask_b32_e64 v39, 0, v39, s0
.LBB93_52:                              ;   in Loop: Header=BB93_45 Depth=1
	s_or_b32 exec_lo, exec_lo, s19
	v_dual_lshlrev_b32 v24, 16, v24 :: v_dual_lshlrev_b32 v1, 16, v1
	s_delay_alu instid0(VALU_DEP_2) | instskip(NEXT) | instid1(VALU_DEP_2)
	v_lshlrev_b32_e32 v39, 16, v39
	v_and_or_b32 v2, 0xffff, v2, v24
	s_delay_alu instid0(VALU_DEP_3) | instskip(NEXT) | instid1(VALU_DEP_3)
	v_and_or_b32 v1, 0xffff, v3, v1
	v_and_or_b32 v3, 0xffff, v4, v39
	;;#ASMSTART
	v_pk_mul_f16 v2, v41, v2;

	;;#ASMEND
	;;#ASMSTART
	v_pk_mul_f16 v1, v40, v1;

	;;#ASMEND
	;; [unrolled: 4-line block ×4, first 2 shown]
	;;#ASMSTART
	v_pk_add_f16 v1, v2, v1;

	;;#ASMEND
	;;#ASMSTART
	v_pk_add_f16 v1, v1, v3;

	;;#ASMEND
	;;#ASMSTART
	v_pk_add_f16 v1, v1, v4;

	;;#ASMEND
	v_and_b32_e32 v2, 0xffff, v1
	v_lshrrev_b32_e32 v1, 16, v1
	;;#ASMSTART
	v_cvt_f32_f16 v50, v2;
	;;#ASMEND
	;;#ASMSTART
	v_cvt_f32_f16 v51, v1;
	;;#ASMEND
	global_load_b128 v[2:5], v[22:23], off offset:1536
	s_wait_loadcnt 0x0
	v_dual_lshrrev_b32 v1, 16, v3 :: v_dual_lshrrev_b32 v24, 16, v2
	v_lshrrev_b32_e32 v39, 16, v4
	s_and_saveexec_b32 s19, vcc_lo
	s_cbranch_execz .LBB93_54
; %bb.53:                               ;   in Loop: Header=BB93_45 Depth=1
	v_cmp_gt_i32_e64 s0, s29, v35
	v_and_b32_e32 v52, 0xffff, v5
	v_and_b32_e32 v5, 0xffff0000, v5
	s_delay_alu instid0(VALU_DEP_3) | instskip(SKIP_1) | instid1(VALU_DEP_1)
	v_cndmask_b32_e64 v2, 0, v2, s0
	v_cmp_gt_i32_e64 s0, s29, v37
	v_cndmask_b32_e64 v3, 0, v3, s0
	v_cmp_gt_i32_e64 s0, s16, v38
	s_delay_alu instid0(VALU_DEP_1) | instskip(SKIP_1) | instid1(VALU_DEP_1)
	v_cndmask_b32_e64 v1, 0, v1, s0
	v_cmp_gt_i32_e64 s0, s29, v36
	v_cndmask_b32_e64 v24, 0, v24, s0
	v_cmp_gt_i32_e64 s0, s29, v34
	s_delay_alu instid0(VALU_DEP_1) | instskip(SKIP_1) | instid1(VALU_DEP_1)
	;; [unrolled: 5-line block ×3, first 2 shown]
	v_dual_cndmask_b32 v4, 0, v4, s0 :: v_dual_bitop2_b32 v5, v52, v5 bitop3:0x54
	v_cmp_gt_i32_e64 s0, s29, v31
	v_cndmask_b32_e64 v39, 0, v39, s0
.LBB93_54:                              ;   in Loop: Header=BB93_45 Depth=1
	s_or_b32 exec_lo, exec_lo, s19
	v_dual_lshlrev_b32 v24, 16, v24 :: v_dual_lshlrev_b32 v1, 16, v1
	s_delay_alu instid0(VALU_DEP_2) | instskip(NEXT) | instid1(VALU_DEP_2)
	v_lshlrev_b32_e32 v39, 16, v39
	v_and_or_b32 v2, 0xffff, v2, v24
	s_delay_alu instid0(VALU_DEP_3) | instskip(NEXT) | instid1(VALU_DEP_3)
	v_and_or_b32 v1, 0xffff, v3, v1
	v_and_or_b32 v3, 0xffff, v4, v39
	;;#ASMSTART
	v_pk_mul_f16 v2, v41, v2;

	;;#ASMEND
	;;#ASMSTART
	v_pk_mul_f16 v1, v40, v1;

	;;#ASMEND
	;; [unrolled: 4-line block ×4, first 2 shown]
	;;#ASMSTART
	v_pk_add_f16 v1, v2, v1;

	;;#ASMEND
	;;#ASMSTART
	v_pk_add_f16 v1, v1, v3;

	;;#ASMEND
	;; [unrolled: 4-line block ×3, first 2 shown]
	v_and_b32_e32 v2, 0xffff, v1
	v_lshrrev_b32_e32 v1, 16, v1
	;;#ASMSTART
	v_cvt_f32_f16 v52, v2;
	;;#ASMEND
	;;#ASMSTART
	v_cvt_f32_f16 v53, v1;
	;;#ASMEND
	global_load_b128 v[2:5], v[22:23], off offset:2048
	s_wait_loadcnt 0x0
	v_dual_lshrrev_b32 v1, 16, v3 :: v_dual_lshrrev_b32 v24, 16, v2
	v_lshrrev_b32_e32 v39, 16, v4
	s_and_saveexec_b32 s19, vcc_lo
	s_cbranch_execz .LBB93_56
; %bb.55:                               ;   in Loop: Header=BB93_45 Depth=1
	v_cmp_gt_i32_e64 s0, s29, v35
	v_and_b32_e32 v54, 0xffff, v5
	v_and_b32_e32 v5, 0xffff0000, v5
	s_delay_alu instid0(VALU_DEP_3) | instskip(SKIP_1) | instid1(VALU_DEP_1)
	v_cndmask_b32_e64 v2, 0, v2, s0
	v_cmp_gt_i32_e64 s0, s29, v37
	v_cndmask_b32_e64 v3, 0, v3, s0
	v_cmp_gt_i32_e64 s0, s16, v38
	s_delay_alu instid0(VALU_DEP_1) | instskip(SKIP_1) | instid1(VALU_DEP_1)
	v_cndmask_b32_e64 v1, 0, v1, s0
	v_cmp_gt_i32_e64 s0, s29, v36
	v_cndmask_b32_e64 v24, 0, v24, s0
	v_cmp_gt_i32_e64 s0, s29, v34
	s_delay_alu instid0(VALU_DEP_1) | instskip(SKIP_1) | instid1(VALU_DEP_1)
	;; [unrolled: 5-line block ×3, first 2 shown]
	v_dual_cndmask_b32 v4, 0, v4, s0 :: v_dual_bitop2_b32 v5, v54, v5 bitop3:0x54
	v_cmp_gt_i32_e64 s0, s29, v31
	v_cndmask_b32_e64 v39, 0, v39, s0
.LBB93_56:                              ;   in Loop: Header=BB93_45 Depth=1
	s_or_b32 exec_lo, exec_lo, s19
	v_dual_lshlrev_b32 v24, 16, v24 :: v_dual_lshlrev_b32 v1, 16, v1
	s_delay_alu instid0(VALU_DEP_2) | instskip(NEXT) | instid1(VALU_DEP_2)
	v_lshlrev_b32_e32 v39, 16, v39
	v_and_or_b32 v2, 0xffff, v2, v24
	s_delay_alu instid0(VALU_DEP_3) | instskip(NEXT) | instid1(VALU_DEP_3)
	v_and_or_b32 v1, 0xffff, v3, v1
	v_and_or_b32 v3, 0xffff, v4, v39
	;;#ASMSTART
	v_pk_mul_f16 v2, v41, v2;

	;;#ASMEND
	;;#ASMSTART
	v_pk_mul_f16 v1, v40, v1;

	;;#ASMEND
	;;#ASMSTART
	v_pk_mul_f16 v3, v42, v3;

	;;#ASMEND
	;;#ASMSTART
	v_pk_mul_f16 v4, v43, v5;

	;;#ASMEND
	;;#ASMSTART
	v_pk_add_f16 v1, v2, v1;

	;;#ASMEND
	;;#ASMSTART
	v_pk_add_f16 v1, v1, v3;

	;;#ASMEND
	;; [unrolled: 4-line block ×3, first 2 shown]
	v_and_b32_e32 v2, 0xffff, v1
	v_lshrrev_b32_e32 v1, 16, v1
	;;#ASMSTART
	v_cvt_f32_f16 v54, v2;
	;;#ASMEND
	;;#ASMSTART
	v_cvt_f32_f16 v55, v1;
	;;#ASMEND
	global_load_b128 v[2:5], v[22:23], off offset:2560
	s_wait_loadcnt 0x0
	v_dual_lshrrev_b32 v1, 16, v3 :: v_dual_lshrrev_b32 v24, 16, v2
	v_lshrrev_b32_e32 v39, 16, v4
	s_and_saveexec_b32 s19, vcc_lo
	s_cbranch_execz .LBB93_58
; %bb.57:                               ;   in Loop: Header=BB93_45 Depth=1
	v_cmp_gt_i32_e64 s0, s29, v35
	v_and_b32_e32 v56, 0xffff, v5
	v_and_b32_e32 v5, 0xffff0000, v5
	s_delay_alu instid0(VALU_DEP_3) | instskip(SKIP_1) | instid1(VALU_DEP_1)
	v_cndmask_b32_e64 v2, 0, v2, s0
	v_cmp_gt_i32_e64 s0, s29, v37
	v_cndmask_b32_e64 v3, 0, v3, s0
	v_cmp_gt_i32_e64 s0, s16, v38
	s_delay_alu instid0(VALU_DEP_1) | instskip(SKIP_1) | instid1(VALU_DEP_1)
	v_cndmask_b32_e64 v1, 0, v1, s0
	v_cmp_gt_i32_e64 s0, s29, v36
	v_cndmask_b32_e64 v24, 0, v24, s0
	v_cmp_gt_i32_e64 s0, s29, v34
	s_delay_alu instid0(VALU_DEP_1) | instskip(SKIP_1) | instid1(VALU_DEP_1)
	;; [unrolled: 5-line block ×3, first 2 shown]
	v_dual_cndmask_b32 v4, 0, v4, s0 :: v_dual_bitop2_b32 v5, v56, v5 bitop3:0x54
	v_cmp_gt_i32_e64 s0, s29, v31
	v_cndmask_b32_e64 v39, 0, v39, s0
.LBB93_58:                              ;   in Loop: Header=BB93_45 Depth=1
	s_or_b32 exec_lo, exec_lo, s19
	v_dual_lshlrev_b32 v24, 16, v24 :: v_dual_lshlrev_b32 v1, 16, v1
	s_delay_alu instid0(VALU_DEP_2) | instskip(NEXT) | instid1(VALU_DEP_2)
	v_lshlrev_b32_e32 v39, 16, v39
	v_and_or_b32 v2, 0xffff, v2, v24
	s_delay_alu instid0(VALU_DEP_3) | instskip(NEXT) | instid1(VALU_DEP_3)
	v_and_or_b32 v1, 0xffff, v3, v1
	v_and_or_b32 v3, 0xffff, v4, v39
	;;#ASMSTART
	v_pk_mul_f16 v2, v41, v2;

	;;#ASMEND
	;;#ASMSTART
	v_pk_mul_f16 v1, v40, v1;

	;;#ASMEND
	;; [unrolled: 4-line block ×4, first 2 shown]
	;;#ASMSTART
	v_pk_add_f16 v1, v2, v1;

	;;#ASMEND
	;;#ASMSTART
	v_pk_add_f16 v1, v1, v3;

	;;#ASMEND
	;; [unrolled: 4-line block ×3, first 2 shown]
	v_and_b32_e32 v2, 0xffff, v1
	v_lshrrev_b32_e32 v1, 16, v1
	;;#ASMSTART
	v_cvt_f32_f16 v56, v2;
	;;#ASMEND
	;;#ASMSTART
	v_cvt_f32_f16 v57, v1;
	;;#ASMEND
	global_load_b128 v[2:5], v[22:23], off offset:3072
	s_wait_loadcnt 0x0
	v_dual_lshrrev_b32 v1, 16, v3 :: v_dual_lshrrev_b32 v24, 16, v2
	v_lshrrev_b32_e32 v39, 16, v4
	s_and_saveexec_b32 s19, vcc_lo
	s_cbranch_execz .LBB93_60
; %bb.59:                               ;   in Loop: Header=BB93_45 Depth=1
	v_cmp_gt_i32_e64 s0, s29, v35
	v_and_b32_e32 v60, 0xffff, v5
	v_and_b32_e32 v5, 0xffff0000, v5
	s_delay_alu instid0(VALU_DEP_3) | instskip(SKIP_1) | instid1(VALU_DEP_1)
	v_cndmask_b32_e64 v2, 0, v2, s0
	v_cmp_gt_i32_e64 s0, s29, v37
	v_cndmask_b32_e64 v3, 0, v3, s0
	v_cmp_gt_i32_e64 s0, s16, v38
	s_delay_alu instid0(VALU_DEP_1) | instskip(SKIP_1) | instid1(VALU_DEP_1)
	v_cndmask_b32_e64 v1, 0, v1, s0
	v_cmp_gt_i32_e64 s0, s29, v36
	v_cndmask_b32_e64 v24, 0, v24, s0
	v_cmp_gt_i32_e64 s0, s29, v34
	s_delay_alu instid0(VALU_DEP_1) | instskip(SKIP_1) | instid1(VALU_DEP_1)
	;; [unrolled: 5-line block ×3, first 2 shown]
	v_dual_cndmask_b32 v4, 0, v4, s0 :: v_dual_bitop2_b32 v5, v60, v5 bitop3:0x54
	v_cmp_gt_i32_e64 s0, s29, v31
	v_cndmask_b32_e64 v39, 0, v39, s0
.LBB93_60:                              ;   in Loop: Header=BB93_45 Depth=1
	s_or_b32 exec_lo, exec_lo, s19
	v_dual_lshlrev_b32 v24, 16, v24 :: v_dual_lshlrev_b32 v1, 16, v1
	s_delay_alu instid0(VALU_DEP_2) | instskip(NEXT) | instid1(VALU_DEP_2)
	v_lshlrev_b32_e32 v39, 16, v39
	v_and_or_b32 v2, 0xffff, v2, v24
	s_delay_alu instid0(VALU_DEP_3) | instskip(NEXT) | instid1(VALU_DEP_3)
	v_and_or_b32 v1, 0xffff, v3, v1
	v_and_or_b32 v3, 0xffff, v4, v39
	;;#ASMSTART
	v_pk_mul_f16 v2, v41, v2;

	;;#ASMEND
	;;#ASMSTART
	v_pk_mul_f16 v1, v40, v1;

	;;#ASMEND
	;; [unrolled: 4-line block ×4, first 2 shown]
	;;#ASMSTART
	v_pk_add_f16 v1, v2, v1;

	;;#ASMEND
	;;#ASMSTART
	v_pk_add_f16 v1, v1, v3;

	;;#ASMEND
	;; [unrolled: 4-line block ×3, first 2 shown]
	v_and_b32_e32 v2, 0xffff, v1
	v_lshrrev_b32_e32 v1, 16, v1
	;;#ASMSTART
	v_cvt_f32_f16 v60, v2;
	;;#ASMEND
	;;#ASMSTART
	v_cvt_f32_f16 v61, v1;
	;;#ASMEND
	global_load_b128 v[2:5], v[22:23], off offset:3584
	s_wait_loadcnt 0x0
	v_dual_lshrrev_b32 v1, 16, v3 :: v_dual_lshrrev_b32 v24, 16, v2
	v_lshrrev_b32_e32 v39, 16, v4
	s_and_saveexec_b32 s19, vcc_lo
	s_cbranch_execz .LBB93_62
; %bb.61:                               ;   in Loop: Header=BB93_45 Depth=1
	v_cmp_gt_i32_e64 s0, s29, v35
	v_and_b32_e32 v62, 0xffff, v5
	v_and_b32_e32 v5, 0xffff0000, v5
	s_delay_alu instid0(VALU_DEP_3) | instskip(SKIP_1) | instid1(VALU_DEP_1)
	v_cndmask_b32_e64 v2, 0, v2, s0
	v_cmp_gt_i32_e64 s0, s29, v37
	v_cndmask_b32_e64 v3, 0, v3, s0
	v_cmp_gt_i32_e64 s0, s16, v38
	s_delay_alu instid0(VALU_DEP_1) | instskip(SKIP_1) | instid1(VALU_DEP_1)
	v_cndmask_b32_e64 v1, 0, v1, s0
	v_cmp_gt_i32_e64 s0, s29, v36
	v_cndmask_b32_e64 v24, 0, v24, s0
	v_cmp_gt_i32_e64 s0, s29, v34
	s_delay_alu instid0(VALU_DEP_1) | instskip(SKIP_1) | instid1(VALU_DEP_1)
	v_cndmask_b32_e64 v62, 0, v62, s0
	v_cmp_gt_i32_e64 s0, s29, v33
	v_cndmask_b32_e64 v5, 0, v5, s0
	v_cmp_gt_i32_e64 s0, s29, v32
	s_delay_alu instid0(VALU_DEP_1) | instskip(SKIP_1) | instid1(VALU_DEP_1)
	v_dual_cndmask_b32 v4, 0, v4, s0 :: v_dual_bitop2_b32 v5, v62, v5 bitop3:0x54
	v_cmp_gt_i32_e64 s0, s29, v31
	v_cndmask_b32_e64 v39, 0, v39, s0
.LBB93_62:                              ;   in Loop: Header=BB93_45 Depth=1
	s_or_b32 exec_lo, exec_lo, s19
	v_dual_lshlrev_b32 v24, 16, v24 :: v_dual_lshlrev_b32 v1, 16, v1
	s_delay_alu instid0(VALU_DEP_2) | instskip(NEXT) | instid1(VALU_DEP_2)
	v_lshlrev_b32_e32 v39, 16, v39
	v_and_or_b32 v2, 0xffff, v2, v24
	s_delay_alu instid0(VALU_DEP_3) | instskip(NEXT) | instid1(VALU_DEP_3)
	v_and_or_b32 v1, 0xffff, v3, v1
	v_and_or_b32 v3, 0xffff, v4, v39
	;;#ASMSTART
	v_pk_mul_f16 v2, v41, v2;

	;;#ASMEND
	;;#ASMSTART
	v_pk_mul_f16 v1, v40, v1;

	;;#ASMEND
	;; [unrolled: 4-line block ×4, first 2 shown]
	;;#ASMSTART
	v_pk_add_f16 v1, v2, v1;

	;;#ASMEND
	;;#ASMSTART
	v_pk_add_f16 v1, v1, v3;

	;;#ASMEND
	;;#ASMSTART
	v_pk_add_f16 v1, v1, v4;

	;;#ASMEND
	v_and_b32_e32 v2, 0xffff, v1
	v_lshrrev_b32_e32 v1, 16, v1
	;;#ASMSTART
	v_cvt_f32_f16 v62, v2;
	;;#ASMEND
	;;#ASMSTART
	v_cvt_f32_f16 v63, v1;
	;;#ASMEND
	global_load_b128 v[2:5], v[22:23], off offset:4096
	s_wait_loadcnt 0x0
	v_dual_lshrrev_b32 v1, 16, v3 :: v_dual_lshrrev_b32 v24, 16, v2
	v_lshrrev_b32_e32 v39, 16, v4
	s_and_saveexec_b32 s19, vcc_lo
	s_cbranch_execz .LBB93_64
; %bb.63:                               ;   in Loop: Header=BB93_45 Depth=1
	v_cmp_gt_i32_e64 s0, s29, v35
	v_and_b32_e32 v64, 0xffff, v5
	v_and_b32_e32 v5, 0xffff0000, v5
	s_delay_alu instid0(VALU_DEP_3) | instskip(SKIP_1) | instid1(VALU_DEP_1)
	v_cndmask_b32_e64 v2, 0, v2, s0
	v_cmp_gt_i32_e64 s0, s29, v37
	v_cndmask_b32_e64 v3, 0, v3, s0
	v_cmp_gt_i32_e64 s0, s16, v38
	s_delay_alu instid0(VALU_DEP_1) | instskip(SKIP_1) | instid1(VALU_DEP_1)
	v_cndmask_b32_e64 v1, 0, v1, s0
	v_cmp_gt_i32_e64 s0, s29, v36
	v_cndmask_b32_e64 v24, 0, v24, s0
	v_cmp_gt_i32_e64 s0, s29, v34
	s_delay_alu instid0(VALU_DEP_1) | instskip(SKIP_1) | instid1(VALU_DEP_1)
	;; [unrolled: 5-line block ×3, first 2 shown]
	v_dual_cndmask_b32 v4, 0, v4, s0 :: v_dual_bitop2_b32 v5, v64, v5 bitop3:0x54
	v_cmp_gt_i32_e64 s0, s29, v31
	v_cndmask_b32_e64 v39, 0, v39, s0
.LBB93_64:                              ;   in Loop: Header=BB93_45 Depth=1
	s_or_b32 exec_lo, exec_lo, s19
	v_dual_lshlrev_b32 v24, 16, v24 :: v_dual_lshlrev_b32 v1, 16, v1
	s_delay_alu instid0(VALU_DEP_2) | instskip(NEXT) | instid1(VALU_DEP_2)
	v_lshlrev_b32_e32 v39, 16, v39
	v_and_or_b32 v2, 0xffff, v2, v24
	s_delay_alu instid0(VALU_DEP_3) | instskip(NEXT) | instid1(VALU_DEP_3)
	v_and_or_b32 v1, 0xffff, v3, v1
	v_and_or_b32 v3, 0xffff, v4, v39
	;;#ASMSTART
	v_pk_mul_f16 v2, v41, v2;

	;;#ASMEND
	;;#ASMSTART
	v_pk_mul_f16 v1, v40, v1;

	;;#ASMEND
	;; [unrolled: 4-line block ×4, first 2 shown]
	;;#ASMSTART
	v_pk_add_f16 v1, v2, v1;

	;;#ASMEND
	;;#ASMSTART
	v_pk_add_f16 v1, v1, v3;

	;;#ASMEND
	;;#ASMSTART
	v_pk_add_f16 v1, v1, v4;

	;;#ASMEND
	v_and_b32_e32 v2, 0xffff, v1
	v_lshrrev_b32_e32 v1, 16, v1
	;;#ASMSTART
	v_cvt_f32_f16 v64, v2;
	;;#ASMEND
	;;#ASMSTART
	v_cvt_f32_f16 v65, v1;
	;;#ASMEND
	global_load_b128 v[2:5], v[22:23], off offset:4608
	s_wait_loadcnt 0x0
	v_dual_lshrrev_b32 v1, 16, v3 :: v_dual_lshrrev_b32 v24, 16, v2
	v_lshrrev_b32_e32 v39, 16, v4
	s_and_saveexec_b32 s19, vcc_lo
	s_cbranch_execz .LBB93_66
; %bb.65:                               ;   in Loop: Header=BB93_45 Depth=1
	v_cmp_gt_i32_e64 s0, s29, v35
	v_and_b32_e32 v66, 0xffff, v5
	v_and_b32_e32 v5, 0xffff0000, v5
	s_delay_alu instid0(VALU_DEP_3) | instskip(SKIP_1) | instid1(VALU_DEP_1)
	v_cndmask_b32_e64 v2, 0, v2, s0
	v_cmp_gt_i32_e64 s0, s29, v37
	v_cndmask_b32_e64 v3, 0, v3, s0
	v_cmp_gt_i32_e64 s0, s16, v38
	s_delay_alu instid0(VALU_DEP_1) | instskip(SKIP_1) | instid1(VALU_DEP_1)
	v_cndmask_b32_e64 v1, 0, v1, s0
	v_cmp_gt_i32_e64 s0, s29, v36
	v_cndmask_b32_e64 v24, 0, v24, s0
	v_cmp_gt_i32_e64 s0, s29, v34
	s_delay_alu instid0(VALU_DEP_1) | instskip(SKIP_1) | instid1(VALU_DEP_1)
	;; [unrolled: 5-line block ×3, first 2 shown]
	v_dual_cndmask_b32 v4, 0, v4, s0 :: v_dual_bitop2_b32 v5, v66, v5 bitop3:0x54
	v_cmp_gt_i32_e64 s0, s29, v31
	v_cndmask_b32_e64 v39, 0, v39, s0
.LBB93_66:                              ;   in Loop: Header=BB93_45 Depth=1
	s_or_b32 exec_lo, exec_lo, s19
	v_dual_lshlrev_b32 v24, 16, v24 :: v_dual_lshlrev_b32 v1, 16, v1
	s_delay_alu instid0(VALU_DEP_2) | instskip(NEXT) | instid1(VALU_DEP_2)
	v_lshlrev_b32_e32 v39, 16, v39
	v_and_or_b32 v2, 0xffff, v2, v24
	s_delay_alu instid0(VALU_DEP_3) | instskip(NEXT) | instid1(VALU_DEP_3)
	v_and_or_b32 v1, 0xffff, v3, v1
	v_and_or_b32 v3, 0xffff, v4, v39
	;;#ASMSTART
	v_pk_mul_f16 v2, v41, v2;

	;;#ASMEND
	;;#ASMSTART
	v_pk_mul_f16 v1, v40, v1;

	;;#ASMEND
	;; [unrolled: 4-line block ×4, first 2 shown]
	;;#ASMSTART
	v_pk_add_f16 v1, v2, v1;

	;;#ASMEND
	;;#ASMSTART
	v_pk_add_f16 v1, v1, v3;

	;;#ASMEND
	;; [unrolled: 4-line block ×3, first 2 shown]
	v_and_b32_e32 v2, 0xffff, v1
	v_lshrrev_b32_e32 v1, 16, v1
	;;#ASMSTART
	v_cvt_f32_f16 v66, v2;
	;;#ASMEND
	;;#ASMSTART
	v_cvt_f32_f16 v67, v1;
	;;#ASMEND
	global_load_b128 v[2:5], v[22:23], off offset:5120
	s_wait_loadcnt 0x0
	v_dual_lshrrev_b32 v1, 16, v3 :: v_dual_lshrrev_b32 v24, 16, v2
	v_lshrrev_b32_e32 v39, 16, v4
	s_and_saveexec_b32 s19, vcc_lo
	s_cbranch_execz .LBB93_68
; %bb.67:                               ;   in Loop: Header=BB93_45 Depth=1
	v_cmp_gt_i32_e64 s0, s29, v35
	v_and_b32_e32 v68, 0xffff, v5
	v_and_b32_e32 v5, 0xffff0000, v5
	s_delay_alu instid0(VALU_DEP_3) | instskip(SKIP_1) | instid1(VALU_DEP_1)
	v_cndmask_b32_e64 v2, 0, v2, s0
	v_cmp_gt_i32_e64 s0, s29, v37
	v_cndmask_b32_e64 v3, 0, v3, s0
	v_cmp_gt_i32_e64 s0, s16, v38
	s_delay_alu instid0(VALU_DEP_1) | instskip(SKIP_1) | instid1(VALU_DEP_1)
	v_cndmask_b32_e64 v1, 0, v1, s0
	v_cmp_gt_i32_e64 s0, s29, v36
	v_cndmask_b32_e64 v24, 0, v24, s0
	v_cmp_gt_i32_e64 s0, s29, v34
	s_delay_alu instid0(VALU_DEP_1) | instskip(SKIP_1) | instid1(VALU_DEP_1)
	;; [unrolled: 5-line block ×3, first 2 shown]
	v_dual_cndmask_b32 v4, 0, v4, s0 :: v_dual_bitop2_b32 v5, v68, v5 bitop3:0x54
	v_cmp_gt_i32_e64 s0, s29, v31
	v_cndmask_b32_e64 v39, 0, v39, s0
.LBB93_68:                              ;   in Loop: Header=BB93_45 Depth=1
	s_or_b32 exec_lo, exec_lo, s19
	v_dual_lshlrev_b32 v24, 16, v24 :: v_dual_lshlrev_b32 v1, 16, v1
	s_delay_alu instid0(VALU_DEP_2) | instskip(NEXT) | instid1(VALU_DEP_2)
	v_lshlrev_b32_e32 v39, 16, v39
	v_and_or_b32 v2, 0xffff, v2, v24
	s_delay_alu instid0(VALU_DEP_3) | instskip(NEXT) | instid1(VALU_DEP_3)
	v_and_or_b32 v1, 0xffff, v3, v1
	v_and_or_b32 v3, 0xffff, v4, v39
	;;#ASMSTART
	v_pk_mul_f16 v2, v41, v2;

	;;#ASMEND
	;;#ASMSTART
	v_pk_mul_f16 v1, v40, v1;

	;;#ASMEND
	;; [unrolled: 4-line block ×4, first 2 shown]
	;;#ASMSTART
	v_pk_add_f16 v1, v2, v1;

	;;#ASMEND
	;;#ASMSTART
	v_pk_add_f16 v1, v1, v3;

	;;#ASMEND
	;; [unrolled: 4-line block ×3, first 2 shown]
	v_and_b32_e32 v2, 0xffff, v1
	v_lshrrev_b32_e32 v1, 16, v1
	;;#ASMSTART
	v_cvt_f32_f16 v24, v2;
	;;#ASMEND
	;;#ASMSTART
	v_cvt_f32_f16 v39, v1;
	;;#ASMEND
	global_load_b128 v[2:5], v[22:23], off offset:5632
	s_wait_loadcnt 0x0
	v_dual_lshrrev_b32 v1, 16, v3 :: v_dual_lshrrev_b32 v22, 16, v2
	v_lshrrev_b32_e32 v23, 16, v4
	s_and_saveexec_b32 s0, vcc_lo
	s_cbranch_execz .LBB93_43
; %bb.69:                               ;   in Loop: Header=BB93_45 Depth=1
	v_cmp_gt_i32_e32 vcc_lo, s29, v35
	v_and_b32_e32 v35, 0xffff, v5
	v_and_b32_e32 v5, 0xffff0000, v5
	v_cndmask_b32_e32 v2, 0, v2, vcc_lo
	v_cmp_gt_i32_e32 vcc_lo, s29, v37
	v_cndmask_b32_e32 v3, 0, v3, vcc_lo
	v_cmp_gt_i32_e32 vcc_lo, s16, v38
	;; [unrolled: 2-line block ×6, first 2 shown]
	s_delay_alu instid0(VALU_DEP_2)
	v_dual_cndmask_b32 v4, 0, v4, vcc_lo :: v_dual_bitop2_b32 v5, v34, v5 bitop3:0x54
	v_cmp_gt_i32_e32 vcc_lo, s29, v31
	v_cndmask_b32_e32 v23, 0, v23, vcc_lo
	s_branch .LBB93_43
.LBB93_70:
	s_or_b32 exec_lo, exec_lo, s17
.LBB93_71:
	s_delay_alu instid0(SALU_CYCLE_1)
	s_or_b32 exec_lo, exec_lo, s1
	ds_bpermute_b32 v2, v26, v16
	ds_bpermute_b32 v3, v26, v17
	ds_bpermute_b32 v4, v26, v14
	ds_bpermute_b32 v5, v26, v15
	ds_bpermute_b32 v18, v26, v12
	ds_bpermute_b32 v19, v26, v13
	ds_bpermute_b32 v20, v26, v10
	ds_bpermute_b32 v21, v26, v11
	ds_bpermute_b32 v22, v26, v8
	ds_bpermute_b32 v23, v26, v9
	ds_bpermute_b32 v28, v26, v6
	ds_bpermute_b32 v29, v26, v7
	v_and_b32_e32 v1, 28, v59
	v_and_b32_e32 v24, 0x3c3, v0
	s_mov_b32 s0, exec_lo
	s_wait_dscnt 0x0
	s_barrier_signal -1
	s_barrier_wait -1
	v_pk_add_f32 v[2:3], v[16:17], v[2:3]
	v_pk_add_f32 v[4:5], v[14:15], v[4:5]
	;; [unrolled: 1-line block ×5, first 2 shown]
	ds_bpermute_b32 v8, v25, v4
	v_pk_add_f32 v[12:13], v[6:7], v[28:29]
	ds_bpermute_b32 v6, v25, v2
	ds_bpermute_b32 v7, v25, v3
	;; [unrolled: 1-line block ×11, first 2 shown]
	s_wait_dscnt 0x9
	v_pk_add_f32 v[10:11], v[2:3], v[6:7]
	s_wait_dscnt 0x8
	v_pk_add_f32 v[8:9], v[4:5], v[8:9]
	;; [unrolled: 2-line block ×5, first 2 shown]
	v_cmpx_ne_u32_e32 64, v24
	s_xor_b32 s0, exec_lo, s0
	s_delay_alu instid0(SALU_CYCLE_1)
	s_or_saveexec_b32 s0, s0
	s_wait_dscnt 0x0
	v_pk_add_f32 v[12:13], v[12:13], v[14:15]
	v_lshrrev_b32_e32 v15, 2, v59
	v_add_nc_u32_e32 v14, 0xe0, v1
	v_mul_u32_u24_e32 v1, 0x180, v58
	s_xor_b32 exec_lo, exec_lo, s0
	s_cbranch_execz .LBB93_73
; %bb.72:
	s_delay_alu instid0(VALU_DEP_1) | instskip(NEXT) | instid1(VALU_DEP_1)
	v_add_nc_u32_e32 v16, v14, v1
	v_add_nc_u32_e32 v17, 0xfffffd00, v16
	;; [unrolled: 1-line block ×13, first 2 shown]
	ds_store_b32 v17, v10
	ds_store_b32 v18, v11
	;; [unrolled: 1-line block ×12, first 2 shown]
.LBB93_73:
	s_or_b32 exec_lo, exec_lo, s0
	v_lshlrev_b32_e32 v15, 2, v15
	s_mov_b32 s1, exec_lo
	v_cmp_eq_u32_e32 vcc_lo, 0, v27
	s_wait_dscnt 0x0
	s_barrier_signal -1
	v_add3_u32 v1, 0xe0, v1, v15
	s_barrier_wait -1
	v_cmpx_gt_u32_e32 64, v0
	s_cbranch_execz .LBB93_88
; %bb.74:
	s_and_saveexec_b32 s0, vcc_lo
	s_cbranch_execnz .LBB93_108
; %bb.75:
	s_or_b32 exec_lo, exec_lo, s0
	s_and_saveexec_b32 s0, vcc_lo
	s_cbranch_execnz .LBB93_109
.LBB93_76:
	s_or_b32 exec_lo, exec_lo, s0
	s_and_saveexec_b32 s0, vcc_lo
	s_cbranch_execnz .LBB93_110
.LBB93_77:
	s_or_b32 exec_lo, exec_lo, s0
	s_and_saveexec_b32 s0, vcc_lo
	s_cbranch_execnz .LBB93_111
.LBB93_78:
	s_or_b32 exec_lo, exec_lo, s0
	s_and_saveexec_b32 s0, vcc_lo
	s_cbranch_execnz .LBB93_112
.LBB93_79:
	s_or_b32 exec_lo, exec_lo, s0
	s_and_saveexec_b32 s0, vcc_lo
	s_cbranch_execnz .LBB93_113
.LBB93_80:
	s_or_b32 exec_lo, exec_lo, s0
	s_and_saveexec_b32 s0, vcc_lo
	s_cbranch_execnz .LBB93_114
.LBB93_81:
	s_or_b32 exec_lo, exec_lo, s0
	s_and_saveexec_b32 s0, vcc_lo
	s_cbranch_execnz .LBB93_115
.LBB93_82:
	s_or_b32 exec_lo, exec_lo, s0
	s_and_saveexec_b32 s0, vcc_lo
	s_cbranch_execnz .LBB93_116
.LBB93_83:
	s_or_b32 exec_lo, exec_lo, s0
	s_and_saveexec_b32 s0, vcc_lo
	s_cbranch_execnz .LBB93_117
.LBB93_84:
	s_or_b32 exec_lo, exec_lo, s0
	s_and_saveexec_b32 s0, vcc_lo
	s_cbranch_execnz .LBB93_118
.LBB93_85:
	s_or_b32 exec_lo, exec_lo, s0
	s_and_saveexec_b32 s0, vcc_lo
	s_cbranch_execz .LBB93_87
.LBB93_86:
	ds_load_b32 v15, v1 offset:352
	s_wait_dscnt 0x0
	v_add_f32_e32 v13, v13, v15
.LBB93_87:
	s_or_b32 exec_lo, exec_lo, s0
.LBB93_88:
	s_delay_alu instid0(SALU_CYCLE_1) | instskip(SKIP_4) | instid1(VALU_DEP_1)
	s_or_b32 exec_lo, exec_lo, s1
	v_and_b32_e32 v15, 0x3e3, v0
	s_mov_b32 s1, exec_lo
	s_barrier_signal -1
	s_barrier_wait -1
	v_cmpx_eq_u32_e32 32, v15
	s_cbranch_execz .LBB93_90
; %bb.89:
	ds_store_2addr_b32 v14, v10, v11 offset1:8
	ds_store_2addr_b32 v14, v8, v9 offset0:16 offset1:24
	ds_store_2addr_b32 v14, v6, v7 offset0:32 offset1:40
	;; [unrolled: 1-line block ×5, first 2 shown]
.LBB93_90:
	s_or_b32 exec_lo, exec_lo, s1
	s_delay_alu instid0(SALU_CYCLE_1)
	s_mov_b32 s1, exec_lo
	s_wait_dscnt 0x0
	s_barrier_signal -1
	s_barrier_wait -1
	v_cmpx_gt_u32_e32 32, v0
	s_cbranch_execz .LBB93_105
; %bb.91:
	s_and_saveexec_b32 s0, vcc_lo
	s_cbranch_execnz .LBB93_119
; %bb.92:
	s_or_b32 exec_lo, exec_lo, s0
	s_and_saveexec_b32 s0, vcc_lo
	s_cbranch_execnz .LBB93_120
.LBB93_93:
	s_or_b32 exec_lo, exec_lo, s0
	s_and_saveexec_b32 s0, vcc_lo
	s_cbranch_execnz .LBB93_121
.LBB93_94:
	s_or_b32 exec_lo, exec_lo, s0
	s_and_saveexec_b32 s0, vcc_lo
	s_cbranch_execnz .LBB93_122
.LBB93_95:
	s_or_b32 exec_lo, exec_lo, s0
	s_and_saveexec_b32 s0, vcc_lo
	s_cbranch_execnz .LBB93_123
.LBB93_96:
	s_or_b32 exec_lo, exec_lo, s0
	s_and_saveexec_b32 s0, vcc_lo
	s_cbranch_execnz .LBB93_124
.LBB93_97:
	s_or_b32 exec_lo, exec_lo, s0
	s_and_saveexec_b32 s0, vcc_lo
	s_cbranch_execnz .LBB93_125
.LBB93_98:
	s_or_b32 exec_lo, exec_lo, s0
	s_and_saveexec_b32 s0, vcc_lo
	s_cbranch_execnz .LBB93_126
.LBB93_99:
	s_or_b32 exec_lo, exec_lo, s0
	s_and_saveexec_b32 s0, vcc_lo
	s_cbranch_execnz .LBB93_127
.LBB93_100:
	s_or_b32 exec_lo, exec_lo, s0
	s_and_saveexec_b32 s0, vcc_lo
	s_cbranch_execnz .LBB93_128
.LBB93_101:
	s_or_b32 exec_lo, exec_lo, s0
	s_and_saveexec_b32 s0, vcc_lo
	s_cbranch_execnz .LBB93_129
.LBB93_102:
	s_or_b32 exec_lo, exec_lo, s0
	s_and_saveexec_b32 s0, vcc_lo
	s_cbranch_execz .LBB93_104
.LBB93_103:
	ds_load_b32 v1, v1 offset:352
	s_wait_dscnt 0x0
	v_add_f32_e32 v13, v13, v1
.LBB93_104:
	s_or_b32 exec_lo, exec_lo, s0
.LBB93_105:
	s_delay_alu instid0(SALU_CYCLE_1)
	s_or_b32 exec_lo, exec_lo, s1
	s_mov_b32 s1, 0
	s_barrier_signal -1
	s_barrier_wait -1
	s_mov_b32 s0, exec_lo
	v_cmpx_eq_u32_e32 0, v15
	s_cbranch_execz .LBB93_107
; %bb.106:
	s_mul_i32 s0, s28, s7
	s_mul_i32 s2, s7, s12
	;; [unrolled: 1-line block ×3, first 2 shown]
	s_lshr_b32 s6, ttmp7, 16
	s_mul_i32 s4, s0, 0x60
	s_bfe_u32 s0, ttmp6, 0x40014
	s_ashr_i32 s5, s4, 31
	s_add_co_i32 s0, s0, 1
	s_ashr_i32 s3, s2, 31
	s_mul_i32 s0, s6, s0
	s_bfe_u32 s7, ttmp6, 0x40008
	s_lshl_b64 s[4:5], s[4:5], 1
	s_lshl_b64 s[2:3], s[2:3], 1
	s_add_co_i32 s7, s7, s0
	s_cmp_eq_u32 s26, 0
	s_wait_kmcnt 0x0
	s_add_nc_u64 s[4:5], s[10:11], s[4:5]
	s_cselect_b32 s0, s6, s7
	v_lshrrev_b32_e32 v0, 1, v0
	s_add_nc_u64 s[2:3], s[4:5], s[2:3]
	s_mulk_i32 s0, 0xc0
	;;#ASMSTART
	v_cvt_f16_f32 v1, v10;

	;;#ASMEND
	s_add_nc_u64 s[0:1], s[2:3], s[0:1]
	global_store_b16 v0, v1, s[0:1]
	s_wait_xcnt 0x0
	;;#ASMSTART
	v_cvt_f16_f32 v1, v11;

	;;#ASMEND
	global_store_b16 v0, v1, s[0:1] offset:16
	s_wait_xcnt 0x0
	;;#ASMSTART
	v_cvt_f16_f32 v1, v8;

	;;#ASMEND
	global_store_b16 v0, v1, s[0:1] offset:32
	s_wait_xcnt 0x0
	;;#ASMSTART
	v_cvt_f16_f32 v1, v9;

	;;#ASMEND
	global_store_b16 v0, v1, s[0:1] offset:48
	s_wait_xcnt 0x0
	;;#ASMSTART
	v_cvt_f16_f32 v1, v6;

	;;#ASMEND
	global_store_b16 v0, v1, s[0:1] offset:64
	s_wait_xcnt 0x0
	;;#ASMSTART
	v_cvt_f16_f32 v1, v7;

	;;#ASMEND
	global_store_b16 v0, v1, s[0:1] offset:80
	s_wait_xcnt 0x0
	;;#ASMSTART
	v_cvt_f16_f32 v1, v4;

	;;#ASMEND
	global_store_b16 v0, v1, s[0:1] offset:96
	s_wait_xcnt 0x0
	;;#ASMSTART
	v_cvt_f16_f32 v1, v5;

	;;#ASMEND
	global_store_b16 v0, v1, s[0:1] offset:112
	s_wait_xcnt 0x0
	;;#ASMSTART
	v_cvt_f16_f32 v1, v2;

	;;#ASMEND
	global_store_b16 v0, v1, s[0:1] offset:128
	s_wait_xcnt 0x0
	;;#ASMSTART
	v_cvt_f16_f32 v1, v3;

	;;#ASMEND
	global_store_b16 v0, v1, s[0:1] offset:144
	s_wait_xcnt 0x0
	;;#ASMSTART
	v_cvt_f16_f32 v1, v12;

	;;#ASMEND
	global_store_b16 v0, v1, s[0:1] offset:160
	s_wait_xcnt 0x0
	;;#ASMSTART
	v_cvt_f16_f32 v1, v13;

	;;#ASMEND
	global_store_b16 v0, v1, s[0:1] offset:176
.LBB93_107:
	s_sendmsg sendmsg(MSG_DEALLOC_VGPRS)
	s_endpgm
.LBB93_108:
	ds_load_b32 v15, v1
	s_wait_dscnt 0x0
	v_add_f32_e32 v10, v10, v15
	s_or_b32 exec_lo, exec_lo, s0
	s_and_saveexec_b32 s0, vcc_lo
	s_cbranch_execz .LBB93_76
.LBB93_109:
	ds_load_b32 v15, v1 offset:32
	s_wait_dscnt 0x0
	v_add_f32_e32 v11, v11, v15
	s_or_b32 exec_lo, exec_lo, s0
	s_and_saveexec_b32 s0, vcc_lo
	s_cbranch_execz .LBB93_77
.LBB93_110:
	ds_load_b32 v15, v1 offset:64
	s_wait_dscnt 0x0
	v_add_f32_e32 v8, v8, v15
	s_or_b32 exec_lo, exec_lo, s0
	s_and_saveexec_b32 s0, vcc_lo
	s_cbranch_execz .LBB93_78
.LBB93_111:
	ds_load_b32 v15, v1 offset:96
	s_wait_dscnt 0x0
	v_add_f32_e32 v9, v9, v15
	s_or_b32 exec_lo, exec_lo, s0
	s_and_saveexec_b32 s0, vcc_lo
	s_cbranch_execz .LBB93_79
.LBB93_112:
	ds_load_b32 v15, v1 offset:128
	s_wait_dscnt 0x0
	v_add_f32_e32 v6, v6, v15
	s_or_b32 exec_lo, exec_lo, s0
	s_and_saveexec_b32 s0, vcc_lo
	s_cbranch_execz .LBB93_80
.LBB93_113:
	ds_load_b32 v15, v1 offset:160
	s_wait_dscnt 0x0
	v_add_f32_e32 v7, v7, v15
	s_or_b32 exec_lo, exec_lo, s0
	s_and_saveexec_b32 s0, vcc_lo
	s_cbranch_execz .LBB93_81
.LBB93_114:
	ds_load_b32 v15, v1 offset:192
	s_wait_dscnt 0x0
	v_add_f32_e32 v4, v4, v15
	s_or_b32 exec_lo, exec_lo, s0
	s_and_saveexec_b32 s0, vcc_lo
	s_cbranch_execz .LBB93_82
.LBB93_115:
	ds_load_b32 v15, v1 offset:224
	s_wait_dscnt 0x0
	v_add_f32_e32 v5, v5, v15
	s_or_b32 exec_lo, exec_lo, s0
	s_and_saveexec_b32 s0, vcc_lo
	s_cbranch_execz .LBB93_83
.LBB93_116:
	ds_load_b32 v15, v1 offset:256
	s_wait_dscnt 0x0
	v_add_f32_e32 v2, v2, v15
	s_or_b32 exec_lo, exec_lo, s0
	s_and_saveexec_b32 s0, vcc_lo
	s_cbranch_execz .LBB93_84
.LBB93_117:
	ds_load_b32 v15, v1 offset:288
	s_wait_dscnt 0x0
	v_add_f32_e32 v3, v3, v15
	s_or_b32 exec_lo, exec_lo, s0
	s_and_saveexec_b32 s0, vcc_lo
	s_cbranch_execz .LBB93_85
.LBB93_118:
	ds_load_b32 v15, v1 offset:320
	s_wait_dscnt 0x0
	v_add_f32_e32 v12, v12, v15
	s_or_b32 exec_lo, exec_lo, s0
	s_and_saveexec_b32 s0, vcc_lo
	s_cbranch_execnz .LBB93_86
	s_branch .LBB93_87
.LBB93_119:
	ds_load_b32 v14, v1
	s_wait_dscnt 0x0
	v_add_f32_e32 v10, v10, v14
	s_or_b32 exec_lo, exec_lo, s0
	s_and_saveexec_b32 s0, vcc_lo
	s_cbranch_execz .LBB93_93
.LBB93_120:
	ds_load_b32 v14, v1 offset:32
	s_wait_dscnt 0x0
	v_add_f32_e32 v11, v11, v14
	s_or_b32 exec_lo, exec_lo, s0
	s_and_saveexec_b32 s0, vcc_lo
	s_cbranch_execz .LBB93_94
.LBB93_121:
	ds_load_b32 v14, v1 offset:64
	s_wait_dscnt 0x0
	v_add_f32_e32 v8, v8, v14
	s_or_b32 exec_lo, exec_lo, s0
	s_and_saveexec_b32 s0, vcc_lo
	s_cbranch_execz .LBB93_95
.LBB93_122:
	ds_load_b32 v14, v1 offset:96
	s_wait_dscnt 0x0
	v_add_f32_e32 v9, v9, v14
	s_or_b32 exec_lo, exec_lo, s0
	s_and_saveexec_b32 s0, vcc_lo
	s_cbranch_execz .LBB93_96
.LBB93_123:
	ds_load_b32 v14, v1 offset:128
	s_wait_dscnt 0x0
	v_add_f32_e32 v6, v6, v14
	s_or_b32 exec_lo, exec_lo, s0
	s_and_saveexec_b32 s0, vcc_lo
	s_cbranch_execz .LBB93_97
.LBB93_124:
	ds_load_b32 v14, v1 offset:160
	s_wait_dscnt 0x0
	v_add_f32_e32 v7, v7, v14
	s_or_b32 exec_lo, exec_lo, s0
	s_and_saveexec_b32 s0, vcc_lo
	s_cbranch_execz .LBB93_98
.LBB93_125:
	ds_load_b32 v14, v1 offset:192
	s_wait_dscnt 0x0
	v_add_f32_e32 v4, v4, v14
	s_or_b32 exec_lo, exec_lo, s0
	s_and_saveexec_b32 s0, vcc_lo
	s_cbranch_execz .LBB93_99
.LBB93_126:
	ds_load_b32 v14, v1 offset:224
	s_wait_dscnt 0x0
	v_add_f32_e32 v5, v5, v14
	s_or_b32 exec_lo, exec_lo, s0
	s_and_saveexec_b32 s0, vcc_lo
	s_cbranch_execz .LBB93_100
.LBB93_127:
	ds_load_b32 v14, v1 offset:256
	s_wait_dscnt 0x0
	v_add_f32_e32 v2, v2, v14
	s_or_b32 exec_lo, exec_lo, s0
	s_and_saveexec_b32 s0, vcc_lo
	s_cbranch_execz .LBB93_101
.LBB93_128:
	ds_load_b32 v14, v1 offset:288
	s_wait_dscnt 0x0
	v_add_f32_e32 v3, v3, v14
	s_or_b32 exec_lo, exec_lo, s0
	s_and_saveexec_b32 s0, vcc_lo
	s_cbranch_execz .LBB93_102
.LBB93_129:
	ds_load_b32 v14, v1 offset:320
	s_wait_dscnt 0x0
	v_add_f32_e32 v12, v12, v14
	s_or_b32 exec_lo, exec_lo, s0
	s_and_saveexec_b32 s0, vcc_lo
	s_cbranch_execnz .LBB93_103
	s_branch .LBB93_104
	.section	.rodata,"a",@progbits
	.p2align	6, 0x0
	.amdhsa_kernel _ZN4vllm25paged_attention_v1_kernelIttLi96ELi32ELi128ELNS_18Fp8KVCacheDataTypeE0ELb1EEEvPT_PKS2_PKT0_S8_ifPKiSA_iPKfiiiSC_SC_iiiii
		.amdhsa_group_segment_fixed_size 224
		.amdhsa_private_segment_fixed_size 0
		.amdhsa_kernarg_size 384
		.amdhsa_user_sgpr_count 2
		.amdhsa_user_sgpr_dispatch_ptr 0
		.amdhsa_user_sgpr_queue_ptr 0
		.amdhsa_user_sgpr_kernarg_segment_ptr 1
		.amdhsa_user_sgpr_dispatch_id 0
		.amdhsa_user_sgpr_kernarg_preload_length 0
		.amdhsa_user_sgpr_kernarg_preload_offset 0
		.amdhsa_user_sgpr_private_segment_size 0
		.amdhsa_wavefront_size32 1
		.amdhsa_uses_dynamic_stack 0
		.amdhsa_enable_private_segment 0
		.amdhsa_system_sgpr_workgroup_id_x 1
		.amdhsa_system_sgpr_workgroup_id_y 1
		.amdhsa_system_sgpr_workgroup_id_z 1
		.amdhsa_system_sgpr_workgroup_info 0
		.amdhsa_system_vgpr_workitem_id 0
		.amdhsa_next_free_vgpr 118
		.amdhsa_next_free_sgpr 38
		.amdhsa_named_barrier_count 0
		.amdhsa_reserve_vcc 1
		.amdhsa_float_round_mode_32 0
		.amdhsa_float_round_mode_16_64 0
		.amdhsa_float_denorm_mode_32 3
		.amdhsa_float_denorm_mode_16_64 3
		.amdhsa_fp16_overflow 0
		.amdhsa_memory_ordered 1
		.amdhsa_forward_progress 1
		.amdhsa_inst_pref_size 88
		.amdhsa_round_robin_scheduling 0
		.amdhsa_exception_fp_ieee_invalid_op 0
		.amdhsa_exception_fp_denorm_src 0
		.amdhsa_exception_fp_ieee_div_zero 0
		.amdhsa_exception_fp_ieee_overflow 0
		.amdhsa_exception_fp_ieee_underflow 0
		.amdhsa_exception_fp_ieee_inexact 0
		.amdhsa_exception_int_div_zero 0
	.end_amdhsa_kernel
	.section	.text._ZN4vllm25paged_attention_v1_kernelIttLi96ELi32ELi128ELNS_18Fp8KVCacheDataTypeE0ELb1EEEvPT_PKS2_PKT0_S8_ifPKiSA_iPKfiiiSC_SC_iiiii,"axG",@progbits,_ZN4vllm25paged_attention_v1_kernelIttLi96ELi32ELi128ELNS_18Fp8KVCacheDataTypeE0ELb1EEEvPT_PKS2_PKT0_S8_ifPKiSA_iPKfiiiSC_SC_iiiii,comdat
.Lfunc_end93:
	.size	_ZN4vllm25paged_attention_v1_kernelIttLi96ELi32ELi128ELNS_18Fp8KVCacheDataTypeE0ELb1EEEvPT_PKS2_PKT0_S8_ifPKiSA_iPKfiiiSC_SC_iiiii, .Lfunc_end93-_ZN4vllm25paged_attention_v1_kernelIttLi96ELi32ELi128ELNS_18Fp8KVCacheDataTypeE0ELb1EEEvPT_PKS2_PKT0_S8_ifPKiSA_iPKfiiiSC_SC_iiiii
                                        ; -- End function
	.set _ZN4vllm25paged_attention_v1_kernelIttLi96ELi32ELi128ELNS_18Fp8KVCacheDataTypeE0ELb1EEEvPT_PKS2_PKT0_S8_ifPKiSA_iPKfiiiSC_SC_iiiii.num_vgpr, 118
	.set _ZN4vllm25paged_attention_v1_kernelIttLi96ELi32ELi128ELNS_18Fp8KVCacheDataTypeE0ELb1EEEvPT_PKS2_PKT0_S8_ifPKiSA_iPKfiiiSC_SC_iiiii.num_agpr, 0
	.set _ZN4vllm25paged_attention_v1_kernelIttLi96ELi32ELi128ELNS_18Fp8KVCacheDataTypeE0ELb1EEEvPT_PKS2_PKT0_S8_ifPKiSA_iPKfiiiSC_SC_iiiii.numbered_sgpr, 38
	.set _ZN4vllm25paged_attention_v1_kernelIttLi96ELi32ELi128ELNS_18Fp8KVCacheDataTypeE0ELb1EEEvPT_PKS2_PKT0_S8_ifPKiSA_iPKfiiiSC_SC_iiiii.num_named_barrier, 0
	.set _ZN4vllm25paged_attention_v1_kernelIttLi96ELi32ELi128ELNS_18Fp8KVCacheDataTypeE0ELb1EEEvPT_PKS2_PKT0_S8_ifPKiSA_iPKfiiiSC_SC_iiiii.private_seg_size, 0
	.set _ZN4vllm25paged_attention_v1_kernelIttLi96ELi32ELi128ELNS_18Fp8KVCacheDataTypeE0ELb1EEEvPT_PKS2_PKT0_S8_ifPKiSA_iPKfiiiSC_SC_iiiii.uses_vcc, 1
	.set _ZN4vllm25paged_attention_v1_kernelIttLi96ELi32ELi128ELNS_18Fp8KVCacheDataTypeE0ELb1EEEvPT_PKS2_PKT0_S8_ifPKiSA_iPKfiiiSC_SC_iiiii.uses_flat_scratch, 0
	.set _ZN4vllm25paged_attention_v1_kernelIttLi96ELi32ELi128ELNS_18Fp8KVCacheDataTypeE0ELb1EEEvPT_PKS2_PKT0_S8_ifPKiSA_iPKfiiiSC_SC_iiiii.has_dyn_sized_stack, 0
	.set _ZN4vllm25paged_attention_v1_kernelIttLi96ELi32ELi128ELNS_18Fp8KVCacheDataTypeE0ELb1EEEvPT_PKS2_PKT0_S8_ifPKiSA_iPKfiiiSC_SC_iiiii.has_recursion, 0
	.set _ZN4vllm25paged_attention_v1_kernelIttLi96ELi32ELi128ELNS_18Fp8KVCacheDataTypeE0ELb1EEEvPT_PKS2_PKT0_S8_ifPKiSA_iPKfiiiSC_SC_iiiii.has_indirect_call, 0
	.section	.AMDGPU.csdata,"",@progbits
; Kernel info:
; codeLenInByte = 11212
; TotalNumSgprs: 40
; NumVgprs: 118
; ScratchSize: 0
; MemoryBound: 0
; FloatMode: 240
; IeeeMode: 1
; LDSByteSize: 224 bytes/workgroup (compile time only)
; SGPRBlocks: 0
; VGPRBlocks: 7
; NumSGPRsForWavesPerEU: 40
; NumVGPRsForWavesPerEU: 118
; NamedBarCnt: 0
; Occupancy: 8
; WaveLimiterHint : 1
; COMPUTE_PGM_RSRC2:SCRATCH_EN: 0
; COMPUTE_PGM_RSRC2:USER_SGPR: 2
; COMPUTE_PGM_RSRC2:TRAP_HANDLER: 0
; COMPUTE_PGM_RSRC2:TGID_X_EN: 1
; COMPUTE_PGM_RSRC2:TGID_Y_EN: 1
; COMPUTE_PGM_RSRC2:TGID_Z_EN: 1
; COMPUTE_PGM_RSRC2:TIDIG_COMP_CNT: 0
	.section	.text._ZN4vllm25paged_attention_v1_kernelIttLi112ELi32ELi128ELNS_18Fp8KVCacheDataTypeE0ELb1EEEvPT_PKS2_PKT0_S8_ifPKiSA_iPKfiiiSC_SC_iiiii,"axG",@progbits,_ZN4vllm25paged_attention_v1_kernelIttLi112ELi32ELi128ELNS_18Fp8KVCacheDataTypeE0ELb1EEEvPT_PKS2_PKT0_S8_ifPKiSA_iPKfiiiSC_SC_iiiii,comdat
	.protected	_ZN4vllm25paged_attention_v1_kernelIttLi112ELi32ELi128ELNS_18Fp8KVCacheDataTypeE0ELb1EEEvPT_PKS2_PKT0_S8_ifPKiSA_iPKfiiiSC_SC_iiiii ; -- Begin function _ZN4vllm25paged_attention_v1_kernelIttLi112ELi32ELi128ELNS_18Fp8KVCacheDataTypeE0ELb1EEEvPT_PKS2_PKT0_S8_ifPKiSA_iPKfiiiSC_SC_iiiii
	.globl	_ZN4vllm25paged_attention_v1_kernelIttLi112ELi32ELi128ELNS_18Fp8KVCacheDataTypeE0ELb1EEEvPT_PKS2_PKT0_S8_ifPKiSA_iPKfiiiSC_SC_iiiii
	.p2align	8
	.type	_ZN4vllm25paged_attention_v1_kernelIttLi112ELi32ELi128ELNS_18Fp8KVCacheDataTypeE0ELb1EEEvPT_PKS2_PKT0_S8_ifPKiSA_iPKfiiiSC_SC_iiiii,@function
_ZN4vllm25paged_attention_v1_kernelIttLi112ELi32ELi128ELNS_18Fp8KVCacheDataTypeE0ELb1EEEvPT_PKS2_PKT0_S8_ifPKiSA_iPKfiiiSC_SC_iiiii: ; @_ZN4vllm25paged_attention_v1_kernelIttLi112ELi32ELi128ELNS_18Fp8KVCacheDataTypeE0ELb1EEEvPT_PKS2_PKT0_S8_ifPKiSA_iPKfiiiSC_SC_iiiii
; %bb.0:
	s_load_b64 s[22:23], s[0:1], 0x20
	s_bfe_u32 s3, ttmp6, 0x4000c
	s_bfe_u32 s4, ttmp6, 0x40010
	s_and_b32 s6, ttmp7, 0xffff
	s_add_co_i32 s3, s3, 1
	s_add_co_i32 s4, s4, 1
	s_and_b32 s2, ttmp6, 15
	s_bfe_u32 s5, ttmp6, 0x40004
	s_mul_i32 s3, ttmp9, s3
	s_mul_i32 s4, s6, s4
	s_getreg_b32 s26, hwreg(HW_REG_IB_STS2, 6, 4)
	s_add_co_i32 s2, s2, s3
	s_add_co_i32 s3, s5, s4
	s_cmp_eq_u32 s26, 0
	s_clause 0x1
	s_load_b32 s27, s[0:1], 0x80
	s_load_b64 s[4:5], s[0:1], 0x30
	s_cselect_b32 s28, s6, s3
	s_cselect_b32 s2, ttmp9, s2
	s_mov_b32 s15, 0
	s_delay_alu instid0(SALU_CYCLE_1) | instskip(SKIP_2) | instid1(SALU_CYCLE_1)
	s_mov_b32 s34, s15
	s_wait_kmcnt 0x0
	s_abs_i32 s3, s22
	s_cvt_f32_u32 s6, s3
	s_sub_co_i32 s7, 0, s3
	s_delay_alu instid0(SALU_CYCLE_2) | instskip(SKIP_2) | instid1(TRANS32_DEP_1)
	v_rcp_iflag_f32_e32 v1, s6
	s_abs_i32 s8, s27
	v_nop
	v_readfirstlane_b32 s6, v1
	s_mul_f32 s6, s6, 0x4f7ffffe
	s_delay_alu instid0(SALU_CYCLE_3) | instskip(NEXT) | instid1(SALU_CYCLE_3)
	s_cvt_u32_f32 s6, s6
	s_mul_i32 s7, s7, s6
	s_delay_alu instid0(SALU_CYCLE_1) | instskip(NEXT) | instid1(SALU_CYCLE_1)
	s_mul_hi_u32 s7, s6, s7
	s_add_co_i32 s6, s6, s7
	s_xor_b32 s7, s27, s22
	s_mul_hi_u32 s6, s8, s6
	s_ashr_i32 s7, s7, 31
	s_mul_i32 s9, s6, s3
	s_delay_alu instid0(SALU_CYCLE_1)
	s_sub_co_i32 s8, s8, s9
	s_add_co_i32 s9, s6, 1
	s_sub_co_i32 s10, s8, s3
	s_cmp_ge_u32 s8, s3
	s_cselect_b32 s6, s9, s6
	s_cselect_b32 s8, s10, s8
	s_add_co_i32 s9, s6, 1
	s_cmp_ge_u32 s8, s3
	s_cselect_b32 s3, s9, s6
	s_load_b64 s[8:9], s[0:1], 0x40
	s_xor_b32 s3, s3, s7
	s_abs_i32 s14, s2
	s_sub_co_i32 s12, s3, s7
	s_mov_b32 s7, s15
	s_abs_i32 s11, s12
	s_delay_alu instid0(SALU_CYCLE_1) | instskip(SKIP_1) | instid1(SALU_CYCLE_2)
	s_cvt_f32_u32 s3, s11
	s_sub_co_i32 s6, 0, s11
	v_rcp_iflag_f32_e32 v1, s3
	v_nop
	s_delay_alu instid0(TRANS32_DEP_1) | instskip(SKIP_1) | instid1(SALU_CYCLE_3)
	v_readfirstlane_b32 s3, v1
	s_mul_f32 s3, s3, 0x4f7ffffe
	s_cvt_u32_f32 s3, s3
	s_delay_alu instid0(SALU_CYCLE_3) | instskip(NEXT) | instid1(SALU_CYCLE_1)
	s_mul_i32 s6, s6, s3
	s_mul_hi_u32 s6, s3, s6
	s_delay_alu instid0(SALU_CYCLE_1)
	s_add_co_i32 s6, s3, s6
	s_wait_kmcnt 0x0
	s_cmp_eq_u64 s[8:9], 0
	s_cbranch_scc1 .LBB94_2
; %bb.1:
	s_ashr_i32 s3, s2, 31
	s_delay_alu instid0(SALU_CYCLE_1) | instskip(NEXT) | instid1(SALU_CYCLE_1)
	s_lshl_b64 s[16:17], s[2:3], 2
	s_add_nc_u64 s[8:9], s[8:9], s[16:17]
	s_load_b32 s34, s[8:9], 0x0
.LBB94_2:
	s_load_b32 s29, s[4:5], s28 offset:0x0 scale_offset
	s_wait_xcnt 0x0
	s_load_b96 s[8:10], s[0:1], 0x48
	v_lshlrev_b32_e32 v1, 4, v0
	s_ashr_i32 s3, s2, 31
	s_ashr_i32 s18, s12, 31
	s_mul_u64 s[16:17], s[14:15], s[6:7]
	s_mul_i32 s12, s2, 0x70
	s_mov_b32 s4, exec_lo
	v_cmpx_gt_u32_e32 14, v0
	s_cbranch_execz .LBB94_4
; %bb.3:
	s_load_b64 s[6:7], s[0:1], 0x8
	s_wait_kmcnt 0x0
	s_mul_i32 s20, s8, s28
	s_ashr_i32 s13, s12, 31
	s_ashr_i32 s21, s20, 31
	s_delay_alu instid0(SALU_CYCLE_1) | instskip(NEXT) | instid1(SALU_CYCLE_1)
	s_lshl_b64 s[20:21], s[20:21], 1
	s_add_nc_u64 s[6:7], s[6:7], s[20:21]
	s_lshl_b64 s[20:21], s[12:13], 1
	s_delay_alu instid0(SALU_CYCLE_1)
	s_add_nc_u64 s[6:7], s[6:7], s[20:21]
	global_load_b128 v[2:5], v0, s[6:7] scale_offset
	s_wait_loadcnt 0x0
	ds_store_b128 v1, v[2:5]
.LBB94_4:
	s_or_b32 exec_lo, exec_lo, s4
	s_load_b128 s[4:7], s[0:1], 0x68
	s_wait_kmcnt 0x0
	s_mul_i32 s8, s17, s11
	s_xor_b32 s3, s3, s18
	s_sub_co_i32 s8, s14, s8
	s_add_co_i32 s13, s17, 1
	s_sub_co_i32 s14, s8, s11
	s_cmp_ge_u32 s8, s11
	s_mov_b32 s19, -1
	s_cselect_b32 s13, s13, s17
	s_cselect_b32 s8, s14, s8
	s_add_co_i32 s14, s13, 1
	s_cmp_ge_u32 s8, s11
	s_load_b32 s11, s[0:1], 0x78
	s_cselect_b32 s13, s14, s13
	s_add_co_i32 s18, s29, -1
	s_xor_b32 s13, s13, s3
	s_mov_b32 s17, 0
	s_sub_co_i32 s3, s13, s3
	s_abs_i32 s16, s18
	s_mov_b32 s15, s17
	s_abs_i32 s8, s7
	s_wait_dscnt 0x0
	s_cvt_f32_u32 s14, s8
	s_barrier_signal -1
	s_barrier_wait -1
	s_delay_alu instid0(SALU_CYCLE_1) | instskip(SKIP_1) | instid1(TRANS32_DEP_1)
	v_rcp_iflag_f32_e32 v2, s14
	v_nop
	v_readfirstlane_b32 s14, v2
	s_mul_f32 s13, s14, 0x4f7ffffe
	s_sub_co_i32 s14, 0, s8
	s_delay_alu instid0(SALU_CYCLE_2) | instskip(NEXT) | instid1(SALU_CYCLE_3)
	s_cvt_u32_f32 s13, s13
	s_mul_i32 s14, s14, s13
	s_delay_alu instid0(SALU_CYCLE_1) | instskip(NEXT) | instid1(SALU_CYCLE_1)
	s_mul_hi_u32 s14, s13, s14
	s_add_co_i32 s14, s13, s14
	s_wait_kmcnt 0x0
	s_cmp_lt_i32 s11, 0
                                        ; implicit-def: $sgpr13
	s_cbranch_scc0 .LBB94_6
; %bb.5:
	s_mul_i32 s13, s4, s22
	s_mov_b32 s19, s17
	s_add_co_i32 s13, s3, s13
	s_delay_alu instid0(SALU_CYCLE_1) | instskip(NEXT) | instid1(SALU_CYCLE_1)
	s_mul_i32 s13, s13, s11
	s_sub_co_i32 s13, 1, s13
.LBB94_6:
	s_ashr_i32 s18, s18, 31
	s_ashr_i32 s30, s7, 31
	s_and_not1_b32 vcc_lo, exec_lo, s19
	s_mul_u64 s[20:21], s[16:17], s[14:15]
	s_cbranch_vccnz .LBB94_8
; %bb.7:
	s_mul_i32 s4, s27, s4
	s_delay_alu instid0(SALU_CYCLE_1) | instskip(NEXT) | instid1(SALU_CYCLE_1)
	s_add_co_i32 s2, s4, s2
	s_mul_i32 s2, s2, s11
	s_delay_alu instid0(SALU_CYCLE_1)
	s_add_co_i32 s13, s2, 1
.LBB94_8:
	s_load_b32 s2, s[0:1], 0x38
	s_mul_i32 s7, s21, s8
	s_xor_b32 s4, s18, s30
	s_sub_co_i32 s20, s16, s7
	s_add_co_i32 s11, s21, 1
	s_clause 0x1
	s_load_b64 s[16:17], s[0:1], 0x28
	s_load_b32 s7, s[0:1], 0x88
	v_dual_lshrrev_b32 v72, 5, v0 :: v_dual_bitop2_b32 v73, 31, v0 bitop3:0x40
	v_dual_mov_b32 v75, 0xff7fffff :: v_dual_lshrrev_b32 v74, 3, v0
	s_delay_alu instid0(VALU_DEP_2)
	v_dual_lshlrev_b32 v54, 5, v72 :: v_dual_lshlrev_b32 v55, 2, v73
	s_wait_kmcnt 0x0
	s_mul_i32 s18, s2, s28
	s_sub_co_i32 s2, s20, s8
	s_ashr_i32 s19, s18, 31
	s_cmp_ge_u32 s20, s8
	s_cselect_b32 s11, s11, s21
	s_cselect_b32 s2, s2, s20
	s_add_co_i32 s20, s11, 1
	s_cmp_ge_u32 s2, s8
	s_cselect_b32 s2, s20, s11
	s_add_co_i32 s11, s29, 31
	s_delay_alu instid0(SALU_CYCLE_1) | instskip(NEXT) | instid1(SALU_CYCLE_1)
	s_ashr_i32 s20, s11, 31
	s_lshr_b32 s20, s20, 27
	s_delay_alu instid0(SALU_CYCLE_1)
	s_add_co_i32 s11, s11, s20
	s_mul_i32 s20, s3, s10
	s_ashr_i32 s31, s11, 5
	s_xor_b32 s11, s2, s4
	v_cmp_gt_i32_e64 s2, s31, v72
	s_sub_co_i32 s33, s11, s4
	s_and_saveexec_b32 s22, s2
	s_cbranch_execz .LBB94_16
; %bb.9:
	s_ashr_i32 s21, s20, 31
	s_sub_co_i32 s35, s33, s5
	s_ashr_i32 s11, s9, 31
	s_lshl_b64 s[24:25], s[20:21], 1
	s_cmp_neq_f32 s34, 0
	s_load_b64 s[36:37], s[0:1], 0x10
	v_dual_mov_b32 v57, 0 :: v_dual_lshlrev_b32 v56, 4, v73
	s_cselect_b32 vcc_lo, -1, 0
	s_abs_i32 s21, s6
	v_subrev_nc_u32_e32 v3, s29, v73
	s_cvt_f32_u32 s3, s21
	v_lshl_or_b32 v4, v72, 7, v55
	s_sub_co_i32 s4, 0, s21
	v_dual_mov_b32 v76, 0xff7fffff :: v_dual_mov_b32 v75, 0xff7fffff
	v_rcp_iflag_f32_e32 v2, s3
	v_dual_mov_b32 v77, v72 :: v_dual_add_nc_u32 v78, 1, v3
	v_add_nc_u32_e32 v79, 0x100, v4
	s_mov_b32 s10, s9
	s_delay_alu instid0(TRANS32_DEP_1) | instskip(SKIP_2) | instid1(SALU_CYCLE_1)
	v_readfirstlane_b32 s3, v2
	s_wait_kmcnt 0x0
	s_add_nc_u64 s[24:25], s[36:37], s[24:25]
	v_add_nc_u64_e32 v[58:59], s[24:25], v[56:57]
	s_mul_f32 s3, s3, 0x4f7ffffe
	v_and_b32_e32 v56, 0x7c, v74
	s_lshl_b64 s[24:25], s[18:19], 2
	s_delay_alu instid0(SALU_CYCLE_1)
	s_cvt_u32_f32 s3, s3
	s_add_nc_u64 s[24:25], s[16:17], s[24:25]
	s_delay_alu instid0(VALU_DEP_1) | instid1(SALU_CYCLE_1)
	v_add_nc_u64_e32 v[60:61], s[24:25], v[56:57]
	s_delay_alu instid0(SALU_CYCLE_1)
	s_mul_i32 s4, s4, s3
	v_lshlrev_b32_e32 v56, 5, v72
	s_mul_hi_u32 s4, s3, s4
	s_mov_b32 s25, 0
	s_add_co_i32 s24, s3, s4
	s_mov_b32 s36, s25
	s_branch .LBB94_11
.LBB94_10:                              ;   in Loop: Header=BB94_11 Depth=1
	s_or_b32 exec_lo, exec_lo, s4
	v_add_nc_u32_e32 v77, 4, v77
	v_add_nc_u64_e32 v[60:61], 16, v[60:61]
	v_add_nc_u32_e32 v56, 0x80, v56
	v_add_nc_u32_e32 v79, 0x200, v79
	s_delay_alu instid0(VALU_DEP_4) | instskip(SKIP_1) | instid1(SALU_CYCLE_1)
	v_cmp_le_i32_e64 s3, s31, v77
	s_or_b32 s36, s3, s36
	s_and_not1_b32 exec_lo, exec_lo, s36
	s_cbranch_execz .LBB94_15
.LBB94_11:                              ; =>This Inner Loop Header: Depth=1
	v_mul_u64_e32 v[2:3], s[14:15], v[56:57]
	s_delay_alu instid0(VALU_DEP_1) | instskip(NEXT) | instid1(VALU_DEP_1)
	v_mul_lo_u32 v2, v3, s8
	v_dual_add_nc_u32 v4, 1, v3 :: v_dual_sub_nc_u32 v2, v56, v2
	s_delay_alu instid0(VALU_DEP_1) | instskip(SKIP_1) | instid1(VALU_DEP_1)
	v_subrev_nc_u32_e32 v5, s8, v2
	v_cmp_le_u32_e64 s3, s8, v2
	v_dual_cndmask_b32 v3, v3, v4, s3 :: v_dual_cndmask_b32 v2, v2, v5, s3
	s_delay_alu instid0(VALU_DEP_1) | instskip(NEXT) | instid1(VALU_DEP_2)
	v_add_nc_u32_e32 v4, 1, v3
	v_cmp_le_u32_e64 s3, s8, v2
	s_delay_alu instid0(VALU_DEP_1) | instskip(NEXT) | instid1(VALU_DEP_1)
	v_dual_cndmask_b32 v2, v3, v4, s3 :: v_dual_mov_b32 v3, v57
	v_xor_b32_e32 v2, s30, v2
	s_delay_alu instid0(VALU_DEP_1) | instskip(NEXT) | instid1(VALU_DEP_1)
	v_subrev_nc_u32_e32 v6, s30, v2
	v_add_nc_u32_e32 v7, s13, v6
	v_cmp_ge_i32_e64 s4, s35, v6
	s_delay_alu instid0(VALU_DEP_2) | instskip(NEXT) | instid1(VALU_DEP_1)
	v_sub_nc_u32_e32 v2, 0, v7
	v_max_i32_e32 v2, v7, v2
	s_delay_alu instid0(VALU_DEP_1) | instskip(SKIP_1) | instid1(VALU_DEP_2)
	v_mul_u64_e32 v[4:5], s[24:25], v[2:3]
	v_ashrrev_i32_e32 v4, 31, v7
	v_mul_lo_u32 v3, v5, s21
	s_delay_alu instid0(VALU_DEP_1) | instskip(NEXT) | instid1(VALU_DEP_1)
	v_sub_nc_u32_e32 v2, v2, v3
	v_subrev_nc_u32_e32 v3, s21, v2
	v_cmp_le_u32_e64 s3, s21, v2
	s_delay_alu instid0(VALU_DEP_1) | instskip(NEXT) | instid1(VALU_DEP_1)
	v_cndmask_b32_e64 v2, v2, v3, s3
	v_subrev_nc_u32_e32 v3, s21, v2
	v_cmp_le_u32_e64 s3, s21, v2
	s_delay_alu instid0(VALU_DEP_1) | instskip(NEXT) | instid1(VALU_DEP_1)
	v_cndmask_b32_e64 v2, v2, v3, s3
	v_xor_b32_e32 v2, v2, v4
	s_delay_alu instid0(VALU_DEP_1) | instskip(NEXT) | instid1(VALU_DEP_1)
	v_sub_nc_u32_e32 v2, v2, v4
	v_cmp_ne_u32_e64 s3, 0, v2
	s_and_b32 s3, s3, s4
	s_delay_alu instid0(SALU_CYCLE_1) | instskip(NEXT) | instid1(SALU_CYCLE_1)
	s_and_saveexec_b32 s4, s3
	s_xor_b32 s3, exec_lo, s4
; %bb.12:                               ;   in Loop: Header=BB94_11 Depth=1
	ds_store_b32 v79, v76
; %bb.13:                               ;   in Loop: Header=BB94_11 Depth=1
	s_and_not1_saveexec_b32 s4, s3
	s_cbranch_execz .LBB94_10
; %bb.14:                               ;   in Loop: Header=BB94_11 Depth=1
	global_load_b32 v2, v[60:61], off
	s_wait_loadcnt 0x0
	v_ashrrev_i32_e32 v3, 31, v2
	s_delay_alu instid0(VALU_DEP_1) | instskip(NEXT) | instid1(VALU_DEP_1)
	v_mul_u64_e32 v[2:3], s[10:11], v[2:3]
	v_lshl_add_u64 v[62:63], v[2:3], 1, v[58:59]
	s_clause 0xa
	global_load_b128 v[80:83], v[62:63], off
	global_load_b128 v[50:53], v[62:63], off offset:512
	global_load_b128 v[46:49], v[62:63], off offset:1024
	;; [unrolled: 1-line block ×10, first 2 shown]
	ds_load_b128 v[2:5], v57
	s_wait_dscnt 0x0
	v_lshrrev_b32_e32 v68, 16, v2
	v_and_b32_e32 v69, 0xffff, v2
	v_dual_lshrrev_b32 v65, 16, v3 :: v_dual_lshrrev_b32 v64, 16, v4
	v_and_b32_e32 v67, 0xffff, v3
	v_and_b32_e32 v66, 0xffff, v4
	v_lshrrev_b32_e32 v88, 16, v5
	v_and_b32_e32 v89, 0xffff, v5
	s_clause 0x2
	global_load_b128 v[10:13], v[62:63], off offset:5632
	global_load_b128 v[6:9], v[62:63], off offset:6144
	;; [unrolled: 1-line block ×3, first 2 shown]
	s_wait_xcnt 0x0
	;;#ASMSTART
	v_cvt_f32_f16 v62, v69;
	;;#ASMEND
	;;#ASMSTART
	v_cvt_f32_f16 v63, v68;
	;;#ASMEND
	s_wait_loadcnt 0xd
	v_lshrrev_b32_e32 v68, 16, v80
	v_and_b32_e32 v69, 0xffff, v80
	v_dual_lshrrev_b32 v70, 16, v81 :: v_dual_lshrrev_b32 v91, 16, v82
	v_and_b32_e32 v71, 0xffff, v81
	v_and_b32_e32 v93, 0xffff, v82
	s_wait_loadcnt 0xc
	v_dual_lshrrev_b32 v90, 16, v83 :: v_dual_lshrrev_b32 v95, 16, v50
	v_and_b32_e32 v92, 0xffff, v83
	v_and_b32_e32 v94, 0xffff, v50
	;; [unrolled: 1-line block ×3, first 2 shown]
	v_dual_lshrrev_b32 v87, 16, v51 :: v_dual_lshrrev_b32 v85, 16, v52
	v_and_b32_e32 v84, 0xffff, v52
	v_and_b32_e32 v80, 0xffff, v53
	s_wait_loadcnt 0xb
	v_dual_lshrrev_b32 v81, 16, v53 :: v_dual_lshrrev_b32 v83, 16, v46
	v_and_b32_e32 v82, 0xffff, v46
	v_and_b32_e32 v96, 0xffff, v47
	v_dual_lshrrev_b32 v97, 16, v47 :: v_dual_lshrrev_b32 v101, 16, v48
	v_and_b32_e32 v100, 0xffff, v48
	v_and_b32_e32 v98, 0xffff, v49
	v_lshrrev_b32_e32 v99, 16, v49
	;;#ASMSTART
	v_cvt_f32_f16 v102, v69;
	;;#ASMEND
	;;#ASMSTART
	v_cvt_f32_f16 v103, v68;
	;;#ASMEND
	;; [unrolled: 3-line block ×14, first 2 shown]
	ds_load_b128 v[46:49], v57 offset:16
	s_wait_loadcnt 0xa
	v_and_b32_e32 v104, 0xffff, v42
	v_lshrrev_b32_e32 v105, 16, v42
	s_wait_loadcnt 0x9
	v_lshrrev_b32_e32 v93, 16, v38
	v_and_b32_e32 v92, 0xffff, v38
	s_wait_loadcnt 0x2
	v_and_b32_e32 v107, 0xffff, v10
	v_dual_lshrrev_b32 v108, 16, v11 :: v_dual_lshrrev_b32 v110, 16, v12
	v_and_b32_e32 v111, 0xffff, v12
	v_and_b32_e32 v109, 0xffff, v11
	;; [unrolled: 1-line block ×3, first 2 shown]
	v_lshrrev_b32_e32 v106, 16, v10
	s_wait_dscnt 0x0
	v_and_b32_e32 v88, 0xffff, v46
	v_lshrrev_b32_e32 v46, 16, v46
	;;#ASMSTART
	v_cvt_f32_f16 v88, v88;
	;;#ASMEND
	;;#ASMSTART
	v_cvt_f32_f16 v89, v46;
	;;#ASMEND
	;;#ASMSTART
	v_cvt_f32_f16 v90, v94;
	;;#ASMEND
	;;#ASMSTART
	v_cvt_f32_f16 v91, v95;
	;;#ASMEND
	v_pk_mul_f32 v[88:89], v[88:89], v[90:91]
	v_and_b32_e32 v42, 0xffff, v47
	v_and_b32_e32 v94, 0xffff, v44
	v_dual_lshrrev_b32 v95, 16, v44 :: v_dual_lshrrev_b32 v44, 16, v47
	s_delay_alu instid0(VALU_DEP_4)
	v_pk_fma_f32 v[62:63], v[62:63], v[102:103], v[88:89]
	v_and_b32_e32 v102, 0xffff, v43
	v_lshrrev_b32_e32 v103, 16, v43
	;;#ASMSTART
	v_cvt_f32_f16 v43, v42;
	;;#ASMEND
	;;#ASMSTART
	v_cvt_f32_f16 v42, v44;
	;;#ASMEND
	v_and_b32_e32 v88, 0xffff, v45
	v_lshrrev_b32_e32 v89, 16, v45
	;;#ASMSTART
	v_cvt_f32_f16 v45, v86;
	;;#ASMEND
	;;#ASMSTART
	v_cvt_f32_f16 v44, v87;
	;;#ASMEND
	v_pk_mul_f32 v[42:43], v[42:43], v[44:45]
	v_and_b32_e32 v38, 0xffff, v48
	v_lshrrev_b32_e32 v44, 16, v48
	v_and_b32_e32 v46, 0xffff, v34
	v_dual_lshrrev_b32 v47, 16, v34 :: v_dual_lshrrev_b32 v48, 16, v35
	v_pk_fma_f32 v[42:43], v[68:69], v[70:71], v[42:43]
	v_and_b32_e32 v70, 0xffff, v39
	v_dual_lshrrev_b32 v71, 16, v39 :: v_dual_lshrrev_b32 v69, 16, v40
	v_and_b32_e32 v68, 0xffff, v40
	v_and_b32_e32 v40, 0xffff, v41
	v_lshrrev_b32_e32 v41, 16, v41
	;;#ASMSTART
	v_cvt_f32_f16 v39, v38;
	;;#ASMEND
	;;#ASMSTART
	v_cvt_f32_f16 v38, v44;
	;;#ASMEND
	;; [unrolled: 3-line block ×4, first 2 shown]
	v_pk_mul_f32 v[38:39], v[38:39], v[44:45]
	v_and_b32_e32 v45, 0xffff, v35
	v_dual_lshrrev_b32 v85, 16, v30 :: v_dual_lshrrev_b32 v35, 16, v49
	v_and_b32_e32 v34, 0xffff, v49
	v_and_b32_e32 v91, 0xffff, v30
	v_lshrrev_b32_e32 v86, 16, v31
	v_and_b32_e32 v90, 0xffff, v31
	;;#ASMSTART
	v_cvt_f32_f16 v31, v34;
	;;#ASMEND
	;;#ASMSTART
	v_cvt_f32_f16 v30, v35;
	;;#ASMEND
	v_pk_fma_f32 v[38:39], v[64:65], v[66:67], v[38:39]
	v_lshrrev_b32_e32 v67, 16, v32
	v_and_b32_e32 v87, 0xffff, v32
	v_lshrrev_b32_e32 v49, 16, v33
	v_and_b32_e32 v84, 0xffff, v33
	;;#ASMSTART
	v_cvt_f32_f16 v33, v80;
	;;#ASMEND
	;;#ASMSTART
	v_cvt_f32_f16 v32, v81;
	;;#ASMEND
	v_pk_mul_f32 v[30:31], v[30:31], v[32:33]
	v_dual_lshrrev_b32 v64, 16, v36 :: v_dual_lshrrev_b32 v44, 16, v37
	v_and_b32_e32 v66, 0xffff, v36
	v_and_b32_e32 v65, 0xffff, v37
	s_delay_alu instid0(VALU_DEP_4)
	v_pk_fma_f32 v[34:35], v[50:51], v[52:53], v[30:31]
	ds_load_b128 v[30:33], v57 offset:32
	v_lshrrev_b32_e32 v80, 16, v24
	v_and_b32_e32 v81, 0xffff, v25
	s_wait_dscnt 0x0
	v_and_b32_e32 v36, 0xffff, v30
	v_lshrrev_b32_e32 v30, 16, v30
	;;#ASMSTART
	v_cvt_f32_f16 v36, v36;
	;;#ASMEND
	;;#ASMSTART
	v_cvt_f32_f16 v37, v30;
	;;#ASMEND
	;; [unrolled: 3-line block ×4, first 2 shown]
	v_and_b32_e32 v30, 0xffff, v31
	v_pk_fma_f32 v[36:37], v[36:37], v[50:51], v[62:63]
	v_dual_lshrrev_b32 v51, 16, v31 :: v_dual_lshrrev_b32 v50, 16, v26
	;;#ASMSTART
	v_cvt_f32_f16 v31, v30;
	;;#ASMEND
	;;#ASMSTART
	v_cvt_f32_f16 v30, v51;
	;;#ASMEND
	;; [unrolled: 3-line block ×4, first 2 shown]
	v_and_b32_e32 v62, 0xffff, v26
	v_pk_fma_f32 v[30:31], v[30:31], v[52:53], v[42:43]
	v_dual_lshrrev_b32 v52, 16, v27 :: v_dual_lshrrev_b32 v43, 16, v28
	v_and_b32_e32 v53, 0xffff, v28
	v_dual_lshrrev_b32 v42, 16, v29 :: v_dual_lshrrev_b32 v28, 16, v32
	v_and_b32_e32 v26, 0xffff, v32
	v_and_b32_e32 v63, 0xffff, v27
	;; [unrolled: 1-line block ×3, first 2 shown]
	;;#ASMSTART
	v_cvt_f32_f16 v27, v26;
	;;#ASMEND
	;;#ASMSTART
	v_cvt_f32_f16 v26, v28;
	;;#ASMEND
	;; [unrolled: 3-line block ×4, first 2 shown]
	v_lshrrev_b32_e32 v82, 16, v22
	v_and_b32_e32 v96, 0xffff, v22
	v_and_b32_e32 v22, 0xffff, v33
	v_pk_fma_f32 v[26:27], v[26:27], v[28:29], v[38:39]
	v_dual_lshrrev_b32 v39, 16, v23 :: v_dual_lshrrev_b32 v28, 16, v33
	v_and_b32_e32 v97, 0xffff, v23
	v_and_b32_e32 v83, 0xffff, v24
	v_lshrrev_b32_e32 v38, 16, v25
	;;#ASMSTART
	v_cvt_f32_f16 v23, v22;
	;;#ASMEND
	;;#ASMSTART
	v_cvt_f32_f16 v22, v28;
	;;#ASMEND
	;; [unrolled: 3-line block ×4, first 2 shown]
	v_pk_fma_f32 v[32:33], v[22:23], v[24:25], v[34:35]
	ds_load_b128 v[22:25], v57 offset:48
	v_and_b32_e32 v98, 0xffff, v18
	v_and_b32_e32 v99, 0xffff, v19
	v_lshrrev_b32_e32 v100, 16, v16
	v_and_b32_e32 v101, 0xffff, v17
	s_wait_dscnt 0x0
	v_and_b32_e32 v28, 0xffff, v22
	v_lshrrev_b32_e32 v22, 16, v22
	;;#ASMSTART
	v_cvt_f32_f16 v28, v28;
	;;#ASMEND
	;;#ASMSTART
	v_cvt_f32_f16 v29, v22;
	;;#ASMEND
	;; [unrolled: 3-line block ×4, first 2 shown]
	v_and_b32_e32 v22, 0xffff, v23
	v_pk_fma_f32 v[28:29], v[28:29], v[34:35], v[36:37]
	v_dual_lshrrev_b32 v35, 16, v23 :: v_dual_lshrrev_b32 v34, 16, v18
	;;#ASMSTART
	v_cvt_f32_f16 v23, v22;
	;;#ASMEND
	;;#ASMSTART
	v_cvt_f32_f16 v22, v35;
	;;#ASMEND
	;; [unrolled: 3-line block ×4, first 2 shown]
	v_pk_fma_f32 v[22:23], v[22:23], v[36:37], v[30:31]
	v_dual_lshrrev_b32 v36, 16, v19 :: v_dual_lshrrev_b32 v31, 16, v20
	v_and_b32_e32 v37, 0xffff, v20
	v_dual_lshrrev_b32 v30, 16, v21 :: v_dual_lshrrev_b32 v20, 16, v24
	v_and_b32_e32 v18, 0xffff, v24
	v_and_b32_e32 v35, 0xffff, v21
	;;#ASMSTART
	v_cvt_f32_f16 v19, v18;
	;;#ASMEND
	;;#ASMSTART
	v_cvt_f32_f16 v18, v20;
	;;#ASMEND
	;; [unrolled: 3-line block ×4, first 2 shown]
	v_dual_lshrrev_b32 v102, 16, v14 :: v_dual_lshrrev_b32 v95, 16, v15
	v_and_b32_e32 v104, 0xffff, v14
	v_and_b32_e32 v14, 0xffff, v25
	v_pk_fma_f32 v[18:19], v[18:19], v[20:21], v[26:27]
	v_lshrrev_b32_e32 v20, 16, v25
	v_and_b32_e32 v105, 0xffff, v15
	v_and_b32_e32 v103, 0xffff, v16
	v_lshrrev_b32_e32 v94, 16, v17
	;;#ASMSTART
	v_cvt_f32_f16 v15, v14;
	;;#ASMEND
	;;#ASMSTART
	v_cvt_f32_f16 v14, v20;
	;;#ASMEND
	;; [unrolled: 3-line block ×4, first 2 shown]
	v_pk_fma_f32 v[20:21], v[14:15], v[16:17], v[32:33]
	ds_load_b128 v[14:17], v57 offset:64
	s_wait_loadcnt 0x1
	v_dual_lshrrev_b32 v112, 16, v13 :: v_dual_lshrrev_b32 v88, 16, v6
	v_and_b32_e32 v89, 0xffff, v8
	s_wait_dscnt 0x0
	v_and_b32_e32 v24, 0xffff, v14
	v_lshrrev_b32_e32 v14, 16, v14
	;;#ASMSTART
	v_cvt_f32_f16 v24, v24;
	;;#ASMEND
	;;#ASMSTART
	v_cvt_f32_f16 v25, v14;
	;;#ASMEND
	;; [unrolled: 3-line block ×4, first 2 shown]
	v_pk_fma_f32 v[24:25], v[24:25], v[26:27], v[28:29]
	v_and_b32_e32 v14, 0xffff, v15
	v_lshrrev_b32_e32 v26, 16, v15
	v_and_b32_e32 v10, 0xffff, v16
	v_lshrrev_b32_e32 v12, 16, v16
	;;#ASMSTART
	v_cvt_f32_f16 v15, v14;
	;;#ASMEND
	;;#ASMSTART
	v_cvt_f32_f16 v14, v26;
	;;#ASMEND
	;; [unrolled: 3-line block ×8, first 2 shown]
	v_and_b32_e32 v92, 0xffff, v6
	v_and_b32_e32 v6, 0xffff, v17
	v_pk_fma_f32 v[10:11], v[10:11], v[12:13], v[18:19]
	v_dual_lshrrev_b32 v69, 16, v7 :: v_dual_lshrrev_b32 v12, 16, v17
	v_lshrrev_b32_e32 v70, 16, v8
	v_and_b32_e32 v93, 0xffff, v7
	v_lshrrev_b32_e32 v68, 16, v9
	v_and_b32_e32 v71, 0xffff, v9
	;;#ASMSTART
	v_cvt_f32_f16 v7, v6;
	;;#ASMEND
	;;#ASMSTART
	v_cvt_f32_f16 v6, v12;
	;;#ASMEND
	;; [unrolled: 3-line block ×4, first 2 shown]
	v_pk_fma_f32 v[12:13], v[6:7], v[8:9], v[20:21]
	ds_load_b128 v[6:9], v57 offset:80
	v_pk_fma_f32 v[14:15], v[14:15], v[26:27], v[22:23]
	s_wait_dscnt 0x0
	v_and_b32_e32 v16, 0xffff, v6
	v_lshrrev_b32_e32 v6, 16, v6
	;;#ASMSTART
	v_cvt_f32_f16 v16, v16;
	;;#ASMEND
	;;#ASMSTART
	v_cvt_f32_f16 v17, v6;
	;;#ASMEND
	;; [unrolled: 3-line block ×4, first 2 shown]
	v_and_b32_e32 v6, 0xffff, v7
	v_pk_fma_f32 v[16:17], v[16:17], v[18:19], v[24:25]
	v_dual_lshrrev_b32 v18, 16, v7 :: v_dual_lshrrev_b32 v20, 16, v8
	v_and_b32_e32 v19, 0xffff, v8
	v_lshrrev_b32_e32 v22, 16, v9
	v_and_b32_e32 v23, 0xffff, v9
	;;#ASMSTART
	v_cvt_f32_f16 v7, v6;
	;;#ASMEND
	;;#ASMSTART
	v_cvt_f32_f16 v6, v18;
	;;#ASMEND
	;; [unrolled: 3-line block ×12, first 2 shown]
	v_pk_fma_f32 v[14:15], v[6:7], v[8:9], v[14:15]
	ds_load_b128 v[6:9], v57 offset:96
	v_pk_fma_f32 v[10:11], v[18:19], v[20:21], v[10:11]
	v_pk_fma_f32 v[12:13], v[22:23], v[24:25], v[12:13]
	s_wait_dscnt 0x0
	v_and_b32_e32 v18, 0xffff, v6
	v_lshrrev_b32_e32 v6, 16, v6
	v_and_b32_e32 v22, 0xffff, v7
	v_lshrrev_b32_e32 v7, 16, v7
	v_and_b32_e32 v26, 0xffff, v8
	v_dual_lshrrev_b32 v8, 16, v8 :: v_dual_lshrrev_b32 v32, 16, v9
	v_and_b32_e32 v9, 0xffff, v9
	;;#ASMSTART
	v_cvt_f32_f16 v18, v18;
	;;#ASMEND
	;;#ASMSTART
	v_cvt_f32_f16 v19, v6;
	;;#ASMEND
	;; [unrolled: 3-line block ×16, first 2 shown]
	ds_load_b128 v[6:9], v57 offset:112
	v_pk_fma_f32 v[16:17], v[18:19], v[20:21], v[16:17]
	v_pk_fma_f32 v[32:33], v[32:33], v[40:41], v[12:13]
	;; [unrolled: 1-line block ×3, first 2 shown]
	s_wait_dscnt 0x0
	v_and_b32_e32 v18, 0xffff, v6
	v_lshrrev_b32_e32 v6, 16, v6
	v_and_b32_e32 v19, 0xffff, v7
	v_lshrrev_b32_e32 v7, 16, v7
	v_and_b32_e32 v20, 0xffff, v8
	v_dual_lshrrev_b32 v8, 16, v8 :: v_dual_lshrrev_b32 v21, 16, v9
	v_and_b32_e32 v9, 0xffff, v9
	;;#ASMSTART
	v_cvt_f32_f16 v44, v18;
	;;#ASMEND
	;;#ASMSTART
	v_cvt_f32_f16 v45, v6;
	;;#ASMEND
	;; [unrolled: 3-line block ×16, first 2 shown]
	ds_load_b128 v[6:9], v57 offset:128
	v_pk_fma_f32 v[50:51], v[26:27], v[28:29], v[10:11]
	v_pk_fma_f32 v[62:63], v[48:49], v[62:63], v[14:15]
	s_delay_alu instid0(VALU_DEP_2)
	v_pk_fma_f32 v[50:51], v[64:65], v[52:53], v[50:51]
	v_pk_fma_f32 v[52:53], v[66:67], v[42:43], v[32:33]
	s_wait_dscnt 0x0
	v_and_b32_e32 v10, 0xffff, v6
	v_lshrrev_b32_e32 v6, 16, v6
	v_and_b32_e32 v11, 0xffff, v7
	v_lshrrev_b32_e32 v7, 16, v7
	v_and_b32_e32 v12, 0xffff, v8
	v_dual_lshrrev_b32 v8, 16, v8 :: v_dual_lshrrev_b32 v13, 16, v9
	v_and_b32_e32 v9, 0xffff, v9
	;;#ASMSTART
	v_cvt_f32_f16 v84, v10;
	;;#ASMEND
	;;#ASMSTART
	v_cvt_f32_f16 v85, v6;
	;;#ASMEND
	;; [unrolled: 3-line block ×16, first 2 shown]
	ds_load_b128 v[6:9], v57 offset:144
	v_pk_fma_f32 v[80:81], v[44:45], v[46:47], v[16:17]
	v_pk_fma_f32 v[62:63], v[90:91], v[96:97], v[62:63]
	;; [unrolled: 1-line block ×4, first 2 shown]
	s_delay_alu instid0(VALU_DEP_4)
	v_pk_fma_f32 v[64:65], v[84:85], v[86:87], v[80:81]
	s_wait_dscnt 0x0
	v_and_b32_e32 v10, 0xffff, v6
	v_dual_lshrrev_b32 v6, 16, v6 :: v_dual_lshrrev_b32 v11, 16, v7
	v_lshrrev_b32_e32 v12, 16, v8
	v_and_b32_e32 v7, 0xffff, v7
	v_and_b32_e32 v8, 0xffff, v8
	v_lshrrev_b32_e32 v14, 16, v9
	v_and_b32_e32 v15, 0xffff, v9
	;;#ASMSTART
	v_cvt_f32_f16 v40, v10;
	;;#ASMEND
	;;#ASMSTART
	v_cvt_f32_f16 v41, v6;
	;;#ASMEND
	;; [unrolled: 3-line block ×16, first 2 shown]
	ds_load_b128 v[26:29], v57 offset:160
	v_add_nc_u32_e32 v98, v78, v56
	v_pk_fma_f32 v[24:25], v[40:41], v[44:45], v[64:65]
	s_delay_alu instid0(VALU_DEP_2)
	v_cvt_f32_i32_e32 v98, v98
	s_wait_dscnt 0x0
	v_lshrrev_b32_e32 v30, 16, v26
	v_and_b32_e32 v26, 0xffff, v26
	v_dual_lshrrev_b32 v32, 16, v27 :: v_dual_lshrrev_b32 v36, 16, v28
	v_and_b32_e32 v31, 0xffff, v27
	v_and_b32_e32 v33, 0xffff, v28
	v_lshrrev_b32_e32 v38, 16, v29
	v_and_b32_e32 v39, 0xffff, v29
	;;#ASMSTART
	v_cvt_f32_f16 v26, v26;
	;;#ASMEND
	;;#ASMSTART
	v_cvt_f32_f16 v27, v30;
	;;#ASMEND
	;; [unrolled: 3-line block ×16, first 2 shown]
	ds_load_b128 v[46:49], v57 offset:176
	s_wait_dscnt 0x0
	v_lshrrev_b32_e32 v67, 16, v46
	v_and_b32_e32 v46, 0xffff, v46
	v_dual_lshrrev_b32 v82, 16, v47 :: v_dual_lshrrev_b32 v86, 16, v48
	v_and_b32_e32 v47, 0xffff, v47
	v_and_b32_e32 v48, 0xffff, v48
	v_lshrrev_b32_e32 v94, 16, v49
	v_and_b32_e32 v49, 0xffff, v49
	;;#ASMSTART
	v_cvt_f32_f16 v66, v46;
	;;#ASMEND
	;;#ASMSTART
	v_cvt_f32_f16 v67, v67;
	;;#ASMEND
	;; [unrolled: 3-line block ×16, first 2 shown]
	ds_load_b128 v[46:49], v57 offset:192
	s_wait_loadcnt_dscnt 0x0
	v_dual_lshrrev_b32 v99, 16, v2 :: v_dual_lshrrev_b32 v20, 16, v47
	v_dual_lshrrev_b32 v18, 16, v46 :: v_dual_lshrrev_b32 v52, 16, v48
	v_and_b32_e32 v19, 0xffff, v46
	v_and_b32_e32 v21, 0xffff, v47
	v_and_b32_e32 v53, 0xffff, v48
	v_lshrrev_b32_e32 v100, 16, v49
	v_and_b32_e32 v101, 0xffff, v49
	;;#ASMSTART
	v_cvt_f32_f16 v40, v19;
	;;#ASMEND
	;;#ASMSTART
	v_cvt_f32_f16 v41, v18;
	;;#ASMEND
	;; [unrolled: 3-line block ×16, first 2 shown]
	ds_load_b128 v[18:21], v57 offset:208
	v_and_b32_e32 v70, 0xffff, v2
	v_lshrrev_b32_e32 v71, 16, v3
	v_and_b32_e32 v92, 0xffff, v3
	v_pk_fma_f32 v[2:3], v[6:7], v[10:11], v[62:63]
	v_pk_fma_f32 v[10:11], v[26:27], v[28:29], v[24:25]
	;; [unrolled: 1-line block ×3, first 2 shown]
	v_lshrrev_b32_e32 v62, 16, v4
	v_pk_fma_f32 v[8:9], v[14:15], v[16:17], v[22:23]
	v_pk_fma_f32 v[2:3], v[30:31], v[34:35], v[2:3]
	;; [unrolled: 1-line block ×3, first 2 shown]
	v_and_b32_e32 v22, 0xffff, v4
	v_pk_fma_f32 v[6:7], v[32:33], v[36:37], v[6:7]
	v_pk_fma_f32 v[8:9], v[38:39], v[42:43], v[8:9]
	;; [unrolled: 1-line block ×4, first 2 shown]
	v_lshrrev_b32_e32 v23, 16, v5
	v_pk_fma_f32 v[6:7], v[86:87], v[90:91], v[6:7]
	v_pk_fma_f32 v[8:9], v[94:95], v[96:97], v[8:9]
	;; [unrolled: 1-line block ×3, first 2 shown]
	s_wait_dscnt 0x0
	v_dual_lshrrev_b32 v13, 16, v18 :: v_dual_lshrrev_b32 v16, 16, v19
	v_and_b32_e32 v4, 0xffff, v18
	;;#ASMSTART
	v_cvt_f32_f16 v12, v4;
	;;#ASMEND
	;;#ASMSTART
	v_cvt_f32_f16 v13, v13;
	;;#ASMEND
	;; [unrolled: 3-line block ×4, first 2 shown]
	v_pk_fma_f32 v[10:11], v[12:13], v[14:15], v[10:11]
	v_and_b32_e32 v17, 0xffff, v19
	;;#ASMSTART
	v_cvt_f32_f16 v17, v17;
	;;#ASMEND
	;;#ASMSTART
	v_cvt_f32_f16 v16, v16;
	;;#ASMEND
	;; [unrolled: 3-line block ×4, first 2 shown]
	v_pk_fma_f32 v[2:3], v[16:17], v[12:13], v[2:3]
	v_dual_add_f32 v4, v10, v11 :: v_dual_lshrrev_b32 v10, 16, v20
	v_pk_fma_f32 v[6:7], v[52:53], v[64:65], v[6:7]
	v_and_b32_e32 v18, 0xffff, v20
	;;#ASMSTART
	v_cvt_f32_f16 v11, v18;
	;;#ASMEND
	s_delay_alu instid0(VALU_DEP_3)
	v_add_f32_e32 v3, v4, v3
	;;#ASMSTART
	v_cvt_f32_f16 v10, v10;
	;;#ASMEND
	;;#ASMSTART
	v_cvt_f32_f16 v13, v22;
	;;#ASMEND
	;; [unrolled: 3-line block ×3, first 2 shown]
	v_pk_fma_f32 v[6:7], v[10:11], v[12:13], v[6:7]
	v_dual_lshrrev_b32 v10, 16, v21 :: v_dual_add_f32 v4, v2, v3
	v_pk_fma_f32 v[2:3], v[88:89], v[68:69], v[8:9]
	v_and_b32_e32 v14, 0xffff, v21
	v_and_b32_e32 v11, 0xffff, v5
	;;#ASMSTART
	v_cvt_f32_f16 v5, v14;
	;;#ASMEND
	v_add_f32_e32 v7, v4, v7
	;;#ASMSTART
	v_cvt_f32_f16 v4, v10;
	;;#ASMEND
	;;#ASMSTART
	v_cvt_f32_f16 v9, v11;
	;;#ASMEND
	;; [unrolled: 3-line block ×3, first 2 shown]
	v_pk_fma_f32 v[2:3], v[4:5], v[8:9], v[2:3]
	v_dual_add_f32 v4, v6, v7 :: v_dual_mul_f32 v5, s34, v98
	s_delay_alu instid0(VALU_DEP_1) | instskip(NEXT) | instid1(VALU_DEP_1)
	v_dual_add_f32 v3, v4, v3 :: v_dual_cndmask_b32 v4, 0, v5
	v_add_f32_e32 v2, v2, v3
	s_delay_alu instid0(VALU_DEP_1) | instskip(NEXT) | instid1(VALU_DEP_1)
	v_dual_fmac_f32 v4, s23, v2 :: v_dual_add_nc_u32 v2, v73, v56
	v_cmp_gt_i32_e64 s3, s29, v2
	s_delay_alu instid0(VALU_DEP_1) | instskip(NEXT) | instid1(VALU_DEP_1)
	v_dual_max_num_f32 v3, v75, v75 :: v_dual_cndmask_b32 v2, 0, v4, s3
	v_max_num_f32_e32 v3, v3, v4
	ds_store_b32 v79, v2
	v_cndmask_b32_e64 v75, v75, v3, s3
	s_branch .LBB94_10
.LBB94_15:
	s_or_b32 exec_lo, exec_lo, s36
.LBB94_16:
	s_delay_alu instid0(SALU_CYCLE_1) | instskip(SKIP_4) | instid1(VALU_DEP_1)
	s_or_b32 exec_lo, exec_lo, s22
	v_mbcnt_lo_u32_b32 v5, -1, 0
	s_clause 0x1
	s_load_b64 s[10:11], s[0:1], 0x0
	s_load_b64 s[22:23], s[0:1], 0x18
	v_dual_max_num_f32 v6, v75, v75 :: v_dual_bitop2_b32 v2, 16, v5 bitop3:0x14
	v_xor_b32_e32 v4, 8, v5
	s_delay_alu instid0(VALU_DEP_2) | instskip(SKIP_1) | instid1(VALU_DEP_3)
	v_cmp_gt_i32_e32 vcc_lo, 32, v2
	v_cndmask_b32_e32 v2, v5, v2, vcc_lo
	v_cmp_gt_i32_e32 vcc_lo, 32, v4
	s_delay_alu instid0(VALU_DEP_2) | instskip(SKIP_3) | instid1(VALU_DEP_1)
	v_dual_lshlrev_b32 v2, 2, v2 :: v_dual_cndmask_b32 v4, v5, v4, vcc_lo
	ds_bpermute_b32 v3, v2, v75
	s_wait_dscnt 0x0
	v_dual_max_num_f32 v7, v3, v3 :: v_dual_lshlrev_b32 v3, 2, v4
	v_dual_max_num_f32 v6, v6, v7 :: v_dual_bitop2_b32 v7, 4, v5 bitop3:0x14
	ds_bpermute_b32 v4, v3, v6
	v_cmp_gt_i32_e32 vcc_lo, 32, v7
	s_wait_dscnt 0x0
	v_dual_cndmask_b32 v7, v5, v7 :: v_dual_max_num_f32 v8, v4, v4
	s_delay_alu instid0(VALU_DEP_1) | instskip(SKIP_3) | instid1(VALU_DEP_1)
	v_dual_lshlrev_b32 v4, 2, v7 :: v_dual_max_num_f32 v6, v6, v8
	ds_bpermute_b32 v7, v4, v6
	s_wait_dscnt 0x0
	v_dual_max_num_f32 v7, v7, v7 :: v_dual_bitop2_b32 v8, 2, v5 bitop3:0x14
	v_cmp_gt_i32_e32 vcc_lo, 32, v8
	s_delay_alu instid0(VALU_DEP_2) | instskip(NEXT) | instid1(VALU_DEP_1)
	v_dual_max_num_f32 v6, v6, v7 :: v_dual_cndmask_b32 v8, v5, v8, vcc_lo
	v_dual_lshlrev_b32 v28, 2, v8 :: v_dual_bitop2_b32 v8, 1, v5 bitop3:0x14
	ds_bpermute_b32 v7, v28, v6
	v_cmp_gt_i32_e32 vcc_lo, 32, v8
	v_cndmask_b32_e32 v5, v5, v8, vcc_lo
	v_cmp_eq_u32_e32 vcc_lo, 0, v73
	s_delay_alu instid0(VALU_DEP_2) | instskip(SKIP_2) | instid1(VALU_DEP_1)
	v_dual_lshlrev_b32 v27, 2, v5 :: v_dual_lshlrev_b32 v5, 2, v72
	s_wait_dscnt 0x0
	v_max_num_f32_e32 v7, v7, v7
	v_max_num_f32_e32 v6, v6, v7
	ds_bpermute_b32 v7, v27, v6
	s_wait_xcnt 0x0
	s_and_saveexec_b32 s0, vcc_lo
	s_cbranch_execz .LBB94_18
; %bb.17:
	s_wait_dscnt 0x0
	v_dual_max_num_f32 v7, v7, v7 :: v_dual_max_num_f32 v6, v6, v6
	s_delay_alu instid0(VALU_DEP_1)
	v_max_num_f32_e32 v6, v6, v7
	ds_store_b32 v5, v6 offset:224
.LBB94_18:
	s_or_b32 exec_lo, exec_lo, s0
	v_cmp_gt_u32_e64 s0, 4, v73
	v_mov_b32_e32 v6, 0xff7fffff
	s_wait_dscnt 0x0
	s_barrier_signal -1
	s_barrier_wait -1
	s_and_saveexec_b32 s1, s0
; %bb.19:
	ds_load_b32 v6, v55 offset:224
; %bb.20:
	s_or_b32 exec_lo, exec_lo, s1
	s_wait_dscnt 0x0
	ds_bpermute_b32 v7, v28, v6
	v_max_num_f32_e32 v6, v6, v6
	s_lshl_b32 s1, s31, 5
	s_delay_alu instid0(SALU_CYCLE_1) | instskip(NEXT) | instid1(SALU_CYCLE_1)
	s_min_i32 s4, s1, s29
	v_cmp_gt_i32_e64 s1, s4, v0
	s_wait_dscnt 0x0
	v_max_num_f32_e32 v7, v7, v7
	s_delay_alu instid0(VALU_DEP_1) | instskip(SKIP_3) | instid1(VALU_DEP_1)
	v_max_num_f32_e32 v6, v6, v7
	ds_bpermute_b32 v7, v27, v6
	s_wait_dscnt 0x0
	v_max_num_f32_e32 v7, v7, v7
	v_dual_max_num_f32 v7, v6, v7 :: v_dual_mov_b32 v6, 0
	ds_bpermute_b32 v7, v6, v7
	s_and_saveexec_b32 s21, s1
	s_cbranch_execz .LBB94_24
; %bb.21:
	v_lshl_add_u32 v8, v0, 2, 0x100
	v_dual_mov_b32 v6, 0 :: v_dual_mov_b32 v9, v0
	s_mov_b32 s24, 0
.LBB94_22:                              ; =>This Inner Loop Header: Depth=1
	ds_load_b32 v10, v8
	v_add_nc_u32_e32 v9, 0x80, v9
	s_delay_alu instid0(VALU_DEP_1) | instskip(SKIP_3) | instid1(VALU_DEP_1)
	v_cmp_le_i32_e64 s3, s4, v9
	s_or_b32 s24, s3, s24
	s_wait_dscnt 0x0
	v_sub_f32_e32 v10, v10, v7
	v_mul_f32_e32 v10, 0x3fb8aa3b, v10
	s_delay_alu instid0(VALU_DEP_1)
	v_exp_f32_e32 v10, v10
	ds_store_b32 v8, v10
	v_nop
	v_add_f32_e32 v6, v6, v10
	v_add_nc_u32_e32 v8, 0x200, v8
	s_and_not1_b32 exec_lo, exec_lo, s24
	s_cbranch_execnz .LBB94_22
; %bb.23:
	s_or_b32 exec_lo, exec_lo, s24
.LBB94_24:
	s_delay_alu instid0(SALU_CYCLE_1)
	s_or_b32 exec_lo, exec_lo, s21
	ds_bpermute_b32 v2, v2, v6
	s_wait_dscnt 0x0
	v_add_f32_e32 v2, v6, v2
	ds_bpermute_b32 v3, v3, v2
	s_wait_dscnt 0x0
	v_add_f32_e32 v2, v2, v3
	;; [unrolled: 3-line block ×5, first 2 shown]
	s_and_saveexec_b32 s3, vcc_lo
; %bb.25:
	ds_store_b32 v5, v2 offset:240
; %bb.26:
	s_or_b32 exec_lo, exec_lo, s3
	s_wait_dscnt 0x0
	s_barrier_signal -1
	s_barrier_wait -1
	s_and_saveexec_b32 s3, s0
; %bb.27:
	ds_load_b32 v2, v55 offset:240
; %bb.28:
	s_or_b32 exec_lo, exec_lo, s3
	s_wait_dscnt 0x0
	ds_bpermute_b32 v3, v28, v2
	s_wait_dscnt 0x0
	v_dual_mov_b32 v7, 0 :: v_dual_add_f32 v2, v2, v3
	ds_bpermute_b32 v3, v27, v2
	s_wait_dscnt 0x0
	v_add_f32_e32 v2, v2, v3
	ds_bpermute_b32 v2, v7, v2
	s_and_saveexec_b32 s0, s1
	s_cbranch_execz .LBB94_41
; %bb.29:
	s_wait_dscnt 0x0
	v_add_f32_e32 v2, 0x358637bd, v2
	s_mov_b32 s3, -1
	s_mov_b32 s1, exec_lo
	s_delay_alu instid0(VALU_DEP_1) | instskip(NEXT) | instid1(VALU_DEP_1)
	v_div_scale_f32 v3, null, v2, v2, 1.0
	v_rcp_f32_e32 v5, v3
	v_nop
	s_delay_alu instid0(TRANS32_DEP_1) | instskip(NEXT) | instid1(VALU_DEP_1)
	v_fma_f32 v4, -v3, v5, 1.0
	v_fmac_f32_e32 v5, v4, v5
	v_div_scale_f32 v6, vcc_lo, 1.0, v2, 1.0
	s_delay_alu instid0(VALU_DEP_1) | instskip(NEXT) | instid1(VALU_DEP_1)
	v_mul_f32_e32 v8, v6, v5
	v_fma_f32 v4, -v3, v8, v6
	s_delay_alu instid0(VALU_DEP_1) | instskip(SKIP_1) | instid1(VALU_DEP_2)
	v_fmac_f32_e32 v8, v4, v5
	v_xad_u32 v4, v0, -1, s4
	v_fma_f32 v3, -v3, v8, v6
	s_delay_alu instid0(VALU_DEP_1) | instskip(NEXT) | instid1(VALU_DEP_1)
	v_div_fmas_f32 v3, v3, v5, v8
	v_div_fixup_f32 v2, v3, v2, 1.0
	v_mov_b32_e32 v3, v0
	v_cmpx_lt_u32_e32 0x7f, v4
	s_cbranch_execz .LBB94_38
; %bb.30:
	s_delay_alu instid0(VALU_DEP_3) | instskip(NEXT) | instid1(VALU_DEP_1)
	v_dual_mov_b32 v3, v2 :: v_dual_lshrrev_b32 v4, 7, v4
	v_dual_mov_b32 v9, 0 :: v_dual_add_nc_u32 v5, -1, v4
	s_delay_alu instid0(VALU_DEP_1) | instskip(SKIP_1) | instid1(VALU_DEP_2)
	v_lshrrev_b32_e32 v6, 1, v5
	v_cmp_lt_u32_e32 vcc_lo, 13, v5
	v_add_nc_u32_e32 v5, 1, v6
	s_and_saveexec_b32 s3, vcc_lo
	s_cbranch_execz .LBB94_34
; %bb.31:
	s_delay_alu instid0(VALU_DEP_1)
	v_and_b32_e32 v6, -8, v5
	v_lshl_add_u32 v8, v0, 2, 0x100
	s_mov_b32 s21, 0
	s_mov_b32 s24, 0
.LBB94_32:                              ; =>This Inner Loop Header: Depth=1
	ds_load_2addr_stride64_b32 v[10:11], v8 offset1:2
	ds_load_2addr_stride64_b32 v[12:13], v8 offset0:4 offset1:6
	ds_load_2addr_stride64_b32 v[14:15], v8 offset0:8 offset1:10
	;; [unrolled: 1-line block ×7, first 2 shown]
	s_add_co_i32 s24, s24, 16
	s_delay_alu instid0(SALU_CYCLE_1) | instskip(NEXT) | instid1(VALU_DEP_1)
	v_dual_mov_b32 v9, s24 :: v_dual_add_nc_u32 v6, -8, v6
	v_cmp_eq_u32_e32 vcc_lo, 0, v6
	s_or_b32 s21, vcc_lo, s21
	s_wait_dscnt 0x7
	v_pk_mul_f32 v[10:11], v[2:3], v[10:11]
	s_wait_dscnt 0x6
	v_pk_mul_f32 v[12:13], v[2:3], v[12:13]
	;; [unrolled: 2-line block ×8, first 2 shown]
	ds_store_2addr_stride64_b32 v8, v10, v11 offset1:2
	ds_store_2addr_stride64_b32 v8, v12, v13 offset0:4 offset1:6
	ds_store_2addr_stride64_b32 v8, v14, v15 offset0:8 offset1:10
	;; [unrolled: 1-line block ×7, first 2 shown]
	v_add_nc_u32_e32 v8, 0x2000, v8
	s_and_not1_b32 exec_lo, exec_lo, s21
	s_cbranch_execnz .LBB94_32
; %bb.33:
	s_or_b32 exec_lo, exec_lo, s21
.LBB94_34:
	s_delay_alu instid0(SALU_CYCLE_1) | instskip(NEXT) | instid1(VALU_DEP_1)
	s_or_b32 exec_lo, exec_lo, s3
	v_and_b32_e32 v5, 7, v5
	s_mov_b32 s21, 0
	s_mov_b32 s3, exec_lo
	s_delay_alu instid0(VALU_DEP_1)
	v_cmpx_ne_u32_e32 0, v5
	s_cbranch_execz .LBB94_37
; %bb.35:
	v_dual_lshlrev_b32 v6, 9, v9 :: v_dual_lshlrev_b32 v8, 2, v0
	s_delay_alu instid0(VALU_DEP_1)
	v_add3_u32 v6, v6, v8, 0x100
.LBB94_36:                              ; =>This Inner Loop Header: Depth=1
	ds_load_2addr_stride64_b32 v[8:9], v6 offset1:2
	v_add_nc_u32_e32 v5, -1, v5
	s_delay_alu instid0(VALU_DEP_1)
	v_cmp_eq_u32_e32 vcc_lo, 0, v5
	s_or_b32 s21, vcc_lo, s21
	s_wait_dscnt 0x0
	v_pk_mul_f32 v[8:9], v[2:3], v[8:9]
	ds_store_2addr_stride64_b32 v6, v8, v9 offset1:2
	v_add_nc_u32_e32 v6, 0x400, v6
	s_and_not1_b32 exec_lo, exec_lo, s21
	s_cbranch_execnz .LBB94_36
.LBB94_37:
	s_or_b32 exec_lo, exec_lo, s3
	v_add_nc_u32_e32 v3, 1, v4
	s_delay_alu instid0(VALU_DEP_1) | instskip(NEXT) | instid1(VALU_DEP_1)
	v_and_b32_e32 v4, 0x3fffffe, v3
	v_cmp_ne_u32_e32 vcc_lo, v3, v4
	v_lshl_add_u32 v3, v4, 7, v0
	s_or_not1_b32 s3, vcc_lo, exec_lo
.LBB94_38:
	s_or_b32 exec_lo, exec_lo, s1
	s_delay_alu instid0(SALU_CYCLE_1)
	s_and_b32 exec_lo, exec_lo, s3
	s_cbranch_execz .LBB94_41
; %bb.39:
	v_lshl_add_u32 v4, v3, 2, 0x100
	s_mov_b32 s1, 0
.LBB94_40:                              ; =>This Inner Loop Header: Depth=1
	ds_load_b32 v5, v4
	v_add_nc_u32_e32 v3, 0x80, v3
	s_delay_alu instid0(VALU_DEP_1)
	v_cmp_le_i32_e32 vcc_lo, s4, v3
	s_or_b32 s1, vcc_lo, s1
	s_wait_dscnt 0x0
	v_mul_f32_e32 v5, v2, v5
	ds_store_b32 v4, v5
	v_add_nc_u32_e32 v4, 0x200, v4
	s_and_not1_b32 exec_lo, exec_lo, s1
	s_cbranch_execnz .LBB94_40
.LBB94_41:
	s_or_b32 exec_lo, exec_lo, s0
	v_dual_mov_b32 v6, 0 :: v_dual_bitop2_b32 v29, 3, v0 bitop3:0x40
	v_dual_mov_b32 v9, 0 :: v_dual_mov_b32 v8, 0
	v_dual_mov_b32 v11, 0 :: v_dual_mov_b32 v10, 0
	;; [unrolled: 1-line block ×6, first 2 shown]
	s_wait_dscnt 0x0
	s_barrier_signal -1
	s_barrier_wait -1
	s_and_saveexec_b32 s1, s2
	s_cbranch_execz .LBB94_75
; %bb.42:
	s_abs_i32 s6, s6
	v_dual_lshlrev_b32 v5, 3, v0 :: v_dual_mov_b32 v55, 0
	s_cvt_f32_u32 s0, s6
	v_and_b32_e32 v2, 0x1f0, v1
	v_lshlrev_b32_e32 v1, 5, v29
	s_ashr_i32 s21, s20, 31
	v_rcp_iflag_f32_e32 v3, s0
	v_and_b32_e32 v4, 0x7c, v74
	v_dual_mov_b32 v5, v55 :: v_dual_bitop2_b32 v30, 24, v5 bitop3:0x40
	s_lshl_b64 s[18:19], s[18:19], 2
	s_lshl_b64 s[20:21], s[20:21], 1
	s_add_nc_u64 s[16:17], s[16:17], s[18:19]
	s_delay_alu instid0(TRANS32_DEP_1)
	v_readfirstlane_b32 s0, v3
	v_mov_b32_e32 v3, v55
	v_lshl_or_b32 v1, v72, 7, v1
	s_wait_kmcnt 0x0
	s_add_nc_u64 s[18:19], s[22:23], s[20:21]
	s_sub_co_i32 s4, 0, s6
	s_mul_f32 s0, s0, 0x4f7ffffe
	v_add_nc_u64_e32 v[20:21], s[18:19], v[2:3]
	v_add_nc_u64_e32 v[22:23], s[16:17], v[4:5]
	v_dual_mov_b32 v32, v72 :: v_dual_add_nc_u32 v31, 0x100, v1
	s_cvt_u32_f32 s0, s0
	v_dual_mov_b32 v18, v55 :: v_dual_mov_b32 v19, v55
	v_dual_mov_b32 v16, v55 :: v_dual_mov_b32 v17, v55
	s_delay_alu instid0(SALU_CYCLE_1)
	s_mul_i32 s4, s4, s0
	v_dual_mov_b32 v14, v55 :: v_dual_mov_b32 v15, v55
	v_dual_mov_b32 v12, v55 :: v_dual_mov_b32 v13, v55
	;; [unrolled: 1-line block ×5, first 2 shown]
	s_sub_co_i32 s24, s33, s5
	s_mov_b32 s5, 0
	s_mul_hi_u32 s4, s0, s4
	s_ashr_i32 s3, s9, 31
	s_mov_b32 s2, s9
	s_add_co_i32 s9, s31, -1
	s_mov_b32 s16, s29
	s_add_co_i32 s4, s0, s4
	s_mov_b32 s17, s5
	s_branch .LBB94_45
.LBB94_43:                              ;   in Loop: Header=BB94_45 Depth=1
	s_or_b32 exec_lo, exec_lo, s0
	v_dual_add_f32 v33, v70, v71 :: v_dual_add_f32 v34, v68, v69
	v_add_f32_e32 v26, v26, v41
	v_dual_add_f32 v35, v66, v67 :: v_dual_lshlrev_b32 v25, 16, v25
	s_delay_alu instid0(VALU_DEP_3) | instskip(NEXT) | instid1(VALU_DEP_3)
	v_dual_add_f32 v9, v9, v33 :: v_dual_add_f32 v8, v8, v34
	v_dual_add_f32 v6, v6, v26 :: v_dual_add_f32 v26, v64, v65
	s_delay_alu instid0(VALU_DEP_3) | instskip(SKIP_1) | instid1(VALU_DEP_3)
	v_dual_add_f32 v11, v11, v35 :: v_dual_lshlrev_b32 v24, 16, v24
	v_dual_add_f32 v33, v62, v63 :: v_dual_add_f32 v36, v60, v61
	v_add_f32_e32 v10, v10, v26
	v_dual_add_f32 v26, v58, v59 :: v_dual_lshlrev_b32 v1, 16, v1
	s_delay_alu instid0(VALU_DEP_4) | instskip(NEXT) | instid1(VALU_DEP_4)
	v_and_or_b32 v2, 0xffff, v2, v24
	v_dual_add_f32 v13, v13, v33 :: v_dual_add_f32 v12, v12, v36
	s_delay_alu instid0(VALU_DEP_3) | instskip(NEXT) | instid1(VALU_DEP_4)
	v_dual_add_f32 v33, v56, v57 :: v_dual_add_f32 v15, v15, v26
	v_and_or_b32 v3, 0xffff, v3, v1
	v_and_or_b32 v4, 0xffff, v4, v25
	;;#ASMSTART
	v_pk_mul_f16 v2, v43, v2;

	;;#ASMEND
	;;#ASMSTART
	v_pk_mul_f16 v3, v42, v3;

	;;#ASMEND
	;; [unrolled: 4-line block ×4, first 2 shown]
	;;#ASMSTART
	v_pk_add_f16 v2, v2, v3;

	;;#ASMEND
	;;#ASMSTART
	v_pk_add_f16 v2, v2, v4;

	;;#ASMEND
	;; [unrolled: 4-line block ×3, first 2 shown]
	v_and_b32_e32 v5, 0xffff, v2
	v_lshrrev_b32_e32 v24, 16, v2
	;;#ASMSTART
	v_cvt_f32_f16 v5, v5;
	;;#ASMEND
	v_dual_add_f32 v1, v52, v53 :: v_dual_add_f32 v4, v46, v47
	v_dual_add_f32 v2, v50, v51 :: v_dual_add_f32 v3, v48, v49
	;;#ASMSTART
	v_cvt_f32_f16 v24, v24;
	;;#ASMEND
	v_dual_add_f32 v14, v14, v33 :: v_dual_add_f32 v5, v5, v24
	s_delay_alu instid0(VALU_DEP_2) | instskip(NEXT) | instid1(VALU_DEP_3)
	v_dual_add_f32 v17, v17, v1 :: v_dual_add_f32 v16, v16, v2
	v_dual_add_f32 v18, v18, v4 :: v_dual_add_f32 v19, v19, v3
	s_delay_alu instid0(VALU_DEP_3)
	v_add_f32_e32 v7, v7, v5
.LBB94_44:                              ;   in Loop: Header=BB94_45 Depth=1
	s_or_b32 exec_lo, exec_lo, s18
	v_add_nc_u32_e32 v32, 4, v32
	v_add_nc_u64_e32 v[22:23], 16, v[22:23]
	v_add_nc_u32_e32 v54, 0x80, v54
	v_add_nc_u32_e32 v31, 0x200, v31
	s_delay_alu instid0(VALU_DEP_4) | instskip(SKIP_1) | instid1(SALU_CYCLE_1)
	v_cmp_le_i32_e32 vcc_lo, s31, v32
	s_or_b32 s17, vcc_lo, s17
	s_and_not1_b32 exec_lo, exec_lo, s17
	s_cbranch_execz .LBB94_74
.LBB94_45:                              ; =>This Inner Loop Header: Depth=1
	v_mul_u64_e32 v[2:3], s[14:15], v[54:55]
	s_delay_alu instid0(VALU_DEP_1) | instskip(NEXT) | instid1(VALU_DEP_1)
	v_mul_lo_u32 v1, v3, s8
	v_dual_add_nc_u32 v2, 1, v3 :: v_dual_sub_nc_u32 v1, v54, v1
	s_delay_alu instid0(VALU_DEP_1) | instskip(SKIP_1) | instid1(VALU_DEP_2)
	v_subrev_nc_u32_e32 v4, s8, v1
	v_cmp_le_u32_e32 vcc_lo, s8, v1
	v_dual_cndmask_b32 v2, v3, v2 :: v_dual_cndmask_b32 v1, v1, v4
	s_delay_alu instid0(VALU_DEP_1) | instskip(NEXT) | instid1(VALU_DEP_2)
	v_add_nc_u32_e32 v3, 1, v2
	v_cmp_le_u32_e32 vcc_lo, s8, v1
	s_delay_alu instid0(VALU_DEP_2) | instskip(NEXT) | instid1(VALU_DEP_1)
	v_dual_cndmask_b32 v1, v2, v3, vcc_lo :: v_dual_mov_b32 v3, v55
	v_xor_b32_e32 v1, s30, v1
	s_delay_alu instid0(VALU_DEP_1) | instskip(NEXT) | instid1(VALU_DEP_1)
	v_subrev_nc_u32_e32 v1, s30, v1
	v_add_nc_u32_e32 v24, s13, v1
	v_cmp_lt_i32_e64 s0, s24, v1
	s_delay_alu instid0(VALU_DEP_2) | instskip(NEXT) | instid1(VALU_DEP_1)
	v_sub_nc_u32_e32 v2, 0, v24
	v_max_i32_e32 v2, v24, v2
	s_delay_alu instid0(VALU_DEP_1) | instskip(SKIP_1) | instid1(VALU_DEP_2)
	v_mul_u64_e32 v[4:5], s[4:5], v[2:3]
	v_ashrrev_i32_e32 v4, 31, v24
	v_mul_lo_u32 v3, v5, s6
	s_delay_alu instid0(VALU_DEP_1) | instskip(NEXT) | instid1(VALU_DEP_1)
	v_sub_nc_u32_e32 v2, v2, v3
	v_subrev_nc_u32_e32 v3, s6, v2
	v_cmp_le_u32_e32 vcc_lo, s6, v2
	s_delay_alu instid0(VALU_DEP_2) | instskip(NEXT) | instid1(VALU_DEP_1)
	v_cndmask_b32_e32 v2, v2, v3, vcc_lo
	v_subrev_nc_u32_e32 v3, s6, v2
	v_cmp_le_u32_e32 vcc_lo, s6, v2
	s_delay_alu instid0(VALU_DEP_2) | instskip(NEXT) | instid1(VALU_DEP_1)
	v_cndmask_b32_e32 v2, v2, v3, vcc_lo
	v_xor_b32_e32 v2, v2, v4
	s_delay_alu instid0(VALU_DEP_1) | instskip(NEXT) | instid1(VALU_DEP_1)
	v_sub_nc_u32_e32 v2, v2, v4
	v_cmp_eq_u32_e32 vcc_lo, 0, v2
	s_or_b32 s0, vcc_lo, s0
	s_delay_alu instid0(SALU_CYCLE_1)
	s_and_saveexec_b32 s18, s0
	s_cbranch_execz .LBB94_44
; %bb.46:                               ;   in Loop: Header=BB94_45 Depth=1
	global_load_b32 v2, v[22:23], off
	v_cmp_eq_u32_e32 vcc_lo, s9, v32
	s_wait_loadcnt 0x0
	v_ashrrev_i32_e32 v3, 31, v2
	s_delay_alu instid0(VALU_DEP_1)
	v_mul_u64_e32 v[24:25], s[2:3], v[2:3]
	ds_load_2addr_b64 v[2:5], v31 offset1:1
	ds_load_2addr_b64 v[34:37], v31 offset0:2 offset1:3
	s_wait_dscnt 0x1
	;;#ASMSTART
	v_cvt_f16_f32 v43, v2;

	;;#ASMEND
	;;#ASMSTART
	v_cvt_f16_f32 v42, v3;

	;;#ASMEND
	;; [unrolled: 4-line block ×4, first 2 shown]
	s_wait_dscnt 0x0
	;;#ASMSTART
	v_cvt_f16_f32 v49, v34;

	;;#ASMEND
	;;#ASMSTART
	v_cvt_f16_f32 v44, v35;

	;;#ASMEND
	;; [unrolled: 4-line block ×4, first 2 shown]
	v_lshl_add_u64 v[24:25], v[24:25], 1, v[20:21]
	global_load_b128 v[2:5], v[24:25], off
	s_wait_loadcnt 0x0
	v_dual_add_nc_u32 v37, v30, v54 :: v_dual_lshrrev_b32 v1, 16, v3
	s_delay_alu instid0(VALU_DEP_1)
	v_dual_add_nc_u32 v39, 2, v37 :: v_dual_add_nc_u32 v34, 4, v37
	v_dual_add_nc_u32 v33, 5, v37 :: v_dual_add_nc_u32 v36, 6, v37
	v_dual_add_nc_u32 v35, 7, v37 :: v_dual_bitop2_b32 v40, 3, v37 bitop3:0x54
	v_dual_lshrrev_b32 v26, 16, v2 :: v_dual_lshrrev_b32 v41, 16, v4
	v_or_b32_e32 v38, 1, v37
	s_and_saveexec_b32 s19, vcc_lo
	s_cbranch_execz .LBB94_48
; %bb.47:                               ;   in Loop: Header=BB94_45 Depth=1
	v_cmp_gt_i32_e64 s0, s29, v37
	v_and_b32_e32 v50, 0xffff, v5
	v_and_b32_e32 v5, 0xffff0000, v5
	s_delay_alu instid0(VALU_DEP_3) | instskip(SKIP_1) | instid1(VALU_DEP_1)
	v_cndmask_b32_e64 v2, 0, v2, s0
	v_cmp_gt_i32_e64 s0, s29, v39
	v_cndmask_b32_e64 v3, 0, v3, s0
	v_cmp_gt_i32_e64 s0, s16, v40
	s_delay_alu instid0(VALU_DEP_1) | instskip(SKIP_1) | instid1(VALU_DEP_1)
	v_cndmask_b32_e64 v1, 0, v1, s0
	v_cmp_gt_i32_e64 s0, s29, v38
	v_cndmask_b32_e64 v26, 0, v26, s0
	v_cmp_gt_i32_e64 s0, s29, v36
	s_delay_alu instid0(VALU_DEP_1) | instskip(SKIP_1) | instid1(VALU_DEP_1)
	;; [unrolled: 5-line block ×3, first 2 shown]
	v_dual_cndmask_b32 v4, 0, v4, s0 :: v_dual_bitop2_b32 v5, v50, v5 bitop3:0x54
	v_cmp_gt_i32_e64 s0, s29, v33
	v_cndmask_b32_e64 v41, 0, v41, s0
.LBB94_48:                              ;   in Loop: Header=BB94_45 Depth=1
	s_or_b32 exec_lo, exec_lo, s19
	v_and_b32_e32 v43, 0xffff, v43
	v_and_b32_e32 v48, 0xffff, v48
	v_dual_lshlrev_b32 v26, 16, v26 :: v_dual_lshlrev_b32 v1, 16, v1
	v_lshlrev_b32_e32 v41, 16, v41
	v_and_b32_e32 v49, 0xffff, v49
	v_lshl_or_b32 v43, v42, 16, v43
	v_lshl_or_b32 v42, v46, 16, v48
	v_and_b32_e32 v46, 0xffff, v47
	v_and_or_b32 v2, 0xffff, v2, v26
	v_and_or_b32 v1, 0xffff, v3, v1
	;; [unrolled: 1-line block ×3, first 2 shown]
	;;#ASMSTART
	v_pk_mul_f16 v2, v43, v2;

	;;#ASMEND
	;;#ASMSTART
	v_pk_mul_f16 v1, v42, v1;

	;;#ASMEND
	v_lshl_or_b32 v44, v44, 16, v49
	v_lshl_or_b32 v45, v45, 16, v46
	;;#ASMSTART
	v_pk_mul_f16 v3, v44, v3;

	;;#ASMEND
	;;#ASMSTART
	v_pk_mul_f16 v4, v45, v5;

	;;#ASMEND
	;;#ASMSTART
	v_pk_add_f16 v1, v2, v1;

	;;#ASMEND
	;;#ASMSTART
	v_pk_add_f16 v1, v1, v3;
	;; [unrolled: 4-line block ×3, first 2 shown]

	;;#ASMEND
	v_and_b32_e32 v2, 0xffff, v1
	v_lshrrev_b32_e32 v1, 16, v1
	;;#ASMSTART
	v_cvt_f32_f16 v46, v2;
	;;#ASMEND
	;;#ASMSTART
	v_cvt_f32_f16 v47, v1;
	;;#ASMEND
	global_load_b128 v[2:5], v[24:25], off offset:512
	s_wait_loadcnt 0x0
	v_dual_lshrrev_b32 v1, 16, v3 :: v_dual_lshrrev_b32 v26, 16, v2
	v_lshrrev_b32_e32 v41, 16, v4
	s_and_saveexec_b32 s19, vcc_lo
	s_cbranch_execz .LBB94_50
; %bb.49:                               ;   in Loop: Header=BB94_45 Depth=1
	v_cmp_gt_i32_e64 s0, s29, v37
	v_and_b32_e32 v48, 0xffff, v5
	v_and_b32_e32 v5, 0xffff0000, v5
	s_delay_alu instid0(VALU_DEP_3) | instskip(SKIP_1) | instid1(VALU_DEP_1)
	v_cndmask_b32_e64 v2, 0, v2, s0
	v_cmp_gt_i32_e64 s0, s29, v39
	v_cndmask_b32_e64 v3, 0, v3, s0
	v_cmp_gt_i32_e64 s0, s16, v40
	s_delay_alu instid0(VALU_DEP_1) | instskip(SKIP_1) | instid1(VALU_DEP_1)
	v_cndmask_b32_e64 v1, 0, v1, s0
	v_cmp_gt_i32_e64 s0, s29, v38
	v_cndmask_b32_e64 v26, 0, v26, s0
	v_cmp_gt_i32_e64 s0, s29, v36
	s_delay_alu instid0(VALU_DEP_1) | instskip(SKIP_1) | instid1(VALU_DEP_1)
	v_cndmask_b32_e64 v48, 0, v48, s0
	v_cmp_gt_i32_e64 s0, s29, v35
	v_cndmask_b32_e64 v5, 0, v5, s0
	v_cmp_gt_i32_e64 s0, s29, v34
	s_delay_alu instid0(VALU_DEP_1) | instskip(SKIP_1) | instid1(VALU_DEP_1)
	v_dual_cndmask_b32 v4, 0, v4, s0 :: v_dual_bitop2_b32 v5, v48, v5 bitop3:0x54
	v_cmp_gt_i32_e64 s0, s29, v33
	v_cndmask_b32_e64 v41, 0, v41, s0
.LBB94_50:                              ;   in Loop: Header=BB94_45 Depth=1
	s_or_b32 exec_lo, exec_lo, s19
	v_dual_lshlrev_b32 v26, 16, v26 :: v_dual_lshlrev_b32 v1, 16, v1
	s_delay_alu instid0(VALU_DEP_2) | instskip(NEXT) | instid1(VALU_DEP_2)
	v_lshlrev_b32_e32 v41, 16, v41
	v_and_or_b32 v2, 0xffff, v2, v26
	s_delay_alu instid0(VALU_DEP_3) | instskip(NEXT) | instid1(VALU_DEP_3)
	v_and_or_b32 v1, 0xffff, v3, v1
	v_and_or_b32 v3, 0xffff, v4, v41
	;;#ASMSTART
	v_pk_mul_f16 v2, v43, v2;

	;;#ASMEND
	;;#ASMSTART
	v_pk_mul_f16 v1, v42, v1;

	;;#ASMEND
	;; [unrolled: 4-line block ×4, first 2 shown]
	;;#ASMSTART
	v_pk_add_f16 v1, v2, v1;

	;;#ASMEND
	;;#ASMSTART
	v_pk_add_f16 v1, v1, v3;

	;;#ASMEND
	;; [unrolled: 4-line block ×3, first 2 shown]
	v_and_b32_e32 v2, 0xffff, v1
	v_lshrrev_b32_e32 v1, 16, v1
	;;#ASMSTART
	v_cvt_f32_f16 v48, v2;
	;;#ASMEND
	;;#ASMSTART
	v_cvt_f32_f16 v49, v1;
	;;#ASMEND
	global_load_b128 v[2:5], v[24:25], off offset:1024
	s_wait_loadcnt 0x0
	v_dual_lshrrev_b32 v1, 16, v3 :: v_dual_lshrrev_b32 v26, 16, v2
	v_lshrrev_b32_e32 v41, 16, v4
	s_and_saveexec_b32 s19, vcc_lo
	s_cbranch_execz .LBB94_52
; %bb.51:                               ;   in Loop: Header=BB94_45 Depth=1
	v_cmp_gt_i32_e64 s0, s29, v37
	v_and_b32_e32 v50, 0xffff, v5
	v_and_b32_e32 v5, 0xffff0000, v5
	s_delay_alu instid0(VALU_DEP_3) | instskip(SKIP_1) | instid1(VALU_DEP_1)
	v_cndmask_b32_e64 v2, 0, v2, s0
	v_cmp_gt_i32_e64 s0, s29, v39
	v_cndmask_b32_e64 v3, 0, v3, s0
	v_cmp_gt_i32_e64 s0, s16, v40
	s_delay_alu instid0(VALU_DEP_1) | instskip(SKIP_1) | instid1(VALU_DEP_1)
	v_cndmask_b32_e64 v1, 0, v1, s0
	v_cmp_gt_i32_e64 s0, s29, v38
	v_cndmask_b32_e64 v26, 0, v26, s0
	v_cmp_gt_i32_e64 s0, s29, v36
	s_delay_alu instid0(VALU_DEP_1) | instskip(SKIP_1) | instid1(VALU_DEP_1)
	;; [unrolled: 5-line block ×3, first 2 shown]
	v_dual_cndmask_b32 v4, 0, v4, s0 :: v_dual_bitop2_b32 v5, v50, v5 bitop3:0x54
	v_cmp_gt_i32_e64 s0, s29, v33
	v_cndmask_b32_e64 v41, 0, v41, s0
.LBB94_52:                              ;   in Loop: Header=BB94_45 Depth=1
	s_or_b32 exec_lo, exec_lo, s19
	v_dual_lshlrev_b32 v26, 16, v26 :: v_dual_lshlrev_b32 v1, 16, v1
	s_delay_alu instid0(VALU_DEP_2) | instskip(NEXT) | instid1(VALU_DEP_2)
	v_lshlrev_b32_e32 v41, 16, v41
	v_and_or_b32 v2, 0xffff, v2, v26
	s_delay_alu instid0(VALU_DEP_3) | instskip(NEXT) | instid1(VALU_DEP_3)
	v_and_or_b32 v1, 0xffff, v3, v1
	v_and_or_b32 v3, 0xffff, v4, v41
	;;#ASMSTART
	v_pk_mul_f16 v2, v43, v2;

	;;#ASMEND
	;;#ASMSTART
	v_pk_mul_f16 v1, v42, v1;

	;;#ASMEND
	;; [unrolled: 4-line block ×4, first 2 shown]
	;;#ASMSTART
	v_pk_add_f16 v1, v2, v1;

	;;#ASMEND
	;;#ASMSTART
	v_pk_add_f16 v1, v1, v3;

	;;#ASMEND
	;; [unrolled: 4-line block ×3, first 2 shown]
	v_and_b32_e32 v2, 0xffff, v1
	v_lshrrev_b32_e32 v1, 16, v1
	;;#ASMSTART
	v_cvt_f32_f16 v50, v2;
	;;#ASMEND
	;;#ASMSTART
	v_cvt_f32_f16 v51, v1;
	;;#ASMEND
	global_load_b128 v[2:5], v[24:25], off offset:1536
	s_wait_loadcnt 0x0
	v_dual_lshrrev_b32 v1, 16, v3 :: v_dual_lshrrev_b32 v26, 16, v2
	v_lshrrev_b32_e32 v41, 16, v4
	s_and_saveexec_b32 s19, vcc_lo
	s_cbranch_execz .LBB94_54
; %bb.53:                               ;   in Loop: Header=BB94_45 Depth=1
	v_cmp_gt_i32_e64 s0, s29, v37
	v_and_b32_e32 v52, 0xffff, v5
	v_and_b32_e32 v5, 0xffff0000, v5
	s_delay_alu instid0(VALU_DEP_3) | instskip(SKIP_1) | instid1(VALU_DEP_1)
	v_cndmask_b32_e64 v2, 0, v2, s0
	v_cmp_gt_i32_e64 s0, s29, v39
	v_cndmask_b32_e64 v3, 0, v3, s0
	v_cmp_gt_i32_e64 s0, s16, v40
	s_delay_alu instid0(VALU_DEP_1) | instskip(SKIP_1) | instid1(VALU_DEP_1)
	v_cndmask_b32_e64 v1, 0, v1, s0
	v_cmp_gt_i32_e64 s0, s29, v38
	v_cndmask_b32_e64 v26, 0, v26, s0
	v_cmp_gt_i32_e64 s0, s29, v36
	s_delay_alu instid0(VALU_DEP_1) | instskip(SKIP_1) | instid1(VALU_DEP_1)
	;; [unrolled: 5-line block ×3, first 2 shown]
	v_dual_cndmask_b32 v4, 0, v4, s0 :: v_dual_bitop2_b32 v5, v52, v5 bitop3:0x54
	v_cmp_gt_i32_e64 s0, s29, v33
	v_cndmask_b32_e64 v41, 0, v41, s0
.LBB94_54:                              ;   in Loop: Header=BB94_45 Depth=1
	s_or_b32 exec_lo, exec_lo, s19
	v_dual_lshlrev_b32 v26, 16, v26 :: v_dual_lshlrev_b32 v1, 16, v1
	s_delay_alu instid0(VALU_DEP_2) | instskip(NEXT) | instid1(VALU_DEP_2)
	v_lshlrev_b32_e32 v41, 16, v41
	v_and_or_b32 v2, 0xffff, v2, v26
	s_delay_alu instid0(VALU_DEP_3) | instskip(NEXT) | instid1(VALU_DEP_3)
	v_and_or_b32 v1, 0xffff, v3, v1
	v_and_or_b32 v3, 0xffff, v4, v41
	;;#ASMSTART
	v_pk_mul_f16 v2, v43, v2;

	;;#ASMEND
	;;#ASMSTART
	v_pk_mul_f16 v1, v42, v1;

	;;#ASMEND
	;; [unrolled: 4-line block ×4, first 2 shown]
	;;#ASMSTART
	v_pk_add_f16 v1, v2, v1;

	;;#ASMEND
	;;#ASMSTART
	v_pk_add_f16 v1, v1, v3;

	;;#ASMEND
	;; [unrolled: 4-line block ×3, first 2 shown]
	v_and_b32_e32 v2, 0xffff, v1
	v_lshrrev_b32_e32 v1, 16, v1
	;;#ASMSTART
	v_cvt_f32_f16 v52, v2;
	;;#ASMEND
	;;#ASMSTART
	v_cvt_f32_f16 v53, v1;
	;;#ASMEND
	global_load_b128 v[2:5], v[24:25], off offset:2048
	s_wait_loadcnt 0x0
	v_dual_lshrrev_b32 v1, 16, v3 :: v_dual_lshrrev_b32 v26, 16, v2
	v_lshrrev_b32_e32 v41, 16, v4
	s_and_saveexec_b32 s19, vcc_lo
	s_cbranch_execz .LBB94_56
; %bb.55:                               ;   in Loop: Header=BB94_45 Depth=1
	v_cmp_gt_i32_e64 s0, s29, v37
	v_and_b32_e32 v56, 0xffff, v5
	v_and_b32_e32 v5, 0xffff0000, v5
	s_delay_alu instid0(VALU_DEP_3) | instskip(SKIP_1) | instid1(VALU_DEP_1)
	v_cndmask_b32_e64 v2, 0, v2, s0
	v_cmp_gt_i32_e64 s0, s29, v39
	v_cndmask_b32_e64 v3, 0, v3, s0
	v_cmp_gt_i32_e64 s0, s16, v40
	s_delay_alu instid0(VALU_DEP_1) | instskip(SKIP_1) | instid1(VALU_DEP_1)
	v_cndmask_b32_e64 v1, 0, v1, s0
	v_cmp_gt_i32_e64 s0, s29, v38
	v_cndmask_b32_e64 v26, 0, v26, s0
	v_cmp_gt_i32_e64 s0, s29, v36
	s_delay_alu instid0(VALU_DEP_1) | instskip(SKIP_1) | instid1(VALU_DEP_1)
	;; [unrolled: 5-line block ×3, first 2 shown]
	v_dual_cndmask_b32 v4, 0, v4, s0 :: v_dual_bitop2_b32 v5, v56, v5 bitop3:0x54
	v_cmp_gt_i32_e64 s0, s29, v33
	v_cndmask_b32_e64 v41, 0, v41, s0
.LBB94_56:                              ;   in Loop: Header=BB94_45 Depth=1
	s_or_b32 exec_lo, exec_lo, s19
	v_dual_lshlrev_b32 v26, 16, v26 :: v_dual_lshlrev_b32 v1, 16, v1
	s_delay_alu instid0(VALU_DEP_2) | instskip(NEXT) | instid1(VALU_DEP_2)
	v_lshlrev_b32_e32 v41, 16, v41
	v_and_or_b32 v2, 0xffff, v2, v26
	s_delay_alu instid0(VALU_DEP_3) | instskip(NEXT) | instid1(VALU_DEP_3)
	v_and_or_b32 v1, 0xffff, v3, v1
	v_and_or_b32 v3, 0xffff, v4, v41
	;;#ASMSTART
	v_pk_mul_f16 v2, v43, v2;

	;;#ASMEND
	;;#ASMSTART
	v_pk_mul_f16 v1, v42, v1;

	;;#ASMEND
	;; [unrolled: 4-line block ×4, first 2 shown]
	;;#ASMSTART
	v_pk_add_f16 v1, v2, v1;

	;;#ASMEND
	;;#ASMSTART
	v_pk_add_f16 v1, v1, v3;

	;;#ASMEND
	;; [unrolled: 4-line block ×3, first 2 shown]
	v_and_b32_e32 v2, 0xffff, v1
	v_lshrrev_b32_e32 v1, 16, v1
	;;#ASMSTART
	v_cvt_f32_f16 v56, v2;
	;;#ASMEND
	;;#ASMSTART
	v_cvt_f32_f16 v57, v1;
	;;#ASMEND
	global_load_b128 v[2:5], v[24:25], off offset:2560
	s_wait_loadcnt 0x0
	v_dual_lshrrev_b32 v1, 16, v3 :: v_dual_lshrrev_b32 v26, 16, v2
	v_lshrrev_b32_e32 v41, 16, v4
	s_and_saveexec_b32 s19, vcc_lo
	s_cbranch_execz .LBB94_58
; %bb.57:                               ;   in Loop: Header=BB94_45 Depth=1
	v_cmp_gt_i32_e64 s0, s29, v37
	v_and_b32_e32 v58, 0xffff, v5
	v_and_b32_e32 v5, 0xffff0000, v5
	s_delay_alu instid0(VALU_DEP_3) | instskip(SKIP_1) | instid1(VALU_DEP_1)
	v_cndmask_b32_e64 v2, 0, v2, s0
	v_cmp_gt_i32_e64 s0, s29, v39
	v_cndmask_b32_e64 v3, 0, v3, s0
	v_cmp_gt_i32_e64 s0, s16, v40
	s_delay_alu instid0(VALU_DEP_1) | instskip(SKIP_1) | instid1(VALU_DEP_1)
	v_cndmask_b32_e64 v1, 0, v1, s0
	v_cmp_gt_i32_e64 s0, s29, v38
	v_cndmask_b32_e64 v26, 0, v26, s0
	v_cmp_gt_i32_e64 s0, s29, v36
	s_delay_alu instid0(VALU_DEP_1) | instskip(SKIP_1) | instid1(VALU_DEP_1)
	;; [unrolled: 5-line block ×3, first 2 shown]
	v_dual_cndmask_b32 v4, 0, v4, s0 :: v_dual_bitop2_b32 v5, v58, v5 bitop3:0x54
	v_cmp_gt_i32_e64 s0, s29, v33
	v_cndmask_b32_e64 v41, 0, v41, s0
.LBB94_58:                              ;   in Loop: Header=BB94_45 Depth=1
	s_or_b32 exec_lo, exec_lo, s19
	v_dual_lshlrev_b32 v26, 16, v26 :: v_dual_lshlrev_b32 v1, 16, v1
	s_delay_alu instid0(VALU_DEP_2) | instskip(NEXT) | instid1(VALU_DEP_2)
	v_lshlrev_b32_e32 v41, 16, v41
	v_and_or_b32 v2, 0xffff, v2, v26
	s_delay_alu instid0(VALU_DEP_3) | instskip(NEXT) | instid1(VALU_DEP_3)
	v_and_or_b32 v1, 0xffff, v3, v1
	v_and_or_b32 v3, 0xffff, v4, v41
	;;#ASMSTART
	v_pk_mul_f16 v2, v43, v2;

	;;#ASMEND
	;;#ASMSTART
	v_pk_mul_f16 v1, v42, v1;

	;;#ASMEND
	;; [unrolled: 4-line block ×4, first 2 shown]
	;;#ASMSTART
	v_pk_add_f16 v1, v2, v1;

	;;#ASMEND
	;;#ASMSTART
	v_pk_add_f16 v1, v1, v3;

	;;#ASMEND
	;; [unrolled: 4-line block ×3, first 2 shown]
	v_and_b32_e32 v2, 0xffff, v1
	v_lshrrev_b32_e32 v1, 16, v1
	;;#ASMSTART
	v_cvt_f32_f16 v58, v2;
	;;#ASMEND
	;;#ASMSTART
	v_cvt_f32_f16 v59, v1;
	;;#ASMEND
	global_load_b128 v[2:5], v[24:25], off offset:3072
	s_wait_loadcnt 0x0
	v_dual_lshrrev_b32 v1, 16, v3 :: v_dual_lshrrev_b32 v26, 16, v2
	v_lshrrev_b32_e32 v41, 16, v4
	s_and_saveexec_b32 s19, vcc_lo
	s_cbranch_execz .LBB94_60
; %bb.59:                               ;   in Loop: Header=BB94_45 Depth=1
	v_cmp_gt_i32_e64 s0, s29, v37
	v_and_b32_e32 v60, 0xffff, v5
	v_and_b32_e32 v5, 0xffff0000, v5
	s_delay_alu instid0(VALU_DEP_3) | instskip(SKIP_1) | instid1(VALU_DEP_1)
	v_cndmask_b32_e64 v2, 0, v2, s0
	v_cmp_gt_i32_e64 s0, s29, v39
	v_cndmask_b32_e64 v3, 0, v3, s0
	v_cmp_gt_i32_e64 s0, s16, v40
	s_delay_alu instid0(VALU_DEP_1) | instskip(SKIP_1) | instid1(VALU_DEP_1)
	v_cndmask_b32_e64 v1, 0, v1, s0
	v_cmp_gt_i32_e64 s0, s29, v38
	v_cndmask_b32_e64 v26, 0, v26, s0
	v_cmp_gt_i32_e64 s0, s29, v36
	s_delay_alu instid0(VALU_DEP_1) | instskip(SKIP_1) | instid1(VALU_DEP_1)
	;; [unrolled: 5-line block ×3, first 2 shown]
	v_dual_cndmask_b32 v4, 0, v4, s0 :: v_dual_bitop2_b32 v5, v60, v5 bitop3:0x54
	v_cmp_gt_i32_e64 s0, s29, v33
	v_cndmask_b32_e64 v41, 0, v41, s0
.LBB94_60:                              ;   in Loop: Header=BB94_45 Depth=1
	s_or_b32 exec_lo, exec_lo, s19
	v_dual_lshlrev_b32 v26, 16, v26 :: v_dual_lshlrev_b32 v1, 16, v1
	s_delay_alu instid0(VALU_DEP_2) | instskip(NEXT) | instid1(VALU_DEP_2)
	v_lshlrev_b32_e32 v41, 16, v41
	v_and_or_b32 v2, 0xffff, v2, v26
	s_delay_alu instid0(VALU_DEP_3) | instskip(NEXT) | instid1(VALU_DEP_3)
	v_and_or_b32 v1, 0xffff, v3, v1
	v_and_or_b32 v3, 0xffff, v4, v41
	;;#ASMSTART
	v_pk_mul_f16 v2, v43, v2;

	;;#ASMEND
	;;#ASMSTART
	v_pk_mul_f16 v1, v42, v1;

	;;#ASMEND
	;; [unrolled: 4-line block ×4, first 2 shown]
	;;#ASMSTART
	v_pk_add_f16 v1, v2, v1;

	;;#ASMEND
	;;#ASMSTART
	v_pk_add_f16 v1, v1, v3;

	;;#ASMEND
	;; [unrolled: 4-line block ×3, first 2 shown]
	v_and_b32_e32 v2, 0xffff, v1
	v_lshrrev_b32_e32 v1, 16, v1
	;;#ASMSTART
	v_cvt_f32_f16 v60, v2;
	;;#ASMEND
	;;#ASMSTART
	v_cvt_f32_f16 v61, v1;
	;;#ASMEND
	global_load_b128 v[2:5], v[24:25], off offset:3584
	s_wait_loadcnt 0x0
	v_dual_lshrrev_b32 v1, 16, v3 :: v_dual_lshrrev_b32 v26, 16, v2
	v_lshrrev_b32_e32 v41, 16, v4
	s_and_saveexec_b32 s19, vcc_lo
	s_cbranch_execz .LBB94_62
; %bb.61:                               ;   in Loop: Header=BB94_45 Depth=1
	v_cmp_gt_i32_e64 s0, s29, v37
	v_and_b32_e32 v62, 0xffff, v5
	v_and_b32_e32 v5, 0xffff0000, v5
	s_delay_alu instid0(VALU_DEP_3) | instskip(SKIP_1) | instid1(VALU_DEP_1)
	v_cndmask_b32_e64 v2, 0, v2, s0
	v_cmp_gt_i32_e64 s0, s29, v39
	v_cndmask_b32_e64 v3, 0, v3, s0
	v_cmp_gt_i32_e64 s0, s16, v40
	s_delay_alu instid0(VALU_DEP_1) | instskip(SKIP_1) | instid1(VALU_DEP_1)
	v_cndmask_b32_e64 v1, 0, v1, s0
	v_cmp_gt_i32_e64 s0, s29, v38
	v_cndmask_b32_e64 v26, 0, v26, s0
	v_cmp_gt_i32_e64 s0, s29, v36
	s_delay_alu instid0(VALU_DEP_1) | instskip(SKIP_1) | instid1(VALU_DEP_1)
	;; [unrolled: 5-line block ×3, first 2 shown]
	v_dual_cndmask_b32 v4, 0, v4, s0 :: v_dual_bitop2_b32 v5, v62, v5 bitop3:0x54
	v_cmp_gt_i32_e64 s0, s29, v33
	v_cndmask_b32_e64 v41, 0, v41, s0
.LBB94_62:                              ;   in Loop: Header=BB94_45 Depth=1
	s_or_b32 exec_lo, exec_lo, s19
	v_dual_lshlrev_b32 v26, 16, v26 :: v_dual_lshlrev_b32 v1, 16, v1
	s_delay_alu instid0(VALU_DEP_2) | instskip(NEXT) | instid1(VALU_DEP_2)
	v_lshlrev_b32_e32 v41, 16, v41
	v_and_or_b32 v2, 0xffff, v2, v26
	s_delay_alu instid0(VALU_DEP_3) | instskip(NEXT) | instid1(VALU_DEP_3)
	v_and_or_b32 v1, 0xffff, v3, v1
	v_and_or_b32 v3, 0xffff, v4, v41
	;;#ASMSTART
	v_pk_mul_f16 v2, v43, v2;

	;;#ASMEND
	;;#ASMSTART
	v_pk_mul_f16 v1, v42, v1;

	;;#ASMEND
	;; [unrolled: 4-line block ×4, first 2 shown]
	;;#ASMSTART
	v_pk_add_f16 v1, v2, v1;

	;;#ASMEND
	;;#ASMSTART
	v_pk_add_f16 v1, v1, v3;

	;;#ASMEND
	;; [unrolled: 4-line block ×3, first 2 shown]
	v_and_b32_e32 v2, 0xffff, v1
	v_lshrrev_b32_e32 v1, 16, v1
	;;#ASMSTART
	v_cvt_f32_f16 v62, v2;
	;;#ASMEND
	;;#ASMSTART
	v_cvt_f32_f16 v63, v1;
	;;#ASMEND
	global_load_b128 v[2:5], v[24:25], off offset:4096
	s_wait_loadcnt 0x0
	v_dual_lshrrev_b32 v1, 16, v3 :: v_dual_lshrrev_b32 v26, 16, v2
	v_lshrrev_b32_e32 v41, 16, v4
	s_and_saveexec_b32 s19, vcc_lo
	s_cbranch_execz .LBB94_64
; %bb.63:                               ;   in Loop: Header=BB94_45 Depth=1
	v_cmp_gt_i32_e64 s0, s29, v37
	v_and_b32_e32 v64, 0xffff, v5
	v_and_b32_e32 v5, 0xffff0000, v5
	s_delay_alu instid0(VALU_DEP_3) | instskip(SKIP_1) | instid1(VALU_DEP_1)
	v_cndmask_b32_e64 v2, 0, v2, s0
	v_cmp_gt_i32_e64 s0, s29, v39
	v_cndmask_b32_e64 v3, 0, v3, s0
	v_cmp_gt_i32_e64 s0, s16, v40
	s_delay_alu instid0(VALU_DEP_1) | instskip(SKIP_1) | instid1(VALU_DEP_1)
	v_cndmask_b32_e64 v1, 0, v1, s0
	v_cmp_gt_i32_e64 s0, s29, v38
	v_cndmask_b32_e64 v26, 0, v26, s0
	v_cmp_gt_i32_e64 s0, s29, v36
	s_delay_alu instid0(VALU_DEP_1) | instskip(SKIP_1) | instid1(VALU_DEP_1)
	;; [unrolled: 5-line block ×3, first 2 shown]
	v_dual_cndmask_b32 v4, 0, v4, s0 :: v_dual_bitop2_b32 v5, v64, v5 bitop3:0x54
	v_cmp_gt_i32_e64 s0, s29, v33
	v_cndmask_b32_e64 v41, 0, v41, s0
.LBB94_64:                              ;   in Loop: Header=BB94_45 Depth=1
	s_or_b32 exec_lo, exec_lo, s19
	v_dual_lshlrev_b32 v26, 16, v26 :: v_dual_lshlrev_b32 v1, 16, v1
	s_delay_alu instid0(VALU_DEP_2) | instskip(NEXT) | instid1(VALU_DEP_2)
	v_lshlrev_b32_e32 v41, 16, v41
	v_and_or_b32 v2, 0xffff, v2, v26
	s_delay_alu instid0(VALU_DEP_3) | instskip(NEXT) | instid1(VALU_DEP_3)
	v_and_or_b32 v1, 0xffff, v3, v1
	v_and_or_b32 v3, 0xffff, v4, v41
	;;#ASMSTART
	v_pk_mul_f16 v2, v43, v2;

	;;#ASMEND
	;;#ASMSTART
	v_pk_mul_f16 v1, v42, v1;

	;;#ASMEND
	;; [unrolled: 4-line block ×4, first 2 shown]
	;;#ASMSTART
	v_pk_add_f16 v1, v2, v1;

	;;#ASMEND
	;;#ASMSTART
	v_pk_add_f16 v1, v1, v3;

	;;#ASMEND
	;; [unrolled: 4-line block ×3, first 2 shown]
	v_and_b32_e32 v2, 0xffff, v1
	v_lshrrev_b32_e32 v1, 16, v1
	;;#ASMSTART
	v_cvt_f32_f16 v64, v2;
	;;#ASMEND
	;;#ASMSTART
	v_cvt_f32_f16 v65, v1;
	;;#ASMEND
	global_load_b128 v[2:5], v[24:25], off offset:4608
	s_wait_loadcnt 0x0
	v_dual_lshrrev_b32 v1, 16, v3 :: v_dual_lshrrev_b32 v26, 16, v2
	v_lshrrev_b32_e32 v41, 16, v4
	s_and_saveexec_b32 s19, vcc_lo
	s_cbranch_execz .LBB94_66
; %bb.65:                               ;   in Loop: Header=BB94_45 Depth=1
	v_cmp_gt_i32_e64 s0, s29, v37
	v_and_b32_e32 v66, 0xffff, v5
	v_and_b32_e32 v5, 0xffff0000, v5
	s_delay_alu instid0(VALU_DEP_3) | instskip(SKIP_1) | instid1(VALU_DEP_1)
	v_cndmask_b32_e64 v2, 0, v2, s0
	v_cmp_gt_i32_e64 s0, s29, v39
	v_cndmask_b32_e64 v3, 0, v3, s0
	v_cmp_gt_i32_e64 s0, s16, v40
	s_delay_alu instid0(VALU_DEP_1) | instskip(SKIP_1) | instid1(VALU_DEP_1)
	v_cndmask_b32_e64 v1, 0, v1, s0
	v_cmp_gt_i32_e64 s0, s29, v38
	v_cndmask_b32_e64 v26, 0, v26, s0
	v_cmp_gt_i32_e64 s0, s29, v36
	s_delay_alu instid0(VALU_DEP_1) | instskip(SKIP_1) | instid1(VALU_DEP_1)
	;; [unrolled: 5-line block ×3, first 2 shown]
	v_dual_cndmask_b32 v4, 0, v4, s0 :: v_dual_bitop2_b32 v5, v66, v5 bitop3:0x54
	v_cmp_gt_i32_e64 s0, s29, v33
	v_cndmask_b32_e64 v41, 0, v41, s0
.LBB94_66:                              ;   in Loop: Header=BB94_45 Depth=1
	s_or_b32 exec_lo, exec_lo, s19
	v_dual_lshlrev_b32 v26, 16, v26 :: v_dual_lshlrev_b32 v1, 16, v1
	s_delay_alu instid0(VALU_DEP_2) | instskip(NEXT) | instid1(VALU_DEP_2)
	v_lshlrev_b32_e32 v41, 16, v41
	v_and_or_b32 v2, 0xffff, v2, v26
	s_delay_alu instid0(VALU_DEP_3) | instskip(NEXT) | instid1(VALU_DEP_3)
	v_and_or_b32 v1, 0xffff, v3, v1
	v_and_or_b32 v3, 0xffff, v4, v41
	;;#ASMSTART
	v_pk_mul_f16 v2, v43, v2;

	;;#ASMEND
	;;#ASMSTART
	v_pk_mul_f16 v1, v42, v1;

	;;#ASMEND
	;; [unrolled: 4-line block ×4, first 2 shown]
	;;#ASMSTART
	v_pk_add_f16 v1, v2, v1;

	;;#ASMEND
	;;#ASMSTART
	v_pk_add_f16 v1, v1, v3;

	;;#ASMEND
	;; [unrolled: 4-line block ×3, first 2 shown]
	v_and_b32_e32 v2, 0xffff, v1
	v_lshrrev_b32_e32 v1, 16, v1
	;;#ASMSTART
	v_cvt_f32_f16 v66, v2;
	;;#ASMEND
	;;#ASMSTART
	v_cvt_f32_f16 v67, v1;
	;;#ASMEND
	global_load_b128 v[2:5], v[24:25], off offset:5120
	s_wait_loadcnt 0x0
	v_dual_lshrrev_b32 v1, 16, v3 :: v_dual_lshrrev_b32 v26, 16, v2
	v_lshrrev_b32_e32 v41, 16, v4
	s_and_saveexec_b32 s19, vcc_lo
	s_cbranch_execz .LBB94_68
; %bb.67:                               ;   in Loop: Header=BB94_45 Depth=1
	v_cmp_gt_i32_e64 s0, s29, v37
	v_and_b32_e32 v68, 0xffff, v5
	v_and_b32_e32 v5, 0xffff0000, v5
	s_delay_alu instid0(VALU_DEP_3) | instskip(SKIP_1) | instid1(VALU_DEP_1)
	v_cndmask_b32_e64 v2, 0, v2, s0
	v_cmp_gt_i32_e64 s0, s29, v39
	v_cndmask_b32_e64 v3, 0, v3, s0
	v_cmp_gt_i32_e64 s0, s16, v40
	s_delay_alu instid0(VALU_DEP_1) | instskip(SKIP_1) | instid1(VALU_DEP_1)
	v_cndmask_b32_e64 v1, 0, v1, s0
	v_cmp_gt_i32_e64 s0, s29, v38
	v_cndmask_b32_e64 v26, 0, v26, s0
	v_cmp_gt_i32_e64 s0, s29, v36
	s_delay_alu instid0(VALU_DEP_1) | instskip(SKIP_1) | instid1(VALU_DEP_1)
	;; [unrolled: 5-line block ×3, first 2 shown]
	v_dual_cndmask_b32 v4, 0, v4, s0 :: v_dual_bitop2_b32 v5, v68, v5 bitop3:0x54
	v_cmp_gt_i32_e64 s0, s29, v33
	v_cndmask_b32_e64 v41, 0, v41, s0
.LBB94_68:                              ;   in Loop: Header=BB94_45 Depth=1
	s_or_b32 exec_lo, exec_lo, s19
	v_dual_lshlrev_b32 v26, 16, v26 :: v_dual_lshlrev_b32 v1, 16, v1
	s_delay_alu instid0(VALU_DEP_2) | instskip(NEXT) | instid1(VALU_DEP_2)
	v_lshlrev_b32_e32 v41, 16, v41
	v_and_or_b32 v2, 0xffff, v2, v26
	s_delay_alu instid0(VALU_DEP_3) | instskip(NEXT) | instid1(VALU_DEP_3)
	v_and_or_b32 v1, 0xffff, v3, v1
	v_and_or_b32 v3, 0xffff, v4, v41
	;;#ASMSTART
	v_pk_mul_f16 v2, v43, v2;

	;;#ASMEND
	;;#ASMSTART
	v_pk_mul_f16 v1, v42, v1;

	;;#ASMEND
	;; [unrolled: 4-line block ×4, first 2 shown]
	;;#ASMSTART
	v_pk_add_f16 v1, v2, v1;

	;;#ASMEND
	;;#ASMSTART
	v_pk_add_f16 v1, v1, v3;

	;;#ASMEND
	;; [unrolled: 4-line block ×3, first 2 shown]
	v_and_b32_e32 v2, 0xffff, v1
	v_lshrrev_b32_e32 v1, 16, v1
	;;#ASMSTART
	v_cvt_f32_f16 v68, v2;
	;;#ASMEND
	;;#ASMSTART
	v_cvt_f32_f16 v69, v1;
	;;#ASMEND
	global_load_b128 v[2:5], v[24:25], off offset:5632
	s_wait_loadcnt 0x0
	v_dual_lshrrev_b32 v1, 16, v3 :: v_dual_lshrrev_b32 v26, 16, v2
	v_lshrrev_b32_e32 v41, 16, v4
	s_and_saveexec_b32 s19, vcc_lo
	s_cbranch_execz .LBB94_70
; %bb.69:                               ;   in Loop: Header=BB94_45 Depth=1
	v_cmp_gt_i32_e64 s0, s29, v37
	v_and_b32_e32 v70, 0xffff, v5
	v_and_b32_e32 v5, 0xffff0000, v5
	s_delay_alu instid0(VALU_DEP_3) | instskip(SKIP_1) | instid1(VALU_DEP_1)
	v_cndmask_b32_e64 v2, 0, v2, s0
	v_cmp_gt_i32_e64 s0, s29, v39
	v_cndmask_b32_e64 v3, 0, v3, s0
	v_cmp_gt_i32_e64 s0, s16, v40
	s_delay_alu instid0(VALU_DEP_1) | instskip(SKIP_1) | instid1(VALU_DEP_1)
	v_cndmask_b32_e64 v1, 0, v1, s0
	v_cmp_gt_i32_e64 s0, s29, v38
	v_cndmask_b32_e64 v26, 0, v26, s0
	v_cmp_gt_i32_e64 s0, s29, v36
	s_delay_alu instid0(VALU_DEP_1) | instskip(SKIP_1) | instid1(VALU_DEP_1)
	;; [unrolled: 5-line block ×3, first 2 shown]
	v_dual_cndmask_b32 v4, 0, v4, s0 :: v_dual_bitop2_b32 v5, v70, v5 bitop3:0x54
	v_cmp_gt_i32_e64 s0, s29, v33
	v_cndmask_b32_e64 v41, 0, v41, s0
.LBB94_70:                              ;   in Loop: Header=BB94_45 Depth=1
	s_or_b32 exec_lo, exec_lo, s19
	v_dual_lshlrev_b32 v26, 16, v26 :: v_dual_lshlrev_b32 v1, 16, v1
	s_delay_alu instid0(VALU_DEP_2) | instskip(NEXT) | instid1(VALU_DEP_2)
	v_lshlrev_b32_e32 v41, 16, v41
	v_and_or_b32 v2, 0xffff, v2, v26
	s_delay_alu instid0(VALU_DEP_3) | instskip(NEXT) | instid1(VALU_DEP_3)
	v_and_or_b32 v1, 0xffff, v3, v1
	v_and_or_b32 v3, 0xffff, v4, v41
	;;#ASMSTART
	v_pk_mul_f16 v2, v43, v2;

	;;#ASMEND
	;;#ASMSTART
	v_pk_mul_f16 v1, v42, v1;

	;;#ASMEND
	;; [unrolled: 4-line block ×4, first 2 shown]
	;;#ASMSTART
	v_pk_add_f16 v1, v2, v1;

	;;#ASMEND
	;;#ASMSTART
	v_pk_add_f16 v1, v1, v3;

	;;#ASMEND
	;; [unrolled: 4-line block ×3, first 2 shown]
	v_and_b32_e32 v2, 0xffff, v1
	v_lshrrev_b32_e32 v1, 16, v1
	;;#ASMSTART
	v_cvt_f32_f16 v70, v2;
	;;#ASMEND
	;;#ASMSTART
	v_cvt_f32_f16 v71, v1;
	;;#ASMEND
	global_load_b128 v[2:5], v[24:25], off offset:6144
	s_wait_loadcnt 0x0
	v_dual_lshrrev_b32 v1, 16, v3 :: v_dual_lshrrev_b32 v26, 16, v2
	v_lshrrev_b32_e32 v41, 16, v4
	s_and_saveexec_b32 s19, vcc_lo
	s_cbranch_execz .LBB94_72
; %bb.71:                               ;   in Loop: Header=BB94_45 Depth=1
	v_cmp_gt_i32_e64 s0, s29, v37
	v_and_b32_e32 v74, 0xffff, v5
	v_and_b32_e32 v5, 0xffff0000, v5
	s_delay_alu instid0(VALU_DEP_3) | instskip(SKIP_1) | instid1(VALU_DEP_1)
	v_cndmask_b32_e64 v2, 0, v2, s0
	v_cmp_gt_i32_e64 s0, s29, v39
	v_cndmask_b32_e64 v3, 0, v3, s0
	v_cmp_gt_i32_e64 s0, s16, v40
	s_delay_alu instid0(VALU_DEP_1) | instskip(SKIP_1) | instid1(VALU_DEP_1)
	v_cndmask_b32_e64 v1, 0, v1, s0
	v_cmp_gt_i32_e64 s0, s29, v38
	v_cndmask_b32_e64 v26, 0, v26, s0
	v_cmp_gt_i32_e64 s0, s29, v36
	s_delay_alu instid0(VALU_DEP_1) | instskip(SKIP_1) | instid1(VALU_DEP_1)
	;; [unrolled: 5-line block ×3, first 2 shown]
	v_dual_cndmask_b32 v4, 0, v4, s0 :: v_dual_bitop2_b32 v5, v74, v5 bitop3:0x54
	v_cmp_gt_i32_e64 s0, s29, v33
	v_cndmask_b32_e64 v41, 0, v41, s0
.LBB94_72:                              ;   in Loop: Header=BB94_45 Depth=1
	s_or_b32 exec_lo, exec_lo, s19
	v_dual_lshlrev_b32 v26, 16, v26 :: v_dual_lshlrev_b32 v1, 16, v1
	s_delay_alu instid0(VALU_DEP_2) | instskip(NEXT) | instid1(VALU_DEP_2)
	v_lshlrev_b32_e32 v41, 16, v41
	v_and_or_b32 v2, 0xffff, v2, v26
	s_delay_alu instid0(VALU_DEP_3) | instskip(NEXT) | instid1(VALU_DEP_3)
	v_and_or_b32 v1, 0xffff, v3, v1
	v_and_or_b32 v3, 0xffff, v4, v41
	;;#ASMSTART
	v_pk_mul_f16 v2, v43, v2;

	;;#ASMEND
	;;#ASMSTART
	v_pk_mul_f16 v1, v42, v1;

	;;#ASMEND
	;; [unrolled: 4-line block ×4, first 2 shown]
	;;#ASMSTART
	v_pk_add_f16 v1, v2, v1;

	;;#ASMEND
	;;#ASMSTART
	v_pk_add_f16 v1, v1, v3;

	;;#ASMEND
	;; [unrolled: 4-line block ×3, first 2 shown]
	v_and_b32_e32 v2, 0xffff, v1
	v_lshrrev_b32_e32 v1, 16, v1
	;;#ASMSTART
	v_cvt_f32_f16 v26, v2;
	;;#ASMEND
	;;#ASMSTART
	v_cvt_f32_f16 v41, v1;
	;;#ASMEND
	global_load_b128 v[2:5], v[24:25], off offset:6656
	s_wait_loadcnt 0x0
	v_dual_lshrrev_b32 v1, 16, v3 :: v_dual_lshrrev_b32 v24, 16, v2
	v_lshrrev_b32_e32 v25, 16, v4
	s_and_saveexec_b32 s0, vcc_lo
	s_cbranch_execz .LBB94_43
; %bb.73:                               ;   in Loop: Header=BB94_45 Depth=1
	v_cmp_gt_i32_e32 vcc_lo, s29, v37
	v_and_b32_e32 v37, 0xffff, v5
	v_and_b32_e32 v5, 0xffff0000, v5
	v_cndmask_b32_e32 v2, 0, v2, vcc_lo
	v_cmp_gt_i32_e32 vcc_lo, s29, v39
	v_cndmask_b32_e32 v3, 0, v3, vcc_lo
	v_cmp_gt_i32_e32 vcc_lo, s16, v40
	v_cndmask_b32_e32 v1, 0, v1, vcc_lo
	v_cmp_gt_i32_e32 vcc_lo, s29, v38
	v_cndmask_b32_e32 v24, 0, v24, vcc_lo
	v_cmp_gt_i32_e32 vcc_lo, s29, v36
	v_cndmask_b32_e32 v36, 0, v37, vcc_lo
	v_cmp_gt_i32_e32 vcc_lo, s29, v35
	v_cndmask_b32_e32 v5, 0, v5, vcc_lo
	v_cmp_gt_i32_e32 vcc_lo, s29, v34
	v_cndmask_b32_e32 v4, 0, v4, vcc_lo
	v_cmp_gt_i32_e32 vcc_lo, s29, v33
	s_delay_alu instid0(VALU_DEP_4)
	v_or_b32_e32 v5, v36, v5
	v_cndmask_b32_e32 v25, 0, v25, vcc_lo
	s_branch .LBB94_43
.LBB94_74:
	s_or_b32 exec_lo, exec_lo, s17
.LBB94_75:
	s_delay_alu instid0(SALU_CYCLE_1)
	s_or_b32 exec_lo, exec_lo, s1
	ds_bpermute_b32 v2, v28, v18
	ds_bpermute_b32 v3, v28, v19
	;; [unrolled: 1-line block ×14, first 2 shown]
	v_and_b32_e32 v1, 28, v73
	v_and_b32_e32 v26, 0x3c3, v0
	s_mov_b32 s0, exec_lo
	s_wait_dscnt 0x0
	s_barrier_signal -1
	s_barrier_wait -1
	v_pk_add_f32 v[2:3], v[18:19], v[2:3]
	v_pk_add_f32 v[4:5], v[16:17], v[4:5]
	;; [unrolled: 1-line block ×5, first 2 shown]
	ds_bpermute_b32 v10, v27, v4
	v_pk_add_f32 v[24:25], v[8:9], v[30:31]
	ds_bpermute_b32 v8, v27, v2
	ds_bpermute_b32 v9, v27, v3
	;; [unrolled: 1-line block ×10, first 2 shown]
	v_pk_add_f32 v[14:15], v[6:7], v[32:33]
	ds_bpermute_b32 v39, v27, v25
	ds_bpermute_b32 v16, v27, v14
	;; [unrolled: 1-line block ×3, first 2 shown]
	s_wait_dscnt 0xb
	v_pk_add_f32 v[12:13], v[2:3], v[8:9]
	s_wait_dscnt 0xa
	v_pk_add_f32 v[10:11], v[4:5], v[10:11]
	;; [unrolled: 2-line block ×6, first 2 shown]
	v_cmpx_ne_u32_e32 64, v26
	s_xor_b32 s0, exec_lo, s0
	s_delay_alu instid0(SALU_CYCLE_1)
	s_or_saveexec_b32 s0, s0
	s_wait_dscnt 0x0
	v_pk_add_f32 v[14:15], v[14:15], v[16:17]
	v_lshrrev_b32_e32 v17, 2, v73
	v_add_nc_u32_e32 v16, 0x100, v1
	v_mul_u32_u24_e32 v1, 0x1c0, v72
	s_xor_b32 exec_lo, exec_lo, s0
	s_cbranch_execz .LBB94_77
; %bb.76:
	s_delay_alu instid0(VALU_DEP_1) | instskip(NEXT) | instid1(VALU_DEP_1)
	v_add_nc_u32_e32 v18, v16, v1
	v_add_nc_u32_e32 v19, 0xfffffc80, v18
	;; [unrolled: 1-line block ×9, first 2 shown]
	ds_store_b32 v19, v12
	ds_store_b32 v20, v13
	;; [unrolled: 1-line block ×8, first 2 shown]
	v_add_nc_u32_e32 v19, 0xfffffd80, v18
	v_add_nc_u32_e32 v20, 0xfffffda0, v18
	;; [unrolled: 1-line block ×6, first 2 shown]
	ds_store_b32 v19, v4
	ds_store_b32 v20, v5
	;; [unrolled: 1-line block ×6, first 2 shown]
.LBB94_77:
	s_or_b32 exec_lo, exec_lo, s0
	v_lshlrev_b32_e32 v17, 2, v17
	s_mov_b32 s1, exec_lo
	v_cmp_eq_u32_e32 vcc_lo, 0, v29
	s_wait_dscnt 0x0
	s_barrier_signal -1
	v_add3_u32 v1, 0x100, v1, v17
	s_barrier_wait -1
	v_cmpx_gt_u32_e32 64, v0
	s_cbranch_execz .LBB94_94
; %bb.78:
	s_and_saveexec_b32 s0, vcc_lo
	s_cbranch_execnz .LBB94_116
; %bb.79:
	s_or_b32 exec_lo, exec_lo, s0
	s_and_saveexec_b32 s0, vcc_lo
	s_cbranch_execnz .LBB94_117
.LBB94_80:
	s_or_b32 exec_lo, exec_lo, s0
	s_and_saveexec_b32 s0, vcc_lo
	s_cbranch_execnz .LBB94_118
.LBB94_81:
	s_or_b32 exec_lo, exec_lo, s0
	s_and_saveexec_b32 s0, vcc_lo
	s_cbranch_execnz .LBB94_119
.LBB94_82:
	s_or_b32 exec_lo, exec_lo, s0
	s_and_saveexec_b32 s0, vcc_lo
	s_cbranch_execnz .LBB94_120
.LBB94_83:
	s_or_b32 exec_lo, exec_lo, s0
	s_and_saveexec_b32 s0, vcc_lo
	s_cbranch_execnz .LBB94_121
.LBB94_84:
	s_or_b32 exec_lo, exec_lo, s0
	s_and_saveexec_b32 s0, vcc_lo
	s_cbranch_execnz .LBB94_122
.LBB94_85:
	s_or_b32 exec_lo, exec_lo, s0
	s_and_saveexec_b32 s0, vcc_lo
	s_cbranch_execnz .LBB94_123
.LBB94_86:
	s_or_b32 exec_lo, exec_lo, s0
	s_and_saveexec_b32 s0, vcc_lo
	s_cbranch_execnz .LBB94_124
.LBB94_87:
	s_or_b32 exec_lo, exec_lo, s0
	s_and_saveexec_b32 s0, vcc_lo
	s_cbranch_execnz .LBB94_125
.LBB94_88:
	s_or_b32 exec_lo, exec_lo, s0
	s_and_saveexec_b32 s0, vcc_lo
	s_cbranch_execnz .LBB94_126
.LBB94_89:
	s_or_b32 exec_lo, exec_lo, s0
	s_and_saveexec_b32 s0, vcc_lo
	s_cbranch_execnz .LBB94_127
.LBB94_90:
	s_or_b32 exec_lo, exec_lo, s0
	s_and_saveexec_b32 s0, vcc_lo
	s_cbranch_execnz .LBB94_128
.LBB94_91:
	s_or_b32 exec_lo, exec_lo, s0
	s_and_saveexec_b32 s0, vcc_lo
	s_cbranch_execz .LBB94_93
.LBB94_92:
	ds_load_b32 v17, v1 offset:416
	s_wait_dscnt 0x0
	v_add_f32_e32 v15, v15, v17
.LBB94_93:
	s_or_b32 exec_lo, exec_lo, s0
.LBB94_94:
	s_delay_alu instid0(SALU_CYCLE_1) | instskip(SKIP_4) | instid1(VALU_DEP_1)
	s_or_b32 exec_lo, exec_lo, s1
	v_and_b32_e32 v17, 0x3e3, v0
	s_mov_b32 s1, exec_lo
	s_barrier_signal -1
	s_barrier_wait -1
	v_cmpx_eq_u32_e32 32, v17
	s_cbranch_execz .LBB94_96
; %bb.95:
	ds_store_2addr_b32 v16, v12, v13 offset1:8
	ds_store_2addr_b32 v16, v10, v11 offset0:16 offset1:24
	ds_store_2addr_b32 v16, v8, v9 offset0:32 offset1:40
	;; [unrolled: 1-line block ×6, first 2 shown]
.LBB94_96:
	s_or_b32 exec_lo, exec_lo, s1
	s_delay_alu instid0(SALU_CYCLE_1)
	s_mov_b32 s1, exec_lo
	s_wait_dscnt 0x0
	s_barrier_signal -1
	s_barrier_wait -1
	v_cmpx_gt_u32_e32 32, v0
	s_cbranch_execz .LBB94_113
; %bb.97:
	s_and_saveexec_b32 s0, vcc_lo
	s_cbranch_execnz .LBB94_129
; %bb.98:
	s_or_b32 exec_lo, exec_lo, s0
	s_and_saveexec_b32 s0, vcc_lo
	s_cbranch_execnz .LBB94_130
.LBB94_99:
	s_or_b32 exec_lo, exec_lo, s0
	s_and_saveexec_b32 s0, vcc_lo
	s_cbranch_execnz .LBB94_131
.LBB94_100:
	s_or_b32 exec_lo, exec_lo, s0
	s_and_saveexec_b32 s0, vcc_lo
	s_cbranch_execnz .LBB94_132
.LBB94_101:
	s_or_b32 exec_lo, exec_lo, s0
	s_and_saveexec_b32 s0, vcc_lo
	s_cbranch_execnz .LBB94_133
.LBB94_102:
	s_or_b32 exec_lo, exec_lo, s0
	s_and_saveexec_b32 s0, vcc_lo
	s_cbranch_execnz .LBB94_134
.LBB94_103:
	s_or_b32 exec_lo, exec_lo, s0
	s_and_saveexec_b32 s0, vcc_lo
	s_cbranch_execnz .LBB94_135
.LBB94_104:
	s_or_b32 exec_lo, exec_lo, s0
	s_and_saveexec_b32 s0, vcc_lo
	s_cbranch_execnz .LBB94_136
.LBB94_105:
	s_or_b32 exec_lo, exec_lo, s0
	s_and_saveexec_b32 s0, vcc_lo
	s_cbranch_execnz .LBB94_137
.LBB94_106:
	s_or_b32 exec_lo, exec_lo, s0
	s_and_saveexec_b32 s0, vcc_lo
	s_cbranch_execnz .LBB94_138
.LBB94_107:
	s_or_b32 exec_lo, exec_lo, s0
	s_and_saveexec_b32 s0, vcc_lo
	s_cbranch_execnz .LBB94_139
.LBB94_108:
	s_or_b32 exec_lo, exec_lo, s0
	s_and_saveexec_b32 s0, vcc_lo
	s_cbranch_execnz .LBB94_140
.LBB94_109:
	s_or_b32 exec_lo, exec_lo, s0
	s_and_saveexec_b32 s0, vcc_lo
	s_cbranch_execnz .LBB94_141
.LBB94_110:
	s_or_b32 exec_lo, exec_lo, s0
	s_and_saveexec_b32 s0, vcc_lo
	s_cbranch_execz .LBB94_112
.LBB94_111:
	ds_load_b32 v1, v1 offset:416
	s_wait_dscnt 0x0
	v_add_f32_e32 v15, v15, v1
.LBB94_112:
	s_or_b32 exec_lo, exec_lo, s0
.LBB94_113:
	s_delay_alu instid0(SALU_CYCLE_1)
	s_or_b32 exec_lo, exec_lo, s1
	s_mov_b32 s1, 0
	s_barrier_signal -1
	s_barrier_wait -1
	s_mov_b32 s0, exec_lo
	v_cmpx_eq_u32_e32 0, v17
	s_cbranch_execz .LBB94_115
; %bb.114:
	s_mul_i32 s0, s28, s7
	s_mul_i32 s2, s7, s12
	;; [unrolled: 1-line block ×3, first 2 shown]
	s_lshr_b32 s6, ttmp7, 16
	s_mul_i32 s4, s0, 0x70
	s_bfe_u32 s0, ttmp6, 0x40014
	s_ashr_i32 s5, s4, 31
	s_add_co_i32 s0, s0, 1
	s_ashr_i32 s3, s2, 31
	s_mul_i32 s0, s6, s0
	s_bfe_u32 s7, ttmp6, 0x40008
	s_lshl_b64 s[4:5], s[4:5], 1
	s_lshl_b64 s[2:3], s[2:3], 1
	s_add_co_i32 s7, s7, s0
	s_cmp_eq_u32 s26, 0
	s_wait_kmcnt 0x0
	s_add_nc_u64 s[4:5], s[10:11], s[4:5]
	s_cselect_b32 s0, s6, s7
	v_lshrrev_b32_e32 v0, 1, v0
	s_add_nc_u64 s[2:3], s[4:5], s[2:3]
	s_mulk_i32 s0, 0xe0
	;;#ASMSTART
	v_cvt_f16_f32 v1, v12;

	;;#ASMEND
	s_add_nc_u64 s[0:1], s[2:3], s[0:1]
	global_store_b16 v0, v1, s[0:1]
	s_wait_xcnt 0x0
	;;#ASMSTART
	v_cvt_f16_f32 v1, v13;

	;;#ASMEND
	global_store_b16 v0, v1, s[0:1] offset:16
	s_wait_xcnt 0x0
	;;#ASMSTART
	v_cvt_f16_f32 v1, v10;

	;;#ASMEND
	global_store_b16 v0, v1, s[0:1] offset:32
	;; [unrolled: 6-line block ×13, first 2 shown]
.LBB94_115:
	s_sendmsg sendmsg(MSG_DEALLOC_VGPRS)
	s_endpgm
.LBB94_116:
	ds_load_b32 v17, v1
	s_wait_dscnt 0x0
	v_add_f32_e32 v12, v12, v17
	s_or_b32 exec_lo, exec_lo, s0
	s_and_saveexec_b32 s0, vcc_lo
	s_cbranch_execz .LBB94_80
.LBB94_117:
	ds_load_b32 v17, v1 offset:32
	s_wait_dscnt 0x0
	v_add_f32_e32 v13, v13, v17
	s_or_b32 exec_lo, exec_lo, s0
	s_and_saveexec_b32 s0, vcc_lo
	s_cbranch_execz .LBB94_81
.LBB94_118:
	ds_load_b32 v17, v1 offset:64
	s_wait_dscnt 0x0
	v_add_f32_e32 v10, v10, v17
	s_or_b32 exec_lo, exec_lo, s0
	s_and_saveexec_b32 s0, vcc_lo
	s_cbranch_execz .LBB94_82
.LBB94_119:
	ds_load_b32 v17, v1 offset:96
	s_wait_dscnt 0x0
	v_add_f32_e32 v11, v11, v17
	s_or_b32 exec_lo, exec_lo, s0
	s_and_saveexec_b32 s0, vcc_lo
	s_cbranch_execz .LBB94_83
.LBB94_120:
	ds_load_b32 v17, v1 offset:128
	s_wait_dscnt 0x0
	v_add_f32_e32 v8, v8, v17
	s_or_b32 exec_lo, exec_lo, s0
	s_and_saveexec_b32 s0, vcc_lo
	s_cbranch_execz .LBB94_84
.LBB94_121:
	ds_load_b32 v17, v1 offset:160
	s_wait_dscnt 0x0
	v_add_f32_e32 v9, v9, v17
	s_or_b32 exec_lo, exec_lo, s0
	s_and_saveexec_b32 s0, vcc_lo
	s_cbranch_execz .LBB94_85
.LBB94_122:
	ds_load_b32 v17, v1 offset:192
	s_wait_dscnt 0x0
	v_add_f32_e32 v6, v6, v17
	s_or_b32 exec_lo, exec_lo, s0
	s_and_saveexec_b32 s0, vcc_lo
	s_cbranch_execz .LBB94_86
.LBB94_123:
	ds_load_b32 v17, v1 offset:224
	s_wait_dscnt 0x0
	v_add_f32_e32 v7, v7, v17
	s_or_b32 exec_lo, exec_lo, s0
	s_and_saveexec_b32 s0, vcc_lo
	s_cbranch_execz .LBB94_87
.LBB94_124:
	ds_load_b32 v17, v1 offset:256
	s_wait_dscnt 0x0
	v_add_f32_e32 v4, v4, v17
	s_or_b32 exec_lo, exec_lo, s0
	s_and_saveexec_b32 s0, vcc_lo
	s_cbranch_execz .LBB94_88
.LBB94_125:
	ds_load_b32 v17, v1 offset:288
	s_wait_dscnt 0x0
	v_add_f32_e32 v5, v5, v17
	s_or_b32 exec_lo, exec_lo, s0
	s_and_saveexec_b32 s0, vcc_lo
	s_cbranch_execz .LBB94_89
.LBB94_126:
	ds_load_b32 v17, v1 offset:320
	s_wait_dscnt 0x0
	v_add_f32_e32 v2, v2, v17
	s_or_b32 exec_lo, exec_lo, s0
	s_and_saveexec_b32 s0, vcc_lo
	s_cbranch_execz .LBB94_90
.LBB94_127:
	ds_load_b32 v17, v1 offset:352
	s_wait_dscnt 0x0
	v_add_f32_e32 v3, v3, v17
	s_or_b32 exec_lo, exec_lo, s0
	s_and_saveexec_b32 s0, vcc_lo
	s_cbranch_execz .LBB94_91
.LBB94_128:
	ds_load_b32 v17, v1 offset:384
	s_wait_dscnt 0x0
	v_add_f32_e32 v14, v14, v17
	s_or_b32 exec_lo, exec_lo, s0
	s_and_saveexec_b32 s0, vcc_lo
	s_cbranch_execnz .LBB94_92
	s_branch .LBB94_93
.LBB94_129:
	ds_load_b32 v16, v1
	s_wait_dscnt 0x0
	v_add_f32_e32 v12, v12, v16
	s_or_b32 exec_lo, exec_lo, s0
	s_and_saveexec_b32 s0, vcc_lo
	s_cbranch_execz .LBB94_99
.LBB94_130:
	ds_load_b32 v16, v1 offset:32
	s_wait_dscnt 0x0
	v_add_f32_e32 v13, v13, v16
	s_or_b32 exec_lo, exec_lo, s0
	s_and_saveexec_b32 s0, vcc_lo
	s_cbranch_execz .LBB94_100
.LBB94_131:
	ds_load_b32 v16, v1 offset:64
	s_wait_dscnt 0x0
	v_add_f32_e32 v10, v10, v16
	s_or_b32 exec_lo, exec_lo, s0
	s_and_saveexec_b32 s0, vcc_lo
	s_cbranch_execz .LBB94_101
.LBB94_132:
	ds_load_b32 v16, v1 offset:96
	s_wait_dscnt 0x0
	v_add_f32_e32 v11, v11, v16
	s_or_b32 exec_lo, exec_lo, s0
	s_and_saveexec_b32 s0, vcc_lo
	s_cbranch_execz .LBB94_102
.LBB94_133:
	ds_load_b32 v16, v1 offset:128
	s_wait_dscnt 0x0
	v_add_f32_e32 v8, v8, v16
	s_or_b32 exec_lo, exec_lo, s0
	s_and_saveexec_b32 s0, vcc_lo
	s_cbranch_execz .LBB94_103
.LBB94_134:
	ds_load_b32 v16, v1 offset:160
	s_wait_dscnt 0x0
	v_add_f32_e32 v9, v9, v16
	s_or_b32 exec_lo, exec_lo, s0
	s_and_saveexec_b32 s0, vcc_lo
	s_cbranch_execz .LBB94_104
.LBB94_135:
	ds_load_b32 v16, v1 offset:192
	s_wait_dscnt 0x0
	v_add_f32_e32 v6, v6, v16
	s_or_b32 exec_lo, exec_lo, s0
	s_and_saveexec_b32 s0, vcc_lo
	s_cbranch_execz .LBB94_105
.LBB94_136:
	ds_load_b32 v16, v1 offset:224
	s_wait_dscnt 0x0
	v_add_f32_e32 v7, v7, v16
	s_or_b32 exec_lo, exec_lo, s0
	s_and_saveexec_b32 s0, vcc_lo
	s_cbranch_execz .LBB94_106
.LBB94_137:
	ds_load_b32 v16, v1 offset:256
	s_wait_dscnt 0x0
	v_add_f32_e32 v4, v4, v16
	s_or_b32 exec_lo, exec_lo, s0
	s_and_saveexec_b32 s0, vcc_lo
	s_cbranch_execz .LBB94_107
.LBB94_138:
	ds_load_b32 v16, v1 offset:288
	s_wait_dscnt 0x0
	v_add_f32_e32 v5, v5, v16
	s_or_b32 exec_lo, exec_lo, s0
	s_and_saveexec_b32 s0, vcc_lo
	s_cbranch_execz .LBB94_108
.LBB94_139:
	ds_load_b32 v16, v1 offset:320
	s_wait_dscnt 0x0
	v_add_f32_e32 v2, v2, v16
	s_or_b32 exec_lo, exec_lo, s0
	s_and_saveexec_b32 s0, vcc_lo
	s_cbranch_execz .LBB94_109
.LBB94_140:
	ds_load_b32 v16, v1 offset:352
	s_wait_dscnt 0x0
	v_add_f32_e32 v3, v3, v16
	s_or_b32 exec_lo, exec_lo, s0
	s_and_saveexec_b32 s0, vcc_lo
	s_cbranch_execz .LBB94_110
.LBB94_141:
	ds_load_b32 v16, v1 offset:384
	s_wait_dscnt 0x0
	v_add_f32_e32 v14, v14, v16
	s_or_b32 exec_lo, exec_lo, s0
	s_and_saveexec_b32 s0, vcc_lo
	s_cbranch_execnz .LBB94_111
	s_branch .LBB94_112
	.section	.rodata,"a",@progbits
	.p2align	6, 0x0
	.amdhsa_kernel _ZN4vllm25paged_attention_v1_kernelIttLi112ELi32ELi128ELNS_18Fp8KVCacheDataTypeE0ELb1EEEvPT_PKS2_PKT0_S8_ifPKiSA_iPKfiiiSC_SC_iiiii
		.amdhsa_group_segment_fixed_size 256
		.amdhsa_private_segment_fixed_size 0
		.amdhsa_kernarg_size 384
		.amdhsa_user_sgpr_count 2
		.amdhsa_user_sgpr_dispatch_ptr 0
		.amdhsa_user_sgpr_queue_ptr 0
		.amdhsa_user_sgpr_kernarg_segment_ptr 1
		.amdhsa_user_sgpr_dispatch_id 0
		.amdhsa_user_sgpr_kernarg_preload_length 0
		.amdhsa_user_sgpr_kernarg_preload_offset 0
		.amdhsa_user_sgpr_private_segment_size 0
		.amdhsa_wavefront_size32 1
		.amdhsa_uses_dynamic_stack 0
		.amdhsa_enable_private_segment 0
		.amdhsa_system_sgpr_workgroup_id_x 1
		.amdhsa_system_sgpr_workgroup_id_y 1
		.amdhsa_system_sgpr_workgroup_id_z 1
		.amdhsa_system_sgpr_workgroup_info 0
		.amdhsa_system_vgpr_workitem_id 0
		.amdhsa_next_free_vgpr 114
		.amdhsa_next_free_sgpr 38
		.amdhsa_named_barrier_count 0
		.amdhsa_reserve_vcc 1
		.amdhsa_float_round_mode_32 0
		.amdhsa_float_round_mode_16_64 0
		.amdhsa_float_denorm_mode_32 3
		.amdhsa_float_denorm_mode_16_64 3
		.amdhsa_fp16_overflow 0
		.amdhsa_memory_ordered 1
		.amdhsa_forward_progress 1
		.amdhsa_inst_pref_size 98
		.amdhsa_round_robin_scheduling 0
		.amdhsa_exception_fp_ieee_invalid_op 0
		.amdhsa_exception_fp_denorm_src 0
		.amdhsa_exception_fp_ieee_div_zero 0
		.amdhsa_exception_fp_ieee_overflow 0
		.amdhsa_exception_fp_ieee_underflow 0
		.amdhsa_exception_fp_ieee_inexact 0
		.amdhsa_exception_int_div_zero 0
	.end_amdhsa_kernel
	.section	.text._ZN4vllm25paged_attention_v1_kernelIttLi112ELi32ELi128ELNS_18Fp8KVCacheDataTypeE0ELb1EEEvPT_PKS2_PKT0_S8_ifPKiSA_iPKfiiiSC_SC_iiiii,"axG",@progbits,_ZN4vllm25paged_attention_v1_kernelIttLi112ELi32ELi128ELNS_18Fp8KVCacheDataTypeE0ELb1EEEvPT_PKS2_PKT0_S8_ifPKiSA_iPKfiiiSC_SC_iiiii,comdat
.Lfunc_end94:
	.size	_ZN4vllm25paged_attention_v1_kernelIttLi112ELi32ELi128ELNS_18Fp8KVCacheDataTypeE0ELb1EEEvPT_PKS2_PKT0_S8_ifPKiSA_iPKfiiiSC_SC_iiiii, .Lfunc_end94-_ZN4vllm25paged_attention_v1_kernelIttLi112ELi32ELi128ELNS_18Fp8KVCacheDataTypeE0ELb1EEEvPT_PKS2_PKT0_S8_ifPKiSA_iPKfiiiSC_SC_iiiii
                                        ; -- End function
	.set _ZN4vllm25paged_attention_v1_kernelIttLi112ELi32ELi128ELNS_18Fp8KVCacheDataTypeE0ELb1EEEvPT_PKS2_PKT0_S8_ifPKiSA_iPKfiiiSC_SC_iiiii.num_vgpr, 114
	.set _ZN4vllm25paged_attention_v1_kernelIttLi112ELi32ELi128ELNS_18Fp8KVCacheDataTypeE0ELb1EEEvPT_PKS2_PKT0_S8_ifPKiSA_iPKfiiiSC_SC_iiiii.num_agpr, 0
	.set _ZN4vllm25paged_attention_v1_kernelIttLi112ELi32ELi128ELNS_18Fp8KVCacheDataTypeE0ELb1EEEvPT_PKS2_PKT0_S8_ifPKiSA_iPKfiiiSC_SC_iiiii.numbered_sgpr, 38
	.set _ZN4vllm25paged_attention_v1_kernelIttLi112ELi32ELi128ELNS_18Fp8KVCacheDataTypeE0ELb1EEEvPT_PKS2_PKT0_S8_ifPKiSA_iPKfiiiSC_SC_iiiii.num_named_barrier, 0
	.set _ZN4vllm25paged_attention_v1_kernelIttLi112ELi32ELi128ELNS_18Fp8KVCacheDataTypeE0ELb1EEEvPT_PKS2_PKT0_S8_ifPKiSA_iPKfiiiSC_SC_iiiii.private_seg_size, 0
	.set _ZN4vllm25paged_attention_v1_kernelIttLi112ELi32ELi128ELNS_18Fp8KVCacheDataTypeE0ELb1EEEvPT_PKS2_PKT0_S8_ifPKiSA_iPKfiiiSC_SC_iiiii.uses_vcc, 1
	.set _ZN4vllm25paged_attention_v1_kernelIttLi112ELi32ELi128ELNS_18Fp8KVCacheDataTypeE0ELb1EEEvPT_PKS2_PKT0_S8_ifPKiSA_iPKfiiiSC_SC_iiiii.uses_flat_scratch, 0
	.set _ZN4vllm25paged_attention_v1_kernelIttLi112ELi32ELi128ELNS_18Fp8KVCacheDataTypeE0ELb1EEEvPT_PKS2_PKT0_S8_ifPKiSA_iPKfiiiSC_SC_iiiii.has_dyn_sized_stack, 0
	.set _ZN4vllm25paged_attention_v1_kernelIttLi112ELi32ELi128ELNS_18Fp8KVCacheDataTypeE0ELb1EEEvPT_PKS2_PKT0_S8_ifPKiSA_iPKfiiiSC_SC_iiiii.has_recursion, 0
	.set _ZN4vllm25paged_attention_v1_kernelIttLi112ELi32ELi128ELNS_18Fp8KVCacheDataTypeE0ELb1EEEvPT_PKS2_PKT0_S8_ifPKiSA_iPKfiiiSC_SC_iiiii.has_indirect_call, 0
	.section	.AMDGPU.csdata,"",@progbits
; Kernel info:
; codeLenInByte = 12432
; TotalNumSgprs: 40
; NumVgprs: 114
; ScratchSize: 0
; MemoryBound: 0
; FloatMode: 240
; IeeeMode: 1
; LDSByteSize: 256 bytes/workgroup (compile time only)
; SGPRBlocks: 0
; VGPRBlocks: 7
; NumSGPRsForWavesPerEU: 40
; NumVGPRsForWavesPerEU: 114
; NamedBarCnt: 0
; Occupancy: 8
; WaveLimiterHint : 1
; COMPUTE_PGM_RSRC2:SCRATCH_EN: 0
; COMPUTE_PGM_RSRC2:USER_SGPR: 2
; COMPUTE_PGM_RSRC2:TRAP_HANDLER: 0
; COMPUTE_PGM_RSRC2:TGID_X_EN: 1
; COMPUTE_PGM_RSRC2:TGID_Y_EN: 1
; COMPUTE_PGM_RSRC2:TGID_Z_EN: 1
; COMPUTE_PGM_RSRC2:TIDIG_COMP_CNT: 0
	.section	.text._ZN4vllm25paged_attention_v1_kernelIttLi120ELi32ELi128ELNS_18Fp8KVCacheDataTypeE0ELb1EEEvPT_PKS2_PKT0_S8_ifPKiSA_iPKfiiiSC_SC_iiiii,"axG",@progbits,_ZN4vllm25paged_attention_v1_kernelIttLi120ELi32ELi128ELNS_18Fp8KVCacheDataTypeE0ELb1EEEvPT_PKS2_PKT0_S8_ifPKiSA_iPKfiiiSC_SC_iiiii,comdat
	.protected	_ZN4vllm25paged_attention_v1_kernelIttLi120ELi32ELi128ELNS_18Fp8KVCacheDataTypeE0ELb1EEEvPT_PKS2_PKT0_S8_ifPKiSA_iPKfiiiSC_SC_iiiii ; -- Begin function _ZN4vllm25paged_attention_v1_kernelIttLi120ELi32ELi128ELNS_18Fp8KVCacheDataTypeE0ELb1EEEvPT_PKS2_PKT0_S8_ifPKiSA_iPKfiiiSC_SC_iiiii
	.globl	_ZN4vllm25paged_attention_v1_kernelIttLi120ELi32ELi128ELNS_18Fp8KVCacheDataTypeE0ELb1EEEvPT_PKS2_PKT0_S8_ifPKiSA_iPKfiiiSC_SC_iiiii
	.p2align	8
	.type	_ZN4vllm25paged_attention_v1_kernelIttLi120ELi32ELi128ELNS_18Fp8KVCacheDataTypeE0ELb1EEEvPT_PKS2_PKT0_S8_ifPKiSA_iPKfiiiSC_SC_iiiii,@function
_ZN4vllm25paged_attention_v1_kernelIttLi120ELi32ELi128ELNS_18Fp8KVCacheDataTypeE0ELb1EEEvPT_PKS2_PKT0_S8_ifPKiSA_iPKfiiiSC_SC_iiiii: ; @_ZN4vllm25paged_attention_v1_kernelIttLi120ELi32ELi128ELNS_18Fp8KVCacheDataTypeE0ELb1EEEvPT_PKS2_PKT0_S8_ifPKiSA_iPKfiiiSC_SC_iiiii
; %bb.0:
	s_load_b64 s[22:23], s[0:1], 0x20
	s_bfe_u32 s3, ttmp6, 0x4000c
	s_bfe_u32 s4, ttmp6, 0x40010
	s_and_b32 s6, ttmp7, 0xffff
	s_add_co_i32 s3, s3, 1
	s_add_co_i32 s4, s4, 1
	s_and_b32 s2, ttmp6, 15
	s_bfe_u32 s5, ttmp6, 0x40004
	s_mul_i32 s3, ttmp9, s3
	s_mul_i32 s4, s6, s4
	s_getreg_b32 s26, hwreg(HW_REG_IB_STS2, 6, 4)
	s_add_co_i32 s2, s2, s3
	s_add_co_i32 s3, s5, s4
	s_cmp_eq_u32 s26, 0
	v_mov_b32_e32 v75, v0
	s_cselect_b32 s28, s6, s3
	s_cselect_b32 s2, ttmp9, s2
	s_clause 0x1
	s_load_b32 s27, s[0:1], 0x80
	s_load_b64 s[4:5], s[0:1], 0x30
	s_mov_b32 s15, 0
	s_delay_alu instid0(SALU_CYCLE_1) | instskip(SKIP_2) | instid1(SALU_CYCLE_1)
	s_mov_b32 s34, s15
	s_wait_kmcnt 0x0
	s_abs_i32 s3, s22
	s_cvt_f32_u32 s6, s3
	s_sub_co_i32 s7, 0, s3
	s_delay_alu instid0(SALU_CYCLE_2) | instskip(SKIP_1) | instid1(TRANS32_DEP_1)
	v_rcp_iflag_f32_e32 v0, s6
	v_nop
	v_readfirstlane_b32 s6, v0
	s_abs_i32 s8, s27
	s_mul_f32 s6, s6, 0x4f7ffffe
	s_delay_alu instid0(SALU_CYCLE_3) | instskip(NEXT) | instid1(SALU_CYCLE_3)
	s_cvt_u32_f32 s6, s6
	s_mul_i32 s7, s7, s6
	s_delay_alu instid0(SALU_CYCLE_1) | instskip(NEXT) | instid1(SALU_CYCLE_1)
	s_mul_hi_u32 s7, s6, s7
	s_add_co_i32 s6, s6, s7
	s_xor_b32 s7, s27, s22
	s_mul_hi_u32 s6, s8, s6
	s_ashr_i32 s7, s7, 31
	s_mul_i32 s9, s6, s3
	s_delay_alu instid0(SALU_CYCLE_1)
	s_sub_co_i32 s8, s8, s9
	s_add_co_i32 s9, s6, 1
	s_sub_co_i32 s10, s8, s3
	s_cmp_ge_u32 s8, s3
	s_cselect_b32 s6, s9, s6
	s_cselect_b32 s8, s10, s8
	s_add_co_i32 s9, s6, 1
	s_cmp_ge_u32 s8, s3
	s_cselect_b32 s3, s9, s6
	s_load_b64 s[8:9], s[0:1], 0x40
	s_xor_b32 s3, s3, s7
	s_abs_i32 s14, s2
	s_sub_co_i32 s12, s3, s7
	s_mov_b32 s7, s15
	s_abs_i32 s11, s12
	s_delay_alu instid0(SALU_CYCLE_1) | instskip(SKIP_1) | instid1(SALU_CYCLE_2)
	s_cvt_f32_u32 s3, s11
	s_sub_co_i32 s6, 0, s11
	v_rcp_iflag_f32_e32 v0, s3
	v_nop
	s_delay_alu instid0(TRANS32_DEP_1) | instskip(SKIP_1) | instid1(SALU_CYCLE_3)
	v_readfirstlane_b32 s3, v0
	s_mul_f32 s3, s3, 0x4f7ffffe
	s_cvt_u32_f32 s3, s3
	s_delay_alu instid0(SALU_CYCLE_3) | instskip(NEXT) | instid1(SALU_CYCLE_1)
	s_mul_i32 s6, s6, s3
	s_mul_hi_u32 s6, s3, s6
	s_delay_alu instid0(SALU_CYCLE_1)
	s_add_co_i32 s6, s3, s6
	s_wait_kmcnt 0x0
	s_cmp_eq_u64 s[8:9], 0
	s_cbranch_scc1 .LBB95_2
; %bb.1:
	s_ashr_i32 s3, s2, 31
	s_delay_alu instid0(SALU_CYCLE_1) | instskip(NEXT) | instid1(SALU_CYCLE_1)
	s_lshl_b64 s[16:17], s[2:3], 2
	s_add_nc_u64 s[8:9], s[8:9], s[16:17]
	s_load_b32 s34, s[8:9], 0x0
.LBB95_2:
	s_load_b32 s29, s[4:5], s28 offset:0x0 scale_offset
	s_wait_xcnt 0x0
	s_load_b96 s[8:10], s[0:1], 0x48
	v_lshlrev_b32_e32 v24, 4, v75
	s_ashr_i32 s3, s2, 31
	s_ashr_i32 s18, s12, 31
	s_mul_u64 s[16:17], s[14:15], s[6:7]
	s_mul_i32 s12, s2, 0x78
	s_mov_b32 s4, exec_lo
	v_cmpx_gt_u32_e32 15, v75
	s_cbranch_execz .LBB95_4
; %bb.3:
	s_load_b64 s[6:7], s[0:1], 0x8
	s_wait_kmcnt 0x0
	s_mul_i32 s20, s8, s28
	s_ashr_i32 s13, s12, 31
	s_ashr_i32 s21, s20, 31
	s_delay_alu instid0(SALU_CYCLE_1) | instskip(NEXT) | instid1(SALU_CYCLE_1)
	s_lshl_b64 s[20:21], s[20:21], 1
	s_add_nc_u64 s[6:7], s[6:7], s[20:21]
	s_lshl_b64 s[20:21], s[12:13], 1
	s_delay_alu instid0(SALU_CYCLE_1)
	s_add_nc_u64 s[6:7], s[6:7], s[20:21]
	global_load_b128 v[0:3], v75, s[6:7] scale_offset
	s_wait_loadcnt 0x0
	ds_store_b128 v24, v[0:3]
.LBB95_4:
	s_or_b32 exec_lo, exec_lo, s4
	s_load_b128 s[4:7], s[0:1], 0x68
	s_wait_kmcnt 0x0
	s_mul_i32 s8, s17, s11
	s_xor_b32 s3, s3, s18
	s_sub_co_i32 s8, s14, s8
	s_add_co_i32 s13, s17, 1
	s_sub_co_i32 s14, s8, s11
	s_cmp_ge_u32 s8, s11
	s_mov_b32 s19, -1
	s_cselect_b32 s13, s13, s17
	s_cselect_b32 s8, s14, s8
	s_add_co_i32 s14, s13, 1
	s_cmp_ge_u32 s8, s11
	s_load_b32 s11, s[0:1], 0x78
	s_cselect_b32 s13, s14, s13
	s_add_co_i32 s18, s29, -1
	s_xor_b32 s13, s13, s3
	s_mov_b32 s17, 0
	s_sub_co_i32 s3, s13, s3
	s_abs_i32 s16, s18
	s_mov_b32 s15, s17
	s_abs_i32 s8, s7
	s_wait_dscnt 0x0
	s_cvt_f32_u32 s14, s8
	s_barrier_signal -1
	s_barrier_wait -1
	s_delay_alu instid0(SALU_CYCLE_1) | instskip(SKIP_1) | instid1(TRANS32_DEP_1)
	v_rcp_iflag_f32_e32 v0, s14
	v_nop
	v_readfirstlane_b32 s14, v0
	s_mul_f32 s13, s14, 0x4f7ffffe
	s_sub_co_i32 s14, 0, s8
	s_delay_alu instid0(SALU_CYCLE_2) | instskip(NEXT) | instid1(SALU_CYCLE_3)
	s_cvt_u32_f32 s13, s13
	s_mul_i32 s14, s14, s13
	s_delay_alu instid0(SALU_CYCLE_1) | instskip(NEXT) | instid1(SALU_CYCLE_1)
	s_mul_hi_u32 s14, s13, s14
	s_add_co_i32 s14, s13, s14
	s_wait_kmcnt 0x0
	s_cmp_lt_i32 s11, 0
                                        ; implicit-def: $sgpr13
	s_cbranch_scc0 .LBB95_6
; %bb.5:
	s_mul_i32 s13, s4, s22
	s_mov_b32 s19, s17
	s_add_co_i32 s13, s3, s13
	s_delay_alu instid0(SALU_CYCLE_1) | instskip(NEXT) | instid1(SALU_CYCLE_1)
	s_mul_i32 s13, s13, s11
	s_sub_co_i32 s13, 1, s13
.LBB95_6:
	s_ashr_i32 s18, s18, 31
	s_ashr_i32 s30, s7, 31
	s_and_not1_b32 vcc_lo, exec_lo, s19
	s_mul_u64 s[20:21], s[16:17], s[14:15]
	s_cbranch_vccnz .LBB95_8
; %bb.7:
	s_mul_i32 s4, s27, s4
	s_delay_alu instid0(SALU_CYCLE_1) | instskip(NEXT) | instid1(SALU_CYCLE_1)
	s_add_co_i32 s2, s4, s2
	s_mul_i32 s2, s2, s11
	s_delay_alu instid0(SALU_CYCLE_1)
	s_add_co_i32 s13, s2, 1
.LBB95_8:
	s_load_b32 s2, s[0:1], 0x38
	s_mul_i32 s7, s21, s8
	s_xor_b32 s4, s18, s30
	s_sub_co_i32 s20, s16, s7
	s_add_co_i32 s11, s21, 1
	s_clause 0x1
	s_load_b64 s[16:17], s[0:1], 0x28
	s_load_b32 s7, s[0:1], 0x88
	v_dual_lshrrev_b32 v76, 5, v75 :: v_dual_bitop2_b32 v0, 31, v75 bitop3:0x40
	v_mov_b32_e32 v73, 0xff7fffff
	s_delay_alu instid0(VALU_DEP_2) | instskip(NEXT) | instid1(VALU_DEP_3)
	v_dual_lshrrev_b32 v25, 3, v75 :: v_dual_lshlrev_b32 v58, 5, v76
	v_lshlrev_b32_e32 v10, 2, v0
	scratch_store_b32 off, v0, off          ; 4-byte Folded Spill
	s_wait_kmcnt 0x0
	s_mul_i32 s18, s2, s28
	s_sub_co_i32 s2, s20, s8
	s_ashr_i32 s19, s18, 31
	s_cmp_ge_u32 s20, s8
	s_cselect_b32 s11, s11, s21
	s_cselect_b32 s2, s2, s20
	s_add_co_i32 s20, s11, 1
	s_cmp_ge_u32 s2, s8
	s_cselect_b32 s2, s20, s11
	s_add_co_i32 s11, s29, 31
	s_delay_alu instid0(SALU_CYCLE_1) | instskip(NEXT) | instid1(SALU_CYCLE_1)
	s_ashr_i32 s20, s11, 31
	s_lshr_b32 s20, s20, 27
	s_delay_alu instid0(SALU_CYCLE_1)
	s_add_co_i32 s11, s11, s20
	s_mul_i32 s20, s3, s10
	s_ashr_i32 s31, s11, 5
	s_xor_b32 s11, s2, s4
	v_cmp_gt_i32_e64 s2, s31, v76
	s_sub_co_i32 s33, s11, s4
	s_wait_xcnt 0x0
	s_and_saveexec_b32 s22, s2
	s_cbranch_execz .LBB95_16
; %bb.9:
	s_clause 0x2
	scratch_store_b32 off, v24, off offset:16
	scratch_store_b32 off, v75, off offset:8
	scratch_load_b32 v1, off, off
	s_ashr_i32 s21, s20, 31
	s_sub_co_i32 s35, s33, s5
	s_ashr_i32 s11, s9, 31
	s_lshl_b64 s[24:25], s[20:21], 1
	s_cmp_neq_f32 s34, 0
	s_load_b64 s[36:37], s[0:1], 0x10
	v_lshl_or_b32 v2, v76, 7, v10
	v_mov_b32_e32 v75, v76
	s_cselect_b32 vcc_lo, -1, 0
	s_abs_i32 s21, s6
	s_mov_b32 s10, s9
	s_cvt_f32_u32 s3, s21
	s_sub_co_i32 s4, 0, s21
	v_add_nc_u32_e32 v77, 0x110, v2
	v_mov_b32_e32 v61, 0
	v_rcp_iflag_f32_e32 v0, s3
	scratch_store_b32 off, v76, off offset:12 ; 4-byte Folded Spill
	v_nop
	v_readfirstlane_b32 s3, v0
	s_wait_kmcnt 0x0
	s_add_nc_u64 s[24:25], s[36:37], s[24:25]
	s_mul_f32 s3, s3, 0x4f7ffffe
	s_delay_alu instid0(SALU_CYCLE_3) | instskip(NEXT) | instid1(SALU_CYCLE_3)
	s_cvt_u32_f32 s3, s3
	s_mul_i32 s4, s4, s3
	s_delay_alu instid0(SALU_CYCLE_1) | instskip(SKIP_4) | instid1(VALU_DEP_3)
	s_mul_hi_u32 s4, s3, s4
	s_wait_loadcnt 0x0
	v_lshlrev_b32_e32 v60, 4, v1
	v_subrev_nc_u32_e32 v1, s29, v1
	v_mov_b32_e32 v73, 0xff7fffff
	v_add_nc_u64_e32 v[62:63], s[24:25], v[60:61]
	v_and_b32_e32 v60, 0x7c, v25
	s_lshl_b64 s[24:25], s[18:19], 2
	v_add_nc_u32_e32 v0, 1, v1
	s_add_nc_u64 s[24:25], s[16:17], s[24:25]
	s_delay_alu instid0(VALU_DEP_2) | instid1(SALU_CYCLE_1)
	v_add_nc_u64_e32 v[64:65], s[24:25], v[60:61]
	v_lshlrev_b32_e32 v60, 5, v76
	s_mov_b32 s25, 0
	s_add_co_i32 s24, s3, s4
	s_mov_b32 s36, s25
	s_clause 0x2
	scratch_store_b32 off, v0, off offset:4
	scratch_store_b32 off, v10, off offset:24
	;; [unrolled: 1-line block ×3, first 2 shown]
	s_branch .LBB95_11
.LBB95_10:                              ;   in Loop: Header=BB95_11 Depth=1
	s_wait_xcnt 0x0
	s_or_b32 exec_lo, exec_lo, s4
	v_add_nc_u32_e32 v75, 4, v75
	v_add_nc_u64_e32 v[64:65], 16, v[64:65]
	v_add_nc_u32_e32 v60, 0x80, v60
	v_add_nc_u32_e32 v77, 0x200, v77
	s_delay_alu instid0(VALU_DEP_4) | instskip(SKIP_1) | instid1(SALU_CYCLE_1)
	v_cmp_le_i32_e64 s3, s31, v75
	s_or_b32 s36, s3, s36
	s_and_not1_b32 exec_lo, exec_lo, s36
	s_cbranch_execz .LBB95_15
.LBB95_11:                              ; =>This Inner Loop Header: Depth=1
	s_wait_xcnt 0x2
	v_mul_u64_e32 v[0:1], s[14:15], v[60:61]
	s_delay_alu instid0(VALU_DEP_1) | instskip(NEXT) | instid1(VALU_DEP_1)
	v_mul_lo_u32 v0, v1, s8
	v_dual_add_nc_u32 v2, 1, v1 :: v_dual_sub_nc_u32 v0, v60, v0
	s_delay_alu instid0(VALU_DEP_1) | instskip(SKIP_1) | instid1(VALU_DEP_1)
	v_subrev_nc_u32_e32 v3, s8, v0
	v_cmp_le_u32_e64 s3, s8, v0
	v_dual_cndmask_b32 v1, v1, v2, s3 :: v_dual_cndmask_b32 v0, v0, v3, s3
	s_delay_alu instid0(VALU_DEP_1) | instskip(NEXT) | instid1(VALU_DEP_2)
	v_add_nc_u32_e32 v2, 1, v1
	v_cmp_le_u32_e64 s3, s8, v0
	s_delay_alu instid0(VALU_DEP_1) | instskip(NEXT) | instid1(VALU_DEP_1)
	v_cndmask_b32_e64 v0, v1, v2, s3
	v_dual_mov_b32 v1, v61 :: v_dual_bitop2_b32 v0, s30, v0 bitop3:0x14
	s_delay_alu instid0(VALU_DEP_1) | instskip(NEXT) | instid1(VALU_DEP_1)
	v_subrev_nc_u32_e32 v4, s30, v0
	v_add_nc_u32_e32 v5, s13, v4
	v_cmp_ge_i32_e64 s4, s35, v4
	s_delay_alu instid0(VALU_DEP_2) | instskip(NEXT) | instid1(VALU_DEP_1)
	v_sub_nc_u32_e32 v0, 0, v5
	v_max_i32_e32 v0, v5, v0
	s_delay_alu instid0(VALU_DEP_1) | instskip(SKIP_1) | instid1(VALU_DEP_2)
	v_mul_u64_e32 v[2:3], s[24:25], v[0:1]
	v_ashrrev_i32_e32 v2, 31, v5
	v_mul_lo_u32 v1, v3, s21
	s_delay_alu instid0(VALU_DEP_1) | instskip(NEXT) | instid1(VALU_DEP_1)
	v_sub_nc_u32_e32 v0, v0, v1
	v_subrev_nc_u32_e32 v1, s21, v0
	v_cmp_le_u32_e64 s3, s21, v0
	s_delay_alu instid0(VALU_DEP_1) | instskip(NEXT) | instid1(VALU_DEP_1)
	v_cndmask_b32_e64 v0, v0, v1, s3
	v_subrev_nc_u32_e32 v1, s21, v0
	v_cmp_le_u32_e64 s3, s21, v0
	s_delay_alu instid0(VALU_DEP_1) | instskip(NEXT) | instid1(VALU_DEP_1)
	v_cndmask_b32_e64 v0, v0, v1, s3
	v_xor_b32_e32 v0, v0, v2
	s_delay_alu instid0(VALU_DEP_1) | instskip(NEXT) | instid1(VALU_DEP_1)
	v_sub_nc_u32_e32 v0, v0, v2
	v_cmp_ne_u32_e64 s3, 0, v0
	s_and_b32 s3, s3, s4
	s_wait_xcnt 0x0
	s_and_saveexec_b32 s4, s3
	s_delay_alu instid0(SALU_CYCLE_1)
	s_xor_b32 s3, exec_lo, s4
; %bb.12:                               ;   in Loop: Header=BB95_11 Depth=1
	v_mov_b32_e32 v0, 0xff7fffff
	ds_store_b32 v77, v0
; %bb.13:                               ;   in Loop: Header=BB95_11 Depth=1
	s_and_not1_saveexec_b32 s4, s3
	s_cbranch_execz .LBB95_10
; %bb.14:                               ;   in Loop: Header=BB95_11 Depth=1
	global_load_b32 v0, v[64:65], off
	s_wait_loadcnt 0x0
	v_ashrrev_i32_e32 v1, 31, v0
	s_delay_alu instid0(VALU_DEP_1) | instskip(NEXT) | instid1(VALU_DEP_1)
	v_mul_u64_e32 v[0:1], s[10:11], v[0:1]
	v_lshl_add_u64 v[4:5], v[0:1], 1, v[62:63]
	s_clause 0xd
	global_load_b128 v[68:71], v[4:5], off
	global_load_b128 v[54:57], v[4:5], off offset:512
	global_load_b128 v[50:53], v[4:5], off offset:1024
	;; [unrolled: 1-line block ×13, first 2 shown]
	ds_load_b128 v[0:3], v61
	s_wait_dscnt 0x0
	v_lshrrev_b32_e32 v59, 16, v0
	v_and_b32_e32 v0, 0xffff, v0
	v_dual_lshrrev_b32 v87, 16, v1 :: v_dual_lshrrev_b32 v85, 16, v2
	v_and_b32_e32 v89, 0xffff, v1
	v_and_b32_e32 v88, 0xffff, v2
	v_lshrrev_b32_e32 v84, 16, v3
	v_and_b32_e32 v86, 0xffff, v3
	global_load_b128 v[2:5], v[4:5], off offset:7168
	;;#ASMSTART
	v_cvt_f32_f16 v66, v0;
	;;#ASMEND
	;;#ASMSTART
	v_cvt_f32_f16 v67, v59;
	;;#ASMEND
	s_wait_loadcnt 0xe
	v_lshrrev_b32_e32 v97, 16, v68
	v_and_b32_e32 v99, 0xffff, v68
	v_dual_lshrrev_b32 v95, 16, v69 :: v_dual_lshrrev_b32 v93, 16, v70
	v_and_b32_e32 v98, 0xffff, v69
	v_and_b32_e32 v96, 0xffff, v70
	s_wait_loadcnt 0xd
	v_dual_lshrrev_b32 v90, 16, v71 :: v_dual_lshrrev_b32 v101, 16, v54
	v_and_b32_e32 v94, 0xffff, v71
	v_and_b32_e32 v100, 0xffff, v54
	;; [unrolled: 1-line block ×3, first 2 shown]
	v_dual_lshrrev_b32 v103, 16, v55 :: v_dual_lshrrev_b32 v92, 16, v56
	s_wait_loadcnt 0xc
	v_dual_lshrrev_b32 v81, 16, v57 :: v_dual_lshrrev_b32 v83, 16, v50
	v_and_b32_e32 v82, 0xffff, v50
	v_and_b32_e32 v78, 0xffff, v51
	v_dual_lshrrev_b32 v79, 16, v51 :: v_dual_lshrrev_b32 v69, 16, v52
	v_and_b32_e32 v68, 0xffff, v52
	v_and_b32_e32 v54, 0xffff, v53
	s_wait_loadcnt 0xb
	v_dual_lshrrev_b32 v55, 16, v53 :: v_dual_lshrrev_b32 v105, 16, v47
	v_lshrrev_b32_e32 v107, 16, v48
	v_and_b32_e32 v106, 0xffff, v48
	v_and_b32_e32 v108, 0xffff, v49
	s_wait_loadcnt 0xa
	v_dual_lshrrev_b32 v109, 16, v49 :: v_dual_lshrrev_b32 v113, 16, v42
	v_and_b32_e32 v112, 0xffff, v42
	v_and_b32_e32 v110, 0xffff, v43
	v_dual_lshrrev_b32 v111, 16, v43 :: v_dual_lshrrev_b32 v115, 16, v44
	v_and_b32_e32 v114, 0xffff, v44
	v_and_b32_e32 v116, 0xffff, v45
	s_wait_loadcnt 0x9
	v_dual_lshrrev_b32 v117, 16, v45 :: v_dual_lshrrev_b32 v119, 16, v38
	v_and_b32_e32 v118, 0xffff, v38
	v_and_b32_e32 v120, 0xffff, v39
	v_dual_lshrrev_b32 v121, 16, v39 :: v_dual_lshrrev_b32 v123, 16, v40
	v_and_b32_e32 v122, 0xffff, v40
	v_and_b32_e32 v124, 0xffff, v41
	v_lshrrev_b32_e32 v125, 16, v41
	;;#ASMSTART
	v_cvt_f32_f16 v0, v99;
	;;#ASMEND
	;;#ASMSTART
	v_cvt_f32_f16 v1, v97;
	;;#ASMEND
	;; [unrolled: 3-line block ×14, first 2 shown]
	ds_load_b128 v[38:41], v61 offset:16
	v_and_b32_e32 v91, 0xffff, v56
	v_and_b32_e32 v80, 0xffff, v57
	;; [unrolled: 1-line block ×3, first 2 shown]
	v_lshrrev_b32_e32 v57, 16, v46
	v_and_b32_e32 v104, 0xffff, v47
	s_wait_loadcnt 0x7
	v_lshrrev_b32_e32 v87, 16, v30
	v_and_b32_e32 v88, 0xffff, v30
	v_and_b32_e32 v89, 0xffff, v31
	s_wait_loadcnt 0x6
	v_lshrrev_b32_e32 v90, 16, v26
	s_wait_loadcnt 0x5
	v_lshrrev_b32_e32 v96, 16, v22
	v_and_b32_e32 v99, 0xffff, v22
	v_dual_lshrrev_b32 v97, 16, v23 :: v_dual_lshrrev_b32 v94, 16, v24
	v_and_b32_e32 v98, 0xffff, v24
	v_lshrrev_b32_e32 v93, 16, v25
	v_and_b32_e32 v95, 0xffff, v25
	s_wait_loadcnt 0x3
	v_lshrrev_b32_e32 v126, 16, v14
	v_and_b32_e32 v72, 0xffff, v15
	v_and_b32_e32 v127, 0xffff, v16
	s_wait_dscnt 0x0
	v_and_b32_e32 v46, 0xffff, v38
	v_lshrrev_b32_e32 v38, 16, v38
	;;#ASMSTART
	v_cvt_f32_f16 v46, v46;
	;;#ASMEND
	;;#ASMSTART
	v_cvt_f32_f16 v47, v38;
	;;#ASMEND
	;; [unrolled: 3-line block ×4, first 2 shown]
	v_pk_mul_f32 v[46:47], v[46:47], v[84:85]
	v_and_b32_e32 v38, 0xffff, v34
	v_dual_lshrrev_b32 v84, 16, v34 :: v_dual_lshrrev_b32 v34, 16, v39
	v_lshrrev_b32_e32 v30, 16, v40
	s_delay_alu instid0(VALU_DEP_4)
	v_pk_fma_f32 v[46:47], v[66:67], v[0:1], v[46:47]
	v_and_b32_e32 v0, 0xffff, v39
	;;#ASMSTART
	v_cvt_f32_f16 v1, v0;
	;;#ASMEND
	;;#ASMSTART
	v_cvt_f32_f16 v0, v34;
	;;#ASMEND
	v_and_b32_e32 v66, 0xffff, v35
	v_lshrrev_b32_e32 v67, 16, v35
	;;#ASMSTART
	v_cvt_f32_f16 v35, v102;
	;;#ASMEND
	;;#ASMSTART
	v_cvt_f32_f16 v34, v103;
	;;#ASMEND
	v_pk_mul_f32 v[0:1], v[0:1], v[34:35]
	v_lshrrev_b32_e32 v39, 16, v32
	v_lshrrev_b32_e32 v102, 16, v16
	v_and_b32_e32 v103, 0xffff, v17
	s_wait_loadcnt 0x2
	v_lshrrev_b32_e32 v59, 16, v10
	v_pk_fma_f32 v[34:35], v[52:53], v[70:71], v[0:1]
	v_and_b32_e32 v0, 0xffff, v40
	v_lshrrev_b32_e32 v52, 16, v31
	v_and_b32_e32 v53, 0xffff, v32
	v_lshrrev_b32_e32 v32, 16, v33
	;;#ASMSTART
	v_cvt_f32_f16 v1, v0;
	;;#ASMEND
	;;#ASMSTART
	v_cvt_f32_f16 v0, v30;
	;;#ASMEND
	;; [unrolled: 3-line block ×4, first 2 shown]
	v_pk_mul_f32 v[0:1], v[0:1], v[30:31]
	v_and_b32_e32 v91, 0xffff, v26
	v_lshrrev_b32_e32 v26, 16, v41
	v_lshrrev_b32_e32 v40, 16, v29
	v_and_b32_e32 v92, 0xffff, v27
	v_pk_fma_f32 v[30:31], v[48:49], v[50:51], v[0:1]
	v_and_b32_e32 v0, 0xffff, v41
	v_and_b32_e32 v41, 0xffff, v23
	;;#ASMSTART
	v_cvt_f32_f16 v1, v0;
	;;#ASMEND
	;;#ASMSTART
	v_cvt_f32_f16 v0, v26;
	;;#ASMEND
	;; [unrolled: 3-line block ×4, first 2 shown]
	v_pk_mul_f32 v[0:1], v[0:1], v[22:23]
	ds_load_b128 v[22:25], v61 offset:32
	v_lshrrev_b32_e32 v48, 16, v28
	v_and_b32_e32 v51, 0xffff, v28
	v_and_b32_e32 v49, 0xffff, v29
	v_pk_fma_f32 v[28:29], v[42:43], v[44:45], v[0:1]
	v_dual_lshrrev_b32 v50, 16, v27 :: v_dual_lshrrev_b32 v42, 16, v18
	v_dual_lshrrev_b32 v44, 16, v21 :: v_dual_lshrrev_b32 v43, 16, v20
	v_and_b32_e32 v45, 0xffff, v21
	v_and_b32_e32 v76, 0xffff, v10
	v_lshrrev_b32_e32 v71, 16, v11
	v_and_b32_e32 v74, 0xffff, v12
	v_and_b32_e32 v70, 0xffff, v13
	s_wait_loadcnt 0x1
	v_and_b32_e32 v100, 0xffff, v6
	v_and_b32_e32 v101, 0xffff, v7
	v_lshrrev_b32_e32 v80, 16, v8
	v_and_b32_e32 v81, 0xffff, v9
	v_lshrrev_b32_e32 v85, 16, v36
	v_and_b32_e32 v86, 0xffff, v36
	s_wait_dscnt 0x0
	v_and_b32_e32 v0, 0xffff, v22
	v_lshrrev_b32_e32 v1, 16, v22
	;;#ASMSTART
	v_cvt_f32_f16 v0, v0;
	;;#ASMEND
	;;#ASMSTART
	v_cvt_f32_f16 v1, v1;
	;;#ASMEND
	;; [unrolled: 3-line block ×4, first 2 shown]
	v_pk_fma_f32 v[26:27], v[0:1], v[26:27], v[46:47]
	v_and_b32_e32 v0, 0xffff, v23
	v_lshrrev_b32_e32 v22, 16, v23
	;;#ASMSTART
	v_cvt_f32_f16 v1, v0;
	;;#ASMEND
	;;#ASMSTART
	v_cvt_f32_f16 v0, v22;
	;;#ASMEND
	;; [unrolled: 3-line block ×4, first 2 shown]
	v_and_b32_e32 v47, 0xffff, v18
	v_pk_fma_f32 v[22:23], v[0:1], v[22:23], v[34:35]
	v_and_b32_e32 v0, 0xffff, v24
	v_dual_lshrrev_b32 v18, 16, v24 :: v_dual_lshrrev_b32 v34, 16, v19
	v_and_b32_e32 v35, 0xffff, v19
	;;#ASMSTART
	v_cvt_f32_f16 v1, v0;
	;;#ASMEND
	;;#ASMSTART
	v_cvt_f32_f16 v0, v18;
	;;#ASMEND
	;; [unrolled: 3-line block ×4, first 2 shown]
	v_pk_fma_f32 v[18:19], v[0:1], v[18:19], v[30:31]
	v_and_b32_e32 v1, 0xffff, v14
	v_dual_lshrrev_b32 v14, 16, v25 :: v_dual_lshrrev_b32 v69, 16, v15
	v_and_b32_e32 v0, 0xffff, v25
	v_lshrrev_b32_e32 v68, 16, v17
	;;#ASMSTART
	v_cvt_f32_f16 v15, v0;
	;;#ASMEND
	;;#ASMSTART
	v_cvt_f32_f16 v14, v14;
	;;#ASMEND
	;; [unrolled: 3-line block ×4, first 2 shown]
	v_and_b32_e32 v46, 0xffff, v20
	v_pk_fma_f32 v[20:21], v[14:15], v[16:17], v[28:29]
	ds_load_b128 v[14:17], v61 offset:48
	v_dual_lshrrev_b32 v82, 16, v6 :: v_dual_lshrrev_b32 v79, 16, v7
	v_and_b32_e32 v83, 0xffff, v8
	v_lshrrev_b32_e32 v78, 16, v9
	v_lshrrev_b32_e32 v36, 16, v37
	v_and_b32_e32 v37, 0xffff, v37
	v_and_b32_e32 v33, 0xffff, v33
	s_wait_dscnt 0x0
	v_and_b32_e32 v0, 0xffff, v14
	v_lshrrev_b32_e32 v14, 16, v14
	;;#ASMSTART
	v_cvt_f32_f16 v24, v0;
	;;#ASMEND
	;;#ASMSTART
	v_cvt_f32_f16 v25, v14;
	;;#ASMEND
	v_lshrrev_b32_e32 v14, 16, v15
	;;#ASMSTART
	v_cvt_f32_f16 v28, v56;
	;;#ASMEND
	;;#ASMSTART
	v_cvt_f32_f16 v29, v57;
	;;#ASMEND
	v_pk_fma_f32 v[24:25], v[24:25], v[28:29], v[26:27]
	v_and_b32_e32 v0, 0xffff, v15
	;;#ASMSTART
	v_cvt_f32_f16 v15, v0;
	;;#ASMEND
	;;#ASMSTART
	v_cvt_f32_f16 v14, v14;
	;;#ASMEND
	;; [unrolled: 3-line block ×4, first 2 shown]
	v_dual_lshrrev_b32 v105, 16, v12 :: v_dual_lshrrev_b32 v104, 16, v13
	v_lshrrev_b32_e32 v12, 16, v16
	v_and_b32_e32 v10, 0xffff, v16
	v_and_b32_e32 v0, 0xffff, v11
	;;#ASMSTART
	v_cvt_f32_f16 v11, v10;
	;;#ASMEND
	;;#ASMSTART
	v_cvt_f32_f16 v10, v12;
	;;#ASMEND
	;; [unrolled: 3-line block ×4, first 2 shown]
	v_and_b32_e32 v6, 0xffff, v17
	v_pk_fma_f32 v[10:11], v[10:11], v[12:13], v[18:19]
	v_lshrrev_b32_e32 v12, 16, v17
	;;#ASMSTART
	v_cvt_f32_f16 v7, v6;
	;;#ASMEND
	;;#ASMSTART
	v_cvt_f32_f16 v6, v12;
	;;#ASMEND
	;; [unrolled: 3-line block ×4, first 2 shown]
	v_pk_fma_f32 v[12:13], v[6:7], v[8:9], v[20:21]
	ds_load_b128 v[6:9], v61 offset:64
	v_pk_fma_f32 v[14:15], v[14:15], v[26:27], v[22:23]
	s_wait_dscnt 0x0
	v_and_b32_e32 v16, 0xffff, v6
	v_lshrrev_b32_e32 v6, 16, v6
	;;#ASMSTART
	v_cvt_f32_f16 v16, v16;
	;;#ASMEND
	;;#ASMSTART
	v_cvt_f32_f16 v17, v6;
	;;#ASMEND
	;; [unrolled: 3-line block ×4, first 2 shown]
	v_and_b32_e32 v6, 0xffff, v7
	v_pk_fma_f32 v[16:17], v[16:17], v[18:19], v[24:25]
	v_dual_lshrrev_b32 v18, 16, v7 :: v_dual_lshrrev_b32 v20, 16, v8
	v_and_b32_e32 v19, 0xffff, v8
	v_and_b32_e32 v22, 0xffff, v9
	v_lshrrev_b32_e32 v24, 16, v9
	;;#ASMSTART
	v_cvt_f32_f16 v7, v6;
	;;#ASMEND
	;;#ASMSTART
	v_cvt_f32_f16 v6, v18;
	;;#ASMEND
	;; [unrolled: 3-line block ×12, first 2 shown]
	v_pk_fma_f32 v[14:15], v[6:7], v[8:9], v[14:15]
	ds_load_b128 v[6:9], v61 offset:80
	v_pk_fma_f32 v[10:11], v[18:19], v[20:21], v[10:11]
	v_pk_fma_f32 v[12:13], v[22:23], v[24:25], v[12:13]
	s_wait_dscnt 0x0
	v_and_b32_e32 v18, 0xffff, v6
	v_lshrrev_b32_e32 v6, 16, v6
	v_and_b32_e32 v22, 0xffff, v7
	v_lshrrev_b32_e32 v7, 16, v7
	;; [unrolled: 2-line block ×4, first 2 shown]
	;;#ASMSTART
	v_cvt_f32_f16 v18, v18;
	;;#ASMEND
	;;#ASMSTART
	v_cvt_f32_f16 v19, v6;
	;;#ASMEND
	;; [unrolled: 3-line block ×16, first 2 shown]
	ds_load_b128 v[6:9], v61 offset:96
	v_pk_fma_f32 v[16:17], v[18:19], v[20:21], v[16:17]
	v_pk_fma_f32 v[14:15], v[22:23], v[24:25], v[14:15]
	;; [unrolled: 1-line block ×4, first 2 shown]
	s_wait_dscnt 0x0
	v_and_b32_e32 v18, 0xffff, v6
	v_lshrrev_b32_e32 v6, 16, v6
	v_and_b32_e32 v22, 0xffff, v7
	v_lshrrev_b32_e32 v7, 16, v7
	v_and_b32_e32 v56, 0xffff, v8
	v_dual_lshrrev_b32 v8, 16, v8 :: v_dual_lshrrev_b32 v106, 16, v9
	v_and_b32_e32 v9, 0xffff, v9
	;;#ASMSTART
	v_cvt_f32_f16 v18, v18;
	;;#ASMEND
	;;#ASMSTART
	v_cvt_f32_f16 v19, v6;
	;;#ASMEND
	;; [unrolled: 3-line block ×16, first 2 shown]
	ds_load_b128 v[6:9], v61 offset:112
	s_wait_dscnt 0x0
	v_and_b32_e32 v26, 0xffff, v6
	v_lshrrev_b32_e32 v6, 16, v6
	v_and_b32_e32 v27, 0xffff, v7
	v_lshrrev_b32_e32 v7, 16, v7
	v_and_b32_e32 v30, 0xffff, v8
	v_dual_lshrrev_b32 v8, 16, v8 :: v_dual_lshrrev_b32 v31, 16, v9
	v_and_b32_e32 v9, 0xffff, v9
	;;#ASMSTART
	v_cvt_f32_f16 v28, v26;
	;;#ASMEND
	;;#ASMSTART
	v_cvt_f32_f16 v29, v6;
	;;#ASMEND
	;; [unrolled: 3-line block ×16, first 2 shown]
	ds_load_b128 v[6:9], v61 offset:128
	v_pk_fma_f32 v[32:33], v[18:19], v[20:21], v[16:17]
	v_pk_fma_f32 v[38:39], v[22:23], v[24:25], v[14:15]
	s_delay_alu instid0(VALU_DEP_1)
	v_pk_fma_f32 v[88:89], v[86:87], v[88:89], v[38:39]
	s_wait_dscnt 0x0
	v_and_b32_e32 v14, 0xffff, v6
	v_lshrrev_b32_e32 v6, 16, v6
	v_and_b32_e32 v15, 0xffff, v7
	v_lshrrev_b32_e32 v7, 16, v7
	v_and_b32_e32 v16, 0xffff, v8
	v_dual_lshrrev_b32 v8, 16, v8 :: v_dual_lshrrev_b32 v17, 16, v9
	v_and_b32_e32 v9, 0xffff, v9
	;;#ASMSTART
	v_cvt_f32_f16 v112, v14;
	;;#ASMEND
	;;#ASMSTART
	v_cvt_f32_f16 v113, v6;
	;;#ASMEND
	;;#ASMSTART
	v_cvt_f32_f16 v114, v91;
	;;#ASMEND
	;;#ASMSTART
	v_cvt_f32_f16 v115, v90;
	;;#ASMEND
	;;#ASMSTART
	v_cvt_f32_f16 v91, v15;
	;;#ASMEND
	;;#ASMSTART
	v_cvt_f32_f16 v90, v7;
	;;#ASMEND
	;;#ASMSTART
	v_cvt_f32_f16 v117, v92;
	;;#ASMEND
	;;#ASMSTART
	v_cvt_f32_f16 v116, v50;
	;;#ASMEND
	;;#ASMSTART
	v_cvt_f32_f16 v19, v16;
	;;#ASMEND
	;;#ASMSTART
	v_cvt_f32_f16 v18, v8;
	;;#ASMEND
	;;#ASMSTART
	v_cvt_f32_f16 v21, v51;
	;;#ASMEND
	;;#ASMSTART
	v_cvt_f32_f16 v20, v48;
	;;#ASMEND
	;;#ASMSTART
	v_cvt_f32_f16 v15, v9;
	;;#ASMEND
	;;#ASMSTART
	v_cvt_f32_f16 v14, v17;
	;;#ASMEND
	;;#ASMSTART
	v_cvt_f32_f16 v17, v49;
	;;#ASMEND
	;;#ASMSTART
	v_cvt_f32_f16 v16, v40;
	;;#ASMEND
	ds_load_b128 v[6:9], v61 offset:144
	v_pk_fma_f32 v[50:51], v[56:57], v[66:67], v[10:11]
	v_pk_fma_f32 v[56:57], v[84:85], v[36:37], v[12:13]
	;; [unrolled: 1-line block ×3, first 2 shown]
	s_wait_dscnt 0x0
	v_and_b32_e32 v10, 0xffff, v6
	v_lshrrev_b32_e32 v6, 16, v6
	v_and_b32_e32 v11, 0xffff, v7
	v_lshrrev_b32_e32 v7, 16, v7
	v_and_b32_e32 v12, 0xffff, v8
	v_dual_lshrrev_b32 v8, 16, v8 :: v_dual_lshrrev_b32 v13, 16, v9
	v_and_b32_e32 v22, 0xffff, v9
	;;#ASMSTART
	v_cvt_f32_f16 v26, v10;
	;;#ASMEND
	;;#ASMSTART
	v_cvt_f32_f16 v27, v6;
	;;#ASMEND
	;; [unrolled: 3-line block ×16, first 2 shown]
	ds_load_b128 v[22:25], v61 offset:160
	v_pk_fma_f32 v[92:93], v[28:29], v[54:55], v[32:33]
	v_pk_fma_f32 v[94:95], v[106:107], v[52:53], v[50:51]
	;; [unrolled: 1-line block ×3, first 2 shown]
	s_delay_alu instid0(VALU_DEP_3) | instskip(NEXT) | instid1(VALU_DEP_3)
	v_pk_fma_f32 v[92:93], v[112:113], v[114:115], v[92:93]
	v_pk_fma_f32 v[18:19], v[18:19], v[20:21], v[94:95]
	s_delay_alu instid0(VALU_DEP_3)
	v_pk_fma_f32 v[14:15], v[14:15], v[16:17], v[96:97]
	s_wait_loadcnt 0x0
	v_and_b32_e32 v94, 0xffff, v3
	v_pk_fma_f32 v[20:21], v[36:37], v[40:41], v[88:89]
	v_pk_fma_f32 v[16:17], v[26:27], v[30:31], v[92:93]
	;; [unrolled: 1-line block ×4, first 2 shown]
	v_lshrrev_b32_e32 v18, 16, v4
	v_and_b32_e32 v19, 0xffff, v4
	s_wait_dscnt 0x0
	v_and_b32_e32 v28, 0xffff, v22
	v_dual_lshrrev_b32 v29, 16, v22 :: v_dual_lshrrev_b32 v32, 16, v23
	v_lshrrev_b32_e32 v38, 16, v24
	v_and_b32_e32 v33, 0xffff, v23
	v_and_b32_e32 v39, 0xffff, v24
	v_lshrrev_b32_e32 v48, 16, v25
	v_and_b32_e32 v49, 0xffff, v25
	;;#ASMSTART
	v_cvt_f32_f16 v22, v28;
	;;#ASMEND
	;;#ASMSTART
	v_cvt_f32_f16 v23, v29;
	;;#ASMEND
	;; [unrolled: 3-line block ×16, first 2 shown]
	ds_load_b128 v[46:49], v61 offset:176
	v_pk_fma_f32 v[10:11], v[22:23], v[24:25], v[16:17]
	v_pk_fma_f32 v[12:13], v[28:29], v[34:35], v[20:21]
	;; [unrolled: 1-line block ×4, first 2 shown]
	s_wait_dscnt 0x0
	v_dual_lshrrev_b32 v20, 16, v5 :: v_dual_lshrrev_b32 v50, 16, v46
	v_and_b32_e32 v46, 0xffff, v46
	v_dual_lshrrev_b32 v52, 16, v47 :: v_dual_lshrrev_b32 v56, 16, v48
	v_and_b32_e32 v51, 0xffff, v47
	v_and_b32_e32 v53, 0xffff, v48
	v_lshrrev_b32_e32 v66, 16, v49
	v_and_b32_e32 v67, 0xffff, v49
	;;#ASMSTART
	v_cvt_f32_f16 v46, v46;
	;;#ASMEND
	;;#ASMSTART
	v_cvt_f32_f16 v47, v50;
	;;#ASMEND
	;; [unrolled: 3-line block ×16, first 2 shown]
	ds_load_b128 v[84:87], v61 offset:192
	v_pk_fma_f32 v[10:11], v[46:47], v[48:49], v[10:11]
	v_pk_fma_f32 v[12:13], v[50:51], v[54:55], v[12:13]
	;; [unrolled: 1-line block ×4, first 2 shown]
	s_wait_dscnt 0x0
	v_lshrrev_b32_e32 v1, 16, v84
	v_and_b32_e32 v72, 0xffff, v84
	v_dual_lshrrev_b32 v84, 16, v85 :: v_dual_lshrrev_b32 v108, 16, v86
	v_lshrrev_b32_e32 v112, 16, v87
	v_and_b32_e32 v85, 0xffff, v85
	v_and_b32_e32 v86, 0xffff, v86
	;; [unrolled: 1-line block ×3, first 2 shown]
	;;#ASMSTART
	v_cvt_f32_f16 v90, v72;
	;;#ASMEND
	;;#ASMSTART
	v_cvt_f32_f16 v91, v1;
	;;#ASMEND
	;; [unrolled: 3-line block ×16, first 2 shown]
	scratch_load_b32 v0, off, off offset:4  ; 4-byte Folded Reload
	ds_load_b128 v[84:87], v61 offset:208
	v_dual_lshrrev_b32 v72, 16, v2 :: v_dual_lshrrev_b32 v76, 16, v3
	v_and_b32_e32 v74, 0xffff, v2
	v_pk_fma_f32 v[10:11], v[90:91], v[98:99], v[10:11]
	v_pk_fma_f32 v[12:13], v[102:103], v[106:107], v[12:13]
	;; [unrolled: 1-line block ×4, first 2 shown]
	s_wait_dscnt 0x0
	v_and_b32_e32 v1, 0xffff, v84
	v_lshrrev_b32_e32 v2, 16, v85
	v_and_b32_e32 v3, 0xffff, v85
	v_and_b32_e32 v85, 0xffff, v86
	;;#ASMSTART
	v_cvt_f32_f16 v26, v1;
	;;#ASMEND
	s_wait_loadcnt 0x0
	v_add_nc_u32_e32 v0, v0, v60
	s_delay_alu instid0(VALU_DEP_1)
	v_cvt_f32_i32_e32 v59, v0
	v_dual_lshrrev_b32 v0, 16, v84 :: v_dual_lshrrev_b32 v84, 16, v86
	v_lshrrev_b32_e32 v86, 16, v87
	v_and_b32_e32 v87, 0xffff, v87
	;;#ASMSTART
	v_cvt_f32_f16 v27, v0;
	;;#ASMEND
	;;#ASMSTART
	v_cvt_f32_f16 v30, v100;
	;;#ASMEND
	;; [unrolled: 3-line block ×15, first 2 shown]
	ds_load_b128 v[0:3], v61 offset:224
	v_pk_fma_f32 v[10:11], v[26:27], v[30:31], v[10:11]
	v_pk_fma_f32 v[12:13], v[36:37], v[40:41], v[12:13]
	s_wait_dscnt 0x0
	s_wait_xcnt 0x1
	v_and_b32_e32 v4, 0xffff, v0
	v_dual_lshrrev_b32 v14, 16, v0 :: v_dual_lshrrev_b32 v16, 16, v1
	v_and_b32_e32 v17, 0xffff, v1
	;;#ASMSTART
	v_cvt_f32_f16 v0, v4;
	;;#ASMEND
	;;#ASMSTART
	v_cvt_f32_f16 v1, v14;
	;;#ASMEND
	;; [unrolled: 3-line block ×4, first 2 shown]
	v_pk_fma_f32 v[0:1], v[0:1], v[14:15], v[10:11]
	;;#ASMSTART
	v_cvt_f32_f16 v17, v17;
	;;#ASMEND
	;;#ASMSTART
	v_cvt_f32_f16 v16, v16;
	;;#ASMEND
	;; [unrolled: 3-line block ×4, first 2 shown]
	v_pk_fma_f32 v[10:11], v[16:17], v[10:11], v[12:13]
	v_dual_add_f32 v4, v0, v1 :: v_dual_lshrrev_b32 v12, 16, v2
	v_pk_fma_f32 v[0:1], v[84:85], v[82:83], v[6:7]
	v_and_b32_e32 v21, 0xffff, v2
	;;#ASMSTART
	v_cvt_f32_f16 v7, v21;
	;;#ASMEND
	;;#ASMSTART
	v_cvt_f32_f16 v6, v12;
	;;#ASMEND
	;; [unrolled: 3-line block ×4, first 2 shown]
	v_pk_fma_f32 v[0:1], v[6:7], v[12:13], v[0:1]
	v_add_f32_e32 v2, v4, v11
	v_and_b32_e32 v14, 0xffff, v3
	v_lshrrev_b32_e32 v6, 16, v3
	v_and_b32_e32 v7, 0xffff, v5
	;;#ASMSTART
	v_cvt_f32_f16 v5, v14;
	;;#ASMEND
	v_add_f32_e32 v4, v10, v2
	v_pk_fma_f32 v[2:3], v[86:87], v[78:79], v[8:9]
	s_delay_alu instid0(VALU_DEP_2)
	v_add_f32_e32 v1, v4, v1
	;;#ASMSTART
	v_cvt_f32_f16 v4, v6;
	;;#ASMEND
	;;#ASMSTART
	v_cvt_f32_f16 v7, v7;
	;;#ASMEND
	;; [unrolled: 3-line block ×3, first 2 shown]
	v_pk_fma_f32 v[2:3], v[4:5], v[6:7], v[2:3]
	v_dual_add_f32 v0, v0, v1 :: v_dual_mul_f32 v1, s34, v59
	s_delay_alu instid0(VALU_DEP_1) | instskip(NEXT) | instid1(VALU_DEP_1)
	v_dual_add_f32 v0, v0, v3 :: v_dual_cndmask_b32 v1, 0, v1
	v_dual_add_f32 v0, v2, v0 :: v_dual_max_num_f32 v2, v73, v73
	s_delay_alu instid0(VALU_DEP_1) | instskip(SKIP_3) | instid1(VALU_DEP_1)
	v_fmac_f32_e32 v1, s23, v0
	scratch_load_b32 v0, off, off           ; 4-byte Folded Reload
	s_wait_loadcnt 0x0
	v_dual_max_num_f32 v2, v2, v1 :: v_dual_add_nc_u32 v0, v0, v60
	v_cmp_gt_i32_e64 s3, s29, v0
	s_delay_alu instid0(VALU_DEP_1)
	v_dual_cndmask_b32 v73, v73, v2, s3 :: v_dual_cndmask_b32 v0, 0, v1, s3
	ds_store_b32 v77, v0
	s_branch .LBB95_10
.LBB95_15:
	s_or_b32 exec_lo, exec_lo, s36
	s_clause 0x4
	scratch_load_b32 v75, off, off offset:8
	scratch_load_b32 v76, off, off offset:12
	;; [unrolled: 1-line block ×5, first 2 shown]
.LBB95_16:
	s_wait_xcnt 0x0
	s_or_b32 exec_lo, exec_lo, s22
	v_mbcnt_lo_u32_b32 v0, -1, 0
	s_clause 0x1
	s_load_b64 s[10:11], s[0:1], 0x0
	s_load_b64 s[22:23], s[0:1], 0x18
	s_delay_alu instid0(VALU_DEP_1) | instskip(SKIP_2) | instid1(VALU_DEP_3)
	v_dual_max_num_f32 v4, v73, v73 :: v_dual_bitop2_b32 v1, 16, v0 bitop3:0x14
	v_xor_b32_e32 v3, 8, v0
	v_xor_b32_e32 v5, 4, v0
	v_cmp_gt_i32_e32 vcc_lo, 32, v1
	v_cndmask_b32_e32 v1, v0, v1, vcc_lo
	s_delay_alu instid0(VALU_DEP_4) | instskip(NEXT) | instid1(VALU_DEP_2)
	v_cmp_gt_i32_e32 vcc_lo, 32, v3
	v_dual_cndmask_b32 v3, v0, v3 :: v_dual_lshlrev_b32 v2, 2, v1
	v_cmp_gt_i32_e32 vcc_lo, 32, v5
	ds_bpermute_b32 v1, v2, v73
	s_wait_dscnt 0x0
	v_dual_lshlrev_b32 v3, 2, v3 :: v_dual_max_num_f32 v1, v1, v1
	s_delay_alu instid0(VALU_DEP_1) | instskip(SKIP_3) | instid1(VALU_DEP_1)
	v_max_num_f32_e32 v1, v4, v1
	ds_bpermute_b32 v4, v3, v1
	s_wait_dscnt 0x0
	v_max_num_f32_e32 v6, v4, v4
	v_dual_cndmask_b32 v5, v0, v5, vcc_lo :: v_dual_max_num_f32 v1, v1, v6
	s_delay_alu instid0(VALU_DEP_1) | instskip(SKIP_3) | instid1(VALU_DEP_1)
	v_lshlrev_b32_e32 v4, 2, v5
	ds_bpermute_b32 v5, v4, v1
	s_wait_dscnt 0x0
	v_dual_max_num_f32 v5, v5, v5 :: v_dual_bitop2_b32 v6, 2, v0 bitop3:0x14
	v_cmp_gt_i32_e32 vcc_lo, 32, v6
	s_delay_alu instid0(VALU_DEP_2) | instskip(NEXT) | instid1(VALU_DEP_1)
	v_dual_max_num_f32 v1, v1, v5 :: v_dual_cndmask_b32 v6, v0, v6
	v_dual_lshlrev_b32 v28, 2, v6 :: v_dual_bitop2_b32 v6, 1, v0 bitop3:0x14
	ds_bpermute_b32 v5, v28, v1
	v_cmp_gt_i32_e32 vcc_lo, 32, v6
	v_cndmask_b32_e32 v0, v0, v6, vcc_lo
	s_delay_alu instid0(VALU_DEP_1) | instskip(SKIP_4) | instid1(VALU_DEP_1)
	v_lshlrev_b32_e32 v27, 2, v0
	scratch_load_b32 v0, off, off           ; 4-byte Folded Reload
	s_wait_dscnt 0x0
	v_max_num_f32_e32 v5, v5, v5
	s_wait_loadcnt 0x4
	v_dual_max_num_f32 v6, v1, v5 :: v_dual_lshlrev_b32 v5, 2, v76
	ds_bpermute_b32 v7, v27, v6
	s_wait_loadcnt 0x0
	v_cmp_eq_u32_e32 vcc_lo, 0, v0
	s_wait_xcnt 0x0
	s_and_saveexec_b32 s0, vcc_lo
	s_cbranch_execz .LBB95_18
; %bb.17:
	s_wait_dscnt 0x0
	v_dual_max_num_f32 v0, v7, v7 :: v_dual_max_num_f32 v1, v6, v6
	s_delay_alu instid0(VALU_DEP_1)
	v_max_num_f32_e32 v0, v1, v0
	ds_store_b32 v5, v0 offset:240
.LBB95_18:
	s_or_b32 exec_lo, exec_lo, s0
	scratch_load_b32 v0, off, off           ; 4-byte Folded Reload
	v_mov_b32_e32 v6, 0xff7fffff
	s_wait_storecnt 0x0
	s_wait_loadcnt_dscnt 0x0
	s_barrier_signal -1
	s_barrier_wait -1
	v_cmp_gt_u32_e64 s0, 4, v0
	s_and_saveexec_b32 s1, s0
; %bb.19:
	ds_load_b32 v6, v10 offset:240
; %bb.20:
	s_or_b32 exec_lo, exec_lo, s1
	s_wait_dscnt 0x0
	ds_bpermute_b32 v0, v28, v6
	v_max_num_f32_e32 v1, v6, v6
	s_lshl_b32 s1, s31, 5
	v_mov_b32_e32 v6, 0
	s_min_i32 s4, s1, s29
	s_delay_alu instid0(SALU_CYCLE_1) | instskip(SKIP_2) | instid1(VALU_DEP_1)
	v_cmp_gt_i32_e64 s1, s4, v75
	s_wait_dscnt 0x0
	v_max_num_f32_e32 v0, v0, v0
	v_max_num_f32_e32 v0, v1, v0
	ds_bpermute_b32 v1, v27, v0
	s_wait_dscnt 0x0
	v_max_num_f32_e32 v1, v1, v1
	s_delay_alu instid0(VALU_DEP_1)
	v_max_num_f32_e32 v0, v0, v1
	ds_bpermute_b32 v7, v6, v0
	s_and_saveexec_b32 s21, s1
	s_cbranch_execz .LBB95_24
; %bb.21:
	v_lshl_add_u32 v8, v75, 2, 0x110
	v_dual_mov_b32 v6, 0 :: v_dual_mov_b32 v9, v75
	s_mov_b32 s24, 0
.LBB95_22:                              ; =>This Inner Loop Header: Depth=1
	ds_load_b32 v0, v8
	v_add_nc_u32_e32 v9, 0x80, v9
	s_delay_alu instid0(VALU_DEP_1) | instskip(SKIP_3) | instid1(VALU_DEP_1)
	v_cmp_le_i32_e64 s3, s4, v9
	s_or_b32 s24, s3, s24
	s_wait_dscnt 0x0
	v_sub_f32_e32 v0, v0, v7
	v_mul_f32_e32 v0, 0x3fb8aa3b, v0
	s_delay_alu instid0(VALU_DEP_1)
	v_exp_f32_e32 v0, v0
	ds_store_b32 v8, v0
	v_nop
	v_add_f32_e32 v6, v6, v0
	v_add_nc_u32_e32 v8, 0x200, v8
	s_and_not1_b32 exec_lo, exec_lo, s24
	s_cbranch_execnz .LBB95_22
; %bb.23:
	s_or_b32 exec_lo, exec_lo, s24
.LBB95_24:
	s_delay_alu instid0(SALU_CYCLE_1)
	s_or_b32 exec_lo, exec_lo, s21
	ds_bpermute_b32 v0, v2, v6
	s_wait_dscnt 0x0
	v_add_f32_e32 v0, v6, v0
	ds_bpermute_b32 v1, v3, v0
	s_wait_dscnt 0x0
	v_add_f32_e32 v0, v0, v1
	ds_bpermute_b32 v1, v4, v0
	s_wait_dscnt 0x0
	v_add_f32_e32 v0, v0, v1
	ds_bpermute_b32 v1, v28, v0
	s_wait_dscnt 0x0
	v_add_f32_e32 v0, v0, v1
	ds_bpermute_b32 v1, v27, v0
	s_wait_dscnt 0x0
	v_add_f32_e32 v2, v0, v1
	s_and_saveexec_b32 s3, vcc_lo
; %bb.25:
	ds_store_b32 v5, v2 offset:256
; %bb.26:
	s_or_b32 exec_lo, exec_lo, s3
	s_wait_dscnt 0x0
	s_barrier_signal -1
	s_barrier_wait -1
	s_and_saveexec_b32 s3, s0
; %bb.27:
	ds_load_b32 v2, v10 offset:256
; %bb.28:
	s_or_b32 exec_lo, exec_lo, s3
	s_wait_dscnt 0x0
	ds_bpermute_b32 v0, v28, v2
	s_wait_dscnt 0x0
	v_dual_mov_b32 v7, 0 :: v_dual_add_f32 v0, v2, v0
	ds_bpermute_b32 v1, v27, v0
	s_wait_dscnt 0x0
	v_add_f32_e32 v0, v0, v1
	ds_bpermute_b32 v2, v7, v0
	s_and_saveexec_b32 s0, s1
	s_cbranch_execz .LBB95_41
; %bb.29:
	s_wait_dscnt 0x0
	v_add_f32_e32 v0, 0x358637bd, v2
	s_mov_b32 s3, -1
	s_mov_b32 s1, exec_lo
	s_delay_alu instid0(VALU_DEP_1) | instskip(SKIP_1) | instid1(VALU_DEP_2)
	v_div_scale_f32 v1, null, v0, v0, 1.0
	v_div_scale_f32 v4, vcc_lo, 1.0, v0, 1.0
	v_rcp_f32_e32 v2, v1
	v_nop
	s_delay_alu instid0(TRANS32_DEP_1) | instskip(NEXT) | instid1(VALU_DEP_1)
	v_fma_f32 v3, -v1, v2, 1.0
	v_fmac_f32_e32 v2, v3, v2
	s_delay_alu instid0(VALU_DEP_1) | instskip(NEXT) | instid1(VALU_DEP_1)
	v_mul_f32_e32 v3, v4, v2
	v_fma_f32 v5, -v1, v3, v4
	s_delay_alu instid0(VALU_DEP_1) | instskip(NEXT) | instid1(VALU_DEP_1)
	v_fmac_f32_e32 v3, v5, v2
	v_fma_f32 v1, -v1, v3, v4
	v_xad_u32 v4, v75, -1, s4
	s_delay_alu instid0(VALU_DEP_2) | instskip(SKIP_1) | instid1(VALU_DEP_2)
	v_div_fmas_f32 v1, v1, v2, v3
	v_mov_b32_e32 v3, v75
	v_div_fixup_f32 v2, v1, v0, 1.0
	s_delay_alu instid0(VALU_DEP_4)
	v_cmpx_lt_u32_e32 0x7f, v4
	s_cbranch_execz .LBB95_38
; %bb.30:
	s_delay_alu instid0(VALU_DEP_2) | instskip(SKIP_1) | instid1(VALU_DEP_1)
	v_dual_mov_b32 v3, v2 :: v_dual_lshrrev_b32 v4, 7, v4
	s_mov_b32 s3, exec_lo
	v_dual_mov_b32 v9, 0 :: v_dual_add_nc_u32 v0, -1, v4
	s_delay_alu instid0(VALU_DEP_1) | instskip(NEXT) | instid1(VALU_DEP_1)
	v_lshrrev_b32_e32 v1, 1, v0
	v_add_nc_u32_e32 v5, 1, v1
	v_cmpx_lt_u32_e32 13, v0
	s_cbranch_execz .LBB95_34
; %bb.31:
	s_delay_alu instid0(VALU_DEP_2)
	v_and_b32_e32 v6, -8, v5
	v_lshl_add_u32 v8, v75, 2, 0x110
	s_mov_b32 s21, 0
	s_mov_b32 s24, 0
.LBB95_32:                              ; =>This Inner Loop Header: Depth=1
	ds_load_2addr_stride64_b32 v[0:1], v8 offset1:2
	ds_load_2addr_stride64_b32 v[10:11], v8 offset0:4 offset1:6
	ds_load_2addr_stride64_b32 v[12:13], v8 offset0:8 offset1:10
	;; [unrolled: 1-line block ×7, first 2 shown]
	s_add_co_i32 s24, s24, 16
	s_delay_alu instid0(SALU_CYCLE_1) | instskip(NEXT) | instid1(VALU_DEP_1)
	v_dual_mov_b32 v9, s24 :: v_dual_add_nc_u32 v6, -8, v6
	v_cmp_eq_u32_e32 vcc_lo, 0, v6
	s_or_b32 s21, vcc_lo, s21
	s_wait_dscnt 0x7
	v_pk_mul_f32 v[0:1], v[2:3], v[0:1]
	s_wait_dscnt 0x6
	v_pk_mul_f32 v[10:11], v[2:3], v[10:11]
	;; [unrolled: 2-line block ×8, first 2 shown]
	ds_store_2addr_stride64_b32 v8, v0, v1 offset1:2
	ds_store_2addr_stride64_b32 v8, v10, v11 offset0:4 offset1:6
	ds_store_2addr_stride64_b32 v8, v12, v13 offset0:8 offset1:10
	;; [unrolled: 1-line block ×7, first 2 shown]
	v_add_nc_u32_e32 v8, 0x2000, v8
	s_and_not1_b32 exec_lo, exec_lo, s21
	s_cbranch_execnz .LBB95_32
; %bb.33:
	s_or_b32 exec_lo, exec_lo, s21
.LBB95_34:
	s_delay_alu instid0(SALU_CYCLE_1) | instskip(NEXT) | instid1(VALU_DEP_2)
	s_or_b32 exec_lo, exec_lo, s3
	v_and_b32_e32 v5, 7, v5
	s_mov_b32 s21, 0
	s_mov_b32 s3, exec_lo
	s_delay_alu instid0(VALU_DEP_1)
	v_cmpx_ne_u32_e32 0, v5
	s_cbranch_execz .LBB95_37
; %bb.35:
	v_dual_lshlrev_b32 v0, 9, v9 :: v_dual_lshlrev_b32 v1, 2, v75
	s_delay_alu instid0(VALU_DEP_1)
	v_add3_u32 v6, v0, v1, 0x110
.LBB95_36:                              ; =>This Inner Loop Header: Depth=1
	ds_load_2addr_stride64_b32 v[0:1], v6 offset1:2
	v_add_nc_u32_e32 v5, -1, v5
	s_delay_alu instid0(VALU_DEP_1)
	v_cmp_eq_u32_e32 vcc_lo, 0, v5
	s_or_b32 s21, vcc_lo, s21
	s_wait_dscnt 0x0
	v_pk_mul_f32 v[0:1], v[2:3], v[0:1]
	ds_store_2addr_stride64_b32 v6, v0, v1 offset1:2
	v_add_nc_u32_e32 v6, 0x400, v6
	s_and_not1_b32 exec_lo, exec_lo, s21
	s_cbranch_execnz .LBB95_36
.LBB95_37:
	s_or_b32 exec_lo, exec_lo, s3
	v_add_nc_u32_e32 v0, 1, v4
	s_delay_alu instid0(VALU_DEP_1) | instskip(NEXT) | instid1(VALU_DEP_1)
	v_and_b32_e32 v1, 0x3fffffe, v0
	v_cmp_ne_u32_e32 vcc_lo, v0, v1
	v_lshl_add_u32 v3, v1, 7, v75
	s_or_not1_b32 s3, vcc_lo, exec_lo
.LBB95_38:
	s_or_b32 exec_lo, exec_lo, s1
	s_delay_alu instid0(SALU_CYCLE_1)
	s_and_b32 exec_lo, exec_lo, s3
	s_cbranch_execz .LBB95_41
; %bb.39:
	v_lshl_add_u32 v4, v3, 2, 0x110
	s_mov_b32 s1, 0
.LBB95_40:                              ; =>This Inner Loop Header: Depth=1
	ds_load_b32 v0, v4
	s_wait_dscnt 0x0
	v_dual_mul_f32 v0, v2, v0 :: v_dual_add_nc_u32 v3, 0x80, v3
	s_delay_alu instid0(VALU_DEP_1) | instskip(SKIP_3) | instid1(SALU_CYCLE_1)
	v_cmp_le_i32_e32 vcc_lo, s4, v3
	ds_store_b32 v4, v0
	v_add_nc_u32_e32 v4, 0x200, v4
	s_or_b32 s1, vcc_lo, s1
	s_and_not1_b32 exec_lo, exec_lo, s1
	s_cbranch_execnz .LBB95_40
.LBB95_41:
	s_or_b32 exec_lo, exec_lo, s0
	v_dual_mov_b32 v6, 0 :: v_dual_bitop2_b32 v29, 3, v75 bitop3:0x40
	v_dual_mov_b32 v9, 0 :: v_dual_mov_b32 v8, 0
	v_dual_mov_b32 v11, 0 :: v_dual_mov_b32 v10, 0
	;; [unrolled: 1-line block ×6, first 2 shown]
	v_mov_b32_e32 v30, 0
	s_wait_dscnt 0x0
	s_barrier_signal -1
	s_barrier_wait -1
	s_and_saveexec_b32 s1, s2
	s_cbranch_execz .LBB95_77
; %bb.42:
	s_abs_i32 s6, s6
	v_dual_lshlrev_b32 v3, 3, v75 :: v_dual_mov_b32 v59, 0
	s_cvt_f32_u32 s0, s6
	v_lshlrev_b32_e32 v4, 5, v29
	s_ashr_i32 s21, s20, 31
	v_and_b32_e32 v0, 0x1f0, v24
	v_rcp_iflag_f32_e32 v1, s0
	v_and_b32_e32 v2, 0x7c, v25
	v_dual_mov_b32 v3, v59 :: v_dual_bitop2_b32 v31, 24, v3 bitop3:0x40
	s_lshl_b64 s[18:19], s[18:19], 2
	s_lshl_b64 s[20:21], s[20:21], 1
	s_add_nc_u64 s[16:17], s[16:17], s[18:19]
	s_delay_alu instid0(TRANS32_DEP_1)
	v_readfirstlane_b32 s0, v1
	v_mov_b32_e32 v1, v59
	v_lshl_or_b32 v4, v76, 7, v4
	s_wait_kmcnt 0x0
	s_add_nc_u64 s[18:19], s[22:23], s[20:21]
	s_sub_co_i32 s4, 0, s6
	s_mul_f32 s0, s0, 0x4f7ffffe
	v_add_nc_u64_e32 v[20:21], s[18:19], v[0:1]
	v_add_nc_u64_e32 v[22:23], s[16:17], v[2:3]
	v_dual_mov_b32 v33, v76 :: v_dual_add_nc_u32 v32, 0x110, v4
	s_cvt_u32_f32 s0, s0
	v_dual_mov_b32 v30, v59 :: v_dual_mov_b32 v18, v59
	v_dual_mov_b32 v19, v59 :: v_dual_mov_b32 v16, v59
	s_delay_alu instid0(SALU_CYCLE_1)
	s_mul_i32 s4, s4, s0
	v_dual_mov_b32 v17, v59 :: v_dual_mov_b32 v14, v59
	v_dual_mov_b32 v15, v59 :: v_dual_mov_b32 v12, v59
	;; [unrolled: 1-line block ×5, first 2 shown]
	v_mov_b32_e32 v7, v59
	s_sub_co_i32 s24, s33, s5
	s_mov_b32 s5, 0
	s_mul_hi_u32 s4, s0, s4
	s_ashr_i32 s3, s9, 31
	s_mov_b32 s2, s9
	s_add_co_i32 s9, s31, -1
	s_mov_b32 s16, s29
	s_add_co_i32 s4, s0, s4
	s_mov_b32 s17, s5
	s_branch .LBB95_45
.LBB95_43:                              ;   in Loop: Header=BB95_45 Depth=1
	s_or_b32 exec_lo, exec_lo, s0
	v_dual_add_f32 v26, v26, v42 :: v_dual_add_f32 v34, v71, v73
	v_dual_add_f32 v0, v0, v70 :: v_dual_lshlrev_b32 v24, 16, v24
	s_delay_alu instid0(VALU_DEP_2) | instskip(NEXT) | instid1(VALU_DEP_3)
	v_dual_lshlrev_b32 v25, 16, v25 :: v_dual_add_f32 v7, v7, v26
	v_dual_add_f32 v6, v6, v34 :: v_dual_add_f32 v26, v67, v68
	s_delay_alu instid0(VALU_DEP_3) | instskip(SKIP_4) | instid1(VALU_DEP_3)
	v_add_f32_e32 v9, v9, v0
	v_add_f32_e32 v0, v69, v72
	v_dual_add_f32 v36, v61, v62 :: v_dual_lshlrev_b32 v1, 16, v1
	v_and_or_b32 v2, 0xffff, v2, v24
	;;#ASMSTART
	v_pk_mul_f16 v2, v44, v2;

	;;#ASMEND
	v_add_f32_e32 v8, v8, v0
	v_add_f32_e32 v0, v57, v60
	v_and_or_b32 v1, 0xffff, v3, v1
	v_and_or_b32 v3, 0xffff, v4, v25
	;;#ASMSTART
	v_pk_mul_f16 v1, v43, v1;

	;;#ASMEND
	;;#ASMSTART
	v_pk_mul_f16 v3, v45, v3;

	;;#ASMEND
	;; [unrolled: 4-line block ×3, first 2 shown]
	;;#ASMSTART
	v_pk_add_f16 v1, v2, v1;

	;;#ASMEND
	;;#ASMSTART
	v_pk_add_f16 v1, v1, v3;

	;;#ASMEND
	;; [unrolled: 4-line block ×3, first 2 shown]
	v_and_b32_e32 v4, 0xffff, v1
	v_dual_lshrrev_b32 v5, 16, v1 :: v_dual_add_f32 v1, v51, v52
	;;#ASMSTART
	v_cvt_f32_f16 v4, v4;
	;;#ASMEND
	v_dual_add_f32 v34, v65, v66 :: v_dual_add_f32 v35, v63, v64
	v_add_f32_e32 v11, v11, v26
	v_add_f32_e32 v26, v55, v56
	v_dual_add_f32 v15, v15, v0 :: v_dual_add_f32 v0, v53, v54
	v_dual_add_f32 v2, v49, v50 :: v_dual_add_f32 v3, v47, v48
	;;#ASMSTART
	v_cvt_f32_f16 v5, v5;
	;;#ASMEND
	s_delay_alu instid0(VALU_DEP_2)
	v_dual_add_f32 v4, v4, v5 :: v_dual_add_f32 v17, v17, v0
	v_dual_add_f32 v10, v10, v34 :: v_dual_add_f32 v12, v12, v36
	;; [unrolled: 1-line block ×4, first 2 shown]
	v_add_f32_e32 v18, v18, v3
	v_add_f32_e32 v30, v30, v4
.LBB95_44:                              ;   in Loop: Header=BB95_45 Depth=1
	s_or_b32 exec_lo, exec_lo, s18
	v_add_nc_u32_e32 v33, 4, v33
	v_add_nc_u64_e32 v[22:23], 16, v[22:23]
	v_add_nc_u32_e32 v58, 0x80, v58
	v_add_nc_u32_e32 v32, 0x200, v32
	s_delay_alu instid0(VALU_DEP_4) | instskip(SKIP_1) | instid1(SALU_CYCLE_1)
	v_cmp_le_i32_e32 vcc_lo, s31, v33
	s_or_b32 s17, vcc_lo, s17
	s_and_not1_b32 exec_lo, exec_lo, s17
	s_cbranch_execz .LBB95_76
.LBB95_45:                              ; =>This Inner Loop Header: Depth=1
	v_mul_u64_e32 v[0:1], s[14:15], v[58:59]
	s_delay_alu instid0(VALU_DEP_1) | instskip(NEXT) | instid1(VALU_DEP_1)
	v_mul_lo_u32 v0, v1, s8
	v_dual_add_nc_u32 v2, 1, v1 :: v_dual_sub_nc_u32 v0, v58, v0
	s_delay_alu instid0(VALU_DEP_1) | instskip(SKIP_1) | instid1(VALU_DEP_2)
	v_subrev_nc_u32_e32 v3, s8, v0
	v_cmp_le_u32_e32 vcc_lo, s8, v0
	v_dual_cndmask_b32 v1, v1, v2 :: v_dual_cndmask_b32 v0, v0, v3
	s_delay_alu instid0(VALU_DEP_1) | instskip(NEXT) | instid1(VALU_DEP_2)
	v_add_nc_u32_e32 v2, 1, v1
	v_cmp_le_u32_e32 vcc_lo, s8, v0
	s_delay_alu instid0(VALU_DEP_2) | instskip(NEXT) | instid1(VALU_DEP_1)
	v_dual_cndmask_b32 v0, v1, v2 :: v_dual_mov_b32 v1, v59
	v_xor_b32_e32 v0, s30, v0
	s_delay_alu instid0(VALU_DEP_1) | instskip(NEXT) | instid1(VALU_DEP_1)
	v_subrev_nc_u32_e32 v4, s30, v0
	v_add_nc_u32_e32 v5, s13, v4
	v_cmp_lt_i32_e64 s0, s24, v4
	s_delay_alu instid0(VALU_DEP_2) | instskip(NEXT) | instid1(VALU_DEP_1)
	v_sub_nc_u32_e32 v0, 0, v5
	v_max_i32_e32 v0, v5, v0
	s_delay_alu instid0(VALU_DEP_1) | instskip(SKIP_1) | instid1(VALU_DEP_2)
	v_mul_u64_e32 v[2:3], s[4:5], v[0:1]
	v_ashrrev_i32_e32 v2, 31, v5
	v_mul_lo_u32 v1, v3, s6
	s_delay_alu instid0(VALU_DEP_1) | instskip(NEXT) | instid1(VALU_DEP_1)
	v_sub_nc_u32_e32 v0, v0, v1
	v_subrev_nc_u32_e32 v1, s6, v0
	v_cmp_le_u32_e32 vcc_lo, s6, v0
	s_delay_alu instid0(VALU_DEP_2) | instskip(NEXT) | instid1(VALU_DEP_1)
	v_cndmask_b32_e32 v0, v0, v1, vcc_lo
	v_subrev_nc_u32_e32 v1, s6, v0
	v_cmp_le_u32_e32 vcc_lo, s6, v0
	s_delay_alu instid0(VALU_DEP_2) | instskip(NEXT) | instid1(VALU_DEP_1)
	v_cndmask_b32_e32 v0, v0, v1, vcc_lo
	v_xor_b32_e32 v0, v0, v2
	s_delay_alu instid0(VALU_DEP_1) | instskip(NEXT) | instid1(VALU_DEP_1)
	v_sub_nc_u32_e32 v0, v0, v2
	v_cmp_eq_u32_e32 vcc_lo, 0, v0
	s_or_b32 s0, vcc_lo, s0
	s_delay_alu instid0(SALU_CYCLE_1)
	s_and_saveexec_b32 s18, s0
	s_cbranch_execz .LBB95_44
; %bb.46:                               ;   in Loop: Header=BB95_45 Depth=1
	global_load_b32 v0, v[22:23], off
	v_cmp_eq_u32_e32 vcc_lo, s9, v33
	v_add_nc_u32_e32 v38, v31, v58
	s_delay_alu instid0(VALU_DEP_1) | instskip(SKIP_2) | instid1(VALU_DEP_1)
	v_dual_add_nc_u32 v40, 2, v38 :: v_dual_bitop2_b32 v41, 3, v38 bitop3:0x54
	s_wait_loadcnt 0x0
	v_dual_ashrrev_i32 v1, 31, v0 :: v_dual_bitop2_b32 v39, 1, v38 bitop3:0x54
	v_mul_u64_e32 v[4:5], s[2:3], v[0:1]
	ds_load_2addr_b64 v[0:3], v32 offset1:1
	ds_load_2addr_b64 v[34:37], v32 offset0:2 offset1:3
	s_wait_dscnt 0x1
	;;#ASMSTART
	v_cvt_f16_f32 v44, v0;

	;;#ASMEND
	;;#ASMSTART
	v_cvt_f16_f32 v43, v1;

	;;#ASMEND
	;; [unrolled: 4-line block ×4, first 2 shown]
	s_wait_dscnt 0x0
	;;#ASMSTART
	v_cvt_f16_f32 v49, v34;

	;;#ASMEND
	;;#ASMSTART
	v_cvt_f16_f32 v45, v35;

	;;#ASMEND
	;; [unrolled: 4-line block ×4, first 2 shown]
	v_dual_add_nc_u32 v35, 4, v38 :: v_dual_add_nc_u32 v34, 5, v38
	v_dual_add_nc_u32 v37, 6, v38 :: v_dual_add_nc_u32 v36, 7, v38
	v_lshl_add_u64 v[24:25], v[4:5], 1, v[20:21]
	global_load_b128 v[2:5], v[24:25], off
	s_wait_loadcnt 0x0
	v_dual_lshrrev_b32 v1, 16, v3 :: v_dual_lshrrev_b32 v26, 16, v2
	v_lshrrev_b32_e32 v42, 16, v4
	s_and_saveexec_b32 s19, vcc_lo
	s_cbranch_execz .LBB95_48
; %bb.47:                               ;   in Loop: Header=BB95_45 Depth=1
	v_cmp_gt_i32_e64 s0, s29, v38
	v_and_b32_e32 v50, 0xffff, v5
	v_and_b32_e32 v5, 0xffff0000, v5
	s_delay_alu instid0(VALU_DEP_3) | instskip(SKIP_1) | instid1(VALU_DEP_1)
	v_cndmask_b32_e64 v2, 0, v2, s0
	v_cmp_gt_i32_e64 s0, s29, v40
	v_cndmask_b32_e64 v3, 0, v3, s0
	v_cmp_gt_i32_e64 s0, s16, v41
	s_delay_alu instid0(VALU_DEP_1) | instskip(SKIP_1) | instid1(VALU_DEP_1)
	v_cndmask_b32_e64 v1, 0, v1, s0
	v_cmp_gt_i32_e64 s0, s29, v39
	v_cndmask_b32_e64 v26, 0, v26, s0
	v_cmp_gt_i32_e64 s0, s29, v37
	s_delay_alu instid0(VALU_DEP_1) | instskip(SKIP_1) | instid1(VALU_DEP_1)
	;; [unrolled: 5-line block ×3, first 2 shown]
	v_dual_cndmask_b32 v4, 0, v4, s0 :: v_dual_bitop2_b32 v5, v50, v5 bitop3:0x54
	v_cmp_gt_i32_e64 s0, s29, v34
	v_cndmask_b32_e64 v42, 0, v42, s0
.LBB95_48:                              ;   in Loop: Header=BB95_45 Depth=1
	s_or_b32 exec_lo, exec_lo, s19
	v_and_b32_e32 v44, 0xffff, v44
	v_and_b32_e32 v48, 0xffff, v48
	v_dual_lshlrev_b32 v26, 16, v26 :: v_dual_lshlrev_b32 v1, 16, v1
	v_lshlrev_b32_e32 v42, 16, v42
	s_delay_alu instid0(VALU_DEP_4) | instskip(NEXT) | instid1(VALU_DEP_4)
	v_lshl_or_b32 v44, v43, 16, v44
	v_lshl_or_b32 v43, v46, 16, v48
	v_and_b32_e32 v46, 0xffff, v47
	v_and_b32_e32 v49, 0xffff, v49
	v_and_or_b32 v2, 0xffff, v2, v26
	v_and_or_b32 v1, 0xffff, v3, v1
	;; [unrolled: 1-line block ×3, first 2 shown]
	v_lshl_or_b32 v46, v0, 16, v46
	;;#ASMSTART
	v_pk_mul_f16 v0, v44, v2;

	;;#ASMEND
	v_lshl_or_b32 v45, v45, 16, v49
	;;#ASMSTART
	v_pk_mul_f16 v1, v43, v1;

	;;#ASMEND
	;;#ASMSTART
	v_pk_mul_f16 v2, v45, v3;

	;;#ASMEND
	;; [unrolled: 4-line block ×3, first 2 shown]
	;;#ASMSTART
	v_pk_add_f16 v0, v0, v1;

	;;#ASMEND
	;;#ASMSTART
	v_pk_add_f16 v0, v0, v2;

	;;#ASMEND
	;; [unrolled: 4-line block ×3, first 2 shown]
	v_and_b32_e32 v1, 0xffff, v0
	v_lshrrev_b32_e32 v0, 16, v0
	;;#ASMSTART
	v_cvt_f32_f16 v47, v1;
	;;#ASMEND
	;;#ASMSTART
	v_cvt_f32_f16 v48, v0;
	;;#ASMEND
	global_load_b128 v[2:5], v[24:25], off offset:512
	s_wait_loadcnt 0x0
	v_dual_lshrrev_b32 v1, 16, v3 :: v_dual_lshrrev_b32 v26, 16, v2
	v_lshrrev_b32_e32 v42, 16, v4
	s_and_saveexec_b32 s19, vcc_lo
	s_cbranch_execz .LBB95_50
; %bb.49:                               ;   in Loop: Header=BB95_45 Depth=1
	v_cmp_gt_i32_e64 s0, s29, v38
	v_and_b32_e32 v0, 0xffff, v5
	v_and_b32_e32 v5, 0xffff0000, v5
	s_delay_alu instid0(VALU_DEP_3) | instskip(SKIP_1) | instid1(VALU_DEP_1)
	v_cndmask_b32_e64 v2, 0, v2, s0
	v_cmp_gt_i32_e64 s0, s29, v40
	v_cndmask_b32_e64 v3, 0, v3, s0
	v_cmp_gt_i32_e64 s0, s16, v41
	s_delay_alu instid0(VALU_DEP_1) | instskip(SKIP_1) | instid1(VALU_DEP_1)
	v_cndmask_b32_e64 v1, 0, v1, s0
	v_cmp_gt_i32_e64 s0, s29, v39
	v_cndmask_b32_e64 v26, 0, v26, s0
	v_cmp_gt_i32_e64 s0, s29, v37
	s_delay_alu instid0(VALU_DEP_1) | instskip(SKIP_1) | instid1(VALU_DEP_1)
	;; [unrolled: 5-line block ×3, first 2 shown]
	v_dual_cndmask_b32 v4, 0, v4, s0 :: v_dual_bitop2_b32 v5, v0, v5 bitop3:0x54
	v_cmp_gt_i32_e64 s0, s29, v34
	v_cndmask_b32_e64 v42, 0, v42, s0
.LBB95_50:                              ;   in Loop: Header=BB95_45 Depth=1
	s_or_b32 exec_lo, exec_lo, s19
	v_dual_lshlrev_b32 v0, 16, v26 :: v_dual_lshlrev_b32 v1, 16, v1
	s_delay_alu instid0(VALU_DEP_2) | instskip(NEXT) | instid1(VALU_DEP_2)
	v_lshlrev_b32_e32 v26, 16, v42
	v_and_or_b32 v0, 0xffff, v2, v0
	s_delay_alu instid0(VALU_DEP_3) | instskip(NEXT) | instid1(VALU_DEP_3)
	v_and_or_b32 v1, 0xffff, v3, v1
	v_and_or_b32 v2, 0xffff, v4, v26
	;;#ASMSTART
	v_pk_mul_f16 v0, v44, v0;

	;;#ASMEND
	;;#ASMSTART
	v_pk_mul_f16 v1, v43, v1;

	;;#ASMEND
	;; [unrolled: 4-line block ×4, first 2 shown]
	;;#ASMSTART
	v_pk_add_f16 v0, v0, v1;

	;;#ASMEND
	;;#ASMSTART
	v_pk_add_f16 v0, v0, v2;

	;;#ASMEND
	;; [unrolled: 4-line block ×3, first 2 shown]
	v_and_b32_e32 v1, 0xffff, v0
	v_lshrrev_b32_e32 v0, 16, v0
	;;#ASMSTART
	v_cvt_f32_f16 v49, v1;
	;;#ASMEND
	;;#ASMSTART
	v_cvt_f32_f16 v50, v0;
	;;#ASMEND
	global_load_b128 v[2:5], v[24:25], off offset:1024
	s_wait_loadcnt 0x0
	v_dual_lshrrev_b32 v1, 16, v3 :: v_dual_lshrrev_b32 v26, 16, v2
	v_lshrrev_b32_e32 v42, 16, v4
	s_and_saveexec_b32 s19, vcc_lo
	s_cbranch_execz .LBB95_52
; %bb.51:                               ;   in Loop: Header=BB95_45 Depth=1
	v_cmp_gt_i32_e64 s0, s29, v38
	v_and_b32_e32 v0, 0xffff, v5
	v_and_b32_e32 v5, 0xffff0000, v5
	s_delay_alu instid0(VALU_DEP_3) | instskip(SKIP_1) | instid1(VALU_DEP_1)
	v_cndmask_b32_e64 v2, 0, v2, s0
	v_cmp_gt_i32_e64 s0, s29, v40
	v_cndmask_b32_e64 v3, 0, v3, s0
	v_cmp_gt_i32_e64 s0, s16, v41
	s_delay_alu instid0(VALU_DEP_1) | instskip(SKIP_1) | instid1(VALU_DEP_1)
	v_cndmask_b32_e64 v1, 0, v1, s0
	v_cmp_gt_i32_e64 s0, s29, v39
	v_cndmask_b32_e64 v26, 0, v26, s0
	v_cmp_gt_i32_e64 s0, s29, v37
	s_delay_alu instid0(VALU_DEP_1) | instskip(SKIP_1) | instid1(VALU_DEP_1)
	;; [unrolled: 5-line block ×3, first 2 shown]
	v_dual_cndmask_b32 v4, 0, v4, s0 :: v_dual_bitop2_b32 v5, v0, v5 bitop3:0x54
	v_cmp_gt_i32_e64 s0, s29, v34
	v_cndmask_b32_e64 v42, 0, v42, s0
.LBB95_52:                              ;   in Loop: Header=BB95_45 Depth=1
	s_or_b32 exec_lo, exec_lo, s19
	v_dual_lshlrev_b32 v0, 16, v26 :: v_dual_lshlrev_b32 v1, 16, v1
	s_delay_alu instid0(VALU_DEP_2) | instskip(NEXT) | instid1(VALU_DEP_2)
	v_lshlrev_b32_e32 v26, 16, v42
	v_and_or_b32 v0, 0xffff, v2, v0
	s_delay_alu instid0(VALU_DEP_3) | instskip(NEXT) | instid1(VALU_DEP_3)
	v_and_or_b32 v1, 0xffff, v3, v1
	v_and_or_b32 v2, 0xffff, v4, v26
	;;#ASMSTART
	v_pk_mul_f16 v0, v44, v0;

	;;#ASMEND
	;;#ASMSTART
	v_pk_mul_f16 v1, v43, v1;

	;;#ASMEND
	;; [unrolled: 4-line block ×4, first 2 shown]
	;;#ASMSTART
	v_pk_add_f16 v0, v0, v1;

	;;#ASMEND
	;;#ASMSTART
	v_pk_add_f16 v0, v0, v2;

	;;#ASMEND
	;; [unrolled: 4-line block ×3, first 2 shown]
	v_and_b32_e32 v1, 0xffff, v0
	v_lshrrev_b32_e32 v0, 16, v0
	;;#ASMSTART
	v_cvt_f32_f16 v51, v1;
	;;#ASMEND
	;;#ASMSTART
	v_cvt_f32_f16 v52, v0;
	;;#ASMEND
	global_load_b128 v[2:5], v[24:25], off offset:1536
	s_wait_loadcnt 0x0
	v_dual_lshrrev_b32 v1, 16, v3 :: v_dual_lshrrev_b32 v26, 16, v2
	v_lshrrev_b32_e32 v42, 16, v4
	s_and_saveexec_b32 s19, vcc_lo
	s_cbranch_execz .LBB95_54
; %bb.53:                               ;   in Loop: Header=BB95_45 Depth=1
	v_cmp_gt_i32_e64 s0, s29, v38
	v_and_b32_e32 v0, 0xffff, v5
	v_and_b32_e32 v5, 0xffff0000, v5
	s_delay_alu instid0(VALU_DEP_3) | instskip(SKIP_1) | instid1(VALU_DEP_1)
	v_cndmask_b32_e64 v2, 0, v2, s0
	v_cmp_gt_i32_e64 s0, s29, v40
	v_cndmask_b32_e64 v3, 0, v3, s0
	v_cmp_gt_i32_e64 s0, s16, v41
	s_delay_alu instid0(VALU_DEP_1) | instskip(SKIP_1) | instid1(VALU_DEP_1)
	v_cndmask_b32_e64 v1, 0, v1, s0
	v_cmp_gt_i32_e64 s0, s29, v39
	v_cndmask_b32_e64 v26, 0, v26, s0
	v_cmp_gt_i32_e64 s0, s29, v37
	s_delay_alu instid0(VALU_DEP_1) | instskip(SKIP_1) | instid1(VALU_DEP_1)
	;; [unrolled: 5-line block ×3, first 2 shown]
	v_dual_cndmask_b32 v4, 0, v4, s0 :: v_dual_bitop2_b32 v5, v0, v5 bitop3:0x54
	v_cmp_gt_i32_e64 s0, s29, v34
	v_cndmask_b32_e64 v42, 0, v42, s0
.LBB95_54:                              ;   in Loop: Header=BB95_45 Depth=1
	s_or_b32 exec_lo, exec_lo, s19
	v_dual_lshlrev_b32 v0, 16, v26 :: v_dual_lshlrev_b32 v1, 16, v1
	s_delay_alu instid0(VALU_DEP_2) | instskip(NEXT) | instid1(VALU_DEP_2)
	v_lshlrev_b32_e32 v26, 16, v42
	v_and_or_b32 v0, 0xffff, v2, v0
	s_delay_alu instid0(VALU_DEP_3) | instskip(NEXT) | instid1(VALU_DEP_3)
	v_and_or_b32 v1, 0xffff, v3, v1
	v_and_or_b32 v2, 0xffff, v4, v26
	;;#ASMSTART
	v_pk_mul_f16 v0, v44, v0;

	;;#ASMEND
	;;#ASMSTART
	v_pk_mul_f16 v1, v43, v1;

	;;#ASMEND
	;; [unrolled: 4-line block ×4, first 2 shown]
	;;#ASMSTART
	v_pk_add_f16 v0, v0, v1;

	;;#ASMEND
	;;#ASMSTART
	v_pk_add_f16 v0, v0, v2;

	;;#ASMEND
	;; [unrolled: 4-line block ×3, first 2 shown]
	v_and_b32_e32 v1, 0xffff, v0
	v_lshrrev_b32_e32 v0, 16, v0
	;;#ASMSTART
	v_cvt_f32_f16 v53, v1;
	;;#ASMEND
	;;#ASMSTART
	v_cvt_f32_f16 v54, v0;
	;;#ASMEND
	global_load_b128 v[2:5], v[24:25], off offset:2048
	s_wait_loadcnt 0x0
	v_dual_lshrrev_b32 v1, 16, v3 :: v_dual_lshrrev_b32 v26, 16, v2
	v_lshrrev_b32_e32 v42, 16, v4
	s_and_saveexec_b32 s19, vcc_lo
	s_cbranch_execz .LBB95_56
; %bb.55:                               ;   in Loop: Header=BB95_45 Depth=1
	v_cmp_gt_i32_e64 s0, s29, v38
	v_and_b32_e32 v0, 0xffff, v5
	v_and_b32_e32 v5, 0xffff0000, v5
	s_delay_alu instid0(VALU_DEP_3) | instskip(SKIP_1) | instid1(VALU_DEP_1)
	v_cndmask_b32_e64 v2, 0, v2, s0
	v_cmp_gt_i32_e64 s0, s29, v40
	v_cndmask_b32_e64 v3, 0, v3, s0
	v_cmp_gt_i32_e64 s0, s16, v41
	s_delay_alu instid0(VALU_DEP_1) | instskip(SKIP_1) | instid1(VALU_DEP_1)
	v_cndmask_b32_e64 v1, 0, v1, s0
	v_cmp_gt_i32_e64 s0, s29, v39
	v_cndmask_b32_e64 v26, 0, v26, s0
	v_cmp_gt_i32_e64 s0, s29, v37
	s_delay_alu instid0(VALU_DEP_1) | instskip(SKIP_1) | instid1(VALU_DEP_1)
	v_cndmask_b32_e64 v0, 0, v0, s0
	v_cmp_gt_i32_e64 s0, s29, v36
	v_cndmask_b32_e64 v5, 0, v5, s0
	v_cmp_gt_i32_e64 s0, s29, v35
	s_delay_alu instid0(VALU_DEP_1) | instskip(SKIP_1) | instid1(VALU_DEP_1)
	v_dual_cndmask_b32 v4, 0, v4, s0 :: v_dual_bitop2_b32 v5, v0, v5 bitop3:0x54
	v_cmp_gt_i32_e64 s0, s29, v34
	v_cndmask_b32_e64 v42, 0, v42, s0
.LBB95_56:                              ;   in Loop: Header=BB95_45 Depth=1
	s_or_b32 exec_lo, exec_lo, s19
	v_dual_lshlrev_b32 v0, 16, v26 :: v_dual_lshlrev_b32 v1, 16, v1
	s_delay_alu instid0(VALU_DEP_2) | instskip(NEXT) | instid1(VALU_DEP_2)
	v_lshlrev_b32_e32 v26, 16, v42
	v_and_or_b32 v0, 0xffff, v2, v0
	s_delay_alu instid0(VALU_DEP_3) | instskip(NEXT) | instid1(VALU_DEP_3)
	v_and_or_b32 v1, 0xffff, v3, v1
	v_and_or_b32 v2, 0xffff, v4, v26
	;;#ASMSTART
	v_pk_mul_f16 v0, v44, v0;

	;;#ASMEND
	;;#ASMSTART
	v_pk_mul_f16 v1, v43, v1;

	;;#ASMEND
	;; [unrolled: 4-line block ×4, first 2 shown]
	;;#ASMSTART
	v_pk_add_f16 v0, v0, v1;

	;;#ASMEND
	;;#ASMSTART
	v_pk_add_f16 v0, v0, v2;

	;;#ASMEND
	;; [unrolled: 4-line block ×3, first 2 shown]
	v_and_b32_e32 v1, 0xffff, v0
	v_lshrrev_b32_e32 v0, 16, v0
	;;#ASMSTART
	v_cvt_f32_f16 v55, v1;
	;;#ASMEND
	;;#ASMSTART
	v_cvt_f32_f16 v56, v0;
	;;#ASMEND
	global_load_b128 v[2:5], v[24:25], off offset:2560
	s_wait_loadcnt 0x0
	v_dual_lshrrev_b32 v1, 16, v3 :: v_dual_lshrrev_b32 v26, 16, v2
	v_lshrrev_b32_e32 v42, 16, v4
	s_and_saveexec_b32 s19, vcc_lo
	s_cbranch_execz .LBB95_58
; %bb.57:                               ;   in Loop: Header=BB95_45 Depth=1
	v_cmp_gt_i32_e64 s0, s29, v38
	v_and_b32_e32 v0, 0xffff, v5
	v_and_b32_e32 v5, 0xffff0000, v5
	s_delay_alu instid0(VALU_DEP_3) | instskip(SKIP_1) | instid1(VALU_DEP_1)
	v_cndmask_b32_e64 v2, 0, v2, s0
	v_cmp_gt_i32_e64 s0, s29, v40
	v_cndmask_b32_e64 v3, 0, v3, s0
	v_cmp_gt_i32_e64 s0, s16, v41
	s_delay_alu instid0(VALU_DEP_1) | instskip(SKIP_1) | instid1(VALU_DEP_1)
	v_cndmask_b32_e64 v1, 0, v1, s0
	v_cmp_gt_i32_e64 s0, s29, v39
	v_cndmask_b32_e64 v26, 0, v26, s0
	v_cmp_gt_i32_e64 s0, s29, v37
	s_delay_alu instid0(VALU_DEP_1) | instskip(SKIP_1) | instid1(VALU_DEP_1)
	;; [unrolled: 5-line block ×3, first 2 shown]
	v_dual_cndmask_b32 v4, 0, v4, s0 :: v_dual_bitop2_b32 v5, v0, v5 bitop3:0x54
	v_cmp_gt_i32_e64 s0, s29, v34
	v_cndmask_b32_e64 v42, 0, v42, s0
.LBB95_58:                              ;   in Loop: Header=BB95_45 Depth=1
	s_or_b32 exec_lo, exec_lo, s19
	v_dual_lshlrev_b32 v0, 16, v26 :: v_dual_lshlrev_b32 v1, 16, v1
	s_delay_alu instid0(VALU_DEP_2) | instskip(NEXT) | instid1(VALU_DEP_2)
	v_lshlrev_b32_e32 v26, 16, v42
	v_and_or_b32 v0, 0xffff, v2, v0
	s_delay_alu instid0(VALU_DEP_3) | instskip(NEXT) | instid1(VALU_DEP_3)
	v_and_or_b32 v1, 0xffff, v3, v1
	v_and_or_b32 v2, 0xffff, v4, v26
	;;#ASMSTART
	v_pk_mul_f16 v0, v44, v0;

	;;#ASMEND
	;;#ASMSTART
	v_pk_mul_f16 v1, v43, v1;

	;;#ASMEND
	;; [unrolled: 4-line block ×4, first 2 shown]
	;;#ASMSTART
	v_pk_add_f16 v0, v0, v1;

	;;#ASMEND
	;;#ASMSTART
	v_pk_add_f16 v0, v0, v2;

	;;#ASMEND
	;; [unrolled: 4-line block ×3, first 2 shown]
	v_and_b32_e32 v1, 0xffff, v0
	v_lshrrev_b32_e32 v0, 16, v0
	;;#ASMSTART
	v_cvt_f32_f16 v57, v1;
	;;#ASMEND
	;;#ASMSTART
	v_cvt_f32_f16 v60, v0;
	;;#ASMEND
	global_load_b128 v[2:5], v[24:25], off offset:3072
	s_wait_loadcnt 0x0
	v_dual_lshrrev_b32 v1, 16, v3 :: v_dual_lshrrev_b32 v26, 16, v2
	v_lshrrev_b32_e32 v42, 16, v4
	s_and_saveexec_b32 s19, vcc_lo
	s_cbranch_execz .LBB95_60
; %bb.59:                               ;   in Loop: Header=BB95_45 Depth=1
	v_cmp_gt_i32_e64 s0, s29, v38
	v_and_b32_e32 v0, 0xffff, v5
	v_and_b32_e32 v5, 0xffff0000, v5
	s_delay_alu instid0(VALU_DEP_3) | instskip(SKIP_1) | instid1(VALU_DEP_1)
	v_cndmask_b32_e64 v2, 0, v2, s0
	v_cmp_gt_i32_e64 s0, s29, v40
	v_cndmask_b32_e64 v3, 0, v3, s0
	v_cmp_gt_i32_e64 s0, s16, v41
	s_delay_alu instid0(VALU_DEP_1) | instskip(SKIP_1) | instid1(VALU_DEP_1)
	v_cndmask_b32_e64 v1, 0, v1, s0
	v_cmp_gt_i32_e64 s0, s29, v39
	v_cndmask_b32_e64 v26, 0, v26, s0
	v_cmp_gt_i32_e64 s0, s29, v37
	s_delay_alu instid0(VALU_DEP_1) | instskip(SKIP_1) | instid1(VALU_DEP_1)
	;; [unrolled: 5-line block ×3, first 2 shown]
	v_dual_cndmask_b32 v4, 0, v4, s0 :: v_dual_bitop2_b32 v5, v0, v5 bitop3:0x54
	v_cmp_gt_i32_e64 s0, s29, v34
	v_cndmask_b32_e64 v42, 0, v42, s0
.LBB95_60:                              ;   in Loop: Header=BB95_45 Depth=1
	s_or_b32 exec_lo, exec_lo, s19
	v_dual_lshlrev_b32 v0, 16, v26 :: v_dual_lshlrev_b32 v1, 16, v1
	s_delay_alu instid0(VALU_DEP_2) | instskip(NEXT) | instid1(VALU_DEP_2)
	v_lshlrev_b32_e32 v26, 16, v42
	v_and_or_b32 v0, 0xffff, v2, v0
	s_delay_alu instid0(VALU_DEP_3) | instskip(NEXT) | instid1(VALU_DEP_3)
	v_and_or_b32 v1, 0xffff, v3, v1
	v_and_or_b32 v2, 0xffff, v4, v26
	;;#ASMSTART
	v_pk_mul_f16 v0, v44, v0;

	;;#ASMEND
	;;#ASMSTART
	v_pk_mul_f16 v1, v43, v1;

	;;#ASMEND
	;; [unrolled: 4-line block ×4, first 2 shown]
	;;#ASMSTART
	v_pk_add_f16 v0, v0, v1;

	;;#ASMEND
	;;#ASMSTART
	v_pk_add_f16 v0, v0, v2;

	;;#ASMEND
	;;#ASMSTART
	v_pk_add_f16 v0, v0, v3;

	;;#ASMEND
	v_and_b32_e32 v1, 0xffff, v0
	v_lshrrev_b32_e32 v0, 16, v0
	;;#ASMSTART
	v_cvt_f32_f16 v61, v1;
	;;#ASMEND
	;;#ASMSTART
	v_cvt_f32_f16 v62, v0;
	;;#ASMEND
	global_load_b128 v[2:5], v[24:25], off offset:3584
	s_wait_loadcnt 0x0
	v_dual_lshrrev_b32 v1, 16, v3 :: v_dual_lshrrev_b32 v26, 16, v2
	v_lshrrev_b32_e32 v42, 16, v4
	s_and_saveexec_b32 s19, vcc_lo
	s_cbranch_execz .LBB95_62
; %bb.61:                               ;   in Loop: Header=BB95_45 Depth=1
	v_cmp_gt_i32_e64 s0, s29, v38
	v_and_b32_e32 v0, 0xffff, v5
	v_and_b32_e32 v5, 0xffff0000, v5
	s_delay_alu instid0(VALU_DEP_3) | instskip(SKIP_1) | instid1(VALU_DEP_1)
	v_cndmask_b32_e64 v2, 0, v2, s0
	v_cmp_gt_i32_e64 s0, s29, v40
	v_cndmask_b32_e64 v3, 0, v3, s0
	v_cmp_gt_i32_e64 s0, s16, v41
	s_delay_alu instid0(VALU_DEP_1) | instskip(SKIP_1) | instid1(VALU_DEP_1)
	v_cndmask_b32_e64 v1, 0, v1, s0
	v_cmp_gt_i32_e64 s0, s29, v39
	v_cndmask_b32_e64 v26, 0, v26, s0
	v_cmp_gt_i32_e64 s0, s29, v37
	s_delay_alu instid0(VALU_DEP_1) | instskip(SKIP_1) | instid1(VALU_DEP_1)
	;; [unrolled: 5-line block ×3, first 2 shown]
	v_dual_cndmask_b32 v4, 0, v4, s0 :: v_dual_bitop2_b32 v5, v0, v5 bitop3:0x54
	v_cmp_gt_i32_e64 s0, s29, v34
	v_cndmask_b32_e64 v42, 0, v42, s0
.LBB95_62:                              ;   in Loop: Header=BB95_45 Depth=1
	s_or_b32 exec_lo, exec_lo, s19
	v_dual_lshlrev_b32 v0, 16, v26 :: v_dual_lshlrev_b32 v1, 16, v1
	s_delay_alu instid0(VALU_DEP_2) | instskip(NEXT) | instid1(VALU_DEP_2)
	v_lshlrev_b32_e32 v26, 16, v42
	v_and_or_b32 v0, 0xffff, v2, v0
	s_delay_alu instid0(VALU_DEP_3) | instskip(NEXT) | instid1(VALU_DEP_3)
	v_and_or_b32 v1, 0xffff, v3, v1
	v_and_or_b32 v2, 0xffff, v4, v26
	;;#ASMSTART
	v_pk_mul_f16 v0, v44, v0;

	;;#ASMEND
	;;#ASMSTART
	v_pk_mul_f16 v1, v43, v1;

	;;#ASMEND
	;; [unrolled: 4-line block ×4, first 2 shown]
	;;#ASMSTART
	v_pk_add_f16 v0, v0, v1;

	;;#ASMEND
	;;#ASMSTART
	v_pk_add_f16 v0, v0, v2;

	;;#ASMEND
	;; [unrolled: 4-line block ×3, first 2 shown]
	v_and_b32_e32 v1, 0xffff, v0
	v_lshrrev_b32_e32 v0, 16, v0
	;;#ASMSTART
	v_cvt_f32_f16 v63, v1;
	;;#ASMEND
	;;#ASMSTART
	v_cvt_f32_f16 v64, v0;
	;;#ASMEND
	global_load_b128 v[2:5], v[24:25], off offset:4096
	s_wait_loadcnt 0x0
	v_dual_lshrrev_b32 v1, 16, v3 :: v_dual_lshrrev_b32 v26, 16, v2
	v_lshrrev_b32_e32 v42, 16, v4
	s_and_saveexec_b32 s19, vcc_lo
	s_cbranch_execz .LBB95_64
; %bb.63:                               ;   in Loop: Header=BB95_45 Depth=1
	v_cmp_gt_i32_e64 s0, s29, v38
	v_and_b32_e32 v0, 0xffff, v5
	v_and_b32_e32 v5, 0xffff0000, v5
	s_delay_alu instid0(VALU_DEP_3) | instskip(SKIP_1) | instid1(VALU_DEP_1)
	v_cndmask_b32_e64 v2, 0, v2, s0
	v_cmp_gt_i32_e64 s0, s29, v40
	v_cndmask_b32_e64 v3, 0, v3, s0
	v_cmp_gt_i32_e64 s0, s16, v41
	s_delay_alu instid0(VALU_DEP_1) | instskip(SKIP_1) | instid1(VALU_DEP_1)
	v_cndmask_b32_e64 v1, 0, v1, s0
	v_cmp_gt_i32_e64 s0, s29, v39
	v_cndmask_b32_e64 v26, 0, v26, s0
	v_cmp_gt_i32_e64 s0, s29, v37
	s_delay_alu instid0(VALU_DEP_1) | instskip(SKIP_1) | instid1(VALU_DEP_1)
	;; [unrolled: 5-line block ×3, first 2 shown]
	v_dual_cndmask_b32 v4, 0, v4, s0 :: v_dual_bitop2_b32 v5, v0, v5 bitop3:0x54
	v_cmp_gt_i32_e64 s0, s29, v34
	v_cndmask_b32_e64 v42, 0, v42, s0
.LBB95_64:                              ;   in Loop: Header=BB95_45 Depth=1
	s_or_b32 exec_lo, exec_lo, s19
	v_dual_lshlrev_b32 v0, 16, v26 :: v_dual_lshlrev_b32 v1, 16, v1
	s_delay_alu instid0(VALU_DEP_2) | instskip(NEXT) | instid1(VALU_DEP_2)
	v_lshlrev_b32_e32 v26, 16, v42
	v_and_or_b32 v0, 0xffff, v2, v0
	s_delay_alu instid0(VALU_DEP_3) | instskip(NEXT) | instid1(VALU_DEP_3)
	v_and_or_b32 v1, 0xffff, v3, v1
	v_and_or_b32 v2, 0xffff, v4, v26
	;;#ASMSTART
	v_pk_mul_f16 v0, v44, v0;

	;;#ASMEND
	;;#ASMSTART
	v_pk_mul_f16 v1, v43, v1;

	;;#ASMEND
	;; [unrolled: 4-line block ×4, first 2 shown]
	;;#ASMSTART
	v_pk_add_f16 v0, v0, v1;

	;;#ASMEND
	;;#ASMSTART
	v_pk_add_f16 v0, v0, v2;

	;;#ASMEND
	;; [unrolled: 4-line block ×3, first 2 shown]
	v_and_b32_e32 v1, 0xffff, v0
	v_lshrrev_b32_e32 v0, 16, v0
	;;#ASMSTART
	v_cvt_f32_f16 v65, v1;
	;;#ASMEND
	;;#ASMSTART
	v_cvt_f32_f16 v66, v0;
	;;#ASMEND
	global_load_b128 v[2:5], v[24:25], off offset:4608
	s_wait_loadcnt 0x0
	v_dual_lshrrev_b32 v1, 16, v3 :: v_dual_lshrrev_b32 v26, 16, v2
	v_lshrrev_b32_e32 v42, 16, v4
	s_and_saveexec_b32 s19, vcc_lo
	s_cbranch_execz .LBB95_66
; %bb.65:                               ;   in Loop: Header=BB95_45 Depth=1
	v_cmp_gt_i32_e64 s0, s29, v38
	v_and_b32_e32 v0, 0xffff, v5
	v_and_b32_e32 v5, 0xffff0000, v5
	s_delay_alu instid0(VALU_DEP_3) | instskip(SKIP_1) | instid1(VALU_DEP_1)
	v_cndmask_b32_e64 v2, 0, v2, s0
	v_cmp_gt_i32_e64 s0, s29, v40
	v_cndmask_b32_e64 v3, 0, v3, s0
	v_cmp_gt_i32_e64 s0, s16, v41
	s_delay_alu instid0(VALU_DEP_1) | instskip(SKIP_1) | instid1(VALU_DEP_1)
	v_cndmask_b32_e64 v1, 0, v1, s0
	v_cmp_gt_i32_e64 s0, s29, v39
	v_cndmask_b32_e64 v26, 0, v26, s0
	v_cmp_gt_i32_e64 s0, s29, v37
	s_delay_alu instid0(VALU_DEP_1) | instskip(SKIP_1) | instid1(VALU_DEP_1)
	;; [unrolled: 5-line block ×3, first 2 shown]
	v_dual_cndmask_b32 v4, 0, v4, s0 :: v_dual_bitop2_b32 v5, v0, v5 bitop3:0x54
	v_cmp_gt_i32_e64 s0, s29, v34
	v_cndmask_b32_e64 v42, 0, v42, s0
.LBB95_66:                              ;   in Loop: Header=BB95_45 Depth=1
	s_or_b32 exec_lo, exec_lo, s19
	v_dual_lshlrev_b32 v0, 16, v26 :: v_dual_lshlrev_b32 v1, 16, v1
	s_delay_alu instid0(VALU_DEP_2) | instskip(NEXT) | instid1(VALU_DEP_2)
	v_lshlrev_b32_e32 v26, 16, v42
	v_and_or_b32 v0, 0xffff, v2, v0
	s_delay_alu instid0(VALU_DEP_3) | instskip(NEXT) | instid1(VALU_DEP_3)
	v_and_or_b32 v1, 0xffff, v3, v1
	v_and_or_b32 v2, 0xffff, v4, v26
	;;#ASMSTART
	v_pk_mul_f16 v0, v44, v0;

	;;#ASMEND
	;;#ASMSTART
	v_pk_mul_f16 v1, v43, v1;

	;;#ASMEND
	;; [unrolled: 4-line block ×4, first 2 shown]
	;;#ASMSTART
	v_pk_add_f16 v0, v0, v1;

	;;#ASMEND
	;;#ASMSTART
	v_pk_add_f16 v0, v0, v2;

	;;#ASMEND
	;;#ASMSTART
	v_pk_add_f16 v0, v0, v3;

	;;#ASMEND
	v_and_b32_e32 v1, 0xffff, v0
	v_lshrrev_b32_e32 v0, 16, v0
	;;#ASMSTART
	v_cvt_f32_f16 v67, v1;
	;;#ASMEND
	;;#ASMSTART
	v_cvt_f32_f16 v68, v0;
	;;#ASMEND
	global_load_b128 v[2:5], v[24:25], off offset:5120
	s_wait_loadcnt 0x0
	v_dual_lshrrev_b32 v1, 16, v3 :: v_dual_lshrrev_b32 v26, 16, v2
	v_lshrrev_b32_e32 v42, 16, v4
	s_and_saveexec_b32 s19, vcc_lo
	s_cbranch_execz .LBB95_68
; %bb.67:                               ;   in Loop: Header=BB95_45 Depth=1
	v_cmp_gt_i32_e64 s0, s29, v38
	v_and_b32_e32 v0, 0xffff, v5
	v_and_b32_e32 v5, 0xffff0000, v5
	s_delay_alu instid0(VALU_DEP_3) | instskip(SKIP_1) | instid1(VALU_DEP_1)
	v_cndmask_b32_e64 v2, 0, v2, s0
	v_cmp_gt_i32_e64 s0, s29, v40
	v_cndmask_b32_e64 v3, 0, v3, s0
	v_cmp_gt_i32_e64 s0, s16, v41
	s_delay_alu instid0(VALU_DEP_1) | instskip(SKIP_1) | instid1(VALU_DEP_1)
	v_cndmask_b32_e64 v1, 0, v1, s0
	v_cmp_gt_i32_e64 s0, s29, v39
	v_cndmask_b32_e64 v26, 0, v26, s0
	v_cmp_gt_i32_e64 s0, s29, v37
	s_delay_alu instid0(VALU_DEP_1) | instskip(SKIP_1) | instid1(VALU_DEP_1)
	;; [unrolled: 5-line block ×3, first 2 shown]
	v_dual_cndmask_b32 v4, 0, v4, s0 :: v_dual_bitop2_b32 v5, v0, v5 bitop3:0x54
	v_cmp_gt_i32_e64 s0, s29, v34
	v_cndmask_b32_e64 v42, 0, v42, s0
.LBB95_68:                              ;   in Loop: Header=BB95_45 Depth=1
	s_or_b32 exec_lo, exec_lo, s19
	v_dual_lshlrev_b32 v0, 16, v26 :: v_dual_lshlrev_b32 v1, 16, v1
	s_delay_alu instid0(VALU_DEP_2) | instskip(NEXT) | instid1(VALU_DEP_2)
	v_lshlrev_b32_e32 v26, 16, v42
	v_and_or_b32 v0, 0xffff, v2, v0
	s_delay_alu instid0(VALU_DEP_3) | instskip(NEXT) | instid1(VALU_DEP_3)
	v_and_or_b32 v1, 0xffff, v3, v1
	v_and_or_b32 v2, 0xffff, v4, v26
	;;#ASMSTART
	v_pk_mul_f16 v0, v44, v0;

	;;#ASMEND
	;;#ASMSTART
	v_pk_mul_f16 v1, v43, v1;

	;;#ASMEND
	;; [unrolled: 4-line block ×4, first 2 shown]
	;;#ASMSTART
	v_pk_add_f16 v0, v0, v1;

	;;#ASMEND
	;;#ASMSTART
	v_pk_add_f16 v0, v0, v2;

	;;#ASMEND
	;; [unrolled: 4-line block ×3, first 2 shown]
	v_and_b32_e32 v1, 0xffff, v0
	v_lshrrev_b32_e32 v0, 16, v0
	;;#ASMSTART
	v_cvt_f32_f16 v69, v1;
	;;#ASMEND
	;;#ASMSTART
	v_cvt_f32_f16 v72, v0;
	;;#ASMEND
	global_load_b128 v[2:5], v[24:25], off offset:5632
	s_wait_loadcnt 0x0
	v_dual_lshrrev_b32 v1, 16, v3 :: v_dual_lshrrev_b32 v26, 16, v2
	v_lshrrev_b32_e32 v42, 16, v4
	s_and_saveexec_b32 s19, vcc_lo
	s_cbranch_execz .LBB95_70
; %bb.69:                               ;   in Loop: Header=BB95_45 Depth=1
	v_cmp_gt_i32_e64 s0, s29, v38
	v_and_b32_e32 v0, 0xffff, v5
	v_and_b32_e32 v5, 0xffff0000, v5
	s_delay_alu instid0(VALU_DEP_3) | instskip(SKIP_1) | instid1(VALU_DEP_1)
	v_cndmask_b32_e64 v2, 0, v2, s0
	v_cmp_gt_i32_e64 s0, s29, v40
	v_cndmask_b32_e64 v3, 0, v3, s0
	v_cmp_gt_i32_e64 s0, s16, v41
	s_delay_alu instid0(VALU_DEP_1) | instskip(SKIP_1) | instid1(VALU_DEP_1)
	v_cndmask_b32_e64 v1, 0, v1, s0
	v_cmp_gt_i32_e64 s0, s29, v39
	v_cndmask_b32_e64 v26, 0, v26, s0
	v_cmp_gt_i32_e64 s0, s29, v37
	s_delay_alu instid0(VALU_DEP_1) | instskip(SKIP_1) | instid1(VALU_DEP_1)
	;; [unrolled: 5-line block ×3, first 2 shown]
	v_dual_cndmask_b32 v4, 0, v4, s0 :: v_dual_bitop2_b32 v5, v0, v5 bitop3:0x54
	v_cmp_gt_i32_e64 s0, s29, v34
	v_cndmask_b32_e64 v42, 0, v42, s0
.LBB95_70:                              ;   in Loop: Header=BB95_45 Depth=1
	s_or_b32 exec_lo, exec_lo, s19
	v_dual_lshlrev_b32 v0, 16, v26 :: v_dual_lshlrev_b32 v1, 16, v1
	s_delay_alu instid0(VALU_DEP_2) | instskip(NEXT) | instid1(VALU_DEP_2)
	v_lshlrev_b32_e32 v26, 16, v42
	v_and_or_b32 v0, 0xffff, v2, v0
	s_delay_alu instid0(VALU_DEP_3) | instskip(NEXT) | instid1(VALU_DEP_3)
	v_and_or_b32 v1, 0xffff, v3, v1
	v_and_or_b32 v2, 0xffff, v4, v26
	;;#ASMSTART
	v_pk_mul_f16 v0, v44, v0;

	;;#ASMEND
	;;#ASMSTART
	v_pk_mul_f16 v1, v43, v1;

	;;#ASMEND
	;; [unrolled: 4-line block ×4, first 2 shown]
	;;#ASMSTART
	v_pk_add_f16 v0, v0, v1;

	;;#ASMEND
	;;#ASMSTART
	v_pk_add_f16 v0, v0, v2;

	;;#ASMEND
	;; [unrolled: 4-line block ×3, first 2 shown]
	v_lshrrev_b32_e32 v2, 16, v0
	v_and_b32_e32 v1, 0xffff, v0
	;;#ASMSTART
	v_cvt_f32_f16 v0, v1;
	;;#ASMEND
	;;#ASMSTART
	v_cvt_f32_f16 v70, v2;
	;;#ASMEND
	global_load_b128 v[2:5], v[24:25], off offset:6144
	s_wait_loadcnt 0x0
	v_dual_lshrrev_b32 v1, 16, v3 :: v_dual_lshrrev_b32 v26, 16, v2
	v_lshrrev_b32_e32 v42, 16, v4
	s_and_saveexec_b32 s19, vcc_lo
	s_cbranch_execz .LBB95_72
; %bb.71:                               ;   in Loop: Header=BB95_45 Depth=1
	v_cmp_gt_i32_e64 s0, s29, v38
	v_and_b32_e32 v71, 0xffff, v5
	v_and_b32_e32 v5, 0xffff0000, v5
	s_delay_alu instid0(VALU_DEP_3) | instskip(SKIP_1) | instid1(VALU_DEP_1)
	v_cndmask_b32_e64 v2, 0, v2, s0
	v_cmp_gt_i32_e64 s0, s29, v40
	v_cndmask_b32_e64 v3, 0, v3, s0
	v_cmp_gt_i32_e64 s0, s16, v41
	s_delay_alu instid0(VALU_DEP_1) | instskip(SKIP_1) | instid1(VALU_DEP_1)
	v_cndmask_b32_e64 v1, 0, v1, s0
	v_cmp_gt_i32_e64 s0, s29, v39
	v_cndmask_b32_e64 v26, 0, v26, s0
	v_cmp_gt_i32_e64 s0, s29, v37
	s_delay_alu instid0(VALU_DEP_1) | instskip(SKIP_1) | instid1(VALU_DEP_1)
	;; [unrolled: 5-line block ×3, first 2 shown]
	v_dual_cndmask_b32 v4, 0, v4, s0 :: v_dual_bitop2_b32 v5, v71, v5 bitop3:0x54
	v_cmp_gt_i32_e64 s0, s29, v34
	v_cndmask_b32_e64 v42, 0, v42, s0
.LBB95_72:                              ;   in Loop: Header=BB95_45 Depth=1
	s_or_b32 exec_lo, exec_lo, s19
	v_dual_lshlrev_b32 v26, 16, v26 :: v_dual_lshlrev_b32 v1, 16, v1
	s_delay_alu instid0(VALU_DEP_2) | instskip(NEXT) | instid1(VALU_DEP_2)
	v_lshlrev_b32_e32 v42, 16, v42
	v_and_or_b32 v2, 0xffff, v2, v26
	s_delay_alu instid0(VALU_DEP_3) | instskip(NEXT) | instid1(VALU_DEP_3)
	v_and_or_b32 v1, 0xffff, v3, v1
	v_and_or_b32 v3, 0xffff, v4, v42
	;;#ASMSTART
	v_pk_mul_f16 v2, v44, v2;

	;;#ASMEND
	;;#ASMSTART
	v_pk_mul_f16 v1, v43, v1;

	;;#ASMEND
	;; [unrolled: 4-line block ×4, first 2 shown]
	;;#ASMSTART
	v_pk_add_f16 v1, v2, v1;

	;;#ASMEND
	;;#ASMSTART
	v_pk_add_f16 v1, v1, v3;

	;;#ASMEND
	;; [unrolled: 4-line block ×3, first 2 shown]
	v_and_b32_e32 v2, 0xffff, v1
	v_lshrrev_b32_e32 v1, 16, v1
	;;#ASMSTART
	v_cvt_f32_f16 v71, v2;
	;;#ASMEND
	;;#ASMSTART
	v_cvt_f32_f16 v73, v1;
	;;#ASMEND
	global_load_b128 v[2:5], v[24:25], off offset:6656
	s_wait_loadcnt 0x0
	v_dual_lshrrev_b32 v1, 16, v3 :: v_dual_lshrrev_b32 v26, 16, v2
	v_lshrrev_b32_e32 v42, 16, v4
	s_and_saveexec_b32 s19, vcc_lo
	s_cbranch_execz .LBB95_74
; %bb.73:                               ;   in Loop: Header=BB95_45 Depth=1
	v_cmp_gt_i32_e64 s0, s29, v38
	v_and_b32_e32 v74, 0xffff, v5
	v_and_b32_e32 v5, 0xffff0000, v5
	s_delay_alu instid0(VALU_DEP_3) | instskip(SKIP_1) | instid1(VALU_DEP_1)
	v_cndmask_b32_e64 v2, 0, v2, s0
	v_cmp_gt_i32_e64 s0, s29, v40
	v_cndmask_b32_e64 v3, 0, v3, s0
	v_cmp_gt_i32_e64 s0, s16, v41
	s_delay_alu instid0(VALU_DEP_1) | instskip(SKIP_1) | instid1(VALU_DEP_1)
	v_cndmask_b32_e64 v1, 0, v1, s0
	v_cmp_gt_i32_e64 s0, s29, v39
	v_cndmask_b32_e64 v26, 0, v26, s0
	v_cmp_gt_i32_e64 s0, s29, v37
	s_delay_alu instid0(VALU_DEP_1) | instskip(SKIP_1) | instid1(VALU_DEP_1)
	;; [unrolled: 5-line block ×3, first 2 shown]
	v_dual_cndmask_b32 v4, 0, v4, s0 :: v_dual_bitop2_b32 v5, v74, v5 bitop3:0x54
	v_cmp_gt_i32_e64 s0, s29, v34
	v_cndmask_b32_e64 v42, 0, v42, s0
.LBB95_74:                              ;   in Loop: Header=BB95_45 Depth=1
	s_or_b32 exec_lo, exec_lo, s19
	v_dual_lshlrev_b32 v26, 16, v26 :: v_dual_lshlrev_b32 v1, 16, v1
	s_delay_alu instid0(VALU_DEP_2) | instskip(NEXT) | instid1(VALU_DEP_2)
	v_lshlrev_b32_e32 v42, 16, v42
	v_and_or_b32 v2, 0xffff, v2, v26
	s_delay_alu instid0(VALU_DEP_3) | instskip(NEXT) | instid1(VALU_DEP_3)
	v_and_or_b32 v1, 0xffff, v3, v1
	v_and_or_b32 v3, 0xffff, v4, v42
	;;#ASMSTART
	v_pk_mul_f16 v2, v44, v2;

	;;#ASMEND
	;;#ASMSTART
	v_pk_mul_f16 v1, v43, v1;

	;;#ASMEND
	;; [unrolled: 4-line block ×4, first 2 shown]
	;;#ASMSTART
	v_pk_add_f16 v1, v2, v1;

	;;#ASMEND
	;;#ASMSTART
	v_pk_add_f16 v1, v1, v3;

	;;#ASMEND
	;; [unrolled: 4-line block ×3, first 2 shown]
	v_and_b32_e32 v2, 0xffff, v1
	v_lshrrev_b32_e32 v1, 16, v1
	;;#ASMSTART
	v_cvt_f32_f16 v26, v2;
	;;#ASMEND
	;;#ASMSTART
	v_cvt_f32_f16 v42, v1;
	;;#ASMEND
	global_load_b128 v[2:5], v[24:25], off offset:7168
	s_wait_loadcnt 0x0
	v_dual_lshrrev_b32 v1, 16, v3 :: v_dual_lshrrev_b32 v24, 16, v2
	v_lshrrev_b32_e32 v25, 16, v4
	s_and_saveexec_b32 s0, vcc_lo
	s_cbranch_execz .LBB95_43
; %bb.75:                               ;   in Loop: Header=BB95_45 Depth=1
	v_cmp_gt_i32_e32 vcc_lo, s29, v38
	v_and_b32_e32 v38, 0xffff, v5
	v_and_b32_e32 v5, 0xffff0000, v5
	v_cndmask_b32_e32 v2, 0, v2, vcc_lo
	v_cmp_gt_i32_e32 vcc_lo, s29, v40
	v_cndmask_b32_e32 v3, 0, v3, vcc_lo
	v_cmp_gt_i32_e32 vcc_lo, s16, v41
	;; [unrolled: 2-line block ×6, first 2 shown]
	s_delay_alu instid0(VALU_DEP_2)
	v_dual_cndmask_b32 v4, 0, v4, vcc_lo :: v_dual_bitop2_b32 v5, v37, v5 bitop3:0x54
	v_cmp_gt_i32_e32 vcc_lo, s29, v34
	v_cndmask_b32_e32 v25, 0, v25, vcc_lo
	s_branch .LBB95_43
.LBB95_76:
	s_or_b32 exec_lo, exec_lo, s17
.LBB95_77:
	s_delay_alu instid0(SALU_CYCLE_1)
	s_or_b32 exec_lo, exec_lo, s1
	ds_bpermute_b32 v2, v28, v16
	ds_bpermute_b32 v3, v28, v17
	;; [unrolled: 1-line block ×15, first 2 shown]
	s_mov_b32 s0, exec_lo
	s_wait_dscnt 0xd
	v_pk_add_f32 v[2:3], v[16:17], v[2:3]
	scratch_load_b32 v17, off, off          ; 4-byte Folded Reload
	s_wait_dscnt 0xb
	v_pk_add_f32 v[18:19], v[18:19], v[0:1]
	v_and_b32_e32 v0, 0x3c3, v75
	s_wait_dscnt 0x9
	v_pk_add_f32 v[4:5], v[14:15], v[4:5]
	s_wait_loadcnt_dscnt 0x0
	v_pk_add_f32 v[20:21], v[12:13], v[20:21]
	ds_bpermute_b32 v12, v27, v2
	v_pk_add_f32 v[22:23], v[10:11], v[22:23]
	ds_bpermute_b32 v10, v27, v18
	;; [unrolled: 2-line block ×4, first 2 shown]
	ds_bpermute_b32 v34, v27, v4
	ds_bpermute_b32 v35, v27, v5
	ds_bpermute_b32 v36, v27, v20
	ds_bpermute_b32 v37, v27, v21
	ds_bpermute_b32 v6, v27, v22
	ds_bpermute_b32 v7, v27, v23
	ds_bpermute_b32 v38, v27, v24
	ds_bpermute_b32 v39, v27, v25
	ds_bpermute_b32 v40, v27, v32
	ds_bpermute_b32 v41, v27, v33
	v_add_f32_e32 v1, v30, v26
	s_barrier_signal -1
	s_barrier_wait -1
	s_wait_dscnt 0x0
	v_pk_add_f32 v[14:15], v[18:19], v[10:11]
	v_pk_add_f32 v[12:13], v[2:3], v[12:13]
	v_pk_add_f32 v[10:11], v[4:5], v[34:35]
	v_pk_add_f32 v[8:9], v[20:21], v[36:37]
	v_pk_add_f32 v[6:7], v[22:23], v[6:7]
	v_pk_add_f32 v[4:5], v[24:25], v[38:39]
	v_pk_add_f32 v[2:3], v[32:33], v[40:41]
	v_and_b32_e32 v17, 28, v17
	ds_bpermute_b32 v16, v27, v1
	v_cmpx_ne_u32_e32 64, v0
	s_xor_b32 s0, exec_lo, s0
	s_delay_alu instid0(SALU_CYCLE_1)
	s_or_saveexec_b32 s0, s0
	scratch_load_b32 v0, off, off th:TH_LOAD_LU ; 4-byte Folded Reload
	s_wait_dscnt 0x0
	v_add_f32_e32 v18, v1, v16
	v_add_nc_u32_e32 v16, 0x110, v17
	v_mul_u32_u24_e32 v17, 0x1e0, v76
	s_wait_loadcnt 0x0
	v_lshrrev_b32_e32 v1, 2, v0
	s_xor_b32 exec_lo, exec_lo, s0
	s_cbranch_execz .LBB95_79
; %bb.78:
	v_add_nc_u32_e32 v0, v16, v17
	s_delay_alu instid0(VALU_DEP_1)
	v_add_nc_u32_e32 v19, 0xfffffc40, v0
	v_add_nc_u32_e32 v20, 0xfffffc60, v0
	;; [unrolled: 1-line block ×8, first 2 shown]
	ds_store_b32 v19, v14
	ds_store_b32 v20, v15
	;; [unrolled: 1-line block ×8, first 2 shown]
	v_add_nc_u32_e32 v19, 0xfffffd40, v0
	v_add_nc_u32_e32 v20, 0xfffffd60, v0
	;; [unrolled: 1-line block ×7, first 2 shown]
	ds_store_b32 v19, v6
	ds_store_b32 v20, v7
	;; [unrolled: 1-line block ×7, first 2 shown]
.LBB95_79:
	s_or_b32 exec_lo, exec_lo, s0
	s_delay_alu instid0(VALU_DEP_1)
	v_lshlrev_b32_e32 v0, 2, v1
	s_mov_b32 s1, exec_lo
	v_cmp_eq_u32_e32 vcc_lo, 0, v29
	s_wait_dscnt 0x0
	s_barrier_signal -1
	v_add3_u32 v1, 0x110, v17, v0
	s_barrier_wait -1
	v_cmpx_gt_u32_e32 64, v75
	s_cbranch_execz .LBB95_97
; %bb.80:
	s_and_saveexec_b32 s0, vcc_lo
	s_cbranch_execnz .LBB95_120
; %bb.81:
	s_or_b32 exec_lo, exec_lo, s0
	s_and_saveexec_b32 s0, vcc_lo
	s_cbranch_execnz .LBB95_121
.LBB95_82:
	s_or_b32 exec_lo, exec_lo, s0
	s_and_saveexec_b32 s0, vcc_lo
	s_cbranch_execnz .LBB95_122
.LBB95_83:
	s_or_b32 exec_lo, exec_lo, s0
	s_and_saveexec_b32 s0, vcc_lo
	s_cbranch_execnz .LBB95_123
.LBB95_84:
	s_or_b32 exec_lo, exec_lo, s0
	s_and_saveexec_b32 s0, vcc_lo
	s_cbranch_execnz .LBB95_124
.LBB95_85:
	s_or_b32 exec_lo, exec_lo, s0
	s_and_saveexec_b32 s0, vcc_lo
	s_cbranch_execnz .LBB95_125
.LBB95_86:
	s_or_b32 exec_lo, exec_lo, s0
	s_and_saveexec_b32 s0, vcc_lo
	s_cbranch_execnz .LBB95_126
.LBB95_87:
	s_or_b32 exec_lo, exec_lo, s0
	s_and_saveexec_b32 s0, vcc_lo
	s_cbranch_execnz .LBB95_127
.LBB95_88:
	s_or_b32 exec_lo, exec_lo, s0
	s_and_saveexec_b32 s0, vcc_lo
	s_cbranch_execnz .LBB95_128
.LBB95_89:
	s_or_b32 exec_lo, exec_lo, s0
	s_and_saveexec_b32 s0, vcc_lo
	s_cbranch_execnz .LBB95_129
.LBB95_90:
	s_or_b32 exec_lo, exec_lo, s0
	s_and_saveexec_b32 s0, vcc_lo
	s_cbranch_execnz .LBB95_130
.LBB95_91:
	s_or_b32 exec_lo, exec_lo, s0
	s_and_saveexec_b32 s0, vcc_lo
	s_cbranch_execnz .LBB95_131
.LBB95_92:
	s_or_b32 exec_lo, exec_lo, s0
	s_and_saveexec_b32 s0, vcc_lo
	s_cbranch_execnz .LBB95_132
.LBB95_93:
	s_or_b32 exec_lo, exec_lo, s0
	s_and_saveexec_b32 s0, vcc_lo
	s_cbranch_execnz .LBB95_133
.LBB95_94:
	s_or_b32 exec_lo, exec_lo, s0
	s_and_saveexec_b32 s0, vcc_lo
	s_cbranch_execz .LBB95_96
.LBB95_95:
	ds_load_b32 v0, v1 offset:448
	s_wait_dscnt 0x0
	v_add_f32_e32 v18, v18, v0
.LBB95_96:
	s_or_b32 exec_lo, exec_lo, s0
.LBB95_97:
	s_delay_alu instid0(SALU_CYCLE_1) | instskip(SKIP_4) | instid1(VALU_DEP_1)
	s_or_b32 exec_lo, exec_lo, s1
	v_and_b32_e32 v17, 0x3e3, v75
	s_mov_b32 s1, exec_lo
	s_barrier_signal -1
	s_barrier_wait -1
	v_cmpx_eq_u32_e32 32, v17
	s_cbranch_execz .LBB95_99
; %bb.98:
	ds_store_2addr_b32 v16, v14, v15 offset1:8
	ds_store_2addr_b32 v16, v12, v13 offset0:16 offset1:24
	ds_store_2addr_b32 v16, v10, v11 offset0:32 offset1:40
	;; [unrolled: 1-line block ×6, first 2 shown]
	ds_store_b32 v16, v18 offset:448
.LBB95_99:
	s_or_b32 exec_lo, exec_lo, s1
	s_delay_alu instid0(SALU_CYCLE_1)
	s_mov_b32 s1, exec_lo
	s_wait_dscnt 0x0
	s_barrier_signal -1
	s_barrier_wait -1
	v_cmpx_gt_u32_e32 32, v75
	s_cbranch_execz .LBB95_117
; %bb.100:
	s_and_saveexec_b32 s0, vcc_lo
	s_cbranch_execnz .LBB95_134
; %bb.101:
	s_or_b32 exec_lo, exec_lo, s0
	s_and_saveexec_b32 s0, vcc_lo
	s_cbranch_execnz .LBB95_135
.LBB95_102:
	s_or_b32 exec_lo, exec_lo, s0
	s_and_saveexec_b32 s0, vcc_lo
	s_cbranch_execnz .LBB95_136
.LBB95_103:
	s_or_b32 exec_lo, exec_lo, s0
	s_and_saveexec_b32 s0, vcc_lo
	s_cbranch_execnz .LBB95_137
.LBB95_104:
	s_or_b32 exec_lo, exec_lo, s0
	s_and_saveexec_b32 s0, vcc_lo
	s_cbranch_execnz .LBB95_138
.LBB95_105:
	s_or_b32 exec_lo, exec_lo, s0
	s_and_saveexec_b32 s0, vcc_lo
	s_cbranch_execnz .LBB95_139
.LBB95_106:
	s_or_b32 exec_lo, exec_lo, s0
	s_and_saveexec_b32 s0, vcc_lo
	s_cbranch_execnz .LBB95_140
.LBB95_107:
	s_or_b32 exec_lo, exec_lo, s0
	s_and_saveexec_b32 s0, vcc_lo
	s_cbranch_execnz .LBB95_141
.LBB95_108:
	s_or_b32 exec_lo, exec_lo, s0
	s_and_saveexec_b32 s0, vcc_lo
	s_cbranch_execnz .LBB95_142
.LBB95_109:
	s_or_b32 exec_lo, exec_lo, s0
	s_and_saveexec_b32 s0, vcc_lo
	s_cbranch_execnz .LBB95_143
.LBB95_110:
	s_or_b32 exec_lo, exec_lo, s0
	s_and_saveexec_b32 s0, vcc_lo
	s_cbranch_execnz .LBB95_144
.LBB95_111:
	s_or_b32 exec_lo, exec_lo, s0
	s_and_saveexec_b32 s0, vcc_lo
	s_cbranch_execnz .LBB95_145
.LBB95_112:
	s_or_b32 exec_lo, exec_lo, s0
	s_and_saveexec_b32 s0, vcc_lo
	s_cbranch_execnz .LBB95_146
.LBB95_113:
	s_or_b32 exec_lo, exec_lo, s0
	s_and_saveexec_b32 s0, vcc_lo
	s_cbranch_execnz .LBB95_147
.LBB95_114:
	s_or_b32 exec_lo, exec_lo, s0
	s_and_saveexec_b32 s0, vcc_lo
	s_cbranch_execz .LBB95_116
.LBB95_115:
	ds_load_b32 v0, v1 offset:448
	s_wait_dscnt 0x0
	v_add_f32_e32 v18, v18, v0
.LBB95_116:
	s_or_b32 exec_lo, exec_lo, s0
.LBB95_117:
	s_delay_alu instid0(SALU_CYCLE_1)
	s_or_b32 exec_lo, exec_lo, s1
	s_mov_b32 s1, 0
	s_barrier_signal -1
	s_barrier_wait -1
	s_mov_b32 s0, exec_lo
	v_cmpx_eq_u32_e32 0, v17
	s_cbranch_execz .LBB95_119
; %bb.118:
	s_mul_i32 s0, s28, s7
	s_mul_i32 s2, s7, s12
	;; [unrolled: 1-line block ×3, first 2 shown]
	s_lshr_b32 s6, ttmp7, 16
	s_mul_i32 s4, s0, 0x78
	s_bfe_u32 s0, ttmp6, 0x40014
	s_ashr_i32 s5, s4, 31
	s_add_co_i32 s0, s0, 1
	s_ashr_i32 s3, s2, 31
	s_mul_i32 s0, s6, s0
	s_bfe_u32 s7, ttmp6, 0x40008
	s_lshl_b64 s[4:5], s[4:5], 1
	s_lshl_b64 s[2:3], s[2:3], 1
	s_add_co_i32 s7, s7, s0
	s_cmp_eq_u32 s26, 0
	s_wait_kmcnt 0x0
	s_add_nc_u64 s[4:5], s[10:11], s[4:5]
	s_cselect_b32 s0, s6, s7
	v_lshrrev_b32_e32 v0, 1, v75
	s_add_nc_u64 s[2:3], s[4:5], s[2:3]
	s_mulk_i32 s0, 0xf0
	;;#ASMSTART
	v_cvt_f16_f32 v1, v14;

	;;#ASMEND
	s_add_nc_u64 s[0:1], s[2:3], s[0:1]
	global_store_b16 v0, v1, s[0:1]
	s_wait_xcnt 0x0
	;;#ASMSTART
	v_cvt_f16_f32 v1, v15;

	;;#ASMEND
	global_store_b16 v0, v1, s[0:1] offset:16
	s_wait_xcnt 0x0
	;;#ASMSTART
	v_cvt_f16_f32 v1, v12;

	;;#ASMEND
	global_store_b16 v0, v1, s[0:1] offset:32
	;; [unrolled: 6-line block ×14, first 2 shown]
.LBB95_119:
	s_sendmsg sendmsg(MSG_DEALLOC_VGPRS)
	s_endpgm
.LBB95_120:
	ds_load_b32 v0, v1
	s_wait_dscnt 0x0
	v_add_f32_e32 v14, v14, v0
	s_or_b32 exec_lo, exec_lo, s0
	s_and_saveexec_b32 s0, vcc_lo
	s_cbranch_execz .LBB95_82
.LBB95_121:
	ds_load_b32 v0, v1 offset:32
	s_wait_dscnt 0x0
	v_add_f32_e32 v15, v15, v0
	s_or_b32 exec_lo, exec_lo, s0
	s_and_saveexec_b32 s0, vcc_lo
	s_cbranch_execz .LBB95_83
.LBB95_122:
	ds_load_b32 v0, v1 offset:64
	s_wait_dscnt 0x0
	v_add_f32_e32 v12, v12, v0
	s_or_b32 exec_lo, exec_lo, s0
	s_and_saveexec_b32 s0, vcc_lo
	s_cbranch_execz .LBB95_84
.LBB95_123:
	ds_load_b32 v0, v1 offset:96
	s_wait_dscnt 0x0
	v_add_f32_e32 v13, v13, v0
	s_or_b32 exec_lo, exec_lo, s0
	s_and_saveexec_b32 s0, vcc_lo
	s_cbranch_execz .LBB95_85
.LBB95_124:
	ds_load_b32 v0, v1 offset:128
	s_wait_dscnt 0x0
	v_add_f32_e32 v10, v10, v0
	s_or_b32 exec_lo, exec_lo, s0
	s_and_saveexec_b32 s0, vcc_lo
	s_cbranch_execz .LBB95_86
.LBB95_125:
	ds_load_b32 v0, v1 offset:160
	s_wait_dscnt 0x0
	v_add_f32_e32 v11, v11, v0
	s_or_b32 exec_lo, exec_lo, s0
	s_and_saveexec_b32 s0, vcc_lo
	s_cbranch_execz .LBB95_87
.LBB95_126:
	ds_load_b32 v0, v1 offset:192
	s_wait_dscnt 0x0
	v_add_f32_e32 v8, v8, v0
	s_or_b32 exec_lo, exec_lo, s0
	s_and_saveexec_b32 s0, vcc_lo
	s_cbranch_execz .LBB95_88
.LBB95_127:
	ds_load_b32 v0, v1 offset:224
	s_wait_dscnt 0x0
	v_add_f32_e32 v9, v9, v0
	s_or_b32 exec_lo, exec_lo, s0
	s_and_saveexec_b32 s0, vcc_lo
	s_cbranch_execz .LBB95_89
.LBB95_128:
	ds_load_b32 v0, v1 offset:256
	s_wait_dscnt 0x0
	v_add_f32_e32 v6, v6, v0
	s_or_b32 exec_lo, exec_lo, s0
	s_and_saveexec_b32 s0, vcc_lo
	s_cbranch_execz .LBB95_90
.LBB95_129:
	ds_load_b32 v0, v1 offset:288
	s_wait_dscnt 0x0
	v_add_f32_e32 v7, v7, v0
	s_or_b32 exec_lo, exec_lo, s0
	s_and_saveexec_b32 s0, vcc_lo
	s_cbranch_execz .LBB95_91
.LBB95_130:
	ds_load_b32 v0, v1 offset:320
	s_wait_dscnt 0x0
	v_add_f32_e32 v4, v4, v0
	s_or_b32 exec_lo, exec_lo, s0
	s_and_saveexec_b32 s0, vcc_lo
	s_cbranch_execz .LBB95_92
.LBB95_131:
	ds_load_b32 v0, v1 offset:352
	s_wait_dscnt 0x0
	v_add_f32_e32 v5, v5, v0
	s_or_b32 exec_lo, exec_lo, s0
	s_and_saveexec_b32 s0, vcc_lo
	s_cbranch_execz .LBB95_93
.LBB95_132:
	ds_load_b32 v0, v1 offset:384
	s_wait_dscnt 0x0
	v_add_f32_e32 v2, v2, v0
	s_or_b32 exec_lo, exec_lo, s0
	s_and_saveexec_b32 s0, vcc_lo
	s_cbranch_execz .LBB95_94
.LBB95_133:
	ds_load_b32 v0, v1 offset:416
	s_wait_dscnt 0x0
	v_add_f32_e32 v3, v3, v0
	s_or_b32 exec_lo, exec_lo, s0
	s_and_saveexec_b32 s0, vcc_lo
	s_cbranch_execnz .LBB95_95
	s_branch .LBB95_96
.LBB95_134:
	ds_load_b32 v0, v1
	s_wait_dscnt 0x0
	v_add_f32_e32 v14, v14, v0
	s_or_b32 exec_lo, exec_lo, s0
	s_and_saveexec_b32 s0, vcc_lo
	s_cbranch_execz .LBB95_102
.LBB95_135:
	ds_load_b32 v0, v1 offset:32
	s_wait_dscnt 0x0
	v_add_f32_e32 v15, v15, v0
	s_or_b32 exec_lo, exec_lo, s0
	s_and_saveexec_b32 s0, vcc_lo
	s_cbranch_execz .LBB95_103
.LBB95_136:
	ds_load_b32 v0, v1 offset:64
	s_wait_dscnt 0x0
	v_add_f32_e32 v12, v12, v0
	s_or_b32 exec_lo, exec_lo, s0
	s_and_saveexec_b32 s0, vcc_lo
	s_cbranch_execz .LBB95_104
.LBB95_137:
	ds_load_b32 v0, v1 offset:96
	s_wait_dscnt 0x0
	v_add_f32_e32 v13, v13, v0
	s_or_b32 exec_lo, exec_lo, s0
	s_and_saveexec_b32 s0, vcc_lo
	s_cbranch_execz .LBB95_105
.LBB95_138:
	ds_load_b32 v0, v1 offset:128
	s_wait_dscnt 0x0
	v_add_f32_e32 v10, v10, v0
	s_or_b32 exec_lo, exec_lo, s0
	s_and_saveexec_b32 s0, vcc_lo
	s_cbranch_execz .LBB95_106
.LBB95_139:
	ds_load_b32 v0, v1 offset:160
	s_wait_dscnt 0x0
	v_add_f32_e32 v11, v11, v0
	s_or_b32 exec_lo, exec_lo, s0
	s_and_saveexec_b32 s0, vcc_lo
	s_cbranch_execz .LBB95_107
.LBB95_140:
	ds_load_b32 v0, v1 offset:192
	s_wait_dscnt 0x0
	v_add_f32_e32 v8, v8, v0
	s_or_b32 exec_lo, exec_lo, s0
	s_and_saveexec_b32 s0, vcc_lo
	s_cbranch_execz .LBB95_108
.LBB95_141:
	ds_load_b32 v0, v1 offset:224
	s_wait_dscnt 0x0
	v_add_f32_e32 v9, v9, v0
	s_or_b32 exec_lo, exec_lo, s0
	s_and_saveexec_b32 s0, vcc_lo
	s_cbranch_execz .LBB95_109
.LBB95_142:
	ds_load_b32 v0, v1 offset:256
	s_wait_dscnt 0x0
	v_add_f32_e32 v6, v6, v0
	s_or_b32 exec_lo, exec_lo, s0
	s_and_saveexec_b32 s0, vcc_lo
	s_cbranch_execz .LBB95_110
.LBB95_143:
	ds_load_b32 v0, v1 offset:288
	s_wait_dscnt 0x0
	v_add_f32_e32 v7, v7, v0
	s_or_b32 exec_lo, exec_lo, s0
	s_and_saveexec_b32 s0, vcc_lo
	s_cbranch_execz .LBB95_111
.LBB95_144:
	ds_load_b32 v0, v1 offset:320
	s_wait_dscnt 0x0
	v_add_f32_e32 v4, v4, v0
	s_or_b32 exec_lo, exec_lo, s0
	s_and_saveexec_b32 s0, vcc_lo
	s_cbranch_execz .LBB95_112
.LBB95_145:
	ds_load_b32 v0, v1 offset:352
	s_wait_dscnt 0x0
	v_add_f32_e32 v5, v5, v0
	s_or_b32 exec_lo, exec_lo, s0
	s_and_saveexec_b32 s0, vcc_lo
	s_cbranch_execz .LBB95_113
.LBB95_146:
	ds_load_b32 v0, v1 offset:384
	s_wait_dscnt 0x0
	v_add_f32_e32 v2, v2, v0
	s_or_b32 exec_lo, exec_lo, s0
	s_and_saveexec_b32 s0, vcc_lo
	s_cbranch_execz .LBB95_114
.LBB95_147:
	ds_load_b32 v0, v1 offset:416
	s_wait_dscnt 0x0
	v_add_f32_e32 v3, v3, v0
	s_or_b32 exec_lo, exec_lo, s0
	s_and_saveexec_b32 s0, vcc_lo
	s_cbranch_execnz .LBB95_115
	s_branch .LBB95_116
	.section	.rodata,"a",@progbits
	.p2align	6, 0x0
	.amdhsa_kernel _ZN4vllm25paged_attention_v1_kernelIttLi120ELi32ELi128ELNS_18Fp8KVCacheDataTypeE0ELb1EEEvPT_PKS2_PKT0_S8_ifPKiSA_iPKfiiiSC_SC_iiiii
		.amdhsa_group_segment_fixed_size 272
		.amdhsa_private_segment_fixed_size 32
		.amdhsa_kernarg_size 384
		.amdhsa_user_sgpr_count 2
		.amdhsa_user_sgpr_dispatch_ptr 0
		.amdhsa_user_sgpr_queue_ptr 0
		.amdhsa_user_sgpr_kernarg_segment_ptr 1
		.amdhsa_user_sgpr_dispatch_id 0
		.amdhsa_user_sgpr_kernarg_preload_length 0
		.amdhsa_user_sgpr_kernarg_preload_offset 0
		.amdhsa_user_sgpr_private_segment_size 0
		.amdhsa_wavefront_size32 1
		.amdhsa_uses_dynamic_stack 0
		.amdhsa_enable_private_segment 1
		.amdhsa_system_sgpr_workgroup_id_x 1
		.amdhsa_system_sgpr_workgroup_id_y 1
		.amdhsa_system_sgpr_workgroup_id_z 1
		.amdhsa_system_sgpr_workgroup_info 0
		.amdhsa_system_vgpr_workitem_id 0
		.amdhsa_next_free_vgpr 128
		.amdhsa_next_free_sgpr 38
		.amdhsa_named_barrier_count 0
		.amdhsa_reserve_vcc 1
		.amdhsa_float_round_mode_32 0
		.amdhsa_float_round_mode_16_64 0
		.amdhsa_float_denorm_mode_32 3
		.amdhsa_float_denorm_mode_16_64 3
		.amdhsa_fp16_overflow 0
		.amdhsa_memory_ordered 1
		.amdhsa_forward_progress 1
		.amdhsa_inst_pref_size 105
		.amdhsa_round_robin_scheduling 0
		.amdhsa_exception_fp_ieee_invalid_op 0
		.amdhsa_exception_fp_denorm_src 0
		.amdhsa_exception_fp_ieee_div_zero 0
		.amdhsa_exception_fp_ieee_overflow 0
		.amdhsa_exception_fp_ieee_underflow 0
		.amdhsa_exception_fp_ieee_inexact 0
		.amdhsa_exception_int_div_zero 0
	.end_amdhsa_kernel
	.section	.text._ZN4vllm25paged_attention_v1_kernelIttLi120ELi32ELi128ELNS_18Fp8KVCacheDataTypeE0ELb1EEEvPT_PKS2_PKT0_S8_ifPKiSA_iPKfiiiSC_SC_iiiii,"axG",@progbits,_ZN4vllm25paged_attention_v1_kernelIttLi120ELi32ELi128ELNS_18Fp8KVCacheDataTypeE0ELb1EEEvPT_PKS2_PKT0_S8_ifPKiSA_iPKfiiiSC_SC_iiiii,comdat
.Lfunc_end95:
	.size	_ZN4vllm25paged_attention_v1_kernelIttLi120ELi32ELi128ELNS_18Fp8KVCacheDataTypeE0ELb1EEEvPT_PKS2_PKT0_S8_ifPKiSA_iPKfiiiSC_SC_iiiii, .Lfunc_end95-_ZN4vllm25paged_attention_v1_kernelIttLi120ELi32ELi128ELNS_18Fp8KVCacheDataTypeE0ELb1EEEvPT_PKS2_PKT0_S8_ifPKiSA_iPKfiiiSC_SC_iiiii
                                        ; -- End function
	.set _ZN4vllm25paged_attention_v1_kernelIttLi120ELi32ELi128ELNS_18Fp8KVCacheDataTypeE0ELb1EEEvPT_PKS2_PKT0_S8_ifPKiSA_iPKfiiiSC_SC_iiiii.num_vgpr, 128
	.set _ZN4vllm25paged_attention_v1_kernelIttLi120ELi32ELi128ELNS_18Fp8KVCacheDataTypeE0ELb1EEEvPT_PKS2_PKT0_S8_ifPKiSA_iPKfiiiSC_SC_iiiii.num_agpr, 0
	.set _ZN4vllm25paged_attention_v1_kernelIttLi120ELi32ELi128ELNS_18Fp8KVCacheDataTypeE0ELb1EEEvPT_PKS2_PKT0_S8_ifPKiSA_iPKfiiiSC_SC_iiiii.numbered_sgpr, 38
	.set _ZN4vllm25paged_attention_v1_kernelIttLi120ELi32ELi128ELNS_18Fp8KVCacheDataTypeE0ELb1EEEvPT_PKS2_PKT0_S8_ifPKiSA_iPKfiiiSC_SC_iiiii.num_named_barrier, 0
	.set _ZN4vllm25paged_attention_v1_kernelIttLi120ELi32ELi128ELNS_18Fp8KVCacheDataTypeE0ELb1EEEvPT_PKS2_PKT0_S8_ifPKiSA_iPKfiiiSC_SC_iiiii.private_seg_size, 32
	.set _ZN4vllm25paged_attention_v1_kernelIttLi120ELi32ELi128ELNS_18Fp8KVCacheDataTypeE0ELb1EEEvPT_PKS2_PKT0_S8_ifPKiSA_iPKfiiiSC_SC_iiiii.uses_vcc, 1
	.set _ZN4vllm25paged_attention_v1_kernelIttLi120ELi32ELi128ELNS_18Fp8KVCacheDataTypeE0ELb1EEEvPT_PKS2_PKT0_S8_ifPKiSA_iPKfiiiSC_SC_iiiii.uses_flat_scratch, 1
	.set _ZN4vllm25paged_attention_v1_kernelIttLi120ELi32ELi128ELNS_18Fp8KVCacheDataTypeE0ELb1EEEvPT_PKS2_PKT0_S8_ifPKiSA_iPKfiiiSC_SC_iiiii.has_dyn_sized_stack, 0
	.set _ZN4vllm25paged_attention_v1_kernelIttLi120ELi32ELi128ELNS_18Fp8KVCacheDataTypeE0ELb1EEEvPT_PKS2_PKT0_S8_ifPKiSA_iPKfiiiSC_SC_iiiii.has_recursion, 0
	.set _ZN4vllm25paged_attention_v1_kernelIttLi120ELi32ELi128ELNS_18Fp8KVCacheDataTypeE0ELb1EEEvPT_PKS2_PKT0_S8_ifPKiSA_iPKfiiiSC_SC_iiiii.has_indirect_call, 0
	.section	.AMDGPU.csdata,"",@progbits
; Kernel info:
; codeLenInByte = 13320
; TotalNumSgprs: 40
; NumVgprs: 128
; ScratchSize: 32
; MemoryBound: 0
; FloatMode: 240
; IeeeMode: 1
; LDSByteSize: 272 bytes/workgroup (compile time only)
; SGPRBlocks: 0
; VGPRBlocks: 7
; NumSGPRsForWavesPerEU: 40
; NumVGPRsForWavesPerEU: 128
; NamedBarCnt: 0
; Occupancy: 8
; WaveLimiterHint : 1
; COMPUTE_PGM_RSRC2:SCRATCH_EN: 1
; COMPUTE_PGM_RSRC2:USER_SGPR: 2
; COMPUTE_PGM_RSRC2:TRAP_HANDLER: 0
; COMPUTE_PGM_RSRC2:TGID_X_EN: 1
; COMPUTE_PGM_RSRC2:TGID_Y_EN: 1
; COMPUTE_PGM_RSRC2:TGID_Z_EN: 1
; COMPUTE_PGM_RSRC2:TIDIG_COMP_CNT: 0
	.section	.text._ZN4vllm25paged_attention_v1_kernelIttLi128ELi32ELi128ELNS_18Fp8KVCacheDataTypeE0ELb1EEEvPT_PKS2_PKT0_S8_ifPKiSA_iPKfiiiSC_SC_iiiii,"axG",@progbits,_ZN4vllm25paged_attention_v1_kernelIttLi128ELi32ELi128ELNS_18Fp8KVCacheDataTypeE0ELb1EEEvPT_PKS2_PKT0_S8_ifPKiSA_iPKfiiiSC_SC_iiiii,comdat
	.protected	_ZN4vllm25paged_attention_v1_kernelIttLi128ELi32ELi128ELNS_18Fp8KVCacheDataTypeE0ELb1EEEvPT_PKS2_PKT0_S8_ifPKiSA_iPKfiiiSC_SC_iiiii ; -- Begin function _ZN4vllm25paged_attention_v1_kernelIttLi128ELi32ELi128ELNS_18Fp8KVCacheDataTypeE0ELb1EEEvPT_PKS2_PKT0_S8_ifPKiSA_iPKfiiiSC_SC_iiiii
	.globl	_ZN4vllm25paged_attention_v1_kernelIttLi128ELi32ELi128ELNS_18Fp8KVCacheDataTypeE0ELb1EEEvPT_PKS2_PKT0_S8_ifPKiSA_iPKfiiiSC_SC_iiiii
	.p2align	8
	.type	_ZN4vllm25paged_attention_v1_kernelIttLi128ELi32ELi128ELNS_18Fp8KVCacheDataTypeE0ELb1EEEvPT_PKS2_PKT0_S8_ifPKiSA_iPKfiiiSC_SC_iiiii,@function
_ZN4vllm25paged_attention_v1_kernelIttLi128ELi32ELi128ELNS_18Fp8KVCacheDataTypeE0ELb1EEEvPT_PKS2_PKT0_S8_ifPKiSA_iPKfiiiSC_SC_iiiii: ; @_ZN4vllm25paged_attention_v1_kernelIttLi128ELi32ELi128ELNS_18Fp8KVCacheDataTypeE0ELb1EEEvPT_PKS2_PKT0_S8_ifPKiSA_iPKfiiiSC_SC_iiiii
; %bb.0:
	s_load_b64 s[22:23], s[0:1], 0x20
	s_bfe_u32 s3, ttmp6, 0x4000c
	s_bfe_u32 s4, ttmp6, 0x40010
	s_and_b32 s6, ttmp7, 0xffff
	s_add_co_i32 s3, s3, 1
	s_add_co_i32 s4, s4, 1
	s_and_b32 s2, ttmp6, 15
	s_bfe_u32 s5, ttmp6, 0x40004
	s_mul_i32 s3, ttmp9, s3
	s_mul_i32 s4, s6, s4
	s_getreg_b32 s26, hwreg(HW_REG_IB_STS2, 6, 4)
	s_add_co_i32 s2, s2, s3
	s_add_co_i32 s3, s5, s4
	s_cmp_eq_u32 s26, 0
	v_mov_b32_e32 v78, v0
	s_cselect_b32 s28, s6, s3
	s_cselect_b32 s2, ttmp9, s2
	s_clause 0x1
	s_load_b32 s27, s[0:1], 0x80
	s_load_b64 s[4:5], s[0:1], 0x30
	s_mov_b32 s15, 0
	s_delay_alu instid0(SALU_CYCLE_1) | instskip(SKIP_2) | instid1(SALU_CYCLE_1)
	s_mov_b32 s34, s15
	s_wait_kmcnt 0x0
	s_abs_i32 s3, s22
	s_cvt_f32_u32 s6, s3
	s_sub_co_i32 s7, 0, s3
	s_delay_alu instid0(SALU_CYCLE_2) | instskip(SKIP_1) | instid1(TRANS32_DEP_1)
	v_rcp_iflag_f32_e32 v0, s6
	v_nop
	v_readfirstlane_b32 s6, v0
	s_abs_i32 s8, s27
	s_mul_f32 s6, s6, 0x4f7ffffe
	s_delay_alu instid0(SALU_CYCLE_3) | instskip(NEXT) | instid1(SALU_CYCLE_3)
	s_cvt_u32_f32 s6, s6
	s_mul_i32 s7, s7, s6
	s_delay_alu instid0(SALU_CYCLE_1) | instskip(NEXT) | instid1(SALU_CYCLE_1)
	s_mul_hi_u32 s7, s6, s7
	s_add_co_i32 s6, s6, s7
	s_xor_b32 s7, s27, s22
	s_mul_hi_u32 s6, s8, s6
	s_ashr_i32 s7, s7, 31
	s_mul_i32 s9, s6, s3
	s_delay_alu instid0(SALU_CYCLE_1)
	s_sub_co_i32 s8, s8, s9
	s_add_co_i32 s9, s6, 1
	s_sub_co_i32 s10, s8, s3
	s_cmp_ge_u32 s8, s3
	s_cselect_b32 s6, s9, s6
	s_cselect_b32 s8, s10, s8
	s_add_co_i32 s9, s6, 1
	s_cmp_ge_u32 s8, s3
	s_cselect_b32 s3, s9, s6
	s_load_b64 s[8:9], s[0:1], 0x40
	s_xor_b32 s3, s3, s7
	s_abs_i32 s14, s2
	s_sub_co_i32 s12, s3, s7
	s_mov_b32 s7, s15
	s_abs_i32 s11, s12
	s_delay_alu instid0(SALU_CYCLE_1) | instskip(SKIP_1) | instid1(SALU_CYCLE_2)
	s_cvt_f32_u32 s3, s11
	s_sub_co_i32 s6, 0, s11
	v_rcp_iflag_f32_e32 v0, s3
	v_nop
	s_delay_alu instid0(TRANS32_DEP_1) | instskip(SKIP_1) | instid1(SALU_CYCLE_3)
	v_readfirstlane_b32 s3, v0
	s_mul_f32 s3, s3, 0x4f7ffffe
	s_cvt_u32_f32 s3, s3
	s_delay_alu instid0(SALU_CYCLE_3) | instskip(NEXT) | instid1(SALU_CYCLE_1)
	s_mul_i32 s6, s6, s3
	s_mul_hi_u32 s6, s3, s6
	s_delay_alu instid0(SALU_CYCLE_1)
	s_add_co_i32 s6, s3, s6
	s_wait_kmcnt 0x0
	s_cmp_eq_u64 s[8:9], 0
	s_cbranch_scc1 .LBB96_2
; %bb.1:
	s_ashr_i32 s3, s2, 31
	s_delay_alu instid0(SALU_CYCLE_1) | instskip(NEXT) | instid1(SALU_CYCLE_1)
	s_lshl_b64 s[16:17], s[2:3], 2
	s_add_nc_u64 s[8:9], s[8:9], s[16:17]
	s_load_b32 s34, s[8:9], 0x0
.LBB96_2:
	s_load_b32 s29, s[4:5], s28 offset:0x0 scale_offset
	s_wait_xcnt 0x0
	s_load_b96 s[8:10], s[0:1], 0x48
	v_lshlrev_b32_e32 v24, 4, v78
	s_ashr_i32 s3, s2, 31
	s_ashr_i32 s18, s12, 31
	s_mul_u64 s[16:17], s[14:15], s[6:7]
	s_lshl_b32 s12, s2, 7
	s_mov_b32 s4, exec_lo
	v_cmpx_gt_u32_e32 16, v78
	s_cbranch_execz .LBB96_4
; %bb.3:
	s_load_b64 s[6:7], s[0:1], 0x8
	s_wait_kmcnt 0x0
	s_mul_i32 s20, s8, s28
	s_ashr_i32 s13, s12, 31
	s_ashr_i32 s21, s20, 31
	s_delay_alu instid0(SALU_CYCLE_1) | instskip(NEXT) | instid1(SALU_CYCLE_1)
	s_lshl_b64 s[20:21], s[20:21], 1
	s_add_nc_u64 s[6:7], s[6:7], s[20:21]
	s_lshl_b64 s[20:21], s[12:13], 1
	s_delay_alu instid0(SALU_CYCLE_1)
	s_add_nc_u64 s[6:7], s[6:7], s[20:21]
	global_load_b128 v[0:3], v78, s[6:7] scale_offset
	s_wait_loadcnt 0x0
	ds_store_b128 v24, v[0:3]
.LBB96_4:
	s_or_b32 exec_lo, exec_lo, s4
	s_load_b128 s[4:7], s[0:1], 0x68
	s_wait_kmcnt 0x0
	s_mul_i32 s8, s17, s11
	s_xor_b32 s3, s3, s18
	s_sub_co_i32 s8, s14, s8
	s_add_co_i32 s13, s17, 1
	s_sub_co_i32 s14, s8, s11
	s_cmp_ge_u32 s8, s11
	s_mov_b32 s19, -1
	s_cselect_b32 s13, s13, s17
	s_cselect_b32 s8, s14, s8
	s_add_co_i32 s14, s13, 1
	s_cmp_ge_u32 s8, s11
	s_load_b32 s11, s[0:1], 0x78
	s_cselect_b32 s13, s14, s13
	s_add_co_i32 s18, s29, -1
	s_xor_b32 s13, s13, s3
	s_mov_b32 s17, 0
	s_sub_co_i32 s3, s13, s3
	s_abs_i32 s16, s18
	s_mov_b32 s15, s17
	s_abs_i32 s8, s7
	s_wait_dscnt 0x0
	s_cvt_f32_u32 s14, s8
	s_barrier_signal -1
	s_barrier_wait -1
	s_delay_alu instid0(SALU_CYCLE_1) | instskip(SKIP_1) | instid1(TRANS32_DEP_1)
	v_rcp_iflag_f32_e32 v0, s14
	v_nop
	v_readfirstlane_b32 s14, v0
	s_mul_f32 s13, s14, 0x4f7ffffe
	s_sub_co_i32 s14, 0, s8
	s_delay_alu instid0(SALU_CYCLE_2) | instskip(NEXT) | instid1(SALU_CYCLE_3)
	s_cvt_u32_f32 s13, s13
	s_mul_i32 s14, s14, s13
	s_delay_alu instid0(SALU_CYCLE_1) | instskip(NEXT) | instid1(SALU_CYCLE_1)
	s_mul_hi_u32 s14, s13, s14
	s_add_co_i32 s14, s13, s14
	s_wait_kmcnt 0x0
	s_cmp_lt_i32 s11, 0
                                        ; implicit-def: $sgpr13
	s_cbranch_scc0 .LBB96_6
; %bb.5:
	s_mul_i32 s13, s4, s22
	s_mov_b32 s19, s17
	s_add_co_i32 s13, s3, s13
	s_delay_alu instid0(SALU_CYCLE_1) | instskip(NEXT) | instid1(SALU_CYCLE_1)
	s_mul_i32 s13, s13, s11
	s_sub_co_i32 s13, 1, s13
.LBB96_6:
	s_ashr_i32 s18, s18, 31
	s_ashr_i32 s30, s7, 31
	s_and_not1_b32 vcc_lo, exec_lo, s19
	s_mul_u64 s[20:21], s[16:17], s[14:15]
	s_cbranch_vccnz .LBB96_8
; %bb.7:
	s_mul_i32 s4, s27, s4
	s_delay_alu instid0(SALU_CYCLE_1) | instskip(NEXT) | instid1(SALU_CYCLE_1)
	s_add_co_i32 s2, s4, s2
	s_mul_i32 s2, s2, s11
	s_delay_alu instid0(SALU_CYCLE_1)
	s_add_co_i32 s13, s2, 1
.LBB96_8:
	s_load_b32 s2, s[0:1], 0x38
	s_mul_i32 s7, s21, s8
	s_xor_b32 s4, s18, s30
	s_sub_co_i32 s20, s16, s7
	s_add_co_i32 s11, s21, 1
	s_clause 0x1
	s_load_b64 s[16:17], s[0:1], 0x28
	s_load_b32 s7, s[0:1], 0x88
	v_dual_lshrrev_b32 v79, 5, v78 :: v_dual_bitop2_b32 v0, 31, v78 bitop3:0x40
	v_mov_b32_e32 v77, 0xff7fffff
	s_delay_alu instid0(VALU_DEP_2) | instskip(NEXT) | instid1(VALU_DEP_3)
	v_dual_lshrrev_b32 v25, 3, v78 :: v_dual_lshlrev_b32 v62, 5, v79
	v_lshlrev_b32_e32 v10, 2, v0
	scratch_store_b32 off, v0, off          ; 4-byte Folded Spill
	s_wait_kmcnt 0x0
	s_mul_i32 s18, s2, s28
	s_sub_co_i32 s2, s20, s8
	s_ashr_i32 s19, s18, 31
	s_cmp_ge_u32 s20, s8
	s_cselect_b32 s11, s11, s21
	s_cselect_b32 s2, s2, s20
	s_add_co_i32 s20, s11, 1
	s_cmp_ge_u32 s2, s8
	s_cselect_b32 s2, s20, s11
	s_add_co_i32 s11, s29, 31
	s_delay_alu instid0(SALU_CYCLE_1) | instskip(NEXT) | instid1(SALU_CYCLE_1)
	s_ashr_i32 s20, s11, 31
	s_lshr_b32 s20, s20, 27
	s_delay_alu instid0(SALU_CYCLE_1)
	s_add_co_i32 s11, s11, s20
	s_mul_i32 s20, s3, s10
	s_ashr_i32 s31, s11, 5
	s_xor_b32 s11, s2, s4
	v_cmp_gt_i32_e64 s2, s31, v79
	s_sub_co_i32 s33, s11, s4
	s_wait_xcnt 0x0
	s_and_saveexec_b32 s22, s2
	s_cbranch_execz .LBB96_16
; %bb.9:
	s_clause 0x2
	scratch_store_b32 off, v24, off offset:16
	scratch_store_b32 off, v78, off offset:8
	scratch_load_b32 v1, off, off
	s_ashr_i32 s21, s20, 31
	s_sub_co_i32 s35, s33, s5
	s_ashr_i32 s11, s9, 31
	s_lshl_b64 s[24:25], s[20:21], 1
	s_cmp_neq_f32 s34, 0
	s_load_b64 s[36:37], s[0:1], 0x10
	v_lshl_or_b32 v2, v79, 7, v10
	v_mov_b32_e32 v77, 0xff7fffff
	s_cselect_b32 vcc_lo, -1, 0
	s_abs_i32 s21, s6
	s_mov_b32 s10, s9
	s_cvt_f32_u32 s3, s21
	s_sub_co_i32 s4, 0, s21
	v_add_nc_u32_e32 v81, 0x120, v2
	v_mov_b32_e32 v65, 0
	v_rcp_iflag_f32_e32 v0, s3
	v_nop
	s_delay_alu instid0(TRANS32_DEP_1)
	v_readfirstlane_b32 s3, v0
	v_mov_b32_e32 v0, v79
	s_wait_kmcnt 0x0
	s_add_nc_u64 s[24:25], s[36:37], s[24:25]
	s_mul_f32 s3, s3, 0x4f7ffffe
	scratch_store_b32 off, v0, off offset:12 ; 4-byte Folded Spill
	s_cvt_u32_f32 s3, s3
	s_delay_alu instid0(SALU_CYCLE_3) | instskip(NEXT) | instid1(SALU_CYCLE_1)
	s_mul_i32 s4, s4, s3
	s_mul_hi_u32 s4, s3, s4
	s_wait_loadcnt 0x0
	v_lshlrev_b32_e32 v64, 4, v1
	v_subrev_nc_u32_e32 v1, s29, v1
	s_delay_alu instid0(VALU_DEP_2) | instskip(SKIP_2) | instid1(VALU_DEP_3)
	v_add_nc_u64_e32 v[66:67], s[24:25], v[64:65]
	v_and_b32_e32 v64, 0x7c, v25
	s_lshl_b64 s[24:25], s[18:19], 2
	v_add_nc_u32_e32 v1, 1, v1
	s_add_nc_u64 s[24:25], s[16:17], s[24:25]
	s_delay_alu instid0(VALU_DEP_2) | instid1(SALU_CYCLE_1)
	v_add_nc_u64_e32 v[68:69], s[24:25], v[64:65]
	v_lshlrev_b32_e32 v64, 5, v0
	s_mov_b32 s25, 0
	s_add_co_i32 s24, s3, s4
	s_mov_b32 s36, s25
	s_clause 0x2
	scratch_store_b32 off, v1, off offset:4
	scratch_store_b32 off, v10, off offset:24
	;; [unrolled: 1-line block ×3, first 2 shown]
	s_branch .LBB96_11
.LBB96_10:                              ;   in Loop: Header=BB96_11 Depth=1
	s_wait_xcnt 0x0
	s_or_b32 exec_lo, exec_lo, s4
	v_add_nc_u32_e32 v79, 4, v79
	v_add_nc_u64_e32 v[68:69], 16, v[68:69]
	v_add_nc_u32_e32 v64, 0x80, v64
	v_add_nc_u32_e32 v81, 0x200, v81
	s_delay_alu instid0(VALU_DEP_4) | instskip(SKIP_1) | instid1(SALU_CYCLE_1)
	v_cmp_le_i32_e64 s3, s31, v79
	s_or_b32 s36, s3, s36
	s_and_not1_b32 exec_lo, exec_lo, s36
	s_cbranch_execz .LBB96_15
.LBB96_11:                              ; =>This Inner Loop Header: Depth=1
	s_wait_xcnt 0x2
	v_mul_u64_e32 v[0:1], s[14:15], v[64:65]
	s_delay_alu instid0(VALU_DEP_1) | instskip(NEXT) | instid1(VALU_DEP_1)
	v_mul_lo_u32 v0, v1, s8
	v_dual_add_nc_u32 v2, 1, v1 :: v_dual_sub_nc_u32 v0, v64, v0
	s_delay_alu instid0(VALU_DEP_1) | instskip(SKIP_1) | instid1(VALU_DEP_1)
	v_subrev_nc_u32_e32 v3, s8, v0
	v_cmp_le_u32_e64 s3, s8, v0
	v_dual_cndmask_b32 v1, v1, v2, s3 :: v_dual_cndmask_b32 v0, v0, v3, s3
	s_delay_alu instid0(VALU_DEP_1) | instskip(NEXT) | instid1(VALU_DEP_2)
	v_add_nc_u32_e32 v2, 1, v1
	v_cmp_le_u32_e64 s3, s8, v0
	s_delay_alu instid0(VALU_DEP_1) | instskip(NEXT) | instid1(VALU_DEP_1)
	v_cndmask_b32_e64 v0, v1, v2, s3
	v_dual_mov_b32 v1, v65 :: v_dual_bitop2_b32 v0, s30, v0 bitop3:0x14
	s_delay_alu instid0(VALU_DEP_1) | instskip(NEXT) | instid1(VALU_DEP_1)
	v_subrev_nc_u32_e32 v4, s30, v0
	v_add_nc_u32_e32 v5, s13, v4
	v_cmp_ge_i32_e64 s4, s35, v4
	s_delay_alu instid0(VALU_DEP_2) | instskip(NEXT) | instid1(VALU_DEP_1)
	v_sub_nc_u32_e32 v0, 0, v5
	v_max_i32_e32 v0, v5, v0
	s_delay_alu instid0(VALU_DEP_1) | instskip(SKIP_1) | instid1(VALU_DEP_2)
	v_mul_u64_e32 v[2:3], s[24:25], v[0:1]
	v_ashrrev_i32_e32 v2, 31, v5
	v_mul_lo_u32 v1, v3, s21
	s_delay_alu instid0(VALU_DEP_1) | instskip(NEXT) | instid1(VALU_DEP_1)
	v_sub_nc_u32_e32 v0, v0, v1
	v_subrev_nc_u32_e32 v1, s21, v0
	v_cmp_le_u32_e64 s3, s21, v0
	s_delay_alu instid0(VALU_DEP_1) | instskip(NEXT) | instid1(VALU_DEP_1)
	v_cndmask_b32_e64 v0, v0, v1, s3
	v_subrev_nc_u32_e32 v1, s21, v0
	v_cmp_le_u32_e64 s3, s21, v0
	s_delay_alu instid0(VALU_DEP_1) | instskip(NEXT) | instid1(VALU_DEP_1)
	v_cndmask_b32_e64 v0, v0, v1, s3
	v_xor_b32_e32 v0, v0, v2
	s_delay_alu instid0(VALU_DEP_1) | instskip(NEXT) | instid1(VALU_DEP_1)
	v_sub_nc_u32_e32 v0, v0, v2
	v_cmp_ne_u32_e64 s3, 0, v0
	s_and_b32 s3, s3, s4
	s_wait_xcnt 0x0
	s_and_saveexec_b32 s4, s3
	s_delay_alu instid0(SALU_CYCLE_1)
	s_xor_b32 s3, exec_lo, s4
; %bb.12:                               ;   in Loop: Header=BB96_11 Depth=1
	v_mov_b32_e32 v0, 0xff7fffff
	ds_store_b32 v81, v0
; %bb.13:                               ;   in Loop: Header=BB96_11 Depth=1
	s_and_not1_saveexec_b32 s4, s3
	s_cbranch_execz .LBB96_10
; %bb.14:                               ;   in Loop: Header=BB96_11 Depth=1
	global_load_b32 v0, v[68:69], off
	s_wait_loadcnt 0x0
	v_ashrrev_i32_e32 v1, 31, v0
	s_delay_alu instid0(VALU_DEP_1) | instskip(NEXT) | instid1(VALU_DEP_1)
	v_mul_u64_e32 v[0:1], s[10:11], v[0:1]
	v_lshl_add_u64 v[4:5], v[0:1], 1, v[66:67]
	s_clause 0xc
	global_load_b128 v[82:85], v[4:5], off
	global_load_b128 v[58:61], v[4:5], off offset:512
	global_load_b128 v[54:57], v[4:5], off offset:1024
	;; [unrolled: 1-line block ×12, first 2 shown]
	ds_load_b128 v[0:3], v65
	s_wait_dscnt 0x0
	v_dual_lshrrev_b32 v72, 16, v1 :: v_dual_lshrrev_b32 v105, 16, v2
	v_and_b32_e32 v107, 0xffff, v2
	v_lshrrev_b32_e32 v104, 16, v3
	v_and_b32_e32 v106, 0xffff, v3
	s_clause 0x2
	global_load_b128 v[10:13], v[4:5], off offset:6656
	global_load_b128 v[6:9], v[4:5], off offset:7168
	;; [unrolled: 1-line block ×3, first 2 shown]
	v_lshrrev_b32_e32 v63, 16, v0
	v_and_b32_e32 v0, 0xffff, v0
	v_and_b32_e32 v73, 0xffff, v1
	;;#ASMSTART
	v_cvt_f32_f16 v70, v0;
	;;#ASMEND
	;;#ASMSTART
	v_cvt_f32_f16 v71, v63;
	;;#ASMEND
	s_wait_loadcnt 0xf
	v_lshrrev_b32_e32 v115, 16, v82
	v_and_b32_e32 v117, 0xffff, v82
	v_dual_lshrrev_b32 v111, 16, v83 :: v_dual_lshrrev_b32 v109, 16, v84
	v_and_b32_e32 v116, 0xffff, v83
	v_and_b32_e32 v112, 0xffff, v84
	v_lshrrev_b32_e32 v108, 16, v85
	v_and_b32_e32 v110, 0xffff, v85
	s_wait_loadcnt 0xe
	v_and_b32_e32 v118, 0xffff, v58
	v_dual_lshrrev_b32 v58, 16, v58 :: v_dual_lshrrev_b32 v114, 16, v59
	v_lshrrev_b32_e32 v103, 16, v60
	v_and_b32_e32 v102, 0xffff, v60
	v_and_b32_e32 v98, 0xffff, v61
	s_wait_loadcnt 0xd
	v_dual_lshrrev_b32 v99, 16, v61 :: v_dual_lshrrev_b32 v101, 16, v54
	v_and_b32_e32 v100, 0xffff, v54
	v_and_b32_e32 v96, 0xffff, v55
	v_dual_lshrrev_b32 v97, 16, v55 :: v_dual_lshrrev_b32 v95, 16, v56
	v_and_b32_e32 v94, 0xffff, v56
	v_and_b32_e32 v90, 0xffff, v57
	s_wait_loadcnt 0xc
	v_dual_lshrrev_b32 v91, 16, v57 :: v_dual_lshrrev_b32 v93, 16, v50
	v_and_b32_e32 v92, 0xffff, v50
	v_and_b32_e32 v88, 0xffff, v51
	v_dual_lshrrev_b32 v89, 16, v51 :: v_dual_lshrrev_b32 v87, 16, v52
	;; [unrolled: 7-line block ×3, first 2 shown]
	v_and_b32_e32 v121, 0xffff, v48
	v_and_b32_e32 v123, 0xffff, v49
	v_lshrrev_b32_e32 v124, 16, v49
	;;#ASMSTART
	v_cvt_f32_f16 v0, v117;
	;;#ASMEND
	;;#ASMSTART
	v_cvt_f32_f16 v1, v115;
	;;#ASMEND
	;; [unrolled: 3-line block ×14, first 2 shown]
	ds_load_b128 v[46:49], v65 offset:16
	v_and_b32_e32 v113, 0xffff, v59
	s_wait_loadcnt 0x9
	v_lshrrev_b32_e32 v107, 16, v38
	s_wait_loadcnt 0x7
	v_lshrrev_b32_e32 v111, 16, v30
	v_and_b32_e32 v115, 0xffff, v30
	v_dual_lshrrev_b32 v112, 16, v31 :: v_dual_lshrrev_b32 v109, 16, v32
	v_and_b32_e32 v110, 0xffff, v33
	v_and_b32_e32 v108, 0xffff, v36
	s_wait_loadcnt 0x3
	v_dual_lshrrev_b32 v126, 16, v14 :: v_dual_lshrrev_b32 v117, 16, v15
	v_and_b32_e32 v76, 0xffff, v15
	v_and_b32_e32 v127, 0xffff, v16
	v_lshrrev_b32_e32 v116, 16, v17
	v_and_b32_e32 v125, 0xffff, v17
	s_wait_loadcnt 0x2
	v_and_b32_e32 v80, 0xffff, v10
	v_and_b32_e32 v78, 0xffff, v12
	v_and_b32_e32 v106, 0xffff, v45
	v_dual_lshrrev_b32 v45, 16, v45 :: v_dual_lshrrev_b32 v63, 16, v10
	s_wait_dscnt 0x0
	v_and_b32_e32 v59, 0xffff, v46
	v_lshrrev_b32_e32 v46, 16, v46
	;;#ASMSTART
	v_cvt_f32_f16 v74, v59;
	;;#ASMEND
	;;#ASMSTART
	v_cvt_f32_f16 v75, v46;
	;;#ASMEND
	;; [unrolled: 3-line block ×4, first 2 shown]
	v_pk_mul_f32 v[58:59], v[74:75], v[104:105]
	v_and_b32_e32 v104, 0xffff, v42
	v_dual_lshrrev_b32 v105, 16, v42 :: v_dual_lshrrev_b32 v42, 16, v47
	v_and_b32_e32 v46, 0xffff, v43
	s_delay_alu instid0(VALU_DEP_4)
	v_pk_fma_f32 v[58:59], v[70:71], v[0:1], v[58:59]
	v_and_b32_e32 v0, 0xffff, v47
	;;#ASMSTART
	v_cvt_f32_f16 v1, v0;
	;;#ASMEND
	;;#ASMSTART
	v_cvt_f32_f16 v0, v42;
	;;#ASMEND
	v_lshrrev_b32_e32 v70, 16, v43
	;;#ASMSTART
	v_cvt_f32_f16 v43, v113;
	;;#ASMEND
	;;#ASMSTART
	v_cvt_f32_f16 v42, v114;
	;;#ASMEND
	v_pk_mul_f32 v[0:1], v[0:1], v[42:43]
	v_and_b32_e32 v47, 0xffff, v38
	v_lshrrev_b32_e32 v38, 16, v48
	v_and_b32_e32 v114, 0xffff, v31
	v_and_b32_e32 v113, 0xffff, v32
	v_pk_fma_f32 v[42:43], v[60:61], v[72:73], v[0:1]
	v_and_b32_e32 v0, 0xffff, v48
	v_and_b32_e32 v73, 0xffff, v41
	v_lshrrev_b32_e32 v41, 16, v41
	;;#ASMSTART
	v_cvt_f32_f16 v1, v0;
	;;#ASMEND
	;;#ASMSTART
	v_cvt_f32_f16 v0, v38;
	;;#ASMEND
	v_and_b32_e32 v60, 0xffff, v39
	v_lshrrev_b32_e32 v61, 16, v39
	;;#ASMSTART
	v_cvt_f32_f16 v39, v102;
	;;#ASMEND
	;;#ASMSTART
	v_cvt_f32_f16 v38, v103;
	;;#ASMEND
	v_pk_mul_f32 v[0:1], v[0:1], v[38:39]
	v_and_b32_e32 v48, 0xffff, v34
	v_dual_lshrrev_b32 v102, 16, v34 :: v_dual_lshrrev_b32 v34, 16, v49
	v_and_b32_e32 v103, 0xffff, v37
	s_delay_alu instid0(VALU_DEP_4)
	v_pk_fma_f32 v[38:39], v[54:55], v[56:57], v[0:1]
	v_and_b32_e32 v0, 0xffff, v49
	;;#ASMSTART
	v_cvt_f32_f16 v1, v0;
	;;#ASMEND
	;;#ASMSTART
	v_cvt_f32_f16 v0, v34;
	;;#ASMEND
	;;#ASMSTART
	v_cvt_f32_f16 v31, v98;
	;;#ASMEND
	;;#ASMSTART
	v_cvt_f32_f16 v30, v99;
	;;#ASMEND
	v_lshrrev_b32_e32 v49, 16, v33
	v_pk_mul_f32 v[0:1], v[0:1], v[30:31]
	ds_load_b128 v[30:33], v65 offset:32
	v_dual_lshrrev_b32 v57, 16, v36 :: v_dual_lshrrev_b32 v54, 16, v37
	v_and_b32_e32 v55, 0xffff, v35
	v_pk_fma_f32 v[36:37], v[50:51], v[52:53], v[0:1]
	v_dual_lshrrev_b32 v56, 16, v35 :: v_dual_lshrrev_b32 v50, 16, v26
	v_lshrrev_b32_e32 v52, 16, v27
	v_and_b32_e32 v98, 0xffff, v22
	v_and_b32_e32 v99, 0xffff, v23
	;; [unrolled: 1-line block ×4, first 2 shown]
	v_dual_lshrrev_b32 v118, 16, v16 :: v_dual_lshrrev_b32 v75, 16, v11
	v_and_b32_e32 v74, 0xffff, v13
	v_and_b32_e32 v71, 0xffff, v44
	v_lshrrev_b32_e32 v44, 16, v44
	v_and_b32_e32 v72, 0xffff, v40
	v_lshrrev_b32_e32 v40, 16, v40
	s_wait_dscnt 0x0
	v_and_b32_e32 v0, 0xffff, v30
	v_lshrrev_b32_e32 v1, 16, v30
	;;#ASMSTART
	v_cvt_f32_f16 v0, v0;
	;;#ASMEND
	;;#ASMSTART
	v_cvt_f32_f16 v1, v1;
	;;#ASMEND
	;; [unrolled: 3-line block ×4, first 2 shown]
	v_pk_fma_f32 v[34:35], v[0:1], v[34:35], v[58:59]
	v_and_b32_e32 v0, 0xffff, v31
	v_lshrrev_b32_e32 v30, 16, v31
	;;#ASMSTART
	v_cvt_f32_f16 v1, v0;
	;;#ASMEND
	;;#ASMSTART
	v_cvt_f32_f16 v0, v30;
	;;#ASMEND
	;; [unrolled: 3-line block ×4, first 2 shown]
	v_and_b32_e32 v58, 0xffff, v26
	v_pk_fma_f32 v[30:31], v[0:1], v[30:31], v[42:43]
	v_dual_lshrrev_b32 v42, 16, v29 :: v_dual_lshrrev_b32 v26, 16, v32
	v_and_b32_e32 v0, 0xffff, v32
	v_and_b32_e32 v59, 0xffff, v27
	;;#ASMSTART
	v_cvt_f32_f16 v1, v0;
	;;#ASMEND
	;;#ASMSTART
	v_cvt_f32_f16 v0, v26;
	;;#ASMEND
	;; [unrolled: 3-line block ×4, first 2 shown]
	v_pk_fma_f32 v[26:27], v[0:1], v[26:27], v[38:39]
	v_dual_lshrrev_b32 v96, 16, v22 :: v_dual_lshrrev_b32 v39, 16, v23
	v_and_b32_e32 v0, 0xffff, v33
	v_dual_lshrrev_b32 v22, 16, v33 :: v_dual_lshrrev_b32 v94, 16, v24
	;;#ASMSTART
	v_cvt_f32_f16 v1, v0;
	;;#ASMEND
	;;#ASMSTART
	v_cvt_f32_f16 v0, v22;
	;;#ASMEND
	;; [unrolled: 3-line block ×4, first 2 shown]
	v_and_b32_e32 v97, 0xffff, v24
	v_lshrrev_b32_e32 v38, 16, v25
	v_and_b32_e32 v95, 0xffff, v25
	v_pk_fma_f32 v[32:33], v[0:1], v[22:23], v[36:37]
	ds_load_b128 v[22:25], v65 offset:48
	v_dual_lshrrev_b32 v43, 16, v28 :: v_dual_lshrrev_b32 v91, 16, v19
	v_and_b32_e32 v90, 0xffff, v21
	s_wait_loadcnt 0x1
	v_and_b32_e32 v100, 0xffff, v6
	v_and_b32_e32 v101, 0xffff, v7
	s_wait_dscnt 0x0
	v_and_b32_e32 v0, 0xffff, v22
	v_lshrrev_b32_e32 v1, 16, v22
	;;#ASMSTART
	v_cvt_f32_f16 v0, v0;
	;;#ASMEND
	;;#ASMSTART
	v_cvt_f32_f16 v1, v1;
	;;#ASMEND
	;; [unrolled: 3-line block ×4, first 2 shown]
	v_pk_fma_f32 v[28:29], v[0:1], v[28:29], v[34:35]
	v_and_b32_e32 v0, 0xffff, v23
	v_dual_lshrrev_b32 v22, 16, v23 :: v_dual_lshrrev_b32 v34, 16, v18
	;;#ASMSTART
	v_cvt_f32_f16 v1, v0;
	;;#ASMEND
	;;#ASMSTART
	v_cvt_f32_f16 v0, v22;
	;;#ASMEND
	;; [unrolled: 3-line block ×4, first 2 shown]
	v_and_b32_e32 v35, 0xffff, v18
	v_pk_fma_f32 v[22:23], v[0:1], v[22:23], v[30:31]
	v_dual_lshrrev_b32 v88, 16, v21 :: v_dual_lshrrev_b32 v18, 16, v24
	v_and_b32_e32 v0, 0xffff, v24
	v_and_b32_e32 v93, 0xffff, v19
	;;#ASMSTART
	v_cvt_f32_f16 v1, v0;
	;;#ASMEND
	;;#ASMSTART
	v_cvt_f32_f16 v0, v18;
	;;#ASMEND
	;; [unrolled: 3-line block ×4, first 2 shown]
	v_pk_fma_f32 v[18:19], v[0:1], v[18:19], v[26:27]
	v_and_b32_e32 v1, 0xffff, v14
	v_lshrrev_b32_e32 v14, 16, v25
	v_and_b32_e32 v0, 0xffff, v25
	;;#ASMSTART
	v_cvt_f32_f16 v15, v0;
	;;#ASMEND
	;;#ASMSTART
	v_cvt_f32_f16 v14, v14;
	;;#ASMEND
	;; [unrolled: 3-line block ×4, first 2 shown]
	v_lshrrev_b32_e32 v89, 16, v20
	v_and_b32_e32 v92, 0xffff, v20
	v_pk_fma_f32 v[20:21], v[14:15], v[16:17], v[32:33]
	ds_load_b128 v[14:17], v65 offset:64
	v_dual_lshrrev_b32 v86, 16, v6 :: v_dual_lshrrev_b32 v83, 16, v7
	v_and_b32_e32 v87, 0xffff, v8
	v_lshrrev_b32_e32 v82, 16, v9
	s_wait_dscnt 0x0
	v_and_b32_e32 v0, 0xffff, v14
	v_lshrrev_b32_e32 v14, 16, v14
	;;#ASMSTART
	v_cvt_f32_f16 v24, v0;
	;;#ASMEND
	;;#ASMSTART
	v_cvt_f32_f16 v25, v14;
	;;#ASMEND
	;; [unrolled: 3-line block ×4, first 2 shown]
	v_lshrrev_b32_e32 v14, 16, v15
	v_pk_fma_f32 v[24:25], v[24:25], v[26:27], v[28:29]
	v_and_b32_e32 v0, 0xffff, v15
	;;#ASMSTART
	v_cvt_f32_f16 v15, v0;
	;;#ASMEND
	;;#ASMSTART
	v_cvt_f32_f16 v14, v14;
	;;#ASMEND
	;; [unrolled: 3-line block ×4, first 2 shown]
	v_dual_lshrrev_b32 v120, 16, v12 :: v_dual_lshrrev_b32 v119, 16, v13
	v_lshrrev_b32_e32 v12, 16, v16
	v_and_b32_e32 v10, 0xffff, v16
	v_and_b32_e32 v0, 0xffff, v11
	;;#ASMSTART
	v_cvt_f32_f16 v11, v10;
	;;#ASMEND
	;;#ASMSTART
	v_cvt_f32_f16 v10, v12;
	;;#ASMEND
	;; [unrolled: 3-line block ×4, first 2 shown]
	v_and_b32_e32 v6, 0xffff, v17
	v_pk_fma_f32 v[10:11], v[10:11], v[12:13], v[18:19]
	v_dual_lshrrev_b32 v12, 16, v17 :: v_dual_lshrrev_b32 v84, 16, v8
	v_and_b32_e32 v85, 0xffff, v9
	;;#ASMSTART
	v_cvt_f32_f16 v7, v6;
	;;#ASMEND
	;;#ASMSTART
	v_cvt_f32_f16 v6, v12;
	;;#ASMEND
	;; [unrolled: 3-line block ×4, first 2 shown]
	v_pk_fma_f32 v[12:13], v[6:7], v[8:9], v[20:21]
	ds_load_b128 v[6:9], v65 offset:80
	v_pk_fma_f32 v[14:15], v[14:15], v[26:27], v[22:23]
	s_wait_dscnt 0x0
	v_and_b32_e32 v16, 0xffff, v6
	v_lshrrev_b32_e32 v6, 16, v6
	;;#ASMSTART
	v_cvt_f32_f16 v16, v16;
	;;#ASMEND
	;;#ASMSTART
	v_cvt_f32_f16 v17, v6;
	;;#ASMEND
	;;#ASMSTART
	v_cvt_f32_f16 v18, v104;
	;;#ASMEND
	;;#ASMSTART
	v_cvt_f32_f16 v19, v105;
	;;#ASMEND
	v_and_b32_e32 v6, 0xffff, v7
	v_pk_fma_f32 v[16:17], v[16:17], v[18:19], v[24:25]
	v_dual_lshrrev_b32 v18, 16, v7 :: v_dual_lshrrev_b32 v20, 16, v8
	v_and_b32_e32 v19, 0xffff, v8
	v_and_b32_e32 v22, 0xffff, v9
	v_lshrrev_b32_e32 v24, 16, v9
	;;#ASMSTART
	v_cvt_f32_f16 v7, v6;
	;;#ASMEND
	;;#ASMSTART
	v_cvt_f32_f16 v6, v18;
	;;#ASMEND
	;;#ASMSTART
	v_cvt_f32_f16 v9, v46;
	;;#ASMEND
	;;#ASMSTART
	v_cvt_f32_f16 v8, v70;
	;;#ASMEND
	;;#ASMSTART
	v_cvt_f32_f16 v19, v19;
	;;#ASMEND
	;;#ASMSTART
	v_cvt_f32_f16 v18, v20;
	;;#ASMEND
	;;#ASMSTART
	v_cvt_f32_f16 v21, v71;
	;;#ASMEND
	;;#ASMSTART
	v_cvt_f32_f16 v20, v44;
	;;#ASMEND
	;;#ASMSTART
	v_cvt_f32_f16 v23, v22;
	;;#ASMEND
	;;#ASMSTART
	v_cvt_f32_f16 v22, v24;
	;;#ASMEND
	;;#ASMSTART
	v_cvt_f32_f16 v25, v106;
	;;#ASMEND
	;;#ASMSTART
	v_cvt_f32_f16 v24, v45;
	;;#ASMEND
	v_pk_fma_f32 v[14:15], v[6:7], v[8:9], v[14:15]
	ds_load_b128 v[6:9], v65 offset:96
	v_pk_fma_f32 v[10:11], v[18:19], v[20:21], v[10:11]
	v_pk_fma_f32 v[12:13], v[22:23], v[24:25], v[12:13]
	s_wait_dscnt 0x0
	v_and_b32_e32 v18, 0xffff, v6
	v_lshrrev_b32_e32 v6, 16, v6
	v_and_b32_e32 v22, 0xffff, v7
	v_lshrrev_b32_e32 v7, 16, v7
	;; [unrolled: 2-line block ×4, first 2 shown]
	;;#ASMSTART
	v_cvt_f32_f16 v18, v18;
	;;#ASMEND
	;;#ASMSTART
	v_cvt_f32_f16 v19, v6;
	;;#ASMEND
	;; [unrolled: 3-line block ×16, first 2 shown]
	ds_load_b128 v[6:9], v65 offset:112
	v_pk_fma_f32 v[16:17], v[18:19], v[20:21], v[16:17]
	v_pk_fma_f32 v[14:15], v[22:23], v[24:25], v[14:15]
	;; [unrolled: 1-line block ×4, first 2 shown]
	s_wait_dscnt 0x0
	v_and_b32_e32 v18, 0xffff, v6
	v_lshrrev_b32_e32 v6, 16, v6
	v_and_b32_e32 v22, 0xffff, v7
	v_lshrrev_b32_e32 v7, 16, v7
	v_and_b32_e32 v36, 0xffff, v8
	v_dual_lshrrev_b32 v8, 16, v8 :: v_dual_lshrrev_b32 v44, 16, v9
	v_and_b32_e32 v9, 0xffff, v9
	;;#ASMSTART
	v_cvt_f32_f16 v18, v18;
	;;#ASMEND
	;;#ASMSTART
	v_cvt_f32_f16 v19, v6;
	;;#ASMEND
	;;#ASMSTART
	v_cvt_f32_f16 v20, v48;
	;;#ASMEND
	;;#ASMSTART
	v_cvt_f32_f16 v21, v102;
	;;#ASMEND
	;;#ASMSTART
	v_cvt_f32_f16 v23, v22;
	;;#ASMEND
	;;#ASMSTART
	v_cvt_f32_f16 v22, v7;
	;;#ASMEND
	;;#ASMSTART
	v_cvt_f32_f16 v25, v55;
	;;#ASMEND
	;;#ASMSTART
	v_cvt_f32_f16 v24, v56;
	;;#ASMEND
	;;#ASMSTART
	v_cvt_f32_f16 v37, v36;
	;;#ASMEND
	;;#ASMSTART
	v_cvt_f32_f16 v36, v8;
	;;#ASMEND
	;;#ASMSTART
	v_cvt_f32_f16 v41, v108;
	;;#ASMEND
	;;#ASMSTART
	v_cvt_f32_f16 v40, v57;
	;;#ASMEND
	;;#ASMSTART
	v_cvt_f32_f16 v45, v9;
	;;#ASMEND
	;;#ASMSTART
	v_cvt_f32_f16 v44, v44;
	;;#ASMEND
	;;#ASMSTART
	v_cvt_f32_f16 v47, v103;
	;;#ASMEND
	;;#ASMSTART
	v_cvt_f32_f16 v46, v54;
	;;#ASMEND
	ds_load_b128 v[6:9], v65 offset:128
	v_pk_fma_f32 v[104:105], v[22:23], v[24:25], v[14:15]
	s_wait_dscnt 0x0
	v_and_b32_e32 v26, 0xffff, v6
	v_lshrrev_b32_e32 v6, 16, v6
	v_and_b32_e32 v27, 0xffff, v7
	v_lshrrev_b32_e32 v7, 16, v7
	v_and_b32_e32 v30, 0xffff, v8
	v_dual_lshrrev_b32 v8, 16, v8 :: v_dual_lshrrev_b32 v31, 16, v9
	v_and_b32_e32 v9, 0xffff, v9
	;;#ASMSTART
	v_cvt_f32_f16 v28, v26;
	;;#ASMEND
	;;#ASMSTART
	v_cvt_f32_f16 v29, v6;
	;;#ASMEND
	;;#ASMSTART
	v_cvt_f32_f16 v32, v115;
	;;#ASMEND
	;;#ASMSTART
	v_cvt_f32_f16 v33, v111;
	;;#ASMEND
	;;#ASMSTART
	v_cvt_f32_f16 v55, v27;
	;;#ASMEND
	;;#ASMSTART
	v_cvt_f32_f16 v54, v7;
	;;#ASMEND
	;;#ASMSTART
	v_cvt_f32_f16 v57, v114;
	;;#ASMEND
	;;#ASMSTART
	v_cvt_f32_f16 v56, v112;
	;;#ASMEND
	;;#ASMSTART
	v_cvt_f32_f16 v61, v30;
	;;#ASMEND
	;;#ASMSTART
	v_cvt_f32_f16 v60, v8;
	;;#ASMEND
	;;#ASMSTART
	v_cvt_f32_f16 v71, v113;
	;;#ASMEND
	;;#ASMSTART
	v_cvt_f32_f16 v70, v109;
	;;#ASMEND
	;;#ASMSTART
	v_cvt_f32_f16 v73, v9;
	;;#ASMEND
	;;#ASMSTART
	v_cvt_f32_f16 v72, v31;
	;;#ASMEND
	;;#ASMSTART
	v_cvt_f32_f16 v103, v110;
	;;#ASMEND
	;;#ASMSTART
	v_cvt_f32_f16 v102, v49;
	;;#ASMEND
	ds_load_b128 v[6:9], v65 offset:144
	v_pk_fma_f32 v[48:49], v[18:19], v[20:21], v[16:17]
	;; [unrolled: 58-line block ×3, first 2 shown]
	v_pk_fma_f32 v[52:53], v[44:45], v[46:47], v[12:13]
	s_wait_dscnt 0x0
	v_and_b32_e32 v10, 0xffff, v6
	v_lshrrev_b32_e32 v6, 16, v6
	v_and_b32_e32 v11, 0xffff, v7
	v_lshrrev_b32_e32 v7, 16, v7
	v_and_b32_e32 v12, 0xffff, v8
	v_dual_lshrrev_b32 v8, 16, v8 :: v_dual_lshrrev_b32 v13, 16, v9
	v_and_b32_e32 v22, 0xffff, v9
	;;#ASMSTART
	v_cvt_f32_f16 v26, v10;
	;;#ASMEND
	;;#ASMSTART
	v_cvt_f32_f16 v27, v6;
	;;#ASMEND
	;;#ASMSTART
	v_cvt_f32_f16 v30, v98;
	;;#ASMEND
	;;#ASMSTART
	v_cvt_f32_f16 v31, v96;
	;;#ASMEND
	;;#ASMSTART
	v_cvt_f32_f16 v37, v11;
	;;#ASMEND
	;;#ASMSTART
	v_cvt_f32_f16 v36, v7;
	;;#ASMEND
	;;#ASMSTART
	v_cvt_f32_f16 v41, v99;
	;;#ASMEND
	;;#ASMSTART
	v_cvt_f32_f16 v40, v39;
	;;#ASMEND
	;;#ASMSTART
	v_cvt_f32_f16 v7, v12;
	;;#ASMEND
	;;#ASMSTART
	v_cvt_f32_f16 v6, v8;
	;;#ASMEND
	;;#ASMSTART
	v_cvt_f32_f16 v9, v97;
	;;#ASMEND
	;;#ASMSTART
	v_cvt_f32_f16 v8, v94;
	;;#ASMEND
	;;#ASMSTART
	v_cvt_f32_f16 v11, v22;
	;;#ASMEND
	;;#ASMSTART
	v_cvt_f32_f16 v10, v13;
	;;#ASMEND
	;;#ASMSTART
	v_cvt_f32_f16 v13, v95;
	;;#ASMEND
	;;#ASMSTART
	v_cvt_f32_f16 v12, v38;
	;;#ASMEND
	ds_load_b128 v[22:25], v65 offset:176
	v_pk_fma_f32 v[94:95], v[28:29], v[32:33], v[48:49]
	v_pk_fma_f32 v[96:97], v[54:55], v[56:57], v[104:105]
	s_wait_dscnt 0x0
	v_and_b32_e32 v28, 0xffff, v22
	v_dual_lshrrev_b32 v29, 16, v22 :: v_dual_lshrrev_b32 v32, 16, v23
	v_lshrrev_b32_e32 v38, 16, v24
	v_and_b32_e32 v33, 0xffff, v23
	v_and_b32_e32 v39, 0xffff, v24
	v_lshrrev_b32_e32 v42, 16, v25
	v_and_b32_e32 v43, 0xffff, v25
	;;#ASMSTART
	v_cvt_f32_f16 v22, v28;
	;;#ASMEND
	;;#ASMSTART
	v_cvt_f32_f16 v23, v29;
	;;#ASMEND
	;;#ASMSTART
	v_cvt_f32_f16 v24, v35;
	;;#ASMEND
	;;#ASMSTART
	v_cvt_f32_f16 v25, v34;
	;;#ASMEND
	;;#ASMSTART
	v_cvt_f32_f16 v29, v33;
	;;#ASMEND
	;;#ASMSTART
	v_cvt_f32_f16 v28, v32;
	;;#ASMEND
	;;#ASMSTART
	v_cvt_f32_f16 v35, v93;
	;;#ASMEND
	;;#ASMSTART
	v_cvt_f32_f16 v34, v91;
	;;#ASMEND
	;;#ASMSTART
	v_cvt_f32_f16 v33, v39;
	;;#ASMEND
	;;#ASMSTART
	v_cvt_f32_f16 v32, v38;
	;;#ASMEND
	;;#ASMSTART
	v_cvt_f32_f16 v39, v92;
	;;#ASMEND
	;;#ASMSTART
	v_cvt_f32_f16 v38, v89;
	;;#ASMEND
	;;#ASMSTART
	v_cvt_f32_f16 v43, v43;
	;;#ASMEND
	;;#ASMSTART
	v_cvt_f32_f16 v42, v42;
	;;#ASMEND
	;;#ASMSTART
	v_cvt_f32_f16 v45, v90;
	;;#ASMEND
	;;#ASMSTART
	v_cvt_f32_f16 v44, v88;
	;;#ASMEND
	ds_load_b128 v[46:49], v65 offset:192
	v_pk_fma_f32 v[88:89], v[60:61], v[70:71], v[50:51]
	v_pk_fma_f32 v[90:91], v[72:73], v[102:103], v[52:53]
	;; [unrolled: 1-line block ×4, first 2 shown]
	s_delay_alu instid0(VALU_DEP_4) | instskip(NEXT) | instid1(VALU_DEP_4)
	v_pk_fma_f32 v[18:19], v[18:19], v[20:21], v[88:89]
	v_pk_fma_f32 v[14:15], v[14:15], v[16:17], v[90:91]
	s_delay_alu instid0(VALU_DEP_4)
	v_pk_fma_f32 v[16:17], v[26:27], v[30:31], v[92:93]
	s_wait_loadcnt 0x0
	v_and_b32_e32 v88, 0xffff, v3
	v_pk_fma_f32 v[20:21], v[36:37], v[40:41], v[94:95]
	v_pk_fma_f32 v[6:7], v[6:7], v[8:9], v[18:19]
	;; [unrolled: 1-line block ×4, first 2 shown]
	v_lshrrev_b32_e32 v18, 16, v4
	v_pk_fma_f32 v[12:13], v[28:29], v[34:35], v[20:21]
	v_pk_fma_f32 v[6:7], v[32:33], v[38:39], v[6:7]
	v_and_b32_e32 v19, 0xffff, v4
	v_pk_fma_f32 v[8:9], v[42:43], v[44:45], v[8:9]
	s_wait_dscnt 0x0
	v_dual_lshrrev_b32 v20, 16, v5 :: v_dual_lshrrev_b32 v50, 16, v46
	v_and_b32_e32 v46, 0xffff, v46
	v_dual_lshrrev_b32 v52, 16, v47 :: v_dual_lshrrev_b32 v56, 16, v48
	v_and_b32_e32 v51, 0xffff, v47
	v_and_b32_e32 v53, 0xffff, v48
	v_lshrrev_b32_e32 v58, 16, v49
	v_and_b32_e32 v59, 0xffff, v49
	;;#ASMSTART
	v_cvt_f32_f16 v46, v46;
	;;#ASMEND
	;;#ASMSTART
	v_cvt_f32_f16 v47, v50;
	;;#ASMEND
	;; [unrolled: 3-line block ×16, first 2 shown]
	ds_load_b128 v[70:73], v65 offset:208
	v_pk_fma_f32 v[10:11], v[46:47], v[48:49], v[10:11]
	v_pk_fma_f32 v[12:13], v[50:51], v[54:55], v[12:13]
	;; [unrolled: 1-line block ×4, first 2 shown]
	s_wait_dscnt 0x0
	v_dual_lshrrev_b32 v76, 16, v71 :: v_dual_lshrrev_b32 v106, 16, v72
	v_dual_lshrrev_b32 v110, 16, v73 :: v_dual_lshrrev_b32 v1, 16, v70
	v_and_b32_e32 v70, 0xffff, v70
	v_and_b32_e32 v71, 0xffff, v71
	v_and_b32_e32 v72, 0xffff, v72
	v_and_b32_e32 v73, 0xffff, v73
	;;#ASMSTART
	v_cvt_f32_f16 v96, v70;
	;;#ASMEND
	;;#ASMSTART
	v_cvt_f32_f16 v97, v1;
	;;#ASMEND
	;; [unrolled: 3-line block ×16, first 2 shown]
	scratch_load_b32 v0, off, off offset:4  ; 4-byte Folded Reload
	ds_load_b128 v[70:73], v65 offset:224
	v_dual_lshrrev_b32 v76, 16, v2 :: v_dual_lshrrev_b32 v80, 16, v3
	v_and_b32_e32 v78, 0xffff, v2
	v_pk_fma_f32 v[10:11], v[96:97], v[98:99], v[10:11]
	v_pk_fma_f32 v[12:13], v[102:103], v[104:105], v[12:13]
	v_pk_fma_f32 v[6:7], v[106:107], v[108:109], v[6:7]
	v_pk_fma_f32 v[8:9], v[110:111], v[74:75], v[8:9]
	s_wait_dscnt 0x0
	v_and_b32_e32 v1, 0xffff, v70
	v_lshrrev_b32_e32 v2, 16, v71
	v_and_b32_e32 v3, 0xffff, v71
	v_and_b32_e32 v71, 0xffff, v72
	v_lshrrev_b32_e32 v89, 16, v73
	v_and_b32_e32 v90, 0xffff, v73
	;;#ASMSTART
	v_cvt_f32_f16 v26, v1;
	;;#ASMEND
	s_wait_loadcnt 0x0
	v_add_nc_u32_e32 v0, v0, v64
	s_delay_alu instid0(VALU_DEP_1)
	v_cvt_f32_i32_e32 v63, v0
	v_dual_lshrrev_b32 v0, 16, v70 :: v_dual_lshrrev_b32 v70, 16, v72
	;;#ASMSTART
	v_cvt_f32_f16 v27, v0;
	;;#ASMEND
	;;#ASMSTART
	v_cvt_f32_f16 v30, v100;
	;;#ASMEND
	;; [unrolled: 3-line block ×15, first 2 shown]
	ds_load_b128 v[0:3], v65 offset:240
	v_pk_fma_f32 v[10:11], v[26:27], v[30:31], v[10:11]
	v_pk_fma_f32 v[12:13], v[36:37], v[40:41], v[12:13]
	s_wait_dscnt 0x0
	s_wait_xcnt 0x1
	v_and_b32_e32 v4, 0xffff, v0
	v_dual_lshrrev_b32 v14, 16, v0 :: v_dual_lshrrev_b32 v16, 16, v1
	v_and_b32_e32 v17, 0xffff, v1
	;;#ASMSTART
	v_cvt_f32_f16 v0, v4;
	;;#ASMEND
	;;#ASMSTART
	v_cvt_f32_f16 v1, v14;
	;;#ASMEND
	;;#ASMSTART
	v_cvt_f32_f16 v14, v78;
	;;#ASMEND
	;;#ASMSTART
	v_cvt_f32_f16 v15, v76;
	;;#ASMEND
	v_pk_fma_f32 v[0:1], v[0:1], v[14:15], v[10:11]
	;;#ASMSTART
	v_cvt_f32_f16 v17, v17;
	;;#ASMEND
	;;#ASMSTART
	v_cvt_f32_f16 v16, v16;
	;;#ASMEND
	;; [unrolled: 3-line block ×4, first 2 shown]
	v_pk_fma_f32 v[10:11], v[16:17], v[10:11], v[12:13]
	v_dual_add_f32 v4, v0, v1 :: v_dual_lshrrev_b32 v12, 16, v2
	v_pk_fma_f32 v[0:1], v[70:71], v[72:73], v[6:7]
	v_and_b32_e32 v21, 0xffff, v2
	;;#ASMSTART
	v_cvt_f32_f16 v7, v21;
	;;#ASMEND
	;;#ASMSTART
	v_cvt_f32_f16 v6, v12;
	;;#ASMEND
	;;#ASMSTART
	v_cvt_f32_f16 v13, v19;
	;;#ASMEND
	;;#ASMSTART
	v_cvt_f32_f16 v12, v18;
	;;#ASMEND
	v_pk_fma_f32 v[0:1], v[6:7], v[12:13], v[0:1]
	v_add_f32_e32 v2, v4, v11
	v_and_b32_e32 v14, 0xffff, v3
	v_lshrrev_b32_e32 v6, 16, v3
	v_and_b32_e32 v7, 0xffff, v5
	;;#ASMSTART
	v_cvt_f32_f16 v5, v14;
	;;#ASMEND
	v_add_f32_e32 v4, v10, v2
	v_pk_fma_f32 v[2:3], v[86:87], v[82:83], v[8:9]
	s_delay_alu instid0(VALU_DEP_2)
	v_add_f32_e32 v1, v4, v1
	;;#ASMSTART
	v_cvt_f32_f16 v4, v6;
	;;#ASMEND
	;;#ASMSTART
	v_cvt_f32_f16 v7, v7;
	;;#ASMEND
	;; [unrolled: 3-line block ×3, first 2 shown]
	v_pk_fma_f32 v[2:3], v[4:5], v[6:7], v[2:3]
	v_dual_add_f32 v0, v0, v1 :: v_dual_mul_f32 v1, s34, v63
	s_delay_alu instid0(VALU_DEP_1) | instskip(NEXT) | instid1(VALU_DEP_1)
	v_dual_add_f32 v0, v0, v3 :: v_dual_cndmask_b32 v1, 0, v1
	v_dual_add_f32 v0, v2, v0 :: v_dual_max_num_f32 v2, v77, v77
	s_delay_alu instid0(VALU_DEP_1) | instskip(SKIP_3) | instid1(VALU_DEP_1)
	v_fmac_f32_e32 v1, s23, v0
	scratch_load_b32 v0, off, off           ; 4-byte Folded Reload
	s_wait_loadcnt 0x0
	v_dual_max_num_f32 v2, v2, v1 :: v_dual_add_nc_u32 v0, v0, v64
	v_cmp_gt_i32_e64 s3, s29, v0
	s_delay_alu instid0(VALU_DEP_1)
	v_dual_cndmask_b32 v77, v77, v2, s3 :: v_dual_cndmask_b32 v0, 0, v1, s3
	ds_store_b32 v81, v0
	s_branch .LBB96_10
.LBB96_15:
	s_or_b32 exec_lo, exec_lo, s36
	s_clause 0x4
	scratch_load_b32 v78, off, off offset:8
	scratch_load_b32 v79, off, off offset:12
	;; [unrolled: 1-line block ×5, first 2 shown]
.LBB96_16:
	s_wait_xcnt 0x0
	s_or_b32 exec_lo, exec_lo, s22
	v_mbcnt_lo_u32_b32 v0, -1, 0
	s_clause 0x1
	s_load_b64 s[10:11], s[0:1], 0x0
	s_load_b64 s[22:23], s[0:1], 0x18
	s_delay_alu instid0(VALU_DEP_1) | instskip(SKIP_2) | instid1(VALU_DEP_3)
	v_dual_max_num_f32 v4, v77, v77 :: v_dual_bitop2_b32 v1, 16, v0 bitop3:0x14
	v_xor_b32_e32 v3, 8, v0
	v_xor_b32_e32 v5, 4, v0
	v_cmp_gt_i32_e32 vcc_lo, 32, v1
	v_cndmask_b32_e32 v1, v0, v1, vcc_lo
	s_delay_alu instid0(VALU_DEP_4) | instskip(NEXT) | instid1(VALU_DEP_2)
	v_cmp_gt_i32_e32 vcc_lo, 32, v3
	v_dual_cndmask_b32 v3, v0, v3 :: v_dual_lshlrev_b32 v2, 2, v1
	v_cmp_gt_i32_e32 vcc_lo, 32, v5
	ds_bpermute_b32 v1, v2, v77
	s_wait_dscnt 0x0
	v_dual_lshlrev_b32 v3, 2, v3 :: v_dual_max_num_f32 v1, v1, v1
	s_delay_alu instid0(VALU_DEP_1) | instskip(SKIP_3) | instid1(VALU_DEP_1)
	v_max_num_f32_e32 v1, v4, v1
	ds_bpermute_b32 v4, v3, v1
	s_wait_dscnt 0x0
	v_max_num_f32_e32 v6, v4, v4
	v_dual_cndmask_b32 v5, v0, v5, vcc_lo :: v_dual_max_num_f32 v1, v1, v6
	s_delay_alu instid0(VALU_DEP_1) | instskip(SKIP_3) | instid1(VALU_DEP_1)
	v_lshlrev_b32_e32 v4, 2, v5
	ds_bpermute_b32 v5, v4, v1
	s_wait_dscnt 0x0
	v_dual_max_num_f32 v5, v5, v5 :: v_dual_bitop2_b32 v6, 2, v0 bitop3:0x14
	v_cmp_gt_i32_e32 vcc_lo, 32, v6
	s_delay_alu instid0(VALU_DEP_2) | instskip(NEXT) | instid1(VALU_DEP_1)
	v_dual_max_num_f32 v1, v1, v5 :: v_dual_cndmask_b32 v6, v0, v6
	v_dual_lshlrev_b32 v30, 2, v6 :: v_dual_bitop2_b32 v6, 1, v0 bitop3:0x14
	ds_bpermute_b32 v5, v30, v1
	v_cmp_gt_i32_e32 vcc_lo, 32, v6
	v_cndmask_b32_e32 v0, v0, v6, vcc_lo
	s_delay_alu instid0(VALU_DEP_1) | instskip(SKIP_4) | instid1(VALU_DEP_1)
	v_lshlrev_b32_e32 v29, 2, v0
	scratch_load_b32 v0, off, off           ; 4-byte Folded Reload
	s_wait_dscnt 0x0
	v_max_num_f32_e32 v5, v5, v5
	s_wait_loadcnt 0x4
	v_dual_max_num_f32 v6, v1, v5 :: v_dual_lshlrev_b32 v5, 2, v79
	ds_bpermute_b32 v7, v29, v6
	s_wait_loadcnt 0x0
	v_cmp_eq_u32_e32 vcc_lo, 0, v0
	s_wait_xcnt 0x0
	s_and_saveexec_b32 s0, vcc_lo
	s_cbranch_execz .LBB96_18
; %bb.17:
	s_wait_dscnt 0x0
	v_dual_max_num_f32 v0, v7, v7 :: v_dual_max_num_f32 v1, v6, v6
	s_delay_alu instid0(VALU_DEP_1)
	v_max_num_f32_e32 v0, v1, v0
	ds_store_b32 v5, v0 offset:256
.LBB96_18:
	s_or_b32 exec_lo, exec_lo, s0
	scratch_load_b32 v0, off, off           ; 4-byte Folded Reload
	v_mov_b32_e32 v6, 0xff7fffff
	s_wait_storecnt 0x0
	s_wait_loadcnt_dscnt 0x0
	s_barrier_signal -1
	s_barrier_wait -1
	v_cmp_gt_u32_e64 s0, 4, v0
	s_and_saveexec_b32 s1, s0
; %bb.19:
	ds_load_b32 v6, v10 offset:256
; %bb.20:
	s_or_b32 exec_lo, exec_lo, s1
	s_wait_dscnt 0x0
	ds_bpermute_b32 v0, v30, v6
	v_max_num_f32_e32 v1, v6, v6
	s_lshl_b32 s1, s31, 5
	v_mov_b32_e32 v6, 0
	s_min_i32 s4, s1, s29
	s_delay_alu instid0(SALU_CYCLE_1) | instskip(SKIP_2) | instid1(VALU_DEP_1)
	v_cmp_gt_i32_e64 s1, s4, v78
	s_wait_dscnt 0x0
	v_max_num_f32_e32 v0, v0, v0
	v_max_num_f32_e32 v0, v1, v0
	ds_bpermute_b32 v1, v29, v0
	s_wait_dscnt 0x0
	v_max_num_f32_e32 v1, v1, v1
	s_delay_alu instid0(VALU_DEP_1)
	v_max_num_f32_e32 v0, v0, v1
	ds_bpermute_b32 v7, v6, v0
	s_and_saveexec_b32 s21, s1
	s_cbranch_execz .LBB96_24
; %bb.21:
	v_lshl_add_u32 v8, v78, 2, 0x120
	v_dual_mov_b32 v6, 0 :: v_dual_mov_b32 v9, v78
	s_mov_b32 s24, 0
.LBB96_22:                              ; =>This Inner Loop Header: Depth=1
	ds_load_b32 v0, v8
	v_add_nc_u32_e32 v9, 0x80, v9
	s_delay_alu instid0(VALU_DEP_1) | instskip(SKIP_3) | instid1(VALU_DEP_1)
	v_cmp_le_i32_e64 s3, s4, v9
	s_or_b32 s24, s3, s24
	s_wait_dscnt 0x0
	v_sub_f32_e32 v0, v0, v7
	v_mul_f32_e32 v0, 0x3fb8aa3b, v0
	s_delay_alu instid0(VALU_DEP_1)
	v_exp_f32_e32 v0, v0
	ds_store_b32 v8, v0
	v_nop
	v_add_f32_e32 v6, v6, v0
	v_add_nc_u32_e32 v8, 0x200, v8
	s_and_not1_b32 exec_lo, exec_lo, s24
	s_cbranch_execnz .LBB96_22
; %bb.23:
	s_or_b32 exec_lo, exec_lo, s24
.LBB96_24:
	s_delay_alu instid0(SALU_CYCLE_1)
	s_or_b32 exec_lo, exec_lo, s21
	ds_bpermute_b32 v0, v2, v6
	s_wait_dscnt 0x0
	v_add_f32_e32 v0, v6, v0
	ds_bpermute_b32 v1, v3, v0
	s_wait_dscnt 0x0
	v_add_f32_e32 v0, v0, v1
	;; [unrolled: 3-line block ×5, first 2 shown]
	s_and_saveexec_b32 s3, vcc_lo
; %bb.25:
	ds_store_b32 v5, v2 offset:272
; %bb.26:
	s_or_b32 exec_lo, exec_lo, s3
	s_wait_dscnt 0x0
	s_barrier_signal -1
	s_barrier_wait -1
	s_and_saveexec_b32 s3, s0
; %bb.27:
	ds_load_b32 v2, v10 offset:272
; %bb.28:
	s_or_b32 exec_lo, exec_lo, s3
	s_wait_dscnt 0x0
	ds_bpermute_b32 v0, v30, v2
	s_wait_dscnt 0x0
	v_dual_mov_b32 v7, 0 :: v_dual_add_f32 v0, v2, v0
	ds_bpermute_b32 v1, v29, v0
	s_wait_dscnt 0x0
	v_add_f32_e32 v0, v0, v1
	ds_bpermute_b32 v2, v7, v0
	s_and_saveexec_b32 s0, s1
	s_cbranch_execz .LBB96_41
; %bb.29:
	s_wait_dscnt 0x0
	v_add_f32_e32 v0, 0x358637bd, v2
	s_mov_b32 s3, -1
	s_mov_b32 s1, exec_lo
	s_delay_alu instid0(VALU_DEP_1) | instskip(SKIP_1) | instid1(VALU_DEP_2)
	v_div_scale_f32 v1, null, v0, v0, 1.0
	v_div_scale_f32 v4, vcc_lo, 1.0, v0, 1.0
	v_rcp_f32_e32 v2, v1
	v_nop
	s_delay_alu instid0(TRANS32_DEP_1) | instskip(NEXT) | instid1(VALU_DEP_1)
	v_fma_f32 v3, -v1, v2, 1.0
	v_fmac_f32_e32 v2, v3, v2
	s_delay_alu instid0(VALU_DEP_1) | instskip(NEXT) | instid1(VALU_DEP_1)
	v_mul_f32_e32 v3, v4, v2
	v_fma_f32 v5, -v1, v3, v4
	s_delay_alu instid0(VALU_DEP_1) | instskip(NEXT) | instid1(VALU_DEP_1)
	v_fmac_f32_e32 v3, v5, v2
	v_fma_f32 v1, -v1, v3, v4
	v_xad_u32 v4, v78, -1, s4
	s_delay_alu instid0(VALU_DEP_2) | instskip(SKIP_1) | instid1(VALU_DEP_2)
	v_div_fmas_f32 v1, v1, v2, v3
	v_mov_b32_e32 v3, v78
	v_div_fixup_f32 v2, v1, v0, 1.0
	s_delay_alu instid0(VALU_DEP_4)
	v_cmpx_lt_u32_e32 0x7f, v4
	s_cbranch_execz .LBB96_38
; %bb.30:
	s_delay_alu instid0(VALU_DEP_2) | instskip(SKIP_1) | instid1(VALU_DEP_1)
	v_dual_mov_b32 v3, v2 :: v_dual_lshrrev_b32 v4, 7, v4
	s_mov_b32 s3, exec_lo
	v_dual_mov_b32 v9, 0 :: v_dual_add_nc_u32 v0, -1, v4
	s_delay_alu instid0(VALU_DEP_1) | instskip(NEXT) | instid1(VALU_DEP_1)
	v_lshrrev_b32_e32 v1, 1, v0
	v_add_nc_u32_e32 v5, 1, v1
	v_cmpx_lt_u32_e32 13, v0
	s_cbranch_execz .LBB96_34
; %bb.31:
	s_delay_alu instid0(VALU_DEP_2)
	v_and_b32_e32 v6, -8, v5
	v_lshl_add_u32 v8, v78, 2, 0x120
	s_mov_b32 s21, 0
	s_mov_b32 s24, 0
.LBB96_32:                              ; =>This Inner Loop Header: Depth=1
	ds_load_2addr_stride64_b32 v[0:1], v8 offset1:2
	ds_load_2addr_stride64_b32 v[10:11], v8 offset0:4 offset1:6
	ds_load_2addr_stride64_b32 v[12:13], v8 offset0:8 offset1:10
	;; [unrolled: 1-line block ×7, first 2 shown]
	s_add_co_i32 s24, s24, 16
	s_delay_alu instid0(SALU_CYCLE_1) | instskip(NEXT) | instid1(VALU_DEP_1)
	v_dual_mov_b32 v9, s24 :: v_dual_add_nc_u32 v6, -8, v6
	v_cmp_eq_u32_e32 vcc_lo, 0, v6
	s_or_b32 s21, vcc_lo, s21
	s_wait_dscnt 0x7
	v_pk_mul_f32 v[0:1], v[2:3], v[0:1]
	s_wait_dscnt 0x6
	v_pk_mul_f32 v[10:11], v[2:3], v[10:11]
	;; [unrolled: 2-line block ×8, first 2 shown]
	ds_store_2addr_stride64_b32 v8, v0, v1 offset1:2
	ds_store_2addr_stride64_b32 v8, v10, v11 offset0:4 offset1:6
	ds_store_2addr_stride64_b32 v8, v12, v13 offset0:8 offset1:10
	;; [unrolled: 1-line block ×7, first 2 shown]
	v_add_nc_u32_e32 v8, 0x2000, v8
	s_and_not1_b32 exec_lo, exec_lo, s21
	s_cbranch_execnz .LBB96_32
; %bb.33:
	s_or_b32 exec_lo, exec_lo, s21
.LBB96_34:
	s_delay_alu instid0(SALU_CYCLE_1) | instskip(NEXT) | instid1(VALU_DEP_2)
	s_or_b32 exec_lo, exec_lo, s3
	v_and_b32_e32 v5, 7, v5
	s_mov_b32 s21, 0
	s_mov_b32 s3, exec_lo
	s_delay_alu instid0(VALU_DEP_1)
	v_cmpx_ne_u32_e32 0, v5
	s_cbranch_execz .LBB96_37
; %bb.35:
	v_dual_lshlrev_b32 v0, 9, v9 :: v_dual_lshlrev_b32 v1, 2, v78
	s_delay_alu instid0(VALU_DEP_1)
	v_add3_u32 v6, v0, v1, 0x120
.LBB96_36:                              ; =>This Inner Loop Header: Depth=1
	ds_load_2addr_stride64_b32 v[0:1], v6 offset1:2
	v_add_nc_u32_e32 v5, -1, v5
	s_delay_alu instid0(VALU_DEP_1)
	v_cmp_eq_u32_e32 vcc_lo, 0, v5
	s_or_b32 s21, vcc_lo, s21
	s_wait_dscnt 0x0
	v_pk_mul_f32 v[0:1], v[2:3], v[0:1]
	ds_store_2addr_stride64_b32 v6, v0, v1 offset1:2
	v_add_nc_u32_e32 v6, 0x400, v6
	s_and_not1_b32 exec_lo, exec_lo, s21
	s_cbranch_execnz .LBB96_36
.LBB96_37:
	s_or_b32 exec_lo, exec_lo, s3
	v_add_nc_u32_e32 v0, 1, v4
	s_delay_alu instid0(VALU_DEP_1) | instskip(NEXT) | instid1(VALU_DEP_1)
	v_and_b32_e32 v1, 0x3fffffe, v0
	v_cmp_ne_u32_e32 vcc_lo, v0, v1
	v_lshl_add_u32 v3, v1, 7, v78
	s_or_not1_b32 s3, vcc_lo, exec_lo
.LBB96_38:
	s_or_b32 exec_lo, exec_lo, s1
	s_delay_alu instid0(SALU_CYCLE_1)
	s_and_b32 exec_lo, exec_lo, s3
	s_cbranch_execz .LBB96_41
; %bb.39:
	v_lshl_add_u32 v4, v3, 2, 0x120
	s_mov_b32 s1, 0
.LBB96_40:                              ; =>This Inner Loop Header: Depth=1
	ds_load_b32 v0, v4
	s_wait_dscnt 0x0
	v_dual_mul_f32 v0, v2, v0 :: v_dual_add_nc_u32 v3, 0x80, v3
	s_delay_alu instid0(VALU_DEP_1) | instskip(SKIP_3) | instid1(SALU_CYCLE_1)
	v_cmp_le_i32_e32 vcc_lo, s4, v3
	ds_store_b32 v4, v0
	v_add_nc_u32_e32 v4, 0x200, v4
	s_or_b32 s1, vcc_lo, s1
	s_and_not1_b32 exec_lo, exec_lo, s1
	s_cbranch_execnz .LBB96_40
.LBB96_41:
	s_or_b32 exec_lo, exec_lo, s0
	v_dual_mov_b32 v6, 0 :: v_dual_bitop2_b32 v31, 3, v78 bitop3:0x40
	v_dual_mov_b32 v9, 0 :: v_dual_mov_b32 v8, 0
	v_dual_mov_b32 v11, 0 :: v_dual_mov_b32 v10, 0
	;; [unrolled: 1-line block ×7, first 2 shown]
	s_wait_dscnt 0x0
	s_barrier_signal -1
	s_barrier_wait -1
	s_and_saveexec_b32 s1, s2
	s_cbranch_execz .LBB96_79
; %bb.42:
	s_abs_i32 s6, s6
	v_dual_lshlrev_b32 v3, 3, v78 :: v_dual_mov_b32 v63, 0
	s_cvt_f32_u32 s0, s6
	v_lshlrev_b32_e32 v4, 5, v31
	s_ashr_i32 s21, s20, 31
	v_and_b32_e32 v0, 0x1f0, v24
	v_rcp_iflag_f32_e32 v1, s0
	v_and_b32_e32 v2, 0x7c, v25
	v_dual_mov_b32 v3, v63 :: v_dual_bitop2_b32 v32, 24, v3 bitop3:0x40
	s_lshl_b64 s[18:19], s[18:19], 2
	s_lshl_b64 s[20:21], s[20:21], 1
	s_add_nc_u64 s[16:17], s[16:17], s[18:19]
	s_delay_alu instid0(TRANS32_DEP_1)
	v_readfirstlane_b32 s0, v1
	v_mov_b32_e32 v1, v63
	v_lshl_or_b32 v4, v79, 7, v4
	s_wait_kmcnt 0x0
	s_add_nc_u64 s[18:19], s[22:23], s[20:21]
	s_sub_co_i32 s4, 0, s6
	s_mul_f32 s0, s0, 0x4f7ffffe
	v_add_nc_u64_e32 v[22:23], s[18:19], v[0:1]
	v_add_nc_u64_e32 v[24:25], s[16:17], v[2:3]
	v_dual_mov_b32 v34, v79 :: v_dual_add_nc_u32 v33, 0x120, v4
	s_cvt_u32_f32 s0, s0
	v_dual_mov_b32 v20, v63 :: v_dual_mov_b32 v21, v63
	v_dual_mov_b32 v18, v63 :: v_dual_mov_b32 v19, v63
	s_delay_alu instid0(SALU_CYCLE_1)
	s_mul_i32 s4, s4, s0
	v_dual_mov_b32 v16, v63 :: v_dual_mov_b32 v17, v63
	v_dual_mov_b32 v14, v63 :: v_dual_mov_b32 v15, v63
	;; [unrolled: 1-line block ×6, first 2 shown]
	s_sub_co_i32 s24, s33, s5
	s_mov_b32 s5, 0
	s_mul_hi_u32 s4, s0, s4
	s_ashr_i32 s3, s9, 31
	s_mov_b32 s2, s9
	s_add_co_i32 s9, s31, -1
	s_mov_b32 s16, s29
	s_add_co_i32 s4, s0, s4
	s_mov_b32 s17, s5
	s_branch .LBB96_45
.LBB96_43:                              ;   in Loop: Header=BB96_45 Depth=1
	s_or_b32 exec_lo, exec_lo, s0
	v_dual_add_f32 v28, v28, v43 :: v_dual_add_f32 v35, v75, v76
	v_add_f32_e32 v0, v0, v74
	v_add_f32_e32 v36, v72, v73
	v_dual_lshlrev_b32 v1, 16, v1 :: v_dual_lshlrev_b32 v27, 16, v27
	s_delay_alu instid0(VALU_DEP_4) | instskip(NEXT) | instid1(VALU_DEP_4)
	v_add_f32_e32 v6, v6, v28
	v_dual_add_f32 v8, v8, v0 :: v_dual_add_f32 v0, v70, v71
	v_dual_add_f32 v37, v60, v61 :: v_dual_lshlrev_b32 v26, 16, v26
	v_dual_add_f32 v9, v9, v35 :: v_dual_add_f32 v11, v11, v36
	s_delay_alu instid0(VALU_DEP_3) | instskip(SKIP_1) | instid1(VALU_DEP_4)
	v_dual_add_f32 v28, v68, v69 :: v_dual_add_f32 v10, v10, v0
	v_add_f32_e32 v0, v58, v59
	v_and_or_b32 v2, 0xffff, v2, v26
	v_and_or_b32 v1, 0xffff, v3, v1
	v_dual_add_f32 v35, v66, v67 :: v_dual_add_f32 v36, v64, v65
	v_dual_add_f32 v13, v13, v28 :: v_dual_add_f32 v28, v56, v57
	v_add_f32_e32 v17, v17, v0
	v_and_or_b32 v3, 0xffff, v4, v27
	;;#ASMSTART
	v_pk_mul_f16 v2, v45, v2;

	;;#ASMEND
	;;#ASMSTART
	v_pk_mul_f16 v1, v44, v1;

	;;#ASMEND
	;; [unrolled: 4-line block ×4, first 2 shown]
	;;#ASMSTART
	v_pk_add_f16 v1, v2, v1;

	;;#ASMEND
	;;#ASMSTART
	v_pk_add_f16 v1, v1, v3;

	;;#ASMEND
	;; [unrolled: 4-line block ×3, first 2 shown]
	v_and_b32_e32 v4, 0xffff, v1
	v_dual_add_f32 v2, v50, v51 :: v_dual_lshrrev_b32 v5, 16, v1
	;;#ASMSTART
	v_cvt_f32_f16 v4, v4;
	;;#ASMEND
	v_dual_add_f32 v16, v16, v28 :: v_dual_add_f32 v0, v54, v55
	v_add_f32_e32 v1, v52, v53
	s_delay_alu instid0(VALU_DEP_3)
	v_dual_add_f32 v3, v48, v49 :: v_dual_add_f32 v21, v21, v2
	;;#ASMSTART
	v_cvt_f32_f16 v5, v5;
	;;#ASMEND
	v_add_f32_e32 v4, v4, v5
	v_dual_add_f32 v12, v12, v35 :: v_dual_add_f32 v15, v15, v36
	v_dual_add_f32 v14, v14, v37 :: v_dual_add_f32 v19, v19, v0
	;; [unrolled: 1-line block ×3, first 2 shown]
	s_delay_alu instid0(VALU_DEP_4)
	v_add_f32_e32 v7, v7, v4
.LBB96_44:                              ;   in Loop: Header=BB96_45 Depth=1
	s_or_b32 exec_lo, exec_lo, s18
	v_add_nc_u32_e32 v34, 4, v34
	v_add_nc_u64_e32 v[24:25], 16, v[24:25]
	v_add_nc_u32_e32 v62, 0x80, v62
	v_add_nc_u32_e32 v33, 0x200, v33
	s_delay_alu instid0(VALU_DEP_4) | instskip(SKIP_1) | instid1(SALU_CYCLE_1)
	v_cmp_le_i32_e32 vcc_lo, s31, v34
	s_or_b32 s17, vcc_lo, s17
	s_and_not1_b32 exec_lo, exec_lo, s17
	s_cbranch_execz .LBB96_78
.LBB96_45:                              ; =>This Inner Loop Header: Depth=1
	v_mul_u64_e32 v[0:1], s[14:15], v[62:63]
	s_delay_alu instid0(VALU_DEP_1) | instskip(NEXT) | instid1(VALU_DEP_1)
	v_mul_lo_u32 v0, v1, s8
	v_dual_add_nc_u32 v2, 1, v1 :: v_dual_sub_nc_u32 v0, v62, v0
	s_delay_alu instid0(VALU_DEP_1) | instskip(SKIP_1) | instid1(VALU_DEP_2)
	v_subrev_nc_u32_e32 v3, s8, v0
	v_cmp_le_u32_e32 vcc_lo, s8, v0
	v_dual_cndmask_b32 v1, v1, v2 :: v_dual_cndmask_b32 v0, v0, v3
	s_delay_alu instid0(VALU_DEP_1) | instskip(NEXT) | instid1(VALU_DEP_2)
	v_add_nc_u32_e32 v2, 1, v1
	v_cmp_le_u32_e32 vcc_lo, s8, v0
	s_delay_alu instid0(VALU_DEP_2) | instskip(NEXT) | instid1(VALU_DEP_1)
	v_dual_cndmask_b32 v0, v1, v2 :: v_dual_mov_b32 v1, v63
	v_xor_b32_e32 v0, s30, v0
	s_delay_alu instid0(VALU_DEP_1) | instskip(NEXT) | instid1(VALU_DEP_1)
	v_subrev_nc_u32_e32 v4, s30, v0
	v_add_nc_u32_e32 v5, s13, v4
	v_cmp_lt_i32_e64 s0, s24, v4
	s_delay_alu instid0(VALU_DEP_2) | instskip(NEXT) | instid1(VALU_DEP_1)
	v_sub_nc_u32_e32 v0, 0, v5
	v_max_i32_e32 v0, v5, v0
	s_delay_alu instid0(VALU_DEP_1) | instskip(SKIP_1) | instid1(VALU_DEP_2)
	v_mul_u64_e32 v[2:3], s[4:5], v[0:1]
	v_ashrrev_i32_e32 v2, 31, v5
	v_mul_lo_u32 v1, v3, s6
	s_delay_alu instid0(VALU_DEP_1) | instskip(NEXT) | instid1(VALU_DEP_1)
	v_sub_nc_u32_e32 v0, v0, v1
	v_subrev_nc_u32_e32 v1, s6, v0
	v_cmp_le_u32_e32 vcc_lo, s6, v0
	s_delay_alu instid0(VALU_DEP_2) | instskip(NEXT) | instid1(VALU_DEP_1)
	v_cndmask_b32_e32 v0, v0, v1, vcc_lo
	v_subrev_nc_u32_e32 v1, s6, v0
	v_cmp_le_u32_e32 vcc_lo, s6, v0
	s_delay_alu instid0(VALU_DEP_2) | instskip(NEXT) | instid1(VALU_DEP_1)
	v_cndmask_b32_e32 v0, v0, v1, vcc_lo
	v_xor_b32_e32 v0, v0, v2
	s_delay_alu instid0(VALU_DEP_1) | instskip(NEXT) | instid1(VALU_DEP_1)
	v_sub_nc_u32_e32 v0, v0, v2
	v_cmp_eq_u32_e32 vcc_lo, 0, v0
	s_or_b32 s0, vcc_lo, s0
	s_delay_alu instid0(SALU_CYCLE_1)
	s_and_saveexec_b32 s18, s0
	s_cbranch_execz .LBB96_44
; %bb.46:                               ;   in Loop: Header=BB96_45 Depth=1
	global_load_b32 v0, v[24:25], off
	v_cmp_eq_u32_e32 vcc_lo, s9, v34
	s_wait_loadcnt 0x0
	v_ashrrev_i32_e32 v1, 31, v0
	s_delay_alu instid0(VALU_DEP_1)
	v_mul_u64_e32 v[4:5], s[2:3], v[0:1]
	ds_load_2addr_b64 v[0:3], v33 offset1:1
	ds_load_2addr_b64 v[36:39], v33 offset0:2 offset1:3
	s_wait_dscnt 0x1
	;;#ASMSTART
	v_cvt_f16_f32 v45, v0;

	;;#ASMEND
	;;#ASMSTART
	v_cvt_f16_f32 v44, v1;

	;;#ASMEND
	;;#ASMSTART
	v_cvt_f16_f32 v49, v2;

	;;#ASMEND
	;;#ASMSTART
	v_cvt_f16_f32 v47, v3;

	;;#ASMEND
	s_wait_dscnt 0x0
	;;#ASMSTART
	v_cvt_f16_f32 v50, v36;

	;;#ASMEND
	;;#ASMSTART
	v_cvt_f16_f32 v46, v37;

	;;#ASMEND
	;; [unrolled: 4-line block ×4, first 2 shown]
	v_add_nc_u32_e32 v39, v32, v62
	v_lshl_add_u64 v[26:27], v[4:5], 1, v[22:23]
	s_delay_alu instid0(VALU_DEP_2)
	v_dual_add_nc_u32 v41, 2, v39 :: v_dual_add_nc_u32 v36, 4, v39
	v_dual_add_nc_u32 v35, 5, v39 :: v_dual_add_nc_u32 v38, 6, v39
	global_load_b128 v[2:5], v[26:27], off
	v_dual_add_nc_u32 v37, 7, v39 :: v_dual_bitop2_b32 v42, 3, v39 bitop3:0x54
	s_wait_loadcnt 0x0
	v_dual_lshrrev_b32 v43, 16, v4 :: v_dual_bitop2_b32 v40, 1, v39 bitop3:0x54
	v_dual_lshrrev_b32 v1, 16, v3 :: v_dual_lshrrev_b32 v28, 16, v2
	s_and_saveexec_b32 s19, vcc_lo
	s_cbranch_execz .LBB96_48
; %bb.47:                               ;   in Loop: Header=BB96_45 Depth=1
	v_cmp_gt_i32_e64 s0, s29, v39
	v_and_b32_e32 v51, 0xffff, v5
	v_and_b32_e32 v5, 0xffff0000, v5
	s_delay_alu instid0(VALU_DEP_3) | instskip(SKIP_1) | instid1(VALU_DEP_1)
	v_cndmask_b32_e64 v2, 0, v2, s0
	v_cmp_gt_i32_e64 s0, s29, v41
	v_cndmask_b32_e64 v3, 0, v3, s0
	v_cmp_gt_i32_e64 s0, s16, v42
	s_delay_alu instid0(VALU_DEP_1) | instskip(SKIP_1) | instid1(VALU_DEP_1)
	v_cndmask_b32_e64 v1, 0, v1, s0
	v_cmp_gt_i32_e64 s0, s29, v40
	v_cndmask_b32_e64 v28, 0, v28, s0
	v_cmp_gt_i32_e64 s0, s29, v38
	s_delay_alu instid0(VALU_DEP_1) | instskip(SKIP_1) | instid1(VALU_DEP_1)
	;; [unrolled: 5-line block ×3, first 2 shown]
	v_dual_cndmask_b32 v4, 0, v4, s0 :: v_dual_bitop2_b32 v5, v51, v5 bitop3:0x54
	v_cmp_gt_i32_e64 s0, s29, v35
	v_cndmask_b32_e64 v43, 0, v43, s0
.LBB96_48:                              ;   in Loop: Header=BB96_45 Depth=1
	s_or_b32 exec_lo, exec_lo, s19
	v_and_b32_e32 v45, 0xffff, v45
	v_and_b32_e32 v49, 0xffff, v49
	v_dual_lshlrev_b32 v28, 16, v28 :: v_dual_lshlrev_b32 v1, 16, v1
	v_lshlrev_b32_e32 v43, 16, v43
	s_delay_alu instid0(VALU_DEP_4) | instskip(NEXT) | instid1(VALU_DEP_4)
	v_lshl_or_b32 v45, v44, 16, v45
	v_lshl_or_b32 v44, v47, 16, v49
	v_and_b32_e32 v47, 0xffff, v48
	v_and_b32_e32 v50, 0xffff, v50
	v_and_or_b32 v2, 0xffff, v2, v28
	v_and_or_b32 v1, 0xffff, v3, v1
	;; [unrolled: 1-line block ×3, first 2 shown]
	v_lshl_or_b32 v47, v0, 16, v47
	;;#ASMSTART
	v_pk_mul_f16 v0, v45, v2;

	;;#ASMEND
	v_lshl_or_b32 v46, v46, 16, v50
	;;#ASMSTART
	v_pk_mul_f16 v1, v44, v1;

	;;#ASMEND
	;;#ASMSTART
	v_pk_mul_f16 v2, v46, v3;

	;;#ASMEND
	;; [unrolled: 4-line block ×3, first 2 shown]
	;;#ASMSTART
	v_pk_add_f16 v0, v0, v1;

	;;#ASMEND
	;;#ASMSTART
	v_pk_add_f16 v0, v0, v2;

	;;#ASMEND
	;; [unrolled: 4-line block ×3, first 2 shown]
	v_and_b32_e32 v1, 0xffff, v0
	v_lshrrev_b32_e32 v0, 16, v0
	;;#ASMSTART
	v_cvt_f32_f16 v48, v1;
	;;#ASMEND
	;;#ASMSTART
	v_cvt_f32_f16 v49, v0;
	;;#ASMEND
	global_load_b128 v[2:5], v[26:27], off offset:512
	s_wait_loadcnt 0x0
	v_dual_lshrrev_b32 v1, 16, v3 :: v_dual_lshrrev_b32 v28, 16, v2
	v_lshrrev_b32_e32 v43, 16, v4
	s_and_saveexec_b32 s19, vcc_lo
	s_cbranch_execz .LBB96_50
; %bb.49:                               ;   in Loop: Header=BB96_45 Depth=1
	v_cmp_gt_i32_e64 s0, s29, v39
	v_and_b32_e32 v0, 0xffff, v5
	v_and_b32_e32 v5, 0xffff0000, v5
	s_delay_alu instid0(VALU_DEP_3) | instskip(SKIP_1) | instid1(VALU_DEP_1)
	v_cndmask_b32_e64 v2, 0, v2, s0
	v_cmp_gt_i32_e64 s0, s29, v41
	v_cndmask_b32_e64 v3, 0, v3, s0
	v_cmp_gt_i32_e64 s0, s16, v42
	s_delay_alu instid0(VALU_DEP_1) | instskip(SKIP_1) | instid1(VALU_DEP_1)
	v_cndmask_b32_e64 v1, 0, v1, s0
	v_cmp_gt_i32_e64 s0, s29, v40
	v_cndmask_b32_e64 v28, 0, v28, s0
	v_cmp_gt_i32_e64 s0, s29, v38
	s_delay_alu instid0(VALU_DEP_1) | instskip(SKIP_1) | instid1(VALU_DEP_1)
	;; [unrolled: 5-line block ×3, first 2 shown]
	v_dual_cndmask_b32 v4, 0, v4, s0 :: v_dual_bitop2_b32 v5, v0, v5 bitop3:0x54
	v_cmp_gt_i32_e64 s0, s29, v35
	v_cndmask_b32_e64 v43, 0, v43, s0
.LBB96_50:                              ;   in Loop: Header=BB96_45 Depth=1
	s_or_b32 exec_lo, exec_lo, s19
	v_dual_lshlrev_b32 v0, 16, v28 :: v_dual_lshlrev_b32 v1, 16, v1
	s_delay_alu instid0(VALU_DEP_2) | instskip(NEXT) | instid1(VALU_DEP_2)
	v_lshlrev_b32_e32 v28, 16, v43
	v_and_or_b32 v0, 0xffff, v2, v0
	s_delay_alu instid0(VALU_DEP_3) | instskip(NEXT) | instid1(VALU_DEP_3)
	v_and_or_b32 v1, 0xffff, v3, v1
	v_and_or_b32 v2, 0xffff, v4, v28
	;;#ASMSTART
	v_pk_mul_f16 v0, v45, v0;

	;;#ASMEND
	;;#ASMSTART
	v_pk_mul_f16 v1, v44, v1;

	;;#ASMEND
	;;#ASMSTART
	v_pk_mul_f16 v2, v46, v2;

	;;#ASMEND
	;;#ASMSTART
	v_pk_mul_f16 v3, v47, v5;

	;;#ASMEND
	;;#ASMSTART
	v_pk_add_f16 v0, v0, v1;

	;;#ASMEND
	;;#ASMSTART
	v_pk_add_f16 v0, v0, v2;

	;;#ASMEND
	;; [unrolled: 4-line block ×3, first 2 shown]
	v_and_b32_e32 v1, 0xffff, v0
	v_lshrrev_b32_e32 v0, 16, v0
	;;#ASMSTART
	v_cvt_f32_f16 v50, v1;
	;;#ASMEND
	;;#ASMSTART
	v_cvt_f32_f16 v51, v0;
	;;#ASMEND
	global_load_b128 v[2:5], v[26:27], off offset:1024
	s_wait_loadcnt 0x0
	v_dual_lshrrev_b32 v1, 16, v3 :: v_dual_lshrrev_b32 v28, 16, v2
	v_lshrrev_b32_e32 v43, 16, v4
	s_and_saveexec_b32 s19, vcc_lo
	s_cbranch_execz .LBB96_52
; %bb.51:                               ;   in Loop: Header=BB96_45 Depth=1
	v_cmp_gt_i32_e64 s0, s29, v39
	v_and_b32_e32 v0, 0xffff, v5
	v_and_b32_e32 v5, 0xffff0000, v5
	s_delay_alu instid0(VALU_DEP_3) | instskip(SKIP_1) | instid1(VALU_DEP_1)
	v_cndmask_b32_e64 v2, 0, v2, s0
	v_cmp_gt_i32_e64 s0, s29, v41
	v_cndmask_b32_e64 v3, 0, v3, s0
	v_cmp_gt_i32_e64 s0, s16, v42
	s_delay_alu instid0(VALU_DEP_1) | instskip(SKIP_1) | instid1(VALU_DEP_1)
	v_cndmask_b32_e64 v1, 0, v1, s0
	v_cmp_gt_i32_e64 s0, s29, v40
	v_cndmask_b32_e64 v28, 0, v28, s0
	v_cmp_gt_i32_e64 s0, s29, v38
	s_delay_alu instid0(VALU_DEP_1) | instskip(SKIP_1) | instid1(VALU_DEP_1)
	;; [unrolled: 5-line block ×3, first 2 shown]
	v_dual_cndmask_b32 v4, 0, v4, s0 :: v_dual_bitop2_b32 v5, v0, v5 bitop3:0x54
	v_cmp_gt_i32_e64 s0, s29, v35
	v_cndmask_b32_e64 v43, 0, v43, s0
.LBB96_52:                              ;   in Loop: Header=BB96_45 Depth=1
	s_or_b32 exec_lo, exec_lo, s19
	v_dual_lshlrev_b32 v0, 16, v28 :: v_dual_lshlrev_b32 v1, 16, v1
	s_delay_alu instid0(VALU_DEP_2) | instskip(NEXT) | instid1(VALU_DEP_2)
	v_lshlrev_b32_e32 v28, 16, v43
	v_and_or_b32 v0, 0xffff, v2, v0
	s_delay_alu instid0(VALU_DEP_3) | instskip(NEXT) | instid1(VALU_DEP_3)
	v_and_or_b32 v1, 0xffff, v3, v1
	v_and_or_b32 v2, 0xffff, v4, v28
	;;#ASMSTART
	v_pk_mul_f16 v0, v45, v0;

	;;#ASMEND
	;;#ASMSTART
	v_pk_mul_f16 v1, v44, v1;

	;;#ASMEND
	;; [unrolled: 4-line block ×4, first 2 shown]
	;;#ASMSTART
	v_pk_add_f16 v0, v0, v1;

	;;#ASMEND
	;;#ASMSTART
	v_pk_add_f16 v0, v0, v2;

	;;#ASMEND
	;; [unrolled: 4-line block ×3, first 2 shown]
	v_and_b32_e32 v1, 0xffff, v0
	v_lshrrev_b32_e32 v0, 16, v0
	;;#ASMSTART
	v_cvt_f32_f16 v52, v1;
	;;#ASMEND
	;;#ASMSTART
	v_cvt_f32_f16 v53, v0;
	;;#ASMEND
	global_load_b128 v[2:5], v[26:27], off offset:1536
	s_wait_loadcnt 0x0
	v_dual_lshrrev_b32 v1, 16, v3 :: v_dual_lshrrev_b32 v28, 16, v2
	v_lshrrev_b32_e32 v43, 16, v4
	s_and_saveexec_b32 s19, vcc_lo
	s_cbranch_execz .LBB96_54
; %bb.53:                               ;   in Loop: Header=BB96_45 Depth=1
	v_cmp_gt_i32_e64 s0, s29, v39
	v_and_b32_e32 v0, 0xffff, v5
	v_and_b32_e32 v5, 0xffff0000, v5
	s_delay_alu instid0(VALU_DEP_3) | instskip(SKIP_1) | instid1(VALU_DEP_1)
	v_cndmask_b32_e64 v2, 0, v2, s0
	v_cmp_gt_i32_e64 s0, s29, v41
	v_cndmask_b32_e64 v3, 0, v3, s0
	v_cmp_gt_i32_e64 s0, s16, v42
	s_delay_alu instid0(VALU_DEP_1) | instskip(SKIP_1) | instid1(VALU_DEP_1)
	v_cndmask_b32_e64 v1, 0, v1, s0
	v_cmp_gt_i32_e64 s0, s29, v40
	v_cndmask_b32_e64 v28, 0, v28, s0
	v_cmp_gt_i32_e64 s0, s29, v38
	s_delay_alu instid0(VALU_DEP_1) | instskip(SKIP_1) | instid1(VALU_DEP_1)
	;; [unrolled: 5-line block ×3, first 2 shown]
	v_dual_cndmask_b32 v4, 0, v4, s0 :: v_dual_bitop2_b32 v5, v0, v5 bitop3:0x54
	v_cmp_gt_i32_e64 s0, s29, v35
	v_cndmask_b32_e64 v43, 0, v43, s0
.LBB96_54:                              ;   in Loop: Header=BB96_45 Depth=1
	s_or_b32 exec_lo, exec_lo, s19
	v_dual_lshlrev_b32 v0, 16, v28 :: v_dual_lshlrev_b32 v1, 16, v1
	s_delay_alu instid0(VALU_DEP_2) | instskip(NEXT) | instid1(VALU_DEP_2)
	v_lshlrev_b32_e32 v28, 16, v43
	v_and_or_b32 v0, 0xffff, v2, v0
	s_delay_alu instid0(VALU_DEP_3) | instskip(NEXT) | instid1(VALU_DEP_3)
	v_and_or_b32 v1, 0xffff, v3, v1
	v_and_or_b32 v2, 0xffff, v4, v28
	;;#ASMSTART
	v_pk_mul_f16 v0, v45, v0;

	;;#ASMEND
	;;#ASMSTART
	v_pk_mul_f16 v1, v44, v1;

	;;#ASMEND
	;; [unrolled: 4-line block ×4, first 2 shown]
	;;#ASMSTART
	v_pk_add_f16 v0, v0, v1;

	;;#ASMEND
	;;#ASMSTART
	v_pk_add_f16 v0, v0, v2;

	;;#ASMEND
	;; [unrolled: 4-line block ×3, first 2 shown]
	v_and_b32_e32 v1, 0xffff, v0
	v_lshrrev_b32_e32 v0, 16, v0
	;;#ASMSTART
	v_cvt_f32_f16 v54, v1;
	;;#ASMEND
	;;#ASMSTART
	v_cvt_f32_f16 v55, v0;
	;;#ASMEND
	global_load_b128 v[2:5], v[26:27], off offset:2048
	s_wait_loadcnt 0x0
	v_dual_lshrrev_b32 v1, 16, v3 :: v_dual_lshrrev_b32 v28, 16, v2
	v_lshrrev_b32_e32 v43, 16, v4
	s_and_saveexec_b32 s19, vcc_lo
	s_cbranch_execz .LBB96_56
; %bb.55:                               ;   in Loop: Header=BB96_45 Depth=1
	v_cmp_gt_i32_e64 s0, s29, v39
	v_and_b32_e32 v0, 0xffff, v5
	v_and_b32_e32 v5, 0xffff0000, v5
	s_delay_alu instid0(VALU_DEP_3) | instskip(SKIP_1) | instid1(VALU_DEP_1)
	v_cndmask_b32_e64 v2, 0, v2, s0
	v_cmp_gt_i32_e64 s0, s29, v41
	v_cndmask_b32_e64 v3, 0, v3, s0
	v_cmp_gt_i32_e64 s0, s16, v42
	s_delay_alu instid0(VALU_DEP_1) | instskip(SKIP_1) | instid1(VALU_DEP_1)
	v_cndmask_b32_e64 v1, 0, v1, s0
	v_cmp_gt_i32_e64 s0, s29, v40
	v_cndmask_b32_e64 v28, 0, v28, s0
	v_cmp_gt_i32_e64 s0, s29, v38
	s_delay_alu instid0(VALU_DEP_1) | instskip(SKIP_1) | instid1(VALU_DEP_1)
	;; [unrolled: 5-line block ×3, first 2 shown]
	v_dual_cndmask_b32 v4, 0, v4, s0 :: v_dual_bitop2_b32 v5, v0, v5 bitop3:0x54
	v_cmp_gt_i32_e64 s0, s29, v35
	v_cndmask_b32_e64 v43, 0, v43, s0
.LBB96_56:                              ;   in Loop: Header=BB96_45 Depth=1
	s_or_b32 exec_lo, exec_lo, s19
	v_dual_lshlrev_b32 v0, 16, v28 :: v_dual_lshlrev_b32 v1, 16, v1
	s_delay_alu instid0(VALU_DEP_2) | instskip(NEXT) | instid1(VALU_DEP_2)
	v_lshlrev_b32_e32 v28, 16, v43
	v_and_or_b32 v0, 0xffff, v2, v0
	s_delay_alu instid0(VALU_DEP_3) | instskip(NEXT) | instid1(VALU_DEP_3)
	v_and_or_b32 v1, 0xffff, v3, v1
	v_and_or_b32 v2, 0xffff, v4, v28
	;;#ASMSTART
	v_pk_mul_f16 v0, v45, v0;

	;;#ASMEND
	;;#ASMSTART
	v_pk_mul_f16 v1, v44, v1;

	;;#ASMEND
	;; [unrolled: 4-line block ×4, first 2 shown]
	;;#ASMSTART
	v_pk_add_f16 v0, v0, v1;

	;;#ASMEND
	;;#ASMSTART
	v_pk_add_f16 v0, v0, v2;

	;;#ASMEND
	;; [unrolled: 4-line block ×3, first 2 shown]
	v_and_b32_e32 v1, 0xffff, v0
	v_lshrrev_b32_e32 v0, 16, v0
	;;#ASMSTART
	v_cvt_f32_f16 v56, v1;
	;;#ASMEND
	;;#ASMSTART
	v_cvt_f32_f16 v57, v0;
	;;#ASMEND
	global_load_b128 v[2:5], v[26:27], off offset:2560
	s_wait_loadcnt 0x0
	v_dual_lshrrev_b32 v1, 16, v3 :: v_dual_lshrrev_b32 v28, 16, v2
	v_lshrrev_b32_e32 v43, 16, v4
	s_and_saveexec_b32 s19, vcc_lo
	s_cbranch_execz .LBB96_58
; %bb.57:                               ;   in Loop: Header=BB96_45 Depth=1
	v_cmp_gt_i32_e64 s0, s29, v39
	v_and_b32_e32 v0, 0xffff, v5
	v_and_b32_e32 v5, 0xffff0000, v5
	s_delay_alu instid0(VALU_DEP_3) | instskip(SKIP_1) | instid1(VALU_DEP_1)
	v_cndmask_b32_e64 v2, 0, v2, s0
	v_cmp_gt_i32_e64 s0, s29, v41
	v_cndmask_b32_e64 v3, 0, v3, s0
	v_cmp_gt_i32_e64 s0, s16, v42
	s_delay_alu instid0(VALU_DEP_1) | instskip(SKIP_1) | instid1(VALU_DEP_1)
	v_cndmask_b32_e64 v1, 0, v1, s0
	v_cmp_gt_i32_e64 s0, s29, v40
	v_cndmask_b32_e64 v28, 0, v28, s0
	v_cmp_gt_i32_e64 s0, s29, v38
	s_delay_alu instid0(VALU_DEP_1) | instskip(SKIP_1) | instid1(VALU_DEP_1)
	;; [unrolled: 5-line block ×3, first 2 shown]
	v_dual_cndmask_b32 v4, 0, v4, s0 :: v_dual_bitop2_b32 v5, v0, v5 bitop3:0x54
	v_cmp_gt_i32_e64 s0, s29, v35
	v_cndmask_b32_e64 v43, 0, v43, s0
.LBB96_58:                              ;   in Loop: Header=BB96_45 Depth=1
	s_or_b32 exec_lo, exec_lo, s19
	v_dual_lshlrev_b32 v0, 16, v28 :: v_dual_lshlrev_b32 v1, 16, v1
	s_delay_alu instid0(VALU_DEP_2) | instskip(NEXT) | instid1(VALU_DEP_2)
	v_lshlrev_b32_e32 v28, 16, v43
	v_and_or_b32 v0, 0xffff, v2, v0
	s_delay_alu instid0(VALU_DEP_3) | instskip(NEXT) | instid1(VALU_DEP_3)
	v_and_or_b32 v1, 0xffff, v3, v1
	v_and_or_b32 v2, 0xffff, v4, v28
	;;#ASMSTART
	v_pk_mul_f16 v0, v45, v0;

	;;#ASMEND
	;;#ASMSTART
	v_pk_mul_f16 v1, v44, v1;

	;;#ASMEND
	;; [unrolled: 4-line block ×4, first 2 shown]
	;;#ASMSTART
	v_pk_add_f16 v0, v0, v1;

	;;#ASMEND
	;;#ASMSTART
	v_pk_add_f16 v0, v0, v2;

	;;#ASMEND
	;; [unrolled: 4-line block ×3, first 2 shown]
	v_and_b32_e32 v1, 0xffff, v0
	v_lshrrev_b32_e32 v0, 16, v0
	;;#ASMSTART
	v_cvt_f32_f16 v58, v1;
	;;#ASMEND
	;;#ASMSTART
	v_cvt_f32_f16 v59, v0;
	;;#ASMEND
	global_load_b128 v[2:5], v[26:27], off offset:3072
	s_wait_loadcnt 0x0
	v_dual_lshrrev_b32 v1, 16, v3 :: v_dual_lshrrev_b32 v28, 16, v2
	v_lshrrev_b32_e32 v43, 16, v4
	s_and_saveexec_b32 s19, vcc_lo
	s_cbranch_execz .LBB96_60
; %bb.59:                               ;   in Loop: Header=BB96_45 Depth=1
	v_cmp_gt_i32_e64 s0, s29, v39
	v_and_b32_e32 v0, 0xffff, v5
	v_and_b32_e32 v5, 0xffff0000, v5
	s_delay_alu instid0(VALU_DEP_3) | instskip(SKIP_1) | instid1(VALU_DEP_1)
	v_cndmask_b32_e64 v2, 0, v2, s0
	v_cmp_gt_i32_e64 s0, s29, v41
	v_cndmask_b32_e64 v3, 0, v3, s0
	v_cmp_gt_i32_e64 s0, s16, v42
	s_delay_alu instid0(VALU_DEP_1) | instskip(SKIP_1) | instid1(VALU_DEP_1)
	v_cndmask_b32_e64 v1, 0, v1, s0
	v_cmp_gt_i32_e64 s0, s29, v40
	v_cndmask_b32_e64 v28, 0, v28, s0
	v_cmp_gt_i32_e64 s0, s29, v38
	s_delay_alu instid0(VALU_DEP_1) | instskip(SKIP_1) | instid1(VALU_DEP_1)
	;; [unrolled: 5-line block ×3, first 2 shown]
	v_dual_cndmask_b32 v4, 0, v4, s0 :: v_dual_bitop2_b32 v5, v0, v5 bitop3:0x54
	v_cmp_gt_i32_e64 s0, s29, v35
	v_cndmask_b32_e64 v43, 0, v43, s0
.LBB96_60:                              ;   in Loop: Header=BB96_45 Depth=1
	s_or_b32 exec_lo, exec_lo, s19
	v_dual_lshlrev_b32 v0, 16, v28 :: v_dual_lshlrev_b32 v1, 16, v1
	s_delay_alu instid0(VALU_DEP_2) | instskip(NEXT) | instid1(VALU_DEP_2)
	v_lshlrev_b32_e32 v28, 16, v43
	v_and_or_b32 v0, 0xffff, v2, v0
	s_delay_alu instid0(VALU_DEP_3) | instskip(NEXT) | instid1(VALU_DEP_3)
	v_and_or_b32 v1, 0xffff, v3, v1
	v_and_or_b32 v2, 0xffff, v4, v28
	;;#ASMSTART
	v_pk_mul_f16 v0, v45, v0;

	;;#ASMEND
	;;#ASMSTART
	v_pk_mul_f16 v1, v44, v1;

	;;#ASMEND
	;; [unrolled: 4-line block ×4, first 2 shown]
	;;#ASMSTART
	v_pk_add_f16 v0, v0, v1;

	;;#ASMEND
	;;#ASMSTART
	v_pk_add_f16 v0, v0, v2;

	;;#ASMEND
	;; [unrolled: 4-line block ×3, first 2 shown]
	v_and_b32_e32 v1, 0xffff, v0
	v_lshrrev_b32_e32 v0, 16, v0
	;;#ASMSTART
	v_cvt_f32_f16 v60, v1;
	;;#ASMEND
	;;#ASMSTART
	v_cvt_f32_f16 v61, v0;
	;;#ASMEND
	global_load_b128 v[2:5], v[26:27], off offset:3584
	s_wait_loadcnt 0x0
	v_dual_lshrrev_b32 v1, 16, v3 :: v_dual_lshrrev_b32 v28, 16, v2
	v_lshrrev_b32_e32 v43, 16, v4
	s_and_saveexec_b32 s19, vcc_lo
	s_cbranch_execz .LBB96_62
; %bb.61:                               ;   in Loop: Header=BB96_45 Depth=1
	v_cmp_gt_i32_e64 s0, s29, v39
	v_and_b32_e32 v0, 0xffff, v5
	v_and_b32_e32 v5, 0xffff0000, v5
	s_delay_alu instid0(VALU_DEP_3) | instskip(SKIP_1) | instid1(VALU_DEP_1)
	v_cndmask_b32_e64 v2, 0, v2, s0
	v_cmp_gt_i32_e64 s0, s29, v41
	v_cndmask_b32_e64 v3, 0, v3, s0
	v_cmp_gt_i32_e64 s0, s16, v42
	s_delay_alu instid0(VALU_DEP_1) | instskip(SKIP_1) | instid1(VALU_DEP_1)
	v_cndmask_b32_e64 v1, 0, v1, s0
	v_cmp_gt_i32_e64 s0, s29, v40
	v_cndmask_b32_e64 v28, 0, v28, s0
	v_cmp_gt_i32_e64 s0, s29, v38
	s_delay_alu instid0(VALU_DEP_1) | instskip(SKIP_1) | instid1(VALU_DEP_1)
	;; [unrolled: 5-line block ×3, first 2 shown]
	v_dual_cndmask_b32 v4, 0, v4, s0 :: v_dual_bitop2_b32 v5, v0, v5 bitop3:0x54
	v_cmp_gt_i32_e64 s0, s29, v35
	v_cndmask_b32_e64 v43, 0, v43, s0
.LBB96_62:                              ;   in Loop: Header=BB96_45 Depth=1
	s_or_b32 exec_lo, exec_lo, s19
	v_dual_lshlrev_b32 v0, 16, v28 :: v_dual_lshlrev_b32 v1, 16, v1
	s_delay_alu instid0(VALU_DEP_2) | instskip(NEXT) | instid1(VALU_DEP_2)
	v_lshlrev_b32_e32 v28, 16, v43
	v_and_or_b32 v0, 0xffff, v2, v0
	s_delay_alu instid0(VALU_DEP_3) | instskip(NEXT) | instid1(VALU_DEP_3)
	v_and_or_b32 v1, 0xffff, v3, v1
	v_and_or_b32 v2, 0xffff, v4, v28
	;;#ASMSTART
	v_pk_mul_f16 v0, v45, v0;

	;;#ASMEND
	;;#ASMSTART
	v_pk_mul_f16 v1, v44, v1;

	;;#ASMEND
	;;#ASMSTART
	v_pk_mul_f16 v2, v46, v2;

	;;#ASMEND
	;;#ASMSTART
	v_pk_mul_f16 v3, v47, v5;

	;;#ASMEND
	;;#ASMSTART
	v_pk_add_f16 v0, v0, v1;

	;;#ASMEND
	;;#ASMSTART
	v_pk_add_f16 v0, v0, v2;

	;;#ASMEND
	;; [unrolled: 4-line block ×3, first 2 shown]
	v_and_b32_e32 v1, 0xffff, v0
	v_lshrrev_b32_e32 v0, 16, v0
	;;#ASMSTART
	v_cvt_f32_f16 v64, v1;
	;;#ASMEND
	;;#ASMSTART
	v_cvt_f32_f16 v65, v0;
	;;#ASMEND
	global_load_b128 v[2:5], v[26:27], off offset:4096
	s_wait_loadcnt 0x0
	v_dual_lshrrev_b32 v1, 16, v3 :: v_dual_lshrrev_b32 v28, 16, v2
	v_lshrrev_b32_e32 v43, 16, v4
	s_and_saveexec_b32 s19, vcc_lo
	s_cbranch_execz .LBB96_64
; %bb.63:                               ;   in Loop: Header=BB96_45 Depth=1
	v_cmp_gt_i32_e64 s0, s29, v39
	v_and_b32_e32 v0, 0xffff, v5
	v_and_b32_e32 v5, 0xffff0000, v5
	s_delay_alu instid0(VALU_DEP_3) | instskip(SKIP_1) | instid1(VALU_DEP_1)
	v_cndmask_b32_e64 v2, 0, v2, s0
	v_cmp_gt_i32_e64 s0, s29, v41
	v_cndmask_b32_e64 v3, 0, v3, s0
	v_cmp_gt_i32_e64 s0, s16, v42
	s_delay_alu instid0(VALU_DEP_1) | instskip(SKIP_1) | instid1(VALU_DEP_1)
	v_cndmask_b32_e64 v1, 0, v1, s0
	v_cmp_gt_i32_e64 s0, s29, v40
	v_cndmask_b32_e64 v28, 0, v28, s0
	v_cmp_gt_i32_e64 s0, s29, v38
	s_delay_alu instid0(VALU_DEP_1) | instskip(SKIP_1) | instid1(VALU_DEP_1)
	;; [unrolled: 5-line block ×3, first 2 shown]
	v_dual_cndmask_b32 v4, 0, v4, s0 :: v_dual_bitop2_b32 v5, v0, v5 bitop3:0x54
	v_cmp_gt_i32_e64 s0, s29, v35
	v_cndmask_b32_e64 v43, 0, v43, s0
.LBB96_64:                              ;   in Loop: Header=BB96_45 Depth=1
	s_or_b32 exec_lo, exec_lo, s19
	v_dual_lshlrev_b32 v0, 16, v28 :: v_dual_lshlrev_b32 v1, 16, v1
	s_delay_alu instid0(VALU_DEP_2) | instskip(NEXT) | instid1(VALU_DEP_2)
	v_lshlrev_b32_e32 v28, 16, v43
	v_and_or_b32 v0, 0xffff, v2, v0
	s_delay_alu instid0(VALU_DEP_3) | instskip(NEXT) | instid1(VALU_DEP_3)
	v_and_or_b32 v1, 0xffff, v3, v1
	v_and_or_b32 v2, 0xffff, v4, v28
	;;#ASMSTART
	v_pk_mul_f16 v0, v45, v0;

	;;#ASMEND
	;;#ASMSTART
	v_pk_mul_f16 v1, v44, v1;

	;;#ASMEND
	;; [unrolled: 4-line block ×4, first 2 shown]
	;;#ASMSTART
	v_pk_add_f16 v0, v0, v1;

	;;#ASMEND
	;;#ASMSTART
	v_pk_add_f16 v0, v0, v2;

	;;#ASMEND
	;; [unrolled: 4-line block ×3, first 2 shown]
	v_and_b32_e32 v1, 0xffff, v0
	v_lshrrev_b32_e32 v0, 16, v0
	;;#ASMSTART
	v_cvt_f32_f16 v66, v1;
	;;#ASMEND
	;;#ASMSTART
	v_cvt_f32_f16 v67, v0;
	;;#ASMEND
	global_load_b128 v[2:5], v[26:27], off offset:4608
	s_wait_loadcnt 0x0
	v_dual_lshrrev_b32 v1, 16, v3 :: v_dual_lshrrev_b32 v28, 16, v2
	v_lshrrev_b32_e32 v43, 16, v4
	s_and_saveexec_b32 s19, vcc_lo
	s_cbranch_execz .LBB96_66
; %bb.65:                               ;   in Loop: Header=BB96_45 Depth=1
	v_cmp_gt_i32_e64 s0, s29, v39
	v_and_b32_e32 v0, 0xffff, v5
	v_and_b32_e32 v5, 0xffff0000, v5
	s_delay_alu instid0(VALU_DEP_3) | instskip(SKIP_1) | instid1(VALU_DEP_1)
	v_cndmask_b32_e64 v2, 0, v2, s0
	v_cmp_gt_i32_e64 s0, s29, v41
	v_cndmask_b32_e64 v3, 0, v3, s0
	v_cmp_gt_i32_e64 s0, s16, v42
	s_delay_alu instid0(VALU_DEP_1) | instskip(SKIP_1) | instid1(VALU_DEP_1)
	v_cndmask_b32_e64 v1, 0, v1, s0
	v_cmp_gt_i32_e64 s0, s29, v40
	v_cndmask_b32_e64 v28, 0, v28, s0
	v_cmp_gt_i32_e64 s0, s29, v38
	s_delay_alu instid0(VALU_DEP_1) | instskip(SKIP_1) | instid1(VALU_DEP_1)
	;; [unrolled: 5-line block ×3, first 2 shown]
	v_dual_cndmask_b32 v4, 0, v4, s0 :: v_dual_bitop2_b32 v5, v0, v5 bitop3:0x54
	v_cmp_gt_i32_e64 s0, s29, v35
	v_cndmask_b32_e64 v43, 0, v43, s0
.LBB96_66:                              ;   in Loop: Header=BB96_45 Depth=1
	s_or_b32 exec_lo, exec_lo, s19
	v_dual_lshlrev_b32 v0, 16, v28 :: v_dual_lshlrev_b32 v1, 16, v1
	s_delay_alu instid0(VALU_DEP_2) | instskip(NEXT) | instid1(VALU_DEP_2)
	v_lshlrev_b32_e32 v28, 16, v43
	v_and_or_b32 v0, 0xffff, v2, v0
	s_delay_alu instid0(VALU_DEP_3) | instskip(NEXT) | instid1(VALU_DEP_3)
	v_and_or_b32 v1, 0xffff, v3, v1
	v_and_or_b32 v2, 0xffff, v4, v28
	;;#ASMSTART
	v_pk_mul_f16 v0, v45, v0;

	;;#ASMEND
	;;#ASMSTART
	v_pk_mul_f16 v1, v44, v1;

	;;#ASMEND
	;; [unrolled: 4-line block ×4, first 2 shown]
	;;#ASMSTART
	v_pk_add_f16 v0, v0, v1;

	;;#ASMEND
	;;#ASMSTART
	v_pk_add_f16 v0, v0, v2;

	;;#ASMEND
	;; [unrolled: 4-line block ×3, first 2 shown]
	v_and_b32_e32 v1, 0xffff, v0
	v_lshrrev_b32_e32 v0, 16, v0
	;;#ASMSTART
	v_cvt_f32_f16 v68, v1;
	;;#ASMEND
	;;#ASMSTART
	v_cvt_f32_f16 v69, v0;
	;;#ASMEND
	global_load_b128 v[2:5], v[26:27], off offset:5120
	s_wait_loadcnt 0x0
	v_dual_lshrrev_b32 v1, 16, v3 :: v_dual_lshrrev_b32 v28, 16, v2
	v_lshrrev_b32_e32 v43, 16, v4
	s_and_saveexec_b32 s19, vcc_lo
	s_cbranch_execz .LBB96_68
; %bb.67:                               ;   in Loop: Header=BB96_45 Depth=1
	v_cmp_gt_i32_e64 s0, s29, v39
	v_and_b32_e32 v0, 0xffff, v5
	v_and_b32_e32 v5, 0xffff0000, v5
	s_delay_alu instid0(VALU_DEP_3) | instskip(SKIP_1) | instid1(VALU_DEP_1)
	v_cndmask_b32_e64 v2, 0, v2, s0
	v_cmp_gt_i32_e64 s0, s29, v41
	v_cndmask_b32_e64 v3, 0, v3, s0
	v_cmp_gt_i32_e64 s0, s16, v42
	s_delay_alu instid0(VALU_DEP_1) | instskip(SKIP_1) | instid1(VALU_DEP_1)
	v_cndmask_b32_e64 v1, 0, v1, s0
	v_cmp_gt_i32_e64 s0, s29, v40
	v_cndmask_b32_e64 v28, 0, v28, s0
	v_cmp_gt_i32_e64 s0, s29, v38
	s_delay_alu instid0(VALU_DEP_1) | instskip(SKIP_1) | instid1(VALU_DEP_1)
	v_cndmask_b32_e64 v0, 0, v0, s0
	v_cmp_gt_i32_e64 s0, s29, v37
	v_cndmask_b32_e64 v5, 0, v5, s0
	v_cmp_gt_i32_e64 s0, s29, v36
	s_delay_alu instid0(VALU_DEP_1) | instskip(SKIP_1) | instid1(VALU_DEP_1)
	v_dual_cndmask_b32 v4, 0, v4, s0 :: v_dual_bitop2_b32 v5, v0, v5 bitop3:0x54
	v_cmp_gt_i32_e64 s0, s29, v35
	v_cndmask_b32_e64 v43, 0, v43, s0
.LBB96_68:                              ;   in Loop: Header=BB96_45 Depth=1
	s_or_b32 exec_lo, exec_lo, s19
	v_dual_lshlrev_b32 v0, 16, v28 :: v_dual_lshlrev_b32 v1, 16, v1
	s_delay_alu instid0(VALU_DEP_2) | instskip(NEXT) | instid1(VALU_DEP_2)
	v_lshlrev_b32_e32 v28, 16, v43
	v_and_or_b32 v0, 0xffff, v2, v0
	s_delay_alu instid0(VALU_DEP_3) | instskip(NEXT) | instid1(VALU_DEP_3)
	v_and_or_b32 v1, 0xffff, v3, v1
	v_and_or_b32 v2, 0xffff, v4, v28
	;;#ASMSTART
	v_pk_mul_f16 v0, v45, v0;

	;;#ASMEND
	;;#ASMSTART
	v_pk_mul_f16 v1, v44, v1;

	;;#ASMEND
	;; [unrolled: 4-line block ×4, first 2 shown]
	;;#ASMSTART
	v_pk_add_f16 v0, v0, v1;

	;;#ASMEND
	;;#ASMSTART
	v_pk_add_f16 v0, v0, v2;

	;;#ASMEND
	;; [unrolled: 4-line block ×3, first 2 shown]
	v_and_b32_e32 v1, 0xffff, v0
	v_lshrrev_b32_e32 v0, 16, v0
	;;#ASMSTART
	v_cvt_f32_f16 v70, v1;
	;;#ASMEND
	;;#ASMSTART
	v_cvt_f32_f16 v71, v0;
	;;#ASMEND
	global_load_b128 v[2:5], v[26:27], off offset:5632
	s_wait_loadcnt 0x0
	v_dual_lshrrev_b32 v1, 16, v3 :: v_dual_lshrrev_b32 v28, 16, v2
	v_lshrrev_b32_e32 v43, 16, v4
	s_and_saveexec_b32 s19, vcc_lo
	s_cbranch_execz .LBB96_70
; %bb.69:                               ;   in Loop: Header=BB96_45 Depth=1
	v_cmp_gt_i32_e64 s0, s29, v39
	v_and_b32_e32 v0, 0xffff, v5
	v_and_b32_e32 v5, 0xffff0000, v5
	s_delay_alu instid0(VALU_DEP_3) | instskip(SKIP_1) | instid1(VALU_DEP_1)
	v_cndmask_b32_e64 v2, 0, v2, s0
	v_cmp_gt_i32_e64 s0, s29, v41
	v_cndmask_b32_e64 v3, 0, v3, s0
	v_cmp_gt_i32_e64 s0, s16, v42
	s_delay_alu instid0(VALU_DEP_1) | instskip(SKIP_1) | instid1(VALU_DEP_1)
	v_cndmask_b32_e64 v1, 0, v1, s0
	v_cmp_gt_i32_e64 s0, s29, v40
	v_cndmask_b32_e64 v28, 0, v28, s0
	v_cmp_gt_i32_e64 s0, s29, v38
	s_delay_alu instid0(VALU_DEP_1) | instskip(SKIP_1) | instid1(VALU_DEP_1)
	v_cndmask_b32_e64 v0, 0, v0, s0
	v_cmp_gt_i32_e64 s0, s29, v37
	v_cndmask_b32_e64 v5, 0, v5, s0
	v_cmp_gt_i32_e64 s0, s29, v36
	s_delay_alu instid0(VALU_DEP_1) | instskip(SKIP_1) | instid1(VALU_DEP_1)
	v_dual_cndmask_b32 v4, 0, v4, s0 :: v_dual_bitop2_b32 v5, v0, v5 bitop3:0x54
	v_cmp_gt_i32_e64 s0, s29, v35
	v_cndmask_b32_e64 v43, 0, v43, s0
.LBB96_70:                              ;   in Loop: Header=BB96_45 Depth=1
	s_or_b32 exec_lo, exec_lo, s19
	v_dual_lshlrev_b32 v0, 16, v28 :: v_dual_lshlrev_b32 v1, 16, v1
	s_delay_alu instid0(VALU_DEP_2) | instskip(NEXT) | instid1(VALU_DEP_2)
	v_lshlrev_b32_e32 v28, 16, v43
	v_and_or_b32 v0, 0xffff, v2, v0
	s_delay_alu instid0(VALU_DEP_3) | instskip(NEXT) | instid1(VALU_DEP_3)
	v_and_or_b32 v1, 0xffff, v3, v1
	v_and_or_b32 v2, 0xffff, v4, v28
	;;#ASMSTART
	v_pk_mul_f16 v0, v45, v0;

	;;#ASMEND
	;;#ASMSTART
	v_pk_mul_f16 v1, v44, v1;

	;;#ASMEND
	;; [unrolled: 4-line block ×4, first 2 shown]
	;;#ASMSTART
	v_pk_add_f16 v0, v0, v1;

	;;#ASMEND
	;;#ASMSTART
	v_pk_add_f16 v0, v0, v2;

	;;#ASMEND
	;; [unrolled: 4-line block ×3, first 2 shown]
	v_and_b32_e32 v1, 0xffff, v0
	v_lshrrev_b32_e32 v0, 16, v0
	;;#ASMSTART
	v_cvt_f32_f16 v72, v1;
	;;#ASMEND
	;;#ASMSTART
	v_cvt_f32_f16 v73, v0;
	;;#ASMEND
	global_load_b128 v[2:5], v[26:27], off offset:6144
	s_wait_loadcnt 0x0
	v_dual_lshrrev_b32 v1, 16, v3 :: v_dual_lshrrev_b32 v28, 16, v2
	v_lshrrev_b32_e32 v43, 16, v4
	s_and_saveexec_b32 s19, vcc_lo
	s_cbranch_execz .LBB96_72
; %bb.71:                               ;   in Loop: Header=BB96_45 Depth=1
	v_cmp_gt_i32_e64 s0, s29, v39
	v_and_b32_e32 v0, 0xffff, v5
	v_and_b32_e32 v5, 0xffff0000, v5
	s_delay_alu instid0(VALU_DEP_3) | instskip(SKIP_1) | instid1(VALU_DEP_1)
	v_cndmask_b32_e64 v2, 0, v2, s0
	v_cmp_gt_i32_e64 s0, s29, v41
	v_cndmask_b32_e64 v3, 0, v3, s0
	v_cmp_gt_i32_e64 s0, s16, v42
	s_delay_alu instid0(VALU_DEP_1) | instskip(SKIP_1) | instid1(VALU_DEP_1)
	v_cndmask_b32_e64 v1, 0, v1, s0
	v_cmp_gt_i32_e64 s0, s29, v40
	v_cndmask_b32_e64 v28, 0, v28, s0
	v_cmp_gt_i32_e64 s0, s29, v38
	s_delay_alu instid0(VALU_DEP_1) | instskip(SKIP_1) | instid1(VALU_DEP_1)
	;; [unrolled: 5-line block ×3, first 2 shown]
	v_dual_cndmask_b32 v4, 0, v4, s0 :: v_dual_bitop2_b32 v5, v0, v5 bitop3:0x54
	v_cmp_gt_i32_e64 s0, s29, v35
	v_cndmask_b32_e64 v43, 0, v43, s0
.LBB96_72:                              ;   in Loop: Header=BB96_45 Depth=1
	s_or_b32 exec_lo, exec_lo, s19
	v_dual_lshlrev_b32 v0, 16, v28 :: v_dual_lshlrev_b32 v1, 16, v1
	s_delay_alu instid0(VALU_DEP_2) | instskip(NEXT) | instid1(VALU_DEP_2)
	v_lshlrev_b32_e32 v28, 16, v43
	v_and_or_b32 v0, 0xffff, v2, v0
	s_delay_alu instid0(VALU_DEP_3) | instskip(NEXT) | instid1(VALU_DEP_3)
	v_and_or_b32 v1, 0xffff, v3, v1
	v_and_or_b32 v2, 0xffff, v4, v28
	;;#ASMSTART
	v_pk_mul_f16 v0, v45, v0;

	;;#ASMEND
	;;#ASMSTART
	v_pk_mul_f16 v1, v44, v1;

	;;#ASMEND
	;; [unrolled: 4-line block ×4, first 2 shown]
	;;#ASMSTART
	v_pk_add_f16 v0, v0, v1;

	;;#ASMEND
	;;#ASMSTART
	v_pk_add_f16 v0, v0, v2;

	;;#ASMEND
	;; [unrolled: 4-line block ×3, first 2 shown]
	v_lshrrev_b32_e32 v2, 16, v0
	v_and_b32_e32 v1, 0xffff, v0
	;;#ASMSTART
	v_cvt_f32_f16 v0, v1;
	;;#ASMEND
	;;#ASMSTART
	v_cvt_f32_f16 v74, v2;
	;;#ASMEND
	global_load_b128 v[2:5], v[26:27], off offset:6656
	s_wait_loadcnt 0x0
	v_dual_lshrrev_b32 v1, 16, v3 :: v_dual_lshrrev_b32 v28, 16, v2
	v_lshrrev_b32_e32 v43, 16, v4
	s_and_saveexec_b32 s19, vcc_lo
	s_cbranch_execz .LBB96_74
; %bb.73:                               ;   in Loop: Header=BB96_45 Depth=1
	v_cmp_gt_i32_e64 s0, s29, v39
	v_and_b32_e32 v75, 0xffff, v5
	v_and_b32_e32 v5, 0xffff0000, v5
	s_delay_alu instid0(VALU_DEP_3) | instskip(SKIP_1) | instid1(VALU_DEP_1)
	v_cndmask_b32_e64 v2, 0, v2, s0
	v_cmp_gt_i32_e64 s0, s29, v41
	v_cndmask_b32_e64 v3, 0, v3, s0
	v_cmp_gt_i32_e64 s0, s16, v42
	s_delay_alu instid0(VALU_DEP_1) | instskip(SKIP_1) | instid1(VALU_DEP_1)
	v_cndmask_b32_e64 v1, 0, v1, s0
	v_cmp_gt_i32_e64 s0, s29, v40
	v_cndmask_b32_e64 v28, 0, v28, s0
	v_cmp_gt_i32_e64 s0, s29, v38
	s_delay_alu instid0(VALU_DEP_1) | instskip(SKIP_1) | instid1(VALU_DEP_1)
	;; [unrolled: 5-line block ×3, first 2 shown]
	v_dual_cndmask_b32 v4, 0, v4, s0 :: v_dual_bitop2_b32 v5, v75, v5 bitop3:0x54
	v_cmp_gt_i32_e64 s0, s29, v35
	v_cndmask_b32_e64 v43, 0, v43, s0
.LBB96_74:                              ;   in Loop: Header=BB96_45 Depth=1
	s_or_b32 exec_lo, exec_lo, s19
	v_dual_lshlrev_b32 v28, 16, v28 :: v_dual_lshlrev_b32 v1, 16, v1
	s_delay_alu instid0(VALU_DEP_2) | instskip(NEXT) | instid1(VALU_DEP_2)
	v_lshlrev_b32_e32 v43, 16, v43
	v_and_or_b32 v2, 0xffff, v2, v28
	s_delay_alu instid0(VALU_DEP_3) | instskip(NEXT) | instid1(VALU_DEP_3)
	v_and_or_b32 v1, 0xffff, v3, v1
	v_and_or_b32 v3, 0xffff, v4, v43
	;;#ASMSTART
	v_pk_mul_f16 v2, v45, v2;

	;;#ASMEND
	;;#ASMSTART
	v_pk_mul_f16 v1, v44, v1;

	;;#ASMEND
	;; [unrolled: 4-line block ×4, first 2 shown]
	;;#ASMSTART
	v_pk_add_f16 v1, v2, v1;

	;;#ASMEND
	;;#ASMSTART
	v_pk_add_f16 v1, v1, v3;

	;;#ASMEND
	;; [unrolled: 4-line block ×3, first 2 shown]
	v_and_b32_e32 v2, 0xffff, v1
	v_lshrrev_b32_e32 v1, 16, v1
	;;#ASMSTART
	v_cvt_f32_f16 v75, v2;
	;;#ASMEND
	;;#ASMSTART
	v_cvt_f32_f16 v76, v1;
	;;#ASMEND
	global_load_b128 v[2:5], v[26:27], off offset:7168
	s_wait_loadcnt 0x0
	v_dual_lshrrev_b32 v1, 16, v3 :: v_dual_lshrrev_b32 v28, 16, v2
	v_lshrrev_b32_e32 v43, 16, v4
	s_and_saveexec_b32 s19, vcc_lo
	s_cbranch_execz .LBB96_76
; %bb.75:                               ;   in Loop: Header=BB96_45 Depth=1
	v_cmp_gt_i32_e64 s0, s29, v39
	v_and_b32_e32 v77, 0xffff, v5
	v_and_b32_e32 v5, 0xffff0000, v5
	s_delay_alu instid0(VALU_DEP_3) | instskip(SKIP_1) | instid1(VALU_DEP_1)
	v_cndmask_b32_e64 v2, 0, v2, s0
	v_cmp_gt_i32_e64 s0, s29, v41
	v_cndmask_b32_e64 v3, 0, v3, s0
	v_cmp_gt_i32_e64 s0, s16, v42
	s_delay_alu instid0(VALU_DEP_1) | instskip(SKIP_1) | instid1(VALU_DEP_1)
	v_cndmask_b32_e64 v1, 0, v1, s0
	v_cmp_gt_i32_e64 s0, s29, v40
	v_cndmask_b32_e64 v28, 0, v28, s0
	v_cmp_gt_i32_e64 s0, s29, v38
	s_delay_alu instid0(VALU_DEP_1) | instskip(SKIP_1) | instid1(VALU_DEP_1)
	;; [unrolled: 5-line block ×3, first 2 shown]
	v_cndmask_b32_e64 v4, 0, v4, s0
	v_cmp_gt_i32_e64 s0, s29, v35
	v_dual_cndmask_b32 v43, 0, v43, s0 :: v_dual_bitop2_b32 v5, v77, v5 bitop3:0x54
.LBB96_76:                              ;   in Loop: Header=BB96_45 Depth=1
	s_or_b32 exec_lo, exec_lo, s19
	v_dual_lshlrev_b32 v28, 16, v28 :: v_dual_lshlrev_b32 v1, 16, v1
	s_delay_alu instid0(VALU_DEP_2) | instskip(NEXT) | instid1(VALU_DEP_2)
	v_lshlrev_b32_e32 v43, 16, v43
	v_and_or_b32 v2, 0xffff, v2, v28
	s_delay_alu instid0(VALU_DEP_3) | instskip(NEXT) | instid1(VALU_DEP_3)
	v_and_or_b32 v1, 0xffff, v3, v1
	v_and_or_b32 v3, 0xffff, v4, v43
	;;#ASMSTART
	v_pk_mul_f16 v2, v45, v2;

	;;#ASMEND
	;;#ASMSTART
	v_pk_mul_f16 v1, v44, v1;

	;;#ASMEND
	;; [unrolled: 4-line block ×4, first 2 shown]
	;;#ASMSTART
	v_pk_add_f16 v1, v2, v1;

	;;#ASMEND
	;;#ASMSTART
	v_pk_add_f16 v1, v1, v3;

	;;#ASMEND
	;; [unrolled: 4-line block ×3, first 2 shown]
	v_and_b32_e32 v2, 0xffff, v1
	v_lshrrev_b32_e32 v1, 16, v1
	;;#ASMSTART
	v_cvt_f32_f16 v28, v2;
	;;#ASMEND
	;;#ASMSTART
	v_cvt_f32_f16 v43, v1;
	;;#ASMEND
	global_load_b128 v[2:5], v[26:27], off offset:7680
	s_wait_loadcnt 0x0
	v_dual_lshrrev_b32 v1, 16, v3 :: v_dual_lshrrev_b32 v26, 16, v2
	v_lshrrev_b32_e32 v27, 16, v4
	s_and_saveexec_b32 s0, vcc_lo
	s_cbranch_execz .LBB96_43
; %bb.77:                               ;   in Loop: Header=BB96_45 Depth=1
	v_cmp_gt_i32_e32 vcc_lo, s29, v39
	v_and_b32_e32 v39, 0xffff, v5
	v_and_b32_e32 v5, 0xffff0000, v5
	v_cndmask_b32_e32 v2, 0, v2, vcc_lo
	v_cmp_gt_i32_e32 vcc_lo, s29, v41
	v_cndmask_b32_e32 v3, 0, v3, vcc_lo
	v_cmp_gt_i32_e32 vcc_lo, s16, v42
	;; [unrolled: 2-line block ×6, first 2 shown]
	s_delay_alu instid0(VALU_DEP_2)
	v_dual_cndmask_b32 v4, 0, v4, vcc_lo :: v_dual_bitop2_b32 v5, v38, v5 bitop3:0x54
	v_cmp_gt_i32_e32 vcc_lo, s29, v35
	v_cndmask_b32_e32 v27, 0, v27, vcc_lo
	s_branch .LBB96_43
.LBB96_78:
	s_or_b32 exec_lo, exec_lo, s17
.LBB96_79:
	s_delay_alu instid0(SALU_CYCLE_1)
	s_or_b32 exec_lo, exec_lo, s1
	ds_bpermute_b32 v0, v30, v20
	ds_bpermute_b32 v1, v30, v21
	;; [unrolled: 1-line block ×16, first 2 shown]
	v_and_b32_e32 v28, 0x3c3, v78
	s_mov_b32 s0, exec_lo
	s_wait_dscnt 0xe
	v_pk_add_f32 v[0:1], v[20:21], v[0:1]
	s_wait_dscnt 0xc
	v_pk_add_f32 v[20:21], v[14:15], v[22:23]
	;; [unrolled: 2-line block ×3, first 2 shown]
	ds_bpermute_b32 v14, v29, v0
	ds_bpermute_b32 v15, v29, v1
	s_wait_dscnt 0xa
	v_pk_add_f32 v[4:5], v[16:17], v[4:5]
	s_wait_dscnt 0x8
	v_pk_add_f32 v[24:25], v[12:13], v[24:25]
	ds_bpermute_b32 v22, v29, v2
	s_wait_dscnt 0x7
	v_pk_add_f32 v[26:27], v[10:11], v[26:27]
	ds_bpermute_b32 v23, v29, v3
	;; [unrolled: 3-line block ×3, first 2 shown]
	ds_bpermute_b32 v37, v29, v5
	ds_bpermute_b32 v38, v29, v20
	ds_bpermute_b32 v39, v29, v21
	ds_bpermute_b32 v40, v29, v24
	ds_bpermute_b32 v41, v29, v25
	ds_bpermute_b32 v42, v29, v26
	ds_bpermute_b32 v43, v29, v27
	ds_bpermute_b32 v44, v29, v32
	ds_bpermute_b32 v45, v29, v33
	s_wait_dscnt 0xe
	v_pk_add_f32 v[16:17], v[6:7], v[34:35]
	s_wait_dscnt 0xc
	v_pk_add_f32 v[14:15], v[0:1], v[14:15]
	scratch_load_b32 v0, off, off           ; 4-byte Folded Reload
	ds_bpermute_b32 v18, v29, v16
	ds_bpermute_b32 v19, v29, v17
	s_wait_loadcnt_dscnt 0x0
	v_pk_add_f32 v[12:13], v[2:3], v[22:23]
	s_barrier_signal -1
	s_barrier_wait -1
	v_pk_add_f32 v[10:11], v[4:5], v[36:37]
	v_pk_add_f32 v[8:9], v[20:21], v[38:39]
	;; [unrolled: 1-line block ×5, first 2 shown]
	v_and_b32_e32 v1, 28, v0
	v_cmpx_ne_u32_e32 64, v28
	s_xor_b32 s0, exec_lo, s0
	s_delay_alu instid0(SALU_CYCLE_1)
	s_or_saveexec_b32 s0, s0
	scratch_load_b32 v0, off, off th:TH_LOAD_LU ; 4-byte Folded Reload
	v_pk_add_f32 v[16:17], v[16:17], v[18:19]
	v_add_nc_u32_e32 v18, 0x120, v1
	s_wait_loadcnt 0x0
	v_dual_lshlrev_b32 v1, 9, v79 :: v_dual_lshrrev_b32 v19, 2, v0
	s_xor_b32 exec_lo, exec_lo, s0
	s_cbranch_execz .LBB96_81
; %bb.80:
	s_delay_alu instid0(VALU_DEP_1) | instskip(NEXT) | instid1(VALU_DEP_1)
	v_add_nc_u32_e32 v0, v18, v1
	v_add_nc_u32_e32 v20, 0xfffffc00, v0
	;; [unrolled: 1-line block ×9, first 2 shown]
	ds_store_b32 v20, v14
	ds_store_b32 v21, v15
	;; [unrolled: 1-line block ×8, first 2 shown]
	v_add_nc_u32_e32 v20, 0xfffffd00, v0
	v_add_nc_u32_e32 v21, 0xfffffd20, v0
	;; [unrolled: 1-line block ×8, first 2 shown]
	ds_store_b32 v20, v6
	ds_store_b32 v21, v7
	;; [unrolled: 1-line block ×8, first 2 shown]
.LBB96_81:
	s_or_b32 exec_lo, exec_lo, s0
	s_delay_alu instid0(VALU_DEP_1)
	v_lshlrev_b32_e32 v0, 2, v19
	s_mov_b32 s1, exec_lo
	v_cmp_eq_u32_e32 vcc_lo, 0, v31
	s_wait_dscnt 0x0
	s_barrier_signal -1
	v_add3_u32 v1, 0x120, v1, v0
	s_barrier_wait -1
	v_cmpx_gt_u32_e32 64, v78
	s_cbranch_execz .LBB96_100
; %bb.82:
	s_and_saveexec_b32 s0, vcc_lo
	s_cbranch_execnz .LBB96_124
; %bb.83:
	s_or_b32 exec_lo, exec_lo, s0
	s_and_saveexec_b32 s0, vcc_lo
	s_cbranch_execnz .LBB96_125
.LBB96_84:
	s_or_b32 exec_lo, exec_lo, s0
	s_and_saveexec_b32 s0, vcc_lo
	s_cbranch_execnz .LBB96_126
.LBB96_85:
	s_or_b32 exec_lo, exec_lo, s0
	s_and_saveexec_b32 s0, vcc_lo
	s_cbranch_execnz .LBB96_127
.LBB96_86:
	s_or_b32 exec_lo, exec_lo, s0
	s_and_saveexec_b32 s0, vcc_lo
	s_cbranch_execnz .LBB96_128
.LBB96_87:
	s_or_b32 exec_lo, exec_lo, s0
	s_and_saveexec_b32 s0, vcc_lo
	s_cbranch_execnz .LBB96_129
.LBB96_88:
	s_or_b32 exec_lo, exec_lo, s0
	s_and_saveexec_b32 s0, vcc_lo
	s_cbranch_execnz .LBB96_130
.LBB96_89:
	s_or_b32 exec_lo, exec_lo, s0
	s_and_saveexec_b32 s0, vcc_lo
	s_cbranch_execnz .LBB96_131
.LBB96_90:
	s_or_b32 exec_lo, exec_lo, s0
	s_and_saveexec_b32 s0, vcc_lo
	s_cbranch_execnz .LBB96_132
.LBB96_91:
	s_or_b32 exec_lo, exec_lo, s0
	s_and_saveexec_b32 s0, vcc_lo
	s_cbranch_execnz .LBB96_133
.LBB96_92:
	s_or_b32 exec_lo, exec_lo, s0
	s_and_saveexec_b32 s0, vcc_lo
	s_cbranch_execnz .LBB96_134
.LBB96_93:
	s_or_b32 exec_lo, exec_lo, s0
	s_and_saveexec_b32 s0, vcc_lo
	s_cbranch_execnz .LBB96_135
.LBB96_94:
	s_or_b32 exec_lo, exec_lo, s0
	s_and_saveexec_b32 s0, vcc_lo
	s_cbranch_execnz .LBB96_136
.LBB96_95:
	s_or_b32 exec_lo, exec_lo, s0
	s_and_saveexec_b32 s0, vcc_lo
	s_cbranch_execnz .LBB96_137
.LBB96_96:
	s_or_b32 exec_lo, exec_lo, s0
	s_and_saveexec_b32 s0, vcc_lo
	s_cbranch_execnz .LBB96_138
.LBB96_97:
	s_or_b32 exec_lo, exec_lo, s0
	s_and_saveexec_b32 s0, vcc_lo
	s_cbranch_execz .LBB96_99
.LBB96_98:
	ds_load_b32 v0, v1 offset:480
	s_wait_dscnt 0x0
	v_add_f32_e32 v17, v17, v0
.LBB96_99:
	s_or_b32 exec_lo, exec_lo, s0
.LBB96_100:
	s_delay_alu instid0(SALU_CYCLE_1) | instskip(SKIP_4) | instid1(VALU_DEP_1)
	s_or_b32 exec_lo, exec_lo, s1
	v_and_b32_e32 v19, 0x3e3, v78
	s_mov_b32 s1, exec_lo
	s_barrier_signal -1
	s_barrier_wait -1
	v_cmpx_eq_u32_e32 32, v19
	s_cbranch_execz .LBB96_102
; %bb.101:
	ds_store_2addr_b32 v18, v14, v15 offset1:8
	ds_store_2addr_b32 v18, v12, v13 offset0:16 offset1:24
	ds_store_2addr_b32 v18, v10, v11 offset0:32 offset1:40
	;; [unrolled: 1-line block ×7, first 2 shown]
.LBB96_102:
	s_or_b32 exec_lo, exec_lo, s1
	s_delay_alu instid0(SALU_CYCLE_1)
	s_mov_b32 s1, exec_lo
	s_wait_dscnt 0x0
	s_barrier_signal -1
	s_barrier_wait -1
	v_cmpx_gt_u32_e32 32, v78
	s_cbranch_execz .LBB96_121
; %bb.103:
	s_and_saveexec_b32 s0, vcc_lo
	s_cbranch_execnz .LBB96_139
; %bb.104:
	s_or_b32 exec_lo, exec_lo, s0
	s_and_saveexec_b32 s0, vcc_lo
	s_cbranch_execnz .LBB96_140
.LBB96_105:
	s_or_b32 exec_lo, exec_lo, s0
	s_and_saveexec_b32 s0, vcc_lo
	s_cbranch_execnz .LBB96_141
.LBB96_106:
	s_or_b32 exec_lo, exec_lo, s0
	s_and_saveexec_b32 s0, vcc_lo
	s_cbranch_execnz .LBB96_142
.LBB96_107:
	s_or_b32 exec_lo, exec_lo, s0
	s_and_saveexec_b32 s0, vcc_lo
	s_cbranch_execnz .LBB96_143
.LBB96_108:
	s_or_b32 exec_lo, exec_lo, s0
	s_and_saveexec_b32 s0, vcc_lo
	s_cbranch_execnz .LBB96_144
.LBB96_109:
	s_or_b32 exec_lo, exec_lo, s0
	s_and_saveexec_b32 s0, vcc_lo
	s_cbranch_execnz .LBB96_145
.LBB96_110:
	s_or_b32 exec_lo, exec_lo, s0
	s_and_saveexec_b32 s0, vcc_lo
	s_cbranch_execnz .LBB96_146
.LBB96_111:
	s_or_b32 exec_lo, exec_lo, s0
	s_and_saveexec_b32 s0, vcc_lo
	s_cbranch_execnz .LBB96_147
.LBB96_112:
	s_or_b32 exec_lo, exec_lo, s0
	s_and_saveexec_b32 s0, vcc_lo
	s_cbranch_execnz .LBB96_148
.LBB96_113:
	s_or_b32 exec_lo, exec_lo, s0
	s_and_saveexec_b32 s0, vcc_lo
	s_cbranch_execnz .LBB96_149
.LBB96_114:
	s_or_b32 exec_lo, exec_lo, s0
	s_and_saveexec_b32 s0, vcc_lo
	s_cbranch_execnz .LBB96_150
.LBB96_115:
	s_or_b32 exec_lo, exec_lo, s0
	s_and_saveexec_b32 s0, vcc_lo
	s_cbranch_execnz .LBB96_151
.LBB96_116:
	s_or_b32 exec_lo, exec_lo, s0
	s_and_saveexec_b32 s0, vcc_lo
	s_cbranch_execnz .LBB96_152
.LBB96_117:
	s_or_b32 exec_lo, exec_lo, s0
	s_and_saveexec_b32 s0, vcc_lo
	s_cbranch_execnz .LBB96_153
.LBB96_118:
	s_or_b32 exec_lo, exec_lo, s0
	s_and_saveexec_b32 s0, vcc_lo
	s_cbranch_execz .LBB96_120
.LBB96_119:
	ds_load_b32 v0, v1 offset:480
	s_wait_dscnt 0x0
	v_add_f32_e32 v17, v17, v0
.LBB96_120:
	s_or_b32 exec_lo, exec_lo, s0
.LBB96_121:
	s_delay_alu instid0(SALU_CYCLE_1)
	s_or_b32 exec_lo, exec_lo, s1
	s_mov_b32 s1, 0
	s_barrier_signal -1
	s_barrier_wait -1
	s_mov_b32 s0, exec_lo
	v_cmpx_eq_u32_e32 0, v19
	s_cbranch_execz .LBB96_123
; %bb.122:
	s_mul_i32 s0, s28, s7
	s_mul_i32 s2, s7, s12
	;; [unrolled: 1-line block ×3, first 2 shown]
	s_lshr_b32 s6, ttmp7, 16
	s_lshl_b32 s4, s0, 7
	s_bfe_u32 s0, ttmp6, 0x40014
	s_ashr_i32 s5, s4, 31
	s_add_co_i32 s0, s0, 1
	s_ashr_i32 s3, s2, 31
	s_mul_i32 s0, s6, s0
	s_bfe_u32 s7, ttmp6, 0x40008
	s_lshl_b64 s[4:5], s[4:5], 1
	s_lshl_b64 s[2:3], s[2:3], 1
	s_add_co_i32 s7, s7, s0
	s_cmp_eq_u32 s26, 0
	s_wait_kmcnt 0x0
	s_add_nc_u64 s[4:5], s[10:11], s[4:5]
	s_cselect_b32 s0, s6, s7
	v_lshrrev_b32_e32 v0, 1, v78
	s_add_nc_u64 s[2:3], s[4:5], s[2:3]
	s_lshl_b32 s0, s0, 8
	;;#ASMSTART
	v_cvt_f16_f32 v1, v14;

	;;#ASMEND
	s_add_nc_u64 s[0:1], s[2:3], s[0:1]
	global_store_b16 v0, v1, s[0:1]
	s_wait_xcnt 0x0
	;;#ASMSTART
	v_cvt_f16_f32 v1, v15;

	;;#ASMEND
	global_store_b16 v0, v1, s[0:1] offset:16
	s_wait_xcnt 0x0
	;;#ASMSTART
	v_cvt_f16_f32 v1, v12;

	;;#ASMEND
	global_store_b16 v0, v1, s[0:1] offset:32
	;; [unrolled: 6-line block ×15, first 2 shown]
.LBB96_123:
	s_sendmsg sendmsg(MSG_DEALLOC_VGPRS)
	s_endpgm
.LBB96_124:
	ds_load_b32 v0, v1
	s_wait_dscnt 0x0
	v_add_f32_e32 v14, v14, v0
	s_or_b32 exec_lo, exec_lo, s0
	s_and_saveexec_b32 s0, vcc_lo
	s_cbranch_execz .LBB96_84
.LBB96_125:
	ds_load_b32 v0, v1 offset:32
	s_wait_dscnt 0x0
	v_add_f32_e32 v15, v15, v0
	s_or_b32 exec_lo, exec_lo, s0
	s_and_saveexec_b32 s0, vcc_lo
	s_cbranch_execz .LBB96_85
.LBB96_126:
	ds_load_b32 v0, v1 offset:64
	s_wait_dscnt 0x0
	v_add_f32_e32 v12, v12, v0
	s_or_b32 exec_lo, exec_lo, s0
	s_and_saveexec_b32 s0, vcc_lo
	s_cbranch_execz .LBB96_86
.LBB96_127:
	ds_load_b32 v0, v1 offset:96
	s_wait_dscnt 0x0
	v_add_f32_e32 v13, v13, v0
	s_or_b32 exec_lo, exec_lo, s0
	s_and_saveexec_b32 s0, vcc_lo
	s_cbranch_execz .LBB96_87
.LBB96_128:
	ds_load_b32 v0, v1 offset:128
	s_wait_dscnt 0x0
	v_add_f32_e32 v10, v10, v0
	s_or_b32 exec_lo, exec_lo, s0
	s_and_saveexec_b32 s0, vcc_lo
	s_cbranch_execz .LBB96_88
.LBB96_129:
	ds_load_b32 v0, v1 offset:160
	s_wait_dscnt 0x0
	v_add_f32_e32 v11, v11, v0
	s_or_b32 exec_lo, exec_lo, s0
	s_and_saveexec_b32 s0, vcc_lo
	s_cbranch_execz .LBB96_89
.LBB96_130:
	ds_load_b32 v0, v1 offset:192
	s_wait_dscnt 0x0
	v_add_f32_e32 v8, v8, v0
	s_or_b32 exec_lo, exec_lo, s0
	s_and_saveexec_b32 s0, vcc_lo
	s_cbranch_execz .LBB96_90
.LBB96_131:
	ds_load_b32 v0, v1 offset:224
	s_wait_dscnt 0x0
	v_add_f32_e32 v9, v9, v0
	s_or_b32 exec_lo, exec_lo, s0
	s_and_saveexec_b32 s0, vcc_lo
	s_cbranch_execz .LBB96_91
.LBB96_132:
	ds_load_b32 v0, v1 offset:256
	s_wait_dscnt 0x0
	v_add_f32_e32 v6, v6, v0
	s_or_b32 exec_lo, exec_lo, s0
	s_and_saveexec_b32 s0, vcc_lo
	s_cbranch_execz .LBB96_92
.LBB96_133:
	ds_load_b32 v0, v1 offset:288
	s_wait_dscnt 0x0
	v_add_f32_e32 v7, v7, v0
	s_or_b32 exec_lo, exec_lo, s0
	s_and_saveexec_b32 s0, vcc_lo
	s_cbranch_execz .LBB96_93
.LBB96_134:
	ds_load_b32 v0, v1 offset:320
	s_wait_dscnt 0x0
	v_add_f32_e32 v4, v4, v0
	s_or_b32 exec_lo, exec_lo, s0
	s_and_saveexec_b32 s0, vcc_lo
	s_cbranch_execz .LBB96_94
.LBB96_135:
	ds_load_b32 v0, v1 offset:352
	s_wait_dscnt 0x0
	v_add_f32_e32 v5, v5, v0
	s_or_b32 exec_lo, exec_lo, s0
	s_and_saveexec_b32 s0, vcc_lo
	s_cbranch_execz .LBB96_95
.LBB96_136:
	ds_load_b32 v0, v1 offset:384
	s_wait_dscnt 0x0
	v_add_f32_e32 v2, v2, v0
	s_or_b32 exec_lo, exec_lo, s0
	s_and_saveexec_b32 s0, vcc_lo
	s_cbranch_execz .LBB96_96
.LBB96_137:
	ds_load_b32 v0, v1 offset:416
	s_wait_dscnt 0x0
	v_add_f32_e32 v3, v3, v0
	s_or_b32 exec_lo, exec_lo, s0
	s_and_saveexec_b32 s0, vcc_lo
	s_cbranch_execz .LBB96_97
.LBB96_138:
	ds_load_b32 v0, v1 offset:448
	s_wait_dscnt 0x0
	v_add_f32_e32 v16, v16, v0
	s_or_b32 exec_lo, exec_lo, s0
	s_and_saveexec_b32 s0, vcc_lo
	s_cbranch_execnz .LBB96_98
	s_branch .LBB96_99
.LBB96_139:
	ds_load_b32 v0, v1
	s_wait_dscnt 0x0
	v_add_f32_e32 v14, v14, v0
	s_or_b32 exec_lo, exec_lo, s0
	s_and_saveexec_b32 s0, vcc_lo
	s_cbranch_execz .LBB96_105
.LBB96_140:
	ds_load_b32 v0, v1 offset:32
	s_wait_dscnt 0x0
	v_add_f32_e32 v15, v15, v0
	s_or_b32 exec_lo, exec_lo, s0
	s_and_saveexec_b32 s0, vcc_lo
	s_cbranch_execz .LBB96_106
.LBB96_141:
	ds_load_b32 v0, v1 offset:64
	s_wait_dscnt 0x0
	v_add_f32_e32 v12, v12, v0
	s_or_b32 exec_lo, exec_lo, s0
	s_and_saveexec_b32 s0, vcc_lo
	s_cbranch_execz .LBB96_107
.LBB96_142:
	ds_load_b32 v0, v1 offset:96
	s_wait_dscnt 0x0
	v_add_f32_e32 v13, v13, v0
	s_or_b32 exec_lo, exec_lo, s0
	s_and_saveexec_b32 s0, vcc_lo
	s_cbranch_execz .LBB96_108
.LBB96_143:
	ds_load_b32 v0, v1 offset:128
	s_wait_dscnt 0x0
	v_add_f32_e32 v10, v10, v0
	s_or_b32 exec_lo, exec_lo, s0
	s_and_saveexec_b32 s0, vcc_lo
	s_cbranch_execz .LBB96_109
.LBB96_144:
	ds_load_b32 v0, v1 offset:160
	s_wait_dscnt 0x0
	v_add_f32_e32 v11, v11, v0
	s_or_b32 exec_lo, exec_lo, s0
	s_and_saveexec_b32 s0, vcc_lo
	s_cbranch_execz .LBB96_110
.LBB96_145:
	ds_load_b32 v0, v1 offset:192
	s_wait_dscnt 0x0
	v_add_f32_e32 v8, v8, v0
	s_or_b32 exec_lo, exec_lo, s0
	s_and_saveexec_b32 s0, vcc_lo
	s_cbranch_execz .LBB96_111
.LBB96_146:
	ds_load_b32 v0, v1 offset:224
	s_wait_dscnt 0x0
	v_add_f32_e32 v9, v9, v0
	s_or_b32 exec_lo, exec_lo, s0
	s_and_saveexec_b32 s0, vcc_lo
	s_cbranch_execz .LBB96_112
.LBB96_147:
	ds_load_b32 v0, v1 offset:256
	s_wait_dscnt 0x0
	v_add_f32_e32 v6, v6, v0
	s_or_b32 exec_lo, exec_lo, s0
	s_and_saveexec_b32 s0, vcc_lo
	s_cbranch_execz .LBB96_113
.LBB96_148:
	ds_load_b32 v0, v1 offset:288
	s_wait_dscnt 0x0
	v_add_f32_e32 v7, v7, v0
	s_or_b32 exec_lo, exec_lo, s0
	s_and_saveexec_b32 s0, vcc_lo
	s_cbranch_execz .LBB96_114
.LBB96_149:
	ds_load_b32 v0, v1 offset:320
	s_wait_dscnt 0x0
	v_add_f32_e32 v4, v4, v0
	s_or_b32 exec_lo, exec_lo, s0
	s_and_saveexec_b32 s0, vcc_lo
	s_cbranch_execz .LBB96_115
.LBB96_150:
	ds_load_b32 v0, v1 offset:352
	s_wait_dscnt 0x0
	v_add_f32_e32 v5, v5, v0
	s_or_b32 exec_lo, exec_lo, s0
	s_and_saveexec_b32 s0, vcc_lo
	s_cbranch_execz .LBB96_116
.LBB96_151:
	ds_load_b32 v0, v1 offset:384
	s_wait_dscnt 0x0
	v_add_f32_e32 v2, v2, v0
	s_or_b32 exec_lo, exec_lo, s0
	s_and_saveexec_b32 s0, vcc_lo
	s_cbranch_execz .LBB96_117
.LBB96_152:
	ds_load_b32 v0, v1 offset:416
	s_wait_dscnt 0x0
	v_add_f32_e32 v3, v3, v0
	s_or_b32 exec_lo, exec_lo, s0
	s_and_saveexec_b32 s0, vcc_lo
	s_cbranch_execz .LBB96_118
.LBB96_153:
	ds_load_b32 v0, v1 offset:448
	s_wait_dscnt 0x0
	v_add_f32_e32 v16, v16, v0
	s_or_b32 exec_lo, exec_lo, s0
	s_and_saveexec_b32 s0, vcc_lo
	s_cbranch_execnz .LBB96_119
	s_branch .LBB96_120
	.section	.rodata,"a",@progbits
	.p2align	6, 0x0
	.amdhsa_kernel _ZN4vllm25paged_attention_v1_kernelIttLi128ELi32ELi128ELNS_18Fp8KVCacheDataTypeE0ELb1EEEvPT_PKS2_PKT0_S8_ifPKiSA_iPKfiiiSC_SC_iiiii
		.amdhsa_group_segment_fixed_size 288
		.amdhsa_private_segment_fixed_size 32
		.amdhsa_kernarg_size 384
		.amdhsa_user_sgpr_count 2
		.amdhsa_user_sgpr_dispatch_ptr 0
		.amdhsa_user_sgpr_queue_ptr 0
		.amdhsa_user_sgpr_kernarg_segment_ptr 1
		.amdhsa_user_sgpr_dispatch_id 0
		.amdhsa_user_sgpr_kernarg_preload_length 0
		.amdhsa_user_sgpr_kernarg_preload_offset 0
		.amdhsa_user_sgpr_private_segment_size 0
		.amdhsa_wavefront_size32 1
		.amdhsa_uses_dynamic_stack 0
		.amdhsa_enable_private_segment 1
		.amdhsa_system_sgpr_workgroup_id_x 1
		.amdhsa_system_sgpr_workgroup_id_y 1
		.amdhsa_system_sgpr_workgroup_id_z 1
		.amdhsa_system_sgpr_workgroup_info 0
		.amdhsa_system_vgpr_workitem_id 0
		.amdhsa_next_free_vgpr 128
		.amdhsa_next_free_sgpr 38
		.amdhsa_named_barrier_count 0
		.amdhsa_reserve_vcc 1
		.amdhsa_float_round_mode_32 0
		.amdhsa_float_round_mode_16_64 0
		.amdhsa_float_denorm_mode_32 3
		.amdhsa_float_denorm_mode_16_64 3
		.amdhsa_fp16_overflow 0
		.amdhsa_memory_ordered 1
		.amdhsa_forward_progress 1
		.amdhsa_inst_pref_size 109
		.amdhsa_round_robin_scheduling 0
		.amdhsa_exception_fp_ieee_invalid_op 0
		.amdhsa_exception_fp_denorm_src 0
		.amdhsa_exception_fp_ieee_div_zero 0
		.amdhsa_exception_fp_ieee_overflow 0
		.amdhsa_exception_fp_ieee_underflow 0
		.amdhsa_exception_fp_ieee_inexact 0
		.amdhsa_exception_int_div_zero 0
	.end_amdhsa_kernel
	.section	.text._ZN4vllm25paged_attention_v1_kernelIttLi128ELi32ELi128ELNS_18Fp8KVCacheDataTypeE0ELb1EEEvPT_PKS2_PKT0_S8_ifPKiSA_iPKfiiiSC_SC_iiiii,"axG",@progbits,_ZN4vllm25paged_attention_v1_kernelIttLi128ELi32ELi128ELNS_18Fp8KVCacheDataTypeE0ELb1EEEvPT_PKS2_PKT0_S8_ifPKiSA_iPKfiiiSC_SC_iiiii,comdat
.Lfunc_end96:
	.size	_ZN4vllm25paged_attention_v1_kernelIttLi128ELi32ELi128ELNS_18Fp8KVCacheDataTypeE0ELb1EEEvPT_PKS2_PKT0_S8_ifPKiSA_iPKfiiiSC_SC_iiiii, .Lfunc_end96-_ZN4vllm25paged_attention_v1_kernelIttLi128ELi32ELi128ELNS_18Fp8KVCacheDataTypeE0ELb1EEEvPT_PKS2_PKT0_S8_ifPKiSA_iPKfiiiSC_SC_iiiii
                                        ; -- End function
	.set _ZN4vllm25paged_attention_v1_kernelIttLi128ELi32ELi128ELNS_18Fp8KVCacheDataTypeE0ELb1EEEvPT_PKS2_PKT0_S8_ifPKiSA_iPKfiiiSC_SC_iiiii.num_vgpr, 128
	.set _ZN4vllm25paged_attention_v1_kernelIttLi128ELi32ELi128ELNS_18Fp8KVCacheDataTypeE0ELb1EEEvPT_PKS2_PKT0_S8_ifPKiSA_iPKfiiiSC_SC_iiiii.num_agpr, 0
	.set _ZN4vllm25paged_attention_v1_kernelIttLi128ELi32ELi128ELNS_18Fp8KVCacheDataTypeE0ELb1EEEvPT_PKS2_PKT0_S8_ifPKiSA_iPKfiiiSC_SC_iiiii.numbered_sgpr, 38
	.set _ZN4vllm25paged_attention_v1_kernelIttLi128ELi32ELi128ELNS_18Fp8KVCacheDataTypeE0ELb1EEEvPT_PKS2_PKT0_S8_ifPKiSA_iPKfiiiSC_SC_iiiii.num_named_barrier, 0
	.set _ZN4vllm25paged_attention_v1_kernelIttLi128ELi32ELi128ELNS_18Fp8KVCacheDataTypeE0ELb1EEEvPT_PKS2_PKT0_S8_ifPKiSA_iPKfiiiSC_SC_iiiii.private_seg_size, 32
	.set _ZN4vllm25paged_attention_v1_kernelIttLi128ELi32ELi128ELNS_18Fp8KVCacheDataTypeE0ELb1EEEvPT_PKS2_PKT0_S8_ifPKiSA_iPKfiiiSC_SC_iiiii.uses_vcc, 1
	.set _ZN4vllm25paged_attention_v1_kernelIttLi128ELi32ELi128ELNS_18Fp8KVCacheDataTypeE0ELb1EEEvPT_PKS2_PKT0_S8_ifPKiSA_iPKfiiiSC_SC_iiiii.uses_flat_scratch, 1
	.set _ZN4vllm25paged_attention_v1_kernelIttLi128ELi32ELi128ELNS_18Fp8KVCacheDataTypeE0ELb1EEEvPT_PKS2_PKT0_S8_ifPKiSA_iPKfiiiSC_SC_iiiii.has_dyn_sized_stack, 0
	.set _ZN4vllm25paged_attention_v1_kernelIttLi128ELi32ELi128ELNS_18Fp8KVCacheDataTypeE0ELb1EEEvPT_PKS2_PKT0_S8_ifPKiSA_iPKfiiiSC_SC_iiiii.has_recursion, 0
	.set _ZN4vllm25paged_attention_v1_kernelIttLi128ELi32ELi128ELNS_18Fp8KVCacheDataTypeE0ELb1EEEvPT_PKS2_PKT0_S8_ifPKiSA_iPKfiiiSC_SC_iiiii.has_indirect_call, 0
	.section	.AMDGPU.csdata,"",@progbits
; Kernel info:
; codeLenInByte = 13952
; TotalNumSgprs: 40
; NumVgprs: 128
; ScratchSize: 32
; MemoryBound: 0
; FloatMode: 240
; IeeeMode: 1
; LDSByteSize: 288 bytes/workgroup (compile time only)
; SGPRBlocks: 0
; VGPRBlocks: 7
; NumSGPRsForWavesPerEU: 40
; NumVGPRsForWavesPerEU: 128
; NamedBarCnt: 0
; Occupancy: 8
; WaveLimiterHint : 1
; COMPUTE_PGM_RSRC2:SCRATCH_EN: 1
; COMPUTE_PGM_RSRC2:USER_SGPR: 2
; COMPUTE_PGM_RSRC2:TRAP_HANDLER: 0
; COMPUTE_PGM_RSRC2:TGID_X_EN: 1
; COMPUTE_PGM_RSRC2:TGID_Y_EN: 1
; COMPUTE_PGM_RSRC2:TGID_Z_EN: 1
; COMPUTE_PGM_RSRC2:TIDIG_COMP_CNT: 0
	.section	.text._ZN4vllm25paged_attention_v1_kernelIttLi192ELi32ELi128ELNS_18Fp8KVCacheDataTypeE0ELb1EEEvPT_PKS2_PKT0_S8_ifPKiSA_iPKfiiiSC_SC_iiiii,"axG",@progbits,_ZN4vllm25paged_attention_v1_kernelIttLi192ELi32ELi128ELNS_18Fp8KVCacheDataTypeE0ELb1EEEvPT_PKS2_PKT0_S8_ifPKiSA_iPKfiiiSC_SC_iiiii,comdat
	.protected	_ZN4vllm25paged_attention_v1_kernelIttLi192ELi32ELi128ELNS_18Fp8KVCacheDataTypeE0ELb1EEEvPT_PKS2_PKT0_S8_ifPKiSA_iPKfiiiSC_SC_iiiii ; -- Begin function _ZN4vllm25paged_attention_v1_kernelIttLi192ELi32ELi128ELNS_18Fp8KVCacheDataTypeE0ELb1EEEvPT_PKS2_PKT0_S8_ifPKiSA_iPKfiiiSC_SC_iiiii
	.globl	_ZN4vllm25paged_attention_v1_kernelIttLi192ELi32ELi128ELNS_18Fp8KVCacheDataTypeE0ELb1EEEvPT_PKS2_PKT0_S8_ifPKiSA_iPKfiiiSC_SC_iiiii
	.p2align	8
	.type	_ZN4vllm25paged_attention_v1_kernelIttLi192ELi32ELi128ELNS_18Fp8KVCacheDataTypeE0ELb1EEEvPT_PKS2_PKT0_S8_ifPKiSA_iPKfiiiSC_SC_iiiii,@function
_ZN4vllm25paged_attention_v1_kernelIttLi192ELi32ELi128ELNS_18Fp8KVCacheDataTypeE0ELb1EEEvPT_PKS2_PKT0_S8_ifPKiSA_iPKfiiiSC_SC_iiiii: ; @_ZN4vllm25paged_attention_v1_kernelIttLi192ELi32ELi128ELNS_18Fp8KVCacheDataTypeE0ELb1EEEvPT_PKS2_PKT0_S8_ifPKiSA_iPKfiiiSC_SC_iiiii
; %bb.0:
	s_load_b64 s[20:21], s[0:1], 0x20
	s_bfe_u32 s3, ttmp6, 0x4000c
	s_bfe_u32 s4, ttmp6, 0x40010
	s_and_b32 s6, ttmp7, 0xffff
	s_add_co_i32 s3, s3, 1
	s_add_co_i32 s4, s4, 1
	s_and_b32 s2, ttmp6, 15
	s_bfe_u32 s5, ttmp6, 0x40004
	s_mul_i32 s3, ttmp9, s3
	s_mul_i32 s4, s6, s4
	s_getreg_b32 s26, hwreg(HW_REG_IB_STS2, 6, 4)
	s_add_co_i32 s2, s2, s3
	s_add_co_i32 s3, s5, s4
	s_cmp_eq_u32 s26, 0
	v_mov_b32_e32 v102, v0
	s_cselect_b32 s28, s6, s3
	s_cselect_b32 s2, ttmp9, s2
	s_clause 0x1
	s_load_b32 s27, s[0:1], 0x80
	s_load_b64 s[4:5], s[0:1], 0x30
	s_mov_b32 s15, 0
	s_delay_alu instid0(SALU_CYCLE_1) | instskip(SKIP_2) | instid1(SALU_CYCLE_1)
	s_mov_b32 s34, s15
	s_wait_kmcnt 0x0
	s_abs_i32 s3, s20
	s_cvt_f32_u32 s6, s3
	s_sub_co_i32 s7, 0, s3
	s_delay_alu instid0(SALU_CYCLE_2) | instskip(SKIP_1) | instid1(TRANS32_DEP_1)
	v_rcp_iflag_f32_e32 v0, s6
	v_nop
	v_readfirstlane_b32 s6, v0
	s_abs_i32 s8, s27
	s_mul_f32 s6, s6, 0x4f7ffffe
	s_delay_alu instid0(SALU_CYCLE_3) | instskip(NEXT) | instid1(SALU_CYCLE_3)
	s_cvt_u32_f32 s6, s6
	s_mul_i32 s7, s7, s6
	s_delay_alu instid0(SALU_CYCLE_1) | instskip(NEXT) | instid1(SALU_CYCLE_1)
	s_mul_hi_u32 s7, s6, s7
	s_add_co_i32 s6, s6, s7
	s_xor_b32 s7, s27, s20
	s_mul_hi_u32 s6, s8, s6
	s_ashr_i32 s7, s7, 31
	s_mul_i32 s9, s6, s3
	s_delay_alu instid0(SALU_CYCLE_1)
	s_sub_co_i32 s8, s8, s9
	s_add_co_i32 s9, s6, 1
	s_sub_co_i32 s10, s8, s3
	s_cmp_ge_u32 s8, s3
	s_cselect_b32 s6, s9, s6
	s_cselect_b32 s8, s10, s8
	s_add_co_i32 s9, s6, 1
	s_cmp_ge_u32 s8, s3
	s_cselect_b32 s3, s9, s6
	s_load_b64 s[8:9], s[0:1], 0x40
	s_xor_b32 s3, s3, s7
	s_abs_i32 s14, s2
	s_sub_co_i32 s12, s3, s7
	s_mov_b32 s7, s15
	s_abs_i32 s11, s12
	s_delay_alu instid0(SALU_CYCLE_1) | instskip(SKIP_1) | instid1(SALU_CYCLE_2)
	s_cvt_f32_u32 s3, s11
	s_sub_co_i32 s6, 0, s11
	v_rcp_iflag_f32_e32 v0, s3
	v_nop
	s_delay_alu instid0(TRANS32_DEP_1) | instskip(SKIP_1) | instid1(SALU_CYCLE_3)
	v_readfirstlane_b32 s3, v0
	s_mul_f32 s3, s3, 0x4f7ffffe
	s_cvt_u32_f32 s3, s3
	s_delay_alu instid0(SALU_CYCLE_3) | instskip(NEXT) | instid1(SALU_CYCLE_1)
	s_mul_i32 s6, s6, s3
	s_mul_hi_u32 s6, s3, s6
	s_delay_alu instid0(SALU_CYCLE_1)
	s_add_co_i32 s6, s3, s6
	s_wait_kmcnt 0x0
	s_cmp_eq_u64 s[8:9], 0
	s_cbranch_scc1 .LBB97_2
; %bb.1:
	s_ashr_i32 s3, s2, 31
	s_delay_alu instid0(SALU_CYCLE_1) | instskip(NEXT) | instid1(SALU_CYCLE_1)
	s_lshl_b64 s[16:17], s[2:3], 2
	s_add_nc_u64 s[8:9], s[8:9], s[16:17]
	s_load_b32 s34, s[8:9], 0x0
.LBB97_2:
	s_load_b32 s29, s[4:5], s28 offset:0x0 scale_offset
	s_wait_xcnt 0x0
	s_load_b96 s[8:10], s[0:1], 0x48
	v_lshlrev_b32_e32 v30, 4, v102
	s_ashr_i32 s3, s2, 31
	s_ashr_i32 s18, s12, 31
	s_mul_u64 s[16:17], s[14:15], s[6:7]
	s_mul_i32 s12, s2, 0xc0
	s_mov_b32 s4, exec_lo
	v_cmpx_gt_u32_e32 24, v102
	s_cbranch_execz .LBB97_4
; %bb.3:
	s_load_b64 s[6:7], s[0:1], 0x8
	s_wait_kmcnt 0x0
	s_mul_i32 s22, s8, s28
	s_ashr_i32 s13, s12, 31
	s_ashr_i32 s23, s22, 31
	s_delay_alu instid0(SALU_CYCLE_1) | instskip(NEXT) | instid1(SALU_CYCLE_1)
	s_lshl_b64 s[22:23], s[22:23], 1
	s_add_nc_u64 s[6:7], s[6:7], s[22:23]
	s_lshl_b64 s[22:23], s[12:13], 1
	s_delay_alu instid0(SALU_CYCLE_1)
	s_add_nc_u64 s[6:7], s[6:7], s[22:23]
	global_load_b128 v[0:3], v102, s[6:7] scale_offset
	s_wait_loadcnt 0x0
	ds_store_b128 v30, v[0:3]
.LBB97_4:
	s_or_b32 exec_lo, exec_lo, s4
	s_load_b128 s[4:7], s[0:1], 0x68
	s_wait_kmcnt 0x0
	s_mul_i32 s8, s17, s11
	s_xor_b32 s3, s3, s18
	s_sub_co_i32 s8, s14, s8
	s_add_co_i32 s13, s17, 1
	s_sub_co_i32 s14, s8, s11
	s_cmp_ge_u32 s8, s11
	s_mov_b32 s19, -1
	s_cselect_b32 s13, s13, s17
	s_cselect_b32 s8, s14, s8
	s_add_co_i32 s14, s13, 1
	s_cmp_ge_u32 s8, s11
	s_load_b32 s11, s[0:1], 0x78
	s_cselect_b32 s13, s14, s13
	s_add_co_i32 s18, s29, -1
	s_xor_b32 s13, s13, s3
	s_mov_b32 s17, 0
	s_sub_co_i32 s3, s13, s3
	s_abs_i32 s16, s18
	s_mov_b32 s15, s17
	s_abs_i32 s8, s7
	s_wait_dscnt 0x0
	s_cvt_f32_u32 s14, s8
	s_barrier_signal -1
	s_barrier_wait -1
	s_delay_alu instid0(SALU_CYCLE_1) | instskip(SKIP_1) | instid1(TRANS32_DEP_1)
	v_rcp_iflag_f32_e32 v0, s14
	v_nop
	v_readfirstlane_b32 s14, v0
	s_mul_f32 s13, s14, 0x4f7ffffe
	s_sub_co_i32 s14, 0, s8
	s_delay_alu instid0(SALU_CYCLE_2) | instskip(NEXT) | instid1(SALU_CYCLE_3)
	s_cvt_u32_f32 s13, s13
	s_mul_i32 s14, s14, s13
	s_delay_alu instid0(SALU_CYCLE_1) | instskip(NEXT) | instid1(SALU_CYCLE_1)
	s_mul_hi_u32 s14, s13, s14
	s_add_co_i32 s14, s13, s14
	s_wait_kmcnt 0x0
	s_cmp_lt_i32 s11, 0
                                        ; implicit-def: $sgpr13
	s_cbranch_scc0 .LBB97_6
; %bb.5:
	s_mul_i32 s13, s4, s20
	s_mov_b32 s19, s17
	s_add_co_i32 s13, s3, s13
	s_delay_alu instid0(SALU_CYCLE_1) | instskip(NEXT) | instid1(SALU_CYCLE_1)
	s_mul_i32 s13, s13, s11
	s_sub_co_i32 s13, 1, s13
.LBB97_6:
	s_ashr_i32 s18, s18, 31
	s_ashr_i32 s30, s7, 31
	s_and_not1_b32 vcc_lo, exec_lo, s19
	s_mul_u64 s[22:23], s[16:17], s[14:15]
	s_cbranch_vccnz .LBB97_8
; %bb.7:
	s_mul_i32 s4, s27, s4
	s_delay_alu instid0(SALU_CYCLE_1) | instskip(NEXT) | instid1(SALU_CYCLE_1)
	s_add_co_i32 s2, s4, s2
	s_mul_i32 s2, s2, s11
	s_delay_alu instid0(SALU_CYCLE_1)
	s_add_co_i32 s13, s2, 1
.LBB97_8:
	s_load_b32 s2, s[0:1], 0x38
	s_mul_i32 s7, s23, s8
	s_xor_b32 s4, s18, s30
	s_sub_co_i32 s20, s16, s7
	s_add_co_i32 s11, s23, 1
	s_clause 0x1
	s_load_b64 s[16:17], s[0:1], 0x28
	s_load_b32 s7, s[0:1], 0x88
	v_dual_lshrrev_b32 v103, 5, v102 :: v_dual_bitop2_b32 v0, 31, v102 bitop3:0x40
	v_dual_mov_b32 v6, 0xff7fffff :: v_dual_lshrrev_b32 v31, 3, v102
	s_mul_i32 s10, s3, s10
	s_delay_alu instid0(VALU_DEP_2)
	v_dual_lshlrev_b32 v98, 5, v103 :: v_dual_lshlrev_b32 v9, 2, v0
	scratch_store_b32 off, v0, off offset:100 ; 4-byte Folded Spill
	s_wait_kmcnt 0x0
	s_mul_i32 s18, s2, s28
	s_sub_co_i32 s2, s20, s8
	s_ashr_i32 s19, s18, 31
	s_cmp_ge_u32 s20, s8
	s_cselect_b32 s11, s11, s23
	s_cselect_b32 s2, s2, s20
	s_add_co_i32 s20, s11, 1
	s_cmp_ge_u32 s2, s8
	s_cselect_b32 s2, s20, s11
	s_add_co_i32 s11, s29, 31
	s_delay_alu instid0(SALU_CYCLE_1) | instskip(NEXT) | instid1(SALU_CYCLE_1)
	s_ashr_i32 s20, s11, 31
	s_lshr_b32 s20, s20, 27
	s_delay_alu instid0(SALU_CYCLE_1) | instskip(NEXT) | instid1(SALU_CYCLE_1)
	s_add_co_i32 s11, s11, s20
	s_ashr_i32 s31, s11, 5
	s_xor_b32 s11, s2, s4
	v_cmp_gt_i32_e64 s2, s31, v103
	s_sub_co_i32 s33, s11, s4
	s_wait_xcnt 0x0
	s_and_saveexec_b32 s20, s2
	s_cbranch_execz .LBB97_16
; %bb.9:
	s_clause 0x2
	scratch_store_b32 off, v30, off offset:124
	scratch_store_b32 off, v102, off offset:116
	scratch_load_b32 v1, off, off offset:100
	s_ashr_i32 s11, s10, 31
	s_sub_co_i32 s35, s33, s5
	s_ashr_i32 s23, s9, 31
	s_lshl_b64 s[24:25], s[10:11], 1
	s_cmp_neq_f32 s34, 0
	s_load_b64 s[36:37], s[0:1], 0x10
	v_lshl_or_b32 v2, v103, 7, v9
	v_mov_b32_e32 v6, 0xff7fffff
	s_cselect_b32 vcc_lo, -1, 0
	s_abs_i32 s11, s6
	s_mov_b32 s22, s9
	s_cvt_f32_u32 s3, s11
	s_sub_co_i32 s4, 0, s11
	v_add_nc_u32_e32 v99, 0x1a0, v2
	v_mov_b32_e32 v101, 0
	v_rcp_iflag_f32_e32 v0, s3
	v_nop
	s_delay_alu instid0(TRANS32_DEP_1) | instskip(SKIP_3) | instid1(SALU_CYCLE_3)
	v_readfirstlane_b32 s3, v0
	s_wait_kmcnt 0x0
	s_add_nc_u64 s[24:25], s[36:37], s[24:25]
	s_mul_f32 s3, s3, 0x4f7ffffe
	s_cvt_u32_f32 s3, s3
	s_delay_alu instid0(SALU_CYCLE_3) | instskip(NEXT) | instid1(SALU_CYCLE_1)
	s_mul_i32 s4, s4, s3
	s_mul_hi_u32 s4, s3, s4
	s_wait_loadcnt 0x0
	v_lshlrev_b32_e32 v100, 4, v1
	v_subrev_nc_u32_e32 v1, s29, v1
	s_delay_alu instid0(VALU_DEP_1)
	v_dual_mov_b32 v124, v103 :: v_dual_add_nc_u32 v0, 1, v1
	s_clause 0x1
	scratch_store_b32 off, v9, off offset:132
	scratch_store_b32 off, v0, off offset:104
	s_wait_xcnt 0x0
	v_add_nc_u64_e32 v[0:1], s[24:25], v[100:101]
	v_and_b32_e32 v100, 0x7c, v31
	s_lshl_b64 s[24:25], s[18:19], 2
	s_clause 0x1
	scratch_store_b64 off, v[0:1], off offset:108
	scratch_store_b32 off, v31, off offset:128
	s_add_nc_u64 s[24:25], s[16:17], s[24:25]
	scratch_store_b32 off, v103, off offset:120 ; 4-byte Folded Spill
	v_add_nc_u64_e32 v[104:105], s[24:25], v[100:101]
	v_lshlrev_b32_e32 v100, 5, v103
	s_mov_b32 s25, 0
	s_add_co_i32 s24, s3, s4
	s_mov_b32 s36, s25
	s_branch .LBB97_11
.LBB97_10:                              ;   in Loop: Header=BB97_11 Depth=1
	s_wait_xcnt 0x0
	s_or_b32 exec_lo, exec_lo, s4
	v_add_nc_u32_e32 v124, 4, v124
	v_add_nc_u64_e32 v[104:105], 16, v[104:105]
	v_add_nc_u32_e32 v100, 0x80, v100
	v_add_nc_u32_e32 v99, 0x200, v99
	s_delay_alu instid0(VALU_DEP_4) | instskip(SKIP_1) | instid1(SALU_CYCLE_1)
	v_cmp_le_i32_e64 s3, s31, v124
	s_or_b32 s36, s3, s36
	s_and_not1_b32 exec_lo, exec_lo, s36
	s_cbranch_execz .LBB97_15
.LBB97_11:                              ; =>This Inner Loop Header: Depth=1
	s_wait_xcnt 0x2
	v_mul_u64_e32 v[0:1], s[14:15], v[100:101]
	s_delay_alu instid0(VALU_DEP_1) | instskip(NEXT) | instid1(VALU_DEP_1)
	v_mul_lo_u32 v0, v1, s8
	v_dual_add_nc_u32 v2, 1, v1 :: v_dual_sub_nc_u32 v0, v100, v0
	s_delay_alu instid0(VALU_DEP_1) | instskip(SKIP_1) | instid1(VALU_DEP_1)
	v_subrev_nc_u32_e32 v3, s8, v0
	v_cmp_le_u32_e64 s3, s8, v0
	v_dual_cndmask_b32 v1, v1, v2, s3 :: v_dual_cndmask_b32 v0, v0, v3, s3
	s_delay_alu instid0(VALU_DEP_1) | instskip(NEXT) | instid1(VALU_DEP_2)
	v_add_nc_u32_e32 v2, 1, v1
	v_cmp_le_u32_e64 s3, s8, v0
	s_delay_alu instid0(VALU_DEP_1) | instskip(NEXT) | instid1(VALU_DEP_1)
	v_cndmask_b32_e64 v0, v1, v2, s3
	v_dual_mov_b32 v1, v101 :: v_dual_bitop2_b32 v0, s30, v0 bitop3:0x14
	s_delay_alu instid0(VALU_DEP_1) | instskip(NEXT) | instid1(VALU_DEP_1)
	v_subrev_nc_u32_e32 v4, s30, v0
	v_add_nc_u32_e32 v5, s13, v4
	v_cmp_ge_i32_e64 s4, s35, v4
	s_delay_alu instid0(VALU_DEP_2) | instskip(NEXT) | instid1(VALU_DEP_1)
	v_sub_nc_u32_e32 v0, 0, v5
	v_max_i32_e32 v0, v5, v0
	s_delay_alu instid0(VALU_DEP_1) | instskip(SKIP_1) | instid1(VALU_DEP_2)
	v_mul_u64_e32 v[2:3], s[24:25], v[0:1]
	v_ashrrev_i32_e32 v2, 31, v5
	v_mul_lo_u32 v1, v3, s11
	s_delay_alu instid0(VALU_DEP_1) | instskip(NEXT) | instid1(VALU_DEP_1)
	v_sub_nc_u32_e32 v0, v0, v1
	v_subrev_nc_u32_e32 v1, s11, v0
	v_cmp_le_u32_e64 s3, s11, v0
	s_delay_alu instid0(VALU_DEP_1) | instskip(NEXT) | instid1(VALU_DEP_1)
	v_cndmask_b32_e64 v0, v0, v1, s3
	v_subrev_nc_u32_e32 v1, s11, v0
	v_cmp_le_u32_e64 s3, s11, v0
	s_delay_alu instid0(VALU_DEP_1) | instskip(NEXT) | instid1(VALU_DEP_1)
	v_cndmask_b32_e64 v0, v0, v1, s3
	v_xor_b32_e32 v0, v0, v2
	s_delay_alu instid0(VALU_DEP_1) | instskip(NEXT) | instid1(VALU_DEP_1)
	v_sub_nc_u32_e32 v0, v0, v2
	v_cmp_ne_u32_e64 s3, 0, v0
	s_and_b32 s3, s3, s4
	s_wait_xcnt 0x0
	s_and_saveexec_b32 s4, s3
	s_delay_alu instid0(SALU_CYCLE_1)
	s_xor_b32 s3, exec_lo, s4
; %bb.12:                               ;   in Loop: Header=BB97_11 Depth=1
	v_mov_b32_e32 v0, 0xff7fffff
	ds_store_b32 v99, v0
; %bb.13:                               ;   in Loop: Header=BB97_11 Depth=1
	s_and_not1_saveexec_b32 s4, s3
	s_cbranch_execz .LBB97_10
; %bb.14:                               ;   in Loop: Header=BB97_11 Depth=1
	global_load_b32 v0, v[104:105], off
	scratch_load_b64 v[2:3], off, off offset:108 ; 8-byte Folded Reload
	s_wait_loadcnt 0x1
	v_ashrrev_i32_e32 v1, 31, v0
	s_delay_alu instid0(VALU_DEP_1) | instskip(SKIP_1) | instid1(VALU_DEP_1)
	v_mul_u64_e32 v[0:1], s[22:23], v[0:1]
	s_wait_loadcnt 0x0
	v_lshl_add_u64 v[2:3], v[0:1], 1, v[2:3]
	s_clause 0x8
	global_load_b128 v[90:93], v[2:3], off
	global_load_b128 v[94:97], v[2:3], off offset:512
	global_load_b128 v[86:89], v[2:3], off offset:1024
	;; [unrolled: 1-line block ×8, first 2 shown]
	scratch_store_b32 off, v6, off          ; 4-byte Folded Spill
	s_wait_xcnt 0x0
	ds_load_b128 v[4:7], v101
	s_wait_dscnt 0x0
	v_dual_lshrrev_b32 v0, 16, v4 :: v_dual_lshrrev_b32 v102, 16, v6
	v_and_b32_e32 v103, 0xffff, v6
	v_lshrrev_b32_e32 v106, 16, v7
	v_and_b32_e32 v107, 0xffff, v7
	s_clause 0xe
	global_load_b128 v[62:65], v[2:3], off offset:4608
	global_load_b128 v[54:57], v[2:3], off offset:5120
	;; [unrolled: 1-line block ×15, first 2 shown]
	v_and_b32_e32 v1, 0xffff, v4
	v_lshrrev_b32_e32 v4, 16, v5
	v_and_b32_e32 v5, 0xffff, v5
	s_wait_loadcnt 0x17
	s_wait_xcnt 0x0
	v_lshrrev_b32_e32 v2, 16, v91
	v_and_b32_e32 v3, 0xffff, v91
	v_and_b32_e32 v91, 0xffff, v92
	s_wait_loadcnt 0x13
	v_and_b32_e32 v125, 0xffff, v79
	s_wait_loadcnt 0x12
	v_dual_lshrrev_b32 v126, 16, v79 :: v_dual_lshrrev_b32 v127, 16, v74
	s_wait_loadcnt 0x0
	scratch_store_b128 off, v[108:111], off offset:4 ; 16-byte Folded Spill
	;;#ASMSTART
	v_cvt_f32_f16 v118, v1;
	;;#ASMEND
	;;#ASMSTART
	v_cvt_f32_f16 v119, v0;
	;;#ASMEND
	v_lshrrev_b32_e32 v0, 16, v90
	v_and_b32_e32 v1, 0xffff, v90
	v_dual_lshrrev_b32 v90, 16, v92 :: v_dual_lshrrev_b32 v92, 16, v93
	v_and_b32_e32 v93, 0xffff, v93
	;;#ASMSTART
	v_cvt_f32_f16 v120, v1;
	;;#ASMEND
	;;#ASMSTART
	v_cvt_f32_f16 v121, v0;
	;;#ASMEND
	;; [unrolled: 3-line block ×6, first 2 shown]
	s_wait_xcnt 0x0
	;;#ASMSTART
	v_cvt_f32_f16 v111, v103;
	;;#ASMEND
	;;#ASMSTART
	v_cvt_f32_f16 v110, v102;
	;;#ASMEND
	;; [unrolled: 3-line block ×8, first 2 shown]
	ds_load_b128 v[90:93], v101 offset:16
	v_and_b32_e32 v2, 0xffff, v94
	v_dual_lshrrev_b32 v3, 16, v94 :: v_dual_lshrrev_b32 v94, 16, v95
	v_and_b32_e32 v102, 0xffff, v78
	v_and_b32_e32 v103, 0xffff, v85
	s_wait_dscnt 0x0
	v_and_b32_e32 v0, 0xffff, v90
	v_lshrrev_b32_e32 v1, 16, v90
	v_and_b32_e32 v90, 0xffff, v95
	v_and_b32_e32 v4, 0xffff, v91
	v_lshrrev_b32_e32 v91, 16, v91
	;;#ASMSTART
	v_cvt_f32_f16 v0, v0;
	;;#ASMEND
	;;#ASMSTART
	v_cvt_f32_f16 v1, v1;
	;;#ASMEND
	;; [unrolled: 3-line block ×8, first 2 shown]
	v_pk_mul_f32 v[122:123], v[0:1], v[2:3]
	v_pk_mul_f32 v[90:91], v[4:5], v[90:91]
	v_and_b32_e32 v2, 0xffff, v96
	v_dual_lshrrev_b32 v3, 16, v96 :: v_dual_lshrrev_b32 v1, 16, v97
	s_delay_alu instid0(VALU_DEP_4)
	v_pk_fma_f32 v[118:119], v[118:119], v[120:121], v[122:123]
	v_and_b32_e32 v0, 0xffff, v97
	v_and_b32_e32 v4, 0xffff, v86
	v_lshrrev_b32_e32 v5, 16, v86
	v_pk_fma_f32 v[90:91], v[114:115], v[116:117], v[90:91]
	v_dual_lshrrev_b32 v120, 16, v87 :: v_dual_lshrrev_b32 v116, 16, v88
	v_and_b32_e32 v115, 0xffff, v88
	v_dual_lshrrev_b32 v97, 16, v89 :: v_dual_lshrrev_b32 v88, 16, v92
	v_and_b32_e32 v86, 0xffff, v92
	v_and_b32_e32 v117, 0xffff, v87
	v_and_b32_e32 v96, 0xffff, v89
	;;#ASMSTART
	v_cvt_f32_f16 v87, v86;
	;;#ASMEND
	;;#ASMSTART
	v_cvt_f32_f16 v86, v88;
	;;#ASMEND
	;; [unrolled: 3-line block ×4, first 2 shown]
	v_pk_mul_f32 v[2:3], v[86:87], v[88:89]
	v_and_b32_e32 v114, 0xffff, v82
	v_lshrrev_b32_e32 v123, 16, v82
	v_and_b32_e32 v82, 0xffff, v93
	v_and_b32_e32 v89, 0xffff, v80
	v_pk_fma_f32 v[86:87], v[110:111], v[112:113], v[2:3]
	v_and_b32_e32 v112, 0xffff, v83
	v_dual_lshrrev_b32 v113, 16, v83 :: v_dual_lshrrev_b32 v83, 16, v93
	v_dual_lshrrev_b32 v93, 16, v78 :: v_dual_lshrrev_b32 v92, 16, v80
	v_and_b32_e32 v2, 0xffff, v81
	v_lshrrev_b32_e32 v3, 16, v81
	;;#ASMSTART
	v_cvt_f32_f16 v79, v82;
	;;#ASMEND
	;;#ASMSTART
	v_cvt_f32_f16 v78, v83;
	;;#ASMEND
	;; [unrolled: 3-line block ×4, first 2 shown]
	v_pk_mul_f32 v[0:1], v[78:79], v[80:81]
	ds_load_b128 v[78:81], v101 offset:32
	v_and_b32_e32 v94, 0xffff, v84
	v_dual_lshrrev_b32 v95, 16, v84 :: v_dual_lshrrev_b32 v110, 16, v85
	v_pk_fma_f32 v[84:85], v[106:107], v[108:109], v[0:1]
	v_lshrrev_b32_e32 v88, 16, v75
	v_and_b32_e32 v121, 0xffff, v70
	v_lshrrev_b32_e32 v122, 16, v70
	v_and_b32_e32 v108, 0xffff, v73
	;; [unrolled: 2-line block ×3, first 2 shown]
	v_and_b32_e32 v106, 0xffff, v58
	s_wait_dscnt 0x0
	v_and_b32_e32 v0, 0xffff, v78
	v_lshrrev_b32_e32 v1, 16, v78
	;;#ASMSTART
	v_cvt_f32_f16 v0, v0;
	;;#ASMEND
	;;#ASMSTART
	v_cvt_f32_f16 v1, v1;
	;;#ASMEND
	;; [unrolled: 3-line block ×4, first 2 shown]
	v_pk_fma_f32 v[82:83], v[0:1], v[4:5], v[118:119]
	v_and_b32_e32 v0, 0xffff, v79
	v_lshrrev_b32_e32 v5, 16, v79
	;;#ASMSTART
	v_cvt_f32_f16 v1, v0;
	;;#ASMEND
	;;#ASMSTART
	v_cvt_f32_f16 v0, v5;
	;;#ASMEND
	;;#ASMSTART
	v_cvt_f32_f16 v79, v117;
	;;#ASMEND
	;;#ASMSTART
	v_cvt_f32_f16 v78, v120;
	;;#ASMEND
	v_and_b32_e32 v4, 0xffff, v74
	v_pk_fma_f32 v[78:79], v[0:1], v[78:79], v[90:91]
	v_and_b32_e32 v0, 0xffff, v76
	v_dual_lshrrev_b32 v1, 16, v76 :: v_dual_lshrrev_b32 v120, 16, v77
	v_lshrrev_b32_e32 v76, 16, v80
	v_and_b32_e32 v74, 0xffff, v80
	v_and_b32_e32 v5, 0xffff, v75
	v_and_b32_e32 v119, 0xffff, v77
	;;#ASMSTART
	v_cvt_f32_f16 v75, v74;
	;;#ASMEND
	;;#ASMSTART
	v_cvt_f32_f16 v74, v76;
	;;#ASMEND
	;; [unrolled: 3-line block ×4, first 2 shown]
	v_and_b32_e32 v70, 0xffff, v81
	v_pk_fma_f32 v[76:77], v[74:75], v[76:77], v[86:87]
	v_and_b32_e32 v115, 0xffff, v71
	v_dual_lshrrev_b32 v74, 16, v81 :: v_dual_lshrrev_b32 v118, 16, v71
	v_lshrrev_b32_e32 v117, 16, v72
	v_and_b32_e32 v116, 0xffff, v72
	;;#ASMSTART
	v_cvt_f32_f16 v71, v70;
	;;#ASMEND
	;;#ASMSTART
	v_cvt_f32_f16 v70, v74;
	;;#ASMEND
	;; [unrolled: 3-line block ×4, first 2 shown]
	v_pk_fma_f32 v[80:81], v[70:71], v[72:73], v[84:85]
	ds_load_b128 v[70:73], v101 offset:48
	v_and_b32_e32 v96, 0xffff, v68
	v_dual_lshrrev_b32 v97, 16, v68 :: v_dual_lshrrev_b32 v91, 16, v69
	v_lshrrev_b32_e32 v107, 16, v58
	v_and_b32_e32 v90, 0xffff, v69
	v_and_b32_e32 v87, 0xffff, v59
	;; [unrolled: 1-line block ×3, first 2 shown]
	s_wait_dscnt 0x0
	v_and_b32_e32 v74, 0xffff, v70
	v_lshrrev_b32_e32 v70, 16, v70
	;;#ASMSTART
	v_cvt_f32_f16 v74, v74;
	;;#ASMEND
	;;#ASMSTART
	v_cvt_f32_f16 v75, v70;
	;;#ASMEND
	;; [unrolled: 3-line block ×4, first 2 shown]
	v_pk_fma_f32 v[74:75], v[74:75], v[84:85], v[82:83]
	v_and_b32_e32 v70, 0xffff, v71
	v_dual_lshrrev_b32 v82, 16, v71 :: v_dual_lshrrev_b32 v114, 16, v66
	v_and_b32_e32 v66, 0xffff, v72
	;;#ASMSTART
	v_cvt_f32_f16 v71, v70;
	;;#ASMEND
	;;#ASMSTART
	v_cvt_f32_f16 v70, v82;
	;;#ASMEND
	;; [unrolled: 3-line block ×4, first 2 shown]
	v_and_b32_e32 v112, 0xffff, v67
	v_dual_lshrrev_b32 v113, 16, v67 :: v_dual_lshrrev_b32 v68, 16, v72
	;;#ASMSTART
	v_cvt_f32_f16 v67, v66;
	;;#ASMEND
	;;#ASMSTART
	v_cvt_f32_f16 v66, v68;
	;;#ASMEND
	v_and_b32_e32 v58, 0xffff, v73
	v_pk_fma_f32 v[70:71], v[70:71], v[82:83], v[78:79]
	;;#ASMSTART
	v_cvt_f32_f16 v69, v94;
	;;#ASMEND
	;;#ASMSTART
	v_cvt_f32_f16 v68, v95;
	;;#ASMEND
	v_pk_fma_f32 v[76:77], v[66:67], v[68:69], v[76:77]
	v_dual_lshrrev_b32 v66, 16, v73 :: v_dual_lshrrev_b32 v95, 16, v59
	v_lshrrev_b32_e32 v94, 16, v60
	v_and_b32_e32 v79, 0xffff, v61
	v_lshrrev_b32_e32 v123, 16, v61
	;;#ASMSTART
	v_cvt_f32_f16 v59, v58;
	;;#ASMEND
	;;#ASMSTART
	v_cvt_f32_f16 v58, v66;
	;;#ASMEND
	;; [unrolled: 3-line block ×4, first 2 shown]
	v_pk_fma_f32 v[72:73], v[58:59], v[60:61], v[80:81]
	ds_load_b128 v[58:61], v101 offset:64
	v_lshrrev_b32_e32 v110, 16, v62
	v_and_b32_e32 v81, 0xffff, v62
	v_and_b32_e32 v80, 0xffff, v63
	v_lshrrev_b32_e32 v78, 16, v63
	v_and_b32_e32 v85, 0xffff, v49
	v_and_b32_e32 v84, 0xffff, v43
	;; [unrolled: 1-line block ×4, first 2 shown]
	v_lshrrev_b32_e32 v83, 16, v43
	s_wait_dscnt 0x0
	v_and_b32_e32 v66, 0xffff, v58
	v_lshrrev_b32_e32 v58, 16, v58
	;;#ASMSTART
	v_cvt_f32_f16 v66, v66;
	;;#ASMEND
	;;#ASMSTART
	v_cvt_f32_f16 v67, v58;
	;;#ASMEND
	;; [unrolled: 3-line block ×4, first 2 shown]
	v_pk_fma_f32 v[66:67], v[66:67], v[68:69], v[74:75]
	v_and_b32_e32 v58, 0xffff, v59
	v_lshrrev_b32_e32 v68, 16, v59
	;;#ASMSTART
	v_cvt_f32_f16 v59, v58;
	;;#ASMEND
	;;#ASMSTART
	v_cvt_f32_f16 v58, v68;
	;;#ASMEND
	;; [unrolled: 3-line block ×4, first 2 shown]
	v_pk_fma_f32 v[68:69], v[58:59], v[68:69], v[70:71]
	v_and_b32_e32 v58, 0xffff, v65
	v_and_b32_e32 v126, 0xffff, v54
	v_lshrrev_b32_e32 v125, 16, v54
	v_and_b32_e32 v54, 0xffff, v55
	v_lshrrev_b32_e32 v55, 16, v55
	scratch_store_b32 off, v58, off offset:32 ; 4-byte Folded Spill
	s_wait_xcnt 0x0
	v_dual_lshrrev_b32 v58, 16, v65 :: v_dual_lshrrev_b32 v75, 16, v48
	v_lshrrev_b32_e32 v102, 16, v64
	v_and_b32_e32 v64, 0xffff, v39
	v_dual_lshrrev_b32 v70, 16, v39 :: v_dual_lshrrev_b32 v71, 16, v40
	scratch_store_b32 off, v58, off offset:36 ; 4-byte Folded Spill
	s_wait_xcnt 0x0
	v_and_b32_e32 v58, 0xffff, v60
	v_lshrrev_b32_e32 v60, 16, v60
	;;#ASMSTART
	v_cvt_f32_f16 v59, v58;
	;;#ASMEND
	;;#ASMSTART
	v_cvt_f32_f16 v58, v60;
	;;#ASMEND
	;;#ASMSTART
	v_cvt_f32_f16 v63, v89;
	;;#ASMEND
	;;#ASMSTART
	v_cvt_f32_f16 v62, v92;
	;;#ASMEND
	scratch_store_b32 off, v55, off offset:88 ; 4-byte Folded Spill
	s_wait_xcnt 0x0
	v_and_b32_e32 v55, 0xffff, v56
	v_pk_fma_f32 v[62:63], v[58:59], v[62:63], v[76:77]
	v_lshrrev_b32_e32 v58, 16, v61
	v_and_b32_e32 v77, 0xffff, v48
	v_lshrrev_b32_e32 v76, 16, v35
	scratch_store_b32 off, v55, off offset:44 ; 4-byte Folded Spill
	s_wait_xcnt 0x0
	v_lshrrev_b32_e32 v55, 16, v56
	v_and_b32_e32 v65, 0xffff, v35
	v_dual_lshrrev_b32 v89, 16, v25 :: v_dual_lshrrev_b32 v92, 16, v23
	v_lshrrev_b32_e32 v93, 16, v16
	scratch_store_b32 off, v55, off offset:48 ; 4-byte Folded Spill
	s_wait_xcnt 0x0
	v_and_b32_e32 v55, 0xffff, v57
	scratch_store_b32 off, v54, off offset:28 ; 4-byte Folded Spill
	s_wait_xcnt 0x0
	v_and_b32_e32 v54, 0xffff, v61
	scratch_store_b32 off, v55, off offset:20 ; 4-byte Folded Spill
	s_wait_xcnt 0x0
	v_lshrrev_b32_e32 v55, 16, v57
	scratch_store_b32 off, v55, off offset:24 ; 4-byte Folded Spill
	s_wait_xcnt 0x0
	;;#ASMSTART
	v_cvt_f32_f16 v55, v54;
	;;#ASMEND
	;;#ASMSTART
	v_cvt_f32_f16 v54, v58;
	;;#ASMEND
	;; [unrolled: 3-line block ×4, first 2 shown]
	v_pk_fma_f32 v[60:61], v[54:55], v[56:57], v[72:73]
	ds_load_b128 v[54:57], v101 offset:80
	v_lshrrev_b32_e32 v73, 16, v47
	v_and_b32_e32 v72, 0xffff, v42
	s_wait_dscnt 0x0
	v_and_b32_e32 v2, 0xffff, v54
	v_lshrrev_b32_e32 v3, 16, v54
	;;#ASMSTART
	v_cvt_f32_f16 v2, v2;
	;;#ASMEND
	;;#ASMSTART
	v_cvt_f32_f16 v3, v3;
	;;#ASMEND
	;; [unrolled: 3-line block ×4, first 2 shown]
	v_pk_fma_f32 v[58:59], v[2:3], v[58:59], v[66:67]
	v_and_b32_e32 v3, 0xffff, v50
	v_and_b32_e32 v2, 0xffff, v55
	v_dual_lshrrev_b32 v4, 16, v55 :: v_dual_lshrrev_b32 v50, 16, v50
	v_and_b32_e32 v127, 0xffff, v41
	scratch_store_b32 off, v3, off offset:40 ; 4-byte Folded Spill
	s_wait_xcnt 0x0
	;;#ASMSTART
	v_cvt_f32_f16 v3, v2;
	;;#ASMEND
	;;#ASMSTART
	v_cvt_f32_f16 v2, v4;
	;;#ASMEND
	;; [unrolled: 3-line block ×4, first 2 shown]
	v_pk_fma_f32 v[54:55], v[2:3], v[4:5], v[68:69]
	v_and_b32_e32 v2, 0xffff, v51
	v_lshrrev_b32_e32 v4, 16, v56
	v_and_b32_e32 v88, 0xffff, v31
	v_and_b32_e32 v67, 0xffff, v23
	;; [unrolled: 1-line block ×3, first 2 shown]
	scratch_store_b32 off, v2, off offset:68 ; 4-byte Folded Spill
	s_wait_xcnt 0x0
	v_lshrrev_b32_e32 v2, 16, v51
	v_and_b32_e32 v68, 0xffff, v18
	scratch_store_b32 off, v2, off offset:72 ; 4-byte Folded Spill
	s_wait_xcnt 0x0
	v_and_b32_e32 v2, 0xffff, v52
	scratch_store_b32 off, v2, off offset:60 ; 4-byte Folded Spill
	s_wait_xcnt 0x0
	v_lshrrev_b32_e32 v2, 16, v52
	scratch_store_b32 off, v2, off offset:64 ; 4-byte Folded Spill
	s_wait_xcnt 0x0
	v_and_b32_e32 v2, 0xffff, v53
	s_clause 0x1
	scratch_store_b32 off, v50, off offset:92
	scratch_store_b32 off, v2, off offset:52
	s_wait_xcnt 0x0
	v_lshrrev_b32_e32 v2, 16, v53
	scratch_store_b32 off, v2, off offset:56 ; 4-byte Folded Spill
	s_wait_xcnt 0x0
	v_and_b32_e32 v2, 0xffff, v56
	;;#ASMSTART
	v_cvt_f32_f16 v3, v2;
	;;#ASMEND
	;;#ASMSTART
	v_cvt_f32_f16 v2, v4;
	;;#ASMEND
	;;#ASMSTART
	v_cvt_f32_f16 v5, v0;
	;;#ASMEND
	v_and_b32_e32 v0, 0xffff, v46
	;;#ASMSTART
	v_cvt_f32_f16 v4, v1;
	;;#ASMEND
	v_pk_fma_f32 v[50:51], v[2:3], v[4:5], v[62:63]
	v_lshrrev_b32_e32 v2, 16, v57
	v_lshrrev_b32_e32 v1, 16, v49
	scratch_store_b32 off, v0, off offset:80 ; 4-byte Folded Spill
	s_wait_xcnt 0x0
	v_lshrrev_b32_e32 v0, 16, v46
	v_and_b32_e32 v63, 0xffff, v45
	s_clause 0x1
	scratch_store_b32 off, v1, off offset:96
	scratch_store_b32 off, v0, off offset:84
	s_wait_xcnt 0x0
	v_and_b32_e32 v0, 0xffff, v47
	scratch_store_b32 off, v0, off offset:76 ; 4-byte Folded Spill
	s_wait_xcnt 0x0
	v_and_b32_e32 v0, 0xffff, v57
	;;#ASMSTART
	v_cvt_f32_f16 v1, v0;
	;;#ASMEND
	;;#ASMSTART
	v_cvt_f32_f16 v0, v2;
	;;#ASMEND
	;; [unrolled: 3-line block ×4, first 2 shown]
	ds_load_b128 v[46:49], v101 offset:96
	v_pk_fma_f32 v[56:57], v[0:1], v[2:3], v[60:61]
	v_dual_lshrrev_b32 v61, 16, v42 :: v_dual_lshrrev_b32 v60, 16, v44
	v_lshrrev_b32_e32 v62, 16, v38
	v_lshrrev_b32_e32 v120, 16, v14
	v_and_b32_e32 v119, 0xffff, v14
	s_wait_dscnt 0x0
	v_and_b32_e32 v0, 0xffff, v46
	v_lshrrev_b32_e32 v1, 16, v46
	;;#ASMSTART
	v_cvt_f32_f16 v0, v0;
	;;#ASMEND
	;;#ASMSTART
	v_cvt_f32_f16 v1, v1;
	;;#ASMEND
	;; [unrolled: 3-line block ×4, first 2 shown]
	v_pk_fma_f32 v[52:53], v[0:1], v[2:3], v[58:59]
	v_and_b32_e32 v0, 0xffff, v47
	v_lshrrev_b32_e32 v2, 16, v47
	;;#ASMSTART
	v_cvt_f32_f16 v1, v0;
	;;#ASMEND
	;;#ASMSTART
	v_cvt_f32_f16 v0, v2;
	;;#ASMEND
	;;#ASMSTART
	v_cvt_f32_f16 v3, v115;
	;;#ASMEND
	;;#ASMSTART
	v_cvt_f32_f16 v2, v118;
	;;#ASMEND
	v_pk_fma_f32 v[46:47], v[0:1], v[2:3], v[54:55]
	v_dual_lshrrev_b32 v55, 16, v45 :: v_dual_lshrrev_b32 v2, 16, v48
	v_and_b32_e32 v0, 0xffff, v48
	;;#ASMSTART
	v_cvt_f32_f16 v1, v0;
	;;#ASMEND
	;;#ASMSTART
	v_cvt_f32_f16 v0, v2;
	;;#ASMEND
	;; [unrolled: 3-line block ×4, first 2 shown]
	v_pk_fma_f32 v[42:43], v[0:1], v[2:3], v[50:51]
	v_and_b32_e32 v0, 0xffff, v49
	v_lshrrev_b32_e32 v2, 16, v49
	;;#ASMSTART
	v_cvt_f32_f16 v1, v0;
	;;#ASMEND
	;;#ASMSTART
	v_cvt_f32_f16 v0, v2;
	;;#ASMEND
	;; [unrolled: 3-line block ×4, first 2 shown]
	v_and_b32_e32 v59, 0xffff, v44
	v_pk_fma_f32 v[44:45], v[0:1], v[2:3], v[56:57]
	ds_load_b128 v[0:3], v101 offset:112
	v_lshrrev_b32_e32 v74, 16, v41
	v_and_b32_e32 v58, 0xffff, v38
	v_and_b32_e32 v54, 0xffff, v40
	v_dual_lshrrev_b32 v48, 16, v34 :: v_dual_lshrrev_b32 v56, 16, v37
	v_and_b32_e32 v108, 0xffff, v30
	v_dual_lshrrev_b32 v109, 16, v33 :: v_dual_lshrrev_b32 v57, 16, v36
	v_and_b32_e32 v49, 0xffff, v36
	v_lshrrev_b32_e32 v51, 16, v26
	v_and_b32_e32 v50, 0xffff, v26
	v_dual_lshrrev_b32 v118, 16, v18 :: v_dual_lshrrev_b32 v121, 16, v15
	v_dual_lshrrev_b32 v117, 16, v17 :: v_dual_lshrrev_b32 v122, 16, v10
	v_and_b32_e32 v115, 0xffff, v13
	s_wait_dscnt 0x0
	v_and_b32_e32 v4, 0xffff, v0
	v_lshrrev_b32_e32 v0, 16, v0
	;;#ASMSTART
	v_cvt_f32_f16 v4, v4;
	;;#ASMEND
	;;#ASMSTART
	v_cvt_f32_f16 v5, v0;
	;;#ASMEND
	v_and_b32_e32 v0, 0xffff, v1
	;;#ASMSTART
	v_cvt_f32_f16 v38, v111;
	;;#ASMEND
	;;#ASMSTART
	v_cvt_f32_f16 v39, v114;
	;;#ASMEND
	v_pk_fma_f32 v[40:41], v[4:5], v[38:39], v[52:53]
	v_lshrrev_b32_e32 v4, 16, v1
	;;#ASMSTART
	v_cvt_f32_f16 v1, v0;
	;;#ASMEND
	;;#ASMSTART
	v_cvt_f32_f16 v0, v4;
	;;#ASMEND
	;; [unrolled: 3-line block ×4, first 2 shown]
	v_pk_fma_f32 v[38:39], v[0:1], v[4:5], v[46:47]
	v_and_b32_e32 v0, 0xffff, v2
	v_lshrrev_b32_e32 v2, 16, v2
	;;#ASMSTART
	v_cvt_f32_f16 v1, v0;
	;;#ASMEND
	;;#ASMSTART
	v_cvt_f32_f16 v0, v2;
	;;#ASMEND
	;; [unrolled: 3-line block ×4, first 2 shown]
	v_pk_fma_f32 v[42:43], v[0:1], v[4:5], v[42:43]
	v_and_b32_e32 v0, 0xffff, v3
	v_dual_lshrrev_b32 v2, 16, v3 :: v_dual_lshrrev_b32 v111, 16, v32
	v_dual_lshrrev_b32 v97, 16, v30 :: v_dual_lshrrev_b32 v53, 16, v31
	v_and_b32_e32 v113, 0xffff, v32
	v_and_b32_e32 v112, 0xffff, v33
	;;#ASMSTART
	v_cvt_f32_f16 v1, v0;
	;;#ASMEND
	;;#ASMSTART
	v_cvt_f32_f16 v0, v2;
	;;#ASMEND
	;; [unrolled: 3-line block ×4, first 2 shown]
	ds_load_b128 v[30:33], v101 offset:128
	v_pk_fma_f32 v[36:37], v[0:1], v[2:3], v[44:45]
	v_and_b32_e32 v52, 0xffff, v34
	v_dual_lshrrev_b32 v66, 16, v29 :: v_dual_lshrrev_b32 v4, 16, v28
	v_and_b32_e32 v5, 0xffff, v29
	v_and_b32_e32 v96, 0xffff, v16
	;; [unrolled: 1-line block ×3, first 2 shown]
	v_lshrrev_b32_e32 v114, 16, v12
	s_wait_dscnt 0x0
	v_and_b32_e32 v0, 0xffff, v30
	v_lshrrev_b32_e32 v1, 16, v30
	;;#ASMSTART
	v_cvt_f32_f16 v0, v0;
	;;#ASMEND
	;;#ASMSTART
	v_cvt_f32_f16 v1, v1;
	;;#ASMEND
	;; [unrolled: 3-line block ×4, first 2 shown]
	v_pk_fma_f32 v[34:35], v[0:1], v[2:3], v[40:41]
	v_and_b32_e32 v0, 0xffff, v31
	v_lshrrev_b32_e32 v2, 16, v31
	;;#ASMSTART
	v_cvt_f32_f16 v1, v0;
	;;#ASMEND
	;;#ASMSTART
	v_cvt_f32_f16 v0, v2;
	;;#ASMEND
	;; [unrolled: 3-line block ×4, first 2 shown]
	v_pk_fma_f32 v[30:31], v[0:1], v[2:3], v[38:39]
	v_and_b32_e32 v3, 0xffff, v32
	v_dual_lshrrev_b32 v26, 16, v32 :: v_dual_lshrrev_b32 v106, 16, v22
	v_and_b32_e32 v107, 0xffff, v22
	v_dual_lshrrev_b32 v22, 16, v33 :: v_dual_lshrrev_b32 v87, 16, v24
	v_lshrrev_b32_e32 v2, 16, v27
	v_and_b32_e32 v0, 0xffff, v27
	v_and_b32_e32 v1, 0xffff, v28
	;;#ASMSTART
	v_cvt_f32_f16 v27, v3;
	;;#ASMEND
	;;#ASMSTART
	v_cvt_f32_f16 v26, v26;
	;;#ASMEND
	;; [unrolled: 3-line block ×4, first 2 shown]
	v_and_b32_e32 v3, 0xffff, v33
	v_and_b32_e32 v86, 0xffff, v25
	;;#ASMSTART
	v_cvt_f32_f16 v23, v3;
	;;#ASMEND
	;;#ASMSTART
	v_cvt_f32_f16 v22, v22;
	;;#ASMEND
	;; [unrolled: 3-line block ×4, first 2 shown]
	v_pk_fma_f32 v[32:33], v[22:23], v[24:25], v[36:37]
	ds_load_b128 v[22:25], v101 offset:144
	v_pk_fma_f32 v[28:29], v[26:27], v[28:29], v[42:43]
	v_and_b32_e32 v79, 0xffff, v20
	v_lshrrev_b32_e32 v90, 16, v21
	v_and_b32_e32 v95, 0xffff, v17
	v_and_b32_e32 v94, 0xffff, v11
	v_and_b32_e32 v123, 0xffff, v7
	s_wait_dscnt 0x0
	v_and_b32_e32 v3, 0xffff, v22
	v_lshrrev_b32_e32 v22, 16, v22
	;;#ASMSTART
	v_cvt_f32_f16 v26, v3;
	;;#ASMEND
	;;#ASMSTART
	v_cvt_f32_f16 v27, v22;
	;;#ASMEND
	v_lshrrev_b32_e32 v22, 16, v23
	;;#ASMSTART
	v_cvt_f32_f16 v36, v81;
	;;#ASMEND
	;;#ASMSTART
	v_cvt_f32_f16 v37, v110;
	;;#ASMEND
	v_pk_fma_f32 v[26:27], v[26:27], v[36:37], v[34:35]
	v_and_b32_e32 v3, 0xffff, v23
	;;#ASMSTART
	v_cvt_f32_f16 v23, v3;
	;;#ASMEND
	;;#ASMSTART
	v_cvt_f32_f16 v22, v22;
	;;#ASMEND
	;; [unrolled: 3-line block ×4, first 2 shown]
	v_dual_lshrrev_b32 v78, 16, v19 :: v_dual_lshrrev_b32 v80, 16, v20
	v_and_b32_e32 v18, 0xffff, v24
	v_lshrrev_b32_e32 v20, 16, v24
	v_and_b32_e32 v3, 0xffff, v19
	v_and_b32_e32 v81, 0xffff, v21
	;;#ASMSTART
	v_cvt_f32_f16 v19, v18;
	;;#ASMEND
	;;#ASMSTART
	v_cvt_f32_f16 v18, v20;
	;;#ASMEND
	;; [unrolled: 3-line block ×4, first 2 shown]
	v_and_b32_e32 v14, 0xffff, v25
	v_pk_fma_f32 v[20:21], v[18:19], v[20:21], v[28:29]
	v_lshrrev_b32_e32 v18, 16, v25
	v_and_b32_e32 v110, 0xffff, v15
	;;#ASMSTART
	v_cvt_f32_f16 v15, v14;
	;;#ASMEND
	;;#ASMSTART
	v_cvt_f32_f16 v14, v18;
	;;#ASMEND
	scratch_load_b32 v16, off, off offset:32 th:TH_LOAD_LU ; 4-byte Folded Reload
	s_wait_loadcnt 0x0
	;;#ASMSTART
	v_cvt_f32_f16 v17, v16;
	;;#ASMEND
	scratch_load_b32 v16, off, off offset:36 th:TH_LOAD_LU ; 4-byte Folded Reload
	s_wait_loadcnt 0x0
	;;#ASMSTART
	v_cvt_f32_f16 v16, v16;
	;;#ASMEND
	v_pk_fma_f32 v[24:25], v[14:15], v[16:17], v[32:33]
	ds_load_b128 v[14:17], v101 offset:160
	v_lshrrev_b32_e32 v103, 16, v11
	v_and_b32_e32 v102, 0xffff, v12
	v_lshrrev_b32_e32 v116, 16, v13
	v_pk_fma_f32 v[22:23], v[22:23], v[34:35], v[30:31]
	s_wait_dscnt 0x0
	v_and_b32_e32 v18, 0xffff, v14
	v_lshrrev_b32_e32 v14, 16, v14
	;;#ASMSTART
	v_cvt_f32_f16 v18, v18;
	;;#ASMEND
	;;#ASMSTART
	v_cvt_f32_f16 v19, v14;
	;;#ASMEND
	;; [unrolled: 3-line block ×4, first 2 shown]
	v_pk_fma_f32 v[18:19], v[18:19], v[28:29], v[26:27]
	v_and_b32_e32 v14, 0xffff, v15
	v_lshrrev_b32_e32 v26, 16, v15
	;;#ASMSTART
	v_cvt_f32_f16 v15, v14;
	;;#ASMEND
	;;#ASMSTART
	v_cvt_f32_f16 v14, v26;
	;;#ASMEND
	scratch_load_b32 v26, off, off offset:28 th:TH_LOAD_LU ; 4-byte Folded Reload
	s_wait_loadcnt 0x0
	;;#ASMSTART
	v_cvt_f32_f16 v27, v26;
	;;#ASMEND
	scratch_load_b32 v26, off, off offset:88 th:TH_LOAD_LU ; 4-byte Folded Reload
	v_and_b32_e32 v10, 0xffff, v16
	v_lshrrev_b32_e32 v12, 16, v16
	s_wait_loadcnt 0x0
	;;#ASMSTART
	v_cvt_f32_f16 v26, v26;
	;;#ASMEND
	;;#ASMSTART
	v_cvt_f32_f16 v11, v10;
	;;#ASMEND
	;;#ASMSTART
	v_cvt_f32_f16 v10, v12;
	;;#ASMEND
	scratch_load_b32 v12, off, off offset:44 th:TH_LOAD_LU ; 4-byte Folded Reload
	s_wait_loadcnt 0x0
	;;#ASMSTART
	v_cvt_f32_f16 v13, v12;
	;;#ASMEND
	scratch_load_b32 v12, off, off offset:48 th:TH_LOAD_LU ; 4-byte Folded Reload
	s_wait_loadcnt 0x0
	;;#ASMSTART
	v_cvt_f32_f16 v12, v12;
	;;#ASMEND
	v_pk_fma_f32 v[10:11], v[10:11], v[12:13], v[20:21]
	v_lshrrev_b32_e32 v12, 16, v6
	v_and_b32_e32 v6, 0xffff, v6
	v_lshrrev_b32_e32 v126, 16, v8
	v_and_b32_e32 v125, 0xffff, v8
	v_pk_fma_f32 v[14:15], v[14:15], v[26:27], v[22:23]
	scratch_store_b32 off, v6, off offset:36 ; 4-byte Folded Spill
	s_wait_xcnt 0x0
	v_dual_lshrrev_b32 v6, 16, v7 :: v_dual_lshrrev_b32 v7, 16, v9
	scratch_store_b32 off, v12, off offset:32 ; 4-byte Folded Spill
	s_wait_xcnt 0x0
	v_lshrrev_b32_e32 v12, 16, v17
	s_clause 0x1
	scratch_store_b32 off, v6, off offset:28
	scratch_store_b32 off, v7, off offset:44
	s_wait_xcnt 0x0
	v_and_b32_e32 v7, 0xffff, v9
	v_and_b32_e32 v6, 0xffff, v17
	scratch_store_b32 off, v7, off offset:48 ; 4-byte Folded Spill
	s_wait_xcnt 0x0
	;;#ASMSTART
	v_cvt_f32_f16 v7, v6;
	;;#ASMEND
	;;#ASMSTART
	v_cvt_f32_f16 v6, v12;
	;;#ASMEND
	scratch_load_b32 v8, off, off offset:20 th:TH_LOAD_LU ; 4-byte Folded Reload
	s_wait_loadcnt 0x0
	;;#ASMSTART
	v_cvt_f32_f16 v9, v8;
	;;#ASMEND
	scratch_load_b32 v8, off, off offset:24 th:TH_LOAD_LU ; 4-byte Folded Reload
	s_wait_loadcnt 0x0
	;;#ASMSTART
	v_cvt_f32_f16 v8, v8;
	;;#ASMEND
	v_pk_fma_f32 v[12:13], v[6:7], v[8:9], v[24:25]
	ds_load_b128 v[6:9], v101 offset:176
	s_wait_dscnt 0x0
	v_and_b32_e32 v16, 0xffff, v6
	v_lshrrev_b32_e32 v6, 16, v6
	;;#ASMSTART
	v_cvt_f32_f16 v16, v16;
	;;#ASMEND
	;;#ASMSTART
	v_cvt_f32_f16 v17, v6;
	;;#ASMEND
	scratch_load_b32 v6, off, off offset:40 th:TH_LOAD_LU ; 4-byte Folded Reload
	s_wait_loadcnt 0x0
	;;#ASMSTART
	v_cvt_f32_f16 v20, v6;
	;;#ASMEND
	scratch_load_b32 v6, off, off offset:92 th:TH_LOAD_LU ; 4-byte Folded Reload
	s_wait_loadcnt 0x0
	;;#ASMSTART
	v_cvt_f32_f16 v21, v6;
	;;#ASMEND
	v_and_b32_e32 v6, 0xffff, v7
	v_pk_fma_f32 v[16:17], v[16:17], v[20:21], v[18:19]
	v_dual_lshrrev_b32 v18, 16, v7 :: v_dual_lshrrev_b32 v20, 16, v8
	v_and_b32_e32 v19, 0xffff, v8
	;;#ASMSTART
	v_cvt_f32_f16 v7, v6;
	;;#ASMEND
	;;#ASMSTART
	v_cvt_f32_f16 v6, v18;
	;;#ASMEND
	scratch_load_b32 v8, off, off offset:68 th:TH_LOAD_LU ; 4-byte Folded Reload
	v_and_b32_e32 v22, 0xffff, v9
	v_lshrrev_b32_e32 v24, 16, v9
	s_wait_loadcnt 0x0
	;;#ASMSTART
	v_cvt_f32_f16 v9, v8;
	;;#ASMEND
	scratch_load_b32 v8, off, off offset:72 th:TH_LOAD_LU ; 4-byte Folded Reload
	s_wait_loadcnt 0x0
	;;#ASMSTART
	v_cvt_f32_f16 v8, v8;
	;;#ASMEND
	;;#ASMSTART
	v_cvt_f32_f16 v19, v19;
	;;#ASMEND
	;; [unrolled: 3-line block ×3, first 2 shown]
	scratch_load_b32 v20, off, off offset:60 th:TH_LOAD_LU ; 4-byte Folded Reload
	s_wait_loadcnt 0x0
	;;#ASMSTART
	v_cvt_f32_f16 v21, v20;
	;;#ASMEND
	scratch_load_b32 v20, off, off offset:64 th:TH_LOAD_LU ; 4-byte Folded Reload
	s_wait_loadcnt 0x0
	;;#ASMSTART
	v_cvt_f32_f16 v20, v20;
	;;#ASMEND
	;;#ASMSTART
	v_cvt_f32_f16 v23, v22;
	;;#ASMEND
	;; [unrolled: 3-line block ×3, first 2 shown]
	scratch_load_b32 v24, off, off offset:52 th:TH_LOAD_LU ; 4-byte Folded Reload
	s_wait_loadcnt 0x0
	;;#ASMSTART
	v_cvt_f32_f16 v25, v24;
	;;#ASMEND
	scratch_load_b32 v24, off, off offset:56 th:TH_LOAD_LU ; 4-byte Folded Reload
	s_wait_loadcnt 0x0
	;;#ASMSTART
	v_cvt_f32_f16 v24, v24;
	;;#ASMEND
	v_pk_fma_f32 v[14:15], v[6:7], v[8:9], v[14:15]
	ds_load_b128 v[6:9], v101 offset:192
	v_pk_fma_f32 v[18:19], v[18:19], v[20:21], v[10:11]
	v_pk_fma_f32 v[20:21], v[22:23], v[24:25], v[12:13]
	s_wait_dscnt 0x0
	v_and_b32_e32 v10, 0xffff, v6
	v_lshrrev_b32_e32 v6, 16, v6
	;;#ASMSTART
	v_cvt_f32_f16 v10, v10;
	;;#ASMEND
	;;#ASMSTART
	v_cvt_f32_f16 v11, v6;
	;;#ASMEND
	scratch_load_b32 v6, off, off offset:80 th:TH_LOAD_LU ; 4-byte Folded Reload
	s_wait_loadcnt 0x0
	;;#ASMSTART
	v_cvt_f32_f16 v12, v6;
	;;#ASMEND
	scratch_load_b32 v6, off, off offset:84 th:TH_LOAD_LU ; 4-byte Folded Reload
	v_and_b32_e32 v22, 0xffff, v7
	v_lshrrev_b32_e32 v7, 16, v7
	v_and_b32_e32 v23, 0xffff, v8
	v_lshrrev_b32_e32 v8, 16, v8
	v_and_b32_e32 v32, 0xffff, v9
	s_wait_loadcnt 0x0
	;;#ASMSTART
	v_cvt_f32_f16 v13, v6;
	;;#ASMEND
	;;#ASMSTART
	v_cvt_f32_f16 v25, v22;
	;;#ASMEND
	;; [unrolled: 3-line block ×3, first 2 shown]
	scratch_load_b32 v6, off, off offset:76 th:TH_LOAD_LU ; 4-byte Folded Reload
	v_lshrrev_b32_e32 v9, 16, v9
	s_wait_loadcnt 0x0
	;;#ASMSTART
	v_cvt_f32_f16 v27, v6;
	;;#ASMEND
	;;#ASMSTART
	v_cvt_f32_f16 v26, v73;
	;;#ASMEND
	;; [unrolled: 3-line block ×9, first 2 shown]
	scratch_load_b32 v6, off, off offset:96 th:TH_LOAD_LU ; 4-byte Folded Reload
	s_wait_loadcnt 0x0
	;;#ASMSTART
	v_cvt_f32_f16 v34, v6;
	;;#ASMEND
	ds_load_b128 v[6:9], v101 offset:208
	v_pk_fma_f32 v[22:23], v[10:11], v[12:13], v[16:17]
	v_pk_fma_f32 v[24:25], v[24:25], v[26:27], v[14:15]
	;; [unrolled: 1-line block ×4, first 2 shown]
	s_wait_dscnt 0x0
	v_and_b32_e32 v10, 0xffff, v6
	v_lshrrev_b32_e32 v6, 16, v6
	v_and_b32_e32 v11, 0xffff, v7
	v_lshrrev_b32_e32 v7, 16, v7
	;; [unrolled: 2-line block ×4, first 2 shown]
	;;#ASMSTART
	v_cvt_f32_f16 v26, v10;
	;;#ASMEND
	;;#ASMSTART
	v_cvt_f32_f16 v27, v6;
	;;#ASMEND
	;; [unrolled: 3-line block ×16, first 2 shown]
	ds_load_b128 v[10:13], v101 offset:224
	v_pk_fma_f32 v[42:43], v[26:27], v[42:43], v[22:23]
	v_pk_fma_f32 v[44:45], v[44:45], v[72:73], v[24:25]
	s_wait_dscnt 0x0
	v_and_b32_e32 v18, 0xffff, v10
	v_lshrrev_b32_e32 v10, 16, v10
	v_and_b32_e32 v19, 0xffff, v11
	v_lshrrev_b32_e32 v11, 16, v11
	;; [unrolled: 2-line block ×4, first 2 shown]
	;;#ASMSTART
	v_cvt_f32_f16 v38, v18;
	;;#ASMEND
	;;#ASMSTART
	v_cvt_f32_f16 v39, v10;
	;;#ASMEND
	;; [unrolled: 3-line block ×16, first 2 shown]
	ds_load_b128 v[58:61], v101 offset:240
	s_wait_dscnt 0x0
	v_and_b32_e32 v22, 0xffff, v58
	v_dual_lshrrev_b32 v23, 16, v58 :: v_dual_lshrrev_b32 v25, 16, v59
	v_lshrrev_b32_e32 v55, 16, v60
	v_and_b32_e32 v54, 0xffff, v60
	v_and_b32_e32 v24, 0xffff, v59
	v_lshrrev_b32_e32 v62, 16, v61
	v_and_b32_e32 v63, 0xffff, v61
	;;#ASMSTART
	v_cvt_f32_f16 v30, v22;
	;;#ASMEND
	;;#ASMSTART
	v_cvt_f32_f16 v31, v23;
	;;#ASMEND
	;; [unrolled: 3-line block ×16, first 2 shown]
	ds_load_b128 v[70:73], v101 offset:256
	v_pk_fma_f32 v[62:63], v[14:15], v[16:17], v[28:29]
	v_pk_fma_f32 v[64:65], v[6:7], v[8:9], v[46:47]
	;; [unrolled: 1-line block ×3, first 2 shown]
	s_delay_alu instid0(VALU_DEP_3) | instskip(NEXT) | instid1(VALU_DEP_3)
	v_pk_fma_f32 v[76:77], v[18:19], v[20:21], v[62:63]
	v_pk_fma_f32 v[74:75], v[10:11], v[12:13], v[64:65]
	s_wait_dscnt 0x0
	v_and_b32_e32 v6, 0xffff, v70
	v_lshrrev_b32_e32 v7, 16, v70
	v_and_b32_e32 v8, 0xffff, v71
	v_dual_lshrrev_b32 v9, 16, v71 :: v_dual_lshrrev_b32 v15, 16, v72
	v_and_b32_e32 v14, 0xffff, v72
	v_lshrrev_b32_e32 v16, 16, v73
	v_and_b32_e32 v17, 0xffff, v73
	;;#ASMSTART
	v_cvt_f32_f16 v82, v6;
	;;#ASMEND
	;;#ASMSTART
	v_cvt_f32_f16 v83, v7;
	;;#ASMEND
	;; [unrolled: 3-line block ×16, first 2 shown]
	ds_load_b128 v[70:73], v101 offset:272
	v_pk_fma_f32 v[52:53], v[32:33], v[36:37], v[44:45]
	s_wait_dscnt 0x0
	v_and_b32_e32 v32, 0xffff, v70
	v_lshrrev_b32_e32 v33, 16, v70
	v_and_b32_e32 v36, 0xffff, v71
	v_dual_lshrrev_b32 v37, 16, v71 :: v_dual_lshrrev_b32 v40, 16, v72
	v_and_b32_e32 v38, 0xffff, v72
	v_lshrrev_b32_e32 v70, 16, v73
	v_and_b32_e32 v71, 0xffff, v73
	;;#ASMSTART
	v_cvt_f32_f16 v46, v32;
	;;#ASMEND
	;;#ASMSTART
	v_cvt_f32_f16 v47, v33;
	;;#ASMEND
	;; [unrolled: 3-line block ×16, first 2 shown]
	ds_load_b128 v[70:73], v101 offset:288
	s_wait_dscnt 0x0
	v_dual_lshrrev_b32 v1, 16, v70 :: v_dual_lshrrev_b32 v10, 16, v72
	v_lshrrev_b32_e32 v12, 16, v73
	v_and_b32_e32 v11, 0xffff, v73
	v_and_b32_e32 v0, 0xffff, v70
	v_and_b32_e32 v2, 0xffff, v71
	v_lshrrev_b32_e32 v4, 16, v71
	v_and_b32_e32 v5, 0xffff, v72
	;;#ASMSTART
	v_cvt_f32_f16 v70, v0;
	;;#ASMEND
	;;#ASMSTART
	v_cvt_f32_f16 v71, v1;
	;;#ASMEND
	;; [unrolled: 3-line block ×16, first 2 shown]
	ds_load_b128 v[106:109], v101 offset:304
	v_pk_fma_f32 v[86:87], v[30:31], v[34:35], v[48:49]
	v_pk_fma_f32 v[88:89], v[22:23], v[26:27], v[52:53]
	s_delay_alu instid0(VALU_DEP_1)
	v_pk_fma_f32 v[112:113], v[6:7], v[8:9], v[88:89]
	s_wait_dscnt 0x0
	v_and_b32_e32 v0, 0xffff, v106
	v_dual_lshrrev_b32 v1, 16, v106 :: v_dual_lshrrev_b32 v2, 16, v107
	v_lshrrev_b32_e32 v5, 16, v108
	v_and_b32_e32 v22, 0xffff, v108
	v_lshrrev_b32_e32 v30, 16, v109
	v_and_b32_e32 v31, 0xffff, v109
	v_and_b32_e32 v4, 0xffff, v107
	;;#ASMSTART
	v_cvt_f32_f16 v66, v0;
	;;#ASMEND
	;;#ASMSTART
	v_cvt_f32_f16 v67, v1;
	;;#ASMEND
	;; [unrolled: 3-line block ×16, first 2 shown]
	ds_load_b128 v[0:3], v101 offset:320
	v_pk_fma_f32 v[108:109], v[58:59], v[60:61], v[76:77]
	v_pk_fma_f32 v[106:107], v[54:55], v[56:57], v[74:75]
	s_delay_alu instid0(VALU_DEP_1)
	v_pk_fma_f32 v[14:15], v[14:15], v[16:17], v[106:107]
	s_wait_dscnt 0x0
	v_lshrrev_b32_e32 v4, 16, v0
	v_and_b32_e32 v0, 0xffff, v0
	v_dual_lshrrev_b32 v5, 16, v1 :: v_dual_lshrrev_b32 v54, 16, v2
	v_and_b32_e32 v1, 0xffff, v1
	v_and_b32_e32 v2, 0xffff, v2
	v_lshrrev_b32_e32 v58, 16, v3
	v_and_b32_e32 v3, 0xffff, v3
	;;#ASMSTART
	v_cvt_f32_f16 v74, v0;
	;;#ASMEND
	;;#ASMSTART
	v_cvt_f32_f16 v75, v4;
	;;#ASMEND
	;; [unrolled: 3-line block ×16, first 2 shown]
	ds_load_b128 v[0:3], v101 offset:336
	v_pk_fma_f32 v[110:111], v[82:83], v[84:85], v[86:87]
	s_delay_alu instid0(VALU_DEP_1)
	v_pk_fma_f32 v[16:17], v[46:47], v[50:51], v[110:111]
	s_wait_dscnt 0x0
	v_lshrrev_b32_e32 v4, 16, v0
	v_and_b32_e32 v0, 0xffff, v0
	v_dual_lshrrev_b32 v5, 16, v1 :: v_dual_lshrrev_b32 v6, 16, v2
	v_and_b32_e32 v1, 0xffff, v1
	v_and_b32_e32 v2, 0xffff, v2
	v_lshrrev_b32_e32 v7, 16, v3
	v_and_b32_e32 v3, 0xffff, v3
	;;#ASMSTART
	v_cvt_f32_f16 v92, v0;
	;;#ASMEND
	;;#ASMSTART
	v_cvt_f32_f16 v93, v4;
	;;#ASMEND
	;; [unrolled: 3-line block ×16, first 2 shown]
	s_clause 0x1
	scratch_load_b32 v0, off, off offset:104
	scratch_load_b128 v[116:119], off, off offset:4 th:TH_LOAD_LU
	ds_load_b128 v[6:9], v101 offset:352
	v_pk_fma_f32 v[2:3], v[24:25], v[28:29], v[108:109]
	v_pk_fma_f32 v[24:25], v[42:43], v[44:45], v[112:113]
	;; [unrolled: 1-line block ×4, first 2 shown]
	s_delay_alu instid0(VALU_DEP_4) | instskip(NEXT) | instid1(VALU_DEP_4)
	v_pk_fma_f32 v[40:41], v[38:39], v[40:41], v[2:3]
	v_pk_fma_f32 v[46:47], v[62:63], v[64:65], v[24:25]
	s_delay_alu instid0(VALU_DEP_4) | instskip(NEXT) | instid1(VALU_DEP_4)
	v_pk_fma_f32 v[10:11], v[10:11], v[12:13], v[42:43]
	v_pk_fma_f32 v[12:13], v[66:67], v[68:69], v[44:45]
	;; [unrolled: 3-line block ×6, first 2 shown]
	s_wait_dscnt 0x0
	v_lshrrev_b32_e32 v2, 16, v6
	v_and_b32_e32 v3, 0xffff, v6
	;;#ASMSTART
	v_cvt_f32_f16 v28, v3;
	;;#ASMEND
	;;#ASMSTART
	v_cvt_f32_f16 v29, v2;
	;;#ASMEND
	scratch_load_b32 v2, off, off offset:36 th:TH_LOAD_LU ; 4-byte Folded Reload
	s_wait_loadcnt 0x0
	;;#ASMSTART
	v_cvt_f32_f16 v32, v2;
	;;#ASMEND
	scratch_load_b32 v2, off, off offset:32 th:TH_LOAD_LU ; 4-byte Folded Reload
	v_dual_lshrrev_b32 v6, 16, v7 :: v_dual_lshrrev_b32 v14, 16, v8
	v_and_b32_e32 v7, 0xffff, v7
	s_wait_loadcnt 0x0
	;;#ASMSTART
	v_cvt_f32_f16 v33, v2;
	;;#ASMEND
	;;#ASMSTART
	v_cvt_f32_f16 v37, v7;
	;;#ASMEND
	;;#ASMSTART
	v_cvt_f32_f16 v36, v6;
	;;#ASMEND
	;;#ASMSTART
	v_cvt_f32_f16 v39, v123;
	;;#ASMEND
	scratch_load_b32 v2, off, off offset:28 th:TH_LOAD_LU ; 4-byte Folded Reload
	v_and_b32_e32 v8, 0xffff, v8
	s_wait_loadcnt 0x0
	;;#ASMSTART
	v_cvt_f32_f16 v38, v2;
	;;#ASMEND
	;;#ASMSTART
	v_cvt_f32_f16 v17, v8;
	;;#ASMEND
	;; [unrolled: 3-line block ×5, first 2 shown]
	v_pk_fma_f32 v[20:21], v[90:91], v[94:95], v[20:21]
	v_pk_fma_f32 v[12:13], v[28:29], v[32:33], v[12:13]
	;; [unrolled: 1-line block ×4, first 2 shown]
	s_delay_alu instid0(VALU_DEP_4) | instskip(NEXT) | instid1(VALU_DEP_3)
	v_pk_fma_f32 v[20:21], v[36:37], v[38:39], v[20:21]
	v_pk_fma_f32 v[18:19], v[84:85], v[88:89], v[18:19]
	v_add_nc_u32_e32 v0, v0, v100
	v_and_b32_e32 v4, 0xffff, v116
	v_lshrrev_b32_e32 v1, 16, v117
	s_delay_alu instid0(VALU_DEP_3)
	v_cvt_f32_i32_e32 v114, v0
	v_dual_mov_b32 v115, v117 :: v_dual_lshrrev_b32 v0, 16, v116
	v_dual_mov_b32 v116, v118 :: v_dual_mov_b32 v117, v119
	v_lshrrev_b32_e32 v15, 16, v9
	v_and_b32_e32 v9, 0xffff, v9
	;;#ASMSTART
	v_cvt_f32_f16 v3, v9;
	;;#ASMEND
	s_delay_alu instid0(VALU_DEP_3)
	v_lshrrev_b32_e32 v40, 16, v116
	;;#ASMSTART
	v_cvt_f32_f16 v2, v15;
	;;#ASMEND
	scratch_load_b32 v6, off, off offset:48 th:TH_LOAD_LU ; 4-byte Folded Reload
	s_wait_loadcnt 0x0
	;;#ASMSTART
	v_cvt_f32_f16 v15, v6;
	;;#ASMEND
	scratch_load_b32 v6, off, off offset:44 th:TH_LOAD_LU ; 4-byte Folded Reload
	s_wait_loadcnt 0x0
	;;#ASMSTART
	v_cvt_f32_f16 v14, v6;
	;;#ASMEND
	ds_load_b128 v[6:9], v101 offset:368
	v_lshrrev_b32_e32 v31, 16, v117
	v_and_b32_e32 v5, 0xffff, v115
	v_and_b32_e32 v30, 0xffff, v116
	s_wait_dscnt 0x0
	v_and_b32_e32 v22, 0xffff, v6
	v_dual_lshrrev_b32 v23, 16, v6 :: v_dual_lshrrev_b32 v26, 16, v7
	v_and_b32_e32 v27, 0xffff, v7
	;;#ASMSTART
	v_cvt_f32_f16 v6, v22;
	;;#ASMEND
	;;#ASMSTART
	v_cvt_f32_f16 v7, v23;
	;;#ASMEND
	;; [unrolled: 3-line block ×4, first 2 shown]
	v_pk_fma_f32 v[6:7], v[6:7], v[22:23], v[12:13]
	;;#ASMSTART
	v_cvt_f32_f16 v27, v27;
	;;#ASMEND
	v_and_b32_e32 v28, 0xffff, v8
	s_delay_alu instid0(VALU_DEP_2)
	v_add_f32_e32 v6, v6, v7
	;;#ASMSTART
	v_cvt_f32_f16 v26, v26;
	;;#ASMEND
	;;#ASMSTART
	v_cvt_f32_f16 v5, v5;
	;;#ASMEND
	;; [unrolled: 3-line block ×3, first 2 shown]
	v_pk_fma_f32 v[0:1], v[26:27], v[4:5], v[20:21]
	v_lshrrev_b32_e32 v8, 16, v8
	v_pk_fma_f32 v[4:5], v[16:17], v[24:25], v[18:19]
	;;#ASMSTART
	v_cvt_f32_f16 v7, v28;
	;;#ASMEND
	v_and_b32_e32 v16, 0xffff, v9
	v_add_f32_e32 v1, v6, v1
	;;#ASMSTART
	v_cvt_f32_f16 v6, v8;
	;;#ASMEND
	;;#ASMSTART
	v_cvt_f32_f16 v13, v30;
	;;#ASMEND
	;; [unrolled: 3-line block ×3, first 2 shown]
	v_pk_fma_f32 v[4:5], v[6:7], v[12:13], v[4:5]
	v_add_f32_e32 v6, v0, v1
	v_pk_fma_f32 v[0:1], v[2:3], v[14:15], v[10:11]
	v_lshrrev_b32_e32 v7, 16, v9
	;;#ASMSTART
	v_cvt_f32_f16 v3, v16;
	;;#ASMEND
	;;#ASMSTART
	v_cvt_f32_f16 v2, v7;
	;;#ASMEND
	v_add_f32_e32 v5, v6, v5
	v_and_b32_e32 v8, 0xffff, v117
	;;#ASMSTART
	v_cvt_f32_f16 v7, v8;
	;;#ASMEND
	;;#ASMSTART
	v_cvt_f32_f16 v6, v31;
	;;#ASMEND
	v_pk_fma_f32 v[0:1], v[2:3], v[6:7], v[0:1]
	v_dual_add_f32 v2, v4, v5 :: v_dual_mul_f32 v3, s34, v114
	scratch_load_b32 v6, off, off th:TH_LOAD_LU ; 4-byte Folded Reload
	v_dual_add_f32 v1, v2, v1 :: v_dual_cndmask_b32 v2, 0, v3
	s_delay_alu instid0(VALU_DEP_1) | instskip(NEXT) | instid1(VALU_DEP_1)
	v_add_f32_e32 v0, v0, v1
	v_fmac_f32_e32 v2, s21, v0
	scratch_load_b32 v0, off, off offset:100 ; 4-byte Folded Reload
	s_wait_loadcnt 0x1
	v_max_num_f32_e32 v1, v6, v6
	s_wait_loadcnt 0x0
	s_delay_alu instid0(VALU_DEP_1) | instskip(NEXT) | instid1(VALU_DEP_1)
	v_dual_max_num_f32 v1, v1, v2 :: v_dual_add_nc_u32 v0, v0, v100
	v_cmp_gt_i32_e64 s3, s29, v0
	s_delay_alu instid0(VALU_DEP_1)
	v_dual_cndmask_b32 v0, 0, v2, s3 :: v_dual_cndmask_b32 v6, v6, v1, s3
	ds_store_b32 v99, v0
	s_branch .LBB97_10
.LBB97_15:
	s_or_b32 exec_lo, exec_lo, s36
	s_clause 0x4
	scratch_load_b32 v102, off, off offset:116
	scratch_load_b32 v103, off, off offset:120
	;; [unrolled: 1-line block ×5, first 2 shown]
.LBB97_16:
	s_wait_xcnt 0x0
	s_or_b32 exec_lo, exec_lo, s20
	v_mbcnt_lo_u32_b32 v0, -1, 0
	s_clause 0x1
	s_load_b64 s[20:21], s[0:1], 0x0
	s_load_b64 s[22:23], s[0:1], 0x18
	s_delay_alu instid0(VALU_DEP_1) | instskip(SKIP_1) | instid1(VALU_DEP_2)
	v_dual_max_num_f32 v4, v6, v6 :: v_dual_bitop2_b32 v1, 16, v0 bitop3:0x14
	v_xor_b32_e32 v3, 8, v0
	v_cmp_gt_i32_e32 vcc_lo, 32, v1
	v_cndmask_b32_e32 v1, v0, v1, vcc_lo
	s_delay_alu instid0(VALU_DEP_3) | instskip(NEXT) | instid1(VALU_DEP_2)
	v_cmp_gt_i32_e32 vcc_lo, 32, v3
	v_dual_lshlrev_b32 v1, 2, v1 :: v_dual_cndmask_b32 v3, v0, v3, vcc_lo
	ds_bpermute_b32 v2, v1, v6
	s_wait_dscnt 0x0
	v_dual_max_num_f32 v5, v2, v2 :: v_dual_lshlrev_b32 v2, 2, v3
	s_delay_alu instid0(VALU_DEP_1) | instskip(SKIP_4) | instid1(VALU_DEP_1)
	v_dual_max_num_f32 v4, v4, v5 :: v_dual_bitop2_b32 v5, 4, v0 bitop3:0x14
	ds_bpermute_b32 v3, v2, v4
	v_cmp_gt_i32_e32 vcc_lo, 32, v5
	s_wait_dscnt 0x0
	v_dual_cndmask_b32 v5, v0, v5 :: v_dual_max_num_f32 v6, v3, v3
	v_dual_max_num_f32 v4, v4, v6 :: v_dual_lshlrev_b32 v3, 2, v5
	ds_bpermute_b32 v5, v3, v4
	s_wait_dscnt 0x0
	v_dual_max_num_f32 v5, v5, v5 :: v_dual_bitop2_b32 v6, 2, v0 bitop3:0x14
	s_delay_alu instid0(VALU_DEP_1) | instskip(NEXT) | instid1(VALU_DEP_2)
	v_cmp_gt_i32_e32 vcc_lo, 32, v6
	v_max_num_f32_e32 v4, v4, v5
	v_cndmask_b32_e32 v6, v0, v6, vcc_lo
	s_delay_alu instid0(VALU_DEP_1) | instskip(SKIP_3) | instid1(VALU_DEP_1)
	v_lshlrev_b32_e32 v38, 2, v6
	ds_bpermute_b32 v5, v38, v4
	s_wait_dscnt 0x0
	v_dual_max_num_f32 v5, v5, v5 :: v_dual_bitop2_b32 v6, 1, v0 bitop3:0x14
	v_max_num_f32_e32 v5, v4, v5
	s_delay_alu instid0(VALU_DEP_2) | instskip(SKIP_2) | instid1(VALU_DEP_1)
	v_cmp_gt_i32_e32 vcc_lo, 32, v6
	s_wait_loadcnt 0x3
	v_dual_lshlrev_b32 v4, 2, v103 :: v_dual_cndmask_b32 v0, v0, v6, vcc_lo
	v_lshlrev_b32_e32 v37, 2, v0
	scratch_load_b32 v0, off, off offset:100 ; 4-byte Folded Reload
	ds_bpermute_b32 v6, v37, v5
	s_wait_loadcnt 0x0
	v_cmp_eq_u32_e32 vcc_lo, 0, v0
	s_wait_xcnt 0x0
	s_and_saveexec_b32 s0, vcc_lo
	s_cbranch_execz .LBB97_18
; %bb.17:
	s_wait_dscnt 0x0
	v_dual_max_num_f32 v0, v6, v6 :: v_dual_max_num_f32 v5, v5, v5
	s_delay_alu instid0(VALU_DEP_1)
	v_max_num_f32_e32 v0, v5, v0
	ds_store_b32 v4, v0 offset:384
.LBB97_18:
	s_or_b32 exec_lo, exec_lo, s0
	scratch_load_b32 v0, off, off offset:100 ; 4-byte Folded Reload
	v_mov_b32_e32 v5, 0xff7fffff
	s_wait_storecnt 0x0
	s_wait_loadcnt_dscnt 0x0
	s_barrier_signal -1
	s_barrier_wait -1
	v_cmp_gt_u32_e64 s0, 4, v0
	s_and_saveexec_b32 s1, s0
; %bb.19:
	ds_load_b32 v5, v9 offset:384
; %bb.20:
	s_or_b32 exec_lo, exec_lo, s1
	s_wait_dscnt 0x0
	ds_bpermute_b32 v0, v38, v5
	v_max_num_f32_e32 v5, v5, v5
	s_lshl_b32 s1, s31, 5
	s_delay_alu instid0(SALU_CYCLE_1) | instskip(NEXT) | instid1(SALU_CYCLE_1)
	s_min_i32 s4, s1, s29
	v_cmp_gt_i32_e64 s1, s4, v102
	s_wait_dscnt 0x0
	v_max_num_f32_e32 v0, v0, v0
	s_delay_alu instid0(VALU_DEP_1) | instskip(SKIP_3) | instid1(VALU_DEP_1)
	v_max_num_f32_e32 v0, v5, v0
	ds_bpermute_b32 v5, v37, v0
	s_wait_dscnt 0x0
	v_max_num_f32_e32 v5, v5, v5
	v_dual_max_num_f32 v0, v0, v5 :: v_dual_mov_b32 v5, 0
	ds_bpermute_b32 v6, v5, v0
	s_and_saveexec_b32 s11, s1
	s_cbranch_execz .LBB97_24
; %bb.21:
	v_lshl_add_u32 v7, v102, 2, 0x1a0
	v_dual_mov_b32 v5, 0 :: v_dual_mov_b32 v8, v102
	s_mov_b32 s24, 0
.LBB97_22:                              ; =>This Inner Loop Header: Depth=1
	ds_load_b32 v0, v7
	v_add_nc_u32_e32 v8, 0x80, v8
	s_delay_alu instid0(VALU_DEP_1) | instskip(SKIP_3) | instid1(VALU_DEP_1)
	v_cmp_le_i32_e64 s3, s4, v8
	s_or_b32 s24, s3, s24
	s_wait_dscnt 0x0
	v_sub_f32_e32 v0, v0, v6
	v_mul_f32_e32 v0, 0x3fb8aa3b, v0
	s_delay_alu instid0(VALU_DEP_1)
	v_exp_f32_e32 v0, v0
	ds_store_b32 v7, v0
	v_nop
	v_add_f32_e32 v5, v5, v0
	v_add_nc_u32_e32 v7, 0x200, v7
	s_and_not1_b32 exec_lo, exec_lo, s24
	s_cbranch_execnz .LBB97_22
; %bb.23:
	s_or_b32 exec_lo, exec_lo, s24
.LBB97_24:
	s_delay_alu instid0(SALU_CYCLE_1)
	s_or_b32 exec_lo, exec_lo, s11
	ds_bpermute_b32 v0, v1, v5
	s_wait_dscnt 0x0
	v_add_f32_e32 v0, v5, v0
	ds_bpermute_b32 v1, v2, v0
	s_wait_dscnt 0x0
	v_add_f32_e32 v0, v0, v1
	;; [unrolled: 3-line block ×5, first 2 shown]
	s_and_saveexec_b32 s3, vcc_lo
; %bb.25:
	ds_store_b32 v4, v1 offset:400
; %bb.26:
	s_or_b32 exec_lo, exec_lo, s3
	s_wait_dscnt 0x0
	s_barrier_signal -1
	s_barrier_wait -1
	s_and_saveexec_b32 s3, s0
; %bb.27:
	ds_load_b32 v1, v9 offset:400
; %bb.28:
	s_or_b32 exec_lo, exec_lo, s3
	s_wait_dscnt 0x0
	ds_bpermute_b32 v0, v38, v1
	s_wait_dscnt 0x0
	v_dual_mov_b32 v7, 0 :: v_dual_add_f32 v0, v1, v0
	ds_bpermute_b32 v1, v37, v0
	s_wait_dscnt 0x0
	v_add_f32_e32 v0, v0, v1
	ds_bpermute_b32 v1, v7, v0
	s_and_saveexec_b32 s0, s1
	s_cbranch_execz .LBB97_41
; %bb.29:
	s_wait_dscnt 0x0
	v_add_f32_e32 v0, 0x358637bd, v1
	s_mov_b32 s3, -1
	s_mov_b32 s1, exec_lo
	s_delay_alu instid0(VALU_DEP_1) | instskip(SKIP_1) | instid1(VALU_DEP_2)
	v_div_scale_f32 v1, null, v0, v0, 1.0
	v_div_scale_f32 v4, vcc_lo, 1.0, v0, 1.0
	v_rcp_f32_e32 v2, v1
	v_nop
	s_delay_alu instid0(TRANS32_DEP_1) | instskip(NEXT) | instid1(VALU_DEP_1)
	v_fma_f32 v3, -v1, v2, 1.0
	v_fmac_f32_e32 v2, v3, v2
	s_delay_alu instid0(VALU_DEP_1) | instskip(NEXT) | instid1(VALU_DEP_1)
	v_mul_f32_e32 v5, v4, v2
	v_fma_f32 v3, -v1, v5, v4
	s_delay_alu instid0(VALU_DEP_1) | instskip(SKIP_1) | instid1(VALU_DEP_2)
	v_fmac_f32_e32 v5, v3, v2
	v_xad_u32 v3, v102, -1, s4
	v_fma_f32 v1, -v1, v5, v4
	s_delay_alu instid0(VALU_DEP_1) | instskip(NEXT) | instid1(VALU_DEP_1)
	v_div_fmas_f32 v1, v1, v2, v5
	v_div_fixup_f32 v2, v1, v0, 1.0
	v_mov_b32_e32 v1, v102
	v_cmpx_lt_u32_e32 0x7f, v3
	s_cbranch_execz .LBB97_38
; %bb.30:
	v_lshrrev_b32_e32 v1, 7, v3
	s_mov_b32 s3, exec_lo
	v_dual_mov_b32 v3, v2 :: v_dual_mov_b32 v8, 0
	s_delay_alu instid0(VALU_DEP_2) | instskip(NEXT) | instid1(VALU_DEP_1)
	v_add_nc_u32_e32 v0, -1, v1
	v_lshrrev_b32_e32 v4, 1, v0
	s_delay_alu instid0(VALU_DEP_1)
	v_add_nc_u32_e32 v4, 1, v4
	v_cmpx_lt_u32_e32 13, v0
	s_cbranch_execz .LBB97_34
; %bb.31:
	s_delay_alu instid0(VALU_DEP_2)
	v_and_b32_e32 v5, -8, v4
	v_lshl_add_u32 v6, v102, 2, 0x1a0
	s_mov_b32 s11, 0
	s_mov_b32 s24, 0
.LBB97_32:                              ; =>This Inner Loop Header: Depth=1
	ds_load_2addr_stride64_b32 v[8:9], v6 offset1:2
	ds_load_2addr_stride64_b32 v[10:11], v6 offset0:4 offset1:6
	ds_load_2addr_stride64_b32 v[12:13], v6 offset0:8 offset1:10
	;; [unrolled: 1-line block ×7, first 2 shown]
	s_add_co_i32 s24, s24, 16
	v_add_nc_u32_e32 v5, -8, v5
	s_wait_dscnt 0x7
	v_pk_mul_f32 v[8:9], v[2:3], v[8:9]
	s_wait_dscnt 0x6
	v_pk_mul_f32 v[10:11], v[2:3], v[10:11]
	;; [unrolled: 2-line block ×8, first 2 shown]
	ds_store_2addr_stride64_b32 v6, v8, v9 offset1:2
	ds_store_2addr_stride64_b32 v6, v10, v11 offset0:4 offset1:6
	ds_store_2addr_stride64_b32 v6, v12, v13 offset0:8 offset1:10
	ds_store_2addr_stride64_b32 v6, v14, v15 offset0:12 offset1:14
	ds_store_2addr_stride64_b32 v6, v16, v17 offset0:16 offset1:18
	ds_store_2addr_stride64_b32 v6, v18, v19 offset0:20 offset1:22
	ds_store_2addr_stride64_b32 v6, v20, v21 offset0:24 offset1:26
	ds_store_2addr_stride64_b32 v6, v22, v23 offset0:28 offset1:30
	v_mov_b32_e32 v8, s24
	v_cmp_eq_u32_e32 vcc_lo, 0, v5
	v_add_nc_u32_e32 v6, 0x2000, v6
	s_or_b32 s11, vcc_lo, s11
	s_delay_alu instid0(SALU_CYCLE_1)
	s_and_not1_b32 exec_lo, exec_lo, s11
	s_cbranch_execnz .LBB97_32
; %bb.33:
	s_or_b32 exec_lo, exec_lo, s11
.LBB97_34:
	s_delay_alu instid0(SALU_CYCLE_1) | instskip(NEXT) | instid1(VALU_DEP_2)
	s_or_b32 exec_lo, exec_lo, s3
	v_and_b32_e32 v4, 7, v4
	s_mov_b32 s11, 0
	s_mov_b32 s3, exec_lo
	s_delay_alu instid0(VALU_DEP_1)
	v_cmpx_ne_u32_e32 0, v4
	s_cbranch_execz .LBB97_37
; %bb.35:
	v_dual_lshlrev_b32 v0, 9, v8 :: v_dual_lshlrev_b32 v5, 2, v102
	s_delay_alu instid0(VALU_DEP_1)
	v_add3_u32 v5, v0, v5, 0x1a0
.LBB97_36:                              ; =>This Inner Loop Header: Depth=1
	ds_load_2addr_stride64_b32 v[8:9], v5 offset1:2
	v_add_nc_u32_e32 v4, -1, v4
	s_delay_alu instid0(VALU_DEP_1)
	v_cmp_eq_u32_e32 vcc_lo, 0, v4
	s_or_b32 s11, vcc_lo, s11
	s_wait_dscnt 0x0
	v_pk_mul_f32 v[8:9], v[2:3], v[8:9]
	ds_store_2addr_stride64_b32 v5, v8, v9 offset1:2
	v_add_nc_u32_e32 v5, 0x400, v5
	s_and_not1_b32 exec_lo, exec_lo, s11
	s_cbranch_execnz .LBB97_36
.LBB97_37:
	s_or_b32 exec_lo, exec_lo, s3
	v_add_nc_u32_e32 v0, 1, v1
	s_delay_alu instid0(VALU_DEP_1) | instskip(NEXT) | instid1(VALU_DEP_1)
	v_and_b32_e32 v1, 0x3fffffe, v0
	v_cmp_ne_u32_e32 vcc_lo, v0, v1
	v_lshl_add_u32 v1, v1, 7, v102
	s_or_not1_b32 s3, vcc_lo, exec_lo
.LBB97_38:
	s_or_b32 exec_lo, exec_lo, s1
	s_delay_alu instid0(SALU_CYCLE_1)
	s_and_b32 exec_lo, exec_lo, s3
	s_cbranch_execz .LBB97_41
; %bb.39:
	v_lshl_add_u32 v3, v1, 2, 0x1a0
	s_mov_b32 s1, 0
.LBB97_40:                              ; =>This Inner Loop Header: Depth=1
	ds_load_b32 v0, v3
	s_wait_dscnt 0x0
	v_dual_mul_f32 v0, v2, v0 :: v_dual_add_nc_u32 v1, 0x80, v1
	s_delay_alu instid0(VALU_DEP_1) | instskip(SKIP_3) | instid1(SALU_CYCLE_1)
	v_cmp_le_i32_e32 vcc_lo, s4, v1
	ds_store_b32 v3, v0
	v_add_nc_u32_e32 v3, 0x200, v3
	s_or_b32 s1, vcc_lo, s1
	s_and_not1_b32 exec_lo, exec_lo, s1
	s_cbranch_execnz .LBB97_40
.LBB97_41:
	s_or_b32 exec_lo, exec_lo, s0
	v_dual_mov_b32 v6, 0 :: v_dual_bitop2_b32 v39, 3, v102 bitop3:0x40
	v_dual_mov_b32 v9, 0 :: v_dual_mov_b32 v8, 0
	v_dual_mov_b32 v11, 0 :: v_dual_mov_b32 v10, 0
	;; [unrolled: 1-line block ×11, first 2 shown]
	s_wait_dscnt 0x0
	s_barrier_signal -1
	s_barrier_wait -1
	s_and_saveexec_b32 s1, s2
	s_cbranch_execz .LBB97_95
; %bb.42:
	s_abs_i32 s6, s6
	v_dual_lshlrev_b32 v3, 3, v102 :: v_dual_mov_b32 v99, 0
	s_cvt_f32_u32 s0, s6
	v_lshlrev_b32_e32 v4, 5, v39
	s_ashr_i32 s11, s10, 31
	v_and_b32_e32 v0, 0x1f0, v30
	v_rcp_iflag_f32_e32 v1, s0
	v_and_b32_e32 v2, 0x7c, v31
	v_dual_mov_b32 v3, v99 :: v_dual_bitop2_b32 v40, 24, v3 bitop3:0x40
	s_lshl_b64 s[18:19], s[18:19], 2
	s_lshl_b64 s[10:11], s[10:11], 1
	s_add_nc_u64 s[16:17], s[16:17], s[18:19]
	s_delay_alu instid0(TRANS32_DEP_1)
	v_readfirstlane_b32 s0, v1
	v_mov_b32_e32 v1, v99
	v_lshl_or_b32 v4, v103, 7, v4
	s_wait_kmcnt 0x0
	s_add_nc_u64 s[10:11], s[22:23], s[10:11]
	s_sub_co_i32 s4, 0, s6
	s_mul_f32 s0, s0, 0x4f7ffffe
	v_add_nc_u64_e32 v[30:31], s[10:11], v[0:1]
	v_add_nc_u64_e32 v[32:33], s[16:17], v[2:3]
	v_dual_mov_b32 v42, v103 :: v_dual_add_nc_u32 v41, 0x1a0, v4
	s_cvt_u32_f32 s0, s0
	v_dual_mov_b32 v28, v99 :: v_dual_mov_b32 v29, v99
	v_dual_mov_b32 v26, v99 :: v_dual_mov_b32 v27, v99
	s_delay_alu instid0(SALU_CYCLE_1)
	s_mul_i32 s4, s4, s0
	v_dual_mov_b32 v24, v99 :: v_dual_mov_b32 v25, v99
	v_dual_mov_b32 v22, v99 :: v_dual_mov_b32 v23, v99
	;; [unrolled: 1-line block ×10, first 2 shown]
	s_sub_co_i32 s24, s33, s5
	s_mov_b32 s5, 0
	s_mul_hi_u32 s4, s0, s4
	s_ashr_i32 s3, s9, 31
	s_mov_b32 s2, s9
	s_add_co_i32 s9, s31, -1
	s_mov_b32 s10, s29
	s_add_co_i32 s4, s0, s4
	s_mov_b32 s11, s5
	s_branch .LBB97_45
.LBB97_43:                              ;   in Loop: Header=BB97_45 Depth=1
	s_or_b32 exec_lo, exec_lo, s0
	v_dual_add_f32 v36, v36, v51 :: v_dual_add_f32 v43, v97, v100
	v_dual_add_f32 v44, v95, v96 :: v_dual_add_f32 v45, v93, v94
	v_dual_lshlrev_b32 v1, 16, v1 :: v_dual_lshlrev_b32 v35, 16, v35
	s_delay_alu instid0(VALU_DEP_3) | instskip(SKIP_4) | instid1(VALU_DEP_4)
	v_dual_add_f32 v6, v6, v36 :: v_dual_add_f32 v9, v9, v43
	v_dual_add_f32 v36, v91, v92 :: v_dual_add_f32 v43, v89, v90
	v_add_f32_e32 v46, v87, v88
	v_dual_add_f32 v8, v8, v44 :: v_dual_add_f32 v11, v11, v45
	v_dual_add_f32 v44, v81, v82 :: v_dual_add_f32 v45, v79, v80
	;; [unrolled: 1-line block ×3, first 2 shown]
	s_delay_alu instid0(VALU_DEP_4) | instskip(SKIP_4) | instid1(VALU_DEP_4)
	v_add_f32_e32 v12, v12, v46
	v_dual_add_f32 v36, v85, v86 :: v_dual_add_f32 v43, v83, v84
	v_add_f32_e32 v0, v0, v78
	v_lshlrev_b32_e32 v34, 16, v34
	v_and_or_b32 v1, 0xffff, v3, v1
	v_dual_add_f32 v15, v15, v36 :: v_dual_add_f32 v16, v16, v45
	s_delay_alu instid0(VALU_DEP_4) | instskip(SKIP_3) | instid1(VALU_DEP_4)
	v_dual_add_f32 v19, v19, v0 :: v_dual_add_f32 v0, v76, v77
	v_dual_add_f32 v36, v74, v75 :: v_dual_add_f32 v45, v68, v69
	v_and_or_b32 v2, 0xffff, v2, v34
	v_dual_add_f32 v14, v14, v43 :: v_dual_add_f32 v17, v17, v44
	v_add_f32_e32 v18, v18, v0
	v_dual_add_f32 v0, v66, v67 :: v_dual_add_f32 v43, v72, v73
	v_dual_add_f32 v44, v70, v71 :: v_dual_add_f32 v21, v21, v36
	s_delay_alu instid0(VALU_DEP_2)
	v_dual_add_f32 v36, v64, v65 :: v_dual_add_f32 v25, v25, v0
	v_and_or_b32 v3, 0xffff, v4, v35
	;;#ASMSTART
	v_pk_mul_f16 v2, v53, v2;

	;;#ASMEND
	;;#ASMSTART
	v_pk_mul_f16 v1, v52, v1;

	;;#ASMEND
	;; [unrolled: 4-line block ×4, first 2 shown]
	;;#ASMSTART
	v_pk_add_f16 v1, v2, v1;

	;;#ASMEND
	;;#ASMSTART
	v_pk_add_f16 v1, v1, v3;

	;;#ASMEND
	;; [unrolled: 4-line block ×3, first 2 shown]
	v_and_b32_e32 v4, 0xffff, v1
	v_dual_add_f32 v2, v58, v59 :: v_dual_lshrrev_b32 v5, 16, v1
	;;#ASMSTART
	v_cvt_f32_f16 v4, v4;
	;;#ASMEND
	v_dual_add_f32 v24, v24, v36 :: v_dual_add_f32 v0, v62, v63
	v_add_f32_e32 v1, v60, v61
	s_delay_alu instid0(VALU_DEP_3)
	v_dual_add_f32 v3, v56, v57 :: v_dual_add_f32 v29, v29, v2
	;;#ASMSTART
	v_cvt_f32_f16 v5, v5;
	;;#ASMEND
	v_add_f32_e32 v4, v4, v5
	v_dual_add_f32 v20, v20, v43 :: v_dual_add_f32 v23, v23, v44
	v_dual_add_f32 v22, v22, v45 :: v_dual_add_f32 v27, v27, v0
	;; [unrolled: 1-line block ×3, first 2 shown]
	s_delay_alu instid0(VALU_DEP_4)
	v_add_f32_e32 v7, v7, v4
.LBB97_44:                              ;   in Loop: Header=BB97_45 Depth=1
	s_or_b32 exec_lo, exec_lo, s16
	v_add_nc_u32_e32 v42, 4, v42
	v_add_nc_u64_e32 v[32:33], 16, v[32:33]
	v_add_nc_u32_e32 v98, 0x80, v98
	v_add_nc_u32_e32 v41, 0x200, v41
	s_delay_alu instid0(VALU_DEP_4) | instskip(SKIP_1) | instid1(SALU_CYCLE_1)
	v_cmp_le_i32_e32 vcc_lo, s31, v42
	s_or_b32 s11, vcc_lo, s11
	s_and_not1_b32 exec_lo, exec_lo, s11
	s_cbranch_execz .LBB97_94
.LBB97_45:                              ; =>This Inner Loop Header: Depth=1
	v_mul_u64_e32 v[0:1], s[14:15], v[98:99]
	s_delay_alu instid0(VALU_DEP_1) | instskip(NEXT) | instid1(VALU_DEP_1)
	v_mul_lo_u32 v0, v1, s8
	v_dual_add_nc_u32 v2, 1, v1 :: v_dual_sub_nc_u32 v0, v98, v0
	s_delay_alu instid0(VALU_DEP_1) | instskip(SKIP_1) | instid1(VALU_DEP_2)
	v_subrev_nc_u32_e32 v3, s8, v0
	v_cmp_le_u32_e32 vcc_lo, s8, v0
	v_dual_cndmask_b32 v1, v1, v2 :: v_dual_cndmask_b32 v0, v0, v3
	s_delay_alu instid0(VALU_DEP_1) | instskip(NEXT) | instid1(VALU_DEP_2)
	v_add_nc_u32_e32 v2, 1, v1
	v_cmp_le_u32_e32 vcc_lo, s8, v0
	s_delay_alu instid0(VALU_DEP_2) | instskip(NEXT) | instid1(VALU_DEP_1)
	v_dual_cndmask_b32 v0, v1, v2 :: v_dual_mov_b32 v1, v99
	v_xor_b32_e32 v0, s30, v0
	s_delay_alu instid0(VALU_DEP_1) | instskip(NEXT) | instid1(VALU_DEP_1)
	v_subrev_nc_u32_e32 v4, s30, v0
	v_add_nc_u32_e32 v5, s13, v4
	v_cmp_lt_i32_e64 s0, s24, v4
	s_delay_alu instid0(VALU_DEP_2) | instskip(NEXT) | instid1(VALU_DEP_1)
	v_sub_nc_u32_e32 v0, 0, v5
	v_max_i32_e32 v0, v5, v0
	s_delay_alu instid0(VALU_DEP_1) | instskip(SKIP_1) | instid1(VALU_DEP_2)
	v_mul_u64_e32 v[2:3], s[4:5], v[0:1]
	v_ashrrev_i32_e32 v2, 31, v5
	v_mul_lo_u32 v1, v3, s6
	s_delay_alu instid0(VALU_DEP_1) | instskip(NEXT) | instid1(VALU_DEP_1)
	v_sub_nc_u32_e32 v0, v0, v1
	v_subrev_nc_u32_e32 v1, s6, v0
	v_cmp_le_u32_e32 vcc_lo, s6, v0
	s_delay_alu instid0(VALU_DEP_2) | instskip(NEXT) | instid1(VALU_DEP_1)
	v_cndmask_b32_e32 v0, v0, v1, vcc_lo
	v_subrev_nc_u32_e32 v1, s6, v0
	v_cmp_le_u32_e32 vcc_lo, s6, v0
	s_delay_alu instid0(VALU_DEP_2) | instskip(NEXT) | instid1(VALU_DEP_1)
	v_cndmask_b32_e32 v0, v0, v1, vcc_lo
	v_xor_b32_e32 v0, v0, v2
	s_delay_alu instid0(VALU_DEP_1) | instskip(NEXT) | instid1(VALU_DEP_1)
	v_sub_nc_u32_e32 v0, v0, v2
	v_cmp_eq_u32_e32 vcc_lo, 0, v0
	s_or_b32 s0, vcc_lo, s0
	s_delay_alu instid0(SALU_CYCLE_1)
	s_and_saveexec_b32 s16, s0
	s_cbranch_execz .LBB97_44
; %bb.46:                               ;   in Loop: Header=BB97_45 Depth=1
	global_load_b32 v0, v[32:33], off
	v_cmp_eq_u32_e32 vcc_lo, s9, v42
	s_wait_loadcnt 0x0
	v_ashrrev_i32_e32 v1, 31, v0
	s_delay_alu instid0(VALU_DEP_1)
	v_mul_u64_e32 v[4:5], s[2:3], v[0:1]
	ds_load_2addr_b64 v[0:3], v41 offset1:1
	ds_load_2addr_b64 v[44:47], v41 offset0:2 offset1:3
	s_wait_dscnt 0x1
	;;#ASMSTART
	v_cvt_f16_f32 v53, v0;

	;;#ASMEND
	;;#ASMSTART
	v_cvt_f16_f32 v52, v1;

	;;#ASMEND
	;; [unrolled: 4-line block ×4, first 2 shown]
	s_wait_dscnt 0x0
	;;#ASMSTART
	v_cvt_f16_f32 v58, v44;

	;;#ASMEND
	;;#ASMSTART
	v_cvt_f16_f32 v54, v45;

	;;#ASMEND
	;; [unrolled: 4-line block ×4, first 2 shown]
	v_add_nc_u32_e32 v47, v40, v98
	v_lshl_add_u64 v[34:35], v[4:5], 1, v[30:31]
	s_delay_alu instid0(VALU_DEP_2)
	v_dual_add_nc_u32 v49, 2, v47 :: v_dual_add_nc_u32 v44, 4, v47
	v_dual_add_nc_u32 v43, 5, v47 :: v_dual_add_nc_u32 v46, 6, v47
	global_load_b128 v[2:5], v[34:35], off
	v_dual_add_nc_u32 v45, 7, v47 :: v_dual_bitop2_b32 v50, 3, v47 bitop3:0x54
	s_wait_loadcnt 0x0
	v_dual_lshrrev_b32 v51, 16, v4 :: v_dual_bitop2_b32 v48, 1, v47 bitop3:0x54
	v_dual_lshrrev_b32 v1, 16, v3 :: v_dual_lshrrev_b32 v36, 16, v2
	s_and_saveexec_b32 s17, vcc_lo
	s_cbranch_execz .LBB97_48
; %bb.47:                               ;   in Loop: Header=BB97_45 Depth=1
	v_cmp_gt_i32_e64 s0, s29, v47
	v_and_b32_e32 v59, 0xffff, v5
	v_and_b32_e32 v5, 0xffff0000, v5
	s_delay_alu instid0(VALU_DEP_3) | instskip(SKIP_1) | instid1(VALU_DEP_1)
	v_cndmask_b32_e64 v2, 0, v2, s0
	v_cmp_gt_i32_e64 s0, s29, v49
	v_cndmask_b32_e64 v3, 0, v3, s0
	v_cmp_gt_i32_e64 s0, s10, v50
	s_delay_alu instid0(VALU_DEP_1) | instskip(SKIP_1) | instid1(VALU_DEP_1)
	v_cndmask_b32_e64 v1, 0, v1, s0
	v_cmp_gt_i32_e64 s0, s29, v48
	v_cndmask_b32_e64 v36, 0, v36, s0
	v_cmp_gt_i32_e64 s0, s29, v46
	s_delay_alu instid0(VALU_DEP_1) | instskip(SKIP_1) | instid1(VALU_DEP_1)
	;; [unrolled: 5-line block ×3, first 2 shown]
	v_dual_cndmask_b32 v4, 0, v4, s0 :: v_dual_bitop2_b32 v5, v59, v5 bitop3:0x54
	v_cmp_gt_i32_e64 s0, s29, v43
	v_cndmask_b32_e64 v51, 0, v51, s0
.LBB97_48:                              ;   in Loop: Header=BB97_45 Depth=1
	s_or_b32 exec_lo, exec_lo, s17
	v_and_b32_e32 v53, 0xffff, v53
	v_and_b32_e32 v57, 0xffff, v57
	v_dual_lshlrev_b32 v36, 16, v36 :: v_dual_lshlrev_b32 v1, 16, v1
	v_lshlrev_b32_e32 v51, 16, v51
	s_delay_alu instid0(VALU_DEP_4) | instskip(NEXT) | instid1(VALU_DEP_4)
	v_lshl_or_b32 v53, v52, 16, v53
	v_lshl_or_b32 v52, v55, 16, v57
	v_and_b32_e32 v55, 0xffff, v56
	v_and_b32_e32 v58, 0xffff, v58
	v_and_or_b32 v2, 0xffff, v2, v36
	v_and_or_b32 v1, 0xffff, v3, v1
	v_and_or_b32 v3, 0xffff, v4, v51
	v_lshl_or_b32 v55, v0, 16, v55
	;;#ASMSTART
	v_pk_mul_f16 v0, v53, v2;

	;;#ASMEND
	v_lshl_or_b32 v54, v54, 16, v58
	;;#ASMSTART
	v_pk_mul_f16 v1, v52, v1;

	;;#ASMEND
	;;#ASMSTART
	v_pk_mul_f16 v2, v54, v3;

	;;#ASMEND
	;; [unrolled: 4-line block ×3, first 2 shown]
	;;#ASMSTART
	v_pk_add_f16 v0, v0, v1;

	;;#ASMEND
	;;#ASMSTART
	v_pk_add_f16 v0, v0, v2;

	;;#ASMEND
	;; [unrolled: 4-line block ×3, first 2 shown]
	v_and_b32_e32 v1, 0xffff, v0
	v_lshrrev_b32_e32 v0, 16, v0
	;;#ASMSTART
	v_cvt_f32_f16 v56, v1;
	;;#ASMEND
	;;#ASMSTART
	v_cvt_f32_f16 v57, v0;
	;;#ASMEND
	global_load_b128 v[2:5], v[34:35], off offset:512
	s_wait_loadcnt 0x0
	v_dual_lshrrev_b32 v1, 16, v3 :: v_dual_lshrrev_b32 v36, 16, v2
	v_lshrrev_b32_e32 v51, 16, v4
	s_and_saveexec_b32 s17, vcc_lo
	s_cbranch_execz .LBB97_50
; %bb.49:                               ;   in Loop: Header=BB97_45 Depth=1
	v_cmp_gt_i32_e64 s0, s29, v47
	v_and_b32_e32 v0, 0xffff, v5
	v_and_b32_e32 v5, 0xffff0000, v5
	s_delay_alu instid0(VALU_DEP_3) | instskip(SKIP_1) | instid1(VALU_DEP_1)
	v_cndmask_b32_e64 v2, 0, v2, s0
	v_cmp_gt_i32_e64 s0, s29, v49
	v_cndmask_b32_e64 v3, 0, v3, s0
	v_cmp_gt_i32_e64 s0, s10, v50
	s_delay_alu instid0(VALU_DEP_1) | instskip(SKIP_1) | instid1(VALU_DEP_1)
	v_cndmask_b32_e64 v1, 0, v1, s0
	v_cmp_gt_i32_e64 s0, s29, v48
	v_cndmask_b32_e64 v36, 0, v36, s0
	v_cmp_gt_i32_e64 s0, s29, v46
	s_delay_alu instid0(VALU_DEP_1) | instskip(SKIP_1) | instid1(VALU_DEP_1)
	;; [unrolled: 5-line block ×3, first 2 shown]
	v_dual_cndmask_b32 v4, 0, v4, s0 :: v_dual_bitop2_b32 v5, v0, v5 bitop3:0x54
	v_cmp_gt_i32_e64 s0, s29, v43
	v_cndmask_b32_e64 v51, 0, v51, s0
.LBB97_50:                              ;   in Loop: Header=BB97_45 Depth=1
	s_or_b32 exec_lo, exec_lo, s17
	v_dual_lshlrev_b32 v0, 16, v36 :: v_dual_lshlrev_b32 v1, 16, v1
	s_delay_alu instid0(VALU_DEP_2) | instskip(NEXT) | instid1(VALU_DEP_2)
	v_lshlrev_b32_e32 v36, 16, v51
	v_and_or_b32 v0, 0xffff, v2, v0
	s_delay_alu instid0(VALU_DEP_3) | instskip(NEXT) | instid1(VALU_DEP_3)
	v_and_or_b32 v1, 0xffff, v3, v1
	v_and_or_b32 v2, 0xffff, v4, v36
	;;#ASMSTART
	v_pk_mul_f16 v0, v53, v0;

	;;#ASMEND
	;;#ASMSTART
	v_pk_mul_f16 v1, v52, v1;

	;;#ASMEND
	;; [unrolled: 4-line block ×4, first 2 shown]
	;;#ASMSTART
	v_pk_add_f16 v0, v0, v1;

	;;#ASMEND
	;;#ASMSTART
	v_pk_add_f16 v0, v0, v2;

	;;#ASMEND
	;;#ASMSTART
	v_pk_add_f16 v0, v0, v3;

	;;#ASMEND
	v_and_b32_e32 v1, 0xffff, v0
	v_lshrrev_b32_e32 v0, 16, v0
	;;#ASMSTART
	v_cvt_f32_f16 v58, v1;
	;;#ASMEND
	;;#ASMSTART
	v_cvt_f32_f16 v59, v0;
	;;#ASMEND
	global_load_b128 v[2:5], v[34:35], off offset:1024
	s_wait_loadcnt 0x0
	v_dual_lshrrev_b32 v1, 16, v3 :: v_dual_lshrrev_b32 v36, 16, v2
	v_lshrrev_b32_e32 v51, 16, v4
	s_and_saveexec_b32 s17, vcc_lo
	s_cbranch_execz .LBB97_52
; %bb.51:                               ;   in Loop: Header=BB97_45 Depth=1
	v_cmp_gt_i32_e64 s0, s29, v47
	v_and_b32_e32 v0, 0xffff, v5
	v_and_b32_e32 v5, 0xffff0000, v5
	s_delay_alu instid0(VALU_DEP_3) | instskip(SKIP_1) | instid1(VALU_DEP_1)
	v_cndmask_b32_e64 v2, 0, v2, s0
	v_cmp_gt_i32_e64 s0, s29, v49
	v_cndmask_b32_e64 v3, 0, v3, s0
	v_cmp_gt_i32_e64 s0, s10, v50
	s_delay_alu instid0(VALU_DEP_1) | instskip(SKIP_1) | instid1(VALU_DEP_1)
	v_cndmask_b32_e64 v1, 0, v1, s0
	v_cmp_gt_i32_e64 s0, s29, v48
	v_cndmask_b32_e64 v36, 0, v36, s0
	v_cmp_gt_i32_e64 s0, s29, v46
	s_delay_alu instid0(VALU_DEP_1) | instskip(SKIP_1) | instid1(VALU_DEP_1)
	;; [unrolled: 5-line block ×3, first 2 shown]
	v_dual_cndmask_b32 v4, 0, v4, s0 :: v_dual_bitop2_b32 v5, v0, v5 bitop3:0x54
	v_cmp_gt_i32_e64 s0, s29, v43
	v_cndmask_b32_e64 v51, 0, v51, s0
.LBB97_52:                              ;   in Loop: Header=BB97_45 Depth=1
	s_or_b32 exec_lo, exec_lo, s17
	v_dual_lshlrev_b32 v0, 16, v36 :: v_dual_lshlrev_b32 v1, 16, v1
	s_delay_alu instid0(VALU_DEP_2) | instskip(NEXT) | instid1(VALU_DEP_2)
	v_lshlrev_b32_e32 v36, 16, v51
	v_and_or_b32 v0, 0xffff, v2, v0
	s_delay_alu instid0(VALU_DEP_3) | instskip(NEXT) | instid1(VALU_DEP_3)
	v_and_or_b32 v1, 0xffff, v3, v1
	v_and_or_b32 v2, 0xffff, v4, v36
	;;#ASMSTART
	v_pk_mul_f16 v0, v53, v0;

	;;#ASMEND
	;;#ASMSTART
	v_pk_mul_f16 v1, v52, v1;

	;;#ASMEND
	;; [unrolled: 4-line block ×4, first 2 shown]
	;;#ASMSTART
	v_pk_add_f16 v0, v0, v1;

	;;#ASMEND
	;;#ASMSTART
	v_pk_add_f16 v0, v0, v2;

	;;#ASMEND
	;; [unrolled: 4-line block ×3, first 2 shown]
	v_and_b32_e32 v1, 0xffff, v0
	v_lshrrev_b32_e32 v0, 16, v0
	;;#ASMSTART
	v_cvt_f32_f16 v60, v1;
	;;#ASMEND
	;;#ASMSTART
	v_cvt_f32_f16 v61, v0;
	;;#ASMEND
	global_load_b128 v[2:5], v[34:35], off offset:1536
	s_wait_loadcnt 0x0
	v_dual_lshrrev_b32 v1, 16, v3 :: v_dual_lshrrev_b32 v36, 16, v2
	v_lshrrev_b32_e32 v51, 16, v4
	s_and_saveexec_b32 s17, vcc_lo
	s_cbranch_execz .LBB97_54
; %bb.53:                               ;   in Loop: Header=BB97_45 Depth=1
	v_cmp_gt_i32_e64 s0, s29, v47
	v_and_b32_e32 v0, 0xffff, v5
	v_and_b32_e32 v5, 0xffff0000, v5
	s_delay_alu instid0(VALU_DEP_3) | instskip(SKIP_1) | instid1(VALU_DEP_1)
	v_cndmask_b32_e64 v2, 0, v2, s0
	v_cmp_gt_i32_e64 s0, s29, v49
	v_cndmask_b32_e64 v3, 0, v3, s0
	v_cmp_gt_i32_e64 s0, s10, v50
	s_delay_alu instid0(VALU_DEP_1) | instskip(SKIP_1) | instid1(VALU_DEP_1)
	v_cndmask_b32_e64 v1, 0, v1, s0
	v_cmp_gt_i32_e64 s0, s29, v48
	v_cndmask_b32_e64 v36, 0, v36, s0
	v_cmp_gt_i32_e64 s0, s29, v46
	s_delay_alu instid0(VALU_DEP_1) | instskip(SKIP_1) | instid1(VALU_DEP_1)
	;; [unrolled: 5-line block ×3, first 2 shown]
	v_dual_cndmask_b32 v4, 0, v4, s0 :: v_dual_bitop2_b32 v5, v0, v5 bitop3:0x54
	v_cmp_gt_i32_e64 s0, s29, v43
	v_cndmask_b32_e64 v51, 0, v51, s0
.LBB97_54:                              ;   in Loop: Header=BB97_45 Depth=1
	s_or_b32 exec_lo, exec_lo, s17
	v_dual_lshlrev_b32 v0, 16, v36 :: v_dual_lshlrev_b32 v1, 16, v1
	s_delay_alu instid0(VALU_DEP_2) | instskip(NEXT) | instid1(VALU_DEP_2)
	v_lshlrev_b32_e32 v36, 16, v51
	v_and_or_b32 v0, 0xffff, v2, v0
	s_delay_alu instid0(VALU_DEP_3) | instskip(NEXT) | instid1(VALU_DEP_3)
	v_and_or_b32 v1, 0xffff, v3, v1
	v_and_or_b32 v2, 0xffff, v4, v36
	;;#ASMSTART
	v_pk_mul_f16 v0, v53, v0;

	;;#ASMEND
	;;#ASMSTART
	v_pk_mul_f16 v1, v52, v1;

	;;#ASMEND
	;; [unrolled: 4-line block ×4, first 2 shown]
	;;#ASMSTART
	v_pk_add_f16 v0, v0, v1;

	;;#ASMEND
	;;#ASMSTART
	v_pk_add_f16 v0, v0, v2;

	;;#ASMEND
	;; [unrolled: 4-line block ×3, first 2 shown]
	v_and_b32_e32 v1, 0xffff, v0
	v_lshrrev_b32_e32 v0, 16, v0
	;;#ASMSTART
	v_cvt_f32_f16 v62, v1;
	;;#ASMEND
	;;#ASMSTART
	v_cvt_f32_f16 v63, v0;
	;;#ASMEND
	global_load_b128 v[2:5], v[34:35], off offset:2048
	s_wait_loadcnt 0x0
	v_dual_lshrrev_b32 v1, 16, v3 :: v_dual_lshrrev_b32 v36, 16, v2
	v_lshrrev_b32_e32 v51, 16, v4
	s_and_saveexec_b32 s17, vcc_lo
	s_cbranch_execz .LBB97_56
; %bb.55:                               ;   in Loop: Header=BB97_45 Depth=1
	v_cmp_gt_i32_e64 s0, s29, v47
	v_and_b32_e32 v0, 0xffff, v5
	v_and_b32_e32 v5, 0xffff0000, v5
	s_delay_alu instid0(VALU_DEP_3) | instskip(SKIP_1) | instid1(VALU_DEP_1)
	v_cndmask_b32_e64 v2, 0, v2, s0
	v_cmp_gt_i32_e64 s0, s29, v49
	v_cndmask_b32_e64 v3, 0, v3, s0
	v_cmp_gt_i32_e64 s0, s10, v50
	s_delay_alu instid0(VALU_DEP_1) | instskip(SKIP_1) | instid1(VALU_DEP_1)
	v_cndmask_b32_e64 v1, 0, v1, s0
	v_cmp_gt_i32_e64 s0, s29, v48
	v_cndmask_b32_e64 v36, 0, v36, s0
	v_cmp_gt_i32_e64 s0, s29, v46
	s_delay_alu instid0(VALU_DEP_1) | instskip(SKIP_1) | instid1(VALU_DEP_1)
	;; [unrolled: 5-line block ×3, first 2 shown]
	v_dual_cndmask_b32 v4, 0, v4, s0 :: v_dual_bitop2_b32 v5, v0, v5 bitop3:0x54
	v_cmp_gt_i32_e64 s0, s29, v43
	v_cndmask_b32_e64 v51, 0, v51, s0
.LBB97_56:                              ;   in Loop: Header=BB97_45 Depth=1
	s_or_b32 exec_lo, exec_lo, s17
	v_dual_lshlrev_b32 v0, 16, v36 :: v_dual_lshlrev_b32 v1, 16, v1
	s_delay_alu instid0(VALU_DEP_2) | instskip(NEXT) | instid1(VALU_DEP_2)
	v_lshlrev_b32_e32 v36, 16, v51
	v_and_or_b32 v0, 0xffff, v2, v0
	s_delay_alu instid0(VALU_DEP_3) | instskip(NEXT) | instid1(VALU_DEP_3)
	v_and_or_b32 v1, 0xffff, v3, v1
	v_and_or_b32 v2, 0xffff, v4, v36
	;;#ASMSTART
	v_pk_mul_f16 v0, v53, v0;

	;;#ASMEND
	;;#ASMSTART
	v_pk_mul_f16 v1, v52, v1;

	;;#ASMEND
	;; [unrolled: 4-line block ×4, first 2 shown]
	;;#ASMSTART
	v_pk_add_f16 v0, v0, v1;

	;;#ASMEND
	;;#ASMSTART
	v_pk_add_f16 v0, v0, v2;

	;;#ASMEND
	;; [unrolled: 4-line block ×3, first 2 shown]
	v_and_b32_e32 v1, 0xffff, v0
	v_lshrrev_b32_e32 v0, 16, v0
	;;#ASMSTART
	v_cvt_f32_f16 v64, v1;
	;;#ASMEND
	;;#ASMSTART
	v_cvt_f32_f16 v65, v0;
	;;#ASMEND
	global_load_b128 v[2:5], v[34:35], off offset:2560
	s_wait_loadcnt 0x0
	v_dual_lshrrev_b32 v1, 16, v3 :: v_dual_lshrrev_b32 v36, 16, v2
	v_lshrrev_b32_e32 v51, 16, v4
	s_and_saveexec_b32 s17, vcc_lo
	s_cbranch_execz .LBB97_58
; %bb.57:                               ;   in Loop: Header=BB97_45 Depth=1
	v_cmp_gt_i32_e64 s0, s29, v47
	v_and_b32_e32 v0, 0xffff, v5
	v_and_b32_e32 v5, 0xffff0000, v5
	s_delay_alu instid0(VALU_DEP_3) | instskip(SKIP_1) | instid1(VALU_DEP_1)
	v_cndmask_b32_e64 v2, 0, v2, s0
	v_cmp_gt_i32_e64 s0, s29, v49
	v_cndmask_b32_e64 v3, 0, v3, s0
	v_cmp_gt_i32_e64 s0, s10, v50
	s_delay_alu instid0(VALU_DEP_1) | instskip(SKIP_1) | instid1(VALU_DEP_1)
	v_cndmask_b32_e64 v1, 0, v1, s0
	v_cmp_gt_i32_e64 s0, s29, v48
	v_cndmask_b32_e64 v36, 0, v36, s0
	v_cmp_gt_i32_e64 s0, s29, v46
	s_delay_alu instid0(VALU_DEP_1) | instskip(SKIP_1) | instid1(VALU_DEP_1)
	;; [unrolled: 5-line block ×3, first 2 shown]
	v_dual_cndmask_b32 v4, 0, v4, s0 :: v_dual_bitop2_b32 v5, v0, v5 bitop3:0x54
	v_cmp_gt_i32_e64 s0, s29, v43
	v_cndmask_b32_e64 v51, 0, v51, s0
.LBB97_58:                              ;   in Loop: Header=BB97_45 Depth=1
	s_or_b32 exec_lo, exec_lo, s17
	v_dual_lshlrev_b32 v0, 16, v36 :: v_dual_lshlrev_b32 v1, 16, v1
	s_delay_alu instid0(VALU_DEP_2) | instskip(NEXT) | instid1(VALU_DEP_2)
	v_lshlrev_b32_e32 v36, 16, v51
	v_and_or_b32 v0, 0xffff, v2, v0
	s_delay_alu instid0(VALU_DEP_3) | instskip(NEXT) | instid1(VALU_DEP_3)
	v_and_or_b32 v1, 0xffff, v3, v1
	v_and_or_b32 v2, 0xffff, v4, v36
	;;#ASMSTART
	v_pk_mul_f16 v0, v53, v0;

	;;#ASMEND
	;;#ASMSTART
	v_pk_mul_f16 v1, v52, v1;

	;;#ASMEND
	;; [unrolled: 4-line block ×4, first 2 shown]
	;;#ASMSTART
	v_pk_add_f16 v0, v0, v1;

	;;#ASMEND
	;;#ASMSTART
	v_pk_add_f16 v0, v0, v2;

	;;#ASMEND
	;; [unrolled: 4-line block ×3, first 2 shown]
	v_and_b32_e32 v1, 0xffff, v0
	v_lshrrev_b32_e32 v0, 16, v0
	;;#ASMSTART
	v_cvt_f32_f16 v66, v1;
	;;#ASMEND
	;;#ASMSTART
	v_cvt_f32_f16 v67, v0;
	;;#ASMEND
	global_load_b128 v[2:5], v[34:35], off offset:3072
	s_wait_loadcnt 0x0
	v_dual_lshrrev_b32 v1, 16, v3 :: v_dual_lshrrev_b32 v36, 16, v2
	v_lshrrev_b32_e32 v51, 16, v4
	s_and_saveexec_b32 s17, vcc_lo
	s_cbranch_execz .LBB97_60
; %bb.59:                               ;   in Loop: Header=BB97_45 Depth=1
	v_cmp_gt_i32_e64 s0, s29, v47
	v_and_b32_e32 v0, 0xffff, v5
	v_and_b32_e32 v5, 0xffff0000, v5
	s_delay_alu instid0(VALU_DEP_3) | instskip(SKIP_1) | instid1(VALU_DEP_1)
	v_cndmask_b32_e64 v2, 0, v2, s0
	v_cmp_gt_i32_e64 s0, s29, v49
	v_cndmask_b32_e64 v3, 0, v3, s0
	v_cmp_gt_i32_e64 s0, s10, v50
	s_delay_alu instid0(VALU_DEP_1) | instskip(SKIP_1) | instid1(VALU_DEP_1)
	v_cndmask_b32_e64 v1, 0, v1, s0
	v_cmp_gt_i32_e64 s0, s29, v48
	v_cndmask_b32_e64 v36, 0, v36, s0
	v_cmp_gt_i32_e64 s0, s29, v46
	s_delay_alu instid0(VALU_DEP_1) | instskip(SKIP_1) | instid1(VALU_DEP_1)
	;; [unrolled: 5-line block ×3, first 2 shown]
	v_dual_cndmask_b32 v4, 0, v4, s0 :: v_dual_bitop2_b32 v5, v0, v5 bitop3:0x54
	v_cmp_gt_i32_e64 s0, s29, v43
	v_cndmask_b32_e64 v51, 0, v51, s0
.LBB97_60:                              ;   in Loop: Header=BB97_45 Depth=1
	s_or_b32 exec_lo, exec_lo, s17
	v_dual_lshlrev_b32 v0, 16, v36 :: v_dual_lshlrev_b32 v1, 16, v1
	s_delay_alu instid0(VALU_DEP_2) | instskip(NEXT) | instid1(VALU_DEP_2)
	v_lshlrev_b32_e32 v36, 16, v51
	v_and_or_b32 v0, 0xffff, v2, v0
	s_delay_alu instid0(VALU_DEP_3) | instskip(NEXT) | instid1(VALU_DEP_3)
	v_and_or_b32 v1, 0xffff, v3, v1
	v_and_or_b32 v2, 0xffff, v4, v36
	;;#ASMSTART
	v_pk_mul_f16 v0, v53, v0;

	;;#ASMEND
	;;#ASMSTART
	v_pk_mul_f16 v1, v52, v1;

	;;#ASMEND
	;; [unrolled: 4-line block ×4, first 2 shown]
	;;#ASMSTART
	v_pk_add_f16 v0, v0, v1;

	;;#ASMEND
	;;#ASMSTART
	v_pk_add_f16 v0, v0, v2;

	;;#ASMEND
	;; [unrolled: 4-line block ×3, first 2 shown]
	v_and_b32_e32 v1, 0xffff, v0
	v_lshrrev_b32_e32 v0, 16, v0
	;;#ASMSTART
	v_cvt_f32_f16 v68, v1;
	;;#ASMEND
	;;#ASMSTART
	v_cvt_f32_f16 v69, v0;
	;;#ASMEND
	global_load_b128 v[2:5], v[34:35], off offset:3584
	s_wait_loadcnt 0x0
	v_dual_lshrrev_b32 v1, 16, v3 :: v_dual_lshrrev_b32 v36, 16, v2
	v_lshrrev_b32_e32 v51, 16, v4
	s_and_saveexec_b32 s17, vcc_lo
	s_cbranch_execz .LBB97_62
; %bb.61:                               ;   in Loop: Header=BB97_45 Depth=1
	v_cmp_gt_i32_e64 s0, s29, v47
	v_and_b32_e32 v0, 0xffff, v5
	v_and_b32_e32 v5, 0xffff0000, v5
	s_delay_alu instid0(VALU_DEP_3) | instskip(SKIP_1) | instid1(VALU_DEP_1)
	v_cndmask_b32_e64 v2, 0, v2, s0
	v_cmp_gt_i32_e64 s0, s29, v49
	v_cndmask_b32_e64 v3, 0, v3, s0
	v_cmp_gt_i32_e64 s0, s10, v50
	s_delay_alu instid0(VALU_DEP_1) | instskip(SKIP_1) | instid1(VALU_DEP_1)
	v_cndmask_b32_e64 v1, 0, v1, s0
	v_cmp_gt_i32_e64 s0, s29, v48
	v_cndmask_b32_e64 v36, 0, v36, s0
	v_cmp_gt_i32_e64 s0, s29, v46
	s_delay_alu instid0(VALU_DEP_1) | instskip(SKIP_1) | instid1(VALU_DEP_1)
	;; [unrolled: 5-line block ×3, first 2 shown]
	v_dual_cndmask_b32 v4, 0, v4, s0 :: v_dual_bitop2_b32 v5, v0, v5 bitop3:0x54
	v_cmp_gt_i32_e64 s0, s29, v43
	v_cndmask_b32_e64 v51, 0, v51, s0
.LBB97_62:                              ;   in Loop: Header=BB97_45 Depth=1
	s_or_b32 exec_lo, exec_lo, s17
	v_dual_lshlrev_b32 v0, 16, v36 :: v_dual_lshlrev_b32 v1, 16, v1
	s_delay_alu instid0(VALU_DEP_2) | instskip(NEXT) | instid1(VALU_DEP_2)
	v_lshlrev_b32_e32 v36, 16, v51
	v_and_or_b32 v0, 0xffff, v2, v0
	s_delay_alu instid0(VALU_DEP_3) | instskip(NEXT) | instid1(VALU_DEP_3)
	v_and_or_b32 v1, 0xffff, v3, v1
	v_and_or_b32 v2, 0xffff, v4, v36
	;;#ASMSTART
	v_pk_mul_f16 v0, v53, v0;

	;;#ASMEND
	;;#ASMSTART
	v_pk_mul_f16 v1, v52, v1;

	;;#ASMEND
	;; [unrolled: 4-line block ×4, first 2 shown]
	;;#ASMSTART
	v_pk_add_f16 v0, v0, v1;

	;;#ASMEND
	;;#ASMSTART
	v_pk_add_f16 v0, v0, v2;

	;;#ASMEND
	;; [unrolled: 4-line block ×3, first 2 shown]
	v_and_b32_e32 v1, 0xffff, v0
	v_lshrrev_b32_e32 v0, 16, v0
	;;#ASMSTART
	v_cvt_f32_f16 v70, v1;
	;;#ASMEND
	;;#ASMSTART
	v_cvt_f32_f16 v71, v0;
	;;#ASMEND
	global_load_b128 v[2:5], v[34:35], off offset:4096
	s_wait_loadcnt 0x0
	v_dual_lshrrev_b32 v1, 16, v3 :: v_dual_lshrrev_b32 v36, 16, v2
	v_lshrrev_b32_e32 v51, 16, v4
	s_and_saveexec_b32 s17, vcc_lo
	s_cbranch_execz .LBB97_64
; %bb.63:                               ;   in Loop: Header=BB97_45 Depth=1
	v_cmp_gt_i32_e64 s0, s29, v47
	v_and_b32_e32 v0, 0xffff, v5
	v_and_b32_e32 v5, 0xffff0000, v5
	s_delay_alu instid0(VALU_DEP_3) | instskip(SKIP_1) | instid1(VALU_DEP_1)
	v_cndmask_b32_e64 v2, 0, v2, s0
	v_cmp_gt_i32_e64 s0, s29, v49
	v_cndmask_b32_e64 v3, 0, v3, s0
	v_cmp_gt_i32_e64 s0, s10, v50
	s_delay_alu instid0(VALU_DEP_1) | instskip(SKIP_1) | instid1(VALU_DEP_1)
	v_cndmask_b32_e64 v1, 0, v1, s0
	v_cmp_gt_i32_e64 s0, s29, v48
	v_cndmask_b32_e64 v36, 0, v36, s0
	v_cmp_gt_i32_e64 s0, s29, v46
	s_delay_alu instid0(VALU_DEP_1) | instskip(SKIP_1) | instid1(VALU_DEP_1)
	;; [unrolled: 5-line block ×3, first 2 shown]
	v_dual_cndmask_b32 v4, 0, v4, s0 :: v_dual_bitop2_b32 v5, v0, v5 bitop3:0x54
	v_cmp_gt_i32_e64 s0, s29, v43
	v_cndmask_b32_e64 v51, 0, v51, s0
.LBB97_64:                              ;   in Loop: Header=BB97_45 Depth=1
	s_or_b32 exec_lo, exec_lo, s17
	v_dual_lshlrev_b32 v0, 16, v36 :: v_dual_lshlrev_b32 v1, 16, v1
	s_delay_alu instid0(VALU_DEP_2) | instskip(NEXT) | instid1(VALU_DEP_2)
	v_lshlrev_b32_e32 v36, 16, v51
	v_and_or_b32 v0, 0xffff, v2, v0
	s_delay_alu instid0(VALU_DEP_3) | instskip(NEXT) | instid1(VALU_DEP_3)
	v_and_or_b32 v1, 0xffff, v3, v1
	v_and_or_b32 v2, 0xffff, v4, v36
	;;#ASMSTART
	v_pk_mul_f16 v0, v53, v0;

	;;#ASMEND
	;;#ASMSTART
	v_pk_mul_f16 v1, v52, v1;

	;;#ASMEND
	;; [unrolled: 4-line block ×4, first 2 shown]
	;;#ASMSTART
	v_pk_add_f16 v0, v0, v1;

	;;#ASMEND
	;;#ASMSTART
	v_pk_add_f16 v0, v0, v2;

	;;#ASMEND
	;; [unrolled: 4-line block ×3, first 2 shown]
	v_and_b32_e32 v1, 0xffff, v0
	v_lshrrev_b32_e32 v0, 16, v0
	;;#ASMSTART
	v_cvt_f32_f16 v72, v1;
	;;#ASMEND
	;;#ASMSTART
	v_cvt_f32_f16 v73, v0;
	;;#ASMEND
	global_load_b128 v[2:5], v[34:35], off offset:4608
	s_wait_loadcnt 0x0
	v_dual_lshrrev_b32 v1, 16, v3 :: v_dual_lshrrev_b32 v36, 16, v2
	v_lshrrev_b32_e32 v51, 16, v4
	s_and_saveexec_b32 s17, vcc_lo
	s_cbranch_execz .LBB97_66
; %bb.65:                               ;   in Loop: Header=BB97_45 Depth=1
	v_cmp_gt_i32_e64 s0, s29, v47
	v_and_b32_e32 v0, 0xffff, v5
	v_and_b32_e32 v5, 0xffff0000, v5
	s_delay_alu instid0(VALU_DEP_3) | instskip(SKIP_1) | instid1(VALU_DEP_1)
	v_cndmask_b32_e64 v2, 0, v2, s0
	v_cmp_gt_i32_e64 s0, s29, v49
	v_cndmask_b32_e64 v3, 0, v3, s0
	v_cmp_gt_i32_e64 s0, s10, v50
	s_delay_alu instid0(VALU_DEP_1) | instskip(SKIP_1) | instid1(VALU_DEP_1)
	v_cndmask_b32_e64 v1, 0, v1, s0
	v_cmp_gt_i32_e64 s0, s29, v48
	v_cndmask_b32_e64 v36, 0, v36, s0
	v_cmp_gt_i32_e64 s0, s29, v46
	s_delay_alu instid0(VALU_DEP_1) | instskip(SKIP_1) | instid1(VALU_DEP_1)
	;; [unrolled: 5-line block ×3, first 2 shown]
	v_dual_cndmask_b32 v4, 0, v4, s0 :: v_dual_bitop2_b32 v5, v0, v5 bitop3:0x54
	v_cmp_gt_i32_e64 s0, s29, v43
	v_cndmask_b32_e64 v51, 0, v51, s0
.LBB97_66:                              ;   in Loop: Header=BB97_45 Depth=1
	s_or_b32 exec_lo, exec_lo, s17
	v_dual_lshlrev_b32 v0, 16, v36 :: v_dual_lshlrev_b32 v1, 16, v1
	s_delay_alu instid0(VALU_DEP_2) | instskip(NEXT) | instid1(VALU_DEP_2)
	v_lshlrev_b32_e32 v36, 16, v51
	v_and_or_b32 v0, 0xffff, v2, v0
	s_delay_alu instid0(VALU_DEP_3) | instskip(NEXT) | instid1(VALU_DEP_3)
	v_and_or_b32 v1, 0xffff, v3, v1
	v_and_or_b32 v2, 0xffff, v4, v36
	;;#ASMSTART
	v_pk_mul_f16 v0, v53, v0;

	;;#ASMEND
	;;#ASMSTART
	v_pk_mul_f16 v1, v52, v1;

	;;#ASMEND
	;; [unrolled: 4-line block ×4, first 2 shown]
	;;#ASMSTART
	v_pk_add_f16 v0, v0, v1;

	;;#ASMEND
	;;#ASMSTART
	v_pk_add_f16 v0, v0, v2;

	;;#ASMEND
	;; [unrolled: 4-line block ×3, first 2 shown]
	v_and_b32_e32 v1, 0xffff, v0
	v_lshrrev_b32_e32 v0, 16, v0
	;;#ASMSTART
	v_cvt_f32_f16 v74, v1;
	;;#ASMEND
	;;#ASMSTART
	v_cvt_f32_f16 v75, v0;
	;;#ASMEND
	global_load_b128 v[2:5], v[34:35], off offset:5120
	s_wait_loadcnt 0x0
	v_dual_lshrrev_b32 v1, 16, v3 :: v_dual_lshrrev_b32 v36, 16, v2
	v_lshrrev_b32_e32 v51, 16, v4
	s_and_saveexec_b32 s17, vcc_lo
	s_cbranch_execz .LBB97_68
; %bb.67:                               ;   in Loop: Header=BB97_45 Depth=1
	v_cmp_gt_i32_e64 s0, s29, v47
	v_and_b32_e32 v0, 0xffff, v5
	v_and_b32_e32 v5, 0xffff0000, v5
	s_delay_alu instid0(VALU_DEP_3) | instskip(SKIP_1) | instid1(VALU_DEP_1)
	v_cndmask_b32_e64 v2, 0, v2, s0
	v_cmp_gt_i32_e64 s0, s29, v49
	v_cndmask_b32_e64 v3, 0, v3, s0
	v_cmp_gt_i32_e64 s0, s10, v50
	s_delay_alu instid0(VALU_DEP_1) | instskip(SKIP_1) | instid1(VALU_DEP_1)
	v_cndmask_b32_e64 v1, 0, v1, s0
	v_cmp_gt_i32_e64 s0, s29, v48
	v_cndmask_b32_e64 v36, 0, v36, s0
	v_cmp_gt_i32_e64 s0, s29, v46
	s_delay_alu instid0(VALU_DEP_1) | instskip(SKIP_1) | instid1(VALU_DEP_1)
	;; [unrolled: 5-line block ×3, first 2 shown]
	v_dual_cndmask_b32 v4, 0, v4, s0 :: v_dual_bitop2_b32 v5, v0, v5 bitop3:0x54
	v_cmp_gt_i32_e64 s0, s29, v43
	v_cndmask_b32_e64 v51, 0, v51, s0
.LBB97_68:                              ;   in Loop: Header=BB97_45 Depth=1
	s_or_b32 exec_lo, exec_lo, s17
	v_dual_lshlrev_b32 v0, 16, v36 :: v_dual_lshlrev_b32 v1, 16, v1
	s_delay_alu instid0(VALU_DEP_2) | instskip(NEXT) | instid1(VALU_DEP_2)
	v_lshlrev_b32_e32 v36, 16, v51
	v_and_or_b32 v0, 0xffff, v2, v0
	s_delay_alu instid0(VALU_DEP_3) | instskip(NEXT) | instid1(VALU_DEP_3)
	v_and_or_b32 v1, 0xffff, v3, v1
	v_and_or_b32 v2, 0xffff, v4, v36
	;;#ASMSTART
	v_pk_mul_f16 v0, v53, v0;

	;;#ASMEND
	;;#ASMSTART
	v_pk_mul_f16 v1, v52, v1;

	;;#ASMEND
	;; [unrolled: 4-line block ×4, first 2 shown]
	;;#ASMSTART
	v_pk_add_f16 v0, v0, v1;

	;;#ASMEND
	;;#ASMSTART
	v_pk_add_f16 v0, v0, v2;

	;;#ASMEND
	;; [unrolled: 4-line block ×3, first 2 shown]
	v_and_b32_e32 v1, 0xffff, v0
	v_lshrrev_b32_e32 v0, 16, v0
	;;#ASMSTART
	v_cvt_f32_f16 v76, v1;
	;;#ASMEND
	;;#ASMSTART
	v_cvt_f32_f16 v77, v0;
	;;#ASMEND
	global_load_b128 v[2:5], v[34:35], off offset:5632
	s_wait_loadcnt 0x0
	v_dual_lshrrev_b32 v1, 16, v3 :: v_dual_lshrrev_b32 v36, 16, v2
	v_lshrrev_b32_e32 v51, 16, v4
	s_and_saveexec_b32 s17, vcc_lo
	s_cbranch_execz .LBB97_70
; %bb.69:                               ;   in Loop: Header=BB97_45 Depth=1
	v_cmp_gt_i32_e64 s0, s29, v47
	v_and_b32_e32 v0, 0xffff, v5
	v_and_b32_e32 v5, 0xffff0000, v5
	s_delay_alu instid0(VALU_DEP_3) | instskip(SKIP_1) | instid1(VALU_DEP_1)
	v_cndmask_b32_e64 v2, 0, v2, s0
	v_cmp_gt_i32_e64 s0, s29, v49
	v_cndmask_b32_e64 v3, 0, v3, s0
	v_cmp_gt_i32_e64 s0, s10, v50
	s_delay_alu instid0(VALU_DEP_1) | instskip(SKIP_1) | instid1(VALU_DEP_1)
	v_cndmask_b32_e64 v1, 0, v1, s0
	v_cmp_gt_i32_e64 s0, s29, v48
	v_cndmask_b32_e64 v36, 0, v36, s0
	v_cmp_gt_i32_e64 s0, s29, v46
	s_delay_alu instid0(VALU_DEP_1) | instskip(SKIP_1) | instid1(VALU_DEP_1)
	;; [unrolled: 5-line block ×3, first 2 shown]
	v_dual_cndmask_b32 v4, 0, v4, s0 :: v_dual_bitop2_b32 v5, v0, v5 bitop3:0x54
	v_cmp_gt_i32_e64 s0, s29, v43
	v_cndmask_b32_e64 v51, 0, v51, s0
.LBB97_70:                              ;   in Loop: Header=BB97_45 Depth=1
	s_or_b32 exec_lo, exec_lo, s17
	v_dual_lshlrev_b32 v0, 16, v36 :: v_dual_lshlrev_b32 v1, 16, v1
	s_delay_alu instid0(VALU_DEP_2) | instskip(NEXT) | instid1(VALU_DEP_2)
	v_lshlrev_b32_e32 v36, 16, v51
	v_and_or_b32 v0, 0xffff, v2, v0
	s_delay_alu instid0(VALU_DEP_3) | instskip(NEXT) | instid1(VALU_DEP_3)
	v_and_or_b32 v1, 0xffff, v3, v1
	v_and_or_b32 v2, 0xffff, v4, v36
	;;#ASMSTART
	v_pk_mul_f16 v0, v53, v0;

	;;#ASMEND
	;;#ASMSTART
	v_pk_mul_f16 v1, v52, v1;

	;;#ASMEND
	;; [unrolled: 4-line block ×4, first 2 shown]
	;;#ASMSTART
	v_pk_add_f16 v0, v0, v1;

	;;#ASMEND
	;;#ASMSTART
	v_pk_add_f16 v0, v0, v2;

	;;#ASMEND
	;; [unrolled: 4-line block ×3, first 2 shown]
	v_lshrrev_b32_e32 v2, 16, v0
	v_and_b32_e32 v1, 0xffff, v0
	;;#ASMSTART
	v_cvt_f32_f16 v0, v1;
	;;#ASMEND
	;;#ASMSTART
	v_cvt_f32_f16 v78, v2;
	;;#ASMEND
	global_load_b128 v[2:5], v[34:35], off offset:6144
	s_wait_loadcnt 0x0
	v_dual_lshrrev_b32 v1, 16, v3 :: v_dual_lshrrev_b32 v36, 16, v2
	v_lshrrev_b32_e32 v51, 16, v4
	s_and_saveexec_b32 s17, vcc_lo
	s_cbranch_execz .LBB97_72
; %bb.71:                               ;   in Loop: Header=BB97_45 Depth=1
	v_cmp_gt_i32_e64 s0, s29, v47
	v_and_b32_e32 v79, 0xffff, v5
	v_and_b32_e32 v5, 0xffff0000, v5
	s_delay_alu instid0(VALU_DEP_3) | instskip(SKIP_1) | instid1(VALU_DEP_1)
	v_cndmask_b32_e64 v2, 0, v2, s0
	v_cmp_gt_i32_e64 s0, s29, v49
	v_cndmask_b32_e64 v3, 0, v3, s0
	v_cmp_gt_i32_e64 s0, s10, v50
	s_delay_alu instid0(VALU_DEP_1) | instskip(SKIP_1) | instid1(VALU_DEP_1)
	v_cndmask_b32_e64 v1, 0, v1, s0
	v_cmp_gt_i32_e64 s0, s29, v48
	v_cndmask_b32_e64 v36, 0, v36, s0
	v_cmp_gt_i32_e64 s0, s29, v46
	s_delay_alu instid0(VALU_DEP_1) | instskip(SKIP_1) | instid1(VALU_DEP_1)
	;; [unrolled: 5-line block ×3, first 2 shown]
	v_dual_cndmask_b32 v4, 0, v4, s0 :: v_dual_bitop2_b32 v5, v79, v5 bitop3:0x54
	v_cmp_gt_i32_e64 s0, s29, v43
	v_cndmask_b32_e64 v51, 0, v51, s0
.LBB97_72:                              ;   in Loop: Header=BB97_45 Depth=1
	s_or_b32 exec_lo, exec_lo, s17
	v_dual_lshlrev_b32 v36, 16, v36 :: v_dual_lshlrev_b32 v1, 16, v1
	s_delay_alu instid0(VALU_DEP_2) | instskip(NEXT) | instid1(VALU_DEP_2)
	v_lshlrev_b32_e32 v51, 16, v51
	v_and_or_b32 v2, 0xffff, v2, v36
	s_delay_alu instid0(VALU_DEP_3) | instskip(NEXT) | instid1(VALU_DEP_3)
	v_and_or_b32 v1, 0xffff, v3, v1
	v_and_or_b32 v3, 0xffff, v4, v51
	;;#ASMSTART
	v_pk_mul_f16 v2, v53, v2;

	;;#ASMEND
	;;#ASMSTART
	v_pk_mul_f16 v1, v52, v1;

	;;#ASMEND
	;;#ASMSTART
	v_pk_mul_f16 v3, v54, v3;

	;;#ASMEND
	;;#ASMSTART
	v_pk_mul_f16 v4, v55, v5;

	;;#ASMEND
	;;#ASMSTART
	v_pk_add_f16 v1, v2, v1;

	;;#ASMEND
	;;#ASMSTART
	v_pk_add_f16 v1, v1, v3;

	;;#ASMEND
	;; [unrolled: 4-line block ×3, first 2 shown]
	v_and_b32_e32 v2, 0xffff, v1
	v_lshrrev_b32_e32 v1, 16, v1
	;;#ASMSTART
	v_cvt_f32_f16 v79, v2;
	;;#ASMEND
	;;#ASMSTART
	v_cvt_f32_f16 v80, v1;
	;;#ASMEND
	global_load_b128 v[2:5], v[34:35], off offset:6656
	s_wait_loadcnt 0x0
	v_dual_lshrrev_b32 v1, 16, v3 :: v_dual_lshrrev_b32 v36, 16, v2
	v_lshrrev_b32_e32 v51, 16, v4
	s_and_saveexec_b32 s17, vcc_lo
	s_cbranch_execz .LBB97_74
; %bb.73:                               ;   in Loop: Header=BB97_45 Depth=1
	v_cmp_gt_i32_e64 s0, s29, v47
	v_and_b32_e32 v81, 0xffff, v5
	v_and_b32_e32 v5, 0xffff0000, v5
	s_delay_alu instid0(VALU_DEP_3) | instskip(SKIP_1) | instid1(VALU_DEP_1)
	v_cndmask_b32_e64 v2, 0, v2, s0
	v_cmp_gt_i32_e64 s0, s29, v49
	v_cndmask_b32_e64 v3, 0, v3, s0
	v_cmp_gt_i32_e64 s0, s10, v50
	s_delay_alu instid0(VALU_DEP_1) | instskip(SKIP_1) | instid1(VALU_DEP_1)
	v_cndmask_b32_e64 v1, 0, v1, s0
	v_cmp_gt_i32_e64 s0, s29, v48
	v_cndmask_b32_e64 v36, 0, v36, s0
	v_cmp_gt_i32_e64 s0, s29, v46
	s_delay_alu instid0(VALU_DEP_1) | instskip(SKIP_1) | instid1(VALU_DEP_1)
	;; [unrolled: 5-line block ×3, first 2 shown]
	v_cndmask_b32_e64 v4, 0, v4, s0
	v_cmp_gt_i32_e64 s0, s29, v43
	v_dual_cndmask_b32 v51, 0, v51, s0 :: v_dual_bitop2_b32 v5, v81, v5 bitop3:0x54
.LBB97_74:                              ;   in Loop: Header=BB97_45 Depth=1
	s_or_b32 exec_lo, exec_lo, s17
	v_dual_lshlrev_b32 v36, 16, v36 :: v_dual_lshlrev_b32 v1, 16, v1
	s_delay_alu instid0(VALU_DEP_2) | instskip(NEXT) | instid1(VALU_DEP_2)
	v_lshlrev_b32_e32 v51, 16, v51
	v_and_or_b32 v2, 0xffff, v2, v36
	s_delay_alu instid0(VALU_DEP_3) | instskip(NEXT) | instid1(VALU_DEP_3)
	v_and_or_b32 v1, 0xffff, v3, v1
	v_and_or_b32 v3, 0xffff, v4, v51
	;;#ASMSTART
	v_pk_mul_f16 v2, v53, v2;

	;;#ASMEND
	;;#ASMSTART
	v_pk_mul_f16 v1, v52, v1;

	;;#ASMEND
	;; [unrolled: 4-line block ×4, first 2 shown]
	;;#ASMSTART
	v_pk_add_f16 v1, v2, v1;

	;;#ASMEND
	;;#ASMSTART
	v_pk_add_f16 v1, v1, v3;

	;;#ASMEND
	;; [unrolled: 4-line block ×3, first 2 shown]
	v_and_b32_e32 v2, 0xffff, v1
	v_lshrrev_b32_e32 v1, 16, v1
	;;#ASMSTART
	v_cvt_f32_f16 v81, v2;
	;;#ASMEND
	;;#ASMSTART
	v_cvt_f32_f16 v82, v1;
	;;#ASMEND
	global_load_b128 v[2:5], v[34:35], off offset:7168
	s_wait_loadcnt 0x0
	v_dual_lshrrev_b32 v1, 16, v3 :: v_dual_lshrrev_b32 v36, 16, v2
	v_lshrrev_b32_e32 v51, 16, v4
	s_and_saveexec_b32 s17, vcc_lo
	s_cbranch_execz .LBB97_76
; %bb.75:                               ;   in Loop: Header=BB97_45 Depth=1
	v_cmp_gt_i32_e64 s0, s29, v47
	v_and_b32_e32 v83, 0xffff, v5
	v_and_b32_e32 v5, 0xffff0000, v5
	s_delay_alu instid0(VALU_DEP_3) | instskip(SKIP_1) | instid1(VALU_DEP_1)
	v_cndmask_b32_e64 v2, 0, v2, s0
	v_cmp_gt_i32_e64 s0, s29, v49
	v_cndmask_b32_e64 v3, 0, v3, s0
	v_cmp_gt_i32_e64 s0, s10, v50
	s_delay_alu instid0(VALU_DEP_1) | instskip(SKIP_1) | instid1(VALU_DEP_1)
	v_cndmask_b32_e64 v1, 0, v1, s0
	v_cmp_gt_i32_e64 s0, s29, v48
	v_cndmask_b32_e64 v36, 0, v36, s0
	v_cmp_gt_i32_e64 s0, s29, v46
	s_delay_alu instid0(VALU_DEP_1) | instskip(SKIP_1) | instid1(VALU_DEP_1)
	;; [unrolled: 5-line block ×3, first 2 shown]
	v_dual_cndmask_b32 v4, 0, v4, s0 :: v_dual_bitop2_b32 v5, v83, v5 bitop3:0x54
	v_cmp_gt_i32_e64 s0, s29, v43
	v_cndmask_b32_e64 v51, 0, v51, s0
.LBB97_76:                              ;   in Loop: Header=BB97_45 Depth=1
	s_or_b32 exec_lo, exec_lo, s17
	v_dual_lshlrev_b32 v36, 16, v36 :: v_dual_lshlrev_b32 v1, 16, v1
	s_delay_alu instid0(VALU_DEP_2) | instskip(NEXT) | instid1(VALU_DEP_2)
	v_lshlrev_b32_e32 v51, 16, v51
	v_and_or_b32 v2, 0xffff, v2, v36
	s_delay_alu instid0(VALU_DEP_3) | instskip(NEXT) | instid1(VALU_DEP_3)
	v_and_or_b32 v1, 0xffff, v3, v1
	v_and_or_b32 v3, 0xffff, v4, v51
	;;#ASMSTART
	v_pk_mul_f16 v2, v53, v2;

	;;#ASMEND
	;;#ASMSTART
	v_pk_mul_f16 v1, v52, v1;

	;;#ASMEND
	;; [unrolled: 4-line block ×4, first 2 shown]
	;;#ASMSTART
	v_pk_add_f16 v1, v2, v1;

	;;#ASMEND
	;;#ASMSTART
	v_pk_add_f16 v1, v1, v3;

	;;#ASMEND
	;; [unrolled: 4-line block ×3, first 2 shown]
	v_and_b32_e32 v2, 0xffff, v1
	v_lshrrev_b32_e32 v1, 16, v1
	;;#ASMSTART
	v_cvt_f32_f16 v83, v2;
	;;#ASMEND
	;;#ASMSTART
	v_cvt_f32_f16 v84, v1;
	;;#ASMEND
	global_load_b128 v[2:5], v[34:35], off offset:7680
	s_wait_loadcnt 0x0
	v_dual_lshrrev_b32 v1, 16, v3 :: v_dual_lshrrev_b32 v36, 16, v2
	v_lshrrev_b32_e32 v51, 16, v4
	s_and_saveexec_b32 s17, vcc_lo
	s_cbranch_execz .LBB97_78
; %bb.77:                               ;   in Loop: Header=BB97_45 Depth=1
	v_cmp_gt_i32_e64 s0, s29, v47
	v_and_b32_e32 v85, 0xffff, v5
	v_and_b32_e32 v5, 0xffff0000, v5
	s_delay_alu instid0(VALU_DEP_3) | instskip(SKIP_1) | instid1(VALU_DEP_1)
	v_cndmask_b32_e64 v2, 0, v2, s0
	v_cmp_gt_i32_e64 s0, s29, v49
	v_cndmask_b32_e64 v3, 0, v3, s0
	v_cmp_gt_i32_e64 s0, s10, v50
	s_delay_alu instid0(VALU_DEP_1) | instskip(SKIP_1) | instid1(VALU_DEP_1)
	v_cndmask_b32_e64 v1, 0, v1, s0
	v_cmp_gt_i32_e64 s0, s29, v48
	v_cndmask_b32_e64 v36, 0, v36, s0
	v_cmp_gt_i32_e64 s0, s29, v46
	s_delay_alu instid0(VALU_DEP_1) | instskip(SKIP_1) | instid1(VALU_DEP_1)
	;; [unrolled: 5-line block ×3, first 2 shown]
	v_cndmask_b32_e64 v4, 0, v4, s0
	v_cmp_gt_i32_e64 s0, s29, v43
	v_dual_cndmask_b32 v51, 0, v51, s0 :: v_dual_bitop2_b32 v5, v85, v5 bitop3:0x54
.LBB97_78:                              ;   in Loop: Header=BB97_45 Depth=1
	s_or_b32 exec_lo, exec_lo, s17
	v_dual_lshlrev_b32 v36, 16, v36 :: v_dual_lshlrev_b32 v1, 16, v1
	s_delay_alu instid0(VALU_DEP_2) | instskip(NEXT) | instid1(VALU_DEP_2)
	v_lshlrev_b32_e32 v51, 16, v51
	v_and_or_b32 v2, 0xffff, v2, v36
	s_delay_alu instid0(VALU_DEP_3) | instskip(NEXT) | instid1(VALU_DEP_3)
	v_and_or_b32 v1, 0xffff, v3, v1
	v_and_or_b32 v3, 0xffff, v4, v51
	;;#ASMSTART
	v_pk_mul_f16 v2, v53, v2;

	;;#ASMEND
	;;#ASMSTART
	v_pk_mul_f16 v1, v52, v1;

	;;#ASMEND
	;; [unrolled: 4-line block ×4, first 2 shown]
	;;#ASMSTART
	v_pk_add_f16 v1, v2, v1;

	;;#ASMEND
	;;#ASMSTART
	v_pk_add_f16 v1, v1, v3;

	;;#ASMEND
	;; [unrolled: 4-line block ×3, first 2 shown]
	v_and_b32_e32 v2, 0xffff, v1
	v_lshrrev_b32_e32 v1, 16, v1
	;;#ASMSTART
	v_cvt_f32_f16 v85, v2;
	;;#ASMEND
	;;#ASMSTART
	v_cvt_f32_f16 v86, v1;
	;;#ASMEND
	global_load_b128 v[2:5], v[34:35], off offset:8192
	s_wait_loadcnt 0x0
	v_dual_lshrrev_b32 v1, 16, v3 :: v_dual_lshrrev_b32 v36, 16, v2
	v_lshrrev_b32_e32 v51, 16, v4
	s_and_saveexec_b32 s17, vcc_lo
	s_cbranch_execz .LBB97_80
; %bb.79:                               ;   in Loop: Header=BB97_45 Depth=1
	v_cmp_gt_i32_e64 s0, s29, v47
	v_and_b32_e32 v87, 0xffff, v5
	v_and_b32_e32 v5, 0xffff0000, v5
	s_delay_alu instid0(VALU_DEP_3) | instskip(SKIP_1) | instid1(VALU_DEP_1)
	v_cndmask_b32_e64 v2, 0, v2, s0
	v_cmp_gt_i32_e64 s0, s29, v49
	v_cndmask_b32_e64 v3, 0, v3, s0
	v_cmp_gt_i32_e64 s0, s10, v50
	s_delay_alu instid0(VALU_DEP_1) | instskip(SKIP_1) | instid1(VALU_DEP_1)
	v_cndmask_b32_e64 v1, 0, v1, s0
	v_cmp_gt_i32_e64 s0, s29, v48
	v_cndmask_b32_e64 v36, 0, v36, s0
	v_cmp_gt_i32_e64 s0, s29, v46
	s_delay_alu instid0(VALU_DEP_1) | instskip(SKIP_1) | instid1(VALU_DEP_1)
	;; [unrolled: 5-line block ×3, first 2 shown]
	v_dual_cndmask_b32 v4, 0, v4, s0 :: v_dual_bitop2_b32 v5, v87, v5 bitop3:0x54
	v_cmp_gt_i32_e64 s0, s29, v43
	v_cndmask_b32_e64 v51, 0, v51, s0
.LBB97_80:                              ;   in Loop: Header=BB97_45 Depth=1
	s_or_b32 exec_lo, exec_lo, s17
	v_dual_lshlrev_b32 v36, 16, v36 :: v_dual_lshlrev_b32 v1, 16, v1
	s_delay_alu instid0(VALU_DEP_2) | instskip(NEXT) | instid1(VALU_DEP_2)
	v_lshlrev_b32_e32 v51, 16, v51
	v_and_or_b32 v2, 0xffff, v2, v36
	s_delay_alu instid0(VALU_DEP_3) | instskip(NEXT) | instid1(VALU_DEP_3)
	v_and_or_b32 v1, 0xffff, v3, v1
	v_and_or_b32 v3, 0xffff, v4, v51
	;;#ASMSTART
	v_pk_mul_f16 v2, v53, v2;

	;;#ASMEND
	;;#ASMSTART
	v_pk_mul_f16 v1, v52, v1;

	;;#ASMEND
	;; [unrolled: 4-line block ×4, first 2 shown]
	;;#ASMSTART
	v_pk_add_f16 v1, v2, v1;

	;;#ASMEND
	;;#ASMSTART
	v_pk_add_f16 v1, v1, v3;

	;;#ASMEND
	;; [unrolled: 4-line block ×3, first 2 shown]
	v_and_b32_e32 v2, 0xffff, v1
	v_lshrrev_b32_e32 v1, 16, v1
	;;#ASMSTART
	v_cvt_f32_f16 v87, v2;
	;;#ASMEND
	;;#ASMSTART
	v_cvt_f32_f16 v88, v1;
	;;#ASMEND
	global_load_b128 v[2:5], v[34:35], off offset:8704
	s_wait_loadcnt 0x0
	v_dual_lshrrev_b32 v1, 16, v3 :: v_dual_lshrrev_b32 v36, 16, v2
	v_lshrrev_b32_e32 v51, 16, v4
	s_and_saveexec_b32 s17, vcc_lo
	s_cbranch_execz .LBB97_82
; %bb.81:                               ;   in Loop: Header=BB97_45 Depth=1
	v_cmp_gt_i32_e64 s0, s29, v47
	v_and_b32_e32 v89, 0xffff, v5
	v_and_b32_e32 v5, 0xffff0000, v5
	s_delay_alu instid0(VALU_DEP_3) | instskip(SKIP_1) | instid1(VALU_DEP_1)
	v_cndmask_b32_e64 v2, 0, v2, s0
	v_cmp_gt_i32_e64 s0, s29, v49
	v_cndmask_b32_e64 v3, 0, v3, s0
	v_cmp_gt_i32_e64 s0, s10, v50
	s_delay_alu instid0(VALU_DEP_1) | instskip(SKIP_1) | instid1(VALU_DEP_1)
	v_cndmask_b32_e64 v1, 0, v1, s0
	v_cmp_gt_i32_e64 s0, s29, v48
	v_cndmask_b32_e64 v36, 0, v36, s0
	v_cmp_gt_i32_e64 s0, s29, v46
	s_delay_alu instid0(VALU_DEP_1) | instskip(SKIP_1) | instid1(VALU_DEP_1)
	v_cndmask_b32_e64 v89, 0, v89, s0
	v_cmp_gt_i32_e64 s0, s29, v45
	v_cndmask_b32_e64 v5, 0, v5, s0
	v_cmp_gt_i32_e64 s0, s29, v44
	s_delay_alu instid0(VALU_DEP_1) | instskip(SKIP_1) | instid1(VALU_DEP_1)
	v_cndmask_b32_e64 v4, 0, v4, s0
	v_cmp_gt_i32_e64 s0, s29, v43
	v_dual_cndmask_b32 v51, 0, v51, s0 :: v_dual_bitop2_b32 v5, v89, v5 bitop3:0x54
.LBB97_82:                              ;   in Loop: Header=BB97_45 Depth=1
	s_or_b32 exec_lo, exec_lo, s17
	v_dual_lshlrev_b32 v36, 16, v36 :: v_dual_lshlrev_b32 v1, 16, v1
	s_delay_alu instid0(VALU_DEP_2) | instskip(NEXT) | instid1(VALU_DEP_2)
	v_lshlrev_b32_e32 v51, 16, v51
	v_and_or_b32 v2, 0xffff, v2, v36
	s_delay_alu instid0(VALU_DEP_3) | instskip(NEXT) | instid1(VALU_DEP_3)
	v_and_or_b32 v1, 0xffff, v3, v1
	v_and_or_b32 v3, 0xffff, v4, v51
	;;#ASMSTART
	v_pk_mul_f16 v2, v53, v2;

	;;#ASMEND
	;;#ASMSTART
	v_pk_mul_f16 v1, v52, v1;

	;;#ASMEND
	;; [unrolled: 4-line block ×4, first 2 shown]
	;;#ASMSTART
	v_pk_add_f16 v1, v2, v1;

	;;#ASMEND
	;;#ASMSTART
	v_pk_add_f16 v1, v1, v3;

	;;#ASMEND
	;;#ASMSTART
	v_pk_add_f16 v1, v1, v4;

	;;#ASMEND
	v_and_b32_e32 v2, 0xffff, v1
	v_lshrrev_b32_e32 v1, 16, v1
	;;#ASMSTART
	v_cvt_f32_f16 v89, v2;
	;;#ASMEND
	;;#ASMSTART
	v_cvt_f32_f16 v90, v1;
	;;#ASMEND
	global_load_b128 v[2:5], v[34:35], off offset:9216
	s_wait_loadcnt 0x0
	v_dual_lshrrev_b32 v1, 16, v3 :: v_dual_lshrrev_b32 v36, 16, v2
	v_lshrrev_b32_e32 v51, 16, v4
	s_and_saveexec_b32 s17, vcc_lo
	s_cbranch_execz .LBB97_84
; %bb.83:                               ;   in Loop: Header=BB97_45 Depth=1
	v_cmp_gt_i32_e64 s0, s29, v47
	v_and_b32_e32 v91, 0xffff, v5
	v_and_b32_e32 v5, 0xffff0000, v5
	s_delay_alu instid0(VALU_DEP_3) | instskip(SKIP_1) | instid1(VALU_DEP_1)
	v_cndmask_b32_e64 v2, 0, v2, s0
	v_cmp_gt_i32_e64 s0, s29, v49
	v_cndmask_b32_e64 v3, 0, v3, s0
	v_cmp_gt_i32_e64 s0, s10, v50
	s_delay_alu instid0(VALU_DEP_1) | instskip(SKIP_1) | instid1(VALU_DEP_1)
	v_cndmask_b32_e64 v1, 0, v1, s0
	v_cmp_gt_i32_e64 s0, s29, v48
	v_cndmask_b32_e64 v36, 0, v36, s0
	v_cmp_gt_i32_e64 s0, s29, v46
	s_delay_alu instid0(VALU_DEP_1) | instskip(SKIP_1) | instid1(VALU_DEP_1)
	;; [unrolled: 5-line block ×3, first 2 shown]
	v_dual_cndmask_b32 v4, 0, v4, s0 :: v_dual_bitop2_b32 v5, v91, v5 bitop3:0x54
	v_cmp_gt_i32_e64 s0, s29, v43
	v_cndmask_b32_e64 v51, 0, v51, s0
.LBB97_84:                              ;   in Loop: Header=BB97_45 Depth=1
	s_or_b32 exec_lo, exec_lo, s17
	v_dual_lshlrev_b32 v36, 16, v36 :: v_dual_lshlrev_b32 v1, 16, v1
	s_delay_alu instid0(VALU_DEP_2) | instskip(NEXT) | instid1(VALU_DEP_2)
	v_lshlrev_b32_e32 v51, 16, v51
	v_and_or_b32 v2, 0xffff, v2, v36
	s_delay_alu instid0(VALU_DEP_3) | instskip(NEXT) | instid1(VALU_DEP_3)
	v_and_or_b32 v1, 0xffff, v3, v1
	v_and_or_b32 v3, 0xffff, v4, v51
	;;#ASMSTART
	v_pk_mul_f16 v2, v53, v2;

	;;#ASMEND
	;;#ASMSTART
	v_pk_mul_f16 v1, v52, v1;

	;;#ASMEND
	;;#ASMSTART
	v_pk_mul_f16 v3, v54, v3;

	;;#ASMEND
	;;#ASMSTART
	v_pk_mul_f16 v4, v55, v5;

	;;#ASMEND
	;;#ASMSTART
	v_pk_add_f16 v1, v2, v1;

	;;#ASMEND
	;;#ASMSTART
	v_pk_add_f16 v1, v1, v3;

	;;#ASMEND
	;; [unrolled: 4-line block ×3, first 2 shown]
	v_and_b32_e32 v2, 0xffff, v1
	v_lshrrev_b32_e32 v1, 16, v1
	;;#ASMSTART
	v_cvt_f32_f16 v91, v2;
	;;#ASMEND
	;;#ASMSTART
	v_cvt_f32_f16 v92, v1;
	;;#ASMEND
	global_load_b128 v[2:5], v[34:35], off offset:9728
	s_wait_loadcnt 0x0
	v_dual_lshrrev_b32 v1, 16, v3 :: v_dual_lshrrev_b32 v36, 16, v2
	v_lshrrev_b32_e32 v51, 16, v4
	s_and_saveexec_b32 s17, vcc_lo
	s_cbranch_execz .LBB97_86
; %bb.85:                               ;   in Loop: Header=BB97_45 Depth=1
	v_cmp_gt_i32_e64 s0, s29, v47
	v_and_b32_e32 v93, 0xffff, v5
	v_and_b32_e32 v5, 0xffff0000, v5
	s_delay_alu instid0(VALU_DEP_3) | instskip(SKIP_1) | instid1(VALU_DEP_1)
	v_cndmask_b32_e64 v2, 0, v2, s0
	v_cmp_gt_i32_e64 s0, s29, v49
	v_cndmask_b32_e64 v3, 0, v3, s0
	v_cmp_gt_i32_e64 s0, s10, v50
	s_delay_alu instid0(VALU_DEP_1) | instskip(SKIP_1) | instid1(VALU_DEP_1)
	v_cndmask_b32_e64 v1, 0, v1, s0
	v_cmp_gt_i32_e64 s0, s29, v48
	v_cndmask_b32_e64 v36, 0, v36, s0
	v_cmp_gt_i32_e64 s0, s29, v46
	s_delay_alu instid0(VALU_DEP_1) | instskip(SKIP_1) | instid1(VALU_DEP_1)
	;; [unrolled: 5-line block ×3, first 2 shown]
	v_cndmask_b32_e64 v4, 0, v4, s0
	v_cmp_gt_i32_e64 s0, s29, v43
	v_dual_cndmask_b32 v51, 0, v51, s0 :: v_dual_bitop2_b32 v5, v93, v5 bitop3:0x54
.LBB97_86:                              ;   in Loop: Header=BB97_45 Depth=1
	s_or_b32 exec_lo, exec_lo, s17
	v_dual_lshlrev_b32 v36, 16, v36 :: v_dual_lshlrev_b32 v1, 16, v1
	s_delay_alu instid0(VALU_DEP_2) | instskip(NEXT) | instid1(VALU_DEP_2)
	v_lshlrev_b32_e32 v51, 16, v51
	v_and_or_b32 v2, 0xffff, v2, v36
	s_delay_alu instid0(VALU_DEP_3) | instskip(NEXT) | instid1(VALU_DEP_3)
	v_and_or_b32 v1, 0xffff, v3, v1
	v_and_or_b32 v3, 0xffff, v4, v51
	;;#ASMSTART
	v_pk_mul_f16 v2, v53, v2;

	;;#ASMEND
	;;#ASMSTART
	v_pk_mul_f16 v1, v52, v1;

	;;#ASMEND
	;; [unrolled: 4-line block ×4, first 2 shown]
	;;#ASMSTART
	v_pk_add_f16 v1, v2, v1;

	;;#ASMEND
	;;#ASMSTART
	v_pk_add_f16 v1, v1, v3;

	;;#ASMEND
	;; [unrolled: 4-line block ×3, first 2 shown]
	v_and_b32_e32 v2, 0xffff, v1
	v_lshrrev_b32_e32 v1, 16, v1
	;;#ASMSTART
	v_cvt_f32_f16 v93, v2;
	;;#ASMEND
	;;#ASMSTART
	v_cvt_f32_f16 v94, v1;
	;;#ASMEND
	global_load_b128 v[2:5], v[34:35], off offset:10240
	s_wait_loadcnt 0x0
	v_dual_lshrrev_b32 v1, 16, v3 :: v_dual_lshrrev_b32 v36, 16, v2
	v_lshrrev_b32_e32 v51, 16, v4
	s_and_saveexec_b32 s17, vcc_lo
	s_cbranch_execz .LBB97_88
; %bb.87:                               ;   in Loop: Header=BB97_45 Depth=1
	v_cmp_gt_i32_e64 s0, s29, v47
	v_and_b32_e32 v95, 0xffff, v5
	v_and_b32_e32 v5, 0xffff0000, v5
	s_delay_alu instid0(VALU_DEP_3) | instskip(SKIP_1) | instid1(VALU_DEP_1)
	v_cndmask_b32_e64 v2, 0, v2, s0
	v_cmp_gt_i32_e64 s0, s29, v49
	v_cndmask_b32_e64 v3, 0, v3, s0
	v_cmp_gt_i32_e64 s0, s10, v50
	s_delay_alu instid0(VALU_DEP_1) | instskip(SKIP_1) | instid1(VALU_DEP_1)
	v_cndmask_b32_e64 v1, 0, v1, s0
	v_cmp_gt_i32_e64 s0, s29, v48
	v_cndmask_b32_e64 v36, 0, v36, s0
	v_cmp_gt_i32_e64 s0, s29, v46
	s_delay_alu instid0(VALU_DEP_1) | instskip(SKIP_1) | instid1(VALU_DEP_1)
	;; [unrolled: 5-line block ×3, first 2 shown]
	v_dual_cndmask_b32 v4, 0, v4, s0 :: v_dual_bitop2_b32 v5, v95, v5 bitop3:0x54
	v_cmp_gt_i32_e64 s0, s29, v43
	v_cndmask_b32_e64 v51, 0, v51, s0
.LBB97_88:                              ;   in Loop: Header=BB97_45 Depth=1
	s_or_b32 exec_lo, exec_lo, s17
	v_dual_lshlrev_b32 v36, 16, v36 :: v_dual_lshlrev_b32 v1, 16, v1
	s_delay_alu instid0(VALU_DEP_2) | instskip(NEXT) | instid1(VALU_DEP_2)
	v_lshlrev_b32_e32 v51, 16, v51
	v_and_or_b32 v2, 0xffff, v2, v36
	s_delay_alu instid0(VALU_DEP_3) | instskip(NEXT) | instid1(VALU_DEP_3)
	v_and_or_b32 v1, 0xffff, v3, v1
	v_and_or_b32 v3, 0xffff, v4, v51
	;;#ASMSTART
	v_pk_mul_f16 v2, v53, v2;

	;;#ASMEND
	;;#ASMSTART
	v_pk_mul_f16 v1, v52, v1;

	;;#ASMEND
	;;#ASMSTART
	v_pk_mul_f16 v3, v54, v3;

	;;#ASMEND
	;;#ASMSTART
	v_pk_mul_f16 v4, v55, v5;

	;;#ASMEND
	;;#ASMSTART
	v_pk_add_f16 v1, v2, v1;

	;;#ASMEND
	;;#ASMSTART
	v_pk_add_f16 v1, v1, v3;

	;;#ASMEND
	;;#ASMSTART
	v_pk_add_f16 v1, v1, v4;

	;;#ASMEND
	v_and_b32_e32 v2, 0xffff, v1
	v_lshrrev_b32_e32 v1, 16, v1
	;;#ASMSTART
	v_cvt_f32_f16 v95, v2;
	;;#ASMEND
	;;#ASMSTART
	v_cvt_f32_f16 v96, v1;
	;;#ASMEND
	global_load_b128 v[2:5], v[34:35], off offset:10752
	s_wait_loadcnt 0x0
	v_dual_lshrrev_b32 v1, 16, v3 :: v_dual_lshrrev_b32 v36, 16, v2
	v_lshrrev_b32_e32 v51, 16, v4
	s_and_saveexec_b32 s17, vcc_lo
	s_cbranch_execz .LBB97_90
; %bb.89:                               ;   in Loop: Header=BB97_45 Depth=1
	v_cmp_gt_i32_e64 s0, s29, v47
	v_and_b32_e32 v97, 0xffff, v5
	v_and_b32_e32 v5, 0xffff0000, v5
	s_delay_alu instid0(VALU_DEP_3) | instskip(SKIP_1) | instid1(VALU_DEP_1)
	v_cndmask_b32_e64 v2, 0, v2, s0
	v_cmp_gt_i32_e64 s0, s29, v49
	v_cndmask_b32_e64 v3, 0, v3, s0
	v_cmp_gt_i32_e64 s0, s10, v50
	s_delay_alu instid0(VALU_DEP_1) | instskip(SKIP_1) | instid1(VALU_DEP_1)
	v_cndmask_b32_e64 v1, 0, v1, s0
	v_cmp_gt_i32_e64 s0, s29, v48
	v_cndmask_b32_e64 v36, 0, v36, s0
	v_cmp_gt_i32_e64 s0, s29, v46
	s_delay_alu instid0(VALU_DEP_1) | instskip(SKIP_1) | instid1(VALU_DEP_1)
	;; [unrolled: 5-line block ×3, first 2 shown]
	v_cndmask_b32_e64 v4, 0, v4, s0
	v_cmp_gt_i32_e64 s0, s29, v43
	v_dual_cndmask_b32 v51, 0, v51, s0 :: v_dual_bitop2_b32 v5, v97, v5 bitop3:0x54
.LBB97_90:                              ;   in Loop: Header=BB97_45 Depth=1
	s_or_b32 exec_lo, exec_lo, s17
	v_dual_lshlrev_b32 v36, 16, v36 :: v_dual_lshlrev_b32 v1, 16, v1
	s_delay_alu instid0(VALU_DEP_2) | instskip(NEXT) | instid1(VALU_DEP_2)
	v_lshlrev_b32_e32 v51, 16, v51
	v_and_or_b32 v2, 0xffff, v2, v36
	s_delay_alu instid0(VALU_DEP_3) | instskip(NEXT) | instid1(VALU_DEP_3)
	v_and_or_b32 v1, 0xffff, v3, v1
	v_and_or_b32 v3, 0xffff, v4, v51
	;;#ASMSTART
	v_pk_mul_f16 v2, v53, v2;

	;;#ASMEND
	;;#ASMSTART
	v_pk_mul_f16 v1, v52, v1;

	;;#ASMEND
	;; [unrolled: 4-line block ×4, first 2 shown]
	;;#ASMSTART
	v_pk_add_f16 v1, v2, v1;

	;;#ASMEND
	;;#ASMSTART
	v_pk_add_f16 v1, v1, v3;

	;;#ASMEND
	;; [unrolled: 4-line block ×3, first 2 shown]
	v_and_b32_e32 v2, 0xffff, v1
	v_lshrrev_b32_e32 v1, 16, v1
	;;#ASMSTART
	v_cvt_f32_f16 v97, v2;
	;;#ASMEND
	;;#ASMSTART
	v_cvt_f32_f16 v100, v1;
	;;#ASMEND
	global_load_b128 v[2:5], v[34:35], off offset:11264
	s_wait_loadcnt 0x0
	v_dual_lshrrev_b32 v1, 16, v3 :: v_dual_lshrrev_b32 v36, 16, v2
	v_lshrrev_b32_e32 v51, 16, v4
	s_and_saveexec_b32 s17, vcc_lo
	s_cbranch_execz .LBB97_92
; %bb.91:                               ;   in Loop: Header=BB97_45 Depth=1
	v_cmp_gt_i32_e64 s0, s29, v47
	v_and_b32_e32 v101, 0xffff, v5
	v_and_b32_e32 v5, 0xffff0000, v5
	s_delay_alu instid0(VALU_DEP_3) | instskip(SKIP_1) | instid1(VALU_DEP_1)
	v_cndmask_b32_e64 v2, 0, v2, s0
	v_cmp_gt_i32_e64 s0, s29, v49
	v_cndmask_b32_e64 v3, 0, v3, s0
	v_cmp_gt_i32_e64 s0, s10, v50
	s_delay_alu instid0(VALU_DEP_1) | instskip(SKIP_1) | instid1(VALU_DEP_1)
	v_cndmask_b32_e64 v1, 0, v1, s0
	v_cmp_gt_i32_e64 s0, s29, v48
	v_cndmask_b32_e64 v36, 0, v36, s0
	v_cmp_gt_i32_e64 s0, s29, v46
	s_delay_alu instid0(VALU_DEP_1) | instskip(SKIP_1) | instid1(VALU_DEP_1)
	;; [unrolled: 5-line block ×3, first 2 shown]
	v_cndmask_b32_e64 v4, 0, v4, s0
	v_cmp_gt_i32_e64 s0, s29, v43
	v_dual_cndmask_b32 v51, 0, v51, s0 :: v_dual_bitop2_b32 v5, v101, v5 bitop3:0x54
.LBB97_92:                              ;   in Loop: Header=BB97_45 Depth=1
	s_or_b32 exec_lo, exec_lo, s17
	v_dual_lshlrev_b32 v36, 16, v36 :: v_dual_lshlrev_b32 v1, 16, v1
	s_delay_alu instid0(VALU_DEP_2) | instskip(NEXT) | instid1(VALU_DEP_2)
	v_lshlrev_b32_e32 v51, 16, v51
	v_and_or_b32 v2, 0xffff, v2, v36
	s_delay_alu instid0(VALU_DEP_3) | instskip(NEXT) | instid1(VALU_DEP_3)
	v_and_or_b32 v1, 0xffff, v3, v1
	v_and_or_b32 v3, 0xffff, v4, v51
	;;#ASMSTART
	v_pk_mul_f16 v2, v53, v2;

	;;#ASMEND
	;;#ASMSTART
	v_pk_mul_f16 v1, v52, v1;

	;;#ASMEND
	;; [unrolled: 4-line block ×4, first 2 shown]
	;;#ASMSTART
	v_pk_add_f16 v1, v2, v1;

	;;#ASMEND
	;;#ASMSTART
	v_pk_add_f16 v1, v1, v3;

	;;#ASMEND
	;; [unrolled: 4-line block ×3, first 2 shown]
	v_and_b32_e32 v2, 0xffff, v1
	v_lshrrev_b32_e32 v1, 16, v1
	;;#ASMSTART
	v_cvt_f32_f16 v36, v2;
	;;#ASMEND
	;;#ASMSTART
	v_cvt_f32_f16 v51, v1;
	;;#ASMEND
	global_load_b128 v[2:5], v[34:35], off offset:11776
	s_wait_loadcnt 0x0
	v_dual_lshrrev_b32 v1, 16, v3 :: v_dual_lshrrev_b32 v34, 16, v2
	v_lshrrev_b32_e32 v35, 16, v4
	s_and_saveexec_b32 s0, vcc_lo
	s_cbranch_execz .LBB97_43
; %bb.93:                               ;   in Loop: Header=BB97_45 Depth=1
	v_cmp_gt_i32_e32 vcc_lo, s29, v47
	v_and_b32_e32 v47, 0xffff, v5
	v_and_b32_e32 v5, 0xffff0000, v5
	v_cndmask_b32_e32 v2, 0, v2, vcc_lo
	v_cmp_gt_i32_e32 vcc_lo, s29, v49
	v_cndmask_b32_e32 v3, 0, v3, vcc_lo
	v_cmp_gt_i32_e32 vcc_lo, s10, v50
	;; [unrolled: 2-line block ×6, first 2 shown]
	s_delay_alu instid0(VALU_DEP_2)
	v_dual_cndmask_b32 v4, 0, v4, vcc_lo :: v_dual_bitop2_b32 v5, v46, v5 bitop3:0x54
	v_cmp_gt_i32_e32 vcc_lo, s29, v43
	v_cndmask_b32_e32 v35, 0, v35, vcc_lo
	s_branch .LBB97_43
.LBB97_94:
	s_or_b32 exec_lo, exec_lo, s11
.LBB97_95:
	s_delay_alu instid0(SALU_CYCLE_1)
	s_or_b32 exec_lo, exec_lo, s1
	ds_bpermute_b32 v0, v38, v28
	ds_bpermute_b32 v1, v38, v29
	;; [unrolled: 1-line block ×16, first 2 shown]
	s_mov_b32 s0, exec_lo
	s_wait_dscnt 0xe
	v_pk_add_f32 v[0:1], v[28:29], v[0:1]
	ds_bpermute_b32 v28, v38, v12
	s_wait_dscnt 0xd
	v_pk_add_f32 v[30:31], v[22:23], v[30:31]
	ds_bpermute_b32 v29, v38, v13
	;; [unrolled: 3-line block ×3, first 2 shown]
	ds_bpermute_b32 v23, v37, v1
	s_wait_dscnt 0xc
	v_pk_add_f32 v[4:5], v[24:25], v[4:5]
	ds_bpermute_b32 v24, v38, v10
	ds_bpermute_b32 v25, v38, v11
	;; [unrolled: 1-line block ×4, first 2 shown]
	s_wait_dscnt 0xe
	v_pk_add_f32 v[34:35], v[18:19], v[34:35]
	ds_bpermute_b32 v18, v38, v6
	ds_bpermute_b32 v19, v38, v7
	s_wait_dscnt 0xe
	v_pk_add_f32 v[32:33], v[20:21], v[32:33]
	s_wait_dscnt 0xc
	v_pk_add_f32 v[40:41], v[16:17], v[40:41]
	;; [unrolled: 2-line block ×3, first 2 shown]
	ds_bpermute_b32 v44, v37, v2
	ds_bpermute_b32 v45, v37, v3
	ds_bpermute_b32 v46, v37, v4
	ds_bpermute_b32 v47, v37, v5
	ds_bpermute_b32 v48, v37, v30
	s_wait_dscnt 0xd
	v_pk_add_f32 v[28:29], v[12:13], v[28:29]
	ds_bpermute_b32 v49, v37, v31
	ds_bpermute_b32 v50, v37, v32
	s_wait_dscnt 0xd
	v_pk_add_f32 v[22:23], v[0:1], v[22:23]
	scratch_load_b32 v1, off, off offset:100 ; 4-byte Folded Reload
	ds_bpermute_b32 v51, v37, v33
	s_wait_dscnt 0xc
	v_pk_add_f32 v[58:59], v[10:11], v[24:25]
	ds_bpermute_b32 v52, v37, v34
	s_wait_dscnt 0xb
	v_pk_add_f32 v[60:61], v[8:9], v[26:27]
	ds_bpermute_b32 v53, v37, v35
	ds_bpermute_b32 v54, v37, v40
	;; [unrolled: 1-line block ×11, first 2 shown]
	s_wait_dscnt 0x14
	v_pk_add_f32 v[24:25], v[6:7], v[18:19]
	s_wait_dscnt 0x12
	v_pk_add_f32 v[20:21], v[2:3], v[44:45]
	;; [unrolled: 2-line block ×4, first 2 shown]
	v_and_b32_e32 v0, 0x3c3, v102
	ds_bpermute_b32 v26, v37, v24
	ds_bpermute_b32 v27, v37, v25
	s_wait_dscnt 0xe
	v_pk_add_f32 v[14:15], v[32:33], v[50:51]
	s_wait_loadcnt_dscnt 0x0
	v_pk_add_f32 v[12:13], v[34:35], v[52:53]
	s_barrier_signal -1
	v_pk_add_f32 v[10:11], v[40:41], v[54:55]
	s_barrier_wait -1
	v_pk_add_f32 v[6:7], v[42:43], v[56:57]
	v_pk_add_f32 v[8:9], v[28:29], v[8:9]
	;; [unrolled: 1-line block ×4, first 2 shown]
	v_and_b32_e32 v1, 28, v1
	v_cmpx_ne_u32_e32 64, v0
	s_xor_b32 s0, exec_lo, s0
	s_delay_alu instid0(SALU_CYCLE_1)
	s_or_saveexec_b32 s0, s0
	scratch_load_b32 v0, off, off offset:100 th:TH_LOAD_LU ; 4-byte Folded Reload
	v_pk_add_f32 v[24:25], v[24:25], v[26:27]
	v_add_nc_u32_e32 v26, 0x1a0, v1
	v_mul_u32_u24_e32 v1, 0x300, v103
	s_wait_loadcnt 0x0
	v_lshrrev_b32_e32 v27, 2, v0
	s_xor_b32 exec_lo, exec_lo, s0
	s_cbranch_execz .LBB97_97
; %bb.96:
	v_add_nc_u32_e32 v0, v26, v1
	s_delay_alu instid0(VALU_DEP_1)
	v_add_nc_u32_e32 v28, 0xfffffa00, v0
	v_add_nc_u32_e32 v29, 0xfffffa20, v0
	v_add_nc_u32_e32 v30, 0xfffffa40, v0
	v_add_nc_u32_e32 v31, 0xfffffa60, v0
	v_add_nc_u32_e32 v32, 0xfffffa80, v0
	v_add_nc_u32_e32 v33, 0xfffffaa0, v0
	v_add_nc_u32_e32 v34, 0xfffffac0, v0
	v_add_nc_u32_e32 v35, 0xfffffae0, v0
	ds_store_b32 v28, v22
	ds_store_b32 v29, v23
	ds_store_b32 v30, v20
	ds_store_b32 v31, v21
	ds_store_b32 v32, v18
	ds_store_b32 v33, v19
	ds_store_b32 v34, v16
	ds_store_b32 v35, v17
	v_add_nc_u32_e32 v28, 0xfffffb00, v0
	v_add_nc_u32_e32 v29, 0xfffffb20, v0
	v_add_nc_u32_e32 v30, 0xfffffb40, v0
	v_add_nc_u32_e32 v31, 0xfffffb60, v0
	v_add_nc_u32_e32 v32, 0xfffffb80, v0
	v_add_nc_u32_e32 v33, 0xfffffba0, v0
	v_add_nc_u32_e32 v34, 0xfffffbc0, v0
	v_add_nc_u32_e32 v35, 0xfffffbe0, v0
	ds_store_b32 v28, v14
	ds_store_b32 v29, v15
	ds_store_b32 v30, v12
	ds_store_b32 v31, v13
	ds_store_b32 v32, v10
	ds_store_b32 v33, v11
	ds_store_b32 v34, v6
	ds_store_b32 v35, v7
	;; [unrolled: 16-line block ×3, first 2 shown]
.LBB97_97:
	s_or_b32 exec_lo, exec_lo, s0
	s_delay_alu instid0(VALU_DEP_1)
	v_lshlrev_b32_e32 v0, 2, v27
	s_mov_b32 s1, exec_lo
	v_cmp_eq_u32_e32 vcc_lo, 0, v39
	s_wait_dscnt 0x0
	s_barrier_signal -1
	v_add3_u32 v1, 0x1a0, v1, v0
	s_barrier_wait -1
	v_cmpx_gt_u32_e32 64, v102
	s_cbranch_execz .LBB97_124
; %bb.98:
	s_and_saveexec_b32 s0, vcc_lo
	s_cbranch_execnz .LBB97_156
; %bb.99:
	s_or_b32 exec_lo, exec_lo, s0
	s_and_saveexec_b32 s0, vcc_lo
	s_cbranch_execnz .LBB97_157
.LBB97_100:
	s_or_b32 exec_lo, exec_lo, s0
	s_and_saveexec_b32 s0, vcc_lo
	s_cbranch_execnz .LBB97_158
.LBB97_101:
	s_or_b32 exec_lo, exec_lo, s0
	s_and_saveexec_b32 s0, vcc_lo
	s_cbranch_execnz .LBB97_159
.LBB97_102:
	s_or_b32 exec_lo, exec_lo, s0
	s_and_saveexec_b32 s0, vcc_lo
	s_cbranch_execnz .LBB97_160
.LBB97_103:
	s_or_b32 exec_lo, exec_lo, s0
	s_and_saveexec_b32 s0, vcc_lo
	s_cbranch_execnz .LBB97_161
.LBB97_104:
	s_or_b32 exec_lo, exec_lo, s0
	s_and_saveexec_b32 s0, vcc_lo
	s_cbranch_execnz .LBB97_162
.LBB97_105:
	s_or_b32 exec_lo, exec_lo, s0
	s_and_saveexec_b32 s0, vcc_lo
	s_cbranch_execnz .LBB97_163
.LBB97_106:
	s_or_b32 exec_lo, exec_lo, s0
	s_and_saveexec_b32 s0, vcc_lo
	s_cbranch_execnz .LBB97_164
.LBB97_107:
	s_or_b32 exec_lo, exec_lo, s0
	s_and_saveexec_b32 s0, vcc_lo
	s_cbranch_execnz .LBB97_165
.LBB97_108:
	s_or_b32 exec_lo, exec_lo, s0
	s_and_saveexec_b32 s0, vcc_lo
	s_cbranch_execnz .LBB97_166
.LBB97_109:
	s_or_b32 exec_lo, exec_lo, s0
	s_and_saveexec_b32 s0, vcc_lo
	s_cbranch_execnz .LBB97_167
.LBB97_110:
	s_or_b32 exec_lo, exec_lo, s0
	s_and_saveexec_b32 s0, vcc_lo
	s_cbranch_execnz .LBB97_168
.LBB97_111:
	s_or_b32 exec_lo, exec_lo, s0
	s_and_saveexec_b32 s0, vcc_lo
	s_cbranch_execnz .LBB97_169
.LBB97_112:
	s_or_b32 exec_lo, exec_lo, s0
	s_and_saveexec_b32 s0, vcc_lo
	s_cbranch_execnz .LBB97_170
.LBB97_113:
	s_or_b32 exec_lo, exec_lo, s0
	s_and_saveexec_b32 s0, vcc_lo
	s_cbranch_execnz .LBB97_171
.LBB97_114:
	s_or_b32 exec_lo, exec_lo, s0
	s_and_saveexec_b32 s0, vcc_lo
	s_cbranch_execnz .LBB97_172
.LBB97_115:
	s_or_b32 exec_lo, exec_lo, s0
	s_and_saveexec_b32 s0, vcc_lo
	s_cbranch_execnz .LBB97_173
.LBB97_116:
	s_or_b32 exec_lo, exec_lo, s0
	s_and_saveexec_b32 s0, vcc_lo
	s_cbranch_execnz .LBB97_174
.LBB97_117:
	s_or_b32 exec_lo, exec_lo, s0
	s_and_saveexec_b32 s0, vcc_lo
	s_cbranch_execnz .LBB97_175
.LBB97_118:
	s_or_b32 exec_lo, exec_lo, s0
	s_and_saveexec_b32 s0, vcc_lo
	s_cbranch_execnz .LBB97_176
.LBB97_119:
	s_or_b32 exec_lo, exec_lo, s0
	s_and_saveexec_b32 s0, vcc_lo
	s_cbranch_execnz .LBB97_177
.LBB97_120:
	s_or_b32 exec_lo, exec_lo, s0
	s_and_saveexec_b32 s0, vcc_lo
	s_cbranch_execnz .LBB97_178
.LBB97_121:
	s_or_b32 exec_lo, exec_lo, s0
	s_and_saveexec_b32 s0, vcc_lo
	s_cbranch_execz .LBB97_123
.LBB97_122:
	ds_load_b32 v0, v1 offset:736
	s_wait_dscnt 0x0
	v_add_f32_e32 v25, v25, v0
.LBB97_123:
	s_or_b32 exec_lo, exec_lo, s0
.LBB97_124:
	s_delay_alu instid0(SALU_CYCLE_1) | instskip(SKIP_4) | instid1(VALU_DEP_1)
	s_or_b32 exec_lo, exec_lo, s1
	v_and_b32_e32 v27, 0x3e3, v102
	s_mov_b32 s1, exec_lo
	s_barrier_signal -1
	s_barrier_wait -1
	v_cmpx_eq_u32_e32 32, v27
	s_cbranch_execz .LBB97_126
; %bb.125:
	ds_store_2addr_b32 v26, v22, v23 offset1:8
	ds_store_2addr_b32 v26, v20, v21 offset0:16 offset1:24
	ds_store_2addr_b32 v26, v18, v19 offset0:32 offset1:40
	;; [unrolled: 1-line block ×11, first 2 shown]
.LBB97_126:
	s_or_b32 exec_lo, exec_lo, s1
	s_delay_alu instid0(SALU_CYCLE_1)
	s_mov_b32 s1, exec_lo
	s_wait_dscnt 0x0
	s_barrier_signal -1
	s_barrier_wait -1
	v_cmpx_gt_u32_e32 32, v102
	s_cbranch_execz .LBB97_153
; %bb.127:
	s_and_saveexec_b32 s0, vcc_lo
	s_cbranch_execnz .LBB97_179
; %bb.128:
	s_or_b32 exec_lo, exec_lo, s0
	s_and_saveexec_b32 s0, vcc_lo
	s_cbranch_execnz .LBB97_180
.LBB97_129:
	s_or_b32 exec_lo, exec_lo, s0
	s_and_saveexec_b32 s0, vcc_lo
	s_cbranch_execnz .LBB97_181
.LBB97_130:
	s_or_b32 exec_lo, exec_lo, s0
	s_and_saveexec_b32 s0, vcc_lo
	s_cbranch_execnz .LBB97_182
.LBB97_131:
	s_or_b32 exec_lo, exec_lo, s0
	s_and_saveexec_b32 s0, vcc_lo
	s_cbranch_execnz .LBB97_183
.LBB97_132:
	s_or_b32 exec_lo, exec_lo, s0
	s_and_saveexec_b32 s0, vcc_lo
	s_cbranch_execnz .LBB97_184
.LBB97_133:
	s_or_b32 exec_lo, exec_lo, s0
	s_and_saveexec_b32 s0, vcc_lo
	s_cbranch_execnz .LBB97_185
.LBB97_134:
	s_or_b32 exec_lo, exec_lo, s0
	s_and_saveexec_b32 s0, vcc_lo
	s_cbranch_execnz .LBB97_186
.LBB97_135:
	s_or_b32 exec_lo, exec_lo, s0
	s_and_saveexec_b32 s0, vcc_lo
	s_cbranch_execnz .LBB97_187
.LBB97_136:
	s_or_b32 exec_lo, exec_lo, s0
	s_and_saveexec_b32 s0, vcc_lo
	s_cbranch_execnz .LBB97_188
.LBB97_137:
	s_or_b32 exec_lo, exec_lo, s0
	s_and_saveexec_b32 s0, vcc_lo
	s_cbranch_execnz .LBB97_189
.LBB97_138:
	s_or_b32 exec_lo, exec_lo, s0
	s_and_saveexec_b32 s0, vcc_lo
	s_cbranch_execnz .LBB97_190
.LBB97_139:
	s_or_b32 exec_lo, exec_lo, s0
	s_and_saveexec_b32 s0, vcc_lo
	s_cbranch_execnz .LBB97_191
.LBB97_140:
	s_or_b32 exec_lo, exec_lo, s0
	s_and_saveexec_b32 s0, vcc_lo
	s_cbranch_execnz .LBB97_192
.LBB97_141:
	s_or_b32 exec_lo, exec_lo, s0
	s_and_saveexec_b32 s0, vcc_lo
	s_cbranch_execnz .LBB97_193
.LBB97_142:
	s_or_b32 exec_lo, exec_lo, s0
	s_and_saveexec_b32 s0, vcc_lo
	s_cbranch_execnz .LBB97_194
.LBB97_143:
	s_or_b32 exec_lo, exec_lo, s0
	s_and_saveexec_b32 s0, vcc_lo
	s_cbranch_execnz .LBB97_195
.LBB97_144:
	s_or_b32 exec_lo, exec_lo, s0
	s_and_saveexec_b32 s0, vcc_lo
	s_cbranch_execnz .LBB97_196
.LBB97_145:
	s_or_b32 exec_lo, exec_lo, s0
	s_and_saveexec_b32 s0, vcc_lo
	s_cbranch_execnz .LBB97_197
.LBB97_146:
	s_or_b32 exec_lo, exec_lo, s0
	s_and_saveexec_b32 s0, vcc_lo
	s_cbranch_execnz .LBB97_198
.LBB97_147:
	s_or_b32 exec_lo, exec_lo, s0
	s_and_saveexec_b32 s0, vcc_lo
	s_cbranch_execnz .LBB97_199
.LBB97_148:
	s_or_b32 exec_lo, exec_lo, s0
	s_and_saveexec_b32 s0, vcc_lo
	s_cbranch_execnz .LBB97_200
.LBB97_149:
	s_or_b32 exec_lo, exec_lo, s0
	s_and_saveexec_b32 s0, vcc_lo
	s_cbranch_execnz .LBB97_201
.LBB97_150:
	s_or_b32 exec_lo, exec_lo, s0
	s_and_saveexec_b32 s0, vcc_lo
	s_cbranch_execz .LBB97_152
.LBB97_151:
	ds_load_b32 v0, v1 offset:736
	s_wait_dscnt 0x0
	v_add_f32_e32 v25, v25, v0
.LBB97_152:
	s_or_b32 exec_lo, exec_lo, s0
.LBB97_153:
	s_delay_alu instid0(SALU_CYCLE_1)
	s_or_b32 exec_lo, exec_lo, s1
	s_mov_b32 s1, 0
	s_barrier_signal -1
	s_barrier_wait -1
	s_mov_b32 s0, exec_lo
	v_cmpx_eq_u32_e32 0, v27
	s_cbranch_execz .LBB97_155
; %bb.154:
	s_mul_i32 s0, s28, s7
	s_mul_i32 s2, s7, s12
	;; [unrolled: 1-line block ×3, first 2 shown]
	s_lshr_b32 s6, ttmp7, 16
	s_mul_i32 s4, s0, 0xc0
	s_bfe_u32 s0, ttmp6, 0x40014
	s_ashr_i32 s5, s4, 31
	s_add_co_i32 s0, s0, 1
	s_ashr_i32 s3, s2, 31
	s_mul_i32 s0, s6, s0
	s_bfe_u32 s7, ttmp6, 0x40008
	s_lshl_b64 s[4:5], s[4:5], 1
	s_lshl_b64 s[2:3], s[2:3], 1
	s_add_co_i32 s7, s7, s0
	s_cmp_eq_u32 s26, 0
	s_wait_kmcnt 0x0
	s_add_nc_u64 s[4:5], s[20:21], s[4:5]
	s_cselect_b32 s0, s6, s7
	v_lshrrev_b32_e32 v0, 1, v102
	s_add_nc_u64 s[2:3], s[4:5], s[2:3]
	s_mulk_i32 s0, 0x180
	;;#ASMSTART
	v_cvt_f16_f32 v1, v22;

	;;#ASMEND
	s_add_nc_u64 s[0:1], s[2:3], s[0:1]
	global_store_b16 v0, v1, s[0:1]
	s_wait_xcnt 0x0
	;;#ASMSTART
	v_cvt_f16_f32 v1, v23;

	;;#ASMEND
	global_store_b16 v0, v1, s[0:1] offset:16
	s_wait_xcnt 0x0
	;;#ASMSTART
	v_cvt_f16_f32 v1, v20;

	;;#ASMEND
	global_store_b16 v0, v1, s[0:1] offset:32
	;; [unrolled: 6-line block ×23, first 2 shown]
.LBB97_155:
	s_sendmsg sendmsg(MSG_DEALLOC_VGPRS)
	s_endpgm
.LBB97_156:
	ds_load_b32 v0, v1
	s_wait_dscnt 0x0
	v_add_f32_e32 v22, v22, v0
	s_or_b32 exec_lo, exec_lo, s0
	s_and_saveexec_b32 s0, vcc_lo
	s_cbranch_execz .LBB97_100
.LBB97_157:
	ds_load_b32 v0, v1 offset:32
	s_wait_dscnt 0x0
	v_add_f32_e32 v23, v23, v0
	s_or_b32 exec_lo, exec_lo, s0
	s_and_saveexec_b32 s0, vcc_lo
	s_cbranch_execz .LBB97_101
.LBB97_158:
	ds_load_b32 v0, v1 offset:64
	s_wait_dscnt 0x0
	v_add_f32_e32 v20, v20, v0
	s_or_b32 exec_lo, exec_lo, s0
	s_and_saveexec_b32 s0, vcc_lo
	s_cbranch_execz .LBB97_102
.LBB97_159:
	ds_load_b32 v0, v1 offset:96
	s_wait_dscnt 0x0
	v_add_f32_e32 v21, v21, v0
	s_or_b32 exec_lo, exec_lo, s0
	s_and_saveexec_b32 s0, vcc_lo
	s_cbranch_execz .LBB97_103
.LBB97_160:
	ds_load_b32 v0, v1 offset:128
	s_wait_dscnt 0x0
	v_add_f32_e32 v18, v18, v0
	s_or_b32 exec_lo, exec_lo, s0
	s_and_saveexec_b32 s0, vcc_lo
	s_cbranch_execz .LBB97_104
.LBB97_161:
	ds_load_b32 v0, v1 offset:160
	s_wait_dscnt 0x0
	v_add_f32_e32 v19, v19, v0
	s_or_b32 exec_lo, exec_lo, s0
	s_and_saveexec_b32 s0, vcc_lo
	s_cbranch_execz .LBB97_105
.LBB97_162:
	ds_load_b32 v0, v1 offset:192
	s_wait_dscnt 0x0
	v_add_f32_e32 v16, v16, v0
	s_or_b32 exec_lo, exec_lo, s0
	s_and_saveexec_b32 s0, vcc_lo
	s_cbranch_execz .LBB97_106
.LBB97_163:
	ds_load_b32 v0, v1 offset:224
	s_wait_dscnt 0x0
	v_add_f32_e32 v17, v17, v0
	s_or_b32 exec_lo, exec_lo, s0
	s_and_saveexec_b32 s0, vcc_lo
	s_cbranch_execz .LBB97_107
.LBB97_164:
	ds_load_b32 v0, v1 offset:256
	s_wait_dscnt 0x0
	v_add_f32_e32 v14, v14, v0
	s_or_b32 exec_lo, exec_lo, s0
	s_and_saveexec_b32 s0, vcc_lo
	s_cbranch_execz .LBB97_108
.LBB97_165:
	ds_load_b32 v0, v1 offset:288
	s_wait_dscnt 0x0
	v_add_f32_e32 v15, v15, v0
	s_or_b32 exec_lo, exec_lo, s0
	s_and_saveexec_b32 s0, vcc_lo
	s_cbranch_execz .LBB97_109
.LBB97_166:
	ds_load_b32 v0, v1 offset:320
	s_wait_dscnt 0x0
	v_add_f32_e32 v12, v12, v0
	s_or_b32 exec_lo, exec_lo, s0
	s_and_saveexec_b32 s0, vcc_lo
	s_cbranch_execz .LBB97_110
.LBB97_167:
	ds_load_b32 v0, v1 offset:352
	s_wait_dscnt 0x0
	v_add_f32_e32 v13, v13, v0
	s_or_b32 exec_lo, exec_lo, s0
	s_and_saveexec_b32 s0, vcc_lo
	s_cbranch_execz .LBB97_111
.LBB97_168:
	ds_load_b32 v0, v1 offset:384
	s_wait_dscnt 0x0
	v_add_f32_e32 v10, v10, v0
	s_or_b32 exec_lo, exec_lo, s0
	s_and_saveexec_b32 s0, vcc_lo
	s_cbranch_execz .LBB97_112
.LBB97_169:
	ds_load_b32 v0, v1 offset:416
	s_wait_dscnt 0x0
	v_add_f32_e32 v11, v11, v0
	s_or_b32 exec_lo, exec_lo, s0
	s_and_saveexec_b32 s0, vcc_lo
	s_cbranch_execz .LBB97_113
.LBB97_170:
	ds_load_b32 v0, v1 offset:448
	s_wait_dscnt 0x0
	v_add_f32_e32 v6, v6, v0
	s_or_b32 exec_lo, exec_lo, s0
	s_and_saveexec_b32 s0, vcc_lo
	s_cbranch_execz .LBB97_114
.LBB97_171:
	ds_load_b32 v0, v1 offset:480
	s_wait_dscnt 0x0
	v_add_f32_e32 v7, v7, v0
	s_or_b32 exec_lo, exec_lo, s0
	s_and_saveexec_b32 s0, vcc_lo
	s_cbranch_execz .LBB97_115
.LBB97_172:
	ds_load_b32 v0, v1 offset:512
	s_wait_dscnt 0x0
	v_add_f32_e32 v8, v8, v0
	s_or_b32 exec_lo, exec_lo, s0
	s_and_saveexec_b32 s0, vcc_lo
	s_cbranch_execz .LBB97_116
.LBB97_173:
	ds_load_b32 v0, v1 offset:544
	s_wait_dscnt 0x0
	v_add_f32_e32 v9, v9, v0
	s_or_b32 exec_lo, exec_lo, s0
	s_and_saveexec_b32 s0, vcc_lo
	s_cbranch_execz .LBB97_117
.LBB97_174:
	ds_load_b32 v0, v1 offset:576
	s_wait_dscnt 0x0
	v_add_f32_e32 v4, v4, v0
	s_or_b32 exec_lo, exec_lo, s0
	s_and_saveexec_b32 s0, vcc_lo
	s_cbranch_execz .LBB97_118
.LBB97_175:
	ds_load_b32 v0, v1 offset:608
	s_wait_dscnt 0x0
	v_add_f32_e32 v5, v5, v0
	s_or_b32 exec_lo, exec_lo, s0
	s_and_saveexec_b32 s0, vcc_lo
	s_cbranch_execz .LBB97_119
.LBB97_176:
	ds_load_b32 v0, v1 offset:640
	s_wait_dscnt 0x0
	v_add_f32_e32 v2, v2, v0
	s_or_b32 exec_lo, exec_lo, s0
	s_and_saveexec_b32 s0, vcc_lo
	s_cbranch_execz .LBB97_120
.LBB97_177:
	ds_load_b32 v0, v1 offset:672
	s_wait_dscnt 0x0
	v_add_f32_e32 v3, v3, v0
	s_or_b32 exec_lo, exec_lo, s0
	s_and_saveexec_b32 s0, vcc_lo
	s_cbranch_execz .LBB97_121
.LBB97_178:
	ds_load_b32 v0, v1 offset:704
	s_wait_dscnt 0x0
	v_add_f32_e32 v24, v24, v0
	s_or_b32 exec_lo, exec_lo, s0
	s_and_saveexec_b32 s0, vcc_lo
	s_cbranch_execnz .LBB97_122
	s_branch .LBB97_123
.LBB97_179:
	ds_load_b32 v0, v1
	s_wait_dscnt 0x0
	v_add_f32_e32 v22, v22, v0
	s_or_b32 exec_lo, exec_lo, s0
	s_and_saveexec_b32 s0, vcc_lo
	s_cbranch_execz .LBB97_129
.LBB97_180:
	ds_load_b32 v0, v1 offset:32
	s_wait_dscnt 0x0
	v_add_f32_e32 v23, v23, v0
	s_or_b32 exec_lo, exec_lo, s0
	s_and_saveexec_b32 s0, vcc_lo
	s_cbranch_execz .LBB97_130
.LBB97_181:
	ds_load_b32 v0, v1 offset:64
	s_wait_dscnt 0x0
	v_add_f32_e32 v20, v20, v0
	s_or_b32 exec_lo, exec_lo, s0
	s_and_saveexec_b32 s0, vcc_lo
	s_cbranch_execz .LBB97_131
.LBB97_182:
	ds_load_b32 v0, v1 offset:96
	s_wait_dscnt 0x0
	v_add_f32_e32 v21, v21, v0
	s_or_b32 exec_lo, exec_lo, s0
	s_and_saveexec_b32 s0, vcc_lo
	s_cbranch_execz .LBB97_132
.LBB97_183:
	ds_load_b32 v0, v1 offset:128
	s_wait_dscnt 0x0
	v_add_f32_e32 v18, v18, v0
	s_or_b32 exec_lo, exec_lo, s0
	s_and_saveexec_b32 s0, vcc_lo
	s_cbranch_execz .LBB97_133
.LBB97_184:
	ds_load_b32 v0, v1 offset:160
	s_wait_dscnt 0x0
	v_add_f32_e32 v19, v19, v0
	s_or_b32 exec_lo, exec_lo, s0
	s_and_saveexec_b32 s0, vcc_lo
	s_cbranch_execz .LBB97_134
.LBB97_185:
	ds_load_b32 v0, v1 offset:192
	s_wait_dscnt 0x0
	v_add_f32_e32 v16, v16, v0
	s_or_b32 exec_lo, exec_lo, s0
	s_and_saveexec_b32 s0, vcc_lo
	s_cbranch_execz .LBB97_135
.LBB97_186:
	ds_load_b32 v0, v1 offset:224
	s_wait_dscnt 0x0
	v_add_f32_e32 v17, v17, v0
	s_or_b32 exec_lo, exec_lo, s0
	s_and_saveexec_b32 s0, vcc_lo
	s_cbranch_execz .LBB97_136
.LBB97_187:
	ds_load_b32 v0, v1 offset:256
	s_wait_dscnt 0x0
	v_add_f32_e32 v14, v14, v0
	s_or_b32 exec_lo, exec_lo, s0
	s_and_saveexec_b32 s0, vcc_lo
	s_cbranch_execz .LBB97_137
.LBB97_188:
	ds_load_b32 v0, v1 offset:288
	s_wait_dscnt 0x0
	v_add_f32_e32 v15, v15, v0
	s_or_b32 exec_lo, exec_lo, s0
	s_and_saveexec_b32 s0, vcc_lo
	s_cbranch_execz .LBB97_138
.LBB97_189:
	ds_load_b32 v0, v1 offset:320
	s_wait_dscnt 0x0
	v_add_f32_e32 v12, v12, v0
	s_or_b32 exec_lo, exec_lo, s0
	s_and_saveexec_b32 s0, vcc_lo
	s_cbranch_execz .LBB97_139
.LBB97_190:
	ds_load_b32 v0, v1 offset:352
	s_wait_dscnt 0x0
	v_add_f32_e32 v13, v13, v0
	s_or_b32 exec_lo, exec_lo, s0
	s_and_saveexec_b32 s0, vcc_lo
	s_cbranch_execz .LBB97_140
.LBB97_191:
	ds_load_b32 v0, v1 offset:384
	s_wait_dscnt 0x0
	v_add_f32_e32 v10, v10, v0
	s_or_b32 exec_lo, exec_lo, s0
	s_and_saveexec_b32 s0, vcc_lo
	s_cbranch_execz .LBB97_141
.LBB97_192:
	ds_load_b32 v0, v1 offset:416
	s_wait_dscnt 0x0
	v_add_f32_e32 v11, v11, v0
	s_or_b32 exec_lo, exec_lo, s0
	s_and_saveexec_b32 s0, vcc_lo
	s_cbranch_execz .LBB97_142
.LBB97_193:
	ds_load_b32 v0, v1 offset:448
	s_wait_dscnt 0x0
	v_add_f32_e32 v6, v6, v0
	s_or_b32 exec_lo, exec_lo, s0
	s_and_saveexec_b32 s0, vcc_lo
	s_cbranch_execz .LBB97_143
.LBB97_194:
	ds_load_b32 v0, v1 offset:480
	s_wait_dscnt 0x0
	v_add_f32_e32 v7, v7, v0
	s_or_b32 exec_lo, exec_lo, s0
	s_and_saveexec_b32 s0, vcc_lo
	s_cbranch_execz .LBB97_144
.LBB97_195:
	ds_load_b32 v0, v1 offset:512
	s_wait_dscnt 0x0
	v_add_f32_e32 v8, v8, v0
	s_or_b32 exec_lo, exec_lo, s0
	s_and_saveexec_b32 s0, vcc_lo
	s_cbranch_execz .LBB97_145
.LBB97_196:
	ds_load_b32 v0, v1 offset:544
	s_wait_dscnt 0x0
	v_add_f32_e32 v9, v9, v0
	s_or_b32 exec_lo, exec_lo, s0
	s_and_saveexec_b32 s0, vcc_lo
	s_cbranch_execz .LBB97_146
.LBB97_197:
	ds_load_b32 v0, v1 offset:576
	s_wait_dscnt 0x0
	v_add_f32_e32 v4, v4, v0
	s_or_b32 exec_lo, exec_lo, s0
	s_and_saveexec_b32 s0, vcc_lo
	s_cbranch_execz .LBB97_147
.LBB97_198:
	ds_load_b32 v0, v1 offset:608
	s_wait_dscnt 0x0
	v_add_f32_e32 v5, v5, v0
	s_or_b32 exec_lo, exec_lo, s0
	s_and_saveexec_b32 s0, vcc_lo
	s_cbranch_execz .LBB97_148
.LBB97_199:
	ds_load_b32 v0, v1 offset:640
	s_wait_dscnt 0x0
	v_add_f32_e32 v2, v2, v0
	s_or_b32 exec_lo, exec_lo, s0
	s_and_saveexec_b32 s0, vcc_lo
	s_cbranch_execz .LBB97_149
.LBB97_200:
	ds_load_b32 v0, v1 offset:672
	s_wait_dscnt 0x0
	v_add_f32_e32 v3, v3, v0
	s_or_b32 exec_lo, exec_lo, s0
	s_and_saveexec_b32 s0, vcc_lo
	s_cbranch_execz .LBB97_150
.LBB97_201:
	ds_load_b32 v0, v1 offset:704
	s_wait_dscnt 0x0
	v_add_f32_e32 v24, v24, v0
	s_or_b32 exec_lo, exec_lo, s0
	s_and_saveexec_b32 s0, vcc_lo
	s_cbranch_execnz .LBB97_151
	s_branch .LBB97_152
	.section	.rodata,"a",@progbits
	.p2align	6, 0x0
	.amdhsa_kernel _ZN4vllm25paged_attention_v1_kernelIttLi192ELi32ELi128ELNS_18Fp8KVCacheDataTypeE0ELb1EEEvPT_PKS2_PKT0_S8_ifPKiSA_iPKfiiiSC_SC_iiiii
		.amdhsa_group_segment_fixed_size 416
		.amdhsa_private_segment_fixed_size 140
		.amdhsa_kernarg_size 384
		.amdhsa_user_sgpr_count 2
		.amdhsa_user_sgpr_dispatch_ptr 0
		.amdhsa_user_sgpr_queue_ptr 0
		.amdhsa_user_sgpr_kernarg_segment_ptr 1
		.amdhsa_user_sgpr_dispatch_id 0
		.amdhsa_user_sgpr_kernarg_preload_length 0
		.amdhsa_user_sgpr_kernarg_preload_offset 0
		.amdhsa_user_sgpr_private_segment_size 0
		.amdhsa_wavefront_size32 1
		.amdhsa_uses_dynamic_stack 0
		.amdhsa_enable_private_segment 1
		.amdhsa_system_sgpr_workgroup_id_x 1
		.amdhsa_system_sgpr_workgroup_id_y 1
		.amdhsa_system_sgpr_workgroup_id_z 1
		.amdhsa_system_sgpr_workgroup_info 0
		.amdhsa_system_vgpr_workitem_id 0
		.amdhsa_next_free_vgpr 128
		.amdhsa_next_free_sgpr 38
		.amdhsa_named_barrier_count 0
		.amdhsa_reserve_vcc 1
		.amdhsa_float_round_mode_32 0
		.amdhsa_float_round_mode_16_64 0
		.amdhsa_float_denorm_mode_32 3
		.amdhsa_float_denorm_mode_16_64 3
		.amdhsa_fp16_overflow 0
		.amdhsa_memory_ordered 1
		.amdhsa_forward_progress 1
		.amdhsa_inst_pref_size 154
		.amdhsa_round_robin_scheduling 0
		.amdhsa_exception_fp_ieee_invalid_op 0
		.amdhsa_exception_fp_denorm_src 0
		.amdhsa_exception_fp_ieee_div_zero 0
		.amdhsa_exception_fp_ieee_overflow 0
		.amdhsa_exception_fp_ieee_underflow 0
		.amdhsa_exception_fp_ieee_inexact 0
		.amdhsa_exception_int_div_zero 0
	.end_amdhsa_kernel
	.section	.text._ZN4vllm25paged_attention_v1_kernelIttLi192ELi32ELi128ELNS_18Fp8KVCacheDataTypeE0ELb1EEEvPT_PKS2_PKT0_S8_ifPKiSA_iPKfiiiSC_SC_iiiii,"axG",@progbits,_ZN4vllm25paged_attention_v1_kernelIttLi192ELi32ELi128ELNS_18Fp8KVCacheDataTypeE0ELb1EEEvPT_PKS2_PKT0_S8_ifPKiSA_iPKfiiiSC_SC_iiiii,comdat
.Lfunc_end97:
	.size	_ZN4vllm25paged_attention_v1_kernelIttLi192ELi32ELi128ELNS_18Fp8KVCacheDataTypeE0ELb1EEEvPT_PKS2_PKT0_S8_ifPKiSA_iPKfiiiSC_SC_iiiii, .Lfunc_end97-_ZN4vllm25paged_attention_v1_kernelIttLi192ELi32ELi128ELNS_18Fp8KVCacheDataTypeE0ELb1EEEvPT_PKS2_PKT0_S8_ifPKiSA_iPKfiiiSC_SC_iiiii
                                        ; -- End function
	.set _ZN4vllm25paged_attention_v1_kernelIttLi192ELi32ELi128ELNS_18Fp8KVCacheDataTypeE0ELb1EEEvPT_PKS2_PKT0_S8_ifPKiSA_iPKfiiiSC_SC_iiiii.num_vgpr, 128
	.set _ZN4vllm25paged_attention_v1_kernelIttLi192ELi32ELi128ELNS_18Fp8KVCacheDataTypeE0ELb1EEEvPT_PKS2_PKT0_S8_ifPKiSA_iPKfiiiSC_SC_iiiii.num_agpr, 0
	.set _ZN4vllm25paged_attention_v1_kernelIttLi192ELi32ELi128ELNS_18Fp8KVCacheDataTypeE0ELb1EEEvPT_PKS2_PKT0_S8_ifPKiSA_iPKfiiiSC_SC_iiiii.numbered_sgpr, 38
	.set _ZN4vllm25paged_attention_v1_kernelIttLi192ELi32ELi128ELNS_18Fp8KVCacheDataTypeE0ELb1EEEvPT_PKS2_PKT0_S8_ifPKiSA_iPKfiiiSC_SC_iiiii.num_named_barrier, 0
	.set _ZN4vllm25paged_attention_v1_kernelIttLi192ELi32ELi128ELNS_18Fp8KVCacheDataTypeE0ELb1EEEvPT_PKS2_PKT0_S8_ifPKiSA_iPKfiiiSC_SC_iiiii.private_seg_size, 140
	.set _ZN4vllm25paged_attention_v1_kernelIttLi192ELi32ELi128ELNS_18Fp8KVCacheDataTypeE0ELb1EEEvPT_PKS2_PKT0_S8_ifPKiSA_iPKfiiiSC_SC_iiiii.uses_vcc, 1
	.set _ZN4vllm25paged_attention_v1_kernelIttLi192ELi32ELi128ELNS_18Fp8KVCacheDataTypeE0ELb1EEEvPT_PKS2_PKT0_S8_ifPKiSA_iPKfiiiSC_SC_iiiii.uses_flat_scratch, 1
	.set _ZN4vllm25paged_attention_v1_kernelIttLi192ELi32ELi128ELNS_18Fp8KVCacheDataTypeE0ELb1EEEvPT_PKS2_PKT0_S8_ifPKiSA_iPKfiiiSC_SC_iiiii.has_dyn_sized_stack, 0
	.set _ZN4vllm25paged_attention_v1_kernelIttLi192ELi32ELi128ELNS_18Fp8KVCacheDataTypeE0ELb1EEEvPT_PKS2_PKT0_S8_ifPKiSA_iPKfiiiSC_SC_iiiii.has_recursion, 0
	.set _ZN4vllm25paged_attention_v1_kernelIttLi192ELi32ELi128ELNS_18Fp8KVCacheDataTypeE0ELb1EEEvPT_PKS2_PKT0_S8_ifPKiSA_iPKfiiiSC_SC_iiiii.has_indirect_call, 0
	.section	.AMDGPU.csdata,"",@progbits
; Kernel info:
; codeLenInByte = 19612
; TotalNumSgprs: 40
; NumVgprs: 128
; ScratchSize: 140
; MemoryBound: 0
; FloatMode: 240
; IeeeMode: 1
; LDSByteSize: 416 bytes/workgroup (compile time only)
; SGPRBlocks: 0
; VGPRBlocks: 7
; NumSGPRsForWavesPerEU: 40
; NumVGPRsForWavesPerEU: 128
; NamedBarCnt: 0
; Occupancy: 8
; WaveLimiterHint : 1
; COMPUTE_PGM_RSRC2:SCRATCH_EN: 1
; COMPUTE_PGM_RSRC2:USER_SGPR: 2
; COMPUTE_PGM_RSRC2:TRAP_HANDLER: 0
; COMPUTE_PGM_RSRC2:TGID_X_EN: 1
; COMPUTE_PGM_RSRC2:TGID_Y_EN: 1
; COMPUTE_PGM_RSRC2:TGID_Z_EN: 1
; COMPUTE_PGM_RSRC2:TIDIG_COMP_CNT: 0
	.section	.text._ZN4vllm25paged_attention_v1_kernelIttLi256ELi32ELi128ELNS_18Fp8KVCacheDataTypeE0ELb1EEEvPT_PKS2_PKT0_S8_ifPKiSA_iPKfiiiSC_SC_iiiii,"axG",@progbits,_ZN4vllm25paged_attention_v1_kernelIttLi256ELi32ELi128ELNS_18Fp8KVCacheDataTypeE0ELb1EEEvPT_PKS2_PKT0_S8_ifPKiSA_iPKfiiiSC_SC_iiiii,comdat
	.protected	_ZN4vllm25paged_attention_v1_kernelIttLi256ELi32ELi128ELNS_18Fp8KVCacheDataTypeE0ELb1EEEvPT_PKS2_PKT0_S8_ifPKiSA_iPKfiiiSC_SC_iiiii ; -- Begin function _ZN4vllm25paged_attention_v1_kernelIttLi256ELi32ELi128ELNS_18Fp8KVCacheDataTypeE0ELb1EEEvPT_PKS2_PKT0_S8_ifPKiSA_iPKfiiiSC_SC_iiiii
	.globl	_ZN4vllm25paged_attention_v1_kernelIttLi256ELi32ELi128ELNS_18Fp8KVCacheDataTypeE0ELb1EEEvPT_PKS2_PKT0_S8_ifPKiSA_iPKfiiiSC_SC_iiiii
	.p2align	8
	.type	_ZN4vllm25paged_attention_v1_kernelIttLi256ELi32ELi128ELNS_18Fp8KVCacheDataTypeE0ELb1EEEvPT_PKS2_PKT0_S8_ifPKiSA_iPKfiiiSC_SC_iiiii,@function
_ZN4vllm25paged_attention_v1_kernelIttLi256ELi32ELi128ELNS_18Fp8KVCacheDataTypeE0ELb1EEEvPT_PKS2_PKT0_S8_ifPKiSA_iPKfiiiSC_SC_iiiii: ; @_ZN4vllm25paged_attention_v1_kernelIttLi256ELi32ELi128ELNS_18Fp8KVCacheDataTypeE0ELb1EEEvPT_PKS2_PKT0_S8_ifPKiSA_iPKfiiiSC_SC_iiiii
; %bb.0:
	s_load_b64 s[22:23], s[0:1], 0x20
	s_bfe_u32 s3, ttmp6, 0x4000c
	s_bfe_u32 s5, ttmp6, 0x40010
	s_and_b32 s4, ttmp7, 0xffff
	s_add_co_i32 s3, s3, 1
	s_add_co_i32 s5, s5, 1
	s_and_b32 s2, ttmp6, 15
	s_bfe_u32 s6, ttmp6, 0x40004
	s_mul_i32 s3, ttmp9, s3
	s_mul_i32 s5, s4, s5
	s_getreg_b32 s28, hwreg(HW_REG_IB_STS2, 6, 4)
	s_add_co_i32 s7, s2, s3
	s_add_co_i32 s6, s6, s5
	s_cmp_eq_u32 s28, 0
	v_mov_b32_e32 v122, v0
	s_cselect_b32 s30, s4, s6
	s_cselect_b32 s4, ttmp9, s7
	s_clause 0x1
	s_load_b32 s29, s[0:1], 0x80
	s_load_b64 s[2:3], s[0:1], 0x30
	s_mov_b32 s17, 0
	s_delay_alu instid0(SALU_CYCLE_1) | instskip(SKIP_2) | instid1(SALU_CYCLE_1)
	s_mov_b32 s37, s17
	s_wait_kmcnt 0x0
	s_abs_i32 s5, s22
	s_cvt_f32_u32 s6, s5
	s_sub_co_i32 s7, 0, s5
	s_delay_alu instid0(SALU_CYCLE_2) | instskip(SKIP_1) | instid1(TRANS32_DEP_1)
	v_rcp_iflag_f32_e32 v0, s6
	v_nop
	v_readfirstlane_b32 s6, v0
	s_abs_i32 s8, s29
	s_mul_f32 s6, s6, 0x4f7ffffe
	s_delay_alu instid0(SALU_CYCLE_3) | instskip(NEXT) | instid1(SALU_CYCLE_3)
	s_cvt_u32_f32 s6, s6
	s_mul_i32 s7, s7, s6
	s_delay_alu instid0(SALU_CYCLE_1) | instskip(NEXT) | instid1(SALU_CYCLE_1)
	s_mul_hi_u32 s7, s6, s7
	s_add_co_i32 s6, s6, s7
	s_xor_b32 s7, s29, s22
	s_mul_hi_u32 s6, s8, s6
	s_ashr_i32 s7, s7, 31
	s_mul_i32 s9, s6, s5
	s_delay_alu instid0(SALU_CYCLE_1)
	s_sub_co_i32 s8, s8, s9
	s_add_co_i32 s9, s6, 1
	s_sub_co_i32 s10, s8, s5
	s_cmp_ge_u32 s8, s5
	s_cselect_b32 s6, s9, s6
	s_cselect_b32 s8, s10, s8
	s_add_co_i32 s9, s6, 1
	s_cmp_ge_u32 s8, s5
	s_cselect_b32 s5, s9, s6
	s_load_b64 s[8:9], s[0:1], 0x40
	s_xor_b32 s5, s5, s7
	s_abs_i32 s16, s4
	s_sub_co_i32 s10, s5, s7
	s_mov_b32 s7, s17
	s_abs_i32 s15, s10
	s_delay_alu instid0(SALU_CYCLE_1) | instskip(SKIP_1) | instid1(SALU_CYCLE_2)
	s_cvt_f32_u32 s5, s15
	s_sub_co_i32 s6, 0, s15
	v_rcp_iflag_f32_e32 v0, s5
	v_nop
	s_delay_alu instid0(TRANS32_DEP_1) | instskip(SKIP_1) | instid1(SALU_CYCLE_3)
	v_readfirstlane_b32 s5, v0
	s_mul_f32 s5, s5, 0x4f7ffffe
	s_cvt_u32_f32 s5, s5
	s_delay_alu instid0(SALU_CYCLE_3) | instskip(NEXT) | instid1(SALU_CYCLE_1)
	s_mul_i32 s6, s6, s5
	s_mul_hi_u32 s6, s5, s6
	s_delay_alu instid0(SALU_CYCLE_1)
	s_add_co_i32 s6, s5, s6
	s_wait_kmcnt 0x0
	s_cmp_eq_u64 s[8:9], 0
	s_cbranch_scc1 .LBB98_2
; %bb.1:
	s_ashr_i32 s5, s4, 31
	s_delay_alu instid0(SALU_CYCLE_1) | instskip(NEXT) | instid1(SALU_CYCLE_1)
	s_lshl_b64 s[12:13], s[4:5], 2
	s_add_nc_u64 s[8:9], s[8:9], s[12:13]
	s_load_b32 s37, s[8:9], 0x0
.LBB98_2:
	s_load_b32 s31, s[2:3], s30 offset:0x0 scale_offset
	s_load_b96 s[12:14], s[0:1], 0x48
	s_wait_xcnt 0x0
	v_cmp_gt_u32_e64 s2, 32, v122
	s_ashr_i32 s3, s4, 31
	s_ashr_i32 s5, s10, 31
	s_mul_u64 s[18:19], s[16:17], s[6:7]
	s_lshl_b32 s6, s4, 8
	s_and_saveexec_b32 s8, s2
	s_cbranch_execz .LBB98_4
; %bb.3:
	s_load_b64 s[10:11], s[0:1], 0x8
	s_wait_kmcnt 0x0
	s_mul_i32 s20, s12, s30
	s_ashr_i32 s7, s6, 31
	s_ashr_i32 s21, s20, 31
	v_lshlrev_b32_e32 v4, 4, v122
	s_lshl_b64 s[20:21], s[20:21], 1
	s_delay_alu instid0(SALU_CYCLE_1) | instskip(SKIP_1) | instid1(SALU_CYCLE_1)
	s_add_nc_u64 s[10:11], s[10:11], s[20:21]
	s_lshl_b64 s[20:21], s[6:7], 1
	s_add_nc_u64 s[10:11], s[10:11], s[20:21]
	global_load_b128 v[0:3], v122, s[10:11] scale_offset
	s_wait_loadcnt 0x0
	ds_store_b128 v4, v[0:3]
.LBB98_4:
	s_or_b32 exec_lo, exec_lo, s8
	s_load_b128 s[8:11], s[0:1], 0x68
	s_mul_i32 s7, s19, s15
	s_xor_b32 s5, s3, s5
	s_sub_co_i32 s3, s16, s7
	s_add_co_i32 s7, s19, 1
	s_wait_kmcnt 0x0
	s_sub_co_i32 s12, s3, s15
	s_cmp_ge_u32 s3, s15
	s_wait_dscnt 0x0
	s_cselect_b32 s7, s7, s19
	s_cselect_b32 s3, s12, s3
	s_add_co_i32 s12, s7, 1
	s_cmp_ge_u32 s3, s15
	s_load_b32 s3, s[0:1], 0x78
	s_cselect_b32 s7, s12, s7
	s_mov_b32 s19, 0
	s_xor_b32 s7, s7, s5
	s_mov_b32 s17, s19
	s_sub_co_i32 s5, s7, s5
	s_barrier_signal -1
	s_barrier_wait -1
	s_abs_i32 s33, s11
	s_delay_alu instid0(SALU_CYCLE_1) | instskip(SKIP_1) | instid1(SALU_CYCLE_2)
	s_cvt_f32_u32 s12, s33
	s_sub_co_i32 s16, 0, s33
                                        ; implicit-def: $sgpr34
	v_rcp_iflag_f32_e32 v0, s12
	v_nop
	s_delay_alu instid0(TRANS32_DEP_1) | instskip(SKIP_2) | instid1(SALU_CYCLE_2)
	v_readfirstlane_b32 s12, v0
	s_mul_f32 s7, s12, 0x4f7ffffe
	s_mov_b32 s12, -1
	s_cvt_u32_f32 s15, s7
	s_add_co_i32 s7, s31, -1
	s_delay_alu instid0(SALU_CYCLE_1) | instskip(NEXT) | instid1(SALU_CYCLE_1)
	s_abs_i32 s18, s7
	s_mul_i32 s16, s16, s15
	s_delay_alu instid0(SALU_CYCLE_1) | instskip(NEXT) | instid1(SALU_CYCLE_1)
	s_mul_hi_u32 s16, s15, s16
	s_add_co_i32 s16, s15, s16
	s_wait_kmcnt 0x0
	s_cmp_lt_i32 s3, 0
	s_cbranch_scc0 .LBB98_6
; %bb.5:
	s_mul_i32 s12, s8, s22
	s_delay_alu instid0(SALU_CYCLE_1) | instskip(NEXT) | instid1(SALU_CYCLE_1)
	s_add_co_i32 s12, s5, s12
	s_mul_i32 s12, s12, s3
	s_delay_alu instid0(SALU_CYCLE_1)
	s_sub_co_i32 s34, 1, s12
	s_mov_b32 s12, s19
.LBB98_6:
	s_ashr_i32 s7, s7, 31
	s_ashr_i32 s35, s11, 31
	s_and_not1_b32 vcc_lo, exec_lo, s12
	s_mul_u64 s[24:25], s[18:19], s[16:17]
	s_cbranch_vccnz .LBB98_8
; %bb.7:
	s_mul_i32 s8, s29, s8
	s_delay_alu instid0(SALU_CYCLE_1) | instskip(NEXT) | instid1(SALU_CYCLE_1)
	s_add_co_i32 s4, s8, s4
	s_mul_i32 s3, s4, s3
	s_delay_alu instid0(SALU_CYCLE_1)
	s_add_co_i32 s34, s3, 1
.LBB98_8:
	s_load_b32 s3, s[0:1], 0x38
	s_xor_b32 s4, s7, s35
	s_mul_i32 s7, s25, s33
	s_add_co_i32 s8, s25, 1
	s_sub_co_i32 s11, s18, s7
	s_clause 0x1
	s_load_b64 s[18:19], s[0:1], 0x28
	s_load_b32 s7, s[0:1], 0x88
	v_dual_lshrrev_b32 v123, 5, v122 :: v_dual_bitop2_b32 v0, 31, v122 bitop3:0x40
	v_mov_b32_e32 v6, 0xff7fffff
	s_mul_i32 s14, s5, s14
	s_delay_alu instid0(VALU_DEP_2)
	v_lshlrev_b32_e32 v9, 2, v0
	scratch_store_b32 off, v0, off offset:124 ; 4-byte Folded Spill
	s_wait_kmcnt 0x0
	s_mul_i32 s20, s3, s30
	s_sub_co_i32 s3, s11, s33
	s_ashr_i32 s21, s20, 31
	s_cmp_ge_u32 s11, s33
	s_cselect_b32 s8, s8, s25
	s_cselect_b32 s3, s3, s11
	s_add_co_i32 s11, s8, 1
	s_cmp_ge_u32 s3, s33
	s_cselect_b32 s3, s11, s8
	s_add_co_i32 s8, s31, 31
	s_delay_alu instid0(SALU_CYCLE_1) | instskip(NEXT) | instid1(SALU_CYCLE_1)
	s_ashr_i32 s11, s8, 31
	s_lshr_b32 s11, s11, 27
	s_delay_alu instid0(SALU_CYCLE_1) | instskip(NEXT) | instid1(SALU_CYCLE_1)
	s_add_co_i32 s8, s8, s11
	s_ashr_i32 s36, s8, 5
	s_xor_b32 s8, s3, s4
	v_cmp_gt_i32_e64 s3, s36, v123
	s_sub_co_i32 s8, s8, s4
	s_wait_xcnt 0x0
	s_and_saveexec_b32 s11, s3
	s_cbranch_execz .LBB98_16
; %bb.9:
	scratch_load_b32 v2, off, off offset:124 ; 4-byte Folded Reload
	s_ashr_i32 s15, s14, 31
	s_sub_co_i32 s12, s8, s9
	s_ashr_i32 s25, s13, 31
	s_lshl_b64 s[4:5], s[14:15], 1
	s_cmp_neq_f32 s37, 0
	s_load_b64 s[26:27], s[0:1], 0x10
	v_dual_mov_b32 v6, 0xff7fffff :: v_dual_lshrrev_b32 v1, 3, v122
	s_cselect_b32 vcc_lo, -1, 0
	s_abs_i32 s15, s10
	v_lshl_or_b32 v3, v123, 7, v9
	s_cvt_f32_u32 s22, s15
	s_mov_b32 s24, s13
	v_mov_b32_e32 v127, 0
	scratch_store_b32 off, v123, off offset:144 ; 4-byte Folded Spill
	v_rcp_iflag_f32_e32 v0, s22
	v_add_nc_u32_e32 v8, 0x220, v3
	s_delay_alu instid0(TRANS32_DEP_1)
	v_readfirstlane_b32 s22, v0
	s_wait_kmcnt 0x0
	s_add_nc_u64 s[4:5], s[26:27], s[4:5]
	s_sub_co_i32 s26, 0, s15
	s_mul_f32 s22, s22, 0x4f7ffffe
	s_mov_b32 s27, 0
	s_delay_alu instid0(SALU_CYCLE_2) | instskip(NEXT) | instid1(SALU_CYCLE_3)
	s_cvt_u32_f32 s22, s22
	s_mul_i32 s26, s26, s22
	s_wait_loadcnt 0x0
	v_lshlrev_b32_e32 v126, 4, v2
	v_subrev_nc_u32_e32 v2, s31, v2
	s_delay_alu instid0(VALU_DEP_1) | instskip(NEXT) | instid1(VALU_DEP_3)
	v_dual_mov_b32 v7, v123 :: v_dual_add_nc_u32 v0, 1, v2
	v_add_nc_u64_e32 v[2:3], s[4:5], v[126:127]
	v_and_b32_e32 v126, 0x7c, v1
	s_lshl_b64 s[4:5], s[20:21], 2
	s_delay_alu instid0(SALU_CYCLE_1)
	s_add_nc_u64 s[4:5], s[18:19], s[4:5]
	s_clause 0x3
	scratch_store_b32 off, v0, off offset:128
	scratch_store_b32 off, v122, off offset:140
	;; [unrolled: 1-line block ×3, first 2 shown]
	scratch_store_b64 off, v[2:3], off offset:132
	v_add_nc_u64_e32 v[10:11], s[4:5], v[126:127]
	v_lshlrev_b32_e32 v126, 5, v123
	s_mul_hi_u32 s4, s22, s26
	s_delay_alu instid0(SALU_CYCLE_1)
	s_add_co_i32 s26, s22, s4
	s_mov_b32 s22, s27
	s_branch .LBB98_11
.LBB98_10:                              ;   in Loop: Header=BB98_11 Depth=1
	s_wait_xcnt 0x0
	s_or_b32 exec_lo, exec_lo, s5
	v_add_nc_u32_e32 v7, 4, v7
	v_add_nc_u64_e32 v[10:11], 16, v[10:11]
	v_add_nc_u32_e32 v126, 0x80, v126
	v_add_nc_u32_e32 v8, 0x200, v8
	s_delay_alu instid0(VALU_DEP_4) | instskip(SKIP_1) | instid1(SALU_CYCLE_1)
	v_cmp_le_i32_e64 s4, s36, v7
	s_or_b32 s22, s4, s22
	s_and_not1_b32 exec_lo, exec_lo, s22
	s_cbranch_execz .LBB98_15
.LBB98_11:                              ; =>This Inner Loop Header: Depth=1
	s_wait_xcnt 0x3
	v_mul_u64_e32 v[0:1], s[16:17], v[126:127]
	s_delay_alu instid0(VALU_DEP_1) | instskip(SKIP_1) | instid1(VALU_DEP_1)
	v_mul_lo_u32 v0, v1, s33
	s_wait_xcnt 0x0
	v_dual_add_nc_u32 v2, 1, v1 :: v_dual_sub_nc_u32 v0, v126, v0
	s_delay_alu instid0(VALU_DEP_1) | instskip(SKIP_1) | instid1(VALU_DEP_1)
	v_subrev_nc_u32_e32 v3, s33, v0
	v_cmp_le_u32_e64 s4, s33, v0
	v_dual_cndmask_b32 v1, v1, v2, s4 :: v_dual_cndmask_b32 v0, v0, v3, s4
	s_delay_alu instid0(VALU_DEP_1) | instskip(NEXT) | instid1(VALU_DEP_2)
	v_add_nc_u32_e32 v2, 1, v1
	v_cmp_le_u32_e64 s4, s33, v0
	s_delay_alu instid0(VALU_DEP_1) | instskip(NEXT) | instid1(VALU_DEP_1)
	v_dual_cndmask_b32 v0, v1, v2, s4 :: v_dual_mov_b32 v1, v127
	v_xor_b32_e32 v0, s35, v0
	s_delay_alu instid0(VALU_DEP_1) | instskip(NEXT) | instid1(VALU_DEP_1)
	v_subrev_nc_u32_e32 v4, s35, v0
	v_add_nc_u32_e32 v5, s34, v4
	v_cmp_ge_i32_e64 s5, s12, v4
	s_delay_alu instid0(VALU_DEP_2) | instskip(NEXT) | instid1(VALU_DEP_1)
	v_sub_nc_u32_e32 v0, 0, v5
	v_max_i32_e32 v0, v5, v0
	s_delay_alu instid0(VALU_DEP_1) | instskip(SKIP_1) | instid1(VALU_DEP_2)
	v_mul_u64_e32 v[2:3], s[26:27], v[0:1]
	v_ashrrev_i32_e32 v2, 31, v5
	v_mul_lo_u32 v1, v3, s15
	s_delay_alu instid0(VALU_DEP_1) | instskip(NEXT) | instid1(VALU_DEP_1)
	v_sub_nc_u32_e32 v0, v0, v1
	v_subrev_nc_u32_e32 v1, s15, v0
	v_cmp_le_u32_e64 s4, s15, v0
	s_delay_alu instid0(VALU_DEP_1) | instskip(NEXT) | instid1(VALU_DEP_1)
	v_cndmask_b32_e64 v0, v0, v1, s4
	v_subrev_nc_u32_e32 v1, s15, v0
	v_cmp_le_u32_e64 s4, s15, v0
	s_delay_alu instid0(VALU_DEP_1) | instskip(NEXT) | instid1(VALU_DEP_1)
	v_cndmask_b32_e64 v0, v0, v1, s4
	v_xor_b32_e32 v0, v0, v2
	s_delay_alu instid0(VALU_DEP_1) | instskip(NEXT) | instid1(VALU_DEP_1)
	v_sub_nc_u32_e32 v0, v0, v2
	v_cmp_ne_u32_e64 s4, 0, v0
	s_and_b32 s4, s4, s5
	s_delay_alu instid0(SALU_CYCLE_1) | instskip(NEXT) | instid1(SALU_CYCLE_1)
	s_and_saveexec_b32 s5, s4
	s_xor_b32 s4, exec_lo, s5
; %bb.12:                               ;   in Loop: Header=BB98_11 Depth=1
	v_mov_b32_e32 v0, 0xff7fffff
	ds_store_b32 v8, v0
; %bb.13:                               ;   in Loop: Header=BB98_11 Depth=1
	s_and_not1_saveexec_b32 s5, s4
	s_cbranch_execz .LBB98_10
; %bb.14:                               ;   in Loop: Header=BB98_11 Depth=1
	global_load_b32 v0, v[10:11], off
	scratch_load_b64 v[2:3], off, off offset:132 ; 8-byte Folded Reload
	s_wait_loadcnt 0x1
	v_ashrrev_i32_e32 v1, 31, v0
	s_delay_alu instid0(VALU_DEP_1) | instskip(SKIP_1) | instid1(VALU_DEP_1)
	v_mul_u64_e32 v[0:1], s[24:25], v[0:1]
	s_wait_loadcnt 0x0
	v_lshl_add_u64 v[4:5], v[0:1], 1, v[2:3]
	s_clause 0x3
	global_load_b128 v[0:3], v[4:5], off
	global_load_b128 v[122:125], v[4:5], off offset:512
	global_load_b128 v[118:121], v[4:5], off offset:1024
	;; [unrolled: 1-line block ×3, first 2 shown]
	s_clause 0x3
	scratch_store_b32 off, v6, off
	scratch_store_b32 off, v7, off offset:4
	scratch_store_b32 off, v8, off offset:8
	scratch_store_b64 off, v[10:11], off offset:12
	s_wait_xcnt 0x1
	ds_load_b128 v[6:9], v127
	s_clause 0x16
	global_load_b128 v[114:117], v[4:5], off offset:2048
	global_load_b128 v[106:109], v[4:5], off offset:2560
	;; [unrolled: 1-line block ×23, first 2 shown]
	s_wait_dscnt 0x0
	s_wait_xcnt 0x17
	v_lshrrev_b32_e32 v11, 16, v6
	v_and_b32_e32 v6, 0xffff, v6
	v_dual_lshrrev_b32 v12, 16, v7 :: v_dual_lshrrev_b32 v14, 16, v8
	v_and_b32_e32 v7, 0xffff, v7
	v_and_b32_e32 v8, 0xffff, v8
	v_lshrrev_b32_e32 v16, 16, v9
	v_and_b32_e32 v17, 0xffff, v9
	s_wait_loadcnt 0x1a
	v_lshrrev_b32_e32 v9, 16, v0
	v_and_b32_e32 v0, 0xffff, v0
	v_dual_lshrrev_b32 v15, 16, v1 :: v_dual_lshrrev_b32 v18, 16, v2
	v_and_b32_e32 v1, 0xffff, v1
	v_and_b32_e32 v2, 0xffff, v2
	v_lshrrev_b32_e32 v20, 16, v3
	v_and_b32_e32 v3, 0xffff, v3
	s_wait_loadcnt 0x0
	scratch_store_b128 off, v[22:25], off offset:100 ; 16-byte Folded Spill
	global_load_b128 v[22:25], v[4:5], off offset:13824
	s_wait_loadcnt 0x0
	scratch_store_b128 off, v[22:25], off offset:84 ; 16-byte Folded Spill
	global_load_b128 v[22:25], v[4:5], off offset:14336
	;; [unrolled: 3-line block ×5, first 2 shown]
	s_wait_loadcnt 0x0
	scratch_store_b128 off, v[22:25], off offset:20 ; 16-byte Folded Spill
	;;#ASMSTART
	v_cvt_f32_f16 v10, v6;
	;;#ASMEND
	;;#ASMSTART
	v_cvt_f32_f16 v11, v11;
	;;#ASMEND
	s_wait_xcnt 0x1
	;;#ASMSTART
	v_cvt_f32_f16 v4, v0;
	;;#ASMEND
	;;#ASMSTART
	v_cvt_f32_f16 v5, v9;
	;;#ASMEND
	;; [unrolled: 3-line block ×14, first 2 shown]
	ds_load_b128 v[0:3], v127 offset:16
	s_wait_xcnt 0x0
	v_dual_lshrrev_b32 v23, 16, v122 :: v_dual_lshrrev_b32 v24, 16, v87
	v_lshrrev_b32_e32 v25, 16, v75
	s_wait_dscnt 0x0
	v_and_b32_e32 v20, 0xffff, v0
	v_lshrrev_b32_e32 v0, 16, v0
	;;#ASMSTART
	v_cvt_f32_f16 v20, v20;
	;;#ASMEND
	;;#ASMSTART
	v_cvt_f32_f16 v21, v0;
	;;#ASMEND
	v_and_b32_e32 v0, 0xffff, v122
	;;#ASMSTART
	v_cvt_f32_f16 v22, v0;
	;;#ASMEND
	;;#ASMSTART
	v_cvt_f32_f16 v23, v23;
	;;#ASMEND
	v_pk_mul_f32 v[20:21], v[20:21], v[22:23]
	v_and_b32_e32 v0, 0xffff, v1
	v_and_b32_e32 v122, 0xffff, v31
	s_delay_alu instid0(VALU_DEP_3)
	v_pk_fma_f32 v[4:5], v[10:11], v[4:5], v[20:21]
	v_lshrrev_b32_e32 v10, 16, v1
	;;#ASMSTART
	v_cvt_f32_f16 v1, v0;
	;;#ASMEND
	;;#ASMSTART
	v_cvt_f32_f16 v0, v10;
	;;#ASMEND
	v_and_b32_e32 v10, 0xffff, v123
	v_lshrrev_b32_e32 v20, 16, v123
	;;#ASMSTART
	v_cvt_f32_f16 v11, v10;
	;;#ASMEND
	;;#ASMSTART
	v_cvt_f32_f16 v10, v20;
	;;#ASMEND
	s_delay_alu instid0(VALU_DEP_2) | instskip(SKIP_2) | instid1(VALU_DEP_3)
	v_pk_mul_f32 v[0:1], v[0:1], v[10:11]
	v_dual_lshrrev_b32 v10, 16, v124 :: v_dual_lshrrev_b32 v20, 16, v95
	v_dual_lshrrev_b32 v123, 16, v31 :: v_dual_lshrrev_b32 v21, 16, v80
	v_pk_fma_f32 v[0:1], v[12:13], v[6:7], v[0:1]
	v_and_b32_e32 v6, 0xffff, v2
	v_lshrrev_b32_e32 v2, 16, v2
	;;#ASMSTART
	v_cvt_f32_f16 v7, v6;
	;;#ASMEND
	;;#ASMSTART
	v_cvt_f32_f16 v6, v2;
	;;#ASMEND
	v_and_b32_e32 v2, 0xffff, v124
	;;#ASMSTART
	v_cvt_f32_f16 v11, v2;
	;;#ASMEND
	;;#ASMSTART
	v_cvt_f32_f16 v10, v10;
	;;#ASMEND
	v_pk_mul_f32 v[6:7], v[6:7], v[10:11]
	v_and_b32_e32 v2, 0xffff, v3
	s_delay_alu instid0(VALU_DEP_2)
	v_pk_fma_f32 v[10:11], v[14:15], v[8:9], v[6:7]
	v_lshrrev_b32_e32 v6, 16, v3
	v_and_b32_e32 v7, 0xffff, v125
	v_lshrrev_b32_e32 v8, 16, v125
	;;#ASMSTART
	v_cvt_f32_f16 v3, v2;
	;;#ASMEND
	;;#ASMSTART
	v_cvt_f32_f16 v2, v6;
	;;#ASMEND
	;; [unrolled: 3-line block ×4, first 2 shown]
	v_pk_mul_f32 v[2:3], v[2:3], v[6:7]
	ds_load_b128 v[6:9], v127 offset:32
	v_lshrrev_b32_e32 v15, 16, v118
	v_pk_fma_f32 v[2:3], v[18:19], v[16:17], v[2:3]
	v_and_b32_e32 v17, 0xffff, v94
	v_and_b32_e32 v19, 0xffff, v95
	v_dual_lshrrev_b32 v16, 16, v101 :: v_dual_lshrrev_b32 v18, 16, v94
	s_wait_dscnt 0x0
	v_and_b32_e32 v12, 0xffff, v6
	v_lshrrev_b32_e32 v6, 16, v6
	;;#ASMSTART
	v_cvt_f32_f16 v12, v12;
	;;#ASMEND
	;;#ASMSTART
	v_cvt_f32_f16 v13, v6;
	;;#ASMEND
	v_and_b32_e32 v6, 0xffff, v118
	;;#ASMSTART
	v_cvt_f32_f16 v14, v6;
	;;#ASMEND
	;;#ASMSTART
	v_cvt_f32_f16 v15, v15;
	;;#ASMEND
	v_pk_fma_f32 v[4:5], v[12:13], v[14:15], v[4:5]
	v_and_b32_e32 v6, 0xffff, v7
	v_lshrrev_b32_e32 v12, 16, v7
	;;#ASMSTART
	v_cvt_f32_f16 v7, v6;
	;;#ASMEND
	;;#ASMSTART
	v_cvt_f32_f16 v6, v12;
	;;#ASMEND
	v_and_b32_e32 v12, 0xffff, v119
	v_lshrrev_b32_e32 v14, 16, v119
	;;#ASMSTART
	v_cvt_f32_f16 v13, v12;
	;;#ASMEND
	;;#ASMSTART
	v_cvt_f32_f16 v12, v14;
	;;#ASMEND
	s_delay_alu instid0(VALU_DEP_2)
	v_pk_fma_f32 v[6:7], v[6:7], v[12:13], v[0:1]
	v_and_b32_e32 v0, 0xffff, v8
	v_lshrrev_b32_e32 v8, 16, v8
	;;#ASMSTART
	v_cvt_f32_f16 v1, v0;
	;;#ASMEND
	;;#ASMSTART
	v_cvt_f32_f16 v0, v8;
	;;#ASMEND
	v_and_b32_e32 v8, 0xffff, v120
	v_lshrrev_b32_e32 v12, 16, v120
	;;#ASMSTART
	v_cvt_f32_f16 v13, v8;
	;;#ASMEND
	v_lshrrev_b32_e32 v8, 16, v9
	;;#ASMSTART
	v_cvt_f32_f16 v12, v12;
	;;#ASMEND
	s_delay_alu instid0(VALU_DEP_2)
	v_pk_fma_f32 v[10:11], v[0:1], v[12:13], v[10:11]
	v_and_b32_e32 v0, 0xffff, v9
	v_and_b32_e32 v9, 0xffff, v121
	v_lshrrev_b32_e32 v12, 16, v121
	;;#ASMSTART
	v_cvt_f32_f16 v1, v0;
	;;#ASMEND
	;;#ASMSTART
	v_cvt_f32_f16 v0, v8;
	;;#ASMEND
	;; [unrolled: 3-line block ×4, first 2 shown]
	v_pk_fma_f32 v[8:9], v[0:1], v[8:9], v[2:3]
	ds_load_b128 v[0:3], v127 offset:48
	v_lshrrev_b32_e32 v15, 16, v110
	v_and_b32_e32 v119, 0xffff, v32
	v_lshrrev_b32_e32 v121, 16, v30
	s_wait_dscnt 0x0
	v_and_b32_e32 v12, 0xffff, v0
	v_lshrrev_b32_e32 v0, 16, v0
	;;#ASMSTART
	v_cvt_f32_f16 v12, v12;
	;;#ASMEND
	;;#ASMSTART
	v_cvt_f32_f16 v13, v0;
	;;#ASMEND
	v_and_b32_e32 v0, 0xffff, v110
	;;#ASMSTART
	v_cvt_f32_f16 v14, v0;
	;;#ASMEND
	;;#ASMSTART
	v_cvt_f32_f16 v15, v15;
	;;#ASMEND
	v_pk_fma_f32 v[4:5], v[12:13], v[14:15], v[4:5]
	v_and_b32_e32 v0, 0xffff, v1
	v_lshrrev_b32_e32 v12, 16, v1
	;;#ASMSTART
	v_cvt_f32_f16 v1, v0;
	;;#ASMEND
	;;#ASMSTART
	v_cvt_f32_f16 v0, v12;
	;;#ASMEND
	v_and_b32_e32 v12, 0xffff, v111
	v_lshrrev_b32_e32 v14, 16, v111
	;;#ASMSTART
	v_cvt_f32_f16 v13, v12;
	;;#ASMEND
	;;#ASMSTART
	v_cvt_f32_f16 v12, v14;
	;;#ASMEND
	s_delay_alu instid0(VALU_DEP_2)
	v_pk_fma_f32 v[6:7], v[0:1], v[12:13], v[6:7]
	v_and_b32_e32 v0, 0xffff, v2
	v_lshrrev_b32_e32 v2, 16, v2
	;;#ASMSTART
	v_cvt_f32_f16 v1, v0;
	;;#ASMEND
	;;#ASMSTART
	v_cvt_f32_f16 v0, v2;
	;;#ASMEND
	v_and_b32_e32 v2, 0xffff, v112
	v_lshrrev_b32_e32 v12, 16, v112
	;;#ASMSTART
	v_cvt_f32_f16 v13, v2;
	;;#ASMEND
	v_lshrrev_b32_e32 v2, 16, v3
	;;#ASMSTART
	v_cvt_f32_f16 v12, v12;
	;;#ASMEND
	s_delay_alu instid0(VALU_DEP_2)
	v_pk_fma_f32 v[10:11], v[0:1], v[12:13], v[10:11]
	v_and_b32_e32 v0, 0xffff, v3
	v_and_b32_e32 v3, 0xffff, v113
	v_lshrrev_b32_e32 v12, 16, v113
	;;#ASMSTART
	v_cvt_f32_f16 v1, v0;
	;;#ASMEND
	;;#ASMSTART
	v_cvt_f32_f16 v0, v2;
	;;#ASMEND
	;; [unrolled: 3-line block ×4, first 2 shown]
	v_pk_fma_f32 v[8:9], v[0:1], v[2:3], v[8:9]
	ds_load_b128 v[0:3], v127 offset:64
	v_lshrrev_b32_e32 v15, 16, v114
	v_and_b32_e32 v111, 0xffff, v35
	s_wait_dscnt 0x0
	v_and_b32_e32 v12, 0xffff, v0
	v_lshrrev_b32_e32 v0, 16, v0
	;;#ASMSTART
	v_cvt_f32_f16 v12, v12;
	;;#ASMEND
	;;#ASMSTART
	v_cvt_f32_f16 v13, v0;
	;;#ASMEND
	v_and_b32_e32 v0, 0xffff, v114
	;;#ASMSTART
	v_cvt_f32_f16 v14, v0;
	;;#ASMEND
	;;#ASMSTART
	v_cvt_f32_f16 v15, v15;
	;;#ASMEND
	v_pk_fma_f32 v[4:5], v[12:13], v[14:15], v[4:5]
	v_and_b32_e32 v0, 0xffff, v1
	v_lshrrev_b32_e32 v12, 16, v1
	;;#ASMSTART
	v_cvt_f32_f16 v1, v0;
	;;#ASMEND
	;;#ASMSTART
	v_cvt_f32_f16 v0, v12;
	;;#ASMEND
	v_and_b32_e32 v12, 0xffff, v115
	v_lshrrev_b32_e32 v14, 16, v115
	;;#ASMSTART
	v_cvt_f32_f16 v13, v12;
	;;#ASMEND
	;;#ASMSTART
	v_cvt_f32_f16 v12, v14;
	;;#ASMEND
	s_delay_alu instid0(VALU_DEP_2)
	v_pk_fma_f32 v[6:7], v[0:1], v[12:13], v[6:7]
	v_and_b32_e32 v0, 0xffff, v2
	v_lshrrev_b32_e32 v2, 16, v2
	;;#ASMSTART
	v_cvt_f32_f16 v1, v0;
	;;#ASMEND
	;;#ASMSTART
	v_cvt_f32_f16 v0, v2;
	;;#ASMEND
	v_and_b32_e32 v2, 0xffff, v116
	v_lshrrev_b32_e32 v12, 16, v116
	;;#ASMSTART
	v_cvt_f32_f16 v13, v2;
	;;#ASMEND
	v_lshrrev_b32_e32 v2, 16, v3
	;;#ASMSTART
	v_cvt_f32_f16 v12, v12;
	;;#ASMEND
	s_delay_alu instid0(VALU_DEP_2)
	v_pk_fma_f32 v[10:11], v[0:1], v[12:13], v[10:11]
	v_and_b32_e32 v0, 0xffff, v3
	v_and_b32_e32 v3, 0xffff, v117
	v_lshrrev_b32_e32 v12, 16, v117
	;;#ASMSTART
	v_cvt_f32_f16 v1, v0;
	;;#ASMEND
	;;#ASMSTART
	v_cvt_f32_f16 v0, v2;
	;;#ASMEND
	;; [unrolled: 3-line block ×4, first 2 shown]
	v_pk_fma_f32 v[8:9], v[0:1], v[2:3], v[8:9]
	ds_load_b128 v[0:3], v127 offset:80
	v_dual_lshrrev_b32 v15, 16, v106 :: v_dual_lshrrev_b32 v115, 16, v32
	v_and_b32_e32 v116, 0xffff, v33
	s_wait_dscnt 0x0
	v_and_b32_e32 v12, 0xffff, v0
	v_lshrrev_b32_e32 v0, 16, v0
	;;#ASMSTART
	v_cvt_f32_f16 v12, v12;
	;;#ASMEND
	;;#ASMSTART
	v_cvt_f32_f16 v13, v0;
	;;#ASMEND
	v_and_b32_e32 v0, 0xffff, v106
	;;#ASMSTART
	v_cvt_f32_f16 v14, v0;
	;;#ASMEND
	;;#ASMSTART
	v_cvt_f32_f16 v15, v15;
	;;#ASMEND
	v_pk_fma_f32 v[4:5], v[12:13], v[14:15], v[4:5]
	v_and_b32_e32 v0, 0xffff, v1
	v_lshrrev_b32_e32 v12, 16, v1
	;;#ASMSTART
	v_cvt_f32_f16 v1, v0;
	;;#ASMEND
	;;#ASMSTART
	v_cvt_f32_f16 v0, v12;
	;;#ASMEND
	v_and_b32_e32 v12, 0xffff, v107
	v_lshrrev_b32_e32 v14, 16, v107
	;;#ASMSTART
	v_cvt_f32_f16 v13, v12;
	;;#ASMEND
	;;#ASMSTART
	v_cvt_f32_f16 v12, v14;
	;;#ASMEND
	s_delay_alu instid0(VALU_DEP_2)
	v_pk_fma_f32 v[6:7], v[0:1], v[12:13], v[6:7]
	v_and_b32_e32 v0, 0xffff, v2
	v_lshrrev_b32_e32 v2, 16, v2
	;;#ASMSTART
	v_cvt_f32_f16 v1, v0;
	;;#ASMEND
	;;#ASMSTART
	v_cvt_f32_f16 v0, v2;
	;;#ASMEND
	v_and_b32_e32 v2, 0xffff, v108
	v_lshrrev_b32_e32 v12, 16, v108
	;;#ASMSTART
	v_cvt_f32_f16 v13, v2;
	;;#ASMEND
	v_lshrrev_b32_e32 v2, 16, v3
	;;#ASMSTART
	v_cvt_f32_f16 v12, v12;
	;;#ASMEND
	s_delay_alu instid0(VALU_DEP_2)
	v_pk_fma_f32 v[10:11], v[0:1], v[12:13], v[10:11]
	v_and_b32_e32 v0, 0xffff, v3
	v_and_b32_e32 v3, 0xffff, v109
	v_lshrrev_b32_e32 v12, 16, v109
	;;#ASMSTART
	v_cvt_f32_f16 v1, v0;
	;;#ASMEND
	;;#ASMSTART
	v_cvt_f32_f16 v0, v2;
	;;#ASMEND
	;; [unrolled: 3-line block ×4, first 2 shown]
	v_pk_fma_f32 v[8:9], v[0:1], v[2:3], v[8:9]
	ds_load_b128 v[0:3], v127 offset:96
	v_lshrrev_b32_e32 v15, 16, v102
	v_lshrrev_b32_e32 v106, 16, v82
	v_and_b32_e32 v107, 0xffff, v55
	v_and_b32_e32 v108, 0xffff, v59
	s_wait_dscnt 0x0
	v_and_b32_e32 v12, 0xffff, v0
	v_lshrrev_b32_e32 v0, 16, v0
	;;#ASMSTART
	v_cvt_f32_f16 v12, v12;
	;;#ASMEND
	;;#ASMSTART
	v_cvt_f32_f16 v13, v0;
	;;#ASMEND
	v_and_b32_e32 v0, 0xffff, v102
	;;#ASMSTART
	v_cvt_f32_f16 v14, v0;
	;;#ASMEND
	;;#ASMSTART
	v_cvt_f32_f16 v15, v15;
	;;#ASMEND
	v_pk_fma_f32 v[12:13], v[12:13], v[14:15], v[4:5]
	v_and_b32_e32 v0, 0xffff, v1
	v_lshrrev_b32_e32 v4, 16, v1
	;;#ASMSTART
	v_cvt_f32_f16 v1, v0;
	;;#ASMEND
	;;#ASMSTART
	v_cvt_f32_f16 v0, v4;
	;;#ASMEND
	v_and_b32_e32 v4, 0xffff, v103
	v_lshrrev_b32_e32 v14, 16, v103
	;;#ASMSTART
	v_cvt_f32_f16 v5, v4;
	;;#ASMEND
	;;#ASMSTART
	v_cvt_f32_f16 v4, v14;
	;;#ASMEND
	s_delay_alu instid0(VALU_DEP_2)
	v_pk_fma_f32 v[0:1], v[0:1], v[4:5], v[6:7]
	v_and_b32_e32 v4, 0xffff, v2
	v_dual_lshrrev_b32 v2, 16, v2 :: v_dual_lshrrev_b32 v6, 16, v104
	;;#ASMSTART
	v_cvt_f32_f16 v5, v4;
	;;#ASMEND
	;;#ASMSTART
	v_cvt_f32_f16 v4, v2;
	;;#ASMEND
	v_and_b32_e32 v2, 0xffff, v104
	;;#ASMSTART
	v_cvt_f32_f16 v7, v2;
	;;#ASMEND
	;;#ASMSTART
	v_cvt_f32_f16 v6, v6;
	;;#ASMEND
	v_pk_fma_f32 v[6:7], v[4:5], v[6:7], v[10:11]
	v_and_b32_e32 v2, 0xffff, v3
	v_lshrrev_b32_e32 v4, 16, v3
	v_and_b32_e32 v5, 0xffff, v105
	v_lshrrev_b32_e32 v10, 16, v105
	;;#ASMSTART
	v_cvt_f32_f16 v3, v2;
	;;#ASMEND
	;;#ASMSTART
	v_cvt_f32_f16 v2, v4;
	;;#ASMEND
	;; [unrolled: 3-line block ×4, first 2 shown]
	v_pk_fma_f32 v[8:9], v[2:3], v[4:5], v[8:9]
	ds_load_b128 v[2:5], v127 offset:112
	v_lshrrev_b32_e32 v15, 16, v98
	v_and_b32_e32 v104, 0xffff, v83
	v_dual_lshrrev_b32 v105, 16, v83 :: v_dual_lshrrev_b32 v83, 16, v74
	v_and_b32_e32 v103, 0xffff, v82
	v_lshrrev_b32_e32 v102, 16, v79
	s_wait_dscnt 0x0
	v_and_b32_e32 v10, 0xffff, v2
	v_lshrrev_b32_e32 v2, 16, v2
	;;#ASMSTART
	v_cvt_f32_f16 v10, v10;
	;;#ASMEND
	;;#ASMSTART
	v_cvt_f32_f16 v11, v2;
	;;#ASMEND
	v_and_b32_e32 v2, 0xffff, v98
	;;#ASMSTART
	v_cvt_f32_f16 v14, v2;
	;;#ASMEND
	;;#ASMSTART
	v_cvt_f32_f16 v15, v15;
	;;#ASMEND
	v_pk_fma_f32 v[10:11], v[10:11], v[14:15], v[12:13]
	v_and_b32_e32 v2, 0xffff, v3
	v_lshrrev_b32_e32 v12, 16, v3
	;;#ASMSTART
	v_cvt_f32_f16 v3, v2;
	;;#ASMEND
	;;#ASMSTART
	v_cvt_f32_f16 v2, v12;
	;;#ASMEND
	v_and_b32_e32 v12, 0xffff, v99
	v_lshrrev_b32_e32 v14, 16, v99
	;;#ASMSTART
	v_cvt_f32_f16 v13, v12;
	;;#ASMEND
	;;#ASMSTART
	v_cvt_f32_f16 v12, v14;
	;;#ASMEND
	s_delay_alu instid0(VALU_DEP_2)
	v_pk_fma_f32 v[12:13], v[2:3], v[12:13], v[0:1]
	v_and_b32_e32 v2, 0xffff, v100
	v_and_b32_e32 v0, 0xffff, v4
	v_lshrrev_b32_e32 v3, 16, v4
	v_lshrrev_b32_e32 v14, 16, v100
	;;#ASMSTART
	v_cvt_f32_f16 v1, v0;
	;;#ASMEND
	;;#ASMSTART
	v_cvt_f32_f16 v0, v3;
	;;#ASMEND
	;; [unrolled: 3-line block ×4, first 2 shown]
	v_and_b32_e32 v15, 0xffff, v101
	v_pk_fma_f32 v[2:3], v[0:1], v[2:3], v[6:7]
	v_and_b32_e32 v0, 0xffff, v5
	v_lshrrev_b32_e32 v14, 16, v5
	v_and_b32_e32 v4, 0xffff, v96
	v_lshrrev_b32_e32 v5, 16, v96
	;; [unrolled: 2-line block ×3, first 2 shown]
	;;#ASMSTART
	v_cvt_f32_f16 v1, v0;
	;;#ASMEND
	;;#ASMSTART
	v_cvt_f32_f16 v0, v14;
	;;#ASMEND
	;; [unrolled: 3-line block ×4, first 2 shown]
	ds_load_b128 v[94:97], v127 offset:128
	v_pk_fma_f32 v[0:1], v[0:1], v[14:15], v[8:9]
	v_lshrrev_b32_e32 v23, 16, v86
	v_and_b32_e32 v100, 0xffff, v78
	s_wait_dscnt 0x0
	v_and_b32_e32 v8, 0xffff, v94
	v_lshrrev_b32_e32 v9, 16, v94
	;;#ASMSTART
	v_cvt_f32_f16 v8, v8;
	;;#ASMEND
	;;#ASMSTART
	v_cvt_f32_f16 v9, v9;
	;;#ASMEND
	;;#ASMSTART
	v_cvt_f32_f16 v14, v17;
	;;#ASMEND
	;;#ASMSTART
	v_cvt_f32_f16 v15, v18;
	;;#ASMEND
	v_pk_fma_f32 v[98:99], v[8:9], v[14:15], v[10:11]
	v_and_b32_e32 v9, 0xffff, v95
	v_lshrrev_b32_e32 v10, 16, v95
	;;#ASMSTART
	v_cvt_f32_f16 v11, v9;
	;;#ASMEND
	v_lshrrev_b32_e32 v9, 16, v90
	;;#ASMSTART
	v_cvt_f32_f16 v10, v10;
	;;#ASMEND
	;;#ASMSTART
	v_cvt_f32_f16 v15, v19;
	;;#ASMEND
	;; [unrolled: 3-line block ×3, first 2 shown]
	v_pk_fma_f32 v[94:95], v[10:11], v[14:15], v[12:13]
	v_dual_lshrrev_b32 v15, 16, v93 :: v_dual_lshrrev_b32 v18, 16, v96
	v_and_b32_e32 v16, 0xffff, v96
	;;#ASMSTART
	v_cvt_f32_f16 v17, v16;
	;;#ASMEND
	;;#ASMSTART
	v_cvt_f32_f16 v16, v18;
	;;#ASMEND
	;; [unrolled: 3-line block ×4, first 2 shown]
	v_pk_fma_f32 v[4:5], v[16:17], v[18:19], v[2:3]
	v_and_b32_e32 v2, 0xffff, v97
	v_lshrrev_b32_e32 v18, 16, v97
	;;#ASMSTART
	v_cvt_f32_f16 v3, v2;
	;;#ASMEND
	;;#ASMSTART
	v_cvt_f32_f16 v2, v18;
	;;#ASMEND
	;;#ASMSTART
	v_cvt_f32_f16 v19, v6;
	;;#ASMEND
	;;#ASMSTART
	v_cvt_f32_f16 v18, v7;
	;;#ASMEND
	v_pk_fma_f32 v[6:7], v[2:3], v[18:19], v[0:1]
	ds_load_b128 v[0:3], v127 offset:144
	v_and_b32_e32 v8, 0xffff, v90
	v_and_b32_e32 v16, 0xffff, v87
	v_lshrrev_b32_e32 v87, 16, v89
	v_and_b32_e32 v10, 0xffff, v91
	v_dual_lshrrev_b32 v11, 16, v91 :: v_dual_lshrrev_b32 v13, 16, v92
	v_and_b32_e32 v12, 0xffff, v92
	v_lshrrev_b32_e32 v101, 16, v78
	v_and_b32_e32 v14, 0xffff, v93
	v_and_b32_e32 v17, 0xffff, v86
	;; [unrolled: 1-line block ×3, first 2 shown]
	v_lshrrev_b32_e32 v88, 16, v88
	v_and_b32_e32 v86, 0xffff, v89
	v_lshrrev_b32_e32 v97, 16, v84
	v_and_b32_e32 v96, 0xffff, v84
	v_and_b32_e32 v20, 0xffff, v80
	v_lshrrev_b32_e32 v91, 16, v71
	v_and_b32_e32 v89, 0xffff, v72
	v_and_b32_e32 v92, 0xffff, v77
	s_wait_dscnt 0x0
	v_and_b32_e32 v18, 0xffff, v0
	v_lshrrev_b32_e32 v0, 16, v0
	;;#ASMSTART
	v_cvt_f32_f16 v18, v18;
	;;#ASMEND
	;;#ASMSTART
	v_cvt_f32_f16 v19, v0;
	;;#ASMEND
	;; [unrolled: 3-line block ×4, first 2 shown]
	v_and_b32_e32 v0, 0xffff, v1
	v_pk_fma_f32 v[8:9], v[18:19], v[8:9], v[98:99]
	v_lshrrev_b32_e32 v18, 16, v1
	;;#ASMSTART
	v_cvt_f32_f16 v1, v0;
	;;#ASMEND
	;;#ASMSTART
	v_cvt_f32_f16 v0, v18;
	;;#ASMEND
	;; [unrolled: 3-line block ×4, first 2 shown]
	v_pk_fma_f32 v[10:11], v[0:1], v[18:19], v[94:95]
	v_and_b32_e32 v0, 0xffff, v2
	v_dual_lshrrev_b32 v99, 16, v85 :: v_dual_lshrrev_b32 v2, 16, v2
	;;#ASMSTART
	v_cvt_f32_f16 v1, v0;
	;;#ASMEND
	;;#ASMSTART
	v_cvt_f32_f16 v0, v2;
	;;#ASMEND
	;; [unrolled: 3-line block ×4, first 2 shown]
	v_pk_fma_f32 v[12:13], v[0:1], v[18:19], v[4:5]
	v_and_b32_e32 v0, 0xffff, v3
	v_lshrrev_b32_e32 v2, 16, v3
	;;#ASMSTART
	v_cvt_f32_f16 v1, v0;
	;;#ASMEND
	;;#ASMSTART
	v_cvt_f32_f16 v0, v2;
	;;#ASMEND
	;; [unrolled: 3-line block ×4, first 2 shown]
	v_pk_fma_f32 v[14:15], v[0:1], v[2:3], v[6:7]
	ds_load_b128 v[0:3], v127 offset:160
	v_lshrrev_b32_e32 v22, 16, v81
	v_dual_lshrrev_b32 v93, 16, v77 :: v_dual_lshrrev_b32 v95, 16, v70
	v_and_b32_e32 v98, 0xffff, v85
	v_and_b32_e32 v18, 0xffff, v79
	;; [unrolled: 1-line block ×9, first 2 shown]
	v_lshrrev_b32_e32 v78, 16, v68
	v_and_b32_e32 v77, 0xffff, v68
	v_and_b32_e32 v68, 0xffff, v28
	s_wait_dscnt 0x0
	v_and_b32_e32 v4, 0xffff, v0
	v_lshrrev_b32_e32 v0, 16, v0
	;;#ASMSTART
	v_cvt_f32_f16 v4, v4;
	;;#ASMEND
	;;#ASMSTART
	v_cvt_f32_f16 v5, v0;
	;;#ASMEND
	;;#ASMSTART
	v_cvt_f32_f16 v6, v17;
	;;#ASMEND
	;;#ASMSTART
	v_cvt_f32_f16 v7, v23;
	;;#ASMEND
	v_pk_fma_f32 v[4:5], v[4:5], v[6:7], v[8:9]
	v_and_b32_e32 v0, 0xffff, v1
	v_lshrrev_b32_e32 v6, 16, v1
	;;#ASMSTART
	v_cvt_f32_f16 v1, v0;
	;;#ASMEND
	;;#ASMSTART
	v_cvt_f32_f16 v0, v6;
	;;#ASMEND
	;;#ASMSTART
	v_cvt_f32_f16 v7, v16;
	;;#ASMEND
	;;#ASMSTART
	v_cvt_f32_f16 v6, v24;
	;;#ASMEND
	v_pk_fma_f32 v[6:7], v[0:1], v[6:7], v[10:11]
	;; [unrolled: 15-line block ×4, first 2 shown]
	ds_load_b128 v[0:3], v127 offset:176
	v_dual_lshrrev_b32 v82, 16, v73 :: v_dual_lshrrev_b32 v87, 16, v66
	v_lshrrev_b32_e32 v80, 16, v62
	v_and_b32_e32 v16, 0xffff, v76
	v_dual_lshrrev_b32 v17, 16, v76 :: v_dual_lshrrev_b32 v76, 16, v63
	v_and_b32_e32 v23, 0xffff, v74
	v_lshrrev_b32_e32 v90, 16, v72
	v_and_b32_e32 v73, 0xffff, v58
	v_lshrrev_b32_e32 v72, 16, v59
	v_and_b32_e32 v24, 0xffff, v75
	v_and_b32_e32 v88, 0xffff, v71
	v_dual_lshrrev_b32 v66, 16, v40 :: v_dual_lshrrev_b32 v86, 16, v67
	v_lshrrev_b32_e32 v75, 16, v64
	v_and_b32_e32 v74, 0xffff, v64
	v_dual_lshrrev_b32 v67, 16, v27 :: v_dual_lshrrev_b32 v64, 16, v28
	v_and_b32_e32 v71, 0xffff, v27
	s_wait_dscnt 0x0
	v_and_b32_e32 v12, 0xffff, v0
	v_lshrrev_b32_e32 v0, 16, v0
	;;#ASMSTART
	v_cvt_f32_f16 v12, v12;
	;;#ASMEND
	;;#ASMSTART
	v_cvt_f32_f16 v13, v0;
	;;#ASMEND
	v_and_b32_e32 v0, 0xffff, v1
	;;#ASMSTART
	v_cvt_f32_f16 v14, v103;
	;;#ASMEND
	;;#ASMSTART
	v_cvt_f32_f16 v15, v106;
	;;#ASMEND
	v_pk_fma_f32 v[4:5], v[12:13], v[14:15], v[4:5]
	v_lshrrev_b32_e32 v12, 16, v1
	;;#ASMSTART
	v_cvt_f32_f16 v1, v0;
	;;#ASMEND
	;;#ASMSTART
	v_cvt_f32_f16 v0, v12;
	;;#ASMEND
	;; [unrolled: 3-line block ×4, first 2 shown]
	v_pk_fma_f32 v[6:7], v[0:1], v[12:13], v[6:7]
	v_and_b32_e32 v0, 0xffff, v2
	v_dual_lshrrev_b32 v13, 16, v69 :: v_dual_lshrrev_b32 v2, 16, v2
	;;#ASMSTART
	v_cvt_f32_f16 v1, v0;
	;;#ASMEND
	;;#ASMSTART
	v_cvt_f32_f16 v0, v2;
	;;#ASMEND
	;; [unrolled: 3-line block ×4, first 2 shown]
	v_pk_fma_f32 v[8:9], v[0:1], v[14:15], v[8:9]
	v_and_b32_e32 v0, 0xffff, v3
	v_lshrrev_b32_e32 v2, 16, v3
	;;#ASMSTART
	v_cvt_f32_f16 v1, v0;
	;;#ASMEND
	;;#ASMSTART
	v_cvt_f32_f16 v0, v2;
	;;#ASMEND
	;; [unrolled: 3-line block ×4, first 2 shown]
	v_pk_fma_f32 v[10:11], v[0:1], v[2:3], v[10:11]
	ds_load_b128 v[0:3], v127 offset:192
	v_dual_lshrrev_b32 v96, 16, v65 :: v_dual_lshrrev_b32 v103, 16, v54
	v_and_b32_e32 v106, 0xffff, v54
	v_lshrrev_b32_e32 v104, 16, v55
	v_and_b32_e32 v12, 0xffff, v69
	v_lshrrev_b32_e32 v69, 16, v50
	v_and_b32_e32 v105, 0xffff, v61
	v_and_b32_e32 v97, 0xffff, v65
	;; [unrolled: 1-line block ×4, first 2 shown]
	s_wait_dscnt 0x0
	v_and_b32_e32 v14, 0xffff, v0
	v_lshrrev_b32_e32 v0, 16, v0
	;;#ASMSTART
	v_cvt_f32_f16 v14, v14;
	;;#ASMEND
	;;#ASMSTART
	v_cvt_f32_f16 v15, v0;
	;;#ASMEND
	;; [unrolled: 3-line block ×3, first 2 shown]
	v_and_b32_e32 v0, 0xffff, v1
	;;#ASMSTART
	v_cvt_f32_f16 v63, v101;
	;;#ASMEND
	v_pk_fma_f32 v[4:5], v[14:15], v[62:63], v[4:5]
	v_dual_lshrrev_b32 v14, 16, v1 :: v_dual_lshrrev_b32 v62, 16, v58
	;;#ASMSTART
	v_cvt_f32_f16 v1, v0;
	;;#ASMEND
	;;#ASMSTART
	v_cvt_f32_f16 v0, v14;
	;;#ASMEND
	;; [unrolled: 3-line block ×4, first 2 shown]
	v_pk_fma_f32 v[6:7], v[0:1], v[14:15], v[6:7]
	v_and_b32_e32 v0, 0xffff, v2
	;;#ASMSTART
	v_cvt_f32_f16 v1, v0;
	;;#ASMEND
	v_dual_lshrrev_b32 v18, 16, v61 :: v_dual_lshrrev_b32 v2, 16, v2
	;;#ASMSTART
	v_cvt_f32_f16 v0, v2;
	;;#ASMEND
	;;#ASMSTART
	v_cvt_f32_f16 v15, v20;
	;;#ASMEND
	;; [unrolled: 3-line block ×3, first 2 shown]
	v_pk_fma_f32 v[8:9], v[0:1], v[14:15], v[8:9]
	v_and_b32_e32 v1, 0xffff, v57
	v_and_b32_e32 v0, 0xffff, v3
	v_lshrrev_b32_e32 v2, 16, v3
	v_and_b32_e32 v20, 0xffff, v56
	v_lshrrev_b32_e32 v21, 16, v56
	scratch_store_b32 off, v1, off offset:116 ; 4-byte Folded Spill
	s_wait_xcnt 0x0
	v_lshrrev_b32_e32 v1, 16, v57
	v_and_b32_e32 v14, 0xffff, v51
	v_lshrrev_b32_e32 v61, 16, v51
	v_and_b32_e32 v15, 0xffff, v47
	v_and_b32_e32 v101, 0xffff, v60
	scratch_store_b32 off, v1, off offset:120 ; 4-byte Folded Spill
	s_wait_xcnt 0x0
	;;#ASMSTART
	v_cvt_f32_f16 v1, v0;
	;;#ASMEND
	;;#ASMSTART
	v_cvt_f32_f16 v0, v2;
	;;#ASMEND
	;; [unrolled: 3-line block ×4, first 2 shown]
	ds_load_b128 v[54:57], v127 offset:208
	v_pk_fma_f32 v[0:1], v[0:1], v[2:3], v[10:11]
	v_and_b32_e32 v19, 0xffff, v50
	v_and_b32_e32 v22, 0xffff, v53
	v_lshrrev_b32_e32 v102, 16, v60
	v_and_b32_e32 v100, 0xffff, v36
	s_wait_dscnt 0x0
	v_and_b32_e32 v2, 0xffff, v54
	v_lshrrev_b32_e32 v3, 16, v54
	;;#ASMSTART
	v_cvt_f32_f16 v2, v2;
	;;#ASMEND
	;;#ASMSTART
	v_cvt_f32_f16 v3, v3;
	;;#ASMEND
	;; [unrolled: 3-line block ×4, first 2 shown]
	v_pk_fma_f32 v[58:59], v[2:3], v[10:11], v[4:5]
	v_and_b32_e32 v2, 0xffff, v55
	v_lshrrev_b32_e32 v4, 16, v55
	;;#ASMSTART
	v_cvt_f32_f16 v3, v2;
	;;#ASMEND
	;;#ASMSTART
	v_cvt_f32_f16 v2, v4;
	;;#ASMEND
	;; [unrolled: 3-line block ×4, first 2 shown]
	v_pk_fma_f32 v[54:55], v[2:3], v[4:5], v[6:7]
	v_and_b32_e32 v2, 0xffff, v56
	v_dual_lshrrev_b32 v23, 16, v53 :: v_dual_lshrrev_b32 v4, 16, v56
	;;#ASMSTART
	v_cvt_f32_f16 v3, v2;
	;;#ASMEND
	;;#ASMSTART
	v_cvt_f32_f16 v2, v4;
	;;#ASMEND
	;; [unrolled: 3-line block ×4, first 2 shown]
	v_pk_fma_f32 v[50:51], v[2:3], v[4:5], v[8:9]
	v_and_b32_e32 v2, 0xffff, v57
	v_dual_lshrrev_b32 v53, 16, v46 :: v_dual_lshrrev_b32 v4, 16, v57
	;;#ASMSTART
	v_cvt_f32_f16 v3, v2;
	;;#ASMEND
	;;#ASMSTART
	v_cvt_f32_f16 v2, v4;
	;;#ASMEND
	;; [unrolled: 3-line block ×4, first 2 shown]
	v_pk_fma_f32 v[6:7], v[2:3], v[4:5], v[0:1]
	ds_load_b128 v[0:3], v127 offset:224
	v_dual_lshrrev_b32 v17, 16, v47 :: v_dual_lshrrev_b32 v57, 16, v48
	v_and_b32_e32 v56, 0xffff, v48
	v_dual_lshrrev_b32 v48, 16, v49 :: v_dual_lshrrev_b32 v16, 16, v43
	v_and_b32_e32 v47, 0xffff, v49
	v_and_b32_e32 v49, 0xffff, v42
	;; [unrolled: 1-line block ×3, first 2 shown]
	v_lshrrev_b32_e32 v25, 16, v52
	v_and_b32_e32 v52, 0xffff, v46
	v_and_b32_e32 v46, 0xffff, v26
	s_wait_dscnt 0x0
	v_and_b32_e32 v4, 0xffff, v0
	v_lshrrev_b32_e32 v0, 16, v0
	;;#ASMSTART
	v_cvt_f32_f16 v4, v4;
	;;#ASMEND
	;;#ASMSTART
	v_cvt_f32_f16 v5, v0;
	;;#ASMEND
	;; [unrolled: 3-line block ×4, first 2 shown]
	v_pk_fma_f32 v[4:5], v[4:5], v[8:9], v[58:59]
	v_and_b32_e32 v0, 0xffff, v1
	v_dual_lshrrev_b32 v8, 16, v1 :: v_dual_lshrrev_b32 v58, 16, v42
	;;#ASMSTART
	v_cvt_f32_f16 v1, v0;
	;;#ASMEND
	;;#ASMSTART
	v_cvt_f32_f16 v0, v8;
	;;#ASMEND
	;; [unrolled: 3-line block ×4, first 2 shown]
	v_pk_fma_f32 v[0:1], v[0:1], v[8:9], v[54:55]
	v_and_b32_e32 v8, 0xffff, v2
	v_and_b32_e32 v59, 0xffff, v43
	v_dual_lshrrev_b32 v43, 16, v45 :: v_dual_lshrrev_b32 v2, 16, v2
	;;#ASMSTART
	v_cvt_f32_f16 v9, v8;
	;;#ASMEND
	;;#ASMSTART
	v_cvt_f32_f16 v8, v2;
	;;#ASMEND
	;; [unrolled: 3-line block ×4, first 2 shown]
	v_and_b32_e32 v42, 0xffff, v45
	v_pk_fma_f32 v[8:9], v[8:9], v[10:11], v[50:51]
	v_dual_lshrrev_b32 v45, 16, v38 :: v_dual_lshrrev_b32 v10, 16, v3
	v_and_b32_e32 v2, 0xffff, v3
	;;#ASMSTART
	v_cvt_f32_f16 v3, v2;
	;;#ASMEND
	;;#ASMSTART
	v_cvt_f32_f16 v2, v10;
	;;#ASMEND
	;; [unrolled: 3-line block ×4, first 2 shown]
	ds_load_b128 v[92:95], v127 offset:240
	v_lshrrev_b32_e32 v90, 16, v39
	v_and_b32_e32 v51, 0xffff, v40
	v_lshrrev_b32_e32 v40, 16, v41
	v_pk_fma_f32 v[2:3], v[2:3], v[10:11], v[6:7]
	v_lshrrev_b32_e32 v110, 16, v33
	v_and_b32_e32 v50, 0xffff, v30
	v_and_b32_e32 v54, 0xffff, v44
	v_lshrrev_b32_e32 v55, 16, v44
	v_and_b32_e32 v44, 0xffff, v38
	v_and_b32_e32 v38, 0xffff, v39
	;; [unrolled: 1-line block ×3, first 2 shown]
	v_dual_lshrrev_b32 v82, 16, v34 :: v_dual_lshrrev_b32 v81, 16, v35
	s_wait_dscnt 0x0
	v_and_b32_e32 v6, 0xffff, v92
	v_lshrrev_b32_e32 v7, 16, v92
	;;#ASMSTART
	v_cvt_f32_f16 v6, v6;
	;;#ASMEND
	;;#ASMSTART
	v_cvt_f32_f16 v7, v7;
	;;#ASMEND
	;;#ASMSTART
	v_cvt_f32_f16 v10, v84;
	;;#ASMEND
	;;#ASMSTART
	v_cvt_f32_f16 v11, v87;
	;;#ASMEND
	v_pk_fma_f32 v[6:7], v[6:7], v[10:11], v[4:5]
	v_and_b32_e32 v4, 0xffff, v93
	v_lshrrev_b32_e32 v10, 16, v93
	;;#ASMSTART
	v_cvt_f32_f16 v5, v4;
	;;#ASMEND
	;;#ASMSTART
	v_cvt_f32_f16 v4, v10;
	;;#ASMEND
	;;#ASMSTART
	v_cvt_f32_f16 v11, v85;
	;;#ASMEND
	;;#ASMSTART
	v_cvt_f32_f16 v10, v86;
	;;#ASMEND
	v_pk_fma_f32 v[4:5], v[4:5], v[10:11], v[0:1]
	v_and_b32_e32 v0, 0xffff, v94
	v_lshrrev_b32_e32 v10, 16, v94
	;;#ASMSTART
	v_cvt_f32_f16 v1, v0;
	;;#ASMEND
	;;#ASMSTART
	v_cvt_f32_f16 v0, v10;
	;;#ASMEND
	;;#ASMSTART
	v_cvt_f32_f16 v11, v77;
	;;#ASMEND
	;;#ASMSTART
	v_cvt_f32_f16 v10, v78;
	;;#ASMEND
	v_pk_fma_f32 v[10:11], v[0:1], v[10:11], v[8:9]
	v_and_b32_e32 v0, 0xffff, v95
	v_dual_lshrrev_b32 v8, 16, v95 :: v_dual_lshrrev_b32 v95, 16, v36
	;;#ASMSTART
	v_cvt_f32_f16 v1, v0;
	;;#ASMEND
	;;#ASMSTART
	v_cvt_f32_f16 v0, v8;
	;;#ASMEND
	;; [unrolled: 3-line block ×4, first 2 shown]
	v_pk_fma_f32 v[12:13], v[0:1], v[8:9], v[2:3]
	ds_load_b128 v[0:3], v127 offset:256
	v_lshrrev_b32_e32 v93, 16, v37
	v_and_b32_e32 v78, 0xffff, v34
	s_wait_dscnt 0x0
	v_and_b32_e32 v8, 0xffff, v0
	v_lshrrev_b32_e32 v0, 16, v0
	;;#ASMSTART
	v_cvt_f32_f16 v8, v8;
	;;#ASMEND
	;;#ASMSTART
	v_cvt_f32_f16 v9, v0;
	;;#ASMEND
	;;#ASMSTART
	v_cvt_f32_f16 v30, v79;
	;;#ASMEND
	;;#ASMSTART
	v_cvt_f32_f16 v31, v80;
	;;#ASMEND
	v_pk_fma_f32 v[6:7], v[8:9], v[30:31], v[6:7]
	v_and_b32_e32 v0, 0xffff, v1
	v_dual_lshrrev_b32 v8, 16, v1 :: v_dual_lshrrev_b32 v80, 16, v26
	;;#ASMSTART
	v_cvt_f32_f16 v1, v0;
	;;#ASMEND
	;;#ASMSTART
	v_cvt_f32_f16 v0, v8;
	;;#ASMEND
	;; [unrolled: 3-line block ×4, first 2 shown]
	v_pk_fma_f32 v[8:9], v[0:1], v[8:9], v[4:5]
	v_and_b32_e32 v0, 0xffff, v2
	v_dual_lshrrev_b32 v70, 16, v29 :: v_dual_lshrrev_b32 v2, 16, v2
	;;#ASMSTART
	v_cvt_f32_f16 v1, v0;
	;;#ASMEND
	;;#ASMSTART
	v_cvt_f32_f16 v0, v2;
	;;#ASMEND
	;;#ASMSTART
	v_cvt_f32_f16 v5, v74;
	;;#ASMEND
	;;#ASMSTART
	v_cvt_f32_f16 v4, v75;
	;;#ASMEND
	scratch_load_b128 v[26:29], off, off offset:100 th:TH_LOAD_LU ; 16-byte Folded Reload
	v_pk_fma_f32 v[10:11], v[0:1], v[4:5], v[10:11]
	v_and_b32_e32 v0, 0xffff, v3
	v_lshrrev_b32_e32 v2, 16, v3
	;;#ASMSTART
	v_cvt_f32_f16 v1, v0;
	;;#ASMEND
	s_wait_loadcnt 0x0
	v_lshrrev_b32_e32 v125, 16, v28
	;;#ASMSTART
	v_cvt_f32_f16 v0, v2;
	;;#ASMEND
	;;#ASMSTART
	v_cvt_f32_f16 v3, v97;
	;;#ASMEND
	;;#ASMSTART
	v_cvt_f32_f16 v2, v96;
	;;#ASMEND
	v_pk_fma_f32 v[12:13], v[0:1], v[2:3], v[12:13]
	ds_load_b128 v[0:3], v127 offset:272
	v_dual_lshrrev_b32 v94, 16, v26 :: v_dual_lshrrev_b32 v92, 16, v27
	v_and_b32_e32 v99, 0xffff, v26
	v_and_b32_e32 v63, 0xffff, v27
	v_lshrrev_b32_e32 v124, 16, v29
	v_and_b32_e32 v83, 0xffff, v28
	v_and_b32_e32 v60, 0xffff, v29
	s_wait_dscnt 0x0
	v_and_b32_e32 v4, 0xffff, v0
	v_lshrrev_b32_e32 v0, 16, v0
	;;#ASMSTART
	v_cvt_f32_f16 v4, v4;
	;;#ASMEND
	;;#ASMSTART
	v_cvt_f32_f16 v5, v0;
	;;#ASMEND
	;;#ASMSTART
	v_cvt_f32_f16 v26, v73;
	;;#ASMEND
	;;#ASMSTART
	v_cvt_f32_f16 v27, v62;
	;;#ASMEND
	v_pk_fma_f32 v[4:5], v[4:5], v[26:27], v[6:7]
	scratch_load_b128 v[26:29], off, off offset:84 th:TH_LOAD_LU ; 16-byte Folded Reload
	v_and_b32_e32 v0, 0xffff, v1
	v_lshrrev_b32_e32 v6, 16, v1
	;;#ASMSTART
	v_cvt_f32_f16 v1, v0;
	;;#ASMEND
	s_wait_loadcnt 0x0
	v_lshrrev_b32_e32 v89, 16, v26
	;;#ASMSTART
	v_cvt_f32_f16 v0, v6;
	;;#ASMEND
	;;#ASMSTART
	v_cvt_f32_f16 v7, v108;
	;;#ASMEND
	;; [unrolled: 3-line block ×3, first 2 shown]
	v_pk_fma_f32 v[6:7], v[0:1], v[6:7], v[8:9]
	v_and_b32_e32 v0, 0xffff, v2
	v_and_b32_e32 v62, 0xffff, v26
	v_dual_lshrrev_b32 v74, 16, v27 :: v_dual_lshrrev_b32 v84, 16, v28
	v_and_b32_e32 v72, 0xffff, v27
	v_and_b32_e32 v73, 0xffff, v28
	v_dual_lshrrev_b32 v85, 16, v29 :: v_dual_lshrrev_b32 v2, 16, v2
	v_and_b32_e32 v75, 0xffff, v29
	;;#ASMSTART
	v_cvt_f32_f16 v1, v0;
	;;#ASMEND
	;;#ASMSTART
	v_cvt_f32_f16 v0, v2;
	;;#ASMEND
	;; [unrolled: 3-line block ×4, first 2 shown]
	scratch_load_b128 v[26:29], off, off offset:68 th:TH_LOAD_LU ; 16-byte Folded Reload
	v_pk_fma_f32 v[8:9], v[0:1], v[8:9], v[10:11]
	v_and_b32_e32 v0, 0xffff, v3
	v_lshrrev_b32_e32 v2, 16, v3
	;;#ASMSTART
	v_cvt_f32_f16 v1, v0;
	;;#ASMEND
	s_wait_loadcnt 0x0
	v_lshrrev_b32_e32 v86, 16, v28
	;;#ASMSTART
	v_cvt_f32_f16 v0, v2;
	;;#ASMEND
	;;#ASMSTART
	v_cvt_f32_f16 v3, v105;
	;;#ASMEND
	;; [unrolled: 3-line block ×3, first 2 shown]
	v_pk_fma_f32 v[10:11], v[0:1], v[2:3], v[12:13]
	ds_load_b128 v[0:3], v127 offset:288
	v_dual_lshrrev_b32 v101, 16, v26 :: v_dual_lshrrev_b32 v102, 16, v27
	v_and_b32_e32 v96, 0xffff, v26
	v_and_b32_e32 v97, 0xffff, v27
	v_lshrrev_b32_e32 v88, 16, v29
	v_and_b32_e32 v91, 0xffff, v28
	v_and_b32_e32 v87, 0xffff, v29
	s_wait_dscnt 0x0
	v_and_b32_e32 v12, 0xffff, v0
	v_lshrrev_b32_e32 v0, 16, v0
	;;#ASMSTART
	v_cvt_f32_f16 v12, v12;
	;;#ASMEND
	;;#ASMSTART
	v_cvt_f32_f16 v13, v0;
	;;#ASMEND
	;; [unrolled: 3-line block ×4, first 2 shown]
	v_pk_fma_f32 v[4:5], v[12:13], v[26:27], v[4:5]
	scratch_load_b128 v[26:29], off, off offset:52 th:TH_LOAD_LU ; 16-byte Folded Reload
	v_and_b32_e32 v0, 0xffff, v1
	v_lshrrev_b32_e32 v12, 16, v1
	;;#ASMSTART
	v_cvt_f32_f16 v1, v0;
	;;#ASMEND
	s_wait_loadcnt 0x0
	v_lshrrev_b32_e32 v103, 16, v26
	;;#ASMSTART
	v_cvt_f32_f16 v0, v12;
	;;#ASMEND
	;;#ASMSTART
	v_cvt_f32_f16 v13, v107;
	;;#ASMEND
	;; [unrolled: 3-line block ×3, first 2 shown]
	v_pk_fma_f32 v[6:7], v[0:1], v[12:13], v[6:7]
	v_and_b32_e32 v0, 0xffff, v2
	v_and_b32_e32 v112, 0xffff, v26
	v_dual_lshrrev_b32 v117, 16, v27 :: v_dual_lshrrev_b32 v113, 16, v28
	v_and_b32_e32 v120, 0xffff, v27
	v_and_b32_e32 v118, 0xffff, v28
	v_dual_lshrrev_b32 v109, 16, v29 :: v_dual_lshrrev_b32 v2, 16, v2
	v_and_b32_e32 v114, 0xffff, v29
	;;#ASMSTART
	v_cvt_f32_f16 v1, v0;
	;;#ASMEND
	;;#ASMSTART
	v_cvt_f32_f16 v0, v2;
	;;#ASMEND
	;; [unrolled: 3-line block ×4, first 2 shown]
	scratch_load_b128 v[26:29], off, off offset:36 th:TH_LOAD_LU ; 16-byte Folded Reload
	v_pk_fma_f32 v[8:9], v[0:1], v[12:13], v[8:9]
	s_wait_loadcnt 0x0
	v_dual_lshrrev_b32 v2, 16, v3 :: v_dual_lshrrev_b32 v0, 16, v26
	v_lshrrev_b32_e32 v105, 16, v28
	v_and_b32_e32 v107, 0xffff, v28
	v_and_b32_e32 v108, 0xffff, v27
	;; [unrolled: 1-line block ×3, first 2 shown]
	scratch_store_b32 off, v0, off offset:68 ; 4-byte Folded Spill
	s_wait_xcnt 0x0
	v_and_b32_e32 v0, 0xffff, v26
	scratch_store_b32 off, v0, off offset:84 ; 4-byte Folded Spill
	s_wait_xcnt 0x0
	v_lshrrev_b32_e32 v0, 16, v27
	scratch_store_b32 off, v0, off offset:52 ; 4-byte Folded Spill
	s_wait_xcnt 0x0
	v_and_b32_e32 v0, 0xffff, v3
	;;#ASMSTART
	v_cvt_f32_f16 v1, v0;
	;;#ASMEND
	;;#ASMSTART
	v_cvt_f32_f16 v0, v2;
	;;#ASMEND
	scratch_load_b32 v2, off, off offset:116 th:TH_LOAD_LU ; 4-byte Folded Reload
	s_wait_loadcnt 0x0
	;;#ASMSTART
	v_cvt_f32_f16 v3, v2;
	;;#ASMEND
	scratch_load_b32 v2, off, off offset:120 th:TH_LOAD_LU ; 4-byte Folded Reload
	s_wait_loadcnt 0x0
	;;#ASMSTART
	v_cvt_f32_f16 v2, v2;
	;;#ASMEND
	v_pk_fma_f32 v[10:11], v[0:1], v[2:3], v[10:11]
	ds_load_b128 v[0:3], v127 offset:304
	v_lshrrev_b32_e32 v104, 16, v29
	s_wait_dscnt 0x0
	v_and_b32_e32 v12, 0xffff, v0
	v_lshrrev_b32_e32 v0, 16, v0
	;;#ASMSTART
	v_cvt_f32_f16 v12, v12;
	;;#ASMEND
	;;#ASMSTART
	v_cvt_f32_f16 v13, v0;
	;;#ASMEND
	;; [unrolled: 3-line block ×3, first 2 shown]
	v_and_b32_e32 v0, 0xffff, v1
	;;#ASMSTART
	v_cvt_f32_f16 v19, v69;
	;;#ASMEND
	v_pk_fma_f32 v[4:5], v[12:13], v[18:19], v[4:5]
	v_dual_lshrrev_b32 v12, 16, v1 :: v_dual_lshrrev_b32 v18, 16, v2
	v_and_b32_e32 v13, 0xffff, v2
	v_and_b32_e32 v20, 0xffff, v3
	v_lshrrev_b32_e32 v26, 16, v3
	;;#ASMSTART
	v_cvt_f32_f16 v1, v0;
	;;#ASMEND
	;;#ASMSTART
	v_cvt_f32_f16 v0, v12;
	;;#ASMEND
	;; [unrolled: 3-line block ×12, first 2 shown]
	v_pk_fma_f32 v[6:7], v[0:1], v[2:3], v[6:7]
	ds_load_b128 v[0:3], v127 offset:320
	v_pk_fma_f32 v[22:23], v[20:21], v[24:25], v[10:11]
	v_pk_fma_f32 v[8:9], v[12:13], v[18:19], v[8:9]
	s_wait_dscnt 0x0
	v_and_b32_e32 v10, 0xffff, v0
	v_lshrrev_b32_e32 v0, 16, v0
	v_and_b32_e32 v14, 0xffff, v1
	v_lshrrev_b32_e32 v1, 16, v1
	;; [unrolled: 2-line block ×4, first 2 shown]
	;;#ASMSTART
	v_cvt_f32_f16 v10, v10;
	;;#ASMEND
	;;#ASMSTART
	v_cvt_f32_f16 v11, v0;
	;;#ASMEND
	;;#ASMSTART
	v_cvt_f32_f16 v12, v52;
	;;#ASMEND
	;;#ASMSTART
	v_cvt_f32_f16 v13, v53;
	;;#ASMEND
	;;#ASMSTART
	v_cvt_f32_f16 v19, v14;
	;;#ASMEND
	;;#ASMSTART
	v_cvt_f32_f16 v18, v1;
	;;#ASMEND
	;;#ASMSTART
	v_cvt_f32_f16 v21, v15;
	;;#ASMEND
	;;#ASMSTART
	v_cvt_f32_f16 v20, v17;
	;;#ASMEND
	;;#ASMSTART
	v_cvt_f32_f16 v25, v24;
	;;#ASMEND
	;;#ASMSTART
	v_cvt_f32_f16 v24, v2;
	;;#ASMEND
	;;#ASMSTART
	v_cvt_f32_f16 v27, v56;
	;;#ASMEND
	;;#ASMSTART
	v_cvt_f32_f16 v26, v57;
	;;#ASMEND
	;;#ASMSTART
	v_cvt_f32_f16 v29, v28;
	;;#ASMEND
	;;#ASMSTART
	v_cvt_f32_f16 v28, v3;
	;;#ASMEND
	;;#ASMSTART
	v_cvt_f32_f16 v31, v47;
	;;#ASMEND
	;;#ASMSTART
	v_cvt_f32_f16 v30, v48;
	;;#ASMEND
	ds_load_b128 v[0:3], v127 offset:336
	v_pk_fma_f32 v[14:15], v[10:11], v[12:13], v[4:5]
	v_pk_fma_f32 v[18:19], v[18:19], v[20:21], v[6:7]
	;; [unrolled: 1-line block ×4, first 2 shown]
	s_wait_dscnt 0x0
	v_and_b32_e32 v4, 0xffff, v0
	v_lshrrev_b32_e32 v0, 16, v0
	v_and_b32_e32 v5, 0xffff, v1
	v_lshrrev_b32_e32 v1, 16, v1
	;; [unrolled: 2-line block ×4, first 2 shown]
	;;#ASMSTART
	v_cvt_f32_f16 v52, v4;
	;;#ASMEND
	;;#ASMSTART
	v_cvt_f32_f16 v53, v0;
	;;#ASMEND
	;; [unrolled: 3-line block ×16, first 2 shown]
	ds_load_b128 v[4:7], v127 offset:352
	s_wait_dscnt 0x0
	v_and_b32_e32 v8, 0xffff, v4
	v_lshrrev_b32_e32 v4, 16, v4
	v_and_b32_e32 v9, 0xffff, v5
	v_lshrrev_b32_e32 v5, 16, v5
	;; [unrolled: 2-line block ×4, first 2 shown]
	;;#ASMSTART
	v_cvt_f32_f16 v34, v8;
	;;#ASMEND
	;;#ASMSTART
	v_cvt_f32_f16 v35, v4;
	;;#ASMEND
	;; [unrolled: 3-line block ×16, first 2 shown]
	ds_load_b128 v[42:45], v127 offset:368
	v_pk_fma_f32 v[38:39], v[52:53], v[48:49], v[14:15]
	v_pk_fma_f32 v[40:41], v[56:57], v[58:59], v[18:19]
	;; [unrolled: 1-line block ×4, first 2 shown]
	s_delay_alu instid0(VALU_DEP_3)
	v_pk_fma_f32 v[48:49], v[28:29], v[32:33], v[40:41]
	s_wait_dscnt 0x0
	v_and_b32_e32 v14, 0xffff, v42
	v_lshrrev_b32_e32 v15, 16, v42
	v_and_b32_e32 v18, 0xffff, v43
	v_dual_lshrrev_b32 v22, 16, v43 :: v_dual_lshrrev_b32 v43, 16, v44
	v_and_b32_e32 v42, 0xffff, v44
	v_lshrrev_b32_e32 v44, 16, v45
	v_and_b32_e32 v45, 0xffff, v45
	;;#ASMSTART
	v_cvt_f32_f16 v26, v14;
	;;#ASMEND
	;;#ASMSTART
	v_cvt_f32_f16 v27, v15;
	;;#ASMEND
	;;#ASMSTART
	v_cvt_f32_f16 v30, v50;
	;;#ASMEND
	;;#ASMSTART
	v_cvt_f32_f16 v31, v121;
	;;#ASMEND
	;;#ASMSTART
	v_cvt_f32_f16 v19, v18;
	;;#ASMEND
	;;#ASMSTART
	v_cvt_f32_f16 v18, v22;
	;;#ASMEND
	;;#ASMSTART
	v_cvt_f32_f16 v23, v122;
	;;#ASMEND
	;;#ASMSTART
	v_cvt_f32_f16 v22, v123;
	;;#ASMEND
	;;#ASMSTART
	v_cvt_f32_f16 v53, v42;
	;;#ASMEND
	;;#ASMSTART
	v_cvt_f32_f16 v52, v43;
	;;#ASMEND
	;;#ASMSTART
	v_cvt_f32_f16 v55, v119;
	;;#ASMEND
	;;#ASMSTART
	v_cvt_f32_f16 v54, v115;
	;;#ASMEND
	;;#ASMSTART
	v_cvt_f32_f16 v15, v45;
	;;#ASMEND
	;;#ASMSTART
	v_cvt_f32_f16 v14, v44;
	;;#ASMEND
	;;#ASMSTART
	v_cvt_f32_f16 v51, v116;
	;;#ASMEND
	;;#ASMSTART
	v_cvt_f32_f16 v50, v110;
	;;#ASMEND
	ds_load_b128 v[42:45], v127 offset:384
	s_wait_dscnt 0x0
	v_and_b32_e32 v0, 0xffff, v42
	v_lshrrev_b32_e32 v1, 16, v42
	v_and_b32_e32 v2, 0xffff, v43
	v_dual_lshrrev_b32 v3, 16, v43 :: v_dual_lshrrev_b32 v11, 16, v44
	v_and_b32_e32 v10, 0xffff, v44
	v_lshrrev_b32_e32 v12, 16, v45
	v_and_b32_e32 v13, 0xffff, v45
	;;#ASMSTART
	v_cvt_f32_f16 v76, v0;
	;;#ASMEND
	;;#ASMSTART
	v_cvt_f32_f16 v77, v1;
	;;#ASMEND
	;;#ASMSTART
	v_cvt_f32_f16 v78, v78;
	;;#ASMEND
	;;#ASMSTART
	v_cvt_f32_f16 v79, v82;
	;;#ASMEND
	;;#ASMSTART
	v_cvt_f32_f16 v1, v2;
	;;#ASMEND
	;;#ASMSTART
	v_cvt_f32_f16 v0, v3;
	;;#ASMEND
	;;#ASMSTART
	v_cvt_f32_f16 v3, v111;
	;;#ASMEND
	;;#ASMSTART
	v_cvt_f32_f16 v2, v81;
	;;#ASMEND
	;;#ASMSTART
	v_cvt_f32_f16 v21, v10;
	;;#ASMEND
	;;#ASMSTART
	v_cvt_f32_f16 v20, v11;
	;;#ASMEND
	;;#ASMSTART
	v_cvt_f32_f16 v25, v100;
	;;#ASMEND
	;;#ASMSTART
	v_cvt_f32_f16 v24, v95;
	;;#ASMEND
	;;#ASMSTART
	v_cvt_f32_f16 v111, v13;
	;;#ASMEND
	;;#ASMSTART
	v_cvt_f32_f16 v110, v12;
	;;#ASMEND
	;;#ASMSTART
	v_cvt_f32_f16 v123, v98;
	;;#ASMEND
	;;#ASMSTART
	v_cvt_f32_f16 v122, v93;
	;;#ASMEND
	ds_load_b128 v[10:13], v127 offset:400
	v_pk_fma_f32 v[44:45], v[34:35], v[36:37], v[38:39]
	s_wait_dscnt 0x0
	v_and_b32_e32 v28, 0xffff, v10
	v_lshrrev_b32_e32 v10, 16, v10
	v_and_b32_e32 v29, 0xffff, v11
	v_lshrrev_b32_e32 v11, 16, v11
	v_and_b32_e32 v32, 0xffff, v12
	v_dual_lshrrev_b32 v12, 16, v12 :: v_dual_lshrrev_b32 v33, 16, v13
	v_and_b32_e32 v13, 0xffff, v13
	;;#ASMSTART
	v_cvt_f32_f16 v42, v28;
	;;#ASMEND
	;;#ASMSTART
	v_cvt_f32_f16 v43, v10;
	;;#ASMEND
	;; [unrolled: 3-line block ×16, first 2 shown]
	ds_load_b128 v[10:13], v127 offset:416
	v_pk_fma_f32 v[70:71], v[8:9], v[16:17], v[56:57]
	v_pk_fma_f32 v[68:69], v[4:5], v[6:7], v[58:59]
	;; [unrolled: 1-line block ×3, first 2 shown]
	s_wait_dscnt 0x0
	v_and_b32_e32 v4, 0xffff, v10
	v_lshrrev_b32_e32 v5, 16, v10
	v_and_b32_e32 v6, 0xffff, v11
	v_dual_lshrrev_b32 v7, 16, v11 :: v_dual_lshrrev_b32 v9, 16, v12
	v_and_b32_e32 v8, 0xffff, v12
	v_lshrrev_b32_e32 v10, 16, v13
	v_and_b32_e32 v11, 0xffff, v13
	;;#ASMSTART
	v_cvt_f32_f16 v64, v4;
	;;#ASMEND
	;;#ASMSTART
	v_cvt_f32_f16 v65, v5;
	;;#ASMEND
	;; [unrolled: 3-line block ×16, first 2 shown]
	ds_load_b128 v[10:13], v127 offset:432
	v_pk_fma_f32 v[82:83], v[18:19], v[22:23], v[48:49]
	v_pk_fma_f32 v[94:95], v[52:53], v[54:55], v[70:71]
	;; [unrolled: 1-line block ×3, first 2 shown]
	s_delay_alu instid0(VALU_DEP_3)
	v_pk_fma_f32 v[98:99], v[0:1], v[2:3], v[82:83]
	s_wait_dscnt 0x0
	v_and_b32_e32 v18, 0xffff, v10
	v_dual_lshrrev_b32 v10, 16, v10 :: v_dual_lshrrev_b32 v22, 16, v12
	v_lshrrev_b32_e32 v19, 16, v11
	v_and_b32_e32 v11, 0xffff, v11
	v_and_b32_e32 v12, 0xffff, v12
	v_lshrrev_b32_e32 v26, 16, v13
	v_and_b32_e32 v13, 0xffff, v13
	;;#ASMSTART
	v_cvt_f32_f16 v60, v18;
	;;#ASMEND
	;;#ASMSTART
	v_cvt_f32_f16 v61, v10;
	;;#ASMEND
	;; [unrolled: 3-line block ×16, first 2 shown]
	ds_load_b128 v[10:13], v127 offset:448
	s_wait_dscnt 0x0
	v_lshrrev_b32_e32 v14, 16, v10
	v_and_b32_e32 v10, 0xffff, v10
	v_dual_lshrrev_b32 v15, 16, v11 :: v_dual_lshrrev_b32 v50, 16, v12
	v_and_b32_e32 v11, 0xffff, v11
	v_and_b32_e32 v12, 0xffff, v12
	v_lshrrev_b32_e32 v54, 16, v13
	v_and_b32_e32 v13, 0xffff, v13
	;;#ASMSTART
	v_cvt_f32_f16 v68, v10;
	;;#ASMEND
	;;#ASMSTART
	v_cvt_f32_f16 v69, v14;
	;;#ASMEND
	;; [unrolled: 3-line block ×16, first 2 shown]
	ds_load_b128 v[10:13], v127 offset:464
	v_pk_fma_f32 v[96:97], v[76:77], v[78:79], v[80:81]
	s_wait_dscnt 0x0
	v_lshrrev_b32_e32 v0, 16, v10
	v_and_b32_e32 v1, 0xffff, v10
	v_dual_lshrrev_b32 v2, 16, v11 :: v_dual_lshrrev_b32 v10, 16, v12
	v_and_b32_e32 v3, 0xffff, v11
	v_and_b32_e32 v11, 0xffff, v12
	v_lshrrev_b32_e32 v12, 16, v13
	v_and_b32_e32 v13, 0xffff, v13
	;;#ASMSTART
	v_cvt_f32_f16 v86, v1;
	;;#ASMEND
	;;#ASMSTART
	v_cvt_f32_f16 v87, v0;
	;;#ASMEND
	;; [unrolled: 3-line block ×16, first 2 shown]
	s_clause 0x1
	scratch_load_b32 v10, off, off offset:128
	scratch_load_b128 v[112:115], off, off offset:20 th:TH_LOAD_LU
	ds_load_b128 v[0:3], v127 offset:480
	v_pk_fma_f32 v[12:13], v[110:111], v[122:123], v[92:93]
	s_wait_loadcnt 0x0
	v_dual_add_nc_u32 v10, v10, v126 :: v_dual_lshrrev_b32 v101, 16, v112
	s_delay_alu instid0(VALU_DEP_1)
	v_cvt_f32_i32_e32 v100, v10
	v_pk_fma_f32 v[10:11], v[20:21], v[24:25], v[94:95]
	v_pk_fma_f32 v[20:21], v[42:43], v[46:47], v[96:97]
	;; [unrolled: 1-line block ×4, first 2 shown]
	s_wait_dscnt 0x0
	v_dual_lshrrev_b32 v12, 16, v2 :: v_dual_lshrrev_b32 v13, 16, v3
	v_pk_fma_f32 v[40:41], v[34:35], v[36:37], v[10:11]
	v_pk_fma_f32 v[46:47], v[64:65], v[66:67], v[20:21]
	v_dual_lshrrev_b32 v10, 16, v0 :: v_dual_lshrrev_b32 v11, 16, v1
	v_and_b32_e32 v0, 0xffff, v0
	;;#ASMSTART
	v_cvt_f32_f16 v28, v0;
	;;#ASMEND
	;;#ASMSTART
	v_cvt_f32_f16 v29, v10;
	;;#ASMEND
	scratch_load_b32 v0, off, off offset:84 th:TH_LOAD_LU ; 4-byte Folded Reload
	s_wait_loadcnt 0x0
	;;#ASMSTART
	v_cvt_f32_f16 v32, v0;
	;;#ASMEND
	scratch_load_b32 v0, off, off offset:68 th:TH_LOAD_LU ; 4-byte Folded Reload
	v_and_b32_e32 v1, 0xffff, v1
	v_and_b32_e32 v2, 0xffff, v2
	;; [unrolled: 1-line block ×3, first 2 shown]
	s_wait_loadcnt 0x0
	;;#ASMSTART
	v_cvt_f32_f16 v33, v0;
	;;#ASMEND
	;;#ASMSTART
	v_cvt_f32_f16 v35, v1;
	;;#ASMEND
	;; [unrolled: 3-line block ×4, first 2 shown]
	scratch_load_b32 v0, off, off offset:52 th:TH_LOAD_LU ; 4-byte Folded Reload
	v_pk_fma_f32 v[56:57], v[56:57], v[58:59], v[24:25]
	s_wait_loadcnt 0x0
	;;#ASMSTART
	v_cvt_f32_f16 v36, v0;
	;;#ASMEND
	;;#ASMSTART
	v_cvt_f32_f16 v21, v2;
	;;#ASMEND
	;; [unrolled: 3-line block ×9, first 2 shown]
	ds_load_b128 v[0:3], v127 offset:496
	v_pk_fma_f32 v[6:7], v[6:7], v[8:9], v[42:43]
	v_pk_fma_f32 v[8:9], v[60:61], v[62:63], v[46:47]
	;; [unrolled: 1-line block ×4, first 2 shown]
	v_and_b32_e32 v95, 0xffff, v112
	v_pk_fma_f32 v[6:7], v[26:27], v[30:31], v[6:7]
	v_pk_fma_f32 v[8:9], v[68:69], v[70:71], v[8:9]
	;; [unrolled: 1-line block ×4, first 2 shown]
	v_lshrrev_b32_e32 v94, 16, v113
	v_pk_fma_f32 v[6:7], v[54:55], v[14:15], v[6:7]
	v_pk_fma_f32 v[8:9], v[86:87], v[90:91], v[8:9]
	;; [unrolled: 1-line block ×4, first 2 shown]
	v_and_b32_e32 v38, 0xffff, v113
	v_dual_lshrrev_b32 v39, 16, v114 :: v_dual_lshrrev_b32 v23, 16, v115
	v_pk_fma_f32 v[8:9], v[28:29], v[32:33], v[8:9]
	s_delay_alu instid0(VALU_DEP_4)
	v_pk_fma_f32 v[14:15], v[34:35], v[36:37], v[14:15]
	s_wait_dscnt 0x0
	v_and_b32_e32 v16, 0xffff, v0
	v_dual_lshrrev_b32 v17, 16, v0 :: v_dual_lshrrev_b32 v18, 16, v1
	v_and_b32_e32 v19, 0xffff, v1
	;;#ASMSTART
	v_cvt_f32_f16 v0, v16;
	;;#ASMEND
	;;#ASMSTART
	v_cvt_f32_f16 v1, v17;
	;;#ASMEND
	;; [unrolled: 3-line block ×4, first 2 shown]
	v_pk_fma_f32 v[0:1], v[0:1], v[16:17], v[8:9]
	;;#ASMSTART
	v_cvt_f32_f16 v19, v19;
	;;#ASMEND
	;;#ASMSTART
	v_cvt_f32_f16 v18, v18;
	;;#ASMEND
	;; [unrolled: 3-line block ×4, first 2 shown]
	v_pk_fma_f32 v[4:5], v[78:79], v[82:83], v[4:5]
	v_pk_fma_f32 v[8:9], v[18:19], v[8:9], v[14:15]
	v_dual_add_f32 v14, v0, v1 :: v_dual_lshrrev_b32 v15, 16, v2
	v_and_b32_e32 v26, 0xffff, v2
	s_delay_alu instid0(VALU_DEP_4) | instskip(SKIP_1) | instid1(VALU_DEP_3)
	v_pk_fma_f32 v[0:1], v[20:21], v[24:25], v[4:5]
	;;#ASMSTART
	v_cvt_f32_f16 v5, v26;
	;;#ASMEND
	v_add_f32_e32 v2, v14, v9
	;;#ASMSTART
	v_cvt_f32_f16 v4, v15;
	;;#ASMEND
	v_and_b32_e32 v22, 0xffff, v114
	v_pk_fma_f32 v[6:7], v[76:77], v[80:81], v[6:7]
	;;#ASMSTART
	v_cvt_f32_f16 v15, v22;
	;;#ASMEND
	;;#ASMSTART
	v_cvt_f32_f16 v14, v39;
	;;#ASMEND
	v_pk_fma_f32 v[0:1], v[4:5], v[14:15], v[0:1]
	v_add_f32_e32 v4, v8, v2
	v_and_b32_e32 v16, 0xffff, v3
	v_lshrrev_b32_e32 v8, 16, v3
	v_pk_fma_f32 v[2:3], v[10:11], v[12:13], v[6:7]
	v_and_b32_e32 v9, 0xffff, v115
	v_add_f32_e32 v1, v4, v1
	scratch_load_b64 v[10:11], off, off offset:12 ; 8-byte Folded Reload
	;;#ASMSTART
	v_cvt_f32_f16 v5, v16;
	;;#ASMEND
	;;#ASMSTART
	v_cvt_f32_f16 v4, v8;
	;;#ASMEND
	scratch_load_b32 v8, off, off offset:8  ; 4-byte Folded Reload
	;;#ASMSTART
	v_cvt_f32_f16 v7, v9;
	;;#ASMEND
	;;#ASMSTART
	v_cvt_f32_f16 v6, v23;
	;;#ASMEND
	v_pk_fma_f32 v[2:3], v[4:5], v[6:7], v[2:3]
	v_dual_add_f32 v0, v0, v1 :: v_dual_mul_f32 v1, s37, v100
	s_clause 0x1
	scratch_load_b32 v7, off, off offset:4
	scratch_load_b32 v6, off, off th:TH_LOAD_LU
	v_dual_cndmask_b32 v1, 0, v1 :: v_dual_add_f32 v0, v0, v3
	s_delay_alu instid0(VALU_DEP_1) | instskip(NEXT) | instid1(VALU_DEP_1)
	v_add_f32_e32 v0, v2, v0
	v_fmac_f32_e32 v1, s23, v0
	scratch_load_b32 v0, off, off offset:124 ; 4-byte Folded Reload
	s_wait_loadcnt 0x1
	v_max_num_f32_e32 v2, v6, v6
	s_wait_loadcnt 0x0
	v_add_nc_u32_e32 v0, v0, v126
	s_delay_alu instid0(VALU_DEP_1) | instskip(NEXT) | instid1(VALU_DEP_1)
	v_cmp_gt_i32_e64 s4, s31, v0
	v_dual_max_num_f32 v2, v2, v1 :: v_dual_cndmask_b32 v0, 0, v1, s4
	s_delay_alu instid0(VALU_DEP_1)
	v_cndmask_b32_e64 v6, v6, v2, s4
	ds_store_b32 v8, v0
	s_branch .LBB98_10
.LBB98_15:
	s_or_b32 exec_lo, exec_lo, s22
	s_clause 0x2
	scratch_load_b32 v122, off, off offset:140
	scratch_load_b32 v123, off, off offset:144
	;; [unrolled: 1-line block ×3, first 2 shown]
.LBB98_16:
	s_wait_xcnt 0x0
	s_or_b32 exec_lo, exec_lo, s11
	v_mbcnt_lo_u32_b32 v3, -1, 0
	s_clause 0x1
	s_load_b64 s[22:23], s[0:1], 0x0
	s_load_b64 s[24:25], s[0:1], 0x18
	s_delay_alu instid0(VALU_DEP_1) | instskip(SKIP_1) | instid1(VALU_DEP_2)
	v_dual_max_num_f32 v4, v6, v6 :: v_dual_bitop2_b32 v0, 16, v3 bitop3:0x14
	v_xor_b32_e32 v2, 8, v3
	v_cmp_gt_i32_e32 vcc_lo, 32, v0
	v_cndmask_b32_e32 v0, v3, v0, vcc_lo
	s_delay_alu instid0(VALU_DEP_3) | instskip(NEXT) | instid1(VALU_DEP_2)
	v_cmp_gt_i32_e32 vcc_lo, 32, v2
	v_dual_lshlrev_b32 v0, 2, v0 :: v_dual_cndmask_b32 v2, v3, v2, vcc_lo
	ds_bpermute_b32 v1, v0, v6
	s_wait_dscnt 0x0
	v_dual_max_num_f32 v5, v1, v1 :: v_dual_lshlrev_b32 v1, 2, v2
	s_delay_alu instid0(VALU_DEP_1) | instskip(SKIP_4) | instid1(VALU_DEP_1)
	v_dual_max_num_f32 v4, v4, v5 :: v_dual_bitop2_b32 v5, 4, v3 bitop3:0x14
	ds_bpermute_b32 v2, v1, v4
	v_cmp_gt_i32_e32 vcc_lo, 32, v5
	s_wait_dscnt 0x0
	v_dual_cndmask_b32 v5, v3, v5 :: v_dual_max_num_f32 v6, v2, v2
	v_dual_lshlrev_b32 v2, 2, v5 :: v_dual_max_num_f32 v4, v4, v6
	ds_bpermute_b32 v5, v2, v4
	s_wait_dscnt 0x0
	v_dual_max_num_f32 v5, v5, v5 :: v_dual_bitop2_b32 v6, 2, v3 bitop3:0x14
	s_delay_alu instid0(VALU_DEP_1) | instskip(NEXT) | instid1(VALU_DEP_2)
	v_cmp_gt_i32_e32 vcc_lo, 32, v6
	v_dual_max_num_f32 v4, v4, v5 :: v_dual_cndmask_b32 v6, v3, v6, vcc_lo
	s_delay_alu instid0(VALU_DEP_1) | instskip(SKIP_3) | instid1(VALU_DEP_1)
	v_dual_lshlrev_b32 v47, 2, v6 :: v_dual_bitop2_b32 v6, 1, v3 bitop3:0x14
	ds_bpermute_b32 v5, v47, v4
	v_cmp_gt_i32_e32 vcc_lo, 32, v6
	v_cndmask_b32_e32 v3, v3, v6, vcc_lo
	v_lshlrev_b32_e32 v46, 2, v3
	scratch_load_b32 v3, off, off offset:124 ; 4-byte Folded Reload
	s_wait_dscnt 0x0
	v_max_num_f32_e32 v5, v5, v5
	s_delay_alu instid0(VALU_DEP_1)
	v_max_num_f32_e32 v4, v4, v5
	ds_bpermute_b32 v5, v46, v4
	s_wait_loadcnt 0x0
	v_cmp_eq_u32_e32 vcc_lo, 0, v3
	v_lshlrev_b32_e32 v3, 2, v123
	s_wait_xcnt 0x0
	s_and_saveexec_b32 s0, vcc_lo
	s_cbranch_execz .LBB98_18
; %bb.17:
	s_wait_dscnt 0x0
	v_dual_max_num_f32 v5, v5, v5 :: v_dual_max_num_f32 v4, v4, v4
	s_delay_alu instid0(VALU_DEP_1)
	v_max_num_f32_e32 v4, v4, v5
	ds_store_b32 v3, v4 offset:512
.LBB98_18:
	s_or_b32 exec_lo, exec_lo, s0
	scratch_load_b32 v4, off, off offset:124 ; 4-byte Folded Reload
	s_wait_storecnt 0x0
	s_wait_loadcnt_dscnt 0x0
	s_barrier_signal -1
	s_barrier_wait -1
	v_cmp_gt_u32_e64 s0, 4, v4
	v_mov_b32_e32 v4, 0xff7fffff
	s_and_saveexec_b32 s1, s0
; %bb.19:
	ds_load_b32 v4, v9 offset:512
; %bb.20:
	s_or_b32 exec_lo, exec_lo, s1
	s_wait_dscnt 0x0
	ds_bpermute_b32 v5, v47, v4
	v_max_num_f32_e32 v4, v4, v4
	s_lshl_b32 s1, s36, 5
	s_delay_alu instid0(SALU_CYCLE_1) | instskip(NEXT) | instid1(SALU_CYCLE_1)
	s_min_i32 s5, s1, s31
	v_cmp_gt_i32_e64 s1, s5, v122
	s_wait_dscnt 0x0
	v_max_num_f32_e32 v5, v5, v5
	s_delay_alu instid0(VALU_DEP_1) | instskip(SKIP_3) | instid1(VALU_DEP_1)
	v_max_num_f32_e32 v4, v4, v5
	ds_bpermute_b32 v5, v46, v4
	s_wait_dscnt 0x0
	v_max_num_f32_e32 v5, v5, v5
	v_dual_max_num_f32 v5, v4, v5 :: v_dual_mov_b32 v4, 0
	ds_bpermute_b32 v5, v4, v5
	s_and_saveexec_b32 s11, s1
	s_cbranch_execz .LBB98_24
; %bb.21:
	v_lshl_add_u32 v6, v122, 2, 0x220
	v_dual_mov_b32 v4, 0 :: v_dual_mov_b32 v7, v122
	s_mov_b32 s12, 0
.LBB98_22:                              ; =>This Inner Loop Header: Depth=1
	ds_load_b32 v8, v6
	v_add_nc_u32_e32 v7, 0x80, v7
	s_delay_alu instid0(VALU_DEP_1) | instskip(SKIP_3) | instid1(VALU_DEP_1)
	v_cmp_le_i32_e64 s4, s5, v7
	s_or_b32 s12, s4, s12
	s_wait_dscnt 0x0
	v_sub_f32_e32 v8, v8, v5
	v_mul_f32_e32 v8, 0x3fb8aa3b, v8
	s_delay_alu instid0(VALU_DEP_1)
	v_exp_f32_e32 v8, v8
	ds_store_b32 v6, v8
	v_nop
	v_add_f32_e32 v4, v4, v8
	v_add_nc_u32_e32 v6, 0x200, v6
	s_and_not1_b32 exec_lo, exec_lo, s12
	s_cbranch_execnz .LBB98_22
; %bb.23:
	s_or_b32 exec_lo, exec_lo, s12
.LBB98_24:
	s_delay_alu instid0(SALU_CYCLE_1)
	s_or_b32 exec_lo, exec_lo, s11
	ds_bpermute_b32 v0, v0, v4
	s_wait_dscnt 0x0
	v_add_f32_e32 v0, v4, v0
	ds_bpermute_b32 v1, v1, v0
	s_wait_dscnt 0x0
	v_add_f32_e32 v0, v0, v1
	;; [unrolled: 3-line block ×5, first 2 shown]
	s_and_saveexec_b32 s4, vcc_lo
; %bb.25:
	ds_store_b32 v3, v0 offset:528
; %bb.26:
	s_or_b32 exec_lo, exec_lo, s4
	s_wait_dscnt 0x0
	s_barrier_signal -1
	s_barrier_wait -1
	s_and_saveexec_b32 s4, s0
; %bb.27:
	ds_load_b32 v0, v9 offset:528
; %bb.28:
	s_or_b32 exec_lo, exec_lo, s4
	s_wait_dscnt 0x0
	ds_bpermute_b32 v1, v47, v0
	s_wait_dscnt 0x0
	v_dual_mov_b32 v5, 0 :: v_dual_add_f32 v0, v0, v1
	ds_bpermute_b32 v1, v46, v0
	s_wait_dscnt 0x0
	v_add_f32_e32 v0, v0, v1
	ds_bpermute_b32 v0, v5, v0
	s_and_saveexec_b32 s0, s1
	s_cbranch_execz .LBB98_41
; %bb.29:
	s_wait_dscnt 0x0
	v_add_f32_e32 v0, 0x358637bd, v0
	s_mov_b32 s4, -1
	s_mov_b32 s1, exec_lo
	s_delay_alu instid0(VALU_DEP_1) | instskip(NEXT) | instid1(VALU_DEP_1)
	v_div_scale_f32 v1, null, v0, v0, 1.0
	v_rcp_f32_e32 v3, v1
	v_nop
	s_delay_alu instid0(TRANS32_DEP_1) | instskip(NEXT) | instid1(VALU_DEP_1)
	v_fma_f32 v2, -v1, v3, 1.0
	v_fmac_f32_e32 v3, v2, v3
	v_div_scale_f32 v4, vcc_lo, 1.0, v0, 1.0
	s_delay_alu instid0(VALU_DEP_1) | instskip(NEXT) | instid1(VALU_DEP_1)
	v_mul_f32_e32 v6, v4, v3
	v_fma_f32 v2, -v1, v6, v4
	s_delay_alu instid0(VALU_DEP_1) | instskip(SKIP_1) | instid1(VALU_DEP_2)
	v_fmac_f32_e32 v6, v2, v3
	v_xad_u32 v2, v122, -1, s5
	v_fma_f32 v1, -v1, v6, v4
	s_delay_alu instid0(VALU_DEP_1) | instskip(NEXT) | instid1(VALU_DEP_1)
	v_div_fmas_f32 v1, v1, v3, v6
	v_div_fixup_f32 v0, v1, v0, 1.0
	v_mov_b32_e32 v1, v122
	v_cmpx_lt_u32_e32 0x7f, v2
	s_cbranch_execz .LBB98_38
; %bb.30:
	s_delay_alu instid0(VALU_DEP_3) | instskip(NEXT) | instid1(VALU_DEP_1)
	v_dual_mov_b32 v1, v0 :: v_dual_lshrrev_b32 v2, 7, v2
	v_dual_mov_b32 v7, 0 :: v_dual_add_nc_u32 v3, -1, v2
	s_delay_alu instid0(VALU_DEP_1) | instskip(SKIP_1) | instid1(VALU_DEP_2)
	v_lshrrev_b32_e32 v4, 1, v3
	v_cmp_lt_u32_e32 vcc_lo, 13, v3
	v_add_nc_u32_e32 v3, 1, v4
	s_and_saveexec_b32 s4, vcc_lo
	s_cbranch_execz .LBB98_34
; %bb.31:
	s_delay_alu instid0(VALU_DEP_1)
	v_and_b32_e32 v4, -8, v3
	v_lshl_add_u32 v6, v122, 2, 0x220
	s_mov_b32 s11, 0
	s_mov_b32 s12, 0
.LBB98_32:                              ; =>This Inner Loop Header: Depth=1
	ds_load_2addr_stride64_b32 v[8:9], v6 offset1:2
	ds_load_2addr_stride64_b32 v[10:11], v6 offset0:4 offset1:6
	ds_load_2addr_stride64_b32 v[12:13], v6 offset0:8 offset1:10
	;; [unrolled: 1-line block ×7, first 2 shown]
	s_add_co_i32 s12, s12, 16
	s_delay_alu instid0(SALU_CYCLE_1) | instskip(NEXT) | instid1(VALU_DEP_1)
	v_dual_mov_b32 v7, s12 :: v_dual_add_nc_u32 v4, -8, v4
	v_cmp_eq_u32_e32 vcc_lo, 0, v4
	s_or_b32 s11, vcc_lo, s11
	s_wait_dscnt 0x7
	v_pk_mul_f32 v[8:9], v[0:1], v[8:9]
	s_wait_dscnt 0x6
	v_pk_mul_f32 v[10:11], v[0:1], v[10:11]
	;; [unrolled: 2-line block ×8, first 2 shown]
	ds_store_2addr_stride64_b32 v6, v8, v9 offset1:2
	ds_store_2addr_stride64_b32 v6, v10, v11 offset0:4 offset1:6
	ds_store_2addr_stride64_b32 v6, v12, v13 offset0:8 offset1:10
	;; [unrolled: 1-line block ×7, first 2 shown]
	v_add_nc_u32_e32 v6, 0x2000, v6
	s_and_not1_b32 exec_lo, exec_lo, s11
	s_cbranch_execnz .LBB98_32
; %bb.33:
	s_or_b32 exec_lo, exec_lo, s11
.LBB98_34:
	s_delay_alu instid0(SALU_CYCLE_1) | instskip(NEXT) | instid1(VALU_DEP_1)
	s_or_b32 exec_lo, exec_lo, s4
	v_and_b32_e32 v3, 7, v3
	s_mov_b32 s11, 0
	s_mov_b32 s4, exec_lo
	s_delay_alu instid0(VALU_DEP_1)
	v_cmpx_ne_u32_e32 0, v3
	s_cbranch_execz .LBB98_37
; %bb.35:
	v_dual_lshlrev_b32 v4, 9, v7 :: v_dual_lshlrev_b32 v6, 2, v122
	s_delay_alu instid0(VALU_DEP_1)
	v_add3_u32 v4, v4, v6, 0x220
.LBB98_36:                              ; =>This Inner Loop Header: Depth=1
	ds_load_2addr_stride64_b32 v[6:7], v4 offset1:2
	v_add_nc_u32_e32 v3, -1, v3
	s_delay_alu instid0(VALU_DEP_1)
	v_cmp_eq_u32_e32 vcc_lo, 0, v3
	s_or_b32 s11, vcc_lo, s11
	s_wait_dscnt 0x0
	v_pk_mul_f32 v[6:7], v[0:1], v[6:7]
	ds_store_2addr_stride64_b32 v4, v6, v7 offset1:2
	v_add_nc_u32_e32 v4, 0x400, v4
	s_and_not1_b32 exec_lo, exec_lo, s11
	s_cbranch_execnz .LBB98_36
.LBB98_37:
	s_or_b32 exec_lo, exec_lo, s4
	v_add_nc_u32_e32 v1, 1, v2
	s_delay_alu instid0(VALU_DEP_1) | instskip(NEXT) | instid1(VALU_DEP_1)
	v_and_b32_e32 v2, 0x3fffffe, v1
	v_cmp_ne_u32_e32 vcc_lo, v1, v2
	v_lshl_add_u32 v1, v2, 7, v122
	s_or_not1_b32 s4, vcc_lo, exec_lo
.LBB98_38:
	s_or_b32 exec_lo, exec_lo, s1
	s_delay_alu instid0(SALU_CYCLE_1)
	s_and_b32 exec_lo, exec_lo, s4
	s_cbranch_execz .LBB98_41
; %bb.39:
	v_lshl_add_u32 v2, v1, 2, 0x220
	s_mov_b32 s1, 0
.LBB98_40:                              ; =>This Inner Loop Header: Depth=1
	ds_load_b32 v3, v2
	v_add_nc_u32_e32 v1, 0x80, v1
	s_delay_alu instid0(VALU_DEP_1)
	v_cmp_le_i32_e32 vcc_lo, s5, v1
	s_or_b32 s1, vcc_lo, s1
	s_wait_dscnt 0x0
	v_mul_f32_e32 v3, v0, v3
	ds_store_b32 v2, v3
	v_add_nc_u32_e32 v2, 0x200, v2
	s_and_not1_b32 exec_lo, exec_lo, s1
	s_cbranch_execnz .LBB98_40
.LBB98_41:
	s_or_b32 exec_lo, exec_lo, s0
	v_dual_mov_b32 v4, 0 :: v_dual_mov_b32 v7, 0
	v_dual_mov_b32 v6, 0 :: v_dual_mov_b32 v9, 0
	;; [unrolled: 1-line block ×15, first 2 shown]
	v_mov_b32_e32 v26, 0
	s_wait_dscnt 0x0
	s_barrier_signal -1
	s_barrier_wait -1
	s_and_saveexec_b32 s1, s3
	s_cbranch_execz .LBB98_111
; %bb.42:
	s_abs_i32 s3, s10
	v_dual_lshlrev_b32 v1, 3, v122 :: v_dual_mov_b32 v37, 0
	s_cvt_f32_u32 s0, s3
	s_lshl_b64 s[10:11], s[20:21], 2
	s_sub_co_i32 s20, s8, s9
	s_delay_alu instid0(VALU_DEP_1)
	v_or_b32_e32 v2, 0x1f00, v1
	v_rcp_iflag_f32_e32 v0, s0
	s_sub_co_i32 s8, 0, s3
	s_ashr_i32 s15, s14, 31
	v_dual_mov_b32 v48, v123 :: v_dual_mov_b32 v26, 0
	v_dual_mov_b32 v27, 0 :: v_dual_bitop2_b32 v49, 24, v1 bitop3:0x40
	s_delay_alu instid0(TRANS32_DEP_1) | instskip(SKIP_4) | instid1(VALU_DEP_3)
	v_readfirstlane_b32 s0, v0
	v_and_b32_e32 v0, 0xf8, v1
	v_dual_mov_b32 v34, 0 :: v_dual_mov_b32 v35, 0
	v_lshlrev_b32_e32 v40, 1, v2
	s_mul_f32 s0, s0, 0x4f7ffffe
	v_dual_lshlrev_b32 v38, 1, v0 :: v_dual_mov_b32 v32, 0
	v_mov_b32_e32 v33, 0
	s_delay_alu instid0(SALU_CYCLE_1) | instskip(SKIP_2) | instid1(SALU_CYCLE_1)
	s_cvt_u32_f32 s0, s0
	v_dual_mov_b32 v30, 0 :: v_dual_mov_b32 v31, 0
	v_dual_mov_b32 v28, 0 :: v_dual_mov_b32 v29, 0
	s_mul_i32 s8, s8, s0
	v_dual_mov_b32 v24, 0 :: v_dual_mov_b32 v25, 0
	v_dual_mov_b32 v22, 0 :: v_dual_mov_b32 v23, 0
	;; [unrolled: 1-line block ×11, first 2 shown]
	s_ashr_i32 s5, s13, 31
	s_mov_b32 s4, s13
	s_mov_b32 s9, 0
	s_lshl_b64 s[12:13], s[14:15], 1
	s_mul_hi_u32 s8, s0, s8
	s_add_co_i32 s21, s36, -1
	s_add_nc_u64 s[10:11], s[18:19], s[10:11]
	s_wait_kmcnt 0x0
	s_add_nc_u64 s[12:13], s[24:25], s[12:13]
	s_mov_b32 s14, s31
	s_add_co_i32 s8, s0, s8
	s_mov_b32 s15, s9
	s_branch .LBB98_45
.LBB98_43:                              ;   in Loop: Header=BB98_45 Depth=1
	s_or_b32 exec_lo, exec_lo, s0
	v_dual_add_f32 v42, v42, v43 :: v_dual_add_f32 v43, v120, v121
	v_dual_add_f32 v44, v118, v119 :: v_dual_add_f32 v45, v116, v117
	s_delay_alu instid0(VALU_DEP_2) | instskip(NEXT) | instid1(VALU_DEP_3)
	v_dual_add_f32 v50, v114, v115 :: v_dual_add_f32 v4, v4, v42
	v_dual_add_f32 v42, v112, v113 :: v_dual_add_f32 v7, v7, v43
	s_delay_alu instid0(VALU_DEP_3) | instskip(NEXT) | instid1(VALU_DEP_3)
	v_dual_add_f32 v6, v6, v44 :: v_dual_add_f32 v9, v9, v45
	v_dual_add_f32 v8, v8, v50 :: v_dual_add_f32 v43, v110, v111
	v_dual_add_f32 v44, v108, v109 :: v_dual_add_f32 v45, v106, v107
	s_delay_alu instid0(VALU_DEP_4) | instskip(SKIP_1) | instid1(VALU_DEP_3)
	v_dual_add_f32 v50, v104, v105 :: v_dual_add_f32 v11, v11, v42
	v_add_f32_e32 v42, v102, v103
	v_dual_add_f32 v10, v10, v43 :: v_dual_add_f32 v13, v13, v44
	s_delay_alu instid0(VALU_DEP_3) | instskip(SKIP_2) | instid1(VALU_DEP_2)
	v_dual_add_f32 v12, v12, v45 :: v_dual_add_f32 v15, v15, v50
	v_dual_add_f32 v43, v100, v101 :: v_dual_add_f32 v44, v98, v99
	v_dual_add_f32 v45, v96, v97 :: v_dual_add_f32 v50, v94, v95
	v_dual_add_f32 v14, v14, v42 :: v_dual_add_f32 v17, v17, v43
	v_dual_add_f32 v42, v92, v93 :: v_dual_add_f32 v43, v90, v91
	s_delay_alu instid0(VALU_DEP_3) | instskip(NEXT) | instid1(VALU_DEP_4)
	v_dual_add_f32 v16, v16, v44 :: v_dual_add_f32 v19, v19, v45
	v_dual_add_f32 v18, v18, v50 :: v_dual_add_f32 v44, v88, v89
	;; [unrolled: 1-line block ×3, first 2 shown]
	s_delay_alu instid0(VALU_DEP_4) | instskip(NEXT) | instid1(VALU_DEP_3)
	v_dual_add_f32 v21, v21, v42 :: v_dual_add_f32 v42, v82, v83
	v_dual_add_f32 v20, v20, v43 :: v_dual_add_f32 v23, v23, v44
	s_delay_alu instid0(VALU_DEP_3) | instskip(SKIP_1) | instid1(VALU_DEP_4)
	v_dual_add_f32 v22, v22, v45 :: v_dual_add_f32 v25, v25, v50
	v_dual_add_f32 v43, v80, v81 :: v_dual_add_f32 v50, v74, v75
	v_add_f32_e32 v24, v24, v42
	v_dual_add_f32 v42, v72, v73 :: v_dual_lshlrev_b32 v36, 16, v36
	v_dual_lshlrev_b32 v39, 16, v39 :: v_dual_lshlrev_b32 v41, 16, v41
	v_dual_add_f32 v44, v78, v79 :: v_dual_add_f32 v45, v76, v77
	v_add_f32_e32 v29, v29, v43
	s_delay_alu instid0(VALU_DEP_4)
	v_dual_add_f32 v43, v70, v71 :: v_dual_add_f32 v33, v33, v42
	v_and_or_b32 v36, 0xffff, v0, v36
	v_and_or_b32 v1, 0xffff, v1, v39
	;; [unrolled: 1-line block ×3, first 2 shown]
	;;#ASMSTART
	v_pk_mul_f16 v36, v59, v36;

	;;#ASMEND
	;;#ASMSTART
	v_pk_mul_f16 v1, v58, v1;

	;;#ASMEND
	;;#ASMSTART
	v_pk_mul_f16 v2, v60, v2;

	;;#ASMEND
	;;#ASMSTART
	v_pk_mul_f16 v3, v61, v3;

	;;#ASMEND
	;;#ASMSTART
	v_pk_add_f16 v1, v36, v1;

	;;#ASMEND
	;;#ASMSTART
	v_pk_add_f16 v1, v1, v2;

	;;#ASMEND
	;; [unrolled: 4-line block ×3, first 2 shown]
	v_and_b32_e32 v36, 0xffff, v1
	v_dual_add_f32 v32, v32, v43 :: v_dual_lshrrev_b32 v39, 16, v1
	;;#ASMSTART
	v_cvt_f32_f16 v36, v36;
	;;#ASMEND
	v_dual_add_f32 v0, v68, v69 :: v_dual_add_f32 v1, v66, v67
	v_dual_add_f32 v2, v64, v65 :: v_dual_add_f32 v3, v62, v63
	;;#ASMSTART
	v_cvt_f32_f16 v39, v39;
	;;#ASMEND
	s_delay_alu instid0(VALU_DEP_2) | instskip(SKIP_3) | instid1(VALU_DEP_4)
	v_dual_add_f32 v36, v36, v39 :: v_dual_add_f32 v35, v35, v0
	v_dual_add_f32 v28, v28, v44 :: v_dual_add_f32 v31, v31, v45
	v_add_f32_e32 v30, v30, v50
	v_dual_add_f32 v34, v34, v1 :: v_dual_add_f32 v27, v27, v2
	v_dual_add_f32 v26, v26, v3 :: v_dual_add_f32 v5, v5, v36
.LBB98_44:                              ;   in Loop: Header=BB98_45 Depth=1
	s_or_b32 exec_lo, exec_lo, s18
	v_add_nc_u32_e32 v48, 4, v48
	s_delay_alu instid0(VALU_DEP_1) | instskip(SKIP_1) | instid1(SALU_CYCLE_1)
	v_cmp_le_i32_e32 vcc_lo, s36, v48
	s_or_b32 s15, vcc_lo, s15
	s_and_not1_b32 exec_lo, exec_lo, s15
	s_cbranch_execz .LBB98_110
.LBB98_45:                              ; =>This Inner Loop Header: Depth=1
	v_lshlrev_b32_e32 v36, 5, v48
	s_delay_alu instid0(VALU_DEP_1) | instskip(NEXT) | instid1(VALU_DEP_1)
	v_mul_u64_e32 v[0:1], s[16:17], v[36:37]
	v_mul_lo_u32 v0, v1, s33
	s_delay_alu instid0(VALU_DEP_1) | instskip(NEXT) | instid1(VALU_DEP_1)
	v_dual_add_nc_u32 v2, 1, v1 :: v_dual_sub_nc_u32 v0, v36, v0
	v_cmp_le_u32_e32 vcc_lo, s33, v0
	s_delay_alu instid0(VALU_DEP_2) | instskip(SKIP_1) | instid1(VALU_DEP_1)
	v_cndmask_b32_e32 v1, v1, v2, vcc_lo
	v_subrev_nc_u32_e32 v3, s33, v0
	v_dual_add_nc_u32 v2, 1, v1 :: v_dual_cndmask_b32 v0, v0, v3, vcc_lo
	s_delay_alu instid0(VALU_DEP_1) | instskip(NEXT) | instid1(VALU_DEP_2)
	v_cmp_le_u32_e32 vcc_lo, s33, v0
	v_cndmask_b32_e32 v0, v1, v2, vcc_lo
	s_delay_alu instid0(VALU_DEP_1) | instskip(NEXT) | instid1(VALU_DEP_1)
	v_dual_mov_b32 v1, v37 :: v_dual_bitop2_b32 v0, s35, v0 bitop3:0x14
	v_subrev_nc_u32_e32 v39, s35, v0
	s_delay_alu instid0(VALU_DEP_1) | instskip(SKIP_1) | instid1(VALU_DEP_2)
	v_add_nc_u32_e32 v41, s34, v39
	v_cmp_lt_i32_e64 s0, s20, v39
	v_sub_nc_u32_e32 v0, 0, v41
	s_delay_alu instid0(VALU_DEP_1) | instskip(NEXT) | instid1(VALU_DEP_1)
	v_max_i32_e32 v0, v41, v0
	v_mul_u64_e32 v[2:3], s[8:9], v[0:1]
	v_ashrrev_i32_e32 v2, 31, v41
	s_delay_alu instid0(VALU_DEP_2) | instskip(NEXT) | instid1(VALU_DEP_1)
	v_mul_lo_u32 v1, v3, s3
	v_sub_nc_u32_e32 v0, v0, v1
	s_delay_alu instid0(VALU_DEP_1) | instskip(SKIP_1) | instid1(VALU_DEP_2)
	v_subrev_nc_u32_e32 v1, s3, v0
	v_cmp_le_u32_e32 vcc_lo, s3, v0
	v_cndmask_b32_e32 v0, v0, v1, vcc_lo
	s_delay_alu instid0(VALU_DEP_1) | instskip(SKIP_1) | instid1(VALU_DEP_2)
	v_subrev_nc_u32_e32 v1, s3, v0
	v_cmp_le_u32_e32 vcc_lo, s3, v0
	v_cndmask_b32_e32 v0, v0, v1, vcc_lo
	s_delay_alu instid0(VALU_DEP_1) | instskip(NEXT) | instid1(VALU_DEP_1)
	v_xor_b32_e32 v0, v0, v2
	v_sub_nc_u32_e32 v0, v0, v2
	s_delay_alu instid0(VALU_DEP_1) | instskip(SKIP_1) | instid1(SALU_CYCLE_1)
	v_cmp_eq_u32_e32 vcc_lo, 0, v0
	s_or_b32 s0, vcc_lo, s0
	s_and_saveexec_b32 s18, s0
	s_cbranch_execz .LBB98_44
; %bb.46:                               ;   in Loop: Header=BB98_45 Depth=1
	global_load_b32 v0, v48, s[10:11] scale_offset
	v_cmp_eq_u32_e32 vcc_lo, s21, v48
	v_dual_mov_b32 v39, v37 :: v_dual_bitop2_b32 v50, v36, v49 bitop3:0x54
	s_delay_alu instid0(VALU_DEP_1) | instskip(SKIP_3) | instid1(VALU_DEP_1)
	v_or_b32_e32 v56, 2, v50
	v_lshl_add_u32 v36, v50, 2, 0x220
	s_wait_loadcnt 0x0
	v_dual_ashrrev_i32 v1, 31, v0 :: v_dual_bitop2_b32 v57, 3, v50 bitop3:0x54
	v_mul_u64_e32 v[42:43], s[4:5], v[0:1]
	ds_load_2addr_b64 v[0:3], v36 offset1:1
	ds_load_2addr_b64 v[52:55], v36 offset0:2 offset1:3
	s_wait_dscnt 0x1
	;;#ASMSTART
	v_cvt_f16_f32 v59, v0;

	;;#ASMEND
	;;#ASMSTART
	v_cvt_f16_f32 v58, v1;

	;;#ASMEND
	;; [unrolled: 4-line block ×4, first 2 shown]
	s_wait_dscnt 0x0
	;;#ASMSTART
	v_cvt_f16_f32 v65, v52;

	;;#ASMEND
	;;#ASMSTART
	v_cvt_f16_f32 v60, v53;

	;;#ASMEND
	;; [unrolled: 4-line block ×4, first 2 shown]
	v_or_b32_e32 v54, 6, v50
	v_or_b32_e32 v53, 7, v50
	;; [unrolled: 1-line block ×3, first 2 shown]
	v_lshl_add_u64 v[42:43], v[42:43], 1, s[12:13]
	s_delay_alu instid0(VALU_DEP_1)
	v_add_nc_u64_e32 v[44:45], v[42:43], v[38:39]
	global_load_b128 v[0:3], v[44:45], off
	v_or_b32_e32 v52, 4, v50
	s_wait_loadcnt 0x0
	v_dual_lshrrev_b32 v36, 16, v0 :: v_dual_bitop2_b32 v51, 5, v50 bitop3:0x54
	v_dual_lshrrev_b32 v39, 16, v1 :: v_dual_lshrrev_b32 v41, 16, v2
	s_and_saveexec_b32 s19, vcc_lo
	s_cbranch_execz .LBB98_48
; %bb.47:                               ;   in Loop: Header=BB98_45 Depth=1
	v_cmp_gt_i32_e64 s0, s31, v50
	v_and_b32_e32 v66, 0xffff, v3
	v_and_b32_e32 v3, 0xffff0000, v3
	s_delay_alu instid0(VALU_DEP_3) | instskip(SKIP_1) | instid1(VALU_DEP_1)
	v_cndmask_b32_e64 v0, 0, v0, s0
	v_cmp_gt_i32_e64 s0, s31, v56
	v_cndmask_b32_e64 v1, 0, v1, s0
	v_cmp_gt_i32_e64 s0, s14, v57
	s_delay_alu instid0(VALU_DEP_1) | instskip(SKIP_1) | instid1(VALU_DEP_1)
	v_cndmask_b32_e64 v39, 0, v39, s0
	v_cmp_gt_i32_e64 s0, s31, v55
	v_cndmask_b32_e64 v36, 0, v36, s0
	v_cmp_gt_i32_e64 s0, s31, v54
	s_delay_alu instid0(VALU_DEP_1) | instskip(SKIP_1) | instid1(VALU_DEP_1)
	;; [unrolled: 5-line block ×3, first 2 shown]
	v_dual_cndmask_b32 v2, 0, v2, s0 :: v_dual_bitop2_b32 v3, v66, v3 bitop3:0x54
	v_cmp_gt_i32_e64 s0, s31, v51
	v_cndmask_b32_e64 v41, 0, v41, s0
.LBB98_48:                              ;   in Loop: Header=BB98_45 Depth=1
	s_or_b32 exec_lo, exec_lo, s19
	s_delay_alu instid0(VALU_DEP_1) | instskip(SKIP_1) | instid1(VALU_DEP_3)
	v_dual_lshlrev_b32 v36, 16, v36 :: v_dual_lshlrev_b32 v39, 16, v39
	v_and_b32_e32 v59, 0xffff, v59
	v_lshlrev_b32_e32 v41, 16, v41
	v_and_b32_e32 v64, 0xffff, v64
	v_and_b32_e32 v65, 0xffff, v65
	;; [unrolled: 1-line block ×3, first 2 shown]
	v_and_or_b32 v0, 0xffff, v0, v36
	v_lshl_or_b32 v59, v58, 16, v59
	v_and_or_b32 v1, 0xffff, v1, v39
	v_and_or_b32 v2, 0xffff, v2, v41
	;;#ASMSTART
	v_pk_mul_f16 v0, v59, v0;

	;;#ASMEND
	v_lshl_or_b32 v58, v63, 16, v64
	v_lshl_or_b32 v60, v60, 16, v65
	;; [unrolled: 1-line block ×3, first 2 shown]
	;;#ASMSTART
	v_pk_mul_f16 v1, v58, v1;

	;;#ASMEND
	;;#ASMSTART
	v_pk_mul_f16 v2, v60, v2;

	;;#ASMEND
	;; [unrolled: 4-line block ×3, first 2 shown]
	;;#ASMSTART
	v_pk_add_f16 v0, v0, v1;

	;;#ASMEND
	;;#ASMSTART
	v_pk_add_f16 v0, v0, v2;

	;;#ASMEND
	;; [unrolled: 4-line block ×3, first 2 shown]
	v_and_b32_e32 v1, 0xffff, v0
	v_lshrrev_b32_e32 v0, 16, v0
	;;#ASMSTART
	v_cvt_f32_f16 v62, v1;
	;;#ASMEND
	;;#ASMSTART
	v_cvt_f32_f16 v63, v0;
	;;#ASMEND
	global_load_b128 v[0:3], v[44:45], off offset:512
	s_wait_loadcnt 0x0
	v_dual_lshrrev_b32 v39, 16, v1 :: v_dual_lshrrev_b32 v36, 16, v0
	v_lshrrev_b32_e32 v41, 16, v2
	s_and_saveexec_b32 s19, vcc_lo
	s_cbranch_execz .LBB98_50
; %bb.49:                               ;   in Loop: Header=BB98_45 Depth=1
	v_cmp_gt_i32_e64 s0, s31, v50
	v_and_b32_e32 v64, 0xffff, v3
	v_and_b32_e32 v3, 0xffff0000, v3
	s_delay_alu instid0(VALU_DEP_3) | instskip(SKIP_1) | instid1(VALU_DEP_1)
	v_cndmask_b32_e64 v0, 0, v0, s0
	v_cmp_gt_i32_e64 s0, s31, v56
	v_cndmask_b32_e64 v1, 0, v1, s0
	v_cmp_gt_i32_e64 s0, s14, v57
	s_delay_alu instid0(VALU_DEP_1) | instskip(SKIP_1) | instid1(VALU_DEP_1)
	v_cndmask_b32_e64 v39, 0, v39, s0
	v_cmp_gt_i32_e64 s0, s31, v55
	v_cndmask_b32_e64 v36, 0, v36, s0
	v_cmp_gt_i32_e64 s0, s31, v54
	s_delay_alu instid0(VALU_DEP_1) | instskip(SKIP_1) | instid1(VALU_DEP_1)
	;; [unrolled: 5-line block ×3, first 2 shown]
	v_dual_cndmask_b32 v2, 0, v2, s0 :: v_dual_bitop2_b32 v3, v64, v3 bitop3:0x54
	v_cmp_gt_i32_e64 s0, s31, v51
	v_cndmask_b32_e64 v41, 0, v41, s0
.LBB98_50:                              ;   in Loop: Header=BB98_45 Depth=1
	s_or_b32 exec_lo, exec_lo, s19
	v_dual_lshlrev_b32 v36, 16, v36 :: v_dual_lshlrev_b32 v39, 16, v39
	s_delay_alu instid0(VALU_DEP_2) | instskip(NEXT) | instid1(VALU_DEP_2)
	v_lshlrev_b32_e32 v41, 16, v41
	v_and_or_b32 v0, 0xffff, v0, v36
	s_delay_alu instid0(VALU_DEP_3) | instskip(NEXT) | instid1(VALU_DEP_3)
	v_and_or_b32 v1, 0xffff, v1, v39
	v_and_or_b32 v2, 0xffff, v2, v41
	;;#ASMSTART
	v_pk_mul_f16 v0, v59, v0;

	;;#ASMEND
	;;#ASMSTART
	v_pk_mul_f16 v1, v58, v1;

	;;#ASMEND
	;; [unrolled: 4-line block ×4, first 2 shown]
	;;#ASMSTART
	v_pk_add_f16 v0, v0, v1;

	;;#ASMEND
	;;#ASMSTART
	v_pk_add_f16 v0, v0, v2;

	;;#ASMEND
	;; [unrolled: 4-line block ×3, first 2 shown]
	v_and_b32_e32 v1, 0xffff, v0
	v_lshrrev_b32_e32 v0, 16, v0
	;;#ASMSTART
	v_cvt_f32_f16 v64, v1;
	;;#ASMEND
	;;#ASMSTART
	v_cvt_f32_f16 v65, v0;
	;;#ASMEND
	global_load_b128 v[0:3], v[44:45], off offset:1024
	s_wait_loadcnt 0x0
	v_dual_lshrrev_b32 v39, 16, v1 :: v_dual_lshrrev_b32 v36, 16, v0
	v_lshrrev_b32_e32 v41, 16, v2
	s_and_saveexec_b32 s19, vcc_lo
	s_cbranch_execz .LBB98_52
; %bb.51:                               ;   in Loop: Header=BB98_45 Depth=1
	v_cmp_gt_i32_e64 s0, s31, v50
	v_and_b32_e32 v66, 0xffff, v3
	v_and_b32_e32 v3, 0xffff0000, v3
	s_delay_alu instid0(VALU_DEP_3) | instskip(SKIP_1) | instid1(VALU_DEP_1)
	v_cndmask_b32_e64 v0, 0, v0, s0
	v_cmp_gt_i32_e64 s0, s31, v56
	v_cndmask_b32_e64 v1, 0, v1, s0
	v_cmp_gt_i32_e64 s0, s14, v57
	s_delay_alu instid0(VALU_DEP_1) | instskip(SKIP_1) | instid1(VALU_DEP_1)
	v_cndmask_b32_e64 v39, 0, v39, s0
	v_cmp_gt_i32_e64 s0, s31, v55
	v_cndmask_b32_e64 v36, 0, v36, s0
	v_cmp_gt_i32_e64 s0, s31, v54
	s_delay_alu instid0(VALU_DEP_1) | instskip(SKIP_1) | instid1(VALU_DEP_1)
	;; [unrolled: 5-line block ×3, first 2 shown]
	v_dual_cndmask_b32 v2, 0, v2, s0 :: v_dual_bitop2_b32 v3, v66, v3 bitop3:0x54
	v_cmp_gt_i32_e64 s0, s31, v51
	v_cndmask_b32_e64 v41, 0, v41, s0
.LBB98_52:                              ;   in Loop: Header=BB98_45 Depth=1
	s_or_b32 exec_lo, exec_lo, s19
	v_dual_lshlrev_b32 v36, 16, v36 :: v_dual_lshlrev_b32 v39, 16, v39
	s_delay_alu instid0(VALU_DEP_2) | instskip(NEXT) | instid1(VALU_DEP_2)
	v_lshlrev_b32_e32 v41, 16, v41
	v_and_or_b32 v0, 0xffff, v0, v36
	s_delay_alu instid0(VALU_DEP_3) | instskip(NEXT) | instid1(VALU_DEP_3)
	v_and_or_b32 v1, 0xffff, v1, v39
	v_and_or_b32 v2, 0xffff, v2, v41
	;;#ASMSTART
	v_pk_mul_f16 v0, v59, v0;

	;;#ASMEND
	;;#ASMSTART
	v_pk_mul_f16 v1, v58, v1;

	;;#ASMEND
	;; [unrolled: 4-line block ×4, first 2 shown]
	;;#ASMSTART
	v_pk_add_f16 v0, v0, v1;

	;;#ASMEND
	;;#ASMSTART
	v_pk_add_f16 v0, v0, v2;

	;;#ASMEND
	;; [unrolled: 4-line block ×3, first 2 shown]
	v_and_b32_e32 v1, 0xffff, v0
	v_lshrrev_b32_e32 v0, 16, v0
	;;#ASMSTART
	v_cvt_f32_f16 v66, v1;
	;;#ASMEND
	;;#ASMSTART
	v_cvt_f32_f16 v67, v0;
	;;#ASMEND
	global_load_b128 v[0:3], v[44:45], off offset:1536
	s_wait_loadcnt 0x0
	v_dual_lshrrev_b32 v39, 16, v1 :: v_dual_lshrrev_b32 v36, 16, v0
	v_lshrrev_b32_e32 v41, 16, v2
	s_and_saveexec_b32 s19, vcc_lo
	s_cbranch_execz .LBB98_54
; %bb.53:                               ;   in Loop: Header=BB98_45 Depth=1
	v_cmp_gt_i32_e64 s0, s31, v50
	v_and_b32_e32 v68, 0xffff, v3
	v_and_b32_e32 v3, 0xffff0000, v3
	s_delay_alu instid0(VALU_DEP_3) | instskip(SKIP_1) | instid1(VALU_DEP_1)
	v_cndmask_b32_e64 v0, 0, v0, s0
	v_cmp_gt_i32_e64 s0, s31, v56
	v_cndmask_b32_e64 v1, 0, v1, s0
	v_cmp_gt_i32_e64 s0, s14, v57
	s_delay_alu instid0(VALU_DEP_1) | instskip(SKIP_1) | instid1(VALU_DEP_1)
	v_cndmask_b32_e64 v39, 0, v39, s0
	v_cmp_gt_i32_e64 s0, s31, v55
	v_cndmask_b32_e64 v36, 0, v36, s0
	v_cmp_gt_i32_e64 s0, s31, v54
	s_delay_alu instid0(VALU_DEP_1) | instskip(SKIP_1) | instid1(VALU_DEP_1)
	;; [unrolled: 5-line block ×3, first 2 shown]
	v_dual_cndmask_b32 v2, 0, v2, s0 :: v_dual_bitop2_b32 v3, v68, v3 bitop3:0x54
	v_cmp_gt_i32_e64 s0, s31, v51
	v_cndmask_b32_e64 v41, 0, v41, s0
.LBB98_54:                              ;   in Loop: Header=BB98_45 Depth=1
	s_or_b32 exec_lo, exec_lo, s19
	v_dual_lshlrev_b32 v36, 16, v36 :: v_dual_lshlrev_b32 v39, 16, v39
	s_delay_alu instid0(VALU_DEP_2) | instskip(NEXT) | instid1(VALU_DEP_2)
	v_lshlrev_b32_e32 v41, 16, v41
	v_and_or_b32 v0, 0xffff, v0, v36
	s_delay_alu instid0(VALU_DEP_3) | instskip(NEXT) | instid1(VALU_DEP_3)
	v_and_or_b32 v1, 0xffff, v1, v39
	v_and_or_b32 v2, 0xffff, v2, v41
	;;#ASMSTART
	v_pk_mul_f16 v0, v59, v0;

	;;#ASMEND
	;;#ASMSTART
	v_pk_mul_f16 v1, v58, v1;

	;;#ASMEND
	;; [unrolled: 4-line block ×4, first 2 shown]
	;;#ASMSTART
	v_pk_add_f16 v0, v0, v1;

	;;#ASMEND
	;;#ASMSTART
	v_pk_add_f16 v0, v0, v2;

	;;#ASMEND
	;; [unrolled: 4-line block ×3, first 2 shown]
	v_and_b32_e32 v1, 0xffff, v0
	v_lshrrev_b32_e32 v0, 16, v0
	;;#ASMSTART
	v_cvt_f32_f16 v68, v1;
	;;#ASMEND
	;;#ASMSTART
	v_cvt_f32_f16 v69, v0;
	;;#ASMEND
	global_load_b128 v[0:3], v[44:45], off offset:2048
	s_wait_loadcnt 0x0
	v_dual_lshrrev_b32 v39, 16, v1 :: v_dual_lshrrev_b32 v36, 16, v0
	v_lshrrev_b32_e32 v41, 16, v2
	s_and_saveexec_b32 s19, vcc_lo
	s_cbranch_execz .LBB98_56
; %bb.55:                               ;   in Loop: Header=BB98_45 Depth=1
	v_cmp_gt_i32_e64 s0, s31, v50
	v_and_b32_e32 v70, 0xffff, v3
	v_and_b32_e32 v3, 0xffff0000, v3
	s_delay_alu instid0(VALU_DEP_3) | instskip(SKIP_1) | instid1(VALU_DEP_1)
	v_cndmask_b32_e64 v0, 0, v0, s0
	v_cmp_gt_i32_e64 s0, s31, v56
	v_cndmask_b32_e64 v1, 0, v1, s0
	v_cmp_gt_i32_e64 s0, s14, v57
	s_delay_alu instid0(VALU_DEP_1) | instskip(SKIP_1) | instid1(VALU_DEP_1)
	v_cndmask_b32_e64 v39, 0, v39, s0
	v_cmp_gt_i32_e64 s0, s31, v55
	v_cndmask_b32_e64 v36, 0, v36, s0
	v_cmp_gt_i32_e64 s0, s31, v54
	s_delay_alu instid0(VALU_DEP_1) | instskip(SKIP_1) | instid1(VALU_DEP_1)
	;; [unrolled: 5-line block ×3, first 2 shown]
	v_dual_cndmask_b32 v2, 0, v2, s0 :: v_dual_bitop2_b32 v3, v70, v3 bitop3:0x54
	v_cmp_gt_i32_e64 s0, s31, v51
	v_cndmask_b32_e64 v41, 0, v41, s0
.LBB98_56:                              ;   in Loop: Header=BB98_45 Depth=1
	s_or_b32 exec_lo, exec_lo, s19
	v_dual_lshlrev_b32 v36, 16, v36 :: v_dual_lshlrev_b32 v39, 16, v39
	s_delay_alu instid0(VALU_DEP_2) | instskip(NEXT) | instid1(VALU_DEP_2)
	v_lshlrev_b32_e32 v41, 16, v41
	v_and_or_b32 v0, 0xffff, v0, v36
	s_delay_alu instid0(VALU_DEP_3) | instskip(NEXT) | instid1(VALU_DEP_3)
	v_and_or_b32 v1, 0xffff, v1, v39
	v_and_or_b32 v2, 0xffff, v2, v41
	;;#ASMSTART
	v_pk_mul_f16 v0, v59, v0;

	;;#ASMEND
	;;#ASMSTART
	v_pk_mul_f16 v1, v58, v1;

	;;#ASMEND
	;; [unrolled: 4-line block ×4, first 2 shown]
	;;#ASMSTART
	v_pk_add_f16 v0, v0, v1;

	;;#ASMEND
	;;#ASMSTART
	v_pk_add_f16 v0, v0, v2;

	;;#ASMEND
	;; [unrolled: 4-line block ×3, first 2 shown]
	v_and_b32_e32 v1, 0xffff, v0
	v_lshrrev_b32_e32 v0, 16, v0
	;;#ASMSTART
	v_cvt_f32_f16 v70, v1;
	;;#ASMEND
	;;#ASMSTART
	v_cvt_f32_f16 v71, v0;
	;;#ASMEND
	global_load_b128 v[0:3], v[44:45], off offset:2560
	s_wait_loadcnt 0x0
	v_dual_lshrrev_b32 v39, 16, v1 :: v_dual_lshrrev_b32 v36, 16, v0
	v_lshrrev_b32_e32 v41, 16, v2
	s_and_saveexec_b32 s19, vcc_lo
	s_cbranch_execz .LBB98_58
; %bb.57:                               ;   in Loop: Header=BB98_45 Depth=1
	v_cmp_gt_i32_e64 s0, s31, v50
	v_and_b32_e32 v72, 0xffff, v3
	v_and_b32_e32 v3, 0xffff0000, v3
	s_delay_alu instid0(VALU_DEP_3) | instskip(SKIP_1) | instid1(VALU_DEP_1)
	v_cndmask_b32_e64 v0, 0, v0, s0
	v_cmp_gt_i32_e64 s0, s31, v56
	v_cndmask_b32_e64 v1, 0, v1, s0
	v_cmp_gt_i32_e64 s0, s14, v57
	s_delay_alu instid0(VALU_DEP_1) | instskip(SKIP_1) | instid1(VALU_DEP_1)
	v_cndmask_b32_e64 v39, 0, v39, s0
	v_cmp_gt_i32_e64 s0, s31, v55
	v_cndmask_b32_e64 v36, 0, v36, s0
	v_cmp_gt_i32_e64 s0, s31, v54
	s_delay_alu instid0(VALU_DEP_1) | instskip(SKIP_1) | instid1(VALU_DEP_1)
	;; [unrolled: 5-line block ×3, first 2 shown]
	v_dual_cndmask_b32 v2, 0, v2, s0 :: v_dual_bitop2_b32 v3, v72, v3 bitop3:0x54
	v_cmp_gt_i32_e64 s0, s31, v51
	v_cndmask_b32_e64 v41, 0, v41, s0
.LBB98_58:                              ;   in Loop: Header=BB98_45 Depth=1
	s_or_b32 exec_lo, exec_lo, s19
	v_dual_lshlrev_b32 v36, 16, v36 :: v_dual_lshlrev_b32 v39, 16, v39
	s_delay_alu instid0(VALU_DEP_2) | instskip(NEXT) | instid1(VALU_DEP_2)
	v_lshlrev_b32_e32 v41, 16, v41
	v_and_or_b32 v0, 0xffff, v0, v36
	s_delay_alu instid0(VALU_DEP_3) | instskip(NEXT) | instid1(VALU_DEP_3)
	v_and_or_b32 v1, 0xffff, v1, v39
	v_and_or_b32 v2, 0xffff, v2, v41
	;;#ASMSTART
	v_pk_mul_f16 v0, v59, v0;

	;;#ASMEND
	;;#ASMSTART
	v_pk_mul_f16 v1, v58, v1;

	;;#ASMEND
	;; [unrolled: 4-line block ×4, first 2 shown]
	;;#ASMSTART
	v_pk_add_f16 v0, v0, v1;

	;;#ASMEND
	;;#ASMSTART
	v_pk_add_f16 v0, v0, v2;

	;;#ASMEND
	;; [unrolled: 4-line block ×3, first 2 shown]
	v_and_b32_e32 v1, 0xffff, v0
	v_lshrrev_b32_e32 v0, 16, v0
	;;#ASMSTART
	v_cvt_f32_f16 v72, v1;
	;;#ASMEND
	;;#ASMSTART
	v_cvt_f32_f16 v73, v0;
	;;#ASMEND
	global_load_b128 v[0:3], v[44:45], off offset:3072
	s_wait_loadcnt 0x0
	v_dual_lshrrev_b32 v39, 16, v1 :: v_dual_lshrrev_b32 v36, 16, v0
	v_lshrrev_b32_e32 v41, 16, v2
	s_and_saveexec_b32 s19, vcc_lo
	s_cbranch_execz .LBB98_60
; %bb.59:                               ;   in Loop: Header=BB98_45 Depth=1
	v_cmp_gt_i32_e64 s0, s31, v50
	v_and_b32_e32 v74, 0xffff, v3
	v_and_b32_e32 v3, 0xffff0000, v3
	s_delay_alu instid0(VALU_DEP_3) | instskip(SKIP_1) | instid1(VALU_DEP_1)
	v_cndmask_b32_e64 v0, 0, v0, s0
	v_cmp_gt_i32_e64 s0, s31, v56
	v_cndmask_b32_e64 v1, 0, v1, s0
	v_cmp_gt_i32_e64 s0, s14, v57
	s_delay_alu instid0(VALU_DEP_1) | instskip(SKIP_1) | instid1(VALU_DEP_1)
	v_cndmask_b32_e64 v39, 0, v39, s0
	v_cmp_gt_i32_e64 s0, s31, v55
	v_cndmask_b32_e64 v36, 0, v36, s0
	v_cmp_gt_i32_e64 s0, s31, v54
	s_delay_alu instid0(VALU_DEP_1) | instskip(SKIP_1) | instid1(VALU_DEP_1)
	;; [unrolled: 5-line block ×3, first 2 shown]
	v_dual_cndmask_b32 v2, 0, v2, s0 :: v_dual_bitop2_b32 v3, v74, v3 bitop3:0x54
	v_cmp_gt_i32_e64 s0, s31, v51
	v_cndmask_b32_e64 v41, 0, v41, s0
.LBB98_60:                              ;   in Loop: Header=BB98_45 Depth=1
	s_or_b32 exec_lo, exec_lo, s19
	v_dual_lshlrev_b32 v36, 16, v36 :: v_dual_lshlrev_b32 v39, 16, v39
	s_delay_alu instid0(VALU_DEP_2) | instskip(NEXT) | instid1(VALU_DEP_2)
	v_lshlrev_b32_e32 v41, 16, v41
	v_and_or_b32 v0, 0xffff, v0, v36
	s_delay_alu instid0(VALU_DEP_3) | instskip(NEXT) | instid1(VALU_DEP_3)
	v_and_or_b32 v1, 0xffff, v1, v39
	v_and_or_b32 v2, 0xffff, v2, v41
	;;#ASMSTART
	v_pk_mul_f16 v0, v59, v0;

	;;#ASMEND
	;;#ASMSTART
	v_pk_mul_f16 v1, v58, v1;

	;;#ASMEND
	;; [unrolled: 4-line block ×4, first 2 shown]
	;;#ASMSTART
	v_pk_add_f16 v0, v0, v1;

	;;#ASMEND
	;;#ASMSTART
	v_pk_add_f16 v0, v0, v2;

	;;#ASMEND
	;; [unrolled: 4-line block ×3, first 2 shown]
	v_and_b32_e32 v1, 0xffff, v0
	v_lshrrev_b32_e32 v0, 16, v0
	;;#ASMSTART
	v_cvt_f32_f16 v74, v1;
	;;#ASMEND
	;;#ASMSTART
	v_cvt_f32_f16 v75, v0;
	;;#ASMEND
	global_load_b128 v[0:3], v[44:45], off offset:3584
	s_wait_loadcnt 0x0
	v_dual_lshrrev_b32 v39, 16, v1 :: v_dual_lshrrev_b32 v36, 16, v0
	v_lshrrev_b32_e32 v41, 16, v2
	s_and_saveexec_b32 s19, vcc_lo
	s_cbranch_execz .LBB98_62
; %bb.61:                               ;   in Loop: Header=BB98_45 Depth=1
	v_cmp_gt_i32_e64 s0, s31, v50
	v_and_b32_e32 v76, 0xffff, v3
	v_and_b32_e32 v3, 0xffff0000, v3
	s_delay_alu instid0(VALU_DEP_3) | instskip(SKIP_1) | instid1(VALU_DEP_1)
	v_cndmask_b32_e64 v0, 0, v0, s0
	v_cmp_gt_i32_e64 s0, s31, v56
	v_cndmask_b32_e64 v1, 0, v1, s0
	v_cmp_gt_i32_e64 s0, s14, v57
	s_delay_alu instid0(VALU_DEP_1) | instskip(SKIP_1) | instid1(VALU_DEP_1)
	v_cndmask_b32_e64 v39, 0, v39, s0
	v_cmp_gt_i32_e64 s0, s31, v55
	v_cndmask_b32_e64 v36, 0, v36, s0
	v_cmp_gt_i32_e64 s0, s31, v54
	s_delay_alu instid0(VALU_DEP_1) | instskip(SKIP_1) | instid1(VALU_DEP_1)
	;; [unrolled: 5-line block ×3, first 2 shown]
	v_dual_cndmask_b32 v2, 0, v2, s0 :: v_dual_bitop2_b32 v3, v76, v3 bitop3:0x54
	v_cmp_gt_i32_e64 s0, s31, v51
	v_cndmask_b32_e64 v41, 0, v41, s0
.LBB98_62:                              ;   in Loop: Header=BB98_45 Depth=1
	s_or_b32 exec_lo, exec_lo, s19
	v_dual_lshlrev_b32 v36, 16, v36 :: v_dual_lshlrev_b32 v39, 16, v39
	s_delay_alu instid0(VALU_DEP_2) | instskip(NEXT) | instid1(VALU_DEP_2)
	v_lshlrev_b32_e32 v41, 16, v41
	v_and_or_b32 v0, 0xffff, v0, v36
	s_delay_alu instid0(VALU_DEP_3) | instskip(NEXT) | instid1(VALU_DEP_3)
	v_and_or_b32 v1, 0xffff, v1, v39
	v_and_or_b32 v2, 0xffff, v2, v41
	;;#ASMSTART
	v_pk_mul_f16 v0, v59, v0;

	;;#ASMEND
	;;#ASMSTART
	v_pk_mul_f16 v1, v58, v1;

	;;#ASMEND
	;; [unrolled: 4-line block ×4, first 2 shown]
	;;#ASMSTART
	v_pk_add_f16 v0, v0, v1;

	;;#ASMEND
	;;#ASMSTART
	v_pk_add_f16 v0, v0, v2;

	;;#ASMEND
	;; [unrolled: 4-line block ×3, first 2 shown]
	v_and_b32_e32 v1, 0xffff, v0
	v_lshrrev_b32_e32 v0, 16, v0
	;;#ASMSTART
	v_cvt_f32_f16 v76, v1;
	;;#ASMEND
	;;#ASMSTART
	v_cvt_f32_f16 v77, v0;
	;;#ASMEND
	global_load_b128 v[0:3], v[44:45], off offset:4096
	s_wait_loadcnt 0x0
	v_dual_lshrrev_b32 v39, 16, v1 :: v_dual_lshrrev_b32 v36, 16, v0
	v_lshrrev_b32_e32 v41, 16, v2
	s_and_saveexec_b32 s19, vcc_lo
	s_cbranch_execz .LBB98_64
; %bb.63:                               ;   in Loop: Header=BB98_45 Depth=1
	v_cmp_gt_i32_e64 s0, s31, v50
	v_and_b32_e32 v78, 0xffff, v3
	v_and_b32_e32 v3, 0xffff0000, v3
	s_delay_alu instid0(VALU_DEP_3) | instskip(SKIP_1) | instid1(VALU_DEP_1)
	v_cndmask_b32_e64 v0, 0, v0, s0
	v_cmp_gt_i32_e64 s0, s31, v56
	v_cndmask_b32_e64 v1, 0, v1, s0
	v_cmp_gt_i32_e64 s0, s14, v57
	s_delay_alu instid0(VALU_DEP_1) | instskip(SKIP_1) | instid1(VALU_DEP_1)
	v_cndmask_b32_e64 v39, 0, v39, s0
	v_cmp_gt_i32_e64 s0, s31, v55
	v_cndmask_b32_e64 v36, 0, v36, s0
	v_cmp_gt_i32_e64 s0, s31, v54
	s_delay_alu instid0(VALU_DEP_1) | instskip(SKIP_1) | instid1(VALU_DEP_1)
	;; [unrolled: 5-line block ×3, first 2 shown]
	v_dual_cndmask_b32 v2, 0, v2, s0 :: v_dual_bitop2_b32 v3, v78, v3 bitop3:0x54
	v_cmp_gt_i32_e64 s0, s31, v51
	v_cndmask_b32_e64 v41, 0, v41, s0
.LBB98_64:                              ;   in Loop: Header=BB98_45 Depth=1
	s_or_b32 exec_lo, exec_lo, s19
	v_dual_lshlrev_b32 v36, 16, v36 :: v_dual_lshlrev_b32 v39, 16, v39
	s_delay_alu instid0(VALU_DEP_2) | instskip(NEXT) | instid1(VALU_DEP_2)
	v_lshlrev_b32_e32 v41, 16, v41
	v_and_or_b32 v0, 0xffff, v0, v36
	s_delay_alu instid0(VALU_DEP_3) | instskip(NEXT) | instid1(VALU_DEP_3)
	v_and_or_b32 v1, 0xffff, v1, v39
	v_and_or_b32 v2, 0xffff, v2, v41
	;;#ASMSTART
	v_pk_mul_f16 v0, v59, v0;

	;;#ASMEND
	;;#ASMSTART
	v_pk_mul_f16 v1, v58, v1;

	;;#ASMEND
	;; [unrolled: 4-line block ×4, first 2 shown]
	;;#ASMSTART
	v_pk_add_f16 v0, v0, v1;

	;;#ASMEND
	;;#ASMSTART
	v_pk_add_f16 v0, v0, v2;

	;;#ASMEND
	;; [unrolled: 4-line block ×3, first 2 shown]
	v_and_b32_e32 v1, 0xffff, v0
	v_lshrrev_b32_e32 v0, 16, v0
	;;#ASMSTART
	v_cvt_f32_f16 v78, v1;
	;;#ASMEND
	;;#ASMSTART
	v_cvt_f32_f16 v79, v0;
	;;#ASMEND
	global_load_b128 v[0:3], v[44:45], off offset:4608
	s_wait_loadcnt 0x0
	v_dual_lshrrev_b32 v39, 16, v1 :: v_dual_lshrrev_b32 v36, 16, v0
	v_lshrrev_b32_e32 v41, 16, v2
	s_and_saveexec_b32 s19, vcc_lo
	s_cbranch_execz .LBB98_66
; %bb.65:                               ;   in Loop: Header=BB98_45 Depth=1
	v_cmp_gt_i32_e64 s0, s31, v50
	v_and_b32_e32 v80, 0xffff, v3
	v_and_b32_e32 v3, 0xffff0000, v3
	s_delay_alu instid0(VALU_DEP_3) | instskip(SKIP_1) | instid1(VALU_DEP_1)
	v_cndmask_b32_e64 v0, 0, v0, s0
	v_cmp_gt_i32_e64 s0, s31, v56
	v_cndmask_b32_e64 v1, 0, v1, s0
	v_cmp_gt_i32_e64 s0, s14, v57
	s_delay_alu instid0(VALU_DEP_1) | instskip(SKIP_1) | instid1(VALU_DEP_1)
	v_cndmask_b32_e64 v39, 0, v39, s0
	v_cmp_gt_i32_e64 s0, s31, v55
	v_cndmask_b32_e64 v36, 0, v36, s0
	v_cmp_gt_i32_e64 s0, s31, v54
	s_delay_alu instid0(VALU_DEP_1) | instskip(SKIP_1) | instid1(VALU_DEP_1)
	;; [unrolled: 5-line block ×3, first 2 shown]
	v_dual_cndmask_b32 v2, 0, v2, s0 :: v_dual_bitop2_b32 v3, v80, v3 bitop3:0x54
	v_cmp_gt_i32_e64 s0, s31, v51
	v_cndmask_b32_e64 v41, 0, v41, s0
.LBB98_66:                              ;   in Loop: Header=BB98_45 Depth=1
	s_or_b32 exec_lo, exec_lo, s19
	v_dual_lshlrev_b32 v36, 16, v36 :: v_dual_lshlrev_b32 v39, 16, v39
	s_delay_alu instid0(VALU_DEP_2) | instskip(NEXT) | instid1(VALU_DEP_2)
	v_lshlrev_b32_e32 v41, 16, v41
	v_and_or_b32 v0, 0xffff, v0, v36
	s_delay_alu instid0(VALU_DEP_3) | instskip(NEXT) | instid1(VALU_DEP_3)
	v_and_or_b32 v1, 0xffff, v1, v39
	v_and_or_b32 v2, 0xffff, v2, v41
	;;#ASMSTART
	v_pk_mul_f16 v0, v59, v0;

	;;#ASMEND
	;;#ASMSTART
	v_pk_mul_f16 v1, v58, v1;

	;;#ASMEND
	;; [unrolled: 4-line block ×4, first 2 shown]
	;;#ASMSTART
	v_pk_add_f16 v0, v0, v1;

	;;#ASMEND
	;;#ASMSTART
	v_pk_add_f16 v0, v0, v2;

	;;#ASMEND
	;; [unrolled: 4-line block ×3, first 2 shown]
	v_and_b32_e32 v1, 0xffff, v0
	v_lshrrev_b32_e32 v0, 16, v0
	;;#ASMSTART
	v_cvt_f32_f16 v80, v1;
	;;#ASMEND
	;;#ASMSTART
	v_cvt_f32_f16 v81, v0;
	;;#ASMEND
	global_load_b128 v[0:3], v[44:45], off offset:5120
	s_wait_loadcnt 0x0
	v_dual_lshrrev_b32 v39, 16, v1 :: v_dual_lshrrev_b32 v36, 16, v0
	v_lshrrev_b32_e32 v41, 16, v2
	s_and_saveexec_b32 s19, vcc_lo
	s_cbranch_execz .LBB98_68
; %bb.67:                               ;   in Loop: Header=BB98_45 Depth=1
	v_cmp_gt_i32_e64 s0, s31, v50
	v_and_b32_e32 v82, 0xffff, v3
	v_and_b32_e32 v3, 0xffff0000, v3
	s_delay_alu instid0(VALU_DEP_3) | instskip(SKIP_1) | instid1(VALU_DEP_1)
	v_cndmask_b32_e64 v0, 0, v0, s0
	v_cmp_gt_i32_e64 s0, s31, v56
	v_cndmask_b32_e64 v1, 0, v1, s0
	v_cmp_gt_i32_e64 s0, s14, v57
	s_delay_alu instid0(VALU_DEP_1) | instskip(SKIP_1) | instid1(VALU_DEP_1)
	v_cndmask_b32_e64 v39, 0, v39, s0
	v_cmp_gt_i32_e64 s0, s31, v55
	v_cndmask_b32_e64 v36, 0, v36, s0
	v_cmp_gt_i32_e64 s0, s31, v54
	s_delay_alu instid0(VALU_DEP_1) | instskip(SKIP_1) | instid1(VALU_DEP_1)
	;; [unrolled: 5-line block ×3, first 2 shown]
	v_dual_cndmask_b32 v2, 0, v2, s0 :: v_dual_bitop2_b32 v3, v82, v3 bitop3:0x54
	v_cmp_gt_i32_e64 s0, s31, v51
	v_cndmask_b32_e64 v41, 0, v41, s0
.LBB98_68:                              ;   in Loop: Header=BB98_45 Depth=1
	s_or_b32 exec_lo, exec_lo, s19
	v_dual_lshlrev_b32 v36, 16, v36 :: v_dual_lshlrev_b32 v39, 16, v39
	s_delay_alu instid0(VALU_DEP_2) | instskip(NEXT) | instid1(VALU_DEP_2)
	v_lshlrev_b32_e32 v41, 16, v41
	v_and_or_b32 v0, 0xffff, v0, v36
	s_delay_alu instid0(VALU_DEP_3) | instskip(NEXT) | instid1(VALU_DEP_3)
	v_and_or_b32 v1, 0xffff, v1, v39
	v_and_or_b32 v2, 0xffff, v2, v41
	;;#ASMSTART
	v_pk_mul_f16 v0, v59, v0;

	;;#ASMEND
	;;#ASMSTART
	v_pk_mul_f16 v1, v58, v1;

	;;#ASMEND
	;; [unrolled: 4-line block ×4, first 2 shown]
	;;#ASMSTART
	v_pk_add_f16 v0, v0, v1;

	;;#ASMEND
	;;#ASMSTART
	v_pk_add_f16 v0, v0, v2;

	;;#ASMEND
	;; [unrolled: 4-line block ×3, first 2 shown]
	v_and_b32_e32 v1, 0xffff, v0
	v_lshrrev_b32_e32 v0, 16, v0
	;;#ASMSTART
	v_cvt_f32_f16 v82, v1;
	;;#ASMEND
	;;#ASMSTART
	v_cvt_f32_f16 v83, v0;
	;;#ASMEND
	global_load_b128 v[0:3], v[44:45], off offset:5632
	s_wait_loadcnt 0x0
	v_dual_lshrrev_b32 v39, 16, v1 :: v_dual_lshrrev_b32 v36, 16, v0
	v_lshrrev_b32_e32 v41, 16, v2
	s_and_saveexec_b32 s19, vcc_lo
	s_cbranch_execz .LBB98_70
; %bb.69:                               ;   in Loop: Header=BB98_45 Depth=1
	v_cmp_gt_i32_e64 s0, s31, v50
	v_and_b32_e32 v84, 0xffff, v3
	v_and_b32_e32 v3, 0xffff0000, v3
	s_delay_alu instid0(VALU_DEP_3) | instskip(SKIP_1) | instid1(VALU_DEP_1)
	v_cndmask_b32_e64 v0, 0, v0, s0
	v_cmp_gt_i32_e64 s0, s31, v56
	v_cndmask_b32_e64 v1, 0, v1, s0
	v_cmp_gt_i32_e64 s0, s14, v57
	s_delay_alu instid0(VALU_DEP_1) | instskip(SKIP_1) | instid1(VALU_DEP_1)
	v_cndmask_b32_e64 v39, 0, v39, s0
	v_cmp_gt_i32_e64 s0, s31, v55
	v_cndmask_b32_e64 v36, 0, v36, s0
	v_cmp_gt_i32_e64 s0, s31, v54
	s_delay_alu instid0(VALU_DEP_1) | instskip(SKIP_1) | instid1(VALU_DEP_1)
	;; [unrolled: 5-line block ×3, first 2 shown]
	v_dual_cndmask_b32 v2, 0, v2, s0 :: v_dual_bitop2_b32 v3, v84, v3 bitop3:0x54
	v_cmp_gt_i32_e64 s0, s31, v51
	v_cndmask_b32_e64 v41, 0, v41, s0
.LBB98_70:                              ;   in Loop: Header=BB98_45 Depth=1
	s_or_b32 exec_lo, exec_lo, s19
	v_dual_lshlrev_b32 v36, 16, v36 :: v_dual_lshlrev_b32 v39, 16, v39
	s_delay_alu instid0(VALU_DEP_2) | instskip(NEXT) | instid1(VALU_DEP_2)
	v_lshlrev_b32_e32 v41, 16, v41
	v_and_or_b32 v0, 0xffff, v0, v36
	s_delay_alu instid0(VALU_DEP_3) | instskip(NEXT) | instid1(VALU_DEP_3)
	v_and_or_b32 v1, 0xffff, v1, v39
	v_and_or_b32 v2, 0xffff, v2, v41
	;;#ASMSTART
	v_pk_mul_f16 v0, v59, v0;

	;;#ASMEND
	;;#ASMSTART
	v_pk_mul_f16 v1, v58, v1;

	;;#ASMEND
	;; [unrolled: 4-line block ×4, first 2 shown]
	;;#ASMSTART
	v_pk_add_f16 v0, v0, v1;

	;;#ASMEND
	;;#ASMSTART
	v_pk_add_f16 v0, v0, v2;

	;;#ASMEND
	;; [unrolled: 4-line block ×3, first 2 shown]
	v_and_b32_e32 v1, 0xffff, v0
	v_lshrrev_b32_e32 v0, 16, v0
	;;#ASMSTART
	v_cvt_f32_f16 v84, v1;
	;;#ASMEND
	;;#ASMSTART
	v_cvt_f32_f16 v85, v0;
	;;#ASMEND
	global_load_b128 v[0:3], v[44:45], off offset:6144
	s_wait_loadcnt 0x0
	v_dual_lshrrev_b32 v39, 16, v1 :: v_dual_lshrrev_b32 v36, 16, v0
	v_lshrrev_b32_e32 v41, 16, v2
	s_and_saveexec_b32 s19, vcc_lo
	s_cbranch_execz .LBB98_72
; %bb.71:                               ;   in Loop: Header=BB98_45 Depth=1
	v_cmp_gt_i32_e64 s0, s31, v50
	v_and_b32_e32 v86, 0xffff, v3
	v_and_b32_e32 v3, 0xffff0000, v3
	s_delay_alu instid0(VALU_DEP_3) | instskip(SKIP_1) | instid1(VALU_DEP_1)
	v_cndmask_b32_e64 v0, 0, v0, s0
	v_cmp_gt_i32_e64 s0, s31, v56
	v_cndmask_b32_e64 v1, 0, v1, s0
	v_cmp_gt_i32_e64 s0, s14, v57
	s_delay_alu instid0(VALU_DEP_1) | instskip(SKIP_1) | instid1(VALU_DEP_1)
	v_cndmask_b32_e64 v39, 0, v39, s0
	v_cmp_gt_i32_e64 s0, s31, v55
	v_cndmask_b32_e64 v36, 0, v36, s0
	v_cmp_gt_i32_e64 s0, s31, v54
	s_delay_alu instid0(VALU_DEP_1) | instskip(SKIP_1) | instid1(VALU_DEP_1)
	;; [unrolled: 5-line block ×3, first 2 shown]
	v_dual_cndmask_b32 v2, 0, v2, s0 :: v_dual_bitop2_b32 v3, v86, v3 bitop3:0x54
	v_cmp_gt_i32_e64 s0, s31, v51
	v_cndmask_b32_e64 v41, 0, v41, s0
.LBB98_72:                              ;   in Loop: Header=BB98_45 Depth=1
	s_or_b32 exec_lo, exec_lo, s19
	v_dual_lshlrev_b32 v36, 16, v36 :: v_dual_lshlrev_b32 v39, 16, v39
	s_delay_alu instid0(VALU_DEP_2) | instskip(NEXT) | instid1(VALU_DEP_2)
	v_lshlrev_b32_e32 v41, 16, v41
	v_and_or_b32 v0, 0xffff, v0, v36
	s_delay_alu instid0(VALU_DEP_3) | instskip(NEXT) | instid1(VALU_DEP_3)
	v_and_or_b32 v1, 0xffff, v1, v39
	v_and_or_b32 v2, 0xffff, v2, v41
	;;#ASMSTART
	v_pk_mul_f16 v0, v59, v0;

	;;#ASMEND
	;;#ASMSTART
	v_pk_mul_f16 v1, v58, v1;

	;;#ASMEND
	;; [unrolled: 4-line block ×4, first 2 shown]
	;;#ASMSTART
	v_pk_add_f16 v0, v0, v1;

	;;#ASMEND
	;;#ASMSTART
	v_pk_add_f16 v0, v0, v2;

	;;#ASMEND
	;; [unrolled: 4-line block ×3, first 2 shown]
	v_and_b32_e32 v1, 0xffff, v0
	v_lshrrev_b32_e32 v0, 16, v0
	;;#ASMSTART
	v_cvt_f32_f16 v86, v1;
	;;#ASMEND
	;;#ASMSTART
	v_cvt_f32_f16 v87, v0;
	;;#ASMEND
	global_load_b128 v[0:3], v[44:45], off offset:6656
	s_wait_loadcnt 0x0
	v_dual_lshrrev_b32 v39, 16, v1 :: v_dual_lshrrev_b32 v36, 16, v0
	v_lshrrev_b32_e32 v41, 16, v2
	s_and_saveexec_b32 s19, vcc_lo
	s_cbranch_execz .LBB98_74
; %bb.73:                               ;   in Loop: Header=BB98_45 Depth=1
	v_cmp_gt_i32_e64 s0, s31, v50
	v_and_b32_e32 v88, 0xffff, v3
	v_and_b32_e32 v3, 0xffff0000, v3
	s_delay_alu instid0(VALU_DEP_3) | instskip(SKIP_1) | instid1(VALU_DEP_1)
	v_cndmask_b32_e64 v0, 0, v0, s0
	v_cmp_gt_i32_e64 s0, s31, v56
	v_cndmask_b32_e64 v1, 0, v1, s0
	v_cmp_gt_i32_e64 s0, s14, v57
	s_delay_alu instid0(VALU_DEP_1) | instskip(SKIP_1) | instid1(VALU_DEP_1)
	v_cndmask_b32_e64 v39, 0, v39, s0
	v_cmp_gt_i32_e64 s0, s31, v55
	v_cndmask_b32_e64 v36, 0, v36, s0
	v_cmp_gt_i32_e64 s0, s31, v54
	s_delay_alu instid0(VALU_DEP_1) | instskip(SKIP_1) | instid1(VALU_DEP_1)
	;; [unrolled: 5-line block ×3, first 2 shown]
	v_dual_cndmask_b32 v2, 0, v2, s0 :: v_dual_bitop2_b32 v3, v88, v3 bitop3:0x54
	v_cmp_gt_i32_e64 s0, s31, v51
	v_cndmask_b32_e64 v41, 0, v41, s0
.LBB98_74:                              ;   in Loop: Header=BB98_45 Depth=1
	s_or_b32 exec_lo, exec_lo, s19
	v_dual_lshlrev_b32 v36, 16, v36 :: v_dual_lshlrev_b32 v39, 16, v39
	s_delay_alu instid0(VALU_DEP_2) | instskip(NEXT) | instid1(VALU_DEP_2)
	v_lshlrev_b32_e32 v41, 16, v41
	v_and_or_b32 v0, 0xffff, v0, v36
	s_delay_alu instid0(VALU_DEP_3) | instskip(NEXT) | instid1(VALU_DEP_3)
	v_and_or_b32 v1, 0xffff, v1, v39
	v_and_or_b32 v2, 0xffff, v2, v41
	;;#ASMSTART
	v_pk_mul_f16 v0, v59, v0;

	;;#ASMEND
	;;#ASMSTART
	v_pk_mul_f16 v1, v58, v1;

	;;#ASMEND
	;;#ASMSTART
	v_pk_mul_f16 v2, v60, v2;

	;;#ASMEND
	;;#ASMSTART
	v_pk_mul_f16 v3, v61, v3;

	;;#ASMEND
	;;#ASMSTART
	v_pk_add_f16 v0, v0, v1;

	;;#ASMEND
	;;#ASMSTART
	v_pk_add_f16 v0, v0, v2;

	;;#ASMEND
	;; [unrolled: 4-line block ×3, first 2 shown]
	v_and_b32_e32 v1, 0xffff, v0
	v_lshrrev_b32_e32 v0, 16, v0
	;;#ASMSTART
	v_cvt_f32_f16 v88, v1;
	;;#ASMEND
	;;#ASMSTART
	v_cvt_f32_f16 v89, v0;
	;;#ASMEND
	global_load_b128 v[0:3], v[44:45], off offset:7168
	s_wait_loadcnt 0x0
	v_dual_lshrrev_b32 v39, 16, v1 :: v_dual_lshrrev_b32 v36, 16, v0
	v_lshrrev_b32_e32 v41, 16, v2
	s_and_saveexec_b32 s19, vcc_lo
	s_cbranch_execz .LBB98_76
; %bb.75:                               ;   in Loop: Header=BB98_45 Depth=1
	v_cmp_gt_i32_e64 s0, s31, v50
	v_and_b32_e32 v90, 0xffff, v3
	v_and_b32_e32 v3, 0xffff0000, v3
	s_delay_alu instid0(VALU_DEP_3) | instskip(SKIP_1) | instid1(VALU_DEP_1)
	v_cndmask_b32_e64 v0, 0, v0, s0
	v_cmp_gt_i32_e64 s0, s31, v56
	v_cndmask_b32_e64 v1, 0, v1, s0
	v_cmp_gt_i32_e64 s0, s14, v57
	s_delay_alu instid0(VALU_DEP_1) | instskip(SKIP_1) | instid1(VALU_DEP_1)
	v_cndmask_b32_e64 v39, 0, v39, s0
	v_cmp_gt_i32_e64 s0, s31, v55
	v_cndmask_b32_e64 v36, 0, v36, s0
	v_cmp_gt_i32_e64 s0, s31, v54
	s_delay_alu instid0(VALU_DEP_1) | instskip(SKIP_1) | instid1(VALU_DEP_1)
	;; [unrolled: 5-line block ×3, first 2 shown]
	v_dual_cndmask_b32 v2, 0, v2, s0 :: v_dual_bitop2_b32 v3, v90, v3 bitop3:0x54
	v_cmp_gt_i32_e64 s0, s31, v51
	v_cndmask_b32_e64 v41, 0, v41, s0
.LBB98_76:                              ;   in Loop: Header=BB98_45 Depth=1
	s_or_b32 exec_lo, exec_lo, s19
	v_dual_lshlrev_b32 v36, 16, v36 :: v_dual_lshlrev_b32 v39, 16, v39
	s_delay_alu instid0(VALU_DEP_2) | instskip(NEXT) | instid1(VALU_DEP_2)
	v_lshlrev_b32_e32 v41, 16, v41
	v_and_or_b32 v0, 0xffff, v0, v36
	s_delay_alu instid0(VALU_DEP_3) | instskip(NEXT) | instid1(VALU_DEP_3)
	v_and_or_b32 v1, 0xffff, v1, v39
	v_and_or_b32 v2, 0xffff, v2, v41
	;;#ASMSTART
	v_pk_mul_f16 v0, v59, v0;

	;;#ASMEND
	;;#ASMSTART
	v_pk_mul_f16 v1, v58, v1;

	;;#ASMEND
	;; [unrolled: 4-line block ×4, first 2 shown]
	;;#ASMSTART
	v_pk_add_f16 v0, v0, v1;

	;;#ASMEND
	;;#ASMSTART
	v_pk_add_f16 v0, v0, v2;

	;;#ASMEND
	;; [unrolled: 4-line block ×3, first 2 shown]
	v_and_b32_e32 v1, 0xffff, v0
	v_lshrrev_b32_e32 v0, 16, v0
	;;#ASMSTART
	v_cvt_f32_f16 v90, v1;
	;;#ASMEND
	;;#ASMSTART
	v_cvt_f32_f16 v91, v0;
	;;#ASMEND
	global_load_b128 v[0:3], v[44:45], off offset:7680
	s_wait_loadcnt 0x0
	v_dual_lshrrev_b32 v39, 16, v1 :: v_dual_lshrrev_b32 v36, 16, v0
	v_lshrrev_b32_e32 v41, 16, v2
	s_and_saveexec_b32 s19, vcc_lo
	s_cbranch_execz .LBB98_78
; %bb.77:                               ;   in Loop: Header=BB98_45 Depth=1
	v_cmp_gt_i32_e64 s0, s31, v50
	v_and_b32_e32 v92, 0xffff, v3
	v_and_b32_e32 v3, 0xffff0000, v3
	s_delay_alu instid0(VALU_DEP_3) | instskip(SKIP_1) | instid1(VALU_DEP_1)
	v_cndmask_b32_e64 v0, 0, v0, s0
	v_cmp_gt_i32_e64 s0, s31, v56
	v_cndmask_b32_e64 v1, 0, v1, s0
	v_cmp_gt_i32_e64 s0, s14, v57
	s_delay_alu instid0(VALU_DEP_1) | instskip(SKIP_1) | instid1(VALU_DEP_1)
	v_cndmask_b32_e64 v39, 0, v39, s0
	v_cmp_gt_i32_e64 s0, s31, v55
	v_cndmask_b32_e64 v36, 0, v36, s0
	v_cmp_gt_i32_e64 s0, s31, v54
	s_delay_alu instid0(VALU_DEP_1) | instskip(SKIP_1) | instid1(VALU_DEP_1)
	;; [unrolled: 5-line block ×3, first 2 shown]
	v_dual_cndmask_b32 v2, 0, v2, s0 :: v_dual_bitop2_b32 v3, v92, v3 bitop3:0x54
	v_cmp_gt_i32_e64 s0, s31, v51
	v_cndmask_b32_e64 v41, 0, v41, s0
.LBB98_78:                              ;   in Loop: Header=BB98_45 Depth=1
	s_or_b32 exec_lo, exec_lo, s19
	v_dual_lshlrev_b32 v36, 16, v36 :: v_dual_lshlrev_b32 v39, 16, v39
	s_delay_alu instid0(VALU_DEP_2) | instskip(NEXT) | instid1(VALU_DEP_2)
	v_lshlrev_b32_e32 v41, 16, v41
	v_and_or_b32 v0, 0xffff, v0, v36
	s_delay_alu instid0(VALU_DEP_3) | instskip(NEXT) | instid1(VALU_DEP_3)
	v_and_or_b32 v1, 0xffff, v1, v39
	v_and_or_b32 v2, 0xffff, v2, v41
	;;#ASMSTART
	v_pk_mul_f16 v0, v59, v0;

	;;#ASMEND
	;;#ASMSTART
	v_pk_mul_f16 v1, v58, v1;

	;;#ASMEND
	;; [unrolled: 4-line block ×4, first 2 shown]
	;;#ASMSTART
	v_pk_add_f16 v0, v0, v1;

	;;#ASMEND
	;;#ASMSTART
	v_pk_add_f16 v0, v0, v2;

	;;#ASMEND
	;; [unrolled: 4-line block ×3, first 2 shown]
	v_and_b32_e32 v1, 0xffff, v0
	v_lshrrev_b32_e32 v0, 16, v0
	;;#ASMSTART
	v_cvt_f32_f16 v92, v1;
	;;#ASMEND
	;;#ASMSTART
	v_cvt_f32_f16 v93, v0;
	;;#ASMEND
	global_load_b128 v[0:3], v[44:45], off offset:8192
	s_wait_loadcnt 0x0
	v_dual_lshrrev_b32 v39, 16, v1 :: v_dual_lshrrev_b32 v36, 16, v0
	v_lshrrev_b32_e32 v41, 16, v2
	s_and_saveexec_b32 s19, vcc_lo
	s_cbranch_execz .LBB98_80
; %bb.79:                               ;   in Loop: Header=BB98_45 Depth=1
	v_cmp_gt_i32_e64 s0, s31, v50
	v_and_b32_e32 v94, 0xffff, v3
	v_and_b32_e32 v3, 0xffff0000, v3
	s_delay_alu instid0(VALU_DEP_3) | instskip(SKIP_1) | instid1(VALU_DEP_1)
	v_cndmask_b32_e64 v0, 0, v0, s0
	v_cmp_gt_i32_e64 s0, s31, v56
	v_cndmask_b32_e64 v1, 0, v1, s0
	v_cmp_gt_i32_e64 s0, s14, v57
	s_delay_alu instid0(VALU_DEP_1) | instskip(SKIP_1) | instid1(VALU_DEP_1)
	v_cndmask_b32_e64 v39, 0, v39, s0
	v_cmp_gt_i32_e64 s0, s31, v55
	v_cndmask_b32_e64 v36, 0, v36, s0
	v_cmp_gt_i32_e64 s0, s31, v54
	s_delay_alu instid0(VALU_DEP_1) | instskip(SKIP_1) | instid1(VALU_DEP_1)
	;; [unrolled: 5-line block ×3, first 2 shown]
	v_dual_cndmask_b32 v2, 0, v2, s0 :: v_dual_bitop2_b32 v3, v94, v3 bitop3:0x54
	v_cmp_gt_i32_e64 s0, s31, v51
	v_cndmask_b32_e64 v41, 0, v41, s0
.LBB98_80:                              ;   in Loop: Header=BB98_45 Depth=1
	s_or_b32 exec_lo, exec_lo, s19
	v_dual_lshlrev_b32 v36, 16, v36 :: v_dual_lshlrev_b32 v39, 16, v39
	s_delay_alu instid0(VALU_DEP_2) | instskip(NEXT) | instid1(VALU_DEP_2)
	v_lshlrev_b32_e32 v41, 16, v41
	v_and_or_b32 v0, 0xffff, v0, v36
	s_delay_alu instid0(VALU_DEP_3) | instskip(NEXT) | instid1(VALU_DEP_3)
	v_and_or_b32 v1, 0xffff, v1, v39
	v_and_or_b32 v2, 0xffff, v2, v41
	;;#ASMSTART
	v_pk_mul_f16 v0, v59, v0;

	;;#ASMEND
	;;#ASMSTART
	v_pk_mul_f16 v1, v58, v1;

	;;#ASMEND
	;; [unrolled: 4-line block ×4, first 2 shown]
	;;#ASMSTART
	v_pk_add_f16 v0, v0, v1;

	;;#ASMEND
	;;#ASMSTART
	v_pk_add_f16 v0, v0, v2;

	;;#ASMEND
	;; [unrolled: 4-line block ×3, first 2 shown]
	v_and_b32_e32 v1, 0xffff, v0
	v_lshrrev_b32_e32 v0, 16, v0
	;;#ASMSTART
	v_cvt_f32_f16 v94, v1;
	;;#ASMEND
	;;#ASMSTART
	v_cvt_f32_f16 v95, v0;
	;;#ASMEND
	global_load_b128 v[0:3], v[44:45], off offset:8704
	s_wait_loadcnt 0x0
	v_dual_lshrrev_b32 v39, 16, v1 :: v_dual_lshrrev_b32 v36, 16, v0
	v_lshrrev_b32_e32 v41, 16, v2
	s_and_saveexec_b32 s19, vcc_lo
	s_cbranch_execz .LBB98_82
; %bb.81:                               ;   in Loop: Header=BB98_45 Depth=1
	v_cmp_gt_i32_e64 s0, s31, v50
	v_and_b32_e32 v96, 0xffff, v3
	v_and_b32_e32 v3, 0xffff0000, v3
	s_delay_alu instid0(VALU_DEP_3) | instskip(SKIP_1) | instid1(VALU_DEP_1)
	v_cndmask_b32_e64 v0, 0, v0, s0
	v_cmp_gt_i32_e64 s0, s31, v56
	v_cndmask_b32_e64 v1, 0, v1, s0
	v_cmp_gt_i32_e64 s0, s14, v57
	s_delay_alu instid0(VALU_DEP_1) | instskip(SKIP_1) | instid1(VALU_DEP_1)
	v_cndmask_b32_e64 v39, 0, v39, s0
	v_cmp_gt_i32_e64 s0, s31, v55
	v_cndmask_b32_e64 v36, 0, v36, s0
	v_cmp_gt_i32_e64 s0, s31, v54
	s_delay_alu instid0(VALU_DEP_1) | instskip(SKIP_1) | instid1(VALU_DEP_1)
	;; [unrolled: 5-line block ×3, first 2 shown]
	v_dual_cndmask_b32 v2, 0, v2, s0 :: v_dual_bitop2_b32 v3, v96, v3 bitop3:0x54
	v_cmp_gt_i32_e64 s0, s31, v51
	v_cndmask_b32_e64 v41, 0, v41, s0
.LBB98_82:                              ;   in Loop: Header=BB98_45 Depth=1
	s_or_b32 exec_lo, exec_lo, s19
	v_dual_lshlrev_b32 v36, 16, v36 :: v_dual_lshlrev_b32 v39, 16, v39
	s_delay_alu instid0(VALU_DEP_2) | instskip(NEXT) | instid1(VALU_DEP_2)
	v_lshlrev_b32_e32 v41, 16, v41
	v_and_or_b32 v0, 0xffff, v0, v36
	s_delay_alu instid0(VALU_DEP_3) | instskip(NEXT) | instid1(VALU_DEP_3)
	v_and_or_b32 v1, 0xffff, v1, v39
	v_and_or_b32 v2, 0xffff, v2, v41
	;;#ASMSTART
	v_pk_mul_f16 v0, v59, v0;

	;;#ASMEND
	;;#ASMSTART
	v_pk_mul_f16 v1, v58, v1;

	;;#ASMEND
	;; [unrolled: 4-line block ×4, first 2 shown]
	;;#ASMSTART
	v_pk_add_f16 v0, v0, v1;

	;;#ASMEND
	;;#ASMSTART
	v_pk_add_f16 v0, v0, v2;

	;;#ASMEND
	;; [unrolled: 4-line block ×3, first 2 shown]
	v_and_b32_e32 v1, 0xffff, v0
	v_lshrrev_b32_e32 v0, 16, v0
	;;#ASMSTART
	v_cvt_f32_f16 v96, v1;
	;;#ASMEND
	;;#ASMSTART
	v_cvt_f32_f16 v97, v0;
	;;#ASMEND
	global_load_b128 v[0:3], v[44:45], off offset:9216
	s_wait_loadcnt 0x0
	v_dual_lshrrev_b32 v39, 16, v1 :: v_dual_lshrrev_b32 v36, 16, v0
	v_lshrrev_b32_e32 v41, 16, v2
	s_and_saveexec_b32 s19, vcc_lo
	s_cbranch_execz .LBB98_84
; %bb.83:                               ;   in Loop: Header=BB98_45 Depth=1
	v_cmp_gt_i32_e64 s0, s31, v50
	v_and_b32_e32 v98, 0xffff, v3
	v_and_b32_e32 v3, 0xffff0000, v3
	s_delay_alu instid0(VALU_DEP_3) | instskip(SKIP_1) | instid1(VALU_DEP_1)
	v_cndmask_b32_e64 v0, 0, v0, s0
	v_cmp_gt_i32_e64 s0, s31, v56
	v_cndmask_b32_e64 v1, 0, v1, s0
	v_cmp_gt_i32_e64 s0, s14, v57
	s_delay_alu instid0(VALU_DEP_1) | instskip(SKIP_1) | instid1(VALU_DEP_1)
	v_cndmask_b32_e64 v39, 0, v39, s0
	v_cmp_gt_i32_e64 s0, s31, v55
	v_cndmask_b32_e64 v36, 0, v36, s0
	v_cmp_gt_i32_e64 s0, s31, v54
	s_delay_alu instid0(VALU_DEP_1) | instskip(SKIP_1) | instid1(VALU_DEP_1)
	v_cndmask_b32_e64 v98, 0, v98, s0
	v_cmp_gt_i32_e64 s0, s31, v53
	v_cndmask_b32_e64 v3, 0, v3, s0
	v_cmp_gt_i32_e64 s0, s31, v52
	s_delay_alu instid0(VALU_DEP_1) | instskip(SKIP_1) | instid1(VALU_DEP_1)
	v_dual_cndmask_b32 v2, 0, v2, s0 :: v_dual_bitop2_b32 v3, v98, v3 bitop3:0x54
	v_cmp_gt_i32_e64 s0, s31, v51
	v_cndmask_b32_e64 v41, 0, v41, s0
.LBB98_84:                              ;   in Loop: Header=BB98_45 Depth=1
	s_or_b32 exec_lo, exec_lo, s19
	v_dual_lshlrev_b32 v36, 16, v36 :: v_dual_lshlrev_b32 v39, 16, v39
	s_delay_alu instid0(VALU_DEP_2) | instskip(NEXT) | instid1(VALU_DEP_2)
	v_lshlrev_b32_e32 v41, 16, v41
	v_and_or_b32 v0, 0xffff, v0, v36
	s_delay_alu instid0(VALU_DEP_3) | instskip(NEXT) | instid1(VALU_DEP_3)
	v_and_or_b32 v1, 0xffff, v1, v39
	v_and_or_b32 v2, 0xffff, v2, v41
	;;#ASMSTART
	v_pk_mul_f16 v0, v59, v0;

	;;#ASMEND
	;;#ASMSTART
	v_pk_mul_f16 v1, v58, v1;

	;;#ASMEND
	;; [unrolled: 4-line block ×4, first 2 shown]
	;;#ASMSTART
	v_pk_add_f16 v0, v0, v1;

	;;#ASMEND
	;;#ASMSTART
	v_pk_add_f16 v0, v0, v2;

	;;#ASMEND
	;; [unrolled: 4-line block ×3, first 2 shown]
	v_and_b32_e32 v1, 0xffff, v0
	v_lshrrev_b32_e32 v0, 16, v0
	;;#ASMSTART
	v_cvt_f32_f16 v98, v1;
	;;#ASMEND
	;;#ASMSTART
	v_cvt_f32_f16 v99, v0;
	;;#ASMEND
	global_load_b128 v[0:3], v[44:45], off offset:9728
	s_wait_loadcnt 0x0
	v_dual_lshrrev_b32 v39, 16, v1 :: v_dual_lshrrev_b32 v36, 16, v0
	v_lshrrev_b32_e32 v41, 16, v2
	s_and_saveexec_b32 s19, vcc_lo
	s_cbranch_execz .LBB98_86
; %bb.85:                               ;   in Loop: Header=BB98_45 Depth=1
	v_cmp_gt_i32_e64 s0, s31, v50
	v_and_b32_e32 v100, 0xffff, v3
	v_and_b32_e32 v3, 0xffff0000, v3
	s_delay_alu instid0(VALU_DEP_3) | instskip(SKIP_1) | instid1(VALU_DEP_1)
	v_cndmask_b32_e64 v0, 0, v0, s0
	v_cmp_gt_i32_e64 s0, s31, v56
	v_cndmask_b32_e64 v1, 0, v1, s0
	v_cmp_gt_i32_e64 s0, s14, v57
	s_delay_alu instid0(VALU_DEP_1) | instskip(SKIP_1) | instid1(VALU_DEP_1)
	v_cndmask_b32_e64 v39, 0, v39, s0
	v_cmp_gt_i32_e64 s0, s31, v55
	v_cndmask_b32_e64 v36, 0, v36, s0
	v_cmp_gt_i32_e64 s0, s31, v54
	s_delay_alu instid0(VALU_DEP_1) | instskip(SKIP_1) | instid1(VALU_DEP_1)
	;; [unrolled: 5-line block ×3, first 2 shown]
	v_dual_cndmask_b32 v2, 0, v2, s0 :: v_dual_bitop2_b32 v3, v100, v3 bitop3:0x54
	v_cmp_gt_i32_e64 s0, s31, v51
	v_cndmask_b32_e64 v41, 0, v41, s0
.LBB98_86:                              ;   in Loop: Header=BB98_45 Depth=1
	s_or_b32 exec_lo, exec_lo, s19
	v_dual_lshlrev_b32 v36, 16, v36 :: v_dual_lshlrev_b32 v39, 16, v39
	s_delay_alu instid0(VALU_DEP_2) | instskip(NEXT) | instid1(VALU_DEP_2)
	v_lshlrev_b32_e32 v41, 16, v41
	v_and_or_b32 v0, 0xffff, v0, v36
	s_delay_alu instid0(VALU_DEP_3) | instskip(NEXT) | instid1(VALU_DEP_3)
	v_and_or_b32 v1, 0xffff, v1, v39
	v_and_or_b32 v2, 0xffff, v2, v41
	;;#ASMSTART
	v_pk_mul_f16 v0, v59, v0;

	;;#ASMEND
	;;#ASMSTART
	v_pk_mul_f16 v1, v58, v1;

	;;#ASMEND
	;; [unrolled: 4-line block ×4, first 2 shown]
	;;#ASMSTART
	v_pk_add_f16 v0, v0, v1;

	;;#ASMEND
	;;#ASMSTART
	v_pk_add_f16 v0, v0, v2;

	;;#ASMEND
	;; [unrolled: 4-line block ×3, first 2 shown]
	v_and_b32_e32 v1, 0xffff, v0
	v_lshrrev_b32_e32 v0, 16, v0
	;;#ASMSTART
	v_cvt_f32_f16 v100, v1;
	;;#ASMEND
	;;#ASMSTART
	v_cvt_f32_f16 v101, v0;
	;;#ASMEND
	global_load_b128 v[0:3], v[44:45], off offset:10240
	s_wait_loadcnt 0x0
	v_dual_lshrrev_b32 v39, 16, v1 :: v_dual_lshrrev_b32 v36, 16, v0
	v_lshrrev_b32_e32 v41, 16, v2
	s_and_saveexec_b32 s19, vcc_lo
	s_cbranch_execz .LBB98_88
; %bb.87:                               ;   in Loop: Header=BB98_45 Depth=1
	v_cmp_gt_i32_e64 s0, s31, v50
	v_and_b32_e32 v102, 0xffff, v3
	v_and_b32_e32 v3, 0xffff0000, v3
	s_delay_alu instid0(VALU_DEP_3) | instskip(SKIP_1) | instid1(VALU_DEP_1)
	v_cndmask_b32_e64 v0, 0, v0, s0
	v_cmp_gt_i32_e64 s0, s31, v56
	v_cndmask_b32_e64 v1, 0, v1, s0
	v_cmp_gt_i32_e64 s0, s14, v57
	s_delay_alu instid0(VALU_DEP_1) | instskip(SKIP_1) | instid1(VALU_DEP_1)
	v_cndmask_b32_e64 v39, 0, v39, s0
	v_cmp_gt_i32_e64 s0, s31, v55
	v_cndmask_b32_e64 v36, 0, v36, s0
	v_cmp_gt_i32_e64 s0, s31, v54
	s_delay_alu instid0(VALU_DEP_1) | instskip(SKIP_1) | instid1(VALU_DEP_1)
	;; [unrolled: 5-line block ×3, first 2 shown]
	v_dual_cndmask_b32 v2, 0, v2, s0 :: v_dual_bitop2_b32 v3, v102, v3 bitop3:0x54
	v_cmp_gt_i32_e64 s0, s31, v51
	v_cndmask_b32_e64 v41, 0, v41, s0
.LBB98_88:                              ;   in Loop: Header=BB98_45 Depth=1
	s_or_b32 exec_lo, exec_lo, s19
	v_dual_lshlrev_b32 v36, 16, v36 :: v_dual_lshlrev_b32 v39, 16, v39
	s_delay_alu instid0(VALU_DEP_2) | instskip(NEXT) | instid1(VALU_DEP_2)
	v_lshlrev_b32_e32 v41, 16, v41
	v_and_or_b32 v0, 0xffff, v0, v36
	s_delay_alu instid0(VALU_DEP_3) | instskip(NEXT) | instid1(VALU_DEP_3)
	v_and_or_b32 v1, 0xffff, v1, v39
	v_and_or_b32 v2, 0xffff, v2, v41
	;;#ASMSTART
	v_pk_mul_f16 v0, v59, v0;

	;;#ASMEND
	;;#ASMSTART
	v_pk_mul_f16 v1, v58, v1;

	;;#ASMEND
	;; [unrolled: 4-line block ×4, first 2 shown]
	;;#ASMSTART
	v_pk_add_f16 v0, v0, v1;

	;;#ASMEND
	;;#ASMSTART
	v_pk_add_f16 v0, v0, v2;

	;;#ASMEND
	;; [unrolled: 4-line block ×3, first 2 shown]
	v_and_b32_e32 v1, 0xffff, v0
	v_lshrrev_b32_e32 v0, 16, v0
	;;#ASMSTART
	v_cvt_f32_f16 v102, v1;
	;;#ASMEND
	;;#ASMSTART
	v_cvt_f32_f16 v103, v0;
	;;#ASMEND
	global_load_b128 v[0:3], v[44:45], off offset:10752
	s_wait_loadcnt 0x0
	v_dual_lshrrev_b32 v39, 16, v1 :: v_dual_lshrrev_b32 v36, 16, v0
	v_lshrrev_b32_e32 v41, 16, v2
	s_and_saveexec_b32 s19, vcc_lo
	s_cbranch_execz .LBB98_90
; %bb.89:                               ;   in Loop: Header=BB98_45 Depth=1
	v_cmp_gt_i32_e64 s0, s31, v50
	v_and_b32_e32 v104, 0xffff, v3
	v_and_b32_e32 v3, 0xffff0000, v3
	s_delay_alu instid0(VALU_DEP_3) | instskip(SKIP_1) | instid1(VALU_DEP_1)
	v_cndmask_b32_e64 v0, 0, v0, s0
	v_cmp_gt_i32_e64 s0, s31, v56
	v_cndmask_b32_e64 v1, 0, v1, s0
	v_cmp_gt_i32_e64 s0, s14, v57
	s_delay_alu instid0(VALU_DEP_1) | instskip(SKIP_1) | instid1(VALU_DEP_1)
	v_cndmask_b32_e64 v39, 0, v39, s0
	v_cmp_gt_i32_e64 s0, s31, v55
	v_cndmask_b32_e64 v36, 0, v36, s0
	v_cmp_gt_i32_e64 s0, s31, v54
	s_delay_alu instid0(VALU_DEP_1) | instskip(SKIP_1) | instid1(VALU_DEP_1)
	v_cndmask_b32_e64 v104, 0, v104, s0
	v_cmp_gt_i32_e64 s0, s31, v53
	v_cndmask_b32_e64 v3, 0, v3, s0
	v_cmp_gt_i32_e64 s0, s31, v52
	s_delay_alu instid0(VALU_DEP_1) | instskip(SKIP_1) | instid1(VALU_DEP_1)
	v_dual_cndmask_b32 v2, 0, v2, s0 :: v_dual_bitop2_b32 v3, v104, v3 bitop3:0x54
	v_cmp_gt_i32_e64 s0, s31, v51
	v_cndmask_b32_e64 v41, 0, v41, s0
.LBB98_90:                              ;   in Loop: Header=BB98_45 Depth=1
	s_or_b32 exec_lo, exec_lo, s19
	v_dual_lshlrev_b32 v36, 16, v36 :: v_dual_lshlrev_b32 v39, 16, v39
	s_delay_alu instid0(VALU_DEP_2) | instskip(NEXT) | instid1(VALU_DEP_2)
	v_lshlrev_b32_e32 v41, 16, v41
	v_and_or_b32 v0, 0xffff, v0, v36
	s_delay_alu instid0(VALU_DEP_3) | instskip(NEXT) | instid1(VALU_DEP_3)
	v_and_or_b32 v1, 0xffff, v1, v39
	v_and_or_b32 v2, 0xffff, v2, v41
	;;#ASMSTART
	v_pk_mul_f16 v0, v59, v0;

	;;#ASMEND
	;;#ASMSTART
	v_pk_mul_f16 v1, v58, v1;

	;;#ASMEND
	;; [unrolled: 4-line block ×4, first 2 shown]
	;;#ASMSTART
	v_pk_add_f16 v0, v0, v1;

	;;#ASMEND
	;;#ASMSTART
	v_pk_add_f16 v0, v0, v2;

	;;#ASMEND
	;; [unrolled: 4-line block ×3, first 2 shown]
	v_and_b32_e32 v1, 0xffff, v0
	v_lshrrev_b32_e32 v0, 16, v0
	;;#ASMSTART
	v_cvt_f32_f16 v104, v1;
	;;#ASMEND
	;;#ASMSTART
	v_cvt_f32_f16 v105, v0;
	;;#ASMEND
	global_load_b128 v[0:3], v[44:45], off offset:11264
	s_wait_loadcnt 0x0
	v_dual_lshrrev_b32 v39, 16, v1 :: v_dual_lshrrev_b32 v36, 16, v0
	v_lshrrev_b32_e32 v41, 16, v2
	s_and_saveexec_b32 s19, vcc_lo
	s_cbranch_execz .LBB98_92
; %bb.91:                               ;   in Loop: Header=BB98_45 Depth=1
	v_cmp_gt_i32_e64 s0, s31, v50
	v_and_b32_e32 v106, 0xffff, v3
	v_and_b32_e32 v3, 0xffff0000, v3
	s_delay_alu instid0(VALU_DEP_3) | instskip(SKIP_1) | instid1(VALU_DEP_1)
	v_cndmask_b32_e64 v0, 0, v0, s0
	v_cmp_gt_i32_e64 s0, s31, v56
	v_cndmask_b32_e64 v1, 0, v1, s0
	v_cmp_gt_i32_e64 s0, s14, v57
	s_delay_alu instid0(VALU_DEP_1) | instskip(SKIP_1) | instid1(VALU_DEP_1)
	v_cndmask_b32_e64 v39, 0, v39, s0
	v_cmp_gt_i32_e64 s0, s31, v55
	v_cndmask_b32_e64 v36, 0, v36, s0
	v_cmp_gt_i32_e64 s0, s31, v54
	s_delay_alu instid0(VALU_DEP_1) | instskip(SKIP_1) | instid1(VALU_DEP_1)
	v_cndmask_b32_e64 v106, 0, v106, s0
	v_cmp_gt_i32_e64 s0, s31, v53
	v_cndmask_b32_e64 v3, 0, v3, s0
	v_cmp_gt_i32_e64 s0, s31, v52
	s_delay_alu instid0(VALU_DEP_1) | instskip(SKIP_1) | instid1(VALU_DEP_1)
	v_dual_cndmask_b32 v2, 0, v2, s0 :: v_dual_bitop2_b32 v3, v106, v3 bitop3:0x54
	v_cmp_gt_i32_e64 s0, s31, v51
	v_cndmask_b32_e64 v41, 0, v41, s0
.LBB98_92:                              ;   in Loop: Header=BB98_45 Depth=1
	s_or_b32 exec_lo, exec_lo, s19
	v_dual_lshlrev_b32 v36, 16, v36 :: v_dual_lshlrev_b32 v39, 16, v39
	s_delay_alu instid0(VALU_DEP_2) | instskip(NEXT) | instid1(VALU_DEP_2)
	v_lshlrev_b32_e32 v41, 16, v41
	v_and_or_b32 v0, 0xffff, v0, v36
	s_delay_alu instid0(VALU_DEP_3) | instskip(NEXT) | instid1(VALU_DEP_3)
	v_and_or_b32 v1, 0xffff, v1, v39
	v_and_or_b32 v2, 0xffff, v2, v41
	;;#ASMSTART
	v_pk_mul_f16 v0, v59, v0;

	;;#ASMEND
	;;#ASMSTART
	v_pk_mul_f16 v1, v58, v1;

	;;#ASMEND
	;; [unrolled: 4-line block ×4, first 2 shown]
	;;#ASMSTART
	v_pk_add_f16 v0, v0, v1;

	;;#ASMEND
	;;#ASMSTART
	v_pk_add_f16 v0, v0, v2;

	;;#ASMEND
	;; [unrolled: 4-line block ×3, first 2 shown]
	v_and_b32_e32 v1, 0xffff, v0
	v_lshrrev_b32_e32 v0, 16, v0
	;;#ASMSTART
	v_cvt_f32_f16 v106, v1;
	;;#ASMEND
	;;#ASMSTART
	v_cvt_f32_f16 v107, v0;
	;;#ASMEND
	global_load_b128 v[0:3], v[44:45], off offset:11776
	s_wait_loadcnt 0x0
	v_dual_lshrrev_b32 v39, 16, v1 :: v_dual_lshrrev_b32 v36, 16, v0
	v_lshrrev_b32_e32 v41, 16, v2
	s_and_saveexec_b32 s19, vcc_lo
	s_cbranch_execz .LBB98_94
; %bb.93:                               ;   in Loop: Header=BB98_45 Depth=1
	v_cmp_gt_i32_e64 s0, s31, v50
	v_and_b32_e32 v108, 0xffff, v3
	v_and_b32_e32 v3, 0xffff0000, v3
	s_delay_alu instid0(VALU_DEP_3) | instskip(SKIP_1) | instid1(VALU_DEP_1)
	v_cndmask_b32_e64 v0, 0, v0, s0
	v_cmp_gt_i32_e64 s0, s31, v56
	v_cndmask_b32_e64 v1, 0, v1, s0
	v_cmp_gt_i32_e64 s0, s14, v57
	s_delay_alu instid0(VALU_DEP_1) | instskip(SKIP_1) | instid1(VALU_DEP_1)
	v_cndmask_b32_e64 v39, 0, v39, s0
	v_cmp_gt_i32_e64 s0, s31, v55
	v_cndmask_b32_e64 v36, 0, v36, s0
	v_cmp_gt_i32_e64 s0, s31, v54
	s_delay_alu instid0(VALU_DEP_1) | instskip(SKIP_1) | instid1(VALU_DEP_1)
	;; [unrolled: 5-line block ×3, first 2 shown]
	v_dual_cndmask_b32 v2, 0, v2, s0 :: v_dual_bitop2_b32 v3, v108, v3 bitop3:0x54
	v_cmp_gt_i32_e64 s0, s31, v51
	v_cndmask_b32_e64 v41, 0, v41, s0
.LBB98_94:                              ;   in Loop: Header=BB98_45 Depth=1
	s_or_b32 exec_lo, exec_lo, s19
	v_dual_lshlrev_b32 v36, 16, v36 :: v_dual_lshlrev_b32 v39, 16, v39
	s_delay_alu instid0(VALU_DEP_2) | instskip(NEXT) | instid1(VALU_DEP_2)
	v_lshlrev_b32_e32 v41, 16, v41
	v_and_or_b32 v0, 0xffff, v0, v36
	s_delay_alu instid0(VALU_DEP_3) | instskip(NEXT) | instid1(VALU_DEP_3)
	v_and_or_b32 v1, 0xffff, v1, v39
	v_and_or_b32 v2, 0xffff, v2, v41
	;;#ASMSTART
	v_pk_mul_f16 v0, v59, v0;

	;;#ASMEND
	;;#ASMSTART
	v_pk_mul_f16 v1, v58, v1;

	;;#ASMEND
	;; [unrolled: 4-line block ×4, first 2 shown]
	;;#ASMSTART
	v_pk_add_f16 v0, v0, v1;

	;;#ASMEND
	;;#ASMSTART
	v_pk_add_f16 v0, v0, v2;

	;;#ASMEND
	;; [unrolled: 4-line block ×3, first 2 shown]
	v_and_b32_e32 v1, 0xffff, v0
	v_lshrrev_b32_e32 v0, 16, v0
	;;#ASMSTART
	v_cvt_f32_f16 v108, v1;
	;;#ASMEND
	;;#ASMSTART
	v_cvt_f32_f16 v109, v0;
	;;#ASMEND
	global_load_b128 v[0:3], v[44:45], off offset:12288
	s_wait_loadcnt 0x0
	v_dual_lshrrev_b32 v39, 16, v1 :: v_dual_lshrrev_b32 v36, 16, v0
	v_lshrrev_b32_e32 v41, 16, v2
	s_and_saveexec_b32 s19, vcc_lo
	s_cbranch_execz .LBB98_96
; %bb.95:                               ;   in Loop: Header=BB98_45 Depth=1
	v_cmp_gt_i32_e64 s0, s31, v50
	v_and_b32_e32 v110, 0xffff, v3
	v_and_b32_e32 v3, 0xffff0000, v3
	s_delay_alu instid0(VALU_DEP_3) | instskip(SKIP_1) | instid1(VALU_DEP_1)
	v_cndmask_b32_e64 v0, 0, v0, s0
	v_cmp_gt_i32_e64 s0, s31, v56
	v_cndmask_b32_e64 v1, 0, v1, s0
	v_cmp_gt_i32_e64 s0, s14, v57
	s_delay_alu instid0(VALU_DEP_1) | instskip(SKIP_1) | instid1(VALU_DEP_1)
	v_cndmask_b32_e64 v39, 0, v39, s0
	v_cmp_gt_i32_e64 s0, s31, v55
	v_cndmask_b32_e64 v36, 0, v36, s0
	v_cmp_gt_i32_e64 s0, s31, v54
	s_delay_alu instid0(VALU_DEP_1) | instskip(SKIP_1) | instid1(VALU_DEP_1)
	;; [unrolled: 5-line block ×3, first 2 shown]
	v_dual_cndmask_b32 v2, 0, v2, s0 :: v_dual_bitop2_b32 v3, v110, v3 bitop3:0x54
	v_cmp_gt_i32_e64 s0, s31, v51
	v_cndmask_b32_e64 v41, 0, v41, s0
.LBB98_96:                              ;   in Loop: Header=BB98_45 Depth=1
	s_or_b32 exec_lo, exec_lo, s19
	v_dual_lshlrev_b32 v36, 16, v36 :: v_dual_lshlrev_b32 v39, 16, v39
	s_delay_alu instid0(VALU_DEP_2) | instskip(NEXT) | instid1(VALU_DEP_2)
	v_lshlrev_b32_e32 v41, 16, v41
	v_and_or_b32 v0, 0xffff, v0, v36
	s_delay_alu instid0(VALU_DEP_3) | instskip(NEXT) | instid1(VALU_DEP_3)
	v_and_or_b32 v1, 0xffff, v1, v39
	v_and_or_b32 v2, 0xffff, v2, v41
	;;#ASMSTART
	v_pk_mul_f16 v0, v59, v0;

	;;#ASMEND
	;;#ASMSTART
	v_pk_mul_f16 v1, v58, v1;

	;;#ASMEND
	;; [unrolled: 4-line block ×4, first 2 shown]
	;;#ASMSTART
	v_pk_add_f16 v0, v0, v1;

	;;#ASMEND
	;;#ASMSTART
	v_pk_add_f16 v0, v0, v2;

	;;#ASMEND
	;; [unrolled: 4-line block ×3, first 2 shown]
	v_and_b32_e32 v1, 0xffff, v0
	v_lshrrev_b32_e32 v0, 16, v0
	;;#ASMSTART
	v_cvt_f32_f16 v110, v1;
	;;#ASMEND
	;;#ASMSTART
	v_cvt_f32_f16 v111, v0;
	;;#ASMEND
	global_load_b128 v[0:3], v[44:45], off offset:12800
	s_wait_loadcnt 0x0
	v_dual_lshrrev_b32 v39, 16, v1 :: v_dual_lshrrev_b32 v36, 16, v0
	v_lshrrev_b32_e32 v41, 16, v2
	s_and_saveexec_b32 s19, vcc_lo
	s_cbranch_execz .LBB98_98
; %bb.97:                               ;   in Loop: Header=BB98_45 Depth=1
	v_cmp_gt_i32_e64 s0, s31, v50
	v_and_b32_e32 v112, 0xffff, v3
	v_and_b32_e32 v3, 0xffff0000, v3
	s_delay_alu instid0(VALU_DEP_3) | instskip(SKIP_1) | instid1(VALU_DEP_1)
	v_cndmask_b32_e64 v0, 0, v0, s0
	v_cmp_gt_i32_e64 s0, s31, v56
	v_cndmask_b32_e64 v1, 0, v1, s0
	v_cmp_gt_i32_e64 s0, s14, v57
	s_delay_alu instid0(VALU_DEP_1) | instskip(SKIP_1) | instid1(VALU_DEP_1)
	v_cndmask_b32_e64 v39, 0, v39, s0
	v_cmp_gt_i32_e64 s0, s31, v55
	v_cndmask_b32_e64 v36, 0, v36, s0
	v_cmp_gt_i32_e64 s0, s31, v54
	s_delay_alu instid0(VALU_DEP_1) | instskip(SKIP_1) | instid1(VALU_DEP_1)
	;; [unrolled: 5-line block ×3, first 2 shown]
	v_dual_cndmask_b32 v2, 0, v2, s0 :: v_dual_bitop2_b32 v3, v112, v3 bitop3:0x54
	v_cmp_gt_i32_e64 s0, s31, v51
	v_cndmask_b32_e64 v41, 0, v41, s0
.LBB98_98:                              ;   in Loop: Header=BB98_45 Depth=1
	s_or_b32 exec_lo, exec_lo, s19
	v_dual_lshlrev_b32 v36, 16, v36 :: v_dual_lshlrev_b32 v39, 16, v39
	s_delay_alu instid0(VALU_DEP_2) | instskip(NEXT) | instid1(VALU_DEP_2)
	v_lshlrev_b32_e32 v41, 16, v41
	v_and_or_b32 v0, 0xffff, v0, v36
	s_delay_alu instid0(VALU_DEP_3) | instskip(NEXT) | instid1(VALU_DEP_3)
	v_and_or_b32 v1, 0xffff, v1, v39
	v_and_or_b32 v2, 0xffff, v2, v41
	;;#ASMSTART
	v_pk_mul_f16 v0, v59, v0;

	;;#ASMEND
	;;#ASMSTART
	v_pk_mul_f16 v1, v58, v1;

	;;#ASMEND
	;; [unrolled: 4-line block ×4, first 2 shown]
	;;#ASMSTART
	v_pk_add_f16 v0, v0, v1;

	;;#ASMEND
	;;#ASMSTART
	v_pk_add_f16 v0, v0, v2;

	;;#ASMEND
	;; [unrolled: 4-line block ×3, first 2 shown]
	v_and_b32_e32 v1, 0xffff, v0
	v_lshrrev_b32_e32 v0, 16, v0
	;;#ASMSTART
	v_cvt_f32_f16 v112, v1;
	;;#ASMEND
	;;#ASMSTART
	v_cvt_f32_f16 v113, v0;
	;;#ASMEND
	global_load_b128 v[0:3], v[44:45], off offset:13312
	s_wait_loadcnt 0x0
	v_dual_lshrrev_b32 v39, 16, v1 :: v_dual_lshrrev_b32 v36, 16, v0
	v_lshrrev_b32_e32 v41, 16, v2
	s_and_saveexec_b32 s19, vcc_lo
	s_cbranch_execz .LBB98_100
; %bb.99:                               ;   in Loop: Header=BB98_45 Depth=1
	v_cmp_gt_i32_e64 s0, s31, v50
	v_and_b32_e32 v114, 0xffff, v3
	v_and_b32_e32 v3, 0xffff0000, v3
	s_delay_alu instid0(VALU_DEP_3) | instskip(SKIP_1) | instid1(VALU_DEP_1)
	v_cndmask_b32_e64 v0, 0, v0, s0
	v_cmp_gt_i32_e64 s0, s31, v56
	v_cndmask_b32_e64 v1, 0, v1, s0
	v_cmp_gt_i32_e64 s0, s14, v57
	s_delay_alu instid0(VALU_DEP_1) | instskip(SKIP_1) | instid1(VALU_DEP_1)
	v_cndmask_b32_e64 v39, 0, v39, s0
	v_cmp_gt_i32_e64 s0, s31, v55
	v_cndmask_b32_e64 v36, 0, v36, s0
	v_cmp_gt_i32_e64 s0, s31, v54
	s_delay_alu instid0(VALU_DEP_1) | instskip(SKIP_1) | instid1(VALU_DEP_1)
	;; [unrolled: 5-line block ×3, first 2 shown]
	v_dual_cndmask_b32 v2, 0, v2, s0 :: v_dual_bitop2_b32 v3, v114, v3 bitop3:0x54
	v_cmp_gt_i32_e64 s0, s31, v51
	v_cndmask_b32_e64 v41, 0, v41, s0
.LBB98_100:                             ;   in Loop: Header=BB98_45 Depth=1
	s_or_b32 exec_lo, exec_lo, s19
	v_dual_lshlrev_b32 v36, 16, v36 :: v_dual_lshlrev_b32 v39, 16, v39
	s_delay_alu instid0(VALU_DEP_2) | instskip(NEXT) | instid1(VALU_DEP_2)
	v_lshlrev_b32_e32 v41, 16, v41
	v_and_or_b32 v0, 0xffff, v0, v36
	s_delay_alu instid0(VALU_DEP_3) | instskip(NEXT) | instid1(VALU_DEP_3)
	v_and_or_b32 v1, 0xffff, v1, v39
	v_and_or_b32 v2, 0xffff, v2, v41
	;;#ASMSTART
	v_pk_mul_f16 v0, v59, v0;

	;;#ASMEND
	;;#ASMSTART
	v_pk_mul_f16 v1, v58, v1;

	;;#ASMEND
	;; [unrolled: 4-line block ×4, first 2 shown]
	;;#ASMSTART
	v_pk_add_f16 v0, v0, v1;

	;;#ASMEND
	;;#ASMSTART
	v_pk_add_f16 v0, v0, v2;

	;;#ASMEND
	;; [unrolled: 4-line block ×3, first 2 shown]
	v_and_b32_e32 v1, 0xffff, v0
	v_lshrrev_b32_e32 v0, 16, v0
	;;#ASMSTART
	v_cvt_f32_f16 v114, v1;
	;;#ASMEND
	;;#ASMSTART
	v_cvt_f32_f16 v115, v0;
	;;#ASMEND
	global_load_b128 v[0:3], v[44:45], off offset:13824
	s_wait_loadcnt 0x0
	v_dual_lshrrev_b32 v39, 16, v1 :: v_dual_lshrrev_b32 v36, 16, v0
	v_lshrrev_b32_e32 v41, 16, v2
	s_and_saveexec_b32 s19, vcc_lo
	s_cbranch_execz .LBB98_102
; %bb.101:                              ;   in Loop: Header=BB98_45 Depth=1
	v_cmp_gt_i32_e64 s0, s31, v50
	v_and_b32_e32 v116, 0xffff, v3
	v_and_b32_e32 v3, 0xffff0000, v3
	s_delay_alu instid0(VALU_DEP_3) | instskip(SKIP_1) | instid1(VALU_DEP_1)
	v_cndmask_b32_e64 v0, 0, v0, s0
	v_cmp_gt_i32_e64 s0, s31, v56
	v_cndmask_b32_e64 v1, 0, v1, s0
	v_cmp_gt_i32_e64 s0, s14, v57
	s_delay_alu instid0(VALU_DEP_1) | instskip(SKIP_1) | instid1(VALU_DEP_1)
	v_cndmask_b32_e64 v39, 0, v39, s0
	v_cmp_gt_i32_e64 s0, s31, v55
	v_cndmask_b32_e64 v36, 0, v36, s0
	v_cmp_gt_i32_e64 s0, s31, v54
	s_delay_alu instid0(VALU_DEP_1) | instskip(SKIP_1) | instid1(VALU_DEP_1)
	;; [unrolled: 5-line block ×3, first 2 shown]
	v_dual_cndmask_b32 v2, 0, v2, s0 :: v_dual_bitop2_b32 v3, v116, v3 bitop3:0x54
	v_cmp_gt_i32_e64 s0, s31, v51
	v_cndmask_b32_e64 v41, 0, v41, s0
.LBB98_102:                             ;   in Loop: Header=BB98_45 Depth=1
	s_or_b32 exec_lo, exec_lo, s19
	v_dual_lshlrev_b32 v36, 16, v36 :: v_dual_lshlrev_b32 v39, 16, v39
	s_delay_alu instid0(VALU_DEP_2) | instskip(NEXT) | instid1(VALU_DEP_2)
	v_lshlrev_b32_e32 v41, 16, v41
	v_and_or_b32 v0, 0xffff, v0, v36
	s_delay_alu instid0(VALU_DEP_3) | instskip(NEXT) | instid1(VALU_DEP_3)
	v_and_or_b32 v1, 0xffff, v1, v39
	v_and_or_b32 v2, 0xffff, v2, v41
	;;#ASMSTART
	v_pk_mul_f16 v0, v59, v0;

	;;#ASMEND
	;;#ASMSTART
	v_pk_mul_f16 v1, v58, v1;

	;;#ASMEND
	;; [unrolled: 4-line block ×4, first 2 shown]
	;;#ASMSTART
	v_pk_add_f16 v0, v0, v1;

	;;#ASMEND
	;;#ASMSTART
	v_pk_add_f16 v0, v0, v2;

	;;#ASMEND
	;;#ASMSTART
	v_pk_add_f16 v0, v0, v3;

	;;#ASMEND
	v_and_b32_e32 v1, 0xffff, v0
	v_lshrrev_b32_e32 v0, 16, v0
	;;#ASMSTART
	v_cvt_f32_f16 v116, v1;
	;;#ASMEND
	;;#ASMSTART
	v_cvt_f32_f16 v117, v0;
	;;#ASMEND
	global_load_b128 v[0:3], v[44:45], off offset:14336
	s_wait_loadcnt 0x0
	v_dual_lshrrev_b32 v39, 16, v1 :: v_dual_lshrrev_b32 v36, 16, v0
	v_lshrrev_b32_e32 v41, 16, v2
	s_and_saveexec_b32 s19, vcc_lo
	s_cbranch_execz .LBB98_104
; %bb.103:                              ;   in Loop: Header=BB98_45 Depth=1
	v_cmp_gt_i32_e64 s0, s31, v50
	v_and_b32_e32 v118, 0xffff, v3
	v_and_b32_e32 v3, 0xffff0000, v3
	s_delay_alu instid0(VALU_DEP_3) | instskip(SKIP_1) | instid1(VALU_DEP_1)
	v_cndmask_b32_e64 v0, 0, v0, s0
	v_cmp_gt_i32_e64 s0, s31, v56
	v_cndmask_b32_e64 v1, 0, v1, s0
	v_cmp_gt_i32_e64 s0, s14, v57
	s_delay_alu instid0(VALU_DEP_1) | instskip(SKIP_1) | instid1(VALU_DEP_1)
	v_cndmask_b32_e64 v39, 0, v39, s0
	v_cmp_gt_i32_e64 s0, s31, v55
	v_cndmask_b32_e64 v36, 0, v36, s0
	v_cmp_gt_i32_e64 s0, s31, v54
	s_delay_alu instid0(VALU_DEP_1) | instskip(SKIP_1) | instid1(VALU_DEP_1)
	;; [unrolled: 5-line block ×3, first 2 shown]
	v_dual_cndmask_b32 v2, 0, v2, s0 :: v_dual_bitop2_b32 v3, v118, v3 bitop3:0x54
	v_cmp_gt_i32_e64 s0, s31, v51
	v_cndmask_b32_e64 v41, 0, v41, s0
.LBB98_104:                             ;   in Loop: Header=BB98_45 Depth=1
	s_or_b32 exec_lo, exec_lo, s19
	v_dual_lshlrev_b32 v36, 16, v36 :: v_dual_lshlrev_b32 v39, 16, v39
	s_delay_alu instid0(VALU_DEP_2) | instskip(NEXT) | instid1(VALU_DEP_2)
	v_lshlrev_b32_e32 v41, 16, v41
	v_and_or_b32 v0, 0xffff, v0, v36
	s_delay_alu instid0(VALU_DEP_3) | instskip(NEXT) | instid1(VALU_DEP_3)
	v_and_or_b32 v1, 0xffff, v1, v39
	v_and_or_b32 v2, 0xffff, v2, v41
	;;#ASMSTART
	v_pk_mul_f16 v0, v59, v0;

	;;#ASMEND
	;;#ASMSTART
	v_pk_mul_f16 v1, v58, v1;

	;;#ASMEND
	;; [unrolled: 4-line block ×4, first 2 shown]
	;;#ASMSTART
	v_pk_add_f16 v0, v0, v1;

	;;#ASMEND
	;;#ASMSTART
	v_pk_add_f16 v0, v0, v2;

	;;#ASMEND
	;; [unrolled: 4-line block ×3, first 2 shown]
	v_and_b32_e32 v1, 0xffff, v0
	v_lshrrev_b32_e32 v0, 16, v0
	;;#ASMSTART
	v_cvt_f32_f16 v118, v1;
	;;#ASMEND
	;;#ASMSTART
	v_cvt_f32_f16 v119, v0;
	;;#ASMEND
	global_load_b128 v[0:3], v[44:45], off offset:14848
	s_wait_loadcnt 0x0
	v_dual_lshrrev_b32 v39, 16, v1 :: v_dual_lshrrev_b32 v36, 16, v0
	v_lshrrev_b32_e32 v41, 16, v2
	s_and_saveexec_b32 s19, vcc_lo
	s_cbranch_execz .LBB98_106
; %bb.105:                              ;   in Loop: Header=BB98_45 Depth=1
	v_cmp_gt_i32_e64 s0, s31, v50
	v_and_b32_e32 v120, 0xffff, v3
	v_and_b32_e32 v3, 0xffff0000, v3
	s_delay_alu instid0(VALU_DEP_3) | instskip(SKIP_1) | instid1(VALU_DEP_1)
	v_cndmask_b32_e64 v0, 0, v0, s0
	v_cmp_gt_i32_e64 s0, s31, v56
	v_cndmask_b32_e64 v1, 0, v1, s0
	v_cmp_gt_i32_e64 s0, s14, v57
	s_delay_alu instid0(VALU_DEP_1) | instskip(SKIP_1) | instid1(VALU_DEP_1)
	v_cndmask_b32_e64 v39, 0, v39, s0
	v_cmp_gt_i32_e64 s0, s31, v55
	v_cndmask_b32_e64 v36, 0, v36, s0
	v_cmp_gt_i32_e64 s0, s31, v54
	s_delay_alu instid0(VALU_DEP_1) | instskip(SKIP_1) | instid1(VALU_DEP_1)
	;; [unrolled: 5-line block ×3, first 2 shown]
	v_dual_cndmask_b32 v2, 0, v2, s0 :: v_dual_bitop2_b32 v3, v120, v3 bitop3:0x54
	v_cmp_gt_i32_e64 s0, s31, v51
	v_cndmask_b32_e64 v41, 0, v41, s0
.LBB98_106:                             ;   in Loop: Header=BB98_45 Depth=1
	s_or_b32 exec_lo, exec_lo, s19
	v_dual_lshlrev_b32 v36, 16, v36 :: v_dual_lshlrev_b32 v39, 16, v39
	s_delay_alu instid0(VALU_DEP_2) | instskip(NEXT) | instid1(VALU_DEP_2)
	v_lshlrev_b32_e32 v41, 16, v41
	v_and_or_b32 v0, 0xffff, v0, v36
	s_delay_alu instid0(VALU_DEP_3) | instskip(NEXT) | instid1(VALU_DEP_3)
	v_and_or_b32 v1, 0xffff, v1, v39
	v_and_or_b32 v2, 0xffff, v2, v41
	;;#ASMSTART
	v_pk_mul_f16 v0, v59, v0;

	;;#ASMEND
	;;#ASMSTART
	v_pk_mul_f16 v1, v58, v1;

	;;#ASMEND
	;; [unrolled: 4-line block ×4, first 2 shown]
	;;#ASMSTART
	v_pk_add_f16 v0, v0, v1;

	;;#ASMEND
	;;#ASMSTART
	v_pk_add_f16 v0, v0, v2;

	;;#ASMEND
	;; [unrolled: 4-line block ×3, first 2 shown]
	v_and_b32_e32 v1, 0xffff, v0
	v_lshrrev_b32_e32 v0, 16, v0
	;;#ASMSTART
	v_cvt_f32_f16 v120, v1;
	;;#ASMEND
	;;#ASMSTART
	v_cvt_f32_f16 v121, v0;
	;;#ASMEND
	global_load_b128 v[0:3], v[44:45], off offset:15360
	s_wait_loadcnt 0x0
	v_dual_lshrrev_b32 v39, 16, v1 :: v_dual_lshrrev_b32 v36, 16, v0
	v_lshrrev_b32_e32 v41, 16, v2
	s_and_saveexec_b32 s19, vcc_lo
	s_cbranch_execz .LBB98_108
; %bb.107:                              ;   in Loop: Header=BB98_45 Depth=1
	v_cmp_gt_i32_e64 s0, s31, v50
	v_and_b32_e32 v44, 0xffff, v3
	v_and_b32_e32 v3, 0xffff0000, v3
	s_delay_alu instid0(VALU_DEP_3) | instskip(SKIP_1) | instid1(VALU_DEP_1)
	v_cndmask_b32_e64 v0, 0, v0, s0
	v_cmp_gt_i32_e64 s0, s31, v56
	v_cndmask_b32_e64 v1, 0, v1, s0
	v_cmp_gt_i32_e64 s0, s14, v57
	s_delay_alu instid0(VALU_DEP_1) | instskip(SKIP_1) | instid1(VALU_DEP_1)
	v_cndmask_b32_e64 v39, 0, v39, s0
	v_cmp_gt_i32_e64 s0, s31, v55
	v_cndmask_b32_e64 v36, 0, v36, s0
	v_cmp_gt_i32_e64 s0, s31, v54
	s_delay_alu instid0(VALU_DEP_1) | instskip(SKIP_1) | instid1(VALU_DEP_1)
	;; [unrolled: 5-line block ×3, first 2 shown]
	v_dual_cndmask_b32 v2, 0, v2, s0 :: v_dual_bitop2_b32 v3, v44, v3 bitop3:0x54
	v_cmp_gt_i32_e64 s0, s31, v51
	v_cndmask_b32_e64 v41, 0, v41, s0
.LBB98_108:                             ;   in Loop: Header=BB98_45 Depth=1
	s_or_b32 exec_lo, exec_lo, s19
	s_delay_alu instid0(VALU_DEP_1) | instskip(SKIP_1) | instid1(VALU_DEP_2)
	v_dual_lshlrev_b32 v41, 16, v41 :: v_dual_lshlrev_b32 v36, 16, v36
	v_lshlrev_b32_e32 v39, 16, v39
	v_and_or_b32 v2, 0xffff, v2, v41
	v_mov_b32_e32 v41, v37
	s_delay_alu instid0(VALU_DEP_4) | instskip(NEXT) | instid1(VALU_DEP_4)
	v_and_or_b32 v0, 0xffff, v0, v36
	v_and_or_b32 v1, 0xffff, v1, v39
	;;#ASMSTART
	v_pk_mul_f16 v0, v59, v0;

	;;#ASMEND
	;;#ASMSTART
	v_pk_mul_f16 v1, v58, v1;

	;;#ASMEND
	;; [unrolled: 4-line block ×4, first 2 shown]
	;;#ASMSTART
	v_pk_add_f16 v0, v0, v1;

	;;#ASMEND
	;;#ASMSTART
	v_pk_add_f16 v0, v0, v2;

	;;#ASMEND
	;; [unrolled: 4-line block ×3, first 2 shown]
	v_add_nc_u64_e32 v[0:1], v[42:43], v[40:41]
	v_and_b32_e32 v3, 0xffff, v2
	v_lshrrev_b32_e32 v2, 16, v2
	;;#ASMSTART
	v_cvt_f32_f16 v42, v3;
	;;#ASMEND
	;;#ASMSTART
	v_cvt_f32_f16 v43, v2;
	;;#ASMEND
	global_load_b128 v[0:3], v[0:1], off
	s_wait_loadcnt 0x0
	v_dual_lshrrev_b32 v39, 16, v1 :: v_dual_lshrrev_b32 v36, 16, v0
	v_lshrrev_b32_e32 v41, 16, v2
	s_and_saveexec_b32 s0, vcc_lo
	s_cbranch_execz .LBB98_43
; %bb.109:                              ;   in Loop: Header=BB98_45 Depth=1
	v_cmp_gt_i32_e32 vcc_lo, s31, v50
	v_and_b32_e32 v44, 0xffff, v3
	v_and_b32_e32 v3, 0xffff0000, v3
	v_cndmask_b32_e32 v0, 0, v0, vcc_lo
	v_cmp_gt_i32_e32 vcc_lo, s31, v56
	v_cndmask_b32_e32 v1, 0, v1, vcc_lo
	v_cmp_gt_i32_e32 vcc_lo, s14, v57
	;; [unrolled: 2-line block ×6, first 2 shown]
	s_delay_alu instid0(VALU_DEP_2)
	v_dual_cndmask_b32 v2, 0, v2, vcc_lo :: v_dual_bitop2_b32 v3, v44, v3 bitop3:0x54
	v_cmp_gt_i32_e32 vcc_lo, s31, v51
	v_cndmask_b32_e32 v41, 0, v41, vcc_lo
	s_branch .LBB98_43
.LBB98_110:
	s_or_b32 exec_lo, exec_lo, s15
.LBB98_111:
	s_delay_alu instid0(SALU_CYCLE_1)
	s_or_b32 exec_lo, exec_lo, s1
	ds_bpermute_b32 v0, v47, v26
	ds_bpermute_b32 v1, v47, v27
	;; [unrolled: 1-line block ×21, first 2 shown]
	s_wait_dscnt 0x13
	v_pk_add_f32 v[26:27], v[26:27], v[0:1]
	ds_bpermute_b32 v61, v47, v7
	s_wait_dscnt 0x12
	v_pk_add_f32 v[34:35], v[34:35], v[2:3]
	s_mov_b32 s0, exec_lo
	s_wait_dscnt 0x10
	v_pk_add_f32 v[32:33], v[32:33], v[36:37]
	s_wait_dscnt 0xe
	v_pk_add_f32 v[2:3], v[28:29], v[40:41]
	ds_bpermute_b32 v28, v46, v26
	ds_bpermute_b32 v29, v46, v27
	;; [unrolled: 1-line block ×4, first 2 shown]
	s_wait_dscnt 0x10
	v_pk_add_f32 v[0:1], v[30:31], v[38:39]
	ds_bpermute_b32 v30, v47, v16
	ds_bpermute_b32 v31, v47, v17
	s_wait_dscnt 0x10
	v_pk_add_f32 v[42:43], v[24:25], v[42:43]
	ds_bpermute_b32 v24, v47, v18
	ds_bpermute_b32 v25, v47, v19
	;; [unrolled: 4-line block ×4, first 2 shown]
	ds_bpermute_b32 v38, v46, v32
	ds_bpermute_b32 v39, v46, v33
	s_wait_dscnt 0x12
	v_pk_add_f32 v[54:55], v[12:13], v[54:55]
	s_wait_dscnt 0x10
	v_pk_add_f32 v[58:59], v[8:9], v[58:59]
	;; [unrolled: 2-line block ×4, first 2 shown]
	ds_bpermute_b32 v40, v46, v0
	s_wait_dscnt 0xb
	v_pk_add_f32 v[26:27], v[34:35], v[36:37]
	scratch_load_b32 v34, off, off offset:124 ; 4-byte Folded Reload
	ds_bpermute_b32 v41, v46, v1
	s_wait_dscnt 0xa
	v_pk_add_f32 v[66:67], v[16:17], v[30:31]
	ds_bpermute_b32 v16, v47, v4
	ds_bpermute_b32 v17, v47, v5
	s_wait_dscnt 0xa
	v_pk_add_f32 v[64:65], v[18:19], v[24:25]
	ds_bpermute_b32 v50, v46, v2
	;; [unrolled: 4-line block ×4, first 2 shown]
	ds_bpermute_b32 v57, v46, v45
	ds_bpermute_b32 v62, v46, v48
	;; [unrolled: 1-line block ×17, first 2 shown]
	s_wait_dscnt 0x16
	v_pk_add_f32 v[30:31], v[4:5], v[16:17]
	v_pk_add_f32 v[24:25], v[32:33], v[38:39]
	;; [unrolled: 1-line block ×3, first 2 shown]
	s_wait_dscnt 0x14
	v_pk_add_f32 v[20:21], v[2:3], v[50:51]
	s_wait_dscnt 0x12
	v_pk_add_f32 v[18:19], v[42:43], v[52:53]
	ds_bpermute_b32 v32, v46, v30
	ds_bpermute_b32 v33, v46, v31
	s_wait_dscnt 0x12
	v_pk_add_f32 v[16:17], v[44:45], v[56:57]
	s_wait_dscnt 0x10
	v_pk_add_f32 v[14:15], v[48:49], v[62:63]
	;; [unrolled: 2-line block ×5, first 2 shown]
	v_and_b32_e32 v35, 0x3c3, v122
	s_wait_dscnt 0x8
	v_pk_add_f32 v[4:5], v[54:55], v[78:79]
	s_wait_loadcnt_dscnt 0x0
	v_pk_add_f32 v[6:7], v[76:77], v[6:7]
	s_barrier_signal -1
	v_pk_add_f32 v[2:3], v[58:59], v[80:81]
	s_barrier_wait -1
	v_pk_add_f32 v[0:1], v[60:61], v[82:83]
	v_and_b32_e32 v34, 28, v34
	v_cmpx_ne_u32_e32 64, v35
	s_xor_b32 s0, exec_lo, s0
	s_delay_alu instid0(SALU_CYCLE_1)
	s_or_saveexec_b32 s0, s0
	v_pk_add_f32 v[30:31], v[30:31], v[32:33]
	scratch_load_b32 v32, off, off offset:124 th:TH_LOAD_LU ; 4-byte Folded Reload
	v_add_nc_u32_e32 v33, 0x220, v34
	s_wait_loadcnt 0x0
	v_dual_lshlrev_b32 v34, 10, v123 :: v_dual_lshrrev_b32 v32, 2, v32
	s_xor_b32 exec_lo, exec_lo, s0
	s_cbranch_execz .LBB98_113
; %bb.112:
	s_delay_alu instid0(VALU_DEP_1) | instskip(NEXT) | instid1(VALU_DEP_1)
	v_add_nc_u32_e32 v35, v33, v34
	v_add_nc_u32_e32 v36, 0xfffff800, v35
	;; [unrolled: 1-line block ×9, first 2 shown]
	ds_store_b32 v36, v28
	ds_store_b32 v37, v29
	ds_store_b32 v38, v26
	ds_store_b32 v39, v27
	ds_store_b32 v40, v24
	ds_store_b32 v41, v25
	ds_store_b32 v42, v22
	ds_store_b32 v43, v23
	v_add_nc_u32_e32 v36, 0xfffff900, v35
	v_add_nc_u32_e32 v37, 0xfffff920, v35
	v_add_nc_u32_e32 v38, 0xfffff940, v35
	v_add_nc_u32_e32 v39, 0xfffff960, v35
	v_add_nc_u32_e32 v40, 0xfffff980, v35
	v_add_nc_u32_e32 v41, 0xfffff9a0, v35
	v_add_nc_u32_e32 v42, 0xfffff9c0, v35
	v_add_nc_u32_e32 v43, 0xfffff9e0, v35
	ds_store_b32 v36, v20
	ds_store_b32 v37, v21
	ds_store_b32 v38, v18
	ds_store_b32 v39, v19
	ds_store_b32 v40, v16
	ds_store_b32 v41, v17
	ds_store_b32 v42, v14
	ds_store_b32 v43, v15
	v_add_nc_u32_e32 v36, 0xfffffa00, v35
	v_add_nc_u32_e32 v37, 0xfffffa20, v35
	v_add_nc_u32_e32 v38, 0xfffffa40, v35
	v_add_nc_u32_e32 v39, 0xfffffa60, v35
	v_add_nc_u32_e32 v40, 0xfffffa80, v35
	v_add_nc_u32_e32 v41, 0xfffffaa0, v35
	v_add_nc_u32_e32 v42, 0xfffffac0, v35
	v_add_nc_u32_e32 v43, 0xfffffae0, v35
	;; [unrolled: 16-line block ×3, first 2 shown]
	ds_store_b32 v36, v6
	ds_store_b32 v37, v7
	;; [unrolled: 1-line block ×8, first 2 shown]
.LBB98_113:
	s_or_b32 exec_lo, exec_lo, s0
	s_delay_alu instid0(VALU_DEP_1) | instskip(SKIP_3) | instid1(VALU_DEP_1)
	v_dual_lshlrev_b32 v32, 2, v32 :: v_dual_bitop2_b32 v35, 3, v122 bitop3:0x40
	s_mov_b32 s1, exec_lo
	s_wait_dscnt 0x0
	s_barrier_signal -1
	v_cmp_eq_u32_e32 vcc_lo, 0, v35
	v_add3_u32 v32, 0x220, v34, v32
	s_barrier_wait -1
	v_cmpx_gt_u32_e32 64, v122
	s_cbranch_execz .LBB98_148
; %bb.114:
	s_and_saveexec_b32 s0, vcc_lo
	s_cbranch_execnz .LBB98_188
; %bb.115:
	s_or_b32 exec_lo, exec_lo, s0
	s_and_saveexec_b32 s0, vcc_lo
	s_cbranch_execnz .LBB98_189
.LBB98_116:
	s_or_b32 exec_lo, exec_lo, s0
	s_and_saveexec_b32 s0, vcc_lo
	s_cbranch_execnz .LBB98_190
.LBB98_117:
	s_or_b32 exec_lo, exec_lo, s0
	s_and_saveexec_b32 s0, vcc_lo
	s_cbranch_execnz .LBB98_191
.LBB98_118:
	s_or_b32 exec_lo, exec_lo, s0
	s_and_saveexec_b32 s0, vcc_lo
	s_cbranch_execnz .LBB98_192
.LBB98_119:
	s_or_b32 exec_lo, exec_lo, s0
	s_and_saveexec_b32 s0, vcc_lo
	s_cbranch_execnz .LBB98_193
.LBB98_120:
	s_or_b32 exec_lo, exec_lo, s0
	s_and_saveexec_b32 s0, vcc_lo
	s_cbranch_execnz .LBB98_194
.LBB98_121:
	s_or_b32 exec_lo, exec_lo, s0
	s_and_saveexec_b32 s0, vcc_lo
	s_cbranch_execnz .LBB98_195
.LBB98_122:
	s_or_b32 exec_lo, exec_lo, s0
	s_and_saveexec_b32 s0, vcc_lo
	s_cbranch_execnz .LBB98_196
.LBB98_123:
	s_or_b32 exec_lo, exec_lo, s0
	s_and_saveexec_b32 s0, vcc_lo
	s_cbranch_execnz .LBB98_197
.LBB98_124:
	s_or_b32 exec_lo, exec_lo, s0
	s_and_saveexec_b32 s0, vcc_lo
	s_cbranch_execnz .LBB98_198
.LBB98_125:
	s_or_b32 exec_lo, exec_lo, s0
	s_and_saveexec_b32 s0, vcc_lo
	s_cbranch_execnz .LBB98_199
.LBB98_126:
	s_or_b32 exec_lo, exec_lo, s0
	s_and_saveexec_b32 s0, vcc_lo
	s_cbranch_execnz .LBB98_200
.LBB98_127:
	s_or_b32 exec_lo, exec_lo, s0
	s_and_saveexec_b32 s0, vcc_lo
	s_cbranch_execnz .LBB98_201
.LBB98_128:
	s_or_b32 exec_lo, exec_lo, s0
	s_and_saveexec_b32 s0, vcc_lo
	s_cbranch_execnz .LBB98_202
.LBB98_129:
	s_or_b32 exec_lo, exec_lo, s0
	s_and_saveexec_b32 s0, vcc_lo
	s_cbranch_execnz .LBB98_203
.LBB98_130:
	s_or_b32 exec_lo, exec_lo, s0
	s_and_saveexec_b32 s0, vcc_lo
	s_cbranch_execnz .LBB98_204
.LBB98_131:
	s_or_b32 exec_lo, exec_lo, s0
	s_and_saveexec_b32 s0, vcc_lo
	s_cbranch_execnz .LBB98_205
.LBB98_132:
	s_or_b32 exec_lo, exec_lo, s0
	s_and_saveexec_b32 s0, vcc_lo
	s_cbranch_execnz .LBB98_206
.LBB98_133:
	s_or_b32 exec_lo, exec_lo, s0
	s_and_saveexec_b32 s0, vcc_lo
	s_cbranch_execnz .LBB98_207
.LBB98_134:
	s_or_b32 exec_lo, exec_lo, s0
	s_and_saveexec_b32 s0, vcc_lo
	s_cbranch_execnz .LBB98_208
.LBB98_135:
	s_or_b32 exec_lo, exec_lo, s0
	s_and_saveexec_b32 s0, vcc_lo
	s_cbranch_execnz .LBB98_209
.LBB98_136:
	s_or_b32 exec_lo, exec_lo, s0
	s_and_saveexec_b32 s0, vcc_lo
	s_cbranch_execnz .LBB98_210
.LBB98_137:
	s_or_b32 exec_lo, exec_lo, s0
	s_and_saveexec_b32 s0, vcc_lo
	s_cbranch_execnz .LBB98_211
.LBB98_138:
	s_or_b32 exec_lo, exec_lo, s0
	s_and_saveexec_b32 s0, vcc_lo
	s_cbranch_execnz .LBB98_212
.LBB98_139:
	s_or_b32 exec_lo, exec_lo, s0
	s_and_saveexec_b32 s0, vcc_lo
	s_cbranch_execnz .LBB98_213
.LBB98_140:
	s_or_b32 exec_lo, exec_lo, s0
	s_and_saveexec_b32 s0, vcc_lo
	s_cbranch_execnz .LBB98_214
.LBB98_141:
	s_or_b32 exec_lo, exec_lo, s0
	s_and_saveexec_b32 s0, vcc_lo
	s_cbranch_execnz .LBB98_215
.LBB98_142:
	s_or_b32 exec_lo, exec_lo, s0
	s_and_saveexec_b32 s0, vcc_lo
	s_cbranch_execnz .LBB98_216
.LBB98_143:
	s_or_b32 exec_lo, exec_lo, s0
	s_and_saveexec_b32 s0, vcc_lo
	s_cbranch_execnz .LBB98_217
.LBB98_144:
	s_or_b32 exec_lo, exec_lo, s0
	s_and_saveexec_b32 s0, vcc_lo
	s_cbranch_execnz .LBB98_218
.LBB98_145:
	s_or_b32 exec_lo, exec_lo, s0
	s_and_saveexec_b32 s0, vcc_lo
	s_cbranch_execz .LBB98_147
.LBB98_146:
	ds_load_b32 v34, v32 offset:992
	s_wait_dscnt 0x0
	v_add_f32_e32 v31, v31, v34
.LBB98_147:
	s_or_b32 exec_lo, exec_lo, s0
.LBB98_148:
	s_delay_alu instid0(SALU_CYCLE_1) | instskip(SKIP_4) | instid1(VALU_DEP_1)
	s_or_b32 exec_lo, exec_lo, s1
	v_and_b32_e32 v34, 0x3e3, v122
	s_mov_b32 s1, exec_lo
	s_barrier_signal -1
	s_barrier_wait -1
	v_cmpx_eq_u32_e32 32, v34
	s_cbranch_execz .LBB98_150
; %bb.149:
	ds_store_2addr_b32 v33, v28, v29 offset1:8
	ds_store_2addr_b32 v33, v26, v27 offset0:16 offset1:24
	ds_store_2addr_b32 v33, v24, v25 offset0:32 offset1:40
	;; [unrolled: 1-line block ×15, first 2 shown]
.LBB98_150:
	s_or_b32 exec_lo, exec_lo, s1
	s_wait_dscnt 0x0
	s_barrier_signal -1
	s_barrier_wait -1
	s_and_saveexec_b32 s0, s2
	s_cbranch_execz .LBB98_185
; %bb.151:
	s_and_saveexec_b32 s1, vcc_lo
	s_cbranch_execnz .LBB98_219
; %bb.152:
	s_or_b32 exec_lo, exec_lo, s1
	s_and_saveexec_b32 s1, vcc_lo
	s_cbranch_execnz .LBB98_220
.LBB98_153:
	s_or_b32 exec_lo, exec_lo, s1
	s_and_saveexec_b32 s1, vcc_lo
	s_cbranch_execnz .LBB98_221
.LBB98_154:
	s_or_b32 exec_lo, exec_lo, s1
	s_and_saveexec_b32 s1, vcc_lo
	s_cbranch_execnz .LBB98_222
.LBB98_155:
	s_or_b32 exec_lo, exec_lo, s1
	s_and_saveexec_b32 s1, vcc_lo
	s_cbranch_execnz .LBB98_223
.LBB98_156:
	s_or_b32 exec_lo, exec_lo, s1
	s_and_saveexec_b32 s1, vcc_lo
	s_cbranch_execnz .LBB98_224
.LBB98_157:
	s_or_b32 exec_lo, exec_lo, s1
	s_and_saveexec_b32 s1, vcc_lo
	s_cbranch_execnz .LBB98_225
.LBB98_158:
	s_or_b32 exec_lo, exec_lo, s1
	s_and_saveexec_b32 s1, vcc_lo
	s_cbranch_execnz .LBB98_226
.LBB98_159:
	s_or_b32 exec_lo, exec_lo, s1
	s_and_saveexec_b32 s1, vcc_lo
	s_cbranch_execnz .LBB98_227
.LBB98_160:
	s_or_b32 exec_lo, exec_lo, s1
	s_and_saveexec_b32 s1, vcc_lo
	s_cbranch_execnz .LBB98_228
.LBB98_161:
	s_or_b32 exec_lo, exec_lo, s1
	s_and_saveexec_b32 s1, vcc_lo
	s_cbranch_execnz .LBB98_229
.LBB98_162:
	s_or_b32 exec_lo, exec_lo, s1
	s_and_saveexec_b32 s1, vcc_lo
	s_cbranch_execnz .LBB98_230
.LBB98_163:
	s_or_b32 exec_lo, exec_lo, s1
	s_and_saveexec_b32 s1, vcc_lo
	s_cbranch_execnz .LBB98_231
.LBB98_164:
	s_or_b32 exec_lo, exec_lo, s1
	s_and_saveexec_b32 s1, vcc_lo
	s_cbranch_execnz .LBB98_232
.LBB98_165:
	s_or_b32 exec_lo, exec_lo, s1
	s_and_saveexec_b32 s1, vcc_lo
	s_cbranch_execnz .LBB98_233
.LBB98_166:
	s_or_b32 exec_lo, exec_lo, s1
	s_and_saveexec_b32 s1, vcc_lo
	s_cbranch_execnz .LBB98_234
.LBB98_167:
	s_or_b32 exec_lo, exec_lo, s1
	s_and_saveexec_b32 s1, vcc_lo
	s_cbranch_execnz .LBB98_235
.LBB98_168:
	s_or_b32 exec_lo, exec_lo, s1
	s_and_saveexec_b32 s1, vcc_lo
	s_cbranch_execnz .LBB98_236
.LBB98_169:
	s_or_b32 exec_lo, exec_lo, s1
	s_and_saveexec_b32 s1, vcc_lo
	s_cbranch_execnz .LBB98_237
.LBB98_170:
	s_or_b32 exec_lo, exec_lo, s1
	s_and_saveexec_b32 s1, vcc_lo
	s_cbranch_execnz .LBB98_238
.LBB98_171:
	s_or_b32 exec_lo, exec_lo, s1
	s_and_saveexec_b32 s1, vcc_lo
	s_cbranch_execnz .LBB98_239
.LBB98_172:
	s_or_b32 exec_lo, exec_lo, s1
	s_and_saveexec_b32 s1, vcc_lo
	s_cbranch_execnz .LBB98_240
.LBB98_173:
	s_or_b32 exec_lo, exec_lo, s1
	s_and_saveexec_b32 s1, vcc_lo
	s_cbranch_execnz .LBB98_241
.LBB98_174:
	s_or_b32 exec_lo, exec_lo, s1
	s_and_saveexec_b32 s1, vcc_lo
	s_cbranch_execnz .LBB98_242
.LBB98_175:
	s_or_b32 exec_lo, exec_lo, s1
	s_and_saveexec_b32 s1, vcc_lo
	s_cbranch_execnz .LBB98_243
.LBB98_176:
	s_or_b32 exec_lo, exec_lo, s1
	s_and_saveexec_b32 s1, vcc_lo
	s_cbranch_execnz .LBB98_244
.LBB98_177:
	s_or_b32 exec_lo, exec_lo, s1
	s_and_saveexec_b32 s1, vcc_lo
	s_cbranch_execnz .LBB98_245
.LBB98_178:
	s_or_b32 exec_lo, exec_lo, s1
	s_and_saveexec_b32 s1, vcc_lo
	s_cbranch_execnz .LBB98_246
.LBB98_179:
	s_or_b32 exec_lo, exec_lo, s1
	s_and_saveexec_b32 s1, vcc_lo
	s_cbranch_execnz .LBB98_247
.LBB98_180:
	s_or_b32 exec_lo, exec_lo, s1
	s_and_saveexec_b32 s1, vcc_lo
	s_cbranch_execnz .LBB98_248
.LBB98_181:
	s_or_b32 exec_lo, exec_lo, s1
	s_and_saveexec_b32 s1, vcc_lo
	s_cbranch_execnz .LBB98_249
.LBB98_182:
	s_or_b32 exec_lo, exec_lo, s1
	s_and_saveexec_b32 s1, vcc_lo
	s_cbranch_execz .LBB98_184
.LBB98_183:
	ds_load_b32 v32, v32 offset:992
	s_wait_dscnt 0x0
	v_add_f32_e32 v31, v31, v32
.LBB98_184:
	s_or_b32 exec_lo, exec_lo, s1
.LBB98_185:
	s_delay_alu instid0(SALU_CYCLE_1)
	s_or_b32 exec_lo, exec_lo, s0
	s_mov_b32 s1, 0
	s_barrier_signal -1
	s_barrier_wait -1
	s_mov_b32 s0, exec_lo
	v_cmpx_eq_u32_e32 0, v34
	s_cbranch_execz .LBB98_187
; %bb.186:
	s_mul_i32 s0, s30, s7
	s_mul_i32 s2, s7, s6
	;; [unrolled: 1-line block ×3, first 2 shown]
	s_lshr_b32 s6, ttmp7, 16
	s_lshl_b32 s4, s0, 8
	s_bfe_u32 s0, ttmp6, 0x40014
	s_ashr_i32 s5, s4, 31
	s_add_co_i32 s0, s0, 1
	s_ashr_i32 s3, s2, 31
	s_mul_i32 s0, s6, s0
	s_bfe_u32 s7, ttmp6, 0x40008
	s_lshl_b64 s[4:5], s[4:5], 1
	s_lshl_b64 s[2:3], s[2:3], 1
	s_add_co_i32 s7, s7, s0
	s_cmp_eq_u32 s28, 0
	s_wait_kmcnt 0x0
	s_add_nc_u64 s[4:5], s[22:23], s[4:5]
	s_cselect_b32 s0, s6, s7
	v_lshrrev_b32_e32 v32, 1, v122
	s_add_nc_u64 s[2:3], s[4:5], s[2:3]
	s_lshl_b32 s0, s0, 9
	;;#ASMSTART
	v_cvt_f16_f32 v28, v28;

	;;#ASMEND
	s_add_nc_u64 s[0:1], s[2:3], s[0:1]
	global_store_b16 v32, v28, s[0:1]
	s_wait_xcnt 0x0
	;;#ASMSTART
	v_cvt_f16_f32 v28, v29;

	;;#ASMEND
	global_store_b16 v32, v28, s[0:1] offset:16
	;;#ASMSTART
	v_cvt_f16_f32 v26, v26;

	;;#ASMEND
	global_store_b16 v32, v26, s[0:1] offset:32
	s_wait_xcnt 0x0
	;;#ASMSTART
	v_cvt_f16_f32 v26, v27;

	;;#ASMEND
	global_store_b16 v32, v26, s[0:1] offset:48
	;;#ASMSTART
	v_cvt_f16_f32 v24, v24;

	;;#ASMEND
	global_store_b16 v32, v24, s[0:1] offset:64
	;; [unrolled: 11-line block ×11, first 2 shown]
	s_wait_xcnt 0x0
	;;#ASMSTART
	v_cvt_f16_f32 v4, v5;

	;;#ASMEND
	global_store_b16 v32, v4, s[0:1] offset:368
	s_wait_xcnt 0x0
	;;#ASMSTART
	v_cvt_f16_f32 v4, v6;

	;;#ASMEND
	global_store_b16 v32, v4, s[0:1] offset:384
	;; [unrolled: 6-line block ×3, first 2 shown]
	;;#ASMSTART
	v_cvt_f16_f32 v2, v2;

	;;#ASMEND
	global_store_b16 v32, v2, s[0:1] offset:416
	s_wait_xcnt 0x0
	;;#ASMSTART
	v_cvt_f16_f32 v2, v3;

	;;#ASMEND
	global_store_b16 v32, v2, s[0:1] offset:432
	;;#ASMSTART
	v_cvt_f16_f32 v0, v0;

	;;#ASMEND
	global_store_b16 v32, v0, s[0:1] offset:448
	s_wait_xcnt 0x0
	;;#ASMSTART
	v_cvt_f16_f32 v0, v1;

	;;#ASMEND
	global_store_b16 v32, v0, s[0:1] offset:464
	s_wait_xcnt 0x0
	;; [unrolled: 6-line block ×3, first 2 shown]
	;;#ASMSTART
	v_cvt_f16_f32 v0, v31;

	;;#ASMEND
	global_store_b16 v32, v0, s[0:1] offset:496
.LBB98_187:
	s_sendmsg sendmsg(MSG_DEALLOC_VGPRS)
	s_endpgm
.LBB98_188:
	ds_load_b32 v34, v32
	s_wait_dscnt 0x0
	v_add_f32_e32 v28, v28, v34
	s_or_b32 exec_lo, exec_lo, s0
	s_and_saveexec_b32 s0, vcc_lo
	s_cbranch_execz .LBB98_116
.LBB98_189:
	ds_load_b32 v34, v32 offset:32
	s_wait_dscnt 0x0
	v_add_f32_e32 v29, v29, v34
	s_or_b32 exec_lo, exec_lo, s0
	s_and_saveexec_b32 s0, vcc_lo
	s_cbranch_execz .LBB98_117
.LBB98_190:
	ds_load_b32 v34, v32 offset:64
	s_wait_dscnt 0x0
	v_add_f32_e32 v26, v26, v34
	s_or_b32 exec_lo, exec_lo, s0
	s_and_saveexec_b32 s0, vcc_lo
	s_cbranch_execz .LBB98_118
.LBB98_191:
	ds_load_b32 v34, v32 offset:96
	s_wait_dscnt 0x0
	v_add_f32_e32 v27, v27, v34
	s_or_b32 exec_lo, exec_lo, s0
	s_and_saveexec_b32 s0, vcc_lo
	s_cbranch_execz .LBB98_119
.LBB98_192:
	ds_load_b32 v34, v32 offset:128
	s_wait_dscnt 0x0
	v_add_f32_e32 v24, v24, v34
	s_or_b32 exec_lo, exec_lo, s0
	s_and_saveexec_b32 s0, vcc_lo
	s_cbranch_execz .LBB98_120
.LBB98_193:
	ds_load_b32 v34, v32 offset:160
	s_wait_dscnt 0x0
	v_add_f32_e32 v25, v25, v34
	s_or_b32 exec_lo, exec_lo, s0
	s_and_saveexec_b32 s0, vcc_lo
	s_cbranch_execz .LBB98_121
.LBB98_194:
	ds_load_b32 v34, v32 offset:192
	s_wait_dscnt 0x0
	v_add_f32_e32 v22, v22, v34
	s_or_b32 exec_lo, exec_lo, s0
	s_and_saveexec_b32 s0, vcc_lo
	s_cbranch_execz .LBB98_122
.LBB98_195:
	ds_load_b32 v34, v32 offset:224
	s_wait_dscnt 0x0
	v_add_f32_e32 v23, v23, v34
	s_or_b32 exec_lo, exec_lo, s0
	s_and_saveexec_b32 s0, vcc_lo
	s_cbranch_execz .LBB98_123
.LBB98_196:
	ds_load_b32 v34, v32 offset:256
	s_wait_dscnt 0x0
	v_add_f32_e32 v20, v20, v34
	s_or_b32 exec_lo, exec_lo, s0
	s_and_saveexec_b32 s0, vcc_lo
	s_cbranch_execz .LBB98_124
.LBB98_197:
	ds_load_b32 v34, v32 offset:288
	s_wait_dscnt 0x0
	v_add_f32_e32 v21, v21, v34
	s_or_b32 exec_lo, exec_lo, s0
	s_and_saveexec_b32 s0, vcc_lo
	s_cbranch_execz .LBB98_125
.LBB98_198:
	ds_load_b32 v34, v32 offset:320
	s_wait_dscnt 0x0
	v_add_f32_e32 v18, v18, v34
	s_or_b32 exec_lo, exec_lo, s0
	s_and_saveexec_b32 s0, vcc_lo
	s_cbranch_execz .LBB98_126
.LBB98_199:
	ds_load_b32 v34, v32 offset:352
	s_wait_dscnt 0x0
	v_add_f32_e32 v19, v19, v34
	s_or_b32 exec_lo, exec_lo, s0
	s_and_saveexec_b32 s0, vcc_lo
	s_cbranch_execz .LBB98_127
.LBB98_200:
	ds_load_b32 v34, v32 offset:384
	s_wait_dscnt 0x0
	v_add_f32_e32 v16, v16, v34
	s_or_b32 exec_lo, exec_lo, s0
	s_and_saveexec_b32 s0, vcc_lo
	s_cbranch_execz .LBB98_128
.LBB98_201:
	ds_load_b32 v34, v32 offset:416
	s_wait_dscnt 0x0
	v_add_f32_e32 v17, v17, v34
	s_or_b32 exec_lo, exec_lo, s0
	s_and_saveexec_b32 s0, vcc_lo
	s_cbranch_execz .LBB98_129
.LBB98_202:
	ds_load_b32 v34, v32 offset:448
	s_wait_dscnt 0x0
	v_add_f32_e32 v14, v14, v34
	s_or_b32 exec_lo, exec_lo, s0
	s_and_saveexec_b32 s0, vcc_lo
	s_cbranch_execz .LBB98_130
.LBB98_203:
	ds_load_b32 v34, v32 offset:480
	s_wait_dscnt 0x0
	v_add_f32_e32 v15, v15, v34
	s_or_b32 exec_lo, exec_lo, s0
	s_and_saveexec_b32 s0, vcc_lo
	s_cbranch_execz .LBB98_131
.LBB98_204:
	ds_load_b32 v34, v32 offset:512
	s_wait_dscnt 0x0
	v_add_f32_e32 v12, v12, v34
	s_or_b32 exec_lo, exec_lo, s0
	s_and_saveexec_b32 s0, vcc_lo
	s_cbranch_execz .LBB98_132
.LBB98_205:
	ds_load_b32 v34, v32 offset:544
	s_wait_dscnt 0x0
	v_add_f32_e32 v13, v13, v34
	s_or_b32 exec_lo, exec_lo, s0
	s_and_saveexec_b32 s0, vcc_lo
	s_cbranch_execz .LBB98_133
.LBB98_206:
	ds_load_b32 v34, v32 offset:576
	s_wait_dscnt 0x0
	v_add_f32_e32 v10, v10, v34
	s_or_b32 exec_lo, exec_lo, s0
	s_and_saveexec_b32 s0, vcc_lo
	s_cbranch_execz .LBB98_134
.LBB98_207:
	ds_load_b32 v34, v32 offset:608
	s_wait_dscnt 0x0
	v_add_f32_e32 v11, v11, v34
	s_or_b32 exec_lo, exec_lo, s0
	s_and_saveexec_b32 s0, vcc_lo
	s_cbranch_execz .LBB98_135
.LBB98_208:
	ds_load_b32 v34, v32 offset:640
	s_wait_dscnt 0x0
	v_add_f32_e32 v8, v8, v34
	s_or_b32 exec_lo, exec_lo, s0
	s_and_saveexec_b32 s0, vcc_lo
	s_cbranch_execz .LBB98_136
.LBB98_209:
	ds_load_b32 v34, v32 offset:672
	s_wait_dscnt 0x0
	v_add_f32_e32 v9, v9, v34
	s_or_b32 exec_lo, exec_lo, s0
	s_and_saveexec_b32 s0, vcc_lo
	s_cbranch_execz .LBB98_137
.LBB98_210:
	ds_load_b32 v34, v32 offset:704
	s_wait_dscnt 0x0
	v_add_f32_e32 v4, v4, v34
	s_or_b32 exec_lo, exec_lo, s0
	s_and_saveexec_b32 s0, vcc_lo
	s_cbranch_execz .LBB98_138
.LBB98_211:
	ds_load_b32 v34, v32 offset:736
	s_wait_dscnt 0x0
	v_add_f32_e32 v5, v5, v34
	s_or_b32 exec_lo, exec_lo, s0
	s_and_saveexec_b32 s0, vcc_lo
	s_cbranch_execz .LBB98_139
.LBB98_212:
	ds_load_b32 v34, v32 offset:768
	s_wait_dscnt 0x0
	v_add_f32_e32 v6, v6, v34
	s_or_b32 exec_lo, exec_lo, s0
	s_and_saveexec_b32 s0, vcc_lo
	s_cbranch_execz .LBB98_140
.LBB98_213:
	ds_load_b32 v34, v32 offset:800
	s_wait_dscnt 0x0
	v_add_f32_e32 v7, v7, v34
	s_or_b32 exec_lo, exec_lo, s0
	s_and_saveexec_b32 s0, vcc_lo
	s_cbranch_execz .LBB98_141
.LBB98_214:
	ds_load_b32 v34, v32 offset:832
	s_wait_dscnt 0x0
	v_add_f32_e32 v2, v2, v34
	s_or_b32 exec_lo, exec_lo, s0
	s_and_saveexec_b32 s0, vcc_lo
	s_cbranch_execz .LBB98_142
.LBB98_215:
	ds_load_b32 v34, v32 offset:864
	s_wait_dscnt 0x0
	v_add_f32_e32 v3, v3, v34
	s_or_b32 exec_lo, exec_lo, s0
	s_and_saveexec_b32 s0, vcc_lo
	s_cbranch_execz .LBB98_143
.LBB98_216:
	ds_load_b32 v34, v32 offset:896
	s_wait_dscnt 0x0
	v_add_f32_e32 v0, v0, v34
	s_or_b32 exec_lo, exec_lo, s0
	s_and_saveexec_b32 s0, vcc_lo
	s_cbranch_execz .LBB98_144
.LBB98_217:
	ds_load_b32 v34, v32 offset:928
	s_wait_dscnt 0x0
	v_add_f32_e32 v1, v1, v34
	s_or_b32 exec_lo, exec_lo, s0
	s_and_saveexec_b32 s0, vcc_lo
	s_cbranch_execz .LBB98_145
.LBB98_218:
	ds_load_b32 v34, v32 offset:960
	s_wait_dscnt 0x0
	v_add_f32_e32 v30, v30, v34
	s_or_b32 exec_lo, exec_lo, s0
	s_and_saveexec_b32 s0, vcc_lo
	s_cbranch_execnz .LBB98_146
	s_branch .LBB98_147
.LBB98_219:
	ds_load_b32 v33, v32
	s_wait_dscnt 0x0
	v_add_f32_e32 v28, v28, v33
	s_or_b32 exec_lo, exec_lo, s1
	s_and_saveexec_b32 s1, vcc_lo
	s_cbranch_execz .LBB98_153
.LBB98_220:
	ds_load_b32 v33, v32 offset:32
	s_wait_dscnt 0x0
	v_add_f32_e32 v29, v29, v33
	s_or_b32 exec_lo, exec_lo, s1
	s_and_saveexec_b32 s1, vcc_lo
	s_cbranch_execz .LBB98_154
.LBB98_221:
	ds_load_b32 v33, v32 offset:64
	s_wait_dscnt 0x0
	v_add_f32_e32 v26, v26, v33
	s_or_b32 exec_lo, exec_lo, s1
	s_and_saveexec_b32 s1, vcc_lo
	s_cbranch_execz .LBB98_155
.LBB98_222:
	ds_load_b32 v33, v32 offset:96
	s_wait_dscnt 0x0
	v_add_f32_e32 v27, v27, v33
	s_or_b32 exec_lo, exec_lo, s1
	s_and_saveexec_b32 s1, vcc_lo
	s_cbranch_execz .LBB98_156
.LBB98_223:
	ds_load_b32 v33, v32 offset:128
	s_wait_dscnt 0x0
	v_add_f32_e32 v24, v24, v33
	s_or_b32 exec_lo, exec_lo, s1
	s_and_saveexec_b32 s1, vcc_lo
	s_cbranch_execz .LBB98_157
.LBB98_224:
	ds_load_b32 v33, v32 offset:160
	s_wait_dscnt 0x0
	v_add_f32_e32 v25, v25, v33
	s_or_b32 exec_lo, exec_lo, s1
	s_and_saveexec_b32 s1, vcc_lo
	s_cbranch_execz .LBB98_158
.LBB98_225:
	ds_load_b32 v33, v32 offset:192
	s_wait_dscnt 0x0
	v_add_f32_e32 v22, v22, v33
	s_or_b32 exec_lo, exec_lo, s1
	s_and_saveexec_b32 s1, vcc_lo
	s_cbranch_execz .LBB98_159
.LBB98_226:
	ds_load_b32 v33, v32 offset:224
	s_wait_dscnt 0x0
	v_add_f32_e32 v23, v23, v33
	s_or_b32 exec_lo, exec_lo, s1
	s_and_saveexec_b32 s1, vcc_lo
	s_cbranch_execz .LBB98_160
.LBB98_227:
	ds_load_b32 v33, v32 offset:256
	s_wait_dscnt 0x0
	v_add_f32_e32 v20, v20, v33
	s_or_b32 exec_lo, exec_lo, s1
	s_and_saveexec_b32 s1, vcc_lo
	s_cbranch_execz .LBB98_161
.LBB98_228:
	ds_load_b32 v33, v32 offset:288
	s_wait_dscnt 0x0
	v_add_f32_e32 v21, v21, v33
	s_or_b32 exec_lo, exec_lo, s1
	s_and_saveexec_b32 s1, vcc_lo
	s_cbranch_execz .LBB98_162
.LBB98_229:
	ds_load_b32 v33, v32 offset:320
	s_wait_dscnt 0x0
	v_add_f32_e32 v18, v18, v33
	s_or_b32 exec_lo, exec_lo, s1
	s_and_saveexec_b32 s1, vcc_lo
	s_cbranch_execz .LBB98_163
.LBB98_230:
	ds_load_b32 v33, v32 offset:352
	s_wait_dscnt 0x0
	v_add_f32_e32 v19, v19, v33
	s_or_b32 exec_lo, exec_lo, s1
	s_and_saveexec_b32 s1, vcc_lo
	s_cbranch_execz .LBB98_164
.LBB98_231:
	ds_load_b32 v33, v32 offset:384
	s_wait_dscnt 0x0
	v_add_f32_e32 v16, v16, v33
	s_or_b32 exec_lo, exec_lo, s1
	s_and_saveexec_b32 s1, vcc_lo
	s_cbranch_execz .LBB98_165
.LBB98_232:
	ds_load_b32 v33, v32 offset:416
	s_wait_dscnt 0x0
	v_add_f32_e32 v17, v17, v33
	s_or_b32 exec_lo, exec_lo, s1
	s_and_saveexec_b32 s1, vcc_lo
	s_cbranch_execz .LBB98_166
.LBB98_233:
	ds_load_b32 v33, v32 offset:448
	s_wait_dscnt 0x0
	v_add_f32_e32 v14, v14, v33
	s_or_b32 exec_lo, exec_lo, s1
	s_and_saveexec_b32 s1, vcc_lo
	s_cbranch_execz .LBB98_167
.LBB98_234:
	ds_load_b32 v33, v32 offset:480
	s_wait_dscnt 0x0
	v_add_f32_e32 v15, v15, v33
	s_or_b32 exec_lo, exec_lo, s1
	s_and_saveexec_b32 s1, vcc_lo
	s_cbranch_execz .LBB98_168
.LBB98_235:
	ds_load_b32 v33, v32 offset:512
	s_wait_dscnt 0x0
	v_add_f32_e32 v12, v12, v33
	s_or_b32 exec_lo, exec_lo, s1
	s_and_saveexec_b32 s1, vcc_lo
	s_cbranch_execz .LBB98_169
.LBB98_236:
	ds_load_b32 v33, v32 offset:544
	s_wait_dscnt 0x0
	v_add_f32_e32 v13, v13, v33
	s_or_b32 exec_lo, exec_lo, s1
	s_and_saveexec_b32 s1, vcc_lo
	s_cbranch_execz .LBB98_170
.LBB98_237:
	ds_load_b32 v33, v32 offset:576
	s_wait_dscnt 0x0
	v_add_f32_e32 v10, v10, v33
	s_or_b32 exec_lo, exec_lo, s1
	s_and_saveexec_b32 s1, vcc_lo
	s_cbranch_execz .LBB98_171
.LBB98_238:
	ds_load_b32 v33, v32 offset:608
	s_wait_dscnt 0x0
	v_add_f32_e32 v11, v11, v33
	s_or_b32 exec_lo, exec_lo, s1
	s_and_saveexec_b32 s1, vcc_lo
	s_cbranch_execz .LBB98_172
.LBB98_239:
	ds_load_b32 v33, v32 offset:640
	s_wait_dscnt 0x0
	v_add_f32_e32 v8, v8, v33
	s_or_b32 exec_lo, exec_lo, s1
	s_and_saveexec_b32 s1, vcc_lo
	s_cbranch_execz .LBB98_173
.LBB98_240:
	ds_load_b32 v33, v32 offset:672
	s_wait_dscnt 0x0
	v_add_f32_e32 v9, v9, v33
	s_or_b32 exec_lo, exec_lo, s1
	s_and_saveexec_b32 s1, vcc_lo
	s_cbranch_execz .LBB98_174
.LBB98_241:
	ds_load_b32 v33, v32 offset:704
	s_wait_dscnt 0x0
	v_add_f32_e32 v4, v4, v33
	s_or_b32 exec_lo, exec_lo, s1
	s_and_saveexec_b32 s1, vcc_lo
	s_cbranch_execz .LBB98_175
.LBB98_242:
	ds_load_b32 v33, v32 offset:736
	s_wait_dscnt 0x0
	v_add_f32_e32 v5, v5, v33
	s_or_b32 exec_lo, exec_lo, s1
	s_and_saveexec_b32 s1, vcc_lo
	s_cbranch_execz .LBB98_176
.LBB98_243:
	ds_load_b32 v33, v32 offset:768
	s_wait_dscnt 0x0
	v_add_f32_e32 v6, v6, v33
	s_or_b32 exec_lo, exec_lo, s1
	s_and_saveexec_b32 s1, vcc_lo
	s_cbranch_execz .LBB98_177
.LBB98_244:
	ds_load_b32 v33, v32 offset:800
	s_wait_dscnt 0x0
	v_add_f32_e32 v7, v7, v33
	s_or_b32 exec_lo, exec_lo, s1
	s_and_saveexec_b32 s1, vcc_lo
	s_cbranch_execz .LBB98_178
.LBB98_245:
	ds_load_b32 v33, v32 offset:832
	s_wait_dscnt 0x0
	v_add_f32_e32 v2, v2, v33
	s_or_b32 exec_lo, exec_lo, s1
	s_and_saveexec_b32 s1, vcc_lo
	s_cbranch_execz .LBB98_179
.LBB98_246:
	ds_load_b32 v33, v32 offset:864
	s_wait_dscnt 0x0
	v_add_f32_e32 v3, v3, v33
	s_or_b32 exec_lo, exec_lo, s1
	s_and_saveexec_b32 s1, vcc_lo
	s_cbranch_execz .LBB98_180
.LBB98_247:
	ds_load_b32 v33, v32 offset:896
	s_wait_dscnt 0x0
	v_add_f32_e32 v0, v0, v33
	s_or_b32 exec_lo, exec_lo, s1
	s_and_saveexec_b32 s1, vcc_lo
	s_cbranch_execz .LBB98_181
.LBB98_248:
	ds_load_b32 v33, v32 offset:928
	s_wait_dscnt 0x0
	v_add_f32_e32 v1, v1, v33
	s_or_b32 exec_lo, exec_lo, s1
	s_and_saveexec_b32 s1, vcc_lo
	s_cbranch_execz .LBB98_182
.LBB98_249:
	ds_load_b32 v33, v32 offset:960
	s_wait_dscnt 0x0
	v_add_f32_e32 v30, v30, v33
	s_or_b32 exec_lo, exec_lo, s1
	s_and_saveexec_b32 s1, vcc_lo
	s_cbranch_execnz .LBB98_183
	s_branch .LBB98_184
	.section	.rodata,"a",@progbits
	.p2align	6, 0x0
	.amdhsa_kernel _ZN4vllm25paged_attention_v1_kernelIttLi256ELi32ELi128ELNS_18Fp8KVCacheDataTypeE0ELb1EEEvPT_PKS2_PKT0_S8_ifPKiSA_iPKfiiiSC_SC_iiiii
		.amdhsa_group_segment_fixed_size 544
		.amdhsa_private_segment_fixed_size 156
		.amdhsa_kernarg_size 384
		.amdhsa_user_sgpr_count 2
		.amdhsa_user_sgpr_dispatch_ptr 0
		.amdhsa_user_sgpr_queue_ptr 0
		.amdhsa_user_sgpr_kernarg_segment_ptr 1
		.amdhsa_user_sgpr_dispatch_id 0
		.amdhsa_user_sgpr_kernarg_preload_length 0
		.amdhsa_user_sgpr_kernarg_preload_offset 0
		.amdhsa_user_sgpr_private_segment_size 0
		.amdhsa_wavefront_size32 1
		.amdhsa_uses_dynamic_stack 0
		.amdhsa_enable_private_segment 1
		.amdhsa_system_sgpr_workgroup_id_x 1
		.amdhsa_system_sgpr_workgroup_id_y 1
		.amdhsa_system_sgpr_workgroup_id_z 1
		.amdhsa_system_sgpr_workgroup_info 0
		.amdhsa_system_vgpr_workitem_id 0
		.amdhsa_next_free_vgpr 128
		.amdhsa_next_free_sgpr 38
		.amdhsa_named_barrier_count 0
		.amdhsa_reserve_vcc 1
		.amdhsa_float_round_mode_32 0
		.amdhsa_float_round_mode_16_64 0
		.amdhsa_float_denorm_mode_32 3
		.amdhsa_float_denorm_mode_16_64 3
		.amdhsa_fp16_overflow 0
		.amdhsa_memory_ordered 1
		.amdhsa_forward_progress 1
		.amdhsa_inst_pref_size 187
		.amdhsa_round_robin_scheduling 0
		.amdhsa_exception_fp_ieee_invalid_op 0
		.amdhsa_exception_fp_denorm_src 0
		.amdhsa_exception_fp_ieee_div_zero 0
		.amdhsa_exception_fp_ieee_overflow 0
		.amdhsa_exception_fp_ieee_underflow 0
		.amdhsa_exception_fp_ieee_inexact 0
		.amdhsa_exception_int_div_zero 0
	.end_amdhsa_kernel
	.section	.text._ZN4vllm25paged_attention_v1_kernelIttLi256ELi32ELi128ELNS_18Fp8KVCacheDataTypeE0ELb1EEEvPT_PKS2_PKT0_S8_ifPKiSA_iPKfiiiSC_SC_iiiii,"axG",@progbits,_ZN4vllm25paged_attention_v1_kernelIttLi256ELi32ELi128ELNS_18Fp8KVCacheDataTypeE0ELb1EEEvPT_PKS2_PKT0_S8_ifPKiSA_iPKfiiiSC_SC_iiiii,comdat
.Lfunc_end98:
	.size	_ZN4vllm25paged_attention_v1_kernelIttLi256ELi32ELi128ELNS_18Fp8KVCacheDataTypeE0ELb1EEEvPT_PKS2_PKT0_S8_ifPKiSA_iPKfiiiSC_SC_iiiii, .Lfunc_end98-_ZN4vllm25paged_attention_v1_kernelIttLi256ELi32ELi128ELNS_18Fp8KVCacheDataTypeE0ELb1EEEvPT_PKS2_PKT0_S8_ifPKiSA_iPKfiiiSC_SC_iiiii
                                        ; -- End function
	.set _ZN4vllm25paged_attention_v1_kernelIttLi256ELi32ELi128ELNS_18Fp8KVCacheDataTypeE0ELb1EEEvPT_PKS2_PKT0_S8_ifPKiSA_iPKfiiiSC_SC_iiiii.num_vgpr, 128
	.set _ZN4vllm25paged_attention_v1_kernelIttLi256ELi32ELi128ELNS_18Fp8KVCacheDataTypeE0ELb1EEEvPT_PKS2_PKT0_S8_ifPKiSA_iPKfiiiSC_SC_iiiii.num_agpr, 0
	.set _ZN4vllm25paged_attention_v1_kernelIttLi256ELi32ELi128ELNS_18Fp8KVCacheDataTypeE0ELb1EEEvPT_PKS2_PKT0_S8_ifPKiSA_iPKfiiiSC_SC_iiiii.numbered_sgpr, 38
	.set _ZN4vllm25paged_attention_v1_kernelIttLi256ELi32ELi128ELNS_18Fp8KVCacheDataTypeE0ELb1EEEvPT_PKS2_PKT0_S8_ifPKiSA_iPKfiiiSC_SC_iiiii.num_named_barrier, 0
	.set _ZN4vllm25paged_attention_v1_kernelIttLi256ELi32ELi128ELNS_18Fp8KVCacheDataTypeE0ELb1EEEvPT_PKS2_PKT0_S8_ifPKiSA_iPKfiiiSC_SC_iiiii.private_seg_size, 156
	.set _ZN4vllm25paged_attention_v1_kernelIttLi256ELi32ELi128ELNS_18Fp8KVCacheDataTypeE0ELb1EEEvPT_PKS2_PKT0_S8_ifPKiSA_iPKfiiiSC_SC_iiiii.uses_vcc, 1
	.set _ZN4vllm25paged_attention_v1_kernelIttLi256ELi32ELi128ELNS_18Fp8KVCacheDataTypeE0ELb1EEEvPT_PKS2_PKT0_S8_ifPKiSA_iPKfiiiSC_SC_iiiii.uses_flat_scratch, 1
	.set _ZN4vllm25paged_attention_v1_kernelIttLi256ELi32ELi128ELNS_18Fp8KVCacheDataTypeE0ELb1EEEvPT_PKS2_PKT0_S8_ifPKiSA_iPKfiiiSC_SC_iiiii.has_dyn_sized_stack, 0
	.set _ZN4vllm25paged_attention_v1_kernelIttLi256ELi32ELi128ELNS_18Fp8KVCacheDataTypeE0ELb1EEEvPT_PKS2_PKT0_S8_ifPKiSA_iPKfiiiSC_SC_iiiii.has_recursion, 0
	.set _ZN4vllm25paged_attention_v1_kernelIttLi256ELi32ELi128ELNS_18Fp8KVCacheDataTypeE0ELb1EEEvPT_PKS2_PKT0_S8_ifPKiSA_iPKfiiiSC_SC_iiiii.has_indirect_call, 0
	.section	.AMDGPU.csdata,"",@progbits
; Kernel info:
; codeLenInByte = 23884
; TotalNumSgprs: 40
; NumVgprs: 128
; ScratchSize: 156
; MemoryBound: 0
; FloatMode: 240
; IeeeMode: 1
; LDSByteSize: 544 bytes/workgroup (compile time only)
; SGPRBlocks: 0
; VGPRBlocks: 7
; NumSGPRsForWavesPerEU: 40
; NumVGPRsForWavesPerEU: 128
; NamedBarCnt: 0
; Occupancy: 8
; WaveLimiterHint : 1
; COMPUTE_PGM_RSRC2:SCRATCH_EN: 1
; COMPUTE_PGM_RSRC2:USER_SGPR: 2
; COMPUTE_PGM_RSRC2:TRAP_HANDLER: 0
; COMPUTE_PGM_RSRC2:TGID_X_EN: 1
; COMPUTE_PGM_RSRC2:TGID_Y_EN: 1
; COMPUTE_PGM_RSRC2:TGID_Z_EN: 1
; COMPUTE_PGM_RSRC2:TIDIG_COMP_CNT: 0
	.section	.text._ZN4vllm25paged_attention_v1_kernelIttLi32ELi32ELi128ELNS_18Fp8KVCacheDataTypeE0ELb0EEEvPT_PKS2_PKT0_S8_ifPKiSA_iPKfiiiSC_SC_iiiii,"axG",@progbits,_ZN4vllm25paged_attention_v1_kernelIttLi32ELi32ELi128ELNS_18Fp8KVCacheDataTypeE0ELb0EEEvPT_PKS2_PKT0_S8_ifPKiSA_iPKfiiiSC_SC_iiiii,comdat
	.protected	_ZN4vllm25paged_attention_v1_kernelIttLi32ELi32ELi128ELNS_18Fp8KVCacheDataTypeE0ELb0EEEvPT_PKS2_PKT0_S8_ifPKiSA_iPKfiiiSC_SC_iiiii ; -- Begin function _ZN4vllm25paged_attention_v1_kernelIttLi32ELi32ELi128ELNS_18Fp8KVCacheDataTypeE0ELb0EEEvPT_PKS2_PKT0_S8_ifPKiSA_iPKfiiiSC_SC_iiiii
	.globl	_ZN4vllm25paged_attention_v1_kernelIttLi32ELi32ELi128ELNS_18Fp8KVCacheDataTypeE0ELb0EEEvPT_PKS2_PKT0_S8_ifPKiSA_iPKfiiiSC_SC_iiiii
	.p2align	8
	.type	_ZN4vllm25paged_attention_v1_kernelIttLi32ELi32ELi128ELNS_18Fp8KVCacheDataTypeE0ELb0EEEvPT_PKS2_PKT0_S8_ifPKiSA_iPKfiiiSC_SC_iiiii,@function
_ZN4vllm25paged_attention_v1_kernelIttLi32ELi32ELi128ELNS_18Fp8KVCacheDataTypeE0ELb0EEEvPT_PKS2_PKT0_S8_ifPKiSA_iPKfiiiSC_SC_iiiii: ; @_ZN4vllm25paged_attention_v1_kernelIttLi32ELi32ELi128ELNS_18Fp8KVCacheDataTypeE0ELb0EEEvPT_PKS2_PKT0_S8_ifPKiSA_iPKfiiiSC_SC_iiiii
; %bb.0:
	s_load_b64 s[6:7], s[0:1], 0x20
	s_bfe_u32 s3, ttmp6, 0x4000c
	s_bfe_u32 s5, ttmp6, 0x40010
	s_and_b32 s4, ttmp7, 0xffff
	s_add_co_i32 s3, s3, 1
	s_add_co_i32 s5, s5, 1
	s_and_b32 s2, ttmp6, 15
	s_bfe_u32 s8, ttmp6, 0x40004
	s_mul_i32 s3, ttmp9, s3
	s_mul_i32 s5, s4, s5
	s_getreg_b32 s18, hwreg(HW_REG_IB_STS2, 6, 4)
	s_add_co_i32 s2, s2, s3
	s_add_co_i32 s8, s8, s5
	s_cmp_eq_u32 s18, 0
	s_clause 0x1
	s_load_b32 s19, s[0:1], 0x80
	s_load_b64 s[10:11], s[0:1], 0x30
	s_cselect_b32 s20, s4, s8
	s_cselect_b32 s8, ttmp9, s2
	s_wait_kmcnt 0x0
	s_abs_i32 s2, s6
	s_delay_alu instid0(SALU_CYCLE_1) | instskip(SKIP_1) | instid1(SALU_CYCLE_2)
	s_cvt_f32_u32 s3, s2
	s_sub_co_i32 s4, 0, s2
	v_rcp_iflag_f32_e32 v1, s3
	s_abs_i32 s5, s19
	v_nop
	s_delay_alu instid0(TRANS32_DEP_1) | instskip(SKIP_1) | instid1(SALU_CYCLE_3)
	v_readfirstlane_b32 s3, v1
	s_mul_f32 s3, s3, 0x4f7ffffe
	s_cvt_u32_f32 s3, s3
	s_delay_alu instid0(SALU_CYCLE_3) | instskip(NEXT) | instid1(SALU_CYCLE_1)
	s_mul_i32 s4, s4, s3
	s_mul_hi_u32 s4, s3, s4
	s_delay_alu instid0(SALU_CYCLE_1) | instskip(SKIP_4) | instid1(SALU_CYCLE_1)
	s_add_co_i32 s3, s3, s4
	s_xor_b32 s4, s19, s6
	s_mul_hi_u32 s3, s5, s3
	s_ashr_i32 s4, s4, 31
	s_mul_i32 s6, s3, s2
	s_sub_co_i32 s5, s5, s6
	s_add_co_i32 s6, s3, 1
	s_sub_co_i32 s9, s5, s2
	s_cmp_ge_u32 s5, s2
	s_cselect_b32 s3, s6, s3
	s_cselect_b32 s5, s9, s5
	s_add_co_i32 s6, s3, 1
	s_cmp_ge_u32 s5, s2
	s_cselect_b32 s2, s6, s3
	s_mov_b32 s3, 0
	s_xor_b32 s2, s2, s4
	s_mov_b32 s13, s3
	s_sub_co_i32 s15, s2, s4
	s_load_b64 s[4:5], s[0:1], 0x40
	s_abs_i32 s14, s15
	s_mov_b32 s23, s3
	s_cvt_f32_u32 s2, s14
	s_delay_alu instid0(SALU_CYCLE_3) | instskip(SKIP_1) | instid1(TRANS32_DEP_1)
	v_rcp_iflag_f32_e32 v1, s2
	v_nop
	v_readfirstlane_b32 s2, v1
	s_mul_f32 s2, s2, 0x4f7ffffe
	s_delay_alu instid0(SALU_CYCLE_3) | instskip(SKIP_1) | instid1(SALU_CYCLE_2)
	s_cvt_u32_f32 s6, s2
	s_sub_co_i32 s2, 0, s14
	s_mul_i32 s2, s2, s6
	s_delay_alu instid0(SALU_CYCLE_1)
	s_mul_hi_u32 s9, s6, s2
	s_abs_i32 s2, s8
	s_add_co_i32 s12, s6, s9
	s_wait_kmcnt 0x0
	s_cmp_eq_u64 s[4:5], 0
	s_cbranch_scc1 .LBB99_2
; %bb.1:
	s_ashr_i32 s9, s8, 31
	s_delay_alu instid0(SALU_CYCLE_1) | instskip(NEXT) | instid1(SALU_CYCLE_1)
	s_lshl_b64 s[16:17], s[8:9], 2
	s_add_nc_u64 s[4:5], s[4:5], s[16:17]
	s_load_b32 s23, s[4:5], 0x0
.LBB99_2:
	s_load_b32 s21, s[10:11], s20 offset:0x0 scale_offset
	s_wait_xcnt 0x0
	s_load_b96 s[4:6], s[0:1], 0x48
	v_lshlrev_b32_e32 v1, 4, v0
	s_ashr_i32 s10, s8, 31
	s_ashr_i32 s11, s15, 31
	s_mul_u64 s[12:13], s[2:3], s[12:13]
	s_lshl_b32 s8, s8, 5
	s_mov_b32 s3, exec_lo
	v_cmpx_gt_u32_e32 4, v0
	s_cbranch_execz .LBB99_4
; %bb.3:
	s_load_b64 s[16:17], s[0:1], 0x8
	s_wait_kmcnt 0x0
	s_mul_i32 s24, s4, s20
	s_ashr_i32 s9, s8, 31
	s_ashr_i32 s25, s24, 31
	s_delay_alu instid0(SALU_CYCLE_1) | instskip(NEXT) | instid1(SALU_CYCLE_1)
	s_lshl_b64 s[24:25], s[24:25], 1
	s_add_nc_u64 s[16:17], s[16:17], s[24:25]
	s_lshl_b64 s[24:25], s[8:9], 1
	s_delay_alu instid0(SALU_CYCLE_1)
	s_add_nc_u64 s[16:17], s[16:17], s[24:25]
	global_load_b128 v[2:5], v0, s[16:17] scale_offset
	s_wait_loadcnt 0x0
	ds_store_b128 v1, v[2:5]
.LBB99_4:
	s_or_b32 exec_lo, exec_lo, s3
	s_wait_kmcnt 0x0
	s_add_co_i32 s3, s21, 31
	s_load_b32 s4, s[0:1], 0x38
	s_ashr_i32 s9, s3, 31
	s_xor_b32 s12, s10, s11
	s_lshr_b32 s9, s9, 27
	s_mul_i32 s10, s13, s14
	s_add_co_i32 s3, s3, s9
	s_sub_co_i32 s2, s2, s10
	s_clause 0x1
	s_load_b64 s[10:11], s[0:1], 0x28
	s_load_b32 s9, s[0:1], 0x88
	s_ashr_i32 s22, s3, 5
	s_add_co_i32 s3, s13, 1
	s_sub_co_i32 s15, s2, s14
	s_cmp_ge_u32 s2, s14
	v_dual_lshrrev_b32 v28, 5, v0 :: v_dual_bitop2_b32 v29, 31, v0 bitop3:0x40
	s_cselect_b32 s3, s3, s13
	s_cselect_b32 s2, s15, s2
	s_add_co_i32 s13, s3, 1
	s_cmp_ge_u32 s2, s14
	v_dual_mov_b32 v22, 0xff7fffff :: v_dual_lshlrev_b32 v31, 2, v29
	s_cselect_b32 s2, s13, s3
	v_lshrrev_b32_e32 v30, 3, v0
	s_xor_b32 s2, s2, s12
	s_wait_dscnt 0x0
	s_sub_co_i32 s3, s2, s12
	v_cmp_gt_i32_e64 s2, s22, v28
	s_wait_kmcnt 0x0
	s_mul_i32 s12, s4, s20
	s_mul_i32 s14, s3, s6
	s_ashr_i32 s13, s12, 31
	s_barrier_signal -1
	s_barrier_wait -1
	s_and_saveexec_b32 s6, s2
	s_cbranch_execz .LBB99_8
; %bb.5:
	s_load_b64 s[24:25], s[0:1], 0x10
	s_ashr_i32 s15, s14, 31
	v_dual_mov_b32 v23, 0 :: v_dual_lshlrev_b32 v22, 4, v29
	s_ashr_i32 s17, s5, 31
	s_lshl_b64 s[26:27], s[14:15], 1
	s_cmp_neq_f32 s23, 0
	v_lshl_or_b32 v2, v28, 7, v31
	v_lshl_or_b32 v32, v28, 5, v29
	v_mov_b32_e32 v34, v28
	s_cselect_b32 vcc_lo, -1, 0
	s_mov_b32 s16, s5
	v_add_nc_u32_e32 v33, 0x60, v2
	s_mov_b32 s15, 0
	s_wait_kmcnt 0x0
	s_add_nc_u64 s[24:25], s[24:25], s[26:27]
	s_delay_alu instid0(SALU_CYCLE_1) | instskip(SKIP_2) | instid1(SALU_CYCLE_1)
	v_add_nc_u64_e32 v[24:25], s[24:25], v[22:23]
	v_and_b32_e32 v22, 0x7c, v30
	s_lshl_b64 s[24:25], s[12:13], 2
	s_add_nc_u64 s[24:25], s[10:11], s[24:25]
	s_delay_alu instid0(VALU_DEP_1) | instid1(SALU_CYCLE_1)
	v_add_nc_u64_e32 v[26:27], s[24:25], v[22:23]
	v_mov_b32_e32 v22, 0xff7fffff
	s_sub_co_i32 s24, 1, s21
.LBB99_6:                               ; =>This Inner Loop Header: Depth=1
	global_load_b32 v2, v[26:27], off
	v_cmp_gt_i32_e64 s3, s21, v32
	s_wait_xcnt 0x0
	v_add_nc_u64_e32 v[26:27], 16, v[26:27]
	v_add_nc_u32_e32 v35, s24, v32
	v_add_nc_u32_e32 v32, 0x80, v32
	s_delay_alu instid0(VALU_DEP_2) | instskip(SKIP_2) | instid1(VALU_DEP_1)
	v_cvt_f32_i32_e32 v35, v35
	s_wait_loadcnt 0x0
	v_ashrrev_i32_e32 v3, 31, v2
	v_mul_u64_e32 v[2:3], s[16:17], v[2:3]
	s_delay_alu instid0(VALU_DEP_1)
	v_lshl_add_u64 v[18:19], v[2:3], 1, v[24:25]
	s_clause 0x3
	global_load_b128 v[14:17], v[18:19], off
	global_load_b128 v[10:13], v[18:19], off offset:512
	global_load_b128 v[6:9], v[18:19], off offset:1024
	;; [unrolled: 1-line block ×3, first 2 shown]
	s_wait_xcnt 0x0
	ds_load_b128 v[18:21], v23
	s_wait_dscnt 0x0
	v_dual_lshrrev_b32 v36, 16, v18 :: v_dual_lshrrev_b32 v37, 16, v19
	v_and_b32_e32 v18, 0xffff, v18
	v_and_b32_e32 v38, 0xffff, v19
	v_dual_lshrrev_b32 v39, 16, v20 :: v_dual_lshrrev_b32 v40, 16, v21
	v_and_b32_e32 v20, 0xffff, v20
	v_and_b32_e32 v21, 0xffff, v21
	;;#ASMSTART
	v_cvt_f32_f16 v18, v18;
	;;#ASMEND
	;;#ASMSTART
	v_cvt_f32_f16 v19, v36;
	;;#ASMEND
	s_wait_loadcnt 0x3
	v_dual_lshrrev_b32 v36, 16, v14 :: v_dual_lshrrev_b32 v41, 16, v15
	v_and_b32_e32 v14, 0xffff, v14
	v_and_b32_e32 v15, 0xffff, v15
	v_dual_lshrrev_b32 v42, 16, v16 :: v_dual_lshrrev_b32 v43, 16, v17
	v_and_b32_e32 v16, 0xffff, v16
	v_and_b32_e32 v44, 0xffff, v17
	s_wait_loadcnt 0x2
	v_dual_lshrrev_b32 v45, 16, v10 :: v_dual_lshrrev_b32 v47, 16, v11
	v_and_b32_e32 v46, 0xffff, v10
	v_and_b32_e32 v48, 0xffff, v11
	v_dual_lshrrev_b32 v49, 16, v12 :: v_dual_lshrrev_b32 v52, 16, v13
	v_and_b32_e32 v50, 0xffff, v12
	v_and_b32_e32 v51, 0xffff, v13
	;; [unrolled: 7-line block ×4, first 2 shown]
	;;#ASMSTART
	v_cvt_f32_f16 v6, v14;
	;;#ASMEND
	;;#ASMSTART
	v_cvt_f32_f16 v7, v36;
	;;#ASMEND
	;;#ASMSTART
	v_cvt_f32_f16 v9, v38;
	;;#ASMEND
	;;#ASMSTART
	v_cvt_f32_f16 v8, v37;
	;;#ASMEND
	;;#ASMSTART
	v_cvt_f32_f16 v11, v15;
	;;#ASMEND
	;;#ASMSTART
	v_cvt_f32_f16 v10, v41;
	;;#ASMEND
	;;#ASMSTART
	v_cvt_f32_f16 v13, v20;
	;;#ASMEND
	;;#ASMSTART
	v_cvt_f32_f16 v12, v39;
	;;#ASMEND
	;;#ASMSTART
	v_cvt_f32_f16 v15, v16;
	;;#ASMEND
	;;#ASMSTART
	v_cvt_f32_f16 v14, v42;
	;;#ASMEND
	;;#ASMSTART
	v_cvt_f32_f16 v17, v21;
	;;#ASMEND
	;;#ASMSTART
	v_cvt_f32_f16 v16, v40;
	;;#ASMEND
	;;#ASMSTART
	v_cvt_f32_f16 v21, v44;
	;;#ASMEND
	;;#ASMSTART
	v_cvt_f32_f16 v20, v43;
	;;#ASMEND
	ds_load_b128 v[2:5], v23 offset:16
	s_wait_dscnt 0x0
	v_dual_lshrrev_b32 v37, 16, v2 :: v_dual_lshrrev_b32 v40, 16, v3
	v_and_b32_e32 v2, 0xffff, v2
	v_and_b32_e32 v3, 0xffff, v3
	v_dual_lshrrev_b32 v44, 16, v4 :: v_dual_lshrrev_b32 v69, 16, v5
	v_and_b32_e32 v4, 0xffff, v4
	v_and_b32_e32 v5, 0xffff, v5
	;;#ASMSTART
	v_cvt_f32_f16 v36, v2;
	;;#ASMEND
	;;#ASMSTART
	v_cvt_f32_f16 v37, v37;
	;;#ASMEND
	;; [unrolled: 3-line block ×16, first 2 shown]
	ds_load_b128 v[2:5], v23 offset:32
	v_pk_mul_f32 v[36:37], v[36:37], v[38:39]
	v_pk_mul_f32 v[38:39], v[40:41], v[42:43]
	;; [unrolled: 1-line block ×4, first 2 shown]
	s_delay_alu instid0(VALU_DEP_4) | instskip(NEXT) | instid1(VALU_DEP_4)
	v_pk_fma_f32 v[6:7], v[18:19], v[6:7], v[36:37]
	v_pk_fma_f32 v[8:9], v[8:9], v[10:11], v[38:39]
	s_delay_alu instid0(VALU_DEP_4) | instskip(NEXT) | instid1(VALU_DEP_4)
	v_pk_fma_f32 v[10:11], v[12:13], v[14:15], v[40:41]
	v_pk_fma_f32 v[16:17], v[16:17], v[20:21], v[42:43]
	s_wait_dscnt 0x0
	v_dual_lshrrev_b32 v13, 16, v2 :: v_dual_lshrrev_b32 v18, 16, v3
	v_and_b32_e32 v2, 0xffff, v2
	v_and_b32_e32 v3, 0xffff, v3
	v_dual_lshrrev_b32 v38, 16, v4 :: v_dual_lshrrev_b32 v44, 16, v5
	v_and_b32_e32 v4, 0xffff, v4
	v_and_b32_e32 v5, 0xffff, v5
	;;#ASMSTART
	v_cvt_f32_f16 v12, v2;
	;;#ASMEND
	;;#ASMSTART
	v_cvt_f32_f16 v13, v13;
	;;#ASMEND
	;;#ASMSTART
	v_cvt_f32_f16 v14, v54;
	;;#ASMEND
	;;#ASMSTART
	v_cvt_f32_f16 v15, v53;
	;;#ASMEND
	;;#ASMSTART
	v_cvt_f32_f16 v19, v3;
	;;#ASMEND
	;;#ASMSTART
	v_cvt_f32_f16 v18, v18;
	;;#ASMEND
	;;#ASMSTART
	v_cvt_f32_f16 v37, v56;
	;;#ASMEND
	;;#ASMSTART
	v_cvt_f32_f16 v36, v55;
	;;#ASMEND
	;;#ASMSTART
	v_cvt_f32_f16 v39, v4;
	;;#ASMEND
	;;#ASMSTART
	v_cvt_f32_f16 v38, v38;
	;;#ASMEND
	;;#ASMSTART
	v_cvt_f32_f16 v41, v58;
	;;#ASMEND
	;;#ASMSTART
	v_cvt_f32_f16 v40, v57;
	;;#ASMEND
	;;#ASMSTART
	v_cvt_f32_f16 v45, v5;
	;;#ASMEND
	;;#ASMSTART
	v_cvt_f32_f16 v44, v44;
	;;#ASMEND
	;;#ASMSTART
	v_cvt_f32_f16 v47, v60;
	;;#ASMEND
	;;#ASMSTART
	v_cvt_f32_f16 v46, v59;
	;;#ASMEND
	ds_load_b128 v[2:5], v23 offset:48
	v_pk_fma_f32 v[6:7], v[12:13], v[14:15], v[6:7]
	v_pk_fma_f32 v[12:13], v[44:45], v[46:47], v[16:17]
	;; [unrolled: 1-line block ×4, first 2 shown]
	s_wait_dscnt 0x0
	v_dual_lshrrev_b32 v14, 16, v2 :: v_dual_lshrrev_b32 v16, 16, v3
	v_and_b32_e32 v2, 0xffff, v2
	v_and_b32_e32 v15, 0xffff, v3
	;;#ASMSTART
	v_cvt_f32_f16 v2, v2;
	;;#ASMEND
	;;#ASMSTART
	v_cvt_f32_f16 v3, v14;
	;;#ASMEND
	v_dual_lshrrev_b32 v18, 16, v4 :: v_dual_lshrrev_b32 v20, 16, v5
	v_and_b32_e32 v19, 0xffff, v4
	v_and_b32_e32 v21, 0xffff, v5
	;;#ASMSTART
	v_cvt_f32_f16 v4, v62;
	;;#ASMEND
	;;#ASMSTART
	v_cvt_f32_f16 v5, v61;
	;;#ASMEND
	v_pk_fma_f32 v[2:3], v[2:3], v[4:5], v[6:7]
	;;#ASMSTART
	v_cvt_f32_f16 v15, v15;
	;;#ASMEND
	;;#ASMSTART
	v_cvt_f32_f16 v14, v16;
	;;#ASMEND
	;; [unrolled: 3-line block ×4, first 2 shown]
	v_pk_fma_f32 v[4:5], v[14:15], v[16:17], v[8:9]
	v_add_f32_e32 v6, v2, v3
	;;#ASMSTART
	v_cvt_f32_f16 v19, v19;
	;;#ASMEND
	;;#ASMSTART
	v_cvt_f32_f16 v18, v18;
	;;#ASMEND
	;;#ASMSTART
	v_cvt_f32_f16 v3, v66;
	;;#ASMEND
	;;#ASMSTART
	v_cvt_f32_f16 v2, v65;
	;;#ASMEND
	v_add_f32_e32 v6, v6, v5
	v_pk_fma_f32 v[2:3], v[18:19], v[2:3], v[10:11]
	;;#ASMSTART
	v_cvt_f32_f16 v5, v21;
	;;#ASMEND
	s_delay_alu instid0(VALU_DEP_2) | instskip(SKIP_2) | instid1(VALU_DEP_1)
	v_add_f32_e32 v6, v4, v6
	;;#ASMSTART
	v_cvt_f32_f16 v4, v20;
	;;#ASMEND
	;;#ASMSTART
	v_cvt_f32_f16 v7, v68;
	;;#ASMEND
	v_add_f32_e32 v3, v6, v3
	;;#ASMSTART
	v_cvt_f32_f16 v6, v67;
	;;#ASMEND
	v_pk_fma_f32 v[4:5], v[4:5], v[6:7], v[12:13]
	s_delay_alu instid0(VALU_DEP_2) | instskip(NEXT) | instid1(VALU_DEP_1)
	v_add_f32_e32 v2, v2, v3
	v_dual_mul_f32 v3, s23, v35 :: v_dual_add_f32 v2, v2, v5
	s_delay_alu instid0(VALU_DEP_1) | instskip(SKIP_1) | instid1(VALU_DEP_2)
	v_dual_cndmask_b32 v3, 0, v3 :: v_dual_add_f32 v2, v4, v2
	v_max_num_f32_e32 v4, v22, v22
	v_fmac_f32_e32 v3, s7, v2
	s_delay_alu instid0(VALU_DEP_1) | instskip(NEXT) | instid1(VALU_DEP_3)
	v_dual_add_nc_u32 v34, 4, v34 :: v_dual_cndmask_b32 v2, 0, v3, s3
	v_max_num_f32_e32 v3, v4, v3
	s_delay_alu instid0(VALU_DEP_2) | instskip(SKIP_4) | instid1(SALU_CYCLE_1)
	v_cmp_le_i32_e64 s4, s22, v34
	ds_store_b32 v33, v2
	v_cndmask_b32_e64 v22, v22, v3, s3
	v_add_nc_u32_e32 v33, 0x200, v33
	s_or_b32 s15, s4, s15
	s_and_not1_b32 exec_lo, exec_lo, s15
	s_cbranch_execnz .LBB99_6
; %bb.7:
	s_or_b32 exec_lo, exec_lo, s15
.LBB99_8:
	s_delay_alu instid0(SALU_CYCLE_1) | instskip(SKIP_4) | instid1(VALU_DEP_1)
	s_or_b32 exec_lo, exec_lo, s6
	v_mbcnt_lo_u32_b32 v5, -1, 0
	s_clause 0x1
	s_load_b64 s[6:7], s[0:1], 0x0
	s_load_b64 s[16:17], s[0:1], 0x18
	v_dual_max_num_f32 v6, v22, v22 :: v_dual_bitop2_b32 v2, 16, v5 bitop3:0x14
	v_xor_b32_e32 v4, 8, v5
	s_delay_alu instid0(VALU_DEP_2) | instskip(SKIP_1) | instid1(VALU_DEP_3)
	v_cmp_gt_i32_e32 vcc_lo, 32, v2
	v_cndmask_b32_e32 v2, v5, v2, vcc_lo
	v_cmp_gt_i32_e32 vcc_lo, 32, v4
	s_delay_alu instid0(VALU_DEP_2) | instskip(SKIP_3) | instid1(VALU_DEP_1)
	v_dual_lshlrev_b32 v2, 2, v2 :: v_dual_cndmask_b32 v4, v5, v4, vcc_lo
	ds_bpermute_b32 v3, v2, v22
	s_wait_dscnt 0x0
	v_dual_max_num_f32 v7, v3, v3 :: v_dual_lshlrev_b32 v3, 2, v4
	v_dual_max_num_f32 v6, v6, v7 :: v_dual_bitop2_b32 v7, 4, v5 bitop3:0x14
	ds_bpermute_b32 v4, v3, v6
	v_cmp_gt_i32_e32 vcc_lo, 32, v7
	s_wait_dscnt 0x0
	v_dual_cndmask_b32 v7, v5, v7 :: v_dual_max_num_f32 v8, v4, v4
	s_delay_alu instid0(VALU_DEP_1) | instskip(SKIP_3) | instid1(VALU_DEP_1)
	v_dual_lshlrev_b32 v4, 2, v7 :: v_dual_max_num_f32 v6, v6, v8
	ds_bpermute_b32 v7, v4, v6
	s_wait_dscnt 0x0
	v_dual_max_num_f32 v7, v7, v7 :: v_dual_bitop2_b32 v8, 2, v5 bitop3:0x14
	v_cmp_gt_i32_e32 vcc_lo, 32, v8
	s_delay_alu instid0(VALU_DEP_2) | instskip(NEXT) | instid1(VALU_DEP_1)
	v_dual_max_num_f32 v6, v6, v7 :: v_dual_cndmask_b32 v8, v5, v8, vcc_lo
	v_dual_lshlrev_b32 v17, 2, v8 :: v_dual_bitop2_b32 v8, 1, v5 bitop3:0x14
	ds_bpermute_b32 v7, v17, v6
	v_cmp_gt_i32_e32 vcc_lo, 32, v8
	v_cndmask_b32_e32 v5, v5, v8, vcc_lo
	v_cmp_eq_u32_e32 vcc_lo, 0, v29
	s_delay_alu instid0(VALU_DEP_2) | instskip(SKIP_2) | instid1(VALU_DEP_1)
	v_dual_lshlrev_b32 v18, 2, v5 :: v_dual_lshlrev_b32 v5, 2, v28
	s_wait_dscnt 0x0
	v_max_num_f32_e32 v7, v7, v7
	v_max_num_f32_e32 v6, v6, v7
	ds_bpermute_b32 v7, v18, v6
	s_wait_xcnt 0x0
	s_and_saveexec_b32 s0, vcc_lo
	s_cbranch_execz .LBB99_10
; %bb.9:
	s_wait_dscnt 0x0
	v_dual_max_num_f32 v7, v7, v7 :: v_dual_max_num_f32 v6, v6, v6
	s_delay_alu instid0(VALU_DEP_1)
	v_max_num_f32_e32 v6, v6, v7
	ds_store_b32 v5, v6 offset:64
.LBB99_10:
	s_or_b32 exec_lo, exec_lo, s0
	v_cmp_gt_u32_e64 s0, 4, v29
	v_mov_b32_e32 v6, 0xff7fffff
	s_wait_dscnt 0x0
	s_barrier_signal -1
	s_barrier_wait -1
	s_and_saveexec_b32 s1, s0
; %bb.11:
	ds_load_b32 v6, v31 offset:64
; %bb.12:
	s_or_b32 exec_lo, exec_lo, s1
	s_wait_dscnt 0x0
	ds_bpermute_b32 v7, v17, v6
	v_max_num_f32_e32 v6, v6, v6
	s_lshl_b32 s1, s22, 5
	s_delay_alu instid0(SALU_CYCLE_1) | instskip(NEXT) | instid1(SALU_CYCLE_1)
	s_min_i32 s4, s1, s21
	v_cmp_gt_i32_e64 s1, s4, v0
	s_wait_dscnt 0x0
	v_max_num_f32_e32 v7, v7, v7
	s_delay_alu instid0(VALU_DEP_1) | instskip(SKIP_3) | instid1(VALU_DEP_1)
	v_max_num_f32_e32 v6, v6, v7
	ds_bpermute_b32 v7, v18, v6
	s_wait_dscnt 0x0
	v_max_num_f32_e32 v7, v7, v7
	v_dual_max_num_f32 v7, v6, v7 :: v_dual_mov_b32 v6, 0
	ds_bpermute_b32 v7, v6, v7
	s_and_saveexec_b32 s15, s1
	s_cbranch_execz .LBB99_16
; %bb.13:
	v_lshl_add_u32 v8, v0, 2, 0x60
	v_dual_mov_b32 v6, 0 :: v_dual_mov_b32 v9, v0
	s_mov_b32 s23, 0
.LBB99_14:                              ; =>This Inner Loop Header: Depth=1
	ds_load_b32 v10, v8
	v_add_nc_u32_e32 v9, 0x80, v9
	s_delay_alu instid0(VALU_DEP_1) | instskip(SKIP_3) | instid1(VALU_DEP_1)
	v_cmp_le_i32_e64 s3, s4, v9
	s_or_b32 s23, s3, s23
	s_wait_dscnt 0x0
	v_sub_f32_e32 v10, v10, v7
	v_mul_f32_e32 v10, 0x3fb8aa3b, v10
	s_delay_alu instid0(VALU_DEP_1)
	v_exp_f32_e32 v10, v10
	ds_store_b32 v8, v10
	v_nop
	v_add_f32_e32 v6, v6, v10
	v_add_nc_u32_e32 v8, 0x200, v8
	s_and_not1_b32 exec_lo, exec_lo, s23
	s_cbranch_execnz .LBB99_14
; %bb.15:
	s_or_b32 exec_lo, exec_lo, s23
.LBB99_16:
	s_delay_alu instid0(SALU_CYCLE_1)
	s_or_b32 exec_lo, exec_lo, s15
	ds_bpermute_b32 v2, v2, v6
	s_wait_dscnt 0x0
	v_add_f32_e32 v2, v6, v2
	ds_bpermute_b32 v3, v3, v2
	s_wait_dscnt 0x0
	v_add_f32_e32 v2, v2, v3
	;; [unrolled: 3-line block ×5, first 2 shown]
	s_and_saveexec_b32 s3, vcc_lo
; %bb.17:
	ds_store_b32 v5, v2 offset:80
; %bb.18:
	s_or_b32 exec_lo, exec_lo, s3
	s_wait_dscnt 0x0
	s_barrier_signal -1
	s_barrier_wait -1
	s_and_saveexec_b32 s3, s0
; %bb.19:
	ds_load_b32 v2, v31 offset:80
; %bb.20:
	s_or_b32 exec_lo, exec_lo, s3
	s_wait_dscnt 0x0
	ds_bpermute_b32 v3, v17, v2
	s_wait_dscnt 0x0
	v_dual_mov_b32 v7, 0 :: v_dual_add_f32 v2, v2, v3
	ds_bpermute_b32 v3, v18, v2
	s_wait_dscnt 0x0
	v_add_f32_e32 v2, v2, v3
	ds_bpermute_b32 v2, v7, v2
	s_and_saveexec_b32 s0, s1
	s_cbranch_execz .LBB99_33
; %bb.21:
	s_wait_dscnt 0x0
	v_add_f32_e32 v2, 0x358637bd, v2
	s_mov_b32 s3, -1
	s_mov_b32 s1, exec_lo
	s_delay_alu instid0(VALU_DEP_1) | instskip(NEXT) | instid1(VALU_DEP_1)
	v_div_scale_f32 v3, null, v2, v2, 1.0
	v_rcp_f32_e32 v5, v3
	v_nop
	s_delay_alu instid0(TRANS32_DEP_1) | instskip(NEXT) | instid1(VALU_DEP_1)
	v_fma_f32 v4, -v3, v5, 1.0
	v_fmac_f32_e32 v5, v4, v5
	v_div_scale_f32 v6, vcc_lo, 1.0, v2, 1.0
	s_delay_alu instid0(VALU_DEP_1) | instskip(NEXT) | instid1(VALU_DEP_1)
	v_mul_f32_e32 v8, v6, v5
	v_fma_f32 v4, -v3, v8, v6
	s_delay_alu instid0(VALU_DEP_1) | instskip(SKIP_1) | instid1(VALU_DEP_2)
	v_fmac_f32_e32 v8, v4, v5
	v_xad_u32 v4, v0, -1, s4
	v_fma_f32 v3, -v3, v8, v6
	s_delay_alu instid0(VALU_DEP_1) | instskip(NEXT) | instid1(VALU_DEP_1)
	v_div_fmas_f32 v3, v3, v5, v8
	v_div_fixup_f32 v2, v3, v2, 1.0
	v_mov_b32_e32 v3, v0
	v_cmpx_lt_u32_e32 0x7f, v4
	s_cbranch_execz .LBB99_30
; %bb.22:
	s_delay_alu instid0(VALU_DEP_3) | instskip(NEXT) | instid1(VALU_DEP_1)
	v_dual_mov_b32 v3, v2 :: v_dual_lshrrev_b32 v4, 7, v4
	v_dual_mov_b32 v9, 0 :: v_dual_add_nc_u32 v5, -1, v4
	s_delay_alu instid0(VALU_DEP_1) | instskip(SKIP_1) | instid1(VALU_DEP_2)
	v_lshrrev_b32_e32 v6, 1, v5
	v_cmp_lt_u32_e32 vcc_lo, 13, v5
	v_add_nc_u32_e32 v5, 1, v6
	s_and_saveexec_b32 s3, vcc_lo
	s_cbranch_execz .LBB99_26
; %bb.23:
	s_delay_alu instid0(VALU_DEP_1)
	v_and_b32_e32 v6, -8, v5
	v_lshl_add_u32 v8, v0, 2, 0x60
	s_mov_b32 s15, 0
	s_mov_b32 s23, 0
.LBB99_24:                              ; =>This Inner Loop Header: Depth=1
	ds_load_2addr_stride64_b32 v[10:11], v8 offset1:2
	ds_load_2addr_stride64_b32 v[12:13], v8 offset0:4 offset1:6
	ds_load_2addr_stride64_b32 v[14:15], v8 offset0:8 offset1:10
	;; [unrolled: 1-line block ×7, first 2 shown]
	s_add_co_i32 s23, s23, 16
	s_delay_alu instid0(SALU_CYCLE_1) | instskip(NEXT) | instid1(VALU_DEP_1)
	v_dual_mov_b32 v9, s23 :: v_dual_add_nc_u32 v6, -8, v6
	v_cmp_eq_u32_e32 vcc_lo, 0, v6
	s_or_b32 s15, vcc_lo, s15
	s_wait_dscnt 0x7
	v_pk_mul_f32 v[10:11], v[2:3], v[10:11]
	s_wait_dscnt 0x6
	v_pk_mul_f32 v[12:13], v[2:3], v[12:13]
	;; [unrolled: 2-line block ×8, first 2 shown]
	ds_store_2addr_stride64_b32 v8, v10, v11 offset1:2
	ds_store_2addr_stride64_b32 v8, v12, v13 offset0:4 offset1:6
	ds_store_2addr_stride64_b32 v8, v14, v15 offset0:8 offset1:10
	;; [unrolled: 1-line block ×7, first 2 shown]
	v_add_nc_u32_e32 v8, 0x2000, v8
	s_and_not1_b32 exec_lo, exec_lo, s15
	s_cbranch_execnz .LBB99_24
; %bb.25:
	s_or_b32 exec_lo, exec_lo, s15
.LBB99_26:
	s_delay_alu instid0(SALU_CYCLE_1) | instskip(NEXT) | instid1(VALU_DEP_1)
	s_or_b32 exec_lo, exec_lo, s3
	v_and_b32_e32 v5, 7, v5
	s_mov_b32 s15, 0
	s_mov_b32 s3, exec_lo
	s_delay_alu instid0(VALU_DEP_1)
	v_cmpx_ne_u32_e32 0, v5
	s_cbranch_execz .LBB99_29
; %bb.27:
	v_dual_lshlrev_b32 v6, 9, v9 :: v_dual_lshlrev_b32 v8, 2, v0
	s_delay_alu instid0(VALU_DEP_1)
	v_add3_u32 v6, v6, v8, 0x60
.LBB99_28:                              ; =>This Inner Loop Header: Depth=1
	ds_load_2addr_stride64_b32 v[8:9], v6 offset1:2
	v_add_nc_u32_e32 v5, -1, v5
	s_delay_alu instid0(VALU_DEP_1)
	v_cmp_eq_u32_e32 vcc_lo, 0, v5
	s_or_b32 s15, vcc_lo, s15
	s_wait_dscnt 0x0
	v_pk_mul_f32 v[8:9], v[2:3], v[8:9]
	ds_store_2addr_stride64_b32 v6, v8, v9 offset1:2
	v_add_nc_u32_e32 v6, 0x400, v6
	s_and_not1_b32 exec_lo, exec_lo, s15
	s_cbranch_execnz .LBB99_28
.LBB99_29:
	s_or_b32 exec_lo, exec_lo, s3
	v_add_nc_u32_e32 v3, 1, v4
	s_delay_alu instid0(VALU_DEP_1) | instskip(NEXT) | instid1(VALU_DEP_1)
	v_and_b32_e32 v4, 0x3fffffe, v3
	v_cmp_ne_u32_e32 vcc_lo, v3, v4
	v_lshl_add_u32 v3, v4, 7, v0
	s_or_not1_b32 s3, vcc_lo, exec_lo
.LBB99_30:
	s_or_b32 exec_lo, exec_lo, s1
	s_delay_alu instid0(SALU_CYCLE_1)
	s_and_b32 exec_lo, exec_lo, s3
	s_cbranch_execz .LBB99_33
; %bb.31:
	v_lshl_add_u32 v4, v3, 2, 0x60
	s_mov_b32 s1, 0
.LBB99_32:                              ; =>This Inner Loop Header: Depth=1
	ds_load_b32 v5, v4
	v_add_nc_u32_e32 v3, 0x80, v3
	s_delay_alu instid0(VALU_DEP_1)
	v_cmp_le_i32_e32 vcc_lo, s4, v3
	s_or_b32 s1, vcc_lo, s1
	s_wait_dscnt 0x0
	v_mul_f32_e32 v5, v2, v5
	ds_store_b32 v4, v5
	v_add_nc_u32_e32 v4, 0x200, v4
	s_and_not1_b32 exec_lo, exec_lo, s1
	s_cbranch_execnz .LBB99_32
.LBB99_33:
	s_or_b32 exec_lo, exec_lo, s0
	v_dual_mov_b32 v6, 0 :: v_dual_bitop2_b32 v19, 3, v0 bitop3:0x40
	v_dual_mov_b32 v9, 0 :: v_dual_mov_b32 v8, 0
	s_wait_dscnt 0x0
	s_barrier_signal -1
	s_barrier_wait -1
	s_and_saveexec_b32 s1, s2
	s_cbranch_execz .LBB99_45
; %bb.34:
	v_dual_mov_b32 v7, 0 :: v_dual_lshlrev_b32 v2, 3, v0
	s_ashr_i32 s15, s14, 31
	v_and_b32_e32 v6, 0x1f0, v1
	s_lshl_b64 s[14:15], s[14:15], 1
	s_delay_alu instid0(VALU_DEP_2)
	v_dual_lshlrev_b32 v2, 5, v19 :: v_dual_bitop2_b32 v1, 24, v2 bitop3:0x40
	s_wait_kmcnt 0x0
	s_add_nc_u64 s[14:15], s[16:17], s[14:15]
	s_ashr_i32 s3, s5, 31
	v_add_nc_u64_e32 v[10:11], s[14:15], v[6:7]
	v_and_b32_e32 v6, 0x7c, v30
	s_mov_b32 s2, s5
	s_lshl_b64 s[4:5], s[12:13], 2
	v_lshl_or_b32 v2, v28, 7, v2
	s_add_nc_u64 s[4:5], s[10:11], s[4:5]
	v_lshl_or_b32 v20, v28, 5, v1
	v_add_nc_u64_e32 v[12:13], s[4:5], v[6:7]
	s_delay_alu instid0(VALU_DEP_3)
	v_dual_mov_b32 v6, v7 :: v_dual_add_nc_u32 v21, 0x60, v2
	v_dual_mov_b32 v9, v7 :: v_dual_mov_b32 v8, v7
	v_mov_b32_e32 v22, v28
	s_add_co_i32 s4, s22, -1
	s_mov_b32 s10, s21
	s_mov_b32 s5, 0
	s_branch .LBB99_36
.LBB99_35:                              ;   in Loop: Header=BB99_36 Depth=1
	s_or_b32 exec_lo, exec_lo, s0
	v_dual_lshlrev_b32 v14, 16, v14 :: v_dual_lshlrev_b32 v1, 16, v1
	s_delay_alu instid0(VALU_DEP_2) | instskip(SKIP_2) | instid1(VALU_DEP_4)
	v_lshlrev_b32_e32 v15, 16, v15
	v_add_nc_u64_e32 v[12:13], 16, v[12:13]
	v_add_nc_u32_e32 v20, 0x80, v20
	v_and_or_b32 v2, 0xffff, v2, v14
	v_and_or_b32 v1, 0xffff, v3, v1
	;; [unrolled: 1-line block ×3, first 2 shown]
	;;#ASMSTART
	v_pk_mul_f16 v2, v34, v2;

	;;#ASMEND
	;;#ASMSTART
	v_pk_mul_f16 v1, v33, v1;

	;;#ASMEND
	;; [unrolled: 4-line block ×4, first 2 shown]
	;;#ASMSTART
	v_pk_add_f16 v1, v2, v1;

	;;#ASMEND
	;;#ASMSTART
	v_pk_add_f16 v1, v1, v3;

	;;#ASMEND
	;; [unrolled: 4-line block ×3, first 2 shown]
	v_and_b32_e32 v4, 0xffff, v1
	v_dual_lshrrev_b32 v5, 16, v1 :: v_dual_add_f32 v1, v16, v32
	v_add_f32_e32 v3, v37, v38
	v_add_nc_u32_e32 v22, 4, v22
	;;#ASMSTART
	v_cvt_f32_f16 v4, v4;
	;;#ASMEND
	;;#ASMSTART
	v_cvt_f32_f16 v5, v5;
	;;#ASMEND
	v_dual_add_f32 v2, v39, v40 :: v_dual_add_f32 v4, v4, v5
	v_add_f32_e32 v6, v6, v1
	v_cmp_le_i32_e32 vcc_lo, s22, v22
	s_delay_alu instid0(VALU_DEP_3) | instskip(NEXT) | instid1(VALU_DEP_4)
	v_dual_add_f32 v8, v8, v3 :: v_dual_add_f32 v9, v9, v2
	v_add_f32_e32 v7, v7, v4
	v_add_nc_u32_e32 v21, 0x200, v21
	s_or_b32 s5, vcc_lo, s5
	s_delay_alu instid0(SALU_CYCLE_1)
	s_and_not1_b32 exec_lo, exec_lo, s5
	s_cbranch_execz .LBB99_44
.LBB99_36:                              ; =>This Inner Loop Header: Depth=1
	global_load_b32 v2, v[12:13], off
	v_cmp_eq_u32_e32 vcc_lo, s4, v22
	v_dual_add_nc_u32 v30, 2, v20 :: v_dual_add_nc_u32 v23, 5, v20
	s_wait_loadcnt 0x0
	v_ashrrev_i32_e32 v3, 31, v2
	s_delay_alu instid0(VALU_DEP_1)
	v_mul_u64_e32 v[14:15], s[2:3], v[2:3]
	ds_load_2addr_b64 v[2:5], v21 offset1:1
	ds_load_2addr_b64 v[24:27], v21 offset0:2 offset1:3
	s_wait_dscnt 0x1
	;;#ASMSTART
	v_cvt_f16_f32 v34, v2;

	;;#ASMEND
	;;#ASMSTART
	v_cvt_f16_f32 v33, v3;

	;;#ASMEND
	;; [unrolled: 4-line block ×4, first 2 shown]
	s_wait_dscnt 0x0
	;;#ASMSTART
	v_cvt_f16_f32 v40, v24;

	;;#ASMEND
	;;#ASMSTART
	v_cvt_f16_f32 v35, v25;

	;;#ASMEND
	;; [unrolled: 4-line block ×4, first 2 shown]
	v_dual_add_nc_u32 v24, 4, v20 :: v_dual_add_nc_u32 v26, 6, v20
	v_dual_add_nc_u32 v25, 7, v20 :: v_dual_bitop2_b32 v27, 1, v20 bitop3:0x54
	v_lshl_add_u64 v[14:15], v[14:15], 1, v[10:11]
	global_load_b128 v[2:5], v[14:15], off
	s_wait_loadcnt 0x0
	v_dual_lshrrev_b32 v1, 16, v3 :: v_dual_bitop2_b32 v31, 3, v20 bitop3:0x54
	v_dual_lshrrev_b32 v16, 16, v2 :: v_dual_lshrrev_b32 v32, 16, v4
	s_and_saveexec_b32 s11, vcc_lo
	s_cbranch_execz .LBB99_38
; %bb.37:                               ;   in Loop: Header=BB99_36 Depth=1
	v_cmp_gt_i32_e64 s0, s21, v20
	v_and_b32_e32 v41, 0xffff, v5
	v_and_b32_e32 v5, 0xffff0000, v5
	s_delay_alu instid0(VALU_DEP_3) | instskip(SKIP_1) | instid1(VALU_DEP_1)
	v_cndmask_b32_e64 v2, 0, v2, s0
	v_cmp_gt_i32_e64 s0, s21, v30
	v_cndmask_b32_e64 v3, 0, v3, s0
	v_cmp_gt_i32_e64 s0, s10, v31
	s_delay_alu instid0(VALU_DEP_1) | instskip(SKIP_1) | instid1(VALU_DEP_1)
	v_cndmask_b32_e64 v1, 0, v1, s0
	v_cmp_gt_i32_e64 s0, s21, v27
	v_cndmask_b32_e64 v16, 0, v16, s0
	v_cmp_gt_i32_e64 s0, s21, v26
	s_delay_alu instid0(VALU_DEP_1) | instskip(SKIP_1) | instid1(VALU_DEP_1)
	;; [unrolled: 5-line block ×3, first 2 shown]
	v_cndmask_b32_e64 v4, 0, v4, s0
	v_cmp_gt_i32_e64 s0, s21, v23
	v_dual_cndmask_b32 v32, 0, v32, s0 :: v_dual_bitop2_b32 v5, v41, v5 bitop3:0x54
.LBB99_38:                              ;   in Loop: Header=BB99_36 Depth=1
	s_or_b32 exec_lo, exec_lo, s11
	v_and_b32_e32 v34, 0xffff, v34
	v_and_b32_e32 v39, 0xffff, v39
	v_dual_lshlrev_b32 v16, 16, v16 :: v_dual_lshlrev_b32 v1, 16, v1
	v_lshlrev_b32_e32 v32, 16, v32
	v_and_b32_e32 v40, 0xffff, v40
	v_lshl_or_b32 v34, v33, 16, v34
	v_lshl_or_b32 v33, v37, 16, v39
	v_and_b32_e32 v37, 0xffff, v38
	v_and_or_b32 v2, 0xffff, v2, v16
	v_and_or_b32 v1, 0xffff, v3, v1
	;; [unrolled: 1-line block ×3, first 2 shown]
	;;#ASMSTART
	v_pk_mul_f16 v2, v34, v2;

	;;#ASMEND
	;;#ASMSTART
	v_pk_mul_f16 v1, v33, v1;

	;;#ASMEND
	v_lshl_or_b32 v35, v35, 16, v40
	v_lshl_or_b32 v36, v36, 16, v37
	;;#ASMSTART
	v_pk_mul_f16 v3, v35, v3;

	;;#ASMEND
	;;#ASMSTART
	v_pk_mul_f16 v4, v36, v5;

	;;#ASMEND
	;;#ASMSTART
	v_pk_add_f16 v1, v2, v1;

	;;#ASMEND
	;;#ASMSTART
	v_pk_add_f16 v1, v1, v3;

	;;#ASMEND
	;;#ASMSTART
	v_pk_add_f16 v1, v1, v4;

	;;#ASMEND
	v_and_b32_e32 v2, 0xffff, v1
	v_lshrrev_b32_e32 v1, 16, v1
	;;#ASMSTART
	v_cvt_f32_f16 v37, v2;
	;;#ASMEND
	;;#ASMSTART
	v_cvt_f32_f16 v38, v1;
	;;#ASMEND
	global_load_b128 v[2:5], v[14:15], off offset:512
	s_wait_loadcnt 0x0
	v_dual_lshrrev_b32 v1, 16, v3 :: v_dual_lshrrev_b32 v16, 16, v2
	v_lshrrev_b32_e32 v32, 16, v4
	s_and_saveexec_b32 s11, vcc_lo
	s_cbranch_execz .LBB99_40
; %bb.39:                               ;   in Loop: Header=BB99_36 Depth=1
	v_cmp_gt_i32_e64 s0, s21, v20
	v_and_b32_e32 v39, 0xffff, v5
	v_and_b32_e32 v5, 0xffff0000, v5
	s_delay_alu instid0(VALU_DEP_3) | instskip(SKIP_1) | instid1(VALU_DEP_1)
	v_cndmask_b32_e64 v2, 0, v2, s0
	v_cmp_gt_i32_e64 s0, s21, v30
	v_cndmask_b32_e64 v3, 0, v3, s0
	v_cmp_gt_i32_e64 s0, s10, v31
	s_delay_alu instid0(VALU_DEP_1) | instskip(SKIP_1) | instid1(VALU_DEP_1)
	v_cndmask_b32_e64 v1, 0, v1, s0
	v_cmp_gt_i32_e64 s0, s21, v27
	v_cndmask_b32_e64 v16, 0, v16, s0
	v_cmp_gt_i32_e64 s0, s21, v26
	s_delay_alu instid0(VALU_DEP_1) | instskip(SKIP_1) | instid1(VALU_DEP_1)
	v_cndmask_b32_e64 v39, 0, v39, s0
	v_cmp_gt_i32_e64 s0, s21, v25
	v_cndmask_b32_e64 v5, 0, v5, s0
	v_cmp_gt_i32_e64 s0, s21, v24
	s_delay_alu instid0(VALU_DEP_1) | instskip(SKIP_1) | instid1(VALU_DEP_1)
	v_dual_cndmask_b32 v4, 0, v4, s0 :: v_dual_bitop2_b32 v5, v39, v5 bitop3:0x54
	v_cmp_gt_i32_e64 s0, s21, v23
	v_cndmask_b32_e64 v32, 0, v32, s0
.LBB99_40:                              ;   in Loop: Header=BB99_36 Depth=1
	s_or_b32 exec_lo, exec_lo, s11
	v_dual_lshlrev_b32 v16, 16, v16 :: v_dual_lshlrev_b32 v1, 16, v1
	s_delay_alu instid0(VALU_DEP_2) | instskip(NEXT) | instid1(VALU_DEP_2)
	v_lshlrev_b32_e32 v32, 16, v32
	v_and_or_b32 v2, 0xffff, v2, v16
	s_delay_alu instid0(VALU_DEP_3) | instskip(NEXT) | instid1(VALU_DEP_3)
	v_and_or_b32 v1, 0xffff, v3, v1
	v_and_or_b32 v3, 0xffff, v4, v32
	;;#ASMSTART
	v_pk_mul_f16 v2, v34, v2;

	;;#ASMEND
	;;#ASMSTART
	v_pk_mul_f16 v1, v33, v1;

	;;#ASMEND
	;; [unrolled: 4-line block ×4, first 2 shown]
	;;#ASMSTART
	v_pk_add_f16 v1, v2, v1;

	;;#ASMEND
	;;#ASMSTART
	v_pk_add_f16 v1, v1, v3;

	;;#ASMEND
	;; [unrolled: 4-line block ×3, first 2 shown]
	v_and_b32_e32 v2, 0xffff, v1
	v_lshrrev_b32_e32 v1, 16, v1
	;;#ASMSTART
	v_cvt_f32_f16 v39, v2;
	;;#ASMEND
	;;#ASMSTART
	v_cvt_f32_f16 v40, v1;
	;;#ASMEND
	global_load_b128 v[2:5], v[14:15], off offset:1024
	s_wait_loadcnt 0x0
	v_dual_lshrrev_b32 v1, 16, v3 :: v_dual_lshrrev_b32 v16, 16, v2
	v_lshrrev_b32_e32 v32, 16, v4
	s_and_saveexec_b32 s11, vcc_lo
	s_cbranch_execz .LBB99_42
; %bb.41:                               ;   in Loop: Header=BB99_36 Depth=1
	v_cmp_gt_i32_e64 s0, s21, v20
	v_and_b32_e32 v41, 0xffff, v5
	v_and_b32_e32 v5, 0xffff0000, v5
	s_delay_alu instid0(VALU_DEP_3) | instskip(SKIP_1) | instid1(VALU_DEP_1)
	v_cndmask_b32_e64 v2, 0, v2, s0
	v_cmp_gt_i32_e64 s0, s21, v30
	v_cndmask_b32_e64 v3, 0, v3, s0
	v_cmp_gt_i32_e64 s0, s10, v31
	s_delay_alu instid0(VALU_DEP_1) | instskip(SKIP_1) | instid1(VALU_DEP_1)
	v_cndmask_b32_e64 v1, 0, v1, s0
	v_cmp_gt_i32_e64 s0, s21, v27
	v_cndmask_b32_e64 v16, 0, v16, s0
	v_cmp_gt_i32_e64 s0, s21, v26
	s_delay_alu instid0(VALU_DEP_1) | instskip(SKIP_1) | instid1(VALU_DEP_1)
	;; [unrolled: 5-line block ×3, first 2 shown]
	v_cndmask_b32_e64 v4, 0, v4, s0
	v_cmp_gt_i32_e64 s0, s21, v23
	v_dual_cndmask_b32 v32, 0, v32, s0 :: v_dual_bitop2_b32 v5, v41, v5 bitop3:0x54
.LBB99_42:                              ;   in Loop: Header=BB99_36 Depth=1
	s_or_b32 exec_lo, exec_lo, s11
	v_dual_lshlrev_b32 v16, 16, v16 :: v_dual_lshlrev_b32 v1, 16, v1
	s_delay_alu instid0(VALU_DEP_2) | instskip(NEXT) | instid1(VALU_DEP_2)
	v_lshlrev_b32_e32 v32, 16, v32
	v_and_or_b32 v2, 0xffff, v2, v16
	s_delay_alu instid0(VALU_DEP_3) | instskip(NEXT) | instid1(VALU_DEP_3)
	v_and_or_b32 v1, 0xffff, v3, v1
	v_and_or_b32 v3, 0xffff, v4, v32
	;;#ASMSTART
	v_pk_mul_f16 v2, v34, v2;

	;;#ASMEND
	;;#ASMSTART
	v_pk_mul_f16 v1, v33, v1;

	;;#ASMEND
	;; [unrolled: 4-line block ×4, first 2 shown]
	;;#ASMSTART
	v_pk_add_f16 v1, v2, v1;

	;;#ASMEND
	;;#ASMSTART
	v_pk_add_f16 v1, v1, v3;

	;;#ASMEND
	;; [unrolled: 4-line block ×3, first 2 shown]
	v_and_b32_e32 v2, 0xffff, v1
	v_lshrrev_b32_e32 v1, 16, v1
	;;#ASMSTART
	v_cvt_f32_f16 v16, v2;
	;;#ASMEND
	;;#ASMSTART
	v_cvt_f32_f16 v32, v1;
	;;#ASMEND
	global_load_b128 v[2:5], v[14:15], off offset:1536
	s_wait_loadcnt 0x0
	v_dual_lshrrev_b32 v1, 16, v3 :: v_dual_lshrrev_b32 v14, 16, v2
	v_lshrrev_b32_e32 v15, 16, v4
	s_and_saveexec_b32 s0, vcc_lo
	s_cbranch_execz .LBB99_35
; %bb.43:                               ;   in Loop: Header=BB99_36 Depth=1
	v_cmp_gt_i32_e32 vcc_lo, s21, v20
	v_cndmask_b32_e32 v2, 0, v2, vcc_lo
	v_cmp_gt_i32_e32 vcc_lo, s21, v30
	v_and_b32_e32 v30, 0xffff, v5
	v_and_b32_e32 v5, 0xffff0000, v5
	v_cndmask_b32_e32 v3, 0, v3, vcc_lo
	v_cmp_gt_i32_e32 vcc_lo, s10, v31
	v_cndmask_b32_e32 v1, 0, v1, vcc_lo
	v_cmp_gt_i32_e32 vcc_lo, s21, v27
	;; [unrolled: 2-line block ×5, first 2 shown]
	s_delay_alu instid0(VALU_DEP_2)
	v_dual_cndmask_b32 v4, 0, v4, vcc_lo :: v_dual_bitop2_b32 v5, v26, v5 bitop3:0x54
	v_cmp_gt_i32_e32 vcc_lo, s21, v23
	v_cndmask_b32_e32 v15, 0, v15, vcc_lo
	s_branch .LBB99_35
.LBB99_44:
	s_or_b32 exec_lo, exec_lo, s5
.LBB99_45:
	s_delay_alu instid0(SALU_CYCLE_1)
	s_or_b32 exec_lo, exec_lo, s1
	ds_bpermute_b32 v2, v17, v8
	ds_bpermute_b32 v3, v17, v9
	;; [unrolled: 1-line block ×4, first 2 shown]
	v_and_b32_e32 v10, 0x3c3, v0
	v_and_b32_e32 v1, 28, v29
	s_mov_b32 s0, exec_lo
	s_wait_dscnt 0x0
	s_barrier_signal -1
	s_barrier_wait -1
	v_pk_add_f32 v[2:3], v[8:9], v[2:3]
	v_pk_add_f32 v[4:5], v[6:7], v[4:5]
	ds_bpermute_b32 v8, v18, v2
	ds_bpermute_b32 v9, v18, v3
	;; [unrolled: 1-line block ×4, first 2 shown]
	s_wait_dscnt 0x2
	v_pk_add_f32 v[2:3], v[2:3], v[8:9]
	v_cmpx_ne_u32_e32 64, v10
	s_xor_b32 s0, exec_lo, s0
; %bb.46:
                                        ; implicit-def: $vgpr28
; %bb.47:
	s_delay_alu instid0(SALU_CYCLE_1)
	s_or_saveexec_b32 s0, s0
	s_wait_dscnt 0x0
	v_pk_add_f32 v[4:5], v[4:5], v[6:7]
	v_lshrrev_b32_e32 v7, 2, v29
	v_add_nc_u32_e32 v6, 0x60, v1
	s_xor_b32 exec_lo, exec_lo, s0
	s_cbranch_execz .LBB99_49
; %bb.48:
	s_delay_alu instid0(VALU_DEP_1) | instskip(NEXT) | instid1(VALU_DEP_1)
	v_lshl_add_u32 v1, v28, 7, v6
	v_add_nc_u32_e32 v8, 0xffffff00, v1
	v_add_nc_u32_e32 v9, 0xffffff20, v1
	;; [unrolled: 1-line block ×4, first 2 shown]
	ds_store_b32 v8, v2
	ds_store_b32 v9, v3
	;; [unrolled: 1-line block ×4, first 2 shown]
.LBB99_49:
	s_or_b32 exec_lo, exec_lo, s0
	v_and_b32_e32 v1, 0x3e0, v0
	v_lshlrev_b32_e32 v7, 2, v7
	s_mov_b32 s1, exec_lo
	v_cmp_eq_u32_e32 vcc_lo, 0, v19
	s_wait_dscnt 0x0
	v_lshlrev_b32_e32 v1, 2, v1
	s_barrier_signal -1
	s_barrier_wait -1
	s_delay_alu instid0(VALU_DEP_1)
	v_add3_u32 v1, 0x60, v1, v7
	v_cmpx_gt_u32_e32 64, v0
	s_cbranch_execz .LBB99_56
; %bb.50:
	s_and_saveexec_b32 s0, vcc_lo
	s_cbranch_execnz .LBB99_68
; %bb.51:
	s_or_b32 exec_lo, exec_lo, s0
	s_and_saveexec_b32 s0, vcc_lo
	s_cbranch_execnz .LBB99_69
.LBB99_52:
	s_or_b32 exec_lo, exec_lo, s0
	s_and_saveexec_b32 s0, vcc_lo
	s_cbranch_execnz .LBB99_70
.LBB99_53:
	s_or_b32 exec_lo, exec_lo, s0
	s_and_saveexec_b32 s0, vcc_lo
	s_cbranch_execz .LBB99_55
.LBB99_54:
	ds_load_b32 v7, v1 offset:96
	s_wait_dscnt 0x0
	v_add_f32_e32 v5, v5, v7
.LBB99_55:
	s_or_b32 exec_lo, exec_lo, s0
.LBB99_56:
	s_delay_alu instid0(SALU_CYCLE_1) | instskip(SKIP_4) | instid1(VALU_DEP_1)
	s_or_b32 exec_lo, exec_lo, s1
	v_and_b32_e32 v7, 0x3e3, v0
	s_mov_b32 s1, exec_lo
	s_barrier_signal -1
	s_barrier_wait -1
	v_cmpx_eq_u32_e32 32, v7
	s_cbranch_execz .LBB99_58
; %bb.57:
	ds_store_2addr_b32 v6, v2, v3 offset1:8
	ds_store_2addr_b32 v6, v4, v5 offset0:16 offset1:24
.LBB99_58:
	s_or_b32 exec_lo, exec_lo, s1
	s_delay_alu instid0(SALU_CYCLE_1)
	s_mov_b32 s1, exec_lo
	s_wait_dscnt 0x0
	s_barrier_signal -1
	s_barrier_wait -1
	v_cmpx_gt_u32_e32 32, v0
	s_cbranch_execz .LBB99_65
; %bb.59:
	s_and_saveexec_b32 s0, vcc_lo
	s_cbranch_execnz .LBB99_71
; %bb.60:
	s_or_b32 exec_lo, exec_lo, s0
	s_and_saveexec_b32 s0, vcc_lo
	s_cbranch_execnz .LBB99_72
.LBB99_61:
	s_or_b32 exec_lo, exec_lo, s0
	s_and_saveexec_b32 s0, vcc_lo
	s_cbranch_execnz .LBB99_73
.LBB99_62:
	s_or_b32 exec_lo, exec_lo, s0
	s_and_saveexec_b32 s0, vcc_lo
	s_cbranch_execz .LBB99_64
.LBB99_63:
	ds_load_b32 v1, v1 offset:96
	s_wait_dscnt 0x0
	v_add_f32_e32 v5, v5, v1
.LBB99_64:
	s_or_b32 exec_lo, exec_lo, s0
.LBB99_65:
	s_delay_alu instid0(SALU_CYCLE_1)
	s_or_b32 exec_lo, exec_lo, s1
	s_mov_b32 s1, 0
	s_barrier_signal -1
	s_barrier_wait -1
	s_mov_b32 s0, exec_lo
	v_cmpx_eq_u32_e32 0, v7
	s_cbranch_execz .LBB99_67
; %bb.66:
	s_mul_i32 s0, s20, s9
	s_mul_i32 s2, s9, s8
	;; [unrolled: 1-line block ×3, first 2 shown]
	s_lshr_b32 s8, ttmp7, 16
	s_lshl_b32 s4, s0, 5
	s_bfe_u32 s0, ttmp6, 0x40014
	s_ashr_i32 s5, s4, 31
	s_add_co_i32 s0, s0, 1
	s_lshl_b64 s[4:5], s[4:5], 1
	s_ashr_i32 s3, s2, 31
	s_wait_kmcnt 0x0
	s_add_nc_u64 s[4:5], s[6:7], s[4:5]
	s_mul_i32 s0, s8, s0
	s_bfe_u32 s6, ttmp6, 0x40008
	s_lshl_b64 s[2:3], s[2:3], 1
	s_add_co_i32 s6, s6, s0
	s_cmp_eq_u32 s18, 0
	v_lshrrev_b32_e32 v0, 1, v0
	s_cselect_b32 s0, s8, s6
	s_add_nc_u64 s[2:3], s[4:5], s[2:3]
	s_lshl_b32 s0, s0, 6
	;;#ASMSTART
	v_cvt_f16_f32 v1, v2;

	;;#ASMEND
	s_add_nc_u64 s[0:1], s[2:3], s[0:1]
	global_store_b16 v0, v1, s[0:1]
	s_wait_xcnt 0x0
	;;#ASMSTART
	v_cvt_f16_f32 v1, v3;

	;;#ASMEND
	global_store_b16 v0, v1, s[0:1] offset:16
	s_wait_xcnt 0x0
	;;#ASMSTART
	v_cvt_f16_f32 v1, v4;

	;;#ASMEND
	global_store_b16 v0, v1, s[0:1] offset:32
	;; [unrolled: 6-line block ×3, first 2 shown]
.LBB99_67:
	s_sendmsg sendmsg(MSG_DEALLOC_VGPRS)
	s_endpgm
.LBB99_68:
	ds_load_b32 v7, v1
	s_wait_dscnt 0x0
	v_add_f32_e32 v2, v2, v7
	s_or_b32 exec_lo, exec_lo, s0
	s_and_saveexec_b32 s0, vcc_lo
	s_cbranch_execz .LBB99_52
.LBB99_69:
	ds_load_b32 v7, v1 offset:32
	s_wait_dscnt 0x0
	v_add_f32_e32 v3, v3, v7
	s_or_b32 exec_lo, exec_lo, s0
	s_and_saveexec_b32 s0, vcc_lo
	s_cbranch_execz .LBB99_53
.LBB99_70:
	ds_load_b32 v7, v1 offset:64
	s_wait_dscnt 0x0
	v_add_f32_e32 v4, v4, v7
	s_or_b32 exec_lo, exec_lo, s0
	s_and_saveexec_b32 s0, vcc_lo
	s_cbranch_execnz .LBB99_54
	s_branch .LBB99_55
.LBB99_71:
	ds_load_b32 v6, v1
	s_wait_dscnt 0x0
	v_add_f32_e32 v2, v2, v6
	s_or_b32 exec_lo, exec_lo, s0
	s_and_saveexec_b32 s0, vcc_lo
	s_cbranch_execz .LBB99_61
.LBB99_72:
	ds_load_b32 v6, v1 offset:32
	s_wait_dscnt 0x0
	v_add_f32_e32 v3, v3, v6
	s_or_b32 exec_lo, exec_lo, s0
	s_and_saveexec_b32 s0, vcc_lo
	s_cbranch_execz .LBB99_62
.LBB99_73:
	ds_load_b32 v6, v1 offset:64
	s_wait_dscnt 0x0
	v_add_f32_e32 v4, v4, v6
	s_or_b32 exec_lo, exec_lo, s0
	s_and_saveexec_b32 s0, vcc_lo
	s_cbranch_execnz .LBB99_63
	s_branch .LBB99_64
	.section	.rodata,"a",@progbits
	.p2align	6, 0x0
	.amdhsa_kernel _ZN4vllm25paged_attention_v1_kernelIttLi32ELi32ELi128ELNS_18Fp8KVCacheDataTypeE0ELb0EEEvPT_PKS2_PKT0_S8_ifPKiSA_iPKfiiiSC_SC_iiiii
		.amdhsa_group_segment_fixed_size 96
		.amdhsa_private_segment_fixed_size 0
		.amdhsa_kernarg_size 384
		.amdhsa_user_sgpr_count 2
		.amdhsa_user_sgpr_dispatch_ptr 0
		.amdhsa_user_sgpr_queue_ptr 0
		.amdhsa_user_sgpr_kernarg_segment_ptr 1
		.amdhsa_user_sgpr_dispatch_id 0
		.amdhsa_user_sgpr_kernarg_preload_length 0
		.amdhsa_user_sgpr_kernarg_preload_offset 0
		.amdhsa_user_sgpr_private_segment_size 0
		.amdhsa_wavefront_size32 1
		.amdhsa_uses_dynamic_stack 0
		.amdhsa_enable_private_segment 0
		.amdhsa_system_sgpr_workgroup_id_x 1
		.amdhsa_system_sgpr_workgroup_id_y 1
		.amdhsa_system_sgpr_workgroup_id_z 1
		.amdhsa_system_sgpr_workgroup_info 0
		.amdhsa_system_vgpr_workitem_id 0
		.amdhsa_next_free_vgpr 70
		.amdhsa_next_free_sgpr 28
		.amdhsa_named_barrier_count 0
		.amdhsa_reserve_vcc 1
		.amdhsa_float_round_mode_32 0
		.amdhsa_float_round_mode_16_64 0
		.amdhsa_float_denorm_mode_32 3
		.amdhsa_float_denorm_mode_16_64 3
		.amdhsa_fp16_overflow 0
		.amdhsa_memory_ordered 1
		.amdhsa_forward_progress 1
		.amdhsa_inst_pref_size 44
		.amdhsa_round_robin_scheduling 0
		.amdhsa_exception_fp_ieee_invalid_op 0
		.amdhsa_exception_fp_denorm_src 0
		.amdhsa_exception_fp_ieee_div_zero 0
		.amdhsa_exception_fp_ieee_overflow 0
		.amdhsa_exception_fp_ieee_underflow 0
		.amdhsa_exception_fp_ieee_inexact 0
		.amdhsa_exception_int_div_zero 0
	.end_amdhsa_kernel
	.section	.text._ZN4vllm25paged_attention_v1_kernelIttLi32ELi32ELi128ELNS_18Fp8KVCacheDataTypeE0ELb0EEEvPT_PKS2_PKT0_S8_ifPKiSA_iPKfiiiSC_SC_iiiii,"axG",@progbits,_ZN4vllm25paged_attention_v1_kernelIttLi32ELi32ELi128ELNS_18Fp8KVCacheDataTypeE0ELb0EEEvPT_PKS2_PKT0_S8_ifPKiSA_iPKfiiiSC_SC_iiiii,comdat
.Lfunc_end99:
	.size	_ZN4vllm25paged_attention_v1_kernelIttLi32ELi32ELi128ELNS_18Fp8KVCacheDataTypeE0ELb0EEEvPT_PKS2_PKT0_S8_ifPKiSA_iPKfiiiSC_SC_iiiii, .Lfunc_end99-_ZN4vllm25paged_attention_v1_kernelIttLi32ELi32ELi128ELNS_18Fp8KVCacheDataTypeE0ELb0EEEvPT_PKS2_PKT0_S8_ifPKiSA_iPKfiiiSC_SC_iiiii
                                        ; -- End function
	.set _ZN4vllm25paged_attention_v1_kernelIttLi32ELi32ELi128ELNS_18Fp8KVCacheDataTypeE0ELb0EEEvPT_PKS2_PKT0_S8_ifPKiSA_iPKfiiiSC_SC_iiiii.num_vgpr, 70
	.set _ZN4vllm25paged_attention_v1_kernelIttLi32ELi32ELi128ELNS_18Fp8KVCacheDataTypeE0ELb0EEEvPT_PKS2_PKT0_S8_ifPKiSA_iPKfiiiSC_SC_iiiii.num_agpr, 0
	.set _ZN4vllm25paged_attention_v1_kernelIttLi32ELi32ELi128ELNS_18Fp8KVCacheDataTypeE0ELb0EEEvPT_PKS2_PKT0_S8_ifPKiSA_iPKfiiiSC_SC_iiiii.numbered_sgpr, 28
	.set _ZN4vllm25paged_attention_v1_kernelIttLi32ELi32ELi128ELNS_18Fp8KVCacheDataTypeE0ELb0EEEvPT_PKS2_PKT0_S8_ifPKiSA_iPKfiiiSC_SC_iiiii.num_named_barrier, 0
	.set _ZN4vllm25paged_attention_v1_kernelIttLi32ELi32ELi128ELNS_18Fp8KVCacheDataTypeE0ELb0EEEvPT_PKS2_PKT0_S8_ifPKiSA_iPKfiiiSC_SC_iiiii.private_seg_size, 0
	.set _ZN4vllm25paged_attention_v1_kernelIttLi32ELi32ELi128ELNS_18Fp8KVCacheDataTypeE0ELb0EEEvPT_PKS2_PKT0_S8_ifPKiSA_iPKfiiiSC_SC_iiiii.uses_vcc, 1
	.set _ZN4vllm25paged_attention_v1_kernelIttLi32ELi32ELi128ELNS_18Fp8KVCacheDataTypeE0ELb0EEEvPT_PKS2_PKT0_S8_ifPKiSA_iPKfiiiSC_SC_iiiii.uses_flat_scratch, 0
	.set _ZN4vllm25paged_attention_v1_kernelIttLi32ELi32ELi128ELNS_18Fp8KVCacheDataTypeE0ELb0EEEvPT_PKS2_PKT0_S8_ifPKiSA_iPKfiiiSC_SC_iiiii.has_dyn_sized_stack, 0
	.set _ZN4vllm25paged_attention_v1_kernelIttLi32ELi32ELi128ELNS_18Fp8KVCacheDataTypeE0ELb0EEEvPT_PKS2_PKT0_S8_ifPKiSA_iPKfiiiSC_SC_iiiii.has_recursion, 0
	.set _ZN4vllm25paged_attention_v1_kernelIttLi32ELi32ELi128ELNS_18Fp8KVCacheDataTypeE0ELb0EEEvPT_PKS2_PKT0_S8_ifPKiSA_iPKfiiiSC_SC_iiiii.has_indirect_call, 0
	.section	.AMDGPU.csdata,"",@progbits
; Kernel info:
; codeLenInByte = 5564
; TotalNumSgprs: 30
; NumVgprs: 70
; ScratchSize: 0
; MemoryBound: 0
; FloatMode: 240
; IeeeMode: 1
; LDSByteSize: 96 bytes/workgroup (compile time only)
; SGPRBlocks: 0
; VGPRBlocks: 4
; NumSGPRsForWavesPerEU: 30
; NumVGPRsForWavesPerEU: 70
; NamedBarCnt: 0
; Occupancy: 12
; WaveLimiterHint : 1
; COMPUTE_PGM_RSRC2:SCRATCH_EN: 0
; COMPUTE_PGM_RSRC2:USER_SGPR: 2
; COMPUTE_PGM_RSRC2:TRAP_HANDLER: 0
; COMPUTE_PGM_RSRC2:TGID_X_EN: 1
; COMPUTE_PGM_RSRC2:TGID_Y_EN: 1
; COMPUTE_PGM_RSRC2:TGID_Z_EN: 1
; COMPUTE_PGM_RSRC2:TIDIG_COMP_CNT: 0
	.section	.text._ZN4vllm25paged_attention_v1_kernelIttLi64ELi32ELi128ELNS_18Fp8KVCacheDataTypeE0ELb0EEEvPT_PKS2_PKT0_S8_ifPKiSA_iPKfiiiSC_SC_iiiii,"axG",@progbits,_ZN4vllm25paged_attention_v1_kernelIttLi64ELi32ELi128ELNS_18Fp8KVCacheDataTypeE0ELb0EEEvPT_PKS2_PKT0_S8_ifPKiSA_iPKfiiiSC_SC_iiiii,comdat
	.protected	_ZN4vllm25paged_attention_v1_kernelIttLi64ELi32ELi128ELNS_18Fp8KVCacheDataTypeE0ELb0EEEvPT_PKS2_PKT0_S8_ifPKiSA_iPKfiiiSC_SC_iiiii ; -- Begin function _ZN4vllm25paged_attention_v1_kernelIttLi64ELi32ELi128ELNS_18Fp8KVCacheDataTypeE0ELb0EEEvPT_PKS2_PKT0_S8_ifPKiSA_iPKfiiiSC_SC_iiiii
	.globl	_ZN4vllm25paged_attention_v1_kernelIttLi64ELi32ELi128ELNS_18Fp8KVCacheDataTypeE0ELb0EEEvPT_PKS2_PKT0_S8_ifPKiSA_iPKfiiiSC_SC_iiiii
	.p2align	8
	.type	_ZN4vllm25paged_attention_v1_kernelIttLi64ELi32ELi128ELNS_18Fp8KVCacheDataTypeE0ELb0EEEvPT_PKS2_PKT0_S8_ifPKiSA_iPKfiiiSC_SC_iiiii,@function
_ZN4vllm25paged_attention_v1_kernelIttLi64ELi32ELi128ELNS_18Fp8KVCacheDataTypeE0ELb0EEEvPT_PKS2_PKT0_S8_ifPKiSA_iPKfiiiSC_SC_iiiii: ; @_ZN4vllm25paged_attention_v1_kernelIttLi64ELi32ELi128ELNS_18Fp8KVCacheDataTypeE0ELb0EEEvPT_PKS2_PKT0_S8_ifPKiSA_iPKfiiiSC_SC_iiiii
; %bb.0:
	s_load_b64 s[6:7], s[0:1], 0x20
	s_bfe_u32 s3, ttmp6, 0x4000c
	s_bfe_u32 s5, ttmp6, 0x40010
	s_and_b32 s4, ttmp7, 0xffff
	s_add_co_i32 s3, s3, 1
	s_add_co_i32 s5, s5, 1
	s_and_b32 s2, ttmp6, 15
	s_bfe_u32 s8, ttmp6, 0x40004
	s_mul_i32 s3, ttmp9, s3
	s_mul_i32 s5, s4, s5
	s_getreg_b32 s18, hwreg(HW_REG_IB_STS2, 6, 4)
	s_add_co_i32 s2, s2, s3
	s_add_co_i32 s8, s8, s5
	s_cmp_eq_u32 s18, 0
	s_clause 0x1
	s_load_b32 s19, s[0:1], 0x80
	s_load_b64 s[10:11], s[0:1], 0x30
	s_cselect_b32 s20, s4, s8
	s_cselect_b32 s8, ttmp9, s2
	s_wait_kmcnt 0x0
	s_abs_i32 s2, s6
	s_delay_alu instid0(SALU_CYCLE_1) | instskip(SKIP_1) | instid1(SALU_CYCLE_2)
	s_cvt_f32_u32 s3, s2
	s_sub_co_i32 s4, 0, s2
	v_rcp_iflag_f32_e32 v1, s3
	s_abs_i32 s5, s19
	v_nop
	s_delay_alu instid0(TRANS32_DEP_1) | instskip(SKIP_1) | instid1(SALU_CYCLE_3)
	v_readfirstlane_b32 s3, v1
	s_mul_f32 s3, s3, 0x4f7ffffe
	s_cvt_u32_f32 s3, s3
	s_delay_alu instid0(SALU_CYCLE_3) | instskip(NEXT) | instid1(SALU_CYCLE_1)
	s_mul_i32 s4, s4, s3
	s_mul_hi_u32 s4, s3, s4
	s_delay_alu instid0(SALU_CYCLE_1) | instskip(SKIP_4) | instid1(SALU_CYCLE_1)
	s_add_co_i32 s3, s3, s4
	s_xor_b32 s4, s19, s6
	s_mul_hi_u32 s3, s5, s3
	s_ashr_i32 s4, s4, 31
	s_mul_i32 s6, s3, s2
	s_sub_co_i32 s5, s5, s6
	s_add_co_i32 s6, s3, 1
	s_sub_co_i32 s9, s5, s2
	s_cmp_ge_u32 s5, s2
	s_cselect_b32 s3, s6, s3
	s_cselect_b32 s5, s9, s5
	s_add_co_i32 s6, s3, 1
	s_cmp_ge_u32 s5, s2
	s_cselect_b32 s2, s6, s3
	s_mov_b32 s3, 0
	s_xor_b32 s2, s2, s4
	s_mov_b32 s13, s3
	s_sub_co_i32 s15, s2, s4
	s_load_b64 s[4:5], s[0:1], 0x40
	s_abs_i32 s14, s15
	s_mov_b32 s23, s3
	s_cvt_f32_u32 s2, s14
	s_delay_alu instid0(SALU_CYCLE_3) | instskip(SKIP_1) | instid1(TRANS32_DEP_1)
	v_rcp_iflag_f32_e32 v1, s2
	v_nop
	v_readfirstlane_b32 s2, v1
	s_mul_f32 s2, s2, 0x4f7ffffe
	s_delay_alu instid0(SALU_CYCLE_3) | instskip(SKIP_1) | instid1(SALU_CYCLE_2)
	s_cvt_u32_f32 s6, s2
	s_sub_co_i32 s2, 0, s14
	s_mul_i32 s2, s2, s6
	s_delay_alu instid0(SALU_CYCLE_1)
	s_mul_hi_u32 s9, s6, s2
	s_abs_i32 s2, s8
	s_add_co_i32 s12, s6, s9
	s_wait_kmcnt 0x0
	s_cmp_eq_u64 s[4:5], 0
	s_cbranch_scc1 .LBB100_2
; %bb.1:
	s_ashr_i32 s9, s8, 31
	s_delay_alu instid0(SALU_CYCLE_1) | instskip(NEXT) | instid1(SALU_CYCLE_1)
	s_lshl_b64 s[16:17], s[8:9], 2
	s_add_nc_u64 s[4:5], s[4:5], s[16:17]
	s_load_b32 s23, s[4:5], 0x0
.LBB100_2:
	s_load_b32 s21, s[10:11], s20 offset:0x0 scale_offset
	s_wait_xcnt 0x0
	s_load_b96 s[4:6], s[0:1], 0x48
	v_lshlrev_b32_e32 v1, 4, v0
	s_ashr_i32 s10, s8, 31
	s_ashr_i32 s11, s15, 31
	s_mul_u64 s[12:13], s[2:3], s[12:13]
	s_lshl_b32 s8, s8, 6
	s_mov_b32 s3, exec_lo
	v_cmpx_gt_u32_e32 8, v0
	s_cbranch_execz .LBB100_4
; %bb.3:
	s_load_b64 s[16:17], s[0:1], 0x8
	s_wait_kmcnt 0x0
	s_mul_i32 s24, s4, s20
	s_ashr_i32 s9, s8, 31
	s_ashr_i32 s25, s24, 31
	s_delay_alu instid0(SALU_CYCLE_1) | instskip(NEXT) | instid1(SALU_CYCLE_1)
	s_lshl_b64 s[24:25], s[24:25], 1
	s_add_nc_u64 s[16:17], s[16:17], s[24:25]
	s_lshl_b64 s[24:25], s[8:9], 1
	s_delay_alu instid0(SALU_CYCLE_1)
	s_add_nc_u64 s[16:17], s[16:17], s[24:25]
	global_load_b128 v[2:5], v0, s[16:17] scale_offset
	s_wait_loadcnt 0x0
	ds_store_b128 v1, v[2:5]
.LBB100_4:
	s_or_b32 exec_lo, exec_lo, s3
	s_wait_kmcnt 0x0
	s_add_co_i32 s3, s21, 31
	s_load_b32 s4, s[0:1], 0x38
	s_ashr_i32 s9, s3, 31
	s_xor_b32 s12, s10, s11
	s_lshr_b32 s9, s9, 27
	s_mul_i32 s10, s13, s14
	s_add_co_i32 s3, s3, s9
	s_sub_co_i32 s2, s2, s10
	s_clause 0x1
	s_load_b64 s[10:11], s[0:1], 0x28
	s_load_b32 s9, s[0:1], 0x88
	s_ashr_i32 s22, s3, 5
	s_add_co_i32 s3, s13, 1
	s_sub_co_i32 s15, s2, s14
	s_cmp_ge_u32 s2, s14
	v_dual_lshrrev_b32 v38, 5, v0 :: v_dual_bitop2_b32 v39, 31, v0 bitop3:0x40
	s_cselect_b32 s3, s3, s13
	s_cselect_b32 s2, s15, s2
	s_add_co_i32 s13, s3, 1
	s_cmp_ge_u32 s2, s14
	v_dual_mov_b32 v30, 0xff7fffff :: v_dual_lshlrev_b32 v41, 2, v39
	s_cselect_b32 s2, s13, s3
	v_lshrrev_b32_e32 v40, 3, v0
	s_xor_b32 s2, s2, s12
	s_wait_dscnt 0x0
	s_sub_co_i32 s3, s2, s12
	v_cmp_gt_i32_e64 s2, s22, v38
	s_wait_kmcnt 0x0
	s_mul_i32 s12, s4, s20
	s_mul_i32 s14, s3, s6
	s_ashr_i32 s13, s12, 31
	s_barrier_signal -1
	s_barrier_wait -1
	s_and_saveexec_b32 s6, s2
	s_cbranch_execz .LBB100_8
; %bb.5:
	s_load_b64 s[24:25], s[0:1], 0x10
	s_ashr_i32 s15, s14, 31
	v_dual_mov_b32 v31, 0 :: v_dual_lshlrev_b32 v30, 4, v39
	s_ashr_i32 s17, s5, 31
	s_lshl_b64 s[26:27], s[14:15], 1
	s_cmp_neq_f32 s23, 0
	v_lshl_or_b32 v2, v38, 7, v41
	v_lshl_or_b32 v42, v38, 5, v39
	v_mov_b32_e32 v44, v38
	s_cselect_b32 vcc_lo, -1, 0
	s_mov_b32 s16, s5
	v_add_nc_u32_e32 v43, 0xa0, v2
	s_mov_b32 s15, 0
	s_wait_kmcnt 0x0
	s_add_nc_u64 s[24:25], s[24:25], s[26:27]
	s_delay_alu instid0(SALU_CYCLE_1) | instskip(SKIP_2) | instid1(SALU_CYCLE_1)
	v_add_nc_u64_e32 v[32:33], s[24:25], v[30:31]
	v_and_b32_e32 v30, 0x7c, v40
	s_lshl_b64 s[24:25], s[12:13], 2
	s_add_nc_u64 s[24:25], s[10:11], s[24:25]
	s_delay_alu instid0(VALU_DEP_1) | instid1(SALU_CYCLE_1)
	v_add_nc_u64_e32 v[34:35], s[24:25], v[30:31]
	v_mov_b32_e32 v30, 0xff7fffff
	s_sub_co_i32 s24, 1, s21
.LBB100_6:                              ; =>This Inner Loop Header: Depth=1
	global_load_b32 v6, v[34:35], off
	ds_load_b128 v[2:5], v31
	v_cmp_gt_i32_e64 s3, s21, v42
	s_wait_xcnt 0x0
	v_add_nc_u64_e32 v[34:35], 16, v[34:35]
	s_wait_dscnt 0x0
	v_dual_lshrrev_b32 v51, 16, v2 :: v_dual_lshrrev_b32 v45, 16, v3
	v_and_b32_e32 v52, 0xffff, v2
	v_and_b32_e32 v46, 0xffff, v3
	v_dual_lshrrev_b32 v47, 16, v4 :: v_dual_lshrrev_b32 v49, 16, v5
	v_and_b32_e32 v48, 0xffff, v4
	v_and_b32_e32 v50, 0xffff, v5
	s_wait_loadcnt 0x0
	v_ashrrev_i32_e32 v7, 31, v6
	s_delay_alu instid0(VALU_DEP_1) | instskip(NEXT) | instid1(VALU_DEP_1)
	v_mul_u64_e32 v[2:3], s[16:17], v[6:7]
	v_lshl_add_u64 v[36:37], v[2:3], 1, v[32:33]
	s_clause 0x7
	global_load_b128 v[58:61], v[36:37], off
	global_load_b128 v[26:29], v[36:37], off offset:512
	global_load_b128 v[22:25], v[36:37], off offset:1024
	;; [unrolled: 1-line block ×7, first 2 shown]
	s_wait_xcnt 0x0
	;;#ASMSTART
	v_cvt_f32_f16 v36, v52;
	;;#ASMEND
	;;#ASMSTART
	v_cvt_f32_f16 v37, v51;
	;;#ASMEND
	s_wait_loadcnt 0x7
	v_dual_lshrrev_b32 v56, 16, v58 :: v_dual_lshrrev_b32 v52, 16, v60
	v_and_b32_e32 v57, 0xffff, v59
	v_and_b32_e32 v58, 0xffff, v58
	v_lshrrev_b32_e32 v54, 16, v59
	v_and_b32_e32 v55, 0xffff, v60
	s_wait_loadcnt 0x6
	v_dual_lshrrev_b32 v51, 16, v61 :: v_dual_lshrrev_b32 v60, 16, v26
	v_and_b32_e32 v53, 0xffff, v61
	v_and_b32_e32 v59, 0xffff, v26
	;; [unrolled: 1-line block ×3, first 2 shown]
	v_dual_lshrrev_b32 v70, 16, v27 :: v_dual_lshrrev_b32 v71, 16, v29
	s_wait_loadcnt 0x5
	v_lshrrev_b32_e32 v66, 16, v22
	v_and_b32_e32 v72, 0xffff, v29
	v_and_b32_e32 v68, 0xffff, v22
	v_dual_lshrrev_b32 v64, 16, v23 :: v_dual_lshrrev_b32 v62, 16, v24
	v_and_b32_e32 v67, 0xffff, v23
	v_and_b32_e32 v65, 0xffff, v24
	s_wait_loadcnt 0x4
	v_dual_lshrrev_b32 v29, 16, v25 :: v_dual_lshrrev_b32 v76, 16, v18
	v_and_b32_e32 v63, 0xffff, v25
	v_and_b32_e32 v81, 0xffff, v18
	v_dual_lshrrev_b32 v84, 16, v19 :: v_dual_lshrrev_b32 v85, 16, v20
	v_and_b32_e32 v88, 0xffff, v19
	v_and_b32_e32 v87, 0xffff, v20
	s_wait_loadcnt 0x3
	v_dual_lshrrev_b32 v82, 16, v21 :: v_dual_lshrrev_b32 v79, 16, v14
	v_and_b32_e32 v86, 0xffff, v21
	v_and_b32_e32 v83, 0xffff, v14
	v_dual_lshrrev_b32 v77, 16, v15 :: v_dual_lshrrev_b32 v74, 16, v16
	v_and_b32_e32 v80, 0xffff, v15
	v_and_b32_e32 v78, 0xffff, v16
	v_lshrrev_b32_e32 v73, 16, v17
	v_and_b32_e32 v75, 0xffff, v17
	;;#ASMSTART
	v_cvt_f32_f16 v18, v58;
	;;#ASMEND
	;;#ASMSTART
	v_cvt_f32_f16 v19, v56;
	;;#ASMEND
	;; [unrolled: 3-line block ×14, first 2 shown]
	ds_load_b128 v[14:17], v31 offset:16
	s_wait_loadcnt 0x1
	v_lshrrev_b32_e32 v52, 16, v6
	v_and_b32_e32 v61, 0xffff, v28
	v_dual_lshrrev_b32 v28, 16, v28 :: v_dual_lshrrev_b32 v50, 16, v13
	v_and_b32_e32 v51, 0xffff, v13
	v_lshrrev_b32_e32 v58, 16, v9
	s_wait_loadcnt 0x0
	v_and_b32_e32 v89, 0xffff, v3
	v_lshrrev_b32_e32 v92, 16, v5
	v_and_b32_e32 v93, 0xffff, v5
	v_and_b32_e32 v53, 0xffff, v6
	v_lshrrev_b32_e32 v54, 16, v7
	v_and_b32_e32 v55, 0xffff, v7
	s_wait_dscnt 0x0
	v_and_b32_e32 v45, 0xffff, v14
	v_lshrrev_b32_e32 v14, 16, v14
	;;#ASMSTART
	v_cvt_f32_f16 v46, v45;
	;;#ASMEND
	;;#ASMSTART
	v_cvt_f32_f16 v47, v14;
	;;#ASMEND
	;; [unrolled: 3-line block ×4, first 2 shown]
	v_pk_mul_f32 v[46:47], v[46:47], v[48:49]
	v_lshrrev_b32_e32 v48, 16, v10
	v_and_b32_e32 v49, 0xffff, v10
	v_and_b32_e32 v10, 0xffff, v15
	v_lshrrev_b32_e32 v60, 16, v2
	v_pk_fma_f32 v[18:19], v[36:37], v[18:19], v[46:47]
	v_lshrrev_b32_e32 v36, 16, v11
	v_and_b32_e32 v37, 0xffff, v11
	v_lshrrev_b32_e32 v46, 16, v12
	v_and_b32_e32 v47, 0xffff, v12
	v_lshrrev_b32_e32 v12, 16, v15
	;;#ASMSTART
	v_cvt_f32_f16 v11, v10;
	;;#ASMEND
	;;#ASMSTART
	v_cvt_f32_f16 v10, v12;
	;;#ASMEND
	;; [unrolled: 3-line block ×4, first 2 shown]
	v_pk_mul_f32 v[10:11], v[10:11], v[12:13]
	v_and_b32_e32 v69, 0xffff, v2
	v_and_b32_e32 v2, 0xffff, v16
	v_lshrrev_b32_e32 v70, 16, v3
	;;#ASMSTART
	v_cvt_f32_f16 v3, v2;
	;;#ASMEND
	v_pk_fma_f32 v[10:11], v[90:91], v[56:57], v[10:11]
	v_lshrrev_b32_e32 v90, 16, v4
	v_and_b32_e32 v91, 0xffff, v4
	v_lshrrev_b32_e32 v4, 16, v16
	;;#ASMSTART
	v_cvt_f32_f16 v2, v4;
	;;#ASMEND
	;;#ASMSTART
	v_cvt_f32_f16 v5, v61;
	;;#ASMEND
	;; [unrolled: 3-line block ×3, first 2 shown]
	s_delay_alu instid0(VALU_DEP_1)
	v_pk_mul_f32 v[2:3], v[2:3], v[4:5]
	v_lshrrev_b32_e32 v56, 16, v8
	v_and_b32_e32 v57, 0xffff, v8
	v_and_b32_e32 v6, 0xffff, v17
	v_lshrrev_b32_e32 v8, 16, v17
	v_and_b32_e32 v59, 0xffff, v9
	;;#ASMSTART
	v_cvt_f32_f16 v7, v6;
	;;#ASMEND
	;;#ASMSTART
	v_cvt_f32_f16 v6, v8;
	;;#ASMEND
	;; [unrolled: 3-line block ×4, first 2 shown]
	v_pk_fma_f32 v[12:13], v[20:21], v[24:25], v[2:3]
	ds_load_b128 v[2:5], v31 offset:32
	v_pk_mul_f32 v[6:7], v[6:7], v[8:9]
	s_delay_alu instid0(VALU_DEP_1)
	v_pk_fma_f32 v[6:7], v[22:23], v[26:27], v[6:7]
	s_wait_dscnt 0x0
	v_and_b32_e32 v8, 0xffff, v2
	v_dual_lshrrev_b32 v9, 16, v2 :: v_dual_lshrrev_b32 v24, 16, v5
	v_add_nc_u32_e32 v2, s24, v42
	v_and_b32_e32 v14, 0xffff, v3
	v_dual_lshrrev_b32 v15, 16, v3 :: v_dual_lshrrev_b32 v20, 16, v4
	v_and_b32_e32 v16, 0xffff, v4
	v_and_b32_e32 v22, 0xffff, v5
	v_cvt_f32_i32_e32 v45, v2
	;;#ASMSTART
	v_cvt_f32_f16 v2, v8;
	;;#ASMEND
	;;#ASMSTART
	v_cvt_f32_f16 v3, v9;
	;;#ASMEND
	;; [unrolled: 3-line block ×16, first 2 shown]
	v_pk_fma_f32 v[18:19], v[2:3], v[4:5], v[18:19]
	ds_load_b128 v[2:5], v31 offset:48
	v_pk_fma_f32 v[8:9], v[8:9], v[14:15], v[10:11]
	v_pk_fma_f32 v[10:11], v[16:17], v[20:21], v[12:13]
	;; [unrolled: 1-line block ×3, first 2 shown]
	v_add_nc_u32_e32 v42, 0x80, v42
	s_wait_dscnt 0x0
	v_and_b32_e32 v12, 0xffff, v2
	v_lshrrev_b32_e32 v2, 16, v2
	v_and_b32_e32 v16, 0xffff, v3
	v_lshrrev_b32_e32 v3, 16, v3
	;; [unrolled: 2-line block ×4, first 2 shown]
	;;#ASMSTART
	v_cvt_f32_f16 v12, v12;
	;;#ASMEND
	;;#ASMSTART
	v_cvt_f32_f16 v13, v2;
	;;#ASMEND
	;; [unrolled: 3-line block ×16, first 2 shown]
	ds_load_b128 v[2:5], v31 offset:64
	v_pk_fma_f32 v[12:13], v[12:13], v[14:15], v[18:19]
	v_pk_fma_f32 v[10:11], v[22:23], v[24:25], v[10:11]
	;; [unrolled: 1-line block ×4, first 2 shown]
	s_wait_dscnt 0x0
	v_and_b32_e32 v14, 0xffff, v2
	v_lshrrev_b32_e32 v2, 16, v2
	v_and_b32_e32 v18, 0xffff, v3
	v_lshrrev_b32_e32 v3, 16, v3
	v_and_b32_e32 v22, 0xffff, v4
	v_dual_lshrrev_b32 v4, 16, v4 :: v_dual_lshrrev_b32 v26, 16, v5
	v_and_b32_e32 v5, 0xffff, v5
	;;#ASMSTART
	v_cvt_f32_f16 v14, v14;
	;;#ASMEND
	;;#ASMSTART
	v_cvt_f32_f16 v15, v2;
	;;#ASMEND
	;; [unrolled: 3-line block ×16, first 2 shown]
	ds_load_b128 v[2:5], v31 offset:80
	v_pk_fma_f32 v[12:13], v[14:15], v[16:17], v[12:13]
	v_pk_fma_f32 v[8:9], v[18:19], v[20:21], v[8:9]
	;; [unrolled: 1-line block ×4, first 2 shown]
	s_wait_dscnt 0x0
	v_dual_lshrrev_b32 v15, 16, v2 :: v_dual_lshrrev_b32 v18, 16, v3
	v_and_b32_e32 v2, 0xffff, v2
	v_and_b32_e32 v3, 0xffff, v3
	v_dual_lshrrev_b32 v22, 16, v4 :: v_dual_lshrrev_b32 v26, 16, v5
	v_and_b32_e32 v4, 0xffff, v4
	v_and_b32_e32 v5, 0xffff, v5
	;;#ASMSTART
	v_cvt_f32_f16 v14, v2;
	;;#ASMEND
	;;#ASMSTART
	v_cvt_f32_f16 v15, v15;
	;;#ASMEND
	;; [unrolled: 3-line block ×16, first 2 shown]
	ds_load_b128 v[2:5], v31 offset:96
	v_pk_fma_f32 v[12:13], v[14:15], v[16:17], v[12:13]
	v_pk_fma_f32 v[8:9], v[18:19], v[20:21], v[8:9]
	;; [unrolled: 1-line block ×4, first 2 shown]
	s_wait_dscnt 0x0
	v_dual_lshrrev_b32 v15, 16, v2 :: v_dual_lshrrev_b32 v18, 16, v3
	v_and_b32_e32 v2, 0xffff, v2
	v_and_b32_e32 v3, 0xffff, v3
	v_dual_lshrrev_b32 v22, 16, v4 :: v_dual_lshrrev_b32 v36, 16, v5
	v_and_b32_e32 v4, 0xffff, v4
	v_and_b32_e32 v5, 0xffff, v5
	;;#ASMSTART
	v_cvt_f32_f16 v14, v2;
	;;#ASMEND
	;;#ASMSTART
	v_cvt_f32_f16 v15, v15;
	;;#ASMEND
	;; [unrolled: 3-line block ×16, first 2 shown]
	ds_load_b128 v[2:5], v31 offset:112
	v_pk_fma_f32 v[12:13], v[14:15], v[16:17], v[12:13]
	v_pk_fma_f32 v[8:9], v[18:19], v[20:21], v[8:9]
	;; [unrolled: 1-line block ×4, first 2 shown]
	s_wait_dscnt 0x0
	v_dual_lshrrev_b32 v14, 16, v2 :: v_dual_lshrrev_b32 v16, 16, v3
	v_and_b32_e32 v2, 0xffff, v2
	v_and_b32_e32 v15, 0xffff, v3
	;;#ASMSTART
	v_cvt_f32_f16 v2, v2;
	;;#ASMEND
	;;#ASMSTART
	v_cvt_f32_f16 v3, v14;
	;;#ASMEND
	v_dual_lshrrev_b32 v18, 16, v4 :: v_dual_lshrrev_b32 v20, 16, v5
	v_and_b32_e32 v19, 0xffff, v4
	v_and_b32_e32 v21, 0xffff, v5
	;;#ASMSTART
	v_cvt_f32_f16 v4, v69;
	;;#ASMEND
	;;#ASMSTART
	v_cvt_f32_f16 v5, v60;
	;;#ASMEND
	v_pk_fma_f32 v[2:3], v[2:3], v[4:5], v[12:13]
	;;#ASMSTART
	v_cvt_f32_f16 v15, v15;
	;;#ASMEND
	;;#ASMSTART
	v_cvt_f32_f16 v14, v16;
	;;#ASMEND
	;; [unrolled: 3-line block ×4, first 2 shown]
	v_pk_fma_f32 v[4:5], v[14:15], v[16:17], v[8:9]
	v_add_f32_e32 v8, v2, v3
	;;#ASMSTART
	v_cvt_f32_f16 v19, v19;
	;;#ASMEND
	;;#ASMSTART
	v_cvt_f32_f16 v18, v18;
	;;#ASMEND
	;; [unrolled: 3-line block ×4, first 2 shown]
	v_add_f32_e32 v8, v8, v5
	v_pk_fma_f32 v[2:3], v[18:19], v[2:3], v[10:11]
	;;#ASMSTART
	v_cvt_f32_f16 v5, v21;
	;;#ASMEND
	s_delay_alu instid0(VALU_DEP_2) | instskip(SKIP_2) | instid1(VALU_DEP_1)
	v_add_f32_e32 v8, v4, v8
	;;#ASMSTART
	v_cvt_f32_f16 v4, v20;
	;;#ASMEND
	;;#ASMSTART
	v_cvt_f32_f16 v9, v93;
	;;#ASMEND
	v_add_f32_e32 v3, v8, v3
	;;#ASMSTART
	v_cvt_f32_f16 v8, v92;
	;;#ASMEND
	v_pk_fma_f32 v[4:5], v[4:5], v[8:9], v[6:7]
	s_delay_alu instid0(VALU_DEP_2) | instskip(NEXT) | instid1(VALU_DEP_1)
	v_dual_add_f32 v2, v2, v3 :: v_dual_mul_f32 v3, s23, v45
	v_dual_add_f32 v2, v2, v5 :: v_dual_cndmask_b32 v3, 0, v3
	s_delay_alu instid0(VALU_DEP_1) | instskip(SKIP_1) | instid1(VALU_DEP_2)
	v_add_f32_e32 v2, v4, v2
	v_dual_max_num_f32 v4, v30, v30 :: v_dual_add_nc_u32 v44, 4, v44
	v_fmac_f32_e32 v3, s7, v2
	s_delay_alu instid0(VALU_DEP_2) | instskip(NEXT) | instid1(VALU_DEP_2)
	v_cmp_le_i32_e64 s4, s22, v44
	v_dual_cndmask_b32 v2, 0, v3, s3 :: v_dual_max_num_f32 v3, v4, v3
	s_or_b32 s15, s4, s15
	ds_store_b32 v43, v2
	v_cndmask_b32_e64 v30, v30, v3, s3
	v_add_nc_u32_e32 v43, 0x200, v43
	s_and_not1_b32 exec_lo, exec_lo, s15
	s_cbranch_execnz .LBB100_6
; %bb.7:
	s_or_b32 exec_lo, exec_lo, s15
.LBB100_8:
	s_delay_alu instid0(SALU_CYCLE_1) | instskip(SKIP_4) | instid1(VALU_DEP_1)
	s_or_b32 exec_lo, exec_lo, s6
	v_mbcnt_lo_u32_b32 v5, -1, 0
	s_clause 0x1
	s_load_b64 s[6:7], s[0:1], 0x0
	s_load_b64 s[16:17], s[0:1], 0x18
	v_dual_max_num_f32 v6, v30, v30 :: v_dual_bitop2_b32 v2, 16, v5 bitop3:0x14
	v_xor_b32_e32 v4, 8, v5
	s_delay_alu instid0(VALU_DEP_2) | instskip(SKIP_1) | instid1(VALU_DEP_3)
	v_cmp_gt_i32_e32 vcc_lo, 32, v2
	v_cndmask_b32_e32 v2, v5, v2, vcc_lo
	v_cmp_gt_i32_e32 vcc_lo, 32, v4
	s_delay_alu instid0(VALU_DEP_2) | instskip(SKIP_3) | instid1(VALU_DEP_1)
	v_dual_lshlrev_b32 v2, 2, v2 :: v_dual_cndmask_b32 v4, v5, v4, vcc_lo
	ds_bpermute_b32 v3, v2, v30
	s_wait_dscnt 0x0
	v_dual_max_num_f32 v7, v3, v3 :: v_dual_lshlrev_b32 v3, 2, v4
	v_dual_max_num_f32 v6, v6, v7 :: v_dual_bitop2_b32 v7, 4, v5 bitop3:0x14
	ds_bpermute_b32 v4, v3, v6
	v_cmp_gt_i32_e32 vcc_lo, 32, v7
	s_wait_dscnt 0x0
	v_dual_cndmask_b32 v7, v5, v7 :: v_dual_max_num_f32 v8, v4, v4
	s_delay_alu instid0(VALU_DEP_1) | instskip(SKIP_3) | instid1(VALU_DEP_1)
	v_dual_lshlrev_b32 v4, 2, v7 :: v_dual_max_num_f32 v6, v6, v8
	ds_bpermute_b32 v7, v4, v6
	s_wait_dscnt 0x0
	v_dual_max_num_f32 v7, v7, v7 :: v_dual_bitop2_b32 v8, 2, v5 bitop3:0x14
	v_cmp_gt_i32_e32 vcc_lo, 32, v8
	s_delay_alu instid0(VALU_DEP_2) | instskip(NEXT) | instid1(VALU_DEP_1)
	v_dual_max_num_f32 v6, v6, v7 :: v_dual_cndmask_b32 v8, v5, v8, vcc_lo
	v_dual_lshlrev_b32 v22, 2, v8 :: v_dual_bitop2_b32 v8, 1, v5 bitop3:0x14
	ds_bpermute_b32 v7, v22, v6
	v_cmp_gt_i32_e32 vcc_lo, 32, v8
	v_cndmask_b32_e32 v5, v5, v8, vcc_lo
	v_cmp_eq_u32_e32 vcc_lo, 0, v39
	s_delay_alu instid0(VALU_DEP_2) | instskip(SKIP_2) | instid1(VALU_DEP_1)
	v_dual_lshlrev_b32 v21, 2, v5 :: v_dual_lshlrev_b32 v5, 2, v38
	s_wait_dscnt 0x0
	v_max_num_f32_e32 v7, v7, v7
	v_max_num_f32_e32 v6, v6, v7
	ds_bpermute_b32 v7, v21, v6
	s_wait_xcnt 0x0
	s_and_saveexec_b32 s0, vcc_lo
	s_cbranch_execz .LBB100_10
; %bb.9:
	s_wait_dscnt 0x0
	v_dual_max_num_f32 v7, v7, v7 :: v_dual_max_num_f32 v6, v6, v6
	s_delay_alu instid0(VALU_DEP_1)
	v_max_num_f32_e32 v6, v6, v7
	ds_store_b32 v5, v6 offset:128
.LBB100_10:
	s_or_b32 exec_lo, exec_lo, s0
	v_cmp_gt_u32_e64 s0, 4, v39
	v_mov_b32_e32 v6, 0xff7fffff
	s_wait_dscnt 0x0
	s_barrier_signal -1
	s_barrier_wait -1
	s_and_saveexec_b32 s1, s0
; %bb.11:
	ds_load_b32 v6, v41 offset:128
; %bb.12:
	s_or_b32 exec_lo, exec_lo, s1
	s_wait_dscnt 0x0
	ds_bpermute_b32 v7, v22, v6
	v_max_num_f32_e32 v6, v6, v6
	s_lshl_b32 s1, s22, 5
	s_delay_alu instid0(SALU_CYCLE_1) | instskip(NEXT) | instid1(SALU_CYCLE_1)
	s_min_i32 s4, s1, s21
	v_cmp_gt_i32_e64 s1, s4, v0
	s_wait_dscnt 0x0
	v_max_num_f32_e32 v7, v7, v7
	s_delay_alu instid0(VALU_DEP_1) | instskip(SKIP_3) | instid1(VALU_DEP_1)
	v_max_num_f32_e32 v6, v6, v7
	ds_bpermute_b32 v7, v21, v6
	s_wait_dscnt 0x0
	v_max_num_f32_e32 v7, v7, v7
	v_dual_max_num_f32 v7, v6, v7 :: v_dual_mov_b32 v6, 0
	ds_bpermute_b32 v7, v6, v7
	s_and_saveexec_b32 s15, s1
	s_cbranch_execz .LBB100_16
; %bb.13:
	v_lshl_add_u32 v8, v0, 2, 0xa0
	v_dual_mov_b32 v6, 0 :: v_dual_mov_b32 v9, v0
	s_mov_b32 s23, 0
.LBB100_14:                             ; =>This Inner Loop Header: Depth=1
	ds_load_b32 v10, v8
	v_add_nc_u32_e32 v9, 0x80, v9
	s_delay_alu instid0(VALU_DEP_1) | instskip(SKIP_3) | instid1(VALU_DEP_1)
	v_cmp_le_i32_e64 s3, s4, v9
	s_or_b32 s23, s3, s23
	s_wait_dscnt 0x0
	v_sub_f32_e32 v10, v10, v7
	v_mul_f32_e32 v10, 0x3fb8aa3b, v10
	s_delay_alu instid0(VALU_DEP_1)
	v_exp_f32_e32 v10, v10
	ds_store_b32 v8, v10
	v_nop
	v_add_f32_e32 v6, v6, v10
	v_add_nc_u32_e32 v8, 0x200, v8
	s_and_not1_b32 exec_lo, exec_lo, s23
	s_cbranch_execnz .LBB100_14
; %bb.15:
	s_or_b32 exec_lo, exec_lo, s23
.LBB100_16:
	s_delay_alu instid0(SALU_CYCLE_1)
	s_or_b32 exec_lo, exec_lo, s15
	ds_bpermute_b32 v2, v2, v6
	s_wait_dscnt 0x0
	v_add_f32_e32 v2, v6, v2
	ds_bpermute_b32 v3, v3, v2
	s_wait_dscnt 0x0
	v_add_f32_e32 v2, v2, v3
	ds_bpermute_b32 v3, v4, v2
	s_wait_dscnt 0x0
	v_add_f32_e32 v2, v2, v3
	ds_bpermute_b32 v3, v22, v2
	s_wait_dscnt 0x0
	v_add_f32_e32 v2, v2, v3
	ds_bpermute_b32 v3, v21, v2
	s_wait_dscnt 0x0
	v_add_f32_e32 v2, v2, v3
	s_and_saveexec_b32 s3, vcc_lo
; %bb.17:
	ds_store_b32 v5, v2 offset:144
; %bb.18:
	s_or_b32 exec_lo, exec_lo, s3
	s_wait_dscnt 0x0
	s_barrier_signal -1
	s_barrier_wait -1
	s_and_saveexec_b32 s3, s0
; %bb.19:
	ds_load_b32 v2, v41 offset:144
; %bb.20:
	s_or_b32 exec_lo, exec_lo, s3
	s_wait_dscnt 0x0
	ds_bpermute_b32 v3, v22, v2
	s_wait_dscnt 0x0
	v_dual_mov_b32 v7, 0 :: v_dual_add_f32 v2, v2, v3
	ds_bpermute_b32 v3, v21, v2
	s_wait_dscnt 0x0
	v_add_f32_e32 v2, v2, v3
	ds_bpermute_b32 v2, v7, v2
	s_and_saveexec_b32 s0, s1
	s_cbranch_execz .LBB100_33
; %bb.21:
	s_wait_dscnt 0x0
	v_add_f32_e32 v2, 0x358637bd, v2
	s_mov_b32 s3, -1
	s_mov_b32 s1, exec_lo
	s_delay_alu instid0(VALU_DEP_1) | instskip(NEXT) | instid1(VALU_DEP_1)
	v_div_scale_f32 v3, null, v2, v2, 1.0
	v_rcp_f32_e32 v5, v3
	v_nop
	s_delay_alu instid0(TRANS32_DEP_1) | instskip(NEXT) | instid1(VALU_DEP_1)
	v_fma_f32 v4, -v3, v5, 1.0
	v_fmac_f32_e32 v5, v4, v5
	v_div_scale_f32 v6, vcc_lo, 1.0, v2, 1.0
	s_delay_alu instid0(VALU_DEP_1) | instskip(NEXT) | instid1(VALU_DEP_1)
	v_mul_f32_e32 v8, v6, v5
	v_fma_f32 v4, -v3, v8, v6
	s_delay_alu instid0(VALU_DEP_1) | instskip(SKIP_1) | instid1(VALU_DEP_2)
	v_fmac_f32_e32 v8, v4, v5
	v_xad_u32 v4, v0, -1, s4
	v_fma_f32 v3, -v3, v8, v6
	s_delay_alu instid0(VALU_DEP_1) | instskip(NEXT) | instid1(VALU_DEP_1)
	v_div_fmas_f32 v3, v3, v5, v8
	v_div_fixup_f32 v2, v3, v2, 1.0
	v_mov_b32_e32 v3, v0
	v_cmpx_lt_u32_e32 0x7f, v4
	s_cbranch_execz .LBB100_30
; %bb.22:
	s_delay_alu instid0(VALU_DEP_3) | instskip(NEXT) | instid1(VALU_DEP_1)
	v_dual_mov_b32 v3, v2 :: v_dual_lshrrev_b32 v4, 7, v4
	v_dual_mov_b32 v9, 0 :: v_dual_add_nc_u32 v5, -1, v4
	s_delay_alu instid0(VALU_DEP_1) | instskip(SKIP_1) | instid1(VALU_DEP_2)
	v_lshrrev_b32_e32 v6, 1, v5
	v_cmp_lt_u32_e32 vcc_lo, 13, v5
	v_add_nc_u32_e32 v5, 1, v6
	s_and_saveexec_b32 s3, vcc_lo
	s_cbranch_execz .LBB100_26
; %bb.23:
	s_delay_alu instid0(VALU_DEP_1)
	v_and_b32_e32 v6, -8, v5
	v_lshl_add_u32 v8, v0, 2, 0xa0
	s_mov_b32 s15, 0
	s_mov_b32 s23, 0
.LBB100_24:                             ; =>This Inner Loop Header: Depth=1
	ds_load_2addr_stride64_b32 v[10:11], v8 offset1:2
	ds_load_2addr_stride64_b32 v[12:13], v8 offset0:4 offset1:6
	ds_load_2addr_stride64_b32 v[14:15], v8 offset0:8 offset1:10
	;; [unrolled: 1-line block ×7, first 2 shown]
	s_add_co_i32 s23, s23, 16
	s_delay_alu instid0(SALU_CYCLE_1) | instskip(NEXT) | instid1(VALU_DEP_1)
	v_dual_mov_b32 v9, s23 :: v_dual_add_nc_u32 v6, -8, v6
	v_cmp_eq_u32_e32 vcc_lo, 0, v6
	s_or_b32 s15, vcc_lo, s15
	s_wait_dscnt 0x7
	v_pk_mul_f32 v[10:11], v[2:3], v[10:11]
	s_wait_dscnt 0x6
	v_pk_mul_f32 v[12:13], v[2:3], v[12:13]
	;; [unrolled: 2-line block ×8, first 2 shown]
	ds_store_2addr_stride64_b32 v8, v10, v11 offset1:2
	ds_store_2addr_stride64_b32 v8, v12, v13 offset0:4 offset1:6
	ds_store_2addr_stride64_b32 v8, v14, v15 offset0:8 offset1:10
	;; [unrolled: 1-line block ×7, first 2 shown]
	v_add_nc_u32_e32 v8, 0x2000, v8
	s_and_not1_b32 exec_lo, exec_lo, s15
	s_cbranch_execnz .LBB100_24
; %bb.25:
	s_or_b32 exec_lo, exec_lo, s15
.LBB100_26:
	s_delay_alu instid0(SALU_CYCLE_1) | instskip(NEXT) | instid1(VALU_DEP_1)
	s_or_b32 exec_lo, exec_lo, s3
	v_and_b32_e32 v5, 7, v5
	s_mov_b32 s15, 0
	s_mov_b32 s3, exec_lo
	s_delay_alu instid0(VALU_DEP_1)
	v_cmpx_ne_u32_e32 0, v5
	s_cbranch_execz .LBB100_29
; %bb.27:
	v_dual_lshlrev_b32 v6, 9, v9 :: v_dual_lshlrev_b32 v8, 2, v0
	s_delay_alu instid0(VALU_DEP_1)
	v_add3_u32 v6, v6, v8, 0xa0
.LBB100_28:                             ; =>This Inner Loop Header: Depth=1
	ds_load_2addr_stride64_b32 v[8:9], v6 offset1:2
	v_add_nc_u32_e32 v5, -1, v5
	s_delay_alu instid0(VALU_DEP_1)
	v_cmp_eq_u32_e32 vcc_lo, 0, v5
	s_or_b32 s15, vcc_lo, s15
	s_wait_dscnt 0x0
	v_pk_mul_f32 v[8:9], v[2:3], v[8:9]
	ds_store_2addr_stride64_b32 v6, v8, v9 offset1:2
	v_add_nc_u32_e32 v6, 0x400, v6
	s_and_not1_b32 exec_lo, exec_lo, s15
	s_cbranch_execnz .LBB100_28
.LBB100_29:
	s_or_b32 exec_lo, exec_lo, s3
	v_add_nc_u32_e32 v3, 1, v4
	s_delay_alu instid0(VALU_DEP_1) | instskip(NEXT) | instid1(VALU_DEP_1)
	v_and_b32_e32 v4, 0x3fffffe, v3
	v_cmp_ne_u32_e32 vcc_lo, v3, v4
	v_lshl_add_u32 v3, v4, 7, v0
	s_or_not1_b32 s3, vcc_lo, exec_lo
.LBB100_30:
	s_or_b32 exec_lo, exec_lo, s1
	s_delay_alu instid0(SALU_CYCLE_1)
	s_and_b32 exec_lo, exec_lo, s3
	s_cbranch_execz .LBB100_33
; %bb.31:
	v_lshl_add_u32 v4, v3, 2, 0xa0
	s_mov_b32 s1, 0
.LBB100_32:                             ; =>This Inner Loop Header: Depth=1
	ds_load_b32 v5, v4
	v_add_nc_u32_e32 v3, 0x80, v3
	s_delay_alu instid0(VALU_DEP_1)
	v_cmp_le_i32_e32 vcc_lo, s4, v3
	s_or_b32 s1, vcc_lo, s1
	s_wait_dscnt 0x0
	v_mul_f32_e32 v5, v2, v5
	ds_store_b32 v4, v5
	v_add_nc_u32_e32 v4, 0x200, v4
	s_and_not1_b32 exec_lo, exec_lo, s1
	s_cbranch_execnz .LBB100_32
.LBB100_33:
	s_or_b32 exec_lo, exec_lo, s0
	v_dual_mov_b32 v6, 0 :: v_dual_bitop2_b32 v23, 3, v0 bitop3:0x40
	v_dual_mov_b32 v9, 0 :: v_dual_mov_b32 v8, 0
	v_dual_mov_b32 v11, 0 :: v_dual_mov_b32 v10, 0
	;; [unrolled: 1-line block ×3, first 2 shown]
	s_wait_dscnt 0x0
	s_barrier_signal -1
	s_barrier_wait -1
	s_and_saveexec_b32 s1, s2
	s_cbranch_execz .LBB100_53
; %bb.34:
	v_dual_mov_b32 v7, 0 :: v_dual_lshlrev_b32 v2, 3, v0
	s_ashr_i32 s15, s14, 31
	v_and_b32_e32 v6, 0x1f0, v1
	s_lshl_b64 s[14:15], s[14:15], 1
	s_delay_alu instid0(VALU_DEP_2)
	v_dual_lshlrev_b32 v2, 5, v23 :: v_dual_bitop2_b32 v1, 24, v2 bitop3:0x40
	s_wait_kmcnt 0x0
	s_add_nc_u64 s[14:15], s[16:17], s[14:15]
	s_ashr_i32 s3, s5, 31
	v_add_nc_u64_e32 v[14:15], s[14:15], v[6:7]
	v_and_b32_e32 v6, 0x7c, v40
	s_mov_b32 s2, s5
	s_lshl_b64 s[4:5], s[12:13], 2
	v_lshl_or_b32 v2, v38, 7, v2
	s_add_nc_u64 s[4:5], s[10:11], s[4:5]
	v_lshl_or_b32 v24, v38, 5, v1
	v_add_nc_u64_e32 v[16:17], s[4:5], v[6:7]
	s_delay_alu instid0(VALU_DEP_3)
	v_dual_mov_b32 v6, v7 :: v_dual_add_nc_u32 v25, 0xa0, v2
	v_dual_mov_b32 v9, v7 :: v_dual_mov_b32 v8, v7
	v_dual_mov_b32 v11, v7 :: v_dual_mov_b32 v10, v7
	;; [unrolled: 1-line block ×3, first 2 shown]
	v_mov_b32_e32 v26, v38
	s_add_co_i32 s4, s22, -1
	s_mov_b32 s10, s21
	s_mov_b32 s5, 0
	s_branch .LBB100_36
.LBB100_35:                             ;   in Loop: Header=BB100_36 Depth=1
	s_or_b32 exec_lo, exec_lo, s0
	v_dual_lshlrev_b32 v18, 16, v18 :: v_dual_lshlrev_b32 v1, 16, v1
	v_dual_add_f32 v20, v20, v34 :: v_dual_add_f32 v27, v51, v52
	v_lshlrev_b32_e32 v19, 16, v19
	s_delay_alu instid0(VALU_DEP_3) | instskip(NEXT) | instid1(VALU_DEP_4)
	v_and_or_b32 v2, 0xffff, v2, v18
	v_and_or_b32 v1, 0xffff, v3, v1
	s_delay_alu instid0(VALU_DEP_4)
	v_dual_add_f32 v6, v6, v20 :: v_dual_add_f32 v9, v9, v27
	v_add_f32_e32 v20, v49, v50
	v_and_or_b32 v3, 0xffff, v4, v19
	;;#ASMSTART
	v_pk_mul_f16 v2, v36, v2;

	;;#ASMEND
	;;#ASMSTART
	v_pk_mul_f16 v1, v35, v1;

	;;#ASMEND
	;; [unrolled: 4-line block ×4, first 2 shown]
	;;#ASMSTART
	v_pk_add_f16 v1, v2, v1;

	;;#ASMEND
	;;#ASMSTART
	v_pk_add_f16 v1, v1, v3;

	;;#ASMEND
	;; [unrolled: 4-line block ×3, first 2 shown]
	v_dual_add_f32 v27, v47, v48 :: v_dual_lshrrev_b32 v5, 16, v1
	v_and_b32_e32 v4, 0xffff, v1
	v_dual_add_f32 v1, v45, v46 :: v_dual_add_f32 v2, v43, v44
	v_add_nc_u32_e32 v26, 4, v26
	;;#ASMSTART
	v_cvt_f32_f16 v4, v4;
	;;#ASMEND
	;;#ASMSTART
	v_cvt_f32_f16 v5, v5;
	;;#ASMEND
	v_dual_add_f32 v3, v41, v42 :: v_dual_add_f32 v4, v4, v5
	v_add_f32_e32 v10, v10, v1
	v_cmp_le_i32_e32 vcc_lo, s22, v26
	v_add_nc_u64_e32 v[16:17], 16, v[16:17]
	v_dual_add_f32 v8, v8, v20 :: v_dual_add_f32 v11, v11, v27
	v_dual_add_f32 v13, v13, v2 :: v_dual_add_f32 v12, v12, v3
	v_add_f32_e32 v7, v7, v4
	v_add_nc_u32_e32 v24, 0x80, v24
	v_add_nc_u32_e32 v25, 0x200, v25
	s_or_b32 s5, vcc_lo, s5
	s_delay_alu instid0(SALU_CYCLE_1)
	s_and_not1_b32 exec_lo, exec_lo, s5
	s_cbranch_execz .LBB100_52
.LBB100_36:                             ; =>This Inner Loop Header: Depth=1
	global_load_b32 v2, v[16:17], off
	v_cmp_eq_u32_e32 vcc_lo, s4, v26
	v_dual_add_nc_u32 v32, 2, v24 :: v_dual_add_nc_u32 v27, 5, v24
	s_wait_loadcnt 0x0
	v_ashrrev_i32_e32 v3, 31, v2
	s_delay_alu instid0(VALU_DEP_1)
	v_mul_u64_e32 v[18:19], s[2:3], v[2:3]
	ds_load_2addr_b64 v[2:5], v25 offset1:1
	ds_load_2addr_b64 v[28:31], v25 offset0:2 offset1:3
	s_wait_dscnt 0x1
	;;#ASMSTART
	v_cvt_f16_f32 v36, v2;

	;;#ASMEND
	;;#ASMSTART
	v_cvt_f16_f32 v35, v3;

	;;#ASMEND
	;; [unrolled: 4-line block ×4, first 2 shown]
	s_wait_dscnt 0x0
	;;#ASMSTART
	v_cvt_f16_f32 v44, v28;

	;;#ASMEND
	;;#ASMSTART
	v_cvt_f16_f32 v37, v29;

	;;#ASMEND
	;; [unrolled: 4-line block ×4, first 2 shown]
	v_dual_add_nc_u32 v28, 4, v24 :: v_dual_add_nc_u32 v30, 6, v24
	v_dual_add_nc_u32 v29, 7, v24 :: v_dual_bitop2_b32 v31, 1, v24 bitop3:0x54
	v_lshl_add_u64 v[18:19], v[18:19], 1, v[14:15]
	global_load_b128 v[2:5], v[18:19], off
	s_wait_loadcnt 0x0
	v_dual_lshrrev_b32 v1, 16, v3 :: v_dual_bitop2_b32 v33, 3, v24 bitop3:0x54
	v_dual_lshrrev_b32 v20, 16, v2 :: v_dual_lshrrev_b32 v34, 16, v4
	s_and_saveexec_b32 s11, vcc_lo
	s_cbranch_execz .LBB100_38
; %bb.37:                               ;   in Loop: Header=BB100_36 Depth=1
	v_cmp_gt_i32_e64 s0, s21, v24
	v_and_b32_e32 v45, 0xffff, v5
	v_and_b32_e32 v5, 0xffff0000, v5
	s_delay_alu instid0(VALU_DEP_3) | instskip(SKIP_1) | instid1(VALU_DEP_1)
	v_cndmask_b32_e64 v2, 0, v2, s0
	v_cmp_gt_i32_e64 s0, s21, v32
	v_cndmask_b32_e64 v3, 0, v3, s0
	v_cmp_gt_i32_e64 s0, s10, v33
	s_delay_alu instid0(VALU_DEP_1) | instskip(SKIP_1) | instid1(VALU_DEP_1)
	v_cndmask_b32_e64 v1, 0, v1, s0
	v_cmp_gt_i32_e64 s0, s21, v31
	v_cndmask_b32_e64 v20, 0, v20, s0
	v_cmp_gt_i32_e64 s0, s21, v30
	s_delay_alu instid0(VALU_DEP_1) | instskip(SKIP_1) | instid1(VALU_DEP_1)
	;; [unrolled: 5-line block ×3, first 2 shown]
	v_cndmask_b32_e64 v4, 0, v4, s0
	v_cmp_gt_i32_e64 s0, s21, v27
	v_dual_cndmask_b32 v34, 0, v34, s0 :: v_dual_bitop2_b32 v5, v45, v5 bitop3:0x54
.LBB100_38:                             ;   in Loop: Header=BB100_36 Depth=1
	s_or_b32 exec_lo, exec_lo, s11
	v_and_b32_e32 v36, 0xffff, v36
	v_and_b32_e32 v43, 0xffff, v43
	v_dual_lshlrev_b32 v20, 16, v20 :: v_dual_lshlrev_b32 v1, 16, v1
	v_lshlrev_b32_e32 v34, 16, v34
	v_and_b32_e32 v44, 0xffff, v44
	v_lshl_or_b32 v36, v35, 16, v36
	v_lshl_or_b32 v35, v41, 16, v43
	v_and_b32_e32 v41, 0xffff, v42
	v_and_or_b32 v2, 0xffff, v2, v20
	v_and_or_b32 v1, 0xffff, v3, v1
	;; [unrolled: 1-line block ×3, first 2 shown]
	;;#ASMSTART
	v_pk_mul_f16 v2, v36, v2;

	;;#ASMEND
	;;#ASMSTART
	v_pk_mul_f16 v1, v35, v1;

	;;#ASMEND
	v_lshl_or_b32 v37, v37, 16, v44
	v_lshl_or_b32 v40, v40, 16, v41
	;;#ASMSTART
	v_pk_mul_f16 v3, v37, v3;

	;;#ASMEND
	;;#ASMSTART
	v_pk_mul_f16 v4, v40, v5;

	;;#ASMEND
	;;#ASMSTART
	v_pk_add_f16 v1, v2, v1;

	;;#ASMEND
	;;#ASMSTART
	v_pk_add_f16 v1, v1, v3;
	;; [unrolled: 4-line block ×3, first 2 shown]

	;;#ASMEND
	v_and_b32_e32 v2, 0xffff, v1
	v_lshrrev_b32_e32 v1, 16, v1
	;;#ASMSTART
	v_cvt_f32_f16 v41, v2;
	;;#ASMEND
	;;#ASMSTART
	v_cvt_f32_f16 v42, v1;
	;;#ASMEND
	global_load_b128 v[2:5], v[18:19], off offset:512
	s_wait_loadcnt 0x0
	v_dual_lshrrev_b32 v1, 16, v3 :: v_dual_lshrrev_b32 v20, 16, v2
	v_lshrrev_b32_e32 v34, 16, v4
	s_and_saveexec_b32 s11, vcc_lo
	s_cbranch_execz .LBB100_40
; %bb.39:                               ;   in Loop: Header=BB100_36 Depth=1
	v_cmp_gt_i32_e64 s0, s21, v24
	v_and_b32_e32 v43, 0xffff, v5
	v_and_b32_e32 v5, 0xffff0000, v5
	s_delay_alu instid0(VALU_DEP_3) | instskip(SKIP_1) | instid1(VALU_DEP_1)
	v_cndmask_b32_e64 v2, 0, v2, s0
	v_cmp_gt_i32_e64 s0, s21, v32
	v_cndmask_b32_e64 v3, 0, v3, s0
	v_cmp_gt_i32_e64 s0, s10, v33
	s_delay_alu instid0(VALU_DEP_1) | instskip(SKIP_1) | instid1(VALU_DEP_1)
	v_cndmask_b32_e64 v1, 0, v1, s0
	v_cmp_gt_i32_e64 s0, s21, v31
	v_cndmask_b32_e64 v20, 0, v20, s0
	v_cmp_gt_i32_e64 s0, s21, v30
	s_delay_alu instid0(VALU_DEP_1) | instskip(SKIP_1) | instid1(VALU_DEP_1)
	;; [unrolled: 5-line block ×3, first 2 shown]
	v_dual_cndmask_b32 v4, 0, v4, s0 :: v_dual_bitop2_b32 v5, v43, v5 bitop3:0x54
	v_cmp_gt_i32_e64 s0, s21, v27
	v_cndmask_b32_e64 v34, 0, v34, s0
.LBB100_40:                             ;   in Loop: Header=BB100_36 Depth=1
	s_or_b32 exec_lo, exec_lo, s11
	v_dual_lshlrev_b32 v20, 16, v20 :: v_dual_lshlrev_b32 v1, 16, v1
	s_delay_alu instid0(VALU_DEP_2) | instskip(NEXT) | instid1(VALU_DEP_2)
	v_lshlrev_b32_e32 v34, 16, v34
	v_and_or_b32 v2, 0xffff, v2, v20
	s_delay_alu instid0(VALU_DEP_3) | instskip(NEXT) | instid1(VALU_DEP_3)
	v_and_or_b32 v1, 0xffff, v3, v1
	v_and_or_b32 v3, 0xffff, v4, v34
	;;#ASMSTART
	v_pk_mul_f16 v2, v36, v2;

	;;#ASMEND
	;;#ASMSTART
	v_pk_mul_f16 v1, v35, v1;

	;;#ASMEND
	;; [unrolled: 4-line block ×4, first 2 shown]
	;;#ASMSTART
	v_pk_add_f16 v1, v2, v1;

	;;#ASMEND
	;;#ASMSTART
	v_pk_add_f16 v1, v1, v3;

	;;#ASMEND
	;;#ASMSTART
	v_pk_add_f16 v1, v1, v4;

	;;#ASMEND
	v_and_b32_e32 v2, 0xffff, v1
	v_lshrrev_b32_e32 v1, 16, v1
	;;#ASMSTART
	v_cvt_f32_f16 v43, v2;
	;;#ASMEND
	;;#ASMSTART
	v_cvt_f32_f16 v44, v1;
	;;#ASMEND
	global_load_b128 v[2:5], v[18:19], off offset:1024
	s_wait_loadcnt 0x0
	v_dual_lshrrev_b32 v1, 16, v3 :: v_dual_lshrrev_b32 v20, 16, v2
	v_lshrrev_b32_e32 v34, 16, v4
	s_and_saveexec_b32 s11, vcc_lo
	s_cbranch_execz .LBB100_42
; %bb.41:                               ;   in Loop: Header=BB100_36 Depth=1
	v_cmp_gt_i32_e64 s0, s21, v24
	v_and_b32_e32 v45, 0xffff, v5
	v_and_b32_e32 v5, 0xffff0000, v5
	s_delay_alu instid0(VALU_DEP_3) | instskip(SKIP_1) | instid1(VALU_DEP_1)
	v_cndmask_b32_e64 v2, 0, v2, s0
	v_cmp_gt_i32_e64 s0, s21, v32
	v_cndmask_b32_e64 v3, 0, v3, s0
	v_cmp_gt_i32_e64 s0, s10, v33
	s_delay_alu instid0(VALU_DEP_1) | instskip(SKIP_1) | instid1(VALU_DEP_1)
	v_cndmask_b32_e64 v1, 0, v1, s0
	v_cmp_gt_i32_e64 s0, s21, v31
	v_cndmask_b32_e64 v20, 0, v20, s0
	v_cmp_gt_i32_e64 s0, s21, v30
	s_delay_alu instid0(VALU_DEP_1) | instskip(SKIP_1) | instid1(VALU_DEP_1)
	;; [unrolled: 5-line block ×3, first 2 shown]
	v_cndmask_b32_e64 v4, 0, v4, s0
	v_cmp_gt_i32_e64 s0, s21, v27
	v_dual_cndmask_b32 v34, 0, v34, s0 :: v_dual_bitop2_b32 v5, v45, v5 bitop3:0x54
.LBB100_42:                             ;   in Loop: Header=BB100_36 Depth=1
	s_or_b32 exec_lo, exec_lo, s11
	v_dual_lshlrev_b32 v20, 16, v20 :: v_dual_lshlrev_b32 v1, 16, v1
	s_delay_alu instid0(VALU_DEP_2) | instskip(NEXT) | instid1(VALU_DEP_2)
	v_lshlrev_b32_e32 v34, 16, v34
	v_and_or_b32 v2, 0xffff, v2, v20
	s_delay_alu instid0(VALU_DEP_3) | instskip(NEXT) | instid1(VALU_DEP_3)
	v_and_or_b32 v1, 0xffff, v3, v1
	v_and_or_b32 v3, 0xffff, v4, v34
	;;#ASMSTART
	v_pk_mul_f16 v2, v36, v2;

	;;#ASMEND
	;;#ASMSTART
	v_pk_mul_f16 v1, v35, v1;

	;;#ASMEND
	;; [unrolled: 4-line block ×4, first 2 shown]
	;;#ASMSTART
	v_pk_add_f16 v1, v2, v1;

	;;#ASMEND
	;;#ASMSTART
	v_pk_add_f16 v1, v1, v3;

	;;#ASMEND
	;; [unrolled: 4-line block ×3, first 2 shown]
	v_and_b32_e32 v2, 0xffff, v1
	v_lshrrev_b32_e32 v1, 16, v1
	;;#ASMSTART
	v_cvt_f32_f16 v45, v2;
	;;#ASMEND
	;;#ASMSTART
	v_cvt_f32_f16 v46, v1;
	;;#ASMEND
	global_load_b128 v[2:5], v[18:19], off offset:1536
	s_wait_loadcnt 0x0
	v_dual_lshrrev_b32 v1, 16, v3 :: v_dual_lshrrev_b32 v20, 16, v2
	v_lshrrev_b32_e32 v34, 16, v4
	s_and_saveexec_b32 s11, vcc_lo
	s_cbranch_execz .LBB100_44
; %bb.43:                               ;   in Loop: Header=BB100_36 Depth=1
	v_cmp_gt_i32_e64 s0, s21, v24
	v_and_b32_e32 v47, 0xffff, v5
	v_and_b32_e32 v5, 0xffff0000, v5
	s_delay_alu instid0(VALU_DEP_3) | instskip(SKIP_1) | instid1(VALU_DEP_1)
	v_cndmask_b32_e64 v2, 0, v2, s0
	v_cmp_gt_i32_e64 s0, s21, v32
	v_cndmask_b32_e64 v3, 0, v3, s0
	v_cmp_gt_i32_e64 s0, s10, v33
	s_delay_alu instid0(VALU_DEP_1) | instskip(SKIP_1) | instid1(VALU_DEP_1)
	v_cndmask_b32_e64 v1, 0, v1, s0
	v_cmp_gt_i32_e64 s0, s21, v31
	v_cndmask_b32_e64 v20, 0, v20, s0
	v_cmp_gt_i32_e64 s0, s21, v30
	s_delay_alu instid0(VALU_DEP_1) | instskip(SKIP_1) | instid1(VALU_DEP_1)
	;; [unrolled: 5-line block ×3, first 2 shown]
	v_dual_cndmask_b32 v4, 0, v4, s0 :: v_dual_bitop2_b32 v5, v47, v5 bitop3:0x54
	v_cmp_gt_i32_e64 s0, s21, v27
	v_cndmask_b32_e64 v34, 0, v34, s0
.LBB100_44:                             ;   in Loop: Header=BB100_36 Depth=1
	s_or_b32 exec_lo, exec_lo, s11
	v_dual_lshlrev_b32 v20, 16, v20 :: v_dual_lshlrev_b32 v1, 16, v1
	s_delay_alu instid0(VALU_DEP_2) | instskip(NEXT) | instid1(VALU_DEP_2)
	v_lshlrev_b32_e32 v34, 16, v34
	v_and_or_b32 v2, 0xffff, v2, v20
	s_delay_alu instid0(VALU_DEP_3) | instskip(NEXT) | instid1(VALU_DEP_3)
	v_and_or_b32 v1, 0xffff, v3, v1
	v_and_or_b32 v3, 0xffff, v4, v34
	;;#ASMSTART
	v_pk_mul_f16 v2, v36, v2;

	;;#ASMEND
	;;#ASMSTART
	v_pk_mul_f16 v1, v35, v1;

	;;#ASMEND
	;; [unrolled: 4-line block ×4, first 2 shown]
	;;#ASMSTART
	v_pk_add_f16 v1, v2, v1;

	;;#ASMEND
	;;#ASMSTART
	v_pk_add_f16 v1, v1, v3;

	;;#ASMEND
	;;#ASMSTART
	v_pk_add_f16 v1, v1, v4;

	;;#ASMEND
	v_and_b32_e32 v2, 0xffff, v1
	v_lshrrev_b32_e32 v1, 16, v1
	;;#ASMSTART
	v_cvt_f32_f16 v47, v2;
	;;#ASMEND
	;;#ASMSTART
	v_cvt_f32_f16 v48, v1;
	;;#ASMEND
	global_load_b128 v[2:5], v[18:19], off offset:2048
	s_wait_loadcnt 0x0
	v_dual_lshrrev_b32 v1, 16, v3 :: v_dual_lshrrev_b32 v20, 16, v2
	v_lshrrev_b32_e32 v34, 16, v4
	s_and_saveexec_b32 s11, vcc_lo
	s_cbranch_execz .LBB100_46
; %bb.45:                               ;   in Loop: Header=BB100_36 Depth=1
	v_cmp_gt_i32_e64 s0, s21, v24
	v_and_b32_e32 v49, 0xffff, v5
	v_and_b32_e32 v5, 0xffff0000, v5
	s_delay_alu instid0(VALU_DEP_3) | instskip(SKIP_1) | instid1(VALU_DEP_1)
	v_cndmask_b32_e64 v2, 0, v2, s0
	v_cmp_gt_i32_e64 s0, s21, v32
	v_cndmask_b32_e64 v3, 0, v3, s0
	v_cmp_gt_i32_e64 s0, s10, v33
	s_delay_alu instid0(VALU_DEP_1) | instskip(SKIP_1) | instid1(VALU_DEP_1)
	v_cndmask_b32_e64 v1, 0, v1, s0
	v_cmp_gt_i32_e64 s0, s21, v31
	v_cndmask_b32_e64 v20, 0, v20, s0
	v_cmp_gt_i32_e64 s0, s21, v30
	s_delay_alu instid0(VALU_DEP_1) | instskip(SKIP_1) | instid1(VALU_DEP_1)
	;; [unrolled: 5-line block ×3, first 2 shown]
	v_cndmask_b32_e64 v4, 0, v4, s0
	v_cmp_gt_i32_e64 s0, s21, v27
	v_dual_cndmask_b32 v34, 0, v34, s0 :: v_dual_bitop2_b32 v5, v49, v5 bitop3:0x54
.LBB100_46:                             ;   in Loop: Header=BB100_36 Depth=1
	s_or_b32 exec_lo, exec_lo, s11
	v_dual_lshlrev_b32 v20, 16, v20 :: v_dual_lshlrev_b32 v1, 16, v1
	s_delay_alu instid0(VALU_DEP_2) | instskip(NEXT) | instid1(VALU_DEP_2)
	v_lshlrev_b32_e32 v34, 16, v34
	v_and_or_b32 v2, 0xffff, v2, v20
	s_delay_alu instid0(VALU_DEP_3) | instskip(NEXT) | instid1(VALU_DEP_3)
	v_and_or_b32 v1, 0xffff, v3, v1
	v_and_or_b32 v3, 0xffff, v4, v34
	;;#ASMSTART
	v_pk_mul_f16 v2, v36, v2;

	;;#ASMEND
	;;#ASMSTART
	v_pk_mul_f16 v1, v35, v1;

	;;#ASMEND
	;; [unrolled: 4-line block ×4, first 2 shown]
	;;#ASMSTART
	v_pk_add_f16 v1, v2, v1;

	;;#ASMEND
	;;#ASMSTART
	v_pk_add_f16 v1, v1, v3;

	;;#ASMEND
	;; [unrolled: 4-line block ×3, first 2 shown]
	v_and_b32_e32 v2, 0xffff, v1
	v_lshrrev_b32_e32 v1, 16, v1
	;;#ASMSTART
	v_cvt_f32_f16 v49, v2;
	;;#ASMEND
	;;#ASMSTART
	v_cvt_f32_f16 v50, v1;
	;;#ASMEND
	global_load_b128 v[2:5], v[18:19], off offset:2560
	s_wait_loadcnt 0x0
	v_dual_lshrrev_b32 v1, 16, v3 :: v_dual_lshrrev_b32 v20, 16, v2
	v_lshrrev_b32_e32 v34, 16, v4
	s_and_saveexec_b32 s11, vcc_lo
	s_cbranch_execz .LBB100_48
; %bb.47:                               ;   in Loop: Header=BB100_36 Depth=1
	v_cmp_gt_i32_e64 s0, s21, v24
	v_and_b32_e32 v51, 0xffff, v5
	v_and_b32_e32 v5, 0xffff0000, v5
	s_delay_alu instid0(VALU_DEP_3) | instskip(SKIP_1) | instid1(VALU_DEP_1)
	v_cndmask_b32_e64 v2, 0, v2, s0
	v_cmp_gt_i32_e64 s0, s21, v32
	v_cndmask_b32_e64 v3, 0, v3, s0
	v_cmp_gt_i32_e64 s0, s10, v33
	s_delay_alu instid0(VALU_DEP_1) | instskip(SKIP_1) | instid1(VALU_DEP_1)
	v_cndmask_b32_e64 v1, 0, v1, s0
	v_cmp_gt_i32_e64 s0, s21, v31
	v_cndmask_b32_e64 v20, 0, v20, s0
	v_cmp_gt_i32_e64 s0, s21, v30
	s_delay_alu instid0(VALU_DEP_1) | instskip(SKIP_1) | instid1(VALU_DEP_1)
	;; [unrolled: 5-line block ×3, first 2 shown]
	v_dual_cndmask_b32 v4, 0, v4, s0 :: v_dual_bitop2_b32 v5, v51, v5 bitop3:0x54
	v_cmp_gt_i32_e64 s0, s21, v27
	v_cndmask_b32_e64 v34, 0, v34, s0
.LBB100_48:                             ;   in Loop: Header=BB100_36 Depth=1
	s_or_b32 exec_lo, exec_lo, s11
	v_dual_lshlrev_b32 v20, 16, v20 :: v_dual_lshlrev_b32 v1, 16, v1
	s_delay_alu instid0(VALU_DEP_2) | instskip(NEXT) | instid1(VALU_DEP_2)
	v_lshlrev_b32_e32 v34, 16, v34
	v_and_or_b32 v2, 0xffff, v2, v20
	s_delay_alu instid0(VALU_DEP_3) | instskip(NEXT) | instid1(VALU_DEP_3)
	v_and_or_b32 v1, 0xffff, v3, v1
	v_and_or_b32 v3, 0xffff, v4, v34
	;;#ASMSTART
	v_pk_mul_f16 v2, v36, v2;

	;;#ASMEND
	;;#ASMSTART
	v_pk_mul_f16 v1, v35, v1;

	;;#ASMEND
	;; [unrolled: 4-line block ×4, first 2 shown]
	;;#ASMSTART
	v_pk_add_f16 v1, v2, v1;

	;;#ASMEND
	;;#ASMSTART
	v_pk_add_f16 v1, v1, v3;

	;;#ASMEND
	;; [unrolled: 4-line block ×3, first 2 shown]
	v_and_b32_e32 v2, 0xffff, v1
	v_lshrrev_b32_e32 v1, 16, v1
	;;#ASMSTART
	v_cvt_f32_f16 v51, v2;
	;;#ASMEND
	;;#ASMSTART
	v_cvt_f32_f16 v52, v1;
	;;#ASMEND
	global_load_b128 v[2:5], v[18:19], off offset:3072
	s_wait_loadcnt 0x0
	v_dual_lshrrev_b32 v1, 16, v3 :: v_dual_lshrrev_b32 v20, 16, v2
	v_lshrrev_b32_e32 v34, 16, v4
	s_and_saveexec_b32 s11, vcc_lo
	s_cbranch_execz .LBB100_50
; %bb.49:                               ;   in Loop: Header=BB100_36 Depth=1
	v_cmp_gt_i32_e64 s0, s21, v24
	v_and_b32_e32 v53, 0xffff, v5
	v_and_b32_e32 v5, 0xffff0000, v5
	s_delay_alu instid0(VALU_DEP_3) | instskip(SKIP_1) | instid1(VALU_DEP_1)
	v_cndmask_b32_e64 v2, 0, v2, s0
	v_cmp_gt_i32_e64 s0, s21, v32
	v_cndmask_b32_e64 v3, 0, v3, s0
	v_cmp_gt_i32_e64 s0, s10, v33
	s_delay_alu instid0(VALU_DEP_1) | instskip(SKIP_1) | instid1(VALU_DEP_1)
	v_cndmask_b32_e64 v1, 0, v1, s0
	v_cmp_gt_i32_e64 s0, s21, v31
	v_cndmask_b32_e64 v20, 0, v20, s0
	v_cmp_gt_i32_e64 s0, s21, v30
	s_delay_alu instid0(VALU_DEP_1) | instskip(SKIP_1) | instid1(VALU_DEP_1)
	;; [unrolled: 5-line block ×3, first 2 shown]
	v_cndmask_b32_e64 v4, 0, v4, s0
	v_cmp_gt_i32_e64 s0, s21, v27
	v_dual_cndmask_b32 v34, 0, v34, s0 :: v_dual_bitop2_b32 v5, v53, v5 bitop3:0x54
.LBB100_50:                             ;   in Loop: Header=BB100_36 Depth=1
	s_or_b32 exec_lo, exec_lo, s11
	v_dual_lshlrev_b32 v20, 16, v20 :: v_dual_lshlrev_b32 v1, 16, v1
	s_delay_alu instid0(VALU_DEP_2) | instskip(NEXT) | instid1(VALU_DEP_2)
	v_lshlrev_b32_e32 v34, 16, v34
	v_and_or_b32 v2, 0xffff, v2, v20
	s_delay_alu instid0(VALU_DEP_3) | instskip(NEXT) | instid1(VALU_DEP_3)
	v_and_or_b32 v1, 0xffff, v3, v1
	v_and_or_b32 v3, 0xffff, v4, v34
	;;#ASMSTART
	v_pk_mul_f16 v2, v36, v2;

	;;#ASMEND
	;;#ASMSTART
	v_pk_mul_f16 v1, v35, v1;

	;;#ASMEND
	;; [unrolled: 4-line block ×4, first 2 shown]
	;;#ASMSTART
	v_pk_add_f16 v1, v2, v1;

	;;#ASMEND
	;;#ASMSTART
	v_pk_add_f16 v1, v1, v3;

	;;#ASMEND
	;; [unrolled: 4-line block ×3, first 2 shown]
	v_and_b32_e32 v2, 0xffff, v1
	v_lshrrev_b32_e32 v1, 16, v1
	;;#ASMSTART
	v_cvt_f32_f16 v20, v2;
	;;#ASMEND
	;;#ASMSTART
	v_cvt_f32_f16 v34, v1;
	;;#ASMEND
	global_load_b128 v[2:5], v[18:19], off offset:3584
	s_wait_loadcnt 0x0
	v_dual_lshrrev_b32 v1, 16, v3 :: v_dual_lshrrev_b32 v18, 16, v2
	v_lshrrev_b32_e32 v19, 16, v4
	s_and_saveexec_b32 s0, vcc_lo
	s_cbranch_execz .LBB100_35
; %bb.51:                               ;   in Loop: Header=BB100_36 Depth=1
	v_cmp_gt_i32_e32 vcc_lo, s21, v24
	v_cndmask_b32_e32 v2, 0, v2, vcc_lo
	v_cmp_gt_i32_e32 vcc_lo, s21, v32
	v_and_b32_e32 v32, 0xffff, v5
	v_and_b32_e32 v5, 0xffff0000, v5
	v_cndmask_b32_e32 v3, 0, v3, vcc_lo
	v_cmp_gt_i32_e32 vcc_lo, s10, v33
	v_cndmask_b32_e32 v1, 0, v1, vcc_lo
	v_cmp_gt_i32_e32 vcc_lo, s21, v31
	;; [unrolled: 2-line block ×5, first 2 shown]
	s_delay_alu instid0(VALU_DEP_2)
	v_dual_cndmask_b32 v4, 0, v4, vcc_lo :: v_dual_bitop2_b32 v5, v30, v5 bitop3:0x54
	v_cmp_gt_i32_e32 vcc_lo, s21, v27
	v_cndmask_b32_e32 v19, 0, v19, vcc_lo
	s_branch .LBB100_35
.LBB100_52:
	s_or_b32 exec_lo, exec_lo, s5
.LBB100_53:
	s_delay_alu instid0(SALU_CYCLE_1)
	s_or_b32 exec_lo, exec_lo, s1
	ds_bpermute_b32 v2, v22, v12
	ds_bpermute_b32 v3, v22, v13
	;; [unrolled: 1-line block ×8, first 2 shown]
	v_and_b32_e32 v18, 0x3c3, v0
	v_and_b32_e32 v1, 28, v39
	s_mov_b32 s0, exec_lo
	s_wait_dscnt 0x0
	s_barrier_signal -1
	s_barrier_wait -1
	v_pk_add_f32 v[2:3], v[12:13], v[2:3]
	v_pk_add_f32 v[4:5], v[10:11], v[4:5]
	v_pk_add_f32 v[12:13], v[8:9], v[14:15]
	v_pk_add_f32 v[8:9], v[6:7], v[16:17]
	ds_bpermute_b32 v6, v21, v2
	ds_bpermute_b32 v7, v21, v3
	;; [unrolled: 1-line block ×8, first 2 shown]
	s_wait_dscnt 0x6
	v_pk_add_f32 v[6:7], v[2:3], v[6:7]
	s_wait_dscnt 0x4
	v_pk_add_f32 v[4:5], v[4:5], v[14:15]
	;; [unrolled: 2-line block ×3, first 2 shown]
	v_cmpx_ne_u32_e32 64, v18
	s_xor_b32 s0, exec_lo, s0
	s_delay_alu instid0(SALU_CYCLE_1)
	s_or_saveexec_b32 s0, s0
	s_wait_dscnt 0x0
	v_pk_add_f32 v[8:9], v[8:9], v[10:11]
	v_lshrrev_b32_e32 v11, 2, v39
	v_add_nc_u32_e32 v10, 0xa0, v1
	v_lshlrev_b32_e32 v1, 8, v38
	s_xor_b32 exec_lo, exec_lo, s0
	s_cbranch_execz .LBB100_55
; %bb.54:
	s_delay_alu instid0(VALU_DEP_1) | instskip(NEXT) | instid1(VALU_DEP_1)
	v_add_nc_u32_e32 v12, v10, v1
	v_add_nc_u32_e32 v13, 0xfffffe00, v12
	;; [unrolled: 1-line block ×9, first 2 shown]
	ds_store_b32 v13, v6
	ds_store_b32 v14, v7
	;; [unrolled: 1-line block ×8, first 2 shown]
.LBB100_55:
	s_or_b32 exec_lo, exec_lo, s0
	v_lshlrev_b32_e32 v11, 2, v11
	s_mov_b32 s1, exec_lo
	v_cmp_eq_u32_e32 vcc_lo, 0, v23
	s_wait_dscnt 0x0
	s_barrier_signal -1
	v_add3_u32 v1, 0xa0, v1, v11
	s_barrier_wait -1
	v_cmpx_gt_u32_e32 64, v0
	s_cbranch_execz .LBB100_66
; %bb.56:
	s_and_saveexec_b32 s0, vcc_lo
	s_cbranch_execnz .LBB100_82
; %bb.57:
	s_or_b32 exec_lo, exec_lo, s0
	s_and_saveexec_b32 s0, vcc_lo
	s_cbranch_execnz .LBB100_83
.LBB100_58:
	s_or_b32 exec_lo, exec_lo, s0
	s_and_saveexec_b32 s0, vcc_lo
	s_cbranch_execnz .LBB100_84
.LBB100_59:
	s_or_b32 exec_lo, exec_lo, s0
	s_and_saveexec_b32 s0, vcc_lo
	s_cbranch_execnz .LBB100_85
.LBB100_60:
	s_or_b32 exec_lo, exec_lo, s0
	s_and_saveexec_b32 s0, vcc_lo
	s_cbranch_execnz .LBB100_86
.LBB100_61:
	s_or_b32 exec_lo, exec_lo, s0
	s_and_saveexec_b32 s0, vcc_lo
	s_cbranch_execnz .LBB100_87
.LBB100_62:
	s_or_b32 exec_lo, exec_lo, s0
	s_and_saveexec_b32 s0, vcc_lo
	s_cbranch_execnz .LBB100_88
.LBB100_63:
	s_or_b32 exec_lo, exec_lo, s0
	s_and_saveexec_b32 s0, vcc_lo
	s_cbranch_execz .LBB100_65
.LBB100_64:
	ds_load_b32 v11, v1 offset:224
	s_wait_dscnt 0x0
	v_add_f32_e32 v9, v9, v11
.LBB100_65:
	s_or_b32 exec_lo, exec_lo, s0
.LBB100_66:
	s_delay_alu instid0(SALU_CYCLE_1) | instskip(SKIP_4) | instid1(VALU_DEP_1)
	s_or_b32 exec_lo, exec_lo, s1
	v_and_b32_e32 v11, 0x3e3, v0
	s_mov_b32 s1, exec_lo
	s_barrier_signal -1
	s_barrier_wait -1
	v_cmpx_eq_u32_e32 32, v11
	s_cbranch_execz .LBB100_68
; %bb.67:
	ds_store_2addr_b32 v10, v6, v7 offset1:8
	ds_store_2addr_b32 v10, v4, v5 offset0:16 offset1:24
	ds_store_2addr_b32 v10, v2, v3 offset0:32 offset1:40
	;; [unrolled: 1-line block ×3, first 2 shown]
.LBB100_68:
	s_or_b32 exec_lo, exec_lo, s1
	s_delay_alu instid0(SALU_CYCLE_1)
	s_mov_b32 s1, exec_lo
	s_wait_dscnt 0x0
	s_barrier_signal -1
	s_barrier_wait -1
	v_cmpx_gt_u32_e32 32, v0
	s_cbranch_execz .LBB100_79
; %bb.69:
	s_and_saveexec_b32 s0, vcc_lo
	s_cbranch_execnz .LBB100_89
; %bb.70:
	s_or_b32 exec_lo, exec_lo, s0
	s_and_saveexec_b32 s0, vcc_lo
	s_cbranch_execnz .LBB100_90
.LBB100_71:
	s_or_b32 exec_lo, exec_lo, s0
	s_and_saveexec_b32 s0, vcc_lo
	s_cbranch_execnz .LBB100_91
.LBB100_72:
	s_or_b32 exec_lo, exec_lo, s0
	s_and_saveexec_b32 s0, vcc_lo
	s_cbranch_execnz .LBB100_92
.LBB100_73:
	s_or_b32 exec_lo, exec_lo, s0
	s_and_saveexec_b32 s0, vcc_lo
	s_cbranch_execnz .LBB100_93
.LBB100_74:
	s_or_b32 exec_lo, exec_lo, s0
	s_and_saveexec_b32 s0, vcc_lo
	s_cbranch_execnz .LBB100_94
.LBB100_75:
	s_or_b32 exec_lo, exec_lo, s0
	s_and_saveexec_b32 s0, vcc_lo
	s_cbranch_execnz .LBB100_95
.LBB100_76:
	s_or_b32 exec_lo, exec_lo, s0
	s_and_saveexec_b32 s0, vcc_lo
	s_cbranch_execz .LBB100_78
.LBB100_77:
	ds_load_b32 v1, v1 offset:224
	s_wait_dscnt 0x0
	v_add_f32_e32 v9, v9, v1
.LBB100_78:
	s_or_b32 exec_lo, exec_lo, s0
.LBB100_79:
	s_delay_alu instid0(SALU_CYCLE_1)
	s_or_b32 exec_lo, exec_lo, s1
	s_mov_b32 s1, 0
	s_barrier_signal -1
	s_barrier_wait -1
	s_mov_b32 s0, exec_lo
	v_cmpx_eq_u32_e32 0, v11
	s_cbranch_execz .LBB100_81
; %bb.80:
	s_mul_i32 s0, s20, s9
	s_mul_i32 s2, s9, s8
	;; [unrolled: 1-line block ×3, first 2 shown]
	s_lshr_b32 s8, ttmp7, 16
	s_lshl_b32 s4, s0, 6
	s_bfe_u32 s0, ttmp6, 0x40014
	s_ashr_i32 s5, s4, 31
	s_add_co_i32 s0, s0, 1
	s_lshl_b64 s[4:5], s[4:5], 1
	s_ashr_i32 s3, s2, 31
	s_wait_kmcnt 0x0
	s_add_nc_u64 s[4:5], s[6:7], s[4:5]
	s_mul_i32 s0, s8, s0
	s_bfe_u32 s6, ttmp6, 0x40008
	s_lshl_b64 s[2:3], s[2:3], 1
	s_add_co_i32 s6, s6, s0
	s_cmp_eq_u32 s18, 0
	v_lshrrev_b32_e32 v0, 1, v0
	s_cselect_b32 s0, s8, s6
	s_add_nc_u64 s[2:3], s[4:5], s[2:3]
	s_lshl_b32 s0, s0, 7
	;;#ASMSTART
	v_cvt_f16_f32 v1, v6;

	;;#ASMEND
	s_add_nc_u64 s[0:1], s[2:3], s[0:1]
	global_store_b16 v0, v1, s[0:1]
	s_wait_xcnt 0x0
	;;#ASMSTART
	v_cvt_f16_f32 v1, v7;

	;;#ASMEND
	global_store_b16 v0, v1, s[0:1] offset:16
	s_wait_xcnt 0x0
	;;#ASMSTART
	v_cvt_f16_f32 v1, v4;

	;;#ASMEND
	global_store_b16 v0, v1, s[0:1] offset:32
	s_wait_xcnt 0x0
	;;#ASMSTART
	v_cvt_f16_f32 v1, v5;

	;;#ASMEND
	global_store_b16 v0, v1, s[0:1] offset:48
	s_wait_xcnt 0x0
	;;#ASMSTART
	v_cvt_f16_f32 v1, v2;

	;;#ASMEND
	global_store_b16 v0, v1, s[0:1] offset:64
	s_wait_xcnt 0x0
	;;#ASMSTART
	v_cvt_f16_f32 v1, v3;

	;;#ASMEND
	global_store_b16 v0, v1, s[0:1] offset:80
	s_wait_xcnt 0x0
	;;#ASMSTART
	v_cvt_f16_f32 v1, v8;

	;;#ASMEND
	global_store_b16 v0, v1, s[0:1] offset:96
	s_wait_xcnt 0x0
	;;#ASMSTART
	v_cvt_f16_f32 v1, v9;

	;;#ASMEND
	global_store_b16 v0, v1, s[0:1] offset:112
.LBB100_81:
	s_sendmsg sendmsg(MSG_DEALLOC_VGPRS)
	s_endpgm
.LBB100_82:
	ds_load_b32 v11, v1
	s_wait_dscnt 0x0
	v_add_f32_e32 v6, v6, v11
	s_or_b32 exec_lo, exec_lo, s0
	s_and_saveexec_b32 s0, vcc_lo
	s_cbranch_execz .LBB100_58
.LBB100_83:
	ds_load_b32 v11, v1 offset:32
	s_wait_dscnt 0x0
	v_add_f32_e32 v7, v7, v11
	s_or_b32 exec_lo, exec_lo, s0
	s_and_saveexec_b32 s0, vcc_lo
	s_cbranch_execz .LBB100_59
.LBB100_84:
	ds_load_b32 v11, v1 offset:64
	s_wait_dscnt 0x0
	v_add_f32_e32 v4, v4, v11
	s_or_b32 exec_lo, exec_lo, s0
	s_and_saveexec_b32 s0, vcc_lo
	s_cbranch_execz .LBB100_60
.LBB100_85:
	ds_load_b32 v11, v1 offset:96
	s_wait_dscnt 0x0
	v_add_f32_e32 v5, v5, v11
	s_or_b32 exec_lo, exec_lo, s0
	s_and_saveexec_b32 s0, vcc_lo
	s_cbranch_execz .LBB100_61
.LBB100_86:
	ds_load_b32 v11, v1 offset:128
	s_wait_dscnt 0x0
	v_add_f32_e32 v2, v2, v11
	s_or_b32 exec_lo, exec_lo, s0
	s_and_saveexec_b32 s0, vcc_lo
	s_cbranch_execz .LBB100_62
.LBB100_87:
	ds_load_b32 v11, v1 offset:160
	s_wait_dscnt 0x0
	v_add_f32_e32 v3, v3, v11
	s_or_b32 exec_lo, exec_lo, s0
	s_and_saveexec_b32 s0, vcc_lo
	s_cbranch_execz .LBB100_63
.LBB100_88:
	ds_load_b32 v11, v1 offset:192
	s_wait_dscnt 0x0
	v_add_f32_e32 v8, v8, v11
	s_or_b32 exec_lo, exec_lo, s0
	s_and_saveexec_b32 s0, vcc_lo
	s_cbranch_execnz .LBB100_64
	s_branch .LBB100_65
.LBB100_89:
	ds_load_b32 v10, v1
	s_wait_dscnt 0x0
	v_add_f32_e32 v6, v6, v10
	s_or_b32 exec_lo, exec_lo, s0
	s_and_saveexec_b32 s0, vcc_lo
	s_cbranch_execz .LBB100_71
.LBB100_90:
	ds_load_b32 v10, v1 offset:32
	s_wait_dscnt 0x0
	v_add_f32_e32 v7, v7, v10
	s_or_b32 exec_lo, exec_lo, s0
	s_and_saveexec_b32 s0, vcc_lo
	s_cbranch_execz .LBB100_72
.LBB100_91:
	ds_load_b32 v10, v1 offset:64
	s_wait_dscnt 0x0
	v_add_f32_e32 v4, v4, v10
	s_or_b32 exec_lo, exec_lo, s0
	s_and_saveexec_b32 s0, vcc_lo
	s_cbranch_execz .LBB100_73
.LBB100_92:
	ds_load_b32 v10, v1 offset:96
	s_wait_dscnt 0x0
	v_add_f32_e32 v5, v5, v10
	s_or_b32 exec_lo, exec_lo, s0
	s_and_saveexec_b32 s0, vcc_lo
	s_cbranch_execz .LBB100_74
.LBB100_93:
	ds_load_b32 v10, v1 offset:128
	s_wait_dscnt 0x0
	v_add_f32_e32 v2, v2, v10
	s_or_b32 exec_lo, exec_lo, s0
	s_and_saveexec_b32 s0, vcc_lo
	s_cbranch_execz .LBB100_75
.LBB100_94:
	ds_load_b32 v10, v1 offset:160
	s_wait_dscnt 0x0
	v_add_f32_e32 v3, v3, v10
	s_or_b32 exec_lo, exec_lo, s0
	s_and_saveexec_b32 s0, vcc_lo
	s_cbranch_execz .LBB100_76
.LBB100_95:
	ds_load_b32 v10, v1 offset:192
	s_wait_dscnt 0x0
	v_add_f32_e32 v8, v8, v10
	s_or_b32 exec_lo, exec_lo, s0
	s_and_saveexec_b32 s0, vcc_lo
	s_cbranch_execnz .LBB100_77
	s_branch .LBB100_78
	.section	.rodata,"a",@progbits
	.p2align	6, 0x0
	.amdhsa_kernel _ZN4vllm25paged_attention_v1_kernelIttLi64ELi32ELi128ELNS_18Fp8KVCacheDataTypeE0ELb0EEEvPT_PKS2_PKT0_S8_ifPKiSA_iPKfiiiSC_SC_iiiii
		.amdhsa_group_segment_fixed_size 160
		.amdhsa_private_segment_fixed_size 0
		.amdhsa_kernarg_size 384
		.amdhsa_user_sgpr_count 2
		.amdhsa_user_sgpr_dispatch_ptr 0
		.amdhsa_user_sgpr_queue_ptr 0
		.amdhsa_user_sgpr_kernarg_segment_ptr 1
		.amdhsa_user_sgpr_dispatch_id 0
		.amdhsa_user_sgpr_kernarg_preload_length 0
		.amdhsa_user_sgpr_kernarg_preload_offset 0
		.amdhsa_user_sgpr_private_segment_size 0
		.amdhsa_wavefront_size32 1
		.amdhsa_uses_dynamic_stack 0
		.amdhsa_enable_private_segment 0
		.amdhsa_system_sgpr_workgroup_id_x 1
		.amdhsa_system_sgpr_workgroup_id_y 1
		.amdhsa_system_sgpr_workgroup_id_z 1
		.amdhsa_system_sgpr_workgroup_info 0
		.amdhsa_system_vgpr_workitem_id 0
		.amdhsa_next_free_vgpr 94
		.amdhsa_next_free_sgpr 28
		.amdhsa_named_barrier_count 0
		.amdhsa_reserve_vcc 1
		.amdhsa_float_round_mode_32 0
		.amdhsa_float_round_mode_16_64 0
		.amdhsa_float_denorm_mode_32 3
		.amdhsa_float_denorm_mode_16_64 3
		.amdhsa_fp16_overflow 0
		.amdhsa_memory_ordered 1
		.amdhsa_forward_progress 1
		.amdhsa_inst_pref_size 62
		.amdhsa_round_robin_scheduling 0
		.amdhsa_exception_fp_ieee_invalid_op 0
		.amdhsa_exception_fp_denorm_src 0
		.amdhsa_exception_fp_ieee_div_zero 0
		.amdhsa_exception_fp_ieee_overflow 0
		.amdhsa_exception_fp_ieee_underflow 0
		.amdhsa_exception_fp_ieee_inexact 0
		.amdhsa_exception_int_div_zero 0
	.end_amdhsa_kernel
	.section	.text._ZN4vllm25paged_attention_v1_kernelIttLi64ELi32ELi128ELNS_18Fp8KVCacheDataTypeE0ELb0EEEvPT_PKS2_PKT0_S8_ifPKiSA_iPKfiiiSC_SC_iiiii,"axG",@progbits,_ZN4vllm25paged_attention_v1_kernelIttLi64ELi32ELi128ELNS_18Fp8KVCacheDataTypeE0ELb0EEEvPT_PKS2_PKT0_S8_ifPKiSA_iPKfiiiSC_SC_iiiii,comdat
.Lfunc_end100:
	.size	_ZN4vllm25paged_attention_v1_kernelIttLi64ELi32ELi128ELNS_18Fp8KVCacheDataTypeE0ELb0EEEvPT_PKS2_PKT0_S8_ifPKiSA_iPKfiiiSC_SC_iiiii, .Lfunc_end100-_ZN4vllm25paged_attention_v1_kernelIttLi64ELi32ELi128ELNS_18Fp8KVCacheDataTypeE0ELb0EEEvPT_PKS2_PKT0_S8_ifPKiSA_iPKfiiiSC_SC_iiiii
                                        ; -- End function
	.set _ZN4vllm25paged_attention_v1_kernelIttLi64ELi32ELi128ELNS_18Fp8KVCacheDataTypeE0ELb0EEEvPT_PKS2_PKT0_S8_ifPKiSA_iPKfiiiSC_SC_iiiii.num_vgpr, 94
	.set _ZN4vllm25paged_attention_v1_kernelIttLi64ELi32ELi128ELNS_18Fp8KVCacheDataTypeE0ELb0EEEvPT_PKS2_PKT0_S8_ifPKiSA_iPKfiiiSC_SC_iiiii.num_agpr, 0
	.set _ZN4vllm25paged_attention_v1_kernelIttLi64ELi32ELi128ELNS_18Fp8KVCacheDataTypeE0ELb0EEEvPT_PKS2_PKT0_S8_ifPKiSA_iPKfiiiSC_SC_iiiii.numbered_sgpr, 28
	.set _ZN4vllm25paged_attention_v1_kernelIttLi64ELi32ELi128ELNS_18Fp8KVCacheDataTypeE0ELb0EEEvPT_PKS2_PKT0_S8_ifPKiSA_iPKfiiiSC_SC_iiiii.num_named_barrier, 0
	.set _ZN4vllm25paged_attention_v1_kernelIttLi64ELi32ELi128ELNS_18Fp8KVCacheDataTypeE0ELb0EEEvPT_PKS2_PKT0_S8_ifPKiSA_iPKfiiiSC_SC_iiiii.private_seg_size, 0
	.set _ZN4vllm25paged_attention_v1_kernelIttLi64ELi32ELi128ELNS_18Fp8KVCacheDataTypeE0ELb0EEEvPT_PKS2_PKT0_S8_ifPKiSA_iPKfiiiSC_SC_iiiii.uses_vcc, 1
	.set _ZN4vllm25paged_attention_v1_kernelIttLi64ELi32ELi128ELNS_18Fp8KVCacheDataTypeE0ELb0EEEvPT_PKS2_PKT0_S8_ifPKiSA_iPKfiiiSC_SC_iiiii.uses_flat_scratch, 0
	.set _ZN4vllm25paged_attention_v1_kernelIttLi64ELi32ELi128ELNS_18Fp8KVCacheDataTypeE0ELb0EEEvPT_PKS2_PKT0_S8_ifPKiSA_iPKfiiiSC_SC_iiiii.has_dyn_sized_stack, 0
	.set _ZN4vllm25paged_attention_v1_kernelIttLi64ELi32ELi128ELNS_18Fp8KVCacheDataTypeE0ELb0EEEvPT_PKS2_PKT0_S8_ifPKiSA_iPKfiiiSC_SC_iiiii.has_recursion, 0
	.set _ZN4vllm25paged_attention_v1_kernelIttLi64ELi32ELi128ELNS_18Fp8KVCacheDataTypeE0ELb0EEEvPT_PKS2_PKT0_S8_ifPKiSA_iPKfiiiSC_SC_iiiii.has_indirect_call, 0
	.section	.AMDGPU.csdata,"",@progbits
; Kernel info:
; codeLenInByte = 7928
; TotalNumSgprs: 30
; NumVgprs: 94
; ScratchSize: 0
; MemoryBound: 0
; FloatMode: 240
; IeeeMode: 1
; LDSByteSize: 160 bytes/workgroup (compile time only)
; SGPRBlocks: 0
; VGPRBlocks: 5
; NumSGPRsForWavesPerEU: 30
; NumVGPRsForWavesPerEU: 94
; NamedBarCnt: 0
; Occupancy: 10
; WaveLimiterHint : 1
; COMPUTE_PGM_RSRC2:SCRATCH_EN: 0
; COMPUTE_PGM_RSRC2:USER_SGPR: 2
; COMPUTE_PGM_RSRC2:TRAP_HANDLER: 0
; COMPUTE_PGM_RSRC2:TGID_X_EN: 1
; COMPUTE_PGM_RSRC2:TGID_Y_EN: 1
; COMPUTE_PGM_RSRC2:TGID_Z_EN: 1
; COMPUTE_PGM_RSRC2:TIDIG_COMP_CNT: 0
	.section	.text._ZN4vllm25paged_attention_v1_kernelIttLi80ELi32ELi128ELNS_18Fp8KVCacheDataTypeE0ELb0EEEvPT_PKS2_PKT0_S8_ifPKiSA_iPKfiiiSC_SC_iiiii,"axG",@progbits,_ZN4vllm25paged_attention_v1_kernelIttLi80ELi32ELi128ELNS_18Fp8KVCacheDataTypeE0ELb0EEEvPT_PKS2_PKT0_S8_ifPKiSA_iPKfiiiSC_SC_iiiii,comdat
	.protected	_ZN4vllm25paged_attention_v1_kernelIttLi80ELi32ELi128ELNS_18Fp8KVCacheDataTypeE0ELb0EEEvPT_PKS2_PKT0_S8_ifPKiSA_iPKfiiiSC_SC_iiiii ; -- Begin function _ZN4vllm25paged_attention_v1_kernelIttLi80ELi32ELi128ELNS_18Fp8KVCacheDataTypeE0ELb0EEEvPT_PKS2_PKT0_S8_ifPKiSA_iPKfiiiSC_SC_iiiii
	.globl	_ZN4vllm25paged_attention_v1_kernelIttLi80ELi32ELi128ELNS_18Fp8KVCacheDataTypeE0ELb0EEEvPT_PKS2_PKT0_S8_ifPKiSA_iPKfiiiSC_SC_iiiii
	.p2align	8
	.type	_ZN4vllm25paged_attention_v1_kernelIttLi80ELi32ELi128ELNS_18Fp8KVCacheDataTypeE0ELb0EEEvPT_PKS2_PKT0_S8_ifPKiSA_iPKfiiiSC_SC_iiiii,@function
_ZN4vllm25paged_attention_v1_kernelIttLi80ELi32ELi128ELNS_18Fp8KVCacheDataTypeE0ELb0EEEvPT_PKS2_PKT0_S8_ifPKiSA_iPKfiiiSC_SC_iiiii: ; @_ZN4vllm25paged_attention_v1_kernelIttLi80ELi32ELi128ELNS_18Fp8KVCacheDataTypeE0ELb0EEEvPT_PKS2_PKT0_S8_ifPKiSA_iPKfiiiSC_SC_iiiii
; %bb.0:
	s_load_b64 s[6:7], s[0:1], 0x20
	s_bfe_u32 s3, ttmp6, 0x4000c
	s_bfe_u32 s5, ttmp6, 0x40010
	s_and_b32 s4, ttmp7, 0xffff
	s_add_co_i32 s3, s3, 1
	s_add_co_i32 s5, s5, 1
	s_and_b32 s2, ttmp6, 15
	s_bfe_u32 s8, ttmp6, 0x40004
	s_mul_i32 s3, ttmp9, s3
	s_mul_i32 s5, s4, s5
	s_getreg_b32 s18, hwreg(HW_REG_IB_STS2, 6, 4)
	s_add_co_i32 s2, s2, s3
	s_add_co_i32 s8, s8, s5
	s_cmp_eq_u32 s18, 0
	s_clause 0x1
	s_load_b32 s19, s[0:1], 0x80
	s_load_b64 s[10:11], s[0:1], 0x30
	s_cselect_b32 s20, s4, s8
	s_cselect_b32 s8, ttmp9, s2
	s_wait_kmcnt 0x0
	s_abs_i32 s2, s6
	s_delay_alu instid0(SALU_CYCLE_1) | instskip(SKIP_1) | instid1(SALU_CYCLE_2)
	s_cvt_f32_u32 s3, s2
	s_sub_co_i32 s4, 0, s2
	v_rcp_iflag_f32_e32 v1, s3
	s_abs_i32 s5, s19
	v_nop
	s_delay_alu instid0(TRANS32_DEP_1) | instskip(SKIP_1) | instid1(SALU_CYCLE_3)
	v_readfirstlane_b32 s3, v1
	s_mul_f32 s3, s3, 0x4f7ffffe
	s_cvt_u32_f32 s3, s3
	s_delay_alu instid0(SALU_CYCLE_3) | instskip(NEXT) | instid1(SALU_CYCLE_1)
	s_mul_i32 s4, s4, s3
	s_mul_hi_u32 s4, s3, s4
	s_delay_alu instid0(SALU_CYCLE_1) | instskip(SKIP_4) | instid1(SALU_CYCLE_1)
	s_add_co_i32 s3, s3, s4
	s_xor_b32 s4, s19, s6
	s_mul_hi_u32 s3, s5, s3
	s_ashr_i32 s4, s4, 31
	s_mul_i32 s6, s3, s2
	s_sub_co_i32 s5, s5, s6
	s_add_co_i32 s6, s3, 1
	s_sub_co_i32 s9, s5, s2
	s_cmp_ge_u32 s5, s2
	s_cselect_b32 s3, s6, s3
	s_cselect_b32 s5, s9, s5
	s_add_co_i32 s6, s3, 1
	s_cmp_ge_u32 s5, s2
	s_cselect_b32 s2, s6, s3
	s_mov_b32 s3, 0
	s_xor_b32 s2, s2, s4
	s_mov_b32 s13, s3
	s_sub_co_i32 s15, s2, s4
	s_load_b64 s[4:5], s[0:1], 0x40
	s_abs_i32 s14, s15
	s_mov_b32 s23, s3
	s_cvt_f32_u32 s2, s14
	s_delay_alu instid0(SALU_CYCLE_3) | instskip(SKIP_1) | instid1(TRANS32_DEP_1)
	v_rcp_iflag_f32_e32 v1, s2
	v_nop
	v_readfirstlane_b32 s2, v1
	s_mul_f32 s2, s2, 0x4f7ffffe
	s_delay_alu instid0(SALU_CYCLE_3) | instskip(SKIP_1) | instid1(SALU_CYCLE_2)
	s_cvt_u32_f32 s6, s2
	s_sub_co_i32 s2, 0, s14
	s_mul_i32 s2, s2, s6
	s_delay_alu instid0(SALU_CYCLE_1)
	s_mul_hi_u32 s9, s6, s2
	s_abs_i32 s2, s8
	s_add_co_i32 s12, s6, s9
	s_wait_kmcnt 0x0
	s_cmp_eq_u64 s[4:5], 0
	s_cbranch_scc1 .LBB101_2
; %bb.1:
	s_ashr_i32 s9, s8, 31
	s_delay_alu instid0(SALU_CYCLE_1) | instskip(NEXT) | instid1(SALU_CYCLE_1)
	s_lshl_b64 s[16:17], s[8:9], 2
	s_add_nc_u64 s[4:5], s[4:5], s[16:17]
	s_load_b32 s23, s[4:5], 0x0
.LBB101_2:
	s_load_b32 s21, s[10:11], s20 offset:0x0 scale_offset
	s_wait_xcnt 0x0
	s_load_b96 s[4:6], s[0:1], 0x48
	v_lshlrev_b32_e32 v1, 4, v0
	s_ashr_i32 s10, s8, 31
	s_ashr_i32 s11, s15, 31
	s_mul_u64 s[12:13], s[2:3], s[12:13]
	s_mulk_i32 s8, 0x50
	s_mov_b32 s3, exec_lo
	v_cmpx_gt_u32_e32 10, v0
	s_cbranch_execz .LBB101_4
; %bb.3:
	s_load_b64 s[16:17], s[0:1], 0x8
	s_wait_kmcnt 0x0
	s_mul_i32 s24, s4, s20
	s_ashr_i32 s9, s8, 31
	s_ashr_i32 s25, s24, 31
	s_delay_alu instid0(SALU_CYCLE_1) | instskip(NEXT) | instid1(SALU_CYCLE_1)
	s_lshl_b64 s[24:25], s[24:25], 1
	s_add_nc_u64 s[16:17], s[16:17], s[24:25]
	s_lshl_b64 s[24:25], s[8:9], 1
	s_delay_alu instid0(SALU_CYCLE_1)
	s_add_nc_u64 s[16:17], s[16:17], s[24:25]
	global_load_b128 v[2:5], v0, s[16:17] scale_offset
	s_wait_loadcnt 0x0
	ds_store_b128 v1, v[2:5]
.LBB101_4:
	s_or_b32 exec_lo, exec_lo, s3
	s_wait_kmcnt 0x0
	s_add_co_i32 s3, s21, 31
	s_load_b32 s4, s[0:1], 0x38
	s_ashr_i32 s9, s3, 31
	s_xor_b32 s12, s10, s11
	s_lshr_b32 s9, s9, 27
	s_mul_i32 s10, s13, s14
	s_add_co_i32 s3, s3, s9
	s_sub_co_i32 s2, s2, s10
	s_clause 0x1
	s_load_b64 s[10:11], s[0:1], 0x28
	s_load_b32 s9, s[0:1], 0x88
	s_ashr_i32 s22, s3, 5
	s_add_co_i32 s3, s13, 1
	s_sub_co_i32 s15, s2, s14
	s_cmp_ge_u32 s2, s14
	v_dual_lshrrev_b32 v46, 5, v0 :: v_dual_bitop2_b32 v47, 31, v0 bitop3:0x40
	s_cselect_b32 s3, s3, s13
	s_cselect_b32 s2, s15, s2
	s_add_co_i32 s13, s3, 1
	s_cmp_ge_u32 s2, s14
	v_dual_mov_b32 v38, 0xff7fffff :: v_dual_lshlrev_b32 v49, 2, v47
	s_cselect_b32 s2, s13, s3
	v_lshrrev_b32_e32 v48, 3, v0
	s_xor_b32 s2, s2, s12
	s_wait_dscnt 0x0
	s_sub_co_i32 s3, s2, s12
	v_cmp_gt_i32_e64 s2, s22, v46
	s_wait_kmcnt 0x0
	s_mul_i32 s12, s4, s20
	s_mul_i32 s14, s3, s6
	s_ashr_i32 s13, s12, 31
	s_barrier_signal -1
	s_barrier_wait -1
	s_and_saveexec_b32 s6, s2
	s_cbranch_execz .LBB101_8
; %bb.5:
	s_load_b64 s[24:25], s[0:1], 0x10
	s_ashr_i32 s15, s14, 31
	v_dual_mov_b32 v39, 0 :: v_dual_lshlrev_b32 v38, 4, v47
	s_ashr_i32 s17, s5, 31
	s_lshl_b64 s[26:27], s[14:15], 1
	s_cmp_neq_f32 s23, 0
	v_lshl_or_b32 v2, v46, 7, v49
	v_lshl_or_b32 v50, v46, 5, v47
	v_mov_b32_e32 v52, v46
	s_cselect_b32 vcc_lo, -1, 0
	s_mov_b32 s16, s5
	v_add_nc_u32_e32 v51, 0xc0, v2
	s_mov_b32 s15, 0
	s_wait_kmcnt 0x0
	s_add_nc_u64 s[24:25], s[24:25], s[26:27]
	s_delay_alu instid0(SALU_CYCLE_1) | instskip(SKIP_2) | instid1(SALU_CYCLE_1)
	v_add_nc_u64_e32 v[40:41], s[24:25], v[38:39]
	v_and_b32_e32 v38, 0x7c, v48
	s_lshl_b64 s[24:25], s[12:13], 2
	s_add_nc_u64 s[24:25], s[10:11], s[24:25]
	s_delay_alu instid0(VALU_DEP_1) | instid1(SALU_CYCLE_1)
	v_add_nc_u64_e32 v[42:43], s[24:25], v[38:39]
	v_mov_b32_e32 v38, 0xff7fffff
	s_sub_co_i32 s24, 1, s21
.LBB101_6:                              ; =>This Inner Loop Header: Depth=1
	global_load_b32 v6, v[42:43], off
	ds_load_b128 v[2:5], v39
	v_cmp_gt_i32_e64 s3, s21, v50
	s_wait_xcnt 0x0
	v_add_nc_u64_e32 v[42:43], 16, v[42:43]
	s_wait_dscnt 0x0
	v_dual_lshrrev_b32 v45, 16, v2 :: v_dual_lshrrev_b32 v53, 16, v3
	v_and_b32_e32 v44, 0xffff, v2
	v_and_b32_e32 v54, 0xffff, v3
	v_dual_lshrrev_b32 v55, 16, v4 :: v_dual_lshrrev_b32 v57, 16, v5
	v_and_b32_e32 v56, 0xffff, v4
	v_and_b32_e32 v58, 0xffff, v5
	s_wait_loadcnt 0x0
	v_ashrrev_i32_e32 v7, 31, v6
	s_delay_alu instid0(VALU_DEP_1) | instskip(NEXT) | instid1(VALU_DEP_1)
	v_mul_u64_e32 v[2:3], s[16:17], v[6:7]
	v_lshl_add_u64 v[2:3], v[2:3], 1, v[40:41]
	s_clause 0x9
	global_load_b128 v[66:69], v[2:3], off
	global_load_b128 v[34:37], v[2:3], off offset:512
	global_load_b128 v[30:33], v[2:3], off offset:1024
	;; [unrolled: 1-line block ×9, first 2 shown]
	;;#ASMSTART
	v_cvt_f32_f16 v44, v44;
	;;#ASMEND
	;;#ASMSTART
	v_cvt_f32_f16 v45, v45;
	;;#ASMEND
	s_wait_loadcnt 0x9
	v_dual_lshrrev_b32 v64, 16, v66 :: v_dual_lshrrev_b32 v60, 16, v68
	v_and_b32_e32 v66, 0xffff, v66
	v_lshrrev_b32_e32 v62, 16, v67
	v_and_b32_e32 v65, 0xffff, v67
	v_and_b32_e32 v63, 0xffff, v68
	s_wait_loadcnt 0x8
	v_dual_lshrrev_b32 v59, 16, v69 :: v_dual_lshrrev_b32 v68, 16, v34
	v_and_b32_e32 v61, 0xffff, v69
	v_and_b32_e32 v67, 0xffff, v34
	;; [unrolled: 1-line block ×3, first 2 shown]
	v_dual_lshrrev_b32 v70, 16, v35 :: v_dual_lshrrev_b32 v74, 16, v36
	v_and_b32_e32 v73, 0xffff, v36
	s_wait_loadcnt 0x7
	v_dual_lshrrev_b32 v71, 16, v37 :: v_dual_lshrrev_b32 v86, 16, v30
	v_and_b32_e32 v72, 0xffff, v37
	v_and_b32_e32 v77, 0xffff, v30
	v_and_b32_e32 v87, 0xffff, v31
	v_dual_lshrrev_b32 v88, 16, v31 :: v_dual_lshrrev_b32 v90, 16, v32
	v_and_b32_e32 v89, 0xffff, v32
	v_lshrrev_b32_e32 v75, 16, v33
	v_and_b32_e32 v76, 0xffff, v33
	;;#ASMSTART
	v_cvt_f32_f16 v78, v66;
	;;#ASMEND
	;;#ASMSTART
	v_cvt_f32_f16 v79, v64;
	;;#ASMEND
	;; [unrolled: 3-line block ×14, first 2 shown]
	ds_load_b128 v[30:33], v39 offset:16
	s_wait_loadcnt 0x6
	v_dual_lshrrev_b32 v91, 16, v26 :: v_dual_lshrrev_b32 v66, 16, v27
	v_lshrrev_b32_e32 v61, 16, v28
	v_and_b32_e32 v64, 0xffff, v28
	v_and_b32_e32 v65, 0xffff, v27
	;; [unrolled: 1-line block ×3, first 2 shown]
	s_wait_loadcnt 0x4
	v_and_b32_e32 v63, 0xffff, v19
	v_and_b32_e32 v60, 0xffff, v20
	s_wait_dscnt 0x0
	v_and_b32_e32 v53, 0xffff, v30
	v_lshrrev_b32_e32 v30, 16, v30
	;;#ASMSTART
	v_cvt_f32_f16 v56, v53;
	;;#ASMEND
	;;#ASMSTART
	v_cvt_f32_f16 v57, v30;
	;;#ASMEND
	;; [unrolled: 3-line block ×4, first 2 shown]
	v_pk_mul_f32 v[56:57], v[56:57], v[58:59]
	v_and_b32_e32 v67, 0xffff, v26
	v_and_b32_e32 v26, 0xffff, v31
	v_dual_lshrrev_b32 v28, 16, v31 :: v_dual_lshrrev_b32 v59, 16, v29
	;;#ASMSTART
	v_cvt_f32_f16 v27, v26;
	;;#ASMEND
	;;#ASMSTART
	v_cvt_f32_f16 v26, v28;
	;;#ASMEND
	;; [unrolled: 3-line block ×4, first 2 shown]
	v_pk_fma_f32 v[44:45], v[44:45], v[78:79], v[56:57]
	v_pk_mul_f32 v[26:27], v[26:27], v[28:29]
	v_dual_lshrrev_b32 v28, 16, v22 :: v_dual_lshrrev_b32 v29, 16, v23
	v_and_b32_e32 v53, 0xffff, v22
	v_and_b32_e32 v31, 0xffff, v23
	v_lshrrev_b32_e32 v23, 16, v24
	v_and_b32_e32 v30, 0xffff, v24
	v_lshrrev_b32_e32 v22, 16, v25
	v_and_b32_e32 v24, 0xffff, v25
	v_and_b32_e32 v25, 0xffff, v32
	v_lshrrev_b32_e32 v32, 16, v32
	;;#ASMSTART
	v_cvt_f32_f16 v57, v25;
	;;#ASMEND
	;;#ASMSTART
	v_cvt_f32_f16 v56, v32;
	;;#ASMEND
	;; [unrolled: 3-line block ×4, first 2 shown]
	v_pk_mul_f32 v[56:57], v[56:57], v[68:69]
	v_lshrrev_b32_e32 v25, 16, v18
	v_and_b32_e32 v32, 0xffff, v18
	v_and_b32_e32 v58, 0xffff, v21
	s_wait_loadcnt 0x3
	v_lshrrev_b32_e32 v18, 16, v15
	v_pk_fma_f32 v[78:79], v[84:85], v[54:55], v[56:57]
	v_dual_lshrrev_b32 v56, 16, v19 :: v_dual_lshrrev_b32 v57, 16, v20
	v_dual_lshrrev_b32 v54, 16, v21 :: v_dual_lshrrev_b32 v20, 16, v14
	v_and_b32_e32 v55, 0xffff, v14
	v_and_b32_e32 v21, 0xffff, v15
	v_dual_lshrrev_b32 v15, 16, v16 :: v_dual_lshrrev_b32 v14, 16, v17
	v_and_b32_e32 v19, 0xffff, v16
	v_and_b32_e32 v16, 0xffff, v17
	;; [unrolled: 1-line block ×3, first 2 shown]
	v_lshrrev_b32_e32 v33, 16, v33
	;;#ASMSTART
	v_cvt_f32_f16 v69, v17;
	;;#ASMEND
	;;#ASMSTART
	v_cvt_f32_f16 v68, v33;
	;;#ASMEND
	;; [unrolled: 3-line block ×4, first 2 shown]
	v_pk_mul_f32 v[68:69], v[68:69], v[72:73]
	v_pk_fma_f32 v[26:27], v[80:81], v[82:83], v[26:27]
	s_wait_loadcnt 0x0
	v_and_b32_e32 v84, 0xffff, v4
	s_delay_alu instid0(VALU_DEP_3)
	v_pk_fma_f32 v[72:73], v[34:35], v[36:37], v[68:69]
	ds_load_b128 v[68:71], v39 offset:32
	s_wait_dscnt 0x0
	v_and_b32_e32 v17, 0xffff, v68
	;;#ASMSTART
	v_cvt_f32_f16 v34, v17;
	;;#ASMEND
	v_lshrrev_b32_e32 v33, 16, v68
	;;#ASMSTART
	v_cvt_f32_f16 v35, v33;
	;;#ASMEND
	;;#ASMSTART
	v_cvt_f32_f16 v36, v77;
	;;#ASMEND
	;;#ASMSTART
	v_cvt_f32_f16 v37, v86;
	;;#ASMEND
	v_pk_fma_f32 v[80:81], v[34:35], v[36:37], v[44:45]
	v_lshrrev_b32_e32 v34, 16, v69
	v_and_b32_e32 v33, 0xffff, v69
	;;#ASMSTART
	v_cvt_f32_f16 v35, v33;
	;;#ASMEND
	;;#ASMSTART
	v_cvt_f32_f16 v34, v34;
	;;#ASMEND
	;; [unrolled: 3-line block ×4, first 2 shown]
	v_pk_fma_f32 v[82:83], v[34:35], v[36:37], v[26:27]
	v_dual_lshrrev_b32 v26, 16, v11 :: v_dual_lshrrev_b32 v27, 16, v12
	v_and_b32_e32 v34, 0xffff, v11
	v_and_b32_e32 v33, 0xffff, v12
	v_dual_lshrrev_b32 v11, 16, v13 :: v_dual_lshrrev_b32 v35, 16, v70
	v_and_b32_e32 v12, 0xffff, v13
	v_and_b32_e32 v13, 0xffff, v70
	;;#ASMSTART
	v_cvt_f32_f16 v37, v13;
	;;#ASMEND
	;;#ASMSTART
	v_cvt_f32_f16 v36, v35;
	;;#ASMEND
	;; [unrolled: 3-line block ×4, first 2 shown]
	v_pk_fma_f32 v[78:79], v[36:37], v[44:45], v[78:79]
	v_dual_lshrrev_b32 v13, 16, v6 :: v_dual_lshrrev_b32 v36, 16, v7
	v_and_b32_e32 v45, 0xffff, v6
	v_and_b32_e32 v6, 0xffff, v71
	v_dual_lshrrev_b32 v68, 16, v71 :: v_dual_lshrrev_b32 v77, 16, v2
	v_and_b32_e32 v44, 0xffff, v7
	;;#ASMSTART
	v_cvt_f32_f16 v7, v6;
	;;#ASMEND
	;;#ASMSTART
	v_cvt_f32_f16 v6, v68;
	;;#ASMEND
	;; [unrolled: 3-line block ×4, first 2 shown]
	v_pk_fma_f32 v[72:73], v[6:7], v[68:69], v[72:73]
	ds_load_b128 v[68:71], v39 offset:48
	v_lshrrev_b32_e32 v85, 16, v5
	v_and_b32_e32 v86, 0xffff, v5
	v_lshrrev_b32_e32 v17, 16, v10
	v_and_b32_e32 v10, 0xffff, v10
	;; [unrolled: 2-line block ×4, first 2 shown]
	s_wait_dscnt 0x0
	v_and_b32_e32 v6, 0xffff, v68
	v_dual_lshrrev_b32 v7, 16, v68 :: v_dual_lshrrev_b32 v68, 16, v69
	;;#ASMSTART
	v_cvt_f32_f16 v6, v6;
	;;#ASMEND
	;;#ASMSTART
	v_cvt_f32_f16 v7, v7;
	;;#ASMEND
	;;#ASMSTART
	v_cvt_f32_f16 v74, v67;
	;;#ASMEND
	v_and_b32_e32 v67, 0xffff, v69
	;;#ASMSTART
	v_cvt_f32_f16 v75, v91;
	;;#ASMEND
	;;#ASMSTART
	v_cvt_f32_f16 v69, v67;
	;;#ASMEND
	;; [unrolled: 3-line block ×5, first 2 shown]
	v_pk_fma_f32 v[6:7], v[6:7], v[74:75], v[80:81]
	v_and_b32_e32 v80, 0xffff, v2
	v_pk_fma_f32 v[66:67], v[68:69], v[66:67], v[82:83]
	v_dual_lshrrev_b32 v81, 16, v3 :: v_dual_lshrrev_b32 v83, 16, v4
	s_wait_xcnt 0x0
	v_and_b32_e32 v2, 0xffff, v70
	v_lshrrev_b32_e32 v4, 16, v70
	v_and_b32_e32 v82, 0xffff, v3
	v_and_b32_e32 v65, 0xffff, v71
	v_lshrrev_b32_e32 v68, 16, v71
	;;#ASMSTART
	v_cvt_f32_f16 v3, v2;
	;;#ASMEND
	;;#ASMSTART
	v_cvt_f32_f16 v2, v4;
	;;#ASMEND
	;; [unrolled: 3-line block ×8, first 2 shown]
	v_pk_fma_f32 v[70:71], v[2:3], v[4:5], v[78:79]
	ds_load_b128 v[2:5], v39 offset:64
	v_pk_fma_f32 v[64:65], v[64:65], v[68:69], v[72:73]
	s_wait_dscnt 0x0
	v_and_b32_e32 v59, 0xffff, v2
	v_dual_lshrrev_b32 v61, 16, v2 :: v_dual_lshrrev_b32 v79, 16, v5
	v_add_nc_u32_e32 v2, s24, v50
	v_and_b32_e32 v62, 0xffff, v3
	v_dual_lshrrev_b32 v68, 16, v3 :: v_dual_lshrrev_b32 v75, 16, v4
	v_and_b32_e32 v74, 0xffff, v4
	v_and_b32_e32 v78, 0xffff, v5
	v_cvt_f32_i32_e32 v76, v2
	;;#ASMSTART
	v_cvt_f32_f16 v2, v59;
	;;#ASMEND
	;;#ASMSTART
	v_cvt_f32_f16 v3, v61;
	;;#ASMEND
	;; [unrolled: 3-line block ×16, first 2 shown]
	v_pk_fma_f32 v[6:7], v[2:3], v[4:5], v[6:7]
	ds_load_b128 v[2:5], v39 offset:80
	v_pk_fma_f32 v[28:29], v[28:29], v[30:31], v[70:71]
	v_pk_fma_f32 v[66:67], v[68:69], v[72:73], v[66:67]
	v_pk_fma_f32 v[22:23], v[74:75], v[22:23], v[64:65]
	v_add_nc_u32_e32 v50, 0x80, v50
	s_wait_dscnt 0x0
	v_and_b32_e32 v24, 0xffff, v2
	v_lshrrev_b32_e32 v2, 16, v2
	v_and_b32_e32 v53, 0xffff, v3
	v_lshrrev_b32_e32 v3, 16, v3
	;; [unrolled: 2-line block ×4, first 2 shown]
	;;#ASMSTART
	v_cvt_f32_f16 v30, v24;
	;;#ASMEND
	;;#ASMSTART
	v_cvt_f32_f16 v31, v2;
	;;#ASMEND
	;; [unrolled: 3-line block ×16, first 2 shown]
	ds_load_b128 v[2:5], v39 offset:96
	v_pk_fma_f32 v[6:7], v[30:31], v[24:25], v[6:7]
	v_pk_fma_f32 v[28:29], v[68:69], v[60:61], v[28:29]
	;; [unrolled: 1-line block ×4, first 2 shown]
	s_wait_dscnt 0x0
	v_and_b32_e32 v30, 0xffff, v2
	v_lshrrev_b32_e32 v2, 16, v2
	v_and_b32_e32 v32, 0xffff, v3
	v_lshrrev_b32_e32 v3, 16, v3
	v_and_b32_e32 v53, 0xffff, v4
	v_dual_lshrrev_b32 v4, 16, v4 :: v_dual_lshrrev_b32 v60, 16, v5
	v_and_b32_e32 v5, 0xffff, v5
	;;#ASMSTART
	v_cvt_f32_f16 v30, v30;
	;;#ASMEND
	;;#ASMSTART
	v_cvt_f32_f16 v31, v2;
	;;#ASMEND
	;;#ASMSTART
	v_cvt_f32_f16 v54, v55;
	;;#ASMEND
	;;#ASMSTART
	v_cvt_f32_f16 v55, v20;
	;;#ASMEND
	;;#ASMSTART
	v_cvt_f32_f16 v57, v32;
	;;#ASMEND
	;;#ASMSTART
	v_cvt_f32_f16 v56, v3;
	;;#ASMEND
	;;#ASMSTART
	v_cvt_f32_f16 v21, v21;
	;;#ASMEND
	;;#ASMSTART
	v_cvt_f32_f16 v20, v18;
	;;#ASMEND
	;;#ASMSTART
	v_cvt_f32_f16 v59, v53;
	;;#ASMEND
	;;#ASMSTART
	v_cvt_f32_f16 v58, v4;
	;;#ASMEND
	;;#ASMSTART
	v_cvt_f32_f16 v19, v19;
	;;#ASMEND
	;;#ASMSTART
	v_cvt_f32_f16 v18, v15;
	;;#ASMEND
	;;#ASMSTART
	v_cvt_f32_f16 v61, v5;
	;;#ASMEND
	;;#ASMSTART
	v_cvt_f32_f16 v60, v60;
	;;#ASMEND
	;;#ASMSTART
	v_cvt_f32_f16 v15, v16;
	;;#ASMEND
	;;#ASMSTART
	v_cvt_f32_f16 v14, v14;
	;;#ASMEND
	ds_load_b128 v[2:5], v39 offset:112
	v_pk_fma_f32 v[6:7], v[30:31], v[54:55], v[6:7]
	v_pk_fma_f32 v[20:21], v[56:57], v[20:21], v[24:25]
	;; [unrolled: 1-line block ×4, first 2 shown]
	s_wait_dscnt 0x0
	v_dual_lshrrev_b32 v16, 16, v2 :: v_dual_lshrrev_b32 v24, 16, v3
	v_and_b32_e32 v2, 0xffff, v2
	v_and_b32_e32 v3, 0xffff, v3
	v_dual_lshrrev_b32 v30, 16, v4 :: v_dual_lshrrev_b32 v53, 16, v5
	v_and_b32_e32 v4, 0xffff, v4
	v_and_b32_e32 v5, 0xffff, v5
	;;#ASMSTART
	v_cvt_f32_f16 v22, v2;
	;;#ASMEND
	;;#ASMSTART
	v_cvt_f32_f16 v23, v16;
	;;#ASMEND
	;; [unrolled: 3-line block ×16, first 2 shown]
	ds_load_b128 v[2:5], v39 offset:128
	v_pk_fma_f32 v[6:7], v[22:23], v[16:17], v[6:7]
	v_pk_fma_f32 v[10:11], v[24:25], v[28:29], v[20:21]
	;; [unrolled: 1-line block ×4, first 2 shown]
	s_wait_dscnt 0x0
	v_dual_lshrrev_b32 v12, 16, v2 :: v_dual_lshrrev_b32 v20, 16, v3
	v_and_b32_e32 v2, 0xffff, v2
	v_and_b32_e32 v3, 0xffff, v3
	v_dual_lshrrev_b32 v24, 16, v4 :: v_dual_lshrrev_b32 v30, 16, v5
	v_and_b32_e32 v4, 0xffff, v4
	v_and_b32_e32 v5, 0xffff, v5
	;;#ASMSTART
	v_cvt_f32_f16 v18, v2;
	;;#ASMEND
	;;#ASMSTART
	v_cvt_f32_f16 v19, v12;
	;;#ASMEND
	;; [unrolled: 3-line block ×16, first 2 shown]
	ds_load_b128 v[2:5], v39 offset:144
	v_pk_fma_f32 v[6:7], v[18:19], v[12:13], v[6:7]
	v_pk_fma_f32 v[8:9], v[30:31], v[8:9], v[14:15]
	;; [unrolled: 1-line block ×4, first 2 shown]
	s_wait_dscnt 0x0
	v_dual_lshrrev_b32 v14, 16, v2 :: v_dual_lshrrev_b32 v16, 16, v3
	v_and_b32_e32 v2, 0xffff, v2
	v_and_b32_e32 v15, 0xffff, v3
	;;#ASMSTART
	v_cvt_f32_f16 v2, v2;
	;;#ASMEND
	;;#ASMSTART
	v_cvt_f32_f16 v3, v14;
	;;#ASMEND
	v_dual_lshrrev_b32 v18, 16, v4 :: v_dual_lshrrev_b32 v20, 16, v5
	v_and_b32_e32 v19, 0xffff, v4
	v_and_b32_e32 v21, 0xffff, v5
	;;#ASMSTART
	v_cvt_f32_f16 v4, v80;
	;;#ASMEND
	;;#ASMSTART
	v_cvt_f32_f16 v5, v77;
	;;#ASMEND
	v_pk_fma_f32 v[2:3], v[2:3], v[4:5], v[6:7]
	;;#ASMSTART
	v_cvt_f32_f16 v15, v15;
	;;#ASMEND
	;;#ASMSTART
	v_cvt_f32_f16 v14, v16;
	;;#ASMEND
	;; [unrolled: 3-line block ×4, first 2 shown]
	v_pk_fma_f32 v[4:5], v[14:15], v[16:17], v[10:11]
	v_add_f32_e32 v6, v2, v3
	;;#ASMSTART
	v_cvt_f32_f16 v19, v19;
	;;#ASMEND
	;;#ASMSTART
	v_cvt_f32_f16 v18, v18;
	;;#ASMEND
	;; [unrolled: 3-line block ×4, first 2 shown]
	v_add_f32_e32 v6, v6, v5
	v_pk_fma_f32 v[2:3], v[18:19], v[2:3], v[12:13]
	;;#ASMSTART
	v_cvt_f32_f16 v5, v21;
	;;#ASMEND
	s_delay_alu instid0(VALU_DEP_2) | instskip(SKIP_2) | instid1(VALU_DEP_1)
	v_add_f32_e32 v6, v4, v6
	;;#ASMSTART
	v_cvt_f32_f16 v4, v20;
	;;#ASMEND
	;;#ASMSTART
	v_cvt_f32_f16 v7, v86;
	;;#ASMEND
	v_add_f32_e32 v3, v6, v3
	;;#ASMSTART
	v_cvt_f32_f16 v6, v85;
	;;#ASMEND
	v_pk_fma_f32 v[4:5], v[4:5], v[6:7], v[8:9]
	s_delay_alu instid0(VALU_DEP_2) | instskip(NEXT) | instid1(VALU_DEP_1)
	v_dual_add_f32 v2, v2, v3 :: v_dual_mul_f32 v3, s23, v76
	v_dual_add_f32 v2, v2, v5 :: v_dual_cndmask_b32 v3, 0, v3
	s_delay_alu instid0(VALU_DEP_1) | instskip(SKIP_1) | instid1(VALU_DEP_2)
	v_add_f32_e32 v2, v4, v2
	v_dual_max_num_f32 v4, v38, v38 :: v_dual_add_nc_u32 v52, 4, v52
	v_fmac_f32_e32 v3, s7, v2
	s_delay_alu instid0(VALU_DEP_2) | instskip(NEXT) | instid1(VALU_DEP_2)
	v_cmp_le_i32_e64 s4, s22, v52
	v_dual_cndmask_b32 v2, 0, v3, s3 :: v_dual_max_num_f32 v3, v4, v3
	s_or_b32 s15, s4, s15
	ds_store_b32 v51, v2
	v_cndmask_b32_e64 v38, v38, v3, s3
	v_add_nc_u32_e32 v51, 0x200, v51
	s_and_not1_b32 exec_lo, exec_lo, s15
	s_cbranch_execnz .LBB101_6
; %bb.7:
	s_or_b32 exec_lo, exec_lo, s15
.LBB101_8:
	s_delay_alu instid0(SALU_CYCLE_1) | instskip(SKIP_4) | instid1(VALU_DEP_1)
	s_or_b32 exec_lo, exec_lo, s6
	v_mbcnt_lo_u32_b32 v5, -1, 0
	s_clause 0x1
	s_load_b64 s[6:7], s[0:1], 0x0
	s_load_b64 s[16:17], s[0:1], 0x18
	v_dual_max_num_f32 v6, v38, v38 :: v_dual_bitop2_b32 v2, 16, v5 bitop3:0x14
	v_xor_b32_e32 v4, 8, v5
	s_delay_alu instid0(VALU_DEP_2) | instskip(SKIP_1) | instid1(VALU_DEP_3)
	v_cmp_gt_i32_e32 vcc_lo, 32, v2
	v_cndmask_b32_e32 v2, v5, v2, vcc_lo
	v_cmp_gt_i32_e32 vcc_lo, 32, v4
	s_delay_alu instid0(VALU_DEP_2) | instskip(SKIP_3) | instid1(VALU_DEP_1)
	v_dual_lshlrev_b32 v2, 2, v2 :: v_dual_cndmask_b32 v4, v5, v4, vcc_lo
	ds_bpermute_b32 v3, v2, v38
	s_wait_dscnt 0x0
	v_dual_max_num_f32 v7, v3, v3 :: v_dual_lshlrev_b32 v3, 2, v4
	v_dual_max_num_f32 v6, v6, v7 :: v_dual_bitop2_b32 v7, 4, v5 bitop3:0x14
	ds_bpermute_b32 v4, v3, v6
	v_cmp_gt_i32_e32 vcc_lo, 32, v7
	s_wait_dscnt 0x0
	v_dual_cndmask_b32 v7, v5, v7 :: v_dual_max_num_f32 v8, v4, v4
	s_delay_alu instid0(VALU_DEP_1) | instskip(SKIP_3) | instid1(VALU_DEP_1)
	v_dual_lshlrev_b32 v4, 2, v7 :: v_dual_max_num_f32 v6, v6, v8
	ds_bpermute_b32 v7, v4, v6
	s_wait_dscnt 0x0
	v_dual_max_num_f32 v7, v7, v7 :: v_dual_bitop2_b32 v8, 2, v5 bitop3:0x14
	v_cmp_gt_i32_e32 vcc_lo, 32, v8
	s_delay_alu instid0(VALU_DEP_2) | instskip(NEXT) | instid1(VALU_DEP_1)
	v_dual_max_num_f32 v6, v6, v7 :: v_dual_cndmask_b32 v8, v5, v8, vcc_lo
	v_dual_lshlrev_b32 v24, 2, v8 :: v_dual_bitop2_b32 v8, 1, v5 bitop3:0x14
	ds_bpermute_b32 v7, v24, v6
	v_cmp_gt_i32_e32 vcc_lo, 32, v8
	v_cndmask_b32_e32 v5, v5, v8, vcc_lo
	v_cmp_eq_u32_e32 vcc_lo, 0, v47
	s_delay_alu instid0(VALU_DEP_2) | instskip(SKIP_2) | instid1(VALU_DEP_1)
	v_dual_lshlrev_b32 v23, 2, v5 :: v_dual_lshlrev_b32 v5, 2, v46
	s_wait_dscnt 0x0
	v_max_num_f32_e32 v7, v7, v7
	v_max_num_f32_e32 v6, v6, v7
	ds_bpermute_b32 v7, v23, v6
	s_wait_xcnt 0x0
	s_and_saveexec_b32 s0, vcc_lo
	s_cbranch_execz .LBB101_10
; %bb.9:
	s_wait_dscnt 0x0
	v_dual_max_num_f32 v7, v7, v7 :: v_dual_max_num_f32 v6, v6, v6
	s_delay_alu instid0(VALU_DEP_1)
	v_max_num_f32_e32 v6, v6, v7
	ds_store_b32 v5, v6 offset:160
.LBB101_10:
	s_or_b32 exec_lo, exec_lo, s0
	v_cmp_gt_u32_e64 s0, 4, v47
	v_mov_b32_e32 v6, 0xff7fffff
	s_wait_dscnt 0x0
	s_barrier_signal -1
	s_barrier_wait -1
	s_and_saveexec_b32 s1, s0
; %bb.11:
	ds_load_b32 v6, v49 offset:160
; %bb.12:
	s_or_b32 exec_lo, exec_lo, s1
	s_wait_dscnt 0x0
	ds_bpermute_b32 v7, v24, v6
	v_max_num_f32_e32 v6, v6, v6
	s_lshl_b32 s1, s22, 5
	s_delay_alu instid0(SALU_CYCLE_1) | instskip(NEXT) | instid1(SALU_CYCLE_1)
	s_min_i32 s4, s1, s21
	v_cmp_gt_i32_e64 s1, s4, v0
	s_wait_dscnt 0x0
	v_max_num_f32_e32 v7, v7, v7
	s_delay_alu instid0(VALU_DEP_1) | instskip(SKIP_3) | instid1(VALU_DEP_1)
	v_max_num_f32_e32 v6, v6, v7
	ds_bpermute_b32 v7, v23, v6
	s_wait_dscnt 0x0
	v_max_num_f32_e32 v7, v7, v7
	v_dual_max_num_f32 v7, v6, v7 :: v_dual_mov_b32 v6, 0
	ds_bpermute_b32 v7, v6, v7
	s_and_saveexec_b32 s15, s1
	s_cbranch_execz .LBB101_16
; %bb.13:
	v_lshl_add_u32 v8, v0, 2, 0xc0
	v_dual_mov_b32 v6, 0 :: v_dual_mov_b32 v9, v0
	s_mov_b32 s23, 0
.LBB101_14:                             ; =>This Inner Loop Header: Depth=1
	ds_load_b32 v10, v8
	v_add_nc_u32_e32 v9, 0x80, v9
	s_delay_alu instid0(VALU_DEP_1) | instskip(SKIP_3) | instid1(VALU_DEP_1)
	v_cmp_le_i32_e64 s3, s4, v9
	s_or_b32 s23, s3, s23
	s_wait_dscnt 0x0
	v_sub_f32_e32 v10, v10, v7
	v_mul_f32_e32 v10, 0x3fb8aa3b, v10
	s_delay_alu instid0(VALU_DEP_1)
	v_exp_f32_e32 v10, v10
	ds_store_b32 v8, v10
	v_nop
	v_add_f32_e32 v6, v6, v10
	v_add_nc_u32_e32 v8, 0x200, v8
	s_and_not1_b32 exec_lo, exec_lo, s23
	s_cbranch_execnz .LBB101_14
; %bb.15:
	s_or_b32 exec_lo, exec_lo, s23
.LBB101_16:
	s_delay_alu instid0(SALU_CYCLE_1)
	s_or_b32 exec_lo, exec_lo, s15
	ds_bpermute_b32 v2, v2, v6
	s_wait_dscnt 0x0
	v_add_f32_e32 v2, v6, v2
	ds_bpermute_b32 v3, v3, v2
	s_wait_dscnt 0x0
	v_add_f32_e32 v2, v2, v3
	;; [unrolled: 3-line block ×5, first 2 shown]
	s_and_saveexec_b32 s3, vcc_lo
; %bb.17:
	ds_store_b32 v5, v2 offset:176
; %bb.18:
	s_or_b32 exec_lo, exec_lo, s3
	s_wait_dscnt 0x0
	s_barrier_signal -1
	s_barrier_wait -1
	s_and_saveexec_b32 s3, s0
; %bb.19:
	ds_load_b32 v2, v49 offset:176
; %bb.20:
	s_or_b32 exec_lo, exec_lo, s3
	s_wait_dscnt 0x0
	ds_bpermute_b32 v3, v24, v2
	s_wait_dscnt 0x0
	v_dual_mov_b32 v7, 0 :: v_dual_add_f32 v2, v2, v3
	ds_bpermute_b32 v3, v23, v2
	s_wait_dscnt 0x0
	v_add_f32_e32 v2, v2, v3
	ds_bpermute_b32 v2, v7, v2
	s_and_saveexec_b32 s0, s1
	s_cbranch_execz .LBB101_33
; %bb.21:
	s_wait_dscnt 0x0
	v_add_f32_e32 v2, 0x358637bd, v2
	s_mov_b32 s3, -1
	s_mov_b32 s1, exec_lo
	s_delay_alu instid0(VALU_DEP_1) | instskip(NEXT) | instid1(VALU_DEP_1)
	v_div_scale_f32 v3, null, v2, v2, 1.0
	v_rcp_f32_e32 v5, v3
	v_nop
	s_delay_alu instid0(TRANS32_DEP_1) | instskip(NEXT) | instid1(VALU_DEP_1)
	v_fma_f32 v4, -v3, v5, 1.0
	v_fmac_f32_e32 v5, v4, v5
	v_div_scale_f32 v6, vcc_lo, 1.0, v2, 1.0
	s_delay_alu instid0(VALU_DEP_1) | instskip(NEXT) | instid1(VALU_DEP_1)
	v_mul_f32_e32 v8, v6, v5
	v_fma_f32 v4, -v3, v8, v6
	s_delay_alu instid0(VALU_DEP_1) | instskip(SKIP_1) | instid1(VALU_DEP_2)
	v_fmac_f32_e32 v8, v4, v5
	v_xad_u32 v4, v0, -1, s4
	v_fma_f32 v3, -v3, v8, v6
	s_delay_alu instid0(VALU_DEP_1) | instskip(NEXT) | instid1(VALU_DEP_1)
	v_div_fmas_f32 v3, v3, v5, v8
	v_div_fixup_f32 v2, v3, v2, 1.0
	v_mov_b32_e32 v3, v0
	v_cmpx_lt_u32_e32 0x7f, v4
	s_cbranch_execz .LBB101_30
; %bb.22:
	s_delay_alu instid0(VALU_DEP_3) | instskip(NEXT) | instid1(VALU_DEP_1)
	v_dual_mov_b32 v3, v2 :: v_dual_lshrrev_b32 v4, 7, v4
	v_dual_mov_b32 v9, 0 :: v_dual_add_nc_u32 v5, -1, v4
	s_delay_alu instid0(VALU_DEP_1) | instskip(SKIP_1) | instid1(VALU_DEP_2)
	v_lshrrev_b32_e32 v6, 1, v5
	v_cmp_lt_u32_e32 vcc_lo, 13, v5
	v_add_nc_u32_e32 v5, 1, v6
	s_and_saveexec_b32 s3, vcc_lo
	s_cbranch_execz .LBB101_26
; %bb.23:
	s_delay_alu instid0(VALU_DEP_1)
	v_and_b32_e32 v6, -8, v5
	v_lshl_add_u32 v8, v0, 2, 0xc0
	s_mov_b32 s15, 0
	s_mov_b32 s23, 0
.LBB101_24:                             ; =>This Inner Loop Header: Depth=1
	ds_load_2addr_stride64_b32 v[10:11], v8 offset1:2
	ds_load_2addr_stride64_b32 v[12:13], v8 offset0:4 offset1:6
	ds_load_2addr_stride64_b32 v[14:15], v8 offset0:8 offset1:10
	;; [unrolled: 1-line block ×7, first 2 shown]
	s_add_co_i32 s23, s23, 16
	s_delay_alu instid0(SALU_CYCLE_1) | instskip(NEXT) | instid1(VALU_DEP_1)
	v_dual_mov_b32 v9, s23 :: v_dual_add_nc_u32 v6, -8, v6
	v_cmp_eq_u32_e32 vcc_lo, 0, v6
	s_or_b32 s15, vcc_lo, s15
	s_wait_dscnt 0x7
	v_pk_mul_f32 v[10:11], v[2:3], v[10:11]
	s_wait_dscnt 0x6
	v_pk_mul_f32 v[12:13], v[2:3], v[12:13]
	s_wait_dscnt 0x5
	v_pk_mul_f32 v[14:15], v[2:3], v[14:15]
	s_wait_dscnt 0x4
	v_pk_mul_f32 v[16:17], v[2:3], v[16:17]
	s_wait_dscnt 0x3
	v_pk_mul_f32 v[18:19], v[2:3], v[18:19]
	s_wait_dscnt 0x2
	v_pk_mul_f32 v[20:21], v[2:3], v[20:21]
	s_wait_dscnt 0x1
	v_pk_mul_f32 v[26:27], v[2:3], v[26:27]
	s_wait_dscnt 0x0
	v_pk_mul_f32 v[28:29], v[2:3], v[28:29]
	ds_store_2addr_stride64_b32 v8, v10, v11 offset1:2
	ds_store_2addr_stride64_b32 v8, v12, v13 offset0:4 offset1:6
	ds_store_2addr_stride64_b32 v8, v14, v15 offset0:8 offset1:10
	;; [unrolled: 1-line block ×7, first 2 shown]
	v_add_nc_u32_e32 v8, 0x2000, v8
	s_and_not1_b32 exec_lo, exec_lo, s15
	s_cbranch_execnz .LBB101_24
; %bb.25:
	s_or_b32 exec_lo, exec_lo, s15
.LBB101_26:
	s_delay_alu instid0(SALU_CYCLE_1) | instskip(NEXT) | instid1(VALU_DEP_1)
	s_or_b32 exec_lo, exec_lo, s3
	v_and_b32_e32 v5, 7, v5
	s_mov_b32 s15, 0
	s_mov_b32 s3, exec_lo
	s_delay_alu instid0(VALU_DEP_1)
	v_cmpx_ne_u32_e32 0, v5
	s_cbranch_execz .LBB101_29
; %bb.27:
	v_dual_lshlrev_b32 v6, 9, v9 :: v_dual_lshlrev_b32 v8, 2, v0
	s_delay_alu instid0(VALU_DEP_1)
	v_add3_u32 v6, v6, v8, 0xc0
.LBB101_28:                             ; =>This Inner Loop Header: Depth=1
	ds_load_2addr_stride64_b32 v[8:9], v6 offset1:2
	v_add_nc_u32_e32 v5, -1, v5
	s_delay_alu instid0(VALU_DEP_1)
	v_cmp_eq_u32_e32 vcc_lo, 0, v5
	s_or_b32 s15, vcc_lo, s15
	s_wait_dscnt 0x0
	v_pk_mul_f32 v[8:9], v[2:3], v[8:9]
	ds_store_2addr_stride64_b32 v6, v8, v9 offset1:2
	v_add_nc_u32_e32 v6, 0x400, v6
	s_and_not1_b32 exec_lo, exec_lo, s15
	s_cbranch_execnz .LBB101_28
.LBB101_29:
	s_or_b32 exec_lo, exec_lo, s3
	v_add_nc_u32_e32 v3, 1, v4
	s_delay_alu instid0(VALU_DEP_1) | instskip(NEXT) | instid1(VALU_DEP_1)
	v_and_b32_e32 v4, 0x3fffffe, v3
	v_cmp_ne_u32_e32 vcc_lo, v3, v4
	v_lshl_add_u32 v3, v4, 7, v0
	s_or_not1_b32 s3, vcc_lo, exec_lo
.LBB101_30:
	s_or_b32 exec_lo, exec_lo, s1
	s_delay_alu instid0(SALU_CYCLE_1)
	s_and_b32 exec_lo, exec_lo, s3
	s_cbranch_execz .LBB101_33
; %bb.31:
	v_lshl_add_u32 v4, v3, 2, 0xc0
	s_mov_b32 s1, 0
.LBB101_32:                             ; =>This Inner Loop Header: Depth=1
	ds_load_b32 v5, v4
	v_add_nc_u32_e32 v3, 0x80, v3
	s_delay_alu instid0(VALU_DEP_1)
	v_cmp_le_i32_e32 vcc_lo, s4, v3
	s_or_b32 s1, vcc_lo, s1
	s_wait_dscnt 0x0
	v_mul_f32_e32 v5, v2, v5
	ds_store_b32 v4, v5
	v_add_nc_u32_e32 v4, 0x200, v4
	s_and_not1_b32 exec_lo, exec_lo, s1
	s_cbranch_execnz .LBB101_32
.LBB101_33:
	s_or_b32 exec_lo, exec_lo, s0
	v_dual_mov_b32 v6, 0 :: v_dual_bitop2_b32 v25, 3, v0 bitop3:0x40
	v_dual_mov_b32 v9, 0 :: v_dual_mov_b32 v8, 0
	v_dual_mov_b32 v11, 0 :: v_dual_mov_b32 v10, 0
	;; [unrolled: 1-line block ×4, first 2 shown]
	s_wait_dscnt 0x0
	s_barrier_signal -1
	s_barrier_wait -1
	s_and_saveexec_b32 s1, s2
	s_cbranch_execz .LBB101_57
; %bb.34:
	v_dual_mov_b32 v7, 0 :: v_dual_lshlrev_b32 v2, 3, v0
	s_ashr_i32 s15, s14, 31
	v_and_b32_e32 v6, 0x1f0, v1
	s_lshl_b64 s[14:15], s[14:15], 1
	s_delay_alu instid0(VALU_DEP_2)
	v_dual_lshlrev_b32 v2, 5, v25 :: v_dual_bitop2_b32 v1, 24, v2 bitop3:0x40
	s_wait_kmcnt 0x0
	s_add_nc_u64 s[14:15], s[16:17], s[14:15]
	s_ashr_i32 s3, s5, 31
	v_add_nc_u64_e32 v[16:17], s[14:15], v[6:7]
	v_and_b32_e32 v6, 0x7c, v48
	s_mov_b32 s2, s5
	s_lshl_b64 s[4:5], s[12:13], 2
	v_lshl_or_b32 v2, v46, 7, v2
	s_add_nc_u64 s[4:5], s[10:11], s[4:5]
	v_lshl_or_b32 v26, v46, 5, v1
	v_add_nc_u64_e32 v[18:19], s[4:5], v[6:7]
	s_delay_alu instid0(VALU_DEP_3)
	v_dual_mov_b32 v6, v7 :: v_dual_add_nc_u32 v27, 0xc0, v2
	v_dual_mov_b32 v9, v7 :: v_dual_mov_b32 v8, v7
	v_dual_mov_b32 v11, v7 :: v_dual_mov_b32 v10, v7
	;; [unrolled: 1-line block ×4, first 2 shown]
	v_mov_b32_e32 v28, v46
	s_add_co_i32 s4, s22, -1
	s_mov_b32 s10, s21
	s_mov_b32 s5, 0
	s_branch .LBB101_36
.LBB101_35:                             ;   in Loop: Header=BB101_36 Depth=1
	s_or_b32 exec_lo, exec_lo, s0
	v_dual_lshlrev_b32 v20, 16, v20 :: v_dual_lshlrev_b32 v1, 16, v1
	v_dual_add_f32 v22, v22, v36 :: v_dual_add_f32 v29, v57, v58
	v_lshlrev_b32_e32 v21, 16, v21
	s_delay_alu instid0(VALU_DEP_3) | instskip(NEXT) | instid1(VALU_DEP_4)
	v_and_or_b32 v2, 0xffff, v2, v20
	v_and_or_b32 v1, 0xffff, v3, v1
	s_delay_alu instid0(VALU_DEP_4)
	v_dual_add_f32 v6, v6, v22 :: v_dual_add_f32 v9, v9, v29
	v_add_f32_e32 v22, v51, v52
	v_and_or_b32 v3, 0xffff, v4, v21
	;;#ASMSTART
	v_pk_mul_f16 v2, v38, v2;

	;;#ASMEND
	;;#ASMSTART
	v_pk_mul_f16 v1, v37, v1;

	;;#ASMEND
	;; [unrolled: 4-line block ×4, first 2 shown]
	;;#ASMSTART
	v_pk_add_f16 v1, v2, v1;

	;;#ASMEND
	;;#ASMSTART
	v_pk_add_f16 v1, v1, v3;

	;;#ASMEND
	;; [unrolled: 4-line block ×3, first 2 shown]
	v_and_b32_e32 v4, 0xffff, v1
	v_dual_add_f32 v29, v49, v50 :: v_dual_lshrrev_b32 v5, 16, v1
	;;#ASMSTART
	v_cvt_f32_f16 v4, v4;
	;;#ASMEND
	;;#ASMSTART
	v_cvt_f32_f16 v5, v5;
	;;#ASMEND
	s_delay_alu instid0(VALU_DEP_1) | instskip(SKIP_3) | instid1(VALU_DEP_4)
	v_dual_add_f32 v1, v45, v48 :: v_dual_add_f32 v4, v4, v5
	v_add_nc_u32_e32 v28, 4, v28
	v_dual_add_f32 v30, v55, v56 :: v_dual_add_f32 v31, v53, v54
	v_dual_add_f32 v2, v43, v44 :: v_dual_add_f32 v3, v41, v42
	v_add_f32_e32 v12, v12, v1
	s_delay_alu instid0(VALU_DEP_4)
	v_cmp_le_i32_e32 vcc_lo, s22, v28
	v_add_nc_u64_e32 v[18:19], 16, v[18:19]
	v_dual_add_f32 v8, v8, v30 :: v_dual_add_f32 v11, v11, v31
	v_dual_add_f32 v10, v10, v22 :: v_dual_add_f32 v13, v13, v29
	;; [unrolled: 1-line block ×3, first 2 shown]
	v_dual_add_f32 v7, v7, v4 :: v_dual_add_nc_u32 v26, 0x80, v26
	v_add_nc_u32_e32 v27, 0x200, v27
	s_or_b32 s5, vcc_lo, s5
	s_delay_alu instid0(SALU_CYCLE_1)
	s_and_not1_b32 exec_lo, exec_lo, s5
	s_cbranch_execz .LBB101_56
.LBB101_36:                             ; =>This Inner Loop Header: Depth=1
	global_load_b32 v2, v[18:19], off
	v_cmp_eq_u32_e32 vcc_lo, s4, v28
	v_dual_add_nc_u32 v34, 2, v26 :: v_dual_add_nc_u32 v29, 5, v26
	v_or_b32_e32 v35, 3, v26
	s_wait_loadcnt 0x0
	v_ashrrev_i32_e32 v3, 31, v2
	s_delay_alu instid0(VALU_DEP_1)
	v_mul_u64_e32 v[20:21], s[2:3], v[2:3]
	ds_load_2addr_b64 v[2:5], v27 offset1:1
	ds_load_2addr_b64 v[30:33], v27 offset0:2 offset1:3
	s_wait_dscnt 0x1
	;;#ASMSTART
	v_cvt_f16_f32 v38, v2;

	;;#ASMEND
	;;#ASMSTART
	v_cvt_f16_f32 v37, v3;

	;;#ASMEND
	;; [unrolled: 4-line block ×4, first 2 shown]
	s_wait_dscnt 0x0
	;;#ASMSTART
	v_cvt_f16_f32 v44, v30;

	;;#ASMEND
	;;#ASMSTART
	v_cvt_f16_f32 v39, v31;

	;;#ASMEND
	;;#ASMSTART
	v_cvt_f16_f32 v42, v32;

	;;#ASMEND
	;;#ASMSTART
	v_cvt_f16_f32 v40, v33;

	;;#ASMEND
	v_dual_add_nc_u32 v30, 4, v26 :: v_dual_add_nc_u32 v32, 6, v26
	v_dual_add_nc_u32 v31, 7, v26 :: v_dual_bitop2_b32 v33, 1, v26 bitop3:0x54
	v_lshl_add_u64 v[20:21], v[20:21], 1, v[16:17]
	global_load_b128 v[2:5], v[20:21], off
	s_wait_loadcnt 0x0
	v_dual_lshrrev_b32 v1, 16, v3 :: v_dual_lshrrev_b32 v36, 16, v4
	v_lshrrev_b32_e32 v22, 16, v2
	s_and_saveexec_b32 s11, vcc_lo
	s_cbranch_execz .LBB101_38
; %bb.37:                               ;   in Loop: Header=BB101_36 Depth=1
	v_cmp_gt_i32_e64 s0, s21, v26
	v_and_b32_e32 v45, 0xffff, v5
	v_and_b32_e32 v5, 0xffff0000, v5
	s_delay_alu instid0(VALU_DEP_3) | instskip(SKIP_1) | instid1(VALU_DEP_1)
	v_cndmask_b32_e64 v2, 0, v2, s0
	v_cmp_gt_i32_e64 s0, s21, v34
	v_cndmask_b32_e64 v3, 0, v3, s0
	v_cmp_gt_i32_e64 s0, s10, v35
	s_delay_alu instid0(VALU_DEP_1) | instskip(SKIP_1) | instid1(VALU_DEP_1)
	v_cndmask_b32_e64 v1, 0, v1, s0
	v_cmp_gt_i32_e64 s0, s21, v33
	v_cndmask_b32_e64 v22, 0, v22, s0
	v_cmp_gt_i32_e64 s0, s21, v32
	s_delay_alu instid0(VALU_DEP_1) | instskip(SKIP_1) | instid1(VALU_DEP_1)
	;; [unrolled: 5-line block ×3, first 2 shown]
	v_cndmask_b32_e64 v4, 0, v4, s0
	v_cmp_gt_i32_e64 s0, s21, v29
	v_dual_cndmask_b32 v36, 0, v36, s0 :: v_dual_bitop2_b32 v5, v45, v5 bitop3:0x54
.LBB101_38:                             ;   in Loop: Header=BB101_36 Depth=1
	s_or_b32 exec_lo, exec_lo, s11
	v_and_b32_e32 v38, 0xffff, v38
	v_and_b32_e32 v43, 0xffff, v43
	v_dual_lshlrev_b32 v22, 16, v22 :: v_dual_lshlrev_b32 v1, 16, v1
	v_lshlrev_b32_e32 v36, 16, v36
	v_and_b32_e32 v44, 0xffff, v44
	v_lshl_or_b32 v38, v37, 16, v38
	v_lshl_or_b32 v37, v41, 16, v43
	v_and_b32_e32 v41, 0xffff, v42
	v_and_or_b32 v2, 0xffff, v2, v22
	v_and_or_b32 v1, 0xffff, v3, v1
	;; [unrolled: 1-line block ×3, first 2 shown]
	;;#ASMSTART
	v_pk_mul_f16 v2, v38, v2;

	;;#ASMEND
	;;#ASMSTART
	v_pk_mul_f16 v1, v37, v1;

	;;#ASMEND
	v_lshl_or_b32 v39, v39, 16, v44
	v_lshl_or_b32 v40, v40, 16, v41
	;;#ASMSTART
	v_pk_mul_f16 v3, v39, v3;

	;;#ASMEND
	;;#ASMSTART
	v_pk_mul_f16 v4, v40, v5;

	;;#ASMEND
	;;#ASMSTART
	v_pk_add_f16 v1, v2, v1;

	;;#ASMEND
	;;#ASMSTART
	v_pk_add_f16 v1, v1, v3;
	;; [unrolled: 4-line block ×3, first 2 shown]

	;;#ASMEND
	v_and_b32_e32 v2, 0xffff, v1
	v_lshrrev_b32_e32 v1, 16, v1
	;;#ASMSTART
	v_cvt_f32_f16 v41, v2;
	;;#ASMEND
	;;#ASMSTART
	v_cvt_f32_f16 v42, v1;
	;;#ASMEND
	global_load_b128 v[2:5], v[20:21], off offset:512
	s_wait_loadcnt 0x0
	v_dual_lshrrev_b32 v1, 16, v3 :: v_dual_lshrrev_b32 v22, 16, v2
	v_lshrrev_b32_e32 v36, 16, v4
	s_and_saveexec_b32 s11, vcc_lo
	s_cbranch_execz .LBB101_40
; %bb.39:                               ;   in Loop: Header=BB101_36 Depth=1
	v_cmp_gt_i32_e64 s0, s21, v26
	v_and_b32_e32 v43, 0xffff, v5
	v_and_b32_e32 v5, 0xffff0000, v5
	s_delay_alu instid0(VALU_DEP_3) | instskip(SKIP_1) | instid1(VALU_DEP_1)
	v_cndmask_b32_e64 v2, 0, v2, s0
	v_cmp_gt_i32_e64 s0, s21, v34
	v_cndmask_b32_e64 v3, 0, v3, s0
	v_cmp_gt_i32_e64 s0, s10, v35
	s_delay_alu instid0(VALU_DEP_1) | instskip(SKIP_1) | instid1(VALU_DEP_1)
	v_cndmask_b32_e64 v1, 0, v1, s0
	v_cmp_gt_i32_e64 s0, s21, v33
	v_cndmask_b32_e64 v22, 0, v22, s0
	v_cmp_gt_i32_e64 s0, s21, v32
	s_delay_alu instid0(VALU_DEP_1) | instskip(SKIP_1) | instid1(VALU_DEP_1)
	;; [unrolled: 5-line block ×3, first 2 shown]
	v_dual_cndmask_b32 v4, 0, v4, s0 :: v_dual_bitop2_b32 v5, v43, v5 bitop3:0x54
	v_cmp_gt_i32_e64 s0, s21, v29
	v_cndmask_b32_e64 v36, 0, v36, s0
.LBB101_40:                             ;   in Loop: Header=BB101_36 Depth=1
	s_or_b32 exec_lo, exec_lo, s11
	v_dual_lshlrev_b32 v22, 16, v22 :: v_dual_lshlrev_b32 v1, 16, v1
	s_delay_alu instid0(VALU_DEP_2) | instskip(NEXT) | instid1(VALU_DEP_2)
	v_lshlrev_b32_e32 v36, 16, v36
	v_and_or_b32 v2, 0xffff, v2, v22
	s_delay_alu instid0(VALU_DEP_3) | instskip(NEXT) | instid1(VALU_DEP_3)
	v_and_or_b32 v1, 0xffff, v3, v1
	v_and_or_b32 v3, 0xffff, v4, v36
	;;#ASMSTART
	v_pk_mul_f16 v2, v38, v2;

	;;#ASMEND
	;;#ASMSTART
	v_pk_mul_f16 v1, v37, v1;

	;;#ASMEND
	;; [unrolled: 4-line block ×4, first 2 shown]
	;;#ASMSTART
	v_pk_add_f16 v1, v2, v1;

	;;#ASMEND
	;;#ASMSTART
	v_pk_add_f16 v1, v1, v3;

	;;#ASMEND
	;; [unrolled: 4-line block ×3, first 2 shown]
	v_and_b32_e32 v2, 0xffff, v1
	v_lshrrev_b32_e32 v1, 16, v1
	;;#ASMSTART
	v_cvt_f32_f16 v43, v2;
	;;#ASMEND
	;;#ASMSTART
	v_cvt_f32_f16 v44, v1;
	;;#ASMEND
	global_load_b128 v[2:5], v[20:21], off offset:1024
	s_wait_loadcnt 0x0
	v_dual_lshrrev_b32 v1, 16, v3 :: v_dual_lshrrev_b32 v22, 16, v2
	v_lshrrev_b32_e32 v36, 16, v4
	s_and_saveexec_b32 s11, vcc_lo
	s_cbranch_execz .LBB101_42
; %bb.41:                               ;   in Loop: Header=BB101_36 Depth=1
	v_cmp_gt_i32_e64 s0, s21, v26
	v_and_b32_e32 v45, 0xffff, v5
	v_and_b32_e32 v5, 0xffff0000, v5
	s_delay_alu instid0(VALU_DEP_3) | instskip(SKIP_1) | instid1(VALU_DEP_1)
	v_cndmask_b32_e64 v2, 0, v2, s0
	v_cmp_gt_i32_e64 s0, s21, v34
	v_cndmask_b32_e64 v3, 0, v3, s0
	v_cmp_gt_i32_e64 s0, s10, v35
	s_delay_alu instid0(VALU_DEP_1) | instskip(SKIP_1) | instid1(VALU_DEP_1)
	v_cndmask_b32_e64 v1, 0, v1, s0
	v_cmp_gt_i32_e64 s0, s21, v33
	v_cndmask_b32_e64 v22, 0, v22, s0
	v_cmp_gt_i32_e64 s0, s21, v32
	s_delay_alu instid0(VALU_DEP_1) | instskip(SKIP_1) | instid1(VALU_DEP_1)
	;; [unrolled: 5-line block ×3, first 2 shown]
	v_cndmask_b32_e64 v4, 0, v4, s0
	v_cmp_gt_i32_e64 s0, s21, v29
	v_dual_cndmask_b32 v36, 0, v36, s0 :: v_dual_bitop2_b32 v5, v45, v5 bitop3:0x54
.LBB101_42:                             ;   in Loop: Header=BB101_36 Depth=1
	s_or_b32 exec_lo, exec_lo, s11
	v_dual_lshlrev_b32 v22, 16, v22 :: v_dual_lshlrev_b32 v1, 16, v1
	s_delay_alu instid0(VALU_DEP_2) | instskip(NEXT) | instid1(VALU_DEP_2)
	v_lshlrev_b32_e32 v36, 16, v36
	v_and_or_b32 v2, 0xffff, v2, v22
	s_delay_alu instid0(VALU_DEP_3) | instskip(NEXT) | instid1(VALU_DEP_3)
	v_and_or_b32 v1, 0xffff, v3, v1
	v_and_or_b32 v3, 0xffff, v4, v36
	;;#ASMSTART
	v_pk_mul_f16 v2, v38, v2;

	;;#ASMEND
	;;#ASMSTART
	v_pk_mul_f16 v1, v37, v1;

	;;#ASMEND
	;; [unrolled: 4-line block ×4, first 2 shown]
	;;#ASMSTART
	v_pk_add_f16 v1, v2, v1;

	;;#ASMEND
	;;#ASMSTART
	v_pk_add_f16 v1, v1, v3;

	;;#ASMEND
	;; [unrolled: 4-line block ×3, first 2 shown]
	v_and_b32_e32 v2, 0xffff, v1
	v_lshrrev_b32_e32 v1, 16, v1
	;;#ASMSTART
	v_cvt_f32_f16 v45, v2;
	;;#ASMEND
	;;#ASMSTART
	v_cvt_f32_f16 v48, v1;
	;;#ASMEND
	global_load_b128 v[2:5], v[20:21], off offset:1536
	s_wait_loadcnt 0x0
	v_dual_lshrrev_b32 v1, 16, v3 :: v_dual_lshrrev_b32 v22, 16, v2
	v_lshrrev_b32_e32 v36, 16, v4
	s_and_saveexec_b32 s11, vcc_lo
	s_cbranch_execz .LBB101_44
; %bb.43:                               ;   in Loop: Header=BB101_36 Depth=1
	v_cmp_gt_i32_e64 s0, s21, v26
	v_and_b32_e32 v49, 0xffff, v5
	v_and_b32_e32 v5, 0xffff0000, v5
	s_delay_alu instid0(VALU_DEP_3) | instskip(SKIP_1) | instid1(VALU_DEP_1)
	v_cndmask_b32_e64 v2, 0, v2, s0
	v_cmp_gt_i32_e64 s0, s21, v34
	v_cndmask_b32_e64 v3, 0, v3, s0
	v_cmp_gt_i32_e64 s0, s10, v35
	s_delay_alu instid0(VALU_DEP_1) | instskip(SKIP_1) | instid1(VALU_DEP_1)
	v_cndmask_b32_e64 v1, 0, v1, s0
	v_cmp_gt_i32_e64 s0, s21, v33
	v_cndmask_b32_e64 v22, 0, v22, s0
	v_cmp_gt_i32_e64 s0, s21, v32
	s_delay_alu instid0(VALU_DEP_1) | instskip(SKIP_1) | instid1(VALU_DEP_1)
	;; [unrolled: 5-line block ×3, first 2 shown]
	v_cndmask_b32_e64 v4, 0, v4, s0
	v_cmp_gt_i32_e64 s0, s21, v29
	v_dual_cndmask_b32 v36, 0, v36, s0 :: v_dual_bitop2_b32 v5, v49, v5 bitop3:0x54
.LBB101_44:                             ;   in Loop: Header=BB101_36 Depth=1
	s_or_b32 exec_lo, exec_lo, s11
	v_dual_lshlrev_b32 v22, 16, v22 :: v_dual_lshlrev_b32 v1, 16, v1
	s_delay_alu instid0(VALU_DEP_2) | instskip(NEXT) | instid1(VALU_DEP_2)
	v_lshlrev_b32_e32 v36, 16, v36
	v_and_or_b32 v2, 0xffff, v2, v22
	s_delay_alu instid0(VALU_DEP_3) | instskip(NEXT) | instid1(VALU_DEP_3)
	v_and_or_b32 v1, 0xffff, v3, v1
	v_and_or_b32 v3, 0xffff, v4, v36
	;;#ASMSTART
	v_pk_mul_f16 v2, v38, v2;

	;;#ASMEND
	;;#ASMSTART
	v_pk_mul_f16 v1, v37, v1;

	;;#ASMEND
	;; [unrolled: 4-line block ×4, first 2 shown]
	;;#ASMSTART
	v_pk_add_f16 v1, v2, v1;

	;;#ASMEND
	;;#ASMSTART
	v_pk_add_f16 v1, v1, v3;

	;;#ASMEND
	;; [unrolled: 4-line block ×3, first 2 shown]
	v_and_b32_e32 v2, 0xffff, v1
	v_lshrrev_b32_e32 v1, 16, v1
	;;#ASMSTART
	v_cvt_f32_f16 v49, v2;
	;;#ASMEND
	;;#ASMSTART
	v_cvt_f32_f16 v50, v1;
	;;#ASMEND
	global_load_b128 v[2:5], v[20:21], off offset:2048
	s_wait_loadcnt 0x0
	v_dual_lshrrev_b32 v1, 16, v3 :: v_dual_lshrrev_b32 v22, 16, v2
	v_lshrrev_b32_e32 v36, 16, v4
	s_and_saveexec_b32 s11, vcc_lo
	s_cbranch_execz .LBB101_46
; %bb.45:                               ;   in Loop: Header=BB101_36 Depth=1
	v_cmp_gt_i32_e64 s0, s21, v26
	v_and_b32_e32 v51, 0xffff, v5
	v_and_b32_e32 v5, 0xffff0000, v5
	s_delay_alu instid0(VALU_DEP_3) | instskip(SKIP_1) | instid1(VALU_DEP_1)
	v_cndmask_b32_e64 v2, 0, v2, s0
	v_cmp_gt_i32_e64 s0, s21, v34
	v_cndmask_b32_e64 v3, 0, v3, s0
	v_cmp_gt_i32_e64 s0, s10, v35
	s_delay_alu instid0(VALU_DEP_1) | instskip(SKIP_1) | instid1(VALU_DEP_1)
	v_cndmask_b32_e64 v1, 0, v1, s0
	v_cmp_gt_i32_e64 s0, s21, v33
	v_cndmask_b32_e64 v22, 0, v22, s0
	v_cmp_gt_i32_e64 s0, s21, v32
	s_delay_alu instid0(VALU_DEP_1) | instskip(SKIP_1) | instid1(VALU_DEP_1)
	;; [unrolled: 5-line block ×3, first 2 shown]
	v_dual_cndmask_b32 v4, 0, v4, s0 :: v_dual_bitop2_b32 v5, v51, v5 bitop3:0x54
	v_cmp_gt_i32_e64 s0, s21, v29
	v_cndmask_b32_e64 v36, 0, v36, s0
.LBB101_46:                             ;   in Loop: Header=BB101_36 Depth=1
	s_or_b32 exec_lo, exec_lo, s11
	v_dual_lshlrev_b32 v22, 16, v22 :: v_dual_lshlrev_b32 v1, 16, v1
	s_delay_alu instid0(VALU_DEP_2) | instskip(NEXT) | instid1(VALU_DEP_2)
	v_lshlrev_b32_e32 v36, 16, v36
	v_and_or_b32 v2, 0xffff, v2, v22
	s_delay_alu instid0(VALU_DEP_3) | instskip(NEXT) | instid1(VALU_DEP_3)
	v_and_or_b32 v1, 0xffff, v3, v1
	v_and_or_b32 v3, 0xffff, v4, v36
	;;#ASMSTART
	v_pk_mul_f16 v2, v38, v2;

	;;#ASMEND
	;;#ASMSTART
	v_pk_mul_f16 v1, v37, v1;

	;;#ASMEND
	;; [unrolled: 4-line block ×4, first 2 shown]
	;;#ASMSTART
	v_pk_add_f16 v1, v2, v1;

	;;#ASMEND
	;;#ASMSTART
	v_pk_add_f16 v1, v1, v3;

	;;#ASMEND
	;; [unrolled: 4-line block ×3, first 2 shown]
	v_and_b32_e32 v2, 0xffff, v1
	v_lshrrev_b32_e32 v1, 16, v1
	;;#ASMSTART
	v_cvt_f32_f16 v51, v2;
	;;#ASMEND
	;;#ASMSTART
	v_cvt_f32_f16 v52, v1;
	;;#ASMEND
	global_load_b128 v[2:5], v[20:21], off offset:2560
	s_wait_loadcnt 0x0
	v_dual_lshrrev_b32 v1, 16, v3 :: v_dual_lshrrev_b32 v22, 16, v2
	v_lshrrev_b32_e32 v36, 16, v4
	s_and_saveexec_b32 s11, vcc_lo
	s_cbranch_execz .LBB101_48
; %bb.47:                               ;   in Loop: Header=BB101_36 Depth=1
	v_cmp_gt_i32_e64 s0, s21, v26
	v_and_b32_e32 v53, 0xffff, v5
	v_and_b32_e32 v5, 0xffff0000, v5
	s_delay_alu instid0(VALU_DEP_3) | instskip(SKIP_1) | instid1(VALU_DEP_1)
	v_cndmask_b32_e64 v2, 0, v2, s0
	v_cmp_gt_i32_e64 s0, s21, v34
	v_cndmask_b32_e64 v3, 0, v3, s0
	v_cmp_gt_i32_e64 s0, s10, v35
	s_delay_alu instid0(VALU_DEP_1) | instskip(SKIP_1) | instid1(VALU_DEP_1)
	v_cndmask_b32_e64 v1, 0, v1, s0
	v_cmp_gt_i32_e64 s0, s21, v33
	v_cndmask_b32_e64 v22, 0, v22, s0
	v_cmp_gt_i32_e64 s0, s21, v32
	s_delay_alu instid0(VALU_DEP_1) | instskip(SKIP_1) | instid1(VALU_DEP_1)
	;; [unrolled: 5-line block ×3, first 2 shown]
	v_cndmask_b32_e64 v4, 0, v4, s0
	v_cmp_gt_i32_e64 s0, s21, v29
	v_dual_cndmask_b32 v36, 0, v36, s0 :: v_dual_bitop2_b32 v5, v53, v5 bitop3:0x54
.LBB101_48:                             ;   in Loop: Header=BB101_36 Depth=1
	s_or_b32 exec_lo, exec_lo, s11
	v_dual_lshlrev_b32 v22, 16, v22 :: v_dual_lshlrev_b32 v1, 16, v1
	s_delay_alu instid0(VALU_DEP_2) | instskip(NEXT) | instid1(VALU_DEP_2)
	v_lshlrev_b32_e32 v36, 16, v36
	v_and_or_b32 v2, 0xffff, v2, v22
	s_delay_alu instid0(VALU_DEP_3) | instskip(NEXT) | instid1(VALU_DEP_3)
	v_and_or_b32 v1, 0xffff, v3, v1
	v_and_or_b32 v3, 0xffff, v4, v36
	;;#ASMSTART
	v_pk_mul_f16 v2, v38, v2;

	;;#ASMEND
	;;#ASMSTART
	v_pk_mul_f16 v1, v37, v1;

	;;#ASMEND
	;; [unrolled: 4-line block ×4, first 2 shown]
	;;#ASMSTART
	v_pk_add_f16 v1, v2, v1;

	;;#ASMEND
	;;#ASMSTART
	v_pk_add_f16 v1, v1, v3;

	;;#ASMEND
	;; [unrolled: 4-line block ×3, first 2 shown]
	v_and_b32_e32 v2, 0xffff, v1
	v_lshrrev_b32_e32 v1, 16, v1
	;;#ASMSTART
	v_cvt_f32_f16 v53, v2;
	;;#ASMEND
	;;#ASMSTART
	v_cvt_f32_f16 v54, v1;
	;;#ASMEND
	global_load_b128 v[2:5], v[20:21], off offset:3072
	s_wait_loadcnt 0x0
	v_dual_lshrrev_b32 v1, 16, v3 :: v_dual_lshrrev_b32 v22, 16, v2
	v_lshrrev_b32_e32 v36, 16, v4
	s_and_saveexec_b32 s11, vcc_lo
	s_cbranch_execz .LBB101_50
; %bb.49:                               ;   in Loop: Header=BB101_36 Depth=1
	v_cmp_gt_i32_e64 s0, s21, v26
	v_and_b32_e32 v55, 0xffff, v5
	v_and_b32_e32 v5, 0xffff0000, v5
	s_delay_alu instid0(VALU_DEP_3) | instskip(SKIP_1) | instid1(VALU_DEP_1)
	v_cndmask_b32_e64 v2, 0, v2, s0
	v_cmp_gt_i32_e64 s0, s21, v34
	v_cndmask_b32_e64 v3, 0, v3, s0
	v_cmp_gt_i32_e64 s0, s10, v35
	s_delay_alu instid0(VALU_DEP_1) | instskip(SKIP_1) | instid1(VALU_DEP_1)
	v_cndmask_b32_e64 v1, 0, v1, s0
	v_cmp_gt_i32_e64 s0, s21, v33
	v_cndmask_b32_e64 v22, 0, v22, s0
	v_cmp_gt_i32_e64 s0, s21, v32
	s_delay_alu instid0(VALU_DEP_1) | instskip(SKIP_1) | instid1(VALU_DEP_1)
	;; [unrolled: 5-line block ×3, first 2 shown]
	v_dual_cndmask_b32 v4, 0, v4, s0 :: v_dual_bitop2_b32 v5, v55, v5 bitop3:0x54
	v_cmp_gt_i32_e64 s0, s21, v29
	v_cndmask_b32_e64 v36, 0, v36, s0
.LBB101_50:                             ;   in Loop: Header=BB101_36 Depth=1
	s_or_b32 exec_lo, exec_lo, s11
	v_dual_lshlrev_b32 v22, 16, v22 :: v_dual_lshlrev_b32 v1, 16, v1
	s_delay_alu instid0(VALU_DEP_2) | instskip(NEXT) | instid1(VALU_DEP_2)
	v_lshlrev_b32_e32 v36, 16, v36
	v_and_or_b32 v2, 0xffff, v2, v22
	s_delay_alu instid0(VALU_DEP_3) | instskip(NEXT) | instid1(VALU_DEP_3)
	v_and_or_b32 v1, 0xffff, v3, v1
	v_and_or_b32 v3, 0xffff, v4, v36
	;;#ASMSTART
	v_pk_mul_f16 v2, v38, v2;

	;;#ASMEND
	;;#ASMSTART
	v_pk_mul_f16 v1, v37, v1;

	;;#ASMEND
	;;#ASMSTART
	v_pk_mul_f16 v3, v39, v3;

	;;#ASMEND
	;;#ASMSTART
	v_pk_mul_f16 v4, v40, v5;

	;;#ASMEND
	;;#ASMSTART
	v_pk_add_f16 v1, v2, v1;

	;;#ASMEND
	;;#ASMSTART
	v_pk_add_f16 v1, v1, v3;

	;;#ASMEND
	;; [unrolled: 4-line block ×3, first 2 shown]
	v_and_b32_e32 v2, 0xffff, v1
	v_lshrrev_b32_e32 v1, 16, v1
	;;#ASMSTART
	v_cvt_f32_f16 v55, v2;
	;;#ASMEND
	;;#ASMSTART
	v_cvt_f32_f16 v56, v1;
	;;#ASMEND
	global_load_b128 v[2:5], v[20:21], off offset:3584
	s_wait_loadcnt 0x0
	v_dual_lshrrev_b32 v1, 16, v3 :: v_dual_lshrrev_b32 v22, 16, v2
	v_lshrrev_b32_e32 v36, 16, v4
	s_and_saveexec_b32 s11, vcc_lo
	s_cbranch_execz .LBB101_52
; %bb.51:                               ;   in Loop: Header=BB101_36 Depth=1
	v_cmp_gt_i32_e64 s0, s21, v26
	v_and_b32_e32 v57, 0xffff, v5
	v_and_b32_e32 v5, 0xffff0000, v5
	s_delay_alu instid0(VALU_DEP_3) | instskip(SKIP_1) | instid1(VALU_DEP_1)
	v_cndmask_b32_e64 v2, 0, v2, s0
	v_cmp_gt_i32_e64 s0, s21, v34
	v_cndmask_b32_e64 v3, 0, v3, s0
	v_cmp_gt_i32_e64 s0, s10, v35
	s_delay_alu instid0(VALU_DEP_1) | instskip(SKIP_1) | instid1(VALU_DEP_1)
	v_cndmask_b32_e64 v1, 0, v1, s0
	v_cmp_gt_i32_e64 s0, s21, v33
	v_cndmask_b32_e64 v22, 0, v22, s0
	v_cmp_gt_i32_e64 s0, s21, v32
	s_delay_alu instid0(VALU_DEP_1) | instskip(SKIP_1) | instid1(VALU_DEP_1)
	;; [unrolled: 5-line block ×3, first 2 shown]
	v_cndmask_b32_e64 v4, 0, v4, s0
	v_cmp_gt_i32_e64 s0, s21, v29
	v_dual_cndmask_b32 v36, 0, v36, s0 :: v_dual_bitop2_b32 v5, v57, v5 bitop3:0x54
.LBB101_52:                             ;   in Loop: Header=BB101_36 Depth=1
	s_or_b32 exec_lo, exec_lo, s11
	v_dual_lshlrev_b32 v22, 16, v22 :: v_dual_lshlrev_b32 v1, 16, v1
	s_delay_alu instid0(VALU_DEP_2) | instskip(NEXT) | instid1(VALU_DEP_2)
	v_lshlrev_b32_e32 v36, 16, v36
	v_and_or_b32 v2, 0xffff, v2, v22
	s_delay_alu instid0(VALU_DEP_3) | instskip(NEXT) | instid1(VALU_DEP_3)
	v_and_or_b32 v1, 0xffff, v3, v1
	v_and_or_b32 v3, 0xffff, v4, v36
	;;#ASMSTART
	v_pk_mul_f16 v2, v38, v2;

	;;#ASMEND
	;;#ASMSTART
	v_pk_mul_f16 v1, v37, v1;

	;;#ASMEND
	;; [unrolled: 4-line block ×4, first 2 shown]
	;;#ASMSTART
	v_pk_add_f16 v1, v2, v1;

	;;#ASMEND
	;;#ASMSTART
	v_pk_add_f16 v1, v1, v3;

	;;#ASMEND
	;; [unrolled: 4-line block ×3, first 2 shown]
	v_and_b32_e32 v2, 0xffff, v1
	v_lshrrev_b32_e32 v1, 16, v1
	;;#ASMSTART
	v_cvt_f32_f16 v57, v2;
	;;#ASMEND
	;;#ASMSTART
	v_cvt_f32_f16 v58, v1;
	;;#ASMEND
	global_load_b128 v[2:5], v[20:21], off offset:4096
	s_wait_loadcnt 0x0
	v_dual_lshrrev_b32 v1, 16, v3 :: v_dual_lshrrev_b32 v22, 16, v2
	v_lshrrev_b32_e32 v36, 16, v4
	s_and_saveexec_b32 s11, vcc_lo
	s_cbranch_execz .LBB101_54
; %bb.53:                               ;   in Loop: Header=BB101_36 Depth=1
	v_cmp_gt_i32_e64 s0, s21, v26
	v_and_b32_e32 v59, 0xffff, v5
	v_and_b32_e32 v5, 0xffff0000, v5
	s_delay_alu instid0(VALU_DEP_3) | instskip(SKIP_1) | instid1(VALU_DEP_1)
	v_cndmask_b32_e64 v2, 0, v2, s0
	v_cmp_gt_i32_e64 s0, s21, v34
	v_cndmask_b32_e64 v3, 0, v3, s0
	v_cmp_gt_i32_e64 s0, s10, v35
	s_delay_alu instid0(VALU_DEP_1) | instskip(SKIP_1) | instid1(VALU_DEP_1)
	v_cndmask_b32_e64 v1, 0, v1, s0
	v_cmp_gt_i32_e64 s0, s21, v33
	v_cndmask_b32_e64 v22, 0, v22, s0
	v_cmp_gt_i32_e64 s0, s21, v32
	s_delay_alu instid0(VALU_DEP_1) | instskip(SKIP_1) | instid1(VALU_DEP_1)
	;; [unrolled: 5-line block ×3, first 2 shown]
	v_dual_cndmask_b32 v4, 0, v4, s0 :: v_dual_bitop2_b32 v5, v59, v5 bitop3:0x54
	v_cmp_gt_i32_e64 s0, s21, v29
	v_cndmask_b32_e64 v36, 0, v36, s0
.LBB101_54:                             ;   in Loop: Header=BB101_36 Depth=1
	s_or_b32 exec_lo, exec_lo, s11
	v_dual_lshlrev_b32 v22, 16, v22 :: v_dual_lshlrev_b32 v1, 16, v1
	s_delay_alu instid0(VALU_DEP_2) | instskip(NEXT) | instid1(VALU_DEP_2)
	v_lshlrev_b32_e32 v36, 16, v36
	v_and_or_b32 v2, 0xffff, v2, v22
	s_delay_alu instid0(VALU_DEP_3) | instskip(NEXT) | instid1(VALU_DEP_3)
	v_and_or_b32 v1, 0xffff, v3, v1
	v_and_or_b32 v3, 0xffff, v4, v36
	;;#ASMSTART
	v_pk_mul_f16 v2, v38, v2;

	;;#ASMEND
	;;#ASMSTART
	v_pk_mul_f16 v1, v37, v1;

	;;#ASMEND
	;; [unrolled: 4-line block ×4, first 2 shown]
	;;#ASMSTART
	v_pk_add_f16 v1, v2, v1;

	;;#ASMEND
	;;#ASMSTART
	v_pk_add_f16 v1, v1, v3;

	;;#ASMEND
	;;#ASMSTART
	v_pk_add_f16 v1, v1, v4;

	;;#ASMEND
	v_and_b32_e32 v2, 0xffff, v1
	v_lshrrev_b32_e32 v1, 16, v1
	;;#ASMSTART
	v_cvt_f32_f16 v22, v2;
	;;#ASMEND
	;;#ASMSTART
	v_cvt_f32_f16 v36, v1;
	;;#ASMEND
	global_load_b128 v[2:5], v[20:21], off offset:4608
	s_wait_loadcnt 0x0
	v_dual_lshrrev_b32 v1, 16, v3 :: v_dual_lshrrev_b32 v20, 16, v2
	v_lshrrev_b32_e32 v21, 16, v4
	s_and_saveexec_b32 s0, vcc_lo
	s_cbranch_execz .LBB101_35
; %bb.55:                               ;   in Loop: Header=BB101_36 Depth=1
	v_cmp_gt_i32_e32 vcc_lo, s21, v26
	v_cndmask_b32_e32 v2, 0, v2, vcc_lo
	v_cmp_gt_i32_e32 vcc_lo, s21, v34
	v_and_b32_e32 v34, 0xffff, v5
	v_and_b32_e32 v5, 0xffff0000, v5
	v_cndmask_b32_e32 v3, 0, v3, vcc_lo
	v_cmp_gt_i32_e32 vcc_lo, s10, v35
	v_cndmask_b32_e32 v1, 0, v1, vcc_lo
	v_cmp_gt_i32_e32 vcc_lo, s21, v33
	;; [unrolled: 2-line block ×5, first 2 shown]
	s_delay_alu instid0(VALU_DEP_2)
	v_dual_cndmask_b32 v4, 0, v4, vcc_lo :: v_dual_bitop2_b32 v5, v32, v5 bitop3:0x54
	v_cmp_gt_i32_e32 vcc_lo, s21, v29
	v_cndmask_b32_e32 v21, 0, v21, vcc_lo
	s_branch .LBB101_35
.LBB101_56:
	s_or_b32 exec_lo, exec_lo, s5
.LBB101_57:
	s_delay_alu instid0(SALU_CYCLE_1)
	s_or_b32 exec_lo, exec_lo, s1
	ds_bpermute_b32 v2, v24, v14
	ds_bpermute_b32 v3, v24, v15
	;; [unrolled: 1-line block ×10, first 2 shown]
	v_and_b32_e32 v1, 28, v47
	v_and_b32_e32 v22, 0x3c3, v0
	s_mov_b32 s0, exec_lo
	s_wait_dscnt 0x0
	s_barrier_signal -1
	s_barrier_wait -1
	v_pk_add_f32 v[2:3], v[14:15], v[2:3]
	v_pk_add_f32 v[4:5], v[12:13], v[4:5]
	;; [unrolled: 1-line block ×4, first 2 shown]
	ds_bpermute_b32 v18, v23, v4
	v_pk_add_f32 v[10:11], v[6:7], v[20:21]
	ds_bpermute_b32 v6, v23, v2
	ds_bpermute_b32 v7, v23, v3
	ds_bpermute_b32 v19, v23, v5
	ds_bpermute_b32 v20, v23, v14
	ds_bpermute_b32 v21, v23, v15
	ds_bpermute_b32 v26, v23, v16
	ds_bpermute_b32 v27, v23, v17
	ds_bpermute_b32 v12, v23, v10
	ds_bpermute_b32 v13, v23, v11
	s_wait_dscnt 0x7
	v_pk_add_f32 v[8:9], v[2:3], v[6:7]
	s_wait_dscnt 0x6
	v_pk_add_f32 v[6:7], v[4:5], v[18:19]
	;; [unrolled: 2-line block ×4, first 2 shown]
	v_cmpx_ne_u32_e32 64, v22
	s_xor_b32 s0, exec_lo, s0
	s_delay_alu instid0(SALU_CYCLE_1)
	s_or_saveexec_b32 s0, s0
	s_wait_dscnt 0x0
	v_pk_add_f32 v[10:11], v[10:11], v[12:13]
	v_lshrrev_b32_e32 v13, 2, v47
	v_add_nc_u32_e32 v12, 0xc0, v1
	v_mul_u32_u24_e32 v1, 0x140, v46
	s_xor_b32 exec_lo, exec_lo, s0
	s_cbranch_execz .LBB101_59
; %bb.58:
	s_delay_alu instid0(VALU_DEP_1) | instskip(NEXT) | instid1(VALU_DEP_1)
	v_add_nc_u32_e32 v14, v12, v1
	v_add_nc_u32_e32 v15, 0xfffffd80, v14
	;; [unrolled: 1-line block ×11, first 2 shown]
	ds_store_b32 v15, v8
	ds_store_b32 v16, v9
	;; [unrolled: 1-line block ×10, first 2 shown]
.LBB101_59:
	s_or_b32 exec_lo, exec_lo, s0
	v_lshlrev_b32_e32 v13, 2, v13
	s_mov_b32 s1, exec_lo
	v_cmp_eq_u32_e32 vcc_lo, 0, v25
	s_wait_dscnt 0x0
	s_barrier_signal -1
	v_add3_u32 v1, 0xc0, v1, v13
	s_barrier_wait -1
	v_cmpx_gt_u32_e32 64, v0
	s_cbranch_execz .LBB101_72
; %bb.60:
	s_and_saveexec_b32 s0, vcc_lo
	s_cbranch_execnz .LBB101_90
; %bb.61:
	s_or_b32 exec_lo, exec_lo, s0
	s_and_saveexec_b32 s0, vcc_lo
	s_cbranch_execnz .LBB101_91
.LBB101_62:
	s_or_b32 exec_lo, exec_lo, s0
	s_and_saveexec_b32 s0, vcc_lo
	s_cbranch_execnz .LBB101_92
.LBB101_63:
	s_or_b32 exec_lo, exec_lo, s0
	s_and_saveexec_b32 s0, vcc_lo
	s_cbranch_execnz .LBB101_93
.LBB101_64:
	s_or_b32 exec_lo, exec_lo, s0
	s_and_saveexec_b32 s0, vcc_lo
	s_cbranch_execnz .LBB101_94
.LBB101_65:
	s_or_b32 exec_lo, exec_lo, s0
	s_and_saveexec_b32 s0, vcc_lo
	s_cbranch_execnz .LBB101_95
.LBB101_66:
	s_or_b32 exec_lo, exec_lo, s0
	s_and_saveexec_b32 s0, vcc_lo
	s_cbranch_execnz .LBB101_96
.LBB101_67:
	s_or_b32 exec_lo, exec_lo, s0
	s_and_saveexec_b32 s0, vcc_lo
	s_cbranch_execnz .LBB101_97
.LBB101_68:
	s_or_b32 exec_lo, exec_lo, s0
	s_and_saveexec_b32 s0, vcc_lo
	s_cbranch_execnz .LBB101_98
.LBB101_69:
	s_or_b32 exec_lo, exec_lo, s0
	s_and_saveexec_b32 s0, vcc_lo
	s_cbranch_execz .LBB101_71
.LBB101_70:
	ds_load_b32 v13, v1 offset:288
	s_wait_dscnt 0x0
	v_add_f32_e32 v11, v11, v13
.LBB101_71:
	s_or_b32 exec_lo, exec_lo, s0
.LBB101_72:
	s_delay_alu instid0(SALU_CYCLE_1) | instskip(SKIP_4) | instid1(VALU_DEP_1)
	s_or_b32 exec_lo, exec_lo, s1
	v_and_b32_e32 v13, 0x3e3, v0
	s_mov_b32 s1, exec_lo
	s_barrier_signal -1
	s_barrier_wait -1
	v_cmpx_eq_u32_e32 32, v13
	s_cbranch_execz .LBB101_74
; %bb.73:
	ds_store_2addr_b32 v12, v8, v9 offset1:8
	ds_store_2addr_b32 v12, v6, v7 offset0:16 offset1:24
	ds_store_2addr_b32 v12, v4, v5 offset0:32 offset1:40
	ds_store_2addr_b32 v12, v2, v3 offset0:48 offset1:56
	ds_store_2addr_b32 v12, v10, v11 offset0:64 offset1:72
.LBB101_74:
	s_or_b32 exec_lo, exec_lo, s1
	s_delay_alu instid0(SALU_CYCLE_1)
	s_mov_b32 s1, exec_lo
	s_wait_dscnt 0x0
	s_barrier_signal -1
	s_barrier_wait -1
	v_cmpx_gt_u32_e32 32, v0
	s_cbranch_execz .LBB101_87
; %bb.75:
	s_and_saveexec_b32 s0, vcc_lo
	s_cbranch_execnz .LBB101_99
; %bb.76:
	s_or_b32 exec_lo, exec_lo, s0
	s_and_saveexec_b32 s0, vcc_lo
	s_cbranch_execnz .LBB101_100
.LBB101_77:
	s_or_b32 exec_lo, exec_lo, s0
	s_and_saveexec_b32 s0, vcc_lo
	s_cbranch_execnz .LBB101_101
.LBB101_78:
	s_or_b32 exec_lo, exec_lo, s0
	s_and_saveexec_b32 s0, vcc_lo
	s_cbranch_execnz .LBB101_102
.LBB101_79:
	s_or_b32 exec_lo, exec_lo, s0
	s_and_saveexec_b32 s0, vcc_lo
	s_cbranch_execnz .LBB101_103
.LBB101_80:
	s_or_b32 exec_lo, exec_lo, s0
	s_and_saveexec_b32 s0, vcc_lo
	s_cbranch_execnz .LBB101_104
.LBB101_81:
	s_or_b32 exec_lo, exec_lo, s0
	s_and_saveexec_b32 s0, vcc_lo
	s_cbranch_execnz .LBB101_105
.LBB101_82:
	s_or_b32 exec_lo, exec_lo, s0
	s_and_saveexec_b32 s0, vcc_lo
	s_cbranch_execnz .LBB101_106
.LBB101_83:
	s_or_b32 exec_lo, exec_lo, s0
	s_and_saveexec_b32 s0, vcc_lo
	s_cbranch_execnz .LBB101_107
.LBB101_84:
	s_or_b32 exec_lo, exec_lo, s0
	s_and_saveexec_b32 s0, vcc_lo
	s_cbranch_execz .LBB101_86
.LBB101_85:
	ds_load_b32 v1, v1 offset:288
	s_wait_dscnt 0x0
	v_add_f32_e32 v11, v11, v1
.LBB101_86:
	s_or_b32 exec_lo, exec_lo, s0
.LBB101_87:
	s_delay_alu instid0(SALU_CYCLE_1)
	s_or_b32 exec_lo, exec_lo, s1
	s_mov_b32 s1, 0
	s_barrier_signal -1
	s_barrier_wait -1
	s_mov_b32 s0, exec_lo
	v_cmpx_eq_u32_e32 0, v13
	s_cbranch_execz .LBB101_89
; %bb.88:
	s_mul_i32 s0, s20, s9
	s_mul_i32 s2, s9, s8
	;; [unrolled: 1-line block ×3, first 2 shown]
	s_lshr_b32 s8, ttmp7, 16
	s_mul_i32 s4, s0, 0x50
	s_bfe_u32 s0, ttmp6, 0x40014
	s_ashr_i32 s5, s4, 31
	s_add_co_i32 s0, s0, 1
	s_lshl_b64 s[4:5], s[4:5], 1
	s_ashr_i32 s3, s2, 31
	s_wait_kmcnt 0x0
	s_add_nc_u64 s[4:5], s[6:7], s[4:5]
	s_mul_i32 s0, s8, s0
	s_bfe_u32 s6, ttmp6, 0x40008
	s_lshl_b64 s[2:3], s[2:3], 1
	s_add_co_i32 s6, s6, s0
	s_cmp_eq_u32 s18, 0
	v_lshrrev_b32_e32 v0, 1, v0
	s_cselect_b32 s0, s8, s6
	s_add_nc_u64 s[2:3], s[4:5], s[2:3]
	s_mulk_i32 s0, 0xa0
	;;#ASMSTART
	v_cvt_f16_f32 v1, v8;

	;;#ASMEND
	s_add_nc_u64 s[0:1], s[2:3], s[0:1]
	global_store_b16 v0, v1, s[0:1]
	s_wait_xcnt 0x0
	;;#ASMSTART
	v_cvt_f16_f32 v1, v9;

	;;#ASMEND
	global_store_b16 v0, v1, s[0:1] offset:16
	s_wait_xcnt 0x0
	;;#ASMSTART
	v_cvt_f16_f32 v1, v6;

	;;#ASMEND
	global_store_b16 v0, v1, s[0:1] offset:32
	;; [unrolled: 6-line block ×9, first 2 shown]
.LBB101_89:
	s_sendmsg sendmsg(MSG_DEALLOC_VGPRS)
	s_endpgm
.LBB101_90:
	ds_load_b32 v13, v1
	s_wait_dscnt 0x0
	v_add_f32_e32 v8, v8, v13
	s_or_b32 exec_lo, exec_lo, s0
	s_and_saveexec_b32 s0, vcc_lo
	s_cbranch_execz .LBB101_62
.LBB101_91:
	ds_load_b32 v13, v1 offset:32
	s_wait_dscnt 0x0
	v_add_f32_e32 v9, v9, v13
	s_or_b32 exec_lo, exec_lo, s0
	s_and_saveexec_b32 s0, vcc_lo
	s_cbranch_execz .LBB101_63
.LBB101_92:
	ds_load_b32 v13, v1 offset:64
	s_wait_dscnt 0x0
	v_add_f32_e32 v6, v6, v13
	s_or_b32 exec_lo, exec_lo, s0
	s_and_saveexec_b32 s0, vcc_lo
	s_cbranch_execz .LBB101_64
.LBB101_93:
	ds_load_b32 v13, v1 offset:96
	s_wait_dscnt 0x0
	v_add_f32_e32 v7, v7, v13
	s_or_b32 exec_lo, exec_lo, s0
	s_and_saveexec_b32 s0, vcc_lo
	s_cbranch_execz .LBB101_65
.LBB101_94:
	ds_load_b32 v13, v1 offset:128
	s_wait_dscnt 0x0
	v_add_f32_e32 v4, v4, v13
	s_or_b32 exec_lo, exec_lo, s0
	s_and_saveexec_b32 s0, vcc_lo
	s_cbranch_execz .LBB101_66
.LBB101_95:
	ds_load_b32 v13, v1 offset:160
	s_wait_dscnt 0x0
	v_add_f32_e32 v5, v5, v13
	s_or_b32 exec_lo, exec_lo, s0
	s_and_saveexec_b32 s0, vcc_lo
	s_cbranch_execz .LBB101_67
.LBB101_96:
	ds_load_b32 v13, v1 offset:192
	s_wait_dscnt 0x0
	v_add_f32_e32 v2, v2, v13
	s_or_b32 exec_lo, exec_lo, s0
	s_and_saveexec_b32 s0, vcc_lo
	s_cbranch_execz .LBB101_68
.LBB101_97:
	ds_load_b32 v13, v1 offset:224
	s_wait_dscnt 0x0
	v_add_f32_e32 v3, v3, v13
	s_or_b32 exec_lo, exec_lo, s0
	s_and_saveexec_b32 s0, vcc_lo
	s_cbranch_execz .LBB101_69
.LBB101_98:
	ds_load_b32 v13, v1 offset:256
	s_wait_dscnt 0x0
	v_add_f32_e32 v10, v10, v13
	s_or_b32 exec_lo, exec_lo, s0
	s_and_saveexec_b32 s0, vcc_lo
	s_cbranch_execnz .LBB101_70
	s_branch .LBB101_71
.LBB101_99:
	ds_load_b32 v12, v1
	s_wait_dscnt 0x0
	v_add_f32_e32 v8, v8, v12
	s_or_b32 exec_lo, exec_lo, s0
	s_and_saveexec_b32 s0, vcc_lo
	s_cbranch_execz .LBB101_77
.LBB101_100:
	ds_load_b32 v12, v1 offset:32
	s_wait_dscnt 0x0
	v_add_f32_e32 v9, v9, v12
	s_or_b32 exec_lo, exec_lo, s0
	s_and_saveexec_b32 s0, vcc_lo
	s_cbranch_execz .LBB101_78
.LBB101_101:
	ds_load_b32 v12, v1 offset:64
	s_wait_dscnt 0x0
	v_add_f32_e32 v6, v6, v12
	s_or_b32 exec_lo, exec_lo, s0
	s_and_saveexec_b32 s0, vcc_lo
	s_cbranch_execz .LBB101_79
.LBB101_102:
	ds_load_b32 v12, v1 offset:96
	s_wait_dscnt 0x0
	v_add_f32_e32 v7, v7, v12
	s_or_b32 exec_lo, exec_lo, s0
	s_and_saveexec_b32 s0, vcc_lo
	s_cbranch_execz .LBB101_80
.LBB101_103:
	ds_load_b32 v12, v1 offset:128
	s_wait_dscnt 0x0
	v_add_f32_e32 v4, v4, v12
	s_or_b32 exec_lo, exec_lo, s0
	s_and_saveexec_b32 s0, vcc_lo
	s_cbranch_execz .LBB101_81
.LBB101_104:
	ds_load_b32 v12, v1 offset:160
	s_wait_dscnt 0x0
	v_add_f32_e32 v5, v5, v12
	s_or_b32 exec_lo, exec_lo, s0
	s_and_saveexec_b32 s0, vcc_lo
	s_cbranch_execz .LBB101_82
.LBB101_105:
	ds_load_b32 v12, v1 offset:192
	s_wait_dscnt 0x0
	v_add_f32_e32 v2, v2, v12
	s_or_b32 exec_lo, exec_lo, s0
	s_and_saveexec_b32 s0, vcc_lo
	s_cbranch_execz .LBB101_83
.LBB101_106:
	ds_load_b32 v12, v1 offset:224
	s_wait_dscnt 0x0
	v_add_f32_e32 v3, v3, v12
	s_or_b32 exec_lo, exec_lo, s0
	s_and_saveexec_b32 s0, vcc_lo
	s_cbranch_execz .LBB101_84
.LBB101_107:
	ds_load_b32 v12, v1 offset:256
	s_wait_dscnt 0x0
	v_add_f32_e32 v10, v10, v12
	s_or_b32 exec_lo, exec_lo, s0
	s_and_saveexec_b32 s0, vcc_lo
	s_cbranch_execnz .LBB101_85
	s_branch .LBB101_86
	.section	.rodata,"a",@progbits
	.p2align	6, 0x0
	.amdhsa_kernel _ZN4vllm25paged_attention_v1_kernelIttLi80ELi32ELi128ELNS_18Fp8KVCacheDataTypeE0ELb0EEEvPT_PKS2_PKT0_S8_ifPKiSA_iPKfiiiSC_SC_iiiii
		.amdhsa_group_segment_fixed_size 192
		.amdhsa_private_segment_fixed_size 0
		.amdhsa_kernarg_size 384
		.amdhsa_user_sgpr_count 2
		.amdhsa_user_sgpr_dispatch_ptr 0
		.amdhsa_user_sgpr_queue_ptr 0
		.amdhsa_user_sgpr_kernarg_segment_ptr 1
		.amdhsa_user_sgpr_dispatch_id 0
		.amdhsa_user_sgpr_kernarg_preload_length 0
		.amdhsa_user_sgpr_kernarg_preload_offset 0
		.amdhsa_user_sgpr_private_segment_size 0
		.amdhsa_wavefront_size32 1
		.amdhsa_uses_dynamic_stack 0
		.amdhsa_enable_private_segment 0
		.amdhsa_system_sgpr_workgroup_id_x 1
		.amdhsa_system_sgpr_workgroup_id_y 1
		.amdhsa_system_sgpr_workgroup_id_z 1
		.amdhsa_system_sgpr_workgroup_info 0
		.amdhsa_system_vgpr_workitem_id 0
		.amdhsa_next_free_vgpr 92
		.amdhsa_next_free_sgpr 28
		.amdhsa_named_barrier_count 0
		.amdhsa_reserve_vcc 1
		.amdhsa_float_round_mode_32 0
		.amdhsa_float_round_mode_16_64 0
		.amdhsa_float_denorm_mode_32 3
		.amdhsa_float_denorm_mode_16_64 3
		.amdhsa_fp16_overflow 0
		.amdhsa_memory_ordered 1
		.amdhsa_forward_progress 1
		.amdhsa_inst_pref_size 72
		.amdhsa_round_robin_scheduling 0
		.amdhsa_exception_fp_ieee_invalid_op 0
		.amdhsa_exception_fp_denorm_src 0
		.amdhsa_exception_fp_ieee_div_zero 0
		.amdhsa_exception_fp_ieee_overflow 0
		.amdhsa_exception_fp_ieee_underflow 0
		.amdhsa_exception_fp_ieee_inexact 0
		.amdhsa_exception_int_div_zero 0
	.end_amdhsa_kernel
	.section	.text._ZN4vllm25paged_attention_v1_kernelIttLi80ELi32ELi128ELNS_18Fp8KVCacheDataTypeE0ELb0EEEvPT_PKS2_PKT0_S8_ifPKiSA_iPKfiiiSC_SC_iiiii,"axG",@progbits,_ZN4vllm25paged_attention_v1_kernelIttLi80ELi32ELi128ELNS_18Fp8KVCacheDataTypeE0ELb0EEEvPT_PKS2_PKT0_S8_ifPKiSA_iPKfiiiSC_SC_iiiii,comdat
.Lfunc_end101:
	.size	_ZN4vllm25paged_attention_v1_kernelIttLi80ELi32ELi128ELNS_18Fp8KVCacheDataTypeE0ELb0EEEvPT_PKS2_PKT0_S8_ifPKiSA_iPKfiiiSC_SC_iiiii, .Lfunc_end101-_ZN4vllm25paged_attention_v1_kernelIttLi80ELi32ELi128ELNS_18Fp8KVCacheDataTypeE0ELb0EEEvPT_PKS2_PKT0_S8_ifPKiSA_iPKfiiiSC_SC_iiiii
                                        ; -- End function
	.set _ZN4vllm25paged_attention_v1_kernelIttLi80ELi32ELi128ELNS_18Fp8KVCacheDataTypeE0ELb0EEEvPT_PKS2_PKT0_S8_ifPKiSA_iPKfiiiSC_SC_iiiii.num_vgpr, 92
	.set _ZN4vllm25paged_attention_v1_kernelIttLi80ELi32ELi128ELNS_18Fp8KVCacheDataTypeE0ELb0EEEvPT_PKS2_PKT0_S8_ifPKiSA_iPKfiiiSC_SC_iiiii.num_agpr, 0
	.set _ZN4vllm25paged_attention_v1_kernelIttLi80ELi32ELi128ELNS_18Fp8KVCacheDataTypeE0ELb0EEEvPT_PKS2_PKT0_S8_ifPKiSA_iPKfiiiSC_SC_iiiii.numbered_sgpr, 28
	.set _ZN4vllm25paged_attention_v1_kernelIttLi80ELi32ELi128ELNS_18Fp8KVCacheDataTypeE0ELb0EEEvPT_PKS2_PKT0_S8_ifPKiSA_iPKfiiiSC_SC_iiiii.num_named_barrier, 0
	.set _ZN4vllm25paged_attention_v1_kernelIttLi80ELi32ELi128ELNS_18Fp8KVCacheDataTypeE0ELb0EEEvPT_PKS2_PKT0_S8_ifPKiSA_iPKfiiiSC_SC_iiiii.private_seg_size, 0
	.set _ZN4vllm25paged_attention_v1_kernelIttLi80ELi32ELi128ELNS_18Fp8KVCacheDataTypeE0ELb0EEEvPT_PKS2_PKT0_S8_ifPKiSA_iPKfiiiSC_SC_iiiii.uses_vcc, 1
	.set _ZN4vllm25paged_attention_v1_kernelIttLi80ELi32ELi128ELNS_18Fp8KVCacheDataTypeE0ELb0EEEvPT_PKS2_PKT0_S8_ifPKiSA_iPKfiiiSC_SC_iiiii.uses_flat_scratch, 0
	.set _ZN4vllm25paged_attention_v1_kernelIttLi80ELi32ELi128ELNS_18Fp8KVCacheDataTypeE0ELb0EEEvPT_PKS2_PKT0_S8_ifPKiSA_iPKfiiiSC_SC_iiiii.has_dyn_sized_stack, 0
	.set _ZN4vllm25paged_attention_v1_kernelIttLi80ELi32ELi128ELNS_18Fp8KVCacheDataTypeE0ELb0EEEvPT_PKS2_PKT0_S8_ifPKiSA_iPKfiiiSC_SC_iiiii.has_recursion, 0
	.set _ZN4vllm25paged_attention_v1_kernelIttLi80ELi32ELi128ELNS_18Fp8KVCacheDataTypeE0ELb0EEEvPT_PKS2_PKT0_S8_ifPKiSA_iPKfiiiSC_SC_iiiii.has_indirect_call, 0
	.section	.AMDGPU.csdata,"",@progbits
; Kernel info:
; codeLenInByte = 9148
; TotalNumSgprs: 30
; NumVgprs: 92
; ScratchSize: 0
; MemoryBound: 0
; FloatMode: 240
; IeeeMode: 1
; LDSByteSize: 192 bytes/workgroup (compile time only)
; SGPRBlocks: 0
; VGPRBlocks: 5
; NumSGPRsForWavesPerEU: 30
; NumVGPRsForWavesPerEU: 92
; NamedBarCnt: 0
; Occupancy: 10
; WaveLimiterHint : 1
; COMPUTE_PGM_RSRC2:SCRATCH_EN: 0
; COMPUTE_PGM_RSRC2:USER_SGPR: 2
; COMPUTE_PGM_RSRC2:TRAP_HANDLER: 0
; COMPUTE_PGM_RSRC2:TGID_X_EN: 1
; COMPUTE_PGM_RSRC2:TGID_Y_EN: 1
; COMPUTE_PGM_RSRC2:TGID_Z_EN: 1
; COMPUTE_PGM_RSRC2:TIDIG_COMP_CNT: 0
	.section	.text._ZN4vllm25paged_attention_v1_kernelIttLi96ELi32ELi128ELNS_18Fp8KVCacheDataTypeE0ELb0EEEvPT_PKS2_PKT0_S8_ifPKiSA_iPKfiiiSC_SC_iiiii,"axG",@progbits,_ZN4vllm25paged_attention_v1_kernelIttLi96ELi32ELi128ELNS_18Fp8KVCacheDataTypeE0ELb0EEEvPT_PKS2_PKT0_S8_ifPKiSA_iPKfiiiSC_SC_iiiii,comdat
	.protected	_ZN4vllm25paged_attention_v1_kernelIttLi96ELi32ELi128ELNS_18Fp8KVCacheDataTypeE0ELb0EEEvPT_PKS2_PKT0_S8_ifPKiSA_iPKfiiiSC_SC_iiiii ; -- Begin function _ZN4vllm25paged_attention_v1_kernelIttLi96ELi32ELi128ELNS_18Fp8KVCacheDataTypeE0ELb0EEEvPT_PKS2_PKT0_S8_ifPKiSA_iPKfiiiSC_SC_iiiii
	.globl	_ZN4vllm25paged_attention_v1_kernelIttLi96ELi32ELi128ELNS_18Fp8KVCacheDataTypeE0ELb0EEEvPT_PKS2_PKT0_S8_ifPKiSA_iPKfiiiSC_SC_iiiii
	.p2align	8
	.type	_ZN4vllm25paged_attention_v1_kernelIttLi96ELi32ELi128ELNS_18Fp8KVCacheDataTypeE0ELb0EEEvPT_PKS2_PKT0_S8_ifPKiSA_iPKfiiiSC_SC_iiiii,@function
_ZN4vllm25paged_attention_v1_kernelIttLi96ELi32ELi128ELNS_18Fp8KVCacheDataTypeE0ELb0EEEvPT_PKS2_PKT0_S8_ifPKiSA_iPKfiiiSC_SC_iiiii: ; @_ZN4vllm25paged_attention_v1_kernelIttLi96ELi32ELi128ELNS_18Fp8KVCacheDataTypeE0ELb0EEEvPT_PKS2_PKT0_S8_ifPKiSA_iPKfiiiSC_SC_iiiii
; %bb.0:
	s_load_b64 s[6:7], s[0:1], 0x20
	s_bfe_u32 s3, ttmp6, 0x4000c
	s_bfe_u32 s5, ttmp6, 0x40010
	s_and_b32 s4, ttmp7, 0xffff
	s_add_co_i32 s3, s3, 1
	s_add_co_i32 s5, s5, 1
	s_and_b32 s2, ttmp6, 15
	s_bfe_u32 s8, ttmp6, 0x40004
	s_mul_i32 s3, ttmp9, s3
	s_mul_i32 s5, s4, s5
	s_getreg_b32 s18, hwreg(HW_REG_IB_STS2, 6, 4)
	s_add_co_i32 s2, s2, s3
	s_add_co_i32 s8, s8, s5
	s_cmp_eq_u32 s18, 0
	s_clause 0x1
	s_load_b32 s19, s[0:1], 0x80
	s_load_b64 s[10:11], s[0:1], 0x30
	s_cselect_b32 s20, s4, s8
	s_cselect_b32 s8, ttmp9, s2
	s_wait_kmcnt 0x0
	s_abs_i32 s2, s6
	s_delay_alu instid0(SALU_CYCLE_1) | instskip(SKIP_1) | instid1(SALU_CYCLE_2)
	s_cvt_f32_u32 s3, s2
	s_sub_co_i32 s4, 0, s2
	v_rcp_iflag_f32_e32 v1, s3
	s_abs_i32 s5, s19
	v_nop
	s_delay_alu instid0(TRANS32_DEP_1) | instskip(SKIP_1) | instid1(SALU_CYCLE_3)
	v_readfirstlane_b32 s3, v1
	s_mul_f32 s3, s3, 0x4f7ffffe
	s_cvt_u32_f32 s3, s3
	s_delay_alu instid0(SALU_CYCLE_3) | instskip(NEXT) | instid1(SALU_CYCLE_1)
	s_mul_i32 s4, s4, s3
	s_mul_hi_u32 s4, s3, s4
	s_delay_alu instid0(SALU_CYCLE_1) | instskip(SKIP_4) | instid1(SALU_CYCLE_1)
	s_add_co_i32 s3, s3, s4
	s_xor_b32 s4, s19, s6
	s_mul_hi_u32 s3, s5, s3
	s_ashr_i32 s4, s4, 31
	s_mul_i32 s6, s3, s2
	s_sub_co_i32 s5, s5, s6
	s_add_co_i32 s6, s3, 1
	s_sub_co_i32 s9, s5, s2
	s_cmp_ge_u32 s5, s2
	s_cselect_b32 s3, s6, s3
	s_cselect_b32 s5, s9, s5
	s_add_co_i32 s6, s3, 1
	s_cmp_ge_u32 s5, s2
	s_cselect_b32 s2, s6, s3
	s_mov_b32 s3, 0
	s_xor_b32 s2, s2, s4
	s_mov_b32 s13, s3
	s_sub_co_i32 s15, s2, s4
	s_load_b64 s[4:5], s[0:1], 0x40
	s_abs_i32 s14, s15
	s_mov_b32 s23, s3
	s_cvt_f32_u32 s2, s14
	s_delay_alu instid0(SALU_CYCLE_3) | instskip(SKIP_1) | instid1(TRANS32_DEP_1)
	v_rcp_iflag_f32_e32 v1, s2
	v_nop
	v_readfirstlane_b32 s2, v1
	s_mul_f32 s2, s2, 0x4f7ffffe
	s_delay_alu instid0(SALU_CYCLE_3) | instskip(SKIP_1) | instid1(SALU_CYCLE_2)
	s_cvt_u32_f32 s6, s2
	s_sub_co_i32 s2, 0, s14
	s_mul_i32 s2, s2, s6
	s_delay_alu instid0(SALU_CYCLE_1)
	s_mul_hi_u32 s9, s6, s2
	s_abs_i32 s2, s8
	s_add_co_i32 s12, s6, s9
	s_wait_kmcnt 0x0
	s_cmp_eq_u64 s[4:5], 0
	s_cbranch_scc1 .LBB102_2
; %bb.1:
	s_ashr_i32 s9, s8, 31
	s_delay_alu instid0(SALU_CYCLE_1) | instskip(NEXT) | instid1(SALU_CYCLE_1)
	s_lshl_b64 s[16:17], s[8:9], 2
	s_add_nc_u64 s[4:5], s[4:5], s[16:17]
	s_load_b32 s23, s[4:5], 0x0
.LBB102_2:
	s_load_b32 s21, s[10:11], s20 offset:0x0 scale_offset
	s_wait_xcnt 0x0
	s_load_b96 s[4:6], s[0:1], 0x48
	v_lshlrev_b32_e32 v1, 4, v0
	s_ashr_i32 s10, s8, 31
	s_ashr_i32 s11, s15, 31
	s_mul_u64 s[12:13], s[2:3], s[12:13]
	s_mulk_i32 s8, 0x60
	s_mov_b32 s3, exec_lo
	v_cmpx_gt_u32_e32 12, v0
	s_cbranch_execz .LBB102_4
; %bb.3:
	s_load_b64 s[16:17], s[0:1], 0x8
	s_wait_kmcnt 0x0
	s_mul_i32 s24, s4, s20
	s_ashr_i32 s9, s8, 31
	s_ashr_i32 s25, s24, 31
	s_delay_alu instid0(SALU_CYCLE_1) | instskip(NEXT) | instid1(SALU_CYCLE_1)
	s_lshl_b64 s[24:25], s[24:25], 1
	s_add_nc_u64 s[16:17], s[16:17], s[24:25]
	s_lshl_b64 s[24:25], s[8:9], 1
	s_delay_alu instid0(SALU_CYCLE_1)
	s_add_nc_u64 s[16:17], s[16:17], s[24:25]
	global_load_b128 v[2:5], v0, s[16:17] scale_offset
	s_wait_loadcnt 0x0
	ds_store_b128 v1, v[2:5]
.LBB102_4:
	s_or_b32 exec_lo, exec_lo, s3
	s_wait_kmcnt 0x0
	s_add_co_i32 s3, s21, 31
	s_load_b32 s4, s[0:1], 0x38
	s_ashr_i32 s9, s3, 31
	s_xor_b32 s12, s10, s11
	s_lshr_b32 s9, s9, 27
	s_mul_i32 s10, s13, s14
	s_add_co_i32 s3, s3, s9
	s_sub_co_i32 s2, s2, s10
	s_clause 0x1
	s_load_b64 s[10:11], s[0:1], 0x28
	s_load_b32 s9, s[0:1], 0x88
	s_ashr_i32 s22, s3, 5
	s_add_co_i32 s3, s13, 1
	s_sub_co_i32 s15, s2, s14
	s_cmp_ge_u32 s2, s14
	v_dual_lshrrev_b32 v54, 5, v0 :: v_dual_bitop2_b32 v55, 31, v0 bitop3:0x40
	s_cselect_b32 s3, s3, s13
	s_cselect_b32 s2, s15, s2
	s_add_co_i32 s13, s3, 1
	s_cmp_ge_u32 s2, s14
	v_dual_mov_b32 v46, 0xff7fffff :: v_dual_lshlrev_b32 v57, 2, v55
	s_cselect_b32 s2, s13, s3
	v_lshrrev_b32_e32 v56, 3, v0
	s_xor_b32 s2, s2, s12
	s_wait_dscnt 0x0
	s_sub_co_i32 s3, s2, s12
	v_cmp_gt_i32_e64 s2, s22, v54
	s_wait_kmcnt 0x0
	s_mul_i32 s12, s4, s20
	s_mul_i32 s14, s3, s6
	s_ashr_i32 s13, s12, 31
	s_barrier_signal -1
	s_barrier_wait -1
	s_and_saveexec_b32 s6, s2
	s_cbranch_execz .LBB102_8
; %bb.5:
	s_load_b64 s[24:25], s[0:1], 0x10
	s_ashr_i32 s15, s14, 31
	v_dual_mov_b32 v47, 0 :: v_dual_lshlrev_b32 v46, 4, v55
	s_ashr_i32 s17, s5, 31
	s_lshl_b64 s[26:27], s[14:15], 1
	s_cmp_neq_f32 s23, 0
	v_lshl_or_b32 v2, v54, 7, v57
	v_lshl_or_b32 v58, v54, 5, v55
	v_mov_b32_e32 v60, v54
	s_cselect_b32 vcc_lo, -1, 0
	s_mov_b32 s16, s5
	v_add_nc_u32_e32 v59, 0xe0, v2
	s_mov_b32 s15, 0
	s_wait_kmcnt 0x0
	s_add_nc_u64 s[24:25], s[24:25], s[26:27]
	s_delay_alu instid0(SALU_CYCLE_1) | instskip(SKIP_2) | instid1(SALU_CYCLE_1)
	v_add_nc_u64_e32 v[48:49], s[24:25], v[46:47]
	v_and_b32_e32 v46, 0x7c, v56
	s_lshl_b64 s[24:25], s[12:13], 2
	s_add_nc_u64 s[24:25], s[10:11], s[24:25]
	s_delay_alu instid0(VALU_DEP_1) | instid1(SALU_CYCLE_1)
	v_add_nc_u64_e32 v[50:51], s[24:25], v[46:47]
	v_mov_b32_e32 v46, 0xff7fffff
	s_sub_co_i32 s24, 1, s21
.LBB102_6:                              ; =>This Inner Loop Header: Depth=1
	global_load_b32 v6, v[50:51], off
	ds_load_b128 v[2:5], v47
	v_cmp_gt_i32_e64 s3, s21, v58
	s_wait_xcnt 0x0
	v_add_nc_u64_e32 v[50:51], 16, v[50:51]
	v_add_nc_u32_e32 v60, 4, v60
	s_delay_alu instid0(VALU_DEP_1)
	v_cmp_le_i32_e64 s4, s22, v60
	s_or_b32 s15, s4, s15
	s_wait_dscnt 0x0
	v_dual_lshrrev_b32 v53, 16, v2 :: v_dual_lshrrev_b32 v61, 16, v3
	v_and_b32_e32 v52, 0xffff, v2
	v_and_b32_e32 v62, 0xffff, v3
	v_dual_lshrrev_b32 v63, 16, v4 :: v_dual_lshrrev_b32 v65, 16, v5
	v_and_b32_e32 v64, 0xffff, v4
	v_and_b32_e32 v66, 0xffff, v5
	s_wait_loadcnt 0x0
	v_ashrrev_i32_e32 v7, 31, v6
	s_delay_alu instid0(VALU_DEP_1) | instskip(NEXT) | instid1(VALU_DEP_1)
	v_mul_u64_e32 v[2:3], s[16:17], v[6:7]
	v_lshl_add_u64 v[2:3], v[2:3], 1, v[48:49]
	s_clause 0xb
	global_load_b128 v[74:77], v[2:3], off
	global_load_b128 v[42:45], v[2:3], off offset:512
	global_load_b128 v[38:41], v[2:3], off offset:1024
	;; [unrolled: 1-line block ×11, first 2 shown]
	;;#ASMSTART
	v_cvt_f32_f16 v52, v52;
	;;#ASMEND
	;;#ASMSTART
	v_cvt_f32_f16 v53, v53;
	;;#ASMEND
	s_wait_loadcnt 0xb
	v_dual_lshrrev_b32 v72, 16, v74 :: v_dual_lshrrev_b32 v68, 16, v76
	v_and_b32_e32 v73, 0xffff, v75
	v_and_b32_e32 v74, 0xffff, v74
	v_lshrrev_b32_e32 v70, 16, v75
	v_and_b32_e32 v71, 0xffff, v76
	v_lshrrev_b32_e32 v67, 16, v77
	v_and_b32_e32 v69, 0xffff, v77
	s_wait_loadcnt 0xa
	v_and_b32_e32 v75, 0xffff, v42
	v_dual_lshrrev_b32 v42, 16, v42 :: v_dual_lshrrev_b32 v83, 16, v43
	v_lshrrev_b32_e32 v95, 16, v44
	v_and_b32_e32 v94, 0xffff, v44
	s_wait_loadcnt 0x9
	v_dual_lshrrev_b32 v90, 16, v45 :: v_dual_lshrrev_b32 v103, 16, v38
	v_and_b32_e32 v93, 0xffff, v45
	v_and_b32_e32 v102, 0xffff, v38
	;; [unrolled: 1-line block ×3, first 2 shown]
	v_dual_lshrrev_b32 v101, 16, v39 :: v_dual_lshrrev_b32 v97, 16, v40
	v_and_b32_e32 v96, 0xffff, v40
	s_wait_loadcnt 0x8
	v_dual_lshrrev_b32 v88, 16, v41 :: v_dual_lshrrev_b32 v99, 16, v34
	v_and_b32_e32 v91, 0xffff, v41
	v_and_b32_e32 v98, 0xffff, v34
	v_and_b32_e32 v89, 0xffff, v35
	v_dual_lshrrev_b32 v92, 16, v35 :: v_dual_lshrrev_b32 v85, 16, v36
	v_and_b32_e32 v87, 0xffff, v36
	s_wait_loadcnt 0x7
	v_dual_lshrrev_b32 v84, 16, v37 :: v_dual_lshrrev_b32 v79, 16, v30
	v_and_b32_e32 v86, 0xffff, v37
	v_and_b32_e32 v81, 0xffff, v30
	v_dual_lshrrev_b32 v77, 16, v31 :: v_dual_lshrrev_b32 v45, 16, v32
	v_and_b32_e32 v80, 0xffff, v31
	v_and_b32_e32 v78, 0xffff, v32
	v_lshrrev_b32_e32 v44, 16, v33
	v_and_b32_e32 v76, 0xffff, v33
	;;#ASMSTART
	v_cvt_f32_f16 v104, v74;
	;;#ASMEND
	;;#ASMSTART
	v_cvt_f32_f16 v105, v72;
	;;#ASMEND
	;; [unrolled: 3-line block ×14, first 2 shown]
	ds_load_b128 v[30:33], v47 offset:16
	v_and_b32_e32 v82, 0xffff, v43
	s_wait_loadcnt 0x6
	v_and_b32_e32 v61, 0xffff, v26
	s_wait_dscnt 0x0
	v_and_b32_e32 v43, 0xffff, v30
	v_lshrrev_b32_e32 v30, 16, v30
	;;#ASMSTART
	v_cvt_f32_f16 v62, v43;
	;;#ASMEND
	;;#ASMSTART
	v_cvt_f32_f16 v63, v30;
	;;#ASMEND
	;; [unrolled: 3-line block ×4, first 2 shown]
	v_pk_mul_f32 v[42:43], v[62:63], v[64:65]
	v_lshrrev_b32_e32 v30, 16, v26
	v_and_b32_e32 v26, 0xffff, v31
	v_and_b32_e32 v65, 0xffff, v27
	v_lshrrev_b32_e32 v31, 16, v31
	v_pk_fma_f32 v[42:43], v[52:53], v[104:105], v[42:43]
	v_lshrrev_b32_e32 v53, 16, v27
	;;#ASMSTART
	v_cvt_f32_f16 v27, v26;
	;;#ASMEND
	;;#ASMSTART
	v_cvt_f32_f16 v26, v31;
	;;#ASMEND
	;; [unrolled: 3-line block ×4, first 2 shown]
	v_pk_mul_f32 v[26:27], v[26:27], v[66:67]
	s_wait_loadcnt 0x5
	v_dual_lshrrev_b32 v31, 16, v22 :: v_dual_lshrrev_b32 v63, 16, v23
	v_and_b32_e32 v67, 0xffff, v22
	v_and_b32_e32 v66, 0xffff, v23
	v_lshrrev_b32_e32 v23, 16, v24
	v_and_b32_e32 v64, 0xffff, v24
	v_lshrrev_b32_e32 v22, 16, v25
	v_and_b32_e32 v24, 0xffff, v25
	v_and_b32_e32 v25, 0xffff, v32
	v_lshrrev_b32_e32 v32, 16, v32
	;;#ASMSTART
	v_cvt_f32_f16 v69, v25;
	;;#ASMEND
	;;#ASMSTART
	v_cvt_f32_f16 v68, v32;
	;;#ASMEND
	;; [unrolled: 3-line block ×4, first 2 shown]
	v_pk_mul_f32 v[68:69], v[68:69], v[70:71]
	v_pk_fma_f32 v[26:27], v[106:107], v[72:73], v[26:27]
	s_wait_loadcnt 0x4
	v_lshrrev_b32_e32 v25, 16, v18
	v_and_b32_e32 v32, 0xffff, v18
	v_and_b32_e32 v70, 0xffff, v19
	v_pk_fma_f32 v[82:83], v[38:39], v[40:41], v[68:69]
	v_dual_lshrrev_b32 v68, 16, v19 :: v_dual_lshrrev_b32 v40, 16, v20
	v_lshrrev_b32_e32 v38, 16, v21
	v_and_b32_e32 v69, 0xffff, v20
	v_and_b32_e32 v41, 0xffff, v21
	s_wait_loadcnt 0x3
	v_dual_lshrrev_b32 v20, 16, v14 :: v_dual_lshrrev_b32 v18, 16, v15
	v_and_b32_e32 v39, 0xffff, v14
	v_and_b32_e32 v21, 0xffff, v15
	v_dual_lshrrev_b32 v15, 16, v16 :: v_dual_lshrrev_b32 v14, 16, v17
	v_and_b32_e32 v19, 0xffff, v16
	v_and_b32_e32 v16, 0xffff, v17
	;; [unrolled: 1-line block ×3, first 2 shown]
	v_lshrrev_b32_e32 v33, 16, v33
	;;#ASMSTART
	v_cvt_f32_f16 v73, v17;
	;;#ASMEND
	;;#ASMSTART
	v_cvt_f32_f16 v72, v33;
	;;#ASMEND
	;; [unrolled: 3-line block ×4, first 2 shown]
	v_pk_mul_f32 v[72:73], v[72:73], v[74:75]
	v_lshrrev_b32_e32 v52, 16, v28
	v_and_b32_e32 v62, 0xffff, v28
	v_lshrrev_b32_e32 v28, 16, v29
	v_and_b32_e32 v29, 0xffff, v29
	v_pk_fma_f32 v[94:95], v[34:35], v[36:37], v[72:73]
	ds_load_b128 v[72:75], v47 offset:32
	s_wait_dscnt 0x0
	v_and_b32_e32 v17, 0xffff, v72
	;;#ASMSTART
	v_cvt_f32_f16 v34, v17;
	;;#ASMEND
	v_lshrrev_b32_e32 v33, 16, v72
	;;#ASMSTART
	v_cvt_f32_f16 v35, v33;
	;;#ASMEND
	;;#ASMSTART
	v_cvt_f32_f16 v36, v102;
	;;#ASMEND
	;; [unrolled: 3-line block ×3, first 2 shown]
	v_pk_fma_f32 v[102:103], v[34:35], v[36:37], v[42:43]
	v_lshrrev_b32_e32 v34, 16, v73
	v_and_b32_e32 v33, 0xffff, v73
	;;#ASMSTART
	v_cvt_f32_f16 v35, v33;
	;;#ASMEND
	;;#ASMSTART
	v_cvt_f32_f16 v34, v34;
	;;#ASMEND
	;; [unrolled: 3-line block ×4, first 2 shown]
	v_pk_fma_f32 v[100:101], v[34:35], v[36:37], v[26:27]
	s_wait_loadcnt 0x2
	v_dual_lshrrev_b32 v27, 16, v11 :: v_dual_lshrrev_b32 v26, 16, v12
	v_and_b32_e32 v36, 0xffff, v11
	v_dual_lshrrev_b32 v11, 16, v13 :: v_dual_lshrrev_b32 v34, 16, v74
	v_and_b32_e32 v33, 0xffff, v12
	v_and_b32_e32 v12, 0xffff, v13
	;; [unrolled: 1-line block ×3, first 2 shown]
	;;#ASMSTART
	v_cvt_f32_f16 v35, v13;
	;;#ASMEND
	;;#ASMSTART
	v_cvt_f32_f16 v34, v34;
	;;#ASMEND
	;; [unrolled: 3-line block ×4, first 2 shown]
	v_pk_fma_f32 v[82:83], v[34:35], v[42:43], v[82:83]
	s_wait_loadcnt 0x1
	v_dual_lshrrev_b32 v37, 16, v6 :: v_dual_lshrrev_b32 v34, 16, v7
	v_and_b32_e32 v43, 0xffff, v6
	v_and_b32_e32 v6, 0xffff, v75
	;; [unrolled: 1-line block ×3, first 2 shown]
	v_lshrrev_b32_e32 v71, 16, v75
	;;#ASMSTART
	v_cvt_f32_f16 v7, v6;
	;;#ASMEND
	;;#ASMSTART
	v_cvt_f32_f16 v6, v71;
	;;#ASMEND
	;; [unrolled: 3-line block ×4, first 2 shown]
	v_pk_fma_f32 v[90:91], v[6:7], v[72:73], v[94:95]
	ds_load_b128 v[94:97], v47 offset:48
	s_wait_loadcnt 0x0
	v_lshrrev_b32_e32 v71, 16, v2
	v_lshrrev_b32_e32 v17, 16, v10
	v_and_b32_e32 v10, 0xffff, v10
	v_lshrrev_b32_e32 v13, 16, v8
	v_and_b32_e32 v35, 0xffff, v8
	;; [unrolled: 2-line block ×3, first 2 shown]
	s_wait_dscnt 0x0
	v_and_b32_e32 v6, 0xffff, v94
	v_lshrrev_b32_e32 v7, 16, v94
	;;#ASMSTART
	v_cvt_f32_f16 v6, v6;
	;;#ASMEND
	;;#ASMSTART
	v_cvt_f32_f16 v7, v7;
	;;#ASMEND
	;; [unrolled: 3-line block ×4, first 2 shown]
	v_pk_fma_f32 v[6:7], v[6:7], v[72:73], v[102:103]
	v_lshrrev_b32_e32 v73, 16, v95
	v_and_b32_e32 v72, 0xffff, v95
	;;#ASMSTART
	v_cvt_f32_f16 v75, v72;
	;;#ASMEND
	;;#ASMSTART
	v_cvt_f32_f16 v74, v73;
	;;#ASMEND
	;; [unrolled: 3-line block ×4, first 2 shown]
	v_and_b32_e32 v73, 0xffff, v2
	s_wait_xcnt 0x0
	v_dual_lshrrev_b32 v2, 16, v5 :: v_dual_lshrrev_b32 v92, 16, v96
	v_pk_fma_f32 v[88:89], v[74:75], v[88:89], v[100:101]
	v_dual_lshrrev_b32 v74, 16, v3 :: v_dual_lshrrev_b32 v72, 16, v4
	v_and_b32_e32 v75, 0xffff, v3
	v_and_b32_e32 v3, 0xffff, v5
	;; [unrolled: 1-line block ×4, first 2 shown]
	;;#ASMSTART
	v_cvt_f32_f16 v93, v5;
	;;#ASMEND
	;;#ASMSTART
	v_cvt_f32_f16 v92, v92;
	;;#ASMEND
	v_lshrrev_b32_e32 v98, 16, v97
	;;#ASMSTART
	v_cvt_f32_f16 v95, v87;
	;;#ASMEND
	;;#ASMSTART
	v_cvt_f32_f16 v94, v85;
	;;#ASMEND
	;; [unrolled: 3-line block ×6, first 2 shown]
	v_pk_fma_f32 v[92:93], v[92:93], v[94:95], v[82:83]
	ds_load_b128 v[82:85], v47 offset:64
	v_pk_fma_f32 v[86:87], v[96:97], v[86:87], v[90:91]
	v_add_nc_u32_e32 v5, s24, v58
	v_and_b32_e32 v4, 0xffff, v4
	v_add_nc_u32_e32 v58, 0x80, v58
	s_delay_alu instid0(VALU_DEP_3)
	v_cvt_f32_i32_e32 v100, v5
	s_wait_dscnt 0x0
	v_and_b32_e32 v90, 0xffff, v82
	v_lshrrev_b32_e32 v91, 16, v82
	v_and_b32_e32 v94, 0xffff, v83
	v_dual_lshrrev_b32 v95, 16, v83 :: v_dual_lshrrev_b32 v97, 16, v84
	v_and_b32_e32 v96, 0xffff, v84
	v_and_b32_e32 v98, 0xffff, v85
	v_lshrrev_b32_e32 v101, 16, v85
	;;#ASMSTART
	v_cvt_f32_f16 v82, v90;
	;;#ASMEND
	;;#ASMSTART
	v_cvt_f32_f16 v83, v91;
	;;#ASMEND
	;; [unrolled: 3-line block ×16, first 2 shown]
	ds_load_b128 v[76:79], v47 offset:80
	v_pk_fma_f32 v[6:7], v[82:83], v[84:85], v[6:7]
	v_pk_fma_f32 v[80:81], v[90:91], v[80:81], v[88:89]
	;; [unrolled: 1-line block ×4, first 2 shown]
	s_wait_dscnt 0x0
	v_and_b32_e32 v5, 0xffff, v76
	v_lshrrev_b32_e32 v76, 16, v76
	v_and_b32_e32 v88, 0xffff, v77
	v_lshrrev_b32_e32 v77, 16, v77
	;; [unrolled: 2-line block ×4, first 2 shown]
	;;#ASMSTART
	v_cvt_f32_f16 v84, v5;
	;;#ASMEND
	;;#ASMSTART
	v_cvt_f32_f16 v85, v76;
	;;#ASMEND
	;; [unrolled: 3-line block ×16, first 2 shown]
	ds_load_b128 v[76:79], v47 offset:96
	v_pk_fma_f32 v[6:7], v[84:85], v[86:87], v[6:7]
	v_pk_fma_f32 v[44:45], v[94:95], v[28:29], v[44:45]
	;; [unrolled: 1-line block ×4, first 2 shown]
	s_wait_dscnt 0x0
	v_dual_lshrrev_b32 v28, 16, v76 :: v_dual_lshrrev_b32 v30, 16, v77
	v_and_b32_e32 v29, 0xffff, v77
	v_dual_lshrrev_b32 v62, 16, v78 :: v_dual_lshrrev_b32 v86, 16, v79
	v_and_b32_e32 v84, 0xffff, v79
	v_and_b32_e32 v5, 0xffff, v76
	;; [unrolled: 1-line block ×3, first 2 shown]
	;;#ASMSTART
	v_cvt_f32_f16 v76, v5;
	;;#ASMEND
	;;#ASMSTART
	v_cvt_f32_f16 v77, v28;
	;;#ASMEND
	;; [unrolled: 3-line block ×16, first 2 shown]
	ds_load_b128 v[28:31], v47 offset:112
	v_pk_fma_f32 v[6:7], v[76:77], v[78:79], v[6:7]
	v_pk_fma_f32 v[44:45], v[84:85], v[22:23], v[44:45]
	;; [unrolled: 1-line block ×4, first 2 shown]
	s_wait_dscnt 0x0
	v_dual_lshrrev_b32 v22, 16, v28 :: v_dual_lshrrev_b32 v24, 16, v29
	v_and_b32_e32 v23, 0xffff, v29
	v_dual_lshrrev_b32 v76, 16, v30 :: v_dual_lshrrev_b32 v78, 16, v31
	v_and_b32_e32 v79, 0xffff, v31
	v_and_b32_e32 v5, 0xffff, v28
	;; [unrolled: 1-line block ×3, first 2 shown]
	;;#ASMSTART
	v_cvt_f32_f16 v28, v5;
	;;#ASMEND
	;;#ASMSTART
	v_cvt_f32_f16 v29, v22;
	;;#ASMEND
	;;#ASMSTART
	v_cvt_f32_f16 v30, v32;
	;;#ASMEND
	;;#ASMSTART
	v_cvt_f32_f16 v31, v25;
	;;#ASMEND
	;;#ASMSTART
	v_cvt_f32_f16 v63, v23;
	;;#ASMEND
	;;#ASMSTART
	v_cvt_f32_f16 v62, v24;
	;;#ASMEND
	;;#ASMSTART
	v_cvt_f32_f16 v65, v70;
	;;#ASMEND
	;;#ASMSTART
	v_cvt_f32_f16 v64, v68;
	;;#ASMEND
	;;#ASMSTART
	v_cvt_f32_f16 v77, v61;
	;;#ASMEND
	;;#ASMSTART
	v_cvt_f32_f16 v76, v76;
	;;#ASMEND
	;;#ASMSTART
	v_cvt_f32_f16 v69, v69;
	;;#ASMEND
	;;#ASMSTART
	v_cvt_f32_f16 v68, v40;
	;;#ASMEND
	;;#ASMSTART
	v_cvt_f32_f16 v79, v79;
	;;#ASMEND
	;;#ASMSTART
	v_cvt_f32_f16 v78, v78;
	;;#ASMEND
	;;#ASMSTART
	v_cvt_f32_f16 v41, v41;
	;;#ASMEND
	;;#ASMSTART
	v_cvt_f32_f16 v40, v38;
	;;#ASMEND
	ds_load_b128 v[22:25], v47 offset:128
	v_pk_fma_f32 v[6:7], v[28:29], v[30:31], v[6:7]
	v_pk_fma_f32 v[28:29], v[62:63], v[64:65], v[66:67]
	v_pk_fma_f32 v[30:31], v[76:77], v[68:69], v[52:53]
	v_pk_fma_f32 v[40:41], v[78:79], v[40:41], v[44:45]
	s_wait_dscnt 0x0
	v_dual_lshrrev_b32 v5, 16, v22 :: v_dual_lshrrev_b32 v32, 16, v23
	v_and_b32_e32 v22, 0xffff, v22
	v_and_b32_e32 v38, 0xffff, v23
	v_dual_lshrrev_b32 v52, 16, v24 :: v_dual_lshrrev_b32 v61, 16, v25
	v_and_b32_e32 v53, 0xffff, v24
	v_and_b32_e32 v64, 0xffff, v25
	;;#ASMSTART
	v_cvt_f32_f16 v22, v22;
	;;#ASMEND
	;;#ASMSTART
	v_cvt_f32_f16 v23, v5;
	;;#ASMEND
	;;#ASMSTART
	v_cvt_f32_f16 v24, v39;
	;;#ASMEND
	;;#ASMSTART
	v_cvt_f32_f16 v25, v20;
	;;#ASMEND
	;;#ASMSTART
	v_cvt_f32_f16 v39, v38;
	;;#ASMEND
	;;#ASMSTART
	v_cvt_f32_f16 v38, v32;
	;;#ASMEND
	;;#ASMSTART
	v_cvt_f32_f16 v45, v21;
	;;#ASMEND
	;;#ASMSTART
	v_cvt_f32_f16 v44, v18;
	;;#ASMEND
	;;#ASMSTART
	v_cvt_f32_f16 v53, v53;
	;;#ASMEND
	;;#ASMSTART
	v_cvt_f32_f16 v52, v52;
	;;#ASMEND
	;;#ASMSTART
	v_cvt_f32_f16 v63, v19;
	;;#ASMEND
	;;#ASMSTART
	v_cvt_f32_f16 v62, v15;
	;;#ASMEND
	;;#ASMSTART
	v_cvt_f32_f16 v65, v64;
	;;#ASMEND
	;;#ASMSTART
	v_cvt_f32_f16 v64, v61;
	;;#ASMEND
	;;#ASMSTART
	v_cvt_f32_f16 v15, v16;
	;;#ASMEND
	;;#ASMSTART
	v_cvt_f32_f16 v14, v14;
	;;#ASMEND
	ds_load_b128 v[18:21], v47 offset:144
	v_pk_fma_f32 v[6:7], v[22:23], v[24:25], v[6:7]
	v_pk_fma_f32 v[22:23], v[38:39], v[44:45], v[28:29]
	v_pk_fma_f32 v[28:29], v[64:65], v[14:15], v[40:41]
	v_pk_fma_f32 v[24:25], v[52:53], v[62:63], v[30:31]
	s_wait_dscnt 0x0
	v_dual_lshrrev_b32 v5, 16, v18 :: v_dual_lshrrev_b32 v15, 16, v19
	v_and_b32_e32 v14, 0xffff, v18
	v_and_b32_e32 v16, 0xffff, v19
	v_dual_lshrrev_b32 v32, 16, v20 :: v_dual_lshrrev_b32 v44, 16, v21
	v_and_b32_e32 v40, 0xffff, v20
	v_and_b32_e32 v45, 0xffff, v21
	;;#ASMSTART
	v_cvt_f32_f16 v18, v14;
	;;#ASMEND
	;;#ASMSTART
	v_cvt_f32_f16 v19, v5;
	;;#ASMEND
	;;#ASMSTART
	v_cvt_f32_f16 v20, v10;
	;;#ASMEND
	;;#ASMSTART
	v_cvt_f32_f16 v21, v17;
	;;#ASMEND
	;;#ASMSTART
	v_cvt_f32_f16 v31, v16;
	;;#ASMEND
	;;#ASMSTART
	v_cvt_f32_f16 v30, v15;
	;;#ASMEND
	;;#ASMSTART
	v_cvt_f32_f16 v39, v36;
	;;#ASMEND
	;;#ASMSTART
	v_cvt_f32_f16 v38, v27;
	;;#ASMEND
	;;#ASMSTART
	v_cvt_f32_f16 v41, v40;
	;;#ASMEND
	;;#ASMSTART
	v_cvt_f32_f16 v40, v32;
	;;#ASMEND
	;;#ASMSTART
	v_cvt_f32_f16 v27, v33;
	;;#ASMEND
	;;#ASMSTART
	v_cvt_f32_f16 v26, v26;
	;;#ASMEND
	;;#ASMSTART
	v_cvt_f32_f16 v33, v45;
	;;#ASMEND
	;;#ASMSTART
	v_cvt_f32_f16 v32, v44;
	;;#ASMEND
	;;#ASMSTART
	v_cvt_f32_f16 v45, v12;
	;;#ASMEND
	;;#ASMSTART
	v_cvt_f32_f16 v44, v11;
	;;#ASMEND
	ds_load_b128 v[14:17], v47 offset:160
	v_pk_fma_f32 v[10:11], v[18:19], v[20:21], v[6:7]
	v_pk_fma_f32 v[20:21], v[40:41], v[26:27], v[24:25]
	v_pk_fma_f32 v[18:19], v[30:31], v[38:39], v[22:23]
	v_pk_fma_f32 v[28:29], v[32:33], v[44:45], v[28:29]
	s_wait_dscnt 0x0
	v_dual_lshrrev_b32 v5, 16, v14 :: v_dual_lshrrev_b32 v7, 16, v15
	v_and_b32_e32 v6, 0xffff, v14
	v_and_b32_e32 v12, 0xffff, v15
	v_dual_lshrrev_b32 v26, 16, v16 :: v_dual_lshrrev_b32 v36, 16, v17
	v_and_b32_e32 v27, 0xffff, v16
	v_and_b32_e32 v38, 0xffff, v17
	;;#ASMSTART
	v_cvt_f32_f16 v14, v6;
	;;#ASMEND
	;;#ASMSTART
	v_cvt_f32_f16 v15, v5;
	;;#ASMEND
	;; [unrolled: 3-line block ×16, first 2 shown]
	ds_load_b128 v[6:9], v47 offset:176
	v_pk_fma_f32 v[10:11], v[14:15], v[16:17], v[10:11]
	v_pk_fma_f32 v[14:15], v[22:23], v[24:25], v[18:19]
	;; [unrolled: 1-line block ×4, first 2 shown]
	s_wait_dscnt 0x0
	v_dual_lshrrev_b32 v5, 16, v6 :: v_dual_lshrrev_b32 v18, 16, v7
	v_and_b32_e32 v6, 0xffff, v6
	v_and_b32_e32 v19, 0xffff, v7
	;;#ASMSTART
	v_cvt_f32_f16 v6, v6;
	;;#ASMEND
	;;#ASMSTART
	v_cvt_f32_f16 v7, v5;
	;;#ASMEND
	v_dual_lshrrev_b32 v22, 16, v8 :: v_dual_lshrrev_b32 v24, 16, v9
	v_and_b32_e32 v23, 0xffff, v8
	v_and_b32_e32 v25, 0xffff, v9
	;;#ASMSTART
	v_cvt_f32_f16 v8, v73;
	;;#ASMEND
	;;#ASMSTART
	v_cvt_f32_f16 v9, v71;
	;;#ASMEND
	v_pk_fma_f32 v[6:7], v[6:7], v[8:9], v[10:11]
	;;#ASMSTART
	v_cvt_f32_f16 v19, v19;
	;;#ASMEND
	;;#ASMSTART
	v_cvt_f32_f16 v18, v18;
	;;#ASMEND
	;; [unrolled: 3-line block ×8, first 2 shown]
	v_pk_fma_f32 v[8:9], v[18:19], v[20:21], v[14:15]
	v_pk_fma_f32 v[4:5], v[22:23], v[4:5], v[16:17]
	v_add_f32_e32 v6, v6, v7
	;;#ASMSTART
	v_cvt_f32_f16 v7, v25;
	;;#ASMEND
	s_delay_alu instid0(VALU_DEP_1) | instskip(NEXT) | instid1(VALU_DEP_1)
	v_add_f32_e32 v6, v6, v9
	v_add_f32_e32 v8, v8, v6
	;;#ASMSTART
	v_cvt_f32_f16 v6, v24;
	;;#ASMEND
	;;#ASMSTART
	v_cvt_f32_f16 v3, v3;
	;;#ASMEND
	;; [unrolled: 3-line block ×3, first 2 shown]
	v_pk_fma_f32 v[2:3], v[6:7], v[2:3], v[12:13]
	v_add_f32_e32 v5, v8, v5
	s_delay_alu instid0(VALU_DEP_1) | instskip(NEXT) | instid1(VALU_DEP_1)
	v_dual_add_f32 v4, v4, v5 :: v_dual_mul_f32 v5, s23, v100
	v_dual_add_f32 v3, v4, v3 :: v_dual_cndmask_b32 v4, 0, v5
	s_delay_alu instid0(VALU_DEP_1) | instskip(NEXT) | instid1(VALU_DEP_1)
	v_add_f32_e32 v2, v2, v3
	v_fmac_f32_e32 v4, s7, v2
	s_delay_alu instid0(VALU_DEP_1) | instskip(NEXT) | instid1(VALU_DEP_1)
	v_dual_max_num_f32 v3, v46, v46 :: v_dual_cndmask_b32 v2, 0, v4, s3
	v_max_num_f32_e32 v3, v3, v4
	ds_store_b32 v59, v2
	v_cndmask_b32_e64 v46, v46, v3, s3
	v_add_nc_u32_e32 v59, 0x200, v59
	s_and_not1_b32 exec_lo, exec_lo, s15
	s_cbranch_execnz .LBB102_6
; %bb.7:
	s_or_b32 exec_lo, exec_lo, s15
.LBB102_8:
	s_delay_alu instid0(SALU_CYCLE_1) | instskip(SKIP_4) | instid1(VALU_DEP_1)
	s_or_b32 exec_lo, exec_lo, s6
	v_mbcnt_lo_u32_b32 v5, -1, 0
	s_clause 0x1
	s_load_b64 s[6:7], s[0:1], 0x0
	s_load_b64 s[16:17], s[0:1], 0x18
	v_dual_max_num_f32 v6, v46, v46 :: v_dual_bitop2_b32 v2, 16, v5 bitop3:0x14
	v_xor_b32_e32 v4, 8, v5
	s_delay_alu instid0(VALU_DEP_2) | instskip(SKIP_1) | instid1(VALU_DEP_3)
	v_cmp_gt_i32_e32 vcc_lo, 32, v2
	v_cndmask_b32_e32 v2, v5, v2, vcc_lo
	v_cmp_gt_i32_e32 vcc_lo, 32, v4
	s_delay_alu instid0(VALU_DEP_2) | instskip(SKIP_3) | instid1(VALU_DEP_1)
	v_dual_lshlrev_b32 v2, 2, v2 :: v_dual_cndmask_b32 v4, v5, v4, vcc_lo
	ds_bpermute_b32 v3, v2, v46
	s_wait_dscnt 0x0
	v_dual_max_num_f32 v7, v3, v3 :: v_dual_lshlrev_b32 v3, 2, v4
	v_dual_max_num_f32 v6, v6, v7 :: v_dual_bitop2_b32 v7, 4, v5 bitop3:0x14
	ds_bpermute_b32 v4, v3, v6
	v_cmp_gt_i32_e32 vcc_lo, 32, v7
	s_wait_dscnt 0x0
	v_dual_cndmask_b32 v7, v5, v7 :: v_dual_max_num_f32 v8, v4, v4
	s_delay_alu instid0(VALU_DEP_1) | instskip(SKIP_3) | instid1(VALU_DEP_1)
	v_dual_lshlrev_b32 v4, 2, v7 :: v_dual_max_num_f32 v6, v6, v8
	ds_bpermute_b32 v7, v4, v6
	s_wait_dscnt 0x0
	v_dual_max_num_f32 v7, v7, v7 :: v_dual_bitop2_b32 v8, 2, v5 bitop3:0x14
	v_cmp_gt_i32_e32 vcc_lo, 32, v8
	s_delay_alu instid0(VALU_DEP_2) | instskip(NEXT) | instid1(VALU_DEP_1)
	v_dual_max_num_f32 v6, v6, v7 :: v_dual_cndmask_b32 v8, v5, v8, vcc_lo
	v_dual_lshlrev_b32 v26, 2, v8 :: v_dual_bitop2_b32 v8, 1, v5 bitop3:0x14
	ds_bpermute_b32 v7, v26, v6
	v_cmp_gt_i32_e32 vcc_lo, 32, v8
	v_cndmask_b32_e32 v5, v5, v8, vcc_lo
	v_cmp_eq_u32_e32 vcc_lo, 0, v55
	s_delay_alu instid0(VALU_DEP_2) | instskip(SKIP_2) | instid1(VALU_DEP_1)
	v_dual_lshlrev_b32 v25, 2, v5 :: v_dual_lshlrev_b32 v5, 2, v54
	s_wait_dscnt 0x0
	v_max_num_f32_e32 v7, v7, v7
	v_max_num_f32_e32 v6, v6, v7
	ds_bpermute_b32 v7, v25, v6
	s_wait_xcnt 0x0
	s_and_saveexec_b32 s0, vcc_lo
	s_cbranch_execz .LBB102_10
; %bb.9:
	s_wait_dscnt 0x0
	v_dual_max_num_f32 v7, v7, v7 :: v_dual_max_num_f32 v6, v6, v6
	s_delay_alu instid0(VALU_DEP_1)
	v_max_num_f32_e32 v6, v6, v7
	ds_store_b32 v5, v6 offset:192
.LBB102_10:
	s_or_b32 exec_lo, exec_lo, s0
	v_cmp_gt_u32_e64 s0, 4, v55
	v_mov_b32_e32 v6, 0xff7fffff
	s_wait_dscnt 0x0
	s_barrier_signal -1
	s_barrier_wait -1
	s_and_saveexec_b32 s1, s0
; %bb.11:
	ds_load_b32 v6, v57 offset:192
; %bb.12:
	s_or_b32 exec_lo, exec_lo, s1
	s_wait_dscnt 0x0
	ds_bpermute_b32 v7, v26, v6
	v_max_num_f32_e32 v6, v6, v6
	s_lshl_b32 s1, s22, 5
	s_delay_alu instid0(SALU_CYCLE_1) | instskip(NEXT) | instid1(SALU_CYCLE_1)
	s_min_i32 s4, s1, s21
	v_cmp_gt_i32_e64 s1, s4, v0
	s_wait_dscnt 0x0
	v_max_num_f32_e32 v7, v7, v7
	s_delay_alu instid0(VALU_DEP_1) | instskip(SKIP_3) | instid1(VALU_DEP_1)
	v_max_num_f32_e32 v6, v6, v7
	ds_bpermute_b32 v7, v25, v6
	s_wait_dscnt 0x0
	v_max_num_f32_e32 v7, v7, v7
	v_dual_max_num_f32 v7, v6, v7 :: v_dual_mov_b32 v6, 0
	ds_bpermute_b32 v7, v6, v7
	s_and_saveexec_b32 s15, s1
	s_cbranch_execz .LBB102_16
; %bb.13:
	v_lshl_add_u32 v8, v0, 2, 0xe0
	v_dual_mov_b32 v6, 0 :: v_dual_mov_b32 v9, v0
	s_mov_b32 s23, 0
.LBB102_14:                             ; =>This Inner Loop Header: Depth=1
	ds_load_b32 v10, v8
	v_add_nc_u32_e32 v9, 0x80, v9
	s_delay_alu instid0(VALU_DEP_1) | instskip(SKIP_3) | instid1(VALU_DEP_1)
	v_cmp_le_i32_e64 s3, s4, v9
	s_or_b32 s23, s3, s23
	s_wait_dscnt 0x0
	v_sub_f32_e32 v10, v10, v7
	v_mul_f32_e32 v10, 0x3fb8aa3b, v10
	s_delay_alu instid0(VALU_DEP_1)
	v_exp_f32_e32 v10, v10
	ds_store_b32 v8, v10
	v_nop
	v_add_f32_e32 v6, v6, v10
	v_add_nc_u32_e32 v8, 0x200, v8
	s_and_not1_b32 exec_lo, exec_lo, s23
	s_cbranch_execnz .LBB102_14
; %bb.15:
	s_or_b32 exec_lo, exec_lo, s23
.LBB102_16:
	s_delay_alu instid0(SALU_CYCLE_1)
	s_or_b32 exec_lo, exec_lo, s15
	ds_bpermute_b32 v2, v2, v6
	s_wait_dscnt 0x0
	v_add_f32_e32 v2, v6, v2
	ds_bpermute_b32 v3, v3, v2
	s_wait_dscnt 0x0
	v_add_f32_e32 v2, v2, v3
	;; [unrolled: 3-line block ×5, first 2 shown]
	s_and_saveexec_b32 s3, vcc_lo
; %bb.17:
	ds_store_b32 v5, v2 offset:208
; %bb.18:
	s_or_b32 exec_lo, exec_lo, s3
	s_wait_dscnt 0x0
	s_barrier_signal -1
	s_barrier_wait -1
	s_and_saveexec_b32 s3, s0
; %bb.19:
	ds_load_b32 v2, v57 offset:208
; %bb.20:
	s_or_b32 exec_lo, exec_lo, s3
	s_wait_dscnt 0x0
	ds_bpermute_b32 v3, v26, v2
	s_wait_dscnt 0x0
	v_dual_mov_b32 v7, 0 :: v_dual_add_f32 v2, v2, v3
	ds_bpermute_b32 v3, v25, v2
	s_wait_dscnt 0x0
	v_add_f32_e32 v2, v2, v3
	ds_bpermute_b32 v2, v7, v2
	s_and_saveexec_b32 s0, s1
	s_cbranch_execz .LBB102_33
; %bb.21:
	s_wait_dscnt 0x0
	v_add_f32_e32 v2, 0x358637bd, v2
	s_mov_b32 s3, -1
	s_mov_b32 s1, exec_lo
	s_delay_alu instid0(VALU_DEP_1) | instskip(NEXT) | instid1(VALU_DEP_1)
	v_div_scale_f32 v3, null, v2, v2, 1.0
	v_rcp_f32_e32 v5, v3
	v_nop
	s_delay_alu instid0(TRANS32_DEP_1) | instskip(NEXT) | instid1(VALU_DEP_1)
	v_fma_f32 v4, -v3, v5, 1.0
	v_fmac_f32_e32 v5, v4, v5
	v_div_scale_f32 v6, vcc_lo, 1.0, v2, 1.0
	s_delay_alu instid0(VALU_DEP_1) | instskip(NEXT) | instid1(VALU_DEP_1)
	v_mul_f32_e32 v8, v6, v5
	v_fma_f32 v4, -v3, v8, v6
	s_delay_alu instid0(VALU_DEP_1) | instskip(SKIP_1) | instid1(VALU_DEP_2)
	v_fmac_f32_e32 v8, v4, v5
	v_xad_u32 v4, v0, -1, s4
	v_fma_f32 v3, -v3, v8, v6
	s_delay_alu instid0(VALU_DEP_1) | instskip(NEXT) | instid1(VALU_DEP_1)
	v_div_fmas_f32 v3, v3, v5, v8
	v_div_fixup_f32 v2, v3, v2, 1.0
	v_mov_b32_e32 v3, v0
	v_cmpx_lt_u32_e32 0x7f, v4
	s_cbranch_execz .LBB102_30
; %bb.22:
	s_delay_alu instid0(VALU_DEP_3) | instskip(NEXT) | instid1(VALU_DEP_1)
	v_dual_mov_b32 v3, v2 :: v_dual_lshrrev_b32 v4, 7, v4
	v_dual_mov_b32 v9, 0 :: v_dual_add_nc_u32 v5, -1, v4
	s_delay_alu instid0(VALU_DEP_1) | instskip(SKIP_1) | instid1(VALU_DEP_2)
	v_lshrrev_b32_e32 v6, 1, v5
	v_cmp_lt_u32_e32 vcc_lo, 13, v5
	v_add_nc_u32_e32 v5, 1, v6
	s_and_saveexec_b32 s3, vcc_lo
	s_cbranch_execz .LBB102_26
; %bb.23:
	s_delay_alu instid0(VALU_DEP_1)
	v_and_b32_e32 v6, -8, v5
	v_lshl_add_u32 v8, v0, 2, 0xe0
	s_mov_b32 s15, 0
	s_mov_b32 s23, 0
.LBB102_24:                             ; =>This Inner Loop Header: Depth=1
	ds_load_2addr_stride64_b32 v[10:11], v8 offset1:2
	ds_load_2addr_stride64_b32 v[12:13], v8 offset0:4 offset1:6
	ds_load_2addr_stride64_b32 v[14:15], v8 offset0:8 offset1:10
	;; [unrolled: 1-line block ×7, first 2 shown]
	s_add_co_i32 s23, s23, 16
	s_delay_alu instid0(SALU_CYCLE_1) | instskip(NEXT) | instid1(VALU_DEP_1)
	v_dual_mov_b32 v9, s23 :: v_dual_add_nc_u32 v6, -8, v6
	v_cmp_eq_u32_e32 vcc_lo, 0, v6
	s_or_b32 s15, vcc_lo, s15
	s_wait_dscnt 0x7
	v_pk_mul_f32 v[10:11], v[2:3], v[10:11]
	s_wait_dscnt 0x6
	v_pk_mul_f32 v[12:13], v[2:3], v[12:13]
	;; [unrolled: 2-line block ×8, first 2 shown]
	ds_store_2addr_stride64_b32 v8, v10, v11 offset1:2
	ds_store_2addr_stride64_b32 v8, v12, v13 offset0:4 offset1:6
	ds_store_2addr_stride64_b32 v8, v14, v15 offset0:8 offset1:10
	;; [unrolled: 1-line block ×7, first 2 shown]
	v_add_nc_u32_e32 v8, 0x2000, v8
	s_and_not1_b32 exec_lo, exec_lo, s15
	s_cbranch_execnz .LBB102_24
; %bb.25:
	s_or_b32 exec_lo, exec_lo, s15
.LBB102_26:
	s_delay_alu instid0(SALU_CYCLE_1) | instskip(NEXT) | instid1(VALU_DEP_1)
	s_or_b32 exec_lo, exec_lo, s3
	v_and_b32_e32 v5, 7, v5
	s_mov_b32 s15, 0
	s_mov_b32 s3, exec_lo
	s_delay_alu instid0(VALU_DEP_1)
	v_cmpx_ne_u32_e32 0, v5
	s_cbranch_execz .LBB102_29
; %bb.27:
	v_dual_lshlrev_b32 v6, 9, v9 :: v_dual_lshlrev_b32 v8, 2, v0
	s_delay_alu instid0(VALU_DEP_1)
	v_add3_u32 v6, v6, v8, 0xe0
.LBB102_28:                             ; =>This Inner Loop Header: Depth=1
	ds_load_2addr_stride64_b32 v[8:9], v6 offset1:2
	v_add_nc_u32_e32 v5, -1, v5
	s_delay_alu instid0(VALU_DEP_1)
	v_cmp_eq_u32_e32 vcc_lo, 0, v5
	s_or_b32 s15, vcc_lo, s15
	s_wait_dscnt 0x0
	v_pk_mul_f32 v[8:9], v[2:3], v[8:9]
	ds_store_2addr_stride64_b32 v6, v8, v9 offset1:2
	v_add_nc_u32_e32 v6, 0x400, v6
	s_and_not1_b32 exec_lo, exec_lo, s15
	s_cbranch_execnz .LBB102_28
.LBB102_29:
	s_or_b32 exec_lo, exec_lo, s3
	v_add_nc_u32_e32 v3, 1, v4
	s_delay_alu instid0(VALU_DEP_1) | instskip(NEXT) | instid1(VALU_DEP_1)
	v_and_b32_e32 v4, 0x3fffffe, v3
	v_cmp_ne_u32_e32 vcc_lo, v3, v4
	v_lshl_add_u32 v3, v4, 7, v0
	s_or_not1_b32 s3, vcc_lo, exec_lo
.LBB102_30:
	s_or_b32 exec_lo, exec_lo, s1
	s_delay_alu instid0(SALU_CYCLE_1)
	s_and_b32 exec_lo, exec_lo, s3
	s_cbranch_execz .LBB102_33
; %bb.31:
	v_lshl_add_u32 v4, v3, 2, 0xe0
	s_mov_b32 s1, 0
.LBB102_32:                             ; =>This Inner Loop Header: Depth=1
	ds_load_b32 v5, v4
	v_add_nc_u32_e32 v3, 0x80, v3
	s_delay_alu instid0(VALU_DEP_1)
	v_cmp_le_i32_e32 vcc_lo, s4, v3
	s_or_b32 s1, vcc_lo, s1
	s_wait_dscnt 0x0
	v_mul_f32_e32 v5, v2, v5
	ds_store_b32 v4, v5
	v_add_nc_u32_e32 v4, 0x200, v4
	s_and_not1_b32 exec_lo, exec_lo, s1
	s_cbranch_execnz .LBB102_32
.LBB102_33:
	s_or_b32 exec_lo, exec_lo, s0
	v_dual_mov_b32 v6, 0 :: v_dual_bitop2_b32 v27, 3, v0 bitop3:0x40
	v_dual_mov_b32 v9, 0 :: v_dual_mov_b32 v8, 0
	v_dual_mov_b32 v11, 0 :: v_dual_mov_b32 v10, 0
	;; [unrolled: 1-line block ×5, first 2 shown]
	s_wait_dscnt 0x0
	s_barrier_signal -1
	s_barrier_wait -1
	s_and_saveexec_b32 s1, s2
	s_cbranch_execz .LBB102_61
; %bb.34:
	v_dual_mov_b32 v7, 0 :: v_dual_lshlrev_b32 v2, 3, v0
	s_ashr_i32 s15, s14, 31
	v_and_b32_e32 v6, 0x1f0, v1
	s_lshl_b64 s[14:15], s[14:15], 1
	s_delay_alu instid0(VALU_DEP_2)
	v_dual_lshlrev_b32 v2, 5, v27 :: v_dual_bitop2_b32 v1, 24, v2 bitop3:0x40
	s_wait_kmcnt 0x0
	s_add_nc_u64 s[14:15], s[16:17], s[14:15]
	s_ashr_i32 s3, s5, 31
	v_add_nc_u64_e32 v[18:19], s[14:15], v[6:7]
	v_and_b32_e32 v6, 0x7c, v56
	s_mov_b32 s2, s5
	s_lshl_b64 s[4:5], s[12:13], 2
	v_lshl_or_b32 v2, v54, 7, v2
	s_add_nc_u64 s[4:5], s[10:11], s[4:5]
	v_lshl_or_b32 v28, v54, 5, v1
	v_add_nc_u64_e32 v[20:21], s[4:5], v[6:7]
	s_delay_alu instid0(VALU_DEP_3)
	v_dual_mov_b32 v6, v7 :: v_dual_add_nc_u32 v29, 0xe0, v2
	v_dual_mov_b32 v9, v7 :: v_dual_mov_b32 v8, v7
	v_dual_mov_b32 v11, v7 :: v_dual_mov_b32 v10, v7
	;; [unrolled: 1-line block ×5, first 2 shown]
	v_mov_b32_e32 v30, v54
	s_add_co_i32 s4, s22, -1
	s_mov_b32 s10, s21
	s_mov_b32 s5, 0
	s_branch .LBB102_36
.LBB102_35:                             ;   in Loop: Header=BB102_36 Depth=1
	s_or_b32 exec_lo, exec_lo, s0
	v_dual_add_f32 v24, v24, v38 :: v_dual_add_f32 v31, v63, v64
	v_dual_add_f32 v32, v61, v62 :: v_dual_add_f32 v33, v59, v60
	s_delay_alu instid0(VALU_DEP_2) | instskip(SKIP_2) | instid1(VALU_DEP_4)
	v_dual_add_f32 v34, v57, v58 :: v_dual_add_f32 v6, v6, v24
	v_dual_add_f32 v24, v53, v56 :: v_dual_lshlrev_b32 v22, 16, v22
	v_dual_lshlrev_b32 v1, 16, v1 :: v_dual_lshlrev_b32 v23, 16, v23
	v_dual_add_f32 v9, v9, v31 :: v_dual_add_f32 v8, v8, v32
	s_delay_alu instid0(VALU_DEP_4) | instskip(NEXT) | instid1(VALU_DEP_4)
	v_dual_add_f32 v11, v11, v33 :: v_dual_add_f32 v10, v10, v34
	v_add_f32_e32 v13, v13, v24
	v_dual_add_f32 v24, v51, v52 :: v_dual_add_f32 v31, v49, v50
	v_and_or_b32 v2, 0xffff, v2, v22
	v_and_or_b32 v1, 0xffff, v3, v1
	;; [unrolled: 1-line block ×3, first 2 shown]
	;;#ASMSTART
	v_pk_mul_f16 v2, v40, v2;

	;;#ASMEND
	;;#ASMSTART
	v_pk_mul_f16 v1, v39, v1;

	;;#ASMEND
	;; [unrolled: 4-line block ×4, first 2 shown]
	;;#ASMSTART
	v_pk_add_f16 v1, v2, v1;

	;;#ASMEND
	;;#ASMSTART
	v_pk_add_f16 v1, v1, v3;

	;;#ASMEND
	;; [unrolled: 4-line block ×3, first 2 shown]
	v_dual_add_f32 v12, v12, v24 :: v_dual_add_f32 v15, v15, v31
	v_lshrrev_b32_e32 v5, 16, v1
	v_and_b32_e32 v4, 0xffff, v1
	v_dual_add_f32 v1, v47, v48 :: v_dual_add_f32 v2, v45, v46
	v_add_nc_u32_e32 v30, 4, v30
	;;#ASMSTART
	v_cvt_f32_f16 v4, v4;
	;;#ASMEND
	;;#ASMSTART
	v_cvt_f32_f16 v5, v5;
	;;#ASMEND
	v_dual_add_f32 v3, v43, v44 :: v_dual_add_f32 v4, v4, v5
	v_add_f32_e32 v14, v14, v1
	v_cmp_le_i32_e32 vcc_lo, s22, v30
	v_add_nc_u64_e32 v[20:21], 16, v[20:21]
	s_delay_alu instid0(VALU_DEP_4) | instskip(SKIP_4) | instid1(SALU_CYCLE_1)
	v_dual_add_f32 v17, v17, v2 :: v_dual_add_f32 v16, v16, v3
	v_add_f32_e32 v7, v7, v4
	v_add_nc_u32_e32 v28, 0x80, v28
	v_add_nc_u32_e32 v29, 0x200, v29
	s_or_b32 s5, vcc_lo, s5
	s_and_not1_b32 exec_lo, exec_lo, s5
	s_cbranch_execz .LBB102_60
.LBB102_36:                             ; =>This Inner Loop Header: Depth=1
	global_load_b32 v2, v[20:21], off
	v_cmp_eq_u32_e32 vcc_lo, s4, v30
	v_dual_add_nc_u32 v36, 2, v28 :: v_dual_add_nc_u32 v31, 5, v28
	s_wait_loadcnt 0x0
	v_ashrrev_i32_e32 v3, 31, v2
	s_delay_alu instid0(VALU_DEP_1)
	v_mul_u64_e32 v[22:23], s[2:3], v[2:3]
	ds_load_2addr_b64 v[2:5], v29 offset1:1
	ds_load_2addr_b64 v[32:35], v29 offset0:2 offset1:3
	s_wait_dscnt 0x1
	;;#ASMSTART
	v_cvt_f16_f32 v40, v2;

	;;#ASMEND
	;;#ASMSTART
	v_cvt_f16_f32 v39, v3;

	;;#ASMEND
	;; [unrolled: 4-line block ×4, first 2 shown]
	s_wait_dscnt 0x0
	;;#ASMSTART
	v_cvt_f16_f32 v46, v32;

	;;#ASMEND
	;;#ASMSTART
	v_cvt_f16_f32 v41, v33;

	;;#ASMEND
	;; [unrolled: 4-line block ×4, first 2 shown]
	v_dual_add_nc_u32 v32, 4, v28 :: v_dual_add_nc_u32 v34, 6, v28
	v_dual_add_nc_u32 v33, 7, v28 :: v_dual_bitop2_b32 v35, 1, v28 bitop3:0x54
	v_lshl_add_u64 v[22:23], v[22:23], 1, v[18:19]
	global_load_b128 v[2:5], v[22:23], off
	s_wait_loadcnt 0x0
	v_dual_lshrrev_b32 v1, 16, v3 :: v_dual_bitop2_b32 v37, 3, v28 bitop3:0x54
	v_dual_lshrrev_b32 v24, 16, v2 :: v_dual_lshrrev_b32 v38, 16, v4
	s_and_saveexec_b32 s11, vcc_lo
	s_cbranch_execz .LBB102_38
; %bb.37:                               ;   in Loop: Header=BB102_36 Depth=1
	v_cmp_gt_i32_e64 s0, s21, v28
	v_and_b32_e32 v47, 0xffff, v5
	v_and_b32_e32 v5, 0xffff0000, v5
	s_delay_alu instid0(VALU_DEP_3) | instskip(SKIP_1) | instid1(VALU_DEP_1)
	v_cndmask_b32_e64 v2, 0, v2, s0
	v_cmp_gt_i32_e64 s0, s21, v36
	v_cndmask_b32_e64 v3, 0, v3, s0
	v_cmp_gt_i32_e64 s0, s10, v37
	s_delay_alu instid0(VALU_DEP_1) | instskip(SKIP_1) | instid1(VALU_DEP_1)
	v_cndmask_b32_e64 v1, 0, v1, s0
	v_cmp_gt_i32_e64 s0, s21, v35
	v_cndmask_b32_e64 v24, 0, v24, s0
	v_cmp_gt_i32_e64 s0, s21, v34
	s_delay_alu instid0(VALU_DEP_1) | instskip(SKIP_1) | instid1(VALU_DEP_1)
	v_cndmask_b32_e64 v47, 0, v47, s0
	v_cmp_gt_i32_e64 s0, s21, v33
	v_cndmask_b32_e64 v5, 0, v5, s0
	v_cmp_gt_i32_e64 s0, s21, v32
	s_delay_alu instid0(VALU_DEP_1) | instskip(SKIP_1) | instid1(VALU_DEP_1)
	v_dual_cndmask_b32 v4, 0, v4, s0 :: v_dual_bitop2_b32 v5, v47, v5 bitop3:0x54
	v_cmp_gt_i32_e64 s0, s21, v31
	v_cndmask_b32_e64 v38, 0, v38, s0
.LBB102_38:                             ;   in Loop: Header=BB102_36 Depth=1
	s_or_b32 exec_lo, exec_lo, s11
	v_and_b32_e32 v40, 0xffff, v40
	v_and_b32_e32 v45, 0xffff, v45
	v_dual_lshlrev_b32 v24, 16, v24 :: v_dual_lshlrev_b32 v1, 16, v1
	v_lshlrev_b32_e32 v38, 16, v38
	v_and_b32_e32 v46, 0xffff, v46
	v_lshl_or_b32 v40, v39, 16, v40
	v_lshl_or_b32 v39, v43, 16, v45
	v_and_b32_e32 v43, 0xffff, v44
	v_and_or_b32 v2, 0xffff, v2, v24
	v_and_or_b32 v1, 0xffff, v3, v1
	;; [unrolled: 1-line block ×3, first 2 shown]
	;;#ASMSTART
	v_pk_mul_f16 v2, v40, v2;

	;;#ASMEND
	;;#ASMSTART
	v_pk_mul_f16 v1, v39, v1;

	;;#ASMEND
	v_lshl_or_b32 v41, v41, 16, v46
	v_lshl_or_b32 v42, v42, 16, v43
	;;#ASMSTART
	v_pk_mul_f16 v3, v41, v3;

	;;#ASMEND
	;;#ASMSTART
	v_pk_mul_f16 v4, v42, v5;

	;;#ASMEND
	;;#ASMSTART
	v_pk_add_f16 v1, v2, v1;

	;;#ASMEND
	;;#ASMSTART
	v_pk_add_f16 v1, v1, v3;
	;; [unrolled: 4-line block ×3, first 2 shown]

	;;#ASMEND
	v_and_b32_e32 v2, 0xffff, v1
	v_lshrrev_b32_e32 v1, 16, v1
	;;#ASMSTART
	v_cvt_f32_f16 v43, v2;
	;;#ASMEND
	;;#ASMSTART
	v_cvt_f32_f16 v44, v1;
	;;#ASMEND
	global_load_b128 v[2:5], v[22:23], off offset:512
	s_wait_loadcnt 0x0
	v_dual_lshrrev_b32 v1, 16, v3 :: v_dual_lshrrev_b32 v24, 16, v2
	v_lshrrev_b32_e32 v38, 16, v4
	s_and_saveexec_b32 s11, vcc_lo
	s_cbranch_execz .LBB102_40
; %bb.39:                               ;   in Loop: Header=BB102_36 Depth=1
	v_cmp_gt_i32_e64 s0, s21, v28
	v_and_b32_e32 v45, 0xffff, v5
	v_and_b32_e32 v5, 0xffff0000, v5
	s_delay_alu instid0(VALU_DEP_3) | instskip(SKIP_1) | instid1(VALU_DEP_1)
	v_cndmask_b32_e64 v2, 0, v2, s0
	v_cmp_gt_i32_e64 s0, s21, v36
	v_cndmask_b32_e64 v3, 0, v3, s0
	v_cmp_gt_i32_e64 s0, s10, v37
	s_delay_alu instid0(VALU_DEP_1) | instskip(SKIP_1) | instid1(VALU_DEP_1)
	v_cndmask_b32_e64 v1, 0, v1, s0
	v_cmp_gt_i32_e64 s0, s21, v35
	v_cndmask_b32_e64 v24, 0, v24, s0
	v_cmp_gt_i32_e64 s0, s21, v34
	s_delay_alu instid0(VALU_DEP_1) | instskip(SKIP_1) | instid1(VALU_DEP_1)
	;; [unrolled: 5-line block ×3, first 2 shown]
	v_cndmask_b32_e64 v4, 0, v4, s0
	v_cmp_gt_i32_e64 s0, s21, v31
	v_dual_cndmask_b32 v38, 0, v38, s0 :: v_dual_bitop2_b32 v5, v45, v5 bitop3:0x54
.LBB102_40:                             ;   in Loop: Header=BB102_36 Depth=1
	s_or_b32 exec_lo, exec_lo, s11
	v_dual_lshlrev_b32 v24, 16, v24 :: v_dual_lshlrev_b32 v1, 16, v1
	s_delay_alu instid0(VALU_DEP_2) | instskip(NEXT) | instid1(VALU_DEP_2)
	v_lshlrev_b32_e32 v38, 16, v38
	v_and_or_b32 v2, 0xffff, v2, v24
	s_delay_alu instid0(VALU_DEP_3) | instskip(NEXT) | instid1(VALU_DEP_3)
	v_and_or_b32 v1, 0xffff, v3, v1
	v_and_or_b32 v3, 0xffff, v4, v38
	;;#ASMSTART
	v_pk_mul_f16 v2, v40, v2;

	;;#ASMEND
	;;#ASMSTART
	v_pk_mul_f16 v1, v39, v1;

	;;#ASMEND
	;; [unrolled: 4-line block ×4, first 2 shown]
	;;#ASMSTART
	v_pk_add_f16 v1, v2, v1;

	;;#ASMEND
	;;#ASMSTART
	v_pk_add_f16 v1, v1, v3;

	;;#ASMEND
	;;#ASMSTART
	v_pk_add_f16 v1, v1, v4;

	;;#ASMEND
	v_and_b32_e32 v2, 0xffff, v1
	v_lshrrev_b32_e32 v1, 16, v1
	;;#ASMSTART
	v_cvt_f32_f16 v45, v2;
	;;#ASMEND
	;;#ASMSTART
	v_cvt_f32_f16 v46, v1;
	;;#ASMEND
	global_load_b128 v[2:5], v[22:23], off offset:1024
	s_wait_loadcnt 0x0
	v_dual_lshrrev_b32 v1, 16, v3 :: v_dual_lshrrev_b32 v24, 16, v2
	v_lshrrev_b32_e32 v38, 16, v4
	s_and_saveexec_b32 s11, vcc_lo
	s_cbranch_execz .LBB102_42
; %bb.41:                               ;   in Loop: Header=BB102_36 Depth=1
	v_cmp_gt_i32_e64 s0, s21, v28
	v_and_b32_e32 v47, 0xffff, v5
	v_and_b32_e32 v5, 0xffff0000, v5
	s_delay_alu instid0(VALU_DEP_3) | instskip(SKIP_1) | instid1(VALU_DEP_1)
	v_cndmask_b32_e64 v2, 0, v2, s0
	v_cmp_gt_i32_e64 s0, s21, v36
	v_cndmask_b32_e64 v3, 0, v3, s0
	v_cmp_gt_i32_e64 s0, s10, v37
	s_delay_alu instid0(VALU_DEP_1) | instskip(SKIP_1) | instid1(VALU_DEP_1)
	v_cndmask_b32_e64 v1, 0, v1, s0
	v_cmp_gt_i32_e64 s0, s21, v35
	v_cndmask_b32_e64 v24, 0, v24, s0
	v_cmp_gt_i32_e64 s0, s21, v34
	s_delay_alu instid0(VALU_DEP_1) | instskip(SKIP_1) | instid1(VALU_DEP_1)
	;; [unrolled: 5-line block ×3, first 2 shown]
	v_dual_cndmask_b32 v4, 0, v4, s0 :: v_dual_bitop2_b32 v5, v47, v5 bitop3:0x54
	v_cmp_gt_i32_e64 s0, s21, v31
	v_cndmask_b32_e64 v38, 0, v38, s0
.LBB102_42:                             ;   in Loop: Header=BB102_36 Depth=1
	s_or_b32 exec_lo, exec_lo, s11
	v_dual_lshlrev_b32 v24, 16, v24 :: v_dual_lshlrev_b32 v1, 16, v1
	s_delay_alu instid0(VALU_DEP_2) | instskip(NEXT) | instid1(VALU_DEP_2)
	v_lshlrev_b32_e32 v38, 16, v38
	v_and_or_b32 v2, 0xffff, v2, v24
	s_delay_alu instid0(VALU_DEP_3) | instskip(NEXT) | instid1(VALU_DEP_3)
	v_and_or_b32 v1, 0xffff, v3, v1
	v_and_or_b32 v3, 0xffff, v4, v38
	;;#ASMSTART
	v_pk_mul_f16 v2, v40, v2;

	;;#ASMEND
	;;#ASMSTART
	v_pk_mul_f16 v1, v39, v1;

	;;#ASMEND
	;; [unrolled: 4-line block ×4, first 2 shown]
	;;#ASMSTART
	v_pk_add_f16 v1, v2, v1;

	;;#ASMEND
	;;#ASMSTART
	v_pk_add_f16 v1, v1, v3;

	;;#ASMEND
	;;#ASMSTART
	v_pk_add_f16 v1, v1, v4;

	;;#ASMEND
	v_and_b32_e32 v2, 0xffff, v1
	v_lshrrev_b32_e32 v1, 16, v1
	;;#ASMSTART
	v_cvt_f32_f16 v47, v2;
	;;#ASMEND
	;;#ASMSTART
	v_cvt_f32_f16 v48, v1;
	;;#ASMEND
	global_load_b128 v[2:5], v[22:23], off offset:1536
	s_wait_loadcnt 0x0
	v_dual_lshrrev_b32 v1, 16, v3 :: v_dual_lshrrev_b32 v24, 16, v2
	v_lshrrev_b32_e32 v38, 16, v4
	s_and_saveexec_b32 s11, vcc_lo
	s_cbranch_execz .LBB102_44
; %bb.43:                               ;   in Loop: Header=BB102_36 Depth=1
	v_cmp_gt_i32_e64 s0, s21, v28
	v_and_b32_e32 v49, 0xffff, v5
	v_and_b32_e32 v5, 0xffff0000, v5
	s_delay_alu instid0(VALU_DEP_3) | instskip(SKIP_1) | instid1(VALU_DEP_1)
	v_cndmask_b32_e64 v2, 0, v2, s0
	v_cmp_gt_i32_e64 s0, s21, v36
	v_cndmask_b32_e64 v3, 0, v3, s0
	v_cmp_gt_i32_e64 s0, s10, v37
	s_delay_alu instid0(VALU_DEP_1) | instskip(SKIP_1) | instid1(VALU_DEP_1)
	v_cndmask_b32_e64 v1, 0, v1, s0
	v_cmp_gt_i32_e64 s0, s21, v35
	v_cndmask_b32_e64 v24, 0, v24, s0
	v_cmp_gt_i32_e64 s0, s21, v34
	s_delay_alu instid0(VALU_DEP_1) | instskip(SKIP_1) | instid1(VALU_DEP_1)
	;; [unrolled: 5-line block ×3, first 2 shown]
	v_cndmask_b32_e64 v4, 0, v4, s0
	v_cmp_gt_i32_e64 s0, s21, v31
	v_dual_cndmask_b32 v38, 0, v38, s0 :: v_dual_bitop2_b32 v5, v49, v5 bitop3:0x54
.LBB102_44:                             ;   in Loop: Header=BB102_36 Depth=1
	s_or_b32 exec_lo, exec_lo, s11
	v_dual_lshlrev_b32 v24, 16, v24 :: v_dual_lshlrev_b32 v1, 16, v1
	s_delay_alu instid0(VALU_DEP_2) | instskip(NEXT) | instid1(VALU_DEP_2)
	v_lshlrev_b32_e32 v38, 16, v38
	v_and_or_b32 v2, 0xffff, v2, v24
	s_delay_alu instid0(VALU_DEP_3) | instskip(NEXT) | instid1(VALU_DEP_3)
	v_and_or_b32 v1, 0xffff, v3, v1
	v_and_or_b32 v3, 0xffff, v4, v38
	;;#ASMSTART
	v_pk_mul_f16 v2, v40, v2;

	;;#ASMEND
	;;#ASMSTART
	v_pk_mul_f16 v1, v39, v1;

	;;#ASMEND
	;; [unrolled: 4-line block ×4, first 2 shown]
	;;#ASMSTART
	v_pk_add_f16 v1, v2, v1;

	;;#ASMEND
	;;#ASMSTART
	v_pk_add_f16 v1, v1, v3;

	;;#ASMEND
	;; [unrolled: 4-line block ×3, first 2 shown]
	v_and_b32_e32 v2, 0xffff, v1
	v_lshrrev_b32_e32 v1, 16, v1
	;;#ASMSTART
	v_cvt_f32_f16 v49, v2;
	;;#ASMEND
	;;#ASMSTART
	v_cvt_f32_f16 v50, v1;
	;;#ASMEND
	global_load_b128 v[2:5], v[22:23], off offset:2048
	s_wait_loadcnt 0x0
	v_dual_lshrrev_b32 v1, 16, v3 :: v_dual_lshrrev_b32 v24, 16, v2
	v_lshrrev_b32_e32 v38, 16, v4
	s_and_saveexec_b32 s11, vcc_lo
	s_cbranch_execz .LBB102_46
; %bb.45:                               ;   in Loop: Header=BB102_36 Depth=1
	v_cmp_gt_i32_e64 s0, s21, v28
	v_and_b32_e32 v51, 0xffff, v5
	v_and_b32_e32 v5, 0xffff0000, v5
	s_delay_alu instid0(VALU_DEP_3) | instskip(SKIP_1) | instid1(VALU_DEP_1)
	v_cndmask_b32_e64 v2, 0, v2, s0
	v_cmp_gt_i32_e64 s0, s21, v36
	v_cndmask_b32_e64 v3, 0, v3, s0
	v_cmp_gt_i32_e64 s0, s10, v37
	s_delay_alu instid0(VALU_DEP_1) | instskip(SKIP_1) | instid1(VALU_DEP_1)
	v_cndmask_b32_e64 v1, 0, v1, s0
	v_cmp_gt_i32_e64 s0, s21, v35
	v_cndmask_b32_e64 v24, 0, v24, s0
	v_cmp_gt_i32_e64 s0, s21, v34
	s_delay_alu instid0(VALU_DEP_1) | instskip(SKIP_1) | instid1(VALU_DEP_1)
	;; [unrolled: 5-line block ×3, first 2 shown]
	v_dual_cndmask_b32 v4, 0, v4, s0 :: v_dual_bitop2_b32 v5, v51, v5 bitop3:0x54
	v_cmp_gt_i32_e64 s0, s21, v31
	v_cndmask_b32_e64 v38, 0, v38, s0
.LBB102_46:                             ;   in Loop: Header=BB102_36 Depth=1
	s_or_b32 exec_lo, exec_lo, s11
	v_dual_lshlrev_b32 v24, 16, v24 :: v_dual_lshlrev_b32 v1, 16, v1
	s_delay_alu instid0(VALU_DEP_2) | instskip(NEXT) | instid1(VALU_DEP_2)
	v_lshlrev_b32_e32 v38, 16, v38
	v_and_or_b32 v2, 0xffff, v2, v24
	s_delay_alu instid0(VALU_DEP_3) | instskip(NEXT) | instid1(VALU_DEP_3)
	v_and_or_b32 v1, 0xffff, v3, v1
	v_and_or_b32 v3, 0xffff, v4, v38
	;;#ASMSTART
	v_pk_mul_f16 v2, v40, v2;

	;;#ASMEND
	;;#ASMSTART
	v_pk_mul_f16 v1, v39, v1;

	;;#ASMEND
	;; [unrolled: 4-line block ×4, first 2 shown]
	;;#ASMSTART
	v_pk_add_f16 v1, v2, v1;

	;;#ASMEND
	;;#ASMSTART
	v_pk_add_f16 v1, v1, v3;

	;;#ASMEND
	;; [unrolled: 4-line block ×3, first 2 shown]
	v_and_b32_e32 v2, 0xffff, v1
	v_lshrrev_b32_e32 v1, 16, v1
	;;#ASMSTART
	v_cvt_f32_f16 v51, v2;
	;;#ASMEND
	;;#ASMSTART
	v_cvt_f32_f16 v52, v1;
	;;#ASMEND
	global_load_b128 v[2:5], v[22:23], off offset:2560
	s_wait_loadcnt 0x0
	v_dual_lshrrev_b32 v1, 16, v3 :: v_dual_lshrrev_b32 v24, 16, v2
	v_lshrrev_b32_e32 v38, 16, v4
	s_and_saveexec_b32 s11, vcc_lo
	s_cbranch_execz .LBB102_48
; %bb.47:                               ;   in Loop: Header=BB102_36 Depth=1
	v_cmp_gt_i32_e64 s0, s21, v28
	v_and_b32_e32 v53, 0xffff, v5
	v_and_b32_e32 v5, 0xffff0000, v5
	s_delay_alu instid0(VALU_DEP_3) | instskip(SKIP_1) | instid1(VALU_DEP_1)
	v_cndmask_b32_e64 v2, 0, v2, s0
	v_cmp_gt_i32_e64 s0, s21, v36
	v_cndmask_b32_e64 v3, 0, v3, s0
	v_cmp_gt_i32_e64 s0, s10, v37
	s_delay_alu instid0(VALU_DEP_1) | instskip(SKIP_1) | instid1(VALU_DEP_1)
	v_cndmask_b32_e64 v1, 0, v1, s0
	v_cmp_gt_i32_e64 s0, s21, v35
	v_cndmask_b32_e64 v24, 0, v24, s0
	v_cmp_gt_i32_e64 s0, s21, v34
	s_delay_alu instid0(VALU_DEP_1) | instskip(SKIP_1) | instid1(VALU_DEP_1)
	;; [unrolled: 5-line block ×3, first 2 shown]
	v_cndmask_b32_e64 v4, 0, v4, s0
	v_cmp_gt_i32_e64 s0, s21, v31
	v_dual_cndmask_b32 v38, 0, v38, s0 :: v_dual_bitop2_b32 v5, v53, v5 bitop3:0x54
.LBB102_48:                             ;   in Loop: Header=BB102_36 Depth=1
	s_or_b32 exec_lo, exec_lo, s11
	v_dual_lshlrev_b32 v24, 16, v24 :: v_dual_lshlrev_b32 v1, 16, v1
	s_delay_alu instid0(VALU_DEP_2) | instskip(NEXT) | instid1(VALU_DEP_2)
	v_lshlrev_b32_e32 v38, 16, v38
	v_and_or_b32 v2, 0xffff, v2, v24
	s_delay_alu instid0(VALU_DEP_3) | instskip(NEXT) | instid1(VALU_DEP_3)
	v_and_or_b32 v1, 0xffff, v3, v1
	v_and_or_b32 v3, 0xffff, v4, v38
	;;#ASMSTART
	v_pk_mul_f16 v2, v40, v2;

	;;#ASMEND
	;;#ASMSTART
	v_pk_mul_f16 v1, v39, v1;

	;;#ASMEND
	;; [unrolled: 4-line block ×4, first 2 shown]
	;;#ASMSTART
	v_pk_add_f16 v1, v2, v1;

	;;#ASMEND
	;;#ASMSTART
	v_pk_add_f16 v1, v1, v3;

	;;#ASMEND
	;;#ASMSTART
	v_pk_add_f16 v1, v1, v4;

	;;#ASMEND
	v_and_b32_e32 v2, 0xffff, v1
	v_lshrrev_b32_e32 v1, 16, v1
	;;#ASMSTART
	v_cvt_f32_f16 v53, v2;
	;;#ASMEND
	;;#ASMSTART
	v_cvt_f32_f16 v56, v1;
	;;#ASMEND
	global_load_b128 v[2:5], v[22:23], off offset:3072
	s_wait_loadcnt 0x0
	v_dual_lshrrev_b32 v1, 16, v3 :: v_dual_lshrrev_b32 v24, 16, v2
	v_lshrrev_b32_e32 v38, 16, v4
	s_and_saveexec_b32 s11, vcc_lo
	s_cbranch_execz .LBB102_50
; %bb.49:                               ;   in Loop: Header=BB102_36 Depth=1
	v_cmp_gt_i32_e64 s0, s21, v28
	v_and_b32_e32 v57, 0xffff, v5
	v_and_b32_e32 v5, 0xffff0000, v5
	s_delay_alu instid0(VALU_DEP_3) | instskip(SKIP_1) | instid1(VALU_DEP_1)
	v_cndmask_b32_e64 v2, 0, v2, s0
	v_cmp_gt_i32_e64 s0, s21, v36
	v_cndmask_b32_e64 v3, 0, v3, s0
	v_cmp_gt_i32_e64 s0, s10, v37
	s_delay_alu instid0(VALU_DEP_1) | instskip(SKIP_1) | instid1(VALU_DEP_1)
	v_cndmask_b32_e64 v1, 0, v1, s0
	v_cmp_gt_i32_e64 s0, s21, v35
	v_cndmask_b32_e64 v24, 0, v24, s0
	v_cmp_gt_i32_e64 s0, s21, v34
	s_delay_alu instid0(VALU_DEP_1) | instskip(SKIP_1) | instid1(VALU_DEP_1)
	;; [unrolled: 5-line block ×3, first 2 shown]
	v_cndmask_b32_e64 v4, 0, v4, s0
	v_cmp_gt_i32_e64 s0, s21, v31
	v_dual_cndmask_b32 v38, 0, v38, s0 :: v_dual_bitop2_b32 v5, v57, v5 bitop3:0x54
.LBB102_50:                             ;   in Loop: Header=BB102_36 Depth=1
	s_or_b32 exec_lo, exec_lo, s11
	v_dual_lshlrev_b32 v24, 16, v24 :: v_dual_lshlrev_b32 v1, 16, v1
	s_delay_alu instid0(VALU_DEP_2) | instskip(NEXT) | instid1(VALU_DEP_2)
	v_lshlrev_b32_e32 v38, 16, v38
	v_and_or_b32 v2, 0xffff, v2, v24
	s_delay_alu instid0(VALU_DEP_3) | instskip(NEXT) | instid1(VALU_DEP_3)
	v_and_or_b32 v1, 0xffff, v3, v1
	v_and_or_b32 v3, 0xffff, v4, v38
	;;#ASMSTART
	v_pk_mul_f16 v2, v40, v2;

	;;#ASMEND
	;;#ASMSTART
	v_pk_mul_f16 v1, v39, v1;

	;;#ASMEND
	;; [unrolled: 4-line block ×4, first 2 shown]
	;;#ASMSTART
	v_pk_add_f16 v1, v2, v1;

	;;#ASMEND
	;;#ASMSTART
	v_pk_add_f16 v1, v1, v3;

	;;#ASMEND
	;; [unrolled: 4-line block ×3, first 2 shown]
	v_and_b32_e32 v2, 0xffff, v1
	v_lshrrev_b32_e32 v1, 16, v1
	;;#ASMSTART
	v_cvt_f32_f16 v57, v2;
	;;#ASMEND
	;;#ASMSTART
	v_cvt_f32_f16 v58, v1;
	;;#ASMEND
	global_load_b128 v[2:5], v[22:23], off offset:3584
	s_wait_loadcnt 0x0
	v_dual_lshrrev_b32 v1, 16, v3 :: v_dual_lshrrev_b32 v24, 16, v2
	v_lshrrev_b32_e32 v38, 16, v4
	s_and_saveexec_b32 s11, vcc_lo
	s_cbranch_execz .LBB102_52
; %bb.51:                               ;   in Loop: Header=BB102_36 Depth=1
	v_cmp_gt_i32_e64 s0, s21, v28
	v_and_b32_e32 v59, 0xffff, v5
	v_and_b32_e32 v5, 0xffff0000, v5
	s_delay_alu instid0(VALU_DEP_3) | instskip(SKIP_1) | instid1(VALU_DEP_1)
	v_cndmask_b32_e64 v2, 0, v2, s0
	v_cmp_gt_i32_e64 s0, s21, v36
	v_cndmask_b32_e64 v3, 0, v3, s0
	v_cmp_gt_i32_e64 s0, s10, v37
	s_delay_alu instid0(VALU_DEP_1) | instskip(SKIP_1) | instid1(VALU_DEP_1)
	v_cndmask_b32_e64 v1, 0, v1, s0
	v_cmp_gt_i32_e64 s0, s21, v35
	v_cndmask_b32_e64 v24, 0, v24, s0
	v_cmp_gt_i32_e64 s0, s21, v34
	s_delay_alu instid0(VALU_DEP_1) | instskip(SKIP_1) | instid1(VALU_DEP_1)
	;; [unrolled: 5-line block ×3, first 2 shown]
	v_dual_cndmask_b32 v4, 0, v4, s0 :: v_dual_bitop2_b32 v5, v59, v5 bitop3:0x54
	v_cmp_gt_i32_e64 s0, s21, v31
	v_cndmask_b32_e64 v38, 0, v38, s0
.LBB102_52:                             ;   in Loop: Header=BB102_36 Depth=1
	s_or_b32 exec_lo, exec_lo, s11
	v_dual_lshlrev_b32 v24, 16, v24 :: v_dual_lshlrev_b32 v1, 16, v1
	s_delay_alu instid0(VALU_DEP_2) | instskip(NEXT) | instid1(VALU_DEP_2)
	v_lshlrev_b32_e32 v38, 16, v38
	v_and_or_b32 v2, 0xffff, v2, v24
	s_delay_alu instid0(VALU_DEP_3) | instskip(NEXT) | instid1(VALU_DEP_3)
	v_and_or_b32 v1, 0xffff, v3, v1
	v_and_or_b32 v3, 0xffff, v4, v38
	;;#ASMSTART
	v_pk_mul_f16 v2, v40, v2;

	;;#ASMEND
	;;#ASMSTART
	v_pk_mul_f16 v1, v39, v1;

	;;#ASMEND
	;; [unrolled: 4-line block ×4, first 2 shown]
	;;#ASMSTART
	v_pk_add_f16 v1, v2, v1;

	;;#ASMEND
	;;#ASMSTART
	v_pk_add_f16 v1, v1, v3;

	;;#ASMEND
	;; [unrolled: 4-line block ×3, first 2 shown]
	v_and_b32_e32 v2, 0xffff, v1
	v_lshrrev_b32_e32 v1, 16, v1
	;;#ASMSTART
	v_cvt_f32_f16 v59, v2;
	;;#ASMEND
	;;#ASMSTART
	v_cvt_f32_f16 v60, v1;
	;;#ASMEND
	global_load_b128 v[2:5], v[22:23], off offset:4096
	s_wait_loadcnt 0x0
	v_dual_lshrrev_b32 v1, 16, v3 :: v_dual_lshrrev_b32 v24, 16, v2
	v_lshrrev_b32_e32 v38, 16, v4
	s_and_saveexec_b32 s11, vcc_lo
	s_cbranch_execz .LBB102_54
; %bb.53:                               ;   in Loop: Header=BB102_36 Depth=1
	v_cmp_gt_i32_e64 s0, s21, v28
	v_and_b32_e32 v61, 0xffff, v5
	v_and_b32_e32 v5, 0xffff0000, v5
	s_delay_alu instid0(VALU_DEP_3) | instskip(SKIP_1) | instid1(VALU_DEP_1)
	v_cndmask_b32_e64 v2, 0, v2, s0
	v_cmp_gt_i32_e64 s0, s21, v36
	v_cndmask_b32_e64 v3, 0, v3, s0
	v_cmp_gt_i32_e64 s0, s10, v37
	s_delay_alu instid0(VALU_DEP_1) | instskip(SKIP_1) | instid1(VALU_DEP_1)
	v_cndmask_b32_e64 v1, 0, v1, s0
	v_cmp_gt_i32_e64 s0, s21, v35
	v_cndmask_b32_e64 v24, 0, v24, s0
	v_cmp_gt_i32_e64 s0, s21, v34
	s_delay_alu instid0(VALU_DEP_1) | instskip(SKIP_1) | instid1(VALU_DEP_1)
	;; [unrolled: 5-line block ×3, first 2 shown]
	v_cndmask_b32_e64 v4, 0, v4, s0
	v_cmp_gt_i32_e64 s0, s21, v31
	v_dual_cndmask_b32 v38, 0, v38, s0 :: v_dual_bitop2_b32 v5, v61, v5 bitop3:0x54
.LBB102_54:                             ;   in Loop: Header=BB102_36 Depth=1
	s_or_b32 exec_lo, exec_lo, s11
	v_dual_lshlrev_b32 v24, 16, v24 :: v_dual_lshlrev_b32 v1, 16, v1
	s_delay_alu instid0(VALU_DEP_2) | instskip(NEXT) | instid1(VALU_DEP_2)
	v_lshlrev_b32_e32 v38, 16, v38
	v_and_or_b32 v2, 0xffff, v2, v24
	s_delay_alu instid0(VALU_DEP_3) | instskip(NEXT) | instid1(VALU_DEP_3)
	v_and_or_b32 v1, 0xffff, v3, v1
	v_and_or_b32 v3, 0xffff, v4, v38
	;;#ASMSTART
	v_pk_mul_f16 v2, v40, v2;

	;;#ASMEND
	;;#ASMSTART
	v_pk_mul_f16 v1, v39, v1;

	;;#ASMEND
	;; [unrolled: 4-line block ×4, first 2 shown]
	;;#ASMSTART
	v_pk_add_f16 v1, v2, v1;

	;;#ASMEND
	;;#ASMSTART
	v_pk_add_f16 v1, v1, v3;

	;;#ASMEND
	;; [unrolled: 4-line block ×3, first 2 shown]
	v_and_b32_e32 v2, 0xffff, v1
	v_lshrrev_b32_e32 v1, 16, v1
	;;#ASMSTART
	v_cvt_f32_f16 v61, v2;
	;;#ASMEND
	;;#ASMSTART
	v_cvt_f32_f16 v62, v1;
	;;#ASMEND
	global_load_b128 v[2:5], v[22:23], off offset:4608
	s_wait_loadcnt 0x0
	v_dual_lshrrev_b32 v1, 16, v3 :: v_dual_lshrrev_b32 v24, 16, v2
	v_lshrrev_b32_e32 v38, 16, v4
	s_and_saveexec_b32 s11, vcc_lo
	s_cbranch_execz .LBB102_56
; %bb.55:                               ;   in Loop: Header=BB102_36 Depth=1
	v_cmp_gt_i32_e64 s0, s21, v28
	v_and_b32_e32 v63, 0xffff, v5
	v_and_b32_e32 v5, 0xffff0000, v5
	s_delay_alu instid0(VALU_DEP_3) | instskip(SKIP_1) | instid1(VALU_DEP_1)
	v_cndmask_b32_e64 v2, 0, v2, s0
	v_cmp_gt_i32_e64 s0, s21, v36
	v_cndmask_b32_e64 v3, 0, v3, s0
	v_cmp_gt_i32_e64 s0, s10, v37
	s_delay_alu instid0(VALU_DEP_1) | instskip(SKIP_1) | instid1(VALU_DEP_1)
	v_cndmask_b32_e64 v1, 0, v1, s0
	v_cmp_gt_i32_e64 s0, s21, v35
	v_cndmask_b32_e64 v24, 0, v24, s0
	v_cmp_gt_i32_e64 s0, s21, v34
	s_delay_alu instid0(VALU_DEP_1) | instskip(SKIP_1) | instid1(VALU_DEP_1)
	;; [unrolled: 5-line block ×3, first 2 shown]
	v_dual_cndmask_b32 v4, 0, v4, s0 :: v_dual_bitop2_b32 v5, v63, v5 bitop3:0x54
	v_cmp_gt_i32_e64 s0, s21, v31
	v_cndmask_b32_e64 v38, 0, v38, s0
.LBB102_56:                             ;   in Loop: Header=BB102_36 Depth=1
	s_or_b32 exec_lo, exec_lo, s11
	v_dual_lshlrev_b32 v24, 16, v24 :: v_dual_lshlrev_b32 v1, 16, v1
	s_delay_alu instid0(VALU_DEP_2) | instskip(NEXT) | instid1(VALU_DEP_2)
	v_lshlrev_b32_e32 v38, 16, v38
	v_and_or_b32 v2, 0xffff, v2, v24
	s_delay_alu instid0(VALU_DEP_3) | instskip(NEXT) | instid1(VALU_DEP_3)
	v_and_or_b32 v1, 0xffff, v3, v1
	v_and_or_b32 v3, 0xffff, v4, v38
	;;#ASMSTART
	v_pk_mul_f16 v2, v40, v2;

	;;#ASMEND
	;;#ASMSTART
	v_pk_mul_f16 v1, v39, v1;

	;;#ASMEND
	;; [unrolled: 4-line block ×4, first 2 shown]
	;;#ASMSTART
	v_pk_add_f16 v1, v2, v1;

	;;#ASMEND
	;;#ASMSTART
	v_pk_add_f16 v1, v1, v3;

	;;#ASMEND
	;; [unrolled: 4-line block ×3, first 2 shown]
	v_and_b32_e32 v2, 0xffff, v1
	v_lshrrev_b32_e32 v1, 16, v1
	;;#ASMSTART
	v_cvt_f32_f16 v63, v2;
	;;#ASMEND
	;;#ASMSTART
	v_cvt_f32_f16 v64, v1;
	;;#ASMEND
	global_load_b128 v[2:5], v[22:23], off offset:5120
	s_wait_loadcnt 0x0
	v_dual_lshrrev_b32 v1, 16, v3 :: v_dual_lshrrev_b32 v24, 16, v2
	v_lshrrev_b32_e32 v38, 16, v4
	s_and_saveexec_b32 s11, vcc_lo
	s_cbranch_execz .LBB102_58
; %bb.57:                               ;   in Loop: Header=BB102_36 Depth=1
	v_cmp_gt_i32_e64 s0, s21, v28
	v_and_b32_e32 v65, 0xffff, v5
	v_and_b32_e32 v5, 0xffff0000, v5
	s_delay_alu instid0(VALU_DEP_3) | instskip(SKIP_1) | instid1(VALU_DEP_1)
	v_cndmask_b32_e64 v2, 0, v2, s0
	v_cmp_gt_i32_e64 s0, s21, v36
	v_cndmask_b32_e64 v3, 0, v3, s0
	v_cmp_gt_i32_e64 s0, s10, v37
	s_delay_alu instid0(VALU_DEP_1) | instskip(SKIP_1) | instid1(VALU_DEP_1)
	v_cndmask_b32_e64 v1, 0, v1, s0
	v_cmp_gt_i32_e64 s0, s21, v35
	v_cndmask_b32_e64 v24, 0, v24, s0
	v_cmp_gt_i32_e64 s0, s21, v34
	s_delay_alu instid0(VALU_DEP_1) | instskip(SKIP_1) | instid1(VALU_DEP_1)
	v_cndmask_b32_e64 v65, 0, v65, s0
	v_cmp_gt_i32_e64 s0, s21, v33
	v_cndmask_b32_e64 v5, 0, v5, s0
	v_cmp_gt_i32_e64 s0, s21, v32
	s_delay_alu instid0(VALU_DEP_1) | instskip(SKIP_1) | instid1(VALU_DEP_1)
	v_cndmask_b32_e64 v4, 0, v4, s0
	v_cmp_gt_i32_e64 s0, s21, v31
	v_dual_cndmask_b32 v38, 0, v38, s0 :: v_dual_bitop2_b32 v5, v65, v5 bitop3:0x54
.LBB102_58:                             ;   in Loop: Header=BB102_36 Depth=1
	s_or_b32 exec_lo, exec_lo, s11
	v_dual_lshlrev_b32 v24, 16, v24 :: v_dual_lshlrev_b32 v1, 16, v1
	s_delay_alu instid0(VALU_DEP_2) | instskip(NEXT) | instid1(VALU_DEP_2)
	v_lshlrev_b32_e32 v38, 16, v38
	v_and_or_b32 v2, 0xffff, v2, v24
	s_delay_alu instid0(VALU_DEP_3) | instskip(NEXT) | instid1(VALU_DEP_3)
	v_and_or_b32 v1, 0xffff, v3, v1
	v_and_or_b32 v3, 0xffff, v4, v38
	;;#ASMSTART
	v_pk_mul_f16 v2, v40, v2;

	;;#ASMEND
	;;#ASMSTART
	v_pk_mul_f16 v1, v39, v1;

	;;#ASMEND
	;; [unrolled: 4-line block ×4, first 2 shown]
	;;#ASMSTART
	v_pk_add_f16 v1, v2, v1;

	;;#ASMEND
	;;#ASMSTART
	v_pk_add_f16 v1, v1, v3;

	;;#ASMEND
	;; [unrolled: 4-line block ×3, first 2 shown]
	v_and_b32_e32 v2, 0xffff, v1
	v_lshrrev_b32_e32 v1, 16, v1
	;;#ASMSTART
	v_cvt_f32_f16 v24, v2;
	;;#ASMEND
	;;#ASMSTART
	v_cvt_f32_f16 v38, v1;
	;;#ASMEND
	global_load_b128 v[2:5], v[22:23], off offset:5632
	s_wait_loadcnt 0x0
	v_dual_lshrrev_b32 v1, 16, v3 :: v_dual_lshrrev_b32 v22, 16, v2
	v_lshrrev_b32_e32 v23, 16, v4
	s_and_saveexec_b32 s0, vcc_lo
	s_cbranch_execz .LBB102_35
; %bb.59:                               ;   in Loop: Header=BB102_36 Depth=1
	v_cmp_gt_i32_e32 vcc_lo, s21, v28
	v_cndmask_b32_e32 v2, 0, v2, vcc_lo
	v_cmp_gt_i32_e32 vcc_lo, s21, v36
	v_and_b32_e32 v36, 0xffff, v5
	v_and_b32_e32 v5, 0xffff0000, v5
	v_cndmask_b32_e32 v3, 0, v3, vcc_lo
	v_cmp_gt_i32_e32 vcc_lo, s10, v37
	v_cndmask_b32_e32 v1, 0, v1, vcc_lo
	v_cmp_gt_i32_e32 vcc_lo, s21, v35
	;; [unrolled: 2-line block ×5, first 2 shown]
	s_delay_alu instid0(VALU_DEP_2)
	v_dual_cndmask_b32 v4, 0, v4, vcc_lo :: v_dual_bitop2_b32 v5, v34, v5 bitop3:0x54
	v_cmp_gt_i32_e32 vcc_lo, s21, v31
	v_cndmask_b32_e32 v23, 0, v23, vcc_lo
	s_branch .LBB102_35
.LBB102_60:
	s_or_b32 exec_lo, exec_lo, s5
.LBB102_61:
	s_delay_alu instid0(SALU_CYCLE_1)
	s_or_b32 exec_lo, exec_lo, s1
	ds_bpermute_b32 v2, v26, v16
	ds_bpermute_b32 v3, v26, v17
	;; [unrolled: 1-line block ×12, first 2 shown]
	v_and_b32_e32 v1, 28, v55
	v_and_b32_e32 v24, 0x3c3, v0
	s_mov_b32 s0, exec_lo
	s_wait_dscnt 0x0
	s_barrier_signal -1
	s_barrier_wait -1
	v_pk_add_f32 v[2:3], v[16:17], v[2:3]
	v_pk_add_f32 v[4:5], v[14:15], v[4:5]
	;; [unrolled: 1-line block ×5, first 2 shown]
	ds_bpermute_b32 v8, v25, v4
	v_pk_add_f32 v[12:13], v[6:7], v[28:29]
	ds_bpermute_b32 v6, v25, v2
	ds_bpermute_b32 v7, v25, v3
	;; [unrolled: 1-line block ×11, first 2 shown]
	s_wait_dscnt 0x9
	v_pk_add_f32 v[10:11], v[2:3], v[6:7]
	s_wait_dscnt 0x8
	v_pk_add_f32 v[8:9], v[4:5], v[8:9]
	;; [unrolled: 2-line block ×5, first 2 shown]
	v_cmpx_ne_u32_e32 64, v24
	s_xor_b32 s0, exec_lo, s0
	s_delay_alu instid0(SALU_CYCLE_1)
	s_or_saveexec_b32 s0, s0
	s_wait_dscnt 0x0
	v_pk_add_f32 v[12:13], v[12:13], v[14:15]
	v_lshrrev_b32_e32 v15, 2, v55
	v_add_nc_u32_e32 v14, 0xe0, v1
	v_mul_u32_u24_e32 v1, 0x180, v54
	s_xor_b32 exec_lo, exec_lo, s0
	s_cbranch_execz .LBB102_63
; %bb.62:
	s_delay_alu instid0(VALU_DEP_1) | instskip(NEXT) | instid1(VALU_DEP_1)
	v_add_nc_u32_e32 v16, v14, v1
	v_add_nc_u32_e32 v17, 0xfffffd00, v16
	;; [unrolled: 1-line block ×13, first 2 shown]
	ds_store_b32 v17, v10
	ds_store_b32 v18, v11
	;; [unrolled: 1-line block ×12, first 2 shown]
.LBB102_63:
	s_or_b32 exec_lo, exec_lo, s0
	v_lshlrev_b32_e32 v15, 2, v15
	s_mov_b32 s1, exec_lo
	v_cmp_eq_u32_e32 vcc_lo, 0, v27
	s_wait_dscnt 0x0
	s_barrier_signal -1
	v_add3_u32 v1, 0xe0, v1, v15
	s_barrier_wait -1
	v_cmpx_gt_u32_e32 64, v0
	s_cbranch_execz .LBB102_78
; %bb.64:
	s_and_saveexec_b32 s0, vcc_lo
	s_cbranch_execnz .LBB102_98
; %bb.65:
	s_or_b32 exec_lo, exec_lo, s0
	s_and_saveexec_b32 s0, vcc_lo
	s_cbranch_execnz .LBB102_99
.LBB102_66:
	s_or_b32 exec_lo, exec_lo, s0
	s_and_saveexec_b32 s0, vcc_lo
	s_cbranch_execnz .LBB102_100
.LBB102_67:
	s_or_b32 exec_lo, exec_lo, s0
	s_and_saveexec_b32 s0, vcc_lo
	s_cbranch_execnz .LBB102_101
.LBB102_68:
	s_or_b32 exec_lo, exec_lo, s0
	s_and_saveexec_b32 s0, vcc_lo
	s_cbranch_execnz .LBB102_102
.LBB102_69:
	s_or_b32 exec_lo, exec_lo, s0
	s_and_saveexec_b32 s0, vcc_lo
	s_cbranch_execnz .LBB102_103
.LBB102_70:
	s_or_b32 exec_lo, exec_lo, s0
	s_and_saveexec_b32 s0, vcc_lo
	s_cbranch_execnz .LBB102_104
.LBB102_71:
	s_or_b32 exec_lo, exec_lo, s0
	s_and_saveexec_b32 s0, vcc_lo
	s_cbranch_execnz .LBB102_105
.LBB102_72:
	s_or_b32 exec_lo, exec_lo, s0
	s_and_saveexec_b32 s0, vcc_lo
	s_cbranch_execnz .LBB102_106
.LBB102_73:
	s_or_b32 exec_lo, exec_lo, s0
	s_and_saveexec_b32 s0, vcc_lo
	s_cbranch_execnz .LBB102_107
.LBB102_74:
	s_or_b32 exec_lo, exec_lo, s0
	s_and_saveexec_b32 s0, vcc_lo
	s_cbranch_execnz .LBB102_108
.LBB102_75:
	s_or_b32 exec_lo, exec_lo, s0
	s_and_saveexec_b32 s0, vcc_lo
	s_cbranch_execz .LBB102_77
.LBB102_76:
	ds_load_b32 v15, v1 offset:352
	s_wait_dscnt 0x0
	v_add_f32_e32 v13, v13, v15
.LBB102_77:
	s_or_b32 exec_lo, exec_lo, s0
.LBB102_78:
	s_delay_alu instid0(SALU_CYCLE_1) | instskip(SKIP_4) | instid1(VALU_DEP_1)
	s_or_b32 exec_lo, exec_lo, s1
	v_and_b32_e32 v15, 0x3e3, v0
	s_mov_b32 s1, exec_lo
	s_barrier_signal -1
	s_barrier_wait -1
	v_cmpx_eq_u32_e32 32, v15
	s_cbranch_execz .LBB102_80
; %bb.79:
	ds_store_2addr_b32 v14, v10, v11 offset1:8
	ds_store_2addr_b32 v14, v8, v9 offset0:16 offset1:24
	ds_store_2addr_b32 v14, v6, v7 offset0:32 offset1:40
	;; [unrolled: 1-line block ×5, first 2 shown]
.LBB102_80:
	s_or_b32 exec_lo, exec_lo, s1
	s_delay_alu instid0(SALU_CYCLE_1)
	s_mov_b32 s1, exec_lo
	s_wait_dscnt 0x0
	s_barrier_signal -1
	s_barrier_wait -1
	v_cmpx_gt_u32_e32 32, v0
	s_cbranch_execz .LBB102_95
; %bb.81:
	s_and_saveexec_b32 s0, vcc_lo
	s_cbranch_execnz .LBB102_109
; %bb.82:
	s_or_b32 exec_lo, exec_lo, s0
	s_and_saveexec_b32 s0, vcc_lo
	s_cbranch_execnz .LBB102_110
.LBB102_83:
	s_or_b32 exec_lo, exec_lo, s0
	s_and_saveexec_b32 s0, vcc_lo
	s_cbranch_execnz .LBB102_111
.LBB102_84:
	s_or_b32 exec_lo, exec_lo, s0
	s_and_saveexec_b32 s0, vcc_lo
	s_cbranch_execnz .LBB102_112
.LBB102_85:
	s_or_b32 exec_lo, exec_lo, s0
	s_and_saveexec_b32 s0, vcc_lo
	s_cbranch_execnz .LBB102_113
.LBB102_86:
	s_or_b32 exec_lo, exec_lo, s0
	s_and_saveexec_b32 s0, vcc_lo
	s_cbranch_execnz .LBB102_114
.LBB102_87:
	s_or_b32 exec_lo, exec_lo, s0
	s_and_saveexec_b32 s0, vcc_lo
	s_cbranch_execnz .LBB102_115
.LBB102_88:
	s_or_b32 exec_lo, exec_lo, s0
	s_and_saveexec_b32 s0, vcc_lo
	s_cbranch_execnz .LBB102_116
.LBB102_89:
	s_or_b32 exec_lo, exec_lo, s0
	s_and_saveexec_b32 s0, vcc_lo
	s_cbranch_execnz .LBB102_117
.LBB102_90:
	s_or_b32 exec_lo, exec_lo, s0
	s_and_saveexec_b32 s0, vcc_lo
	s_cbranch_execnz .LBB102_118
.LBB102_91:
	s_or_b32 exec_lo, exec_lo, s0
	s_and_saveexec_b32 s0, vcc_lo
	s_cbranch_execnz .LBB102_119
.LBB102_92:
	s_or_b32 exec_lo, exec_lo, s0
	s_and_saveexec_b32 s0, vcc_lo
	s_cbranch_execz .LBB102_94
.LBB102_93:
	ds_load_b32 v1, v1 offset:352
	s_wait_dscnt 0x0
	v_add_f32_e32 v13, v13, v1
.LBB102_94:
	s_or_b32 exec_lo, exec_lo, s0
.LBB102_95:
	s_delay_alu instid0(SALU_CYCLE_1)
	s_or_b32 exec_lo, exec_lo, s1
	s_mov_b32 s1, 0
	s_barrier_signal -1
	s_barrier_wait -1
	s_mov_b32 s0, exec_lo
	v_cmpx_eq_u32_e32 0, v15
	s_cbranch_execz .LBB102_97
; %bb.96:
	s_mul_i32 s0, s20, s9
	s_mul_i32 s2, s9, s8
	;; [unrolled: 1-line block ×3, first 2 shown]
	s_lshr_b32 s8, ttmp7, 16
	s_mul_i32 s4, s0, 0x60
	s_bfe_u32 s0, ttmp6, 0x40014
	s_ashr_i32 s5, s4, 31
	s_add_co_i32 s0, s0, 1
	s_lshl_b64 s[4:5], s[4:5], 1
	s_ashr_i32 s3, s2, 31
	s_wait_kmcnt 0x0
	s_add_nc_u64 s[4:5], s[6:7], s[4:5]
	s_mul_i32 s0, s8, s0
	s_bfe_u32 s6, ttmp6, 0x40008
	s_lshl_b64 s[2:3], s[2:3], 1
	s_add_co_i32 s6, s6, s0
	s_cmp_eq_u32 s18, 0
	v_lshrrev_b32_e32 v0, 1, v0
	s_cselect_b32 s0, s8, s6
	s_add_nc_u64 s[2:3], s[4:5], s[2:3]
	s_mulk_i32 s0, 0xc0
	;;#ASMSTART
	v_cvt_f16_f32 v1, v10;

	;;#ASMEND
	s_add_nc_u64 s[0:1], s[2:3], s[0:1]
	global_store_b16 v0, v1, s[0:1]
	s_wait_xcnt 0x0
	;;#ASMSTART
	v_cvt_f16_f32 v1, v11;

	;;#ASMEND
	global_store_b16 v0, v1, s[0:1] offset:16
	s_wait_xcnt 0x0
	;;#ASMSTART
	v_cvt_f16_f32 v1, v8;

	;;#ASMEND
	global_store_b16 v0, v1, s[0:1] offset:32
	;; [unrolled: 6-line block ×11, first 2 shown]
.LBB102_97:
	s_sendmsg sendmsg(MSG_DEALLOC_VGPRS)
	s_endpgm
.LBB102_98:
	ds_load_b32 v15, v1
	s_wait_dscnt 0x0
	v_add_f32_e32 v10, v10, v15
	s_or_b32 exec_lo, exec_lo, s0
	s_and_saveexec_b32 s0, vcc_lo
	s_cbranch_execz .LBB102_66
.LBB102_99:
	ds_load_b32 v15, v1 offset:32
	s_wait_dscnt 0x0
	v_add_f32_e32 v11, v11, v15
	s_or_b32 exec_lo, exec_lo, s0
	s_and_saveexec_b32 s0, vcc_lo
	s_cbranch_execz .LBB102_67
.LBB102_100:
	ds_load_b32 v15, v1 offset:64
	s_wait_dscnt 0x0
	v_add_f32_e32 v8, v8, v15
	s_or_b32 exec_lo, exec_lo, s0
	s_and_saveexec_b32 s0, vcc_lo
	s_cbranch_execz .LBB102_68
.LBB102_101:
	ds_load_b32 v15, v1 offset:96
	s_wait_dscnt 0x0
	v_add_f32_e32 v9, v9, v15
	s_or_b32 exec_lo, exec_lo, s0
	s_and_saveexec_b32 s0, vcc_lo
	s_cbranch_execz .LBB102_69
.LBB102_102:
	ds_load_b32 v15, v1 offset:128
	s_wait_dscnt 0x0
	v_add_f32_e32 v6, v6, v15
	s_or_b32 exec_lo, exec_lo, s0
	s_and_saveexec_b32 s0, vcc_lo
	s_cbranch_execz .LBB102_70
.LBB102_103:
	ds_load_b32 v15, v1 offset:160
	s_wait_dscnt 0x0
	v_add_f32_e32 v7, v7, v15
	s_or_b32 exec_lo, exec_lo, s0
	s_and_saveexec_b32 s0, vcc_lo
	s_cbranch_execz .LBB102_71
.LBB102_104:
	ds_load_b32 v15, v1 offset:192
	s_wait_dscnt 0x0
	v_add_f32_e32 v4, v4, v15
	s_or_b32 exec_lo, exec_lo, s0
	s_and_saveexec_b32 s0, vcc_lo
	s_cbranch_execz .LBB102_72
.LBB102_105:
	ds_load_b32 v15, v1 offset:224
	s_wait_dscnt 0x0
	v_add_f32_e32 v5, v5, v15
	s_or_b32 exec_lo, exec_lo, s0
	s_and_saveexec_b32 s0, vcc_lo
	s_cbranch_execz .LBB102_73
.LBB102_106:
	ds_load_b32 v15, v1 offset:256
	s_wait_dscnt 0x0
	v_add_f32_e32 v2, v2, v15
	s_or_b32 exec_lo, exec_lo, s0
	s_and_saveexec_b32 s0, vcc_lo
	s_cbranch_execz .LBB102_74
.LBB102_107:
	ds_load_b32 v15, v1 offset:288
	s_wait_dscnt 0x0
	v_add_f32_e32 v3, v3, v15
	s_or_b32 exec_lo, exec_lo, s0
	s_and_saveexec_b32 s0, vcc_lo
	s_cbranch_execz .LBB102_75
.LBB102_108:
	ds_load_b32 v15, v1 offset:320
	s_wait_dscnt 0x0
	v_add_f32_e32 v12, v12, v15
	s_or_b32 exec_lo, exec_lo, s0
	s_and_saveexec_b32 s0, vcc_lo
	s_cbranch_execnz .LBB102_76
	s_branch .LBB102_77
.LBB102_109:
	ds_load_b32 v14, v1
	s_wait_dscnt 0x0
	v_add_f32_e32 v10, v10, v14
	s_or_b32 exec_lo, exec_lo, s0
	s_and_saveexec_b32 s0, vcc_lo
	s_cbranch_execz .LBB102_83
.LBB102_110:
	ds_load_b32 v14, v1 offset:32
	s_wait_dscnt 0x0
	v_add_f32_e32 v11, v11, v14
	s_or_b32 exec_lo, exec_lo, s0
	s_and_saveexec_b32 s0, vcc_lo
	s_cbranch_execz .LBB102_84
.LBB102_111:
	ds_load_b32 v14, v1 offset:64
	s_wait_dscnt 0x0
	v_add_f32_e32 v8, v8, v14
	s_or_b32 exec_lo, exec_lo, s0
	s_and_saveexec_b32 s0, vcc_lo
	s_cbranch_execz .LBB102_85
.LBB102_112:
	ds_load_b32 v14, v1 offset:96
	s_wait_dscnt 0x0
	v_add_f32_e32 v9, v9, v14
	s_or_b32 exec_lo, exec_lo, s0
	s_and_saveexec_b32 s0, vcc_lo
	s_cbranch_execz .LBB102_86
.LBB102_113:
	ds_load_b32 v14, v1 offset:128
	s_wait_dscnt 0x0
	v_add_f32_e32 v6, v6, v14
	s_or_b32 exec_lo, exec_lo, s0
	s_and_saveexec_b32 s0, vcc_lo
	s_cbranch_execz .LBB102_87
.LBB102_114:
	ds_load_b32 v14, v1 offset:160
	s_wait_dscnt 0x0
	v_add_f32_e32 v7, v7, v14
	s_or_b32 exec_lo, exec_lo, s0
	s_and_saveexec_b32 s0, vcc_lo
	s_cbranch_execz .LBB102_88
.LBB102_115:
	ds_load_b32 v14, v1 offset:192
	s_wait_dscnt 0x0
	v_add_f32_e32 v4, v4, v14
	s_or_b32 exec_lo, exec_lo, s0
	s_and_saveexec_b32 s0, vcc_lo
	s_cbranch_execz .LBB102_89
.LBB102_116:
	ds_load_b32 v14, v1 offset:224
	s_wait_dscnt 0x0
	v_add_f32_e32 v5, v5, v14
	s_or_b32 exec_lo, exec_lo, s0
	s_and_saveexec_b32 s0, vcc_lo
	s_cbranch_execz .LBB102_90
.LBB102_117:
	ds_load_b32 v14, v1 offset:256
	s_wait_dscnt 0x0
	v_add_f32_e32 v2, v2, v14
	s_or_b32 exec_lo, exec_lo, s0
	s_and_saveexec_b32 s0, vcc_lo
	s_cbranch_execz .LBB102_91
.LBB102_118:
	ds_load_b32 v14, v1 offset:288
	s_wait_dscnt 0x0
	v_add_f32_e32 v3, v3, v14
	s_or_b32 exec_lo, exec_lo, s0
	s_and_saveexec_b32 s0, vcc_lo
	s_cbranch_execz .LBB102_92
.LBB102_119:
	ds_load_b32 v14, v1 offset:320
	s_wait_dscnt 0x0
	v_add_f32_e32 v12, v12, v14
	s_or_b32 exec_lo, exec_lo, s0
	s_and_saveexec_b32 s0, vcc_lo
	s_cbranch_execnz .LBB102_93
	s_branch .LBB102_94
	.section	.rodata,"a",@progbits
	.p2align	6, 0x0
	.amdhsa_kernel _ZN4vllm25paged_attention_v1_kernelIttLi96ELi32ELi128ELNS_18Fp8KVCacheDataTypeE0ELb0EEEvPT_PKS2_PKT0_S8_ifPKiSA_iPKfiiiSC_SC_iiiii
		.amdhsa_group_segment_fixed_size 224
		.amdhsa_private_segment_fixed_size 0
		.amdhsa_kernarg_size 384
		.amdhsa_user_sgpr_count 2
		.amdhsa_user_sgpr_dispatch_ptr 0
		.amdhsa_user_sgpr_queue_ptr 0
		.amdhsa_user_sgpr_kernarg_segment_ptr 1
		.amdhsa_user_sgpr_dispatch_id 0
		.amdhsa_user_sgpr_kernarg_preload_length 0
		.amdhsa_user_sgpr_kernarg_preload_offset 0
		.amdhsa_user_sgpr_private_segment_size 0
		.amdhsa_wavefront_size32 1
		.amdhsa_uses_dynamic_stack 0
		.amdhsa_enable_private_segment 0
		.amdhsa_system_sgpr_workgroup_id_x 1
		.amdhsa_system_sgpr_workgroup_id_y 1
		.amdhsa_system_sgpr_workgroup_id_z 1
		.amdhsa_system_sgpr_workgroup_info 0
		.amdhsa_system_vgpr_workitem_id 0
		.amdhsa_next_free_vgpr 108
		.amdhsa_next_free_sgpr 28
		.amdhsa_named_barrier_count 0
		.amdhsa_reserve_vcc 1
		.amdhsa_float_round_mode_32 0
		.amdhsa_float_round_mode_16_64 0
		.amdhsa_float_denorm_mode_32 3
		.amdhsa_float_denorm_mode_16_64 3
		.amdhsa_fp16_overflow 0
		.amdhsa_memory_ordered 1
		.amdhsa_forward_progress 1
		.amdhsa_inst_pref_size 81
		.amdhsa_round_robin_scheduling 0
		.amdhsa_exception_fp_ieee_invalid_op 0
		.amdhsa_exception_fp_denorm_src 0
		.amdhsa_exception_fp_ieee_div_zero 0
		.amdhsa_exception_fp_ieee_overflow 0
		.amdhsa_exception_fp_ieee_underflow 0
		.amdhsa_exception_fp_ieee_inexact 0
		.amdhsa_exception_int_div_zero 0
	.end_amdhsa_kernel
	.section	.text._ZN4vllm25paged_attention_v1_kernelIttLi96ELi32ELi128ELNS_18Fp8KVCacheDataTypeE0ELb0EEEvPT_PKS2_PKT0_S8_ifPKiSA_iPKfiiiSC_SC_iiiii,"axG",@progbits,_ZN4vllm25paged_attention_v1_kernelIttLi96ELi32ELi128ELNS_18Fp8KVCacheDataTypeE0ELb0EEEvPT_PKS2_PKT0_S8_ifPKiSA_iPKfiiiSC_SC_iiiii,comdat
.Lfunc_end102:
	.size	_ZN4vllm25paged_attention_v1_kernelIttLi96ELi32ELi128ELNS_18Fp8KVCacheDataTypeE0ELb0EEEvPT_PKS2_PKT0_S8_ifPKiSA_iPKfiiiSC_SC_iiiii, .Lfunc_end102-_ZN4vllm25paged_attention_v1_kernelIttLi96ELi32ELi128ELNS_18Fp8KVCacheDataTypeE0ELb0EEEvPT_PKS2_PKT0_S8_ifPKiSA_iPKfiiiSC_SC_iiiii
                                        ; -- End function
	.set _ZN4vllm25paged_attention_v1_kernelIttLi96ELi32ELi128ELNS_18Fp8KVCacheDataTypeE0ELb0EEEvPT_PKS2_PKT0_S8_ifPKiSA_iPKfiiiSC_SC_iiiii.num_vgpr, 108
	.set _ZN4vllm25paged_attention_v1_kernelIttLi96ELi32ELi128ELNS_18Fp8KVCacheDataTypeE0ELb0EEEvPT_PKS2_PKT0_S8_ifPKiSA_iPKfiiiSC_SC_iiiii.num_agpr, 0
	.set _ZN4vllm25paged_attention_v1_kernelIttLi96ELi32ELi128ELNS_18Fp8KVCacheDataTypeE0ELb0EEEvPT_PKS2_PKT0_S8_ifPKiSA_iPKfiiiSC_SC_iiiii.numbered_sgpr, 28
	.set _ZN4vllm25paged_attention_v1_kernelIttLi96ELi32ELi128ELNS_18Fp8KVCacheDataTypeE0ELb0EEEvPT_PKS2_PKT0_S8_ifPKiSA_iPKfiiiSC_SC_iiiii.num_named_barrier, 0
	.set _ZN4vllm25paged_attention_v1_kernelIttLi96ELi32ELi128ELNS_18Fp8KVCacheDataTypeE0ELb0EEEvPT_PKS2_PKT0_S8_ifPKiSA_iPKfiiiSC_SC_iiiii.private_seg_size, 0
	.set _ZN4vllm25paged_attention_v1_kernelIttLi96ELi32ELi128ELNS_18Fp8KVCacheDataTypeE0ELb0EEEvPT_PKS2_PKT0_S8_ifPKiSA_iPKfiiiSC_SC_iiiii.uses_vcc, 1
	.set _ZN4vllm25paged_attention_v1_kernelIttLi96ELi32ELi128ELNS_18Fp8KVCacheDataTypeE0ELb0EEEvPT_PKS2_PKT0_S8_ifPKiSA_iPKfiiiSC_SC_iiiii.uses_flat_scratch, 0
	.set _ZN4vllm25paged_attention_v1_kernelIttLi96ELi32ELi128ELNS_18Fp8KVCacheDataTypeE0ELb0EEEvPT_PKS2_PKT0_S8_ifPKiSA_iPKfiiiSC_SC_iiiii.has_dyn_sized_stack, 0
	.set _ZN4vllm25paged_attention_v1_kernelIttLi96ELi32ELi128ELNS_18Fp8KVCacheDataTypeE0ELb0EEEvPT_PKS2_PKT0_S8_ifPKiSA_iPKfiiiSC_SC_iiiii.has_recursion, 0
	.set _ZN4vllm25paged_attention_v1_kernelIttLi96ELi32ELi128ELNS_18Fp8KVCacheDataTypeE0ELb0EEEvPT_PKS2_PKT0_S8_ifPKiSA_iPKfiiiSC_SC_iiiii.has_indirect_call, 0
	.section	.AMDGPU.csdata,"",@progbits
; Kernel info:
; codeLenInByte = 10364
; TotalNumSgprs: 30
; NumVgprs: 108
; ScratchSize: 0
; MemoryBound: 0
; FloatMode: 240
; IeeeMode: 1
; LDSByteSize: 224 bytes/workgroup (compile time only)
; SGPRBlocks: 0
; VGPRBlocks: 6
; NumSGPRsForWavesPerEU: 30
; NumVGPRsForWavesPerEU: 108
; NamedBarCnt: 0
; Occupancy: 9
; WaveLimiterHint : 1
; COMPUTE_PGM_RSRC2:SCRATCH_EN: 0
; COMPUTE_PGM_RSRC2:USER_SGPR: 2
; COMPUTE_PGM_RSRC2:TRAP_HANDLER: 0
; COMPUTE_PGM_RSRC2:TGID_X_EN: 1
; COMPUTE_PGM_RSRC2:TGID_Y_EN: 1
; COMPUTE_PGM_RSRC2:TGID_Z_EN: 1
; COMPUTE_PGM_RSRC2:TIDIG_COMP_CNT: 0
	.section	.text._ZN4vllm25paged_attention_v1_kernelIttLi112ELi32ELi128ELNS_18Fp8KVCacheDataTypeE0ELb0EEEvPT_PKS2_PKT0_S8_ifPKiSA_iPKfiiiSC_SC_iiiii,"axG",@progbits,_ZN4vllm25paged_attention_v1_kernelIttLi112ELi32ELi128ELNS_18Fp8KVCacheDataTypeE0ELb0EEEvPT_PKS2_PKT0_S8_ifPKiSA_iPKfiiiSC_SC_iiiii,comdat
	.protected	_ZN4vllm25paged_attention_v1_kernelIttLi112ELi32ELi128ELNS_18Fp8KVCacheDataTypeE0ELb0EEEvPT_PKS2_PKT0_S8_ifPKiSA_iPKfiiiSC_SC_iiiii ; -- Begin function _ZN4vllm25paged_attention_v1_kernelIttLi112ELi32ELi128ELNS_18Fp8KVCacheDataTypeE0ELb0EEEvPT_PKS2_PKT0_S8_ifPKiSA_iPKfiiiSC_SC_iiiii
	.globl	_ZN4vllm25paged_attention_v1_kernelIttLi112ELi32ELi128ELNS_18Fp8KVCacheDataTypeE0ELb0EEEvPT_PKS2_PKT0_S8_ifPKiSA_iPKfiiiSC_SC_iiiii
	.p2align	8
	.type	_ZN4vllm25paged_attention_v1_kernelIttLi112ELi32ELi128ELNS_18Fp8KVCacheDataTypeE0ELb0EEEvPT_PKS2_PKT0_S8_ifPKiSA_iPKfiiiSC_SC_iiiii,@function
_ZN4vllm25paged_attention_v1_kernelIttLi112ELi32ELi128ELNS_18Fp8KVCacheDataTypeE0ELb0EEEvPT_PKS2_PKT0_S8_ifPKiSA_iPKfiiiSC_SC_iiiii: ; @_ZN4vllm25paged_attention_v1_kernelIttLi112ELi32ELi128ELNS_18Fp8KVCacheDataTypeE0ELb0EEEvPT_PKS2_PKT0_S8_ifPKiSA_iPKfiiiSC_SC_iiiii
; %bb.0:
	s_load_b64 s[6:7], s[0:1], 0x20
	s_bfe_u32 s3, ttmp6, 0x4000c
	s_bfe_u32 s5, ttmp6, 0x40010
	s_and_b32 s4, ttmp7, 0xffff
	s_add_co_i32 s3, s3, 1
	s_add_co_i32 s5, s5, 1
	s_and_b32 s2, ttmp6, 15
	s_bfe_u32 s8, ttmp6, 0x40004
	s_mul_i32 s3, ttmp9, s3
	s_mul_i32 s5, s4, s5
	s_getreg_b32 s18, hwreg(HW_REG_IB_STS2, 6, 4)
	s_add_co_i32 s2, s2, s3
	s_add_co_i32 s8, s8, s5
	s_cmp_eq_u32 s18, 0
	s_clause 0x1
	s_load_b32 s19, s[0:1], 0x80
	s_load_b64 s[10:11], s[0:1], 0x30
	s_cselect_b32 s20, s4, s8
	s_cselect_b32 s8, ttmp9, s2
	s_wait_kmcnt 0x0
	s_abs_i32 s2, s6
	s_delay_alu instid0(SALU_CYCLE_1) | instskip(SKIP_1) | instid1(SALU_CYCLE_2)
	s_cvt_f32_u32 s3, s2
	s_sub_co_i32 s4, 0, s2
	v_rcp_iflag_f32_e32 v1, s3
	s_abs_i32 s5, s19
	v_nop
	s_delay_alu instid0(TRANS32_DEP_1) | instskip(SKIP_1) | instid1(SALU_CYCLE_3)
	v_readfirstlane_b32 s3, v1
	s_mul_f32 s3, s3, 0x4f7ffffe
	s_cvt_u32_f32 s3, s3
	s_delay_alu instid0(SALU_CYCLE_3) | instskip(NEXT) | instid1(SALU_CYCLE_1)
	s_mul_i32 s4, s4, s3
	s_mul_hi_u32 s4, s3, s4
	s_delay_alu instid0(SALU_CYCLE_1) | instskip(SKIP_4) | instid1(SALU_CYCLE_1)
	s_add_co_i32 s3, s3, s4
	s_xor_b32 s4, s19, s6
	s_mul_hi_u32 s3, s5, s3
	s_ashr_i32 s4, s4, 31
	s_mul_i32 s6, s3, s2
	s_sub_co_i32 s5, s5, s6
	s_add_co_i32 s6, s3, 1
	s_sub_co_i32 s9, s5, s2
	s_cmp_ge_u32 s5, s2
	s_cselect_b32 s3, s6, s3
	s_cselect_b32 s5, s9, s5
	s_add_co_i32 s6, s3, 1
	s_cmp_ge_u32 s5, s2
	s_cselect_b32 s2, s6, s3
	s_mov_b32 s3, 0
	s_xor_b32 s2, s2, s4
	s_mov_b32 s13, s3
	s_sub_co_i32 s15, s2, s4
	s_load_b64 s[4:5], s[0:1], 0x40
	s_abs_i32 s14, s15
	s_mov_b32 s23, s3
	s_cvt_f32_u32 s2, s14
	s_delay_alu instid0(SALU_CYCLE_3) | instskip(SKIP_1) | instid1(TRANS32_DEP_1)
	v_rcp_iflag_f32_e32 v1, s2
	v_nop
	v_readfirstlane_b32 s2, v1
	s_mul_f32 s2, s2, 0x4f7ffffe
	s_delay_alu instid0(SALU_CYCLE_3) | instskip(SKIP_1) | instid1(SALU_CYCLE_2)
	s_cvt_u32_f32 s6, s2
	s_sub_co_i32 s2, 0, s14
	s_mul_i32 s2, s2, s6
	s_delay_alu instid0(SALU_CYCLE_1)
	s_mul_hi_u32 s9, s6, s2
	s_abs_i32 s2, s8
	s_add_co_i32 s12, s6, s9
	s_wait_kmcnt 0x0
	s_cmp_eq_u64 s[4:5], 0
	s_cbranch_scc1 .LBB103_2
; %bb.1:
	s_ashr_i32 s9, s8, 31
	s_delay_alu instid0(SALU_CYCLE_1) | instskip(NEXT) | instid1(SALU_CYCLE_1)
	s_lshl_b64 s[16:17], s[8:9], 2
	s_add_nc_u64 s[4:5], s[4:5], s[16:17]
	s_load_b32 s23, s[4:5], 0x0
.LBB103_2:
	s_load_b32 s21, s[10:11], s20 offset:0x0 scale_offset
	s_wait_xcnt 0x0
	s_load_b96 s[4:6], s[0:1], 0x48
	v_lshlrev_b32_e32 v1, 4, v0
	s_ashr_i32 s10, s8, 31
	s_ashr_i32 s11, s15, 31
	s_mul_u64 s[12:13], s[2:3], s[12:13]
	s_mulk_i32 s8, 0x70
	s_mov_b32 s3, exec_lo
	v_cmpx_gt_u32_e32 14, v0
	s_cbranch_execz .LBB103_4
; %bb.3:
	s_load_b64 s[16:17], s[0:1], 0x8
	s_wait_kmcnt 0x0
	s_mul_i32 s24, s4, s20
	s_ashr_i32 s9, s8, 31
	s_ashr_i32 s25, s24, 31
	s_delay_alu instid0(SALU_CYCLE_1) | instskip(NEXT) | instid1(SALU_CYCLE_1)
	s_lshl_b64 s[24:25], s[24:25], 1
	s_add_nc_u64 s[16:17], s[16:17], s[24:25]
	s_lshl_b64 s[24:25], s[8:9], 1
	s_delay_alu instid0(SALU_CYCLE_1)
	s_add_nc_u64 s[16:17], s[16:17], s[24:25]
	global_load_b128 v[2:5], v0, s[16:17] scale_offset
	s_wait_loadcnt 0x0
	ds_store_b128 v1, v[2:5]
.LBB103_4:
	s_or_b32 exec_lo, exec_lo, s3
	s_wait_kmcnt 0x0
	s_add_co_i32 s3, s21, 31
	s_load_b32 s4, s[0:1], 0x38
	s_ashr_i32 s9, s3, 31
	s_xor_b32 s12, s10, s11
	s_lshr_b32 s9, s9, 27
	s_mul_i32 s10, s13, s14
	s_add_co_i32 s3, s3, s9
	s_sub_co_i32 s2, s2, s10
	s_clause 0x1
	s_load_b64 s[10:11], s[0:1], 0x28
	s_load_b32 s9, s[0:1], 0x88
	s_ashr_i32 s22, s3, 5
	s_add_co_i32 s3, s13, 1
	s_sub_co_i32 s15, s2, s14
	s_cmp_ge_u32 s2, s14
	v_dual_lshrrev_b32 v70, 5, v0 :: v_dual_bitop2_b32 v71, 31, v0 bitop3:0x40
	s_cselect_b32 s3, s3, s13
	s_cselect_b32 s2, s15, s2
	s_add_co_i32 s13, s3, 1
	s_cmp_ge_u32 s2, s14
	v_dual_mov_b32 v54, 0xff7fffff :: v_dual_lshlrev_b32 v73, 2, v71
	s_cselect_b32 s2, s13, s3
	v_lshrrev_b32_e32 v72, 3, v0
	s_xor_b32 s2, s2, s12
	s_wait_dscnt 0x0
	s_sub_co_i32 s3, s2, s12
	v_cmp_gt_i32_e64 s2, s22, v70
	s_wait_kmcnt 0x0
	s_mul_i32 s12, s4, s20
	s_mul_i32 s14, s3, s6
	s_ashr_i32 s13, s12, 31
	s_barrier_signal -1
	s_barrier_wait -1
	s_and_saveexec_b32 s6, s2
	s_cbranch_execz .LBB103_8
; %bb.5:
	s_load_b64 s[24:25], s[0:1], 0x10
	s_ashr_i32 s15, s14, 31
	v_dual_mov_b32 v55, 0 :: v_dual_lshlrev_b32 v54, 4, v71
	s_ashr_i32 s17, s5, 31
	s_lshl_b64 s[26:27], s[14:15], 1
	s_cmp_neq_f32 s23, 0
	v_lshl_or_b32 v2, v70, 7, v73
	v_lshl_or_b32 v74, v70, 5, v71
	v_mov_b32_e32 v76, v70
	s_cselect_b32 vcc_lo, -1, 0
	s_mov_b32 s16, s5
	v_add_nc_u32_e32 v75, 0x100, v2
	s_mov_b32 s15, 0
	s_wait_kmcnt 0x0
	s_add_nc_u64 s[24:25], s[24:25], s[26:27]
	s_delay_alu instid0(SALU_CYCLE_1) | instskip(SKIP_2) | instid1(SALU_CYCLE_1)
	v_add_nc_u64_e32 v[56:57], s[24:25], v[54:55]
	v_and_b32_e32 v54, 0x7c, v72
	s_lshl_b64 s[24:25], s[12:13], 2
	s_add_nc_u64 s[24:25], s[10:11], s[24:25]
	s_delay_alu instid0(VALU_DEP_1) | instid1(SALU_CYCLE_1)
	v_add_nc_u64_e32 v[58:59], s[24:25], v[54:55]
	v_mov_b32_e32 v54, 0xff7fffff
	s_sub_co_i32 s24, 1, s21
.LBB103_6:                              ; =>This Inner Loop Header: Depth=1
	global_load_b32 v6, v[58:59], off
	ds_load_b128 v[2:5], v55
	v_cmp_gt_i32_e64 s3, s21, v74
	s_wait_xcnt 0x0
	v_add_nc_u64_e32 v[58:59], 16, v[58:59]
	v_add_nc_u32_e32 v76, 4, v76
	s_delay_alu instid0(VALU_DEP_1)
	v_cmp_le_i32_e64 s4, s22, v76
	s_or_b32 s15, s4, s15
	s_wait_dscnt 0x0
	v_dual_lshrrev_b32 v61, 16, v2 :: v_dual_lshrrev_b32 v62, 16, v3
	v_and_b32_e32 v60, 0xffff, v2
	v_and_b32_e32 v63, 0xffff, v3
	v_dual_lshrrev_b32 v64, 16, v4 :: v_dual_lshrrev_b32 v85, 16, v5
	v_and_b32_e32 v65, 0xffff, v4
	v_and_b32_e32 v86, 0xffff, v5
	s_wait_loadcnt 0x0
	v_ashrrev_i32_e32 v7, 31, v6
	s_delay_alu instid0(VALU_DEP_1) | instskip(NEXT) | instid1(VALU_DEP_1)
	v_mul_u64_e32 v[2:3], s[16:17], v[6:7]
	v_lshl_add_u64 v[2:3], v[2:3], 1, v[56:57]
	s_clause 0xd
	global_load_b128 v[78:81], v[2:3], off
	global_load_b128 v[50:53], v[2:3], off offset:512
	global_load_b128 v[46:49], v[2:3], off offset:1024
	;; [unrolled: 1-line block ×13, first 2 shown]
	;;#ASMSTART
	v_cvt_f32_f16 v60, v60;
	;;#ASMEND
	;;#ASMSTART
	v_cvt_f32_f16 v61, v61;
	;;#ASMEND
	s_wait_loadcnt 0xd
	v_dual_lshrrev_b32 v66, 16, v78 :: v_dual_lshrrev_b32 v88, 16, v80
	v_and_b32_e32 v67, 0xffff, v78
	v_lshrrev_b32_e32 v68, 16, v79
	v_and_b32_e32 v69, 0xffff, v79
	v_and_b32_e32 v90, 0xffff, v80
	s_wait_loadcnt 0xc
	v_dual_lshrrev_b32 v87, 16, v81 :: v_dual_lshrrev_b32 v92, 16, v50
	v_and_b32_e32 v89, 0xffff, v81
	v_and_b32_e32 v91, 0xffff, v50
	;; [unrolled: 1-line block ×3, first 2 shown]
	v_dual_lshrrev_b32 v84, 16, v51 :: v_dual_lshrrev_b32 v82, 16, v52
	v_and_b32_e32 v81, 0xffff, v52
	s_wait_loadcnt 0xb
	v_dual_lshrrev_b32 v77, 16, v53 :: v_dual_lshrrev_b32 v80, 16, v46
	v_and_b32_e32 v78, 0xffff, v53
	v_and_b32_e32 v79, 0xffff, v46
	;; [unrolled: 1-line block ×3, first 2 shown]
	v_dual_lshrrev_b32 v94, 16, v47 :: v_dual_lshrrev_b32 v96, 16, v48
	v_and_b32_e32 v95, 0xffff, v48
	v_lshrrev_b32_e32 v97, 16, v49
	v_and_b32_e32 v98, 0xffff, v49
	;;#ASMSTART
	v_cvt_f32_f16 v102, v67;
	;;#ASMEND
	;;#ASMSTART
	v_cvt_f32_f16 v103, v66;
	;;#ASMEND
	;; [unrolled: 3-line block ×14, first 2 shown]
	ds_load_b128 v[46:49], v55 offset:16
	s_wait_loadcnt 0xa
	v_and_b32_e32 v99, 0xffff, v42
	v_lshrrev_b32_e32 v100, 16, v42
	s_wait_loadcnt 0x9
	v_lshrrev_b32_e32 v90, 16, v38
	s_wait_dscnt 0x0
	v_and_b32_e32 v85, 0xffff, v46
	v_lshrrev_b32_e32 v46, 16, v46
	;;#ASMSTART
	v_cvt_f32_f16 v86, v85;
	;;#ASMEND
	;;#ASMSTART
	v_cvt_f32_f16 v87, v46;
	;;#ASMEND
	;; [unrolled: 3-line block ×4, first 2 shown]
	v_pk_mul_f32 v[86:87], v[86:87], v[88:89]
	v_and_b32_e32 v42, 0xffff, v47
	v_and_b32_e32 v91, 0xffff, v43
	v_lshrrev_b32_e32 v92, 16, v43
	v_and_b32_e32 v88, 0xffff, v44
	v_dual_lshrrev_b32 v89, 16, v44 :: v_dual_lshrrev_b32 v85, 16, v45
	v_lshrrev_b32_e32 v44, 16, v47
	;;#ASMSTART
	v_cvt_f32_f16 v43, v42;
	;;#ASMEND
	;;#ASMSTART
	v_cvt_f32_f16 v42, v44;
	;;#ASMEND
	v_pk_fma_f32 v[60:61], v[60:61], v[102:103], v[86:87]
	v_and_b32_e32 v86, 0xffff, v45
	;;#ASMSTART
	v_cvt_f32_f16 v45, v83;
	;;#ASMEND
	;;#ASMSTART
	v_cvt_f32_f16 v44, v84;
	;;#ASMEND
	v_pk_mul_f32 v[42:43], v[42:43], v[44:45]
	v_and_b32_e32 v87, 0xffff, v38
	v_and_b32_e32 v38, 0xffff, v48
	;; [unrolled: 1-line block ×3, first 2 shown]
	v_lshrrev_b32_e32 v84, 16, v39
	v_pk_fma_f32 v[42:43], v[66:67], v[68:69], v[42:43]
	v_and_b32_e32 v68, 0xffff, v40
	v_dual_lshrrev_b32 v69, 16, v40 :: v_dual_lshrrev_b32 v66, 16, v41
	v_lshrrev_b32_e32 v40, 16, v48
	;;#ASMSTART
	v_cvt_f32_f16 v39, v38;
	;;#ASMEND
	;;#ASMSTART
	v_cvt_f32_f16 v38, v40;
	;;#ASMEND
	v_and_b32_e32 v67, 0xffff, v41
	;;#ASMSTART
	v_cvt_f32_f16 v41, v81;
	;;#ASMEND
	;;#ASMSTART
	v_cvt_f32_f16 v40, v82;
	;;#ASMEND
	v_pk_mul_f32 v[38:39], v[38:39], v[40:41]
	s_wait_loadcnt 0x8
	v_and_b32_e32 v81, 0xffff, v34
	v_dual_lshrrev_b32 v82, 16, v34 :: v_dual_lshrrev_b32 v45, 16, v36
	v_lshrrev_b32_e32 v44, 16, v37
	v_pk_fma_f32 v[38:39], v[62:63], v[64:65], v[38:39]
	v_and_b32_e32 v63, 0xffff, v35
	v_lshrrev_b32_e32 v64, 16, v35
	v_and_b32_e32 v62, 0xffff, v36
	v_and_b32_e32 v46, 0xffff, v37
	s_wait_loadcnt 0x7
	v_dual_lshrrev_b32 v36, 16, v30 :: v_dual_lshrrev_b32 v34, 16, v31
	v_and_b32_e32 v40, 0xffff, v30
	v_and_b32_e32 v37, 0xffff, v31
	v_dual_lshrrev_b32 v31, 16, v32 :: v_dual_lshrrev_b32 v30, 16, v33
	v_and_b32_e32 v35, 0xffff, v32
	v_and_b32_e32 v32, 0xffff, v33
	;; [unrolled: 1-line block ×3, first 2 shown]
	v_lshrrev_b32_e32 v41, 16, v49
	;;#ASMSTART
	v_cvt_f32_f16 v49, v33;
	;;#ASMEND
	;;#ASMSTART
	v_cvt_f32_f16 v48, v41;
	;;#ASMEND
	;; [unrolled: 3-line block ×4, first 2 shown]
	v_pk_mul_f32 v[48:49], v[48:49], v[102:103]
	s_wait_loadcnt 0x4
	v_and_b32_e32 v65, 0xffff, v19
	s_wait_loadcnt 0x3
	v_and_b32_e32 v77, 0xffff, v14
	v_pk_fma_f32 v[52:53], v[50:51], v[52:53], v[48:49]
	ds_load_b128 v[48:51], v55 offset:32
	s_wait_dscnt 0x0
	v_and_b32_e32 v33, 0xffff, v48
	v_dual_lshrrev_b32 v41, 16, v48 :: v_dual_lshrrev_b32 v47, 16, v49
	;;#ASMSTART
	v_cvt_f32_f16 v102, v33;
	;;#ASMEND
	;;#ASMSTART
	v_cvt_f32_f16 v103, v41;
	;;#ASMEND
	;; [unrolled: 3-line block ×4, first 2 shown]
	v_pk_fma_f32 v[60:61], v[102:103], v[78:79], v[60:61]
	v_and_b32_e32 v41, 0xffff, v49
	;;#ASMSTART
	v_cvt_f32_f16 v49, v41;
	;;#ASMEND
	;;#ASMSTART
	v_cvt_f32_f16 v48, v47;
	;;#ASMEND
	;;#ASMSTART
	v_cvt_f32_f16 v79, v93;
	;;#ASMEND
	;;#ASMSTART
	v_cvt_f32_f16 v78, v94;
	;;#ASMEND
	v_pk_fma_f32 v[78:79], v[48:49], v[78:79], v[42:43]
	v_dual_lshrrev_b32 v42, 16, v27 :: v_dual_lshrrev_b32 v41, 16, v28
	v_and_b32_e32 v47, 0xffff, v27
	v_dual_lshrrev_b32 v27, 16, v29 :: v_dual_lshrrev_b32 v48, 16, v50
	v_and_b32_e32 v43, 0xffff, v28
	v_and_b32_e32 v28, 0xffff, v29
	;; [unrolled: 1-line block ×3, first 2 shown]
	;;#ASMSTART
	v_cvt_f32_f16 v49, v29;
	;;#ASMEND
	;;#ASMSTART
	v_cvt_f32_f16 v48, v48;
	;;#ASMEND
	;; [unrolled: 3-line block ×4, first 2 shown]
	v_lshrrev_b32_e32 v50, 16, v51
	v_pk_fma_f32 v[102:103], v[48:49], v[94:95], v[38:39]
	v_dual_lshrrev_b32 v39, 16, v22 :: v_dual_lshrrev_b32 v29, 16, v23
	v_and_b32_e32 v49, 0xffff, v22
	v_and_b32_e32 v48, 0xffff, v23
	v_dual_lshrrev_b32 v23, 16, v24 :: v_dual_lshrrev_b32 v22, 16, v25
	v_and_b32_e32 v38, 0xffff, v24
	v_and_b32_e32 v24, 0xffff, v25
	;; [unrolled: 1-line block ×3, first 2 shown]
	;;#ASMSTART
	v_cvt_f32_f16 v51, v25;
	;;#ASMEND
	;;#ASMSTART
	v_cvt_f32_f16 v50, v50;
	;;#ASMEND
	;; [unrolled: 3-line block ×4, first 2 shown]
	v_pk_fma_f32 v[104:105], v[50:51], v[94:95], v[52:53]
	ds_load_b128 v[94:97], v55 offset:48
	v_lshrrev_b32_e32 v33, 16, v26
	v_and_b32_e32 v26, 0xffff, v26
	s_wait_dscnt 0x0
	v_lshrrev_b32_e32 v51, 16, v94
	v_and_b32_e32 v25, 0xffff, v94
	;;#ASMSTART
	v_cvt_f32_f16 v50, v25;
	;;#ASMEND
	;;#ASMSTART
	v_cvt_f32_f16 v51, v51;
	;;#ASMEND
	;; [unrolled: 3-line block ×4, first 2 shown]
	v_pk_fma_f32 v[98:99], v[50:51], v[52:53], v[60:61]
	v_dual_lshrrev_b32 v25, 16, v18 :: v_dual_lshrrev_b32 v52, 16, v95
	v_and_b32_e32 v50, 0xffff, v95
	;;#ASMSTART
	v_cvt_f32_f16 v51, v50;
	;;#ASMEND
	;;#ASMSTART
	v_cvt_f32_f16 v50, v52;
	;;#ASMEND
	;; [unrolled: 3-line block ×4, first 2 shown]
	v_pk_fma_f32 v[78:79], v[50:51], v[52:53], v[78:79]
	v_dual_lshrrev_b32 v51, 16, v19 :: v_dual_lshrrev_b32 v50, 16, v20
	v_and_b32_e32 v53, 0xffff, v20
	v_dual_lshrrev_b32 v19, 16, v21 :: v_dual_lshrrev_b32 v52, 16, v96
	v_and_b32_e32 v20, 0xffff, v21
	v_and_b32_e32 v21, 0xffff, v96
	;;#ASMSTART
	v_cvt_f32_f16 v61, v21;
	;;#ASMEND
	;;#ASMSTART
	v_cvt_f32_f16 v60, v52;
	;;#ASMEND
	;; [unrolled: 3-line block ×4, first 2 shown]
	v_pk_fma_f32 v[88:89], v[60:61], v[92:93], v[102:103]
	v_dual_lshrrev_b32 v60, 16, v14 :: v_dual_lshrrev_b32 v21, 16, v15
	v_and_b32_e32 v61, 0xffff, v15
	v_dual_lshrrev_b32 v15, 16, v16 :: v_dual_lshrrev_b32 v14, 16, v17
	v_and_b32_e32 v52, 0xffff, v16
	v_and_b32_e32 v16, 0xffff, v17
	;; [unrolled: 1-line block ×3, first 2 shown]
	v_lshrrev_b32_e32 v80, 16, v97
	;;#ASMSTART
	v_cvt_f32_f16 v93, v17;
	;;#ASMEND
	;;#ASMSTART
	v_cvt_f32_f16 v92, v80;
	;;#ASMEND
	;; [unrolled: 3-line block ×4, first 2 shown]
	v_pk_fma_f32 v[96:97], v[92:93], v[94:95], v[104:105]
	ds_load_b128 v[92:95], v55 offset:64
	v_and_b32_e32 v18, 0xffff, v18
	s_wait_dscnt 0x0
	v_and_b32_e32 v17, 0xffff, v92
	v_dual_lshrrev_b32 v80, 16, v92 :: v_dual_lshrrev_b32 v85, 16, v93
	;;#ASMSTART
	v_cvt_f32_f16 v100, v17;
	;;#ASMEND
	;;#ASMSTART
	v_cvt_f32_f16 v101, v80;
	;;#ASMEND
	;; [unrolled: 3-line block ×4, first 2 shown]
	v_pk_fma_f32 v[98:99], v[100:101], v[86:87], v[98:99]
	v_and_b32_e32 v80, 0xffff, v93
	;;#ASMSTART
	v_cvt_f32_f16 v87, v80;
	;;#ASMEND
	;;#ASMSTART
	v_cvt_f32_f16 v86, v85;
	;;#ASMEND
	;; [unrolled: 3-line block ×4, first 2 shown]
	v_pk_fma_f32 v[92:93], v[86:87], v[84:85], v[78:79]
	s_wait_loadcnt 0x2
	v_dual_lshrrev_b32 v79, 16, v11 :: v_dual_lshrrev_b32 v78, 16, v12
	v_and_b32_e32 v83, 0xffff, v11
	v_dual_lshrrev_b32 v11, 16, v13 :: v_dual_lshrrev_b32 v84, 16, v94
	v_and_b32_e32 v80, 0xffff, v12
	v_and_b32_e32 v12, 0xffff, v13
	;; [unrolled: 1-line block ×3, first 2 shown]
	;;#ASMSTART
	v_cvt_f32_f16 v85, v13;
	;;#ASMEND
	;;#ASMSTART
	v_cvt_f32_f16 v84, v84;
	;;#ASMEND
	;; [unrolled: 3-line block ×4, first 2 shown]
	v_pk_fma_f32 v[100:101], v[84:85], v[86:87], v[88:89]
	s_wait_loadcnt 0x1
	v_dual_lshrrev_b32 v84, 16, v6 :: v_dual_lshrrev_b32 v68, 16, v7
	v_and_b32_e32 v86, 0xffff, v6
	v_and_b32_e32 v6, 0xffff, v95
	;; [unrolled: 1-line block ×3, first 2 shown]
	v_lshrrev_b32_e32 v87, 16, v95
	;;#ASMSTART
	v_cvt_f32_f16 v7, v6;
	;;#ASMEND
	;;#ASMSTART
	v_cvt_f32_f16 v6, v87;
	;;#ASMEND
	;; [unrolled: 3-line block ×4, first 2 shown]
	ds_load_b128 v[88:91], v55 offset:80
	v_pk_fma_f32 v[94:95], v[6:7], v[66:67], v[96:97]
	v_lshrrev_b32_e32 v17, 16, v10
	v_and_b32_e32 v10, 0xffff, v10
	v_lshrrev_b32_e32 v13, 16, v8
	v_and_b32_e32 v69, 0xffff, v8
	;; [unrolled: 2-line block ×3, first 2 shown]
	s_wait_dscnt 0x0
	v_and_b32_e32 v6, 0xffff, v88
	v_lshrrev_b32_e32 v7, 16, v88
	;;#ASMSTART
	v_cvt_f32_f16 v6, v6;
	;;#ASMEND
	;;#ASMSTART
	v_cvt_f32_f16 v7, v7;
	;;#ASMEND
	;; [unrolled: 3-line block ×4, first 2 shown]
	v_pk_fma_f32 v[6:7], v[6:7], v[66:67], v[98:99]
	s_wait_loadcnt 0x0
	v_dual_lshrrev_b32 v66, 16, v2 :: v_dual_lshrrev_b32 v81, 16, v89
	v_and_b32_e32 v67, 0xffff, v89
	;;#ASMSTART
	v_cvt_f32_f16 v89, v67;
	;;#ASMEND
	;;#ASMSTART
	v_cvt_f32_f16 v88, v81;
	;;#ASMEND
	;; [unrolled: 3-line block ×4, first 2 shown]
	v_and_b32_e32 v64, 0xffff, v2
	v_pk_fma_f32 v[92:93], v[88:89], v[96:97], v[92:93]
	v_dual_lshrrev_b32 v67, 16, v3 :: v_dual_lshrrev_b32 v63, 16, v4
	v_and_b32_e32 v81, 0xffff, v3
	s_wait_xcnt 0x0
	v_dual_lshrrev_b32 v2, 16, v5 :: v_dual_lshrrev_b32 v82, 16, v90
	v_and_b32_e32 v3, 0xffff, v5
	v_and_b32_e32 v5, 0xffff, v90
	;; [unrolled: 1-line block ×3, first 2 shown]
	v_lshrrev_b32_e32 v96, 16, v91
	;;#ASMSTART
	v_cvt_f32_f16 v89, v5;
	;;#ASMEND
	;;#ASMSTART
	v_cvt_f32_f16 v88, v82;
	;;#ASMEND
	;; [unrolled: 3-line block ×8, first 2 shown]
	v_pk_fma_f32 v[98:99], v[88:89], v[90:91], v[100:101]
	ds_load_b128 v[88:91], v55 offset:96
	v_pk_fma_f32 v[44:45], v[96:97], v[44:45], v[94:95]
	v_add_nc_u32_e32 v5, s24, v74
	v_and_b32_e32 v4, 0xffff, v4
	v_add_nc_u32_e32 v74, 0x80, v74
	s_delay_alu instid0(VALU_DEP_3)
	v_cvt_f32_i32_e32 v62, v5
	s_wait_dscnt 0x0
	v_dual_lshrrev_b32 v94, 16, v89 :: v_dual_lshrrev_b32 v102, 16, v90
	v_and_b32_e32 v100, 0xffff, v90
	v_and_b32_e32 v104, 0xffff, v91
	;; [unrolled: 1-line block ×3, first 2 shown]
	v_lshrrev_b32_e32 v82, 16, v88
	v_and_b32_e32 v87, 0xffff, v89
	v_lshrrev_b32_e32 v106, 16, v91
	;;#ASMSTART
	v_cvt_f32_f16 v88, v46;
	;;#ASMEND
	;;#ASMSTART
	v_cvt_f32_f16 v89, v82;
	;;#ASMEND
	;; [unrolled: 3-line block ×16, first 2 shown]
	ds_load_b128 v[34:37], v55 offset:112
	v_pk_fma_f32 v[6:7], v[88:89], v[90:91], v[6:7]
	v_pk_fma_f32 v[88:89], v[94:95], v[96:97], v[92:93]
	;; [unrolled: 1-line block ×4, first 2 shown]
	s_wait_dscnt 0x0
	v_dual_lshrrev_b32 v30, 16, v34 :: v_dual_lshrrev_b32 v32, 16, v35
	v_and_b32_e32 v31, 0xffff, v35
	v_and_b32_e32 v40, 0xffff, v36
	v_dual_lshrrev_b32 v82, 16, v36 :: v_dual_lshrrev_b32 v96, 16, v37
	v_and_b32_e32 v5, 0xffff, v34
	v_and_b32_e32 v87, 0xffff, v37
	;;#ASMSTART
	v_cvt_f32_f16 v34, v5;
	;;#ASMEND
	;;#ASMSTART
	v_cvt_f32_f16 v35, v30;
	;;#ASMEND
	;; [unrolled: 3-line block ×16, first 2 shown]
	ds_load_b128 v[30:33], v55 offset:128
	v_pk_fma_f32 v[6:7], v[34:35], v[36:37], v[6:7]
	v_pk_fma_f32 v[34:35], v[92:93], v[46:47], v[88:89]
	;; [unrolled: 1-line block ×4, first 2 shown]
	s_wait_dscnt 0x0
	v_dual_lshrrev_b32 v26, 16, v30 :: v_dual_lshrrev_b32 v28, 16, v31
	v_and_b32_e32 v27, 0xffff, v31
	v_and_b32_e32 v46, 0xffff, v32
	;; [unrolled: 1-line block ×3, first 2 shown]
	v_dual_lshrrev_b32 v82, 16, v32 :: v_dual_lshrrev_b32 v88, 16, v33
	v_and_b32_e32 v87, 0xffff, v33
	;;#ASMSTART
	v_cvt_f32_f16 v30, v5;
	;;#ASMEND
	;;#ASMSTART
	v_cvt_f32_f16 v31, v26;
	;;#ASMEND
	;;#ASMSTART
	v_cvt_f32_f16 v32, v49;
	;;#ASMEND
	;;#ASMSTART
	v_cvt_f32_f16 v33, v39;
	;;#ASMEND
	;;#ASMSTART
	v_cvt_f32_f16 v43, v27;
	;;#ASMEND
	;;#ASMSTART
	v_cvt_f32_f16 v42, v28;
	;;#ASMEND
	;;#ASMSTART
	v_cvt_f32_f16 v45, v48;
	;;#ASMEND
	;;#ASMSTART
	v_cvt_f32_f16 v44, v29;
	;;#ASMEND
	;;#ASMSTART
	v_cvt_f32_f16 v47, v46;
	;;#ASMEND
	;;#ASMSTART
	v_cvt_f32_f16 v46, v82;
	;;#ASMEND
	;;#ASMSTART
	v_cvt_f32_f16 v39, v38;
	;;#ASMEND
	;;#ASMSTART
	v_cvt_f32_f16 v38, v23;
	;;#ASMEND
	;;#ASMSTART
	v_cvt_f32_f16 v49, v87;
	;;#ASMEND
	;;#ASMSTART
	v_cvt_f32_f16 v48, v88;
	;;#ASMEND
	;;#ASMSTART
	v_cvt_f32_f16 v23, v24;
	;;#ASMEND
	;;#ASMSTART
	v_cvt_f32_f16 v22, v22;
	;;#ASMEND
	ds_load_b128 v[26:29], v55 offset:144
	v_pk_fma_f32 v[6:7], v[30:31], v[32:33], v[6:7]
	v_pk_fma_f32 v[30:31], v[42:43], v[44:45], v[34:35]
	v_pk_fma_f32 v[34:35], v[48:49], v[22:23], v[40:41]
	v_pk_fma_f32 v[32:33], v[46:47], v[38:39], v[36:37]
	s_wait_dscnt 0x0
	v_dual_lshrrev_b32 v22, 16, v26 :: v_dual_lshrrev_b32 v24, 16, v27
	v_and_b32_e32 v23, 0xffff, v27
	v_and_b32_e32 v40, 0xffff, v28
	v_dual_lshrrev_b32 v42, 16, v28 :: v_dual_lshrrev_b32 v44, 16, v29
	v_and_b32_e32 v45, 0xffff, v29
	v_and_b32_e32 v5, 0xffff, v26
	;;#ASMSTART
	v_cvt_f32_f16 v26, v5;
	;;#ASMEND
	;;#ASMSTART
	v_cvt_f32_f16 v27, v22;
	;;#ASMEND
	;;#ASMSTART
	v_cvt_f32_f16 v28, v18;
	;;#ASMEND
	;;#ASMSTART
	v_cvt_f32_f16 v29, v25;
	;;#ASMEND
	;;#ASMSTART
	v_cvt_f32_f16 v37, v23;
	;;#ASMEND
	;;#ASMSTART
	v_cvt_f32_f16 v36, v24;
	;;#ASMEND
	;;#ASMSTART
	v_cvt_f32_f16 v39, v65;
	;;#ASMEND
	;;#ASMSTART
	v_cvt_f32_f16 v38, v51;
	;;#ASMEND
	;;#ASMSTART
	v_cvt_f32_f16 v41, v40;
	;;#ASMEND
	;;#ASMSTART
	v_cvt_f32_f16 v40, v42;
	;;#ASMEND
	;;#ASMSTART
	v_cvt_f32_f16 v43, v53;
	;;#ASMEND
	;;#ASMSTART
	v_cvt_f32_f16 v42, v50;
	;;#ASMEND
	;;#ASMSTART
	v_cvt_f32_f16 v45, v45;
	;;#ASMEND
	;;#ASMSTART
	v_cvt_f32_f16 v44, v44;
	;;#ASMEND
	;;#ASMSTART
	v_cvt_f32_f16 v47, v20;
	;;#ASMEND
	;;#ASMSTART
	v_cvt_f32_f16 v46, v19;
	;;#ASMEND
	ds_load_b128 v[22:25], v55 offset:160
	v_pk_fma_f32 v[6:7], v[26:27], v[28:29], v[6:7]
	v_pk_fma_f32 v[26:27], v[36:37], v[38:39], v[30:31]
	v_pk_fma_f32 v[28:29], v[40:41], v[42:43], v[32:33]
	v_pk_fma_f32 v[30:31], v[44:45], v[46:47], v[34:35]
	s_wait_dscnt 0x0
	v_dual_lshrrev_b32 v5, 16, v22 :: v_dual_lshrrev_b32 v19, 16, v23
	v_and_b32_e32 v18, 0xffff, v22
	v_and_b32_e32 v20, 0xffff, v23
	v_dual_lshrrev_b32 v36, 16, v24 :: v_dual_lshrrev_b32 v40, 16, v25
	v_and_b32_e32 v37, 0xffff, v24
	;; [unrolled: 60-line block ×4, first 2 shown]
	v_and_b32_e32 v33, 0xffff, v17
	;;#ASMSTART
	v_cvt_f32_f16 v14, v6;
	;;#ASMEND
	;;#ASMSTART
	v_cvt_f32_f16 v15, v5;
	;;#ASMEND
	;; [unrolled: 3-line block ×16, first 2 shown]
	ds_load_b128 v[6:9], v55 offset:208
	v_pk_fma_f32 v[10:11], v[14:15], v[16:17], v[10:11]
	v_pk_fma_f32 v[14:15], v[22:23], v[24:25], v[18:19]
	;; [unrolled: 1-line block ×4, first 2 shown]
	s_wait_dscnt 0x0
	v_dual_lshrrev_b32 v5, 16, v6 :: v_dual_lshrrev_b32 v18, 16, v7
	v_and_b32_e32 v6, 0xffff, v6
	v_and_b32_e32 v19, 0xffff, v7
	;;#ASMSTART
	v_cvt_f32_f16 v6, v6;
	;;#ASMEND
	;;#ASMSTART
	v_cvt_f32_f16 v7, v5;
	;;#ASMEND
	v_dual_lshrrev_b32 v22, 16, v8 :: v_dual_lshrrev_b32 v24, 16, v9
	v_and_b32_e32 v23, 0xffff, v8
	v_and_b32_e32 v25, 0xffff, v9
	;;#ASMSTART
	v_cvt_f32_f16 v8, v64;
	;;#ASMEND
	;;#ASMSTART
	v_cvt_f32_f16 v9, v66;
	;;#ASMEND
	v_pk_fma_f32 v[6:7], v[6:7], v[8:9], v[10:11]
	;;#ASMSTART
	v_cvt_f32_f16 v19, v19;
	;;#ASMEND
	;;#ASMSTART
	v_cvt_f32_f16 v18, v18;
	;;#ASMEND
	;; [unrolled: 3-line block ×8, first 2 shown]
	v_pk_fma_f32 v[8:9], v[18:19], v[20:21], v[14:15]
	v_pk_fma_f32 v[4:5], v[22:23], v[4:5], v[16:17]
	v_add_f32_e32 v6, v6, v7
	;;#ASMSTART
	v_cvt_f32_f16 v7, v25;
	;;#ASMEND
	s_delay_alu instid0(VALU_DEP_1) | instskip(NEXT) | instid1(VALU_DEP_1)
	v_add_f32_e32 v6, v6, v9
	v_add_f32_e32 v8, v8, v6
	;;#ASMSTART
	v_cvt_f32_f16 v6, v24;
	;;#ASMEND
	;;#ASMSTART
	v_cvt_f32_f16 v3, v3;
	;;#ASMEND
	;; [unrolled: 3-line block ×3, first 2 shown]
	v_pk_fma_f32 v[2:3], v[6:7], v[2:3], v[12:13]
	v_add_f32_e32 v5, v8, v5
	s_delay_alu instid0(VALU_DEP_1) | instskip(NEXT) | instid1(VALU_DEP_1)
	v_dual_add_f32 v4, v4, v5 :: v_dual_mul_f32 v5, s23, v62
	v_dual_add_f32 v3, v4, v3 :: v_dual_cndmask_b32 v4, 0, v5
	s_delay_alu instid0(VALU_DEP_1) | instskip(NEXT) | instid1(VALU_DEP_1)
	v_add_f32_e32 v2, v2, v3
	v_fmac_f32_e32 v4, s7, v2
	s_delay_alu instid0(VALU_DEP_1) | instskip(NEXT) | instid1(VALU_DEP_1)
	v_dual_max_num_f32 v3, v54, v54 :: v_dual_cndmask_b32 v2, 0, v4, s3
	v_max_num_f32_e32 v3, v3, v4
	ds_store_b32 v75, v2
	v_cndmask_b32_e64 v54, v54, v3, s3
	v_add_nc_u32_e32 v75, 0x200, v75
	s_and_not1_b32 exec_lo, exec_lo, s15
	s_cbranch_execnz .LBB103_6
; %bb.7:
	s_or_b32 exec_lo, exec_lo, s15
.LBB103_8:
	s_delay_alu instid0(SALU_CYCLE_1) | instskip(SKIP_4) | instid1(VALU_DEP_1)
	s_or_b32 exec_lo, exec_lo, s6
	v_mbcnt_lo_u32_b32 v5, -1, 0
	s_clause 0x1
	s_load_b64 s[6:7], s[0:1], 0x0
	s_load_b64 s[16:17], s[0:1], 0x18
	v_dual_max_num_f32 v6, v54, v54 :: v_dual_bitop2_b32 v2, 16, v5 bitop3:0x14
	v_xor_b32_e32 v4, 8, v5
	s_delay_alu instid0(VALU_DEP_2) | instskip(SKIP_1) | instid1(VALU_DEP_3)
	v_cmp_gt_i32_e32 vcc_lo, 32, v2
	v_cndmask_b32_e32 v2, v5, v2, vcc_lo
	v_cmp_gt_i32_e32 vcc_lo, 32, v4
	s_delay_alu instid0(VALU_DEP_2) | instskip(SKIP_3) | instid1(VALU_DEP_1)
	v_dual_lshlrev_b32 v2, 2, v2 :: v_dual_cndmask_b32 v4, v5, v4, vcc_lo
	ds_bpermute_b32 v3, v2, v54
	s_wait_dscnt 0x0
	v_dual_max_num_f32 v7, v3, v3 :: v_dual_lshlrev_b32 v3, 2, v4
	v_dual_max_num_f32 v6, v6, v7 :: v_dual_bitop2_b32 v7, 4, v5 bitop3:0x14
	ds_bpermute_b32 v4, v3, v6
	v_cmp_gt_i32_e32 vcc_lo, 32, v7
	s_wait_dscnt 0x0
	v_dual_cndmask_b32 v7, v5, v7 :: v_dual_max_num_f32 v8, v4, v4
	s_delay_alu instid0(VALU_DEP_1) | instskip(SKIP_3) | instid1(VALU_DEP_1)
	v_dual_lshlrev_b32 v4, 2, v7 :: v_dual_max_num_f32 v6, v6, v8
	ds_bpermute_b32 v7, v4, v6
	s_wait_dscnt 0x0
	v_dual_max_num_f32 v7, v7, v7 :: v_dual_bitop2_b32 v8, 2, v5 bitop3:0x14
	v_cmp_gt_i32_e32 vcc_lo, 32, v8
	s_delay_alu instid0(VALU_DEP_2) | instskip(NEXT) | instid1(VALU_DEP_1)
	v_dual_max_num_f32 v6, v6, v7 :: v_dual_cndmask_b32 v8, v5, v8, vcc_lo
	v_dual_lshlrev_b32 v28, 2, v8 :: v_dual_bitop2_b32 v8, 1, v5 bitop3:0x14
	ds_bpermute_b32 v7, v28, v6
	v_cmp_gt_i32_e32 vcc_lo, 32, v8
	v_cndmask_b32_e32 v5, v5, v8, vcc_lo
	v_cmp_eq_u32_e32 vcc_lo, 0, v71
	s_delay_alu instid0(VALU_DEP_2) | instskip(SKIP_2) | instid1(VALU_DEP_1)
	v_dual_lshlrev_b32 v27, 2, v5 :: v_dual_lshlrev_b32 v5, 2, v70
	s_wait_dscnt 0x0
	v_max_num_f32_e32 v7, v7, v7
	v_max_num_f32_e32 v6, v6, v7
	ds_bpermute_b32 v7, v27, v6
	s_wait_xcnt 0x0
	s_and_saveexec_b32 s0, vcc_lo
	s_cbranch_execz .LBB103_10
; %bb.9:
	s_wait_dscnt 0x0
	v_dual_max_num_f32 v7, v7, v7 :: v_dual_max_num_f32 v6, v6, v6
	s_delay_alu instid0(VALU_DEP_1)
	v_max_num_f32_e32 v6, v6, v7
	ds_store_b32 v5, v6 offset:224
.LBB103_10:
	s_or_b32 exec_lo, exec_lo, s0
	v_cmp_gt_u32_e64 s0, 4, v71
	v_mov_b32_e32 v6, 0xff7fffff
	s_wait_dscnt 0x0
	s_barrier_signal -1
	s_barrier_wait -1
	s_and_saveexec_b32 s1, s0
; %bb.11:
	ds_load_b32 v6, v73 offset:224
; %bb.12:
	s_or_b32 exec_lo, exec_lo, s1
	s_wait_dscnt 0x0
	ds_bpermute_b32 v7, v28, v6
	v_max_num_f32_e32 v6, v6, v6
	s_lshl_b32 s1, s22, 5
	s_delay_alu instid0(SALU_CYCLE_1) | instskip(NEXT) | instid1(SALU_CYCLE_1)
	s_min_i32 s4, s1, s21
	v_cmp_gt_i32_e64 s1, s4, v0
	s_wait_dscnt 0x0
	v_max_num_f32_e32 v7, v7, v7
	s_delay_alu instid0(VALU_DEP_1) | instskip(SKIP_3) | instid1(VALU_DEP_1)
	v_max_num_f32_e32 v6, v6, v7
	ds_bpermute_b32 v7, v27, v6
	s_wait_dscnt 0x0
	v_max_num_f32_e32 v7, v7, v7
	v_dual_max_num_f32 v7, v6, v7 :: v_dual_mov_b32 v6, 0
	ds_bpermute_b32 v7, v6, v7
	s_and_saveexec_b32 s15, s1
	s_cbranch_execz .LBB103_16
; %bb.13:
	v_lshl_add_u32 v8, v0, 2, 0x100
	v_dual_mov_b32 v6, 0 :: v_dual_mov_b32 v9, v0
	s_mov_b32 s23, 0
.LBB103_14:                             ; =>This Inner Loop Header: Depth=1
	ds_load_b32 v10, v8
	v_add_nc_u32_e32 v9, 0x80, v9
	s_delay_alu instid0(VALU_DEP_1) | instskip(SKIP_3) | instid1(VALU_DEP_1)
	v_cmp_le_i32_e64 s3, s4, v9
	s_or_b32 s23, s3, s23
	s_wait_dscnt 0x0
	v_sub_f32_e32 v10, v10, v7
	v_mul_f32_e32 v10, 0x3fb8aa3b, v10
	s_delay_alu instid0(VALU_DEP_1)
	v_exp_f32_e32 v10, v10
	ds_store_b32 v8, v10
	v_nop
	v_add_f32_e32 v6, v6, v10
	v_add_nc_u32_e32 v8, 0x200, v8
	s_and_not1_b32 exec_lo, exec_lo, s23
	s_cbranch_execnz .LBB103_14
; %bb.15:
	s_or_b32 exec_lo, exec_lo, s23
.LBB103_16:
	s_delay_alu instid0(SALU_CYCLE_1)
	s_or_b32 exec_lo, exec_lo, s15
	ds_bpermute_b32 v2, v2, v6
	s_wait_dscnt 0x0
	v_add_f32_e32 v2, v6, v2
	ds_bpermute_b32 v3, v3, v2
	s_wait_dscnt 0x0
	v_add_f32_e32 v2, v2, v3
	;; [unrolled: 3-line block ×5, first 2 shown]
	s_and_saveexec_b32 s3, vcc_lo
; %bb.17:
	ds_store_b32 v5, v2 offset:240
; %bb.18:
	s_or_b32 exec_lo, exec_lo, s3
	s_wait_dscnt 0x0
	s_barrier_signal -1
	s_barrier_wait -1
	s_and_saveexec_b32 s3, s0
; %bb.19:
	ds_load_b32 v2, v73 offset:240
; %bb.20:
	s_or_b32 exec_lo, exec_lo, s3
	s_wait_dscnt 0x0
	ds_bpermute_b32 v3, v28, v2
	s_wait_dscnt 0x0
	v_dual_mov_b32 v7, 0 :: v_dual_add_f32 v2, v2, v3
	ds_bpermute_b32 v3, v27, v2
	s_wait_dscnt 0x0
	v_add_f32_e32 v2, v2, v3
	ds_bpermute_b32 v2, v7, v2
	s_and_saveexec_b32 s0, s1
	s_cbranch_execz .LBB103_33
; %bb.21:
	s_wait_dscnt 0x0
	v_add_f32_e32 v2, 0x358637bd, v2
	s_mov_b32 s3, -1
	s_mov_b32 s1, exec_lo
	s_delay_alu instid0(VALU_DEP_1) | instskip(NEXT) | instid1(VALU_DEP_1)
	v_div_scale_f32 v3, null, v2, v2, 1.0
	v_rcp_f32_e32 v5, v3
	v_nop
	s_delay_alu instid0(TRANS32_DEP_1) | instskip(NEXT) | instid1(VALU_DEP_1)
	v_fma_f32 v4, -v3, v5, 1.0
	v_fmac_f32_e32 v5, v4, v5
	v_div_scale_f32 v6, vcc_lo, 1.0, v2, 1.0
	s_delay_alu instid0(VALU_DEP_1) | instskip(NEXT) | instid1(VALU_DEP_1)
	v_mul_f32_e32 v8, v6, v5
	v_fma_f32 v4, -v3, v8, v6
	s_delay_alu instid0(VALU_DEP_1) | instskip(SKIP_1) | instid1(VALU_DEP_2)
	v_fmac_f32_e32 v8, v4, v5
	v_xad_u32 v4, v0, -1, s4
	v_fma_f32 v3, -v3, v8, v6
	s_delay_alu instid0(VALU_DEP_1) | instskip(NEXT) | instid1(VALU_DEP_1)
	v_div_fmas_f32 v3, v3, v5, v8
	v_div_fixup_f32 v2, v3, v2, 1.0
	v_mov_b32_e32 v3, v0
	v_cmpx_lt_u32_e32 0x7f, v4
	s_cbranch_execz .LBB103_30
; %bb.22:
	s_delay_alu instid0(VALU_DEP_3) | instskip(NEXT) | instid1(VALU_DEP_1)
	v_dual_mov_b32 v3, v2 :: v_dual_lshrrev_b32 v4, 7, v4
	v_dual_mov_b32 v9, 0 :: v_dual_add_nc_u32 v5, -1, v4
	s_delay_alu instid0(VALU_DEP_1) | instskip(SKIP_1) | instid1(VALU_DEP_2)
	v_lshrrev_b32_e32 v6, 1, v5
	v_cmp_lt_u32_e32 vcc_lo, 13, v5
	v_add_nc_u32_e32 v5, 1, v6
	s_and_saveexec_b32 s3, vcc_lo
	s_cbranch_execz .LBB103_26
; %bb.23:
	s_delay_alu instid0(VALU_DEP_1)
	v_and_b32_e32 v6, -8, v5
	v_lshl_add_u32 v8, v0, 2, 0x100
	s_mov_b32 s15, 0
	s_mov_b32 s23, 0
.LBB103_24:                             ; =>This Inner Loop Header: Depth=1
	ds_load_2addr_stride64_b32 v[10:11], v8 offset1:2
	ds_load_2addr_stride64_b32 v[12:13], v8 offset0:4 offset1:6
	ds_load_2addr_stride64_b32 v[14:15], v8 offset0:8 offset1:10
	;; [unrolled: 1-line block ×7, first 2 shown]
	s_add_co_i32 s23, s23, 16
	s_delay_alu instid0(SALU_CYCLE_1) | instskip(NEXT) | instid1(VALU_DEP_1)
	v_dual_mov_b32 v9, s23 :: v_dual_add_nc_u32 v6, -8, v6
	v_cmp_eq_u32_e32 vcc_lo, 0, v6
	s_or_b32 s15, vcc_lo, s15
	s_wait_dscnt 0x7
	v_pk_mul_f32 v[10:11], v[2:3], v[10:11]
	s_wait_dscnt 0x6
	v_pk_mul_f32 v[12:13], v[2:3], v[12:13]
	;; [unrolled: 2-line block ×8, first 2 shown]
	ds_store_2addr_stride64_b32 v8, v10, v11 offset1:2
	ds_store_2addr_stride64_b32 v8, v12, v13 offset0:4 offset1:6
	ds_store_2addr_stride64_b32 v8, v14, v15 offset0:8 offset1:10
	;; [unrolled: 1-line block ×7, first 2 shown]
	v_add_nc_u32_e32 v8, 0x2000, v8
	s_and_not1_b32 exec_lo, exec_lo, s15
	s_cbranch_execnz .LBB103_24
; %bb.25:
	s_or_b32 exec_lo, exec_lo, s15
.LBB103_26:
	s_delay_alu instid0(SALU_CYCLE_1) | instskip(NEXT) | instid1(VALU_DEP_1)
	s_or_b32 exec_lo, exec_lo, s3
	v_and_b32_e32 v5, 7, v5
	s_mov_b32 s15, 0
	s_mov_b32 s3, exec_lo
	s_delay_alu instid0(VALU_DEP_1)
	v_cmpx_ne_u32_e32 0, v5
	s_cbranch_execz .LBB103_29
; %bb.27:
	v_dual_lshlrev_b32 v6, 9, v9 :: v_dual_lshlrev_b32 v8, 2, v0
	s_delay_alu instid0(VALU_DEP_1)
	v_add3_u32 v6, v6, v8, 0x100
.LBB103_28:                             ; =>This Inner Loop Header: Depth=1
	ds_load_2addr_stride64_b32 v[8:9], v6 offset1:2
	v_add_nc_u32_e32 v5, -1, v5
	s_delay_alu instid0(VALU_DEP_1)
	v_cmp_eq_u32_e32 vcc_lo, 0, v5
	s_or_b32 s15, vcc_lo, s15
	s_wait_dscnt 0x0
	v_pk_mul_f32 v[8:9], v[2:3], v[8:9]
	ds_store_2addr_stride64_b32 v6, v8, v9 offset1:2
	v_add_nc_u32_e32 v6, 0x400, v6
	s_and_not1_b32 exec_lo, exec_lo, s15
	s_cbranch_execnz .LBB103_28
.LBB103_29:
	s_or_b32 exec_lo, exec_lo, s3
	v_add_nc_u32_e32 v3, 1, v4
	s_delay_alu instid0(VALU_DEP_1) | instskip(NEXT) | instid1(VALU_DEP_1)
	v_and_b32_e32 v4, 0x3fffffe, v3
	v_cmp_ne_u32_e32 vcc_lo, v3, v4
	v_lshl_add_u32 v3, v4, 7, v0
	s_or_not1_b32 s3, vcc_lo, exec_lo
.LBB103_30:
	s_or_b32 exec_lo, exec_lo, s1
	s_delay_alu instid0(SALU_CYCLE_1)
	s_and_b32 exec_lo, exec_lo, s3
	s_cbranch_execz .LBB103_33
; %bb.31:
	v_lshl_add_u32 v4, v3, 2, 0x100
	s_mov_b32 s1, 0
.LBB103_32:                             ; =>This Inner Loop Header: Depth=1
	ds_load_b32 v5, v4
	v_add_nc_u32_e32 v3, 0x80, v3
	s_delay_alu instid0(VALU_DEP_1)
	v_cmp_le_i32_e32 vcc_lo, s4, v3
	s_or_b32 s1, vcc_lo, s1
	s_wait_dscnt 0x0
	v_mul_f32_e32 v5, v2, v5
	ds_store_b32 v4, v5
	v_add_nc_u32_e32 v4, 0x200, v4
	s_and_not1_b32 exec_lo, exec_lo, s1
	s_cbranch_execnz .LBB103_32
.LBB103_33:
	s_or_b32 exec_lo, exec_lo, s0
	v_dual_mov_b32 v6, 0 :: v_dual_bitop2_b32 v29, 3, v0 bitop3:0x40
	v_dual_mov_b32 v9, 0 :: v_dual_mov_b32 v8, 0
	v_dual_mov_b32 v11, 0 :: v_dual_mov_b32 v10, 0
	;; [unrolled: 1-line block ×6, first 2 shown]
	s_wait_dscnt 0x0
	s_barrier_signal -1
	s_barrier_wait -1
	s_and_saveexec_b32 s1, s2
	s_cbranch_execz .LBB103_65
; %bb.34:
	v_dual_mov_b32 v7, 0 :: v_dual_lshlrev_b32 v2, 3, v0
	s_ashr_i32 s15, s14, 31
	v_and_b32_e32 v6, 0x1f0, v1
	s_lshl_b64 s[14:15], s[14:15], 1
	s_delay_alu instid0(VALU_DEP_2)
	v_dual_lshlrev_b32 v2, 5, v29 :: v_dual_bitop2_b32 v1, 24, v2 bitop3:0x40
	s_wait_kmcnt 0x0
	s_add_nc_u64 s[14:15], s[16:17], s[14:15]
	s_ashr_i32 s3, s5, 31
	v_add_nc_u64_e32 v[20:21], s[14:15], v[6:7]
	v_and_b32_e32 v6, 0x7c, v72
	s_mov_b32 s2, s5
	s_lshl_b64 s[4:5], s[12:13], 2
	v_lshl_or_b32 v2, v70, 7, v2
	s_add_nc_u64 s[4:5], s[10:11], s[4:5]
	v_lshl_or_b32 v30, v70, 5, v1
	v_add_nc_u64_e32 v[22:23], s[4:5], v[6:7]
	s_delay_alu instid0(VALU_DEP_3)
	v_dual_mov_b32 v6, v7 :: v_dual_add_nc_u32 v31, 0x100, v2
	v_dual_mov_b32 v9, v7 :: v_dual_mov_b32 v8, v7
	v_dual_mov_b32 v11, v7 :: v_dual_mov_b32 v10, v7
	;; [unrolled: 1-line block ×6, first 2 shown]
	v_mov_b32_e32 v32, v70
	s_add_co_i32 s4, s22, -1
	s_mov_b32 s10, s21
	s_mov_b32 s5, 0
	s_branch .LBB103_36
.LBB103_35:                             ;   in Loop: Header=BB103_36 Depth=1
	s_or_b32 exec_lo, exec_lo, s0
	v_dual_add_f32 v26, v26, v40 :: v_dual_add_f32 v34, v65, v66
	v_add_f32_e32 v33, v67, v68
	v_dual_lshlrev_b32 v24, 16, v24 :: v_dual_lshlrev_b32 v1, 16, v1
	s_delay_alu instid0(VALU_DEP_3) | instskip(SKIP_1) | instid1(VALU_DEP_4)
	v_dual_add_f32 v6, v6, v26 :: v_dual_add_f32 v26, v63, v64
	v_lshlrev_b32_e32 v25, 16, v25
	v_dual_add_f32 v9, v9, v33 :: v_dual_add_f32 v8, v8, v34
	v_add_f32_e32 v33, v61, v62
	v_and_or_b32 v2, 0xffff, v2, v24
	v_and_or_b32 v1, 0xffff, v3, v1
	v_dual_add_f32 v34, v59, v60 :: v_dual_add_f32 v35, v57, v58
	v_add_f32_e32 v11, v11, v26
	v_add_f32_e32 v26, v53, v54
	v_and_or_b32 v3, 0xffff, v4, v25
	;;#ASMSTART
	v_pk_mul_f16 v2, v42, v2;

	;;#ASMEND
	;;#ASMSTART
	v_pk_mul_f16 v1, v41, v1;

	;;#ASMEND
	v_dual_add_f32 v36, v55, v56 :: v_dual_add_f32 v10, v10, v33
	v_dual_add_f32 v33, v51, v52 :: v_dual_add_f32 v14, v14, v26
	;;#ASMSTART
	v_pk_mul_f16 v3, v43, v3;

	;;#ASMEND
	;;#ASMSTART
	v_pk_mul_f16 v4, v44, v5;

	;;#ASMEND
	;;#ASMSTART
	v_pk_add_f16 v1, v2, v1;

	;;#ASMEND
	;;#ASMSTART
	v_pk_add_f16 v1, v1, v3;
	;; [unrolled: 4-line block ×3, first 2 shown]

	;;#ASMEND
	v_and_b32_e32 v4, 0xffff, v1
	v_dual_lshrrev_b32 v5, 16, v1 :: v_dual_add_f32 v1, v49, v50
	v_add_nc_u32_e32 v32, 4, v32
	;;#ASMSTART
	v_cvt_f32_f16 v4, v4;
	;;#ASMEND
	v_dual_add_f32 v17, v17, v33 :: v_dual_add_f32 v2, v47, v48
	;;#ASMSTART
	v_cvt_f32_f16 v5, v5;
	;;#ASMEND
	v_dual_add_f32 v3, v45, v46 :: v_dual_add_f32 v4, v4, v5
	v_add_f32_e32 v16, v16, v1
	v_cmp_le_i32_e32 vcc_lo, s22, v32
	v_add_nc_u64_e32 v[22:23], 16, v[22:23]
	v_dual_add_f32 v13, v13, v34 :: v_dual_add_f32 v15, v15, v36
	v_dual_add_f32 v12, v12, v35 :: v_dual_add_f32 v19, v19, v2
	;; [unrolled: 1-line block ×3, first 2 shown]
	v_add_nc_u32_e32 v30, 0x80, v30
	v_add_nc_u32_e32 v31, 0x200, v31
	s_or_b32 s5, vcc_lo, s5
	s_delay_alu instid0(SALU_CYCLE_1)
	s_and_not1_b32 exec_lo, exec_lo, s5
	s_cbranch_execz .LBB103_64
.LBB103_36:                             ; =>This Inner Loop Header: Depth=1
	global_load_b32 v2, v[22:23], off
	v_cmp_eq_u32_e32 vcc_lo, s4, v32
	v_dual_add_nc_u32 v38, 2, v30 :: v_dual_add_nc_u32 v33, 5, v30
	v_or_b32_e32 v39, 3, v30
	s_wait_loadcnt 0x0
	v_ashrrev_i32_e32 v3, 31, v2
	s_delay_alu instid0(VALU_DEP_1)
	v_mul_u64_e32 v[24:25], s[2:3], v[2:3]
	ds_load_2addr_b64 v[2:5], v31 offset1:1
	ds_load_2addr_b64 v[34:37], v31 offset0:2 offset1:3
	s_wait_dscnt 0x1
	;;#ASMSTART
	v_cvt_f16_f32 v42, v2;

	;;#ASMEND
	;;#ASMSTART
	v_cvt_f16_f32 v41, v3;

	;;#ASMEND
	;; [unrolled: 4-line block ×4, first 2 shown]
	s_wait_dscnt 0x0
	;;#ASMSTART
	v_cvt_f16_f32 v48, v34;

	;;#ASMEND
	;;#ASMSTART
	v_cvt_f16_f32 v43, v35;

	;;#ASMEND
	;; [unrolled: 4-line block ×4, first 2 shown]
	v_dual_add_nc_u32 v34, 4, v30 :: v_dual_add_nc_u32 v36, 6, v30
	v_dual_add_nc_u32 v35, 7, v30 :: v_dual_bitop2_b32 v37, 1, v30 bitop3:0x54
	v_lshl_add_u64 v[24:25], v[24:25], 1, v[20:21]
	global_load_b128 v[2:5], v[24:25], off
	s_wait_loadcnt 0x0
	v_dual_lshrrev_b32 v1, 16, v3 :: v_dual_lshrrev_b32 v40, 16, v4
	v_lshrrev_b32_e32 v26, 16, v2
	s_and_saveexec_b32 s11, vcc_lo
	s_cbranch_execz .LBB103_38
; %bb.37:                               ;   in Loop: Header=BB103_36 Depth=1
	v_cmp_gt_i32_e64 s0, s21, v30
	v_and_b32_e32 v49, 0xffff, v5
	v_and_b32_e32 v5, 0xffff0000, v5
	s_delay_alu instid0(VALU_DEP_3) | instskip(SKIP_1) | instid1(VALU_DEP_1)
	v_cndmask_b32_e64 v2, 0, v2, s0
	v_cmp_gt_i32_e64 s0, s21, v38
	v_cndmask_b32_e64 v3, 0, v3, s0
	v_cmp_gt_i32_e64 s0, s10, v39
	s_delay_alu instid0(VALU_DEP_1) | instskip(SKIP_1) | instid1(VALU_DEP_1)
	v_cndmask_b32_e64 v1, 0, v1, s0
	v_cmp_gt_i32_e64 s0, s21, v37
	v_cndmask_b32_e64 v26, 0, v26, s0
	v_cmp_gt_i32_e64 s0, s21, v36
	s_delay_alu instid0(VALU_DEP_1) | instskip(SKIP_1) | instid1(VALU_DEP_1)
	;; [unrolled: 5-line block ×3, first 2 shown]
	v_cndmask_b32_e64 v4, 0, v4, s0
	v_cmp_gt_i32_e64 s0, s21, v33
	v_dual_cndmask_b32 v40, 0, v40, s0 :: v_dual_bitop2_b32 v5, v49, v5 bitop3:0x54
.LBB103_38:                             ;   in Loop: Header=BB103_36 Depth=1
	s_or_b32 exec_lo, exec_lo, s11
	v_and_b32_e32 v42, 0xffff, v42
	v_and_b32_e32 v47, 0xffff, v47
	v_dual_lshlrev_b32 v26, 16, v26 :: v_dual_lshlrev_b32 v1, 16, v1
	v_lshlrev_b32_e32 v40, 16, v40
	v_and_b32_e32 v48, 0xffff, v48
	v_lshl_or_b32 v42, v41, 16, v42
	v_lshl_or_b32 v41, v45, 16, v47
	v_and_b32_e32 v45, 0xffff, v46
	v_and_or_b32 v2, 0xffff, v2, v26
	v_and_or_b32 v1, 0xffff, v3, v1
	v_and_or_b32 v3, 0xffff, v4, v40
	;;#ASMSTART
	v_pk_mul_f16 v2, v42, v2;

	;;#ASMEND
	;;#ASMSTART
	v_pk_mul_f16 v1, v41, v1;

	;;#ASMEND
	v_lshl_or_b32 v43, v43, 16, v48
	v_lshl_or_b32 v44, v44, 16, v45
	;;#ASMSTART
	v_pk_mul_f16 v3, v43, v3;

	;;#ASMEND
	;;#ASMSTART
	v_pk_mul_f16 v4, v44, v5;

	;;#ASMEND
	;;#ASMSTART
	v_pk_add_f16 v1, v2, v1;

	;;#ASMEND
	;;#ASMSTART
	v_pk_add_f16 v1, v1, v3;
	;; [unrolled: 4-line block ×3, first 2 shown]

	;;#ASMEND
	v_and_b32_e32 v2, 0xffff, v1
	v_lshrrev_b32_e32 v1, 16, v1
	;;#ASMSTART
	v_cvt_f32_f16 v45, v2;
	;;#ASMEND
	;;#ASMSTART
	v_cvt_f32_f16 v46, v1;
	;;#ASMEND
	global_load_b128 v[2:5], v[24:25], off offset:512
	s_wait_loadcnt 0x0
	v_dual_lshrrev_b32 v1, 16, v3 :: v_dual_lshrrev_b32 v26, 16, v2
	v_lshrrev_b32_e32 v40, 16, v4
	s_and_saveexec_b32 s11, vcc_lo
	s_cbranch_execz .LBB103_40
; %bb.39:                               ;   in Loop: Header=BB103_36 Depth=1
	v_cmp_gt_i32_e64 s0, s21, v30
	v_and_b32_e32 v47, 0xffff, v5
	v_and_b32_e32 v5, 0xffff0000, v5
	s_delay_alu instid0(VALU_DEP_3) | instskip(SKIP_1) | instid1(VALU_DEP_1)
	v_cndmask_b32_e64 v2, 0, v2, s0
	v_cmp_gt_i32_e64 s0, s21, v38
	v_cndmask_b32_e64 v3, 0, v3, s0
	v_cmp_gt_i32_e64 s0, s10, v39
	s_delay_alu instid0(VALU_DEP_1) | instskip(SKIP_1) | instid1(VALU_DEP_1)
	v_cndmask_b32_e64 v1, 0, v1, s0
	v_cmp_gt_i32_e64 s0, s21, v37
	v_cndmask_b32_e64 v26, 0, v26, s0
	v_cmp_gt_i32_e64 s0, s21, v36
	s_delay_alu instid0(VALU_DEP_1) | instskip(SKIP_1) | instid1(VALU_DEP_1)
	;; [unrolled: 5-line block ×3, first 2 shown]
	v_dual_cndmask_b32 v4, 0, v4, s0 :: v_dual_bitop2_b32 v5, v47, v5 bitop3:0x54
	v_cmp_gt_i32_e64 s0, s21, v33
	v_cndmask_b32_e64 v40, 0, v40, s0
.LBB103_40:                             ;   in Loop: Header=BB103_36 Depth=1
	s_or_b32 exec_lo, exec_lo, s11
	v_dual_lshlrev_b32 v26, 16, v26 :: v_dual_lshlrev_b32 v1, 16, v1
	s_delay_alu instid0(VALU_DEP_2) | instskip(NEXT) | instid1(VALU_DEP_2)
	v_lshlrev_b32_e32 v40, 16, v40
	v_and_or_b32 v2, 0xffff, v2, v26
	s_delay_alu instid0(VALU_DEP_3) | instskip(NEXT) | instid1(VALU_DEP_3)
	v_and_or_b32 v1, 0xffff, v3, v1
	v_and_or_b32 v3, 0xffff, v4, v40
	;;#ASMSTART
	v_pk_mul_f16 v2, v42, v2;

	;;#ASMEND
	;;#ASMSTART
	v_pk_mul_f16 v1, v41, v1;

	;;#ASMEND
	;; [unrolled: 4-line block ×4, first 2 shown]
	;;#ASMSTART
	v_pk_add_f16 v1, v2, v1;

	;;#ASMEND
	;;#ASMSTART
	v_pk_add_f16 v1, v1, v3;

	;;#ASMEND
	;; [unrolled: 4-line block ×3, first 2 shown]
	v_and_b32_e32 v2, 0xffff, v1
	v_lshrrev_b32_e32 v1, 16, v1
	;;#ASMSTART
	v_cvt_f32_f16 v47, v2;
	;;#ASMEND
	;;#ASMSTART
	v_cvt_f32_f16 v48, v1;
	;;#ASMEND
	global_load_b128 v[2:5], v[24:25], off offset:1024
	s_wait_loadcnt 0x0
	v_dual_lshrrev_b32 v1, 16, v3 :: v_dual_lshrrev_b32 v26, 16, v2
	v_lshrrev_b32_e32 v40, 16, v4
	s_and_saveexec_b32 s11, vcc_lo
	s_cbranch_execz .LBB103_42
; %bb.41:                               ;   in Loop: Header=BB103_36 Depth=1
	v_cmp_gt_i32_e64 s0, s21, v30
	v_and_b32_e32 v49, 0xffff, v5
	v_and_b32_e32 v5, 0xffff0000, v5
	s_delay_alu instid0(VALU_DEP_3) | instskip(SKIP_1) | instid1(VALU_DEP_1)
	v_cndmask_b32_e64 v2, 0, v2, s0
	v_cmp_gt_i32_e64 s0, s21, v38
	v_cndmask_b32_e64 v3, 0, v3, s0
	v_cmp_gt_i32_e64 s0, s10, v39
	s_delay_alu instid0(VALU_DEP_1) | instskip(SKIP_1) | instid1(VALU_DEP_1)
	v_cndmask_b32_e64 v1, 0, v1, s0
	v_cmp_gt_i32_e64 s0, s21, v37
	v_cndmask_b32_e64 v26, 0, v26, s0
	v_cmp_gt_i32_e64 s0, s21, v36
	s_delay_alu instid0(VALU_DEP_1) | instskip(SKIP_1) | instid1(VALU_DEP_1)
	;; [unrolled: 5-line block ×3, first 2 shown]
	v_cndmask_b32_e64 v4, 0, v4, s0
	v_cmp_gt_i32_e64 s0, s21, v33
	v_dual_cndmask_b32 v40, 0, v40, s0 :: v_dual_bitop2_b32 v5, v49, v5 bitop3:0x54
.LBB103_42:                             ;   in Loop: Header=BB103_36 Depth=1
	s_or_b32 exec_lo, exec_lo, s11
	v_dual_lshlrev_b32 v26, 16, v26 :: v_dual_lshlrev_b32 v1, 16, v1
	s_delay_alu instid0(VALU_DEP_2) | instskip(NEXT) | instid1(VALU_DEP_2)
	v_lshlrev_b32_e32 v40, 16, v40
	v_and_or_b32 v2, 0xffff, v2, v26
	s_delay_alu instid0(VALU_DEP_3) | instskip(NEXT) | instid1(VALU_DEP_3)
	v_and_or_b32 v1, 0xffff, v3, v1
	v_and_or_b32 v3, 0xffff, v4, v40
	;;#ASMSTART
	v_pk_mul_f16 v2, v42, v2;

	;;#ASMEND
	;;#ASMSTART
	v_pk_mul_f16 v1, v41, v1;

	;;#ASMEND
	;; [unrolled: 4-line block ×4, first 2 shown]
	;;#ASMSTART
	v_pk_add_f16 v1, v2, v1;

	;;#ASMEND
	;;#ASMSTART
	v_pk_add_f16 v1, v1, v3;

	;;#ASMEND
	;; [unrolled: 4-line block ×3, first 2 shown]
	v_and_b32_e32 v2, 0xffff, v1
	v_lshrrev_b32_e32 v1, 16, v1
	;;#ASMSTART
	v_cvt_f32_f16 v49, v2;
	;;#ASMEND
	;;#ASMSTART
	v_cvt_f32_f16 v50, v1;
	;;#ASMEND
	global_load_b128 v[2:5], v[24:25], off offset:1536
	s_wait_loadcnt 0x0
	v_dual_lshrrev_b32 v1, 16, v3 :: v_dual_lshrrev_b32 v26, 16, v2
	v_lshrrev_b32_e32 v40, 16, v4
	s_and_saveexec_b32 s11, vcc_lo
	s_cbranch_execz .LBB103_44
; %bb.43:                               ;   in Loop: Header=BB103_36 Depth=1
	v_cmp_gt_i32_e64 s0, s21, v30
	v_and_b32_e32 v51, 0xffff, v5
	v_and_b32_e32 v5, 0xffff0000, v5
	s_delay_alu instid0(VALU_DEP_3) | instskip(SKIP_1) | instid1(VALU_DEP_1)
	v_cndmask_b32_e64 v2, 0, v2, s0
	v_cmp_gt_i32_e64 s0, s21, v38
	v_cndmask_b32_e64 v3, 0, v3, s0
	v_cmp_gt_i32_e64 s0, s10, v39
	s_delay_alu instid0(VALU_DEP_1) | instskip(SKIP_1) | instid1(VALU_DEP_1)
	v_cndmask_b32_e64 v1, 0, v1, s0
	v_cmp_gt_i32_e64 s0, s21, v37
	v_cndmask_b32_e64 v26, 0, v26, s0
	v_cmp_gt_i32_e64 s0, s21, v36
	s_delay_alu instid0(VALU_DEP_1) | instskip(SKIP_1) | instid1(VALU_DEP_1)
	;; [unrolled: 5-line block ×3, first 2 shown]
	v_dual_cndmask_b32 v4, 0, v4, s0 :: v_dual_bitop2_b32 v5, v51, v5 bitop3:0x54
	v_cmp_gt_i32_e64 s0, s21, v33
	v_cndmask_b32_e64 v40, 0, v40, s0
.LBB103_44:                             ;   in Loop: Header=BB103_36 Depth=1
	s_or_b32 exec_lo, exec_lo, s11
	v_dual_lshlrev_b32 v26, 16, v26 :: v_dual_lshlrev_b32 v1, 16, v1
	s_delay_alu instid0(VALU_DEP_2) | instskip(NEXT) | instid1(VALU_DEP_2)
	v_lshlrev_b32_e32 v40, 16, v40
	v_and_or_b32 v2, 0xffff, v2, v26
	s_delay_alu instid0(VALU_DEP_3) | instskip(NEXT) | instid1(VALU_DEP_3)
	v_and_or_b32 v1, 0xffff, v3, v1
	v_and_or_b32 v3, 0xffff, v4, v40
	;;#ASMSTART
	v_pk_mul_f16 v2, v42, v2;

	;;#ASMEND
	;;#ASMSTART
	v_pk_mul_f16 v1, v41, v1;

	;;#ASMEND
	;; [unrolled: 4-line block ×4, first 2 shown]
	;;#ASMSTART
	v_pk_add_f16 v1, v2, v1;

	;;#ASMEND
	;;#ASMSTART
	v_pk_add_f16 v1, v1, v3;

	;;#ASMEND
	;; [unrolled: 4-line block ×3, first 2 shown]
	v_and_b32_e32 v2, 0xffff, v1
	v_lshrrev_b32_e32 v1, 16, v1
	;;#ASMSTART
	v_cvt_f32_f16 v51, v2;
	;;#ASMEND
	;;#ASMSTART
	v_cvt_f32_f16 v52, v1;
	;;#ASMEND
	global_load_b128 v[2:5], v[24:25], off offset:2048
	s_wait_loadcnt 0x0
	v_dual_lshrrev_b32 v1, 16, v3 :: v_dual_lshrrev_b32 v26, 16, v2
	v_lshrrev_b32_e32 v40, 16, v4
	s_and_saveexec_b32 s11, vcc_lo
	s_cbranch_execz .LBB103_46
; %bb.45:                               ;   in Loop: Header=BB103_36 Depth=1
	v_cmp_gt_i32_e64 s0, s21, v30
	v_and_b32_e32 v53, 0xffff, v5
	v_and_b32_e32 v5, 0xffff0000, v5
	s_delay_alu instid0(VALU_DEP_3) | instskip(SKIP_1) | instid1(VALU_DEP_1)
	v_cndmask_b32_e64 v2, 0, v2, s0
	v_cmp_gt_i32_e64 s0, s21, v38
	v_cndmask_b32_e64 v3, 0, v3, s0
	v_cmp_gt_i32_e64 s0, s10, v39
	s_delay_alu instid0(VALU_DEP_1) | instskip(SKIP_1) | instid1(VALU_DEP_1)
	v_cndmask_b32_e64 v1, 0, v1, s0
	v_cmp_gt_i32_e64 s0, s21, v37
	v_cndmask_b32_e64 v26, 0, v26, s0
	v_cmp_gt_i32_e64 s0, s21, v36
	s_delay_alu instid0(VALU_DEP_1) | instskip(SKIP_1) | instid1(VALU_DEP_1)
	;; [unrolled: 5-line block ×3, first 2 shown]
	v_cndmask_b32_e64 v4, 0, v4, s0
	v_cmp_gt_i32_e64 s0, s21, v33
	v_dual_cndmask_b32 v40, 0, v40, s0 :: v_dual_bitop2_b32 v5, v53, v5 bitop3:0x54
.LBB103_46:                             ;   in Loop: Header=BB103_36 Depth=1
	s_or_b32 exec_lo, exec_lo, s11
	v_dual_lshlrev_b32 v26, 16, v26 :: v_dual_lshlrev_b32 v1, 16, v1
	s_delay_alu instid0(VALU_DEP_2) | instskip(NEXT) | instid1(VALU_DEP_2)
	v_lshlrev_b32_e32 v40, 16, v40
	v_and_or_b32 v2, 0xffff, v2, v26
	s_delay_alu instid0(VALU_DEP_3) | instskip(NEXT) | instid1(VALU_DEP_3)
	v_and_or_b32 v1, 0xffff, v3, v1
	v_and_or_b32 v3, 0xffff, v4, v40
	;;#ASMSTART
	v_pk_mul_f16 v2, v42, v2;

	;;#ASMEND
	;;#ASMSTART
	v_pk_mul_f16 v1, v41, v1;

	;;#ASMEND
	;; [unrolled: 4-line block ×4, first 2 shown]
	;;#ASMSTART
	v_pk_add_f16 v1, v2, v1;

	;;#ASMEND
	;;#ASMSTART
	v_pk_add_f16 v1, v1, v3;

	;;#ASMEND
	;; [unrolled: 4-line block ×3, first 2 shown]
	v_and_b32_e32 v2, 0xffff, v1
	v_lshrrev_b32_e32 v1, 16, v1
	;;#ASMSTART
	v_cvt_f32_f16 v53, v2;
	;;#ASMEND
	;;#ASMSTART
	v_cvt_f32_f16 v54, v1;
	;;#ASMEND
	global_load_b128 v[2:5], v[24:25], off offset:2560
	s_wait_loadcnt 0x0
	v_dual_lshrrev_b32 v1, 16, v3 :: v_dual_lshrrev_b32 v26, 16, v2
	v_lshrrev_b32_e32 v40, 16, v4
	s_and_saveexec_b32 s11, vcc_lo
	s_cbranch_execz .LBB103_48
; %bb.47:                               ;   in Loop: Header=BB103_36 Depth=1
	v_cmp_gt_i32_e64 s0, s21, v30
	v_and_b32_e32 v55, 0xffff, v5
	v_and_b32_e32 v5, 0xffff0000, v5
	s_delay_alu instid0(VALU_DEP_3) | instskip(SKIP_1) | instid1(VALU_DEP_1)
	v_cndmask_b32_e64 v2, 0, v2, s0
	v_cmp_gt_i32_e64 s0, s21, v38
	v_cndmask_b32_e64 v3, 0, v3, s0
	v_cmp_gt_i32_e64 s0, s10, v39
	s_delay_alu instid0(VALU_DEP_1) | instskip(SKIP_1) | instid1(VALU_DEP_1)
	v_cndmask_b32_e64 v1, 0, v1, s0
	v_cmp_gt_i32_e64 s0, s21, v37
	v_cndmask_b32_e64 v26, 0, v26, s0
	v_cmp_gt_i32_e64 s0, s21, v36
	s_delay_alu instid0(VALU_DEP_1) | instskip(SKIP_1) | instid1(VALU_DEP_1)
	;; [unrolled: 5-line block ×3, first 2 shown]
	v_dual_cndmask_b32 v4, 0, v4, s0 :: v_dual_bitop2_b32 v5, v55, v5 bitop3:0x54
	v_cmp_gt_i32_e64 s0, s21, v33
	v_cndmask_b32_e64 v40, 0, v40, s0
.LBB103_48:                             ;   in Loop: Header=BB103_36 Depth=1
	s_or_b32 exec_lo, exec_lo, s11
	v_dual_lshlrev_b32 v26, 16, v26 :: v_dual_lshlrev_b32 v1, 16, v1
	s_delay_alu instid0(VALU_DEP_2) | instskip(NEXT) | instid1(VALU_DEP_2)
	v_lshlrev_b32_e32 v40, 16, v40
	v_and_or_b32 v2, 0xffff, v2, v26
	s_delay_alu instid0(VALU_DEP_3) | instskip(NEXT) | instid1(VALU_DEP_3)
	v_and_or_b32 v1, 0xffff, v3, v1
	v_and_or_b32 v3, 0xffff, v4, v40
	;;#ASMSTART
	v_pk_mul_f16 v2, v42, v2;

	;;#ASMEND
	;;#ASMSTART
	v_pk_mul_f16 v1, v41, v1;

	;;#ASMEND
	;; [unrolled: 4-line block ×4, first 2 shown]
	;;#ASMSTART
	v_pk_add_f16 v1, v2, v1;

	;;#ASMEND
	;;#ASMSTART
	v_pk_add_f16 v1, v1, v3;

	;;#ASMEND
	;; [unrolled: 4-line block ×3, first 2 shown]
	v_and_b32_e32 v2, 0xffff, v1
	v_lshrrev_b32_e32 v1, 16, v1
	;;#ASMSTART
	v_cvt_f32_f16 v55, v2;
	;;#ASMEND
	;;#ASMSTART
	v_cvt_f32_f16 v56, v1;
	;;#ASMEND
	global_load_b128 v[2:5], v[24:25], off offset:3072
	s_wait_loadcnt 0x0
	v_dual_lshrrev_b32 v1, 16, v3 :: v_dual_lshrrev_b32 v26, 16, v2
	v_lshrrev_b32_e32 v40, 16, v4
	s_and_saveexec_b32 s11, vcc_lo
	s_cbranch_execz .LBB103_50
; %bb.49:                               ;   in Loop: Header=BB103_36 Depth=1
	v_cmp_gt_i32_e64 s0, s21, v30
	v_and_b32_e32 v57, 0xffff, v5
	v_and_b32_e32 v5, 0xffff0000, v5
	s_delay_alu instid0(VALU_DEP_3) | instskip(SKIP_1) | instid1(VALU_DEP_1)
	v_cndmask_b32_e64 v2, 0, v2, s0
	v_cmp_gt_i32_e64 s0, s21, v38
	v_cndmask_b32_e64 v3, 0, v3, s0
	v_cmp_gt_i32_e64 s0, s10, v39
	s_delay_alu instid0(VALU_DEP_1) | instskip(SKIP_1) | instid1(VALU_DEP_1)
	v_cndmask_b32_e64 v1, 0, v1, s0
	v_cmp_gt_i32_e64 s0, s21, v37
	v_cndmask_b32_e64 v26, 0, v26, s0
	v_cmp_gt_i32_e64 s0, s21, v36
	s_delay_alu instid0(VALU_DEP_1) | instskip(SKIP_1) | instid1(VALU_DEP_1)
	v_cndmask_b32_e64 v57, 0, v57, s0
	v_cmp_gt_i32_e64 s0, s21, v35
	v_cndmask_b32_e64 v5, 0, v5, s0
	v_cmp_gt_i32_e64 s0, s21, v34
	s_delay_alu instid0(VALU_DEP_1) | instskip(SKIP_1) | instid1(VALU_DEP_1)
	v_cndmask_b32_e64 v4, 0, v4, s0
	v_cmp_gt_i32_e64 s0, s21, v33
	v_dual_cndmask_b32 v40, 0, v40, s0 :: v_dual_bitop2_b32 v5, v57, v5 bitop3:0x54
.LBB103_50:                             ;   in Loop: Header=BB103_36 Depth=1
	s_or_b32 exec_lo, exec_lo, s11
	v_dual_lshlrev_b32 v26, 16, v26 :: v_dual_lshlrev_b32 v1, 16, v1
	s_delay_alu instid0(VALU_DEP_2) | instskip(NEXT) | instid1(VALU_DEP_2)
	v_lshlrev_b32_e32 v40, 16, v40
	v_and_or_b32 v2, 0xffff, v2, v26
	s_delay_alu instid0(VALU_DEP_3) | instskip(NEXT) | instid1(VALU_DEP_3)
	v_and_or_b32 v1, 0xffff, v3, v1
	v_and_or_b32 v3, 0xffff, v4, v40
	;;#ASMSTART
	v_pk_mul_f16 v2, v42, v2;

	;;#ASMEND
	;;#ASMSTART
	v_pk_mul_f16 v1, v41, v1;

	;;#ASMEND
	;; [unrolled: 4-line block ×4, first 2 shown]
	;;#ASMSTART
	v_pk_add_f16 v1, v2, v1;

	;;#ASMEND
	;;#ASMSTART
	v_pk_add_f16 v1, v1, v3;

	;;#ASMEND
	;; [unrolled: 4-line block ×3, first 2 shown]
	v_and_b32_e32 v2, 0xffff, v1
	v_lshrrev_b32_e32 v1, 16, v1
	;;#ASMSTART
	v_cvt_f32_f16 v57, v2;
	;;#ASMEND
	;;#ASMSTART
	v_cvt_f32_f16 v58, v1;
	;;#ASMEND
	global_load_b128 v[2:5], v[24:25], off offset:3584
	s_wait_loadcnt 0x0
	v_dual_lshrrev_b32 v1, 16, v3 :: v_dual_lshrrev_b32 v26, 16, v2
	v_lshrrev_b32_e32 v40, 16, v4
	s_and_saveexec_b32 s11, vcc_lo
	s_cbranch_execz .LBB103_52
; %bb.51:                               ;   in Loop: Header=BB103_36 Depth=1
	v_cmp_gt_i32_e64 s0, s21, v30
	v_and_b32_e32 v59, 0xffff, v5
	v_and_b32_e32 v5, 0xffff0000, v5
	s_delay_alu instid0(VALU_DEP_3) | instskip(SKIP_1) | instid1(VALU_DEP_1)
	v_cndmask_b32_e64 v2, 0, v2, s0
	v_cmp_gt_i32_e64 s0, s21, v38
	v_cndmask_b32_e64 v3, 0, v3, s0
	v_cmp_gt_i32_e64 s0, s10, v39
	s_delay_alu instid0(VALU_DEP_1) | instskip(SKIP_1) | instid1(VALU_DEP_1)
	v_cndmask_b32_e64 v1, 0, v1, s0
	v_cmp_gt_i32_e64 s0, s21, v37
	v_cndmask_b32_e64 v26, 0, v26, s0
	v_cmp_gt_i32_e64 s0, s21, v36
	s_delay_alu instid0(VALU_DEP_1) | instskip(SKIP_1) | instid1(VALU_DEP_1)
	;; [unrolled: 5-line block ×3, first 2 shown]
	v_dual_cndmask_b32 v4, 0, v4, s0 :: v_dual_bitop2_b32 v5, v59, v5 bitop3:0x54
	v_cmp_gt_i32_e64 s0, s21, v33
	v_cndmask_b32_e64 v40, 0, v40, s0
.LBB103_52:                             ;   in Loop: Header=BB103_36 Depth=1
	s_or_b32 exec_lo, exec_lo, s11
	v_dual_lshlrev_b32 v26, 16, v26 :: v_dual_lshlrev_b32 v1, 16, v1
	s_delay_alu instid0(VALU_DEP_2) | instskip(NEXT) | instid1(VALU_DEP_2)
	v_lshlrev_b32_e32 v40, 16, v40
	v_and_or_b32 v2, 0xffff, v2, v26
	s_delay_alu instid0(VALU_DEP_3) | instskip(NEXT) | instid1(VALU_DEP_3)
	v_and_or_b32 v1, 0xffff, v3, v1
	v_and_or_b32 v3, 0xffff, v4, v40
	;;#ASMSTART
	v_pk_mul_f16 v2, v42, v2;

	;;#ASMEND
	;;#ASMSTART
	v_pk_mul_f16 v1, v41, v1;

	;;#ASMEND
	;; [unrolled: 4-line block ×4, first 2 shown]
	;;#ASMSTART
	v_pk_add_f16 v1, v2, v1;

	;;#ASMEND
	;;#ASMSTART
	v_pk_add_f16 v1, v1, v3;

	;;#ASMEND
	;; [unrolled: 4-line block ×3, first 2 shown]
	v_and_b32_e32 v2, 0xffff, v1
	v_lshrrev_b32_e32 v1, 16, v1
	;;#ASMSTART
	v_cvt_f32_f16 v59, v2;
	;;#ASMEND
	;;#ASMSTART
	v_cvt_f32_f16 v60, v1;
	;;#ASMEND
	global_load_b128 v[2:5], v[24:25], off offset:4096
	s_wait_loadcnt 0x0
	v_dual_lshrrev_b32 v1, 16, v3 :: v_dual_lshrrev_b32 v26, 16, v2
	v_lshrrev_b32_e32 v40, 16, v4
	s_and_saveexec_b32 s11, vcc_lo
	s_cbranch_execz .LBB103_54
; %bb.53:                               ;   in Loop: Header=BB103_36 Depth=1
	v_cmp_gt_i32_e64 s0, s21, v30
	v_and_b32_e32 v61, 0xffff, v5
	v_and_b32_e32 v5, 0xffff0000, v5
	s_delay_alu instid0(VALU_DEP_3) | instskip(SKIP_1) | instid1(VALU_DEP_1)
	v_cndmask_b32_e64 v2, 0, v2, s0
	v_cmp_gt_i32_e64 s0, s21, v38
	v_cndmask_b32_e64 v3, 0, v3, s0
	v_cmp_gt_i32_e64 s0, s10, v39
	s_delay_alu instid0(VALU_DEP_1) | instskip(SKIP_1) | instid1(VALU_DEP_1)
	v_cndmask_b32_e64 v1, 0, v1, s0
	v_cmp_gt_i32_e64 s0, s21, v37
	v_cndmask_b32_e64 v26, 0, v26, s0
	v_cmp_gt_i32_e64 s0, s21, v36
	s_delay_alu instid0(VALU_DEP_1) | instskip(SKIP_1) | instid1(VALU_DEP_1)
	;; [unrolled: 5-line block ×3, first 2 shown]
	v_cndmask_b32_e64 v4, 0, v4, s0
	v_cmp_gt_i32_e64 s0, s21, v33
	v_dual_cndmask_b32 v40, 0, v40, s0 :: v_dual_bitop2_b32 v5, v61, v5 bitop3:0x54
.LBB103_54:                             ;   in Loop: Header=BB103_36 Depth=1
	s_or_b32 exec_lo, exec_lo, s11
	v_dual_lshlrev_b32 v26, 16, v26 :: v_dual_lshlrev_b32 v1, 16, v1
	s_delay_alu instid0(VALU_DEP_2) | instskip(NEXT) | instid1(VALU_DEP_2)
	v_lshlrev_b32_e32 v40, 16, v40
	v_and_or_b32 v2, 0xffff, v2, v26
	s_delay_alu instid0(VALU_DEP_3) | instskip(NEXT) | instid1(VALU_DEP_3)
	v_and_or_b32 v1, 0xffff, v3, v1
	v_and_or_b32 v3, 0xffff, v4, v40
	;;#ASMSTART
	v_pk_mul_f16 v2, v42, v2;

	;;#ASMEND
	;;#ASMSTART
	v_pk_mul_f16 v1, v41, v1;

	;;#ASMEND
	;; [unrolled: 4-line block ×4, first 2 shown]
	;;#ASMSTART
	v_pk_add_f16 v1, v2, v1;

	;;#ASMEND
	;;#ASMSTART
	v_pk_add_f16 v1, v1, v3;

	;;#ASMEND
	;; [unrolled: 4-line block ×3, first 2 shown]
	v_and_b32_e32 v2, 0xffff, v1
	v_lshrrev_b32_e32 v1, 16, v1
	;;#ASMSTART
	v_cvt_f32_f16 v61, v2;
	;;#ASMEND
	;;#ASMSTART
	v_cvt_f32_f16 v62, v1;
	;;#ASMEND
	global_load_b128 v[2:5], v[24:25], off offset:4608
	s_wait_loadcnt 0x0
	v_dual_lshrrev_b32 v1, 16, v3 :: v_dual_lshrrev_b32 v26, 16, v2
	v_lshrrev_b32_e32 v40, 16, v4
	s_and_saveexec_b32 s11, vcc_lo
	s_cbranch_execz .LBB103_56
; %bb.55:                               ;   in Loop: Header=BB103_36 Depth=1
	v_cmp_gt_i32_e64 s0, s21, v30
	v_and_b32_e32 v63, 0xffff, v5
	v_and_b32_e32 v5, 0xffff0000, v5
	s_delay_alu instid0(VALU_DEP_3) | instskip(SKIP_1) | instid1(VALU_DEP_1)
	v_cndmask_b32_e64 v2, 0, v2, s0
	v_cmp_gt_i32_e64 s0, s21, v38
	v_cndmask_b32_e64 v3, 0, v3, s0
	v_cmp_gt_i32_e64 s0, s10, v39
	s_delay_alu instid0(VALU_DEP_1) | instskip(SKIP_1) | instid1(VALU_DEP_1)
	v_cndmask_b32_e64 v1, 0, v1, s0
	v_cmp_gt_i32_e64 s0, s21, v37
	v_cndmask_b32_e64 v26, 0, v26, s0
	v_cmp_gt_i32_e64 s0, s21, v36
	s_delay_alu instid0(VALU_DEP_1) | instskip(SKIP_1) | instid1(VALU_DEP_1)
	v_cndmask_b32_e64 v63, 0, v63, s0
	v_cmp_gt_i32_e64 s0, s21, v35
	v_cndmask_b32_e64 v5, 0, v5, s0
	v_cmp_gt_i32_e64 s0, s21, v34
	s_delay_alu instid0(VALU_DEP_1) | instskip(SKIP_1) | instid1(VALU_DEP_1)
	v_dual_cndmask_b32 v4, 0, v4, s0 :: v_dual_bitop2_b32 v5, v63, v5 bitop3:0x54
	v_cmp_gt_i32_e64 s0, s21, v33
	v_cndmask_b32_e64 v40, 0, v40, s0
.LBB103_56:                             ;   in Loop: Header=BB103_36 Depth=1
	s_or_b32 exec_lo, exec_lo, s11
	v_dual_lshlrev_b32 v26, 16, v26 :: v_dual_lshlrev_b32 v1, 16, v1
	s_delay_alu instid0(VALU_DEP_2) | instskip(NEXT) | instid1(VALU_DEP_2)
	v_lshlrev_b32_e32 v40, 16, v40
	v_and_or_b32 v2, 0xffff, v2, v26
	s_delay_alu instid0(VALU_DEP_3) | instskip(NEXT) | instid1(VALU_DEP_3)
	v_and_or_b32 v1, 0xffff, v3, v1
	v_and_or_b32 v3, 0xffff, v4, v40
	;;#ASMSTART
	v_pk_mul_f16 v2, v42, v2;

	;;#ASMEND
	;;#ASMSTART
	v_pk_mul_f16 v1, v41, v1;

	;;#ASMEND
	;; [unrolled: 4-line block ×4, first 2 shown]
	;;#ASMSTART
	v_pk_add_f16 v1, v2, v1;

	;;#ASMEND
	;;#ASMSTART
	v_pk_add_f16 v1, v1, v3;

	;;#ASMEND
	;; [unrolled: 4-line block ×3, first 2 shown]
	v_and_b32_e32 v2, 0xffff, v1
	v_lshrrev_b32_e32 v1, 16, v1
	;;#ASMSTART
	v_cvt_f32_f16 v63, v2;
	;;#ASMEND
	;;#ASMSTART
	v_cvt_f32_f16 v64, v1;
	;;#ASMEND
	global_load_b128 v[2:5], v[24:25], off offset:5120
	s_wait_loadcnt 0x0
	v_dual_lshrrev_b32 v1, 16, v3 :: v_dual_lshrrev_b32 v26, 16, v2
	v_lshrrev_b32_e32 v40, 16, v4
	s_and_saveexec_b32 s11, vcc_lo
	s_cbranch_execz .LBB103_58
; %bb.57:                               ;   in Loop: Header=BB103_36 Depth=1
	v_cmp_gt_i32_e64 s0, s21, v30
	v_and_b32_e32 v65, 0xffff, v5
	v_and_b32_e32 v5, 0xffff0000, v5
	s_delay_alu instid0(VALU_DEP_3) | instskip(SKIP_1) | instid1(VALU_DEP_1)
	v_cndmask_b32_e64 v2, 0, v2, s0
	v_cmp_gt_i32_e64 s0, s21, v38
	v_cndmask_b32_e64 v3, 0, v3, s0
	v_cmp_gt_i32_e64 s0, s10, v39
	s_delay_alu instid0(VALU_DEP_1) | instskip(SKIP_1) | instid1(VALU_DEP_1)
	v_cndmask_b32_e64 v1, 0, v1, s0
	v_cmp_gt_i32_e64 s0, s21, v37
	v_cndmask_b32_e64 v26, 0, v26, s0
	v_cmp_gt_i32_e64 s0, s21, v36
	s_delay_alu instid0(VALU_DEP_1) | instskip(SKIP_1) | instid1(VALU_DEP_1)
	;; [unrolled: 5-line block ×3, first 2 shown]
	v_cndmask_b32_e64 v4, 0, v4, s0
	v_cmp_gt_i32_e64 s0, s21, v33
	v_dual_cndmask_b32 v40, 0, v40, s0 :: v_dual_bitop2_b32 v5, v65, v5 bitop3:0x54
.LBB103_58:                             ;   in Loop: Header=BB103_36 Depth=1
	s_or_b32 exec_lo, exec_lo, s11
	v_dual_lshlrev_b32 v26, 16, v26 :: v_dual_lshlrev_b32 v1, 16, v1
	s_delay_alu instid0(VALU_DEP_2) | instskip(NEXT) | instid1(VALU_DEP_2)
	v_lshlrev_b32_e32 v40, 16, v40
	v_and_or_b32 v2, 0xffff, v2, v26
	s_delay_alu instid0(VALU_DEP_3) | instskip(NEXT) | instid1(VALU_DEP_3)
	v_and_or_b32 v1, 0xffff, v3, v1
	v_and_or_b32 v3, 0xffff, v4, v40
	;;#ASMSTART
	v_pk_mul_f16 v2, v42, v2;

	;;#ASMEND
	;;#ASMSTART
	v_pk_mul_f16 v1, v41, v1;

	;;#ASMEND
	;; [unrolled: 4-line block ×4, first 2 shown]
	;;#ASMSTART
	v_pk_add_f16 v1, v2, v1;

	;;#ASMEND
	;;#ASMSTART
	v_pk_add_f16 v1, v1, v3;

	;;#ASMEND
	;; [unrolled: 4-line block ×3, first 2 shown]
	v_and_b32_e32 v2, 0xffff, v1
	v_lshrrev_b32_e32 v1, 16, v1
	;;#ASMSTART
	v_cvt_f32_f16 v65, v2;
	;;#ASMEND
	;;#ASMSTART
	v_cvt_f32_f16 v66, v1;
	;;#ASMEND
	global_load_b128 v[2:5], v[24:25], off offset:5632
	s_wait_loadcnt 0x0
	v_dual_lshrrev_b32 v1, 16, v3 :: v_dual_lshrrev_b32 v26, 16, v2
	v_lshrrev_b32_e32 v40, 16, v4
	s_and_saveexec_b32 s11, vcc_lo
	s_cbranch_execz .LBB103_60
; %bb.59:                               ;   in Loop: Header=BB103_36 Depth=1
	v_cmp_gt_i32_e64 s0, s21, v30
	v_and_b32_e32 v67, 0xffff, v5
	v_and_b32_e32 v5, 0xffff0000, v5
	s_delay_alu instid0(VALU_DEP_3) | instskip(SKIP_1) | instid1(VALU_DEP_1)
	v_cndmask_b32_e64 v2, 0, v2, s0
	v_cmp_gt_i32_e64 s0, s21, v38
	v_cndmask_b32_e64 v3, 0, v3, s0
	v_cmp_gt_i32_e64 s0, s10, v39
	s_delay_alu instid0(VALU_DEP_1) | instskip(SKIP_1) | instid1(VALU_DEP_1)
	v_cndmask_b32_e64 v1, 0, v1, s0
	v_cmp_gt_i32_e64 s0, s21, v37
	v_cndmask_b32_e64 v26, 0, v26, s0
	v_cmp_gt_i32_e64 s0, s21, v36
	s_delay_alu instid0(VALU_DEP_1) | instskip(SKIP_1) | instid1(VALU_DEP_1)
	;; [unrolled: 5-line block ×3, first 2 shown]
	v_dual_cndmask_b32 v4, 0, v4, s0 :: v_dual_bitop2_b32 v5, v67, v5 bitop3:0x54
	v_cmp_gt_i32_e64 s0, s21, v33
	v_cndmask_b32_e64 v40, 0, v40, s0
.LBB103_60:                             ;   in Loop: Header=BB103_36 Depth=1
	s_or_b32 exec_lo, exec_lo, s11
	v_dual_lshlrev_b32 v26, 16, v26 :: v_dual_lshlrev_b32 v1, 16, v1
	s_delay_alu instid0(VALU_DEP_2) | instskip(NEXT) | instid1(VALU_DEP_2)
	v_lshlrev_b32_e32 v40, 16, v40
	v_and_or_b32 v2, 0xffff, v2, v26
	s_delay_alu instid0(VALU_DEP_3) | instskip(NEXT) | instid1(VALU_DEP_3)
	v_and_or_b32 v1, 0xffff, v3, v1
	v_and_or_b32 v3, 0xffff, v4, v40
	;;#ASMSTART
	v_pk_mul_f16 v2, v42, v2;

	;;#ASMEND
	;;#ASMSTART
	v_pk_mul_f16 v1, v41, v1;

	;;#ASMEND
	;; [unrolled: 4-line block ×4, first 2 shown]
	;;#ASMSTART
	v_pk_add_f16 v1, v2, v1;

	;;#ASMEND
	;;#ASMSTART
	v_pk_add_f16 v1, v1, v3;

	;;#ASMEND
	;; [unrolled: 4-line block ×3, first 2 shown]
	v_and_b32_e32 v2, 0xffff, v1
	v_lshrrev_b32_e32 v1, 16, v1
	;;#ASMSTART
	v_cvt_f32_f16 v67, v2;
	;;#ASMEND
	;;#ASMSTART
	v_cvt_f32_f16 v68, v1;
	;;#ASMEND
	global_load_b128 v[2:5], v[24:25], off offset:6144
	s_wait_loadcnt 0x0
	v_dual_lshrrev_b32 v1, 16, v3 :: v_dual_lshrrev_b32 v26, 16, v2
	v_lshrrev_b32_e32 v40, 16, v4
	s_and_saveexec_b32 s11, vcc_lo
	s_cbranch_execz .LBB103_62
; %bb.61:                               ;   in Loop: Header=BB103_36 Depth=1
	v_cmp_gt_i32_e64 s0, s21, v30
	v_and_b32_e32 v69, 0xffff, v5
	v_and_b32_e32 v5, 0xffff0000, v5
	s_delay_alu instid0(VALU_DEP_3) | instskip(SKIP_1) | instid1(VALU_DEP_1)
	v_cndmask_b32_e64 v2, 0, v2, s0
	v_cmp_gt_i32_e64 s0, s21, v38
	v_cndmask_b32_e64 v3, 0, v3, s0
	v_cmp_gt_i32_e64 s0, s10, v39
	s_delay_alu instid0(VALU_DEP_1) | instskip(SKIP_1) | instid1(VALU_DEP_1)
	v_cndmask_b32_e64 v1, 0, v1, s0
	v_cmp_gt_i32_e64 s0, s21, v37
	v_cndmask_b32_e64 v26, 0, v26, s0
	v_cmp_gt_i32_e64 s0, s21, v36
	s_delay_alu instid0(VALU_DEP_1) | instskip(SKIP_1) | instid1(VALU_DEP_1)
	;; [unrolled: 5-line block ×3, first 2 shown]
	v_cndmask_b32_e64 v4, 0, v4, s0
	v_cmp_gt_i32_e64 s0, s21, v33
	v_dual_cndmask_b32 v40, 0, v40, s0 :: v_dual_bitop2_b32 v5, v69, v5 bitop3:0x54
.LBB103_62:                             ;   in Loop: Header=BB103_36 Depth=1
	s_or_b32 exec_lo, exec_lo, s11
	v_dual_lshlrev_b32 v26, 16, v26 :: v_dual_lshlrev_b32 v1, 16, v1
	s_delay_alu instid0(VALU_DEP_2) | instskip(NEXT) | instid1(VALU_DEP_2)
	v_lshlrev_b32_e32 v40, 16, v40
	v_and_or_b32 v2, 0xffff, v2, v26
	s_delay_alu instid0(VALU_DEP_3) | instskip(NEXT) | instid1(VALU_DEP_3)
	v_and_or_b32 v1, 0xffff, v3, v1
	v_and_or_b32 v3, 0xffff, v4, v40
	;;#ASMSTART
	v_pk_mul_f16 v2, v42, v2;

	;;#ASMEND
	;;#ASMSTART
	v_pk_mul_f16 v1, v41, v1;

	;;#ASMEND
	;; [unrolled: 4-line block ×4, first 2 shown]
	;;#ASMSTART
	v_pk_add_f16 v1, v2, v1;

	;;#ASMEND
	;;#ASMSTART
	v_pk_add_f16 v1, v1, v3;

	;;#ASMEND
	;; [unrolled: 4-line block ×3, first 2 shown]
	v_and_b32_e32 v2, 0xffff, v1
	v_lshrrev_b32_e32 v1, 16, v1
	;;#ASMSTART
	v_cvt_f32_f16 v26, v2;
	;;#ASMEND
	;;#ASMSTART
	v_cvt_f32_f16 v40, v1;
	;;#ASMEND
	global_load_b128 v[2:5], v[24:25], off offset:6656
	s_wait_loadcnt 0x0
	v_dual_lshrrev_b32 v1, 16, v3 :: v_dual_lshrrev_b32 v24, 16, v2
	v_lshrrev_b32_e32 v25, 16, v4
	s_and_saveexec_b32 s0, vcc_lo
	s_cbranch_execz .LBB103_35
; %bb.63:                               ;   in Loop: Header=BB103_36 Depth=1
	v_cmp_gt_i32_e32 vcc_lo, s21, v30
	v_cndmask_b32_e32 v2, 0, v2, vcc_lo
	v_cmp_gt_i32_e32 vcc_lo, s21, v38
	v_and_b32_e32 v38, 0xffff, v5
	v_and_b32_e32 v5, 0xffff0000, v5
	v_cndmask_b32_e32 v3, 0, v3, vcc_lo
	v_cmp_gt_i32_e32 vcc_lo, s10, v39
	v_cndmask_b32_e32 v1, 0, v1, vcc_lo
	v_cmp_gt_i32_e32 vcc_lo, s21, v37
	;; [unrolled: 2-line block ×5, first 2 shown]
	s_delay_alu instid0(VALU_DEP_2)
	v_dual_cndmask_b32 v4, 0, v4, vcc_lo :: v_dual_bitop2_b32 v5, v36, v5 bitop3:0x54
	v_cmp_gt_i32_e32 vcc_lo, s21, v33
	v_cndmask_b32_e32 v25, 0, v25, vcc_lo
	s_branch .LBB103_35
.LBB103_64:
	s_or_b32 exec_lo, exec_lo, s5
.LBB103_65:
	s_delay_alu instid0(SALU_CYCLE_1)
	s_or_b32 exec_lo, exec_lo, s1
	ds_bpermute_b32 v2, v28, v18
	ds_bpermute_b32 v3, v28, v19
	;; [unrolled: 1-line block ×14, first 2 shown]
	v_and_b32_e32 v1, 28, v71
	v_and_b32_e32 v26, 0x3c3, v0
	s_mov_b32 s0, exec_lo
	s_wait_dscnt 0x0
	s_barrier_signal -1
	s_barrier_wait -1
	v_pk_add_f32 v[2:3], v[18:19], v[2:3]
	v_pk_add_f32 v[4:5], v[16:17], v[4:5]
	;; [unrolled: 1-line block ×5, first 2 shown]
	ds_bpermute_b32 v10, v27, v4
	v_pk_add_f32 v[24:25], v[8:9], v[30:31]
	ds_bpermute_b32 v8, v27, v2
	ds_bpermute_b32 v9, v27, v3
	;; [unrolled: 1-line block ×10, first 2 shown]
	v_pk_add_f32 v[14:15], v[6:7], v[32:33]
	ds_bpermute_b32 v39, v27, v25
	ds_bpermute_b32 v16, v27, v14
	;; [unrolled: 1-line block ×3, first 2 shown]
	s_wait_dscnt 0xb
	v_pk_add_f32 v[12:13], v[2:3], v[8:9]
	s_wait_dscnt 0xa
	v_pk_add_f32 v[10:11], v[4:5], v[10:11]
	;; [unrolled: 2-line block ×6, first 2 shown]
	v_cmpx_ne_u32_e32 64, v26
	s_xor_b32 s0, exec_lo, s0
	s_delay_alu instid0(SALU_CYCLE_1)
	s_or_saveexec_b32 s0, s0
	s_wait_dscnt 0x0
	v_pk_add_f32 v[14:15], v[14:15], v[16:17]
	v_lshrrev_b32_e32 v17, 2, v71
	v_add_nc_u32_e32 v16, 0x100, v1
	v_mul_u32_u24_e32 v1, 0x1c0, v70
	s_xor_b32 exec_lo, exec_lo, s0
	s_cbranch_execz .LBB103_67
; %bb.66:
	s_delay_alu instid0(VALU_DEP_1) | instskip(NEXT) | instid1(VALU_DEP_1)
	v_add_nc_u32_e32 v18, v16, v1
	v_add_nc_u32_e32 v19, 0xfffffc80, v18
	;; [unrolled: 1-line block ×9, first 2 shown]
	ds_store_b32 v19, v12
	ds_store_b32 v20, v13
	;; [unrolled: 1-line block ×8, first 2 shown]
	v_add_nc_u32_e32 v19, 0xfffffd80, v18
	v_add_nc_u32_e32 v20, 0xfffffda0, v18
	;; [unrolled: 1-line block ×6, first 2 shown]
	ds_store_b32 v19, v4
	ds_store_b32 v20, v5
	;; [unrolled: 1-line block ×6, first 2 shown]
.LBB103_67:
	s_or_b32 exec_lo, exec_lo, s0
	v_lshlrev_b32_e32 v17, 2, v17
	s_mov_b32 s1, exec_lo
	v_cmp_eq_u32_e32 vcc_lo, 0, v29
	s_wait_dscnt 0x0
	s_barrier_signal -1
	v_add3_u32 v1, 0x100, v1, v17
	s_barrier_wait -1
	v_cmpx_gt_u32_e32 64, v0
	s_cbranch_execz .LBB103_84
; %bb.68:
	s_and_saveexec_b32 s0, vcc_lo
	s_cbranch_execnz .LBB103_106
; %bb.69:
	s_or_b32 exec_lo, exec_lo, s0
	s_and_saveexec_b32 s0, vcc_lo
	s_cbranch_execnz .LBB103_107
.LBB103_70:
	s_or_b32 exec_lo, exec_lo, s0
	s_and_saveexec_b32 s0, vcc_lo
	s_cbranch_execnz .LBB103_108
.LBB103_71:
	s_or_b32 exec_lo, exec_lo, s0
	s_and_saveexec_b32 s0, vcc_lo
	s_cbranch_execnz .LBB103_109
.LBB103_72:
	s_or_b32 exec_lo, exec_lo, s0
	s_and_saveexec_b32 s0, vcc_lo
	s_cbranch_execnz .LBB103_110
.LBB103_73:
	s_or_b32 exec_lo, exec_lo, s0
	s_and_saveexec_b32 s0, vcc_lo
	s_cbranch_execnz .LBB103_111
.LBB103_74:
	s_or_b32 exec_lo, exec_lo, s0
	s_and_saveexec_b32 s0, vcc_lo
	s_cbranch_execnz .LBB103_112
.LBB103_75:
	s_or_b32 exec_lo, exec_lo, s0
	s_and_saveexec_b32 s0, vcc_lo
	s_cbranch_execnz .LBB103_113
.LBB103_76:
	s_or_b32 exec_lo, exec_lo, s0
	s_and_saveexec_b32 s0, vcc_lo
	s_cbranch_execnz .LBB103_114
.LBB103_77:
	s_or_b32 exec_lo, exec_lo, s0
	s_and_saveexec_b32 s0, vcc_lo
	s_cbranch_execnz .LBB103_115
.LBB103_78:
	s_or_b32 exec_lo, exec_lo, s0
	s_and_saveexec_b32 s0, vcc_lo
	s_cbranch_execnz .LBB103_116
.LBB103_79:
	s_or_b32 exec_lo, exec_lo, s0
	s_and_saveexec_b32 s0, vcc_lo
	s_cbranch_execnz .LBB103_117
.LBB103_80:
	s_or_b32 exec_lo, exec_lo, s0
	s_and_saveexec_b32 s0, vcc_lo
	s_cbranch_execnz .LBB103_118
.LBB103_81:
	s_or_b32 exec_lo, exec_lo, s0
	s_and_saveexec_b32 s0, vcc_lo
	s_cbranch_execz .LBB103_83
.LBB103_82:
	ds_load_b32 v17, v1 offset:416
	s_wait_dscnt 0x0
	v_add_f32_e32 v15, v15, v17
.LBB103_83:
	s_or_b32 exec_lo, exec_lo, s0
.LBB103_84:
	s_delay_alu instid0(SALU_CYCLE_1) | instskip(SKIP_4) | instid1(VALU_DEP_1)
	s_or_b32 exec_lo, exec_lo, s1
	v_and_b32_e32 v17, 0x3e3, v0
	s_mov_b32 s1, exec_lo
	s_barrier_signal -1
	s_barrier_wait -1
	v_cmpx_eq_u32_e32 32, v17
	s_cbranch_execz .LBB103_86
; %bb.85:
	ds_store_2addr_b32 v16, v12, v13 offset1:8
	ds_store_2addr_b32 v16, v10, v11 offset0:16 offset1:24
	ds_store_2addr_b32 v16, v8, v9 offset0:32 offset1:40
	;; [unrolled: 1-line block ×6, first 2 shown]
.LBB103_86:
	s_or_b32 exec_lo, exec_lo, s1
	s_delay_alu instid0(SALU_CYCLE_1)
	s_mov_b32 s1, exec_lo
	s_wait_dscnt 0x0
	s_barrier_signal -1
	s_barrier_wait -1
	v_cmpx_gt_u32_e32 32, v0
	s_cbranch_execz .LBB103_103
; %bb.87:
	s_and_saveexec_b32 s0, vcc_lo
	s_cbranch_execnz .LBB103_119
; %bb.88:
	s_or_b32 exec_lo, exec_lo, s0
	s_and_saveexec_b32 s0, vcc_lo
	s_cbranch_execnz .LBB103_120
.LBB103_89:
	s_or_b32 exec_lo, exec_lo, s0
	s_and_saveexec_b32 s0, vcc_lo
	s_cbranch_execnz .LBB103_121
.LBB103_90:
	s_or_b32 exec_lo, exec_lo, s0
	s_and_saveexec_b32 s0, vcc_lo
	s_cbranch_execnz .LBB103_122
.LBB103_91:
	s_or_b32 exec_lo, exec_lo, s0
	s_and_saveexec_b32 s0, vcc_lo
	s_cbranch_execnz .LBB103_123
.LBB103_92:
	s_or_b32 exec_lo, exec_lo, s0
	s_and_saveexec_b32 s0, vcc_lo
	s_cbranch_execnz .LBB103_124
.LBB103_93:
	s_or_b32 exec_lo, exec_lo, s0
	s_and_saveexec_b32 s0, vcc_lo
	s_cbranch_execnz .LBB103_125
.LBB103_94:
	s_or_b32 exec_lo, exec_lo, s0
	s_and_saveexec_b32 s0, vcc_lo
	s_cbranch_execnz .LBB103_126
.LBB103_95:
	s_or_b32 exec_lo, exec_lo, s0
	s_and_saveexec_b32 s0, vcc_lo
	s_cbranch_execnz .LBB103_127
.LBB103_96:
	s_or_b32 exec_lo, exec_lo, s0
	s_and_saveexec_b32 s0, vcc_lo
	s_cbranch_execnz .LBB103_128
.LBB103_97:
	s_or_b32 exec_lo, exec_lo, s0
	s_and_saveexec_b32 s0, vcc_lo
	s_cbranch_execnz .LBB103_129
.LBB103_98:
	s_or_b32 exec_lo, exec_lo, s0
	s_and_saveexec_b32 s0, vcc_lo
	s_cbranch_execnz .LBB103_130
.LBB103_99:
	s_or_b32 exec_lo, exec_lo, s0
	s_and_saveexec_b32 s0, vcc_lo
	s_cbranch_execnz .LBB103_131
.LBB103_100:
	s_or_b32 exec_lo, exec_lo, s0
	s_and_saveexec_b32 s0, vcc_lo
	s_cbranch_execz .LBB103_102
.LBB103_101:
	ds_load_b32 v1, v1 offset:416
	s_wait_dscnt 0x0
	v_add_f32_e32 v15, v15, v1
.LBB103_102:
	s_or_b32 exec_lo, exec_lo, s0
.LBB103_103:
	s_delay_alu instid0(SALU_CYCLE_1)
	s_or_b32 exec_lo, exec_lo, s1
	s_mov_b32 s1, 0
	s_barrier_signal -1
	s_barrier_wait -1
	s_mov_b32 s0, exec_lo
	v_cmpx_eq_u32_e32 0, v17
	s_cbranch_execz .LBB103_105
; %bb.104:
	s_mul_i32 s0, s20, s9
	s_mul_i32 s2, s9, s8
	;; [unrolled: 1-line block ×3, first 2 shown]
	s_lshr_b32 s8, ttmp7, 16
	s_mul_i32 s4, s0, 0x70
	s_bfe_u32 s0, ttmp6, 0x40014
	s_ashr_i32 s5, s4, 31
	s_add_co_i32 s0, s0, 1
	s_lshl_b64 s[4:5], s[4:5], 1
	s_ashr_i32 s3, s2, 31
	s_wait_kmcnt 0x0
	s_add_nc_u64 s[4:5], s[6:7], s[4:5]
	s_mul_i32 s0, s8, s0
	s_bfe_u32 s6, ttmp6, 0x40008
	s_lshl_b64 s[2:3], s[2:3], 1
	s_add_co_i32 s6, s6, s0
	s_cmp_eq_u32 s18, 0
	v_lshrrev_b32_e32 v0, 1, v0
	s_cselect_b32 s0, s8, s6
	s_add_nc_u64 s[2:3], s[4:5], s[2:3]
	s_mulk_i32 s0, 0xe0
	;;#ASMSTART
	v_cvt_f16_f32 v1, v12;

	;;#ASMEND
	s_add_nc_u64 s[0:1], s[2:3], s[0:1]
	global_store_b16 v0, v1, s[0:1]
	s_wait_xcnt 0x0
	;;#ASMSTART
	v_cvt_f16_f32 v1, v13;

	;;#ASMEND
	global_store_b16 v0, v1, s[0:1] offset:16
	s_wait_xcnt 0x0
	;;#ASMSTART
	v_cvt_f16_f32 v1, v10;

	;;#ASMEND
	global_store_b16 v0, v1, s[0:1] offset:32
	;; [unrolled: 6-line block ×13, first 2 shown]
.LBB103_105:
	s_sendmsg sendmsg(MSG_DEALLOC_VGPRS)
	s_endpgm
.LBB103_106:
	ds_load_b32 v17, v1
	s_wait_dscnt 0x0
	v_add_f32_e32 v12, v12, v17
	s_or_b32 exec_lo, exec_lo, s0
	s_and_saveexec_b32 s0, vcc_lo
	s_cbranch_execz .LBB103_70
.LBB103_107:
	ds_load_b32 v17, v1 offset:32
	s_wait_dscnt 0x0
	v_add_f32_e32 v13, v13, v17
	s_or_b32 exec_lo, exec_lo, s0
	s_and_saveexec_b32 s0, vcc_lo
	s_cbranch_execz .LBB103_71
.LBB103_108:
	ds_load_b32 v17, v1 offset:64
	s_wait_dscnt 0x0
	v_add_f32_e32 v10, v10, v17
	s_or_b32 exec_lo, exec_lo, s0
	s_and_saveexec_b32 s0, vcc_lo
	s_cbranch_execz .LBB103_72
.LBB103_109:
	ds_load_b32 v17, v1 offset:96
	s_wait_dscnt 0x0
	v_add_f32_e32 v11, v11, v17
	s_or_b32 exec_lo, exec_lo, s0
	s_and_saveexec_b32 s0, vcc_lo
	s_cbranch_execz .LBB103_73
.LBB103_110:
	ds_load_b32 v17, v1 offset:128
	s_wait_dscnt 0x0
	v_add_f32_e32 v8, v8, v17
	s_or_b32 exec_lo, exec_lo, s0
	s_and_saveexec_b32 s0, vcc_lo
	s_cbranch_execz .LBB103_74
.LBB103_111:
	ds_load_b32 v17, v1 offset:160
	s_wait_dscnt 0x0
	v_add_f32_e32 v9, v9, v17
	s_or_b32 exec_lo, exec_lo, s0
	s_and_saveexec_b32 s0, vcc_lo
	s_cbranch_execz .LBB103_75
.LBB103_112:
	ds_load_b32 v17, v1 offset:192
	s_wait_dscnt 0x0
	v_add_f32_e32 v6, v6, v17
	s_or_b32 exec_lo, exec_lo, s0
	s_and_saveexec_b32 s0, vcc_lo
	s_cbranch_execz .LBB103_76
.LBB103_113:
	ds_load_b32 v17, v1 offset:224
	s_wait_dscnt 0x0
	v_add_f32_e32 v7, v7, v17
	s_or_b32 exec_lo, exec_lo, s0
	s_and_saveexec_b32 s0, vcc_lo
	s_cbranch_execz .LBB103_77
.LBB103_114:
	ds_load_b32 v17, v1 offset:256
	s_wait_dscnt 0x0
	v_add_f32_e32 v4, v4, v17
	s_or_b32 exec_lo, exec_lo, s0
	s_and_saveexec_b32 s0, vcc_lo
	s_cbranch_execz .LBB103_78
.LBB103_115:
	ds_load_b32 v17, v1 offset:288
	s_wait_dscnt 0x0
	v_add_f32_e32 v5, v5, v17
	s_or_b32 exec_lo, exec_lo, s0
	s_and_saveexec_b32 s0, vcc_lo
	s_cbranch_execz .LBB103_79
.LBB103_116:
	ds_load_b32 v17, v1 offset:320
	s_wait_dscnt 0x0
	v_add_f32_e32 v2, v2, v17
	s_or_b32 exec_lo, exec_lo, s0
	s_and_saveexec_b32 s0, vcc_lo
	s_cbranch_execz .LBB103_80
.LBB103_117:
	ds_load_b32 v17, v1 offset:352
	s_wait_dscnt 0x0
	v_add_f32_e32 v3, v3, v17
	s_or_b32 exec_lo, exec_lo, s0
	s_and_saveexec_b32 s0, vcc_lo
	s_cbranch_execz .LBB103_81
.LBB103_118:
	ds_load_b32 v17, v1 offset:384
	s_wait_dscnt 0x0
	v_add_f32_e32 v14, v14, v17
	s_or_b32 exec_lo, exec_lo, s0
	s_and_saveexec_b32 s0, vcc_lo
	s_cbranch_execnz .LBB103_82
	s_branch .LBB103_83
.LBB103_119:
	ds_load_b32 v16, v1
	s_wait_dscnt 0x0
	v_add_f32_e32 v12, v12, v16
	s_or_b32 exec_lo, exec_lo, s0
	s_and_saveexec_b32 s0, vcc_lo
	s_cbranch_execz .LBB103_89
.LBB103_120:
	ds_load_b32 v16, v1 offset:32
	s_wait_dscnt 0x0
	v_add_f32_e32 v13, v13, v16
	s_or_b32 exec_lo, exec_lo, s0
	s_and_saveexec_b32 s0, vcc_lo
	s_cbranch_execz .LBB103_90
.LBB103_121:
	ds_load_b32 v16, v1 offset:64
	s_wait_dscnt 0x0
	v_add_f32_e32 v10, v10, v16
	s_or_b32 exec_lo, exec_lo, s0
	s_and_saveexec_b32 s0, vcc_lo
	s_cbranch_execz .LBB103_91
.LBB103_122:
	ds_load_b32 v16, v1 offset:96
	s_wait_dscnt 0x0
	v_add_f32_e32 v11, v11, v16
	s_or_b32 exec_lo, exec_lo, s0
	s_and_saveexec_b32 s0, vcc_lo
	s_cbranch_execz .LBB103_92
.LBB103_123:
	ds_load_b32 v16, v1 offset:128
	s_wait_dscnt 0x0
	v_add_f32_e32 v8, v8, v16
	s_or_b32 exec_lo, exec_lo, s0
	s_and_saveexec_b32 s0, vcc_lo
	s_cbranch_execz .LBB103_93
.LBB103_124:
	ds_load_b32 v16, v1 offset:160
	s_wait_dscnt 0x0
	v_add_f32_e32 v9, v9, v16
	s_or_b32 exec_lo, exec_lo, s0
	s_and_saveexec_b32 s0, vcc_lo
	s_cbranch_execz .LBB103_94
.LBB103_125:
	ds_load_b32 v16, v1 offset:192
	s_wait_dscnt 0x0
	v_add_f32_e32 v6, v6, v16
	s_or_b32 exec_lo, exec_lo, s0
	s_and_saveexec_b32 s0, vcc_lo
	s_cbranch_execz .LBB103_95
.LBB103_126:
	ds_load_b32 v16, v1 offset:224
	s_wait_dscnt 0x0
	v_add_f32_e32 v7, v7, v16
	s_or_b32 exec_lo, exec_lo, s0
	s_and_saveexec_b32 s0, vcc_lo
	s_cbranch_execz .LBB103_96
.LBB103_127:
	ds_load_b32 v16, v1 offset:256
	s_wait_dscnt 0x0
	v_add_f32_e32 v4, v4, v16
	s_or_b32 exec_lo, exec_lo, s0
	s_and_saveexec_b32 s0, vcc_lo
	s_cbranch_execz .LBB103_97
.LBB103_128:
	ds_load_b32 v16, v1 offset:288
	s_wait_dscnt 0x0
	v_add_f32_e32 v5, v5, v16
	s_or_b32 exec_lo, exec_lo, s0
	s_and_saveexec_b32 s0, vcc_lo
	s_cbranch_execz .LBB103_98
.LBB103_129:
	ds_load_b32 v16, v1 offset:320
	s_wait_dscnt 0x0
	v_add_f32_e32 v2, v2, v16
	s_or_b32 exec_lo, exec_lo, s0
	s_and_saveexec_b32 s0, vcc_lo
	s_cbranch_execz .LBB103_99
.LBB103_130:
	ds_load_b32 v16, v1 offset:352
	s_wait_dscnt 0x0
	v_add_f32_e32 v3, v3, v16
	s_or_b32 exec_lo, exec_lo, s0
	s_and_saveexec_b32 s0, vcc_lo
	s_cbranch_execz .LBB103_100
.LBB103_131:
	ds_load_b32 v16, v1 offset:384
	s_wait_dscnt 0x0
	v_add_f32_e32 v14, v14, v16
	s_or_b32 exec_lo, exec_lo, s0
	s_and_saveexec_b32 s0, vcc_lo
	s_cbranch_execnz .LBB103_101
	s_branch .LBB103_102
	.section	.rodata,"a",@progbits
	.p2align	6, 0x0
	.amdhsa_kernel _ZN4vllm25paged_attention_v1_kernelIttLi112ELi32ELi128ELNS_18Fp8KVCacheDataTypeE0ELb0EEEvPT_PKS2_PKT0_S8_ifPKiSA_iPKfiiiSC_SC_iiiii
		.amdhsa_group_segment_fixed_size 256
		.amdhsa_private_segment_fixed_size 0
		.amdhsa_kernarg_size 384
		.amdhsa_user_sgpr_count 2
		.amdhsa_user_sgpr_dispatch_ptr 0
		.amdhsa_user_sgpr_queue_ptr 0
		.amdhsa_user_sgpr_kernarg_segment_ptr 1
		.amdhsa_user_sgpr_dispatch_id 0
		.amdhsa_user_sgpr_kernarg_preload_length 0
		.amdhsa_user_sgpr_kernarg_preload_offset 0
		.amdhsa_user_sgpr_private_segment_size 0
		.amdhsa_wavefront_size32 1
		.amdhsa_uses_dynamic_stack 0
		.amdhsa_enable_private_segment 0
		.amdhsa_system_sgpr_workgroup_id_x 1
		.amdhsa_system_sgpr_workgroup_id_y 1
		.amdhsa_system_sgpr_workgroup_id_z 1
		.amdhsa_system_sgpr_workgroup_info 0
		.amdhsa_system_vgpr_workitem_id 0
		.amdhsa_next_free_vgpr 107
		.amdhsa_next_free_sgpr 28
		.amdhsa_named_barrier_count 0
		.amdhsa_reserve_vcc 1
		.amdhsa_float_round_mode_32 0
		.amdhsa_float_round_mode_16_64 0
		.amdhsa_float_denorm_mode_32 3
		.amdhsa_float_denorm_mode_16_64 3
		.amdhsa_fp16_overflow 0
		.amdhsa_memory_ordered 1
		.amdhsa_forward_progress 1
		.amdhsa_inst_pref_size 91
		.amdhsa_round_robin_scheduling 0
		.amdhsa_exception_fp_ieee_invalid_op 0
		.amdhsa_exception_fp_denorm_src 0
		.amdhsa_exception_fp_ieee_div_zero 0
		.amdhsa_exception_fp_ieee_overflow 0
		.amdhsa_exception_fp_ieee_underflow 0
		.amdhsa_exception_fp_ieee_inexact 0
		.amdhsa_exception_int_div_zero 0
	.end_amdhsa_kernel
	.section	.text._ZN4vllm25paged_attention_v1_kernelIttLi112ELi32ELi128ELNS_18Fp8KVCacheDataTypeE0ELb0EEEvPT_PKS2_PKT0_S8_ifPKiSA_iPKfiiiSC_SC_iiiii,"axG",@progbits,_ZN4vllm25paged_attention_v1_kernelIttLi112ELi32ELi128ELNS_18Fp8KVCacheDataTypeE0ELb0EEEvPT_PKS2_PKT0_S8_ifPKiSA_iPKfiiiSC_SC_iiiii,comdat
.Lfunc_end103:
	.size	_ZN4vllm25paged_attention_v1_kernelIttLi112ELi32ELi128ELNS_18Fp8KVCacheDataTypeE0ELb0EEEvPT_PKS2_PKT0_S8_ifPKiSA_iPKfiiiSC_SC_iiiii, .Lfunc_end103-_ZN4vllm25paged_attention_v1_kernelIttLi112ELi32ELi128ELNS_18Fp8KVCacheDataTypeE0ELb0EEEvPT_PKS2_PKT0_S8_ifPKiSA_iPKfiiiSC_SC_iiiii
                                        ; -- End function
	.set _ZN4vllm25paged_attention_v1_kernelIttLi112ELi32ELi128ELNS_18Fp8KVCacheDataTypeE0ELb0EEEvPT_PKS2_PKT0_S8_ifPKiSA_iPKfiiiSC_SC_iiiii.num_vgpr, 107
	.set _ZN4vllm25paged_attention_v1_kernelIttLi112ELi32ELi128ELNS_18Fp8KVCacheDataTypeE0ELb0EEEvPT_PKS2_PKT0_S8_ifPKiSA_iPKfiiiSC_SC_iiiii.num_agpr, 0
	.set _ZN4vllm25paged_attention_v1_kernelIttLi112ELi32ELi128ELNS_18Fp8KVCacheDataTypeE0ELb0EEEvPT_PKS2_PKT0_S8_ifPKiSA_iPKfiiiSC_SC_iiiii.numbered_sgpr, 28
	.set _ZN4vllm25paged_attention_v1_kernelIttLi112ELi32ELi128ELNS_18Fp8KVCacheDataTypeE0ELb0EEEvPT_PKS2_PKT0_S8_ifPKiSA_iPKfiiiSC_SC_iiiii.num_named_barrier, 0
	.set _ZN4vllm25paged_attention_v1_kernelIttLi112ELi32ELi128ELNS_18Fp8KVCacheDataTypeE0ELb0EEEvPT_PKS2_PKT0_S8_ifPKiSA_iPKfiiiSC_SC_iiiii.private_seg_size, 0
	.set _ZN4vllm25paged_attention_v1_kernelIttLi112ELi32ELi128ELNS_18Fp8KVCacheDataTypeE0ELb0EEEvPT_PKS2_PKT0_S8_ifPKiSA_iPKfiiiSC_SC_iiiii.uses_vcc, 1
	.set _ZN4vllm25paged_attention_v1_kernelIttLi112ELi32ELi128ELNS_18Fp8KVCacheDataTypeE0ELb0EEEvPT_PKS2_PKT0_S8_ifPKiSA_iPKfiiiSC_SC_iiiii.uses_flat_scratch, 0
	.set _ZN4vllm25paged_attention_v1_kernelIttLi112ELi32ELi128ELNS_18Fp8KVCacheDataTypeE0ELb0EEEvPT_PKS2_PKT0_S8_ifPKiSA_iPKfiiiSC_SC_iiiii.has_dyn_sized_stack, 0
	.set _ZN4vllm25paged_attention_v1_kernelIttLi112ELi32ELi128ELNS_18Fp8KVCacheDataTypeE0ELb0EEEvPT_PKS2_PKT0_S8_ifPKiSA_iPKfiiiSC_SC_iiiii.has_recursion, 0
	.set _ZN4vllm25paged_attention_v1_kernelIttLi112ELi32ELi128ELNS_18Fp8KVCacheDataTypeE0ELb0EEEvPT_PKS2_PKT0_S8_ifPKiSA_iPKfiiiSC_SC_iiiii.has_indirect_call, 0
	.section	.AMDGPU.csdata,"",@progbits
; Kernel info:
; codeLenInByte = 11596
; TotalNumSgprs: 30
; NumVgprs: 107
; ScratchSize: 0
; MemoryBound: 0
; FloatMode: 240
; IeeeMode: 1
; LDSByteSize: 256 bytes/workgroup (compile time only)
; SGPRBlocks: 0
; VGPRBlocks: 6
; NumSGPRsForWavesPerEU: 30
; NumVGPRsForWavesPerEU: 107
; NamedBarCnt: 0
; Occupancy: 9
; WaveLimiterHint : 1
; COMPUTE_PGM_RSRC2:SCRATCH_EN: 0
; COMPUTE_PGM_RSRC2:USER_SGPR: 2
; COMPUTE_PGM_RSRC2:TRAP_HANDLER: 0
; COMPUTE_PGM_RSRC2:TGID_X_EN: 1
; COMPUTE_PGM_RSRC2:TGID_Y_EN: 1
; COMPUTE_PGM_RSRC2:TGID_Z_EN: 1
; COMPUTE_PGM_RSRC2:TIDIG_COMP_CNT: 0
	.section	.text._ZN4vllm25paged_attention_v1_kernelIttLi120ELi32ELi128ELNS_18Fp8KVCacheDataTypeE0ELb0EEEvPT_PKS2_PKT0_S8_ifPKiSA_iPKfiiiSC_SC_iiiii,"axG",@progbits,_ZN4vllm25paged_attention_v1_kernelIttLi120ELi32ELi128ELNS_18Fp8KVCacheDataTypeE0ELb0EEEvPT_PKS2_PKT0_S8_ifPKiSA_iPKfiiiSC_SC_iiiii,comdat
	.protected	_ZN4vllm25paged_attention_v1_kernelIttLi120ELi32ELi128ELNS_18Fp8KVCacheDataTypeE0ELb0EEEvPT_PKS2_PKT0_S8_ifPKiSA_iPKfiiiSC_SC_iiiii ; -- Begin function _ZN4vllm25paged_attention_v1_kernelIttLi120ELi32ELi128ELNS_18Fp8KVCacheDataTypeE0ELb0EEEvPT_PKS2_PKT0_S8_ifPKiSA_iPKfiiiSC_SC_iiiii
	.globl	_ZN4vllm25paged_attention_v1_kernelIttLi120ELi32ELi128ELNS_18Fp8KVCacheDataTypeE0ELb0EEEvPT_PKS2_PKT0_S8_ifPKiSA_iPKfiiiSC_SC_iiiii
	.p2align	8
	.type	_ZN4vllm25paged_attention_v1_kernelIttLi120ELi32ELi128ELNS_18Fp8KVCacheDataTypeE0ELb0EEEvPT_PKS2_PKT0_S8_ifPKiSA_iPKfiiiSC_SC_iiiii,@function
_ZN4vllm25paged_attention_v1_kernelIttLi120ELi32ELi128ELNS_18Fp8KVCacheDataTypeE0ELb0EEEvPT_PKS2_PKT0_S8_ifPKiSA_iPKfiiiSC_SC_iiiii: ; @_ZN4vllm25paged_attention_v1_kernelIttLi120ELi32ELi128ELNS_18Fp8KVCacheDataTypeE0ELb0EEEvPT_PKS2_PKT0_S8_ifPKiSA_iPKfiiiSC_SC_iiiii
; %bb.0:
	s_load_b64 s[6:7], s[0:1], 0x20
	s_bfe_u32 s3, ttmp6, 0x4000c
	s_bfe_u32 s5, ttmp6, 0x40010
	s_and_b32 s4, ttmp7, 0xffff
	s_add_co_i32 s3, s3, 1
	s_add_co_i32 s5, s5, 1
	s_and_b32 s2, ttmp6, 15
	s_bfe_u32 s8, ttmp6, 0x40004
	s_mul_i32 s3, ttmp9, s3
	s_mul_i32 s5, s4, s5
	s_getreg_b32 s18, hwreg(HW_REG_IB_STS2, 6, 4)
	s_add_co_i32 s2, s2, s3
	s_add_co_i32 s8, s8, s5
	s_cmp_eq_u32 s18, 0
	s_clause 0x1
	s_load_b32 s19, s[0:1], 0x80
	s_load_b64 s[10:11], s[0:1], 0x30
	s_cselect_b32 s20, s4, s8
	s_cselect_b32 s8, ttmp9, s2
	s_wait_kmcnt 0x0
	s_abs_i32 s2, s6
	s_delay_alu instid0(SALU_CYCLE_1) | instskip(SKIP_1) | instid1(SALU_CYCLE_2)
	s_cvt_f32_u32 s3, s2
	s_sub_co_i32 s4, 0, s2
	v_rcp_iflag_f32_e32 v1, s3
	s_abs_i32 s5, s19
	v_nop
	s_delay_alu instid0(TRANS32_DEP_1) | instskip(SKIP_1) | instid1(SALU_CYCLE_3)
	v_readfirstlane_b32 s3, v1
	s_mul_f32 s3, s3, 0x4f7ffffe
	s_cvt_u32_f32 s3, s3
	s_delay_alu instid0(SALU_CYCLE_3) | instskip(NEXT) | instid1(SALU_CYCLE_1)
	s_mul_i32 s4, s4, s3
	s_mul_hi_u32 s4, s3, s4
	s_delay_alu instid0(SALU_CYCLE_1) | instskip(SKIP_4) | instid1(SALU_CYCLE_1)
	s_add_co_i32 s3, s3, s4
	s_xor_b32 s4, s19, s6
	s_mul_hi_u32 s3, s5, s3
	s_ashr_i32 s4, s4, 31
	s_mul_i32 s6, s3, s2
	s_sub_co_i32 s5, s5, s6
	s_add_co_i32 s6, s3, 1
	s_sub_co_i32 s9, s5, s2
	s_cmp_ge_u32 s5, s2
	s_cselect_b32 s3, s6, s3
	s_cselect_b32 s5, s9, s5
	s_add_co_i32 s6, s3, 1
	s_cmp_ge_u32 s5, s2
	s_cselect_b32 s2, s6, s3
	s_mov_b32 s3, 0
	s_xor_b32 s2, s2, s4
	s_mov_b32 s13, s3
	s_sub_co_i32 s15, s2, s4
	s_load_b64 s[4:5], s[0:1], 0x40
	s_abs_i32 s14, s15
	s_mov_b32 s23, s3
	s_cvt_f32_u32 s2, s14
	s_delay_alu instid0(SALU_CYCLE_3) | instskip(SKIP_1) | instid1(TRANS32_DEP_1)
	v_rcp_iflag_f32_e32 v1, s2
	v_nop
	v_readfirstlane_b32 s2, v1
	s_mul_f32 s2, s2, 0x4f7ffffe
	s_delay_alu instid0(SALU_CYCLE_3) | instskip(SKIP_1) | instid1(SALU_CYCLE_2)
	s_cvt_u32_f32 s6, s2
	s_sub_co_i32 s2, 0, s14
	s_mul_i32 s2, s2, s6
	s_delay_alu instid0(SALU_CYCLE_1)
	s_mul_hi_u32 s9, s6, s2
	s_abs_i32 s2, s8
	s_add_co_i32 s12, s6, s9
	s_wait_kmcnt 0x0
	s_cmp_eq_u64 s[4:5], 0
	s_cbranch_scc1 .LBB104_2
; %bb.1:
	s_ashr_i32 s9, s8, 31
	s_delay_alu instid0(SALU_CYCLE_1) | instskip(NEXT) | instid1(SALU_CYCLE_1)
	s_lshl_b64 s[16:17], s[8:9], 2
	s_add_nc_u64 s[4:5], s[4:5], s[16:17]
	s_load_b32 s23, s[4:5], 0x0
.LBB104_2:
	s_load_b32 s21, s[10:11], s20 offset:0x0 scale_offset
	s_wait_xcnt 0x0
	s_load_b96 s[4:6], s[0:1], 0x48
	v_lshlrev_b32_e32 v1, 4, v0
	s_ashr_i32 s10, s8, 31
	s_ashr_i32 s11, s15, 31
	s_mul_u64 s[12:13], s[2:3], s[12:13]
	s_mulk_i32 s8, 0x78
	s_mov_b32 s3, exec_lo
	v_cmpx_gt_u32_e32 15, v0
	s_cbranch_execz .LBB104_4
; %bb.3:
	s_load_b64 s[16:17], s[0:1], 0x8
	s_wait_kmcnt 0x0
	s_mul_i32 s24, s4, s20
	s_ashr_i32 s9, s8, 31
	s_ashr_i32 s25, s24, 31
	s_delay_alu instid0(SALU_CYCLE_1) | instskip(NEXT) | instid1(SALU_CYCLE_1)
	s_lshl_b64 s[24:25], s[24:25], 1
	s_add_nc_u64 s[16:17], s[16:17], s[24:25]
	s_lshl_b64 s[24:25], s[8:9], 1
	s_delay_alu instid0(SALU_CYCLE_1)
	s_add_nc_u64 s[16:17], s[16:17], s[24:25]
	global_load_b128 v[2:5], v0, s[16:17] scale_offset
	s_wait_loadcnt 0x0
	ds_store_b128 v1, v[2:5]
.LBB104_4:
	s_or_b32 exec_lo, exec_lo, s3
	s_wait_kmcnt 0x0
	s_add_co_i32 s3, s21, 31
	s_load_b32 s4, s[0:1], 0x38
	s_ashr_i32 s9, s3, 31
	s_xor_b32 s12, s10, s11
	s_lshr_b32 s9, s9, 27
	s_mul_i32 s10, s13, s14
	s_add_co_i32 s3, s3, s9
	s_sub_co_i32 s2, s2, s10
	s_clause 0x1
	s_load_b64 s[10:11], s[0:1], 0x28
	s_load_b32 s9, s[0:1], 0x88
	s_ashr_i32 s22, s3, 5
	s_add_co_i32 s3, s13, 1
	s_sub_co_i32 s15, s2, s14
	s_cmp_ge_u32 s2, s14
	v_dual_lshrrev_b32 v74, 5, v0 :: v_dual_bitop2_b32 v75, 31, v0 bitop3:0x40
	s_cselect_b32 s3, s3, s13
	s_cselect_b32 s2, s15, s2
	s_add_co_i32 s13, s3, 1
	s_cmp_ge_u32 s2, s14
	v_dual_mov_b32 v58, 0xff7fffff :: v_dual_lshlrev_b32 v77, 2, v75
	s_cselect_b32 s2, s13, s3
	v_lshrrev_b32_e32 v76, 3, v0
	s_xor_b32 s2, s2, s12
	s_wait_dscnt 0x0
	s_sub_co_i32 s3, s2, s12
	v_cmp_gt_i32_e64 s2, s22, v74
	s_wait_kmcnt 0x0
	s_mul_i32 s12, s4, s20
	s_mul_i32 s14, s3, s6
	s_ashr_i32 s13, s12, 31
	s_barrier_signal -1
	s_barrier_wait -1
	s_and_saveexec_b32 s6, s2
	s_cbranch_execz .LBB104_8
; %bb.5:
	s_load_b64 s[24:25], s[0:1], 0x10
	s_ashr_i32 s15, s14, 31
	v_dual_mov_b32 v59, 0 :: v_dual_lshlrev_b32 v58, 4, v75
	s_ashr_i32 s17, s5, 31
	s_lshl_b64 s[26:27], s[14:15], 1
	s_cmp_neq_f32 s23, 0
	v_lshl_or_b32 v2, v74, 7, v77
	v_lshl_or_b32 v78, v74, 5, v75
	v_mov_b32_e32 v80, v74
	s_cselect_b32 vcc_lo, -1, 0
	s_mov_b32 s16, s5
	v_add_nc_u32_e32 v79, 0x110, v2
	s_mov_b32 s15, 0
	s_wait_kmcnt 0x0
	s_add_nc_u64 s[24:25], s[24:25], s[26:27]
	s_delay_alu instid0(SALU_CYCLE_1) | instskip(SKIP_2) | instid1(SALU_CYCLE_1)
	v_add_nc_u64_e32 v[60:61], s[24:25], v[58:59]
	v_and_b32_e32 v58, 0x7c, v76
	s_lshl_b64 s[24:25], s[12:13], 2
	s_add_nc_u64 s[24:25], s[10:11], s[24:25]
	s_delay_alu instid0(VALU_DEP_1) | instid1(SALU_CYCLE_1)
	v_add_nc_u64_e32 v[62:63], s[24:25], v[58:59]
	v_mov_b32_e32 v58, 0xff7fffff
	s_sub_co_i32 s24, 1, s21
.LBB104_6:                              ; =>This Inner Loop Header: Depth=1
	global_load_b32 v6, v[62:63], off
	ds_load_b128 v[2:5], v59
	v_cmp_gt_i32_e64 s3, s21, v78
	s_wait_xcnt 0x0
	v_add_nc_u64_e32 v[62:63], 16, v[62:63]
	v_add_nc_u32_e32 v80, 4, v80
	s_delay_alu instid0(VALU_DEP_1)
	v_cmp_le_i32_e64 s4, s22, v80
	s_or_b32 s15, s4, s15
	s_wait_dscnt 0x0
	v_dual_lshrrev_b32 v69, 16, v2 :: v_dual_lshrrev_b32 v70, 16, v3
	v_and_b32_e32 v68, 0xffff, v2
	v_and_b32_e32 v71, 0xffff, v3
	v_dual_lshrrev_b32 v72, 16, v4 :: v_dual_lshrrev_b32 v85, 16, v5
	v_and_b32_e32 v73, 0xffff, v4
	v_and_b32_e32 v86, 0xffff, v5
	s_wait_loadcnt 0x0
	v_ashrrev_i32_e32 v7, 31, v6
	s_delay_alu instid0(VALU_DEP_1) | instskip(NEXT) | instid1(VALU_DEP_1)
	v_mul_u64_e32 v[2:3], s[16:17], v[6:7]
	v_lshl_add_u64 v[2:3], v[2:3], 1, v[60:61]
	s_clause 0xe
	global_load_b128 v[64:67], v[2:3], off
	global_load_b128 v[50:53], v[2:3], off offset:512
	global_load_b128 v[54:57], v[2:3], off offset:1024
	;; [unrolled: 1-line block ×14, first 2 shown]
	;;#ASMSTART
	v_cvt_f32_f16 v68, v68;
	;;#ASMEND
	;;#ASMSTART
	v_cvt_f32_f16 v69, v69;
	;;#ASMEND
	s_wait_loadcnt 0xe
	v_lshrrev_b32_e32 v83, 16, v64
	v_and_b32_e32 v64, 0xffff, v64
	v_dual_lshrrev_b32 v87, 16, v65 :: v_dual_lshrrev_b32 v88, 16, v66
	v_and_b32_e32 v65, 0xffff, v65
	v_and_b32_e32 v66, 0xffff, v66
	s_wait_loadcnt 0xd
	v_dual_lshrrev_b32 v91, 16, v67 :: v_dual_lshrrev_b32 v97, 16, v50
	v_and_b32_e32 v67, 0xffff, v67
	v_and_b32_e32 v96, 0xffff, v50
	;; [unrolled: 1-line block ×3, first 2 shown]
	v_dual_lshrrev_b32 v99, 16, v51 :: v_dual_lshrrev_b32 v90, 16, v52
	v_and_b32_e32 v89, 0xffff, v52
	v_lshrrev_b32_e32 v81, 16, v53
	v_and_b32_e32 v84, 0xffff, v53
	;;#ASMSTART
	v_cvt_f32_f16 v82, v64;
	;;#ASMEND
	;;#ASMSTART
	v_cvt_f32_f16 v83, v83;
	;;#ASMEND
	;;#ASMSTART
	v_cvt_f32_f16 v93, v71;
	;;#ASMEND
	;;#ASMSTART
	v_cvt_f32_f16 v92, v70;
	;;#ASMEND
	;;#ASMSTART
	v_cvt_f32_f16 v95, v65;
	;;#ASMEND
	;;#ASMSTART
	v_cvt_f32_f16 v94, v87;
	;;#ASMEND
	;;#ASMSTART
	v_cvt_f32_f16 v71, v73;
	;;#ASMEND
	;;#ASMSTART
	v_cvt_f32_f16 v70, v72;
	;;#ASMEND
	;;#ASMSTART
	v_cvt_f32_f16 v73, v66;
	;;#ASMEND
	;;#ASMSTART
	v_cvt_f32_f16 v72, v88;
	;;#ASMEND
	;;#ASMSTART
	v_cvt_f32_f16 v65, v86;
	;;#ASMEND
	;;#ASMSTART
	v_cvt_f32_f16 v64, v85;
	;;#ASMEND
	;;#ASMSTART
	v_cvt_f32_f16 v67, v67;
	;;#ASMEND
	;;#ASMSTART
	v_cvt_f32_f16 v66, v91;
	;;#ASMEND
	ds_load_b128 v[50:53], v59 offset:16
	s_wait_loadcnt 0xc
	v_lshrrev_b32_e32 v88, 16, v54
	s_wait_loadcnt 0xb
	v_and_b32_e32 v91, 0xffff, v47
	s_wait_loadcnt 0xa
	v_dual_lshrrev_b32 v104, 16, v42 :: v_dual_lshrrev_b32 v102, 16, v43
	v_and_b32_e32 v101, 0xffff, v43
	s_wait_loadcnt 0x9
	v_dual_lshrrev_b32 v43, 16, v41 :: v_dual_lshrrev_b32 v100, 16, v44
	v_and_b32_e32 v103, 0xffff, v42
	s_wait_loadcnt 0x8
	v_and_b32_e32 v42, 0xffff, v36
	s_wait_dscnt 0x0
	v_and_b32_e32 v85, 0xffff, v50
	v_lshrrev_b32_e32 v50, 16, v50
	;;#ASMSTART
	v_cvt_f32_f16 v86, v85;
	;;#ASMEND
	;;#ASMSTART
	v_cvt_f32_f16 v87, v50;
	;;#ASMEND
	;; [unrolled: 3-line block ×4, first 2 shown]
	v_pk_mul_f32 v[96:97], v[86:87], v[96:97]
	v_and_b32_e32 v50, 0xffff, v51
	v_and_b32_e32 v87, 0xffff, v54
	;; [unrolled: 1-line block ×3, first 2 shown]
	v_lshrrev_b32_e32 v86, 16, v55
	v_pk_fma_f32 v[68:69], v[68:69], v[82:83], v[96:97]
	v_and_b32_e32 v82, 0xffff, v56
	v_dual_lshrrev_b32 v83, 16, v56 :: v_dual_lshrrev_b32 v54, 16, v57
	v_lshrrev_b32_e32 v56, 16, v51
	;;#ASMSTART
	v_cvt_f32_f16 v51, v50;
	;;#ASMEND
	;;#ASMSTART
	v_cvt_f32_f16 v50, v56;
	;;#ASMEND
	v_and_b32_e32 v55, 0xffff, v57
	;;#ASMSTART
	v_cvt_f32_f16 v57, v98;
	;;#ASMEND
	;;#ASMSTART
	v_cvt_f32_f16 v56, v99;
	;;#ASMEND
	v_pk_mul_f32 v[50:51], v[50:51], v[56:57]
	v_and_b32_e32 v56, 0xffff, v46
	v_lshrrev_b32_e32 v57, 16, v46
	v_and_b32_e32 v46, 0xffff, v52
	v_and_b32_e32 v96, 0xffff, v49
	v_pk_fma_f32 v[50:51], v[92:93], v[94:95], v[50:51]
	v_dual_lshrrev_b32 v92, 16, v47 :: v_dual_lshrrev_b32 v94, 16, v48
	v_and_b32_e32 v93, 0xffff, v48
	v_dual_lshrrev_b32 v95, 16, v49 :: v_dual_lshrrev_b32 v48, 16, v52
	;;#ASMSTART
	v_cvt_f32_f16 v47, v46;
	;;#ASMEND
	;;#ASMSTART
	v_cvt_f32_f16 v46, v48;
	;;#ASMEND
	;;#ASMSTART
	v_cvt_f32_f16 v49, v89;
	;;#ASMEND
	;;#ASMSTART
	v_cvt_f32_f16 v48, v90;
	;;#ASMEND
	v_pk_mul_f32 v[46:47], v[46:47], v[48:49]
	v_and_b32_e32 v97, 0xffff, v38
	v_lshrrev_b32_e32 v98, 16, v38
	v_and_b32_e32 v38, 0xffff, v53
	v_and_b32_e32 v48, 0xffff, v41
	v_pk_fma_f32 v[46:47], v[70:71], v[72:73], v[46:47]
	v_and_b32_e32 v70, 0xffff, v40
	v_dual_lshrrev_b32 v71, 16, v40 :: v_dual_lshrrev_b32 v40, 16, v53
	v_and_b32_e32 v72, 0xffff, v39
	v_lshrrev_b32_e32 v73, 16, v39
	;;#ASMSTART
	v_cvt_f32_f16 v39, v38;
	;;#ASMEND
	;;#ASMSTART
	v_cvt_f32_f16 v38, v40;
	;;#ASMEND
	;;#ASMSTART
	v_cvt_f32_f16 v41, v84;
	;;#ASMEND
	;;#ASMSTART
	v_cvt_f32_f16 v40, v81;
	;;#ASMEND
	ds_load_b128 v[106:109], v59 offset:32
	v_pk_mul_f32 v[38:39], v[38:39], v[40:41]
	v_and_b32_e32 v99, 0xffff, v44
	v_lshrrev_b32_e32 v89, 16, v45
	v_and_b32_e32 v90, 0xffff, v45
	v_and_b32_e32 v53, 0xffff, v35
	v_pk_fma_f32 v[44:45], v[64:65], v[66:67], v[38:39]
	v_lshrrev_b32_e32 v66, 16, v34
	v_and_b32_e32 v65, 0xffff, v34
	s_wait_loadcnt 0x5
	v_dual_lshrrev_b32 v64, 16, v35 :: v_dual_lshrrev_b32 v49, 16, v22
	v_and_b32_e32 v52, 0xffff, v22
	v_lshrrev_b32_e32 v22, 16, v25
	s_wait_loadcnt 0x3
	v_and_b32_e32 v81, 0xffff, v14
	s_wait_dscnt 0x0
	v_and_b32_e32 v38, 0xffff, v106
	v_lshrrev_b32_e32 v39, 16, v106
	;;#ASMSTART
	v_cvt_f32_f16 v38, v38;
	;;#ASMEND
	;;#ASMSTART
	v_cvt_f32_f16 v39, v39;
	;;#ASMEND
	;; [unrolled: 3-line block ×4, first 2 shown]
	v_pk_fma_f32 v[68:69], v[38:39], v[40:41], v[68:69]
	v_and_b32_e32 v38, 0xffff, v107
	v_lshrrev_b32_e32 v40, 16, v107
	;;#ASMSTART
	v_cvt_f32_f16 v39, v38;
	;;#ASMEND
	;;#ASMSTART
	v_cvt_f32_f16 v38, v40;
	;;#ASMEND
	;; [unrolled: 3-line block ×4, first 2 shown]
	v_pk_fma_f32 v[50:51], v[38:39], v[40:41], v[50:51]
	v_dual_lshrrev_b32 v40, 16, v36 :: v_dual_lshrrev_b32 v39, 16, v37
	v_lshrrev_b32_e32 v36, 16, v108
	v_and_b32_e32 v34, 0xffff, v108
	v_and_b32_e32 v41, 0xffff, v37
	;;#ASMSTART
	v_cvt_f32_f16 v35, v34;
	;;#ASMEND
	;;#ASMSTART
	v_cvt_f32_f16 v34, v36;
	;;#ASMEND
	;; [unrolled: 3-line block ×4, first 2 shown]
	v_pk_fma_f32 v[86:87], v[34:35], v[36:37], v[46:47]
	v_dual_lshrrev_b32 v46, 16, v109 :: v_dual_lshrrev_b32 v36, 16, v30
	v_lshrrev_b32_e32 v34, 16, v31
	v_and_b32_e32 v38, 0xffff, v30
	v_and_b32_e32 v37, 0xffff, v31
	v_dual_lshrrev_b32 v31, 16, v32 :: v_dual_lshrrev_b32 v30, 16, v33
	v_and_b32_e32 v35, 0xffff, v32
	v_and_b32_e32 v32, 0xffff, v33
	;; [unrolled: 1-line block ×3, first 2 shown]
	;;#ASMSTART
	v_cvt_f32_f16 v47, v33;
	;;#ASMEND
	;;#ASMSTART
	v_cvt_f32_f16 v46, v46;
	;;#ASMEND
	;; [unrolled: 3-line block ×4, first 2 shown]
	ds_load_b128 v[82:85], v59 offset:48
	v_pk_fma_f32 v[54:55], v[46:47], v[54:55], v[44:45]
	s_wait_dscnt 0x0
	v_lshrrev_b32_e32 v45, 16, v82
	v_and_b32_e32 v33, 0xffff, v82
	;;#ASMSTART
	v_cvt_f32_f16 v44, v33;
	;;#ASMEND
	;;#ASMSTART
	v_cvt_f32_f16 v45, v45;
	;;#ASMEND
	;; [unrolled: 3-line block ×4, first 2 shown]
	v_pk_fma_f32 v[56:57], v[44:45], v[46:47], v[68:69]
	v_dual_lshrrev_b32 v33, 16, v26 :: v_dual_lshrrev_b32 v46, 16, v83
	v_and_b32_e32 v44, 0xffff, v83
	;;#ASMSTART
	v_cvt_f32_f16 v45, v44;
	;;#ASMEND
	;;#ASMSTART
	v_cvt_f32_f16 v44, v46;
	;;#ASMEND
	;; [unrolled: 3-line block ×4, first 2 shown]
	v_pk_fma_f32 v[68:69], v[44:45], v[46:47], v[50:51]
	v_dual_lshrrev_b32 v45, 16, v27 :: v_dual_lshrrev_b32 v44, 16, v28
	v_and_b32_e32 v50, 0xffff, v27
	v_and_b32_e32 v46, 0xffff, v28
	v_dual_lshrrev_b32 v27, 16, v29 :: v_dual_lshrrev_b32 v47, 16, v84
	v_and_b32_e32 v28, 0xffff, v29
	v_and_b32_e32 v29, 0xffff, v84
	;;#ASMSTART
	v_cvt_f32_f16 v83, v29;
	;;#ASMEND
	;;#ASMSTART
	v_cvt_f32_f16 v82, v47;
	;;#ASMEND
	;; [unrolled: 3-line block ×4, first 2 shown]
	v_pk_fma_f32 v[86:87], v[82:83], v[92:93], v[86:87]
	v_lshrrev_b32_e32 v29, 16, v23
	v_and_b32_e32 v51, 0xffff, v23
	v_lshrrev_b32_e32 v23, 16, v24
	v_and_b32_e32 v47, 0xffff, v24
	v_and_b32_e32 v24, 0xffff, v25
	;; [unrolled: 1-line block ×3, first 2 shown]
	v_lshrrev_b32_e32 v67, 16, v85
	;;#ASMSTART
	v_cvt_f32_f16 v83, v25;
	;;#ASMEND
	;;#ASMSTART
	v_cvt_f32_f16 v82, v67;
	;;#ASMEND
	;; [unrolled: 3-line block ×4, first 2 shown]
	v_pk_fma_f32 v[92:93], v[82:83], v[84:85], v[54:55]
	ds_load_b128 v[82:85], v59 offset:64
	v_dual_lshrrev_b32 v67, 16, v14 :: v_dual_lshrrev_b32 v14, 16, v17
	v_and_b32_e32 v26, 0xffff, v26
	s_wait_dscnt 0x0
	v_lshrrev_b32_e32 v55, 16, v82
	v_and_b32_e32 v25, 0xffff, v82
	;;#ASMSTART
	v_cvt_f32_f16 v54, v25;
	;;#ASMEND
	;;#ASMSTART
	v_cvt_f32_f16 v55, v55;
	;;#ASMEND
	;; [unrolled: 3-line block ×4, first 2 shown]
	v_pk_fma_f32 v[94:95], v[54:55], v[94:95], v[56:57]
	v_dual_lshrrev_b32 v25, 16, v18 :: v_dual_lshrrev_b32 v56, 16, v83
	v_and_b32_e32 v54, 0xffff, v83
	;;#ASMSTART
	v_cvt_f32_f16 v55, v54;
	;;#ASMEND
	;;#ASMSTART
	v_cvt_f32_f16 v54, v56;
	;;#ASMEND
	;; [unrolled: 3-line block ×4, first 2 shown]
	v_pk_fma_f32 v[82:83], v[54:55], v[56:57], v[68:69]
	v_dual_lshrrev_b32 v55, 16, v19 :: v_dual_lshrrev_b32 v54, 16, v20
	v_and_b32_e32 v69, 0xffff, v19
	v_and_b32_e32 v57, 0xffff, v20
	v_dual_lshrrev_b32 v19, 16, v21 :: v_dual_lshrrev_b32 v56, 16, v84
	v_and_b32_e32 v20, 0xffff, v21
	v_and_b32_e32 v21, 0xffff, v84
	;;#ASMSTART
	v_cvt_f32_f16 v103, v21;
	;;#ASMEND
	;;#ASMSTART
	v_cvt_f32_f16 v102, v56;
	;;#ASMEND
	;; [unrolled: 3-line block ×4, first 2 shown]
	v_lshrrev_b32_e32 v84, 16, v85
	v_pk_fma_f32 v[100:101], v[102:103], v[100:101], v[86:87]
	v_lshrrev_b32_e32 v21, 16, v15
	v_and_b32_e32 v68, 0xffff, v15
	v_lshrrev_b32_e32 v15, 16, v16
	v_and_b32_e32 v56, 0xffff, v16
	v_and_b32_e32 v16, 0xffff, v17
	;; [unrolled: 1-line block ×3, first 2 shown]
	;;#ASMSTART
	v_cvt_f32_f16 v85, v17;
	;;#ASMEND
	;;#ASMSTART
	v_cvt_f32_f16 v84, v84;
	;;#ASMEND
	;; [unrolled: 3-line block ×4, first 2 shown]
	v_pk_fma_f32 v[88:89], v[84:85], v[86:87], v[92:93]
	ds_load_b128 v[84:87], v59 offset:80
	v_and_b32_e32 v18, 0xffff, v18
	s_wait_dscnt 0x0
	v_and_b32_e32 v17, 0xffff, v84
	v_lshrrev_b32_e32 v84, 16, v84
	;;#ASMSTART
	v_cvt_f32_f16 v90, v17;
	;;#ASMEND
	;;#ASMSTART
	v_cvt_f32_f16 v91, v84;
	;;#ASMEND
	;; [unrolled: 3-line block ×4, first 2 shown]
	v_and_b32_e32 v84, 0xffff, v85
	v_pk_fma_f32 v[92:93], v[90:91], v[92:93], v[94:95]
	v_lshrrev_b32_e32 v90, 16, v85
	;;#ASMSTART
	v_cvt_f32_f16 v85, v84;
	;;#ASMEND
	;;#ASMSTART
	v_cvt_f32_f16 v84, v90;
	;;#ASMEND
	;; [unrolled: 3-line block ×4, first 2 shown]
	v_pk_fma_f32 v[94:95], v[84:85], v[90:91], v[82:83]
	s_wait_loadcnt 0x2
	v_dual_lshrrev_b32 v73, 16, v11 :: v_dual_lshrrev_b32 v72, 16, v12
	v_and_b32_e32 v83, 0xffff, v11
	v_dual_lshrrev_b32 v11, 16, v13 :: v_dual_lshrrev_b32 v84, 16, v86
	v_and_b32_e32 v82, 0xffff, v12
	v_and_b32_e32 v12, 0xffff, v13
	v_and_b32_e32 v13, 0xffff, v86
	;;#ASMSTART
	v_cvt_f32_f16 v85, v13;
	;;#ASMEND
	;;#ASMSTART
	v_cvt_f32_f16 v84, v84;
	;;#ASMEND
	;; [unrolled: 3-line block ×4, first 2 shown]
	v_pk_fma_f32 v[96:97], v[84:85], v[90:91], v[100:101]
	s_wait_loadcnt 0x1
	v_dual_lshrrev_b32 v84, 16, v6 :: v_dual_lshrrev_b32 v70, 16, v7
	v_and_b32_e32 v86, 0xffff, v6
	v_and_b32_e32 v6, 0xffff, v87
	;; [unrolled: 1-line block ×3, first 2 shown]
	v_lshrrev_b32_e32 v87, 16, v87
	;;#ASMSTART
	v_cvt_f32_f16 v7, v6;
	;;#ASMEND
	;;#ASMSTART
	v_cvt_f32_f16 v6, v87;
	;;#ASMEND
	;; [unrolled: 3-line block ×4, first 2 shown]
	v_pk_fma_f32 v[98:99], v[6:7], v[90:91], v[88:89]
	ds_load_b128 v[88:91], v59 offset:96
	s_wait_loadcnt 0x0
	v_lshrrev_b32_e32 v43, 16, v2
	v_lshrrev_b32_e32 v17, 16, v10
	v_and_b32_e32 v10, 0xffff, v10
	v_lshrrev_b32_e32 v13, 16, v8
	v_and_b32_e32 v71, 0xffff, v8
	;; [unrolled: 2-line block ×3, first 2 shown]
	s_wait_dscnt 0x0
	v_and_b32_e32 v6, 0xffff, v88
	v_lshrrev_b32_e32 v7, 16, v88
	;;#ASMSTART
	v_cvt_f32_f16 v6, v6;
	;;#ASMEND
	;;#ASMSTART
	v_cvt_f32_f16 v7, v7;
	;;#ASMEND
	;; [unrolled: 3-line block ×3, first 2 shown]
	v_lshrrev_b32_e32 v65, 16, v89
	;;#ASMSTART
	v_cvt_f32_f16 v101, v66;
	;;#ASMEND
	v_and_b32_e32 v48, 0xffff, v89
	;;#ASMSTART
	v_cvt_f32_f16 v89, v48;
	;;#ASMEND
	;;#ASMSTART
	v_cvt_f32_f16 v88, v65;
	;;#ASMEND
	;; [unrolled: 3-line block ×4, first 2 shown]
	v_pk_fma_f32 v[6:7], v[6:7], v[100:101], v[92:93]
	v_and_b32_e32 v53, 0xffff, v2
	v_pk_fma_f32 v[92:93], v[88:89], v[64:65], v[94:95]
	v_dual_lshrrev_b32 v64, 16, v3 :: v_dual_lshrrev_b32 v48, 16, v4
	v_and_b32_e32 v65, 0xffff, v3
	s_wait_xcnt 0x0
	v_dual_lshrrev_b32 v2, 16, v5 :: v_dual_lshrrev_b32 v66, 16, v90
	v_and_b32_e32 v3, 0xffff, v5
	v_and_b32_e32 v5, 0xffff, v90
	;; [unrolled: 1-line block ×3, first 2 shown]
	v_lshrrev_b32_e32 v94, 16, v91
	;;#ASMSTART
	v_cvt_f32_f16 v89, v5;
	;;#ASMEND
	;;#ASMSTART
	v_cvt_f32_f16 v88, v66;
	;;#ASMEND
	;; [unrolled: 3-line block ×8, first 2 shown]
	v_pk_fma_f32 v[96:97], v[88:89], v[90:91], v[96:97]
	ds_load_b128 v[88:91], v59 offset:112
	v_pk_fma_f32 v[40:41], v[94:95], v[40:41], v[98:99]
	v_add_nc_u32_e32 v5, s24, v78
	v_and_b32_e32 v4, 0xffff, v4
	v_add_nc_u32_e32 v78, 0x80, v78
	s_delay_alu instid0(VALU_DEP_3)
	v_cvt_f32_i32_e32 v42, v5
	s_wait_dscnt 0x0
	v_and_b32_e32 v39, 0xffff, v88
	v_dual_lshrrev_b32 v94, 16, v89 :: v_dual_lshrrev_b32 v100, 16, v90
	v_and_b32_e32 v98, 0xffff, v90
	v_and_b32_e32 v102, 0xffff, v91
	v_lshrrev_b32_e32 v66, 16, v88
	v_and_b32_e32 v87, 0xffff, v89
	v_lshrrev_b32_e32 v104, 16, v91
	;;#ASMSTART
	v_cvt_f32_f16 v88, v39;
	;;#ASMEND
	;;#ASMSTART
	v_cvt_f32_f16 v89, v66;
	;;#ASMEND
	;; [unrolled: 3-line block ×16, first 2 shown]
	ds_load_b128 v[34:37], v59 offset:128
	v_pk_fma_f32 v[6:7], v[88:89], v[38:39], v[6:7]
	v_pk_fma_f32 v[88:89], v[98:99], v[100:101], v[96:97]
	;; [unrolled: 1-line block ×4, first 2 shown]
	s_wait_dscnt 0x0
	v_dual_lshrrev_b32 v30, 16, v34 :: v_dual_lshrrev_b32 v32, 16, v35
	v_and_b32_e32 v31, 0xffff, v35
	v_dual_lshrrev_b32 v87, 16, v36 :: v_dual_lshrrev_b32 v98, 16, v37
	v_and_b32_e32 v96, 0xffff, v37
	v_and_b32_e32 v5, 0xffff, v34
	;; [unrolled: 1-line block ×3, first 2 shown]
	;;#ASMSTART
	v_cvt_f32_f16 v34, v5;
	;;#ASMEND
	;;#ASMSTART
	v_cvt_f32_f16 v35, v30;
	;;#ASMEND
	;;#ASMSTART
	v_cvt_f32_f16 v36, v26;
	;;#ASMEND
	;;#ASMSTART
	v_cvt_f32_f16 v37, v33;
	;;#ASMEND
	;;#ASMSTART
	v_cvt_f32_f16 v91, v31;
	;;#ASMEND
	;;#ASMSTART
	v_cvt_f32_f16 v90, v32;
	;;#ASMEND
	;;#ASMSTART
	v_cvt_f32_f16 v93, v50;
	;;#ASMEND
	;;#ASMSTART
	v_cvt_f32_f16 v92, v45;
	;;#ASMEND
	;;#ASMSTART
	v_cvt_f32_f16 v95, v66;
	;;#ASMEND
	;;#ASMSTART
	v_cvt_f32_f16 v94, v87;
	;;#ASMEND
	;;#ASMSTART
	v_cvt_f32_f16 v45, v46;
	;;#ASMEND
	;;#ASMSTART
	v_cvt_f32_f16 v44, v44;
	;;#ASMEND
	;;#ASMSTART
	v_cvt_f32_f16 v97, v96;
	;;#ASMEND
	;;#ASMSTART
	v_cvt_f32_f16 v96, v98;
	;;#ASMEND
	;;#ASMSTART
	v_cvt_f32_f16 v99, v28;
	;;#ASMEND
	;;#ASMSTART
	v_cvt_f32_f16 v98, v27;
	;;#ASMEND
	ds_load_b128 v[30:33], v59 offset:144
	v_pk_fma_f32 v[6:7], v[34:35], v[36:37], v[6:7]
	v_pk_fma_f32 v[34:35], v[90:91], v[92:93], v[38:39]
	v_pk_fma_f32 v[36:37], v[94:95], v[44:45], v[88:89]
	v_pk_fma_f32 v[38:39], v[96:97], v[98:99], v[40:41]
	s_wait_dscnt 0x0
	v_dual_lshrrev_b32 v26, 16, v30 :: v_dual_lshrrev_b32 v28, 16, v31
	v_and_b32_e32 v27, 0xffff, v31
	v_and_b32_e32 v46, 0xffff, v32
	v_dual_lshrrev_b32 v50, 16, v32 :: v_dual_lshrrev_b32 v87, 16, v33
	v_and_b32_e32 v5, 0xffff, v30
	v_and_b32_e32 v66, 0xffff, v33
	;;#ASMSTART
	v_cvt_f32_f16 v30, v5;
	;;#ASMEND
	;;#ASMSTART
	v_cvt_f32_f16 v31, v26;
	;;#ASMEND
	;;#ASMSTART
	v_cvt_f32_f16 v32, v52;
	;;#ASMEND
	;;#ASMSTART
	v_cvt_f32_f16 v33, v49;
	;;#ASMEND
	;;#ASMSTART
	v_cvt_f32_f16 v41, v27;
	;;#ASMEND
	;;#ASMSTART
	v_cvt_f32_f16 v40, v28;
	;;#ASMEND
	;;#ASMSTART
	v_cvt_f32_f16 v45, v51;
	;;#ASMEND
	;;#ASMSTART
	v_cvt_f32_f16 v44, v29;
	;;#ASMEND
	;;#ASMSTART
	v_cvt_f32_f16 v51, v46;
	;;#ASMEND
	;;#ASMSTART
	v_cvt_f32_f16 v50, v50;
	;;#ASMEND
	;;#ASMSTART
	v_cvt_f32_f16 v47, v47;
	;;#ASMEND
	;;#ASMSTART
	v_cvt_f32_f16 v46, v23;
	;;#ASMEND
	;;#ASMSTART
	v_cvt_f32_f16 v89, v66;
	;;#ASMEND
	;;#ASMSTART
	v_cvt_f32_f16 v88, v87;
	;;#ASMEND
	;;#ASMSTART
	v_cvt_f32_f16 v23, v24;
	;;#ASMEND
	;;#ASMSTART
	v_cvt_f32_f16 v22, v22;
	;;#ASMEND
	ds_load_b128 v[26:29], v59 offset:160
	v_pk_fma_f32 v[6:7], v[30:31], v[32:33], v[6:7]
	v_pk_fma_f32 v[30:31], v[40:41], v[44:45], v[34:35]
	v_pk_fma_f32 v[32:33], v[50:51], v[46:47], v[36:37]
	v_pk_fma_f32 v[34:35], v[88:89], v[22:23], v[38:39]
	s_wait_dscnt 0x0
	v_dual_lshrrev_b32 v22, 16, v26 :: v_dual_lshrrev_b32 v24, 16, v27
	v_and_b32_e32 v23, 0xffff, v27
	v_and_b32_e32 v40, 0xffff, v28
	v_dual_lshrrev_b32 v44, 16, v28 :: v_dual_lshrrev_b32 v46, 16, v29
	v_and_b32_e32 v47, 0xffff, v29
	v_and_b32_e32 v5, 0xffff, v26
	;; [unrolled: 60-line block ×5, first 2 shown]
	;;#ASMSTART
	v_cvt_f32_f16 v14, v6;
	;;#ASMEND
	;;#ASMSTART
	v_cvt_f32_f16 v15, v5;
	;;#ASMEND
	;; [unrolled: 3-line block ×16, first 2 shown]
	ds_load_b128 v[6:9], v59 offset:224
	v_pk_fma_f32 v[10:11], v[14:15], v[16:17], v[10:11]
	v_pk_fma_f32 v[14:15], v[22:23], v[24:25], v[18:19]
	;; [unrolled: 1-line block ×4, first 2 shown]
	s_wait_dscnt 0x0
	v_dual_lshrrev_b32 v5, 16, v6 :: v_dual_lshrrev_b32 v18, 16, v7
	v_and_b32_e32 v6, 0xffff, v6
	v_and_b32_e32 v19, 0xffff, v7
	;;#ASMSTART
	v_cvt_f32_f16 v6, v6;
	;;#ASMEND
	;;#ASMSTART
	v_cvt_f32_f16 v7, v5;
	;;#ASMEND
	v_dual_lshrrev_b32 v22, 16, v8 :: v_dual_lshrrev_b32 v24, 16, v9
	v_and_b32_e32 v23, 0xffff, v8
	v_and_b32_e32 v25, 0xffff, v9
	;;#ASMSTART
	v_cvt_f32_f16 v8, v53;
	;;#ASMEND
	;;#ASMSTART
	v_cvt_f32_f16 v9, v43;
	;;#ASMEND
	v_pk_fma_f32 v[6:7], v[6:7], v[8:9], v[10:11]
	;;#ASMSTART
	v_cvt_f32_f16 v19, v19;
	;;#ASMEND
	;;#ASMSTART
	v_cvt_f32_f16 v18, v18;
	;;#ASMEND
	;; [unrolled: 3-line block ×8, first 2 shown]
	v_pk_fma_f32 v[8:9], v[18:19], v[20:21], v[14:15]
	v_pk_fma_f32 v[4:5], v[22:23], v[4:5], v[16:17]
	v_add_f32_e32 v6, v6, v7
	;;#ASMSTART
	v_cvt_f32_f16 v7, v25;
	;;#ASMEND
	s_delay_alu instid0(VALU_DEP_1) | instskip(NEXT) | instid1(VALU_DEP_1)
	v_add_f32_e32 v6, v6, v9
	v_add_f32_e32 v8, v8, v6
	;;#ASMSTART
	v_cvt_f32_f16 v6, v24;
	;;#ASMEND
	;;#ASMSTART
	v_cvt_f32_f16 v3, v3;
	;;#ASMEND
	;; [unrolled: 3-line block ×3, first 2 shown]
	v_pk_fma_f32 v[2:3], v[6:7], v[2:3], v[12:13]
	v_add_f32_e32 v5, v8, v5
	s_delay_alu instid0(VALU_DEP_1) | instskip(NEXT) | instid1(VALU_DEP_1)
	v_dual_add_f32 v4, v4, v5 :: v_dual_mul_f32 v5, s23, v42
	v_dual_add_f32 v3, v4, v3 :: v_dual_cndmask_b32 v4, 0, v5
	s_delay_alu instid0(VALU_DEP_1) | instskip(NEXT) | instid1(VALU_DEP_1)
	v_add_f32_e32 v2, v2, v3
	v_fmac_f32_e32 v4, s7, v2
	s_delay_alu instid0(VALU_DEP_1) | instskip(NEXT) | instid1(VALU_DEP_1)
	v_dual_max_num_f32 v3, v58, v58 :: v_dual_cndmask_b32 v2, 0, v4, s3
	v_max_num_f32_e32 v3, v3, v4
	ds_store_b32 v79, v2
	v_cndmask_b32_e64 v58, v58, v3, s3
	v_add_nc_u32_e32 v79, 0x200, v79
	s_and_not1_b32 exec_lo, exec_lo, s15
	s_cbranch_execnz .LBB104_6
; %bb.7:
	s_or_b32 exec_lo, exec_lo, s15
.LBB104_8:
	s_delay_alu instid0(SALU_CYCLE_1) | instskip(SKIP_4) | instid1(VALU_DEP_1)
	s_or_b32 exec_lo, exec_lo, s6
	v_mbcnt_lo_u32_b32 v5, -1, 0
	s_clause 0x1
	s_load_b64 s[6:7], s[0:1], 0x0
	s_load_b64 s[16:17], s[0:1], 0x18
	v_dual_max_num_f32 v6, v58, v58 :: v_dual_bitop2_b32 v2, 16, v5 bitop3:0x14
	v_xor_b32_e32 v4, 8, v5
	s_delay_alu instid0(VALU_DEP_2) | instskip(SKIP_1) | instid1(VALU_DEP_3)
	v_cmp_gt_i32_e32 vcc_lo, 32, v2
	v_cndmask_b32_e32 v2, v5, v2, vcc_lo
	v_cmp_gt_i32_e32 vcc_lo, 32, v4
	s_delay_alu instid0(VALU_DEP_2) | instskip(SKIP_3) | instid1(VALU_DEP_1)
	v_dual_lshlrev_b32 v2, 2, v2 :: v_dual_cndmask_b32 v4, v5, v4, vcc_lo
	ds_bpermute_b32 v3, v2, v58
	s_wait_dscnt 0x0
	v_dual_max_num_f32 v7, v3, v3 :: v_dual_lshlrev_b32 v3, 2, v4
	v_dual_max_num_f32 v6, v6, v7 :: v_dual_bitop2_b32 v7, 4, v5 bitop3:0x14
	ds_bpermute_b32 v4, v3, v6
	v_cmp_gt_i32_e32 vcc_lo, 32, v7
	s_wait_dscnt 0x0
	v_dual_cndmask_b32 v7, v5, v7 :: v_dual_max_num_f32 v8, v4, v4
	s_delay_alu instid0(VALU_DEP_1) | instskip(SKIP_3) | instid1(VALU_DEP_1)
	v_dual_lshlrev_b32 v4, 2, v7 :: v_dual_max_num_f32 v6, v6, v8
	ds_bpermute_b32 v7, v4, v6
	s_wait_dscnt 0x0
	v_dual_max_num_f32 v7, v7, v7 :: v_dual_bitop2_b32 v8, 2, v5 bitop3:0x14
	v_cmp_gt_i32_e32 vcc_lo, 32, v8
	s_delay_alu instid0(VALU_DEP_2) | instskip(NEXT) | instid1(VALU_DEP_1)
	v_dual_max_num_f32 v6, v6, v7 :: v_dual_cndmask_b32 v8, v5, v8, vcc_lo
	v_dual_lshlrev_b32 v29, 2, v8 :: v_dual_bitop2_b32 v8, 1, v5 bitop3:0x14
	ds_bpermute_b32 v7, v29, v6
	v_cmp_gt_i32_e32 vcc_lo, 32, v8
	v_cndmask_b32_e32 v5, v5, v8, vcc_lo
	v_cmp_eq_u32_e32 vcc_lo, 0, v75
	s_delay_alu instid0(VALU_DEP_2) | instskip(SKIP_2) | instid1(VALU_DEP_1)
	v_dual_lshlrev_b32 v28, 2, v5 :: v_dual_lshlrev_b32 v5, 2, v74
	s_wait_dscnt 0x0
	v_max_num_f32_e32 v7, v7, v7
	v_max_num_f32_e32 v6, v6, v7
	ds_bpermute_b32 v7, v28, v6
	s_wait_xcnt 0x0
	s_and_saveexec_b32 s0, vcc_lo
	s_cbranch_execz .LBB104_10
; %bb.9:
	s_wait_dscnt 0x0
	v_dual_max_num_f32 v7, v7, v7 :: v_dual_max_num_f32 v6, v6, v6
	s_delay_alu instid0(VALU_DEP_1)
	v_max_num_f32_e32 v6, v6, v7
	ds_store_b32 v5, v6 offset:240
.LBB104_10:
	s_or_b32 exec_lo, exec_lo, s0
	v_cmp_gt_u32_e64 s0, 4, v75
	v_mov_b32_e32 v6, 0xff7fffff
	s_wait_dscnt 0x0
	s_barrier_signal -1
	s_barrier_wait -1
	s_and_saveexec_b32 s1, s0
; %bb.11:
	ds_load_b32 v6, v77 offset:240
; %bb.12:
	s_or_b32 exec_lo, exec_lo, s1
	s_wait_dscnt 0x0
	ds_bpermute_b32 v7, v29, v6
	v_max_num_f32_e32 v6, v6, v6
	s_lshl_b32 s1, s22, 5
	s_delay_alu instid0(SALU_CYCLE_1) | instskip(NEXT) | instid1(SALU_CYCLE_1)
	s_min_i32 s4, s1, s21
	v_cmp_gt_i32_e64 s1, s4, v0
	s_wait_dscnt 0x0
	v_max_num_f32_e32 v7, v7, v7
	s_delay_alu instid0(VALU_DEP_1) | instskip(SKIP_3) | instid1(VALU_DEP_1)
	v_max_num_f32_e32 v6, v6, v7
	ds_bpermute_b32 v7, v28, v6
	s_wait_dscnt 0x0
	v_max_num_f32_e32 v7, v7, v7
	v_dual_max_num_f32 v7, v6, v7 :: v_dual_mov_b32 v6, 0
	ds_bpermute_b32 v7, v6, v7
	s_and_saveexec_b32 s15, s1
	s_cbranch_execz .LBB104_16
; %bb.13:
	v_lshl_add_u32 v8, v0, 2, 0x110
	v_dual_mov_b32 v6, 0 :: v_dual_mov_b32 v9, v0
	s_mov_b32 s23, 0
.LBB104_14:                             ; =>This Inner Loop Header: Depth=1
	ds_load_b32 v10, v8
	v_add_nc_u32_e32 v9, 0x80, v9
	s_delay_alu instid0(VALU_DEP_1) | instskip(SKIP_3) | instid1(VALU_DEP_1)
	v_cmp_le_i32_e64 s3, s4, v9
	s_or_b32 s23, s3, s23
	s_wait_dscnt 0x0
	v_sub_f32_e32 v10, v10, v7
	v_mul_f32_e32 v10, 0x3fb8aa3b, v10
	s_delay_alu instid0(VALU_DEP_1)
	v_exp_f32_e32 v10, v10
	ds_store_b32 v8, v10
	v_nop
	v_add_f32_e32 v6, v6, v10
	v_add_nc_u32_e32 v8, 0x200, v8
	s_and_not1_b32 exec_lo, exec_lo, s23
	s_cbranch_execnz .LBB104_14
; %bb.15:
	s_or_b32 exec_lo, exec_lo, s23
.LBB104_16:
	s_delay_alu instid0(SALU_CYCLE_1)
	s_or_b32 exec_lo, exec_lo, s15
	ds_bpermute_b32 v2, v2, v6
	s_wait_dscnt 0x0
	v_add_f32_e32 v2, v6, v2
	ds_bpermute_b32 v3, v3, v2
	s_wait_dscnt 0x0
	v_add_f32_e32 v2, v2, v3
	;; [unrolled: 3-line block ×5, first 2 shown]
	s_and_saveexec_b32 s3, vcc_lo
; %bb.17:
	ds_store_b32 v5, v2 offset:256
; %bb.18:
	s_or_b32 exec_lo, exec_lo, s3
	s_wait_dscnt 0x0
	s_barrier_signal -1
	s_barrier_wait -1
	s_and_saveexec_b32 s3, s0
; %bb.19:
	ds_load_b32 v2, v77 offset:256
; %bb.20:
	s_or_b32 exec_lo, exec_lo, s3
	s_wait_dscnt 0x0
	ds_bpermute_b32 v3, v29, v2
	s_wait_dscnt 0x0
	v_dual_mov_b32 v7, 0 :: v_dual_add_f32 v2, v2, v3
	ds_bpermute_b32 v3, v28, v2
	s_wait_dscnt 0x0
	v_add_f32_e32 v2, v2, v3
	ds_bpermute_b32 v2, v7, v2
	s_and_saveexec_b32 s0, s1
	s_cbranch_execz .LBB104_33
; %bb.21:
	s_wait_dscnt 0x0
	v_add_f32_e32 v2, 0x358637bd, v2
	s_mov_b32 s3, -1
	s_mov_b32 s1, exec_lo
	s_delay_alu instid0(VALU_DEP_1) | instskip(NEXT) | instid1(VALU_DEP_1)
	v_div_scale_f32 v3, null, v2, v2, 1.0
	v_rcp_f32_e32 v5, v3
	v_nop
	s_delay_alu instid0(TRANS32_DEP_1) | instskip(NEXT) | instid1(VALU_DEP_1)
	v_fma_f32 v4, -v3, v5, 1.0
	v_fmac_f32_e32 v5, v4, v5
	v_div_scale_f32 v6, vcc_lo, 1.0, v2, 1.0
	s_delay_alu instid0(VALU_DEP_1) | instskip(NEXT) | instid1(VALU_DEP_1)
	v_mul_f32_e32 v8, v6, v5
	v_fma_f32 v4, -v3, v8, v6
	s_delay_alu instid0(VALU_DEP_1) | instskip(SKIP_1) | instid1(VALU_DEP_2)
	v_fmac_f32_e32 v8, v4, v5
	v_xad_u32 v4, v0, -1, s4
	v_fma_f32 v3, -v3, v8, v6
	s_delay_alu instid0(VALU_DEP_1) | instskip(NEXT) | instid1(VALU_DEP_1)
	v_div_fmas_f32 v3, v3, v5, v8
	v_div_fixup_f32 v2, v3, v2, 1.0
	v_mov_b32_e32 v3, v0
	v_cmpx_lt_u32_e32 0x7f, v4
	s_cbranch_execz .LBB104_30
; %bb.22:
	s_delay_alu instid0(VALU_DEP_3) | instskip(NEXT) | instid1(VALU_DEP_1)
	v_dual_mov_b32 v3, v2 :: v_dual_lshrrev_b32 v4, 7, v4
	v_dual_mov_b32 v9, 0 :: v_dual_add_nc_u32 v5, -1, v4
	s_delay_alu instid0(VALU_DEP_1) | instskip(SKIP_1) | instid1(VALU_DEP_2)
	v_lshrrev_b32_e32 v6, 1, v5
	v_cmp_lt_u32_e32 vcc_lo, 13, v5
	v_add_nc_u32_e32 v5, 1, v6
	s_and_saveexec_b32 s3, vcc_lo
	s_cbranch_execz .LBB104_26
; %bb.23:
	s_delay_alu instid0(VALU_DEP_1)
	v_and_b32_e32 v6, -8, v5
	v_lshl_add_u32 v8, v0, 2, 0x110
	s_mov_b32 s15, 0
	s_mov_b32 s23, 0
.LBB104_24:                             ; =>This Inner Loop Header: Depth=1
	ds_load_2addr_stride64_b32 v[10:11], v8 offset1:2
	ds_load_2addr_stride64_b32 v[12:13], v8 offset0:4 offset1:6
	ds_load_2addr_stride64_b32 v[14:15], v8 offset0:8 offset1:10
	ds_load_2addr_stride64_b32 v[16:17], v8 offset0:12 offset1:14
	ds_load_2addr_stride64_b32 v[18:19], v8 offset0:16 offset1:18
	ds_load_2addr_stride64_b32 v[20:21], v8 offset0:20 offset1:22
	ds_load_2addr_stride64_b32 v[22:23], v8 offset0:24 offset1:26
	ds_load_2addr_stride64_b32 v[24:25], v8 offset0:28 offset1:30
	s_add_co_i32 s23, s23, 16
	s_delay_alu instid0(SALU_CYCLE_1) | instskip(NEXT) | instid1(VALU_DEP_1)
	v_dual_mov_b32 v9, s23 :: v_dual_add_nc_u32 v6, -8, v6
	v_cmp_eq_u32_e32 vcc_lo, 0, v6
	s_or_b32 s15, vcc_lo, s15
	s_wait_dscnt 0x7
	v_pk_mul_f32 v[10:11], v[2:3], v[10:11]
	s_wait_dscnt 0x6
	v_pk_mul_f32 v[12:13], v[2:3], v[12:13]
	;; [unrolled: 2-line block ×8, first 2 shown]
	ds_store_2addr_stride64_b32 v8, v10, v11 offset1:2
	ds_store_2addr_stride64_b32 v8, v12, v13 offset0:4 offset1:6
	ds_store_2addr_stride64_b32 v8, v14, v15 offset0:8 offset1:10
	;; [unrolled: 1-line block ×7, first 2 shown]
	v_add_nc_u32_e32 v8, 0x2000, v8
	s_and_not1_b32 exec_lo, exec_lo, s15
	s_cbranch_execnz .LBB104_24
; %bb.25:
	s_or_b32 exec_lo, exec_lo, s15
.LBB104_26:
	s_delay_alu instid0(SALU_CYCLE_1) | instskip(NEXT) | instid1(VALU_DEP_1)
	s_or_b32 exec_lo, exec_lo, s3
	v_and_b32_e32 v5, 7, v5
	s_mov_b32 s15, 0
	s_mov_b32 s3, exec_lo
	s_delay_alu instid0(VALU_DEP_1)
	v_cmpx_ne_u32_e32 0, v5
	s_cbranch_execz .LBB104_29
; %bb.27:
	v_dual_lshlrev_b32 v6, 9, v9 :: v_dual_lshlrev_b32 v8, 2, v0
	s_delay_alu instid0(VALU_DEP_1)
	v_add3_u32 v6, v6, v8, 0x110
.LBB104_28:                             ; =>This Inner Loop Header: Depth=1
	ds_load_2addr_stride64_b32 v[8:9], v6 offset1:2
	v_add_nc_u32_e32 v5, -1, v5
	s_delay_alu instid0(VALU_DEP_1)
	v_cmp_eq_u32_e32 vcc_lo, 0, v5
	s_or_b32 s15, vcc_lo, s15
	s_wait_dscnt 0x0
	v_pk_mul_f32 v[8:9], v[2:3], v[8:9]
	ds_store_2addr_stride64_b32 v6, v8, v9 offset1:2
	v_add_nc_u32_e32 v6, 0x400, v6
	s_and_not1_b32 exec_lo, exec_lo, s15
	s_cbranch_execnz .LBB104_28
.LBB104_29:
	s_or_b32 exec_lo, exec_lo, s3
	v_add_nc_u32_e32 v3, 1, v4
	s_delay_alu instid0(VALU_DEP_1) | instskip(NEXT) | instid1(VALU_DEP_1)
	v_and_b32_e32 v4, 0x3fffffe, v3
	v_cmp_ne_u32_e32 vcc_lo, v3, v4
	v_lshl_add_u32 v3, v4, 7, v0
	s_or_not1_b32 s3, vcc_lo, exec_lo
.LBB104_30:
	s_or_b32 exec_lo, exec_lo, s1
	s_delay_alu instid0(SALU_CYCLE_1)
	s_and_b32 exec_lo, exec_lo, s3
	s_cbranch_execz .LBB104_33
; %bb.31:
	v_lshl_add_u32 v4, v3, 2, 0x110
	s_mov_b32 s1, 0
.LBB104_32:                             ; =>This Inner Loop Header: Depth=1
	ds_load_b32 v5, v4
	v_add_nc_u32_e32 v3, 0x80, v3
	s_delay_alu instid0(VALU_DEP_1)
	v_cmp_le_i32_e32 vcc_lo, s4, v3
	s_or_b32 s1, vcc_lo, s1
	s_wait_dscnt 0x0
	v_mul_f32_e32 v5, v2, v5
	ds_store_b32 v4, v5
	v_add_nc_u32_e32 v4, 0x200, v4
	s_and_not1_b32 exec_lo, exec_lo, s1
	s_cbranch_execnz .LBB104_32
.LBB104_33:
	s_or_b32 exec_lo, exec_lo, s0
	v_dual_mov_b32 v6, 0 :: v_dual_bitop2_b32 v30, 3, v0 bitop3:0x40
	v_dual_mov_b32 v11, 0 :: v_dual_mov_b32 v10, 0
	v_dual_mov_b32 v13, 0 :: v_dual_mov_b32 v12, 0
	;; [unrolled: 1-line block ×6, first 2 shown]
	v_mov_b32_e32 v9, 0
	s_wait_dscnt 0x0
	s_barrier_signal -1
	s_barrier_wait -1
	s_and_saveexec_b32 s1, s2
	s_cbranch_execz .LBB104_67
; %bb.34:
	v_dual_mov_b32 v9, 0 :: v_dual_lshlrev_b32 v2, 3, v0
	s_ashr_i32 s15, s14, 31
	v_and_b32_e32 v8, 0x1f0, v1
	s_lshl_b64 s[14:15], s[14:15], 1
	s_delay_alu instid0(VALU_DEP_2)
	v_dual_mov_b32 v7, v9 :: v_dual_bitop2_b32 v1, 24, v2 bitop3:0x40
	v_dual_lshlrev_b32 v2, 5, v30 :: v_dual_mov_b32 v6, v9
	s_wait_kmcnt 0x0
	s_add_nc_u64 s[14:15], s[16:17], s[14:15]
	s_ashr_i32 s3, s5, 31
	v_add_nc_u64_e32 v[22:23], s[14:15], v[8:9]
	v_and_b32_e32 v8, 0x7c, v76
	s_mov_b32 s2, s5
	s_lshl_b64 s[4:5], s[12:13], 2
	v_lshl_or_b32 v2, v74, 7, v2
	s_add_nc_u64 s[4:5], s[10:11], s[4:5]
	v_lshl_or_b32 v31, v74, 5, v1
	v_add_nc_u64_e32 v[24:25], s[4:5], v[8:9]
	s_delay_alu instid0(VALU_DEP_3)
	v_dual_mov_b32 v11, v9 :: v_dual_add_nc_u32 v32, 0x110, v2
	v_dual_mov_b32 v10, v9 :: v_dual_mov_b32 v13, v9
	v_dual_mov_b32 v12, v9 :: v_dual_mov_b32 v15, v9
	;; [unrolled: 1-line block ×6, first 2 shown]
	s_add_co_i32 s4, s22, -1
	s_mov_b32 s10, s21
	s_mov_b32 s5, 0
	s_branch .LBB104_36
.LBB104_35:                             ;   in Loop: Header=BB104_36 Depth=1
	s_or_b32 exec_lo, exec_lo, s0
	v_dual_add_f32 v27, v41, v72 :: v_dual_add_f32 v34, v70, v71
	v_dual_lshlrev_b32 v8, 16, v8 :: v_dual_lshlrev_b32 v1, 16, v1
	s_delay_alu instid0(VALU_DEP_2) | instskip(NEXT) | instid1(VALU_DEP_3)
	v_dual_add_f32 v7, v7, v27 :: v_dual_lshlrev_b32 v26, 16, v26
	v_dual_add_f32 v6, v6, v34 :: v_dual_add_f32 v27, v64, v65
	v_add_f32_e32 v34, v62, v63
	s_delay_alu instid0(VALU_DEP_4)
	v_and_or_b32 v2, 0xffff, v2, v8
	v_and_or_b32 v1, 0xffff, v3, v1
	v_dual_add_f32 v35, v68, v69 :: v_dual_add_f32 v36, v66, v67
	v_dual_add_f32 v37, v56, v57 :: v_dual_add_f32 v13, v13, v27
	v_add_f32_e32 v27, v54, v55
	v_and_or_b32 v3, 0xffff, v4, v26
	;;#ASMSTART
	v_pk_mul_f16 v2, v43, v2;

	;;#ASMEND
	;;#ASMSTART
	v_pk_mul_f16 v1, v42, v1;

	;;#ASMEND
	;; [unrolled: 4-line block ×4, first 2 shown]
	;;#ASMSTART
	v_pk_add_f16 v1, v2, v1;

	;;#ASMEND
	;;#ASMSTART
	v_pk_add_f16 v1, v1, v3;

	;;#ASMEND
	;; [unrolled: 4-line block ×3, first 2 shown]
	v_and_b32_e32 v4, 0xffff, v1
	v_dual_lshrrev_b32 v5, 16, v1 :: v_dual_add_f32 v3, v46, v47
	v_add_nc_u32_e32 v33, 4, v33
	;;#ASMSTART
	v_cvt_f32_f16 v4, v4;
	;;#ASMEND
	v_dual_add_f32 v11, v11, v35 :: v_dual_add_f32 v10, v10, v36
	v_dual_add_f32 v35, v60, v61 :: v_dual_add_f32 v36, v58, v59
	v_add_f32_e32 v12, v12, v34
	v_dual_add_f32 v34, v52, v53 :: v_dual_add_f32 v1, v50, v51
	;;#ASMSTART
	v_cvt_f32_f16 v5, v5;
	;;#ASMEND
	v_add_f32_e32 v4, v4, v5
	v_add_f32_e32 v2, v48, v49
	;; [unrolled: 1-line block ×3, first 2 shown]
	v_cmp_le_i32_e32 vcc_lo, s22, v33
	v_add_nc_u64_e32 v[24:25], 16, v[24:25]
	v_dual_add_f32 v15, v15, v35 :: v_dual_add_f32 v14, v14, v36
	v_dual_add_f32 v17, v17, v37 :: v_dual_add_f32 v16, v16, v27
	;; [unrolled: 1-line block ×3, first 2 shown]
	v_add_nc_u32_e32 v31, 0x80, v31
	v_add_f32_e32 v9, v9, v4
	v_dual_add_f32 v21, v21, v2 :: v_dual_add_nc_u32 v32, 0x200, v32
	s_or_b32 s5, vcc_lo, s5
	s_delay_alu instid0(SALU_CYCLE_1)
	s_and_not1_b32 exec_lo, exec_lo, s5
	s_cbranch_execz .LBB104_66
.LBB104_36:                             ; =>This Inner Loop Header: Depth=1
	global_load_b32 v2, v[24:25], off
	v_cmp_eq_u32_e32 vcc_lo, s4, v33
	v_dual_add_nc_u32 v39, 2, v31 :: v_dual_bitop2_b32 v38, 1, v31 bitop3:0x54
	s_wait_loadcnt 0x0
	v_ashrrev_i32_e32 v3, 31, v2
	s_delay_alu instid0(VALU_DEP_1)
	v_mul_u64_e32 v[26:27], s[2:3], v[2:3]
	ds_load_2addr_b64 v[2:5], v32 offset1:1
	ds_load_2addr_b64 v[34:37], v32 offset0:2 offset1:3
	s_wait_dscnt 0x1
	;;#ASMSTART
	v_cvt_f16_f32 v43, v2;

	;;#ASMEND
	;;#ASMSTART
	v_cvt_f16_f32 v42, v3;

	;;#ASMEND
	;; [unrolled: 4-line block ×4, first 2 shown]
	s_wait_dscnt 0x0
	;;#ASMSTART
	v_cvt_f16_f32 v49, v34;

	;;#ASMEND
	;;#ASMSTART
	v_cvt_f16_f32 v44, v35;

	;;#ASMEND
	;; [unrolled: 4-line block ×4, first 2 shown]
	v_dual_add_nc_u32 v35, 4, v31 :: v_dual_add_nc_u32 v34, 5, v31
	v_dual_add_nc_u32 v37, 6, v31 :: v_dual_add_nc_u32 v36, 7, v31
	v_lshl_add_u64 v[26:27], v[26:27], 1, v[22:23]
	global_load_b128 v[2:5], v[26:27], off
	s_wait_loadcnt 0x0
	v_dual_lshrrev_b32 v8, 16, v2 :: v_dual_bitop2_b32 v40, 3, v31 bitop3:0x54
	v_dual_lshrrev_b32 v1, 16, v3 :: v_dual_lshrrev_b32 v41, 16, v4
	s_and_saveexec_b32 s11, vcc_lo
	s_cbranch_execz .LBB104_38
; %bb.37:                               ;   in Loop: Header=BB104_36 Depth=1
	v_cmp_gt_i32_e64 s0, s21, v31
	v_and_b32_e32 v50, 0xffff, v5
	v_and_b32_e32 v5, 0xffff0000, v5
	s_delay_alu instid0(VALU_DEP_3) | instskip(SKIP_1) | instid1(VALU_DEP_1)
	v_cndmask_b32_e64 v2, 0, v2, s0
	v_cmp_gt_i32_e64 s0, s21, v39
	v_cndmask_b32_e64 v3, 0, v3, s0
	v_cmp_gt_i32_e64 s0, s10, v40
	s_delay_alu instid0(VALU_DEP_1) | instskip(SKIP_1) | instid1(VALU_DEP_1)
	v_cndmask_b32_e64 v1, 0, v1, s0
	v_cmp_gt_i32_e64 s0, s21, v38
	v_cndmask_b32_e64 v8, 0, v8, s0
	v_cmp_gt_i32_e64 s0, s21, v37
	s_delay_alu instid0(VALU_DEP_1) | instskip(SKIP_1) | instid1(VALU_DEP_1)
	;; [unrolled: 5-line block ×3, first 2 shown]
	v_dual_cndmask_b32 v4, 0, v4, s0 :: v_dual_bitop2_b32 v5, v50, v5 bitop3:0x54
	v_cmp_gt_i32_e64 s0, s21, v34
	v_cndmask_b32_e64 v41, 0, v41, s0
.LBB104_38:                             ;   in Loop: Header=BB104_36 Depth=1
	s_or_b32 exec_lo, exec_lo, s11
	v_and_b32_e32 v43, 0xffff, v43
	v_and_b32_e32 v48, 0xffff, v48
	v_dual_lshlrev_b32 v8, 16, v8 :: v_dual_lshlrev_b32 v1, 16, v1
	v_lshlrev_b32_e32 v41, 16, v41
	v_and_b32_e32 v49, 0xffff, v49
	v_lshl_or_b32 v43, v42, 16, v43
	v_lshl_or_b32 v42, v46, 16, v48
	v_and_b32_e32 v46, 0xffff, v47
	v_and_or_b32 v2, 0xffff, v2, v8
	v_and_or_b32 v1, 0xffff, v3, v1
	;; [unrolled: 1-line block ×3, first 2 shown]
	;;#ASMSTART
	v_pk_mul_f16 v2, v43, v2;

	;;#ASMEND
	;;#ASMSTART
	v_pk_mul_f16 v1, v42, v1;

	;;#ASMEND
	v_lshl_or_b32 v44, v44, 16, v49
	v_lshl_or_b32 v45, v45, 16, v46
	;;#ASMSTART
	v_pk_mul_f16 v3, v44, v3;

	;;#ASMEND
	;;#ASMSTART
	v_pk_mul_f16 v4, v45, v5;

	;;#ASMEND
	;;#ASMSTART
	v_pk_add_f16 v1, v2, v1;

	;;#ASMEND
	;;#ASMSTART
	v_pk_add_f16 v1, v1, v3;
	;; [unrolled: 4-line block ×3, first 2 shown]

	;;#ASMEND
	v_and_b32_e32 v2, 0xffff, v1
	v_lshrrev_b32_e32 v1, 16, v1
	;;#ASMSTART
	v_cvt_f32_f16 v46, v2;
	;;#ASMEND
	;;#ASMSTART
	v_cvt_f32_f16 v47, v1;
	;;#ASMEND
	global_load_b128 v[2:5], v[26:27], off offset:512
	s_wait_loadcnt 0x0
	v_dual_lshrrev_b32 v1, 16, v3 :: v_dual_lshrrev_b32 v8, 16, v2
	v_lshrrev_b32_e32 v41, 16, v4
	s_and_saveexec_b32 s11, vcc_lo
	s_cbranch_execz .LBB104_40
; %bb.39:                               ;   in Loop: Header=BB104_36 Depth=1
	v_cmp_gt_i32_e64 s0, s21, v31
	v_and_b32_e32 v48, 0xffff, v5
	v_and_b32_e32 v5, 0xffff0000, v5
	s_delay_alu instid0(VALU_DEP_3) | instskip(SKIP_1) | instid1(VALU_DEP_1)
	v_cndmask_b32_e64 v2, 0, v2, s0
	v_cmp_gt_i32_e64 s0, s21, v39
	v_cndmask_b32_e64 v3, 0, v3, s0
	v_cmp_gt_i32_e64 s0, s10, v40
	s_delay_alu instid0(VALU_DEP_1) | instskip(SKIP_1) | instid1(VALU_DEP_1)
	v_cndmask_b32_e64 v1, 0, v1, s0
	v_cmp_gt_i32_e64 s0, s21, v38
	v_cndmask_b32_e64 v8, 0, v8, s0
	v_cmp_gt_i32_e64 s0, s21, v37
	s_delay_alu instid0(VALU_DEP_1) | instskip(SKIP_1) | instid1(VALU_DEP_1)
	;; [unrolled: 5-line block ×3, first 2 shown]
	v_dual_cndmask_b32 v4, 0, v4, s0 :: v_dual_bitop2_b32 v5, v48, v5 bitop3:0x54
	v_cmp_gt_i32_e64 s0, s21, v34
	v_cndmask_b32_e64 v41, 0, v41, s0
.LBB104_40:                             ;   in Loop: Header=BB104_36 Depth=1
	s_or_b32 exec_lo, exec_lo, s11
	v_dual_lshlrev_b32 v8, 16, v8 :: v_dual_lshlrev_b32 v1, 16, v1
	s_delay_alu instid0(VALU_DEP_2) | instskip(NEXT) | instid1(VALU_DEP_2)
	v_lshlrev_b32_e32 v41, 16, v41
	v_and_or_b32 v2, 0xffff, v2, v8
	s_delay_alu instid0(VALU_DEP_3) | instskip(NEXT) | instid1(VALU_DEP_3)
	v_and_or_b32 v1, 0xffff, v3, v1
	v_and_or_b32 v3, 0xffff, v4, v41
	;;#ASMSTART
	v_pk_mul_f16 v2, v43, v2;

	;;#ASMEND
	;;#ASMSTART
	v_pk_mul_f16 v1, v42, v1;

	;;#ASMEND
	;; [unrolled: 4-line block ×4, first 2 shown]
	;;#ASMSTART
	v_pk_add_f16 v1, v2, v1;

	;;#ASMEND
	;;#ASMSTART
	v_pk_add_f16 v1, v1, v3;

	;;#ASMEND
	;; [unrolled: 4-line block ×3, first 2 shown]
	v_and_b32_e32 v2, 0xffff, v1
	v_lshrrev_b32_e32 v1, 16, v1
	;;#ASMSTART
	v_cvt_f32_f16 v48, v2;
	;;#ASMEND
	;;#ASMSTART
	v_cvt_f32_f16 v49, v1;
	;;#ASMEND
	global_load_b128 v[2:5], v[26:27], off offset:1024
	s_wait_loadcnt 0x0
	v_dual_lshrrev_b32 v1, 16, v3 :: v_dual_lshrrev_b32 v8, 16, v2
	v_lshrrev_b32_e32 v41, 16, v4
	s_and_saveexec_b32 s11, vcc_lo
	s_cbranch_execz .LBB104_42
; %bb.41:                               ;   in Loop: Header=BB104_36 Depth=1
	v_cmp_gt_i32_e64 s0, s21, v31
	v_and_b32_e32 v50, 0xffff, v5
	v_and_b32_e32 v5, 0xffff0000, v5
	s_delay_alu instid0(VALU_DEP_3) | instskip(SKIP_1) | instid1(VALU_DEP_1)
	v_cndmask_b32_e64 v2, 0, v2, s0
	v_cmp_gt_i32_e64 s0, s21, v39
	v_cndmask_b32_e64 v3, 0, v3, s0
	v_cmp_gt_i32_e64 s0, s10, v40
	s_delay_alu instid0(VALU_DEP_1) | instskip(SKIP_1) | instid1(VALU_DEP_1)
	v_cndmask_b32_e64 v1, 0, v1, s0
	v_cmp_gt_i32_e64 s0, s21, v38
	v_cndmask_b32_e64 v8, 0, v8, s0
	v_cmp_gt_i32_e64 s0, s21, v37
	s_delay_alu instid0(VALU_DEP_1) | instskip(SKIP_1) | instid1(VALU_DEP_1)
	;; [unrolled: 5-line block ×3, first 2 shown]
	v_dual_cndmask_b32 v4, 0, v4, s0 :: v_dual_bitop2_b32 v5, v50, v5 bitop3:0x54
	v_cmp_gt_i32_e64 s0, s21, v34
	v_cndmask_b32_e64 v41, 0, v41, s0
.LBB104_42:                             ;   in Loop: Header=BB104_36 Depth=1
	s_or_b32 exec_lo, exec_lo, s11
	v_dual_lshlrev_b32 v8, 16, v8 :: v_dual_lshlrev_b32 v1, 16, v1
	s_delay_alu instid0(VALU_DEP_2) | instskip(NEXT) | instid1(VALU_DEP_2)
	v_lshlrev_b32_e32 v41, 16, v41
	v_and_or_b32 v2, 0xffff, v2, v8
	s_delay_alu instid0(VALU_DEP_3) | instskip(NEXT) | instid1(VALU_DEP_3)
	v_and_or_b32 v1, 0xffff, v3, v1
	v_and_or_b32 v3, 0xffff, v4, v41
	;;#ASMSTART
	v_pk_mul_f16 v2, v43, v2;

	;;#ASMEND
	;;#ASMSTART
	v_pk_mul_f16 v1, v42, v1;

	;;#ASMEND
	;; [unrolled: 4-line block ×4, first 2 shown]
	;;#ASMSTART
	v_pk_add_f16 v1, v2, v1;

	;;#ASMEND
	;;#ASMSTART
	v_pk_add_f16 v1, v1, v3;

	;;#ASMEND
	;; [unrolled: 4-line block ×3, first 2 shown]
	v_and_b32_e32 v2, 0xffff, v1
	v_lshrrev_b32_e32 v1, 16, v1
	;;#ASMSTART
	v_cvt_f32_f16 v50, v2;
	;;#ASMEND
	;;#ASMSTART
	v_cvt_f32_f16 v51, v1;
	;;#ASMEND
	global_load_b128 v[2:5], v[26:27], off offset:1536
	s_wait_loadcnt 0x0
	v_dual_lshrrev_b32 v1, 16, v3 :: v_dual_lshrrev_b32 v8, 16, v2
	v_lshrrev_b32_e32 v41, 16, v4
	s_and_saveexec_b32 s11, vcc_lo
	s_cbranch_execz .LBB104_44
; %bb.43:                               ;   in Loop: Header=BB104_36 Depth=1
	v_cmp_gt_i32_e64 s0, s21, v31
	v_and_b32_e32 v52, 0xffff, v5
	v_and_b32_e32 v5, 0xffff0000, v5
	s_delay_alu instid0(VALU_DEP_3) | instskip(SKIP_1) | instid1(VALU_DEP_1)
	v_cndmask_b32_e64 v2, 0, v2, s0
	v_cmp_gt_i32_e64 s0, s21, v39
	v_cndmask_b32_e64 v3, 0, v3, s0
	v_cmp_gt_i32_e64 s0, s10, v40
	s_delay_alu instid0(VALU_DEP_1) | instskip(SKIP_1) | instid1(VALU_DEP_1)
	v_cndmask_b32_e64 v1, 0, v1, s0
	v_cmp_gt_i32_e64 s0, s21, v38
	v_cndmask_b32_e64 v8, 0, v8, s0
	v_cmp_gt_i32_e64 s0, s21, v37
	s_delay_alu instid0(VALU_DEP_1) | instskip(SKIP_1) | instid1(VALU_DEP_1)
	;; [unrolled: 5-line block ×3, first 2 shown]
	v_dual_cndmask_b32 v4, 0, v4, s0 :: v_dual_bitop2_b32 v5, v52, v5 bitop3:0x54
	v_cmp_gt_i32_e64 s0, s21, v34
	v_cndmask_b32_e64 v41, 0, v41, s0
.LBB104_44:                             ;   in Loop: Header=BB104_36 Depth=1
	s_or_b32 exec_lo, exec_lo, s11
	v_dual_lshlrev_b32 v8, 16, v8 :: v_dual_lshlrev_b32 v1, 16, v1
	s_delay_alu instid0(VALU_DEP_2) | instskip(NEXT) | instid1(VALU_DEP_2)
	v_lshlrev_b32_e32 v41, 16, v41
	v_and_or_b32 v2, 0xffff, v2, v8
	s_delay_alu instid0(VALU_DEP_3) | instskip(NEXT) | instid1(VALU_DEP_3)
	v_and_or_b32 v1, 0xffff, v3, v1
	v_and_or_b32 v3, 0xffff, v4, v41
	;;#ASMSTART
	v_pk_mul_f16 v2, v43, v2;

	;;#ASMEND
	;;#ASMSTART
	v_pk_mul_f16 v1, v42, v1;

	;;#ASMEND
	;;#ASMSTART
	v_pk_mul_f16 v3, v44, v3;

	;;#ASMEND
	;;#ASMSTART
	v_pk_mul_f16 v4, v45, v5;

	;;#ASMEND
	;;#ASMSTART
	v_pk_add_f16 v1, v2, v1;

	;;#ASMEND
	;;#ASMSTART
	v_pk_add_f16 v1, v1, v3;

	;;#ASMEND
	;; [unrolled: 4-line block ×3, first 2 shown]
	v_and_b32_e32 v2, 0xffff, v1
	v_lshrrev_b32_e32 v1, 16, v1
	;;#ASMSTART
	v_cvt_f32_f16 v52, v2;
	;;#ASMEND
	;;#ASMSTART
	v_cvt_f32_f16 v53, v1;
	;;#ASMEND
	global_load_b128 v[2:5], v[26:27], off offset:2048
	s_wait_loadcnt 0x0
	v_dual_lshrrev_b32 v1, 16, v3 :: v_dual_lshrrev_b32 v8, 16, v2
	v_lshrrev_b32_e32 v41, 16, v4
	s_and_saveexec_b32 s11, vcc_lo
	s_cbranch_execz .LBB104_46
; %bb.45:                               ;   in Loop: Header=BB104_36 Depth=1
	v_cmp_gt_i32_e64 s0, s21, v31
	v_and_b32_e32 v54, 0xffff, v5
	v_and_b32_e32 v5, 0xffff0000, v5
	s_delay_alu instid0(VALU_DEP_3) | instskip(SKIP_1) | instid1(VALU_DEP_1)
	v_cndmask_b32_e64 v2, 0, v2, s0
	v_cmp_gt_i32_e64 s0, s21, v39
	v_cndmask_b32_e64 v3, 0, v3, s0
	v_cmp_gt_i32_e64 s0, s10, v40
	s_delay_alu instid0(VALU_DEP_1) | instskip(SKIP_1) | instid1(VALU_DEP_1)
	v_cndmask_b32_e64 v1, 0, v1, s0
	v_cmp_gt_i32_e64 s0, s21, v38
	v_cndmask_b32_e64 v8, 0, v8, s0
	v_cmp_gt_i32_e64 s0, s21, v37
	s_delay_alu instid0(VALU_DEP_1) | instskip(SKIP_1) | instid1(VALU_DEP_1)
	;; [unrolled: 5-line block ×3, first 2 shown]
	v_dual_cndmask_b32 v4, 0, v4, s0 :: v_dual_bitop2_b32 v5, v54, v5 bitop3:0x54
	v_cmp_gt_i32_e64 s0, s21, v34
	v_cndmask_b32_e64 v41, 0, v41, s0
.LBB104_46:                             ;   in Loop: Header=BB104_36 Depth=1
	s_or_b32 exec_lo, exec_lo, s11
	v_dual_lshlrev_b32 v8, 16, v8 :: v_dual_lshlrev_b32 v1, 16, v1
	s_delay_alu instid0(VALU_DEP_2) | instskip(NEXT) | instid1(VALU_DEP_2)
	v_lshlrev_b32_e32 v41, 16, v41
	v_and_or_b32 v2, 0xffff, v2, v8
	s_delay_alu instid0(VALU_DEP_3) | instskip(NEXT) | instid1(VALU_DEP_3)
	v_and_or_b32 v1, 0xffff, v3, v1
	v_and_or_b32 v3, 0xffff, v4, v41
	;;#ASMSTART
	v_pk_mul_f16 v2, v43, v2;

	;;#ASMEND
	;;#ASMSTART
	v_pk_mul_f16 v1, v42, v1;

	;;#ASMEND
	;; [unrolled: 4-line block ×4, first 2 shown]
	;;#ASMSTART
	v_pk_add_f16 v1, v2, v1;

	;;#ASMEND
	;;#ASMSTART
	v_pk_add_f16 v1, v1, v3;

	;;#ASMEND
	;; [unrolled: 4-line block ×3, first 2 shown]
	v_and_b32_e32 v2, 0xffff, v1
	v_lshrrev_b32_e32 v1, 16, v1
	;;#ASMSTART
	v_cvt_f32_f16 v54, v2;
	;;#ASMEND
	;;#ASMSTART
	v_cvt_f32_f16 v55, v1;
	;;#ASMEND
	global_load_b128 v[2:5], v[26:27], off offset:2560
	s_wait_loadcnt 0x0
	v_dual_lshrrev_b32 v1, 16, v3 :: v_dual_lshrrev_b32 v8, 16, v2
	v_lshrrev_b32_e32 v41, 16, v4
	s_and_saveexec_b32 s11, vcc_lo
	s_cbranch_execz .LBB104_48
; %bb.47:                               ;   in Loop: Header=BB104_36 Depth=1
	v_cmp_gt_i32_e64 s0, s21, v31
	v_and_b32_e32 v56, 0xffff, v5
	v_and_b32_e32 v5, 0xffff0000, v5
	s_delay_alu instid0(VALU_DEP_3) | instskip(SKIP_1) | instid1(VALU_DEP_1)
	v_cndmask_b32_e64 v2, 0, v2, s0
	v_cmp_gt_i32_e64 s0, s21, v39
	v_cndmask_b32_e64 v3, 0, v3, s0
	v_cmp_gt_i32_e64 s0, s10, v40
	s_delay_alu instid0(VALU_DEP_1) | instskip(SKIP_1) | instid1(VALU_DEP_1)
	v_cndmask_b32_e64 v1, 0, v1, s0
	v_cmp_gt_i32_e64 s0, s21, v38
	v_cndmask_b32_e64 v8, 0, v8, s0
	v_cmp_gt_i32_e64 s0, s21, v37
	s_delay_alu instid0(VALU_DEP_1) | instskip(SKIP_1) | instid1(VALU_DEP_1)
	;; [unrolled: 5-line block ×3, first 2 shown]
	v_dual_cndmask_b32 v4, 0, v4, s0 :: v_dual_bitop2_b32 v5, v56, v5 bitop3:0x54
	v_cmp_gt_i32_e64 s0, s21, v34
	v_cndmask_b32_e64 v41, 0, v41, s0
.LBB104_48:                             ;   in Loop: Header=BB104_36 Depth=1
	s_or_b32 exec_lo, exec_lo, s11
	v_dual_lshlrev_b32 v8, 16, v8 :: v_dual_lshlrev_b32 v1, 16, v1
	s_delay_alu instid0(VALU_DEP_2) | instskip(NEXT) | instid1(VALU_DEP_2)
	v_lshlrev_b32_e32 v41, 16, v41
	v_and_or_b32 v2, 0xffff, v2, v8
	s_delay_alu instid0(VALU_DEP_3) | instskip(NEXT) | instid1(VALU_DEP_3)
	v_and_or_b32 v1, 0xffff, v3, v1
	v_and_or_b32 v3, 0xffff, v4, v41
	;;#ASMSTART
	v_pk_mul_f16 v2, v43, v2;

	;;#ASMEND
	;;#ASMSTART
	v_pk_mul_f16 v1, v42, v1;

	;;#ASMEND
	;; [unrolled: 4-line block ×4, first 2 shown]
	;;#ASMSTART
	v_pk_add_f16 v1, v2, v1;

	;;#ASMEND
	;;#ASMSTART
	v_pk_add_f16 v1, v1, v3;

	;;#ASMEND
	;; [unrolled: 4-line block ×3, first 2 shown]
	v_and_b32_e32 v2, 0xffff, v1
	v_lshrrev_b32_e32 v1, 16, v1
	;;#ASMSTART
	v_cvt_f32_f16 v56, v2;
	;;#ASMEND
	;;#ASMSTART
	v_cvt_f32_f16 v57, v1;
	;;#ASMEND
	global_load_b128 v[2:5], v[26:27], off offset:3072
	s_wait_loadcnt 0x0
	v_dual_lshrrev_b32 v1, 16, v3 :: v_dual_lshrrev_b32 v8, 16, v2
	v_lshrrev_b32_e32 v41, 16, v4
	s_and_saveexec_b32 s11, vcc_lo
	s_cbranch_execz .LBB104_50
; %bb.49:                               ;   in Loop: Header=BB104_36 Depth=1
	v_cmp_gt_i32_e64 s0, s21, v31
	v_and_b32_e32 v58, 0xffff, v5
	v_and_b32_e32 v5, 0xffff0000, v5
	s_delay_alu instid0(VALU_DEP_3) | instskip(SKIP_1) | instid1(VALU_DEP_1)
	v_cndmask_b32_e64 v2, 0, v2, s0
	v_cmp_gt_i32_e64 s0, s21, v39
	v_cndmask_b32_e64 v3, 0, v3, s0
	v_cmp_gt_i32_e64 s0, s10, v40
	s_delay_alu instid0(VALU_DEP_1) | instskip(SKIP_1) | instid1(VALU_DEP_1)
	v_cndmask_b32_e64 v1, 0, v1, s0
	v_cmp_gt_i32_e64 s0, s21, v38
	v_cndmask_b32_e64 v8, 0, v8, s0
	v_cmp_gt_i32_e64 s0, s21, v37
	s_delay_alu instid0(VALU_DEP_1) | instskip(SKIP_1) | instid1(VALU_DEP_1)
	;; [unrolled: 5-line block ×3, first 2 shown]
	v_dual_cndmask_b32 v4, 0, v4, s0 :: v_dual_bitop2_b32 v5, v58, v5 bitop3:0x54
	v_cmp_gt_i32_e64 s0, s21, v34
	v_cndmask_b32_e64 v41, 0, v41, s0
.LBB104_50:                             ;   in Loop: Header=BB104_36 Depth=1
	s_or_b32 exec_lo, exec_lo, s11
	v_dual_lshlrev_b32 v8, 16, v8 :: v_dual_lshlrev_b32 v1, 16, v1
	s_delay_alu instid0(VALU_DEP_2) | instskip(NEXT) | instid1(VALU_DEP_2)
	v_lshlrev_b32_e32 v41, 16, v41
	v_and_or_b32 v2, 0xffff, v2, v8
	s_delay_alu instid0(VALU_DEP_3) | instskip(NEXT) | instid1(VALU_DEP_3)
	v_and_or_b32 v1, 0xffff, v3, v1
	v_and_or_b32 v3, 0xffff, v4, v41
	;;#ASMSTART
	v_pk_mul_f16 v2, v43, v2;

	;;#ASMEND
	;;#ASMSTART
	v_pk_mul_f16 v1, v42, v1;

	;;#ASMEND
	;; [unrolled: 4-line block ×4, first 2 shown]
	;;#ASMSTART
	v_pk_add_f16 v1, v2, v1;

	;;#ASMEND
	;;#ASMSTART
	v_pk_add_f16 v1, v1, v3;

	;;#ASMEND
	;; [unrolled: 4-line block ×3, first 2 shown]
	v_and_b32_e32 v2, 0xffff, v1
	v_lshrrev_b32_e32 v1, 16, v1
	;;#ASMSTART
	v_cvt_f32_f16 v58, v2;
	;;#ASMEND
	;;#ASMSTART
	v_cvt_f32_f16 v59, v1;
	;;#ASMEND
	global_load_b128 v[2:5], v[26:27], off offset:3584
	s_wait_loadcnt 0x0
	v_dual_lshrrev_b32 v1, 16, v3 :: v_dual_lshrrev_b32 v8, 16, v2
	v_lshrrev_b32_e32 v41, 16, v4
	s_and_saveexec_b32 s11, vcc_lo
	s_cbranch_execz .LBB104_52
; %bb.51:                               ;   in Loop: Header=BB104_36 Depth=1
	v_cmp_gt_i32_e64 s0, s21, v31
	v_and_b32_e32 v60, 0xffff, v5
	v_and_b32_e32 v5, 0xffff0000, v5
	s_delay_alu instid0(VALU_DEP_3) | instskip(SKIP_1) | instid1(VALU_DEP_1)
	v_cndmask_b32_e64 v2, 0, v2, s0
	v_cmp_gt_i32_e64 s0, s21, v39
	v_cndmask_b32_e64 v3, 0, v3, s0
	v_cmp_gt_i32_e64 s0, s10, v40
	s_delay_alu instid0(VALU_DEP_1) | instskip(SKIP_1) | instid1(VALU_DEP_1)
	v_cndmask_b32_e64 v1, 0, v1, s0
	v_cmp_gt_i32_e64 s0, s21, v38
	v_cndmask_b32_e64 v8, 0, v8, s0
	v_cmp_gt_i32_e64 s0, s21, v37
	s_delay_alu instid0(VALU_DEP_1) | instskip(SKIP_1) | instid1(VALU_DEP_1)
	;; [unrolled: 5-line block ×3, first 2 shown]
	v_dual_cndmask_b32 v4, 0, v4, s0 :: v_dual_bitop2_b32 v5, v60, v5 bitop3:0x54
	v_cmp_gt_i32_e64 s0, s21, v34
	v_cndmask_b32_e64 v41, 0, v41, s0
.LBB104_52:                             ;   in Loop: Header=BB104_36 Depth=1
	s_or_b32 exec_lo, exec_lo, s11
	v_dual_lshlrev_b32 v8, 16, v8 :: v_dual_lshlrev_b32 v1, 16, v1
	s_delay_alu instid0(VALU_DEP_2) | instskip(NEXT) | instid1(VALU_DEP_2)
	v_lshlrev_b32_e32 v41, 16, v41
	v_and_or_b32 v2, 0xffff, v2, v8
	s_delay_alu instid0(VALU_DEP_3) | instskip(NEXT) | instid1(VALU_DEP_3)
	v_and_or_b32 v1, 0xffff, v3, v1
	v_and_or_b32 v3, 0xffff, v4, v41
	;;#ASMSTART
	v_pk_mul_f16 v2, v43, v2;

	;;#ASMEND
	;;#ASMSTART
	v_pk_mul_f16 v1, v42, v1;

	;;#ASMEND
	;; [unrolled: 4-line block ×4, first 2 shown]
	;;#ASMSTART
	v_pk_add_f16 v1, v2, v1;

	;;#ASMEND
	;;#ASMSTART
	v_pk_add_f16 v1, v1, v3;

	;;#ASMEND
	;; [unrolled: 4-line block ×3, first 2 shown]
	v_and_b32_e32 v2, 0xffff, v1
	v_lshrrev_b32_e32 v1, 16, v1
	;;#ASMSTART
	v_cvt_f32_f16 v60, v2;
	;;#ASMEND
	;;#ASMSTART
	v_cvt_f32_f16 v61, v1;
	;;#ASMEND
	global_load_b128 v[2:5], v[26:27], off offset:4096
	s_wait_loadcnt 0x0
	v_dual_lshrrev_b32 v1, 16, v3 :: v_dual_lshrrev_b32 v8, 16, v2
	v_lshrrev_b32_e32 v41, 16, v4
	s_and_saveexec_b32 s11, vcc_lo
	s_cbranch_execz .LBB104_54
; %bb.53:                               ;   in Loop: Header=BB104_36 Depth=1
	v_cmp_gt_i32_e64 s0, s21, v31
	v_and_b32_e32 v62, 0xffff, v5
	v_and_b32_e32 v5, 0xffff0000, v5
	s_delay_alu instid0(VALU_DEP_3) | instskip(SKIP_1) | instid1(VALU_DEP_1)
	v_cndmask_b32_e64 v2, 0, v2, s0
	v_cmp_gt_i32_e64 s0, s21, v39
	v_cndmask_b32_e64 v3, 0, v3, s0
	v_cmp_gt_i32_e64 s0, s10, v40
	s_delay_alu instid0(VALU_DEP_1) | instskip(SKIP_1) | instid1(VALU_DEP_1)
	v_cndmask_b32_e64 v1, 0, v1, s0
	v_cmp_gt_i32_e64 s0, s21, v38
	v_cndmask_b32_e64 v8, 0, v8, s0
	v_cmp_gt_i32_e64 s0, s21, v37
	s_delay_alu instid0(VALU_DEP_1) | instskip(SKIP_1) | instid1(VALU_DEP_1)
	;; [unrolled: 5-line block ×3, first 2 shown]
	v_dual_cndmask_b32 v4, 0, v4, s0 :: v_dual_bitop2_b32 v5, v62, v5 bitop3:0x54
	v_cmp_gt_i32_e64 s0, s21, v34
	v_cndmask_b32_e64 v41, 0, v41, s0
.LBB104_54:                             ;   in Loop: Header=BB104_36 Depth=1
	s_or_b32 exec_lo, exec_lo, s11
	v_dual_lshlrev_b32 v8, 16, v8 :: v_dual_lshlrev_b32 v1, 16, v1
	s_delay_alu instid0(VALU_DEP_2) | instskip(NEXT) | instid1(VALU_DEP_2)
	v_lshlrev_b32_e32 v41, 16, v41
	v_and_or_b32 v2, 0xffff, v2, v8
	s_delay_alu instid0(VALU_DEP_3) | instskip(NEXT) | instid1(VALU_DEP_3)
	v_and_or_b32 v1, 0xffff, v3, v1
	v_and_or_b32 v3, 0xffff, v4, v41
	;;#ASMSTART
	v_pk_mul_f16 v2, v43, v2;

	;;#ASMEND
	;;#ASMSTART
	v_pk_mul_f16 v1, v42, v1;

	;;#ASMEND
	;;#ASMSTART
	v_pk_mul_f16 v3, v44, v3;

	;;#ASMEND
	;;#ASMSTART
	v_pk_mul_f16 v4, v45, v5;

	;;#ASMEND
	;;#ASMSTART
	v_pk_add_f16 v1, v2, v1;

	;;#ASMEND
	;;#ASMSTART
	v_pk_add_f16 v1, v1, v3;

	;;#ASMEND
	;; [unrolled: 4-line block ×3, first 2 shown]
	v_and_b32_e32 v2, 0xffff, v1
	v_lshrrev_b32_e32 v1, 16, v1
	;;#ASMSTART
	v_cvt_f32_f16 v62, v2;
	;;#ASMEND
	;;#ASMSTART
	v_cvt_f32_f16 v63, v1;
	;;#ASMEND
	global_load_b128 v[2:5], v[26:27], off offset:4608
	s_wait_loadcnt 0x0
	v_dual_lshrrev_b32 v1, 16, v3 :: v_dual_lshrrev_b32 v8, 16, v2
	v_lshrrev_b32_e32 v41, 16, v4
	s_and_saveexec_b32 s11, vcc_lo
	s_cbranch_execz .LBB104_56
; %bb.55:                               ;   in Loop: Header=BB104_36 Depth=1
	v_cmp_gt_i32_e64 s0, s21, v31
	v_and_b32_e32 v64, 0xffff, v5
	v_and_b32_e32 v5, 0xffff0000, v5
	s_delay_alu instid0(VALU_DEP_3) | instskip(SKIP_1) | instid1(VALU_DEP_1)
	v_cndmask_b32_e64 v2, 0, v2, s0
	v_cmp_gt_i32_e64 s0, s21, v39
	v_cndmask_b32_e64 v3, 0, v3, s0
	v_cmp_gt_i32_e64 s0, s10, v40
	s_delay_alu instid0(VALU_DEP_1) | instskip(SKIP_1) | instid1(VALU_DEP_1)
	v_cndmask_b32_e64 v1, 0, v1, s0
	v_cmp_gt_i32_e64 s0, s21, v38
	v_cndmask_b32_e64 v8, 0, v8, s0
	v_cmp_gt_i32_e64 s0, s21, v37
	s_delay_alu instid0(VALU_DEP_1) | instskip(SKIP_1) | instid1(VALU_DEP_1)
	;; [unrolled: 5-line block ×3, first 2 shown]
	v_dual_cndmask_b32 v4, 0, v4, s0 :: v_dual_bitop2_b32 v5, v64, v5 bitop3:0x54
	v_cmp_gt_i32_e64 s0, s21, v34
	v_cndmask_b32_e64 v41, 0, v41, s0
.LBB104_56:                             ;   in Loop: Header=BB104_36 Depth=1
	s_or_b32 exec_lo, exec_lo, s11
	v_dual_lshlrev_b32 v8, 16, v8 :: v_dual_lshlrev_b32 v1, 16, v1
	s_delay_alu instid0(VALU_DEP_2) | instskip(NEXT) | instid1(VALU_DEP_2)
	v_lshlrev_b32_e32 v41, 16, v41
	v_and_or_b32 v2, 0xffff, v2, v8
	s_delay_alu instid0(VALU_DEP_3) | instskip(NEXT) | instid1(VALU_DEP_3)
	v_and_or_b32 v1, 0xffff, v3, v1
	v_and_or_b32 v3, 0xffff, v4, v41
	;;#ASMSTART
	v_pk_mul_f16 v2, v43, v2;

	;;#ASMEND
	;;#ASMSTART
	v_pk_mul_f16 v1, v42, v1;

	;;#ASMEND
	;; [unrolled: 4-line block ×4, first 2 shown]
	;;#ASMSTART
	v_pk_add_f16 v1, v2, v1;

	;;#ASMEND
	;;#ASMSTART
	v_pk_add_f16 v1, v1, v3;

	;;#ASMEND
	;; [unrolled: 4-line block ×3, first 2 shown]
	v_and_b32_e32 v2, 0xffff, v1
	v_lshrrev_b32_e32 v1, 16, v1
	;;#ASMSTART
	v_cvt_f32_f16 v64, v2;
	;;#ASMEND
	;;#ASMSTART
	v_cvt_f32_f16 v65, v1;
	;;#ASMEND
	global_load_b128 v[2:5], v[26:27], off offset:5120
	s_wait_loadcnt 0x0
	v_dual_lshrrev_b32 v1, 16, v3 :: v_dual_lshrrev_b32 v8, 16, v2
	v_lshrrev_b32_e32 v41, 16, v4
	s_and_saveexec_b32 s11, vcc_lo
	s_cbranch_execz .LBB104_58
; %bb.57:                               ;   in Loop: Header=BB104_36 Depth=1
	v_cmp_gt_i32_e64 s0, s21, v31
	v_and_b32_e32 v66, 0xffff, v5
	v_and_b32_e32 v5, 0xffff0000, v5
	s_delay_alu instid0(VALU_DEP_3) | instskip(SKIP_1) | instid1(VALU_DEP_1)
	v_cndmask_b32_e64 v2, 0, v2, s0
	v_cmp_gt_i32_e64 s0, s21, v39
	v_cndmask_b32_e64 v3, 0, v3, s0
	v_cmp_gt_i32_e64 s0, s10, v40
	s_delay_alu instid0(VALU_DEP_1) | instskip(SKIP_1) | instid1(VALU_DEP_1)
	v_cndmask_b32_e64 v1, 0, v1, s0
	v_cmp_gt_i32_e64 s0, s21, v38
	v_cndmask_b32_e64 v8, 0, v8, s0
	v_cmp_gt_i32_e64 s0, s21, v37
	s_delay_alu instid0(VALU_DEP_1) | instskip(SKIP_1) | instid1(VALU_DEP_1)
	;; [unrolled: 5-line block ×3, first 2 shown]
	v_dual_cndmask_b32 v4, 0, v4, s0 :: v_dual_bitop2_b32 v5, v66, v5 bitop3:0x54
	v_cmp_gt_i32_e64 s0, s21, v34
	v_cndmask_b32_e64 v41, 0, v41, s0
.LBB104_58:                             ;   in Loop: Header=BB104_36 Depth=1
	s_or_b32 exec_lo, exec_lo, s11
	v_dual_lshlrev_b32 v8, 16, v8 :: v_dual_lshlrev_b32 v1, 16, v1
	s_delay_alu instid0(VALU_DEP_2) | instskip(NEXT) | instid1(VALU_DEP_2)
	v_lshlrev_b32_e32 v41, 16, v41
	v_and_or_b32 v2, 0xffff, v2, v8
	s_delay_alu instid0(VALU_DEP_3) | instskip(NEXT) | instid1(VALU_DEP_3)
	v_and_or_b32 v1, 0xffff, v3, v1
	v_and_or_b32 v3, 0xffff, v4, v41
	;;#ASMSTART
	v_pk_mul_f16 v2, v43, v2;

	;;#ASMEND
	;;#ASMSTART
	v_pk_mul_f16 v1, v42, v1;

	;;#ASMEND
	;;#ASMSTART
	v_pk_mul_f16 v3, v44, v3;

	;;#ASMEND
	;;#ASMSTART
	v_pk_mul_f16 v4, v45, v5;

	;;#ASMEND
	;;#ASMSTART
	v_pk_add_f16 v1, v2, v1;

	;;#ASMEND
	;;#ASMSTART
	v_pk_add_f16 v1, v1, v3;

	;;#ASMEND
	;;#ASMSTART
	v_pk_add_f16 v1, v1, v4;

	;;#ASMEND
	v_and_b32_e32 v2, 0xffff, v1
	v_lshrrev_b32_e32 v1, 16, v1
	;;#ASMSTART
	v_cvt_f32_f16 v66, v2;
	;;#ASMEND
	;;#ASMSTART
	v_cvt_f32_f16 v67, v1;
	;;#ASMEND
	global_load_b128 v[2:5], v[26:27], off offset:5632
	s_wait_loadcnt 0x0
	v_dual_lshrrev_b32 v1, 16, v3 :: v_dual_lshrrev_b32 v8, 16, v2
	v_lshrrev_b32_e32 v41, 16, v4
	s_and_saveexec_b32 s11, vcc_lo
	s_cbranch_execz .LBB104_60
; %bb.59:                               ;   in Loop: Header=BB104_36 Depth=1
	v_cmp_gt_i32_e64 s0, s21, v31
	v_and_b32_e32 v68, 0xffff, v5
	v_and_b32_e32 v5, 0xffff0000, v5
	s_delay_alu instid0(VALU_DEP_3) | instskip(SKIP_1) | instid1(VALU_DEP_1)
	v_cndmask_b32_e64 v2, 0, v2, s0
	v_cmp_gt_i32_e64 s0, s21, v39
	v_cndmask_b32_e64 v3, 0, v3, s0
	v_cmp_gt_i32_e64 s0, s10, v40
	s_delay_alu instid0(VALU_DEP_1) | instskip(SKIP_1) | instid1(VALU_DEP_1)
	v_cndmask_b32_e64 v1, 0, v1, s0
	v_cmp_gt_i32_e64 s0, s21, v38
	v_cndmask_b32_e64 v8, 0, v8, s0
	v_cmp_gt_i32_e64 s0, s21, v37
	s_delay_alu instid0(VALU_DEP_1) | instskip(SKIP_1) | instid1(VALU_DEP_1)
	;; [unrolled: 5-line block ×3, first 2 shown]
	v_dual_cndmask_b32 v4, 0, v4, s0 :: v_dual_bitop2_b32 v5, v68, v5 bitop3:0x54
	v_cmp_gt_i32_e64 s0, s21, v34
	v_cndmask_b32_e64 v41, 0, v41, s0
.LBB104_60:                             ;   in Loop: Header=BB104_36 Depth=1
	s_or_b32 exec_lo, exec_lo, s11
	v_dual_lshlrev_b32 v8, 16, v8 :: v_dual_lshlrev_b32 v1, 16, v1
	s_delay_alu instid0(VALU_DEP_2) | instskip(NEXT) | instid1(VALU_DEP_2)
	v_lshlrev_b32_e32 v41, 16, v41
	v_and_or_b32 v2, 0xffff, v2, v8
	s_delay_alu instid0(VALU_DEP_3) | instskip(NEXT) | instid1(VALU_DEP_3)
	v_and_or_b32 v1, 0xffff, v3, v1
	v_and_or_b32 v3, 0xffff, v4, v41
	;;#ASMSTART
	v_pk_mul_f16 v2, v43, v2;

	;;#ASMEND
	;;#ASMSTART
	v_pk_mul_f16 v1, v42, v1;

	;;#ASMEND
	;;#ASMSTART
	v_pk_mul_f16 v3, v44, v3;

	;;#ASMEND
	;;#ASMSTART
	v_pk_mul_f16 v4, v45, v5;

	;;#ASMEND
	;;#ASMSTART
	v_pk_add_f16 v1, v2, v1;

	;;#ASMEND
	;;#ASMSTART
	v_pk_add_f16 v1, v1, v3;

	;;#ASMEND
	;; [unrolled: 4-line block ×3, first 2 shown]
	v_and_b32_e32 v2, 0xffff, v1
	v_lshrrev_b32_e32 v1, 16, v1
	;;#ASMSTART
	v_cvt_f32_f16 v68, v2;
	;;#ASMEND
	;;#ASMSTART
	v_cvt_f32_f16 v69, v1;
	;;#ASMEND
	global_load_b128 v[2:5], v[26:27], off offset:6144
	s_wait_loadcnt 0x0
	v_dual_lshrrev_b32 v1, 16, v3 :: v_dual_lshrrev_b32 v8, 16, v2
	v_lshrrev_b32_e32 v41, 16, v4
	s_and_saveexec_b32 s11, vcc_lo
	s_cbranch_execz .LBB104_62
; %bb.61:                               ;   in Loop: Header=BB104_36 Depth=1
	v_cmp_gt_i32_e64 s0, s21, v31
	v_and_b32_e32 v70, 0xffff, v5
	v_and_b32_e32 v5, 0xffff0000, v5
	s_delay_alu instid0(VALU_DEP_3) | instskip(SKIP_1) | instid1(VALU_DEP_1)
	v_cndmask_b32_e64 v2, 0, v2, s0
	v_cmp_gt_i32_e64 s0, s21, v39
	v_cndmask_b32_e64 v3, 0, v3, s0
	v_cmp_gt_i32_e64 s0, s10, v40
	s_delay_alu instid0(VALU_DEP_1) | instskip(SKIP_1) | instid1(VALU_DEP_1)
	v_cndmask_b32_e64 v1, 0, v1, s0
	v_cmp_gt_i32_e64 s0, s21, v38
	v_cndmask_b32_e64 v8, 0, v8, s0
	v_cmp_gt_i32_e64 s0, s21, v37
	s_delay_alu instid0(VALU_DEP_1) | instskip(SKIP_1) | instid1(VALU_DEP_1)
	;; [unrolled: 5-line block ×3, first 2 shown]
	v_dual_cndmask_b32 v4, 0, v4, s0 :: v_dual_bitop2_b32 v5, v70, v5 bitop3:0x54
	v_cmp_gt_i32_e64 s0, s21, v34
	v_cndmask_b32_e64 v41, 0, v41, s0
.LBB104_62:                             ;   in Loop: Header=BB104_36 Depth=1
	s_or_b32 exec_lo, exec_lo, s11
	v_dual_lshlrev_b32 v8, 16, v8 :: v_dual_lshlrev_b32 v1, 16, v1
	s_delay_alu instid0(VALU_DEP_2) | instskip(NEXT) | instid1(VALU_DEP_2)
	v_lshlrev_b32_e32 v41, 16, v41
	v_and_or_b32 v2, 0xffff, v2, v8
	s_delay_alu instid0(VALU_DEP_3) | instskip(NEXT) | instid1(VALU_DEP_3)
	v_and_or_b32 v1, 0xffff, v3, v1
	v_and_or_b32 v3, 0xffff, v4, v41
	;;#ASMSTART
	v_pk_mul_f16 v2, v43, v2;

	;;#ASMEND
	;;#ASMSTART
	v_pk_mul_f16 v1, v42, v1;

	;;#ASMEND
	;; [unrolled: 4-line block ×4, first 2 shown]
	;;#ASMSTART
	v_pk_add_f16 v1, v2, v1;

	;;#ASMEND
	;;#ASMSTART
	v_pk_add_f16 v1, v1, v3;

	;;#ASMEND
	;; [unrolled: 4-line block ×3, first 2 shown]
	v_and_b32_e32 v2, 0xffff, v1
	v_lshrrev_b32_e32 v1, 16, v1
	;;#ASMSTART
	v_cvt_f32_f16 v70, v2;
	;;#ASMEND
	;;#ASMSTART
	v_cvt_f32_f16 v71, v1;
	;;#ASMEND
	global_load_b128 v[2:5], v[26:27], off offset:6656
	s_wait_loadcnt 0x0
	v_dual_lshrrev_b32 v1, 16, v3 :: v_dual_lshrrev_b32 v8, 16, v2
	v_lshrrev_b32_e32 v41, 16, v4
	s_and_saveexec_b32 s11, vcc_lo
	s_cbranch_execz .LBB104_64
; %bb.63:                               ;   in Loop: Header=BB104_36 Depth=1
	v_cmp_gt_i32_e64 s0, s21, v31
	v_and_b32_e32 v72, 0xffff, v5
	v_and_b32_e32 v5, 0xffff0000, v5
	s_delay_alu instid0(VALU_DEP_3) | instskip(SKIP_1) | instid1(VALU_DEP_1)
	v_cndmask_b32_e64 v2, 0, v2, s0
	v_cmp_gt_i32_e64 s0, s21, v39
	v_cndmask_b32_e64 v3, 0, v3, s0
	v_cmp_gt_i32_e64 s0, s10, v40
	s_delay_alu instid0(VALU_DEP_1) | instskip(SKIP_1) | instid1(VALU_DEP_1)
	v_cndmask_b32_e64 v1, 0, v1, s0
	v_cmp_gt_i32_e64 s0, s21, v38
	v_cndmask_b32_e64 v8, 0, v8, s0
	v_cmp_gt_i32_e64 s0, s21, v37
	s_delay_alu instid0(VALU_DEP_1) | instskip(SKIP_1) | instid1(VALU_DEP_1)
	;; [unrolled: 5-line block ×3, first 2 shown]
	v_dual_cndmask_b32 v4, 0, v4, s0 :: v_dual_bitop2_b32 v5, v72, v5 bitop3:0x54
	v_cmp_gt_i32_e64 s0, s21, v34
	v_cndmask_b32_e64 v41, 0, v41, s0
.LBB104_64:                             ;   in Loop: Header=BB104_36 Depth=1
	s_or_b32 exec_lo, exec_lo, s11
	v_dual_lshlrev_b32 v8, 16, v8 :: v_dual_lshlrev_b32 v1, 16, v1
	s_delay_alu instid0(VALU_DEP_2) | instskip(NEXT) | instid1(VALU_DEP_2)
	v_lshlrev_b32_e32 v41, 16, v41
	v_and_or_b32 v2, 0xffff, v2, v8
	s_delay_alu instid0(VALU_DEP_3) | instskip(NEXT) | instid1(VALU_DEP_3)
	v_and_or_b32 v1, 0xffff, v3, v1
	v_and_or_b32 v3, 0xffff, v4, v41
	;;#ASMSTART
	v_pk_mul_f16 v2, v43, v2;

	;;#ASMEND
	;;#ASMSTART
	v_pk_mul_f16 v1, v42, v1;

	;;#ASMEND
	;; [unrolled: 4-line block ×4, first 2 shown]
	;;#ASMSTART
	v_pk_add_f16 v1, v2, v1;

	;;#ASMEND
	;;#ASMSTART
	v_pk_add_f16 v1, v1, v3;

	;;#ASMEND
	;; [unrolled: 4-line block ×3, first 2 shown]
	v_and_b32_e32 v2, 0xffff, v1
	v_lshrrev_b32_e32 v1, 16, v1
	;;#ASMSTART
	v_cvt_f32_f16 v41, v2;
	;;#ASMEND
	;;#ASMSTART
	v_cvt_f32_f16 v72, v1;
	;;#ASMEND
	global_load_b128 v[2:5], v[26:27], off offset:7168
	s_wait_loadcnt 0x0
	v_dual_lshrrev_b32 v1, 16, v3 :: v_dual_lshrrev_b32 v8, 16, v2
	v_lshrrev_b32_e32 v26, 16, v4
	s_and_saveexec_b32 s0, vcc_lo
	s_cbranch_execz .LBB104_35
; %bb.65:                               ;   in Loop: Header=BB104_36 Depth=1
	v_cmp_gt_i32_e32 vcc_lo, s21, v31
	v_and_b32_e32 v27, 0xffff, v5
	v_and_b32_e32 v5, 0xffff0000, v5
	v_cndmask_b32_e32 v2, 0, v2, vcc_lo
	v_cmp_gt_i32_e32 vcc_lo, s21, v39
	v_cndmask_b32_e32 v3, 0, v3, vcc_lo
	v_cmp_gt_i32_e32 vcc_lo, s10, v40
	;; [unrolled: 2-line block ×6, first 2 shown]
	s_delay_alu instid0(VALU_DEP_2)
	v_dual_cndmask_b32 v4, 0, v4, vcc_lo :: v_dual_bitop2_b32 v5, v27, v5 bitop3:0x54
	v_cmp_gt_i32_e32 vcc_lo, s21, v34
	v_cndmask_b32_e32 v26, 0, v26, vcc_lo
	s_branch .LBB104_35
.LBB104_66:
	s_or_b32 exec_lo, exec_lo, s5
.LBB104_67:
	s_delay_alu instid0(SALU_CYCLE_1)
	s_or_b32 exec_lo, exec_lo, s1
	ds_bpermute_b32 v2, v29, v20
	ds_bpermute_b32 v3, v29, v21
	ds_bpermute_b32 v4, v29, v18
	ds_bpermute_b32 v5, v29, v19
	ds_bpermute_b32 v22, v29, v16
	ds_bpermute_b32 v23, v29, v17
	ds_bpermute_b32 v24, v29, v14
	ds_bpermute_b32 v25, v29, v15
	ds_bpermute_b32 v26, v29, v12
	ds_bpermute_b32 v27, v29, v13
	ds_bpermute_b32 v32, v29, v10
	ds_bpermute_b32 v33, v29, v11
	ds_bpermute_b32 v34, v29, v6
	ds_bpermute_b32 v35, v29, v7
	ds_bpermute_b32 v1, v29, v9
	s_mov_b32 s0, exec_lo
	s_wait_dscnt 0x0
	s_barrier_signal -1
	s_barrier_wait -1
	v_pk_add_f32 v[2:3], v[20:21], v[2:3]
	v_pk_add_f32 v[4:5], v[18:19], v[4:5]
	;; [unrolled: 1-line block ×3, first 2 shown]
	v_and_b32_e32 v17, 28, v75
	v_pk_add_f32 v[20:21], v[14:15], v[24:25]
	ds_bpermute_b32 v24, v28, v4
	v_pk_add_f32 v[22:23], v[12:13], v[26:27]
	ds_bpermute_b32 v12, v28, v2
	;; [unrolled: 2-line block ×4, first 2 shown]
	ds_bpermute_b32 v26, v28, v18
	ds_bpermute_b32 v27, v28, v19
	;; [unrolled: 1-line block ×10, first 2 shown]
	v_add_f32_e32 v1, v9, v1
	ds_bpermute_b32 v16, v28, v1
	v_and_b32_e32 v28, 0x3c3, v0
	s_wait_dscnt 0xc
	v_pk_add_f32 v[14:15], v[2:3], v[12:13]
	s_wait_dscnt 0xb
	v_pk_add_f32 v[12:13], v[4:5], v[24:25]
	;; [unrolled: 2-line block ×7, first 2 shown]
	v_cmpx_ne_u32_e32 64, v28
	s_xor_b32 s0, exec_lo, s0
	s_delay_alu instid0(SALU_CYCLE_1)
	s_or_saveexec_b32 s0, s0
	s_wait_dscnt 0x0
	v_dual_add_f32 v18, v1, v16 :: v_dual_lshrrev_b32 v1, 2, v75
	v_add_nc_u32_e32 v16, 0x110, v17
	v_mul_u32_u24_e32 v17, 0x1e0, v74
	s_xor_b32 exec_lo, exec_lo, s0
	s_cbranch_execz .LBB104_69
; %bb.68:
	s_delay_alu instid0(VALU_DEP_1) | instskip(NEXT) | instid1(VALU_DEP_1)
	v_add_nc_u32_e32 v19, v16, v17
	v_add_nc_u32_e32 v20, 0xfffffc40, v19
	;; [unrolled: 1-line block ×9, first 2 shown]
	ds_store_b32 v20, v14
	ds_store_b32 v21, v15
	;; [unrolled: 1-line block ×8, first 2 shown]
	v_add_nc_u32_e32 v20, 0xfffffd40, v19
	v_add_nc_u32_e32 v21, 0xfffffd60, v19
	;; [unrolled: 1-line block ×7, first 2 shown]
	ds_store_b32 v20, v6
	ds_store_b32 v21, v7
	;; [unrolled: 1-line block ×7, first 2 shown]
.LBB104_69:
	s_or_b32 exec_lo, exec_lo, s0
	v_lshlrev_b32_e32 v1, 2, v1
	s_mov_b32 s1, exec_lo
	v_cmp_eq_u32_e32 vcc_lo, 0, v30
	s_wait_dscnt 0x0
	s_barrier_signal -1
	v_add3_u32 v1, 0x110, v17, v1
	s_barrier_wait -1
	v_cmpx_gt_u32_e32 64, v0
	s_cbranch_execz .LBB104_87
; %bb.70:
	s_and_saveexec_b32 s0, vcc_lo
	s_cbranch_execnz .LBB104_110
; %bb.71:
	s_or_b32 exec_lo, exec_lo, s0
	s_and_saveexec_b32 s0, vcc_lo
	s_cbranch_execnz .LBB104_111
.LBB104_72:
	s_or_b32 exec_lo, exec_lo, s0
	s_and_saveexec_b32 s0, vcc_lo
	s_cbranch_execnz .LBB104_112
.LBB104_73:
	s_or_b32 exec_lo, exec_lo, s0
	s_and_saveexec_b32 s0, vcc_lo
	s_cbranch_execnz .LBB104_113
.LBB104_74:
	s_or_b32 exec_lo, exec_lo, s0
	s_and_saveexec_b32 s0, vcc_lo
	s_cbranch_execnz .LBB104_114
.LBB104_75:
	s_or_b32 exec_lo, exec_lo, s0
	s_and_saveexec_b32 s0, vcc_lo
	s_cbranch_execnz .LBB104_115
.LBB104_76:
	s_or_b32 exec_lo, exec_lo, s0
	s_and_saveexec_b32 s0, vcc_lo
	s_cbranch_execnz .LBB104_116
.LBB104_77:
	s_or_b32 exec_lo, exec_lo, s0
	s_and_saveexec_b32 s0, vcc_lo
	s_cbranch_execnz .LBB104_117
.LBB104_78:
	s_or_b32 exec_lo, exec_lo, s0
	s_and_saveexec_b32 s0, vcc_lo
	s_cbranch_execnz .LBB104_118
.LBB104_79:
	s_or_b32 exec_lo, exec_lo, s0
	s_and_saveexec_b32 s0, vcc_lo
	s_cbranch_execnz .LBB104_119
.LBB104_80:
	s_or_b32 exec_lo, exec_lo, s0
	s_and_saveexec_b32 s0, vcc_lo
	s_cbranch_execnz .LBB104_120
.LBB104_81:
	s_or_b32 exec_lo, exec_lo, s0
	s_and_saveexec_b32 s0, vcc_lo
	s_cbranch_execnz .LBB104_121
.LBB104_82:
	s_or_b32 exec_lo, exec_lo, s0
	s_and_saveexec_b32 s0, vcc_lo
	s_cbranch_execnz .LBB104_122
.LBB104_83:
	s_or_b32 exec_lo, exec_lo, s0
	s_and_saveexec_b32 s0, vcc_lo
	s_cbranch_execnz .LBB104_123
.LBB104_84:
	s_or_b32 exec_lo, exec_lo, s0
	s_and_saveexec_b32 s0, vcc_lo
	s_cbranch_execz .LBB104_86
.LBB104_85:
	ds_load_b32 v17, v1 offset:448
	s_wait_dscnt 0x0
	v_add_f32_e32 v18, v18, v17
.LBB104_86:
	s_or_b32 exec_lo, exec_lo, s0
.LBB104_87:
	s_delay_alu instid0(SALU_CYCLE_1) | instskip(SKIP_4) | instid1(VALU_DEP_1)
	s_or_b32 exec_lo, exec_lo, s1
	v_and_b32_e32 v17, 0x3e3, v0
	s_mov_b32 s1, exec_lo
	s_barrier_signal -1
	s_barrier_wait -1
	v_cmpx_eq_u32_e32 32, v17
	s_cbranch_execz .LBB104_89
; %bb.88:
	ds_store_2addr_b32 v16, v14, v15 offset1:8
	ds_store_2addr_b32 v16, v12, v13 offset0:16 offset1:24
	ds_store_2addr_b32 v16, v10, v11 offset0:32 offset1:40
	;; [unrolled: 1-line block ×6, first 2 shown]
	ds_store_b32 v16, v18 offset:448
.LBB104_89:
	s_or_b32 exec_lo, exec_lo, s1
	s_delay_alu instid0(SALU_CYCLE_1)
	s_mov_b32 s1, exec_lo
	s_wait_dscnt 0x0
	s_barrier_signal -1
	s_barrier_wait -1
	v_cmpx_gt_u32_e32 32, v0
	s_cbranch_execz .LBB104_107
; %bb.90:
	s_and_saveexec_b32 s0, vcc_lo
	s_cbranch_execnz .LBB104_124
; %bb.91:
	s_or_b32 exec_lo, exec_lo, s0
	s_and_saveexec_b32 s0, vcc_lo
	s_cbranch_execnz .LBB104_125
.LBB104_92:
	s_or_b32 exec_lo, exec_lo, s0
	s_and_saveexec_b32 s0, vcc_lo
	s_cbranch_execnz .LBB104_126
.LBB104_93:
	s_or_b32 exec_lo, exec_lo, s0
	s_and_saveexec_b32 s0, vcc_lo
	s_cbranch_execnz .LBB104_127
.LBB104_94:
	s_or_b32 exec_lo, exec_lo, s0
	s_and_saveexec_b32 s0, vcc_lo
	s_cbranch_execnz .LBB104_128
.LBB104_95:
	s_or_b32 exec_lo, exec_lo, s0
	s_and_saveexec_b32 s0, vcc_lo
	s_cbranch_execnz .LBB104_129
.LBB104_96:
	s_or_b32 exec_lo, exec_lo, s0
	s_and_saveexec_b32 s0, vcc_lo
	s_cbranch_execnz .LBB104_130
.LBB104_97:
	s_or_b32 exec_lo, exec_lo, s0
	s_and_saveexec_b32 s0, vcc_lo
	s_cbranch_execnz .LBB104_131
.LBB104_98:
	s_or_b32 exec_lo, exec_lo, s0
	s_and_saveexec_b32 s0, vcc_lo
	s_cbranch_execnz .LBB104_132
.LBB104_99:
	s_or_b32 exec_lo, exec_lo, s0
	s_and_saveexec_b32 s0, vcc_lo
	s_cbranch_execnz .LBB104_133
.LBB104_100:
	s_or_b32 exec_lo, exec_lo, s0
	s_and_saveexec_b32 s0, vcc_lo
	s_cbranch_execnz .LBB104_134
.LBB104_101:
	s_or_b32 exec_lo, exec_lo, s0
	s_and_saveexec_b32 s0, vcc_lo
	s_cbranch_execnz .LBB104_135
.LBB104_102:
	s_or_b32 exec_lo, exec_lo, s0
	s_and_saveexec_b32 s0, vcc_lo
	s_cbranch_execnz .LBB104_136
.LBB104_103:
	s_or_b32 exec_lo, exec_lo, s0
	s_and_saveexec_b32 s0, vcc_lo
	s_cbranch_execnz .LBB104_137
.LBB104_104:
	s_or_b32 exec_lo, exec_lo, s0
	s_and_saveexec_b32 s0, vcc_lo
	s_cbranch_execz .LBB104_106
.LBB104_105:
	ds_load_b32 v1, v1 offset:448
	s_wait_dscnt 0x0
	v_add_f32_e32 v18, v18, v1
.LBB104_106:
	s_or_b32 exec_lo, exec_lo, s0
.LBB104_107:
	s_delay_alu instid0(SALU_CYCLE_1)
	s_or_b32 exec_lo, exec_lo, s1
	s_mov_b32 s1, 0
	s_barrier_signal -1
	s_barrier_wait -1
	s_mov_b32 s0, exec_lo
	v_cmpx_eq_u32_e32 0, v17
	s_cbranch_execz .LBB104_109
; %bb.108:
	s_mul_i32 s0, s20, s9
	s_mul_i32 s2, s9, s8
	;; [unrolled: 1-line block ×3, first 2 shown]
	s_lshr_b32 s8, ttmp7, 16
	s_mul_i32 s4, s0, 0x78
	s_bfe_u32 s0, ttmp6, 0x40014
	s_ashr_i32 s5, s4, 31
	s_add_co_i32 s0, s0, 1
	s_lshl_b64 s[4:5], s[4:5], 1
	s_ashr_i32 s3, s2, 31
	s_wait_kmcnt 0x0
	s_add_nc_u64 s[4:5], s[6:7], s[4:5]
	s_mul_i32 s0, s8, s0
	s_bfe_u32 s6, ttmp6, 0x40008
	s_lshl_b64 s[2:3], s[2:3], 1
	s_add_co_i32 s6, s6, s0
	s_cmp_eq_u32 s18, 0
	v_lshrrev_b32_e32 v0, 1, v0
	s_cselect_b32 s0, s8, s6
	s_add_nc_u64 s[2:3], s[4:5], s[2:3]
	s_mulk_i32 s0, 0xf0
	;;#ASMSTART
	v_cvt_f16_f32 v1, v14;

	;;#ASMEND
	s_add_nc_u64 s[0:1], s[2:3], s[0:1]
	global_store_b16 v0, v1, s[0:1]
	s_wait_xcnt 0x0
	;;#ASMSTART
	v_cvt_f16_f32 v1, v15;

	;;#ASMEND
	global_store_b16 v0, v1, s[0:1] offset:16
	s_wait_xcnt 0x0
	;;#ASMSTART
	v_cvt_f16_f32 v1, v12;

	;;#ASMEND
	global_store_b16 v0, v1, s[0:1] offset:32
	;; [unrolled: 6-line block ×14, first 2 shown]
.LBB104_109:
	s_sendmsg sendmsg(MSG_DEALLOC_VGPRS)
	s_endpgm
.LBB104_110:
	ds_load_b32 v17, v1
	s_wait_dscnt 0x0
	v_add_f32_e32 v14, v14, v17
	s_or_b32 exec_lo, exec_lo, s0
	s_and_saveexec_b32 s0, vcc_lo
	s_cbranch_execz .LBB104_72
.LBB104_111:
	ds_load_b32 v17, v1 offset:32
	s_wait_dscnt 0x0
	v_add_f32_e32 v15, v15, v17
	s_or_b32 exec_lo, exec_lo, s0
	s_and_saveexec_b32 s0, vcc_lo
	s_cbranch_execz .LBB104_73
.LBB104_112:
	ds_load_b32 v17, v1 offset:64
	s_wait_dscnt 0x0
	v_add_f32_e32 v12, v12, v17
	s_or_b32 exec_lo, exec_lo, s0
	s_and_saveexec_b32 s0, vcc_lo
	s_cbranch_execz .LBB104_74
.LBB104_113:
	ds_load_b32 v17, v1 offset:96
	s_wait_dscnt 0x0
	v_add_f32_e32 v13, v13, v17
	s_or_b32 exec_lo, exec_lo, s0
	s_and_saveexec_b32 s0, vcc_lo
	s_cbranch_execz .LBB104_75
.LBB104_114:
	ds_load_b32 v17, v1 offset:128
	s_wait_dscnt 0x0
	v_add_f32_e32 v10, v10, v17
	s_or_b32 exec_lo, exec_lo, s0
	s_and_saveexec_b32 s0, vcc_lo
	s_cbranch_execz .LBB104_76
.LBB104_115:
	ds_load_b32 v17, v1 offset:160
	s_wait_dscnt 0x0
	v_add_f32_e32 v11, v11, v17
	s_or_b32 exec_lo, exec_lo, s0
	s_and_saveexec_b32 s0, vcc_lo
	s_cbranch_execz .LBB104_77
.LBB104_116:
	ds_load_b32 v17, v1 offset:192
	s_wait_dscnt 0x0
	v_add_f32_e32 v8, v8, v17
	s_or_b32 exec_lo, exec_lo, s0
	s_and_saveexec_b32 s0, vcc_lo
	s_cbranch_execz .LBB104_78
.LBB104_117:
	ds_load_b32 v17, v1 offset:224
	s_wait_dscnt 0x0
	v_add_f32_e32 v9, v9, v17
	s_or_b32 exec_lo, exec_lo, s0
	s_and_saveexec_b32 s0, vcc_lo
	s_cbranch_execz .LBB104_79
.LBB104_118:
	ds_load_b32 v17, v1 offset:256
	s_wait_dscnt 0x0
	v_add_f32_e32 v6, v6, v17
	s_or_b32 exec_lo, exec_lo, s0
	s_and_saveexec_b32 s0, vcc_lo
	s_cbranch_execz .LBB104_80
.LBB104_119:
	ds_load_b32 v17, v1 offset:288
	s_wait_dscnt 0x0
	v_add_f32_e32 v7, v7, v17
	s_or_b32 exec_lo, exec_lo, s0
	s_and_saveexec_b32 s0, vcc_lo
	s_cbranch_execz .LBB104_81
.LBB104_120:
	ds_load_b32 v17, v1 offset:320
	s_wait_dscnt 0x0
	v_add_f32_e32 v4, v4, v17
	s_or_b32 exec_lo, exec_lo, s0
	s_and_saveexec_b32 s0, vcc_lo
	s_cbranch_execz .LBB104_82
.LBB104_121:
	ds_load_b32 v17, v1 offset:352
	s_wait_dscnt 0x0
	v_add_f32_e32 v5, v5, v17
	s_or_b32 exec_lo, exec_lo, s0
	s_and_saveexec_b32 s0, vcc_lo
	s_cbranch_execz .LBB104_83
.LBB104_122:
	ds_load_b32 v17, v1 offset:384
	s_wait_dscnt 0x0
	v_add_f32_e32 v2, v2, v17
	s_or_b32 exec_lo, exec_lo, s0
	s_and_saveexec_b32 s0, vcc_lo
	s_cbranch_execz .LBB104_84
.LBB104_123:
	ds_load_b32 v17, v1 offset:416
	s_wait_dscnt 0x0
	v_add_f32_e32 v3, v3, v17
	s_or_b32 exec_lo, exec_lo, s0
	s_and_saveexec_b32 s0, vcc_lo
	s_cbranch_execnz .LBB104_85
	s_branch .LBB104_86
.LBB104_124:
	ds_load_b32 v16, v1
	s_wait_dscnt 0x0
	v_add_f32_e32 v14, v14, v16
	s_or_b32 exec_lo, exec_lo, s0
	s_and_saveexec_b32 s0, vcc_lo
	s_cbranch_execz .LBB104_92
.LBB104_125:
	ds_load_b32 v16, v1 offset:32
	s_wait_dscnt 0x0
	v_add_f32_e32 v15, v15, v16
	s_or_b32 exec_lo, exec_lo, s0
	s_and_saveexec_b32 s0, vcc_lo
	s_cbranch_execz .LBB104_93
.LBB104_126:
	ds_load_b32 v16, v1 offset:64
	s_wait_dscnt 0x0
	v_add_f32_e32 v12, v12, v16
	s_or_b32 exec_lo, exec_lo, s0
	s_and_saveexec_b32 s0, vcc_lo
	s_cbranch_execz .LBB104_94
.LBB104_127:
	ds_load_b32 v16, v1 offset:96
	s_wait_dscnt 0x0
	v_add_f32_e32 v13, v13, v16
	s_or_b32 exec_lo, exec_lo, s0
	s_and_saveexec_b32 s0, vcc_lo
	s_cbranch_execz .LBB104_95
.LBB104_128:
	ds_load_b32 v16, v1 offset:128
	s_wait_dscnt 0x0
	v_add_f32_e32 v10, v10, v16
	s_or_b32 exec_lo, exec_lo, s0
	s_and_saveexec_b32 s0, vcc_lo
	s_cbranch_execz .LBB104_96
.LBB104_129:
	ds_load_b32 v16, v1 offset:160
	s_wait_dscnt 0x0
	v_add_f32_e32 v11, v11, v16
	s_or_b32 exec_lo, exec_lo, s0
	s_and_saveexec_b32 s0, vcc_lo
	s_cbranch_execz .LBB104_97
.LBB104_130:
	ds_load_b32 v16, v1 offset:192
	s_wait_dscnt 0x0
	v_add_f32_e32 v8, v8, v16
	s_or_b32 exec_lo, exec_lo, s0
	s_and_saveexec_b32 s0, vcc_lo
	s_cbranch_execz .LBB104_98
.LBB104_131:
	ds_load_b32 v16, v1 offset:224
	s_wait_dscnt 0x0
	v_add_f32_e32 v9, v9, v16
	s_or_b32 exec_lo, exec_lo, s0
	s_and_saveexec_b32 s0, vcc_lo
	s_cbranch_execz .LBB104_99
.LBB104_132:
	ds_load_b32 v16, v1 offset:256
	s_wait_dscnt 0x0
	v_add_f32_e32 v6, v6, v16
	s_or_b32 exec_lo, exec_lo, s0
	s_and_saveexec_b32 s0, vcc_lo
	s_cbranch_execz .LBB104_100
.LBB104_133:
	ds_load_b32 v16, v1 offset:288
	s_wait_dscnt 0x0
	v_add_f32_e32 v7, v7, v16
	s_or_b32 exec_lo, exec_lo, s0
	s_and_saveexec_b32 s0, vcc_lo
	s_cbranch_execz .LBB104_101
.LBB104_134:
	ds_load_b32 v16, v1 offset:320
	s_wait_dscnt 0x0
	v_add_f32_e32 v4, v4, v16
	s_or_b32 exec_lo, exec_lo, s0
	s_and_saveexec_b32 s0, vcc_lo
	s_cbranch_execz .LBB104_102
.LBB104_135:
	ds_load_b32 v16, v1 offset:352
	s_wait_dscnt 0x0
	v_add_f32_e32 v5, v5, v16
	s_or_b32 exec_lo, exec_lo, s0
	s_and_saveexec_b32 s0, vcc_lo
	s_cbranch_execz .LBB104_103
.LBB104_136:
	ds_load_b32 v16, v1 offset:384
	s_wait_dscnt 0x0
	v_add_f32_e32 v2, v2, v16
	s_or_b32 exec_lo, exec_lo, s0
	s_and_saveexec_b32 s0, vcc_lo
	s_cbranch_execz .LBB104_104
.LBB104_137:
	ds_load_b32 v16, v1 offset:416
	s_wait_dscnt 0x0
	v_add_f32_e32 v3, v3, v16
	s_or_b32 exec_lo, exec_lo, s0
	s_and_saveexec_b32 s0, vcc_lo
	s_cbranch_execnz .LBB104_105
	s_branch .LBB104_106
	.section	.rodata,"a",@progbits
	.p2align	6, 0x0
	.amdhsa_kernel _ZN4vllm25paged_attention_v1_kernelIttLi120ELi32ELi128ELNS_18Fp8KVCacheDataTypeE0ELb0EEEvPT_PKS2_PKT0_S8_ifPKiSA_iPKfiiiSC_SC_iiiii
		.amdhsa_group_segment_fixed_size 272
		.amdhsa_private_segment_fixed_size 0
		.amdhsa_kernarg_size 384
		.amdhsa_user_sgpr_count 2
		.amdhsa_user_sgpr_dispatch_ptr 0
		.amdhsa_user_sgpr_queue_ptr 0
		.amdhsa_user_sgpr_kernarg_segment_ptr 1
		.amdhsa_user_sgpr_dispatch_id 0
		.amdhsa_user_sgpr_kernarg_preload_length 0
		.amdhsa_user_sgpr_kernarg_preload_offset 0
		.amdhsa_user_sgpr_private_segment_size 0
		.amdhsa_wavefront_size32 1
		.amdhsa_uses_dynamic_stack 0
		.amdhsa_enable_private_segment 0
		.amdhsa_system_sgpr_workgroup_id_x 1
		.amdhsa_system_sgpr_workgroup_id_y 1
		.amdhsa_system_sgpr_workgroup_id_z 1
		.amdhsa_system_sgpr_workgroup_info 0
		.amdhsa_system_vgpr_workitem_id 0
		.amdhsa_next_free_vgpr 110
		.amdhsa_next_free_sgpr 28
		.amdhsa_named_barrier_count 0
		.amdhsa_reserve_vcc 1
		.amdhsa_float_round_mode_32 0
		.amdhsa_float_round_mode_16_64 0
		.amdhsa_float_denorm_mode_32 3
		.amdhsa_float_denorm_mode_16_64 3
		.amdhsa_fp16_overflow 0
		.amdhsa_memory_ordered 1
		.amdhsa_forward_progress 1
		.amdhsa_inst_pref_size 96
		.amdhsa_round_robin_scheduling 0
		.amdhsa_exception_fp_ieee_invalid_op 0
		.amdhsa_exception_fp_denorm_src 0
		.amdhsa_exception_fp_ieee_div_zero 0
		.amdhsa_exception_fp_ieee_overflow 0
		.amdhsa_exception_fp_ieee_underflow 0
		.amdhsa_exception_fp_ieee_inexact 0
		.amdhsa_exception_int_div_zero 0
	.end_amdhsa_kernel
	.section	.text._ZN4vllm25paged_attention_v1_kernelIttLi120ELi32ELi128ELNS_18Fp8KVCacheDataTypeE0ELb0EEEvPT_PKS2_PKT0_S8_ifPKiSA_iPKfiiiSC_SC_iiiii,"axG",@progbits,_ZN4vllm25paged_attention_v1_kernelIttLi120ELi32ELi128ELNS_18Fp8KVCacheDataTypeE0ELb0EEEvPT_PKS2_PKT0_S8_ifPKiSA_iPKfiiiSC_SC_iiiii,comdat
.Lfunc_end104:
	.size	_ZN4vllm25paged_attention_v1_kernelIttLi120ELi32ELi128ELNS_18Fp8KVCacheDataTypeE0ELb0EEEvPT_PKS2_PKT0_S8_ifPKiSA_iPKfiiiSC_SC_iiiii, .Lfunc_end104-_ZN4vllm25paged_attention_v1_kernelIttLi120ELi32ELi128ELNS_18Fp8KVCacheDataTypeE0ELb0EEEvPT_PKS2_PKT0_S8_ifPKiSA_iPKfiiiSC_SC_iiiii
                                        ; -- End function
	.set _ZN4vllm25paged_attention_v1_kernelIttLi120ELi32ELi128ELNS_18Fp8KVCacheDataTypeE0ELb0EEEvPT_PKS2_PKT0_S8_ifPKiSA_iPKfiiiSC_SC_iiiii.num_vgpr, 110
	.set _ZN4vllm25paged_attention_v1_kernelIttLi120ELi32ELi128ELNS_18Fp8KVCacheDataTypeE0ELb0EEEvPT_PKS2_PKT0_S8_ifPKiSA_iPKfiiiSC_SC_iiiii.num_agpr, 0
	.set _ZN4vllm25paged_attention_v1_kernelIttLi120ELi32ELi128ELNS_18Fp8KVCacheDataTypeE0ELb0EEEvPT_PKS2_PKT0_S8_ifPKiSA_iPKfiiiSC_SC_iiiii.numbered_sgpr, 28
	.set _ZN4vllm25paged_attention_v1_kernelIttLi120ELi32ELi128ELNS_18Fp8KVCacheDataTypeE0ELb0EEEvPT_PKS2_PKT0_S8_ifPKiSA_iPKfiiiSC_SC_iiiii.num_named_barrier, 0
	.set _ZN4vllm25paged_attention_v1_kernelIttLi120ELi32ELi128ELNS_18Fp8KVCacheDataTypeE0ELb0EEEvPT_PKS2_PKT0_S8_ifPKiSA_iPKfiiiSC_SC_iiiii.private_seg_size, 0
	.set _ZN4vllm25paged_attention_v1_kernelIttLi120ELi32ELi128ELNS_18Fp8KVCacheDataTypeE0ELb0EEEvPT_PKS2_PKT0_S8_ifPKiSA_iPKfiiiSC_SC_iiiii.uses_vcc, 1
	.set _ZN4vllm25paged_attention_v1_kernelIttLi120ELi32ELi128ELNS_18Fp8KVCacheDataTypeE0ELb0EEEvPT_PKS2_PKT0_S8_ifPKiSA_iPKfiiiSC_SC_iiiii.uses_flat_scratch, 0
	.set _ZN4vllm25paged_attention_v1_kernelIttLi120ELi32ELi128ELNS_18Fp8KVCacheDataTypeE0ELb0EEEvPT_PKS2_PKT0_S8_ifPKiSA_iPKfiiiSC_SC_iiiii.has_dyn_sized_stack, 0
	.set _ZN4vllm25paged_attention_v1_kernelIttLi120ELi32ELi128ELNS_18Fp8KVCacheDataTypeE0ELb0EEEvPT_PKS2_PKT0_S8_ifPKiSA_iPKfiiiSC_SC_iiiii.has_recursion, 0
	.set _ZN4vllm25paged_attention_v1_kernelIttLi120ELi32ELi128ELNS_18Fp8KVCacheDataTypeE0ELb0EEEvPT_PKS2_PKT0_S8_ifPKiSA_iPKfiiiSC_SC_iiiii.has_indirect_call, 0
	.section	.AMDGPU.csdata,"",@progbits
; Kernel info:
; codeLenInByte = 12184
; TotalNumSgprs: 30
; NumVgprs: 110
; ScratchSize: 0
; MemoryBound: 0
; FloatMode: 240
; IeeeMode: 1
; LDSByteSize: 272 bytes/workgroup (compile time only)
; SGPRBlocks: 0
; VGPRBlocks: 6
; NumSGPRsForWavesPerEU: 30
; NumVGPRsForWavesPerEU: 110
; NamedBarCnt: 0
; Occupancy: 9
; WaveLimiterHint : 1
; COMPUTE_PGM_RSRC2:SCRATCH_EN: 0
; COMPUTE_PGM_RSRC2:USER_SGPR: 2
; COMPUTE_PGM_RSRC2:TRAP_HANDLER: 0
; COMPUTE_PGM_RSRC2:TGID_X_EN: 1
; COMPUTE_PGM_RSRC2:TGID_Y_EN: 1
; COMPUTE_PGM_RSRC2:TGID_Z_EN: 1
; COMPUTE_PGM_RSRC2:TIDIG_COMP_CNT: 0
	.section	.text._ZN4vllm25paged_attention_v1_kernelIttLi128ELi32ELi128ELNS_18Fp8KVCacheDataTypeE0ELb0EEEvPT_PKS2_PKT0_S8_ifPKiSA_iPKfiiiSC_SC_iiiii,"axG",@progbits,_ZN4vllm25paged_attention_v1_kernelIttLi128ELi32ELi128ELNS_18Fp8KVCacheDataTypeE0ELb0EEEvPT_PKS2_PKT0_S8_ifPKiSA_iPKfiiiSC_SC_iiiii,comdat
	.protected	_ZN4vllm25paged_attention_v1_kernelIttLi128ELi32ELi128ELNS_18Fp8KVCacheDataTypeE0ELb0EEEvPT_PKS2_PKT0_S8_ifPKiSA_iPKfiiiSC_SC_iiiii ; -- Begin function _ZN4vllm25paged_attention_v1_kernelIttLi128ELi32ELi128ELNS_18Fp8KVCacheDataTypeE0ELb0EEEvPT_PKS2_PKT0_S8_ifPKiSA_iPKfiiiSC_SC_iiiii
	.globl	_ZN4vllm25paged_attention_v1_kernelIttLi128ELi32ELi128ELNS_18Fp8KVCacheDataTypeE0ELb0EEEvPT_PKS2_PKT0_S8_ifPKiSA_iPKfiiiSC_SC_iiiii
	.p2align	8
	.type	_ZN4vllm25paged_attention_v1_kernelIttLi128ELi32ELi128ELNS_18Fp8KVCacheDataTypeE0ELb0EEEvPT_PKS2_PKT0_S8_ifPKiSA_iPKfiiiSC_SC_iiiii,@function
_ZN4vllm25paged_attention_v1_kernelIttLi128ELi32ELi128ELNS_18Fp8KVCacheDataTypeE0ELb0EEEvPT_PKS2_PKT0_S8_ifPKiSA_iPKfiiiSC_SC_iiiii: ; @_ZN4vllm25paged_attention_v1_kernelIttLi128ELi32ELi128ELNS_18Fp8KVCacheDataTypeE0ELb0EEEvPT_PKS2_PKT0_S8_ifPKiSA_iPKfiiiSC_SC_iiiii
; %bb.0:
	s_load_b64 s[6:7], s[0:1], 0x20
	s_bfe_u32 s3, ttmp6, 0x4000c
	s_bfe_u32 s5, ttmp6, 0x40010
	s_and_b32 s4, ttmp7, 0xffff
	s_add_co_i32 s3, s3, 1
	s_add_co_i32 s5, s5, 1
	s_and_b32 s2, ttmp6, 15
	s_bfe_u32 s8, ttmp6, 0x40004
	s_mul_i32 s3, ttmp9, s3
	s_mul_i32 s5, s4, s5
	s_getreg_b32 s18, hwreg(HW_REG_IB_STS2, 6, 4)
	s_add_co_i32 s2, s2, s3
	s_add_co_i32 s8, s8, s5
	s_cmp_eq_u32 s18, 0
	s_clause 0x1
	s_load_b32 s19, s[0:1], 0x80
	s_load_b64 s[10:11], s[0:1], 0x30
	s_cselect_b32 s20, s4, s8
	s_cselect_b32 s8, ttmp9, s2
	s_wait_kmcnt 0x0
	s_abs_i32 s2, s6
	s_delay_alu instid0(SALU_CYCLE_1) | instskip(SKIP_1) | instid1(SALU_CYCLE_2)
	s_cvt_f32_u32 s3, s2
	s_sub_co_i32 s4, 0, s2
	v_rcp_iflag_f32_e32 v1, s3
	s_abs_i32 s5, s19
	v_nop
	s_delay_alu instid0(TRANS32_DEP_1) | instskip(SKIP_1) | instid1(SALU_CYCLE_3)
	v_readfirstlane_b32 s3, v1
	s_mul_f32 s3, s3, 0x4f7ffffe
	s_cvt_u32_f32 s3, s3
	s_delay_alu instid0(SALU_CYCLE_3) | instskip(NEXT) | instid1(SALU_CYCLE_1)
	s_mul_i32 s4, s4, s3
	s_mul_hi_u32 s4, s3, s4
	s_delay_alu instid0(SALU_CYCLE_1) | instskip(SKIP_4) | instid1(SALU_CYCLE_1)
	s_add_co_i32 s3, s3, s4
	s_xor_b32 s4, s19, s6
	s_mul_hi_u32 s3, s5, s3
	s_ashr_i32 s4, s4, 31
	s_mul_i32 s6, s3, s2
	s_sub_co_i32 s5, s5, s6
	s_add_co_i32 s6, s3, 1
	s_sub_co_i32 s9, s5, s2
	s_cmp_ge_u32 s5, s2
	s_cselect_b32 s3, s6, s3
	s_cselect_b32 s5, s9, s5
	s_add_co_i32 s6, s3, 1
	s_cmp_ge_u32 s5, s2
	s_cselect_b32 s2, s6, s3
	s_mov_b32 s3, 0
	s_xor_b32 s2, s2, s4
	s_mov_b32 s13, s3
	s_sub_co_i32 s15, s2, s4
	s_load_b64 s[4:5], s[0:1], 0x40
	s_abs_i32 s14, s15
	s_mov_b32 s23, s3
	s_cvt_f32_u32 s2, s14
	s_delay_alu instid0(SALU_CYCLE_3) | instskip(SKIP_1) | instid1(TRANS32_DEP_1)
	v_rcp_iflag_f32_e32 v1, s2
	v_nop
	v_readfirstlane_b32 s2, v1
	s_mul_f32 s2, s2, 0x4f7ffffe
	s_delay_alu instid0(SALU_CYCLE_3) | instskip(SKIP_1) | instid1(SALU_CYCLE_2)
	s_cvt_u32_f32 s6, s2
	s_sub_co_i32 s2, 0, s14
	s_mul_i32 s2, s2, s6
	s_delay_alu instid0(SALU_CYCLE_1)
	s_mul_hi_u32 s9, s6, s2
	s_abs_i32 s2, s8
	s_add_co_i32 s12, s6, s9
	s_wait_kmcnt 0x0
	s_cmp_eq_u64 s[4:5], 0
	s_cbranch_scc1 .LBB105_2
; %bb.1:
	s_ashr_i32 s9, s8, 31
	s_delay_alu instid0(SALU_CYCLE_1) | instskip(NEXT) | instid1(SALU_CYCLE_1)
	s_lshl_b64 s[16:17], s[8:9], 2
	s_add_nc_u64 s[4:5], s[4:5], s[16:17]
	s_load_b32 s23, s[4:5], 0x0
.LBB105_2:
	s_load_b32 s21, s[10:11], s20 offset:0x0 scale_offset
	s_wait_xcnt 0x0
	s_load_b96 s[4:6], s[0:1], 0x48
	v_lshlrev_b32_e32 v1, 4, v0
	s_ashr_i32 s10, s8, 31
	s_ashr_i32 s11, s15, 31
	s_mul_u64 s[12:13], s[2:3], s[12:13]
	s_lshl_b32 s8, s8, 7
	s_mov_b32 s3, exec_lo
	v_cmpx_gt_u32_e32 16, v0
	s_cbranch_execz .LBB105_4
; %bb.3:
	s_load_b64 s[16:17], s[0:1], 0x8
	s_wait_kmcnt 0x0
	s_mul_i32 s24, s4, s20
	s_ashr_i32 s9, s8, 31
	s_ashr_i32 s25, s24, 31
	s_delay_alu instid0(SALU_CYCLE_1) | instskip(NEXT) | instid1(SALU_CYCLE_1)
	s_lshl_b64 s[24:25], s[24:25], 1
	s_add_nc_u64 s[16:17], s[16:17], s[24:25]
	s_lshl_b64 s[24:25], s[8:9], 1
	s_delay_alu instid0(SALU_CYCLE_1)
	s_add_nc_u64 s[16:17], s[16:17], s[24:25]
	global_load_b128 v[2:5], v0, s[16:17] scale_offset
	s_wait_loadcnt 0x0
	ds_store_b128 v1, v[2:5]
.LBB105_4:
	s_or_b32 exec_lo, exec_lo, s3
	s_wait_kmcnt 0x0
	s_add_co_i32 s3, s21, 31
	s_load_b32 s4, s[0:1], 0x38
	s_ashr_i32 s9, s3, 31
	s_xor_b32 s12, s10, s11
	s_lshr_b32 s9, s9, 27
	s_mul_i32 s10, s13, s14
	s_add_co_i32 s3, s3, s9
	s_sub_co_i32 s2, s2, s10
	s_clause 0x1
	s_load_b64 s[10:11], s[0:1], 0x28
	s_load_b32 s9, s[0:1], 0x88
	s_ashr_i32 s22, s3, 5
	s_add_co_i32 s3, s13, 1
	s_sub_co_i32 s15, s2, s14
	s_cmp_ge_u32 s2, s14
	v_dual_lshrrev_b32 v72, 5, v0 :: v_dual_bitop2_b32 v73, 31, v0 bitop3:0x40
	s_cselect_b32 s3, s3, s13
	s_cselect_b32 s2, s15, s2
	s_add_co_i32 s13, s3, 1
	s_cmp_ge_u32 s2, s14
	v_dual_mov_b32 v62, 0xff7fffff :: v_dual_lshlrev_b32 v75, 2, v73
	s_cselect_b32 s2, s13, s3
	v_lshrrev_b32_e32 v74, 3, v0
	s_xor_b32 s2, s2, s12
	s_wait_dscnt 0x0
	s_sub_co_i32 s3, s2, s12
	v_cmp_gt_i32_e64 s2, s22, v72
	s_wait_kmcnt 0x0
	s_mul_i32 s12, s4, s20
	s_mul_i32 s14, s3, s6
	s_ashr_i32 s13, s12, 31
	s_barrier_signal -1
	s_barrier_wait -1
	s_and_saveexec_b32 s6, s2
	s_cbranch_execz .LBB105_8
; %bb.5:
	s_load_b64 s[24:25], s[0:1], 0x10
	s_ashr_i32 s15, s14, 31
	v_dual_mov_b32 v63, 0 :: v_dual_lshlrev_b32 v62, 4, v73
	s_ashr_i32 s17, s5, 31
	s_lshl_b64 s[26:27], s[14:15], 1
	s_cmp_neq_f32 s23, 0
	v_lshl_or_b32 v2, v72, 7, v75
	v_lshl_or_b32 v76, v72, 5, v73
	v_mov_b32_e32 v78, v72
	s_cselect_b32 vcc_lo, -1, 0
	s_mov_b32 s16, s5
	v_add_nc_u32_e32 v77, 0x120, v2
	s_mov_b32 s15, 0
	s_wait_kmcnt 0x0
	s_add_nc_u64 s[24:25], s[24:25], s[26:27]
	s_delay_alu instid0(SALU_CYCLE_1) | instskip(SKIP_2) | instid1(SALU_CYCLE_1)
	v_add_nc_u64_e32 v[64:65], s[24:25], v[62:63]
	v_and_b32_e32 v62, 0x7c, v74
	s_lshl_b64 s[24:25], s[12:13], 2
	s_add_nc_u64 s[24:25], s[10:11], s[24:25]
	s_delay_alu instid0(VALU_DEP_1) | instid1(SALU_CYCLE_1)
	v_add_nc_u64_e32 v[66:67], s[24:25], v[62:63]
	v_mov_b32_e32 v62, 0xff7fffff
	s_sub_co_i32 s24, 1, s21
.LBB105_6:                              ; =>This Inner Loop Header: Depth=1
	global_load_b32 v6, v[66:67], off
	ds_load_b128 v[2:5], v63
	v_cmp_gt_i32_e64 s3, s21, v76
	s_wait_xcnt 0x0
	v_add_nc_u64_e32 v[66:67], 16, v[66:67]
	s_wait_dscnt 0x0
	v_dual_lshrrev_b32 v69, 16, v2 :: v_dual_lshrrev_b32 v70, 16, v3
	v_and_b32_e32 v68, 0xffff, v2
	v_and_b32_e32 v71, 0xffff, v3
	v_dual_lshrrev_b32 v97, 16, v4 :: v_dual_lshrrev_b32 v101, 16, v5
	v_and_b32_e32 v98, 0xffff, v4
	v_and_b32_e32 v102, 0xffff, v5
	s_wait_loadcnt 0x0
	v_ashrrev_i32_e32 v7, 31, v6
	s_delay_alu instid0(VALU_DEP_1) | instskip(NEXT) | instid1(VALU_DEP_1)
	v_mul_u64_e32 v[2:3], s[16:17], v[6:7]
	v_lshl_add_u64 v[2:3], v[2:3], 1, v[64:65]
	s_clause 0xf
	global_load_b128 v[80:83], v[2:3], off
	global_load_b128 v[58:61], v[2:3], off offset:512
	global_load_b128 v[54:57], v[2:3], off offset:1024
	;; [unrolled: 1-line block ×15, first 2 shown]
	;;#ASMSTART
	v_cvt_f32_f16 v68, v68;
	;;#ASMEND
	;;#ASMSTART
	v_cvt_f32_f16 v69, v69;
	;;#ASMEND
	s_wait_loadcnt 0xf
	v_lshrrev_b32_e32 v112, 16, v80
	v_and_b32_e32 v114, 0xffff, v80
	v_dual_lshrrev_b32 v110, 16, v81 :: v_dual_lshrrev_b32 v108, 16, v82
	v_and_b32_e32 v113, 0xffff, v81
	v_and_b32_e32 v111, 0xffff, v82
	v_lshrrev_b32_e32 v107, 16, v83
	v_and_b32_e32 v109, 0xffff, v83
	s_wait_loadcnt 0xe
	v_and_b32_e32 v115, 0xffff, v58
	v_dual_lshrrev_b32 v58, 16, v58 :: v_dual_lshrrev_b32 v106, 16, v59
	v_lshrrev_b32_e32 v104, 16, v60
	v_and_b32_e32 v103, 0xffff, v60
	s_wait_loadcnt 0xd
	v_dual_lshrrev_b32 v93, 16, v61 :: v_dual_lshrrev_b32 v100, 16, v54
	v_and_b32_e32 v94, 0xffff, v61
	v_and_b32_e32 v99, 0xffff, v54
	v_and_b32_e32 v95, 0xffff, v55
	v_dual_lshrrev_b32 v96, 16, v55 :: v_dual_lshrrev_b32 v90, 16, v56
	v_and_b32_e32 v89, 0xffff, v56
	s_wait_loadcnt 0xc
	v_dual_lshrrev_b32 v85, 16, v57 :: v_dual_lshrrev_b32 v92, 16, v50
	v_and_b32_e32 v87, 0xffff, v57
	v_and_b32_e32 v91, 0xffff, v50
	v_and_b32_e32 v86, 0xffff, v51
	v_dual_lshrrev_b32 v88, 16, v51 :: v_dual_lshrrev_b32 v84, 16, v52
	;; [unrolled: 7-line block ×3, first 2 shown]
	v_and_b32_e32 v118, 0xffff, v48
	v_lshrrev_b32_e32 v120, 16, v49
	v_and_b32_e32 v121, 0xffff, v49
	;;#ASMSTART
	v_cvt_f32_f16 v122, v114;
	;;#ASMEND
	;;#ASMSTART
	v_cvt_f32_f16 v123, v112;
	;;#ASMEND
	;; [unrolled: 3-line block ×14, first 2 shown]
	ds_load_b128 v[46:49], v63 offset:16
	v_and_b32_e32 v105, 0xffff, v59
	s_wait_loadcnt 0xa
	v_and_b32_e32 v107, 0xffff, v43
	v_lshrrev_b32_e32 v97, 16, v45
	v_and_b32_e32 v98, 0xffff, v45
	s_wait_loadcnt 0x8
	v_and_b32_e32 v102, 0xffff, v36
	v_and_b32_e32 v101, 0xffff, v37
	s_wait_dscnt 0x0
	v_and_b32_e32 v59, 0xffff, v46
	v_lshrrev_b32_e32 v46, 16, v46
	;;#ASMSTART
	v_cvt_f32_f16 v108, v59;
	;;#ASMEND
	;;#ASMSTART
	v_cvt_f32_f16 v109, v46;
	;;#ASMEND
	;; [unrolled: 3-line block ×4, first 2 shown]
	v_pk_mul_f32 v[58:59], v[108:109], v[110:111]
	v_and_b32_e32 v109, 0xffff, v42
	v_dual_lshrrev_b32 v110, 16, v42 :: v_dual_lshrrev_b32 v108, 16, v43
	v_and_b32_e32 v42, 0xffff, v47
	s_delay_alu instid0(VALU_DEP_4)
	v_pk_fma_f32 v[58:59], v[68:69], v[122:123], v[58:59]
	v_and_b32_e32 v68, 0xffff, v44
	v_dual_lshrrev_b32 v69, 16, v44 :: v_dual_lshrrev_b32 v44, 16, v47
	;;#ASMSTART
	v_cvt_f32_f16 v43, v42;
	;;#ASMEND
	;;#ASMSTART
	v_cvt_f32_f16 v42, v44;
	;;#ASMEND
	;; [unrolled: 3-line block ×4, first 2 shown]
	v_pk_mul_f32 v[42:43], v[42:43], v[44:45]
	v_and_b32_e32 v44, 0xffff, v38
	v_lshrrev_b32_e32 v45, 16, v38
	v_and_b32_e32 v38, 0xffff, v48
	v_and_b32_e32 v46, 0xffff, v39
	v_pk_fma_f32 v[42:43], v[60:61], v[70:71], v[42:43]
	v_dual_lshrrev_b32 v47, 16, v39 :: v_dual_lshrrev_b32 v61, 16, v41
	v_lshrrev_b32_e32 v48, 16, v48
	;;#ASMSTART
	v_cvt_f32_f16 v39, v38;
	;;#ASMEND
	;;#ASMSTART
	v_cvt_f32_f16 v38, v48;
	;;#ASMEND
	;; [unrolled: 3-line block ×4, first 2 shown]
	v_pk_mul_f32 v[38:39], v[38:39], v[70:71]
	v_and_b32_e32 v48, 0xffff, v34
	v_dual_lshrrev_b32 v34, 16, v34 :: v_dual_lshrrev_b32 v70, 16, v35
	v_lshrrev_b32_e32 v71, 16, v36
	s_delay_alu instid0(VALU_DEP_4)
	v_pk_fma_f32 v[38:39], v[54:55], v[56:57], v[38:39]
	v_and_b32_e32 v56, 0xffff, v35
	s_wait_loadcnt 0x7
	v_dual_lshrrev_b32 v55, 16, v37 :: v_dual_lshrrev_b32 v37, 16, v30
	v_lshrrev_b32_e32 v35, 16, v31
	v_and_b32_e32 v57, 0xffff, v30
	v_and_b32_e32 v54, 0xffff, v31
	v_dual_lshrrev_b32 v31, 16, v32 :: v_dual_lshrrev_b32 v30, 16, v33
	v_and_b32_e32 v36, 0xffff, v32
	v_and_b32_e32 v32, 0xffff, v33
	;; [unrolled: 1-line block ×3, first 2 shown]
	v_lshrrev_b32_e32 v49, 16, v49
	;;#ASMSTART
	v_cvt_f32_f16 v105, v33;
	;;#ASMEND
	;;#ASMSTART
	v_cvt_f32_f16 v104, v49;
	;;#ASMEND
	;; [unrolled: 3-line block ×4, first 2 shown]
	v_pk_mul_f32 v[104:105], v[104:105], v[112:113]
	v_and_b32_e32 v60, 0xffff, v40
	v_lshrrev_b32_e32 v40, 16, v40
	v_and_b32_e32 v41, 0xffff, v41
	s_delay_alu instid0(VALU_DEP_4)
	v_pk_fma_f32 v[104:105], v[50:51], v[52:53], v[104:105]
	ds_load_b128 v[50:53], v63 offset:32
	s_wait_dscnt 0x0
	v_and_b32_e32 v33, 0xffff, v50
	v_dual_lshrrev_b32 v49, 16, v50 :: v_dual_lshrrev_b32 v50, 16, v51
	;;#ASMSTART
	v_cvt_f32_f16 v112, v33;
	;;#ASMEND
	;;#ASMSTART
	v_cvt_f32_f16 v113, v49;
	;;#ASMEND
	;; [unrolled: 3-line block ×4, first 2 shown]
	v_and_b32_e32 v49, 0xffff, v51
	;;#ASMSTART
	v_cvt_f32_f16 v51, v49;
	;;#ASMEND
	;;#ASMSTART
	v_cvt_f32_f16 v50, v50;
	;;#ASMEND
	;; [unrolled: 3-line block ×4, first 2 shown]
	v_pk_fma_f32 v[58:59], v[112:113], v[114:115], v[58:59]
	v_pk_fma_f32 v[94:95], v[50:51], v[94:95], v[42:43]
	s_wait_loadcnt 0x6
	v_dual_lshrrev_b32 v43, 16, v27 :: v_dual_lshrrev_b32 v42, 16, v28
	v_and_b32_e32 v51, 0xffff, v27
	v_and_b32_e32 v49, 0xffff, v28
	v_dual_lshrrev_b32 v27, 16, v29 :: v_dual_lshrrev_b32 v50, 16, v52
	v_and_b32_e32 v28, 0xffff, v29
	v_and_b32_e32 v29, 0xffff, v52
	;;#ASMSTART
	v_cvt_f32_f16 v113, v29;
	;;#ASMEND
	;;#ASMSTART
	v_cvt_f32_f16 v112, v50;
	;;#ASMEND
	;; [unrolled: 3-line block ×4, first 2 shown]
	v_pk_fma_f32 v[122:123], v[112:113], v[114:115], v[38:39]
	s_wait_loadcnt 0x5
	v_dual_lshrrev_b32 v39, 16, v22 :: v_dual_lshrrev_b32 v29, 16, v23
	v_and_b32_e32 v52, 0xffff, v22
	v_and_b32_e32 v50, 0xffff, v23
	v_dual_lshrrev_b32 v23, 16, v24 :: v_dual_lshrrev_b32 v22, 16, v25
	v_and_b32_e32 v38, 0xffff, v24
	v_and_b32_e32 v24, 0xffff, v25
	;; [unrolled: 1-line block ×3, first 2 shown]
	v_lshrrev_b32_e32 v53, 16, v53
	;;#ASMSTART
	v_cvt_f32_f16 v113, v25;
	;;#ASMEND
	;;#ASMSTART
	v_cvt_f32_f16 v112, v53;
	;;#ASMEND
	;; [unrolled: 3-line block ×4, first 2 shown]
	v_pk_fma_f32 v[104:105], v[112:113], v[114:115], v[104:105]
	ds_load_b128 v[112:115], v63 offset:48
	s_wait_loadcnt 0x4
	v_and_b32_e32 v85, 0xffff, v19
	s_wait_loadcnt 0x0
	v_lshrrev_b32_e32 v99, 16, v3
	v_and_b32_e32 v100, 0xffff, v3
	v_lshrrev_b32_e32 v33, 16, v26
	v_and_b32_e32 v26, 0xffff, v26
	s_wait_dscnt 0x0
	v_and_b32_e32 v25, 0xffff, v112
	v_lshrrev_b32_e32 v53, 16, v112
	;;#ASMSTART
	v_cvt_f32_f16 v124, v25;
	;;#ASMEND
	;;#ASMSTART
	v_cvt_f32_f16 v125, v53;
	;;#ASMEND
	;; [unrolled: 3-line block ×4, first 2 shown]
	v_pk_fma_f32 v[124:125], v[124:125], v[90:91], v[58:59]
	v_lshrrev_b32_e32 v58, 16, v113
	v_and_b32_e32 v53, 0xffff, v113
	;;#ASMSTART
	v_cvt_f32_f16 v59, v53;
	;;#ASMEND
	;;#ASMSTART
	v_cvt_f32_f16 v58, v58;
	;;#ASMEND
	;; [unrolled: 3-line block ×4, first 2 shown]
	v_pk_fma_f32 v[88:89], v[58:59], v[86:87], v[94:95]
	v_dual_lshrrev_b32 v58, 16, v19 :: v_dual_lshrrev_b32 v53, 16, v20
	v_dual_lshrrev_b32 v19, 16, v21 :: v_dual_lshrrev_b32 v86, 16, v114
	v_and_b32_e32 v59, 0xffff, v20
	v_and_b32_e32 v20, 0xffff, v21
	;; [unrolled: 1-line block ×3, first 2 shown]
	;;#ASMSTART
	v_cvt_f32_f16 v87, v21;
	;;#ASMEND
	;;#ASMSTART
	v_cvt_f32_f16 v86, v86;
	;;#ASMEND
	;; [unrolled: 3-line block ×4, first 2 shown]
	v_pk_fma_f32 v[94:95], v[86:87], v[90:91], v[122:123]
	v_dual_lshrrev_b32 v90, 16, v115 :: v_dual_lshrrev_b32 v84, 16, v14
	v_lshrrev_b32_e32 v21, 16, v15
	v_and_b32_e32 v87, 0xffff, v14
	v_and_b32_e32 v86, 0xffff, v15
	v_dual_lshrrev_b32 v15, 16, v16 :: v_dual_lshrrev_b32 v14, 16, v17
	v_and_b32_e32 v83, 0xffff, v16
	v_and_b32_e32 v16, 0xffff, v17
	;; [unrolled: 1-line block ×3, first 2 shown]
	;;#ASMSTART
	v_cvt_f32_f16 v91, v17;
	;;#ASMEND
	;;#ASMSTART
	v_cvt_f32_f16 v90, v90;
	;;#ASMEND
	;; [unrolled: 3-line block ×4, first 2 shown]
	v_pk_fma_f32 v[104:105], v[90:91], v[92:93], v[104:105]
	ds_load_b128 v[90:93], v63 offset:64
	v_lshrrev_b32_e32 v25, 16, v18
	v_and_b32_e32 v18, 0xffff, v18
	s_wait_dscnt 0x0
	v_and_b32_e32 v17, 0xffff, v90
	v_lshrrev_b32_e32 v79, 16, v90
	;;#ASMSTART
	v_cvt_f32_f16 v112, v17;
	;;#ASMEND
	;;#ASMSTART
	v_cvt_f32_f16 v113, v79;
	;;#ASMEND
	;; [unrolled: 3-line block ×4, first 2 shown]
	v_pk_fma_f32 v[122:123], v[112:113], v[80:81], v[124:125]
	v_lshrrev_b32_e32 v80, 16, v91
	v_and_b32_e32 v79, 0xffff, v91
	;;#ASMSTART
	v_cvt_f32_f16 v81, v79;
	;;#ASMEND
	;;#ASMSTART
	v_cvt_f32_f16 v80, v80;
	;;#ASMEND
	;;#ASMSTART
	v_cvt_f32_f16 v91, v116;
	;;#ASMEND
	;;#ASMSTART
	v_cvt_f32_f16 v90, v117;
	;;#ASMEND
	v_pk_fma_f32 v[116:117], v[80:81], v[90:91], v[88:89]
	v_dual_lshrrev_b32 v80, 16, v11 :: v_dual_lshrrev_b32 v79, 16, v12
	v_and_b32_e32 v89, 0xffff, v11
	v_and_b32_e32 v81, 0xffff, v12
	v_dual_lshrrev_b32 v11, 16, v13 :: v_dual_lshrrev_b32 v82, 16, v92
	v_and_b32_e32 v12, 0xffff, v13
	v_and_b32_e32 v13, 0xffff, v92
	;;#ASMSTART
	v_cvt_f32_f16 v91, v13;
	;;#ASMEND
	;;#ASMSTART
	v_cvt_f32_f16 v90, v82;
	;;#ASMEND
	;;#ASMSTART
	v_cvt_f32_f16 v113, v118;
	;;#ASMEND
	;;#ASMSTART
	v_cvt_f32_f16 v112, v119;
	;;#ASMEND
	v_pk_fma_f32 v[118:119], v[90:91], v[112:113], v[94:95]
	v_dual_lshrrev_b32 v90, 16, v6 :: v_dual_lshrrev_b32 v82, 16, v7
	v_and_b32_e32 v92, 0xffff, v6
	v_and_b32_e32 v6, 0xffff, v93
	;; [unrolled: 1-line block ×3, first 2 shown]
	v_lshrrev_b32_e32 v93, 16, v93
	;;#ASMSTART
	v_cvt_f32_f16 v7, v6;
	;;#ASMEND
	;;#ASMSTART
	v_cvt_f32_f16 v6, v93;
	;;#ASMEND
	;; [unrolled: 3-line block ×4, first 2 shown]
	ds_load_b128 v[112:115], v63 offset:80
	v_pk_fma_f32 v[120:121], v[6:7], v[94:95], v[104:105]
	s_wait_xcnt 0x0
	v_dual_lshrrev_b32 v93, 16, v2 :: v_dual_lshrrev_b32 v3, 16, v5
	v_lshrrev_b32_e32 v17, 16, v10
	v_and_b32_e32 v10, 0xffff, v10
	v_lshrrev_b32_e32 v13, 16, v8
	v_and_b32_e32 v88, 0xffff, v8
	;; [unrolled: 2-line block ×3, first 2 shown]
	s_wait_dscnt 0x0
	v_and_b32_e32 v6, 0xffff, v112
	v_lshrrev_b32_e32 v7, 16, v112
	;;#ASMSTART
	v_cvt_f32_f16 v6, v6;
	;;#ASMEND
	;;#ASMSTART
	v_cvt_f32_f16 v7, v7;
	;;#ASMEND
	;; [unrolled: 3-line block ×4, first 2 shown]
	v_pk_fma_f32 v[6:7], v[6:7], v[94:95], v[122:123]
	v_and_b32_e32 v94, 0xffff, v113
	v_lshrrev_b32_e32 v96, 16, v113
	;;#ASMSTART
	v_cvt_f32_f16 v95, v94;
	;;#ASMEND
	;;#ASMSTART
	v_cvt_f32_f16 v94, v96;
	;;#ASMEND
	;;#ASMSTART
	v_cvt_f32_f16 v105, v107;
	;;#ASMEND
	;;#ASMSTART
	v_cvt_f32_f16 v104, v108;
	;;#ASMEND
	v_and_b32_e32 v96, 0xffff, v2
	v_pk_fma_f32 v[108:109], v[94:95], v[104:105], v[116:117]
	v_lshrrev_b32_e32 v94, 16, v4
	v_and_b32_e32 v95, 0xffff, v4
	v_and_b32_e32 v4, 0xffff, v5
	v_and_b32_e32 v2, 0xffff, v114
	v_dual_lshrrev_b32 v5, 16, v114 :: v_dual_lshrrev_b32 v110, 16, v115
	;;#ASMSTART
	v_cvt_f32_f16 v105, v2;
	;;#ASMEND
	;;#ASMSTART
	v_cvt_f32_f16 v104, v5;
	;;#ASMEND
	;; [unrolled: 3-line block ×4, first 2 shown]
	v_and_b32_e32 v103, 0xffff, v115
	;;#ASMSTART
	v_cvt_f32_f16 v69, v103;
	;;#ASMEND
	;;#ASMSTART
	v_cvt_f32_f16 v68, v110;
	;;#ASMEND
	;; [unrolled: 3-line block ×4, first 2 shown]
	v_pk_fma_f32 v[112:113], v[104:105], v[106:107], v[118:119]
	ds_load_b128 v[104:107], v63 offset:96
	v_pk_fma_f32 v[68:69], v[68:69], v[110:111], v[120:121]
	v_add_nc_u32_e32 v2, s24, v76
	v_add_nc_u32_e32 v76, 0x80, v76
	s_delay_alu instid0(VALU_DEP_2) | instskip(NEXT) | instid1(VALU_DEP_1)
	v_cvt_f32_i32_e32 v2, v2
	v_mul_f32_e32 v2, s23, v2
	s_delay_alu instid0(VALU_DEP_1)
	v_cndmask_b32_e32 v2, 0, v2, vcc_lo
	s_wait_dscnt 0x0
	v_and_b32_e32 v5, 0xffff, v104
	v_lshrrev_b32_e32 v97, 16, v104
	v_and_b32_e32 v98, 0xffff, v105
	v_dual_lshrrev_b32 v103, 16, v105 :: v_dual_lshrrev_b32 v116, 16, v106
	v_and_b32_e32 v114, 0xffff, v106
	v_and_b32_e32 v118, 0xffff, v107
	;;#ASMSTART
	v_cvt_f32_f16 v104, v5;
	;;#ASMEND
	;;#ASMSTART
	v_cvt_f32_f16 v105, v97;
	;;#ASMEND
	;; [unrolled: 3-line block ×4, first 2 shown]
	v_lshrrev_b32_e32 v120, 16, v107
	;;#ASMSTART
	v_cvt_f32_f16 v107, v98;
	;;#ASMEND
	;;#ASMSTART
	v_cvt_f32_f16 v106, v103;
	;;#ASMEND
	;; [unrolled: 3-line block ×12, first 2 shown]
	v_pk_fma_f32 v[6:7], v[104:105], v[44:45], v[6:7]
	ds_load_b128 v[44:47], v63 offset:112
	v_pk_fma_f32 v[104:105], v[114:115], v[116:117], v[112:113]
	v_pk_fma_f32 v[60:61], v[106:107], v[110:111], v[108:109]
	;; [unrolled: 1-line block ×3, first 2 shown]
	s_wait_dscnt 0x0
	v_and_b32_e32 v5, 0xffff, v44
	v_lshrrev_b32_e32 v44, 16, v44
	v_and_b32_e32 v97, 0xffff, v45
	v_lshrrev_b32_e32 v45, 16, v45
	;; [unrolled: 2-line block ×4, first 2 shown]
	;;#ASMSTART
	v_cvt_f32_f16 v68, v5;
	;;#ASMEND
	;;#ASMSTART
	v_cvt_f32_f16 v69, v44;
	;;#ASMEND
	;; [unrolled: 3-line block ×16, first 2 shown]
	ds_load_b128 v[44:47], v63 offset:128
	v_pk_fma_f32 v[40:41], v[70:71], v[114:115], v[40:41]
	v_pk_fma_f32 v[6:7], v[68:69], v[106:107], v[6:7]
	;; [unrolled: 1-line block ×4, first 2 shown]
	s_wait_dscnt 0x0
	v_dual_lshrrev_b32 v34, 16, v44 :: v_dual_lshrrev_b32 v55, 16, v45
	v_and_b32_e32 v70, 0xffff, v46
	v_and_b32_e32 v5, 0xffff, v44
	;; [unrolled: 1-line block ×3, first 2 shown]
	v_dual_lshrrev_b32 v97, 16, v46 :: v_dual_lshrrev_b32 v101, 16, v47
	v_and_b32_e32 v98, 0xffff, v47
	;;#ASMSTART
	v_cvt_f32_f16 v44, v5;
	;;#ASMEND
	;;#ASMSTART
	v_cvt_f32_f16 v45, v34;
	;;#ASMEND
	;;#ASMSTART
	v_cvt_f32_f16 v46, v57;
	;;#ASMEND
	;;#ASMSTART
	v_cvt_f32_f16 v47, v37;
	;;#ASMEND
	;;#ASMSTART
	v_cvt_f32_f16 v57, v48;
	;;#ASMEND
	;;#ASMSTART
	v_cvt_f32_f16 v56, v55;
	;;#ASMEND
	;;#ASMSTART
	v_cvt_f32_f16 v55, v54;
	;;#ASMEND
	;;#ASMSTART
	v_cvt_f32_f16 v54, v35;
	;;#ASMEND
	;;#ASMSTART
	v_cvt_f32_f16 v71, v70;
	;;#ASMEND
	;;#ASMSTART
	v_cvt_f32_f16 v70, v97;
	;;#ASMEND
	;;#ASMSTART
	v_cvt_f32_f16 v103, v36;
	;;#ASMEND
	;;#ASMSTART
	v_cvt_f32_f16 v102, v31;
	;;#ASMEND
	;;#ASMSTART
	v_cvt_f32_f16 v105, v98;
	;;#ASMEND
	;;#ASMSTART
	v_cvt_f32_f16 v104, v101;
	;;#ASMEND
	;;#ASMSTART
	v_cvt_f32_f16 v31, v32;
	;;#ASMEND
	;;#ASMSTART
	v_cvt_f32_f16 v30, v30;
	;;#ASMEND
	ds_load_b128 v[34:37], v63 offset:144
	v_pk_fma_f32 v[6:7], v[44:45], v[46:47], v[6:7]
	v_pk_fma_f32 v[44:45], v[56:57], v[54:55], v[60:61]
	v_pk_fma_f32 v[46:47], v[70:71], v[102:103], v[68:69]
	v_pk_fma_f32 v[40:41], v[104:105], v[30:31], v[40:41]
	s_wait_dscnt 0x0
	v_dual_lshrrev_b32 v30, 16, v34 :: v_dual_lshrrev_b32 v32, 16, v35
	v_and_b32_e32 v31, 0xffff, v35
	v_and_b32_e32 v48, 0xffff, v36
	v_dual_lshrrev_b32 v60, 16, v36 :: v_dual_lshrrev_b32 v69, 16, v37
	v_and_b32_e32 v68, 0xffff, v37
	v_and_b32_e32 v5, 0xffff, v34
	;;#ASMSTART
	v_cvt_f32_f16 v34, v5;
	;;#ASMEND
	;;#ASMSTART
	v_cvt_f32_f16 v35, v30;
	;;#ASMEND
	;;#ASMSTART
	v_cvt_f32_f16 v36, v26;
	;;#ASMEND
	;;#ASMSTART
	v_cvt_f32_f16 v37, v33;
	;;#ASMEND
	;;#ASMSTART
	v_cvt_f32_f16 v55, v31;
	;;#ASMEND
	;;#ASMSTART
	v_cvt_f32_f16 v54, v32;
	;;#ASMEND
	;;#ASMSTART
	v_cvt_f32_f16 v57, v51;
	;;#ASMEND
	;;#ASMSTART
	v_cvt_f32_f16 v56, v43;
	;;#ASMEND
	;;#ASMSTART
	v_cvt_f32_f16 v61, v48;
	;;#ASMEND
	;;#ASMSTART
	v_cvt_f32_f16 v60, v60;
	;;#ASMEND
	;;#ASMSTART
	v_cvt_f32_f16 v43, v49;
	;;#ASMEND
	;;#ASMSTART
	v_cvt_f32_f16 v42, v42;
	;;#ASMEND
	;;#ASMSTART
	v_cvt_f32_f16 v49, v68;
	;;#ASMEND
	;;#ASMSTART
	v_cvt_f32_f16 v48, v69;
	;;#ASMEND
	;;#ASMSTART
	v_cvt_f32_f16 v69, v28;
	;;#ASMEND
	;;#ASMSTART
	v_cvt_f32_f16 v68, v27;
	;;#ASMEND
	ds_load_b128 v[30:33], v63 offset:160
	v_pk_fma_f32 v[6:7], v[34:35], v[36:37], v[6:7]
	v_pk_fma_f32 v[36:37], v[60:61], v[42:43], v[46:47]
	v_pk_fma_f32 v[40:41], v[48:49], v[68:69], v[40:41]
	v_pk_fma_f32 v[34:35], v[54:55], v[56:57], v[44:45]
	s_wait_dscnt 0x0
	v_dual_lshrrev_b32 v26, 16, v30 :: v_dual_lshrrev_b32 v28, 16, v31
	v_and_b32_e32 v27, 0xffff, v31
	v_and_b32_e32 v46, 0xffff, v32
	v_dual_lshrrev_b32 v48, 16, v32 :: v_dual_lshrrev_b32 v51, 16, v33
	v_and_b32_e32 v49, 0xffff, v33
	;; [unrolled: 60-line block ×6, first 2 shown]
	v_and_b32_e32 v33, 0xffff, v17
	;;#ASMSTART
	v_cvt_f32_f16 v14, v6;
	;;#ASMEND
	;;#ASMSTART
	v_cvt_f32_f16 v15, v5;
	;;#ASMEND
	;; [unrolled: 3-line block ×16, first 2 shown]
	ds_load_b128 v[6:9], v63 offset:240
	v_pk_fma_f32 v[10:11], v[14:15], v[16:17], v[10:11]
	v_pk_fma_f32 v[14:15], v[22:23], v[24:25], v[18:19]
	;; [unrolled: 1-line block ×4, first 2 shown]
	s_wait_dscnt 0x0
	v_dual_lshrrev_b32 v5, 16, v6 :: v_dual_lshrrev_b32 v18, 16, v7
	v_and_b32_e32 v6, 0xffff, v6
	v_and_b32_e32 v19, 0xffff, v7
	;;#ASMSTART
	v_cvt_f32_f16 v6, v6;
	;;#ASMEND
	;;#ASMSTART
	v_cvt_f32_f16 v7, v5;
	;;#ASMEND
	v_dual_lshrrev_b32 v22, 16, v8 :: v_dual_lshrrev_b32 v24, 16, v9
	v_and_b32_e32 v23, 0xffff, v8
	v_and_b32_e32 v25, 0xffff, v9
	;;#ASMSTART
	v_cvt_f32_f16 v8, v96;
	;;#ASMEND
	;;#ASMSTART
	v_cvt_f32_f16 v9, v93;
	;;#ASMEND
	v_pk_fma_f32 v[6:7], v[6:7], v[8:9], v[10:11]
	;;#ASMSTART
	v_cvt_f32_f16 v19, v19;
	;;#ASMEND
	;;#ASMSTART
	v_cvt_f32_f16 v18, v18;
	;;#ASMEND
	;; [unrolled: 3-line block ×4, first 2 shown]
	v_pk_fma_f32 v[8:9], v[18:19], v[20:21], v[14:15]
	v_add_f32_e32 v5, v6, v7
	;;#ASMSTART
	v_cvt_f32_f16 v23, v23;
	;;#ASMEND
	;;#ASMSTART
	v_cvt_f32_f16 v22, v22;
	;;#ASMEND
	;; [unrolled: 3-line block ×4, first 2 shown]
	v_pk_fma_f32 v[6:7], v[22:23], v[6:7], v[16:17]
	v_add_f32_e32 v5, v5, v9
	;;#ASMSTART
	v_cvt_f32_f16 v9, v25;
	;;#ASMEND
	s_delay_alu instid0(VALU_DEP_1)
	v_add_f32_e32 v10, v8, v5
	;;#ASMSTART
	v_cvt_f32_f16 v8, v24;
	;;#ASMEND
	;;#ASMSTART
	v_cvt_f32_f16 v5, v4;
	;;#ASMEND
	;; [unrolled: 3-line block ×3, first 2 shown]
	v_pk_fma_f32 v[4:5], v[8:9], v[4:5], v[12:13]
	v_add_f32_e32 v7, v10, v7
	s_delay_alu instid0(VALU_DEP_1) | instskip(NEXT) | instid1(VALU_DEP_1)
	v_add_f32_e32 v3, v6, v7
	v_add_f32_e32 v3, v3, v5
	s_delay_alu instid0(VALU_DEP_1) | instskip(NEXT) | instid1(VALU_DEP_1)
	v_dual_add_f32 v3, v4, v3 :: v_dual_max_num_f32 v4, v62, v62
	v_dual_add_nc_u32 v78, 4, v78 :: v_dual_fmac_f32 v2, s7, v3
	s_delay_alu instid0(VALU_DEP_1) | instskip(NEXT) | instid1(VALU_DEP_2)
	v_cmp_le_i32_e64 s4, s22, v78
	v_dual_cndmask_b32 v3, 0, v2, s3 :: v_dual_max_num_f32 v2, v4, v2
	s_or_b32 s15, s4, s15
	ds_store_b32 v77, v3
	v_cndmask_b32_e64 v62, v62, v2, s3
	v_add_nc_u32_e32 v77, 0x200, v77
	s_and_not1_b32 exec_lo, exec_lo, s15
	s_cbranch_execnz .LBB105_6
; %bb.7:
	s_or_b32 exec_lo, exec_lo, s15
.LBB105_8:
	s_delay_alu instid0(SALU_CYCLE_1) | instskip(SKIP_4) | instid1(VALU_DEP_1)
	s_or_b32 exec_lo, exec_lo, s6
	v_mbcnt_lo_u32_b32 v5, -1, 0
	s_clause 0x1
	s_load_b64 s[6:7], s[0:1], 0x0
	s_load_b64 s[16:17], s[0:1], 0x18
	v_dual_max_num_f32 v6, v62, v62 :: v_dual_bitop2_b32 v2, 16, v5 bitop3:0x14
	v_xor_b32_e32 v4, 8, v5
	s_delay_alu instid0(VALU_DEP_2) | instskip(SKIP_1) | instid1(VALU_DEP_3)
	v_cmp_gt_i32_e32 vcc_lo, 32, v2
	v_cndmask_b32_e32 v2, v5, v2, vcc_lo
	v_cmp_gt_i32_e32 vcc_lo, 32, v4
	s_delay_alu instid0(VALU_DEP_2) | instskip(SKIP_3) | instid1(VALU_DEP_1)
	v_dual_lshlrev_b32 v2, 2, v2 :: v_dual_cndmask_b32 v4, v5, v4, vcc_lo
	ds_bpermute_b32 v3, v2, v62
	s_wait_dscnt 0x0
	v_dual_max_num_f32 v7, v3, v3 :: v_dual_lshlrev_b32 v3, 2, v4
	v_dual_max_num_f32 v6, v6, v7 :: v_dual_bitop2_b32 v7, 4, v5 bitop3:0x14
	ds_bpermute_b32 v4, v3, v6
	v_cmp_gt_i32_e32 vcc_lo, 32, v7
	s_wait_dscnt 0x0
	v_dual_cndmask_b32 v7, v5, v7 :: v_dual_max_num_f32 v8, v4, v4
	s_delay_alu instid0(VALU_DEP_1) | instskip(SKIP_3) | instid1(VALU_DEP_1)
	v_dual_lshlrev_b32 v4, 2, v7 :: v_dual_max_num_f32 v6, v6, v8
	ds_bpermute_b32 v7, v4, v6
	s_wait_dscnt 0x0
	v_dual_max_num_f32 v7, v7, v7 :: v_dual_bitop2_b32 v8, 2, v5 bitop3:0x14
	v_cmp_gt_i32_e32 vcc_lo, 32, v8
	s_delay_alu instid0(VALU_DEP_2) | instskip(NEXT) | instid1(VALU_DEP_1)
	v_dual_max_num_f32 v6, v6, v7 :: v_dual_cndmask_b32 v8, v5, v8, vcc_lo
	v_dual_lshlrev_b32 v30, 2, v8 :: v_dual_bitop2_b32 v8, 1, v5 bitop3:0x14
	ds_bpermute_b32 v7, v30, v6
	v_cmp_gt_i32_e32 vcc_lo, 32, v8
	v_cndmask_b32_e32 v5, v5, v8, vcc_lo
	v_cmp_eq_u32_e32 vcc_lo, 0, v73
	s_delay_alu instid0(VALU_DEP_2) | instskip(SKIP_2) | instid1(VALU_DEP_1)
	v_dual_lshlrev_b32 v29, 2, v5 :: v_dual_lshlrev_b32 v5, 2, v72
	s_wait_dscnt 0x0
	v_max_num_f32_e32 v7, v7, v7
	v_max_num_f32_e32 v6, v6, v7
	ds_bpermute_b32 v7, v29, v6
	s_wait_xcnt 0x0
	s_and_saveexec_b32 s0, vcc_lo
	s_cbranch_execz .LBB105_10
; %bb.9:
	s_wait_dscnt 0x0
	v_dual_max_num_f32 v7, v7, v7 :: v_dual_max_num_f32 v6, v6, v6
	s_delay_alu instid0(VALU_DEP_1)
	v_max_num_f32_e32 v6, v6, v7
	ds_store_b32 v5, v6 offset:256
.LBB105_10:
	s_or_b32 exec_lo, exec_lo, s0
	v_cmp_gt_u32_e64 s0, 4, v73
	v_mov_b32_e32 v6, 0xff7fffff
	s_wait_dscnt 0x0
	s_barrier_signal -1
	s_barrier_wait -1
	s_and_saveexec_b32 s1, s0
; %bb.11:
	ds_load_b32 v6, v75 offset:256
; %bb.12:
	s_or_b32 exec_lo, exec_lo, s1
	s_wait_dscnt 0x0
	ds_bpermute_b32 v7, v30, v6
	v_max_num_f32_e32 v6, v6, v6
	s_lshl_b32 s1, s22, 5
	s_delay_alu instid0(SALU_CYCLE_1) | instskip(NEXT) | instid1(SALU_CYCLE_1)
	s_min_i32 s4, s1, s21
	v_cmp_gt_i32_e64 s1, s4, v0
	s_wait_dscnt 0x0
	v_max_num_f32_e32 v7, v7, v7
	s_delay_alu instid0(VALU_DEP_1) | instskip(SKIP_3) | instid1(VALU_DEP_1)
	v_max_num_f32_e32 v6, v6, v7
	ds_bpermute_b32 v7, v29, v6
	s_wait_dscnt 0x0
	v_max_num_f32_e32 v7, v7, v7
	v_dual_max_num_f32 v7, v6, v7 :: v_dual_mov_b32 v6, 0
	ds_bpermute_b32 v7, v6, v7
	s_and_saveexec_b32 s15, s1
	s_cbranch_execz .LBB105_16
; %bb.13:
	v_lshl_add_u32 v8, v0, 2, 0x120
	v_dual_mov_b32 v6, 0 :: v_dual_mov_b32 v9, v0
	s_mov_b32 s23, 0
.LBB105_14:                             ; =>This Inner Loop Header: Depth=1
	ds_load_b32 v10, v8
	v_add_nc_u32_e32 v9, 0x80, v9
	s_delay_alu instid0(VALU_DEP_1) | instskip(SKIP_3) | instid1(VALU_DEP_1)
	v_cmp_le_i32_e64 s3, s4, v9
	s_or_b32 s23, s3, s23
	s_wait_dscnt 0x0
	v_sub_f32_e32 v10, v10, v7
	v_mul_f32_e32 v10, 0x3fb8aa3b, v10
	s_delay_alu instid0(VALU_DEP_1)
	v_exp_f32_e32 v10, v10
	ds_store_b32 v8, v10
	v_nop
	v_add_f32_e32 v6, v6, v10
	v_add_nc_u32_e32 v8, 0x200, v8
	s_and_not1_b32 exec_lo, exec_lo, s23
	s_cbranch_execnz .LBB105_14
; %bb.15:
	s_or_b32 exec_lo, exec_lo, s23
.LBB105_16:
	s_delay_alu instid0(SALU_CYCLE_1)
	s_or_b32 exec_lo, exec_lo, s15
	ds_bpermute_b32 v2, v2, v6
	s_wait_dscnt 0x0
	v_add_f32_e32 v2, v6, v2
	ds_bpermute_b32 v3, v3, v2
	s_wait_dscnt 0x0
	v_add_f32_e32 v2, v2, v3
	;; [unrolled: 3-line block ×5, first 2 shown]
	s_and_saveexec_b32 s3, vcc_lo
; %bb.17:
	ds_store_b32 v5, v2 offset:272
; %bb.18:
	s_or_b32 exec_lo, exec_lo, s3
	s_wait_dscnt 0x0
	s_barrier_signal -1
	s_barrier_wait -1
	s_and_saveexec_b32 s3, s0
; %bb.19:
	ds_load_b32 v2, v75 offset:272
; %bb.20:
	s_or_b32 exec_lo, exec_lo, s3
	s_wait_dscnt 0x0
	ds_bpermute_b32 v3, v30, v2
	s_wait_dscnt 0x0
	v_dual_mov_b32 v7, 0 :: v_dual_add_f32 v2, v2, v3
	ds_bpermute_b32 v3, v29, v2
	s_wait_dscnt 0x0
	v_add_f32_e32 v2, v2, v3
	ds_bpermute_b32 v2, v7, v2
	s_and_saveexec_b32 s0, s1
	s_cbranch_execz .LBB105_33
; %bb.21:
	s_wait_dscnt 0x0
	v_add_f32_e32 v2, 0x358637bd, v2
	s_mov_b32 s3, -1
	s_mov_b32 s1, exec_lo
	s_delay_alu instid0(VALU_DEP_1) | instskip(NEXT) | instid1(VALU_DEP_1)
	v_div_scale_f32 v3, null, v2, v2, 1.0
	v_rcp_f32_e32 v5, v3
	v_nop
	s_delay_alu instid0(TRANS32_DEP_1) | instskip(NEXT) | instid1(VALU_DEP_1)
	v_fma_f32 v4, -v3, v5, 1.0
	v_fmac_f32_e32 v5, v4, v5
	v_div_scale_f32 v6, vcc_lo, 1.0, v2, 1.0
	s_delay_alu instid0(VALU_DEP_1) | instskip(NEXT) | instid1(VALU_DEP_1)
	v_mul_f32_e32 v8, v6, v5
	v_fma_f32 v4, -v3, v8, v6
	s_delay_alu instid0(VALU_DEP_1) | instskip(SKIP_1) | instid1(VALU_DEP_2)
	v_fmac_f32_e32 v8, v4, v5
	v_xad_u32 v4, v0, -1, s4
	v_fma_f32 v3, -v3, v8, v6
	s_delay_alu instid0(VALU_DEP_1) | instskip(NEXT) | instid1(VALU_DEP_1)
	v_div_fmas_f32 v3, v3, v5, v8
	v_div_fixup_f32 v2, v3, v2, 1.0
	v_mov_b32_e32 v3, v0
	v_cmpx_lt_u32_e32 0x7f, v4
	s_cbranch_execz .LBB105_30
; %bb.22:
	s_delay_alu instid0(VALU_DEP_3) | instskip(NEXT) | instid1(VALU_DEP_1)
	v_dual_mov_b32 v3, v2 :: v_dual_lshrrev_b32 v4, 7, v4
	v_dual_mov_b32 v9, 0 :: v_dual_add_nc_u32 v5, -1, v4
	s_delay_alu instid0(VALU_DEP_1) | instskip(SKIP_1) | instid1(VALU_DEP_2)
	v_lshrrev_b32_e32 v6, 1, v5
	v_cmp_lt_u32_e32 vcc_lo, 13, v5
	v_add_nc_u32_e32 v5, 1, v6
	s_and_saveexec_b32 s3, vcc_lo
	s_cbranch_execz .LBB105_26
; %bb.23:
	s_delay_alu instid0(VALU_DEP_1)
	v_and_b32_e32 v6, -8, v5
	v_lshl_add_u32 v8, v0, 2, 0x120
	s_mov_b32 s15, 0
	s_mov_b32 s23, 0
.LBB105_24:                             ; =>This Inner Loop Header: Depth=1
	ds_load_2addr_stride64_b32 v[10:11], v8 offset1:2
	ds_load_2addr_stride64_b32 v[12:13], v8 offset0:4 offset1:6
	ds_load_2addr_stride64_b32 v[14:15], v8 offset0:8 offset1:10
	;; [unrolled: 1-line block ×7, first 2 shown]
	s_add_co_i32 s23, s23, 16
	s_delay_alu instid0(SALU_CYCLE_1) | instskip(NEXT) | instid1(VALU_DEP_1)
	v_dual_mov_b32 v9, s23 :: v_dual_add_nc_u32 v6, -8, v6
	v_cmp_eq_u32_e32 vcc_lo, 0, v6
	s_or_b32 s15, vcc_lo, s15
	s_wait_dscnt 0x7
	v_pk_mul_f32 v[10:11], v[2:3], v[10:11]
	s_wait_dscnt 0x6
	v_pk_mul_f32 v[12:13], v[2:3], v[12:13]
	s_wait_dscnt 0x5
	v_pk_mul_f32 v[14:15], v[2:3], v[14:15]
	s_wait_dscnt 0x4
	v_pk_mul_f32 v[16:17], v[2:3], v[16:17]
	s_wait_dscnt 0x3
	v_pk_mul_f32 v[18:19], v[2:3], v[18:19]
	s_wait_dscnt 0x2
	v_pk_mul_f32 v[20:21], v[2:3], v[20:21]
	s_wait_dscnt 0x1
	v_pk_mul_f32 v[22:23], v[2:3], v[22:23]
	s_wait_dscnt 0x0
	v_pk_mul_f32 v[24:25], v[2:3], v[24:25]
	ds_store_2addr_stride64_b32 v8, v10, v11 offset1:2
	ds_store_2addr_stride64_b32 v8, v12, v13 offset0:4 offset1:6
	ds_store_2addr_stride64_b32 v8, v14, v15 offset0:8 offset1:10
	;; [unrolled: 1-line block ×7, first 2 shown]
	v_add_nc_u32_e32 v8, 0x2000, v8
	s_and_not1_b32 exec_lo, exec_lo, s15
	s_cbranch_execnz .LBB105_24
; %bb.25:
	s_or_b32 exec_lo, exec_lo, s15
.LBB105_26:
	s_delay_alu instid0(SALU_CYCLE_1) | instskip(NEXT) | instid1(VALU_DEP_1)
	s_or_b32 exec_lo, exec_lo, s3
	v_and_b32_e32 v5, 7, v5
	s_mov_b32 s15, 0
	s_mov_b32 s3, exec_lo
	s_delay_alu instid0(VALU_DEP_1)
	v_cmpx_ne_u32_e32 0, v5
	s_cbranch_execz .LBB105_29
; %bb.27:
	v_dual_lshlrev_b32 v6, 9, v9 :: v_dual_lshlrev_b32 v8, 2, v0
	s_delay_alu instid0(VALU_DEP_1)
	v_add3_u32 v6, v6, v8, 0x120
.LBB105_28:                             ; =>This Inner Loop Header: Depth=1
	ds_load_2addr_stride64_b32 v[8:9], v6 offset1:2
	v_add_nc_u32_e32 v5, -1, v5
	s_delay_alu instid0(VALU_DEP_1)
	v_cmp_eq_u32_e32 vcc_lo, 0, v5
	s_or_b32 s15, vcc_lo, s15
	s_wait_dscnt 0x0
	v_pk_mul_f32 v[8:9], v[2:3], v[8:9]
	ds_store_2addr_stride64_b32 v6, v8, v9 offset1:2
	v_add_nc_u32_e32 v6, 0x400, v6
	s_and_not1_b32 exec_lo, exec_lo, s15
	s_cbranch_execnz .LBB105_28
.LBB105_29:
	s_or_b32 exec_lo, exec_lo, s3
	v_add_nc_u32_e32 v3, 1, v4
	s_delay_alu instid0(VALU_DEP_1) | instskip(NEXT) | instid1(VALU_DEP_1)
	v_and_b32_e32 v4, 0x3fffffe, v3
	v_cmp_ne_u32_e32 vcc_lo, v3, v4
	v_lshl_add_u32 v3, v4, 7, v0
	s_or_not1_b32 s3, vcc_lo, exec_lo
.LBB105_30:
	s_or_b32 exec_lo, exec_lo, s1
	s_delay_alu instid0(SALU_CYCLE_1)
	s_and_b32 exec_lo, exec_lo, s3
	s_cbranch_execz .LBB105_33
; %bb.31:
	v_lshl_add_u32 v4, v3, 2, 0x120
	s_mov_b32 s1, 0
.LBB105_32:                             ; =>This Inner Loop Header: Depth=1
	ds_load_b32 v5, v4
	v_add_nc_u32_e32 v3, 0x80, v3
	s_delay_alu instid0(VALU_DEP_1)
	v_cmp_le_i32_e32 vcc_lo, s4, v3
	s_or_b32 s1, vcc_lo, s1
	s_wait_dscnt 0x0
	v_mul_f32_e32 v5, v2, v5
	ds_store_b32 v4, v5
	v_add_nc_u32_e32 v4, 0x200, v4
	s_and_not1_b32 exec_lo, exec_lo, s1
	s_cbranch_execnz .LBB105_32
.LBB105_33:
	s_or_b32 exec_lo, exec_lo, s0
	v_dual_mov_b32 v6, 0 :: v_dual_bitop2_b32 v31, 3, v0 bitop3:0x40
	v_dual_mov_b32 v9, 0 :: v_dual_mov_b32 v8, 0
	v_dual_mov_b32 v11, 0 :: v_dual_mov_b32 v10, 0
	;; [unrolled: 1-line block ×7, first 2 shown]
	s_wait_dscnt 0x0
	s_barrier_signal -1
	s_barrier_wait -1
	s_and_saveexec_b32 s1, s2
	s_cbranch_execz .LBB105_69
; %bb.34:
	v_dual_mov_b32 v7, 0 :: v_dual_lshlrev_b32 v2, 3, v0
	s_ashr_i32 s15, s14, 31
	v_and_b32_e32 v6, 0x1f0, v1
	s_lshl_b64 s[14:15], s[14:15], 1
	s_delay_alu instid0(VALU_DEP_2)
	v_dual_lshlrev_b32 v2, 5, v31 :: v_dual_bitop2_b32 v1, 24, v2 bitop3:0x40
	s_wait_kmcnt 0x0
	s_add_nc_u64 s[14:15], s[16:17], s[14:15]
	s_ashr_i32 s3, s5, 31
	v_add_nc_u64_e32 v[22:23], s[14:15], v[6:7]
	v_and_b32_e32 v6, 0x7c, v74
	s_mov_b32 s2, s5
	s_lshl_b64 s[4:5], s[12:13], 2
	v_lshl_or_b32 v2, v72, 7, v2
	s_add_nc_u64 s[4:5], s[10:11], s[4:5]
	v_lshl_or_b32 v32, v72, 5, v1
	v_add_nc_u64_e32 v[24:25], s[4:5], v[6:7]
	s_delay_alu instid0(VALU_DEP_3)
	v_dual_mov_b32 v6, v7 :: v_dual_add_nc_u32 v33, 0x120, v2
	v_dual_mov_b32 v9, v7 :: v_dual_mov_b32 v8, v7
	v_dual_mov_b32 v11, v7 :: v_dual_mov_b32 v10, v7
	;; [unrolled: 1-line block ×7, first 2 shown]
	v_mov_b32_e32 v34, v72
	s_add_co_i32 s4, s22, -1
	s_mov_b32 s10, s21
	s_mov_b32 s5, 0
	s_branch .LBB105_36
.LBB105_35:                             ;   in Loop: Header=BB105_36 Depth=1
	s_or_b32 exec_lo, exec_lo, s0
	v_dual_add_f32 v28, v28, v42 :: v_dual_add_f32 v35, v75, v76
	v_add_f32_e32 v36, v71, v74
	v_dual_add_f32 v37, v69, v70 :: v_dual_add_f32 v38, v67, v68
	s_delay_alu instid0(VALU_DEP_3) | instskip(NEXT) | instid1(VALU_DEP_3)
	v_dual_add_f32 v6, v6, v28 :: v_dual_add_f32 v9, v9, v35
	v_dual_add_f32 v8, v8, v36 :: v_dual_add_f32 v28, v65, v66
	v_dual_add_f32 v35, v63, v64 :: v_dual_lshlrev_b32 v26, 16, v26
	v_dual_lshlrev_b32 v1, 16, v1 :: v_dual_lshlrev_b32 v27, 16, v27
	v_dual_add_f32 v11, v11, v37 :: v_dual_add_f32 v10, v10, v38
	v_dual_add_f32 v36, v61, v62 :: v_dual_add_f32 v37, v59, v60
	s_delay_alu instid0(VALU_DEP_4)
	v_dual_add_f32 v38, v57, v58 :: v_dual_add_f32 v12, v12, v35
	v_add_f32_e32 v13, v13, v28
	v_dual_add_f32 v28, v55, v56 :: v_dual_add_f32 v35, v53, v54
	v_and_or_b32 v2, 0xffff, v2, v26
	v_and_or_b32 v1, 0xffff, v3, v1
	v_and_or_b32 v3, 0xffff, v4, v27
	;;#ASMSTART
	v_pk_mul_f16 v2, v44, v2;

	;;#ASMEND
	;;#ASMSTART
	v_pk_mul_f16 v1, v43, v1;

	;;#ASMEND
	;; [unrolled: 4-line block ×4, first 2 shown]
	;;#ASMSTART
	v_pk_add_f16 v1, v2, v1;

	;;#ASMEND
	;;#ASMSTART
	v_pk_add_f16 v1, v1, v3;

	;;#ASMEND
	;; [unrolled: 4-line block ×3, first 2 shown]
	v_dual_add_f32 v16, v16, v28 :: v_dual_add_f32 v19, v19, v35
	v_lshrrev_b32_e32 v5, 16, v1
	v_and_b32_e32 v4, 0xffff, v1
	v_dual_add_f32 v1, v51, v52 :: v_dual_add_f32 v2, v49, v50
	v_add_nc_u32_e32 v34, 4, v34
	;;#ASMSTART
	v_cvt_f32_f16 v4, v4;
	;;#ASMEND
	;;#ASMSTART
	v_cvt_f32_f16 v5, v5;
	;;#ASMEND
	v_dual_add_f32 v3, v47, v48 :: v_dual_add_f32 v4, v4, v5
	v_add_f32_e32 v18, v18, v1
	v_cmp_le_i32_e32 vcc_lo, s22, v34
	v_add_nc_u64_e32 v[24:25], 16, v[24:25]
	v_dual_add_f32 v15, v15, v36 :: v_dual_add_f32 v17, v17, v38
	v_dual_add_f32 v14, v14, v37 :: v_dual_add_f32 v21, v21, v2
	;; [unrolled: 1-line block ×3, first 2 shown]
	v_add_nc_u32_e32 v32, 0x80, v32
	v_add_nc_u32_e32 v33, 0x200, v33
	s_or_b32 s5, vcc_lo, s5
	s_delay_alu instid0(SALU_CYCLE_1)
	s_and_not1_b32 exec_lo, exec_lo, s5
	s_cbranch_execz .LBB105_68
.LBB105_36:                             ; =>This Inner Loop Header: Depth=1
	global_load_b32 v2, v[24:25], off
	v_cmp_eq_u32_e32 vcc_lo, s4, v34
	v_dual_add_nc_u32 v40, 2, v32 :: v_dual_add_nc_u32 v35, 5, v32
	s_wait_loadcnt 0x0
	v_ashrrev_i32_e32 v3, 31, v2
	s_delay_alu instid0(VALU_DEP_1)
	v_mul_u64_e32 v[26:27], s[2:3], v[2:3]
	ds_load_2addr_b64 v[2:5], v33 offset1:1
	ds_load_2addr_b64 v[36:39], v33 offset0:2 offset1:3
	s_wait_dscnt 0x1
	;;#ASMSTART
	v_cvt_f16_f32 v44, v2;

	;;#ASMEND
	;;#ASMSTART
	v_cvt_f16_f32 v43, v3;

	;;#ASMEND
	;; [unrolled: 4-line block ×4, first 2 shown]
	s_wait_dscnt 0x0
	;;#ASMSTART
	v_cvt_f16_f32 v50, v36;

	;;#ASMEND
	;;#ASMSTART
	v_cvt_f16_f32 v45, v37;

	;;#ASMEND
	;; [unrolled: 4-line block ×4, first 2 shown]
	v_dual_add_nc_u32 v36, 4, v32 :: v_dual_add_nc_u32 v38, 6, v32
	v_dual_add_nc_u32 v37, 7, v32 :: v_dual_bitop2_b32 v39, 1, v32 bitop3:0x54
	v_lshl_add_u64 v[26:27], v[26:27], 1, v[22:23]
	global_load_b128 v[2:5], v[26:27], off
	s_wait_loadcnt 0x0
	v_dual_lshrrev_b32 v1, 16, v3 :: v_dual_bitop2_b32 v41, 3, v32 bitop3:0x54
	v_dual_lshrrev_b32 v28, 16, v2 :: v_dual_lshrrev_b32 v42, 16, v4
	s_and_saveexec_b32 s11, vcc_lo
	s_cbranch_execz .LBB105_38
; %bb.37:                               ;   in Loop: Header=BB105_36 Depth=1
	v_cmp_gt_i32_e64 s0, s21, v32
	v_and_b32_e32 v51, 0xffff, v5
	v_and_b32_e32 v5, 0xffff0000, v5
	s_delay_alu instid0(VALU_DEP_3) | instskip(SKIP_1) | instid1(VALU_DEP_1)
	v_cndmask_b32_e64 v2, 0, v2, s0
	v_cmp_gt_i32_e64 s0, s21, v40
	v_cndmask_b32_e64 v3, 0, v3, s0
	v_cmp_gt_i32_e64 s0, s10, v41
	s_delay_alu instid0(VALU_DEP_1) | instskip(SKIP_1) | instid1(VALU_DEP_1)
	v_cndmask_b32_e64 v1, 0, v1, s0
	v_cmp_gt_i32_e64 s0, s21, v39
	v_cndmask_b32_e64 v28, 0, v28, s0
	v_cmp_gt_i32_e64 s0, s21, v38
	s_delay_alu instid0(VALU_DEP_1) | instskip(SKIP_1) | instid1(VALU_DEP_1)
	;; [unrolled: 5-line block ×3, first 2 shown]
	v_dual_cndmask_b32 v4, 0, v4, s0 :: v_dual_bitop2_b32 v5, v51, v5 bitop3:0x54
	v_cmp_gt_i32_e64 s0, s21, v35
	v_cndmask_b32_e64 v42, 0, v42, s0
.LBB105_38:                             ;   in Loop: Header=BB105_36 Depth=1
	s_or_b32 exec_lo, exec_lo, s11
	v_and_b32_e32 v44, 0xffff, v44
	v_and_b32_e32 v49, 0xffff, v49
	v_dual_lshlrev_b32 v28, 16, v28 :: v_dual_lshlrev_b32 v1, 16, v1
	v_lshlrev_b32_e32 v42, 16, v42
	v_and_b32_e32 v50, 0xffff, v50
	v_lshl_or_b32 v44, v43, 16, v44
	v_lshl_or_b32 v43, v47, 16, v49
	v_and_b32_e32 v47, 0xffff, v48
	v_and_or_b32 v2, 0xffff, v2, v28
	v_and_or_b32 v1, 0xffff, v3, v1
	;; [unrolled: 1-line block ×3, first 2 shown]
	;;#ASMSTART
	v_pk_mul_f16 v2, v44, v2;

	;;#ASMEND
	;;#ASMSTART
	v_pk_mul_f16 v1, v43, v1;

	;;#ASMEND
	v_lshl_or_b32 v45, v45, 16, v50
	v_lshl_or_b32 v46, v46, 16, v47
	;;#ASMSTART
	v_pk_mul_f16 v3, v45, v3;

	;;#ASMEND
	;;#ASMSTART
	v_pk_mul_f16 v4, v46, v5;

	;;#ASMEND
	;;#ASMSTART
	v_pk_add_f16 v1, v2, v1;

	;;#ASMEND
	;;#ASMSTART
	v_pk_add_f16 v1, v1, v3;

	;;#ASMEND
	;;#ASMSTART
	v_pk_add_f16 v1, v1, v4;

	;;#ASMEND
	v_and_b32_e32 v2, 0xffff, v1
	v_lshrrev_b32_e32 v1, 16, v1
	;;#ASMSTART
	v_cvt_f32_f16 v47, v2;
	;;#ASMEND
	;;#ASMSTART
	v_cvt_f32_f16 v48, v1;
	;;#ASMEND
	global_load_b128 v[2:5], v[26:27], off offset:512
	s_wait_loadcnt 0x0
	v_dual_lshrrev_b32 v1, 16, v3 :: v_dual_lshrrev_b32 v28, 16, v2
	v_lshrrev_b32_e32 v42, 16, v4
	s_and_saveexec_b32 s11, vcc_lo
	s_cbranch_execz .LBB105_40
; %bb.39:                               ;   in Loop: Header=BB105_36 Depth=1
	v_cmp_gt_i32_e64 s0, s21, v32
	v_and_b32_e32 v49, 0xffff, v5
	v_and_b32_e32 v5, 0xffff0000, v5
	s_delay_alu instid0(VALU_DEP_3) | instskip(SKIP_1) | instid1(VALU_DEP_1)
	v_cndmask_b32_e64 v2, 0, v2, s0
	v_cmp_gt_i32_e64 s0, s21, v40
	v_cndmask_b32_e64 v3, 0, v3, s0
	v_cmp_gt_i32_e64 s0, s10, v41
	s_delay_alu instid0(VALU_DEP_1) | instskip(SKIP_1) | instid1(VALU_DEP_1)
	v_cndmask_b32_e64 v1, 0, v1, s0
	v_cmp_gt_i32_e64 s0, s21, v39
	v_cndmask_b32_e64 v28, 0, v28, s0
	v_cmp_gt_i32_e64 s0, s21, v38
	s_delay_alu instid0(VALU_DEP_1) | instskip(SKIP_1) | instid1(VALU_DEP_1)
	;; [unrolled: 5-line block ×3, first 2 shown]
	v_cndmask_b32_e64 v4, 0, v4, s0
	v_cmp_gt_i32_e64 s0, s21, v35
	v_dual_cndmask_b32 v42, 0, v42, s0 :: v_dual_bitop2_b32 v5, v49, v5 bitop3:0x54
.LBB105_40:                             ;   in Loop: Header=BB105_36 Depth=1
	s_or_b32 exec_lo, exec_lo, s11
	v_dual_lshlrev_b32 v28, 16, v28 :: v_dual_lshlrev_b32 v1, 16, v1
	s_delay_alu instid0(VALU_DEP_2) | instskip(NEXT) | instid1(VALU_DEP_2)
	v_lshlrev_b32_e32 v42, 16, v42
	v_and_or_b32 v2, 0xffff, v2, v28
	s_delay_alu instid0(VALU_DEP_3) | instskip(NEXT) | instid1(VALU_DEP_3)
	v_and_or_b32 v1, 0xffff, v3, v1
	v_and_or_b32 v3, 0xffff, v4, v42
	;;#ASMSTART
	v_pk_mul_f16 v2, v44, v2;

	;;#ASMEND
	;;#ASMSTART
	v_pk_mul_f16 v1, v43, v1;

	;;#ASMEND
	;; [unrolled: 4-line block ×4, first 2 shown]
	;;#ASMSTART
	v_pk_add_f16 v1, v2, v1;

	;;#ASMEND
	;;#ASMSTART
	v_pk_add_f16 v1, v1, v3;

	;;#ASMEND
	;; [unrolled: 4-line block ×3, first 2 shown]
	v_and_b32_e32 v2, 0xffff, v1
	v_lshrrev_b32_e32 v1, 16, v1
	;;#ASMSTART
	v_cvt_f32_f16 v49, v2;
	;;#ASMEND
	;;#ASMSTART
	v_cvt_f32_f16 v50, v1;
	;;#ASMEND
	global_load_b128 v[2:5], v[26:27], off offset:1024
	s_wait_loadcnt 0x0
	v_dual_lshrrev_b32 v1, 16, v3 :: v_dual_lshrrev_b32 v28, 16, v2
	v_lshrrev_b32_e32 v42, 16, v4
	s_and_saveexec_b32 s11, vcc_lo
	s_cbranch_execz .LBB105_42
; %bb.41:                               ;   in Loop: Header=BB105_36 Depth=1
	v_cmp_gt_i32_e64 s0, s21, v32
	v_and_b32_e32 v51, 0xffff, v5
	v_and_b32_e32 v5, 0xffff0000, v5
	s_delay_alu instid0(VALU_DEP_3) | instskip(SKIP_1) | instid1(VALU_DEP_1)
	v_cndmask_b32_e64 v2, 0, v2, s0
	v_cmp_gt_i32_e64 s0, s21, v40
	v_cndmask_b32_e64 v3, 0, v3, s0
	v_cmp_gt_i32_e64 s0, s10, v41
	s_delay_alu instid0(VALU_DEP_1) | instskip(SKIP_1) | instid1(VALU_DEP_1)
	v_cndmask_b32_e64 v1, 0, v1, s0
	v_cmp_gt_i32_e64 s0, s21, v39
	v_cndmask_b32_e64 v28, 0, v28, s0
	v_cmp_gt_i32_e64 s0, s21, v38
	s_delay_alu instid0(VALU_DEP_1) | instskip(SKIP_1) | instid1(VALU_DEP_1)
	;; [unrolled: 5-line block ×3, first 2 shown]
	v_dual_cndmask_b32 v4, 0, v4, s0 :: v_dual_bitop2_b32 v5, v51, v5 bitop3:0x54
	v_cmp_gt_i32_e64 s0, s21, v35
	v_cndmask_b32_e64 v42, 0, v42, s0
.LBB105_42:                             ;   in Loop: Header=BB105_36 Depth=1
	s_or_b32 exec_lo, exec_lo, s11
	v_dual_lshlrev_b32 v28, 16, v28 :: v_dual_lshlrev_b32 v1, 16, v1
	s_delay_alu instid0(VALU_DEP_2) | instskip(NEXT) | instid1(VALU_DEP_2)
	v_lshlrev_b32_e32 v42, 16, v42
	v_and_or_b32 v2, 0xffff, v2, v28
	s_delay_alu instid0(VALU_DEP_3) | instskip(NEXT) | instid1(VALU_DEP_3)
	v_and_or_b32 v1, 0xffff, v3, v1
	v_and_or_b32 v3, 0xffff, v4, v42
	;;#ASMSTART
	v_pk_mul_f16 v2, v44, v2;

	;;#ASMEND
	;;#ASMSTART
	v_pk_mul_f16 v1, v43, v1;

	;;#ASMEND
	;;#ASMSTART
	v_pk_mul_f16 v3, v45, v3;

	;;#ASMEND
	;;#ASMSTART
	v_pk_mul_f16 v4, v46, v5;

	;;#ASMEND
	;;#ASMSTART
	v_pk_add_f16 v1, v2, v1;

	;;#ASMEND
	;;#ASMSTART
	v_pk_add_f16 v1, v1, v3;

	;;#ASMEND
	;; [unrolled: 4-line block ×3, first 2 shown]
	v_and_b32_e32 v2, 0xffff, v1
	v_lshrrev_b32_e32 v1, 16, v1
	;;#ASMSTART
	v_cvt_f32_f16 v51, v2;
	;;#ASMEND
	;;#ASMSTART
	v_cvt_f32_f16 v52, v1;
	;;#ASMEND
	global_load_b128 v[2:5], v[26:27], off offset:1536
	s_wait_loadcnt 0x0
	v_dual_lshrrev_b32 v1, 16, v3 :: v_dual_lshrrev_b32 v28, 16, v2
	v_lshrrev_b32_e32 v42, 16, v4
	s_and_saveexec_b32 s11, vcc_lo
	s_cbranch_execz .LBB105_44
; %bb.43:                               ;   in Loop: Header=BB105_36 Depth=1
	v_cmp_gt_i32_e64 s0, s21, v32
	v_and_b32_e32 v53, 0xffff, v5
	v_and_b32_e32 v5, 0xffff0000, v5
	s_delay_alu instid0(VALU_DEP_3) | instskip(SKIP_1) | instid1(VALU_DEP_1)
	v_cndmask_b32_e64 v2, 0, v2, s0
	v_cmp_gt_i32_e64 s0, s21, v40
	v_cndmask_b32_e64 v3, 0, v3, s0
	v_cmp_gt_i32_e64 s0, s10, v41
	s_delay_alu instid0(VALU_DEP_1) | instskip(SKIP_1) | instid1(VALU_DEP_1)
	v_cndmask_b32_e64 v1, 0, v1, s0
	v_cmp_gt_i32_e64 s0, s21, v39
	v_cndmask_b32_e64 v28, 0, v28, s0
	v_cmp_gt_i32_e64 s0, s21, v38
	s_delay_alu instid0(VALU_DEP_1) | instskip(SKIP_1) | instid1(VALU_DEP_1)
	v_cndmask_b32_e64 v53, 0, v53, s0
	v_cmp_gt_i32_e64 s0, s21, v37
	v_cndmask_b32_e64 v5, 0, v5, s0
	v_cmp_gt_i32_e64 s0, s21, v36
	s_delay_alu instid0(VALU_DEP_1) | instskip(SKIP_1) | instid1(VALU_DEP_1)
	v_cndmask_b32_e64 v4, 0, v4, s0
	v_cmp_gt_i32_e64 s0, s21, v35
	v_dual_cndmask_b32 v42, 0, v42, s0 :: v_dual_bitop2_b32 v5, v53, v5 bitop3:0x54
.LBB105_44:                             ;   in Loop: Header=BB105_36 Depth=1
	s_or_b32 exec_lo, exec_lo, s11
	v_dual_lshlrev_b32 v28, 16, v28 :: v_dual_lshlrev_b32 v1, 16, v1
	s_delay_alu instid0(VALU_DEP_2) | instskip(NEXT) | instid1(VALU_DEP_2)
	v_lshlrev_b32_e32 v42, 16, v42
	v_and_or_b32 v2, 0xffff, v2, v28
	s_delay_alu instid0(VALU_DEP_3) | instskip(NEXT) | instid1(VALU_DEP_3)
	v_and_or_b32 v1, 0xffff, v3, v1
	v_and_or_b32 v3, 0xffff, v4, v42
	;;#ASMSTART
	v_pk_mul_f16 v2, v44, v2;

	;;#ASMEND
	;;#ASMSTART
	v_pk_mul_f16 v1, v43, v1;

	;;#ASMEND
	;; [unrolled: 4-line block ×4, first 2 shown]
	;;#ASMSTART
	v_pk_add_f16 v1, v2, v1;

	;;#ASMEND
	;;#ASMSTART
	v_pk_add_f16 v1, v1, v3;

	;;#ASMEND
	;; [unrolled: 4-line block ×3, first 2 shown]
	v_and_b32_e32 v2, 0xffff, v1
	v_lshrrev_b32_e32 v1, 16, v1
	;;#ASMSTART
	v_cvt_f32_f16 v53, v2;
	;;#ASMEND
	;;#ASMSTART
	v_cvt_f32_f16 v54, v1;
	;;#ASMEND
	global_load_b128 v[2:5], v[26:27], off offset:2048
	s_wait_loadcnt 0x0
	v_dual_lshrrev_b32 v1, 16, v3 :: v_dual_lshrrev_b32 v28, 16, v2
	v_lshrrev_b32_e32 v42, 16, v4
	s_and_saveexec_b32 s11, vcc_lo
	s_cbranch_execz .LBB105_46
; %bb.45:                               ;   in Loop: Header=BB105_36 Depth=1
	v_cmp_gt_i32_e64 s0, s21, v32
	v_and_b32_e32 v55, 0xffff, v5
	v_and_b32_e32 v5, 0xffff0000, v5
	s_delay_alu instid0(VALU_DEP_3) | instskip(SKIP_1) | instid1(VALU_DEP_1)
	v_cndmask_b32_e64 v2, 0, v2, s0
	v_cmp_gt_i32_e64 s0, s21, v40
	v_cndmask_b32_e64 v3, 0, v3, s0
	v_cmp_gt_i32_e64 s0, s10, v41
	s_delay_alu instid0(VALU_DEP_1) | instskip(SKIP_1) | instid1(VALU_DEP_1)
	v_cndmask_b32_e64 v1, 0, v1, s0
	v_cmp_gt_i32_e64 s0, s21, v39
	v_cndmask_b32_e64 v28, 0, v28, s0
	v_cmp_gt_i32_e64 s0, s21, v38
	s_delay_alu instid0(VALU_DEP_1) | instskip(SKIP_1) | instid1(VALU_DEP_1)
	;; [unrolled: 5-line block ×3, first 2 shown]
	v_dual_cndmask_b32 v4, 0, v4, s0 :: v_dual_bitop2_b32 v5, v55, v5 bitop3:0x54
	v_cmp_gt_i32_e64 s0, s21, v35
	v_cndmask_b32_e64 v42, 0, v42, s0
.LBB105_46:                             ;   in Loop: Header=BB105_36 Depth=1
	s_or_b32 exec_lo, exec_lo, s11
	v_dual_lshlrev_b32 v28, 16, v28 :: v_dual_lshlrev_b32 v1, 16, v1
	s_delay_alu instid0(VALU_DEP_2) | instskip(NEXT) | instid1(VALU_DEP_2)
	v_lshlrev_b32_e32 v42, 16, v42
	v_and_or_b32 v2, 0xffff, v2, v28
	s_delay_alu instid0(VALU_DEP_3) | instskip(NEXT) | instid1(VALU_DEP_3)
	v_and_or_b32 v1, 0xffff, v3, v1
	v_and_or_b32 v3, 0xffff, v4, v42
	;;#ASMSTART
	v_pk_mul_f16 v2, v44, v2;

	;;#ASMEND
	;;#ASMSTART
	v_pk_mul_f16 v1, v43, v1;

	;;#ASMEND
	;; [unrolled: 4-line block ×4, first 2 shown]
	;;#ASMSTART
	v_pk_add_f16 v1, v2, v1;

	;;#ASMEND
	;;#ASMSTART
	v_pk_add_f16 v1, v1, v3;

	;;#ASMEND
	;; [unrolled: 4-line block ×3, first 2 shown]
	v_and_b32_e32 v2, 0xffff, v1
	v_lshrrev_b32_e32 v1, 16, v1
	;;#ASMSTART
	v_cvt_f32_f16 v55, v2;
	;;#ASMEND
	;;#ASMSTART
	v_cvt_f32_f16 v56, v1;
	;;#ASMEND
	global_load_b128 v[2:5], v[26:27], off offset:2560
	s_wait_loadcnt 0x0
	v_dual_lshrrev_b32 v1, 16, v3 :: v_dual_lshrrev_b32 v28, 16, v2
	v_lshrrev_b32_e32 v42, 16, v4
	s_and_saveexec_b32 s11, vcc_lo
	s_cbranch_execz .LBB105_48
; %bb.47:                               ;   in Loop: Header=BB105_36 Depth=1
	v_cmp_gt_i32_e64 s0, s21, v32
	v_and_b32_e32 v57, 0xffff, v5
	v_and_b32_e32 v5, 0xffff0000, v5
	s_delay_alu instid0(VALU_DEP_3) | instskip(SKIP_1) | instid1(VALU_DEP_1)
	v_cndmask_b32_e64 v2, 0, v2, s0
	v_cmp_gt_i32_e64 s0, s21, v40
	v_cndmask_b32_e64 v3, 0, v3, s0
	v_cmp_gt_i32_e64 s0, s10, v41
	s_delay_alu instid0(VALU_DEP_1) | instskip(SKIP_1) | instid1(VALU_DEP_1)
	v_cndmask_b32_e64 v1, 0, v1, s0
	v_cmp_gt_i32_e64 s0, s21, v39
	v_cndmask_b32_e64 v28, 0, v28, s0
	v_cmp_gt_i32_e64 s0, s21, v38
	s_delay_alu instid0(VALU_DEP_1) | instskip(SKIP_1) | instid1(VALU_DEP_1)
	;; [unrolled: 5-line block ×3, first 2 shown]
	v_cndmask_b32_e64 v4, 0, v4, s0
	v_cmp_gt_i32_e64 s0, s21, v35
	v_dual_cndmask_b32 v42, 0, v42, s0 :: v_dual_bitop2_b32 v5, v57, v5 bitop3:0x54
.LBB105_48:                             ;   in Loop: Header=BB105_36 Depth=1
	s_or_b32 exec_lo, exec_lo, s11
	v_dual_lshlrev_b32 v28, 16, v28 :: v_dual_lshlrev_b32 v1, 16, v1
	s_delay_alu instid0(VALU_DEP_2) | instskip(NEXT) | instid1(VALU_DEP_2)
	v_lshlrev_b32_e32 v42, 16, v42
	v_and_or_b32 v2, 0xffff, v2, v28
	s_delay_alu instid0(VALU_DEP_3) | instskip(NEXT) | instid1(VALU_DEP_3)
	v_and_or_b32 v1, 0xffff, v3, v1
	v_and_or_b32 v3, 0xffff, v4, v42
	;;#ASMSTART
	v_pk_mul_f16 v2, v44, v2;

	;;#ASMEND
	;;#ASMSTART
	v_pk_mul_f16 v1, v43, v1;

	;;#ASMEND
	;; [unrolled: 4-line block ×4, first 2 shown]
	;;#ASMSTART
	v_pk_add_f16 v1, v2, v1;

	;;#ASMEND
	;;#ASMSTART
	v_pk_add_f16 v1, v1, v3;

	;;#ASMEND
	;; [unrolled: 4-line block ×3, first 2 shown]
	v_and_b32_e32 v2, 0xffff, v1
	v_lshrrev_b32_e32 v1, 16, v1
	;;#ASMSTART
	v_cvt_f32_f16 v57, v2;
	;;#ASMEND
	;;#ASMSTART
	v_cvt_f32_f16 v58, v1;
	;;#ASMEND
	global_load_b128 v[2:5], v[26:27], off offset:3072
	s_wait_loadcnt 0x0
	v_dual_lshrrev_b32 v1, 16, v3 :: v_dual_lshrrev_b32 v28, 16, v2
	v_lshrrev_b32_e32 v42, 16, v4
	s_and_saveexec_b32 s11, vcc_lo
	s_cbranch_execz .LBB105_50
; %bb.49:                               ;   in Loop: Header=BB105_36 Depth=1
	v_cmp_gt_i32_e64 s0, s21, v32
	v_and_b32_e32 v59, 0xffff, v5
	v_and_b32_e32 v5, 0xffff0000, v5
	s_delay_alu instid0(VALU_DEP_3) | instskip(SKIP_1) | instid1(VALU_DEP_1)
	v_cndmask_b32_e64 v2, 0, v2, s0
	v_cmp_gt_i32_e64 s0, s21, v40
	v_cndmask_b32_e64 v3, 0, v3, s0
	v_cmp_gt_i32_e64 s0, s10, v41
	s_delay_alu instid0(VALU_DEP_1) | instskip(SKIP_1) | instid1(VALU_DEP_1)
	v_cndmask_b32_e64 v1, 0, v1, s0
	v_cmp_gt_i32_e64 s0, s21, v39
	v_cndmask_b32_e64 v28, 0, v28, s0
	v_cmp_gt_i32_e64 s0, s21, v38
	s_delay_alu instid0(VALU_DEP_1) | instskip(SKIP_1) | instid1(VALU_DEP_1)
	;; [unrolled: 5-line block ×3, first 2 shown]
	v_dual_cndmask_b32 v4, 0, v4, s0 :: v_dual_bitop2_b32 v5, v59, v5 bitop3:0x54
	v_cmp_gt_i32_e64 s0, s21, v35
	v_cndmask_b32_e64 v42, 0, v42, s0
.LBB105_50:                             ;   in Loop: Header=BB105_36 Depth=1
	s_or_b32 exec_lo, exec_lo, s11
	v_dual_lshlrev_b32 v28, 16, v28 :: v_dual_lshlrev_b32 v1, 16, v1
	s_delay_alu instid0(VALU_DEP_2) | instskip(NEXT) | instid1(VALU_DEP_2)
	v_lshlrev_b32_e32 v42, 16, v42
	v_and_or_b32 v2, 0xffff, v2, v28
	s_delay_alu instid0(VALU_DEP_3) | instskip(NEXT) | instid1(VALU_DEP_3)
	v_and_or_b32 v1, 0xffff, v3, v1
	v_and_or_b32 v3, 0xffff, v4, v42
	;;#ASMSTART
	v_pk_mul_f16 v2, v44, v2;

	;;#ASMEND
	;;#ASMSTART
	v_pk_mul_f16 v1, v43, v1;

	;;#ASMEND
	;; [unrolled: 4-line block ×4, first 2 shown]
	;;#ASMSTART
	v_pk_add_f16 v1, v2, v1;

	;;#ASMEND
	;;#ASMSTART
	v_pk_add_f16 v1, v1, v3;

	;;#ASMEND
	;; [unrolled: 4-line block ×3, first 2 shown]
	v_and_b32_e32 v2, 0xffff, v1
	v_lshrrev_b32_e32 v1, 16, v1
	;;#ASMSTART
	v_cvt_f32_f16 v59, v2;
	;;#ASMEND
	;;#ASMSTART
	v_cvt_f32_f16 v60, v1;
	;;#ASMEND
	global_load_b128 v[2:5], v[26:27], off offset:3584
	s_wait_loadcnt 0x0
	v_dual_lshrrev_b32 v1, 16, v3 :: v_dual_lshrrev_b32 v28, 16, v2
	v_lshrrev_b32_e32 v42, 16, v4
	s_and_saveexec_b32 s11, vcc_lo
	s_cbranch_execz .LBB105_52
; %bb.51:                               ;   in Loop: Header=BB105_36 Depth=1
	v_cmp_gt_i32_e64 s0, s21, v32
	v_and_b32_e32 v61, 0xffff, v5
	v_and_b32_e32 v5, 0xffff0000, v5
	s_delay_alu instid0(VALU_DEP_3) | instskip(SKIP_1) | instid1(VALU_DEP_1)
	v_cndmask_b32_e64 v2, 0, v2, s0
	v_cmp_gt_i32_e64 s0, s21, v40
	v_cndmask_b32_e64 v3, 0, v3, s0
	v_cmp_gt_i32_e64 s0, s10, v41
	s_delay_alu instid0(VALU_DEP_1) | instskip(SKIP_1) | instid1(VALU_DEP_1)
	v_cndmask_b32_e64 v1, 0, v1, s0
	v_cmp_gt_i32_e64 s0, s21, v39
	v_cndmask_b32_e64 v28, 0, v28, s0
	v_cmp_gt_i32_e64 s0, s21, v38
	s_delay_alu instid0(VALU_DEP_1) | instskip(SKIP_1) | instid1(VALU_DEP_1)
	;; [unrolled: 5-line block ×3, first 2 shown]
	v_cndmask_b32_e64 v4, 0, v4, s0
	v_cmp_gt_i32_e64 s0, s21, v35
	v_dual_cndmask_b32 v42, 0, v42, s0 :: v_dual_bitop2_b32 v5, v61, v5 bitop3:0x54
.LBB105_52:                             ;   in Loop: Header=BB105_36 Depth=1
	s_or_b32 exec_lo, exec_lo, s11
	v_dual_lshlrev_b32 v28, 16, v28 :: v_dual_lshlrev_b32 v1, 16, v1
	s_delay_alu instid0(VALU_DEP_2) | instskip(NEXT) | instid1(VALU_DEP_2)
	v_lshlrev_b32_e32 v42, 16, v42
	v_and_or_b32 v2, 0xffff, v2, v28
	s_delay_alu instid0(VALU_DEP_3) | instskip(NEXT) | instid1(VALU_DEP_3)
	v_and_or_b32 v1, 0xffff, v3, v1
	v_and_or_b32 v3, 0xffff, v4, v42
	;;#ASMSTART
	v_pk_mul_f16 v2, v44, v2;

	;;#ASMEND
	;;#ASMSTART
	v_pk_mul_f16 v1, v43, v1;

	;;#ASMEND
	;; [unrolled: 4-line block ×4, first 2 shown]
	;;#ASMSTART
	v_pk_add_f16 v1, v2, v1;

	;;#ASMEND
	;;#ASMSTART
	v_pk_add_f16 v1, v1, v3;

	;;#ASMEND
	;; [unrolled: 4-line block ×3, first 2 shown]
	v_and_b32_e32 v2, 0xffff, v1
	v_lshrrev_b32_e32 v1, 16, v1
	;;#ASMSTART
	v_cvt_f32_f16 v61, v2;
	;;#ASMEND
	;;#ASMSTART
	v_cvt_f32_f16 v62, v1;
	;;#ASMEND
	global_load_b128 v[2:5], v[26:27], off offset:4096
	s_wait_loadcnt 0x0
	v_dual_lshrrev_b32 v1, 16, v3 :: v_dual_lshrrev_b32 v28, 16, v2
	v_lshrrev_b32_e32 v42, 16, v4
	s_and_saveexec_b32 s11, vcc_lo
	s_cbranch_execz .LBB105_54
; %bb.53:                               ;   in Loop: Header=BB105_36 Depth=1
	v_cmp_gt_i32_e64 s0, s21, v32
	v_and_b32_e32 v63, 0xffff, v5
	v_and_b32_e32 v5, 0xffff0000, v5
	s_delay_alu instid0(VALU_DEP_3) | instskip(SKIP_1) | instid1(VALU_DEP_1)
	v_cndmask_b32_e64 v2, 0, v2, s0
	v_cmp_gt_i32_e64 s0, s21, v40
	v_cndmask_b32_e64 v3, 0, v3, s0
	v_cmp_gt_i32_e64 s0, s10, v41
	s_delay_alu instid0(VALU_DEP_1) | instskip(SKIP_1) | instid1(VALU_DEP_1)
	v_cndmask_b32_e64 v1, 0, v1, s0
	v_cmp_gt_i32_e64 s0, s21, v39
	v_cndmask_b32_e64 v28, 0, v28, s0
	v_cmp_gt_i32_e64 s0, s21, v38
	s_delay_alu instid0(VALU_DEP_1) | instskip(SKIP_1) | instid1(VALU_DEP_1)
	;; [unrolled: 5-line block ×3, first 2 shown]
	v_dual_cndmask_b32 v4, 0, v4, s0 :: v_dual_bitop2_b32 v5, v63, v5 bitop3:0x54
	v_cmp_gt_i32_e64 s0, s21, v35
	v_cndmask_b32_e64 v42, 0, v42, s0
.LBB105_54:                             ;   in Loop: Header=BB105_36 Depth=1
	s_or_b32 exec_lo, exec_lo, s11
	v_dual_lshlrev_b32 v28, 16, v28 :: v_dual_lshlrev_b32 v1, 16, v1
	s_delay_alu instid0(VALU_DEP_2) | instskip(NEXT) | instid1(VALU_DEP_2)
	v_lshlrev_b32_e32 v42, 16, v42
	v_and_or_b32 v2, 0xffff, v2, v28
	s_delay_alu instid0(VALU_DEP_3) | instskip(NEXT) | instid1(VALU_DEP_3)
	v_and_or_b32 v1, 0xffff, v3, v1
	v_and_or_b32 v3, 0xffff, v4, v42
	;;#ASMSTART
	v_pk_mul_f16 v2, v44, v2;

	;;#ASMEND
	;;#ASMSTART
	v_pk_mul_f16 v1, v43, v1;

	;;#ASMEND
	;; [unrolled: 4-line block ×4, first 2 shown]
	;;#ASMSTART
	v_pk_add_f16 v1, v2, v1;

	;;#ASMEND
	;;#ASMSTART
	v_pk_add_f16 v1, v1, v3;

	;;#ASMEND
	;; [unrolled: 4-line block ×3, first 2 shown]
	v_and_b32_e32 v2, 0xffff, v1
	v_lshrrev_b32_e32 v1, 16, v1
	;;#ASMSTART
	v_cvt_f32_f16 v63, v2;
	;;#ASMEND
	;;#ASMSTART
	v_cvt_f32_f16 v64, v1;
	;;#ASMEND
	global_load_b128 v[2:5], v[26:27], off offset:4608
	s_wait_loadcnt 0x0
	v_dual_lshrrev_b32 v1, 16, v3 :: v_dual_lshrrev_b32 v28, 16, v2
	v_lshrrev_b32_e32 v42, 16, v4
	s_and_saveexec_b32 s11, vcc_lo
	s_cbranch_execz .LBB105_56
; %bb.55:                               ;   in Loop: Header=BB105_36 Depth=1
	v_cmp_gt_i32_e64 s0, s21, v32
	v_and_b32_e32 v65, 0xffff, v5
	v_and_b32_e32 v5, 0xffff0000, v5
	s_delay_alu instid0(VALU_DEP_3) | instskip(SKIP_1) | instid1(VALU_DEP_1)
	v_cndmask_b32_e64 v2, 0, v2, s0
	v_cmp_gt_i32_e64 s0, s21, v40
	v_cndmask_b32_e64 v3, 0, v3, s0
	v_cmp_gt_i32_e64 s0, s10, v41
	s_delay_alu instid0(VALU_DEP_1) | instskip(SKIP_1) | instid1(VALU_DEP_1)
	v_cndmask_b32_e64 v1, 0, v1, s0
	v_cmp_gt_i32_e64 s0, s21, v39
	v_cndmask_b32_e64 v28, 0, v28, s0
	v_cmp_gt_i32_e64 s0, s21, v38
	s_delay_alu instid0(VALU_DEP_1) | instskip(SKIP_1) | instid1(VALU_DEP_1)
	;; [unrolled: 5-line block ×3, first 2 shown]
	v_cndmask_b32_e64 v4, 0, v4, s0
	v_cmp_gt_i32_e64 s0, s21, v35
	v_dual_cndmask_b32 v42, 0, v42, s0 :: v_dual_bitop2_b32 v5, v65, v5 bitop3:0x54
.LBB105_56:                             ;   in Loop: Header=BB105_36 Depth=1
	s_or_b32 exec_lo, exec_lo, s11
	v_dual_lshlrev_b32 v28, 16, v28 :: v_dual_lshlrev_b32 v1, 16, v1
	s_delay_alu instid0(VALU_DEP_2) | instskip(NEXT) | instid1(VALU_DEP_2)
	v_lshlrev_b32_e32 v42, 16, v42
	v_and_or_b32 v2, 0xffff, v2, v28
	s_delay_alu instid0(VALU_DEP_3) | instskip(NEXT) | instid1(VALU_DEP_3)
	v_and_or_b32 v1, 0xffff, v3, v1
	v_and_or_b32 v3, 0xffff, v4, v42
	;;#ASMSTART
	v_pk_mul_f16 v2, v44, v2;

	;;#ASMEND
	;;#ASMSTART
	v_pk_mul_f16 v1, v43, v1;

	;;#ASMEND
	;; [unrolled: 4-line block ×4, first 2 shown]
	;;#ASMSTART
	v_pk_add_f16 v1, v2, v1;

	;;#ASMEND
	;;#ASMSTART
	v_pk_add_f16 v1, v1, v3;

	;;#ASMEND
	;; [unrolled: 4-line block ×3, first 2 shown]
	v_and_b32_e32 v2, 0xffff, v1
	v_lshrrev_b32_e32 v1, 16, v1
	;;#ASMSTART
	v_cvt_f32_f16 v65, v2;
	;;#ASMEND
	;;#ASMSTART
	v_cvt_f32_f16 v66, v1;
	;;#ASMEND
	global_load_b128 v[2:5], v[26:27], off offset:5120
	s_wait_loadcnt 0x0
	v_dual_lshrrev_b32 v1, 16, v3 :: v_dual_lshrrev_b32 v28, 16, v2
	v_lshrrev_b32_e32 v42, 16, v4
	s_and_saveexec_b32 s11, vcc_lo
	s_cbranch_execz .LBB105_58
; %bb.57:                               ;   in Loop: Header=BB105_36 Depth=1
	v_cmp_gt_i32_e64 s0, s21, v32
	v_and_b32_e32 v67, 0xffff, v5
	v_and_b32_e32 v5, 0xffff0000, v5
	s_delay_alu instid0(VALU_DEP_3) | instskip(SKIP_1) | instid1(VALU_DEP_1)
	v_cndmask_b32_e64 v2, 0, v2, s0
	v_cmp_gt_i32_e64 s0, s21, v40
	v_cndmask_b32_e64 v3, 0, v3, s0
	v_cmp_gt_i32_e64 s0, s10, v41
	s_delay_alu instid0(VALU_DEP_1) | instskip(SKIP_1) | instid1(VALU_DEP_1)
	v_cndmask_b32_e64 v1, 0, v1, s0
	v_cmp_gt_i32_e64 s0, s21, v39
	v_cndmask_b32_e64 v28, 0, v28, s0
	v_cmp_gt_i32_e64 s0, s21, v38
	s_delay_alu instid0(VALU_DEP_1) | instskip(SKIP_1) | instid1(VALU_DEP_1)
	;; [unrolled: 5-line block ×3, first 2 shown]
	v_dual_cndmask_b32 v4, 0, v4, s0 :: v_dual_bitop2_b32 v5, v67, v5 bitop3:0x54
	v_cmp_gt_i32_e64 s0, s21, v35
	v_cndmask_b32_e64 v42, 0, v42, s0
.LBB105_58:                             ;   in Loop: Header=BB105_36 Depth=1
	s_or_b32 exec_lo, exec_lo, s11
	v_dual_lshlrev_b32 v28, 16, v28 :: v_dual_lshlrev_b32 v1, 16, v1
	s_delay_alu instid0(VALU_DEP_2) | instskip(NEXT) | instid1(VALU_DEP_2)
	v_lshlrev_b32_e32 v42, 16, v42
	v_and_or_b32 v2, 0xffff, v2, v28
	s_delay_alu instid0(VALU_DEP_3) | instskip(NEXT) | instid1(VALU_DEP_3)
	v_and_or_b32 v1, 0xffff, v3, v1
	v_and_or_b32 v3, 0xffff, v4, v42
	;;#ASMSTART
	v_pk_mul_f16 v2, v44, v2;

	;;#ASMEND
	;;#ASMSTART
	v_pk_mul_f16 v1, v43, v1;

	;;#ASMEND
	;; [unrolled: 4-line block ×4, first 2 shown]
	;;#ASMSTART
	v_pk_add_f16 v1, v2, v1;

	;;#ASMEND
	;;#ASMSTART
	v_pk_add_f16 v1, v1, v3;

	;;#ASMEND
	;; [unrolled: 4-line block ×3, first 2 shown]
	v_and_b32_e32 v2, 0xffff, v1
	v_lshrrev_b32_e32 v1, 16, v1
	;;#ASMSTART
	v_cvt_f32_f16 v67, v2;
	;;#ASMEND
	;;#ASMSTART
	v_cvt_f32_f16 v68, v1;
	;;#ASMEND
	global_load_b128 v[2:5], v[26:27], off offset:5632
	s_wait_loadcnt 0x0
	v_dual_lshrrev_b32 v1, 16, v3 :: v_dual_lshrrev_b32 v28, 16, v2
	v_lshrrev_b32_e32 v42, 16, v4
	s_and_saveexec_b32 s11, vcc_lo
	s_cbranch_execz .LBB105_60
; %bb.59:                               ;   in Loop: Header=BB105_36 Depth=1
	v_cmp_gt_i32_e64 s0, s21, v32
	v_and_b32_e32 v69, 0xffff, v5
	v_and_b32_e32 v5, 0xffff0000, v5
	s_delay_alu instid0(VALU_DEP_3) | instskip(SKIP_1) | instid1(VALU_DEP_1)
	v_cndmask_b32_e64 v2, 0, v2, s0
	v_cmp_gt_i32_e64 s0, s21, v40
	v_cndmask_b32_e64 v3, 0, v3, s0
	v_cmp_gt_i32_e64 s0, s10, v41
	s_delay_alu instid0(VALU_DEP_1) | instskip(SKIP_1) | instid1(VALU_DEP_1)
	v_cndmask_b32_e64 v1, 0, v1, s0
	v_cmp_gt_i32_e64 s0, s21, v39
	v_cndmask_b32_e64 v28, 0, v28, s0
	v_cmp_gt_i32_e64 s0, s21, v38
	s_delay_alu instid0(VALU_DEP_1) | instskip(SKIP_1) | instid1(VALU_DEP_1)
	;; [unrolled: 5-line block ×3, first 2 shown]
	v_cndmask_b32_e64 v4, 0, v4, s0
	v_cmp_gt_i32_e64 s0, s21, v35
	v_dual_cndmask_b32 v42, 0, v42, s0 :: v_dual_bitop2_b32 v5, v69, v5 bitop3:0x54
.LBB105_60:                             ;   in Loop: Header=BB105_36 Depth=1
	s_or_b32 exec_lo, exec_lo, s11
	v_dual_lshlrev_b32 v28, 16, v28 :: v_dual_lshlrev_b32 v1, 16, v1
	s_delay_alu instid0(VALU_DEP_2) | instskip(NEXT) | instid1(VALU_DEP_2)
	v_lshlrev_b32_e32 v42, 16, v42
	v_and_or_b32 v2, 0xffff, v2, v28
	s_delay_alu instid0(VALU_DEP_3) | instskip(NEXT) | instid1(VALU_DEP_3)
	v_and_or_b32 v1, 0xffff, v3, v1
	v_and_or_b32 v3, 0xffff, v4, v42
	;;#ASMSTART
	v_pk_mul_f16 v2, v44, v2;

	;;#ASMEND
	;;#ASMSTART
	v_pk_mul_f16 v1, v43, v1;

	;;#ASMEND
	;;#ASMSTART
	v_pk_mul_f16 v3, v45, v3;

	;;#ASMEND
	;;#ASMSTART
	v_pk_mul_f16 v4, v46, v5;

	;;#ASMEND
	;;#ASMSTART
	v_pk_add_f16 v1, v2, v1;

	;;#ASMEND
	;;#ASMSTART
	v_pk_add_f16 v1, v1, v3;

	;;#ASMEND
	;; [unrolled: 4-line block ×3, first 2 shown]
	v_and_b32_e32 v2, 0xffff, v1
	v_lshrrev_b32_e32 v1, 16, v1
	;;#ASMSTART
	v_cvt_f32_f16 v69, v2;
	;;#ASMEND
	;;#ASMSTART
	v_cvt_f32_f16 v70, v1;
	;;#ASMEND
	global_load_b128 v[2:5], v[26:27], off offset:6144
	s_wait_loadcnt 0x0
	v_dual_lshrrev_b32 v1, 16, v3 :: v_dual_lshrrev_b32 v28, 16, v2
	v_lshrrev_b32_e32 v42, 16, v4
	s_and_saveexec_b32 s11, vcc_lo
	s_cbranch_execz .LBB105_62
; %bb.61:                               ;   in Loop: Header=BB105_36 Depth=1
	v_cmp_gt_i32_e64 s0, s21, v32
	v_and_b32_e32 v71, 0xffff, v5
	v_and_b32_e32 v5, 0xffff0000, v5
	s_delay_alu instid0(VALU_DEP_3) | instskip(SKIP_1) | instid1(VALU_DEP_1)
	v_cndmask_b32_e64 v2, 0, v2, s0
	v_cmp_gt_i32_e64 s0, s21, v40
	v_cndmask_b32_e64 v3, 0, v3, s0
	v_cmp_gt_i32_e64 s0, s10, v41
	s_delay_alu instid0(VALU_DEP_1) | instskip(SKIP_1) | instid1(VALU_DEP_1)
	v_cndmask_b32_e64 v1, 0, v1, s0
	v_cmp_gt_i32_e64 s0, s21, v39
	v_cndmask_b32_e64 v28, 0, v28, s0
	v_cmp_gt_i32_e64 s0, s21, v38
	s_delay_alu instid0(VALU_DEP_1) | instskip(SKIP_1) | instid1(VALU_DEP_1)
	;; [unrolled: 5-line block ×3, first 2 shown]
	v_dual_cndmask_b32 v4, 0, v4, s0 :: v_dual_bitop2_b32 v5, v71, v5 bitop3:0x54
	v_cmp_gt_i32_e64 s0, s21, v35
	v_cndmask_b32_e64 v42, 0, v42, s0
.LBB105_62:                             ;   in Loop: Header=BB105_36 Depth=1
	s_or_b32 exec_lo, exec_lo, s11
	v_dual_lshlrev_b32 v28, 16, v28 :: v_dual_lshlrev_b32 v1, 16, v1
	s_delay_alu instid0(VALU_DEP_2) | instskip(NEXT) | instid1(VALU_DEP_2)
	v_lshlrev_b32_e32 v42, 16, v42
	v_and_or_b32 v2, 0xffff, v2, v28
	s_delay_alu instid0(VALU_DEP_3) | instskip(NEXT) | instid1(VALU_DEP_3)
	v_and_or_b32 v1, 0xffff, v3, v1
	v_and_or_b32 v3, 0xffff, v4, v42
	;;#ASMSTART
	v_pk_mul_f16 v2, v44, v2;

	;;#ASMEND
	;;#ASMSTART
	v_pk_mul_f16 v1, v43, v1;

	;;#ASMEND
	;; [unrolled: 4-line block ×4, first 2 shown]
	;;#ASMSTART
	v_pk_add_f16 v1, v2, v1;

	;;#ASMEND
	;;#ASMSTART
	v_pk_add_f16 v1, v1, v3;

	;;#ASMEND
	;; [unrolled: 4-line block ×3, first 2 shown]
	v_and_b32_e32 v2, 0xffff, v1
	v_lshrrev_b32_e32 v1, 16, v1
	;;#ASMSTART
	v_cvt_f32_f16 v71, v2;
	;;#ASMEND
	;;#ASMSTART
	v_cvt_f32_f16 v74, v1;
	;;#ASMEND
	global_load_b128 v[2:5], v[26:27], off offset:6656
	s_wait_loadcnt 0x0
	v_dual_lshrrev_b32 v1, 16, v3 :: v_dual_lshrrev_b32 v28, 16, v2
	v_lshrrev_b32_e32 v42, 16, v4
	s_and_saveexec_b32 s11, vcc_lo
	s_cbranch_execz .LBB105_64
; %bb.63:                               ;   in Loop: Header=BB105_36 Depth=1
	v_cmp_gt_i32_e64 s0, s21, v32
	v_and_b32_e32 v75, 0xffff, v5
	v_and_b32_e32 v5, 0xffff0000, v5
	s_delay_alu instid0(VALU_DEP_3) | instskip(SKIP_1) | instid1(VALU_DEP_1)
	v_cndmask_b32_e64 v2, 0, v2, s0
	v_cmp_gt_i32_e64 s0, s21, v40
	v_cndmask_b32_e64 v3, 0, v3, s0
	v_cmp_gt_i32_e64 s0, s10, v41
	s_delay_alu instid0(VALU_DEP_1) | instskip(SKIP_1) | instid1(VALU_DEP_1)
	v_cndmask_b32_e64 v1, 0, v1, s0
	v_cmp_gt_i32_e64 s0, s21, v39
	v_cndmask_b32_e64 v28, 0, v28, s0
	v_cmp_gt_i32_e64 s0, s21, v38
	s_delay_alu instid0(VALU_DEP_1) | instskip(SKIP_1) | instid1(VALU_DEP_1)
	;; [unrolled: 5-line block ×3, first 2 shown]
	v_dual_cndmask_b32 v4, 0, v4, s0 :: v_dual_bitop2_b32 v5, v75, v5 bitop3:0x54
	v_cmp_gt_i32_e64 s0, s21, v35
	v_cndmask_b32_e64 v42, 0, v42, s0
.LBB105_64:                             ;   in Loop: Header=BB105_36 Depth=1
	s_or_b32 exec_lo, exec_lo, s11
	v_dual_lshlrev_b32 v28, 16, v28 :: v_dual_lshlrev_b32 v1, 16, v1
	s_delay_alu instid0(VALU_DEP_2) | instskip(NEXT) | instid1(VALU_DEP_2)
	v_lshlrev_b32_e32 v42, 16, v42
	v_and_or_b32 v2, 0xffff, v2, v28
	s_delay_alu instid0(VALU_DEP_3) | instskip(NEXT) | instid1(VALU_DEP_3)
	v_and_or_b32 v1, 0xffff, v3, v1
	v_and_or_b32 v3, 0xffff, v4, v42
	;;#ASMSTART
	v_pk_mul_f16 v2, v44, v2;

	;;#ASMEND
	;;#ASMSTART
	v_pk_mul_f16 v1, v43, v1;

	;;#ASMEND
	;; [unrolled: 4-line block ×4, first 2 shown]
	;;#ASMSTART
	v_pk_add_f16 v1, v2, v1;

	;;#ASMEND
	;;#ASMSTART
	v_pk_add_f16 v1, v1, v3;

	;;#ASMEND
	;; [unrolled: 4-line block ×3, first 2 shown]
	v_and_b32_e32 v2, 0xffff, v1
	v_lshrrev_b32_e32 v1, 16, v1
	;;#ASMSTART
	v_cvt_f32_f16 v75, v2;
	;;#ASMEND
	;;#ASMSTART
	v_cvt_f32_f16 v76, v1;
	;;#ASMEND
	global_load_b128 v[2:5], v[26:27], off offset:7168
	s_wait_loadcnt 0x0
	v_dual_lshrrev_b32 v1, 16, v3 :: v_dual_lshrrev_b32 v28, 16, v2
	v_lshrrev_b32_e32 v42, 16, v4
	s_and_saveexec_b32 s11, vcc_lo
	s_cbranch_execz .LBB105_66
; %bb.65:                               ;   in Loop: Header=BB105_36 Depth=1
	v_cmp_gt_i32_e64 s0, s21, v32
	v_and_b32_e32 v77, 0xffff, v5
	v_and_b32_e32 v5, 0xffff0000, v5
	s_delay_alu instid0(VALU_DEP_3) | instskip(SKIP_1) | instid1(VALU_DEP_1)
	v_cndmask_b32_e64 v2, 0, v2, s0
	v_cmp_gt_i32_e64 s0, s21, v40
	v_cndmask_b32_e64 v3, 0, v3, s0
	v_cmp_gt_i32_e64 s0, s10, v41
	s_delay_alu instid0(VALU_DEP_1) | instskip(SKIP_1) | instid1(VALU_DEP_1)
	v_cndmask_b32_e64 v1, 0, v1, s0
	v_cmp_gt_i32_e64 s0, s21, v39
	v_cndmask_b32_e64 v28, 0, v28, s0
	v_cmp_gt_i32_e64 s0, s21, v38
	s_delay_alu instid0(VALU_DEP_1) | instskip(SKIP_1) | instid1(VALU_DEP_1)
	;; [unrolled: 5-line block ×3, first 2 shown]
	v_cndmask_b32_e64 v4, 0, v4, s0
	v_cmp_gt_i32_e64 s0, s21, v35
	v_dual_cndmask_b32 v42, 0, v42, s0 :: v_dual_bitop2_b32 v5, v77, v5 bitop3:0x54
.LBB105_66:                             ;   in Loop: Header=BB105_36 Depth=1
	s_or_b32 exec_lo, exec_lo, s11
	v_dual_lshlrev_b32 v28, 16, v28 :: v_dual_lshlrev_b32 v1, 16, v1
	s_delay_alu instid0(VALU_DEP_2) | instskip(NEXT) | instid1(VALU_DEP_2)
	v_lshlrev_b32_e32 v42, 16, v42
	v_and_or_b32 v2, 0xffff, v2, v28
	s_delay_alu instid0(VALU_DEP_3) | instskip(NEXT) | instid1(VALU_DEP_3)
	v_and_or_b32 v1, 0xffff, v3, v1
	v_and_or_b32 v3, 0xffff, v4, v42
	;;#ASMSTART
	v_pk_mul_f16 v2, v44, v2;

	;;#ASMEND
	;;#ASMSTART
	v_pk_mul_f16 v1, v43, v1;

	;;#ASMEND
	;; [unrolled: 4-line block ×4, first 2 shown]
	;;#ASMSTART
	v_pk_add_f16 v1, v2, v1;

	;;#ASMEND
	;;#ASMSTART
	v_pk_add_f16 v1, v1, v3;

	;;#ASMEND
	;; [unrolled: 4-line block ×3, first 2 shown]
	v_and_b32_e32 v2, 0xffff, v1
	v_lshrrev_b32_e32 v1, 16, v1
	;;#ASMSTART
	v_cvt_f32_f16 v28, v2;
	;;#ASMEND
	;;#ASMSTART
	v_cvt_f32_f16 v42, v1;
	;;#ASMEND
	global_load_b128 v[2:5], v[26:27], off offset:7680
	s_wait_loadcnt 0x0
	v_dual_lshrrev_b32 v1, 16, v3 :: v_dual_lshrrev_b32 v26, 16, v2
	v_lshrrev_b32_e32 v27, 16, v4
	s_and_saveexec_b32 s0, vcc_lo
	s_cbranch_execz .LBB105_35
; %bb.67:                               ;   in Loop: Header=BB105_36 Depth=1
	v_cmp_gt_i32_e32 vcc_lo, s21, v32
	v_cndmask_b32_e32 v2, 0, v2, vcc_lo
	v_cmp_gt_i32_e32 vcc_lo, s21, v40
	v_and_b32_e32 v40, 0xffff, v5
	v_and_b32_e32 v5, 0xffff0000, v5
	v_cndmask_b32_e32 v3, 0, v3, vcc_lo
	v_cmp_gt_i32_e32 vcc_lo, s10, v41
	v_cndmask_b32_e32 v1, 0, v1, vcc_lo
	v_cmp_gt_i32_e32 vcc_lo, s21, v39
	;; [unrolled: 2-line block ×5, first 2 shown]
	s_delay_alu instid0(VALU_DEP_2)
	v_dual_cndmask_b32 v4, 0, v4, vcc_lo :: v_dual_bitop2_b32 v5, v38, v5 bitop3:0x54
	v_cmp_gt_i32_e32 vcc_lo, s21, v35
	v_cndmask_b32_e32 v27, 0, v27, vcc_lo
	s_branch .LBB105_35
.LBB105_68:
	s_or_b32 exec_lo, exec_lo, s5
.LBB105_69:
	s_delay_alu instid0(SALU_CYCLE_1)
	s_or_b32 exec_lo, exec_lo, s1
	ds_bpermute_b32 v2, v30, v20
	ds_bpermute_b32 v3, v30, v21
	;; [unrolled: 1-line block ×16, first 2 shown]
	v_and_b32_e32 v28, 0x3c3, v0
	v_and_b32_e32 v1, 28, v73
	s_mov_b32 s0, exec_lo
	s_wait_dscnt 0x0
	s_barrier_signal -1
	v_pk_add_f32 v[2:3], v[20:21], v[2:3]
	s_barrier_wait -1
	v_pk_add_f32 v[4:5], v[18:19], v[4:5]
	v_pk_add_f32 v[20:21], v[16:17], v[22:23]
	;; [unrolled: 1-line block ×3, first 2 shown]
	ds_bpermute_b32 v14, v29, v2
	v_pk_add_f32 v[26:27], v[12:13], v[26:27]
	ds_bpermute_b32 v15, v29, v3
	v_pk_add_f32 v[32:33], v[10:11], v[32:33]
	ds_bpermute_b32 v24, v29, v4
	v_pk_add_f32 v[34:35], v[8:9], v[34:35]
	ds_bpermute_b32 v25, v29, v5
	ds_bpermute_b32 v38, v29, v20
	;; [unrolled: 1-line block ×11, first 2 shown]
	v_pk_add_f32 v[16:17], v[6:7], v[36:37]
	ds_bpermute_b32 v18, v29, v16
	ds_bpermute_b32 v19, v29, v17
	s_wait_dscnt 0xe
	v_pk_add_f32 v[14:15], v[2:3], v[14:15]
	s_wait_dscnt 0xc
	v_pk_add_f32 v[12:13], v[4:5], v[24:25]
	;; [unrolled: 2-line block ×7, first 2 shown]
	v_cmpx_ne_u32_e32 64, v28
	s_xor_b32 s0, exec_lo, s0
	s_delay_alu instid0(SALU_CYCLE_1)
	s_or_saveexec_b32 s0, s0
	s_wait_dscnt 0x0
	v_pk_add_f32 v[16:17], v[16:17], v[18:19]
	v_lshrrev_b32_e32 v19, 2, v73
	v_add_nc_u32_e32 v18, 0x120, v1
	v_lshlrev_b32_e32 v1, 9, v72
	s_xor_b32 exec_lo, exec_lo, s0
	s_cbranch_execz .LBB105_71
; %bb.70:
	s_delay_alu instid0(VALU_DEP_1) | instskip(NEXT) | instid1(VALU_DEP_1)
	v_add_nc_u32_e32 v20, v18, v1
	v_add_nc_u32_e32 v21, 0xfffffc00, v20
	;; [unrolled: 1-line block ×9, first 2 shown]
	ds_store_b32 v21, v14
	ds_store_b32 v22, v15
	;; [unrolled: 1-line block ×8, first 2 shown]
	v_add_nc_u32_e32 v21, 0xfffffd00, v20
	v_add_nc_u32_e32 v22, 0xfffffd20, v20
	;; [unrolled: 1-line block ×8, first 2 shown]
	ds_store_b32 v21, v6
	ds_store_b32 v22, v7
	;; [unrolled: 1-line block ×8, first 2 shown]
.LBB105_71:
	s_or_b32 exec_lo, exec_lo, s0
	v_lshlrev_b32_e32 v19, 2, v19
	s_mov_b32 s1, exec_lo
	v_cmp_eq_u32_e32 vcc_lo, 0, v31
	s_wait_dscnt 0x0
	s_barrier_signal -1
	v_add3_u32 v1, 0x120, v1, v19
	s_barrier_wait -1
	v_cmpx_gt_u32_e32 64, v0
	s_cbranch_execz .LBB105_90
; %bb.72:
	s_and_saveexec_b32 s0, vcc_lo
	s_cbranch_execnz .LBB105_114
; %bb.73:
	s_or_b32 exec_lo, exec_lo, s0
	s_and_saveexec_b32 s0, vcc_lo
	s_cbranch_execnz .LBB105_115
.LBB105_74:
	s_or_b32 exec_lo, exec_lo, s0
	s_and_saveexec_b32 s0, vcc_lo
	s_cbranch_execnz .LBB105_116
.LBB105_75:
	s_or_b32 exec_lo, exec_lo, s0
	s_and_saveexec_b32 s0, vcc_lo
	s_cbranch_execnz .LBB105_117
.LBB105_76:
	s_or_b32 exec_lo, exec_lo, s0
	s_and_saveexec_b32 s0, vcc_lo
	s_cbranch_execnz .LBB105_118
.LBB105_77:
	s_or_b32 exec_lo, exec_lo, s0
	s_and_saveexec_b32 s0, vcc_lo
	s_cbranch_execnz .LBB105_119
.LBB105_78:
	s_or_b32 exec_lo, exec_lo, s0
	s_and_saveexec_b32 s0, vcc_lo
	s_cbranch_execnz .LBB105_120
.LBB105_79:
	s_or_b32 exec_lo, exec_lo, s0
	s_and_saveexec_b32 s0, vcc_lo
	s_cbranch_execnz .LBB105_121
.LBB105_80:
	s_or_b32 exec_lo, exec_lo, s0
	s_and_saveexec_b32 s0, vcc_lo
	s_cbranch_execnz .LBB105_122
.LBB105_81:
	s_or_b32 exec_lo, exec_lo, s0
	s_and_saveexec_b32 s0, vcc_lo
	s_cbranch_execnz .LBB105_123
.LBB105_82:
	s_or_b32 exec_lo, exec_lo, s0
	s_and_saveexec_b32 s0, vcc_lo
	s_cbranch_execnz .LBB105_124
.LBB105_83:
	s_or_b32 exec_lo, exec_lo, s0
	s_and_saveexec_b32 s0, vcc_lo
	s_cbranch_execnz .LBB105_125
.LBB105_84:
	s_or_b32 exec_lo, exec_lo, s0
	s_and_saveexec_b32 s0, vcc_lo
	s_cbranch_execnz .LBB105_126
.LBB105_85:
	s_or_b32 exec_lo, exec_lo, s0
	s_and_saveexec_b32 s0, vcc_lo
	s_cbranch_execnz .LBB105_127
.LBB105_86:
	s_or_b32 exec_lo, exec_lo, s0
	s_and_saveexec_b32 s0, vcc_lo
	s_cbranch_execnz .LBB105_128
.LBB105_87:
	s_or_b32 exec_lo, exec_lo, s0
	s_and_saveexec_b32 s0, vcc_lo
	s_cbranch_execz .LBB105_89
.LBB105_88:
	ds_load_b32 v19, v1 offset:480
	s_wait_dscnt 0x0
	v_add_f32_e32 v17, v17, v19
.LBB105_89:
	s_or_b32 exec_lo, exec_lo, s0
.LBB105_90:
	s_delay_alu instid0(SALU_CYCLE_1) | instskip(SKIP_4) | instid1(VALU_DEP_1)
	s_or_b32 exec_lo, exec_lo, s1
	v_and_b32_e32 v19, 0x3e3, v0
	s_mov_b32 s1, exec_lo
	s_barrier_signal -1
	s_barrier_wait -1
	v_cmpx_eq_u32_e32 32, v19
	s_cbranch_execz .LBB105_92
; %bb.91:
	ds_store_2addr_b32 v18, v14, v15 offset1:8
	ds_store_2addr_b32 v18, v12, v13 offset0:16 offset1:24
	ds_store_2addr_b32 v18, v10, v11 offset0:32 offset1:40
	;; [unrolled: 1-line block ×7, first 2 shown]
.LBB105_92:
	s_or_b32 exec_lo, exec_lo, s1
	s_delay_alu instid0(SALU_CYCLE_1)
	s_mov_b32 s1, exec_lo
	s_wait_dscnt 0x0
	s_barrier_signal -1
	s_barrier_wait -1
	v_cmpx_gt_u32_e32 32, v0
	s_cbranch_execz .LBB105_111
; %bb.93:
	s_and_saveexec_b32 s0, vcc_lo
	s_cbranch_execnz .LBB105_129
; %bb.94:
	s_or_b32 exec_lo, exec_lo, s0
	s_and_saveexec_b32 s0, vcc_lo
	s_cbranch_execnz .LBB105_130
.LBB105_95:
	s_or_b32 exec_lo, exec_lo, s0
	s_and_saveexec_b32 s0, vcc_lo
	s_cbranch_execnz .LBB105_131
.LBB105_96:
	s_or_b32 exec_lo, exec_lo, s0
	s_and_saveexec_b32 s0, vcc_lo
	s_cbranch_execnz .LBB105_132
.LBB105_97:
	s_or_b32 exec_lo, exec_lo, s0
	s_and_saveexec_b32 s0, vcc_lo
	s_cbranch_execnz .LBB105_133
.LBB105_98:
	s_or_b32 exec_lo, exec_lo, s0
	s_and_saveexec_b32 s0, vcc_lo
	s_cbranch_execnz .LBB105_134
.LBB105_99:
	s_or_b32 exec_lo, exec_lo, s0
	s_and_saveexec_b32 s0, vcc_lo
	s_cbranch_execnz .LBB105_135
.LBB105_100:
	s_or_b32 exec_lo, exec_lo, s0
	s_and_saveexec_b32 s0, vcc_lo
	s_cbranch_execnz .LBB105_136
.LBB105_101:
	s_or_b32 exec_lo, exec_lo, s0
	s_and_saveexec_b32 s0, vcc_lo
	s_cbranch_execnz .LBB105_137
.LBB105_102:
	s_or_b32 exec_lo, exec_lo, s0
	s_and_saveexec_b32 s0, vcc_lo
	s_cbranch_execnz .LBB105_138
.LBB105_103:
	s_or_b32 exec_lo, exec_lo, s0
	s_and_saveexec_b32 s0, vcc_lo
	s_cbranch_execnz .LBB105_139
.LBB105_104:
	s_or_b32 exec_lo, exec_lo, s0
	s_and_saveexec_b32 s0, vcc_lo
	s_cbranch_execnz .LBB105_140
.LBB105_105:
	s_or_b32 exec_lo, exec_lo, s0
	s_and_saveexec_b32 s0, vcc_lo
	s_cbranch_execnz .LBB105_141
.LBB105_106:
	s_or_b32 exec_lo, exec_lo, s0
	s_and_saveexec_b32 s0, vcc_lo
	s_cbranch_execnz .LBB105_142
.LBB105_107:
	s_or_b32 exec_lo, exec_lo, s0
	s_and_saveexec_b32 s0, vcc_lo
	s_cbranch_execnz .LBB105_143
.LBB105_108:
	s_or_b32 exec_lo, exec_lo, s0
	s_and_saveexec_b32 s0, vcc_lo
	s_cbranch_execz .LBB105_110
.LBB105_109:
	ds_load_b32 v1, v1 offset:480
	s_wait_dscnt 0x0
	v_add_f32_e32 v17, v17, v1
.LBB105_110:
	s_or_b32 exec_lo, exec_lo, s0
.LBB105_111:
	s_delay_alu instid0(SALU_CYCLE_1)
	s_or_b32 exec_lo, exec_lo, s1
	s_mov_b32 s1, 0
	s_barrier_signal -1
	s_barrier_wait -1
	s_mov_b32 s0, exec_lo
	v_cmpx_eq_u32_e32 0, v19
	s_cbranch_execz .LBB105_113
; %bb.112:
	s_mul_i32 s0, s20, s9
	s_mul_i32 s2, s9, s8
	;; [unrolled: 1-line block ×3, first 2 shown]
	s_lshr_b32 s8, ttmp7, 16
	s_lshl_b32 s4, s0, 7
	s_bfe_u32 s0, ttmp6, 0x40014
	s_ashr_i32 s5, s4, 31
	s_add_co_i32 s0, s0, 1
	s_lshl_b64 s[4:5], s[4:5], 1
	s_ashr_i32 s3, s2, 31
	s_wait_kmcnt 0x0
	s_add_nc_u64 s[4:5], s[6:7], s[4:5]
	s_mul_i32 s0, s8, s0
	s_bfe_u32 s6, ttmp6, 0x40008
	s_lshl_b64 s[2:3], s[2:3], 1
	s_add_co_i32 s6, s6, s0
	s_cmp_eq_u32 s18, 0
	v_lshrrev_b32_e32 v0, 1, v0
	s_cselect_b32 s0, s8, s6
	s_add_nc_u64 s[2:3], s[4:5], s[2:3]
	s_lshl_b32 s0, s0, 8
	;;#ASMSTART
	v_cvt_f16_f32 v1, v14;

	;;#ASMEND
	s_add_nc_u64 s[0:1], s[2:3], s[0:1]
	global_store_b16 v0, v1, s[0:1]
	s_wait_xcnt 0x0
	;;#ASMSTART
	v_cvt_f16_f32 v1, v15;

	;;#ASMEND
	global_store_b16 v0, v1, s[0:1] offset:16
	s_wait_xcnt 0x0
	;;#ASMSTART
	v_cvt_f16_f32 v1, v12;

	;;#ASMEND
	global_store_b16 v0, v1, s[0:1] offset:32
	;; [unrolled: 6-line block ×15, first 2 shown]
.LBB105_113:
	s_sendmsg sendmsg(MSG_DEALLOC_VGPRS)
	s_endpgm
.LBB105_114:
	ds_load_b32 v19, v1
	s_wait_dscnt 0x0
	v_add_f32_e32 v14, v14, v19
	s_or_b32 exec_lo, exec_lo, s0
	s_and_saveexec_b32 s0, vcc_lo
	s_cbranch_execz .LBB105_74
.LBB105_115:
	ds_load_b32 v19, v1 offset:32
	s_wait_dscnt 0x0
	v_add_f32_e32 v15, v15, v19
	s_or_b32 exec_lo, exec_lo, s0
	s_and_saveexec_b32 s0, vcc_lo
	s_cbranch_execz .LBB105_75
.LBB105_116:
	ds_load_b32 v19, v1 offset:64
	s_wait_dscnt 0x0
	v_add_f32_e32 v12, v12, v19
	s_or_b32 exec_lo, exec_lo, s0
	s_and_saveexec_b32 s0, vcc_lo
	s_cbranch_execz .LBB105_76
.LBB105_117:
	ds_load_b32 v19, v1 offset:96
	s_wait_dscnt 0x0
	v_add_f32_e32 v13, v13, v19
	s_or_b32 exec_lo, exec_lo, s0
	s_and_saveexec_b32 s0, vcc_lo
	s_cbranch_execz .LBB105_77
.LBB105_118:
	ds_load_b32 v19, v1 offset:128
	s_wait_dscnt 0x0
	v_add_f32_e32 v10, v10, v19
	s_or_b32 exec_lo, exec_lo, s0
	s_and_saveexec_b32 s0, vcc_lo
	s_cbranch_execz .LBB105_78
.LBB105_119:
	ds_load_b32 v19, v1 offset:160
	s_wait_dscnt 0x0
	v_add_f32_e32 v11, v11, v19
	s_or_b32 exec_lo, exec_lo, s0
	s_and_saveexec_b32 s0, vcc_lo
	s_cbranch_execz .LBB105_79
.LBB105_120:
	ds_load_b32 v19, v1 offset:192
	s_wait_dscnt 0x0
	v_add_f32_e32 v8, v8, v19
	s_or_b32 exec_lo, exec_lo, s0
	s_and_saveexec_b32 s0, vcc_lo
	s_cbranch_execz .LBB105_80
.LBB105_121:
	ds_load_b32 v19, v1 offset:224
	s_wait_dscnt 0x0
	v_add_f32_e32 v9, v9, v19
	s_or_b32 exec_lo, exec_lo, s0
	s_and_saveexec_b32 s0, vcc_lo
	s_cbranch_execz .LBB105_81
.LBB105_122:
	ds_load_b32 v19, v1 offset:256
	s_wait_dscnt 0x0
	v_add_f32_e32 v6, v6, v19
	s_or_b32 exec_lo, exec_lo, s0
	s_and_saveexec_b32 s0, vcc_lo
	s_cbranch_execz .LBB105_82
.LBB105_123:
	ds_load_b32 v19, v1 offset:288
	s_wait_dscnt 0x0
	v_add_f32_e32 v7, v7, v19
	s_or_b32 exec_lo, exec_lo, s0
	s_and_saveexec_b32 s0, vcc_lo
	s_cbranch_execz .LBB105_83
.LBB105_124:
	ds_load_b32 v19, v1 offset:320
	s_wait_dscnt 0x0
	v_add_f32_e32 v4, v4, v19
	s_or_b32 exec_lo, exec_lo, s0
	s_and_saveexec_b32 s0, vcc_lo
	s_cbranch_execz .LBB105_84
.LBB105_125:
	ds_load_b32 v19, v1 offset:352
	s_wait_dscnt 0x0
	v_add_f32_e32 v5, v5, v19
	s_or_b32 exec_lo, exec_lo, s0
	s_and_saveexec_b32 s0, vcc_lo
	s_cbranch_execz .LBB105_85
.LBB105_126:
	ds_load_b32 v19, v1 offset:384
	s_wait_dscnt 0x0
	v_add_f32_e32 v2, v2, v19
	s_or_b32 exec_lo, exec_lo, s0
	s_and_saveexec_b32 s0, vcc_lo
	s_cbranch_execz .LBB105_86
.LBB105_127:
	ds_load_b32 v19, v1 offset:416
	s_wait_dscnt 0x0
	v_add_f32_e32 v3, v3, v19
	s_or_b32 exec_lo, exec_lo, s0
	s_and_saveexec_b32 s0, vcc_lo
	s_cbranch_execz .LBB105_87
.LBB105_128:
	ds_load_b32 v19, v1 offset:448
	s_wait_dscnt 0x0
	v_add_f32_e32 v16, v16, v19
	s_or_b32 exec_lo, exec_lo, s0
	s_and_saveexec_b32 s0, vcc_lo
	s_cbranch_execnz .LBB105_88
	s_branch .LBB105_89
.LBB105_129:
	ds_load_b32 v18, v1
	s_wait_dscnt 0x0
	v_add_f32_e32 v14, v14, v18
	s_or_b32 exec_lo, exec_lo, s0
	s_and_saveexec_b32 s0, vcc_lo
	s_cbranch_execz .LBB105_95
.LBB105_130:
	ds_load_b32 v18, v1 offset:32
	s_wait_dscnt 0x0
	v_add_f32_e32 v15, v15, v18
	s_or_b32 exec_lo, exec_lo, s0
	s_and_saveexec_b32 s0, vcc_lo
	s_cbranch_execz .LBB105_96
.LBB105_131:
	ds_load_b32 v18, v1 offset:64
	s_wait_dscnt 0x0
	v_add_f32_e32 v12, v12, v18
	s_or_b32 exec_lo, exec_lo, s0
	s_and_saveexec_b32 s0, vcc_lo
	s_cbranch_execz .LBB105_97
.LBB105_132:
	ds_load_b32 v18, v1 offset:96
	s_wait_dscnt 0x0
	v_add_f32_e32 v13, v13, v18
	s_or_b32 exec_lo, exec_lo, s0
	s_and_saveexec_b32 s0, vcc_lo
	s_cbranch_execz .LBB105_98
.LBB105_133:
	ds_load_b32 v18, v1 offset:128
	s_wait_dscnt 0x0
	v_add_f32_e32 v10, v10, v18
	s_or_b32 exec_lo, exec_lo, s0
	s_and_saveexec_b32 s0, vcc_lo
	s_cbranch_execz .LBB105_99
.LBB105_134:
	ds_load_b32 v18, v1 offset:160
	s_wait_dscnt 0x0
	v_add_f32_e32 v11, v11, v18
	s_or_b32 exec_lo, exec_lo, s0
	s_and_saveexec_b32 s0, vcc_lo
	s_cbranch_execz .LBB105_100
.LBB105_135:
	ds_load_b32 v18, v1 offset:192
	s_wait_dscnt 0x0
	v_add_f32_e32 v8, v8, v18
	s_or_b32 exec_lo, exec_lo, s0
	s_and_saveexec_b32 s0, vcc_lo
	s_cbranch_execz .LBB105_101
.LBB105_136:
	ds_load_b32 v18, v1 offset:224
	s_wait_dscnt 0x0
	v_add_f32_e32 v9, v9, v18
	s_or_b32 exec_lo, exec_lo, s0
	s_and_saveexec_b32 s0, vcc_lo
	s_cbranch_execz .LBB105_102
.LBB105_137:
	ds_load_b32 v18, v1 offset:256
	s_wait_dscnt 0x0
	v_add_f32_e32 v6, v6, v18
	s_or_b32 exec_lo, exec_lo, s0
	s_and_saveexec_b32 s0, vcc_lo
	s_cbranch_execz .LBB105_103
.LBB105_138:
	ds_load_b32 v18, v1 offset:288
	s_wait_dscnt 0x0
	v_add_f32_e32 v7, v7, v18
	s_or_b32 exec_lo, exec_lo, s0
	s_and_saveexec_b32 s0, vcc_lo
	s_cbranch_execz .LBB105_104
.LBB105_139:
	ds_load_b32 v18, v1 offset:320
	s_wait_dscnt 0x0
	v_add_f32_e32 v4, v4, v18
	s_or_b32 exec_lo, exec_lo, s0
	s_and_saveexec_b32 s0, vcc_lo
	s_cbranch_execz .LBB105_105
.LBB105_140:
	ds_load_b32 v18, v1 offset:352
	s_wait_dscnt 0x0
	v_add_f32_e32 v5, v5, v18
	s_or_b32 exec_lo, exec_lo, s0
	s_and_saveexec_b32 s0, vcc_lo
	s_cbranch_execz .LBB105_106
.LBB105_141:
	ds_load_b32 v18, v1 offset:384
	s_wait_dscnt 0x0
	v_add_f32_e32 v2, v2, v18
	s_or_b32 exec_lo, exec_lo, s0
	s_and_saveexec_b32 s0, vcc_lo
	s_cbranch_execz .LBB105_107
.LBB105_142:
	ds_load_b32 v18, v1 offset:416
	s_wait_dscnt 0x0
	v_add_f32_e32 v3, v3, v18
	s_or_b32 exec_lo, exec_lo, s0
	s_and_saveexec_b32 s0, vcc_lo
	s_cbranch_execz .LBB105_108
.LBB105_143:
	ds_load_b32 v18, v1 offset:448
	s_wait_dscnt 0x0
	v_add_f32_e32 v16, v16, v18
	s_or_b32 exec_lo, exec_lo, s0
	s_and_saveexec_b32 s0, vcc_lo
	s_cbranch_execnz .LBB105_109
	s_branch .LBB105_110
	.section	.rodata,"a",@progbits
	.p2align	6, 0x0
	.amdhsa_kernel _ZN4vllm25paged_attention_v1_kernelIttLi128ELi32ELi128ELNS_18Fp8KVCacheDataTypeE0ELb0EEEvPT_PKS2_PKT0_S8_ifPKiSA_iPKfiiiSC_SC_iiiii
		.amdhsa_group_segment_fixed_size 288
		.amdhsa_private_segment_fixed_size 0
		.amdhsa_kernarg_size 384
		.amdhsa_user_sgpr_count 2
		.amdhsa_user_sgpr_dispatch_ptr 0
		.amdhsa_user_sgpr_queue_ptr 0
		.amdhsa_user_sgpr_kernarg_segment_ptr 1
		.amdhsa_user_sgpr_dispatch_id 0
		.amdhsa_user_sgpr_kernarg_preload_length 0
		.amdhsa_user_sgpr_kernarg_preload_offset 0
		.amdhsa_user_sgpr_private_segment_size 0
		.amdhsa_wavefront_size32 1
		.amdhsa_uses_dynamic_stack 0
		.amdhsa_enable_private_segment 0
		.amdhsa_system_sgpr_workgroup_id_x 1
		.amdhsa_system_sgpr_workgroup_id_y 1
		.amdhsa_system_sgpr_workgroup_id_z 1
		.amdhsa_system_sgpr_workgroup_info 0
		.amdhsa_system_vgpr_workitem_id 0
		.amdhsa_next_free_vgpr 126
		.amdhsa_next_free_sgpr 28
		.amdhsa_named_barrier_count 0
		.amdhsa_reserve_vcc 1
		.amdhsa_float_round_mode_32 0
		.amdhsa_float_round_mode_16_64 0
		.amdhsa_float_denorm_mode_32 3
		.amdhsa_float_denorm_mode_16_64 3
		.amdhsa_fp16_overflow 0
		.amdhsa_memory_ordered 1
		.amdhsa_forward_progress 1
		.amdhsa_inst_pref_size 100
		.amdhsa_round_robin_scheduling 0
		.amdhsa_exception_fp_ieee_invalid_op 0
		.amdhsa_exception_fp_denorm_src 0
		.amdhsa_exception_fp_ieee_div_zero 0
		.amdhsa_exception_fp_ieee_overflow 0
		.amdhsa_exception_fp_ieee_underflow 0
		.amdhsa_exception_fp_ieee_inexact 0
		.amdhsa_exception_int_div_zero 0
	.end_amdhsa_kernel
	.section	.text._ZN4vllm25paged_attention_v1_kernelIttLi128ELi32ELi128ELNS_18Fp8KVCacheDataTypeE0ELb0EEEvPT_PKS2_PKT0_S8_ifPKiSA_iPKfiiiSC_SC_iiiii,"axG",@progbits,_ZN4vllm25paged_attention_v1_kernelIttLi128ELi32ELi128ELNS_18Fp8KVCacheDataTypeE0ELb0EEEvPT_PKS2_PKT0_S8_ifPKiSA_iPKfiiiSC_SC_iiiii,comdat
.Lfunc_end105:
	.size	_ZN4vllm25paged_attention_v1_kernelIttLi128ELi32ELi128ELNS_18Fp8KVCacheDataTypeE0ELb0EEEvPT_PKS2_PKT0_S8_ifPKiSA_iPKfiiiSC_SC_iiiii, .Lfunc_end105-_ZN4vllm25paged_attention_v1_kernelIttLi128ELi32ELi128ELNS_18Fp8KVCacheDataTypeE0ELb0EEEvPT_PKS2_PKT0_S8_ifPKiSA_iPKfiiiSC_SC_iiiii
                                        ; -- End function
	.set _ZN4vllm25paged_attention_v1_kernelIttLi128ELi32ELi128ELNS_18Fp8KVCacheDataTypeE0ELb0EEEvPT_PKS2_PKT0_S8_ifPKiSA_iPKfiiiSC_SC_iiiii.num_vgpr, 126
	.set _ZN4vllm25paged_attention_v1_kernelIttLi128ELi32ELi128ELNS_18Fp8KVCacheDataTypeE0ELb0EEEvPT_PKS2_PKT0_S8_ifPKiSA_iPKfiiiSC_SC_iiiii.num_agpr, 0
	.set _ZN4vllm25paged_attention_v1_kernelIttLi128ELi32ELi128ELNS_18Fp8KVCacheDataTypeE0ELb0EEEvPT_PKS2_PKT0_S8_ifPKiSA_iPKfiiiSC_SC_iiiii.numbered_sgpr, 28
	.set _ZN4vllm25paged_attention_v1_kernelIttLi128ELi32ELi128ELNS_18Fp8KVCacheDataTypeE0ELb0EEEvPT_PKS2_PKT0_S8_ifPKiSA_iPKfiiiSC_SC_iiiii.num_named_barrier, 0
	.set _ZN4vllm25paged_attention_v1_kernelIttLi128ELi32ELi128ELNS_18Fp8KVCacheDataTypeE0ELb0EEEvPT_PKS2_PKT0_S8_ifPKiSA_iPKfiiiSC_SC_iiiii.private_seg_size, 0
	.set _ZN4vllm25paged_attention_v1_kernelIttLi128ELi32ELi128ELNS_18Fp8KVCacheDataTypeE0ELb0EEEvPT_PKS2_PKT0_S8_ifPKiSA_iPKfiiiSC_SC_iiiii.uses_vcc, 1
	.set _ZN4vllm25paged_attention_v1_kernelIttLi128ELi32ELi128ELNS_18Fp8KVCacheDataTypeE0ELb0EEEvPT_PKS2_PKT0_S8_ifPKiSA_iPKfiiiSC_SC_iiiii.uses_flat_scratch, 0
	.set _ZN4vllm25paged_attention_v1_kernelIttLi128ELi32ELi128ELNS_18Fp8KVCacheDataTypeE0ELb0EEEvPT_PKS2_PKT0_S8_ifPKiSA_iPKfiiiSC_SC_iiiii.has_dyn_sized_stack, 0
	.set _ZN4vllm25paged_attention_v1_kernelIttLi128ELi32ELi128ELNS_18Fp8KVCacheDataTypeE0ELb0EEEvPT_PKS2_PKT0_S8_ifPKiSA_iPKfiiiSC_SC_iiiii.has_recursion, 0
	.set _ZN4vllm25paged_attention_v1_kernelIttLi128ELi32ELi128ELNS_18Fp8KVCacheDataTypeE0ELb0EEEvPT_PKS2_PKT0_S8_ifPKiSA_iPKfiiiSC_SC_iiiii.has_indirect_call, 0
	.section	.AMDGPU.csdata,"",@progbits
; Kernel info:
; codeLenInByte = 12796
; TotalNumSgprs: 30
; NumVgprs: 126
; ScratchSize: 0
; MemoryBound: 0
; FloatMode: 240
; IeeeMode: 1
; LDSByteSize: 288 bytes/workgroup (compile time only)
; SGPRBlocks: 0
; VGPRBlocks: 7
; NumSGPRsForWavesPerEU: 30
; NumVGPRsForWavesPerEU: 126
; NamedBarCnt: 0
; Occupancy: 8
; WaveLimiterHint : 1
; COMPUTE_PGM_RSRC2:SCRATCH_EN: 0
; COMPUTE_PGM_RSRC2:USER_SGPR: 2
; COMPUTE_PGM_RSRC2:TRAP_HANDLER: 0
; COMPUTE_PGM_RSRC2:TGID_X_EN: 1
; COMPUTE_PGM_RSRC2:TGID_Y_EN: 1
; COMPUTE_PGM_RSRC2:TGID_Z_EN: 1
; COMPUTE_PGM_RSRC2:TIDIG_COMP_CNT: 0
	.section	.text._ZN4vllm25paged_attention_v1_kernelIttLi192ELi32ELi128ELNS_18Fp8KVCacheDataTypeE0ELb0EEEvPT_PKS2_PKT0_S8_ifPKiSA_iPKfiiiSC_SC_iiiii,"axG",@progbits,_ZN4vllm25paged_attention_v1_kernelIttLi192ELi32ELi128ELNS_18Fp8KVCacheDataTypeE0ELb0EEEvPT_PKS2_PKT0_S8_ifPKiSA_iPKfiiiSC_SC_iiiii,comdat
	.protected	_ZN4vllm25paged_attention_v1_kernelIttLi192ELi32ELi128ELNS_18Fp8KVCacheDataTypeE0ELb0EEEvPT_PKS2_PKT0_S8_ifPKiSA_iPKfiiiSC_SC_iiiii ; -- Begin function _ZN4vllm25paged_attention_v1_kernelIttLi192ELi32ELi128ELNS_18Fp8KVCacheDataTypeE0ELb0EEEvPT_PKS2_PKT0_S8_ifPKiSA_iPKfiiiSC_SC_iiiii
	.globl	_ZN4vllm25paged_attention_v1_kernelIttLi192ELi32ELi128ELNS_18Fp8KVCacheDataTypeE0ELb0EEEvPT_PKS2_PKT0_S8_ifPKiSA_iPKfiiiSC_SC_iiiii
	.p2align	8
	.type	_ZN4vllm25paged_attention_v1_kernelIttLi192ELi32ELi128ELNS_18Fp8KVCacheDataTypeE0ELb0EEEvPT_PKS2_PKT0_S8_ifPKiSA_iPKfiiiSC_SC_iiiii,@function
_ZN4vllm25paged_attention_v1_kernelIttLi192ELi32ELi128ELNS_18Fp8KVCacheDataTypeE0ELb0EEEvPT_PKS2_PKT0_S8_ifPKiSA_iPKfiiiSC_SC_iiiii: ; @_ZN4vllm25paged_attention_v1_kernelIttLi192ELi32ELi128ELNS_18Fp8KVCacheDataTypeE0ELb0EEEvPT_PKS2_PKT0_S8_ifPKiSA_iPKfiiiSC_SC_iiiii
; %bb.0:
	s_load_b64 s[14:15], s[0:1], 0x20
	s_bfe_u32 s3, ttmp6, 0x4000c
	s_bfe_u32 s5, ttmp6, 0x40010
	s_and_b32 s4, ttmp7, 0xffff
	s_add_co_i32 s3, s3, 1
	s_add_co_i32 s5, s5, 1
	s_and_b32 s2, ttmp6, 15
	s_bfe_u32 s6, ttmp6, 0x40004
	s_mul_i32 s3, ttmp9, s3
	s_mul_i32 s5, s4, s5
	s_getreg_b32 s18, hwreg(HW_REG_IB_STS2, 6, 4)
	s_add_co_i32 s2, s2, s3
	s_add_co_i32 s6, s6, s5
	s_cmp_eq_u32 s18, 0
	v_mov_b32_e32 v99, v0
	s_cselect_b32 s20, s4, s6
	s_cselect_b32 s8, ttmp9, s2
	s_clause 0x1
	s_load_b32 s19, s[0:1], 0x80
	s_load_b64 s[10:11], s[0:1], 0x30
	s_wait_kmcnt 0x0
	s_abs_i32 s2, s14
	s_delay_alu instid0(SALU_CYCLE_1) | instskip(SKIP_1) | instid1(SALU_CYCLE_2)
	s_cvt_f32_u32 s3, s2
	s_sub_co_i32 s4, 0, s2
	v_rcp_iflag_f32_e32 v0, s3
	v_nop
	s_delay_alu instid0(TRANS32_DEP_1) | instskip(SKIP_2) | instid1(SALU_CYCLE_3)
	v_readfirstlane_b32 s3, v0
	s_abs_i32 s5, s19
	s_mul_f32 s3, s3, 0x4f7ffffe
	s_cvt_u32_f32 s3, s3
	s_delay_alu instid0(SALU_CYCLE_3) | instskip(NEXT) | instid1(SALU_CYCLE_1)
	s_mul_i32 s4, s4, s3
	s_mul_hi_u32 s4, s3, s4
	s_delay_alu instid0(SALU_CYCLE_1) | instskip(SKIP_4) | instid1(SALU_CYCLE_1)
	s_add_co_i32 s3, s3, s4
	s_xor_b32 s4, s19, s14
	s_mul_hi_u32 s3, s5, s3
	s_ashr_i32 s4, s4, 31
	s_mul_i32 s6, s3, s2
	s_sub_co_i32 s5, s5, s6
	s_add_co_i32 s6, s3, 1
	s_sub_co_i32 s7, s5, s2
	s_cmp_ge_u32 s5, s2
	s_cselect_b32 s3, s6, s3
	s_cselect_b32 s5, s7, s5
	s_add_co_i32 s6, s3, 1
	s_cmp_ge_u32 s5, s2
	s_cselect_b32 s2, s6, s3
	s_mov_b32 s3, 0
	s_xor_b32 s2, s2, s4
	s_mov_b32 s13, s3
	s_sub_co_i32 s16, s2, s4
	s_load_b64 s[4:5], s[0:1], 0x40
	s_abs_i32 s7, s16
	s_mov_b32 s14, s3
	s_cvt_f32_u32 s2, s7
	s_delay_alu instid0(SALU_CYCLE_3) | instskip(SKIP_1) | instid1(TRANS32_DEP_1)
	v_rcp_iflag_f32_e32 v0, s2
	v_nop
	v_readfirstlane_b32 s2, v0
	s_mul_f32 s2, s2, 0x4f7ffffe
	s_delay_alu instid0(SALU_CYCLE_3) | instskip(SKIP_1) | instid1(SALU_CYCLE_2)
	s_cvt_u32_f32 s6, s2
	s_sub_co_i32 s2, 0, s7
	s_mul_i32 s2, s2, s6
	s_delay_alu instid0(SALU_CYCLE_1)
	s_mul_hi_u32 s9, s6, s2
	s_abs_i32 s2, s8
	s_add_co_i32 s12, s6, s9
	s_wait_kmcnt 0x0
	s_cmp_eq_u64 s[4:5], 0
	s_cbranch_scc1 .LBB106_2
; %bb.1:
	s_ashr_i32 s9, s8, 31
	s_delay_alu instid0(SALU_CYCLE_1) | instskip(NEXT) | instid1(SALU_CYCLE_1)
	s_lshl_b64 s[22:23], s[8:9], 2
	s_add_nc_u64 s[4:5], s[4:5], s[22:23]
	s_load_b32 s14, s[4:5], 0x0
.LBB106_2:
	s_load_b32 s21, s[10:11], s20 offset:0x0 scale_offset
	s_wait_xcnt 0x0
	s_load_b96 s[4:6], s[0:1], 0x48
	v_lshlrev_b32_e32 v30, 4, v99
	s_ashr_i32 s10, s8, 31
	s_ashr_i32 s11, s16, 31
	s_mul_u64 s[12:13], s[2:3], s[12:13]
	s_mulk_i32 s8, 0xc0
	s_mov_b32 s3, exec_lo
	v_cmpx_gt_u32_e32 24, v99
	s_cbranch_execz .LBB106_4
; %bb.3:
	s_load_b64 s[16:17], s[0:1], 0x8
	s_wait_kmcnt 0x0
	s_mul_i32 s22, s4, s20
	s_ashr_i32 s9, s8, 31
	s_ashr_i32 s23, s22, 31
	s_delay_alu instid0(SALU_CYCLE_1) | instskip(NEXT) | instid1(SALU_CYCLE_1)
	s_lshl_b64 s[22:23], s[22:23], 1
	s_add_nc_u64 s[16:17], s[16:17], s[22:23]
	s_lshl_b64 s[22:23], s[8:9], 1
	s_delay_alu instid0(SALU_CYCLE_1)
	s_add_nc_u64 s[16:17], s[16:17], s[22:23]
	global_load_b128 v[0:3], v99, s[16:17] scale_offset
	s_wait_loadcnt 0x0
	ds_store_b128 v30, v[0:3]
.LBB106_4:
	s_or_b32 exec_lo, exec_lo, s3
	s_wait_kmcnt 0x0
	s_add_co_i32 s3, s21, 31
	s_load_b32 s4, s[0:1], 0x38
	s_ashr_i32 s9, s3, 31
	s_xor_b32 s12, s10, s11
	s_lshr_b32 s9, s9, 27
	s_mul_i32 s10, s13, s7
	s_add_co_i32 s3, s3, s9
	s_sub_co_i32 s2, s2, s10
	s_clause 0x1
	s_load_b64 s[10:11], s[0:1], 0x28
	s_load_b32 s9, s[0:1], 0x88
	s_ashr_i32 s22, s3, 5
	s_add_co_i32 s3, s13, 1
	s_sub_co_i32 s16, s2, s7
	s_cmp_ge_u32 s2, s7
	v_dual_lshrrev_b32 v100, 5, v99 :: v_dual_bitop2_b32 v101, 31, v99 bitop3:0x40
	s_cselect_b32 s3, s3, s13
	s_cselect_b32 s2, s16, s2
	s_add_co_i32 s13, s3, 1
	s_cmp_ge_u32 s2, s7
	v_mov_b32_e32 v4, 0xff7fffff
	s_cselect_b32 s2, s13, s3
	v_dual_lshlrev_b32 v10, 2, v101 :: v_dual_lshrrev_b32 v32, 3, v99
	s_xor_b32 s2, s2, s12
	s_wait_dscnt 0x0
	s_sub_co_i32 s3, s2, s12
	v_cmp_gt_i32_e64 s2, s22, v100
	s_wait_kmcnt 0x0
	s_mul_i32 s12, s4, s20
	s_mul_i32 s6, s3, s6
	s_ashr_i32 s13, s12, 31
	s_barrier_signal -1
	s_barrier_wait -1
	s_and_saveexec_b32 s23, s2
	s_cbranch_execz .LBB106_8
; %bb.5:
	s_load_b64 s[24:25], s[0:1], 0x10
	s_ashr_i32 s7, s6, 31
	s_clause 0x1
	scratch_store_b32 off, v30, off offset:40
	scratch_store_b32 off, v99, off offset:28
	s_wait_xcnt 0x0
	v_dual_mov_b32 v99, 0 :: v_dual_lshlrev_b32 v98, 4, v101
	s_ashr_i32 s17, s5, 31
	s_lshl_b64 s[26:27], s[6:7], 1
	s_cmp_neq_f32 s14, 0
	v_lshl_or_b32 v0, v100, 7, v10
	v_lshl_or_b32 v126, v100, 5, v101
	v_mov_b32_e32 v4, 0xff7fffff
	s_cselect_b32 vcc_lo, -1, 0
	s_mov_b32 s16, s5
	v_add_nc_u32_e32 v0, 0x1a0, v0
	s_mov_b32 s7, 0
	scratch_store_b32 off, v10, off offset:48 ; 4-byte Folded Spill
	s_wait_kmcnt 0x0
	s_add_nc_u64 s[24:25], s[24:25], s[26:27]
	s_delay_alu instid0(SALU_CYCLE_1)
	v_add_nc_u64_e32 v[2:3], s[24:25], v[98:99]
	v_and_b32_e32 v98, 0x7c, v32
	s_lshl_b64 s[24:25], s[12:13], 2
	s_clause 0x1
	scratch_store_b64 off, v[2:3], off offset:20
	scratch_store_b32 off, v32, off offset:44
	s_add_nc_u64 s[24:25], s[10:11], s[24:25]
	s_clause 0x1
	scratch_store_b32 off, v101, off offset:36
	scratch_store_b32 off, v100, off offset:32
	v_add_nc_u64_e32 v[6:7], s[24:25], v[98:99]
	s_sub_co_i32 s24, 1, s21
.LBB106_6:                              ; =>This Inner Loop Header: Depth=1
	s_clause 0x3
	scratch_store_b32 off, v100, off offset:16
	scratch_store_b64 off, v[6:7], off offset:8
	scratch_store_b32 off, v0, off
	scratch_store_b32 off, v4, off offset:4
	global_load_b32 v4, v[6:7], off
	ds_load_b128 v[0:3], v99
	v_cmp_gt_i32_e64 s3, s21, v126
	s_wait_dscnt 0x0
	v_dual_lshrrev_b32 v103, 16, v2 :: v_dual_lshrrev_b32 v106, 16, v3
	v_and_b32_e32 v104, 0xffff, v2
	v_and_b32_e32 v105, 0xffff, v3
	scratch_load_b64 v[2:3], off, off offset:20 ; 8-byte Folded Reload
	v_dual_lshrrev_b32 v98, 16, v0 :: v_dual_lshrrev_b32 v101, 16, v1
	v_and_b32_e32 v100, 0xffff, v0
	v_and_b32_e32 v102, 0xffff, v1
	s_wait_loadcnt 0x1
	v_ashrrev_i32_e32 v5, 31, v4
	s_delay_alu instid0(VALU_DEP_1) | instskip(SKIP_1) | instid1(VALU_DEP_1)
	v_mul_u64_e32 v[0:1], s[16:17], v[4:5]
	s_wait_loadcnt 0x0
	v_lshl_add_u64 v[0:1], v[0:1], 1, v[2:3]
	s_clause 0x17
	global_load_b128 v[82:85], v[0:1], off
	global_load_b128 v[94:97], v[0:1], off offset:512
	global_load_b128 v[90:93], v[0:1], off offset:1024
	;; [unrolled: 1-line block ×23, first 2 shown]
	;;#ASMSTART
	v_cvt_f32_f16 v116, v100;
	;;#ASMEND
	;;#ASMSTART
	v_cvt_f32_f16 v117, v98;
	;;#ASMEND
	s_wait_loadcnt 0x17
	s_wait_xcnt 0x0
	v_lshrrev_b32_e32 v0, 16, v82
	v_and_b32_e32 v1, 0xffff, v82
	v_dual_lshrrev_b32 v82, 16, v83 :: v_dual_lshrrev_b32 v98, 16, v84
	v_and_b32_e32 v83, 0xffff, v83
	v_and_b32_e32 v84, 0xffff, v84
	v_lshrrev_b32_e32 v100, 16, v85
	v_and_b32_e32 v85, 0xffff, v85
	;;#ASMSTART
	v_cvt_f32_f16 v118, v1;
	;;#ASMEND
	;;#ASMSTART
	v_cvt_f32_f16 v119, v0;
	;;#ASMEND
	;; [unrolled: 3-line block ×14, first 2 shown]
	ds_load_b128 v[82:85], v99 offset:16
	s_wait_loadcnt 0x16
	v_lshrrev_b32_e32 v98, 16, v95
	s_wait_loadcnt 0x15
	v_and_b32_e32 v102, 0xffff, v91
	v_lshrrev_b32_e32 v103, 16, v91
	s_wait_loadcnt 0x13
	v_and_b32_e32 v127, 0xffff, v78
	v_and_b32_e32 v124, 0xffff, v80
	v_lshrrev_b32_e32 v125, 16, v80
	s_wait_loadcnt 0x12
	v_and_b32_e32 v122, 0xffff, v74
	v_lshrrev_b32_e32 v123, 16, v74
	s_wait_dscnt 0x0
	v_and_b32_e32 v0, 0xffff, v82
	v_lshrrev_b32_e32 v1, 16, v82
	;;#ASMSTART
	v_cvt_f32_f16 v0, v0;
	;;#ASMEND
	;;#ASMSTART
	v_cvt_f32_f16 v1, v1;
	;;#ASMEND
	v_and_b32_e32 v82, 0xffff, v94
	v_lshrrev_b32_e32 v94, 16, v94
	;;#ASMSTART
	v_cvt_f32_f16 v100, v82;
	;;#ASMEND
	;;#ASMSTART
	v_cvt_f32_f16 v101, v94;
	;;#ASMEND
	v_pk_mul_f32 v[120:121], v[0:1], v[100:101]
	v_and_b32_e32 v82, 0xffff, v83
	v_and_b32_e32 v94, 0xffff, v95
	v_lshrrev_b32_e32 v95, 16, v83
	;;#ASMSTART
	v_cvt_f32_f16 v83, v82;
	;;#ASMEND
	v_pk_fma_f32 v[116:117], v[116:117], v[118:119], v[120:121]
	v_lshrrev_b32_e32 v119, 16, v90
	;;#ASMSTART
	v_cvt_f32_f16 v82, v95;
	;;#ASMEND
	;;#ASMSTART
	v_cvt_f32_f16 v95, v94;
	;;#ASMEND
	;; [unrolled: 3-line block ×3, first 2 shown]
	v_pk_mul_f32 v[82:83], v[82:83], v[94:95]
	v_and_b32_e32 v118, 0xffff, v90
	v_and_b32_e32 v90, 0xffff, v84
	;; [unrolled: 1-line block ×3, first 2 shown]
	v_dual_lshrrev_b32 v101, 16, v96 :: v_dual_lshrrev_b32 v0, 16, v97
	v_and_b32_e32 v1, 0xffff, v97
	v_pk_fma_f32 v[82:83], v[112:113], v[114:115], v[82:83]
	v_and_b32_e32 v114, 0xffff, v92
	v_dual_lshrrev_b32 v115, 16, v92 :: v_dual_lshrrev_b32 v94, 16, v93
	v_lshrrev_b32_e32 v84, 16, v84
	v_and_b32_e32 v96, 0xffff, v93
	;;#ASMSTART
	v_cvt_f32_f16 v91, v90;
	;;#ASMEND
	;;#ASMSTART
	v_cvt_f32_f16 v90, v84;
	;;#ASMEND
	;; [unrolled: 3-line block ×4, first 2 shown]
	v_lshrrev_b32_e32 v98, 16, v78
	v_and_b32_e32 v78, 0xffff, v85
	v_pk_mul_f32 v[90:91], v[90:91], v[92:93]
	v_and_b32_e32 v92, 0xffff, v88
	v_dual_lshrrev_b32 v93, 16, v88 :: v_dual_lshrrev_b32 v95, 16, v89
	v_and_b32_e32 v97, 0xffff, v89
	v_and_b32_e32 v88, 0xffff, v79
	v_dual_lshrrev_b32 v89, 16, v79 :: v_dual_lshrrev_b32 v80, 16, v85
	;;#ASMSTART
	v_cvt_f32_f16 v79, v78;
	;;#ASMEND
	;;#ASMSTART
	v_cvt_f32_f16 v78, v80;
	;;#ASMEND
	;; [unrolled: 3-line block ×4, first 2 shown]
	v_lshrrev_b32_e32 v100, 16, v81
	v_and_b32_e32 v101, 0xffff, v81
	v_pk_mul_f32 v[0:1], v[78:79], v[0:1]
	ds_load_b128 v[78:81], v99 offset:32
	v_and_b32_e32 v112, 0xffff, v86
	v_lshrrev_b32_e32 v113, 16, v86
	v_pk_fma_f32 v[90:91], v[108:109], v[110:111], v[90:91]
	v_and_b32_e32 v108, 0xffff, v87
	v_lshrrev_b32_e32 v109, 16, v87
	v_pk_fma_f32 v[86:87], v[104:105], v[106:107], v[0:1]
	s_wait_loadcnt 0x11
	v_and_b32_e32 v120, 0xffff, v70
	v_dual_lshrrev_b32 v121, 16, v70 :: v_dual_lshrrev_b32 v104, 16, v73
	v_and_b32_e32 v105, 0xffff, v73
	s_wait_loadcnt 0x10
	v_dual_lshrrev_b32 v111, 16, v67 :: v_dual_lshrrev_b32 v107, 16, v68
	v_and_b32_e32 v106, 0xffff, v68
	v_and_b32_e32 v110, 0xffff, v67
	s_wait_dscnt 0x0
	v_and_b32_e32 v0, 0xffff, v78
	v_lshrrev_b32_e32 v1, 16, v78
	;;#ASMSTART
	v_cvt_f32_f16 v0, v0;
	;;#ASMEND
	;;#ASMSTART
	v_cvt_f32_f16 v1, v1;
	;;#ASMEND
	;; [unrolled: 3-line block ×4, first 2 shown]
	v_pk_fma_f32 v[84:85], v[0:1], v[84:85], v[116:117]
	v_and_b32_e32 v0, 0xffff, v79
	v_lshrrev_b32_e32 v78, 16, v79
	;;#ASMSTART
	v_cvt_f32_f16 v1, v0;
	;;#ASMEND
	;;#ASMSTART
	v_cvt_f32_f16 v0, v78;
	;;#ASMEND
	;; [unrolled: 3-line block ×4, first 2 shown]
	v_pk_fma_f32 v[78:79], v[0:1], v[78:79], v[82:83]
	v_dual_lshrrev_b32 v103, 16, v75 :: v_dual_lshrrev_b32 v1, 16, v76
	v_and_b32_e32 v0, 0xffff, v76
	v_dual_lshrrev_b32 v118, 16, v77 :: v_dual_lshrrev_b32 v76, 16, v80
	v_and_b32_e32 v74, 0xffff, v80
	v_and_b32_e32 v102, 0xffff, v75
	;; [unrolled: 1-line block ×3, first 2 shown]
	;;#ASMSTART
	v_cvt_f32_f16 v75, v74;
	;;#ASMEND
	;;#ASMSTART
	v_cvt_f32_f16 v74, v76;
	;;#ASMEND
	;; [unrolled: 3-line block ×4, first 2 shown]
	v_and_b32_e32 v114, 0xffff, v72
	v_lshrrev_b32_e32 v115, 16, v72
	v_and_b32_e32 v70, 0xffff, v81
	v_lshrrev_b32_e32 v72, 16, v81
	v_and_b32_e32 v116, 0xffff, v71
	v_lshrrev_b32_e32 v117, 16, v71
	;;#ASMSTART
	v_cvt_f32_f16 v71, v70;
	;;#ASMEND
	;;#ASMSTART
	v_cvt_f32_f16 v70, v72;
	;;#ASMEND
	;; [unrolled: 3-line block ×4, first 2 shown]
	v_pk_fma_f32 v[80:81], v[70:71], v[72:73], v[86:87]
	ds_load_b128 v[70:73], v99 offset:48
	v_pk_fma_f32 v[76:77], v[74:75], v[76:77], v[90:91]
	v_lshrrev_b32_e32 v94, 16, v69
	s_wait_loadcnt 0xf
	v_and_b32_e32 v90, 0xffff, v64
	v_lshrrev_b32_e32 v91, 16, v64
	v_and_b32_e32 v96, 0xffff, v69
	s_wait_loadcnt 0xd
	v_and_b32_e32 v86, 0xffff, v54
	v_lshrrev_b32_e32 v87, 16, v54
	s_wait_dscnt 0x0
	v_and_b32_e32 v74, 0xffff, v70
	v_lshrrev_b32_e32 v70, 16, v70
	;;#ASMSTART
	v_cvt_f32_f16 v74, v74;
	;;#ASMEND
	;;#ASMSTART
	v_cvt_f32_f16 v75, v70;
	;;#ASMEND
	;; [unrolled: 3-line block ×4, first 2 shown]
	v_pk_fma_f32 v[74:75], v[74:75], v[82:83], v[84:85]
	v_and_b32_e32 v70, 0xffff, v71
	v_dual_lshrrev_b32 v82, 16, v71 :: v_dual_lshrrev_b32 v113, 16, v66
	v_and_b32_e32 v112, 0xffff, v66
	;;#ASMSTART
	v_cvt_f32_f16 v71, v70;
	;;#ASMEND
	;;#ASMSTART
	v_cvt_f32_f16 v70, v82;
	;;#ASMEND
	;; [unrolled: 3-line block ×4, first 2 shown]
	v_and_b32_e32 v66, 0xffff, v72
	v_lshrrev_b32_e32 v68, 16, v72
	v_and_b32_e32 v108, 0xffff, v62
	v_lshrrev_b32_e32 v109, 16, v62
	;; [unrolled: 2-line block ×3, first 2 shown]
	v_pk_fma_f32 v[70:71], v[70:71], v[82:83], v[78:79]
	;;#ASMSTART
	v_cvt_f32_f16 v67, v66;
	;;#ASMEND
	;;#ASMSTART
	v_cvt_f32_f16 v66, v68;
	;;#ASMEND
	;; [unrolled: 3-line block ×4, first 2 shown]
	v_and_b32_e32 v92, 0xffff, v63
	v_dual_lshrrev_b32 v93, 16, v63 :: v_dual_lshrrev_b32 v82, 16, v65
	v_and_b32_e32 v83, 0xffff, v65
	;;#ASMSTART
	v_cvt_f32_f16 v63, v62;
	;;#ASMEND
	;;#ASMSTART
	v_cvt_f32_f16 v62, v64;
	;;#ASMEND
	;; [unrolled: 3-line block ×4, first 2 shown]
	v_pk_fma_f32 v[72:73], v[62:63], v[64:65], v[80:81]
	ds_load_b128 v[62:65], v99 offset:64
	v_pk_fma_f32 v[68:69], v[66:67], v[68:69], v[76:77]
	v_lshrrev_b32_e32 v97, 16, v58
	v_and_b32_e32 v95, 0xffff, v58
	v_and_b32_e32 v84, 0xffff, v60
	v_dual_lshrrev_b32 v85, 16, v60 :: v_dual_lshrrev_b32 v78, 16, v61
	v_and_b32_e32 v80, 0xffff, v61
	s_wait_loadcnt 0xc
	v_and_b32_e32 v79, 0xffff, v50
	v_lshrrev_b32_e32 v81, 16, v50
	s_wait_dscnt 0x0
	v_and_b32_e32 v66, 0xffff, v62
	v_lshrrev_b32_e32 v62, 16, v62
	;;#ASMSTART
	v_cvt_f32_f16 v66, v66;
	;;#ASMEND
	;;#ASMSTART
	v_cvt_f32_f16 v67, v62;
	;;#ASMEND
	;; [unrolled: 3-line block ×4, first 2 shown]
	v_pk_fma_f32 v[66:67], v[66:67], v[76:77], v[74:75]
	v_and_b32_e32 v62, 0xffff, v63
	v_lshrrev_b32_e32 v74, 16, v63
	;;#ASMSTART
	v_cvt_f32_f16 v63, v62;
	;;#ASMEND
	;;#ASMSTART
	v_cvt_f32_f16 v62, v74;
	;;#ASMEND
	;; [unrolled: 3-line block ×4, first 2 shown]
	v_pk_fma_f32 v[62:63], v[62:63], v[74:75], v[70:71]
	v_lshrrev_b32_e32 v89, 16, v59
	v_and_b32_e32 v58, 0xffff, v64
	v_lshrrev_b32_e32 v60, 16, v64
	v_and_b32_e32 v74, 0xffff, v56
	v_dual_lshrrev_b32 v75, 16, v56 :: v_dual_lshrrev_b32 v64, 16, v57
	v_and_b32_e32 v54, 0xffff, v65
	v_lshrrev_b32_e32 v56, 16, v65
	v_and_b32_e32 v88, 0xffff, v59
	;;#ASMSTART
	v_cvt_f32_f16 v59, v58;
	;;#ASMEND
	;;#ASMSTART
	v_cvt_f32_f16 v58, v60;
	;;#ASMEND
	;; [unrolled: 3-line block ×4, first 2 shown]
	v_and_b32_e32 v76, 0xffff, v55
	v_lshrrev_b32_e32 v77, 16, v55
	v_and_b32_e32 v70, 0xffff, v57
	;;#ASMSTART
	v_cvt_f32_f16 v55, v54;
	;;#ASMEND
	;;#ASMSTART
	v_cvt_f32_f16 v54, v56;
	;;#ASMEND
	;; [unrolled: 3-line block ×4, first 2 shown]
	v_pk_fma_f32 v[68:69], v[58:59], v[60:61], v[68:69]
	v_pk_fma_f32 v[60:61], v[54:55], v[56:57], v[72:73]
	ds_load_b128 v[54:57], v99 offset:80
	v_and_b32_e32 v71, 0xffff, v53
	s_wait_loadcnt 0xb
	v_lshrrev_b32_e32 v125, 16, v48
	v_and_b32_e32 v124, 0xffff, v49
	s_wait_loadcnt 0x5
	v_lshrrev_b32_e32 v127, 16, v22
	s_wait_dscnt 0x0
	v_and_b32_e32 v58, 0xffff, v54
	v_lshrrev_b32_e32 v54, 16, v54
	;;#ASMSTART
	v_cvt_f32_f16 v58, v58;
	;;#ASMEND
	;;#ASMSTART
	v_cvt_f32_f16 v59, v54;
	;;#ASMEND
	v_and_b32_e32 v54, 0xffff, v55
	;;#ASMSTART
	v_cvt_f32_f16 v72, v122;
	;;#ASMEND
	;;#ASMSTART
	v_cvt_f32_f16 v73, v123;
	;;#ASMEND
	v_pk_fma_f32 v[58:59], v[58:59], v[72:73], v[66:67]
	v_lshrrev_b32_e32 v65, 16, v55
	;;#ASMSTART
	v_cvt_f32_f16 v55, v54;
	;;#ASMEND
	;;#ASMSTART
	v_cvt_f32_f16 v54, v65;
	;;#ASMEND
	;; [unrolled: 3-line block ×4, first 2 shown]
	v_and_b32_e32 v50, 0xffff, v56
	v_pk_fma_f32 v[54:55], v[54:55], v[66:67], v[62:63]
	v_and_b32_e32 v72, 0xffff, v51
	v_dual_lshrrev_b32 v73, 16, v51 :: v_dual_lshrrev_b32 v66, 16, v52
	v_and_b32_e32 v65, 0xffff, v52
	v_dual_lshrrev_b32 v67, 16, v53 :: v_dual_lshrrev_b32 v52, 16, v56
	;;#ASMSTART
	v_cvt_f32_f16 v51, v50;
	;;#ASMEND
	;;#ASMSTART
	v_cvt_f32_f16 v50, v52;
	;;#ASMEND
	v_and_b32_e32 v62, 0xffff, v46
	v_dual_lshrrev_b32 v63, 16, v46 :: v_dual_lshrrev_b32 v46, 16, v57
	;;#ASMSTART
	v_cvt_f32_f16 v53, v0;
	;;#ASMEND
	;;#ASMSTART
	v_cvt_f32_f16 v52, v1;
	;;#ASMEND
	v_pk_fma_f32 v[50:51], v[50:51], v[52:53], v[68:69]
	v_and_b32_e32 v68, 0xffff, v47
	v_lshrrev_b32_e32 v69, 16, v47
	v_and_b32_e32 v1, 0xffff, v48
	v_lshrrev_b32_e32 v123, 16, v49
	v_and_b32_e32 v0, 0xffff, v57
	;;#ASMSTART
	v_cvt_f32_f16 v47, v0;
	;;#ASMEND
	;;#ASMSTART
	v_cvt_f32_f16 v46, v46;
	;;#ASMEND
	;; [unrolled: 3-line block ×4, first 2 shown]
	v_pk_fma_f32 v[56:57], v[46:47], v[48:49], v[60:61]
	ds_load_b128 v[46:49], v99 offset:96
	v_and_b32_e32 v118, 0xffff, v40
	v_lshrrev_b32_e32 v119, 16, v40
	v_and_b32_e32 v102, 0xffff, v22
	s_wait_loadcnt 0x4
	v_and_b32_e32 v103, 0xffff, v20
	v_and_b32_e32 v122, 0xffff, v19
	s_wait_dscnt 0x0
	v_and_b32_e32 v0, 0xffff, v46
	v_lshrrev_b32_e32 v46, 16, v46
	;;#ASMSTART
	v_cvt_f32_f16 v52, v0;
	;;#ASMEND
	;;#ASMSTART
	v_cvt_f32_f16 v53, v46;
	;;#ASMEND
	;; [unrolled: 3-line block ×4, first 2 shown]
	v_lshrrev_b32_e32 v46, 16, v47
	v_pk_fma_f32 v[52:53], v[52:53], v[60:61], v[58:59]
	v_and_b32_e32 v58, 0xffff, v42
	v_and_b32_e32 v0, 0xffff, v47
	;;#ASMSTART
	v_cvt_f32_f16 v47, v0;
	;;#ASMEND
	;;#ASMSTART
	v_cvt_f32_f16 v46, v46;
	;;#ASMEND
	;; [unrolled: 3-line block ×3, first 2 shown]
	v_dual_lshrrev_b32 v59, 16, v42 :: v_dual_lshrrev_b32 v116, 16, v45
	v_lshrrev_b32_e32 v42, 16, v48
	;;#ASMSTART
	v_cvt_f32_f16 v60, v117;
	;;#ASMEND
	v_pk_fma_f32 v[46:47], v[46:47], v[60:61], v[54:55]
	v_and_b32_e32 v54, 0xffff, v43
	v_lshrrev_b32_e32 v55, 16, v43
	v_and_b32_e32 v0, 0xffff, v48
	;;#ASMSTART
	v_cvt_f32_f16 v43, v0;
	;;#ASMEND
	;;#ASMSTART
	v_cvt_f32_f16 v42, v42;
	;;#ASMEND
	v_and_b32_e32 v60, 0xffff, v44
	v_lshrrev_b32_e32 v61, 16, v44
	v_and_b32_e32 v117, 0xffff, v45
	;;#ASMSTART
	v_cvt_f32_f16 v45, v114;
	;;#ASMEND
	;;#ASMSTART
	v_cvt_f32_f16 v44, v115;
	;;#ASMEND
	v_pk_fma_f32 v[42:43], v[42:43], v[44:45], v[50:51]
	v_and_b32_e32 v50, 0xffff, v38
	v_dual_lshrrev_b32 v51, 16, v38 :: v_dual_lshrrev_b32 v115, 16, v39
	v_lshrrev_b32_e32 v38, 16, v49
	v_and_b32_e32 v114, 0xffff, v39
	v_lshrrev_b32_e32 v120, 16, v41
	v_and_b32_e32 v121, 0xffff, v41
	v_and_b32_e32 v0, 0xffff, v49
	;;#ASMSTART
	v_cvt_f32_f16 v39, v0;
	;;#ASMEND
	;;#ASMSTART
	v_cvt_f32_f16 v38, v38;
	;;#ASMEND
	;; [unrolled: 3-line block ×4, first 2 shown]
	v_pk_fma_f32 v[48:49], v[38:39], v[40:41], v[56:57]
	ds_load_b128 v[38:41], v99 offset:112
	v_and_b32_e32 v105, 0xffff, v36
	v_and_b32_e32 v104, 0xffff, v37
	s_wait_dscnt 0x0
	v_and_b32_e32 v0, 0xffff, v38
	v_lshrrev_b32_e32 v38, 16, v38
	;;#ASMSTART
	v_cvt_f32_f16 v44, v0;
	;;#ASMEND
	;;#ASMSTART
	v_cvt_f32_f16 v45, v38;
	;;#ASMEND
	;; [unrolled: 3-line block ×4, first 2 shown]
	v_lshrrev_b32_e32 v38, 16, v39
	v_pk_fma_f32 v[44:45], v[44:45], v[56:57], v[52:53]
	v_and_b32_e32 v0, 0xffff, v39
	;;#ASMSTART
	v_cvt_f32_f16 v39, v0;
	;;#ASMEND
	;;#ASMSTART
	v_cvt_f32_f16 v38, v38;
	;;#ASMEND
	;; [unrolled: 3-line block ×4, first 2 shown]
	v_and_b32_e32 v52, 0xffff, v34
	v_lshrrev_b32_e32 v53, 16, v34
	v_pk_fma_f32 v[38:39], v[38:39], v[56:57], v[46:47]
	v_dual_lshrrev_b32 v56, 16, v37 :: v_dual_lshrrev_b32 v34, 16, v40
	v_and_b32_e32 v46, 0xffff, v35
	v_dual_lshrrev_b32 v47, 16, v35 :: v_dual_lshrrev_b32 v57, 16, v36
	v_and_b32_e32 v0, 0xffff, v40
	;;#ASMSTART
	v_cvt_f32_f16 v35, v0;
	;;#ASMEND
	;;#ASMSTART
	v_cvt_f32_f16 v34, v34;
	;;#ASMEND
	;;#ASMSTART
	v_cvt_f32_f16 v37, v106;
	;;#ASMEND
	;;#ASMSTART
	v_cvt_f32_f16 v36, v107;
	;;#ASMEND
	v_dual_lshrrev_b32 v111, 16, v30 :: v_dual_lshrrev_b32 v107, 16, v31
	v_and_b32_e32 v113, 0xffff, v30
	v_lshrrev_b32_e32 v30, 16, v41
	v_pk_fma_f32 v[36:37], v[34:35], v[36:37], v[42:43]
	v_and_b32_e32 v112, 0xffff, v31
	v_dual_lshrrev_b32 v43, 16, v32 :: v_dual_lshrrev_b32 v42, 16, v33
	v_and_b32_e32 v110, 0xffff, v32
	v_and_b32_e32 v106, 0xffff, v33
	v_and_b32_e32 v0, 0xffff, v41
	;;#ASMSTART
	v_cvt_f32_f16 v31, v0;
	;;#ASMEND
	;;#ASMSTART
	v_cvt_f32_f16 v30, v30;
	;;#ASMEND
	;; [unrolled: 3-line block ×4, first 2 shown]
	v_pk_fma_f32 v[40:41], v[30:31], v[32:33], v[48:49]
	ds_load_b128 v[30:33], v99 offset:128
	v_lshrrev_b32_e32 v94, 16, v27
	v_and_b32_e32 v96, 0xffff, v28
	s_wait_dscnt 0x0
	v_and_b32_e32 v0, 0xffff, v30
	v_lshrrev_b32_e32 v30, 16, v30
	;;#ASMSTART
	v_cvt_f32_f16 v34, v0;
	;;#ASMEND
	;;#ASMSTART
	v_cvt_f32_f16 v35, v30;
	;;#ASMEND
	;; [unrolled: 3-line block ×4, first 2 shown]
	v_lshrrev_b32_e32 v30, 16, v31
	v_pk_fma_f32 v[34:35], v[34:35], v[48:49], v[44:45]
	v_lshrrev_b32_e32 v45, 16, v26
	v_and_b32_e32 v0, 0xffff, v31
	;;#ASMSTART
	v_cvt_f32_f16 v31, v0;
	;;#ASMEND
	;;#ASMSTART
	v_cvt_f32_f16 v30, v30;
	;;#ASMEND
	;; [unrolled: 3-line block ×3, first 2 shown]
	v_and_b32_e32 v48, 0xffff, v26
	v_dual_lshrrev_b32 v49, 16, v29 :: v_dual_lshrrev_b32 v26, 16, v32
	;;#ASMSTART
	v_cvt_f32_f16 v100, v93;
	;;#ASMEND
	v_pk_fma_f32 v[30:31], v[30:31], v[100:101], v[38:39]
	v_and_b32_e32 v108, 0xffff, v27
	v_lshrrev_b32_e32 v92, 16, v28
	v_and_b32_e32 v93, 0xffff, v29
	v_and_b32_e32 v0, 0xffff, v32
	;;#ASMSTART
	v_cvt_f32_f16 v27, v0;
	;;#ASMEND
	;;#ASMSTART
	v_cvt_f32_f16 v26, v26;
	;;#ASMEND
	;; [unrolled: 3-line block ×4, first 2 shown]
	v_dual_lshrrev_b32 v91, 16, v24 :: v_dual_lshrrev_b32 v90, 16, v25
	v_and_b32_e32 v101, 0xffff, v24
	v_and_b32_e32 v22, 0xffff, v33
	v_dual_lshrrev_b32 v24, 16, v33 :: v_dual_lshrrev_b32 v100, 16, v23
	v_and_b32_e32 v0, 0xffff, v23
	v_and_b32_e32 v109, 0xffff, v25
	;;#ASMSTART
	v_cvt_f32_f16 v23, v22;
	;;#ASMEND
	;;#ASMSTART
	v_cvt_f32_f16 v22, v24;
	;;#ASMEND
	;;#ASMSTART
	v_cvt_f32_f16 v25, v83;
	;;#ASMEND
	;;#ASMSTART
	v_cvt_f32_f16 v24, v82;
	;;#ASMEND
	v_pk_fma_f32 v[32:33], v[22:23], v[24:25], v[40:41]
	ds_load_b128 v[22:25], v99 offset:144
	v_pk_fma_f32 v[28:29], v[26:27], v[28:29], v[36:37]
	v_lshrrev_b32_e32 v82, 16, v18
	v_and_b32_e32 v83, 0xffff, v18
	s_wait_loadcnt 0x1
	v_lshrrev_b32_e32 v40, 16, v6
	v_and_b32_e32 v44, 0xffff, v6
	v_and_b32_e32 v41, 0xffff, v7
	s_wait_dscnt 0x0
	v_and_b32_e32 v26, 0xffff, v22
	v_lshrrev_b32_e32 v22, 16, v22
	;;#ASMSTART
	v_cvt_f32_f16 v26, v26;
	;;#ASMEND
	;;#ASMSTART
	v_cvt_f32_f16 v27, v22;
	;;#ASMEND
	;; [unrolled: 3-line block ×4, first 2 shown]
	v_pk_fma_f32 v[26:27], v[26:27], v[36:37], v[34:35]
	v_and_b32_e32 v22, 0xffff, v23
	v_lshrrev_b32_e32 v34, 16, v23
	;;#ASMSTART
	v_cvt_f32_f16 v23, v22;
	;;#ASMEND
	;;#ASMSTART
	v_cvt_f32_f16 v22, v34;
	;;#ASMEND
	;; [unrolled: 3-line block ×4, first 2 shown]
	v_dual_lshrrev_b32 v97, 16, v19 :: v_dual_lshrrev_b32 v89, 16, v20
	v_dual_lshrrev_b32 v88, 16, v21 :: v_dual_lshrrev_b32 v20, 16, v24
	v_and_b32_e32 v18, 0xffff, v24
	v_and_b32_e32 v95, 0xffff, v21
	;;#ASMSTART
	v_cvt_f32_f16 v19, v18;
	;;#ASMEND
	;;#ASMSTART
	v_cvt_f32_f16 v18, v20;
	;;#ASMEND
	;; [unrolled: 3-line block ×4, first 2 shown]
	v_pk_fma_f32 v[22:23], v[22:23], v[34:35], v[30:31]
	v_pk_fma_f32 v[20:21], v[18:19], v[20:21], v[28:29]
	v_dual_lshrrev_b32 v35, 16, v14 :: v_dual_lshrrev_b32 v31, 16, v15
	v_and_b32_e32 v37, 0xffff, v14
	v_dual_lshrrev_b32 v29, 16, v16 :: v_dual_lshrrev_b32 v28, 16, v17
	v_and_b32_e32 v34, 0xffff, v16
	v_and_b32_e32 v14, 0xffff, v25
	v_lshrrev_b32_e32 v16, 16, v25
	v_and_b32_e32 v36, 0xffff, v15
	v_and_b32_e32 v30, 0xffff, v17
	;;#ASMSTART
	v_cvt_f32_f16 v15, v14;
	;;#ASMEND
	;;#ASMSTART
	v_cvt_f32_f16 v14, v16;
	;;#ASMEND
	;; [unrolled: 3-line block ×4, first 2 shown]
	v_pk_fma_f32 v[24:25], v[14:15], v[16:17], v[32:33]
	ds_load_b128 v[14:17], v99 offset:160
	s_wait_dscnt 0x0
	v_and_b32_e32 v18, 0xffff, v14
	v_lshrrev_b32_e32 v14, 16, v14
	;;#ASMSTART
	v_cvt_f32_f16 v18, v18;
	;;#ASMEND
	;;#ASMSTART
	v_cvt_f32_f16 v19, v14;
	;;#ASMEND
	;; [unrolled: 3-line block ×4, first 2 shown]
	v_pk_fma_f32 v[18:19], v[18:19], v[32:33], v[26:27]
	v_dual_lshrrev_b32 v26, 16, v10 :: v_dual_lshrrev_b32 v27, 16, v15
	v_and_b32_e32 v14, 0xffff, v15
	;;#ASMSTART
	v_cvt_f32_f16 v15, v14;
	;;#ASMEND
	;;#ASMSTART
	v_cvt_f32_f16 v14, v27;
	;;#ASMEND
	;; [unrolled: 3-line block ×4, first 2 shown]
	v_and_b32_e32 v27, 0xffff, v10
	v_and_b32_e32 v10, 0xffff, v16
	v_pk_fma_f32 v[14:15], v[14:15], v[32:33], v[22:23]
	v_dual_lshrrev_b32 v23, 16, v11 :: v_dual_lshrrev_b32 v22, 16, v12
	v_and_b32_e32 v33, 0xffff, v11
	v_and_b32_e32 v32, 0xffff, v12
	v_dual_lshrrev_b32 v12, 16, v13 :: v_dual_lshrrev_b32 v16, 16, v16
	;;#ASMSTART
	v_cvt_f32_f16 v11, v10;
	;;#ASMEND
	;;#ASMSTART
	v_cvt_f32_f16 v10, v16;
	;;#ASMEND
	;; [unrolled: 3-line block ×4, first 2 shown]
	v_pk_fma_f32 v[10:11], v[10:11], v[38:39], v[20:21]
	v_dual_lshrrev_b32 v20, 16, v8 :: v_dual_lshrrev_b32 v16, 16, v9
	v_and_b32_e32 v39, 0xffff, v8
	v_and_b32_e32 v6, 0xffff, v17
	v_dual_lshrrev_b32 v8, 16, v17 :: v_dual_lshrrev_b32 v38, 16, v7
	v_and_b32_e32 v21, 0xffff, v9
	;;#ASMSTART
	v_cvt_f32_f16 v7, v6;
	;;#ASMEND
	;;#ASMSTART
	v_cvt_f32_f16 v6, v8;
	;;#ASMEND
	;; [unrolled: 3-line block ×4, first 2 shown]
	ds_load_b128 v[74:77], v99 offset:176
	v_pk_fma_f32 v[84:85], v[6:7], v[8:9], v[24:25]
	s_wait_loadcnt 0x0
	v_lshrrev_b32_e32 v17, 16, v2
	v_and_b32_e32 v24, 0xffff, v2
	v_lshrrev_b32_e32 v25, 16, v3
	v_and_b32_e32 v64, 0xffff, v3
	v_and_b32_e32 v13, 0xffff, v13
	s_wait_dscnt 0x0
	v_and_b32_e32 v6, 0xffff, v74
	v_lshrrev_b32_e32 v7, 16, v74
	;;#ASMSTART
	v_cvt_f32_f16 v6, v6;
	;;#ASMEND
	;;#ASMSTART
	v_cvt_f32_f16 v7, v7;
	;;#ASMEND
	;; [unrolled: 3-line block ×4, first 2 shown]
	v_pk_fma_f32 v[6:7], v[6:7], v[8:9], v[18:19]
	v_and_b32_e32 v8, 0xffff, v75
	v_lshrrev_b32_e32 v18, 16, v75
	;;#ASMSTART
	v_cvt_f32_f16 v9, v8;
	;;#ASMEND
	;;#ASMSTART
	v_cvt_f32_f16 v8, v18;
	;;#ASMEND
	;; [unrolled: 3-line block ×4, first 2 shown]
	v_pk_fma_f32 v[8:9], v[8:9], v[18:19], v[14:15]
	v_lshrrev_b32_e32 v18, 16, v4
	v_and_b32_e32 v19, 0xffff, v4
	v_dual_lshrrev_b32 v14, 16, v5 :: v_dual_lshrrev_b32 v4, 16, v76
	v_and_b32_e32 v2, 0xffff, v76
	v_and_b32_e32 v15, 0xffff, v5
	v_and_b32_e32 v70, 0xffff, v77
	v_lshrrev_b32_e32 v72, 16, v77
	;;#ASMSTART
	v_cvt_f32_f16 v3, v2;
	;;#ASMEND
	;;#ASMSTART
	v_cvt_f32_f16 v2, v4;
	;;#ASMEND
	;; [unrolled: 3-line block ×8, first 2 shown]
	v_pk_fma_f32 v[66:67], v[2:3], v[4:5], v[10:11]
	ds_load_b128 v[2:5], v99 offset:192
	v_pk_fma_f32 v[70:71], v[72:73], v[70:71], v[84:85]
	s_wait_dscnt 0x0
	v_and_b32_e32 v11, 0xffff, v2
	v_dual_lshrrev_b32 v65, 16, v2 :: v_dual_lshrrev_b32 v78, 16, v5
	v_add_nc_u32_e32 v2, s24, v126
	v_and_b32_e32 v72, 0xffff, v3
	v_dual_lshrrev_b32 v73, 16, v3 :: v_dual_lshrrev_b32 v75, 16, v4
	v_and_b32_e32 v74, 0xffff, v4
	v_and_b32_e32 v76, 0xffff, v5
	v_cvt_f32_i32_e32 v10, v2
	;;#ASMSTART
	v_cvt_f32_f16 v2, v11;
	;;#ASMEND
	;;#ASMSTART
	v_cvt_f32_f16 v3, v65;
	;;#ASMEND
	;; [unrolled: 3-line block ×16, first 2 shown]
	v_pk_fma_f32 v[6:7], v[2:3], v[4:5], v[6:7]
	ds_load_b128 v[2:5], v99 offset:208
	v_pk_fma_f32 v[8:9], v[62:63], v[72:73], v[8:9]
	v_pk_fma_f32 v[62:63], v[68:69], v[74:75], v[66:67]
	;; [unrolled: 1-line block ×3, first 2 shown]
	v_add_nc_u32_e32 v126, 0x80, v126
	s_wait_dscnt 0x0
	v_and_b32_e32 v1, 0xffff, v2
	v_lshrrev_b32_e32 v2, 16, v2
	v_and_b32_e32 v11, 0xffff, v3
	v_lshrrev_b32_e32 v3, 16, v3
	v_and_b32_e32 v65, 0xffff, v4
	v_lshrrev_b32_e32 v4, 16, v4
	v_and_b32_e32 v76, 0xffff, v5
	v_lshrrev_b32_e32 v5, 16, v5
	;;#ASMSTART
	v_cvt_f32_f16 v68, v1;
	;;#ASMEND
	;;#ASMSTART
	v_cvt_f32_f16 v69, v2;
	;;#ASMEND
	;;#ASMSTART
	v_cvt_f32_f16 v58, v58;
	;;#ASMEND
	;;#ASMSTART
	v_cvt_f32_f16 v59, v59;
	;;#ASMEND
	;;#ASMSTART
	v_cvt_f32_f16 v71, v11;
	;;#ASMEND
	;;#ASMSTART
	v_cvt_f32_f16 v70, v3;
	;;#ASMEND
	;;#ASMSTART
	v_cvt_f32_f16 v73, v54;
	;;#ASMEND
	;;#ASMSTART
	v_cvt_f32_f16 v72, v55;
	;;#ASMEND
	;;#ASMSTART
	v_cvt_f32_f16 v55, v65;
	;;#ASMEND
	;;#ASMSTART
	v_cvt_f32_f16 v54, v4;
	;;#ASMEND
	;;#ASMSTART
	v_cvt_f32_f16 v75, v60;
	;;#ASMEND
	;;#ASMSTART
	v_cvt_f32_f16 v74, v61;
	;;#ASMEND
	;;#ASMSTART
	v_cvt_f32_f16 v61, v76;
	;;#ASMEND
	;;#ASMSTART
	v_cvt_f32_f16 v60, v5;
	;;#ASMEND
	;;#ASMSTART
	v_cvt_f32_f16 v77, v117;
	;;#ASMEND
	;;#ASMSTART
	v_cvt_f32_f16 v76, v116;
	;;#ASMEND
	ds_load_b128 v[2:5], v99 offset:224
	v_pk_fma_f32 v[8:9], v[70:71], v[72:73], v[8:9]
	v_pk_fma_f32 v[6:7], v[68:69], v[58:59], v[6:7]
	v_pk_fma_f32 v[54:55], v[54:55], v[74:75], v[62:63]
	v_pk_fma_f32 v[58:59], v[60:61], v[76:77], v[66:67]
	s_wait_dscnt 0x0
	v_and_b32_e32 v1, 0xffff, v2
	v_lshrrev_b32_e32 v2, 16, v2
	v_and_b32_e32 v11, 0xffff, v3
	v_lshrrev_b32_e32 v3, 16, v3
	v_and_b32_e32 v65, 0xffff, v4
	v_lshrrev_b32_e32 v4, 16, v4
	v_and_b32_e32 v72, 0xffff, v5
	v_lshrrev_b32_e32 v5, 16, v5
	;;#ASMSTART
	v_cvt_f32_f16 v60, v1;
	;;#ASMEND
	;;#ASMSTART
	v_cvt_f32_f16 v61, v2;
	;;#ASMEND
	;;#ASMSTART
	v_cvt_f32_f16 v50, v50;
	;;#ASMEND
	;;#ASMSTART
	v_cvt_f32_f16 v51, v51;
	;;#ASMEND
	;;#ASMSTART
	v_cvt_f32_f16 v63, v11;
	;;#ASMEND
	;;#ASMSTART
	v_cvt_f32_f16 v62, v3;
	;;#ASMEND
	;;#ASMSTART
	v_cvt_f32_f16 v67, v114;
	;;#ASMEND
	;;#ASMSTART
	v_cvt_f32_f16 v66, v115;
	;;#ASMEND
	;;#ASMSTART
	v_cvt_f32_f16 v69, v65;
	;;#ASMEND
	;;#ASMSTART
	v_cvt_f32_f16 v68, v4;
	;;#ASMEND
	;;#ASMSTART
	v_cvt_f32_f16 v71, v118;
	;;#ASMEND
	;;#ASMSTART
	v_cvt_f32_f16 v70, v119;
	;;#ASMEND
	;;#ASMSTART
	v_cvt_f32_f16 v73, v72;
	;;#ASMEND
	;;#ASMSTART
	v_cvt_f32_f16 v72, v5;
	;;#ASMEND
	;;#ASMSTART
	v_cvt_f32_f16 v75, v121;
	;;#ASMEND
	;;#ASMSTART
	v_cvt_f32_f16 v74, v120;
	;;#ASMEND
	ds_load_b128 v[2:5], v99 offset:240
	v_pk_fma_f32 v[6:7], v[60:61], v[50:51], v[6:7]
	v_pk_fma_f32 v[50:51], v[68:69], v[70:71], v[54:55]
	v_pk_fma_f32 v[8:9], v[62:63], v[66:67], v[8:9]
	v_pk_fma_f32 v[54:55], v[72:73], v[74:75], v[58:59]
	;; [unrolled: 62-line block ×5, first 2 shown]
	s_wait_dscnt 0x0
	v_and_b32_e32 v1, 0xffff, v2
	v_lshrrev_b32_e32 v2, 16, v2
	v_and_b32_e32 v11, 0xffff, v3
	v_dual_lshrrev_b32 v3, 16, v3 :: v_dual_lshrrev_b32 v54, 16, v4
	v_lshrrev_b32_e32 v60, 16, v5
	v_and_b32_e32 v58, 0xffff, v5
	v_and_b32_e32 v45, 0xffff, v4
	;;#ASMSTART
	v_cvt_f32_f16 v4, v1;
	;;#ASMEND
	;;#ASMSTART
	v_cvt_f32_f16 v5, v2;
	;;#ASMEND
	;; [unrolled: 3-line block ×16, first 2 shown]
	ds_load_b128 v[0:3], v99 offset:304
	v_pk_fma_f32 v[4:5], v[4:5], v[48:49], v[6:7]
	v_pk_fma_f32 v[6:7], v[50:51], v[52:53], v[8:9]
	;; [unrolled: 1-line block ×4, first 2 shown]
	s_wait_dscnt 0x0
	v_and_b32_e32 v46, 0xffff, v2
	v_dual_lshrrev_b32 v47, 16, v2 :: v_dual_lshrrev_b32 v48, 16, v3
	v_and_b32_e32 v49, 0xffff, v3
	v_and_b32_e32 v8, 0xffff, v0
	v_dual_lshrrev_b32 v9, 16, v0 :: v_dual_lshrrev_b32 v45, 16, v1
	v_and_b32_e32 v11, 0xffff, v1
	;;#ASMSTART
	v_cvt_f32_f16 v0, v8;
	;;#ASMEND
	;;#ASMSTART
	v_cvt_f32_f16 v1, v9;
	;;#ASMEND
	;; [unrolled: 3-line block ×16, first 2 shown]
	ds_load_b128 v[46:49], v99 offset:320
	v_pk_fma_f32 v[8:9], v[0:1], v[2:3], v[4:5]
	v_pk_fma_f32 v[4:5], v[52:53], v[54:55], v[6:7]
	;; [unrolled: 1-line block ×4, first 2 shown]
	s_wait_dscnt 0x0
	v_dual_lshrrev_b32 v1, 16, v46 :: v_dual_lshrrev_b32 v11, 16, v47
	v_and_b32_e32 v0, 0xffff, v46
	v_dual_lshrrev_b32 v50, 16, v48 :: v_dual_lshrrev_b32 v52, 16, v49
	v_and_b32_e32 v48, 0xffff, v48
	v_and_b32_e32 v51, 0xffff, v49
	;; [unrolled: 1-line block ×3, first 2 shown]
	;;#ASMSTART
	v_cvt_f32_f16 v0, v0;
	;;#ASMEND
	;;#ASMSTART
	v_cvt_f32_f16 v1, v1;
	;;#ASMEND
	;; [unrolled: 3-line block ×16, first 2 shown]
	ds_load_b128 v[28:31], v99 offset:336
	v_pk_fma_f32 v[8:9], v[0:1], v[42:43], v[8:9]
	v_pk_fma_f32 v[6:7], v[48:49], v[34:35], v[6:7]
	;; [unrolled: 1-line block ×4, first 2 shown]
	s_wait_dscnt 0x0
	v_dual_lshrrev_b32 v0, 16, v28 :: v_dual_lshrrev_b32 v2, 16, v29
	v_and_b32_e32 v1, 0xffff, v28
	v_and_b32_e32 v3, 0xffff, v29
	;; [unrolled: 1-line block ×3, first 2 shown]
	v_dual_lshrrev_b32 v11, 16, v30 :: v_dual_lshrrev_b32 v45, 16, v31
	v_and_b32_e32 v46, 0xffff, v31
	;;#ASMSTART
	v_cvt_f32_f16 v28, v1;
	;;#ASMEND
	;;#ASMSTART
	v_cvt_f32_f16 v29, v0;
	;;#ASMEND
	;; [unrolled: 3-line block ×16, first 2 shown]
	ds_load_b128 v[0:3], v99 offset:352
	v_pk_fma_f32 v[8:9], v[28:29], v[30:31], v[8:9]
	v_pk_fma_f32 v[4:5], v[26:27], v[36:37], v[4:5]
	v_pk_fma_f32 v[6:7], v[42:43], v[22:23], v[6:7]
	v_pk_fma_f32 v[12:13], v[32:33], v[12:13], v[34:35]
	s_wait_dscnt 0x0
	v_dual_lshrrev_b32 v11, 16, v0 :: v_dual_lshrrev_b32 v28, 16, v1
	v_and_b32_e32 v0, 0xffff, v0
	v_and_b32_e32 v1, 0xffff, v1
	v_dual_lshrrev_b32 v36, 16, v2 :: v_dual_lshrrev_b32 v42, 16, v3
	v_and_b32_e32 v2, 0xffff, v2
	v_and_b32_e32 v3, 0xffff, v3
	;;#ASMSTART
	v_cvt_f32_f16 v22, v0;
	;;#ASMEND
	;;#ASMSTART
	v_cvt_f32_f16 v23, v11;
	;;#ASMEND
	;; [unrolled: 3-line block ×16, first 2 shown]
	ds_load_b128 v[0:3], v99 offset:368
	v_pk_fma_f32 v[8:9], v[22:23], v[26:27], v[8:9]
	v_pk_fma_f32 v[12:13], v[40:41], v[20:21], v[12:13]
	;; [unrolled: 1-line block ×4, first 2 shown]
	s_wait_dscnt 0x0
	v_dual_lshrrev_b32 v11, 16, v0 :: v_dual_lshrrev_b32 v16, 16, v1
	v_and_b32_e32 v0, 0xffff, v0
	v_and_b32_e32 v20, 0xffff, v1
	;;#ASMSTART
	v_cvt_f32_f16 v0, v0;
	;;#ASMEND
	;;#ASMSTART
	v_cvt_f32_f16 v1, v11;
	;;#ASMEND
	v_dual_lshrrev_b32 v22, 16, v2 :: v_dual_lshrrev_b32 v26, 16, v3
	v_and_b32_e32 v23, 0xffff, v2
	v_and_b32_e32 v27, 0xffff, v3
	;;#ASMSTART
	v_cvt_f32_f16 v2, v24;
	;;#ASMEND
	;;#ASMSTART
	v_cvt_f32_f16 v3, v17;
	;;#ASMEND
	v_pk_fma_f32 v[0:1], v[0:1], v[2:3], v[8:9]
	;;#ASMSTART
	v_cvt_f32_f16 v17, v20;
	;;#ASMEND
	;;#ASMSTART
	v_cvt_f32_f16 v16, v16;
	;;#ASMEND
	;; [unrolled: 3-line block ×4, first 2 shown]
	v_pk_fma_f32 v[2:3], v[16:17], v[20:21], v[4:5]
	v_add_f32_e32 v4, v0, v1
	;;#ASMSTART
	v_cvt_f32_f16 v23, v23;
	;;#ASMEND
	;;#ASMSTART
	v_cvt_f32_f16 v22, v22;
	;;#ASMEND
	;; [unrolled: 3-line block ×4, first 2 shown]
	v_add_f32_e32 v4, v4, v3
	v_pk_fma_f32 v[0:1], v[22:23], v[0:1], v[6:7]
	;;#ASMSTART
	v_cvt_f32_f16 v3, v27;
	;;#ASMEND
	scratch_load_b64 v[6:7], off, off offset:8 th:TH_LOAD_LU ; 8-byte Folded Reload
	v_add_f32_e32 v4, v2, v4
	;;#ASMSTART
	v_cvt_f32_f16 v2, v26;
	;;#ASMEND
	;;#ASMSTART
	v_cvt_f32_f16 v5, v15;
	;;#ASMEND
	s_delay_alu instid0(VALU_DEP_1)
	v_add_f32_e32 v1, v4, v1
	;;#ASMSTART
	v_cvt_f32_f16 v4, v14;
	;;#ASMEND
	v_pk_fma_f32 v[2:3], v[2:3], v[4:5], v[12:13]
	s_clause 0x1
	scratch_load_b32 v4, off, off offset:4 th:TH_LOAD_LU
	scratch_load_b32 v100, off, off offset:16 th:TH_LOAD_LU
	v_dual_add_f32 v0, v0, v1 :: v_dual_mul_f32 v1, s14, v10
	s_delay_alu instid0(VALU_DEP_1) | instskip(NEXT) | instid1(VALU_DEP_1)
	v_dual_add_f32 v0, v0, v3 :: v_dual_cndmask_b32 v1, 0, v1
	v_add_f32_e32 v0, v2, v0
	s_wait_loadcnt 0x2
	v_add_nc_u64_e32 v[6:7], 16, v[6:7]
	s_wait_loadcnt 0x1
	v_max_num_f32_e32 v2, v4, v4
	v_fmac_f32_e32 v1, s15, v0
	s_delay_alu instid0(VALU_DEP_1) | instskip(SKIP_3) | instid1(VALU_DEP_1)
	v_dual_cndmask_b32 v0, 0, v1, s3 :: v_dual_max_num_f32 v1, v2, v1
	scratch_load_b32 v2, off, off           ; 4-byte Folded Reload
	s_wait_loadcnt 0x1
	v_dual_add_nc_u32 v100, 4, v100 :: v_dual_cndmask_b32 v4, v4, v1, s3
	v_cmp_le_i32_e64 s4, s22, v100
	s_or_b32 s7, s4, s7
	s_wait_loadcnt 0x0
	ds_store_b32 v2, v0
	scratch_load_b32 v0, off, off th:TH_LOAD_LU ; 4-byte Folded Reload
	s_wait_loadcnt 0x0
	v_add_nc_u32_e32 v0, 0x200, v0
	s_wait_xcnt 0x0
	s_and_not1_b32 exec_lo, exec_lo, s7
	s_cbranch_execnz .LBB106_6
; %bb.7:
	s_or_b32 exec_lo, exec_lo, s7
	s_clause 0x5
	scratch_load_b32 v99, off, off offset:28
	scratch_load_b32 v100, off, off offset:32
	;; [unrolled: 1-line block ×6, first 2 shown]
.LBB106_8:
	s_wait_xcnt 0x0
	s_or_b32 exec_lo, exec_lo, s23
	v_mbcnt_lo_u32_b32 v0, -1, 0
	s_clause 0x1
	s_load_b64 s[14:15], s[0:1], 0x0
	s_load_b64 s[16:17], s[0:1], 0x18
	s_delay_alu instid0(VALU_DEP_1) | instskip(SKIP_2) | instid1(VALU_DEP_2)
	v_xor_b32_e32 v3, 8, v0
	v_xor_b32_e32 v1, 16, v0
	v_xor_b32_e32 v5, 4, v0
	v_cmp_gt_i32_e32 vcc_lo, 32, v1
	v_cndmask_b32_e32 v1, v0, v1, vcc_lo
	v_cmp_gt_i32_e32 vcc_lo, 32, v3
	v_cndmask_b32_e32 v3, v0, v3, vcc_lo
	v_cmp_gt_i32_e32 vcc_lo, 32, v5
	s_delay_alu instid0(VALU_DEP_2) | instskip(SKIP_3) | instid1(VALU_DEP_1)
	v_dual_lshlrev_b32 v3, 2, v3 :: v_dual_lshlrev_b32 v2, 2, v1
	ds_bpermute_b32 v1, v2, v4
	s_wait_dscnt 0x0
	v_dual_max_num_f32 v4, v4, v4 :: v_dual_max_num_f32 v1, v1, v1
	v_max_num_f32_e32 v1, v4, v1
	ds_bpermute_b32 v4, v3, v1
	s_wait_dscnt 0x0
	v_max_num_f32_e32 v6, v4, v4
	s_delay_alu instid0(VALU_DEP_1) | instskip(NEXT) | instid1(VALU_DEP_1)
	v_dual_cndmask_b32 v5, v0, v5, vcc_lo :: v_dual_max_num_f32 v1, v1, v6
	v_lshlrev_b32_e32 v4, 2, v5
	ds_bpermute_b32 v5, v4, v1
	s_wait_dscnt 0x0
	v_dual_max_num_f32 v5, v5, v5 :: v_dual_bitop2_b32 v6, 2, v0 bitop3:0x14
	s_delay_alu instid0(VALU_DEP_1) | instskip(NEXT) | instid1(VALU_DEP_2)
	v_cmp_gt_i32_e32 vcc_lo, 32, v6
	v_dual_max_num_f32 v1, v1, v5 :: v_dual_cndmask_b32 v6, v0, v6
	s_delay_alu instid0(VALU_DEP_1)
	v_dual_lshlrev_b32 v38, 2, v6 :: v_dual_bitop2_b32 v6, 1, v0 bitop3:0x14
	ds_bpermute_b32 v5, v38, v1
	v_cmp_gt_i32_e32 vcc_lo, 32, v6
	v_cndmask_b32_e32 v0, v0, v6, vcc_lo
	s_wait_loadcnt 0x3
	v_cmp_eq_u32_e32 vcc_lo, 0, v101
	s_wait_dscnt 0x0
	s_delay_alu instid0(VALU_DEP_2) | instskip(NEXT) | instid1(VALU_DEP_1)
	v_dual_lshlrev_b32 v37, 2, v0 :: v_dual_max_num_f32 v5, v5, v5
	v_dual_max_num_f32 v6, v1, v5 :: v_dual_lshlrev_b32 v5, 2, v100
	ds_bpermute_b32 v7, v37, v6
	s_wait_xcnt 0x0
	s_and_saveexec_b32 s0, vcc_lo
	s_cbranch_execz .LBB106_10
; %bb.9:
	s_wait_dscnt 0x0
	v_dual_max_num_f32 v0, v7, v7 :: v_dual_max_num_f32 v1, v6, v6
	s_delay_alu instid0(VALU_DEP_1)
	v_max_num_f32_e32 v0, v1, v0
	ds_store_b32 v5, v0 offset:384
.LBB106_10:
	s_or_b32 exec_lo, exec_lo, s0
	v_cmp_gt_u32_e64 s0, 4, v101
	v_mov_b32_e32 v6, 0xff7fffff
	s_wait_storecnt 0x0
	s_wait_loadcnt_dscnt 0x0
	s_barrier_signal -1
	s_barrier_wait -1
	s_and_saveexec_b32 s1, s0
; %bb.11:
	ds_load_b32 v6, v10 offset:384
; %bb.12:
	s_or_b32 exec_lo, exec_lo, s1
	s_wait_dscnt 0x0
	ds_bpermute_b32 v0, v38, v6
	v_max_num_f32_e32 v1, v6, v6
	s_lshl_b32 s1, s22, 5
	v_mov_b32_e32 v6, 0
	s_min_i32 s4, s1, s21
	s_delay_alu instid0(SALU_CYCLE_1) | instskip(SKIP_2) | instid1(VALU_DEP_1)
	v_cmp_gt_i32_e64 s1, s4, v99
	s_wait_dscnt 0x0
	v_max_num_f32_e32 v0, v0, v0
	v_max_num_f32_e32 v0, v1, v0
	ds_bpermute_b32 v1, v37, v0
	s_wait_dscnt 0x0
	v_max_num_f32_e32 v1, v1, v1
	s_delay_alu instid0(VALU_DEP_1)
	v_max_num_f32_e32 v0, v0, v1
	ds_bpermute_b32 v7, v6, v0
	s_and_saveexec_b32 s7, s1
	s_cbranch_execz .LBB106_16
; %bb.13:
	v_lshl_add_u32 v8, v99, 2, 0x1a0
	v_dual_mov_b32 v6, 0 :: v_dual_mov_b32 v9, v99
	s_mov_b32 s23, 0
.LBB106_14:                             ; =>This Inner Loop Header: Depth=1
	ds_load_b32 v0, v8
	v_add_nc_u32_e32 v9, 0x80, v9
	s_delay_alu instid0(VALU_DEP_1) | instskip(SKIP_3) | instid1(VALU_DEP_1)
	v_cmp_le_i32_e64 s3, s4, v9
	s_or_b32 s23, s3, s23
	s_wait_dscnt 0x0
	v_sub_f32_e32 v0, v0, v7
	v_mul_f32_e32 v0, 0x3fb8aa3b, v0
	s_delay_alu instid0(VALU_DEP_1)
	v_exp_f32_e32 v0, v0
	ds_store_b32 v8, v0
	v_nop
	v_add_f32_e32 v6, v6, v0
	v_add_nc_u32_e32 v8, 0x200, v8
	s_and_not1_b32 exec_lo, exec_lo, s23
	s_cbranch_execnz .LBB106_14
; %bb.15:
	s_or_b32 exec_lo, exec_lo, s23
.LBB106_16:
	s_delay_alu instid0(SALU_CYCLE_1)
	s_or_b32 exec_lo, exec_lo, s7
	ds_bpermute_b32 v0, v2, v6
	s_wait_dscnt 0x0
	v_add_f32_e32 v0, v6, v0
	ds_bpermute_b32 v1, v3, v0
	s_wait_dscnt 0x0
	v_add_f32_e32 v0, v0, v1
	;; [unrolled: 3-line block ×5, first 2 shown]
	s_and_saveexec_b32 s3, vcc_lo
; %bb.17:
	ds_store_b32 v5, v2 offset:400
; %bb.18:
	s_or_b32 exec_lo, exec_lo, s3
	s_wait_dscnt 0x0
	s_barrier_signal -1
	s_barrier_wait -1
	s_and_saveexec_b32 s3, s0
; %bb.19:
	ds_load_b32 v2, v10 offset:400
; %bb.20:
	s_or_b32 exec_lo, exec_lo, s3
	s_wait_dscnt 0x0
	ds_bpermute_b32 v0, v38, v2
	s_wait_dscnt 0x0
	v_dual_mov_b32 v7, 0 :: v_dual_add_f32 v0, v2, v0
	ds_bpermute_b32 v1, v37, v0
	s_wait_dscnt 0x0
	v_add_f32_e32 v0, v0, v1
	ds_bpermute_b32 v2, v7, v0
	s_and_saveexec_b32 s0, s1
	s_cbranch_execz .LBB106_33
; %bb.21:
	s_wait_dscnt 0x0
	v_add_f32_e32 v0, 0x358637bd, v2
	s_mov_b32 s3, -1
	s_mov_b32 s1, exec_lo
	s_delay_alu instid0(VALU_DEP_1) | instskip(SKIP_1) | instid1(VALU_DEP_2)
	v_div_scale_f32 v1, null, v0, v0, 1.0
	v_div_scale_f32 v4, vcc_lo, 1.0, v0, 1.0
	v_rcp_f32_e32 v2, v1
	v_nop
	s_delay_alu instid0(TRANS32_DEP_1) | instskip(NEXT) | instid1(VALU_DEP_1)
	v_fma_f32 v3, -v1, v2, 1.0
	v_fmac_f32_e32 v2, v3, v2
	s_delay_alu instid0(VALU_DEP_1) | instskip(NEXT) | instid1(VALU_DEP_1)
	v_mul_f32_e32 v3, v4, v2
	v_fma_f32 v5, -v1, v3, v4
	s_delay_alu instid0(VALU_DEP_1) | instskip(NEXT) | instid1(VALU_DEP_1)
	v_fmac_f32_e32 v3, v5, v2
	v_fma_f32 v1, -v1, v3, v4
	v_xad_u32 v4, v99, -1, s4
	s_delay_alu instid0(VALU_DEP_2) | instskip(SKIP_1) | instid1(VALU_DEP_2)
	v_div_fmas_f32 v1, v1, v2, v3
	v_mov_b32_e32 v3, v99
	v_div_fixup_f32 v2, v1, v0, 1.0
	s_delay_alu instid0(VALU_DEP_4)
	v_cmpx_lt_u32_e32 0x7f, v4
	s_cbranch_execz .LBB106_30
; %bb.22:
	s_delay_alu instid0(VALU_DEP_2) | instskip(SKIP_1) | instid1(VALU_DEP_1)
	v_dual_mov_b32 v3, v2 :: v_dual_lshrrev_b32 v4, 7, v4
	s_mov_b32 s3, exec_lo
	v_dual_mov_b32 v9, 0 :: v_dual_add_nc_u32 v0, -1, v4
	s_delay_alu instid0(VALU_DEP_1) | instskip(NEXT) | instid1(VALU_DEP_1)
	v_lshrrev_b32_e32 v1, 1, v0
	v_add_nc_u32_e32 v5, 1, v1
	v_cmpx_lt_u32_e32 13, v0
	s_cbranch_execz .LBB106_26
; %bb.23:
	s_delay_alu instid0(VALU_DEP_2)
	v_and_b32_e32 v6, -8, v5
	v_lshl_add_u32 v8, v99, 2, 0x1a0
	s_mov_b32 s7, 0
	s_mov_b32 s23, 0
.LBB106_24:                             ; =>This Inner Loop Header: Depth=1
	ds_load_2addr_stride64_b32 v[0:1], v8 offset1:2
	ds_load_2addr_stride64_b32 v[10:11], v8 offset0:4 offset1:6
	ds_load_2addr_stride64_b32 v[12:13], v8 offset0:8 offset1:10
	;; [unrolled: 1-line block ×7, first 2 shown]
	s_add_co_i32 s23, s23, 16
	s_delay_alu instid0(SALU_CYCLE_1) | instskip(NEXT) | instid1(VALU_DEP_1)
	v_dual_mov_b32 v9, s23 :: v_dual_add_nc_u32 v6, -8, v6
	v_cmp_eq_u32_e32 vcc_lo, 0, v6
	s_or_b32 s7, vcc_lo, s7
	s_wait_dscnt 0x7
	v_pk_mul_f32 v[0:1], v[2:3], v[0:1]
	s_wait_dscnt 0x6
	v_pk_mul_f32 v[10:11], v[2:3], v[10:11]
	;; [unrolled: 2-line block ×8, first 2 shown]
	ds_store_2addr_stride64_b32 v8, v0, v1 offset1:2
	ds_store_2addr_stride64_b32 v8, v10, v11 offset0:4 offset1:6
	ds_store_2addr_stride64_b32 v8, v12, v13 offset0:8 offset1:10
	ds_store_2addr_stride64_b32 v8, v14, v15 offset0:12 offset1:14
	ds_store_2addr_stride64_b32 v8, v16, v17 offset0:16 offset1:18
	ds_store_2addr_stride64_b32 v8, v18, v19 offset0:20 offset1:22
	ds_store_2addr_stride64_b32 v8, v20, v21 offset0:24 offset1:26
	ds_store_2addr_stride64_b32 v8, v22, v23 offset0:28 offset1:30
	v_add_nc_u32_e32 v8, 0x2000, v8
	s_and_not1_b32 exec_lo, exec_lo, s7
	s_cbranch_execnz .LBB106_24
; %bb.25:
	s_or_b32 exec_lo, exec_lo, s7
.LBB106_26:
	s_delay_alu instid0(SALU_CYCLE_1) | instskip(NEXT) | instid1(VALU_DEP_2)
	s_or_b32 exec_lo, exec_lo, s3
	v_and_b32_e32 v5, 7, v5
	s_mov_b32 s7, 0
	s_mov_b32 s3, exec_lo
	s_delay_alu instid0(VALU_DEP_1)
	v_cmpx_ne_u32_e32 0, v5
	s_cbranch_execz .LBB106_29
; %bb.27:
	v_dual_lshlrev_b32 v0, 9, v9 :: v_dual_lshlrev_b32 v1, 2, v99
	s_delay_alu instid0(VALU_DEP_1)
	v_add3_u32 v6, v0, v1, 0x1a0
.LBB106_28:                             ; =>This Inner Loop Header: Depth=1
	ds_load_2addr_stride64_b32 v[0:1], v6 offset1:2
	v_add_nc_u32_e32 v5, -1, v5
	s_delay_alu instid0(VALU_DEP_1)
	v_cmp_eq_u32_e32 vcc_lo, 0, v5
	s_or_b32 s7, vcc_lo, s7
	s_wait_dscnt 0x0
	v_pk_mul_f32 v[0:1], v[2:3], v[0:1]
	ds_store_2addr_stride64_b32 v6, v0, v1 offset1:2
	v_add_nc_u32_e32 v6, 0x400, v6
	s_and_not1_b32 exec_lo, exec_lo, s7
	s_cbranch_execnz .LBB106_28
.LBB106_29:
	s_or_b32 exec_lo, exec_lo, s3
	v_add_nc_u32_e32 v0, 1, v4
	s_delay_alu instid0(VALU_DEP_1) | instskip(NEXT) | instid1(VALU_DEP_1)
	v_and_b32_e32 v1, 0x3fffffe, v0
	v_cmp_ne_u32_e32 vcc_lo, v0, v1
	v_lshl_add_u32 v3, v1, 7, v99
	s_or_not1_b32 s3, vcc_lo, exec_lo
.LBB106_30:
	s_or_b32 exec_lo, exec_lo, s1
	s_delay_alu instid0(SALU_CYCLE_1)
	s_and_b32 exec_lo, exec_lo, s3
	s_cbranch_execz .LBB106_33
; %bb.31:
	v_lshl_add_u32 v4, v3, 2, 0x1a0
	s_mov_b32 s1, 0
.LBB106_32:                             ; =>This Inner Loop Header: Depth=1
	ds_load_b32 v0, v4
	s_wait_dscnt 0x0
	v_dual_mul_f32 v0, v2, v0 :: v_dual_add_nc_u32 v3, 0x80, v3
	s_delay_alu instid0(VALU_DEP_1) | instskip(SKIP_3) | instid1(SALU_CYCLE_1)
	v_cmp_le_i32_e32 vcc_lo, s4, v3
	ds_store_b32 v4, v0
	v_add_nc_u32_e32 v4, 0x200, v4
	s_or_b32 s1, vcc_lo, s1
	s_and_not1_b32 exec_lo, exec_lo, s1
	s_cbranch_execnz .LBB106_32
.LBB106_33:
	s_or_b32 exec_lo, exec_lo, s0
	v_dual_mov_b32 v6, 0 :: v_dual_bitop2_b32 v39, 3, v99 bitop3:0x40
	v_dual_mov_b32 v9, 0 :: v_dual_mov_b32 v8, 0
	v_dual_mov_b32 v11, 0 :: v_dual_mov_b32 v10, 0
	;; [unrolled: 1-line block ×11, first 2 shown]
	s_wait_dscnt 0x0
	s_barrier_signal -1
	s_barrier_wait -1
	s_and_saveexec_b32 s1, s2
	s_cbranch_execz .LBB106_85
; %bb.34:
	v_dual_mov_b32 v7, 0 :: v_dual_lshlrev_b32 v0, 3, v99
	s_ashr_i32 s7, s6, 31
	v_and_b32_e32 v6, 0x1f0, v30
	s_lshl_b64 s[6:7], s[6:7], 1
	s_delay_alu instid0(VALU_DEP_2)
	v_dual_lshlrev_b32 v1, 5, v39 :: v_dual_bitop2_b32 v0, 24, v0 bitop3:0x40
	s_wait_kmcnt 0x0
	s_add_nc_u64 s[6:7], s[16:17], s[6:7]
	s_ashr_i32 s3, s5, 31
	v_add_nc_u64_e32 v[30:31], s[6:7], v[6:7]
	v_and_b32_e32 v6, 0x7c, v32
	s_mov_b32 s2, s5
	s_lshl_b64 s[4:5], s[12:13], 2
	v_lshl_or_b32 v1, v100, 7, v1
	s_add_nc_u64 s[4:5], s[10:11], s[4:5]
	v_lshl_or_b32 v40, v100, 5, v0
	v_add_nc_u64_e32 v[32:33], s[4:5], v[6:7]
	s_delay_alu instid0(VALU_DEP_3)
	v_dual_mov_b32 v6, v7 :: v_dual_add_nc_u32 v41, 0x1a0, v1
	v_dual_mov_b32 v9, v7 :: v_dual_mov_b32 v8, v7
	v_dual_mov_b32 v11, v7 :: v_dual_mov_b32 v10, v7
	;; [unrolled: 1-line block ×11, first 2 shown]
	v_mov_b32_e32 v42, v100
	s_add_co_i32 s4, s22, -1
	s_mov_b32 s6, s21
	s_mov_b32 s5, 0
	s_branch .LBB106_36
.LBB106_35:                             ;   in Loop: Header=BB106_36 Depth=1
	s_or_b32 exec_lo, exec_lo, s0
	v_dual_add_f32 v36, v36, v50 :: v_dual_add_f32 v44, v94, v95
	v_add_f32_e32 v43, v96, v97
	v_add_f32_e32 v0, v0, v89
	v_add_nc_u64_e32 v[32:33], 16, v[32:33]
	s_delay_alu instid0(VALU_DEP_4) | instskip(NEXT) | instid1(VALU_DEP_4)
	v_dual_add_f32 v6, v6, v36 :: v_dual_add_f32 v36, v92, v93
	v_dual_add_f32 v9, v9, v43 :: v_dual_add_f32 v8, v8, v44
	;; [unrolled: 1-line block ×3, first 2 shown]
	s_delay_alu instid0(VALU_DEP_3) | instskip(NEXT) | instid1(VALU_DEP_2)
	v_dual_add_f32 v45, v85, v86 :: v_dual_add_f32 v11, v11, v36
	v_dual_add_f32 v13, v13, v0 :: v_dual_add_f32 v10, v10, v43
	v_dual_add_f32 v0, v83, v84 :: v_dual_add_f32 v36, v81, v82
	v_add_f32_e32 v43, v79, v80
	s_delay_alu instid0(VALU_DEP_4) | instskip(SKIP_1) | instid1(VALU_DEP_3)
	v_dual_add_f32 v12, v12, v44 :: v_dual_add_f32 v15, v15, v45
	v_dual_add_f32 v44, v77, v78 :: v_dual_add_f32 v45, v75, v76
	;; [unrolled: 1-line block ×3, first 2 shown]
	v_add_f32_e32 v0, v73, v74
	s_delay_alu instid0(VALU_DEP_3) | instskip(SKIP_4) | instid1(VALU_DEP_4)
	v_dual_add_f32 v17, v17, v36 :: v_dual_add_f32 v18, v18, v45
	v_dual_add_f32 v36, v71, v72 :: v_dual_add_f32 v45, v65, v66
	;; [unrolled: 1-line block ×3, first 2 shown]
	v_add_f32_e32 v44, v67, v68
	v_add_f32_e32 v21, v21, v0
	v_dual_add_f32 v20, v20, v36 :: v_dual_lshlrev_b32 v0, 16, v34
	s_delay_alu instid0(VALU_DEP_3) | instskip(SKIP_2) | instid1(VALU_DEP_4)
	v_dual_add_f32 v25, v25, v45 :: v_dual_add_f32 v22, v22, v44
	v_dual_lshlrev_b32 v1, 16, v1 :: v_dual_lshlrev_b32 v34, 16, v35
	v_add_f32_e32 v35, v63, v64
	v_and_or_b32 v0, 0xffff, v2, v0
	v_add_f32_e32 v36, v61, v62
	s_delay_alu instid0(VALU_DEP_4)
	v_and_or_b32 v1, 0xffff, v3, v1
	v_and_or_b32 v2, 0xffff, v4, v34
	;;#ASMSTART
	v_pk_mul_f16 v0, v52, v0;

	;;#ASMEND
	;;#ASMSTART
	v_pk_mul_f16 v1, v51, v1;

	;;#ASMEND
	;; [unrolled: 4-line block ×4, first 2 shown]
	;;#ASMSTART
	v_pk_add_f16 v0, v0, v1;

	;;#ASMEND
	;;#ASMSTART
	v_pk_add_f16 v0, v0, v2;

	;;#ASMEND
	;; [unrolled: 4-line block ×3, first 2 shown]
	v_and_b32_e32 v3, 0xffff, v0
	v_dual_lshrrev_b32 v4, 16, v0 :: v_dual_add_nc_u32 v42, 4, v42
	;;#ASMSTART
	v_cvt_f32_f16 v3, v3;
	;;#ASMEND
	v_dual_add_f32 v24, v24, v35 :: v_dual_add_f32 v27, v27, v36
	v_dual_add_f32 v1, v57, v58 :: v_dual_add_f32 v0, v59, v60
	v_dual_add_f32 v2, v55, v56 :: v_dual_add_nc_u32 v41, 0x200, v41
	;;#ASMSTART
	v_cvt_f32_f16 v4, v4;
	;;#ASMEND
	v_add_f32_e32 v3, v3, v4
	v_cmp_le_i32_e32 vcc_lo, s22, v42
	v_dual_add_f32 v23, v23, v43 :: v_dual_add_f32 v29, v29, v1
	v_dual_add_f32 v28, v28, v2 :: v_dual_add_f32 v26, v26, v0
	s_delay_alu instid0(VALU_DEP_4) | instskip(SKIP_1) | instid1(SALU_CYCLE_1)
	v_dual_add_f32 v7, v7, v3 :: v_dual_add_nc_u32 v40, 0x80, v40
	s_or_b32 s5, vcc_lo, s5
	s_and_not1_b32 exec_lo, exec_lo, s5
	s_cbranch_execz .LBB106_84
.LBB106_36:                             ; =>This Inner Loop Header: Depth=1
	global_load_b32 v0, v[32:33], off
	v_cmp_eq_u32_e32 vcc_lo, s4, v42
	v_dual_add_nc_u32 v48, 2, v40 :: v_dual_add_nc_u32 v43, 5, v40
	v_or_b32_e32 v49, 3, v40
	s_wait_loadcnt 0x0
	v_ashrrev_i32_e32 v1, 31, v0
	s_delay_alu instid0(VALU_DEP_1)
	v_mul_u64_e32 v[4:5], s[2:3], v[0:1]
	ds_load_2addr_b64 v[0:3], v41 offset1:1
	ds_load_2addr_b64 v[44:47], v41 offset0:2 offset1:3
	s_wait_dscnt 0x1
	;;#ASMSTART
	v_cvt_f16_f32 v52, v0;

	;;#ASMEND
	;;#ASMSTART
	v_cvt_f16_f32 v51, v1;

	;;#ASMEND
	;; [unrolled: 4-line block ×4, first 2 shown]
	s_wait_dscnt 0x0
	;;#ASMSTART
	v_cvt_f16_f32 v57, v44;

	;;#ASMEND
	;;#ASMSTART
	v_cvt_f16_f32 v53, v45;

	;;#ASMEND
	;; [unrolled: 4-line block ×4, first 2 shown]
	v_dual_add_nc_u32 v44, 4, v40 :: v_dual_add_nc_u32 v46, 6, v40
	v_dual_add_nc_u32 v45, 7, v40 :: v_dual_bitop2_b32 v47, 1, v40 bitop3:0x54
	v_lshl_add_u64 v[34:35], v[4:5], 1, v[30:31]
	global_load_b128 v[2:5], v[34:35], off
	s_wait_loadcnt 0x0
	v_dual_lshrrev_b32 v1, 16, v3 :: v_dual_lshrrev_b32 v50, 16, v4
	v_lshrrev_b32_e32 v36, 16, v2
	s_and_saveexec_b32 s7, vcc_lo
	s_cbranch_execz .LBB106_38
; %bb.37:                               ;   in Loop: Header=BB106_36 Depth=1
	v_cmp_gt_i32_e64 s0, s21, v40
	v_and_b32_e32 v58, 0xffff, v5
	v_and_b32_e32 v5, 0xffff0000, v5
	s_delay_alu instid0(VALU_DEP_3) | instskip(SKIP_1) | instid1(VALU_DEP_1)
	v_cndmask_b32_e64 v2, 0, v2, s0
	v_cmp_gt_i32_e64 s0, s21, v48
	v_cndmask_b32_e64 v3, 0, v3, s0
	v_cmp_gt_i32_e64 s0, s6, v49
	s_delay_alu instid0(VALU_DEP_1) | instskip(SKIP_1) | instid1(VALU_DEP_1)
	v_cndmask_b32_e64 v1, 0, v1, s0
	v_cmp_gt_i32_e64 s0, s21, v47
	v_cndmask_b32_e64 v36, 0, v36, s0
	v_cmp_gt_i32_e64 s0, s21, v46
	s_delay_alu instid0(VALU_DEP_1) | instskip(SKIP_1) | instid1(VALU_DEP_1)
	;; [unrolled: 5-line block ×3, first 2 shown]
	v_dual_cndmask_b32 v4, 0, v4, s0 :: v_dual_bitop2_b32 v5, v58, v5 bitop3:0x54
	v_cmp_gt_i32_e64 s0, s21, v43
	v_cndmask_b32_e64 v50, 0, v50, s0
.LBB106_38:                             ;   in Loop: Header=BB106_36 Depth=1
	s_or_b32 exec_lo, exec_lo, s7
	v_and_b32_e32 v52, 0xffff, v52
	v_and_b32_e32 v56, 0xffff, v56
	v_dual_lshlrev_b32 v36, 16, v36 :: v_dual_lshlrev_b32 v1, 16, v1
	v_lshlrev_b32_e32 v50, 16, v50
	s_delay_alu instid0(VALU_DEP_4) | instskip(NEXT) | instid1(VALU_DEP_4)
	v_lshl_or_b32 v52, v51, 16, v52
	v_lshl_or_b32 v51, v54, 16, v56
	v_and_b32_e32 v54, 0xffff, v55
	v_and_b32_e32 v57, 0xffff, v57
	v_and_or_b32 v2, 0xffff, v2, v36
	v_and_or_b32 v1, 0xffff, v3, v1
	;; [unrolled: 1-line block ×3, first 2 shown]
	v_lshl_or_b32 v54, v0, 16, v54
	;;#ASMSTART
	v_pk_mul_f16 v0, v52, v2;

	;;#ASMEND
	v_lshl_or_b32 v53, v53, 16, v57
	;;#ASMSTART
	v_pk_mul_f16 v1, v51, v1;

	;;#ASMEND
	;;#ASMSTART
	v_pk_mul_f16 v2, v53, v3;

	;;#ASMEND
	;; [unrolled: 4-line block ×3, first 2 shown]
	;;#ASMSTART
	v_pk_add_f16 v0, v0, v1;

	;;#ASMEND
	;;#ASMSTART
	v_pk_add_f16 v0, v0, v2;

	;;#ASMEND
	;;#ASMSTART
	v_pk_add_f16 v0, v0, v3;

	;;#ASMEND
	v_and_b32_e32 v1, 0xffff, v0
	v_lshrrev_b32_e32 v0, 16, v0
	;;#ASMSTART
	v_cvt_f32_f16 v55, v1;
	;;#ASMEND
	;;#ASMSTART
	v_cvt_f32_f16 v56, v0;
	;;#ASMEND
	global_load_b128 v[2:5], v[34:35], off offset:512
	s_wait_loadcnt 0x0
	v_dual_lshrrev_b32 v1, 16, v3 :: v_dual_lshrrev_b32 v36, 16, v2
	v_lshrrev_b32_e32 v50, 16, v4
	s_and_saveexec_b32 s7, vcc_lo
	s_cbranch_execz .LBB106_40
; %bb.39:                               ;   in Loop: Header=BB106_36 Depth=1
	v_cmp_gt_i32_e64 s0, s21, v40
	v_and_b32_e32 v0, 0xffff, v5
	v_and_b32_e32 v5, 0xffff0000, v5
	s_delay_alu instid0(VALU_DEP_3) | instskip(SKIP_1) | instid1(VALU_DEP_1)
	v_cndmask_b32_e64 v2, 0, v2, s0
	v_cmp_gt_i32_e64 s0, s21, v48
	v_cndmask_b32_e64 v3, 0, v3, s0
	v_cmp_gt_i32_e64 s0, s6, v49
	s_delay_alu instid0(VALU_DEP_1) | instskip(SKIP_1) | instid1(VALU_DEP_1)
	v_cndmask_b32_e64 v1, 0, v1, s0
	v_cmp_gt_i32_e64 s0, s21, v47
	v_cndmask_b32_e64 v36, 0, v36, s0
	v_cmp_gt_i32_e64 s0, s21, v46
	s_delay_alu instid0(VALU_DEP_1) | instskip(SKIP_1) | instid1(VALU_DEP_1)
	v_cndmask_b32_e64 v0, 0, v0, s0
	v_cmp_gt_i32_e64 s0, s21, v45
	v_cndmask_b32_e64 v5, 0, v5, s0
	v_cmp_gt_i32_e64 s0, s21, v44
	s_delay_alu instid0(VALU_DEP_1) | instskip(SKIP_1) | instid1(VALU_DEP_1)
	v_dual_cndmask_b32 v4, 0, v4, s0 :: v_dual_bitop2_b32 v5, v0, v5 bitop3:0x54
	v_cmp_gt_i32_e64 s0, s21, v43
	v_cndmask_b32_e64 v50, 0, v50, s0
.LBB106_40:                             ;   in Loop: Header=BB106_36 Depth=1
	s_or_b32 exec_lo, exec_lo, s7
	v_dual_lshlrev_b32 v0, 16, v36 :: v_dual_lshlrev_b32 v1, 16, v1
	s_delay_alu instid0(VALU_DEP_2) | instskip(NEXT) | instid1(VALU_DEP_2)
	v_lshlrev_b32_e32 v36, 16, v50
	v_and_or_b32 v0, 0xffff, v2, v0
	s_delay_alu instid0(VALU_DEP_3) | instskip(NEXT) | instid1(VALU_DEP_3)
	v_and_or_b32 v1, 0xffff, v3, v1
	v_and_or_b32 v2, 0xffff, v4, v36
	;;#ASMSTART
	v_pk_mul_f16 v0, v52, v0;

	;;#ASMEND
	;;#ASMSTART
	v_pk_mul_f16 v1, v51, v1;

	;;#ASMEND
	;; [unrolled: 4-line block ×4, first 2 shown]
	;;#ASMSTART
	v_pk_add_f16 v0, v0, v1;

	;;#ASMEND
	;;#ASMSTART
	v_pk_add_f16 v0, v0, v2;

	;;#ASMEND
	;; [unrolled: 4-line block ×3, first 2 shown]
	v_and_b32_e32 v1, 0xffff, v0
	v_lshrrev_b32_e32 v0, 16, v0
	;;#ASMSTART
	v_cvt_f32_f16 v57, v1;
	;;#ASMEND
	;;#ASMSTART
	v_cvt_f32_f16 v58, v0;
	;;#ASMEND
	global_load_b128 v[2:5], v[34:35], off offset:1024
	s_wait_loadcnt 0x0
	v_dual_lshrrev_b32 v1, 16, v3 :: v_dual_lshrrev_b32 v36, 16, v2
	v_lshrrev_b32_e32 v50, 16, v4
	s_and_saveexec_b32 s7, vcc_lo
	s_cbranch_execz .LBB106_42
; %bb.41:                               ;   in Loop: Header=BB106_36 Depth=1
	v_cmp_gt_i32_e64 s0, s21, v40
	v_and_b32_e32 v0, 0xffff, v5
	v_and_b32_e32 v5, 0xffff0000, v5
	s_delay_alu instid0(VALU_DEP_3) | instskip(SKIP_1) | instid1(VALU_DEP_1)
	v_cndmask_b32_e64 v2, 0, v2, s0
	v_cmp_gt_i32_e64 s0, s21, v48
	v_cndmask_b32_e64 v3, 0, v3, s0
	v_cmp_gt_i32_e64 s0, s6, v49
	s_delay_alu instid0(VALU_DEP_1) | instskip(SKIP_1) | instid1(VALU_DEP_1)
	v_cndmask_b32_e64 v1, 0, v1, s0
	v_cmp_gt_i32_e64 s0, s21, v47
	v_cndmask_b32_e64 v36, 0, v36, s0
	v_cmp_gt_i32_e64 s0, s21, v46
	s_delay_alu instid0(VALU_DEP_1) | instskip(SKIP_1) | instid1(VALU_DEP_1)
	;; [unrolled: 5-line block ×3, first 2 shown]
	v_dual_cndmask_b32 v4, 0, v4, s0 :: v_dual_bitop2_b32 v5, v0, v5 bitop3:0x54
	v_cmp_gt_i32_e64 s0, s21, v43
	v_cndmask_b32_e64 v50, 0, v50, s0
.LBB106_42:                             ;   in Loop: Header=BB106_36 Depth=1
	s_or_b32 exec_lo, exec_lo, s7
	v_dual_lshlrev_b32 v0, 16, v36 :: v_dual_lshlrev_b32 v1, 16, v1
	s_delay_alu instid0(VALU_DEP_2) | instskip(NEXT) | instid1(VALU_DEP_2)
	v_lshlrev_b32_e32 v36, 16, v50
	v_and_or_b32 v0, 0xffff, v2, v0
	s_delay_alu instid0(VALU_DEP_3) | instskip(NEXT) | instid1(VALU_DEP_3)
	v_and_or_b32 v1, 0xffff, v3, v1
	v_and_or_b32 v2, 0xffff, v4, v36
	;;#ASMSTART
	v_pk_mul_f16 v0, v52, v0;

	;;#ASMEND
	;;#ASMSTART
	v_pk_mul_f16 v1, v51, v1;

	;;#ASMEND
	;; [unrolled: 4-line block ×4, first 2 shown]
	;;#ASMSTART
	v_pk_add_f16 v0, v0, v1;

	;;#ASMEND
	;;#ASMSTART
	v_pk_add_f16 v0, v0, v2;

	;;#ASMEND
	;; [unrolled: 4-line block ×3, first 2 shown]
	v_and_b32_e32 v1, 0xffff, v0
	v_lshrrev_b32_e32 v0, 16, v0
	;;#ASMSTART
	v_cvt_f32_f16 v59, v1;
	;;#ASMEND
	;;#ASMSTART
	v_cvt_f32_f16 v60, v0;
	;;#ASMEND
	global_load_b128 v[2:5], v[34:35], off offset:1536
	s_wait_loadcnt 0x0
	v_dual_lshrrev_b32 v1, 16, v3 :: v_dual_lshrrev_b32 v36, 16, v2
	v_lshrrev_b32_e32 v50, 16, v4
	s_and_saveexec_b32 s7, vcc_lo
	s_cbranch_execz .LBB106_44
; %bb.43:                               ;   in Loop: Header=BB106_36 Depth=1
	v_cmp_gt_i32_e64 s0, s21, v40
	v_and_b32_e32 v0, 0xffff, v5
	v_and_b32_e32 v5, 0xffff0000, v5
	s_delay_alu instid0(VALU_DEP_3) | instskip(SKIP_1) | instid1(VALU_DEP_1)
	v_cndmask_b32_e64 v2, 0, v2, s0
	v_cmp_gt_i32_e64 s0, s21, v48
	v_cndmask_b32_e64 v3, 0, v3, s0
	v_cmp_gt_i32_e64 s0, s6, v49
	s_delay_alu instid0(VALU_DEP_1) | instskip(SKIP_1) | instid1(VALU_DEP_1)
	v_cndmask_b32_e64 v1, 0, v1, s0
	v_cmp_gt_i32_e64 s0, s21, v47
	v_cndmask_b32_e64 v36, 0, v36, s0
	v_cmp_gt_i32_e64 s0, s21, v46
	s_delay_alu instid0(VALU_DEP_1) | instskip(SKIP_1) | instid1(VALU_DEP_1)
	;; [unrolled: 5-line block ×3, first 2 shown]
	v_dual_cndmask_b32 v4, 0, v4, s0 :: v_dual_bitop2_b32 v5, v0, v5 bitop3:0x54
	v_cmp_gt_i32_e64 s0, s21, v43
	v_cndmask_b32_e64 v50, 0, v50, s0
.LBB106_44:                             ;   in Loop: Header=BB106_36 Depth=1
	s_or_b32 exec_lo, exec_lo, s7
	v_dual_lshlrev_b32 v0, 16, v36 :: v_dual_lshlrev_b32 v1, 16, v1
	s_delay_alu instid0(VALU_DEP_2) | instskip(NEXT) | instid1(VALU_DEP_2)
	v_lshlrev_b32_e32 v36, 16, v50
	v_and_or_b32 v0, 0xffff, v2, v0
	s_delay_alu instid0(VALU_DEP_3) | instskip(NEXT) | instid1(VALU_DEP_3)
	v_and_or_b32 v1, 0xffff, v3, v1
	v_and_or_b32 v2, 0xffff, v4, v36
	;;#ASMSTART
	v_pk_mul_f16 v0, v52, v0;

	;;#ASMEND
	;;#ASMSTART
	v_pk_mul_f16 v1, v51, v1;

	;;#ASMEND
	;;#ASMSTART
	v_pk_mul_f16 v2, v53, v2;

	;;#ASMEND
	;;#ASMSTART
	v_pk_mul_f16 v3, v54, v5;

	;;#ASMEND
	;;#ASMSTART
	v_pk_add_f16 v0, v0, v1;

	;;#ASMEND
	;;#ASMSTART
	v_pk_add_f16 v0, v0, v2;

	;;#ASMEND
	;;#ASMSTART
	v_pk_add_f16 v0, v0, v3;

	;;#ASMEND
	v_and_b32_e32 v1, 0xffff, v0
	v_lshrrev_b32_e32 v0, 16, v0
	;;#ASMSTART
	v_cvt_f32_f16 v61, v1;
	;;#ASMEND
	;;#ASMSTART
	v_cvt_f32_f16 v62, v0;
	;;#ASMEND
	global_load_b128 v[2:5], v[34:35], off offset:2048
	s_wait_loadcnt 0x0
	v_dual_lshrrev_b32 v1, 16, v3 :: v_dual_lshrrev_b32 v36, 16, v2
	v_lshrrev_b32_e32 v50, 16, v4
	s_and_saveexec_b32 s7, vcc_lo
	s_cbranch_execz .LBB106_46
; %bb.45:                               ;   in Loop: Header=BB106_36 Depth=1
	v_cmp_gt_i32_e64 s0, s21, v40
	v_and_b32_e32 v0, 0xffff, v5
	v_and_b32_e32 v5, 0xffff0000, v5
	s_delay_alu instid0(VALU_DEP_3) | instskip(SKIP_1) | instid1(VALU_DEP_1)
	v_cndmask_b32_e64 v2, 0, v2, s0
	v_cmp_gt_i32_e64 s0, s21, v48
	v_cndmask_b32_e64 v3, 0, v3, s0
	v_cmp_gt_i32_e64 s0, s6, v49
	s_delay_alu instid0(VALU_DEP_1) | instskip(SKIP_1) | instid1(VALU_DEP_1)
	v_cndmask_b32_e64 v1, 0, v1, s0
	v_cmp_gt_i32_e64 s0, s21, v47
	v_cndmask_b32_e64 v36, 0, v36, s0
	v_cmp_gt_i32_e64 s0, s21, v46
	s_delay_alu instid0(VALU_DEP_1) | instskip(SKIP_1) | instid1(VALU_DEP_1)
	;; [unrolled: 5-line block ×3, first 2 shown]
	v_dual_cndmask_b32 v4, 0, v4, s0 :: v_dual_bitop2_b32 v5, v0, v5 bitop3:0x54
	v_cmp_gt_i32_e64 s0, s21, v43
	v_cndmask_b32_e64 v50, 0, v50, s0
.LBB106_46:                             ;   in Loop: Header=BB106_36 Depth=1
	s_or_b32 exec_lo, exec_lo, s7
	v_dual_lshlrev_b32 v0, 16, v36 :: v_dual_lshlrev_b32 v1, 16, v1
	s_delay_alu instid0(VALU_DEP_2) | instskip(NEXT) | instid1(VALU_DEP_2)
	v_lshlrev_b32_e32 v36, 16, v50
	v_and_or_b32 v0, 0xffff, v2, v0
	s_delay_alu instid0(VALU_DEP_3) | instskip(NEXT) | instid1(VALU_DEP_3)
	v_and_or_b32 v1, 0xffff, v3, v1
	v_and_or_b32 v2, 0xffff, v4, v36
	;;#ASMSTART
	v_pk_mul_f16 v0, v52, v0;

	;;#ASMEND
	;;#ASMSTART
	v_pk_mul_f16 v1, v51, v1;

	;;#ASMEND
	;; [unrolled: 4-line block ×4, first 2 shown]
	;;#ASMSTART
	v_pk_add_f16 v0, v0, v1;

	;;#ASMEND
	;;#ASMSTART
	v_pk_add_f16 v0, v0, v2;

	;;#ASMEND
	;; [unrolled: 4-line block ×3, first 2 shown]
	v_and_b32_e32 v1, 0xffff, v0
	v_lshrrev_b32_e32 v0, 16, v0
	;;#ASMSTART
	v_cvt_f32_f16 v63, v1;
	;;#ASMEND
	;;#ASMSTART
	v_cvt_f32_f16 v64, v0;
	;;#ASMEND
	global_load_b128 v[2:5], v[34:35], off offset:2560
	s_wait_loadcnt 0x0
	v_dual_lshrrev_b32 v1, 16, v3 :: v_dual_lshrrev_b32 v36, 16, v2
	v_lshrrev_b32_e32 v50, 16, v4
	s_and_saveexec_b32 s7, vcc_lo
	s_cbranch_execz .LBB106_48
; %bb.47:                               ;   in Loop: Header=BB106_36 Depth=1
	v_cmp_gt_i32_e64 s0, s21, v40
	v_and_b32_e32 v0, 0xffff, v5
	v_and_b32_e32 v5, 0xffff0000, v5
	s_delay_alu instid0(VALU_DEP_3) | instskip(SKIP_1) | instid1(VALU_DEP_1)
	v_cndmask_b32_e64 v2, 0, v2, s0
	v_cmp_gt_i32_e64 s0, s21, v48
	v_cndmask_b32_e64 v3, 0, v3, s0
	v_cmp_gt_i32_e64 s0, s6, v49
	s_delay_alu instid0(VALU_DEP_1) | instskip(SKIP_1) | instid1(VALU_DEP_1)
	v_cndmask_b32_e64 v1, 0, v1, s0
	v_cmp_gt_i32_e64 s0, s21, v47
	v_cndmask_b32_e64 v36, 0, v36, s0
	v_cmp_gt_i32_e64 s0, s21, v46
	s_delay_alu instid0(VALU_DEP_1) | instskip(SKIP_1) | instid1(VALU_DEP_1)
	;; [unrolled: 5-line block ×3, first 2 shown]
	v_dual_cndmask_b32 v4, 0, v4, s0 :: v_dual_bitop2_b32 v5, v0, v5 bitop3:0x54
	v_cmp_gt_i32_e64 s0, s21, v43
	v_cndmask_b32_e64 v50, 0, v50, s0
.LBB106_48:                             ;   in Loop: Header=BB106_36 Depth=1
	s_or_b32 exec_lo, exec_lo, s7
	v_dual_lshlrev_b32 v0, 16, v36 :: v_dual_lshlrev_b32 v1, 16, v1
	s_delay_alu instid0(VALU_DEP_2) | instskip(NEXT) | instid1(VALU_DEP_2)
	v_lshlrev_b32_e32 v36, 16, v50
	v_and_or_b32 v0, 0xffff, v2, v0
	s_delay_alu instid0(VALU_DEP_3) | instskip(NEXT) | instid1(VALU_DEP_3)
	v_and_or_b32 v1, 0xffff, v3, v1
	v_and_or_b32 v2, 0xffff, v4, v36
	;;#ASMSTART
	v_pk_mul_f16 v0, v52, v0;

	;;#ASMEND
	;;#ASMSTART
	v_pk_mul_f16 v1, v51, v1;

	;;#ASMEND
	;; [unrolled: 4-line block ×4, first 2 shown]
	;;#ASMSTART
	v_pk_add_f16 v0, v0, v1;

	;;#ASMEND
	;;#ASMSTART
	v_pk_add_f16 v0, v0, v2;

	;;#ASMEND
	;; [unrolled: 4-line block ×3, first 2 shown]
	v_and_b32_e32 v1, 0xffff, v0
	v_lshrrev_b32_e32 v0, 16, v0
	;;#ASMSTART
	v_cvt_f32_f16 v65, v1;
	;;#ASMEND
	;;#ASMSTART
	v_cvt_f32_f16 v66, v0;
	;;#ASMEND
	global_load_b128 v[2:5], v[34:35], off offset:3072
	s_wait_loadcnt 0x0
	v_dual_lshrrev_b32 v1, 16, v3 :: v_dual_lshrrev_b32 v36, 16, v2
	v_lshrrev_b32_e32 v50, 16, v4
	s_and_saveexec_b32 s7, vcc_lo
	s_cbranch_execz .LBB106_50
; %bb.49:                               ;   in Loop: Header=BB106_36 Depth=1
	v_cmp_gt_i32_e64 s0, s21, v40
	v_and_b32_e32 v0, 0xffff, v5
	v_and_b32_e32 v5, 0xffff0000, v5
	s_delay_alu instid0(VALU_DEP_3) | instskip(SKIP_1) | instid1(VALU_DEP_1)
	v_cndmask_b32_e64 v2, 0, v2, s0
	v_cmp_gt_i32_e64 s0, s21, v48
	v_cndmask_b32_e64 v3, 0, v3, s0
	v_cmp_gt_i32_e64 s0, s6, v49
	s_delay_alu instid0(VALU_DEP_1) | instskip(SKIP_1) | instid1(VALU_DEP_1)
	v_cndmask_b32_e64 v1, 0, v1, s0
	v_cmp_gt_i32_e64 s0, s21, v47
	v_cndmask_b32_e64 v36, 0, v36, s0
	v_cmp_gt_i32_e64 s0, s21, v46
	s_delay_alu instid0(VALU_DEP_1) | instskip(SKIP_1) | instid1(VALU_DEP_1)
	;; [unrolled: 5-line block ×3, first 2 shown]
	v_dual_cndmask_b32 v4, 0, v4, s0 :: v_dual_bitop2_b32 v5, v0, v5 bitop3:0x54
	v_cmp_gt_i32_e64 s0, s21, v43
	v_cndmask_b32_e64 v50, 0, v50, s0
.LBB106_50:                             ;   in Loop: Header=BB106_36 Depth=1
	s_or_b32 exec_lo, exec_lo, s7
	v_dual_lshlrev_b32 v0, 16, v36 :: v_dual_lshlrev_b32 v1, 16, v1
	s_delay_alu instid0(VALU_DEP_2) | instskip(NEXT) | instid1(VALU_DEP_2)
	v_lshlrev_b32_e32 v36, 16, v50
	v_and_or_b32 v0, 0xffff, v2, v0
	s_delay_alu instid0(VALU_DEP_3) | instskip(NEXT) | instid1(VALU_DEP_3)
	v_and_or_b32 v1, 0xffff, v3, v1
	v_and_or_b32 v2, 0xffff, v4, v36
	;;#ASMSTART
	v_pk_mul_f16 v0, v52, v0;

	;;#ASMEND
	;;#ASMSTART
	v_pk_mul_f16 v1, v51, v1;

	;;#ASMEND
	;; [unrolled: 4-line block ×4, first 2 shown]
	;;#ASMSTART
	v_pk_add_f16 v0, v0, v1;

	;;#ASMEND
	;;#ASMSTART
	v_pk_add_f16 v0, v0, v2;

	;;#ASMEND
	;; [unrolled: 4-line block ×3, first 2 shown]
	v_and_b32_e32 v1, 0xffff, v0
	v_lshrrev_b32_e32 v0, 16, v0
	;;#ASMSTART
	v_cvt_f32_f16 v67, v1;
	;;#ASMEND
	;;#ASMSTART
	v_cvt_f32_f16 v68, v0;
	;;#ASMEND
	global_load_b128 v[2:5], v[34:35], off offset:3584
	s_wait_loadcnt 0x0
	v_dual_lshrrev_b32 v1, 16, v3 :: v_dual_lshrrev_b32 v36, 16, v2
	v_lshrrev_b32_e32 v50, 16, v4
	s_and_saveexec_b32 s7, vcc_lo
	s_cbranch_execz .LBB106_52
; %bb.51:                               ;   in Loop: Header=BB106_36 Depth=1
	v_cmp_gt_i32_e64 s0, s21, v40
	v_and_b32_e32 v0, 0xffff, v5
	v_and_b32_e32 v5, 0xffff0000, v5
	s_delay_alu instid0(VALU_DEP_3) | instskip(SKIP_1) | instid1(VALU_DEP_1)
	v_cndmask_b32_e64 v2, 0, v2, s0
	v_cmp_gt_i32_e64 s0, s21, v48
	v_cndmask_b32_e64 v3, 0, v3, s0
	v_cmp_gt_i32_e64 s0, s6, v49
	s_delay_alu instid0(VALU_DEP_1) | instskip(SKIP_1) | instid1(VALU_DEP_1)
	v_cndmask_b32_e64 v1, 0, v1, s0
	v_cmp_gt_i32_e64 s0, s21, v47
	v_cndmask_b32_e64 v36, 0, v36, s0
	v_cmp_gt_i32_e64 s0, s21, v46
	s_delay_alu instid0(VALU_DEP_1) | instskip(SKIP_1) | instid1(VALU_DEP_1)
	;; [unrolled: 5-line block ×3, first 2 shown]
	v_dual_cndmask_b32 v4, 0, v4, s0 :: v_dual_bitop2_b32 v5, v0, v5 bitop3:0x54
	v_cmp_gt_i32_e64 s0, s21, v43
	v_cndmask_b32_e64 v50, 0, v50, s0
.LBB106_52:                             ;   in Loop: Header=BB106_36 Depth=1
	s_or_b32 exec_lo, exec_lo, s7
	v_dual_lshlrev_b32 v0, 16, v36 :: v_dual_lshlrev_b32 v1, 16, v1
	s_delay_alu instid0(VALU_DEP_2) | instskip(NEXT) | instid1(VALU_DEP_2)
	v_lshlrev_b32_e32 v36, 16, v50
	v_and_or_b32 v0, 0xffff, v2, v0
	s_delay_alu instid0(VALU_DEP_3) | instskip(NEXT) | instid1(VALU_DEP_3)
	v_and_or_b32 v1, 0xffff, v3, v1
	v_and_or_b32 v2, 0xffff, v4, v36
	;;#ASMSTART
	v_pk_mul_f16 v0, v52, v0;

	;;#ASMEND
	;;#ASMSTART
	v_pk_mul_f16 v1, v51, v1;

	;;#ASMEND
	;; [unrolled: 4-line block ×4, first 2 shown]
	;;#ASMSTART
	v_pk_add_f16 v0, v0, v1;

	;;#ASMEND
	;;#ASMSTART
	v_pk_add_f16 v0, v0, v2;

	;;#ASMEND
	;; [unrolled: 4-line block ×3, first 2 shown]
	v_and_b32_e32 v1, 0xffff, v0
	v_lshrrev_b32_e32 v0, 16, v0
	;;#ASMSTART
	v_cvt_f32_f16 v69, v1;
	;;#ASMEND
	;;#ASMSTART
	v_cvt_f32_f16 v70, v0;
	;;#ASMEND
	global_load_b128 v[2:5], v[34:35], off offset:4096
	s_wait_loadcnt 0x0
	v_dual_lshrrev_b32 v1, 16, v3 :: v_dual_lshrrev_b32 v36, 16, v2
	v_lshrrev_b32_e32 v50, 16, v4
	s_and_saveexec_b32 s7, vcc_lo
	s_cbranch_execz .LBB106_54
; %bb.53:                               ;   in Loop: Header=BB106_36 Depth=1
	v_cmp_gt_i32_e64 s0, s21, v40
	v_and_b32_e32 v0, 0xffff, v5
	v_and_b32_e32 v5, 0xffff0000, v5
	s_delay_alu instid0(VALU_DEP_3) | instskip(SKIP_1) | instid1(VALU_DEP_1)
	v_cndmask_b32_e64 v2, 0, v2, s0
	v_cmp_gt_i32_e64 s0, s21, v48
	v_cndmask_b32_e64 v3, 0, v3, s0
	v_cmp_gt_i32_e64 s0, s6, v49
	s_delay_alu instid0(VALU_DEP_1) | instskip(SKIP_1) | instid1(VALU_DEP_1)
	v_cndmask_b32_e64 v1, 0, v1, s0
	v_cmp_gt_i32_e64 s0, s21, v47
	v_cndmask_b32_e64 v36, 0, v36, s0
	v_cmp_gt_i32_e64 s0, s21, v46
	s_delay_alu instid0(VALU_DEP_1) | instskip(SKIP_1) | instid1(VALU_DEP_1)
	;; [unrolled: 5-line block ×3, first 2 shown]
	v_dual_cndmask_b32 v4, 0, v4, s0 :: v_dual_bitop2_b32 v5, v0, v5 bitop3:0x54
	v_cmp_gt_i32_e64 s0, s21, v43
	v_cndmask_b32_e64 v50, 0, v50, s0
.LBB106_54:                             ;   in Loop: Header=BB106_36 Depth=1
	s_or_b32 exec_lo, exec_lo, s7
	v_dual_lshlrev_b32 v0, 16, v36 :: v_dual_lshlrev_b32 v1, 16, v1
	s_delay_alu instid0(VALU_DEP_2) | instskip(NEXT) | instid1(VALU_DEP_2)
	v_lshlrev_b32_e32 v36, 16, v50
	v_and_or_b32 v0, 0xffff, v2, v0
	s_delay_alu instid0(VALU_DEP_3) | instskip(NEXT) | instid1(VALU_DEP_3)
	v_and_or_b32 v1, 0xffff, v3, v1
	v_and_or_b32 v2, 0xffff, v4, v36
	;;#ASMSTART
	v_pk_mul_f16 v0, v52, v0;

	;;#ASMEND
	;;#ASMSTART
	v_pk_mul_f16 v1, v51, v1;

	;;#ASMEND
	;; [unrolled: 4-line block ×4, first 2 shown]
	;;#ASMSTART
	v_pk_add_f16 v0, v0, v1;

	;;#ASMEND
	;;#ASMSTART
	v_pk_add_f16 v0, v0, v2;

	;;#ASMEND
	;; [unrolled: 4-line block ×3, first 2 shown]
	v_and_b32_e32 v1, 0xffff, v0
	v_lshrrev_b32_e32 v0, 16, v0
	;;#ASMSTART
	v_cvt_f32_f16 v71, v1;
	;;#ASMEND
	;;#ASMSTART
	v_cvt_f32_f16 v72, v0;
	;;#ASMEND
	global_load_b128 v[2:5], v[34:35], off offset:4608
	s_wait_loadcnt 0x0
	v_dual_lshrrev_b32 v1, 16, v3 :: v_dual_lshrrev_b32 v36, 16, v2
	v_lshrrev_b32_e32 v50, 16, v4
	s_and_saveexec_b32 s7, vcc_lo
	s_cbranch_execz .LBB106_56
; %bb.55:                               ;   in Loop: Header=BB106_36 Depth=1
	v_cmp_gt_i32_e64 s0, s21, v40
	v_and_b32_e32 v0, 0xffff, v5
	v_and_b32_e32 v5, 0xffff0000, v5
	s_delay_alu instid0(VALU_DEP_3) | instskip(SKIP_1) | instid1(VALU_DEP_1)
	v_cndmask_b32_e64 v2, 0, v2, s0
	v_cmp_gt_i32_e64 s0, s21, v48
	v_cndmask_b32_e64 v3, 0, v3, s0
	v_cmp_gt_i32_e64 s0, s6, v49
	s_delay_alu instid0(VALU_DEP_1) | instskip(SKIP_1) | instid1(VALU_DEP_1)
	v_cndmask_b32_e64 v1, 0, v1, s0
	v_cmp_gt_i32_e64 s0, s21, v47
	v_cndmask_b32_e64 v36, 0, v36, s0
	v_cmp_gt_i32_e64 s0, s21, v46
	s_delay_alu instid0(VALU_DEP_1) | instskip(SKIP_1) | instid1(VALU_DEP_1)
	;; [unrolled: 5-line block ×3, first 2 shown]
	v_dual_cndmask_b32 v4, 0, v4, s0 :: v_dual_bitop2_b32 v5, v0, v5 bitop3:0x54
	v_cmp_gt_i32_e64 s0, s21, v43
	v_cndmask_b32_e64 v50, 0, v50, s0
.LBB106_56:                             ;   in Loop: Header=BB106_36 Depth=1
	s_or_b32 exec_lo, exec_lo, s7
	v_dual_lshlrev_b32 v0, 16, v36 :: v_dual_lshlrev_b32 v1, 16, v1
	s_delay_alu instid0(VALU_DEP_2) | instskip(NEXT) | instid1(VALU_DEP_2)
	v_lshlrev_b32_e32 v36, 16, v50
	v_and_or_b32 v0, 0xffff, v2, v0
	s_delay_alu instid0(VALU_DEP_3) | instskip(NEXT) | instid1(VALU_DEP_3)
	v_and_or_b32 v1, 0xffff, v3, v1
	v_and_or_b32 v2, 0xffff, v4, v36
	;;#ASMSTART
	v_pk_mul_f16 v0, v52, v0;

	;;#ASMEND
	;;#ASMSTART
	v_pk_mul_f16 v1, v51, v1;

	;;#ASMEND
	;; [unrolled: 4-line block ×4, first 2 shown]
	;;#ASMSTART
	v_pk_add_f16 v0, v0, v1;

	;;#ASMEND
	;;#ASMSTART
	v_pk_add_f16 v0, v0, v2;

	;;#ASMEND
	;; [unrolled: 4-line block ×3, first 2 shown]
	v_and_b32_e32 v1, 0xffff, v0
	v_lshrrev_b32_e32 v0, 16, v0
	;;#ASMSTART
	v_cvt_f32_f16 v73, v1;
	;;#ASMEND
	;;#ASMSTART
	v_cvt_f32_f16 v74, v0;
	;;#ASMEND
	global_load_b128 v[2:5], v[34:35], off offset:5120
	s_wait_loadcnt 0x0
	v_dual_lshrrev_b32 v1, 16, v3 :: v_dual_lshrrev_b32 v36, 16, v2
	v_lshrrev_b32_e32 v50, 16, v4
	s_and_saveexec_b32 s7, vcc_lo
	s_cbranch_execz .LBB106_58
; %bb.57:                               ;   in Loop: Header=BB106_36 Depth=1
	v_cmp_gt_i32_e64 s0, s21, v40
	v_and_b32_e32 v0, 0xffff, v5
	v_and_b32_e32 v5, 0xffff0000, v5
	s_delay_alu instid0(VALU_DEP_3) | instskip(SKIP_1) | instid1(VALU_DEP_1)
	v_cndmask_b32_e64 v2, 0, v2, s0
	v_cmp_gt_i32_e64 s0, s21, v48
	v_cndmask_b32_e64 v3, 0, v3, s0
	v_cmp_gt_i32_e64 s0, s6, v49
	s_delay_alu instid0(VALU_DEP_1) | instskip(SKIP_1) | instid1(VALU_DEP_1)
	v_cndmask_b32_e64 v1, 0, v1, s0
	v_cmp_gt_i32_e64 s0, s21, v47
	v_cndmask_b32_e64 v36, 0, v36, s0
	v_cmp_gt_i32_e64 s0, s21, v46
	s_delay_alu instid0(VALU_DEP_1) | instskip(SKIP_1) | instid1(VALU_DEP_1)
	;; [unrolled: 5-line block ×3, first 2 shown]
	v_dual_cndmask_b32 v4, 0, v4, s0 :: v_dual_bitop2_b32 v5, v0, v5 bitop3:0x54
	v_cmp_gt_i32_e64 s0, s21, v43
	v_cndmask_b32_e64 v50, 0, v50, s0
.LBB106_58:                             ;   in Loop: Header=BB106_36 Depth=1
	s_or_b32 exec_lo, exec_lo, s7
	v_dual_lshlrev_b32 v0, 16, v36 :: v_dual_lshlrev_b32 v1, 16, v1
	s_delay_alu instid0(VALU_DEP_2) | instskip(NEXT) | instid1(VALU_DEP_2)
	v_lshlrev_b32_e32 v36, 16, v50
	v_and_or_b32 v0, 0xffff, v2, v0
	s_delay_alu instid0(VALU_DEP_3) | instskip(NEXT) | instid1(VALU_DEP_3)
	v_and_or_b32 v1, 0xffff, v3, v1
	v_and_or_b32 v2, 0xffff, v4, v36
	;;#ASMSTART
	v_pk_mul_f16 v0, v52, v0;

	;;#ASMEND
	;;#ASMSTART
	v_pk_mul_f16 v1, v51, v1;

	;;#ASMEND
	;; [unrolled: 4-line block ×4, first 2 shown]
	;;#ASMSTART
	v_pk_add_f16 v0, v0, v1;

	;;#ASMEND
	;;#ASMSTART
	v_pk_add_f16 v0, v0, v2;

	;;#ASMEND
	;;#ASMSTART
	v_pk_add_f16 v0, v0, v3;

	;;#ASMEND
	v_and_b32_e32 v1, 0xffff, v0
	v_lshrrev_b32_e32 v0, 16, v0
	;;#ASMSTART
	v_cvt_f32_f16 v75, v1;
	;;#ASMEND
	;;#ASMSTART
	v_cvt_f32_f16 v76, v0;
	;;#ASMEND
	global_load_b128 v[2:5], v[34:35], off offset:5632
	s_wait_loadcnt 0x0
	v_dual_lshrrev_b32 v1, 16, v3 :: v_dual_lshrrev_b32 v36, 16, v2
	v_lshrrev_b32_e32 v50, 16, v4
	s_and_saveexec_b32 s7, vcc_lo
	s_cbranch_execz .LBB106_60
; %bb.59:                               ;   in Loop: Header=BB106_36 Depth=1
	v_cmp_gt_i32_e64 s0, s21, v40
	v_and_b32_e32 v0, 0xffff, v5
	v_and_b32_e32 v5, 0xffff0000, v5
	s_delay_alu instid0(VALU_DEP_3) | instskip(SKIP_1) | instid1(VALU_DEP_1)
	v_cndmask_b32_e64 v2, 0, v2, s0
	v_cmp_gt_i32_e64 s0, s21, v48
	v_cndmask_b32_e64 v3, 0, v3, s0
	v_cmp_gt_i32_e64 s0, s6, v49
	s_delay_alu instid0(VALU_DEP_1) | instskip(SKIP_1) | instid1(VALU_DEP_1)
	v_cndmask_b32_e64 v1, 0, v1, s0
	v_cmp_gt_i32_e64 s0, s21, v47
	v_cndmask_b32_e64 v36, 0, v36, s0
	v_cmp_gt_i32_e64 s0, s21, v46
	s_delay_alu instid0(VALU_DEP_1) | instskip(SKIP_1) | instid1(VALU_DEP_1)
	;; [unrolled: 5-line block ×3, first 2 shown]
	v_dual_cndmask_b32 v4, 0, v4, s0 :: v_dual_bitop2_b32 v5, v0, v5 bitop3:0x54
	v_cmp_gt_i32_e64 s0, s21, v43
	v_cndmask_b32_e64 v50, 0, v50, s0
.LBB106_60:                             ;   in Loop: Header=BB106_36 Depth=1
	s_or_b32 exec_lo, exec_lo, s7
	v_dual_lshlrev_b32 v0, 16, v36 :: v_dual_lshlrev_b32 v1, 16, v1
	s_delay_alu instid0(VALU_DEP_2) | instskip(NEXT) | instid1(VALU_DEP_2)
	v_lshlrev_b32_e32 v36, 16, v50
	v_and_or_b32 v0, 0xffff, v2, v0
	s_delay_alu instid0(VALU_DEP_3) | instskip(NEXT) | instid1(VALU_DEP_3)
	v_and_or_b32 v1, 0xffff, v3, v1
	v_and_or_b32 v2, 0xffff, v4, v36
	;;#ASMSTART
	v_pk_mul_f16 v0, v52, v0;

	;;#ASMEND
	;;#ASMSTART
	v_pk_mul_f16 v1, v51, v1;

	;;#ASMEND
	;; [unrolled: 4-line block ×4, first 2 shown]
	;;#ASMSTART
	v_pk_add_f16 v0, v0, v1;

	;;#ASMEND
	;;#ASMSTART
	v_pk_add_f16 v0, v0, v2;

	;;#ASMEND
	;; [unrolled: 4-line block ×3, first 2 shown]
	v_and_b32_e32 v1, 0xffff, v0
	v_lshrrev_b32_e32 v0, 16, v0
	;;#ASMSTART
	v_cvt_f32_f16 v77, v1;
	;;#ASMEND
	;;#ASMSTART
	v_cvt_f32_f16 v78, v0;
	;;#ASMEND
	global_load_b128 v[2:5], v[34:35], off offset:6144
	s_wait_loadcnt 0x0
	v_dual_lshrrev_b32 v1, 16, v3 :: v_dual_lshrrev_b32 v36, 16, v2
	v_lshrrev_b32_e32 v50, 16, v4
	s_and_saveexec_b32 s7, vcc_lo
	s_cbranch_execz .LBB106_62
; %bb.61:                               ;   in Loop: Header=BB106_36 Depth=1
	v_cmp_gt_i32_e64 s0, s21, v40
	v_and_b32_e32 v0, 0xffff, v5
	v_and_b32_e32 v5, 0xffff0000, v5
	s_delay_alu instid0(VALU_DEP_3) | instskip(SKIP_1) | instid1(VALU_DEP_1)
	v_cndmask_b32_e64 v2, 0, v2, s0
	v_cmp_gt_i32_e64 s0, s21, v48
	v_cndmask_b32_e64 v3, 0, v3, s0
	v_cmp_gt_i32_e64 s0, s6, v49
	s_delay_alu instid0(VALU_DEP_1) | instskip(SKIP_1) | instid1(VALU_DEP_1)
	v_cndmask_b32_e64 v1, 0, v1, s0
	v_cmp_gt_i32_e64 s0, s21, v47
	v_cndmask_b32_e64 v36, 0, v36, s0
	v_cmp_gt_i32_e64 s0, s21, v46
	s_delay_alu instid0(VALU_DEP_1) | instskip(SKIP_1) | instid1(VALU_DEP_1)
	;; [unrolled: 5-line block ×3, first 2 shown]
	v_dual_cndmask_b32 v4, 0, v4, s0 :: v_dual_bitop2_b32 v5, v0, v5 bitop3:0x54
	v_cmp_gt_i32_e64 s0, s21, v43
	v_cndmask_b32_e64 v50, 0, v50, s0
.LBB106_62:                             ;   in Loop: Header=BB106_36 Depth=1
	s_or_b32 exec_lo, exec_lo, s7
	v_dual_lshlrev_b32 v0, 16, v36 :: v_dual_lshlrev_b32 v1, 16, v1
	s_delay_alu instid0(VALU_DEP_2) | instskip(NEXT) | instid1(VALU_DEP_2)
	v_lshlrev_b32_e32 v36, 16, v50
	v_and_or_b32 v0, 0xffff, v2, v0
	s_delay_alu instid0(VALU_DEP_3) | instskip(NEXT) | instid1(VALU_DEP_3)
	v_and_or_b32 v1, 0xffff, v3, v1
	v_and_or_b32 v2, 0xffff, v4, v36
	;;#ASMSTART
	v_pk_mul_f16 v0, v52, v0;

	;;#ASMEND
	;;#ASMSTART
	v_pk_mul_f16 v1, v51, v1;

	;;#ASMEND
	;; [unrolled: 4-line block ×4, first 2 shown]
	;;#ASMSTART
	v_pk_add_f16 v0, v0, v1;

	;;#ASMEND
	;;#ASMSTART
	v_pk_add_f16 v0, v0, v2;

	;;#ASMEND
	;; [unrolled: 4-line block ×3, first 2 shown]
	v_and_b32_e32 v1, 0xffff, v0
	v_lshrrev_b32_e32 v0, 16, v0
	;;#ASMSTART
	v_cvt_f32_f16 v79, v1;
	;;#ASMEND
	;;#ASMSTART
	v_cvt_f32_f16 v80, v0;
	;;#ASMEND
	global_load_b128 v[2:5], v[34:35], off offset:6656
	s_wait_loadcnt 0x0
	v_dual_lshrrev_b32 v1, 16, v3 :: v_dual_lshrrev_b32 v36, 16, v2
	v_lshrrev_b32_e32 v50, 16, v4
	s_and_saveexec_b32 s7, vcc_lo
	s_cbranch_execz .LBB106_64
; %bb.63:                               ;   in Loop: Header=BB106_36 Depth=1
	v_cmp_gt_i32_e64 s0, s21, v40
	v_and_b32_e32 v0, 0xffff, v5
	v_and_b32_e32 v5, 0xffff0000, v5
	s_delay_alu instid0(VALU_DEP_3) | instskip(SKIP_1) | instid1(VALU_DEP_1)
	v_cndmask_b32_e64 v2, 0, v2, s0
	v_cmp_gt_i32_e64 s0, s21, v48
	v_cndmask_b32_e64 v3, 0, v3, s0
	v_cmp_gt_i32_e64 s0, s6, v49
	s_delay_alu instid0(VALU_DEP_1) | instskip(SKIP_1) | instid1(VALU_DEP_1)
	v_cndmask_b32_e64 v1, 0, v1, s0
	v_cmp_gt_i32_e64 s0, s21, v47
	v_cndmask_b32_e64 v36, 0, v36, s0
	v_cmp_gt_i32_e64 s0, s21, v46
	s_delay_alu instid0(VALU_DEP_1) | instskip(SKIP_1) | instid1(VALU_DEP_1)
	;; [unrolled: 5-line block ×3, first 2 shown]
	v_dual_cndmask_b32 v4, 0, v4, s0 :: v_dual_bitop2_b32 v5, v0, v5 bitop3:0x54
	v_cmp_gt_i32_e64 s0, s21, v43
	v_cndmask_b32_e64 v50, 0, v50, s0
.LBB106_64:                             ;   in Loop: Header=BB106_36 Depth=1
	s_or_b32 exec_lo, exec_lo, s7
	v_dual_lshlrev_b32 v0, 16, v36 :: v_dual_lshlrev_b32 v1, 16, v1
	s_delay_alu instid0(VALU_DEP_2) | instskip(NEXT) | instid1(VALU_DEP_2)
	v_lshlrev_b32_e32 v36, 16, v50
	v_and_or_b32 v0, 0xffff, v2, v0
	s_delay_alu instid0(VALU_DEP_3) | instskip(NEXT) | instid1(VALU_DEP_3)
	v_and_or_b32 v1, 0xffff, v3, v1
	v_and_or_b32 v2, 0xffff, v4, v36
	;;#ASMSTART
	v_pk_mul_f16 v0, v52, v0;

	;;#ASMEND
	;;#ASMSTART
	v_pk_mul_f16 v1, v51, v1;

	;;#ASMEND
	;; [unrolled: 4-line block ×4, first 2 shown]
	;;#ASMSTART
	v_pk_add_f16 v0, v0, v1;

	;;#ASMEND
	;;#ASMSTART
	v_pk_add_f16 v0, v0, v2;

	;;#ASMEND
	;; [unrolled: 4-line block ×3, first 2 shown]
	v_and_b32_e32 v1, 0xffff, v0
	v_lshrrev_b32_e32 v0, 16, v0
	;;#ASMSTART
	v_cvt_f32_f16 v81, v1;
	;;#ASMEND
	;;#ASMSTART
	v_cvt_f32_f16 v82, v0;
	;;#ASMEND
	global_load_b128 v[2:5], v[34:35], off offset:7168
	s_wait_loadcnt 0x0
	v_dual_lshrrev_b32 v1, 16, v3 :: v_dual_lshrrev_b32 v36, 16, v2
	v_lshrrev_b32_e32 v50, 16, v4
	s_and_saveexec_b32 s7, vcc_lo
	s_cbranch_execz .LBB106_66
; %bb.65:                               ;   in Loop: Header=BB106_36 Depth=1
	v_cmp_gt_i32_e64 s0, s21, v40
	v_and_b32_e32 v0, 0xffff, v5
	v_and_b32_e32 v5, 0xffff0000, v5
	s_delay_alu instid0(VALU_DEP_3) | instskip(SKIP_1) | instid1(VALU_DEP_1)
	v_cndmask_b32_e64 v2, 0, v2, s0
	v_cmp_gt_i32_e64 s0, s21, v48
	v_cndmask_b32_e64 v3, 0, v3, s0
	v_cmp_gt_i32_e64 s0, s6, v49
	s_delay_alu instid0(VALU_DEP_1) | instskip(SKIP_1) | instid1(VALU_DEP_1)
	v_cndmask_b32_e64 v1, 0, v1, s0
	v_cmp_gt_i32_e64 s0, s21, v47
	v_cndmask_b32_e64 v36, 0, v36, s0
	v_cmp_gt_i32_e64 s0, s21, v46
	s_delay_alu instid0(VALU_DEP_1) | instskip(SKIP_1) | instid1(VALU_DEP_1)
	;; [unrolled: 5-line block ×3, first 2 shown]
	v_dual_cndmask_b32 v4, 0, v4, s0 :: v_dual_bitop2_b32 v5, v0, v5 bitop3:0x54
	v_cmp_gt_i32_e64 s0, s21, v43
	v_cndmask_b32_e64 v50, 0, v50, s0
.LBB106_66:                             ;   in Loop: Header=BB106_36 Depth=1
	s_or_b32 exec_lo, exec_lo, s7
	v_dual_lshlrev_b32 v0, 16, v36 :: v_dual_lshlrev_b32 v1, 16, v1
	s_delay_alu instid0(VALU_DEP_2) | instskip(NEXT) | instid1(VALU_DEP_2)
	v_lshlrev_b32_e32 v36, 16, v50
	v_and_or_b32 v0, 0xffff, v2, v0
	s_delay_alu instid0(VALU_DEP_3) | instskip(NEXT) | instid1(VALU_DEP_3)
	v_and_or_b32 v1, 0xffff, v3, v1
	v_and_or_b32 v2, 0xffff, v4, v36
	;;#ASMSTART
	v_pk_mul_f16 v0, v52, v0;

	;;#ASMEND
	;;#ASMSTART
	v_pk_mul_f16 v1, v51, v1;

	;;#ASMEND
	;; [unrolled: 4-line block ×4, first 2 shown]
	;;#ASMSTART
	v_pk_add_f16 v0, v0, v1;

	;;#ASMEND
	;;#ASMSTART
	v_pk_add_f16 v0, v0, v2;

	;;#ASMEND
	;;#ASMSTART
	v_pk_add_f16 v0, v0, v3;

	;;#ASMEND
	v_and_b32_e32 v1, 0xffff, v0
	v_lshrrev_b32_e32 v0, 16, v0
	;;#ASMSTART
	v_cvt_f32_f16 v83, v1;
	;;#ASMEND
	;;#ASMSTART
	v_cvt_f32_f16 v84, v0;
	;;#ASMEND
	global_load_b128 v[2:5], v[34:35], off offset:7680
	s_wait_loadcnt 0x0
	v_dual_lshrrev_b32 v1, 16, v3 :: v_dual_lshrrev_b32 v36, 16, v2
	v_lshrrev_b32_e32 v50, 16, v4
	s_and_saveexec_b32 s7, vcc_lo
	s_cbranch_execz .LBB106_68
; %bb.67:                               ;   in Loop: Header=BB106_36 Depth=1
	v_cmp_gt_i32_e64 s0, s21, v40
	v_and_b32_e32 v0, 0xffff, v5
	v_and_b32_e32 v5, 0xffff0000, v5
	s_delay_alu instid0(VALU_DEP_3) | instskip(SKIP_1) | instid1(VALU_DEP_1)
	v_cndmask_b32_e64 v2, 0, v2, s0
	v_cmp_gt_i32_e64 s0, s21, v48
	v_cndmask_b32_e64 v3, 0, v3, s0
	v_cmp_gt_i32_e64 s0, s6, v49
	s_delay_alu instid0(VALU_DEP_1) | instskip(SKIP_1) | instid1(VALU_DEP_1)
	v_cndmask_b32_e64 v1, 0, v1, s0
	v_cmp_gt_i32_e64 s0, s21, v47
	v_cndmask_b32_e64 v36, 0, v36, s0
	v_cmp_gt_i32_e64 s0, s21, v46
	s_delay_alu instid0(VALU_DEP_1) | instskip(SKIP_1) | instid1(VALU_DEP_1)
	;; [unrolled: 5-line block ×3, first 2 shown]
	v_dual_cndmask_b32 v4, 0, v4, s0 :: v_dual_bitop2_b32 v5, v0, v5 bitop3:0x54
	v_cmp_gt_i32_e64 s0, s21, v43
	v_cndmask_b32_e64 v50, 0, v50, s0
.LBB106_68:                             ;   in Loop: Header=BB106_36 Depth=1
	s_or_b32 exec_lo, exec_lo, s7
	v_dual_lshlrev_b32 v0, 16, v36 :: v_dual_lshlrev_b32 v1, 16, v1
	s_delay_alu instid0(VALU_DEP_2) | instskip(NEXT) | instid1(VALU_DEP_2)
	v_lshlrev_b32_e32 v36, 16, v50
	v_and_or_b32 v0, 0xffff, v2, v0
	s_delay_alu instid0(VALU_DEP_3) | instskip(NEXT) | instid1(VALU_DEP_3)
	v_and_or_b32 v1, 0xffff, v3, v1
	v_and_or_b32 v2, 0xffff, v4, v36
	;;#ASMSTART
	v_pk_mul_f16 v0, v52, v0;

	;;#ASMEND
	;;#ASMSTART
	v_pk_mul_f16 v1, v51, v1;

	;;#ASMEND
	;; [unrolled: 4-line block ×4, first 2 shown]
	;;#ASMSTART
	v_pk_add_f16 v0, v0, v1;

	;;#ASMEND
	;;#ASMSTART
	v_pk_add_f16 v0, v0, v2;

	;;#ASMEND
	;; [unrolled: 4-line block ×3, first 2 shown]
	v_and_b32_e32 v1, 0xffff, v0
	v_lshrrev_b32_e32 v0, 16, v0
	;;#ASMSTART
	v_cvt_f32_f16 v85, v1;
	;;#ASMEND
	;;#ASMSTART
	v_cvt_f32_f16 v86, v0;
	;;#ASMEND
	global_load_b128 v[2:5], v[34:35], off offset:8192
	s_wait_loadcnt 0x0
	v_dual_lshrrev_b32 v1, 16, v3 :: v_dual_lshrrev_b32 v36, 16, v2
	v_lshrrev_b32_e32 v50, 16, v4
	s_and_saveexec_b32 s7, vcc_lo
	s_cbranch_execz .LBB106_70
; %bb.69:                               ;   in Loop: Header=BB106_36 Depth=1
	v_cmp_gt_i32_e64 s0, s21, v40
	v_and_b32_e32 v0, 0xffff, v5
	v_and_b32_e32 v5, 0xffff0000, v5
	s_delay_alu instid0(VALU_DEP_3) | instskip(SKIP_1) | instid1(VALU_DEP_1)
	v_cndmask_b32_e64 v2, 0, v2, s0
	v_cmp_gt_i32_e64 s0, s21, v48
	v_cndmask_b32_e64 v3, 0, v3, s0
	v_cmp_gt_i32_e64 s0, s6, v49
	s_delay_alu instid0(VALU_DEP_1) | instskip(SKIP_1) | instid1(VALU_DEP_1)
	v_cndmask_b32_e64 v1, 0, v1, s0
	v_cmp_gt_i32_e64 s0, s21, v47
	v_cndmask_b32_e64 v36, 0, v36, s0
	v_cmp_gt_i32_e64 s0, s21, v46
	s_delay_alu instid0(VALU_DEP_1) | instskip(SKIP_1) | instid1(VALU_DEP_1)
	;; [unrolled: 5-line block ×3, first 2 shown]
	v_dual_cndmask_b32 v4, 0, v4, s0 :: v_dual_bitop2_b32 v5, v0, v5 bitop3:0x54
	v_cmp_gt_i32_e64 s0, s21, v43
	v_cndmask_b32_e64 v50, 0, v50, s0
.LBB106_70:                             ;   in Loop: Header=BB106_36 Depth=1
	s_or_b32 exec_lo, exec_lo, s7
	v_dual_lshlrev_b32 v0, 16, v36 :: v_dual_lshlrev_b32 v1, 16, v1
	s_delay_alu instid0(VALU_DEP_2) | instskip(NEXT) | instid1(VALU_DEP_2)
	v_lshlrev_b32_e32 v36, 16, v50
	v_and_or_b32 v0, 0xffff, v2, v0
	s_delay_alu instid0(VALU_DEP_3) | instskip(NEXT) | instid1(VALU_DEP_3)
	v_and_or_b32 v1, 0xffff, v3, v1
	v_and_or_b32 v2, 0xffff, v4, v36
	;;#ASMSTART
	v_pk_mul_f16 v0, v52, v0;

	;;#ASMEND
	;;#ASMSTART
	v_pk_mul_f16 v1, v51, v1;

	;;#ASMEND
	;; [unrolled: 4-line block ×4, first 2 shown]
	;;#ASMSTART
	v_pk_add_f16 v0, v0, v1;

	;;#ASMEND
	;;#ASMSTART
	v_pk_add_f16 v0, v0, v2;

	;;#ASMEND
	;; [unrolled: 4-line block ×3, first 2 shown]
	v_and_b32_e32 v1, 0xffff, v0
	v_lshrrev_b32_e32 v0, 16, v0
	;;#ASMSTART
	v_cvt_f32_f16 v87, v1;
	;;#ASMEND
	;;#ASMSTART
	v_cvt_f32_f16 v88, v0;
	;;#ASMEND
	global_load_b128 v[2:5], v[34:35], off offset:8704
	s_wait_loadcnt 0x0
	v_dual_lshrrev_b32 v1, 16, v3 :: v_dual_lshrrev_b32 v36, 16, v2
	v_lshrrev_b32_e32 v50, 16, v4
	s_and_saveexec_b32 s7, vcc_lo
	s_cbranch_execz .LBB106_72
; %bb.71:                               ;   in Loop: Header=BB106_36 Depth=1
	v_cmp_gt_i32_e64 s0, s21, v40
	v_and_b32_e32 v0, 0xffff, v5
	v_and_b32_e32 v5, 0xffff0000, v5
	s_delay_alu instid0(VALU_DEP_3) | instskip(SKIP_1) | instid1(VALU_DEP_1)
	v_cndmask_b32_e64 v2, 0, v2, s0
	v_cmp_gt_i32_e64 s0, s21, v48
	v_cndmask_b32_e64 v3, 0, v3, s0
	v_cmp_gt_i32_e64 s0, s6, v49
	s_delay_alu instid0(VALU_DEP_1) | instskip(SKIP_1) | instid1(VALU_DEP_1)
	v_cndmask_b32_e64 v1, 0, v1, s0
	v_cmp_gt_i32_e64 s0, s21, v47
	v_cndmask_b32_e64 v36, 0, v36, s0
	v_cmp_gt_i32_e64 s0, s21, v46
	s_delay_alu instid0(VALU_DEP_1) | instskip(SKIP_1) | instid1(VALU_DEP_1)
	;; [unrolled: 5-line block ×3, first 2 shown]
	v_dual_cndmask_b32 v4, 0, v4, s0 :: v_dual_bitop2_b32 v5, v0, v5 bitop3:0x54
	v_cmp_gt_i32_e64 s0, s21, v43
	v_cndmask_b32_e64 v50, 0, v50, s0
.LBB106_72:                             ;   in Loop: Header=BB106_36 Depth=1
	s_or_b32 exec_lo, exec_lo, s7
	v_dual_lshlrev_b32 v0, 16, v36 :: v_dual_lshlrev_b32 v1, 16, v1
	s_delay_alu instid0(VALU_DEP_2) | instskip(NEXT) | instid1(VALU_DEP_2)
	v_lshlrev_b32_e32 v36, 16, v50
	v_and_or_b32 v0, 0xffff, v2, v0
	s_delay_alu instid0(VALU_DEP_3) | instskip(NEXT) | instid1(VALU_DEP_3)
	v_and_or_b32 v1, 0xffff, v3, v1
	v_and_or_b32 v2, 0xffff, v4, v36
	;;#ASMSTART
	v_pk_mul_f16 v0, v52, v0;

	;;#ASMEND
	;;#ASMSTART
	v_pk_mul_f16 v1, v51, v1;

	;;#ASMEND
	;; [unrolled: 4-line block ×4, first 2 shown]
	;;#ASMSTART
	v_pk_add_f16 v0, v0, v1;

	;;#ASMEND
	;;#ASMSTART
	v_pk_add_f16 v0, v0, v2;

	;;#ASMEND
	;; [unrolled: 4-line block ×3, first 2 shown]
	v_lshrrev_b32_e32 v2, 16, v0
	v_and_b32_e32 v1, 0xffff, v0
	;;#ASMSTART
	v_cvt_f32_f16 v0, v1;
	;;#ASMEND
	;;#ASMSTART
	v_cvt_f32_f16 v89, v2;
	;;#ASMEND
	global_load_b128 v[2:5], v[34:35], off offset:9216
	s_wait_loadcnt 0x0
	v_dual_lshrrev_b32 v1, 16, v3 :: v_dual_lshrrev_b32 v36, 16, v2
	v_lshrrev_b32_e32 v50, 16, v4
	s_and_saveexec_b32 s7, vcc_lo
	s_cbranch_execz .LBB106_74
; %bb.73:                               ;   in Loop: Header=BB106_36 Depth=1
	v_cmp_gt_i32_e64 s0, s21, v40
	v_and_b32_e32 v90, 0xffff, v5
	v_and_b32_e32 v5, 0xffff0000, v5
	s_delay_alu instid0(VALU_DEP_3) | instskip(SKIP_1) | instid1(VALU_DEP_1)
	v_cndmask_b32_e64 v2, 0, v2, s0
	v_cmp_gt_i32_e64 s0, s21, v48
	v_cndmask_b32_e64 v3, 0, v3, s0
	v_cmp_gt_i32_e64 s0, s6, v49
	s_delay_alu instid0(VALU_DEP_1) | instskip(SKIP_1) | instid1(VALU_DEP_1)
	v_cndmask_b32_e64 v1, 0, v1, s0
	v_cmp_gt_i32_e64 s0, s21, v47
	v_cndmask_b32_e64 v36, 0, v36, s0
	v_cmp_gt_i32_e64 s0, s21, v46
	s_delay_alu instid0(VALU_DEP_1) | instskip(SKIP_1) | instid1(VALU_DEP_1)
	v_cndmask_b32_e64 v90, 0, v90, s0
	v_cmp_gt_i32_e64 s0, s21, v45
	v_cndmask_b32_e64 v5, 0, v5, s0
	v_cmp_gt_i32_e64 s0, s21, v44
	s_delay_alu instid0(VALU_DEP_1) | instskip(SKIP_1) | instid1(VALU_DEP_1)
	v_dual_cndmask_b32 v4, 0, v4, s0 :: v_dual_bitop2_b32 v5, v90, v5 bitop3:0x54
	v_cmp_gt_i32_e64 s0, s21, v43
	v_cndmask_b32_e64 v50, 0, v50, s0
.LBB106_74:                             ;   in Loop: Header=BB106_36 Depth=1
	s_or_b32 exec_lo, exec_lo, s7
	v_dual_lshlrev_b32 v36, 16, v36 :: v_dual_lshlrev_b32 v1, 16, v1
	s_delay_alu instid0(VALU_DEP_2) | instskip(NEXT) | instid1(VALU_DEP_2)
	v_lshlrev_b32_e32 v50, 16, v50
	v_and_or_b32 v2, 0xffff, v2, v36
	s_delay_alu instid0(VALU_DEP_3) | instskip(NEXT) | instid1(VALU_DEP_3)
	v_and_or_b32 v1, 0xffff, v3, v1
	v_and_or_b32 v3, 0xffff, v4, v50
	;;#ASMSTART
	v_pk_mul_f16 v2, v52, v2;

	;;#ASMEND
	;;#ASMSTART
	v_pk_mul_f16 v1, v51, v1;

	;;#ASMEND
	;; [unrolled: 4-line block ×4, first 2 shown]
	;;#ASMSTART
	v_pk_add_f16 v1, v2, v1;

	;;#ASMEND
	;;#ASMSTART
	v_pk_add_f16 v1, v1, v3;

	;;#ASMEND
	;; [unrolled: 4-line block ×3, first 2 shown]
	v_and_b32_e32 v2, 0xffff, v1
	v_lshrrev_b32_e32 v1, 16, v1
	;;#ASMSTART
	v_cvt_f32_f16 v90, v2;
	;;#ASMEND
	;;#ASMSTART
	v_cvt_f32_f16 v91, v1;
	;;#ASMEND
	global_load_b128 v[2:5], v[34:35], off offset:9728
	s_wait_loadcnt 0x0
	v_dual_lshrrev_b32 v1, 16, v3 :: v_dual_lshrrev_b32 v36, 16, v2
	v_lshrrev_b32_e32 v50, 16, v4
	s_and_saveexec_b32 s7, vcc_lo
	s_cbranch_execz .LBB106_76
; %bb.75:                               ;   in Loop: Header=BB106_36 Depth=1
	v_cmp_gt_i32_e64 s0, s21, v40
	v_and_b32_e32 v92, 0xffff, v5
	v_and_b32_e32 v5, 0xffff0000, v5
	s_delay_alu instid0(VALU_DEP_3) | instskip(SKIP_1) | instid1(VALU_DEP_1)
	v_cndmask_b32_e64 v2, 0, v2, s0
	v_cmp_gt_i32_e64 s0, s21, v48
	v_cndmask_b32_e64 v3, 0, v3, s0
	v_cmp_gt_i32_e64 s0, s6, v49
	s_delay_alu instid0(VALU_DEP_1) | instskip(SKIP_1) | instid1(VALU_DEP_1)
	v_cndmask_b32_e64 v1, 0, v1, s0
	v_cmp_gt_i32_e64 s0, s21, v47
	v_cndmask_b32_e64 v36, 0, v36, s0
	v_cmp_gt_i32_e64 s0, s21, v46
	s_delay_alu instid0(VALU_DEP_1) | instskip(SKIP_1) | instid1(VALU_DEP_1)
	;; [unrolled: 5-line block ×3, first 2 shown]
	v_dual_cndmask_b32 v4, 0, v4, s0 :: v_dual_bitop2_b32 v5, v92, v5 bitop3:0x54
	v_cmp_gt_i32_e64 s0, s21, v43
	v_cndmask_b32_e64 v50, 0, v50, s0
.LBB106_76:                             ;   in Loop: Header=BB106_36 Depth=1
	s_or_b32 exec_lo, exec_lo, s7
	v_dual_lshlrev_b32 v36, 16, v36 :: v_dual_lshlrev_b32 v1, 16, v1
	s_delay_alu instid0(VALU_DEP_2) | instskip(NEXT) | instid1(VALU_DEP_2)
	v_lshlrev_b32_e32 v50, 16, v50
	v_and_or_b32 v2, 0xffff, v2, v36
	s_delay_alu instid0(VALU_DEP_3) | instskip(NEXT) | instid1(VALU_DEP_3)
	v_and_or_b32 v1, 0xffff, v3, v1
	v_and_or_b32 v3, 0xffff, v4, v50
	;;#ASMSTART
	v_pk_mul_f16 v2, v52, v2;

	;;#ASMEND
	;;#ASMSTART
	v_pk_mul_f16 v1, v51, v1;

	;;#ASMEND
	;;#ASMSTART
	v_pk_mul_f16 v3, v53, v3;

	;;#ASMEND
	;;#ASMSTART
	v_pk_mul_f16 v4, v54, v5;

	;;#ASMEND
	;;#ASMSTART
	v_pk_add_f16 v1, v2, v1;

	;;#ASMEND
	;;#ASMSTART
	v_pk_add_f16 v1, v1, v3;

	;;#ASMEND
	;; [unrolled: 4-line block ×3, first 2 shown]
	v_and_b32_e32 v2, 0xffff, v1
	v_lshrrev_b32_e32 v1, 16, v1
	;;#ASMSTART
	v_cvt_f32_f16 v92, v2;
	;;#ASMEND
	;;#ASMSTART
	v_cvt_f32_f16 v93, v1;
	;;#ASMEND
	global_load_b128 v[2:5], v[34:35], off offset:10240
	s_wait_loadcnt 0x0
	v_dual_lshrrev_b32 v1, 16, v3 :: v_dual_lshrrev_b32 v36, 16, v2
	v_lshrrev_b32_e32 v50, 16, v4
	s_and_saveexec_b32 s7, vcc_lo
	s_cbranch_execz .LBB106_78
; %bb.77:                               ;   in Loop: Header=BB106_36 Depth=1
	v_cmp_gt_i32_e64 s0, s21, v40
	v_and_b32_e32 v94, 0xffff, v5
	v_and_b32_e32 v5, 0xffff0000, v5
	s_delay_alu instid0(VALU_DEP_3) | instskip(SKIP_1) | instid1(VALU_DEP_1)
	v_cndmask_b32_e64 v2, 0, v2, s0
	v_cmp_gt_i32_e64 s0, s21, v48
	v_cndmask_b32_e64 v3, 0, v3, s0
	v_cmp_gt_i32_e64 s0, s6, v49
	s_delay_alu instid0(VALU_DEP_1) | instskip(SKIP_1) | instid1(VALU_DEP_1)
	v_cndmask_b32_e64 v1, 0, v1, s0
	v_cmp_gt_i32_e64 s0, s21, v47
	v_cndmask_b32_e64 v36, 0, v36, s0
	v_cmp_gt_i32_e64 s0, s21, v46
	s_delay_alu instid0(VALU_DEP_1) | instskip(SKIP_1) | instid1(VALU_DEP_1)
	;; [unrolled: 5-line block ×3, first 2 shown]
	v_dual_cndmask_b32 v4, 0, v4, s0 :: v_dual_bitop2_b32 v5, v94, v5 bitop3:0x54
	v_cmp_gt_i32_e64 s0, s21, v43
	v_cndmask_b32_e64 v50, 0, v50, s0
.LBB106_78:                             ;   in Loop: Header=BB106_36 Depth=1
	s_or_b32 exec_lo, exec_lo, s7
	v_dual_lshlrev_b32 v36, 16, v36 :: v_dual_lshlrev_b32 v1, 16, v1
	s_delay_alu instid0(VALU_DEP_2) | instskip(NEXT) | instid1(VALU_DEP_2)
	v_lshlrev_b32_e32 v50, 16, v50
	v_and_or_b32 v2, 0xffff, v2, v36
	s_delay_alu instid0(VALU_DEP_3) | instskip(NEXT) | instid1(VALU_DEP_3)
	v_and_or_b32 v1, 0xffff, v3, v1
	v_and_or_b32 v3, 0xffff, v4, v50
	;;#ASMSTART
	v_pk_mul_f16 v2, v52, v2;

	;;#ASMEND
	;;#ASMSTART
	v_pk_mul_f16 v1, v51, v1;

	;;#ASMEND
	;; [unrolled: 4-line block ×4, first 2 shown]
	;;#ASMSTART
	v_pk_add_f16 v1, v2, v1;

	;;#ASMEND
	;;#ASMSTART
	v_pk_add_f16 v1, v1, v3;

	;;#ASMEND
	;; [unrolled: 4-line block ×3, first 2 shown]
	v_and_b32_e32 v2, 0xffff, v1
	v_lshrrev_b32_e32 v1, 16, v1
	;;#ASMSTART
	v_cvt_f32_f16 v94, v2;
	;;#ASMEND
	;;#ASMSTART
	v_cvt_f32_f16 v95, v1;
	;;#ASMEND
	global_load_b128 v[2:5], v[34:35], off offset:10752
	s_wait_loadcnt 0x0
	v_dual_lshrrev_b32 v1, 16, v3 :: v_dual_lshrrev_b32 v36, 16, v2
	v_lshrrev_b32_e32 v50, 16, v4
	s_and_saveexec_b32 s7, vcc_lo
	s_cbranch_execz .LBB106_80
; %bb.79:                               ;   in Loop: Header=BB106_36 Depth=1
	v_cmp_gt_i32_e64 s0, s21, v40
	v_and_b32_e32 v96, 0xffff, v5
	v_and_b32_e32 v5, 0xffff0000, v5
	s_delay_alu instid0(VALU_DEP_3) | instskip(SKIP_1) | instid1(VALU_DEP_1)
	v_cndmask_b32_e64 v2, 0, v2, s0
	v_cmp_gt_i32_e64 s0, s21, v48
	v_cndmask_b32_e64 v3, 0, v3, s0
	v_cmp_gt_i32_e64 s0, s6, v49
	s_delay_alu instid0(VALU_DEP_1) | instskip(SKIP_1) | instid1(VALU_DEP_1)
	v_cndmask_b32_e64 v1, 0, v1, s0
	v_cmp_gt_i32_e64 s0, s21, v47
	v_cndmask_b32_e64 v36, 0, v36, s0
	v_cmp_gt_i32_e64 s0, s21, v46
	s_delay_alu instid0(VALU_DEP_1) | instskip(SKIP_1) | instid1(VALU_DEP_1)
	;; [unrolled: 5-line block ×3, first 2 shown]
	v_dual_cndmask_b32 v4, 0, v4, s0 :: v_dual_bitop2_b32 v5, v96, v5 bitop3:0x54
	v_cmp_gt_i32_e64 s0, s21, v43
	v_cndmask_b32_e64 v50, 0, v50, s0
.LBB106_80:                             ;   in Loop: Header=BB106_36 Depth=1
	s_or_b32 exec_lo, exec_lo, s7
	v_dual_lshlrev_b32 v36, 16, v36 :: v_dual_lshlrev_b32 v1, 16, v1
	s_delay_alu instid0(VALU_DEP_2) | instskip(NEXT) | instid1(VALU_DEP_2)
	v_lshlrev_b32_e32 v50, 16, v50
	v_and_or_b32 v2, 0xffff, v2, v36
	s_delay_alu instid0(VALU_DEP_3) | instskip(NEXT) | instid1(VALU_DEP_3)
	v_and_or_b32 v1, 0xffff, v3, v1
	v_and_or_b32 v3, 0xffff, v4, v50
	;;#ASMSTART
	v_pk_mul_f16 v2, v52, v2;

	;;#ASMEND
	;;#ASMSTART
	v_pk_mul_f16 v1, v51, v1;

	;;#ASMEND
	;; [unrolled: 4-line block ×4, first 2 shown]
	;;#ASMSTART
	v_pk_add_f16 v1, v2, v1;

	;;#ASMEND
	;;#ASMSTART
	v_pk_add_f16 v1, v1, v3;

	;;#ASMEND
	;; [unrolled: 4-line block ×3, first 2 shown]
	v_and_b32_e32 v2, 0xffff, v1
	v_lshrrev_b32_e32 v1, 16, v1
	;;#ASMSTART
	v_cvt_f32_f16 v96, v2;
	;;#ASMEND
	;;#ASMSTART
	v_cvt_f32_f16 v97, v1;
	;;#ASMEND
	global_load_b128 v[2:5], v[34:35], off offset:11264
	s_wait_loadcnt 0x0
	v_dual_lshrrev_b32 v1, 16, v3 :: v_dual_lshrrev_b32 v36, 16, v2
	v_lshrrev_b32_e32 v50, 16, v4
	s_and_saveexec_b32 s7, vcc_lo
	s_cbranch_execz .LBB106_82
; %bb.81:                               ;   in Loop: Header=BB106_36 Depth=1
	v_cmp_gt_i32_e64 s0, s21, v40
	v_and_b32_e32 v98, 0xffff, v5
	v_and_b32_e32 v5, 0xffff0000, v5
	s_delay_alu instid0(VALU_DEP_3) | instskip(SKIP_1) | instid1(VALU_DEP_1)
	v_cndmask_b32_e64 v2, 0, v2, s0
	v_cmp_gt_i32_e64 s0, s21, v48
	v_cndmask_b32_e64 v3, 0, v3, s0
	v_cmp_gt_i32_e64 s0, s6, v49
	s_delay_alu instid0(VALU_DEP_1) | instskip(SKIP_1) | instid1(VALU_DEP_1)
	v_cndmask_b32_e64 v1, 0, v1, s0
	v_cmp_gt_i32_e64 s0, s21, v47
	v_cndmask_b32_e64 v36, 0, v36, s0
	v_cmp_gt_i32_e64 s0, s21, v46
	s_delay_alu instid0(VALU_DEP_1) | instskip(SKIP_1) | instid1(VALU_DEP_1)
	;; [unrolled: 5-line block ×3, first 2 shown]
	v_dual_cndmask_b32 v4, 0, v4, s0 :: v_dual_bitop2_b32 v5, v98, v5 bitop3:0x54
	v_cmp_gt_i32_e64 s0, s21, v43
	v_cndmask_b32_e64 v50, 0, v50, s0
.LBB106_82:                             ;   in Loop: Header=BB106_36 Depth=1
	s_or_b32 exec_lo, exec_lo, s7
	v_dual_lshlrev_b32 v36, 16, v36 :: v_dual_lshlrev_b32 v1, 16, v1
	s_delay_alu instid0(VALU_DEP_2) | instskip(NEXT) | instid1(VALU_DEP_2)
	v_lshlrev_b32_e32 v50, 16, v50
	v_and_or_b32 v2, 0xffff, v2, v36
	s_delay_alu instid0(VALU_DEP_3) | instskip(NEXT) | instid1(VALU_DEP_3)
	v_and_or_b32 v1, 0xffff, v3, v1
	v_and_or_b32 v3, 0xffff, v4, v50
	;;#ASMSTART
	v_pk_mul_f16 v2, v52, v2;

	;;#ASMEND
	;;#ASMSTART
	v_pk_mul_f16 v1, v51, v1;

	;;#ASMEND
	;;#ASMSTART
	v_pk_mul_f16 v3, v53, v3;

	;;#ASMEND
	;;#ASMSTART
	v_pk_mul_f16 v4, v54, v5;

	;;#ASMEND
	;;#ASMSTART
	v_pk_add_f16 v1, v2, v1;

	;;#ASMEND
	;;#ASMSTART
	v_pk_add_f16 v1, v1, v3;

	;;#ASMEND
	;; [unrolled: 4-line block ×3, first 2 shown]
	v_and_b32_e32 v2, 0xffff, v1
	v_lshrrev_b32_e32 v1, 16, v1
	;;#ASMSTART
	v_cvt_f32_f16 v36, v2;
	;;#ASMEND
	;;#ASMSTART
	v_cvt_f32_f16 v50, v1;
	;;#ASMEND
	global_load_b128 v[2:5], v[34:35], off offset:11776
	s_wait_loadcnt 0x0
	v_dual_lshrrev_b32 v1, 16, v3 :: v_dual_lshrrev_b32 v34, 16, v2
	v_lshrrev_b32_e32 v35, 16, v4
	s_and_saveexec_b32 s0, vcc_lo
	s_cbranch_execz .LBB106_35
; %bb.83:                               ;   in Loop: Header=BB106_36 Depth=1
	v_cmp_gt_i32_e32 vcc_lo, s21, v40
	v_cndmask_b32_e32 v2, 0, v2, vcc_lo
	v_cmp_gt_i32_e32 vcc_lo, s21, v48
	v_and_b32_e32 v48, 0xffff, v5
	v_and_b32_e32 v5, 0xffff0000, v5
	v_cndmask_b32_e32 v3, 0, v3, vcc_lo
	v_cmp_gt_i32_e32 vcc_lo, s6, v49
	v_cndmask_b32_e32 v1, 0, v1, vcc_lo
	v_cmp_gt_i32_e32 vcc_lo, s21, v47
	v_cndmask_b32_e32 v34, 0, v34, vcc_lo
	v_cmp_gt_i32_e32 vcc_lo, s21, v46
	v_cndmask_b32_e32 v46, 0, v48, vcc_lo
	v_cmp_gt_i32_e32 vcc_lo, s21, v45
	v_cndmask_b32_e32 v5, 0, v5, vcc_lo
	v_cmp_gt_i32_e32 vcc_lo, s21, v44
	s_delay_alu instid0(VALU_DEP_2)
	v_dual_cndmask_b32 v4, 0, v4, vcc_lo :: v_dual_bitop2_b32 v5, v46, v5 bitop3:0x54
	v_cmp_gt_i32_e32 vcc_lo, s21, v43
	v_cndmask_b32_e32 v35, 0, v35, vcc_lo
	s_branch .LBB106_35
.LBB106_84:
	s_or_b32 exec_lo, exec_lo, s5
.LBB106_85:
	s_delay_alu instid0(SALU_CYCLE_1)
	s_or_b32 exec_lo, exec_lo, s1
	ds_bpermute_b32 v0, v38, v28
	ds_bpermute_b32 v1, v38, v29
	;; [unrolled: 1-line block ×16, first 2 shown]
	s_mov_b32 s0, exec_lo
	s_wait_dscnt 0x0
	s_barrier_signal -1
	s_barrier_wait -1
	v_pk_add_f32 v[0:1], v[28:29], v[0:1]
	ds_bpermute_b32 v28, v38, v12
	v_pk_add_f32 v[2:3], v[26:27], v[2:3]
	ds_bpermute_b32 v29, v38, v13
	;; [unrolled: 2-line block ×3, first 2 shown]
	ds_bpermute_b32 v25, v38, v11
	ds_bpermute_b32 v26, v38, v8
	;; [unrolled: 1-line block ×3, first 2 shown]
	v_pk_add_f32 v[34:35], v[18:19], v[34:35]
	ds_bpermute_b32 v18, v38, v6
	ds_bpermute_b32 v19, v38, v7
	v_pk_add_f32 v[30:31], v[22:23], v[30:31]
	v_pk_add_f32 v[32:33], v[20:21], v[32:33]
	;; [unrolled: 1-line block ×4, first 2 shown]
	ds_bpermute_b32 v22, v37, v0
	ds_bpermute_b32 v23, v37, v1
	;; [unrolled: 1-line block ×7, first 2 shown]
	s_wait_dscnt 0xd
	v_pk_add_f32 v[28:29], v[12:13], v[28:29]
	ds_bpermute_b32 v49, v37, v31
	ds_bpermute_b32 v50, v37, v32
	s_wait_dscnt 0xd
	v_pk_add_f32 v[58:59], v[10:11], v[24:25]
	ds_bpermute_b32 v51, v37, v33
	s_wait_dscnt 0xc
	v_pk_add_f32 v[60:61], v[8:9], v[26:27]
	ds_bpermute_b32 v52, v37, v34
	ds_bpermute_b32 v53, v37, v35
	;; [unrolled: 1-line block ×12, first 2 shown]
	s_wait_dscnt 0x16
	v_pk_add_f32 v[24:25], v[6:7], v[18:19]
	s_wait_dscnt 0x14
	v_pk_add_f32 v[22:23], v[0:1], v[22:23]
	;; [unrolled: 2-line block ×5, first 2 shown]
	ds_bpermute_b32 v26, v37, v24
	ds_bpermute_b32 v27, v37, v25
	s_wait_dscnt 0xe
	v_pk_add_f32 v[14:15], v[32:33], v[50:51]
	v_and_b32_e32 v0, 0x3c3, v99
	s_wait_dscnt 0xc
	v_pk_add_f32 v[12:13], v[34:35], v[52:53]
	v_and_b32_e32 v1, 28, v101
	s_wait_dscnt 0xa
	v_pk_add_f32 v[10:11], v[40:41], v[54:55]
	s_wait_dscnt 0x8
	v_pk_add_f32 v[6:7], v[42:43], v[56:57]
	s_wait_dscnt 0x6
	v_pk_add_f32 v[8:9], v[28:29], v[8:9]
	s_wait_dscnt 0x4
	v_pk_add_f32 v[4:5], v[58:59], v[62:63]
	s_wait_dscnt 0x2
	v_pk_add_f32 v[2:3], v[60:61], v[64:65]
	v_cmpx_ne_u32_e32 64, v0
	s_xor_b32 s0, exec_lo, s0
	s_delay_alu instid0(SALU_CYCLE_1)
	s_or_saveexec_b32 s0, s0
	s_wait_dscnt 0x0
	v_pk_add_f32 v[24:25], v[24:25], v[26:27]
	v_lshrrev_b32_e32 v27, 2, v101
	v_add_nc_u32_e32 v26, 0x1a0, v1
	v_mul_u32_u24_e32 v1, 0x300, v100
	s_xor_b32 exec_lo, exec_lo, s0
	s_cbranch_execz .LBB106_87
; %bb.86:
	s_delay_alu instid0(VALU_DEP_1) | instskip(NEXT) | instid1(VALU_DEP_1)
	v_add_nc_u32_e32 v0, v26, v1
	v_add_nc_u32_e32 v28, 0xfffffa00, v0
	;; [unrolled: 1-line block ×9, first 2 shown]
	ds_store_b32 v28, v22
	ds_store_b32 v29, v23
	;; [unrolled: 1-line block ×8, first 2 shown]
	v_add_nc_u32_e32 v28, 0xfffffb00, v0
	v_add_nc_u32_e32 v29, 0xfffffb20, v0
	;; [unrolled: 1-line block ×8, first 2 shown]
	ds_store_b32 v28, v14
	ds_store_b32 v29, v15
	;; [unrolled: 1-line block ×8, first 2 shown]
	v_add_nc_u32_e32 v28, 0xfffffc00, v0
	v_add_nc_u32_e32 v29, 0xfffffc20, v0
	;; [unrolled: 1-line block ×8, first 2 shown]
	ds_store_b32 v28, v8
	ds_store_b32 v29, v9
	;; [unrolled: 1-line block ×8, first 2 shown]
.LBB106_87:
	s_or_b32 exec_lo, exec_lo, s0
	v_lshlrev_b32_e32 v0, 2, v27
	s_mov_b32 s1, exec_lo
	v_cmp_eq_u32_e32 vcc_lo, 0, v39
	s_wait_dscnt 0x0
	s_barrier_signal -1
	v_add3_u32 v1, 0x1a0, v1, v0
	s_barrier_wait -1
	v_cmpx_gt_u32_e32 64, v99
	s_cbranch_execz .LBB106_114
; %bb.88:
	s_and_saveexec_b32 s0, vcc_lo
	s_cbranch_execnz .LBB106_146
; %bb.89:
	s_or_b32 exec_lo, exec_lo, s0
	s_and_saveexec_b32 s0, vcc_lo
	s_cbranch_execnz .LBB106_147
.LBB106_90:
	s_or_b32 exec_lo, exec_lo, s0
	s_and_saveexec_b32 s0, vcc_lo
	s_cbranch_execnz .LBB106_148
.LBB106_91:
	s_or_b32 exec_lo, exec_lo, s0
	s_and_saveexec_b32 s0, vcc_lo
	s_cbranch_execnz .LBB106_149
.LBB106_92:
	s_or_b32 exec_lo, exec_lo, s0
	s_and_saveexec_b32 s0, vcc_lo
	s_cbranch_execnz .LBB106_150
.LBB106_93:
	s_or_b32 exec_lo, exec_lo, s0
	s_and_saveexec_b32 s0, vcc_lo
	s_cbranch_execnz .LBB106_151
.LBB106_94:
	s_or_b32 exec_lo, exec_lo, s0
	s_and_saveexec_b32 s0, vcc_lo
	s_cbranch_execnz .LBB106_152
.LBB106_95:
	s_or_b32 exec_lo, exec_lo, s0
	s_and_saveexec_b32 s0, vcc_lo
	s_cbranch_execnz .LBB106_153
.LBB106_96:
	s_or_b32 exec_lo, exec_lo, s0
	s_and_saveexec_b32 s0, vcc_lo
	s_cbranch_execnz .LBB106_154
.LBB106_97:
	s_or_b32 exec_lo, exec_lo, s0
	s_and_saveexec_b32 s0, vcc_lo
	s_cbranch_execnz .LBB106_155
.LBB106_98:
	s_or_b32 exec_lo, exec_lo, s0
	s_and_saveexec_b32 s0, vcc_lo
	s_cbranch_execnz .LBB106_156
.LBB106_99:
	s_or_b32 exec_lo, exec_lo, s0
	s_and_saveexec_b32 s0, vcc_lo
	s_cbranch_execnz .LBB106_157
.LBB106_100:
	s_or_b32 exec_lo, exec_lo, s0
	s_and_saveexec_b32 s0, vcc_lo
	s_cbranch_execnz .LBB106_158
.LBB106_101:
	s_or_b32 exec_lo, exec_lo, s0
	s_and_saveexec_b32 s0, vcc_lo
	s_cbranch_execnz .LBB106_159
.LBB106_102:
	s_or_b32 exec_lo, exec_lo, s0
	s_and_saveexec_b32 s0, vcc_lo
	s_cbranch_execnz .LBB106_160
.LBB106_103:
	s_or_b32 exec_lo, exec_lo, s0
	s_and_saveexec_b32 s0, vcc_lo
	s_cbranch_execnz .LBB106_161
.LBB106_104:
	s_or_b32 exec_lo, exec_lo, s0
	s_and_saveexec_b32 s0, vcc_lo
	s_cbranch_execnz .LBB106_162
.LBB106_105:
	s_or_b32 exec_lo, exec_lo, s0
	s_and_saveexec_b32 s0, vcc_lo
	s_cbranch_execnz .LBB106_163
.LBB106_106:
	s_or_b32 exec_lo, exec_lo, s0
	s_and_saveexec_b32 s0, vcc_lo
	s_cbranch_execnz .LBB106_164
.LBB106_107:
	s_or_b32 exec_lo, exec_lo, s0
	s_and_saveexec_b32 s0, vcc_lo
	s_cbranch_execnz .LBB106_165
.LBB106_108:
	s_or_b32 exec_lo, exec_lo, s0
	s_and_saveexec_b32 s0, vcc_lo
	s_cbranch_execnz .LBB106_166
.LBB106_109:
	s_or_b32 exec_lo, exec_lo, s0
	s_and_saveexec_b32 s0, vcc_lo
	s_cbranch_execnz .LBB106_167
.LBB106_110:
	s_or_b32 exec_lo, exec_lo, s0
	s_and_saveexec_b32 s0, vcc_lo
	s_cbranch_execnz .LBB106_168
.LBB106_111:
	s_or_b32 exec_lo, exec_lo, s0
	s_and_saveexec_b32 s0, vcc_lo
	s_cbranch_execz .LBB106_113
.LBB106_112:
	ds_load_b32 v0, v1 offset:736
	s_wait_dscnt 0x0
	v_add_f32_e32 v25, v25, v0
.LBB106_113:
	s_or_b32 exec_lo, exec_lo, s0
.LBB106_114:
	s_delay_alu instid0(SALU_CYCLE_1) | instskip(SKIP_4) | instid1(VALU_DEP_1)
	s_or_b32 exec_lo, exec_lo, s1
	v_and_b32_e32 v27, 0x3e3, v99
	s_mov_b32 s1, exec_lo
	s_barrier_signal -1
	s_barrier_wait -1
	v_cmpx_eq_u32_e32 32, v27
	s_cbranch_execz .LBB106_116
; %bb.115:
	ds_store_2addr_b32 v26, v22, v23 offset1:8
	ds_store_2addr_b32 v26, v20, v21 offset0:16 offset1:24
	ds_store_2addr_b32 v26, v18, v19 offset0:32 offset1:40
	;; [unrolled: 1-line block ×11, first 2 shown]
.LBB106_116:
	s_or_b32 exec_lo, exec_lo, s1
	s_delay_alu instid0(SALU_CYCLE_1)
	s_mov_b32 s1, exec_lo
	s_wait_dscnt 0x0
	s_barrier_signal -1
	s_barrier_wait -1
	v_cmpx_gt_u32_e32 32, v99
	s_cbranch_execz .LBB106_143
; %bb.117:
	s_and_saveexec_b32 s0, vcc_lo
	s_cbranch_execnz .LBB106_169
; %bb.118:
	s_or_b32 exec_lo, exec_lo, s0
	s_and_saveexec_b32 s0, vcc_lo
	s_cbranch_execnz .LBB106_170
.LBB106_119:
	s_or_b32 exec_lo, exec_lo, s0
	s_and_saveexec_b32 s0, vcc_lo
	s_cbranch_execnz .LBB106_171
.LBB106_120:
	s_or_b32 exec_lo, exec_lo, s0
	s_and_saveexec_b32 s0, vcc_lo
	s_cbranch_execnz .LBB106_172
.LBB106_121:
	s_or_b32 exec_lo, exec_lo, s0
	s_and_saveexec_b32 s0, vcc_lo
	s_cbranch_execnz .LBB106_173
.LBB106_122:
	s_or_b32 exec_lo, exec_lo, s0
	s_and_saveexec_b32 s0, vcc_lo
	s_cbranch_execnz .LBB106_174
.LBB106_123:
	s_or_b32 exec_lo, exec_lo, s0
	s_and_saveexec_b32 s0, vcc_lo
	s_cbranch_execnz .LBB106_175
.LBB106_124:
	s_or_b32 exec_lo, exec_lo, s0
	s_and_saveexec_b32 s0, vcc_lo
	s_cbranch_execnz .LBB106_176
.LBB106_125:
	s_or_b32 exec_lo, exec_lo, s0
	s_and_saveexec_b32 s0, vcc_lo
	s_cbranch_execnz .LBB106_177
.LBB106_126:
	s_or_b32 exec_lo, exec_lo, s0
	s_and_saveexec_b32 s0, vcc_lo
	s_cbranch_execnz .LBB106_178
.LBB106_127:
	s_or_b32 exec_lo, exec_lo, s0
	s_and_saveexec_b32 s0, vcc_lo
	s_cbranch_execnz .LBB106_179
.LBB106_128:
	s_or_b32 exec_lo, exec_lo, s0
	s_and_saveexec_b32 s0, vcc_lo
	s_cbranch_execnz .LBB106_180
.LBB106_129:
	s_or_b32 exec_lo, exec_lo, s0
	s_and_saveexec_b32 s0, vcc_lo
	s_cbranch_execnz .LBB106_181
.LBB106_130:
	s_or_b32 exec_lo, exec_lo, s0
	s_and_saveexec_b32 s0, vcc_lo
	s_cbranch_execnz .LBB106_182
.LBB106_131:
	s_or_b32 exec_lo, exec_lo, s0
	s_and_saveexec_b32 s0, vcc_lo
	s_cbranch_execnz .LBB106_183
.LBB106_132:
	s_or_b32 exec_lo, exec_lo, s0
	s_and_saveexec_b32 s0, vcc_lo
	s_cbranch_execnz .LBB106_184
.LBB106_133:
	s_or_b32 exec_lo, exec_lo, s0
	s_and_saveexec_b32 s0, vcc_lo
	s_cbranch_execnz .LBB106_185
.LBB106_134:
	s_or_b32 exec_lo, exec_lo, s0
	s_and_saveexec_b32 s0, vcc_lo
	s_cbranch_execnz .LBB106_186
.LBB106_135:
	s_or_b32 exec_lo, exec_lo, s0
	s_and_saveexec_b32 s0, vcc_lo
	s_cbranch_execnz .LBB106_187
.LBB106_136:
	s_or_b32 exec_lo, exec_lo, s0
	s_and_saveexec_b32 s0, vcc_lo
	s_cbranch_execnz .LBB106_188
.LBB106_137:
	s_or_b32 exec_lo, exec_lo, s0
	s_and_saveexec_b32 s0, vcc_lo
	s_cbranch_execnz .LBB106_189
.LBB106_138:
	s_or_b32 exec_lo, exec_lo, s0
	s_and_saveexec_b32 s0, vcc_lo
	s_cbranch_execnz .LBB106_190
.LBB106_139:
	s_or_b32 exec_lo, exec_lo, s0
	s_and_saveexec_b32 s0, vcc_lo
	s_cbranch_execnz .LBB106_191
.LBB106_140:
	s_or_b32 exec_lo, exec_lo, s0
	s_and_saveexec_b32 s0, vcc_lo
	s_cbranch_execz .LBB106_142
.LBB106_141:
	ds_load_b32 v0, v1 offset:736
	s_wait_dscnt 0x0
	v_add_f32_e32 v25, v25, v0
.LBB106_142:
	s_or_b32 exec_lo, exec_lo, s0
.LBB106_143:
	s_delay_alu instid0(SALU_CYCLE_1)
	s_or_b32 exec_lo, exec_lo, s1
	s_mov_b32 s1, 0
	s_barrier_signal -1
	s_barrier_wait -1
	s_mov_b32 s0, exec_lo
	v_cmpx_eq_u32_e32 0, v27
	s_cbranch_execz .LBB106_145
; %bb.144:
	s_mul_i32 s0, s20, s9
	s_mul_i32 s2, s9, s8
	s_mul_i32 s0, s0, s19
	s_lshr_b32 s6, ttmp7, 16
	s_mul_i32 s4, s0, 0xc0
	s_bfe_u32 s0, ttmp6, 0x40014
	s_ashr_i32 s5, s4, 31
	s_add_co_i32 s0, s0, 1
	s_ashr_i32 s3, s2, 31
	s_mul_i32 s0, s6, s0
	s_bfe_u32 s7, ttmp6, 0x40008
	s_lshl_b64 s[4:5], s[4:5], 1
	s_lshl_b64 s[2:3], s[2:3], 1
	s_add_co_i32 s7, s7, s0
	s_cmp_eq_u32 s18, 0
	s_wait_kmcnt 0x0
	s_add_nc_u64 s[4:5], s[14:15], s[4:5]
	s_cselect_b32 s0, s6, s7
	v_lshrrev_b32_e32 v0, 1, v99
	s_add_nc_u64 s[2:3], s[4:5], s[2:3]
	s_mulk_i32 s0, 0x180
	;;#ASMSTART
	v_cvt_f16_f32 v1, v22;

	;;#ASMEND
	s_add_nc_u64 s[0:1], s[2:3], s[0:1]
	global_store_b16 v0, v1, s[0:1]
	s_wait_xcnt 0x0
	;;#ASMSTART
	v_cvt_f16_f32 v1, v23;

	;;#ASMEND
	global_store_b16 v0, v1, s[0:1] offset:16
	s_wait_xcnt 0x0
	;;#ASMSTART
	v_cvt_f16_f32 v1, v20;

	;;#ASMEND
	global_store_b16 v0, v1, s[0:1] offset:32
	;; [unrolled: 6-line block ×23, first 2 shown]
.LBB106_145:
	s_sendmsg sendmsg(MSG_DEALLOC_VGPRS)
	s_endpgm
.LBB106_146:
	ds_load_b32 v0, v1
	s_wait_dscnt 0x0
	v_add_f32_e32 v22, v22, v0
	s_or_b32 exec_lo, exec_lo, s0
	s_and_saveexec_b32 s0, vcc_lo
	s_cbranch_execz .LBB106_90
.LBB106_147:
	ds_load_b32 v0, v1 offset:32
	s_wait_dscnt 0x0
	v_add_f32_e32 v23, v23, v0
	s_or_b32 exec_lo, exec_lo, s0
	s_and_saveexec_b32 s0, vcc_lo
	s_cbranch_execz .LBB106_91
.LBB106_148:
	ds_load_b32 v0, v1 offset:64
	s_wait_dscnt 0x0
	v_add_f32_e32 v20, v20, v0
	s_or_b32 exec_lo, exec_lo, s0
	s_and_saveexec_b32 s0, vcc_lo
	s_cbranch_execz .LBB106_92
.LBB106_149:
	ds_load_b32 v0, v1 offset:96
	s_wait_dscnt 0x0
	v_add_f32_e32 v21, v21, v0
	s_or_b32 exec_lo, exec_lo, s0
	s_and_saveexec_b32 s0, vcc_lo
	s_cbranch_execz .LBB106_93
.LBB106_150:
	ds_load_b32 v0, v1 offset:128
	s_wait_dscnt 0x0
	v_add_f32_e32 v18, v18, v0
	s_or_b32 exec_lo, exec_lo, s0
	s_and_saveexec_b32 s0, vcc_lo
	s_cbranch_execz .LBB106_94
.LBB106_151:
	ds_load_b32 v0, v1 offset:160
	s_wait_dscnt 0x0
	v_add_f32_e32 v19, v19, v0
	s_or_b32 exec_lo, exec_lo, s0
	s_and_saveexec_b32 s0, vcc_lo
	s_cbranch_execz .LBB106_95
.LBB106_152:
	ds_load_b32 v0, v1 offset:192
	s_wait_dscnt 0x0
	v_add_f32_e32 v16, v16, v0
	s_or_b32 exec_lo, exec_lo, s0
	s_and_saveexec_b32 s0, vcc_lo
	s_cbranch_execz .LBB106_96
.LBB106_153:
	ds_load_b32 v0, v1 offset:224
	s_wait_dscnt 0x0
	v_add_f32_e32 v17, v17, v0
	s_or_b32 exec_lo, exec_lo, s0
	s_and_saveexec_b32 s0, vcc_lo
	s_cbranch_execz .LBB106_97
.LBB106_154:
	ds_load_b32 v0, v1 offset:256
	s_wait_dscnt 0x0
	v_add_f32_e32 v14, v14, v0
	s_or_b32 exec_lo, exec_lo, s0
	s_and_saveexec_b32 s0, vcc_lo
	s_cbranch_execz .LBB106_98
.LBB106_155:
	ds_load_b32 v0, v1 offset:288
	s_wait_dscnt 0x0
	v_add_f32_e32 v15, v15, v0
	s_or_b32 exec_lo, exec_lo, s0
	s_and_saveexec_b32 s0, vcc_lo
	s_cbranch_execz .LBB106_99
.LBB106_156:
	ds_load_b32 v0, v1 offset:320
	s_wait_dscnt 0x0
	v_add_f32_e32 v12, v12, v0
	s_or_b32 exec_lo, exec_lo, s0
	s_and_saveexec_b32 s0, vcc_lo
	s_cbranch_execz .LBB106_100
.LBB106_157:
	ds_load_b32 v0, v1 offset:352
	s_wait_dscnt 0x0
	v_add_f32_e32 v13, v13, v0
	s_or_b32 exec_lo, exec_lo, s0
	s_and_saveexec_b32 s0, vcc_lo
	s_cbranch_execz .LBB106_101
.LBB106_158:
	ds_load_b32 v0, v1 offset:384
	s_wait_dscnt 0x0
	v_add_f32_e32 v10, v10, v0
	s_or_b32 exec_lo, exec_lo, s0
	s_and_saveexec_b32 s0, vcc_lo
	s_cbranch_execz .LBB106_102
.LBB106_159:
	ds_load_b32 v0, v1 offset:416
	s_wait_dscnt 0x0
	v_add_f32_e32 v11, v11, v0
	s_or_b32 exec_lo, exec_lo, s0
	s_and_saveexec_b32 s0, vcc_lo
	s_cbranch_execz .LBB106_103
.LBB106_160:
	ds_load_b32 v0, v1 offset:448
	s_wait_dscnt 0x0
	v_add_f32_e32 v6, v6, v0
	s_or_b32 exec_lo, exec_lo, s0
	s_and_saveexec_b32 s0, vcc_lo
	s_cbranch_execz .LBB106_104
.LBB106_161:
	ds_load_b32 v0, v1 offset:480
	s_wait_dscnt 0x0
	v_add_f32_e32 v7, v7, v0
	s_or_b32 exec_lo, exec_lo, s0
	s_and_saveexec_b32 s0, vcc_lo
	s_cbranch_execz .LBB106_105
.LBB106_162:
	ds_load_b32 v0, v1 offset:512
	s_wait_dscnt 0x0
	v_add_f32_e32 v8, v8, v0
	s_or_b32 exec_lo, exec_lo, s0
	s_and_saveexec_b32 s0, vcc_lo
	s_cbranch_execz .LBB106_106
.LBB106_163:
	ds_load_b32 v0, v1 offset:544
	s_wait_dscnt 0x0
	v_add_f32_e32 v9, v9, v0
	s_or_b32 exec_lo, exec_lo, s0
	s_and_saveexec_b32 s0, vcc_lo
	s_cbranch_execz .LBB106_107
.LBB106_164:
	ds_load_b32 v0, v1 offset:576
	s_wait_dscnt 0x0
	v_add_f32_e32 v4, v4, v0
	s_or_b32 exec_lo, exec_lo, s0
	s_and_saveexec_b32 s0, vcc_lo
	s_cbranch_execz .LBB106_108
.LBB106_165:
	ds_load_b32 v0, v1 offset:608
	s_wait_dscnt 0x0
	v_add_f32_e32 v5, v5, v0
	s_or_b32 exec_lo, exec_lo, s0
	s_and_saveexec_b32 s0, vcc_lo
	s_cbranch_execz .LBB106_109
.LBB106_166:
	ds_load_b32 v0, v1 offset:640
	s_wait_dscnt 0x0
	v_add_f32_e32 v2, v2, v0
	s_or_b32 exec_lo, exec_lo, s0
	s_and_saveexec_b32 s0, vcc_lo
	s_cbranch_execz .LBB106_110
.LBB106_167:
	ds_load_b32 v0, v1 offset:672
	s_wait_dscnt 0x0
	v_add_f32_e32 v3, v3, v0
	s_or_b32 exec_lo, exec_lo, s0
	s_and_saveexec_b32 s0, vcc_lo
	s_cbranch_execz .LBB106_111
.LBB106_168:
	ds_load_b32 v0, v1 offset:704
	s_wait_dscnt 0x0
	v_add_f32_e32 v24, v24, v0
	s_or_b32 exec_lo, exec_lo, s0
	s_and_saveexec_b32 s0, vcc_lo
	s_cbranch_execnz .LBB106_112
	s_branch .LBB106_113
.LBB106_169:
	ds_load_b32 v0, v1
	s_wait_dscnt 0x0
	v_add_f32_e32 v22, v22, v0
	s_or_b32 exec_lo, exec_lo, s0
	s_and_saveexec_b32 s0, vcc_lo
	s_cbranch_execz .LBB106_119
.LBB106_170:
	ds_load_b32 v0, v1 offset:32
	s_wait_dscnt 0x0
	v_add_f32_e32 v23, v23, v0
	s_or_b32 exec_lo, exec_lo, s0
	s_and_saveexec_b32 s0, vcc_lo
	s_cbranch_execz .LBB106_120
.LBB106_171:
	ds_load_b32 v0, v1 offset:64
	s_wait_dscnt 0x0
	v_add_f32_e32 v20, v20, v0
	s_or_b32 exec_lo, exec_lo, s0
	s_and_saveexec_b32 s0, vcc_lo
	s_cbranch_execz .LBB106_121
.LBB106_172:
	ds_load_b32 v0, v1 offset:96
	s_wait_dscnt 0x0
	v_add_f32_e32 v21, v21, v0
	s_or_b32 exec_lo, exec_lo, s0
	s_and_saveexec_b32 s0, vcc_lo
	s_cbranch_execz .LBB106_122
.LBB106_173:
	ds_load_b32 v0, v1 offset:128
	s_wait_dscnt 0x0
	v_add_f32_e32 v18, v18, v0
	s_or_b32 exec_lo, exec_lo, s0
	s_and_saveexec_b32 s0, vcc_lo
	s_cbranch_execz .LBB106_123
.LBB106_174:
	ds_load_b32 v0, v1 offset:160
	s_wait_dscnt 0x0
	v_add_f32_e32 v19, v19, v0
	s_or_b32 exec_lo, exec_lo, s0
	s_and_saveexec_b32 s0, vcc_lo
	s_cbranch_execz .LBB106_124
.LBB106_175:
	ds_load_b32 v0, v1 offset:192
	s_wait_dscnt 0x0
	v_add_f32_e32 v16, v16, v0
	s_or_b32 exec_lo, exec_lo, s0
	s_and_saveexec_b32 s0, vcc_lo
	s_cbranch_execz .LBB106_125
.LBB106_176:
	ds_load_b32 v0, v1 offset:224
	s_wait_dscnt 0x0
	v_add_f32_e32 v17, v17, v0
	s_or_b32 exec_lo, exec_lo, s0
	s_and_saveexec_b32 s0, vcc_lo
	s_cbranch_execz .LBB106_126
.LBB106_177:
	ds_load_b32 v0, v1 offset:256
	s_wait_dscnt 0x0
	v_add_f32_e32 v14, v14, v0
	s_or_b32 exec_lo, exec_lo, s0
	s_and_saveexec_b32 s0, vcc_lo
	s_cbranch_execz .LBB106_127
.LBB106_178:
	ds_load_b32 v0, v1 offset:288
	s_wait_dscnt 0x0
	v_add_f32_e32 v15, v15, v0
	s_or_b32 exec_lo, exec_lo, s0
	s_and_saveexec_b32 s0, vcc_lo
	s_cbranch_execz .LBB106_128
.LBB106_179:
	ds_load_b32 v0, v1 offset:320
	s_wait_dscnt 0x0
	v_add_f32_e32 v12, v12, v0
	s_or_b32 exec_lo, exec_lo, s0
	s_and_saveexec_b32 s0, vcc_lo
	s_cbranch_execz .LBB106_129
.LBB106_180:
	ds_load_b32 v0, v1 offset:352
	s_wait_dscnt 0x0
	v_add_f32_e32 v13, v13, v0
	s_or_b32 exec_lo, exec_lo, s0
	s_and_saveexec_b32 s0, vcc_lo
	s_cbranch_execz .LBB106_130
.LBB106_181:
	ds_load_b32 v0, v1 offset:384
	s_wait_dscnt 0x0
	v_add_f32_e32 v10, v10, v0
	s_or_b32 exec_lo, exec_lo, s0
	s_and_saveexec_b32 s0, vcc_lo
	s_cbranch_execz .LBB106_131
.LBB106_182:
	ds_load_b32 v0, v1 offset:416
	s_wait_dscnt 0x0
	v_add_f32_e32 v11, v11, v0
	s_or_b32 exec_lo, exec_lo, s0
	s_and_saveexec_b32 s0, vcc_lo
	s_cbranch_execz .LBB106_132
.LBB106_183:
	ds_load_b32 v0, v1 offset:448
	s_wait_dscnt 0x0
	v_add_f32_e32 v6, v6, v0
	s_or_b32 exec_lo, exec_lo, s0
	s_and_saveexec_b32 s0, vcc_lo
	s_cbranch_execz .LBB106_133
.LBB106_184:
	ds_load_b32 v0, v1 offset:480
	s_wait_dscnt 0x0
	v_add_f32_e32 v7, v7, v0
	s_or_b32 exec_lo, exec_lo, s0
	s_and_saveexec_b32 s0, vcc_lo
	s_cbranch_execz .LBB106_134
.LBB106_185:
	ds_load_b32 v0, v1 offset:512
	s_wait_dscnt 0x0
	v_add_f32_e32 v8, v8, v0
	s_or_b32 exec_lo, exec_lo, s0
	s_and_saveexec_b32 s0, vcc_lo
	s_cbranch_execz .LBB106_135
.LBB106_186:
	ds_load_b32 v0, v1 offset:544
	s_wait_dscnt 0x0
	v_add_f32_e32 v9, v9, v0
	s_or_b32 exec_lo, exec_lo, s0
	s_and_saveexec_b32 s0, vcc_lo
	s_cbranch_execz .LBB106_136
.LBB106_187:
	ds_load_b32 v0, v1 offset:576
	s_wait_dscnt 0x0
	v_add_f32_e32 v4, v4, v0
	s_or_b32 exec_lo, exec_lo, s0
	s_and_saveexec_b32 s0, vcc_lo
	s_cbranch_execz .LBB106_137
.LBB106_188:
	ds_load_b32 v0, v1 offset:608
	s_wait_dscnt 0x0
	v_add_f32_e32 v5, v5, v0
	s_or_b32 exec_lo, exec_lo, s0
	s_and_saveexec_b32 s0, vcc_lo
	s_cbranch_execz .LBB106_138
.LBB106_189:
	ds_load_b32 v0, v1 offset:640
	s_wait_dscnt 0x0
	v_add_f32_e32 v2, v2, v0
	s_or_b32 exec_lo, exec_lo, s0
	s_and_saveexec_b32 s0, vcc_lo
	s_cbranch_execz .LBB106_139
.LBB106_190:
	ds_load_b32 v0, v1 offset:672
	s_wait_dscnt 0x0
	v_add_f32_e32 v3, v3, v0
	s_or_b32 exec_lo, exec_lo, s0
	s_and_saveexec_b32 s0, vcc_lo
	s_cbranch_execz .LBB106_140
.LBB106_191:
	ds_load_b32 v0, v1 offset:704
	s_wait_dscnt 0x0
	v_add_f32_e32 v24, v24, v0
	s_or_b32 exec_lo, exec_lo, s0
	s_and_saveexec_b32 s0, vcc_lo
	s_cbranch_execnz .LBB106_141
	s_branch .LBB106_142
	.section	.rodata,"a",@progbits
	.p2align	6, 0x0
	.amdhsa_kernel _ZN4vllm25paged_attention_v1_kernelIttLi192ELi32ELi128ELNS_18Fp8KVCacheDataTypeE0ELb0EEEvPT_PKS2_PKT0_S8_ifPKiSA_iPKfiiiSC_SC_iiiii
		.amdhsa_group_segment_fixed_size 416
		.amdhsa_private_segment_fixed_size 56
		.amdhsa_kernarg_size 384
		.amdhsa_user_sgpr_count 2
		.amdhsa_user_sgpr_dispatch_ptr 0
		.amdhsa_user_sgpr_queue_ptr 0
		.amdhsa_user_sgpr_kernarg_segment_ptr 1
		.amdhsa_user_sgpr_dispatch_id 0
		.amdhsa_user_sgpr_kernarg_preload_length 0
		.amdhsa_user_sgpr_kernarg_preload_offset 0
		.amdhsa_user_sgpr_private_segment_size 0
		.amdhsa_wavefront_size32 1
		.amdhsa_uses_dynamic_stack 0
		.amdhsa_enable_private_segment 1
		.amdhsa_system_sgpr_workgroup_id_x 1
		.amdhsa_system_sgpr_workgroup_id_y 1
		.amdhsa_system_sgpr_workgroup_id_z 1
		.amdhsa_system_sgpr_workgroup_info 0
		.amdhsa_system_vgpr_workitem_id 0
		.amdhsa_next_free_vgpr 128
		.amdhsa_next_free_sgpr 28
		.amdhsa_named_barrier_count 0
		.amdhsa_reserve_vcc 1
		.amdhsa_float_round_mode_32 0
		.amdhsa_float_round_mode_16_64 0
		.amdhsa_float_denorm_mode_32 3
		.amdhsa_float_denorm_mode_16_64 3
		.amdhsa_fp16_overflow 0
		.amdhsa_memory_ordered 1
		.amdhsa_forward_progress 1
		.amdhsa_inst_pref_size 140
		.amdhsa_round_robin_scheduling 0
		.amdhsa_exception_fp_ieee_invalid_op 0
		.amdhsa_exception_fp_denorm_src 0
		.amdhsa_exception_fp_ieee_div_zero 0
		.amdhsa_exception_fp_ieee_overflow 0
		.amdhsa_exception_fp_ieee_underflow 0
		.amdhsa_exception_fp_ieee_inexact 0
		.amdhsa_exception_int_div_zero 0
	.end_amdhsa_kernel
	.section	.text._ZN4vllm25paged_attention_v1_kernelIttLi192ELi32ELi128ELNS_18Fp8KVCacheDataTypeE0ELb0EEEvPT_PKS2_PKT0_S8_ifPKiSA_iPKfiiiSC_SC_iiiii,"axG",@progbits,_ZN4vllm25paged_attention_v1_kernelIttLi192ELi32ELi128ELNS_18Fp8KVCacheDataTypeE0ELb0EEEvPT_PKS2_PKT0_S8_ifPKiSA_iPKfiiiSC_SC_iiiii,comdat
.Lfunc_end106:
	.size	_ZN4vllm25paged_attention_v1_kernelIttLi192ELi32ELi128ELNS_18Fp8KVCacheDataTypeE0ELb0EEEvPT_PKS2_PKT0_S8_ifPKiSA_iPKfiiiSC_SC_iiiii, .Lfunc_end106-_ZN4vllm25paged_attention_v1_kernelIttLi192ELi32ELi128ELNS_18Fp8KVCacheDataTypeE0ELb0EEEvPT_PKS2_PKT0_S8_ifPKiSA_iPKfiiiSC_SC_iiiii
                                        ; -- End function
	.set _ZN4vllm25paged_attention_v1_kernelIttLi192ELi32ELi128ELNS_18Fp8KVCacheDataTypeE0ELb0EEEvPT_PKS2_PKT0_S8_ifPKiSA_iPKfiiiSC_SC_iiiii.num_vgpr, 128
	.set _ZN4vllm25paged_attention_v1_kernelIttLi192ELi32ELi128ELNS_18Fp8KVCacheDataTypeE0ELb0EEEvPT_PKS2_PKT0_S8_ifPKiSA_iPKfiiiSC_SC_iiiii.num_agpr, 0
	.set _ZN4vllm25paged_attention_v1_kernelIttLi192ELi32ELi128ELNS_18Fp8KVCacheDataTypeE0ELb0EEEvPT_PKS2_PKT0_S8_ifPKiSA_iPKfiiiSC_SC_iiiii.numbered_sgpr, 28
	.set _ZN4vllm25paged_attention_v1_kernelIttLi192ELi32ELi128ELNS_18Fp8KVCacheDataTypeE0ELb0EEEvPT_PKS2_PKT0_S8_ifPKiSA_iPKfiiiSC_SC_iiiii.num_named_barrier, 0
	.set _ZN4vllm25paged_attention_v1_kernelIttLi192ELi32ELi128ELNS_18Fp8KVCacheDataTypeE0ELb0EEEvPT_PKS2_PKT0_S8_ifPKiSA_iPKfiiiSC_SC_iiiii.private_seg_size, 56
	.set _ZN4vllm25paged_attention_v1_kernelIttLi192ELi32ELi128ELNS_18Fp8KVCacheDataTypeE0ELb0EEEvPT_PKS2_PKT0_S8_ifPKiSA_iPKfiiiSC_SC_iiiii.uses_vcc, 1
	.set _ZN4vllm25paged_attention_v1_kernelIttLi192ELi32ELi128ELNS_18Fp8KVCacheDataTypeE0ELb0EEEvPT_PKS2_PKT0_S8_ifPKiSA_iPKfiiiSC_SC_iiiii.uses_flat_scratch, 1
	.set _ZN4vllm25paged_attention_v1_kernelIttLi192ELi32ELi128ELNS_18Fp8KVCacheDataTypeE0ELb0EEEvPT_PKS2_PKT0_S8_ifPKiSA_iPKfiiiSC_SC_iiiii.has_dyn_sized_stack, 0
	.set _ZN4vllm25paged_attention_v1_kernelIttLi192ELi32ELi128ELNS_18Fp8KVCacheDataTypeE0ELb0EEEvPT_PKS2_PKT0_S8_ifPKiSA_iPKfiiiSC_SC_iiiii.has_recursion, 0
	.set _ZN4vllm25paged_attention_v1_kernelIttLi192ELi32ELi128ELNS_18Fp8KVCacheDataTypeE0ELb0EEEvPT_PKS2_PKT0_S8_ifPKiSA_iPKfiiiSC_SC_iiiii.has_indirect_call, 0
	.section	.AMDGPU.csdata,"",@progbits
; Kernel info:
; codeLenInByte = 17904
; TotalNumSgprs: 30
; NumVgprs: 128
; ScratchSize: 56
; MemoryBound: 0
; FloatMode: 240
; IeeeMode: 1
; LDSByteSize: 416 bytes/workgroup (compile time only)
; SGPRBlocks: 0
; VGPRBlocks: 7
; NumSGPRsForWavesPerEU: 30
; NumVGPRsForWavesPerEU: 128
; NamedBarCnt: 0
; Occupancy: 8
; WaveLimiterHint : 1
; COMPUTE_PGM_RSRC2:SCRATCH_EN: 1
; COMPUTE_PGM_RSRC2:USER_SGPR: 2
; COMPUTE_PGM_RSRC2:TRAP_HANDLER: 0
; COMPUTE_PGM_RSRC2:TGID_X_EN: 1
; COMPUTE_PGM_RSRC2:TGID_Y_EN: 1
; COMPUTE_PGM_RSRC2:TGID_Z_EN: 1
; COMPUTE_PGM_RSRC2:TIDIG_COMP_CNT: 0
	.section	.text._ZN4vllm25paged_attention_v1_kernelIttLi256ELi32ELi128ELNS_18Fp8KVCacheDataTypeE0ELb0EEEvPT_PKS2_PKT0_S8_ifPKiSA_iPKfiiiSC_SC_iiiii,"axG",@progbits,_ZN4vllm25paged_attention_v1_kernelIttLi256ELi32ELi128ELNS_18Fp8KVCacheDataTypeE0ELb0EEEvPT_PKS2_PKT0_S8_ifPKiSA_iPKfiiiSC_SC_iiiii,comdat
	.protected	_ZN4vllm25paged_attention_v1_kernelIttLi256ELi32ELi128ELNS_18Fp8KVCacheDataTypeE0ELb0EEEvPT_PKS2_PKT0_S8_ifPKiSA_iPKfiiiSC_SC_iiiii ; -- Begin function _ZN4vllm25paged_attention_v1_kernelIttLi256ELi32ELi128ELNS_18Fp8KVCacheDataTypeE0ELb0EEEvPT_PKS2_PKT0_S8_ifPKiSA_iPKfiiiSC_SC_iiiii
	.globl	_ZN4vllm25paged_attention_v1_kernelIttLi256ELi32ELi128ELNS_18Fp8KVCacheDataTypeE0ELb0EEEvPT_PKS2_PKT0_S8_ifPKiSA_iPKfiiiSC_SC_iiiii
	.p2align	8
	.type	_ZN4vllm25paged_attention_v1_kernelIttLi256ELi32ELi128ELNS_18Fp8KVCacheDataTypeE0ELb0EEEvPT_PKS2_PKT0_S8_ifPKiSA_iPKfiiiSC_SC_iiiii,@function
_ZN4vllm25paged_attention_v1_kernelIttLi256ELi32ELi128ELNS_18Fp8KVCacheDataTypeE0ELb0EEEvPT_PKS2_PKT0_S8_ifPKiSA_iPKfiiiSC_SC_iiiii: ; @_ZN4vllm25paged_attention_v1_kernelIttLi256ELi32ELi128ELNS_18Fp8KVCacheDataTypeE0ELb0EEEvPT_PKS2_PKT0_S8_ifPKiSA_iPKfiiiSC_SC_iiiii
; %bb.0:
	s_load_b64 s[10:11], s[0:1], 0x20
	s_bfe_u32 s3, ttmp6, 0x4000c
	s_bfe_u32 s5, ttmp6, 0x40010
	s_and_b32 s4, ttmp7, 0xffff
	s_add_co_i32 s3, s3, 1
	s_add_co_i32 s5, s5, 1
	s_and_b32 s2, ttmp6, 15
	s_bfe_u32 s6, ttmp6, 0x40004
	s_mul_i32 s3, ttmp9, s3
	s_mul_i32 s5, s4, s5
	s_getreg_b32 s20, hwreg(HW_REG_IB_STS2, 6, 4)
	s_add_co_i32 s7, s2, s3
	s_add_co_i32 s6, s6, s5
	s_cmp_eq_u32 s20, 0
	v_mov_b32_e32 v122, v0
	s_cselect_b32 s22, s4, s6
	s_cselect_b32 s6, ttmp9, s7
	s_clause 0x1
	s_load_b32 s21, s[0:1], 0x80
	s_load_b64 s[2:3], s[0:1], 0x30
	s_wait_kmcnt 0x0
	s_abs_i32 s4, s10
	s_delay_alu instid0(SALU_CYCLE_1) | instskip(SKIP_1) | instid1(SALU_CYCLE_2)
	s_cvt_f32_u32 s5, s4
	s_sub_co_i32 s7, 0, s4
	v_rcp_iflag_f32_e32 v0, s5
	v_nop
	s_delay_alu instid0(TRANS32_DEP_1) | instskip(SKIP_2) | instid1(SALU_CYCLE_3)
	v_readfirstlane_b32 s5, v0
	s_abs_i32 s8, s21
	s_mul_f32 s5, s5, 0x4f7ffffe
	s_cvt_u32_f32 s5, s5
	s_delay_alu instid0(SALU_CYCLE_3) | instskip(NEXT) | instid1(SALU_CYCLE_1)
	s_mul_i32 s7, s7, s5
	s_mul_hi_u32 s7, s5, s7
	s_delay_alu instid0(SALU_CYCLE_1) | instskip(SKIP_4) | instid1(SALU_CYCLE_1)
	s_add_co_i32 s5, s5, s7
	s_xor_b32 s7, s21, s10
	s_mul_hi_u32 s5, s8, s5
	s_ashr_i32 s7, s7, 31
	s_mul_i32 s9, s5, s4
	s_sub_co_i32 s8, s8, s9
	s_add_co_i32 s9, s5, 1
	s_sub_co_i32 s10, s8, s4
	s_cmp_ge_u32 s8, s4
	s_cselect_b32 s5, s9, s5
	s_cselect_b32 s8, s10, s8
	s_add_co_i32 s9, s5, 1
	s_cmp_ge_u32 s8, s4
	s_cselect_b32 s4, s9, s5
	s_load_b64 s[8:9], s[0:1], 0x40
	s_xor_b32 s4, s4, s7
	s_mov_b32 s5, 0
	s_sub_co_i32 s14, s4, s7
	s_mov_b32 s13, s5
	s_abs_i32 s16, s14
	s_mov_b32 s25, s5
	s_cvt_f32_u32 s4, s16
	s_delay_alu instid0(SALU_CYCLE_3) | instskip(SKIP_1) | instid1(TRANS32_DEP_1)
	v_rcp_iflag_f32_e32 v0, s4
	v_nop
	v_readfirstlane_b32 s4, v0
	s_mul_f32 s4, s4, 0x4f7ffffe
	s_delay_alu instid0(SALU_CYCLE_3) | instskip(SKIP_1) | instid1(SALU_CYCLE_2)
	s_cvt_u32_f32 s7, s4
	s_sub_co_i32 s4, 0, s16
	s_mul_i32 s4, s4, s7
	s_delay_alu instid0(SALU_CYCLE_1)
	s_mul_hi_u32 s10, s7, s4
	s_abs_i32 s4, s6
	s_add_co_i32 s12, s7, s10
	s_wait_kmcnt 0x0
	s_cmp_eq_u64 s[8:9], 0
	s_cbranch_scc1 .LBB107_2
; %bb.1:
	s_ashr_i32 s7, s6, 31
	s_delay_alu instid0(SALU_CYCLE_1) | instskip(NEXT) | instid1(SALU_CYCLE_1)
	s_lshl_b64 s[18:19], s[6:7], 2
	s_add_nc_u64 s[8:9], s[8:9], s[18:19]
	s_load_b32 s25, s[8:9], 0x0
.LBB107_2:
	s_load_b32 s23, s[2:3], s22 offset:0x0 scale_offset
	s_wait_xcnt 0x0
	s_load_b96 s[8:10], s[0:1], 0x48
	v_cmp_gt_u32_e64 s2, 32, v122
	s_ashr_i32 s3, s6, 31
	s_ashr_i32 s17, s14, 31
	s_mul_u64 s[14:15], s[4:5], s[12:13]
	s_lshl_b32 s6, s6, 8
	s_and_saveexec_b32 s5, s2
	s_cbranch_execz .LBB107_4
; %bb.3:
	s_load_b64 s[12:13], s[0:1], 0x8
	s_wait_kmcnt 0x0
	s_mul_i32 s18, s8, s22
	s_ashr_i32 s7, s6, 31
	s_ashr_i32 s19, s18, 31
	v_lshlrev_b32_e32 v4, 4, v122
	s_lshl_b64 s[18:19], s[18:19], 1
	s_delay_alu instid0(SALU_CYCLE_1) | instskip(SKIP_1) | instid1(SALU_CYCLE_1)
	s_add_nc_u64 s[12:13], s[12:13], s[18:19]
	s_lshl_b64 s[18:19], s[6:7], 1
	s_add_nc_u64 s[12:13], s[12:13], s[18:19]
	global_load_b128 v[0:3], v122, s[12:13] scale_offset
	s_wait_loadcnt 0x0
	ds_store_b128 v4, v[0:3]
.LBB107_4:
	s_or_b32 exec_lo, exec_lo, s5
	s_wait_kmcnt 0x0
	s_add_co_i32 s5, s23, 31
	s_load_b32 s8, s[0:1], 0x38
	s_ashr_i32 s7, s5, 31
	s_mul_i32 s12, s15, s16
	s_lshr_b32 s7, s7, 27
	s_sub_co_i32 s4, s4, s12
	s_add_co_i32 s5, s5, s7
	s_clause 0x1
	s_load_b64 s[12:13], s[0:1], 0x28
	s_load_b32 s7, s[0:1], 0x88
	s_xor_b32 s3, s3, s17
	s_ashr_i32 s24, s5, 5
	s_add_co_i32 s5, s15, 1
	s_sub_co_i32 s14, s4, s16
	s_cmp_ge_u32 s4, s16
	v_dual_lshrrev_b32 v123, 5, v122 :: v_dual_bitop2_b32 v124, 31, v122 bitop3:0x40
	s_cselect_b32 s5, s5, s15
	s_cselect_b32 s4, s14, s4
	s_add_co_i32 s14, s5, 1
	s_cmp_ge_u32 s4, s16
	v_dual_mov_b32 v18, 0xff7fffff :: v_dual_lshlrev_b32 v9, 2, v124
	s_cselect_b32 s4, s14, s5
	s_wait_kmcnt 0x0
	s_mul_i32 s14, s8, s22
	s_xor_b32 s4, s4, s3
	s_ashr_i32 s15, s14, 31
	s_sub_co_i32 s4, s4, s3
	v_cmp_gt_i32_e64 s3, s24, v123
	s_mul_i32 s16, s4, s10
	s_wait_dscnt 0x0
	s_barrier_signal -1
	s_barrier_wait -1
	s_and_saveexec_b32 s8, s3
	s_cbranch_execz .LBB107_8
; %bb.5:
	s_load_b64 s[4:5], s[0:1], 0x10
	s_ashr_i32 s17, s16, 31
	v_dual_mov_b32 v19, 0 :: v_dual_lshlrev_b32 v18, 4, v124
	v_lshrrev_b32_e32 v0, 3, v122
	s_ashr_i32 s19, s9, 31
	s_lshl_b64 s[26:27], s[16:17], 1
	s_cmp_neq_f32 s25, 0
	v_lshl_or_b32 v1, v123, 7, v9
	v_lshl_or_b32 v25, v123, 5, v124
	s_mov_b32 s18, s9
	s_cselect_b32 vcc_lo, -1, 0
	s_mov_b32 s10, 0
	s_sub_co_i32 s17, 1, s23
	scratch_store_b32 off, v123, off offset:124 ; 4-byte Folded Spill
	s_wait_kmcnt 0x0
	s_add_nc_u64 s[4:5], s[4:5], s[26:27]
	s_delay_alu instid0(SALU_CYCLE_1)
	v_add_nc_u64_e32 v[2:3], s[4:5], v[18:19]
	v_and_b32_e32 v18, 0x7c, v0
	s_lshl_b64 s[4:5], s[14:15], 2
	v_add_nc_u32_e32 v0, 0x220, v1
	s_add_nc_u64 s[4:5], s[12:13], s[4:5]
	s_clause 0x3
	scratch_store_b32 off, v122, off offset:120
	scratch_store_b32 off, v9, off offset:132
	scratch_store_b64 off, v[2:3], off offset:112
	scratch_store_b32 off, v124, off offset:128
	v_add_nc_u64_e32 v[4:5], s[4:5], v[18:19]
	v_mov_b32_e32 v18, 0xff7fffff
.LBB107_6:                              ; =>This Inner Loop Header: Depth=1
	s_clause 0x3
	scratch_store_b32 off, v123, off offset:12
	scratch_store_b64 off, v[4:5], off offset:4
	scratch_store_b32 off, v0, off
	scratch_load_b64 v[0:1], off, off offset:4
	v_cmp_gt_i32_e64 s4, s23, v25
	s_wait_loadcnt 0x0
	global_load_b32 v4, v[0:1], off
	s_wait_xcnt 0x0
	ds_load_b128 v[0:3], v19
	s_wait_dscnt 0x0
	v_dual_lshrrev_b32 v20, 16, v2 :: v_dual_lshrrev_b32 v22, 16, v3
	v_and_b32_e32 v21, 0xffff, v2
	v_and_b32_e32 v23, 0xffff, v3
	scratch_load_b64 v[2:3], off, off offset:112 ; 8-byte Folded Reload
	v_dual_lshrrev_b32 v6, 16, v0 :: v_dual_lshrrev_b32 v8, 16, v1
	v_and_b32_e32 v7, 0xffff, v0
	v_and_b32_e32 v9, 0xffff, v1
	s_wait_loadcnt 0x1
	v_ashrrev_i32_e32 v5, 31, v4
	s_delay_alu instid0(VALU_DEP_1) | instskip(SKIP_1) | instid1(VALU_DEP_1)
	v_mul_u64_e32 v[0:1], s[18:19], v[4:5]
	s_wait_loadcnt 0x0
	v_lshl_add_u64 v[4:5], v[0:1], 1, v[2:3]
	s_clause 0x1a
	global_load_b128 v[0:3], v[4:5], off
	global_load_b128 v[122:125], v[4:5], off offset:512
	global_load_b128 v[118:121], v[4:5], off offset:1024
	global_load_b128 v[114:117], v[4:5], off offset:1536
	global_load_b128 v[110:113], v[4:5], off offset:2048
	global_load_b128 v[106:109], v[4:5], off offset:2560
	global_load_b128 v[102:105], v[4:5], off offset:3072
	global_load_b128 v[98:101], v[4:5], off offset:3584
	global_load_b128 v[94:97], v[4:5], off offset:4096
	global_load_b128 v[90:93], v[4:5], off offset:4608
	global_load_b128 v[86:89], v[4:5], off offset:5120
	global_load_b128 v[82:85], v[4:5], off offset:5632
	global_load_b128 v[78:81], v[4:5], off offset:6144
	global_load_b128 v[74:77], v[4:5], off offset:6656
	global_load_b128 v[70:73], v[4:5], off offset:7168
	global_load_b128 v[66:69], v[4:5], off offset:7680
	global_load_b128 v[62:65], v[4:5], off offset:8192
	global_load_b128 v[58:61], v[4:5], off offset:8704
	global_load_b128 v[54:57], v[4:5], off offset:9216
	global_load_b128 v[50:53], v[4:5], off offset:9728
	global_load_b128 v[46:49], v[4:5], off offset:10240
	global_load_b128 v[42:45], v[4:5], off offset:10752
	global_load_b128 v[38:41], v[4:5], off offset:11264
	global_load_b128 v[34:37], v[4:5], off offset:11776
	global_load_b128 v[30:33], v[4:5], off offset:12288
	global_load_b128 v[26:29], v[4:5], off offset:12800
	global_load_b128 v[12:15], v[4:5], off offset:13312
	s_wait_loadcnt 0x1a
	v_dual_lshrrev_b32 v10, 16, v0 :: v_dual_lshrrev_b32 v127, 16, v2
	v_and_b32_e32 v0, 0xffff, v0
	v_lshrrev_b32_e32 v126, 16, v1
	v_and_b32_e32 v1, 0xffff, v1
	v_and_b32_e32 v2, 0xffff, v2
	v_lshrrev_b32_e32 v24, 16, v3
	v_and_b32_e32 v3, 0xffff, v3
	s_wait_loadcnt 0x0
	scratch_store_b128 off, v[12:15], off offset:96 ; 16-byte Folded Spill
	global_load_b128 v[12:15], v[4:5], off offset:13824
	s_wait_loadcnt 0x0
	scratch_store_b128 off, v[12:15], off offset:80 ; 16-byte Folded Spill
	global_load_b128 v[12:15], v[4:5], off offset:14336
	;; [unrolled: 3-line block ×5, first 2 shown]
	s_wait_loadcnt 0x0
	scratch_store_b128 off, v[12:15], off offset:16 ; 16-byte Folded Spill
	;;#ASMSTART
	v_cvt_f32_f16 v16, v7;
	;;#ASMEND
	;;#ASMSTART
	v_cvt_f32_f16 v17, v6;
	;;#ASMEND
	s_wait_xcnt 0x0
	;;#ASMSTART
	v_cvt_f32_f16 v14, v0;
	;;#ASMEND
	;;#ASMSTART
	v_cvt_f32_f16 v15, v10;
	;;#ASMEND
	;; [unrolled: 3-line block ×14, first 2 shown]
	ds_load_b128 v[0:3], v19 offset:16
	v_lshrrev_b32_e32 v23, 16, v122
	v_and_b32_e32 v24, 0xffff, v86
	s_wait_dscnt 0x0
	v_and_b32_e32 v20, 0xffff, v0
	v_lshrrev_b32_e32 v0, 16, v0
	;;#ASMSTART
	v_cvt_f32_f16 v20, v20;
	;;#ASMEND
	;;#ASMSTART
	v_cvt_f32_f16 v21, v0;
	;;#ASMEND
	v_and_b32_e32 v0, 0xffff, v122
	;;#ASMSTART
	v_cvt_f32_f16 v22, v0;
	;;#ASMEND
	;;#ASMSTART
	v_cvt_f32_f16 v23, v23;
	;;#ASMEND
	v_pk_mul_f32 v[20:21], v[20:21], v[22:23]
	v_and_b32_e32 v0, 0xffff, v1
	v_and_b32_e32 v22, 0xffff, v95
	v_lshrrev_b32_e32 v23, 16, v95
	s_delay_alu instid0(VALU_DEP_4)
	v_pk_fma_f32 v[14:15], v[16:17], v[14:15], v[20:21]
	v_lshrrev_b32_e32 v16, 16, v1
	;;#ASMSTART
	v_cvt_f32_f16 v1, v0;
	;;#ASMEND
	;;#ASMSTART
	v_cvt_f32_f16 v0, v16;
	;;#ASMEND
	v_and_b32_e32 v16, 0xffff, v123
	v_lshrrev_b32_e32 v20, 16, v123
	;;#ASMSTART
	v_cvt_f32_f16 v17, v16;
	;;#ASMEND
	;;#ASMSTART
	v_cvt_f32_f16 v16, v20;
	;;#ASMEND
	s_delay_alu instid0(VALU_DEP_2) | instskip(SKIP_1) | instid1(VALU_DEP_2)
	v_pk_mul_f32 v[0:1], v[0:1], v[16:17]
	v_and_b32_e32 v21, 0xffff, v101
	v_pk_fma_f32 v[0:1], v[12:13], v[10:11], v[0:1]
	v_and_b32_e32 v10, 0xffff, v2
	v_lshrrev_b32_e32 v2, 16, v2
	;;#ASMSTART
	v_cvt_f32_f16 v11, v10;
	;;#ASMEND
	;;#ASMSTART
	v_cvt_f32_f16 v10, v2;
	;;#ASMEND
	v_lshrrev_b32_e32 v12, 16, v124
	v_and_b32_e32 v2, 0xffff, v124
	;;#ASMSTART
	v_cvt_f32_f16 v13, v2;
	;;#ASMEND
	;;#ASMSTART
	v_cvt_f32_f16 v12, v12;
	;;#ASMEND
	s_delay_alu instid0(VALU_DEP_2) | instskip(SKIP_1) | instid1(VALU_DEP_2)
	v_pk_mul_f32 v[10:11], v[10:11], v[12:13]
	v_and_b32_e32 v2, 0xffff, v3
	v_pk_fma_f32 v[6:7], v[8:9], v[6:7], v[10:11]
	v_lshrrev_b32_e32 v8, 16, v125
	v_and_b32_e32 v9, 0xffff, v125
	v_lshrrev_b32_e32 v10, 16, v3
	;;#ASMSTART
	v_cvt_f32_f16 v3, v2;
	;;#ASMEND
	;;#ASMSTART
	v_cvt_f32_f16 v2, v10;
	;;#ASMEND
	;;#ASMSTART
	v_cvt_f32_f16 v9, v9;
	;;#ASMEND
	;;#ASMSTART
	v_cvt_f32_f16 v8, v8;
	;;#ASMEND
	v_pk_mul_f32 v[2:3], v[2:3], v[8:9]
	s_delay_alu instid0(VALU_DEP_1)
	v_pk_fma_f32 v[8:9], v[4:5], v[126:127], v[2:3]
	ds_load_b128 v[2:5], v19 offset:32
	v_lshrrev_b32_e32 v13, 16, v118
	s_wait_dscnt 0x0
	v_and_b32_e32 v10, 0xffff, v2
	v_lshrrev_b32_e32 v2, 16, v2
	;;#ASMSTART
	v_cvt_f32_f16 v10, v10;
	;;#ASMEND
	;;#ASMSTART
	v_cvt_f32_f16 v11, v2;
	;;#ASMEND
	v_and_b32_e32 v2, 0xffff, v118
	;;#ASMSTART
	v_cvt_f32_f16 v12, v2;
	;;#ASMEND
	;;#ASMSTART
	v_cvt_f32_f16 v13, v13;
	;;#ASMEND
	v_pk_fma_f32 v[10:11], v[10:11], v[12:13], v[14:15]
	v_and_b32_e32 v2, 0xffff, v3
	v_lshrrev_b32_e32 v12, 16, v3
	;;#ASMSTART
	v_cvt_f32_f16 v3, v2;
	;;#ASMEND
	;;#ASMSTART
	v_cvt_f32_f16 v2, v12;
	;;#ASMEND
	v_and_b32_e32 v12, 0xffff, v119
	v_lshrrev_b32_e32 v14, 16, v119
	;;#ASMSTART
	v_cvt_f32_f16 v13, v12;
	;;#ASMEND
	;;#ASMSTART
	v_cvt_f32_f16 v12, v14;
	;;#ASMEND
	s_delay_alu instid0(VALU_DEP_2)
	v_pk_fma_f32 v[12:13], v[2:3], v[12:13], v[0:1]
	v_and_b32_e32 v0, 0xffff, v4
	v_lshrrev_b32_e32 v2, 16, v4
	;;#ASMSTART
	v_cvt_f32_f16 v1, v0;
	;;#ASMEND
	;;#ASMSTART
	v_cvt_f32_f16 v0, v2;
	;;#ASMEND
	v_and_b32_e32 v2, 0xffff, v120
	v_lshrrev_b32_e32 v4, 16, v120
	;;#ASMSTART
	v_cvt_f32_f16 v3, v2;
	;;#ASMEND
	;;#ASMSTART
	v_cvt_f32_f16 v2, v4;
	;;#ASMEND
	s_delay_alu instid0(VALU_DEP_2)
	v_pk_fma_f32 v[6:7], v[0:1], v[2:3], v[6:7]
	v_lshrrev_b32_e32 v2, 16, v121
	v_and_b32_e32 v3, 0xffff, v121
	v_and_b32_e32 v0, 0xffff, v5
	v_lshrrev_b32_e32 v4, 16, v5
	;;#ASMSTART
	v_cvt_f32_f16 v1, v0;
	;;#ASMEND
	;;#ASMSTART
	v_cvt_f32_f16 v0, v4;
	;;#ASMEND
	;; [unrolled: 3-line block ×4, first 2 shown]
	v_pk_fma_f32 v[4:5], v[0:1], v[2:3], v[8:9]
	ds_load_b128 v[0:3], v19 offset:48
	v_lshrrev_b32_e32 v15, 16, v114
	s_wait_dscnt 0x0
	v_and_b32_e32 v8, 0xffff, v0
	v_lshrrev_b32_e32 v0, 16, v0
	;;#ASMSTART
	v_cvt_f32_f16 v8, v8;
	;;#ASMEND
	;;#ASMSTART
	v_cvt_f32_f16 v9, v0;
	;;#ASMEND
	v_and_b32_e32 v0, 0xffff, v114
	;;#ASMSTART
	v_cvt_f32_f16 v14, v0;
	;;#ASMEND
	;;#ASMSTART
	v_cvt_f32_f16 v15, v15;
	;;#ASMEND
	v_pk_fma_f32 v[8:9], v[8:9], v[14:15], v[10:11]
	v_and_b32_e32 v0, 0xffff, v1
	v_lshrrev_b32_e32 v10, 16, v1
	;;#ASMSTART
	v_cvt_f32_f16 v1, v0;
	;;#ASMEND
	;;#ASMSTART
	v_cvt_f32_f16 v0, v10;
	;;#ASMEND
	v_and_b32_e32 v10, 0xffff, v115
	v_lshrrev_b32_e32 v14, 16, v115
	;;#ASMSTART
	v_cvt_f32_f16 v11, v10;
	;;#ASMEND
	;;#ASMSTART
	v_cvt_f32_f16 v10, v14;
	;;#ASMEND
	s_delay_alu instid0(VALU_DEP_2)
	v_pk_fma_f32 v[10:11], v[0:1], v[10:11], v[12:13]
	v_and_b32_e32 v0, 0xffff, v2
	v_lshrrev_b32_e32 v2, 16, v2
	;;#ASMSTART
	v_cvt_f32_f16 v1, v0;
	;;#ASMEND
	;;#ASMSTART
	v_cvt_f32_f16 v0, v2;
	;;#ASMEND
	v_and_b32_e32 v2, 0xffff, v116
	v_lshrrev_b32_e32 v12, 16, v116
	;;#ASMSTART
	v_cvt_f32_f16 v13, v2;
	;;#ASMEND
	v_lshrrev_b32_e32 v2, 16, v117
	;;#ASMSTART
	v_cvt_f32_f16 v12, v12;
	;;#ASMEND
	s_delay_alu instid0(VALU_DEP_2)
	v_pk_fma_f32 v[6:7], v[0:1], v[12:13], v[6:7]
	v_and_b32_e32 v0, 0xffff, v3
	v_lshrrev_b32_e32 v3, 16, v3
	v_and_b32_e32 v12, 0xffff, v117
	;;#ASMSTART
	v_cvt_f32_f16 v1, v0;
	;;#ASMEND
	;;#ASMSTART
	v_cvt_f32_f16 v0, v3;
	;;#ASMEND
	;; [unrolled: 3-line block ×4, first 2 shown]
	v_pk_fma_f32 v[4:5], v[0:1], v[2:3], v[4:5]
	ds_load_b128 v[0:3], v19 offset:64
	v_lshrrev_b32_e32 v15, 16, v110
	s_wait_dscnt 0x0
	v_and_b32_e32 v12, 0xffff, v0
	v_lshrrev_b32_e32 v0, 16, v0
	;;#ASMSTART
	v_cvt_f32_f16 v12, v12;
	;;#ASMEND
	;;#ASMSTART
	v_cvt_f32_f16 v13, v0;
	;;#ASMEND
	v_and_b32_e32 v0, 0xffff, v110
	;;#ASMSTART
	v_cvt_f32_f16 v14, v0;
	;;#ASMEND
	;;#ASMSTART
	v_cvt_f32_f16 v15, v15;
	;;#ASMEND
	v_pk_fma_f32 v[8:9], v[12:13], v[14:15], v[8:9]
	v_and_b32_e32 v0, 0xffff, v1
	v_lshrrev_b32_e32 v12, 16, v1
	;;#ASMSTART
	v_cvt_f32_f16 v1, v0;
	;;#ASMEND
	;;#ASMSTART
	v_cvt_f32_f16 v0, v12;
	;;#ASMEND
	v_and_b32_e32 v12, 0xffff, v111
	v_lshrrev_b32_e32 v14, 16, v111
	;;#ASMSTART
	v_cvt_f32_f16 v13, v12;
	;;#ASMEND
	;;#ASMSTART
	v_cvt_f32_f16 v12, v14;
	;;#ASMEND
	s_delay_alu instid0(VALU_DEP_2)
	v_pk_fma_f32 v[10:11], v[0:1], v[12:13], v[10:11]
	v_and_b32_e32 v0, 0xffff, v2
	v_lshrrev_b32_e32 v2, 16, v2
	;;#ASMSTART
	v_cvt_f32_f16 v1, v0;
	;;#ASMEND
	;;#ASMSTART
	v_cvt_f32_f16 v0, v2;
	;;#ASMEND
	v_and_b32_e32 v2, 0xffff, v112
	v_lshrrev_b32_e32 v12, 16, v112
	;;#ASMSTART
	v_cvt_f32_f16 v13, v2;
	;;#ASMEND
	v_lshrrev_b32_e32 v2, 16, v113
	;;#ASMSTART
	v_cvt_f32_f16 v12, v12;
	;;#ASMEND
	s_delay_alu instid0(VALU_DEP_2)
	v_pk_fma_f32 v[6:7], v[0:1], v[12:13], v[6:7]
	v_and_b32_e32 v0, 0xffff, v3
	v_lshrrev_b32_e32 v3, 16, v3
	v_and_b32_e32 v12, 0xffff, v113
	;;#ASMSTART
	v_cvt_f32_f16 v1, v0;
	;;#ASMEND
	;;#ASMSTART
	v_cvt_f32_f16 v0, v3;
	;;#ASMEND
	;; [unrolled: 3-line block ×4, first 2 shown]
	v_pk_fma_f32 v[4:5], v[0:1], v[2:3], v[4:5]
	ds_load_b128 v[0:3], v19 offset:80
	v_lshrrev_b32_e32 v15, 16, v106
	s_wait_dscnt 0x0
	v_and_b32_e32 v12, 0xffff, v0
	v_lshrrev_b32_e32 v0, 16, v0
	;;#ASMSTART
	v_cvt_f32_f16 v12, v12;
	;;#ASMEND
	;;#ASMSTART
	v_cvt_f32_f16 v13, v0;
	;;#ASMEND
	v_and_b32_e32 v0, 0xffff, v106
	;;#ASMSTART
	v_cvt_f32_f16 v14, v0;
	;;#ASMEND
	;;#ASMSTART
	v_cvt_f32_f16 v15, v15;
	;;#ASMEND
	v_pk_fma_f32 v[8:9], v[12:13], v[14:15], v[8:9]
	v_and_b32_e32 v0, 0xffff, v1
	v_lshrrev_b32_e32 v12, 16, v1
	;;#ASMSTART
	v_cvt_f32_f16 v1, v0;
	;;#ASMEND
	;;#ASMSTART
	v_cvt_f32_f16 v0, v12;
	;;#ASMEND
	v_and_b32_e32 v12, 0xffff, v107
	v_lshrrev_b32_e32 v14, 16, v107
	;;#ASMSTART
	v_cvt_f32_f16 v13, v12;
	;;#ASMEND
	;;#ASMSTART
	v_cvt_f32_f16 v12, v14;
	;;#ASMEND
	s_delay_alu instid0(VALU_DEP_2)
	v_pk_fma_f32 v[10:11], v[0:1], v[12:13], v[10:11]
	v_and_b32_e32 v0, 0xffff, v2
	v_lshrrev_b32_e32 v2, 16, v2
	;;#ASMSTART
	v_cvt_f32_f16 v1, v0;
	;;#ASMEND
	;;#ASMSTART
	v_cvt_f32_f16 v0, v2;
	;;#ASMEND
	v_and_b32_e32 v2, 0xffff, v108
	v_lshrrev_b32_e32 v12, 16, v108
	;;#ASMSTART
	v_cvt_f32_f16 v13, v2;
	;;#ASMEND
	v_lshrrev_b32_e32 v2, 16, v109
	;;#ASMSTART
	v_cvt_f32_f16 v12, v12;
	;;#ASMEND
	s_delay_alu instid0(VALU_DEP_2)
	v_pk_fma_f32 v[6:7], v[0:1], v[12:13], v[6:7]
	v_and_b32_e32 v0, 0xffff, v3
	v_lshrrev_b32_e32 v3, 16, v3
	v_and_b32_e32 v12, 0xffff, v109
	;;#ASMSTART
	v_cvt_f32_f16 v1, v0;
	;;#ASMEND
	;;#ASMSTART
	v_cvt_f32_f16 v0, v3;
	;;#ASMEND
	;; [unrolled: 3-line block ×4, first 2 shown]
	v_pk_fma_f32 v[4:5], v[0:1], v[2:3], v[4:5]
	ds_load_b128 v[0:3], v19 offset:96
	v_lshrrev_b32_e32 v15, 16, v102
	v_and_b32_e32 v108, 0xffff, v78
	v_dual_lshrrev_b32 v109, 16, v78 :: v_dual_lshrrev_b32 v107, 16, v79
	v_and_b32_e32 v106, 0xffff, v79
	v_and_b32_e32 v78, 0xffff, v64
	v_lshrrev_b32_e32 v79, 16, v64
	v_and_b32_e32 v64, 0xffff, v55
	s_wait_dscnt 0x0
	v_and_b32_e32 v12, 0xffff, v0
	v_lshrrev_b32_e32 v0, 16, v0
	;;#ASMSTART
	v_cvt_f32_f16 v12, v12;
	;;#ASMEND
	;;#ASMSTART
	v_cvt_f32_f16 v13, v0;
	;;#ASMEND
	v_and_b32_e32 v0, 0xffff, v102
	;;#ASMSTART
	v_cvt_f32_f16 v14, v0;
	;;#ASMEND
	;;#ASMSTART
	v_cvt_f32_f16 v15, v15;
	;;#ASMEND
	v_pk_fma_f32 v[12:13], v[12:13], v[14:15], v[8:9]
	v_and_b32_e32 v0, 0xffff, v1
	v_lshrrev_b32_e32 v8, 16, v1
	;;#ASMSTART
	v_cvt_f32_f16 v1, v0;
	;;#ASMEND
	;;#ASMSTART
	v_cvt_f32_f16 v0, v8;
	;;#ASMEND
	v_and_b32_e32 v8, 0xffff, v103
	v_lshrrev_b32_e32 v14, 16, v103
	;;#ASMSTART
	v_cvt_f32_f16 v9, v8;
	;;#ASMEND
	;;#ASMSTART
	v_cvt_f32_f16 v8, v14;
	;;#ASMEND
	s_delay_alu instid0(VALU_DEP_2)
	v_pk_fma_f32 v[0:1], v[0:1], v[8:9], v[10:11]
	v_and_b32_e32 v8, 0xffff, v2
	v_dual_lshrrev_b32 v2, 16, v2 :: v_dual_lshrrev_b32 v10, 16, v104
	;;#ASMSTART
	v_cvt_f32_f16 v9, v8;
	;;#ASMEND
	;;#ASMSTART
	v_cvt_f32_f16 v8, v2;
	;;#ASMEND
	v_and_b32_e32 v2, 0xffff, v104
	;;#ASMSTART
	v_cvt_f32_f16 v11, v2;
	;;#ASMEND
	;;#ASMSTART
	v_cvt_f32_f16 v10, v10;
	;;#ASMEND
	v_pk_fma_f32 v[10:11], v[8:9], v[10:11], v[6:7]
	v_lshrrev_b32_e32 v6, 16, v105
	v_and_b32_e32 v7, 0xffff, v105
	v_and_b32_e32 v2, 0xffff, v3
	v_lshrrev_b32_e32 v8, 16, v3
	;;#ASMSTART
	v_cvt_f32_f16 v3, v2;
	;;#ASMEND
	;;#ASMSTART
	v_cvt_f32_f16 v2, v8;
	;;#ASMEND
	;; [unrolled: 3-line block ×4, first 2 shown]
	v_pk_fma_f32 v[14:15], v[2:3], v[6:7], v[4:5]
	ds_load_b128 v[6:9], v19 offset:112
	v_and_b32_e32 v4, 0xffff, v98
	v_dual_lshrrev_b32 v5, 16, v98 :: v_dual_lshrrev_b32 v20, 16, v101
	v_lshrrev_b32_e32 v105, 16, v74
	v_lshrrev_b32_e32 v101, 16, v70
	v_and_b32_e32 v104, 0xffff, v74
	v_and_b32_e32 v74, 0xffff, v54
	;; [unrolled: 1-line block ×3, first 2 shown]
	v_lshrrev_b32_e32 v103, 16, v76
	v_and_b32_e32 v76, 0xffff, v59
	s_wait_dscnt 0x0
	v_and_b32_e32 v2, 0xffff, v6
	v_lshrrev_b32_e32 v3, 16, v6
	;;#ASMSTART
	v_cvt_f32_f16 v2, v2;
	;;#ASMEND
	;;#ASMSTART
	v_cvt_f32_f16 v3, v3;
	;;#ASMEND
	;; [unrolled: 3-line block ×4, first 2 shown]
	v_pk_fma_f32 v[12:13], v[2:3], v[4:5], v[12:13]
	v_and_b32_e32 v2, 0xffff, v7
	v_lshrrev_b32_e32 v4, 16, v7
	;;#ASMSTART
	v_cvt_f32_f16 v3, v2;
	;;#ASMEND
	;;#ASMSTART
	v_cvt_f32_f16 v2, v4;
	;;#ASMEND
	v_and_b32_e32 v4, 0xffff, v99
	v_lshrrev_b32_e32 v6, 16, v99
	;;#ASMSTART
	v_cvt_f32_f16 v5, v4;
	;;#ASMEND
	;;#ASMSTART
	v_cvt_f32_f16 v4, v6;
	;;#ASMEND
	s_delay_alu instid0(VALU_DEP_2)
	v_pk_fma_f32 v[16:17], v[2:3], v[4:5], v[0:1]
	v_and_b32_e32 v2, 0xffff, v100
	v_and_b32_e32 v0, 0xffff, v8
	v_lshrrev_b32_e32 v3, 16, v8
	v_lshrrev_b32_e32 v4, 16, v100
	;;#ASMSTART
	v_cvt_f32_f16 v1, v0;
	;;#ASMEND
	;;#ASMSTART
	v_cvt_f32_f16 v0, v3;
	;;#ASMEND
	;; [unrolled: 3-line block ×4, first 2 shown]
	v_pk_fma_f32 v[2:3], v[0:1], v[2:3], v[10:11]
	v_and_b32_e32 v0, 0xffff, v9
	v_lshrrev_b32_e32 v8, 16, v9
	v_and_b32_e32 v10, 0xffff, v94
	v_lshrrev_b32_e32 v11, 16, v94
	v_and_b32_e32 v4, 0xffff, v96
	v_dual_lshrrev_b32 v5, 16, v96 :: v_dual_lshrrev_b32 v6, 16, v97
	v_and_b32_e32 v7, 0xffff, v97
	;;#ASMSTART
	v_cvt_f32_f16 v1, v0;
	;;#ASMEND
	;;#ASMSTART
	v_cvt_f32_f16 v0, v8;
	;;#ASMEND
	;; [unrolled: 3-line block ×4, first 2 shown]
	ds_load_b128 v[94:97], v19 offset:128
	v_pk_fma_f32 v[0:1], v[0:1], v[8:9], v[14:15]
	v_lshrrev_b32_e32 v14, 16, v93
	v_and_b32_e32 v15, 0xffff, v93
	v_lshrrev_b32_e32 v100, 16, v86
	v_and_b32_e32 v93, 0xffff, v88
	v_lshrrev_b32_e32 v86, 16, v89
	s_wait_dscnt 0x0
	v_and_b32_e32 v8, 0xffff, v94
	v_lshrrev_b32_e32 v9, 16, v94
	;;#ASMSTART
	v_cvt_f32_f16 v8, v8;
	;;#ASMEND
	;;#ASMSTART
	v_cvt_f32_f16 v9, v9;
	;;#ASMEND
	;; [unrolled: 3-line block ×4, first 2 shown]
	v_pk_fma_f32 v[98:99], v[8:9], v[10:11], v[12:13]
	v_and_b32_e32 v9, 0xffff, v95
	v_lshrrev_b32_e32 v10, 16, v95
	;;#ASMSTART
	v_cvt_f32_f16 v11, v9;
	;;#ASMEND
	v_lshrrev_b32_e32 v9, 16, v90
	;;#ASMSTART
	v_cvt_f32_f16 v10, v10;
	;;#ASMEND
	;;#ASMSTART
	v_cvt_f32_f16 v13, v22;
	;;#ASMEND
	;; [unrolled: 3-line block ×3, first 2 shown]
	v_pk_fma_f32 v[94:95], v[10:11], v[12:13], v[16:17]
	v_and_b32_e32 v16, 0xffff, v96
	v_lshrrev_b32_e32 v20, 16, v96
	;;#ASMSTART
	v_cvt_f32_f16 v17, v16;
	;;#ASMEND
	;;#ASMSTART
	v_cvt_f32_f16 v16, v20;
	;;#ASMEND
	;; [unrolled: 3-line block ×4, first 2 shown]
	v_pk_fma_f32 v[4:5], v[16:17], v[20:21], v[2:3]
	v_and_b32_e32 v2, 0xffff, v97
	v_lshrrev_b32_e32 v16, 16, v97
	;;#ASMSTART
	v_cvt_f32_f16 v3, v2;
	;;#ASMEND
	;;#ASMSTART
	v_cvt_f32_f16 v2, v16;
	;;#ASMEND
	;; [unrolled: 3-line block ×4, first 2 shown]
	v_pk_fma_f32 v[6:7], v[2:3], v[6:7], v[0:1]
	ds_load_b128 v[0:3], v19 offset:144
	v_and_b32_e32 v8, 0xffff, v90
	v_and_b32_e32 v10, 0xffff, v91
	v_dual_lshrrev_b32 v11, 16, v91 :: v_dual_lshrrev_b32 v13, 16, v92
	v_and_b32_e32 v12, 0xffff, v92
	v_lshrrev_b32_e32 v92, 16, v82
	v_and_b32_e32 v91, 0xffff, v82
	v_and_b32_e32 v82, 0xffff, v83
	v_dual_lshrrev_b32 v90, 16, v83 :: v_dual_lshrrev_b32 v83, 16, v85
	v_lshrrev_b32_e32 v23, 16, v87
	v_and_b32_e32 v22, 0xffff, v87
	v_lshrrev_b32_e32 v96, 16, v88
	v_and_b32_e32 v87, 0xffff, v89
	v_dual_lshrrev_b32 v97, 16, v71 :: v_dual_lshrrev_b32 v89, 16, v84
	v_and_b32_e32 v88, 0xffff, v84
	v_and_b32_e32 v85, 0xffff, v85
	v_lshrrev_b32_e32 v20, 16, v81
	s_wait_dscnt 0x0
	v_and_b32_e32 v16, 0xffff, v0
	v_lshrrev_b32_e32 v0, 16, v0
	;;#ASMSTART
	v_cvt_f32_f16 v16, v16;
	;;#ASMEND
	;;#ASMSTART
	v_cvt_f32_f16 v17, v0;
	;;#ASMEND
	;; [unrolled: 3-line block ×4, first 2 shown]
	v_and_b32_e32 v0, 0xffff, v1
	v_pk_fma_f32 v[8:9], v[16:17], v[8:9], v[98:99]
	v_lshrrev_b32_e32 v16, 16, v1
	;;#ASMSTART
	v_cvt_f32_f16 v1, v0;
	;;#ASMEND
	;;#ASMSTART
	v_cvt_f32_f16 v0, v16;
	;;#ASMEND
	;; [unrolled: 3-line block ×4, first 2 shown]
	v_pk_fma_f32 v[10:11], v[0:1], v[16:17], v[94:95]
	v_and_b32_e32 v0, 0xffff, v2
	v_lshrrev_b32_e32 v2, 16, v2
	;;#ASMSTART
	v_cvt_f32_f16 v1, v0;
	;;#ASMEND
	;;#ASMSTART
	v_cvt_f32_f16 v0, v2;
	;;#ASMEND
	;; [unrolled: 3-line block ×4, first 2 shown]
	v_pk_fma_f32 v[12:13], v[0:1], v[16:17], v[4:5]
	v_and_b32_e32 v0, 0xffff, v3
	v_lshrrev_b32_e32 v2, 16, v3
	;;#ASMSTART
	v_cvt_f32_f16 v1, v0;
	;;#ASMEND
	;;#ASMSTART
	v_cvt_f32_f16 v0, v2;
	;;#ASMEND
	;; [unrolled: 3-line block ×4, first 2 shown]
	v_pk_fma_f32 v[14:15], v[0:1], v[2:3], v[6:7]
	ds_load_b128 v[0:3], v19 offset:160
	v_lshrrev_b32_e32 v98, 16, v77
	v_and_b32_e32 v16, 0xffff, v80
	v_lshrrev_b32_e32 v17, 16, v80
	v_and_b32_e32 v21, 0xffff, v81
	v_and_b32_e32 v80, 0xffff, v63
	v_lshrrev_b32_e32 v81, 16, v63
	v_and_b32_e32 v99, 0xffff, v77
	v_lshrrev_b32_e32 v77, 16, v59
	v_and_b32_e32 v84, 0xffff, v69
	v_and_b32_e32 v94, 0xffff, v72
	v_lshrrev_b32_e32 v95, 16, v72
	v_and_b32_e32 v72, 0xffff, v60
	s_wait_dscnt 0x0
	v_and_b32_e32 v4, 0xffff, v0
	v_lshrrev_b32_e32 v0, 16, v0
	;;#ASMSTART
	v_cvt_f32_f16 v4, v4;
	;;#ASMEND
	;;#ASMSTART
	v_cvt_f32_f16 v5, v0;
	;;#ASMEND
	;;#ASMSTART
	v_cvt_f32_f16 v6, v24;
	;;#ASMEND
	;;#ASMSTART
	v_cvt_f32_f16 v7, v100;
	;;#ASMEND
	v_pk_fma_f32 v[4:5], v[4:5], v[6:7], v[8:9]
	v_and_b32_e32 v0, 0xffff, v1
	v_lshrrev_b32_e32 v6, 16, v1
	;;#ASMSTART
	v_cvt_f32_f16 v1, v0;
	;;#ASMEND
	;;#ASMSTART
	v_cvt_f32_f16 v0, v6;
	;;#ASMEND
	;;#ASMSTART
	v_cvt_f32_f16 v7, v22;
	;;#ASMEND
	;;#ASMSTART
	v_cvt_f32_f16 v6, v23;
	;;#ASMEND
	v_pk_fma_f32 v[6:7], v[0:1], v[6:7], v[10:11]
	;; [unrolled: 15-line block ×4, first 2 shown]
	ds_load_b128 v[0:3], v19 offset:176
	v_and_b32_e32 v100, 0xffff, v70
	v_and_b32_e32 v96, 0xffff, v71
	v_lshrrev_b32_e32 v93, 16, v66
	v_and_b32_e32 v22, 0xffff, v75
	v_dual_lshrrev_b32 v23, 16, v75 :: v_dual_lshrrev_b32 v75, 16, v54
	v_lshrrev_b32_e32 v12, 16, v73
	v_and_b32_e32 v13, 0xffff, v73
	v_and_b32_e32 v86, 0xffff, v68
	v_lshrrev_b32_e32 v87, 16, v68
	v_lshrrev_b32_e32 v73, 16, v60
	v_and_b32_e32 v68, 0xffff, v61
	v_and_b32_e32 v60, 0xffff, v51
	s_wait_dscnt 0x0
	v_and_b32_e32 v14, 0xffff, v0
	v_lshrrev_b32_e32 v0, 16, v0
	;;#ASMSTART
	v_cvt_f32_f16 v14, v14;
	;;#ASMEND
	;;#ASMSTART
	v_cvt_f32_f16 v15, v0;
	;;#ASMEND
	v_and_b32_e32 v0, 0xffff, v1
	;;#ASMSTART
	v_cvt_f32_f16 v70, v91;
	;;#ASMEND
	;;#ASMSTART
	v_cvt_f32_f16 v71, v92;
	;;#ASMEND
	v_pk_fma_f32 v[4:5], v[14:15], v[70:71], v[4:5]
	v_lshrrev_b32_e32 v14, 16, v1
	;;#ASMSTART
	v_cvt_f32_f16 v1, v0;
	;;#ASMEND
	;;#ASMSTART
	v_cvt_f32_f16 v0, v14;
	;;#ASMEND
	;; [unrolled: 3-line block ×4, first 2 shown]
	v_pk_fma_f32 v[6:7], v[0:1], v[14:15], v[6:7]
	v_and_b32_e32 v0, 0xffff, v2
	v_dual_lshrrev_b32 v82, 16, v69 :: v_dual_lshrrev_b32 v2, 16, v2
	;;#ASMSTART
	v_cvt_f32_f16 v1, v0;
	;;#ASMEND
	;;#ASMSTART
	v_cvt_f32_f16 v0, v2;
	;;#ASMEND
	;; [unrolled: 3-line block ×4, first 2 shown]
	v_pk_fma_f32 v[8:9], v[0:1], v[14:15], v[8:9]
	v_and_b32_e32 v0, 0xffff, v3
	v_lshrrev_b32_e32 v2, 16, v3
	;;#ASMSTART
	v_cvt_f32_f16 v1, v0;
	;;#ASMEND
	;;#ASMSTART
	v_cvt_f32_f16 v0, v2;
	;;#ASMEND
	;; [unrolled: 3-line block ×4, first 2 shown]
	v_pk_fma_f32 v[10:11], v[0:1], v[2:3], v[10:11]
	ds_load_b128 v[0:3], v19 offset:192
	v_and_b32_e32 v88, 0xffff, v62
	v_lshrrev_b32_e32 v89, 16, v62
	v_lshrrev_b32_e32 v85, 16, v58
	v_and_b32_e32 v92, 0xffff, v66
	v_lshrrev_b32_e32 v66, 16, v61
	v_lshrrev_b32_e32 v70, 16, v65
	v_and_b32_e32 v71, 0xffff, v65
	v_lshrrev_b32_e32 v65, 16, v55
	v_and_b32_e32 v83, 0xffff, v58
	;; [unrolled: 2-line block ×4, first 2 shown]
	v_lshrrev_b32_e32 v61, 16, v51
	s_wait_dscnt 0x0
	v_and_b32_e32 v14, 0xffff, v0
	v_lshrrev_b32_e32 v0, 16, v0
	;;#ASMSTART
	v_cvt_f32_f16 v14, v14;
	;;#ASMEND
	;;#ASMSTART
	v_cvt_f32_f16 v15, v0;
	;;#ASMEND
	v_and_b32_e32 v0, 0xffff, v1
	;;#ASMSTART
	v_cvt_f32_f16 v62, v108;
	;;#ASMEND
	;;#ASMSTART
	v_cvt_f32_f16 v63, v109;
	;;#ASMEND
	v_pk_fma_f32 v[4:5], v[14:15], v[62:63], v[4:5]
	v_lshrrev_b32_e32 v14, 16, v1
	;;#ASMSTART
	v_cvt_f32_f16 v1, v0;
	;;#ASMEND
	;;#ASMSTART
	v_cvt_f32_f16 v0, v14;
	;;#ASMEND
	;; [unrolled: 3-line block ×4, first 2 shown]
	v_pk_fma_f32 v[6:7], v[0:1], v[14:15], v[6:7]
	v_and_b32_e32 v0, 0xffff, v2
	v_lshrrev_b32_e32 v2, 16, v2
	;;#ASMSTART
	v_cvt_f32_f16 v1, v0;
	;;#ASMEND
	;;#ASMSTART
	v_cvt_f32_f16 v0, v2;
	;;#ASMEND
	;; [unrolled: 3-line block ×4, first 2 shown]
	v_pk_fma_f32 v[8:9], v[0:1], v[14:15], v[8:9]
	v_and_b32_e32 v0, 0xffff, v3
	v_lshrrev_b32_e32 v2, 16, v3
	v_and_b32_e32 v62, 0xffff, v56
	v_dual_lshrrev_b32 v63, 16, v56 :: v_dual_lshrrev_b32 v16, 16, v57
	v_and_b32_e32 v17, 0xffff, v57
	;;#ASMSTART
	v_cvt_f32_f16 v1, v0;
	;;#ASMEND
	;;#ASMSTART
	v_cvt_f32_f16 v0, v2;
	;;#ASMEND
	;; [unrolled: 3-line block ×4, first 2 shown]
	ds_load_b128 v[54:57], v19 offset:208
	v_pk_fma_f32 v[0:1], v[0:1], v[2:3], v[10:11]
	v_lshrrev_b32_e32 v21, 16, v52
	v_and_b32_e32 v20, 0xffff, v52
	v_and_b32_e32 v14, 0xffff, v46
	v_lshrrev_b32_e32 v15, 16, v46
	v_and_b32_e32 v46, 0xffff, v47
	v_lshrrev_b32_e32 v47, 16, v47
	;; [unrolled: 2-line block ×3, first 2 shown]
	s_wait_dscnt 0x0
	v_and_b32_e32 v2, 0xffff, v54
	v_lshrrev_b32_e32 v3, 16, v54
	;;#ASMSTART
	v_cvt_f32_f16 v2, v2;
	;;#ASMEND
	;;#ASMSTART
	v_cvt_f32_f16 v3, v3;
	;;#ASMEND
	;; [unrolled: 3-line block ×4, first 2 shown]
	v_pk_fma_f32 v[58:59], v[2:3], v[10:11], v[4:5]
	v_and_b32_e32 v2, 0xffff, v55
	v_lshrrev_b32_e32 v4, 16, v55
	;;#ASMSTART
	v_cvt_f32_f16 v3, v2;
	;;#ASMEND
	;;#ASMSTART
	v_cvt_f32_f16 v2, v4;
	;;#ASMEND
	;; [unrolled: 3-line block ×4, first 2 shown]
	v_pk_fma_f32 v[54:55], v[2:3], v[4:5], v[6:7]
	v_and_b32_e32 v2, 0xffff, v56
	v_dual_lshrrev_b32 v22, 16, v53 :: v_dual_lshrrev_b32 v4, 16, v56
	;;#ASMSTART
	v_cvt_f32_f16 v3, v2;
	;;#ASMEND
	;;#ASMSTART
	v_cvt_f32_f16 v2, v4;
	;;#ASMEND
	;; [unrolled: 3-line block ×4, first 2 shown]
	v_pk_fma_f32 v[50:51], v[2:3], v[4:5], v[8:9]
	v_and_b32_e32 v2, 0xffff, v57
	v_lshrrev_b32_e32 v4, 16, v57
	;;#ASMSTART
	v_cvt_f32_f16 v3, v2;
	;;#ASMEND
	;;#ASMSTART
	v_cvt_f32_f16 v2, v4;
	;;#ASMEND
	;;#ASMSTART
	v_cvt_f32_f16 v5, v99;
	;;#ASMEND
	;;#ASMSTART
	v_cvt_f32_f16 v4, v98;
	;;#ASMEND
	v_pk_fma_f32 v[6:7], v[2:3], v[4:5], v[0:1]
	ds_load_b128 v[0:3], v19 offset:224
	v_and_b32_e32 v56, 0xffff, v42
	v_dual_lshrrev_b32 v42, 16, v42 :: v_dual_lshrrev_b32 v57, 16, v45
	v_lshrrev_b32_e32 v98, 16, v30
	v_and_b32_e32 v99, 0xffff, v31
	v_and_b32_e32 v102, 0xffff, v27
	;; [unrolled: 1-line block ×3, first 2 shown]
	v_lshrrev_b32_e32 v53, 16, v49
	v_and_b32_e32 v49, 0xffff, v49
	v_and_b32_e32 v45, 0xffff, v45
	s_wait_dscnt 0x0
	v_and_b32_e32 v4, 0xffff, v0
	v_lshrrev_b32_e32 v0, 16, v0
	;;#ASMSTART
	v_cvt_f32_f16 v4, v4;
	;;#ASMEND
	;;#ASMSTART
	v_cvt_f32_f16 v5, v0;
	;;#ASMEND
	;;#ASMSTART
	v_cvt_f32_f16 v8, v100;
	;;#ASMEND
	;;#ASMSTART
	v_cvt_f32_f16 v9, v101;
	;;#ASMEND
	v_pk_fma_f32 v[4:5], v[4:5], v[8:9], v[58:59]
	v_and_b32_e32 v0, 0xffff, v1
	v_lshrrev_b32_e32 v8, 16, v1
	;;#ASMSTART
	v_cvt_f32_f16 v1, v0;
	;;#ASMEND
	;;#ASMSTART
	v_cvt_f32_f16 v0, v8;
	;;#ASMEND
	;;#ASMSTART
	v_cvt_f32_f16 v9, v96;
	;;#ASMEND
	;;#ASMSTART
	v_cvt_f32_f16 v8, v97;
	;;#ASMEND
	v_pk_fma_f32 v[8:9], v[0:1], v[8:9], v[54:55]
	;; [unrolled: 15-line block ×4, first 2 shown]
	ds_load_b128 v[0:3], v19 offset:240
	v_and_b32_e32 v94, 0xffff, v36
	v_and_b32_e32 v100, 0xffff, v30
	v_lshrrev_b32_e32 v96, 16, v31
	v_and_b32_e32 v101, 0xffff, v28
	v_and_b32_e32 v97, 0xffff, v32
	;; [unrolled: 1-line block ×4, first 2 shown]
	v_lshrrev_b32_e32 v43, 16, v43
	v_and_b32_e32 v55, 0xffff, v44
	v_lshrrev_b32_e32 v44, 16, v44
	v_and_b32_e32 v50, 0xffff, v38
	v_lshrrev_b32_e32 v38, 16, v38
	v_and_b32_e32 v51, 0xffff, v39
	v_lshrrev_b32_e32 v39, 16, v39
	v_and_b32_e32 v58, 0xffff, v40
	v_dual_lshrrev_b32 v40, 16, v40 :: v_dual_lshrrev_b32 v59, 16, v41
	v_and_b32_e32 v41, 0xffff, v41
	s_wait_dscnt 0x0
	v_and_b32_e32 v6, 0xffff, v0
	v_lshrrev_b32_e32 v0, 16, v0
	;;#ASMSTART
	v_cvt_f32_f16 v6, v6;
	;;#ASMEND
	;;#ASMSTART
	v_cvt_f32_f16 v7, v0;
	;;#ASMEND
	;; [unrolled: 3-line block ×4, first 2 shown]
	v_pk_fma_f32 v[6:7], v[6:7], v[92:93], v[4:5]
	v_and_b32_e32 v0, 0xffff, v1
	v_lshrrev_b32_e32 v4, 16, v1
	v_and_b32_e32 v92, 0xffff, v34
	;;#ASMSTART
	v_cvt_f32_f16 v1, v0;
	;;#ASMEND
	v_lshrrev_b32_e32 v34, 16, v34
	;;#ASMSTART
	v_cvt_f32_f16 v0, v4;
	;;#ASMEND
	;;#ASMSTART
	v_cvt_f32_f16 v5, v90;
	;;#ASMEND
	;; [unrolled: 3-line block ×3, first 2 shown]
	v_pk_fma_f32 v[4:5], v[0:1], v[4:5], v[8:9]
	v_and_b32_e32 v0, 0xffff, v2
	v_and_b32_e32 v90, 0xffff, v35
	v_dual_lshrrev_b32 v35, 16, v35 :: v_dual_lshrrev_b32 v91, 16, v36
	v_dual_lshrrev_b32 v36, 16, v37 :: v_dual_lshrrev_b32 v2, 16, v2
	;;#ASMSTART
	v_cvt_f32_f16 v1, v0;
	;;#ASMEND
	;;#ASMSTART
	v_cvt_f32_f16 v0, v2;
	;;#ASMEND
	;; [unrolled: 3-line block ×4, first 2 shown]
	v_pk_fma_f32 v[10:11], v[0:1], v[8:9], v[10:11]
	v_and_b32_e32 v0, 0xffff, v3
	v_lshrrev_b32_e32 v2, 16, v3
	;;#ASMSTART
	v_cvt_f32_f16 v1, v0;
	;;#ASMEND
	;;#ASMSTART
	v_cvt_f32_f16 v0, v2;
	;;#ASMEND
	;; [unrolled: 3-line block ×4, first 2 shown]
	v_pk_fma_f32 v[12:13], v[0:1], v[2:3], v[12:13]
	ds_load_b128 v[0:3], v19 offset:256
	v_dual_lshrrev_b32 v82, 16, v26 :: v_dual_lshrrev_b32 v84, 16, v28
	v_dual_lshrrev_b32 v87, 16, v32 :: v_dual_lshrrev_b32 v86, 16, v33
	v_and_b32_e32 v93, 0xffff, v37
	s_wait_dscnt 0x0
	v_and_b32_e32 v8, 0xffff, v0
	v_lshrrev_b32_e32 v0, 16, v0
	;;#ASMSTART
	v_cvt_f32_f16 v8, v8;
	;;#ASMEND
	;;#ASMSTART
	v_cvt_f32_f16 v9, v0;
	;;#ASMEND
	;; [unrolled: 3-line block ×4, first 2 shown]
	v_pk_fma_f32 v[6:7], v[8:9], v[30:31], v[6:7]
	v_and_b32_e32 v0, 0xffff, v1
	v_lshrrev_b32_e32 v8, 16, v1
	;;#ASMSTART
	v_cvt_f32_f16 v1, v0;
	;;#ASMEND
	;;#ASMSTART
	v_cvt_f32_f16 v0, v8;
	;;#ASMEND
	;;#ASMSTART
	v_cvt_f32_f16 v9, v80;
	;;#ASMEND
	;;#ASMSTART
	v_cvt_f32_f16 v8, v81;
	;;#ASMEND
	v_pk_fma_f32 v[8:9], v[0:1], v[8:9], v[4:5]
	v_and_b32_e32 v0, 0xffff, v2
	v_and_b32_e32 v80, 0xffff, v26
	v_dual_lshrrev_b32 v89, 16, v27 :: v_dual_lshrrev_b32 v81, 16, v29
	v_lshrrev_b32_e32 v2, 16, v2
	v_and_b32_e32 v88, 0xffff, v29
	;;#ASMSTART
	v_cvt_f32_f16 v1, v0;
	;;#ASMEND
	;;#ASMSTART
	v_cvt_f32_f16 v0, v2;
	;;#ASMEND
	;; [unrolled: 3-line block ×4, first 2 shown]
	scratch_load_b128 v[26:29], off, off offset:96 th:TH_LOAD_LU ; 16-byte Folded Reload
	v_pk_fma_f32 v[10:11], v[0:1], v[4:5], v[10:11]
	v_and_b32_e32 v0, 0xffff, v3
	v_lshrrev_b32_e32 v2, 16, v3
	;;#ASMSTART
	v_cvt_f32_f16 v1, v0;
	;;#ASMEND
	;;#ASMSTART
	v_cvt_f32_f16 v0, v2;
	;;#ASMEND
	;;#ASMSTART
	v_cvt_f32_f16 v3, v71;
	;;#ASMEND
	;;#ASMSTART
	v_cvt_f32_f16 v2, v70;
	;;#ASMEND
	v_pk_fma_f32 v[12:13], v[0:1], v[2:3], v[12:13]
	ds_load_b128 v[0:3], v19 offset:272
	s_wait_dscnt 0x0
	v_and_b32_e32 v4, 0xffff, v0
	v_lshrrev_b32_e32 v0, 16, v0
	;;#ASMSTART
	v_cvt_f32_f16 v4, v4;
	;;#ASMEND
	;;#ASMSTART
	v_cvt_f32_f16 v5, v0;
	;;#ASMEND
	v_and_b32_e32 v0, 0xffff, v1
	s_wait_loadcnt 0x0
	v_dual_lshrrev_b32 v106, 16, v26 :: v_dual_lshrrev_b32 v104, 16, v27
	v_and_b32_e32 v108, 0xffff, v26
	v_and_b32_e32 v107, 0xffff, v27
	;;#ASMSTART
	v_cvt_f32_f16 v26, v83;
	;;#ASMEND
	;;#ASMSTART
	v_cvt_f32_f16 v27, v85;
	;;#ASMEND
	v_dual_lshrrev_b32 v79, 16, v28 :: v_dual_lshrrev_b32 v78, 16, v29
	v_and_b32_e32 v105, 0xffff, v28
	v_and_b32_e32 v103, 0xffff, v29
	v_pk_fma_f32 v[4:5], v[4:5], v[26:27], v[6:7]
	scratch_load_b128 v[26:29], off, off offset:80 th:TH_LOAD_LU ; 16-byte Folded Reload
	v_lshrrev_b32_e32 v6, 16, v1
	;;#ASMSTART
	v_cvt_f32_f16 v1, v0;
	;;#ASMEND
	;;#ASMSTART
	v_cvt_f32_f16 v0, v6;
	;;#ASMEND
	;; [unrolled: 3-line block ×4, first 2 shown]
	v_pk_fma_f32 v[8:9], v[0:1], v[6:7], v[8:9]
	v_and_b32_e32 v0, 0xffff, v2
	v_lshrrev_b32_e32 v2, 16, v2
	;;#ASMSTART
	v_cvt_f32_f16 v1, v0;
	;;#ASMEND
	;;#ASMSTART
	v_cvt_f32_f16 v0, v2;
	;;#ASMEND
	;; [unrolled: 3-line block ×4, first 2 shown]
	scratch_load_b128 v[70:73], off, off offset:64 th:TH_LOAD_LU ; 16-byte Folded Reload
	v_pk_fma_f32 v[10:11], v[0:1], v[6:7], v[10:11]
	v_and_b32_e32 v0, 0xffff, v3
	v_lshrrev_b32_e32 v2, 16, v3
	;;#ASMSTART
	v_cvt_f32_f16 v1, v0;
	;;#ASMEND
	;;#ASMSTART
	v_cvt_f32_f16 v0, v2;
	;;#ASMEND
	;;#ASMSTART
	v_cvt_f32_f16 v3, v68;
	;;#ASMEND
	;;#ASMSTART
	v_cvt_f32_f16 v2, v66;
	;;#ASMEND
	v_pk_fma_f32 v[12:13], v[0:1], v[2:3], v[12:13]
	ds_load_b128 v[0:3], v19 offset:288
	s_wait_dscnt 0x0
	v_and_b32_e32 v6, 0xffff, v0
	v_lshrrev_b32_e32 v0, 16, v0
	;;#ASMSTART
	v_cvt_f32_f16 v6, v6;
	;;#ASMEND
	;;#ASMSTART
	v_cvt_f32_f16 v7, v0;
	;;#ASMEND
	v_and_b32_e32 v0, 0xffff, v1
	s_wait_loadcnt 0x1
	v_dual_lshrrev_b32 v83, 16, v26 :: v_dual_lshrrev_b32 v85, 16, v29
	v_and_b32_e32 v77, 0xffff, v26
	v_dual_lshrrev_b32 v111, 16, v27 :: v_dual_lshrrev_b32 v109, 16, v28
	v_and_b32_e32 v113, 0xffff, v27
	v_and_b32_e32 v112, 0xffff, v28
	v_and_b32_e32 v110, 0xffff, v29
	s_wait_loadcnt 0x0
	v_dual_lshrrev_b32 v31, 16, v70 :: v_dual_lshrrev_b32 v29, 16, v71
	v_and_b32_e32 v33, 0xffff, v70
	v_and_b32_e32 v32, 0xffff, v71
	v_dual_lshrrev_b32 v27, 16, v72 :: v_dual_lshrrev_b32 v26, 16, v73
	v_and_b32_e32 v30, 0xffff, v72
	v_and_b32_e32 v28, 0xffff, v73
	;;#ASMSTART
	v_cvt_f32_f16 v70, v74;
	;;#ASMEND
	;;#ASMSTART
	v_cvt_f32_f16 v71, v75;
	;;#ASMEND
	scratch_load_b128 v[72:75], off, off offset:48 th:TH_LOAD_LU ; 16-byte Folded Reload
	v_pk_fma_f32 v[6:7], v[6:7], v[70:71], v[4:5]
	v_lshrrev_b32_e32 v4, 16, v1
	;;#ASMSTART
	v_cvt_f32_f16 v1, v0;
	;;#ASMEND
	;;#ASMSTART
	v_cvt_f32_f16 v0, v4;
	;;#ASMEND
	;; [unrolled: 3-line block ×4, first 2 shown]
	v_pk_fma_f32 v[8:9], v[0:1], v[4:5], v[8:9]
	v_and_b32_e32 v0, 0xffff, v2
	v_lshrrev_b32_e32 v2, 16, v2
	;;#ASMSTART
	v_cvt_f32_f16 v1, v0;
	;;#ASMEND
	;;#ASMSTART
	v_cvt_f32_f16 v0, v2;
	;;#ASMEND
	;; [unrolled: 3-line block ×4, first 2 shown]
	scratch_load_b128 v[114:117], off, off offset:32 th:TH_LOAD_LU ; 16-byte Folded Reload
	v_lshrrev_b32_e32 v2, 16, v3
	v_pk_fma_f32 v[4:5], v[0:1], v[4:5], v[10:11]
	v_and_b32_e32 v0, 0xffff, v3
	;;#ASMSTART
	v_cvt_f32_f16 v1, v0;
	;;#ASMEND
	;;#ASMSTART
	v_cvt_f32_f16 v0, v2;
	;;#ASMEND
	;; [unrolled: 3-line block ×4, first 2 shown]
	v_pk_fma_f32 v[118:119], v[0:1], v[2:3], v[12:13]
	s_wait_loadcnt 0x1
	v_dual_lshrrev_b32 v37, 16, v72 :: v_dual_lshrrev_b32 v65, 16, v75
	v_and_b32_e32 v64, 0xffff, v72
	v_dual_lshrrev_b32 v70, 16, v73 :: v_dual_lshrrev_b32 v66, 16, v74
	v_and_b32_e32 v72, 0xffff, v73
	v_and_b32_e32 v71, 0xffff, v74
	;; [unrolled: 1-line block ×3, first 2 shown]
	s_wait_loadcnt 0x0
	v_dual_lshrrev_b32 v74, 16, v114 :: v_dual_lshrrev_b32 v63, 16, v115
	v_and_b32_e32 v76, 0xffff, v114
	v_and_b32_e32 v75, 0xffff, v115
	v_dual_lshrrev_b32 v11, 16, v116 :: v_dual_lshrrev_b32 v10, 16, v117
	v_and_b32_e32 v73, 0xffff, v116
	v_and_b32_e32 v62, 0xffff, v117
	ds_load_b128 v[114:117], v19 offset:304
	s_wait_dscnt 0x0
	v_and_b32_e32 v0, 0xffff, v114
	v_lshrrev_b32_e32 v1, 16, v114
	v_and_b32_e32 v24, 0xffff, v117
	;;#ASMSTART
	v_cvt_f32_f16 v0, v0;
	;;#ASMEND
	;;#ASMSTART
	v_cvt_f32_f16 v1, v1;
	;;#ASMEND
	;; [unrolled: 3-line block ×4, first 2 shown]
	scratch_load_b128 v[120:123], off, off offset:16 th:TH_LOAD_LU ; 16-byte Folded Reload
	v_lshrrev_b32_e32 v69, 16, v117
	v_pk_fma_f32 v[0:1], v[0:1], v[2:3], v[6:7]
	v_and_b32_e32 v2, 0xffff, v115
	;;#ASMSTART
	v_cvt_f32_f16 v3, v2;
	;;#ASMEND
	v_lshrrev_b32_e32 v6, 16, v115
	;;#ASMSTART
	v_cvt_f32_f16 v2, v6;
	;;#ASMEND
	;;#ASMSTART
	v_cvt_f32_f16 v7, v60;
	;;#ASMEND
	;; [unrolled: 3-line block ×3, first 2 shown]
	s_delay_alu instid0(VALU_DEP_1)
	v_pk_fma_f32 v[2:3], v[2:3], v[6:7], v[8:9]
	v_lshrrev_b32_e32 v8, 16, v116
	v_and_b32_e32 v6, 0xffff, v116
	;;#ASMSTART
	v_cvt_f32_f16 v7, v6;
	;;#ASMEND
	;;#ASMSTART
	v_cvt_f32_f16 v6, v8;
	;;#ASMEND
	;; [unrolled: 3-line block ×8, first 2 shown]
	v_pk_fma_f32 v[114:115], v[6:7], v[114:115], v[4:5]
	ds_load_b128 v[4:7], v19 offset:320
	v_pk_fma_f32 v[20:21], v[20:21], v[22:23], v[118:119]
	s_wait_dscnt 0x0
	v_and_b32_e32 v22, 0xffff, v4
	v_dual_lshrrev_b32 v23, 16, v4 :: v_dual_add_nc_u32 v4, s17, v25
	v_and_b32_e32 v24, 0xffff, v5
	v_dual_lshrrev_b32 v69, 16, v5 :: v_dual_lshrrev_b32 v117, 16, v6
	v_and_b32_e32 v116, 0xffff, v6
	v_and_b32_e32 v118, 0xffff, v7
	v_add_nc_u32_e32 v25, 0x80, v25
	v_cvt_f32_i32_e32 v8, v4
	;;#ASMSTART
	v_cvt_f32_f16 v4, v22;
	;;#ASMEND
	;;#ASMSTART
	v_cvt_f32_f16 v5, v23;
	;;#ASMEND
	;; [unrolled: 3-line block ×3, first 2 shown]
	s_wait_loadcnt 0x0
	v_dual_lshrrev_b32 v12, 16, v120 :: v_dual_lshrrev_b32 v9, 16, v123
	v_and_b32_e32 v60, 0xffff, v120
	v_lshrrev_b32_e32 v120, 16, v7
	;;#ASMSTART
	v_cvt_f32_f16 v7, v15;
	;;#ASMEND
	;;#ASMSTART
	v_cvt_f32_f16 v15, v24;
	;;#ASMEND
	;; [unrolled: 3-line block ×13, first 2 shown]
	v_pk_fma_f32 v[52:53], v[4:5], v[6:7], v[0:1]
	v_pk_fma_f32 v[20:21], v[118:119], v[48:49], v[20:21]
	v_dual_lshrrev_b32 v61, 16, v121 :: v_dual_lshrrev_b32 v16, 16, v122
	v_and_b32_e32 v67, 0xffff, v121
	v_and_b32_e32 v17, 0xffff, v122
	;; [unrolled: 1-line block ×3, first 2 shown]
	ds_load_b128 v[4:7], v19 offset:336
	v_pk_fma_f32 v[14:15], v[14:15], v[22:23], v[2:3]
	v_pk_fma_f32 v[22:23], v[46:47], v[116:117], v[114:115]
	s_wait_dscnt 0x0
	v_and_b32_e32 v0, 0xffff, v4
	v_dual_lshrrev_b32 v1, 16, v4 :: v_dual_lshrrev_b32 v3, 16, v5
	v_and_b32_e32 v2, 0xffff, v5
	v_and_b32_e32 v114, 0xffff, v7
	;; [unrolled: 1-line block ×3, first 2 shown]
	v_dual_lshrrev_b32 v69, 16, v6 :: v_dual_lshrrev_b32 v116, 16, v7
	;;#ASMSTART
	v_cvt_f32_f16 v4, v0;
	;;#ASMEND
	;;#ASMSTART
	v_cvt_f32_f16 v5, v1;
	;;#ASMEND
	;;#ASMSTART
	v_cvt_f32_f16 v6, v56;
	;;#ASMEND
	;;#ASMSTART
	v_cvt_f32_f16 v7, v42;
	;;#ASMEND
	;;#ASMSTART
	v_cvt_f32_f16 v47, v2;
	;;#ASMEND
	;;#ASMSTART
	v_cvt_f32_f16 v46, v3;
	;;#ASMEND
	;;#ASMSTART
	v_cvt_f32_f16 v49, v54;
	;;#ASMEND
	;;#ASMSTART
	v_cvt_f32_f16 v48, v43;
	;;#ASMEND
	;;#ASMSTART
	v_cvt_f32_f16 v43, v24;
	;;#ASMEND
	;;#ASMSTART
	v_cvt_f32_f16 v42, v69;
	;;#ASMEND
	;;#ASMSTART
	v_cvt_f32_f16 v55, v55;
	;;#ASMEND
	;;#ASMSTART
	v_cvt_f32_f16 v54, v44;
	;;#ASMEND
	;;#ASMSTART
	v_cvt_f32_f16 v115, v114;
	;;#ASMEND
	;;#ASMSTART
	v_cvt_f32_f16 v114, v116;
	;;#ASMEND
	;;#ASMSTART
	v_cvt_f32_f16 v45, v45;
	;;#ASMEND
	;;#ASMSTART
	v_cvt_f32_f16 v44, v57;
	;;#ASMEND
	ds_load_b128 v[0:3], v19 offset:352
	v_pk_fma_f32 v[4:5], v[4:5], v[6:7], v[52:53]
	v_pk_fma_f32 v[6:7], v[46:47], v[48:49], v[14:15]
	v_pk_fma_f32 v[14:15], v[42:43], v[54:55], v[22:23]
	v_pk_fma_f32 v[20:21], v[114:115], v[44:45], v[20:21]
	s_wait_dscnt 0x0
	v_and_b32_e32 v22, 0xffff, v0
	v_lshrrev_b32_e32 v0, 16, v0
	v_and_b32_e32 v24, 0xffff, v1
	v_lshrrev_b32_e32 v1, 16, v1
	v_and_b32_e32 v48, 0xffff, v2
	v_lshrrev_b32_e32 v2, 16, v2
	v_and_b32_e32 v52, 0xffff, v3
	v_lshrrev_b32_e32 v3, 16, v3
	;;#ASMSTART
	v_cvt_f32_f16 v22, v22;
	;;#ASMEND
	;;#ASMSTART
	v_cvt_f32_f16 v23, v0;
	;;#ASMEND
	;;#ASMSTART
	v_cvt_f32_f16 v42, v50;
	;;#ASMEND
	;;#ASMSTART
	v_cvt_f32_f16 v43, v38;
	;;#ASMEND
	;;#ASMSTART
	v_cvt_f32_f16 v45, v24;
	;;#ASMEND
	;;#ASMSTART
	v_cvt_f32_f16 v44, v1;
	;;#ASMEND
	;;#ASMSTART
	v_cvt_f32_f16 v47, v51;
	;;#ASMEND
	;;#ASMSTART
	v_cvt_f32_f16 v46, v39;
	;;#ASMEND
	;;#ASMSTART
	v_cvt_f32_f16 v39, v48;
	;;#ASMEND
	;;#ASMSTART
	v_cvt_f32_f16 v38, v2;
	;;#ASMEND
	;;#ASMSTART
	v_cvt_f32_f16 v49, v58;
	;;#ASMEND
	;;#ASMSTART
	v_cvt_f32_f16 v48, v40;
	;;#ASMEND
	;;#ASMSTART
	v_cvt_f32_f16 v51, v52;
	;;#ASMEND
	;;#ASMSTART
	v_cvt_f32_f16 v50, v3;
	;;#ASMEND
	;;#ASMSTART
	v_cvt_f32_f16 v41, v41;
	;;#ASMEND
	;;#ASMSTART
	v_cvt_f32_f16 v40, v59;
	;;#ASMEND
	ds_load_b128 v[0:3], v19 offset:368
	v_pk_fma_f32 v[4:5], v[22:23], v[42:43], v[4:5]
	v_pk_fma_f32 v[6:7], v[44:45], v[46:47], v[6:7]
	v_pk_fma_f32 v[14:15], v[38:39], v[48:49], v[14:15]
	v_pk_fma_f32 v[20:21], v[50:51], v[40:41], v[20:21]
	s_wait_dscnt 0x0
	v_and_b32_e32 v22, 0xffff, v0
	v_lshrrev_b32_e32 v0, 16, v0
	v_and_b32_e32 v24, 0xffff, v1
	v_lshrrev_b32_e32 v1, 16, v1
	v_and_b32_e32 v44, 0xffff, v2
	v_lshrrev_b32_e32 v2, 16, v2
	v_and_b32_e32 v46, 0xffff, v3
	v_lshrrev_b32_e32 v3, 16, v3
	;; [unrolled: 62-line block ×5, first 2 shown]
	;;#ASMSTART
	v_cvt_f32_f16 v22, v22;
	;;#ASMEND
	;;#ASMSTART
	v_cvt_f32_f16 v23, v0;
	;;#ASMEND
	;; [unrolled: 3-line block ×16, first 2 shown]
	ds_load_b128 v[0:3], v19 offset:432
	v_pk_fma_f32 v[4:5], v[22:23], v[34:35], v[4:5]
	v_pk_fma_f32 v[14:15], v[42:43], v[44:45], v[14:15]
	;; [unrolled: 1-line block ×4, first 2 shown]
	s_wait_dscnt 0x0
	v_dual_lshrrev_b32 v7, 16, v0 :: v_dual_lshrrev_b32 v21, 16, v1
	v_and_b32_e32 v20, 0xffff, v1
	v_and_b32_e32 v22, 0xffff, v2
	v_dual_lshrrev_b32 v23, 16, v2 :: v_dual_lshrrev_b32 v24, 16, v3
	v_and_b32_e32 v6, 0xffff, v0
	v_and_b32_e32 v36, 0xffff, v3
	;;#ASMSTART
	v_cvt_f32_f16 v0, v6;
	;;#ASMEND
	;;#ASMSTART
	v_cvt_f32_f16 v1, v7;
	;;#ASMEND
	;;#ASMSTART
	v_cvt_f32_f16 v2, v77;
	;;#ASMEND
	;;#ASMSTART
	v_cvt_f32_f16 v3, v83;
	;;#ASMEND
	;;#ASMSTART
	v_cvt_f32_f16 v41, v20;
	;;#ASMEND
	;;#ASMSTART
	v_cvt_f32_f16 v40, v21;
	;;#ASMEND
	;;#ASMSTART
	v_cvt_f32_f16 v43, v113;
	;;#ASMEND
	;;#ASMSTART
	v_cvt_f32_f16 v42, v111;
	;;#ASMEND
	;;#ASMSTART
	v_cvt_f32_f16 v45, v22;
	;;#ASMEND
	;;#ASMSTART
	v_cvt_f32_f16 v44, v23;
	;;#ASMEND
	;;#ASMSTART
	v_cvt_f32_f16 v47, v112;
	;;#ASMEND
	;;#ASMSTART
	v_cvt_f32_f16 v46, v109;
	;;#ASMEND
	;;#ASMSTART
	v_cvt_f32_f16 v49, v36;
	;;#ASMEND
	;;#ASMSTART
	v_cvt_f32_f16 v48, v24;
	;;#ASMEND
	;;#ASMSTART
	v_cvt_f32_f16 v51, v110;
	;;#ASMEND
	;;#ASMSTART
	v_cvt_f32_f16 v50, v85;
	;;#ASMEND
	ds_load_b128 v[20:23], v19 offset:448
	v_pk_fma_f32 v[6:7], v[0:1], v[2:3], v[4:5]
	v_pk_fma_f32 v[4:5], v[44:45], v[46:47], v[14:15]
	;; [unrolled: 1-line block ×4, first 2 shown]
	s_wait_dscnt 0x0
	v_lshrrev_b32_e32 v15, 16, v20
	v_and_b32_e32 v14, 0xffff, v20
	v_lshrrev_b32_e32 v20, 16, v21
	v_and_b32_e32 v21, 0xffff, v21
	v_dual_lshrrev_b32 v24, 16, v22 :: v_dual_lshrrev_b32 v36, 16, v23
	v_and_b32_e32 v22, 0xffff, v22
	v_and_b32_e32 v23, 0xffff, v23
	;;#ASMSTART
	v_cvt_f32_f16 v14, v14;
	;;#ASMEND
	;;#ASMSTART
	v_cvt_f32_f16 v15, v15;
	;;#ASMEND
	;;#ASMSTART
	v_cvt_f32_f16 v34, v33;
	;;#ASMEND
	;;#ASMSTART
	v_cvt_f32_f16 v35, v31;
	;;#ASMEND
	;;#ASMSTART
	v_cvt_f32_f16 v39, v21;
	;;#ASMEND
	;;#ASMSTART
	v_cvt_f32_f16 v38, v20;
	;;#ASMEND
	;;#ASMSTART
	v_cvt_f32_f16 v33, v32;
	;;#ASMEND
	;;#ASMSTART
	v_cvt_f32_f16 v32, v29;
	;;#ASMEND
	;;#ASMSTART
	v_cvt_f32_f16 v41, v22;
	;;#ASMEND
	;;#ASMSTART
	v_cvt_f32_f16 v40, v24;
	;;#ASMEND
	;;#ASMSTART
	v_cvt_f32_f16 v31, v30;
	;;#ASMEND
	;;#ASMSTART
	v_cvt_f32_f16 v30, v27;
	;;#ASMEND
	;;#ASMSTART
	v_cvt_f32_f16 v43, v23;
	;;#ASMEND
	;;#ASMSTART
	v_cvt_f32_f16 v42, v36;
	;;#ASMEND
	;;#ASMSTART
	v_cvt_f32_f16 v27, v28;
	;;#ASMEND
	;;#ASMSTART
	v_cvt_f32_f16 v26, v26;
	;;#ASMEND
	ds_load_b128 v[20:23], v19 offset:464
	v_pk_fma_f32 v[6:7], v[14:15], v[34:35], v[6:7]
	v_pk_fma_f32 v[14:15], v[38:39], v[32:33], v[2:3]
	v_pk_fma_f32 v[26:27], v[42:43], v[26:27], v[0:1]
	v_pk_fma_f32 v[4:5], v[40:41], v[30:31], v[4:5]
	s_wait_dscnt 0x0
	v_dual_lshrrev_b32 v0, 16, v20 :: v_dual_lshrrev_b32 v2, 16, v21
	v_and_b32_e32 v1, 0xffff, v20
	v_and_b32_e32 v3, 0xffff, v21
	v_dual_lshrrev_b32 v24, 16, v22 :: v_dual_lshrrev_b32 v36, 16, v23
	v_and_b32_e32 v32, 0xffff, v22
	v_and_b32_e32 v38, 0xffff, v23
	;;#ASMSTART
	v_cvt_f32_f16 v20, v1;
	;;#ASMEND
	;;#ASMSTART
	v_cvt_f32_f16 v21, v0;
	;;#ASMEND
	;;#ASMSTART
	v_cvt_f32_f16 v22, v64;
	;;#ASMEND
	;;#ASMSTART
	v_cvt_f32_f16 v23, v37;
	;;#ASMEND
	;;#ASMSTART
	v_cvt_f32_f16 v29, v3;
	;;#ASMEND
	;;#ASMSTART
	v_cvt_f32_f16 v28, v2;
	;;#ASMEND
	;;#ASMSTART
	v_cvt_f32_f16 v31, v72;
	;;#ASMEND
	;;#ASMSTART
	v_cvt_f32_f16 v30, v70;
	;;#ASMEND
	;;#ASMSTART
	v_cvt_f32_f16 v33, v32;
	;;#ASMEND
	;;#ASMSTART
	v_cvt_f32_f16 v32, v24;
	;;#ASMEND
	;;#ASMSTART
	v_cvt_f32_f16 v35, v71;
	;;#ASMEND
	;;#ASMSTART
	v_cvt_f32_f16 v34, v66;
	;;#ASMEND
	;;#ASMSTART
	v_cvt_f32_f16 v37, v38;
	;;#ASMEND
	;;#ASMSTART
	v_cvt_f32_f16 v36, v36;
	;;#ASMEND
	;;#ASMSTART
	v_cvt_f32_f16 v39, v68;
	;;#ASMEND
	;;#ASMSTART
	v_cvt_f32_f16 v38, v65;
	;;#ASMEND
	ds_load_b128 v[0:3], v19 offset:480
	v_pk_fma_f32 v[6:7], v[20:21], v[22:23], v[6:7]
	v_pk_fma_f32 v[4:5], v[32:33], v[34:35], v[4:5]
	v_pk_fma_f32 v[14:15], v[28:29], v[30:31], v[14:15]
	v_pk_fma_f32 v[26:27], v[36:37], v[38:39], v[26:27]
	s_wait_dscnt 0x0
	v_dual_lshrrev_b32 v21, 16, v0 :: v_dual_lshrrev_b32 v24, 16, v1
	v_and_b32_e32 v0, 0xffff, v0
	;; [unrolled: 60-line block ×3, first 2 shown]
	v_and_b32_e32 v21, 0xffff, v1
	;;#ASMSTART
	v_cvt_f32_f16 v0, v0;
	;;#ASMEND
	;;#ASMSTART
	v_cvt_f32_f16 v1, v20;
	;;#ASMEND
	v_dual_lshrrev_b32 v24, 16, v2 :: v_dual_lshrrev_b32 v28, 16, v3
	v_and_b32_e32 v26, 0xffff, v2
	v_and_b32_e32 v29, 0xffff, v3
	;;#ASMSTART
	v_cvt_f32_f16 v2, v60;
	;;#ASMEND
	;;#ASMSTART
	v_cvt_f32_f16 v3, v12;
	;;#ASMEND
	v_pk_fma_f32 v[0:1], v[0:1], v[2:3], v[6:7]
	;;#ASMSTART
	v_cvt_f32_f16 v21, v21;
	;;#ASMEND
	;;#ASMSTART
	v_cvt_f32_f16 v20, v22;
	;;#ASMEND
	;; [unrolled: 3-line block ×4, first 2 shown]
	v_pk_fma_f32 v[2:3], v[20:21], v[22:23], v[14:15]
	v_add_f32_e32 v6, v0, v1
	;;#ASMSTART
	v_cvt_f32_f16 v27, v26;
	;;#ASMEND
	;;#ASMSTART
	v_cvt_f32_f16 v26, v24;
	;;#ASMEND
	;; [unrolled: 3-line block ×4, first 2 shown]
	v_pk_fma_f32 v[0:1], v[26:27], v[0:1], v[4:5]
	v_add_f32_e32 v6, v6, v3
	;;#ASMSTART
	v_cvt_f32_f16 v3, v29;
	;;#ASMEND
	s_delay_alu instid0(VALU_DEP_1) | instskip(SKIP_2) | instid1(VALU_DEP_1)
	v_add_f32_e32 v4, v2, v6
	;;#ASMSTART
	v_cvt_f32_f16 v2, v28;
	;;#ASMEND
	;;#ASMSTART
	v_cvt_f32_f16 v5, v13;
	;;#ASMEND
	v_add_f32_e32 v1, v4, v1
	;;#ASMSTART
	v_cvt_f32_f16 v4, v9;
	;;#ASMEND
	v_pk_fma_f32 v[2:3], v[2:3], v[4:5], v[10:11]
	s_clause 0x1
	scratch_load_b32 v123, off, off offset:12 th:TH_LOAD_LU
	scratch_load_b64 v[4:5], off, off offset:4 th:TH_LOAD_LU
	v_dual_add_f32 v0, v0, v1 :: v_dual_mul_f32 v1, s25, v8
	s_delay_alu instid0(VALU_DEP_1) | instskip(NEXT) | instid1(VALU_DEP_1)
	v_dual_add_f32 v0, v0, v3 :: v_dual_cndmask_b32 v1, 0, v1
	v_add_f32_e32 v0, v2, v0
	s_delay_alu instid0(VALU_DEP_1) | instskip(NEXT) | instid1(VALU_DEP_1)
	v_dual_max_num_f32 v2, v18, v18 :: v_dual_fmac_f32 v1, s11, v0
	v_dual_cndmask_b32 v0, 0, v1, s4 :: v_dual_max_num_f32 v1, v2, v1
	scratch_load_b32 v2, off, off           ; 4-byte Folded Reload
	v_cndmask_b32_e64 v18, v18, v1, s4
	s_wait_loadcnt 0x1
	v_add_nc_u64_e32 v[4:5], 16, v[4:5]
	s_wait_loadcnt 0x0
	ds_store_b32 v2, v0
	scratch_load_b32 v0, off, off th:TH_LOAD_LU ; 4-byte Folded Reload
	v_add_nc_u32_e32 v123, 4, v123
	s_delay_alu instid0(VALU_DEP_1)
	v_cmp_le_i32_e64 s5, s24, v123
	s_or_b32 s10, s5, s10
	s_wait_loadcnt 0x0
	v_add_nc_u32_e32 v0, 0x200, v0
	s_wait_xcnt 0x0
	s_and_not1_b32 exec_lo, exec_lo, s10
	s_cbranch_execnz .LBB107_6
; %bb.7:
	s_or_b32 exec_lo, exec_lo, s10
	s_clause 0x3
	scratch_load_b32 v122, off, off offset:120
	scratch_load_b32 v123, off, off offset:124
	;; [unrolled: 1-line block ×4, first 2 shown]
.LBB107_8:
	s_wait_xcnt 0x0
	s_or_b32 exec_lo, exec_lo, s8
	v_mbcnt_lo_u32_b32 v3, -1, 0
	s_clause 0x1
	s_load_b64 s[10:11], s[0:1], 0x0
	s_load_b64 s[18:19], s[0:1], 0x18
	s_delay_alu instid0(VALU_DEP_1) | instskip(SKIP_1) | instid1(VALU_DEP_2)
	v_dual_max_num_f32 v4, v18, v18 :: v_dual_bitop2_b32 v0, 16, v3 bitop3:0x14
	v_xor_b32_e32 v2, 8, v3
	v_cmp_gt_i32_e32 vcc_lo, 32, v0
	v_cndmask_b32_e32 v0, v3, v0, vcc_lo
	s_delay_alu instid0(VALU_DEP_3) | instskip(NEXT) | instid1(VALU_DEP_2)
	v_cmp_gt_i32_e32 vcc_lo, 32, v2
	v_dual_lshlrev_b32 v0, 2, v0 :: v_dual_cndmask_b32 v2, v3, v2, vcc_lo
	ds_bpermute_b32 v1, v0, v18
	s_wait_dscnt 0x0
	v_dual_max_num_f32 v5, v1, v1 :: v_dual_lshlrev_b32 v1, 2, v2
	s_delay_alu instid0(VALU_DEP_1) | instskip(SKIP_4) | instid1(VALU_DEP_1)
	v_dual_max_num_f32 v4, v4, v5 :: v_dual_bitop2_b32 v5, 4, v3 bitop3:0x14
	ds_bpermute_b32 v2, v1, v4
	v_cmp_gt_i32_e32 vcc_lo, 32, v5
	s_wait_dscnt 0x0
	v_dual_cndmask_b32 v5, v3, v5 :: v_dual_max_num_f32 v6, v2, v2
	v_dual_lshlrev_b32 v2, 2, v5 :: v_dual_max_num_f32 v4, v4, v6
	ds_bpermute_b32 v5, v2, v4
	s_wait_dscnt 0x0
	v_dual_max_num_f32 v5, v5, v5 :: v_dual_bitop2_b32 v6, 2, v3 bitop3:0x14
	s_delay_alu instid0(VALU_DEP_1) | instskip(NEXT) | instid1(VALU_DEP_2)
	v_cmp_gt_i32_e32 vcc_lo, 32, v6
	v_dual_max_num_f32 v4, v4, v5 :: v_dual_cndmask_b32 v6, v3, v6, vcc_lo
	s_delay_alu instid0(VALU_DEP_1)
	v_dual_lshlrev_b32 v47, 2, v6 :: v_dual_bitop2_b32 v6, 1, v3 bitop3:0x14
	ds_bpermute_b32 v5, v47, v4
	v_cmp_gt_i32_e32 vcc_lo, 32, v6
	v_cndmask_b32_e32 v3, v3, v6, vcc_lo
	s_wait_loadcnt 0x1
	v_cmp_eq_u32_e32 vcc_lo, 0, v124
	s_delay_alu instid0(VALU_DEP_2) | instskip(SKIP_2) | instid1(VALU_DEP_1)
	v_lshlrev_b32_e32 v46, 2, v3
	s_wait_dscnt 0x0
	v_dual_lshlrev_b32 v3, 2, v123 :: v_dual_max_num_f32 v5, v5, v5
	v_max_num_f32_e32 v4, v4, v5
	ds_bpermute_b32 v5, v46, v4
	s_wait_xcnt 0x0
	s_and_saveexec_b32 s0, vcc_lo
	s_cbranch_execz .LBB107_10
; %bb.9:
	s_wait_dscnt 0x0
	v_dual_max_num_f32 v5, v5, v5 :: v_dual_max_num_f32 v4, v4, v4
	s_delay_alu instid0(VALU_DEP_1)
	v_max_num_f32_e32 v4, v4, v5
	ds_store_b32 v3, v4 offset:512
.LBB107_10:
	s_or_b32 exec_lo, exec_lo, s0
	v_cmp_gt_u32_e64 s0, 4, v124
	v_mov_b32_e32 v4, 0xff7fffff
	s_wait_storecnt 0x0
	s_wait_loadcnt_dscnt 0x0
	s_barrier_signal -1
	s_barrier_wait -1
	s_and_saveexec_b32 s1, s0
; %bb.11:
	ds_load_b32 v4, v9 offset:512
; %bb.12:
	s_or_b32 exec_lo, exec_lo, s1
	s_wait_dscnt 0x0
	ds_bpermute_b32 v5, v47, v4
	v_max_num_f32_e32 v4, v4, v4
	s_lshl_b32 s1, s24, 5
	s_delay_alu instid0(SALU_CYCLE_1) | instskip(NEXT) | instid1(SALU_CYCLE_1)
	s_min_i32 s5, s1, s23
	v_cmp_gt_i32_e64 s1, s5, v122
	s_wait_dscnt 0x0
	v_max_num_f32_e32 v5, v5, v5
	s_delay_alu instid0(VALU_DEP_1) | instskip(SKIP_3) | instid1(VALU_DEP_1)
	v_max_num_f32_e32 v4, v4, v5
	ds_bpermute_b32 v5, v46, v4
	s_wait_dscnt 0x0
	v_max_num_f32_e32 v5, v5, v5
	v_dual_max_num_f32 v5, v4, v5 :: v_dual_mov_b32 v4, 0
	ds_bpermute_b32 v5, v4, v5
	s_and_saveexec_b32 s8, s1
	s_cbranch_execz .LBB107_16
; %bb.13:
	v_lshl_add_u32 v6, v122, 2, 0x220
	v_dual_mov_b32 v4, 0 :: v_dual_mov_b32 v7, v122
	s_mov_b32 s17, 0
.LBB107_14:                             ; =>This Inner Loop Header: Depth=1
	ds_load_b32 v8, v6
	v_add_nc_u32_e32 v7, 0x80, v7
	s_delay_alu instid0(VALU_DEP_1) | instskip(SKIP_3) | instid1(VALU_DEP_1)
	v_cmp_le_i32_e64 s4, s5, v7
	s_or_b32 s17, s4, s17
	s_wait_dscnt 0x0
	v_sub_f32_e32 v8, v8, v5
	v_mul_f32_e32 v8, 0x3fb8aa3b, v8
	s_delay_alu instid0(VALU_DEP_1)
	v_exp_f32_e32 v8, v8
	ds_store_b32 v6, v8
	v_nop
	v_add_f32_e32 v4, v4, v8
	v_add_nc_u32_e32 v6, 0x200, v6
	s_and_not1_b32 exec_lo, exec_lo, s17
	s_cbranch_execnz .LBB107_14
; %bb.15:
	s_or_b32 exec_lo, exec_lo, s17
.LBB107_16:
	s_delay_alu instid0(SALU_CYCLE_1)
	s_or_b32 exec_lo, exec_lo, s8
	ds_bpermute_b32 v0, v0, v4
	s_wait_dscnt 0x0
	v_add_f32_e32 v0, v4, v0
	ds_bpermute_b32 v1, v1, v0
	s_wait_dscnt 0x0
	v_add_f32_e32 v0, v0, v1
	;; [unrolled: 3-line block ×5, first 2 shown]
	s_and_saveexec_b32 s4, vcc_lo
; %bb.17:
	ds_store_b32 v3, v0 offset:528
; %bb.18:
	s_or_b32 exec_lo, exec_lo, s4
	s_wait_dscnt 0x0
	s_barrier_signal -1
	s_barrier_wait -1
	s_and_saveexec_b32 s4, s0
; %bb.19:
	ds_load_b32 v0, v9 offset:528
; %bb.20:
	s_or_b32 exec_lo, exec_lo, s4
	s_wait_dscnt 0x0
	ds_bpermute_b32 v1, v47, v0
	s_wait_dscnt 0x0
	v_dual_mov_b32 v5, 0 :: v_dual_add_f32 v0, v0, v1
	ds_bpermute_b32 v1, v46, v0
	s_wait_dscnt 0x0
	v_add_f32_e32 v0, v0, v1
	ds_bpermute_b32 v0, v5, v0
	s_and_saveexec_b32 s0, s1
	s_cbranch_execz .LBB107_33
; %bb.21:
	s_wait_dscnt 0x0
	v_add_f32_e32 v0, 0x358637bd, v0
	s_mov_b32 s4, -1
	s_mov_b32 s1, exec_lo
	s_delay_alu instid0(VALU_DEP_1) | instskip(NEXT) | instid1(VALU_DEP_1)
	v_div_scale_f32 v1, null, v0, v0, 1.0
	v_rcp_f32_e32 v3, v1
	v_nop
	s_delay_alu instid0(TRANS32_DEP_1) | instskip(NEXT) | instid1(VALU_DEP_1)
	v_fma_f32 v2, -v1, v3, 1.0
	v_fmac_f32_e32 v3, v2, v3
	v_div_scale_f32 v4, vcc_lo, 1.0, v0, 1.0
	s_delay_alu instid0(VALU_DEP_1) | instskip(NEXT) | instid1(VALU_DEP_1)
	v_mul_f32_e32 v6, v4, v3
	v_fma_f32 v2, -v1, v6, v4
	s_delay_alu instid0(VALU_DEP_1) | instskip(SKIP_1) | instid1(VALU_DEP_2)
	v_fmac_f32_e32 v6, v2, v3
	v_xad_u32 v2, v122, -1, s5
	v_fma_f32 v1, -v1, v6, v4
	s_delay_alu instid0(VALU_DEP_1) | instskip(NEXT) | instid1(VALU_DEP_1)
	v_div_fmas_f32 v1, v1, v3, v6
	v_div_fixup_f32 v0, v1, v0, 1.0
	v_mov_b32_e32 v1, v122
	v_cmpx_lt_u32_e32 0x7f, v2
	s_cbranch_execz .LBB107_30
; %bb.22:
	s_delay_alu instid0(VALU_DEP_3) | instskip(NEXT) | instid1(VALU_DEP_1)
	v_dual_mov_b32 v1, v0 :: v_dual_lshrrev_b32 v2, 7, v2
	v_dual_mov_b32 v7, 0 :: v_dual_add_nc_u32 v3, -1, v2
	s_delay_alu instid0(VALU_DEP_1) | instskip(SKIP_1) | instid1(VALU_DEP_2)
	v_lshrrev_b32_e32 v4, 1, v3
	v_cmp_lt_u32_e32 vcc_lo, 13, v3
	v_add_nc_u32_e32 v3, 1, v4
	s_and_saveexec_b32 s4, vcc_lo
	s_cbranch_execz .LBB107_26
; %bb.23:
	s_delay_alu instid0(VALU_DEP_1)
	v_and_b32_e32 v4, -8, v3
	v_lshl_add_u32 v6, v122, 2, 0x220
	s_mov_b32 s8, 0
	s_mov_b32 s17, 0
.LBB107_24:                             ; =>This Inner Loop Header: Depth=1
	ds_load_2addr_stride64_b32 v[8:9], v6 offset1:2
	ds_load_2addr_stride64_b32 v[10:11], v6 offset0:4 offset1:6
	ds_load_2addr_stride64_b32 v[12:13], v6 offset0:8 offset1:10
	;; [unrolled: 1-line block ×7, first 2 shown]
	s_add_co_i32 s17, s17, 16
	s_delay_alu instid0(SALU_CYCLE_1) | instskip(NEXT) | instid1(VALU_DEP_1)
	v_dual_mov_b32 v7, s17 :: v_dual_add_nc_u32 v4, -8, v4
	v_cmp_eq_u32_e32 vcc_lo, 0, v4
	s_or_b32 s8, vcc_lo, s8
	s_wait_dscnt 0x7
	v_pk_mul_f32 v[8:9], v[0:1], v[8:9]
	s_wait_dscnt 0x6
	v_pk_mul_f32 v[10:11], v[0:1], v[10:11]
	;; [unrolled: 2-line block ×8, first 2 shown]
	ds_store_2addr_stride64_b32 v6, v8, v9 offset1:2
	ds_store_2addr_stride64_b32 v6, v10, v11 offset0:4 offset1:6
	ds_store_2addr_stride64_b32 v6, v12, v13 offset0:8 offset1:10
	ds_store_2addr_stride64_b32 v6, v14, v15 offset0:12 offset1:14
	ds_store_2addr_stride64_b32 v6, v16, v17 offset0:16 offset1:18
	ds_store_2addr_stride64_b32 v6, v18, v19 offset0:20 offset1:22
	ds_store_2addr_stride64_b32 v6, v20, v21 offset0:24 offset1:26
	ds_store_2addr_stride64_b32 v6, v22, v23 offset0:28 offset1:30
	v_add_nc_u32_e32 v6, 0x2000, v6
	s_and_not1_b32 exec_lo, exec_lo, s8
	s_cbranch_execnz .LBB107_24
; %bb.25:
	s_or_b32 exec_lo, exec_lo, s8
.LBB107_26:
	s_delay_alu instid0(SALU_CYCLE_1) | instskip(NEXT) | instid1(VALU_DEP_1)
	s_or_b32 exec_lo, exec_lo, s4
	v_and_b32_e32 v3, 7, v3
	s_mov_b32 s8, 0
	s_mov_b32 s4, exec_lo
	s_delay_alu instid0(VALU_DEP_1)
	v_cmpx_ne_u32_e32 0, v3
	s_cbranch_execz .LBB107_29
; %bb.27:
	v_dual_lshlrev_b32 v4, 9, v7 :: v_dual_lshlrev_b32 v6, 2, v122
	s_delay_alu instid0(VALU_DEP_1)
	v_add3_u32 v4, v4, v6, 0x220
.LBB107_28:                             ; =>This Inner Loop Header: Depth=1
	ds_load_2addr_stride64_b32 v[6:7], v4 offset1:2
	v_add_nc_u32_e32 v3, -1, v3
	s_delay_alu instid0(VALU_DEP_1)
	v_cmp_eq_u32_e32 vcc_lo, 0, v3
	s_or_b32 s8, vcc_lo, s8
	s_wait_dscnt 0x0
	v_pk_mul_f32 v[6:7], v[0:1], v[6:7]
	ds_store_2addr_stride64_b32 v4, v6, v7 offset1:2
	v_add_nc_u32_e32 v4, 0x400, v4
	s_and_not1_b32 exec_lo, exec_lo, s8
	s_cbranch_execnz .LBB107_28
.LBB107_29:
	s_or_b32 exec_lo, exec_lo, s4
	v_add_nc_u32_e32 v1, 1, v2
	s_delay_alu instid0(VALU_DEP_1) | instskip(NEXT) | instid1(VALU_DEP_1)
	v_and_b32_e32 v2, 0x3fffffe, v1
	v_cmp_ne_u32_e32 vcc_lo, v1, v2
	v_lshl_add_u32 v1, v2, 7, v122
	s_or_not1_b32 s4, vcc_lo, exec_lo
.LBB107_30:
	s_or_b32 exec_lo, exec_lo, s1
	s_delay_alu instid0(SALU_CYCLE_1)
	s_and_b32 exec_lo, exec_lo, s4
	s_cbranch_execz .LBB107_33
; %bb.31:
	v_lshl_add_u32 v2, v1, 2, 0x220
	s_mov_b32 s1, 0
.LBB107_32:                             ; =>This Inner Loop Header: Depth=1
	ds_load_b32 v3, v2
	v_add_nc_u32_e32 v1, 0x80, v1
	s_delay_alu instid0(VALU_DEP_1)
	v_cmp_le_i32_e32 vcc_lo, s5, v1
	s_or_b32 s1, vcc_lo, s1
	s_wait_dscnt 0x0
	v_mul_f32_e32 v3, v0, v3
	ds_store_b32 v2, v3
	v_add_nc_u32_e32 v2, 0x200, v2
	s_and_not1_b32 exec_lo, exec_lo, s1
	s_cbranch_execnz .LBB107_32
.LBB107_33:
	s_or_b32 exec_lo, exec_lo, s0
	v_dual_mov_b32 v4, 0 :: v_dual_mov_b32 v7, 0
	v_dual_mov_b32 v6, 0 :: v_dual_mov_b32 v9, 0
	;; [unrolled: 1-line block ×15, first 2 shown]
	v_mov_b32_e32 v34, 0
	s_wait_dscnt 0x0
	s_barrier_signal -1
	s_barrier_wait -1
	s_and_saveexec_b32 s1, s3
	s_cbranch_execz .LBB107_101
; %bb.34:
	v_dual_lshlrev_b32 v1, 3, v122 :: v_dual_mov_b32 v37, 0
	s_lshl_b64 s[14:15], s[14:15], 2
	s_ashr_i32 s17, s16, 31
	v_mov_b32_e32 v49, v123
	s_delay_alu instid0(VALU_DEP_2) | instskip(SKIP_3) | instid1(VALU_DEP_3)
	v_and_b32_e32 v0, 0xf8, v1
	v_or_b32_e32 v2, 0x1f00, v1
	v_dual_mov_b32 v39, v37 :: v_dual_bitop2_b32 v48, 24, v1 bitop3:0x40
	v_dual_mov_b32 v5, v37 :: v_dual_mov_b32 v4, v37
	v_dual_lshlrev_b32 v38, 1, v0 :: v_dual_lshlrev_b32 v36, 1, v2
	v_dual_mov_b32 v7, v37 :: v_dual_mov_b32 v6, v37
	v_dual_mov_b32 v9, v37 :: v_dual_mov_b32 v8, v37
	;; [unrolled: 1-line block ×15, first 2 shown]
	s_add_nc_u64 s[12:13], s[12:13], s[14:15]
	s_lshl_b64 s[14:15], s[16:17], 1
	s_ashr_i32 s5, s9, 31
	s_mov_b32 s4, s9
	s_wait_kmcnt 0x0
	s_add_nc_u64 s[8:9], s[18:19], s[14:15]
	s_add_co_i32 s3, s24, -1
	s_mov_b32 s15, s23
	s_mov_b32 s14, 0
	s_branch .LBB107_36
.LBB107_35:                             ;   in Loop: Header=BB107_36 Depth=1
	s_or_b32 exec_lo, exec_lo, s0
	v_dual_add_f32 v43, v43, v44 :: v_dual_add_f32 v44, v45, v58
	v_add_f32_e32 v51, v115, v116
	v_dual_add_f32 v45, v119, v120 :: v_dual_add_f32 v50, v117, v118
	s_delay_alu instid0(VALU_DEP_3) | instskip(NEXT) | instid1(VALU_DEP_3)
	v_dual_add_f32 v4, v4, v43 :: v_dual_add_f32 v43, v113, v114
	v_dual_add_f32 v7, v7, v44 :: v_dual_add_f32 v8, v8, v51
	s_delay_alu instid0(VALU_DEP_3) | instskip(NEXT) | instid1(VALU_DEP_3)
	v_dual_add_f32 v6, v6, v45 :: v_dual_add_f32 v9, v9, v50
	v_dual_add_f32 v11, v11, v43 :: v_dual_add_f32 v44, v109, v110
	v_add_f32_e32 v43, v111, v112
	v_dual_add_f32 v45, v107, v108 :: v_dual_add_f32 v50, v105, v106
	v_add_f32_e32 v51, v103, v104
	s_delay_alu instid0(VALU_DEP_3) | instskip(SKIP_1) | instid1(VALU_DEP_4)
	v_dual_add_f32 v13, v13, v44 :: v_dual_add_f32 v10, v10, v43
	v_dual_add_f32 v43, v101, v102 :: v_dual_add_f32 v44, v99, v100
	;; [unrolled: 1-line block ×3, first 2 shown]
	s_delay_alu instid0(VALU_DEP_4) | instskip(SKIP_1) | instid1(VALU_DEP_4)
	v_dual_add_f32 v14, v14, v51 :: v_dual_add_f32 v45, v97, v98
	v_dual_add_f32 v50, v95, v96 :: v_dual_add_f32 v51, v93, v94
	;; [unrolled: 1-line block ×3, first 2 shown]
	s_delay_alu instid0(VALU_DEP_3) | instskip(SKIP_1) | instid1(VALU_DEP_4)
	v_add_f32_e32 v19, v19, v45
	v_dual_add_f32 v43, v91, v92 :: v_dual_add_f32 v44, v89, v90
	v_dual_add_f32 v18, v18, v50 :: v_dual_add_f32 v21, v21, v51
	;; [unrolled: 1-line block ×3, first 2 shown]
	s_delay_alu instid0(VALU_DEP_3) | instskip(NEXT) | instid1(VALU_DEP_4)
	v_dual_add_f32 v51, v83, v84 :: v_dual_add_f32 v20, v20, v43
	v_dual_add_f32 v43, v81, v82 :: v_dual_add_f32 v23, v23, v44
	s_delay_alu instid0(VALU_DEP_3) | instskip(NEXT) | instid1(VALU_DEP_3)
	v_dual_add_f32 v22, v22, v45 :: v_dual_add_f32 v25, v25, v50
	v_dual_add_f32 v24, v24, v51 :: v_dual_add_f32 v44, v79, v80
	s_delay_alu instid0(VALU_DEP_3) | instskip(SKIP_4) | instid1(VALU_DEP_4)
	v_dual_add_f32 v51, v73, v74 :: v_dual_add_f32 v27, v27, v43
	v_dual_add_f32 v43, v71, v72 :: v_dual_lshlrev_b32 v41, 16, v41
	v_dual_lshlrev_b32 v40, 16, v40 :: v_dual_lshlrev_b32 v42, 16, v42
	v_dual_add_f32 v45, v77, v78 :: v_dual_add_f32 v50, v75, v76
	v_dual_add_f32 v26, v26, v44 :: v_dual_add_f32 v44, v69, v70
	v_add_f32_e32 v30, v30, v43
	s_delay_alu instid0(VALU_DEP_4)
	v_and_or_b32 v40, 0xffff, v0, v40
	v_and_or_b32 v1, 0xffff, v1, v41
	;; [unrolled: 1-line block ×3, first 2 shown]
	;;#ASMSTART
	v_pk_mul_f16 v40, v60, v40;

	;;#ASMEND
	;;#ASMSTART
	v_pk_mul_f16 v1, v59, v1;

	;;#ASMEND
	;; [unrolled: 4-line block ×4, first 2 shown]
	;;#ASMSTART
	v_pk_add_f16 v1, v40, v1;

	;;#ASMEND
	;;#ASMSTART
	v_pk_add_f16 v1, v1, v2;

	;;#ASMEND
	;; [unrolled: 4-line block ×3, first 2 shown]
	v_and_b32_e32 v3, 0xffff, v1
	v_dual_add_f32 v2, v63, v64 :: v_dual_add_nc_u32 v49, 4, v49
	v_dual_add_f32 v33, v33, v44 :: v_dual_lshrrev_b32 v40, 16, v1
	;;#ASMSTART
	v_cvt_f32_f16 v3, v3;
	;;#ASMEND
	v_dual_add_f32 v0, v67, v68 :: v_dual_add_f32 v1, v65, v66
	;;#ASMSTART
	v_cvt_f32_f16 v40, v40;
	;;#ASMEND
	s_delay_alu instid0(VALU_DEP_2) | instskip(SKIP_3) | instid1(VALU_DEP_4)
	v_dual_add_f32 v3, v3, v40 :: v_dual_add_f32 v34, v34, v2
	v_cmp_le_i32_e32 vcc_lo, s24, v49
	v_dual_add_f32 v29, v29, v45 :: v_dual_add_f32 v28, v28, v50
	v_dual_add_f32 v31, v31, v51 :: v_dual_add_f32 v32, v32, v0
	;; [unrolled: 1-line block ×3, first 2 shown]
	s_or_b32 s14, vcc_lo, s14
	s_delay_alu instid0(SALU_CYCLE_1)
	s_and_not1_b32 exec_lo, exec_lo, s14
	s_cbranch_execz .LBB107_100
.LBB107_36:                             ; =>This Inner Loop Header: Depth=1
	global_load_b32 v0, v49, s[12:13] scale_offset
	v_lshl_or_b32 v50, v49, 5, v48
	v_cmp_eq_u32_e32 vcc_lo, s3, v49
	s_delay_alu instid0(VALU_DEP_2) | instskip(SKIP_3) | instid1(VALU_DEP_1)
	v_lshl_add_u32 v42, v50, 2, 0x220
	v_or_b32_e32 v57, 3, v50
	s_wait_loadcnt 0x0
	v_dual_ashrrev_i32 v1, 31, v0 :: v_dual_bitop2_b32 v56, 2, v50 bitop3:0x54
	v_mul_u64_e32 v[40:41], s[4:5], v[0:1]
	ds_load_2addr_b64 v[0:3], v42 offset1:1
	ds_load_2addr_b64 v[52:55], v42 offset0:2 offset1:3
	s_wait_dscnt 0x1
	;;#ASMSTART
	v_cvt_f16_f32 v60, v0;

	;;#ASMEND
	;;#ASMSTART
	v_cvt_f16_f32 v59, v1;

	;;#ASMEND
	;; [unrolled: 4-line block ×4, first 2 shown]
	s_wait_dscnt 0x0
	;;#ASMSTART
	v_cvt_f16_f32 v66, v52;

	;;#ASMEND
	;;#ASMSTART
	v_cvt_f16_f32 v61, v53;

	;;#ASMEND
	;; [unrolled: 4-line block ×4, first 2 shown]
	v_or_b32_e32 v54, 6, v50
	v_or_b32_e32 v53, 7, v50
	;; [unrolled: 1-line block ×3, first 2 shown]
	v_lshl_add_u64 v[40:41], v[40:41], 1, s[8:9]
	s_delay_alu instid0(VALU_DEP_1)
	v_add_nc_u64_e32 v[42:43], v[40:41], v[38:39]
	global_load_b128 v[0:3], v[42:43], off
	v_or_b32_e32 v52, 4, v50
	s_wait_loadcnt 0x0
	v_dual_lshrrev_b32 v44, 16, v0 :: v_dual_bitop2_b32 v51, 5, v50 bitop3:0x54
	v_dual_lshrrev_b32 v45, 16, v1 :: v_dual_lshrrev_b32 v58, 16, v2
	s_and_saveexec_b32 s16, vcc_lo
	s_cbranch_execz .LBB107_38
; %bb.37:                               ;   in Loop: Header=BB107_36 Depth=1
	v_cmp_gt_i32_e64 s0, s23, v50
	v_and_b32_e32 v67, 0xffff, v3
	v_and_b32_e32 v3, 0xffff0000, v3
	s_delay_alu instid0(VALU_DEP_3) | instskip(SKIP_1) | instid1(VALU_DEP_1)
	v_cndmask_b32_e64 v0, 0, v0, s0
	v_cmp_gt_i32_e64 s0, s23, v56
	v_cndmask_b32_e64 v1, 0, v1, s0
	v_cmp_gt_i32_e64 s0, s15, v57
	s_delay_alu instid0(VALU_DEP_1) | instskip(SKIP_1) | instid1(VALU_DEP_1)
	v_cndmask_b32_e64 v45, 0, v45, s0
	v_cmp_gt_i32_e64 s0, s23, v55
	v_cndmask_b32_e64 v44, 0, v44, s0
	v_cmp_gt_i32_e64 s0, s23, v54
	s_delay_alu instid0(VALU_DEP_1) | instskip(SKIP_1) | instid1(VALU_DEP_1)
	;; [unrolled: 5-line block ×3, first 2 shown]
	v_cndmask_b32_e64 v2, 0, v2, s0
	v_cmp_gt_i32_e64 s0, s23, v51
	v_dual_cndmask_b32 v58, 0, v58, s0 :: v_dual_bitop2_b32 v3, v67, v3 bitop3:0x54
.LBB107_38:                             ;   in Loop: Header=BB107_36 Depth=1
	s_or_b32 exec_lo, exec_lo, s16
	s_delay_alu instid0(VALU_DEP_1) | instskip(SKIP_1) | instid1(VALU_DEP_3)
	v_dual_lshlrev_b32 v44, 16, v44 :: v_dual_lshlrev_b32 v45, 16, v45
	v_and_b32_e32 v60, 0xffff, v60
	v_lshlrev_b32_e32 v58, 16, v58
	v_and_b32_e32 v65, 0xffff, v65
	v_and_b32_e32 v66, 0xffff, v66
	;; [unrolled: 1-line block ×3, first 2 shown]
	v_and_or_b32 v0, 0xffff, v0, v44
	v_lshl_or_b32 v60, v59, 16, v60
	v_and_or_b32 v1, 0xffff, v1, v45
	v_and_or_b32 v2, 0xffff, v2, v58
	;;#ASMSTART
	v_pk_mul_f16 v0, v60, v0;

	;;#ASMEND
	v_lshl_or_b32 v59, v64, 16, v65
	v_lshl_or_b32 v61, v61, 16, v66
	;; [unrolled: 1-line block ×3, first 2 shown]
	;;#ASMSTART
	v_pk_mul_f16 v1, v59, v1;

	;;#ASMEND
	;;#ASMSTART
	v_pk_mul_f16 v2, v61, v2;

	;;#ASMEND
	;; [unrolled: 4-line block ×3, first 2 shown]
	;;#ASMSTART
	v_pk_add_f16 v0, v0, v1;

	;;#ASMEND
	;;#ASMSTART
	v_pk_add_f16 v0, v0, v2;

	;;#ASMEND
	;; [unrolled: 4-line block ×3, first 2 shown]
	v_and_b32_e32 v1, 0xffff, v0
	v_lshrrev_b32_e32 v0, 16, v0
	;;#ASMSTART
	v_cvt_f32_f16 v63, v1;
	;;#ASMEND
	;;#ASMSTART
	v_cvt_f32_f16 v64, v0;
	;;#ASMEND
	global_load_b128 v[0:3], v[42:43], off offset:512
	s_wait_loadcnt 0x0
	v_dual_lshrrev_b32 v45, 16, v1 :: v_dual_lshrrev_b32 v44, 16, v0
	v_lshrrev_b32_e32 v58, 16, v2
	s_and_saveexec_b32 s16, vcc_lo
	s_cbranch_execz .LBB107_40
; %bb.39:                               ;   in Loop: Header=BB107_36 Depth=1
	v_cmp_gt_i32_e64 s0, s23, v50
	v_and_b32_e32 v65, 0xffff, v3
	v_and_b32_e32 v3, 0xffff0000, v3
	s_delay_alu instid0(VALU_DEP_3) | instskip(SKIP_1) | instid1(VALU_DEP_1)
	v_cndmask_b32_e64 v0, 0, v0, s0
	v_cmp_gt_i32_e64 s0, s23, v56
	v_cndmask_b32_e64 v1, 0, v1, s0
	v_cmp_gt_i32_e64 s0, s15, v57
	s_delay_alu instid0(VALU_DEP_1) | instskip(SKIP_1) | instid1(VALU_DEP_1)
	v_cndmask_b32_e64 v45, 0, v45, s0
	v_cmp_gt_i32_e64 s0, s23, v55
	v_cndmask_b32_e64 v44, 0, v44, s0
	v_cmp_gt_i32_e64 s0, s23, v54
	s_delay_alu instid0(VALU_DEP_1) | instskip(SKIP_1) | instid1(VALU_DEP_1)
	;; [unrolled: 5-line block ×3, first 2 shown]
	v_dual_cndmask_b32 v2, 0, v2, s0 :: v_dual_bitop2_b32 v3, v65, v3 bitop3:0x54
	v_cmp_gt_i32_e64 s0, s23, v51
	v_cndmask_b32_e64 v58, 0, v58, s0
.LBB107_40:                             ;   in Loop: Header=BB107_36 Depth=1
	s_or_b32 exec_lo, exec_lo, s16
	v_dual_lshlrev_b32 v44, 16, v44 :: v_dual_lshlrev_b32 v45, 16, v45
	s_delay_alu instid0(VALU_DEP_2) | instskip(NEXT) | instid1(VALU_DEP_2)
	v_lshlrev_b32_e32 v58, 16, v58
	v_and_or_b32 v0, 0xffff, v0, v44
	s_delay_alu instid0(VALU_DEP_3) | instskip(NEXT) | instid1(VALU_DEP_3)
	v_and_or_b32 v1, 0xffff, v1, v45
	v_and_or_b32 v2, 0xffff, v2, v58
	;;#ASMSTART
	v_pk_mul_f16 v0, v60, v0;

	;;#ASMEND
	;;#ASMSTART
	v_pk_mul_f16 v1, v59, v1;

	;;#ASMEND
	;; [unrolled: 4-line block ×4, first 2 shown]
	;;#ASMSTART
	v_pk_add_f16 v0, v0, v1;

	;;#ASMEND
	;;#ASMSTART
	v_pk_add_f16 v0, v0, v2;

	;;#ASMEND
	;; [unrolled: 4-line block ×3, first 2 shown]
	v_and_b32_e32 v1, 0xffff, v0
	v_lshrrev_b32_e32 v0, 16, v0
	;;#ASMSTART
	v_cvt_f32_f16 v65, v1;
	;;#ASMEND
	;;#ASMSTART
	v_cvt_f32_f16 v66, v0;
	;;#ASMEND
	global_load_b128 v[0:3], v[42:43], off offset:1024
	s_wait_loadcnt 0x0
	v_dual_lshrrev_b32 v45, 16, v1 :: v_dual_lshrrev_b32 v44, 16, v0
	v_lshrrev_b32_e32 v58, 16, v2
	s_and_saveexec_b32 s16, vcc_lo
	s_cbranch_execz .LBB107_42
; %bb.41:                               ;   in Loop: Header=BB107_36 Depth=1
	v_cmp_gt_i32_e64 s0, s23, v50
	v_and_b32_e32 v67, 0xffff, v3
	v_and_b32_e32 v3, 0xffff0000, v3
	s_delay_alu instid0(VALU_DEP_3) | instskip(SKIP_1) | instid1(VALU_DEP_1)
	v_cndmask_b32_e64 v0, 0, v0, s0
	v_cmp_gt_i32_e64 s0, s23, v56
	v_cndmask_b32_e64 v1, 0, v1, s0
	v_cmp_gt_i32_e64 s0, s15, v57
	s_delay_alu instid0(VALU_DEP_1) | instskip(SKIP_1) | instid1(VALU_DEP_1)
	v_cndmask_b32_e64 v45, 0, v45, s0
	v_cmp_gt_i32_e64 s0, s23, v55
	v_cndmask_b32_e64 v44, 0, v44, s0
	v_cmp_gt_i32_e64 s0, s23, v54
	s_delay_alu instid0(VALU_DEP_1) | instskip(SKIP_1) | instid1(VALU_DEP_1)
	;; [unrolled: 5-line block ×3, first 2 shown]
	v_cndmask_b32_e64 v2, 0, v2, s0
	v_cmp_gt_i32_e64 s0, s23, v51
	v_dual_cndmask_b32 v58, 0, v58, s0 :: v_dual_bitop2_b32 v3, v67, v3 bitop3:0x54
.LBB107_42:                             ;   in Loop: Header=BB107_36 Depth=1
	s_or_b32 exec_lo, exec_lo, s16
	v_dual_lshlrev_b32 v44, 16, v44 :: v_dual_lshlrev_b32 v45, 16, v45
	s_delay_alu instid0(VALU_DEP_2) | instskip(NEXT) | instid1(VALU_DEP_2)
	v_lshlrev_b32_e32 v58, 16, v58
	v_and_or_b32 v0, 0xffff, v0, v44
	s_delay_alu instid0(VALU_DEP_3) | instskip(NEXT) | instid1(VALU_DEP_3)
	v_and_or_b32 v1, 0xffff, v1, v45
	v_and_or_b32 v2, 0xffff, v2, v58
	;;#ASMSTART
	v_pk_mul_f16 v0, v60, v0;

	;;#ASMEND
	;;#ASMSTART
	v_pk_mul_f16 v1, v59, v1;

	;;#ASMEND
	;; [unrolled: 4-line block ×4, first 2 shown]
	;;#ASMSTART
	v_pk_add_f16 v0, v0, v1;

	;;#ASMEND
	;;#ASMSTART
	v_pk_add_f16 v0, v0, v2;

	;;#ASMEND
	;;#ASMSTART
	v_pk_add_f16 v0, v0, v3;

	;;#ASMEND
	v_and_b32_e32 v1, 0xffff, v0
	v_lshrrev_b32_e32 v0, 16, v0
	;;#ASMSTART
	v_cvt_f32_f16 v67, v1;
	;;#ASMEND
	;;#ASMSTART
	v_cvt_f32_f16 v68, v0;
	;;#ASMEND
	global_load_b128 v[0:3], v[42:43], off offset:1536
	s_wait_loadcnt 0x0
	v_dual_lshrrev_b32 v45, 16, v1 :: v_dual_lshrrev_b32 v44, 16, v0
	v_lshrrev_b32_e32 v58, 16, v2
	s_and_saveexec_b32 s16, vcc_lo
	s_cbranch_execz .LBB107_44
; %bb.43:                               ;   in Loop: Header=BB107_36 Depth=1
	v_cmp_gt_i32_e64 s0, s23, v50
	v_and_b32_e32 v69, 0xffff, v3
	v_and_b32_e32 v3, 0xffff0000, v3
	s_delay_alu instid0(VALU_DEP_3) | instskip(SKIP_1) | instid1(VALU_DEP_1)
	v_cndmask_b32_e64 v0, 0, v0, s0
	v_cmp_gt_i32_e64 s0, s23, v56
	v_cndmask_b32_e64 v1, 0, v1, s0
	v_cmp_gt_i32_e64 s0, s15, v57
	s_delay_alu instid0(VALU_DEP_1) | instskip(SKIP_1) | instid1(VALU_DEP_1)
	v_cndmask_b32_e64 v45, 0, v45, s0
	v_cmp_gt_i32_e64 s0, s23, v55
	v_cndmask_b32_e64 v44, 0, v44, s0
	v_cmp_gt_i32_e64 s0, s23, v54
	s_delay_alu instid0(VALU_DEP_1) | instskip(SKIP_1) | instid1(VALU_DEP_1)
	v_cndmask_b32_e64 v69, 0, v69, s0
	v_cmp_gt_i32_e64 s0, s23, v53
	v_cndmask_b32_e64 v3, 0, v3, s0
	v_cmp_gt_i32_e64 s0, s23, v52
	s_delay_alu instid0(VALU_DEP_1) | instskip(SKIP_1) | instid1(VALU_DEP_1)
	v_dual_cndmask_b32 v2, 0, v2, s0 :: v_dual_bitop2_b32 v3, v69, v3 bitop3:0x54
	v_cmp_gt_i32_e64 s0, s23, v51
	v_cndmask_b32_e64 v58, 0, v58, s0
.LBB107_44:                             ;   in Loop: Header=BB107_36 Depth=1
	s_or_b32 exec_lo, exec_lo, s16
	v_dual_lshlrev_b32 v44, 16, v44 :: v_dual_lshlrev_b32 v45, 16, v45
	s_delay_alu instid0(VALU_DEP_2) | instskip(NEXT) | instid1(VALU_DEP_2)
	v_lshlrev_b32_e32 v58, 16, v58
	v_and_or_b32 v0, 0xffff, v0, v44
	s_delay_alu instid0(VALU_DEP_3) | instskip(NEXT) | instid1(VALU_DEP_3)
	v_and_or_b32 v1, 0xffff, v1, v45
	v_and_or_b32 v2, 0xffff, v2, v58
	;;#ASMSTART
	v_pk_mul_f16 v0, v60, v0;

	;;#ASMEND
	;;#ASMSTART
	v_pk_mul_f16 v1, v59, v1;

	;;#ASMEND
	;;#ASMSTART
	v_pk_mul_f16 v2, v61, v2;

	;;#ASMEND
	;;#ASMSTART
	v_pk_mul_f16 v3, v62, v3;

	;;#ASMEND
	;;#ASMSTART
	v_pk_add_f16 v0, v0, v1;

	;;#ASMEND
	;;#ASMSTART
	v_pk_add_f16 v0, v0, v2;

	;;#ASMEND
	;; [unrolled: 4-line block ×3, first 2 shown]
	v_and_b32_e32 v1, 0xffff, v0
	v_lshrrev_b32_e32 v0, 16, v0
	;;#ASMSTART
	v_cvt_f32_f16 v69, v1;
	;;#ASMEND
	;;#ASMSTART
	v_cvt_f32_f16 v70, v0;
	;;#ASMEND
	global_load_b128 v[0:3], v[42:43], off offset:2048
	s_wait_loadcnt 0x0
	v_dual_lshrrev_b32 v45, 16, v1 :: v_dual_lshrrev_b32 v44, 16, v0
	v_lshrrev_b32_e32 v58, 16, v2
	s_and_saveexec_b32 s16, vcc_lo
	s_cbranch_execz .LBB107_46
; %bb.45:                               ;   in Loop: Header=BB107_36 Depth=1
	v_cmp_gt_i32_e64 s0, s23, v50
	v_and_b32_e32 v71, 0xffff, v3
	v_and_b32_e32 v3, 0xffff0000, v3
	s_delay_alu instid0(VALU_DEP_3) | instskip(SKIP_1) | instid1(VALU_DEP_1)
	v_cndmask_b32_e64 v0, 0, v0, s0
	v_cmp_gt_i32_e64 s0, s23, v56
	v_cndmask_b32_e64 v1, 0, v1, s0
	v_cmp_gt_i32_e64 s0, s15, v57
	s_delay_alu instid0(VALU_DEP_1) | instskip(SKIP_1) | instid1(VALU_DEP_1)
	v_cndmask_b32_e64 v45, 0, v45, s0
	v_cmp_gt_i32_e64 s0, s23, v55
	v_cndmask_b32_e64 v44, 0, v44, s0
	v_cmp_gt_i32_e64 s0, s23, v54
	s_delay_alu instid0(VALU_DEP_1) | instskip(SKIP_1) | instid1(VALU_DEP_1)
	;; [unrolled: 5-line block ×3, first 2 shown]
	v_cndmask_b32_e64 v2, 0, v2, s0
	v_cmp_gt_i32_e64 s0, s23, v51
	v_dual_cndmask_b32 v58, 0, v58, s0 :: v_dual_bitop2_b32 v3, v71, v3 bitop3:0x54
.LBB107_46:                             ;   in Loop: Header=BB107_36 Depth=1
	s_or_b32 exec_lo, exec_lo, s16
	v_dual_lshlrev_b32 v44, 16, v44 :: v_dual_lshlrev_b32 v45, 16, v45
	s_delay_alu instid0(VALU_DEP_2) | instskip(NEXT) | instid1(VALU_DEP_2)
	v_lshlrev_b32_e32 v58, 16, v58
	v_and_or_b32 v0, 0xffff, v0, v44
	s_delay_alu instid0(VALU_DEP_3) | instskip(NEXT) | instid1(VALU_DEP_3)
	v_and_or_b32 v1, 0xffff, v1, v45
	v_and_or_b32 v2, 0xffff, v2, v58
	;;#ASMSTART
	v_pk_mul_f16 v0, v60, v0;

	;;#ASMEND
	;;#ASMSTART
	v_pk_mul_f16 v1, v59, v1;

	;;#ASMEND
	;; [unrolled: 4-line block ×4, first 2 shown]
	;;#ASMSTART
	v_pk_add_f16 v0, v0, v1;

	;;#ASMEND
	;;#ASMSTART
	v_pk_add_f16 v0, v0, v2;

	;;#ASMEND
	;; [unrolled: 4-line block ×3, first 2 shown]
	v_and_b32_e32 v1, 0xffff, v0
	v_lshrrev_b32_e32 v0, 16, v0
	;;#ASMSTART
	v_cvt_f32_f16 v71, v1;
	;;#ASMEND
	;;#ASMSTART
	v_cvt_f32_f16 v72, v0;
	;;#ASMEND
	global_load_b128 v[0:3], v[42:43], off offset:2560
	s_wait_loadcnt 0x0
	v_dual_lshrrev_b32 v45, 16, v1 :: v_dual_lshrrev_b32 v44, 16, v0
	v_lshrrev_b32_e32 v58, 16, v2
	s_and_saveexec_b32 s16, vcc_lo
	s_cbranch_execz .LBB107_48
; %bb.47:                               ;   in Loop: Header=BB107_36 Depth=1
	v_cmp_gt_i32_e64 s0, s23, v50
	v_and_b32_e32 v73, 0xffff, v3
	v_and_b32_e32 v3, 0xffff0000, v3
	s_delay_alu instid0(VALU_DEP_3) | instskip(SKIP_1) | instid1(VALU_DEP_1)
	v_cndmask_b32_e64 v0, 0, v0, s0
	v_cmp_gt_i32_e64 s0, s23, v56
	v_cndmask_b32_e64 v1, 0, v1, s0
	v_cmp_gt_i32_e64 s0, s15, v57
	s_delay_alu instid0(VALU_DEP_1) | instskip(SKIP_1) | instid1(VALU_DEP_1)
	v_cndmask_b32_e64 v45, 0, v45, s0
	v_cmp_gt_i32_e64 s0, s23, v55
	v_cndmask_b32_e64 v44, 0, v44, s0
	v_cmp_gt_i32_e64 s0, s23, v54
	s_delay_alu instid0(VALU_DEP_1) | instskip(SKIP_1) | instid1(VALU_DEP_1)
	;; [unrolled: 5-line block ×3, first 2 shown]
	v_dual_cndmask_b32 v2, 0, v2, s0 :: v_dual_bitop2_b32 v3, v73, v3 bitop3:0x54
	v_cmp_gt_i32_e64 s0, s23, v51
	v_cndmask_b32_e64 v58, 0, v58, s0
.LBB107_48:                             ;   in Loop: Header=BB107_36 Depth=1
	s_or_b32 exec_lo, exec_lo, s16
	v_dual_lshlrev_b32 v44, 16, v44 :: v_dual_lshlrev_b32 v45, 16, v45
	s_delay_alu instid0(VALU_DEP_2) | instskip(NEXT) | instid1(VALU_DEP_2)
	v_lshlrev_b32_e32 v58, 16, v58
	v_and_or_b32 v0, 0xffff, v0, v44
	s_delay_alu instid0(VALU_DEP_3) | instskip(NEXT) | instid1(VALU_DEP_3)
	v_and_or_b32 v1, 0xffff, v1, v45
	v_and_or_b32 v2, 0xffff, v2, v58
	;;#ASMSTART
	v_pk_mul_f16 v0, v60, v0;

	;;#ASMEND
	;;#ASMSTART
	v_pk_mul_f16 v1, v59, v1;

	;;#ASMEND
	;; [unrolled: 4-line block ×4, first 2 shown]
	;;#ASMSTART
	v_pk_add_f16 v0, v0, v1;

	;;#ASMEND
	;;#ASMSTART
	v_pk_add_f16 v0, v0, v2;

	;;#ASMEND
	;; [unrolled: 4-line block ×3, first 2 shown]
	v_and_b32_e32 v1, 0xffff, v0
	v_lshrrev_b32_e32 v0, 16, v0
	;;#ASMSTART
	v_cvt_f32_f16 v73, v1;
	;;#ASMEND
	;;#ASMSTART
	v_cvt_f32_f16 v74, v0;
	;;#ASMEND
	global_load_b128 v[0:3], v[42:43], off offset:3072
	s_wait_loadcnt 0x0
	v_dual_lshrrev_b32 v45, 16, v1 :: v_dual_lshrrev_b32 v44, 16, v0
	v_lshrrev_b32_e32 v58, 16, v2
	s_and_saveexec_b32 s16, vcc_lo
	s_cbranch_execz .LBB107_50
; %bb.49:                               ;   in Loop: Header=BB107_36 Depth=1
	v_cmp_gt_i32_e64 s0, s23, v50
	v_and_b32_e32 v75, 0xffff, v3
	v_and_b32_e32 v3, 0xffff0000, v3
	s_delay_alu instid0(VALU_DEP_3) | instskip(SKIP_1) | instid1(VALU_DEP_1)
	v_cndmask_b32_e64 v0, 0, v0, s0
	v_cmp_gt_i32_e64 s0, s23, v56
	v_cndmask_b32_e64 v1, 0, v1, s0
	v_cmp_gt_i32_e64 s0, s15, v57
	s_delay_alu instid0(VALU_DEP_1) | instskip(SKIP_1) | instid1(VALU_DEP_1)
	v_cndmask_b32_e64 v45, 0, v45, s0
	v_cmp_gt_i32_e64 s0, s23, v55
	v_cndmask_b32_e64 v44, 0, v44, s0
	v_cmp_gt_i32_e64 s0, s23, v54
	s_delay_alu instid0(VALU_DEP_1) | instskip(SKIP_1) | instid1(VALU_DEP_1)
	;; [unrolled: 5-line block ×3, first 2 shown]
	v_cndmask_b32_e64 v2, 0, v2, s0
	v_cmp_gt_i32_e64 s0, s23, v51
	v_dual_cndmask_b32 v58, 0, v58, s0 :: v_dual_bitop2_b32 v3, v75, v3 bitop3:0x54
.LBB107_50:                             ;   in Loop: Header=BB107_36 Depth=1
	s_or_b32 exec_lo, exec_lo, s16
	v_dual_lshlrev_b32 v44, 16, v44 :: v_dual_lshlrev_b32 v45, 16, v45
	s_delay_alu instid0(VALU_DEP_2) | instskip(NEXT) | instid1(VALU_DEP_2)
	v_lshlrev_b32_e32 v58, 16, v58
	v_and_or_b32 v0, 0xffff, v0, v44
	s_delay_alu instid0(VALU_DEP_3) | instskip(NEXT) | instid1(VALU_DEP_3)
	v_and_or_b32 v1, 0xffff, v1, v45
	v_and_or_b32 v2, 0xffff, v2, v58
	;;#ASMSTART
	v_pk_mul_f16 v0, v60, v0;

	;;#ASMEND
	;;#ASMSTART
	v_pk_mul_f16 v1, v59, v1;

	;;#ASMEND
	;; [unrolled: 4-line block ×4, first 2 shown]
	;;#ASMSTART
	v_pk_add_f16 v0, v0, v1;

	;;#ASMEND
	;;#ASMSTART
	v_pk_add_f16 v0, v0, v2;

	;;#ASMEND
	;; [unrolled: 4-line block ×3, first 2 shown]
	v_and_b32_e32 v1, 0xffff, v0
	v_lshrrev_b32_e32 v0, 16, v0
	;;#ASMSTART
	v_cvt_f32_f16 v75, v1;
	;;#ASMEND
	;;#ASMSTART
	v_cvt_f32_f16 v76, v0;
	;;#ASMEND
	global_load_b128 v[0:3], v[42:43], off offset:3584
	s_wait_loadcnt 0x0
	v_dual_lshrrev_b32 v45, 16, v1 :: v_dual_lshrrev_b32 v44, 16, v0
	v_lshrrev_b32_e32 v58, 16, v2
	s_and_saveexec_b32 s16, vcc_lo
	s_cbranch_execz .LBB107_52
; %bb.51:                               ;   in Loop: Header=BB107_36 Depth=1
	v_cmp_gt_i32_e64 s0, s23, v50
	v_and_b32_e32 v77, 0xffff, v3
	v_and_b32_e32 v3, 0xffff0000, v3
	s_delay_alu instid0(VALU_DEP_3) | instskip(SKIP_1) | instid1(VALU_DEP_1)
	v_cndmask_b32_e64 v0, 0, v0, s0
	v_cmp_gt_i32_e64 s0, s23, v56
	v_cndmask_b32_e64 v1, 0, v1, s0
	v_cmp_gt_i32_e64 s0, s15, v57
	s_delay_alu instid0(VALU_DEP_1) | instskip(SKIP_1) | instid1(VALU_DEP_1)
	v_cndmask_b32_e64 v45, 0, v45, s0
	v_cmp_gt_i32_e64 s0, s23, v55
	v_cndmask_b32_e64 v44, 0, v44, s0
	v_cmp_gt_i32_e64 s0, s23, v54
	s_delay_alu instid0(VALU_DEP_1) | instskip(SKIP_1) | instid1(VALU_DEP_1)
	;; [unrolled: 5-line block ×3, first 2 shown]
	v_dual_cndmask_b32 v2, 0, v2, s0 :: v_dual_bitop2_b32 v3, v77, v3 bitop3:0x54
	v_cmp_gt_i32_e64 s0, s23, v51
	v_cndmask_b32_e64 v58, 0, v58, s0
.LBB107_52:                             ;   in Loop: Header=BB107_36 Depth=1
	s_or_b32 exec_lo, exec_lo, s16
	v_dual_lshlrev_b32 v44, 16, v44 :: v_dual_lshlrev_b32 v45, 16, v45
	s_delay_alu instid0(VALU_DEP_2) | instskip(NEXT) | instid1(VALU_DEP_2)
	v_lshlrev_b32_e32 v58, 16, v58
	v_and_or_b32 v0, 0xffff, v0, v44
	s_delay_alu instid0(VALU_DEP_3) | instskip(NEXT) | instid1(VALU_DEP_3)
	v_and_or_b32 v1, 0xffff, v1, v45
	v_and_or_b32 v2, 0xffff, v2, v58
	;;#ASMSTART
	v_pk_mul_f16 v0, v60, v0;

	;;#ASMEND
	;;#ASMSTART
	v_pk_mul_f16 v1, v59, v1;

	;;#ASMEND
	;; [unrolled: 4-line block ×4, first 2 shown]
	;;#ASMSTART
	v_pk_add_f16 v0, v0, v1;

	;;#ASMEND
	;;#ASMSTART
	v_pk_add_f16 v0, v0, v2;

	;;#ASMEND
	;; [unrolled: 4-line block ×3, first 2 shown]
	v_and_b32_e32 v1, 0xffff, v0
	v_lshrrev_b32_e32 v0, 16, v0
	;;#ASMSTART
	v_cvt_f32_f16 v77, v1;
	;;#ASMEND
	;;#ASMSTART
	v_cvt_f32_f16 v78, v0;
	;;#ASMEND
	global_load_b128 v[0:3], v[42:43], off offset:4096
	s_wait_loadcnt 0x0
	v_dual_lshrrev_b32 v45, 16, v1 :: v_dual_lshrrev_b32 v44, 16, v0
	v_lshrrev_b32_e32 v58, 16, v2
	s_and_saveexec_b32 s16, vcc_lo
	s_cbranch_execz .LBB107_54
; %bb.53:                               ;   in Loop: Header=BB107_36 Depth=1
	v_cmp_gt_i32_e64 s0, s23, v50
	v_and_b32_e32 v79, 0xffff, v3
	v_and_b32_e32 v3, 0xffff0000, v3
	s_delay_alu instid0(VALU_DEP_3) | instskip(SKIP_1) | instid1(VALU_DEP_1)
	v_cndmask_b32_e64 v0, 0, v0, s0
	v_cmp_gt_i32_e64 s0, s23, v56
	v_cndmask_b32_e64 v1, 0, v1, s0
	v_cmp_gt_i32_e64 s0, s15, v57
	s_delay_alu instid0(VALU_DEP_1) | instskip(SKIP_1) | instid1(VALU_DEP_1)
	v_cndmask_b32_e64 v45, 0, v45, s0
	v_cmp_gt_i32_e64 s0, s23, v55
	v_cndmask_b32_e64 v44, 0, v44, s0
	v_cmp_gt_i32_e64 s0, s23, v54
	s_delay_alu instid0(VALU_DEP_1) | instskip(SKIP_1) | instid1(VALU_DEP_1)
	;; [unrolled: 5-line block ×3, first 2 shown]
	v_cndmask_b32_e64 v2, 0, v2, s0
	v_cmp_gt_i32_e64 s0, s23, v51
	v_dual_cndmask_b32 v58, 0, v58, s0 :: v_dual_bitop2_b32 v3, v79, v3 bitop3:0x54
.LBB107_54:                             ;   in Loop: Header=BB107_36 Depth=1
	s_or_b32 exec_lo, exec_lo, s16
	v_dual_lshlrev_b32 v44, 16, v44 :: v_dual_lshlrev_b32 v45, 16, v45
	s_delay_alu instid0(VALU_DEP_2) | instskip(NEXT) | instid1(VALU_DEP_2)
	v_lshlrev_b32_e32 v58, 16, v58
	v_and_or_b32 v0, 0xffff, v0, v44
	s_delay_alu instid0(VALU_DEP_3) | instskip(NEXT) | instid1(VALU_DEP_3)
	v_and_or_b32 v1, 0xffff, v1, v45
	v_and_or_b32 v2, 0xffff, v2, v58
	;;#ASMSTART
	v_pk_mul_f16 v0, v60, v0;

	;;#ASMEND
	;;#ASMSTART
	v_pk_mul_f16 v1, v59, v1;

	;;#ASMEND
	;; [unrolled: 4-line block ×4, first 2 shown]
	;;#ASMSTART
	v_pk_add_f16 v0, v0, v1;

	;;#ASMEND
	;;#ASMSTART
	v_pk_add_f16 v0, v0, v2;

	;;#ASMEND
	;; [unrolled: 4-line block ×3, first 2 shown]
	v_and_b32_e32 v1, 0xffff, v0
	v_lshrrev_b32_e32 v0, 16, v0
	;;#ASMSTART
	v_cvt_f32_f16 v79, v1;
	;;#ASMEND
	;;#ASMSTART
	v_cvt_f32_f16 v80, v0;
	;;#ASMEND
	global_load_b128 v[0:3], v[42:43], off offset:4608
	s_wait_loadcnt 0x0
	v_dual_lshrrev_b32 v45, 16, v1 :: v_dual_lshrrev_b32 v44, 16, v0
	v_lshrrev_b32_e32 v58, 16, v2
	s_and_saveexec_b32 s16, vcc_lo
	s_cbranch_execz .LBB107_56
; %bb.55:                               ;   in Loop: Header=BB107_36 Depth=1
	v_cmp_gt_i32_e64 s0, s23, v50
	v_and_b32_e32 v81, 0xffff, v3
	v_and_b32_e32 v3, 0xffff0000, v3
	s_delay_alu instid0(VALU_DEP_3) | instskip(SKIP_1) | instid1(VALU_DEP_1)
	v_cndmask_b32_e64 v0, 0, v0, s0
	v_cmp_gt_i32_e64 s0, s23, v56
	v_cndmask_b32_e64 v1, 0, v1, s0
	v_cmp_gt_i32_e64 s0, s15, v57
	s_delay_alu instid0(VALU_DEP_1) | instskip(SKIP_1) | instid1(VALU_DEP_1)
	v_cndmask_b32_e64 v45, 0, v45, s0
	v_cmp_gt_i32_e64 s0, s23, v55
	v_cndmask_b32_e64 v44, 0, v44, s0
	v_cmp_gt_i32_e64 s0, s23, v54
	s_delay_alu instid0(VALU_DEP_1) | instskip(SKIP_1) | instid1(VALU_DEP_1)
	;; [unrolled: 5-line block ×3, first 2 shown]
	v_dual_cndmask_b32 v2, 0, v2, s0 :: v_dual_bitop2_b32 v3, v81, v3 bitop3:0x54
	v_cmp_gt_i32_e64 s0, s23, v51
	v_cndmask_b32_e64 v58, 0, v58, s0
.LBB107_56:                             ;   in Loop: Header=BB107_36 Depth=1
	s_or_b32 exec_lo, exec_lo, s16
	v_dual_lshlrev_b32 v44, 16, v44 :: v_dual_lshlrev_b32 v45, 16, v45
	s_delay_alu instid0(VALU_DEP_2) | instskip(NEXT) | instid1(VALU_DEP_2)
	v_lshlrev_b32_e32 v58, 16, v58
	v_and_or_b32 v0, 0xffff, v0, v44
	s_delay_alu instid0(VALU_DEP_3) | instskip(NEXT) | instid1(VALU_DEP_3)
	v_and_or_b32 v1, 0xffff, v1, v45
	v_and_or_b32 v2, 0xffff, v2, v58
	;;#ASMSTART
	v_pk_mul_f16 v0, v60, v0;

	;;#ASMEND
	;;#ASMSTART
	v_pk_mul_f16 v1, v59, v1;

	;;#ASMEND
	;;#ASMSTART
	v_pk_mul_f16 v2, v61, v2;

	;;#ASMEND
	;;#ASMSTART
	v_pk_mul_f16 v3, v62, v3;

	;;#ASMEND
	;;#ASMSTART
	v_pk_add_f16 v0, v0, v1;

	;;#ASMEND
	;;#ASMSTART
	v_pk_add_f16 v0, v0, v2;

	;;#ASMEND
	;;#ASMSTART
	v_pk_add_f16 v0, v0, v3;

	;;#ASMEND
	v_and_b32_e32 v1, 0xffff, v0
	v_lshrrev_b32_e32 v0, 16, v0
	;;#ASMSTART
	v_cvt_f32_f16 v81, v1;
	;;#ASMEND
	;;#ASMSTART
	v_cvt_f32_f16 v82, v0;
	;;#ASMEND
	global_load_b128 v[0:3], v[42:43], off offset:5120
	s_wait_loadcnt 0x0
	v_dual_lshrrev_b32 v45, 16, v1 :: v_dual_lshrrev_b32 v44, 16, v0
	v_lshrrev_b32_e32 v58, 16, v2
	s_and_saveexec_b32 s16, vcc_lo
	s_cbranch_execz .LBB107_58
; %bb.57:                               ;   in Loop: Header=BB107_36 Depth=1
	v_cmp_gt_i32_e64 s0, s23, v50
	v_and_b32_e32 v83, 0xffff, v3
	v_and_b32_e32 v3, 0xffff0000, v3
	s_delay_alu instid0(VALU_DEP_3) | instskip(SKIP_1) | instid1(VALU_DEP_1)
	v_cndmask_b32_e64 v0, 0, v0, s0
	v_cmp_gt_i32_e64 s0, s23, v56
	v_cndmask_b32_e64 v1, 0, v1, s0
	v_cmp_gt_i32_e64 s0, s15, v57
	s_delay_alu instid0(VALU_DEP_1) | instskip(SKIP_1) | instid1(VALU_DEP_1)
	v_cndmask_b32_e64 v45, 0, v45, s0
	v_cmp_gt_i32_e64 s0, s23, v55
	v_cndmask_b32_e64 v44, 0, v44, s0
	v_cmp_gt_i32_e64 s0, s23, v54
	s_delay_alu instid0(VALU_DEP_1) | instskip(SKIP_1) | instid1(VALU_DEP_1)
	;; [unrolled: 5-line block ×3, first 2 shown]
	v_cndmask_b32_e64 v2, 0, v2, s0
	v_cmp_gt_i32_e64 s0, s23, v51
	v_dual_cndmask_b32 v58, 0, v58, s0 :: v_dual_bitop2_b32 v3, v83, v3 bitop3:0x54
.LBB107_58:                             ;   in Loop: Header=BB107_36 Depth=1
	s_or_b32 exec_lo, exec_lo, s16
	v_dual_lshlrev_b32 v44, 16, v44 :: v_dual_lshlrev_b32 v45, 16, v45
	s_delay_alu instid0(VALU_DEP_2) | instskip(NEXT) | instid1(VALU_DEP_2)
	v_lshlrev_b32_e32 v58, 16, v58
	v_and_or_b32 v0, 0xffff, v0, v44
	s_delay_alu instid0(VALU_DEP_3) | instskip(NEXT) | instid1(VALU_DEP_3)
	v_and_or_b32 v1, 0xffff, v1, v45
	v_and_or_b32 v2, 0xffff, v2, v58
	;;#ASMSTART
	v_pk_mul_f16 v0, v60, v0;

	;;#ASMEND
	;;#ASMSTART
	v_pk_mul_f16 v1, v59, v1;

	;;#ASMEND
	;; [unrolled: 4-line block ×4, first 2 shown]
	;;#ASMSTART
	v_pk_add_f16 v0, v0, v1;

	;;#ASMEND
	;;#ASMSTART
	v_pk_add_f16 v0, v0, v2;

	;;#ASMEND
	;; [unrolled: 4-line block ×3, first 2 shown]
	v_and_b32_e32 v1, 0xffff, v0
	v_lshrrev_b32_e32 v0, 16, v0
	;;#ASMSTART
	v_cvt_f32_f16 v83, v1;
	;;#ASMEND
	;;#ASMSTART
	v_cvt_f32_f16 v84, v0;
	;;#ASMEND
	global_load_b128 v[0:3], v[42:43], off offset:5632
	s_wait_loadcnt 0x0
	v_dual_lshrrev_b32 v45, 16, v1 :: v_dual_lshrrev_b32 v44, 16, v0
	v_lshrrev_b32_e32 v58, 16, v2
	s_and_saveexec_b32 s16, vcc_lo
	s_cbranch_execz .LBB107_60
; %bb.59:                               ;   in Loop: Header=BB107_36 Depth=1
	v_cmp_gt_i32_e64 s0, s23, v50
	v_and_b32_e32 v85, 0xffff, v3
	v_and_b32_e32 v3, 0xffff0000, v3
	s_delay_alu instid0(VALU_DEP_3) | instskip(SKIP_1) | instid1(VALU_DEP_1)
	v_cndmask_b32_e64 v0, 0, v0, s0
	v_cmp_gt_i32_e64 s0, s23, v56
	v_cndmask_b32_e64 v1, 0, v1, s0
	v_cmp_gt_i32_e64 s0, s15, v57
	s_delay_alu instid0(VALU_DEP_1) | instskip(SKIP_1) | instid1(VALU_DEP_1)
	v_cndmask_b32_e64 v45, 0, v45, s0
	v_cmp_gt_i32_e64 s0, s23, v55
	v_cndmask_b32_e64 v44, 0, v44, s0
	v_cmp_gt_i32_e64 s0, s23, v54
	s_delay_alu instid0(VALU_DEP_1) | instskip(SKIP_1) | instid1(VALU_DEP_1)
	;; [unrolled: 5-line block ×3, first 2 shown]
	v_dual_cndmask_b32 v2, 0, v2, s0 :: v_dual_bitop2_b32 v3, v85, v3 bitop3:0x54
	v_cmp_gt_i32_e64 s0, s23, v51
	v_cndmask_b32_e64 v58, 0, v58, s0
.LBB107_60:                             ;   in Loop: Header=BB107_36 Depth=1
	s_or_b32 exec_lo, exec_lo, s16
	v_dual_lshlrev_b32 v44, 16, v44 :: v_dual_lshlrev_b32 v45, 16, v45
	s_delay_alu instid0(VALU_DEP_2) | instskip(NEXT) | instid1(VALU_DEP_2)
	v_lshlrev_b32_e32 v58, 16, v58
	v_and_or_b32 v0, 0xffff, v0, v44
	s_delay_alu instid0(VALU_DEP_3) | instskip(NEXT) | instid1(VALU_DEP_3)
	v_and_or_b32 v1, 0xffff, v1, v45
	v_and_or_b32 v2, 0xffff, v2, v58
	;;#ASMSTART
	v_pk_mul_f16 v0, v60, v0;

	;;#ASMEND
	;;#ASMSTART
	v_pk_mul_f16 v1, v59, v1;

	;;#ASMEND
	;;#ASMSTART
	v_pk_mul_f16 v2, v61, v2;

	;;#ASMEND
	;;#ASMSTART
	v_pk_mul_f16 v3, v62, v3;

	;;#ASMEND
	;;#ASMSTART
	v_pk_add_f16 v0, v0, v1;

	;;#ASMEND
	;;#ASMSTART
	v_pk_add_f16 v0, v0, v2;

	;;#ASMEND
	;; [unrolled: 4-line block ×3, first 2 shown]
	v_and_b32_e32 v1, 0xffff, v0
	v_lshrrev_b32_e32 v0, 16, v0
	;;#ASMSTART
	v_cvt_f32_f16 v85, v1;
	;;#ASMEND
	;;#ASMSTART
	v_cvt_f32_f16 v86, v0;
	;;#ASMEND
	global_load_b128 v[0:3], v[42:43], off offset:6144
	s_wait_loadcnt 0x0
	v_dual_lshrrev_b32 v45, 16, v1 :: v_dual_lshrrev_b32 v44, 16, v0
	v_lshrrev_b32_e32 v58, 16, v2
	s_and_saveexec_b32 s16, vcc_lo
	s_cbranch_execz .LBB107_62
; %bb.61:                               ;   in Loop: Header=BB107_36 Depth=1
	v_cmp_gt_i32_e64 s0, s23, v50
	v_and_b32_e32 v87, 0xffff, v3
	v_and_b32_e32 v3, 0xffff0000, v3
	s_delay_alu instid0(VALU_DEP_3) | instskip(SKIP_1) | instid1(VALU_DEP_1)
	v_cndmask_b32_e64 v0, 0, v0, s0
	v_cmp_gt_i32_e64 s0, s23, v56
	v_cndmask_b32_e64 v1, 0, v1, s0
	v_cmp_gt_i32_e64 s0, s15, v57
	s_delay_alu instid0(VALU_DEP_1) | instskip(SKIP_1) | instid1(VALU_DEP_1)
	v_cndmask_b32_e64 v45, 0, v45, s0
	v_cmp_gt_i32_e64 s0, s23, v55
	v_cndmask_b32_e64 v44, 0, v44, s0
	v_cmp_gt_i32_e64 s0, s23, v54
	s_delay_alu instid0(VALU_DEP_1) | instskip(SKIP_1) | instid1(VALU_DEP_1)
	;; [unrolled: 5-line block ×3, first 2 shown]
	v_cndmask_b32_e64 v2, 0, v2, s0
	v_cmp_gt_i32_e64 s0, s23, v51
	v_dual_cndmask_b32 v58, 0, v58, s0 :: v_dual_bitop2_b32 v3, v87, v3 bitop3:0x54
.LBB107_62:                             ;   in Loop: Header=BB107_36 Depth=1
	s_or_b32 exec_lo, exec_lo, s16
	v_dual_lshlrev_b32 v44, 16, v44 :: v_dual_lshlrev_b32 v45, 16, v45
	s_delay_alu instid0(VALU_DEP_2) | instskip(NEXT) | instid1(VALU_DEP_2)
	v_lshlrev_b32_e32 v58, 16, v58
	v_and_or_b32 v0, 0xffff, v0, v44
	s_delay_alu instid0(VALU_DEP_3) | instskip(NEXT) | instid1(VALU_DEP_3)
	v_and_or_b32 v1, 0xffff, v1, v45
	v_and_or_b32 v2, 0xffff, v2, v58
	;;#ASMSTART
	v_pk_mul_f16 v0, v60, v0;

	;;#ASMEND
	;;#ASMSTART
	v_pk_mul_f16 v1, v59, v1;

	;;#ASMEND
	;; [unrolled: 4-line block ×4, first 2 shown]
	;;#ASMSTART
	v_pk_add_f16 v0, v0, v1;

	;;#ASMEND
	;;#ASMSTART
	v_pk_add_f16 v0, v0, v2;

	;;#ASMEND
	;; [unrolled: 4-line block ×3, first 2 shown]
	v_and_b32_e32 v1, 0xffff, v0
	v_lshrrev_b32_e32 v0, 16, v0
	;;#ASMSTART
	v_cvt_f32_f16 v87, v1;
	;;#ASMEND
	;;#ASMSTART
	v_cvt_f32_f16 v88, v0;
	;;#ASMEND
	global_load_b128 v[0:3], v[42:43], off offset:6656
	s_wait_loadcnt 0x0
	v_dual_lshrrev_b32 v45, 16, v1 :: v_dual_lshrrev_b32 v44, 16, v0
	v_lshrrev_b32_e32 v58, 16, v2
	s_and_saveexec_b32 s16, vcc_lo
	s_cbranch_execz .LBB107_64
; %bb.63:                               ;   in Loop: Header=BB107_36 Depth=1
	v_cmp_gt_i32_e64 s0, s23, v50
	v_and_b32_e32 v89, 0xffff, v3
	v_and_b32_e32 v3, 0xffff0000, v3
	s_delay_alu instid0(VALU_DEP_3) | instskip(SKIP_1) | instid1(VALU_DEP_1)
	v_cndmask_b32_e64 v0, 0, v0, s0
	v_cmp_gt_i32_e64 s0, s23, v56
	v_cndmask_b32_e64 v1, 0, v1, s0
	v_cmp_gt_i32_e64 s0, s15, v57
	s_delay_alu instid0(VALU_DEP_1) | instskip(SKIP_1) | instid1(VALU_DEP_1)
	v_cndmask_b32_e64 v45, 0, v45, s0
	v_cmp_gt_i32_e64 s0, s23, v55
	v_cndmask_b32_e64 v44, 0, v44, s0
	v_cmp_gt_i32_e64 s0, s23, v54
	s_delay_alu instid0(VALU_DEP_1) | instskip(SKIP_1) | instid1(VALU_DEP_1)
	;; [unrolled: 5-line block ×3, first 2 shown]
	v_dual_cndmask_b32 v2, 0, v2, s0 :: v_dual_bitop2_b32 v3, v89, v3 bitop3:0x54
	v_cmp_gt_i32_e64 s0, s23, v51
	v_cndmask_b32_e64 v58, 0, v58, s0
.LBB107_64:                             ;   in Loop: Header=BB107_36 Depth=1
	s_or_b32 exec_lo, exec_lo, s16
	v_dual_lshlrev_b32 v44, 16, v44 :: v_dual_lshlrev_b32 v45, 16, v45
	s_delay_alu instid0(VALU_DEP_2) | instskip(NEXT) | instid1(VALU_DEP_2)
	v_lshlrev_b32_e32 v58, 16, v58
	v_and_or_b32 v0, 0xffff, v0, v44
	s_delay_alu instid0(VALU_DEP_3) | instskip(NEXT) | instid1(VALU_DEP_3)
	v_and_or_b32 v1, 0xffff, v1, v45
	v_and_or_b32 v2, 0xffff, v2, v58
	;;#ASMSTART
	v_pk_mul_f16 v0, v60, v0;

	;;#ASMEND
	;;#ASMSTART
	v_pk_mul_f16 v1, v59, v1;

	;;#ASMEND
	;; [unrolled: 4-line block ×4, first 2 shown]
	;;#ASMSTART
	v_pk_add_f16 v0, v0, v1;

	;;#ASMEND
	;;#ASMSTART
	v_pk_add_f16 v0, v0, v2;

	;;#ASMEND
	;; [unrolled: 4-line block ×3, first 2 shown]
	v_and_b32_e32 v1, 0xffff, v0
	v_lshrrev_b32_e32 v0, 16, v0
	;;#ASMSTART
	v_cvt_f32_f16 v89, v1;
	;;#ASMEND
	;;#ASMSTART
	v_cvt_f32_f16 v90, v0;
	;;#ASMEND
	global_load_b128 v[0:3], v[42:43], off offset:7168
	s_wait_loadcnt 0x0
	v_dual_lshrrev_b32 v45, 16, v1 :: v_dual_lshrrev_b32 v44, 16, v0
	v_lshrrev_b32_e32 v58, 16, v2
	s_and_saveexec_b32 s16, vcc_lo
	s_cbranch_execz .LBB107_66
; %bb.65:                               ;   in Loop: Header=BB107_36 Depth=1
	v_cmp_gt_i32_e64 s0, s23, v50
	v_and_b32_e32 v91, 0xffff, v3
	v_and_b32_e32 v3, 0xffff0000, v3
	s_delay_alu instid0(VALU_DEP_3) | instskip(SKIP_1) | instid1(VALU_DEP_1)
	v_cndmask_b32_e64 v0, 0, v0, s0
	v_cmp_gt_i32_e64 s0, s23, v56
	v_cndmask_b32_e64 v1, 0, v1, s0
	v_cmp_gt_i32_e64 s0, s15, v57
	s_delay_alu instid0(VALU_DEP_1) | instskip(SKIP_1) | instid1(VALU_DEP_1)
	v_cndmask_b32_e64 v45, 0, v45, s0
	v_cmp_gt_i32_e64 s0, s23, v55
	v_cndmask_b32_e64 v44, 0, v44, s0
	v_cmp_gt_i32_e64 s0, s23, v54
	s_delay_alu instid0(VALU_DEP_1) | instskip(SKIP_1) | instid1(VALU_DEP_1)
	v_cndmask_b32_e64 v91, 0, v91, s0
	v_cmp_gt_i32_e64 s0, s23, v53
	v_cndmask_b32_e64 v3, 0, v3, s0
	v_cmp_gt_i32_e64 s0, s23, v52
	s_delay_alu instid0(VALU_DEP_1) | instskip(SKIP_1) | instid1(VALU_DEP_1)
	v_cndmask_b32_e64 v2, 0, v2, s0
	v_cmp_gt_i32_e64 s0, s23, v51
	v_dual_cndmask_b32 v58, 0, v58, s0 :: v_dual_bitop2_b32 v3, v91, v3 bitop3:0x54
.LBB107_66:                             ;   in Loop: Header=BB107_36 Depth=1
	s_or_b32 exec_lo, exec_lo, s16
	v_dual_lshlrev_b32 v44, 16, v44 :: v_dual_lshlrev_b32 v45, 16, v45
	s_delay_alu instid0(VALU_DEP_2) | instskip(NEXT) | instid1(VALU_DEP_2)
	v_lshlrev_b32_e32 v58, 16, v58
	v_and_or_b32 v0, 0xffff, v0, v44
	s_delay_alu instid0(VALU_DEP_3) | instskip(NEXT) | instid1(VALU_DEP_3)
	v_and_or_b32 v1, 0xffff, v1, v45
	v_and_or_b32 v2, 0xffff, v2, v58
	;;#ASMSTART
	v_pk_mul_f16 v0, v60, v0;

	;;#ASMEND
	;;#ASMSTART
	v_pk_mul_f16 v1, v59, v1;

	;;#ASMEND
	;; [unrolled: 4-line block ×4, first 2 shown]
	;;#ASMSTART
	v_pk_add_f16 v0, v0, v1;

	;;#ASMEND
	;;#ASMSTART
	v_pk_add_f16 v0, v0, v2;

	;;#ASMEND
	;; [unrolled: 4-line block ×3, first 2 shown]
	v_and_b32_e32 v1, 0xffff, v0
	v_lshrrev_b32_e32 v0, 16, v0
	;;#ASMSTART
	v_cvt_f32_f16 v91, v1;
	;;#ASMEND
	;;#ASMSTART
	v_cvt_f32_f16 v92, v0;
	;;#ASMEND
	global_load_b128 v[0:3], v[42:43], off offset:7680
	s_wait_loadcnt 0x0
	v_dual_lshrrev_b32 v45, 16, v1 :: v_dual_lshrrev_b32 v44, 16, v0
	v_lshrrev_b32_e32 v58, 16, v2
	s_and_saveexec_b32 s16, vcc_lo
	s_cbranch_execz .LBB107_68
; %bb.67:                               ;   in Loop: Header=BB107_36 Depth=1
	v_cmp_gt_i32_e64 s0, s23, v50
	v_and_b32_e32 v93, 0xffff, v3
	v_and_b32_e32 v3, 0xffff0000, v3
	s_delay_alu instid0(VALU_DEP_3) | instskip(SKIP_1) | instid1(VALU_DEP_1)
	v_cndmask_b32_e64 v0, 0, v0, s0
	v_cmp_gt_i32_e64 s0, s23, v56
	v_cndmask_b32_e64 v1, 0, v1, s0
	v_cmp_gt_i32_e64 s0, s15, v57
	s_delay_alu instid0(VALU_DEP_1) | instskip(SKIP_1) | instid1(VALU_DEP_1)
	v_cndmask_b32_e64 v45, 0, v45, s0
	v_cmp_gt_i32_e64 s0, s23, v55
	v_cndmask_b32_e64 v44, 0, v44, s0
	v_cmp_gt_i32_e64 s0, s23, v54
	s_delay_alu instid0(VALU_DEP_1) | instskip(SKIP_1) | instid1(VALU_DEP_1)
	;; [unrolled: 5-line block ×3, first 2 shown]
	v_dual_cndmask_b32 v2, 0, v2, s0 :: v_dual_bitop2_b32 v3, v93, v3 bitop3:0x54
	v_cmp_gt_i32_e64 s0, s23, v51
	v_cndmask_b32_e64 v58, 0, v58, s0
.LBB107_68:                             ;   in Loop: Header=BB107_36 Depth=1
	s_or_b32 exec_lo, exec_lo, s16
	v_dual_lshlrev_b32 v44, 16, v44 :: v_dual_lshlrev_b32 v45, 16, v45
	s_delay_alu instid0(VALU_DEP_2) | instskip(NEXT) | instid1(VALU_DEP_2)
	v_lshlrev_b32_e32 v58, 16, v58
	v_and_or_b32 v0, 0xffff, v0, v44
	s_delay_alu instid0(VALU_DEP_3) | instskip(NEXT) | instid1(VALU_DEP_3)
	v_and_or_b32 v1, 0xffff, v1, v45
	v_and_or_b32 v2, 0xffff, v2, v58
	;;#ASMSTART
	v_pk_mul_f16 v0, v60, v0;

	;;#ASMEND
	;;#ASMSTART
	v_pk_mul_f16 v1, v59, v1;

	;;#ASMEND
	;; [unrolled: 4-line block ×4, first 2 shown]
	;;#ASMSTART
	v_pk_add_f16 v0, v0, v1;

	;;#ASMEND
	;;#ASMSTART
	v_pk_add_f16 v0, v0, v2;

	;;#ASMEND
	;; [unrolled: 4-line block ×3, first 2 shown]
	v_and_b32_e32 v1, 0xffff, v0
	v_lshrrev_b32_e32 v0, 16, v0
	;;#ASMSTART
	v_cvt_f32_f16 v93, v1;
	;;#ASMEND
	;;#ASMSTART
	v_cvt_f32_f16 v94, v0;
	;;#ASMEND
	global_load_b128 v[0:3], v[42:43], off offset:8192
	s_wait_loadcnt 0x0
	v_dual_lshrrev_b32 v45, 16, v1 :: v_dual_lshrrev_b32 v44, 16, v0
	v_lshrrev_b32_e32 v58, 16, v2
	s_and_saveexec_b32 s16, vcc_lo
	s_cbranch_execz .LBB107_70
; %bb.69:                               ;   in Loop: Header=BB107_36 Depth=1
	v_cmp_gt_i32_e64 s0, s23, v50
	v_and_b32_e32 v95, 0xffff, v3
	v_and_b32_e32 v3, 0xffff0000, v3
	s_delay_alu instid0(VALU_DEP_3) | instskip(SKIP_1) | instid1(VALU_DEP_1)
	v_cndmask_b32_e64 v0, 0, v0, s0
	v_cmp_gt_i32_e64 s0, s23, v56
	v_cndmask_b32_e64 v1, 0, v1, s0
	v_cmp_gt_i32_e64 s0, s15, v57
	s_delay_alu instid0(VALU_DEP_1) | instskip(SKIP_1) | instid1(VALU_DEP_1)
	v_cndmask_b32_e64 v45, 0, v45, s0
	v_cmp_gt_i32_e64 s0, s23, v55
	v_cndmask_b32_e64 v44, 0, v44, s0
	v_cmp_gt_i32_e64 s0, s23, v54
	s_delay_alu instid0(VALU_DEP_1) | instskip(SKIP_1) | instid1(VALU_DEP_1)
	;; [unrolled: 5-line block ×3, first 2 shown]
	v_cndmask_b32_e64 v2, 0, v2, s0
	v_cmp_gt_i32_e64 s0, s23, v51
	v_dual_cndmask_b32 v58, 0, v58, s0 :: v_dual_bitop2_b32 v3, v95, v3 bitop3:0x54
.LBB107_70:                             ;   in Loop: Header=BB107_36 Depth=1
	s_or_b32 exec_lo, exec_lo, s16
	v_dual_lshlrev_b32 v44, 16, v44 :: v_dual_lshlrev_b32 v45, 16, v45
	s_delay_alu instid0(VALU_DEP_2) | instskip(NEXT) | instid1(VALU_DEP_2)
	v_lshlrev_b32_e32 v58, 16, v58
	v_and_or_b32 v0, 0xffff, v0, v44
	s_delay_alu instid0(VALU_DEP_3) | instskip(NEXT) | instid1(VALU_DEP_3)
	v_and_or_b32 v1, 0xffff, v1, v45
	v_and_or_b32 v2, 0xffff, v2, v58
	;;#ASMSTART
	v_pk_mul_f16 v0, v60, v0;

	;;#ASMEND
	;;#ASMSTART
	v_pk_mul_f16 v1, v59, v1;

	;;#ASMEND
	;; [unrolled: 4-line block ×4, first 2 shown]
	;;#ASMSTART
	v_pk_add_f16 v0, v0, v1;

	;;#ASMEND
	;;#ASMSTART
	v_pk_add_f16 v0, v0, v2;

	;;#ASMEND
	;; [unrolled: 4-line block ×3, first 2 shown]
	v_and_b32_e32 v1, 0xffff, v0
	v_lshrrev_b32_e32 v0, 16, v0
	;;#ASMSTART
	v_cvt_f32_f16 v95, v1;
	;;#ASMEND
	;;#ASMSTART
	v_cvt_f32_f16 v96, v0;
	;;#ASMEND
	global_load_b128 v[0:3], v[42:43], off offset:8704
	s_wait_loadcnt 0x0
	v_dual_lshrrev_b32 v45, 16, v1 :: v_dual_lshrrev_b32 v44, 16, v0
	v_lshrrev_b32_e32 v58, 16, v2
	s_and_saveexec_b32 s16, vcc_lo
	s_cbranch_execz .LBB107_72
; %bb.71:                               ;   in Loop: Header=BB107_36 Depth=1
	v_cmp_gt_i32_e64 s0, s23, v50
	v_and_b32_e32 v97, 0xffff, v3
	v_and_b32_e32 v3, 0xffff0000, v3
	s_delay_alu instid0(VALU_DEP_3) | instskip(SKIP_1) | instid1(VALU_DEP_1)
	v_cndmask_b32_e64 v0, 0, v0, s0
	v_cmp_gt_i32_e64 s0, s23, v56
	v_cndmask_b32_e64 v1, 0, v1, s0
	v_cmp_gt_i32_e64 s0, s15, v57
	s_delay_alu instid0(VALU_DEP_1) | instskip(SKIP_1) | instid1(VALU_DEP_1)
	v_cndmask_b32_e64 v45, 0, v45, s0
	v_cmp_gt_i32_e64 s0, s23, v55
	v_cndmask_b32_e64 v44, 0, v44, s0
	v_cmp_gt_i32_e64 s0, s23, v54
	s_delay_alu instid0(VALU_DEP_1) | instskip(SKIP_1) | instid1(VALU_DEP_1)
	;; [unrolled: 5-line block ×3, first 2 shown]
	v_dual_cndmask_b32 v2, 0, v2, s0 :: v_dual_bitop2_b32 v3, v97, v3 bitop3:0x54
	v_cmp_gt_i32_e64 s0, s23, v51
	v_cndmask_b32_e64 v58, 0, v58, s0
.LBB107_72:                             ;   in Loop: Header=BB107_36 Depth=1
	s_or_b32 exec_lo, exec_lo, s16
	v_dual_lshlrev_b32 v44, 16, v44 :: v_dual_lshlrev_b32 v45, 16, v45
	s_delay_alu instid0(VALU_DEP_2) | instskip(NEXT) | instid1(VALU_DEP_2)
	v_lshlrev_b32_e32 v58, 16, v58
	v_and_or_b32 v0, 0xffff, v0, v44
	s_delay_alu instid0(VALU_DEP_3) | instskip(NEXT) | instid1(VALU_DEP_3)
	v_and_or_b32 v1, 0xffff, v1, v45
	v_and_or_b32 v2, 0xffff, v2, v58
	;;#ASMSTART
	v_pk_mul_f16 v0, v60, v0;

	;;#ASMEND
	;;#ASMSTART
	v_pk_mul_f16 v1, v59, v1;

	;;#ASMEND
	;; [unrolled: 4-line block ×4, first 2 shown]
	;;#ASMSTART
	v_pk_add_f16 v0, v0, v1;

	;;#ASMEND
	;;#ASMSTART
	v_pk_add_f16 v0, v0, v2;

	;;#ASMEND
	;; [unrolled: 4-line block ×3, first 2 shown]
	v_and_b32_e32 v1, 0xffff, v0
	v_lshrrev_b32_e32 v0, 16, v0
	;;#ASMSTART
	v_cvt_f32_f16 v97, v1;
	;;#ASMEND
	;;#ASMSTART
	v_cvt_f32_f16 v98, v0;
	;;#ASMEND
	global_load_b128 v[0:3], v[42:43], off offset:9216
	s_wait_loadcnt 0x0
	v_dual_lshrrev_b32 v45, 16, v1 :: v_dual_lshrrev_b32 v44, 16, v0
	v_lshrrev_b32_e32 v58, 16, v2
	s_and_saveexec_b32 s16, vcc_lo
	s_cbranch_execz .LBB107_74
; %bb.73:                               ;   in Loop: Header=BB107_36 Depth=1
	v_cmp_gt_i32_e64 s0, s23, v50
	v_and_b32_e32 v99, 0xffff, v3
	v_and_b32_e32 v3, 0xffff0000, v3
	s_delay_alu instid0(VALU_DEP_3) | instskip(SKIP_1) | instid1(VALU_DEP_1)
	v_cndmask_b32_e64 v0, 0, v0, s0
	v_cmp_gt_i32_e64 s0, s23, v56
	v_cndmask_b32_e64 v1, 0, v1, s0
	v_cmp_gt_i32_e64 s0, s15, v57
	s_delay_alu instid0(VALU_DEP_1) | instskip(SKIP_1) | instid1(VALU_DEP_1)
	v_cndmask_b32_e64 v45, 0, v45, s0
	v_cmp_gt_i32_e64 s0, s23, v55
	v_cndmask_b32_e64 v44, 0, v44, s0
	v_cmp_gt_i32_e64 s0, s23, v54
	s_delay_alu instid0(VALU_DEP_1) | instskip(SKIP_1) | instid1(VALU_DEP_1)
	;; [unrolled: 5-line block ×3, first 2 shown]
	v_cndmask_b32_e64 v2, 0, v2, s0
	v_cmp_gt_i32_e64 s0, s23, v51
	v_dual_cndmask_b32 v58, 0, v58, s0 :: v_dual_bitop2_b32 v3, v99, v3 bitop3:0x54
.LBB107_74:                             ;   in Loop: Header=BB107_36 Depth=1
	s_or_b32 exec_lo, exec_lo, s16
	v_dual_lshlrev_b32 v44, 16, v44 :: v_dual_lshlrev_b32 v45, 16, v45
	s_delay_alu instid0(VALU_DEP_2) | instskip(NEXT) | instid1(VALU_DEP_2)
	v_lshlrev_b32_e32 v58, 16, v58
	v_and_or_b32 v0, 0xffff, v0, v44
	s_delay_alu instid0(VALU_DEP_3) | instskip(NEXT) | instid1(VALU_DEP_3)
	v_and_or_b32 v1, 0xffff, v1, v45
	v_and_or_b32 v2, 0xffff, v2, v58
	;;#ASMSTART
	v_pk_mul_f16 v0, v60, v0;

	;;#ASMEND
	;;#ASMSTART
	v_pk_mul_f16 v1, v59, v1;

	;;#ASMEND
	;; [unrolled: 4-line block ×4, first 2 shown]
	;;#ASMSTART
	v_pk_add_f16 v0, v0, v1;

	;;#ASMEND
	;;#ASMSTART
	v_pk_add_f16 v0, v0, v2;

	;;#ASMEND
	;; [unrolled: 4-line block ×3, first 2 shown]
	v_and_b32_e32 v1, 0xffff, v0
	v_lshrrev_b32_e32 v0, 16, v0
	;;#ASMSTART
	v_cvt_f32_f16 v99, v1;
	;;#ASMEND
	;;#ASMSTART
	v_cvt_f32_f16 v100, v0;
	;;#ASMEND
	global_load_b128 v[0:3], v[42:43], off offset:9728
	s_wait_loadcnt 0x0
	v_dual_lshrrev_b32 v45, 16, v1 :: v_dual_lshrrev_b32 v44, 16, v0
	v_lshrrev_b32_e32 v58, 16, v2
	s_and_saveexec_b32 s16, vcc_lo
	s_cbranch_execz .LBB107_76
; %bb.75:                               ;   in Loop: Header=BB107_36 Depth=1
	v_cmp_gt_i32_e64 s0, s23, v50
	v_and_b32_e32 v101, 0xffff, v3
	v_and_b32_e32 v3, 0xffff0000, v3
	s_delay_alu instid0(VALU_DEP_3) | instskip(SKIP_1) | instid1(VALU_DEP_1)
	v_cndmask_b32_e64 v0, 0, v0, s0
	v_cmp_gt_i32_e64 s0, s23, v56
	v_cndmask_b32_e64 v1, 0, v1, s0
	v_cmp_gt_i32_e64 s0, s15, v57
	s_delay_alu instid0(VALU_DEP_1) | instskip(SKIP_1) | instid1(VALU_DEP_1)
	v_cndmask_b32_e64 v45, 0, v45, s0
	v_cmp_gt_i32_e64 s0, s23, v55
	v_cndmask_b32_e64 v44, 0, v44, s0
	v_cmp_gt_i32_e64 s0, s23, v54
	s_delay_alu instid0(VALU_DEP_1) | instskip(SKIP_1) | instid1(VALU_DEP_1)
	;; [unrolled: 5-line block ×3, first 2 shown]
	v_dual_cndmask_b32 v2, 0, v2, s0 :: v_dual_bitop2_b32 v3, v101, v3 bitop3:0x54
	v_cmp_gt_i32_e64 s0, s23, v51
	v_cndmask_b32_e64 v58, 0, v58, s0
.LBB107_76:                             ;   in Loop: Header=BB107_36 Depth=1
	s_or_b32 exec_lo, exec_lo, s16
	v_dual_lshlrev_b32 v44, 16, v44 :: v_dual_lshlrev_b32 v45, 16, v45
	s_delay_alu instid0(VALU_DEP_2) | instskip(NEXT) | instid1(VALU_DEP_2)
	v_lshlrev_b32_e32 v58, 16, v58
	v_and_or_b32 v0, 0xffff, v0, v44
	s_delay_alu instid0(VALU_DEP_3) | instskip(NEXT) | instid1(VALU_DEP_3)
	v_and_or_b32 v1, 0xffff, v1, v45
	v_and_or_b32 v2, 0xffff, v2, v58
	;;#ASMSTART
	v_pk_mul_f16 v0, v60, v0;

	;;#ASMEND
	;;#ASMSTART
	v_pk_mul_f16 v1, v59, v1;

	;;#ASMEND
	;; [unrolled: 4-line block ×4, first 2 shown]
	;;#ASMSTART
	v_pk_add_f16 v0, v0, v1;

	;;#ASMEND
	;;#ASMSTART
	v_pk_add_f16 v0, v0, v2;

	;;#ASMEND
	;; [unrolled: 4-line block ×3, first 2 shown]
	v_and_b32_e32 v1, 0xffff, v0
	v_lshrrev_b32_e32 v0, 16, v0
	;;#ASMSTART
	v_cvt_f32_f16 v101, v1;
	;;#ASMEND
	;;#ASMSTART
	v_cvt_f32_f16 v102, v0;
	;;#ASMEND
	global_load_b128 v[0:3], v[42:43], off offset:10240
	s_wait_loadcnt 0x0
	v_dual_lshrrev_b32 v45, 16, v1 :: v_dual_lshrrev_b32 v44, 16, v0
	v_lshrrev_b32_e32 v58, 16, v2
	s_and_saveexec_b32 s16, vcc_lo
	s_cbranch_execz .LBB107_78
; %bb.77:                               ;   in Loop: Header=BB107_36 Depth=1
	v_cmp_gt_i32_e64 s0, s23, v50
	v_and_b32_e32 v103, 0xffff, v3
	v_and_b32_e32 v3, 0xffff0000, v3
	s_delay_alu instid0(VALU_DEP_3) | instskip(SKIP_1) | instid1(VALU_DEP_1)
	v_cndmask_b32_e64 v0, 0, v0, s0
	v_cmp_gt_i32_e64 s0, s23, v56
	v_cndmask_b32_e64 v1, 0, v1, s0
	v_cmp_gt_i32_e64 s0, s15, v57
	s_delay_alu instid0(VALU_DEP_1) | instskip(SKIP_1) | instid1(VALU_DEP_1)
	v_cndmask_b32_e64 v45, 0, v45, s0
	v_cmp_gt_i32_e64 s0, s23, v55
	v_cndmask_b32_e64 v44, 0, v44, s0
	v_cmp_gt_i32_e64 s0, s23, v54
	s_delay_alu instid0(VALU_DEP_1) | instskip(SKIP_1) | instid1(VALU_DEP_1)
	;; [unrolled: 5-line block ×3, first 2 shown]
	v_cndmask_b32_e64 v2, 0, v2, s0
	v_cmp_gt_i32_e64 s0, s23, v51
	v_dual_cndmask_b32 v58, 0, v58, s0 :: v_dual_bitop2_b32 v3, v103, v3 bitop3:0x54
.LBB107_78:                             ;   in Loop: Header=BB107_36 Depth=1
	s_or_b32 exec_lo, exec_lo, s16
	v_dual_lshlrev_b32 v44, 16, v44 :: v_dual_lshlrev_b32 v45, 16, v45
	s_delay_alu instid0(VALU_DEP_2) | instskip(NEXT) | instid1(VALU_DEP_2)
	v_lshlrev_b32_e32 v58, 16, v58
	v_and_or_b32 v0, 0xffff, v0, v44
	s_delay_alu instid0(VALU_DEP_3) | instskip(NEXT) | instid1(VALU_DEP_3)
	v_and_or_b32 v1, 0xffff, v1, v45
	v_and_or_b32 v2, 0xffff, v2, v58
	;;#ASMSTART
	v_pk_mul_f16 v0, v60, v0;

	;;#ASMEND
	;;#ASMSTART
	v_pk_mul_f16 v1, v59, v1;

	;;#ASMEND
	;; [unrolled: 4-line block ×4, first 2 shown]
	;;#ASMSTART
	v_pk_add_f16 v0, v0, v1;

	;;#ASMEND
	;;#ASMSTART
	v_pk_add_f16 v0, v0, v2;

	;;#ASMEND
	;; [unrolled: 4-line block ×3, first 2 shown]
	v_and_b32_e32 v1, 0xffff, v0
	v_lshrrev_b32_e32 v0, 16, v0
	;;#ASMSTART
	v_cvt_f32_f16 v103, v1;
	;;#ASMEND
	;;#ASMSTART
	v_cvt_f32_f16 v104, v0;
	;;#ASMEND
	global_load_b128 v[0:3], v[42:43], off offset:10752
	s_wait_loadcnt 0x0
	v_dual_lshrrev_b32 v45, 16, v1 :: v_dual_lshrrev_b32 v44, 16, v0
	v_lshrrev_b32_e32 v58, 16, v2
	s_and_saveexec_b32 s16, vcc_lo
	s_cbranch_execz .LBB107_80
; %bb.79:                               ;   in Loop: Header=BB107_36 Depth=1
	v_cmp_gt_i32_e64 s0, s23, v50
	v_and_b32_e32 v105, 0xffff, v3
	v_and_b32_e32 v3, 0xffff0000, v3
	s_delay_alu instid0(VALU_DEP_3) | instskip(SKIP_1) | instid1(VALU_DEP_1)
	v_cndmask_b32_e64 v0, 0, v0, s0
	v_cmp_gt_i32_e64 s0, s23, v56
	v_cndmask_b32_e64 v1, 0, v1, s0
	v_cmp_gt_i32_e64 s0, s15, v57
	s_delay_alu instid0(VALU_DEP_1) | instskip(SKIP_1) | instid1(VALU_DEP_1)
	v_cndmask_b32_e64 v45, 0, v45, s0
	v_cmp_gt_i32_e64 s0, s23, v55
	v_cndmask_b32_e64 v44, 0, v44, s0
	v_cmp_gt_i32_e64 s0, s23, v54
	s_delay_alu instid0(VALU_DEP_1) | instskip(SKIP_1) | instid1(VALU_DEP_1)
	v_cndmask_b32_e64 v105, 0, v105, s0
	v_cmp_gt_i32_e64 s0, s23, v53
	v_cndmask_b32_e64 v3, 0, v3, s0
	v_cmp_gt_i32_e64 s0, s23, v52
	s_delay_alu instid0(VALU_DEP_1) | instskip(SKIP_1) | instid1(VALU_DEP_1)
	v_dual_cndmask_b32 v2, 0, v2, s0 :: v_dual_bitop2_b32 v3, v105, v3 bitop3:0x54
	v_cmp_gt_i32_e64 s0, s23, v51
	v_cndmask_b32_e64 v58, 0, v58, s0
.LBB107_80:                             ;   in Loop: Header=BB107_36 Depth=1
	s_or_b32 exec_lo, exec_lo, s16
	v_dual_lshlrev_b32 v44, 16, v44 :: v_dual_lshlrev_b32 v45, 16, v45
	s_delay_alu instid0(VALU_DEP_2) | instskip(NEXT) | instid1(VALU_DEP_2)
	v_lshlrev_b32_e32 v58, 16, v58
	v_and_or_b32 v0, 0xffff, v0, v44
	s_delay_alu instid0(VALU_DEP_3) | instskip(NEXT) | instid1(VALU_DEP_3)
	v_and_or_b32 v1, 0xffff, v1, v45
	v_and_or_b32 v2, 0xffff, v2, v58
	;;#ASMSTART
	v_pk_mul_f16 v0, v60, v0;

	;;#ASMEND
	;;#ASMSTART
	v_pk_mul_f16 v1, v59, v1;

	;;#ASMEND
	;; [unrolled: 4-line block ×4, first 2 shown]
	;;#ASMSTART
	v_pk_add_f16 v0, v0, v1;

	;;#ASMEND
	;;#ASMSTART
	v_pk_add_f16 v0, v0, v2;

	;;#ASMEND
	;; [unrolled: 4-line block ×3, first 2 shown]
	v_and_b32_e32 v1, 0xffff, v0
	v_lshrrev_b32_e32 v0, 16, v0
	;;#ASMSTART
	v_cvt_f32_f16 v105, v1;
	;;#ASMEND
	;;#ASMSTART
	v_cvt_f32_f16 v106, v0;
	;;#ASMEND
	global_load_b128 v[0:3], v[42:43], off offset:11264
	s_wait_loadcnt 0x0
	v_dual_lshrrev_b32 v45, 16, v1 :: v_dual_lshrrev_b32 v44, 16, v0
	v_lshrrev_b32_e32 v58, 16, v2
	s_and_saveexec_b32 s16, vcc_lo
	s_cbranch_execz .LBB107_82
; %bb.81:                               ;   in Loop: Header=BB107_36 Depth=1
	v_cmp_gt_i32_e64 s0, s23, v50
	v_and_b32_e32 v107, 0xffff, v3
	v_and_b32_e32 v3, 0xffff0000, v3
	s_delay_alu instid0(VALU_DEP_3) | instskip(SKIP_1) | instid1(VALU_DEP_1)
	v_cndmask_b32_e64 v0, 0, v0, s0
	v_cmp_gt_i32_e64 s0, s23, v56
	v_cndmask_b32_e64 v1, 0, v1, s0
	v_cmp_gt_i32_e64 s0, s15, v57
	s_delay_alu instid0(VALU_DEP_1) | instskip(SKIP_1) | instid1(VALU_DEP_1)
	v_cndmask_b32_e64 v45, 0, v45, s0
	v_cmp_gt_i32_e64 s0, s23, v55
	v_cndmask_b32_e64 v44, 0, v44, s0
	v_cmp_gt_i32_e64 s0, s23, v54
	s_delay_alu instid0(VALU_DEP_1) | instskip(SKIP_1) | instid1(VALU_DEP_1)
	;; [unrolled: 5-line block ×3, first 2 shown]
	v_cndmask_b32_e64 v2, 0, v2, s0
	v_cmp_gt_i32_e64 s0, s23, v51
	v_dual_cndmask_b32 v58, 0, v58, s0 :: v_dual_bitop2_b32 v3, v107, v3 bitop3:0x54
.LBB107_82:                             ;   in Loop: Header=BB107_36 Depth=1
	s_or_b32 exec_lo, exec_lo, s16
	v_dual_lshlrev_b32 v44, 16, v44 :: v_dual_lshlrev_b32 v45, 16, v45
	s_delay_alu instid0(VALU_DEP_2) | instskip(NEXT) | instid1(VALU_DEP_2)
	v_lshlrev_b32_e32 v58, 16, v58
	v_and_or_b32 v0, 0xffff, v0, v44
	s_delay_alu instid0(VALU_DEP_3) | instskip(NEXT) | instid1(VALU_DEP_3)
	v_and_or_b32 v1, 0xffff, v1, v45
	v_and_or_b32 v2, 0xffff, v2, v58
	;;#ASMSTART
	v_pk_mul_f16 v0, v60, v0;

	;;#ASMEND
	;;#ASMSTART
	v_pk_mul_f16 v1, v59, v1;

	;;#ASMEND
	;; [unrolled: 4-line block ×4, first 2 shown]
	;;#ASMSTART
	v_pk_add_f16 v0, v0, v1;

	;;#ASMEND
	;;#ASMSTART
	v_pk_add_f16 v0, v0, v2;

	;;#ASMEND
	;; [unrolled: 4-line block ×3, first 2 shown]
	v_and_b32_e32 v1, 0xffff, v0
	v_lshrrev_b32_e32 v0, 16, v0
	;;#ASMSTART
	v_cvt_f32_f16 v107, v1;
	;;#ASMEND
	;;#ASMSTART
	v_cvt_f32_f16 v108, v0;
	;;#ASMEND
	global_load_b128 v[0:3], v[42:43], off offset:11776
	s_wait_loadcnt 0x0
	v_dual_lshrrev_b32 v45, 16, v1 :: v_dual_lshrrev_b32 v44, 16, v0
	v_lshrrev_b32_e32 v58, 16, v2
	s_and_saveexec_b32 s16, vcc_lo
	s_cbranch_execz .LBB107_84
; %bb.83:                               ;   in Loop: Header=BB107_36 Depth=1
	v_cmp_gt_i32_e64 s0, s23, v50
	v_and_b32_e32 v109, 0xffff, v3
	v_and_b32_e32 v3, 0xffff0000, v3
	s_delay_alu instid0(VALU_DEP_3) | instskip(SKIP_1) | instid1(VALU_DEP_1)
	v_cndmask_b32_e64 v0, 0, v0, s0
	v_cmp_gt_i32_e64 s0, s23, v56
	v_cndmask_b32_e64 v1, 0, v1, s0
	v_cmp_gt_i32_e64 s0, s15, v57
	s_delay_alu instid0(VALU_DEP_1) | instskip(SKIP_1) | instid1(VALU_DEP_1)
	v_cndmask_b32_e64 v45, 0, v45, s0
	v_cmp_gt_i32_e64 s0, s23, v55
	v_cndmask_b32_e64 v44, 0, v44, s0
	v_cmp_gt_i32_e64 s0, s23, v54
	s_delay_alu instid0(VALU_DEP_1) | instskip(SKIP_1) | instid1(VALU_DEP_1)
	;; [unrolled: 5-line block ×3, first 2 shown]
	v_dual_cndmask_b32 v2, 0, v2, s0 :: v_dual_bitop2_b32 v3, v109, v3 bitop3:0x54
	v_cmp_gt_i32_e64 s0, s23, v51
	v_cndmask_b32_e64 v58, 0, v58, s0
.LBB107_84:                             ;   in Loop: Header=BB107_36 Depth=1
	s_or_b32 exec_lo, exec_lo, s16
	v_dual_lshlrev_b32 v44, 16, v44 :: v_dual_lshlrev_b32 v45, 16, v45
	s_delay_alu instid0(VALU_DEP_2) | instskip(NEXT) | instid1(VALU_DEP_2)
	v_lshlrev_b32_e32 v58, 16, v58
	v_and_or_b32 v0, 0xffff, v0, v44
	s_delay_alu instid0(VALU_DEP_3) | instskip(NEXT) | instid1(VALU_DEP_3)
	v_and_or_b32 v1, 0xffff, v1, v45
	v_and_or_b32 v2, 0xffff, v2, v58
	;;#ASMSTART
	v_pk_mul_f16 v0, v60, v0;

	;;#ASMEND
	;;#ASMSTART
	v_pk_mul_f16 v1, v59, v1;

	;;#ASMEND
	;; [unrolled: 4-line block ×4, first 2 shown]
	;;#ASMSTART
	v_pk_add_f16 v0, v0, v1;

	;;#ASMEND
	;;#ASMSTART
	v_pk_add_f16 v0, v0, v2;

	;;#ASMEND
	;; [unrolled: 4-line block ×3, first 2 shown]
	v_and_b32_e32 v1, 0xffff, v0
	v_lshrrev_b32_e32 v0, 16, v0
	;;#ASMSTART
	v_cvt_f32_f16 v109, v1;
	;;#ASMEND
	;;#ASMSTART
	v_cvt_f32_f16 v110, v0;
	;;#ASMEND
	global_load_b128 v[0:3], v[42:43], off offset:12288
	s_wait_loadcnt 0x0
	v_dual_lshrrev_b32 v45, 16, v1 :: v_dual_lshrrev_b32 v44, 16, v0
	v_lshrrev_b32_e32 v58, 16, v2
	s_and_saveexec_b32 s16, vcc_lo
	s_cbranch_execz .LBB107_86
; %bb.85:                               ;   in Loop: Header=BB107_36 Depth=1
	v_cmp_gt_i32_e64 s0, s23, v50
	v_and_b32_e32 v111, 0xffff, v3
	v_and_b32_e32 v3, 0xffff0000, v3
	s_delay_alu instid0(VALU_DEP_3) | instskip(SKIP_1) | instid1(VALU_DEP_1)
	v_cndmask_b32_e64 v0, 0, v0, s0
	v_cmp_gt_i32_e64 s0, s23, v56
	v_cndmask_b32_e64 v1, 0, v1, s0
	v_cmp_gt_i32_e64 s0, s15, v57
	s_delay_alu instid0(VALU_DEP_1) | instskip(SKIP_1) | instid1(VALU_DEP_1)
	v_cndmask_b32_e64 v45, 0, v45, s0
	v_cmp_gt_i32_e64 s0, s23, v55
	v_cndmask_b32_e64 v44, 0, v44, s0
	v_cmp_gt_i32_e64 s0, s23, v54
	s_delay_alu instid0(VALU_DEP_1) | instskip(SKIP_1) | instid1(VALU_DEP_1)
	;; [unrolled: 5-line block ×3, first 2 shown]
	v_cndmask_b32_e64 v2, 0, v2, s0
	v_cmp_gt_i32_e64 s0, s23, v51
	v_dual_cndmask_b32 v58, 0, v58, s0 :: v_dual_bitop2_b32 v3, v111, v3 bitop3:0x54
.LBB107_86:                             ;   in Loop: Header=BB107_36 Depth=1
	s_or_b32 exec_lo, exec_lo, s16
	v_dual_lshlrev_b32 v44, 16, v44 :: v_dual_lshlrev_b32 v45, 16, v45
	s_delay_alu instid0(VALU_DEP_2) | instskip(NEXT) | instid1(VALU_DEP_2)
	v_lshlrev_b32_e32 v58, 16, v58
	v_and_or_b32 v0, 0xffff, v0, v44
	s_delay_alu instid0(VALU_DEP_3) | instskip(NEXT) | instid1(VALU_DEP_3)
	v_and_or_b32 v1, 0xffff, v1, v45
	v_and_or_b32 v2, 0xffff, v2, v58
	;;#ASMSTART
	v_pk_mul_f16 v0, v60, v0;

	;;#ASMEND
	;;#ASMSTART
	v_pk_mul_f16 v1, v59, v1;

	;;#ASMEND
	;;#ASMSTART
	v_pk_mul_f16 v2, v61, v2;

	;;#ASMEND
	;;#ASMSTART
	v_pk_mul_f16 v3, v62, v3;

	;;#ASMEND
	;;#ASMSTART
	v_pk_add_f16 v0, v0, v1;

	;;#ASMEND
	;;#ASMSTART
	v_pk_add_f16 v0, v0, v2;

	;;#ASMEND
	;; [unrolled: 4-line block ×3, first 2 shown]
	v_and_b32_e32 v1, 0xffff, v0
	v_lshrrev_b32_e32 v0, 16, v0
	;;#ASMSTART
	v_cvt_f32_f16 v111, v1;
	;;#ASMEND
	;;#ASMSTART
	v_cvt_f32_f16 v112, v0;
	;;#ASMEND
	global_load_b128 v[0:3], v[42:43], off offset:12800
	s_wait_loadcnt 0x0
	v_dual_lshrrev_b32 v45, 16, v1 :: v_dual_lshrrev_b32 v44, 16, v0
	v_lshrrev_b32_e32 v58, 16, v2
	s_and_saveexec_b32 s16, vcc_lo
	s_cbranch_execz .LBB107_88
; %bb.87:                               ;   in Loop: Header=BB107_36 Depth=1
	v_cmp_gt_i32_e64 s0, s23, v50
	v_and_b32_e32 v113, 0xffff, v3
	v_and_b32_e32 v3, 0xffff0000, v3
	s_delay_alu instid0(VALU_DEP_3) | instskip(SKIP_1) | instid1(VALU_DEP_1)
	v_cndmask_b32_e64 v0, 0, v0, s0
	v_cmp_gt_i32_e64 s0, s23, v56
	v_cndmask_b32_e64 v1, 0, v1, s0
	v_cmp_gt_i32_e64 s0, s15, v57
	s_delay_alu instid0(VALU_DEP_1) | instskip(SKIP_1) | instid1(VALU_DEP_1)
	v_cndmask_b32_e64 v45, 0, v45, s0
	v_cmp_gt_i32_e64 s0, s23, v55
	v_cndmask_b32_e64 v44, 0, v44, s0
	v_cmp_gt_i32_e64 s0, s23, v54
	s_delay_alu instid0(VALU_DEP_1) | instskip(SKIP_1) | instid1(VALU_DEP_1)
	v_cndmask_b32_e64 v113, 0, v113, s0
	v_cmp_gt_i32_e64 s0, s23, v53
	v_cndmask_b32_e64 v3, 0, v3, s0
	v_cmp_gt_i32_e64 s0, s23, v52
	s_delay_alu instid0(VALU_DEP_1) | instskip(SKIP_1) | instid1(VALU_DEP_1)
	v_dual_cndmask_b32 v2, 0, v2, s0 :: v_dual_bitop2_b32 v3, v113, v3 bitop3:0x54
	v_cmp_gt_i32_e64 s0, s23, v51
	v_cndmask_b32_e64 v58, 0, v58, s0
.LBB107_88:                             ;   in Loop: Header=BB107_36 Depth=1
	s_or_b32 exec_lo, exec_lo, s16
	v_dual_lshlrev_b32 v44, 16, v44 :: v_dual_lshlrev_b32 v45, 16, v45
	s_delay_alu instid0(VALU_DEP_2) | instskip(NEXT) | instid1(VALU_DEP_2)
	v_lshlrev_b32_e32 v58, 16, v58
	v_and_or_b32 v0, 0xffff, v0, v44
	s_delay_alu instid0(VALU_DEP_3) | instskip(NEXT) | instid1(VALU_DEP_3)
	v_and_or_b32 v1, 0xffff, v1, v45
	v_and_or_b32 v2, 0xffff, v2, v58
	;;#ASMSTART
	v_pk_mul_f16 v0, v60, v0;

	;;#ASMEND
	;;#ASMSTART
	v_pk_mul_f16 v1, v59, v1;

	;;#ASMEND
	;; [unrolled: 4-line block ×4, first 2 shown]
	;;#ASMSTART
	v_pk_add_f16 v0, v0, v1;

	;;#ASMEND
	;;#ASMSTART
	v_pk_add_f16 v0, v0, v2;

	;;#ASMEND
	;; [unrolled: 4-line block ×3, first 2 shown]
	v_and_b32_e32 v1, 0xffff, v0
	v_lshrrev_b32_e32 v0, 16, v0
	;;#ASMSTART
	v_cvt_f32_f16 v113, v1;
	;;#ASMEND
	;;#ASMSTART
	v_cvt_f32_f16 v114, v0;
	;;#ASMEND
	global_load_b128 v[0:3], v[42:43], off offset:13312
	s_wait_loadcnt 0x0
	v_dual_lshrrev_b32 v45, 16, v1 :: v_dual_lshrrev_b32 v44, 16, v0
	v_lshrrev_b32_e32 v58, 16, v2
	s_and_saveexec_b32 s16, vcc_lo
	s_cbranch_execz .LBB107_90
; %bb.89:                               ;   in Loop: Header=BB107_36 Depth=1
	v_cmp_gt_i32_e64 s0, s23, v50
	v_and_b32_e32 v115, 0xffff, v3
	v_and_b32_e32 v3, 0xffff0000, v3
	s_delay_alu instid0(VALU_DEP_3) | instskip(SKIP_1) | instid1(VALU_DEP_1)
	v_cndmask_b32_e64 v0, 0, v0, s0
	v_cmp_gt_i32_e64 s0, s23, v56
	v_cndmask_b32_e64 v1, 0, v1, s0
	v_cmp_gt_i32_e64 s0, s15, v57
	s_delay_alu instid0(VALU_DEP_1) | instskip(SKIP_1) | instid1(VALU_DEP_1)
	v_cndmask_b32_e64 v45, 0, v45, s0
	v_cmp_gt_i32_e64 s0, s23, v55
	v_cndmask_b32_e64 v44, 0, v44, s0
	v_cmp_gt_i32_e64 s0, s23, v54
	s_delay_alu instid0(VALU_DEP_1) | instskip(SKIP_1) | instid1(VALU_DEP_1)
	;; [unrolled: 5-line block ×3, first 2 shown]
	v_cndmask_b32_e64 v2, 0, v2, s0
	v_cmp_gt_i32_e64 s0, s23, v51
	v_dual_cndmask_b32 v58, 0, v58, s0 :: v_dual_bitop2_b32 v3, v115, v3 bitop3:0x54
.LBB107_90:                             ;   in Loop: Header=BB107_36 Depth=1
	s_or_b32 exec_lo, exec_lo, s16
	v_dual_lshlrev_b32 v44, 16, v44 :: v_dual_lshlrev_b32 v45, 16, v45
	s_delay_alu instid0(VALU_DEP_2) | instskip(NEXT) | instid1(VALU_DEP_2)
	v_lshlrev_b32_e32 v58, 16, v58
	v_and_or_b32 v0, 0xffff, v0, v44
	s_delay_alu instid0(VALU_DEP_3) | instskip(NEXT) | instid1(VALU_DEP_3)
	v_and_or_b32 v1, 0xffff, v1, v45
	v_and_or_b32 v2, 0xffff, v2, v58
	;;#ASMSTART
	v_pk_mul_f16 v0, v60, v0;

	;;#ASMEND
	;;#ASMSTART
	v_pk_mul_f16 v1, v59, v1;

	;;#ASMEND
	;;#ASMSTART
	v_pk_mul_f16 v2, v61, v2;

	;;#ASMEND
	;;#ASMSTART
	v_pk_mul_f16 v3, v62, v3;

	;;#ASMEND
	;;#ASMSTART
	v_pk_add_f16 v0, v0, v1;

	;;#ASMEND
	;;#ASMSTART
	v_pk_add_f16 v0, v0, v2;

	;;#ASMEND
	;; [unrolled: 4-line block ×3, first 2 shown]
	v_and_b32_e32 v1, 0xffff, v0
	v_lshrrev_b32_e32 v0, 16, v0
	;;#ASMSTART
	v_cvt_f32_f16 v115, v1;
	;;#ASMEND
	;;#ASMSTART
	v_cvt_f32_f16 v116, v0;
	;;#ASMEND
	global_load_b128 v[0:3], v[42:43], off offset:13824
	s_wait_loadcnt 0x0
	v_dual_lshrrev_b32 v45, 16, v1 :: v_dual_lshrrev_b32 v44, 16, v0
	v_lshrrev_b32_e32 v58, 16, v2
	s_and_saveexec_b32 s16, vcc_lo
	s_cbranch_execz .LBB107_92
; %bb.91:                               ;   in Loop: Header=BB107_36 Depth=1
	v_cmp_gt_i32_e64 s0, s23, v50
	v_and_b32_e32 v117, 0xffff, v3
	v_and_b32_e32 v3, 0xffff0000, v3
	s_delay_alu instid0(VALU_DEP_3) | instskip(SKIP_1) | instid1(VALU_DEP_1)
	v_cndmask_b32_e64 v0, 0, v0, s0
	v_cmp_gt_i32_e64 s0, s23, v56
	v_cndmask_b32_e64 v1, 0, v1, s0
	v_cmp_gt_i32_e64 s0, s15, v57
	s_delay_alu instid0(VALU_DEP_1) | instskip(SKIP_1) | instid1(VALU_DEP_1)
	v_cndmask_b32_e64 v45, 0, v45, s0
	v_cmp_gt_i32_e64 s0, s23, v55
	v_cndmask_b32_e64 v44, 0, v44, s0
	v_cmp_gt_i32_e64 s0, s23, v54
	s_delay_alu instid0(VALU_DEP_1) | instskip(SKIP_1) | instid1(VALU_DEP_1)
	;; [unrolled: 5-line block ×3, first 2 shown]
	v_dual_cndmask_b32 v2, 0, v2, s0 :: v_dual_bitop2_b32 v3, v117, v3 bitop3:0x54
	v_cmp_gt_i32_e64 s0, s23, v51
	v_cndmask_b32_e64 v58, 0, v58, s0
.LBB107_92:                             ;   in Loop: Header=BB107_36 Depth=1
	s_or_b32 exec_lo, exec_lo, s16
	v_dual_lshlrev_b32 v44, 16, v44 :: v_dual_lshlrev_b32 v45, 16, v45
	s_delay_alu instid0(VALU_DEP_2) | instskip(NEXT) | instid1(VALU_DEP_2)
	v_lshlrev_b32_e32 v58, 16, v58
	v_and_or_b32 v0, 0xffff, v0, v44
	s_delay_alu instid0(VALU_DEP_3) | instskip(NEXT) | instid1(VALU_DEP_3)
	v_and_or_b32 v1, 0xffff, v1, v45
	v_and_or_b32 v2, 0xffff, v2, v58
	;;#ASMSTART
	v_pk_mul_f16 v0, v60, v0;

	;;#ASMEND
	;;#ASMSTART
	v_pk_mul_f16 v1, v59, v1;

	;;#ASMEND
	;;#ASMSTART
	v_pk_mul_f16 v2, v61, v2;

	;;#ASMEND
	;;#ASMSTART
	v_pk_mul_f16 v3, v62, v3;

	;;#ASMEND
	;;#ASMSTART
	v_pk_add_f16 v0, v0, v1;

	;;#ASMEND
	;;#ASMSTART
	v_pk_add_f16 v0, v0, v2;

	;;#ASMEND
	;; [unrolled: 4-line block ×3, first 2 shown]
	v_and_b32_e32 v1, 0xffff, v0
	v_lshrrev_b32_e32 v0, 16, v0
	;;#ASMSTART
	v_cvt_f32_f16 v117, v1;
	;;#ASMEND
	;;#ASMSTART
	v_cvt_f32_f16 v118, v0;
	;;#ASMEND
	global_load_b128 v[0:3], v[42:43], off offset:14336
	s_wait_loadcnt 0x0
	v_dual_lshrrev_b32 v45, 16, v1 :: v_dual_lshrrev_b32 v44, 16, v0
	v_lshrrev_b32_e32 v58, 16, v2
	s_and_saveexec_b32 s16, vcc_lo
	s_cbranch_execz .LBB107_94
; %bb.93:                               ;   in Loop: Header=BB107_36 Depth=1
	v_cmp_gt_i32_e64 s0, s23, v50
	v_and_b32_e32 v119, 0xffff, v3
	v_and_b32_e32 v3, 0xffff0000, v3
	s_delay_alu instid0(VALU_DEP_3) | instskip(SKIP_1) | instid1(VALU_DEP_1)
	v_cndmask_b32_e64 v0, 0, v0, s0
	v_cmp_gt_i32_e64 s0, s23, v56
	v_cndmask_b32_e64 v1, 0, v1, s0
	v_cmp_gt_i32_e64 s0, s15, v57
	s_delay_alu instid0(VALU_DEP_1) | instskip(SKIP_1) | instid1(VALU_DEP_1)
	v_cndmask_b32_e64 v45, 0, v45, s0
	v_cmp_gt_i32_e64 s0, s23, v55
	v_cndmask_b32_e64 v44, 0, v44, s0
	v_cmp_gt_i32_e64 s0, s23, v54
	s_delay_alu instid0(VALU_DEP_1) | instskip(SKIP_1) | instid1(VALU_DEP_1)
	;; [unrolled: 5-line block ×3, first 2 shown]
	v_cndmask_b32_e64 v2, 0, v2, s0
	v_cmp_gt_i32_e64 s0, s23, v51
	v_dual_cndmask_b32 v58, 0, v58, s0 :: v_dual_bitop2_b32 v3, v119, v3 bitop3:0x54
.LBB107_94:                             ;   in Loop: Header=BB107_36 Depth=1
	s_or_b32 exec_lo, exec_lo, s16
	v_dual_lshlrev_b32 v44, 16, v44 :: v_dual_lshlrev_b32 v45, 16, v45
	s_delay_alu instid0(VALU_DEP_2) | instskip(NEXT) | instid1(VALU_DEP_2)
	v_lshlrev_b32_e32 v58, 16, v58
	v_and_or_b32 v0, 0xffff, v0, v44
	s_delay_alu instid0(VALU_DEP_3) | instskip(NEXT) | instid1(VALU_DEP_3)
	v_and_or_b32 v1, 0xffff, v1, v45
	v_and_or_b32 v2, 0xffff, v2, v58
	;;#ASMSTART
	v_pk_mul_f16 v0, v60, v0;

	;;#ASMEND
	;;#ASMSTART
	v_pk_mul_f16 v1, v59, v1;

	;;#ASMEND
	;; [unrolled: 4-line block ×4, first 2 shown]
	;;#ASMSTART
	v_pk_add_f16 v0, v0, v1;

	;;#ASMEND
	;;#ASMSTART
	v_pk_add_f16 v0, v0, v2;

	;;#ASMEND
	;; [unrolled: 4-line block ×3, first 2 shown]
	v_and_b32_e32 v1, 0xffff, v0
	v_lshrrev_b32_e32 v0, 16, v0
	;;#ASMSTART
	v_cvt_f32_f16 v119, v1;
	;;#ASMEND
	;;#ASMSTART
	v_cvt_f32_f16 v120, v0;
	;;#ASMEND
	global_load_b128 v[0:3], v[42:43], off offset:14848
	s_wait_loadcnt 0x0
	v_dual_lshrrev_b32 v45, 16, v1 :: v_dual_lshrrev_b32 v44, 16, v0
	v_lshrrev_b32_e32 v58, 16, v2
	s_and_saveexec_b32 s16, vcc_lo
	s_cbranch_execz .LBB107_96
; %bb.95:                               ;   in Loop: Header=BB107_36 Depth=1
	v_cmp_gt_i32_e64 s0, s23, v50
	v_and_b32_e32 v121, 0xffff, v3
	v_and_b32_e32 v3, 0xffff0000, v3
	s_delay_alu instid0(VALU_DEP_3) | instskip(SKIP_1) | instid1(VALU_DEP_1)
	v_cndmask_b32_e64 v0, 0, v0, s0
	v_cmp_gt_i32_e64 s0, s23, v56
	v_cndmask_b32_e64 v1, 0, v1, s0
	v_cmp_gt_i32_e64 s0, s15, v57
	s_delay_alu instid0(VALU_DEP_1) | instskip(SKIP_1) | instid1(VALU_DEP_1)
	v_cndmask_b32_e64 v45, 0, v45, s0
	v_cmp_gt_i32_e64 s0, s23, v55
	v_cndmask_b32_e64 v44, 0, v44, s0
	v_cmp_gt_i32_e64 s0, s23, v54
	s_delay_alu instid0(VALU_DEP_1) | instskip(SKIP_1) | instid1(VALU_DEP_1)
	;; [unrolled: 5-line block ×3, first 2 shown]
	v_dual_cndmask_b32 v2, 0, v2, s0 :: v_dual_bitop2_b32 v3, v121, v3 bitop3:0x54
	v_cmp_gt_i32_e64 s0, s23, v51
	v_cndmask_b32_e64 v58, 0, v58, s0
.LBB107_96:                             ;   in Loop: Header=BB107_36 Depth=1
	s_or_b32 exec_lo, exec_lo, s16
	v_dual_lshlrev_b32 v44, 16, v44 :: v_dual_lshlrev_b32 v45, 16, v45
	s_delay_alu instid0(VALU_DEP_2) | instskip(NEXT) | instid1(VALU_DEP_2)
	v_lshlrev_b32_e32 v58, 16, v58
	v_and_or_b32 v0, 0xffff, v0, v44
	s_delay_alu instid0(VALU_DEP_3) | instskip(NEXT) | instid1(VALU_DEP_3)
	v_and_or_b32 v1, 0xffff, v1, v45
	v_and_or_b32 v2, 0xffff, v2, v58
	;;#ASMSTART
	v_pk_mul_f16 v0, v60, v0;

	;;#ASMEND
	;;#ASMSTART
	v_pk_mul_f16 v1, v59, v1;

	;;#ASMEND
	;; [unrolled: 4-line block ×4, first 2 shown]
	;;#ASMSTART
	v_pk_add_f16 v0, v0, v1;

	;;#ASMEND
	;;#ASMSTART
	v_pk_add_f16 v0, v0, v2;

	;;#ASMEND
	;; [unrolled: 4-line block ×3, first 2 shown]
	v_and_b32_e32 v1, 0xffff, v0
	v_lshrrev_b32_e32 v0, 16, v0
	;;#ASMSTART
	v_cvt_f32_f16 v45, v1;
	;;#ASMEND
	;;#ASMSTART
	v_cvt_f32_f16 v58, v0;
	;;#ASMEND
	global_load_b128 v[0:3], v[42:43], off offset:15360
	s_wait_loadcnt 0x0
	v_dual_lshrrev_b32 v43, 16, v1 :: v_dual_lshrrev_b32 v42, 16, v0
	v_lshrrev_b32_e32 v44, 16, v2
	s_and_saveexec_b32 s16, vcc_lo
	s_cbranch_execz .LBB107_98
; %bb.97:                               ;   in Loop: Header=BB107_36 Depth=1
	v_cmp_gt_i32_e64 s0, s23, v50
	v_and_b32_e32 v121, 0xffff, v3
	v_and_b32_e32 v3, 0xffff0000, v3
	s_delay_alu instid0(VALU_DEP_3) | instskip(SKIP_1) | instid1(VALU_DEP_1)
	v_cndmask_b32_e64 v0, 0, v0, s0
	v_cmp_gt_i32_e64 s0, s23, v56
	v_cndmask_b32_e64 v1, 0, v1, s0
	v_cmp_gt_i32_e64 s0, s15, v57
	s_delay_alu instid0(VALU_DEP_1) | instskip(SKIP_1) | instid1(VALU_DEP_1)
	v_cndmask_b32_e64 v43, 0, v43, s0
	v_cmp_gt_i32_e64 s0, s23, v55
	v_cndmask_b32_e64 v42, 0, v42, s0
	v_cmp_gt_i32_e64 s0, s23, v54
	s_delay_alu instid0(VALU_DEP_1) | instskip(SKIP_1) | instid1(VALU_DEP_1)
	;; [unrolled: 5-line block ×3, first 2 shown]
	v_dual_cndmask_b32 v2, 0, v2, s0 :: v_dual_bitop2_b32 v3, v121, v3 bitop3:0x54
	v_cmp_gt_i32_e64 s0, s23, v51
	v_cndmask_b32_e64 v44, 0, v44, s0
.LBB107_98:                             ;   in Loop: Header=BB107_36 Depth=1
	s_or_b32 exec_lo, exec_lo, s16
	v_dual_lshlrev_b32 v42, 16, v42 :: v_dual_lshlrev_b32 v43, 16, v43
	s_delay_alu instid0(VALU_DEP_2) | instskip(NEXT) | instid1(VALU_DEP_2)
	v_lshlrev_b32_e32 v44, 16, v44
	v_and_or_b32 v42, 0xffff, v0, v42
	s_delay_alu instid0(VALU_DEP_3) | instskip(SKIP_1) | instid1(VALU_DEP_4)
	v_and_or_b32 v43, 0xffff, v1, v43
	v_add_nc_u64_e32 v[0:1], v[40:41], v[36:37]
	v_and_or_b32 v2, 0xffff, v2, v44
	;;#ASMSTART
	v_pk_mul_f16 v40, v60, v42;

	;;#ASMEND
	;;#ASMSTART
	v_pk_mul_f16 v41, v59, v43;

	;;#ASMEND
	;; [unrolled: 4-line block ×4, first 2 shown]
	;;#ASMSTART
	v_pk_add_f16 v40, v40, v41;

	;;#ASMEND
	;;#ASMSTART
	v_pk_add_f16 v2, v40, v2;

	;;#ASMEND
	;; [unrolled: 4-line block ×3, first 2 shown]
	v_and_b32_e32 v3, 0xffff, v2
	v_lshrrev_b32_e32 v2, 16, v2
	;;#ASMSTART
	v_cvt_f32_f16 v43, v3;
	;;#ASMEND
	;;#ASMSTART
	v_cvt_f32_f16 v44, v2;
	;;#ASMEND
	global_load_b128 v[0:3], v[0:1], off
	s_wait_loadcnt 0x0
	v_dual_lshrrev_b32 v41, 16, v1 :: v_dual_lshrrev_b32 v40, 16, v0
	v_lshrrev_b32_e32 v42, 16, v2
	s_and_saveexec_b32 s0, vcc_lo
	s_cbranch_execz .LBB107_35
; %bb.99:                               ;   in Loop: Header=BB107_36 Depth=1
	v_cmp_gt_i32_e32 vcc_lo, s23, v50
	v_and_b32_e32 v50, 0xffff, v3
	v_and_b32_e32 v3, 0xffff0000, v3
	v_cndmask_b32_e32 v0, 0, v0, vcc_lo
	v_cmp_gt_i32_e32 vcc_lo, s23, v56
	v_cndmask_b32_e32 v1, 0, v1, vcc_lo
	v_cmp_gt_i32_e32 vcc_lo, s15, v57
	;; [unrolled: 2-line block ×6, first 2 shown]
	s_delay_alu instid0(VALU_DEP_2)
	v_dual_cndmask_b32 v2, 0, v2, vcc_lo :: v_dual_bitop2_b32 v3, v50, v3 bitop3:0x54
	v_cmp_gt_i32_e32 vcc_lo, s23, v51
	v_cndmask_b32_e32 v42, 0, v42, vcc_lo
	s_branch .LBB107_35
.LBB107_100:
	s_or_b32 exec_lo, exec_lo, s14
.LBB107_101:
	s_delay_alu instid0(SALU_CYCLE_1)
	s_or_b32 exec_lo, exec_lo, s1
	ds_bpermute_b32 v0, v47, v34
	ds_bpermute_b32 v1, v47, v35
	;; [unrolled: 1-line block ×20, first 2 shown]
	s_mov_b32 s0, exec_lo
	s_wait_dscnt 0x12
	v_pk_add_f32 v[34:35], v[34:35], v[0:1]
	s_wait_dscnt 0x0
	v_pk_add_f32 v[0:1], v[28:29], v[38:39]
	ds_bpermute_b32 v28, v47, v16
	ds_bpermute_b32 v29, v47, v17
	v_pk_add_f32 v[36:37], v[30:31], v[36:37]
	v_pk_add_f32 v[42:43], v[24:25], v[42:43]
	ds_bpermute_b32 v24, v47, v18
	ds_bpermute_b32 v25, v47, v19
	v_pk_add_f32 v[44:45], v[22:23], v[44:45]
	ds_bpermute_b32 v22, v47, v14
	ds_bpermute_b32 v23, v47, v15
	;; [unrolled: 1-line block ×4, first 2 shown]
	v_pk_add_f32 v[48:49], v[20:21], v[48:49]
	ds_bpermute_b32 v20, v47, v10
	ds_bpermute_b32 v21, v47, v11
	v_pk_add_f32 v[32:33], v[32:33], v[2:3]
	v_pk_add_f32 v[2:3], v[26:27], v[40:41]
	ds_bpermute_b32 v26, v46, v34
	ds_bpermute_b32 v27, v46, v35
	v_pk_add_f32 v[58:59], v[8:9], v[58:59]
	ds_bpermute_b32 v38, v46, v32
	ds_bpermute_b32 v39, v46, v33
	s_wait_dscnt 0xc
	v_pk_add_f32 v[66:67], v[16:17], v[28:29]
	ds_bpermute_b32 v16, v47, v4
	ds_bpermute_b32 v17, v47, v5
	v_pk_add_f32 v[60:61], v[6:7], v[60:61]
	s_wait_dscnt 0xc
	v_pk_add_f32 v[64:65], v[18:19], v[24:25]
	ds_bpermute_b32 v40, v46, v36
	ds_bpermute_b32 v41, v46, v37
	s_wait_dscnt 0xc
	v_pk_add_f32 v[70:71], v[14:15], v[22:23]
	ds_bpermute_b32 v50, v46, v0
	s_wait_dscnt 0xb
	v_pk_add_f32 v[74:75], v[12:13], v[30:31]
	ds_bpermute_b32 v51, v46, v1
	ds_bpermute_b32 v52, v46, v2
	s_wait_dscnt 0xb
	v_pk_add_f32 v[78:79], v[10:11], v[20:21]
	ds_bpermute_b32 v53, v46, v3
	ds_bpermute_b32 v54, v46, v42
	;; [unrolled: 1-line block ×21, first 2 shown]
	s_wait_dscnt 0x1a
	v_pk_add_f32 v[30:31], v[4:5], v[16:17]
	v_pk_add_f32 v[28:29], v[34:35], v[26:27]
	;; [unrolled: 1-line block ×3, first 2 shown]
	s_wait_dscnt 0x18
	v_pk_add_f32 v[24:25], v[36:37], v[40:41]
	s_wait_dscnt 0x16
	v_pk_add_f32 v[22:23], v[0:1], v[50:51]
	ds_bpermute_b32 v32, v46, v30
	ds_bpermute_b32 v33, v46, v31
	s_wait_dscnt 0x16
	v_pk_add_f32 v[20:21], v[2:3], v[52:53]
	s_wait_dscnt 0x14
	v_pk_add_f32 v[18:19], v[42:43], v[54:55]
	;; [unrolled: 2-line block ×8, first 2 shown]
	v_and_b32_e32 v35, 0x3c3, v122
	s_wait_dscnt 0x6
	v_pk_add_f32 v[6:7], v[78:79], v[6:7]
	s_wait_dscnt 0x4
	v_pk_add_f32 v[2:3], v[58:59], v[82:83]
	v_and_b32_e32 v34, 28, v124
	s_wait_dscnt 0x2
	v_pk_add_f32 v[0:1], v[60:61], v[84:85]
	s_barrier_signal -1
	s_barrier_wait -1
	s_wait_dscnt 0x0
	v_cmpx_ne_u32_e32 64, v35
	s_xor_b32 s0, exec_lo, s0
	s_delay_alu instid0(SALU_CYCLE_1)
	s_or_saveexec_b32 s0, s0
	v_pk_add_f32 v[30:31], v[30:31], v[32:33]
	v_lshrrev_b32_e32 v32, 2, v124
	v_add_nc_u32_e32 v33, 0x220, v34
	v_lshlrev_b32_e32 v34, 10, v123
	s_xor_b32 exec_lo, exec_lo, s0
	s_cbranch_execz .LBB107_103
; %bb.102:
	s_delay_alu instid0(VALU_DEP_1) | instskip(NEXT) | instid1(VALU_DEP_1)
	v_add_nc_u32_e32 v35, v33, v34
	v_add_nc_u32_e32 v36, 0xfffff800, v35
	;; [unrolled: 1-line block ×9, first 2 shown]
	ds_store_b32 v36, v28
	ds_store_b32 v37, v29
	ds_store_b32 v38, v26
	ds_store_b32 v39, v27
	ds_store_b32 v40, v24
	ds_store_b32 v41, v25
	ds_store_b32 v42, v22
	ds_store_b32 v43, v23
	v_add_nc_u32_e32 v36, 0xfffff900, v35
	v_add_nc_u32_e32 v37, 0xfffff920, v35
	v_add_nc_u32_e32 v38, 0xfffff940, v35
	v_add_nc_u32_e32 v39, 0xfffff960, v35
	v_add_nc_u32_e32 v40, 0xfffff980, v35
	v_add_nc_u32_e32 v41, 0xfffff9a0, v35
	v_add_nc_u32_e32 v42, 0xfffff9c0, v35
	v_add_nc_u32_e32 v43, 0xfffff9e0, v35
	ds_store_b32 v36, v20
	ds_store_b32 v37, v21
	ds_store_b32 v38, v18
	ds_store_b32 v39, v19
	ds_store_b32 v40, v16
	ds_store_b32 v41, v17
	ds_store_b32 v42, v14
	ds_store_b32 v43, v15
	v_add_nc_u32_e32 v36, 0xfffffa00, v35
	v_add_nc_u32_e32 v37, 0xfffffa20, v35
	v_add_nc_u32_e32 v38, 0xfffffa40, v35
	v_add_nc_u32_e32 v39, 0xfffffa60, v35
	v_add_nc_u32_e32 v40, 0xfffffa80, v35
	v_add_nc_u32_e32 v41, 0xfffffaa0, v35
	v_add_nc_u32_e32 v42, 0xfffffac0, v35
	v_add_nc_u32_e32 v43, 0xfffffae0, v35
	;; [unrolled: 16-line block ×3, first 2 shown]
	ds_store_b32 v36, v6
	ds_store_b32 v37, v7
	;; [unrolled: 1-line block ×8, first 2 shown]
.LBB107_103:
	s_or_b32 exec_lo, exec_lo, s0
	v_dual_lshlrev_b32 v32, 2, v32 :: v_dual_bitop2_b32 v35, 3, v122 bitop3:0x40
	s_mov_b32 s1, exec_lo
	s_wait_dscnt 0x0
	s_barrier_signal -1
	s_delay_alu instid0(VALU_DEP_1)
	v_cmp_eq_u32_e32 vcc_lo, 0, v35
	v_add3_u32 v32, 0x220, v34, v32
	s_barrier_wait -1
	v_cmpx_gt_u32_e32 64, v122
	s_cbranch_execz .LBB107_138
; %bb.104:
	s_and_saveexec_b32 s0, vcc_lo
	s_cbranch_execnz .LBB107_178
; %bb.105:
	s_or_b32 exec_lo, exec_lo, s0
	s_and_saveexec_b32 s0, vcc_lo
	s_cbranch_execnz .LBB107_179
.LBB107_106:
	s_or_b32 exec_lo, exec_lo, s0
	s_and_saveexec_b32 s0, vcc_lo
	s_cbranch_execnz .LBB107_180
.LBB107_107:
	s_or_b32 exec_lo, exec_lo, s0
	s_and_saveexec_b32 s0, vcc_lo
	s_cbranch_execnz .LBB107_181
.LBB107_108:
	s_or_b32 exec_lo, exec_lo, s0
	s_and_saveexec_b32 s0, vcc_lo
	s_cbranch_execnz .LBB107_182
.LBB107_109:
	s_or_b32 exec_lo, exec_lo, s0
	s_and_saveexec_b32 s0, vcc_lo
	s_cbranch_execnz .LBB107_183
.LBB107_110:
	s_or_b32 exec_lo, exec_lo, s0
	s_and_saveexec_b32 s0, vcc_lo
	s_cbranch_execnz .LBB107_184
.LBB107_111:
	s_or_b32 exec_lo, exec_lo, s0
	s_and_saveexec_b32 s0, vcc_lo
	s_cbranch_execnz .LBB107_185
.LBB107_112:
	s_or_b32 exec_lo, exec_lo, s0
	s_and_saveexec_b32 s0, vcc_lo
	s_cbranch_execnz .LBB107_186
.LBB107_113:
	s_or_b32 exec_lo, exec_lo, s0
	s_and_saveexec_b32 s0, vcc_lo
	s_cbranch_execnz .LBB107_187
.LBB107_114:
	s_or_b32 exec_lo, exec_lo, s0
	s_and_saveexec_b32 s0, vcc_lo
	s_cbranch_execnz .LBB107_188
.LBB107_115:
	s_or_b32 exec_lo, exec_lo, s0
	s_and_saveexec_b32 s0, vcc_lo
	s_cbranch_execnz .LBB107_189
.LBB107_116:
	s_or_b32 exec_lo, exec_lo, s0
	s_and_saveexec_b32 s0, vcc_lo
	s_cbranch_execnz .LBB107_190
.LBB107_117:
	s_or_b32 exec_lo, exec_lo, s0
	s_and_saveexec_b32 s0, vcc_lo
	s_cbranch_execnz .LBB107_191
.LBB107_118:
	s_or_b32 exec_lo, exec_lo, s0
	s_and_saveexec_b32 s0, vcc_lo
	s_cbranch_execnz .LBB107_192
.LBB107_119:
	s_or_b32 exec_lo, exec_lo, s0
	s_and_saveexec_b32 s0, vcc_lo
	s_cbranch_execnz .LBB107_193
.LBB107_120:
	s_or_b32 exec_lo, exec_lo, s0
	s_and_saveexec_b32 s0, vcc_lo
	s_cbranch_execnz .LBB107_194
.LBB107_121:
	s_or_b32 exec_lo, exec_lo, s0
	s_and_saveexec_b32 s0, vcc_lo
	s_cbranch_execnz .LBB107_195
.LBB107_122:
	s_or_b32 exec_lo, exec_lo, s0
	s_and_saveexec_b32 s0, vcc_lo
	s_cbranch_execnz .LBB107_196
.LBB107_123:
	s_or_b32 exec_lo, exec_lo, s0
	s_and_saveexec_b32 s0, vcc_lo
	s_cbranch_execnz .LBB107_197
.LBB107_124:
	s_or_b32 exec_lo, exec_lo, s0
	s_and_saveexec_b32 s0, vcc_lo
	s_cbranch_execnz .LBB107_198
.LBB107_125:
	s_or_b32 exec_lo, exec_lo, s0
	s_and_saveexec_b32 s0, vcc_lo
	s_cbranch_execnz .LBB107_199
.LBB107_126:
	s_or_b32 exec_lo, exec_lo, s0
	s_and_saveexec_b32 s0, vcc_lo
	s_cbranch_execnz .LBB107_200
.LBB107_127:
	s_or_b32 exec_lo, exec_lo, s0
	s_and_saveexec_b32 s0, vcc_lo
	s_cbranch_execnz .LBB107_201
.LBB107_128:
	s_or_b32 exec_lo, exec_lo, s0
	s_and_saveexec_b32 s0, vcc_lo
	s_cbranch_execnz .LBB107_202
.LBB107_129:
	s_or_b32 exec_lo, exec_lo, s0
	s_and_saveexec_b32 s0, vcc_lo
	s_cbranch_execnz .LBB107_203
.LBB107_130:
	s_or_b32 exec_lo, exec_lo, s0
	s_and_saveexec_b32 s0, vcc_lo
	s_cbranch_execnz .LBB107_204
.LBB107_131:
	s_or_b32 exec_lo, exec_lo, s0
	s_and_saveexec_b32 s0, vcc_lo
	s_cbranch_execnz .LBB107_205
.LBB107_132:
	s_or_b32 exec_lo, exec_lo, s0
	s_and_saveexec_b32 s0, vcc_lo
	s_cbranch_execnz .LBB107_206
.LBB107_133:
	s_or_b32 exec_lo, exec_lo, s0
	s_and_saveexec_b32 s0, vcc_lo
	s_cbranch_execnz .LBB107_207
.LBB107_134:
	s_or_b32 exec_lo, exec_lo, s0
	s_and_saveexec_b32 s0, vcc_lo
	s_cbranch_execnz .LBB107_208
.LBB107_135:
	s_or_b32 exec_lo, exec_lo, s0
	s_and_saveexec_b32 s0, vcc_lo
	s_cbranch_execz .LBB107_137
.LBB107_136:
	ds_load_b32 v34, v32 offset:992
	s_wait_dscnt 0x0
	v_add_f32_e32 v31, v31, v34
.LBB107_137:
	s_or_b32 exec_lo, exec_lo, s0
.LBB107_138:
	s_delay_alu instid0(SALU_CYCLE_1) | instskip(SKIP_4) | instid1(VALU_DEP_1)
	s_or_b32 exec_lo, exec_lo, s1
	v_and_b32_e32 v34, 0x3e3, v122
	s_mov_b32 s1, exec_lo
	s_barrier_signal -1
	s_barrier_wait -1
	v_cmpx_eq_u32_e32 32, v34
	s_cbranch_execz .LBB107_140
; %bb.139:
	ds_store_2addr_b32 v33, v28, v29 offset1:8
	ds_store_2addr_b32 v33, v26, v27 offset0:16 offset1:24
	ds_store_2addr_b32 v33, v24, v25 offset0:32 offset1:40
	;; [unrolled: 1-line block ×15, first 2 shown]
.LBB107_140:
	s_or_b32 exec_lo, exec_lo, s1
	s_wait_dscnt 0x0
	s_barrier_signal -1
	s_barrier_wait -1
	s_and_saveexec_b32 s0, s2
	s_cbranch_execz .LBB107_175
; %bb.141:
	s_and_saveexec_b32 s1, vcc_lo
	s_cbranch_execnz .LBB107_209
; %bb.142:
	s_or_b32 exec_lo, exec_lo, s1
	s_and_saveexec_b32 s1, vcc_lo
	s_cbranch_execnz .LBB107_210
.LBB107_143:
	s_or_b32 exec_lo, exec_lo, s1
	s_and_saveexec_b32 s1, vcc_lo
	s_cbranch_execnz .LBB107_211
.LBB107_144:
	s_or_b32 exec_lo, exec_lo, s1
	s_and_saveexec_b32 s1, vcc_lo
	s_cbranch_execnz .LBB107_212
.LBB107_145:
	s_or_b32 exec_lo, exec_lo, s1
	s_and_saveexec_b32 s1, vcc_lo
	s_cbranch_execnz .LBB107_213
.LBB107_146:
	s_or_b32 exec_lo, exec_lo, s1
	s_and_saveexec_b32 s1, vcc_lo
	s_cbranch_execnz .LBB107_214
.LBB107_147:
	s_or_b32 exec_lo, exec_lo, s1
	s_and_saveexec_b32 s1, vcc_lo
	s_cbranch_execnz .LBB107_215
.LBB107_148:
	s_or_b32 exec_lo, exec_lo, s1
	s_and_saveexec_b32 s1, vcc_lo
	s_cbranch_execnz .LBB107_216
.LBB107_149:
	s_or_b32 exec_lo, exec_lo, s1
	s_and_saveexec_b32 s1, vcc_lo
	s_cbranch_execnz .LBB107_217
.LBB107_150:
	s_or_b32 exec_lo, exec_lo, s1
	s_and_saveexec_b32 s1, vcc_lo
	s_cbranch_execnz .LBB107_218
.LBB107_151:
	s_or_b32 exec_lo, exec_lo, s1
	s_and_saveexec_b32 s1, vcc_lo
	s_cbranch_execnz .LBB107_219
.LBB107_152:
	s_or_b32 exec_lo, exec_lo, s1
	s_and_saveexec_b32 s1, vcc_lo
	s_cbranch_execnz .LBB107_220
.LBB107_153:
	s_or_b32 exec_lo, exec_lo, s1
	s_and_saveexec_b32 s1, vcc_lo
	s_cbranch_execnz .LBB107_221
.LBB107_154:
	s_or_b32 exec_lo, exec_lo, s1
	s_and_saveexec_b32 s1, vcc_lo
	s_cbranch_execnz .LBB107_222
.LBB107_155:
	s_or_b32 exec_lo, exec_lo, s1
	s_and_saveexec_b32 s1, vcc_lo
	s_cbranch_execnz .LBB107_223
.LBB107_156:
	s_or_b32 exec_lo, exec_lo, s1
	s_and_saveexec_b32 s1, vcc_lo
	s_cbranch_execnz .LBB107_224
.LBB107_157:
	s_or_b32 exec_lo, exec_lo, s1
	s_and_saveexec_b32 s1, vcc_lo
	s_cbranch_execnz .LBB107_225
.LBB107_158:
	s_or_b32 exec_lo, exec_lo, s1
	s_and_saveexec_b32 s1, vcc_lo
	s_cbranch_execnz .LBB107_226
.LBB107_159:
	s_or_b32 exec_lo, exec_lo, s1
	s_and_saveexec_b32 s1, vcc_lo
	s_cbranch_execnz .LBB107_227
.LBB107_160:
	s_or_b32 exec_lo, exec_lo, s1
	s_and_saveexec_b32 s1, vcc_lo
	s_cbranch_execnz .LBB107_228
.LBB107_161:
	s_or_b32 exec_lo, exec_lo, s1
	s_and_saveexec_b32 s1, vcc_lo
	s_cbranch_execnz .LBB107_229
.LBB107_162:
	s_or_b32 exec_lo, exec_lo, s1
	s_and_saveexec_b32 s1, vcc_lo
	s_cbranch_execnz .LBB107_230
.LBB107_163:
	s_or_b32 exec_lo, exec_lo, s1
	s_and_saveexec_b32 s1, vcc_lo
	s_cbranch_execnz .LBB107_231
.LBB107_164:
	s_or_b32 exec_lo, exec_lo, s1
	s_and_saveexec_b32 s1, vcc_lo
	s_cbranch_execnz .LBB107_232
.LBB107_165:
	s_or_b32 exec_lo, exec_lo, s1
	s_and_saveexec_b32 s1, vcc_lo
	s_cbranch_execnz .LBB107_233
.LBB107_166:
	s_or_b32 exec_lo, exec_lo, s1
	s_and_saveexec_b32 s1, vcc_lo
	s_cbranch_execnz .LBB107_234
.LBB107_167:
	s_or_b32 exec_lo, exec_lo, s1
	s_and_saveexec_b32 s1, vcc_lo
	s_cbranch_execnz .LBB107_235
.LBB107_168:
	s_or_b32 exec_lo, exec_lo, s1
	s_and_saveexec_b32 s1, vcc_lo
	s_cbranch_execnz .LBB107_236
.LBB107_169:
	s_or_b32 exec_lo, exec_lo, s1
	s_and_saveexec_b32 s1, vcc_lo
	s_cbranch_execnz .LBB107_237
.LBB107_170:
	s_or_b32 exec_lo, exec_lo, s1
	s_and_saveexec_b32 s1, vcc_lo
	s_cbranch_execnz .LBB107_238
.LBB107_171:
	s_or_b32 exec_lo, exec_lo, s1
	s_and_saveexec_b32 s1, vcc_lo
	s_cbranch_execnz .LBB107_239
.LBB107_172:
	s_or_b32 exec_lo, exec_lo, s1
	s_and_saveexec_b32 s1, vcc_lo
	s_cbranch_execz .LBB107_174
.LBB107_173:
	ds_load_b32 v32, v32 offset:992
	s_wait_dscnt 0x0
	v_add_f32_e32 v31, v31, v32
.LBB107_174:
	s_or_b32 exec_lo, exec_lo, s1
.LBB107_175:
	s_delay_alu instid0(SALU_CYCLE_1)
	s_or_b32 exec_lo, exec_lo, s0
	s_mov_b32 s1, 0
	s_barrier_signal -1
	s_barrier_wait -1
	s_mov_b32 s0, exec_lo
	v_cmpx_eq_u32_e32 0, v34
	s_cbranch_execz .LBB107_177
; %bb.176:
	s_mul_i32 s0, s22, s7
	s_mul_i32 s2, s7, s6
	;; [unrolled: 1-line block ×3, first 2 shown]
	s_lshr_b32 s6, ttmp7, 16
	s_lshl_b32 s4, s0, 8
	s_bfe_u32 s0, ttmp6, 0x40014
	s_ashr_i32 s5, s4, 31
	s_add_co_i32 s0, s0, 1
	s_ashr_i32 s3, s2, 31
	s_mul_i32 s0, s6, s0
	s_bfe_u32 s7, ttmp6, 0x40008
	s_lshl_b64 s[4:5], s[4:5], 1
	s_lshl_b64 s[2:3], s[2:3], 1
	s_add_co_i32 s7, s7, s0
	s_cmp_eq_u32 s20, 0
	s_wait_kmcnt 0x0
	s_add_nc_u64 s[4:5], s[10:11], s[4:5]
	s_cselect_b32 s0, s6, s7
	v_lshrrev_b32_e32 v32, 1, v122
	s_add_nc_u64 s[2:3], s[4:5], s[2:3]
	s_lshl_b32 s0, s0, 9
	;;#ASMSTART
	v_cvt_f16_f32 v28, v28;

	;;#ASMEND
	s_add_nc_u64 s[0:1], s[2:3], s[0:1]
	global_store_b16 v32, v28, s[0:1]
	s_wait_xcnt 0x0
	;;#ASMSTART
	v_cvt_f16_f32 v28, v29;

	;;#ASMEND
	global_store_b16 v32, v28, s[0:1] offset:16
	;;#ASMSTART
	v_cvt_f16_f32 v26, v26;

	;;#ASMEND
	global_store_b16 v32, v26, s[0:1] offset:32
	s_wait_xcnt 0x0
	;;#ASMSTART
	v_cvt_f16_f32 v26, v27;

	;;#ASMEND
	global_store_b16 v32, v26, s[0:1] offset:48
	;;#ASMSTART
	v_cvt_f16_f32 v24, v24;

	;;#ASMEND
	global_store_b16 v32, v24, s[0:1] offset:64
	;; [unrolled: 11-line block ×11, first 2 shown]
	s_wait_xcnt 0x0
	;;#ASMSTART
	v_cvt_f16_f32 v4, v5;

	;;#ASMEND
	global_store_b16 v32, v4, s[0:1] offset:368
	s_wait_xcnt 0x0
	;;#ASMSTART
	v_cvt_f16_f32 v4, v6;

	;;#ASMEND
	global_store_b16 v32, v4, s[0:1] offset:384
	s_wait_xcnt 0x0
	;;#ASMSTART
	v_cvt_f16_f32 v4, v7;

	;;#ASMEND
	global_store_b16 v32, v4, s[0:1] offset:400
	;;#ASMSTART
	v_cvt_f16_f32 v2, v2;

	;;#ASMEND
	global_store_b16 v32, v2, s[0:1] offset:416
	s_wait_xcnt 0x0
	;;#ASMSTART
	v_cvt_f16_f32 v2, v3;

	;;#ASMEND
	global_store_b16 v32, v2, s[0:1] offset:432
	;;#ASMSTART
	v_cvt_f16_f32 v0, v0;

	;;#ASMEND
	global_store_b16 v32, v0, s[0:1] offset:448
	s_wait_xcnt 0x0
	;;#ASMSTART
	v_cvt_f16_f32 v0, v1;

	;;#ASMEND
	global_store_b16 v32, v0, s[0:1] offset:464
	s_wait_xcnt 0x0
	;; [unrolled: 6-line block ×3, first 2 shown]
	;;#ASMSTART
	v_cvt_f16_f32 v0, v31;

	;;#ASMEND
	global_store_b16 v32, v0, s[0:1] offset:496
.LBB107_177:
	s_sendmsg sendmsg(MSG_DEALLOC_VGPRS)
	s_endpgm
.LBB107_178:
	ds_load_b32 v34, v32
	s_wait_dscnt 0x0
	v_add_f32_e32 v28, v28, v34
	s_or_b32 exec_lo, exec_lo, s0
	s_and_saveexec_b32 s0, vcc_lo
	s_cbranch_execz .LBB107_106
.LBB107_179:
	ds_load_b32 v34, v32 offset:32
	s_wait_dscnt 0x0
	v_add_f32_e32 v29, v29, v34
	s_or_b32 exec_lo, exec_lo, s0
	s_and_saveexec_b32 s0, vcc_lo
	s_cbranch_execz .LBB107_107
.LBB107_180:
	ds_load_b32 v34, v32 offset:64
	s_wait_dscnt 0x0
	v_add_f32_e32 v26, v26, v34
	s_or_b32 exec_lo, exec_lo, s0
	s_and_saveexec_b32 s0, vcc_lo
	s_cbranch_execz .LBB107_108
.LBB107_181:
	ds_load_b32 v34, v32 offset:96
	s_wait_dscnt 0x0
	v_add_f32_e32 v27, v27, v34
	s_or_b32 exec_lo, exec_lo, s0
	s_and_saveexec_b32 s0, vcc_lo
	s_cbranch_execz .LBB107_109
.LBB107_182:
	ds_load_b32 v34, v32 offset:128
	s_wait_dscnt 0x0
	v_add_f32_e32 v24, v24, v34
	s_or_b32 exec_lo, exec_lo, s0
	s_and_saveexec_b32 s0, vcc_lo
	s_cbranch_execz .LBB107_110
.LBB107_183:
	ds_load_b32 v34, v32 offset:160
	s_wait_dscnt 0x0
	v_add_f32_e32 v25, v25, v34
	s_or_b32 exec_lo, exec_lo, s0
	s_and_saveexec_b32 s0, vcc_lo
	s_cbranch_execz .LBB107_111
.LBB107_184:
	ds_load_b32 v34, v32 offset:192
	s_wait_dscnt 0x0
	v_add_f32_e32 v22, v22, v34
	s_or_b32 exec_lo, exec_lo, s0
	s_and_saveexec_b32 s0, vcc_lo
	s_cbranch_execz .LBB107_112
.LBB107_185:
	ds_load_b32 v34, v32 offset:224
	s_wait_dscnt 0x0
	v_add_f32_e32 v23, v23, v34
	s_or_b32 exec_lo, exec_lo, s0
	s_and_saveexec_b32 s0, vcc_lo
	s_cbranch_execz .LBB107_113
.LBB107_186:
	ds_load_b32 v34, v32 offset:256
	s_wait_dscnt 0x0
	v_add_f32_e32 v20, v20, v34
	s_or_b32 exec_lo, exec_lo, s0
	s_and_saveexec_b32 s0, vcc_lo
	s_cbranch_execz .LBB107_114
.LBB107_187:
	ds_load_b32 v34, v32 offset:288
	s_wait_dscnt 0x0
	v_add_f32_e32 v21, v21, v34
	s_or_b32 exec_lo, exec_lo, s0
	s_and_saveexec_b32 s0, vcc_lo
	s_cbranch_execz .LBB107_115
.LBB107_188:
	ds_load_b32 v34, v32 offset:320
	s_wait_dscnt 0x0
	v_add_f32_e32 v18, v18, v34
	s_or_b32 exec_lo, exec_lo, s0
	s_and_saveexec_b32 s0, vcc_lo
	s_cbranch_execz .LBB107_116
.LBB107_189:
	ds_load_b32 v34, v32 offset:352
	s_wait_dscnt 0x0
	v_add_f32_e32 v19, v19, v34
	s_or_b32 exec_lo, exec_lo, s0
	s_and_saveexec_b32 s0, vcc_lo
	s_cbranch_execz .LBB107_117
.LBB107_190:
	ds_load_b32 v34, v32 offset:384
	s_wait_dscnt 0x0
	v_add_f32_e32 v16, v16, v34
	s_or_b32 exec_lo, exec_lo, s0
	s_and_saveexec_b32 s0, vcc_lo
	s_cbranch_execz .LBB107_118
.LBB107_191:
	ds_load_b32 v34, v32 offset:416
	s_wait_dscnt 0x0
	v_add_f32_e32 v17, v17, v34
	s_or_b32 exec_lo, exec_lo, s0
	s_and_saveexec_b32 s0, vcc_lo
	s_cbranch_execz .LBB107_119
.LBB107_192:
	ds_load_b32 v34, v32 offset:448
	s_wait_dscnt 0x0
	v_add_f32_e32 v14, v14, v34
	s_or_b32 exec_lo, exec_lo, s0
	s_and_saveexec_b32 s0, vcc_lo
	s_cbranch_execz .LBB107_120
.LBB107_193:
	ds_load_b32 v34, v32 offset:480
	s_wait_dscnt 0x0
	v_add_f32_e32 v15, v15, v34
	s_or_b32 exec_lo, exec_lo, s0
	s_and_saveexec_b32 s0, vcc_lo
	s_cbranch_execz .LBB107_121
.LBB107_194:
	ds_load_b32 v34, v32 offset:512
	s_wait_dscnt 0x0
	v_add_f32_e32 v12, v12, v34
	s_or_b32 exec_lo, exec_lo, s0
	s_and_saveexec_b32 s0, vcc_lo
	s_cbranch_execz .LBB107_122
.LBB107_195:
	ds_load_b32 v34, v32 offset:544
	s_wait_dscnt 0x0
	v_add_f32_e32 v13, v13, v34
	s_or_b32 exec_lo, exec_lo, s0
	s_and_saveexec_b32 s0, vcc_lo
	s_cbranch_execz .LBB107_123
.LBB107_196:
	ds_load_b32 v34, v32 offset:576
	s_wait_dscnt 0x0
	v_add_f32_e32 v10, v10, v34
	s_or_b32 exec_lo, exec_lo, s0
	s_and_saveexec_b32 s0, vcc_lo
	s_cbranch_execz .LBB107_124
.LBB107_197:
	ds_load_b32 v34, v32 offset:608
	s_wait_dscnt 0x0
	v_add_f32_e32 v11, v11, v34
	s_or_b32 exec_lo, exec_lo, s0
	s_and_saveexec_b32 s0, vcc_lo
	s_cbranch_execz .LBB107_125
.LBB107_198:
	ds_load_b32 v34, v32 offset:640
	s_wait_dscnt 0x0
	v_add_f32_e32 v8, v8, v34
	s_or_b32 exec_lo, exec_lo, s0
	s_and_saveexec_b32 s0, vcc_lo
	s_cbranch_execz .LBB107_126
.LBB107_199:
	ds_load_b32 v34, v32 offset:672
	s_wait_dscnt 0x0
	v_add_f32_e32 v9, v9, v34
	s_or_b32 exec_lo, exec_lo, s0
	s_and_saveexec_b32 s0, vcc_lo
	s_cbranch_execz .LBB107_127
.LBB107_200:
	ds_load_b32 v34, v32 offset:704
	s_wait_dscnt 0x0
	v_add_f32_e32 v4, v4, v34
	s_or_b32 exec_lo, exec_lo, s0
	s_and_saveexec_b32 s0, vcc_lo
	s_cbranch_execz .LBB107_128
.LBB107_201:
	ds_load_b32 v34, v32 offset:736
	s_wait_dscnt 0x0
	v_add_f32_e32 v5, v5, v34
	s_or_b32 exec_lo, exec_lo, s0
	s_and_saveexec_b32 s0, vcc_lo
	s_cbranch_execz .LBB107_129
.LBB107_202:
	ds_load_b32 v34, v32 offset:768
	s_wait_dscnt 0x0
	v_add_f32_e32 v6, v6, v34
	s_or_b32 exec_lo, exec_lo, s0
	s_and_saveexec_b32 s0, vcc_lo
	s_cbranch_execz .LBB107_130
.LBB107_203:
	ds_load_b32 v34, v32 offset:800
	s_wait_dscnt 0x0
	v_add_f32_e32 v7, v7, v34
	s_or_b32 exec_lo, exec_lo, s0
	s_and_saveexec_b32 s0, vcc_lo
	s_cbranch_execz .LBB107_131
.LBB107_204:
	ds_load_b32 v34, v32 offset:832
	s_wait_dscnt 0x0
	v_add_f32_e32 v2, v2, v34
	s_or_b32 exec_lo, exec_lo, s0
	s_and_saveexec_b32 s0, vcc_lo
	s_cbranch_execz .LBB107_132
.LBB107_205:
	ds_load_b32 v34, v32 offset:864
	s_wait_dscnt 0x0
	v_add_f32_e32 v3, v3, v34
	s_or_b32 exec_lo, exec_lo, s0
	s_and_saveexec_b32 s0, vcc_lo
	s_cbranch_execz .LBB107_133
.LBB107_206:
	ds_load_b32 v34, v32 offset:896
	s_wait_dscnt 0x0
	v_add_f32_e32 v0, v0, v34
	s_or_b32 exec_lo, exec_lo, s0
	s_and_saveexec_b32 s0, vcc_lo
	s_cbranch_execz .LBB107_134
.LBB107_207:
	ds_load_b32 v34, v32 offset:928
	s_wait_dscnt 0x0
	v_add_f32_e32 v1, v1, v34
	s_or_b32 exec_lo, exec_lo, s0
	s_and_saveexec_b32 s0, vcc_lo
	s_cbranch_execz .LBB107_135
.LBB107_208:
	ds_load_b32 v34, v32 offset:960
	s_wait_dscnt 0x0
	v_add_f32_e32 v30, v30, v34
	s_or_b32 exec_lo, exec_lo, s0
	s_and_saveexec_b32 s0, vcc_lo
	s_cbranch_execnz .LBB107_136
	s_branch .LBB107_137
.LBB107_209:
	ds_load_b32 v33, v32
	s_wait_dscnt 0x0
	v_add_f32_e32 v28, v28, v33
	s_or_b32 exec_lo, exec_lo, s1
	s_and_saveexec_b32 s1, vcc_lo
	s_cbranch_execz .LBB107_143
.LBB107_210:
	ds_load_b32 v33, v32 offset:32
	s_wait_dscnt 0x0
	v_add_f32_e32 v29, v29, v33
	s_or_b32 exec_lo, exec_lo, s1
	s_and_saveexec_b32 s1, vcc_lo
	s_cbranch_execz .LBB107_144
.LBB107_211:
	ds_load_b32 v33, v32 offset:64
	s_wait_dscnt 0x0
	v_add_f32_e32 v26, v26, v33
	s_or_b32 exec_lo, exec_lo, s1
	s_and_saveexec_b32 s1, vcc_lo
	s_cbranch_execz .LBB107_145
.LBB107_212:
	ds_load_b32 v33, v32 offset:96
	s_wait_dscnt 0x0
	v_add_f32_e32 v27, v27, v33
	s_or_b32 exec_lo, exec_lo, s1
	s_and_saveexec_b32 s1, vcc_lo
	s_cbranch_execz .LBB107_146
.LBB107_213:
	ds_load_b32 v33, v32 offset:128
	s_wait_dscnt 0x0
	v_add_f32_e32 v24, v24, v33
	s_or_b32 exec_lo, exec_lo, s1
	s_and_saveexec_b32 s1, vcc_lo
	s_cbranch_execz .LBB107_147
.LBB107_214:
	ds_load_b32 v33, v32 offset:160
	s_wait_dscnt 0x0
	v_add_f32_e32 v25, v25, v33
	s_or_b32 exec_lo, exec_lo, s1
	s_and_saveexec_b32 s1, vcc_lo
	s_cbranch_execz .LBB107_148
.LBB107_215:
	ds_load_b32 v33, v32 offset:192
	s_wait_dscnt 0x0
	v_add_f32_e32 v22, v22, v33
	s_or_b32 exec_lo, exec_lo, s1
	s_and_saveexec_b32 s1, vcc_lo
	s_cbranch_execz .LBB107_149
.LBB107_216:
	ds_load_b32 v33, v32 offset:224
	s_wait_dscnt 0x0
	v_add_f32_e32 v23, v23, v33
	s_or_b32 exec_lo, exec_lo, s1
	s_and_saveexec_b32 s1, vcc_lo
	s_cbranch_execz .LBB107_150
.LBB107_217:
	ds_load_b32 v33, v32 offset:256
	s_wait_dscnt 0x0
	v_add_f32_e32 v20, v20, v33
	s_or_b32 exec_lo, exec_lo, s1
	s_and_saveexec_b32 s1, vcc_lo
	s_cbranch_execz .LBB107_151
.LBB107_218:
	ds_load_b32 v33, v32 offset:288
	s_wait_dscnt 0x0
	v_add_f32_e32 v21, v21, v33
	s_or_b32 exec_lo, exec_lo, s1
	s_and_saveexec_b32 s1, vcc_lo
	s_cbranch_execz .LBB107_152
.LBB107_219:
	ds_load_b32 v33, v32 offset:320
	s_wait_dscnt 0x0
	v_add_f32_e32 v18, v18, v33
	s_or_b32 exec_lo, exec_lo, s1
	s_and_saveexec_b32 s1, vcc_lo
	s_cbranch_execz .LBB107_153
.LBB107_220:
	ds_load_b32 v33, v32 offset:352
	s_wait_dscnt 0x0
	v_add_f32_e32 v19, v19, v33
	s_or_b32 exec_lo, exec_lo, s1
	s_and_saveexec_b32 s1, vcc_lo
	s_cbranch_execz .LBB107_154
.LBB107_221:
	ds_load_b32 v33, v32 offset:384
	s_wait_dscnt 0x0
	v_add_f32_e32 v16, v16, v33
	s_or_b32 exec_lo, exec_lo, s1
	s_and_saveexec_b32 s1, vcc_lo
	s_cbranch_execz .LBB107_155
.LBB107_222:
	ds_load_b32 v33, v32 offset:416
	s_wait_dscnt 0x0
	v_add_f32_e32 v17, v17, v33
	s_or_b32 exec_lo, exec_lo, s1
	s_and_saveexec_b32 s1, vcc_lo
	s_cbranch_execz .LBB107_156
.LBB107_223:
	ds_load_b32 v33, v32 offset:448
	s_wait_dscnt 0x0
	v_add_f32_e32 v14, v14, v33
	s_or_b32 exec_lo, exec_lo, s1
	s_and_saveexec_b32 s1, vcc_lo
	s_cbranch_execz .LBB107_157
.LBB107_224:
	ds_load_b32 v33, v32 offset:480
	s_wait_dscnt 0x0
	v_add_f32_e32 v15, v15, v33
	s_or_b32 exec_lo, exec_lo, s1
	s_and_saveexec_b32 s1, vcc_lo
	s_cbranch_execz .LBB107_158
.LBB107_225:
	ds_load_b32 v33, v32 offset:512
	s_wait_dscnt 0x0
	v_add_f32_e32 v12, v12, v33
	s_or_b32 exec_lo, exec_lo, s1
	s_and_saveexec_b32 s1, vcc_lo
	s_cbranch_execz .LBB107_159
.LBB107_226:
	ds_load_b32 v33, v32 offset:544
	s_wait_dscnt 0x0
	v_add_f32_e32 v13, v13, v33
	s_or_b32 exec_lo, exec_lo, s1
	s_and_saveexec_b32 s1, vcc_lo
	s_cbranch_execz .LBB107_160
.LBB107_227:
	ds_load_b32 v33, v32 offset:576
	s_wait_dscnt 0x0
	v_add_f32_e32 v10, v10, v33
	s_or_b32 exec_lo, exec_lo, s1
	s_and_saveexec_b32 s1, vcc_lo
	s_cbranch_execz .LBB107_161
.LBB107_228:
	ds_load_b32 v33, v32 offset:608
	s_wait_dscnt 0x0
	v_add_f32_e32 v11, v11, v33
	s_or_b32 exec_lo, exec_lo, s1
	s_and_saveexec_b32 s1, vcc_lo
	s_cbranch_execz .LBB107_162
.LBB107_229:
	ds_load_b32 v33, v32 offset:640
	s_wait_dscnt 0x0
	v_add_f32_e32 v8, v8, v33
	s_or_b32 exec_lo, exec_lo, s1
	s_and_saveexec_b32 s1, vcc_lo
	s_cbranch_execz .LBB107_163
.LBB107_230:
	ds_load_b32 v33, v32 offset:672
	s_wait_dscnt 0x0
	v_add_f32_e32 v9, v9, v33
	s_or_b32 exec_lo, exec_lo, s1
	s_and_saveexec_b32 s1, vcc_lo
	s_cbranch_execz .LBB107_164
.LBB107_231:
	ds_load_b32 v33, v32 offset:704
	s_wait_dscnt 0x0
	v_add_f32_e32 v4, v4, v33
	s_or_b32 exec_lo, exec_lo, s1
	s_and_saveexec_b32 s1, vcc_lo
	s_cbranch_execz .LBB107_165
.LBB107_232:
	ds_load_b32 v33, v32 offset:736
	s_wait_dscnt 0x0
	v_add_f32_e32 v5, v5, v33
	s_or_b32 exec_lo, exec_lo, s1
	s_and_saveexec_b32 s1, vcc_lo
	s_cbranch_execz .LBB107_166
.LBB107_233:
	ds_load_b32 v33, v32 offset:768
	s_wait_dscnt 0x0
	v_add_f32_e32 v6, v6, v33
	s_or_b32 exec_lo, exec_lo, s1
	s_and_saveexec_b32 s1, vcc_lo
	s_cbranch_execz .LBB107_167
.LBB107_234:
	ds_load_b32 v33, v32 offset:800
	s_wait_dscnt 0x0
	v_add_f32_e32 v7, v7, v33
	s_or_b32 exec_lo, exec_lo, s1
	s_and_saveexec_b32 s1, vcc_lo
	s_cbranch_execz .LBB107_168
.LBB107_235:
	ds_load_b32 v33, v32 offset:832
	s_wait_dscnt 0x0
	v_add_f32_e32 v2, v2, v33
	s_or_b32 exec_lo, exec_lo, s1
	s_and_saveexec_b32 s1, vcc_lo
	s_cbranch_execz .LBB107_169
.LBB107_236:
	ds_load_b32 v33, v32 offset:864
	s_wait_dscnt 0x0
	v_add_f32_e32 v3, v3, v33
	s_or_b32 exec_lo, exec_lo, s1
	s_and_saveexec_b32 s1, vcc_lo
	s_cbranch_execz .LBB107_170
.LBB107_237:
	ds_load_b32 v33, v32 offset:896
	s_wait_dscnt 0x0
	v_add_f32_e32 v0, v0, v33
	s_or_b32 exec_lo, exec_lo, s1
	s_and_saveexec_b32 s1, vcc_lo
	s_cbranch_execz .LBB107_171
.LBB107_238:
	ds_load_b32 v33, v32 offset:928
	s_wait_dscnt 0x0
	v_add_f32_e32 v1, v1, v33
	s_or_b32 exec_lo, exec_lo, s1
	s_and_saveexec_b32 s1, vcc_lo
	s_cbranch_execz .LBB107_172
.LBB107_239:
	ds_load_b32 v33, v32 offset:960
	s_wait_dscnt 0x0
	v_add_f32_e32 v30, v30, v33
	s_or_b32 exec_lo, exec_lo, s1
	s_and_saveexec_b32 s1, vcc_lo
	s_cbranch_execnz .LBB107_173
	s_branch .LBB107_174
	.section	.rodata,"a",@progbits
	.p2align	6, 0x0
	.amdhsa_kernel _ZN4vllm25paged_attention_v1_kernelIttLi256ELi32ELi128ELNS_18Fp8KVCacheDataTypeE0ELb0EEEvPT_PKS2_PKT0_S8_ifPKiSA_iPKfiiiSC_SC_iiiii
		.amdhsa_group_segment_fixed_size 544
		.amdhsa_private_segment_fixed_size 140
		.amdhsa_kernarg_size 384
		.amdhsa_user_sgpr_count 2
		.amdhsa_user_sgpr_dispatch_ptr 0
		.amdhsa_user_sgpr_queue_ptr 0
		.amdhsa_user_sgpr_kernarg_segment_ptr 1
		.amdhsa_user_sgpr_dispatch_id 0
		.amdhsa_user_sgpr_kernarg_preload_length 0
		.amdhsa_user_sgpr_kernarg_preload_offset 0
		.amdhsa_user_sgpr_private_segment_size 0
		.amdhsa_wavefront_size32 1
		.amdhsa_uses_dynamic_stack 0
		.amdhsa_enable_private_segment 1
		.amdhsa_system_sgpr_workgroup_id_x 1
		.amdhsa_system_sgpr_workgroup_id_y 1
		.amdhsa_system_sgpr_workgroup_id_z 1
		.amdhsa_system_sgpr_workgroup_info 0
		.amdhsa_system_vgpr_workitem_id 0
		.amdhsa_next_free_vgpr 128
		.amdhsa_next_free_sgpr 28
		.amdhsa_named_barrier_count 0
		.amdhsa_reserve_vcc 1
		.amdhsa_float_round_mode_32 0
		.amdhsa_float_round_mode_16_64 0
		.amdhsa_float_denorm_mode_32 3
		.amdhsa_float_denorm_mode_16_64 3
		.amdhsa_fp16_overflow 0
		.amdhsa_memory_ordered 1
		.amdhsa_forward_progress 1
		.amdhsa_inst_pref_size 178
		.amdhsa_round_robin_scheduling 0
		.amdhsa_exception_fp_ieee_invalid_op 0
		.amdhsa_exception_fp_denorm_src 0
		.amdhsa_exception_fp_ieee_div_zero 0
		.amdhsa_exception_fp_ieee_overflow 0
		.amdhsa_exception_fp_ieee_underflow 0
		.amdhsa_exception_fp_ieee_inexact 0
		.amdhsa_exception_int_div_zero 0
	.end_amdhsa_kernel
	.section	.text._ZN4vllm25paged_attention_v1_kernelIttLi256ELi32ELi128ELNS_18Fp8KVCacheDataTypeE0ELb0EEEvPT_PKS2_PKT0_S8_ifPKiSA_iPKfiiiSC_SC_iiiii,"axG",@progbits,_ZN4vllm25paged_attention_v1_kernelIttLi256ELi32ELi128ELNS_18Fp8KVCacheDataTypeE0ELb0EEEvPT_PKS2_PKT0_S8_ifPKiSA_iPKfiiiSC_SC_iiiii,comdat
.Lfunc_end107:
	.size	_ZN4vllm25paged_attention_v1_kernelIttLi256ELi32ELi128ELNS_18Fp8KVCacheDataTypeE0ELb0EEEvPT_PKS2_PKT0_S8_ifPKiSA_iPKfiiiSC_SC_iiiii, .Lfunc_end107-_ZN4vllm25paged_attention_v1_kernelIttLi256ELi32ELi128ELNS_18Fp8KVCacheDataTypeE0ELb0EEEvPT_PKS2_PKT0_S8_ifPKiSA_iPKfiiiSC_SC_iiiii
                                        ; -- End function
	.set _ZN4vllm25paged_attention_v1_kernelIttLi256ELi32ELi128ELNS_18Fp8KVCacheDataTypeE0ELb0EEEvPT_PKS2_PKT0_S8_ifPKiSA_iPKfiiiSC_SC_iiiii.num_vgpr, 128
	.set _ZN4vllm25paged_attention_v1_kernelIttLi256ELi32ELi128ELNS_18Fp8KVCacheDataTypeE0ELb0EEEvPT_PKS2_PKT0_S8_ifPKiSA_iPKfiiiSC_SC_iiiii.num_agpr, 0
	.set _ZN4vllm25paged_attention_v1_kernelIttLi256ELi32ELi128ELNS_18Fp8KVCacheDataTypeE0ELb0EEEvPT_PKS2_PKT0_S8_ifPKiSA_iPKfiiiSC_SC_iiiii.numbered_sgpr, 28
	.set _ZN4vllm25paged_attention_v1_kernelIttLi256ELi32ELi128ELNS_18Fp8KVCacheDataTypeE0ELb0EEEvPT_PKS2_PKT0_S8_ifPKiSA_iPKfiiiSC_SC_iiiii.num_named_barrier, 0
	.set _ZN4vllm25paged_attention_v1_kernelIttLi256ELi32ELi128ELNS_18Fp8KVCacheDataTypeE0ELb0EEEvPT_PKS2_PKT0_S8_ifPKiSA_iPKfiiiSC_SC_iiiii.private_seg_size, 140
	.set _ZN4vllm25paged_attention_v1_kernelIttLi256ELi32ELi128ELNS_18Fp8KVCacheDataTypeE0ELb0EEEvPT_PKS2_PKT0_S8_ifPKiSA_iPKfiiiSC_SC_iiiii.uses_vcc, 1
	.set _ZN4vllm25paged_attention_v1_kernelIttLi256ELi32ELi128ELNS_18Fp8KVCacheDataTypeE0ELb0EEEvPT_PKS2_PKT0_S8_ifPKiSA_iPKfiiiSC_SC_iiiii.uses_flat_scratch, 1
	.set _ZN4vllm25paged_attention_v1_kernelIttLi256ELi32ELi128ELNS_18Fp8KVCacheDataTypeE0ELb0EEEvPT_PKS2_PKT0_S8_ifPKiSA_iPKfiiiSC_SC_iiiii.has_dyn_sized_stack, 0
	.set _ZN4vllm25paged_attention_v1_kernelIttLi256ELi32ELi128ELNS_18Fp8KVCacheDataTypeE0ELb0EEEvPT_PKS2_PKT0_S8_ifPKiSA_iPKfiiiSC_SC_iiiii.has_recursion, 0
	.set _ZN4vllm25paged_attention_v1_kernelIttLi256ELi32ELi128ELNS_18Fp8KVCacheDataTypeE0ELb0EEEvPT_PKS2_PKT0_S8_ifPKiSA_iPKfiiiSC_SC_iiiii.has_indirect_call, 0
	.section	.AMDGPU.csdata,"",@progbits
; Kernel info:
; codeLenInByte = 22680
; TotalNumSgprs: 30
; NumVgprs: 128
; ScratchSize: 140
; MemoryBound: 0
; FloatMode: 240
; IeeeMode: 1
; LDSByteSize: 544 bytes/workgroup (compile time only)
; SGPRBlocks: 0
; VGPRBlocks: 7
; NumSGPRsForWavesPerEU: 30
; NumVGPRsForWavesPerEU: 128
; NamedBarCnt: 0
; Occupancy: 8
; WaveLimiterHint : 1
; COMPUTE_PGM_RSRC2:SCRATCH_EN: 1
; COMPUTE_PGM_RSRC2:USER_SGPR: 2
; COMPUTE_PGM_RSRC2:TRAP_HANDLER: 0
; COMPUTE_PGM_RSRC2:TGID_X_EN: 1
; COMPUTE_PGM_RSRC2:TGID_Y_EN: 1
; COMPUTE_PGM_RSRC2:TGID_Z_EN: 1
; COMPUTE_PGM_RSRC2:TIDIG_COMP_CNT: 0
	.section	.text._ZN4vllm25paged_attention_v1_kernelI14__hip_bfloat16S1_Li32ELi8ELi128ELNS_18Fp8KVCacheDataTypeE0ELb1EEEvPT_PKS3_PKT0_S9_ifPKiSB_iPKfiiiSD_SD_iiiii,"axG",@progbits,_ZN4vllm25paged_attention_v1_kernelI14__hip_bfloat16S1_Li32ELi8ELi128ELNS_18Fp8KVCacheDataTypeE0ELb1EEEvPT_PKS3_PKT0_S9_ifPKiSB_iPKfiiiSD_SD_iiiii,comdat
	.protected	_ZN4vllm25paged_attention_v1_kernelI14__hip_bfloat16S1_Li32ELi8ELi128ELNS_18Fp8KVCacheDataTypeE0ELb1EEEvPT_PKS3_PKT0_S9_ifPKiSB_iPKfiiiSD_SD_iiiii ; -- Begin function _ZN4vllm25paged_attention_v1_kernelI14__hip_bfloat16S1_Li32ELi8ELi128ELNS_18Fp8KVCacheDataTypeE0ELb1EEEvPT_PKS3_PKT0_S9_ifPKiSB_iPKfiiiSD_SD_iiiii
	.globl	_ZN4vllm25paged_attention_v1_kernelI14__hip_bfloat16S1_Li32ELi8ELi128ELNS_18Fp8KVCacheDataTypeE0ELb1EEEvPT_PKS3_PKT0_S9_ifPKiSB_iPKfiiiSD_SD_iiiii
	.p2align	8
	.type	_ZN4vllm25paged_attention_v1_kernelI14__hip_bfloat16S1_Li32ELi8ELi128ELNS_18Fp8KVCacheDataTypeE0ELb1EEEvPT_PKS3_PKT0_S9_ifPKiSB_iPKfiiiSD_SD_iiiii,@function
_ZN4vllm25paged_attention_v1_kernelI14__hip_bfloat16S1_Li32ELi8ELi128ELNS_18Fp8KVCacheDataTypeE0ELb1EEEvPT_PKS3_PKT0_S9_ifPKiSB_iPKfiiiSD_SD_iiiii: ; @_ZN4vllm25paged_attention_v1_kernelI14__hip_bfloat16S1_Li32ELi8ELi128ELNS_18Fp8KVCacheDataTypeE0ELb1EEEvPT_PKS3_PKT0_S9_ifPKiSB_iPKfiiiSD_SD_iiiii
; %bb.0:
	s_load_b64 s[22:23], s[0:1], 0x20
	s_bfe_u32 s3, ttmp6, 0x4000c
	s_bfe_u32 s4, ttmp6, 0x40010
	s_and_b32 s6, ttmp7, 0xffff
	s_add_co_i32 s3, s3, 1
	s_add_co_i32 s4, s4, 1
	s_and_b32 s2, ttmp6, 15
	s_bfe_u32 s5, ttmp6, 0x40004
	s_mul_i32 s3, ttmp9, s3
	s_mul_i32 s4, s6, s4
	s_getreg_b32 s28, hwreg(HW_REG_IB_STS2, 6, 4)
	s_add_co_i32 s2, s2, s3
	s_add_co_i32 s3, s5, s4
	s_cmp_eq_u32 s28, 0
	s_clause 0x1
	s_load_b32 s29, s[0:1], 0x80
	s_load_b64 s[4:5], s[0:1], 0x30
	s_cselect_b32 s30, s6, s3
	s_cselect_b32 s2, ttmp9, s2
	s_mov_b32 s17, 0
	s_delay_alu instid0(SALU_CYCLE_1) | instskip(SKIP_2) | instid1(SALU_CYCLE_1)
	s_mov_b32 s35, s17
	s_wait_kmcnt 0x0
	s_abs_i32 s3, s22
	s_cvt_f32_u32 s6, s3
	s_sub_co_i32 s7, 0, s3
	s_delay_alu instid0(SALU_CYCLE_2) | instskip(SKIP_2) | instid1(TRANS32_DEP_1)
	v_rcp_iflag_f32_e32 v1, s6
	s_abs_i32 s8, s29
	v_nop
	v_readfirstlane_b32 s6, v1
	s_mul_f32 s6, s6, 0x4f7ffffe
	s_delay_alu instid0(SALU_CYCLE_3) | instskip(NEXT) | instid1(SALU_CYCLE_3)
	s_cvt_u32_f32 s6, s6
	s_mul_i32 s7, s7, s6
	s_delay_alu instid0(SALU_CYCLE_1) | instskip(NEXT) | instid1(SALU_CYCLE_1)
	s_mul_hi_u32 s7, s6, s7
	s_add_co_i32 s6, s6, s7
	s_xor_b32 s7, s29, s22
	s_mul_hi_u32 s6, s8, s6
	s_ashr_i32 s7, s7, 31
	s_mul_i32 s9, s6, s3
	s_delay_alu instid0(SALU_CYCLE_1)
	s_sub_co_i32 s8, s8, s9
	s_add_co_i32 s9, s6, 1
	s_sub_co_i32 s10, s8, s3
	s_cmp_ge_u32 s8, s3
	s_cselect_b32 s6, s9, s6
	s_cselect_b32 s8, s10, s8
	s_add_co_i32 s9, s6, 1
	s_cmp_ge_u32 s8, s3
	s_cselect_b32 s3, s9, s6
	s_load_b64 s[8:9], s[0:1], 0x40
	s_xor_b32 s3, s3, s7
	s_abs_i32 s16, s2
	s_sub_co_i32 s10, s3, s7
	s_mov_b32 s7, s17
	s_abs_i32 s15, s10
	s_delay_alu instid0(SALU_CYCLE_1) | instskip(SKIP_1) | instid1(SALU_CYCLE_2)
	s_cvt_f32_u32 s3, s15
	s_sub_co_i32 s6, 0, s15
	v_rcp_iflag_f32_e32 v1, s3
	v_nop
	s_delay_alu instid0(TRANS32_DEP_1) | instskip(SKIP_1) | instid1(SALU_CYCLE_3)
	v_readfirstlane_b32 s3, v1
	s_mul_f32 s3, s3, 0x4f7ffffe
	s_cvt_u32_f32 s3, s3
	s_delay_alu instid0(SALU_CYCLE_3) | instskip(NEXT) | instid1(SALU_CYCLE_1)
	s_mul_i32 s6, s6, s3
	s_mul_hi_u32 s6, s3, s6
	s_delay_alu instid0(SALU_CYCLE_1)
	s_add_co_i32 s6, s3, s6
	s_wait_kmcnt 0x0
	s_cmp_eq_u64 s[8:9], 0
	s_cbranch_scc1 .LBB108_2
; %bb.1:
	s_ashr_i32 s3, s2, 31
	s_delay_alu instid0(SALU_CYCLE_1) | instskip(NEXT) | instid1(SALU_CYCLE_1)
	s_lshl_b64 s[12:13], s[2:3], 2
	s_add_nc_u64 s[8:9], s[8:9], s[12:13]
	s_load_b32 s35, s[8:9], 0x0
.LBB108_2:
	s_load_b32 s31, s[4:5], s30 offset:0x0 scale_offset
	s_load_b96 s[12:14], s[0:1], 0x48
	v_and_b32_e32 v4, 3, v0
	s_wait_xcnt 0x0
	s_mul_u64 s[4:5], s[16:17], s[6:7]
	s_ashr_i32 s3, s2, 31
	s_ashr_i32 s18, s10, 31
	s_lshl_b32 s6, s2, 5
	s_mov_b32 s4, exec_lo
	v_cmpx_gt_u32_e32 16, v0
	s_cbranch_execz .LBB108_4
; %bb.3:
	s_load_b64 s[8:9], s[0:1], 0x8
	s_wait_kmcnt 0x0
	s_mul_i32 s10, s12, s30
	s_ashr_i32 s7, s6, 31
	s_ashr_i32 s11, s10, 31
	v_and_b32_e32 v2, 0x3fc, v0
	s_lshl_b64 s[10:11], s[10:11], 1
	s_delay_alu instid0(VALU_DEP_1) | instskip(SKIP_2) | instid1(SALU_CYCLE_1)
	v_lshl_add_u32 v2, v4, 4, v2
	s_add_nc_u64 s[8:9], s[8:9], s[10:11]
	s_lshl_b64 s[10:11], s[6:7], 1
	s_add_nc_u64 s[8:9], s[8:9], s[10:11]
	global_load_b32 v1, v0, s[8:9] scale_offset
	s_wait_loadcnt 0x0
	ds_store_b32 v2, v1
.LBB108_4:
	s_or_b32 exec_lo, exec_lo, s4
	s_load_b128 s[8:11], s[0:1], 0x68
	s_mul_i32 s4, s5, s15
	s_xor_b32 s3, s3, s18
	s_sub_co_i32 s4, s16, s4
	s_add_co_i32 s7, s5, 1
	s_wait_kmcnt 0x0
	s_sub_co_i32 s12, s4, s15
	s_cmp_ge_u32 s4, s15
	s_mov_b32 s18, -1
	s_cselect_b32 s5, s7, s5
	s_cselect_b32 s4, s12, s4
	s_add_co_i32 s12, s5, 1
	s_cmp_ge_u32 s4, s15
	s_load_b32 s7, s[0:1], 0x78
	s_cselect_b32 s4, s12, s5
	s_add_co_i32 s15, s31, -1
	s_xor_b32 s4, s4, s3
	s_wait_dscnt 0x0
	s_sub_co_i32 s3, s4, s3
	s_barrier_signal -1
	s_barrier_wait -1
	s_abs_i32 s12, s11
	s_delay_alu instid0(SALU_CYCLE_1) | instskip(NEXT) | instid1(SALU_CYCLE_3)
	s_cvt_f32_u32 s5, s12
                                        ; implicit-def: $sgpr33
	v_rcp_iflag_f32_e32 v1, s5
	v_nop
	s_delay_alu instid0(TRANS32_DEP_1) | instskip(SKIP_1) | instid1(SALU_CYCLE_3)
	v_readfirstlane_b32 s5, v1
	s_mul_f32 s4, s5, 0x4f7ffffe
	s_cvt_u32_f32 s16, s4
	s_sub_co_i32 s4, 0, s12
	s_delay_alu instid0(SALU_CYCLE_2)
	s_mul_i32 s5, s4, s16
	s_abs_i32 s4, s15
	s_mul_hi_u32 s17, s16, s5
	s_mov_b32 s5, 0
	s_add_co_i32 s16, s16, s17
	s_wait_kmcnt 0x0
	s_cmp_lt_i32 s7, 0
	s_mov_b32 s17, s5
	s_cbranch_scc0 .LBB108_6
; %bb.5:
	s_mul_i32 s18, s8, s22
	s_delay_alu instid0(SALU_CYCLE_1) | instskip(NEXT) | instid1(SALU_CYCLE_1)
	s_add_co_i32 s18, s3, s18
	s_mul_i32 s18, s18, s7
	s_delay_alu instid0(SALU_CYCLE_1)
	s_sub_co_i32 s33, 1, s18
	s_mov_b32 s18, s5
.LBB108_6:
	s_ashr_i32 s15, s15, 31
	s_ashr_i32 s11, s11, 31
	s_and_not1_b32 vcc_lo, exec_lo, s18
	s_mul_u64 s[24:25], s[4:5], s[16:17]
	s_cbranch_vccnz .LBB108_8
; %bb.7:
	s_mul_i32 s5, s29, s8
	s_delay_alu instid0(SALU_CYCLE_1) | instskip(NEXT) | instid1(SALU_CYCLE_1)
	s_add_co_i32 s2, s5, s2
	s_mul_i32 s2, s2, s7
	s_delay_alu instid0(SALU_CYCLE_1)
	s_add_co_i32 s33, s2, 1
.LBB108_8:
	s_load_b32 s2, s[0:1], 0x38
	s_mul_i32 s7, s25, s12
	s_xor_b32 s5, s15, s11
	s_sub_co_i32 s4, s4, s7
	s_add_co_i32 s8, s25, 1
	s_clause 0x1
	s_load_b64 s[18:19], s[0:1], 0x28
	s_load_b32 s7, s[0:1], 0x88
	v_dual_mov_b32 v12, 0xff7fffff :: v_dual_lshrrev_b32 v1, 5, v0
	v_lshrrev_b32_e32 v8, 3, v0
	v_mbcnt_lo_u32_b32 v9, -1, 0
	s_mul_i32 s14, s3, s14
	s_delay_alu instid0(VALU_DEP_3)
	v_lshlrev_b32_e32 v14, 3, v1
	s_wait_kmcnt 0x0
	s_mul_i32 s20, s2, s30
	s_sub_co_i32 s2, s4, s12
	s_ashr_i32 s21, s20, 31
	s_cmp_ge_u32 s4, s12
	s_cselect_b32 s8, s8, s25
	s_cselect_b32 s2, s2, s4
	s_add_co_i32 s4, s8, 1
	s_cmp_ge_u32 s2, s12
	s_cselect_b32 s2, s4, s8
	s_add_co_i32 s4, s31, 7
	s_delay_alu instid0(SALU_CYCLE_1) | instskip(NEXT) | instid1(SALU_CYCLE_1)
	s_ashr_i32 s8, s4, 31
	s_lshr_b32 s8, s8, 29
	s_delay_alu instid0(SALU_CYCLE_1) | instskip(NEXT) | instid1(SALU_CYCLE_1)
	s_add_co_i32 s4, s4, s8
	s_ashr_i32 s34, s4, 3
	s_xor_b32 s4, s2, s5
	v_cmp_gt_i32_e64 s2, s34, v1
	s_sub_co_i32 s8, s4, s5
	s_and_saveexec_b32 s22, s2
	s_cbranch_execz .LBB108_20
; %bb.9:
	s_load_b64 s[4:5], s[0:1], 0x10
	s_ashr_i32 s15, s14, 31
	s_sub_co_i32 s36, s8, s9
	s_ashr_i32 s25, s13, 31
	s_lshl_b64 s[38:39], s[14:15], 1
	s_cmp_neq_f32 s35, 0
	v_bfe_u32 v10, v0, 2, 3
	v_dual_mov_b32 v3, 0 :: v_dual_mov_b32 v16, 0xff7fffff
	v_mov_b32_e32 v19, v1
	s_cselect_b32 vcc_lo, -1, 0
	s_abs_i32 s15, s10
	v_lshlrev_b32_e32 v2, 4, v10
	s_cvt_f32_u32 s3, s15
	v_subrev_nc_u32_e32 v7, s31, v10
	v_lshlrev_b32_e32 v6, 2, v0
	s_sub_co_i32 s26, 0, s15
	v_rcp_iflag_f32_e32 v5, s3
	v_cmp_eq_u32_e64 s3, 0, v4
	v_add_nc_u32_e32 v13, 1, v7
	s_wait_kmcnt 0x0
	s_add_nc_u64 s[4:5], s[4:5], s[38:39]
	v_dual_lshlrev_b32 v11, 4, v4 :: v_dual_bitop2_b32 v17, 2, v9 bitop3:0x14
	v_xor_b32_e32 v18, 1, v9
	v_readfirstlane_b32 s24, v5
	v_add_nc_u64_e32 v[4:5], s[4:5], v[2:3]
	v_and_b32_e32 v2, 12, v6
	v_lshlrev_b32_e32 v6, 2, v10
	s_lshl_b64 s[4:5], s[20:21], 2
	s_mul_f32 s24, s24, 0x4f7ffffe
	s_add_nc_u64 s[4:5], s[18:19], s[4:5]
	s_mov_b32 s27, 0
	v_add_nc_u64_e32 v[4:5], v[4:5], v[2:3]
	v_and_b32_e32 v2, 0x7c, v8
	s_cvt_u32_f32 s37, s24
	v_lshl_or_b32 v12, v1, 5, v6
	s_mov_b32 s24, s13
	s_delay_alu instid0(VALU_DEP_2)
	v_add_nc_u64_e32 v[6:7], s[4:5], v[2:3]
	s_mul_i32 s26, s26, s37
	v_lshlrev_b32_e32 v2, 3, v1
	v_add_nc_u32_e32 v15, 0x60, v12
	v_mov_b32_e32 v12, 0xff7fffff
	s_mul_hi_u32 s4, s37, s26
	s_delay_alu instid0(SALU_CYCLE_1)
	s_add_co_i32 s26, s37, s4
	s_mov_b32 s37, s27
	s_branch .LBB108_12
.LBB108_10:                             ;   in Loop: Header=BB108_12 Depth=1
	s_or_b32 exec_lo, exec_lo, s38
.LBB108_11:                             ;   in Loop: Header=BB108_12 Depth=1
	s_delay_alu instid0(SALU_CYCLE_1) | instskip(SKIP_3) | instid1(VALU_DEP_3)
	s_or_b32 exec_lo, exec_lo, s5
	v_dual_add_nc_u32 v19, 4, v19 :: v_dual_add_nc_u32 v2, 32, v2
	v_add_nc_u64_e32 v[6:7], 16, v[6:7]
	v_add_nc_u32_e32 v15, 0x80, v15
	v_cmp_le_i32_e64 s4, s34, v19
	s_or_b32 s37, s4, s37
	s_delay_alu instid0(SALU_CYCLE_1)
	s_and_not1_b32 exec_lo, exec_lo, s37
	s_cbranch_execz .LBB108_19
.LBB108_12:                             ; =>This Inner Loop Header: Depth=1
	s_wait_dscnt 0x0
	v_mul_u64_e32 v[20:21], s[16:17], v[2:3]
	s_delay_alu instid0(VALU_DEP_1) | instskip(NEXT) | instid1(VALU_DEP_1)
	v_mul_lo_u32 v20, v21, s12
	v_dual_add_nc_u32 v22, 1, v21 :: v_dual_sub_nc_u32 v20, v2, v20
	s_delay_alu instid0(VALU_DEP_1) | instskip(SKIP_1) | instid1(VALU_DEP_1)
	v_subrev_nc_u32_e32 v23, s12, v20
	v_cmp_le_u32_e64 s4, s12, v20
	v_dual_cndmask_b32 v21, v21, v22, s4 :: v_dual_cndmask_b32 v20, v20, v23, s4
	s_delay_alu instid0(VALU_DEP_1) | instskip(NEXT) | instid1(VALU_DEP_2)
	v_add_nc_u32_e32 v22, 1, v21
	v_cmp_le_u32_e64 s4, s12, v20
	s_delay_alu instid0(VALU_DEP_1) | instskip(NEXT) | instid1(VALU_DEP_1)
	v_dual_cndmask_b32 v20, v21, v22, s4 :: v_dual_mov_b32 v21, v3
	v_xor_b32_e32 v20, s11, v20
	s_delay_alu instid0(VALU_DEP_1) | instskip(NEXT) | instid1(VALU_DEP_1)
	v_subrev_nc_u32_e32 v24, s11, v20
	v_add_nc_u32_e32 v25, s33, v24
	v_cmp_ge_i32_e64 s5, s36, v24
	s_delay_alu instid0(VALU_DEP_2) | instskip(NEXT) | instid1(VALU_DEP_1)
	v_sub_nc_u32_e32 v20, 0, v25
	v_max_i32_e32 v20, v25, v20
	s_delay_alu instid0(VALU_DEP_1) | instskip(SKIP_1) | instid1(VALU_DEP_2)
	v_mul_u64_e32 v[22:23], s[26:27], v[20:21]
	v_ashrrev_i32_e32 v22, 31, v25
	v_mul_lo_u32 v21, v23, s15
	s_delay_alu instid0(VALU_DEP_1) | instskip(NEXT) | instid1(VALU_DEP_1)
	v_sub_nc_u32_e32 v20, v20, v21
	v_subrev_nc_u32_e32 v21, s15, v20
	v_cmp_le_u32_e64 s4, s15, v20
	s_delay_alu instid0(VALU_DEP_1) | instskip(NEXT) | instid1(VALU_DEP_1)
	v_cndmask_b32_e64 v20, v20, v21, s4
	v_subrev_nc_u32_e32 v21, s15, v20
	v_cmp_le_u32_e64 s4, s15, v20
	s_delay_alu instid0(VALU_DEP_1) | instskip(NEXT) | instid1(VALU_DEP_1)
	v_cndmask_b32_e64 v20, v20, v21, s4
	v_xor_b32_e32 v20, v20, v22
	s_delay_alu instid0(VALU_DEP_1) | instskip(NEXT) | instid1(VALU_DEP_1)
	v_sub_nc_u32_e32 v20, v20, v22
	v_cmp_ne_u32_e64 s4, 0, v20
	s_and_b32 s4, s4, s5
	s_delay_alu instid0(SALU_CYCLE_1) | instskip(NEXT) | instid1(SALU_CYCLE_1)
	s_and_saveexec_b32 s5, s4
	s_xor_b32 s4, exec_lo, s5
	s_cbranch_execz .LBB108_16
; %bb.13:                               ;   in Loop: Header=BB108_12 Depth=1
	s_and_saveexec_b32 s5, s3
; %bb.14:                               ;   in Loop: Header=BB108_12 Depth=1
	ds_store_b32 v15, v16
; %bb.15:                               ;   in Loop: Header=BB108_12 Depth=1
	s_or_b32 exec_lo, exec_lo, s5
.LBB108_16:                             ;   in Loop: Header=BB108_12 Depth=1
	s_and_not1_saveexec_b32 s5, s4
	s_cbranch_execz .LBB108_11
; %bb.17:                               ;   in Loop: Header=BB108_12 Depth=1
	global_load_b32 v20, v[6:7], off
	v_cmp_gt_i32_e64 s4, 32, v17
	s_wait_loadcnt 0x0
	v_ashrrev_i32_e32 v21, 31, v20
	s_delay_alu instid0(VALU_DEP_1) | instskip(NEXT) | instid1(VALU_DEP_1)
	v_mul_u64_e32 v[20:21], s[24:25], v[20:21]
	v_lshl_add_u64 v[20:21], v[20:21], 1, v[4:5]
	s_clause 0x3
	global_load_b32 v24, v[20:21], off offset:128
	global_load_b32 v25, v[20:21], off
	global_load_b32 v26, v[20:21], off offset:256
	global_load_b32 v27, v[20:21], off offset:384
	s_wait_xcnt 0x0
	ds_load_b128 v[20:23], v11
	s_wait_dscnt 0x0
	v_lshlrev_b32_e32 v28, 16, v21
	v_and_b32_e32 v21, 0xffff0000, v21
	s_wait_loadcnt 0x3
	v_lshlrev_b32_e32 v29, 16, v24
	v_and_b32_e32 v24, 0xffff0000, v24
	s_delay_alu instid0(VALU_DEP_1) | instskip(SKIP_1) | instid1(VALU_DEP_1)
	v_dual_mul_f32 v28, v28, v29 :: v_dual_mul_f32 v21, v21, v24
	s_wait_loadcnt 0x2
	v_fma_mix_f32_bf16 v24, v20, v25, v28 op_sel_hi:[1,1,0]
	s_delay_alu instid0(VALU_DEP_2) | instskip(SKIP_1) | instid1(VALU_DEP_2)
	v_fma_mix_f32_bf16 v20, v20, v25, v21 op_sel:[1,1,0] op_sel_hi:[1,1,0]
	s_wait_loadcnt 0x1
	v_fma_mix_f32_bf16 v21, v22, v26, v24 op_sel_hi:[1,1,0]
	s_delay_alu instid0(VALU_DEP_2)
	v_fma_mix_f32_bf16 v20, v22, v26, v20 op_sel:[1,1,0] op_sel_hi:[1,1,0]
	v_cndmask_b32_e64 v22, v9, v17, s4
	v_cmp_gt_i32_e64 s4, 32, v18
	s_wait_loadcnt 0x0
	v_fma_mix_f32_bf16 v21, v23, v27, v21 op_sel_hi:[1,1,0]
	v_fma_mix_f32_bf16 v20, v23, v27, v20 op_sel:[1,1,0] op_sel_hi:[1,1,0]
	s_delay_alu instid0(VALU_DEP_1) | instskip(SKIP_3) | instid1(VALU_DEP_1)
	v_dual_lshlrev_b32 v22, 2, v22 :: v_dual_add_f32 v20, v21, v20
	ds_bpermute_b32 v21, v22, v20
	v_cndmask_b32_e64 v22, v9, v18, s4
	s_wait_dscnt 0x0
	v_dual_lshlrev_b32 v22, 2, v22 :: v_dual_add_f32 v20, v20, v21
	ds_bpermute_b32 v21, v22, v20
	s_and_saveexec_b32 s38, s3
	s_cbranch_execz .LBB108_10
; %bb.18:                               ;   in Loop: Header=BB108_12 Depth=1
	s_wait_dscnt 0x0
	v_dual_add_nc_u32 v22, v13, v2 :: v_dual_add_f32 v20, v20, v21
	s_delay_alu instid0(VALU_DEP_1) | instskip(NEXT) | instid1(VALU_DEP_1)
	v_cvt_f32_i32_e32 v22, v22
	v_mul_f32_e32 v22, s35, v22
	s_delay_alu instid0(VALU_DEP_1) | instskip(NEXT) | instid1(VALU_DEP_1)
	v_dual_cndmask_b32 v21, 0, v22 :: v_dual_max_num_f32 v22, v12, v12
	v_dual_fmac_f32 v21, s23, v20 :: v_dual_add_nc_u32 v20, v10, v2
	s_delay_alu instid0(VALU_DEP_1) | instskip(NEXT) | instid1(VALU_DEP_1)
	v_cmp_gt_i32_e64 s4, s31, v20
	v_dual_max_num_f32 v22, v22, v21 :: v_dual_cndmask_b32 v20, 0, v21, s4
	s_delay_alu instid0(VALU_DEP_1)
	v_cndmask_b32_e64 v12, v12, v22, s4
	ds_store_b32 v15, v20
	s_branch .LBB108_10
.LBB108_19:
	s_or_b32 exec_lo, exec_lo, s37
.LBB108_20:
	s_delay_alu instid0(SALU_CYCLE_1)
	s_or_b32 exec_lo, exec_lo, s22
	v_dual_max_num_f32 v5, v12, v12 :: v_dual_bitop2_b32 v2, 16, v9 bitop3:0x14
	s_clause 0x1
	s_load_b64 s[4:5], s[0:1], 0x0
	s_load_b64 s[22:23], s[0:1], 0x18
	v_and_b32_e32 v20, 31, v0
	v_xor_b32_e32 v4, 8, v9
	v_cmp_gt_i32_e32 vcc_lo, 32, v2
	v_cndmask_b32_e32 v2, v9, v2, vcc_lo
	s_delay_alu instid0(VALU_DEP_3) | instskip(NEXT) | instid1(VALU_DEP_2)
	v_cmp_gt_i32_e32 vcc_lo, 32, v4
	v_dual_lshlrev_b32 v2, 2, v2 :: v_dual_cndmask_b32 v4, v9, v4, vcc_lo
	ds_bpermute_b32 v3, v2, v12
	s_wait_dscnt 0x0
	v_dual_max_num_f32 v6, v3, v3 :: v_dual_lshlrev_b32 v3, 2, v4
	s_delay_alu instid0(VALU_DEP_1) | instskip(SKIP_4) | instid1(VALU_DEP_1)
	v_dual_max_num_f32 v4, v5, v6 :: v_dual_bitop2_b32 v6, 4, v9 bitop3:0x14
	ds_bpermute_b32 v5, v3, v4
	v_cmp_gt_i32_e32 vcc_lo, 32, v6
	v_cndmask_b32_e32 v6, v9, v6, vcc_lo
	s_wait_dscnt 0x0
	v_dual_max_num_f32 v5, v5, v5 :: v_dual_lshlrev_b32 v6, 2, v6
	s_delay_alu instid0(VALU_DEP_1)
	v_max_num_f32_e32 v5, v4, v5
	v_lshlrev_b32_e32 v4, 2, v1
	v_cmp_eq_u32_e32 vcc_lo, 0, v20
	ds_bpermute_b32 v7, v6, v5
	s_wait_xcnt 0x0
	s_and_saveexec_b32 s0, vcc_lo
	s_cbranch_execz .LBB108_22
; %bb.21:
	s_wait_dscnt 0x0
	v_dual_max_num_f32 v7, v7, v7 :: v_dual_max_num_f32 v5, v5, v5
	s_delay_alu instid0(VALU_DEP_1)
	v_max_num_f32_e32 v5, v5, v7
	ds_store_b32 v4, v5 offset:64
.LBB108_22:
	s_or_b32 exec_lo, exec_lo, s0
	v_cmp_gt_u32_e64 s0, 4, v20
	v_dual_mov_b32 v10, 0xff7fffff :: v_dual_lshlrev_b32 v5, 2, v20
	s_wait_dscnt 0x0
	s_barrier_signal -1
	s_barrier_wait -1
	s_and_saveexec_b32 s1, s0
; %bb.23:
	ds_load_b32 v10, v5 offset:64
; %bb.24:
	s_or_b32 exec_lo, exec_lo, s1
	v_xor_b32_e32 v7, 2, v9
	v_xor_b32_e32 v12, 1, v9
	s_delay_alu instid0(VALU_DEP_2) | instskip(NEXT) | instid1(VALU_DEP_1)
	v_cmp_gt_i32_e64 s1, 32, v7
	v_cndmask_b32_e64 v7, v9, v7, s1
	s_delay_alu instid0(VALU_DEP_3) | instskip(NEXT) | instid1(VALU_DEP_1)
	v_cmp_gt_i32_e64 s1, 32, v12
	v_dual_lshlrev_b32 v7, 2, v7 :: v_dual_cndmask_b32 v9, v9, v12, s1
	s_lshl_b32 s1, s34, 3
	s_delay_alu instid0(SALU_CYCLE_1)
	s_min_i32 s15, s1, s31
	s_wait_dscnt 0x0
	ds_bpermute_b32 v11, v7, v10
	v_max_num_f32_e32 v10, v10, v10
	v_cmp_gt_i32_e64 s1, s15, v0
	s_wait_dscnt 0x0
	v_dual_lshlrev_b32 v9, 2, v9 :: v_dual_max_num_f32 v11, v11, v11
	s_delay_alu instid0(VALU_DEP_1) | instskip(SKIP_3) | instid1(VALU_DEP_1)
	v_max_num_f32_e32 v10, v10, v11
	ds_bpermute_b32 v11, v9, v10
	s_wait_dscnt 0x0
	v_max_num_f32_e32 v11, v11, v11
	v_dual_max_num_f32 v11, v10, v11 :: v_dual_mov_b32 v10, 0
	ds_bpermute_b32 v11, v10, v11
	s_and_saveexec_b32 s24, s1
	s_cbranch_execz .LBB108_28
; %bb.25:
	v_lshl_add_u32 v12, v0, 2, 0x60
	v_dual_mov_b32 v10, 0 :: v_dual_mov_b32 v13, v0
	s_mov_b32 s25, 0
.LBB108_26:                             ; =>This Inner Loop Header: Depth=1
	ds_load_b32 v15, v12
	s_wait_dscnt 0x0
	v_sub_f32_e32 v15, v15, v11
	s_delay_alu instid0(VALU_DEP_1) | instskip(NEXT) | instid1(VALU_DEP_1)
	v_mul_f32_e32 v15, 0x3fb8aa3b, v15
	v_exp_f32_e32 v15, v15
	v_nop
	s_delay_alu instid0(TRANS32_DEP_1) | instskip(NEXT) | instid1(VALU_DEP_1)
	v_dual_add_f32 v10, v10, v15 :: v_dual_add_nc_u32 v13, 0x80, v13
	v_cmp_le_i32_e64 s3, s15, v13
	ds_store_b32 v12, v15
	v_add_nc_u32_e32 v12, 0x200, v12
	s_or_b32 s25, s3, s25
	s_delay_alu instid0(SALU_CYCLE_1)
	s_and_not1_b32 exec_lo, exec_lo, s25
	s_cbranch_execnz .LBB108_26
; %bb.27:
	s_or_b32 exec_lo, exec_lo, s25
.LBB108_28:
	s_delay_alu instid0(SALU_CYCLE_1)
	s_or_b32 exec_lo, exec_lo, s24
	ds_bpermute_b32 v2, v2, v10
	s_wait_dscnt 0x0
	v_add_f32_e32 v2, v10, v2
	ds_bpermute_b32 v3, v3, v2
	s_wait_dscnt 0x0
	v_add_f32_e32 v2, v2, v3
	ds_bpermute_b32 v3, v6, v2
	s_wait_dscnt 0x0
	v_add_f32_e32 v2, v2, v3
	ds_bpermute_b32 v3, v7, v2
	s_wait_dscnt 0x0
	v_add_f32_e32 v2, v2, v3
	ds_bpermute_b32 v3, v9, v2
	s_wait_dscnt 0x0
	v_add_f32_e32 v2, v2, v3
	s_and_saveexec_b32 s3, vcc_lo
; %bb.29:
	ds_store_b32 v4, v2 offset:80
; %bb.30:
	s_or_b32 exec_lo, exec_lo, s3
	s_wait_dscnt 0x0
	s_barrier_signal -1
	s_barrier_wait -1
	s_and_saveexec_b32 s3, s0
; %bb.31:
	ds_load_b32 v2, v5 offset:80
; %bb.32:
	s_or_b32 exec_lo, exec_lo, s3
	s_wait_dscnt 0x0
	ds_bpermute_b32 v3, v7, v2
	s_wait_dscnt 0x0
	v_dual_mov_b32 v21, 0 :: v_dual_add_f32 v2, v2, v3
	ds_bpermute_b32 v3, v9, v2
	s_wait_dscnt 0x0
	v_add_f32_e32 v2, v2, v3
	ds_bpermute_b32 v2, v21, v2
	s_and_saveexec_b32 s0, s1
	s_cbranch_execz .LBB108_45
; %bb.33:
	s_wait_dscnt 0x0
	v_add_f32_e32 v2, 0x358637bd, v2
	s_mov_b32 s3, -1
	s_mov_b32 s1, exec_lo
	s_delay_alu instid0(VALU_DEP_1) | instskip(NEXT) | instid1(VALU_DEP_1)
	v_div_scale_f32 v3, null, v2, v2, 1.0
	v_rcp_f32_e32 v5, v3
	v_nop
	s_delay_alu instid0(TRANS32_DEP_1) | instskip(NEXT) | instid1(VALU_DEP_1)
	v_fma_f32 v4, -v3, v5, 1.0
	v_fmac_f32_e32 v5, v4, v5
	v_div_scale_f32 v6, vcc_lo, 1.0, v2, 1.0
	s_delay_alu instid0(VALU_DEP_1) | instskip(NEXT) | instid1(VALU_DEP_1)
	v_mul_f32_e32 v7, v6, v5
	v_fma_f32 v4, -v3, v7, v6
	s_delay_alu instid0(VALU_DEP_1) | instskip(SKIP_1) | instid1(VALU_DEP_2)
	v_fmac_f32_e32 v7, v4, v5
	v_xad_u32 v4, v0, -1, s15
	v_fma_f32 v3, -v3, v7, v6
	s_delay_alu instid0(VALU_DEP_1) | instskip(NEXT) | instid1(VALU_DEP_1)
	v_div_fmas_f32 v3, v3, v5, v7
	v_div_fixup_f32 v2, v3, v2, 1.0
	v_mov_b32_e32 v3, v0
	v_cmpx_lt_u32_e32 0x7f, v4
	s_cbranch_execz .LBB108_42
; %bb.34:
	s_delay_alu instid0(VALU_DEP_3) | instskip(NEXT) | instid1(VALU_DEP_1)
	v_dual_mov_b32 v3, v2 :: v_dual_lshrrev_b32 v4, 7, v4
	v_dual_mov_b32 v9, 0 :: v_dual_add_nc_u32 v5, -1, v4
	s_delay_alu instid0(VALU_DEP_1) | instskip(SKIP_1) | instid1(VALU_DEP_2)
	v_lshrrev_b32_e32 v6, 1, v5
	v_cmp_lt_u32_e32 vcc_lo, 13, v5
	v_add_nc_u32_e32 v5, 1, v6
	s_and_saveexec_b32 s3, vcc_lo
	s_cbranch_execz .LBB108_38
; %bb.35:
	s_delay_alu instid0(VALU_DEP_1)
	v_and_b32_e32 v6, -8, v5
	v_lshl_add_u32 v7, v0, 2, 0x60
	s_mov_b32 s24, 0
	s_mov_b32 s25, 0
.LBB108_36:                             ; =>This Inner Loop Header: Depth=1
	ds_load_2addr_stride64_b32 v[10:11], v7 offset1:2
	ds_load_2addr_stride64_b32 v[12:13], v7 offset0:4 offset1:6
	ds_load_2addr_stride64_b32 v[16:17], v7 offset0:8 offset1:10
	;; [unrolled: 1-line block ×7, first 2 shown]
	s_add_co_i32 s25, s25, 16
	s_delay_alu instid0(SALU_CYCLE_1) | instskip(NEXT) | instid1(VALU_DEP_1)
	v_dual_mov_b32 v9, s25 :: v_dual_add_nc_u32 v6, -8, v6
	v_cmp_eq_u32_e32 vcc_lo, 0, v6
	s_or_b32 s24, vcc_lo, s24
	s_wait_dscnt 0x7
	v_pk_mul_f32 v[10:11], v[2:3], v[10:11]
	s_wait_dscnt 0x6
	v_pk_mul_f32 v[12:13], v[2:3], v[12:13]
	;; [unrolled: 2-line block ×8, first 2 shown]
	ds_store_2addr_stride64_b32 v7, v10, v11 offset1:2
	ds_store_2addr_stride64_b32 v7, v12, v13 offset0:4 offset1:6
	ds_store_2addr_stride64_b32 v7, v16, v17 offset0:8 offset1:10
	;; [unrolled: 1-line block ×7, first 2 shown]
	v_add_nc_u32_e32 v7, 0x2000, v7
	s_and_not1_b32 exec_lo, exec_lo, s24
	s_cbranch_execnz .LBB108_36
; %bb.37:
	s_or_b32 exec_lo, exec_lo, s24
.LBB108_38:
	s_delay_alu instid0(SALU_CYCLE_1) | instskip(NEXT) | instid1(VALU_DEP_1)
	s_or_b32 exec_lo, exec_lo, s3
	v_and_b32_e32 v5, 7, v5
	s_mov_b32 s24, 0
	s_mov_b32 s3, exec_lo
	s_delay_alu instid0(VALU_DEP_1)
	v_cmpx_ne_u32_e32 0, v5
	s_cbranch_execz .LBB108_41
; %bb.39:
	v_dual_lshlrev_b32 v6, 9, v9 :: v_dual_lshlrev_b32 v7, 2, v0
	s_delay_alu instid0(VALU_DEP_1)
	v_add3_u32 v6, v6, v7, 0x60
.LBB108_40:                             ; =>This Inner Loop Header: Depth=1
	ds_load_2addr_stride64_b32 v[10:11], v6 offset1:2
	v_add_nc_u32_e32 v5, -1, v5
	s_delay_alu instid0(VALU_DEP_1)
	v_cmp_eq_u32_e32 vcc_lo, 0, v5
	s_or_b32 s24, vcc_lo, s24
	s_wait_dscnt 0x0
	v_pk_mul_f32 v[10:11], v[2:3], v[10:11]
	ds_store_2addr_stride64_b32 v6, v10, v11 offset1:2
	v_add_nc_u32_e32 v6, 0x400, v6
	s_and_not1_b32 exec_lo, exec_lo, s24
	s_cbranch_execnz .LBB108_40
.LBB108_41:
	s_or_b32 exec_lo, exec_lo, s3
	v_add_nc_u32_e32 v3, 1, v4
	s_delay_alu instid0(VALU_DEP_1) | instskip(NEXT) | instid1(VALU_DEP_1)
	v_and_b32_e32 v4, 0x3fffffe, v3
	v_cmp_ne_u32_e32 vcc_lo, v3, v4
	v_lshl_add_u32 v3, v4, 7, v0
	s_or_not1_b32 s3, vcc_lo, exec_lo
.LBB108_42:
	s_or_b32 exec_lo, exec_lo, s1
	s_delay_alu instid0(SALU_CYCLE_1)
	s_and_b32 exec_lo, exec_lo, s3
	s_cbranch_execz .LBB108_45
; %bb.43:
	v_lshl_add_u32 v4, v3, 2, 0x60
	s_mov_b32 s1, 0
.LBB108_44:                             ; =>This Inner Loop Header: Depth=1
	ds_load_b32 v5, v4
	v_add_nc_u32_e32 v3, 0x80, v3
	s_delay_alu instid0(VALU_DEP_1)
	v_cmp_le_i32_e32 vcc_lo, s15, v3
	s_or_b32 s1, vcc_lo, s1
	s_wait_dscnt 0x0
	v_mul_f32_e32 v5, v2, v5
	ds_store_b32 v4, v5
	v_add_nc_u32_e32 v4, 0x200, v4
	s_and_not1_b32 exec_lo, exec_lo, s1
	s_cbranch_execnz .LBB108_44
.LBB108_45:
	s_or_b32 exec_lo, exec_lo, s0
	s_wait_dscnt 0x0
	s_barrier_signal -1
	s_barrier_wait -1
	s_and_saveexec_b32 s1, s2
	s_cbranch_execz .LBB108_53
; %bb.46:
	s_abs_i32 s10, s10
	v_dual_mov_b32 v15, 0 :: v_dual_lshlrev_b32 v2, 4, v20
	s_cvt_f32_u32 s0, s10
	s_ashr_i32 s15, s14, 31
	v_and_b32_e32 v4, 0x7c, v8
	v_mov_b32_e32 v23, v1
	v_rcp_iflag_f32_e32 v3, s0
	v_dual_mov_b32 v5, v15 :: v_dual_mov_b32 v21, v15
	s_lshl_b64 s[20:21], s[20:21], 2
	s_lshl_b64 s[14:15], s[14:15], 1
	s_add_nc_u64 s[18:19], s[18:19], s[20:21]
	s_wait_kmcnt 0x0
	s_add_nc_u64 s[14:15], s[22:23], s[14:15]
	v_readfirstlane_b32 s0, v3
	v_mov_b32_e32 v3, v15
	s_sub_co_i32 s24, s8, s9
	s_sub_co_i32 s8, 0, s10
	v_add_nc_u64_e32 v[18:19], s[18:19], v[4:5]
	s_mul_f32 s0, s0, 0x4f7ffffe
	v_add_nc_u64_e32 v[16:17], s[14:15], v[2:3]
	v_lshl_add_u32 v22, v1, 5, 0x60
	s_mov_b32 s9, 0
	s_cvt_u32_f32 s0, s0
	s_ashr_i32 s3, s13, 31
	s_mov_b32 s2, s13
	s_add_co_i32 s13, s34, -1
	s_mul_i32 s8, s8, s0
	s_mov_b32 s14, s31
	s_mul_hi_u32 s8, s0, s8
	s_mov_b32 s15, s9
	s_add_co_i32 s8, s0, s8
	s_branch .LBB108_49
.LBB108_47:                             ;   in Loop: Header=BB108_49 Depth=1
	s_or_b32 exec_lo, exec_lo, s18
	s_wait_dscnt 0x1
	v_cvt_pk_bf16_f32 v10, v10, v11
	v_cvt_pk_bf16_f32 v11, v12, v13
	s_wait_dscnt 0x0
	v_cvt_pk_bf16_f32 v6, v6, v7
	v_cvt_pk_bf16_f32 v7, v8, v9
	s_wait_loadcnt 0x0
	v_pk_mul_bf16 v2, v10, v2
	v_pk_mul_bf16 v3, v11, v3
	;; [unrolled: 1-line block ×4, first 2 shown]
	s_delay_alu instid0(VALU_DEP_3) | instskip(SKIP_4) | instid1(VALU_DEP_3)
	v_dual_lshlrev_b32 v6, 16, v2 :: v_dual_lshlrev_b32 v8, 16, v3
	v_and_b32_e32 v2, 0xffff0000, v2
	v_and_b32_e32 v3, 0xffff0000, v3
	v_lshlrev_b32_e32 v7, 16, v4
	v_and_b32_e32 v4, 0xffff0000, v4
	v_dual_add_f32 v2, v2, v6 :: v_dual_add_f32 v3, v3, v8
	s_delay_alu instid0(VALU_DEP_2) | instskip(NEXT) | instid1(VALU_DEP_2)
	v_dual_lshlrev_b32 v6, 16, v5 :: v_dual_add_f32 v4, v4, v7
	v_add_f32_e32 v2, v3, v2
	v_and_b32_e32 v3, 0xffff0000, v5
	s_delay_alu instid0(VALU_DEP_2) | instskip(NEXT) | instid1(VALU_DEP_2)
	v_add_f32_e32 v2, v4, v2
	v_add_f32_e32 v3, v3, v6
	s_delay_alu instid0(VALU_DEP_1) | instskip(NEXT) | instid1(VALU_DEP_1)
	v_add_f32_e32 v2, v3, v2
	v_add_f32_e32 v21, v21, v2
.LBB108_48:                             ;   in Loop: Header=BB108_49 Depth=1
	s_or_b32 exec_lo, exec_lo, s0
	v_dual_add_nc_u32 v23, 4, v23 :: v_dual_add_nc_u32 v14, 32, v14
	v_add_nc_u64_e32 v[18:19], 16, v[18:19]
	v_add_nc_u32_e32 v22, 0x80, v22
	s_delay_alu instid0(VALU_DEP_3) | instskip(SKIP_1) | instid1(SALU_CYCLE_1)
	v_cmp_le_i32_e32 vcc_lo, s34, v23
	s_or_b32 s15, vcc_lo, s15
	s_and_not1_b32 exec_lo, exec_lo, s15
	s_cbranch_execz .LBB108_52
.LBB108_49:                             ; =>This Inner Loop Header: Depth=1
	v_mul_u64_e32 v[2:3], s[16:17], v[14:15]
	s_delay_alu instid0(VALU_DEP_1) | instskip(NEXT) | instid1(VALU_DEP_1)
	v_mul_lo_u32 v2, v3, s12
	v_dual_add_nc_u32 v4, 1, v3 :: v_dual_sub_nc_u32 v2, v14, v2
	s_delay_alu instid0(VALU_DEP_1) | instskip(SKIP_1) | instid1(VALU_DEP_2)
	v_subrev_nc_u32_e32 v5, s12, v2
	v_cmp_le_u32_e32 vcc_lo, s12, v2
	v_dual_cndmask_b32 v3, v3, v4 :: v_dual_cndmask_b32 v2, v2, v5
	s_delay_alu instid0(VALU_DEP_1) | instskip(NEXT) | instid1(VALU_DEP_2)
	v_add_nc_u32_e32 v4, 1, v3
	v_cmp_le_u32_e32 vcc_lo, s12, v2
	s_delay_alu instid0(VALU_DEP_2) | instskip(NEXT) | instid1(VALU_DEP_1)
	v_cndmask_b32_e32 v2, v3, v4, vcc_lo
	v_dual_mov_b32 v3, v15 :: v_dual_bitop2_b32 v2, s11, v2 bitop3:0x14
	s_delay_alu instid0(VALU_DEP_1) | instskip(NEXT) | instid1(VALU_DEP_1)
	v_subrev_nc_u32_e32 v6, s11, v2
	v_add_nc_u32_e32 v7, s33, v6
	v_cmp_lt_i32_e64 s0, s24, v6
	s_delay_alu instid0(VALU_DEP_2) | instskip(NEXT) | instid1(VALU_DEP_1)
	v_sub_nc_u32_e32 v2, 0, v7
	v_max_i32_e32 v2, v7, v2
	s_delay_alu instid0(VALU_DEP_1) | instskip(SKIP_1) | instid1(VALU_DEP_2)
	v_mul_u64_e32 v[4:5], s[8:9], v[2:3]
	v_ashrrev_i32_e32 v4, 31, v7
	v_mul_lo_u32 v3, v5, s10
	s_delay_alu instid0(VALU_DEP_1) | instskip(NEXT) | instid1(VALU_DEP_1)
	v_sub_nc_u32_e32 v2, v2, v3
	v_subrev_nc_u32_e32 v3, s10, v2
	v_cmp_le_u32_e32 vcc_lo, s10, v2
	s_delay_alu instid0(VALU_DEP_2) | instskip(NEXT) | instid1(VALU_DEP_1)
	v_cndmask_b32_e32 v2, v2, v3, vcc_lo
	v_subrev_nc_u32_e32 v3, s10, v2
	v_cmp_le_u32_e32 vcc_lo, s10, v2
	s_delay_alu instid0(VALU_DEP_2) | instskip(NEXT) | instid1(VALU_DEP_1)
	v_cndmask_b32_e32 v2, v2, v3, vcc_lo
	v_xor_b32_e32 v2, v2, v4
	s_delay_alu instid0(VALU_DEP_1) | instskip(NEXT) | instid1(VALU_DEP_1)
	v_sub_nc_u32_e32 v2, v2, v4
	v_cmp_eq_u32_e32 vcc_lo, 0, v2
	s_or_b32 s18, vcc_lo, s0
	s_delay_alu instid0(SALU_CYCLE_1)
	s_and_saveexec_b32 s0, s18
	s_cbranch_execz .LBB108_48
; %bb.50:                               ;   in Loop: Header=BB108_49 Depth=1
	global_load_b32 v2, v[18:19], off
	s_mov_b32 s18, exec_lo
	s_wait_loadcnt 0x0
	v_ashrrev_i32_e32 v3, 31, v2
	s_delay_alu instid0(VALU_DEP_1) | instskip(NEXT) | instid1(VALU_DEP_1)
	v_mul_u64_e32 v[2:3], s[2:3], v[2:3]
	v_lshl_add_u64 v[2:3], v[2:3], 1, v[16:17]
	global_load_b128 v[2:5], v[2:3], off
	ds_load_2addr_b64 v[10:13], v22 offset1:1
	ds_load_2addr_b64 v[6:9], v22 offset0:2 offset1:3
	s_wait_xcnt 0x0
	v_cmpx_eq_u32_e64 s13, v23
	s_cbranch_execz .LBB108_47
; %bb.51:                               ;   in Loop: Header=BB108_49 Depth=1
	v_dual_add_nc_u32 v24, 1, v14 :: v_dual_bitop2_b32 v26, 2, v14 bitop3:0x54
	s_wait_loadcnt 0x0
	v_dual_lshrrev_b32 v25, 16, v2 :: v_dual_lshrrev_b32 v27, 16, v3
	v_or_b32_e32 v28, 4, v14
	s_delay_alu instid0(VALU_DEP_3) | instskip(SKIP_1) | instid1(VALU_DEP_4)
	v_cmp_gt_i32_e32 vcc_lo, s14, v24
	v_dual_lshrrev_b32 v30, 16, v5 :: v_dual_bitop2_b32 v29, 7, v14 bitop3:0x54
	v_dual_cndmask_b32 v24, 0, v25, vcc_lo :: v_dual_bitop2_b32 v25, 3, v14 bitop3:0x54
	v_cmp_gt_i32_e32 vcc_lo, s31, v14
	v_cndmask_b32_e32 v2, 0, v2, vcc_lo
	v_cmp_gt_i32_e32 vcc_lo, s31, v26
	v_or_b32_e32 v26, 5, v14
	s_delay_alu instid0(VALU_DEP_3)
	v_perm_b32 v2, v24, v2, 0x5040100
	v_cndmask_b32_e32 v3, 0, v3, vcc_lo
	v_cmp_gt_i32_e32 vcc_lo, s14, v25
	v_cndmask_b32_e32 v25, 0, v27, vcc_lo
	v_cmp_gt_i32_e32 vcc_lo, s31, v28
	v_dual_cndmask_b32 v27, 0, v4, vcc_lo :: v_dual_bitop2_b32 v28, 6, v14 bitop3:0x54
	v_lshrrev_b32_e32 v4, 16, v4
	v_cmp_gt_i32_e32 vcc_lo, s14, v26
	v_perm_b32 v3, v25, v3, 0x5040100
	s_delay_alu instid0(VALU_DEP_3) | instskip(SKIP_3) | instid1(VALU_DEP_4)
	v_cndmask_b32_e32 v4, 0, v4, vcc_lo
	v_cmp_gt_i32_e32 vcc_lo, s31, v28
	v_cndmask_b32_e32 v5, 0, v5, vcc_lo
	v_cmp_gt_i32_e32 vcc_lo, s14, v29
	v_perm_b32 v4, v4, v27, 0x5040100
	v_cndmask_b32_e32 v26, 0, v30, vcc_lo
	s_delay_alu instid0(VALU_DEP_1)
	v_perm_b32 v5, v26, v5, 0x5040100
	s_branch .LBB108_47
.LBB108_52:
	s_or_b32 exec_lo, exec_lo, s15
.LBB108_53:
	s_delay_alu instid0(SALU_CYCLE_1)
	s_or_b32 exec_lo, exec_lo, s1
	v_and_b32_e32 v3, 0x3c0, v0
	v_lshl_add_u32 v2, v20, 2, 0x60
	s_mov_b32 s0, exec_lo
	s_barrier_signal -1
	s_barrier_wait -1
	v_cmpx_eq_u32_e32 64, v3
; %bb.54:
	v_lshlrev_b32_e32 v1, 7, v1
	s_delay_alu instid0(VALU_DEP_1)
	v_add3_u32 v1, v2, v1, 0xffffff00
	ds_store_b32 v1, v21
; %bb.55:
	s_or_b32 exec_lo, exec_lo, s0
	v_and_b32_e32 v3, 0x3e0, v0
	s_mov_b32 s0, exec_lo
	s_wait_dscnt 0x0
	s_barrier_signal -1
	s_barrier_wait -1
	v_lshl_add_u32 v1, v3, 2, v2
	v_cmpx_gt_u32_e32 64, v0
	s_cbranch_execz .LBB108_57
; %bb.56:
	ds_load_b32 v4, v1
	s_wait_dscnt 0x0
	v_add_f32_e32 v21, v21, v4
.LBB108_57:
	s_or_b32 exec_lo, exec_lo, s0
	s_delay_alu instid0(SALU_CYCLE_1)
	s_mov_b32 s0, exec_lo
	s_barrier_signal -1
	s_barrier_wait -1
	v_cmpx_eq_u32_e32 32, v3
; %bb.58:
	ds_store_b32 v2, v21
; %bb.59:
	s_or_b32 exec_lo, exec_lo, s0
	v_cmp_gt_u32_e32 vcc_lo, 32, v0
	s_wait_dscnt 0x0
	s_barrier_signal -1
	s_barrier_wait -1
	s_and_saveexec_b32 s0, vcc_lo
	s_cbranch_execz .LBB108_61
; %bb.60:
	ds_load_b32 v0, v1
	s_wait_dscnt 0x0
	v_add_f32_e32 v21, v21, v0
.LBB108_61:
	s_or_b32 exec_lo, exec_lo, s0
	s_barrier_signal -1
	s_barrier_wait -1
	s_and_saveexec_b32 s0, vcc_lo
	s_cbranch_execz .LBB108_63
; %bb.62:
	s_mul_i32 s1, s30, s7
	s_mul_i32 s0, s7, s6
	;; [unrolled: 1-line block ×3, first 2 shown]
	s_bfe_u32 s7, ttmp6, 0x40014
	s_lshl_b32 s2, s1, 5
	s_lshr_b32 s6, ttmp7, 16
	s_ashr_i32 s3, s2, 31
	s_add_co_i32 s7, s7, 1
	s_lshl_b64 s[2:3], s[2:3], 1
	s_ashr_i32 s1, s0, 31
	s_wait_kmcnt 0x0
	s_add_nc_u64 s[2:3], s[4:5], s[2:3]
	s_mul_i32 s4, s6, s7
	s_bfe_u32 s5, ttmp6, 0x40008
	s_lshl_b64 s[0:1], s[0:1], 1
	s_add_co_i32 s5, s5, s4
	s_cmp_eq_u32 s28, 0
	s_add_nc_u64 s[0:1], s[2:3], s[0:1]
	s_cselect_b32 s2, s6, s5
	v_cvt_pk_bf16_f32 v0, v21, s0
	s_mov_b32 s3, 0
	s_lshl_b32 s2, s2, 6
	s_delay_alu instid0(SALU_CYCLE_1)
	s_add_nc_u64 s[0:1], s[0:1], s[2:3]
	global_store_b16 v20, v0, s[0:1] scale_offset
.LBB108_63:
	s_endpgm
	.section	.rodata,"a",@progbits
	.p2align	6, 0x0
	.amdhsa_kernel _ZN4vllm25paged_attention_v1_kernelI14__hip_bfloat16S1_Li32ELi8ELi128ELNS_18Fp8KVCacheDataTypeE0ELb1EEEvPT_PKS3_PKT0_S9_ifPKiSB_iPKfiiiSD_SD_iiiii
		.amdhsa_group_segment_fixed_size 96
		.amdhsa_private_segment_fixed_size 0
		.amdhsa_kernarg_size 384
		.amdhsa_user_sgpr_count 2
		.amdhsa_user_sgpr_dispatch_ptr 0
		.amdhsa_user_sgpr_queue_ptr 0
		.amdhsa_user_sgpr_kernarg_segment_ptr 1
		.amdhsa_user_sgpr_dispatch_id 0
		.amdhsa_user_sgpr_kernarg_preload_length 0
		.amdhsa_user_sgpr_kernarg_preload_offset 0
		.amdhsa_user_sgpr_private_segment_size 0
		.amdhsa_wavefront_size32 1
		.amdhsa_uses_dynamic_stack 0
		.amdhsa_enable_private_segment 0
		.amdhsa_system_sgpr_workgroup_id_x 1
		.amdhsa_system_sgpr_workgroup_id_y 1
		.amdhsa_system_sgpr_workgroup_id_z 1
		.amdhsa_system_sgpr_workgroup_info 0
		.amdhsa_system_vgpr_workitem_id 0
		.amdhsa_next_free_vgpr 31
		.amdhsa_next_free_sgpr 40
		.amdhsa_named_barrier_count 0
		.amdhsa_reserve_vcc 1
		.amdhsa_float_round_mode_32 0
		.amdhsa_float_round_mode_16_64 0
		.amdhsa_float_denorm_mode_32 3
		.amdhsa_float_denorm_mode_16_64 3
		.amdhsa_fp16_overflow 0
		.amdhsa_memory_ordered 1
		.amdhsa_forward_progress 1
		.amdhsa_inst_pref_size 36
		.amdhsa_round_robin_scheduling 0
		.amdhsa_exception_fp_ieee_invalid_op 0
		.amdhsa_exception_fp_denorm_src 0
		.amdhsa_exception_fp_ieee_div_zero 0
		.amdhsa_exception_fp_ieee_overflow 0
		.amdhsa_exception_fp_ieee_underflow 0
		.amdhsa_exception_fp_ieee_inexact 0
		.amdhsa_exception_int_div_zero 0
	.end_amdhsa_kernel
	.section	.text._ZN4vllm25paged_attention_v1_kernelI14__hip_bfloat16S1_Li32ELi8ELi128ELNS_18Fp8KVCacheDataTypeE0ELb1EEEvPT_PKS3_PKT0_S9_ifPKiSB_iPKfiiiSD_SD_iiiii,"axG",@progbits,_ZN4vllm25paged_attention_v1_kernelI14__hip_bfloat16S1_Li32ELi8ELi128ELNS_18Fp8KVCacheDataTypeE0ELb1EEEvPT_PKS3_PKT0_S9_ifPKiSB_iPKfiiiSD_SD_iiiii,comdat
.Lfunc_end108:
	.size	_ZN4vllm25paged_attention_v1_kernelI14__hip_bfloat16S1_Li32ELi8ELi128ELNS_18Fp8KVCacheDataTypeE0ELb1EEEvPT_PKS3_PKT0_S9_ifPKiSB_iPKfiiiSD_SD_iiiii, .Lfunc_end108-_ZN4vllm25paged_attention_v1_kernelI14__hip_bfloat16S1_Li32ELi8ELi128ELNS_18Fp8KVCacheDataTypeE0ELb1EEEvPT_PKS3_PKT0_S9_ifPKiSB_iPKfiiiSD_SD_iiiii
                                        ; -- End function
	.set _ZN4vllm25paged_attention_v1_kernelI14__hip_bfloat16S1_Li32ELi8ELi128ELNS_18Fp8KVCacheDataTypeE0ELb1EEEvPT_PKS3_PKT0_S9_ifPKiSB_iPKfiiiSD_SD_iiiii.num_vgpr, 31
	.set _ZN4vllm25paged_attention_v1_kernelI14__hip_bfloat16S1_Li32ELi8ELi128ELNS_18Fp8KVCacheDataTypeE0ELb1EEEvPT_PKS3_PKT0_S9_ifPKiSB_iPKfiiiSD_SD_iiiii.num_agpr, 0
	.set _ZN4vllm25paged_attention_v1_kernelI14__hip_bfloat16S1_Li32ELi8ELi128ELNS_18Fp8KVCacheDataTypeE0ELb1EEEvPT_PKS3_PKT0_S9_ifPKiSB_iPKfiiiSD_SD_iiiii.numbered_sgpr, 40
	.set _ZN4vllm25paged_attention_v1_kernelI14__hip_bfloat16S1_Li32ELi8ELi128ELNS_18Fp8KVCacheDataTypeE0ELb1EEEvPT_PKS3_PKT0_S9_ifPKiSB_iPKfiiiSD_SD_iiiii.num_named_barrier, 0
	.set _ZN4vllm25paged_attention_v1_kernelI14__hip_bfloat16S1_Li32ELi8ELi128ELNS_18Fp8KVCacheDataTypeE0ELb1EEEvPT_PKS3_PKT0_S9_ifPKiSB_iPKfiiiSD_SD_iiiii.private_seg_size, 0
	.set _ZN4vllm25paged_attention_v1_kernelI14__hip_bfloat16S1_Li32ELi8ELi128ELNS_18Fp8KVCacheDataTypeE0ELb1EEEvPT_PKS3_PKT0_S9_ifPKiSB_iPKfiiiSD_SD_iiiii.uses_vcc, 1
	.set _ZN4vllm25paged_attention_v1_kernelI14__hip_bfloat16S1_Li32ELi8ELi128ELNS_18Fp8KVCacheDataTypeE0ELb1EEEvPT_PKS3_PKT0_S9_ifPKiSB_iPKfiiiSD_SD_iiiii.uses_flat_scratch, 0
	.set _ZN4vllm25paged_attention_v1_kernelI14__hip_bfloat16S1_Li32ELi8ELi128ELNS_18Fp8KVCacheDataTypeE0ELb1EEEvPT_PKS3_PKT0_S9_ifPKiSB_iPKfiiiSD_SD_iiiii.has_dyn_sized_stack, 0
	.set _ZN4vllm25paged_attention_v1_kernelI14__hip_bfloat16S1_Li32ELi8ELi128ELNS_18Fp8KVCacheDataTypeE0ELb1EEEvPT_PKS3_PKT0_S9_ifPKiSB_iPKfiiiSD_SD_iiiii.has_recursion, 0
	.set _ZN4vllm25paged_attention_v1_kernelI14__hip_bfloat16S1_Li32ELi8ELi128ELNS_18Fp8KVCacheDataTypeE0ELb1EEEvPT_PKS3_PKT0_S9_ifPKiSB_iPKfiiiSD_SD_iiiii.has_indirect_call, 0
	.section	.AMDGPU.csdata,"",@progbits
; Kernel info:
; codeLenInByte = 4596
; TotalNumSgprs: 42
; NumVgprs: 31
; ScratchSize: 0
; MemoryBound: 0
; FloatMode: 240
; IeeeMode: 1
; LDSByteSize: 96 bytes/workgroup (compile time only)
; SGPRBlocks: 0
; VGPRBlocks: 1
; NumSGPRsForWavesPerEU: 42
; NumVGPRsForWavesPerEU: 31
; NamedBarCnt: 0
; Occupancy: 16
; WaveLimiterHint : 1
; COMPUTE_PGM_RSRC2:SCRATCH_EN: 0
; COMPUTE_PGM_RSRC2:USER_SGPR: 2
; COMPUTE_PGM_RSRC2:TRAP_HANDLER: 0
; COMPUTE_PGM_RSRC2:TGID_X_EN: 1
; COMPUTE_PGM_RSRC2:TGID_Y_EN: 1
; COMPUTE_PGM_RSRC2:TGID_Z_EN: 1
; COMPUTE_PGM_RSRC2:TIDIG_COMP_CNT: 0
	.section	.text._ZN4vllm25paged_attention_v1_kernelI14__hip_bfloat16S1_Li64ELi8ELi128ELNS_18Fp8KVCacheDataTypeE0ELb1EEEvPT_PKS3_PKT0_S9_ifPKiSB_iPKfiiiSD_SD_iiiii,"axG",@progbits,_ZN4vllm25paged_attention_v1_kernelI14__hip_bfloat16S1_Li64ELi8ELi128ELNS_18Fp8KVCacheDataTypeE0ELb1EEEvPT_PKS3_PKT0_S9_ifPKiSB_iPKfiiiSD_SD_iiiii,comdat
	.protected	_ZN4vllm25paged_attention_v1_kernelI14__hip_bfloat16S1_Li64ELi8ELi128ELNS_18Fp8KVCacheDataTypeE0ELb1EEEvPT_PKS3_PKT0_S9_ifPKiSB_iPKfiiiSD_SD_iiiii ; -- Begin function _ZN4vllm25paged_attention_v1_kernelI14__hip_bfloat16S1_Li64ELi8ELi128ELNS_18Fp8KVCacheDataTypeE0ELb1EEEvPT_PKS3_PKT0_S9_ifPKiSB_iPKfiiiSD_SD_iiiii
	.globl	_ZN4vllm25paged_attention_v1_kernelI14__hip_bfloat16S1_Li64ELi8ELi128ELNS_18Fp8KVCacheDataTypeE0ELb1EEEvPT_PKS3_PKT0_S9_ifPKiSB_iPKfiiiSD_SD_iiiii
	.p2align	8
	.type	_ZN4vllm25paged_attention_v1_kernelI14__hip_bfloat16S1_Li64ELi8ELi128ELNS_18Fp8KVCacheDataTypeE0ELb1EEEvPT_PKS3_PKT0_S9_ifPKiSB_iPKfiiiSD_SD_iiiii,@function
_ZN4vllm25paged_attention_v1_kernelI14__hip_bfloat16S1_Li64ELi8ELi128ELNS_18Fp8KVCacheDataTypeE0ELb1EEEvPT_PKS3_PKT0_S9_ifPKiSB_iPKfiiiSD_SD_iiiii: ; @_ZN4vllm25paged_attention_v1_kernelI14__hip_bfloat16S1_Li64ELi8ELi128ELNS_18Fp8KVCacheDataTypeE0ELb1EEEvPT_PKS3_PKT0_S9_ifPKiSB_iPKfiiiSD_SD_iiiii
; %bb.0:
	s_load_b64 s[6:7], s[0:1], 0x20
	s_bfe_u32 s3, ttmp6, 0x4000c
	s_bfe_u32 s5, ttmp6, 0x40010
	s_and_b32 s4, ttmp7, 0xffff
	s_add_co_i32 s3, s3, 1
	s_add_co_i32 s5, s5, 1
	s_and_b32 s2, ttmp6, 15
	s_bfe_u32 s8, ttmp6, 0x40004
	s_mul_i32 s3, ttmp9, s3
	s_mul_i32 s5, s4, s5
	s_getreg_b32 s28, hwreg(HW_REG_IB_STS2, 6, 4)
	s_add_co_i32 s9, s2, s3
	s_add_co_i32 s8, s8, s5
	s_cmp_eq_u32 s28, 0
	s_clause 0x1
	s_load_b32 s29, s[0:1], 0x80
	s_load_b64 s[2:3], s[0:1], 0x30
	s_cselect_b32 s30, s4, s8
	s_cselect_b32 s4, ttmp9, s9
	s_mov_b32 s19, 0
	s_delay_alu instid0(SALU_CYCLE_1) | instskip(SKIP_2) | instid1(SALU_CYCLE_1)
	s_mov_b32 s35, s19
	s_wait_kmcnt 0x0
	s_abs_i32 s5, s6
	s_cvt_f32_u32 s8, s5
	s_sub_co_i32 s9, 0, s5
	s_delay_alu instid0(SALU_CYCLE_2) | instskip(SKIP_2) | instid1(TRANS32_DEP_1)
	v_rcp_iflag_f32_e32 v1, s8
	s_abs_i32 s10, s29
	v_nop
	v_readfirstlane_b32 s8, v1
	s_mul_f32 s8, s8, 0x4f7ffffe
	s_delay_alu instid0(SALU_CYCLE_3) | instskip(NEXT) | instid1(SALU_CYCLE_3)
	s_cvt_u32_f32 s8, s8
	s_mul_i32 s9, s9, s8
	s_delay_alu instid0(SALU_CYCLE_1) | instskip(NEXT) | instid1(SALU_CYCLE_1)
	s_mul_hi_u32 s9, s8, s9
	s_add_co_i32 s8, s8, s9
	s_xor_b32 s9, s29, s6
	s_mul_hi_u32 s8, s10, s8
	s_ashr_i32 s9, s9, 31
	s_mul_i32 s11, s8, s5
	s_delay_alu instid0(SALU_CYCLE_1)
	s_sub_co_i32 s10, s10, s11
	s_add_co_i32 s11, s8, 1
	s_sub_co_i32 s12, s10, s5
	s_cmp_ge_u32 s10, s5
	s_cselect_b32 s8, s11, s8
	s_cselect_b32 s10, s12, s10
	s_add_co_i32 s11, s8, 1
	s_cmp_ge_u32 s10, s5
	s_cselect_b32 s5, s11, s8
	s_load_b64 s[10:11], s[0:1], 0x40
	s_xor_b32 s5, s5, s9
	s_abs_i32 s18, s4
	s_sub_co_i32 s16, s5, s9
	s_mov_b32 s9, s19
	s_abs_i32 s15, s16
	s_delay_alu instid0(SALU_CYCLE_1) | instskip(SKIP_1) | instid1(SALU_CYCLE_2)
	s_cvt_f32_u32 s5, s15
	s_sub_co_i32 s8, 0, s15
	v_rcp_iflag_f32_e32 v1, s5
	v_nop
	s_delay_alu instid0(TRANS32_DEP_1) | instskip(SKIP_1) | instid1(SALU_CYCLE_3)
	v_readfirstlane_b32 s5, v1
	s_mul_f32 s5, s5, 0x4f7ffffe
	s_cvt_u32_f32 s5, s5
	s_delay_alu instid0(SALU_CYCLE_3) | instskip(NEXT) | instid1(SALU_CYCLE_1)
	s_mul_i32 s8, s8, s5
	s_mul_hi_u32 s8, s5, s8
	s_delay_alu instid0(SALU_CYCLE_1)
	s_add_co_i32 s8, s5, s8
	s_wait_kmcnt 0x0
	s_cmp_eq_u64 s[10:11], 0
	s_cbranch_scc1 .LBB109_2
; %bb.1:
	s_ashr_i32 s5, s4, 31
	s_delay_alu instid0(SALU_CYCLE_1) | instskip(NEXT) | instid1(SALU_CYCLE_1)
	s_lshl_b64 s[12:13], s[4:5], 2
	s_add_nc_u64 s[10:11], s[10:11], s[12:13]
	s_load_b32 s35, s[10:11], 0x0
.LBB109_2:
	s_load_b32 s31, s[2:3], s30 offset:0x0 scale_offset
	s_load_b96 s[12:14], s[0:1], 0x48
	v_and_b32_e32 v4, 3, v0
	s_wait_xcnt 0x0
	v_cmp_gt_u32_e64 s2, 32, v0
	s_ashr_i32 s3, s4, 31
	s_ashr_i32 s5, s16, 31
	s_mul_u64 s[20:21], s[18:19], s[8:9]
	s_lshl_b32 s16, s4, 6
	s_and_saveexec_b32 s8, s2
	s_cbranch_execz .LBB109_4
; %bb.3:
	s_load_b64 s[10:11], s[0:1], 0x8
	s_wait_kmcnt 0x0
	s_mul_i32 s22, s12, s30
	s_ashr_i32 s17, s16, 31
	s_ashr_i32 s23, s22, 31
	v_and_b32_e32 v2, 0x3fc, v0
	s_lshl_b64 s[22:23], s[22:23], 1
	s_delay_alu instid0(VALU_DEP_1) | instskip(SKIP_2) | instid1(SALU_CYCLE_1)
	v_lshl_add_u32 v2, v4, 5, v2
	s_add_nc_u64 s[10:11], s[10:11], s[22:23]
	s_lshl_b64 s[22:23], s[16:17], 1
	s_add_nc_u64 s[10:11], s[10:11], s[22:23]
	global_load_b32 v1, v0, s[10:11] scale_offset
	s_wait_loadcnt 0x0
	ds_store_b32 v2, v1
.LBB109_4:
	s_or_b32 exec_lo, exec_lo, s8
	s_load_b128 s[8:11], s[0:1], 0x68
	s_wait_kmcnt 0x0
	s_mul_i32 s12, s21, s15
	s_xor_b32 s5, s3, s5
	s_sub_co_i32 s3, s18, s12
	s_add_co_i32 s12, s21, 1
	s_sub_co_i32 s17, s3, s15
	s_cmp_ge_u32 s3, s15
	s_mov_b32 s22, -1
	s_cselect_b32 s12, s12, s21
	s_cselect_b32 s3, s17, s3
	s_add_co_i32 s17, s12, 1
	s_cmp_ge_u32 s3, s15
	s_load_b32 s3, s[0:1], 0x78
	s_cselect_b32 s15, s17, s12
	s_mov_b32 s21, 0
	s_xor_b32 s15, s15, s5
	s_mov_b32 s19, s21
	s_sub_co_i32 s5, s15, s5
	s_wait_dscnt 0x0
	s_barrier_signal -1
	s_abs_i32 s12, s11
	s_barrier_wait -1
	s_cvt_f32_u32 s17, s12
	s_sub_co_i32 s18, 0, s12
	s_delay_alu instid0(SALU_CYCLE_2) | instskip(SKIP_1) | instid1(TRANS32_DEP_1)
	v_rcp_iflag_f32_e32 v1, s17
	v_nop
	v_readfirstlane_b32 s17, v1
	s_mul_f32 s15, s17, 0x4f7ffffe
	s_delay_alu instid0(SALU_CYCLE_3) | instskip(SKIP_1) | instid1(SALU_CYCLE_1)
	s_cvt_u32_f32 s17, s15
	s_add_co_i32 s15, s31, -1
	s_abs_i32 s20, s15
	s_delay_alu instid0(SALU_CYCLE_1) | instskip(NEXT) | instid1(SALU_CYCLE_1)
	s_mul_i32 s18, s18, s17
	s_mul_hi_u32 s18, s17, s18
	s_delay_alu instid0(SALU_CYCLE_1)
	s_add_co_i32 s18, s17, s18
	s_wait_kmcnt 0x0
	s_cmp_lt_i32 s3, 0
                                        ; implicit-def: $sgpr17
	s_cbranch_scc0 .LBB109_6
; %bb.5:
	s_mul_i32 s6, s8, s6
	s_mov_b32 s22, s21
	s_add_co_i32 s6, s5, s6
	s_delay_alu instid0(SALU_CYCLE_1) | instskip(NEXT) | instid1(SALU_CYCLE_1)
	s_mul_i32 s6, s6, s3
	s_sub_co_i32 s17, 1, s6
.LBB109_6:
	s_ashr_i32 s6, s15, 31
	s_ashr_i32 s33, s11, 31
	s_and_not1_b32 vcc_lo, exec_lo, s22
	s_mul_u64 s[24:25], s[20:21], s[18:19]
	s_cbranch_vccnz .LBB109_8
; %bb.7:
	s_mul_i32 s8, s29, s8
	s_delay_alu instid0(SALU_CYCLE_1) | instskip(NEXT) | instid1(SALU_CYCLE_1)
	s_add_co_i32 s4, s8, s4
	s_mul_i32 s3, s4, s3
	s_delay_alu instid0(SALU_CYCLE_1)
	s_add_co_i32 s17, s3, 1
.LBB109_8:
	s_load_b32 s3, s[0:1], 0x38
	s_xor_b32 s4, s6, s33
	s_mul_i32 s6, s25, s12
	s_add_co_i32 s8, s25, 1
	s_sub_co_i32 s6, s20, s6
	s_clause 0x1
	s_load_b64 s[20:21], s[0:1], 0x28
	s_load_b32 s11, s[0:1], 0x88
	v_dual_mov_b32 v12, 0xff7fffff :: v_dual_lshrrev_b32 v1, 5, v0
	v_lshrrev_b32_e32 v8, 3, v0
	v_mbcnt_lo_u32_b32 v9, -1, 0
	s_mul_i32 s14, s5, s14
	s_delay_alu instid0(VALU_DEP_3)
	v_lshlrev_b32_e32 v18, 3, v1
	s_wait_kmcnt 0x0
	s_mul_i32 s22, s3, s30
	s_sub_co_i32 s3, s6, s12
	s_ashr_i32 s23, s22, 31
	s_cmp_ge_u32 s6, s12
	s_cselect_b32 s8, s8, s25
	s_cselect_b32 s3, s3, s6
	s_add_co_i32 s6, s8, 1
	s_cmp_ge_u32 s3, s12
	s_cselect_b32 s3, s6, s8
	s_add_co_i32 s6, s31, 7
	s_delay_alu instid0(SALU_CYCLE_1) | instskip(NEXT) | instid1(SALU_CYCLE_1)
	s_ashr_i32 s8, s6, 31
	s_lshr_b32 s8, s8, 29
	s_delay_alu instid0(SALU_CYCLE_1) | instskip(NEXT) | instid1(SALU_CYCLE_1)
	s_add_co_i32 s6, s6, s8
	s_ashr_i32 s34, s6, 3
	s_xor_b32 s6, s3, s4
	v_cmp_gt_i32_e64 s3, s34, v1
	s_sub_co_i32 s8, s6, s4
	s_and_saveexec_b32 s36, s3
	s_cbranch_execz .LBB109_20
; %bb.9:
	s_load_b64 s[38:39], s[0:1], 0x10
	s_ashr_i32 s15, s14, 31
	s_sub_co_i32 s37, s8, s9
	s_ashr_i32 s25, s13, 31
	s_lshl_b64 s[40:41], s[14:15], 1
	s_cmp_neq_f32 s35, 0
	v_bfe_u32 v10, v0, 2, 3
	v_mov_b32_e32 v3, 0
	v_mov_b32_e32 v15, 0xff7fffff
	s_cselect_b32 vcc_lo, -1, 0
	s_abs_i32 s15, s10
	v_lshlrev_b32_e32 v2, 4, v10
	s_cvt_f32_u32 s4, s15
	v_subrev_nc_u32_e32 v7, s31, v10
	v_lshlrev_b32_e32 v6, 2, v0
	s_sub_co_i32 s6, 0, s15
	v_rcp_iflag_f32_e32 v5, s4
	v_cmp_eq_u32_e64 s4, 0, v4
	v_dual_add_nc_u32 v13, 1, v7 :: v_dual_lshlrev_b32 v11, 5, v4
	s_wait_kmcnt 0x0
	s_add_nc_u64 s[38:39], s[38:39], s[40:41]
	v_xor_b32_e32 v16, 2, v9
	v_xor_b32_e32 v17, 1, v9
	v_readfirstlane_b32 s5, v5
	v_add_nc_u64_e32 v[4:5], s[38:39], v[2:3]
	v_and_b32_e32 v2, 12, v6
	v_lshlrev_b32_e32 v6, 2, v10
	s_lshl_b64 s[38:39], s[22:23], 2
	s_mul_f32 s5, s5, 0x4f7ffffe
	s_add_nc_u64 s[38:39], s[20:21], s[38:39]
	s_mov_b32 s27, 0
	v_add_nc_u64_e32 v[4:5], v[4:5], v[2:3]
	v_and_b32_e32 v2, 0x7c, v8
	s_cvt_u32_f32 s5, s5
	v_lshl_or_b32 v12, v1, 5, v6
	v_mov_b32_e32 v19, v1
	s_mov_b32 s24, s13
	v_add_nc_u64_e32 v[6:7], s[38:39], v[2:3]
	s_mul_i32 s6, s6, s5
	v_lshlrev_b32_e32 v2, 3, v1
	v_add_nc_u32_e32 v14, 0xa0, v12
	v_mov_b32_e32 v12, 0xff7fffff
	s_mul_hi_u32 s6, s5, s6
	s_mov_b32 s38, s27
	s_add_co_i32 s26, s5, s6
	s_branch .LBB109_12
.LBB109_10:                             ;   in Loop: Header=BB109_12 Depth=1
	s_or_b32 exec_lo, exec_lo, s39
.LBB109_11:                             ;   in Loop: Header=BB109_12 Depth=1
	s_delay_alu instid0(SALU_CYCLE_1) | instskip(SKIP_3) | instid1(VALU_DEP_3)
	s_or_b32 exec_lo, exec_lo, s6
	v_dual_add_nc_u32 v19, 4, v19 :: v_dual_add_nc_u32 v2, 32, v2
	v_add_nc_u64_e32 v[6:7], 16, v[6:7]
	v_add_nc_u32_e32 v14, 0x80, v14
	v_cmp_le_i32_e64 s5, s34, v19
	s_or_b32 s38, s5, s38
	s_delay_alu instid0(SALU_CYCLE_1)
	s_and_not1_b32 exec_lo, exec_lo, s38
	s_cbranch_execz .LBB109_19
.LBB109_12:                             ; =>This Inner Loop Header: Depth=1
	s_wait_dscnt 0x0
	v_mul_u64_e32 v[20:21], s[18:19], v[2:3]
	s_delay_alu instid0(VALU_DEP_1) | instskip(NEXT) | instid1(VALU_DEP_1)
	v_mul_lo_u32 v20, v21, s12
	v_dual_add_nc_u32 v22, 1, v21 :: v_dual_sub_nc_u32 v20, v2, v20
	s_delay_alu instid0(VALU_DEP_1) | instskip(SKIP_1) | instid1(VALU_DEP_1)
	v_subrev_nc_u32_e32 v23, s12, v20
	v_cmp_le_u32_e64 s5, s12, v20
	v_dual_cndmask_b32 v21, v21, v22, s5 :: v_dual_cndmask_b32 v20, v20, v23, s5
	s_delay_alu instid0(VALU_DEP_1) | instskip(NEXT) | instid1(VALU_DEP_2)
	v_add_nc_u32_e32 v22, 1, v21
	v_cmp_le_u32_e64 s5, s12, v20
	s_delay_alu instid0(VALU_DEP_1) | instskip(NEXT) | instid1(VALU_DEP_1)
	v_dual_cndmask_b32 v20, v21, v22, s5 :: v_dual_mov_b32 v21, v3
	v_xor_b32_e32 v20, s33, v20
	s_delay_alu instid0(VALU_DEP_1) | instskip(NEXT) | instid1(VALU_DEP_1)
	v_subrev_nc_u32_e32 v24, s33, v20
	v_add_nc_u32_e32 v25, s17, v24
	v_cmp_ge_i32_e64 s6, s37, v24
	s_delay_alu instid0(VALU_DEP_2) | instskip(NEXT) | instid1(VALU_DEP_1)
	v_sub_nc_u32_e32 v20, 0, v25
	v_max_i32_e32 v20, v25, v20
	s_delay_alu instid0(VALU_DEP_1) | instskip(SKIP_1) | instid1(VALU_DEP_2)
	v_mul_u64_e32 v[22:23], s[26:27], v[20:21]
	v_ashrrev_i32_e32 v22, 31, v25
	v_mul_lo_u32 v21, v23, s15
	s_delay_alu instid0(VALU_DEP_1) | instskip(NEXT) | instid1(VALU_DEP_1)
	v_sub_nc_u32_e32 v20, v20, v21
	v_subrev_nc_u32_e32 v21, s15, v20
	v_cmp_le_u32_e64 s5, s15, v20
	s_delay_alu instid0(VALU_DEP_1) | instskip(NEXT) | instid1(VALU_DEP_1)
	v_cndmask_b32_e64 v20, v20, v21, s5
	v_subrev_nc_u32_e32 v21, s15, v20
	v_cmp_le_u32_e64 s5, s15, v20
	s_delay_alu instid0(VALU_DEP_1) | instskip(NEXT) | instid1(VALU_DEP_1)
	v_cndmask_b32_e64 v20, v20, v21, s5
	v_xor_b32_e32 v20, v20, v22
	s_delay_alu instid0(VALU_DEP_1) | instskip(NEXT) | instid1(VALU_DEP_1)
	v_sub_nc_u32_e32 v20, v20, v22
	v_cmp_ne_u32_e64 s5, 0, v20
	s_and_b32 s5, s5, s6
	s_delay_alu instid0(SALU_CYCLE_1) | instskip(NEXT) | instid1(SALU_CYCLE_1)
	s_and_saveexec_b32 s6, s5
	s_xor_b32 s5, exec_lo, s6
	s_cbranch_execz .LBB109_16
; %bb.13:                               ;   in Loop: Header=BB109_12 Depth=1
	s_and_saveexec_b32 s6, s4
; %bb.14:                               ;   in Loop: Header=BB109_12 Depth=1
	ds_store_b32 v14, v15
; %bb.15:                               ;   in Loop: Header=BB109_12 Depth=1
	s_or_b32 exec_lo, exec_lo, s6
.LBB109_16:                             ;   in Loop: Header=BB109_12 Depth=1
	s_and_not1_saveexec_b32 s6, s5
	s_cbranch_execz .LBB109_11
; %bb.17:                               ;   in Loop: Header=BB109_12 Depth=1
	global_load_b32 v20, v[6:7], off
	v_cmp_gt_i32_e64 s5, 32, v16
	s_wait_loadcnt 0x0
	v_ashrrev_i32_e32 v21, 31, v20
	s_delay_alu instid0(VALU_DEP_1) | instskip(NEXT) | instid1(VALU_DEP_1)
	v_mul_u64_e32 v[20:21], s[24:25], v[20:21]
	v_lshl_add_u64 v[20:21], v[20:21], 1, v[4:5]
	s_clause 0x7
	global_load_b32 v28, v[20:21], off offset:128
	global_load_b32 v29, v[20:21], off
	global_load_b32 v30, v[20:21], off offset:256
	global_load_b32 v31, v[20:21], off offset:384
	global_load_b32 v32, v[20:21], off offset:512
	global_load_b32 v33, v[20:21], off offset:640
	global_load_b32 v34, v[20:21], off offset:768
	global_load_b32 v35, v[20:21], off offset:896
	s_wait_xcnt 0x0
	ds_load_b128 v[20:23], v11
	ds_load_b128 v[24:27], v11 offset:16
	s_wait_dscnt 0x1
	v_lshlrev_b32_e32 v36, 16, v21
	v_and_b32_e32 v21, 0xffff0000, v21
	s_wait_loadcnt 0x7
	v_lshlrev_b32_e32 v37, 16, v28
	v_and_b32_e32 v28, 0xffff0000, v28
	s_delay_alu instid0(VALU_DEP_1) | instskip(SKIP_1) | instid1(VALU_DEP_1)
	v_dual_mul_f32 v36, v36, v37 :: v_dual_mul_f32 v21, v21, v28
	s_wait_loadcnt 0x6
	v_fma_mix_f32_bf16 v28, v20, v29, v36 op_sel_hi:[1,1,0]
	s_delay_alu instid0(VALU_DEP_2) | instskip(SKIP_1) | instid1(VALU_DEP_2)
	v_fma_mix_f32_bf16 v20, v20, v29, v21 op_sel:[1,1,0] op_sel_hi:[1,1,0]
	s_wait_loadcnt 0x5
	v_fma_mix_f32_bf16 v21, v22, v30, v28 op_sel_hi:[1,1,0]
	s_delay_alu instid0(VALU_DEP_2) | instskip(SKIP_1) | instid1(VALU_DEP_2)
	v_fma_mix_f32_bf16 v20, v22, v30, v20 op_sel:[1,1,0] op_sel_hi:[1,1,0]
	;; [unrolled: 4-line block ×3, first 2 shown]
	s_wait_loadcnt_dscnt 0x300
	v_fma_mix_f32_bf16 v21, v24, v32, v21 op_sel_hi:[1,1,0]
	s_delay_alu instid0(VALU_DEP_2) | instskip(SKIP_1) | instid1(VALU_DEP_2)
	v_fma_mix_f32_bf16 v20, v24, v32, v20 op_sel:[1,1,0] op_sel_hi:[1,1,0]
	s_wait_loadcnt 0x2
	v_fma_mix_f32_bf16 v21, v25, v33, v21 op_sel_hi:[1,1,0]
	s_delay_alu instid0(VALU_DEP_2) | instskip(SKIP_1) | instid1(VALU_DEP_2)
	v_fma_mix_f32_bf16 v20, v25, v33, v20 op_sel:[1,1,0] op_sel_hi:[1,1,0]
	s_wait_loadcnt 0x1
	;; [unrolled: 4-line block ×3, first 2 shown]
	v_fma_mix_f32_bf16 v21, v27, v35, v21 op_sel_hi:[1,1,0]
	s_delay_alu instid0(VALU_DEP_2) | instskip(NEXT) | instid1(VALU_DEP_1)
	v_fma_mix_f32_bf16 v20, v27, v35, v20 op_sel:[1,1,0] op_sel_hi:[1,1,0]
	v_add_f32_e32 v20, v21, v20
	v_cndmask_b32_e64 v22, v9, v16, s5
	v_cmp_gt_i32_e64 s5, 32, v17
	s_delay_alu instid0(VALU_DEP_2) | instskip(SKIP_3) | instid1(VALU_DEP_1)
	v_lshlrev_b32_e32 v22, 2, v22
	ds_bpermute_b32 v21, v22, v20
	v_cndmask_b32_e64 v22, v9, v17, s5
	s_wait_dscnt 0x0
	v_dual_lshlrev_b32 v22, 2, v22 :: v_dual_add_f32 v20, v20, v21
	ds_bpermute_b32 v21, v22, v20
	s_and_saveexec_b32 s39, s4
	s_cbranch_execz .LBB109_10
; %bb.18:                               ;   in Loop: Header=BB109_12 Depth=1
	s_wait_dscnt 0x0
	v_dual_add_nc_u32 v22, v13, v2 :: v_dual_add_f32 v20, v20, v21
	s_delay_alu instid0(VALU_DEP_1) | instskip(NEXT) | instid1(VALU_DEP_1)
	v_cvt_f32_i32_e32 v22, v22
	v_mul_f32_e32 v22, s35, v22
	s_delay_alu instid0(VALU_DEP_1) | instskip(NEXT) | instid1(VALU_DEP_1)
	v_dual_cndmask_b32 v21, 0, v22 :: v_dual_max_num_f32 v22, v12, v12
	v_dual_fmac_f32 v21, s7, v20 :: v_dual_add_nc_u32 v20, v10, v2
	s_delay_alu instid0(VALU_DEP_1) | instskip(NEXT) | instid1(VALU_DEP_1)
	v_cmp_gt_i32_e64 s5, s31, v20
	v_dual_max_num_f32 v22, v22, v21 :: v_dual_cndmask_b32 v20, 0, v21, s5
	s_delay_alu instid0(VALU_DEP_1)
	v_cndmask_b32_e64 v12, v12, v22, s5
	ds_store_b32 v14, v20
	s_branch .LBB109_10
.LBB109_19:
	s_or_b32 exec_lo, exec_lo, s38
.LBB109_20:
	s_delay_alu instid0(SALU_CYCLE_1)
	s_or_b32 exec_lo, exec_lo, s36
	v_dual_max_num_f32 v5, v12, v12 :: v_dual_bitop2_b32 v2, 16, v9 bitop3:0x14
	s_clause 0x1
	s_load_b64 s[6:7], s[0:1], 0x0
	s_load_b64 s[24:25], s[0:1], 0x18
	v_and_b32_e32 v26, 31, v0
	v_xor_b32_e32 v4, 8, v9
	v_cmp_gt_i32_e32 vcc_lo, 32, v2
	v_cndmask_b32_e32 v2, v9, v2, vcc_lo
	s_delay_alu instid0(VALU_DEP_3) | instskip(NEXT) | instid1(VALU_DEP_2)
	v_cmp_gt_i32_e32 vcc_lo, 32, v4
	v_dual_lshlrev_b32 v2, 2, v2 :: v_dual_cndmask_b32 v4, v9, v4, vcc_lo
	ds_bpermute_b32 v3, v2, v12
	s_wait_dscnt 0x0
	v_dual_max_num_f32 v6, v3, v3 :: v_dual_lshlrev_b32 v3, 2, v4
	s_delay_alu instid0(VALU_DEP_1) | instskip(SKIP_4) | instid1(VALU_DEP_1)
	v_dual_max_num_f32 v4, v5, v6 :: v_dual_bitop2_b32 v6, 4, v9 bitop3:0x14
	ds_bpermute_b32 v5, v3, v4
	v_cmp_gt_i32_e32 vcc_lo, 32, v6
	v_cndmask_b32_e32 v6, v9, v6, vcc_lo
	s_wait_dscnt 0x0
	v_dual_max_num_f32 v5, v5, v5 :: v_dual_lshlrev_b32 v6, 2, v6
	s_delay_alu instid0(VALU_DEP_1)
	v_max_num_f32_e32 v5, v4, v5
	v_lshlrev_b32_e32 v4, 2, v1
	v_cmp_eq_u32_e32 vcc_lo, 0, v26
	ds_bpermute_b32 v7, v6, v5
	s_wait_xcnt 0x0
	s_and_saveexec_b32 s0, vcc_lo
	s_cbranch_execz .LBB109_22
; %bb.21:
	s_wait_dscnt 0x0
	v_dual_max_num_f32 v7, v7, v7 :: v_dual_max_num_f32 v5, v5, v5
	s_delay_alu instid0(VALU_DEP_1)
	v_max_num_f32_e32 v5, v5, v7
	ds_store_b32 v4, v5 offset:128
.LBB109_22:
	s_or_b32 exec_lo, exec_lo, s0
	v_cmp_gt_u32_e64 s0, 4, v26
	v_dual_mov_b32 v10, 0xff7fffff :: v_dual_lshlrev_b32 v5, 2, v26
	s_wait_dscnt 0x0
	s_barrier_signal -1
	s_barrier_wait -1
	s_and_saveexec_b32 s1, s0
; %bb.23:
	ds_load_b32 v10, v5 offset:128
; %bb.24:
	s_or_b32 exec_lo, exec_lo, s1
	v_xor_b32_e32 v7, 2, v9
	v_xor_b32_e32 v12, 1, v9
	s_delay_alu instid0(VALU_DEP_2) | instskip(NEXT) | instid1(VALU_DEP_1)
	v_cmp_gt_i32_e64 s1, 32, v7
	v_cndmask_b32_e64 v7, v9, v7, s1
	s_delay_alu instid0(VALU_DEP_3) | instskip(NEXT) | instid1(VALU_DEP_1)
	v_cmp_gt_i32_e64 s1, 32, v12
	v_dual_lshlrev_b32 v7, 2, v7 :: v_dual_cndmask_b32 v9, v9, v12, s1
	s_lshl_b32 s1, s34, 3
	s_delay_alu instid0(SALU_CYCLE_1)
	s_min_i32 s5, s1, s31
	s_wait_dscnt 0x0
	ds_bpermute_b32 v11, v7, v10
	v_max_num_f32_e32 v10, v10, v10
	v_cmp_gt_i32_e64 s1, s5, v0
	s_wait_dscnt 0x0
	v_dual_lshlrev_b32 v9, 2, v9 :: v_dual_max_num_f32 v11, v11, v11
	s_delay_alu instid0(VALU_DEP_1) | instskip(SKIP_3) | instid1(VALU_DEP_1)
	v_max_num_f32_e32 v10, v10, v11
	ds_bpermute_b32 v11, v9, v10
	s_wait_dscnt 0x0
	v_max_num_f32_e32 v11, v11, v11
	v_dual_max_num_f32 v11, v10, v11 :: v_dual_mov_b32 v10, 0
	ds_bpermute_b32 v11, v10, v11
	s_and_saveexec_b32 s15, s1
	s_cbranch_execz .LBB109_28
; %bb.25:
	v_lshl_add_u32 v12, v0, 2, 0xa0
	v_dual_mov_b32 v10, 0 :: v_dual_mov_b32 v13, v0
	s_mov_b32 s26, 0
.LBB109_26:                             ; =>This Inner Loop Header: Depth=1
	ds_load_b32 v14, v12
	v_add_nc_u32_e32 v13, 0x80, v13
	s_delay_alu instid0(VALU_DEP_1) | instskip(SKIP_3) | instid1(VALU_DEP_1)
	v_cmp_le_i32_e64 s4, s5, v13
	s_or_b32 s26, s4, s26
	s_wait_dscnt 0x0
	v_sub_f32_e32 v14, v14, v11
	v_mul_f32_e32 v14, 0x3fb8aa3b, v14
	s_delay_alu instid0(VALU_DEP_1)
	v_exp_f32_e32 v14, v14
	ds_store_b32 v12, v14
	v_nop
	v_add_f32_e32 v10, v10, v14
	v_add_nc_u32_e32 v12, 0x200, v12
	s_and_not1_b32 exec_lo, exec_lo, s26
	s_cbranch_execnz .LBB109_26
; %bb.27:
	s_or_b32 exec_lo, exec_lo, s26
.LBB109_28:
	s_delay_alu instid0(SALU_CYCLE_1)
	s_or_b32 exec_lo, exec_lo, s15
	ds_bpermute_b32 v2, v2, v10
	s_wait_dscnt 0x0
	v_add_f32_e32 v2, v10, v2
	ds_bpermute_b32 v3, v3, v2
	s_wait_dscnt 0x0
	v_add_f32_e32 v2, v2, v3
	;; [unrolled: 3-line block ×5, first 2 shown]
	s_and_saveexec_b32 s4, vcc_lo
; %bb.29:
	ds_store_b32 v4, v2 offset:144
; %bb.30:
	s_or_b32 exec_lo, exec_lo, s4
	s_wait_dscnt 0x0
	s_barrier_signal -1
	s_barrier_wait -1
	s_and_saveexec_b32 s4, s0
; %bb.31:
	ds_load_b32 v2, v5 offset:144
; %bb.32:
	s_or_b32 exec_lo, exec_lo, s4
	s_wait_dscnt 0x0
	ds_bpermute_b32 v3, v7, v2
	s_wait_dscnt 0x0
	v_add_f32_e32 v2, v2, v3
	ds_bpermute_b32 v3, v9, v2
	s_wait_dscnt 0x0
	v_dual_add_f32 v2, v2, v3 :: v_dual_mov_b32 v3, 0
	ds_bpermute_b32 v2, v3, v2
	s_and_saveexec_b32 s0, s1
	s_cbranch_execz .LBB109_45
; %bb.33:
	s_wait_dscnt 0x0
	v_add_f32_e32 v2, 0x358637bd, v2
	s_mov_b32 s4, -1
	s_mov_b32 s1, exec_lo
	s_delay_alu instid0(VALU_DEP_1) | instskip(NEXT) | instid1(VALU_DEP_1)
	v_div_scale_f32 v3, null, v2, v2, 1.0
	v_rcp_f32_e32 v5, v3
	v_nop
	s_delay_alu instid0(TRANS32_DEP_1) | instskip(NEXT) | instid1(VALU_DEP_1)
	v_fma_f32 v4, -v3, v5, 1.0
	v_fmac_f32_e32 v5, v4, v5
	v_div_scale_f32 v6, vcc_lo, 1.0, v2, 1.0
	s_delay_alu instid0(VALU_DEP_1) | instskip(NEXT) | instid1(VALU_DEP_1)
	v_mul_f32_e32 v7, v6, v5
	v_fma_f32 v4, -v3, v7, v6
	s_delay_alu instid0(VALU_DEP_1) | instskip(SKIP_1) | instid1(VALU_DEP_2)
	v_fmac_f32_e32 v7, v4, v5
	v_xad_u32 v4, v0, -1, s5
	v_fma_f32 v3, -v3, v7, v6
	s_delay_alu instid0(VALU_DEP_1) | instskip(NEXT) | instid1(VALU_DEP_1)
	v_div_fmas_f32 v3, v3, v5, v7
	v_div_fixup_f32 v2, v3, v2, 1.0
	v_mov_b32_e32 v3, v0
	v_cmpx_lt_u32_e32 0x7f, v4
	s_cbranch_execz .LBB109_42
; %bb.34:
	s_delay_alu instid0(VALU_DEP_3) | instskip(NEXT) | instid1(VALU_DEP_1)
	v_dual_mov_b32 v3, v2 :: v_dual_lshrrev_b32 v4, 7, v4
	v_dual_mov_b32 v9, 0 :: v_dual_add_nc_u32 v5, -1, v4
	s_delay_alu instid0(VALU_DEP_1) | instskip(SKIP_1) | instid1(VALU_DEP_2)
	v_lshrrev_b32_e32 v6, 1, v5
	v_cmp_lt_u32_e32 vcc_lo, 13, v5
	v_add_nc_u32_e32 v5, 1, v6
	s_and_saveexec_b32 s4, vcc_lo
	s_cbranch_execz .LBB109_38
; %bb.35:
	s_delay_alu instid0(VALU_DEP_1)
	v_and_b32_e32 v6, -8, v5
	v_lshl_add_u32 v7, v0, 2, 0xa0
	s_mov_b32 s15, 0
	s_mov_b32 s26, 0
.LBB109_36:                             ; =>This Inner Loop Header: Depth=1
	ds_load_2addr_stride64_b32 v[10:11], v7 offset1:2
	ds_load_2addr_stride64_b32 v[12:13], v7 offset0:4 offset1:6
	ds_load_2addr_stride64_b32 v[14:15], v7 offset0:8 offset1:10
	;; [unrolled: 1-line block ×7, first 2 shown]
	s_add_co_i32 s26, s26, 16
	s_delay_alu instid0(SALU_CYCLE_1) | instskip(NEXT) | instid1(VALU_DEP_1)
	v_dual_mov_b32 v9, s26 :: v_dual_add_nc_u32 v6, -8, v6
	v_cmp_eq_u32_e32 vcc_lo, 0, v6
	s_or_b32 s15, vcc_lo, s15
	s_wait_dscnt 0x7
	v_pk_mul_f32 v[10:11], v[2:3], v[10:11]
	s_wait_dscnt 0x6
	v_pk_mul_f32 v[12:13], v[2:3], v[12:13]
	;; [unrolled: 2-line block ×8, first 2 shown]
	ds_store_2addr_stride64_b32 v7, v10, v11 offset1:2
	ds_store_2addr_stride64_b32 v7, v12, v13 offset0:4 offset1:6
	ds_store_2addr_stride64_b32 v7, v14, v15 offset0:8 offset1:10
	;; [unrolled: 1-line block ×7, first 2 shown]
	v_add_nc_u32_e32 v7, 0x2000, v7
	s_and_not1_b32 exec_lo, exec_lo, s15
	s_cbranch_execnz .LBB109_36
; %bb.37:
	s_or_b32 exec_lo, exec_lo, s15
.LBB109_38:
	s_delay_alu instid0(SALU_CYCLE_1) | instskip(NEXT) | instid1(VALU_DEP_1)
	s_or_b32 exec_lo, exec_lo, s4
	v_and_b32_e32 v5, 7, v5
	s_mov_b32 s15, 0
	s_mov_b32 s4, exec_lo
	s_delay_alu instid0(VALU_DEP_1)
	v_cmpx_ne_u32_e32 0, v5
	s_cbranch_execz .LBB109_41
; %bb.39:
	v_dual_lshlrev_b32 v6, 9, v9 :: v_dual_lshlrev_b32 v7, 2, v0
	s_delay_alu instid0(VALU_DEP_1)
	v_add3_u32 v6, v6, v7, 0xa0
.LBB109_40:                             ; =>This Inner Loop Header: Depth=1
	ds_load_2addr_stride64_b32 v[10:11], v6 offset1:2
	v_add_nc_u32_e32 v5, -1, v5
	s_delay_alu instid0(VALU_DEP_1)
	v_cmp_eq_u32_e32 vcc_lo, 0, v5
	s_or_b32 s15, vcc_lo, s15
	s_wait_dscnt 0x0
	v_pk_mul_f32 v[10:11], v[2:3], v[10:11]
	ds_store_2addr_stride64_b32 v6, v10, v11 offset1:2
	v_add_nc_u32_e32 v6, 0x400, v6
	s_and_not1_b32 exec_lo, exec_lo, s15
	s_cbranch_execnz .LBB109_40
.LBB109_41:
	s_or_b32 exec_lo, exec_lo, s4
	v_add_nc_u32_e32 v3, 1, v4
	s_delay_alu instid0(VALU_DEP_1) | instskip(NEXT) | instid1(VALU_DEP_1)
	v_and_b32_e32 v4, 0x3fffffe, v3
	v_cmp_ne_u32_e32 vcc_lo, v3, v4
	v_lshl_add_u32 v3, v4, 7, v0
	s_or_not1_b32 s4, vcc_lo, exec_lo
.LBB109_42:
	s_or_b32 exec_lo, exec_lo, s1
	s_delay_alu instid0(SALU_CYCLE_1)
	s_and_b32 exec_lo, exec_lo, s4
	s_cbranch_execz .LBB109_45
; %bb.43:
	v_lshl_add_u32 v4, v3, 2, 0xa0
	s_mov_b32 s1, 0
.LBB109_44:                             ; =>This Inner Loop Header: Depth=1
	ds_load_b32 v5, v4
	v_add_nc_u32_e32 v3, 0x80, v3
	s_delay_alu instid0(VALU_DEP_1)
	v_cmp_le_i32_e32 vcc_lo, s5, v3
	s_or_b32 s1, vcc_lo, s1
	s_wait_dscnt 0x0
	v_mul_f32_e32 v5, v2, v5
	ds_store_b32 v4, v5
	v_add_nc_u32_e32 v4, 0x200, v4
	s_and_not1_b32 exec_lo, exec_lo, s1
	s_cbranch_execnz .LBB109_44
.LBB109_45:
	s_or_b32 exec_lo, exec_lo, s0
	v_mov_b64_e32 v[20:21], 0
	s_wait_dscnt 0x0
	s_barrier_signal -1
	s_barrier_wait -1
	s_and_saveexec_b32 s1, s3
	s_cbranch_execz .LBB109_55
; %bb.46:
	s_abs_i32 s3, s10
	v_dual_mov_b32 v19, 0 :: v_dual_lshlrev_b32 v2, 4, v26
	s_cvt_f32_u32 s0, s3
	s_ashr_i32 s15, s14, 31
	v_and_b32_e32 v4, 0x7c, v8
	s_lshl_b64 s[22:23], s[22:23], 2
	v_rcp_iflag_f32_e32 v3, s0
	s_lshl_b64 s[14:15], s[14:15], 1
	s_add_nc_u64 s[20:21], s[20:21], s[22:23]
	s_wait_kmcnt 0x0
	s_add_nc_u64 s[14:15], s[24:25], s[14:15]
	s_sub_co_i32 s10, s8, s9
	s_sub_co_i32 s8, 0, s3
	v_mov_b32_e32 v5, v19
	v_readfirstlane_b32 s0, v3
	v_mov_b32_e32 v3, v19
	v_mov_b64_e32 v[20:21], 0
	v_lshl_add_u32 v27, v1, 5, 0xa0
	v_add_nc_u64_e32 v[24:25], s[20:21], v[4:5]
	s_mul_f32 s0, s0, 0x4f7ffffe
	v_add_nc_u64_e32 v[22:23], s[14:15], v[2:3]
	v_mov_b32_e32 v28, v1
	s_mov_b32 s9, 0
	s_cvt_u32_f32 s0, s0
	s_ashr_i32 s5, s13, 31
	s_mov_b32 s4, s13
	s_add_co_i32 s13, s34, -1
	s_mul_i32 s8, s8, s0
	s_mov_b32 s14, s31
	s_mul_hi_u32 s8, s0, s8
	s_mov_b32 s15, s9
	s_add_co_i32 s8, s0, s8
	s_branch .LBB109_49
.LBB109_47:                             ;   in Loop: Header=BB109_49 Depth=1
	s_or_b32 exec_lo, exec_lo, s0
	s_wait_dscnt 0x1
	v_cvt_pk_bf16_f32 v10, v10, v11
	v_cvt_pk_bf16_f32 v11, v12, v13
	s_wait_dscnt 0x0
	v_cvt_pk_bf16_f32 v6, v6, v7
	v_cvt_pk_bf16_f32 v7, v8, v9
	s_wait_loadcnt 0x1
	v_pk_mul_bf16 v2, v10, v2
	v_pk_mul_bf16 v3, v11, v3
	;; [unrolled: 1-line block ×4, first 2 shown]
	s_wait_loadcnt 0x0
	v_pk_mul_bf16 v4, v10, v14
	v_dual_lshlrev_b32 v5, 16, v2 :: v_dual_lshlrev_b32 v14, 16, v3
	v_and_b32_e32 v2, 0xffff0000, v2
	v_pk_mul_bf16 v8, v11, v15
	v_pk_mul_bf16 v10, v6, v16
	;; [unrolled: 1-line block ×3, first 2 shown]
	s_delay_alu instid0(VALU_DEP_4)
	v_dual_add_f32 v2, v2, v5 :: v_dual_lshlrev_b32 v7, 16, v4
	v_and_b32_e32 v5, 0xffff0000, v4
	v_and_b32_e32 v4, 0xffff0000, v8
	v_dual_lshlrev_b32 v6, 16, v8 :: v_dual_lshlrev_b32 v11, 16, v10
	v_and_b32_e32 v3, 0xffff0000, v3
	v_and_b32_e32 v9, 0xffff0000, v10
	;; [unrolled: 1-line block ×3, first 2 shown]
	v_dual_lshlrev_b32 v10, 16, v15 :: v_dual_lshlrev_b32 v15, 16, v12
	v_pk_add_f32 v[4:5], v[6:7], v[4:5]
	v_and_b32_e32 v12, 0xffff0000, v12
	v_add_f32_e32 v6, v3, v14
	s_delay_alu instid0(VALU_DEP_4) | instskip(NEXT) | instid1(VALU_DEP_4)
	v_pk_add_f32 v[8:9], v[10:11], v[8:9]
	v_dual_mov_b32 v7, v4 :: v_dual_lshlrev_b32 v10, 16, v13
	s_delay_alu instid0(VALU_DEP_4) | instskip(SKIP_1) | instid1(VALU_DEP_4)
	v_dual_mov_b32 v3, v5 :: v_dual_add_f32 v4, v12, v15
	v_and_b32_e32 v11, 0xffff0000, v13
	v_mov_b32_e32 v5, v9
	s_delay_alu instid0(VALU_DEP_3) | instskip(NEXT) | instid1(VALU_DEP_3)
	v_pk_add_f32 v[2:3], v[6:7], v[2:3]
	v_dual_mov_b32 v7, v8 :: v_dual_add_f32 v6, v11, v10
	s_delay_alu instid0(VALU_DEP_2) | instskip(NEXT) | instid1(VALU_DEP_1)
	v_pk_add_f32 v[2:3], v[4:5], v[2:3]
	v_pk_add_f32 v[2:3], v[6:7], v[2:3]
	s_delay_alu instid0(VALU_DEP_1)
	v_pk_add_f32 v[20:21], v[20:21], v[2:3]
.LBB109_48:                             ;   in Loop: Header=BB109_49 Depth=1
	s_or_b32 exec_lo, exec_lo, s20
	v_dual_add_nc_u32 v28, 4, v28 :: v_dual_add_nc_u32 v18, 32, v18
	v_add_nc_u64_e32 v[24:25], 16, v[24:25]
	v_add_nc_u32_e32 v27, 0x80, v27
	s_delay_alu instid0(VALU_DEP_3) | instskip(SKIP_1) | instid1(SALU_CYCLE_1)
	v_cmp_le_i32_e32 vcc_lo, s34, v28
	s_or_b32 s15, vcc_lo, s15
	s_and_not1_b32 exec_lo, exec_lo, s15
	s_cbranch_execz .LBB109_54
.LBB109_49:                             ; =>This Inner Loop Header: Depth=1
	v_mul_u64_e32 v[2:3], s[18:19], v[18:19]
	s_delay_alu instid0(VALU_DEP_1) | instskip(NEXT) | instid1(VALU_DEP_1)
	v_mul_lo_u32 v2, v3, s12
	v_dual_add_nc_u32 v4, 1, v3 :: v_dual_sub_nc_u32 v2, v18, v2
	s_delay_alu instid0(VALU_DEP_1) | instskip(SKIP_1) | instid1(VALU_DEP_2)
	v_subrev_nc_u32_e32 v5, s12, v2
	v_cmp_le_u32_e32 vcc_lo, s12, v2
	v_dual_cndmask_b32 v3, v3, v4 :: v_dual_cndmask_b32 v2, v2, v5
	s_delay_alu instid0(VALU_DEP_1) | instskip(NEXT) | instid1(VALU_DEP_2)
	v_add_nc_u32_e32 v4, 1, v3
	v_cmp_le_u32_e32 vcc_lo, s12, v2
	s_delay_alu instid0(VALU_DEP_2) | instskip(NEXT) | instid1(VALU_DEP_1)
	v_cndmask_b32_e32 v2, v3, v4, vcc_lo
	v_dual_mov_b32 v3, v19 :: v_dual_bitop2_b32 v2, s33, v2 bitop3:0x14
	s_delay_alu instid0(VALU_DEP_1) | instskip(NEXT) | instid1(VALU_DEP_1)
	v_subrev_nc_u32_e32 v6, s33, v2
	v_add_nc_u32_e32 v7, s17, v6
	v_cmp_lt_i32_e64 s0, s10, v6
	s_delay_alu instid0(VALU_DEP_2) | instskip(NEXT) | instid1(VALU_DEP_1)
	v_sub_nc_u32_e32 v2, 0, v7
	v_max_i32_e32 v2, v7, v2
	s_delay_alu instid0(VALU_DEP_1) | instskip(SKIP_1) | instid1(VALU_DEP_2)
	v_mul_u64_e32 v[4:5], s[8:9], v[2:3]
	v_ashrrev_i32_e32 v4, 31, v7
	v_mul_lo_u32 v3, v5, s3
	s_delay_alu instid0(VALU_DEP_1) | instskip(NEXT) | instid1(VALU_DEP_1)
	v_sub_nc_u32_e32 v2, v2, v3
	v_subrev_nc_u32_e32 v3, s3, v2
	v_cmp_le_u32_e32 vcc_lo, s3, v2
	s_delay_alu instid0(VALU_DEP_2) | instskip(NEXT) | instid1(VALU_DEP_1)
	v_cndmask_b32_e32 v2, v2, v3, vcc_lo
	v_subrev_nc_u32_e32 v3, s3, v2
	v_cmp_le_u32_e32 vcc_lo, s3, v2
	s_delay_alu instid0(VALU_DEP_2) | instskip(NEXT) | instid1(VALU_DEP_1)
	v_cndmask_b32_e32 v2, v2, v3, vcc_lo
	v_xor_b32_e32 v2, v2, v4
	s_delay_alu instid0(VALU_DEP_1) | instskip(NEXT) | instid1(VALU_DEP_1)
	v_sub_nc_u32_e32 v2, v2, v4
	v_cmp_eq_u32_e32 vcc_lo, 0, v2
	s_or_b32 s0, vcc_lo, s0
	s_delay_alu instid0(SALU_CYCLE_1)
	s_and_saveexec_b32 s20, s0
	s_cbranch_execz .LBB109_48
; %bb.50:                               ;   in Loop: Header=BB109_49 Depth=1
	global_load_b32 v2, v[24:25], off
	v_cmp_eq_u32_e32 vcc_lo, s13, v28
	v_dual_add_nc_u32 v34, 1, v18 :: v_dual_bitop2_b32 v33, 3, v18 bitop3:0x54
	v_or_b32_e32 v35, 2, v18
	v_or_b32_e32 v30, 5, v18
	;; [unrolled: 1-line block ×5, first 2 shown]
	s_wait_loadcnt 0x0
	v_ashrrev_i32_e32 v3, 31, v2
	s_delay_alu instid0(VALU_DEP_1) | instskip(NEXT) | instid1(VALU_DEP_1)
	v_mul_u64_e32 v[2:3], s[4:5], v[2:3]
	v_lshl_add_u64 v[14:15], v[2:3], 1, v[22:23]
	global_load_b128 v[2:5], v[14:15], off
	ds_load_2addr_b64 v[10:13], v27 offset1:1
	ds_load_2addr_b64 v[6:9], v27 offset0:2 offset1:3
	s_wait_xcnt 0x0
	s_and_saveexec_b32 s21, vcc_lo
	s_cbranch_execz .LBB109_52
; %bb.51:                               ;   in Loop: Header=BB109_49 Depth=1
	v_cmp_gt_i32_e64 s0, s31, v18
	s_wait_loadcnt 0x0
	s_delay_alu instid0(VALU_DEP_1) | instskip(SKIP_1) | instid1(VALU_DEP_1)
	v_dual_lshrrev_b32 v16, 16, v2 :: v_dual_cndmask_b32 v2, 0, v2, s0
	v_cmp_gt_i32_e64 s0, s14, v34
	v_dual_lshrrev_b32 v17, 16, v3 :: v_dual_cndmask_b32 v16, 0, v16, s0
	v_cmp_gt_i32_e64 s0, s31, v35
	s_delay_alu instid0(VALU_DEP_2) | instskip(NEXT) | instid1(VALU_DEP_2)
	v_perm_b32 v2, v16, v2, 0x5040100
	v_cndmask_b32_e64 v3, 0, v3, s0
	v_cmp_gt_i32_e64 s0, s14, v33
	s_delay_alu instid0(VALU_DEP_1) | instskip(SKIP_2) | instid1(VALU_DEP_3)
	v_cndmask_b32_e64 v17, 0, v17, s0
	v_cmp_gt_i32_e64 s0, s31, v32
	v_lshrrev_b32_e32 v36, 16, v4
	v_perm_b32 v3, v17, v3, 0x5040100
	s_delay_alu instid0(VALU_DEP_3) | instskip(SKIP_1) | instid1(VALU_DEP_1)
	v_cndmask_b32_e64 v4, 0, v4, s0
	v_cmp_gt_i32_e64 s0, s14, v30
	v_dual_lshrrev_b32 v37, 16, v5 :: v_dual_cndmask_b32 v36, 0, v36, s0
	v_cmp_gt_i32_e64 s0, s31, v31
	s_delay_alu instid0(VALU_DEP_2) | instskip(NEXT) | instid1(VALU_DEP_2)
	v_perm_b32 v4, v36, v4, 0x5040100
	v_cndmask_b32_e64 v5, 0, v5, s0
	v_cmp_gt_i32_e64 s0, s14, v29
	s_delay_alu instid0(VALU_DEP_1) | instskip(NEXT) | instid1(VALU_DEP_1)
	v_cndmask_b32_e64 v37, 0, v37, s0
	v_perm_b32 v5, v37, v5, 0x5040100
.LBB109_52:                             ;   in Loop: Header=BB109_49 Depth=1
	s_or_b32 exec_lo, exec_lo, s21
	global_load_b128 v[14:17], v[14:15], off offset:512
	s_wait_xcnt 0x0
	s_and_saveexec_b32 s0, vcc_lo
	s_cbranch_execz .LBB109_47
; %bb.53:                               ;   in Loop: Header=BB109_49 Depth=1
	v_cmp_gt_i32_e32 vcc_lo, s31, v18
	s_wait_loadcnt 0x0
	v_dual_lshrrev_b32 v36, 16, v14 :: v_dual_cndmask_b32 v14, 0, v14, vcc_lo
	v_cmp_gt_i32_e32 vcc_lo, s14, v34
	s_delay_alu instid0(VALU_DEP_2) | instskip(SKIP_1) | instid1(VALU_DEP_2)
	v_dual_cndmask_b32 v34, 0, v36 :: v_dual_lshrrev_b32 v37, 16, v15
	v_cmp_gt_i32_e32 vcc_lo, s31, v35
	v_perm_b32 v14, v34, v14, 0x5040100
	v_cndmask_b32_e32 v15, 0, v15, vcc_lo
	v_cmp_gt_i32_e32 vcc_lo, s14, v33
	v_cndmask_b32_e32 v33, 0, v37, vcc_lo
	v_cmp_gt_i32_e32 vcc_lo, s31, v32
	v_lshrrev_b32_e32 v35, 16, v16
	s_delay_alu instid0(VALU_DEP_3) | instskip(SKIP_2) | instid1(VALU_DEP_4)
	v_perm_b32 v15, v33, v15, 0x5040100
	v_cndmask_b32_e32 v16, 0, v16, vcc_lo
	v_cmp_gt_i32_e32 vcc_lo, s14, v30
	v_dual_lshrrev_b32 v32, 16, v17 :: v_dual_cndmask_b32 v30, 0, v35, vcc_lo
	v_cmp_gt_i32_e32 vcc_lo, s31, v31
	s_delay_alu instid0(VALU_DEP_2) | instskip(SKIP_3) | instid1(VALU_DEP_1)
	v_perm_b32 v16, v30, v16, 0x5040100
	v_cndmask_b32_e32 v17, 0, v17, vcc_lo
	v_cmp_gt_i32_e32 vcc_lo, s14, v29
	v_cndmask_b32_e32 v29, 0, v32, vcc_lo
	v_perm_b32 v17, v29, v17, 0x5040100
	s_branch .LBB109_47
.LBB109_54:
	s_or_b32 exec_lo, exec_lo, s15
.LBB109_55:
	s_delay_alu instid0(SALU_CYCLE_1) | instskip(SKIP_4) | instid1(VALU_DEP_2)
	s_or_b32 exec_lo, exec_lo, s1
	v_lshl_add_u32 v2, v26, 2, 0xa0
	v_and_b32_e32 v3, 0x3c0, v0
	s_mov_b32 s0, exec_lo
	s_barrier_signal -1
	v_lshl_add_u32 v1, v1, 8, v2
	s_barrier_wait -1
	v_cmpx_eq_u32_e32 64, v3
	s_cbranch_execz .LBB109_57
; %bb.56:
	s_delay_alu instid0(VALU_DEP_2)
	v_add_nc_u32_e32 v3, 0xfffffe00, v1
	v_add_nc_u32_e32 v4, 0xfffffe80, v1
	ds_store_b32 v3, v20
	ds_store_b32 v4, v21
.LBB109_57:
	s_or_b32 exec_lo, exec_lo, s0
	s_delay_alu instid0(SALU_CYCLE_1)
	s_mov_b32 s0, exec_lo
	s_wait_dscnt 0x0
	s_barrier_signal -1
	s_barrier_wait -1
	v_cmpx_gt_u32_e32 64, v0
	s_cbranch_execz .LBB109_59
; %bb.58:
	ds_load_2addr_b32 v[4:5], v1 offset1:32
	s_wait_dscnt 0x0
	v_pk_add_f32 v[20:21], v[20:21], v[4:5]
.LBB109_59:
	s_or_b32 exec_lo, exec_lo, s0
	v_and_b32_e32 v3, 0x3e0, v0
	s_mov_b32 s0, exec_lo
	s_barrier_signal -1
	s_barrier_wait -1
	s_delay_alu instid0(VALU_DEP_1)
	v_cmpx_eq_u32_e32 32, v3
; %bb.60:
	ds_store_2addr_b32 v2, v20, v21 offset1:32
; %bb.61:
	s_or_b32 exec_lo, exec_lo, s0
	s_wait_dscnt 0x0
	s_barrier_signal -1
	s_barrier_wait -1
	s_and_saveexec_b32 s0, s2
	s_cbranch_execz .LBB109_63
; %bb.62:
	ds_load_2addr_b32 v[2:3], v1 offset1:32
	s_wait_dscnt 0x0
	v_pk_add_f32 v[20:21], v[20:21], v[2:3]
.LBB109_63:
	s_or_b32 exec_lo, exec_lo, s0
	s_barrier_signal -1
	s_barrier_wait -1
	s_and_saveexec_b32 s0, s2
	s_cbranch_execz .LBB109_65
; %bb.64:
	s_mul_i32 s1, s30, s11
	s_bfe_u32 s5, ttmp6, 0x40014
	s_mul_i32 s1, s1, s29
	s_mul_i32 s0, s11, s16
	s_lshl_b32 s2, s1, 6
	s_lshr_b32 s4, ttmp7, 16
	s_ashr_i32 s3, s2, 31
	s_add_co_i32 s5, s5, 1
	s_lshl_b64 s[2:3], s[2:3], 1
	s_ashr_i32 s1, s0, 31
	s_wait_kmcnt 0x0
	s_add_nc_u64 s[2:3], s[6:7], s[2:3]
	s_mul_i32 s5, s4, s5
	s_bfe_u32 s6, ttmp6, 0x40008
	s_lshl_b64 s[0:1], s[0:1], 1
	s_add_co_i32 s6, s6, s5
	s_cmp_eq_u32 s28, 0
	s_add_nc_u64 s[0:1], s[2:3], s[0:1]
	s_cselect_b32 s2, s4, s6
	v_cvt_pk_bf16_f32 v1, v20, s0
	s_mov_b32 s3, 0
	s_lshl_b32 s2, s2, 7
	v_cvt_pk_bf16_f32 v2, v21, s0
	s_add_nc_u64 s[0:1], s[0:1], s[2:3]
	s_clause 0x1
	global_store_b16 v0, v1, s[0:1] scale_offset
	global_store_b16 v0, v2, s[0:1] offset:64 scale_offset
.LBB109_65:
	s_endpgm
	.section	.rodata,"a",@progbits
	.p2align	6, 0x0
	.amdhsa_kernel _ZN4vllm25paged_attention_v1_kernelI14__hip_bfloat16S1_Li64ELi8ELi128ELNS_18Fp8KVCacheDataTypeE0ELb1EEEvPT_PKS3_PKT0_S9_ifPKiSB_iPKfiiiSD_SD_iiiii
		.amdhsa_group_segment_fixed_size 160
		.amdhsa_private_segment_fixed_size 0
		.amdhsa_kernarg_size 384
		.amdhsa_user_sgpr_count 2
		.amdhsa_user_sgpr_dispatch_ptr 0
		.amdhsa_user_sgpr_queue_ptr 0
		.amdhsa_user_sgpr_kernarg_segment_ptr 1
		.amdhsa_user_sgpr_dispatch_id 0
		.amdhsa_user_sgpr_kernarg_preload_length 0
		.amdhsa_user_sgpr_kernarg_preload_offset 0
		.amdhsa_user_sgpr_private_segment_size 0
		.amdhsa_wavefront_size32 1
		.amdhsa_uses_dynamic_stack 0
		.amdhsa_enable_private_segment 0
		.amdhsa_system_sgpr_workgroup_id_x 1
		.amdhsa_system_sgpr_workgroup_id_y 1
		.amdhsa_system_sgpr_workgroup_id_z 1
		.amdhsa_system_sgpr_workgroup_info 0
		.amdhsa_system_vgpr_workitem_id 0
		.amdhsa_next_free_vgpr 38
		.amdhsa_next_free_sgpr 42
		.amdhsa_named_barrier_count 0
		.amdhsa_reserve_vcc 1
		.amdhsa_float_round_mode_32 0
		.amdhsa_float_round_mode_16_64 0
		.amdhsa_float_denorm_mode_32 3
		.amdhsa_float_denorm_mode_16_64 3
		.amdhsa_fp16_overflow 0
		.amdhsa_memory_ordered 1
		.amdhsa_forward_progress 1
		.amdhsa_inst_pref_size 41
		.amdhsa_round_robin_scheduling 0
		.amdhsa_exception_fp_ieee_invalid_op 0
		.amdhsa_exception_fp_denorm_src 0
		.amdhsa_exception_fp_ieee_div_zero 0
		.amdhsa_exception_fp_ieee_overflow 0
		.amdhsa_exception_fp_ieee_underflow 0
		.amdhsa_exception_fp_ieee_inexact 0
		.amdhsa_exception_int_div_zero 0
	.end_amdhsa_kernel
	.section	.text._ZN4vllm25paged_attention_v1_kernelI14__hip_bfloat16S1_Li64ELi8ELi128ELNS_18Fp8KVCacheDataTypeE0ELb1EEEvPT_PKS3_PKT0_S9_ifPKiSB_iPKfiiiSD_SD_iiiii,"axG",@progbits,_ZN4vllm25paged_attention_v1_kernelI14__hip_bfloat16S1_Li64ELi8ELi128ELNS_18Fp8KVCacheDataTypeE0ELb1EEEvPT_PKS3_PKT0_S9_ifPKiSB_iPKfiiiSD_SD_iiiii,comdat
.Lfunc_end109:
	.size	_ZN4vllm25paged_attention_v1_kernelI14__hip_bfloat16S1_Li64ELi8ELi128ELNS_18Fp8KVCacheDataTypeE0ELb1EEEvPT_PKS3_PKT0_S9_ifPKiSB_iPKfiiiSD_SD_iiiii, .Lfunc_end109-_ZN4vllm25paged_attention_v1_kernelI14__hip_bfloat16S1_Li64ELi8ELi128ELNS_18Fp8KVCacheDataTypeE0ELb1EEEvPT_PKS3_PKT0_S9_ifPKiSB_iPKfiiiSD_SD_iiiii
                                        ; -- End function
	.set _ZN4vllm25paged_attention_v1_kernelI14__hip_bfloat16S1_Li64ELi8ELi128ELNS_18Fp8KVCacheDataTypeE0ELb1EEEvPT_PKS3_PKT0_S9_ifPKiSB_iPKfiiiSD_SD_iiiii.num_vgpr, 38
	.set _ZN4vllm25paged_attention_v1_kernelI14__hip_bfloat16S1_Li64ELi8ELi128ELNS_18Fp8KVCacheDataTypeE0ELb1EEEvPT_PKS3_PKT0_S9_ifPKiSB_iPKfiiiSD_SD_iiiii.num_agpr, 0
	.set _ZN4vllm25paged_attention_v1_kernelI14__hip_bfloat16S1_Li64ELi8ELi128ELNS_18Fp8KVCacheDataTypeE0ELb1EEEvPT_PKS3_PKT0_S9_ifPKiSB_iPKfiiiSD_SD_iiiii.numbered_sgpr, 42
	.set _ZN4vllm25paged_attention_v1_kernelI14__hip_bfloat16S1_Li64ELi8ELi128ELNS_18Fp8KVCacheDataTypeE0ELb1EEEvPT_PKS3_PKT0_S9_ifPKiSB_iPKfiiiSD_SD_iiiii.num_named_barrier, 0
	.set _ZN4vllm25paged_attention_v1_kernelI14__hip_bfloat16S1_Li64ELi8ELi128ELNS_18Fp8KVCacheDataTypeE0ELb1EEEvPT_PKS3_PKT0_S9_ifPKiSB_iPKfiiiSD_SD_iiiii.private_seg_size, 0
	.set _ZN4vllm25paged_attention_v1_kernelI14__hip_bfloat16S1_Li64ELi8ELi128ELNS_18Fp8KVCacheDataTypeE0ELb1EEEvPT_PKS3_PKT0_S9_ifPKiSB_iPKfiiiSD_SD_iiiii.uses_vcc, 1
	.set _ZN4vllm25paged_attention_v1_kernelI14__hip_bfloat16S1_Li64ELi8ELi128ELNS_18Fp8KVCacheDataTypeE0ELb1EEEvPT_PKS3_PKT0_S9_ifPKiSB_iPKfiiiSD_SD_iiiii.uses_flat_scratch, 0
	.set _ZN4vllm25paged_attention_v1_kernelI14__hip_bfloat16S1_Li64ELi8ELi128ELNS_18Fp8KVCacheDataTypeE0ELb1EEEvPT_PKS3_PKT0_S9_ifPKiSB_iPKfiiiSD_SD_iiiii.has_dyn_sized_stack, 0
	.set _ZN4vllm25paged_attention_v1_kernelI14__hip_bfloat16S1_Li64ELi8ELi128ELNS_18Fp8KVCacheDataTypeE0ELb1EEEvPT_PKS3_PKT0_S9_ifPKiSB_iPKfiiiSD_SD_iiiii.has_recursion, 0
	.set _ZN4vllm25paged_attention_v1_kernelI14__hip_bfloat16S1_Li64ELi8ELi128ELNS_18Fp8KVCacheDataTypeE0ELb1EEEvPT_PKS3_PKT0_S9_ifPKiSB_iPKfiiiSD_SD_iiiii.has_indirect_call, 0
	.section	.AMDGPU.csdata,"",@progbits
; Kernel info:
; codeLenInByte = 5156
; TotalNumSgprs: 44
; NumVgprs: 38
; ScratchSize: 0
; MemoryBound: 0
; FloatMode: 240
; IeeeMode: 1
; LDSByteSize: 160 bytes/workgroup (compile time only)
; SGPRBlocks: 0
; VGPRBlocks: 2
; NumSGPRsForWavesPerEU: 44
; NumVGPRsForWavesPerEU: 38
; NamedBarCnt: 0
; Occupancy: 16
; WaveLimiterHint : 1
; COMPUTE_PGM_RSRC2:SCRATCH_EN: 0
; COMPUTE_PGM_RSRC2:USER_SGPR: 2
; COMPUTE_PGM_RSRC2:TRAP_HANDLER: 0
; COMPUTE_PGM_RSRC2:TGID_X_EN: 1
; COMPUTE_PGM_RSRC2:TGID_Y_EN: 1
; COMPUTE_PGM_RSRC2:TGID_Z_EN: 1
; COMPUTE_PGM_RSRC2:TIDIG_COMP_CNT: 0
	.section	.text._ZN4vllm25paged_attention_v1_kernelI14__hip_bfloat16S1_Li80ELi8ELi128ELNS_18Fp8KVCacheDataTypeE0ELb1EEEvPT_PKS3_PKT0_S9_ifPKiSB_iPKfiiiSD_SD_iiiii,"axG",@progbits,_ZN4vllm25paged_attention_v1_kernelI14__hip_bfloat16S1_Li80ELi8ELi128ELNS_18Fp8KVCacheDataTypeE0ELb1EEEvPT_PKS3_PKT0_S9_ifPKiSB_iPKfiiiSD_SD_iiiii,comdat
	.protected	_ZN4vllm25paged_attention_v1_kernelI14__hip_bfloat16S1_Li80ELi8ELi128ELNS_18Fp8KVCacheDataTypeE0ELb1EEEvPT_PKS3_PKT0_S9_ifPKiSB_iPKfiiiSD_SD_iiiii ; -- Begin function _ZN4vllm25paged_attention_v1_kernelI14__hip_bfloat16S1_Li80ELi8ELi128ELNS_18Fp8KVCacheDataTypeE0ELb1EEEvPT_PKS3_PKT0_S9_ifPKiSB_iPKfiiiSD_SD_iiiii
	.globl	_ZN4vllm25paged_attention_v1_kernelI14__hip_bfloat16S1_Li80ELi8ELi128ELNS_18Fp8KVCacheDataTypeE0ELb1EEEvPT_PKS3_PKT0_S9_ifPKiSB_iPKfiiiSD_SD_iiiii
	.p2align	8
	.type	_ZN4vllm25paged_attention_v1_kernelI14__hip_bfloat16S1_Li80ELi8ELi128ELNS_18Fp8KVCacheDataTypeE0ELb1EEEvPT_PKS3_PKT0_S9_ifPKiSB_iPKfiiiSD_SD_iiiii,@function
_ZN4vllm25paged_attention_v1_kernelI14__hip_bfloat16S1_Li80ELi8ELi128ELNS_18Fp8KVCacheDataTypeE0ELb1EEEvPT_PKS3_PKT0_S9_ifPKiSB_iPKfiiiSD_SD_iiiii: ; @_ZN4vllm25paged_attention_v1_kernelI14__hip_bfloat16S1_Li80ELi8ELi128ELNS_18Fp8KVCacheDataTypeE0ELb1EEEvPT_PKS3_PKT0_S9_ifPKiSB_iPKfiiiSD_SD_iiiii
; %bb.0:
	s_load_b64 s[22:23], s[0:1], 0x20
	s_bfe_u32 s3, ttmp6, 0x4000c
	s_bfe_u32 s4, ttmp6, 0x40010
	s_and_b32 s6, ttmp7, 0xffff
	s_add_co_i32 s3, s3, 1
	s_add_co_i32 s4, s4, 1
	s_and_b32 s2, ttmp6, 15
	s_bfe_u32 s5, ttmp6, 0x40004
	s_mul_i32 s3, ttmp9, s3
	s_mul_i32 s4, s6, s4
	s_getreg_b32 s28, hwreg(HW_REG_IB_STS2, 6, 4)
	s_add_co_i32 s2, s2, s3
	s_add_co_i32 s3, s5, s4
	s_cmp_eq_u32 s28, 0
	s_clause 0x1
	s_load_b32 s29, s[0:1], 0x80
	s_load_b64 s[4:5], s[0:1], 0x30
	s_cselect_b32 s30, s6, s3
	s_cselect_b32 s2, ttmp9, s2
	s_mov_b32 s17, 0
	s_delay_alu instid0(SALU_CYCLE_1) | instskip(SKIP_2) | instid1(SALU_CYCLE_1)
	s_mov_b32 s36, s17
	s_wait_kmcnt 0x0
	s_abs_i32 s3, s22
	s_cvt_f32_u32 s6, s3
	s_sub_co_i32 s7, 0, s3
	s_delay_alu instid0(SALU_CYCLE_2) | instskip(SKIP_2) | instid1(TRANS32_DEP_1)
	v_rcp_iflag_f32_e32 v1, s6
	s_abs_i32 s8, s29
	v_nop
	v_readfirstlane_b32 s6, v1
	s_mul_f32 s6, s6, 0x4f7ffffe
	s_delay_alu instid0(SALU_CYCLE_3) | instskip(NEXT) | instid1(SALU_CYCLE_3)
	s_cvt_u32_f32 s6, s6
	s_mul_i32 s7, s7, s6
	s_delay_alu instid0(SALU_CYCLE_1) | instskip(NEXT) | instid1(SALU_CYCLE_1)
	s_mul_hi_u32 s7, s6, s7
	s_add_co_i32 s6, s6, s7
	s_xor_b32 s7, s29, s22
	s_mul_hi_u32 s6, s8, s6
	s_ashr_i32 s7, s7, 31
	s_mul_i32 s9, s6, s3
	s_delay_alu instid0(SALU_CYCLE_1)
	s_sub_co_i32 s8, s8, s9
	s_add_co_i32 s9, s6, 1
	s_sub_co_i32 s10, s8, s3
	s_cmp_ge_u32 s8, s3
	s_cselect_b32 s6, s9, s6
	s_cselect_b32 s8, s10, s8
	s_add_co_i32 s9, s6, 1
	s_cmp_ge_u32 s8, s3
	s_cselect_b32 s3, s9, s6
	s_load_b64 s[8:9], s[0:1], 0x40
	s_xor_b32 s3, s3, s7
	s_abs_i32 s16, s2
	s_sub_co_i32 s10, s3, s7
	s_mov_b32 s7, s17
	s_abs_i32 s15, s10
	s_delay_alu instid0(SALU_CYCLE_1) | instskip(SKIP_1) | instid1(SALU_CYCLE_2)
	s_cvt_f32_u32 s3, s15
	s_sub_co_i32 s6, 0, s15
	v_rcp_iflag_f32_e32 v1, s3
	v_nop
	s_delay_alu instid0(TRANS32_DEP_1) | instskip(SKIP_1) | instid1(SALU_CYCLE_3)
	v_readfirstlane_b32 s3, v1
	s_mul_f32 s3, s3, 0x4f7ffffe
	s_cvt_u32_f32 s3, s3
	s_delay_alu instid0(SALU_CYCLE_3) | instskip(NEXT) | instid1(SALU_CYCLE_1)
	s_mul_i32 s6, s6, s3
	s_mul_hi_u32 s6, s3, s6
	s_delay_alu instid0(SALU_CYCLE_1)
	s_add_co_i32 s6, s3, s6
	s_wait_kmcnt 0x0
	s_cmp_eq_u64 s[8:9], 0
	s_cbranch_scc1 .LBB110_2
; %bb.1:
	s_ashr_i32 s3, s2, 31
	s_delay_alu instid0(SALU_CYCLE_1) | instskip(NEXT) | instid1(SALU_CYCLE_1)
	s_lshl_b64 s[12:13], s[2:3], 2
	s_add_nc_u64 s[8:9], s[8:9], s[12:13]
	s_load_b32 s36, s[8:9], 0x0
.LBB110_2:
	s_load_b32 s31, s[4:5], s30 offset:0x0 scale_offset
	s_load_b96 s[12:14], s[0:1], 0x48
	v_and_b32_e32 v4, 3, v0
	s_wait_xcnt 0x0
	s_mul_u64 s[4:5], s[16:17], s[6:7]
	s_ashr_i32 s3, s2, 31
	s_ashr_i32 s18, s10, 31
	s_mul_i32 s6, s2, 0x50
	s_mov_b32 s4, exec_lo
	v_cmpx_gt_u32_e32 40, v0
	s_cbranch_execz .LBB110_4
; %bb.3:
	s_load_b64 s[8:9], s[0:1], 0x8
	s_wait_kmcnt 0x0
	s_mul_i32 s10, s12, s30
	s_ashr_i32 s7, s6, 31
	s_ashr_i32 s11, s10, 31
	v_and_b32_e32 v2, 0x3fc, v0
	s_lshl_b64 s[10:11], s[10:11], 1
	s_delay_alu instid0(VALU_DEP_1) | instskip(SKIP_2) | instid1(SALU_CYCLE_1)
	v_mad_u32_u24 v2, v4, 40, v2
	s_add_nc_u64 s[8:9], s[8:9], s[10:11]
	s_lshl_b64 s[10:11], s[6:7], 1
	s_add_nc_u64 s[8:9], s[8:9], s[10:11]
	global_load_b32 v1, v0, s[8:9] scale_offset
	s_wait_loadcnt 0x0
	ds_store_b32 v2, v1
.LBB110_4:
	s_or_b32 exec_lo, exec_lo, s4
	s_load_b128 s[8:11], s[0:1], 0x68
	s_mul_i32 s4, s5, s15
	s_xor_b32 s3, s3, s18
	s_sub_co_i32 s4, s16, s4
	s_add_co_i32 s7, s5, 1
	s_wait_kmcnt 0x0
	s_sub_co_i32 s12, s4, s15
	s_cmp_ge_u32 s4, s15
	s_mov_b32 s18, -1
	s_cselect_b32 s5, s7, s5
	s_cselect_b32 s4, s12, s4
	s_add_co_i32 s12, s5, 1
	s_cmp_ge_u32 s4, s15
	s_load_b32 s7, s[0:1], 0x78
	s_cselect_b32 s4, s12, s5
	s_add_co_i32 s15, s31, -1
	s_xor_b32 s4, s4, s3
	s_wait_dscnt 0x0
	s_sub_co_i32 s3, s4, s3
	s_barrier_signal -1
	s_barrier_wait -1
	s_abs_i32 s12, s11
	s_delay_alu instid0(SALU_CYCLE_1) | instskip(NEXT) | instid1(SALU_CYCLE_3)
	s_cvt_f32_u32 s5, s12
                                        ; implicit-def: $sgpr33
	v_rcp_iflag_f32_e32 v1, s5
	v_nop
	s_delay_alu instid0(TRANS32_DEP_1) | instskip(SKIP_1) | instid1(SALU_CYCLE_3)
	v_readfirstlane_b32 s5, v1
	s_mul_f32 s4, s5, 0x4f7ffffe
	s_cvt_u32_f32 s16, s4
	s_sub_co_i32 s4, 0, s12
	s_delay_alu instid0(SALU_CYCLE_2)
	s_mul_i32 s5, s4, s16
	s_abs_i32 s4, s15
	s_mul_hi_u32 s17, s16, s5
	s_mov_b32 s5, 0
	s_add_co_i32 s16, s16, s17
	s_wait_kmcnt 0x0
	s_cmp_lt_i32 s7, 0
	s_mov_b32 s17, s5
	s_cbranch_scc0 .LBB110_6
; %bb.5:
	s_mul_i32 s18, s8, s22
	s_delay_alu instid0(SALU_CYCLE_1) | instskip(NEXT) | instid1(SALU_CYCLE_1)
	s_add_co_i32 s18, s3, s18
	s_mul_i32 s18, s18, s7
	s_delay_alu instid0(SALU_CYCLE_1)
	s_sub_co_i32 s33, 1, s18
	s_mov_b32 s18, s5
.LBB110_6:
	s_ashr_i32 s15, s15, 31
	s_ashr_i32 s34, s11, 31
	s_and_not1_b32 vcc_lo, exec_lo, s18
	s_mul_u64 s[24:25], s[4:5], s[16:17]
	s_cbranch_vccnz .LBB110_8
; %bb.7:
	s_mul_i32 s5, s29, s8
	s_delay_alu instid0(SALU_CYCLE_1) | instskip(NEXT) | instid1(SALU_CYCLE_1)
	s_add_co_i32 s2, s5, s2
	s_mul_i32 s2, s2, s7
	s_delay_alu instid0(SALU_CYCLE_1)
	s_add_co_i32 s33, s2, 1
.LBB110_8:
	s_load_b32 s2, s[0:1], 0x38
	s_mul_i32 s7, s25, s12
	s_xor_b32 s5, s15, s34
	s_sub_co_i32 s4, s4, s7
	s_add_co_i32 s8, s25, 1
	s_clause 0x1
	s_load_b64 s[18:19], s[0:1], 0x28
	s_load_b32 s7, s[0:1], 0x88
	v_dual_mov_b32 v12, 0xff7fffff :: v_dual_lshrrev_b32 v1, 5, v0
	v_lshrrev_b32_e32 v8, 3, v0
	v_mbcnt_lo_u32_b32 v9, -1, 0
	s_mul_i32 s14, s3, s14
	s_delay_alu instid0(VALU_DEP_3)
	v_lshlrev_b32_e32 v18, 3, v1
	s_wait_kmcnt 0x0
	s_mul_i32 s20, s2, s30
	s_sub_co_i32 s2, s4, s12
	s_ashr_i32 s21, s20, 31
	s_cmp_ge_u32 s4, s12
	s_cselect_b32 s8, s8, s25
	s_cselect_b32 s2, s2, s4
	s_add_co_i32 s4, s8, 1
	s_cmp_ge_u32 s2, s12
	s_cselect_b32 s2, s4, s8
	s_add_co_i32 s4, s31, 7
	s_delay_alu instid0(SALU_CYCLE_1) | instskip(NEXT) | instid1(SALU_CYCLE_1)
	s_ashr_i32 s8, s4, 31
	s_lshr_b32 s8, s8, 29
	s_delay_alu instid0(SALU_CYCLE_1) | instskip(NEXT) | instid1(SALU_CYCLE_1)
	s_add_co_i32 s4, s4, s8
	s_ashr_i32 s35, s4, 3
	s_xor_b32 s4, s2, s5
	v_cmp_gt_i32_e64 s2, s35, v1
	s_sub_co_i32 s8, s4, s5
	s_and_saveexec_b32 s11, s2
	s_cbranch_execz .LBB110_20
; %bb.9:
	s_load_b64 s[4:5], s[0:1], 0x10
	s_ashr_i32 s15, s14, 31
	s_sub_co_i32 s22, s8, s9
	s_ashr_i32 s25, s13, 31
	s_lshl_b64 s[38:39], s[14:15], 1
	s_cmp_neq_f32 s36, 0
	v_bfe_u32 v10, v0, 2, 3
	v_mov_b32_e32 v3, 0
	v_mul_u32_u24_e32 v11, 40, v4
	s_cselect_b32 vcc_lo, -1, 0
	s_abs_i32 s15, s10
	v_lshlrev_b32_e32 v2, 4, v10
	s_cvt_f32_u32 s3, s15
	v_subrev_nc_u32_e32 v7, s31, v10
	v_lshlrev_b32_e32 v6, 2, v0
	s_sub_co_i32 s26, 0, s15
	v_rcp_iflag_f32_e32 v5, s3
	v_cmp_eq_u32_e64 s3, 0, v4
	v_add_nc_u32_e32 v13, 1, v7
	v_mov_b32_e32 v15, 0xff7fffff
	s_wait_kmcnt 0x0
	s_add_nc_u64 s[4:5], s[4:5], s[38:39]
	v_dual_mov_b32 v19, v1 :: v_dual_bitop2_b32 v16, 2, v9 bitop3:0x14
	v_readfirstlane_b32 s24, v5
	v_add_nc_u64_e32 v[4:5], s[4:5], v[2:3]
	v_and_b32_e32 v2, 12, v6
	v_lshlrev_b32_e32 v6, 2, v10
	s_lshl_b64 s[4:5], s[20:21], 2
	s_mul_f32 s24, s24, 0x4f7ffffe
	s_add_nc_u64 s[4:5], s[18:19], s[4:5]
	v_xor_b32_e32 v17, 1, v9
	v_add_nc_u64_e32 v[4:5], v[4:5], v[2:3]
	v_and_b32_e32 v2, 0x7c, v8
	s_cvt_u32_f32 s37, s24
	v_lshl_or_b32 v12, v1, 5, v6
	s_mov_b32 s27, 0
	s_mov_b32 s24, s13
	v_add_nc_u64_e32 v[6:7], s[4:5], v[2:3]
	s_mul_i32 s26, s26, s37
	v_lshlrev_b32_e32 v2, 3, v1
	v_add_nc_u32_e32 v14, 0xc0, v12
	v_mov_b32_e32 v12, 0xff7fffff
	s_mul_hi_u32 s4, s37, s26
	s_delay_alu instid0(SALU_CYCLE_1)
	s_add_co_i32 s26, s37, s4
	s_mov_b32 s37, s27
	s_branch .LBB110_12
.LBB110_10:                             ;   in Loop: Header=BB110_12 Depth=1
	s_or_b32 exec_lo, exec_lo, s38
.LBB110_11:                             ;   in Loop: Header=BB110_12 Depth=1
	s_delay_alu instid0(SALU_CYCLE_1) | instskip(SKIP_3) | instid1(VALU_DEP_3)
	s_or_b32 exec_lo, exec_lo, s5
	v_dual_add_nc_u32 v19, 4, v19 :: v_dual_add_nc_u32 v2, 32, v2
	v_add_nc_u64_e32 v[6:7], 16, v[6:7]
	v_add_nc_u32_e32 v14, 0x80, v14
	v_cmp_le_i32_e64 s4, s35, v19
	s_or_b32 s37, s4, s37
	s_delay_alu instid0(SALU_CYCLE_1)
	s_and_not1_b32 exec_lo, exec_lo, s37
	s_cbranch_execz .LBB110_19
.LBB110_12:                             ; =>This Inner Loop Header: Depth=1
	s_wait_dscnt 0x0
	v_mul_u64_e32 v[20:21], s[16:17], v[2:3]
	s_delay_alu instid0(VALU_DEP_1) | instskip(NEXT) | instid1(VALU_DEP_1)
	v_mul_lo_u32 v20, v21, s12
	v_dual_add_nc_u32 v22, 1, v21 :: v_dual_sub_nc_u32 v20, v2, v20
	s_delay_alu instid0(VALU_DEP_1) | instskip(SKIP_1) | instid1(VALU_DEP_1)
	v_subrev_nc_u32_e32 v23, s12, v20
	v_cmp_le_u32_e64 s4, s12, v20
	v_dual_cndmask_b32 v21, v21, v22, s4 :: v_dual_cndmask_b32 v20, v20, v23, s4
	s_delay_alu instid0(VALU_DEP_1) | instskip(NEXT) | instid1(VALU_DEP_2)
	v_add_nc_u32_e32 v22, 1, v21
	v_cmp_le_u32_e64 s4, s12, v20
	s_delay_alu instid0(VALU_DEP_1) | instskip(NEXT) | instid1(VALU_DEP_1)
	v_dual_cndmask_b32 v20, v21, v22, s4 :: v_dual_mov_b32 v21, v3
	v_xor_b32_e32 v20, s34, v20
	s_delay_alu instid0(VALU_DEP_1) | instskip(NEXT) | instid1(VALU_DEP_1)
	v_subrev_nc_u32_e32 v24, s34, v20
	v_add_nc_u32_e32 v25, s33, v24
	v_cmp_ge_i32_e64 s5, s22, v24
	s_delay_alu instid0(VALU_DEP_2) | instskip(NEXT) | instid1(VALU_DEP_1)
	v_sub_nc_u32_e32 v20, 0, v25
	v_max_i32_e32 v20, v25, v20
	s_delay_alu instid0(VALU_DEP_1) | instskip(SKIP_1) | instid1(VALU_DEP_2)
	v_mul_u64_e32 v[22:23], s[26:27], v[20:21]
	v_ashrrev_i32_e32 v22, 31, v25
	v_mul_lo_u32 v21, v23, s15
	s_delay_alu instid0(VALU_DEP_1) | instskip(NEXT) | instid1(VALU_DEP_1)
	v_sub_nc_u32_e32 v20, v20, v21
	v_subrev_nc_u32_e32 v21, s15, v20
	v_cmp_le_u32_e64 s4, s15, v20
	s_delay_alu instid0(VALU_DEP_1) | instskip(NEXT) | instid1(VALU_DEP_1)
	v_cndmask_b32_e64 v20, v20, v21, s4
	v_subrev_nc_u32_e32 v21, s15, v20
	v_cmp_le_u32_e64 s4, s15, v20
	s_delay_alu instid0(VALU_DEP_1) | instskip(NEXT) | instid1(VALU_DEP_1)
	v_cndmask_b32_e64 v20, v20, v21, s4
	v_xor_b32_e32 v20, v20, v22
	s_delay_alu instid0(VALU_DEP_1) | instskip(NEXT) | instid1(VALU_DEP_1)
	v_sub_nc_u32_e32 v20, v20, v22
	v_cmp_ne_u32_e64 s4, 0, v20
	s_and_b32 s4, s4, s5
	s_delay_alu instid0(SALU_CYCLE_1) | instskip(NEXT) | instid1(SALU_CYCLE_1)
	s_and_saveexec_b32 s5, s4
	s_xor_b32 s4, exec_lo, s5
	s_cbranch_execz .LBB110_16
; %bb.13:                               ;   in Loop: Header=BB110_12 Depth=1
	s_and_saveexec_b32 s5, s3
; %bb.14:                               ;   in Loop: Header=BB110_12 Depth=1
	ds_store_b32 v14, v15
; %bb.15:                               ;   in Loop: Header=BB110_12 Depth=1
	s_or_b32 exec_lo, exec_lo, s5
.LBB110_16:                             ;   in Loop: Header=BB110_12 Depth=1
	s_and_not1_saveexec_b32 s5, s4
	s_cbranch_execz .LBB110_11
; %bb.17:                               ;   in Loop: Header=BB110_12 Depth=1
	global_load_b32 v20, v[6:7], off
	v_cmp_gt_i32_e64 s4, 32, v16
	s_wait_loadcnt 0x0
	v_ashrrev_i32_e32 v21, 31, v20
	s_delay_alu instid0(VALU_DEP_1) | instskip(NEXT) | instid1(VALU_DEP_1)
	v_mul_u64_e32 v[20:21], s[24:25], v[20:21]
	v_lshl_add_u64 v[20:21], v[20:21], 1, v[4:5]
	s_clause 0x9
	global_load_b32 v28, v[20:21], off offset:128
	global_load_b32 v29, v[20:21], off
	global_load_b32 v30, v[20:21], off offset:256
	global_load_b32 v31, v[20:21], off offset:384
	global_load_b32 v32, v[20:21], off offset:512
	global_load_b32 v33, v[20:21], off offset:640
	global_load_b32 v34, v[20:21], off offset:768
	global_load_b32 v35, v[20:21], off offset:896
	global_load_b32 v36, v[20:21], off offset:1024
	global_load_b32 v37, v[20:21], off offset:1152
	s_wait_xcnt 0x0
	ds_load_2addr_b64 v[20:23], v11 offset1:1
	ds_load_2addr_b64 v[24:27], v11 offset0:2 offset1:3
	s_wait_dscnt 0x1
	v_lshlrev_b32_e32 v38, 16, v21
	v_and_b32_e32 v21, 0xffff0000, v21
	s_wait_loadcnt 0x9
	v_lshlrev_b32_e32 v39, 16, v28
	v_and_b32_e32 v28, 0xffff0000, v28
	s_delay_alu instid0(VALU_DEP_1) | instskip(SKIP_1) | instid1(VALU_DEP_1)
	v_dual_mul_f32 v38, v38, v39 :: v_dual_mul_f32 v21, v21, v28
	s_wait_loadcnt 0x8
	v_fma_mix_f32_bf16 v28, v20, v29, v38 op_sel_hi:[1,1,0]
	s_delay_alu instid0(VALU_DEP_2) | instskip(SKIP_1) | instid1(VALU_DEP_2)
	v_fma_mix_f32_bf16 v20, v20, v29, v21 op_sel:[1,1,0] op_sel_hi:[1,1,0]
	s_wait_loadcnt 0x7
	v_fma_mix_f32_bf16 v21, v22, v30, v28 op_sel_hi:[1,1,0]
	s_delay_alu instid0(VALU_DEP_2) | instskip(SKIP_1) | instid1(VALU_DEP_2)
	v_fma_mix_f32_bf16 v20, v22, v30, v20 op_sel:[1,1,0] op_sel_hi:[1,1,0]
	s_wait_loadcnt 0x6
	v_fma_mix_f32_bf16 v22, v23, v31, v21 op_sel_hi:[1,1,0]
	s_delay_alu instid0(VALU_DEP_2)
	v_fma_mix_f32_bf16 v23, v23, v31, v20 op_sel:[1,1,0] op_sel_hi:[1,1,0]
	ds_load_b64 v[20:21], v11 offset:32
	s_wait_loadcnt_dscnt 0x501
	v_fma_mix_f32_bf16 v22, v24, v32, v22 op_sel_hi:[1,1,0]
	v_fma_mix_f32_bf16 v23, v24, v32, v23 op_sel:[1,1,0] op_sel_hi:[1,1,0]
	s_wait_loadcnt 0x4
	s_delay_alu instid0(VALU_DEP_2) | instskip(NEXT) | instid1(VALU_DEP_2)
	v_fma_mix_f32_bf16 v22, v25, v33, v22 op_sel_hi:[1,1,0]
	v_fma_mix_f32_bf16 v23, v25, v33, v23 op_sel:[1,1,0] op_sel_hi:[1,1,0]
	s_wait_loadcnt 0x3
	s_delay_alu instid0(VALU_DEP_2) | instskip(NEXT) | instid1(VALU_DEP_2)
	;; [unrolled: 4-line block ×3, first 2 shown]
	v_fma_mix_f32_bf16 v22, v27, v35, v22 op_sel_hi:[1,1,0]
	v_fma_mix_f32_bf16 v23, v27, v35, v23 op_sel:[1,1,0] op_sel_hi:[1,1,0]
	s_wait_loadcnt_dscnt 0x100
	s_delay_alu instid0(VALU_DEP_2) | instskip(NEXT) | instid1(VALU_DEP_2)
	v_fma_mix_f32_bf16 v22, v20, v36, v22 op_sel_hi:[1,1,0]
	v_fma_mix_f32_bf16 v20, v20, v36, v23 op_sel:[1,1,0] op_sel_hi:[1,1,0]
	v_cndmask_b32_e64 v23, v9, v16, s4
	v_cmp_gt_i32_e64 s4, 32, v17
	s_wait_loadcnt 0x0
	v_fma_mix_f32_bf16 v22, v21, v37, v22 op_sel_hi:[1,1,0]
	v_fma_mix_f32_bf16 v20, v21, v37, v20 op_sel:[1,1,0] op_sel_hi:[1,1,0]
	s_delay_alu instid0(VALU_DEP_1) | instskip(NEXT) | instid1(VALU_DEP_1)
	v_dual_add_f32 v20, v22, v20 :: v_dual_cndmask_b32 v22, v9, v17, s4
	v_dual_lshlrev_b32 v21, 2, v23 :: v_dual_lshlrev_b32 v22, 2, v22
	ds_bpermute_b32 v21, v21, v20
	s_wait_dscnt 0x0
	v_add_f32_e32 v20, v20, v21
	ds_bpermute_b32 v21, v22, v20
	s_and_saveexec_b32 s38, s3
	s_cbranch_execz .LBB110_10
; %bb.18:                               ;   in Loop: Header=BB110_12 Depth=1
	s_wait_dscnt 0x0
	v_dual_add_nc_u32 v22, v13, v2 :: v_dual_add_f32 v20, v20, v21
	s_delay_alu instid0(VALU_DEP_1) | instskip(NEXT) | instid1(VALU_DEP_1)
	v_cvt_f32_i32_e32 v22, v22
	v_mul_f32_e32 v22, s36, v22
	s_delay_alu instid0(VALU_DEP_1) | instskip(NEXT) | instid1(VALU_DEP_1)
	v_dual_cndmask_b32 v21, 0, v22 :: v_dual_max_num_f32 v22, v12, v12
	v_dual_fmac_f32 v21, s23, v20 :: v_dual_add_nc_u32 v20, v10, v2
	s_delay_alu instid0(VALU_DEP_1) | instskip(NEXT) | instid1(VALU_DEP_1)
	v_cmp_gt_i32_e64 s4, s31, v20
	v_dual_max_num_f32 v22, v22, v21 :: v_dual_cndmask_b32 v20, 0, v21, s4
	s_delay_alu instid0(VALU_DEP_1)
	v_cndmask_b32_e64 v12, v12, v22, s4
	ds_store_b32 v14, v20
	s_branch .LBB110_10
.LBB110_19:
	s_or_b32 exec_lo, exec_lo, s37
.LBB110_20:
	s_delay_alu instid0(SALU_CYCLE_1)
	s_or_b32 exec_lo, exec_lo, s11
	v_dual_max_num_f32 v5, v12, v12 :: v_dual_bitop2_b32 v2, 16, v9 bitop3:0x14
	s_clause 0x1
	s_load_b64 s[4:5], s[0:1], 0x0
	s_load_b64 s[22:23], s[0:1], 0x18
	v_and_b32_e32 v30, 31, v0
	v_xor_b32_e32 v4, 8, v9
	v_cmp_gt_i32_e32 vcc_lo, 32, v2
	v_cndmask_b32_e32 v2, v9, v2, vcc_lo
	s_delay_alu instid0(VALU_DEP_3) | instskip(NEXT) | instid1(VALU_DEP_2)
	v_cmp_gt_i32_e32 vcc_lo, 32, v4
	v_dual_lshlrev_b32 v2, 2, v2 :: v_dual_cndmask_b32 v4, v9, v4, vcc_lo
	ds_bpermute_b32 v3, v2, v12
	s_wait_dscnt 0x0
	v_dual_max_num_f32 v6, v3, v3 :: v_dual_lshlrev_b32 v3, 2, v4
	s_delay_alu instid0(VALU_DEP_1) | instskip(SKIP_4) | instid1(VALU_DEP_1)
	v_dual_max_num_f32 v4, v5, v6 :: v_dual_bitop2_b32 v6, 4, v9 bitop3:0x14
	ds_bpermute_b32 v5, v3, v4
	v_cmp_gt_i32_e32 vcc_lo, 32, v6
	v_cndmask_b32_e32 v6, v9, v6, vcc_lo
	s_wait_dscnt 0x0
	v_dual_max_num_f32 v5, v5, v5 :: v_dual_lshlrev_b32 v6, 2, v6
	s_delay_alu instid0(VALU_DEP_1)
	v_max_num_f32_e32 v5, v4, v5
	v_lshlrev_b32_e32 v4, 2, v1
	v_cmp_eq_u32_e32 vcc_lo, 0, v30
	ds_bpermute_b32 v7, v6, v5
	s_wait_xcnt 0x0
	s_and_saveexec_b32 s0, vcc_lo
	s_cbranch_execz .LBB110_22
; %bb.21:
	s_wait_dscnt 0x0
	v_dual_max_num_f32 v7, v7, v7 :: v_dual_max_num_f32 v5, v5, v5
	s_delay_alu instid0(VALU_DEP_1)
	v_max_num_f32_e32 v5, v5, v7
	ds_store_b32 v4, v5 offset:160
.LBB110_22:
	s_or_b32 exec_lo, exec_lo, s0
	v_cmp_gt_u32_e64 s0, 4, v30
	v_dual_mov_b32 v10, 0xff7fffff :: v_dual_lshlrev_b32 v5, 2, v30
	s_wait_dscnt 0x0
	s_barrier_signal -1
	s_barrier_wait -1
	s_and_saveexec_b32 s1, s0
; %bb.23:
	ds_load_b32 v10, v5 offset:160
; %bb.24:
	s_or_b32 exec_lo, exec_lo, s1
	v_xor_b32_e32 v7, 2, v9
	v_lshl_add_u32 v31, v0, 2, 0xc0
	v_xor_b32_e32 v12, 1, v9
	s_delay_alu instid0(VALU_DEP_3) | instskip(NEXT) | instid1(VALU_DEP_1)
	v_cmp_gt_i32_e64 s1, 32, v7
	v_cndmask_b32_e64 v7, v9, v7, s1
	s_delay_alu instid0(VALU_DEP_3) | instskip(NEXT) | instid1(VALU_DEP_1)
	v_cmp_gt_i32_e64 s1, 32, v12
	v_dual_lshlrev_b32 v7, 2, v7 :: v_dual_cndmask_b32 v9, v9, v12, s1
	s_lshl_b32 s1, s35, 3
	s_delay_alu instid0(SALU_CYCLE_1)
	s_min_i32 s11, s1, s31
	s_wait_dscnt 0x0
	ds_bpermute_b32 v11, v7, v10
	v_max_num_f32_e32 v10, v10, v10
	v_cmp_gt_i32_e64 s1, s11, v0
	s_wait_dscnt 0x0
	v_dual_lshlrev_b32 v9, 2, v9 :: v_dual_max_num_f32 v11, v11, v11
	s_delay_alu instid0(VALU_DEP_1) | instskip(SKIP_3) | instid1(VALU_DEP_1)
	v_max_num_f32_e32 v10, v10, v11
	ds_bpermute_b32 v11, v9, v10
	s_wait_dscnt 0x0
	v_max_num_f32_e32 v11, v11, v11
	v_dual_max_num_f32 v11, v10, v11 :: v_dual_mov_b32 v10, 0
	ds_bpermute_b32 v11, v10, v11
	s_and_saveexec_b32 s15, s1
	s_cbranch_execz .LBB110_28
; %bb.25:
	v_lshl_add_u32 v12, v0, 2, 0xc0
	v_dual_mov_b32 v10, 0 :: v_dual_mov_b32 v13, v0
	s_mov_b32 s24, 0
.LBB110_26:                             ; =>This Inner Loop Header: Depth=1
	ds_load_b32 v14, v12
	v_add_nc_u32_e32 v13, 0x80, v13
	s_delay_alu instid0(VALU_DEP_1) | instskip(SKIP_3) | instid1(VALU_DEP_1)
	v_cmp_le_i32_e64 s3, s11, v13
	s_or_b32 s24, s3, s24
	s_wait_dscnt 0x0
	v_sub_f32_e32 v14, v14, v11
	v_mul_f32_e32 v14, 0x3fb8aa3b, v14
	s_delay_alu instid0(VALU_DEP_1)
	v_exp_f32_e32 v14, v14
	ds_store_b32 v12, v14
	v_nop
	v_add_f32_e32 v10, v10, v14
	v_add_nc_u32_e32 v12, 0x200, v12
	s_and_not1_b32 exec_lo, exec_lo, s24
	s_cbranch_execnz .LBB110_26
; %bb.27:
	s_or_b32 exec_lo, exec_lo, s24
.LBB110_28:
	s_delay_alu instid0(SALU_CYCLE_1)
	s_or_b32 exec_lo, exec_lo, s15
	ds_bpermute_b32 v2, v2, v10
	s_wait_dscnt 0x0
	v_add_f32_e32 v2, v10, v2
	ds_bpermute_b32 v3, v3, v2
	s_wait_dscnt 0x0
	v_add_f32_e32 v2, v2, v3
	;; [unrolled: 3-line block ×5, first 2 shown]
	s_and_saveexec_b32 s3, vcc_lo
; %bb.29:
	ds_store_b32 v4, v2 offset:176
; %bb.30:
	s_or_b32 exec_lo, exec_lo, s3
	s_wait_dscnt 0x0
	s_barrier_signal -1
	s_barrier_wait -1
	s_and_saveexec_b32 s3, s0
; %bb.31:
	ds_load_b32 v2, v5 offset:176
; %bb.32:
	s_or_b32 exec_lo, exec_lo, s3
	s_wait_dscnt 0x0
	ds_bpermute_b32 v3, v7, v2
	s_wait_dscnt 0x0
	v_dual_mov_b32 v32, 0 :: v_dual_add_f32 v2, v2, v3
	ds_bpermute_b32 v3, v9, v2
	s_wait_dscnt 0x0
	v_add_f32_e32 v2, v2, v3
	ds_bpermute_b32 v2, v32, v2
	s_and_saveexec_b32 s0, s1
	s_cbranch_execz .LBB110_45
; %bb.33:
	s_wait_dscnt 0x0
	v_add_f32_e32 v2, 0x358637bd, v2
	s_mov_b32 s3, -1
	s_mov_b32 s1, exec_lo
	s_delay_alu instid0(VALU_DEP_1) | instskip(NEXT) | instid1(VALU_DEP_1)
	v_div_scale_f32 v3, null, v2, v2, 1.0
	v_rcp_f32_e32 v5, v3
	v_nop
	s_delay_alu instid0(TRANS32_DEP_1) | instskip(NEXT) | instid1(VALU_DEP_1)
	v_fma_f32 v4, -v3, v5, 1.0
	v_fmac_f32_e32 v5, v4, v5
	v_div_scale_f32 v6, vcc_lo, 1.0, v2, 1.0
	s_delay_alu instid0(VALU_DEP_1) | instskip(NEXT) | instid1(VALU_DEP_1)
	v_mul_f32_e32 v7, v6, v5
	v_fma_f32 v4, -v3, v7, v6
	s_delay_alu instid0(VALU_DEP_1) | instskip(SKIP_1) | instid1(VALU_DEP_2)
	v_fmac_f32_e32 v7, v4, v5
	v_xad_u32 v4, v0, -1, s11
	v_fma_f32 v3, -v3, v7, v6
	s_delay_alu instid0(VALU_DEP_1) | instskip(NEXT) | instid1(VALU_DEP_1)
	v_div_fmas_f32 v3, v3, v5, v7
	v_div_fixup_f32 v2, v3, v2, 1.0
	v_mov_b32_e32 v3, v0
	v_cmpx_lt_u32_e32 0x7f, v4
	s_cbranch_execz .LBB110_42
; %bb.34:
	s_delay_alu instid0(VALU_DEP_3) | instskip(NEXT) | instid1(VALU_DEP_1)
	v_dual_mov_b32 v3, v2 :: v_dual_lshrrev_b32 v4, 7, v4
	v_dual_mov_b32 v9, 0 :: v_dual_add_nc_u32 v5, -1, v4
	s_delay_alu instid0(VALU_DEP_1) | instskip(SKIP_1) | instid1(VALU_DEP_2)
	v_lshrrev_b32_e32 v6, 1, v5
	v_cmp_lt_u32_e32 vcc_lo, 13, v5
	v_add_nc_u32_e32 v5, 1, v6
	s_and_saveexec_b32 s3, vcc_lo
	s_cbranch_execz .LBB110_38
; %bb.35:
	s_delay_alu instid0(VALU_DEP_1)
	v_dual_mov_b32 v7, v31 :: v_dual_bitop2_b32 v6, -8, v5 bitop3:0x40
	s_mov_b32 s15, 0
	s_mov_b32 s24, 0
.LBB110_36:                             ; =>This Inner Loop Header: Depth=1
	ds_load_2addr_stride64_b32 v[10:11], v7 offset1:2
	ds_load_2addr_stride64_b32 v[12:13], v7 offset0:4 offset1:6
	ds_load_2addr_stride64_b32 v[14:15], v7 offset0:8 offset1:10
	;; [unrolled: 1-line block ×7, first 2 shown]
	s_add_co_i32 s24, s24, 16
	s_delay_alu instid0(SALU_CYCLE_1) | instskip(NEXT) | instid1(VALU_DEP_1)
	v_dual_mov_b32 v9, s24 :: v_dual_add_nc_u32 v6, -8, v6
	v_cmp_eq_u32_e32 vcc_lo, 0, v6
	s_or_b32 s15, vcc_lo, s15
	s_wait_dscnt 0x7
	v_pk_mul_f32 v[10:11], v[2:3], v[10:11]
	s_wait_dscnt 0x6
	v_pk_mul_f32 v[12:13], v[2:3], v[12:13]
	;; [unrolled: 2-line block ×8, first 2 shown]
	ds_store_2addr_stride64_b32 v7, v10, v11 offset1:2
	ds_store_2addr_stride64_b32 v7, v12, v13 offset0:4 offset1:6
	ds_store_2addr_stride64_b32 v7, v14, v15 offset0:8 offset1:10
	;; [unrolled: 1-line block ×7, first 2 shown]
	v_add_nc_u32_e32 v7, 0x2000, v7
	s_and_not1_b32 exec_lo, exec_lo, s15
	s_cbranch_execnz .LBB110_36
; %bb.37:
	s_or_b32 exec_lo, exec_lo, s15
.LBB110_38:
	s_delay_alu instid0(SALU_CYCLE_1) | instskip(NEXT) | instid1(VALU_DEP_1)
	s_or_b32 exec_lo, exec_lo, s3
	v_and_b32_e32 v5, 7, v5
	s_mov_b32 s15, 0
	s_mov_b32 s3, exec_lo
	s_delay_alu instid0(VALU_DEP_1)
	v_cmpx_ne_u32_e32 0, v5
	s_cbranch_execz .LBB110_41
; %bb.39:
	v_dual_lshlrev_b32 v6, 9, v9 :: v_dual_lshlrev_b32 v7, 2, v0
	s_delay_alu instid0(VALU_DEP_1)
	v_add3_u32 v6, v6, v7, 0xc0
.LBB110_40:                             ; =>This Inner Loop Header: Depth=1
	ds_load_2addr_stride64_b32 v[10:11], v6 offset1:2
	v_add_nc_u32_e32 v5, -1, v5
	s_delay_alu instid0(VALU_DEP_1)
	v_cmp_eq_u32_e32 vcc_lo, 0, v5
	s_or_b32 s15, vcc_lo, s15
	s_wait_dscnt 0x0
	v_pk_mul_f32 v[10:11], v[2:3], v[10:11]
	ds_store_2addr_stride64_b32 v6, v10, v11 offset1:2
	v_add_nc_u32_e32 v6, 0x400, v6
	s_and_not1_b32 exec_lo, exec_lo, s15
	s_cbranch_execnz .LBB110_40
.LBB110_41:
	s_or_b32 exec_lo, exec_lo, s3
	v_add_nc_u32_e32 v3, 1, v4
	s_delay_alu instid0(VALU_DEP_1) | instskip(NEXT) | instid1(VALU_DEP_1)
	v_and_b32_e32 v4, 0x3fffffe, v3
	v_cmp_ne_u32_e32 vcc_lo, v3, v4
	v_lshl_add_u32 v3, v4, 7, v0
	s_or_not1_b32 s3, vcc_lo, exec_lo
.LBB110_42:
	s_or_b32 exec_lo, exec_lo, s1
	s_delay_alu instid0(SALU_CYCLE_1)
	s_and_b32 exec_lo, exec_lo, s3
	s_cbranch_execz .LBB110_45
; %bb.43:
	v_lshl_add_u32 v4, v3, 2, 0xc0
	s_mov_b32 s1, 0
.LBB110_44:                             ; =>This Inner Loop Header: Depth=1
	ds_load_b32 v5, v4
	v_add_nc_u32_e32 v3, 0x80, v3
	s_delay_alu instid0(VALU_DEP_1)
	v_cmp_le_i32_e32 vcc_lo, s11, v3
	s_or_b32 s1, vcc_lo, s1
	s_wait_dscnt 0x0
	v_mul_f32_e32 v5, v2, v5
	ds_store_b32 v4, v5
	v_add_nc_u32_e32 v4, 0x200, v4
	s_and_not1_b32 exec_lo, exec_lo, s1
	s_cbranch_execnz .LBB110_44
.LBB110_45:
	s_or_b32 exec_lo, exec_lo, s0
	v_mov_b64_e32 v[20:21], 0
	v_or_b32_e32 v33, 64, v30
	s_wait_dscnt 0x0
	s_barrier_signal -1
	s_barrier_wait -1
	s_and_saveexec_b32 s24, s2
	s_cbranch_execz .LBB110_59
; %bb.46:
	s_abs_i32 s25, s10
	s_sub_co_i32 s26, s8, s9
	s_cvt_f32_u32 s0, s25
	v_dual_mov_b32 v19, 0 :: v_dual_lshlrev_b32 v2, 3, v30
	v_lshlrev_b32_e32 v4, 3, v33
	s_delay_alu instid0(SALU_CYCLE_1)
	v_rcp_iflag_f32_e32 v3, s0
	v_and_b32_e32 v6, 0x7c, v8
	s_lshl_b64 s[0:1], s[20:21], 2
	v_mov_b32_e32 v7, v19
	s_ashr_i32 s15, s14, 31
	s_add_nc_u64 s[0:1], s[18:19], s[0:1]
	s_lshl_b64 s[10:11], s[14:15], 1
	v_readfirstlane_b32 s8, v3
	s_sub_co_i32 s14, 0, s25
	v_mov_b64_e32 v[20:21], 0
	v_add_nc_u64_e32 v[24:25], s[0:1], v[6:7]
	v_lshl_add_u32 v34, v1, 5, 0xc0
	s_mul_f32 s8, s8, 0x4f7ffffe
	v_dual_lshlrev_b32 v22, 1, v2 :: v_dual_lshlrev_b32 v26, 1, v4
	v_dual_mov_b32 v32, v19 :: v_dual_mov_b32 v35, v1
	s_delay_alu instid0(SALU_CYCLE_1)
	s_cvt_u32_f32 s8, s8
	s_mov_b32 s9, 0
	s_ashr_i32 s3, s13, 31
	s_mov_b32 s2, s13
	s_mul_i32 s14, s14, s8
	s_add_co_i32 s13, s35, -1
	s_mul_hi_u32 s0, s8, s14
	s_wait_kmcnt 0x0
	s_add_nc_u64 s[10:11], s[22:23], s[10:11]
	s_mov_b32 s14, s31
	s_add_co_i32 s8, s8, s0
	s_mov_b32 s15, s9
	v_cmp_gt_u32_e32 vcc_lo, 0x50, v33
	s_branch .LBB110_50
.LBB110_47:                             ;   in Loop: Header=BB110_50 Depth=1
	s_or_b32 exec_lo, exec_lo, s19
	s_wait_loadcnt 0x0
	v_pk_mul_bf16 v10, v23, v10
	v_pk_mul_bf16 v11, v16, v11
	;; [unrolled: 1-line block ×4, first 2 shown]
	s_delay_alu instid0(VALU_DEP_3) | instskip(SKIP_4) | instid1(VALU_DEP_3)
	v_dual_lshlrev_b32 v17, 16, v10 :: v_dual_lshlrev_b32 v27, 16, v11
	v_and_b32_e32 v10, 0xffff0000, v10
	v_and_b32_e32 v11, 0xffff0000, v11
	v_lshlrev_b32_e32 v28, 16, v12
	v_and_b32_e32 v12, 0xffff0000, v12
	v_dual_add_f32 v10, v10, v17 :: v_dual_add_f32 v11, v11, v27
	s_delay_alu instid0(VALU_DEP_2) | instskip(NEXT) | instid1(VALU_DEP_2)
	v_dual_add_f32 v12, v12, v28 :: v_dual_lshlrev_b32 v17, 16, v13
	v_add_f32_e32 v10, v11, v10
	v_and_b32_e32 v11, 0xffff0000, v13
	s_delay_alu instid0(VALU_DEP_1) | instskip(NEXT) | instid1(VALU_DEP_1)
	v_dual_add_f32 v10, v12, v10 :: v_dual_add_f32 v11, v11, v17
	v_add_f32_e32 v10, v11, v10
	s_delay_alu instid0(VALU_DEP_1)
	v_add_f32_e32 v32, v32, v10
.LBB110_48:                             ;   in Loop: Header=BB110_50 Depth=1
	s_or_b32 exec_lo, exec_lo, s1
	s_wait_loadcnt 0x1
	v_pk_mul_bf16 v2, v23, v2
	v_pk_mul_bf16 v3, v16, v3
	s_wait_loadcnt 0x0
	v_pk_mul_bf16 v6, v23, v6
	v_pk_mul_bf16 v12, v16, v7
	;; [unrolled: 1-line block ×3, first 2 shown]
	v_dual_lshlrev_b32 v10, 16, v2 :: v_dual_lshlrev_b32 v11, 16, v3
	v_and_b32_e32 v2, 0xffff0000, v2
	v_and_b32_e32 v3, 0xffff0000, v3
	v_lshlrev_b32_e32 v7, 16, v6
	v_pk_mul_bf16 v4, v15, v4
	s_delay_alu instid0(VALU_DEP_3)
	v_dual_add_f32 v13, v10, v2 :: v_dual_add_f32 v16, v11, v3
	v_pk_mul_bf16 v10, v14, v9
	v_and_b32_e32 v3, 0xffff0000, v6
	v_and_b32_e32 v2, 0xffff0000, v12
	v_lshlrev_b32_e32 v6, 16, v12
	v_and_b32_e32 v9, 0xffff0000, v8
	v_lshlrev_b32_e32 v11, 16, v8
	;; [unrolled: 2-line block ×3, first 2 shown]
	v_pk_add_f32 v[2:3], v[6:7], v[2:3]
	v_lshlrev_b32_e32 v6, 16, v4
	v_and_b32_e32 v7, 0xffff0000, v4
	v_pk_mul_bf16 v12, v14, v5
	v_pk_add_f32 v[4:5], v[10:11], v[8:9]
	v_dual_add_f32 v2, v2, v3 :: v_dual_add_f32 v3, v16, v13
	s_delay_alu instid0(VALU_DEP_3) | instskip(SKIP_1) | instid1(VALU_DEP_2)
	v_dual_add_f32 v6, v6, v7 :: v_dual_lshlrev_b32 v7, 16, v12
	v_and_b32_e32 v8, 0xffff0000, v12
	v_dual_add_f32 v2, v5, v2 :: v_dual_add_f32 v3, v6, v3
	s_delay_alu instid0(VALU_DEP_1) | instskip(NEXT) | instid1(VALU_DEP_1)
	v_dual_add_f32 v5, v7, v8 :: v_dual_add_f32 v2, v4, v2
	v_add_f32_e32 v4, v5, v3
	s_delay_alu instid0(VALU_DEP_2) | instskip(NEXT) | instid1(VALU_DEP_2)
	v_pk_add_f32 v[2:3], v[20:21], v[2:3] op_sel_hi:[1,0]
	v_add_f32_e32 v2, v20, v4
	s_delay_alu instid0(VALU_DEP_1)
	v_mov_b64_e32 v[20:21], v[2:3]
.LBB110_49:                             ;   in Loop: Header=BB110_50 Depth=1
	s_or_b32 exec_lo, exec_lo, s18
	v_dual_add_nc_u32 v35, 4, v35 :: v_dual_add_nc_u32 v18, 32, v18
	v_add_nc_u64_e32 v[24:25], 16, v[24:25]
	v_add_nc_u32_e32 v34, 0x80, v34
	s_delay_alu instid0(VALU_DEP_3) | instskip(SKIP_1) | instid1(SALU_CYCLE_1)
	v_cmp_le_i32_e64 s0, s35, v35
	s_or_b32 s15, s0, s15
	s_and_not1_b32 exec_lo, exec_lo, s15
	s_cbranch_execz .LBB110_58
.LBB110_50:                             ; =>This Inner Loop Header: Depth=1
	v_mul_u64_e32 v[2:3], s[16:17], v[18:19]
	s_delay_alu instid0(VALU_DEP_1) | instskip(NEXT) | instid1(VALU_DEP_1)
	v_mul_lo_u32 v2, v3, s12
	v_dual_add_nc_u32 v4, 1, v3 :: v_dual_sub_nc_u32 v2, v18, v2
	s_delay_alu instid0(VALU_DEP_1) | instskip(SKIP_1) | instid1(VALU_DEP_1)
	v_subrev_nc_u32_e32 v5, s12, v2
	v_cmp_le_u32_e64 s0, s12, v2
	v_dual_cndmask_b32 v3, v3, v4, s0 :: v_dual_cndmask_b32 v2, v2, v5, s0
	s_delay_alu instid0(VALU_DEP_1) | instskip(NEXT) | instid1(VALU_DEP_2)
	v_add_nc_u32_e32 v4, 1, v3
	v_cmp_le_u32_e64 s0, s12, v2
	s_delay_alu instid0(VALU_DEP_1) | instskip(NEXT) | instid1(VALU_DEP_1)
	v_cndmask_b32_e64 v2, v3, v4, s0
	v_dual_mov_b32 v3, v19 :: v_dual_bitop2_b32 v2, s34, v2 bitop3:0x14
	s_delay_alu instid0(VALU_DEP_1) | instskip(NEXT) | instid1(VALU_DEP_1)
	v_subrev_nc_u32_e32 v6, s34, v2
	v_add_nc_u32_e32 v7, s33, v6
	v_cmp_lt_i32_e64 s1, s26, v6
	s_delay_alu instid0(VALU_DEP_2) | instskip(NEXT) | instid1(VALU_DEP_1)
	v_sub_nc_u32_e32 v2, 0, v7
	v_max_i32_e32 v2, v7, v2
	s_delay_alu instid0(VALU_DEP_1) | instskip(SKIP_1) | instid1(VALU_DEP_2)
	v_mul_u64_e32 v[4:5], s[8:9], v[2:3]
	v_ashrrev_i32_e32 v4, 31, v7
	v_mul_lo_u32 v3, v5, s25
	s_delay_alu instid0(VALU_DEP_1) | instskip(NEXT) | instid1(VALU_DEP_1)
	v_sub_nc_u32_e32 v2, v2, v3
	v_subrev_nc_u32_e32 v3, s25, v2
	v_cmp_le_u32_e64 s0, s25, v2
	s_delay_alu instid0(VALU_DEP_1) | instskip(NEXT) | instid1(VALU_DEP_1)
	v_cndmask_b32_e64 v2, v2, v3, s0
	v_subrev_nc_u32_e32 v3, s25, v2
	v_cmp_le_u32_e64 s0, s25, v2
	s_delay_alu instid0(VALU_DEP_1) | instskip(NEXT) | instid1(VALU_DEP_1)
	v_cndmask_b32_e64 v2, v2, v3, s0
	v_xor_b32_e32 v2, v2, v4
	s_delay_alu instid0(VALU_DEP_1) | instskip(NEXT) | instid1(VALU_DEP_1)
	v_sub_nc_u32_e32 v2, v2, v4
	v_cmp_eq_u32_e64 s0, 0, v2
	s_or_b32 s0, s0, s1
	s_delay_alu instid0(SALU_CYCLE_1)
	s_and_saveexec_b32 s18, s0
	s_cbranch_execz .LBB110_49
; %bb.51:                               ;   in Loop: Header=BB110_50 Depth=1
	global_load_b32 v2, v[24:25], off
	v_cmp_eq_u32_e64 s0, s13, v35
	s_wait_loadcnt 0x0
	v_dual_mov_b32 v23, v19 :: v_dual_ashrrev_i32 v3, 31, v2
	s_delay_alu instid0(VALU_DEP_1) | instskip(NEXT) | instid1(VALU_DEP_1)
	v_mul_u64_e32 v[2:3], s[2:3], v[2:3]
	v_lshl_add_u64 v[28:29], v[2:3], 1, s[10:11]
	s_delay_alu instid0(VALU_DEP_1)
	v_add_nc_u64_e32 v[6:7], v[28:29], v[22:23]
	global_load_b128 v[2:5], v[6:7], off
	ds_load_2addr_b64 v[14:17], v34 offset1:1
	ds_load_2addr_b64 v[10:13], v34 offset0:2 offset1:3
	s_wait_xcnt 0x0
	s_and_saveexec_b32 s19, s0
	s_cbranch_execz .LBB110_53
; %bb.52:                               ;   in Loop: Header=BB110_50 Depth=1
	v_dual_add_nc_u32 v8, 1, v18 :: v_dual_bitop2_b32 v23, 2, v18 bitop3:0x54
	s_wait_loadcnt 0x0
	v_dual_lshrrev_b32 v9, 16, v2 :: v_dual_lshrrev_b32 v27, 16, v3
	v_or_b32_e32 v36, 4, v18
	s_delay_alu instid0(VALU_DEP_3) | instskip(SKIP_1) | instid1(VALU_DEP_2)
	v_cmp_gt_i32_e64 s1, s14, v8
	v_dual_lshrrev_b32 v38, 16, v5 :: v_dual_bitop2_b32 v37, 7, v18 bitop3:0x54
	v_dual_cndmask_b32 v8, 0, v9, s1 :: v_dual_bitop2_b32 v9, 3, v18 bitop3:0x54
	v_cmp_gt_i32_e64 s1, s31, v18
	s_delay_alu instid0(VALU_DEP_1) | instskip(SKIP_2) | instid1(VALU_DEP_3)
	v_cndmask_b32_e64 v2, 0, v2, s1
	v_cmp_gt_i32_e64 s1, s31, v23
	v_or_b32_e32 v23, 5, v18
	v_perm_b32 v2, v8, v2, 0x5040100
	s_delay_alu instid0(VALU_DEP_3) | instskip(SKIP_1) | instid1(VALU_DEP_1)
	v_cndmask_b32_e64 v3, 0, v3, s1
	v_cmp_gt_i32_e64 s1, s14, v9
	v_cndmask_b32_e64 v9, 0, v27, s1
	v_cmp_gt_i32_e64 s1, s31, v36
	s_delay_alu instid0(VALU_DEP_1) | instskip(SKIP_3) | instid1(VALU_DEP_2)
	v_dual_cndmask_b32 v27, 0, v4, s1 :: v_dual_bitop2_b32 v36, 6, v18 bitop3:0x54
	v_lshrrev_b32_e32 v4, 16, v4
	v_cmp_gt_i32_e64 s1, s14, v23
	v_perm_b32 v3, v9, v3, 0x5040100
	v_cndmask_b32_e64 v4, 0, v4, s1
	v_cmp_gt_i32_e64 s1, s31, v36
	s_delay_alu instid0(VALU_DEP_1) | instskip(SKIP_1) | instid1(VALU_DEP_4)
	v_cndmask_b32_e64 v5, 0, v5, s1
	v_cmp_gt_i32_e64 s1, s14, v37
	v_perm_b32 v4, v4, v27, 0x5040100
	s_delay_alu instid0(VALU_DEP_2) | instskip(NEXT) | instid1(VALU_DEP_1)
	v_cndmask_b32_e64 v23, 0, v38, s1
	v_perm_b32 v5, v23, v5, 0x5040100
.LBB110_53:                             ;   in Loop: Header=BB110_50 Depth=1
	s_or_b32 exec_lo, exec_lo, s19
	global_load_b128 v[6:9], v[6:7], off offset:512
	s_wait_xcnt 0x0
	s_and_saveexec_b32 s19, s0
	s_cbranch_execz .LBB110_55
; %bb.54:                               ;   in Loop: Header=BB110_50 Depth=1
	v_dual_add_nc_u32 v23, 1, v18 :: v_dual_bitop2_b32 v36, 2, v18 bitop3:0x54
	s_wait_loadcnt 0x0
	v_dual_lshrrev_b32 v27, 16, v6 :: v_dual_lshrrev_b32 v37, 16, v7
	v_or_b32_e32 v38, 4, v18
	s_delay_alu instid0(VALU_DEP_3) | instskip(SKIP_1) | instid1(VALU_DEP_2)
	v_cmp_gt_i32_e64 s1, s14, v23
	v_dual_lshrrev_b32 v40, 16, v9 :: v_dual_bitop2_b32 v39, 7, v18 bitop3:0x54
	v_dual_cndmask_b32 v23, 0, v27, s1 :: v_dual_bitop2_b32 v27, 3, v18 bitop3:0x54
	v_cmp_gt_i32_e64 s1, s31, v18
	s_delay_alu instid0(VALU_DEP_1) | instskip(SKIP_1) | instid1(VALU_DEP_2)
	v_cndmask_b32_e64 v6, 0, v6, s1
	v_cmp_gt_i32_e64 s1, s31, v36
	v_perm_b32 v6, v23, v6, 0x5040100
	s_delay_alu instid0(VALU_DEP_2) | instskip(SKIP_1) | instid1(VALU_DEP_1)
	v_cndmask_b32_e64 v7, 0, v7, s1
	v_cmp_gt_i32_e64 s1, s14, v27
	v_cndmask_b32_e64 v27, 0, v37, s1
	v_cmp_gt_i32_e64 s1, s31, v38
	v_or_b32_e32 v36, 5, v18
	v_or_b32_e32 v38, 6, v18
	s_delay_alu instid0(VALU_DEP_4) | instskip(NEXT) | instid1(VALU_DEP_4)
	v_perm_b32 v7, v27, v7, 0x5040100
	v_dual_cndmask_b32 v37, 0, v8, s1 :: v_dual_lshrrev_b32 v8, 16, v8
	s_delay_alu instid0(VALU_DEP_4) | instskip(NEXT) | instid1(VALU_DEP_1)
	v_cmp_gt_i32_e64 s1, s14, v36
	v_cndmask_b32_e64 v8, 0, v8, s1
	v_cmp_gt_i32_e64 s1, s31, v38
	s_delay_alu instid0(VALU_DEP_1) | instskip(SKIP_1) | instid1(VALU_DEP_4)
	v_cndmask_b32_e64 v9, 0, v9, s1
	v_cmp_gt_i32_e64 s1, s14, v39
	v_perm_b32 v8, v8, v37, 0x5040100
	s_delay_alu instid0(VALU_DEP_2) | instskip(NEXT) | instid1(VALU_DEP_1)
	v_cndmask_b32_e64 v36, 0, v40, s1
	v_perm_b32 v9, v36, v9, 0x5040100
.LBB110_55:                             ;   in Loop: Header=BB110_50 Depth=1
	s_or_b32 exec_lo, exec_lo, s19
	s_wait_dscnt 0x1
	v_cvt_pk_bf16_f32 v23, v14, v15
	v_cvt_pk_bf16_f32 v16, v16, v17
	s_wait_dscnt 0x0
	v_cvt_pk_bf16_f32 v15, v10, v11
	v_cvt_pk_bf16_f32 v14, v12, v13
	s_and_saveexec_b32 s1, vcc_lo
	s_cbranch_execz .LBB110_48
; %bb.56:                               ;   in Loop: Header=BB110_50 Depth=1
	v_mov_b32_e32 v27, v19
	s_delay_alu instid0(VALU_DEP_1)
	v_add_nc_u64_e32 v[10:11], v[28:29], v[26:27]
	global_load_b128 v[10:13], v[10:11], off
	s_wait_xcnt 0x0
	s_and_saveexec_b32 s19, s0
	s_cbranch_execz .LBB110_47
; %bb.57:                               ;   in Loop: Header=BB110_50 Depth=1
	v_dual_add_nc_u32 v17, 1, v18 :: v_dual_bitop2_b32 v28, 2, v18 bitop3:0x54
	s_wait_loadcnt 0x0
	v_dual_lshrrev_b32 v27, 16, v10 :: v_dual_lshrrev_b32 v29, 16, v11
	v_or_b32_e32 v36, 4, v18
	s_delay_alu instid0(VALU_DEP_3) | instskip(SKIP_1) | instid1(VALU_DEP_2)
	v_cmp_gt_i32_e64 s0, s14, v17
	v_dual_lshrrev_b32 v38, 16, v13 :: v_dual_bitop2_b32 v37, 7, v18 bitop3:0x54
	v_dual_cndmask_b32 v17, 0, v27, s0 :: v_dual_bitop2_b32 v27, 3, v18 bitop3:0x54
	v_cmp_gt_i32_e64 s0, s31, v18
	s_delay_alu instid0(VALU_DEP_1) | instskip(SKIP_1) | instid1(VALU_DEP_2)
	v_cndmask_b32_e64 v10, 0, v10, s0
	v_cmp_gt_i32_e64 s0, s31, v28
	v_perm_b32 v10, v17, v10, 0x5040100
	s_delay_alu instid0(VALU_DEP_2) | instskip(SKIP_1) | instid1(VALU_DEP_1)
	v_cndmask_b32_e64 v11, 0, v11, s0
	v_cmp_gt_i32_e64 s0, s14, v27
	v_cndmask_b32_e64 v27, 0, v29, s0
	v_cmp_gt_i32_e64 s0, s31, v36
	v_or_b32_e32 v28, 5, v18
	v_or_b32_e32 v36, 6, v18
	s_delay_alu instid0(VALU_DEP_4) | instskip(NEXT) | instid1(VALU_DEP_4)
	v_perm_b32 v11, v27, v11, 0x5040100
	v_dual_cndmask_b32 v29, 0, v12, s0 :: v_dual_lshrrev_b32 v12, 16, v12
	s_delay_alu instid0(VALU_DEP_4) | instskip(NEXT) | instid1(VALU_DEP_1)
	v_cmp_gt_i32_e64 s0, s14, v28
	v_cndmask_b32_e64 v12, 0, v12, s0
	v_cmp_gt_i32_e64 s0, s31, v36
	s_delay_alu instid0(VALU_DEP_1) | instskip(SKIP_1) | instid1(VALU_DEP_4)
	v_cndmask_b32_e64 v13, 0, v13, s0
	v_cmp_gt_i32_e64 s0, s14, v37
	v_perm_b32 v12, v12, v29, 0x5040100
	s_delay_alu instid0(VALU_DEP_2) | instskip(NEXT) | instid1(VALU_DEP_1)
	v_cndmask_b32_e64 v28, 0, v38, s0
	v_perm_b32 v13, v28, v13, 0x5040100
	s_branch .LBB110_47
.LBB110_58:
	s_or_b32 exec_lo, exec_lo, s15
.LBB110_59:
	s_delay_alu instid0(SALU_CYCLE_1)
	s_or_b32 exec_lo, exec_lo, s24
	s_movk_i32 s0, 0x140
	v_and_b32_e32 v2, 0x3c0, v0
	v_mad_u32_u24 v1, v1, s0, 0xc0
	s_mov_b32 s0, exec_lo
	s_barrier_signal -1
	s_barrier_wait -1
	v_cmpx_eq_u32_e32 64, v2
	s_cbranch_execz .LBB110_62
; %bb.60:
	v_add_nc_u32_e32 v2, 0xfffffd80, v1
	v_cmp_gt_u32_e32 vcc_lo, 0x50, v33
	s_delay_alu instid0(VALU_DEP_2)
	v_lshl_add_u32 v3, v30, 2, v2
	ds_store_2addr_b32 v3, v20, v21 offset1:32
	s_and_b32 exec_lo, exec_lo, vcc_lo
; %bb.61:
	v_lshl_add_u32 v2, v33, 2, v2
	ds_store_b32 v2, v32
.LBB110_62:
	s_or_b32 exec_lo, exec_lo, s0
	v_lshl_add_u32 v4, v30, 2, v1
	s_mov_b32 s0, exec_lo
	s_wait_dscnt 0x0
	s_barrier_signal -1
	s_barrier_wait -1
	v_cmpx_gt_u32_e32 64, v0
	s_cbranch_execz .LBB110_66
; %bb.63:
	v_lshl_or_b32 v2, v0, 2, 0x80
	s_mov_b32 s1, exec_lo
	s_delay_alu instid0(VALU_DEP_1)
	v_add_nc_u32_e32 v3, v1, v2
	ds_load_b32 v2, v4
	ds_load_b32 v3, v3
	v_cmpx_gt_u32_e32 0x50, v33
	s_cbranch_execz .LBB110_65
; %bb.64:
	ds_load_b32 v5, v4 offset:256
	s_wait_dscnt 0x0
	v_add_f32_e32 v32, v32, v5
.LBB110_65:
	s_or_b32 exec_lo, exec_lo, s1
	s_wait_dscnt 0x0
	v_pk_add_f32 v[20:21], v[20:21], v[2:3]
.LBB110_66:
	s_or_b32 exec_lo, exec_lo, s0
	v_and_b32_e32 v2, 0x3e0, v0
	s_mov_b32 s0, exec_lo
	s_barrier_signal -1
	s_barrier_wait -1
	s_delay_alu instid0(VALU_DEP_1)
	v_cmpx_eq_u32_e32 32, v2
	s_cbranch_execz .LBB110_69
; %bb.67:
	v_lshl_add_u32 v2, v30, 2, 0xc0
	v_cmp_gt_u32_e32 vcc_lo, 0x50, v33
	ds_store_b32 v2, v20
	ds_store_b32 v31, v21
	s_and_b32 exec_lo, exec_lo, vcc_lo
; %bb.68:
	ds_store_b32 v2, v32 offset:256
.LBB110_69:
	s_or_b32 exec_lo, exec_lo, s0
	v_cmp_gt_u32_e32 vcc_lo, 32, v0
	v_or_b32_e32 v5, 64, v0
	s_wait_dscnt 0x0
	s_barrier_signal -1
	s_barrier_wait -1
	s_and_saveexec_b32 s1, vcc_lo
	s_cbranch_execz .LBB110_73
; %bb.70:
	v_lshl_add_u32 v1, v0, 2, v1
	s_mov_b32 s2, exec_lo
	ds_load_b32 v2, v4
	ds_load_b32 v3, v1 offset:128
	v_cmpx_gt_u32_e32 0x50, v5
	s_cbranch_execz .LBB110_72
; %bb.71:
	ds_load_b32 v1, v1 offset:256
	s_wait_dscnt 0x0
	v_add_f32_e32 v32, v32, v1
.LBB110_72:
	s_or_b32 exec_lo, exec_lo, s2
	s_wait_dscnt 0x0
	v_pk_add_f32 v[20:21], v[20:21], v[2:3]
.LBB110_73:
	s_or_b32 exec_lo, exec_lo, s1
	s_barrier_signal -1
	s_barrier_wait -1
	s_and_saveexec_b32 s0, vcc_lo
	s_cbranch_execz .LBB110_76
; %bb.74:
	s_mul_i32 s1, s30, s7
	s_mul_i32 s0, s7, s6
	;; [unrolled: 1-line block ×3, first 2 shown]
	s_bfe_u32 s7, ttmp6, 0x40014
	s_mul_i32 s2, s1, 0x50
	s_lshr_b32 s6, ttmp7, 16
	s_ashr_i32 s3, s2, 31
	s_add_co_i32 s7, s7, 1
	s_lshl_b64 s[2:3], s[2:3], 1
	s_ashr_i32 s1, s0, 31
	s_wait_kmcnt 0x0
	s_add_nc_u64 s[2:3], s[4:5], s[2:3]
	s_mul_i32 s4, s6, s7
	s_bfe_u32 s5, ttmp6, 0x40008
	s_lshl_b64 s[0:1], s[0:1], 1
	s_add_co_i32 s5, s5, s4
	s_cmp_eq_u32 s28, 0
	s_add_nc_u64 s[0:1], s[2:3], s[0:1]
	s_cselect_b32 s2, s6, s5
	v_cvt_pk_bf16_f32 v1, v20, s0
	v_cmp_gt_u32_e32 vcc_lo, 0x50, v5
	s_mov_b32 s3, 0
	s_mulk_i32 s2, 0xa0
	v_cvt_pk_bf16_f32 v2, v21, s0
	s_add_nc_u64 s[0:1], s[0:1], s[2:3]
	s_clause 0x1
	global_store_b16 v0, v1, s[0:1] scale_offset
	global_store_b16 v0, v2, s[0:1] offset:64 scale_offset
	s_wait_xcnt 0x0
	s_and_b32 exec_lo, exec_lo, vcc_lo
	s_cbranch_execz .LBB110_76
; %bb.75:
	v_dual_mov_b32 v1, 0 :: v_dual_lshlrev_b32 v0, 1, v0
	v_cvt_pk_bf16_f32 v2, v32, s0
	s_delay_alu instid0(VALU_DEP_2)
	v_add_nc_u64_e32 v[0:1], s[0:1], v[0:1]
	global_store_b16 v[0:1], v2, off offset:128
.LBB110_76:
	s_endpgm
	.section	.rodata,"a",@progbits
	.p2align	6, 0x0
	.amdhsa_kernel _ZN4vllm25paged_attention_v1_kernelI14__hip_bfloat16S1_Li80ELi8ELi128ELNS_18Fp8KVCacheDataTypeE0ELb1EEEvPT_PKS3_PKT0_S9_ifPKiSB_iPKfiiiSD_SD_iiiii
		.amdhsa_group_segment_fixed_size 192
		.amdhsa_private_segment_fixed_size 0
		.amdhsa_kernarg_size 384
		.amdhsa_user_sgpr_count 2
		.amdhsa_user_sgpr_dispatch_ptr 0
		.amdhsa_user_sgpr_queue_ptr 0
		.amdhsa_user_sgpr_kernarg_segment_ptr 1
		.amdhsa_user_sgpr_dispatch_id 0
		.amdhsa_user_sgpr_kernarg_preload_length 0
		.amdhsa_user_sgpr_kernarg_preload_offset 0
		.amdhsa_user_sgpr_private_segment_size 0
		.amdhsa_wavefront_size32 1
		.amdhsa_uses_dynamic_stack 0
		.amdhsa_enable_private_segment 0
		.amdhsa_system_sgpr_workgroup_id_x 1
		.amdhsa_system_sgpr_workgroup_id_y 1
		.amdhsa_system_sgpr_workgroup_id_z 1
		.amdhsa_system_sgpr_workgroup_info 0
		.amdhsa_system_vgpr_workitem_id 0
		.amdhsa_next_free_vgpr 41
		.amdhsa_next_free_sgpr 40
		.amdhsa_named_barrier_count 0
		.amdhsa_reserve_vcc 1
		.amdhsa_float_round_mode_32 0
		.amdhsa_float_round_mode_16_64 0
		.amdhsa_float_denorm_mode_32 3
		.amdhsa_float_denorm_mode_16_64 3
		.amdhsa_fp16_overflow 0
		.amdhsa_memory_ordered 1
		.amdhsa_forward_progress 1
		.amdhsa_inst_pref_size 48
		.amdhsa_round_robin_scheduling 0
		.amdhsa_exception_fp_ieee_invalid_op 0
		.amdhsa_exception_fp_denorm_src 0
		.amdhsa_exception_fp_ieee_div_zero 0
		.amdhsa_exception_fp_ieee_overflow 0
		.amdhsa_exception_fp_ieee_underflow 0
		.amdhsa_exception_fp_ieee_inexact 0
		.amdhsa_exception_int_div_zero 0
	.end_amdhsa_kernel
	.section	.text._ZN4vllm25paged_attention_v1_kernelI14__hip_bfloat16S1_Li80ELi8ELi128ELNS_18Fp8KVCacheDataTypeE0ELb1EEEvPT_PKS3_PKT0_S9_ifPKiSB_iPKfiiiSD_SD_iiiii,"axG",@progbits,_ZN4vllm25paged_attention_v1_kernelI14__hip_bfloat16S1_Li80ELi8ELi128ELNS_18Fp8KVCacheDataTypeE0ELb1EEEvPT_PKS3_PKT0_S9_ifPKiSB_iPKfiiiSD_SD_iiiii,comdat
.Lfunc_end110:
	.size	_ZN4vllm25paged_attention_v1_kernelI14__hip_bfloat16S1_Li80ELi8ELi128ELNS_18Fp8KVCacheDataTypeE0ELb1EEEvPT_PKS3_PKT0_S9_ifPKiSB_iPKfiiiSD_SD_iiiii, .Lfunc_end110-_ZN4vllm25paged_attention_v1_kernelI14__hip_bfloat16S1_Li80ELi8ELi128ELNS_18Fp8KVCacheDataTypeE0ELb1EEEvPT_PKS3_PKT0_S9_ifPKiSB_iPKfiiiSD_SD_iiiii
                                        ; -- End function
	.set _ZN4vllm25paged_attention_v1_kernelI14__hip_bfloat16S1_Li80ELi8ELi128ELNS_18Fp8KVCacheDataTypeE0ELb1EEEvPT_PKS3_PKT0_S9_ifPKiSB_iPKfiiiSD_SD_iiiii.num_vgpr, 41
	.set _ZN4vllm25paged_attention_v1_kernelI14__hip_bfloat16S1_Li80ELi8ELi128ELNS_18Fp8KVCacheDataTypeE0ELb1EEEvPT_PKS3_PKT0_S9_ifPKiSB_iPKfiiiSD_SD_iiiii.num_agpr, 0
	.set _ZN4vllm25paged_attention_v1_kernelI14__hip_bfloat16S1_Li80ELi8ELi128ELNS_18Fp8KVCacheDataTypeE0ELb1EEEvPT_PKS3_PKT0_S9_ifPKiSB_iPKfiiiSD_SD_iiiii.numbered_sgpr, 40
	.set _ZN4vllm25paged_attention_v1_kernelI14__hip_bfloat16S1_Li80ELi8ELi128ELNS_18Fp8KVCacheDataTypeE0ELb1EEEvPT_PKS3_PKT0_S9_ifPKiSB_iPKfiiiSD_SD_iiiii.num_named_barrier, 0
	.set _ZN4vllm25paged_attention_v1_kernelI14__hip_bfloat16S1_Li80ELi8ELi128ELNS_18Fp8KVCacheDataTypeE0ELb1EEEvPT_PKS3_PKT0_S9_ifPKiSB_iPKfiiiSD_SD_iiiii.private_seg_size, 0
	.set _ZN4vllm25paged_attention_v1_kernelI14__hip_bfloat16S1_Li80ELi8ELi128ELNS_18Fp8KVCacheDataTypeE0ELb1EEEvPT_PKS3_PKT0_S9_ifPKiSB_iPKfiiiSD_SD_iiiii.uses_vcc, 1
	.set _ZN4vllm25paged_attention_v1_kernelI14__hip_bfloat16S1_Li80ELi8ELi128ELNS_18Fp8KVCacheDataTypeE0ELb1EEEvPT_PKS3_PKT0_S9_ifPKiSB_iPKfiiiSD_SD_iiiii.uses_flat_scratch, 0
	.set _ZN4vllm25paged_attention_v1_kernelI14__hip_bfloat16S1_Li80ELi8ELi128ELNS_18Fp8KVCacheDataTypeE0ELb1EEEvPT_PKS3_PKT0_S9_ifPKiSB_iPKfiiiSD_SD_iiiii.has_dyn_sized_stack, 0
	.set _ZN4vllm25paged_attention_v1_kernelI14__hip_bfloat16S1_Li80ELi8ELi128ELNS_18Fp8KVCacheDataTypeE0ELb1EEEvPT_PKS3_PKT0_S9_ifPKiSB_iPKfiiiSD_SD_iiiii.has_recursion, 0
	.set _ZN4vllm25paged_attention_v1_kernelI14__hip_bfloat16S1_Li80ELi8ELi128ELNS_18Fp8KVCacheDataTypeE0ELb1EEEvPT_PKS3_PKT0_S9_ifPKiSB_iPKfiiiSD_SD_iiiii.has_indirect_call, 0
	.section	.AMDGPU.csdata,"",@progbits
; Kernel info:
; codeLenInByte = 6136
; TotalNumSgprs: 42
; NumVgprs: 41
; ScratchSize: 0
; MemoryBound: 0
; FloatMode: 240
; IeeeMode: 1
; LDSByteSize: 192 bytes/workgroup (compile time only)
; SGPRBlocks: 0
; VGPRBlocks: 2
; NumSGPRsForWavesPerEU: 42
; NumVGPRsForWavesPerEU: 41
; NamedBarCnt: 0
; Occupancy: 16
; WaveLimiterHint : 1
; COMPUTE_PGM_RSRC2:SCRATCH_EN: 0
; COMPUTE_PGM_RSRC2:USER_SGPR: 2
; COMPUTE_PGM_RSRC2:TRAP_HANDLER: 0
; COMPUTE_PGM_RSRC2:TGID_X_EN: 1
; COMPUTE_PGM_RSRC2:TGID_Y_EN: 1
; COMPUTE_PGM_RSRC2:TGID_Z_EN: 1
; COMPUTE_PGM_RSRC2:TIDIG_COMP_CNT: 0
	.section	.text._ZN4vllm25paged_attention_v1_kernelI14__hip_bfloat16S1_Li96ELi8ELi128ELNS_18Fp8KVCacheDataTypeE0ELb1EEEvPT_PKS3_PKT0_S9_ifPKiSB_iPKfiiiSD_SD_iiiii,"axG",@progbits,_ZN4vllm25paged_attention_v1_kernelI14__hip_bfloat16S1_Li96ELi8ELi128ELNS_18Fp8KVCacheDataTypeE0ELb1EEEvPT_PKS3_PKT0_S9_ifPKiSB_iPKfiiiSD_SD_iiiii,comdat
	.protected	_ZN4vllm25paged_attention_v1_kernelI14__hip_bfloat16S1_Li96ELi8ELi128ELNS_18Fp8KVCacheDataTypeE0ELb1EEEvPT_PKS3_PKT0_S9_ifPKiSB_iPKfiiiSD_SD_iiiii ; -- Begin function _ZN4vllm25paged_attention_v1_kernelI14__hip_bfloat16S1_Li96ELi8ELi128ELNS_18Fp8KVCacheDataTypeE0ELb1EEEvPT_PKS3_PKT0_S9_ifPKiSB_iPKfiiiSD_SD_iiiii
	.globl	_ZN4vllm25paged_attention_v1_kernelI14__hip_bfloat16S1_Li96ELi8ELi128ELNS_18Fp8KVCacheDataTypeE0ELb1EEEvPT_PKS3_PKT0_S9_ifPKiSB_iPKfiiiSD_SD_iiiii
	.p2align	8
	.type	_ZN4vllm25paged_attention_v1_kernelI14__hip_bfloat16S1_Li96ELi8ELi128ELNS_18Fp8KVCacheDataTypeE0ELb1EEEvPT_PKS3_PKT0_S9_ifPKiSB_iPKfiiiSD_SD_iiiii,@function
_ZN4vllm25paged_attention_v1_kernelI14__hip_bfloat16S1_Li96ELi8ELi128ELNS_18Fp8KVCacheDataTypeE0ELb1EEEvPT_PKS3_PKT0_S9_ifPKiSB_iPKfiiiSD_SD_iiiii: ; @_ZN4vllm25paged_attention_v1_kernelI14__hip_bfloat16S1_Li96ELi8ELi128ELNS_18Fp8KVCacheDataTypeE0ELb1EEEvPT_PKS3_PKT0_S9_ifPKiSB_iPKfiiiSD_SD_iiiii
; %bb.0:
	s_load_b64 s[22:23], s[0:1], 0x20
	s_bfe_u32 s3, ttmp6, 0x4000c
	s_bfe_u32 s4, ttmp6, 0x40010
	s_and_b32 s6, ttmp7, 0xffff
	s_add_co_i32 s3, s3, 1
	s_add_co_i32 s4, s4, 1
	s_and_b32 s2, ttmp6, 15
	s_bfe_u32 s5, ttmp6, 0x40004
	s_mul_i32 s3, ttmp9, s3
	s_mul_i32 s4, s6, s4
	s_getreg_b32 s28, hwreg(HW_REG_IB_STS2, 6, 4)
	s_add_co_i32 s2, s2, s3
	s_add_co_i32 s3, s5, s4
	s_cmp_eq_u32 s28, 0
	s_clause 0x1
	s_load_b32 s29, s[0:1], 0x80
	s_load_b64 s[4:5], s[0:1], 0x30
	s_cselect_b32 s30, s6, s3
	s_cselect_b32 s2, ttmp9, s2
	s_mov_b32 s17, 0
	s_delay_alu instid0(SALU_CYCLE_1) | instskip(SKIP_2) | instid1(SALU_CYCLE_1)
	s_mov_b32 s35, s17
	s_wait_kmcnt 0x0
	s_abs_i32 s3, s22
	s_cvt_f32_u32 s6, s3
	s_sub_co_i32 s7, 0, s3
	s_delay_alu instid0(SALU_CYCLE_2) | instskip(SKIP_2) | instid1(TRANS32_DEP_1)
	v_rcp_iflag_f32_e32 v1, s6
	s_abs_i32 s8, s29
	v_nop
	v_readfirstlane_b32 s6, v1
	s_mul_f32 s6, s6, 0x4f7ffffe
	s_delay_alu instid0(SALU_CYCLE_3) | instskip(NEXT) | instid1(SALU_CYCLE_3)
	s_cvt_u32_f32 s6, s6
	s_mul_i32 s7, s7, s6
	s_delay_alu instid0(SALU_CYCLE_1) | instskip(NEXT) | instid1(SALU_CYCLE_1)
	s_mul_hi_u32 s7, s6, s7
	s_add_co_i32 s6, s6, s7
	s_xor_b32 s7, s29, s22
	s_mul_hi_u32 s6, s8, s6
	s_ashr_i32 s7, s7, 31
	s_mul_i32 s9, s6, s3
	s_delay_alu instid0(SALU_CYCLE_1)
	s_sub_co_i32 s8, s8, s9
	s_add_co_i32 s9, s6, 1
	s_sub_co_i32 s10, s8, s3
	s_cmp_ge_u32 s8, s3
	s_cselect_b32 s6, s9, s6
	s_cselect_b32 s8, s10, s8
	s_add_co_i32 s9, s6, 1
	s_cmp_ge_u32 s8, s3
	s_cselect_b32 s3, s9, s6
	s_load_b64 s[8:9], s[0:1], 0x40
	s_xor_b32 s3, s3, s7
	s_abs_i32 s16, s2
	s_sub_co_i32 s10, s3, s7
	s_mov_b32 s7, s17
	s_abs_i32 s15, s10
	s_delay_alu instid0(SALU_CYCLE_1) | instskip(SKIP_1) | instid1(SALU_CYCLE_2)
	s_cvt_f32_u32 s3, s15
	s_sub_co_i32 s6, 0, s15
	v_rcp_iflag_f32_e32 v1, s3
	v_nop
	s_delay_alu instid0(TRANS32_DEP_1) | instskip(SKIP_1) | instid1(SALU_CYCLE_3)
	v_readfirstlane_b32 s3, v1
	s_mul_f32 s3, s3, 0x4f7ffffe
	s_cvt_u32_f32 s3, s3
	s_delay_alu instid0(SALU_CYCLE_3) | instskip(NEXT) | instid1(SALU_CYCLE_1)
	s_mul_i32 s6, s6, s3
	s_mul_hi_u32 s6, s3, s6
	s_delay_alu instid0(SALU_CYCLE_1)
	s_add_co_i32 s6, s3, s6
	s_wait_kmcnt 0x0
	s_cmp_eq_u64 s[8:9], 0
	s_cbranch_scc1 .LBB111_2
; %bb.1:
	s_ashr_i32 s3, s2, 31
	s_delay_alu instid0(SALU_CYCLE_1) | instskip(NEXT) | instid1(SALU_CYCLE_1)
	s_lshl_b64 s[12:13], s[2:3], 2
	s_add_nc_u64 s[8:9], s[8:9], s[12:13]
	s_load_b32 s35, s[8:9], 0x0
.LBB111_2:
	s_load_b32 s31, s[4:5], s30 offset:0x0 scale_offset
	s_load_b96 s[12:14], s[0:1], 0x48
	v_and_b32_e32 v4, 3, v0
	s_wait_xcnt 0x0
	s_mul_u64 s[4:5], s[16:17], s[6:7]
	s_ashr_i32 s3, s2, 31
	s_ashr_i32 s18, s10, 31
	s_mul_i32 s6, s2, 0x60
	s_mov_b32 s4, exec_lo
	v_cmpx_gt_u32_e32 48, v0
	s_cbranch_execz .LBB111_4
; %bb.3:
	s_load_b64 s[8:9], s[0:1], 0x8
	s_wait_kmcnt 0x0
	s_mul_i32 s10, s12, s30
	s_ashr_i32 s7, s6, 31
	s_ashr_i32 s11, s10, 31
	v_and_b32_e32 v2, 0x3fc, v0
	s_lshl_b64 s[10:11], s[10:11], 1
	s_delay_alu instid0(VALU_DEP_1) | instskip(SKIP_2) | instid1(SALU_CYCLE_1)
	v_mad_u32_u24 v2, v4, 48, v2
	s_add_nc_u64 s[8:9], s[8:9], s[10:11]
	s_lshl_b64 s[10:11], s[6:7], 1
	s_add_nc_u64 s[8:9], s[8:9], s[10:11]
	global_load_b32 v1, v0, s[8:9] scale_offset
	s_wait_loadcnt 0x0
	ds_store_b32 v2, v1
.LBB111_4:
	s_or_b32 exec_lo, exec_lo, s4
	s_load_b128 s[8:11], s[0:1], 0x68
	s_mul_i32 s4, s5, s15
	s_xor_b32 s3, s3, s18
	s_sub_co_i32 s4, s16, s4
	s_add_co_i32 s7, s5, 1
	s_wait_kmcnt 0x0
	s_sub_co_i32 s12, s4, s15
	s_cmp_ge_u32 s4, s15
	s_mov_b32 s18, -1
	s_cselect_b32 s5, s7, s5
	s_cselect_b32 s4, s12, s4
	s_add_co_i32 s12, s5, 1
	s_cmp_ge_u32 s4, s15
	s_load_b32 s7, s[0:1], 0x78
	s_cselect_b32 s4, s12, s5
	s_add_co_i32 s15, s31, -1
	s_xor_b32 s4, s4, s3
	s_wait_dscnt 0x0
	s_sub_co_i32 s3, s4, s3
	s_barrier_signal -1
	s_barrier_wait -1
	s_abs_i32 s12, s11
	s_delay_alu instid0(SALU_CYCLE_1) | instskip(NEXT) | instid1(SALU_CYCLE_3)
	s_cvt_f32_u32 s5, s12
                                        ; implicit-def: $sgpr33
	v_rcp_iflag_f32_e32 v1, s5
	v_nop
	s_delay_alu instid0(TRANS32_DEP_1) | instskip(SKIP_1) | instid1(SALU_CYCLE_3)
	v_readfirstlane_b32 s5, v1
	s_mul_f32 s4, s5, 0x4f7ffffe
	s_cvt_u32_f32 s16, s4
	s_sub_co_i32 s4, 0, s12
	s_delay_alu instid0(SALU_CYCLE_2)
	s_mul_i32 s5, s4, s16
	s_abs_i32 s4, s15
	s_mul_hi_u32 s17, s16, s5
	s_mov_b32 s5, 0
	s_add_co_i32 s16, s16, s17
	s_wait_kmcnt 0x0
	s_cmp_lt_i32 s7, 0
	s_mov_b32 s17, s5
	s_cbranch_scc0 .LBB111_6
; %bb.5:
	s_mul_i32 s18, s8, s22
	s_delay_alu instid0(SALU_CYCLE_1) | instskip(NEXT) | instid1(SALU_CYCLE_1)
	s_add_co_i32 s18, s3, s18
	s_mul_i32 s18, s18, s7
	s_delay_alu instid0(SALU_CYCLE_1)
	s_sub_co_i32 s33, 1, s18
	s_mov_b32 s18, s5
.LBB111_6:
	s_ashr_i32 s15, s15, 31
	s_ashr_i32 s11, s11, 31
	s_and_not1_b32 vcc_lo, exec_lo, s18
	s_mul_u64 s[24:25], s[4:5], s[16:17]
	s_cbranch_vccnz .LBB111_8
; %bb.7:
	s_mul_i32 s5, s29, s8
	s_delay_alu instid0(SALU_CYCLE_1) | instskip(NEXT) | instid1(SALU_CYCLE_1)
	s_add_co_i32 s2, s5, s2
	s_mul_i32 s2, s2, s7
	s_delay_alu instid0(SALU_CYCLE_1)
	s_add_co_i32 s33, s2, 1
.LBB111_8:
	s_load_b32 s2, s[0:1], 0x38
	s_mul_i32 s7, s25, s12
	s_xor_b32 s5, s15, s11
	s_sub_co_i32 s4, s4, s7
	s_add_co_i32 s8, s25, 1
	s_clause 0x1
	s_load_b64 s[18:19], s[0:1], 0x28
	s_load_b32 s7, s[0:1], 0x88
	v_dual_mov_b32 v12, 0xff7fffff :: v_dual_lshrrev_b32 v1, 5, v0
	v_lshrrev_b32_e32 v8, 3, v0
	v_mbcnt_lo_u32_b32 v9, -1, 0
	s_mul_i32 s14, s3, s14
	s_delay_alu instid0(VALU_DEP_3)
	v_lshlrev_b32_e32 v22, 3, v1
	s_wait_kmcnt 0x0
	s_mul_i32 s20, s2, s30
	s_sub_co_i32 s2, s4, s12
	s_ashr_i32 s21, s20, 31
	s_cmp_ge_u32 s4, s12
	s_cselect_b32 s8, s8, s25
	s_cselect_b32 s2, s2, s4
	s_add_co_i32 s4, s8, 1
	s_cmp_ge_u32 s2, s12
	s_cselect_b32 s2, s4, s8
	s_add_co_i32 s4, s31, 7
	s_delay_alu instid0(SALU_CYCLE_1) | instskip(NEXT) | instid1(SALU_CYCLE_1)
	s_ashr_i32 s8, s4, 31
	s_lshr_b32 s8, s8, 29
	s_delay_alu instid0(SALU_CYCLE_1) | instskip(NEXT) | instid1(SALU_CYCLE_1)
	s_add_co_i32 s4, s4, s8
	s_ashr_i32 s34, s4, 3
	s_xor_b32 s4, s2, s5
	v_cmp_gt_i32_e64 s2, s34, v1
	s_sub_co_i32 s8, s4, s5
	s_and_saveexec_b32 s22, s2
	s_cbranch_execz .LBB111_20
; %bb.9:
	s_load_b64 s[4:5], s[0:1], 0x10
	s_ashr_i32 s15, s14, 31
	s_sub_co_i32 s36, s8, s9
	s_ashr_i32 s25, s13, 31
	s_lshl_b64 s[38:39], s[14:15], 1
	s_cmp_neq_f32 s35, 0
	v_bfe_u32 v10, v0, 2, 3
	v_mov_b32_e32 v3, 0
	v_mul_u32_u24_e32 v11, 48, v4
	s_cselect_b32 vcc_lo, -1, 0
	s_abs_i32 s15, s10
	v_lshlrev_b32_e32 v2, 4, v10
	s_cvt_f32_u32 s3, s15
	v_subrev_nc_u32_e32 v7, s31, v10
	v_lshlrev_b32_e32 v6, 2, v0
	s_sub_co_i32 s26, 0, s15
	v_rcp_iflag_f32_e32 v5, s3
	v_cmp_eq_u32_e64 s3, 0, v4
	v_add_nc_u32_e32 v13, 1, v7
	v_mov_b32_e32 v15, 0xff7fffff
	s_wait_kmcnt 0x0
	s_add_nc_u64 s[4:5], s[4:5], s[38:39]
	v_dual_mov_b32 v18, v1 :: v_dual_bitop2_b32 v16, 2, v9 bitop3:0x14
	v_readfirstlane_b32 s24, v5
	v_add_nc_u64_e32 v[4:5], s[4:5], v[2:3]
	v_and_b32_e32 v2, 12, v6
	v_lshlrev_b32_e32 v6, 2, v10
	s_lshl_b64 s[4:5], s[20:21], 2
	s_mul_f32 s24, s24, 0x4f7ffffe
	s_add_nc_u64 s[4:5], s[18:19], s[4:5]
	v_xor_b32_e32 v17, 1, v9
	v_add_nc_u64_e32 v[4:5], v[4:5], v[2:3]
	v_and_b32_e32 v2, 0x7c, v8
	s_cvt_u32_f32 s37, s24
	v_lshl_or_b32 v12, v1, 5, v6
	s_mov_b32 s27, 0
	s_mov_b32 s24, s13
	v_add_nc_u64_e32 v[6:7], s[4:5], v[2:3]
	s_mul_i32 s26, s26, s37
	v_lshlrev_b32_e32 v2, 3, v1
	v_add_nc_u32_e32 v14, 0xe0, v12
	v_mov_b32_e32 v12, 0xff7fffff
	s_mul_hi_u32 s4, s37, s26
	s_delay_alu instid0(SALU_CYCLE_1)
	s_add_co_i32 s26, s37, s4
	s_mov_b32 s37, s27
	s_branch .LBB111_12
.LBB111_10:                             ;   in Loop: Header=BB111_12 Depth=1
	s_or_b32 exec_lo, exec_lo, s38
.LBB111_11:                             ;   in Loop: Header=BB111_12 Depth=1
	s_delay_alu instid0(SALU_CYCLE_1) | instskip(SKIP_4) | instid1(VALU_DEP_4)
	s_or_b32 exec_lo, exec_lo, s5
	v_add_nc_u32_e32 v18, 4, v18
	v_add_nc_u64_e32 v[6:7], 16, v[6:7]
	v_add_nc_u32_e32 v2, 32, v2
	v_add_nc_u32_e32 v14, 0x80, v14
	v_cmp_le_i32_e64 s4, s34, v18
	s_or_b32 s37, s4, s37
	s_delay_alu instid0(SALU_CYCLE_1)
	s_and_not1_b32 exec_lo, exec_lo, s37
	s_cbranch_execz .LBB111_19
.LBB111_12:                             ; =>This Inner Loop Header: Depth=1
	s_wait_dscnt 0x0
	v_mul_u64_e32 v[20:21], s[16:17], v[2:3]
	s_delay_alu instid0(VALU_DEP_1) | instskip(NEXT) | instid1(VALU_DEP_1)
	v_mul_lo_u32 v19, v21, s12
	v_dual_add_nc_u32 v20, 1, v21 :: v_dual_sub_nc_u32 v19, v2, v19
	s_delay_alu instid0(VALU_DEP_1) | instskip(SKIP_1) | instid1(VALU_DEP_1)
	v_subrev_nc_u32_e32 v23, s12, v19
	v_cmp_le_u32_e64 s4, s12, v19
	v_dual_cndmask_b32 v20, v21, v20, s4 :: v_dual_cndmask_b32 v19, v19, v23, s4
	s_delay_alu instid0(VALU_DEP_1) | instskip(NEXT) | instid1(VALU_DEP_2)
	v_add_nc_u32_e32 v21, 1, v20
	v_cmp_le_u32_e64 s4, s12, v19
	s_delay_alu instid0(VALU_DEP_1) | instskip(NEXT) | instid1(VALU_DEP_1)
	v_dual_cndmask_b32 v19, v20, v21, s4 :: v_dual_mov_b32 v21, v3
	v_xor_b32_e32 v19, s11, v19
	s_delay_alu instid0(VALU_DEP_1) | instskip(NEXT) | instid1(VALU_DEP_1)
	v_subrev_nc_u32_e32 v19, s11, v19
	v_add_nc_u32_e32 v23, s33, v19
	v_cmp_ge_i32_e64 s5, s36, v19
	s_delay_alu instid0(VALU_DEP_2) | instskip(NEXT) | instid1(VALU_DEP_1)
	v_sub_nc_u32_e32 v20, 0, v23
	v_dual_ashrrev_i32 v23, 31, v23 :: v_dual_max_i32 v20, v23, v20
	s_delay_alu instid0(VALU_DEP_1) | instskip(NEXT) | instid1(VALU_DEP_1)
	v_mul_u64_e32 v[24:25], s[26:27], v[20:21]
	v_mul_lo_u32 v21, v25, s15
	s_delay_alu instid0(VALU_DEP_1) | instskip(NEXT) | instid1(VALU_DEP_1)
	v_sub_nc_u32_e32 v20, v20, v21
	v_subrev_nc_u32_e32 v21, s15, v20
	v_cmp_le_u32_e64 s4, s15, v20
	s_delay_alu instid0(VALU_DEP_1) | instskip(NEXT) | instid1(VALU_DEP_1)
	v_cndmask_b32_e64 v20, v20, v21, s4
	v_subrev_nc_u32_e32 v21, s15, v20
	v_cmp_le_u32_e64 s4, s15, v20
	s_delay_alu instid0(VALU_DEP_1) | instskip(NEXT) | instid1(VALU_DEP_1)
	v_cndmask_b32_e64 v20, v20, v21, s4
	v_xor_b32_e32 v20, v20, v23
	s_delay_alu instid0(VALU_DEP_1) | instskip(NEXT) | instid1(VALU_DEP_1)
	v_sub_nc_u32_e32 v20, v20, v23
	v_cmp_ne_u32_e64 s4, 0, v20
	s_and_b32 s4, s4, s5
	s_delay_alu instid0(SALU_CYCLE_1) | instskip(NEXT) | instid1(SALU_CYCLE_1)
	s_and_saveexec_b32 s5, s4
	s_xor_b32 s4, exec_lo, s5
	s_cbranch_execz .LBB111_16
; %bb.13:                               ;   in Loop: Header=BB111_12 Depth=1
	s_and_saveexec_b32 s5, s3
; %bb.14:                               ;   in Loop: Header=BB111_12 Depth=1
	ds_store_b32 v14, v15
; %bb.15:                               ;   in Loop: Header=BB111_12 Depth=1
	s_or_b32 exec_lo, exec_lo, s5
.LBB111_16:                             ;   in Loop: Header=BB111_12 Depth=1
	s_and_not1_saveexec_b32 s5, s4
	s_cbranch_execz .LBB111_11
; %bb.17:                               ;   in Loop: Header=BB111_12 Depth=1
	global_load_b32 v20, v[6:7], off
	v_cmp_gt_i32_e64 s4, 32, v16
	s_wait_loadcnt 0x0
	v_ashrrev_i32_e32 v21, 31, v20
	s_delay_alu instid0(VALU_DEP_1) | instskip(NEXT) | instid1(VALU_DEP_1)
	v_mul_u64_e32 v[20:21], s[24:25], v[20:21]
	v_lshl_add_u64 v[20:21], v[20:21], 1, v[4:5]
	s_clause 0xb
	global_load_b32 v19, v[20:21], off offset:128
	global_load_b32 v23, v[20:21], off
	global_load_b32 v32, v[20:21], off offset:256
	global_load_b32 v33, v[20:21], off offset:384
	;; [unrolled: 1-line block ×10, first 2 shown]
	ds_load_b128 v[24:27], v11
	ds_load_b128 v[28:31], v11 offset:16
	s_wait_dscnt 0x1
	s_wait_xcnt 0x0
	v_lshlrev_b32_e32 v20, 16, v25
	v_and_b32_e32 v21, 0xffff0000, v25
	s_wait_loadcnt 0xb
	v_lshlrev_b32_e32 v25, 16, v19
	v_and_b32_e32 v19, 0xffff0000, v19
	s_delay_alu instid0(VALU_DEP_1) | instskip(SKIP_3) | instid1(VALU_DEP_3)
	v_dual_mul_f32 v19, v21, v19 :: v_dual_mul_f32 v20, v20, v25
	v_cndmask_b32_e64 v21, v9, v16, s4
	v_cmp_gt_i32_e64 s4, 32, v17
	s_wait_loadcnt 0xa
	v_fma_mix_f32_bf16 v19, v24, v23, v19 op_sel:[1,1,0] op_sel_hi:[1,1,0]
	v_fma_mix_f32_bf16 v20, v24, v23, v20 op_sel_hi:[1,1,0]
	s_wait_loadcnt 0x9
	s_delay_alu instid0(VALU_DEP_2) | instskip(NEXT) | instid1(VALU_DEP_2)
	v_fma_mix_f32_bf16 v19, v26, v32, v19 op_sel:[1,1,0] op_sel_hi:[1,1,0]
	v_fma_mix_f32_bf16 v20, v26, v32, v20 op_sel_hi:[1,1,0]
	s_wait_loadcnt 0x8
	s_delay_alu instid0(VALU_DEP_2) | instskip(NEXT) | instid1(VALU_DEP_2)
	v_fma_mix_f32_bf16 v19, v27, v33, v19 op_sel:[1,1,0] op_sel_hi:[1,1,0]
	v_fma_mix_f32_bf16 v20, v27, v33, v20 op_sel_hi:[1,1,0]
	ds_load_b128 v[24:27], v11 offset:32
	s_wait_loadcnt_dscnt 0x701
	v_fma_mix_f32_bf16 v19, v28, v34, v19 op_sel:[1,1,0] op_sel_hi:[1,1,0]
	v_fma_mix_f32_bf16 v20, v28, v34, v20 op_sel_hi:[1,1,0]
	s_wait_loadcnt 0x6
	s_delay_alu instid0(VALU_DEP_2) | instskip(NEXT) | instid1(VALU_DEP_2)
	v_fma_mix_f32_bf16 v19, v29, v35, v19 op_sel:[1,1,0] op_sel_hi:[1,1,0]
	v_fma_mix_f32_bf16 v20, v29, v35, v20 op_sel_hi:[1,1,0]
	s_wait_loadcnt 0x5
	s_delay_alu instid0(VALU_DEP_2) | instskip(NEXT) | instid1(VALU_DEP_2)
	;; [unrolled: 4-line block ×3, first 2 shown]
	v_fma_mix_f32_bf16 v19, v31, v37, v19 op_sel:[1,1,0] op_sel_hi:[1,1,0]
	v_fma_mix_f32_bf16 v20, v31, v37, v20 op_sel_hi:[1,1,0]
	s_wait_loadcnt_dscnt 0x300
	s_delay_alu instid0(VALU_DEP_2) | instskip(NEXT) | instid1(VALU_DEP_2)
	v_fma_mix_f32_bf16 v19, v24, v38, v19 op_sel:[1,1,0] op_sel_hi:[1,1,0]
	v_fma_mix_f32_bf16 v20, v24, v38, v20 op_sel_hi:[1,1,0]
	s_wait_loadcnt 0x2
	s_delay_alu instid0(VALU_DEP_2) | instskip(NEXT) | instid1(VALU_DEP_2)
	v_fma_mix_f32_bf16 v19, v25, v39, v19 op_sel:[1,1,0] op_sel_hi:[1,1,0]
	v_fma_mix_f32_bf16 v20, v25, v39, v20 op_sel_hi:[1,1,0]
	s_wait_loadcnt 0x1
	;; [unrolled: 4-line block ×3, first 2 shown]
	s_delay_alu instid0(VALU_DEP_2) | instskip(NEXT) | instid1(VALU_DEP_2)
	v_fma_mix_f32_bf16 v19, v27, v41, v19 op_sel:[1,1,0] op_sel_hi:[1,1,0]
	v_fma_mix_f32_bf16 v20, v27, v41, v20 op_sel_hi:[1,1,0]
	s_delay_alu instid0(VALU_DEP_1) | instskip(SKIP_3) | instid1(VALU_DEP_1)
	v_dual_lshlrev_b32 v21, 2, v21 :: v_dual_add_f32 v19, v20, v19
	ds_bpermute_b32 v20, v21, v19
	s_wait_dscnt 0x0
	v_dual_cndmask_b32 v21, v9, v17, s4 :: v_dual_add_f32 v19, v19, v20
	v_lshlrev_b32_e32 v21, 2, v21
	ds_bpermute_b32 v20, v21, v19
	s_and_saveexec_b32 s38, s3
	s_cbranch_execz .LBB111_10
; %bb.18:                               ;   in Loop: Header=BB111_12 Depth=1
	s_wait_dscnt 0x0
	v_dual_add_nc_u32 v21, v13, v2 :: v_dual_add_f32 v19, v19, v20
	s_delay_alu instid0(VALU_DEP_1) | instskip(NEXT) | instid1(VALU_DEP_1)
	v_cvt_f32_i32_e32 v21, v21
	v_mul_f32_e32 v21, s35, v21
	s_delay_alu instid0(VALU_DEP_1) | instskip(NEXT) | instid1(VALU_DEP_1)
	v_dual_cndmask_b32 v20, 0, v21 :: v_dual_max_num_f32 v21, v12, v12
	v_dual_fmac_f32 v20, s23, v19 :: v_dual_add_nc_u32 v19, v10, v2
	s_delay_alu instid0(VALU_DEP_1) | instskip(NEXT) | instid1(VALU_DEP_2)
	v_max_num_f32_e32 v21, v21, v20
	v_cmp_gt_i32_e64 s4, s31, v19
	s_delay_alu instid0(VALU_DEP_1)
	v_dual_cndmask_b32 v19, 0, v20, s4 :: v_dual_cndmask_b32 v12, v12, v21, s4
	ds_store_b32 v14, v19
	s_branch .LBB111_10
.LBB111_19:
	s_or_b32 exec_lo, exec_lo, s37
.LBB111_20:
	s_delay_alu instid0(SALU_CYCLE_1)
	s_or_b32 exec_lo, exec_lo, s22
	v_dual_max_num_f32 v5, v12, v12 :: v_dual_bitop2_b32 v2, 16, v9 bitop3:0x14
	s_clause 0x1
	s_load_b64 s[4:5], s[0:1], 0x0
	s_load_b64 s[22:23], s[0:1], 0x18
	v_and_b32_e32 v30, 31, v0
	v_xor_b32_e32 v4, 8, v9
	v_cmp_gt_i32_e32 vcc_lo, 32, v2
	v_cndmask_b32_e32 v2, v9, v2, vcc_lo
	s_delay_alu instid0(VALU_DEP_3) | instskip(NEXT) | instid1(VALU_DEP_2)
	v_cmp_gt_i32_e32 vcc_lo, 32, v4
	v_dual_lshlrev_b32 v2, 2, v2 :: v_dual_cndmask_b32 v4, v9, v4, vcc_lo
	ds_bpermute_b32 v3, v2, v12
	s_wait_dscnt 0x0
	v_dual_max_num_f32 v6, v3, v3 :: v_dual_lshlrev_b32 v3, 2, v4
	s_delay_alu instid0(VALU_DEP_1) | instskip(SKIP_4) | instid1(VALU_DEP_1)
	v_dual_max_num_f32 v4, v5, v6 :: v_dual_bitop2_b32 v6, 4, v9 bitop3:0x14
	ds_bpermute_b32 v5, v3, v4
	v_cmp_gt_i32_e32 vcc_lo, 32, v6
	v_cndmask_b32_e32 v6, v9, v6, vcc_lo
	s_wait_dscnt 0x0
	v_dual_max_num_f32 v5, v5, v5 :: v_dual_lshlrev_b32 v6, 2, v6
	s_delay_alu instid0(VALU_DEP_1)
	v_max_num_f32_e32 v5, v4, v5
	v_lshlrev_b32_e32 v4, 2, v1
	v_cmp_eq_u32_e32 vcc_lo, 0, v30
	ds_bpermute_b32 v7, v6, v5
	s_wait_xcnt 0x0
	s_and_saveexec_b32 s0, vcc_lo
	s_cbranch_execz .LBB111_22
; %bb.21:
	s_wait_dscnt 0x0
	v_dual_max_num_f32 v7, v7, v7 :: v_dual_max_num_f32 v5, v5, v5
	s_delay_alu instid0(VALU_DEP_1)
	v_max_num_f32_e32 v5, v5, v7
	ds_store_b32 v4, v5 offset:192
.LBB111_22:
	s_or_b32 exec_lo, exec_lo, s0
	v_cmp_gt_u32_e64 s0, 4, v30
	v_dual_mov_b32 v10, 0xff7fffff :: v_dual_lshlrev_b32 v5, 2, v30
	s_wait_dscnt 0x0
	s_barrier_signal -1
	s_barrier_wait -1
	s_and_saveexec_b32 s1, s0
; %bb.23:
	ds_load_b32 v10, v5 offset:192
; %bb.24:
	s_or_b32 exec_lo, exec_lo, s1
	v_xor_b32_e32 v7, 2, v9
	v_xor_b32_e32 v12, 1, v9
	s_delay_alu instid0(VALU_DEP_2) | instskip(NEXT) | instid1(VALU_DEP_1)
	v_cmp_gt_i32_e64 s1, 32, v7
	v_cndmask_b32_e64 v7, v9, v7, s1
	s_delay_alu instid0(VALU_DEP_3) | instskip(NEXT) | instid1(VALU_DEP_1)
	v_cmp_gt_i32_e64 s1, 32, v12
	v_dual_lshlrev_b32 v7, 2, v7 :: v_dual_cndmask_b32 v9, v9, v12, s1
	s_lshl_b32 s1, s34, 3
	s_delay_alu instid0(SALU_CYCLE_1)
	s_min_i32 s15, s1, s31
	s_wait_dscnt 0x0
	ds_bpermute_b32 v11, v7, v10
	v_max_num_f32_e32 v10, v10, v10
	v_cmp_gt_i32_e64 s1, s15, v0
	s_wait_dscnt 0x0
	v_dual_lshlrev_b32 v9, 2, v9 :: v_dual_max_num_f32 v11, v11, v11
	s_delay_alu instid0(VALU_DEP_1) | instskip(SKIP_3) | instid1(VALU_DEP_1)
	v_max_num_f32_e32 v10, v10, v11
	ds_bpermute_b32 v11, v9, v10
	s_wait_dscnt 0x0
	v_max_num_f32_e32 v11, v11, v11
	v_dual_max_num_f32 v11, v10, v11 :: v_dual_mov_b32 v10, 0
	ds_bpermute_b32 v11, v10, v11
	s_and_saveexec_b32 s24, s1
	s_cbranch_execz .LBB111_28
; %bb.25:
	v_lshl_add_u32 v12, v0, 2, 0xe0
	v_dual_mov_b32 v10, 0 :: v_dual_mov_b32 v13, v0
	s_mov_b32 s25, 0
.LBB111_26:                             ; =>This Inner Loop Header: Depth=1
	ds_load_b32 v14, v12
	v_add_nc_u32_e32 v13, 0x80, v13
	s_delay_alu instid0(VALU_DEP_1) | instskip(SKIP_3) | instid1(VALU_DEP_1)
	v_cmp_le_i32_e64 s3, s15, v13
	s_or_b32 s25, s3, s25
	s_wait_dscnt 0x0
	v_sub_f32_e32 v14, v14, v11
	v_mul_f32_e32 v14, 0x3fb8aa3b, v14
	s_delay_alu instid0(VALU_DEP_1)
	v_exp_f32_e32 v14, v14
	ds_store_b32 v12, v14
	v_nop
	v_add_f32_e32 v10, v10, v14
	v_add_nc_u32_e32 v12, 0x200, v12
	s_and_not1_b32 exec_lo, exec_lo, s25
	s_cbranch_execnz .LBB111_26
; %bb.27:
	s_or_b32 exec_lo, exec_lo, s25
.LBB111_28:
	s_delay_alu instid0(SALU_CYCLE_1)
	s_or_b32 exec_lo, exec_lo, s24
	ds_bpermute_b32 v2, v2, v10
	s_wait_dscnt 0x0
	v_add_f32_e32 v2, v10, v2
	ds_bpermute_b32 v3, v3, v2
	s_wait_dscnt 0x0
	v_add_f32_e32 v2, v2, v3
	;; [unrolled: 3-line block ×5, first 2 shown]
	s_and_saveexec_b32 s3, vcc_lo
; %bb.29:
	ds_store_b32 v4, v2 offset:208
; %bb.30:
	s_or_b32 exec_lo, exec_lo, s3
	s_wait_dscnt 0x0
	s_barrier_signal -1
	s_barrier_wait -1
	s_and_saveexec_b32 s3, s0
; %bb.31:
	ds_load_b32 v2, v5 offset:208
; %bb.32:
	s_or_b32 exec_lo, exec_lo, s3
	s_wait_dscnt 0x0
	ds_bpermute_b32 v3, v7, v2
	s_wait_dscnt 0x0
	v_dual_mov_b32 v31, 0 :: v_dual_add_f32 v2, v2, v3
	ds_bpermute_b32 v3, v9, v2
	s_wait_dscnt 0x0
	v_add_f32_e32 v2, v2, v3
	ds_bpermute_b32 v2, v31, v2
	s_and_saveexec_b32 s0, s1
	s_cbranch_execz .LBB111_45
; %bb.33:
	s_wait_dscnt 0x0
	v_add_f32_e32 v2, 0x358637bd, v2
	s_mov_b32 s3, -1
	s_mov_b32 s1, exec_lo
	s_delay_alu instid0(VALU_DEP_1) | instskip(NEXT) | instid1(VALU_DEP_1)
	v_div_scale_f32 v3, null, v2, v2, 1.0
	v_rcp_f32_e32 v5, v3
	v_nop
	s_delay_alu instid0(TRANS32_DEP_1) | instskip(NEXT) | instid1(VALU_DEP_1)
	v_fma_f32 v4, -v3, v5, 1.0
	v_fmac_f32_e32 v5, v4, v5
	v_div_scale_f32 v6, vcc_lo, 1.0, v2, 1.0
	s_delay_alu instid0(VALU_DEP_1) | instskip(NEXT) | instid1(VALU_DEP_1)
	v_mul_f32_e32 v7, v6, v5
	v_fma_f32 v4, -v3, v7, v6
	s_delay_alu instid0(VALU_DEP_1) | instskip(SKIP_1) | instid1(VALU_DEP_2)
	v_fmac_f32_e32 v7, v4, v5
	v_xad_u32 v4, v0, -1, s15
	v_fma_f32 v3, -v3, v7, v6
	s_delay_alu instid0(VALU_DEP_1) | instskip(NEXT) | instid1(VALU_DEP_1)
	v_div_fmas_f32 v3, v3, v5, v7
	v_div_fixup_f32 v2, v3, v2, 1.0
	v_mov_b32_e32 v3, v0
	v_cmpx_lt_u32_e32 0x7f, v4
	s_cbranch_execz .LBB111_42
; %bb.34:
	s_delay_alu instid0(VALU_DEP_3) | instskip(NEXT) | instid1(VALU_DEP_1)
	v_dual_mov_b32 v3, v2 :: v_dual_lshrrev_b32 v4, 7, v4
	v_dual_mov_b32 v9, 0 :: v_dual_add_nc_u32 v5, -1, v4
	s_delay_alu instid0(VALU_DEP_1) | instskip(SKIP_1) | instid1(VALU_DEP_2)
	v_lshrrev_b32_e32 v6, 1, v5
	v_cmp_lt_u32_e32 vcc_lo, 13, v5
	v_add_nc_u32_e32 v5, 1, v6
	s_and_saveexec_b32 s3, vcc_lo
	s_cbranch_execz .LBB111_38
; %bb.35:
	s_delay_alu instid0(VALU_DEP_1)
	v_and_b32_e32 v6, -8, v5
	v_lshl_add_u32 v7, v0, 2, 0xe0
	s_mov_b32 s24, 0
	s_mov_b32 s25, 0
.LBB111_36:                             ; =>This Inner Loop Header: Depth=1
	ds_load_2addr_stride64_b32 v[10:11], v7 offset1:2
	ds_load_2addr_stride64_b32 v[12:13], v7 offset0:4 offset1:6
	ds_load_2addr_stride64_b32 v[14:15], v7 offset0:8 offset1:10
	;; [unrolled: 1-line block ×7, first 2 shown]
	s_add_co_i32 s25, s25, 16
	s_delay_alu instid0(SALU_CYCLE_1) | instskip(NEXT) | instid1(VALU_DEP_1)
	v_dual_mov_b32 v9, s25 :: v_dual_add_nc_u32 v6, -8, v6
	v_cmp_eq_u32_e32 vcc_lo, 0, v6
	s_or_b32 s24, vcc_lo, s24
	s_wait_dscnt 0x7
	v_pk_mul_f32 v[10:11], v[2:3], v[10:11]
	s_wait_dscnt 0x6
	v_pk_mul_f32 v[12:13], v[2:3], v[12:13]
	;; [unrolled: 2-line block ×8, first 2 shown]
	ds_store_2addr_stride64_b32 v7, v10, v11 offset1:2
	ds_store_2addr_stride64_b32 v7, v12, v13 offset0:4 offset1:6
	ds_store_2addr_stride64_b32 v7, v14, v15 offset0:8 offset1:10
	;; [unrolled: 1-line block ×7, first 2 shown]
	v_add_nc_u32_e32 v7, 0x2000, v7
	s_and_not1_b32 exec_lo, exec_lo, s24
	s_cbranch_execnz .LBB111_36
; %bb.37:
	s_or_b32 exec_lo, exec_lo, s24
.LBB111_38:
	s_delay_alu instid0(SALU_CYCLE_1) | instskip(NEXT) | instid1(VALU_DEP_1)
	s_or_b32 exec_lo, exec_lo, s3
	v_and_b32_e32 v5, 7, v5
	s_mov_b32 s24, 0
	s_mov_b32 s3, exec_lo
	s_delay_alu instid0(VALU_DEP_1)
	v_cmpx_ne_u32_e32 0, v5
	s_cbranch_execz .LBB111_41
; %bb.39:
	v_dual_lshlrev_b32 v6, 9, v9 :: v_dual_lshlrev_b32 v7, 2, v0
	s_delay_alu instid0(VALU_DEP_1)
	v_add3_u32 v6, v6, v7, 0xe0
.LBB111_40:                             ; =>This Inner Loop Header: Depth=1
	ds_load_2addr_stride64_b32 v[10:11], v6 offset1:2
	v_add_nc_u32_e32 v5, -1, v5
	s_delay_alu instid0(VALU_DEP_1)
	v_cmp_eq_u32_e32 vcc_lo, 0, v5
	s_or_b32 s24, vcc_lo, s24
	s_wait_dscnt 0x0
	v_pk_mul_f32 v[10:11], v[2:3], v[10:11]
	ds_store_2addr_stride64_b32 v6, v10, v11 offset1:2
	v_add_nc_u32_e32 v6, 0x400, v6
	s_and_not1_b32 exec_lo, exec_lo, s24
	s_cbranch_execnz .LBB111_40
.LBB111_41:
	s_or_b32 exec_lo, exec_lo, s3
	v_add_nc_u32_e32 v3, 1, v4
	s_delay_alu instid0(VALU_DEP_1) | instskip(NEXT) | instid1(VALU_DEP_1)
	v_and_b32_e32 v4, 0x3fffffe, v3
	v_cmp_ne_u32_e32 vcc_lo, v3, v4
	v_lshl_add_u32 v3, v4, 7, v0
	s_or_not1_b32 s3, vcc_lo, exec_lo
.LBB111_42:
	s_or_b32 exec_lo, exec_lo, s1
	s_delay_alu instid0(SALU_CYCLE_1)
	s_and_b32 exec_lo, exec_lo, s3
	s_cbranch_execz .LBB111_45
; %bb.43:
	v_lshl_add_u32 v4, v3, 2, 0xe0
	s_mov_b32 s1, 0
.LBB111_44:                             ; =>This Inner Loop Header: Depth=1
	ds_load_b32 v5, v4
	v_add_nc_u32_e32 v3, 0x80, v3
	s_delay_alu instid0(VALU_DEP_1)
	v_cmp_le_i32_e32 vcc_lo, s15, v3
	s_or_b32 s1, vcc_lo, s1
	s_wait_dscnt 0x0
	v_mul_f32_e32 v5, v2, v5
	ds_store_b32 v4, v5
	v_add_nc_u32_e32 v4, 0x200, v4
	s_and_not1_b32 exec_lo, exec_lo, s1
	s_cbranch_execnz .LBB111_44
.LBB111_45:
	s_or_b32 exec_lo, exec_lo, s0
	v_mov_b64_e32 v[24:25], 0
	s_wait_dscnt 0x0
	s_barrier_signal -1
	s_barrier_wait -1
	s_and_saveexec_b32 s1, s2
	s_cbranch_execz .LBB111_57
; %bb.46:
	s_abs_i32 s10, s10
	v_dual_mov_b32 v23, 0 :: v_dual_lshlrev_b32 v2, 4, v30
	s_cvt_f32_u32 s0, s10
	s_ashr_i32 s15, s14, 31
	v_and_b32_e32 v4, 0x7c, v8
	s_lshl_b64 s[20:21], s[20:21], 2
	v_rcp_iflag_f32_e32 v3, s0
	s_lshl_b64 s[14:15], s[14:15], 1
	s_add_nc_u64 s[18:19], s[18:19], s[20:21]
	s_wait_kmcnt 0x0
	s_add_nc_u64 s[14:15], s[22:23], s[14:15]
	s_sub_co_i32 s24, s8, s9
	s_sub_co_i32 s8, 0, s10
	v_mov_b32_e32 v5, v23
	v_readfirstlane_b32 s0, v3
	v_mov_b32_e32 v3, v23
	v_mov_b64_e32 v[24:25], 0
	v_lshl_add_u32 v32, v1, 5, 0xe0
	v_add_nc_u64_e32 v[28:29], s[18:19], v[4:5]
	s_mul_f32 s0, s0, 0x4f7ffffe
	v_add_nc_u64_e32 v[26:27], s[14:15], v[2:3]
	v_dual_mov_b32 v31, v23 :: v_dual_mov_b32 v33, v1
	s_delay_alu instid0(SALU_CYCLE_1)
	s_cvt_u32_f32 s0, s0
	s_mov_b32 s9, 0
	s_ashr_i32 s3, s13, 31
	s_mov_b32 s2, s13
	s_mul_i32 s8, s8, s0
	s_add_co_i32 s13, s34, -1
	s_mul_hi_u32 s8, s0, s8
	s_mov_b32 s14, s31
	s_add_co_i32 s8, s0, s8
	s_mov_b32 s15, s9
	s_branch .LBB111_49
.LBB111_47:                             ;   in Loop: Header=BB111_49 Depth=1
	s_or_b32 exec_lo, exec_lo, s0
	s_wait_dscnt 0x1
	v_cvt_pk_bf16_f32 v10, v10, v11
	v_cvt_pk_bf16_f32 v11, v12, v13
	s_wait_dscnt 0x0
	v_cvt_pk_bf16_f32 v6, v6, v7
	v_cvt_pk_bf16_f32 v8, v8, v9
	s_wait_loadcnt 0x1
	v_pk_mul_bf16 v7, v10, v14
	v_pk_mul_bf16 v12, v11, v15
	v_pk_mul_bf16 v9, v6, v16
	v_pk_mul_bf16 v2, v10, v2
	v_pk_mul_bf16 v3, v11, v3
	s_delay_alu instid0(VALU_DEP_4)
	v_dual_lshlrev_b32 v13, 16, v7 :: v_dual_lshlrev_b32 v14, 16, v12
	v_and_b32_e32 v7, 0xffff0000, v7
	v_and_b32_e32 v12, 0xffff0000, v12
	v_lshlrev_b32_e32 v15, 16, v9
	v_and_b32_e32 v9, 0xffff0000, v9
	v_pk_mul_bf16 v4, v6, v4
	s_delay_alu instid0(VALU_DEP_4)
	v_dual_add_f32 v7, v13, v7 :: v_dual_add_f32 v12, v14, v12
	v_lshlrev_b32_e32 v13, 16, v2
	v_and_b32_e32 v2, 0xffff0000, v2
	v_add_f32_e32 v9, v15, v9
	v_pk_mul_bf16 v14, v8, v17
	v_add_f32_e32 v7, v12, v7
	s_delay_alu instid0(VALU_DEP_4)
	v_dual_lshlrev_b32 v12, 16, v3 :: v_dual_add_f32 v2, v13, v2
	v_and_b32_e32 v3, 0xffff0000, v3
	s_wait_loadcnt 0x0
	v_pk_mul_bf16 v11, v11, v19
	v_dual_add_f32 v7, v9, v7 :: v_dual_lshlrev_b32 v9, 16, v14
	v_pk_mul_bf16 v6, v6, v20
	v_add_f32_e32 v3, v12, v3
	v_and_b32_e32 v12, 0xffff0000, v14
	v_pk_mul_bf16 v5, v8, v5
	v_pk_mul_bf16 v8, v8, v21
	s_delay_alu instid0(VALU_DEP_4)
	v_add_f32_e32 v2, v3, v2
	v_pk_mul_bf16 v3, v10, v18
	v_lshlrev_b32_e32 v10, 16, v4
	v_and_b32_e32 v4, 0xffff0000, v4
	v_lshlrev_b32_e32 v14, 16, v11
	v_and_b32_e32 v11, 0xffff0000, v11
	;; [unrolled: 2-line block ×3, first 2 shown]
	v_dual_add_f32 v4, v10, v4 :: v_dual_lshlrev_b32 v10, 16, v6
	s_delay_alu instid0(VALU_DEP_4) | instskip(SKIP_1) | instid1(VALU_DEP_4)
	v_add_f32_e32 v11, v11, v14
	v_and_b32_e32 v6, 0xffff0000, v6
	v_add_f32_e32 v3, v3, v13
	v_lshlrev_b32_e32 v13, 16, v5
	v_and_b32_e32 v5, 0xffff0000, v5
	s_delay_alu instid0(VALU_DEP_4) | instskip(NEXT) | instid1(VALU_DEP_4)
	v_dual_lshlrev_b32 v14, 16, v8 :: v_dual_add_f32 v6, v6, v10
	v_dual_add_f32 v9, v9, v12 :: v_dual_add_f32 v3, v11, v3
	v_and_b32_e32 v8, 0xffff0000, v8
	s_delay_alu instid0(VALU_DEP_4) | instskip(NEXT) | instid1(VALU_DEP_2)
	v_dual_add_f32 v2, v4, v2 :: v_dual_add_f32 v4, v13, v5
	v_dual_add_f32 v3, v6, v3 :: v_dual_add_f32 v5, v8, v14
	s_delay_alu instid0(VALU_DEP_2) | instskip(NEXT) | instid1(VALU_DEP_1)
	v_dual_add_f32 v6, v9, v7 :: v_dual_add_f32 v2, v4, v2
	v_dual_add_f32 v3, v5, v3 :: v_dual_add_f32 v24, v24, v2
	s_delay_alu instid0(VALU_DEP_1)
	v_dual_add_f32 v25, v25, v6 :: v_dual_add_f32 v31, v31, v3
.LBB111_48:                             ;   in Loop: Header=BB111_49 Depth=1
	s_or_b32 exec_lo, exec_lo, s18
	v_dual_add_nc_u32 v33, 4, v33 :: v_dual_add_nc_u32 v22, 32, v22
	v_add_nc_u64_e32 v[28:29], 16, v[28:29]
	v_add_nc_u32_e32 v32, 0x80, v32
	s_delay_alu instid0(VALU_DEP_3) | instskip(SKIP_1) | instid1(SALU_CYCLE_1)
	v_cmp_le_i32_e32 vcc_lo, s34, v33
	s_or_b32 s15, vcc_lo, s15
	s_and_not1_b32 exec_lo, exec_lo, s15
	s_cbranch_execz .LBB111_56
.LBB111_49:                             ; =>This Inner Loop Header: Depth=1
	v_mul_u64_e32 v[2:3], s[16:17], v[22:23]
	s_delay_alu instid0(VALU_DEP_1) | instskip(NEXT) | instid1(VALU_DEP_1)
	v_mul_lo_u32 v2, v3, s12
	v_dual_add_nc_u32 v4, 1, v3 :: v_dual_sub_nc_u32 v2, v22, v2
	s_delay_alu instid0(VALU_DEP_1) | instskip(SKIP_1) | instid1(VALU_DEP_2)
	v_subrev_nc_u32_e32 v5, s12, v2
	v_cmp_le_u32_e32 vcc_lo, s12, v2
	v_dual_cndmask_b32 v3, v3, v4 :: v_dual_cndmask_b32 v2, v2, v5
	s_delay_alu instid0(VALU_DEP_1) | instskip(NEXT) | instid1(VALU_DEP_2)
	v_add_nc_u32_e32 v4, 1, v3
	v_cmp_le_u32_e32 vcc_lo, s12, v2
	s_delay_alu instid0(VALU_DEP_2) | instskip(NEXT) | instid1(VALU_DEP_1)
	v_cndmask_b32_e32 v2, v3, v4, vcc_lo
	v_dual_mov_b32 v3, v23 :: v_dual_bitop2_b32 v2, s11, v2 bitop3:0x14
	s_delay_alu instid0(VALU_DEP_1) | instskip(NEXT) | instid1(VALU_DEP_1)
	v_subrev_nc_u32_e32 v6, s11, v2
	v_add_nc_u32_e32 v7, s33, v6
	v_cmp_lt_i32_e64 s0, s24, v6
	s_delay_alu instid0(VALU_DEP_2) | instskip(NEXT) | instid1(VALU_DEP_1)
	v_sub_nc_u32_e32 v2, 0, v7
	v_max_i32_e32 v2, v7, v2
	s_delay_alu instid0(VALU_DEP_1) | instskip(SKIP_1) | instid1(VALU_DEP_2)
	v_mul_u64_e32 v[4:5], s[8:9], v[2:3]
	v_ashrrev_i32_e32 v4, 31, v7
	v_mul_lo_u32 v3, v5, s10
	s_delay_alu instid0(VALU_DEP_1) | instskip(NEXT) | instid1(VALU_DEP_1)
	v_sub_nc_u32_e32 v2, v2, v3
	v_subrev_nc_u32_e32 v3, s10, v2
	v_cmp_le_u32_e32 vcc_lo, s10, v2
	s_delay_alu instid0(VALU_DEP_2) | instskip(NEXT) | instid1(VALU_DEP_1)
	v_cndmask_b32_e32 v2, v2, v3, vcc_lo
	v_subrev_nc_u32_e32 v3, s10, v2
	v_cmp_le_u32_e32 vcc_lo, s10, v2
	s_delay_alu instid0(VALU_DEP_2) | instskip(NEXT) | instid1(VALU_DEP_1)
	v_cndmask_b32_e32 v2, v2, v3, vcc_lo
	v_xor_b32_e32 v2, v2, v4
	s_delay_alu instid0(VALU_DEP_1) | instskip(NEXT) | instid1(VALU_DEP_1)
	v_sub_nc_u32_e32 v2, v2, v4
	v_cmp_eq_u32_e32 vcc_lo, 0, v2
	s_or_b32 s0, vcc_lo, s0
	s_delay_alu instid0(SALU_CYCLE_1)
	s_and_saveexec_b32 s18, s0
	s_cbranch_execz .LBB111_48
; %bb.50:                               ;   in Loop: Header=BB111_49 Depth=1
	global_load_b32 v2, v[28:29], off
	v_cmp_eq_u32_e32 vcc_lo, s13, v33
	v_dual_add_nc_u32 v39, 1, v22 :: v_dual_bitop2_b32 v38, 3, v22 bitop3:0x54
	v_or_b32_e32 v40, 2, v22
	v_or_b32_e32 v35, 5, v22
	;; [unrolled: 1-line block ×5, first 2 shown]
	s_wait_loadcnt 0x0
	v_ashrrev_i32_e32 v3, 31, v2
	s_delay_alu instid0(VALU_DEP_1) | instskip(NEXT) | instid1(VALU_DEP_1)
	v_mul_u64_e32 v[2:3], s[2:3], v[2:3]
	v_lshl_add_u64 v[18:19], v[2:3], 1, v[26:27]
	global_load_b128 v[2:5], v[18:19], off
	ds_load_2addr_b64 v[10:13], v32 offset1:1
	ds_load_2addr_b64 v[6:9], v32 offset0:2 offset1:3
	s_wait_xcnt 0x0
	s_and_saveexec_b32 s19, vcc_lo
	s_cbranch_execnz .LBB111_53
; %bb.51:                               ;   in Loop: Header=BB111_49 Depth=1
	s_or_b32 exec_lo, exec_lo, s19
	global_load_b128 v[14:17], v[18:19], off offset:512
	s_wait_xcnt 0x0
	s_and_saveexec_b32 s19, vcc_lo
	s_cbranch_execnz .LBB111_54
.LBB111_52:                             ;   in Loop: Header=BB111_49 Depth=1
	s_or_b32 exec_lo, exec_lo, s19
	global_load_b128 v[18:21], v[18:19], off offset:1024
	s_wait_xcnt 0x0
	s_and_saveexec_b32 s0, vcc_lo
	s_cbranch_execz .LBB111_47
	s_branch .LBB111_55
.LBB111_53:                             ;   in Loop: Header=BB111_49 Depth=1
	v_cmp_gt_i32_e64 s0, s31, v22
	s_wait_loadcnt 0x0
	v_dual_lshrrev_b32 v14, 16, v2 :: v_dual_lshrrev_b32 v16, 16, v4
	s_delay_alu instid0(VALU_DEP_2) | instskip(SKIP_1) | instid1(VALU_DEP_1)
	v_cndmask_b32_e64 v2, 0, v2, s0
	v_cmp_gt_i32_e64 s0, s14, v39
	v_dual_lshrrev_b32 v15, 16, v3 :: v_dual_cndmask_b32 v14, 0, v14, s0
	v_cmp_gt_i32_e64 s0, s31, v40
	s_delay_alu instid0(VALU_DEP_2) | instskip(NEXT) | instid1(VALU_DEP_2)
	v_perm_b32 v2, v14, v2, 0x5040100
	v_cndmask_b32_e64 v3, 0, v3, s0
	v_cmp_gt_i32_e64 s0, s14, v38
	s_delay_alu instid0(VALU_DEP_1) | instskip(SKIP_1) | instid1(VALU_DEP_1)
	v_cndmask_b32_e64 v15, 0, v15, s0
	v_cmp_gt_i32_e64 s0, s31, v37
	v_cndmask_b32_e64 v4, 0, v4, s0
	v_cmp_gt_i32_e64 s0, s14, v35
	v_lshrrev_b32_e32 v17, 16, v5
	v_perm_b32 v3, v15, v3, 0x5040100
	s_delay_alu instid0(VALU_DEP_3) | instskip(SKIP_1) | instid1(VALU_DEP_2)
	v_cndmask_b32_e64 v16, 0, v16, s0
	v_cmp_gt_i32_e64 s0, s31, v36
	v_perm_b32 v4, v16, v4, 0x5040100
	s_delay_alu instid0(VALU_DEP_2) | instskip(SKIP_1) | instid1(VALU_DEP_1)
	v_cndmask_b32_e64 v5, 0, v5, s0
	v_cmp_gt_i32_e64 s0, s14, v34
	v_cndmask_b32_e64 v17, 0, v17, s0
	s_delay_alu instid0(VALU_DEP_1)
	v_perm_b32 v5, v17, v5, 0x5040100
	s_or_b32 exec_lo, exec_lo, s19
	global_load_b128 v[14:17], v[18:19], off offset:512
	s_wait_xcnt 0x0
	s_and_saveexec_b32 s19, vcc_lo
	s_cbranch_execz .LBB111_52
.LBB111_54:                             ;   in Loop: Header=BB111_49 Depth=1
	v_cmp_gt_i32_e64 s0, s31, v22
	s_wait_loadcnt 0x0
	s_delay_alu instid0(VALU_DEP_1) | instskip(SKIP_1) | instid1(VALU_DEP_1)
	v_dual_lshrrev_b32 v20, 16, v14 :: v_dual_cndmask_b32 v14, 0, v14, s0
	v_cmp_gt_i32_e64 s0, s14, v39
	v_dual_lshrrev_b32 v21, 16, v15 :: v_dual_cndmask_b32 v20, 0, v20, s0
	v_cmp_gt_i32_e64 s0, s31, v40
	s_delay_alu instid0(VALU_DEP_2) | instskip(NEXT) | instid1(VALU_DEP_2)
	v_perm_b32 v14, v20, v14, 0x5040100
	v_cndmask_b32_e64 v15, 0, v15, s0
	v_cmp_gt_i32_e64 s0, s14, v38
	s_delay_alu instid0(VALU_DEP_1) | instskip(SKIP_2) | instid1(VALU_DEP_3)
	v_cndmask_b32_e64 v21, 0, v21, s0
	v_cmp_gt_i32_e64 s0, s31, v37
	v_lshrrev_b32_e32 v41, 16, v16
	v_perm_b32 v15, v21, v15, 0x5040100
	s_delay_alu instid0(VALU_DEP_3) | instskip(SKIP_1) | instid1(VALU_DEP_1)
	v_cndmask_b32_e64 v16, 0, v16, s0
	v_cmp_gt_i32_e64 s0, s14, v35
	v_cndmask_b32_e64 v41, 0, v41, s0
	v_cmp_gt_i32_e64 s0, s31, v36
	s_delay_alu instid0(VALU_DEP_1) | instskip(SKIP_1) | instid1(VALU_DEP_1)
	v_dual_lshrrev_b32 v42, 16, v17 :: v_dual_cndmask_b32 v17, 0, v17, s0
	v_cmp_gt_i32_e64 s0, s14, v34
	v_cndmask_b32_e64 v42, 0, v42, s0
	v_perm_b32 v16, v41, v16, 0x5040100
	s_delay_alu instid0(VALU_DEP_2)
	v_perm_b32 v17, v42, v17, 0x5040100
	s_or_b32 exec_lo, exec_lo, s19
	global_load_b128 v[18:21], v[18:19], off offset:1024
	s_wait_xcnt 0x0
	s_and_saveexec_b32 s0, vcc_lo
	s_cbranch_execz .LBB111_47
.LBB111_55:                             ;   in Loop: Header=BB111_49 Depth=1
	v_cmp_gt_i32_e32 vcc_lo, s31, v22
	s_wait_loadcnt 0x0
	v_dual_cndmask_b32 v18, 0, v18 :: v_dual_lshrrev_b32 v41, 16, v18
	v_cmp_gt_i32_e32 vcc_lo, s14, v39
	s_delay_alu instid0(VALU_DEP_2) | instskip(SKIP_1) | instid1(VALU_DEP_2)
	v_dual_cndmask_b32 v39, 0, v41 :: v_dual_lshrrev_b32 v42, 16, v19
	v_cmp_gt_i32_e32 vcc_lo, s31, v40
	v_perm_b32 v18, v39, v18, 0x5040100
	v_cndmask_b32_e32 v19, 0, v19, vcc_lo
	v_cmp_gt_i32_e32 vcc_lo, s14, v38
	v_cndmask_b32_e32 v38, 0, v42, vcc_lo
	v_cmp_gt_i32_e32 vcc_lo, s31, v37
	v_lshrrev_b32_e32 v40, 16, v20
	s_delay_alu instid0(VALU_DEP_3) | instskip(SKIP_2) | instid1(VALU_DEP_4)
	v_perm_b32 v19, v38, v19, 0x5040100
	v_cndmask_b32_e32 v20, 0, v20, vcc_lo
	v_cmp_gt_i32_e32 vcc_lo, s14, v35
	v_dual_lshrrev_b32 v37, 16, v21 :: v_dual_cndmask_b32 v35, 0, v40, vcc_lo
	v_cmp_gt_i32_e32 vcc_lo, s31, v36
	s_delay_alu instid0(VALU_DEP_2) | instskip(SKIP_3) | instid1(VALU_DEP_1)
	v_perm_b32 v20, v35, v20, 0x5040100
	v_cndmask_b32_e32 v21, 0, v21, vcc_lo
	v_cmp_gt_i32_e32 vcc_lo, s14, v34
	v_cndmask_b32_e32 v34, 0, v37, vcc_lo
	v_perm_b32 v21, v34, v21, 0x5040100
	s_branch .LBB111_47
.LBB111_56:
	s_or_b32 exec_lo, exec_lo, s15
.LBB111_57:
	s_delay_alu instid0(SALU_CYCLE_1) | instskip(SKIP_4) | instid1(VALU_DEP_2)
	s_or_b32 exec_lo, exec_lo, s1
	v_lshl_add_u32 v2, v30, 2, 0xe0
	v_and_b32_e32 v3, 0x3c0, v0
	s_mov_b32 s0, exec_lo
	s_barrier_signal -1
	v_mad_u32_u24 v1, 0x180, v1, v2
	s_barrier_wait -1
	v_cmpx_eq_u32_e32 64, v3
	s_cbranch_execz .LBB111_59
; %bb.58:
	s_delay_alu instid0(VALU_DEP_2)
	v_add_nc_u32_e32 v3, 0xfffffd00, v1
	v_add_nc_u32_e32 v4, 0xfffffd80, v1
	;; [unrolled: 1-line block ×3, first 2 shown]
	ds_store_b32 v3, v24
	ds_store_b32 v4, v25
	ds_store_b32 v5, v31
.LBB111_59:
	s_or_b32 exec_lo, exec_lo, s0
	s_delay_alu instid0(SALU_CYCLE_1)
	s_mov_b32 s0, exec_lo
	s_wait_dscnt 0x0
	s_barrier_signal -1
	s_barrier_wait -1
	v_cmpx_gt_u32_e32 64, v0
	s_cbranch_execz .LBB111_61
; %bb.60:
	ds_load_2addr_b32 v[4:5], v1 offset1:32
	ds_load_b32 v3, v1 offset:256
	s_wait_dscnt 0x1
	v_pk_add_f32 v[24:25], v[24:25], v[4:5]
	s_wait_dscnt 0x0
	v_add_f32_e32 v31, v31, v3
.LBB111_61:
	s_or_b32 exec_lo, exec_lo, s0
	v_and_b32_e32 v3, 0x3e0, v0
	s_mov_b32 s0, exec_lo
	s_barrier_signal -1
	s_barrier_wait -1
	s_delay_alu instid0(VALU_DEP_1)
	v_cmpx_eq_u32_e32 32, v3
	s_cbranch_execz .LBB111_63
; %bb.62:
	ds_store_2addr_b32 v2, v24, v25 offset1:32
	ds_store_b32 v2, v31 offset:256
.LBB111_63:
	s_or_b32 exec_lo, exec_lo, s0
	v_cmp_gt_u32_e32 vcc_lo, 32, v0
	s_wait_dscnt 0x0
	s_barrier_signal -1
	s_barrier_wait -1
	s_and_saveexec_b32 s0, vcc_lo
	s_cbranch_execz .LBB111_65
; %bb.64:
	ds_load_2addr_b32 v[2:3], v1 offset1:32
	ds_load_b32 v1, v1 offset:256
	s_wait_dscnt 0x1
	v_pk_add_f32 v[24:25], v[24:25], v[2:3]
	s_wait_dscnt 0x0
	v_add_f32_e32 v31, v31, v1
.LBB111_65:
	s_or_b32 exec_lo, exec_lo, s0
	s_barrier_signal -1
	s_barrier_wait -1
	s_and_saveexec_b32 s0, vcc_lo
	s_cbranch_execz .LBB111_67
; %bb.66:
	s_mul_i32 s1, s30, s7
	s_mul_i32 s0, s7, s6
	;; [unrolled: 1-line block ×3, first 2 shown]
	s_bfe_u32 s7, ttmp6, 0x40014
	s_mul_i32 s2, s1, 0x60
	s_lshr_b32 s6, ttmp7, 16
	s_ashr_i32 s3, s2, 31
	s_add_co_i32 s7, s7, 1
	s_lshl_b64 s[2:3], s[2:3], 1
	s_ashr_i32 s1, s0, 31
	s_wait_kmcnt 0x0
	s_add_nc_u64 s[2:3], s[4:5], s[2:3]
	s_mul_i32 s4, s6, s7
	s_bfe_u32 s5, ttmp6, 0x40008
	s_lshl_b64 s[0:1], s[0:1], 1
	s_add_co_i32 s5, s5, s4
	s_cmp_eq_u32 s28, 0
	s_add_nc_u64 s[0:1], s[2:3], s[0:1]
	s_cselect_b32 s2, s6, s5
	v_cvt_pk_bf16_f32 v1, v24, s0
	s_mov_b32 s3, 0
	s_mulk_i32 s2, 0xc0
	v_cvt_pk_bf16_f32 v2, v25, s0
	v_cvt_pk_bf16_f32 v3, v31, s0
	s_add_nc_u64 s[0:1], s[0:1], s[2:3]
	s_clause 0x2
	global_store_b16 v0, v1, s[0:1] scale_offset
	global_store_b16 v0, v2, s[0:1] offset:64 scale_offset
	global_store_b16 v0, v3, s[0:1] offset:128 scale_offset
.LBB111_67:
	s_endpgm
	.section	.rodata,"a",@progbits
	.p2align	6, 0x0
	.amdhsa_kernel _ZN4vllm25paged_attention_v1_kernelI14__hip_bfloat16S1_Li96ELi8ELi128ELNS_18Fp8KVCacheDataTypeE0ELb1EEEvPT_PKS3_PKT0_S9_ifPKiSB_iPKfiiiSD_SD_iiiii
		.amdhsa_group_segment_fixed_size 224
		.amdhsa_private_segment_fixed_size 0
		.amdhsa_kernarg_size 384
		.amdhsa_user_sgpr_count 2
		.amdhsa_user_sgpr_dispatch_ptr 0
		.amdhsa_user_sgpr_queue_ptr 0
		.amdhsa_user_sgpr_kernarg_segment_ptr 1
		.amdhsa_user_sgpr_dispatch_id 0
		.amdhsa_user_sgpr_kernarg_preload_length 0
		.amdhsa_user_sgpr_kernarg_preload_offset 0
		.amdhsa_user_sgpr_private_segment_size 0
		.amdhsa_wavefront_size32 1
		.amdhsa_uses_dynamic_stack 0
		.amdhsa_enable_private_segment 0
		.amdhsa_system_sgpr_workgroup_id_x 1
		.amdhsa_system_sgpr_workgroup_id_y 1
		.amdhsa_system_sgpr_workgroup_id_z 1
		.amdhsa_system_sgpr_workgroup_info 0
		.amdhsa_system_vgpr_workitem_id 0
		.amdhsa_next_free_vgpr 43
		.amdhsa_next_free_sgpr 40
		.amdhsa_named_barrier_count 0
		.amdhsa_reserve_vcc 1
		.amdhsa_float_round_mode_32 0
		.amdhsa_float_round_mode_16_64 0
		.amdhsa_float_denorm_mode_32 3
		.amdhsa_float_denorm_mode_16_64 3
		.amdhsa_fp16_overflow 0
		.amdhsa_memory_ordered 1
		.amdhsa_forward_progress 1
		.amdhsa_inst_pref_size 46
		.amdhsa_round_robin_scheduling 0
		.amdhsa_exception_fp_ieee_invalid_op 0
		.amdhsa_exception_fp_denorm_src 0
		.amdhsa_exception_fp_ieee_div_zero 0
		.amdhsa_exception_fp_ieee_overflow 0
		.amdhsa_exception_fp_ieee_underflow 0
		.amdhsa_exception_fp_ieee_inexact 0
		.amdhsa_exception_int_div_zero 0
	.end_amdhsa_kernel
	.section	.text._ZN4vllm25paged_attention_v1_kernelI14__hip_bfloat16S1_Li96ELi8ELi128ELNS_18Fp8KVCacheDataTypeE0ELb1EEEvPT_PKS3_PKT0_S9_ifPKiSB_iPKfiiiSD_SD_iiiii,"axG",@progbits,_ZN4vllm25paged_attention_v1_kernelI14__hip_bfloat16S1_Li96ELi8ELi128ELNS_18Fp8KVCacheDataTypeE0ELb1EEEvPT_PKS3_PKT0_S9_ifPKiSB_iPKfiiiSD_SD_iiiii,comdat
.Lfunc_end111:
	.size	_ZN4vllm25paged_attention_v1_kernelI14__hip_bfloat16S1_Li96ELi8ELi128ELNS_18Fp8KVCacheDataTypeE0ELb1EEEvPT_PKS3_PKT0_S9_ifPKiSB_iPKfiiiSD_SD_iiiii, .Lfunc_end111-_ZN4vllm25paged_attention_v1_kernelI14__hip_bfloat16S1_Li96ELi8ELi128ELNS_18Fp8KVCacheDataTypeE0ELb1EEEvPT_PKS3_PKT0_S9_ifPKiSB_iPKfiiiSD_SD_iiiii
                                        ; -- End function
	.set _ZN4vllm25paged_attention_v1_kernelI14__hip_bfloat16S1_Li96ELi8ELi128ELNS_18Fp8KVCacheDataTypeE0ELb1EEEvPT_PKS3_PKT0_S9_ifPKiSB_iPKfiiiSD_SD_iiiii.num_vgpr, 43
	.set _ZN4vllm25paged_attention_v1_kernelI14__hip_bfloat16S1_Li96ELi8ELi128ELNS_18Fp8KVCacheDataTypeE0ELb1EEEvPT_PKS3_PKT0_S9_ifPKiSB_iPKfiiiSD_SD_iiiii.num_agpr, 0
	.set _ZN4vllm25paged_attention_v1_kernelI14__hip_bfloat16S1_Li96ELi8ELi128ELNS_18Fp8KVCacheDataTypeE0ELb1EEEvPT_PKS3_PKT0_S9_ifPKiSB_iPKfiiiSD_SD_iiiii.numbered_sgpr, 40
	.set _ZN4vllm25paged_attention_v1_kernelI14__hip_bfloat16S1_Li96ELi8ELi128ELNS_18Fp8KVCacheDataTypeE0ELb1EEEvPT_PKS3_PKT0_S9_ifPKiSB_iPKfiiiSD_SD_iiiii.num_named_barrier, 0
	.set _ZN4vllm25paged_attention_v1_kernelI14__hip_bfloat16S1_Li96ELi8ELi128ELNS_18Fp8KVCacheDataTypeE0ELb1EEEvPT_PKS3_PKT0_S9_ifPKiSB_iPKfiiiSD_SD_iiiii.private_seg_size, 0
	.set _ZN4vllm25paged_attention_v1_kernelI14__hip_bfloat16S1_Li96ELi8ELi128ELNS_18Fp8KVCacheDataTypeE0ELb1EEEvPT_PKS3_PKT0_S9_ifPKiSB_iPKfiiiSD_SD_iiiii.uses_vcc, 1
	.set _ZN4vllm25paged_attention_v1_kernelI14__hip_bfloat16S1_Li96ELi8ELi128ELNS_18Fp8KVCacheDataTypeE0ELb1EEEvPT_PKS3_PKT0_S9_ifPKiSB_iPKfiiiSD_SD_iiiii.uses_flat_scratch, 0
	.set _ZN4vllm25paged_attention_v1_kernelI14__hip_bfloat16S1_Li96ELi8ELi128ELNS_18Fp8KVCacheDataTypeE0ELb1EEEvPT_PKS3_PKT0_S9_ifPKiSB_iPKfiiiSD_SD_iiiii.has_dyn_sized_stack, 0
	.set _ZN4vllm25paged_attention_v1_kernelI14__hip_bfloat16S1_Li96ELi8ELi128ELNS_18Fp8KVCacheDataTypeE0ELb1EEEvPT_PKS3_PKT0_S9_ifPKiSB_iPKfiiiSD_SD_iiiii.has_recursion, 0
	.set _ZN4vllm25paged_attention_v1_kernelI14__hip_bfloat16S1_Li96ELi8ELi128ELNS_18Fp8KVCacheDataTypeE0ELb1EEEvPT_PKS3_PKT0_S9_ifPKiSB_iPKfiiiSD_SD_iiiii.has_indirect_call, 0
	.section	.AMDGPU.csdata,"",@progbits
; Kernel info:
; codeLenInByte = 5848
; TotalNumSgprs: 42
; NumVgprs: 43
; ScratchSize: 0
; MemoryBound: 0
; FloatMode: 240
; IeeeMode: 1
; LDSByteSize: 224 bytes/workgroup (compile time only)
; SGPRBlocks: 0
; VGPRBlocks: 2
; NumSGPRsForWavesPerEU: 42
; NumVGPRsForWavesPerEU: 43
; NamedBarCnt: 0
; Occupancy: 16
; WaveLimiterHint : 1
; COMPUTE_PGM_RSRC2:SCRATCH_EN: 0
; COMPUTE_PGM_RSRC2:USER_SGPR: 2
; COMPUTE_PGM_RSRC2:TRAP_HANDLER: 0
; COMPUTE_PGM_RSRC2:TGID_X_EN: 1
; COMPUTE_PGM_RSRC2:TGID_Y_EN: 1
; COMPUTE_PGM_RSRC2:TGID_Z_EN: 1
; COMPUTE_PGM_RSRC2:TIDIG_COMP_CNT: 0
	.section	.text._ZN4vllm25paged_attention_v1_kernelI14__hip_bfloat16S1_Li112ELi8ELi128ELNS_18Fp8KVCacheDataTypeE0ELb1EEEvPT_PKS3_PKT0_S9_ifPKiSB_iPKfiiiSD_SD_iiiii,"axG",@progbits,_ZN4vllm25paged_attention_v1_kernelI14__hip_bfloat16S1_Li112ELi8ELi128ELNS_18Fp8KVCacheDataTypeE0ELb1EEEvPT_PKS3_PKT0_S9_ifPKiSB_iPKfiiiSD_SD_iiiii,comdat
	.protected	_ZN4vllm25paged_attention_v1_kernelI14__hip_bfloat16S1_Li112ELi8ELi128ELNS_18Fp8KVCacheDataTypeE0ELb1EEEvPT_PKS3_PKT0_S9_ifPKiSB_iPKfiiiSD_SD_iiiii ; -- Begin function _ZN4vllm25paged_attention_v1_kernelI14__hip_bfloat16S1_Li112ELi8ELi128ELNS_18Fp8KVCacheDataTypeE0ELb1EEEvPT_PKS3_PKT0_S9_ifPKiSB_iPKfiiiSD_SD_iiiii
	.globl	_ZN4vllm25paged_attention_v1_kernelI14__hip_bfloat16S1_Li112ELi8ELi128ELNS_18Fp8KVCacheDataTypeE0ELb1EEEvPT_PKS3_PKT0_S9_ifPKiSB_iPKfiiiSD_SD_iiiii
	.p2align	8
	.type	_ZN4vllm25paged_attention_v1_kernelI14__hip_bfloat16S1_Li112ELi8ELi128ELNS_18Fp8KVCacheDataTypeE0ELb1EEEvPT_PKS3_PKT0_S9_ifPKiSB_iPKfiiiSD_SD_iiiii,@function
_ZN4vllm25paged_attention_v1_kernelI14__hip_bfloat16S1_Li112ELi8ELi128ELNS_18Fp8KVCacheDataTypeE0ELb1EEEvPT_PKS3_PKT0_S9_ifPKiSB_iPKfiiiSD_SD_iiiii: ; @_ZN4vllm25paged_attention_v1_kernelI14__hip_bfloat16S1_Li112ELi8ELi128ELNS_18Fp8KVCacheDataTypeE0ELb1EEEvPT_PKS3_PKT0_S9_ifPKiSB_iPKfiiiSD_SD_iiiii
; %bb.0:
	s_load_b64 s[22:23], s[0:1], 0x20
	s_bfe_u32 s3, ttmp6, 0x4000c
	s_bfe_u32 s4, ttmp6, 0x40010
	s_and_b32 s6, ttmp7, 0xffff
	s_add_co_i32 s3, s3, 1
	s_add_co_i32 s4, s4, 1
	s_and_b32 s2, ttmp6, 15
	s_bfe_u32 s5, ttmp6, 0x40004
	s_mul_i32 s3, ttmp9, s3
	s_mul_i32 s4, s6, s4
	s_getreg_b32 s28, hwreg(HW_REG_IB_STS2, 6, 4)
	s_add_co_i32 s2, s2, s3
	s_add_co_i32 s3, s5, s4
	s_cmp_eq_u32 s28, 0
	s_clause 0x1
	s_load_b32 s29, s[0:1], 0x80
	s_load_b64 s[4:5], s[0:1], 0x30
	s_cselect_b32 s30, s6, s3
	s_cselect_b32 s2, ttmp9, s2
	s_mov_b32 s17, 0
	s_delay_alu instid0(SALU_CYCLE_1) | instskip(SKIP_2) | instid1(SALU_CYCLE_1)
	s_mov_b32 s36, s17
	s_wait_kmcnt 0x0
	s_abs_i32 s3, s22
	s_cvt_f32_u32 s6, s3
	s_sub_co_i32 s7, 0, s3
	s_delay_alu instid0(SALU_CYCLE_2) | instskip(SKIP_2) | instid1(TRANS32_DEP_1)
	v_rcp_iflag_f32_e32 v1, s6
	s_abs_i32 s8, s29
	v_nop
	v_readfirstlane_b32 s6, v1
	s_mul_f32 s6, s6, 0x4f7ffffe
	s_delay_alu instid0(SALU_CYCLE_3) | instskip(NEXT) | instid1(SALU_CYCLE_3)
	s_cvt_u32_f32 s6, s6
	s_mul_i32 s7, s7, s6
	s_delay_alu instid0(SALU_CYCLE_1) | instskip(NEXT) | instid1(SALU_CYCLE_1)
	s_mul_hi_u32 s7, s6, s7
	s_add_co_i32 s6, s6, s7
	s_xor_b32 s7, s29, s22
	s_mul_hi_u32 s6, s8, s6
	s_ashr_i32 s7, s7, 31
	s_mul_i32 s9, s6, s3
	s_delay_alu instid0(SALU_CYCLE_1)
	s_sub_co_i32 s8, s8, s9
	s_add_co_i32 s9, s6, 1
	s_sub_co_i32 s10, s8, s3
	s_cmp_ge_u32 s8, s3
	s_cselect_b32 s6, s9, s6
	s_cselect_b32 s8, s10, s8
	s_add_co_i32 s9, s6, 1
	s_cmp_ge_u32 s8, s3
	s_cselect_b32 s3, s9, s6
	s_load_b64 s[8:9], s[0:1], 0x40
	s_xor_b32 s3, s3, s7
	s_abs_i32 s16, s2
	s_sub_co_i32 s10, s3, s7
	s_mov_b32 s7, s17
	s_abs_i32 s15, s10
	s_delay_alu instid0(SALU_CYCLE_1) | instskip(SKIP_1) | instid1(SALU_CYCLE_2)
	s_cvt_f32_u32 s3, s15
	s_sub_co_i32 s6, 0, s15
	v_rcp_iflag_f32_e32 v1, s3
	v_nop
	s_delay_alu instid0(TRANS32_DEP_1) | instskip(SKIP_1) | instid1(SALU_CYCLE_3)
	v_readfirstlane_b32 s3, v1
	s_mul_f32 s3, s3, 0x4f7ffffe
	s_cvt_u32_f32 s3, s3
	s_delay_alu instid0(SALU_CYCLE_3) | instskip(NEXT) | instid1(SALU_CYCLE_1)
	s_mul_i32 s6, s6, s3
	s_mul_hi_u32 s6, s3, s6
	s_delay_alu instid0(SALU_CYCLE_1)
	s_add_co_i32 s6, s3, s6
	s_wait_kmcnt 0x0
	s_cmp_eq_u64 s[8:9], 0
	s_cbranch_scc1 .LBB112_2
; %bb.1:
	s_ashr_i32 s3, s2, 31
	s_delay_alu instid0(SALU_CYCLE_1) | instskip(NEXT) | instid1(SALU_CYCLE_1)
	s_lshl_b64 s[12:13], s[2:3], 2
	s_add_nc_u64 s[8:9], s[8:9], s[12:13]
	s_load_b32 s36, s[8:9], 0x0
.LBB112_2:
	s_load_b32 s31, s[4:5], s30 offset:0x0 scale_offset
	s_load_b96 s[12:14], s[0:1], 0x48
	v_and_b32_e32 v4, 3, v0
	s_wait_xcnt 0x0
	s_mul_u64 s[4:5], s[16:17], s[6:7]
	s_ashr_i32 s3, s2, 31
	s_ashr_i32 s18, s10, 31
	s_mul_i32 s6, s2, 0x70
	s_mov_b32 s4, exec_lo
	v_cmpx_gt_u32_e32 56, v0
	s_cbranch_execz .LBB112_4
; %bb.3:
	s_load_b64 s[8:9], s[0:1], 0x8
	s_wait_kmcnt 0x0
	s_mul_i32 s10, s12, s30
	s_ashr_i32 s7, s6, 31
	s_ashr_i32 s11, s10, 31
	v_and_b32_e32 v2, 0x3fc, v0
	s_lshl_b64 s[10:11], s[10:11], 1
	s_delay_alu instid0(VALU_DEP_1) | instskip(SKIP_2) | instid1(SALU_CYCLE_1)
	v_mad_u32_u24 v2, v4, 56, v2
	s_add_nc_u64 s[8:9], s[8:9], s[10:11]
	s_lshl_b64 s[10:11], s[6:7], 1
	s_add_nc_u64 s[8:9], s[8:9], s[10:11]
	global_load_b32 v1, v0, s[8:9] scale_offset
	s_wait_loadcnt 0x0
	ds_store_b32 v2, v1
.LBB112_4:
	s_or_b32 exec_lo, exec_lo, s4
	s_load_b128 s[8:11], s[0:1], 0x68
	s_mul_i32 s4, s5, s15
	s_xor_b32 s3, s3, s18
	s_sub_co_i32 s4, s16, s4
	s_add_co_i32 s7, s5, 1
	s_wait_kmcnt 0x0
	s_sub_co_i32 s12, s4, s15
	s_cmp_ge_u32 s4, s15
	s_mov_b32 s18, -1
	s_cselect_b32 s5, s7, s5
	s_cselect_b32 s4, s12, s4
	s_add_co_i32 s12, s5, 1
	s_cmp_ge_u32 s4, s15
	s_load_b32 s7, s[0:1], 0x78
	s_cselect_b32 s4, s12, s5
	s_add_co_i32 s15, s31, -1
	s_xor_b32 s4, s4, s3
	s_wait_dscnt 0x0
	s_sub_co_i32 s3, s4, s3
	s_barrier_signal -1
	s_barrier_wait -1
	s_abs_i32 s12, s11
	s_delay_alu instid0(SALU_CYCLE_1) | instskip(NEXT) | instid1(SALU_CYCLE_3)
	s_cvt_f32_u32 s5, s12
                                        ; implicit-def: $sgpr33
	v_rcp_iflag_f32_e32 v1, s5
	v_nop
	s_delay_alu instid0(TRANS32_DEP_1) | instskip(SKIP_1) | instid1(SALU_CYCLE_3)
	v_readfirstlane_b32 s5, v1
	s_mul_f32 s4, s5, 0x4f7ffffe
	s_cvt_u32_f32 s16, s4
	s_sub_co_i32 s4, 0, s12
	s_delay_alu instid0(SALU_CYCLE_2)
	s_mul_i32 s5, s4, s16
	s_abs_i32 s4, s15
	s_mul_hi_u32 s17, s16, s5
	s_mov_b32 s5, 0
	s_add_co_i32 s16, s16, s17
	s_wait_kmcnt 0x0
	s_cmp_lt_i32 s7, 0
	s_mov_b32 s17, s5
	s_cbranch_scc0 .LBB112_6
; %bb.5:
	s_mul_i32 s18, s8, s22
	s_delay_alu instid0(SALU_CYCLE_1) | instskip(NEXT) | instid1(SALU_CYCLE_1)
	s_add_co_i32 s18, s3, s18
	s_mul_i32 s18, s18, s7
	s_delay_alu instid0(SALU_CYCLE_1)
	s_sub_co_i32 s33, 1, s18
	s_mov_b32 s18, s5
.LBB112_6:
	s_ashr_i32 s15, s15, 31
	s_ashr_i32 s34, s11, 31
	s_and_not1_b32 vcc_lo, exec_lo, s18
	s_mul_u64 s[24:25], s[4:5], s[16:17]
	s_cbranch_vccnz .LBB112_8
; %bb.7:
	s_mul_i32 s5, s29, s8
	s_delay_alu instid0(SALU_CYCLE_1) | instskip(NEXT) | instid1(SALU_CYCLE_1)
	s_add_co_i32 s2, s5, s2
	s_mul_i32 s2, s2, s7
	s_delay_alu instid0(SALU_CYCLE_1)
	s_add_co_i32 s33, s2, 1
.LBB112_8:
	s_load_b32 s2, s[0:1], 0x38
	s_mul_i32 s7, s25, s12
	s_xor_b32 s5, s15, s34
	s_sub_co_i32 s4, s4, s7
	s_add_co_i32 s8, s25, 1
	s_clause 0x1
	s_load_b64 s[18:19], s[0:1], 0x28
	s_load_b32 s7, s[0:1], 0x88
	v_dual_mov_b32 v12, 0xff7fffff :: v_dual_lshrrev_b32 v1, 5, v0
	v_lshrrev_b32_e32 v8, 3, v0
	v_mbcnt_lo_u32_b32 v9, -1, 0
	s_mul_i32 s14, s3, s14
	s_delay_alu instid0(VALU_DEP_3)
	v_lshlrev_b32_e32 v22, 3, v1
	s_wait_kmcnt 0x0
	s_mul_i32 s20, s2, s30
	s_sub_co_i32 s2, s4, s12
	s_ashr_i32 s21, s20, 31
	s_cmp_ge_u32 s4, s12
	s_cselect_b32 s8, s8, s25
	s_cselect_b32 s2, s2, s4
	s_add_co_i32 s4, s8, 1
	s_cmp_ge_u32 s2, s12
	s_cselect_b32 s2, s4, s8
	s_add_co_i32 s4, s31, 7
	s_delay_alu instid0(SALU_CYCLE_1) | instskip(NEXT) | instid1(SALU_CYCLE_1)
	s_ashr_i32 s8, s4, 31
	s_lshr_b32 s8, s8, 29
	s_delay_alu instid0(SALU_CYCLE_1) | instskip(NEXT) | instid1(SALU_CYCLE_1)
	s_add_co_i32 s4, s4, s8
	s_ashr_i32 s35, s4, 3
	s_xor_b32 s4, s2, s5
	v_cmp_gt_i32_e64 s2, s35, v1
	s_sub_co_i32 s8, s4, s5
	s_and_saveexec_b32 s11, s2
	s_cbranch_execz .LBB112_20
; %bb.9:
	s_load_b64 s[4:5], s[0:1], 0x10
	s_ashr_i32 s15, s14, 31
	s_sub_co_i32 s22, s8, s9
	s_ashr_i32 s25, s13, 31
	s_lshl_b64 s[38:39], s[14:15], 1
	s_cmp_neq_f32 s36, 0
	v_bfe_u32 v10, v0, 2, 3
	v_mov_b32_e32 v3, 0
	v_mul_u32_u24_e32 v11, 56, v4
	s_cselect_b32 vcc_lo, -1, 0
	s_abs_i32 s15, s10
	v_lshlrev_b32_e32 v2, 4, v10
	s_cvt_f32_u32 s3, s15
	v_subrev_nc_u32_e32 v7, s31, v10
	v_lshlrev_b32_e32 v6, 2, v0
	s_sub_co_i32 s26, 0, s15
	v_rcp_iflag_f32_e32 v5, s3
	v_cmp_eq_u32_e64 s3, 0, v4
	v_add_nc_u32_e32 v13, 1, v7
	v_mov_b32_e32 v15, 0xff7fffff
	s_wait_kmcnt 0x0
	s_add_nc_u64 s[4:5], s[4:5], s[38:39]
	v_dual_mov_b32 v18, v1 :: v_dual_bitop2_b32 v16, 2, v9 bitop3:0x14
	v_readfirstlane_b32 s24, v5
	v_add_nc_u64_e32 v[4:5], s[4:5], v[2:3]
	v_and_b32_e32 v2, 12, v6
	v_lshlrev_b32_e32 v6, 2, v10
	s_lshl_b64 s[4:5], s[20:21], 2
	s_mul_f32 s24, s24, 0x4f7ffffe
	s_add_nc_u64 s[4:5], s[18:19], s[4:5]
	v_xor_b32_e32 v17, 1, v9
	v_add_nc_u64_e32 v[4:5], v[4:5], v[2:3]
	v_and_b32_e32 v2, 0x7c, v8
	s_cvt_u32_f32 s37, s24
	v_lshl_or_b32 v12, v1, 5, v6
	s_mov_b32 s27, 0
	s_mov_b32 s24, s13
	v_add_nc_u64_e32 v[6:7], s[4:5], v[2:3]
	s_mul_i32 s26, s26, s37
	v_lshlrev_b32_e32 v2, 3, v1
	v_add_nc_u32_e32 v14, 0x100, v12
	v_mov_b32_e32 v12, 0xff7fffff
	s_mul_hi_u32 s4, s37, s26
	s_delay_alu instid0(SALU_CYCLE_1)
	s_add_co_i32 s26, s37, s4
	s_mov_b32 s37, s27
	s_branch .LBB112_12
.LBB112_10:                             ;   in Loop: Header=BB112_12 Depth=1
	s_or_b32 exec_lo, exec_lo, s38
.LBB112_11:                             ;   in Loop: Header=BB112_12 Depth=1
	s_delay_alu instid0(SALU_CYCLE_1) | instskip(SKIP_4) | instid1(VALU_DEP_4)
	s_or_b32 exec_lo, exec_lo, s5
	v_add_nc_u32_e32 v18, 4, v18
	v_add_nc_u64_e32 v[6:7], 16, v[6:7]
	v_add_nc_u32_e32 v2, 32, v2
	v_add_nc_u32_e32 v14, 0x80, v14
	v_cmp_le_i32_e64 s4, s35, v18
	s_or_b32 s37, s4, s37
	s_delay_alu instid0(SALU_CYCLE_1)
	s_and_not1_b32 exec_lo, exec_lo, s37
	s_cbranch_execz .LBB112_19
.LBB112_12:                             ; =>This Inner Loop Header: Depth=1
	s_wait_dscnt 0x0
	v_mul_u64_e32 v[20:21], s[16:17], v[2:3]
	s_delay_alu instid0(VALU_DEP_1) | instskip(NEXT) | instid1(VALU_DEP_1)
	v_mul_lo_u32 v19, v21, s12
	v_dual_add_nc_u32 v20, 1, v21 :: v_dual_sub_nc_u32 v19, v2, v19
	s_delay_alu instid0(VALU_DEP_1) | instskip(SKIP_1) | instid1(VALU_DEP_1)
	v_subrev_nc_u32_e32 v23, s12, v19
	v_cmp_le_u32_e64 s4, s12, v19
	v_dual_cndmask_b32 v20, v21, v20, s4 :: v_dual_cndmask_b32 v19, v19, v23, s4
	s_delay_alu instid0(VALU_DEP_1) | instskip(NEXT) | instid1(VALU_DEP_2)
	v_add_nc_u32_e32 v21, 1, v20
	v_cmp_le_u32_e64 s4, s12, v19
	s_delay_alu instid0(VALU_DEP_1) | instskip(NEXT) | instid1(VALU_DEP_1)
	v_dual_cndmask_b32 v19, v20, v21, s4 :: v_dual_mov_b32 v21, v3
	v_xor_b32_e32 v19, s34, v19
	s_delay_alu instid0(VALU_DEP_1) | instskip(NEXT) | instid1(VALU_DEP_1)
	v_subrev_nc_u32_e32 v19, s34, v19
	v_add_nc_u32_e32 v23, s33, v19
	v_cmp_ge_i32_e64 s5, s22, v19
	s_delay_alu instid0(VALU_DEP_2) | instskip(NEXT) | instid1(VALU_DEP_1)
	v_sub_nc_u32_e32 v20, 0, v23
	v_dual_ashrrev_i32 v23, 31, v23 :: v_dual_max_i32 v20, v23, v20
	s_delay_alu instid0(VALU_DEP_1) | instskip(NEXT) | instid1(VALU_DEP_1)
	v_mul_u64_e32 v[24:25], s[26:27], v[20:21]
	v_mul_lo_u32 v21, v25, s15
	s_delay_alu instid0(VALU_DEP_1) | instskip(NEXT) | instid1(VALU_DEP_1)
	v_sub_nc_u32_e32 v20, v20, v21
	v_subrev_nc_u32_e32 v21, s15, v20
	v_cmp_le_u32_e64 s4, s15, v20
	s_delay_alu instid0(VALU_DEP_1) | instskip(NEXT) | instid1(VALU_DEP_1)
	v_cndmask_b32_e64 v20, v20, v21, s4
	v_subrev_nc_u32_e32 v21, s15, v20
	v_cmp_le_u32_e64 s4, s15, v20
	s_delay_alu instid0(VALU_DEP_1) | instskip(NEXT) | instid1(VALU_DEP_1)
	v_cndmask_b32_e64 v20, v20, v21, s4
	v_xor_b32_e32 v20, v20, v23
	s_delay_alu instid0(VALU_DEP_1) | instskip(NEXT) | instid1(VALU_DEP_1)
	v_sub_nc_u32_e32 v20, v20, v23
	v_cmp_ne_u32_e64 s4, 0, v20
	s_and_b32 s4, s4, s5
	s_delay_alu instid0(SALU_CYCLE_1) | instskip(NEXT) | instid1(SALU_CYCLE_1)
	s_and_saveexec_b32 s5, s4
	s_xor_b32 s4, exec_lo, s5
	s_cbranch_execz .LBB112_16
; %bb.13:                               ;   in Loop: Header=BB112_12 Depth=1
	s_and_saveexec_b32 s5, s3
; %bb.14:                               ;   in Loop: Header=BB112_12 Depth=1
	ds_store_b32 v14, v15
; %bb.15:                               ;   in Loop: Header=BB112_12 Depth=1
	s_or_b32 exec_lo, exec_lo, s5
.LBB112_16:                             ;   in Loop: Header=BB112_12 Depth=1
	s_and_not1_saveexec_b32 s5, s4
	s_cbranch_execz .LBB112_11
; %bb.17:                               ;   in Loop: Header=BB112_12 Depth=1
	global_load_b32 v20, v[6:7], off
	v_cmp_gt_i32_e64 s4, 32, v16
	s_wait_loadcnt 0x0
	v_ashrrev_i32_e32 v21, 31, v20
	s_delay_alu instid0(VALU_DEP_1) | instskip(NEXT) | instid1(VALU_DEP_1)
	v_mul_u64_e32 v[20:21], s[24:25], v[20:21]
	v_lshl_add_u64 v[20:21], v[20:21], 1, v[4:5]
	s_clause 0xd
	global_load_b32 v19, v[20:21], off offset:128
	global_load_b32 v23, v[20:21], off
	global_load_b32 v32, v[20:21], off offset:256
	global_load_b32 v33, v[20:21], off offset:384
	;; [unrolled: 1-line block ×12, first 2 shown]
	ds_load_2addr_b64 v[24:27], v11 offset1:1
	ds_load_2addr_b64 v[28:31], v11 offset0:2 offset1:3
	s_wait_dscnt 0x1
	s_wait_xcnt 0x0
	v_lshlrev_b32_e32 v20, 16, v25
	v_and_b32_e32 v21, 0xffff0000, v25
	s_wait_loadcnt 0xd
	v_lshlrev_b32_e32 v25, 16, v19
	v_and_b32_e32 v19, 0xffff0000, v19
	s_delay_alu instid0(VALU_DEP_1) | instskip(SKIP_1) | instid1(VALU_DEP_1)
	v_dual_mul_f32 v19, v21, v19 :: v_dual_mul_f32 v20, v20, v25
	s_wait_loadcnt 0xc
	v_fma_mix_f32_bf16 v19, v24, v23, v19 op_sel:[1,1,0] op_sel_hi:[1,1,0]
	s_delay_alu instid0(VALU_DEP_2) | instskip(SKIP_1) | instid1(VALU_DEP_2)
	v_fma_mix_f32_bf16 v20, v24, v23, v20 op_sel_hi:[1,1,0]
	s_wait_loadcnt 0xb
	v_fma_mix_f32_bf16 v19, v26, v32, v19 op_sel:[1,1,0] op_sel_hi:[1,1,0]
	s_delay_alu instid0(VALU_DEP_2) | instskip(SKIP_1) | instid1(VALU_DEP_2)
	v_fma_mix_f32_bf16 v20, v26, v32, v20 op_sel_hi:[1,1,0]
	s_wait_loadcnt 0xa
	v_fma_mix_f32_bf16 v19, v27, v33, v19 op_sel:[1,1,0] op_sel_hi:[1,1,0]
	s_delay_alu instid0(VALU_DEP_2)
	v_fma_mix_f32_bf16 v20, v27, v33, v20 op_sel_hi:[1,1,0]
	ds_load_2addr_b64 v[24:27], v11 offset0:4 offset1:5
	s_wait_loadcnt_dscnt 0x901
	v_fma_mix_f32_bf16 v19, v28, v34, v19 op_sel:[1,1,0] op_sel_hi:[1,1,0]
	v_fma_mix_f32_bf16 v20, v28, v34, v20 op_sel_hi:[1,1,0]
	s_wait_loadcnt 0x8
	s_delay_alu instid0(VALU_DEP_2) | instskip(NEXT) | instid1(VALU_DEP_2)
	v_fma_mix_f32_bf16 v19, v29, v35, v19 op_sel:[1,1,0] op_sel_hi:[1,1,0]
	v_fma_mix_f32_bf16 v20, v29, v35, v20 op_sel_hi:[1,1,0]
	s_wait_loadcnt 0x7
	s_delay_alu instid0(VALU_DEP_2) | instskip(NEXT) | instid1(VALU_DEP_2)
	;; [unrolled: 4-line block ×3, first 2 shown]
	v_fma_mix_f32_bf16 v19, v31, v37, v19 op_sel:[1,1,0] op_sel_hi:[1,1,0]
	v_fma_mix_f32_bf16 v23, v31, v37, v20 op_sel_hi:[1,1,0]
	ds_load_b64 v[20:21], v11 offset:48
	s_wait_loadcnt_dscnt 0x501
	v_fma_mix_f32_bf16 v19, v24, v38, v19 op_sel:[1,1,0] op_sel_hi:[1,1,0]
	v_fma_mix_f32_bf16 v23, v24, v38, v23 op_sel_hi:[1,1,0]
	s_wait_loadcnt 0x4
	s_delay_alu instid0(VALU_DEP_2) | instskip(NEXT) | instid1(VALU_DEP_2)
	v_fma_mix_f32_bf16 v19, v25, v39, v19 op_sel:[1,1,0] op_sel_hi:[1,1,0]
	v_fma_mix_f32_bf16 v23, v25, v39, v23 op_sel_hi:[1,1,0]
	s_wait_loadcnt 0x3
	s_delay_alu instid0(VALU_DEP_2) | instskip(NEXT) | instid1(VALU_DEP_2)
	;; [unrolled: 4-line block ×3, first 2 shown]
	v_fma_mix_f32_bf16 v19, v27, v41, v19 op_sel:[1,1,0] op_sel_hi:[1,1,0]
	v_fma_mix_f32_bf16 v23, v27, v41, v23 op_sel_hi:[1,1,0]
	s_wait_loadcnt_dscnt 0x100
	s_delay_alu instid0(VALU_DEP_2) | instskip(NEXT) | instid1(VALU_DEP_2)
	v_fma_mix_f32_bf16 v19, v20, v42, v19 op_sel:[1,1,0] op_sel_hi:[1,1,0]
	v_fma_mix_f32_bf16 v23, v20, v42, v23 op_sel_hi:[1,1,0]
	v_cndmask_b32_e64 v20, v9, v16, s4
	v_cmp_gt_i32_e64 s4, 32, v17
	s_wait_loadcnt 0x0
	v_fma_mix_f32_bf16 v19, v21, v43, v19 op_sel:[1,1,0] op_sel_hi:[1,1,0]
	v_fma_mix_f32_bf16 v23, v21, v43, v23 op_sel_hi:[1,1,0]
	s_delay_alu instid0(VALU_DEP_3) | instskip(NEXT) | instid1(VALU_DEP_1)
	v_dual_cndmask_b32 v21, v9, v17, s4 :: v_dual_lshlrev_b32 v20, 2, v20
	v_dual_add_f32 v19, v23, v19 :: v_dual_lshlrev_b32 v21, 2, v21
	ds_bpermute_b32 v20, v20, v19
	s_wait_dscnt 0x0
	v_add_f32_e32 v19, v19, v20
	ds_bpermute_b32 v20, v21, v19
	s_and_saveexec_b32 s38, s3
	s_cbranch_execz .LBB112_10
; %bb.18:                               ;   in Loop: Header=BB112_12 Depth=1
	s_wait_dscnt 0x0
	v_dual_add_nc_u32 v21, v13, v2 :: v_dual_add_f32 v19, v19, v20
	s_delay_alu instid0(VALU_DEP_1) | instskip(NEXT) | instid1(VALU_DEP_1)
	v_cvt_f32_i32_e32 v21, v21
	v_mul_f32_e32 v21, s36, v21
	s_delay_alu instid0(VALU_DEP_1) | instskip(NEXT) | instid1(VALU_DEP_1)
	v_dual_cndmask_b32 v20, 0, v21 :: v_dual_max_num_f32 v21, v12, v12
	v_dual_fmac_f32 v20, s23, v19 :: v_dual_add_nc_u32 v19, v10, v2
	s_delay_alu instid0(VALU_DEP_1) | instskip(NEXT) | instid1(VALU_DEP_2)
	v_max_num_f32_e32 v21, v21, v20
	v_cmp_gt_i32_e64 s4, s31, v19
	s_delay_alu instid0(VALU_DEP_1)
	v_dual_cndmask_b32 v19, 0, v20, s4 :: v_dual_cndmask_b32 v12, v12, v21, s4
	ds_store_b32 v14, v19
	s_branch .LBB112_10
.LBB112_19:
	s_or_b32 exec_lo, exec_lo, s37
.LBB112_20:
	s_delay_alu instid0(SALU_CYCLE_1)
	s_or_b32 exec_lo, exec_lo, s11
	v_dual_max_num_f32 v5, v12, v12 :: v_dual_bitop2_b32 v2, 16, v9 bitop3:0x14
	s_clause 0x1
	s_load_b64 s[4:5], s[0:1], 0x0
	s_load_b64 s[22:23], s[0:1], 0x18
	v_and_b32_e32 v34, 31, v0
	v_xor_b32_e32 v4, 8, v9
	v_cmp_gt_i32_e32 vcc_lo, 32, v2
	v_cndmask_b32_e32 v2, v9, v2, vcc_lo
	s_delay_alu instid0(VALU_DEP_3) | instskip(NEXT) | instid1(VALU_DEP_2)
	v_cmp_gt_i32_e32 vcc_lo, 32, v4
	v_dual_lshlrev_b32 v2, 2, v2 :: v_dual_cndmask_b32 v4, v9, v4, vcc_lo
	ds_bpermute_b32 v3, v2, v12
	s_wait_dscnt 0x0
	v_dual_max_num_f32 v6, v3, v3 :: v_dual_lshlrev_b32 v3, 2, v4
	s_delay_alu instid0(VALU_DEP_1) | instskip(SKIP_4) | instid1(VALU_DEP_1)
	v_dual_max_num_f32 v4, v5, v6 :: v_dual_bitop2_b32 v6, 4, v9 bitop3:0x14
	ds_bpermute_b32 v5, v3, v4
	v_cmp_gt_i32_e32 vcc_lo, 32, v6
	v_cndmask_b32_e32 v6, v9, v6, vcc_lo
	s_wait_dscnt 0x0
	v_dual_max_num_f32 v5, v5, v5 :: v_dual_lshlrev_b32 v6, 2, v6
	s_delay_alu instid0(VALU_DEP_1)
	v_max_num_f32_e32 v5, v4, v5
	v_lshlrev_b32_e32 v4, 2, v1
	v_cmp_eq_u32_e32 vcc_lo, 0, v34
	ds_bpermute_b32 v7, v6, v5
	s_wait_xcnt 0x0
	s_and_saveexec_b32 s0, vcc_lo
	s_cbranch_execz .LBB112_22
; %bb.21:
	s_wait_dscnt 0x0
	v_dual_max_num_f32 v7, v7, v7 :: v_dual_max_num_f32 v5, v5, v5
	s_delay_alu instid0(VALU_DEP_1)
	v_max_num_f32_e32 v5, v5, v7
	ds_store_b32 v4, v5 offset:224
.LBB112_22:
	s_or_b32 exec_lo, exec_lo, s0
	v_cmp_gt_u32_e64 s0, 4, v34
	v_dual_mov_b32 v10, 0xff7fffff :: v_dual_lshlrev_b32 v5, 2, v34
	s_wait_dscnt 0x0
	s_barrier_signal -1
	s_barrier_wait -1
	s_and_saveexec_b32 s1, s0
; %bb.23:
	ds_load_b32 v10, v5 offset:224
; %bb.24:
	s_or_b32 exec_lo, exec_lo, s1
	v_xor_b32_e32 v7, 2, v9
	v_lshl_add_u32 v35, v0, 2, 0x100
	v_xor_b32_e32 v12, 1, v9
	s_delay_alu instid0(VALU_DEP_3) | instskip(NEXT) | instid1(VALU_DEP_1)
	v_cmp_gt_i32_e64 s1, 32, v7
	v_cndmask_b32_e64 v7, v9, v7, s1
	s_delay_alu instid0(VALU_DEP_3) | instskip(NEXT) | instid1(VALU_DEP_1)
	v_cmp_gt_i32_e64 s1, 32, v12
	v_dual_lshlrev_b32 v7, 2, v7 :: v_dual_cndmask_b32 v9, v9, v12, s1
	s_lshl_b32 s1, s35, 3
	s_delay_alu instid0(SALU_CYCLE_1)
	s_min_i32 s11, s1, s31
	s_wait_dscnt 0x0
	ds_bpermute_b32 v11, v7, v10
	v_max_num_f32_e32 v10, v10, v10
	v_cmp_gt_i32_e64 s1, s11, v0
	s_wait_dscnt 0x0
	v_dual_lshlrev_b32 v9, 2, v9 :: v_dual_max_num_f32 v11, v11, v11
	s_delay_alu instid0(VALU_DEP_1) | instskip(SKIP_3) | instid1(VALU_DEP_1)
	v_max_num_f32_e32 v10, v10, v11
	ds_bpermute_b32 v11, v9, v10
	s_wait_dscnt 0x0
	v_max_num_f32_e32 v11, v11, v11
	v_dual_max_num_f32 v11, v10, v11 :: v_dual_mov_b32 v10, 0
	ds_bpermute_b32 v11, v10, v11
	s_and_saveexec_b32 s15, s1
	s_cbranch_execz .LBB112_28
; %bb.25:
	v_lshl_add_u32 v12, v0, 2, 0x100
	v_dual_mov_b32 v10, 0 :: v_dual_mov_b32 v13, v0
	s_mov_b32 s24, 0
.LBB112_26:                             ; =>This Inner Loop Header: Depth=1
	ds_load_b32 v14, v12
	v_add_nc_u32_e32 v13, 0x80, v13
	s_delay_alu instid0(VALU_DEP_1) | instskip(SKIP_3) | instid1(VALU_DEP_1)
	v_cmp_le_i32_e64 s3, s11, v13
	s_or_b32 s24, s3, s24
	s_wait_dscnt 0x0
	v_sub_f32_e32 v14, v14, v11
	v_mul_f32_e32 v14, 0x3fb8aa3b, v14
	s_delay_alu instid0(VALU_DEP_1)
	v_exp_f32_e32 v14, v14
	ds_store_b32 v12, v14
	v_nop
	v_add_f32_e32 v10, v10, v14
	v_add_nc_u32_e32 v12, 0x200, v12
	s_and_not1_b32 exec_lo, exec_lo, s24
	s_cbranch_execnz .LBB112_26
; %bb.27:
	s_or_b32 exec_lo, exec_lo, s24
.LBB112_28:
	s_delay_alu instid0(SALU_CYCLE_1)
	s_or_b32 exec_lo, exec_lo, s15
	ds_bpermute_b32 v2, v2, v10
	s_wait_dscnt 0x0
	v_add_f32_e32 v2, v10, v2
	ds_bpermute_b32 v3, v3, v2
	s_wait_dscnt 0x0
	v_add_f32_e32 v2, v2, v3
	;; [unrolled: 3-line block ×5, first 2 shown]
	s_and_saveexec_b32 s3, vcc_lo
; %bb.29:
	ds_store_b32 v4, v2 offset:240
; %bb.30:
	s_or_b32 exec_lo, exec_lo, s3
	s_wait_dscnt 0x0
	s_barrier_signal -1
	s_barrier_wait -1
	s_and_saveexec_b32 s3, s0
; %bb.31:
	ds_load_b32 v2, v5 offset:240
; %bb.32:
	s_or_b32 exec_lo, exec_lo, s3
	s_wait_dscnt 0x0
	ds_bpermute_b32 v3, v7, v2
	s_wait_dscnt 0x0
	v_dual_mov_b32 v36, 0 :: v_dual_add_f32 v2, v2, v3
	ds_bpermute_b32 v3, v9, v2
	s_wait_dscnt 0x0
	v_add_f32_e32 v2, v2, v3
	ds_bpermute_b32 v2, v36, v2
	s_and_saveexec_b32 s0, s1
	s_cbranch_execz .LBB112_45
; %bb.33:
	s_wait_dscnt 0x0
	v_add_f32_e32 v2, 0x358637bd, v2
	s_mov_b32 s3, -1
	s_mov_b32 s1, exec_lo
	s_delay_alu instid0(VALU_DEP_1) | instskip(NEXT) | instid1(VALU_DEP_1)
	v_div_scale_f32 v3, null, v2, v2, 1.0
	v_rcp_f32_e32 v5, v3
	v_nop
	s_delay_alu instid0(TRANS32_DEP_1) | instskip(NEXT) | instid1(VALU_DEP_1)
	v_fma_f32 v4, -v3, v5, 1.0
	v_fmac_f32_e32 v5, v4, v5
	v_div_scale_f32 v6, vcc_lo, 1.0, v2, 1.0
	s_delay_alu instid0(VALU_DEP_1) | instskip(NEXT) | instid1(VALU_DEP_1)
	v_mul_f32_e32 v7, v6, v5
	v_fma_f32 v4, -v3, v7, v6
	s_delay_alu instid0(VALU_DEP_1) | instskip(SKIP_1) | instid1(VALU_DEP_2)
	v_fmac_f32_e32 v7, v4, v5
	v_xad_u32 v4, v0, -1, s11
	v_fma_f32 v3, -v3, v7, v6
	s_delay_alu instid0(VALU_DEP_1) | instskip(NEXT) | instid1(VALU_DEP_1)
	v_div_fmas_f32 v3, v3, v5, v7
	v_div_fixup_f32 v2, v3, v2, 1.0
	v_mov_b32_e32 v3, v0
	v_cmpx_lt_u32_e32 0x7f, v4
	s_cbranch_execz .LBB112_42
; %bb.34:
	s_delay_alu instid0(VALU_DEP_3) | instskip(NEXT) | instid1(VALU_DEP_1)
	v_dual_mov_b32 v3, v2 :: v_dual_lshrrev_b32 v4, 7, v4
	v_dual_mov_b32 v9, 0 :: v_dual_add_nc_u32 v5, -1, v4
	s_delay_alu instid0(VALU_DEP_1) | instskip(SKIP_1) | instid1(VALU_DEP_2)
	v_lshrrev_b32_e32 v6, 1, v5
	v_cmp_lt_u32_e32 vcc_lo, 13, v5
	v_add_nc_u32_e32 v5, 1, v6
	s_and_saveexec_b32 s3, vcc_lo
	s_cbranch_execz .LBB112_38
; %bb.35:
	s_delay_alu instid0(VALU_DEP_1)
	v_dual_mov_b32 v7, v35 :: v_dual_bitop2_b32 v6, -8, v5 bitop3:0x40
	s_mov_b32 s15, 0
	s_mov_b32 s24, 0
.LBB112_36:                             ; =>This Inner Loop Header: Depth=1
	ds_load_2addr_stride64_b32 v[10:11], v7 offset1:2
	ds_load_2addr_stride64_b32 v[12:13], v7 offset0:4 offset1:6
	ds_load_2addr_stride64_b32 v[14:15], v7 offset0:8 offset1:10
	;; [unrolled: 1-line block ×7, first 2 shown]
	s_add_co_i32 s24, s24, 16
	s_delay_alu instid0(SALU_CYCLE_1) | instskip(NEXT) | instid1(VALU_DEP_1)
	v_dual_mov_b32 v9, s24 :: v_dual_add_nc_u32 v6, -8, v6
	v_cmp_eq_u32_e32 vcc_lo, 0, v6
	s_or_b32 s15, vcc_lo, s15
	s_wait_dscnt 0x7
	v_pk_mul_f32 v[10:11], v[2:3], v[10:11]
	s_wait_dscnt 0x6
	v_pk_mul_f32 v[12:13], v[2:3], v[12:13]
	;; [unrolled: 2-line block ×8, first 2 shown]
	ds_store_2addr_stride64_b32 v7, v10, v11 offset1:2
	ds_store_2addr_stride64_b32 v7, v12, v13 offset0:4 offset1:6
	ds_store_2addr_stride64_b32 v7, v14, v15 offset0:8 offset1:10
	;; [unrolled: 1-line block ×7, first 2 shown]
	v_add_nc_u32_e32 v7, 0x2000, v7
	s_and_not1_b32 exec_lo, exec_lo, s15
	s_cbranch_execnz .LBB112_36
; %bb.37:
	s_or_b32 exec_lo, exec_lo, s15
.LBB112_38:
	s_delay_alu instid0(SALU_CYCLE_1) | instskip(NEXT) | instid1(VALU_DEP_1)
	s_or_b32 exec_lo, exec_lo, s3
	v_and_b32_e32 v5, 7, v5
	s_mov_b32 s15, 0
	s_mov_b32 s3, exec_lo
	s_delay_alu instid0(VALU_DEP_1)
	v_cmpx_ne_u32_e32 0, v5
	s_cbranch_execz .LBB112_41
; %bb.39:
	v_dual_lshlrev_b32 v6, 9, v9 :: v_dual_lshlrev_b32 v7, 2, v0
	s_delay_alu instid0(VALU_DEP_1)
	v_add3_u32 v6, v6, v7, 0x100
.LBB112_40:                             ; =>This Inner Loop Header: Depth=1
	ds_load_2addr_stride64_b32 v[10:11], v6 offset1:2
	v_add_nc_u32_e32 v5, -1, v5
	s_delay_alu instid0(VALU_DEP_1)
	v_cmp_eq_u32_e32 vcc_lo, 0, v5
	s_or_b32 s15, vcc_lo, s15
	s_wait_dscnt 0x0
	v_pk_mul_f32 v[10:11], v[2:3], v[10:11]
	ds_store_2addr_stride64_b32 v6, v10, v11 offset1:2
	v_add_nc_u32_e32 v6, 0x400, v6
	s_and_not1_b32 exec_lo, exec_lo, s15
	s_cbranch_execnz .LBB112_40
.LBB112_41:
	s_or_b32 exec_lo, exec_lo, s3
	v_add_nc_u32_e32 v3, 1, v4
	s_delay_alu instid0(VALU_DEP_1) | instskip(NEXT) | instid1(VALU_DEP_1)
	v_and_b32_e32 v4, 0x3fffffe, v3
	v_cmp_ne_u32_e32 vcc_lo, v3, v4
	v_lshl_add_u32 v3, v4, 7, v0
	s_or_not1_b32 s3, vcc_lo, exec_lo
.LBB112_42:
	s_or_b32 exec_lo, exec_lo, s1
	s_delay_alu instid0(SALU_CYCLE_1)
	s_and_b32 exec_lo, exec_lo, s3
	s_cbranch_execz .LBB112_45
; %bb.43:
	v_lshl_add_u32 v4, v3, 2, 0x100
	s_mov_b32 s1, 0
.LBB112_44:                             ; =>This Inner Loop Header: Depth=1
	ds_load_b32 v5, v4
	v_add_nc_u32_e32 v3, 0x80, v3
	s_delay_alu instid0(VALU_DEP_1)
	v_cmp_le_i32_e32 vcc_lo, s11, v3
	s_or_b32 s1, vcc_lo, s1
	s_wait_dscnt 0x0
	v_mul_f32_e32 v5, v2, v5
	ds_store_b32 v4, v5
	v_add_nc_u32_e32 v4, 0x200, v4
	s_and_not1_b32 exec_lo, exec_lo, s1
	s_cbranch_execnz .LBB112_44
.LBB112_45:
	s_or_b32 exec_lo, exec_lo, s0
	v_mov_b64_e32 v[24:25], 0
	v_mov_b32_e32 v37, 0
	s_wait_dscnt 0x0
	s_barrier_signal -1
	s_barrier_wait -1
	s_and_saveexec_b32 s24, s2
	s_cbranch_execz .LBB112_61
; %bb.46:
	s_abs_i32 s25, s10
	s_sub_co_i32 s26, s8, s9
	s_cvt_f32_u32 s0, s25
	v_dual_mov_b32 v23, 0 :: v_dual_lshlrev_b32 v2, 3, v34
	v_or_b32_e32 v6, 0x60, v34
	s_delay_alu instid0(SALU_CYCLE_1)
	v_rcp_iflag_f32_e32 v3, s0
	v_and_b32_e32 v4, 0x7c, v8
	s_lshl_b64 s[0:1], s[20:21], 2
	v_mov_b32_e32 v5, v23
	s_ashr_i32 s15, s14, 31
	v_cmp_gt_u32_e32 vcc_lo, 0x70, v6
	v_lshlrev_b32_e32 v6, 3, v6
	v_readfirstlane_b32 s8, v3
	s_add_nc_u64 s[0:1], s[18:19], s[0:1]
	s_lshl_b64 s[10:11], s[14:15], 1
	s_sub_co_i32 s14, 0, s25
	v_mov_b64_e32 v[24:25], 0
	s_mul_f32 s8, s8, 0x4f7ffffe
	v_add_nc_u64_e32 v[26:27], s[0:1], v[4:5]
	v_lshl_add_u32 v38, v1, 5, 0x100
	v_dual_mov_b32 v37, v23 :: v_dual_lshlrev_b32 v28, 1, v2
	s_cvt_u32_f32 s8, s8
	v_dual_lshlrev_b32 v30, 1, v6 :: v_dual_mov_b32 v36, v23
	v_mov_b32_e32 v39, v1
	s_delay_alu instid0(SALU_CYCLE_1)
	s_mul_i32 s14, s14, s8
	s_mov_b32 s9, 0
	s_mul_hi_u32 s0, s8, s14
	s_ashr_i32 s3, s13, 31
	s_mov_b32 s2, s13
	s_add_co_i32 s13, s35, -1
	s_wait_kmcnt 0x0
	s_add_nc_u64 s[10:11], s[22:23], s[10:11]
	s_mov_b32 s14, s31
	s_add_co_i32 s8, s8, s0
	s_mov_b32 s15, s9
	s_branch .LBB112_50
.LBB112_47:                             ;   in Loop: Header=BB112_50 Depth=1
	s_or_b32 exec_lo, exec_lo, s19
	s_wait_loadcnt 0x0
	v_pk_mul_bf16 v14, v29, v14
	v_pk_mul_bf16 v15, v20, v15
	;; [unrolled: 1-line block ×4, first 2 shown]
	s_delay_alu instid0(VALU_DEP_3) | instskip(SKIP_4) | instid1(VALU_DEP_3)
	v_dual_lshlrev_b32 v21, 16, v14 :: v_dual_lshlrev_b32 v31, 16, v15
	v_and_b32_e32 v14, 0xffff0000, v14
	v_and_b32_e32 v15, 0xffff0000, v15
	v_lshlrev_b32_e32 v32, 16, v16
	v_and_b32_e32 v16, 0xffff0000, v16
	v_dual_add_f32 v14, v14, v21 :: v_dual_add_f32 v15, v15, v31
	s_delay_alu instid0(VALU_DEP_2) | instskip(NEXT) | instid1(VALU_DEP_2)
	v_dual_add_f32 v16, v16, v32 :: v_dual_lshlrev_b32 v21, 16, v17
	v_add_f32_e32 v14, v15, v14
	v_and_b32_e32 v15, 0xffff0000, v17
	s_delay_alu instid0(VALU_DEP_1) | instskip(NEXT) | instid1(VALU_DEP_1)
	v_dual_add_f32 v14, v16, v14 :: v_dual_add_f32 v15, v15, v21
	v_add_f32_e32 v14, v15, v14
	s_delay_alu instid0(VALU_DEP_1)
	v_add_f32_e32 v37, v37, v14
.LBB112_48:                             ;   in Loop: Header=BB112_50 Depth=1
	s_or_b32 exec_lo, exec_lo, s1
	s_wait_loadcnt 0x1
	v_pk_mul_bf16 v6, v29, v6
	v_pk_mul_bf16 v7, v20, v7
	;; [unrolled: 1-line block ×5, first 2 shown]
	s_delay_alu instid0(VALU_DEP_4)
	v_dual_lshlrev_b32 v14, 16, v6 :: v_dual_lshlrev_b32 v15, 16, v7
	v_and_b32_e32 v6, 0xffff0000, v6
	v_and_b32_e32 v7, 0xffff0000, v7
	v_lshlrev_b32_e32 v16, 16, v8
	v_and_b32_e32 v8, 0xffff0000, v8
	v_pk_mul_bf16 v9, v18, v9
	s_delay_alu instid0(VALU_DEP_4) | instskip(NEXT) | instid1(VALU_DEP_3)
	v_dual_add_f32 v6, v14, v6 :: v_dual_add_f32 v7, v15, v7
	v_dual_lshlrev_b32 v14, 16, v2 :: v_dual_add_f32 v8, v16, v8
	v_and_b32_e32 v2, 0xffff0000, v2
	v_pk_mul_bf16 v4, v19, v4
	s_delay_alu instid0(VALU_DEP_4) | instskip(SKIP_2) | instid1(VALU_DEP_3)
	v_dual_add_f32 v6, v7, v6 :: v_dual_lshlrev_b32 v7, 16, v3
	v_and_b32_e32 v3, 0xffff0000, v3
	v_pk_mul_bf16 v5, v18, v5
	v_add_f32_e32 v6, v8, v6
	s_delay_alu instid0(VALU_DEP_3) | instskip(SKIP_2) | instid1(VALU_DEP_3)
	v_dual_add_f32 v2, v14, v2 :: v_dual_add_f32 v3, v7, v3
	v_lshlrev_b32_e32 v7, 16, v9
	v_and_b32_e32 v8, 0xffff0000, v9
	v_add_f32_e32 v2, v3, v2
	s_wait_loadcnt 0x0
	v_pk_mul_bf16 v3, v29, v10
	v_pk_mul_bf16 v10, v20, v11
	v_lshlrev_b32_e32 v9, 16, v4
	v_and_b32_e32 v4, 0xffff0000, v4
	v_pk_mul_bf16 v11, v19, v12
	v_lshlrev_b32_e32 v12, 16, v3
	v_and_b32_e32 v3, 0xffff0000, v3
	s_delay_alu instid0(VALU_DEP_4) | instskip(SKIP_2) | instid1(VALU_DEP_4)
	v_dual_lshlrev_b32 v14, 16, v10 :: v_dual_add_f32 v4, v9, v4
	v_and_b32_e32 v10, 0xffff0000, v10
	v_pk_mul_bf16 v9, v18, v13
	v_dual_lshlrev_b32 v13, 16, v11 :: v_dual_add_f32 v3, v3, v12
	v_and_b32_e32 v11, 0xffff0000, v11
	s_delay_alu instid0(VALU_DEP_4) | instskip(SKIP_3) | instid1(VALU_DEP_4)
	v_dual_add_f32 v10, v10, v14 :: v_dual_lshlrev_b32 v12, 16, v5
	v_and_b32_e32 v5, 0xffff0000, v5
	v_lshlrev_b32_e32 v14, 16, v9
	v_and_b32_e32 v9, 0xffff0000, v9
	v_dual_add_f32 v3, v10, v3 :: v_dual_add_f32 v10, v11, v13
	v_dual_add_f32 v2, v4, v2 :: v_dual_add_f32 v7, v7, v8
	s_delay_alu instid0(VALU_DEP_3) | instskip(NEXT) | instid1(VALU_DEP_2)
	v_dual_add_f32 v4, v12, v5 :: v_dual_add_f32 v5, v9, v14
	v_dual_add_f32 v3, v10, v3 :: v_dual_add_f32 v6, v7, v6
	s_delay_alu instid0(VALU_DEP_1) | instskip(NEXT) | instid1(VALU_DEP_2)
	v_dual_add_f32 v2, v4, v2 :: v_dual_add_f32 v3, v5, v3
	v_add_f32_e32 v25, v25, v6
	s_delay_alu instid0(VALU_DEP_2) | instskip(NEXT) | instid1(VALU_DEP_3)
	v_add_f32_e32 v24, v24, v2
	v_add_f32_e32 v36, v36, v3
.LBB112_49:                             ;   in Loop: Header=BB112_50 Depth=1
	s_or_b32 exec_lo, exec_lo, s18
	v_dual_add_nc_u32 v39, 4, v39 :: v_dual_add_nc_u32 v22, 32, v22
	v_add_nc_u64_e32 v[26:27], 16, v[26:27]
	v_add_nc_u32_e32 v38, 0x80, v38
	s_delay_alu instid0(VALU_DEP_3) | instskip(SKIP_1) | instid1(SALU_CYCLE_1)
	v_cmp_le_i32_e64 s0, s35, v39
	s_or_b32 s15, s0, s15
	s_and_not1_b32 exec_lo, exec_lo, s15
	s_cbranch_execz .LBB112_60
.LBB112_50:                             ; =>This Inner Loop Header: Depth=1
	v_mul_u64_e32 v[2:3], s[16:17], v[22:23]
	s_delay_alu instid0(VALU_DEP_1) | instskip(NEXT) | instid1(VALU_DEP_1)
	v_mul_lo_u32 v2, v3, s12
	v_dual_add_nc_u32 v4, 1, v3 :: v_dual_sub_nc_u32 v2, v22, v2
	s_delay_alu instid0(VALU_DEP_1) | instskip(SKIP_1) | instid1(VALU_DEP_1)
	v_subrev_nc_u32_e32 v5, s12, v2
	v_cmp_le_u32_e64 s0, s12, v2
	v_dual_cndmask_b32 v3, v3, v4, s0 :: v_dual_cndmask_b32 v2, v2, v5, s0
	s_delay_alu instid0(VALU_DEP_1) | instskip(NEXT) | instid1(VALU_DEP_2)
	v_add_nc_u32_e32 v4, 1, v3
	v_cmp_le_u32_e64 s0, s12, v2
	s_delay_alu instid0(VALU_DEP_1) | instskip(NEXT) | instid1(VALU_DEP_1)
	v_cndmask_b32_e64 v2, v3, v4, s0
	v_dual_mov_b32 v3, v23 :: v_dual_bitop2_b32 v2, s34, v2 bitop3:0x14
	s_delay_alu instid0(VALU_DEP_1) | instskip(NEXT) | instid1(VALU_DEP_1)
	v_subrev_nc_u32_e32 v6, s34, v2
	v_add_nc_u32_e32 v7, s33, v6
	v_cmp_lt_i32_e64 s1, s26, v6
	s_delay_alu instid0(VALU_DEP_2) | instskip(NEXT) | instid1(VALU_DEP_1)
	v_sub_nc_u32_e32 v2, 0, v7
	v_max_i32_e32 v2, v7, v2
	s_delay_alu instid0(VALU_DEP_1) | instskip(SKIP_1) | instid1(VALU_DEP_2)
	v_mul_u64_e32 v[4:5], s[8:9], v[2:3]
	v_ashrrev_i32_e32 v4, 31, v7
	v_mul_lo_u32 v3, v5, s25
	s_delay_alu instid0(VALU_DEP_1) | instskip(NEXT) | instid1(VALU_DEP_1)
	v_sub_nc_u32_e32 v2, v2, v3
	v_subrev_nc_u32_e32 v3, s25, v2
	v_cmp_le_u32_e64 s0, s25, v2
	s_delay_alu instid0(VALU_DEP_1) | instskip(NEXT) | instid1(VALU_DEP_1)
	v_cndmask_b32_e64 v2, v2, v3, s0
	v_subrev_nc_u32_e32 v3, s25, v2
	v_cmp_le_u32_e64 s0, s25, v2
	s_delay_alu instid0(VALU_DEP_1) | instskip(NEXT) | instid1(VALU_DEP_1)
	v_cndmask_b32_e64 v2, v2, v3, s0
	v_xor_b32_e32 v2, v2, v4
	s_delay_alu instid0(VALU_DEP_1) | instskip(NEXT) | instid1(VALU_DEP_1)
	v_sub_nc_u32_e32 v2, v2, v4
	v_cmp_eq_u32_e64 s0, 0, v2
	s_or_b32 s0, s0, s1
	s_delay_alu instid0(SALU_CYCLE_1)
	s_and_saveexec_b32 s18, s0
	s_cbranch_execz .LBB112_49
; %bb.51:                               ;   in Loop: Header=BB112_50 Depth=1
	global_load_b32 v2, v[26:27], off
	v_cmp_eq_u32_e64 s0, s13, v39
	s_wait_loadcnt 0x0
	v_dual_mov_b32 v29, v23 :: v_dual_ashrrev_i32 v3, 31, v2
	s_delay_alu instid0(VALU_DEP_1) | instskip(NEXT) | instid1(VALU_DEP_1)
	v_mul_u64_e32 v[2:3], s[2:3], v[2:3]
	v_lshl_add_u64 v[32:33], v[2:3], 1, s[10:11]
	s_delay_alu instid0(VALU_DEP_1)
	v_add_nc_u64_e32 v[10:11], v[32:33], v[28:29]
	global_load_b128 v[2:5], v[10:11], off
	ds_load_2addr_b64 v[18:21], v38 offset1:1
	ds_load_2addr_b64 v[14:17], v38 offset0:2 offset1:3
	s_wait_xcnt 0x0
	s_and_saveexec_b32 s19, s0
	s_cbranch_execnz .LBB112_58
; %bb.52:                               ;   in Loop: Header=BB112_50 Depth=1
	s_or_b32 exec_lo, exec_lo, s19
	global_load_b128 v[6:9], v[10:11], off offset:512
	s_wait_xcnt 0x0
	s_and_saveexec_b32 s19, s0
	s_cbranch_execnz .LBB112_59
.LBB112_53:                             ;   in Loop: Header=BB112_50 Depth=1
	s_or_b32 exec_lo, exec_lo, s19
	global_load_b128 v[10:13], v[10:11], off offset:1024
	s_wait_xcnt 0x0
	s_and_saveexec_b32 s19, s0
	s_cbranch_execz .LBB112_55
.LBB112_54:                             ;   in Loop: Header=BB112_50 Depth=1
	v_dual_add_nc_u32 v29, 1, v22 :: v_dual_bitop2_b32 v40, 2, v22 bitop3:0x54
	s_wait_loadcnt 0x0
	v_dual_lshrrev_b32 v31, 16, v10 :: v_dual_lshrrev_b32 v41, 16, v11
	v_or_b32_e32 v42, 4, v22
	s_delay_alu instid0(VALU_DEP_3) | instskip(SKIP_1) | instid1(VALU_DEP_2)
	v_cmp_gt_i32_e64 s1, s14, v29
	v_dual_lshrrev_b32 v44, 16, v13 :: v_dual_bitop2_b32 v43, 7, v22 bitop3:0x54
	v_dual_cndmask_b32 v29, 0, v31, s1 :: v_dual_bitop2_b32 v31, 3, v22 bitop3:0x54
	v_cmp_gt_i32_e64 s1, s31, v22
	s_delay_alu instid0(VALU_DEP_1) | instskip(SKIP_1) | instid1(VALU_DEP_2)
	v_cndmask_b32_e64 v10, 0, v10, s1
	v_cmp_gt_i32_e64 s1, s31, v40
	v_perm_b32 v10, v29, v10, 0x5040100
	s_delay_alu instid0(VALU_DEP_2) | instskip(SKIP_1) | instid1(VALU_DEP_1)
	v_cndmask_b32_e64 v11, 0, v11, s1
	v_cmp_gt_i32_e64 s1, s14, v31
	v_cndmask_b32_e64 v31, 0, v41, s1
	v_cmp_gt_i32_e64 s1, s31, v42
	v_or_b32_e32 v40, 5, v22
	v_or_b32_e32 v42, 6, v22
	s_delay_alu instid0(VALU_DEP_4) | instskip(NEXT) | instid1(VALU_DEP_4)
	v_perm_b32 v11, v31, v11, 0x5040100
	v_dual_cndmask_b32 v41, 0, v12, s1 :: v_dual_lshrrev_b32 v12, 16, v12
	s_delay_alu instid0(VALU_DEP_4) | instskip(NEXT) | instid1(VALU_DEP_1)
	v_cmp_gt_i32_e64 s1, s14, v40
	v_cndmask_b32_e64 v12, 0, v12, s1
	v_cmp_gt_i32_e64 s1, s31, v42
	s_delay_alu instid0(VALU_DEP_1) | instskip(SKIP_1) | instid1(VALU_DEP_4)
	v_cndmask_b32_e64 v13, 0, v13, s1
	v_cmp_gt_i32_e64 s1, s14, v43
	v_perm_b32 v12, v12, v41, 0x5040100
	s_delay_alu instid0(VALU_DEP_2) | instskip(NEXT) | instid1(VALU_DEP_1)
	v_cndmask_b32_e64 v40, 0, v44, s1
	v_perm_b32 v13, v40, v13, 0x5040100
.LBB112_55:                             ;   in Loop: Header=BB112_50 Depth=1
	s_or_b32 exec_lo, exec_lo, s19
	s_wait_dscnt 0x1
	v_cvt_pk_bf16_f32 v29, v18, v19
	v_cvt_pk_bf16_f32 v20, v20, v21
	s_wait_dscnt 0x0
	v_cvt_pk_bf16_f32 v19, v14, v15
	v_cvt_pk_bf16_f32 v18, v16, v17
	s_and_saveexec_b32 s1, vcc_lo
	s_cbranch_execz .LBB112_48
; %bb.56:                               ;   in Loop: Header=BB112_50 Depth=1
	v_mov_b32_e32 v31, v23
	s_delay_alu instid0(VALU_DEP_1)
	v_add_nc_u64_e32 v[14:15], v[32:33], v[30:31]
	global_load_b128 v[14:17], v[14:15], off
	s_wait_xcnt 0x0
	s_and_saveexec_b32 s19, s0
	s_cbranch_execz .LBB112_47
; %bb.57:                               ;   in Loop: Header=BB112_50 Depth=1
	v_dual_add_nc_u32 v21, 1, v22 :: v_dual_bitop2_b32 v32, 2, v22 bitop3:0x54
	s_wait_loadcnt 0x0
	v_dual_lshrrev_b32 v31, 16, v14 :: v_dual_lshrrev_b32 v33, 16, v15
	v_or_b32_e32 v40, 4, v22
	s_delay_alu instid0(VALU_DEP_3) | instskip(SKIP_1) | instid1(VALU_DEP_2)
	v_cmp_gt_i32_e64 s0, s14, v21
	v_dual_lshrrev_b32 v42, 16, v17 :: v_dual_bitop2_b32 v41, 7, v22 bitop3:0x54
	v_dual_cndmask_b32 v21, 0, v31, s0 :: v_dual_bitop2_b32 v31, 3, v22 bitop3:0x54
	v_cmp_gt_i32_e64 s0, s31, v22
	s_delay_alu instid0(VALU_DEP_1) | instskip(SKIP_1) | instid1(VALU_DEP_2)
	v_cndmask_b32_e64 v14, 0, v14, s0
	v_cmp_gt_i32_e64 s0, s31, v32
	v_perm_b32 v14, v21, v14, 0x5040100
	s_delay_alu instid0(VALU_DEP_2) | instskip(SKIP_1) | instid1(VALU_DEP_1)
	v_cndmask_b32_e64 v15, 0, v15, s0
	v_cmp_gt_i32_e64 s0, s14, v31
	v_cndmask_b32_e64 v31, 0, v33, s0
	v_cmp_gt_i32_e64 s0, s31, v40
	v_or_b32_e32 v32, 5, v22
	v_or_b32_e32 v40, 6, v22
	s_delay_alu instid0(VALU_DEP_4) | instskip(NEXT) | instid1(VALU_DEP_4)
	v_perm_b32 v15, v31, v15, 0x5040100
	v_dual_cndmask_b32 v33, 0, v16, s0 :: v_dual_lshrrev_b32 v16, 16, v16
	s_delay_alu instid0(VALU_DEP_4) | instskip(NEXT) | instid1(VALU_DEP_1)
	v_cmp_gt_i32_e64 s0, s14, v32
	v_cndmask_b32_e64 v16, 0, v16, s0
	v_cmp_gt_i32_e64 s0, s31, v40
	s_delay_alu instid0(VALU_DEP_1) | instskip(SKIP_1) | instid1(VALU_DEP_4)
	v_cndmask_b32_e64 v17, 0, v17, s0
	v_cmp_gt_i32_e64 s0, s14, v41
	v_perm_b32 v16, v16, v33, 0x5040100
	s_delay_alu instid0(VALU_DEP_2) | instskip(NEXT) | instid1(VALU_DEP_1)
	v_cndmask_b32_e64 v32, 0, v42, s0
	v_perm_b32 v17, v32, v17, 0x5040100
	s_branch .LBB112_47
.LBB112_58:                             ;   in Loop: Header=BB112_50 Depth=1
	v_dual_add_nc_u32 v6, 1, v22 :: v_dual_bitop2_b32 v8, 2, v22 bitop3:0x54
	s_wait_loadcnt 0x0
	v_dual_lshrrev_b32 v7, 16, v2 :: v_dual_lshrrev_b32 v9, 16, v3
	v_or_b32_e32 v12, 4, v22
	s_delay_alu instid0(VALU_DEP_3) | instskip(SKIP_1) | instid1(VALU_DEP_2)
	v_cmp_gt_i32_e64 s1, s14, v6
	v_dual_lshrrev_b32 v29, 16, v5 :: v_dual_bitop2_b32 v13, 7, v22 bitop3:0x54
	v_dual_cndmask_b32 v6, 0, v7, s1 :: v_dual_bitop2_b32 v7, 3, v22 bitop3:0x54
	v_cmp_gt_i32_e64 s1, s31, v22
	s_delay_alu instid0(VALU_DEP_1) | instskip(SKIP_1) | instid1(VALU_DEP_2)
	v_cndmask_b32_e64 v2, 0, v2, s1
	v_cmp_gt_i32_e64 s1, s31, v8
	v_perm_b32 v2, v6, v2, 0x5040100
	s_delay_alu instid0(VALU_DEP_2) | instskip(SKIP_1) | instid1(VALU_DEP_1)
	v_cndmask_b32_e64 v3, 0, v3, s1
	v_cmp_gt_i32_e64 s1, s14, v7
	v_cndmask_b32_e64 v7, 0, v9, s1
	v_cmp_gt_i32_e64 s1, s31, v12
	v_or_b32_e32 v8, 5, v22
	v_or_b32_e32 v12, 6, v22
	s_delay_alu instid0(VALU_DEP_4) | instskip(NEXT) | instid1(VALU_DEP_4)
	v_perm_b32 v3, v7, v3, 0x5040100
	v_dual_cndmask_b32 v9, 0, v4, s1 :: v_dual_lshrrev_b32 v4, 16, v4
	s_delay_alu instid0(VALU_DEP_4) | instskip(NEXT) | instid1(VALU_DEP_1)
	v_cmp_gt_i32_e64 s1, s14, v8
	v_cndmask_b32_e64 v4, 0, v4, s1
	v_cmp_gt_i32_e64 s1, s31, v12
	s_delay_alu instid0(VALU_DEP_1) | instskip(SKIP_1) | instid1(VALU_DEP_4)
	v_cndmask_b32_e64 v5, 0, v5, s1
	v_cmp_gt_i32_e64 s1, s14, v13
	v_perm_b32 v4, v4, v9, 0x5040100
	s_delay_alu instid0(VALU_DEP_2) | instskip(NEXT) | instid1(VALU_DEP_1)
	v_cndmask_b32_e64 v8, 0, v29, s1
	v_perm_b32 v5, v8, v5, 0x5040100
	s_or_b32 exec_lo, exec_lo, s19
	global_load_b128 v[6:9], v[10:11], off offset:512
	s_wait_xcnt 0x0
	s_and_saveexec_b32 s19, s0
	s_cbranch_execz .LBB112_53
.LBB112_59:                             ;   in Loop: Header=BB112_50 Depth=1
	v_dual_add_nc_u32 v12, 1, v22 :: v_dual_bitop2_b32 v29, 2, v22 bitop3:0x54
	s_wait_loadcnt 0x0
	v_dual_lshrrev_b32 v13, 16, v6 :: v_dual_lshrrev_b32 v31, 16, v7
	v_or_b32_e32 v40, 4, v22
	s_delay_alu instid0(VALU_DEP_3) | instskip(SKIP_1) | instid1(VALU_DEP_2)
	v_cmp_gt_i32_e64 s1, s14, v12
	v_dual_lshrrev_b32 v42, 16, v9 :: v_dual_bitop2_b32 v41, 7, v22 bitop3:0x54
	v_dual_cndmask_b32 v12, 0, v13, s1 :: v_dual_bitop2_b32 v13, 3, v22 bitop3:0x54
	v_cmp_gt_i32_e64 s1, s31, v22
	s_delay_alu instid0(VALU_DEP_1) | instskip(SKIP_2) | instid1(VALU_DEP_3)
	v_cndmask_b32_e64 v6, 0, v6, s1
	v_cmp_gt_i32_e64 s1, s31, v29
	v_or_b32_e32 v29, 5, v22
	v_perm_b32 v6, v12, v6, 0x5040100
	s_delay_alu instid0(VALU_DEP_3) | instskip(SKIP_1) | instid1(VALU_DEP_1)
	v_cndmask_b32_e64 v7, 0, v7, s1
	v_cmp_gt_i32_e64 s1, s14, v13
	v_cndmask_b32_e64 v13, 0, v31, s1
	v_cmp_gt_i32_e64 s1, s31, v40
	s_delay_alu instid0(VALU_DEP_1) | instskip(SKIP_3) | instid1(VALU_DEP_2)
	v_dual_cndmask_b32 v31, 0, v8, s1 :: v_dual_bitop2_b32 v40, 6, v22 bitop3:0x54
	v_lshrrev_b32_e32 v8, 16, v8
	v_cmp_gt_i32_e64 s1, s14, v29
	v_perm_b32 v7, v13, v7, 0x5040100
	v_cndmask_b32_e64 v8, 0, v8, s1
	v_cmp_gt_i32_e64 s1, s31, v40
	s_delay_alu instid0(VALU_DEP_1) | instskip(SKIP_1) | instid1(VALU_DEP_4)
	v_cndmask_b32_e64 v9, 0, v9, s1
	v_cmp_gt_i32_e64 s1, s14, v41
	v_perm_b32 v8, v8, v31, 0x5040100
	s_delay_alu instid0(VALU_DEP_2) | instskip(NEXT) | instid1(VALU_DEP_1)
	v_cndmask_b32_e64 v29, 0, v42, s1
	v_perm_b32 v9, v29, v9, 0x5040100
	s_or_b32 exec_lo, exec_lo, s19
	global_load_b128 v[10:13], v[10:11], off offset:1024
	s_wait_xcnt 0x0
	s_and_saveexec_b32 s19, s0
	s_cbranch_execnz .LBB112_54
	s_branch .LBB112_55
.LBB112_60:
	s_or_b32 exec_lo, exec_lo, s15
.LBB112_61:
	s_delay_alu instid0(SALU_CYCLE_1)
	s_or_b32 exec_lo, exec_lo, s24
	s_movk_i32 s0, 0x1c0
	v_and_b32_e32 v2, 0x3c0, v0
	v_mad_u32_u24 v6, v1, s0, 0x100
	v_or_b32_e32 v1, 0x60, v0
	s_mov_b32 s0, exec_lo
	s_barrier_signal -1
	s_barrier_wait -1
	v_cmpx_eq_u32_e32 64, v2
	s_cbranch_execz .LBB112_64
; %bb.62:
	v_add_nc_u32_e32 v2, 0xfffffc80, v6
	v_cmp_gt_u32_e32 vcc_lo, 0x70, v1
	s_delay_alu instid0(VALU_DEP_2)
	v_lshl_add_u32 v3, v34, 2, v2
	ds_store_2addr_b32 v3, v24, v25 offset1:32
	ds_store_b32 v3, v36 offset:256
	s_and_b32 exec_lo, exec_lo, vcc_lo
; %bb.63:
	v_lshl_add_u32 v2, v1, 2, v2
	ds_store_b32 v2, v37
.LBB112_64:
	s_or_b32 exec_lo, exec_lo, s0
	v_lshl_add_u32 v7, v34, 2, v6
	s_mov_b32 s0, exec_lo
	s_wait_dscnt 0x0
	s_barrier_signal -1
	s_barrier_wait -1
	v_cmpx_gt_u32_e32 64, v0
	s_cbranch_execz .LBB112_68
; %bb.65:
	v_lshl_or_b32 v4, v0, 2, 0x80
	ds_load_2addr_stride64_b32 v[2:3], v7 offset1:1
	s_mov_b32 s1, exec_lo
	v_add_nc_u32_e32 v4, v6, v4
	ds_load_b32 v5, v4
	s_wait_dscnt 0x1
	v_mov_b32_e32 v4, v2
	v_cmpx_gt_u32_e32 0x70, v1
	s_cbranch_execz .LBB112_67
; %bb.66:
	v_lshl_add_u32 v2, v1, 2, v6
	ds_load_b32 v2, v2
	s_wait_dscnt 0x0
	v_add_f32_e32 v37, v37, v2
.LBB112_67:
	s_or_b32 exec_lo, exec_lo, s1
	s_wait_dscnt 0x0
	v_pk_add_f32 v[24:25], v[24:25], v[4:5]
	v_add_f32_e32 v36, v36, v3
.LBB112_68:
	s_or_b32 exec_lo, exec_lo, s0
	v_and_b32_e32 v2, 0x3e0, v0
	s_mov_b32 s0, exec_lo
	s_barrier_signal -1
	s_barrier_wait -1
	s_delay_alu instid0(VALU_DEP_1)
	v_cmpx_eq_u32_e32 32, v2
	s_cbranch_execz .LBB112_71
; %bb.69:
	v_lshl_add_u32 v2, v34, 2, 0x100
	v_cmp_gt_u32_e32 vcc_lo, 0x70, v1
	ds_store_b32 v2, v24
	ds_store_b32 v35, v25
	ds_store_b32 v2, v36 offset:256
	s_and_b32 exec_lo, exec_lo, vcc_lo
; %bb.70:
	v_lshl_add_u32 v2, v1, 2, 0x100
	ds_store_b32 v2, v37
.LBB112_71:
	s_or_b32 exec_lo, exec_lo, s0
	v_cmp_gt_u32_e32 vcc_lo, 32, v0
	s_wait_dscnt 0x0
	s_barrier_signal -1
	s_barrier_wait -1
	s_and_saveexec_b32 s1, vcc_lo
	s_cbranch_execz .LBB112_75
; %bb.72:
	v_lshl_add_u32 v6, v0, 2, v6
	s_mov_b32 s2, exec_lo
	ds_load_2addr_b32 v[2:3], v6 offset0:32 offset1:64
	ds_load_b32 v4, v7
	s_wait_dscnt 0x1
	v_mov_b32_e32 v5, v2
	v_cmpx_gt_u32_e32 0x70, v1
	s_cbranch_execz .LBB112_74
; %bb.73:
	ds_load_b32 v2, v6 offset:384
	s_wait_dscnt 0x0
	v_add_f32_e32 v37, v37, v2
.LBB112_74:
	s_or_b32 exec_lo, exec_lo, s2
	s_wait_dscnt 0x0
	v_pk_add_f32 v[24:25], v[24:25], v[4:5]
	v_add_f32_e32 v36, v36, v3
.LBB112_75:
	s_or_b32 exec_lo, exec_lo, s1
	s_barrier_signal -1
	s_barrier_wait -1
	s_and_saveexec_b32 s0, vcc_lo
	s_cbranch_execz .LBB112_78
; %bb.76:
	s_mul_i32 s1, s30, s7
	s_mul_i32 s0, s7, s6
	;; [unrolled: 1-line block ×3, first 2 shown]
	s_bfe_u32 s7, ttmp6, 0x40014
	s_mul_i32 s2, s1, 0x70
	s_lshr_b32 s6, ttmp7, 16
	s_ashr_i32 s3, s2, 31
	s_add_co_i32 s7, s7, 1
	s_lshl_b64 s[2:3], s[2:3], 1
	s_ashr_i32 s1, s0, 31
	s_wait_kmcnt 0x0
	s_add_nc_u64 s[2:3], s[4:5], s[2:3]
	s_mul_i32 s4, s6, s7
	s_bfe_u32 s5, ttmp6, 0x40008
	s_lshl_b64 s[0:1], s[0:1], 1
	s_add_co_i32 s5, s5, s4
	s_cmp_eq_u32 s28, 0
	s_add_nc_u64 s[0:1], s[2:3], s[0:1]
	s_cselect_b32 s2, s6, s5
	s_mov_b32 s3, 0
	s_mulk_i32 s2, 0xe0
	v_cmp_gt_u32_e32 vcc_lo, 0x70, v1
	s_add_nc_u64 s[0:1], s[0:1], s[2:3]
	s_delay_alu instid0(SALU_CYCLE_1)
	v_cvt_pk_bf16_f32 v2, v24, s0
	v_cvt_pk_bf16_f32 v3, v25, s0
	;; [unrolled: 1-line block ×3, first 2 shown]
	s_clause 0x2
	global_store_b16 v0, v2, s[0:1] scale_offset
	global_store_b16 v0, v3, s[0:1] offset:64 scale_offset
	global_store_b16 v0, v4, s[0:1] offset:128 scale_offset
	s_wait_xcnt 0x0
	s_and_b32 exec_lo, exec_lo, vcc_lo
	s_cbranch_execz .LBB112_78
; %bb.77:
	v_dual_mov_b32 v1, 0 :: v_dual_lshlrev_b32 v0, 1, v0
	v_cvt_pk_bf16_f32 v2, v37, s0
	s_delay_alu instid0(VALU_DEP_2)
	v_add_nc_u64_e32 v[0:1], s[0:1], v[0:1]
	global_store_b16 v[0:1], v2, off offset:192
.LBB112_78:
	s_endpgm
	.section	.rodata,"a",@progbits
	.p2align	6, 0x0
	.amdhsa_kernel _ZN4vllm25paged_attention_v1_kernelI14__hip_bfloat16S1_Li112ELi8ELi128ELNS_18Fp8KVCacheDataTypeE0ELb1EEEvPT_PKS3_PKT0_S9_ifPKiSB_iPKfiiiSD_SD_iiiii
		.amdhsa_group_segment_fixed_size 256
		.amdhsa_private_segment_fixed_size 0
		.amdhsa_kernarg_size 384
		.amdhsa_user_sgpr_count 2
		.amdhsa_user_sgpr_dispatch_ptr 0
		.amdhsa_user_sgpr_queue_ptr 0
		.amdhsa_user_sgpr_kernarg_segment_ptr 1
		.amdhsa_user_sgpr_dispatch_id 0
		.amdhsa_user_sgpr_kernarg_preload_length 0
		.amdhsa_user_sgpr_kernarg_preload_offset 0
		.amdhsa_user_sgpr_private_segment_size 0
		.amdhsa_wavefront_size32 1
		.amdhsa_uses_dynamic_stack 0
		.amdhsa_enable_private_segment 0
		.amdhsa_system_sgpr_workgroup_id_x 1
		.amdhsa_system_sgpr_workgroup_id_y 1
		.amdhsa_system_sgpr_workgroup_id_z 1
		.amdhsa_system_sgpr_workgroup_info 0
		.amdhsa_system_vgpr_workitem_id 0
		.amdhsa_next_free_vgpr 45
		.amdhsa_next_free_sgpr 40
		.amdhsa_named_barrier_count 0
		.amdhsa_reserve_vcc 1
		.amdhsa_float_round_mode_32 0
		.amdhsa_float_round_mode_16_64 0
		.amdhsa_float_denorm_mode_32 3
		.amdhsa_float_denorm_mode_16_64 3
		.amdhsa_fp16_overflow 0
		.amdhsa_memory_ordered 1
		.amdhsa_forward_progress 1
		.amdhsa_inst_pref_size 54
		.amdhsa_round_robin_scheduling 0
		.amdhsa_exception_fp_ieee_invalid_op 0
		.amdhsa_exception_fp_denorm_src 0
		.amdhsa_exception_fp_ieee_div_zero 0
		.amdhsa_exception_fp_ieee_overflow 0
		.amdhsa_exception_fp_ieee_underflow 0
		.amdhsa_exception_fp_ieee_inexact 0
		.amdhsa_exception_int_div_zero 0
	.end_amdhsa_kernel
	.section	.text._ZN4vllm25paged_attention_v1_kernelI14__hip_bfloat16S1_Li112ELi8ELi128ELNS_18Fp8KVCacheDataTypeE0ELb1EEEvPT_PKS3_PKT0_S9_ifPKiSB_iPKfiiiSD_SD_iiiii,"axG",@progbits,_ZN4vllm25paged_attention_v1_kernelI14__hip_bfloat16S1_Li112ELi8ELi128ELNS_18Fp8KVCacheDataTypeE0ELb1EEEvPT_PKS3_PKT0_S9_ifPKiSB_iPKfiiiSD_SD_iiiii,comdat
.Lfunc_end112:
	.size	_ZN4vllm25paged_attention_v1_kernelI14__hip_bfloat16S1_Li112ELi8ELi128ELNS_18Fp8KVCacheDataTypeE0ELb1EEEvPT_PKS3_PKT0_S9_ifPKiSB_iPKfiiiSD_SD_iiiii, .Lfunc_end112-_ZN4vllm25paged_attention_v1_kernelI14__hip_bfloat16S1_Li112ELi8ELi128ELNS_18Fp8KVCacheDataTypeE0ELb1EEEvPT_PKS3_PKT0_S9_ifPKiSB_iPKfiiiSD_SD_iiiii
                                        ; -- End function
	.set _ZN4vllm25paged_attention_v1_kernelI14__hip_bfloat16S1_Li112ELi8ELi128ELNS_18Fp8KVCacheDataTypeE0ELb1EEEvPT_PKS3_PKT0_S9_ifPKiSB_iPKfiiiSD_SD_iiiii.num_vgpr, 45
	.set _ZN4vllm25paged_attention_v1_kernelI14__hip_bfloat16S1_Li112ELi8ELi128ELNS_18Fp8KVCacheDataTypeE0ELb1EEEvPT_PKS3_PKT0_S9_ifPKiSB_iPKfiiiSD_SD_iiiii.num_agpr, 0
	.set _ZN4vllm25paged_attention_v1_kernelI14__hip_bfloat16S1_Li112ELi8ELi128ELNS_18Fp8KVCacheDataTypeE0ELb1EEEvPT_PKS3_PKT0_S9_ifPKiSB_iPKfiiiSD_SD_iiiii.numbered_sgpr, 40
	.set _ZN4vllm25paged_attention_v1_kernelI14__hip_bfloat16S1_Li112ELi8ELi128ELNS_18Fp8KVCacheDataTypeE0ELb1EEEvPT_PKS3_PKT0_S9_ifPKiSB_iPKfiiiSD_SD_iiiii.num_named_barrier, 0
	.set _ZN4vllm25paged_attention_v1_kernelI14__hip_bfloat16S1_Li112ELi8ELi128ELNS_18Fp8KVCacheDataTypeE0ELb1EEEvPT_PKS3_PKT0_S9_ifPKiSB_iPKfiiiSD_SD_iiiii.private_seg_size, 0
	.set _ZN4vllm25paged_attention_v1_kernelI14__hip_bfloat16S1_Li112ELi8ELi128ELNS_18Fp8KVCacheDataTypeE0ELb1EEEvPT_PKS3_PKT0_S9_ifPKiSB_iPKfiiiSD_SD_iiiii.uses_vcc, 1
	.set _ZN4vllm25paged_attention_v1_kernelI14__hip_bfloat16S1_Li112ELi8ELi128ELNS_18Fp8KVCacheDataTypeE0ELb1EEEvPT_PKS3_PKT0_S9_ifPKiSB_iPKfiiiSD_SD_iiiii.uses_flat_scratch, 0
	.set _ZN4vllm25paged_attention_v1_kernelI14__hip_bfloat16S1_Li112ELi8ELi128ELNS_18Fp8KVCacheDataTypeE0ELb1EEEvPT_PKS3_PKT0_S9_ifPKiSB_iPKfiiiSD_SD_iiiii.has_dyn_sized_stack, 0
	.set _ZN4vllm25paged_attention_v1_kernelI14__hip_bfloat16S1_Li112ELi8ELi128ELNS_18Fp8KVCacheDataTypeE0ELb1EEEvPT_PKS3_PKT0_S9_ifPKiSB_iPKfiiiSD_SD_iiiii.has_recursion, 0
	.set _ZN4vllm25paged_attention_v1_kernelI14__hip_bfloat16S1_Li112ELi8ELi128ELNS_18Fp8KVCacheDataTypeE0ELb1EEEvPT_PKS3_PKT0_S9_ifPKiSB_iPKfiiiSD_SD_iiiii.has_indirect_call, 0
	.section	.AMDGPU.csdata,"",@progbits
; Kernel info:
; codeLenInByte = 6864
; TotalNumSgprs: 42
; NumVgprs: 45
; ScratchSize: 0
; MemoryBound: 0
; FloatMode: 240
; IeeeMode: 1
; LDSByteSize: 256 bytes/workgroup (compile time only)
; SGPRBlocks: 0
; VGPRBlocks: 2
; NumSGPRsForWavesPerEU: 42
; NumVGPRsForWavesPerEU: 45
; NamedBarCnt: 0
; Occupancy: 16
; WaveLimiterHint : 1
; COMPUTE_PGM_RSRC2:SCRATCH_EN: 0
; COMPUTE_PGM_RSRC2:USER_SGPR: 2
; COMPUTE_PGM_RSRC2:TRAP_HANDLER: 0
; COMPUTE_PGM_RSRC2:TGID_X_EN: 1
; COMPUTE_PGM_RSRC2:TGID_Y_EN: 1
; COMPUTE_PGM_RSRC2:TGID_Z_EN: 1
; COMPUTE_PGM_RSRC2:TIDIG_COMP_CNT: 0
	.section	.text._ZN4vllm25paged_attention_v1_kernelI14__hip_bfloat16S1_Li120ELi8ELi128ELNS_18Fp8KVCacheDataTypeE0ELb1EEEvPT_PKS3_PKT0_S9_ifPKiSB_iPKfiiiSD_SD_iiiii,"axG",@progbits,_ZN4vllm25paged_attention_v1_kernelI14__hip_bfloat16S1_Li120ELi8ELi128ELNS_18Fp8KVCacheDataTypeE0ELb1EEEvPT_PKS3_PKT0_S9_ifPKiSB_iPKfiiiSD_SD_iiiii,comdat
	.protected	_ZN4vllm25paged_attention_v1_kernelI14__hip_bfloat16S1_Li120ELi8ELi128ELNS_18Fp8KVCacheDataTypeE0ELb1EEEvPT_PKS3_PKT0_S9_ifPKiSB_iPKfiiiSD_SD_iiiii ; -- Begin function _ZN4vllm25paged_attention_v1_kernelI14__hip_bfloat16S1_Li120ELi8ELi128ELNS_18Fp8KVCacheDataTypeE0ELb1EEEvPT_PKS3_PKT0_S9_ifPKiSB_iPKfiiiSD_SD_iiiii
	.globl	_ZN4vllm25paged_attention_v1_kernelI14__hip_bfloat16S1_Li120ELi8ELi128ELNS_18Fp8KVCacheDataTypeE0ELb1EEEvPT_PKS3_PKT0_S9_ifPKiSB_iPKfiiiSD_SD_iiiii
	.p2align	8
	.type	_ZN4vllm25paged_attention_v1_kernelI14__hip_bfloat16S1_Li120ELi8ELi128ELNS_18Fp8KVCacheDataTypeE0ELb1EEEvPT_PKS3_PKT0_S9_ifPKiSB_iPKfiiiSD_SD_iiiii,@function
_ZN4vllm25paged_attention_v1_kernelI14__hip_bfloat16S1_Li120ELi8ELi128ELNS_18Fp8KVCacheDataTypeE0ELb1EEEvPT_PKS3_PKT0_S9_ifPKiSB_iPKfiiiSD_SD_iiiii: ; @_ZN4vllm25paged_attention_v1_kernelI14__hip_bfloat16S1_Li120ELi8ELi128ELNS_18Fp8KVCacheDataTypeE0ELb1EEEvPT_PKS3_PKT0_S9_ifPKiSB_iPKfiiiSD_SD_iiiii
; %bb.0:
	s_load_b64 s[22:23], s[0:1], 0x20
	s_bfe_u32 s3, ttmp6, 0x4000c
	s_bfe_u32 s4, ttmp6, 0x40010
	s_and_b32 s6, ttmp7, 0xffff
	s_add_co_i32 s3, s3, 1
	s_add_co_i32 s4, s4, 1
	s_and_b32 s2, ttmp6, 15
	s_bfe_u32 s5, ttmp6, 0x40004
	s_mul_i32 s3, ttmp9, s3
	s_mul_i32 s4, s6, s4
	s_getreg_b32 s28, hwreg(HW_REG_IB_STS2, 6, 4)
	s_add_co_i32 s2, s2, s3
	s_add_co_i32 s3, s5, s4
	s_cmp_eq_u32 s28, 0
	s_clause 0x1
	s_load_b32 s29, s[0:1], 0x80
	s_load_b64 s[4:5], s[0:1], 0x30
	s_cselect_b32 s30, s6, s3
	s_cselect_b32 s2, ttmp9, s2
	s_mov_b32 s17, 0
	s_delay_alu instid0(SALU_CYCLE_1) | instskip(SKIP_2) | instid1(SALU_CYCLE_1)
	s_mov_b32 s36, s17
	s_wait_kmcnt 0x0
	s_abs_i32 s3, s22
	s_cvt_f32_u32 s6, s3
	s_sub_co_i32 s7, 0, s3
	s_delay_alu instid0(SALU_CYCLE_2) | instskip(SKIP_2) | instid1(TRANS32_DEP_1)
	v_rcp_iflag_f32_e32 v1, s6
	s_abs_i32 s8, s29
	v_nop
	v_readfirstlane_b32 s6, v1
	s_mul_f32 s6, s6, 0x4f7ffffe
	s_delay_alu instid0(SALU_CYCLE_3) | instskip(NEXT) | instid1(SALU_CYCLE_3)
	s_cvt_u32_f32 s6, s6
	s_mul_i32 s7, s7, s6
	s_delay_alu instid0(SALU_CYCLE_1) | instskip(NEXT) | instid1(SALU_CYCLE_1)
	s_mul_hi_u32 s7, s6, s7
	s_add_co_i32 s6, s6, s7
	s_xor_b32 s7, s29, s22
	s_mul_hi_u32 s6, s8, s6
	s_ashr_i32 s7, s7, 31
	s_mul_i32 s9, s6, s3
	s_delay_alu instid0(SALU_CYCLE_1)
	s_sub_co_i32 s8, s8, s9
	s_add_co_i32 s9, s6, 1
	s_sub_co_i32 s10, s8, s3
	s_cmp_ge_u32 s8, s3
	s_cselect_b32 s6, s9, s6
	s_cselect_b32 s8, s10, s8
	s_add_co_i32 s9, s6, 1
	s_cmp_ge_u32 s8, s3
	s_cselect_b32 s3, s9, s6
	s_load_b64 s[8:9], s[0:1], 0x40
	s_xor_b32 s3, s3, s7
	s_abs_i32 s16, s2
	s_sub_co_i32 s10, s3, s7
	s_mov_b32 s7, s17
	s_abs_i32 s15, s10
	s_delay_alu instid0(SALU_CYCLE_1) | instskip(SKIP_1) | instid1(SALU_CYCLE_2)
	s_cvt_f32_u32 s3, s15
	s_sub_co_i32 s6, 0, s15
	v_rcp_iflag_f32_e32 v1, s3
	v_nop
	s_delay_alu instid0(TRANS32_DEP_1) | instskip(SKIP_1) | instid1(SALU_CYCLE_3)
	v_readfirstlane_b32 s3, v1
	s_mul_f32 s3, s3, 0x4f7ffffe
	s_cvt_u32_f32 s3, s3
	s_delay_alu instid0(SALU_CYCLE_3) | instskip(NEXT) | instid1(SALU_CYCLE_1)
	s_mul_i32 s6, s6, s3
	s_mul_hi_u32 s6, s3, s6
	s_delay_alu instid0(SALU_CYCLE_1)
	s_add_co_i32 s6, s3, s6
	s_wait_kmcnt 0x0
	s_cmp_eq_u64 s[8:9], 0
	s_cbranch_scc1 .LBB113_2
; %bb.1:
	s_ashr_i32 s3, s2, 31
	s_delay_alu instid0(SALU_CYCLE_1) | instskip(NEXT) | instid1(SALU_CYCLE_1)
	s_lshl_b64 s[12:13], s[2:3], 2
	s_add_nc_u64 s[8:9], s[8:9], s[12:13]
	s_load_b32 s36, s[8:9], 0x0
.LBB113_2:
	s_load_b32 s31, s[4:5], s30 offset:0x0 scale_offset
	s_load_b96 s[12:14], s[0:1], 0x48
	v_and_b32_e32 v4, 3, v0
	s_wait_xcnt 0x0
	s_mul_u64 s[4:5], s[16:17], s[6:7]
	s_ashr_i32 s3, s2, 31
	s_ashr_i32 s18, s10, 31
	s_mul_i32 s6, s2, 0x78
	s_mov_b32 s4, exec_lo
	v_cmpx_gt_u32_e32 60, v0
	s_cbranch_execz .LBB113_4
; %bb.3:
	s_load_b64 s[8:9], s[0:1], 0x8
	s_wait_kmcnt 0x0
	s_mul_i32 s10, s12, s30
	s_ashr_i32 s7, s6, 31
	s_ashr_i32 s11, s10, 31
	v_and_b32_e32 v2, 0x3fc, v0
	s_lshl_b64 s[10:11], s[10:11], 1
	s_delay_alu instid0(VALU_DEP_1) | instskip(SKIP_2) | instid1(SALU_CYCLE_1)
	v_mad_u32_u24 v2, v4, 60, v2
	s_add_nc_u64 s[8:9], s[8:9], s[10:11]
	s_lshl_b64 s[10:11], s[6:7], 1
	s_add_nc_u64 s[8:9], s[8:9], s[10:11]
	global_load_b32 v1, v0, s[8:9] scale_offset
	s_wait_loadcnt 0x0
	ds_store_b32 v2, v1
.LBB113_4:
	s_or_b32 exec_lo, exec_lo, s4
	s_load_b128 s[8:11], s[0:1], 0x68
	s_mul_i32 s4, s5, s15
	s_xor_b32 s3, s3, s18
	s_sub_co_i32 s4, s16, s4
	s_add_co_i32 s7, s5, 1
	s_wait_kmcnt 0x0
	s_sub_co_i32 s12, s4, s15
	s_cmp_ge_u32 s4, s15
	s_mov_b32 s18, -1
	s_cselect_b32 s5, s7, s5
	s_cselect_b32 s4, s12, s4
	s_add_co_i32 s12, s5, 1
	s_cmp_ge_u32 s4, s15
	s_load_b32 s7, s[0:1], 0x78
	s_cselect_b32 s4, s12, s5
	s_add_co_i32 s15, s31, -1
	s_xor_b32 s4, s4, s3
	s_wait_dscnt 0x0
	s_sub_co_i32 s3, s4, s3
	s_barrier_signal -1
	s_barrier_wait -1
	s_abs_i32 s12, s11
	s_delay_alu instid0(SALU_CYCLE_1) | instskip(NEXT) | instid1(SALU_CYCLE_3)
	s_cvt_f32_u32 s5, s12
                                        ; implicit-def: $sgpr33
	v_rcp_iflag_f32_e32 v1, s5
	v_nop
	s_delay_alu instid0(TRANS32_DEP_1) | instskip(SKIP_1) | instid1(SALU_CYCLE_3)
	v_readfirstlane_b32 s5, v1
	s_mul_f32 s4, s5, 0x4f7ffffe
	s_cvt_u32_f32 s16, s4
	s_sub_co_i32 s4, 0, s12
	s_delay_alu instid0(SALU_CYCLE_2)
	s_mul_i32 s5, s4, s16
	s_abs_i32 s4, s15
	s_mul_hi_u32 s17, s16, s5
	s_mov_b32 s5, 0
	s_add_co_i32 s16, s16, s17
	s_wait_kmcnt 0x0
	s_cmp_lt_i32 s7, 0
	s_mov_b32 s17, s5
	s_cbranch_scc0 .LBB113_6
; %bb.5:
	s_mul_i32 s18, s8, s22
	s_delay_alu instid0(SALU_CYCLE_1) | instskip(NEXT) | instid1(SALU_CYCLE_1)
	s_add_co_i32 s18, s3, s18
	s_mul_i32 s18, s18, s7
	s_delay_alu instid0(SALU_CYCLE_1)
	s_sub_co_i32 s33, 1, s18
	s_mov_b32 s18, s5
.LBB113_6:
	s_ashr_i32 s15, s15, 31
	s_ashr_i32 s34, s11, 31
	s_and_not1_b32 vcc_lo, exec_lo, s18
	s_mul_u64 s[24:25], s[4:5], s[16:17]
	s_cbranch_vccnz .LBB113_8
; %bb.7:
	s_mul_i32 s5, s29, s8
	s_delay_alu instid0(SALU_CYCLE_1) | instskip(NEXT) | instid1(SALU_CYCLE_1)
	s_add_co_i32 s2, s5, s2
	s_mul_i32 s2, s2, s7
	s_delay_alu instid0(SALU_CYCLE_1)
	s_add_co_i32 s33, s2, 1
.LBB113_8:
	s_load_b32 s2, s[0:1], 0x38
	s_mul_i32 s7, s25, s12
	s_xor_b32 s5, s15, s34
	s_sub_co_i32 s4, s4, s7
	s_add_co_i32 s8, s25, 1
	s_clause 0x1
	s_load_b64 s[18:19], s[0:1], 0x28
	s_load_b32 s7, s[0:1], 0x88
	v_dual_mov_b32 v12, 0xff7fffff :: v_dual_lshrrev_b32 v1, 5, v0
	v_lshrrev_b32_e32 v8, 3, v0
	v_mbcnt_lo_u32_b32 v9, -1, 0
	s_mul_i32 s14, s3, s14
	s_delay_alu instid0(VALU_DEP_3)
	v_lshlrev_b32_e32 v22, 3, v1
	s_wait_kmcnt 0x0
	s_mul_i32 s20, s2, s30
	s_sub_co_i32 s2, s4, s12
	s_ashr_i32 s21, s20, 31
	s_cmp_ge_u32 s4, s12
	s_cselect_b32 s8, s8, s25
	s_cselect_b32 s2, s2, s4
	s_add_co_i32 s4, s8, 1
	s_cmp_ge_u32 s2, s12
	s_cselect_b32 s2, s4, s8
	s_add_co_i32 s4, s31, 7
	s_delay_alu instid0(SALU_CYCLE_1) | instskip(NEXT) | instid1(SALU_CYCLE_1)
	s_ashr_i32 s8, s4, 31
	s_lshr_b32 s8, s8, 29
	s_delay_alu instid0(SALU_CYCLE_1) | instskip(NEXT) | instid1(SALU_CYCLE_1)
	s_add_co_i32 s4, s4, s8
	s_ashr_i32 s35, s4, 3
	s_xor_b32 s4, s2, s5
	v_cmp_gt_i32_e64 s2, s35, v1
	s_sub_co_i32 s8, s4, s5
	s_and_saveexec_b32 s11, s2
	s_cbranch_execz .LBB113_20
; %bb.9:
	s_load_b64 s[4:5], s[0:1], 0x10
	s_ashr_i32 s15, s14, 31
	s_sub_co_i32 s22, s8, s9
	s_ashr_i32 s25, s13, 31
	s_lshl_b64 s[38:39], s[14:15], 1
	s_cmp_neq_f32 s36, 0
	v_bfe_u32 v10, v0, 2, 3
	v_mov_b32_e32 v3, 0
	v_mul_u32_u24_e32 v11, 60, v4
	s_cselect_b32 vcc_lo, -1, 0
	s_abs_i32 s15, s10
	v_lshlrev_b32_e32 v2, 4, v10
	s_cvt_f32_u32 s3, s15
	v_subrev_nc_u32_e32 v7, s31, v10
	v_lshlrev_b32_e32 v6, 2, v0
	s_sub_co_i32 s26, 0, s15
	v_rcp_iflag_f32_e32 v5, s3
	v_cmp_eq_u32_e64 s3, 0, v4
	v_add_nc_u32_e32 v13, 1, v7
	v_mov_b32_e32 v15, 0xff7fffff
	s_wait_kmcnt 0x0
	s_add_nc_u64 s[4:5], s[4:5], s[38:39]
	v_dual_mov_b32 v18, v1 :: v_dual_bitop2_b32 v16, 2, v9 bitop3:0x14
	v_readfirstlane_b32 s24, v5
	v_add_nc_u64_e32 v[4:5], s[4:5], v[2:3]
	v_and_b32_e32 v2, 12, v6
	v_lshlrev_b32_e32 v6, 2, v10
	s_lshl_b64 s[4:5], s[20:21], 2
	s_mul_f32 s24, s24, 0x4f7ffffe
	s_add_nc_u64 s[4:5], s[18:19], s[4:5]
	v_xor_b32_e32 v17, 1, v9
	v_add_nc_u64_e32 v[4:5], v[4:5], v[2:3]
	v_and_b32_e32 v2, 0x7c, v8
	s_cvt_u32_f32 s37, s24
	v_lshl_or_b32 v12, v1, 5, v6
	s_mov_b32 s27, 0
	s_mov_b32 s24, s13
	v_add_nc_u64_e32 v[6:7], s[4:5], v[2:3]
	s_mul_i32 s26, s26, s37
	v_lshlrev_b32_e32 v2, 3, v1
	v_add_nc_u32_e32 v14, 0x110, v12
	v_mov_b32_e32 v12, 0xff7fffff
	s_mul_hi_u32 s4, s37, s26
	s_delay_alu instid0(SALU_CYCLE_1)
	s_add_co_i32 s26, s37, s4
	s_mov_b32 s37, s27
	s_branch .LBB113_12
.LBB113_10:                             ;   in Loop: Header=BB113_12 Depth=1
	s_or_b32 exec_lo, exec_lo, s38
.LBB113_11:                             ;   in Loop: Header=BB113_12 Depth=1
	s_delay_alu instid0(SALU_CYCLE_1) | instskip(SKIP_4) | instid1(VALU_DEP_4)
	s_or_b32 exec_lo, exec_lo, s5
	v_add_nc_u32_e32 v18, 4, v18
	v_add_nc_u64_e32 v[6:7], 16, v[6:7]
	v_add_nc_u32_e32 v2, 32, v2
	v_add_nc_u32_e32 v14, 0x80, v14
	v_cmp_le_i32_e64 s4, s35, v18
	s_or_b32 s37, s4, s37
	s_delay_alu instid0(SALU_CYCLE_1)
	s_and_not1_b32 exec_lo, exec_lo, s37
	s_cbranch_execz .LBB113_19
.LBB113_12:                             ; =>This Inner Loop Header: Depth=1
	s_wait_dscnt 0x0
	v_mul_u64_e32 v[20:21], s[16:17], v[2:3]
	s_delay_alu instid0(VALU_DEP_1) | instskip(NEXT) | instid1(VALU_DEP_1)
	v_mul_lo_u32 v19, v21, s12
	v_dual_add_nc_u32 v20, 1, v21 :: v_dual_sub_nc_u32 v19, v2, v19
	s_delay_alu instid0(VALU_DEP_1) | instskip(SKIP_1) | instid1(VALU_DEP_1)
	v_subrev_nc_u32_e32 v23, s12, v19
	v_cmp_le_u32_e64 s4, s12, v19
	v_dual_cndmask_b32 v20, v21, v20, s4 :: v_dual_cndmask_b32 v19, v19, v23, s4
	s_delay_alu instid0(VALU_DEP_1) | instskip(NEXT) | instid1(VALU_DEP_2)
	v_add_nc_u32_e32 v21, 1, v20
	v_cmp_le_u32_e64 s4, s12, v19
	s_delay_alu instid0(VALU_DEP_1) | instskip(NEXT) | instid1(VALU_DEP_1)
	v_dual_cndmask_b32 v19, v20, v21, s4 :: v_dual_mov_b32 v21, v3
	v_xor_b32_e32 v19, s34, v19
	s_delay_alu instid0(VALU_DEP_1) | instskip(NEXT) | instid1(VALU_DEP_1)
	v_subrev_nc_u32_e32 v19, s34, v19
	v_add_nc_u32_e32 v23, s33, v19
	v_cmp_ge_i32_e64 s5, s22, v19
	s_delay_alu instid0(VALU_DEP_2) | instskip(NEXT) | instid1(VALU_DEP_1)
	v_sub_nc_u32_e32 v20, 0, v23
	v_dual_ashrrev_i32 v23, 31, v23 :: v_dual_max_i32 v20, v23, v20
	s_delay_alu instid0(VALU_DEP_1) | instskip(NEXT) | instid1(VALU_DEP_1)
	v_mul_u64_e32 v[24:25], s[26:27], v[20:21]
	v_mul_lo_u32 v21, v25, s15
	s_delay_alu instid0(VALU_DEP_1) | instskip(NEXT) | instid1(VALU_DEP_1)
	v_sub_nc_u32_e32 v20, v20, v21
	v_subrev_nc_u32_e32 v21, s15, v20
	v_cmp_le_u32_e64 s4, s15, v20
	s_delay_alu instid0(VALU_DEP_1) | instskip(NEXT) | instid1(VALU_DEP_1)
	v_cndmask_b32_e64 v20, v20, v21, s4
	v_subrev_nc_u32_e32 v21, s15, v20
	v_cmp_le_u32_e64 s4, s15, v20
	s_delay_alu instid0(VALU_DEP_1) | instskip(NEXT) | instid1(VALU_DEP_1)
	v_cndmask_b32_e64 v20, v20, v21, s4
	v_xor_b32_e32 v20, v20, v23
	s_delay_alu instid0(VALU_DEP_1) | instskip(NEXT) | instid1(VALU_DEP_1)
	v_sub_nc_u32_e32 v20, v20, v23
	v_cmp_ne_u32_e64 s4, 0, v20
	s_and_b32 s4, s4, s5
	s_delay_alu instid0(SALU_CYCLE_1) | instskip(NEXT) | instid1(SALU_CYCLE_1)
	s_and_saveexec_b32 s5, s4
	s_xor_b32 s4, exec_lo, s5
	s_cbranch_execz .LBB113_16
; %bb.13:                               ;   in Loop: Header=BB113_12 Depth=1
	s_and_saveexec_b32 s5, s3
; %bb.14:                               ;   in Loop: Header=BB113_12 Depth=1
	ds_store_b32 v14, v15
; %bb.15:                               ;   in Loop: Header=BB113_12 Depth=1
	s_or_b32 exec_lo, exec_lo, s5
.LBB113_16:                             ;   in Loop: Header=BB113_12 Depth=1
	s_and_not1_saveexec_b32 s5, s4
	s_cbranch_execz .LBB113_11
; %bb.17:                               ;   in Loop: Header=BB113_12 Depth=1
	global_load_b32 v20, v[6:7], off
	v_cmp_gt_i32_e64 s4, 32, v16
	s_wait_loadcnt 0x0
	v_ashrrev_i32_e32 v21, 31, v20
	s_delay_alu instid0(VALU_DEP_1) | instskip(NEXT) | instid1(VALU_DEP_1)
	v_mul_u64_e32 v[20:21], s[24:25], v[20:21]
	v_lshl_add_u64 v[20:21], v[20:21], 1, v[4:5]
	s_clause 0xe
	global_load_b32 v19, v[20:21], off offset:128
	global_load_b32 v23, v[20:21], off
	global_load_b32 v30, v[20:21], off offset:256
	global_load_b32 v31, v[20:21], off offset:384
	;; [unrolled: 1-line block ×13, first 2 shown]
	s_wait_xcnt 0x0
	ds_load_2addr_b32 v[20:21], v11 offset1:1
	ds_load_2addr_b32 v[24:25], v11 offset0:2 offset1:3
	ds_load_2addr_b32 v[26:27], v11 offset0:4 offset1:5
	;; [unrolled: 1-line block ×3, first 2 shown]
	s_wait_loadcnt 0xe
	v_lshlrev_b32_e32 v44, 16, v19
	v_and_b32_e32 v19, 0xffff0000, v19
	s_wait_dscnt 0x3
	v_lshlrev_b32_e32 v43, 16, v21
	v_and_b32_e32 v21, 0xffff0000, v21
	s_delay_alu instid0(VALU_DEP_1) | instskip(SKIP_1) | instid1(VALU_DEP_1)
	v_dual_mul_f32 v19, v21, v19 :: v_dual_mul_f32 v43, v43, v44
	s_wait_loadcnt 0xd
	v_fma_mix_f32_bf16 v19, v20, v23, v19 op_sel:[1,1,0] op_sel_hi:[1,1,0]
	s_delay_alu instid0(VALU_DEP_2) | instskip(SKIP_1) | instid1(VALU_DEP_2)
	v_fma_mix_f32_bf16 v21, v20, v23, v43 op_sel_hi:[1,1,0]
	s_wait_loadcnt_dscnt 0xc02
	v_fma_mix_f32_bf16 v19, v24, v30, v19 op_sel:[1,1,0] op_sel_hi:[1,1,0]
	s_delay_alu instid0(VALU_DEP_2) | instskip(SKIP_1) | instid1(VALU_DEP_2)
	v_fma_mix_f32_bf16 v20, v24, v30, v21 op_sel_hi:[1,1,0]
	s_wait_loadcnt 0xb
	v_fma_mix_f32_bf16 v19, v25, v31, v19 op_sel:[1,1,0] op_sel_hi:[1,1,0]
	s_delay_alu instid0(VALU_DEP_2)
	v_fma_mix_f32_bf16 v23, v25, v31, v20 op_sel_hi:[1,1,0]
	ds_load_2addr_b32 v[20:21], v11 offset0:8 offset1:9
	ds_load_2addr_b32 v[24:25], v11 offset0:10 offset1:11
	s_wait_loadcnt_dscnt 0xa03
	v_fma_mix_f32_bf16 v19, v26, v32, v19 op_sel:[1,1,0] op_sel_hi:[1,1,0]
	v_fma_mix_f32_bf16 v23, v26, v32, v23 op_sel_hi:[1,1,0]
	s_wait_loadcnt 0x9
	s_delay_alu instid0(VALU_DEP_2) | instskip(NEXT) | instid1(VALU_DEP_2)
	v_fma_mix_f32_bf16 v19, v27, v33, v19 op_sel:[1,1,0] op_sel_hi:[1,1,0]
	v_fma_mix_f32_bf16 v23, v27, v33, v23 op_sel_hi:[1,1,0]
	s_wait_loadcnt_dscnt 0x802
	s_delay_alu instid0(VALU_DEP_2) | instskip(NEXT) | instid1(VALU_DEP_2)
	v_fma_mix_f32_bf16 v19, v28, v34, v19 op_sel:[1,1,0] op_sel_hi:[1,1,0]
	v_fma_mix_f32_bf16 v23, v28, v34, v23 op_sel_hi:[1,1,0]
	ds_load_2addr_b32 v[26:27], v11 offset0:12 offset1:13
	ds_load_b32 v28, v11 offset:56
	s_wait_loadcnt 0x7
	v_fma_mix_f32_bf16 v19, v29, v35, v19 op_sel:[1,1,0] op_sel_hi:[1,1,0]
	v_fma_mix_f32_bf16 v23, v29, v35, v23 op_sel_hi:[1,1,0]
	s_wait_loadcnt_dscnt 0x603
	s_delay_alu instid0(VALU_DEP_2) | instskip(NEXT) | instid1(VALU_DEP_2)
	v_fma_mix_f32_bf16 v19, v20, v36, v19 op_sel:[1,1,0] op_sel_hi:[1,1,0]
	v_fma_mix_f32_bf16 v23, v20, v36, v23 op_sel_hi:[1,1,0]
	s_wait_loadcnt 0x5
	s_delay_alu instid0(VALU_DEP_2) | instskip(NEXT) | instid1(VALU_DEP_2)
	v_fma_mix_f32_bf16 v19, v21, v37, v19 op_sel:[1,1,0] op_sel_hi:[1,1,0]
	v_fma_mix_f32_bf16 v20, v21, v37, v23 op_sel_hi:[1,1,0]
	s_wait_loadcnt_dscnt 0x402
	s_delay_alu instid0(VALU_DEP_2) | instskip(NEXT) | instid1(VALU_DEP_2)
	v_fma_mix_f32_bf16 v19, v24, v38, v19 op_sel:[1,1,0] op_sel_hi:[1,1,0]
	v_fma_mix_f32_bf16 v20, v24, v38, v20 op_sel_hi:[1,1,0]
	s_wait_loadcnt 0x3
	s_delay_alu instid0(VALU_DEP_2) | instskip(NEXT) | instid1(VALU_DEP_2)
	;; [unrolled: 8-line block ×3, first 2 shown]
	v_fma_mix_f32_bf16 v19, v27, v41, v19 op_sel:[1,1,0] op_sel_hi:[1,1,0]
	v_fma_mix_f32_bf16 v20, v27, v41, v20 op_sel_hi:[1,1,0]
	s_wait_loadcnt_dscnt 0x0
	s_delay_alu instid0(VALU_DEP_2) | instskip(NEXT) | instid1(VALU_DEP_2)
	v_fma_mix_f32_bf16 v19, v28, v42, v19 op_sel:[1,1,0] op_sel_hi:[1,1,0]
	v_fma_mix_f32_bf16 v20, v28, v42, v20 op_sel_hi:[1,1,0]
	v_cndmask_b32_e64 v21, v9, v16, s4
	v_cmp_gt_i32_e64 s4, 32, v17
	s_delay_alu instid0(VALU_DEP_2) | instskip(SKIP_3) | instid1(VALU_DEP_1)
	v_dual_add_f32 v19, v20, v19 :: v_dual_lshlrev_b32 v21, 2, v21
	ds_bpermute_b32 v20, v21, v19
	s_wait_dscnt 0x0
	v_dual_cndmask_b32 v21, v9, v17, s4 :: v_dual_add_f32 v19, v19, v20
	v_lshlrev_b32_e32 v21, 2, v21
	ds_bpermute_b32 v20, v21, v19
	s_and_saveexec_b32 s38, s3
	s_cbranch_execz .LBB113_10
; %bb.18:                               ;   in Loop: Header=BB113_12 Depth=1
	s_wait_dscnt 0x0
	v_dual_add_nc_u32 v21, v13, v2 :: v_dual_add_f32 v19, v19, v20
	s_delay_alu instid0(VALU_DEP_1) | instskip(NEXT) | instid1(VALU_DEP_1)
	v_cvt_f32_i32_e32 v21, v21
	v_mul_f32_e32 v21, s36, v21
	s_delay_alu instid0(VALU_DEP_1) | instskip(NEXT) | instid1(VALU_DEP_1)
	v_dual_cndmask_b32 v20, 0, v21 :: v_dual_max_num_f32 v21, v12, v12
	v_dual_fmac_f32 v20, s23, v19 :: v_dual_add_nc_u32 v19, v10, v2
	s_delay_alu instid0(VALU_DEP_1) | instskip(NEXT) | instid1(VALU_DEP_2)
	v_max_num_f32_e32 v21, v21, v20
	v_cmp_gt_i32_e64 s4, s31, v19
	s_delay_alu instid0(VALU_DEP_1)
	v_dual_cndmask_b32 v19, 0, v20, s4 :: v_dual_cndmask_b32 v12, v12, v21, s4
	ds_store_b32 v14, v19
	s_branch .LBB113_10
.LBB113_19:
	s_or_b32 exec_lo, exec_lo, s37
.LBB113_20:
	s_delay_alu instid0(SALU_CYCLE_1)
	s_or_b32 exec_lo, exec_lo, s11
	v_dual_max_num_f32 v5, v12, v12 :: v_dual_bitop2_b32 v2, 16, v9 bitop3:0x14
	s_clause 0x1
	s_load_b64 s[4:5], s[0:1], 0x0
	s_load_b64 s[22:23], s[0:1], 0x18
	v_and_b32_e32 v34, 31, v0
	v_xor_b32_e32 v4, 8, v9
	v_cmp_gt_i32_e32 vcc_lo, 32, v2
	v_cndmask_b32_e32 v2, v9, v2, vcc_lo
	s_delay_alu instid0(VALU_DEP_3) | instskip(NEXT) | instid1(VALU_DEP_2)
	v_cmp_gt_i32_e32 vcc_lo, 32, v4
	v_dual_lshlrev_b32 v2, 2, v2 :: v_dual_cndmask_b32 v4, v9, v4, vcc_lo
	ds_bpermute_b32 v3, v2, v12
	s_wait_dscnt 0x0
	v_dual_max_num_f32 v6, v3, v3 :: v_dual_lshlrev_b32 v3, 2, v4
	s_delay_alu instid0(VALU_DEP_1) | instskip(SKIP_4) | instid1(VALU_DEP_1)
	v_dual_max_num_f32 v4, v5, v6 :: v_dual_bitop2_b32 v6, 4, v9 bitop3:0x14
	ds_bpermute_b32 v5, v3, v4
	v_cmp_gt_i32_e32 vcc_lo, 32, v6
	v_cndmask_b32_e32 v6, v9, v6, vcc_lo
	s_wait_dscnt 0x0
	v_dual_max_num_f32 v5, v5, v5 :: v_dual_lshlrev_b32 v6, 2, v6
	s_delay_alu instid0(VALU_DEP_1)
	v_max_num_f32_e32 v5, v4, v5
	v_lshlrev_b32_e32 v4, 2, v1
	v_cmp_eq_u32_e32 vcc_lo, 0, v34
	ds_bpermute_b32 v7, v6, v5
	s_wait_xcnt 0x0
	s_and_saveexec_b32 s0, vcc_lo
	s_cbranch_execz .LBB113_22
; %bb.21:
	s_wait_dscnt 0x0
	v_dual_max_num_f32 v7, v7, v7 :: v_dual_max_num_f32 v5, v5, v5
	s_delay_alu instid0(VALU_DEP_1)
	v_max_num_f32_e32 v5, v5, v7
	ds_store_b32 v4, v5 offset:240
.LBB113_22:
	s_or_b32 exec_lo, exec_lo, s0
	v_cmp_gt_u32_e64 s0, 4, v34
	v_dual_mov_b32 v10, 0xff7fffff :: v_dual_lshlrev_b32 v5, 2, v34
	s_wait_dscnt 0x0
	s_barrier_signal -1
	s_barrier_wait -1
	s_and_saveexec_b32 s1, s0
; %bb.23:
	ds_load_b32 v10, v5 offset:240
; %bb.24:
	s_or_b32 exec_lo, exec_lo, s1
	v_xor_b32_e32 v7, 2, v9
	v_lshl_add_u32 v35, v0, 2, 0x110
	v_xor_b32_e32 v12, 1, v9
	s_delay_alu instid0(VALU_DEP_3) | instskip(NEXT) | instid1(VALU_DEP_1)
	v_cmp_gt_i32_e64 s1, 32, v7
	v_cndmask_b32_e64 v7, v9, v7, s1
	s_delay_alu instid0(VALU_DEP_3) | instskip(NEXT) | instid1(VALU_DEP_1)
	v_cmp_gt_i32_e64 s1, 32, v12
	v_dual_lshlrev_b32 v7, 2, v7 :: v_dual_cndmask_b32 v9, v9, v12, s1
	s_lshl_b32 s1, s35, 3
	s_delay_alu instid0(SALU_CYCLE_1)
	s_min_i32 s11, s1, s31
	s_wait_dscnt 0x0
	ds_bpermute_b32 v11, v7, v10
	v_max_num_f32_e32 v10, v10, v10
	v_cmp_gt_i32_e64 s1, s11, v0
	s_wait_dscnt 0x0
	v_dual_lshlrev_b32 v9, 2, v9 :: v_dual_max_num_f32 v11, v11, v11
	s_delay_alu instid0(VALU_DEP_1) | instskip(SKIP_3) | instid1(VALU_DEP_1)
	v_max_num_f32_e32 v10, v10, v11
	ds_bpermute_b32 v11, v9, v10
	s_wait_dscnt 0x0
	v_max_num_f32_e32 v11, v11, v11
	v_dual_max_num_f32 v11, v10, v11 :: v_dual_mov_b32 v10, 0
	ds_bpermute_b32 v11, v10, v11
	s_and_saveexec_b32 s15, s1
	s_cbranch_execz .LBB113_28
; %bb.25:
	v_lshl_add_u32 v12, v0, 2, 0x110
	v_dual_mov_b32 v10, 0 :: v_dual_mov_b32 v13, v0
	s_mov_b32 s24, 0
.LBB113_26:                             ; =>This Inner Loop Header: Depth=1
	ds_load_b32 v14, v12
	v_add_nc_u32_e32 v13, 0x80, v13
	s_delay_alu instid0(VALU_DEP_1) | instskip(SKIP_3) | instid1(VALU_DEP_1)
	v_cmp_le_i32_e64 s3, s11, v13
	s_or_b32 s24, s3, s24
	s_wait_dscnt 0x0
	v_sub_f32_e32 v14, v14, v11
	v_mul_f32_e32 v14, 0x3fb8aa3b, v14
	s_delay_alu instid0(VALU_DEP_1)
	v_exp_f32_e32 v14, v14
	ds_store_b32 v12, v14
	v_nop
	v_add_f32_e32 v10, v10, v14
	v_add_nc_u32_e32 v12, 0x200, v12
	s_and_not1_b32 exec_lo, exec_lo, s24
	s_cbranch_execnz .LBB113_26
; %bb.27:
	s_or_b32 exec_lo, exec_lo, s24
.LBB113_28:
	s_delay_alu instid0(SALU_CYCLE_1)
	s_or_b32 exec_lo, exec_lo, s15
	ds_bpermute_b32 v2, v2, v10
	s_wait_dscnt 0x0
	v_add_f32_e32 v2, v10, v2
	ds_bpermute_b32 v3, v3, v2
	s_wait_dscnt 0x0
	v_add_f32_e32 v2, v2, v3
	;; [unrolled: 3-line block ×5, first 2 shown]
	s_and_saveexec_b32 s3, vcc_lo
; %bb.29:
	ds_store_b32 v4, v2 offset:256
; %bb.30:
	s_or_b32 exec_lo, exec_lo, s3
	s_wait_dscnt 0x0
	s_barrier_signal -1
	s_barrier_wait -1
	s_and_saveexec_b32 s3, s0
; %bb.31:
	ds_load_b32 v2, v5 offset:256
; %bb.32:
	s_or_b32 exec_lo, exec_lo, s3
	s_wait_dscnt 0x0
	ds_bpermute_b32 v3, v7, v2
	s_wait_dscnt 0x0
	v_dual_mov_b32 v36, 0 :: v_dual_add_f32 v2, v2, v3
	ds_bpermute_b32 v3, v9, v2
	s_wait_dscnt 0x0
	v_add_f32_e32 v2, v2, v3
	ds_bpermute_b32 v2, v36, v2
	s_and_saveexec_b32 s0, s1
	s_cbranch_execz .LBB113_45
; %bb.33:
	s_wait_dscnt 0x0
	v_add_f32_e32 v2, 0x358637bd, v2
	s_mov_b32 s3, -1
	s_mov_b32 s1, exec_lo
	s_delay_alu instid0(VALU_DEP_1) | instskip(NEXT) | instid1(VALU_DEP_1)
	v_div_scale_f32 v3, null, v2, v2, 1.0
	v_rcp_f32_e32 v5, v3
	v_nop
	s_delay_alu instid0(TRANS32_DEP_1) | instskip(NEXT) | instid1(VALU_DEP_1)
	v_fma_f32 v4, -v3, v5, 1.0
	v_fmac_f32_e32 v5, v4, v5
	v_div_scale_f32 v6, vcc_lo, 1.0, v2, 1.0
	s_delay_alu instid0(VALU_DEP_1) | instskip(NEXT) | instid1(VALU_DEP_1)
	v_mul_f32_e32 v7, v6, v5
	v_fma_f32 v4, -v3, v7, v6
	s_delay_alu instid0(VALU_DEP_1) | instskip(SKIP_1) | instid1(VALU_DEP_2)
	v_fmac_f32_e32 v7, v4, v5
	v_xad_u32 v4, v0, -1, s11
	v_fma_f32 v3, -v3, v7, v6
	s_delay_alu instid0(VALU_DEP_1) | instskip(NEXT) | instid1(VALU_DEP_1)
	v_div_fmas_f32 v3, v3, v5, v7
	v_div_fixup_f32 v2, v3, v2, 1.0
	v_mov_b32_e32 v3, v0
	v_cmpx_lt_u32_e32 0x7f, v4
	s_cbranch_execz .LBB113_42
; %bb.34:
	s_delay_alu instid0(VALU_DEP_3) | instskip(NEXT) | instid1(VALU_DEP_1)
	v_dual_mov_b32 v3, v2 :: v_dual_lshrrev_b32 v4, 7, v4
	v_dual_mov_b32 v9, 0 :: v_dual_add_nc_u32 v5, -1, v4
	s_delay_alu instid0(VALU_DEP_1) | instskip(SKIP_1) | instid1(VALU_DEP_2)
	v_lshrrev_b32_e32 v6, 1, v5
	v_cmp_lt_u32_e32 vcc_lo, 13, v5
	v_add_nc_u32_e32 v5, 1, v6
	s_and_saveexec_b32 s3, vcc_lo
	s_cbranch_execz .LBB113_38
; %bb.35:
	s_delay_alu instid0(VALU_DEP_1)
	v_dual_mov_b32 v7, v35 :: v_dual_bitop2_b32 v6, -8, v5 bitop3:0x40
	s_mov_b32 s15, 0
	s_mov_b32 s24, 0
.LBB113_36:                             ; =>This Inner Loop Header: Depth=1
	ds_load_2addr_stride64_b32 v[10:11], v7 offset1:2
	ds_load_2addr_stride64_b32 v[12:13], v7 offset0:4 offset1:6
	ds_load_2addr_stride64_b32 v[14:15], v7 offset0:8 offset1:10
	;; [unrolled: 1-line block ×7, first 2 shown]
	s_add_co_i32 s24, s24, 16
	s_delay_alu instid0(SALU_CYCLE_1) | instskip(NEXT) | instid1(VALU_DEP_1)
	v_dual_mov_b32 v9, s24 :: v_dual_add_nc_u32 v6, -8, v6
	v_cmp_eq_u32_e32 vcc_lo, 0, v6
	s_or_b32 s15, vcc_lo, s15
	s_wait_dscnt 0x7
	v_pk_mul_f32 v[10:11], v[2:3], v[10:11]
	s_wait_dscnt 0x6
	v_pk_mul_f32 v[12:13], v[2:3], v[12:13]
	;; [unrolled: 2-line block ×8, first 2 shown]
	ds_store_2addr_stride64_b32 v7, v10, v11 offset1:2
	ds_store_2addr_stride64_b32 v7, v12, v13 offset0:4 offset1:6
	ds_store_2addr_stride64_b32 v7, v14, v15 offset0:8 offset1:10
	ds_store_2addr_stride64_b32 v7, v16, v17 offset0:12 offset1:14
	ds_store_2addr_stride64_b32 v7, v18, v19 offset0:16 offset1:18
	ds_store_2addr_stride64_b32 v7, v20, v21 offset0:20 offset1:22
	ds_store_2addr_stride64_b32 v7, v24, v25 offset0:24 offset1:26
	ds_store_2addr_stride64_b32 v7, v26, v27 offset0:28 offset1:30
	v_add_nc_u32_e32 v7, 0x2000, v7
	s_and_not1_b32 exec_lo, exec_lo, s15
	s_cbranch_execnz .LBB113_36
; %bb.37:
	s_or_b32 exec_lo, exec_lo, s15
.LBB113_38:
	s_delay_alu instid0(SALU_CYCLE_1) | instskip(NEXT) | instid1(VALU_DEP_1)
	s_or_b32 exec_lo, exec_lo, s3
	v_and_b32_e32 v5, 7, v5
	s_mov_b32 s15, 0
	s_mov_b32 s3, exec_lo
	s_delay_alu instid0(VALU_DEP_1)
	v_cmpx_ne_u32_e32 0, v5
	s_cbranch_execz .LBB113_41
; %bb.39:
	v_dual_lshlrev_b32 v6, 9, v9 :: v_dual_lshlrev_b32 v7, 2, v0
	s_delay_alu instid0(VALU_DEP_1)
	v_add3_u32 v6, v6, v7, 0x110
.LBB113_40:                             ; =>This Inner Loop Header: Depth=1
	ds_load_2addr_stride64_b32 v[10:11], v6 offset1:2
	v_add_nc_u32_e32 v5, -1, v5
	s_delay_alu instid0(VALU_DEP_1)
	v_cmp_eq_u32_e32 vcc_lo, 0, v5
	s_or_b32 s15, vcc_lo, s15
	s_wait_dscnt 0x0
	v_pk_mul_f32 v[10:11], v[2:3], v[10:11]
	ds_store_2addr_stride64_b32 v6, v10, v11 offset1:2
	v_add_nc_u32_e32 v6, 0x400, v6
	s_and_not1_b32 exec_lo, exec_lo, s15
	s_cbranch_execnz .LBB113_40
.LBB113_41:
	s_or_b32 exec_lo, exec_lo, s3
	v_add_nc_u32_e32 v3, 1, v4
	s_delay_alu instid0(VALU_DEP_1) | instskip(NEXT) | instid1(VALU_DEP_1)
	v_and_b32_e32 v4, 0x3fffffe, v3
	v_cmp_ne_u32_e32 vcc_lo, v3, v4
	v_lshl_add_u32 v3, v4, 7, v0
	s_or_not1_b32 s3, vcc_lo, exec_lo
.LBB113_42:
	s_or_b32 exec_lo, exec_lo, s1
	s_delay_alu instid0(SALU_CYCLE_1)
	s_and_b32 exec_lo, exec_lo, s3
	s_cbranch_execz .LBB113_45
; %bb.43:
	v_lshl_add_u32 v4, v3, 2, 0x110
	s_mov_b32 s1, 0
.LBB113_44:                             ; =>This Inner Loop Header: Depth=1
	ds_load_b32 v5, v4
	v_add_nc_u32_e32 v3, 0x80, v3
	s_delay_alu instid0(VALU_DEP_1)
	v_cmp_le_i32_e32 vcc_lo, s11, v3
	s_or_b32 s1, vcc_lo, s1
	s_wait_dscnt 0x0
	v_mul_f32_e32 v5, v2, v5
	ds_store_b32 v4, v5
	v_add_nc_u32_e32 v4, 0x200, v4
	s_and_not1_b32 exec_lo, exec_lo, s1
	s_cbranch_execnz .LBB113_44
.LBB113_45:
	s_or_b32 exec_lo, exec_lo, s0
	v_mov_b64_e32 v[24:25], 0
	v_mov_b32_e32 v37, 0
	s_wait_dscnt 0x0
	s_barrier_signal -1
	s_barrier_wait -1
	s_and_saveexec_b32 s24, s2
	s_cbranch_execz .LBB113_61
; %bb.46:
	s_abs_i32 s25, s10
	s_sub_co_i32 s26, s8, s9
	s_cvt_f32_u32 s0, s25
	v_dual_mov_b32 v23, 0 :: v_dual_lshlrev_b32 v2, 3, v34
	v_or_b32_e32 v6, 0x60, v34
	s_delay_alu instid0(SALU_CYCLE_1)
	v_rcp_iflag_f32_e32 v3, s0
	v_and_b32_e32 v4, 0x7c, v8
	s_lshl_b64 s[0:1], s[20:21], 2
	v_mov_b32_e32 v5, v23
	s_ashr_i32 s15, s14, 31
	v_cmp_gt_u32_e32 vcc_lo, 0x78, v6
	v_lshlrev_b32_e32 v6, 3, v6
	v_readfirstlane_b32 s8, v3
	s_add_nc_u64 s[0:1], s[18:19], s[0:1]
	s_lshl_b64 s[10:11], s[14:15], 1
	s_sub_co_i32 s14, 0, s25
	v_mov_b64_e32 v[24:25], 0
	s_mul_f32 s8, s8, 0x4f7ffffe
	v_add_nc_u64_e32 v[26:27], s[0:1], v[4:5]
	v_lshl_add_u32 v38, v1, 5, 0x110
	v_dual_mov_b32 v37, v23 :: v_dual_lshlrev_b32 v28, 1, v2
	s_cvt_u32_f32 s8, s8
	v_dual_lshlrev_b32 v30, 1, v6 :: v_dual_mov_b32 v36, v23
	v_mov_b32_e32 v39, v1
	s_delay_alu instid0(SALU_CYCLE_1)
	s_mul_i32 s14, s14, s8
	s_mov_b32 s9, 0
	s_mul_hi_u32 s0, s8, s14
	s_ashr_i32 s3, s13, 31
	s_mov_b32 s2, s13
	s_add_co_i32 s13, s35, -1
	s_wait_kmcnt 0x0
	s_add_nc_u64 s[10:11], s[22:23], s[10:11]
	s_mov_b32 s14, s31
	s_add_co_i32 s8, s8, s0
	s_mov_b32 s15, s9
	s_branch .LBB113_50
.LBB113_47:                             ;   in Loop: Header=BB113_50 Depth=1
	s_or_b32 exec_lo, exec_lo, s19
	s_wait_loadcnt 0x0
	v_pk_mul_bf16 v14, v29, v14
	v_pk_mul_bf16 v15, v20, v15
	v_pk_mul_bf16 v16, v19, v16
	v_pk_mul_bf16 v17, v18, v17
	s_delay_alu instid0(VALU_DEP_3) | instskip(SKIP_4) | instid1(VALU_DEP_3)
	v_dual_lshlrev_b32 v21, 16, v14 :: v_dual_lshlrev_b32 v31, 16, v15
	v_and_b32_e32 v14, 0xffff0000, v14
	v_and_b32_e32 v15, 0xffff0000, v15
	v_lshlrev_b32_e32 v32, 16, v16
	v_and_b32_e32 v16, 0xffff0000, v16
	v_dual_add_f32 v14, v14, v21 :: v_dual_add_f32 v15, v15, v31
	s_delay_alu instid0(VALU_DEP_2) | instskip(NEXT) | instid1(VALU_DEP_2)
	v_dual_add_f32 v16, v16, v32 :: v_dual_lshlrev_b32 v21, 16, v17
	v_add_f32_e32 v14, v15, v14
	v_and_b32_e32 v15, 0xffff0000, v17
	s_delay_alu instid0(VALU_DEP_1) | instskip(NEXT) | instid1(VALU_DEP_1)
	v_dual_add_f32 v14, v16, v14 :: v_dual_add_f32 v15, v15, v21
	v_add_f32_e32 v14, v15, v14
	s_delay_alu instid0(VALU_DEP_1)
	v_add_f32_e32 v37, v37, v14
.LBB113_48:                             ;   in Loop: Header=BB113_50 Depth=1
	s_or_b32 exec_lo, exec_lo, s1
	s_wait_loadcnt 0x1
	v_pk_mul_bf16 v6, v29, v6
	v_pk_mul_bf16 v7, v20, v7
	;; [unrolled: 1-line block ×5, first 2 shown]
	s_delay_alu instid0(VALU_DEP_4)
	v_dual_lshlrev_b32 v14, 16, v6 :: v_dual_lshlrev_b32 v15, 16, v7
	v_and_b32_e32 v6, 0xffff0000, v6
	v_and_b32_e32 v7, 0xffff0000, v7
	v_lshlrev_b32_e32 v16, 16, v8
	v_and_b32_e32 v8, 0xffff0000, v8
	v_pk_mul_bf16 v9, v18, v9
	s_delay_alu instid0(VALU_DEP_4) | instskip(NEXT) | instid1(VALU_DEP_3)
	v_dual_add_f32 v6, v14, v6 :: v_dual_add_f32 v7, v15, v7
	v_dual_lshlrev_b32 v14, 16, v2 :: v_dual_add_f32 v8, v16, v8
	v_and_b32_e32 v2, 0xffff0000, v2
	v_pk_mul_bf16 v4, v19, v4
	s_delay_alu instid0(VALU_DEP_4) | instskip(SKIP_2) | instid1(VALU_DEP_3)
	v_dual_add_f32 v6, v7, v6 :: v_dual_lshlrev_b32 v7, 16, v3
	v_and_b32_e32 v3, 0xffff0000, v3
	v_pk_mul_bf16 v5, v18, v5
	v_add_f32_e32 v6, v8, v6
	s_delay_alu instid0(VALU_DEP_3) | instskip(SKIP_2) | instid1(VALU_DEP_3)
	v_dual_add_f32 v2, v14, v2 :: v_dual_add_f32 v3, v7, v3
	v_lshlrev_b32_e32 v7, 16, v9
	v_and_b32_e32 v8, 0xffff0000, v9
	v_add_f32_e32 v2, v3, v2
	s_wait_loadcnt 0x0
	v_pk_mul_bf16 v3, v29, v10
	v_pk_mul_bf16 v10, v20, v11
	v_lshlrev_b32_e32 v9, 16, v4
	v_and_b32_e32 v4, 0xffff0000, v4
	v_pk_mul_bf16 v11, v19, v12
	v_lshlrev_b32_e32 v12, 16, v3
	v_and_b32_e32 v3, 0xffff0000, v3
	s_delay_alu instid0(VALU_DEP_4) | instskip(SKIP_2) | instid1(VALU_DEP_4)
	v_dual_lshlrev_b32 v14, 16, v10 :: v_dual_add_f32 v4, v9, v4
	v_and_b32_e32 v10, 0xffff0000, v10
	v_pk_mul_bf16 v9, v18, v13
	v_dual_lshlrev_b32 v13, 16, v11 :: v_dual_add_f32 v3, v3, v12
	v_and_b32_e32 v11, 0xffff0000, v11
	s_delay_alu instid0(VALU_DEP_4) | instskip(SKIP_3) | instid1(VALU_DEP_4)
	v_dual_add_f32 v10, v10, v14 :: v_dual_lshlrev_b32 v12, 16, v5
	v_and_b32_e32 v5, 0xffff0000, v5
	v_lshlrev_b32_e32 v14, 16, v9
	v_and_b32_e32 v9, 0xffff0000, v9
	v_dual_add_f32 v3, v10, v3 :: v_dual_add_f32 v10, v11, v13
	v_dual_add_f32 v2, v4, v2 :: v_dual_add_f32 v7, v7, v8
	s_delay_alu instid0(VALU_DEP_3) | instskip(NEXT) | instid1(VALU_DEP_2)
	v_dual_add_f32 v4, v12, v5 :: v_dual_add_f32 v5, v9, v14
	v_dual_add_f32 v3, v10, v3 :: v_dual_add_f32 v6, v7, v6
	s_delay_alu instid0(VALU_DEP_1) | instskip(NEXT) | instid1(VALU_DEP_2)
	v_dual_add_f32 v2, v4, v2 :: v_dual_add_f32 v3, v5, v3
	v_add_f32_e32 v25, v25, v6
	s_delay_alu instid0(VALU_DEP_2) | instskip(NEXT) | instid1(VALU_DEP_3)
	v_add_f32_e32 v24, v24, v2
	v_add_f32_e32 v36, v36, v3
.LBB113_49:                             ;   in Loop: Header=BB113_50 Depth=1
	s_or_b32 exec_lo, exec_lo, s18
	v_dual_add_nc_u32 v39, 4, v39 :: v_dual_add_nc_u32 v22, 32, v22
	v_add_nc_u64_e32 v[26:27], 16, v[26:27]
	v_add_nc_u32_e32 v38, 0x80, v38
	s_delay_alu instid0(VALU_DEP_3) | instskip(SKIP_1) | instid1(SALU_CYCLE_1)
	v_cmp_le_i32_e64 s0, s35, v39
	s_or_b32 s15, s0, s15
	s_and_not1_b32 exec_lo, exec_lo, s15
	s_cbranch_execz .LBB113_60
.LBB113_50:                             ; =>This Inner Loop Header: Depth=1
	v_mul_u64_e32 v[2:3], s[16:17], v[22:23]
	s_delay_alu instid0(VALU_DEP_1) | instskip(NEXT) | instid1(VALU_DEP_1)
	v_mul_lo_u32 v2, v3, s12
	v_dual_add_nc_u32 v4, 1, v3 :: v_dual_sub_nc_u32 v2, v22, v2
	s_delay_alu instid0(VALU_DEP_1) | instskip(SKIP_1) | instid1(VALU_DEP_1)
	v_subrev_nc_u32_e32 v5, s12, v2
	v_cmp_le_u32_e64 s0, s12, v2
	v_dual_cndmask_b32 v3, v3, v4, s0 :: v_dual_cndmask_b32 v2, v2, v5, s0
	s_delay_alu instid0(VALU_DEP_1) | instskip(NEXT) | instid1(VALU_DEP_2)
	v_add_nc_u32_e32 v4, 1, v3
	v_cmp_le_u32_e64 s0, s12, v2
	s_delay_alu instid0(VALU_DEP_1) | instskip(NEXT) | instid1(VALU_DEP_1)
	v_cndmask_b32_e64 v2, v3, v4, s0
	v_dual_mov_b32 v3, v23 :: v_dual_bitop2_b32 v2, s34, v2 bitop3:0x14
	s_delay_alu instid0(VALU_DEP_1) | instskip(NEXT) | instid1(VALU_DEP_1)
	v_subrev_nc_u32_e32 v6, s34, v2
	v_add_nc_u32_e32 v7, s33, v6
	v_cmp_lt_i32_e64 s1, s26, v6
	s_delay_alu instid0(VALU_DEP_2) | instskip(NEXT) | instid1(VALU_DEP_1)
	v_sub_nc_u32_e32 v2, 0, v7
	v_max_i32_e32 v2, v7, v2
	s_delay_alu instid0(VALU_DEP_1) | instskip(SKIP_1) | instid1(VALU_DEP_2)
	v_mul_u64_e32 v[4:5], s[8:9], v[2:3]
	v_ashrrev_i32_e32 v4, 31, v7
	v_mul_lo_u32 v3, v5, s25
	s_delay_alu instid0(VALU_DEP_1) | instskip(NEXT) | instid1(VALU_DEP_1)
	v_sub_nc_u32_e32 v2, v2, v3
	v_subrev_nc_u32_e32 v3, s25, v2
	v_cmp_le_u32_e64 s0, s25, v2
	s_delay_alu instid0(VALU_DEP_1) | instskip(NEXT) | instid1(VALU_DEP_1)
	v_cndmask_b32_e64 v2, v2, v3, s0
	v_subrev_nc_u32_e32 v3, s25, v2
	v_cmp_le_u32_e64 s0, s25, v2
	s_delay_alu instid0(VALU_DEP_1) | instskip(NEXT) | instid1(VALU_DEP_1)
	v_cndmask_b32_e64 v2, v2, v3, s0
	v_xor_b32_e32 v2, v2, v4
	s_delay_alu instid0(VALU_DEP_1) | instskip(NEXT) | instid1(VALU_DEP_1)
	v_sub_nc_u32_e32 v2, v2, v4
	v_cmp_eq_u32_e64 s0, 0, v2
	s_or_b32 s0, s0, s1
	s_delay_alu instid0(SALU_CYCLE_1)
	s_and_saveexec_b32 s18, s0
	s_cbranch_execz .LBB113_49
; %bb.51:                               ;   in Loop: Header=BB113_50 Depth=1
	global_load_b32 v2, v[26:27], off
	v_cmp_eq_u32_e64 s0, s13, v39
	s_wait_loadcnt 0x0
	v_dual_mov_b32 v29, v23 :: v_dual_ashrrev_i32 v3, 31, v2
	s_delay_alu instid0(VALU_DEP_1) | instskip(NEXT) | instid1(VALU_DEP_1)
	v_mul_u64_e32 v[2:3], s[2:3], v[2:3]
	v_lshl_add_u64 v[32:33], v[2:3], 1, s[10:11]
	s_delay_alu instid0(VALU_DEP_1)
	v_add_nc_u64_e32 v[10:11], v[32:33], v[28:29]
	global_load_b128 v[2:5], v[10:11], off
	ds_load_2addr_b64 v[18:21], v38 offset1:1
	ds_load_2addr_b64 v[14:17], v38 offset0:2 offset1:3
	s_wait_xcnt 0x0
	s_and_saveexec_b32 s19, s0
	s_cbranch_execnz .LBB113_58
; %bb.52:                               ;   in Loop: Header=BB113_50 Depth=1
	s_or_b32 exec_lo, exec_lo, s19
	global_load_b128 v[6:9], v[10:11], off offset:512
	s_wait_xcnt 0x0
	s_and_saveexec_b32 s19, s0
	s_cbranch_execnz .LBB113_59
.LBB113_53:                             ;   in Loop: Header=BB113_50 Depth=1
	s_or_b32 exec_lo, exec_lo, s19
	global_load_b128 v[10:13], v[10:11], off offset:1024
	s_wait_xcnt 0x0
	s_and_saveexec_b32 s19, s0
	s_cbranch_execz .LBB113_55
.LBB113_54:                             ;   in Loop: Header=BB113_50 Depth=1
	v_dual_add_nc_u32 v29, 1, v22 :: v_dual_bitop2_b32 v40, 2, v22 bitop3:0x54
	s_wait_loadcnt 0x0
	v_dual_lshrrev_b32 v31, 16, v10 :: v_dual_lshrrev_b32 v41, 16, v11
	v_or_b32_e32 v42, 4, v22
	s_delay_alu instid0(VALU_DEP_3) | instskip(SKIP_1) | instid1(VALU_DEP_2)
	v_cmp_gt_i32_e64 s1, s14, v29
	v_dual_lshrrev_b32 v44, 16, v13 :: v_dual_bitop2_b32 v43, 7, v22 bitop3:0x54
	v_dual_cndmask_b32 v29, 0, v31, s1 :: v_dual_bitop2_b32 v31, 3, v22 bitop3:0x54
	v_cmp_gt_i32_e64 s1, s31, v22
	s_delay_alu instid0(VALU_DEP_1) | instskip(SKIP_1) | instid1(VALU_DEP_2)
	v_cndmask_b32_e64 v10, 0, v10, s1
	v_cmp_gt_i32_e64 s1, s31, v40
	v_perm_b32 v10, v29, v10, 0x5040100
	s_delay_alu instid0(VALU_DEP_2) | instskip(SKIP_1) | instid1(VALU_DEP_1)
	v_cndmask_b32_e64 v11, 0, v11, s1
	v_cmp_gt_i32_e64 s1, s14, v31
	v_cndmask_b32_e64 v31, 0, v41, s1
	v_cmp_gt_i32_e64 s1, s31, v42
	v_or_b32_e32 v40, 5, v22
	v_or_b32_e32 v42, 6, v22
	s_delay_alu instid0(VALU_DEP_4) | instskip(NEXT) | instid1(VALU_DEP_4)
	v_perm_b32 v11, v31, v11, 0x5040100
	v_dual_cndmask_b32 v41, 0, v12, s1 :: v_dual_lshrrev_b32 v12, 16, v12
	s_delay_alu instid0(VALU_DEP_4) | instskip(NEXT) | instid1(VALU_DEP_1)
	v_cmp_gt_i32_e64 s1, s14, v40
	v_cndmask_b32_e64 v12, 0, v12, s1
	v_cmp_gt_i32_e64 s1, s31, v42
	s_delay_alu instid0(VALU_DEP_1) | instskip(SKIP_1) | instid1(VALU_DEP_4)
	v_cndmask_b32_e64 v13, 0, v13, s1
	v_cmp_gt_i32_e64 s1, s14, v43
	v_perm_b32 v12, v12, v41, 0x5040100
	s_delay_alu instid0(VALU_DEP_2) | instskip(NEXT) | instid1(VALU_DEP_1)
	v_cndmask_b32_e64 v40, 0, v44, s1
	v_perm_b32 v13, v40, v13, 0x5040100
.LBB113_55:                             ;   in Loop: Header=BB113_50 Depth=1
	s_or_b32 exec_lo, exec_lo, s19
	s_wait_dscnt 0x1
	v_cvt_pk_bf16_f32 v29, v18, v19
	v_cvt_pk_bf16_f32 v20, v20, v21
	s_wait_dscnt 0x0
	v_cvt_pk_bf16_f32 v19, v14, v15
	v_cvt_pk_bf16_f32 v18, v16, v17
	s_and_saveexec_b32 s1, vcc_lo
	s_cbranch_execz .LBB113_48
; %bb.56:                               ;   in Loop: Header=BB113_50 Depth=1
	v_mov_b32_e32 v31, v23
	s_delay_alu instid0(VALU_DEP_1)
	v_add_nc_u64_e32 v[14:15], v[32:33], v[30:31]
	global_load_b128 v[14:17], v[14:15], off
	s_wait_xcnt 0x0
	s_and_saveexec_b32 s19, s0
	s_cbranch_execz .LBB113_47
; %bb.57:                               ;   in Loop: Header=BB113_50 Depth=1
	v_dual_add_nc_u32 v21, 1, v22 :: v_dual_bitop2_b32 v32, 2, v22 bitop3:0x54
	s_wait_loadcnt 0x0
	v_dual_lshrrev_b32 v31, 16, v14 :: v_dual_lshrrev_b32 v33, 16, v15
	v_or_b32_e32 v40, 4, v22
	s_delay_alu instid0(VALU_DEP_3) | instskip(SKIP_1) | instid1(VALU_DEP_2)
	v_cmp_gt_i32_e64 s0, s14, v21
	v_dual_lshrrev_b32 v42, 16, v17 :: v_dual_bitop2_b32 v41, 7, v22 bitop3:0x54
	v_dual_cndmask_b32 v21, 0, v31, s0 :: v_dual_bitop2_b32 v31, 3, v22 bitop3:0x54
	v_cmp_gt_i32_e64 s0, s31, v22
	s_delay_alu instid0(VALU_DEP_1) | instskip(SKIP_1) | instid1(VALU_DEP_2)
	v_cndmask_b32_e64 v14, 0, v14, s0
	v_cmp_gt_i32_e64 s0, s31, v32
	v_perm_b32 v14, v21, v14, 0x5040100
	s_delay_alu instid0(VALU_DEP_2) | instskip(SKIP_1) | instid1(VALU_DEP_1)
	v_cndmask_b32_e64 v15, 0, v15, s0
	v_cmp_gt_i32_e64 s0, s14, v31
	v_cndmask_b32_e64 v31, 0, v33, s0
	v_cmp_gt_i32_e64 s0, s31, v40
	v_or_b32_e32 v32, 5, v22
	v_or_b32_e32 v40, 6, v22
	s_delay_alu instid0(VALU_DEP_4) | instskip(NEXT) | instid1(VALU_DEP_4)
	v_perm_b32 v15, v31, v15, 0x5040100
	v_dual_cndmask_b32 v33, 0, v16, s0 :: v_dual_lshrrev_b32 v16, 16, v16
	s_delay_alu instid0(VALU_DEP_4) | instskip(NEXT) | instid1(VALU_DEP_1)
	v_cmp_gt_i32_e64 s0, s14, v32
	v_cndmask_b32_e64 v16, 0, v16, s0
	v_cmp_gt_i32_e64 s0, s31, v40
	s_delay_alu instid0(VALU_DEP_1) | instskip(SKIP_1) | instid1(VALU_DEP_4)
	v_cndmask_b32_e64 v17, 0, v17, s0
	v_cmp_gt_i32_e64 s0, s14, v41
	v_perm_b32 v16, v16, v33, 0x5040100
	s_delay_alu instid0(VALU_DEP_2) | instskip(NEXT) | instid1(VALU_DEP_1)
	v_cndmask_b32_e64 v32, 0, v42, s0
	v_perm_b32 v17, v32, v17, 0x5040100
	s_branch .LBB113_47
.LBB113_58:                             ;   in Loop: Header=BB113_50 Depth=1
	v_dual_add_nc_u32 v6, 1, v22 :: v_dual_bitop2_b32 v8, 2, v22 bitop3:0x54
	s_wait_loadcnt 0x0
	v_dual_lshrrev_b32 v7, 16, v2 :: v_dual_lshrrev_b32 v9, 16, v3
	v_or_b32_e32 v12, 4, v22
	s_delay_alu instid0(VALU_DEP_3) | instskip(SKIP_1) | instid1(VALU_DEP_2)
	v_cmp_gt_i32_e64 s1, s14, v6
	v_dual_lshrrev_b32 v29, 16, v5 :: v_dual_bitop2_b32 v13, 7, v22 bitop3:0x54
	v_dual_cndmask_b32 v6, 0, v7, s1 :: v_dual_bitop2_b32 v7, 3, v22 bitop3:0x54
	v_cmp_gt_i32_e64 s1, s31, v22
	s_delay_alu instid0(VALU_DEP_1) | instskip(SKIP_1) | instid1(VALU_DEP_2)
	v_cndmask_b32_e64 v2, 0, v2, s1
	v_cmp_gt_i32_e64 s1, s31, v8
	v_perm_b32 v2, v6, v2, 0x5040100
	s_delay_alu instid0(VALU_DEP_2) | instskip(SKIP_1) | instid1(VALU_DEP_1)
	v_cndmask_b32_e64 v3, 0, v3, s1
	v_cmp_gt_i32_e64 s1, s14, v7
	v_cndmask_b32_e64 v7, 0, v9, s1
	v_cmp_gt_i32_e64 s1, s31, v12
	v_or_b32_e32 v8, 5, v22
	v_or_b32_e32 v12, 6, v22
	s_delay_alu instid0(VALU_DEP_4) | instskip(NEXT) | instid1(VALU_DEP_4)
	v_perm_b32 v3, v7, v3, 0x5040100
	v_dual_cndmask_b32 v9, 0, v4, s1 :: v_dual_lshrrev_b32 v4, 16, v4
	s_delay_alu instid0(VALU_DEP_4) | instskip(NEXT) | instid1(VALU_DEP_1)
	v_cmp_gt_i32_e64 s1, s14, v8
	v_cndmask_b32_e64 v4, 0, v4, s1
	v_cmp_gt_i32_e64 s1, s31, v12
	s_delay_alu instid0(VALU_DEP_1) | instskip(SKIP_1) | instid1(VALU_DEP_4)
	v_cndmask_b32_e64 v5, 0, v5, s1
	v_cmp_gt_i32_e64 s1, s14, v13
	v_perm_b32 v4, v4, v9, 0x5040100
	s_delay_alu instid0(VALU_DEP_2) | instskip(NEXT) | instid1(VALU_DEP_1)
	v_cndmask_b32_e64 v8, 0, v29, s1
	v_perm_b32 v5, v8, v5, 0x5040100
	s_or_b32 exec_lo, exec_lo, s19
	global_load_b128 v[6:9], v[10:11], off offset:512
	s_wait_xcnt 0x0
	s_and_saveexec_b32 s19, s0
	s_cbranch_execz .LBB113_53
.LBB113_59:                             ;   in Loop: Header=BB113_50 Depth=1
	v_dual_add_nc_u32 v12, 1, v22 :: v_dual_bitop2_b32 v29, 2, v22 bitop3:0x54
	s_wait_loadcnt 0x0
	v_dual_lshrrev_b32 v13, 16, v6 :: v_dual_lshrrev_b32 v31, 16, v7
	v_or_b32_e32 v40, 4, v22
	s_delay_alu instid0(VALU_DEP_3) | instskip(SKIP_1) | instid1(VALU_DEP_2)
	v_cmp_gt_i32_e64 s1, s14, v12
	v_dual_lshrrev_b32 v42, 16, v9 :: v_dual_bitop2_b32 v41, 7, v22 bitop3:0x54
	v_dual_cndmask_b32 v12, 0, v13, s1 :: v_dual_bitop2_b32 v13, 3, v22 bitop3:0x54
	v_cmp_gt_i32_e64 s1, s31, v22
	s_delay_alu instid0(VALU_DEP_1) | instskip(SKIP_2) | instid1(VALU_DEP_3)
	v_cndmask_b32_e64 v6, 0, v6, s1
	v_cmp_gt_i32_e64 s1, s31, v29
	v_or_b32_e32 v29, 5, v22
	v_perm_b32 v6, v12, v6, 0x5040100
	s_delay_alu instid0(VALU_DEP_3) | instskip(SKIP_1) | instid1(VALU_DEP_1)
	v_cndmask_b32_e64 v7, 0, v7, s1
	v_cmp_gt_i32_e64 s1, s14, v13
	v_cndmask_b32_e64 v13, 0, v31, s1
	v_cmp_gt_i32_e64 s1, s31, v40
	s_delay_alu instid0(VALU_DEP_1) | instskip(SKIP_3) | instid1(VALU_DEP_2)
	v_dual_cndmask_b32 v31, 0, v8, s1 :: v_dual_bitop2_b32 v40, 6, v22 bitop3:0x54
	v_lshrrev_b32_e32 v8, 16, v8
	v_cmp_gt_i32_e64 s1, s14, v29
	v_perm_b32 v7, v13, v7, 0x5040100
	v_cndmask_b32_e64 v8, 0, v8, s1
	v_cmp_gt_i32_e64 s1, s31, v40
	s_delay_alu instid0(VALU_DEP_1) | instskip(SKIP_1) | instid1(VALU_DEP_4)
	v_cndmask_b32_e64 v9, 0, v9, s1
	v_cmp_gt_i32_e64 s1, s14, v41
	v_perm_b32 v8, v8, v31, 0x5040100
	s_delay_alu instid0(VALU_DEP_2) | instskip(NEXT) | instid1(VALU_DEP_1)
	v_cndmask_b32_e64 v29, 0, v42, s1
	v_perm_b32 v9, v29, v9, 0x5040100
	s_or_b32 exec_lo, exec_lo, s19
	global_load_b128 v[10:13], v[10:11], off offset:1024
	s_wait_xcnt 0x0
	s_and_saveexec_b32 s19, s0
	s_cbranch_execnz .LBB113_54
	s_branch .LBB113_55
.LBB113_60:
	s_or_b32 exec_lo, exec_lo, s15
.LBB113_61:
	s_delay_alu instid0(SALU_CYCLE_1)
	s_or_b32 exec_lo, exec_lo, s24
	s_movk_i32 s0, 0x1e0
	v_and_b32_e32 v2, 0x3c0, v0
	v_mad_u32_u24 v6, v1, s0, 0x110
	v_or_b32_e32 v1, 0x60, v0
	s_mov_b32 s0, exec_lo
	s_barrier_signal -1
	s_barrier_wait -1
	v_cmpx_eq_u32_e32 64, v2
	s_cbranch_execz .LBB113_64
; %bb.62:
	v_add_nc_u32_e32 v2, 0xfffffc40, v6
	v_cmp_gt_u32_e32 vcc_lo, 0x78, v1
	s_delay_alu instid0(VALU_DEP_2)
	v_lshl_add_u32 v3, v34, 2, v2
	ds_store_2addr_b32 v3, v24, v25 offset1:32
	ds_store_b32 v3, v36 offset:256
	s_and_b32 exec_lo, exec_lo, vcc_lo
; %bb.63:
	v_lshl_add_u32 v2, v1, 2, v2
	ds_store_b32 v2, v37
.LBB113_64:
	s_or_b32 exec_lo, exec_lo, s0
	v_lshl_add_u32 v7, v34, 2, v6
	s_mov_b32 s0, exec_lo
	s_wait_dscnt 0x0
	s_barrier_signal -1
	s_barrier_wait -1
	v_cmpx_gt_u32_e32 64, v0
	s_cbranch_execz .LBB113_68
; %bb.65:
	v_lshl_or_b32 v4, v0, 2, 0x80
	ds_load_2addr_stride64_b32 v[2:3], v7 offset1:1
	s_mov_b32 s1, exec_lo
	v_add_nc_u32_e32 v4, v6, v4
	ds_load_b32 v5, v4
	s_wait_dscnt 0x1
	v_mov_b32_e32 v4, v2
	v_cmpx_gt_u32_e32 0x78, v1
	s_cbranch_execz .LBB113_67
; %bb.66:
	v_lshl_add_u32 v2, v1, 2, v6
	ds_load_b32 v2, v2
	s_wait_dscnt 0x0
	v_add_f32_e32 v37, v37, v2
.LBB113_67:
	s_or_b32 exec_lo, exec_lo, s1
	s_wait_dscnt 0x0
	v_pk_add_f32 v[24:25], v[24:25], v[4:5]
	v_add_f32_e32 v36, v36, v3
.LBB113_68:
	s_or_b32 exec_lo, exec_lo, s0
	v_and_b32_e32 v2, 0x3e0, v0
	s_mov_b32 s0, exec_lo
	s_barrier_signal -1
	s_barrier_wait -1
	s_delay_alu instid0(VALU_DEP_1)
	v_cmpx_eq_u32_e32 32, v2
	s_cbranch_execz .LBB113_71
; %bb.69:
	v_lshl_add_u32 v2, v34, 2, 0x110
	v_cmp_gt_u32_e32 vcc_lo, 0x78, v1
	ds_store_b32 v2, v24
	ds_store_b32 v35, v25
	ds_store_b32 v2, v36 offset:256
	s_and_b32 exec_lo, exec_lo, vcc_lo
; %bb.70:
	v_lshl_add_u32 v2, v1, 2, 0x110
	ds_store_b32 v2, v37
.LBB113_71:
	s_or_b32 exec_lo, exec_lo, s0
	v_cmp_gt_u32_e32 vcc_lo, 32, v0
	s_wait_dscnt 0x0
	s_barrier_signal -1
	s_barrier_wait -1
	s_and_saveexec_b32 s1, vcc_lo
	s_cbranch_execz .LBB113_75
; %bb.72:
	v_lshl_add_u32 v6, v0, 2, v6
	s_mov_b32 s2, exec_lo
	ds_load_2addr_b32 v[2:3], v6 offset0:32 offset1:64
	ds_load_b32 v4, v7
	s_wait_dscnt 0x1
	v_mov_b32_e32 v5, v2
	v_cmpx_gt_u32_e32 0x78, v1
	s_cbranch_execz .LBB113_74
; %bb.73:
	ds_load_b32 v2, v6 offset:384
	s_wait_dscnt 0x0
	v_add_f32_e32 v37, v37, v2
.LBB113_74:
	s_or_b32 exec_lo, exec_lo, s2
	s_wait_dscnt 0x0
	v_pk_add_f32 v[24:25], v[24:25], v[4:5]
	v_add_f32_e32 v36, v36, v3
.LBB113_75:
	s_or_b32 exec_lo, exec_lo, s1
	s_barrier_signal -1
	s_barrier_wait -1
	s_and_saveexec_b32 s0, vcc_lo
	s_cbranch_execz .LBB113_78
; %bb.76:
	s_mul_i32 s1, s30, s7
	s_mul_i32 s0, s7, s6
	;; [unrolled: 1-line block ×3, first 2 shown]
	s_bfe_u32 s7, ttmp6, 0x40014
	s_mul_i32 s2, s1, 0x78
	s_lshr_b32 s6, ttmp7, 16
	s_ashr_i32 s3, s2, 31
	s_add_co_i32 s7, s7, 1
	s_lshl_b64 s[2:3], s[2:3], 1
	s_ashr_i32 s1, s0, 31
	s_wait_kmcnt 0x0
	s_add_nc_u64 s[2:3], s[4:5], s[2:3]
	s_mul_i32 s4, s6, s7
	s_bfe_u32 s5, ttmp6, 0x40008
	s_lshl_b64 s[0:1], s[0:1], 1
	s_add_co_i32 s5, s5, s4
	s_cmp_eq_u32 s28, 0
	s_add_nc_u64 s[0:1], s[2:3], s[0:1]
	s_cselect_b32 s2, s6, s5
	s_mov_b32 s3, 0
	s_mulk_i32 s2, 0xf0
	v_cmp_gt_u32_e32 vcc_lo, 0x78, v1
	s_add_nc_u64 s[0:1], s[0:1], s[2:3]
	s_delay_alu instid0(SALU_CYCLE_1)
	v_cvt_pk_bf16_f32 v2, v24, s0
	v_cvt_pk_bf16_f32 v3, v25, s0
	v_cvt_pk_bf16_f32 v4, v36, s0
	s_clause 0x2
	global_store_b16 v0, v2, s[0:1] scale_offset
	global_store_b16 v0, v3, s[0:1] offset:64 scale_offset
	global_store_b16 v0, v4, s[0:1] offset:128 scale_offset
	s_wait_xcnt 0x0
	s_and_b32 exec_lo, exec_lo, vcc_lo
	s_cbranch_execz .LBB113_78
; %bb.77:
	v_dual_mov_b32 v1, 0 :: v_dual_lshlrev_b32 v0, 1, v0
	v_cvt_pk_bf16_f32 v2, v37, s0
	s_delay_alu instid0(VALU_DEP_2)
	v_add_nc_u64_e32 v[0:1], s[0:1], v[0:1]
	global_store_b16 v[0:1], v2, off offset:192
.LBB113_78:
	s_endpgm
	.section	.rodata,"a",@progbits
	.p2align	6, 0x0
	.amdhsa_kernel _ZN4vllm25paged_attention_v1_kernelI14__hip_bfloat16S1_Li120ELi8ELi128ELNS_18Fp8KVCacheDataTypeE0ELb1EEEvPT_PKS3_PKT0_S9_ifPKiSB_iPKfiiiSD_SD_iiiii
		.amdhsa_group_segment_fixed_size 272
		.amdhsa_private_segment_fixed_size 0
		.amdhsa_kernarg_size 384
		.amdhsa_user_sgpr_count 2
		.amdhsa_user_sgpr_dispatch_ptr 0
		.amdhsa_user_sgpr_queue_ptr 0
		.amdhsa_user_sgpr_kernarg_segment_ptr 1
		.amdhsa_user_sgpr_dispatch_id 0
		.amdhsa_user_sgpr_kernarg_preload_length 0
		.amdhsa_user_sgpr_kernarg_preload_offset 0
		.amdhsa_user_sgpr_private_segment_size 0
		.amdhsa_wavefront_size32 1
		.amdhsa_uses_dynamic_stack 0
		.amdhsa_enable_private_segment 0
		.amdhsa_system_sgpr_workgroup_id_x 1
		.amdhsa_system_sgpr_workgroup_id_y 1
		.amdhsa_system_sgpr_workgroup_id_z 1
		.amdhsa_system_sgpr_workgroup_info 0
		.amdhsa_system_vgpr_workitem_id 0
		.amdhsa_next_free_vgpr 45
		.amdhsa_next_free_sgpr 40
		.amdhsa_named_barrier_count 0
		.amdhsa_reserve_vcc 1
		.amdhsa_float_round_mode_32 0
		.amdhsa_float_round_mode_16_64 0
		.amdhsa_float_denorm_mode_32 3
		.amdhsa_float_denorm_mode_16_64 3
		.amdhsa_fp16_overflow 0
		.amdhsa_memory_ordered 1
		.amdhsa_forward_progress 1
		.amdhsa_inst_pref_size 55
		.amdhsa_round_robin_scheduling 0
		.amdhsa_exception_fp_ieee_invalid_op 0
		.amdhsa_exception_fp_denorm_src 0
		.amdhsa_exception_fp_ieee_div_zero 0
		.amdhsa_exception_fp_ieee_overflow 0
		.amdhsa_exception_fp_ieee_underflow 0
		.amdhsa_exception_fp_ieee_inexact 0
		.amdhsa_exception_int_div_zero 0
	.end_amdhsa_kernel
	.section	.text._ZN4vllm25paged_attention_v1_kernelI14__hip_bfloat16S1_Li120ELi8ELi128ELNS_18Fp8KVCacheDataTypeE0ELb1EEEvPT_PKS3_PKT0_S9_ifPKiSB_iPKfiiiSD_SD_iiiii,"axG",@progbits,_ZN4vllm25paged_attention_v1_kernelI14__hip_bfloat16S1_Li120ELi8ELi128ELNS_18Fp8KVCacheDataTypeE0ELb1EEEvPT_PKS3_PKT0_S9_ifPKiSB_iPKfiiiSD_SD_iiiii,comdat
.Lfunc_end113:
	.size	_ZN4vllm25paged_attention_v1_kernelI14__hip_bfloat16S1_Li120ELi8ELi128ELNS_18Fp8KVCacheDataTypeE0ELb1EEEvPT_PKS3_PKT0_S9_ifPKiSB_iPKfiiiSD_SD_iiiii, .Lfunc_end113-_ZN4vllm25paged_attention_v1_kernelI14__hip_bfloat16S1_Li120ELi8ELi128ELNS_18Fp8KVCacheDataTypeE0ELb1EEEvPT_PKS3_PKT0_S9_ifPKiSB_iPKfiiiSD_SD_iiiii
                                        ; -- End function
	.set _ZN4vllm25paged_attention_v1_kernelI14__hip_bfloat16S1_Li120ELi8ELi128ELNS_18Fp8KVCacheDataTypeE0ELb1EEEvPT_PKS3_PKT0_S9_ifPKiSB_iPKfiiiSD_SD_iiiii.num_vgpr, 45
	.set _ZN4vllm25paged_attention_v1_kernelI14__hip_bfloat16S1_Li120ELi8ELi128ELNS_18Fp8KVCacheDataTypeE0ELb1EEEvPT_PKS3_PKT0_S9_ifPKiSB_iPKfiiiSD_SD_iiiii.num_agpr, 0
	.set _ZN4vllm25paged_attention_v1_kernelI14__hip_bfloat16S1_Li120ELi8ELi128ELNS_18Fp8KVCacheDataTypeE0ELb1EEEvPT_PKS3_PKT0_S9_ifPKiSB_iPKfiiiSD_SD_iiiii.numbered_sgpr, 40
	.set _ZN4vllm25paged_attention_v1_kernelI14__hip_bfloat16S1_Li120ELi8ELi128ELNS_18Fp8KVCacheDataTypeE0ELb1EEEvPT_PKS3_PKT0_S9_ifPKiSB_iPKfiiiSD_SD_iiiii.num_named_barrier, 0
	.set _ZN4vllm25paged_attention_v1_kernelI14__hip_bfloat16S1_Li120ELi8ELi128ELNS_18Fp8KVCacheDataTypeE0ELb1EEEvPT_PKS3_PKT0_S9_ifPKiSB_iPKfiiiSD_SD_iiiii.private_seg_size, 0
	.set _ZN4vllm25paged_attention_v1_kernelI14__hip_bfloat16S1_Li120ELi8ELi128ELNS_18Fp8KVCacheDataTypeE0ELb1EEEvPT_PKS3_PKT0_S9_ifPKiSB_iPKfiiiSD_SD_iiiii.uses_vcc, 1
	.set _ZN4vllm25paged_attention_v1_kernelI14__hip_bfloat16S1_Li120ELi8ELi128ELNS_18Fp8KVCacheDataTypeE0ELb1EEEvPT_PKS3_PKT0_S9_ifPKiSB_iPKfiiiSD_SD_iiiii.uses_flat_scratch, 0
	.set _ZN4vllm25paged_attention_v1_kernelI14__hip_bfloat16S1_Li120ELi8ELi128ELNS_18Fp8KVCacheDataTypeE0ELb1EEEvPT_PKS3_PKT0_S9_ifPKiSB_iPKfiiiSD_SD_iiiii.has_dyn_sized_stack, 0
	.set _ZN4vllm25paged_attention_v1_kernelI14__hip_bfloat16S1_Li120ELi8ELi128ELNS_18Fp8KVCacheDataTypeE0ELb1EEEvPT_PKS3_PKT0_S9_ifPKiSB_iPKfiiiSD_SD_iiiii.has_recursion, 0
	.set _ZN4vllm25paged_attention_v1_kernelI14__hip_bfloat16S1_Li120ELi8ELi128ELNS_18Fp8KVCacheDataTypeE0ELb1EEEvPT_PKS3_PKT0_S9_ifPKiSB_iPKfiiiSD_SD_iiiii.has_indirect_call, 0
	.section	.AMDGPU.csdata,"",@progbits
; Kernel info:
; codeLenInByte = 6940
; TotalNumSgprs: 42
; NumVgprs: 45
; ScratchSize: 0
; MemoryBound: 0
; FloatMode: 240
; IeeeMode: 1
; LDSByteSize: 272 bytes/workgroup (compile time only)
; SGPRBlocks: 0
; VGPRBlocks: 2
; NumSGPRsForWavesPerEU: 42
; NumVGPRsForWavesPerEU: 45
; NamedBarCnt: 0
; Occupancy: 16
; WaveLimiterHint : 1
; COMPUTE_PGM_RSRC2:SCRATCH_EN: 0
; COMPUTE_PGM_RSRC2:USER_SGPR: 2
; COMPUTE_PGM_RSRC2:TRAP_HANDLER: 0
; COMPUTE_PGM_RSRC2:TGID_X_EN: 1
; COMPUTE_PGM_RSRC2:TGID_Y_EN: 1
; COMPUTE_PGM_RSRC2:TGID_Z_EN: 1
; COMPUTE_PGM_RSRC2:TIDIG_COMP_CNT: 0
	.section	.text._ZN4vllm25paged_attention_v1_kernelI14__hip_bfloat16S1_Li128ELi8ELi128ELNS_18Fp8KVCacheDataTypeE0ELb1EEEvPT_PKS3_PKT0_S9_ifPKiSB_iPKfiiiSD_SD_iiiii,"axG",@progbits,_ZN4vllm25paged_attention_v1_kernelI14__hip_bfloat16S1_Li128ELi8ELi128ELNS_18Fp8KVCacheDataTypeE0ELb1EEEvPT_PKS3_PKT0_S9_ifPKiSB_iPKfiiiSD_SD_iiiii,comdat
	.protected	_ZN4vllm25paged_attention_v1_kernelI14__hip_bfloat16S1_Li128ELi8ELi128ELNS_18Fp8KVCacheDataTypeE0ELb1EEEvPT_PKS3_PKT0_S9_ifPKiSB_iPKfiiiSD_SD_iiiii ; -- Begin function _ZN4vllm25paged_attention_v1_kernelI14__hip_bfloat16S1_Li128ELi8ELi128ELNS_18Fp8KVCacheDataTypeE0ELb1EEEvPT_PKS3_PKT0_S9_ifPKiSB_iPKfiiiSD_SD_iiiii
	.globl	_ZN4vllm25paged_attention_v1_kernelI14__hip_bfloat16S1_Li128ELi8ELi128ELNS_18Fp8KVCacheDataTypeE0ELb1EEEvPT_PKS3_PKT0_S9_ifPKiSB_iPKfiiiSD_SD_iiiii
	.p2align	8
	.type	_ZN4vllm25paged_attention_v1_kernelI14__hip_bfloat16S1_Li128ELi8ELi128ELNS_18Fp8KVCacheDataTypeE0ELb1EEEvPT_PKS3_PKT0_S9_ifPKiSB_iPKfiiiSD_SD_iiiii,@function
_ZN4vllm25paged_attention_v1_kernelI14__hip_bfloat16S1_Li128ELi8ELi128ELNS_18Fp8KVCacheDataTypeE0ELb1EEEvPT_PKS3_PKT0_S9_ifPKiSB_iPKfiiiSD_SD_iiiii: ; @_ZN4vllm25paged_attention_v1_kernelI14__hip_bfloat16S1_Li128ELi8ELi128ELNS_18Fp8KVCacheDataTypeE0ELb1EEEvPT_PKS3_PKT0_S9_ifPKiSB_iPKfiiiSD_SD_iiiii
; %bb.0:
	s_load_b64 s[6:7], s[0:1], 0x20
	s_bfe_u32 s3, ttmp6, 0x4000c
	s_bfe_u32 s5, ttmp6, 0x40010
	s_and_b32 s4, ttmp7, 0xffff
	s_add_co_i32 s3, s3, 1
	s_add_co_i32 s5, s5, 1
	s_and_b32 s2, ttmp6, 15
	s_bfe_u32 s8, ttmp6, 0x40004
	s_mul_i32 s3, ttmp9, s3
	s_mul_i32 s5, s4, s5
	s_getreg_b32 s28, hwreg(HW_REG_IB_STS2, 6, 4)
	s_add_co_i32 s9, s2, s3
	s_add_co_i32 s8, s8, s5
	s_cmp_eq_u32 s28, 0
	s_clause 0x1
	s_load_b32 s29, s[0:1], 0x80
	s_load_b64 s[2:3], s[0:1], 0x30
	s_cselect_b32 s30, s4, s8
	s_cselect_b32 s4, ttmp9, s9
	s_mov_b32 s19, 0
	s_delay_alu instid0(SALU_CYCLE_1) | instskip(SKIP_2) | instid1(SALU_CYCLE_1)
	s_mov_b32 s35, s19
	s_wait_kmcnt 0x0
	s_abs_i32 s5, s6
	s_cvt_f32_u32 s8, s5
	s_sub_co_i32 s9, 0, s5
	s_delay_alu instid0(SALU_CYCLE_2) | instskip(SKIP_2) | instid1(TRANS32_DEP_1)
	v_rcp_iflag_f32_e32 v1, s8
	s_abs_i32 s10, s29
	v_nop
	v_readfirstlane_b32 s8, v1
	s_mul_f32 s8, s8, 0x4f7ffffe
	s_delay_alu instid0(SALU_CYCLE_3) | instskip(NEXT) | instid1(SALU_CYCLE_3)
	s_cvt_u32_f32 s8, s8
	s_mul_i32 s9, s9, s8
	s_delay_alu instid0(SALU_CYCLE_1) | instskip(NEXT) | instid1(SALU_CYCLE_1)
	s_mul_hi_u32 s9, s8, s9
	s_add_co_i32 s8, s8, s9
	s_xor_b32 s9, s29, s6
	s_mul_hi_u32 s8, s10, s8
	s_ashr_i32 s9, s9, 31
	s_mul_i32 s11, s8, s5
	s_delay_alu instid0(SALU_CYCLE_1)
	s_sub_co_i32 s10, s10, s11
	s_add_co_i32 s11, s8, 1
	s_sub_co_i32 s12, s10, s5
	s_cmp_ge_u32 s10, s5
	s_cselect_b32 s8, s11, s8
	s_cselect_b32 s10, s12, s10
	s_add_co_i32 s11, s8, 1
	s_cmp_ge_u32 s10, s5
	s_cselect_b32 s5, s11, s8
	s_load_b64 s[10:11], s[0:1], 0x40
	s_xor_b32 s5, s5, s9
	s_abs_i32 s18, s4
	s_sub_co_i32 s16, s5, s9
	s_mov_b32 s9, s19
	s_abs_i32 s15, s16
	s_delay_alu instid0(SALU_CYCLE_1) | instskip(SKIP_1) | instid1(SALU_CYCLE_2)
	s_cvt_f32_u32 s5, s15
	s_sub_co_i32 s8, 0, s15
	v_rcp_iflag_f32_e32 v1, s5
	v_nop
	s_delay_alu instid0(TRANS32_DEP_1) | instskip(SKIP_1) | instid1(SALU_CYCLE_3)
	v_readfirstlane_b32 s5, v1
	s_mul_f32 s5, s5, 0x4f7ffffe
	s_cvt_u32_f32 s5, s5
	s_delay_alu instid0(SALU_CYCLE_3) | instskip(NEXT) | instid1(SALU_CYCLE_1)
	s_mul_i32 s8, s8, s5
	s_mul_hi_u32 s8, s5, s8
	s_delay_alu instid0(SALU_CYCLE_1)
	s_add_co_i32 s8, s5, s8
	s_wait_kmcnt 0x0
	s_cmp_eq_u64 s[10:11], 0
	s_cbranch_scc1 .LBB114_2
; %bb.1:
	s_ashr_i32 s5, s4, 31
	s_delay_alu instid0(SALU_CYCLE_1) | instskip(NEXT) | instid1(SALU_CYCLE_1)
	s_lshl_b64 s[12:13], s[4:5], 2
	s_add_nc_u64 s[10:11], s[10:11], s[12:13]
	s_load_b32 s35, s[10:11], 0x0
.LBB114_2:
	s_load_b32 s31, s[2:3], s30 offset:0x0 scale_offset
	s_load_b96 s[12:14], s[0:1], 0x48
	v_and_b32_e32 v4, 3, v0
	s_wait_xcnt 0x0
	v_cmp_gt_u32_e64 s2, 64, v0
	s_ashr_i32 s3, s4, 31
	s_ashr_i32 s5, s16, 31
	s_mul_u64 s[20:21], s[18:19], s[8:9]
	s_lshl_b32 s16, s4, 7
	s_and_saveexec_b32 s8, s2
	s_cbranch_execz .LBB114_4
; %bb.3:
	s_load_b64 s[10:11], s[0:1], 0x8
	s_wait_kmcnt 0x0
	s_mul_i32 s22, s12, s30
	s_ashr_i32 s17, s16, 31
	s_ashr_i32 s23, s22, 31
	v_and_b32_e32 v2, 0x3fc, v0
	s_lshl_b64 s[22:23], s[22:23], 1
	s_delay_alu instid0(VALU_DEP_1) | instskip(SKIP_2) | instid1(SALU_CYCLE_1)
	v_lshl_add_u32 v2, v4, 6, v2
	s_add_nc_u64 s[10:11], s[10:11], s[22:23]
	s_lshl_b64 s[22:23], s[16:17], 1
	s_add_nc_u64 s[10:11], s[10:11], s[22:23]
	global_load_b32 v1, v0, s[10:11] scale_offset
	s_wait_loadcnt 0x0
	ds_store_b32 v2, v1
.LBB114_4:
	s_or_b32 exec_lo, exec_lo, s8
	s_load_b128 s[8:11], s[0:1], 0x68
	s_wait_kmcnt 0x0
	s_mul_i32 s12, s21, s15
	s_xor_b32 s5, s3, s5
	s_sub_co_i32 s3, s18, s12
	s_add_co_i32 s12, s21, 1
	s_sub_co_i32 s17, s3, s15
	s_cmp_ge_u32 s3, s15
	s_mov_b32 s22, -1
	s_cselect_b32 s12, s12, s21
	s_cselect_b32 s3, s17, s3
	s_add_co_i32 s17, s12, 1
	s_cmp_ge_u32 s3, s15
	s_load_b32 s3, s[0:1], 0x78
	s_cselect_b32 s15, s17, s12
	s_mov_b32 s21, 0
	s_xor_b32 s15, s15, s5
	s_mov_b32 s19, s21
	s_sub_co_i32 s5, s15, s5
	s_wait_dscnt 0x0
	s_barrier_signal -1
	s_abs_i32 s12, s11
	s_barrier_wait -1
	s_cvt_f32_u32 s17, s12
	s_sub_co_i32 s18, 0, s12
	s_delay_alu instid0(SALU_CYCLE_2) | instskip(SKIP_1) | instid1(TRANS32_DEP_1)
	v_rcp_iflag_f32_e32 v1, s17
	v_nop
	v_readfirstlane_b32 s17, v1
	s_mul_f32 s15, s17, 0x4f7ffffe
	s_delay_alu instid0(SALU_CYCLE_3) | instskip(SKIP_1) | instid1(SALU_CYCLE_1)
	s_cvt_u32_f32 s17, s15
	s_add_co_i32 s15, s31, -1
	s_abs_i32 s20, s15
	s_delay_alu instid0(SALU_CYCLE_1) | instskip(NEXT) | instid1(SALU_CYCLE_1)
	s_mul_i32 s18, s18, s17
	s_mul_hi_u32 s18, s17, s18
	s_delay_alu instid0(SALU_CYCLE_1)
	s_add_co_i32 s18, s17, s18
	s_wait_kmcnt 0x0
	s_cmp_lt_i32 s3, 0
                                        ; implicit-def: $sgpr17
	s_cbranch_scc0 .LBB114_6
; %bb.5:
	s_mul_i32 s6, s8, s6
	s_mov_b32 s22, s21
	s_add_co_i32 s6, s5, s6
	s_delay_alu instid0(SALU_CYCLE_1) | instskip(NEXT) | instid1(SALU_CYCLE_1)
	s_mul_i32 s6, s6, s3
	s_sub_co_i32 s17, 1, s6
.LBB114_6:
	s_ashr_i32 s6, s15, 31
	s_ashr_i32 s33, s11, 31
	s_and_not1_b32 vcc_lo, exec_lo, s22
	s_mul_u64 s[24:25], s[20:21], s[18:19]
	s_cbranch_vccnz .LBB114_8
; %bb.7:
	s_mul_i32 s8, s29, s8
	s_delay_alu instid0(SALU_CYCLE_1) | instskip(NEXT) | instid1(SALU_CYCLE_1)
	s_add_co_i32 s4, s8, s4
	s_mul_i32 s3, s4, s3
	s_delay_alu instid0(SALU_CYCLE_1)
	s_add_co_i32 s17, s3, 1
.LBB114_8:
	s_load_b32 s3, s[0:1], 0x38
	s_xor_b32 s4, s6, s33
	s_mul_i32 s6, s25, s12
	s_add_co_i32 s8, s25, 1
	s_sub_co_i32 s6, s20, s6
	s_clause 0x1
	s_load_b64 s[20:21], s[0:1], 0x28
	s_load_b32 s11, s[0:1], 0x88
	v_dual_mov_b32 v12, 0xff7fffff :: v_dual_lshrrev_b32 v1, 5, v0
	v_lshrrev_b32_e32 v8, 3, v0
	v_mbcnt_lo_u32_b32 v9, -1, 0
	s_mul_i32 s14, s5, s14
	s_delay_alu instid0(VALU_DEP_3)
	v_lshlrev_b32_e32 v26, 3, v1
	s_wait_kmcnt 0x0
	s_mul_i32 s22, s3, s30
	s_sub_co_i32 s3, s6, s12
	s_ashr_i32 s23, s22, 31
	s_cmp_ge_u32 s6, s12
	s_cselect_b32 s8, s8, s25
	s_cselect_b32 s3, s3, s6
	s_add_co_i32 s6, s8, 1
	s_cmp_ge_u32 s3, s12
	s_cselect_b32 s3, s6, s8
	s_add_co_i32 s6, s31, 7
	s_delay_alu instid0(SALU_CYCLE_1) | instskip(NEXT) | instid1(SALU_CYCLE_1)
	s_ashr_i32 s8, s6, 31
	s_lshr_b32 s8, s8, 29
	s_delay_alu instid0(SALU_CYCLE_1) | instskip(NEXT) | instid1(SALU_CYCLE_1)
	s_add_co_i32 s6, s6, s8
	s_ashr_i32 s34, s6, 3
	s_xor_b32 s6, s3, s4
	v_cmp_gt_i32_e64 s3, s34, v1
	s_sub_co_i32 s8, s6, s4
	s_and_saveexec_b32 s36, s3
	s_cbranch_execz .LBB114_20
; %bb.9:
	s_load_b64 s[38:39], s[0:1], 0x10
	s_ashr_i32 s15, s14, 31
	s_sub_co_i32 s37, s8, s9
	s_ashr_i32 s25, s13, 31
	s_lshl_b64 s[40:41], s[14:15], 1
	s_cmp_neq_f32 s35, 0
	v_bfe_u32 v10, v0, 2, 3
	v_mov_b32_e32 v3, 0
	v_mov_b32_e32 v15, 0xff7fffff
	s_cselect_b32 vcc_lo, -1, 0
	s_abs_i32 s15, s10
	v_lshlrev_b32_e32 v2, 4, v10
	s_cvt_f32_u32 s4, s15
	v_subrev_nc_u32_e32 v7, s31, v10
	v_lshlrev_b32_e32 v6, 2, v0
	s_sub_co_i32 s6, 0, s15
	v_rcp_iflag_f32_e32 v5, s4
	v_cmp_eq_u32_e64 s4, 0, v4
	v_dual_add_nc_u32 v13, 1, v7 :: v_dual_lshlrev_b32 v11, 6, v4
	s_wait_kmcnt 0x0
	s_add_nc_u64 s[38:39], s[38:39], s[40:41]
	v_dual_mov_b32 v18, v1 :: v_dual_bitop2_b32 v16, 2, v9 bitop3:0x14
	s_delay_alu instid0(TRANS32_DEP_1)
	v_readfirstlane_b32 s5, v5
	v_add_nc_u64_e32 v[4:5], s[38:39], v[2:3]
	v_and_b32_e32 v2, 12, v6
	v_lshlrev_b32_e32 v6, 2, v10
	s_lshl_b64 s[38:39], s[22:23], 2
	s_mul_f32 s5, s5, 0x4f7ffffe
	s_add_nc_u64 s[38:39], s[20:21], s[38:39]
	v_xor_b32_e32 v17, 1, v9
	v_add_nc_u64_e32 v[4:5], v[4:5], v[2:3]
	v_and_b32_e32 v2, 0x7c, v8
	s_cvt_u32_f32 s5, s5
	v_lshl_or_b32 v12, v1, 5, v6
	s_mov_b32 s27, 0
	s_mov_b32 s24, s13
	v_add_nc_u64_e32 v[6:7], s[38:39], v[2:3]
	s_mul_i32 s6, s6, s5
	v_lshlrev_b32_e32 v2, 3, v1
	v_add_nc_u32_e32 v14, 0x120, v12
	v_mov_b32_e32 v12, 0xff7fffff
	s_mul_hi_u32 s6, s5, s6
	s_mov_b32 s38, s27
	s_add_co_i32 s26, s5, s6
	s_branch .LBB114_12
.LBB114_10:                             ;   in Loop: Header=BB114_12 Depth=1
	s_or_b32 exec_lo, exec_lo, s39
.LBB114_11:                             ;   in Loop: Header=BB114_12 Depth=1
	s_delay_alu instid0(SALU_CYCLE_1) | instskip(SKIP_4) | instid1(VALU_DEP_4)
	s_or_b32 exec_lo, exec_lo, s6
	v_add_nc_u32_e32 v18, 4, v18
	v_add_nc_u64_e32 v[6:7], 16, v[6:7]
	v_add_nc_u32_e32 v2, 32, v2
	v_add_nc_u32_e32 v14, 0x80, v14
	v_cmp_le_i32_e64 s5, s34, v18
	s_or_b32 s38, s5, s38
	s_delay_alu instid0(SALU_CYCLE_1)
	s_and_not1_b32 exec_lo, exec_lo, s38
	s_cbranch_execz .LBB114_19
.LBB114_12:                             ; =>This Inner Loop Header: Depth=1
	s_wait_dscnt 0x0
	v_mul_u64_e32 v[20:21], s[18:19], v[2:3]
	s_delay_alu instid0(VALU_DEP_1) | instskip(NEXT) | instid1(VALU_DEP_1)
	v_mul_lo_u32 v19, v21, s12
	v_dual_add_nc_u32 v20, 1, v21 :: v_dual_sub_nc_u32 v19, v2, v19
	s_delay_alu instid0(VALU_DEP_1) | instskip(SKIP_1) | instid1(VALU_DEP_1)
	v_subrev_nc_u32_e32 v22, s12, v19
	v_cmp_le_u32_e64 s5, s12, v19
	v_dual_cndmask_b32 v20, v21, v20, s5 :: v_dual_cndmask_b32 v19, v19, v22, s5
	s_delay_alu instid0(VALU_DEP_1) | instskip(NEXT) | instid1(VALU_DEP_2)
	v_add_nc_u32_e32 v21, 1, v20
	v_cmp_le_u32_e64 s5, s12, v19
	s_delay_alu instid0(VALU_DEP_1) | instskip(NEXT) | instid1(VALU_DEP_1)
	v_dual_cndmask_b32 v19, v20, v21, s5 :: v_dual_mov_b32 v21, v3
	v_xor_b32_e32 v19, s33, v19
	s_delay_alu instid0(VALU_DEP_1) | instskip(NEXT) | instid1(VALU_DEP_1)
	v_subrev_nc_u32_e32 v19, s33, v19
	v_add_nc_u32_e32 v24, s17, v19
	v_cmp_ge_i32_e64 s6, s37, v19
	s_delay_alu instid0(VALU_DEP_2) | instskip(NEXT) | instid1(VALU_DEP_1)
	v_sub_nc_u32_e32 v20, 0, v24
	v_max_i32_e32 v20, v24, v20
	s_delay_alu instid0(VALU_DEP_1) | instskip(SKIP_1) | instid1(VALU_DEP_2)
	v_mul_u64_e32 v[22:23], s[26:27], v[20:21]
	v_ashrrev_i32_e32 v22, 31, v24
	v_mul_lo_u32 v21, v23, s15
	s_delay_alu instid0(VALU_DEP_1) | instskip(NEXT) | instid1(VALU_DEP_1)
	v_sub_nc_u32_e32 v20, v20, v21
	v_subrev_nc_u32_e32 v21, s15, v20
	v_cmp_le_u32_e64 s5, s15, v20
	s_delay_alu instid0(VALU_DEP_1) | instskip(NEXT) | instid1(VALU_DEP_1)
	v_cndmask_b32_e64 v20, v20, v21, s5
	v_subrev_nc_u32_e32 v21, s15, v20
	v_cmp_le_u32_e64 s5, s15, v20
	s_delay_alu instid0(VALU_DEP_1) | instskip(NEXT) | instid1(VALU_DEP_1)
	v_cndmask_b32_e64 v20, v20, v21, s5
	v_xor_b32_e32 v20, v20, v22
	s_delay_alu instid0(VALU_DEP_1) | instskip(NEXT) | instid1(VALU_DEP_1)
	v_sub_nc_u32_e32 v20, v20, v22
	v_cmp_ne_u32_e64 s5, 0, v20
	s_and_b32 s5, s5, s6
	s_delay_alu instid0(SALU_CYCLE_1) | instskip(NEXT) | instid1(SALU_CYCLE_1)
	s_and_saveexec_b32 s6, s5
	s_xor_b32 s5, exec_lo, s6
	s_cbranch_execz .LBB114_16
; %bb.13:                               ;   in Loop: Header=BB114_12 Depth=1
	s_and_saveexec_b32 s6, s4
; %bb.14:                               ;   in Loop: Header=BB114_12 Depth=1
	ds_store_b32 v14, v15
; %bb.15:                               ;   in Loop: Header=BB114_12 Depth=1
	s_or_b32 exec_lo, exec_lo, s6
.LBB114_16:                             ;   in Loop: Header=BB114_12 Depth=1
	s_and_not1_saveexec_b32 s6, s5
	s_cbranch_execz .LBB114_11
; %bb.17:                               ;   in Loop: Header=BB114_12 Depth=1
	global_load_b32 v20, v[6:7], off
	v_cmp_gt_i32_e64 s5, 32, v16
	s_wait_loadcnt 0x0
	v_ashrrev_i32_e32 v21, 31, v20
	s_delay_alu instid0(VALU_DEP_1) | instskip(NEXT) | instid1(VALU_DEP_1)
	v_mul_u64_e32 v[20:21], s[24:25], v[20:21]
	v_lshl_add_u64 v[20:21], v[20:21], 1, v[4:5]
	s_clause 0xf
	global_load_b32 v19, v[20:21], off offset:128
	global_load_b32 v24, v[20:21], off
	global_load_b32 v25, v[20:21], off offset:256
	global_load_b32 v27, v[20:21], off offset:384
	;; [unrolled: 1-line block ×14, first 2 shown]
	s_wait_xcnt 0x0
	ds_load_b128 v[20:23], v11
	ds_load_b128 v[28:31], v11 offset:16
	s_wait_loadcnt 0xf
	v_lshlrev_b32_e32 v45, 16, v19
	v_and_b32_e32 v19, 0xffff0000, v19
	s_wait_dscnt 0x1
	v_lshlrev_b32_e32 v44, 16, v21
	v_and_b32_e32 v21, 0xffff0000, v21
	s_delay_alu instid0(VALU_DEP_1) | instskip(SKIP_1) | instid1(VALU_DEP_1)
	v_dual_mul_f32 v19, v21, v19 :: v_dual_mul_f32 v44, v44, v45
	s_wait_loadcnt 0xe
	v_fma_mix_f32_bf16 v19, v20, v24, v19 op_sel:[1,1,0] op_sel_hi:[1,1,0]
	s_delay_alu instid0(VALU_DEP_2) | instskip(SKIP_1) | instid1(VALU_DEP_2)
	v_fma_mix_f32_bf16 v21, v20, v24, v44 op_sel_hi:[1,1,0]
	s_wait_loadcnt 0xd
	v_fma_mix_f32_bf16 v19, v22, v25, v19 op_sel:[1,1,0] op_sel_hi:[1,1,0]
	s_delay_alu instid0(VALU_DEP_2) | instskip(SKIP_1) | instid1(VALU_DEP_2)
	v_fma_mix_f32_bf16 v20, v22, v25, v21 op_sel_hi:[1,1,0]
	s_wait_loadcnt 0xc
	v_fma_mix_f32_bf16 v19, v23, v27, v19 op_sel:[1,1,0] op_sel_hi:[1,1,0]
	s_delay_alu instid0(VALU_DEP_2)
	v_fma_mix_f32_bf16 v24, v23, v27, v20 op_sel_hi:[1,1,0]
	ds_load_b128 v[20:23], v11 offset:32
	s_wait_loadcnt_dscnt 0xb01
	v_fma_mix_f32_bf16 v19, v28, v32, v19 op_sel:[1,1,0] op_sel_hi:[1,1,0]
	v_fma_mix_f32_bf16 v24, v28, v32, v24 op_sel_hi:[1,1,0]
	s_wait_loadcnt 0xa
	s_delay_alu instid0(VALU_DEP_2) | instskip(NEXT) | instid1(VALU_DEP_2)
	v_fma_mix_f32_bf16 v19, v29, v33, v19 op_sel:[1,1,0] op_sel_hi:[1,1,0]
	v_fma_mix_f32_bf16 v24, v29, v33, v24 op_sel_hi:[1,1,0]
	s_wait_loadcnt 0x9
	s_delay_alu instid0(VALU_DEP_2) | instskip(NEXT) | instid1(VALU_DEP_2)
	;; [unrolled: 4-line block ×3, first 2 shown]
	v_fma_mix_f32_bf16 v19, v31, v35, v19 op_sel:[1,1,0] op_sel_hi:[1,1,0]
	v_fma_mix_f32_bf16 v24, v31, v35, v24 op_sel_hi:[1,1,0]
	ds_load_b128 v[28:31], v11 offset:48
	s_wait_loadcnt_dscnt 0x701
	v_fma_mix_f32_bf16 v19, v20, v36, v19 op_sel:[1,1,0] op_sel_hi:[1,1,0]
	v_fma_mix_f32_bf16 v24, v20, v36, v24 op_sel_hi:[1,1,0]
	s_wait_loadcnt 0x6
	s_delay_alu instid0(VALU_DEP_2) | instskip(NEXT) | instid1(VALU_DEP_2)
	v_fma_mix_f32_bf16 v19, v21, v37, v19 op_sel:[1,1,0] op_sel_hi:[1,1,0]
	v_fma_mix_f32_bf16 v20, v21, v37, v24 op_sel_hi:[1,1,0]
	v_cndmask_b32_e64 v21, v9, v16, s5
	v_cmp_gt_i32_e64 s5, 32, v17
	s_wait_loadcnt 0x5
	v_fma_mix_f32_bf16 v19, v22, v38, v19 op_sel:[1,1,0] op_sel_hi:[1,1,0]
	v_fma_mix_f32_bf16 v20, v22, v38, v20 op_sel_hi:[1,1,0]
	s_wait_loadcnt 0x4
	s_delay_alu instid0(VALU_DEP_2) | instskip(NEXT) | instid1(VALU_DEP_2)
	v_fma_mix_f32_bf16 v19, v23, v39, v19 op_sel:[1,1,0] op_sel_hi:[1,1,0]
	v_fma_mix_f32_bf16 v20, v23, v39, v20 op_sel_hi:[1,1,0]
	s_wait_loadcnt_dscnt 0x300
	s_delay_alu instid0(VALU_DEP_2) | instskip(NEXT) | instid1(VALU_DEP_2)
	v_fma_mix_f32_bf16 v19, v28, v40, v19 op_sel:[1,1,0] op_sel_hi:[1,1,0]
	v_fma_mix_f32_bf16 v20, v28, v40, v20 op_sel_hi:[1,1,0]
	s_wait_loadcnt 0x2
	s_delay_alu instid0(VALU_DEP_2) | instskip(NEXT) | instid1(VALU_DEP_2)
	v_fma_mix_f32_bf16 v19, v29, v41, v19 op_sel:[1,1,0] op_sel_hi:[1,1,0]
	v_fma_mix_f32_bf16 v20, v29, v41, v20 op_sel_hi:[1,1,0]
	s_wait_loadcnt 0x1
	;; [unrolled: 4-line block ×3, first 2 shown]
	s_delay_alu instid0(VALU_DEP_2) | instskip(NEXT) | instid1(VALU_DEP_2)
	v_fma_mix_f32_bf16 v19, v31, v43, v19 op_sel:[1,1,0] op_sel_hi:[1,1,0]
	v_fma_mix_f32_bf16 v20, v31, v43, v20 op_sel_hi:[1,1,0]
	s_delay_alu instid0(VALU_DEP_1) | instskip(SKIP_3) | instid1(VALU_DEP_1)
	v_dual_lshlrev_b32 v21, 2, v21 :: v_dual_add_f32 v19, v20, v19
	ds_bpermute_b32 v20, v21, v19
	s_wait_dscnt 0x0
	v_dual_cndmask_b32 v21, v9, v17, s5 :: v_dual_add_f32 v19, v19, v20
	v_lshlrev_b32_e32 v21, 2, v21
	ds_bpermute_b32 v20, v21, v19
	s_and_saveexec_b32 s39, s4
	s_cbranch_execz .LBB114_10
; %bb.18:                               ;   in Loop: Header=BB114_12 Depth=1
	s_wait_dscnt 0x0
	v_dual_add_nc_u32 v21, v13, v2 :: v_dual_add_f32 v19, v19, v20
	s_delay_alu instid0(VALU_DEP_1) | instskip(NEXT) | instid1(VALU_DEP_1)
	v_cvt_f32_i32_e32 v21, v21
	v_mul_f32_e32 v21, s35, v21
	s_delay_alu instid0(VALU_DEP_1) | instskip(NEXT) | instid1(VALU_DEP_1)
	v_dual_cndmask_b32 v20, 0, v21 :: v_dual_max_num_f32 v21, v12, v12
	v_dual_fmac_f32 v20, s7, v19 :: v_dual_add_nc_u32 v19, v10, v2
	s_delay_alu instid0(VALU_DEP_1) | instskip(NEXT) | instid1(VALU_DEP_2)
	v_max_num_f32_e32 v21, v21, v20
	v_cmp_gt_i32_e64 s5, s31, v19
	s_delay_alu instid0(VALU_DEP_1)
	v_dual_cndmask_b32 v19, 0, v20, s5 :: v_dual_cndmask_b32 v12, v12, v21, s5
	ds_store_b32 v14, v19
	s_branch .LBB114_10
.LBB114_19:
	s_or_b32 exec_lo, exec_lo, s38
.LBB114_20:
	s_delay_alu instid0(SALU_CYCLE_1)
	s_or_b32 exec_lo, exec_lo, s36
	v_dual_max_num_f32 v5, v12, v12 :: v_dual_bitop2_b32 v2, 16, v9 bitop3:0x14
	s_clause 0x1
	s_load_b64 s[6:7], s[0:1], 0x0
	s_load_b64 s[24:25], s[0:1], 0x18
	v_and_b32_e32 v36, 31, v0
	v_xor_b32_e32 v4, 8, v9
	v_cmp_gt_i32_e32 vcc_lo, 32, v2
	v_cndmask_b32_e32 v2, v9, v2, vcc_lo
	s_delay_alu instid0(VALU_DEP_3) | instskip(NEXT) | instid1(VALU_DEP_2)
	v_cmp_gt_i32_e32 vcc_lo, 32, v4
	v_dual_lshlrev_b32 v2, 2, v2 :: v_dual_cndmask_b32 v4, v9, v4, vcc_lo
	ds_bpermute_b32 v3, v2, v12
	s_wait_dscnt 0x0
	v_dual_max_num_f32 v6, v3, v3 :: v_dual_lshlrev_b32 v3, 2, v4
	s_delay_alu instid0(VALU_DEP_1) | instskip(SKIP_4) | instid1(VALU_DEP_1)
	v_dual_max_num_f32 v4, v5, v6 :: v_dual_bitop2_b32 v6, 4, v9 bitop3:0x14
	ds_bpermute_b32 v5, v3, v4
	v_cmp_gt_i32_e32 vcc_lo, 32, v6
	v_cndmask_b32_e32 v6, v9, v6, vcc_lo
	s_wait_dscnt 0x0
	v_dual_max_num_f32 v5, v5, v5 :: v_dual_lshlrev_b32 v6, 2, v6
	s_delay_alu instid0(VALU_DEP_1)
	v_max_num_f32_e32 v5, v4, v5
	v_lshlrev_b32_e32 v4, 2, v1
	v_cmp_eq_u32_e32 vcc_lo, 0, v36
	ds_bpermute_b32 v7, v6, v5
	s_wait_xcnt 0x0
	s_and_saveexec_b32 s0, vcc_lo
	s_cbranch_execz .LBB114_22
; %bb.21:
	s_wait_dscnt 0x0
	v_dual_max_num_f32 v7, v7, v7 :: v_dual_max_num_f32 v5, v5, v5
	s_delay_alu instid0(VALU_DEP_1)
	v_max_num_f32_e32 v5, v5, v7
	ds_store_b32 v4, v5 offset:256
.LBB114_22:
	s_or_b32 exec_lo, exec_lo, s0
	v_cmp_gt_u32_e64 s0, 4, v36
	v_dual_mov_b32 v10, 0xff7fffff :: v_dual_lshlrev_b32 v5, 2, v36
	s_wait_dscnt 0x0
	s_barrier_signal -1
	s_barrier_wait -1
	s_and_saveexec_b32 s1, s0
; %bb.23:
	ds_load_b32 v10, v5 offset:256
; %bb.24:
	s_or_b32 exec_lo, exec_lo, s1
	v_xor_b32_e32 v7, 2, v9
	v_xor_b32_e32 v12, 1, v9
	s_delay_alu instid0(VALU_DEP_2) | instskip(NEXT) | instid1(VALU_DEP_1)
	v_cmp_gt_i32_e64 s1, 32, v7
	v_cndmask_b32_e64 v7, v9, v7, s1
	s_delay_alu instid0(VALU_DEP_3) | instskip(NEXT) | instid1(VALU_DEP_1)
	v_cmp_gt_i32_e64 s1, 32, v12
	v_dual_lshlrev_b32 v7, 2, v7 :: v_dual_cndmask_b32 v9, v9, v12, s1
	s_lshl_b32 s1, s34, 3
	s_delay_alu instid0(SALU_CYCLE_1)
	s_min_i32 s5, s1, s31
	s_wait_dscnt 0x0
	ds_bpermute_b32 v11, v7, v10
	v_max_num_f32_e32 v10, v10, v10
	v_cmp_gt_i32_e64 s1, s5, v0
	s_wait_dscnt 0x0
	v_dual_lshlrev_b32 v9, 2, v9 :: v_dual_max_num_f32 v11, v11, v11
	s_delay_alu instid0(VALU_DEP_1) | instskip(SKIP_3) | instid1(VALU_DEP_1)
	v_max_num_f32_e32 v10, v10, v11
	ds_bpermute_b32 v11, v9, v10
	s_wait_dscnt 0x0
	v_max_num_f32_e32 v11, v11, v11
	v_dual_max_num_f32 v11, v10, v11 :: v_dual_mov_b32 v10, 0
	ds_bpermute_b32 v11, v10, v11
	s_and_saveexec_b32 s15, s1
	s_cbranch_execz .LBB114_28
; %bb.25:
	v_lshl_add_u32 v12, v0, 2, 0x120
	v_dual_mov_b32 v10, 0 :: v_dual_mov_b32 v13, v0
	s_mov_b32 s26, 0
.LBB114_26:                             ; =>This Inner Loop Header: Depth=1
	ds_load_b32 v14, v12
	v_add_nc_u32_e32 v13, 0x80, v13
	s_delay_alu instid0(VALU_DEP_1) | instskip(SKIP_3) | instid1(VALU_DEP_1)
	v_cmp_le_i32_e64 s4, s5, v13
	s_or_b32 s26, s4, s26
	s_wait_dscnt 0x0
	v_sub_f32_e32 v14, v14, v11
	v_mul_f32_e32 v14, 0x3fb8aa3b, v14
	s_delay_alu instid0(VALU_DEP_1)
	v_exp_f32_e32 v14, v14
	ds_store_b32 v12, v14
	v_nop
	v_add_f32_e32 v10, v10, v14
	v_add_nc_u32_e32 v12, 0x200, v12
	s_and_not1_b32 exec_lo, exec_lo, s26
	s_cbranch_execnz .LBB114_26
; %bb.27:
	s_or_b32 exec_lo, exec_lo, s26
.LBB114_28:
	s_delay_alu instid0(SALU_CYCLE_1)
	s_or_b32 exec_lo, exec_lo, s15
	ds_bpermute_b32 v2, v2, v10
	s_wait_dscnt 0x0
	v_add_f32_e32 v2, v10, v2
	ds_bpermute_b32 v3, v3, v2
	s_wait_dscnt 0x0
	v_add_f32_e32 v2, v2, v3
	;; [unrolled: 3-line block ×5, first 2 shown]
	s_and_saveexec_b32 s4, vcc_lo
; %bb.29:
	ds_store_b32 v4, v2 offset:272
; %bb.30:
	s_or_b32 exec_lo, exec_lo, s4
	s_wait_dscnt 0x0
	s_barrier_signal -1
	s_barrier_wait -1
	s_and_saveexec_b32 s4, s0
; %bb.31:
	ds_load_b32 v2, v5 offset:272
; %bb.32:
	s_or_b32 exec_lo, exec_lo, s4
	s_wait_dscnt 0x0
	ds_bpermute_b32 v3, v7, v2
	s_wait_dscnt 0x0
	v_add_f32_e32 v2, v2, v3
	ds_bpermute_b32 v3, v9, v2
	s_wait_dscnt 0x0
	v_dual_add_f32 v2, v2, v3 :: v_dual_mov_b32 v3, 0
	ds_bpermute_b32 v2, v3, v2
	s_and_saveexec_b32 s0, s1
	s_cbranch_execz .LBB114_45
; %bb.33:
	s_wait_dscnt 0x0
	v_add_f32_e32 v2, 0x358637bd, v2
	s_mov_b32 s4, -1
	s_mov_b32 s1, exec_lo
	s_delay_alu instid0(VALU_DEP_1) | instskip(NEXT) | instid1(VALU_DEP_1)
	v_div_scale_f32 v3, null, v2, v2, 1.0
	v_rcp_f32_e32 v5, v3
	v_nop
	s_delay_alu instid0(TRANS32_DEP_1) | instskip(NEXT) | instid1(VALU_DEP_1)
	v_fma_f32 v4, -v3, v5, 1.0
	v_fmac_f32_e32 v5, v4, v5
	v_div_scale_f32 v6, vcc_lo, 1.0, v2, 1.0
	s_delay_alu instid0(VALU_DEP_1) | instskip(NEXT) | instid1(VALU_DEP_1)
	v_mul_f32_e32 v7, v6, v5
	v_fma_f32 v4, -v3, v7, v6
	s_delay_alu instid0(VALU_DEP_1) | instskip(SKIP_1) | instid1(VALU_DEP_2)
	v_fmac_f32_e32 v7, v4, v5
	v_xad_u32 v4, v0, -1, s5
	v_fma_f32 v3, -v3, v7, v6
	s_delay_alu instid0(VALU_DEP_1) | instskip(NEXT) | instid1(VALU_DEP_1)
	v_div_fmas_f32 v3, v3, v5, v7
	v_div_fixup_f32 v2, v3, v2, 1.0
	v_mov_b32_e32 v3, v0
	v_cmpx_lt_u32_e32 0x7f, v4
	s_cbranch_execz .LBB114_42
; %bb.34:
	s_delay_alu instid0(VALU_DEP_3) | instskip(NEXT) | instid1(VALU_DEP_1)
	v_dual_mov_b32 v3, v2 :: v_dual_lshrrev_b32 v4, 7, v4
	v_dual_mov_b32 v9, 0 :: v_dual_add_nc_u32 v5, -1, v4
	s_delay_alu instid0(VALU_DEP_1) | instskip(SKIP_1) | instid1(VALU_DEP_2)
	v_lshrrev_b32_e32 v6, 1, v5
	v_cmp_lt_u32_e32 vcc_lo, 13, v5
	v_add_nc_u32_e32 v5, 1, v6
	s_and_saveexec_b32 s4, vcc_lo
	s_cbranch_execz .LBB114_38
; %bb.35:
	s_delay_alu instid0(VALU_DEP_1)
	v_and_b32_e32 v6, -8, v5
	v_lshl_add_u32 v7, v0, 2, 0x120
	s_mov_b32 s15, 0
	s_mov_b32 s26, 0
.LBB114_36:                             ; =>This Inner Loop Header: Depth=1
	ds_load_2addr_stride64_b32 v[10:11], v7 offset1:2
	ds_load_2addr_stride64_b32 v[12:13], v7 offset0:4 offset1:6
	ds_load_2addr_stride64_b32 v[14:15], v7 offset0:8 offset1:10
	ds_load_2addr_stride64_b32 v[16:17], v7 offset0:12 offset1:14
	ds_load_2addr_stride64_b32 v[18:19], v7 offset0:16 offset1:18
	ds_load_2addr_stride64_b32 v[20:21], v7 offset0:20 offset1:22
	ds_load_2addr_stride64_b32 v[22:23], v7 offset0:24 offset1:26
	ds_load_2addr_stride64_b32 v[24:25], v7 offset0:28 offset1:30
	s_add_co_i32 s26, s26, 16
	s_delay_alu instid0(SALU_CYCLE_1) | instskip(NEXT) | instid1(VALU_DEP_1)
	v_dual_mov_b32 v9, s26 :: v_dual_add_nc_u32 v6, -8, v6
	v_cmp_eq_u32_e32 vcc_lo, 0, v6
	s_or_b32 s15, vcc_lo, s15
	s_wait_dscnt 0x7
	v_pk_mul_f32 v[10:11], v[2:3], v[10:11]
	s_wait_dscnt 0x6
	v_pk_mul_f32 v[12:13], v[2:3], v[12:13]
	s_wait_dscnt 0x5
	v_pk_mul_f32 v[14:15], v[2:3], v[14:15]
	s_wait_dscnt 0x4
	v_pk_mul_f32 v[16:17], v[2:3], v[16:17]
	s_wait_dscnt 0x3
	v_pk_mul_f32 v[18:19], v[2:3], v[18:19]
	s_wait_dscnt 0x2
	v_pk_mul_f32 v[20:21], v[2:3], v[20:21]
	s_wait_dscnt 0x1
	v_pk_mul_f32 v[22:23], v[2:3], v[22:23]
	s_wait_dscnt 0x0
	v_pk_mul_f32 v[24:25], v[2:3], v[24:25]
	ds_store_2addr_stride64_b32 v7, v10, v11 offset1:2
	ds_store_2addr_stride64_b32 v7, v12, v13 offset0:4 offset1:6
	ds_store_2addr_stride64_b32 v7, v14, v15 offset0:8 offset1:10
	;; [unrolled: 1-line block ×7, first 2 shown]
	v_add_nc_u32_e32 v7, 0x2000, v7
	s_and_not1_b32 exec_lo, exec_lo, s15
	s_cbranch_execnz .LBB114_36
; %bb.37:
	s_or_b32 exec_lo, exec_lo, s15
.LBB114_38:
	s_delay_alu instid0(SALU_CYCLE_1) | instskip(NEXT) | instid1(VALU_DEP_1)
	s_or_b32 exec_lo, exec_lo, s4
	v_and_b32_e32 v5, 7, v5
	s_mov_b32 s15, 0
	s_mov_b32 s4, exec_lo
	s_delay_alu instid0(VALU_DEP_1)
	v_cmpx_ne_u32_e32 0, v5
	s_cbranch_execz .LBB114_41
; %bb.39:
	v_dual_lshlrev_b32 v6, 9, v9 :: v_dual_lshlrev_b32 v7, 2, v0
	s_delay_alu instid0(VALU_DEP_1)
	v_add3_u32 v6, v6, v7, 0x120
.LBB114_40:                             ; =>This Inner Loop Header: Depth=1
	ds_load_2addr_stride64_b32 v[10:11], v6 offset1:2
	v_add_nc_u32_e32 v5, -1, v5
	s_delay_alu instid0(VALU_DEP_1)
	v_cmp_eq_u32_e32 vcc_lo, 0, v5
	s_or_b32 s15, vcc_lo, s15
	s_wait_dscnt 0x0
	v_pk_mul_f32 v[10:11], v[2:3], v[10:11]
	ds_store_2addr_stride64_b32 v6, v10, v11 offset1:2
	v_add_nc_u32_e32 v6, 0x400, v6
	s_and_not1_b32 exec_lo, exec_lo, s15
	s_cbranch_execnz .LBB114_40
.LBB114_41:
	s_or_b32 exec_lo, exec_lo, s4
	v_add_nc_u32_e32 v3, 1, v4
	s_delay_alu instid0(VALU_DEP_1) | instskip(NEXT) | instid1(VALU_DEP_1)
	v_and_b32_e32 v4, 0x3fffffe, v3
	v_cmp_ne_u32_e32 vcc_lo, v3, v4
	v_lshl_add_u32 v3, v4, 7, v0
	s_or_not1_b32 s4, vcc_lo, exec_lo
.LBB114_42:
	s_or_b32 exec_lo, exec_lo, s1
	s_delay_alu instid0(SALU_CYCLE_1)
	s_and_b32 exec_lo, exec_lo, s4
	s_cbranch_execz .LBB114_45
; %bb.43:
	v_lshl_add_u32 v4, v3, 2, 0x120
	s_mov_b32 s1, 0
.LBB114_44:                             ; =>This Inner Loop Header: Depth=1
	ds_load_b32 v5, v4
	v_add_nc_u32_e32 v3, 0x80, v3
	s_delay_alu instid0(VALU_DEP_1)
	v_cmp_le_i32_e32 vcc_lo, s5, v3
	s_or_b32 s1, vcc_lo, s1
	s_wait_dscnt 0x0
	v_mul_f32_e32 v5, v2, v5
	ds_store_b32 v4, v5
	v_add_nc_u32_e32 v4, 0x200, v4
	s_and_not1_b32 exec_lo, exec_lo, s1
	s_cbranch_execnz .LBB114_44
.LBB114_45:
	s_or_b32 exec_lo, exec_lo, s0
	v_mov_b64_e32 v[30:31], 0
	v_mov_b64_e32 v[28:29], 0
	s_wait_dscnt 0x0
	s_barrier_signal -1
	s_barrier_wait -1
	s_and_saveexec_b32 s1, s3
	s_cbranch_execz .LBB114_59
; %bb.46:
	s_abs_i32 s3, s10
	v_dual_mov_b32 v27, 0 :: v_dual_lshlrev_b32 v2, 4, v36
	s_cvt_f32_u32 s0, s3
	s_ashr_i32 s15, s14, 31
	v_and_b32_e32 v4, 0x7c, v8
	s_lshl_b64 s[22:23], s[22:23], 2
	v_rcp_iflag_f32_e32 v3, s0
	s_lshl_b64 s[14:15], s[14:15], 1
	s_add_nc_u64 s[20:21], s[20:21], s[22:23]
	s_wait_kmcnt 0x0
	s_add_nc_u64 s[14:15], s[24:25], s[14:15]
	s_sub_co_i32 s10, s8, s9
	s_sub_co_i32 s8, 0, s3
	v_mov_b32_e32 v5, v27
	v_readfirstlane_b32 s0, v3
	v_mov_b32_e32 v3, v27
	v_mov_b64_e32 v[28:29], 0
	v_mov_b64_e32 v[30:31], 0
	v_add_nc_u64_e32 v[34:35], s[20:21], v[4:5]
	s_mul_f32 s0, s0, 0x4f7ffffe
	v_add_nc_u64_e32 v[32:33], s[14:15], v[2:3]
	v_lshl_add_u32 v37, v1, 5, 0x120
	v_mov_b32_e32 v38, v1
	s_cvt_u32_f32 s0, s0
	s_mov_b32 s9, 0
	s_ashr_i32 s5, s13, 31
	s_mov_b32 s4, s13
	s_mul_i32 s8, s8, s0
	s_add_co_i32 s13, s34, -1
	s_mul_hi_u32 s8, s0, s8
	s_mov_b32 s14, s31
	s_add_co_i32 s8, s0, s8
	s_mov_b32 s15, s9
	s_branch .LBB114_49
.LBB114_47:                             ;   in Loop: Header=BB114_49 Depth=1
	s_or_b32 exec_lo, exec_lo, s0
	s_wait_dscnt 0x1
	v_cvt_pk_bf16_f32 v10, v10, v11
	v_cvt_pk_bf16_f32 v11, v12, v13
	s_wait_dscnt 0x0
	v_cvt_pk_bf16_f32 v12, v6, v7
	v_cvt_pk_bf16_f32 v13, v8, v9
	s_wait_loadcnt 0x1
	v_pk_mul_bf16 v6, v10, v22
	v_pk_mul_bf16 v7, v11, v23
	v_pk_mul_bf16 v8, v12, v24
	v_pk_mul_bf16 v23, v13, v25
	v_pk_mul_bf16 v16, v12, v16
	s_delay_alu instid0(VALU_DEP_4)
	v_dual_lshlrev_b32 v9, 16, v6 :: v_dual_lshlrev_b32 v22, 16, v7
	v_and_b32_e32 v6, 0xffff0000, v6
	v_and_b32_e32 v7, 0xffff0000, v7
	v_lshlrev_b32_e32 v24, 16, v8
	v_and_b32_e32 v8, 0xffff0000, v8
	v_pk_mul_bf16 v2, v10, v2
	s_delay_alu instid0(VALU_DEP_4) | instskip(SKIP_3) | instid1(VALU_DEP_4)
	v_dual_add_f32 v6, v9, v6 :: v_dual_add_f32 v7, v22, v7
	v_pk_mul_bf16 v9, v10, v14
	v_and_b32_e32 v22, 0xffff0000, v23
	v_dual_add_f32 v8, v24, v8 :: v_dual_lshlrev_b32 v14, 16, v23
	v_add_f32_e32 v6, v7, v6
	v_pk_mul_bf16 v7, v11, v15
	v_lshlrev_b32_e32 v15, 16, v9
	v_and_b32_e32 v9, 0xffff0000, v9
	v_add_f32_e32 v14, v14, v22
	s_delay_alu instid0(VALU_DEP_4) | instskip(SKIP_1) | instid1(VALU_DEP_4)
	v_dual_add_f32 v6, v8, v6 :: v_dual_lshlrev_b32 v8, 16, v7
	v_and_b32_e32 v7, 0xffff0000, v7
	v_add_f32_e32 v9, v15, v9
	v_pk_mul_bf16 v15, v13, v17
	s_delay_alu instid0(VALU_DEP_4) | instskip(SKIP_4) | instid1(VALU_DEP_3)
	v_add_f32_e32 v14, v14, v6
	v_pk_mul_bf16 v3, v11, v3
	v_dual_add_f32 v6, v8, v7 :: v_dual_lshlrev_b32 v7, 16, v16
	v_and_b32_e32 v8, 0xffff0000, v16
	v_dual_lshlrev_b32 v22, 16, v15 :: v_dual_lshlrev_b32 v23, 16, v2
	v_add_f32_e32 v16, v6, v9
	v_and_b32_e32 v24, 0xffff0000, v2
	s_wait_loadcnt 0x0
	v_pk_mul_bf16 v2, v10, v18
	v_pk_mul_bf16 v6, v11, v19
	v_dual_add_f32 v17, v7, v8 :: v_dual_lshlrev_b32 v25, 16, v3
	v_and_b32_e32 v18, 0xffff0000, v3
	v_pk_mul_bf16 v8, v12, v20
	v_pk_mul_bf16 v10, v13, v21
	v_and_b32_e32 v3, 0xffff0000, v2
	v_lshlrev_b32_e32 v7, 16, v2
	v_and_b32_e32 v2, 0xffff0000, v6
	v_dual_lshlrev_b32 v6, 16, v6 :: v_dual_lshlrev_b32 v11, 16, v8
	v_and_b32_e32 v9, 0xffff0000, v8
	v_and_b32_e32 v8, 0xffff0000, v10
	v_lshlrev_b32_e32 v10, 16, v10
	s_delay_alu instid0(VALU_DEP_4) | instskip(SKIP_2) | instid1(VALU_DEP_4)
	v_pk_add_f32 v[2:3], v[6:7], v[2:3]
	v_pk_mul_bf16 v4, v12, v4
	v_dual_add_f32 v12, v23, v24 :: v_dual_add_f32 v18, v25, v18
	v_pk_add_f32 v[6:7], v[10:11], v[8:9]
	s_delay_alu instid0(VALU_DEP_3) | instskip(SKIP_3) | instid1(VALU_DEP_4)
	v_dual_add_f32 v2, v2, v3 :: v_dual_lshlrev_b32 v3, 16, v4
	v_and_b32_e32 v4, 0xffff0000, v4
	v_pk_mul_bf16 v5, v13, v5
	v_and_b32_e32 v8, 0xffff0000, v15
	v_dual_add_f32 v2, v7, v2 :: v_dual_add_f32 v7, v18, v12
	s_delay_alu instid0(VALU_DEP_3) | instskip(SKIP_1) | instid1(VALU_DEP_3)
	v_dual_add_f32 v3, v3, v4 :: v_dual_lshlrev_b32 v4, 16, v5
	v_and_b32_e32 v5, 0xffff0000, v5
	v_dual_add_f32 v2, v6, v2 :: v_dual_add_f32 v6, v17, v16
	s_delay_alu instid0(VALU_DEP_3) | instskip(NEXT) | instid1(VALU_DEP_3)
	v_dual_add_f32 v7, v3, v7 :: v_dual_add_f32 v8, v22, v8
	v_add_f32_e32 v4, v4, v5
	s_delay_alu instid0(VALU_DEP_3) | instskip(SKIP_1) | instid1(VALU_DEP_4)
	v_pk_add_f32 v[2:3], v[30:31], v[2:3] op_sel_hi:[1,0]
	v_add_f32_e32 v2, v30, v14
	v_add_f32_e32 v5, v8, v6
	s_delay_alu instid0(VALU_DEP_4) | instskip(NEXT) | instid1(VALU_DEP_3)
	v_add_f32_e32 v4, v4, v7
	v_mov_b64_e32 v[30:31], v[2:3]
	s_delay_alu instid0(VALU_DEP_2)
	v_dual_add_f32 v29, v29, v5 :: v_dual_add_f32 v28, v28, v4
.LBB114_48:                             ;   in Loop: Header=BB114_49 Depth=1
	s_or_b32 exec_lo, exec_lo, s20
	v_add_nc_u32_e32 v38, 4, v38
	v_add_nc_u64_e32 v[34:35], 16, v[34:35]
	v_add_nc_u32_e32 v26, 32, v26
	v_add_nc_u32_e32 v37, 0x80, v37
	s_delay_alu instid0(VALU_DEP_4) | instskip(SKIP_1) | instid1(SALU_CYCLE_1)
	v_cmp_le_i32_e32 vcc_lo, s34, v38
	s_or_b32 s15, vcc_lo, s15
	s_and_not1_b32 exec_lo, exec_lo, s15
	s_cbranch_execz .LBB114_58
.LBB114_49:                             ; =>This Inner Loop Header: Depth=1
	v_mul_u64_e32 v[2:3], s[18:19], v[26:27]
	s_delay_alu instid0(VALU_DEP_1) | instskip(NEXT) | instid1(VALU_DEP_1)
	v_mul_lo_u32 v2, v3, s12
	v_dual_add_nc_u32 v4, 1, v3 :: v_dual_sub_nc_u32 v2, v26, v2
	s_delay_alu instid0(VALU_DEP_1) | instskip(SKIP_1) | instid1(VALU_DEP_2)
	v_subrev_nc_u32_e32 v5, s12, v2
	v_cmp_le_u32_e32 vcc_lo, s12, v2
	v_dual_cndmask_b32 v3, v3, v4 :: v_dual_cndmask_b32 v2, v2, v5
	s_delay_alu instid0(VALU_DEP_1) | instskip(NEXT) | instid1(VALU_DEP_2)
	v_add_nc_u32_e32 v4, 1, v3
	v_cmp_le_u32_e32 vcc_lo, s12, v2
	s_delay_alu instid0(VALU_DEP_2) | instskip(NEXT) | instid1(VALU_DEP_1)
	v_cndmask_b32_e32 v2, v3, v4, vcc_lo
	v_dual_mov_b32 v3, v27 :: v_dual_bitop2_b32 v2, s33, v2 bitop3:0x14
	s_delay_alu instid0(VALU_DEP_1) | instskip(NEXT) | instid1(VALU_DEP_1)
	v_subrev_nc_u32_e32 v6, s33, v2
	v_add_nc_u32_e32 v7, s17, v6
	v_cmp_lt_i32_e64 s0, s10, v6
	s_delay_alu instid0(VALU_DEP_2) | instskip(NEXT) | instid1(VALU_DEP_1)
	v_sub_nc_u32_e32 v2, 0, v7
	v_max_i32_e32 v2, v7, v2
	s_delay_alu instid0(VALU_DEP_1) | instskip(SKIP_1) | instid1(VALU_DEP_2)
	v_mul_u64_e32 v[4:5], s[8:9], v[2:3]
	v_ashrrev_i32_e32 v4, 31, v7
	v_mul_lo_u32 v3, v5, s3
	s_delay_alu instid0(VALU_DEP_1) | instskip(NEXT) | instid1(VALU_DEP_1)
	v_sub_nc_u32_e32 v2, v2, v3
	v_subrev_nc_u32_e32 v3, s3, v2
	v_cmp_le_u32_e32 vcc_lo, s3, v2
	s_delay_alu instid0(VALU_DEP_2) | instskip(NEXT) | instid1(VALU_DEP_1)
	v_cndmask_b32_e32 v2, v2, v3, vcc_lo
	v_subrev_nc_u32_e32 v3, s3, v2
	v_cmp_le_u32_e32 vcc_lo, s3, v2
	s_delay_alu instid0(VALU_DEP_2) | instskip(NEXT) | instid1(VALU_DEP_1)
	v_cndmask_b32_e32 v2, v2, v3, vcc_lo
	v_xor_b32_e32 v2, v2, v4
	s_delay_alu instid0(VALU_DEP_1) | instskip(NEXT) | instid1(VALU_DEP_1)
	v_sub_nc_u32_e32 v2, v2, v4
	v_cmp_eq_u32_e32 vcc_lo, 0, v2
	s_or_b32 s0, vcc_lo, s0
	s_delay_alu instid0(SALU_CYCLE_1)
	s_and_saveexec_b32 s20, s0
	s_cbranch_execz .LBB114_48
; %bb.50:                               ;   in Loop: Header=BB114_49 Depth=1
	global_load_b32 v2, v[34:35], off
	v_cmp_eq_u32_e32 vcc_lo, s13, v38
	v_dual_add_nc_u32 v44, 1, v26 :: v_dual_bitop2_b32 v43, 3, v26 bitop3:0x54
	v_or_b32_e32 v45, 2, v26
	v_or_b32_e32 v40, 5, v26
	;; [unrolled: 1-line block ×5, first 2 shown]
	s_wait_loadcnt 0x0
	v_ashrrev_i32_e32 v3, 31, v2
	s_delay_alu instid0(VALU_DEP_1) | instskip(NEXT) | instid1(VALU_DEP_1)
	v_mul_u64_e32 v[2:3], s[4:5], v[2:3]
	v_lshl_add_u64 v[18:19], v[2:3], 1, v[32:33]
	global_load_b128 v[2:5], v[18:19], off
	ds_load_2addr_b64 v[10:13], v37 offset1:1
	ds_load_2addr_b64 v[6:9], v37 offset0:2 offset1:3
	s_wait_xcnt 0x0
	s_and_saveexec_b32 s21, vcc_lo
	s_cbranch_execnz .LBB114_54
; %bb.51:                               ;   in Loop: Header=BB114_49 Depth=1
	s_or_b32 exec_lo, exec_lo, s21
	global_load_b128 v[14:17], v[18:19], off offset:512
	s_wait_xcnt 0x0
	s_and_saveexec_b32 s21, vcc_lo
	s_cbranch_execnz .LBB114_55
.LBB114_52:                             ;   in Loop: Header=BB114_49 Depth=1
	s_or_b32 exec_lo, exec_lo, s21
	global_load_b128 v[22:25], v[18:19], off offset:1024
	s_wait_xcnt 0x0
	s_and_saveexec_b32 s21, vcc_lo
	s_cbranch_execnz .LBB114_56
.LBB114_53:                             ;   in Loop: Header=BB114_49 Depth=1
	s_or_b32 exec_lo, exec_lo, s21
	global_load_b128 v[18:21], v[18:19], off offset:1536
	s_wait_xcnt 0x0
	s_and_saveexec_b32 s0, vcc_lo
	s_cbranch_execz .LBB114_47
	s_branch .LBB114_57
.LBB114_54:                             ;   in Loop: Header=BB114_49 Depth=1
	v_cmp_gt_i32_e64 s0, s31, v26
	s_wait_loadcnt 0x0
	v_dual_lshrrev_b32 v14, 16, v2 :: v_dual_lshrrev_b32 v16, 16, v4
	s_delay_alu instid0(VALU_DEP_2) | instskip(SKIP_1) | instid1(VALU_DEP_1)
	v_cndmask_b32_e64 v2, 0, v2, s0
	v_cmp_gt_i32_e64 s0, s14, v44
	v_dual_lshrrev_b32 v15, 16, v3 :: v_dual_cndmask_b32 v14, 0, v14, s0
	v_cmp_gt_i32_e64 s0, s31, v45
	s_delay_alu instid0(VALU_DEP_2) | instskip(NEXT) | instid1(VALU_DEP_2)
	v_perm_b32 v2, v14, v2, 0x5040100
	v_cndmask_b32_e64 v3, 0, v3, s0
	v_cmp_gt_i32_e64 s0, s14, v43
	s_delay_alu instid0(VALU_DEP_1) | instskip(SKIP_1) | instid1(VALU_DEP_1)
	v_cndmask_b32_e64 v15, 0, v15, s0
	v_cmp_gt_i32_e64 s0, s31, v42
	v_cndmask_b32_e64 v4, 0, v4, s0
	v_cmp_gt_i32_e64 s0, s14, v40
	v_lshrrev_b32_e32 v17, 16, v5
	v_perm_b32 v3, v15, v3, 0x5040100
	s_delay_alu instid0(VALU_DEP_3) | instskip(SKIP_1) | instid1(VALU_DEP_2)
	v_cndmask_b32_e64 v16, 0, v16, s0
	v_cmp_gt_i32_e64 s0, s31, v41
	v_perm_b32 v4, v16, v4, 0x5040100
	s_delay_alu instid0(VALU_DEP_2) | instskip(SKIP_1) | instid1(VALU_DEP_1)
	v_cndmask_b32_e64 v5, 0, v5, s0
	v_cmp_gt_i32_e64 s0, s14, v39
	v_cndmask_b32_e64 v17, 0, v17, s0
	s_delay_alu instid0(VALU_DEP_1)
	v_perm_b32 v5, v17, v5, 0x5040100
	s_or_b32 exec_lo, exec_lo, s21
	global_load_b128 v[14:17], v[18:19], off offset:512
	s_wait_xcnt 0x0
	s_and_saveexec_b32 s21, vcc_lo
	s_cbranch_execz .LBB114_52
.LBB114_55:                             ;   in Loop: Header=BB114_49 Depth=1
	v_cmp_gt_i32_e64 s0, s31, v26
	s_wait_loadcnt 0x0
	s_delay_alu instid0(VALU_DEP_1) | instskip(SKIP_1) | instid1(VALU_DEP_1)
	v_dual_lshrrev_b32 v20, 16, v14 :: v_dual_cndmask_b32 v14, 0, v14, s0
	v_cmp_gt_i32_e64 s0, s14, v44
	v_dual_lshrrev_b32 v21, 16, v15 :: v_dual_cndmask_b32 v20, 0, v20, s0
	v_cmp_gt_i32_e64 s0, s31, v45
	s_delay_alu instid0(VALU_DEP_2) | instskip(NEXT) | instid1(VALU_DEP_2)
	v_perm_b32 v14, v20, v14, 0x5040100
	v_cndmask_b32_e64 v15, 0, v15, s0
	v_cmp_gt_i32_e64 s0, s14, v43
	s_delay_alu instid0(VALU_DEP_1) | instskip(SKIP_2) | instid1(VALU_DEP_3)
	v_cndmask_b32_e64 v21, 0, v21, s0
	v_cmp_gt_i32_e64 s0, s31, v42
	v_lshrrev_b32_e32 v22, 16, v16
	v_perm_b32 v15, v21, v15, 0x5040100
	s_delay_alu instid0(VALU_DEP_3) | instskip(SKIP_1) | instid1(VALU_DEP_1)
	v_cndmask_b32_e64 v16, 0, v16, s0
	v_cmp_gt_i32_e64 s0, s14, v40
	v_dual_lshrrev_b32 v23, 16, v17 :: v_dual_cndmask_b32 v22, 0, v22, s0
	v_cmp_gt_i32_e64 s0, s31, v41
	s_delay_alu instid0(VALU_DEP_2) | instskip(NEXT) | instid1(VALU_DEP_2)
	v_perm_b32 v16, v22, v16, 0x5040100
	v_cndmask_b32_e64 v17, 0, v17, s0
	v_cmp_gt_i32_e64 s0, s14, v39
	s_delay_alu instid0(VALU_DEP_1) | instskip(NEXT) | instid1(VALU_DEP_1)
	v_cndmask_b32_e64 v23, 0, v23, s0
	v_perm_b32 v17, v23, v17, 0x5040100
	s_or_b32 exec_lo, exec_lo, s21
	global_load_b128 v[22:25], v[18:19], off offset:1024
	s_wait_xcnt 0x0
	s_and_saveexec_b32 s21, vcc_lo
	s_cbranch_execz .LBB114_53
.LBB114_56:                             ;   in Loop: Header=BB114_49 Depth=1
	v_cmp_gt_i32_e64 s0, s31, v26
	s_wait_loadcnt 0x0
	s_delay_alu instid0(VALU_DEP_1) | instskip(SKIP_1) | instid1(VALU_DEP_1)
	v_dual_lshrrev_b32 v20, 16, v22 :: v_dual_cndmask_b32 v21, 0, v22, s0
	v_cmp_gt_i32_e64 s0, s14, v44
	v_dual_lshrrev_b32 v22, 16, v23 :: v_dual_cndmask_b32 v20, 0, v20, s0
	v_cmp_gt_i32_e64 s0, s31, v45
	s_delay_alu instid0(VALU_DEP_1) | instskip(SKIP_1) | instid1(VALU_DEP_1)
	v_cndmask_b32_e64 v23, 0, v23, s0
	v_cmp_gt_i32_e64 s0, s14, v43
	v_cndmask_b32_e64 v46, 0, v22, s0
	v_cmp_gt_i32_e64 s0, s31, v42
	v_lshrrev_b32_e32 v22, 16, v24
	s_delay_alu instid0(VALU_DEP_3) | instskip(NEXT) | instid1(VALU_DEP_3)
	v_perm_b32 v23, v46, v23, 0x5040100
	v_cndmask_b32_e64 v24, 0, v24, s0
	v_cmp_gt_i32_e64 s0, s14, v40
	s_delay_alu instid0(VALU_DEP_1) | instskip(SKIP_2) | instid1(VALU_DEP_3)
	v_dual_lshrrev_b32 v47, 16, v25 :: v_dual_cndmask_b32 v48, 0, v22, s0
	v_cmp_gt_i32_e64 s0, s31, v41
	v_perm_b32 v22, v20, v21, 0x5040100
	v_perm_b32 v24, v48, v24, 0x5040100
	s_delay_alu instid0(VALU_DEP_3) | instskip(SKIP_1) | instid1(VALU_DEP_1)
	v_cndmask_b32_e64 v25, 0, v25, s0
	v_cmp_gt_i32_e64 s0, s14, v39
	v_cndmask_b32_e64 v47, 0, v47, s0
	s_delay_alu instid0(VALU_DEP_1)
	v_perm_b32 v25, v47, v25, 0x5040100
	s_or_b32 exec_lo, exec_lo, s21
	global_load_b128 v[18:21], v[18:19], off offset:1536
	s_wait_xcnt 0x0
	s_and_saveexec_b32 s0, vcc_lo
	s_cbranch_execz .LBB114_47
.LBB114_57:                             ;   in Loop: Header=BB114_49 Depth=1
	v_cmp_gt_i32_e32 vcc_lo, s31, v26
	s_wait_loadcnt 0x0
	v_dual_lshrrev_b32 v46, 16, v18 :: v_dual_cndmask_b32 v18, 0, v18, vcc_lo
	v_cmp_gt_i32_e32 vcc_lo, s14, v44
	s_delay_alu instid0(VALU_DEP_2) | instskip(SKIP_2) | instid1(VALU_DEP_3)
	v_dual_cndmask_b32 v44, 0, v46 :: v_dual_lshrrev_b32 v47, 16, v19
	v_cmp_gt_i32_e32 vcc_lo, s31, v45
	v_lshrrev_b32_e32 v45, 16, v20
	v_perm_b32 v18, v44, v18, 0x5040100
	v_cndmask_b32_e32 v19, 0, v19, vcc_lo
	v_cmp_gt_i32_e32 vcc_lo, s14, v43
	v_cndmask_b32_e32 v43, 0, v47, vcc_lo
	v_cmp_gt_i32_e32 vcc_lo, s31, v42
	;; [unrolled: 2-line block ×3, first 2 shown]
	s_delay_alu instid0(VALU_DEP_4) | instskip(SKIP_4) | instid1(VALU_DEP_2)
	v_perm_b32 v19, v43, v19, 0x5040100
	v_cndmask_b32_e32 v40, 0, v45, vcc_lo
	v_cmp_gt_i32_e32 vcc_lo, s31, v41
	v_dual_cndmask_b32 v21, 0, v21 :: v_dual_lshrrev_b32 v42, 16, v21
	v_cmp_gt_i32_e32 vcc_lo, s14, v39
	v_cndmask_b32_e32 v39, 0, v42, vcc_lo
	v_perm_b32 v20, v40, v20, 0x5040100
	s_delay_alu instid0(VALU_DEP_2)
	v_perm_b32 v21, v39, v21, 0x5040100
	s_branch .LBB114_47
.LBB114_58:
	s_or_b32 exec_lo, exec_lo, s15
.LBB114_59:
	s_delay_alu instid0(SALU_CYCLE_1) | instskip(SKIP_4) | instid1(VALU_DEP_2)
	s_or_b32 exec_lo, exec_lo, s1
	v_lshl_add_u32 v2, v36, 2, 0x120
	v_and_b32_e32 v3, 0x3c0, v0
	s_mov_b32 s0, exec_lo
	s_barrier_signal -1
	v_lshl_add_u32 v1, v1, 9, v2
	s_barrier_wait -1
	v_cmpx_eq_u32_e32 64, v3
	s_cbranch_execz .LBB114_61
; %bb.60:
	s_delay_alu instid0(VALU_DEP_2)
	v_add_nc_u32_e32 v3, 0xfffffc00, v1
	v_add_nc_u32_e32 v4, 0xfffffc80, v1
	;; [unrolled: 1-line block ×4, first 2 shown]
	ds_store_b32 v3, v28
	ds_store_b32 v4, v29
	;; [unrolled: 1-line block ×4, first 2 shown]
.LBB114_61:
	s_or_b32 exec_lo, exec_lo, s0
	s_wait_dscnt 0x0
	s_barrier_signal -1
	s_barrier_wait -1
	s_and_saveexec_b32 s0, s2
	s_cbranch_execz .LBB114_63
; %bb.62:
	ds_load_2addr_b32 v[4:5], v1 offset1:32
	ds_load_2addr_b32 v[6:7], v1 offset0:64 offset1:96
	s_wait_dscnt 0x1
	v_pk_add_f32 v[28:29], v[28:29], v[4:5]
	s_wait_dscnt 0x0
	v_pk_add_f32 v[30:31], v[30:31], v[6:7]
.LBB114_63:
	s_or_b32 exec_lo, exec_lo, s0
	v_and_b32_e32 v3, 0x3e0, v0
	s_mov_b32 s0, exec_lo
	s_barrier_signal -1
	s_barrier_wait -1
	s_delay_alu instid0(VALU_DEP_1)
	v_cmpx_eq_u32_e32 32, v3
	s_cbranch_execz .LBB114_65
; %bb.64:
	ds_store_2addr_b32 v2, v28, v29 offset1:32
	ds_store_2addr_b32 v2, v30, v31 offset0:64 offset1:96
.LBB114_65:
	s_or_b32 exec_lo, exec_lo, s0
	v_cmp_gt_u32_e32 vcc_lo, 32, v0
	s_wait_dscnt 0x0
	s_barrier_signal -1
	s_barrier_wait -1
	s_and_saveexec_b32 s0, vcc_lo
	s_cbranch_execz .LBB114_67
; %bb.66:
	ds_load_2addr_b32 v[2:3], v1 offset1:32
	ds_load_2addr_b32 v[4:5], v1 offset0:64 offset1:96
	s_wait_dscnt 0x1
	v_pk_add_f32 v[28:29], v[28:29], v[2:3]
	s_wait_dscnt 0x0
	v_pk_add_f32 v[30:31], v[30:31], v[4:5]
.LBB114_67:
	s_or_b32 exec_lo, exec_lo, s0
	s_barrier_signal -1
	s_barrier_wait -1
	s_and_saveexec_b32 s0, vcc_lo
	s_cbranch_execz .LBB114_69
; %bb.68:
	s_mul_i32 s1, s30, s11
	s_bfe_u32 s5, ttmp6, 0x40014
	s_mul_i32 s1, s1, s29
	s_mul_i32 s0, s11, s16
	s_lshl_b32 s2, s1, 7
	s_lshr_b32 s4, ttmp7, 16
	s_ashr_i32 s3, s2, 31
	s_add_co_i32 s5, s5, 1
	s_lshl_b64 s[2:3], s[2:3], 1
	s_ashr_i32 s1, s0, 31
	s_wait_kmcnt 0x0
	s_add_nc_u64 s[2:3], s[6:7], s[2:3]
	s_mul_i32 s5, s4, s5
	s_bfe_u32 s6, ttmp6, 0x40008
	s_lshl_b64 s[0:1], s[0:1], 1
	s_add_co_i32 s6, s6, s5
	s_cmp_eq_u32 s28, 0
	s_add_nc_u64 s[0:1], s[2:3], s[0:1]
	s_cselect_b32 s2, s4, s6
	s_mov_b32 s3, 0
	s_lshl_b32 s2, s2, 8
	s_delay_alu instid0(SALU_CYCLE_1) | instskip(NEXT) | instid1(SALU_CYCLE_1)
	s_add_nc_u64 s[0:1], s[0:1], s[2:3]
	v_cvt_pk_bf16_f32 v1, v28, s0
	v_cvt_pk_bf16_f32 v2, v29, s0
	;; [unrolled: 1-line block ×4, first 2 shown]
	s_clause 0x3
	global_store_b16 v0, v1, s[0:1] scale_offset
	global_store_b16 v0, v2, s[0:1] offset:64 scale_offset
	global_store_b16 v0, v3, s[0:1] offset:128 scale_offset
	;; [unrolled: 1-line block ×3, first 2 shown]
.LBB114_69:
	s_endpgm
	.section	.rodata,"a",@progbits
	.p2align	6, 0x0
	.amdhsa_kernel _ZN4vllm25paged_attention_v1_kernelI14__hip_bfloat16S1_Li128ELi8ELi128ELNS_18Fp8KVCacheDataTypeE0ELb1EEEvPT_PKS3_PKT0_S9_ifPKiSB_iPKfiiiSD_SD_iiiii
		.amdhsa_group_segment_fixed_size 288
		.amdhsa_private_segment_fixed_size 0
		.amdhsa_kernarg_size 384
		.amdhsa_user_sgpr_count 2
		.amdhsa_user_sgpr_dispatch_ptr 0
		.amdhsa_user_sgpr_queue_ptr 0
		.amdhsa_user_sgpr_kernarg_segment_ptr 1
		.amdhsa_user_sgpr_dispatch_id 0
		.amdhsa_user_sgpr_kernarg_preload_length 0
		.amdhsa_user_sgpr_kernarg_preload_offset 0
		.amdhsa_user_sgpr_private_segment_size 0
		.amdhsa_wavefront_size32 1
		.amdhsa_uses_dynamic_stack 0
		.amdhsa_enable_private_segment 0
		.amdhsa_system_sgpr_workgroup_id_x 1
		.amdhsa_system_sgpr_workgroup_id_y 1
		.amdhsa_system_sgpr_workgroup_id_z 1
		.amdhsa_system_sgpr_workgroup_info 0
		.amdhsa_system_vgpr_workitem_id 0
		.amdhsa_next_free_vgpr 49
		.amdhsa_next_free_sgpr 42
		.amdhsa_named_barrier_count 0
		.amdhsa_reserve_vcc 1
		.amdhsa_float_round_mode_32 0
		.amdhsa_float_round_mode_16_64 0
		.amdhsa_float_denorm_mode_32 3
		.amdhsa_float_denorm_mode_16_64 3
		.amdhsa_fp16_overflow 0
		.amdhsa_memory_ordered 1
		.amdhsa_forward_progress 1
		.amdhsa_inst_pref_size 51
		.amdhsa_round_robin_scheduling 0
		.amdhsa_exception_fp_ieee_invalid_op 0
		.amdhsa_exception_fp_denorm_src 0
		.amdhsa_exception_fp_ieee_div_zero 0
		.amdhsa_exception_fp_ieee_overflow 0
		.amdhsa_exception_fp_ieee_underflow 0
		.amdhsa_exception_fp_ieee_inexact 0
		.amdhsa_exception_int_div_zero 0
	.end_amdhsa_kernel
	.section	.text._ZN4vllm25paged_attention_v1_kernelI14__hip_bfloat16S1_Li128ELi8ELi128ELNS_18Fp8KVCacheDataTypeE0ELb1EEEvPT_PKS3_PKT0_S9_ifPKiSB_iPKfiiiSD_SD_iiiii,"axG",@progbits,_ZN4vllm25paged_attention_v1_kernelI14__hip_bfloat16S1_Li128ELi8ELi128ELNS_18Fp8KVCacheDataTypeE0ELb1EEEvPT_PKS3_PKT0_S9_ifPKiSB_iPKfiiiSD_SD_iiiii,comdat
.Lfunc_end114:
	.size	_ZN4vllm25paged_attention_v1_kernelI14__hip_bfloat16S1_Li128ELi8ELi128ELNS_18Fp8KVCacheDataTypeE0ELb1EEEvPT_PKS3_PKT0_S9_ifPKiSB_iPKfiiiSD_SD_iiiii, .Lfunc_end114-_ZN4vllm25paged_attention_v1_kernelI14__hip_bfloat16S1_Li128ELi8ELi128ELNS_18Fp8KVCacheDataTypeE0ELb1EEEvPT_PKS3_PKT0_S9_ifPKiSB_iPKfiiiSD_SD_iiiii
                                        ; -- End function
	.set _ZN4vllm25paged_attention_v1_kernelI14__hip_bfloat16S1_Li128ELi8ELi128ELNS_18Fp8KVCacheDataTypeE0ELb1EEEvPT_PKS3_PKT0_S9_ifPKiSB_iPKfiiiSD_SD_iiiii.num_vgpr, 49
	.set _ZN4vllm25paged_attention_v1_kernelI14__hip_bfloat16S1_Li128ELi8ELi128ELNS_18Fp8KVCacheDataTypeE0ELb1EEEvPT_PKS3_PKT0_S9_ifPKiSB_iPKfiiiSD_SD_iiiii.num_agpr, 0
	.set _ZN4vllm25paged_attention_v1_kernelI14__hip_bfloat16S1_Li128ELi8ELi128ELNS_18Fp8KVCacheDataTypeE0ELb1EEEvPT_PKS3_PKT0_S9_ifPKiSB_iPKfiiiSD_SD_iiiii.numbered_sgpr, 42
	.set _ZN4vllm25paged_attention_v1_kernelI14__hip_bfloat16S1_Li128ELi8ELi128ELNS_18Fp8KVCacheDataTypeE0ELb1EEEvPT_PKS3_PKT0_S9_ifPKiSB_iPKfiiiSD_SD_iiiii.num_named_barrier, 0
	.set _ZN4vllm25paged_attention_v1_kernelI14__hip_bfloat16S1_Li128ELi8ELi128ELNS_18Fp8KVCacheDataTypeE0ELb1EEEvPT_PKS3_PKT0_S9_ifPKiSB_iPKfiiiSD_SD_iiiii.private_seg_size, 0
	.set _ZN4vllm25paged_attention_v1_kernelI14__hip_bfloat16S1_Li128ELi8ELi128ELNS_18Fp8KVCacheDataTypeE0ELb1EEEvPT_PKS3_PKT0_S9_ifPKiSB_iPKfiiiSD_SD_iiiii.uses_vcc, 1
	.set _ZN4vllm25paged_attention_v1_kernelI14__hip_bfloat16S1_Li128ELi8ELi128ELNS_18Fp8KVCacheDataTypeE0ELb1EEEvPT_PKS3_PKT0_S9_ifPKiSB_iPKfiiiSD_SD_iiiii.uses_flat_scratch, 0
	.set _ZN4vllm25paged_attention_v1_kernelI14__hip_bfloat16S1_Li128ELi8ELi128ELNS_18Fp8KVCacheDataTypeE0ELb1EEEvPT_PKS3_PKT0_S9_ifPKiSB_iPKfiiiSD_SD_iiiii.has_dyn_sized_stack, 0
	.set _ZN4vllm25paged_attention_v1_kernelI14__hip_bfloat16S1_Li128ELi8ELi128ELNS_18Fp8KVCacheDataTypeE0ELb1EEEvPT_PKS3_PKT0_S9_ifPKiSB_iPKfiiiSD_SD_iiiii.has_recursion, 0
	.set _ZN4vllm25paged_attention_v1_kernelI14__hip_bfloat16S1_Li128ELi8ELi128ELNS_18Fp8KVCacheDataTypeE0ELb1EEEvPT_PKS3_PKT0_S9_ifPKiSB_iPKfiiiSD_SD_iiiii.has_indirect_call, 0
	.section	.AMDGPU.csdata,"",@progbits
; Kernel info:
; codeLenInByte = 6416
; TotalNumSgprs: 44
; NumVgprs: 49
; ScratchSize: 0
; MemoryBound: 0
; FloatMode: 240
; IeeeMode: 1
; LDSByteSize: 288 bytes/workgroup (compile time only)
; SGPRBlocks: 0
; VGPRBlocks: 3
; NumSGPRsForWavesPerEU: 44
; NumVGPRsForWavesPerEU: 49
; NamedBarCnt: 0
; Occupancy: 16
; WaveLimiterHint : 1
; COMPUTE_PGM_RSRC2:SCRATCH_EN: 0
; COMPUTE_PGM_RSRC2:USER_SGPR: 2
; COMPUTE_PGM_RSRC2:TRAP_HANDLER: 0
; COMPUTE_PGM_RSRC2:TGID_X_EN: 1
; COMPUTE_PGM_RSRC2:TGID_Y_EN: 1
; COMPUTE_PGM_RSRC2:TGID_Z_EN: 1
; COMPUTE_PGM_RSRC2:TIDIG_COMP_CNT: 0
	.section	.text._ZN4vllm25paged_attention_v1_kernelI14__hip_bfloat16S1_Li192ELi8ELi128ELNS_18Fp8KVCacheDataTypeE0ELb1EEEvPT_PKS3_PKT0_S9_ifPKiSB_iPKfiiiSD_SD_iiiii,"axG",@progbits,_ZN4vllm25paged_attention_v1_kernelI14__hip_bfloat16S1_Li192ELi8ELi128ELNS_18Fp8KVCacheDataTypeE0ELb1EEEvPT_PKS3_PKT0_S9_ifPKiSB_iPKfiiiSD_SD_iiiii,comdat
	.protected	_ZN4vllm25paged_attention_v1_kernelI14__hip_bfloat16S1_Li192ELi8ELi128ELNS_18Fp8KVCacheDataTypeE0ELb1EEEvPT_PKS3_PKT0_S9_ifPKiSB_iPKfiiiSD_SD_iiiii ; -- Begin function _ZN4vllm25paged_attention_v1_kernelI14__hip_bfloat16S1_Li192ELi8ELi128ELNS_18Fp8KVCacheDataTypeE0ELb1EEEvPT_PKS3_PKT0_S9_ifPKiSB_iPKfiiiSD_SD_iiiii
	.globl	_ZN4vllm25paged_attention_v1_kernelI14__hip_bfloat16S1_Li192ELi8ELi128ELNS_18Fp8KVCacheDataTypeE0ELb1EEEvPT_PKS3_PKT0_S9_ifPKiSB_iPKfiiiSD_SD_iiiii
	.p2align	8
	.type	_ZN4vllm25paged_attention_v1_kernelI14__hip_bfloat16S1_Li192ELi8ELi128ELNS_18Fp8KVCacheDataTypeE0ELb1EEEvPT_PKS3_PKT0_S9_ifPKiSB_iPKfiiiSD_SD_iiiii,@function
_ZN4vllm25paged_attention_v1_kernelI14__hip_bfloat16S1_Li192ELi8ELi128ELNS_18Fp8KVCacheDataTypeE0ELb1EEEvPT_PKS3_PKT0_S9_ifPKiSB_iPKfiiiSD_SD_iiiii: ; @_ZN4vllm25paged_attention_v1_kernelI14__hip_bfloat16S1_Li192ELi8ELi128ELNS_18Fp8KVCacheDataTypeE0ELb1EEEvPT_PKS3_PKT0_S9_ifPKiSB_iPKfiiiSD_SD_iiiii
; %bb.0:
	s_load_b64 s[22:23], s[0:1], 0x20
	s_bfe_u32 s3, ttmp6, 0x4000c
	s_bfe_u32 s4, ttmp6, 0x40010
	s_and_b32 s6, ttmp7, 0xffff
	s_add_co_i32 s3, s3, 1
	s_add_co_i32 s4, s4, 1
	s_and_b32 s2, ttmp6, 15
	s_bfe_u32 s5, ttmp6, 0x40004
	s_mul_i32 s3, ttmp9, s3
	s_mul_i32 s4, s6, s4
	s_getreg_b32 s28, hwreg(HW_REG_IB_STS2, 6, 4)
	s_add_co_i32 s2, s2, s3
	s_add_co_i32 s3, s5, s4
	s_cmp_eq_u32 s28, 0
	s_clause 0x1
	s_load_b32 s29, s[0:1], 0x80
	s_load_b64 s[4:5], s[0:1], 0x30
	s_cselect_b32 s30, s6, s3
	s_cselect_b32 s2, ttmp9, s2
	s_mov_b32 s17, 0
	s_delay_alu instid0(SALU_CYCLE_1) | instskip(SKIP_2) | instid1(SALU_CYCLE_1)
	s_mov_b32 s35, s17
	s_wait_kmcnt 0x0
	s_abs_i32 s3, s22
	s_cvt_f32_u32 s6, s3
	s_sub_co_i32 s7, 0, s3
	s_delay_alu instid0(SALU_CYCLE_2) | instskip(SKIP_2) | instid1(TRANS32_DEP_1)
	v_rcp_iflag_f32_e32 v1, s6
	s_abs_i32 s8, s29
	v_nop
	v_readfirstlane_b32 s6, v1
	s_mul_f32 s6, s6, 0x4f7ffffe
	s_delay_alu instid0(SALU_CYCLE_3) | instskip(NEXT) | instid1(SALU_CYCLE_3)
	s_cvt_u32_f32 s6, s6
	s_mul_i32 s7, s7, s6
	s_delay_alu instid0(SALU_CYCLE_1) | instskip(NEXT) | instid1(SALU_CYCLE_1)
	s_mul_hi_u32 s7, s6, s7
	s_add_co_i32 s6, s6, s7
	s_xor_b32 s7, s29, s22
	s_mul_hi_u32 s6, s8, s6
	s_ashr_i32 s7, s7, 31
	s_mul_i32 s9, s6, s3
	s_delay_alu instid0(SALU_CYCLE_1)
	s_sub_co_i32 s8, s8, s9
	s_add_co_i32 s9, s6, 1
	s_sub_co_i32 s10, s8, s3
	s_cmp_ge_u32 s8, s3
	s_cselect_b32 s6, s9, s6
	s_cselect_b32 s8, s10, s8
	s_add_co_i32 s9, s6, 1
	s_cmp_ge_u32 s8, s3
	s_cselect_b32 s3, s9, s6
	s_load_b64 s[8:9], s[0:1], 0x40
	s_xor_b32 s3, s3, s7
	s_abs_i32 s16, s2
	s_sub_co_i32 s10, s3, s7
	s_mov_b32 s7, s17
	s_abs_i32 s15, s10
	s_delay_alu instid0(SALU_CYCLE_1) | instskip(SKIP_1) | instid1(SALU_CYCLE_2)
	s_cvt_f32_u32 s3, s15
	s_sub_co_i32 s6, 0, s15
	v_rcp_iflag_f32_e32 v1, s3
	v_nop
	s_delay_alu instid0(TRANS32_DEP_1) | instskip(SKIP_1) | instid1(SALU_CYCLE_3)
	v_readfirstlane_b32 s3, v1
	s_mul_f32 s3, s3, 0x4f7ffffe
	s_cvt_u32_f32 s3, s3
	s_delay_alu instid0(SALU_CYCLE_3) | instskip(NEXT) | instid1(SALU_CYCLE_1)
	s_mul_i32 s6, s6, s3
	s_mul_hi_u32 s6, s3, s6
	s_delay_alu instid0(SALU_CYCLE_1)
	s_add_co_i32 s6, s3, s6
	s_wait_kmcnt 0x0
	s_cmp_eq_u64 s[8:9], 0
	s_cbranch_scc1 .LBB115_2
; %bb.1:
	s_ashr_i32 s3, s2, 31
	s_delay_alu instid0(SALU_CYCLE_1) | instskip(NEXT) | instid1(SALU_CYCLE_1)
	s_lshl_b64 s[12:13], s[2:3], 2
	s_add_nc_u64 s[8:9], s[8:9], s[12:13]
	s_load_b32 s35, s[8:9], 0x0
.LBB115_2:
	s_load_b32 s31, s[4:5], s30 offset:0x0 scale_offset
	s_load_b96 s[12:14], s[0:1], 0x48
	v_and_b32_e32 v4, 3, v0
	s_wait_xcnt 0x0
	s_mul_u64 s[4:5], s[16:17], s[6:7]
	s_ashr_i32 s3, s2, 31
	s_ashr_i32 s18, s10, 31
	s_mul_i32 s6, s2, 0xc0
	s_mov_b32 s4, exec_lo
	v_cmpx_gt_u32_e32 0x60, v0
	s_cbranch_execz .LBB115_4
; %bb.3:
	s_load_b64 s[8:9], s[0:1], 0x8
	s_wait_kmcnt 0x0
	s_mul_i32 s10, s12, s30
	s_ashr_i32 s7, s6, 31
	s_ashr_i32 s11, s10, 31
	v_and_b32_e32 v2, 0x3fc, v0
	s_lshl_b64 s[10:11], s[10:11], 1
	s_delay_alu instid0(VALU_DEP_1) | instskip(SKIP_2) | instid1(SALU_CYCLE_1)
	v_mad_u32_u24 v2, 0x60, v4, v2
	s_add_nc_u64 s[8:9], s[8:9], s[10:11]
	s_lshl_b64 s[10:11], s[6:7], 1
	s_add_nc_u64 s[8:9], s[8:9], s[10:11]
	global_load_b32 v1, v0, s[8:9] scale_offset
	s_wait_loadcnt 0x0
	ds_store_b32 v2, v1
.LBB115_4:
	s_or_b32 exec_lo, exec_lo, s4
	s_load_b128 s[8:11], s[0:1], 0x68
	s_mul_i32 s4, s5, s15
	s_xor_b32 s3, s3, s18
	s_sub_co_i32 s4, s16, s4
	s_add_co_i32 s7, s5, 1
	s_wait_kmcnt 0x0
	s_sub_co_i32 s12, s4, s15
	s_cmp_ge_u32 s4, s15
	s_mov_b32 s18, -1
	s_cselect_b32 s5, s7, s5
	s_cselect_b32 s4, s12, s4
	s_add_co_i32 s12, s5, 1
	s_cmp_ge_u32 s4, s15
	s_load_b32 s7, s[0:1], 0x78
	s_cselect_b32 s4, s12, s5
	s_add_co_i32 s15, s31, -1
	s_xor_b32 s4, s4, s3
	s_wait_dscnt 0x0
	s_sub_co_i32 s3, s4, s3
	s_barrier_signal -1
	s_barrier_wait -1
	s_abs_i32 s12, s11
	s_delay_alu instid0(SALU_CYCLE_1) | instskip(NEXT) | instid1(SALU_CYCLE_3)
	s_cvt_f32_u32 s5, s12
                                        ; implicit-def: $sgpr33
	v_rcp_iflag_f32_e32 v1, s5
	v_nop
	s_delay_alu instid0(TRANS32_DEP_1) | instskip(SKIP_1) | instid1(SALU_CYCLE_3)
	v_readfirstlane_b32 s5, v1
	s_mul_f32 s4, s5, 0x4f7ffffe
	s_cvt_u32_f32 s16, s4
	s_sub_co_i32 s4, 0, s12
	s_delay_alu instid0(SALU_CYCLE_2)
	s_mul_i32 s5, s4, s16
	s_abs_i32 s4, s15
	s_mul_hi_u32 s17, s16, s5
	s_mov_b32 s5, 0
	s_add_co_i32 s16, s16, s17
	s_wait_kmcnt 0x0
	s_cmp_lt_i32 s7, 0
	s_mov_b32 s17, s5
	s_cbranch_scc0 .LBB115_6
; %bb.5:
	s_mul_i32 s18, s8, s22
	s_delay_alu instid0(SALU_CYCLE_1) | instskip(NEXT) | instid1(SALU_CYCLE_1)
	s_add_co_i32 s18, s3, s18
	s_mul_i32 s18, s18, s7
	s_delay_alu instid0(SALU_CYCLE_1)
	s_sub_co_i32 s33, 1, s18
	s_mov_b32 s18, s5
.LBB115_6:
	s_ashr_i32 s15, s15, 31
	s_ashr_i32 s11, s11, 31
	s_and_not1_b32 vcc_lo, exec_lo, s18
	s_mul_u64 s[24:25], s[4:5], s[16:17]
	s_cbranch_vccnz .LBB115_8
; %bb.7:
	s_mul_i32 s5, s29, s8
	s_delay_alu instid0(SALU_CYCLE_1) | instskip(NEXT) | instid1(SALU_CYCLE_1)
	s_add_co_i32 s2, s5, s2
	s_mul_i32 s2, s2, s7
	s_delay_alu instid0(SALU_CYCLE_1)
	s_add_co_i32 s33, s2, 1
.LBB115_8:
	s_load_b32 s2, s[0:1], 0x38
	s_mul_i32 s7, s25, s12
	s_xor_b32 s5, s15, s11
	s_sub_co_i32 s4, s4, s7
	s_add_co_i32 s8, s25, 1
	s_clause 0x1
	s_load_b64 s[18:19], s[0:1], 0x28
	s_load_b32 s7, s[0:1], 0x88
	v_dual_mov_b32 v12, 0xff7fffff :: v_dual_lshrrev_b32 v1, 5, v0
	v_lshrrev_b32_e32 v8, 3, v0
	v_mbcnt_lo_u32_b32 v9, -1, 0
	s_mul_i32 s14, s3, s14
	s_delay_alu instid0(VALU_DEP_3)
	v_lshlrev_b32_e32 v34, 3, v1
	s_wait_kmcnt 0x0
	s_mul_i32 s20, s2, s30
	s_sub_co_i32 s2, s4, s12
	s_ashr_i32 s21, s20, 31
	s_cmp_ge_u32 s4, s12
	s_cselect_b32 s8, s8, s25
	s_cselect_b32 s2, s2, s4
	s_add_co_i32 s4, s8, 1
	s_cmp_ge_u32 s2, s12
	s_cselect_b32 s2, s4, s8
	s_add_co_i32 s4, s31, 7
	s_delay_alu instid0(SALU_CYCLE_1) | instskip(NEXT) | instid1(SALU_CYCLE_1)
	s_ashr_i32 s8, s4, 31
	s_lshr_b32 s8, s8, 29
	s_delay_alu instid0(SALU_CYCLE_1) | instskip(NEXT) | instid1(SALU_CYCLE_1)
	s_add_co_i32 s4, s4, s8
	s_ashr_i32 s34, s4, 3
	s_xor_b32 s4, s2, s5
	v_cmp_gt_i32_e64 s2, s34, v1
	s_sub_co_i32 s8, s4, s5
	s_and_saveexec_b32 s22, s2
	s_cbranch_execz .LBB115_20
; %bb.9:
	s_load_b64 s[4:5], s[0:1], 0x10
	s_ashr_i32 s15, s14, 31
	s_sub_co_i32 s36, s8, s9
	s_ashr_i32 s25, s13, 31
	s_lshl_b64 s[38:39], s[14:15], 1
	s_cmp_neq_f32 s35, 0
	v_bfe_u32 v10, v0, 2, 3
	v_mov_b32_e32 v3, 0
	v_mul_u32_u24_e32 v11, 0x60, v4
	s_cselect_b32 vcc_lo, -1, 0
	s_abs_i32 s15, s10
	v_lshlrev_b32_e32 v2, 4, v10
	s_cvt_f32_u32 s3, s15
	v_subrev_nc_u32_e32 v7, s31, v10
	v_lshlrev_b32_e32 v6, 2, v0
	s_sub_co_i32 s26, 0, s15
	v_rcp_iflag_f32_e32 v5, s3
	v_cmp_eq_u32_e64 s3, 0, v4
	v_add_nc_u32_e32 v13, 1, v7
	v_mov_b32_e32 v15, 0xff7fffff
	s_wait_kmcnt 0x0
	s_add_nc_u64 s[4:5], s[4:5], s[38:39]
	v_dual_mov_b32 v18, v1 :: v_dual_bitop2_b32 v16, 2, v9 bitop3:0x14
	v_readfirstlane_b32 s24, v5
	v_add_nc_u64_e32 v[4:5], s[4:5], v[2:3]
	v_and_b32_e32 v2, 12, v6
	v_lshlrev_b32_e32 v6, 2, v10
	s_lshl_b64 s[4:5], s[20:21], 2
	s_mul_f32 s24, s24, 0x4f7ffffe
	s_add_nc_u64 s[4:5], s[18:19], s[4:5]
	v_xor_b32_e32 v17, 1, v9
	v_add_nc_u64_e32 v[4:5], v[4:5], v[2:3]
	v_and_b32_e32 v2, 0x7c, v8
	s_cvt_u32_f32 s37, s24
	v_lshl_or_b32 v12, v1, 5, v6
	s_mov_b32 s27, 0
	s_mov_b32 s24, s13
	v_add_nc_u64_e32 v[6:7], s[4:5], v[2:3]
	s_mul_i32 s26, s26, s37
	v_lshlrev_b32_e32 v2, 3, v1
	v_add_nc_u32_e32 v14, 0x1a0, v12
	v_mov_b32_e32 v12, 0xff7fffff
	s_mul_hi_u32 s4, s37, s26
	s_delay_alu instid0(SALU_CYCLE_1)
	s_add_co_i32 s26, s37, s4
	s_mov_b32 s37, s27
	s_branch .LBB115_12
.LBB115_10:                             ;   in Loop: Header=BB115_12 Depth=1
	s_or_b32 exec_lo, exec_lo, s38
.LBB115_11:                             ;   in Loop: Header=BB115_12 Depth=1
	s_delay_alu instid0(SALU_CYCLE_1) | instskip(SKIP_4) | instid1(VALU_DEP_4)
	s_or_b32 exec_lo, exec_lo, s5
	v_add_nc_u32_e32 v18, 4, v18
	v_add_nc_u64_e32 v[6:7], 16, v[6:7]
	v_add_nc_u32_e32 v2, 32, v2
	v_add_nc_u32_e32 v14, 0x80, v14
	v_cmp_le_i32_e64 s4, s34, v18
	s_or_b32 s37, s4, s37
	s_delay_alu instid0(SALU_CYCLE_1)
	s_and_not1_b32 exec_lo, exec_lo, s37
	s_cbranch_execz .LBB115_19
.LBB115_12:                             ; =>This Inner Loop Header: Depth=1
	s_wait_dscnt 0x0
	v_mul_u64_e32 v[20:21], s[16:17], v[2:3]
	s_delay_alu instid0(VALU_DEP_1) | instskip(NEXT) | instid1(VALU_DEP_1)
	v_mul_lo_u32 v19, v21, s12
	v_dual_add_nc_u32 v20, 1, v21 :: v_dual_sub_nc_u32 v19, v2, v19
	s_delay_alu instid0(VALU_DEP_1) | instskip(SKIP_1) | instid1(VALU_DEP_1)
	v_subrev_nc_u32_e32 v22, s12, v19
	v_cmp_le_u32_e64 s4, s12, v19
	v_dual_cndmask_b32 v20, v21, v20, s4 :: v_dual_cndmask_b32 v19, v19, v22, s4
	s_delay_alu instid0(VALU_DEP_1) | instskip(NEXT) | instid1(VALU_DEP_2)
	v_add_nc_u32_e32 v21, 1, v20
	v_cmp_le_u32_e64 s4, s12, v19
	s_delay_alu instid0(VALU_DEP_1) | instskip(NEXT) | instid1(VALU_DEP_1)
	v_dual_cndmask_b32 v19, v20, v21, s4 :: v_dual_mov_b32 v21, v3
	v_xor_b32_e32 v19, s11, v19
	s_delay_alu instid0(VALU_DEP_1) | instskip(NEXT) | instid1(VALU_DEP_1)
	v_subrev_nc_u32_e32 v19, s11, v19
	v_add_nc_u32_e32 v24, s33, v19
	v_cmp_ge_i32_e64 s5, s36, v19
	s_delay_alu instid0(VALU_DEP_2) | instskip(NEXT) | instid1(VALU_DEP_1)
	v_sub_nc_u32_e32 v20, 0, v24
	v_max_i32_e32 v20, v24, v20
	s_delay_alu instid0(VALU_DEP_1) | instskip(SKIP_1) | instid1(VALU_DEP_2)
	v_mul_u64_e32 v[22:23], s[26:27], v[20:21]
	v_ashrrev_i32_e32 v22, 31, v24
	v_mul_lo_u32 v21, v23, s15
	s_delay_alu instid0(VALU_DEP_1) | instskip(NEXT) | instid1(VALU_DEP_1)
	v_sub_nc_u32_e32 v20, v20, v21
	v_subrev_nc_u32_e32 v21, s15, v20
	v_cmp_le_u32_e64 s4, s15, v20
	s_delay_alu instid0(VALU_DEP_1) | instskip(NEXT) | instid1(VALU_DEP_1)
	v_cndmask_b32_e64 v20, v20, v21, s4
	v_subrev_nc_u32_e32 v21, s15, v20
	v_cmp_le_u32_e64 s4, s15, v20
	s_delay_alu instid0(VALU_DEP_1) | instskip(NEXT) | instid1(VALU_DEP_1)
	v_cndmask_b32_e64 v20, v20, v21, s4
	v_xor_b32_e32 v20, v20, v22
	s_delay_alu instid0(VALU_DEP_1) | instskip(NEXT) | instid1(VALU_DEP_1)
	v_sub_nc_u32_e32 v20, v20, v22
	v_cmp_ne_u32_e64 s4, 0, v20
	s_and_b32 s4, s4, s5
	s_delay_alu instid0(SALU_CYCLE_1) | instskip(NEXT) | instid1(SALU_CYCLE_1)
	s_and_saveexec_b32 s5, s4
	s_xor_b32 s4, exec_lo, s5
	s_cbranch_execz .LBB115_16
; %bb.13:                               ;   in Loop: Header=BB115_12 Depth=1
	s_and_saveexec_b32 s5, s3
; %bb.14:                               ;   in Loop: Header=BB115_12 Depth=1
	ds_store_b32 v14, v15
; %bb.15:                               ;   in Loop: Header=BB115_12 Depth=1
	s_or_b32 exec_lo, exec_lo, s5
.LBB115_16:                             ;   in Loop: Header=BB115_12 Depth=1
	s_and_not1_saveexec_b32 s5, s4
	s_cbranch_execz .LBB115_11
; %bb.17:                               ;   in Loop: Header=BB115_12 Depth=1
	global_load_b32 v20, v[6:7], off
	v_cmp_gt_i32_e64 s4, 32, v16
	s_wait_loadcnt 0x0
	v_ashrrev_i32_e32 v21, 31, v20
	s_delay_alu instid0(VALU_DEP_1) | instskip(NEXT) | instid1(VALU_DEP_1)
	v_mul_u64_e32 v[20:21], s[24:25], v[20:21]
	v_lshl_add_u64 v[20:21], v[20:21], 1, v[4:5]
	s_clause 0x17
	global_load_b32 v19, v[20:21], off offset:128
	global_load_b32 v28, v[20:21], off
	global_load_b32 v29, v[20:21], off offset:256
	global_load_b32 v30, v[20:21], off offset:384
	;; [unrolled: 1-line block ×22, first 2 shown]
	s_wait_xcnt 0x0
	ds_load_b128 v[20:23], v11
	ds_load_b128 v[24:27], v11 offset:16
	s_wait_loadcnt 0x17
	v_lshlrev_b32_e32 v53, 16, v19
	v_and_b32_e32 v19, 0xffff0000, v19
	s_wait_dscnt 0x1
	v_lshlrev_b32_e32 v52, 16, v21
	v_and_b32_e32 v21, 0xffff0000, v21
	s_delay_alu instid0(VALU_DEP_1) | instskip(SKIP_1) | instid1(VALU_DEP_1)
	v_dual_mul_f32 v19, v21, v19 :: v_dual_mul_f32 v52, v52, v53
	s_wait_loadcnt 0x16
	v_fma_mix_f32_bf16 v19, v20, v28, v19 op_sel:[1,1,0] op_sel_hi:[1,1,0]
	s_delay_alu instid0(VALU_DEP_2) | instskip(SKIP_1) | instid1(VALU_DEP_2)
	v_fma_mix_f32_bf16 v21, v20, v28, v52 op_sel_hi:[1,1,0]
	s_wait_loadcnt 0x15
	v_fma_mix_f32_bf16 v19, v22, v29, v19 op_sel:[1,1,0] op_sel_hi:[1,1,0]
	s_delay_alu instid0(VALU_DEP_2) | instskip(SKIP_1) | instid1(VALU_DEP_2)
	v_fma_mix_f32_bf16 v20, v22, v29, v21 op_sel_hi:[1,1,0]
	s_wait_loadcnt 0x14
	v_fma_mix_f32_bf16 v19, v23, v30, v19 op_sel:[1,1,0] op_sel_hi:[1,1,0]
	s_delay_alu instid0(VALU_DEP_2)
	v_fma_mix_f32_bf16 v28, v23, v30, v20 op_sel_hi:[1,1,0]
	ds_load_b128 v[20:23], v11 offset:32
	s_wait_loadcnt_dscnt 0x1301
	v_fma_mix_f32_bf16 v19, v24, v31, v19 op_sel:[1,1,0] op_sel_hi:[1,1,0]
	v_fma_mix_f32_bf16 v28, v24, v31, v28 op_sel_hi:[1,1,0]
	s_wait_loadcnt 0x12
	s_delay_alu instid0(VALU_DEP_2) | instskip(NEXT) | instid1(VALU_DEP_2)
	v_fma_mix_f32_bf16 v19, v25, v32, v19 op_sel:[1,1,0] op_sel_hi:[1,1,0]
	v_fma_mix_f32_bf16 v24, v25, v32, v28 op_sel_hi:[1,1,0]
	s_wait_loadcnt 0x11
	s_delay_alu instid0(VALU_DEP_2) | instskip(NEXT) | instid1(VALU_DEP_2)
	v_fma_mix_f32_bf16 v19, v26, v33, v19 op_sel:[1,1,0] op_sel_hi:[1,1,0]
	v_fma_mix_f32_bf16 v24, v26, v33, v24 op_sel_hi:[1,1,0]
	s_wait_loadcnt 0x10
	s_delay_alu instid0(VALU_DEP_2) | instskip(NEXT) | instid1(VALU_DEP_2)
	v_fma_mix_f32_bf16 v19, v27, v35, v19 op_sel:[1,1,0] op_sel_hi:[1,1,0]
	v_fma_mix_f32_bf16 v28, v27, v35, v24 op_sel_hi:[1,1,0]
	ds_load_b128 v[24:27], v11 offset:48
	s_wait_loadcnt_dscnt 0xf01
	v_fma_mix_f32_bf16 v19, v20, v36, v19 op_sel:[1,1,0] op_sel_hi:[1,1,0]
	v_fma_mix_f32_bf16 v28, v20, v36, v28 op_sel_hi:[1,1,0]
	s_wait_loadcnt 0xe
	s_delay_alu instid0(VALU_DEP_2) | instskip(NEXT) | instid1(VALU_DEP_2)
	v_fma_mix_f32_bf16 v19, v21, v37, v19 op_sel:[1,1,0] op_sel_hi:[1,1,0]
	v_fma_mix_f32_bf16 v20, v21, v37, v28 op_sel_hi:[1,1,0]
	s_wait_loadcnt 0xd
	s_delay_alu instid0(VALU_DEP_2) | instskip(NEXT) | instid1(VALU_DEP_2)
	v_fma_mix_f32_bf16 v19, v22, v38, v19 op_sel:[1,1,0] op_sel_hi:[1,1,0]
	v_fma_mix_f32_bf16 v20, v22, v38, v20 op_sel_hi:[1,1,0]
	s_wait_loadcnt 0xc
	s_delay_alu instid0(VALU_DEP_2) | instskip(NEXT) | instid1(VALU_DEP_2)
	v_fma_mix_f32_bf16 v19, v23, v39, v19 op_sel:[1,1,0] op_sel_hi:[1,1,0]
	;; [unrolled: 16-line block ×3, first 2 shown]
	v_fma_mix_f32_bf16 v28, v27, v43, v24 op_sel_hi:[1,1,0]
	ds_load_b128 v[24:27], v11 offset:80
	s_wait_loadcnt_dscnt 0x701
	v_fma_mix_f32_bf16 v19, v20, v44, v19 op_sel:[1,1,0] op_sel_hi:[1,1,0]
	v_fma_mix_f32_bf16 v28, v20, v44, v28 op_sel_hi:[1,1,0]
	s_wait_loadcnt 0x6
	s_delay_alu instid0(VALU_DEP_2) | instskip(NEXT) | instid1(VALU_DEP_2)
	v_fma_mix_f32_bf16 v19, v21, v45, v19 op_sel:[1,1,0] op_sel_hi:[1,1,0]
	v_fma_mix_f32_bf16 v20, v21, v45, v28 op_sel_hi:[1,1,0]
	v_cndmask_b32_e64 v21, v9, v16, s4
	v_cmp_gt_i32_e64 s4, 32, v17
	s_wait_loadcnt 0x5
	v_fma_mix_f32_bf16 v19, v22, v46, v19 op_sel:[1,1,0] op_sel_hi:[1,1,0]
	v_fma_mix_f32_bf16 v20, v22, v46, v20 op_sel_hi:[1,1,0]
	s_wait_loadcnt 0x4
	s_delay_alu instid0(VALU_DEP_2) | instskip(NEXT) | instid1(VALU_DEP_2)
	v_fma_mix_f32_bf16 v19, v23, v47, v19 op_sel:[1,1,0] op_sel_hi:[1,1,0]
	v_fma_mix_f32_bf16 v20, v23, v47, v20 op_sel_hi:[1,1,0]
	s_wait_loadcnt_dscnt 0x300
	s_delay_alu instid0(VALU_DEP_2) | instskip(NEXT) | instid1(VALU_DEP_2)
	v_fma_mix_f32_bf16 v19, v24, v48, v19 op_sel:[1,1,0] op_sel_hi:[1,1,0]
	v_fma_mix_f32_bf16 v20, v24, v48, v20 op_sel_hi:[1,1,0]
	s_wait_loadcnt 0x2
	s_delay_alu instid0(VALU_DEP_2) | instskip(NEXT) | instid1(VALU_DEP_2)
	v_fma_mix_f32_bf16 v19, v25, v49, v19 op_sel:[1,1,0] op_sel_hi:[1,1,0]
	v_fma_mix_f32_bf16 v20, v25, v49, v20 op_sel_hi:[1,1,0]
	s_wait_loadcnt 0x1
	;; [unrolled: 4-line block ×3, first 2 shown]
	s_delay_alu instid0(VALU_DEP_2) | instskip(NEXT) | instid1(VALU_DEP_2)
	v_fma_mix_f32_bf16 v19, v27, v51, v19 op_sel:[1,1,0] op_sel_hi:[1,1,0]
	v_fma_mix_f32_bf16 v20, v27, v51, v20 op_sel_hi:[1,1,0]
	s_delay_alu instid0(VALU_DEP_1) | instskip(SKIP_3) | instid1(VALU_DEP_1)
	v_dual_lshlrev_b32 v21, 2, v21 :: v_dual_add_f32 v19, v20, v19
	ds_bpermute_b32 v20, v21, v19
	s_wait_dscnt 0x0
	v_dual_cndmask_b32 v21, v9, v17, s4 :: v_dual_add_f32 v19, v19, v20
	v_lshlrev_b32_e32 v21, 2, v21
	ds_bpermute_b32 v20, v21, v19
	s_and_saveexec_b32 s38, s3
	s_cbranch_execz .LBB115_10
; %bb.18:                               ;   in Loop: Header=BB115_12 Depth=1
	s_wait_dscnt 0x0
	v_dual_add_nc_u32 v21, v13, v2 :: v_dual_add_f32 v19, v19, v20
	s_delay_alu instid0(VALU_DEP_1) | instskip(NEXT) | instid1(VALU_DEP_1)
	v_cvt_f32_i32_e32 v21, v21
	v_mul_f32_e32 v21, s35, v21
	s_delay_alu instid0(VALU_DEP_1) | instskip(NEXT) | instid1(VALU_DEP_1)
	v_dual_cndmask_b32 v20, 0, v21 :: v_dual_max_num_f32 v21, v12, v12
	v_dual_fmac_f32 v20, s23, v19 :: v_dual_add_nc_u32 v19, v10, v2
	s_delay_alu instid0(VALU_DEP_1) | instskip(NEXT) | instid1(VALU_DEP_2)
	v_max_num_f32_e32 v21, v21, v20
	v_cmp_gt_i32_e64 s4, s31, v19
	s_delay_alu instid0(VALU_DEP_1)
	v_dual_cndmask_b32 v19, 0, v20, s4 :: v_dual_cndmask_b32 v12, v12, v21, s4
	ds_store_b32 v14, v19
	s_branch .LBB115_10
.LBB115_19:
	s_or_b32 exec_lo, exec_lo, s37
.LBB115_20:
	s_delay_alu instid0(SALU_CYCLE_1)
	s_or_b32 exec_lo, exec_lo, s22
	v_dual_max_num_f32 v5, v12, v12 :: v_dual_bitop2_b32 v2, 16, v9 bitop3:0x14
	s_clause 0x1
	s_load_b64 s[4:5], s[0:1], 0x0
	s_load_b64 s[22:23], s[0:1], 0x18
	v_and_b32_e32 v46, 31, v0
	v_xor_b32_e32 v4, 8, v9
	v_cmp_gt_i32_e32 vcc_lo, 32, v2
	v_cndmask_b32_e32 v2, v9, v2, vcc_lo
	s_delay_alu instid0(VALU_DEP_3) | instskip(NEXT) | instid1(VALU_DEP_2)
	v_cmp_gt_i32_e32 vcc_lo, 32, v4
	v_dual_lshlrev_b32 v2, 2, v2 :: v_dual_cndmask_b32 v4, v9, v4, vcc_lo
	ds_bpermute_b32 v3, v2, v12
	s_wait_dscnt 0x0
	v_dual_max_num_f32 v6, v3, v3 :: v_dual_lshlrev_b32 v3, 2, v4
	s_delay_alu instid0(VALU_DEP_1) | instskip(SKIP_4) | instid1(VALU_DEP_1)
	v_dual_max_num_f32 v4, v5, v6 :: v_dual_bitop2_b32 v6, 4, v9 bitop3:0x14
	ds_bpermute_b32 v5, v3, v4
	v_cmp_gt_i32_e32 vcc_lo, 32, v6
	v_cndmask_b32_e32 v6, v9, v6, vcc_lo
	s_wait_dscnt 0x0
	v_dual_max_num_f32 v5, v5, v5 :: v_dual_lshlrev_b32 v6, 2, v6
	s_delay_alu instid0(VALU_DEP_1)
	v_max_num_f32_e32 v5, v4, v5
	v_lshlrev_b32_e32 v4, 2, v1
	v_cmp_eq_u32_e32 vcc_lo, 0, v46
	ds_bpermute_b32 v7, v6, v5
	s_wait_xcnt 0x0
	s_and_saveexec_b32 s0, vcc_lo
	s_cbranch_execz .LBB115_22
; %bb.21:
	s_wait_dscnt 0x0
	v_dual_max_num_f32 v7, v7, v7 :: v_dual_max_num_f32 v5, v5, v5
	s_delay_alu instid0(VALU_DEP_1)
	v_max_num_f32_e32 v5, v5, v7
	ds_store_b32 v4, v5 offset:384
.LBB115_22:
	s_or_b32 exec_lo, exec_lo, s0
	v_cmp_gt_u32_e64 s0, 4, v46
	v_dual_mov_b32 v10, 0xff7fffff :: v_dual_lshlrev_b32 v5, 2, v46
	s_wait_dscnt 0x0
	s_barrier_signal -1
	s_barrier_wait -1
	s_and_saveexec_b32 s1, s0
; %bb.23:
	ds_load_b32 v10, v5 offset:384
; %bb.24:
	s_or_b32 exec_lo, exec_lo, s1
	v_xor_b32_e32 v7, 2, v9
	v_xor_b32_e32 v12, 1, v9
	s_delay_alu instid0(VALU_DEP_2) | instskip(NEXT) | instid1(VALU_DEP_1)
	v_cmp_gt_i32_e64 s1, 32, v7
	v_cndmask_b32_e64 v7, v9, v7, s1
	s_delay_alu instid0(VALU_DEP_3) | instskip(NEXT) | instid1(VALU_DEP_1)
	v_cmp_gt_i32_e64 s1, 32, v12
	v_dual_lshlrev_b32 v7, 2, v7 :: v_dual_cndmask_b32 v9, v9, v12, s1
	s_lshl_b32 s1, s34, 3
	s_delay_alu instid0(SALU_CYCLE_1)
	s_min_i32 s15, s1, s31
	s_wait_dscnt 0x0
	ds_bpermute_b32 v11, v7, v10
	v_max_num_f32_e32 v10, v10, v10
	v_cmp_gt_i32_e64 s1, s15, v0
	s_wait_dscnt 0x0
	v_dual_lshlrev_b32 v9, 2, v9 :: v_dual_max_num_f32 v11, v11, v11
	s_delay_alu instid0(VALU_DEP_1) | instskip(SKIP_3) | instid1(VALU_DEP_1)
	v_max_num_f32_e32 v10, v10, v11
	ds_bpermute_b32 v11, v9, v10
	s_wait_dscnt 0x0
	v_max_num_f32_e32 v11, v11, v11
	v_dual_max_num_f32 v11, v10, v11 :: v_dual_mov_b32 v10, 0
	ds_bpermute_b32 v11, v10, v11
	s_and_saveexec_b32 s24, s1
	s_cbranch_execz .LBB115_28
; %bb.25:
	v_lshl_add_u32 v12, v0, 2, 0x1a0
	v_dual_mov_b32 v10, 0 :: v_dual_mov_b32 v13, v0
	s_mov_b32 s25, 0
.LBB115_26:                             ; =>This Inner Loop Header: Depth=1
	ds_load_b32 v14, v12
	v_add_nc_u32_e32 v13, 0x80, v13
	s_delay_alu instid0(VALU_DEP_1) | instskip(SKIP_3) | instid1(VALU_DEP_1)
	v_cmp_le_i32_e64 s3, s15, v13
	s_or_b32 s25, s3, s25
	s_wait_dscnt 0x0
	v_sub_f32_e32 v14, v14, v11
	v_mul_f32_e32 v14, 0x3fb8aa3b, v14
	s_delay_alu instid0(VALU_DEP_1)
	v_exp_f32_e32 v14, v14
	ds_store_b32 v12, v14
	v_nop
	v_add_f32_e32 v10, v10, v14
	v_add_nc_u32_e32 v12, 0x200, v12
	s_and_not1_b32 exec_lo, exec_lo, s25
	s_cbranch_execnz .LBB115_26
; %bb.27:
	s_or_b32 exec_lo, exec_lo, s25
.LBB115_28:
	s_delay_alu instid0(SALU_CYCLE_1)
	s_or_b32 exec_lo, exec_lo, s24
	ds_bpermute_b32 v2, v2, v10
	s_wait_dscnt 0x0
	v_add_f32_e32 v2, v10, v2
	ds_bpermute_b32 v3, v3, v2
	s_wait_dscnt 0x0
	v_add_f32_e32 v2, v2, v3
	;; [unrolled: 3-line block ×5, first 2 shown]
	s_and_saveexec_b32 s3, vcc_lo
; %bb.29:
	ds_store_b32 v4, v2 offset:400
; %bb.30:
	s_or_b32 exec_lo, exec_lo, s3
	s_wait_dscnt 0x0
	s_barrier_signal -1
	s_barrier_wait -1
	s_and_saveexec_b32 s3, s0
; %bb.31:
	ds_load_b32 v2, v5 offset:400
; %bb.32:
	s_or_b32 exec_lo, exec_lo, s3
	s_wait_dscnt 0x0
	ds_bpermute_b32 v3, v7, v2
	s_wait_dscnt 0x0
	v_add_f32_e32 v2, v2, v3
	ds_bpermute_b32 v3, v9, v2
	s_wait_dscnt 0x0
	v_dual_add_f32 v2, v2, v3 :: v_dual_mov_b32 v3, 0
	ds_bpermute_b32 v2, v3, v2
	s_and_saveexec_b32 s0, s1
	s_cbranch_execz .LBB115_45
; %bb.33:
	s_wait_dscnt 0x0
	v_add_f32_e32 v2, 0x358637bd, v2
	s_mov_b32 s3, -1
	s_mov_b32 s1, exec_lo
	s_delay_alu instid0(VALU_DEP_1) | instskip(NEXT) | instid1(VALU_DEP_1)
	v_div_scale_f32 v3, null, v2, v2, 1.0
	v_rcp_f32_e32 v5, v3
	v_nop
	s_delay_alu instid0(TRANS32_DEP_1) | instskip(NEXT) | instid1(VALU_DEP_1)
	v_fma_f32 v4, -v3, v5, 1.0
	v_fmac_f32_e32 v5, v4, v5
	v_div_scale_f32 v6, vcc_lo, 1.0, v2, 1.0
	s_delay_alu instid0(VALU_DEP_1) | instskip(NEXT) | instid1(VALU_DEP_1)
	v_mul_f32_e32 v7, v6, v5
	v_fma_f32 v4, -v3, v7, v6
	s_delay_alu instid0(VALU_DEP_1) | instskip(SKIP_1) | instid1(VALU_DEP_2)
	v_fmac_f32_e32 v7, v4, v5
	v_xad_u32 v4, v0, -1, s15
	v_fma_f32 v3, -v3, v7, v6
	s_delay_alu instid0(VALU_DEP_1) | instskip(NEXT) | instid1(VALU_DEP_1)
	v_div_fmas_f32 v3, v3, v5, v7
	v_div_fixup_f32 v2, v3, v2, 1.0
	v_mov_b32_e32 v3, v0
	v_cmpx_lt_u32_e32 0x7f, v4
	s_cbranch_execz .LBB115_42
; %bb.34:
	s_delay_alu instid0(VALU_DEP_3) | instskip(NEXT) | instid1(VALU_DEP_1)
	v_dual_mov_b32 v3, v2 :: v_dual_lshrrev_b32 v4, 7, v4
	v_dual_mov_b32 v9, 0 :: v_dual_add_nc_u32 v5, -1, v4
	s_delay_alu instid0(VALU_DEP_1) | instskip(SKIP_1) | instid1(VALU_DEP_2)
	v_lshrrev_b32_e32 v6, 1, v5
	v_cmp_lt_u32_e32 vcc_lo, 13, v5
	v_add_nc_u32_e32 v5, 1, v6
	s_and_saveexec_b32 s3, vcc_lo
	s_cbranch_execz .LBB115_38
; %bb.35:
	s_delay_alu instid0(VALU_DEP_1)
	v_and_b32_e32 v6, -8, v5
	v_lshl_add_u32 v7, v0, 2, 0x1a0
	s_mov_b32 s24, 0
	s_mov_b32 s25, 0
.LBB115_36:                             ; =>This Inner Loop Header: Depth=1
	ds_load_2addr_stride64_b32 v[10:11], v7 offset1:2
	ds_load_2addr_stride64_b32 v[12:13], v7 offset0:4 offset1:6
	ds_load_2addr_stride64_b32 v[14:15], v7 offset0:8 offset1:10
	;; [unrolled: 1-line block ×7, first 2 shown]
	s_add_co_i32 s25, s25, 16
	s_delay_alu instid0(SALU_CYCLE_1) | instskip(NEXT) | instid1(VALU_DEP_1)
	v_dual_mov_b32 v9, s25 :: v_dual_add_nc_u32 v6, -8, v6
	v_cmp_eq_u32_e32 vcc_lo, 0, v6
	s_or_b32 s24, vcc_lo, s24
	s_wait_dscnt 0x7
	v_pk_mul_f32 v[10:11], v[2:3], v[10:11]
	s_wait_dscnt 0x6
	v_pk_mul_f32 v[12:13], v[2:3], v[12:13]
	;; [unrolled: 2-line block ×8, first 2 shown]
	ds_store_2addr_stride64_b32 v7, v10, v11 offset1:2
	ds_store_2addr_stride64_b32 v7, v12, v13 offset0:4 offset1:6
	ds_store_2addr_stride64_b32 v7, v14, v15 offset0:8 offset1:10
	;; [unrolled: 1-line block ×7, first 2 shown]
	v_add_nc_u32_e32 v7, 0x2000, v7
	s_and_not1_b32 exec_lo, exec_lo, s24
	s_cbranch_execnz .LBB115_36
; %bb.37:
	s_or_b32 exec_lo, exec_lo, s24
.LBB115_38:
	s_delay_alu instid0(SALU_CYCLE_1) | instskip(NEXT) | instid1(VALU_DEP_1)
	s_or_b32 exec_lo, exec_lo, s3
	v_and_b32_e32 v5, 7, v5
	s_mov_b32 s24, 0
	s_mov_b32 s3, exec_lo
	s_delay_alu instid0(VALU_DEP_1)
	v_cmpx_ne_u32_e32 0, v5
	s_cbranch_execz .LBB115_41
; %bb.39:
	v_dual_lshlrev_b32 v6, 9, v9 :: v_dual_lshlrev_b32 v7, 2, v0
	s_delay_alu instid0(VALU_DEP_1)
	v_add3_u32 v6, v6, v7, 0x1a0
.LBB115_40:                             ; =>This Inner Loop Header: Depth=1
	ds_load_2addr_stride64_b32 v[10:11], v6 offset1:2
	v_add_nc_u32_e32 v5, -1, v5
	s_delay_alu instid0(VALU_DEP_1)
	v_cmp_eq_u32_e32 vcc_lo, 0, v5
	s_or_b32 s24, vcc_lo, s24
	s_wait_dscnt 0x0
	v_pk_mul_f32 v[10:11], v[2:3], v[10:11]
	ds_store_2addr_stride64_b32 v6, v10, v11 offset1:2
	v_add_nc_u32_e32 v6, 0x400, v6
	s_and_not1_b32 exec_lo, exec_lo, s24
	s_cbranch_execnz .LBB115_40
.LBB115_41:
	s_or_b32 exec_lo, exec_lo, s3
	v_add_nc_u32_e32 v3, 1, v4
	s_delay_alu instid0(VALU_DEP_1) | instskip(NEXT) | instid1(VALU_DEP_1)
	v_and_b32_e32 v4, 0x3fffffe, v3
	v_cmp_ne_u32_e32 vcc_lo, v3, v4
	v_lshl_add_u32 v3, v4, 7, v0
	s_or_not1_b32 s3, vcc_lo, exec_lo
.LBB115_42:
	s_or_b32 exec_lo, exec_lo, s1
	s_delay_alu instid0(SALU_CYCLE_1)
	s_and_b32 exec_lo, exec_lo, s3
	s_cbranch_execz .LBB115_45
; %bb.43:
	v_lshl_add_u32 v4, v3, 2, 0x1a0
	s_mov_b32 s1, 0
.LBB115_44:                             ; =>This Inner Loop Header: Depth=1
	ds_load_b32 v5, v4
	v_add_nc_u32_e32 v3, 0x80, v3
	s_delay_alu instid0(VALU_DEP_1)
	v_cmp_le_i32_e32 vcc_lo, s15, v3
	s_or_b32 s1, vcc_lo, s1
	s_wait_dscnt 0x0
	v_mul_f32_e32 v5, v2, v5
	ds_store_b32 v4, v5
	v_add_nc_u32_e32 v4, 0x200, v4
	s_and_not1_b32 exec_lo, exec_lo, s1
	s_cbranch_execnz .LBB115_44
.LBB115_45:
	s_or_b32 exec_lo, exec_lo, s0
	v_mov_b64_e32 v[40:41], 0
	v_mov_b64_e32 v[38:39], 0
	;; [unrolled: 1-line block ×3, first 2 shown]
	s_wait_dscnt 0x0
	s_barrier_signal -1
	s_barrier_wait -1
	s_and_saveexec_b32 s1, s2
	s_cbranch_execz .LBB115_63
; %bb.46:
	s_abs_i32 s10, s10
	v_dual_mov_b32 v35, 0 :: v_dual_lshlrev_b32 v2, 4, v46
	s_cvt_f32_u32 s0, s10
	s_ashr_i32 s15, s14, 31
	v_and_b32_e32 v4, 0x7c, v8
	s_lshl_b64 s[20:21], s[20:21], 2
	v_rcp_iflag_f32_e32 v3, s0
	s_lshl_b64 s[14:15], s[14:15], 1
	s_add_nc_u64 s[18:19], s[18:19], s[20:21]
	s_wait_kmcnt 0x0
	s_add_nc_u64 s[14:15], s[22:23], s[14:15]
	s_sub_co_i32 s24, s8, s9
	s_sub_co_i32 s8, 0, s10
	v_mov_b32_e32 v5, v35
	v_readfirstlane_b32 s0, v3
	v_mov_b32_e32 v3, v35
	v_mov_b64_e32 v[36:37], 0
	v_mov_b64_e32 v[38:39], 0
	;; [unrolled: 1-line block ×3, first 2 shown]
	s_mul_f32 s0, s0, 0x4f7ffffe
	v_add_nc_u64_e32 v[42:43], s[14:15], v[2:3]
	v_add_nc_u64_e32 v[44:45], s[18:19], v[4:5]
	v_lshl_add_u32 v47, v1, 5, 0x1a0
	s_cvt_u32_f32 s0, s0
	v_mov_b32_e32 v48, v1
	s_mov_b32 s9, 0
	s_ashr_i32 s3, s13, 31
	s_mul_i32 s8, s8, s0
	s_mov_b32 s2, s13
	s_mul_hi_u32 s8, s0, s8
	s_add_co_i32 s13, s34, -1
	s_mov_b32 s14, s31
	s_add_co_i32 s8, s0, s8
	s_mov_b32 s15, s9
	s_branch .LBB115_49
.LBB115_47:                             ;   in Loop: Header=BB115_49 Depth=1
	s_or_b32 exec_lo, exec_lo, s0
	s_wait_dscnt 0x1
	v_cvt_pk_bf16_f32 v14, v14, v15
	v_cvt_pk_bf16_f32 v15, v16, v17
	s_wait_dscnt 0x0
	v_cvt_pk_bf16_f32 v11, v10, v11
	v_cvt_pk_bf16_f32 v17, v12, v13
	s_wait_loadcnt 0x1
	v_pk_mul_bf16 v10, v14, v30
	v_pk_mul_bf16 v16, v15, v31
	;; [unrolled: 1-line block ×5, first 2 shown]
	s_delay_alu instid0(VALU_DEP_4)
	v_dual_lshlrev_b32 v13, 16, v10 :: v_dual_lshlrev_b32 v30, 16, v16
	v_and_b32_e32 v10, 0xffff0000, v10
	v_and_b32_e32 v16, 0xffff0000, v16
	v_lshlrev_b32_e32 v32, 16, v12
	v_and_b32_e32 v12, 0xffff0000, v12
	v_pk_mul_bf16 v20, v11, v20
	s_delay_alu instid0(VALU_DEP_4) | instskip(SKIP_3) | instid1(VALU_DEP_4)
	v_dual_add_f32 v10, v13, v10 :: v_dual_add_f32 v13, v30, v16
	v_pk_mul_bf16 v16, v14, v22
	v_pk_mul_bf16 v22, v15, v23
	v_dual_add_f32 v12, v32, v12 :: v_dual_lshlrev_b32 v23, 16, v31
	v_add_f32_e32 v10, v13, v10
	v_and_b32_e32 v13, 0xffff0000, v31
	s_delay_alu instid0(VALU_DEP_4) | instskip(SKIP_2) | instid1(VALU_DEP_4)
	v_dual_lshlrev_b32 v30, 16, v16 :: v_dual_lshlrev_b32 v31, 16, v22
	v_and_b32_e32 v16, 0xffff0000, v16
	v_and_b32_e32 v22, 0xffff0000, v22
	v_dual_add_f32 v10, v12, v10 :: v_dual_add_f32 v12, v23, v13
	v_and_b32_e32 v23, 0xffff0000, v24
	s_delay_alu instid0(VALU_DEP_3) | instskip(NEXT) | instid1(VALU_DEP_3)
	v_dual_add_f32 v13, v30, v16 :: v_dual_add_f32 v16, v31, v22
	v_dual_lshlrev_b32 v22, 16, v24 :: v_dual_add_f32 v10, v12, v10
	v_pk_mul_bf16 v6, v14, v6
	v_pk_mul_bf16 v7, v15, v7
	s_delay_alu instid0(VALU_DEP_3)
	v_dual_add_f32 v12, v16, v13 :: v_dual_add_f32 v13, v22, v23
	v_pk_mul_bf16 v16, v14, v18
	v_pk_mul_bf16 v18, v15, v19
	v_add_f32_e32 v10, v40, v10
	v_pk_mul_bf16 v19, v17, v25
	v_add_f32_e32 v22, v13, v12
	v_lshlrev_b32_e32 v12, 16, v16
	v_and_b32_e32 v13, 0xffff0000, v16
	v_lshlrev_b32_e32 v16, 16, v18
	v_and_b32_e32 v18, 0xffff0000, v18
	v_lshlrev_b32_e32 v23, 16, v19
	v_and_b32_e32 v19, 0xffff0000, v19
	v_add_f32_e32 v12, v12, v13
	v_pk_mul_bf16 v8, v11, v8
	v_dual_add_f32 v13, v16, v18 :: v_dual_lshlrev_b32 v16, 16, v20
	v_and_b32_e32 v18, 0xffff0000, v20
	v_pk_mul_bf16 v20, v17, v21
	s_delay_alu instid0(VALU_DEP_3) | instskip(NEXT) | instid1(VALU_DEP_3)
	v_dual_add_f32 v19, v23, v19 :: v_dual_add_f32 v12, v13, v12
	v_dual_lshlrev_b32 v21, 16, v7 :: v_dual_add_f32 v13, v16, v18
	s_delay_alu instid0(VALU_DEP_3)
	v_lshlrev_b32_e32 v16, 16, v20
	v_and_b32_e32 v18, 0xffff0000, v20
	v_lshlrev_b32_e32 v20, 16, v6
	v_and_b32_e32 v6, 0xffff0000, v6
	v_and_b32_e32 v7, 0xffff0000, v7
	v_pk_mul_bf16 v2, v14, v2
	v_dual_add_f32 v23, v13, v12 :: v_dual_add_f32 v16, v16, v18
	s_delay_alu instid0(VALU_DEP_3)
	v_dual_add_f32 v6, v20, v6 :: v_dual_add_f32 v7, v21, v7
	v_lshlrev_b32_e32 v12, 16, v8
	v_and_b32_e32 v8, 0xffff0000, v8
	v_pk_mul_bf16 v3, v15, v3
	v_lshlrev_b32_e32 v25, 16, v2
	v_add_f32_e32 v20, v7, v6
	v_and_b32_e32 v30, 0xffff0000, v2
	s_wait_loadcnt 0x0
	v_pk_mul_bf16 v2, v14, v26
	v_pk_mul_bf16 v6, v15, v27
	;; [unrolled: 1-line block ×3, first 2 shown]
	v_dual_add_f32 v21, v12, v8 :: v_dual_lshlrev_b32 v31, 16, v3
	v_and_b32_e32 v14, 0xffff0000, v3
	v_pk_mul_bf16 v8, v11, v28
	v_pk_mul_bf16 v12, v17, v29
	v_and_b32_e32 v3, 0xffff0000, v2
	v_lshlrev_b32_e32 v7, 16, v2
	v_and_b32_e32 v2, 0xffff0000, v6
	v_lshlrev_b32_e32 v6, 16, v6
	;; [unrolled: 2-line block ×4, first 2 shown]
	v_pk_add_f32 v[2:3], v[6:7], v[2:3]
	v_pk_mul_bf16 v4, v11, v4
	v_add_f32_e32 v11, v25, v30
	v_add_f32_e32 v14, v31, v14
	v_pk_add_f32 v[6:7], v[12:13], v[8:9]
	s_delay_alu instid0(VALU_DEP_4) | instskip(SKIP_3) | instid1(VALU_DEP_4)
	v_dual_add_f32 v2, v2, v3 :: v_dual_lshlrev_b32 v3, 16, v4
	v_and_b32_e32 v4, 0xffff0000, v4
	v_pk_mul_bf16 v5, v17, v5
	v_lshlrev_b32_e32 v24, 16, v18
	v_dual_add_f32 v2, v7, v2 :: v_dual_add_f32 v7, v14, v11
	v_and_b32_e32 v8, 0xffff0000, v18
	s_delay_alu instid0(VALU_DEP_4) | instskip(NEXT) | instid1(VALU_DEP_3)
	v_dual_add_f32 v3, v3, v4 :: v_dual_lshlrev_b32 v4, 16, v5
	v_dual_add_f32 v2, v6, v2 :: v_dual_add_f32 v6, v21, v20
	v_and_b32_e32 v5, 0xffff0000, v5
	s_delay_alu instid0(VALU_DEP_3) | instskip(NEXT) | instid1(VALU_DEP_3)
	v_dual_add_f32 v8, v24, v8 :: v_dual_add_f32 v7, v3, v7
	v_pk_add_f32 v[2:3], v[40:41], v[2:3] op_sel_hi:[1,0]
	s_delay_alu instid0(VALU_DEP_3) | instskip(NEXT) | instid1(VALU_DEP_2)
	v_dual_add_f32 v2, v19, v22 :: v_dual_add_f32 v4, v4, v5
	v_dual_add_f32 v5, v16, v23 :: v_dual_mov_b32 v11, v3
	s_delay_alu instid0(VALU_DEP_4) | instskip(NEXT) | instid1(VALU_DEP_3)
	v_add_f32_e32 v6, v8, v6
	v_dual_add_f32 v4, v4, v7 :: v_dual_add_f32 v39, v39, v2
	s_delay_alu instid0(VALU_DEP_3) | instskip(NEXT) | instid1(VALU_DEP_4)
	v_add_f32_e32 v38, v38, v5
	v_mov_b64_e32 v[40:41], v[10:11]
	s_delay_alu instid0(VALU_DEP_3)
	v_dual_add_f32 v37, v37, v6 :: v_dual_add_f32 v36, v36, v4
.LBB115_48:                             ;   in Loop: Header=BB115_49 Depth=1
	s_or_b32 exec_lo, exec_lo, s18
	v_dual_add_nc_u32 v48, 4, v48 :: v_dual_add_nc_u32 v34, 32, v34
	v_add_nc_u64_e32 v[44:45], 16, v[44:45]
	v_add_nc_u32_e32 v47, 0x80, v47
	s_delay_alu instid0(VALU_DEP_3) | instskip(SKIP_1) | instid1(SALU_CYCLE_1)
	v_cmp_le_i32_e32 vcc_lo, s34, v48
	s_or_b32 s15, vcc_lo, s15
	s_and_not1_b32 exec_lo, exec_lo, s15
	s_cbranch_execz .LBB115_62
.LBB115_49:                             ; =>This Inner Loop Header: Depth=1
	v_mul_u64_e32 v[2:3], s[16:17], v[34:35]
	s_delay_alu instid0(VALU_DEP_1) | instskip(NEXT) | instid1(VALU_DEP_1)
	v_mul_lo_u32 v2, v3, s12
	v_dual_add_nc_u32 v4, 1, v3 :: v_dual_sub_nc_u32 v2, v34, v2
	s_delay_alu instid0(VALU_DEP_1) | instskip(SKIP_1) | instid1(VALU_DEP_2)
	v_subrev_nc_u32_e32 v5, s12, v2
	v_cmp_le_u32_e32 vcc_lo, s12, v2
	v_dual_cndmask_b32 v3, v3, v4 :: v_dual_cndmask_b32 v2, v2, v5
	s_delay_alu instid0(VALU_DEP_1) | instskip(NEXT) | instid1(VALU_DEP_2)
	v_add_nc_u32_e32 v4, 1, v3
	v_cmp_le_u32_e32 vcc_lo, s12, v2
	s_delay_alu instid0(VALU_DEP_2) | instskip(NEXT) | instid1(VALU_DEP_1)
	v_cndmask_b32_e32 v2, v3, v4, vcc_lo
	v_dual_mov_b32 v3, v35 :: v_dual_bitop2_b32 v2, s11, v2 bitop3:0x14
	s_delay_alu instid0(VALU_DEP_1) | instskip(NEXT) | instid1(VALU_DEP_1)
	v_subrev_nc_u32_e32 v6, s11, v2
	v_add_nc_u32_e32 v7, s33, v6
	v_cmp_lt_i32_e64 s0, s24, v6
	s_delay_alu instid0(VALU_DEP_2) | instskip(NEXT) | instid1(VALU_DEP_1)
	v_sub_nc_u32_e32 v2, 0, v7
	v_max_i32_e32 v2, v7, v2
	s_delay_alu instid0(VALU_DEP_1) | instskip(SKIP_1) | instid1(VALU_DEP_2)
	v_mul_u64_e32 v[4:5], s[8:9], v[2:3]
	v_ashrrev_i32_e32 v4, 31, v7
	v_mul_lo_u32 v3, v5, s10
	s_delay_alu instid0(VALU_DEP_1) | instskip(NEXT) | instid1(VALU_DEP_1)
	v_sub_nc_u32_e32 v2, v2, v3
	v_subrev_nc_u32_e32 v3, s10, v2
	v_cmp_le_u32_e32 vcc_lo, s10, v2
	s_delay_alu instid0(VALU_DEP_2) | instskip(NEXT) | instid1(VALU_DEP_1)
	v_cndmask_b32_e32 v2, v2, v3, vcc_lo
	v_subrev_nc_u32_e32 v3, s10, v2
	v_cmp_le_u32_e32 vcc_lo, s10, v2
	s_delay_alu instid0(VALU_DEP_2) | instskip(NEXT) | instid1(VALU_DEP_1)
	v_cndmask_b32_e32 v2, v2, v3, vcc_lo
	v_xor_b32_e32 v2, v2, v4
	s_delay_alu instid0(VALU_DEP_1) | instskip(NEXT) | instid1(VALU_DEP_1)
	v_sub_nc_u32_e32 v2, v2, v4
	v_cmp_eq_u32_e32 vcc_lo, 0, v2
	s_or_b32 s0, vcc_lo, s0
	s_delay_alu instid0(SALU_CYCLE_1)
	s_and_saveexec_b32 s18, s0
	s_cbranch_execz .LBB115_48
; %bb.50:                               ;   in Loop: Header=BB115_49 Depth=1
	global_load_b32 v2, v[44:45], off
	v_cmp_eq_u32_e32 vcc_lo, s13, v48
	v_dual_add_nc_u32 v54, 1, v34 :: v_dual_bitop2_b32 v53, 3, v34 bitop3:0x54
	v_or_b32_e32 v55, 2, v34
	v_or_b32_e32 v50, 5, v34
	;; [unrolled: 1-line block ×5, first 2 shown]
	s_wait_loadcnt 0x0
	v_ashrrev_i32_e32 v3, 31, v2
	s_delay_alu instid0(VALU_DEP_1) | instskip(NEXT) | instid1(VALU_DEP_1)
	v_mul_u64_e32 v[2:3], s[2:3], v[2:3]
	v_lshl_add_u64 v[26:27], v[2:3], 1, v[42:43]
	global_load_b128 v[2:5], v[26:27], off
	ds_load_2addr_b64 v[14:17], v47 offset1:1
	ds_load_2addr_b64 v[10:13], v47 offset0:2 offset1:3
	s_wait_xcnt 0x0
	s_and_saveexec_b32 s19, vcc_lo
	s_cbranch_execnz .LBB115_56
; %bb.51:                               ;   in Loop: Header=BB115_49 Depth=1
	s_or_b32 exec_lo, exec_lo, s19
	global_load_b128 v[6:9], v[26:27], off offset:512
	s_wait_xcnt 0x0
	s_and_saveexec_b32 s19, vcc_lo
	s_cbranch_execnz .LBB115_57
.LBB115_52:                             ;   in Loop: Header=BB115_49 Depth=1
	s_or_b32 exec_lo, exec_lo, s19
	global_load_b128 v[18:21], v[26:27], off offset:1024
	s_wait_xcnt 0x0
	s_and_saveexec_b32 s19, vcc_lo
	s_cbranch_execnz .LBB115_58
.LBB115_53:                             ;   in Loop: Header=BB115_49 Depth=1
	s_or_b32 exec_lo, exec_lo, s19
	global_load_b128 v[22:25], v[26:27], off offset:1536
	s_wait_xcnt 0x0
	s_and_saveexec_b32 s19, vcc_lo
	s_cbranch_execnz .LBB115_59
.LBB115_54:                             ;   in Loop: Header=BB115_49 Depth=1
	s_or_b32 exec_lo, exec_lo, s19
	global_load_b128 v[30:33], v[26:27], off offset:2048
	s_wait_xcnt 0x0
	s_and_saveexec_b32 s19, vcc_lo
	s_cbranch_execnz .LBB115_60
.LBB115_55:                             ;   in Loop: Header=BB115_49 Depth=1
	s_or_b32 exec_lo, exec_lo, s19
	global_load_b128 v[26:29], v[26:27], off offset:2560
	s_wait_xcnt 0x0
	s_and_saveexec_b32 s0, vcc_lo
	s_cbranch_execz .LBB115_47
	s_branch .LBB115_61
.LBB115_56:                             ;   in Loop: Header=BB115_49 Depth=1
	v_cmp_gt_i32_e64 s0, s31, v34
	s_wait_loadcnt 0x0
	v_dual_lshrrev_b32 v6, 16, v2 :: v_dual_lshrrev_b32 v8, 16, v4
	s_delay_alu instid0(VALU_DEP_2) | instskip(SKIP_1) | instid1(VALU_DEP_1)
	v_cndmask_b32_e64 v2, 0, v2, s0
	v_cmp_gt_i32_e64 s0, s14, v54
	v_dual_lshrrev_b32 v7, 16, v3 :: v_dual_cndmask_b32 v6, 0, v6, s0
	v_cmp_gt_i32_e64 s0, s31, v55
	s_delay_alu instid0(VALU_DEP_2) | instskip(NEXT) | instid1(VALU_DEP_2)
	v_perm_b32 v2, v6, v2, 0x5040100
	v_cndmask_b32_e64 v3, 0, v3, s0
	v_cmp_gt_i32_e64 s0, s14, v53
	s_delay_alu instid0(VALU_DEP_1) | instskip(SKIP_1) | instid1(VALU_DEP_1)
	v_cndmask_b32_e64 v7, 0, v7, s0
	v_cmp_gt_i32_e64 s0, s31, v52
	v_cndmask_b32_e64 v4, 0, v4, s0
	v_cmp_gt_i32_e64 s0, s14, v50
	v_lshrrev_b32_e32 v9, 16, v5
	v_perm_b32 v3, v7, v3, 0x5040100
	s_delay_alu instid0(VALU_DEP_3) | instskip(SKIP_1) | instid1(VALU_DEP_2)
	v_cndmask_b32_e64 v8, 0, v8, s0
	v_cmp_gt_i32_e64 s0, s31, v51
	v_perm_b32 v4, v8, v4, 0x5040100
	s_delay_alu instid0(VALU_DEP_2) | instskip(SKIP_1) | instid1(VALU_DEP_1)
	v_cndmask_b32_e64 v5, 0, v5, s0
	v_cmp_gt_i32_e64 s0, s14, v49
	v_cndmask_b32_e64 v9, 0, v9, s0
	s_delay_alu instid0(VALU_DEP_1)
	v_perm_b32 v5, v9, v5, 0x5040100
	s_or_b32 exec_lo, exec_lo, s19
	global_load_b128 v[6:9], v[26:27], off offset:512
	s_wait_xcnt 0x0
	s_and_saveexec_b32 s19, vcc_lo
	s_cbranch_execz .LBB115_52
.LBB115_57:                             ;   in Loop: Header=BB115_49 Depth=1
	v_cmp_gt_i32_e64 s0, s31, v34
	s_wait_loadcnt 0x0
	v_dual_lshrrev_b32 v18, 16, v6 :: v_dual_lshrrev_b32 v20, 16, v8
	s_delay_alu instid0(VALU_DEP_2) | instskip(SKIP_1) | instid1(VALU_DEP_1)
	v_cndmask_b32_e64 v6, 0, v6, s0
	v_cmp_gt_i32_e64 s0, s14, v54
	v_dual_lshrrev_b32 v19, 16, v7 :: v_dual_cndmask_b32 v18, 0, v18, s0
	v_cmp_gt_i32_e64 s0, s31, v55
	s_delay_alu instid0(VALU_DEP_2) | instskip(NEXT) | instid1(VALU_DEP_2)
	v_perm_b32 v6, v18, v6, 0x5040100
	v_cndmask_b32_e64 v7, 0, v7, s0
	v_cmp_gt_i32_e64 s0, s14, v53
	s_delay_alu instid0(VALU_DEP_1) | instskip(SKIP_1) | instid1(VALU_DEP_1)
	v_cndmask_b32_e64 v19, 0, v19, s0
	v_cmp_gt_i32_e64 s0, s31, v52
	v_cndmask_b32_e64 v8, 0, v8, s0
	v_cmp_gt_i32_e64 s0, s14, v50
	v_lshrrev_b32_e32 v21, 16, v9
	v_perm_b32 v7, v19, v7, 0x5040100
	s_delay_alu instid0(VALU_DEP_3) | instskip(SKIP_1) | instid1(VALU_DEP_2)
	v_cndmask_b32_e64 v20, 0, v20, s0
	v_cmp_gt_i32_e64 s0, s31, v51
	v_perm_b32 v8, v20, v8, 0x5040100
	s_delay_alu instid0(VALU_DEP_2) | instskip(SKIP_1) | instid1(VALU_DEP_1)
	v_cndmask_b32_e64 v9, 0, v9, s0
	v_cmp_gt_i32_e64 s0, s14, v49
	v_cndmask_b32_e64 v21, 0, v21, s0
	s_delay_alu instid0(VALU_DEP_1)
	v_perm_b32 v9, v21, v9, 0x5040100
	s_or_b32 exec_lo, exec_lo, s19
	global_load_b128 v[18:21], v[26:27], off offset:1024
	s_wait_xcnt 0x0
	s_and_saveexec_b32 s19, vcc_lo
	s_cbranch_execz .LBB115_53
.LBB115_58:                             ;   in Loop: Header=BB115_49 Depth=1
	v_cmp_gt_i32_e64 s0, s31, v34
	s_wait_loadcnt 0x0
	v_dual_lshrrev_b32 v22, 16, v18 :: v_dual_lshrrev_b32 v24, 16, v20
	s_delay_alu instid0(VALU_DEP_2) | instskip(SKIP_1) | instid1(VALU_DEP_1)
	v_cndmask_b32_e64 v18, 0, v18, s0
	v_cmp_gt_i32_e64 s0, s14, v54
	v_dual_lshrrev_b32 v23, 16, v19 :: v_dual_cndmask_b32 v22, 0, v22, s0
	v_cmp_gt_i32_e64 s0, s31, v55
	s_delay_alu instid0(VALU_DEP_2) | instskip(NEXT) | instid1(VALU_DEP_2)
	v_perm_b32 v18, v22, v18, 0x5040100
	v_cndmask_b32_e64 v19, 0, v19, s0
	v_cmp_gt_i32_e64 s0, s14, v53
	s_delay_alu instid0(VALU_DEP_1) | instskip(SKIP_1) | instid1(VALU_DEP_1)
	v_cndmask_b32_e64 v23, 0, v23, s0
	v_cmp_gt_i32_e64 s0, s31, v52
	v_cndmask_b32_e64 v20, 0, v20, s0
	v_cmp_gt_i32_e64 s0, s14, v50
	v_lshrrev_b32_e32 v25, 16, v21
	v_perm_b32 v19, v23, v19, 0x5040100
	s_delay_alu instid0(VALU_DEP_3) | instskip(SKIP_1) | instid1(VALU_DEP_2)
	v_cndmask_b32_e64 v24, 0, v24, s0
	v_cmp_gt_i32_e64 s0, s31, v51
	v_perm_b32 v20, v24, v20, 0x5040100
	s_delay_alu instid0(VALU_DEP_2) | instskip(SKIP_1) | instid1(VALU_DEP_1)
	v_cndmask_b32_e64 v21, 0, v21, s0
	v_cmp_gt_i32_e64 s0, s14, v49
	v_cndmask_b32_e64 v25, 0, v25, s0
	s_delay_alu instid0(VALU_DEP_1)
	v_perm_b32 v21, v25, v21, 0x5040100
	s_or_b32 exec_lo, exec_lo, s19
	global_load_b128 v[22:25], v[26:27], off offset:1536
	s_wait_xcnt 0x0
	s_and_saveexec_b32 s19, vcc_lo
	s_cbranch_execz .LBB115_54
.LBB115_59:                             ;   in Loop: Header=BB115_49 Depth=1
	v_cmp_gt_i32_e64 s0, s31, v34
	s_wait_loadcnt 0x0
	s_delay_alu instid0(VALU_DEP_1) | instskip(SKIP_1) | instid1(VALU_DEP_1)
	v_dual_lshrrev_b32 v28, 16, v22 :: v_dual_cndmask_b32 v22, 0, v22, s0
	v_cmp_gt_i32_e64 s0, s14, v54
	v_dual_lshrrev_b32 v29, 16, v23 :: v_dual_cndmask_b32 v28, 0, v28, s0
	v_cmp_gt_i32_e64 s0, s31, v55
	s_delay_alu instid0(VALU_DEP_2) | instskip(NEXT) | instid1(VALU_DEP_2)
	v_perm_b32 v22, v28, v22, 0x5040100
	v_cndmask_b32_e64 v23, 0, v23, s0
	v_cmp_gt_i32_e64 s0, s14, v53
	s_delay_alu instid0(VALU_DEP_1) | instskip(SKIP_2) | instid1(VALU_DEP_3)
	v_cndmask_b32_e64 v29, 0, v29, s0
	v_cmp_gt_i32_e64 s0, s31, v52
	v_lshrrev_b32_e32 v30, 16, v24
	v_perm_b32 v23, v29, v23, 0x5040100
	s_delay_alu instid0(VALU_DEP_3) | instskip(SKIP_1) | instid1(VALU_DEP_1)
	v_cndmask_b32_e64 v24, 0, v24, s0
	v_cmp_gt_i32_e64 s0, s14, v50
	v_dual_lshrrev_b32 v31, 16, v25 :: v_dual_cndmask_b32 v30, 0, v30, s0
	v_cmp_gt_i32_e64 s0, s31, v51
	s_delay_alu instid0(VALU_DEP_2) | instskip(NEXT) | instid1(VALU_DEP_2)
	v_perm_b32 v24, v30, v24, 0x5040100
	v_cndmask_b32_e64 v25, 0, v25, s0
	v_cmp_gt_i32_e64 s0, s14, v49
	s_delay_alu instid0(VALU_DEP_1) | instskip(NEXT) | instid1(VALU_DEP_1)
	v_cndmask_b32_e64 v31, 0, v31, s0
	v_perm_b32 v25, v31, v25, 0x5040100
	s_or_b32 exec_lo, exec_lo, s19
	global_load_b128 v[30:33], v[26:27], off offset:2048
	s_wait_xcnt 0x0
	s_and_saveexec_b32 s19, vcc_lo
	s_cbranch_execz .LBB115_55
.LBB115_60:                             ;   in Loop: Header=BB115_49 Depth=1
	v_cmp_gt_i32_e64 s0, s31, v34
	s_wait_loadcnt 0x0
	s_delay_alu instid0(VALU_DEP_1) | instskip(SKIP_1) | instid1(VALU_DEP_1)
	v_dual_lshrrev_b32 v28, 16, v30 :: v_dual_cndmask_b32 v29, 0, v30, s0
	v_cmp_gt_i32_e64 s0, s14, v54
	v_dual_lshrrev_b32 v30, 16, v31 :: v_dual_cndmask_b32 v28, 0, v28, s0
	v_cmp_gt_i32_e64 s0, s31, v55
	s_delay_alu instid0(VALU_DEP_1) | instskip(SKIP_1) | instid1(VALU_DEP_1)
	v_cndmask_b32_e64 v31, 0, v31, s0
	v_cmp_gt_i32_e64 s0, s14, v53
	v_cndmask_b32_e64 v56, 0, v30, s0
	v_cmp_gt_i32_e64 s0, s31, v52
	v_lshrrev_b32_e32 v30, 16, v32
	s_delay_alu instid0(VALU_DEP_3) | instskip(NEXT) | instid1(VALU_DEP_3)
	v_perm_b32 v31, v56, v31, 0x5040100
	v_cndmask_b32_e64 v32, 0, v32, s0
	v_cmp_gt_i32_e64 s0, s14, v50
	s_delay_alu instid0(VALU_DEP_1) | instskip(SKIP_2) | instid1(VALU_DEP_3)
	v_dual_lshrrev_b32 v57, 16, v33 :: v_dual_cndmask_b32 v58, 0, v30, s0
	v_cmp_gt_i32_e64 s0, s31, v51
	v_perm_b32 v30, v28, v29, 0x5040100
	v_perm_b32 v32, v58, v32, 0x5040100
	s_delay_alu instid0(VALU_DEP_3) | instskip(SKIP_1) | instid1(VALU_DEP_1)
	v_cndmask_b32_e64 v33, 0, v33, s0
	v_cmp_gt_i32_e64 s0, s14, v49
	v_cndmask_b32_e64 v57, 0, v57, s0
	s_delay_alu instid0(VALU_DEP_1)
	v_perm_b32 v33, v57, v33, 0x5040100
	s_or_b32 exec_lo, exec_lo, s19
	global_load_b128 v[26:29], v[26:27], off offset:2560
	s_wait_xcnt 0x0
	s_and_saveexec_b32 s0, vcc_lo
	s_cbranch_execz .LBB115_47
.LBB115_61:                             ;   in Loop: Header=BB115_49 Depth=1
	v_cmp_gt_i32_e32 vcc_lo, s31, v34
	s_wait_loadcnt 0x0
	v_dual_lshrrev_b32 v56, 16, v26 :: v_dual_cndmask_b32 v26, 0, v26, vcc_lo
	v_cmp_gt_i32_e32 vcc_lo, s14, v54
	s_delay_alu instid0(VALU_DEP_2) | instskip(SKIP_1) | instid1(VALU_DEP_2)
	v_dual_cndmask_b32 v54, 0, v56 :: v_dual_lshrrev_b32 v57, 16, v27
	v_cmp_gt_i32_e32 vcc_lo, s31, v55
	v_perm_b32 v26, v54, v26, 0x5040100
	v_cndmask_b32_e32 v27, 0, v27, vcc_lo
	v_cmp_gt_i32_e32 vcc_lo, s14, v53
	v_cndmask_b32_e32 v53, 0, v57, vcc_lo
	v_cmp_gt_i32_e32 vcc_lo, s31, v52
	v_lshrrev_b32_e32 v55, 16, v28
	s_delay_alu instid0(VALU_DEP_3) | instskip(SKIP_2) | instid1(VALU_DEP_4)
	v_perm_b32 v27, v53, v27, 0x5040100
	v_cndmask_b32_e32 v28, 0, v28, vcc_lo
	v_cmp_gt_i32_e32 vcc_lo, s14, v50
	v_dual_lshrrev_b32 v52, 16, v29 :: v_dual_cndmask_b32 v50, 0, v55, vcc_lo
	v_cmp_gt_i32_e32 vcc_lo, s31, v51
	s_delay_alu instid0(VALU_DEP_2) | instskip(SKIP_3) | instid1(VALU_DEP_1)
	v_perm_b32 v28, v50, v28, 0x5040100
	v_cndmask_b32_e32 v29, 0, v29, vcc_lo
	v_cmp_gt_i32_e32 vcc_lo, s14, v49
	v_cndmask_b32_e32 v49, 0, v52, vcc_lo
	v_perm_b32 v29, v49, v29, 0x5040100
	s_branch .LBB115_47
.LBB115_62:
	s_or_b32 exec_lo, exec_lo, s15
.LBB115_63:
	s_delay_alu instid0(SALU_CYCLE_1) | instskip(SKIP_4) | instid1(VALU_DEP_2)
	s_or_b32 exec_lo, exec_lo, s1
	v_lshl_add_u32 v2, v46, 2, 0x1a0
	v_and_b32_e32 v3, 0x3c0, v0
	s_mov_b32 s0, exec_lo
	s_barrier_signal -1
	v_mad_u32_u24 v1, 0x300, v1, v2
	s_barrier_wait -1
	v_cmpx_eq_u32_e32 64, v3
	s_cbranch_execz .LBB115_65
; %bb.64:
	s_delay_alu instid0(VALU_DEP_2)
	v_add_nc_u32_e32 v3, 0xfffffa00, v1
	v_add_nc_u32_e32 v4, 0xfffffa80, v1
	;; [unrolled: 1-line block ×6, first 2 shown]
	ds_store_b32 v3, v36
	ds_store_b32 v4, v37
	;; [unrolled: 1-line block ×6, first 2 shown]
.LBB115_65:
	s_or_b32 exec_lo, exec_lo, s0
	s_delay_alu instid0(SALU_CYCLE_1)
	s_mov_b32 s0, exec_lo
	s_wait_dscnt 0x0
	s_barrier_signal -1
	s_barrier_wait -1
	v_cmpx_gt_u32_e32 64, v0
	s_cbranch_execz .LBB115_67
; %bb.66:
	ds_load_2addr_b32 v[4:5], v1 offset1:32
	ds_load_2addr_b32 v[6:7], v1 offset0:64 offset1:96
	ds_load_2addr_b32 v[8:9], v1 offset0:128 offset1:160
	s_wait_dscnt 0x2
	v_pk_add_f32 v[36:37], v[36:37], v[4:5]
	s_wait_dscnt 0x1
	v_pk_add_f32 v[38:39], v[38:39], v[6:7]
	;; [unrolled: 2-line block ×3, first 2 shown]
.LBB115_67:
	s_or_b32 exec_lo, exec_lo, s0
	v_and_b32_e32 v3, 0x3e0, v0
	s_mov_b32 s0, exec_lo
	s_barrier_signal -1
	s_barrier_wait -1
	s_delay_alu instid0(VALU_DEP_1)
	v_cmpx_eq_u32_e32 32, v3
	s_cbranch_execz .LBB115_69
; %bb.68:
	ds_store_2addr_b32 v2, v36, v37 offset1:32
	ds_store_2addr_b32 v2, v38, v39 offset0:64 offset1:96
	ds_store_2addr_b32 v2, v40, v41 offset0:128 offset1:160
.LBB115_69:
	s_or_b32 exec_lo, exec_lo, s0
	v_cmp_gt_u32_e32 vcc_lo, 32, v0
	s_wait_dscnt 0x0
	s_barrier_signal -1
	s_barrier_wait -1
	s_and_saveexec_b32 s0, vcc_lo
	s_cbranch_execz .LBB115_71
; %bb.70:
	ds_load_2addr_b32 v[2:3], v1 offset1:32
	ds_load_2addr_b32 v[4:5], v1 offset0:64 offset1:96
	ds_load_2addr_b32 v[6:7], v1 offset0:128 offset1:160
	s_wait_dscnt 0x2
	v_pk_add_f32 v[36:37], v[36:37], v[2:3]
	s_wait_dscnt 0x1
	v_pk_add_f32 v[38:39], v[38:39], v[4:5]
	;; [unrolled: 2-line block ×3, first 2 shown]
.LBB115_71:
	s_or_b32 exec_lo, exec_lo, s0
	s_barrier_signal -1
	s_barrier_wait -1
	s_and_saveexec_b32 s0, vcc_lo
	s_cbranch_execz .LBB115_73
; %bb.72:
	s_mul_i32 s1, s30, s7
	s_mul_i32 s0, s7, s6
	;; [unrolled: 1-line block ×3, first 2 shown]
	s_bfe_u32 s7, ttmp6, 0x40014
	s_mul_i32 s2, s1, 0xc0
	s_lshr_b32 s6, ttmp7, 16
	s_ashr_i32 s3, s2, 31
	s_add_co_i32 s7, s7, 1
	s_lshl_b64 s[2:3], s[2:3], 1
	s_ashr_i32 s1, s0, 31
	s_wait_kmcnt 0x0
	s_add_nc_u64 s[2:3], s[4:5], s[2:3]
	s_mul_i32 s4, s6, s7
	s_bfe_u32 s5, ttmp6, 0x40008
	s_lshl_b64 s[0:1], s[0:1], 1
	s_add_co_i32 s5, s5, s4
	s_cmp_eq_u32 s28, 0
	s_add_nc_u64 s[0:1], s[2:3], s[0:1]
	s_cselect_b32 s2, s6, s5
	s_mov_b32 s3, 0
	s_mulk_i32 s2, 0x180
	s_delay_alu instid0(SALU_CYCLE_1) | instskip(NEXT) | instid1(SALU_CYCLE_1)
	s_add_nc_u64 s[0:1], s[0:1], s[2:3]
	v_cvt_pk_bf16_f32 v1, v36, s0
	v_cvt_pk_bf16_f32 v2, v37, s0
	;; [unrolled: 1-line block ×6, first 2 shown]
	s_clause 0x5
	global_store_b16 v0, v1, s[0:1] scale_offset
	global_store_b16 v0, v2, s[0:1] offset:64 scale_offset
	global_store_b16 v0, v3, s[0:1] offset:128 scale_offset
	;; [unrolled: 1-line block ×5, first 2 shown]
.LBB115_73:
	s_endpgm
	.section	.rodata,"a",@progbits
	.p2align	6, 0x0
	.amdhsa_kernel _ZN4vllm25paged_attention_v1_kernelI14__hip_bfloat16S1_Li192ELi8ELi128ELNS_18Fp8KVCacheDataTypeE0ELb1EEEvPT_PKS3_PKT0_S9_ifPKiSB_iPKfiiiSD_SD_iiiii
		.amdhsa_group_segment_fixed_size 416
		.amdhsa_private_segment_fixed_size 0
		.amdhsa_kernarg_size 384
		.amdhsa_user_sgpr_count 2
		.amdhsa_user_sgpr_dispatch_ptr 0
		.amdhsa_user_sgpr_queue_ptr 0
		.amdhsa_user_sgpr_kernarg_segment_ptr 1
		.amdhsa_user_sgpr_dispatch_id 0
		.amdhsa_user_sgpr_kernarg_preload_length 0
		.amdhsa_user_sgpr_kernarg_preload_offset 0
		.amdhsa_user_sgpr_private_segment_size 0
		.amdhsa_wavefront_size32 1
		.amdhsa_uses_dynamic_stack 0
		.amdhsa_enable_private_segment 0
		.amdhsa_system_sgpr_workgroup_id_x 1
		.amdhsa_system_sgpr_workgroup_id_y 1
		.amdhsa_system_sgpr_workgroup_id_z 1
		.amdhsa_system_sgpr_workgroup_info 0
		.amdhsa_system_vgpr_workitem_id 0
		.amdhsa_next_free_vgpr 59
		.amdhsa_next_free_sgpr 40
		.amdhsa_named_barrier_count 0
		.amdhsa_reserve_vcc 1
		.amdhsa_float_round_mode_32 0
		.amdhsa_float_round_mode_16_64 0
		.amdhsa_float_denorm_mode_32 3
		.amdhsa_float_denorm_mode_16_64 3
		.amdhsa_fp16_overflow 0
		.amdhsa_memory_ordered 1
		.amdhsa_forward_progress 1
		.amdhsa_inst_pref_size 60
		.amdhsa_round_robin_scheduling 0
		.amdhsa_exception_fp_ieee_invalid_op 0
		.amdhsa_exception_fp_denorm_src 0
		.amdhsa_exception_fp_ieee_div_zero 0
		.amdhsa_exception_fp_ieee_overflow 0
		.amdhsa_exception_fp_ieee_underflow 0
		.amdhsa_exception_fp_ieee_inexact 0
		.amdhsa_exception_int_div_zero 0
	.end_amdhsa_kernel
	.section	.text._ZN4vllm25paged_attention_v1_kernelI14__hip_bfloat16S1_Li192ELi8ELi128ELNS_18Fp8KVCacheDataTypeE0ELb1EEEvPT_PKS3_PKT0_S9_ifPKiSB_iPKfiiiSD_SD_iiiii,"axG",@progbits,_ZN4vllm25paged_attention_v1_kernelI14__hip_bfloat16S1_Li192ELi8ELi128ELNS_18Fp8KVCacheDataTypeE0ELb1EEEvPT_PKS3_PKT0_S9_ifPKiSB_iPKfiiiSD_SD_iiiii,comdat
.Lfunc_end115:
	.size	_ZN4vllm25paged_attention_v1_kernelI14__hip_bfloat16S1_Li192ELi8ELi128ELNS_18Fp8KVCacheDataTypeE0ELb1EEEvPT_PKS3_PKT0_S9_ifPKiSB_iPKfiiiSD_SD_iiiii, .Lfunc_end115-_ZN4vllm25paged_attention_v1_kernelI14__hip_bfloat16S1_Li192ELi8ELi128ELNS_18Fp8KVCacheDataTypeE0ELb1EEEvPT_PKS3_PKT0_S9_ifPKiSB_iPKfiiiSD_SD_iiiii
                                        ; -- End function
	.set _ZN4vllm25paged_attention_v1_kernelI14__hip_bfloat16S1_Li192ELi8ELi128ELNS_18Fp8KVCacheDataTypeE0ELb1EEEvPT_PKS3_PKT0_S9_ifPKiSB_iPKfiiiSD_SD_iiiii.num_vgpr, 59
	.set _ZN4vllm25paged_attention_v1_kernelI14__hip_bfloat16S1_Li192ELi8ELi128ELNS_18Fp8KVCacheDataTypeE0ELb1EEEvPT_PKS3_PKT0_S9_ifPKiSB_iPKfiiiSD_SD_iiiii.num_agpr, 0
	.set _ZN4vllm25paged_attention_v1_kernelI14__hip_bfloat16S1_Li192ELi8ELi128ELNS_18Fp8KVCacheDataTypeE0ELb1EEEvPT_PKS3_PKT0_S9_ifPKiSB_iPKfiiiSD_SD_iiiii.numbered_sgpr, 40
	.set _ZN4vllm25paged_attention_v1_kernelI14__hip_bfloat16S1_Li192ELi8ELi128ELNS_18Fp8KVCacheDataTypeE0ELb1EEEvPT_PKS3_PKT0_S9_ifPKiSB_iPKfiiiSD_SD_iiiii.num_named_barrier, 0
	.set _ZN4vllm25paged_attention_v1_kernelI14__hip_bfloat16S1_Li192ELi8ELi128ELNS_18Fp8KVCacheDataTypeE0ELb1EEEvPT_PKS3_PKT0_S9_ifPKiSB_iPKfiiiSD_SD_iiiii.private_seg_size, 0
	.set _ZN4vllm25paged_attention_v1_kernelI14__hip_bfloat16S1_Li192ELi8ELi128ELNS_18Fp8KVCacheDataTypeE0ELb1EEEvPT_PKS3_PKT0_S9_ifPKiSB_iPKfiiiSD_SD_iiiii.uses_vcc, 1
	.set _ZN4vllm25paged_attention_v1_kernelI14__hip_bfloat16S1_Li192ELi8ELi128ELNS_18Fp8KVCacheDataTypeE0ELb1EEEvPT_PKS3_PKT0_S9_ifPKiSB_iPKfiiiSD_SD_iiiii.uses_flat_scratch, 0
	.set _ZN4vllm25paged_attention_v1_kernelI14__hip_bfloat16S1_Li192ELi8ELi128ELNS_18Fp8KVCacheDataTypeE0ELb1EEEvPT_PKS3_PKT0_S9_ifPKiSB_iPKfiiiSD_SD_iiiii.has_dyn_sized_stack, 0
	.set _ZN4vllm25paged_attention_v1_kernelI14__hip_bfloat16S1_Li192ELi8ELi128ELNS_18Fp8KVCacheDataTypeE0ELb1EEEvPT_PKS3_PKT0_S9_ifPKiSB_iPKfiiiSD_SD_iiiii.has_recursion, 0
	.set _ZN4vllm25paged_attention_v1_kernelI14__hip_bfloat16S1_Li192ELi8ELi128ELNS_18Fp8KVCacheDataTypeE0ELb1EEEvPT_PKS3_PKT0_S9_ifPKiSB_iPKfiiiSD_SD_iiiii.has_indirect_call, 0
	.section	.AMDGPU.csdata,"",@progbits
; Kernel info:
; codeLenInByte = 7680
; TotalNumSgprs: 42
; NumVgprs: 59
; ScratchSize: 0
; MemoryBound: 0
; FloatMode: 240
; IeeeMode: 1
; LDSByteSize: 416 bytes/workgroup (compile time only)
; SGPRBlocks: 0
; VGPRBlocks: 3
; NumSGPRsForWavesPerEU: 42
; NumVGPRsForWavesPerEU: 59
; NamedBarCnt: 0
; Occupancy: 16
; WaveLimiterHint : 1
; COMPUTE_PGM_RSRC2:SCRATCH_EN: 0
; COMPUTE_PGM_RSRC2:USER_SGPR: 2
; COMPUTE_PGM_RSRC2:TRAP_HANDLER: 0
; COMPUTE_PGM_RSRC2:TGID_X_EN: 1
; COMPUTE_PGM_RSRC2:TGID_Y_EN: 1
; COMPUTE_PGM_RSRC2:TGID_Z_EN: 1
; COMPUTE_PGM_RSRC2:TIDIG_COMP_CNT: 0
	.section	.text._ZN4vllm25paged_attention_v1_kernelI14__hip_bfloat16S1_Li256ELi8ELi128ELNS_18Fp8KVCacheDataTypeE0ELb1EEEvPT_PKS3_PKT0_S9_ifPKiSB_iPKfiiiSD_SD_iiiii,"axG",@progbits,_ZN4vllm25paged_attention_v1_kernelI14__hip_bfloat16S1_Li256ELi8ELi128ELNS_18Fp8KVCacheDataTypeE0ELb1EEEvPT_PKS3_PKT0_S9_ifPKiSB_iPKfiiiSD_SD_iiiii,comdat
	.protected	_ZN4vllm25paged_attention_v1_kernelI14__hip_bfloat16S1_Li256ELi8ELi128ELNS_18Fp8KVCacheDataTypeE0ELb1EEEvPT_PKS3_PKT0_S9_ifPKiSB_iPKfiiiSD_SD_iiiii ; -- Begin function _ZN4vllm25paged_attention_v1_kernelI14__hip_bfloat16S1_Li256ELi8ELi128ELNS_18Fp8KVCacheDataTypeE0ELb1EEEvPT_PKS3_PKT0_S9_ifPKiSB_iPKfiiiSD_SD_iiiii
	.globl	_ZN4vllm25paged_attention_v1_kernelI14__hip_bfloat16S1_Li256ELi8ELi128ELNS_18Fp8KVCacheDataTypeE0ELb1EEEvPT_PKS3_PKT0_S9_ifPKiSB_iPKfiiiSD_SD_iiiii
	.p2align	8
	.type	_ZN4vllm25paged_attention_v1_kernelI14__hip_bfloat16S1_Li256ELi8ELi128ELNS_18Fp8KVCacheDataTypeE0ELb1EEEvPT_PKS3_PKT0_S9_ifPKiSB_iPKfiiiSD_SD_iiiii,@function
_ZN4vllm25paged_attention_v1_kernelI14__hip_bfloat16S1_Li256ELi8ELi128ELNS_18Fp8KVCacheDataTypeE0ELb1EEEvPT_PKS3_PKT0_S9_ifPKiSB_iPKfiiiSD_SD_iiiii: ; @_ZN4vllm25paged_attention_v1_kernelI14__hip_bfloat16S1_Li256ELi8ELi128ELNS_18Fp8KVCacheDataTypeE0ELb1EEEvPT_PKS3_PKT0_S9_ifPKiSB_iPKfiiiSD_SD_iiiii
; %bb.0:
	s_load_b64 s[22:23], s[0:1], 0x20
	s_bfe_u32 s3, ttmp6, 0x4000c
	s_bfe_u32 s4, ttmp6, 0x40010
	s_and_b32 s6, ttmp7, 0xffff
	s_add_co_i32 s3, s3, 1
	s_add_co_i32 s4, s4, 1
	s_and_b32 s2, ttmp6, 15
	s_bfe_u32 s5, ttmp6, 0x40004
	s_mul_i32 s3, ttmp9, s3
	s_mul_i32 s4, s6, s4
	s_getreg_b32 s28, hwreg(HW_REG_IB_STS2, 6, 4)
	s_add_co_i32 s2, s2, s3
	s_add_co_i32 s3, s5, s4
	s_cmp_eq_u32 s28, 0
	s_clause 0x1
	s_load_b32 s29, s[0:1], 0x80
	s_load_b64 s[4:5], s[0:1], 0x30
	s_cselect_b32 s30, s6, s3
	s_cselect_b32 s2, ttmp9, s2
	s_mov_b32 s17, 0
	s_delay_alu instid0(SALU_CYCLE_1) | instskip(SKIP_2) | instid1(SALU_CYCLE_1)
	s_mov_b32 s35, s17
	s_wait_kmcnt 0x0
	s_abs_i32 s3, s22
	s_cvt_f32_u32 s6, s3
	s_sub_co_i32 s7, 0, s3
	s_delay_alu instid0(SALU_CYCLE_2) | instskip(SKIP_2) | instid1(TRANS32_DEP_1)
	v_rcp_iflag_f32_e32 v1, s6
	s_abs_i32 s8, s29
	v_nop
	v_readfirstlane_b32 s6, v1
	s_mul_f32 s6, s6, 0x4f7ffffe
	s_delay_alu instid0(SALU_CYCLE_3) | instskip(NEXT) | instid1(SALU_CYCLE_3)
	s_cvt_u32_f32 s6, s6
	s_mul_i32 s7, s7, s6
	s_delay_alu instid0(SALU_CYCLE_1) | instskip(NEXT) | instid1(SALU_CYCLE_1)
	s_mul_hi_u32 s7, s6, s7
	s_add_co_i32 s6, s6, s7
	s_xor_b32 s7, s29, s22
	s_mul_hi_u32 s6, s8, s6
	s_ashr_i32 s7, s7, 31
	s_mul_i32 s9, s6, s3
	s_delay_alu instid0(SALU_CYCLE_1)
	s_sub_co_i32 s8, s8, s9
	s_add_co_i32 s9, s6, 1
	s_sub_co_i32 s10, s8, s3
	s_cmp_ge_u32 s8, s3
	s_cselect_b32 s6, s9, s6
	s_cselect_b32 s8, s10, s8
	s_add_co_i32 s9, s6, 1
	s_cmp_ge_u32 s8, s3
	s_cselect_b32 s3, s9, s6
	s_load_b64 s[8:9], s[0:1], 0x40
	s_xor_b32 s3, s3, s7
	s_abs_i32 s16, s2
	s_sub_co_i32 s10, s3, s7
	s_mov_b32 s7, s17
	s_abs_i32 s15, s10
	s_delay_alu instid0(SALU_CYCLE_1) | instskip(SKIP_1) | instid1(SALU_CYCLE_2)
	s_cvt_f32_u32 s3, s15
	s_sub_co_i32 s6, 0, s15
	v_rcp_iflag_f32_e32 v1, s3
	v_nop
	s_delay_alu instid0(TRANS32_DEP_1) | instskip(SKIP_1) | instid1(SALU_CYCLE_3)
	v_readfirstlane_b32 s3, v1
	s_mul_f32 s3, s3, 0x4f7ffffe
	s_cvt_u32_f32 s3, s3
	s_delay_alu instid0(SALU_CYCLE_3) | instskip(NEXT) | instid1(SALU_CYCLE_1)
	s_mul_i32 s6, s6, s3
	s_mul_hi_u32 s6, s3, s6
	s_delay_alu instid0(SALU_CYCLE_1)
	s_add_co_i32 s6, s3, s6
	s_wait_kmcnt 0x0
	s_cmp_eq_u64 s[8:9], 0
	s_cbranch_scc1 .LBB116_2
; %bb.1:
	s_ashr_i32 s3, s2, 31
	s_delay_alu instid0(SALU_CYCLE_1) | instskip(NEXT) | instid1(SALU_CYCLE_1)
	s_lshl_b64 s[12:13], s[2:3], 2
	s_add_nc_u64 s[8:9], s[8:9], s[12:13]
	s_load_b32 s35, s[8:9], 0x0
.LBB116_2:
	s_load_b32 s31, s[4:5], s30 offset:0x0 scale_offset
	s_load_b96 s[12:14], s[0:1], 0x48
	v_and_b32_e32 v4, 3, v0
	s_wait_xcnt 0x0
	s_mul_u64 s[4:5], s[16:17], s[6:7]
	s_ashr_i32 s3, s2, 31
	s_ashr_i32 s18, s10, 31
	s_lshl_b32 s6, s2, 8
	s_mov_b32 s4, exec_lo
	v_cmpx_gt_u32_e32 0x80, v0
	s_cbranch_execz .LBB116_4
; %bb.3:
	s_load_b64 s[8:9], s[0:1], 0x8
	s_wait_kmcnt 0x0
	s_mul_i32 s10, s12, s30
	s_ashr_i32 s7, s6, 31
	s_ashr_i32 s11, s10, 31
	v_and_b32_e32 v2, 0x3fc, v0
	s_lshl_b64 s[10:11], s[10:11], 1
	s_delay_alu instid0(VALU_DEP_1) | instskip(SKIP_2) | instid1(SALU_CYCLE_1)
	v_lshl_add_u32 v2, v4, 7, v2
	s_add_nc_u64 s[8:9], s[8:9], s[10:11]
	s_lshl_b64 s[10:11], s[6:7], 1
	s_add_nc_u64 s[8:9], s[8:9], s[10:11]
	global_load_b32 v1, v0, s[8:9] scale_offset
	s_wait_loadcnt 0x0
	ds_store_b32 v2, v1
.LBB116_4:
	s_or_b32 exec_lo, exec_lo, s4
	s_load_b128 s[8:11], s[0:1], 0x68
	s_mul_i32 s4, s5, s15
	s_xor_b32 s3, s3, s18
	s_sub_co_i32 s4, s16, s4
	s_add_co_i32 s7, s5, 1
	s_wait_kmcnt 0x0
	s_sub_co_i32 s12, s4, s15
	s_cmp_ge_u32 s4, s15
	s_mov_b32 s18, -1
	s_cselect_b32 s5, s7, s5
	s_cselect_b32 s4, s12, s4
	s_add_co_i32 s12, s5, 1
	s_cmp_ge_u32 s4, s15
	s_load_b32 s7, s[0:1], 0x78
	s_cselect_b32 s4, s12, s5
	s_add_co_i32 s15, s31, -1
	s_xor_b32 s4, s4, s3
	s_wait_dscnt 0x0
	s_sub_co_i32 s3, s4, s3
	s_barrier_signal -1
	s_barrier_wait -1
	s_abs_i32 s12, s11
	s_delay_alu instid0(SALU_CYCLE_1) | instskip(NEXT) | instid1(SALU_CYCLE_3)
	s_cvt_f32_u32 s5, s12
                                        ; implicit-def: $sgpr33
	v_rcp_iflag_f32_e32 v1, s5
	v_nop
	s_delay_alu instid0(TRANS32_DEP_1) | instskip(SKIP_1) | instid1(SALU_CYCLE_3)
	v_readfirstlane_b32 s5, v1
	s_mul_f32 s4, s5, 0x4f7ffffe
	s_cvt_u32_f32 s16, s4
	s_sub_co_i32 s4, 0, s12
	s_delay_alu instid0(SALU_CYCLE_2)
	s_mul_i32 s5, s4, s16
	s_abs_i32 s4, s15
	s_mul_hi_u32 s17, s16, s5
	s_mov_b32 s5, 0
	s_add_co_i32 s16, s16, s17
	s_wait_kmcnt 0x0
	s_cmp_lt_i32 s7, 0
	s_mov_b32 s17, s5
	s_cbranch_scc0 .LBB116_6
; %bb.5:
	s_mul_i32 s18, s8, s22
	s_delay_alu instid0(SALU_CYCLE_1) | instskip(NEXT) | instid1(SALU_CYCLE_1)
	s_add_co_i32 s18, s3, s18
	s_mul_i32 s18, s18, s7
	s_delay_alu instid0(SALU_CYCLE_1)
	s_sub_co_i32 s33, 1, s18
	s_mov_b32 s18, s5
.LBB116_6:
	s_ashr_i32 s15, s15, 31
	s_ashr_i32 s11, s11, 31
	s_and_not1_b32 vcc_lo, exec_lo, s18
	s_mul_u64 s[24:25], s[4:5], s[16:17]
	s_cbranch_vccnz .LBB116_8
; %bb.7:
	s_mul_i32 s5, s29, s8
	s_delay_alu instid0(SALU_CYCLE_1) | instskip(NEXT) | instid1(SALU_CYCLE_1)
	s_add_co_i32 s2, s5, s2
	s_mul_i32 s2, s2, s7
	s_delay_alu instid0(SALU_CYCLE_1)
	s_add_co_i32 s33, s2, 1
.LBB116_8:
	s_load_b32 s2, s[0:1], 0x38
	s_mul_i32 s7, s25, s12
	s_xor_b32 s5, s15, s11
	s_sub_co_i32 s4, s4, s7
	s_add_co_i32 s8, s25, 1
	s_clause 0x1
	s_load_b64 s[18:19], s[0:1], 0x28
	s_load_b32 s7, s[0:1], 0x88
	v_dual_mov_b32 v12, 0xff7fffff :: v_dual_lshrrev_b32 v1, 5, v0
	v_lshrrev_b32_e32 v8, 3, v0
	v_mbcnt_lo_u32_b32 v9, -1, 0
	s_mul_i32 s14, s3, s14
	s_delay_alu instid0(VALU_DEP_3)
	v_lshlrev_b32_e32 v42, 3, v1
	s_wait_kmcnt 0x0
	s_mul_i32 s20, s2, s30
	s_sub_co_i32 s2, s4, s12
	s_ashr_i32 s21, s20, 31
	s_cmp_ge_u32 s4, s12
	s_cselect_b32 s8, s8, s25
	s_cselect_b32 s2, s2, s4
	s_add_co_i32 s4, s8, 1
	s_cmp_ge_u32 s2, s12
	s_cselect_b32 s2, s4, s8
	s_add_co_i32 s4, s31, 7
	s_delay_alu instid0(SALU_CYCLE_1) | instskip(NEXT) | instid1(SALU_CYCLE_1)
	s_ashr_i32 s8, s4, 31
	s_lshr_b32 s8, s8, 29
	s_delay_alu instid0(SALU_CYCLE_1) | instskip(NEXT) | instid1(SALU_CYCLE_1)
	s_add_co_i32 s4, s4, s8
	s_ashr_i32 s34, s4, 3
	s_xor_b32 s4, s2, s5
	v_cmp_gt_i32_e64 s2, s34, v1
	s_sub_co_i32 s8, s4, s5
	s_and_saveexec_b32 s22, s2
	s_cbranch_execz .LBB116_20
; %bb.9:
	s_load_b64 s[4:5], s[0:1], 0x10
	s_ashr_i32 s15, s14, 31
	s_sub_co_i32 s36, s8, s9
	s_ashr_i32 s25, s13, 31
	s_lshl_b64 s[38:39], s[14:15], 1
	s_cmp_neq_f32 s35, 0
	v_bfe_u32 v10, v0, 2, 3
	v_mov_b32_e32 v3, 0
	v_mov_b32_e32 v15, 0xff7fffff
	s_cselect_b32 vcc_lo, -1, 0
	s_abs_i32 s15, s10
	v_lshlrev_b32_e32 v2, 4, v10
	s_cvt_f32_u32 s3, s15
	v_subrev_nc_u32_e32 v7, s31, v10
	v_lshlrev_b32_e32 v6, 2, v0
	s_sub_co_i32 s26, 0, s15
	v_rcp_iflag_f32_e32 v5, s3
	v_cmp_eq_u32_e64 s3, 0, v4
	v_dual_add_nc_u32 v13, 1, v7 :: v_dual_lshlrev_b32 v11, 7, v4
	s_wait_kmcnt 0x0
	s_add_nc_u64 s[4:5], s[4:5], s[38:39]
	v_dual_mov_b32 v18, v1 :: v_dual_bitop2_b32 v16, 2, v9 bitop3:0x14
	s_delay_alu instid0(TRANS32_DEP_1)
	v_readfirstlane_b32 s24, v5
	v_add_nc_u64_e32 v[4:5], s[4:5], v[2:3]
	v_and_b32_e32 v2, 12, v6
	v_lshlrev_b32_e32 v6, 2, v10
	s_lshl_b64 s[4:5], s[20:21], 2
	s_mul_f32 s24, s24, 0x4f7ffffe
	s_add_nc_u64 s[4:5], s[18:19], s[4:5]
	v_xor_b32_e32 v17, 1, v9
	v_add_nc_u64_e32 v[4:5], v[4:5], v[2:3]
	v_and_b32_e32 v2, 0x7c, v8
	s_cvt_u32_f32 s37, s24
	v_lshl_or_b32 v12, v1, 5, v6
	s_mov_b32 s27, 0
	s_mov_b32 s24, s13
	v_add_nc_u64_e32 v[6:7], s[4:5], v[2:3]
	s_mul_i32 s26, s26, s37
	v_lshlrev_b32_e32 v2, 3, v1
	v_add_nc_u32_e32 v14, 0x220, v12
	v_mov_b32_e32 v12, 0xff7fffff
	s_mul_hi_u32 s4, s37, s26
	s_delay_alu instid0(SALU_CYCLE_1)
	s_add_co_i32 s26, s37, s4
	s_mov_b32 s37, s27
	s_branch .LBB116_12
.LBB116_10:                             ;   in Loop: Header=BB116_12 Depth=1
	s_or_b32 exec_lo, exec_lo, s38
.LBB116_11:                             ;   in Loop: Header=BB116_12 Depth=1
	s_delay_alu instid0(SALU_CYCLE_1) | instskip(SKIP_4) | instid1(VALU_DEP_4)
	s_or_b32 exec_lo, exec_lo, s5
	v_add_nc_u32_e32 v18, 4, v18
	v_add_nc_u64_e32 v[6:7], 16, v[6:7]
	v_add_nc_u32_e32 v2, 32, v2
	v_add_nc_u32_e32 v14, 0x80, v14
	v_cmp_le_i32_e64 s4, s34, v18
	s_or_b32 s37, s4, s37
	s_delay_alu instid0(SALU_CYCLE_1)
	s_and_not1_b32 exec_lo, exec_lo, s37
	s_cbranch_execz .LBB116_19
.LBB116_12:                             ; =>This Inner Loop Header: Depth=1
	s_wait_dscnt 0x0
	v_mul_u64_e32 v[20:21], s[16:17], v[2:3]
	s_delay_alu instid0(VALU_DEP_1) | instskip(NEXT) | instid1(VALU_DEP_1)
	v_mul_lo_u32 v19, v21, s12
	v_dual_add_nc_u32 v20, 1, v21 :: v_dual_sub_nc_u32 v19, v2, v19
	s_delay_alu instid0(VALU_DEP_1) | instskip(SKIP_1) | instid1(VALU_DEP_1)
	v_subrev_nc_u32_e32 v22, s12, v19
	v_cmp_le_u32_e64 s4, s12, v19
	v_dual_cndmask_b32 v20, v21, v20, s4 :: v_dual_cndmask_b32 v19, v19, v22, s4
	s_delay_alu instid0(VALU_DEP_1) | instskip(NEXT) | instid1(VALU_DEP_2)
	v_add_nc_u32_e32 v21, 1, v20
	v_cmp_le_u32_e64 s4, s12, v19
	s_delay_alu instid0(VALU_DEP_1) | instskip(NEXT) | instid1(VALU_DEP_1)
	v_dual_cndmask_b32 v19, v20, v21, s4 :: v_dual_mov_b32 v21, v3
	v_xor_b32_e32 v19, s11, v19
	s_delay_alu instid0(VALU_DEP_1) | instskip(NEXT) | instid1(VALU_DEP_1)
	v_subrev_nc_u32_e32 v19, s11, v19
	v_add_nc_u32_e32 v24, s33, v19
	v_cmp_ge_i32_e64 s5, s36, v19
	s_delay_alu instid0(VALU_DEP_2) | instskip(NEXT) | instid1(VALU_DEP_1)
	v_sub_nc_u32_e32 v20, 0, v24
	v_max_i32_e32 v20, v24, v20
	s_delay_alu instid0(VALU_DEP_1) | instskip(SKIP_1) | instid1(VALU_DEP_2)
	v_mul_u64_e32 v[22:23], s[26:27], v[20:21]
	v_ashrrev_i32_e32 v22, 31, v24
	v_mul_lo_u32 v21, v23, s15
	s_delay_alu instid0(VALU_DEP_1) | instskip(NEXT) | instid1(VALU_DEP_1)
	v_sub_nc_u32_e32 v20, v20, v21
	v_subrev_nc_u32_e32 v21, s15, v20
	v_cmp_le_u32_e64 s4, s15, v20
	s_delay_alu instid0(VALU_DEP_1) | instskip(NEXT) | instid1(VALU_DEP_1)
	v_cndmask_b32_e64 v20, v20, v21, s4
	v_subrev_nc_u32_e32 v21, s15, v20
	v_cmp_le_u32_e64 s4, s15, v20
	s_delay_alu instid0(VALU_DEP_1) | instskip(NEXT) | instid1(VALU_DEP_1)
	v_cndmask_b32_e64 v20, v20, v21, s4
	v_xor_b32_e32 v20, v20, v22
	s_delay_alu instid0(VALU_DEP_1) | instskip(NEXT) | instid1(VALU_DEP_1)
	v_sub_nc_u32_e32 v20, v20, v22
	v_cmp_ne_u32_e64 s4, 0, v20
	s_and_b32 s4, s4, s5
	s_delay_alu instid0(SALU_CYCLE_1) | instskip(NEXT) | instid1(SALU_CYCLE_1)
	s_and_saveexec_b32 s5, s4
	s_xor_b32 s4, exec_lo, s5
	s_cbranch_execz .LBB116_16
; %bb.13:                               ;   in Loop: Header=BB116_12 Depth=1
	s_and_saveexec_b32 s5, s3
; %bb.14:                               ;   in Loop: Header=BB116_12 Depth=1
	ds_store_b32 v14, v15
; %bb.15:                               ;   in Loop: Header=BB116_12 Depth=1
	s_or_b32 exec_lo, exec_lo, s5
.LBB116_16:                             ;   in Loop: Header=BB116_12 Depth=1
	s_and_not1_saveexec_b32 s5, s4
	s_cbranch_execz .LBB116_11
; %bb.17:                               ;   in Loop: Header=BB116_12 Depth=1
	global_load_b32 v20, v[6:7], off
	v_cmp_gt_i32_e64 s4, 32, v16
	s_wait_loadcnt 0x0
	v_ashrrev_i32_e32 v21, 31, v20
	s_delay_alu instid0(VALU_DEP_1) | instskip(NEXT) | instid1(VALU_DEP_1)
	v_mul_u64_e32 v[20:21], s[24:25], v[20:21]
	v_lshl_add_u64 v[20:21], v[20:21], 1, v[4:5]
	s_clause 0x1f
	global_load_b32 v19, v[20:21], off offset:128
	global_load_b32 v28, v[20:21], off
	global_load_b32 v29, v[20:21], off offset:256
	global_load_b32 v30, v[20:21], off offset:384
	;; [unrolled: 1-line block ×30, first 2 shown]
	s_wait_xcnt 0x0
	ds_load_b128 v[20:23], v11
	ds_load_b128 v[24:27], v11 offset:16
	s_wait_loadcnt 0x1f
	v_lshlrev_b32_e32 v61, 16, v19
	v_and_b32_e32 v19, 0xffff0000, v19
	s_wait_dscnt 0x1
	v_lshlrev_b32_e32 v60, 16, v21
	v_and_b32_e32 v21, 0xffff0000, v21
	s_delay_alu instid0(VALU_DEP_1) | instskip(SKIP_1) | instid1(VALU_DEP_1)
	v_dual_mul_f32 v19, v21, v19 :: v_dual_mul_f32 v60, v60, v61
	s_wait_loadcnt 0x1e
	v_fma_mix_f32_bf16 v19, v20, v28, v19 op_sel:[1,1,0] op_sel_hi:[1,1,0]
	s_delay_alu instid0(VALU_DEP_2) | instskip(SKIP_1) | instid1(VALU_DEP_2)
	v_fma_mix_f32_bf16 v21, v20, v28, v60 op_sel_hi:[1,1,0]
	s_wait_loadcnt 0x1d
	v_fma_mix_f32_bf16 v19, v22, v29, v19 op_sel:[1,1,0] op_sel_hi:[1,1,0]
	s_delay_alu instid0(VALU_DEP_2) | instskip(SKIP_1) | instid1(VALU_DEP_2)
	v_fma_mix_f32_bf16 v20, v22, v29, v21 op_sel_hi:[1,1,0]
	s_wait_loadcnt 0x1c
	v_fma_mix_f32_bf16 v19, v23, v30, v19 op_sel:[1,1,0] op_sel_hi:[1,1,0]
	s_delay_alu instid0(VALU_DEP_2)
	v_fma_mix_f32_bf16 v28, v23, v30, v20 op_sel_hi:[1,1,0]
	ds_load_b128 v[20:23], v11 offset:32
	s_wait_loadcnt_dscnt 0x1b01
	v_fma_mix_f32_bf16 v19, v24, v31, v19 op_sel:[1,1,0] op_sel_hi:[1,1,0]
	v_fma_mix_f32_bf16 v28, v24, v31, v28 op_sel_hi:[1,1,0]
	s_wait_loadcnt 0x1a
	s_delay_alu instid0(VALU_DEP_2) | instskip(NEXT) | instid1(VALU_DEP_2)
	v_fma_mix_f32_bf16 v19, v25, v32, v19 op_sel:[1,1,0] op_sel_hi:[1,1,0]
	v_fma_mix_f32_bf16 v24, v25, v32, v28 op_sel_hi:[1,1,0]
	s_wait_loadcnt 0x19
	s_delay_alu instid0(VALU_DEP_2) | instskip(NEXT) | instid1(VALU_DEP_2)
	v_fma_mix_f32_bf16 v19, v26, v33, v19 op_sel:[1,1,0] op_sel_hi:[1,1,0]
	v_fma_mix_f32_bf16 v24, v26, v33, v24 op_sel_hi:[1,1,0]
	s_wait_loadcnt 0x18
	s_delay_alu instid0(VALU_DEP_2) | instskip(NEXT) | instid1(VALU_DEP_2)
	v_fma_mix_f32_bf16 v19, v27, v34, v19 op_sel:[1,1,0] op_sel_hi:[1,1,0]
	v_fma_mix_f32_bf16 v28, v27, v34, v24 op_sel_hi:[1,1,0]
	ds_load_b128 v[24:27], v11 offset:48
	s_wait_loadcnt_dscnt 0x1701
	v_fma_mix_f32_bf16 v19, v20, v35, v19 op_sel:[1,1,0] op_sel_hi:[1,1,0]
	v_fma_mix_f32_bf16 v28, v20, v35, v28 op_sel_hi:[1,1,0]
	s_wait_loadcnt 0x16
	s_delay_alu instid0(VALU_DEP_2) | instskip(NEXT) | instid1(VALU_DEP_2)
	v_fma_mix_f32_bf16 v19, v21, v36, v19 op_sel:[1,1,0] op_sel_hi:[1,1,0]
	v_fma_mix_f32_bf16 v20, v21, v36, v28 op_sel_hi:[1,1,0]
	s_wait_loadcnt 0x15
	s_delay_alu instid0(VALU_DEP_2) | instskip(NEXT) | instid1(VALU_DEP_2)
	v_fma_mix_f32_bf16 v19, v22, v37, v19 op_sel:[1,1,0] op_sel_hi:[1,1,0]
	v_fma_mix_f32_bf16 v20, v22, v37, v20 op_sel_hi:[1,1,0]
	s_wait_loadcnt 0x14
	s_delay_alu instid0(VALU_DEP_2) | instskip(NEXT) | instid1(VALU_DEP_2)
	v_fma_mix_f32_bf16 v19, v23, v38, v19 op_sel:[1,1,0] op_sel_hi:[1,1,0]
	;; [unrolled: 16-line block ×5, first 2 shown]
	v_fma_mix_f32_bf16 v28, v27, v51, v24 op_sel_hi:[1,1,0]
	ds_load_b128 v[24:27], v11 offset:112
	s_wait_loadcnt_dscnt 0x701
	v_fma_mix_f32_bf16 v19, v20, v52, v19 op_sel:[1,1,0] op_sel_hi:[1,1,0]
	v_fma_mix_f32_bf16 v28, v20, v52, v28 op_sel_hi:[1,1,0]
	s_wait_loadcnt 0x6
	s_delay_alu instid0(VALU_DEP_2) | instskip(NEXT) | instid1(VALU_DEP_2)
	v_fma_mix_f32_bf16 v19, v53, v21, v19 op_sel:[1,1,0] op_sel_hi:[1,1,0]
	v_fma_mix_f32_bf16 v20, v53, v21, v28 op_sel_hi:[1,1,0]
	v_cndmask_b32_e64 v21, v9, v16, s4
	v_cmp_gt_i32_e64 s4, 32, v17
	s_wait_loadcnt 0x5
	v_fma_mix_f32_bf16 v19, v54, v22, v19 op_sel:[1,1,0] op_sel_hi:[1,1,0]
	v_fma_mix_f32_bf16 v20, v54, v22, v20 op_sel_hi:[1,1,0]
	s_wait_loadcnt 0x4
	s_delay_alu instid0(VALU_DEP_2) | instskip(NEXT) | instid1(VALU_DEP_2)
	v_fma_mix_f32_bf16 v19, v55, v23, v19 op_sel:[1,1,0] op_sel_hi:[1,1,0]
	v_fma_mix_f32_bf16 v20, v55, v23, v20 op_sel_hi:[1,1,0]
	s_wait_loadcnt_dscnt 0x300
	s_delay_alu instid0(VALU_DEP_2) | instskip(NEXT) | instid1(VALU_DEP_2)
	v_fma_mix_f32_bf16 v19, v56, v24, v19 op_sel:[1,1,0] op_sel_hi:[1,1,0]
	v_fma_mix_f32_bf16 v20, v56, v24, v20 op_sel_hi:[1,1,0]
	s_wait_loadcnt 0x2
	s_delay_alu instid0(VALU_DEP_2) | instskip(NEXT) | instid1(VALU_DEP_2)
	v_fma_mix_f32_bf16 v19, v57, v25, v19 op_sel:[1,1,0] op_sel_hi:[1,1,0]
	v_fma_mix_f32_bf16 v20, v57, v25, v20 op_sel_hi:[1,1,0]
	s_wait_loadcnt 0x1
	;; [unrolled: 4-line block ×3, first 2 shown]
	s_delay_alu instid0(VALU_DEP_2) | instskip(NEXT) | instid1(VALU_DEP_2)
	v_fma_mix_f32_bf16 v19, v59, v27, v19 op_sel:[1,1,0] op_sel_hi:[1,1,0]
	v_fma_mix_f32_bf16 v20, v59, v27, v20 op_sel_hi:[1,1,0]
	s_delay_alu instid0(VALU_DEP_1) | instskip(SKIP_3) | instid1(VALU_DEP_1)
	v_dual_lshlrev_b32 v21, 2, v21 :: v_dual_add_f32 v19, v20, v19
	ds_bpermute_b32 v20, v21, v19
	s_wait_dscnt 0x0
	v_dual_cndmask_b32 v21, v9, v17, s4 :: v_dual_add_f32 v19, v19, v20
	v_lshlrev_b32_e32 v21, 2, v21
	ds_bpermute_b32 v20, v21, v19
	s_and_saveexec_b32 s38, s3
	s_cbranch_execz .LBB116_10
; %bb.18:                               ;   in Loop: Header=BB116_12 Depth=1
	s_wait_dscnt 0x0
	v_dual_add_nc_u32 v21, v13, v2 :: v_dual_add_f32 v19, v19, v20
	s_delay_alu instid0(VALU_DEP_1) | instskip(NEXT) | instid1(VALU_DEP_1)
	v_cvt_f32_i32_e32 v21, v21
	v_mul_f32_e32 v21, s35, v21
	s_delay_alu instid0(VALU_DEP_1) | instskip(NEXT) | instid1(VALU_DEP_1)
	v_dual_cndmask_b32 v20, 0, v21 :: v_dual_max_num_f32 v21, v12, v12
	v_dual_fmac_f32 v20, s23, v19 :: v_dual_add_nc_u32 v19, v10, v2
	s_delay_alu instid0(VALU_DEP_1) | instskip(NEXT) | instid1(VALU_DEP_2)
	v_max_num_f32_e32 v21, v21, v20
	v_cmp_gt_i32_e64 s4, s31, v19
	s_delay_alu instid0(VALU_DEP_1)
	v_dual_cndmask_b32 v19, 0, v20, s4 :: v_dual_cndmask_b32 v12, v12, v21, s4
	ds_store_b32 v14, v19
	s_branch .LBB116_10
.LBB116_19:
	s_or_b32 exec_lo, exec_lo, s37
.LBB116_20:
	s_delay_alu instid0(SALU_CYCLE_1)
	s_or_b32 exec_lo, exec_lo, s22
	v_dual_max_num_f32 v5, v12, v12 :: v_dual_bitop2_b32 v2, 16, v9 bitop3:0x14
	s_clause 0x1
	s_load_b64 s[4:5], s[0:1], 0x0
	s_load_b64 s[22:23], s[0:1], 0x18
	v_and_b32_e32 v56, 31, v0
	v_xor_b32_e32 v4, 8, v9
	v_cmp_gt_i32_e32 vcc_lo, 32, v2
	v_cndmask_b32_e32 v2, v9, v2, vcc_lo
	s_delay_alu instid0(VALU_DEP_3) | instskip(NEXT) | instid1(VALU_DEP_2)
	v_cmp_gt_i32_e32 vcc_lo, 32, v4
	v_dual_lshlrev_b32 v2, 2, v2 :: v_dual_cndmask_b32 v4, v9, v4, vcc_lo
	ds_bpermute_b32 v3, v2, v12
	s_wait_dscnt 0x0
	v_dual_max_num_f32 v6, v3, v3 :: v_dual_lshlrev_b32 v3, 2, v4
	s_delay_alu instid0(VALU_DEP_1) | instskip(SKIP_4) | instid1(VALU_DEP_1)
	v_dual_max_num_f32 v4, v5, v6 :: v_dual_bitop2_b32 v6, 4, v9 bitop3:0x14
	ds_bpermute_b32 v5, v3, v4
	v_cmp_gt_i32_e32 vcc_lo, 32, v6
	v_cndmask_b32_e32 v6, v9, v6, vcc_lo
	s_wait_dscnt 0x0
	v_dual_max_num_f32 v5, v5, v5 :: v_dual_lshlrev_b32 v6, 2, v6
	s_delay_alu instid0(VALU_DEP_1)
	v_max_num_f32_e32 v5, v4, v5
	v_lshlrev_b32_e32 v4, 2, v1
	v_cmp_eq_u32_e32 vcc_lo, 0, v56
	ds_bpermute_b32 v7, v6, v5
	s_wait_xcnt 0x0
	s_and_saveexec_b32 s0, vcc_lo
	s_cbranch_execz .LBB116_22
; %bb.21:
	s_wait_dscnt 0x0
	v_dual_max_num_f32 v7, v7, v7 :: v_dual_max_num_f32 v5, v5, v5
	s_delay_alu instid0(VALU_DEP_1)
	v_max_num_f32_e32 v5, v5, v7
	ds_store_b32 v4, v5 offset:512
.LBB116_22:
	s_or_b32 exec_lo, exec_lo, s0
	v_cmp_gt_u32_e64 s0, 4, v56
	v_dual_mov_b32 v10, 0xff7fffff :: v_dual_lshlrev_b32 v5, 2, v56
	s_wait_dscnt 0x0
	s_barrier_signal -1
	s_barrier_wait -1
	s_and_saveexec_b32 s1, s0
; %bb.23:
	ds_load_b32 v10, v5 offset:512
; %bb.24:
	s_or_b32 exec_lo, exec_lo, s1
	v_xor_b32_e32 v7, 2, v9
	v_xor_b32_e32 v12, 1, v9
	s_delay_alu instid0(VALU_DEP_2) | instskip(NEXT) | instid1(VALU_DEP_1)
	v_cmp_gt_i32_e64 s1, 32, v7
	v_cndmask_b32_e64 v7, v9, v7, s1
	s_delay_alu instid0(VALU_DEP_3) | instskip(NEXT) | instid1(VALU_DEP_1)
	v_cmp_gt_i32_e64 s1, 32, v12
	v_dual_lshlrev_b32 v7, 2, v7 :: v_dual_cndmask_b32 v9, v9, v12, s1
	s_lshl_b32 s1, s34, 3
	s_delay_alu instid0(SALU_CYCLE_1)
	s_min_i32 s15, s1, s31
	s_wait_dscnt 0x0
	ds_bpermute_b32 v11, v7, v10
	v_max_num_f32_e32 v10, v10, v10
	v_cmp_gt_i32_e64 s1, s15, v0
	s_wait_dscnt 0x0
	v_dual_lshlrev_b32 v9, 2, v9 :: v_dual_max_num_f32 v11, v11, v11
	s_delay_alu instid0(VALU_DEP_1) | instskip(SKIP_3) | instid1(VALU_DEP_1)
	v_max_num_f32_e32 v10, v10, v11
	ds_bpermute_b32 v11, v9, v10
	s_wait_dscnt 0x0
	v_max_num_f32_e32 v11, v11, v11
	v_dual_max_num_f32 v11, v10, v11 :: v_dual_mov_b32 v10, 0
	ds_bpermute_b32 v11, v10, v11
	s_and_saveexec_b32 s24, s1
	s_cbranch_execz .LBB116_28
; %bb.25:
	v_lshl_add_u32 v12, v0, 2, 0x220
	v_dual_mov_b32 v10, 0 :: v_dual_mov_b32 v13, v0
	s_mov_b32 s25, 0
.LBB116_26:                             ; =>This Inner Loop Header: Depth=1
	ds_load_b32 v14, v12
	v_add_nc_u32_e32 v13, 0x80, v13
	s_delay_alu instid0(VALU_DEP_1) | instskip(SKIP_3) | instid1(VALU_DEP_1)
	v_cmp_le_i32_e64 s3, s15, v13
	s_or_b32 s25, s3, s25
	s_wait_dscnt 0x0
	v_sub_f32_e32 v14, v14, v11
	v_mul_f32_e32 v14, 0x3fb8aa3b, v14
	s_delay_alu instid0(VALU_DEP_1)
	v_exp_f32_e32 v14, v14
	ds_store_b32 v12, v14
	v_nop
	v_add_f32_e32 v10, v10, v14
	v_add_nc_u32_e32 v12, 0x200, v12
	s_and_not1_b32 exec_lo, exec_lo, s25
	s_cbranch_execnz .LBB116_26
; %bb.27:
	s_or_b32 exec_lo, exec_lo, s25
.LBB116_28:
	s_delay_alu instid0(SALU_CYCLE_1)
	s_or_b32 exec_lo, exec_lo, s24
	ds_bpermute_b32 v2, v2, v10
	s_wait_dscnt 0x0
	v_add_f32_e32 v2, v10, v2
	ds_bpermute_b32 v3, v3, v2
	s_wait_dscnt 0x0
	v_add_f32_e32 v2, v2, v3
	;; [unrolled: 3-line block ×5, first 2 shown]
	s_and_saveexec_b32 s3, vcc_lo
; %bb.29:
	ds_store_b32 v4, v2 offset:528
; %bb.30:
	s_or_b32 exec_lo, exec_lo, s3
	s_wait_dscnt 0x0
	s_barrier_signal -1
	s_barrier_wait -1
	s_and_saveexec_b32 s3, s0
; %bb.31:
	ds_load_b32 v2, v5 offset:528
; %bb.32:
	s_or_b32 exec_lo, exec_lo, s3
	s_wait_dscnt 0x0
	ds_bpermute_b32 v3, v7, v2
	s_wait_dscnt 0x0
	v_add_f32_e32 v2, v2, v3
	ds_bpermute_b32 v3, v9, v2
	s_wait_dscnt 0x0
	v_dual_add_f32 v2, v2, v3 :: v_dual_mov_b32 v3, 0
	ds_bpermute_b32 v2, v3, v2
	s_and_saveexec_b32 s0, s1
	s_cbranch_execz .LBB116_45
; %bb.33:
	s_wait_dscnt 0x0
	v_add_f32_e32 v2, 0x358637bd, v2
	s_mov_b32 s3, -1
	s_mov_b32 s1, exec_lo
	s_delay_alu instid0(VALU_DEP_1) | instskip(NEXT) | instid1(VALU_DEP_1)
	v_div_scale_f32 v3, null, v2, v2, 1.0
	v_rcp_f32_e32 v5, v3
	v_nop
	s_delay_alu instid0(TRANS32_DEP_1) | instskip(NEXT) | instid1(VALU_DEP_1)
	v_fma_f32 v4, -v3, v5, 1.0
	v_fmac_f32_e32 v5, v4, v5
	v_div_scale_f32 v6, vcc_lo, 1.0, v2, 1.0
	s_delay_alu instid0(VALU_DEP_1) | instskip(NEXT) | instid1(VALU_DEP_1)
	v_mul_f32_e32 v7, v6, v5
	v_fma_f32 v4, -v3, v7, v6
	s_delay_alu instid0(VALU_DEP_1) | instskip(SKIP_1) | instid1(VALU_DEP_2)
	v_fmac_f32_e32 v7, v4, v5
	v_xad_u32 v4, v0, -1, s15
	v_fma_f32 v3, -v3, v7, v6
	s_delay_alu instid0(VALU_DEP_1) | instskip(NEXT) | instid1(VALU_DEP_1)
	v_div_fmas_f32 v3, v3, v5, v7
	v_div_fixup_f32 v2, v3, v2, 1.0
	v_mov_b32_e32 v3, v0
	v_cmpx_lt_u32_e32 0x7f, v4
	s_cbranch_execz .LBB116_42
; %bb.34:
	s_delay_alu instid0(VALU_DEP_3) | instskip(NEXT) | instid1(VALU_DEP_1)
	v_dual_mov_b32 v3, v2 :: v_dual_lshrrev_b32 v4, 7, v4
	v_dual_mov_b32 v9, 0 :: v_dual_add_nc_u32 v5, -1, v4
	s_delay_alu instid0(VALU_DEP_1) | instskip(SKIP_1) | instid1(VALU_DEP_2)
	v_lshrrev_b32_e32 v6, 1, v5
	v_cmp_lt_u32_e32 vcc_lo, 13, v5
	v_add_nc_u32_e32 v5, 1, v6
	s_and_saveexec_b32 s3, vcc_lo
	s_cbranch_execz .LBB116_38
; %bb.35:
	s_delay_alu instid0(VALU_DEP_1)
	v_and_b32_e32 v6, -8, v5
	v_lshl_add_u32 v7, v0, 2, 0x220
	s_mov_b32 s24, 0
	s_mov_b32 s25, 0
.LBB116_36:                             ; =>This Inner Loop Header: Depth=1
	ds_load_2addr_stride64_b32 v[10:11], v7 offset1:2
	ds_load_2addr_stride64_b32 v[12:13], v7 offset0:4 offset1:6
	ds_load_2addr_stride64_b32 v[14:15], v7 offset0:8 offset1:10
	;; [unrolled: 1-line block ×7, first 2 shown]
	s_add_co_i32 s25, s25, 16
	s_delay_alu instid0(SALU_CYCLE_1) | instskip(NEXT) | instid1(VALU_DEP_1)
	v_dual_mov_b32 v9, s25 :: v_dual_add_nc_u32 v6, -8, v6
	v_cmp_eq_u32_e32 vcc_lo, 0, v6
	s_or_b32 s24, vcc_lo, s24
	s_wait_dscnt 0x7
	v_pk_mul_f32 v[10:11], v[2:3], v[10:11]
	s_wait_dscnt 0x6
	v_pk_mul_f32 v[12:13], v[2:3], v[12:13]
	;; [unrolled: 2-line block ×8, first 2 shown]
	ds_store_2addr_stride64_b32 v7, v10, v11 offset1:2
	ds_store_2addr_stride64_b32 v7, v12, v13 offset0:4 offset1:6
	ds_store_2addr_stride64_b32 v7, v14, v15 offset0:8 offset1:10
	;; [unrolled: 1-line block ×7, first 2 shown]
	v_add_nc_u32_e32 v7, 0x2000, v7
	s_and_not1_b32 exec_lo, exec_lo, s24
	s_cbranch_execnz .LBB116_36
; %bb.37:
	s_or_b32 exec_lo, exec_lo, s24
.LBB116_38:
	s_delay_alu instid0(SALU_CYCLE_1) | instskip(NEXT) | instid1(VALU_DEP_1)
	s_or_b32 exec_lo, exec_lo, s3
	v_and_b32_e32 v5, 7, v5
	s_mov_b32 s24, 0
	s_mov_b32 s3, exec_lo
	s_delay_alu instid0(VALU_DEP_1)
	v_cmpx_ne_u32_e32 0, v5
	s_cbranch_execz .LBB116_41
; %bb.39:
	v_dual_lshlrev_b32 v6, 9, v9 :: v_dual_lshlrev_b32 v7, 2, v0
	s_delay_alu instid0(VALU_DEP_1)
	v_add3_u32 v6, v6, v7, 0x220
.LBB116_40:                             ; =>This Inner Loop Header: Depth=1
	ds_load_2addr_stride64_b32 v[10:11], v6 offset1:2
	v_add_nc_u32_e32 v5, -1, v5
	s_delay_alu instid0(VALU_DEP_1)
	v_cmp_eq_u32_e32 vcc_lo, 0, v5
	s_or_b32 s24, vcc_lo, s24
	s_wait_dscnt 0x0
	v_pk_mul_f32 v[10:11], v[2:3], v[10:11]
	ds_store_2addr_stride64_b32 v6, v10, v11 offset1:2
	v_add_nc_u32_e32 v6, 0x400, v6
	s_and_not1_b32 exec_lo, exec_lo, s24
	s_cbranch_execnz .LBB116_40
.LBB116_41:
	s_or_b32 exec_lo, exec_lo, s3
	v_add_nc_u32_e32 v3, 1, v4
	s_delay_alu instid0(VALU_DEP_1) | instskip(NEXT) | instid1(VALU_DEP_1)
	v_and_b32_e32 v4, 0x3fffffe, v3
	v_cmp_ne_u32_e32 vcc_lo, v3, v4
	v_lshl_add_u32 v3, v4, 7, v0
	s_or_not1_b32 s3, vcc_lo, exec_lo
.LBB116_42:
	s_or_b32 exec_lo, exec_lo, s1
	s_delay_alu instid0(SALU_CYCLE_1)
	s_and_b32 exec_lo, exec_lo, s3
	s_cbranch_execz .LBB116_45
; %bb.43:
	v_lshl_add_u32 v4, v3, 2, 0x220
	s_mov_b32 s1, 0
.LBB116_44:                             ; =>This Inner Loop Header: Depth=1
	ds_load_b32 v5, v4
	v_add_nc_u32_e32 v3, 0x80, v3
	s_delay_alu instid0(VALU_DEP_1)
	v_cmp_le_i32_e32 vcc_lo, s15, v3
	s_or_b32 s1, vcc_lo, s1
	s_wait_dscnt 0x0
	v_mul_f32_e32 v5, v2, v5
	ds_store_b32 v4, v5
	v_add_nc_u32_e32 v4, 0x200, v4
	s_and_not1_b32 exec_lo, exec_lo, s1
	s_cbranch_execnz .LBB116_44
.LBB116_45:
	s_or_b32 exec_lo, exec_lo, s0
	v_mov_b64_e32 v[50:51], 0
	v_mov_b64_e32 v[44:45], 0
	;; [unrolled: 1-line block ×4, first 2 shown]
	s_wait_dscnt 0x0
	s_barrier_signal -1
	s_barrier_wait -1
	s_and_saveexec_b32 s1, s2
	s_cbranch_execz .LBB116_67
; %bb.46:
	s_abs_i32 s10, s10
	v_dual_mov_b32 v43, 0 :: v_dual_lshlrev_b32 v2, 4, v56
	s_cvt_f32_u32 s0, s10
	s_ashr_i32 s15, s14, 31
	v_and_b32_e32 v4, 0x7c, v8
	s_lshl_b64 s[20:21], s[20:21], 2
	v_rcp_iflag_f32_e32 v3, s0
	s_lshl_b64 s[14:15], s[14:15], 1
	s_add_nc_u64 s[18:19], s[18:19], s[20:21]
	s_wait_kmcnt 0x0
	s_add_nc_u64 s[14:15], s[22:23], s[14:15]
	s_sub_co_i32 s24, s8, s9
	s_sub_co_i32 s8, 0, s10
	v_mov_b32_e32 v5, v43
	v_readfirstlane_b32 s0, v3
	v_mov_b32_e32 v3, v43
	v_mov_b64_e32 v[46:47], 0
	v_mov_b64_e32 v[48:49], 0
	;; [unrolled: 1-line block ×3, first 2 shown]
	s_mul_f32 s0, s0, 0x4f7ffffe
	v_add_nc_u64_e32 v[52:53], s[14:15], v[2:3]
	v_add_nc_u64_e32 v[54:55], s[18:19], v[4:5]
	v_mov_b64_e32 v[50:51], 0
	s_cvt_u32_f32 s0, s0
	v_lshl_add_u32 v57, v1, 5, 0x220
	v_mov_b32_e32 v58, v1
	s_mov_b32 s9, 0
	s_mul_i32 s8, s8, s0
	s_ashr_i32 s3, s13, 31
	s_mul_hi_u32 s8, s0, s8
	s_mov_b32 s2, s13
	s_add_co_i32 s13, s34, -1
	s_mov_b32 s14, s31
	s_add_co_i32 s8, s0, s8
	s_mov_b32 s15, s9
	s_branch .LBB116_49
.LBB116_47:                             ;   in Loop: Header=BB116_49 Depth=1
	s_or_b32 exec_lo, exec_lo, s0
	s_wait_dscnt 0x1
	v_cvt_pk_bf16_f32 v14, v14, v15
	v_cvt_pk_bf16_f32 v15, v16, v17
	s_wait_dscnt 0x0
	v_cvt_pk_bf16_f32 v11, v10, v11
	v_cvt_pk_bf16_f32 v17, v12, v13
	s_wait_loadcnt 0x1
	v_pk_mul_bf16 v10, v14, v38
	v_pk_mul_bf16 v16, v15, v39
	;; [unrolled: 1-line block ×5, first 2 shown]
	s_delay_alu instid0(VALU_DEP_4)
	v_dual_lshlrev_b32 v13, 16, v10 :: v_dual_lshlrev_b32 v38, 16, v16
	v_and_b32_e32 v10, 0xffff0000, v10
	v_and_b32_e32 v16, 0xffff0000, v16
	v_lshlrev_b32_e32 v40, 16, v12
	v_and_b32_e32 v12, 0xffff0000, v12
	v_pk_mul_bf16 v27, v15, v27
	s_delay_alu instid0(VALU_DEP_4) | instskip(SKIP_3) | instid1(VALU_DEP_4)
	v_dual_add_f32 v10, v13, v10 :: v_dual_add_f32 v13, v38, v16
	v_pk_mul_bf16 v16, v14, v34
	v_pk_mul_bf16 v34, v15, v35
	v_dual_add_f32 v12, v40, v12 :: v_dual_lshlrev_b32 v35, 16, v39
	v_add_f32_e32 v10, v13, v10
	v_and_b32_e32 v13, 0xffff0000, v39
	s_delay_alu instid0(VALU_DEP_4) | instskip(SKIP_2) | instid1(VALU_DEP_4)
	v_dual_lshlrev_b32 v38, 16, v16 :: v_dual_lshlrev_b32 v39, 16, v34
	v_and_b32_e32 v16, 0xffff0000, v16
	v_and_b32_e32 v34, 0xffff0000, v34
	v_dual_add_f32 v10, v12, v10 :: v_dual_add_f32 v12, v35, v13
	v_and_b32_e32 v35, 0xffff0000, v36
	s_delay_alu instid0(VALU_DEP_3) | instskip(NEXT) | instid1(VALU_DEP_3)
	v_dual_add_f32 v13, v38, v16 :: v_dual_add_f32 v16, v39, v34
	v_dual_lshlrev_b32 v34, 16, v36 :: v_dual_add_f32 v10, v12, v10
	v_pk_mul_bf16 v12, v17, v37
	s_delay_alu instid0(VALU_DEP_3) | instskip(SKIP_1) | instid1(VALU_DEP_3)
	v_dual_add_f32 v13, v16, v13 :: v_dual_lshlrev_b32 v36, 16, v27
	v_pk_mul_bf16 v16, v14, v26
	v_dual_add_f32 v26, v34, v35 :: v_dual_lshlrev_b32 v34, 16, v12
	v_and_b32_e32 v12, 0xffff0000, v12
	v_and_b32_e32 v27, 0xffff0000, v27
	s_delay_alu instid0(VALU_DEP_3) | instskip(SKIP_2) | instid1(VALU_DEP_4)
	v_dual_lshlrev_b32 v35, 16, v16 :: v_dual_add_f32 v13, v26, v13
	v_and_b32_e32 v16, 0xffff0000, v16
	v_pk_mul_bf16 v28, v11, v28
	v_dual_add_f32 v12, v34, v12 :: v_dual_add_f32 v26, v36, v27
	v_pk_mul_bf16 v22, v14, v22
	s_delay_alu instid0(VALU_DEP_4) | instskip(NEXT) | instid1(VALU_DEP_4)
	v_add_f32_e32 v16, v35, v16
	v_lshlrev_b32_e32 v27, 16, v28
	v_and_b32_e32 v28, 0xffff0000, v28
	v_add_f32_e32 v12, v12, v13
	v_pk_mul_bf16 v13, v17, v29
	v_add_f32_e32 v16, v26, v16
	v_pk_mul_bf16 v23, v15, v23
	v_dual_add_f32 v26, v27, v28 :: v_dual_lshlrev_b32 v28, 16, v22
	s_delay_alu instid0(VALU_DEP_4)
	v_lshlrev_b32_e32 v27, 16, v13
	v_and_b32_e32 v13, 0xffff0000, v13
	v_and_b32_e32 v22, 0xffff0000, v22
	v_lshlrev_b32_e32 v29, 16, v23
	v_and_b32_e32 v23, 0xffff0000, v23
	v_pk_mul_bf16 v24, v11, v24
	v_dual_add_f32 v16, v26, v16 :: v_dual_add_f32 v13, v27, v13
	s_delay_alu instid0(VALU_DEP_3) | instskip(NEXT) | instid1(VALU_DEP_3)
	v_dual_add_f32 v22, v28, v22 :: v_dual_add_f32 v23, v29, v23
	v_dual_lshlrev_b32 v26, 16, v24 :: v_dual_add_f32 v10, v50, v10
	v_and_b32_e32 v24, 0xffff0000, v24
	s_delay_alu instid0(VALU_DEP_4) | instskip(NEXT) | instid1(VALU_DEP_4)
	v_add_f32_e32 v13, v13, v16
	v_dual_add_f32 v45, v45, v12 :: v_dual_add_f32 v12, v23, v22
	v_pk_mul_bf16 v18, v14, v18
	s_delay_alu instid0(VALU_DEP_3) | instskip(SKIP_3) | instid1(VALU_DEP_4)
	v_dual_add_f32 v16, v26, v24 :: v_dual_add_f32 v44, v44, v13
	v_pk_mul_bf16 v13, v15, v19
	v_pk_mul_bf16 v19, v17, v25
	;; [unrolled: 1-line block ×3, first 2 shown]
	v_dual_add_f32 v16, v16, v12 :: v_dual_lshlrev_b32 v12, 16, v18
	v_and_b32_e32 v18, 0xffff0000, v18
	v_lshlrev_b32_e32 v22, 16, v13
	v_and_b32_e32 v13, 0xffff0000, v13
	v_lshlrev_b32_e32 v23, 16, v19
	v_and_b32_e32 v19, 0xffff0000, v19
	v_dual_add_f32 v12, v12, v18 :: v_dual_lshlrev_b32 v18, 16, v20
	s_delay_alu instid0(VALU_DEP_4)
	v_add_f32_e32 v13, v22, v13
	v_and_b32_e32 v20, 0xffff0000, v20
	v_pk_mul_bf16 v21, v17, v21
	v_pk_mul_bf16 v6, v14, v6
	;; [unrolled: 1-line block ×3, first 2 shown]
	v_dual_add_f32 v19, v23, v19 :: v_dual_add_f32 v12, v13, v12
	s_delay_alu instid0(VALU_DEP_4) | instskip(SKIP_1) | instid1(VALU_DEP_4)
	v_dual_add_f32 v13, v18, v20 :: v_dual_lshlrev_b32 v18, 16, v21
	v_and_b32_e32 v20, 0xffff0000, v21
	v_dual_lshlrev_b32 v21, 16, v6 :: v_dual_lshlrev_b32 v22, 16, v7
	v_and_b32_e32 v6, 0xffff0000, v6
	v_and_b32_e32 v7, 0xffff0000, v7
	v_pk_mul_bf16 v8, v11, v8
	v_add_f32_e32 v23, v13, v12
	s_delay_alu instid0(VALU_DEP_4) | instskip(NEXT) | instid1(VALU_DEP_3)
	v_dual_add_f32 v18, v18, v20 :: v_dual_add_f32 v6, v21, v6
	v_dual_add_f32 v7, v22, v7 :: v_dual_lshlrev_b32 v12, 16, v8
	v_and_b32_e32 v8, 0xffff0000, v8
	v_pk_mul_bf16 v2, v14, v2
	v_pk_mul_bf16 v20, v17, v9
	s_delay_alu instid0(VALU_DEP_4) | instskip(SKIP_1) | instid1(VALU_DEP_4)
	v_add_f32_e32 v21, v7, v6
	v_pk_mul_bf16 v3, v15, v3
	v_dual_add_f32 v22, v12, v8 :: v_dual_lshlrev_b32 v25, 16, v2
	v_and_b32_e32 v26, 0xffff0000, v2
	s_wait_loadcnt 0x0
	v_pk_mul_bf16 v2, v14, v30
	v_pk_mul_bf16 v6, v15, v31
	v_dual_lshlrev_b32 v24, 16, v20 :: v_dual_lshlrev_b32 v27, 16, v3
	v_and_b32_e32 v14, 0xffff0000, v3
	v_pk_mul_bf16 v8, v11, v32
	v_pk_mul_bf16 v12, v17, v33
	v_and_b32_e32 v3, 0xffff0000, v2
	v_lshlrev_b32_e32 v7, 16, v2
	v_and_b32_e32 v2, 0xffff0000, v6
	v_lshlrev_b32_e32 v6, 16, v6
	;; [unrolled: 2-line block ×4, first 2 shown]
	v_pk_add_f32 v[2:3], v[6:7], v[2:3]
	v_pk_mul_bf16 v4, v11, v4
	v_add_f32_e32 v11, v25, v26
	v_add_f32_e32 v14, v27, v14
	v_pk_add_f32 v[6:7], v[12:13], v[8:9]
	s_delay_alu instid0(VALU_DEP_4) | instskip(SKIP_3) | instid1(VALU_DEP_4)
	v_dual_add_f32 v2, v2, v3 :: v_dual_lshlrev_b32 v3, 16, v4
	v_and_b32_e32 v4, 0xffff0000, v4
	v_pk_mul_bf16 v5, v17, v5
	v_and_b32_e32 v8, 0xffff0000, v20
	v_dual_add_f32 v2, v7, v2 :: v_dual_add_f32 v7, v14, v11
	s_delay_alu instid0(VALU_DEP_3) | instskip(SKIP_1) | instid1(VALU_DEP_3)
	v_dual_add_f32 v3, v3, v4 :: v_dual_lshlrev_b32 v4, 16, v5
	v_and_b32_e32 v5, 0xffff0000, v5
	v_dual_add_f32 v2, v6, v2 :: v_dual_add_f32 v8, v24, v8
	s_delay_alu instid0(VALU_DEP_3) | instskip(NEXT) | instid1(VALU_DEP_3)
	v_dual_add_f32 v6, v22, v21 :: v_dual_add_f32 v7, v3, v7
	v_add_f32_e32 v4, v4, v5
	s_delay_alu instid0(VALU_DEP_3) | instskip(SKIP_1) | instid1(VALU_DEP_4)
	v_pk_add_f32 v[2:3], v[50:51], v[2:3] op_sel_hi:[1,0]
	v_dual_add_f32 v2, v19, v16 :: v_dual_add_f32 v5, v18, v23
	v_add_f32_e32 v6, v8, v6
	s_delay_alu instid0(VALU_DEP_3) | instskip(NEXT) | instid1(VALU_DEP_3)
	v_dual_add_f32 v4, v4, v7 :: v_dual_mov_b32 v11, v3
	v_dual_add_f32 v49, v49, v2 :: v_dual_add_f32 v48, v48, v5
	s_delay_alu instid0(VALU_DEP_2) | instskip(NEXT) | instid1(VALU_DEP_3)
	v_dual_add_f32 v47, v47, v6 :: v_dual_add_f32 v46, v46, v4
	v_mov_b64_e32 v[50:51], v[10:11]
.LBB116_48:                             ;   in Loop: Header=BB116_49 Depth=1
	s_or_b32 exec_lo, exec_lo, s18
	v_add_nc_u32_e32 v58, 4, v58
	v_add_nc_u64_e32 v[54:55], 16, v[54:55]
	v_add_nc_u32_e32 v42, 32, v42
	v_add_nc_u32_e32 v57, 0x80, v57
	s_delay_alu instid0(VALU_DEP_4) | instskip(SKIP_1) | instid1(SALU_CYCLE_1)
	v_cmp_le_i32_e32 vcc_lo, s34, v58
	s_or_b32 s15, vcc_lo, s15
	s_and_not1_b32 exec_lo, exec_lo, s15
	s_cbranch_execz .LBB116_66
.LBB116_49:                             ; =>This Inner Loop Header: Depth=1
	v_mul_u64_e32 v[2:3], s[16:17], v[42:43]
	s_delay_alu instid0(VALU_DEP_1) | instskip(NEXT) | instid1(VALU_DEP_1)
	v_mul_lo_u32 v2, v3, s12
	v_dual_add_nc_u32 v4, 1, v3 :: v_dual_sub_nc_u32 v2, v42, v2
	s_delay_alu instid0(VALU_DEP_1) | instskip(SKIP_1) | instid1(VALU_DEP_2)
	v_subrev_nc_u32_e32 v5, s12, v2
	v_cmp_le_u32_e32 vcc_lo, s12, v2
	v_dual_cndmask_b32 v3, v3, v4 :: v_dual_cndmask_b32 v2, v2, v5
	s_delay_alu instid0(VALU_DEP_1) | instskip(NEXT) | instid1(VALU_DEP_2)
	v_add_nc_u32_e32 v4, 1, v3
	v_cmp_le_u32_e32 vcc_lo, s12, v2
	s_delay_alu instid0(VALU_DEP_2) | instskip(NEXT) | instid1(VALU_DEP_1)
	v_cndmask_b32_e32 v2, v3, v4, vcc_lo
	v_dual_mov_b32 v3, v43 :: v_dual_bitop2_b32 v2, s11, v2 bitop3:0x14
	s_delay_alu instid0(VALU_DEP_1) | instskip(NEXT) | instid1(VALU_DEP_1)
	v_subrev_nc_u32_e32 v6, s11, v2
	v_add_nc_u32_e32 v7, s33, v6
	v_cmp_lt_i32_e64 s0, s24, v6
	s_delay_alu instid0(VALU_DEP_2) | instskip(NEXT) | instid1(VALU_DEP_1)
	v_sub_nc_u32_e32 v2, 0, v7
	v_max_i32_e32 v2, v7, v2
	s_delay_alu instid0(VALU_DEP_1) | instskip(SKIP_1) | instid1(VALU_DEP_2)
	v_mul_u64_e32 v[4:5], s[8:9], v[2:3]
	v_ashrrev_i32_e32 v4, 31, v7
	v_mul_lo_u32 v3, v5, s10
	s_delay_alu instid0(VALU_DEP_1) | instskip(NEXT) | instid1(VALU_DEP_1)
	v_sub_nc_u32_e32 v2, v2, v3
	v_subrev_nc_u32_e32 v3, s10, v2
	v_cmp_le_u32_e32 vcc_lo, s10, v2
	s_delay_alu instid0(VALU_DEP_2) | instskip(NEXT) | instid1(VALU_DEP_1)
	v_cndmask_b32_e32 v2, v2, v3, vcc_lo
	v_subrev_nc_u32_e32 v3, s10, v2
	v_cmp_le_u32_e32 vcc_lo, s10, v2
	s_delay_alu instid0(VALU_DEP_2) | instskip(NEXT) | instid1(VALU_DEP_1)
	v_cndmask_b32_e32 v2, v2, v3, vcc_lo
	v_xor_b32_e32 v2, v2, v4
	s_delay_alu instid0(VALU_DEP_1) | instskip(NEXT) | instid1(VALU_DEP_1)
	v_sub_nc_u32_e32 v2, v2, v4
	v_cmp_eq_u32_e32 vcc_lo, 0, v2
	s_or_b32 s0, vcc_lo, s0
	s_delay_alu instid0(SALU_CYCLE_1)
	s_and_saveexec_b32 s18, s0
	s_cbranch_execz .LBB116_48
; %bb.50:                               ;   in Loop: Header=BB116_49 Depth=1
	global_load_b32 v2, v[54:55], off
	v_cmp_eq_u32_e32 vcc_lo, s13, v58
	v_dual_add_nc_u32 v64, 1, v42 :: v_dual_bitop2_b32 v63, 3, v42 bitop3:0x54
	v_or_b32_e32 v65, 2, v42
	v_or_b32_e32 v60, 5, v42
	;; [unrolled: 1-line block ×5, first 2 shown]
	s_wait_loadcnt 0x0
	v_ashrrev_i32_e32 v3, 31, v2
	s_delay_alu instid0(VALU_DEP_1) | instskip(NEXT) | instid1(VALU_DEP_1)
	v_mul_u64_e32 v[2:3], s[2:3], v[2:3]
	v_lshl_add_u64 v[30:31], v[2:3], 1, v[52:53]
	global_load_b128 v[2:5], v[30:31], off
	ds_load_2addr_b64 v[14:17], v57 offset1:1
	ds_load_2addr_b64 v[10:13], v57 offset0:2 offset1:3
	s_wait_xcnt 0x0
	s_and_saveexec_b32 s19, vcc_lo
	s_cbranch_execnz .LBB116_58
; %bb.51:                               ;   in Loop: Header=BB116_49 Depth=1
	s_or_b32 exec_lo, exec_lo, s19
	global_load_b128 v[6:9], v[30:31], off offset:512
	s_wait_xcnt 0x0
	s_and_saveexec_b32 s19, vcc_lo
	s_cbranch_execnz .LBB116_59
.LBB116_52:                             ;   in Loop: Header=BB116_49 Depth=1
	s_or_b32 exec_lo, exec_lo, s19
	global_load_b128 v[18:21], v[30:31], off offset:1024
	s_wait_xcnt 0x0
	s_and_saveexec_b32 s19, vcc_lo
	s_cbranch_execnz .LBB116_60
.LBB116_53:                             ;   in Loop: Header=BB116_49 Depth=1
	s_or_b32 exec_lo, exec_lo, s19
	global_load_b128 v[22:25], v[30:31], off offset:1536
	s_wait_xcnt 0x0
	s_and_saveexec_b32 s19, vcc_lo
	s_cbranch_execnz .LBB116_61
.LBB116_54:                             ;   in Loop: Header=BB116_49 Depth=1
	s_or_b32 exec_lo, exec_lo, s19
	global_load_b128 v[26:29], v[30:31], off offset:2048
	s_wait_xcnt 0x0
	s_and_saveexec_b32 s19, vcc_lo
	s_cbranch_execnz .LBB116_62
.LBB116_55:                             ;   in Loop: Header=BB116_49 Depth=1
	s_or_b32 exec_lo, exec_lo, s19
	global_load_b128 v[34:37], v[30:31], off offset:2560
	s_wait_xcnt 0x0
	s_and_saveexec_b32 s19, vcc_lo
	s_cbranch_execnz .LBB116_63
.LBB116_56:                             ;   in Loop: Header=BB116_49 Depth=1
	s_or_b32 exec_lo, exec_lo, s19
	global_load_b128 v[38:41], v[30:31], off offset:3072
	s_wait_xcnt 0x0
	s_and_saveexec_b32 s19, vcc_lo
	s_cbranch_execnz .LBB116_64
.LBB116_57:                             ;   in Loop: Header=BB116_49 Depth=1
	s_or_b32 exec_lo, exec_lo, s19
	global_load_b128 v[30:33], v[30:31], off offset:3584
	s_wait_xcnt 0x0
	s_and_saveexec_b32 s0, vcc_lo
	s_cbranch_execz .LBB116_47
	s_branch .LBB116_65
.LBB116_58:                             ;   in Loop: Header=BB116_49 Depth=1
	v_cmp_gt_i32_e64 s0, s31, v42
	s_wait_loadcnt 0x0
	v_dual_lshrrev_b32 v6, 16, v2 :: v_dual_lshrrev_b32 v8, 16, v4
	s_delay_alu instid0(VALU_DEP_2) | instskip(SKIP_1) | instid1(VALU_DEP_1)
	v_cndmask_b32_e64 v2, 0, v2, s0
	v_cmp_gt_i32_e64 s0, s14, v64
	v_dual_lshrrev_b32 v7, 16, v3 :: v_dual_cndmask_b32 v6, 0, v6, s0
	v_cmp_gt_i32_e64 s0, s31, v65
	s_delay_alu instid0(VALU_DEP_2) | instskip(NEXT) | instid1(VALU_DEP_2)
	v_perm_b32 v2, v6, v2, 0x5040100
	v_cndmask_b32_e64 v3, 0, v3, s0
	v_cmp_gt_i32_e64 s0, s14, v63
	s_delay_alu instid0(VALU_DEP_1) | instskip(SKIP_1) | instid1(VALU_DEP_1)
	v_cndmask_b32_e64 v7, 0, v7, s0
	v_cmp_gt_i32_e64 s0, s31, v62
	v_cndmask_b32_e64 v4, 0, v4, s0
	v_cmp_gt_i32_e64 s0, s14, v60
	v_lshrrev_b32_e32 v9, 16, v5
	v_perm_b32 v3, v7, v3, 0x5040100
	s_delay_alu instid0(VALU_DEP_3) | instskip(SKIP_1) | instid1(VALU_DEP_2)
	v_cndmask_b32_e64 v8, 0, v8, s0
	v_cmp_gt_i32_e64 s0, s31, v61
	v_perm_b32 v4, v8, v4, 0x5040100
	s_delay_alu instid0(VALU_DEP_2) | instskip(SKIP_1) | instid1(VALU_DEP_1)
	v_cndmask_b32_e64 v5, 0, v5, s0
	v_cmp_gt_i32_e64 s0, s14, v59
	v_cndmask_b32_e64 v9, 0, v9, s0
	s_delay_alu instid0(VALU_DEP_1)
	v_perm_b32 v5, v9, v5, 0x5040100
	s_or_b32 exec_lo, exec_lo, s19
	global_load_b128 v[6:9], v[30:31], off offset:512
	s_wait_xcnt 0x0
	s_and_saveexec_b32 s19, vcc_lo
	s_cbranch_execz .LBB116_52
.LBB116_59:                             ;   in Loop: Header=BB116_49 Depth=1
	v_cmp_gt_i32_e64 s0, s31, v42
	s_wait_loadcnt 0x0
	v_dual_lshrrev_b32 v18, 16, v6 :: v_dual_lshrrev_b32 v20, 16, v8
	s_delay_alu instid0(VALU_DEP_2) | instskip(SKIP_1) | instid1(VALU_DEP_1)
	v_cndmask_b32_e64 v6, 0, v6, s0
	v_cmp_gt_i32_e64 s0, s14, v64
	v_dual_lshrrev_b32 v19, 16, v7 :: v_dual_cndmask_b32 v18, 0, v18, s0
	v_cmp_gt_i32_e64 s0, s31, v65
	s_delay_alu instid0(VALU_DEP_2) | instskip(NEXT) | instid1(VALU_DEP_2)
	v_perm_b32 v6, v18, v6, 0x5040100
	v_cndmask_b32_e64 v7, 0, v7, s0
	v_cmp_gt_i32_e64 s0, s14, v63
	s_delay_alu instid0(VALU_DEP_1) | instskip(SKIP_1) | instid1(VALU_DEP_1)
	v_cndmask_b32_e64 v19, 0, v19, s0
	v_cmp_gt_i32_e64 s0, s31, v62
	v_cndmask_b32_e64 v8, 0, v8, s0
	v_cmp_gt_i32_e64 s0, s14, v60
	v_lshrrev_b32_e32 v21, 16, v9
	v_perm_b32 v7, v19, v7, 0x5040100
	s_delay_alu instid0(VALU_DEP_3) | instskip(SKIP_1) | instid1(VALU_DEP_2)
	v_cndmask_b32_e64 v20, 0, v20, s0
	v_cmp_gt_i32_e64 s0, s31, v61
	v_perm_b32 v8, v20, v8, 0x5040100
	s_delay_alu instid0(VALU_DEP_2) | instskip(SKIP_1) | instid1(VALU_DEP_1)
	v_cndmask_b32_e64 v9, 0, v9, s0
	v_cmp_gt_i32_e64 s0, s14, v59
	v_cndmask_b32_e64 v21, 0, v21, s0
	s_delay_alu instid0(VALU_DEP_1)
	v_perm_b32 v9, v21, v9, 0x5040100
	s_or_b32 exec_lo, exec_lo, s19
	global_load_b128 v[18:21], v[30:31], off offset:1024
	s_wait_xcnt 0x0
	s_and_saveexec_b32 s19, vcc_lo
	s_cbranch_execz .LBB116_53
.LBB116_60:                             ;   in Loop: Header=BB116_49 Depth=1
	v_cmp_gt_i32_e64 s0, s31, v42
	s_wait_loadcnt 0x0
	v_dual_lshrrev_b32 v22, 16, v18 :: v_dual_lshrrev_b32 v24, 16, v20
	s_delay_alu instid0(VALU_DEP_2) | instskip(SKIP_1) | instid1(VALU_DEP_1)
	v_cndmask_b32_e64 v18, 0, v18, s0
	v_cmp_gt_i32_e64 s0, s14, v64
	v_dual_lshrrev_b32 v23, 16, v19 :: v_dual_cndmask_b32 v22, 0, v22, s0
	v_cmp_gt_i32_e64 s0, s31, v65
	s_delay_alu instid0(VALU_DEP_2) | instskip(NEXT) | instid1(VALU_DEP_2)
	v_perm_b32 v18, v22, v18, 0x5040100
	v_cndmask_b32_e64 v19, 0, v19, s0
	v_cmp_gt_i32_e64 s0, s14, v63
	s_delay_alu instid0(VALU_DEP_1) | instskip(SKIP_1) | instid1(VALU_DEP_1)
	v_cndmask_b32_e64 v23, 0, v23, s0
	v_cmp_gt_i32_e64 s0, s31, v62
	v_cndmask_b32_e64 v20, 0, v20, s0
	v_cmp_gt_i32_e64 s0, s14, v60
	v_lshrrev_b32_e32 v25, 16, v21
	v_perm_b32 v19, v23, v19, 0x5040100
	s_delay_alu instid0(VALU_DEP_3) | instskip(SKIP_1) | instid1(VALU_DEP_2)
	v_cndmask_b32_e64 v24, 0, v24, s0
	v_cmp_gt_i32_e64 s0, s31, v61
	v_perm_b32 v20, v24, v20, 0x5040100
	s_delay_alu instid0(VALU_DEP_2) | instskip(SKIP_1) | instid1(VALU_DEP_1)
	v_cndmask_b32_e64 v21, 0, v21, s0
	v_cmp_gt_i32_e64 s0, s14, v59
	v_cndmask_b32_e64 v25, 0, v25, s0
	s_delay_alu instid0(VALU_DEP_1)
	v_perm_b32 v21, v25, v21, 0x5040100
	s_or_b32 exec_lo, exec_lo, s19
	global_load_b128 v[22:25], v[30:31], off offset:1536
	s_wait_xcnt 0x0
	s_and_saveexec_b32 s19, vcc_lo
	s_cbranch_execz .LBB116_54
.LBB116_61:                             ;   in Loop: Header=BB116_49 Depth=1
	v_cmp_gt_i32_e64 s0, s31, v42
	s_wait_loadcnt 0x0
	v_dual_lshrrev_b32 v26, 16, v22 :: v_dual_lshrrev_b32 v28, 16, v24
	s_delay_alu instid0(VALU_DEP_2) | instskip(SKIP_1) | instid1(VALU_DEP_1)
	v_cndmask_b32_e64 v22, 0, v22, s0
	v_cmp_gt_i32_e64 s0, s14, v64
	v_dual_lshrrev_b32 v27, 16, v23 :: v_dual_cndmask_b32 v26, 0, v26, s0
	v_cmp_gt_i32_e64 s0, s31, v65
	s_delay_alu instid0(VALU_DEP_2) | instskip(NEXT) | instid1(VALU_DEP_2)
	v_perm_b32 v22, v26, v22, 0x5040100
	v_cndmask_b32_e64 v23, 0, v23, s0
	v_cmp_gt_i32_e64 s0, s14, v63
	s_delay_alu instid0(VALU_DEP_1) | instskip(SKIP_1) | instid1(VALU_DEP_1)
	v_cndmask_b32_e64 v27, 0, v27, s0
	v_cmp_gt_i32_e64 s0, s31, v62
	v_cndmask_b32_e64 v24, 0, v24, s0
	v_cmp_gt_i32_e64 s0, s14, v60
	v_lshrrev_b32_e32 v29, 16, v25
	v_perm_b32 v23, v27, v23, 0x5040100
	s_delay_alu instid0(VALU_DEP_3) | instskip(SKIP_1) | instid1(VALU_DEP_2)
	v_cndmask_b32_e64 v28, 0, v28, s0
	v_cmp_gt_i32_e64 s0, s31, v61
	v_perm_b32 v24, v28, v24, 0x5040100
	s_delay_alu instid0(VALU_DEP_2) | instskip(SKIP_1) | instid1(VALU_DEP_1)
	v_cndmask_b32_e64 v25, 0, v25, s0
	v_cmp_gt_i32_e64 s0, s14, v59
	v_cndmask_b32_e64 v29, 0, v29, s0
	s_delay_alu instid0(VALU_DEP_1)
	v_perm_b32 v25, v29, v25, 0x5040100
	s_or_b32 exec_lo, exec_lo, s19
	global_load_b128 v[26:29], v[30:31], off offset:2048
	s_wait_xcnt 0x0
	s_and_saveexec_b32 s19, vcc_lo
	s_cbranch_execz .LBB116_55
.LBB116_62:                             ;   in Loop: Header=BB116_49 Depth=1
	v_cmp_gt_i32_e64 s0, s31, v42
	s_wait_loadcnt 0x0
	s_delay_alu instid0(VALU_DEP_1) | instskip(SKIP_1) | instid1(VALU_DEP_1)
	v_dual_lshrrev_b32 v32, 16, v26 :: v_dual_cndmask_b32 v26, 0, v26, s0
	v_cmp_gt_i32_e64 s0, s14, v64
	v_dual_lshrrev_b32 v33, 16, v27 :: v_dual_cndmask_b32 v32, 0, v32, s0
	v_cmp_gt_i32_e64 s0, s31, v65
	s_delay_alu instid0(VALU_DEP_2) | instskip(NEXT) | instid1(VALU_DEP_2)
	v_perm_b32 v26, v32, v26, 0x5040100
	v_cndmask_b32_e64 v27, 0, v27, s0
	v_cmp_gt_i32_e64 s0, s14, v63
	s_delay_alu instid0(VALU_DEP_1) | instskip(SKIP_2) | instid1(VALU_DEP_3)
	v_cndmask_b32_e64 v33, 0, v33, s0
	v_cmp_gt_i32_e64 s0, s31, v62
	v_lshrrev_b32_e32 v34, 16, v28
	v_perm_b32 v27, v33, v27, 0x5040100
	s_delay_alu instid0(VALU_DEP_3) | instskip(SKIP_1) | instid1(VALU_DEP_1)
	v_cndmask_b32_e64 v28, 0, v28, s0
	v_cmp_gt_i32_e64 s0, s14, v60
	v_dual_lshrrev_b32 v35, 16, v29 :: v_dual_cndmask_b32 v34, 0, v34, s0
	v_cmp_gt_i32_e64 s0, s31, v61
	s_delay_alu instid0(VALU_DEP_2) | instskip(NEXT) | instid1(VALU_DEP_2)
	v_perm_b32 v28, v34, v28, 0x5040100
	v_cndmask_b32_e64 v29, 0, v29, s0
	v_cmp_gt_i32_e64 s0, s14, v59
	s_delay_alu instid0(VALU_DEP_1) | instskip(NEXT) | instid1(VALU_DEP_1)
	v_cndmask_b32_e64 v35, 0, v35, s0
	v_perm_b32 v29, v35, v29, 0x5040100
	s_or_b32 exec_lo, exec_lo, s19
	global_load_b128 v[34:37], v[30:31], off offset:2560
	s_wait_xcnt 0x0
	s_and_saveexec_b32 s19, vcc_lo
	s_cbranch_execz .LBB116_56
.LBB116_63:                             ;   in Loop: Header=BB116_49 Depth=1
	v_cmp_gt_i32_e64 s0, s31, v42
	s_wait_loadcnt 0x0
	s_delay_alu instid0(VALU_DEP_1) | instskip(SKIP_1) | instid1(VALU_DEP_1)
	v_dual_lshrrev_b32 v32, 16, v34 :: v_dual_cndmask_b32 v33, 0, v34, s0
	v_cmp_gt_i32_e64 s0, s14, v64
	v_dual_lshrrev_b32 v34, 16, v35 :: v_dual_cndmask_b32 v32, 0, v32, s0
	v_cmp_gt_i32_e64 s0, s31, v65
	s_delay_alu instid0(VALU_DEP_1) | instskip(SKIP_1) | instid1(VALU_DEP_1)
	v_cndmask_b32_e64 v35, 0, v35, s0
	v_cmp_gt_i32_e64 s0, s14, v63
	v_cndmask_b32_e64 v38, 0, v34, s0
	v_cmp_gt_i32_e64 s0, s31, v62
	v_lshrrev_b32_e32 v34, 16, v36
	s_delay_alu instid0(VALU_DEP_3) | instskip(NEXT) | instid1(VALU_DEP_3)
	v_perm_b32 v35, v38, v35, 0x5040100
	v_cndmask_b32_e64 v36, 0, v36, s0
	v_cmp_gt_i32_e64 s0, s14, v60
	s_delay_alu instid0(VALU_DEP_1) | instskip(SKIP_2) | instid1(VALU_DEP_3)
	v_dual_lshrrev_b32 v39, 16, v37 :: v_dual_cndmask_b32 v40, 0, v34, s0
	v_cmp_gt_i32_e64 s0, s31, v61
	v_perm_b32 v34, v32, v33, 0x5040100
	v_perm_b32 v36, v40, v36, 0x5040100
	s_delay_alu instid0(VALU_DEP_3) | instskip(SKIP_1) | instid1(VALU_DEP_1)
	v_cndmask_b32_e64 v37, 0, v37, s0
	v_cmp_gt_i32_e64 s0, s14, v59
	v_cndmask_b32_e64 v39, 0, v39, s0
	s_delay_alu instid0(VALU_DEP_1)
	v_perm_b32 v37, v39, v37, 0x5040100
	s_or_b32 exec_lo, exec_lo, s19
	global_load_b128 v[38:41], v[30:31], off offset:3072
	s_wait_xcnt 0x0
	s_and_saveexec_b32 s19, vcc_lo
	s_cbranch_execz .LBB116_57
.LBB116_64:                             ;   in Loop: Header=BB116_49 Depth=1
	v_cmp_gt_i32_e64 s0, s31, v42
	s_wait_loadcnt 0x0
	s_delay_alu instid0(VALU_DEP_1) | instskip(SKIP_1) | instid1(VALU_DEP_1)
	v_dual_lshrrev_b32 v32, 16, v38 :: v_dual_cndmask_b32 v33, 0, v38, s0
	v_cmp_gt_i32_e64 s0, s14, v64
	v_dual_lshrrev_b32 v38, 16, v39 :: v_dual_cndmask_b32 v32, 0, v32, s0
	v_cmp_gt_i32_e64 s0, s31, v65
	s_delay_alu instid0(VALU_DEP_1) | instskip(SKIP_1) | instid1(VALU_DEP_1)
	v_cndmask_b32_e64 v39, 0, v39, s0
	v_cmp_gt_i32_e64 s0, s14, v63
	v_cndmask_b32_e64 v66, 0, v38, s0
	v_cmp_gt_i32_e64 s0, s31, v62
	v_lshrrev_b32_e32 v38, 16, v40
	s_delay_alu instid0(VALU_DEP_3) | instskip(NEXT) | instid1(VALU_DEP_3)
	v_perm_b32 v39, v66, v39, 0x5040100
	v_cndmask_b32_e64 v40, 0, v40, s0
	v_cmp_gt_i32_e64 s0, s14, v60
	s_delay_alu instid0(VALU_DEP_1) | instskip(SKIP_2) | instid1(VALU_DEP_3)
	v_dual_lshrrev_b32 v67, 16, v41 :: v_dual_cndmask_b32 v68, 0, v38, s0
	v_cmp_gt_i32_e64 s0, s31, v61
	v_perm_b32 v38, v32, v33, 0x5040100
	v_perm_b32 v40, v68, v40, 0x5040100
	s_delay_alu instid0(VALU_DEP_3) | instskip(SKIP_1) | instid1(VALU_DEP_1)
	v_cndmask_b32_e64 v41, 0, v41, s0
	v_cmp_gt_i32_e64 s0, s14, v59
	v_cndmask_b32_e64 v67, 0, v67, s0
	s_delay_alu instid0(VALU_DEP_1)
	v_perm_b32 v41, v67, v41, 0x5040100
	s_or_b32 exec_lo, exec_lo, s19
	global_load_b128 v[30:33], v[30:31], off offset:3584
	s_wait_xcnt 0x0
	s_and_saveexec_b32 s0, vcc_lo
	s_cbranch_execz .LBB116_47
.LBB116_65:                             ;   in Loop: Header=BB116_49 Depth=1
	v_cmp_gt_i32_e32 vcc_lo, s31, v42
	s_wait_loadcnt 0x0
	v_dual_lshrrev_b32 v66, 16, v30 :: v_dual_cndmask_b32 v30, 0, v30, vcc_lo
	v_cmp_gt_i32_e32 vcc_lo, s14, v64
	s_delay_alu instid0(VALU_DEP_2) | instskip(SKIP_2) | instid1(VALU_DEP_3)
	v_dual_cndmask_b32 v64, 0, v66 :: v_dual_lshrrev_b32 v67, 16, v31
	v_cmp_gt_i32_e32 vcc_lo, s31, v65
	v_lshrrev_b32_e32 v65, 16, v32
	v_perm_b32 v30, v64, v30, 0x5040100
	v_cndmask_b32_e32 v31, 0, v31, vcc_lo
	v_cmp_gt_i32_e32 vcc_lo, s14, v63
	v_cndmask_b32_e32 v63, 0, v67, vcc_lo
	v_cmp_gt_i32_e32 vcc_lo, s31, v62
	;; [unrolled: 2-line block ×3, first 2 shown]
	s_delay_alu instid0(VALU_DEP_4) | instskip(SKIP_4) | instid1(VALU_DEP_2)
	v_perm_b32 v31, v63, v31, 0x5040100
	v_cndmask_b32_e32 v60, 0, v65, vcc_lo
	v_cmp_gt_i32_e32 vcc_lo, s31, v61
	v_dual_cndmask_b32 v33, 0, v33 :: v_dual_lshrrev_b32 v62, 16, v33
	v_cmp_gt_i32_e32 vcc_lo, s14, v59
	v_cndmask_b32_e32 v59, 0, v62, vcc_lo
	v_perm_b32 v32, v60, v32, 0x5040100
	s_delay_alu instid0(VALU_DEP_2)
	v_perm_b32 v33, v59, v33, 0x5040100
	s_branch .LBB116_47
.LBB116_66:
	s_or_b32 exec_lo, exec_lo, s15
.LBB116_67:
	s_delay_alu instid0(SALU_CYCLE_1) | instskip(SKIP_4) | instid1(VALU_DEP_2)
	s_or_b32 exec_lo, exec_lo, s1
	v_lshl_add_u32 v2, v56, 2, 0x220
	v_and_b32_e32 v3, 0x3c0, v0
	s_mov_b32 s0, exec_lo
	s_barrier_signal -1
	v_lshl_add_u32 v1, v1, 10, v2
	s_barrier_wait -1
	v_cmpx_eq_u32_e32 64, v3
	s_cbranch_execz .LBB116_69
; %bb.68:
	s_delay_alu instid0(VALU_DEP_2)
	v_add_nc_u32_e32 v3, 0xfffff800, v1
	v_add_nc_u32_e32 v4, 0xfffff880, v1
	v_add_nc_u32_e32 v5, 0xfffff900, v1
	v_add_nc_u32_e32 v6, 0xfffff980, v1
	v_add_nc_u32_e32 v7, 0xfffffa00, v1
	v_add_nc_u32_e32 v8, 0xfffffa80, v1
	v_add_nc_u32_e32 v9, 0xfffffb00, v1
	v_add_nc_u32_e32 v10, 0xfffffb80, v1
	ds_store_b32 v3, v46
	ds_store_b32 v4, v47
	;; [unrolled: 1-line block ×8, first 2 shown]
.LBB116_69:
	s_or_b32 exec_lo, exec_lo, s0
	s_delay_alu instid0(SALU_CYCLE_1)
	s_mov_b32 s0, exec_lo
	s_wait_dscnt 0x0
	s_barrier_signal -1
	s_barrier_wait -1
	v_cmpx_gt_u32_e32 64, v0
	s_cbranch_execz .LBB116_71
; %bb.70:
	ds_load_2addr_b32 v[4:5], v1 offset1:32
	ds_load_2addr_b32 v[6:7], v1 offset0:64 offset1:96
	ds_load_2addr_b32 v[8:9], v1 offset0:128 offset1:160
	;; [unrolled: 1-line block ×3, first 2 shown]
	s_wait_dscnt 0x3
	v_pk_add_f32 v[46:47], v[46:47], v[4:5]
	s_wait_dscnt 0x2
	v_pk_add_f32 v[48:49], v[48:49], v[6:7]
	;; [unrolled: 2-line block ×4, first 2 shown]
.LBB116_71:
	s_or_b32 exec_lo, exec_lo, s0
	v_and_b32_e32 v3, 0x3e0, v0
	s_mov_b32 s0, exec_lo
	s_barrier_signal -1
	s_barrier_wait -1
	s_delay_alu instid0(VALU_DEP_1)
	v_cmpx_eq_u32_e32 32, v3
	s_cbranch_execz .LBB116_73
; %bb.72:
	ds_store_2addr_b32 v2, v46, v47 offset1:32
	ds_store_2addr_b32 v2, v48, v49 offset0:64 offset1:96
	ds_store_2addr_b32 v2, v44, v45 offset0:128 offset1:160
	;; [unrolled: 1-line block ×3, first 2 shown]
.LBB116_73:
	s_or_b32 exec_lo, exec_lo, s0
	v_cmp_gt_u32_e32 vcc_lo, 32, v0
	s_wait_dscnt 0x0
	s_barrier_signal -1
	s_barrier_wait -1
	s_and_saveexec_b32 s0, vcc_lo
	s_cbranch_execz .LBB116_75
; %bb.74:
	ds_load_2addr_b32 v[2:3], v1 offset1:32
	ds_load_2addr_b32 v[4:5], v1 offset0:64 offset1:96
	ds_load_2addr_b32 v[6:7], v1 offset0:128 offset1:160
	;; [unrolled: 1-line block ×3, first 2 shown]
	s_wait_dscnt 0x3
	v_pk_add_f32 v[46:47], v[46:47], v[2:3]
	s_wait_dscnt 0x2
	v_pk_add_f32 v[48:49], v[48:49], v[4:5]
	;; [unrolled: 2-line block ×4, first 2 shown]
.LBB116_75:
	s_or_b32 exec_lo, exec_lo, s0
	s_barrier_signal -1
	s_barrier_wait -1
	s_and_saveexec_b32 s0, vcc_lo
	s_cbranch_execz .LBB116_77
; %bb.76:
	s_mul_i32 s1, s30, s7
	s_mul_i32 s0, s7, s6
	;; [unrolled: 1-line block ×3, first 2 shown]
	s_bfe_u32 s7, ttmp6, 0x40014
	s_lshl_b32 s2, s1, 8
	s_lshr_b32 s6, ttmp7, 16
	s_ashr_i32 s3, s2, 31
	s_add_co_i32 s7, s7, 1
	s_lshl_b64 s[2:3], s[2:3], 1
	s_ashr_i32 s1, s0, 31
	s_wait_kmcnt 0x0
	s_add_nc_u64 s[2:3], s[4:5], s[2:3]
	s_mul_i32 s4, s6, s7
	s_bfe_u32 s5, ttmp6, 0x40008
	s_lshl_b64 s[0:1], s[0:1], 1
	s_add_co_i32 s5, s5, s4
	s_cmp_eq_u32 s28, 0
	s_add_nc_u64 s[0:1], s[2:3], s[0:1]
	s_cselect_b32 s2, s6, s5
	s_mov_b32 s3, 0
	s_lshl_b32 s2, s2, 9
	s_delay_alu instid0(SALU_CYCLE_1) | instskip(NEXT) | instid1(SALU_CYCLE_1)
	s_add_nc_u64 s[0:1], s[0:1], s[2:3]
	v_cvt_pk_bf16_f32 v1, v46, s0
	v_cvt_pk_bf16_f32 v2, v47, s0
	;; [unrolled: 1-line block ×8, first 2 shown]
	s_clause 0x7
	global_store_b16 v0, v1, s[0:1] scale_offset
	global_store_b16 v0, v2, s[0:1] offset:64 scale_offset
	global_store_b16 v0, v3, s[0:1] offset:128 scale_offset
	;; [unrolled: 1-line block ×7, first 2 shown]
.LBB116_77:
	s_sendmsg sendmsg(MSG_DEALLOC_VGPRS)
	s_endpgm
	.section	.rodata,"a",@progbits
	.p2align	6, 0x0
	.amdhsa_kernel _ZN4vllm25paged_attention_v1_kernelI14__hip_bfloat16S1_Li256ELi8ELi128ELNS_18Fp8KVCacheDataTypeE0ELb1EEEvPT_PKS3_PKT0_S9_ifPKiSB_iPKfiiiSD_SD_iiiii
		.amdhsa_group_segment_fixed_size 544
		.amdhsa_private_segment_fixed_size 0
		.amdhsa_kernarg_size 384
		.amdhsa_user_sgpr_count 2
		.amdhsa_user_sgpr_dispatch_ptr 0
		.amdhsa_user_sgpr_queue_ptr 0
		.amdhsa_user_sgpr_kernarg_segment_ptr 1
		.amdhsa_user_sgpr_dispatch_id 0
		.amdhsa_user_sgpr_kernarg_preload_length 0
		.amdhsa_user_sgpr_kernarg_preload_offset 0
		.amdhsa_user_sgpr_private_segment_size 0
		.amdhsa_wavefront_size32 1
		.amdhsa_uses_dynamic_stack 0
		.amdhsa_enable_private_segment 0
		.amdhsa_system_sgpr_workgroup_id_x 1
		.amdhsa_system_sgpr_workgroup_id_y 1
		.amdhsa_system_sgpr_workgroup_id_z 1
		.amdhsa_system_sgpr_workgroup_info 0
		.amdhsa_system_vgpr_workitem_id 0
		.amdhsa_next_free_vgpr 69
		.amdhsa_next_free_sgpr 40
		.amdhsa_named_barrier_count 0
		.amdhsa_reserve_vcc 1
		.amdhsa_float_round_mode_32 0
		.amdhsa_float_round_mode_16_64 0
		.amdhsa_float_denorm_mode_32 3
		.amdhsa_float_denorm_mode_16_64 3
		.amdhsa_fp16_overflow 0
		.amdhsa_memory_ordered 1
		.amdhsa_forward_progress 1
		.amdhsa_inst_pref_size 70
		.amdhsa_round_robin_scheduling 0
		.amdhsa_exception_fp_ieee_invalid_op 0
		.amdhsa_exception_fp_denorm_src 0
		.amdhsa_exception_fp_ieee_div_zero 0
		.amdhsa_exception_fp_ieee_overflow 0
		.amdhsa_exception_fp_ieee_underflow 0
		.amdhsa_exception_fp_ieee_inexact 0
		.amdhsa_exception_int_div_zero 0
	.end_amdhsa_kernel
	.section	.text._ZN4vllm25paged_attention_v1_kernelI14__hip_bfloat16S1_Li256ELi8ELi128ELNS_18Fp8KVCacheDataTypeE0ELb1EEEvPT_PKS3_PKT0_S9_ifPKiSB_iPKfiiiSD_SD_iiiii,"axG",@progbits,_ZN4vllm25paged_attention_v1_kernelI14__hip_bfloat16S1_Li256ELi8ELi128ELNS_18Fp8KVCacheDataTypeE0ELb1EEEvPT_PKS3_PKT0_S9_ifPKiSB_iPKfiiiSD_SD_iiiii,comdat
.Lfunc_end116:
	.size	_ZN4vllm25paged_attention_v1_kernelI14__hip_bfloat16S1_Li256ELi8ELi128ELNS_18Fp8KVCacheDataTypeE0ELb1EEEvPT_PKS3_PKT0_S9_ifPKiSB_iPKfiiiSD_SD_iiiii, .Lfunc_end116-_ZN4vllm25paged_attention_v1_kernelI14__hip_bfloat16S1_Li256ELi8ELi128ELNS_18Fp8KVCacheDataTypeE0ELb1EEEvPT_PKS3_PKT0_S9_ifPKiSB_iPKfiiiSD_SD_iiiii
                                        ; -- End function
	.set _ZN4vllm25paged_attention_v1_kernelI14__hip_bfloat16S1_Li256ELi8ELi128ELNS_18Fp8KVCacheDataTypeE0ELb1EEEvPT_PKS3_PKT0_S9_ifPKiSB_iPKfiiiSD_SD_iiiii.num_vgpr, 69
	.set _ZN4vllm25paged_attention_v1_kernelI14__hip_bfloat16S1_Li256ELi8ELi128ELNS_18Fp8KVCacheDataTypeE0ELb1EEEvPT_PKS3_PKT0_S9_ifPKiSB_iPKfiiiSD_SD_iiiii.num_agpr, 0
	.set _ZN4vllm25paged_attention_v1_kernelI14__hip_bfloat16S1_Li256ELi8ELi128ELNS_18Fp8KVCacheDataTypeE0ELb1EEEvPT_PKS3_PKT0_S9_ifPKiSB_iPKfiiiSD_SD_iiiii.numbered_sgpr, 40
	.set _ZN4vllm25paged_attention_v1_kernelI14__hip_bfloat16S1_Li256ELi8ELi128ELNS_18Fp8KVCacheDataTypeE0ELb1EEEvPT_PKS3_PKT0_S9_ifPKiSB_iPKfiiiSD_SD_iiiii.num_named_barrier, 0
	.set _ZN4vllm25paged_attention_v1_kernelI14__hip_bfloat16S1_Li256ELi8ELi128ELNS_18Fp8KVCacheDataTypeE0ELb1EEEvPT_PKS3_PKT0_S9_ifPKiSB_iPKfiiiSD_SD_iiiii.private_seg_size, 0
	.set _ZN4vllm25paged_attention_v1_kernelI14__hip_bfloat16S1_Li256ELi8ELi128ELNS_18Fp8KVCacheDataTypeE0ELb1EEEvPT_PKS3_PKT0_S9_ifPKiSB_iPKfiiiSD_SD_iiiii.uses_vcc, 1
	.set _ZN4vllm25paged_attention_v1_kernelI14__hip_bfloat16S1_Li256ELi8ELi128ELNS_18Fp8KVCacheDataTypeE0ELb1EEEvPT_PKS3_PKT0_S9_ifPKiSB_iPKfiiiSD_SD_iiiii.uses_flat_scratch, 0
	.set _ZN4vllm25paged_attention_v1_kernelI14__hip_bfloat16S1_Li256ELi8ELi128ELNS_18Fp8KVCacheDataTypeE0ELb1EEEvPT_PKS3_PKT0_S9_ifPKiSB_iPKfiiiSD_SD_iiiii.has_dyn_sized_stack, 0
	.set _ZN4vllm25paged_attention_v1_kernelI14__hip_bfloat16S1_Li256ELi8ELi128ELNS_18Fp8KVCacheDataTypeE0ELb1EEEvPT_PKS3_PKT0_S9_ifPKiSB_iPKfiiiSD_SD_iiiii.has_recursion, 0
	.set _ZN4vllm25paged_attention_v1_kernelI14__hip_bfloat16S1_Li256ELi8ELi128ELNS_18Fp8KVCacheDataTypeE0ELb1EEEvPT_PKS3_PKT0_S9_ifPKiSB_iPKfiiiSD_SD_iiiii.has_indirect_call, 0
	.section	.AMDGPU.csdata,"",@progbits
; Kernel info:
; codeLenInByte = 8920
; TotalNumSgprs: 42
; NumVgprs: 69
; ScratchSize: 0
; MemoryBound: 0
; FloatMode: 240
; IeeeMode: 1
; LDSByteSize: 544 bytes/workgroup (compile time only)
; SGPRBlocks: 0
; VGPRBlocks: 4
; NumSGPRsForWavesPerEU: 42
; NumVGPRsForWavesPerEU: 69
; NamedBarCnt: 0
; Occupancy: 12
; WaveLimiterHint : 1
; COMPUTE_PGM_RSRC2:SCRATCH_EN: 0
; COMPUTE_PGM_RSRC2:USER_SGPR: 2
; COMPUTE_PGM_RSRC2:TRAP_HANDLER: 0
; COMPUTE_PGM_RSRC2:TGID_X_EN: 1
; COMPUTE_PGM_RSRC2:TGID_Y_EN: 1
; COMPUTE_PGM_RSRC2:TGID_Z_EN: 1
; COMPUTE_PGM_RSRC2:TIDIG_COMP_CNT: 0
	.section	.text._ZN4vllm25paged_attention_v1_kernelI14__hip_bfloat16S1_Li32ELi8ELi128ELNS_18Fp8KVCacheDataTypeE0ELb0EEEvPT_PKS3_PKT0_S9_ifPKiSB_iPKfiiiSD_SD_iiiii,"axG",@progbits,_ZN4vllm25paged_attention_v1_kernelI14__hip_bfloat16S1_Li32ELi8ELi128ELNS_18Fp8KVCacheDataTypeE0ELb0EEEvPT_PKS3_PKT0_S9_ifPKiSB_iPKfiiiSD_SD_iiiii,comdat
	.protected	_ZN4vllm25paged_attention_v1_kernelI14__hip_bfloat16S1_Li32ELi8ELi128ELNS_18Fp8KVCacheDataTypeE0ELb0EEEvPT_PKS3_PKT0_S9_ifPKiSB_iPKfiiiSD_SD_iiiii ; -- Begin function _ZN4vllm25paged_attention_v1_kernelI14__hip_bfloat16S1_Li32ELi8ELi128ELNS_18Fp8KVCacheDataTypeE0ELb0EEEvPT_PKS3_PKT0_S9_ifPKiSB_iPKfiiiSD_SD_iiiii
	.globl	_ZN4vllm25paged_attention_v1_kernelI14__hip_bfloat16S1_Li32ELi8ELi128ELNS_18Fp8KVCacheDataTypeE0ELb0EEEvPT_PKS3_PKT0_S9_ifPKiSB_iPKfiiiSD_SD_iiiii
	.p2align	8
	.type	_ZN4vllm25paged_attention_v1_kernelI14__hip_bfloat16S1_Li32ELi8ELi128ELNS_18Fp8KVCacheDataTypeE0ELb0EEEvPT_PKS3_PKT0_S9_ifPKiSB_iPKfiiiSD_SD_iiiii,@function
_ZN4vllm25paged_attention_v1_kernelI14__hip_bfloat16S1_Li32ELi8ELi128ELNS_18Fp8KVCacheDataTypeE0ELb0EEEvPT_PKS3_PKT0_S9_ifPKiSB_iPKfiiiSD_SD_iiiii: ; @_ZN4vllm25paged_attention_v1_kernelI14__hip_bfloat16S1_Li32ELi8ELi128ELNS_18Fp8KVCacheDataTypeE0ELb0EEEvPT_PKS3_PKT0_S9_ifPKiSB_iPKfiiiSD_SD_iiiii
; %bb.0:
	s_load_b64 s[6:7], s[0:1], 0x20
	s_bfe_u32 s3, ttmp6, 0x4000c
	s_bfe_u32 s5, ttmp6, 0x40010
	s_and_b32 s4, ttmp7, 0xffff
	s_add_co_i32 s3, s3, 1
	s_add_co_i32 s5, s5, 1
	s_and_b32 s2, ttmp6, 15
	s_bfe_u32 s8, ttmp6, 0x40004
	s_mul_i32 s3, ttmp9, s3
	s_mul_i32 s5, s4, s5
	s_getreg_b32 s18, hwreg(HW_REG_IB_STS2, 6, 4)
	s_add_co_i32 s2, s2, s3
	s_add_co_i32 s8, s8, s5
	s_cmp_eq_u32 s18, 0
	s_clause 0x1
	s_load_b32 s19, s[0:1], 0x80
	s_load_b64 s[10:11], s[0:1], 0x30
	s_cselect_b32 s20, s4, s8
	s_cselect_b32 s8, ttmp9, s2
	s_wait_kmcnt 0x0
	s_abs_i32 s2, s6
	s_delay_alu instid0(SALU_CYCLE_1) | instskip(SKIP_1) | instid1(SALU_CYCLE_2)
	s_cvt_f32_u32 s3, s2
	s_sub_co_i32 s4, 0, s2
	v_rcp_iflag_f32_e32 v1, s3
	s_abs_i32 s5, s19
	v_nop
	s_delay_alu instid0(TRANS32_DEP_1) | instskip(SKIP_1) | instid1(SALU_CYCLE_3)
	v_readfirstlane_b32 s3, v1
	s_mul_f32 s3, s3, 0x4f7ffffe
	s_cvt_u32_f32 s3, s3
	s_delay_alu instid0(SALU_CYCLE_3) | instskip(NEXT) | instid1(SALU_CYCLE_1)
	s_mul_i32 s4, s4, s3
	s_mul_hi_u32 s4, s3, s4
	s_delay_alu instid0(SALU_CYCLE_1) | instskip(SKIP_4) | instid1(SALU_CYCLE_1)
	s_add_co_i32 s3, s3, s4
	s_xor_b32 s4, s19, s6
	s_mul_hi_u32 s3, s5, s3
	s_ashr_i32 s4, s4, 31
	s_mul_i32 s6, s3, s2
	s_sub_co_i32 s5, s5, s6
	s_add_co_i32 s6, s3, 1
	s_sub_co_i32 s9, s5, s2
	s_cmp_ge_u32 s5, s2
	s_cselect_b32 s3, s6, s3
	s_cselect_b32 s5, s9, s5
	s_add_co_i32 s6, s3, 1
	s_cmp_ge_u32 s5, s2
	s_cselect_b32 s2, s6, s3
	s_mov_b32 s3, 0
	s_xor_b32 s2, s2, s4
	s_mov_b32 s13, s3
	s_sub_co_i32 s15, s2, s4
	s_load_b64 s[4:5], s[0:1], 0x40
	s_abs_i32 s14, s15
	s_mov_b32 s23, s3
	s_cvt_f32_u32 s2, s14
	s_delay_alu instid0(SALU_CYCLE_3) | instskip(SKIP_1) | instid1(TRANS32_DEP_1)
	v_rcp_iflag_f32_e32 v1, s2
	v_nop
	v_readfirstlane_b32 s2, v1
	s_mul_f32 s2, s2, 0x4f7ffffe
	s_delay_alu instid0(SALU_CYCLE_3) | instskip(SKIP_1) | instid1(SALU_CYCLE_2)
	s_cvt_u32_f32 s6, s2
	s_sub_co_i32 s2, 0, s14
	s_mul_i32 s2, s2, s6
	s_delay_alu instid0(SALU_CYCLE_1)
	s_mul_hi_u32 s9, s6, s2
	s_abs_i32 s2, s8
	s_add_co_i32 s12, s6, s9
	s_wait_kmcnt 0x0
	s_cmp_eq_u64 s[4:5], 0
	s_cbranch_scc1 .LBB117_2
; %bb.1:
	s_ashr_i32 s9, s8, 31
	s_delay_alu instid0(SALU_CYCLE_1) | instskip(NEXT) | instid1(SALU_CYCLE_1)
	s_lshl_b64 s[16:17], s[8:9], 2
	s_add_nc_u64 s[4:5], s[4:5], s[16:17]
	s_load_b32 s23, s[4:5], 0x0
.LBB117_2:
	s_load_b32 s21, s[10:11], s20 offset:0x0 scale_offset
	s_wait_xcnt 0x0
	s_load_b96 s[4:6], s[0:1], 0x48
	v_and_b32_e32 v6, 3, v0
	s_ashr_i32 s16, s8, 31
	s_ashr_i32 s15, s15, 31
	s_mul_u64 s[10:11], s[2:3], s[12:13]
	s_lshl_b32 s8, s8, 5
	s_mov_b32 s3, exec_lo
	v_cmpx_gt_u32_e32 16, v0
	s_cbranch_execz .LBB117_4
; %bb.3:
	s_load_b64 s[12:13], s[0:1], 0x8
	s_wait_kmcnt 0x0
	s_mul_i32 s24, s4, s20
	s_ashr_i32 s9, s8, 31
	s_ashr_i32 s25, s24, 31
	v_and_b32_e32 v2, 0x3fc, v0
	s_lshl_b64 s[24:25], s[24:25], 1
	s_delay_alu instid0(VALU_DEP_1) | instskip(SKIP_2) | instid1(SALU_CYCLE_1)
	v_lshl_add_u32 v2, v6, 4, v2
	s_add_nc_u64 s[12:13], s[12:13], s[24:25]
	s_lshl_b64 s[24:25], s[8:9], 1
	s_add_nc_u64 s[12:13], s[12:13], s[24:25]
	global_load_b32 v1, v0, s[12:13] scale_offset
	s_wait_loadcnt 0x0
	ds_store_b32 v2, v1
.LBB117_4:
	s_or_b32 exec_lo, exec_lo, s3
	s_wait_kmcnt 0x0
	s_add_co_i32 s3, s21, 7
	s_load_b32 s4, s[0:1], 0x38
	s_ashr_i32 s9, s3, 31
	s_mul_i32 s12, s11, s14
	s_lshr_b32 s9, s9, 29
	s_sub_co_i32 s2, s2, s12
	s_add_co_i32 s3, s3, s9
	s_xor_b32 s10, s16, s15
	s_ashr_i32 s22, s3, 3
	s_add_co_i32 s3, s11, 1
	s_sub_co_i32 s9, s2, s14
	s_cmp_ge_u32 s2, s14
	v_lshrrev_b32_e32 v1, 5, v0
	s_cselect_b32 s3, s3, s11
	s_cselect_b32 s2, s9, s2
	s_add_co_i32 s9, s3, 1
	s_cmp_ge_u32 s2, s14
	v_mbcnt_lo_u32_b32 v9, -1, 0
	s_cselect_b32 s2, s9, s3
	s_wait_dscnt 0x0
	s_xor_b32 s2, s2, s10
	s_barrier_signal -1
	s_sub_co_i32 s3, s2, s10
	v_cmp_gt_i32_e64 s2, s22, v1
	s_wait_kmcnt 0x0
	s_mul_i32 s10, s4, s20
	s_mov_b32 s4, exec_lo
	s_ashr_i32 s11, s10, 31
	s_barrier_wait -1
                                        ; implicit-def: $vgpr3
                                        ; implicit-def: $vgpr10
	v_cmpx_le_i32_e64 s22, v1
	s_xor_b32 s4, exec_lo, s4
; %bb.5:
	v_dual_mov_b32 v3, 0 :: v_dual_mov_b32 v10, 32
	v_mbcnt_lo_u32_b32 v9, -1, 0
                                        ; implicit-def: $vgpr6
; %bb.6:
	s_or_saveexec_b32 s24, s4
	s_clause 0x1
	s_load_b64 s[12:13], s[0:1], 0x28
	s_load_b32 s9, s[0:1], 0x88
	v_dual_mov_b32 v11, 0xff7fffff :: v_dual_lshrrev_b32 v8, 3, v0
	s_mul_i32 s14, s3, s6
	s_xor_b32 exec_lo, exec_lo, s24
	s_cbranch_execz .LBB117_12
; %bb.7:
	s_load_b64 s[26:27], s[0:1], 0x10
	v_dual_mov_b32 v3, 0 :: v_dual_lshlrev_b32 v2, 4, v6
	v_bfe_u32 v7, v0, 2, 3
	v_xor_b32_e32 v4, 2, v9
	s_ashr_i32 s15, s14, 31
	ds_load_b128 v[16:19], v2
	s_lshl_b64 s[28:29], s[14:15], 1
	v_lshlrev_b32_e32 v2, 4, v7
	v_cmp_gt_i32_e32 vcc_lo, 32, v4
	v_dual_lshlrev_b32 v11, 2, v0 :: v_dual_bitop2_b32 v5, 1, v9 bitop3:0x14
	v_mov_b32_e32 v10, 32
	s_ashr_i32 s17, s5, 31
	v_cndmask_b32_e32 v20, v9, v4, vcc_lo
	s_delay_alu instid0(VALU_DEP_3)
	v_cmp_gt_i32_e32 vcc_lo, 32, v5
	s_cmp_neq_f32 s23, 0
	v_lshl_or_b32 v22, v1, 3, v7
	s_mov_b32 s16, s5
	s_mov_b32 s6, 0
	s_wait_kmcnt 0x0
	s_add_nc_u64 s[26:27], s[26:27], s[28:29]
	v_cndmask_b32_e32 v21, v9, v5, vcc_lo
	v_add_nc_u64_e32 v[4:5], s[26:27], v[2:3]
	v_and_b32_e32 v2, 12, v11
	v_cmp_eq_u32_e32 vcc_lo, 0, v6
	s_cselect_b32 s3, -1, 0
	s_lshl_b64 s[26:27], s[10:11], 2
	s_wait_dscnt 0x0
	v_dual_lshlrev_b32 v12, 16, v16 :: v_dual_lshlrev_b32 v14, 16, v17
	v_add_nc_u64_e32 v[4:5], v[4:5], v[2:3]
	v_dual_lshlrev_b32 v2, 2, v7 :: v_dual_lshlrev_b32 v20, 2, v20
	s_add_nc_u64 s[26:27], s[12:13], s[26:27]
	v_and_b32_e32 v13, 0xffff0000, v16
	v_and_b32_e32 v15, 0xffff0000, v17
	s_delay_alu instid0(VALU_DEP_3)
	v_lshl_or_b32 v6, v1, 5, v2
	v_and_b32_e32 v2, 0x7c, v8
	v_lshlrev_b32_e32 v16, 16, v18
	v_and_b32_e32 v17, 0xffff0000, v18
	v_lshlrev_b32_e32 v18, 16, v19
	v_add_nc_u32_e32 v23, 0x60, v6
	v_add_nc_u64_e32 v[6:7], s[26:27], v[2:3]
	v_and_b32_e32 v19, 0xffff0000, v19
	v_dual_mov_b32 v2, v1 :: v_dual_lshlrev_b32 v21, 2, v21
	v_mov_b32_e32 v11, 0xff7fffff
	s_sub_co_i32 s15, 1, s21
	s_branch .LBB117_9
.LBB117_8:                              ;   in Loop: Header=BB117_9 Depth=1
	s_or_b32 exec_lo, exec_lo, s25
	v_add_nc_u32_e32 v2, 4, v2
	v_add_nc_u64_e32 v[6:7], 16, v[6:7]
	v_add_nc_u32_e32 v22, 32, v22
	v_add_nc_u32_e32 v23, 0x80, v23
	s_delay_alu instid0(VALU_DEP_4) | instskip(SKIP_1) | instid1(SALU_CYCLE_1)
	v_cmp_le_i32_e64 s4, s22, v2
	s_or_b32 s6, s4, s6
	s_and_not1_b32 exec_lo, exec_lo, s6
	s_cbranch_execz .LBB117_11
.LBB117_9:                              ; =>This Inner Loop Header: Depth=1
	global_load_b32 v24, v[6:7], off
	s_wait_loadcnt_dscnt 0x0
	v_ashrrev_i32_e32 v25, 31, v24
	s_delay_alu instid0(VALU_DEP_1) | instskip(NEXT) | instid1(VALU_DEP_1)
	v_mul_u64_e32 v[24:25], s[16:17], v[24:25]
	v_lshl_add_u64 v[24:25], v[24:25], 1, v[4:5]
	s_clause 0x3
	global_load_b32 v26, v[24:25], off offset:128
	global_load_b32 v27, v[24:25], off
	global_load_b32 v28, v[24:25], off offset:256
	global_load_b32 v29, v[24:25], off offset:384
	s_wait_loadcnt 0x3
	s_wait_xcnt 0x0
	v_lshlrev_b32_e32 v24, 16, v26
	v_and_b32_e32 v25, 0xffff0000, v26
	s_delay_alu instid0(VALU_DEP_1) | instskip(SKIP_1) | instid1(VALU_DEP_1)
	v_dual_mul_f32 v24, v14, v24 :: v_dual_mul_f32 v25, v15, v25
	s_wait_loadcnt 0x2
	v_fma_mix_f32_bf16 v24, v12, v27, v24 op_sel_hi:[0,1,0]
	s_delay_alu instid0(VALU_DEP_2) | instskip(SKIP_1) | instid1(VALU_DEP_2)
	v_fma_mix_f32_bf16 v25, v13, v27, v25 op_sel:[0,1,0] op_sel_hi:[0,1,0]
	s_wait_loadcnt 0x1
	v_fma_mix_f32_bf16 v24, v16, v28, v24 op_sel_hi:[0,1,0]
	s_delay_alu instid0(VALU_DEP_2) | instskip(SKIP_1) | instid1(VALU_DEP_2)
	v_fma_mix_f32_bf16 v25, v17, v28, v25 op_sel:[0,1,0] op_sel_hi:[0,1,0]
	s_wait_loadcnt 0x0
	v_fma_mix_f32_bf16 v24, v18, v29, v24 op_sel_hi:[0,1,0]
	s_delay_alu instid0(VALU_DEP_2) | instskip(NEXT) | instid1(VALU_DEP_1)
	v_fma_mix_f32_bf16 v25, v19, v29, v25 op_sel:[0,1,0] op_sel_hi:[0,1,0]
	v_add_f32_e32 v24, v24, v25
	ds_bpermute_b32 v25, v20, v24
	s_wait_dscnt 0x0
	v_add_f32_e32 v24, v24, v25
	ds_bpermute_b32 v25, v21, v24
	s_and_saveexec_b32 s25, vcc_lo
	s_cbranch_execz .LBB117_8
; %bb.10:                               ;   in Loop: Header=BB117_9 Depth=1
	s_wait_dscnt 0x0
	v_dual_add_nc_u32 v26, s15, v22 :: v_dual_add_f32 v24, v24, v25
	v_cmp_gt_i32_e64 s4, s21, v22
	s_delay_alu instid0(VALU_DEP_2) | instskip(NEXT) | instid1(VALU_DEP_1)
	v_cvt_f32_i32_e32 v26, v26
	v_mul_f32_e32 v26, s23, v26
	s_delay_alu instid0(VALU_DEP_1) | instskip(NEXT) | instid1(VALU_DEP_1)
	v_dual_cndmask_b32 v25, 0, v26, s3 :: v_dual_max_num_f32 v26, v11, v11
	v_fmac_f32_e32 v25, s7, v24
	s_delay_alu instid0(VALU_DEP_1) | instskip(NEXT) | instid1(VALU_DEP_1)
	v_dual_max_num_f32 v24, v26, v25 :: v_dual_cndmask_b32 v25, 0, v25, s4
	v_cndmask_b32_e64 v11, v11, v24, s4
	ds_store_b32 v23, v25
	s_branch .LBB117_8
.LBB117_11:
	s_or_b32 exec_lo, exec_lo, s6
.LBB117_12:
	s_delay_alu instid0(SALU_CYCLE_1)
	s_or_b32 exec_lo, exec_lo, s24
	v_dual_max_num_f32 v6, v11, v11 :: v_dual_bitop2_b32 v2, 16, v9 bitop3:0x14
	s_clause 0x1
	s_load_b64 s[6:7], s[0:1], 0x0
	s_load_b64 s[16:17], s[0:1], 0x18
	v_and_b32_e32 v20, 31, v0
	v_xor_b32_e32 v5, 8, v9
	v_cmp_lt_i32_e32 vcc_lo, v2, v10
	v_cndmask_b32_e32 v2, v9, v2, vcc_lo
	s_delay_alu instid0(VALU_DEP_3) | instskip(NEXT) | instid1(VALU_DEP_2)
	v_cmp_lt_i32_e32 vcc_lo, v5, v10
	v_dual_cndmask_b32 v5, v9, v5 :: v_dual_lshlrev_b32 v2, 2, v2
	ds_bpermute_b32 v4, v2, v11
	s_wait_dscnt 0x0
	v_dual_max_num_f32 v7, v4, v4 :: v_dual_lshlrev_b32 v4, 2, v5
	s_delay_alu instid0(VALU_DEP_1) | instskip(SKIP_4) | instid1(VALU_DEP_1)
	v_dual_max_num_f32 v5, v6, v7 :: v_dual_bitop2_b32 v7, 4, v9 bitop3:0x14
	ds_bpermute_b32 v6, v4, v5
	v_cmp_lt_i32_e32 vcc_lo, v7, v10
	v_cndmask_b32_e32 v7, v9, v7, vcc_lo
	s_wait_dscnt 0x0
	v_dual_max_num_f32 v6, v6, v6 :: v_dual_lshlrev_b32 v7, 2, v7
	s_delay_alu instid0(VALU_DEP_1)
	v_dual_max_num_f32 v6, v5, v6 :: v_dual_lshlrev_b32 v5, 2, v1
	v_cmp_eq_u32_e32 vcc_lo, 0, v20
	ds_bpermute_b32 v11, v7, v6
	s_wait_xcnt 0x0
	s_and_saveexec_b32 s0, vcc_lo
	s_cbranch_execz .LBB117_14
; %bb.13:
	s_wait_dscnt 0x0
	v_dual_max_num_f32 v11, v11, v11 :: v_dual_max_num_f32 v6, v6, v6
	s_delay_alu instid0(VALU_DEP_1)
	v_max_num_f32_e32 v6, v6, v11
	ds_store_b32 v5, v6 offset:64
.LBB117_14:
	s_or_b32 exec_lo, exec_lo, s0
	v_cmp_gt_u32_e64 s0, 4, v20
	v_mov_b32_e32 v12, 0xff7fffff
	v_lshlrev_b32_e32 v6, 2, v20
	s_wait_dscnt 0x0
	s_barrier_signal -1
	s_barrier_wait -1
	s_and_saveexec_b32 s1, s0
; %bb.15:
	ds_load_b32 v12, v6 offset:64
; %bb.16:
	s_or_b32 exec_lo, exec_lo, s1
	v_xor_b32_e32 v11, 2, v9
	v_dual_lshlrev_b32 v3, 2, v3 :: v_dual_bitop2_b32 v14, 1, v9 bitop3:0x14
	s_delay_alu instid0(VALU_DEP_2) | instskip(NEXT) | instid1(VALU_DEP_1)
	v_cmp_lt_i32_e64 s1, v11, v10
	v_cndmask_b32_e64 v11, v9, v11, s1
	s_delay_alu instid0(VALU_DEP_3) | instskip(NEXT) | instid1(VALU_DEP_1)
	v_cmp_lt_i32_e64 s1, v14, v10
	v_dual_lshlrev_b32 v11, 2, v11 :: v_dual_cndmask_b32 v10, v9, v14, s1
	s_lshl_b32 s1, s22, 3
	s_delay_alu instid0(SALU_CYCLE_1)
	s_min_i32 s4, s1, s21
	s_wait_dscnt 0x0
	ds_bpermute_b32 v13, v11, v12
	v_dual_max_num_f32 v12, v12, v12 :: v_dual_lshlrev_b32 v10, 2, v10
	v_cmp_gt_i32_e64 s1, s4, v0
	s_wait_dscnt 0x0
	v_max_num_f32_e32 v13, v13, v13
	s_delay_alu instid0(VALU_DEP_1) | instskip(SKIP_3) | instid1(VALU_DEP_1)
	v_max_num_f32_e32 v12, v12, v13
	ds_bpermute_b32 v13, v10, v12
	s_wait_dscnt 0x0
	v_max_num_f32_e32 v13, v13, v13
	v_max_num_f32_e32 v12, v12, v13
	ds_bpermute_b32 v12, v3, v12
	v_mov_b32_e32 v3, 0
	s_and_saveexec_b32 s15, s1
	s_cbranch_execz .LBB117_20
; %bb.17:
	v_lshl_add_u32 v13, v0, 2, 0x60
	v_dual_mov_b32 v3, 0 :: v_dual_mov_b32 v14, v0
	s_mov_b32 s23, 0
.LBB117_18:                             ; =>This Inner Loop Header: Depth=1
	ds_load_b32 v15, v13
	v_add_nc_u32_e32 v14, 0x80, v14
	s_delay_alu instid0(VALU_DEP_1) | instskip(SKIP_3) | instid1(VALU_DEP_1)
	v_cmp_le_i32_e64 s3, s4, v14
	s_or_b32 s23, s3, s23
	s_wait_dscnt 0x0
	v_sub_f32_e32 v15, v15, v12
	v_mul_f32_e32 v15, 0x3fb8aa3b, v15
	s_delay_alu instid0(VALU_DEP_1)
	v_exp_f32_e32 v15, v15
	ds_store_b32 v13, v15
	v_nop
	v_add_f32_e32 v3, v3, v15
	v_add_nc_u32_e32 v13, 0x200, v13
	s_and_not1_b32 exec_lo, exec_lo, s23
	s_cbranch_execnz .LBB117_18
; %bb.19:
	s_or_b32 exec_lo, exec_lo, s23
.LBB117_20:
	s_delay_alu instid0(SALU_CYCLE_1)
	s_or_b32 exec_lo, exec_lo, s15
	ds_bpermute_b32 v2, v2, v3
	s_wait_dscnt 0x0
	v_add_f32_e32 v2, v3, v2
	ds_bpermute_b32 v3, v4, v2
	s_wait_dscnt 0x0
	v_add_f32_e32 v2, v2, v3
	;; [unrolled: 3-line block ×5, first 2 shown]
	s_and_saveexec_b32 s3, vcc_lo
; %bb.21:
	ds_store_b32 v5, v2 offset:80
; %bb.22:
	s_or_b32 exec_lo, exec_lo, s3
	s_wait_dscnt 0x0
	s_barrier_signal -1
	s_barrier_wait -1
	s_and_saveexec_b32 s3, s0
; %bb.23:
	ds_load_b32 v2, v6 offset:80
; %bb.24:
	s_or_b32 exec_lo, exec_lo, s3
	s_wait_dscnt 0x0
	ds_bpermute_b32 v3, v11, v2
	s_wait_dscnt 0x0
	v_dual_lshlrev_b32 v4, 2, v9 :: v_dual_add_f32 v2, v2, v3
	ds_bpermute_b32 v3, v10, v2
	s_wait_dscnt 0x0
	v_add_f32_e32 v2, v2, v3
	v_and_b32_e32 v3, 0xffffff80, v4
	ds_bpermute_b32 v2, v3, v2
	s_and_saveexec_b32 s0, s1
	s_cbranch_execz .LBB117_37
; %bb.25:
	s_wait_dscnt 0x0
	v_add_f32_e32 v2, 0x358637bd, v2
	s_mov_b32 s3, -1
	s_mov_b32 s1, exec_lo
	s_delay_alu instid0(VALU_DEP_1) | instskip(NEXT) | instid1(VALU_DEP_1)
	v_div_scale_f32 v3, null, v2, v2, 1.0
	v_rcp_f32_e32 v5, v3
	v_nop
	s_delay_alu instid0(TRANS32_DEP_1) | instskip(NEXT) | instid1(VALU_DEP_1)
	v_fma_f32 v4, -v3, v5, 1.0
	v_fmac_f32_e32 v5, v4, v5
	v_div_scale_f32 v6, vcc_lo, 1.0, v2, 1.0
	s_delay_alu instid0(VALU_DEP_1) | instskip(NEXT) | instid1(VALU_DEP_1)
	v_mul_f32_e32 v7, v6, v5
	v_fma_f32 v4, -v3, v7, v6
	s_delay_alu instid0(VALU_DEP_1) | instskip(SKIP_1) | instid1(VALU_DEP_2)
	v_fmac_f32_e32 v7, v4, v5
	v_xad_u32 v4, v0, -1, s4
	v_fma_f32 v3, -v3, v7, v6
	s_delay_alu instid0(VALU_DEP_1) | instskip(NEXT) | instid1(VALU_DEP_1)
	v_div_fmas_f32 v3, v3, v5, v7
	v_div_fixup_f32 v2, v3, v2, 1.0
	v_mov_b32_e32 v3, v0
	v_cmpx_lt_u32_e32 0x7f, v4
	s_cbranch_execz .LBB117_34
; %bb.26:
	s_delay_alu instid0(VALU_DEP_3) | instskip(NEXT) | instid1(VALU_DEP_1)
	v_dual_mov_b32 v3, v2 :: v_dual_lshrrev_b32 v4, 7, v4
	v_dual_mov_b32 v9, 0 :: v_dual_add_nc_u32 v5, -1, v4
	s_delay_alu instid0(VALU_DEP_1) | instskip(SKIP_1) | instid1(VALU_DEP_2)
	v_lshrrev_b32_e32 v6, 1, v5
	v_cmp_lt_u32_e32 vcc_lo, 13, v5
	v_add_nc_u32_e32 v5, 1, v6
	s_and_saveexec_b32 s3, vcc_lo
	s_cbranch_execz .LBB117_30
; %bb.27:
	s_delay_alu instid0(VALU_DEP_1)
	v_and_b32_e32 v6, -8, v5
	v_lshl_add_u32 v7, v0, 2, 0x60
	s_mov_b32 s15, 0
	s_mov_b32 s23, 0
.LBB117_28:                             ; =>This Inner Loop Header: Depth=1
	ds_load_2addr_stride64_b32 v[10:11], v7 offset1:2
	ds_load_2addr_stride64_b32 v[12:13], v7 offset0:4 offset1:6
	ds_load_2addr_stride64_b32 v[14:15], v7 offset0:8 offset1:10
	;; [unrolled: 1-line block ×7, first 2 shown]
	s_add_co_i32 s23, s23, 16
	s_delay_alu instid0(SALU_CYCLE_1) | instskip(NEXT) | instid1(VALU_DEP_1)
	v_dual_mov_b32 v9, s23 :: v_dual_add_nc_u32 v6, -8, v6
	v_cmp_eq_u32_e32 vcc_lo, 0, v6
	s_or_b32 s15, vcc_lo, s15
	s_wait_dscnt 0x7
	v_pk_mul_f32 v[10:11], v[2:3], v[10:11]
	s_wait_dscnt 0x6
	v_pk_mul_f32 v[12:13], v[2:3], v[12:13]
	;; [unrolled: 2-line block ×8, first 2 shown]
	ds_store_2addr_stride64_b32 v7, v10, v11 offset1:2
	ds_store_2addr_stride64_b32 v7, v12, v13 offset0:4 offset1:6
	ds_store_2addr_stride64_b32 v7, v14, v15 offset0:8 offset1:10
	;; [unrolled: 1-line block ×7, first 2 shown]
	v_add_nc_u32_e32 v7, 0x2000, v7
	s_and_not1_b32 exec_lo, exec_lo, s15
	s_cbranch_execnz .LBB117_28
; %bb.29:
	s_or_b32 exec_lo, exec_lo, s15
.LBB117_30:
	s_delay_alu instid0(SALU_CYCLE_1) | instskip(NEXT) | instid1(VALU_DEP_1)
	s_or_b32 exec_lo, exec_lo, s3
	v_and_b32_e32 v5, 7, v5
	s_mov_b32 s15, 0
	s_mov_b32 s3, exec_lo
	s_delay_alu instid0(VALU_DEP_1)
	v_cmpx_ne_u32_e32 0, v5
	s_cbranch_execz .LBB117_33
; %bb.31:
	v_dual_lshlrev_b32 v6, 9, v9 :: v_dual_lshlrev_b32 v7, 2, v0
	s_delay_alu instid0(VALU_DEP_1)
	v_add3_u32 v6, v6, v7, 0x60
.LBB117_32:                             ; =>This Inner Loop Header: Depth=1
	ds_load_2addr_stride64_b32 v[10:11], v6 offset1:2
	v_add_nc_u32_e32 v5, -1, v5
	s_delay_alu instid0(VALU_DEP_1)
	v_cmp_eq_u32_e32 vcc_lo, 0, v5
	s_or_b32 s15, vcc_lo, s15
	s_wait_dscnt 0x0
	v_pk_mul_f32 v[10:11], v[2:3], v[10:11]
	ds_store_2addr_stride64_b32 v6, v10, v11 offset1:2
	v_add_nc_u32_e32 v6, 0x400, v6
	s_and_not1_b32 exec_lo, exec_lo, s15
	s_cbranch_execnz .LBB117_32
.LBB117_33:
	s_or_b32 exec_lo, exec_lo, s3
	v_add_nc_u32_e32 v3, 1, v4
	s_delay_alu instid0(VALU_DEP_1) | instskip(NEXT) | instid1(VALU_DEP_1)
	v_and_b32_e32 v4, 0x3fffffe, v3
	v_cmp_ne_u32_e32 vcc_lo, v3, v4
	v_lshl_add_u32 v3, v4, 7, v0
	s_or_not1_b32 s3, vcc_lo, exec_lo
.LBB117_34:
	s_or_b32 exec_lo, exec_lo, s1
	s_delay_alu instid0(SALU_CYCLE_1)
	s_and_b32 exec_lo, exec_lo, s3
	s_cbranch_execz .LBB117_37
; %bb.35:
	v_lshl_add_u32 v4, v3, 2, 0x60
	s_mov_b32 s1, 0
.LBB117_36:                             ; =>This Inner Loop Header: Depth=1
	ds_load_b32 v5, v4
	v_add_nc_u32_e32 v3, 0x80, v3
	s_delay_alu instid0(VALU_DEP_1)
	v_cmp_le_i32_e32 vcc_lo, s4, v3
	s_or_b32 s1, vcc_lo, s1
	s_wait_dscnt 0x0
	v_mul_f32_e32 v5, v2, v5
	ds_store_b32 v4, v5
	v_add_nc_u32_e32 v4, 0x200, v4
	s_and_not1_b32 exec_lo, exec_lo, s1
	s_cbranch_execnz .LBB117_36
.LBB117_37:
	s_or_b32 exec_lo, exec_lo, s0
	v_mov_b32_e32 v15, 0
	s_wait_dscnt 0x0
	s_barrier_signal -1
	s_barrier_wait -1
	s_and_saveexec_b32 s3, s2
	s_cbranch_execz .LBB117_43
; %bb.38:
	s_ashr_i32 s15, s14, 31
	v_dual_mov_b32 v15, 0 :: v_dual_lshlrev_b32 v14, 4, v20
	s_lshl_b64 s[0:1], s[14:15], 1
	s_lshl_b64 s[10:11], s[10:11], 2
	s_wait_kmcnt 0x0
	s_add_nc_u64 s[14:15], s[16:17], s[0:1]
	s_ashr_i32 s1, s5, 31
	v_add_nc_u64_e32 v[16:17], s[14:15], v[14:15]
	v_and_b32_e32 v14, 0x7c, v8
	s_mov_b32 s0, s5
	s_add_nc_u64 s[4:5], s[12:13], s[10:11]
	v_dual_mov_b32 v22, v1 :: v_dual_lshlrev_b32 v21, 3, v1
	s_delay_alu instid0(VALU_DEP_2)
	v_add_nc_u64_e32 v[18:19], s[4:5], v[14:15]
	v_lshl_add_u32 v14, v1, 5, 0x60
	s_add_co_i32 s2, s22, -1
	s_mov_b32 s5, s21
	s_mov_b32 s4, 0
	s_branch .LBB117_40
.LBB117_39:                             ;   in Loop: Header=BB117_40 Depth=1
	s_or_b32 exec_lo, exec_lo, s10
	s_wait_dscnt 0x1
	v_cvt_pk_bf16_f32 v10, v10, v11
	v_cvt_pk_bf16_f32 v11, v12, v13
	s_wait_dscnt 0x0
	v_cvt_pk_bf16_f32 v6, v6, v7
	v_cvt_pk_bf16_f32 v7, v8, v9
	v_add_nc_u32_e32 v22, 4, v22
	s_wait_loadcnt 0x0
	v_pk_mul_bf16 v2, v10, v2
	v_pk_mul_bf16 v8, v11, v3
	;; [unrolled: 1-line block ×4, first 2 shown]
	v_cmp_le_i32_e32 vcc_lo, s22, v22
	v_and_b32_e32 v3, 0xffff0000, v2
	v_dual_lshlrev_b32 v5, 16, v2 :: v_dual_lshlrev_b32 v4, 16, v8
	v_and_b32_e32 v2, 0xffff0000, v8
	v_and_b32_e32 v7, 0xffff0000, v6
	v_dual_lshlrev_b32 v8, 16, v10 :: v_dual_add_nc_u32 v21, 32, v21
	v_add_nc_u64_e32 v[18:19], 16, v[18:19]
	s_delay_alu instid0(VALU_DEP_4)
	v_pk_add_f32 v[2:3], v[4:5], v[2:3]
	v_lshlrev_b32_e32 v9, 16, v6
	v_and_b32_e32 v6, 0xffff0000, v10
	v_add_nc_u32_e32 v14, 0x80, v14
	s_or_b32 s4, vcc_lo, s4
	v_add_f32_e32 v2, v2, v3
	s_delay_alu instid0(VALU_DEP_3) | instskip(NEXT) | instid1(VALU_DEP_1)
	v_pk_add_f32 v[4:5], v[8:9], v[6:7]
	v_add_f32_e32 v2, v5, v2
	s_delay_alu instid0(VALU_DEP_1) | instskip(NEXT) | instid1(VALU_DEP_1)
	v_add_f32_e32 v2, v4, v2
	v_add_f32_e32 v15, v15, v2
	s_and_not1_b32 exec_lo, exec_lo, s4
	s_cbranch_execz .LBB117_42
.LBB117_40:                             ; =>This Inner Loop Header: Depth=1
	global_load_b32 v2, v[18:19], off
	s_mov_b32 s10, exec_lo
	s_wait_loadcnt 0x0
	v_ashrrev_i32_e32 v3, 31, v2
	s_delay_alu instid0(VALU_DEP_1) | instskip(NEXT) | instid1(VALU_DEP_1)
	v_mul_u64_e32 v[2:3], s[0:1], v[2:3]
	v_lshl_add_u64 v[2:3], v[2:3], 1, v[16:17]
	global_load_b128 v[2:5], v[2:3], off
	ds_load_2addr_b64 v[10:13], v14 offset1:1
	ds_load_2addr_b64 v[6:9], v14 offset0:2 offset1:3
	s_wait_xcnt 0x0
	v_cmpx_eq_u32_e64 s2, v22
	s_cbranch_execz .LBB117_39
; %bb.41:                               ;   in Loop: Header=BB117_40 Depth=1
	s_wait_loadcnt 0x0
	v_dual_add_nc_u32 v23, 1, v21 :: v_dual_lshrrev_b32 v24, 16, v2
	v_dual_lshrrev_b32 v26, 16, v3 :: v_dual_bitop2_b32 v27, 4, v21 bitop3:0x54
	s_delay_alu instid0(VALU_DEP_2) | instskip(NEXT) | instid1(VALU_DEP_3)
	v_cmp_gt_i32_e32 vcc_lo, s5, v23
	v_dual_cndmask_b32 v23, 0, v24, vcc_lo :: v_dual_bitop2_b32 v25, 2, v21 bitop3:0x54
	v_cmp_gt_i32_e32 vcc_lo, s21, v21
	v_dual_cndmask_b32 v2, 0, v2, vcc_lo :: v_dual_bitop2_b32 v24, 3, v21 bitop3:0x54
	s_delay_alu instid0(VALU_DEP_3) | instskip(NEXT) | instid1(VALU_DEP_2)
	v_cmp_gt_i32_e32 vcc_lo, s21, v25
	v_perm_b32 v2, v23, v2, 0x5040100
	v_cndmask_b32_e32 v3, 0, v3, vcc_lo
	s_delay_alu instid0(VALU_DEP_4) | instskip(SKIP_4) | instid1(VALU_DEP_4)
	v_cmp_gt_i32_e32 vcc_lo, s5, v24
	v_cndmask_b32_e32 v24, 0, v26, vcc_lo
	v_cmp_gt_i32_e32 vcc_lo, s21, v27
	v_or_b32_e32 v25, 5, v21
	v_or_b32_e32 v27, 6, v21
	v_perm_b32 v3, v24, v3, 0x5040100
	v_dual_cndmask_b32 v26, 0, v4, vcc_lo :: v_dual_lshrrev_b32 v4, 16, v4
	s_delay_alu instid0(VALU_DEP_4) | instskip(NEXT) | instid1(VALU_DEP_2)
	v_cmp_gt_i32_e32 vcc_lo, s5, v25
	v_dual_cndmask_b32 v4, 0, v4, vcc_lo :: v_dual_bitop2_b32 v28, 7, v21 bitop3:0x54
	v_cmp_gt_i32_e32 vcc_lo, s21, v27
	v_lshrrev_b32_e32 v29, 16, v5
	s_delay_alu instid0(VALU_DEP_3) | instskip(SKIP_2) | instid1(VALU_DEP_4)
	v_perm_b32 v4, v4, v26, 0x5040100
	v_cndmask_b32_e32 v5, 0, v5, vcc_lo
	v_cmp_gt_i32_e32 vcc_lo, s5, v28
	v_cndmask_b32_e32 v25, 0, v29, vcc_lo
	s_delay_alu instid0(VALU_DEP_1)
	v_perm_b32 v5, v25, v5, 0x5040100
	s_branch .LBB117_39
.LBB117_42:
	s_or_b32 exec_lo, exec_lo, s4
.LBB117_43:
	s_delay_alu instid0(SALU_CYCLE_1)
	s_or_b32 exec_lo, exec_lo, s3
	v_and_b32_e32 v3, 0x3c0, v0
	v_lshl_add_u32 v2, v20, 2, 0x60
	s_mov_b32 s0, exec_lo
	s_barrier_signal -1
	s_barrier_wait -1
	v_cmpx_eq_u32_e32 64, v3
; %bb.44:
	v_lshlrev_b32_e32 v1, 7, v1
	s_delay_alu instid0(VALU_DEP_1)
	v_add3_u32 v1, v2, v1, 0xffffff00
	ds_store_b32 v1, v15
; %bb.45:
	s_or_b32 exec_lo, exec_lo, s0
	v_and_b32_e32 v3, 0x3e0, v0
	s_mov_b32 s0, exec_lo
	s_wait_dscnt 0x0
	s_barrier_signal -1
	s_barrier_wait -1
	v_lshl_add_u32 v1, v3, 2, v2
	v_cmpx_gt_u32_e32 64, v0
	s_cbranch_execz .LBB117_47
; %bb.46:
	ds_load_b32 v4, v1
	s_wait_dscnt 0x0
	v_add_f32_e32 v15, v15, v4
.LBB117_47:
	s_or_b32 exec_lo, exec_lo, s0
	s_delay_alu instid0(SALU_CYCLE_1)
	s_mov_b32 s0, exec_lo
	s_barrier_signal -1
	s_barrier_wait -1
	v_cmpx_eq_u32_e32 32, v3
; %bb.48:
	ds_store_b32 v2, v15
; %bb.49:
	s_or_b32 exec_lo, exec_lo, s0
	v_cmp_gt_u32_e32 vcc_lo, 32, v0
	s_wait_dscnt 0x0
	s_barrier_signal -1
	s_barrier_wait -1
	s_and_saveexec_b32 s0, vcc_lo
	s_cbranch_execz .LBB117_51
; %bb.50:
	ds_load_b32 v0, v1
	s_wait_dscnt 0x0
	v_add_f32_e32 v15, v15, v0
.LBB117_51:
	s_or_b32 exec_lo, exec_lo, s0
	s_barrier_signal -1
	s_barrier_wait -1
	s_and_saveexec_b32 s0, vcc_lo
	s_cbranch_execz .LBB117_53
; %bb.52:
	s_wait_kmcnt 0x0
	s_mul_i32 s1, s20, s9
	s_bfe_u32 s5, ttmp6, 0x40014
	s_mul_i32 s1, s1, s19
	s_mul_i32 s0, s9, s8
	s_lshl_b32 s2, s1, 5
	s_lshr_b32 s4, ttmp7, 16
	s_ashr_i32 s3, s2, 31
	s_add_co_i32 s5, s5, 1
	s_lshl_b64 s[2:3], s[2:3], 1
	s_ashr_i32 s1, s0, 31
	s_add_nc_u64 s[2:3], s[6:7], s[2:3]
	s_mul_i32 s5, s4, s5
	s_bfe_u32 s6, ttmp6, 0x40008
	s_lshl_b64 s[0:1], s[0:1], 1
	s_add_co_i32 s6, s6, s5
	s_cmp_eq_u32 s18, 0
	s_add_nc_u64 s[0:1], s[2:3], s[0:1]
	s_cselect_b32 s2, s4, s6
	v_cvt_pk_bf16_f32 v0, v15, s0
	s_mov_b32 s3, 0
	s_lshl_b32 s2, s2, 6
	s_delay_alu instid0(SALU_CYCLE_1)
	s_add_nc_u64 s[0:1], s[0:1], s[2:3]
	global_store_b16 v20, v0, s[0:1] scale_offset
.LBB117_53:
	s_endpgm
	.section	.rodata,"a",@progbits
	.p2align	6, 0x0
	.amdhsa_kernel _ZN4vllm25paged_attention_v1_kernelI14__hip_bfloat16S1_Li32ELi8ELi128ELNS_18Fp8KVCacheDataTypeE0ELb0EEEvPT_PKS3_PKT0_S9_ifPKiSB_iPKfiiiSD_SD_iiiii
		.amdhsa_group_segment_fixed_size 96
		.amdhsa_private_segment_fixed_size 0
		.amdhsa_kernarg_size 384
		.amdhsa_user_sgpr_count 2
		.amdhsa_user_sgpr_dispatch_ptr 0
		.amdhsa_user_sgpr_queue_ptr 0
		.amdhsa_user_sgpr_kernarg_segment_ptr 1
		.amdhsa_user_sgpr_dispatch_id 0
		.amdhsa_user_sgpr_kernarg_preload_length 0
		.amdhsa_user_sgpr_kernarg_preload_offset 0
		.amdhsa_user_sgpr_private_segment_size 0
		.amdhsa_wavefront_size32 1
		.amdhsa_uses_dynamic_stack 0
		.amdhsa_enable_private_segment 0
		.amdhsa_system_sgpr_workgroup_id_x 1
		.amdhsa_system_sgpr_workgroup_id_y 1
		.amdhsa_system_sgpr_workgroup_id_z 1
		.amdhsa_system_sgpr_workgroup_info 0
		.amdhsa_system_vgpr_workitem_id 0
		.amdhsa_next_free_vgpr 30
		.amdhsa_next_free_sgpr 30
		.amdhsa_named_barrier_count 0
		.amdhsa_reserve_vcc 1
		.amdhsa_float_round_mode_32 0
		.amdhsa_float_round_mode_16_64 0
		.amdhsa_float_denorm_mode_32 3
		.amdhsa_float_denorm_mode_16_64 3
		.amdhsa_fp16_overflow 0
		.amdhsa_memory_ordered 1
		.amdhsa_forward_progress 1
		.amdhsa_inst_pref_size 30
		.amdhsa_round_robin_scheduling 0
		.amdhsa_exception_fp_ieee_invalid_op 0
		.amdhsa_exception_fp_denorm_src 0
		.amdhsa_exception_fp_ieee_div_zero 0
		.amdhsa_exception_fp_ieee_overflow 0
		.amdhsa_exception_fp_ieee_underflow 0
		.amdhsa_exception_fp_ieee_inexact 0
		.amdhsa_exception_int_div_zero 0
	.end_amdhsa_kernel
	.section	.text._ZN4vllm25paged_attention_v1_kernelI14__hip_bfloat16S1_Li32ELi8ELi128ELNS_18Fp8KVCacheDataTypeE0ELb0EEEvPT_PKS3_PKT0_S9_ifPKiSB_iPKfiiiSD_SD_iiiii,"axG",@progbits,_ZN4vllm25paged_attention_v1_kernelI14__hip_bfloat16S1_Li32ELi8ELi128ELNS_18Fp8KVCacheDataTypeE0ELb0EEEvPT_PKS3_PKT0_S9_ifPKiSB_iPKfiiiSD_SD_iiiii,comdat
.Lfunc_end117:
	.size	_ZN4vllm25paged_attention_v1_kernelI14__hip_bfloat16S1_Li32ELi8ELi128ELNS_18Fp8KVCacheDataTypeE0ELb0EEEvPT_PKS3_PKT0_S9_ifPKiSB_iPKfiiiSD_SD_iiiii, .Lfunc_end117-_ZN4vllm25paged_attention_v1_kernelI14__hip_bfloat16S1_Li32ELi8ELi128ELNS_18Fp8KVCacheDataTypeE0ELb0EEEvPT_PKS3_PKT0_S9_ifPKiSB_iPKfiiiSD_SD_iiiii
                                        ; -- End function
	.set _ZN4vllm25paged_attention_v1_kernelI14__hip_bfloat16S1_Li32ELi8ELi128ELNS_18Fp8KVCacheDataTypeE0ELb0EEEvPT_PKS3_PKT0_S9_ifPKiSB_iPKfiiiSD_SD_iiiii.num_vgpr, 30
	.set _ZN4vllm25paged_attention_v1_kernelI14__hip_bfloat16S1_Li32ELi8ELi128ELNS_18Fp8KVCacheDataTypeE0ELb0EEEvPT_PKS3_PKT0_S9_ifPKiSB_iPKfiiiSD_SD_iiiii.num_agpr, 0
	.set _ZN4vllm25paged_attention_v1_kernelI14__hip_bfloat16S1_Li32ELi8ELi128ELNS_18Fp8KVCacheDataTypeE0ELb0EEEvPT_PKS3_PKT0_S9_ifPKiSB_iPKfiiiSD_SD_iiiii.numbered_sgpr, 30
	.set _ZN4vllm25paged_attention_v1_kernelI14__hip_bfloat16S1_Li32ELi8ELi128ELNS_18Fp8KVCacheDataTypeE0ELb0EEEvPT_PKS3_PKT0_S9_ifPKiSB_iPKfiiiSD_SD_iiiii.num_named_barrier, 0
	.set _ZN4vllm25paged_attention_v1_kernelI14__hip_bfloat16S1_Li32ELi8ELi128ELNS_18Fp8KVCacheDataTypeE0ELb0EEEvPT_PKS3_PKT0_S9_ifPKiSB_iPKfiiiSD_SD_iiiii.private_seg_size, 0
	.set _ZN4vllm25paged_attention_v1_kernelI14__hip_bfloat16S1_Li32ELi8ELi128ELNS_18Fp8KVCacheDataTypeE0ELb0EEEvPT_PKS3_PKT0_S9_ifPKiSB_iPKfiiiSD_SD_iiiii.uses_vcc, 1
	.set _ZN4vllm25paged_attention_v1_kernelI14__hip_bfloat16S1_Li32ELi8ELi128ELNS_18Fp8KVCacheDataTypeE0ELb0EEEvPT_PKS3_PKT0_S9_ifPKiSB_iPKfiiiSD_SD_iiiii.uses_flat_scratch, 0
	.set _ZN4vllm25paged_attention_v1_kernelI14__hip_bfloat16S1_Li32ELi8ELi128ELNS_18Fp8KVCacheDataTypeE0ELb0EEEvPT_PKS3_PKT0_S9_ifPKiSB_iPKfiiiSD_SD_iiiii.has_dyn_sized_stack, 0
	.set _ZN4vllm25paged_attention_v1_kernelI14__hip_bfloat16S1_Li32ELi8ELi128ELNS_18Fp8KVCacheDataTypeE0ELb0EEEvPT_PKS3_PKT0_S9_ifPKiSB_iPKfiiiSD_SD_iiiii.has_recursion, 0
	.set _ZN4vllm25paged_attention_v1_kernelI14__hip_bfloat16S1_Li32ELi8ELi128ELNS_18Fp8KVCacheDataTypeE0ELb0EEEvPT_PKS3_PKT0_S9_ifPKiSB_iPKfiiiSD_SD_iiiii.has_indirect_call, 0
	.section	.AMDGPU.csdata,"",@progbits
; Kernel info:
; codeLenInByte = 3796
; TotalNumSgprs: 32
; NumVgprs: 30
; ScratchSize: 0
; MemoryBound: 0
; FloatMode: 240
; IeeeMode: 1
; LDSByteSize: 96 bytes/workgroup (compile time only)
; SGPRBlocks: 0
; VGPRBlocks: 1
; NumSGPRsForWavesPerEU: 32
; NumVGPRsForWavesPerEU: 30
; NamedBarCnt: 0
; Occupancy: 16
; WaveLimiterHint : 1
; COMPUTE_PGM_RSRC2:SCRATCH_EN: 0
; COMPUTE_PGM_RSRC2:USER_SGPR: 2
; COMPUTE_PGM_RSRC2:TRAP_HANDLER: 0
; COMPUTE_PGM_RSRC2:TGID_X_EN: 1
; COMPUTE_PGM_RSRC2:TGID_Y_EN: 1
; COMPUTE_PGM_RSRC2:TGID_Z_EN: 1
; COMPUTE_PGM_RSRC2:TIDIG_COMP_CNT: 0
	.section	.text._ZN4vllm25paged_attention_v1_kernelI14__hip_bfloat16S1_Li64ELi8ELi128ELNS_18Fp8KVCacheDataTypeE0ELb0EEEvPT_PKS3_PKT0_S9_ifPKiSB_iPKfiiiSD_SD_iiiii,"axG",@progbits,_ZN4vllm25paged_attention_v1_kernelI14__hip_bfloat16S1_Li64ELi8ELi128ELNS_18Fp8KVCacheDataTypeE0ELb0EEEvPT_PKS3_PKT0_S9_ifPKiSB_iPKfiiiSD_SD_iiiii,comdat
	.protected	_ZN4vllm25paged_attention_v1_kernelI14__hip_bfloat16S1_Li64ELi8ELi128ELNS_18Fp8KVCacheDataTypeE0ELb0EEEvPT_PKS3_PKT0_S9_ifPKiSB_iPKfiiiSD_SD_iiiii ; -- Begin function _ZN4vllm25paged_attention_v1_kernelI14__hip_bfloat16S1_Li64ELi8ELi128ELNS_18Fp8KVCacheDataTypeE0ELb0EEEvPT_PKS3_PKT0_S9_ifPKiSB_iPKfiiiSD_SD_iiiii
	.globl	_ZN4vllm25paged_attention_v1_kernelI14__hip_bfloat16S1_Li64ELi8ELi128ELNS_18Fp8KVCacheDataTypeE0ELb0EEEvPT_PKS3_PKT0_S9_ifPKiSB_iPKfiiiSD_SD_iiiii
	.p2align	8
	.type	_ZN4vllm25paged_attention_v1_kernelI14__hip_bfloat16S1_Li64ELi8ELi128ELNS_18Fp8KVCacheDataTypeE0ELb0EEEvPT_PKS3_PKT0_S9_ifPKiSB_iPKfiiiSD_SD_iiiii,@function
_ZN4vllm25paged_attention_v1_kernelI14__hip_bfloat16S1_Li64ELi8ELi128ELNS_18Fp8KVCacheDataTypeE0ELb0EEEvPT_PKS3_PKT0_S9_ifPKiSB_iPKfiiiSD_SD_iiiii: ; @_ZN4vllm25paged_attention_v1_kernelI14__hip_bfloat16S1_Li64ELi8ELi128ELNS_18Fp8KVCacheDataTypeE0ELb0EEEvPT_PKS3_PKT0_S9_ifPKiSB_iPKfiiiSD_SD_iiiii
; %bb.0:
	s_load_b64 s[10:11], s[0:1], 0x20
	s_bfe_u32 s3, ttmp6, 0x4000c
	s_bfe_u32 s5, ttmp6, 0x40010
	s_and_b32 s4, ttmp7, 0xffff
	s_add_co_i32 s3, s3, 1
	s_add_co_i32 s5, s5, 1
	s_and_b32 s2, ttmp6, 15
	s_bfe_u32 s6, ttmp6, 0x40004
	s_mul_i32 s3, ttmp9, s3
	s_mul_i32 s5, s4, s5
	s_getreg_b32 s20, hwreg(HW_REG_IB_STS2, 6, 4)
	s_add_co_i32 s7, s2, s3
	s_add_co_i32 s6, s6, s5
	s_cmp_eq_u32 s20, 0
	s_clause 0x1
	s_load_b32 s21, s[0:1], 0x80
	s_load_b64 s[2:3], s[0:1], 0x30
	s_cselect_b32 s22, s4, s6
	s_cselect_b32 s6, ttmp9, s7
	s_wait_kmcnt 0x0
	s_abs_i32 s4, s10
	s_delay_alu instid0(SALU_CYCLE_1) | instskip(SKIP_1) | instid1(SALU_CYCLE_2)
	s_cvt_f32_u32 s5, s4
	s_sub_co_i32 s7, 0, s4
	v_rcp_iflag_f32_e32 v1, s5
	s_abs_i32 s8, s21
	v_nop
	s_delay_alu instid0(TRANS32_DEP_1) | instskip(SKIP_1) | instid1(SALU_CYCLE_3)
	v_readfirstlane_b32 s5, v1
	s_mul_f32 s5, s5, 0x4f7ffffe
	s_cvt_u32_f32 s5, s5
	s_delay_alu instid0(SALU_CYCLE_3) | instskip(NEXT) | instid1(SALU_CYCLE_1)
	s_mul_i32 s7, s7, s5
	s_mul_hi_u32 s7, s5, s7
	s_delay_alu instid0(SALU_CYCLE_1) | instskip(SKIP_4) | instid1(SALU_CYCLE_1)
	s_add_co_i32 s5, s5, s7
	s_xor_b32 s7, s21, s10
	s_mul_hi_u32 s5, s8, s5
	s_ashr_i32 s7, s7, 31
	s_mul_i32 s9, s5, s4
	s_sub_co_i32 s8, s8, s9
	s_add_co_i32 s9, s5, 1
	s_sub_co_i32 s10, s8, s4
	s_cmp_ge_u32 s8, s4
	s_cselect_b32 s5, s9, s5
	s_cselect_b32 s8, s10, s8
	s_add_co_i32 s9, s5, 1
	s_cmp_ge_u32 s8, s4
	s_cselect_b32 s4, s9, s5
	s_load_b64 s[8:9], s[0:1], 0x40
	s_xor_b32 s4, s4, s7
	s_mov_b32 s5, 0
	s_sub_co_i32 s15, s4, s7
	s_mov_b32 s13, s5
	s_abs_i32 s14, s15
	s_mov_b32 s24, s5
	s_cvt_f32_u32 s4, s14
	s_delay_alu instid0(SALU_CYCLE_3) | instskip(SKIP_1) | instid1(TRANS32_DEP_1)
	v_rcp_iflag_f32_e32 v1, s4
	v_nop
	v_readfirstlane_b32 s4, v1
	s_mul_f32 s4, s4, 0x4f7ffffe
	s_delay_alu instid0(SALU_CYCLE_3) | instskip(SKIP_1) | instid1(SALU_CYCLE_2)
	s_cvt_u32_f32 s7, s4
	s_sub_co_i32 s4, 0, s14
	s_mul_i32 s4, s4, s7
	s_delay_alu instid0(SALU_CYCLE_1)
	s_mul_hi_u32 s10, s7, s4
	s_abs_i32 s4, s6
	s_add_co_i32 s12, s7, s10
	s_wait_kmcnt 0x0
	s_cmp_eq_u64 s[8:9], 0
	s_cbranch_scc1 .LBB118_2
; %bb.1:
	s_ashr_i32 s7, s6, 31
	s_delay_alu instid0(SALU_CYCLE_1) | instskip(NEXT) | instid1(SALU_CYCLE_1)
	s_lshl_b64 s[16:17], s[6:7], 2
	s_add_nc_u64 s[8:9], s[8:9], s[16:17]
	s_load_b32 s24, s[8:9], 0x0
.LBB118_2:
	s_load_b32 s23, s[2:3], s22 offset:0x0 scale_offset
	s_wait_xcnt 0x0
	s_load_b96 s[8:10], s[0:1], 0x48
	v_and_b32_e32 v6, 3, v0
	v_cmp_gt_u32_e64 s2, 32, v0
	s_ashr_i32 s3, s6, 31
	s_ashr_i32 s15, s15, 31
	s_mul_u64 s[12:13], s[4:5], s[12:13]
	s_lshl_b32 s6, s6, 6
	s_and_saveexec_b32 s5, s2
	s_cbranch_execz .LBB118_4
; %bb.3:
	s_load_b64 s[16:17], s[0:1], 0x8
	s_wait_kmcnt 0x0
	s_mul_i32 s18, s8, s22
	s_ashr_i32 s7, s6, 31
	s_ashr_i32 s19, s18, 31
	v_and_b32_e32 v2, 0x3fc, v0
	s_lshl_b64 s[18:19], s[18:19], 1
	s_delay_alu instid0(VALU_DEP_1) | instskip(SKIP_2) | instid1(SALU_CYCLE_1)
	v_lshl_add_u32 v2, v6, 5, v2
	s_add_nc_u64 s[16:17], s[16:17], s[18:19]
	s_lshl_b64 s[18:19], s[6:7], 1
	s_add_nc_u64 s[16:17], s[16:17], s[18:19]
	global_load_b32 v1, v0, s[16:17] scale_offset
	s_wait_loadcnt 0x0
	ds_store_b32 v2, v1
.LBB118_4:
	s_or_b32 exec_lo, exec_lo, s5
	s_wait_kmcnt 0x0
	s_add_co_i32 s5, s23, 7
	s_load_b32 s7, s[0:1], 0x38
	s_ashr_i32 s8, s5, 31
	s_mul_i32 s12, s13, s14
	s_lshr_b32 s8, s8, 29
	s_sub_co_i32 s4, s4, s12
	s_add_co_i32 s5, s5, s8
	s_xor_b32 s3, s3, s15
	s_ashr_i32 s8, s5, 3
	s_add_co_i32 s5, s13, 1
	s_sub_co_i32 s12, s4, s14
	s_cmp_ge_u32 s4, s14
	v_lshrrev_b32_e32 v1, 5, v0
	s_cselect_b32 s5, s5, s13
	s_cselect_b32 s4, s12, s4
	s_add_co_i32 s12, s5, 1
	s_cmp_ge_u32 s4, s14
	v_mbcnt_lo_u32_b32 v9, -1, 0
	s_cselect_b32 s4, s12, s5
	s_mov_b32 s5, exec_lo
	s_xor_b32 s4, s4, s3
	s_wait_kmcnt 0x0
	s_mul_i32 s12, s7, s22
	s_sub_co_i32 s4, s4, s3
	v_cmp_gt_i32_e64 s3, s8, v1
	s_ashr_i32 s13, s12, 31
	s_wait_dscnt 0x0
	s_barrier_signal -1
	s_barrier_wait -1
                                        ; implicit-def: $vgpr3
                                        ; implicit-def: $vgpr10
	v_cmpx_le_i32_e64 s8, v1
	s_xor_b32 s5, exec_lo, s5
; %bb.5:
	v_dual_mov_b32 v3, 0 :: v_dual_mov_b32 v10, 32
	v_mbcnt_lo_u32_b32 v9, -1, 0
                                        ; implicit-def: $vgpr6
; %bb.6:
	s_or_saveexec_b32 s25, s5
	s_clause 0x1
	s_load_b64 s[14:15], s[0:1], 0x28
	s_load_b32 s7, s[0:1], 0x88
	v_mov_b32_e32 v2, 0xff7fffff
	v_lshrrev_b32_e32 v8, 3, v0
	s_mul_i32 s16, s4, s10
	s_xor_b32 exec_lo, exec_lo, s25
	s_cbranch_execz .LBB118_12
; %bb.7:
	s_load_b64 s[4:5], s[0:1], 0x10
	v_dual_mov_b32 v3, 0 :: v_dual_lshlrev_b32 v2, 5, v6
	v_bfe_u32 v7, v0, 2, 3
	s_ashr_i32 s17, s16, 31
	v_lshlrev_b32_e32 v10, 2, v0
	ds_load_b128 v[16:19], v2
	ds_load_b128 v[24:27], v2 offset:16
	v_lshlrev_b32_e32 v2, 4, v7
	s_lshl_b64 s[26:27], s[16:17], 1
	v_xor_b32_e32 v28, 2, v9
	s_ashr_i32 s19, s9, 31
	s_cmp_neq_f32 s24, 0
	s_mov_b32 s18, s9
	s_mov_b32 s10, 0
	v_mov_b32_e32 v31, v1
	s_wait_kmcnt 0x0
	s_add_nc_u64 s[4:5], s[4:5], s[26:27]
	s_delay_alu instid0(SALU_CYCLE_1)
	v_add_nc_u64_e32 v[4:5], s[4:5], v[2:3]
	v_dual_mov_b32 v10, 32 :: v_dual_bitop2_b32 v2, 12, v10 bitop3:0x40
	s_cselect_b32 s4, -1, 0
	s_wait_dscnt 0x1
	v_dual_lshlrev_b32 v11, 16, v16 :: v_dual_lshlrev_b32 v13, 16, v17
	s_wait_dscnt 0x0
	v_lshlrev_b32_e32 v23, 16, v26
	v_add_nc_u64_e32 v[4:5], v[4:5], v[2:3]
	v_xor_b32_e32 v2, 1, v9
	v_cmp_gt_i32_e32 vcc_lo, 32, v28
	v_and_b32_e32 v12, 0xffff0000, v16
	v_and_b32_e32 v14, 0xffff0000, v17
	v_dual_lshlrev_b32 v15, 16, v18 :: v_dual_lshlrev_b32 v17, 16, v19
	v_and_b32_e32 v16, 0xffff0000, v18
	v_and_b32_e32 v18, 0xffff0000, v19
	v_dual_lshlrev_b32 v19, 16, v24 :: v_dual_lshlrev_b32 v21, 16, v25
	v_and_b32_e32 v20, 0xffff0000, v24
	v_and_b32_e32 v22, 0xffff0000, v25
	;; [unrolled: 1-line block ×3, first 2 shown]
	v_lshlrev_b32_e32 v25, 16, v27
	v_and_b32_e32 v26, 0xffff0000, v27
	v_cndmask_b32_e32 v27, v9, v28, vcc_lo
	v_cmp_gt_i32_e32 vcc_lo, 32, v2
	s_lshl_b64 s[26:27], s[12:13], 2
	s_sub_co_i32 s17, 1, s23
	s_add_nc_u64 s[26:27], s[14:15], s[26:27]
	v_dual_cndmask_b32 v2, v9, v2 :: v_dual_lshlrev_b32 v27, 2, v27
	v_lshlrev_b32_e32 v29, 2, v7
	v_cmp_eq_u32_e32 vcc_lo, 0, v6
	s_delay_alu instid0(VALU_DEP_3) | instskip(NEXT) | instid1(VALU_DEP_3)
	v_lshlrev_b32_e32 v28, 2, v2
	v_lshl_or_b32 v6, v1, 5, v29
	v_and_b32_e32 v2, 0x7c, v8
	v_lshl_or_b32 v29, v1, 3, v7
	s_delay_alu instid0(VALU_DEP_3) | instskip(NEXT) | instid1(VALU_DEP_3)
	v_add_nc_u32_e32 v30, 0xa0, v6
	v_add_nc_u64_e32 v[6:7], s[26:27], v[2:3]
	v_mov_b32_e32 v2, 0xff7fffff
	s_branch .LBB118_9
.LBB118_8:                              ;   in Loop: Header=BB118_9 Depth=1
	s_or_b32 exec_lo, exec_lo, s26
	v_dual_add_nc_u32 v31, 4, v31 :: v_dual_add_nc_u32 v29, 32, v29
	v_add_nc_u64_e32 v[6:7], 16, v[6:7]
	v_add_nc_u32_e32 v30, 0x80, v30
	s_delay_alu instid0(VALU_DEP_3) | instskip(SKIP_1) | instid1(SALU_CYCLE_1)
	v_cmp_le_i32_e64 s5, s8, v31
	s_or_b32 s10, s5, s10
	s_and_not1_b32 exec_lo, exec_lo, s10
	s_cbranch_execz .LBB118_11
.LBB118_9:                              ; =>This Inner Loop Header: Depth=1
	global_load_b32 v32, v[6:7], off
	s_wait_loadcnt_dscnt 0x0
	v_ashrrev_i32_e32 v33, 31, v32
	s_delay_alu instid0(VALU_DEP_1) | instskip(NEXT) | instid1(VALU_DEP_1)
	v_mul_u64_e32 v[32:33], s[18:19], v[32:33]
	v_lshl_add_u64 v[32:33], v[32:33], 1, v[4:5]
	s_clause 0x7
	global_load_b32 v34, v[32:33], off offset:128
	global_load_b32 v35, v[32:33], off
	global_load_b32 v36, v[32:33], off offset:256
	global_load_b32 v37, v[32:33], off offset:384
	;; [unrolled: 1-line block ×6, first 2 shown]
	s_wait_loadcnt 0x7
	s_wait_xcnt 0x0
	v_lshlrev_b32_e32 v32, 16, v34
	v_and_b32_e32 v33, 0xffff0000, v34
	s_delay_alu instid0(VALU_DEP_1) | instskip(SKIP_1) | instid1(VALU_DEP_1)
	v_dual_mul_f32 v32, v13, v32 :: v_dual_mul_f32 v33, v14, v33
	s_wait_loadcnt 0x6
	v_fma_mix_f32_bf16 v32, v11, v35, v32 op_sel_hi:[0,1,0]
	s_delay_alu instid0(VALU_DEP_2) | instskip(SKIP_1) | instid1(VALU_DEP_2)
	v_fma_mix_f32_bf16 v33, v12, v35, v33 op_sel:[0,1,0] op_sel_hi:[0,1,0]
	s_wait_loadcnt 0x5
	v_fma_mix_f32_bf16 v32, v15, v36, v32 op_sel_hi:[0,1,0]
	s_delay_alu instid0(VALU_DEP_2) | instskip(SKIP_1) | instid1(VALU_DEP_2)
	v_fma_mix_f32_bf16 v33, v16, v36, v33 op_sel:[0,1,0] op_sel_hi:[0,1,0]
	;; [unrolled: 4-line block ×6, first 2 shown]
	s_wait_loadcnt 0x0
	v_fma_mix_f32_bf16 v32, v25, v41, v32 op_sel_hi:[0,1,0]
	s_delay_alu instid0(VALU_DEP_2) | instskip(NEXT) | instid1(VALU_DEP_1)
	v_fma_mix_f32_bf16 v33, v26, v41, v33 op_sel:[0,1,0] op_sel_hi:[0,1,0]
	v_add_f32_e32 v32, v32, v33
	ds_bpermute_b32 v33, v27, v32
	s_wait_dscnt 0x0
	v_add_f32_e32 v32, v32, v33
	ds_bpermute_b32 v33, v28, v32
	s_and_saveexec_b32 s26, vcc_lo
	s_cbranch_execz .LBB118_8
; %bb.10:                               ;   in Loop: Header=BB118_9 Depth=1
	s_wait_dscnt 0x0
	v_add_f32_e32 v32, v32, v33
	v_add_nc_u32_e32 v34, s17, v29
	v_cmp_gt_i32_e64 s5, s23, v29
	s_delay_alu instid0(VALU_DEP_2) | instskip(NEXT) | instid1(VALU_DEP_1)
	v_cvt_f32_i32_e32 v34, v34
	v_mul_f32_e32 v34, s24, v34
	s_delay_alu instid0(VALU_DEP_1) | instskip(NEXT) | instid1(VALU_DEP_1)
	v_cndmask_b32_e64 v33, 0, v34, s4
	v_dual_max_num_f32 v34, v2, v2 :: v_dual_fmac_f32 v33, s11, v32
	s_delay_alu instid0(VALU_DEP_1) | instskip(NEXT) | instid1(VALU_DEP_1)
	v_dual_max_num_f32 v32, v34, v33 :: v_dual_cndmask_b32 v33, 0, v33, s5
	v_cndmask_b32_e64 v2, v2, v32, s5
	ds_store_b32 v30, v33
	s_branch .LBB118_8
.LBB118_11:
	s_or_b32 exec_lo, exec_lo, s10
.LBB118_12:
	s_delay_alu instid0(SALU_CYCLE_1)
	s_or_b32 exec_lo, exec_lo, s25
	v_dual_max_num_f32 v7, v2, v2 :: v_dual_bitop2_b32 v4, 16, v9 bitop3:0x14
	s_clause 0x1
	s_load_b64 s[10:11], s[0:1], 0x0
	s_load_b64 s[18:19], s[0:1], 0x18
	v_xor_b32_e32 v6, 8, v9
	v_and_b32_e32 v24, 31, v0
	v_cmp_lt_i32_e32 vcc_lo, v4, v10
	v_cndmask_b32_e32 v4, v9, v4, vcc_lo
	s_delay_alu instid0(VALU_DEP_4) | instskip(NEXT) | instid1(VALU_DEP_2)
	v_cmp_lt_i32_e32 vcc_lo, v6, v10
	v_lshlrev_b32_e32 v4, 2, v4
	ds_bpermute_b32 v5, v4, v2
	v_cndmask_b32_e32 v2, v9, v6, vcc_lo
	s_wait_dscnt 0x0
	s_delay_alu instid0(VALU_DEP_1) | instskip(NEXT) | instid1(VALU_DEP_1)
	v_dual_max_num_f32 v5, v5, v5 :: v_dual_lshlrev_b32 v2, 2, v2
	v_max_num_f32_e32 v5, v7, v5
	ds_bpermute_b32 v6, v2, v5
	s_wait_dscnt 0x0
	v_dual_max_num_f32 v6, v6, v6 :: v_dual_bitop2_b32 v7, 4, v9 bitop3:0x14
	s_delay_alu instid0(VALU_DEP_1) | instskip(NEXT) | instid1(VALU_DEP_2)
	v_max_num_f32_e32 v6, v5, v6
	v_cmp_lt_i32_e32 vcc_lo, v7, v10
	v_dual_lshlrev_b32 v5, 2, v1 :: v_dual_cndmask_b32 v7, v9, v7, vcc_lo
	v_cmp_eq_u32_e32 vcc_lo, 0, v24
	s_delay_alu instid0(VALU_DEP_2)
	v_lshlrev_b32_e32 v7, 2, v7
	ds_bpermute_b32 v11, v7, v6
	s_wait_xcnt 0x0
	s_and_saveexec_b32 s0, vcc_lo
	s_cbranch_execz .LBB118_14
; %bb.13:
	s_wait_dscnt 0x0
	v_dual_max_num_f32 v11, v11, v11 :: v_dual_max_num_f32 v6, v6, v6
	s_delay_alu instid0(VALU_DEP_1)
	v_max_num_f32_e32 v6, v6, v11
	ds_store_b32 v5, v6 offset:128
.LBB118_14:
	s_or_b32 exec_lo, exec_lo, s0
	v_cmp_gt_u32_e64 s0, 4, v24
	v_mov_b32_e32 v12, 0xff7fffff
	v_lshlrev_b32_e32 v6, 2, v24
	s_wait_dscnt 0x0
	s_barrier_signal -1
	s_barrier_wait -1
	s_and_saveexec_b32 s1, s0
; %bb.15:
	ds_load_b32 v12, v6 offset:128
; %bb.16:
	s_or_b32 exec_lo, exec_lo, s1
	v_xor_b32_e32 v11, 2, v9
	v_dual_lshlrev_b32 v3, 2, v3 :: v_dual_bitop2_b32 v14, 1, v9 bitop3:0x14
	s_delay_alu instid0(VALU_DEP_2) | instskip(NEXT) | instid1(VALU_DEP_1)
	v_cmp_lt_i32_e64 s1, v11, v10
	v_cndmask_b32_e64 v11, v9, v11, s1
	s_delay_alu instid0(VALU_DEP_3) | instskip(NEXT) | instid1(VALU_DEP_1)
	v_cmp_lt_i32_e64 s1, v14, v10
	v_dual_lshlrev_b32 v11, 2, v11 :: v_dual_cndmask_b32 v10, v9, v14, s1
	s_lshl_b32 s1, s8, 3
	s_delay_alu instid0(SALU_CYCLE_1)
	s_min_i32 s5, s1, s23
	s_wait_dscnt 0x0
	ds_bpermute_b32 v13, v11, v12
	v_dual_max_num_f32 v12, v12, v12 :: v_dual_lshlrev_b32 v10, 2, v10
	v_cmp_gt_i32_e64 s1, s5, v0
	s_wait_dscnt 0x0
	v_max_num_f32_e32 v13, v13, v13
	s_delay_alu instid0(VALU_DEP_1) | instskip(SKIP_3) | instid1(VALU_DEP_1)
	v_max_num_f32_e32 v12, v12, v13
	ds_bpermute_b32 v13, v10, v12
	s_wait_dscnt 0x0
	v_max_num_f32_e32 v13, v13, v13
	v_max_num_f32_e32 v12, v12, v13
	ds_bpermute_b32 v12, v3, v12
	v_mov_b32_e32 v3, 0
	s_and_saveexec_b32 s17, s1
	s_cbranch_execz .LBB118_20
; %bb.17:
	v_lshl_add_u32 v13, v0, 2, 0xa0
	v_dual_mov_b32 v3, 0 :: v_dual_mov_b32 v14, v0
	s_mov_b32 s24, 0
.LBB118_18:                             ; =>This Inner Loop Header: Depth=1
	ds_load_b32 v15, v13
	v_add_nc_u32_e32 v14, 0x80, v14
	s_delay_alu instid0(VALU_DEP_1) | instskip(SKIP_3) | instid1(VALU_DEP_1)
	v_cmp_le_i32_e64 s4, s5, v14
	s_or_b32 s24, s4, s24
	s_wait_dscnt 0x0
	v_sub_f32_e32 v15, v15, v12
	v_mul_f32_e32 v15, 0x3fb8aa3b, v15
	s_delay_alu instid0(VALU_DEP_1)
	v_exp_f32_e32 v15, v15
	ds_store_b32 v13, v15
	v_nop
	v_add_f32_e32 v3, v3, v15
	v_add_nc_u32_e32 v13, 0x200, v13
	s_and_not1_b32 exec_lo, exec_lo, s24
	s_cbranch_execnz .LBB118_18
; %bb.19:
	s_or_b32 exec_lo, exec_lo, s24
.LBB118_20:
	s_delay_alu instid0(SALU_CYCLE_1)
	s_or_b32 exec_lo, exec_lo, s17
	ds_bpermute_b32 v4, v4, v3
	s_wait_dscnt 0x0
	v_add_f32_e32 v3, v3, v4
	ds_bpermute_b32 v2, v2, v3
	s_wait_dscnt 0x0
	v_add_f32_e32 v2, v3, v2
	;; [unrolled: 3-line block ×5, first 2 shown]
	s_and_saveexec_b32 s4, vcc_lo
; %bb.21:
	ds_store_b32 v5, v2 offset:144
; %bb.22:
	s_or_b32 exec_lo, exec_lo, s4
	s_wait_dscnt 0x0
	s_barrier_signal -1
	s_barrier_wait -1
	s_and_saveexec_b32 s4, s0
; %bb.23:
	ds_load_b32 v2, v6 offset:144
; %bb.24:
	s_or_b32 exec_lo, exec_lo, s4
	s_wait_dscnt 0x0
	ds_bpermute_b32 v3, v11, v2
	s_wait_dscnt 0x0
	v_dual_lshlrev_b32 v4, 2, v9 :: v_dual_add_f32 v2, v2, v3
	ds_bpermute_b32 v3, v10, v2
	s_wait_dscnt 0x0
	v_add_f32_e32 v2, v2, v3
	v_and_b32_e32 v3, 0xffffff80, v4
	ds_bpermute_b32 v2, v3, v2
	s_and_saveexec_b32 s0, s1
	s_cbranch_execz .LBB118_37
; %bb.25:
	s_wait_dscnt 0x0
	v_add_f32_e32 v2, 0x358637bd, v2
	s_mov_b32 s4, -1
	s_mov_b32 s1, exec_lo
	s_delay_alu instid0(VALU_DEP_1) | instskip(NEXT) | instid1(VALU_DEP_1)
	v_div_scale_f32 v3, null, v2, v2, 1.0
	v_rcp_f32_e32 v5, v3
	v_nop
	s_delay_alu instid0(TRANS32_DEP_1) | instskip(NEXT) | instid1(VALU_DEP_1)
	v_fma_f32 v4, -v3, v5, 1.0
	v_fmac_f32_e32 v5, v4, v5
	v_div_scale_f32 v6, vcc_lo, 1.0, v2, 1.0
	s_delay_alu instid0(VALU_DEP_1) | instskip(NEXT) | instid1(VALU_DEP_1)
	v_mul_f32_e32 v7, v6, v5
	v_fma_f32 v4, -v3, v7, v6
	s_delay_alu instid0(VALU_DEP_1) | instskip(SKIP_1) | instid1(VALU_DEP_2)
	v_fmac_f32_e32 v7, v4, v5
	v_xad_u32 v4, v0, -1, s5
	v_fma_f32 v3, -v3, v7, v6
	s_delay_alu instid0(VALU_DEP_1) | instskip(NEXT) | instid1(VALU_DEP_1)
	v_div_fmas_f32 v3, v3, v5, v7
	v_div_fixup_f32 v2, v3, v2, 1.0
	v_mov_b32_e32 v3, v0
	v_cmpx_lt_u32_e32 0x7f, v4
	s_cbranch_execz .LBB118_34
; %bb.26:
	s_delay_alu instid0(VALU_DEP_3) | instskip(NEXT) | instid1(VALU_DEP_1)
	v_dual_mov_b32 v3, v2 :: v_dual_lshrrev_b32 v4, 7, v4
	v_dual_mov_b32 v9, 0 :: v_dual_add_nc_u32 v5, -1, v4
	s_delay_alu instid0(VALU_DEP_1) | instskip(SKIP_1) | instid1(VALU_DEP_2)
	v_lshrrev_b32_e32 v6, 1, v5
	v_cmp_lt_u32_e32 vcc_lo, 13, v5
	v_add_nc_u32_e32 v5, 1, v6
	s_and_saveexec_b32 s4, vcc_lo
	s_cbranch_execz .LBB118_30
; %bb.27:
	s_delay_alu instid0(VALU_DEP_1)
	v_and_b32_e32 v6, -8, v5
	v_lshl_add_u32 v7, v0, 2, 0xa0
	s_mov_b32 s17, 0
	s_mov_b32 s24, 0
.LBB118_28:                             ; =>This Inner Loop Header: Depth=1
	ds_load_2addr_stride64_b32 v[10:11], v7 offset1:2
	ds_load_2addr_stride64_b32 v[12:13], v7 offset0:4 offset1:6
	ds_load_2addr_stride64_b32 v[14:15], v7 offset0:8 offset1:10
	;; [unrolled: 1-line block ×7, first 2 shown]
	s_add_co_i32 s24, s24, 16
	s_delay_alu instid0(SALU_CYCLE_1) | instskip(NEXT) | instid1(VALU_DEP_1)
	v_dual_mov_b32 v9, s24 :: v_dual_add_nc_u32 v6, -8, v6
	v_cmp_eq_u32_e32 vcc_lo, 0, v6
	s_or_b32 s17, vcc_lo, s17
	s_wait_dscnt 0x7
	v_pk_mul_f32 v[10:11], v[2:3], v[10:11]
	s_wait_dscnt 0x6
	v_pk_mul_f32 v[12:13], v[2:3], v[12:13]
	;; [unrolled: 2-line block ×8, first 2 shown]
	ds_store_2addr_stride64_b32 v7, v10, v11 offset1:2
	ds_store_2addr_stride64_b32 v7, v12, v13 offset0:4 offset1:6
	ds_store_2addr_stride64_b32 v7, v14, v15 offset0:8 offset1:10
	;; [unrolled: 1-line block ×7, first 2 shown]
	v_add_nc_u32_e32 v7, 0x2000, v7
	s_and_not1_b32 exec_lo, exec_lo, s17
	s_cbranch_execnz .LBB118_28
; %bb.29:
	s_or_b32 exec_lo, exec_lo, s17
.LBB118_30:
	s_delay_alu instid0(SALU_CYCLE_1) | instskip(NEXT) | instid1(VALU_DEP_1)
	s_or_b32 exec_lo, exec_lo, s4
	v_and_b32_e32 v5, 7, v5
	s_mov_b32 s17, 0
	s_mov_b32 s4, exec_lo
	s_delay_alu instid0(VALU_DEP_1)
	v_cmpx_ne_u32_e32 0, v5
	s_cbranch_execz .LBB118_33
; %bb.31:
	v_dual_lshlrev_b32 v6, 9, v9 :: v_dual_lshlrev_b32 v7, 2, v0
	s_delay_alu instid0(VALU_DEP_1)
	v_add3_u32 v6, v6, v7, 0xa0
.LBB118_32:                             ; =>This Inner Loop Header: Depth=1
	ds_load_2addr_stride64_b32 v[10:11], v6 offset1:2
	v_add_nc_u32_e32 v5, -1, v5
	s_delay_alu instid0(VALU_DEP_1)
	v_cmp_eq_u32_e32 vcc_lo, 0, v5
	s_or_b32 s17, vcc_lo, s17
	s_wait_dscnt 0x0
	v_pk_mul_f32 v[10:11], v[2:3], v[10:11]
	ds_store_2addr_stride64_b32 v6, v10, v11 offset1:2
	v_add_nc_u32_e32 v6, 0x400, v6
	s_and_not1_b32 exec_lo, exec_lo, s17
	s_cbranch_execnz .LBB118_32
.LBB118_33:
	s_or_b32 exec_lo, exec_lo, s4
	v_add_nc_u32_e32 v3, 1, v4
	s_delay_alu instid0(VALU_DEP_1) | instskip(NEXT) | instid1(VALU_DEP_1)
	v_and_b32_e32 v4, 0x3fffffe, v3
	v_cmp_ne_u32_e32 vcc_lo, v3, v4
	v_lshl_add_u32 v3, v4, 7, v0
	s_or_not1_b32 s4, vcc_lo, exec_lo
.LBB118_34:
	s_or_b32 exec_lo, exec_lo, s1
	s_delay_alu instid0(SALU_CYCLE_1)
	s_and_b32 exec_lo, exec_lo, s4
	s_cbranch_execz .LBB118_37
; %bb.35:
	v_lshl_add_u32 v4, v3, 2, 0xa0
	s_mov_b32 s1, 0
.LBB118_36:                             ; =>This Inner Loop Header: Depth=1
	ds_load_b32 v5, v4
	v_add_nc_u32_e32 v3, 0x80, v3
	s_delay_alu instid0(VALU_DEP_1)
	v_cmp_le_i32_e32 vcc_lo, s5, v3
	s_or_b32 s1, vcc_lo, s1
	s_wait_dscnt 0x0
	v_mul_f32_e32 v5, v2, v5
	ds_store_b32 v4, v5
	v_add_nc_u32_e32 v4, 0x200, v4
	s_and_not1_b32 exec_lo, exec_lo, s1
	s_cbranch_execnz .LBB118_36
.LBB118_37:
	s_or_b32 exec_lo, exec_lo, s0
	v_mov_b64_e32 v[18:19], 0
	s_wait_dscnt 0x0
	s_barrier_signal -1
	s_barrier_wait -1
	s_and_saveexec_b32 s1, s3
	s_cbranch_execz .LBB118_45
; %bb.38:
	s_ashr_i32 s17, s16, 31
	v_dual_mov_b32 v19, 0 :: v_dual_lshlrev_b32 v18, 4, v24
	s_lshl_b64 s[16:17], s[16:17], 1
	s_lshl_b64 s[12:13], s[12:13], 2
	s_wait_kmcnt 0x0
	s_add_nc_u64 s[16:17], s[18:19], s[16:17]
	s_add_nc_u64 s[12:13], s[14:15], s[12:13]
	v_add_nc_u64_e32 v[20:21], s[16:17], v[18:19]
	v_and_b32_e32 v18, 0x7c, v8
	v_dual_lshlrev_b32 v25, 3, v1 :: v_dual_mov_b32 v27, v1
	v_lshl_add_u32 v26, v1, 5, 0xa0
	s_ashr_i32 s5, s9, 31
	s_delay_alu instid0(VALU_DEP_3)
	v_add_nc_u64_e32 v[22:23], s[12:13], v[18:19]
	v_mov_b32_e32 v18, v19
	s_mov_b32 s4, s9
	s_add_co_i32 s3, s8, -1
	s_mov_b32 s12, s23
	s_mov_b32 s9, 0
	s_branch .LBB118_40
.LBB118_39:                             ;   in Loop: Header=BB118_40 Depth=1
	s_or_b32 exec_lo, exec_lo, s0
	s_wait_dscnt 0x1
	v_cvt_pk_bf16_f32 v10, v10, v11
	v_cvt_pk_bf16_f32 v11, v12, v13
	s_wait_dscnt 0x0
	v_cvt_pk_bf16_f32 v6, v6, v7
	v_cvt_pk_bf16_f32 v7, v8, v9
	v_dual_add_nc_u32 v27, 4, v27 :: v_dual_add_nc_u32 v25, 32, v25
	s_wait_loadcnt 0x1
	v_pk_mul_bf16 v2, v10, v2
	v_pk_mul_bf16 v3, v11, v3
	;; [unrolled: 1-line block ×4, first 2 shown]
	s_wait_loadcnt 0x0
	v_pk_mul_bf16 v4, v10, v14
	v_dual_lshlrev_b32 v5, 16, v2 :: v_dual_lshlrev_b32 v14, 16, v3
	v_and_b32_e32 v2, 0xffff0000, v2
	v_pk_mul_bf16 v8, v11, v15
	v_pk_mul_bf16 v10, v6, v16
	;; [unrolled: 1-line block ×3, first 2 shown]
	s_delay_alu instid0(VALU_DEP_4)
	v_dual_add_f32 v2, v2, v5 :: v_dual_lshlrev_b32 v7, 16, v4
	v_and_b32_e32 v5, 0xffff0000, v4
	v_and_b32_e32 v4, 0xffff0000, v8
	v_dual_lshlrev_b32 v6, 16, v8 :: v_dual_lshlrev_b32 v11, 16, v10
	v_and_b32_e32 v3, 0xffff0000, v3
	v_and_b32_e32 v9, 0xffff0000, v10
	;; [unrolled: 1-line block ×3, first 2 shown]
	v_dual_lshlrev_b32 v10, 16, v15 :: v_dual_lshlrev_b32 v15, 16, v12
	v_pk_add_f32 v[4:5], v[6:7], v[4:5]
	v_and_b32_e32 v12, 0xffff0000, v12
	v_add_f32_e32 v6, v3, v14
	s_delay_alu instid0(VALU_DEP_4) | instskip(NEXT) | instid1(VALU_DEP_4)
	v_pk_add_f32 v[8:9], v[10:11], v[8:9]
	v_dual_mov_b32 v7, v4 :: v_dual_lshlrev_b32 v10, 16, v13
	s_delay_alu instid0(VALU_DEP_4) | instskip(SKIP_1) | instid1(VALU_DEP_4)
	v_dual_mov_b32 v3, v5 :: v_dual_add_f32 v4, v12, v15
	v_and_b32_e32 v11, 0xffff0000, v13
	v_mov_b32_e32 v5, v9
	v_cmp_le_i32_e32 vcc_lo, s8, v27
	s_delay_alu instid0(VALU_DEP_4) | instskip(NEXT) | instid1(VALU_DEP_4)
	v_pk_add_f32 v[2:3], v[6:7], v[2:3]
	v_dual_mov_b32 v7, v8 :: v_dual_add_f32 v6, v11, v10
	v_add_nc_u64_e32 v[22:23], 16, v[22:23]
	v_add_nc_u32_e32 v26, 0x80, v26
	s_delay_alu instid0(VALU_DEP_4) | instskip(SKIP_1) | instid1(VALU_DEP_1)
	v_pk_add_f32 v[2:3], v[4:5], v[2:3]
	s_or_b32 s9, vcc_lo, s9
	v_pk_add_f32 v[2:3], v[6:7], v[2:3]
	s_delay_alu instid0(VALU_DEP_1)
	v_pk_add_f32 v[18:19], v[18:19], v[2:3]
	s_and_not1_b32 exec_lo, exec_lo, s9
	s_cbranch_execz .LBB118_44
.LBB118_40:                             ; =>This Inner Loop Header: Depth=1
	global_load_b32 v2, v[22:23], off
	v_cmp_eq_u32_e32 vcc_lo, s3, v27
	v_or_b32_e32 v32, 3, v25
	v_or_b32_e32 v34, 2, v25
	v_or_b32_e32 v29, 5, v25
	v_or_b32_e32 v31, 4, v25
	v_or_b32_e32 v28, 7, v25
	v_dual_add_nc_u32 v33, 1, v25 :: v_dual_bitop2_b32 v30, 6, v25 bitop3:0x54
	s_wait_loadcnt 0x0
	v_ashrrev_i32_e32 v3, 31, v2
	s_delay_alu instid0(VALU_DEP_1) | instskip(NEXT) | instid1(VALU_DEP_1)
	v_mul_u64_e32 v[2:3], s[4:5], v[2:3]
	v_lshl_add_u64 v[14:15], v[2:3], 1, v[20:21]
	global_load_b128 v[2:5], v[14:15], off
	ds_load_2addr_b64 v[10:13], v26 offset1:1
	ds_load_2addr_b64 v[6:9], v26 offset0:2 offset1:3
	s_wait_xcnt 0x0
	s_and_saveexec_b32 s13, vcc_lo
	s_cbranch_execz .LBB118_42
; %bb.41:                               ;   in Loop: Header=BB118_40 Depth=1
	v_cmp_gt_i32_e64 s0, s23, v25
	s_wait_loadcnt 0x0
	s_delay_alu instid0(VALU_DEP_1) | instskip(SKIP_1) | instid1(VALU_DEP_1)
	v_dual_lshrrev_b32 v16, 16, v2 :: v_dual_cndmask_b32 v2, 0, v2, s0
	v_cmp_gt_i32_e64 s0, s12, v33
	v_dual_lshrrev_b32 v17, 16, v3 :: v_dual_cndmask_b32 v16, 0, v16, s0
	v_cmp_gt_i32_e64 s0, s23, v34
	s_delay_alu instid0(VALU_DEP_2) | instskip(NEXT) | instid1(VALU_DEP_2)
	v_perm_b32 v2, v16, v2, 0x5040100
	v_cndmask_b32_e64 v3, 0, v3, s0
	v_cmp_gt_i32_e64 s0, s12, v32
	s_delay_alu instid0(VALU_DEP_1) | instskip(SKIP_2) | instid1(VALU_DEP_3)
	v_cndmask_b32_e64 v17, 0, v17, s0
	v_cmp_gt_i32_e64 s0, s23, v31
	v_lshrrev_b32_e32 v35, 16, v4
	v_perm_b32 v3, v17, v3, 0x5040100
	s_delay_alu instid0(VALU_DEP_3) | instskip(SKIP_1) | instid1(VALU_DEP_1)
	v_cndmask_b32_e64 v4, 0, v4, s0
	v_cmp_gt_i32_e64 s0, s12, v29
	v_dual_lshrrev_b32 v36, 16, v5 :: v_dual_cndmask_b32 v35, 0, v35, s0
	v_cmp_gt_i32_e64 s0, s23, v30
	s_delay_alu instid0(VALU_DEP_2) | instskip(NEXT) | instid1(VALU_DEP_2)
	v_perm_b32 v4, v35, v4, 0x5040100
	v_cndmask_b32_e64 v5, 0, v5, s0
	v_cmp_gt_i32_e64 s0, s12, v28
	s_delay_alu instid0(VALU_DEP_1) | instskip(NEXT) | instid1(VALU_DEP_1)
	v_cndmask_b32_e64 v36, 0, v36, s0
	v_perm_b32 v5, v36, v5, 0x5040100
.LBB118_42:                             ;   in Loop: Header=BB118_40 Depth=1
	s_or_b32 exec_lo, exec_lo, s13
	global_load_b128 v[14:17], v[14:15], off offset:512
	s_wait_xcnt 0x0
	s_and_saveexec_b32 s0, vcc_lo
	s_cbranch_execz .LBB118_39
; %bb.43:                               ;   in Loop: Header=BB118_40 Depth=1
	v_cmp_gt_i32_e32 vcc_lo, s23, v25
	s_wait_loadcnt 0x0
	v_dual_cndmask_b32 v14, 0, v14 :: v_dual_lshrrev_b32 v35, 16, v14
	v_cmp_gt_i32_e32 vcc_lo, s12, v33
	s_delay_alu instid0(VALU_DEP_2) | instskip(SKIP_3) | instid1(VALU_DEP_2)
	v_cndmask_b32_e32 v33, 0, v35, vcc_lo
	v_cmp_gt_i32_e32 vcc_lo, s23, v34
	v_dual_cndmask_b32 v15, 0, v15 :: v_dual_lshrrev_b32 v36, 16, v15
	v_cmp_gt_i32_e32 vcc_lo, s12, v32
	v_cndmask_b32_e32 v32, 0, v36, vcc_lo
	v_cmp_gt_i32_e32 vcc_lo, s23, v31
	v_lshrrev_b32_e32 v34, 16, v16
	v_perm_b32 v14, v33, v14, 0x5040100
	s_delay_alu instid0(VALU_DEP_4) | instskip(SKIP_4) | instid1(VALU_DEP_2)
	v_perm_b32 v15, v32, v15, 0x5040100
	v_cndmask_b32_e32 v16, 0, v16, vcc_lo
	v_cmp_gt_i32_e32 vcc_lo, s12, v29
	v_dual_lshrrev_b32 v31, 16, v17 :: v_dual_cndmask_b32 v29, 0, v34, vcc_lo
	v_cmp_gt_i32_e32 vcc_lo, s23, v30
	v_perm_b32 v16, v29, v16, 0x5040100
	v_cndmask_b32_e32 v17, 0, v17, vcc_lo
	v_cmp_gt_i32_e32 vcc_lo, s12, v28
	v_cndmask_b32_e32 v28, 0, v31, vcc_lo
	s_delay_alu instid0(VALU_DEP_1)
	v_perm_b32 v17, v28, v17, 0x5040100
	s_branch .LBB118_39
.LBB118_44:
	s_or_b32 exec_lo, exec_lo, s9
.LBB118_45:
	s_delay_alu instid0(SALU_CYCLE_1) | instskip(SKIP_4) | instid1(VALU_DEP_2)
	s_or_b32 exec_lo, exec_lo, s1
	v_lshl_add_u32 v2, v24, 2, 0xa0
	v_and_b32_e32 v3, 0x3c0, v0
	s_mov_b32 s0, exec_lo
	s_barrier_signal -1
	v_lshl_add_u32 v1, v1, 8, v2
	s_barrier_wait -1
	v_cmpx_eq_u32_e32 64, v3
	s_cbranch_execz .LBB118_47
; %bb.46:
	s_delay_alu instid0(VALU_DEP_2)
	v_add_nc_u32_e32 v3, 0xfffffe00, v1
	v_add_nc_u32_e32 v4, 0xfffffe80, v1
	ds_store_b32 v3, v18
	ds_store_b32 v4, v19
.LBB118_47:
	s_or_b32 exec_lo, exec_lo, s0
	s_delay_alu instid0(SALU_CYCLE_1)
	s_mov_b32 s0, exec_lo
	s_wait_dscnt 0x0
	s_barrier_signal -1
	s_barrier_wait -1
	v_cmpx_gt_u32_e32 64, v0
	s_cbranch_execz .LBB118_49
; %bb.48:
	ds_load_2addr_b32 v[4:5], v1 offset1:32
	s_wait_dscnt 0x0
	v_pk_add_f32 v[18:19], v[18:19], v[4:5]
.LBB118_49:
	s_or_b32 exec_lo, exec_lo, s0
	v_and_b32_e32 v3, 0x3e0, v0
	s_mov_b32 s0, exec_lo
	s_barrier_signal -1
	s_barrier_wait -1
	s_delay_alu instid0(VALU_DEP_1)
	v_cmpx_eq_u32_e32 32, v3
; %bb.50:
	ds_store_2addr_b32 v2, v18, v19 offset1:32
; %bb.51:
	s_or_b32 exec_lo, exec_lo, s0
	s_wait_dscnt 0x0
	s_barrier_signal -1
	s_barrier_wait -1
	s_and_saveexec_b32 s0, s2
	s_cbranch_execz .LBB118_53
; %bb.52:
	ds_load_2addr_b32 v[2:3], v1 offset1:32
	s_wait_dscnt 0x0
	v_pk_add_f32 v[18:19], v[18:19], v[2:3]
.LBB118_53:
	s_or_b32 exec_lo, exec_lo, s0
	s_barrier_signal -1
	s_barrier_wait -1
	s_and_saveexec_b32 s0, s2
	s_cbranch_execz .LBB118_55
; %bb.54:
	s_wait_kmcnt 0x0
	s_mul_i32 s1, s22, s7
	s_bfe_u32 s5, ttmp6, 0x40014
	s_mul_i32 s1, s1, s21
	s_mul_i32 s0, s7, s6
	s_lshl_b32 s2, s1, 6
	s_lshr_b32 s4, ttmp7, 16
	s_ashr_i32 s3, s2, 31
	s_add_co_i32 s5, s5, 1
	s_ashr_i32 s1, s0, 31
	s_lshl_b64 s[2:3], s[2:3], 1
	s_mul_i32 s5, s4, s5
	s_bfe_u32 s6, ttmp6, 0x40008
	s_add_nc_u64 s[2:3], s[10:11], s[2:3]
	s_lshl_b64 s[0:1], s[0:1], 1
	s_add_co_i32 s6, s6, s5
	s_cmp_eq_u32 s20, 0
	s_add_nc_u64 s[0:1], s[2:3], s[0:1]
	s_cselect_b32 s2, s4, s6
	v_cvt_pk_bf16_f32 v1, v18, s0
	s_mov_b32 s3, 0
	s_lshl_b32 s2, s2, 7
	v_cvt_pk_bf16_f32 v2, v19, s0
	s_add_nc_u64 s[0:1], s[0:1], s[2:3]
	s_clause 0x1
	global_store_b16 v0, v1, s[0:1] scale_offset
	global_store_b16 v0, v2, s[0:1] offset:64 scale_offset
.LBB118_55:
	s_endpgm
	.section	.rodata,"a",@progbits
	.p2align	6, 0x0
	.amdhsa_kernel _ZN4vllm25paged_attention_v1_kernelI14__hip_bfloat16S1_Li64ELi8ELi128ELNS_18Fp8KVCacheDataTypeE0ELb0EEEvPT_PKS3_PKT0_S9_ifPKiSB_iPKfiiiSD_SD_iiiii
		.amdhsa_group_segment_fixed_size 160
		.amdhsa_private_segment_fixed_size 0
		.amdhsa_kernarg_size 384
		.amdhsa_user_sgpr_count 2
		.amdhsa_user_sgpr_dispatch_ptr 0
		.amdhsa_user_sgpr_queue_ptr 0
		.amdhsa_user_sgpr_kernarg_segment_ptr 1
		.amdhsa_user_sgpr_dispatch_id 0
		.amdhsa_user_sgpr_kernarg_preload_length 0
		.amdhsa_user_sgpr_kernarg_preload_offset 0
		.amdhsa_user_sgpr_private_segment_size 0
		.amdhsa_wavefront_size32 1
		.amdhsa_uses_dynamic_stack 0
		.amdhsa_enable_private_segment 0
		.amdhsa_system_sgpr_workgroup_id_x 1
		.amdhsa_system_sgpr_workgroup_id_y 1
		.amdhsa_system_sgpr_workgroup_id_z 1
		.amdhsa_system_sgpr_workgroup_info 0
		.amdhsa_system_vgpr_workitem_id 0
		.amdhsa_next_free_vgpr 42
		.amdhsa_next_free_sgpr 28
		.amdhsa_named_barrier_count 0
		.amdhsa_reserve_vcc 1
		.amdhsa_float_round_mode_32 0
		.amdhsa_float_round_mode_16_64 0
		.amdhsa_float_denorm_mode_32 3
		.amdhsa_float_denorm_mode_16_64 3
		.amdhsa_fp16_overflow 0
		.amdhsa_memory_ordered 1
		.amdhsa_forward_progress 1
		.amdhsa_inst_pref_size 35
		.amdhsa_round_robin_scheduling 0
		.amdhsa_exception_fp_ieee_invalid_op 0
		.amdhsa_exception_fp_denorm_src 0
		.amdhsa_exception_fp_ieee_div_zero 0
		.amdhsa_exception_fp_ieee_overflow 0
		.amdhsa_exception_fp_ieee_underflow 0
		.amdhsa_exception_fp_ieee_inexact 0
		.amdhsa_exception_int_div_zero 0
	.end_amdhsa_kernel
	.section	.text._ZN4vllm25paged_attention_v1_kernelI14__hip_bfloat16S1_Li64ELi8ELi128ELNS_18Fp8KVCacheDataTypeE0ELb0EEEvPT_PKS3_PKT0_S9_ifPKiSB_iPKfiiiSD_SD_iiiii,"axG",@progbits,_ZN4vllm25paged_attention_v1_kernelI14__hip_bfloat16S1_Li64ELi8ELi128ELNS_18Fp8KVCacheDataTypeE0ELb0EEEvPT_PKS3_PKT0_S9_ifPKiSB_iPKfiiiSD_SD_iiiii,comdat
.Lfunc_end118:
	.size	_ZN4vllm25paged_attention_v1_kernelI14__hip_bfloat16S1_Li64ELi8ELi128ELNS_18Fp8KVCacheDataTypeE0ELb0EEEvPT_PKS3_PKT0_S9_ifPKiSB_iPKfiiiSD_SD_iiiii, .Lfunc_end118-_ZN4vllm25paged_attention_v1_kernelI14__hip_bfloat16S1_Li64ELi8ELi128ELNS_18Fp8KVCacheDataTypeE0ELb0EEEvPT_PKS3_PKT0_S9_ifPKiSB_iPKfiiiSD_SD_iiiii
                                        ; -- End function
	.set _ZN4vllm25paged_attention_v1_kernelI14__hip_bfloat16S1_Li64ELi8ELi128ELNS_18Fp8KVCacheDataTypeE0ELb0EEEvPT_PKS3_PKT0_S9_ifPKiSB_iPKfiiiSD_SD_iiiii.num_vgpr, 42
	.set _ZN4vllm25paged_attention_v1_kernelI14__hip_bfloat16S1_Li64ELi8ELi128ELNS_18Fp8KVCacheDataTypeE0ELb0EEEvPT_PKS3_PKT0_S9_ifPKiSB_iPKfiiiSD_SD_iiiii.num_agpr, 0
	.set _ZN4vllm25paged_attention_v1_kernelI14__hip_bfloat16S1_Li64ELi8ELi128ELNS_18Fp8KVCacheDataTypeE0ELb0EEEvPT_PKS3_PKT0_S9_ifPKiSB_iPKfiiiSD_SD_iiiii.numbered_sgpr, 28
	.set _ZN4vllm25paged_attention_v1_kernelI14__hip_bfloat16S1_Li64ELi8ELi128ELNS_18Fp8KVCacheDataTypeE0ELb0EEEvPT_PKS3_PKT0_S9_ifPKiSB_iPKfiiiSD_SD_iiiii.num_named_barrier, 0
	.set _ZN4vllm25paged_attention_v1_kernelI14__hip_bfloat16S1_Li64ELi8ELi128ELNS_18Fp8KVCacheDataTypeE0ELb0EEEvPT_PKS3_PKT0_S9_ifPKiSB_iPKfiiiSD_SD_iiiii.private_seg_size, 0
	.set _ZN4vllm25paged_attention_v1_kernelI14__hip_bfloat16S1_Li64ELi8ELi128ELNS_18Fp8KVCacheDataTypeE0ELb0EEEvPT_PKS3_PKT0_S9_ifPKiSB_iPKfiiiSD_SD_iiiii.uses_vcc, 1
	.set _ZN4vllm25paged_attention_v1_kernelI14__hip_bfloat16S1_Li64ELi8ELi128ELNS_18Fp8KVCacheDataTypeE0ELb0EEEvPT_PKS3_PKT0_S9_ifPKiSB_iPKfiiiSD_SD_iiiii.uses_flat_scratch, 0
	.set _ZN4vllm25paged_attention_v1_kernelI14__hip_bfloat16S1_Li64ELi8ELi128ELNS_18Fp8KVCacheDataTypeE0ELb0EEEvPT_PKS3_PKT0_S9_ifPKiSB_iPKfiiiSD_SD_iiiii.has_dyn_sized_stack, 0
	.set _ZN4vllm25paged_attention_v1_kernelI14__hip_bfloat16S1_Li64ELi8ELi128ELNS_18Fp8KVCacheDataTypeE0ELb0EEEvPT_PKS3_PKT0_S9_ifPKiSB_iPKfiiiSD_SD_iiiii.has_recursion, 0
	.set _ZN4vllm25paged_attention_v1_kernelI14__hip_bfloat16S1_Li64ELi8ELi128ELNS_18Fp8KVCacheDataTypeE0ELb0EEEvPT_PKS3_PKT0_S9_ifPKiSB_iPKfiiiSD_SD_iiiii.has_indirect_call, 0
	.section	.AMDGPU.csdata,"",@progbits
; Kernel info:
; codeLenInByte = 4436
; TotalNumSgprs: 30
; NumVgprs: 42
; ScratchSize: 0
; MemoryBound: 0
; FloatMode: 240
; IeeeMode: 1
; LDSByteSize: 160 bytes/workgroup (compile time only)
; SGPRBlocks: 0
; VGPRBlocks: 2
; NumSGPRsForWavesPerEU: 30
; NumVGPRsForWavesPerEU: 42
; NamedBarCnt: 0
; Occupancy: 16
; WaveLimiterHint : 1
; COMPUTE_PGM_RSRC2:SCRATCH_EN: 0
; COMPUTE_PGM_RSRC2:USER_SGPR: 2
; COMPUTE_PGM_RSRC2:TRAP_HANDLER: 0
; COMPUTE_PGM_RSRC2:TGID_X_EN: 1
; COMPUTE_PGM_RSRC2:TGID_Y_EN: 1
; COMPUTE_PGM_RSRC2:TGID_Z_EN: 1
; COMPUTE_PGM_RSRC2:TIDIG_COMP_CNT: 0
	.section	.text._ZN4vllm25paged_attention_v1_kernelI14__hip_bfloat16S1_Li80ELi8ELi128ELNS_18Fp8KVCacheDataTypeE0ELb0EEEvPT_PKS3_PKT0_S9_ifPKiSB_iPKfiiiSD_SD_iiiii,"axG",@progbits,_ZN4vllm25paged_attention_v1_kernelI14__hip_bfloat16S1_Li80ELi8ELi128ELNS_18Fp8KVCacheDataTypeE0ELb0EEEvPT_PKS3_PKT0_S9_ifPKiSB_iPKfiiiSD_SD_iiiii,comdat
	.protected	_ZN4vllm25paged_attention_v1_kernelI14__hip_bfloat16S1_Li80ELi8ELi128ELNS_18Fp8KVCacheDataTypeE0ELb0EEEvPT_PKS3_PKT0_S9_ifPKiSB_iPKfiiiSD_SD_iiiii ; -- Begin function _ZN4vllm25paged_attention_v1_kernelI14__hip_bfloat16S1_Li80ELi8ELi128ELNS_18Fp8KVCacheDataTypeE0ELb0EEEvPT_PKS3_PKT0_S9_ifPKiSB_iPKfiiiSD_SD_iiiii
	.globl	_ZN4vllm25paged_attention_v1_kernelI14__hip_bfloat16S1_Li80ELi8ELi128ELNS_18Fp8KVCacheDataTypeE0ELb0EEEvPT_PKS3_PKT0_S9_ifPKiSB_iPKfiiiSD_SD_iiiii
	.p2align	8
	.type	_ZN4vllm25paged_attention_v1_kernelI14__hip_bfloat16S1_Li80ELi8ELi128ELNS_18Fp8KVCacheDataTypeE0ELb0EEEvPT_PKS3_PKT0_S9_ifPKiSB_iPKfiiiSD_SD_iiiii,@function
_ZN4vllm25paged_attention_v1_kernelI14__hip_bfloat16S1_Li80ELi8ELi128ELNS_18Fp8KVCacheDataTypeE0ELb0EEEvPT_PKS3_PKT0_S9_ifPKiSB_iPKfiiiSD_SD_iiiii: ; @_ZN4vllm25paged_attention_v1_kernelI14__hip_bfloat16S1_Li80ELi8ELi128ELNS_18Fp8KVCacheDataTypeE0ELb0EEEvPT_PKS3_PKT0_S9_ifPKiSB_iPKfiiiSD_SD_iiiii
; %bb.0:
	s_load_b64 s[6:7], s[0:1], 0x20
	s_bfe_u32 s3, ttmp6, 0x4000c
	s_bfe_u32 s5, ttmp6, 0x40010
	s_and_b32 s4, ttmp7, 0xffff
	s_add_co_i32 s3, s3, 1
	s_add_co_i32 s5, s5, 1
	s_and_b32 s2, ttmp6, 15
	s_bfe_u32 s8, ttmp6, 0x40004
	s_mul_i32 s3, ttmp9, s3
	s_mul_i32 s5, s4, s5
	s_getreg_b32 s18, hwreg(HW_REG_IB_STS2, 6, 4)
	s_add_co_i32 s2, s2, s3
	s_add_co_i32 s8, s8, s5
	s_cmp_eq_u32 s18, 0
	s_clause 0x1
	s_load_b32 s19, s[0:1], 0x80
	s_load_b64 s[10:11], s[0:1], 0x30
	s_cselect_b32 s20, s4, s8
	s_cselect_b32 s8, ttmp9, s2
	s_wait_kmcnt 0x0
	s_abs_i32 s2, s6
	s_delay_alu instid0(SALU_CYCLE_1) | instskip(SKIP_1) | instid1(SALU_CYCLE_2)
	s_cvt_f32_u32 s3, s2
	s_sub_co_i32 s4, 0, s2
	v_rcp_iflag_f32_e32 v1, s3
	s_abs_i32 s5, s19
	v_nop
	s_delay_alu instid0(TRANS32_DEP_1) | instskip(SKIP_1) | instid1(SALU_CYCLE_3)
	v_readfirstlane_b32 s3, v1
	s_mul_f32 s3, s3, 0x4f7ffffe
	s_cvt_u32_f32 s3, s3
	s_delay_alu instid0(SALU_CYCLE_3) | instskip(NEXT) | instid1(SALU_CYCLE_1)
	s_mul_i32 s4, s4, s3
	s_mul_hi_u32 s4, s3, s4
	s_delay_alu instid0(SALU_CYCLE_1) | instskip(SKIP_4) | instid1(SALU_CYCLE_1)
	s_add_co_i32 s3, s3, s4
	s_xor_b32 s4, s19, s6
	s_mul_hi_u32 s3, s5, s3
	s_ashr_i32 s4, s4, 31
	s_mul_i32 s6, s3, s2
	s_sub_co_i32 s5, s5, s6
	s_add_co_i32 s6, s3, 1
	s_sub_co_i32 s9, s5, s2
	s_cmp_ge_u32 s5, s2
	s_cselect_b32 s3, s6, s3
	s_cselect_b32 s5, s9, s5
	s_add_co_i32 s6, s3, 1
	s_cmp_ge_u32 s5, s2
	s_cselect_b32 s2, s6, s3
	s_mov_b32 s3, 0
	s_xor_b32 s2, s2, s4
	s_mov_b32 s13, s3
	s_sub_co_i32 s15, s2, s4
	s_load_b64 s[4:5], s[0:1], 0x40
	s_abs_i32 s14, s15
	s_mov_b32 s23, s3
	s_cvt_f32_u32 s2, s14
	s_delay_alu instid0(SALU_CYCLE_3) | instskip(SKIP_1) | instid1(TRANS32_DEP_1)
	v_rcp_iflag_f32_e32 v1, s2
	v_nop
	v_readfirstlane_b32 s2, v1
	s_mul_f32 s2, s2, 0x4f7ffffe
	s_delay_alu instid0(SALU_CYCLE_3) | instskip(SKIP_1) | instid1(SALU_CYCLE_2)
	s_cvt_u32_f32 s6, s2
	s_sub_co_i32 s2, 0, s14
	s_mul_i32 s2, s2, s6
	s_delay_alu instid0(SALU_CYCLE_1)
	s_mul_hi_u32 s9, s6, s2
	s_abs_i32 s2, s8
	s_add_co_i32 s12, s6, s9
	s_wait_kmcnt 0x0
	s_cmp_eq_u64 s[4:5], 0
	s_cbranch_scc1 .LBB119_2
; %bb.1:
	s_ashr_i32 s9, s8, 31
	s_delay_alu instid0(SALU_CYCLE_1) | instskip(NEXT) | instid1(SALU_CYCLE_1)
	s_lshl_b64 s[16:17], s[8:9], 2
	s_add_nc_u64 s[4:5], s[4:5], s[16:17]
	s_load_b32 s23, s[4:5], 0x0
.LBB119_2:
	s_load_b32 s21, s[10:11], s20 offset:0x0 scale_offset
	s_wait_xcnt 0x0
	s_load_b96 s[4:6], s[0:1], 0x48
	v_and_b32_e32 v6, 3, v0
	s_ashr_i32 s16, s8, 31
	s_ashr_i32 s15, s15, 31
	s_mul_u64 s[10:11], s[2:3], s[12:13]
	s_mulk_i32 s8, 0x50
	s_mov_b32 s3, exec_lo
	v_cmpx_gt_u32_e32 40, v0
	s_cbranch_execz .LBB119_4
; %bb.3:
	s_load_b64 s[12:13], s[0:1], 0x8
	s_wait_kmcnt 0x0
	s_mul_i32 s24, s4, s20
	s_ashr_i32 s9, s8, 31
	s_ashr_i32 s25, s24, 31
	v_and_b32_e32 v2, 0x3fc, v0
	s_lshl_b64 s[24:25], s[24:25], 1
	s_delay_alu instid0(VALU_DEP_1) | instskip(SKIP_2) | instid1(SALU_CYCLE_1)
	v_mad_u32_u24 v2, v6, 40, v2
	s_add_nc_u64 s[12:13], s[12:13], s[24:25]
	s_lshl_b64 s[24:25], s[8:9], 1
	s_add_nc_u64 s[12:13], s[12:13], s[24:25]
	global_load_b32 v1, v0, s[12:13] scale_offset
	s_wait_loadcnt 0x0
	ds_store_b32 v2, v1
.LBB119_4:
	s_or_b32 exec_lo, exec_lo, s3
	s_wait_kmcnt 0x0
	s_add_co_i32 s3, s21, 7
	s_load_b32 s4, s[0:1], 0x38
	s_ashr_i32 s9, s3, 31
	s_mul_i32 s12, s11, s14
	s_lshr_b32 s9, s9, 29
	s_sub_co_i32 s2, s2, s12
	s_add_co_i32 s3, s3, s9
	s_xor_b32 s10, s16, s15
	s_ashr_i32 s22, s3, 3
	s_add_co_i32 s3, s11, 1
	s_sub_co_i32 s9, s2, s14
	s_cmp_ge_u32 s2, s14
	v_lshrrev_b32_e32 v1, 5, v0
	s_cselect_b32 s3, s3, s11
	s_cselect_b32 s2, s9, s2
	s_add_co_i32 s9, s3, 1
	s_cmp_ge_u32 s2, s14
	v_mbcnt_lo_u32_b32 v9, -1, 0
	s_cselect_b32 s2, s9, s3
	s_wait_dscnt 0x0
	s_xor_b32 s2, s2, s10
	s_barrier_signal -1
	s_sub_co_i32 s3, s2, s10
	v_cmp_gt_i32_e64 s2, s22, v1
	s_wait_kmcnt 0x0
	s_mul_i32 s10, s4, s20
	s_mov_b32 s4, exec_lo
	s_ashr_i32 s11, s10, 31
	s_barrier_wait -1
                                        ; implicit-def: $vgpr3
                                        ; implicit-def: $vgpr10
	v_cmpx_le_i32_e64 s22, v1
	s_xor_b32 s4, exec_lo, s4
; %bb.5:
	v_dual_mov_b32 v3, 0 :: v_dual_mov_b32 v10, 32
	v_mbcnt_lo_u32_b32 v9, -1, 0
                                        ; implicit-def: $vgpr6
; %bb.6:
	s_or_saveexec_b32 s24, s4
	s_clause 0x1
	s_load_b64 s[12:13], s[0:1], 0x28
	s_load_b32 s9, s[0:1], 0x88
	v_mov_b32_e32 v2, 0xff7fffff
	v_lshrrev_b32_e32 v8, 3, v0
	s_mul_i32 s14, s3, s6
	s_xor_b32 exec_lo, exec_lo, s24
	s_cbranch_execz .LBB119_12
; %bb.7:
	v_mul_u32_u24_e32 v4, 40, v6
	s_load_b64 s[26:27], s[0:1], 0x10
	v_bfe_u32 v7, v0, 2, 3
	s_ashr_i32 s15, s14, 31
	v_dual_mov_b32 v3, 0 :: v_dual_lshlrev_b32 v10, 2, v0
	ds_load_2addr_b64 v[16:19], v4 offset1:1
	ds_load_2addr_b64 v[24:27], v4 offset0:2 offset1:3
	ds_load_b64 v[30:31], v4 offset:32
	v_lshlrev_b32_e32 v2, 4, v7
	s_lshl_b64 s[28:29], s[14:15], 1
	s_ashr_i32 s17, s5, 31
	s_cmp_neq_f32 s23, 0
	s_mov_b32 s16, s5
	s_mov_b32 s6, 0
	v_lshlrev_b32_e32 v33, 2, v7
	s_cselect_b32 s3, -1, 0
	s_sub_co_i32 s15, 1, s21
	v_mov_b32_e32 v35, v1
	s_wait_kmcnt 0x0
	s_add_nc_u64 s[26:27], s[26:27], s[28:29]
	s_wait_dscnt 0x2
	v_lshlrev_b32_e32 v11, 16, v16
	v_add_nc_u64_e32 v[4:5], s[26:27], v[2:3]
	v_dual_lshlrev_b32 v13, 16, v17 :: v_dual_bitop2_b32 v2, 12, v10 bitop3:0x40
	v_and_b32_e32 v12, 0xffff0000, v16
	v_and_b32_e32 v14, 0xffff0000, v17
	v_dual_lshlrev_b32 v15, 16, v18 :: v_dual_lshlrev_b32 v17, 16, v19
	v_and_b32_e32 v16, 0xffff0000, v18
	v_and_b32_e32 v18, 0xffff0000, v19
	s_wait_dscnt 0x1
	v_dual_lshlrev_b32 v19, 16, v24 :: v_dual_lshlrev_b32 v21, 16, v25
	v_and_b32_e32 v20, 0xffff0000, v24
	v_and_b32_e32 v22, 0xffff0000, v25
	v_dual_lshlrev_b32 v23, 16, v26 :: v_dual_lshlrev_b32 v25, 16, v27
	v_and_b32_e32 v24, 0xffff0000, v26
	v_add_nc_u64_e32 v[4:5], v[4:5], v[2:3]
	v_and_b32_e32 v26, 0xffff0000, v27
	s_wait_dscnt 0x0
	v_dual_lshlrev_b32 v27, 16, v30 :: v_dual_bitop2_b32 v2, 2, v9 bitop3:0x14
	v_dual_lshlrev_b32 v29, 16, v31 :: v_dual_bitop2_b32 v10, 1, v9 bitop3:0x14
	v_and_b32_e32 v28, 0xffff0000, v30
	v_and_b32_e32 v30, 0xffff0000, v31
	s_delay_alu instid0(VALU_DEP_4) | instskip(SKIP_1) | instid1(SALU_CYCLE_1)
	v_cmp_gt_i32_e32 vcc_lo, 32, v2
	s_lshl_b64 s[26:27], s[10:11], 2
	s_add_nc_u64 s[26:27], s[12:13], s[26:27]
	v_cndmask_b32_e32 v2, v9, v2, vcc_lo
	v_cmp_gt_i32_e32 vcc_lo, 32, v10
	v_dual_cndmask_b32 v32, v9, v10, vcc_lo :: v_dual_mov_b32 v10, 32
	s_delay_alu instid0(VALU_DEP_3)
	v_lshlrev_b32_e32 v31, 2, v2
	v_cmp_eq_u32_e32 vcc_lo, 0, v6
	v_lshl_or_b32 v6, v1, 5, v33
	v_and_b32_e32 v2, 0x7c, v8
	v_lshl_or_b32 v33, v1, 3, v7
	v_lshlrev_b32_e32 v32, 2, v32
	s_delay_alu instid0(VALU_DEP_4) | instskip(NEXT) | instid1(VALU_DEP_4)
	v_add_nc_u32_e32 v34, 0xc0, v6
	v_add_nc_u64_e32 v[6:7], s[26:27], v[2:3]
	v_mov_b32_e32 v2, 0xff7fffff
	s_branch .LBB119_9
.LBB119_8:                              ;   in Loop: Header=BB119_9 Depth=1
	s_or_b32 exec_lo, exec_lo, s25
	v_dual_add_nc_u32 v35, 4, v35 :: v_dual_add_nc_u32 v33, 32, v33
	v_add_nc_u64_e32 v[6:7], 16, v[6:7]
	v_add_nc_u32_e32 v34, 0x80, v34
	s_delay_alu instid0(VALU_DEP_3) | instskip(SKIP_1) | instid1(SALU_CYCLE_1)
	v_cmp_le_i32_e64 s4, s22, v35
	s_or_b32 s6, s4, s6
	s_and_not1_b32 exec_lo, exec_lo, s6
	s_cbranch_execz .LBB119_11
.LBB119_9:                              ; =>This Inner Loop Header: Depth=1
	global_load_b32 v36, v[6:7], off
	s_wait_loadcnt_dscnt 0x0
	v_ashrrev_i32_e32 v37, 31, v36
	s_delay_alu instid0(VALU_DEP_1) | instskip(NEXT) | instid1(VALU_DEP_1)
	v_mul_u64_e32 v[36:37], s[16:17], v[36:37]
	v_lshl_add_u64 v[36:37], v[36:37], 1, v[4:5]
	s_clause 0x9
	global_load_b32 v38, v[36:37], off offset:128
	global_load_b32 v39, v[36:37], off
	global_load_b32 v40, v[36:37], off offset:256
	global_load_b32 v41, v[36:37], off offset:384
	;; [unrolled: 1-line block ×8, first 2 shown]
	s_wait_loadcnt 0x9
	s_wait_xcnt 0x0
	v_lshlrev_b32_e32 v36, 16, v38
	v_and_b32_e32 v37, 0xffff0000, v38
	s_delay_alu instid0(VALU_DEP_1) | instskip(SKIP_1) | instid1(VALU_DEP_1)
	v_dual_mul_f32 v36, v13, v36 :: v_dual_mul_f32 v37, v14, v37
	s_wait_loadcnt 0x8
	v_fma_mix_f32_bf16 v36, v11, v39, v36 op_sel_hi:[0,1,0]
	s_delay_alu instid0(VALU_DEP_2) | instskip(SKIP_1) | instid1(VALU_DEP_2)
	v_fma_mix_f32_bf16 v37, v12, v39, v37 op_sel:[0,1,0] op_sel_hi:[0,1,0]
	s_wait_loadcnt 0x7
	v_fma_mix_f32_bf16 v36, v15, v40, v36 op_sel_hi:[0,1,0]
	s_delay_alu instid0(VALU_DEP_2) | instskip(SKIP_1) | instid1(VALU_DEP_2)
	v_fma_mix_f32_bf16 v37, v16, v40, v37 op_sel:[0,1,0] op_sel_hi:[0,1,0]
	;; [unrolled: 4-line block ×8, first 2 shown]
	s_wait_loadcnt 0x0
	v_fma_mix_f32_bf16 v36, v29, v47, v36 op_sel_hi:[0,1,0]
	s_delay_alu instid0(VALU_DEP_2) | instskip(NEXT) | instid1(VALU_DEP_1)
	v_fma_mix_f32_bf16 v37, v30, v47, v37 op_sel:[0,1,0] op_sel_hi:[0,1,0]
	v_add_f32_e32 v36, v36, v37
	ds_bpermute_b32 v37, v31, v36
	s_wait_dscnt 0x0
	v_add_f32_e32 v36, v36, v37
	ds_bpermute_b32 v37, v32, v36
	s_and_saveexec_b32 s25, vcc_lo
	s_cbranch_execz .LBB119_8
; %bb.10:                               ;   in Loop: Header=BB119_9 Depth=1
	s_wait_dscnt 0x0
	v_add_f32_e32 v36, v36, v37
	v_add_nc_u32_e32 v38, s15, v33
	v_cmp_gt_i32_e64 s4, s21, v33
	s_delay_alu instid0(VALU_DEP_2) | instskip(NEXT) | instid1(VALU_DEP_1)
	v_cvt_f32_i32_e32 v38, v38
	v_mul_f32_e32 v38, s23, v38
	s_delay_alu instid0(VALU_DEP_1) | instskip(NEXT) | instid1(VALU_DEP_1)
	v_cndmask_b32_e64 v37, 0, v38, s3
	v_dual_max_num_f32 v38, v2, v2 :: v_dual_fmac_f32 v37, s7, v36
	s_delay_alu instid0(VALU_DEP_1) | instskip(NEXT) | instid1(VALU_DEP_1)
	v_dual_max_num_f32 v36, v38, v37 :: v_dual_cndmask_b32 v37, 0, v37, s4
	v_cndmask_b32_e64 v2, v2, v36, s4
	ds_store_b32 v34, v37
	s_branch .LBB119_8
.LBB119_11:
	s_or_b32 exec_lo, exec_lo, s6
.LBB119_12:
	s_delay_alu instid0(SALU_CYCLE_1)
	s_or_b32 exec_lo, exec_lo, s24
	v_dual_max_num_f32 v7, v2, v2 :: v_dual_bitop2_b32 v4, 16, v9 bitop3:0x14
	s_clause 0x1
	s_load_b64 s[6:7], s[0:1], 0x0
	s_load_b64 s[16:17], s[0:1], 0x18
	v_xor_b32_e32 v6, 8, v9
	v_and_b32_e32 v28, 31, v0
	v_cmp_lt_i32_e32 vcc_lo, v4, v10
	v_cndmask_b32_e32 v4, v9, v4, vcc_lo
	s_delay_alu instid0(VALU_DEP_4) | instskip(NEXT) | instid1(VALU_DEP_2)
	v_cmp_lt_i32_e32 vcc_lo, v6, v10
	v_lshlrev_b32_e32 v4, 2, v4
	ds_bpermute_b32 v5, v4, v2
	v_cndmask_b32_e32 v2, v9, v6, vcc_lo
	s_wait_dscnt 0x0
	s_delay_alu instid0(VALU_DEP_1) | instskip(NEXT) | instid1(VALU_DEP_1)
	v_dual_max_num_f32 v5, v5, v5 :: v_dual_lshlrev_b32 v2, 2, v2
	v_max_num_f32_e32 v5, v7, v5
	ds_bpermute_b32 v6, v2, v5
	s_wait_dscnt 0x0
	v_dual_max_num_f32 v6, v6, v6 :: v_dual_bitop2_b32 v7, 4, v9 bitop3:0x14
	s_delay_alu instid0(VALU_DEP_1) | instskip(NEXT) | instid1(VALU_DEP_2)
	v_max_num_f32_e32 v6, v5, v6
	v_cmp_lt_i32_e32 vcc_lo, v7, v10
	v_dual_lshlrev_b32 v5, 2, v1 :: v_dual_cndmask_b32 v7, v9, v7, vcc_lo
	v_cmp_eq_u32_e32 vcc_lo, 0, v28
	s_delay_alu instid0(VALU_DEP_2)
	v_lshlrev_b32_e32 v7, 2, v7
	ds_bpermute_b32 v11, v7, v6
	s_wait_xcnt 0x0
	s_and_saveexec_b32 s0, vcc_lo
	s_cbranch_execz .LBB119_14
; %bb.13:
	s_wait_dscnt 0x0
	v_dual_max_num_f32 v11, v11, v11 :: v_dual_max_num_f32 v6, v6, v6
	s_delay_alu instid0(VALU_DEP_1)
	v_max_num_f32_e32 v6, v6, v11
	ds_store_b32 v5, v6 offset:160
.LBB119_14:
	s_or_b32 exec_lo, exec_lo, s0
	v_cmp_gt_u32_e64 s0, 4, v28
	v_mov_b32_e32 v12, 0xff7fffff
	v_lshlrev_b32_e32 v6, 2, v28
	s_wait_dscnt 0x0
	s_barrier_signal -1
	s_barrier_wait -1
	s_and_saveexec_b32 s1, s0
; %bb.15:
	ds_load_b32 v12, v6 offset:160
; %bb.16:
	s_or_b32 exec_lo, exec_lo, s1
	v_xor_b32_e32 v11, 2, v9
	v_lshl_add_u32 v29, v0, 2, 0xc0
	v_dual_lshlrev_b32 v3, 2, v3 :: v_dual_bitop2_b32 v14, 1, v9 bitop3:0x14
	s_delay_alu instid0(VALU_DEP_3) | instskip(NEXT) | instid1(VALU_DEP_1)
	v_cmp_lt_i32_e64 s1, v11, v10
	v_cndmask_b32_e64 v11, v9, v11, s1
	s_delay_alu instid0(VALU_DEP_3) | instskip(NEXT) | instid1(VALU_DEP_1)
	v_cmp_lt_i32_e64 s1, v14, v10
	v_dual_lshlrev_b32 v11, 2, v11 :: v_dual_cndmask_b32 v10, v9, v14, s1
	s_lshl_b32 s1, s22, 3
	s_delay_alu instid0(SALU_CYCLE_1)
	s_min_i32 s4, s1, s21
	s_wait_dscnt 0x0
	ds_bpermute_b32 v13, v11, v12
	v_dual_max_num_f32 v12, v12, v12 :: v_dual_lshlrev_b32 v10, 2, v10
	v_cmp_gt_i32_e64 s1, s4, v0
	s_wait_dscnt 0x0
	v_max_num_f32_e32 v13, v13, v13
	s_delay_alu instid0(VALU_DEP_1) | instskip(SKIP_3) | instid1(VALU_DEP_1)
	v_max_num_f32_e32 v12, v12, v13
	ds_bpermute_b32 v13, v10, v12
	s_wait_dscnt 0x0
	v_max_num_f32_e32 v13, v13, v13
	v_max_num_f32_e32 v12, v12, v13
	ds_bpermute_b32 v12, v3, v12
	v_mov_b32_e32 v3, 0
	s_and_saveexec_b32 s15, s1
	s_cbranch_execz .LBB119_20
; %bb.17:
	v_lshl_add_u32 v13, v0, 2, 0xc0
	v_dual_mov_b32 v3, 0 :: v_dual_mov_b32 v14, v0
	s_mov_b32 s23, 0
.LBB119_18:                             ; =>This Inner Loop Header: Depth=1
	ds_load_b32 v15, v13
	v_add_nc_u32_e32 v14, 0x80, v14
	s_delay_alu instid0(VALU_DEP_1) | instskip(SKIP_3) | instid1(VALU_DEP_1)
	v_cmp_le_i32_e64 s3, s4, v14
	s_or_b32 s23, s3, s23
	s_wait_dscnt 0x0
	v_sub_f32_e32 v15, v15, v12
	v_mul_f32_e32 v15, 0x3fb8aa3b, v15
	s_delay_alu instid0(VALU_DEP_1)
	v_exp_f32_e32 v15, v15
	ds_store_b32 v13, v15
	v_nop
	v_add_f32_e32 v3, v3, v15
	v_add_nc_u32_e32 v13, 0x200, v13
	s_and_not1_b32 exec_lo, exec_lo, s23
	s_cbranch_execnz .LBB119_18
; %bb.19:
	s_or_b32 exec_lo, exec_lo, s23
.LBB119_20:
	s_delay_alu instid0(SALU_CYCLE_1)
	s_or_b32 exec_lo, exec_lo, s15
	ds_bpermute_b32 v4, v4, v3
	s_wait_dscnt 0x0
	v_add_f32_e32 v3, v3, v4
	ds_bpermute_b32 v2, v2, v3
	s_wait_dscnt 0x0
	v_add_f32_e32 v2, v3, v2
	;; [unrolled: 3-line block ×5, first 2 shown]
	s_and_saveexec_b32 s3, vcc_lo
; %bb.21:
	ds_store_b32 v5, v2 offset:176
; %bb.22:
	s_or_b32 exec_lo, exec_lo, s3
	s_wait_dscnt 0x0
	s_barrier_signal -1
	s_barrier_wait -1
	s_and_saveexec_b32 s3, s0
; %bb.23:
	ds_load_b32 v2, v6 offset:176
; %bb.24:
	s_or_b32 exec_lo, exec_lo, s3
	s_wait_dscnt 0x0
	ds_bpermute_b32 v3, v11, v2
	s_wait_dscnt 0x0
	v_dual_lshlrev_b32 v4, 2, v9 :: v_dual_add_f32 v2, v2, v3
	ds_bpermute_b32 v3, v10, v2
	s_wait_dscnt 0x0
	v_add_f32_e32 v2, v2, v3
	v_and_b32_e32 v3, 0xffffff80, v4
	ds_bpermute_b32 v2, v3, v2
	s_and_saveexec_b32 s0, s1
	s_cbranch_execz .LBB119_37
; %bb.25:
	s_wait_dscnt 0x0
	v_add_f32_e32 v2, 0x358637bd, v2
	s_mov_b32 s3, -1
	s_mov_b32 s1, exec_lo
	s_delay_alu instid0(VALU_DEP_1) | instskip(NEXT) | instid1(VALU_DEP_1)
	v_div_scale_f32 v3, null, v2, v2, 1.0
	v_rcp_f32_e32 v5, v3
	v_nop
	s_delay_alu instid0(TRANS32_DEP_1) | instskip(NEXT) | instid1(VALU_DEP_1)
	v_fma_f32 v4, -v3, v5, 1.0
	v_fmac_f32_e32 v5, v4, v5
	v_div_scale_f32 v6, vcc_lo, 1.0, v2, 1.0
	s_delay_alu instid0(VALU_DEP_1) | instskip(NEXT) | instid1(VALU_DEP_1)
	v_mul_f32_e32 v7, v6, v5
	v_fma_f32 v4, -v3, v7, v6
	s_delay_alu instid0(VALU_DEP_1) | instskip(SKIP_1) | instid1(VALU_DEP_2)
	v_fmac_f32_e32 v7, v4, v5
	v_xad_u32 v4, v0, -1, s4
	v_fma_f32 v3, -v3, v7, v6
	s_delay_alu instid0(VALU_DEP_1) | instskip(NEXT) | instid1(VALU_DEP_1)
	v_div_fmas_f32 v3, v3, v5, v7
	v_div_fixup_f32 v2, v3, v2, 1.0
	v_mov_b32_e32 v3, v0
	v_cmpx_lt_u32_e32 0x7f, v4
	s_cbranch_execz .LBB119_34
; %bb.26:
	s_delay_alu instid0(VALU_DEP_3) | instskip(NEXT) | instid1(VALU_DEP_1)
	v_dual_mov_b32 v3, v2 :: v_dual_lshrrev_b32 v4, 7, v4
	v_dual_mov_b32 v9, 0 :: v_dual_add_nc_u32 v5, -1, v4
	s_delay_alu instid0(VALU_DEP_1) | instskip(SKIP_1) | instid1(VALU_DEP_2)
	v_lshrrev_b32_e32 v6, 1, v5
	v_cmp_lt_u32_e32 vcc_lo, 13, v5
	v_add_nc_u32_e32 v5, 1, v6
	s_and_saveexec_b32 s3, vcc_lo
	s_cbranch_execz .LBB119_30
; %bb.27:
	s_delay_alu instid0(VALU_DEP_1)
	v_dual_mov_b32 v7, v29 :: v_dual_bitop2_b32 v6, -8, v5 bitop3:0x40
	s_mov_b32 s15, 0
	s_mov_b32 s23, 0
.LBB119_28:                             ; =>This Inner Loop Header: Depth=1
	ds_load_2addr_stride64_b32 v[10:11], v7 offset1:2
	ds_load_2addr_stride64_b32 v[12:13], v7 offset0:4 offset1:6
	ds_load_2addr_stride64_b32 v[14:15], v7 offset0:8 offset1:10
	;; [unrolled: 1-line block ×7, first 2 shown]
	s_add_co_i32 s23, s23, 16
	s_delay_alu instid0(SALU_CYCLE_1) | instskip(NEXT) | instid1(VALU_DEP_1)
	v_dual_mov_b32 v9, s23 :: v_dual_add_nc_u32 v6, -8, v6
	v_cmp_eq_u32_e32 vcc_lo, 0, v6
	s_or_b32 s15, vcc_lo, s15
	s_wait_dscnt 0x7
	v_pk_mul_f32 v[10:11], v[2:3], v[10:11]
	s_wait_dscnt 0x6
	v_pk_mul_f32 v[12:13], v[2:3], v[12:13]
	;; [unrolled: 2-line block ×8, first 2 shown]
	ds_store_2addr_stride64_b32 v7, v10, v11 offset1:2
	ds_store_2addr_stride64_b32 v7, v12, v13 offset0:4 offset1:6
	ds_store_2addr_stride64_b32 v7, v14, v15 offset0:8 offset1:10
	ds_store_2addr_stride64_b32 v7, v16, v17 offset0:12 offset1:14
	ds_store_2addr_stride64_b32 v7, v18, v19 offset0:16 offset1:18
	ds_store_2addr_stride64_b32 v7, v20, v21 offset0:20 offset1:22
	ds_store_2addr_stride64_b32 v7, v22, v23 offset0:24 offset1:26
	ds_store_2addr_stride64_b32 v7, v24, v25 offset0:28 offset1:30
	v_add_nc_u32_e32 v7, 0x2000, v7
	s_and_not1_b32 exec_lo, exec_lo, s15
	s_cbranch_execnz .LBB119_28
; %bb.29:
	s_or_b32 exec_lo, exec_lo, s15
.LBB119_30:
	s_delay_alu instid0(SALU_CYCLE_1) | instskip(NEXT) | instid1(VALU_DEP_1)
	s_or_b32 exec_lo, exec_lo, s3
	v_and_b32_e32 v5, 7, v5
	s_mov_b32 s15, 0
	s_mov_b32 s3, exec_lo
	s_delay_alu instid0(VALU_DEP_1)
	v_cmpx_ne_u32_e32 0, v5
	s_cbranch_execz .LBB119_33
; %bb.31:
	v_dual_lshlrev_b32 v6, 9, v9 :: v_dual_lshlrev_b32 v7, 2, v0
	s_delay_alu instid0(VALU_DEP_1)
	v_add3_u32 v6, v6, v7, 0xc0
.LBB119_32:                             ; =>This Inner Loop Header: Depth=1
	ds_load_2addr_stride64_b32 v[10:11], v6 offset1:2
	v_add_nc_u32_e32 v5, -1, v5
	s_delay_alu instid0(VALU_DEP_1)
	v_cmp_eq_u32_e32 vcc_lo, 0, v5
	s_or_b32 s15, vcc_lo, s15
	s_wait_dscnt 0x0
	v_pk_mul_f32 v[10:11], v[2:3], v[10:11]
	ds_store_2addr_stride64_b32 v6, v10, v11 offset1:2
	v_add_nc_u32_e32 v6, 0x400, v6
	s_and_not1_b32 exec_lo, exec_lo, s15
	s_cbranch_execnz .LBB119_32
.LBB119_33:
	s_or_b32 exec_lo, exec_lo, s3
	v_add_nc_u32_e32 v3, 1, v4
	s_delay_alu instid0(VALU_DEP_1) | instskip(NEXT) | instid1(VALU_DEP_1)
	v_and_b32_e32 v4, 0x3fffffe, v3
	v_cmp_ne_u32_e32 vcc_lo, v3, v4
	v_lshl_add_u32 v3, v4, 7, v0
	s_or_not1_b32 s3, vcc_lo, exec_lo
.LBB119_34:
	s_or_b32 exec_lo, exec_lo, s1
	s_delay_alu instid0(SALU_CYCLE_1)
	s_and_b32 exec_lo, exec_lo, s3
	s_cbranch_execz .LBB119_37
; %bb.35:
	v_lshl_add_u32 v4, v3, 2, 0xc0
	s_mov_b32 s1, 0
.LBB119_36:                             ; =>This Inner Loop Header: Depth=1
	ds_load_b32 v5, v4
	v_add_nc_u32_e32 v3, 0x80, v3
	s_delay_alu instid0(VALU_DEP_1)
	v_cmp_le_i32_e32 vcc_lo, s4, v3
	s_or_b32 s1, vcc_lo, s1
	s_wait_dscnt 0x0
	v_mul_f32_e32 v5, v2, v5
	ds_store_b32 v4, v5
	v_add_nc_u32_e32 v4, 0x200, v4
	s_and_not1_b32 exec_lo, exec_lo, s1
	s_cbranch_execnz .LBB119_36
.LBB119_37:
	s_or_b32 exec_lo, exec_lo, s0
	v_mov_b64_e32 v[18:19], 0
	v_dual_mov_b32 v30, 0 :: v_dual_bitop2_b32 v31, 64, v28 bitop3:0x54
	s_wait_dscnt 0x0
	s_barrier_signal -1
	s_barrier_wait -1
	s_and_saveexec_b32 s23, s2
	s_cbranch_execz .LBB119_49
; %bb.38:
	s_ashr_i32 s15, s14, 31
	v_dual_mov_b32 v21, 0 :: v_dual_lshlrev_b32 v2, 3, v28
	s_lshl_b64 s[0:1], s[14:15], 1
	v_and_b32_e32 v20, 0x7c, v8
	s_ashr_i32 s3, s5, 31
	s_mov_b32 s2, s5
	s_wait_kmcnt 0x0
	s_add_nc_u64 s[4:5], s[16:17], s[0:1]
	s_lshl_b64 s[0:1], s[10:11], 2
	v_dual_lshlrev_b32 v4, 3, v31 :: v_dual_lshlrev_b32 v32, 3, v1
	s_add_nc_u64 s[0:1], s[12:13], s[0:1]
	v_lshl_add_u32 v33, v1, 5, 0xc0
	v_add_nc_u64_e32 v[22:23], s[0:1], v[20:21]
	v_dual_mov_b32 v25, v21 :: v_dual_lshlrev_b32 v24, 1, v2
	v_dual_lshlrev_b32 v20, 1, v4 :: v_dual_mov_b32 v30, v21
	v_dual_mov_b32 v19, v21 :: v_dual_mov_b32 v18, v21
	v_mov_b32_e32 v34, v1
	s_add_co_i32 s10, s22, -1
	s_mov_b32 s12, s21
	s_mov_b32 s11, 0
	v_cmp_gt_u32_e32 vcc_lo, 0x50, v31
	s_branch .LBB119_41
.LBB119_39:                             ;   in Loop: Header=BB119_41 Depth=1
	s_or_b32 exec_lo, exec_lo, s13
	s_wait_loadcnt 0x0
	v_pk_mul_bf16 v10, v35, v10
	v_pk_mul_bf16 v11, v16, v11
	;; [unrolled: 1-line block ×4, first 2 shown]
	s_delay_alu instid0(VALU_DEP_3) | instskip(SKIP_4) | instid1(VALU_DEP_3)
	v_dual_lshlrev_b32 v17, 16, v10 :: v_dual_lshlrev_b32 v26, 16, v11
	v_and_b32_e32 v10, 0xffff0000, v10
	v_and_b32_e32 v11, 0xffff0000, v11
	v_lshlrev_b32_e32 v27, 16, v12
	v_and_b32_e32 v12, 0xffff0000, v12
	v_dual_add_f32 v10, v10, v17 :: v_dual_add_f32 v11, v11, v26
	s_delay_alu instid0(VALU_DEP_2) | instskip(NEXT) | instid1(VALU_DEP_2)
	v_dual_add_f32 v12, v12, v27 :: v_dual_lshlrev_b32 v17, 16, v13
	v_add_f32_e32 v10, v11, v10
	v_and_b32_e32 v11, 0xffff0000, v13
	s_delay_alu instid0(VALU_DEP_1) | instskip(NEXT) | instid1(VALU_DEP_1)
	v_dual_add_f32 v10, v12, v10 :: v_dual_add_f32 v11, v11, v17
	v_add_f32_e32 v10, v11, v10
	s_delay_alu instid0(VALU_DEP_1)
	v_add_f32_e32 v30, v30, v10
.LBB119_40:                             ;   in Loop: Header=BB119_41 Depth=1
	s_or_b32 exec_lo, exec_lo, s1
	s_wait_loadcnt 0x0
	v_pk_mul_bf16 v6, v35, v6
	v_pk_mul_bf16 v7, v16, v7
	;; [unrolled: 1-line block ×5, first 2 shown]
	s_delay_alu instid0(VALU_DEP_4)
	v_dual_lshlrev_b32 v10, 16, v6 :: v_dual_lshlrev_b32 v11, 16, v7
	v_and_b32_e32 v6, 0xffff0000, v6
	v_and_b32_e32 v7, 0xffff0000, v7
	v_pk_mul_bf16 v4, v15, v4
	v_pk_mul_bf16 v9, v14, v9
	;; [unrolled: 1-line block ×3, first 2 shown]
	s_delay_alu instid0(VALU_DEP_4) | instskip(SKIP_3) | instid1(VALU_DEP_4)
	v_dual_add_f32 v6, v10, v6 :: v_dual_add_f32 v7, v11, v7
	v_dual_lshlrev_b32 v10, 16, v8 :: v_dual_lshlrev_b32 v11, 16, v2
	v_and_b32_e32 v8, 0xffff0000, v8
	v_and_b32_e32 v2, 0xffff0000, v2
	v_dual_lshlrev_b32 v12, 16, v3 :: v_dual_add_f32 v6, v7, v6
	v_and_b32_e32 v3, 0xffff0000, v3
	s_delay_alu instid0(VALU_DEP_3) | instskip(SKIP_2) | instid1(VALU_DEP_4)
	v_dual_add_f32 v7, v10, v8 :: v_dual_add_f32 v2, v11, v2
	v_lshlrev_b32_e32 v8, 16, v4
	v_and_b32_e32 v4, 0xffff0000, v4
	v_dual_add_f32 v3, v12, v3 :: v_dual_lshlrev_b32 v10, 16, v9
	v_and_b32_e32 v9, 0xffff0000, v9
	v_add_nc_u32_e32 v32, 32, v32
	v_add_nc_u64_e32 v[22:23], 16, v[22:23]
	s_delay_alu instid0(VALU_DEP_4) | instskip(SKIP_3) | instid1(VALU_DEP_4)
	v_dual_add_f32 v2, v3, v2 :: v_dual_add_f32 v3, v8, v4
	v_lshlrev_b32_e32 v4, 16, v5
	v_and_b32_e32 v5, 0xffff0000, v5
	v_dual_add_f32 v6, v7, v6 :: v_dual_add_f32 v7, v10, v9
	v_dual_add_f32 v2, v3, v2 :: v_dual_add_nc_u32 v33, 0x80, v33
	s_delay_alu instid0(VALU_DEP_2) | instskip(SKIP_1) | instid1(VALU_DEP_2)
	v_dual_add_f32 v3, v4, v5 :: v_dual_add_f32 v4, v7, v6
	v_add_nc_u32_e32 v34, 4, v34
	v_add_f32_e32 v2, v3, v2
	s_delay_alu instid0(VALU_DEP_3) | instskip(NEXT) | instid1(VALU_DEP_3)
	v_add_f32_e32 v19, v19, v4
	v_cmp_le_i32_e64 s0, s22, v34
	s_delay_alu instid0(VALU_DEP_3) | instskip(SKIP_1) | instid1(SALU_CYCLE_1)
	v_add_f32_e32 v18, v18, v2
	s_or_b32 s11, s0, s11
	s_and_not1_b32 exec_lo, exec_lo, s11
	s_cbranch_execz .LBB119_48
.LBB119_41:                             ; =>This Inner Loop Header: Depth=1
	global_load_b32 v2, v[22:23], off
	v_cmp_eq_u32_e64 s0, s10, v34
	s_wait_loadcnt 0x0
	v_ashrrev_i32_e32 v3, 31, v2
	s_delay_alu instid0(VALU_DEP_1) | instskip(NEXT) | instid1(VALU_DEP_1)
	v_mul_u64_e32 v[2:3], s[2:3], v[2:3]
	v_lshl_add_u64 v[26:27], v[2:3], 1, s[4:5]
	s_delay_alu instid0(VALU_DEP_1)
	v_add_nc_u64_e32 v[6:7], v[26:27], v[24:25]
	global_load_b128 v[2:5], v[6:7], off
	ds_load_2addr_b64 v[14:17], v33 offset1:1
	ds_load_2addr_b64 v[10:13], v33 offset0:2 offset1:3
	s_wait_xcnt 0x0
	s_and_saveexec_b32 s13, s0
	s_cbranch_execz .LBB119_43
; %bb.42:                               ;   in Loop: Header=BB119_41 Depth=1
	s_wait_loadcnt 0x0
	v_dual_add_nc_u32 v8, 1, v32 :: v_dual_lshrrev_b32 v9, 16, v2
	v_dual_lshrrev_b32 v36, 16, v3 :: v_dual_bitop2_b32 v37, 4, v32 bitop3:0x54
	v_lshrrev_b32_e32 v39, 16, v5
	s_delay_alu instid0(VALU_DEP_3) | instskip(SKIP_1) | instid1(VALU_DEP_2)
	v_cmp_gt_i32_e64 s1, s12, v8
	v_or_b32_e32 v35, 2, v32
	v_dual_cndmask_b32 v8, 0, v9, s1 :: v_dual_bitop2_b32 v38, 7, v32 bitop3:0x54
	v_cmp_gt_i32_e64 s1, s21, v32
	s_delay_alu instid0(VALU_DEP_1) | instskip(NEXT) | instid1(VALU_DEP_4)
	v_dual_cndmask_b32 v2, 0, v2, s1 :: v_dual_bitop2_b32 v9, 3, v32 bitop3:0x54
	v_cmp_gt_i32_e64 s1, s21, v35
	v_or_b32_e32 v35, 5, v32
	s_delay_alu instid0(VALU_DEP_3) | instskip(NEXT) | instid1(VALU_DEP_3)
	v_perm_b32 v2, v8, v2, 0x5040100
	v_cndmask_b32_e64 v3, 0, v3, s1
	v_cmp_gt_i32_e64 s1, s12, v9
	s_delay_alu instid0(VALU_DEP_1) | instskip(SKIP_2) | instid1(VALU_DEP_3)
	v_cndmask_b32_e64 v9, 0, v36, s1
	v_cmp_gt_i32_e64 s1, s21, v37
	v_or_b32_e32 v37, 6, v32
	v_perm_b32 v3, v9, v3, 0x5040100
	s_delay_alu instid0(VALU_DEP_3) | instskip(SKIP_1) | instid1(VALU_DEP_1)
	v_dual_cndmask_b32 v36, 0, v4, s1 :: v_dual_lshrrev_b32 v4, 16, v4
	v_cmp_gt_i32_e64 s1, s12, v35
	v_cndmask_b32_e64 v4, 0, v4, s1
	v_cmp_gt_i32_e64 s1, s21, v37
	s_delay_alu instid0(VALU_DEP_2) | instskip(NEXT) | instid1(VALU_DEP_2)
	v_perm_b32 v4, v4, v36, 0x5040100
	v_cndmask_b32_e64 v5, 0, v5, s1
	v_cmp_gt_i32_e64 s1, s12, v38
	s_delay_alu instid0(VALU_DEP_1) | instskip(NEXT) | instid1(VALU_DEP_1)
	v_cndmask_b32_e64 v35, 0, v39, s1
	v_perm_b32 v5, v35, v5, 0x5040100
.LBB119_43:                             ;   in Loop: Header=BB119_41 Depth=1
	s_or_b32 exec_lo, exec_lo, s13
	global_load_b128 v[6:9], v[6:7], off offset:512
	s_wait_xcnt 0x0
	s_and_saveexec_b32 s13, s0
	s_cbranch_execz .LBB119_45
; %bb.44:                               ;   in Loop: Header=BB119_41 Depth=1
	s_wait_loadcnt 0x0
	v_dual_add_nc_u32 v35, 1, v32 :: v_dual_lshrrev_b32 v36, 16, v6
	v_dual_lshrrev_b32 v38, 16, v7 :: v_dual_lshrrev_b32 v41, 16, v9
	v_or_b32_e32 v40, 7, v32
	s_delay_alu instid0(VALU_DEP_3) | instskip(NEXT) | instid1(VALU_DEP_1)
	v_cmp_gt_i32_e64 s1, s12, v35
	v_cndmask_b32_e64 v35, 0, v36, s1
	v_cmp_gt_i32_e64 s1, s21, v32
	s_delay_alu instid0(VALU_DEP_1) | instskip(NEXT) | instid1(VALU_DEP_1)
	v_dual_cndmask_b32 v6, 0, v6, s1 :: v_dual_bitop2_b32 v37, 2, v32 bitop3:0x54
	v_cmp_gt_i32_e64 s1, s21, v37
	v_or_b32_e32 v36, 3, v32
	v_or_b32_e32 v37, 5, v32
	s_delay_alu instid0(VALU_DEP_4) | instskip(NEXT) | instid1(VALU_DEP_4)
	v_perm_b32 v6, v35, v6, 0x5040100
	v_cndmask_b32_e64 v7, 0, v7, s1
	s_delay_alu instid0(VALU_DEP_4) | instskip(NEXT) | instid1(VALU_DEP_1)
	v_cmp_gt_i32_e64 s1, s12, v36
	v_dual_cndmask_b32 v36, 0, v38, s1 :: v_dual_bitop2_b32 v39, 4, v32 bitop3:0x54
	s_delay_alu instid0(VALU_DEP_1) | instskip(SKIP_1) | instid1(VALU_DEP_3)
	v_cmp_gt_i32_e64 s1, s21, v39
	v_or_b32_e32 v39, 6, v32
	v_perm_b32 v7, v36, v7, 0x5040100
	s_delay_alu instid0(VALU_DEP_3) | instskip(SKIP_1) | instid1(VALU_DEP_1)
	v_dual_cndmask_b32 v38, 0, v8, s1 :: v_dual_lshrrev_b32 v8, 16, v8
	v_cmp_gt_i32_e64 s1, s12, v37
	v_cndmask_b32_e64 v8, 0, v8, s1
	v_cmp_gt_i32_e64 s1, s21, v39
	s_delay_alu instid0(VALU_DEP_2) | instskip(NEXT) | instid1(VALU_DEP_2)
	v_perm_b32 v8, v8, v38, 0x5040100
	v_cndmask_b32_e64 v9, 0, v9, s1
	v_cmp_gt_i32_e64 s1, s12, v40
	s_delay_alu instid0(VALU_DEP_1) | instskip(NEXT) | instid1(VALU_DEP_1)
	v_cndmask_b32_e64 v37, 0, v41, s1
	v_perm_b32 v9, v37, v9, 0x5040100
.LBB119_45:                             ;   in Loop: Header=BB119_41 Depth=1
	s_or_b32 exec_lo, exec_lo, s13
	s_wait_dscnt 0x1
	v_cvt_pk_bf16_f32 v35, v14, v15
	v_cvt_pk_bf16_f32 v16, v16, v17
	s_wait_dscnt 0x0
	v_cvt_pk_bf16_f32 v15, v10, v11
	v_cvt_pk_bf16_f32 v14, v12, v13
	s_and_saveexec_b32 s1, vcc_lo
	s_cbranch_execz .LBB119_40
; %bb.46:                               ;   in Loop: Header=BB119_41 Depth=1
	v_add_nc_u64_e32 v[10:11], v[26:27], v[20:21]
	global_load_b128 v[10:13], v[10:11], off
	s_wait_xcnt 0x0
	s_and_saveexec_b32 s13, s0
	s_cbranch_execz .LBB119_39
; %bb.47:                               ;   in Loop: Header=BB119_41 Depth=1
	s_wait_loadcnt 0x0
	v_dual_add_nc_u32 v17, 1, v32 :: v_dual_lshrrev_b32 v26, 16, v10
	v_dual_lshrrev_b32 v36, 16, v11 :: v_dual_bitop2_b32 v37, 4, v32 bitop3:0x54
	v_lshrrev_b32_e32 v39, 16, v13
	s_delay_alu instid0(VALU_DEP_3) | instskip(SKIP_1) | instid1(VALU_DEP_2)
	v_cmp_gt_i32_e64 s0, s12, v17
	v_or_b32_e32 v27, 2, v32
	v_dual_cndmask_b32 v17, 0, v26, s0 :: v_dual_bitop2_b32 v38, 7, v32 bitop3:0x54
	v_cmp_gt_i32_e64 s0, s21, v32
	s_delay_alu instid0(VALU_DEP_1) | instskip(NEXT) | instid1(VALU_DEP_4)
	v_dual_cndmask_b32 v10, 0, v10, s0 :: v_dual_bitop2_b32 v26, 3, v32 bitop3:0x54
	v_cmp_gt_i32_e64 s0, s21, v27
	v_or_b32_e32 v27, 5, v32
	s_delay_alu instid0(VALU_DEP_3) | instskip(NEXT) | instid1(VALU_DEP_3)
	v_perm_b32 v10, v17, v10, 0x5040100
	v_cndmask_b32_e64 v11, 0, v11, s0
	v_cmp_gt_i32_e64 s0, s12, v26
	s_delay_alu instid0(VALU_DEP_1) | instskip(SKIP_2) | instid1(VALU_DEP_3)
	v_cndmask_b32_e64 v26, 0, v36, s0
	v_cmp_gt_i32_e64 s0, s21, v37
	v_or_b32_e32 v37, 6, v32
	v_perm_b32 v11, v26, v11, 0x5040100
	s_delay_alu instid0(VALU_DEP_3) | instskip(SKIP_1) | instid1(VALU_DEP_1)
	v_dual_cndmask_b32 v36, 0, v12, s0 :: v_dual_lshrrev_b32 v12, 16, v12
	v_cmp_gt_i32_e64 s0, s12, v27
	v_cndmask_b32_e64 v12, 0, v12, s0
	v_cmp_gt_i32_e64 s0, s21, v37
	s_delay_alu instid0(VALU_DEP_2) | instskip(NEXT) | instid1(VALU_DEP_2)
	v_perm_b32 v12, v12, v36, 0x5040100
	v_cndmask_b32_e64 v13, 0, v13, s0
	v_cmp_gt_i32_e64 s0, s12, v38
	s_delay_alu instid0(VALU_DEP_1) | instskip(NEXT) | instid1(VALU_DEP_1)
	v_cndmask_b32_e64 v27, 0, v39, s0
	v_perm_b32 v13, v27, v13, 0x5040100
	s_branch .LBB119_39
.LBB119_48:
	s_or_b32 exec_lo, exec_lo, s11
.LBB119_49:
	s_delay_alu instid0(SALU_CYCLE_1)
	s_or_b32 exec_lo, exec_lo, s23
	s_movk_i32 s0, 0x140
	v_and_b32_e32 v2, 0x3c0, v0
	v_mad_u32_u24 v1, v1, s0, 0xc0
	s_mov_b32 s0, exec_lo
	s_barrier_signal -1
	s_barrier_wait -1
	v_cmpx_eq_u32_e32 64, v2
	s_cbranch_execz .LBB119_52
; %bb.50:
	v_add_nc_u32_e32 v2, 0xfffffd80, v1
	v_cmp_gt_u32_e32 vcc_lo, 0x50, v31
	s_delay_alu instid0(VALU_DEP_2)
	v_lshl_add_u32 v3, v28, 2, v2
	ds_store_2addr_b32 v3, v18, v19 offset1:32
	s_and_b32 exec_lo, exec_lo, vcc_lo
; %bb.51:
	v_lshl_add_u32 v2, v31, 2, v2
	ds_store_b32 v2, v30
.LBB119_52:
	s_or_b32 exec_lo, exec_lo, s0
	v_lshl_add_u32 v4, v28, 2, v1
	s_mov_b32 s0, exec_lo
	s_wait_dscnt 0x0
	s_barrier_signal -1
	s_barrier_wait -1
	v_cmpx_gt_u32_e32 64, v0
	s_cbranch_execz .LBB119_56
; %bb.53:
	v_lshl_or_b32 v2, v0, 2, 0x80
	s_mov_b32 s1, exec_lo
	s_delay_alu instid0(VALU_DEP_1)
	v_add_nc_u32_e32 v3, v1, v2
	ds_load_b32 v2, v4
	ds_load_b32 v3, v3
	v_cmpx_gt_u32_e32 0x50, v31
	s_cbranch_execz .LBB119_55
; %bb.54:
	ds_load_b32 v5, v4 offset:256
	s_wait_dscnt 0x0
	v_add_f32_e32 v30, v30, v5
.LBB119_55:
	s_or_b32 exec_lo, exec_lo, s1
	s_wait_dscnt 0x0
	v_pk_add_f32 v[18:19], v[18:19], v[2:3]
.LBB119_56:
	s_or_b32 exec_lo, exec_lo, s0
	v_and_b32_e32 v2, 0x3e0, v0
	s_mov_b32 s0, exec_lo
	s_barrier_signal -1
	s_barrier_wait -1
	s_delay_alu instid0(VALU_DEP_1)
	v_cmpx_eq_u32_e32 32, v2
	s_cbranch_execz .LBB119_59
; %bb.57:
	v_lshl_add_u32 v2, v28, 2, 0xc0
	v_cmp_gt_u32_e32 vcc_lo, 0x50, v31
	ds_store_b32 v2, v18
	ds_store_b32 v29, v19
	s_and_b32 exec_lo, exec_lo, vcc_lo
; %bb.58:
	ds_store_b32 v2, v30 offset:256
.LBB119_59:
	s_or_b32 exec_lo, exec_lo, s0
	v_cmp_gt_u32_e32 vcc_lo, 32, v0
	v_or_b32_e32 v5, 64, v0
	s_wait_dscnt 0x0
	s_barrier_signal -1
	s_barrier_wait -1
	s_and_saveexec_b32 s1, vcc_lo
	s_cbranch_execz .LBB119_63
; %bb.60:
	v_lshl_add_u32 v1, v0, 2, v1
	s_mov_b32 s2, exec_lo
	ds_load_b32 v2, v4
	ds_load_b32 v3, v1 offset:128
	v_cmpx_gt_u32_e32 0x50, v5
	s_cbranch_execz .LBB119_62
; %bb.61:
	ds_load_b32 v1, v1 offset:256
	s_wait_dscnt 0x0
	v_add_f32_e32 v30, v30, v1
.LBB119_62:
	s_or_b32 exec_lo, exec_lo, s2
	s_wait_dscnt 0x0
	v_pk_add_f32 v[18:19], v[18:19], v[2:3]
.LBB119_63:
	s_or_b32 exec_lo, exec_lo, s1
	s_barrier_signal -1
	s_barrier_wait -1
	s_and_saveexec_b32 s0, vcc_lo
	s_cbranch_execz .LBB119_66
; %bb.64:
	s_wait_kmcnt 0x0
	s_mul_i32 s1, s20, s9
	s_bfe_u32 s5, ttmp6, 0x40014
	s_mul_i32 s1, s1, s19
	s_mul_i32 s0, s9, s8
	;; [unrolled: 1-line block ×3, first 2 shown]
	s_lshr_b32 s4, ttmp7, 16
	s_ashr_i32 s3, s2, 31
	s_add_co_i32 s5, s5, 1
	s_lshl_b64 s[2:3], s[2:3], 1
	s_ashr_i32 s1, s0, 31
	s_add_nc_u64 s[2:3], s[6:7], s[2:3]
	s_mul_i32 s5, s4, s5
	s_bfe_u32 s6, ttmp6, 0x40008
	s_lshl_b64 s[0:1], s[0:1], 1
	s_add_co_i32 s6, s6, s5
	s_cmp_eq_u32 s18, 0
	s_add_nc_u64 s[0:1], s[2:3], s[0:1]
	s_cselect_b32 s2, s4, s6
	v_cvt_pk_bf16_f32 v1, v18, s0
	v_cmp_gt_u32_e32 vcc_lo, 0x50, v5
	s_mov_b32 s3, 0
	s_mulk_i32 s2, 0xa0
	v_cvt_pk_bf16_f32 v2, v19, s0
	s_add_nc_u64 s[0:1], s[0:1], s[2:3]
	s_clause 0x1
	global_store_b16 v0, v1, s[0:1] scale_offset
	global_store_b16 v0, v2, s[0:1] offset:64 scale_offset
	s_wait_xcnt 0x0
	s_and_b32 exec_lo, exec_lo, vcc_lo
	s_cbranch_execz .LBB119_66
; %bb.65:
	v_dual_mov_b32 v1, 0 :: v_dual_lshlrev_b32 v0, 1, v0
	v_cvt_pk_bf16_f32 v2, v30, s0
	s_delay_alu instid0(VALU_DEP_2)
	v_add_nc_u64_e32 v[0:1], s[0:1], v[0:1]
	global_store_b16 v[0:1], v2, off offset:128
.LBB119_66:
	s_endpgm
	.section	.rodata,"a",@progbits
	.p2align	6, 0x0
	.amdhsa_kernel _ZN4vllm25paged_attention_v1_kernelI14__hip_bfloat16S1_Li80ELi8ELi128ELNS_18Fp8KVCacheDataTypeE0ELb0EEEvPT_PKS3_PKT0_S9_ifPKiSB_iPKfiiiSD_SD_iiiii
		.amdhsa_group_segment_fixed_size 192
		.amdhsa_private_segment_fixed_size 0
		.amdhsa_kernarg_size 384
		.amdhsa_user_sgpr_count 2
		.amdhsa_user_sgpr_dispatch_ptr 0
		.amdhsa_user_sgpr_queue_ptr 0
		.amdhsa_user_sgpr_kernarg_segment_ptr 1
		.amdhsa_user_sgpr_dispatch_id 0
		.amdhsa_user_sgpr_kernarg_preload_length 0
		.amdhsa_user_sgpr_kernarg_preload_offset 0
		.amdhsa_user_sgpr_private_segment_size 0
		.amdhsa_wavefront_size32 1
		.amdhsa_uses_dynamic_stack 0
		.amdhsa_enable_private_segment 0
		.amdhsa_system_sgpr_workgroup_id_x 1
		.amdhsa_system_sgpr_workgroup_id_y 1
		.amdhsa_system_sgpr_workgroup_id_z 1
		.amdhsa_system_sgpr_workgroup_info 0
		.amdhsa_system_vgpr_workitem_id 0
		.amdhsa_next_free_vgpr 48
		.amdhsa_next_free_sgpr 30
		.amdhsa_named_barrier_count 0
		.amdhsa_reserve_vcc 1
		.amdhsa_float_round_mode_32 0
		.amdhsa_float_round_mode_16_64 0
		.amdhsa_float_denorm_mode_32 3
		.amdhsa_float_denorm_mode_16_64 3
		.amdhsa_fp16_overflow 0
		.amdhsa_memory_ordered 1
		.amdhsa_forward_progress 1
		.amdhsa_inst_pref_size 43
		.amdhsa_round_robin_scheduling 0
		.amdhsa_exception_fp_ieee_invalid_op 0
		.amdhsa_exception_fp_denorm_src 0
		.amdhsa_exception_fp_ieee_div_zero 0
		.amdhsa_exception_fp_ieee_overflow 0
		.amdhsa_exception_fp_ieee_underflow 0
		.amdhsa_exception_fp_ieee_inexact 0
		.amdhsa_exception_int_div_zero 0
	.end_amdhsa_kernel
	.section	.text._ZN4vllm25paged_attention_v1_kernelI14__hip_bfloat16S1_Li80ELi8ELi128ELNS_18Fp8KVCacheDataTypeE0ELb0EEEvPT_PKS3_PKT0_S9_ifPKiSB_iPKfiiiSD_SD_iiiii,"axG",@progbits,_ZN4vllm25paged_attention_v1_kernelI14__hip_bfloat16S1_Li80ELi8ELi128ELNS_18Fp8KVCacheDataTypeE0ELb0EEEvPT_PKS3_PKT0_S9_ifPKiSB_iPKfiiiSD_SD_iiiii,comdat
.Lfunc_end119:
	.size	_ZN4vllm25paged_attention_v1_kernelI14__hip_bfloat16S1_Li80ELi8ELi128ELNS_18Fp8KVCacheDataTypeE0ELb0EEEvPT_PKS3_PKT0_S9_ifPKiSB_iPKfiiiSD_SD_iiiii, .Lfunc_end119-_ZN4vllm25paged_attention_v1_kernelI14__hip_bfloat16S1_Li80ELi8ELi128ELNS_18Fp8KVCacheDataTypeE0ELb0EEEvPT_PKS3_PKT0_S9_ifPKiSB_iPKfiiiSD_SD_iiiii
                                        ; -- End function
	.set _ZN4vllm25paged_attention_v1_kernelI14__hip_bfloat16S1_Li80ELi8ELi128ELNS_18Fp8KVCacheDataTypeE0ELb0EEEvPT_PKS3_PKT0_S9_ifPKiSB_iPKfiiiSD_SD_iiiii.num_vgpr, 48
	.set _ZN4vllm25paged_attention_v1_kernelI14__hip_bfloat16S1_Li80ELi8ELi128ELNS_18Fp8KVCacheDataTypeE0ELb0EEEvPT_PKS3_PKT0_S9_ifPKiSB_iPKfiiiSD_SD_iiiii.num_agpr, 0
	.set _ZN4vllm25paged_attention_v1_kernelI14__hip_bfloat16S1_Li80ELi8ELi128ELNS_18Fp8KVCacheDataTypeE0ELb0EEEvPT_PKS3_PKT0_S9_ifPKiSB_iPKfiiiSD_SD_iiiii.numbered_sgpr, 30
	.set _ZN4vllm25paged_attention_v1_kernelI14__hip_bfloat16S1_Li80ELi8ELi128ELNS_18Fp8KVCacheDataTypeE0ELb0EEEvPT_PKS3_PKT0_S9_ifPKiSB_iPKfiiiSD_SD_iiiii.num_named_barrier, 0
	.set _ZN4vllm25paged_attention_v1_kernelI14__hip_bfloat16S1_Li80ELi8ELi128ELNS_18Fp8KVCacheDataTypeE0ELb0EEEvPT_PKS3_PKT0_S9_ifPKiSB_iPKfiiiSD_SD_iiiii.private_seg_size, 0
	.set _ZN4vllm25paged_attention_v1_kernelI14__hip_bfloat16S1_Li80ELi8ELi128ELNS_18Fp8KVCacheDataTypeE0ELb0EEEvPT_PKS3_PKT0_S9_ifPKiSB_iPKfiiiSD_SD_iiiii.uses_vcc, 1
	.set _ZN4vllm25paged_attention_v1_kernelI14__hip_bfloat16S1_Li80ELi8ELi128ELNS_18Fp8KVCacheDataTypeE0ELb0EEEvPT_PKS3_PKT0_S9_ifPKiSB_iPKfiiiSD_SD_iiiii.uses_flat_scratch, 0
	.set _ZN4vllm25paged_attention_v1_kernelI14__hip_bfloat16S1_Li80ELi8ELi128ELNS_18Fp8KVCacheDataTypeE0ELb0EEEvPT_PKS3_PKT0_S9_ifPKiSB_iPKfiiiSD_SD_iiiii.has_dyn_sized_stack, 0
	.set _ZN4vllm25paged_attention_v1_kernelI14__hip_bfloat16S1_Li80ELi8ELi128ELNS_18Fp8KVCacheDataTypeE0ELb0EEEvPT_PKS3_PKT0_S9_ifPKiSB_iPKfiiiSD_SD_iiiii.has_recursion, 0
	.set _ZN4vllm25paged_attention_v1_kernelI14__hip_bfloat16S1_Li80ELi8ELi128ELNS_18Fp8KVCacheDataTypeE0ELb0EEEvPT_PKS3_PKT0_S9_ifPKiSB_iPKfiiiSD_SD_iiiii.has_indirect_call, 0
	.section	.AMDGPU.csdata,"",@progbits
; Kernel info:
; codeLenInByte = 5408
; TotalNumSgprs: 32
; NumVgprs: 48
; ScratchSize: 0
; MemoryBound: 0
; FloatMode: 240
; IeeeMode: 1
; LDSByteSize: 192 bytes/workgroup (compile time only)
; SGPRBlocks: 0
; VGPRBlocks: 2
; NumSGPRsForWavesPerEU: 32
; NumVGPRsForWavesPerEU: 48
; NamedBarCnt: 0
; Occupancy: 16
; WaveLimiterHint : 1
; COMPUTE_PGM_RSRC2:SCRATCH_EN: 0
; COMPUTE_PGM_RSRC2:USER_SGPR: 2
; COMPUTE_PGM_RSRC2:TRAP_HANDLER: 0
; COMPUTE_PGM_RSRC2:TGID_X_EN: 1
; COMPUTE_PGM_RSRC2:TGID_Y_EN: 1
; COMPUTE_PGM_RSRC2:TGID_Z_EN: 1
; COMPUTE_PGM_RSRC2:TIDIG_COMP_CNT: 0
	.section	.text._ZN4vllm25paged_attention_v1_kernelI14__hip_bfloat16S1_Li96ELi8ELi128ELNS_18Fp8KVCacheDataTypeE0ELb0EEEvPT_PKS3_PKT0_S9_ifPKiSB_iPKfiiiSD_SD_iiiii,"axG",@progbits,_ZN4vllm25paged_attention_v1_kernelI14__hip_bfloat16S1_Li96ELi8ELi128ELNS_18Fp8KVCacheDataTypeE0ELb0EEEvPT_PKS3_PKT0_S9_ifPKiSB_iPKfiiiSD_SD_iiiii,comdat
	.protected	_ZN4vllm25paged_attention_v1_kernelI14__hip_bfloat16S1_Li96ELi8ELi128ELNS_18Fp8KVCacheDataTypeE0ELb0EEEvPT_PKS3_PKT0_S9_ifPKiSB_iPKfiiiSD_SD_iiiii ; -- Begin function _ZN4vllm25paged_attention_v1_kernelI14__hip_bfloat16S1_Li96ELi8ELi128ELNS_18Fp8KVCacheDataTypeE0ELb0EEEvPT_PKS3_PKT0_S9_ifPKiSB_iPKfiiiSD_SD_iiiii
	.globl	_ZN4vllm25paged_attention_v1_kernelI14__hip_bfloat16S1_Li96ELi8ELi128ELNS_18Fp8KVCacheDataTypeE0ELb0EEEvPT_PKS3_PKT0_S9_ifPKiSB_iPKfiiiSD_SD_iiiii
	.p2align	8
	.type	_ZN4vllm25paged_attention_v1_kernelI14__hip_bfloat16S1_Li96ELi8ELi128ELNS_18Fp8KVCacheDataTypeE0ELb0EEEvPT_PKS3_PKT0_S9_ifPKiSB_iPKfiiiSD_SD_iiiii,@function
_ZN4vllm25paged_attention_v1_kernelI14__hip_bfloat16S1_Li96ELi8ELi128ELNS_18Fp8KVCacheDataTypeE0ELb0EEEvPT_PKS3_PKT0_S9_ifPKiSB_iPKfiiiSD_SD_iiiii: ; @_ZN4vllm25paged_attention_v1_kernelI14__hip_bfloat16S1_Li96ELi8ELi128ELNS_18Fp8KVCacheDataTypeE0ELb0EEEvPT_PKS3_PKT0_S9_ifPKiSB_iPKfiiiSD_SD_iiiii
; %bb.0:
	s_load_b64 s[6:7], s[0:1], 0x20
	s_bfe_u32 s3, ttmp6, 0x4000c
	s_bfe_u32 s5, ttmp6, 0x40010
	s_and_b32 s4, ttmp7, 0xffff
	s_add_co_i32 s3, s3, 1
	s_add_co_i32 s5, s5, 1
	s_and_b32 s2, ttmp6, 15
	s_bfe_u32 s8, ttmp6, 0x40004
	s_mul_i32 s3, ttmp9, s3
	s_mul_i32 s5, s4, s5
	s_getreg_b32 s18, hwreg(HW_REG_IB_STS2, 6, 4)
	s_add_co_i32 s2, s2, s3
	s_add_co_i32 s8, s8, s5
	s_cmp_eq_u32 s18, 0
	s_clause 0x1
	s_load_b32 s19, s[0:1], 0x80
	s_load_b64 s[10:11], s[0:1], 0x30
	s_cselect_b32 s20, s4, s8
	s_cselect_b32 s8, ttmp9, s2
	s_wait_kmcnt 0x0
	s_abs_i32 s2, s6
	s_delay_alu instid0(SALU_CYCLE_1) | instskip(SKIP_1) | instid1(SALU_CYCLE_2)
	s_cvt_f32_u32 s3, s2
	s_sub_co_i32 s4, 0, s2
	v_rcp_iflag_f32_e32 v1, s3
	s_abs_i32 s5, s19
	v_nop
	s_delay_alu instid0(TRANS32_DEP_1) | instskip(SKIP_1) | instid1(SALU_CYCLE_3)
	v_readfirstlane_b32 s3, v1
	s_mul_f32 s3, s3, 0x4f7ffffe
	s_cvt_u32_f32 s3, s3
	s_delay_alu instid0(SALU_CYCLE_3) | instskip(NEXT) | instid1(SALU_CYCLE_1)
	s_mul_i32 s4, s4, s3
	s_mul_hi_u32 s4, s3, s4
	s_delay_alu instid0(SALU_CYCLE_1) | instskip(SKIP_4) | instid1(SALU_CYCLE_1)
	s_add_co_i32 s3, s3, s4
	s_xor_b32 s4, s19, s6
	s_mul_hi_u32 s3, s5, s3
	s_ashr_i32 s4, s4, 31
	s_mul_i32 s6, s3, s2
	s_sub_co_i32 s5, s5, s6
	s_add_co_i32 s6, s3, 1
	s_sub_co_i32 s9, s5, s2
	s_cmp_ge_u32 s5, s2
	s_cselect_b32 s3, s6, s3
	s_cselect_b32 s5, s9, s5
	s_add_co_i32 s6, s3, 1
	s_cmp_ge_u32 s5, s2
	s_cselect_b32 s2, s6, s3
	s_mov_b32 s3, 0
	s_xor_b32 s2, s2, s4
	s_mov_b32 s13, s3
	s_sub_co_i32 s15, s2, s4
	s_load_b64 s[4:5], s[0:1], 0x40
	s_abs_i32 s14, s15
	s_mov_b32 s23, s3
	s_cvt_f32_u32 s2, s14
	s_delay_alu instid0(SALU_CYCLE_3) | instskip(SKIP_1) | instid1(TRANS32_DEP_1)
	v_rcp_iflag_f32_e32 v1, s2
	v_nop
	v_readfirstlane_b32 s2, v1
	s_mul_f32 s2, s2, 0x4f7ffffe
	s_delay_alu instid0(SALU_CYCLE_3) | instskip(SKIP_1) | instid1(SALU_CYCLE_2)
	s_cvt_u32_f32 s6, s2
	s_sub_co_i32 s2, 0, s14
	s_mul_i32 s2, s2, s6
	s_delay_alu instid0(SALU_CYCLE_1)
	s_mul_hi_u32 s9, s6, s2
	s_abs_i32 s2, s8
	s_add_co_i32 s12, s6, s9
	s_wait_kmcnt 0x0
	s_cmp_eq_u64 s[4:5], 0
	s_cbranch_scc1 .LBB120_2
; %bb.1:
	s_ashr_i32 s9, s8, 31
	s_delay_alu instid0(SALU_CYCLE_1) | instskip(NEXT) | instid1(SALU_CYCLE_1)
	s_lshl_b64 s[16:17], s[8:9], 2
	s_add_nc_u64 s[4:5], s[4:5], s[16:17]
	s_load_b32 s23, s[4:5], 0x0
.LBB120_2:
	s_load_b32 s21, s[10:11], s20 offset:0x0 scale_offset
	s_wait_xcnt 0x0
	s_load_b96 s[4:6], s[0:1], 0x48
	v_and_b32_e32 v6, 3, v0
	s_ashr_i32 s16, s8, 31
	s_ashr_i32 s15, s15, 31
	s_mul_u64 s[10:11], s[2:3], s[12:13]
	s_mulk_i32 s8, 0x60
	s_mov_b32 s3, exec_lo
	v_cmpx_gt_u32_e32 48, v0
	s_cbranch_execz .LBB120_4
; %bb.3:
	s_load_b64 s[12:13], s[0:1], 0x8
	s_wait_kmcnt 0x0
	s_mul_i32 s24, s4, s20
	s_ashr_i32 s9, s8, 31
	s_ashr_i32 s25, s24, 31
	v_and_b32_e32 v2, 0x3fc, v0
	s_lshl_b64 s[24:25], s[24:25], 1
	s_delay_alu instid0(VALU_DEP_1) | instskip(SKIP_2) | instid1(SALU_CYCLE_1)
	v_mad_u32_u24 v2, v6, 48, v2
	s_add_nc_u64 s[12:13], s[12:13], s[24:25]
	s_lshl_b64 s[24:25], s[8:9], 1
	s_add_nc_u64 s[12:13], s[12:13], s[24:25]
	global_load_b32 v1, v0, s[12:13] scale_offset
	s_wait_loadcnt 0x0
	ds_store_b32 v2, v1
.LBB120_4:
	s_or_b32 exec_lo, exec_lo, s3
	s_wait_kmcnt 0x0
	s_add_co_i32 s3, s21, 7
	s_load_b32 s4, s[0:1], 0x38
	s_ashr_i32 s9, s3, 31
	s_mul_i32 s12, s11, s14
	s_lshr_b32 s9, s9, 29
	s_sub_co_i32 s2, s2, s12
	s_add_co_i32 s3, s3, s9
	s_xor_b32 s10, s16, s15
	s_ashr_i32 s22, s3, 3
	s_add_co_i32 s3, s11, 1
	s_sub_co_i32 s9, s2, s14
	s_cmp_ge_u32 s2, s14
	v_lshrrev_b32_e32 v1, 5, v0
	s_cselect_b32 s3, s3, s11
	s_cselect_b32 s2, s9, s2
	s_add_co_i32 s9, s3, 1
	s_cmp_ge_u32 s2, s14
	v_mbcnt_lo_u32_b32 v9, -1, 0
	s_cselect_b32 s2, s9, s3
	s_wait_dscnt 0x0
	s_xor_b32 s2, s2, s10
	s_barrier_signal -1
	s_sub_co_i32 s3, s2, s10
	v_cmp_gt_i32_e64 s2, s22, v1
	s_wait_kmcnt 0x0
	s_mul_i32 s10, s4, s20
	s_mov_b32 s4, exec_lo
	s_ashr_i32 s11, s10, 31
	s_barrier_wait -1
                                        ; implicit-def: $vgpr3
                                        ; implicit-def: $vgpr10
	v_cmpx_le_i32_e64 s22, v1
	s_xor_b32 s4, exec_lo, s4
; %bb.5:
	v_dual_mov_b32 v3, 0 :: v_dual_mov_b32 v10, 32
	v_mbcnt_lo_u32_b32 v9, -1, 0
                                        ; implicit-def: $vgpr6
; %bb.6:
	s_or_saveexec_b32 s24, s4
	s_clause 0x1
	s_load_b64 s[12:13], s[0:1], 0x28
	s_load_b32 s9, s[0:1], 0x88
	v_mov_b32_e32 v2, 0xff7fffff
	v_lshrrev_b32_e32 v8, 3, v0
	s_mul_i32 s14, s3, s6
	s_xor_b32 exec_lo, exec_lo, s24
	s_cbranch_execz .LBB120_12
; %bb.7:
	v_mul_u32_u24_e32 v4, 48, v6
	s_load_b64 s[26:27], s[0:1], 0x10
	v_bfe_u32 v7, v0, 2, 3
	s_ashr_i32 s15, s14, 31
	v_dual_mov_b32 v3, 0 :: v_dual_lshlrev_b32 v10, 2, v0
	ds_load_b128 v[16:19], v4
	ds_load_b128 v[24:27], v4 offset:16
	ds_load_b128 v[32:35], v4 offset:32
	v_lshlrev_b32_e32 v2, 4, v7
	s_lshl_b64 s[28:29], s[14:15], 1
	s_ashr_i32 s17, s5, 31
	s_cmp_neq_f32 s23, 0
	s_mov_b32 s16, s5
	s_mov_b32 s6, 0
	v_lshlrev_b32_e32 v37, 2, v7
	s_cselect_b32 s3, -1, 0
	s_sub_co_i32 s15, 1, s21
	v_mov_b32_e32 v39, v1
	s_wait_kmcnt 0x0
	s_add_nc_u64 s[26:27], s[26:27], s[28:29]
	s_wait_dscnt 0x2
	v_lshlrev_b32_e32 v11, 16, v16
	v_add_nc_u64_e32 v[4:5], s[26:27], v[2:3]
	v_dual_lshlrev_b32 v13, 16, v17 :: v_dual_bitop2_b32 v2, 12, v10 bitop3:0x40
	s_wait_dscnt 0x0
	v_dual_lshlrev_b32 v31, 16, v34 :: v_dual_bitop2_b32 v10, 1, v9 bitop3:0x14
	v_and_b32_e32 v12, 0xffff0000, v16
	v_and_b32_e32 v14, 0xffff0000, v17
	v_add_nc_u64_e32 v[4:5], v[4:5], v[2:3]
	v_dual_lshlrev_b32 v15, 16, v18 :: v_dual_bitop2_b32 v2, 2, v9 bitop3:0x14
	v_lshlrev_b32_e32 v17, 16, v19
	v_and_b32_e32 v16, 0xffff0000, v18
	v_and_b32_e32 v18, 0xffff0000, v19
	s_delay_alu instid0(VALU_DEP_4)
	v_cmp_gt_i32_e32 vcc_lo, 32, v2
	v_dual_lshlrev_b32 v19, 16, v24 :: v_dual_lshlrev_b32 v21, 16, v25
	v_and_b32_e32 v20, 0xffff0000, v24
	v_and_b32_e32 v22, 0xffff0000, v25
	v_dual_lshlrev_b32 v23, 16, v26 :: v_dual_lshlrev_b32 v25, 16, v27
	v_and_b32_e32 v24, 0xffff0000, v26
	v_and_b32_e32 v26, 0xffff0000, v27
	v_dual_lshlrev_b32 v27, 16, v32 :: v_dual_lshlrev_b32 v29, 16, v33
	v_and_b32_e32 v30, 0xffff0000, v33
	v_dual_cndmask_b32 v2, v9, v2 :: v_dual_lshlrev_b32 v33, 16, v35
	v_cmp_gt_i32_e32 vcc_lo, 32, v10
	v_and_b32_e32 v28, 0xffff0000, v32
	v_and_b32_e32 v32, 0xffff0000, v34
	;; [unrolled: 1-line block ×3, first 2 shown]
	s_lshl_b64 s[26:27], s[10:11], 2
	v_dual_cndmask_b32 v36, v9, v10, vcc_lo :: v_dual_mov_b32 v10, 32
	v_lshlrev_b32_e32 v35, 2, v2
	v_cmp_eq_u32_e32 vcc_lo, 0, v6
	v_lshl_or_b32 v6, v1, 5, v37
	v_and_b32_e32 v2, 0x7c, v8
	s_add_nc_u64 s[26:27], s[12:13], s[26:27]
	v_lshl_or_b32 v37, v1, 3, v7
	v_lshlrev_b32_e32 v36, 2, v36
	v_add_nc_u32_e32 v38, 0xe0, v6
	v_add_nc_u64_e32 v[6:7], s[26:27], v[2:3]
	v_mov_b32_e32 v2, 0xff7fffff
	s_branch .LBB120_9
.LBB120_8:                              ;   in Loop: Header=BB120_9 Depth=1
	s_or_b32 exec_lo, exec_lo, s25
	v_dual_add_nc_u32 v39, 4, v39 :: v_dual_add_nc_u32 v37, 32, v37
	v_add_nc_u64_e32 v[6:7], 16, v[6:7]
	v_add_nc_u32_e32 v38, 0x80, v38
	s_delay_alu instid0(VALU_DEP_3) | instskip(SKIP_1) | instid1(SALU_CYCLE_1)
	v_cmp_le_i32_e64 s4, s22, v39
	s_or_b32 s6, s4, s6
	s_and_not1_b32 exec_lo, exec_lo, s6
	s_cbranch_execz .LBB120_11
.LBB120_9:                              ; =>This Inner Loop Header: Depth=1
	global_load_b32 v40, v[6:7], off
	s_wait_loadcnt_dscnt 0x0
	v_ashrrev_i32_e32 v41, 31, v40
	s_delay_alu instid0(VALU_DEP_1) | instskip(NEXT) | instid1(VALU_DEP_1)
	v_mul_u64_e32 v[40:41], s[16:17], v[40:41]
	v_lshl_add_u64 v[40:41], v[40:41], 1, v[4:5]
	s_clause 0xb
	global_load_b32 v42, v[40:41], off offset:128
	global_load_b32 v43, v[40:41], off
	global_load_b32 v44, v[40:41], off offset:256
	global_load_b32 v45, v[40:41], off offset:384
	;; [unrolled: 1-line block ×10, first 2 shown]
	s_wait_loadcnt 0xb
	s_wait_xcnt 0x0
	v_lshlrev_b32_e32 v40, 16, v42
	v_and_b32_e32 v41, 0xffff0000, v42
	s_delay_alu instid0(VALU_DEP_1) | instskip(SKIP_1) | instid1(VALU_DEP_1)
	v_dual_mul_f32 v40, v13, v40 :: v_dual_mul_f32 v41, v14, v41
	s_wait_loadcnt 0xa
	v_fma_mix_f32_bf16 v40, v11, v43, v40 op_sel_hi:[0,1,0]
	s_delay_alu instid0(VALU_DEP_2) | instskip(SKIP_1) | instid1(VALU_DEP_2)
	v_fma_mix_f32_bf16 v41, v12, v43, v41 op_sel:[0,1,0] op_sel_hi:[0,1,0]
	s_wait_loadcnt 0x9
	v_fma_mix_f32_bf16 v40, v15, v44, v40 op_sel_hi:[0,1,0]
	s_delay_alu instid0(VALU_DEP_2) | instskip(SKIP_1) | instid1(VALU_DEP_2)
	v_fma_mix_f32_bf16 v41, v16, v44, v41 op_sel:[0,1,0] op_sel_hi:[0,1,0]
	;; [unrolled: 4-line block ×10, first 2 shown]
	s_wait_loadcnt 0x0
	v_fma_mix_f32_bf16 v40, v33, v53, v40 op_sel_hi:[0,1,0]
	s_delay_alu instid0(VALU_DEP_2) | instskip(NEXT) | instid1(VALU_DEP_1)
	v_fma_mix_f32_bf16 v41, v34, v53, v41 op_sel:[0,1,0] op_sel_hi:[0,1,0]
	v_add_f32_e32 v40, v40, v41
	ds_bpermute_b32 v41, v35, v40
	s_wait_dscnt 0x0
	v_add_f32_e32 v40, v40, v41
	ds_bpermute_b32 v41, v36, v40
	s_and_saveexec_b32 s25, vcc_lo
	s_cbranch_execz .LBB120_8
; %bb.10:                               ;   in Loop: Header=BB120_9 Depth=1
	s_wait_dscnt 0x0
	v_add_f32_e32 v40, v40, v41
	v_add_nc_u32_e32 v42, s15, v37
	v_cmp_gt_i32_e64 s4, s21, v37
	s_delay_alu instid0(VALU_DEP_2) | instskip(NEXT) | instid1(VALU_DEP_1)
	v_cvt_f32_i32_e32 v42, v42
	v_mul_f32_e32 v42, s23, v42
	s_delay_alu instid0(VALU_DEP_1) | instskip(NEXT) | instid1(VALU_DEP_1)
	v_cndmask_b32_e64 v41, 0, v42, s3
	v_dual_max_num_f32 v42, v2, v2 :: v_dual_fmac_f32 v41, s7, v40
	s_delay_alu instid0(VALU_DEP_1) | instskip(NEXT) | instid1(VALU_DEP_1)
	v_dual_max_num_f32 v40, v42, v41 :: v_dual_cndmask_b32 v41, 0, v41, s4
	v_cndmask_b32_e64 v2, v2, v40, s4
	ds_store_b32 v38, v41
	s_branch .LBB120_8
.LBB120_11:
	s_or_b32 exec_lo, exec_lo, s6
.LBB120_12:
	s_delay_alu instid0(SALU_CYCLE_1)
	s_or_b32 exec_lo, exec_lo, s24
	v_dual_max_num_f32 v7, v2, v2 :: v_dual_bitop2_b32 v4, 16, v9 bitop3:0x14
	s_clause 0x1
	s_load_b64 s[6:7], s[0:1], 0x0
	s_load_b64 s[16:17], s[0:1], 0x18
	v_xor_b32_e32 v6, 8, v9
	v_and_b32_e32 v30, 31, v0
	v_cmp_lt_i32_e32 vcc_lo, v4, v10
	v_cndmask_b32_e32 v4, v9, v4, vcc_lo
	s_delay_alu instid0(VALU_DEP_4) | instskip(NEXT) | instid1(VALU_DEP_2)
	v_cmp_lt_i32_e32 vcc_lo, v6, v10
	v_lshlrev_b32_e32 v4, 2, v4
	ds_bpermute_b32 v5, v4, v2
	v_cndmask_b32_e32 v2, v9, v6, vcc_lo
	s_wait_dscnt 0x0
	s_delay_alu instid0(VALU_DEP_1) | instskip(NEXT) | instid1(VALU_DEP_1)
	v_dual_max_num_f32 v5, v5, v5 :: v_dual_lshlrev_b32 v2, 2, v2
	v_max_num_f32_e32 v5, v7, v5
	ds_bpermute_b32 v6, v2, v5
	s_wait_dscnt 0x0
	v_dual_max_num_f32 v6, v6, v6 :: v_dual_bitop2_b32 v7, 4, v9 bitop3:0x14
	s_delay_alu instid0(VALU_DEP_1) | instskip(NEXT) | instid1(VALU_DEP_2)
	v_max_num_f32_e32 v6, v5, v6
	v_cmp_lt_i32_e32 vcc_lo, v7, v10
	v_dual_lshlrev_b32 v5, 2, v1 :: v_dual_cndmask_b32 v7, v9, v7, vcc_lo
	v_cmp_eq_u32_e32 vcc_lo, 0, v30
	s_delay_alu instid0(VALU_DEP_2)
	v_lshlrev_b32_e32 v7, 2, v7
	ds_bpermute_b32 v11, v7, v6
	s_wait_xcnt 0x0
	s_and_saveexec_b32 s0, vcc_lo
	s_cbranch_execz .LBB120_14
; %bb.13:
	s_wait_dscnt 0x0
	v_dual_max_num_f32 v11, v11, v11 :: v_dual_max_num_f32 v6, v6, v6
	s_delay_alu instid0(VALU_DEP_1)
	v_max_num_f32_e32 v6, v6, v11
	ds_store_b32 v5, v6 offset:192
.LBB120_14:
	s_or_b32 exec_lo, exec_lo, s0
	v_cmp_gt_u32_e64 s0, 4, v30
	v_mov_b32_e32 v12, 0xff7fffff
	v_lshlrev_b32_e32 v6, 2, v30
	s_wait_dscnt 0x0
	s_barrier_signal -1
	s_barrier_wait -1
	s_and_saveexec_b32 s1, s0
; %bb.15:
	ds_load_b32 v12, v6 offset:192
; %bb.16:
	s_or_b32 exec_lo, exec_lo, s1
	v_xor_b32_e32 v11, 2, v9
	v_dual_lshlrev_b32 v3, 2, v3 :: v_dual_bitop2_b32 v14, 1, v9 bitop3:0x14
	s_delay_alu instid0(VALU_DEP_2) | instskip(NEXT) | instid1(VALU_DEP_1)
	v_cmp_lt_i32_e64 s1, v11, v10
	v_cndmask_b32_e64 v11, v9, v11, s1
	s_delay_alu instid0(VALU_DEP_3) | instskip(NEXT) | instid1(VALU_DEP_1)
	v_cmp_lt_i32_e64 s1, v14, v10
	v_dual_lshlrev_b32 v11, 2, v11 :: v_dual_cndmask_b32 v10, v9, v14, s1
	s_lshl_b32 s1, s22, 3
	s_delay_alu instid0(SALU_CYCLE_1)
	s_min_i32 s4, s1, s21
	s_wait_dscnt 0x0
	ds_bpermute_b32 v13, v11, v12
	v_dual_max_num_f32 v12, v12, v12 :: v_dual_lshlrev_b32 v10, 2, v10
	v_cmp_gt_i32_e64 s1, s4, v0
	s_wait_dscnt 0x0
	v_max_num_f32_e32 v13, v13, v13
	s_delay_alu instid0(VALU_DEP_1) | instskip(SKIP_3) | instid1(VALU_DEP_1)
	v_max_num_f32_e32 v12, v12, v13
	ds_bpermute_b32 v13, v10, v12
	s_wait_dscnt 0x0
	v_max_num_f32_e32 v13, v13, v13
	v_max_num_f32_e32 v12, v12, v13
	ds_bpermute_b32 v12, v3, v12
	v_mov_b32_e32 v3, 0
	s_and_saveexec_b32 s15, s1
	s_cbranch_execz .LBB120_20
; %bb.17:
	v_lshl_add_u32 v13, v0, 2, 0xe0
	v_dual_mov_b32 v3, 0 :: v_dual_mov_b32 v14, v0
	s_mov_b32 s23, 0
.LBB120_18:                             ; =>This Inner Loop Header: Depth=1
	ds_load_b32 v15, v13
	v_add_nc_u32_e32 v14, 0x80, v14
	s_delay_alu instid0(VALU_DEP_1) | instskip(SKIP_3) | instid1(VALU_DEP_1)
	v_cmp_le_i32_e64 s3, s4, v14
	s_or_b32 s23, s3, s23
	s_wait_dscnt 0x0
	v_sub_f32_e32 v15, v15, v12
	v_mul_f32_e32 v15, 0x3fb8aa3b, v15
	s_delay_alu instid0(VALU_DEP_1)
	v_exp_f32_e32 v15, v15
	ds_store_b32 v13, v15
	v_nop
	v_add_f32_e32 v3, v3, v15
	v_add_nc_u32_e32 v13, 0x200, v13
	s_and_not1_b32 exec_lo, exec_lo, s23
	s_cbranch_execnz .LBB120_18
; %bb.19:
	s_or_b32 exec_lo, exec_lo, s23
.LBB120_20:
	s_delay_alu instid0(SALU_CYCLE_1)
	s_or_b32 exec_lo, exec_lo, s15
	ds_bpermute_b32 v4, v4, v3
	s_wait_dscnt 0x0
	v_add_f32_e32 v3, v3, v4
	ds_bpermute_b32 v2, v2, v3
	s_wait_dscnt 0x0
	v_add_f32_e32 v2, v3, v2
	;; [unrolled: 3-line block ×5, first 2 shown]
	s_and_saveexec_b32 s3, vcc_lo
; %bb.21:
	ds_store_b32 v5, v2 offset:208
; %bb.22:
	s_or_b32 exec_lo, exec_lo, s3
	s_wait_dscnt 0x0
	s_barrier_signal -1
	s_barrier_wait -1
	s_and_saveexec_b32 s3, s0
; %bb.23:
	ds_load_b32 v2, v6 offset:208
; %bb.24:
	s_or_b32 exec_lo, exec_lo, s3
	s_wait_dscnt 0x0
	ds_bpermute_b32 v3, v11, v2
	s_wait_dscnt 0x0
	v_dual_lshlrev_b32 v4, 2, v9 :: v_dual_add_f32 v2, v2, v3
	ds_bpermute_b32 v3, v10, v2
	s_wait_dscnt 0x0
	v_add_f32_e32 v2, v2, v3
	v_and_b32_e32 v3, 0xffffff80, v4
	ds_bpermute_b32 v2, v3, v2
	s_and_saveexec_b32 s0, s1
	s_cbranch_execz .LBB120_37
; %bb.25:
	s_wait_dscnt 0x0
	v_add_f32_e32 v2, 0x358637bd, v2
	s_mov_b32 s3, -1
	s_mov_b32 s1, exec_lo
	s_delay_alu instid0(VALU_DEP_1) | instskip(NEXT) | instid1(VALU_DEP_1)
	v_div_scale_f32 v3, null, v2, v2, 1.0
	v_rcp_f32_e32 v5, v3
	v_nop
	s_delay_alu instid0(TRANS32_DEP_1) | instskip(NEXT) | instid1(VALU_DEP_1)
	v_fma_f32 v4, -v3, v5, 1.0
	v_fmac_f32_e32 v5, v4, v5
	v_div_scale_f32 v6, vcc_lo, 1.0, v2, 1.0
	s_delay_alu instid0(VALU_DEP_1) | instskip(NEXT) | instid1(VALU_DEP_1)
	v_mul_f32_e32 v7, v6, v5
	v_fma_f32 v4, -v3, v7, v6
	s_delay_alu instid0(VALU_DEP_1) | instskip(SKIP_1) | instid1(VALU_DEP_2)
	v_fmac_f32_e32 v7, v4, v5
	v_xad_u32 v4, v0, -1, s4
	v_fma_f32 v3, -v3, v7, v6
	s_delay_alu instid0(VALU_DEP_1) | instskip(NEXT) | instid1(VALU_DEP_1)
	v_div_fmas_f32 v3, v3, v5, v7
	v_div_fixup_f32 v2, v3, v2, 1.0
	v_mov_b32_e32 v3, v0
	v_cmpx_lt_u32_e32 0x7f, v4
	s_cbranch_execz .LBB120_34
; %bb.26:
	s_delay_alu instid0(VALU_DEP_3) | instskip(NEXT) | instid1(VALU_DEP_1)
	v_dual_mov_b32 v3, v2 :: v_dual_lshrrev_b32 v4, 7, v4
	v_dual_mov_b32 v9, 0 :: v_dual_add_nc_u32 v5, -1, v4
	s_delay_alu instid0(VALU_DEP_1) | instskip(SKIP_1) | instid1(VALU_DEP_2)
	v_lshrrev_b32_e32 v6, 1, v5
	v_cmp_lt_u32_e32 vcc_lo, 13, v5
	v_add_nc_u32_e32 v5, 1, v6
	s_and_saveexec_b32 s3, vcc_lo
	s_cbranch_execz .LBB120_30
; %bb.27:
	s_delay_alu instid0(VALU_DEP_1)
	v_and_b32_e32 v6, -8, v5
	v_lshl_add_u32 v7, v0, 2, 0xe0
	s_mov_b32 s15, 0
	s_mov_b32 s23, 0
.LBB120_28:                             ; =>This Inner Loop Header: Depth=1
	ds_load_2addr_stride64_b32 v[10:11], v7 offset1:2
	ds_load_2addr_stride64_b32 v[12:13], v7 offset0:4 offset1:6
	ds_load_2addr_stride64_b32 v[14:15], v7 offset0:8 offset1:10
	;; [unrolled: 1-line block ×7, first 2 shown]
	s_add_co_i32 s23, s23, 16
	s_delay_alu instid0(SALU_CYCLE_1) | instskip(NEXT) | instid1(VALU_DEP_1)
	v_dual_mov_b32 v9, s23 :: v_dual_add_nc_u32 v6, -8, v6
	v_cmp_eq_u32_e32 vcc_lo, 0, v6
	s_or_b32 s15, vcc_lo, s15
	s_wait_dscnt 0x7
	v_pk_mul_f32 v[10:11], v[2:3], v[10:11]
	s_wait_dscnt 0x6
	v_pk_mul_f32 v[12:13], v[2:3], v[12:13]
	;; [unrolled: 2-line block ×8, first 2 shown]
	ds_store_2addr_stride64_b32 v7, v10, v11 offset1:2
	ds_store_2addr_stride64_b32 v7, v12, v13 offset0:4 offset1:6
	ds_store_2addr_stride64_b32 v7, v14, v15 offset0:8 offset1:10
	;; [unrolled: 1-line block ×7, first 2 shown]
	v_add_nc_u32_e32 v7, 0x2000, v7
	s_and_not1_b32 exec_lo, exec_lo, s15
	s_cbranch_execnz .LBB120_28
; %bb.29:
	s_or_b32 exec_lo, exec_lo, s15
.LBB120_30:
	s_delay_alu instid0(SALU_CYCLE_1) | instskip(NEXT) | instid1(VALU_DEP_1)
	s_or_b32 exec_lo, exec_lo, s3
	v_and_b32_e32 v5, 7, v5
	s_mov_b32 s15, 0
	s_mov_b32 s3, exec_lo
	s_delay_alu instid0(VALU_DEP_1)
	v_cmpx_ne_u32_e32 0, v5
	s_cbranch_execz .LBB120_33
; %bb.31:
	v_dual_lshlrev_b32 v6, 9, v9 :: v_dual_lshlrev_b32 v7, 2, v0
	s_delay_alu instid0(VALU_DEP_1)
	v_add3_u32 v6, v6, v7, 0xe0
.LBB120_32:                             ; =>This Inner Loop Header: Depth=1
	ds_load_2addr_stride64_b32 v[10:11], v6 offset1:2
	v_add_nc_u32_e32 v5, -1, v5
	s_delay_alu instid0(VALU_DEP_1)
	v_cmp_eq_u32_e32 vcc_lo, 0, v5
	s_or_b32 s15, vcc_lo, s15
	s_wait_dscnt 0x0
	v_pk_mul_f32 v[10:11], v[2:3], v[10:11]
	ds_store_2addr_stride64_b32 v6, v10, v11 offset1:2
	v_add_nc_u32_e32 v6, 0x400, v6
	s_and_not1_b32 exec_lo, exec_lo, s15
	s_cbranch_execnz .LBB120_32
.LBB120_33:
	s_or_b32 exec_lo, exec_lo, s3
	v_add_nc_u32_e32 v3, 1, v4
	s_delay_alu instid0(VALU_DEP_1) | instskip(NEXT) | instid1(VALU_DEP_1)
	v_and_b32_e32 v4, 0x3fffffe, v3
	v_cmp_ne_u32_e32 vcc_lo, v3, v4
	v_lshl_add_u32 v3, v4, 7, v0
	s_or_not1_b32 s3, vcc_lo, exec_lo
.LBB120_34:
	s_or_b32 exec_lo, exec_lo, s1
	s_delay_alu instid0(SALU_CYCLE_1)
	s_and_b32 exec_lo, exec_lo, s3
	s_cbranch_execz .LBB120_37
; %bb.35:
	v_lshl_add_u32 v4, v3, 2, 0xe0
	s_mov_b32 s1, 0
.LBB120_36:                             ; =>This Inner Loop Header: Depth=1
	ds_load_b32 v5, v4
	v_add_nc_u32_e32 v3, 0x80, v3
	s_delay_alu instid0(VALU_DEP_1)
	v_cmp_le_i32_e32 vcc_lo, s4, v3
	s_or_b32 s1, vcc_lo, s1
	s_wait_dscnt 0x0
	v_mul_f32_e32 v5, v2, v5
	ds_store_b32 v4, v5
	v_add_nc_u32_e32 v4, 0x200, v4
	s_and_not1_b32 exec_lo, exec_lo, s1
	s_cbranch_execnz .LBB120_36
.LBB120_37:
	s_or_b32 exec_lo, exec_lo, s0
	v_mov_b64_e32 v[24:25], 0
	v_mov_b32_e32 v23, 0
	s_wait_dscnt 0x0
	s_barrier_signal -1
	s_barrier_wait -1
	s_and_saveexec_b32 s1, s2
	s_cbranch_execz .LBB120_47
; %bb.38:
	s_ashr_i32 s15, s14, 31
	v_dual_mov_b32 v23, 0 :: v_dual_lshlrev_b32 v22, 4, v30
	s_lshl_b64 s[14:15], s[14:15], 1
	s_ashr_i32 s3, s5, 31
	s_wait_kmcnt 0x0
	s_add_nc_u64 s[14:15], s[16:17], s[14:15]
	s_mov_b32 s2, s5
	v_add_nc_u64_e32 v[26:27], s[14:15], v[22:23]
	v_and_b32_e32 v22, 0x7c, v8
	s_lshl_b64 s[4:5], s[10:11], 2
	v_dual_lshlrev_b32 v31, 3, v1 :: v_dual_mov_b32 v25, v23
	s_add_nc_u64 s[4:5], s[12:13], s[4:5]
	v_lshl_add_u32 v32, v1, 5, 0xe0
	v_add_nc_u64_e32 v[28:29], s[4:5], v[22:23]
	v_dual_mov_b32 v24, v23 :: v_dual_mov_b32 v22, v1
	s_add_co_i32 s4, s22, -1
	s_mov_b32 s10, s21
	s_mov_b32 s5, 0
	s_branch .LBB120_40
.LBB120_39:                             ;   in Loop: Header=BB120_40 Depth=1
	s_or_b32 exec_lo, exec_lo, s0
	s_wait_dscnt 0x1
	v_cvt_pk_bf16_f32 v10, v10, v11
	v_cvt_pk_bf16_f32 v11, v12, v13
	s_wait_dscnt 0x0
	v_cvt_pk_bf16_f32 v6, v6, v7
	v_cvt_pk_bf16_f32 v8, v8, v9
	v_add_nc_u64_e32 v[28:29], 16, v[28:29]
	s_wait_loadcnt 0x1
	v_pk_mul_bf16 v7, v10, v14
	v_pk_mul_bf16 v12, v11, v15
	;; [unrolled: 1-line block ×5, first 2 shown]
	s_delay_alu instid0(VALU_DEP_4)
	v_dual_lshlrev_b32 v13, 16, v7 :: v_dual_lshlrev_b32 v14, 16, v12
	v_and_b32_e32 v7, 0xffff0000, v7
	v_and_b32_e32 v12, 0xffff0000, v12
	v_lshlrev_b32_e32 v15, 16, v9
	v_and_b32_e32 v9, 0xffff0000, v9
	v_pk_mul_bf16 v16, v8, v17
	s_delay_alu instid0(VALU_DEP_4) | instskip(SKIP_4) | instid1(VALU_DEP_3)
	v_dual_add_f32 v7, v13, v7 :: v_dual_add_f32 v12, v14, v12
	v_lshlrev_b32_e32 v13, 16, v2
	v_and_b32_e32 v2, 0xffff0000, v2
	v_dual_add_f32 v15, v15, v9 :: v_dual_lshlrev_b32 v14, 16, v3
	v_and_b32_e32 v3, 0xffff0000, v3
	v_dual_add_f32 v12, v12, v7 :: v_dual_add_f32 v2, v13, v2
	v_pk_mul_bf16 v4, v6, v4
	s_delay_alu instid0(VALU_DEP_3) | instskip(SKIP_2) | instid1(VALU_DEP_4)
	v_dual_lshlrev_b32 v13, 16, v16 :: v_dual_add_f32 v3, v14, v3
	v_and_b32_e32 v14, 0xffff0000, v16
	v_pk_mul_bf16 v16, v8, v5
	v_lshlrev_b32_e32 v33, 16, v4
	s_wait_loadcnt 0x0
	v_pk_mul_bf16 v6, v6, v20
	v_add_f32_e32 v17, v3, v2
	v_pk_mul_bf16 v2, v10, v18
	v_and_b32_e32 v10, 0xffff0000, v4
	v_pk_mul_bf16 v4, v11, v19
	v_pk_mul_bf16 v8, v8, v21
	v_and_b32_e32 v7, 0xffff0000, v6
	v_and_b32_e32 v3, 0xffff0000, v2
	v_lshlrev_b32_e32 v5, 16, v2
	v_and_b32_e32 v2, 0xffff0000, v4
	v_dual_lshlrev_b32 v4, 16, v4 :: v_dual_lshlrev_b32 v9, 16, v6
	v_and_b32_e32 v6, 0xffff0000, v8
	v_dual_lshlrev_b32 v8, 16, v8 :: v_dual_add_f32 v10, v33, v10
	v_lshlrev_b32_e32 v11, 16, v16
	s_delay_alu instid0(VALU_DEP_4) | instskip(SKIP_1) | instid1(VALU_DEP_4)
	v_pk_add_f32 v[2:3], v[4:5], v[2:3]
	v_and_b32_e32 v16, 0xffff0000, v16
	v_pk_add_f32 v[4:5], v[8:9], v[6:7]
	v_dual_add_f32 v6, v13, v14 :: v_dual_add_f32 v7, v10, v17
	s_delay_alu instid0(VALU_DEP_4) | instskip(NEXT) | instid1(VALU_DEP_4)
	v_dual_add_f32 v2, v2, v3 :: v_dual_add_f32 v3, v15, v12
	v_dual_add_f32 v8, v11, v16 :: v_dual_add_nc_u32 v22, 4, v22
	s_delay_alu instid0(VALU_DEP_2) | instskip(NEXT) | instid1(VALU_DEP_3)
	v_dual_add_f32 v2, v5, v2 :: v_dual_add_nc_u32 v31, 32, v31
	v_add_f32_e32 v3, v6, v3
	s_delay_alu instid0(VALU_DEP_3) | instskip(NEXT) | instid1(VALU_DEP_4)
	v_add_f32_e32 v5, v8, v7
	v_cmp_le_i32_e32 vcc_lo, s22, v22
	v_add_nc_u32_e32 v32, 0x80, v32
	s_delay_alu instid0(VALU_DEP_4) | instskip(NEXT) | instid1(VALU_DEP_4)
	v_dual_add_f32 v2, v4, v2 :: v_dual_add_f32 v25, v25, v3
	v_add_f32_e32 v24, v24, v5
	s_or_b32 s5, vcc_lo, s5
	s_delay_alu instid0(VALU_DEP_2)
	v_add_f32_e32 v23, v23, v2
	s_and_not1_b32 exec_lo, exec_lo, s5
	s_cbranch_execz .LBB120_46
.LBB120_40:                             ; =>This Inner Loop Header: Depth=1
	global_load_b32 v2, v[28:29], off
	v_cmp_eq_u32_e32 vcc_lo, s4, v22
	v_or_b32_e32 v37, 3, v31
	v_or_b32_e32 v39, 2, v31
	;; [unrolled: 1-line block ×5, first 2 shown]
	v_dual_add_nc_u32 v38, 1, v31 :: v_dual_bitop2_b32 v35, 6, v31 bitop3:0x54
	s_wait_loadcnt 0x0
	v_ashrrev_i32_e32 v3, 31, v2
	s_delay_alu instid0(VALU_DEP_1) | instskip(NEXT) | instid1(VALU_DEP_1)
	v_mul_u64_e32 v[2:3], s[2:3], v[2:3]
	v_lshl_add_u64 v[18:19], v[2:3], 1, v[26:27]
	global_load_b128 v[2:5], v[18:19], off
	ds_load_2addr_b64 v[10:13], v32 offset1:1
	ds_load_2addr_b64 v[6:9], v32 offset0:2 offset1:3
	s_wait_xcnt 0x0
	s_and_saveexec_b32 s11, vcc_lo
	s_cbranch_execnz .LBB120_43
; %bb.41:                               ;   in Loop: Header=BB120_40 Depth=1
	s_or_b32 exec_lo, exec_lo, s11
	global_load_b128 v[14:17], v[18:19], off offset:512
	s_wait_xcnt 0x0
	s_and_saveexec_b32 s11, vcc_lo
	s_cbranch_execnz .LBB120_44
.LBB120_42:                             ;   in Loop: Header=BB120_40 Depth=1
	s_or_b32 exec_lo, exec_lo, s11
	global_load_b128 v[18:21], v[18:19], off offset:1024
	s_wait_xcnt 0x0
	s_and_saveexec_b32 s0, vcc_lo
	s_cbranch_execz .LBB120_39
	s_branch .LBB120_45
.LBB120_43:                             ;   in Loop: Header=BB120_40 Depth=1
	v_cmp_gt_i32_e64 s0, s21, v31
	s_wait_loadcnt 0x0
	v_dual_lshrrev_b32 v14, 16, v2 :: v_dual_lshrrev_b32 v16, 16, v4
	s_delay_alu instid0(VALU_DEP_2) | instskip(SKIP_1) | instid1(VALU_DEP_1)
	v_cndmask_b32_e64 v2, 0, v2, s0
	v_cmp_gt_i32_e64 s0, s10, v38
	v_dual_lshrrev_b32 v15, 16, v3 :: v_dual_cndmask_b32 v14, 0, v14, s0
	v_cmp_gt_i32_e64 s0, s21, v39
	s_delay_alu instid0(VALU_DEP_2) | instskip(NEXT) | instid1(VALU_DEP_2)
	v_perm_b32 v2, v14, v2, 0x5040100
	v_cndmask_b32_e64 v3, 0, v3, s0
	v_cmp_gt_i32_e64 s0, s10, v37
	s_delay_alu instid0(VALU_DEP_1) | instskip(SKIP_1) | instid1(VALU_DEP_1)
	v_cndmask_b32_e64 v15, 0, v15, s0
	v_cmp_gt_i32_e64 s0, s21, v36
	v_cndmask_b32_e64 v4, 0, v4, s0
	v_cmp_gt_i32_e64 s0, s10, v34
	v_lshrrev_b32_e32 v17, 16, v5
	v_perm_b32 v3, v15, v3, 0x5040100
	s_delay_alu instid0(VALU_DEP_3) | instskip(SKIP_1) | instid1(VALU_DEP_2)
	v_cndmask_b32_e64 v16, 0, v16, s0
	v_cmp_gt_i32_e64 s0, s21, v35
	v_perm_b32 v4, v16, v4, 0x5040100
	s_delay_alu instid0(VALU_DEP_2) | instskip(SKIP_1) | instid1(VALU_DEP_1)
	v_cndmask_b32_e64 v5, 0, v5, s0
	v_cmp_gt_i32_e64 s0, s10, v33
	v_cndmask_b32_e64 v17, 0, v17, s0
	s_delay_alu instid0(VALU_DEP_1)
	v_perm_b32 v5, v17, v5, 0x5040100
	s_or_b32 exec_lo, exec_lo, s11
	global_load_b128 v[14:17], v[18:19], off offset:512
	s_wait_xcnt 0x0
	s_and_saveexec_b32 s11, vcc_lo
	s_cbranch_execz .LBB120_42
.LBB120_44:                             ;   in Loop: Header=BB120_40 Depth=1
	v_cmp_gt_i32_e64 s0, s21, v31
	s_wait_loadcnt 0x0
	s_delay_alu instid0(VALU_DEP_1) | instskip(SKIP_1) | instid1(VALU_DEP_1)
	v_dual_lshrrev_b32 v20, 16, v14 :: v_dual_cndmask_b32 v14, 0, v14, s0
	v_cmp_gt_i32_e64 s0, s10, v38
	v_dual_lshrrev_b32 v21, 16, v15 :: v_dual_cndmask_b32 v20, 0, v20, s0
	v_cmp_gt_i32_e64 s0, s21, v39
	s_delay_alu instid0(VALU_DEP_2) | instskip(NEXT) | instid1(VALU_DEP_2)
	v_perm_b32 v14, v20, v14, 0x5040100
	v_cndmask_b32_e64 v15, 0, v15, s0
	v_cmp_gt_i32_e64 s0, s10, v37
	s_delay_alu instid0(VALU_DEP_1) | instskip(SKIP_2) | instid1(VALU_DEP_3)
	v_cndmask_b32_e64 v21, 0, v21, s0
	v_cmp_gt_i32_e64 s0, s21, v36
	v_lshrrev_b32_e32 v40, 16, v16
	v_perm_b32 v15, v21, v15, 0x5040100
	s_delay_alu instid0(VALU_DEP_3) | instskip(SKIP_1) | instid1(VALU_DEP_1)
	v_cndmask_b32_e64 v16, 0, v16, s0
	v_cmp_gt_i32_e64 s0, s10, v34
	v_dual_lshrrev_b32 v41, 16, v17 :: v_dual_cndmask_b32 v40, 0, v40, s0
	v_cmp_gt_i32_e64 s0, s21, v35
	s_delay_alu instid0(VALU_DEP_2) | instskip(NEXT) | instid1(VALU_DEP_2)
	v_perm_b32 v16, v40, v16, 0x5040100
	v_cndmask_b32_e64 v17, 0, v17, s0
	v_cmp_gt_i32_e64 s0, s10, v33
	s_delay_alu instid0(VALU_DEP_1) | instskip(NEXT) | instid1(VALU_DEP_1)
	v_cndmask_b32_e64 v41, 0, v41, s0
	v_perm_b32 v17, v41, v17, 0x5040100
	s_or_b32 exec_lo, exec_lo, s11
	global_load_b128 v[18:21], v[18:19], off offset:1024
	s_wait_xcnt 0x0
	s_and_saveexec_b32 s0, vcc_lo
	s_cbranch_execz .LBB120_39
.LBB120_45:                             ;   in Loop: Header=BB120_40 Depth=1
	v_cmp_gt_i32_e32 vcc_lo, s21, v31
	s_wait_loadcnt 0x0
	v_dual_lshrrev_b32 v40, 16, v18 :: v_dual_cndmask_b32 v18, 0, v18, vcc_lo
	v_cmp_gt_i32_e32 vcc_lo, s10, v38
	s_delay_alu instid0(VALU_DEP_2) | instskip(SKIP_1) | instid1(VALU_DEP_2)
	v_dual_cndmask_b32 v38, 0, v40 :: v_dual_lshrrev_b32 v41, 16, v19
	v_cmp_gt_i32_e32 vcc_lo, s21, v39
	v_perm_b32 v18, v38, v18, 0x5040100
	v_cndmask_b32_e32 v19, 0, v19, vcc_lo
	v_cmp_gt_i32_e32 vcc_lo, s10, v37
	v_cndmask_b32_e32 v37, 0, v41, vcc_lo
	v_cmp_gt_i32_e32 vcc_lo, s21, v36
	v_lshrrev_b32_e32 v39, 16, v20
	s_delay_alu instid0(VALU_DEP_3) | instskip(SKIP_2) | instid1(VALU_DEP_4)
	v_perm_b32 v19, v37, v19, 0x5040100
	v_cndmask_b32_e32 v20, 0, v20, vcc_lo
	v_cmp_gt_i32_e32 vcc_lo, s10, v34
	v_dual_lshrrev_b32 v36, 16, v21 :: v_dual_cndmask_b32 v34, 0, v39, vcc_lo
	v_cmp_gt_i32_e32 vcc_lo, s21, v35
	s_delay_alu instid0(VALU_DEP_2) | instskip(SKIP_3) | instid1(VALU_DEP_1)
	v_perm_b32 v20, v34, v20, 0x5040100
	v_cndmask_b32_e32 v21, 0, v21, vcc_lo
	v_cmp_gt_i32_e32 vcc_lo, s10, v33
	v_cndmask_b32_e32 v33, 0, v36, vcc_lo
	v_perm_b32 v21, v33, v21, 0x5040100
	s_branch .LBB120_39
.LBB120_46:
	s_or_b32 exec_lo, exec_lo, s5
.LBB120_47:
	s_delay_alu instid0(SALU_CYCLE_1) | instskip(SKIP_4) | instid1(VALU_DEP_2)
	s_or_b32 exec_lo, exec_lo, s1
	v_lshl_add_u32 v2, v30, 2, 0xe0
	v_and_b32_e32 v3, 0x3c0, v0
	s_mov_b32 s0, exec_lo
	s_barrier_signal -1
	v_mad_u32_u24 v1, 0x180, v1, v2
	s_barrier_wait -1
	v_cmpx_eq_u32_e32 64, v3
	s_cbranch_execz .LBB120_49
; %bb.48:
	s_delay_alu instid0(VALU_DEP_2)
	v_add_nc_u32_e32 v3, 0xfffffd00, v1
	v_add_nc_u32_e32 v4, 0xfffffd80, v1
	;; [unrolled: 1-line block ×3, first 2 shown]
	ds_store_b32 v3, v24
	ds_store_b32 v4, v25
	;; [unrolled: 1-line block ×3, first 2 shown]
.LBB120_49:
	s_or_b32 exec_lo, exec_lo, s0
	s_delay_alu instid0(SALU_CYCLE_1)
	s_mov_b32 s0, exec_lo
	s_wait_dscnt 0x0
	s_barrier_signal -1
	s_barrier_wait -1
	v_cmpx_gt_u32_e32 64, v0
	s_cbranch_execz .LBB120_51
; %bb.50:
	ds_load_2addr_b32 v[4:5], v1 offset1:32
	ds_load_b32 v3, v1 offset:256
	s_wait_dscnt 0x1
	v_pk_add_f32 v[24:25], v[24:25], v[4:5]
	s_wait_dscnt 0x0
	v_add_f32_e32 v23, v23, v3
.LBB120_51:
	s_or_b32 exec_lo, exec_lo, s0
	v_and_b32_e32 v3, 0x3e0, v0
	s_mov_b32 s0, exec_lo
	s_barrier_signal -1
	s_barrier_wait -1
	s_delay_alu instid0(VALU_DEP_1)
	v_cmpx_eq_u32_e32 32, v3
	s_cbranch_execz .LBB120_53
; %bb.52:
	ds_store_2addr_b32 v2, v24, v25 offset1:32
	ds_store_b32 v2, v23 offset:256
.LBB120_53:
	s_or_b32 exec_lo, exec_lo, s0
	v_cmp_gt_u32_e32 vcc_lo, 32, v0
	s_wait_dscnt 0x0
	s_barrier_signal -1
	s_barrier_wait -1
	s_and_saveexec_b32 s0, vcc_lo
	s_cbranch_execz .LBB120_55
; %bb.54:
	ds_load_2addr_b32 v[2:3], v1 offset1:32
	ds_load_b32 v1, v1 offset:256
	s_wait_dscnt 0x1
	v_pk_add_f32 v[24:25], v[24:25], v[2:3]
	s_wait_dscnt 0x0
	v_add_f32_e32 v23, v23, v1
.LBB120_55:
	s_or_b32 exec_lo, exec_lo, s0
	s_barrier_signal -1
	s_barrier_wait -1
	s_and_saveexec_b32 s0, vcc_lo
	s_cbranch_execz .LBB120_57
; %bb.56:
	s_wait_kmcnt 0x0
	s_mul_i32 s1, s20, s9
	s_bfe_u32 s5, ttmp6, 0x40014
	s_mul_i32 s1, s1, s19
	s_mul_i32 s0, s9, s8
	;; [unrolled: 1-line block ×3, first 2 shown]
	s_lshr_b32 s4, ttmp7, 16
	s_ashr_i32 s3, s2, 31
	s_add_co_i32 s5, s5, 1
	s_lshl_b64 s[2:3], s[2:3], 1
	s_ashr_i32 s1, s0, 31
	s_add_nc_u64 s[2:3], s[6:7], s[2:3]
	s_mul_i32 s5, s4, s5
	s_bfe_u32 s6, ttmp6, 0x40008
	s_lshl_b64 s[0:1], s[0:1], 1
	s_add_co_i32 s6, s6, s5
	s_cmp_eq_u32 s18, 0
	s_add_nc_u64 s[0:1], s[2:3], s[0:1]
	s_cselect_b32 s2, s4, s6
	v_cvt_pk_bf16_f32 v1, v24, s0
	s_mov_b32 s3, 0
	s_mulk_i32 s2, 0xc0
	v_cvt_pk_bf16_f32 v2, v25, s0
	v_cvt_pk_bf16_f32 v3, v23, s0
	s_add_nc_u64 s[0:1], s[0:1], s[2:3]
	s_clause 0x2
	global_store_b16 v0, v1, s[0:1] scale_offset
	global_store_b16 v0, v2, s[0:1] offset:64 scale_offset
	global_store_b16 v0, v3, s[0:1] offset:128 scale_offset
.LBB120_57:
	s_endpgm
	.section	.rodata,"a",@progbits
	.p2align	6, 0x0
	.amdhsa_kernel _ZN4vllm25paged_attention_v1_kernelI14__hip_bfloat16S1_Li96ELi8ELi128ELNS_18Fp8KVCacheDataTypeE0ELb0EEEvPT_PKS3_PKT0_S9_ifPKiSB_iPKfiiiSD_SD_iiiii
		.amdhsa_group_segment_fixed_size 224
		.amdhsa_private_segment_fixed_size 0
		.amdhsa_kernarg_size 384
		.amdhsa_user_sgpr_count 2
		.amdhsa_user_sgpr_dispatch_ptr 0
		.amdhsa_user_sgpr_queue_ptr 0
		.amdhsa_user_sgpr_kernarg_segment_ptr 1
		.amdhsa_user_sgpr_dispatch_id 0
		.amdhsa_user_sgpr_kernarg_preload_length 0
		.amdhsa_user_sgpr_kernarg_preload_offset 0
		.amdhsa_user_sgpr_private_segment_size 0
		.amdhsa_wavefront_size32 1
		.amdhsa_uses_dynamic_stack 0
		.amdhsa_enable_private_segment 0
		.amdhsa_system_sgpr_workgroup_id_x 1
		.amdhsa_system_sgpr_workgroup_id_y 1
		.amdhsa_system_sgpr_workgroup_id_z 1
		.amdhsa_system_sgpr_workgroup_info 0
		.amdhsa_system_vgpr_workitem_id 0
		.amdhsa_next_free_vgpr 54
		.amdhsa_next_free_sgpr 30
		.amdhsa_named_barrier_count 0
		.amdhsa_reserve_vcc 1
		.amdhsa_float_round_mode_32 0
		.amdhsa_float_round_mode_16_64 0
		.amdhsa_float_denorm_mode_32 3
		.amdhsa_float_denorm_mode_16_64 3
		.amdhsa_fp16_overflow 0
		.amdhsa_memory_ordered 1
		.amdhsa_forward_progress 1
		.amdhsa_inst_pref_size 41
		.amdhsa_round_robin_scheduling 0
		.amdhsa_exception_fp_ieee_invalid_op 0
		.amdhsa_exception_fp_denorm_src 0
		.amdhsa_exception_fp_ieee_div_zero 0
		.amdhsa_exception_fp_ieee_overflow 0
		.amdhsa_exception_fp_ieee_underflow 0
		.amdhsa_exception_fp_ieee_inexact 0
		.amdhsa_exception_int_div_zero 0
	.end_amdhsa_kernel
	.section	.text._ZN4vllm25paged_attention_v1_kernelI14__hip_bfloat16S1_Li96ELi8ELi128ELNS_18Fp8KVCacheDataTypeE0ELb0EEEvPT_PKS3_PKT0_S9_ifPKiSB_iPKfiiiSD_SD_iiiii,"axG",@progbits,_ZN4vllm25paged_attention_v1_kernelI14__hip_bfloat16S1_Li96ELi8ELi128ELNS_18Fp8KVCacheDataTypeE0ELb0EEEvPT_PKS3_PKT0_S9_ifPKiSB_iPKfiiiSD_SD_iiiii,comdat
.Lfunc_end120:
	.size	_ZN4vllm25paged_attention_v1_kernelI14__hip_bfloat16S1_Li96ELi8ELi128ELNS_18Fp8KVCacheDataTypeE0ELb0EEEvPT_PKS3_PKT0_S9_ifPKiSB_iPKfiiiSD_SD_iiiii, .Lfunc_end120-_ZN4vllm25paged_attention_v1_kernelI14__hip_bfloat16S1_Li96ELi8ELi128ELNS_18Fp8KVCacheDataTypeE0ELb0EEEvPT_PKS3_PKT0_S9_ifPKiSB_iPKfiiiSD_SD_iiiii
                                        ; -- End function
	.set _ZN4vllm25paged_attention_v1_kernelI14__hip_bfloat16S1_Li96ELi8ELi128ELNS_18Fp8KVCacheDataTypeE0ELb0EEEvPT_PKS3_PKT0_S9_ifPKiSB_iPKfiiiSD_SD_iiiii.num_vgpr, 54
	.set _ZN4vllm25paged_attention_v1_kernelI14__hip_bfloat16S1_Li96ELi8ELi128ELNS_18Fp8KVCacheDataTypeE0ELb0EEEvPT_PKS3_PKT0_S9_ifPKiSB_iPKfiiiSD_SD_iiiii.num_agpr, 0
	.set _ZN4vllm25paged_attention_v1_kernelI14__hip_bfloat16S1_Li96ELi8ELi128ELNS_18Fp8KVCacheDataTypeE0ELb0EEEvPT_PKS3_PKT0_S9_ifPKiSB_iPKfiiiSD_SD_iiiii.numbered_sgpr, 30
	.set _ZN4vllm25paged_attention_v1_kernelI14__hip_bfloat16S1_Li96ELi8ELi128ELNS_18Fp8KVCacheDataTypeE0ELb0EEEvPT_PKS3_PKT0_S9_ifPKiSB_iPKfiiiSD_SD_iiiii.num_named_barrier, 0
	.set _ZN4vllm25paged_attention_v1_kernelI14__hip_bfloat16S1_Li96ELi8ELi128ELNS_18Fp8KVCacheDataTypeE0ELb0EEEvPT_PKS3_PKT0_S9_ifPKiSB_iPKfiiiSD_SD_iiiii.private_seg_size, 0
	.set _ZN4vllm25paged_attention_v1_kernelI14__hip_bfloat16S1_Li96ELi8ELi128ELNS_18Fp8KVCacheDataTypeE0ELb0EEEvPT_PKS3_PKT0_S9_ifPKiSB_iPKfiiiSD_SD_iiiii.uses_vcc, 1
	.set _ZN4vllm25paged_attention_v1_kernelI14__hip_bfloat16S1_Li96ELi8ELi128ELNS_18Fp8KVCacheDataTypeE0ELb0EEEvPT_PKS3_PKT0_S9_ifPKiSB_iPKfiiiSD_SD_iiiii.uses_flat_scratch, 0
	.set _ZN4vllm25paged_attention_v1_kernelI14__hip_bfloat16S1_Li96ELi8ELi128ELNS_18Fp8KVCacheDataTypeE0ELb0EEEvPT_PKS3_PKT0_S9_ifPKiSB_iPKfiiiSD_SD_iiiii.has_dyn_sized_stack, 0
	.set _ZN4vllm25paged_attention_v1_kernelI14__hip_bfloat16S1_Li96ELi8ELi128ELNS_18Fp8KVCacheDataTypeE0ELb0EEEvPT_PKS3_PKT0_S9_ifPKiSB_iPKfiiiSD_SD_iiiii.has_recursion, 0
	.set _ZN4vllm25paged_attention_v1_kernelI14__hip_bfloat16S1_Li96ELi8ELi128ELNS_18Fp8KVCacheDataTypeE0ELb0EEEvPT_PKS3_PKT0_S9_ifPKiSB_iPKfiiiSD_SD_iiiii.has_indirect_call, 0
	.section	.AMDGPU.csdata,"",@progbits
; Kernel info:
; codeLenInByte = 5168
; TotalNumSgprs: 32
; NumVgprs: 54
; ScratchSize: 0
; MemoryBound: 0
; FloatMode: 240
; IeeeMode: 1
; LDSByteSize: 224 bytes/workgroup (compile time only)
; SGPRBlocks: 0
; VGPRBlocks: 3
; NumSGPRsForWavesPerEU: 32
; NumVGPRsForWavesPerEU: 54
; NamedBarCnt: 0
; Occupancy: 16
; WaveLimiterHint : 1
; COMPUTE_PGM_RSRC2:SCRATCH_EN: 0
; COMPUTE_PGM_RSRC2:USER_SGPR: 2
; COMPUTE_PGM_RSRC2:TRAP_HANDLER: 0
; COMPUTE_PGM_RSRC2:TGID_X_EN: 1
; COMPUTE_PGM_RSRC2:TGID_Y_EN: 1
; COMPUTE_PGM_RSRC2:TGID_Z_EN: 1
; COMPUTE_PGM_RSRC2:TIDIG_COMP_CNT: 0
	.section	.text._ZN4vllm25paged_attention_v1_kernelI14__hip_bfloat16S1_Li112ELi8ELi128ELNS_18Fp8KVCacheDataTypeE0ELb0EEEvPT_PKS3_PKT0_S9_ifPKiSB_iPKfiiiSD_SD_iiiii,"axG",@progbits,_ZN4vllm25paged_attention_v1_kernelI14__hip_bfloat16S1_Li112ELi8ELi128ELNS_18Fp8KVCacheDataTypeE0ELb0EEEvPT_PKS3_PKT0_S9_ifPKiSB_iPKfiiiSD_SD_iiiii,comdat
	.protected	_ZN4vllm25paged_attention_v1_kernelI14__hip_bfloat16S1_Li112ELi8ELi128ELNS_18Fp8KVCacheDataTypeE0ELb0EEEvPT_PKS3_PKT0_S9_ifPKiSB_iPKfiiiSD_SD_iiiii ; -- Begin function _ZN4vllm25paged_attention_v1_kernelI14__hip_bfloat16S1_Li112ELi8ELi128ELNS_18Fp8KVCacheDataTypeE0ELb0EEEvPT_PKS3_PKT0_S9_ifPKiSB_iPKfiiiSD_SD_iiiii
	.globl	_ZN4vllm25paged_attention_v1_kernelI14__hip_bfloat16S1_Li112ELi8ELi128ELNS_18Fp8KVCacheDataTypeE0ELb0EEEvPT_PKS3_PKT0_S9_ifPKiSB_iPKfiiiSD_SD_iiiii
	.p2align	8
	.type	_ZN4vllm25paged_attention_v1_kernelI14__hip_bfloat16S1_Li112ELi8ELi128ELNS_18Fp8KVCacheDataTypeE0ELb0EEEvPT_PKS3_PKT0_S9_ifPKiSB_iPKfiiiSD_SD_iiiii,@function
_ZN4vllm25paged_attention_v1_kernelI14__hip_bfloat16S1_Li112ELi8ELi128ELNS_18Fp8KVCacheDataTypeE0ELb0EEEvPT_PKS3_PKT0_S9_ifPKiSB_iPKfiiiSD_SD_iiiii: ; @_ZN4vllm25paged_attention_v1_kernelI14__hip_bfloat16S1_Li112ELi8ELi128ELNS_18Fp8KVCacheDataTypeE0ELb0EEEvPT_PKS3_PKT0_S9_ifPKiSB_iPKfiiiSD_SD_iiiii
; %bb.0:
	s_load_b64 s[6:7], s[0:1], 0x20
	s_bfe_u32 s3, ttmp6, 0x4000c
	s_bfe_u32 s5, ttmp6, 0x40010
	s_and_b32 s4, ttmp7, 0xffff
	s_add_co_i32 s3, s3, 1
	s_add_co_i32 s5, s5, 1
	s_and_b32 s2, ttmp6, 15
	s_bfe_u32 s8, ttmp6, 0x40004
	s_mul_i32 s3, ttmp9, s3
	s_mul_i32 s5, s4, s5
	s_getreg_b32 s18, hwreg(HW_REG_IB_STS2, 6, 4)
	s_add_co_i32 s2, s2, s3
	s_add_co_i32 s8, s8, s5
	s_cmp_eq_u32 s18, 0
	s_clause 0x1
	s_load_b32 s19, s[0:1], 0x80
	s_load_b64 s[10:11], s[0:1], 0x30
	s_cselect_b32 s20, s4, s8
	s_cselect_b32 s8, ttmp9, s2
	s_wait_kmcnt 0x0
	s_abs_i32 s2, s6
	s_delay_alu instid0(SALU_CYCLE_1) | instskip(SKIP_1) | instid1(SALU_CYCLE_2)
	s_cvt_f32_u32 s3, s2
	s_sub_co_i32 s4, 0, s2
	v_rcp_iflag_f32_e32 v1, s3
	s_abs_i32 s5, s19
	v_nop
	s_delay_alu instid0(TRANS32_DEP_1) | instskip(SKIP_1) | instid1(SALU_CYCLE_3)
	v_readfirstlane_b32 s3, v1
	s_mul_f32 s3, s3, 0x4f7ffffe
	s_cvt_u32_f32 s3, s3
	s_delay_alu instid0(SALU_CYCLE_3) | instskip(NEXT) | instid1(SALU_CYCLE_1)
	s_mul_i32 s4, s4, s3
	s_mul_hi_u32 s4, s3, s4
	s_delay_alu instid0(SALU_CYCLE_1) | instskip(SKIP_4) | instid1(SALU_CYCLE_1)
	s_add_co_i32 s3, s3, s4
	s_xor_b32 s4, s19, s6
	s_mul_hi_u32 s3, s5, s3
	s_ashr_i32 s4, s4, 31
	s_mul_i32 s6, s3, s2
	s_sub_co_i32 s5, s5, s6
	s_add_co_i32 s6, s3, 1
	s_sub_co_i32 s9, s5, s2
	s_cmp_ge_u32 s5, s2
	s_cselect_b32 s3, s6, s3
	s_cselect_b32 s5, s9, s5
	s_add_co_i32 s6, s3, 1
	s_cmp_ge_u32 s5, s2
	s_cselect_b32 s2, s6, s3
	s_mov_b32 s3, 0
	s_xor_b32 s2, s2, s4
	s_mov_b32 s13, s3
	s_sub_co_i32 s15, s2, s4
	s_load_b64 s[4:5], s[0:1], 0x40
	s_abs_i32 s14, s15
	s_mov_b32 s23, s3
	s_cvt_f32_u32 s2, s14
	s_delay_alu instid0(SALU_CYCLE_3) | instskip(SKIP_1) | instid1(TRANS32_DEP_1)
	v_rcp_iflag_f32_e32 v1, s2
	v_nop
	v_readfirstlane_b32 s2, v1
	s_mul_f32 s2, s2, 0x4f7ffffe
	s_delay_alu instid0(SALU_CYCLE_3) | instskip(SKIP_1) | instid1(SALU_CYCLE_2)
	s_cvt_u32_f32 s6, s2
	s_sub_co_i32 s2, 0, s14
	s_mul_i32 s2, s2, s6
	s_delay_alu instid0(SALU_CYCLE_1)
	s_mul_hi_u32 s9, s6, s2
	s_abs_i32 s2, s8
	s_add_co_i32 s12, s6, s9
	s_wait_kmcnt 0x0
	s_cmp_eq_u64 s[4:5], 0
	s_cbranch_scc1 .LBB121_2
; %bb.1:
	s_ashr_i32 s9, s8, 31
	s_delay_alu instid0(SALU_CYCLE_1) | instskip(NEXT) | instid1(SALU_CYCLE_1)
	s_lshl_b64 s[16:17], s[8:9], 2
	s_add_nc_u64 s[4:5], s[4:5], s[16:17]
	s_load_b32 s23, s[4:5], 0x0
.LBB121_2:
	s_load_b32 s21, s[10:11], s20 offset:0x0 scale_offset
	s_wait_xcnt 0x0
	s_load_b96 s[4:6], s[0:1], 0x48
	v_and_b32_e32 v6, 3, v0
	s_ashr_i32 s16, s8, 31
	s_ashr_i32 s15, s15, 31
	s_mul_u64 s[10:11], s[2:3], s[12:13]
	s_mulk_i32 s8, 0x70
	s_mov_b32 s3, exec_lo
	v_cmpx_gt_u32_e32 56, v0
	s_cbranch_execz .LBB121_4
; %bb.3:
	s_load_b64 s[12:13], s[0:1], 0x8
	s_wait_kmcnt 0x0
	s_mul_i32 s24, s4, s20
	s_ashr_i32 s9, s8, 31
	s_ashr_i32 s25, s24, 31
	v_and_b32_e32 v2, 0x3fc, v0
	s_lshl_b64 s[24:25], s[24:25], 1
	s_delay_alu instid0(VALU_DEP_1) | instskip(SKIP_2) | instid1(SALU_CYCLE_1)
	v_mad_u32_u24 v2, v6, 56, v2
	s_add_nc_u64 s[12:13], s[12:13], s[24:25]
	s_lshl_b64 s[24:25], s[8:9], 1
	s_add_nc_u64 s[12:13], s[12:13], s[24:25]
	global_load_b32 v1, v0, s[12:13] scale_offset
	s_wait_loadcnt 0x0
	ds_store_b32 v2, v1
.LBB121_4:
	s_or_b32 exec_lo, exec_lo, s3
	s_wait_kmcnt 0x0
	s_add_co_i32 s3, s21, 7
	s_load_b32 s4, s[0:1], 0x38
	s_ashr_i32 s9, s3, 31
	s_mul_i32 s12, s11, s14
	s_lshr_b32 s9, s9, 29
	s_sub_co_i32 s2, s2, s12
	s_add_co_i32 s3, s3, s9
	s_xor_b32 s10, s16, s15
	s_ashr_i32 s22, s3, 3
	s_add_co_i32 s3, s11, 1
	s_sub_co_i32 s9, s2, s14
	s_cmp_ge_u32 s2, s14
	v_lshrrev_b32_e32 v1, 5, v0
	s_cselect_b32 s3, s3, s11
	s_cselect_b32 s2, s9, s2
	s_add_co_i32 s9, s3, 1
	s_cmp_ge_u32 s2, s14
	v_mbcnt_lo_u32_b32 v9, -1, 0
	s_cselect_b32 s2, s9, s3
	s_wait_dscnt 0x0
	s_xor_b32 s2, s2, s10
	s_barrier_signal -1
	s_sub_co_i32 s3, s2, s10
	v_cmp_gt_i32_e64 s2, s22, v1
	s_wait_kmcnt 0x0
	s_mul_i32 s10, s4, s20
	s_mov_b32 s4, exec_lo
	s_ashr_i32 s11, s10, 31
	s_barrier_wait -1
                                        ; implicit-def: $vgpr3
                                        ; implicit-def: $vgpr10
	v_cmpx_le_i32_e64 s22, v1
	s_xor_b32 s4, exec_lo, s4
; %bb.5:
	v_dual_mov_b32 v3, 0 :: v_dual_mov_b32 v10, 32
	v_mbcnt_lo_u32_b32 v9, -1, 0
                                        ; implicit-def: $vgpr6
; %bb.6:
	s_or_saveexec_b32 s24, s4
	s_clause 0x1
	s_load_b64 s[12:13], s[0:1], 0x28
	s_load_b32 s9, s[0:1], 0x88
	v_mov_b32_e32 v2, 0xff7fffff
	v_lshrrev_b32_e32 v8, 3, v0
	s_mul_i32 s14, s3, s6
	s_xor_b32 exec_lo, exec_lo, s24
	s_cbranch_execz .LBB121_12
; %bb.7:
	v_mul_u32_u24_e32 v4, 56, v6
	s_load_b64 s[26:27], s[0:1], 0x10
	v_bfe_u32 v7, v0, 2, 3
	s_ashr_i32 s15, s14, 31
	v_mov_b32_e32 v3, 0
	ds_load_2addr_b64 v[16:19], v4 offset1:1
	ds_load_2addr_b64 v[24:27], v4 offset0:2 offset1:3
	ds_load_2addr_b64 v[32:35], v4 offset0:4 offset1:5
	ds_load_b64 v[38:39], v4 offset:48
	v_lshlrev_b32_e32 v2, 4, v7
	s_lshl_b64 s[28:29], s[14:15], 1
	v_lshlrev_b32_e32 v10, 2, v0
	s_ashr_i32 s17, s5, 31
	s_cmp_neq_f32 s23, 0
	s_mov_b32 s16, s5
	s_mov_b32 s6, 0
	v_lshlrev_b32_e32 v41, 2, v7
	s_cselect_b32 s3, -1, 0
	s_sub_co_i32 s15, 1, s21
	v_mov_b32_e32 v43, v1
	s_wait_kmcnt 0x0
	s_add_nc_u64 s[26:27], s[26:27], s[28:29]
	s_delay_alu instid0(SALU_CYCLE_1)
	v_add_nc_u64_e32 v[4:5], s[26:27], v[2:3]
	s_lshl_b64 s[26:27], s[10:11], 2
	s_wait_dscnt 0x3
	v_dual_lshlrev_b32 v13, 16, v17 :: v_dual_bitop2_b32 v2, 12, v10 bitop3:0x40
	v_lshlrev_b32_e32 v11, 16, v16
	v_and_b32_e32 v12, 0xffff0000, v16
	v_and_b32_e32 v14, 0xffff0000, v17
	v_dual_lshlrev_b32 v15, 16, v18 :: v_dual_lshlrev_b32 v17, 16, v19
	v_and_b32_e32 v16, 0xffff0000, v18
	v_and_b32_e32 v18, 0xffff0000, v19
	s_wait_dscnt 0x2
	v_dual_lshlrev_b32 v19, 16, v24 :: v_dual_lshlrev_b32 v21, 16, v25
	v_and_b32_e32 v20, 0xffff0000, v24
	v_and_b32_e32 v22, 0xffff0000, v25
	v_dual_lshlrev_b32 v23, 16, v26 :: v_dual_lshlrev_b32 v25, 16, v27
	v_add_nc_u64_e32 v[4:5], v[4:5], v[2:3]
	v_and_b32_e32 v24, 0xffff0000, v26
	v_and_b32_e32 v26, 0xffff0000, v27
	s_wait_dscnt 0x1
	v_dual_lshlrev_b32 v27, 16, v32 :: v_dual_lshlrev_b32 v29, 16, v33
	v_and_b32_e32 v28, 0xffff0000, v32
	v_and_b32_e32 v30, 0xffff0000, v33
	v_dual_lshlrev_b32 v31, 16, v34 :: v_dual_lshlrev_b32 v33, 16, v35
	v_and_b32_e32 v32, 0xffff0000, v34
	v_and_b32_e32 v34, 0xffff0000, v35
	s_wait_dscnt 0x0
	v_dual_lshlrev_b32 v35, 16, v38 :: v_dual_bitop2_b32 v2, 2, v9 bitop3:0x14
	v_dual_lshlrev_b32 v37, 16, v39 :: v_dual_bitop2_b32 v10, 1, v9 bitop3:0x14
	v_and_b32_e32 v36, 0xffff0000, v38
	v_and_b32_e32 v38, 0xffff0000, v39
	s_delay_alu instid0(VALU_DEP_4) | instskip(SKIP_4) | instid1(VALU_DEP_3)
	v_cmp_gt_i32_e32 vcc_lo, 32, v2
	s_add_nc_u64 s[26:27], s[12:13], s[26:27]
	v_cndmask_b32_e32 v2, v9, v2, vcc_lo
	v_cmp_gt_i32_e32 vcc_lo, 32, v10
	v_dual_cndmask_b32 v40, v9, v10, vcc_lo :: v_dual_mov_b32 v10, 32
	v_lshlrev_b32_e32 v39, 2, v2
	v_cmp_eq_u32_e32 vcc_lo, 0, v6
	v_lshl_or_b32 v6, v1, 5, v41
	v_and_b32_e32 v2, 0x7c, v8
	v_lshl_or_b32 v41, v1, 3, v7
	v_lshlrev_b32_e32 v40, 2, v40
	s_delay_alu instid0(VALU_DEP_4) | instskip(NEXT) | instid1(VALU_DEP_4)
	v_add_nc_u32_e32 v42, 0x100, v6
	v_add_nc_u64_e32 v[6:7], s[26:27], v[2:3]
	v_mov_b32_e32 v2, 0xff7fffff
	s_branch .LBB121_9
.LBB121_8:                              ;   in Loop: Header=BB121_9 Depth=1
	s_or_b32 exec_lo, exec_lo, s25
	v_dual_add_nc_u32 v43, 4, v43 :: v_dual_add_nc_u32 v41, 32, v41
	v_add_nc_u64_e32 v[6:7], 16, v[6:7]
	v_add_nc_u32_e32 v42, 0x80, v42
	s_delay_alu instid0(VALU_DEP_3) | instskip(SKIP_1) | instid1(SALU_CYCLE_1)
	v_cmp_le_i32_e64 s4, s22, v43
	s_or_b32 s6, s4, s6
	s_and_not1_b32 exec_lo, exec_lo, s6
	s_cbranch_execz .LBB121_11
.LBB121_9:                              ; =>This Inner Loop Header: Depth=1
	global_load_b32 v44, v[6:7], off
	s_wait_loadcnt_dscnt 0x0
	v_ashrrev_i32_e32 v45, 31, v44
	s_delay_alu instid0(VALU_DEP_1) | instskip(NEXT) | instid1(VALU_DEP_1)
	v_mul_u64_e32 v[44:45], s[16:17], v[44:45]
	v_lshl_add_u64 v[44:45], v[44:45], 1, v[4:5]
	s_clause 0xd
	global_load_b32 v46, v[44:45], off offset:128
	global_load_b32 v47, v[44:45], off
	global_load_b32 v48, v[44:45], off offset:256
	global_load_b32 v49, v[44:45], off offset:384
	global_load_b32 v50, v[44:45], off offset:512
	global_load_b32 v51, v[44:45], off offset:640
	global_load_b32 v52, v[44:45], off offset:768
	global_load_b32 v53, v[44:45], off offset:896
	global_load_b32 v54, v[44:45], off offset:1024
	global_load_b32 v55, v[44:45], off offset:1152
	global_load_b32 v56, v[44:45], off offset:1280
	global_load_b32 v57, v[44:45], off offset:1408
	global_load_b32 v58, v[44:45], off offset:1536
	global_load_b32 v59, v[44:45], off offset:1664
	s_wait_loadcnt 0xd
	s_wait_xcnt 0x0
	v_lshlrev_b32_e32 v44, 16, v46
	v_and_b32_e32 v45, 0xffff0000, v46
	s_delay_alu instid0(VALU_DEP_1) | instskip(SKIP_1) | instid1(VALU_DEP_1)
	v_dual_mul_f32 v44, v13, v44 :: v_dual_mul_f32 v45, v14, v45
	s_wait_loadcnt 0xc
	v_fma_mix_f32_bf16 v44, v11, v47, v44 op_sel_hi:[0,1,0]
	s_delay_alu instid0(VALU_DEP_2) | instskip(SKIP_1) | instid1(VALU_DEP_2)
	v_fma_mix_f32_bf16 v45, v12, v47, v45 op_sel:[0,1,0] op_sel_hi:[0,1,0]
	s_wait_loadcnt 0xb
	v_fma_mix_f32_bf16 v44, v15, v48, v44 op_sel_hi:[0,1,0]
	s_delay_alu instid0(VALU_DEP_2) | instskip(SKIP_1) | instid1(VALU_DEP_2)
	v_fma_mix_f32_bf16 v45, v16, v48, v45 op_sel:[0,1,0] op_sel_hi:[0,1,0]
	;; [unrolled: 4-line block ×12, first 2 shown]
	s_wait_loadcnt 0x0
	v_fma_mix_f32_bf16 v44, v37, v59, v44 op_sel_hi:[0,1,0]
	s_delay_alu instid0(VALU_DEP_2) | instskip(NEXT) | instid1(VALU_DEP_1)
	v_fma_mix_f32_bf16 v45, v38, v59, v45 op_sel:[0,1,0] op_sel_hi:[0,1,0]
	v_add_f32_e32 v44, v44, v45
	ds_bpermute_b32 v45, v39, v44
	s_wait_dscnt 0x0
	v_add_f32_e32 v44, v44, v45
	ds_bpermute_b32 v45, v40, v44
	s_and_saveexec_b32 s25, vcc_lo
	s_cbranch_execz .LBB121_8
; %bb.10:                               ;   in Loop: Header=BB121_9 Depth=1
	s_wait_dscnt 0x0
	v_add_f32_e32 v44, v44, v45
	v_add_nc_u32_e32 v46, s15, v41
	v_cmp_gt_i32_e64 s4, s21, v41
	s_delay_alu instid0(VALU_DEP_2) | instskip(NEXT) | instid1(VALU_DEP_1)
	v_cvt_f32_i32_e32 v46, v46
	v_mul_f32_e32 v46, s23, v46
	s_delay_alu instid0(VALU_DEP_1) | instskip(NEXT) | instid1(VALU_DEP_1)
	v_cndmask_b32_e64 v45, 0, v46, s3
	v_dual_max_num_f32 v46, v2, v2 :: v_dual_fmac_f32 v45, s7, v44
	s_delay_alu instid0(VALU_DEP_1) | instskip(NEXT) | instid1(VALU_DEP_1)
	v_dual_max_num_f32 v44, v46, v45 :: v_dual_cndmask_b32 v45, 0, v45, s4
	v_cndmask_b32_e64 v2, v2, v44, s4
	ds_store_b32 v42, v45
	s_branch .LBB121_8
.LBB121_11:
	s_or_b32 exec_lo, exec_lo, s6
.LBB121_12:
	s_delay_alu instid0(SALU_CYCLE_1)
	s_or_b32 exec_lo, exec_lo, s24
	v_dual_max_num_f32 v7, v2, v2 :: v_dual_bitop2_b32 v4, 16, v9 bitop3:0x14
	s_clause 0x1
	s_load_b64 s[6:7], s[0:1], 0x0
	s_load_b64 s[16:17], s[0:1], 0x18
	v_xor_b32_e32 v6, 8, v9
	v_and_b32_e32 v32, 31, v0
	v_cmp_lt_i32_e32 vcc_lo, v4, v10
	v_cndmask_b32_e32 v4, v9, v4, vcc_lo
	s_delay_alu instid0(VALU_DEP_4) | instskip(NEXT) | instid1(VALU_DEP_2)
	v_cmp_lt_i32_e32 vcc_lo, v6, v10
	v_lshlrev_b32_e32 v4, 2, v4
	ds_bpermute_b32 v5, v4, v2
	v_cndmask_b32_e32 v2, v9, v6, vcc_lo
	s_wait_dscnt 0x0
	s_delay_alu instid0(VALU_DEP_1) | instskip(NEXT) | instid1(VALU_DEP_1)
	v_dual_max_num_f32 v5, v5, v5 :: v_dual_lshlrev_b32 v2, 2, v2
	v_max_num_f32_e32 v5, v7, v5
	ds_bpermute_b32 v6, v2, v5
	s_wait_dscnt 0x0
	v_dual_max_num_f32 v6, v6, v6 :: v_dual_bitop2_b32 v7, 4, v9 bitop3:0x14
	s_delay_alu instid0(VALU_DEP_1) | instskip(NEXT) | instid1(VALU_DEP_2)
	v_max_num_f32_e32 v6, v5, v6
	v_cmp_lt_i32_e32 vcc_lo, v7, v10
	v_dual_lshlrev_b32 v5, 2, v1 :: v_dual_cndmask_b32 v7, v9, v7, vcc_lo
	v_cmp_eq_u32_e32 vcc_lo, 0, v32
	s_delay_alu instid0(VALU_DEP_2)
	v_lshlrev_b32_e32 v7, 2, v7
	ds_bpermute_b32 v11, v7, v6
	s_wait_xcnt 0x0
	s_and_saveexec_b32 s0, vcc_lo
	s_cbranch_execz .LBB121_14
; %bb.13:
	s_wait_dscnt 0x0
	v_dual_max_num_f32 v11, v11, v11 :: v_dual_max_num_f32 v6, v6, v6
	s_delay_alu instid0(VALU_DEP_1)
	v_max_num_f32_e32 v6, v6, v11
	ds_store_b32 v5, v6 offset:224
.LBB121_14:
	s_or_b32 exec_lo, exec_lo, s0
	v_cmp_gt_u32_e64 s0, 4, v32
	v_mov_b32_e32 v12, 0xff7fffff
	v_lshlrev_b32_e32 v6, 2, v32
	s_wait_dscnt 0x0
	s_barrier_signal -1
	s_barrier_wait -1
	s_and_saveexec_b32 s1, s0
; %bb.15:
	ds_load_b32 v12, v6 offset:224
; %bb.16:
	s_or_b32 exec_lo, exec_lo, s1
	v_xor_b32_e32 v11, 2, v9
	v_lshl_add_u32 v33, v0, 2, 0x100
	v_dual_lshlrev_b32 v3, 2, v3 :: v_dual_bitop2_b32 v14, 1, v9 bitop3:0x14
	s_delay_alu instid0(VALU_DEP_3) | instskip(NEXT) | instid1(VALU_DEP_1)
	v_cmp_lt_i32_e64 s1, v11, v10
	v_cndmask_b32_e64 v11, v9, v11, s1
	s_delay_alu instid0(VALU_DEP_3) | instskip(NEXT) | instid1(VALU_DEP_1)
	v_cmp_lt_i32_e64 s1, v14, v10
	v_dual_lshlrev_b32 v11, 2, v11 :: v_dual_cndmask_b32 v10, v9, v14, s1
	s_lshl_b32 s1, s22, 3
	s_delay_alu instid0(SALU_CYCLE_1)
	s_min_i32 s4, s1, s21
	s_wait_dscnt 0x0
	ds_bpermute_b32 v13, v11, v12
	v_dual_max_num_f32 v12, v12, v12 :: v_dual_lshlrev_b32 v10, 2, v10
	v_cmp_gt_i32_e64 s1, s4, v0
	s_wait_dscnt 0x0
	v_max_num_f32_e32 v13, v13, v13
	s_delay_alu instid0(VALU_DEP_1) | instskip(SKIP_3) | instid1(VALU_DEP_1)
	v_max_num_f32_e32 v12, v12, v13
	ds_bpermute_b32 v13, v10, v12
	s_wait_dscnt 0x0
	v_max_num_f32_e32 v13, v13, v13
	v_max_num_f32_e32 v12, v12, v13
	ds_bpermute_b32 v12, v3, v12
	v_mov_b32_e32 v3, 0
	s_and_saveexec_b32 s15, s1
	s_cbranch_execz .LBB121_20
; %bb.17:
	v_lshl_add_u32 v13, v0, 2, 0x100
	v_dual_mov_b32 v3, 0 :: v_dual_mov_b32 v14, v0
	s_mov_b32 s23, 0
.LBB121_18:                             ; =>This Inner Loop Header: Depth=1
	ds_load_b32 v15, v13
	v_add_nc_u32_e32 v14, 0x80, v14
	s_delay_alu instid0(VALU_DEP_1) | instskip(SKIP_3) | instid1(VALU_DEP_1)
	v_cmp_le_i32_e64 s3, s4, v14
	s_or_b32 s23, s3, s23
	s_wait_dscnt 0x0
	v_sub_f32_e32 v15, v15, v12
	v_mul_f32_e32 v15, 0x3fb8aa3b, v15
	s_delay_alu instid0(VALU_DEP_1)
	v_exp_f32_e32 v15, v15
	ds_store_b32 v13, v15
	v_nop
	v_add_f32_e32 v3, v3, v15
	v_add_nc_u32_e32 v13, 0x200, v13
	s_and_not1_b32 exec_lo, exec_lo, s23
	s_cbranch_execnz .LBB121_18
; %bb.19:
	s_or_b32 exec_lo, exec_lo, s23
.LBB121_20:
	s_delay_alu instid0(SALU_CYCLE_1)
	s_or_b32 exec_lo, exec_lo, s15
	ds_bpermute_b32 v4, v4, v3
	s_wait_dscnt 0x0
	v_add_f32_e32 v3, v3, v4
	ds_bpermute_b32 v2, v2, v3
	s_wait_dscnt 0x0
	v_add_f32_e32 v2, v3, v2
	;; [unrolled: 3-line block ×5, first 2 shown]
	s_and_saveexec_b32 s3, vcc_lo
; %bb.21:
	ds_store_b32 v5, v2 offset:240
; %bb.22:
	s_or_b32 exec_lo, exec_lo, s3
	s_wait_dscnt 0x0
	s_barrier_signal -1
	s_barrier_wait -1
	s_and_saveexec_b32 s3, s0
; %bb.23:
	ds_load_b32 v2, v6 offset:240
; %bb.24:
	s_or_b32 exec_lo, exec_lo, s3
	s_wait_dscnt 0x0
	ds_bpermute_b32 v3, v11, v2
	s_wait_dscnt 0x0
	v_dual_lshlrev_b32 v4, 2, v9 :: v_dual_add_f32 v2, v2, v3
	ds_bpermute_b32 v3, v10, v2
	s_wait_dscnt 0x0
	v_add_f32_e32 v2, v2, v3
	v_and_b32_e32 v3, 0xffffff80, v4
	ds_bpermute_b32 v2, v3, v2
	s_and_saveexec_b32 s0, s1
	s_cbranch_execz .LBB121_37
; %bb.25:
	s_wait_dscnt 0x0
	v_add_f32_e32 v2, 0x358637bd, v2
	s_mov_b32 s3, -1
	s_mov_b32 s1, exec_lo
	s_delay_alu instid0(VALU_DEP_1) | instskip(NEXT) | instid1(VALU_DEP_1)
	v_div_scale_f32 v3, null, v2, v2, 1.0
	v_rcp_f32_e32 v5, v3
	v_nop
	s_delay_alu instid0(TRANS32_DEP_1) | instskip(NEXT) | instid1(VALU_DEP_1)
	v_fma_f32 v4, -v3, v5, 1.0
	v_fmac_f32_e32 v5, v4, v5
	v_div_scale_f32 v6, vcc_lo, 1.0, v2, 1.0
	s_delay_alu instid0(VALU_DEP_1) | instskip(NEXT) | instid1(VALU_DEP_1)
	v_mul_f32_e32 v7, v6, v5
	v_fma_f32 v4, -v3, v7, v6
	s_delay_alu instid0(VALU_DEP_1) | instskip(SKIP_1) | instid1(VALU_DEP_2)
	v_fmac_f32_e32 v7, v4, v5
	v_xad_u32 v4, v0, -1, s4
	v_fma_f32 v3, -v3, v7, v6
	s_delay_alu instid0(VALU_DEP_1) | instskip(NEXT) | instid1(VALU_DEP_1)
	v_div_fmas_f32 v3, v3, v5, v7
	v_div_fixup_f32 v2, v3, v2, 1.0
	v_mov_b32_e32 v3, v0
	v_cmpx_lt_u32_e32 0x7f, v4
	s_cbranch_execz .LBB121_34
; %bb.26:
	s_delay_alu instid0(VALU_DEP_3) | instskip(NEXT) | instid1(VALU_DEP_1)
	v_dual_mov_b32 v3, v2 :: v_dual_lshrrev_b32 v4, 7, v4
	v_dual_mov_b32 v9, 0 :: v_dual_add_nc_u32 v5, -1, v4
	s_delay_alu instid0(VALU_DEP_1) | instskip(SKIP_1) | instid1(VALU_DEP_2)
	v_lshrrev_b32_e32 v6, 1, v5
	v_cmp_lt_u32_e32 vcc_lo, 13, v5
	v_add_nc_u32_e32 v5, 1, v6
	s_and_saveexec_b32 s3, vcc_lo
	s_cbranch_execz .LBB121_30
; %bb.27:
	s_delay_alu instid0(VALU_DEP_1)
	v_dual_mov_b32 v7, v33 :: v_dual_bitop2_b32 v6, -8, v5 bitop3:0x40
	s_mov_b32 s15, 0
	s_mov_b32 s23, 0
.LBB121_28:                             ; =>This Inner Loop Header: Depth=1
	ds_load_2addr_stride64_b32 v[10:11], v7 offset1:2
	ds_load_2addr_stride64_b32 v[12:13], v7 offset0:4 offset1:6
	ds_load_2addr_stride64_b32 v[14:15], v7 offset0:8 offset1:10
	;; [unrolled: 1-line block ×7, first 2 shown]
	s_add_co_i32 s23, s23, 16
	s_delay_alu instid0(SALU_CYCLE_1) | instskip(NEXT) | instid1(VALU_DEP_1)
	v_dual_mov_b32 v9, s23 :: v_dual_add_nc_u32 v6, -8, v6
	v_cmp_eq_u32_e32 vcc_lo, 0, v6
	s_or_b32 s15, vcc_lo, s15
	s_wait_dscnt 0x7
	v_pk_mul_f32 v[10:11], v[2:3], v[10:11]
	s_wait_dscnt 0x6
	v_pk_mul_f32 v[12:13], v[2:3], v[12:13]
	;; [unrolled: 2-line block ×8, first 2 shown]
	ds_store_2addr_stride64_b32 v7, v10, v11 offset1:2
	ds_store_2addr_stride64_b32 v7, v12, v13 offset0:4 offset1:6
	ds_store_2addr_stride64_b32 v7, v14, v15 offset0:8 offset1:10
	;; [unrolled: 1-line block ×7, first 2 shown]
	v_add_nc_u32_e32 v7, 0x2000, v7
	s_and_not1_b32 exec_lo, exec_lo, s15
	s_cbranch_execnz .LBB121_28
; %bb.29:
	s_or_b32 exec_lo, exec_lo, s15
.LBB121_30:
	s_delay_alu instid0(SALU_CYCLE_1) | instskip(NEXT) | instid1(VALU_DEP_1)
	s_or_b32 exec_lo, exec_lo, s3
	v_and_b32_e32 v5, 7, v5
	s_mov_b32 s15, 0
	s_mov_b32 s3, exec_lo
	s_delay_alu instid0(VALU_DEP_1)
	v_cmpx_ne_u32_e32 0, v5
	s_cbranch_execz .LBB121_33
; %bb.31:
	v_dual_lshlrev_b32 v6, 9, v9 :: v_dual_lshlrev_b32 v7, 2, v0
	s_delay_alu instid0(VALU_DEP_1)
	v_add3_u32 v6, v6, v7, 0x100
.LBB121_32:                             ; =>This Inner Loop Header: Depth=1
	ds_load_2addr_stride64_b32 v[10:11], v6 offset1:2
	v_add_nc_u32_e32 v5, -1, v5
	s_delay_alu instid0(VALU_DEP_1)
	v_cmp_eq_u32_e32 vcc_lo, 0, v5
	s_or_b32 s15, vcc_lo, s15
	s_wait_dscnt 0x0
	v_pk_mul_f32 v[10:11], v[2:3], v[10:11]
	ds_store_2addr_stride64_b32 v6, v10, v11 offset1:2
	v_add_nc_u32_e32 v6, 0x400, v6
	s_and_not1_b32 exec_lo, exec_lo, s15
	s_cbranch_execnz .LBB121_32
.LBB121_33:
	s_or_b32 exec_lo, exec_lo, s3
	v_add_nc_u32_e32 v3, 1, v4
	s_delay_alu instid0(VALU_DEP_1) | instskip(NEXT) | instid1(VALU_DEP_1)
	v_and_b32_e32 v4, 0x3fffffe, v3
	v_cmp_ne_u32_e32 vcc_lo, v3, v4
	v_lshl_add_u32 v3, v4, 7, v0
	s_or_not1_b32 s3, vcc_lo, exec_lo
.LBB121_34:
	s_or_b32 exec_lo, exec_lo, s1
	s_delay_alu instid0(SALU_CYCLE_1)
	s_and_b32 exec_lo, exec_lo, s3
	s_cbranch_execz .LBB121_37
; %bb.35:
	v_lshl_add_u32 v4, v3, 2, 0x100
	s_mov_b32 s1, 0
.LBB121_36:                             ; =>This Inner Loop Header: Depth=1
	ds_load_b32 v5, v4
	v_add_nc_u32_e32 v3, 0x80, v3
	s_delay_alu instid0(VALU_DEP_1)
	v_cmp_le_i32_e32 vcc_lo, s4, v3
	s_or_b32 s1, vcc_lo, s1
	s_wait_dscnt 0x0
	v_mul_f32_e32 v5, v2, v5
	ds_store_b32 v4, v5
	v_add_nc_u32_e32 v4, 0x200, v4
	s_and_not1_b32 exec_lo, exec_lo, s1
	s_cbranch_execnz .LBB121_36
.LBB121_37:
	s_or_b32 exec_lo, exec_lo, s0
	v_mov_b64_e32 v[22:23], 0
	v_dual_mov_b32 v35, 0 :: v_dual_mov_b32 v34, 0
	s_wait_dscnt 0x0
	s_barrier_signal -1
	s_barrier_wait -1
	s_and_saveexec_b32 s23, s2
	s_cbranch_execz .LBB121_51
; %bb.38:
	s_ashr_i32 s15, s14, 31
	v_or_b32_e32 v3, 0x60, v32
	s_lshl_b64 s[0:1], s[14:15], 1
	v_dual_mov_b32 v25, 0 :: v_dual_lshlrev_b32 v2, 3, v32
	v_and_b32_e32 v24, 0x7c, v8
	s_ashr_i32 s3, s5, 31
	s_mov_b32 s2, s5
	s_wait_kmcnt 0x0
	s_add_nc_u64 s[4:5], s[16:17], s[0:1]
	s_lshl_b64 s[0:1], s[10:11], 2
	v_dual_lshlrev_b32 v4, 3, v3 :: v_dual_lshlrev_b32 v36, 3, v1
	s_add_nc_u64 s[0:1], s[12:13], s[0:1]
	v_lshl_add_u32 v37, v1, 5, 0x100
	v_add_nc_u64_e32 v[26:27], s[0:1], v[24:25]
	v_dual_mov_b32 v29, v25 :: v_dual_lshlrev_b32 v28, 1, v2
	v_dual_lshlrev_b32 v24, 1, v4 :: v_dual_mov_b32 v34, v25
	v_dual_mov_b32 v35, v25 :: v_dual_mov_b32 v23, v25
	v_dual_mov_b32 v22, v25 :: v_dual_mov_b32 v38, v1
	s_add_co_i32 s10, s22, -1
	s_mov_b32 s12, s21
	s_mov_b32 s11, 0
	v_cmp_gt_u32_e32 vcc_lo, 0x70, v3
	s_branch .LBB121_41
.LBB121_39:                             ;   in Loop: Header=BB121_41 Depth=1
	s_or_b32 exec_lo, exec_lo, s13
	s_wait_loadcnt 0x0
	v_pk_mul_bf16 v10, v39, v10
	v_pk_mul_bf16 v11, v16, v11
	;; [unrolled: 1-line block ×4, first 2 shown]
	s_delay_alu instid0(VALU_DEP_3) | instskip(SKIP_4) | instid1(VALU_DEP_3)
	v_dual_lshlrev_b32 v17, 16, v10 :: v_dual_lshlrev_b32 v30, 16, v11
	v_and_b32_e32 v10, 0xffff0000, v10
	v_and_b32_e32 v11, 0xffff0000, v11
	v_lshlrev_b32_e32 v31, 16, v12
	v_and_b32_e32 v12, 0xffff0000, v12
	v_dual_add_f32 v10, v10, v17 :: v_dual_add_f32 v11, v11, v30
	s_delay_alu instid0(VALU_DEP_2) | instskip(NEXT) | instid1(VALU_DEP_2)
	v_dual_add_f32 v12, v12, v31 :: v_dual_lshlrev_b32 v17, 16, v13
	v_add_f32_e32 v10, v11, v10
	v_and_b32_e32 v11, 0xffff0000, v13
	s_delay_alu instid0(VALU_DEP_1) | instskip(NEXT) | instid1(VALU_DEP_1)
	v_dual_add_f32 v10, v12, v10 :: v_dual_add_f32 v11, v11, v17
	v_add_f32_e32 v10, v11, v10
	s_delay_alu instid0(VALU_DEP_1)
	v_add_f32_e32 v34, v34, v10
.LBB121_40:                             ;   in Loop: Header=BB121_41 Depth=1
	s_or_b32 exec_lo, exec_lo, s1
	s_wait_loadcnt 0x0
	v_pk_mul_bf16 v10, v39, v18
	v_pk_mul_bf16 v11, v16, v19
	;; [unrolled: 1-line block ×5, first 2 shown]
	s_delay_alu instid0(VALU_DEP_4)
	v_dual_lshlrev_b32 v13, 16, v10 :: v_dual_lshlrev_b32 v17, 16, v11
	v_and_b32_e32 v10, 0xffff0000, v10
	v_and_b32_e32 v11, 0xffff0000, v11
	v_lshlrev_b32_e32 v18, 16, v12
	v_and_b32_e32 v12, 0xffff0000, v12
	v_pk_mul_bf16 v8, v15, v8
	v_add_f32_e32 v10, v13, v10
	v_add_f32_e32 v11, v17, v11
	v_pk_mul_bf16 v13, v14, v21
	v_dual_add_f32 v12, v18, v12 :: v_dual_lshlrev_b32 v17, 16, v6
	v_and_b32_e32 v6, 0xffff0000, v6
	s_delay_alu instid0(VALU_DEP_3) | instskip(SKIP_3) | instid1(VALU_DEP_4)
	v_dual_add_f32 v10, v11, v10 :: v_dual_lshlrev_b32 v11, 16, v13
	v_pk_mul_bf16 v2, v39, v2
	v_pk_mul_bf16 v3, v16, v3
	;; [unrolled: 1-line block ×3, first 2 shown]
	v_dual_add_f32 v10, v12, v10 :: v_dual_lshlrev_b32 v12, 16, v7
	v_and_b32_e32 v7, 0xffff0000, v7
	v_add_f32_e32 v6, v17, v6
	v_dual_lshlrev_b32 v16, 16, v2 :: v_dual_lshlrev_b32 v17, 16, v3
	v_and_b32_e32 v2, 0xffff0000, v2
	s_delay_alu instid0(VALU_DEP_4) | instskip(SKIP_3) | instid1(VALU_DEP_4)
	v_dual_add_f32 v7, v12, v7 :: v_dual_lshlrev_b32 v12, 16, v8
	v_and_b32_e32 v8, 0xffff0000, v8
	v_and_b32_e32 v3, 0xffff0000, v3
	v_pk_mul_bf16 v9, v14, v9
	v_add_f32_e32 v6, v7, v6
	v_add_f32_e32 v2, v16, v2
	s_delay_alu instid0(VALU_DEP_4) | instskip(NEXT) | instid1(VALU_DEP_4)
	v_dual_add_f32 v7, v12, v8 :: v_dual_add_f32 v3, v17, v3
	v_dual_lshlrev_b32 v8, 16, v4 :: v_dual_lshlrev_b32 v12, 16, v9
	v_and_b32_e32 v4, 0xffff0000, v4
	v_pk_mul_bf16 v5, v14, v5
	v_and_b32_e32 v13, 0xffff0000, v13
	v_and_b32_e32 v9, 0xffff0000, v9
	s_delay_alu instid0(VALU_DEP_4) | instskip(NEXT) | instid1(VALU_DEP_4)
	v_dual_add_f32 v2, v3, v2 :: v_dual_add_f32 v3, v8, v4
	v_dual_lshlrev_b32 v4, 16, v5 :: v_dual_add_f32 v6, v7, v6
	v_and_b32_e32 v5, 0xffff0000, v5
	v_dual_add_f32 v8, v11, v13 :: v_dual_add_nc_u32 v38, 4, v38
	s_delay_alu instid0(VALU_DEP_4) | instskip(NEXT) | instid1(VALU_DEP_3)
	v_dual_add_f32 v7, v12, v9 :: v_dual_add_f32 v2, v3, v2
	v_add_f32_e32 v3, v4, v5
	v_add_nc_u64_e32 v[26:27], 16, v[26:27]
	s_delay_alu instid0(VALU_DEP_4) | instskip(NEXT) | instid1(VALU_DEP_4)
	v_cmp_le_i32_e64 s0, s22, v38
	v_add_f32_e32 v5, v7, v6
	v_add_f32_e32 v4, v8, v10
	v_dual_add_f32 v2, v3, v2 :: v_dual_add_nc_u32 v36, 32, v36
	v_add_nc_u32_e32 v37, 0x80, v37
	s_delay_alu instid0(VALU_DEP_4) | instskip(NEXT) | instid1(VALU_DEP_3)
	v_add_f32_e32 v23, v23, v5
	v_dual_add_f32 v35, v35, v4 :: v_dual_add_f32 v22, v22, v2
	s_or_b32 s11, s0, s11
	s_delay_alu instid0(SALU_CYCLE_1)
	s_and_not1_b32 exec_lo, exec_lo, s11
	s_cbranch_execz .LBB121_50
.LBB121_41:                             ; =>This Inner Loop Header: Depth=1
	global_load_b32 v2, v[26:27], off
	v_cmp_eq_u32_e64 s0, s10, v38
	s_wait_loadcnt 0x0
	v_ashrrev_i32_e32 v3, 31, v2
	s_delay_alu instid0(VALU_DEP_1) | instskip(NEXT) | instid1(VALU_DEP_1)
	v_mul_u64_e32 v[2:3], s[2:3], v[2:3]
	v_lshl_add_u64 v[30:31], v[2:3], 1, s[4:5]
	s_delay_alu instid0(VALU_DEP_1)
	v_add_nc_u64_e32 v[18:19], v[30:31], v[28:29]
	global_load_b128 v[2:5], v[18:19], off
	ds_load_2addr_b64 v[14:17], v37 offset1:1
	ds_load_2addr_b64 v[10:13], v37 offset0:2 offset1:3
	s_wait_xcnt 0x0
	s_and_saveexec_b32 s13, s0
	s_cbranch_execnz .LBB121_48
; %bb.42:                               ;   in Loop: Header=BB121_41 Depth=1
	s_or_b32 exec_lo, exec_lo, s13
	global_load_b128 v[6:9], v[18:19], off offset:512
	s_wait_xcnt 0x0
	s_and_saveexec_b32 s13, s0
	s_cbranch_execnz .LBB121_49
.LBB121_43:                             ;   in Loop: Header=BB121_41 Depth=1
	s_or_b32 exec_lo, exec_lo, s13
	global_load_b128 v[18:21], v[18:19], off offset:1024
	s_wait_xcnt 0x0
	s_and_saveexec_b32 s13, s0
	s_cbranch_execz .LBB121_45
.LBB121_44:                             ;   in Loop: Header=BB121_41 Depth=1
	s_wait_loadcnt 0x0
	v_dual_add_nc_u32 v39, 1, v36 :: v_dual_lshrrev_b32 v40, 16, v18
	v_dual_lshrrev_b32 v42, 16, v19 :: v_dual_lshrrev_b32 v45, 16, v21
	v_or_b32_e32 v44, 7, v36
	s_delay_alu instid0(VALU_DEP_3) | instskip(NEXT) | instid1(VALU_DEP_1)
	v_cmp_gt_i32_e64 s1, s12, v39
	v_cndmask_b32_e64 v39, 0, v40, s1
	v_cmp_gt_i32_e64 s1, s21, v36
	s_delay_alu instid0(VALU_DEP_1) | instskip(NEXT) | instid1(VALU_DEP_1)
	v_dual_cndmask_b32 v18, 0, v18, s1 :: v_dual_bitop2_b32 v41, 2, v36 bitop3:0x54
	v_cmp_gt_i32_e64 s1, s21, v41
	v_or_b32_e32 v40, 3, v36
	v_or_b32_e32 v41, 5, v36
	s_delay_alu instid0(VALU_DEP_4) | instskip(NEXT) | instid1(VALU_DEP_4)
	v_perm_b32 v18, v39, v18, 0x5040100
	v_cndmask_b32_e64 v19, 0, v19, s1
	s_delay_alu instid0(VALU_DEP_4) | instskip(NEXT) | instid1(VALU_DEP_1)
	v_cmp_gt_i32_e64 s1, s12, v40
	v_dual_cndmask_b32 v40, 0, v42, s1 :: v_dual_bitop2_b32 v43, 4, v36 bitop3:0x54
	s_delay_alu instid0(VALU_DEP_1) | instskip(SKIP_1) | instid1(VALU_DEP_3)
	v_cmp_gt_i32_e64 s1, s21, v43
	v_or_b32_e32 v43, 6, v36
	v_perm_b32 v19, v40, v19, 0x5040100
	s_delay_alu instid0(VALU_DEP_3) | instskip(SKIP_1) | instid1(VALU_DEP_1)
	v_dual_cndmask_b32 v42, 0, v20, s1 :: v_dual_lshrrev_b32 v20, 16, v20
	v_cmp_gt_i32_e64 s1, s12, v41
	v_cndmask_b32_e64 v20, 0, v20, s1
	v_cmp_gt_i32_e64 s1, s21, v43
	s_delay_alu instid0(VALU_DEP_2) | instskip(NEXT) | instid1(VALU_DEP_2)
	v_perm_b32 v20, v20, v42, 0x5040100
	v_cndmask_b32_e64 v21, 0, v21, s1
	v_cmp_gt_i32_e64 s1, s12, v44
	s_delay_alu instid0(VALU_DEP_1) | instskip(NEXT) | instid1(VALU_DEP_1)
	v_cndmask_b32_e64 v41, 0, v45, s1
	v_perm_b32 v21, v41, v21, 0x5040100
.LBB121_45:                             ;   in Loop: Header=BB121_41 Depth=1
	s_or_b32 exec_lo, exec_lo, s13
	s_wait_dscnt 0x1
	v_cvt_pk_bf16_f32 v39, v14, v15
	v_cvt_pk_bf16_f32 v16, v16, v17
	s_wait_dscnt 0x0
	v_cvt_pk_bf16_f32 v15, v10, v11
	v_cvt_pk_bf16_f32 v14, v12, v13
	s_and_saveexec_b32 s1, vcc_lo
	s_cbranch_execz .LBB121_40
; %bb.46:                               ;   in Loop: Header=BB121_41 Depth=1
	v_add_nc_u64_e32 v[10:11], v[30:31], v[24:25]
	global_load_b128 v[10:13], v[10:11], off
	s_wait_xcnt 0x0
	s_and_saveexec_b32 s13, s0
	s_cbranch_execz .LBB121_39
; %bb.47:                               ;   in Loop: Header=BB121_41 Depth=1
	s_wait_loadcnt 0x0
	v_dual_add_nc_u32 v17, 1, v36 :: v_dual_lshrrev_b32 v30, 16, v10
	v_dual_lshrrev_b32 v40, 16, v11 :: v_dual_bitop2_b32 v41, 4, v36 bitop3:0x54
	v_lshrrev_b32_e32 v43, 16, v13
	s_delay_alu instid0(VALU_DEP_3) | instskip(SKIP_1) | instid1(VALU_DEP_2)
	v_cmp_gt_i32_e64 s0, s12, v17
	v_or_b32_e32 v31, 2, v36
	v_dual_cndmask_b32 v17, 0, v30, s0 :: v_dual_bitop2_b32 v42, 7, v36 bitop3:0x54
	v_cmp_gt_i32_e64 s0, s21, v36
	s_delay_alu instid0(VALU_DEP_1) | instskip(NEXT) | instid1(VALU_DEP_4)
	v_dual_cndmask_b32 v10, 0, v10, s0 :: v_dual_bitop2_b32 v30, 3, v36 bitop3:0x54
	v_cmp_gt_i32_e64 s0, s21, v31
	v_or_b32_e32 v31, 5, v36
	s_delay_alu instid0(VALU_DEP_3) | instskip(NEXT) | instid1(VALU_DEP_3)
	v_perm_b32 v10, v17, v10, 0x5040100
	v_cndmask_b32_e64 v11, 0, v11, s0
	v_cmp_gt_i32_e64 s0, s12, v30
	s_delay_alu instid0(VALU_DEP_1) | instskip(SKIP_2) | instid1(VALU_DEP_3)
	v_cndmask_b32_e64 v30, 0, v40, s0
	v_cmp_gt_i32_e64 s0, s21, v41
	v_or_b32_e32 v41, 6, v36
	v_perm_b32 v11, v30, v11, 0x5040100
	s_delay_alu instid0(VALU_DEP_3) | instskip(SKIP_1) | instid1(VALU_DEP_1)
	v_dual_cndmask_b32 v40, 0, v12, s0 :: v_dual_lshrrev_b32 v12, 16, v12
	v_cmp_gt_i32_e64 s0, s12, v31
	v_cndmask_b32_e64 v12, 0, v12, s0
	v_cmp_gt_i32_e64 s0, s21, v41
	s_delay_alu instid0(VALU_DEP_2) | instskip(NEXT) | instid1(VALU_DEP_2)
	v_perm_b32 v12, v12, v40, 0x5040100
	v_cndmask_b32_e64 v13, 0, v13, s0
	v_cmp_gt_i32_e64 s0, s12, v42
	s_delay_alu instid0(VALU_DEP_1) | instskip(NEXT) | instid1(VALU_DEP_1)
	v_cndmask_b32_e64 v31, 0, v43, s0
	v_perm_b32 v13, v31, v13, 0x5040100
	s_branch .LBB121_39
.LBB121_48:                             ;   in Loop: Header=BB121_41 Depth=1
	s_wait_loadcnt 0x0
	v_dual_add_nc_u32 v6, 1, v36 :: v_dual_lshrrev_b32 v7, 16, v2
	v_dual_lshrrev_b32 v9, 16, v3 :: v_dual_bitop2_b32 v20, 4, v36 bitop3:0x54
	v_lshrrev_b32_e32 v39, 16, v5
	s_delay_alu instid0(VALU_DEP_3) | instskip(SKIP_1) | instid1(VALU_DEP_2)
	v_cmp_gt_i32_e64 s1, s12, v6
	v_or_b32_e32 v8, 2, v36
	v_dual_cndmask_b32 v6, 0, v7, s1 :: v_dual_bitop2_b32 v21, 7, v36 bitop3:0x54
	v_cmp_gt_i32_e64 s1, s21, v36
	s_delay_alu instid0(VALU_DEP_1) | instskip(NEXT) | instid1(VALU_DEP_4)
	v_dual_cndmask_b32 v2, 0, v2, s1 :: v_dual_bitop2_b32 v7, 3, v36 bitop3:0x54
	v_cmp_gt_i32_e64 s1, s21, v8
	v_or_b32_e32 v8, 5, v36
	s_delay_alu instid0(VALU_DEP_3) | instskip(NEXT) | instid1(VALU_DEP_3)
	v_perm_b32 v2, v6, v2, 0x5040100
	v_cndmask_b32_e64 v3, 0, v3, s1
	v_cmp_gt_i32_e64 s1, s12, v7
	s_delay_alu instid0(VALU_DEP_1) | instskip(SKIP_2) | instid1(VALU_DEP_3)
	v_cndmask_b32_e64 v7, 0, v9, s1
	v_cmp_gt_i32_e64 s1, s21, v20
	v_or_b32_e32 v20, 6, v36
	v_perm_b32 v3, v7, v3, 0x5040100
	s_delay_alu instid0(VALU_DEP_3) | instskip(SKIP_1) | instid1(VALU_DEP_1)
	v_dual_cndmask_b32 v9, 0, v4, s1 :: v_dual_lshrrev_b32 v4, 16, v4
	v_cmp_gt_i32_e64 s1, s12, v8
	v_cndmask_b32_e64 v4, 0, v4, s1
	v_cmp_gt_i32_e64 s1, s21, v20
	s_delay_alu instid0(VALU_DEP_2) | instskip(NEXT) | instid1(VALU_DEP_2)
	v_perm_b32 v4, v4, v9, 0x5040100
	v_cndmask_b32_e64 v5, 0, v5, s1
	v_cmp_gt_i32_e64 s1, s12, v21
	s_delay_alu instid0(VALU_DEP_1) | instskip(NEXT) | instid1(VALU_DEP_1)
	v_cndmask_b32_e64 v8, 0, v39, s1
	v_perm_b32 v5, v8, v5, 0x5040100
	s_or_b32 exec_lo, exec_lo, s13
	global_load_b128 v[6:9], v[18:19], off offset:512
	s_wait_xcnt 0x0
	s_and_saveexec_b32 s13, s0
	s_cbranch_execz .LBB121_43
.LBB121_49:                             ;   in Loop: Header=BB121_41 Depth=1
	s_wait_loadcnt 0x0
	v_dual_add_nc_u32 v20, 1, v36 :: v_dual_lshrrev_b32 v21, 16, v6
	v_dual_lshrrev_b32 v40, 16, v7 :: v_dual_bitop2_b32 v41, 4, v36 bitop3:0x54
	v_lshrrev_b32_e32 v43, 16, v9
	s_delay_alu instid0(VALU_DEP_3) | instskip(SKIP_1) | instid1(VALU_DEP_2)
	v_cmp_gt_i32_e64 s1, s12, v20
	v_or_b32_e32 v39, 2, v36
	v_dual_cndmask_b32 v20, 0, v21, s1 :: v_dual_bitop2_b32 v42, 7, v36 bitop3:0x54
	v_cmp_gt_i32_e64 s1, s21, v36
	s_delay_alu instid0(VALU_DEP_1) | instskip(NEXT) | instid1(VALU_DEP_4)
	v_dual_cndmask_b32 v6, 0, v6, s1 :: v_dual_bitop2_b32 v21, 3, v36 bitop3:0x54
	v_cmp_gt_i32_e64 s1, s21, v39
	v_or_b32_e32 v39, 5, v36
	s_delay_alu instid0(VALU_DEP_3) | instskip(NEXT) | instid1(VALU_DEP_3)
	v_perm_b32 v6, v20, v6, 0x5040100
	v_cndmask_b32_e64 v7, 0, v7, s1
	v_cmp_gt_i32_e64 s1, s12, v21
	s_delay_alu instid0(VALU_DEP_1) | instskip(SKIP_2) | instid1(VALU_DEP_3)
	v_cndmask_b32_e64 v21, 0, v40, s1
	v_cmp_gt_i32_e64 s1, s21, v41
	v_or_b32_e32 v41, 6, v36
	v_perm_b32 v7, v21, v7, 0x5040100
	s_delay_alu instid0(VALU_DEP_3) | instskip(SKIP_1) | instid1(VALU_DEP_1)
	v_dual_cndmask_b32 v40, 0, v8, s1 :: v_dual_lshrrev_b32 v8, 16, v8
	v_cmp_gt_i32_e64 s1, s12, v39
	v_cndmask_b32_e64 v8, 0, v8, s1
	v_cmp_gt_i32_e64 s1, s21, v41
	s_delay_alu instid0(VALU_DEP_2) | instskip(NEXT) | instid1(VALU_DEP_2)
	v_perm_b32 v8, v8, v40, 0x5040100
	v_cndmask_b32_e64 v9, 0, v9, s1
	v_cmp_gt_i32_e64 s1, s12, v42
	s_delay_alu instid0(VALU_DEP_1) | instskip(NEXT) | instid1(VALU_DEP_1)
	v_cndmask_b32_e64 v39, 0, v43, s1
	v_perm_b32 v9, v39, v9, 0x5040100
	s_or_b32 exec_lo, exec_lo, s13
	global_load_b128 v[18:21], v[18:19], off offset:1024
	s_wait_xcnt 0x0
	s_and_saveexec_b32 s13, s0
	s_cbranch_execnz .LBB121_44
	s_branch .LBB121_45
.LBB121_50:
	s_or_b32 exec_lo, exec_lo, s11
.LBB121_51:
	s_delay_alu instid0(SALU_CYCLE_1)
	s_or_b32 exec_lo, exec_lo, s23
	s_movk_i32 s0, 0x1c0
	v_and_b32_e32 v2, 0x3c0, v0
	v_mad_u32_u24 v6, v1, s0, 0x100
	v_or_b32_e32 v1, 0x60, v0
	s_mov_b32 s0, exec_lo
	s_barrier_signal -1
	s_barrier_wait -1
	v_cmpx_eq_u32_e32 64, v2
	s_cbranch_execz .LBB121_54
; %bb.52:
	v_add_nc_u32_e32 v2, 0xfffffc80, v6
	v_cmp_gt_u32_e32 vcc_lo, 0x70, v1
	s_delay_alu instid0(VALU_DEP_2)
	v_lshl_add_u32 v3, v32, 2, v2
	ds_store_2addr_b32 v3, v22, v23 offset1:32
	ds_store_b32 v3, v35 offset:256
	s_and_b32 exec_lo, exec_lo, vcc_lo
; %bb.53:
	v_lshl_add_u32 v2, v1, 2, v2
	ds_store_b32 v2, v34
.LBB121_54:
	s_or_b32 exec_lo, exec_lo, s0
	v_lshl_add_u32 v7, v32, 2, v6
	s_mov_b32 s0, exec_lo
	s_wait_dscnt 0x0
	s_barrier_signal -1
	s_barrier_wait -1
	v_cmpx_gt_u32_e32 64, v0
	s_cbranch_execz .LBB121_58
; %bb.55:
	v_lshl_or_b32 v4, v0, 2, 0x80
	ds_load_2addr_stride64_b32 v[2:3], v7 offset1:1
	s_mov_b32 s1, exec_lo
	v_add_nc_u32_e32 v4, v6, v4
	ds_load_b32 v5, v4
	s_wait_dscnt 0x1
	v_mov_b32_e32 v4, v2
	v_cmpx_gt_u32_e32 0x70, v1
	s_cbranch_execz .LBB121_57
; %bb.56:
	v_lshl_add_u32 v2, v1, 2, v6
	ds_load_b32 v2, v2
	s_wait_dscnt 0x0
	v_add_f32_e32 v34, v34, v2
.LBB121_57:
	s_or_b32 exec_lo, exec_lo, s1
	s_wait_dscnt 0x0
	v_pk_add_f32 v[22:23], v[22:23], v[4:5]
	v_add_f32_e32 v35, v35, v3
.LBB121_58:
	s_or_b32 exec_lo, exec_lo, s0
	v_and_b32_e32 v2, 0x3e0, v0
	s_mov_b32 s0, exec_lo
	s_barrier_signal -1
	s_barrier_wait -1
	s_delay_alu instid0(VALU_DEP_1)
	v_cmpx_eq_u32_e32 32, v2
	s_cbranch_execz .LBB121_61
; %bb.59:
	v_lshl_add_u32 v2, v32, 2, 0x100
	v_cmp_gt_u32_e32 vcc_lo, 0x70, v1
	ds_store_b32 v2, v22
	ds_store_b32 v33, v23
	ds_store_b32 v2, v35 offset:256
	s_and_b32 exec_lo, exec_lo, vcc_lo
; %bb.60:
	v_lshl_add_u32 v2, v1, 2, 0x100
	ds_store_b32 v2, v34
.LBB121_61:
	s_or_b32 exec_lo, exec_lo, s0
	v_cmp_gt_u32_e32 vcc_lo, 32, v0
	s_wait_dscnt 0x0
	s_barrier_signal -1
	s_barrier_wait -1
	s_and_saveexec_b32 s1, vcc_lo
	s_cbranch_execz .LBB121_65
; %bb.62:
	v_lshl_add_u32 v6, v0, 2, v6
	s_mov_b32 s2, exec_lo
	ds_load_2addr_b32 v[2:3], v6 offset0:32 offset1:64
	ds_load_b32 v4, v7
	s_wait_dscnt 0x1
	v_mov_b32_e32 v5, v2
	v_cmpx_gt_u32_e32 0x70, v1
	s_cbranch_execz .LBB121_64
; %bb.63:
	ds_load_b32 v2, v6 offset:384
	s_wait_dscnt 0x0
	v_add_f32_e32 v34, v34, v2
.LBB121_64:
	s_or_b32 exec_lo, exec_lo, s2
	s_wait_dscnt 0x0
	v_pk_add_f32 v[22:23], v[22:23], v[4:5]
	v_add_f32_e32 v35, v35, v3
.LBB121_65:
	s_or_b32 exec_lo, exec_lo, s1
	s_barrier_signal -1
	s_barrier_wait -1
	s_and_saveexec_b32 s0, vcc_lo
	s_cbranch_execz .LBB121_68
; %bb.66:
	s_wait_kmcnt 0x0
	s_mul_i32 s1, s20, s9
	s_bfe_u32 s5, ttmp6, 0x40014
	s_mul_i32 s1, s1, s19
	s_mul_i32 s0, s9, s8
	;; [unrolled: 1-line block ×3, first 2 shown]
	s_lshr_b32 s4, ttmp7, 16
	s_ashr_i32 s3, s2, 31
	s_add_co_i32 s5, s5, 1
	s_lshl_b64 s[2:3], s[2:3], 1
	s_ashr_i32 s1, s0, 31
	s_add_nc_u64 s[2:3], s[6:7], s[2:3]
	s_mul_i32 s5, s4, s5
	s_bfe_u32 s6, ttmp6, 0x40008
	s_lshl_b64 s[0:1], s[0:1], 1
	s_add_co_i32 s6, s6, s5
	s_cmp_eq_u32 s18, 0
	s_add_nc_u64 s[0:1], s[2:3], s[0:1]
	s_cselect_b32 s2, s4, s6
	s_mov_b32 s3, 0
	s_mulk_i32 s2, 0xe0
	v_cmp_gt_u32_e32 vcc_lo, 0x70, v1
	s_add_nc_u64 s[0:1], s[0:1], s[2:3]
	s_delay_alu instid0(SALU_CYCLE_1)
	v_cvt_pk_bf16_f32 v2, v22, s0
	v_cvt_pk_bf16_f32 v3, v23, s0
	;; [unrolled: 1-line block ×3, first 2 shown]
	s_clause 0x2
	global_store_b16 v0, v2, s[0:1] scale_offset
	global_store_b16 v0, v3, s[0:1] offset:64 scale_offset
	global_store_b16 v0, v4, s[0:1] offset:128 scale_offset
	s_wait_xcnt 0x0
	s_and_b32 exec_lo, exec_lo, vcc_lo
	s_cbranch_execz .LBB121_68
; %bb.67:
	v_dual_mov_b32 v1, 0 :: v_dual_lshlrev_b32 v0, 1, v0
	v_cvt_pk_bf16_f32 v2, v34, s0
	s_delay_alu instid0(VALU_DEP_2)
	v_add_nc_u64_e32 v[0:1], s[0:1], v[0:1]
	global_store_b16 v[0:1], v2, off offset:192
.LBB121_68:
	s_endpgm
	.section	.rodata,"a",@progbits
	.p2align	6, 0x0
	.amdhsa_kernel _ZN4vllm25paged_attention_v1_kernelI14__hip_bfloat16S1_Li112ELi8ELi128ELNS_18Fp8KVCacheDataTypeE0ELb0EEEvPT_PKS3_PKT0_S9_ifPKiSB_iPKfiiiSD_SD_iiiii
		.amdhsa_group_segment_fixed_size 256
		.amdhsa_private_segment_fixed_size 0
		.amdhsa_kernarg_size 384
		.amdhsa_user_sgpr_count 2
		.amdhsa_user_sgpr_dispatch_ptr 0
		.amdhsa_user_sgpr_queue_ptr 0
		.amdhsa_user_sgpr_kernarg_segment_ptr 1
		.amdhsa_user_sgpr_dispatch_id 0
		.amdhsa_user_sgpr_kernarg_preload_length 0
		.amdhsa_user_sgpr_kernarg_preload_offset 0
		.amdhsa_user_sgpr_private_segment_size 0
		.amdhsa_wavefront_size32 1
		.amdhsa_uses_dynamic_stack 0
		.amdhsa_enable_private_segment 0
		.amdhsa_system_sgpr_workgroup_id_x 1
		.amdhsa_system_sgpr_workgroup_id_y 1
		.amdhsa_system_sgpr_workgroup_id_z 1
		.amdhsa_system_sgpr_workgroup_info 0
		.amdhsa_system_vgpr_workitem_id 0
		.amdhsa_next_free_vgpr 60
		.amdhsa_next_free_sgpr 30
		.amdhsa_named_barrier_count 0
		.amdhsa_reserve_vcc 1
		.amdhsa_float_round_mode_32 0
		.amdhsa_float_round_mode_16_64 0
		.amdhsa_float_denorm_mode_32 3
		.amdhsa_float_denorm_mode_16_64 3
		.amdhsa_fp16_overflow 0
		.amdhsa_memory_ordered 1
		.amdhsa_forward_progress 1
		.amdhsa_inst_pref_size 49
		.amdhsa_round_robin_scheduling 0
		.amdhsa_exception_fp_ieee_invalid_op 0
		.amdhsa_exception_fp_denorm_src 0
		.amdhsa_exception_fp_ieee_div_zero 0
		.amdhsa_exception_fp_ieee_overflow 0
		.amdhsa_exception_fp_ieee_underflow 0
		.amdhsa_exception_fp_ieee_inexact 0
		.amdhsa_exception_int_div_zero 0
	.end_amdhsa_kernel
	.section	.text._ZN4vllm25paged_attention_v1_kernelI14__hip_bfloat16S1_Li112ELi8ELi128ELNS_18Fp8KVCacheDataTypeE0ELb0EEEvPT_PKS3_PKT0_S9_ifPKiSB_iPKfiiiSD_SD_iiiii,"axG",@progbits,_ZN4vllm25paged_attention_v1_kernelI14__hip_bfloat16S1_Li112ELi8ELi128ELNS_18Fp8KVCacheDataTypeE0ELb0EEEvPT_PKS3_PKT0_S9_ifPKiSB_iPKfiiiSD_SD_iiiii,comdat
.Lfunc_end121:
	.size	_ZN4vllm25paged_attention_v1_kernelI14__hip_bfloat16S1_Li112ELi8ELi128ELNS_18Fp8KVCacheDataTypeE0ELb0EEEvPT_PKS3_PKT0_S9_ifPKiSB_iPKfiiiSD_SD_iiiii, .Lfunc_end121-_ZN4vllm25paged_attention_v1_kernelI14__hip_bfloat16S1_Li112ELi8ELi128ELNS_18Fp8KVCacheDataTypeE0ELb0EEEvPT_PKS3_PKT0_S9_ifPKiSB_iPKfiiiSD_SD_iiiii
                                        ; -- End function
	.set _ZN4vllm25paged_attention_v1_kernelI14__hip_bfloat16S1_Li112ELi8ELi128ELNS_18Fp8KVCacheDataTypeE0ELb0EEEvPT_PKS3_PKT0_S9_ifPKiSB_iPKfiiiSD_SD_iiiii.num_vgpr, 60
	.set _ZN4vllm25paged_attention_v1_kernelI14__hip_bfloat16S1_Li112ELi8ELi128ELNS_18Fp8KVCacheDataTypeE0ELb0EEEvPT_PKS3_PKT0_S9_ifPKiSB_iPKfiiiSD_SD_iiiii.num_agpr, 0
	.set _ZN4vllm25paged_attention_v1_kernelI14__hip_bfloat16S1_Li112ELi8ELi128ELNS_18Fp8KVCacheDataTypeE0ELb0EEEvPT_PKS3_PKT0_S9_ifPKiSB_iPKfiiiSD_SD_iiiii.numbered_sgpr, 30
	.set _ZN4vllm25paged_attention_v1_kernelI14__hip_bfloat16S1_Li112ELi8ELi128ELNS_18Fp8KVCacheDataTypeE0ELb0EEEvPT_PKS3_PKT0_S9_ifPKiSB_iPKfiiiSD_SD_iiiii.num_named_barrier, 0
	.set _ZN4vllm25paged_attention_v1_kernelI14__hip_bfloat16S1_Li112ELi8ELi128ELNS_18Fp8KVCacheDataTypeE0ELb0EEEvPT_PKS3_PKT0_S9_ifPKiSB_iPKfiiiSD_SD_iiiii.private_seg_size, 0
	.set _ZN4vllm25paged_attention_v1_kernelI14__hip_bfloat16S1_Li112ELi8ELi128ELNS_18Fp8KVCacheDataTypeE0ELb0EEEvPT_PKS3_PKT0_S9_ifPKiSB_iPKfiiiSD_SD_iiiii.uses_vcc, 1
	.set _ZN4vllm25paged_attention_v1_kernelI14__hip_bfloat16S1_Li112ELi8ELi128ELNS_18Fp8KVCacheDataTypeE0ELb0EEEvPT_PKS3_PKT0_S9_ifPKiSB_iPKfiiiSD_SD_iiiii.uses_flat_scratch, 0
	.set _ZN4vllm25paged_attention_v1_kernelI14__hip_bfloat16S1_Li112ELi8ELi128ELNS_18Fp8KVCacheDataTypeE0ELb0EEEvPT_PKS3_PKT0_S9_ifPKiSB_iPKfiiiSD_SD_iiiii.has_dyn_sized_stack, 0
	.set _ZN4vllm25paged_attention_v1_kernelI14__hip_bfloat16S1_Li112ELi8ELi128ELNS_18Fp8KVCacheDataTypeE0ELb0EEEvPT_PKS3_PKT0_S9_ifPKiSB_iPKfiiiSD_SD_iiiii.has_recursion, 0
	.set _ZN4vllm25paged_attention_v1_kernelI14__hip_bfloat16S1_Li112ELi8ELi128ELNS_18Fp8KVCacheDataTypeE0ELb0EEEvPT_PKS3_PKT0_S9_ifPKiSB_iPKfiiiSD_SD_iiiii.has_indirect_call, 0
	.section	.AMDGPU.csdata,"",@progbits
; Kernel info:
; codeLenInByte = 6208
; TotalNumSgprs: 32
; NumVgprs: 60
; ScratchSize: 0
; MemoryBound: 0
; FloatMode: 240
; IeeeMode: 1
; LDSByteSize: 256 bytes/workgroup (compile time only)
; SGPRBlocks: 0
; VGPRBlocks: 3
; NumSGPRsForWavesPerEU: 32
; NumVGPRsForWavesPerEU: 60
; NamedBarCnt: 0
; Occupancy: 16
; WaveLimiterHint : 1
; COMPUTE_PGM_RSRC2:SCRATCH_EN: 0
; COMPUTE_PGM_RSRC2:USER_SGPR: 2
; COMPUTE_PGM_RSRC2:TRAP_HANDLER: 0
; COMPUTE_PGM_RSRC2:TGID_X_EN: 1
; COMPUTE_PGM_RSRC2:TGID_Y_EN: 1
; COMPUTE_PGM_RSRC2:TGID_Z_EN: 1
; COMPUTE_PGM_RSRC2:TIDIG_COMP_CNT: 0
	.section	.text._ZN4vllm25paged_attention_v1_kernelI14__hip_bfloat16S1_Li120ELi8ELi128ELNS_18Fp8KVCacheDataTypeE0ELb0EEEvPT_PKS3_PKT0_S9_ifPKiSB_iPKfiiiSD_SD_iiiii,"axG",@progbits,_ZN4vllm25paged_attention_v1_kernelI14__hip_bfloat16S1_Li120ELi8ELi128ELNS_18Fp8KVCacheDataTypeE0ELb0EEEvPT_PKS3_PKT0_S9_ifPKiSB_iPKfiiiSD_SD_iiiii,comdat
	.protected	_ZN4vllm25paged_attention_v1_kernelI14__hip_bfloat16S1_Li120ELi8ELi128ELNS_18Fp8KVCacheDataTypeE0ELb0EEEvPT_PKS3_PKT0_S9_ifPKiSB_iPKfiiiSD_SD_iiiii ; -- Begin function _ZN4vllm25paged_attention_v1_kernelI14__hip_bfloat16S1_Li120ELi8ELi128ELNS_18Fp8KVCacheDataTypeE0ELb0EEEvPT_PKS3_PKT0_S9_ifPKiSB_iPKfiiiSD_SD_iiiii
	.globl	_ZN4vllm25paged_attention_v1_kernelI14__hip_bfloat16S1_Li120ELi8ELi128ELNS_18Fp8KVCacheDataTypeE0ELb0EEEvPT_PKS3_PKT0_S9_ifPKiSB_iPKfiiiSD_SD_iiiii
	.p2align	8
	.type	_ZN4vllm25paged_attention_v1_kernelI14__hip_bfloat16S1_Li120ELi8ELi128ELNS_18Fp8KVCacheDataTypeE0ELb0EEEvPT_PKS3_PKT0_S9_ifPKiSB_iPKfiiiSD_SD_iiiii,@function
_ZN4vllm25paged_attention_v1_kernelI14__hip_bfloat16S1_Li120ELi8ELi128ELNS_18Fp8KVCacheDataTypeE0ELb0EEEvPT_PKS3_PKT0_S9_ifPKiSB_iPKfiiiSD_SD_iiiii: ; @_ZN4vllm25paged_attention_v1_kernelI14__hip_bfloat16S1_Li120ELi8ELi128ELNS_18Fp8KVCacheDataTypeE0ELb0EEEvPT_PKS3_PKT0_S9_ifPKiSB_iPKfiiiSD_SD_iiiii
; %bb.0:
	s_load_b64 s[6:7], s[0:1], 0x20
	s_bfe_u32 s3, ttmp6, 0x4000c
	s_bfe_u32 s5, ttmp6, 0x40010
	s_and_b32 s4, ttmp7, 0xffff
	s_add_co_i32 s3, s3, 1
	s_add_co_i32 s5, s5, 1
	s_and_b32 s2, ttmp6, 15
	s_bfe_u32 s8, ttmp6, 0x40004
	s_mul_i32 s3, ttmp9, s3
	s_mul_i32 s5, s4, s5
	s_getreg_b32 s18, hwreg(HW_REG_IB_STS2, 6, 4)
	s_add_co_i32 s2, s2, s3
	s_add_co_i32 s8, s8, s5
	s_cmp_eq_u32 s18, 0
	s_clause 0x1
	s_load_b32 s19, s[0:1], 0x80
	s_load_b64 s[10:11], s[0:1], 0x30
	s_cselect_b32 s20, s4, s8
	s_cselect_b32 s8, ttmp9, s2
	s_wait_kmcnt 0x0
	s_abs_i32 s2, s6
	s_delay_alu instid0(SALU_CYCLE_1) | instskip(SKIP_1) | instid1(SALU_CYCLE_2)
	s_cvt_f32_u32 s3, s2
	s_sub_co_i32 s4, 0, s2
	v_rcp_iflag_f32_e32 v1, s3
	s_abs_i32 s5, s19
	v_nop
	s_delay_alu instid0(TRANS32_DEP_1) | instskip(SKIP_1) | instid1(SALU_CYCLE_3)
	v_readfirstlane_b32 s3, v1
	s_mul_f32 s3, s3, 0x4f7ffffe
	s_cvt_u32_f32 s3, s3
	s_delay_alu instid0(SALU_CYCLE_3) | instskip(NEXT) | instid1(SALU_CYCLE_1)
	s_mul_i32 s4, s4, s3
	s_mul_hi_u32 s4, s3, s4
	s_delay_alu instid0(SALU_CYCLE_1) | instskip(SKIP_4) | instid1(SALU_CYCLE_1)
	s_add_co_i32 s3, s3, s4
	s_xor_b32 s4, s19, s6
	s_mul_hi_u32 s3, s5, s3
	s_ashr_i32 s4, s4, 31
	s_mul_i32 s6, s3, s2
	s_sub_co_i32 s5, s5, s6
	s_add_co_i32 s6, s3, 1
	s_sub_co_i32 s9, s5, s2
	s_cmp_ge_u32 s5, s2
	s_cselect_b32 s3, s6, s3
	s_cselect_b32 s5, s9, s5
	s_add_co_i32 s6, s3, 1
	s_cmp_ge_u32 s5, s2
	s_cselect_b32 s2, s6, s3
	s_mov_b32 s3, 0
	s_xor_b32 s2, s2, s4
	s_mov_b32 s13, s3
	s_sub_co_i32 s15, s2, s4
	s_load_b64 s[4:5], s[0:1], 0x40
	s_abs_i32 s14, s15
	s_mov_b32 s23, s3
	s_cvt_f32_u32 s2, s14
	s_delay_alu instid0(SALU_CYCLE_3) | instskip(SKIP_1) | instid1(TRANS32_DEP_1)
	v_rcp_iflag_f32_e32 v1, s2
	v_nop
	v_readfirstlane_b32 s2, v1
	s_mul_f32 s2, s2, 0x4f7ffffe
	s_delay_alu instid0(SALU_CYCLE_3) | instskip(SKIP_1) | instid1(SALU_CYCLE_2)
	s_cvt_u32_f32 s6, s2
	s_sub_co_i32 s2, 0, s14
	s_mul_i32 s2, s2, s6
	s_delay_alu instid0(SALU_CYCLE_1)
	s_mul_hi_u32 s9, s6, s2
	s_abs_i32 s2, s8
	s_add_co_i32 s12, s6, s9
	s_wait_kmcnt 0x0
	s_cmp_eq_u64 s[4:5], 0
	s_cbranch_scc1 .LBB122_2
; %bb.1:
	s_ashr_i32 s9, s8, 31
	s_delay_alu instid0(SALU_CYCLE_1) | instskip(NEXT) | instid1(SALU_CYCLE_1)
	s_lshl_b64 s[16:17], s[8:9], 2
	s_add_nc_u64 s[4:5], s[4:5], s[16:17]
	s_load_b32 s23, s[4:5], 0x0
.LBB122_2:
	s_load_b32 s21, s[10:11], s20 offset:0x0 scale_offset
	s_wait_xcnt 0x0
	s_load_b96 s[4:6], s[0:1], 0x48
	v_and_b32_e32 v6, 3, v0
	s_ashr_i32 s16, s8, 31
	s_ashr_i32 s15, s15, 31
	s_mul_u64 s[10:11], s[2:3], s[12:13]
	s_mulk_i32 s8, 0x78
	s_mov_b32 s3, exec_lo
	v_cmpx_gt_u32_e32 60, v0
	s_cbranch_execz .LBB122_4
; %bb.3:
	s_load_b64 s[12:13], s[0:1], 0x8
	s_wait_kmcnt 0x0
	s_mul_i32 s24, s4, s20
	s_ashr_i32 s9, s8, 31
	s_ashr_i32 s25, s24, 31
	v_and_b32_e32 v2, 0x3fc, v0
	s_lshl_b64 s[24:25], s[24:25], 1
	s_delay_alu instid0(VALU_DEP_1) | instskip(SKIP_2) | instid1(SALU_CYCLE_1)
	v_mad_u32_u24 v2, v6, 60, v2
	s_add_nc_u64 s[12:13], s[12:13], s[24:25]
	s_lshl_b64 s[24:25], s[8:9], 1
	s_add_nc_u64 s[12:13], s[12:13], s[24:25]
	global_load_b32 v1, v0, s[12:13] scale_offset
	s_wait_loadcnt 0x0
	ds_store_b32 v2, v1
.LBB122_4:
	s_or_b32 exec_lo, exec_lo, s3
	s_wait_kmcnt 0x0
	s_add_co_i32 s3, s21, 7
	s_load_b32 s4, s[0:1], 0x38
	s_ashr_i32 s9, s3, 31
	s_mul_i32 s12, s11, s14
	s_lshr_b32 s9, s9, 29
	s_sub_co_i32 s2, s2, s12
	s_add_co_i32 s3, s3, s9
	s_xor_b32 s10, s16, s15
	s_ashr_i32 s22, s3, 3
	s_add_co_i32 s3, s11, 1
	s_sub_co_i32 s9, s2, s14
	s_cmp_ge_u32 s2, s14
	v_lshrrev_b32_e32 v1, 5, v0
	s_cselect_b32 s3, s3, s11
	s_cselect_b32 s2, s9, s2
	s_add_co_i32 s9, s3, 1
	s_cmp_ge_u32 s2, s14
	v_mbcnt_lo_u32_b32 v9, -1, 0
	s_cselect_b32 s2, s9, s3
	s_wait_dscnt 0x0
	s_xor_b32 s2, s2, s10
	s_barrier_signal -1
	s_sub_co_i32 s3, s2, s10
	v_cmp_gt_i32_e64 s2, s22, v1
	s_wait_kmcnt 0x0
	s_mul_i32 s10, s4, s20
	s_mov_b32 s4, exec_lo
	s_ashr_i32 s11, s10, 31
	s_barrier_wait -1
                                        ; implicit-def: $vgpr3
                                        ; implicit-def: $vgpr10
	v_cmpx_le_i32_e64 s22, v1
	s_xor_b32 s4, exec_lo, s4
; %bb.5:
	v_dual_mov_b32 v3, 0 :: v_dual_mov_b32 v10, 32
	v_mbcnt_lo_u32_b32 v9, -1, 0
                                        ; implicit-def: $vgpr6
; %bb.6:
	s_or_saveexec_b32 s24, s4
	s_clause 0x1
	s_load_b64 s[12:13], s[0:1], 0x28
	s_load_b32 s9, s[0:1], 0x88
	v_mov_b32_e32 v2, 0xff7fffff
	v_lshrrev_b32_e32 v8, 3, v0
	s_mul_i32 s14, s3, s6
	s_xor_b32 exec_lo, exec_lo, s24
	s_cbranch_execz .LBB122_12
; %bb.7:
	v_mul_u32_u24_e32 v7, 60, v6
	s_load_b64 s[26:27], s[0:1], 0x10
	v_bfe_u32 v43, v0, 2, 3
	s_ashr_i32 s15, s14, 31
	v_dual_mov_b32 v3, 0 :: v_dual_lshlrev_b32 v10, 2, v0
	ds_load_2addr_b32 v[4:5], v7 offset1:1
	ds_load_2addr_b32 v[18:19], v7 offset0:2 offset1:3
	v_lshlrev_b32_e32 v2, 4, v43
	s_lshl_b64 s[28:29], s[14:15], 1
	ds_load_2addr_b32 v[22:23], v7 offset0:4 offset1:5
	ds_load_2addr_b32 v[26:27], v7 offset0:6 offset1:7
	;; [unrolled: 1-line block ×5, first 2 shown]
	s_ashr_i32 s17, s5, 31
	s_cmp_neq_f32 s23, 0
	s_mov_b32 s16, s5
	s_mov_b32 s6, 0
	v_mov_b32_e32 v45, v1
	s_cselect_b32 s3, -1, 0
	s_sub_co_i32 s15, 1, s21
	s_wait_kmcnt 0x0
	s_add_nc_u64 s[26:27], s[26:27], s[28:29]
	s_wait_dscnt 0x6
	v_lshlrev_b32_e32 v11, 16, v4
	v_add_nc_u64_e32 v[24:25], s[26:27], v[2:3]
	v_dual_lshlrev_b32 v13, 16, v5 :: v_dual_bitop2_b32 v2, 12, v10 bitop3:0x40
	v_and_b32_e32 v12, 0xffff0000, v4
	v_and_b32_e32 v14, 0xffff0000, v5
	s_wait_dscnt 0x5
	v_dual_lshlrev_b32 v15, 16, v18 :: v_dual_lshlrev_b32 v17, 16, v19
	v_add_nc_u64_e32 v[4:5], v[24:25], v[2:3]
	ds_load_b32 v2, v7 offset:56
	v_xor_b32_e32 v7, 2, v9
	v_and_b32_e32 v16, 0xffff0000, v18
	v_and_b32_e32 v18, 0xffff0000, v19
	s_wait_dscnt 0x5
	v_dual_lshlrev_b32 v19, 16, v22 :: v_dual_lshlrev_b32 v21, 16, v23
	v_and_b32_e32 v20, 0xffff0000, v22
	v_and_b32_e32 v22, 0xffff0000, v23
	s_wait_dscnt 0x4
	v_dual_lshlrev_b32 v23, 16, v26 :: v_dual_lshlrev_b32 v25, 16, v27
	;; [unrolled: 4-line block ×5, first 2 shown]
	v_and_b32_e32 v36, 0xffff0000, v38
	v_and_b32_e32 v38, 0xffff0000, v39
	s_wait_dscnt 0x0
	v_lshlrev_b32_e32 v39, 16, v2
	v_cmp_gt_i32_e32 vcc_lo, 32, v7
	v_xor_b32_e32 v10, 1, v9
	v_and_b32_e32 v40, 0xffff0000, v2
	s_lshl_b64 s[26:27], s[10:11], 2
	v_cndmask_b32_e32 v2, v9, v7, vcc_lo
	s_delay_alu instid0(VALU_DEP_3)
	v_cmp_gt_i32_e32 vcc_lo, 32, v10
	v_lshlrev_b32_e32 v44, 2, v43
	s_add_nc_u64 s[26:27], s[12:13], s[26:27]
	v_lshl_or_b32 v43, v1, 3, v43
	v_lshlrev_b32_e32 v41, 2, v2
	v_dual_cndmask_b32 v7, v9, v10 :: v_dual_mov_b32 v10, 32
	v_cmp_eq_u32_e32 vcc_lo, 0, v6
	v_lshl_or_b32 v6, v1, 5, v44
	v_and_b32_e32 v2, 0x7c, v8
	s_delay_alu instid0(VALU_DEP_4) | instskip(NEXT) | instid1(VALU_DEP_3)
	v_lshlrev_b32_e32 v42, 2, v7
	v_add_nc_u32_e32 v44, 0x110, v6
	s_delay_alu instid0(VALU_DEP_3)
	v_add_nc_u64_e32 v[6:7], s[26:27], v[2:3]
	v_mov_b32_e32 v2, 0xff7fffff
	s_branch .LBB122_9
.LBB122_8:                              ;   in Loop: Header=BB122_9 Depth=1
	s_or_b32 exec_lo, exec_lo, s25
	v_dual_add_nc_u32 v45, 4, v45 :: v_dual_add_nc_u32 v43, 32, v43
	v_add_nc_u64_e32 v[6:7], 16, v[6:7]
	v_add_nc_u32_e32 v44, 0x80, v44
	s_delay_alu instid0(VALU_DEP_3) | instskip(SKIP_1) | instid1(SALU_CYCLE_1)
	v_cmp_le_i32_e64 s4, s22, v45
	s_or_b32 s6, s4, s6
	s_and_not1_b32 exec_lo, exec_lo, s6
	s_cbranch_execz .LBB122_11
.LBB122_9:                              ; =>This Inner Loop Header: Depth=1
	global_load_b32 v46, v[6:7], off
	s_wait_loadcnt_dscnt 0x0
	v_ashrrev_i32_e32 v47, 31, v46
	s_delay_alu instid0(VALU_DEP_1) | instskip(NEXT) | instid1(VALU_DEP_1)
	v_mul_u64_e32 v[46:47], s[16:17], v[46:47]
	v_lshl_add_u64 v[46:47], v[46:47], 1, v[4:5]
	s_clause 0xe
	global_load_b32 v48, v[46:47], off offset:128
	global_load_b32 v49, v[46:47], off
	global_load_b32 v50, v[46:47], off offset:256
	global_load_b32 v51, v[46:47], off offset:384
	global_load_b32 v52, v[46:47], off offset:512
	global_load_b32 v53, v[46:47], off offset:640
	global_load_b32 v54, v[46:47], off offset:768
	global_load_b32 v55, v[46:47], off offset:896
	global_load_b32 v56, v[46:47], off offset:1024
	global_load_b32 v57, v[46:47], off offset:1152
	global_load_b32 v58, v[46:47], off offset:1280
	global_load_b32 v59, v[46:47], off offset:1408
	global_load_b32 v60, v[46:47], off offset:1536
	global_load_b32 v61, v[46:47], off offset:1664
	global_load_b32 v62, v[46:47], off offset:1792
	s_wait_loadcnt 0xe
	s_wait_xcnt 0x0
	v_lshlrev_b32_e32 v46, 16, v48
	v_and_b32_e32 v47, 0xffff0000, v48
	s_delay_alu instid0(VALU_DEP_1) | instskip(SKIP_1) | instid1(VALU_DEP_1)
	v_dual_mul_f32 v46, v13, v46 :: v_dual_mul_f32 v47, v14, v47
	s_wait_loadcnt 0xd
	v_fma_mix_f32_bf16 v46, v11, v49, v46 op_sel_hi:[0,1,0]
	s_delay_alu instid0(VALU_DEP_2) | instskip(SKIP_1) | instid1(VALU_DEP_2)
	v_fma_mix_f32_bf16 v47, v12, v49, v47 op_sel:[0,1,0] op_sel_hi:[0,1,0]
	s_wait_loadcnt 0xc
	v_fma_mix_f32_bf16 v46, v15, v50, v46 op_sel_hi:[0,1,0]
	s_delay_alu instid0(VALU_DEP_2) | instskip(SKIP_1) | instid1(VALU_DEP_2)
	v_fma_mix_f32_bf16 v47, v16, v50, v47 op_sel:[0,1,0] op_sel_hi:[0,1,0]
	;; [unrolled: 4-line block ×13, first 2 shown]
	s_wait_loadcnt 0x0
	v_fma_mix_f32_bf16 v46, v39, v62, v46 op_sel_hi:[0,1,0]
	s_delay_alu instid0(VALU_DEP_2) | instskip(NEXT) | instid1(VALU_DEP_1)
	v_fma_mix_f32_bf16 v47, v40, v62, v47 op_sel:[0,1,0] op_sel_hi:[0,1,0]
	v_add_f32_e32 v46, v46, v47
	ds_bpermute_b32 v47, v41, v46
	s_wait_dscnt 0x0
	v_add_f32_e32 v46, v46, v47
	ds_bpermute_b32 v47, v42, v46
	s_and_saveexec_b32 s25, vcc_lo
	s_cbranch_execz .LBB122_8
; %bb.10:                               ;   in Loop: Header=BB122_9 Depth=1
	s_wait_dscnt 0x0
	v_add_f32_e32 v46, v46, v47
	v_add_nc_u32_e32 v48, s15, v43
	v_cmp_gt_i32_e64 s4, s21, v43
	s_delay_alu instid0(VALU_DEP_2) | instskip(NEXT) | instid1(VALU_DEP_1)
	v_cvt_f32_i32_e32 v48, v48
	v_mul_f32_e32 v48, s23, v48
	s_delay_alu instid0(VALU_DEP_1) | instskip(NEXT) | instid1(VALU_DEP_1)
	v_dual_cndmask_b32 v47, 0, v48, s3 :: v_dual_max_num_f32 v48, v2, v2
	v_fmac_f32_e32 v47, s7, v46
	s_delay_alu instid0(VALU_DEP_1) | instskip(NEXT) | instid1(VALU_DEP_1)
	v_dual_max_num_f32 v46, v48, v47 :: v_dual_cndmask_b32 v47, 0, v47, s4
	v_cndmask_b32_e64 v2, v2, v46, s4
	ds_store_b32 v44, v47
	s_branch .LBB122_8
.LBB122_11:
	s_or_b32 exec_lo, exec_lo, s6
.LBB122_12:
	s_delay_alu instid0(SALU_CYCLE_1)
	s_or_b32 exec_lo, exec_lo, s24
	v_dual_max_num_f32 v7, v2, v2 :: v_dual_bitop2_b32 v4, 16, v9 bitop3:0x14
	s_clause 0x1
	s_load_b64 s[6:7], s[0:1], 0x0
	s_load_b64 s[16:17], s[0:1], 0x18
	v_xor_b32_e32 v6, 8, v9
	v_and_b32_e32 v32, 31, v0
	v_cmp_lt_i32_e32 vcc_lo, v4, v10
	v_cndmask_b32_e32 v4, v9, v4, vcc_lo
	s_delay_alu instid0(VALU_DEP_4) | instskip(NEXT) | instid1(VALU_DEP_2)
	v_cmp_lt_i32_e32 vcc_lo, v6, v10
	v_lshlrev_b32_e32 v4, 2, v4
	ds_bpermute_b32 v5, v4, v2
	v_cndmask_b32_e32 v2, v9, v6, vcc_lo
	s_wait_dscnt 0x0
	s_delay_alu instid0(VALU_DEP_1) | instskip(NEXT) | instid1(VALU_DEP_1)
	v_dual_max_num_f32 v5, v5, v5 :: v_dual_lshlrev_b32 v2, 2, v2
	v_max_num_f32_e32 v5, v7, v5
	ds_bpermute_b32 v6, v2, v5
	s_wait_dscnt 0x0
	v_dual_max_num_f32 v6, v6, v6 :: v_dual_bitop2_b32 v7, 4, v9 bitop3:0x14
	s_delay_alu instid0(VALU_DEP_1) | instskip(NEXT) | instid1(VALU_DEP_2)
	v_max_num_f32_e32 v6, v5, v6
	v_cmp_lt_i32_e32 vcc_lo, v7, v10
	v_dual_lshlrev_b32 v5, 2, v1 :: v_dual_cndmask_b32 v7, v9, v7, vcc_lo
	v_cmp_eq_u32_e32 vcc_lo, 0, v32
	s_delay_alu instid0(VALU_DEP_2)
	v_lshlrev_b32_e32 v7, 2, v7
	ds_bpermute_b32 v11, v7, v6
	s_wait_xcnt 0x0
	s_and_saveexec_b32 s0, vcc_lo
	s_cbranch_execz .LBB122_14
; %bb.13:
	s_wait_dscnt 0x0
	v_dual_max_num_f32 v11, v11, v11 :: v_dual_max_num_f32 v6, v6, v6
	s_delay_alu instid0(VALU_DEP_1)
	v_max_num_f32_e32 v6, v6, v11
	ds_store_b32 v5, v6 offset:240
.LBB122_14:
	s_or_b32 exec_lo, exec_lo, s0
	v_cmp_gt_u32_e64 s0, 4, v32
	v_mov_b32_e32 v12, 0xff7fffff
	v_lshlrev_b32_e32 v6, 2, v32
	s_wait_dscnt 0x0
	s_barrier_signal -1
	s_barrier_wait -1
	s_and_saveexec_b32 s1, s0
; %bb.15:
	ds_load_b32 v12, v6 offset:240
; %bb.16:
	s_or_b32 exec_lo, exec_lo, s1
	v_xor_b32_e32 v11, 2, v9
	v_lshl_add_u32 v33, v0, 2, 0x110
	v_dual_lshlrev_b32 v3, 2, v3 :: v_dual_bitop2_b32 v14, 1, v9 bitop3:0x14
	s_delay_alu instid0(VALU_DEP_3) | instskip(NEXT) | instid1(VALU_DEP_1)
	v_cmp_lt_i32_e64 s1, v11, v10
	v_cndmask_b32_e64 v11, v9, v11, s1
	s_delay_alu instid0(VALU_DEP_3) | instskip(NEXT) | instid1(VALU_DEP_1)
	v_cmp_lt_i32_e64 s1, v14, v10
	v_dual_lshlrev_b32 v11, 2, v11 :: v_dual_cndmask_b32 v10, v9, v14, s1
	s_lshl_b32 s1, s22, 3
	s_delay_alu instid0(SALU_CYCLE_1)
	s_min_i32 s4, s1, s21
	s_wait_dscnt 0x0
	ds_bpermute_b32 v13, v11, v12
	v_dual_max_num_f32 v12, v12, v12 :: v_dual_lshlrev_b32 v10, 2, v10
	v_cmp_gt_i32_e64 s1, s4, v0
	s_wait_dscnt 0x0
	v_max_num_f32_e32 v13, v13, v13
	s_delay_alu instid0(VALU_DEP_1) | instskip(SKIP_3) | instid1(VALU_DEP_1)
	v_max_num_f32_e32 v12, v12, v13
	ds_bpermute_b32 v13, v10, v12
	s_wait_dscnt 0x0
	v_max_num_f32_e32 v13, v13, v13
	v_max_num_f32_e32 v12, v12, v13
	ds_bpermute_b32 v12, v3, v12
	v_mov_b32_e32 v3, 0
	s_and_saveexec_b32 s15, s1
	s_cbranch_execz .LBB122_20
; %bb.17:
	v_lshl_add_u32 v13, v0, 2, 0x110
	v_dual_mov_b32 v3, 0 :: v_dual_mov_b32 v14, v0
	s_mov_b32 s23, 0
.LBB122_18:                             ; =>This Inner Loop Header: Depth=1
	ds_load_b32 v15, v13
	v_add_nc_u32_e32 v14, 0x80, v14
	s_delay_alu instid0(VALU_DEP_1) | instskip(SKIP_3) | instid1(VALU_DEP_1)
	v_cmp_le_i32_e64 s3, s4, v14
	s_or_b32 s23, s3, s23
	s_wait_dscnt 0x0
	v_sub_f32_e32 v15, v15, v12
	v_mul_f32_e32 v15, 0x3fb8aa3b, v15
	s_delay_alu instid0(VALU_DEP_1)
	v_exp_f32_e32 v15, v15
	ds_store_b32 v13, v15
	v_nop
	v_add_f32_e32 v3, v3, v15
	v_add_nc_u32_e32 v13, 0x200, v13
	s_and_not1_b32 exec_lo, exec_lo, s23
	s_cbranch_execnz .LBB122_18
; %bb.19:
	s_or_b32 exec_lo, exec_lo, s23
.LBB122_20:
	s_delay_alu instid0(SALU_CYCLE_1)
	s_or_b32 exec_lo, exec_lo, s15
	ds_bpermute_b32 v4, v4, v3
	s_wait_dscnt 0x0
	v_add_f32_e32 v3, v3, v4
	ds_bpermute_b32 v2, v2, v3
	s_wait_dscnt 0x0
	v_add_f32_e32 v2, v3, v2
	;; [unrolled: 3-line block ×5, first 2 shown]
	s_and_saveexec_b32 s3, vcc_lo
; %bb.21:
	ds_store_b32 v5, v2 offset:256
; %bb.22:
	s_or_b32 exec_lo, exec_lo, s3
	s_wait_dscnt 0x0
	s_barrier_signal -1
	s_barrier_wait -1
	s_and_saveexec_b32 s3, s0
; %bb.23:
	ds_load_b32 v2, v6 offset:256
; %bb.24:
	s_or_b32 exec_lo, exec_lo, s3
	s_wait_dscnt 0x0
	ds_bpermute_b32 v3, v11, v2
	s_wait_dscnt 0x0
	v_dual_lshlrev_b32 v4, 2, v9 :: v_dual_add_f32 v2, v2, v3
	ds_bpermute_b32 v3, v10, v2
	s_wait_dscnt 0x0
	v_add_f32_e32 v2, v2, v3
	v_and_b32_e32 v3, 0xffffff80, v4
	ds_bpermute_b32 v2, v3, v2
	s_and_saveexec_b32 s0, s1
	s_cbranch_execz .LBB122_37
; %bb.25:
	s_wait_dscnt 0x0
	v_add_f32_e32 v2, 0x358637bd, v2
	s_mov_b32 s3, -1
	s_mov_b32 s1, exec_lo
	s_delay_alu instid0(VALU_DEP_1) | instskip(NEXT) | instid1(VALU_DEP_1)
	v_div_scale_f32 v3, null, v2, v2, 1.0
	v_rcp_f32_e32 v5, v3
	v_nop
	s_delay_alu instid0(TRANS32_DEP_1) | instskip(NEXT) | instid1(VALU_DEP_1)
	v_fma_f32 v4, -v3, v5, 1.0
	v_fmac_f32_e32 v5, v4, v5
	v_div_scale_f32 v6, vcc_lo, 1.0, v2, 1.0
	s_delay_alu instid0(VALU_DEP_1) | instskip(NEXT) | instid1(VALU_DEP_1)
	v_mul_f32_e32 v7, v6, v5
	v_fma_f32 v4, -v3, v7, v6
	s_delay_alu instid0(VALU_DEP_1) | instskip(SKIP_1) | instid1(VALU_DEP_2)
	v_fmac_f32_e32 v7, v4, v5
	v_xad_u32 v4, v0, -1, s4
	v_fma_f32 v3, -v3, v7, v6
	s_delay_alu instid0(VALU_DEP_1) | instskip(NEXT) | instid1(VALU_DEP_1)
	v_div_fmas_f32 v3, v3, v5, v7
	v_div_fixup_f32 v2, v3, v2, 1.0
	v_mov_b32_e32 v3, v0
	v_cmpx_lt_u32_e32 0x7f, v4
	s_cbranch_execz .LBB122_34
; %bb.26:
	s_delay_alu instid0(VALU_DEP_3) | instskip(NEXT) | instid1(VALU_DEP_1)
	v_dual_mov_b32 v3, v2 :: v_dual_lshrrev_b32 v4, 7, v4
	v_dual_mov_b32 v9, 0 :: v_dual_add_nc_u32 v5, -1, v4
	s_delay_alu instid0(VALU_DEP_1) | instskip(SKIP_1) | instid1(VALU_DEP_2)
	v_lshrrev_b32_e32 v6, 1, v5
	v_cmp_lt_u32_e32 vcc_lo, 13, v5
	v_add_nc_u32_e32 v5, 1, v6
	s_and_saveexec_b32 s3, vcc_lo
	s_cbranch_execz .LBB122_30
; %bb.27:
	s_delay_alu instid0(VALU_DEP_1)
	v_dual_mov_b32 v7, v33 :: v_dual_bitop2_b32 v6, -8, v5 bitop3:0x40
	s_mov_b32 s15, 0
	s_mov_b32 s23, 0
.LBB122_28:                             ; =>This Inner Loop Header: Depth=1
	ds_load_2addr_stride64_b32 v[10:11], v7 offset1:2
	ds_load_2addr_stride64_b32 v[12:13], v7 offset0:4 offset1:6
	ds_load_2addr_stride64_b32 v[14:15], v7 offset0:8 offset1:10
	;; [unrolled: 1-line block ×7, first 2 shown]
	s_add_co_i32 s23, s23, 16
	s_delay_alu instid0(SALU_CYCLE_1) | instskip(NEXT) | instid1(VALU_DEP_1)
	v_dual_mov_b32 v9, s23 :: v_dual_add_nc_u32 v6, -8, v6
	v_cmp_eq_u32_e32 vcc_lo, 0, v6
	s_or_b32 s15, vcc_lo, s15
	s_wait_dscnt 0x7
	v_pk_mul_f32 v[10:11], v[2:3], v[10:11]
	s_wait_dscnt 0x6
	v_pk_mul_f32 v[12:13], v[2:3], v[12:13]
	;; [unrolled: 2-line block ×8, first 2 shown]
	ds_store_2addr_stride64_b32 v7, v10, v11 offset1:2
	ds_store_2addr_stride64_b32 v7, v12, v13 offset0:4 offset1:6
	ds_store_2addr_stride64_b32 v7, v14, v15 offset0:8 offset1:10
	ds_store_2addr_stride64_b32 v7, v16, v17 offset0:12 offset1:14
	ds_store_2addr_stride64_b32 v7, v18, v19 offset0:16 offset1:18
	ds_store_2addr_stride64_b32 v7, v20, v21 offset0:20 offset1:22
	ds_store_2addr_stride64_b32 v7, v22, v23 offset0:24 offset1:26
	ds_store_2addr_stride64_b32 v7, v24, v25 offset0:28 offset1:30
	v_add_nc_u32_e32 v7, 0x2000, v7
	s_and_not1_b32 exec_lo, exec_lo, s15
	s_cbranch_execnz .LBB122_28
; %bb.29:
	s_or_b32 exec_lo, exec_lo, s15
.LBB122_30:
	s_delay_alu instid0(SALU_CYCLE_1) | instskip(NEXT) | instid1(VALU_DEP_1)
	s_or_b32 exec_lo, exec_lo, s3
	v_and_b32_e32 v5, 7, v5
	s_mov_b32 s15, 0
	s_mov_b32 s3, exec_lo
	s_delay_alu instid0(VALU_DEP_1)
	v_cmpx_ne_u32_e32 0, v5
	s_cbranch_execz .LBB122_33
; %bb.31:
	v_dual_lshlrev_b32 v6, 9, v9 :: v_dual_lshlrev_b32 v7, 2, v0
	s_delay_alu instid0(VALU_DEP_1)
	v_add3_u32 v6, v6, v7, 0x110
.LBB122_32:                             ; =>This Inner Loop Header: Depth=1
	ds_load_2addr_stride64_b32 v[10:11], v6 offset1:2
	v_add_nc_u32_e32 v5, -1, v5
	s_delay_alu instid0(VALU_DEP_1)
	v_cmp_eq_u32_e32 vcc_lo, 0, v5
	s_or_b32 s15, vcc_lo, s15
	s_wait_dscnt 0x0
	v_pk_mul_f32 v[10:11], v[2:3], v[10:11]
	ds_store_2addr_stride64_b32 v6, v10, v11 offset1:2
	v_add_nc_u32_e32 v6, 0x400, v6
	s_and_not1_b32 exec_lo, exec_lo, s15
	s_cbranch_execnz .LBB122_32
.LBB122_33:
	s_or_b32 exec_lo, exec_lo, s3
	v_add_nc_u32_e32 v3, 1, v4
	s_delay_alu instid0(VALU_DEP_1) | instskip(NEXT) | instid1(VALU_DEP_1)
	v_and_b32_e32 v4, 0x3fffffe, v3
	v_cmp_ne_u32_e32 vcc_lo, v3, v4
	v_lshl_add_u32 v3, v4, 7, v0
	s_or_not1_b32 s3, vcc_lo, exec_lo
.LBB122_34:
	s_or_b32 exec_lo, exec_lo, s1
	s_delay_alu instid0(SALU_CYCLE_1)
	s_and_b32 exec_lo, exec_lo, s3
	s_cbranch_execz .LBB122_37
; %bb.35:
	v_lshl_add_u32 v4, v3, 2, 0x110
	s_mov_b32 s1, 0
.LBB122_36:                             ; =>This Inner Loop Header: Depth=1
	ds_load_b32 v5, v4
	v_add_nc_u32_e32 v3, 0x80, v3
	s_delay_alu instid0(VALU_DEP_1)
	v_cmp_le_i32_e32 vcc_lo, s4, v3
	s_or_b32 s1, vcc_lo, s1
	s_wait_dscnt 0x0
	v_mul_f32_e32 v5, v2, v5
	ds_store_b32 v4, v5
	v_add_nc_u32_e32 v4, 0x200, v4
	s_and_not1_b32 exec_lo, exec_lo, s1
	s_cbranch_execnz .LBB122_36
.LBB122_37:
	s_or_b32 exec_lo, exec_lo, s0
	v_mov_b64_e32 v[22:23], 0
	v_dual_mov_b32 v35, 0 :: v_dual_mov_b32 v34, 0
	s_wait_dscnt 0x0
	s_barrier_signal -1
	s_barrier_wait -1
	s_and_saveexec_b32 s23, s2
	s_cbranch_execz .LBB122_51
; %bb.38:
	s_ashr_i32 s15, s14, 31
	v_or_b32_e32 v3, 0x60, v32
	s_lshl_b64 s[0:1], s[14:15], 1
	v_dual_mov_b32 v25, 0 :: v_dual_lshlrev_b32 v2, 3, v32
	v_and_b32_e32 v24, 0x7c, v8
	s_ashr_i32 s3, s5, 31
	s_mov_b32 s2, s5
	s_wait_kmcnt 0x0
	s_add_nc_u64 s[4:5], s[16:17], s[0:1]
	s_lshl_b64 s[0:1], s[10:11], 2
	v_dual_lshlrev_b32 v4, 3, v3 :: v_dual_lshlrev_b32 v36, 3, v1
	s_add_nc_u64 s[0:1], s[12:13], s[0:1]
	v_lshl_add_u32 v37, v1, 5, 0x110
	v_add_nc_u64_e32 v[26:27], s[0:1], v[24:25]
	v_dual_mov_b32 v29, v25 :: v_dual_lshlrev_b32 v28, 1, v2
	v_dual_lshlrev_b32 v24, 1, v4 :: v_dual_mov_b32 v34, v25
	v_dual_mov_b32 v35, v25 :: v_dual_mov_b32 v23, v25
	v_dual_mov_b32 v22, v25 :: v_dual_mov_b32 v38, v1
	s_add_co_i32 s10, s22, -1
	s_mov_b32 s12, s21
	s_mov_b32 s11, 0
	v_cmp_gt_u32_e32 vcc_lo, 0x78, v3
	s_branch .LBB122_41
.LBB122_39:                             ;   in Loop: Header=BB122_41 Depth=1
	s_or_b32 exec_lo, exec_lo, s13
	s_wait_loadcnt 0x0
	v_pk_mul_bf16 v10, v39, v10
	v_pk_mul_bf16 v11, v16, v11
	;; [unrolled: 1-line block ×4, first 2 shown]
	s_delay_alu instid0(VALU_DEP_3) | instskip(SKIP_4) | instid1(VALU_DEP_3)
	v_dual_lshlrev_b32 v17, 16, v10 :: v_dual_lshlrev_b32 v30, 16, v11
	v_and_b32_e32 v10, 0xffff0000, v10
	v_and_b32_e32 v11, 0xffff0000, v11
	v_lshlrev_b32_e32 v31, 16, v12
	v_and_b32_e32 v12, 0xffff0000, v12
	v_dual_add_f32 v10, v10, v17 :: v_dual_add_f32 v11, v11, v30
	s_delay_alu instid0(VALU_DEP_2) | instskip(NEXT) | instid1(VALU_DEP_2)
	v_dual_add_f32 v12, v12, v31 :: v_dual_lshlrev_b32 v17, 16, v13
	v_add_f32_e32 v10, v11, v10
	v_and_b32_e32 v11, 0xffff0000, v13
	s_delay_alu instid0(VALU_DEP_1) | instskip(NEXT) | instid1(VALU_DEP_1)
	v_dual_add_f32 v10, v12, v10 :: v_dual_add_f32 v11, v11, v17
	v_add_f32_e32 v10, v11, v10
	s_delay_alu instid0(VALU_DEP_1)
	v_add_f32_e32 v34, v34, v10
.LBB122_40:                             ;   in Loop: Header=BB122_41 Depth=1
	s_or_b32 exec_lo, exec_lo, s1
	s_wait_loadcnt 0x0
	v_pk_mul_bf16 v10, v39, v18
	v_pk_mul_bf16 v11, v16, v19
	;; [unrolled: 1-line block ×5, first 2 shown]
	s_delay_alu instid0(VALU_DEP_4)
	v_dual_lshlrev_b32 v13, 16, v10 :: v_dual_lshlrev_b32 v17, 16, v11
	v_and_b32_e32 v10, 0xffff0000, v10
	v_and_b32_e32 v11, 0xffff0000, v11
	v_lshlrev_b32_e32 v18, 16, v12
	v_and_b32_e32 v12, 0xffff0000, v12
	v_pk_mul_bf16 v8, v15, v8
	v_add_f32_e32 v10, v13, v10
	v_add_f32_e32 v11, v17, v11
	v_pk_mul_bf16 v13, v14, v21
	v_dual_add_f32 v12, v18, v12 :: v_dual_lshlrev_b32 v17, 16, v6
	v_and_b32_e32 v6, 0xffff0000, v6
	s_delay_alu instid0(VALU_DEP_3) | instskip(SKIP_3) | instid1(VALU_DEP_4)
	v_dual_add_f32 v10, v11, v10 :: v_dual_lshlrev_b32 v11, 16, v13
	v_pk_mul_bf16 v2, v39, v2
	v_pk_mul_bf16 v3, v16, v3
	;; [unrolled: 1-line block ×3, first 2 shown]
	v_dual_add_f32 v10, v12, v10 :: v_dual_lshlrev_b32 v12, 16, v7
	v_and_b32_e32 v7, 0xffff0000, v7
	v_add_f32_e32 v6, v17, v6
	v_dual_lshlrev_b32 v16, 16, v2 :: v_dual_lshlrev_b32 v17, 16, v3
	v_and_b32_e32 v2, 0xffff0000, v2
	s_delay_alu instid0(VALU_DEP_4) | instskip(SKIP_3) | instid1(VALU_DEP_4)
	v_dual_add_f32 v7, v12, v7 :: v_dual_lshlrev_b32 v12, 16, v8
	v_and_b32_e32 v8, 0xffff0000, v8
	v_and_b32_e32 v3, 0xffff0000, v3
	v_pk_mul_bf16 v9, v14, v9
	v_add_f32_e32 v6, v7, v6
	v_add_f32_e32 v2, v16, v2
	s_delay_alu instid0(VALU_DEP_4) | instskip(NEXT) | instid1(VALU_DEP_4)
	v_dual_add_f32 v7, v12, v8 :: v_dual_add_f32 v3, v17, v3
	v_dual_lshlrev_b32 v8, 16, v4 :: v_dual_lshlrev_b32 v12, 16, v9
	v_and_b32_e32 v4, 0xffff0000, v4
	v_pk_mul_bf16 v5, v14, v5
	v_and_b32_e32 v13, 0xffff0000, v13
	v_and_b32_e32 v9, 0xffff0000, v9
	s_delay_alu instid0(VALU_DEP_4) | instskip(NEXT) | instid1(VALU_DEP_4)
	v_dual_add_f32 v2, v3, v2 :: v_dual_add_f32 v3, v8, v4
	v_dual_lshlrev_b32 v4, 16, v5 :: v_dual_add_f32 v6, v7, v6
	v_and_b32_e32 v5, 0xffff0000, v5
	v_dual_add_f32 v8, v11, v13 :: v_dual_add_nc_u32 v38, 4, v38
	s_delay_alu instid0(VALU_DEP_4) | instskip(NEXT) | instid1(VALU_DEP_3)
	v_dual_add_f32 v7, v12, v9 :: v_dual_add_f32 v2, v3, v2
	v_add_f32_e32 v3, v4, v5
	v_add_nc_u64_e32 v[26:27], 16, v[26:27]
	s_delay_alu instid0(VALU_DEP_4) | instskip(NEXT) | instid1(VALU_DEP_4)
	v_cmp_le_i32_e64 s0, s22, v38
	v_add_f32_e32 v5, v7, v6
	v_add_f32_e32 v4, v8, v10
	v_dual_add_f32 v2, v3, v2 :: v_dual_add_nc_u32 v36, 32, v36
	v_add_nc_u32_e32 v37, 0x80, v37
	s_delay_alu instid0(VALU_DEP_4) | instskip(NEXT) | instid1(VALU_DEP_3)
	v_add_f32_e32 v23, v23, v5
	v_dual_add_f32 v35, v35, v4 :: v_dual_add_f32 v22, v22, v2
	s_or_b32 s11, s0, s11
	s_delay_alu instid0(SALU_CYCLE_1)
	s_and_not1_b32 exec_lo, exec_lo, s11
	s_cbranch_execz .LBB122_50
.LBB122_41:                             ; =>This Inner Loop Header: Depth=1
	global_load_b32 v2, v[26:27], off
	v_cmp_eq_u32_e64 s0, s10, v38
	s_wait_loadcnt 0x0
	v_ashrrev_i32_e32 v3, 31, v2
	s_delay_alu instid0(VALU_DEP_1) | instskip(NEXT) | instid1(VALU_DEP_1)
	v_mul_u64_e32 v[2:3], s[2:3], v[2:3]
	v_lshl_add_u64 v[30:31], v[2:3], 1, s[4:5]
	s_delay_alu instid0(VALU_DEP_1)
	v_add_nc_u64_e32 v[18:19], v[30:31], v[28:29]
	global_load_b128 v[2:5], v[18:19], off
	ds_load_2addr_b64 v[14:17], v37 offset1:1
	ds_load_2addr_b64 v[10:13], v37 offset0:2 offset1:3
	s_wait_xcnt 0x0
	s_and_saveexec_b32 s13, s0
	s_cbranch_execnz .LBB122_48
; %bb.42:                               ;   in Loop: Header=BB122_41 Depth=1
	s_or_b32 exec_lo, exec_lo, s13
	global_load_b128 v[6:9], v[18:19], off offset:512
	s_wait_xcnt 0x0
	s_and_saveexec_b32 s13, s0
	s_cbranch_execnz .LBB122_49
.LBB122_43:                             ;   in Loop: Header=BB122_41 Depth=1
	s_or_b32 exec_lo, exec_lo, s13
	global_load_b128 v[18:21], v[18:19], off offset:1024
	s_wait_xcnt 0x0
	s_and_saveexec_b32 s13, s0
	s_cbranch_execz .LBB122_45
.LBB122_44:                             ;   in Loop: Header=BB122_41 Depth=1
	s_wait_loadcnt 0x0
	v_dual_add_nc_u32 v39, 1, v36 :: v_dual_lshrrev_b32 v40, 16, v18
	v_dual_lshrrev_b32 v42, 16, v19 :: v_dual_lshrrev_b32 v45, 16, v21
	v_or_b32_e32 v44, 7, v36
	s_delay_alu instid0(VALU_DEP_3) | instskip(NEXT) | instid1(VALU_DEP_1)
	v_cmp_gt_i32_e64 s1, s12, v39
	v_cndmask_b32_e64 v39, 0, v40, s1
	v_cmp_gt_i32_e64 s1, s21, v36
	s_delay_alu instid0(VALU_DEP_1) | instskip(NEXT) | instid1(VALU_DEP_1)
	v_dual_cndmask_b32 v18, 0, v18, s1 :: v_dual_bitop2_b32 v41, 2, v36 bitop3:0x54
	v_cmp_gt_i32_e64 s1, s21, v41
	v_or_b32_e32 v40, 3, v36
	v_or_b32_e32 v41, 5, v36
	s_delay_alu instid0(VALU_DEP_4) | instskip(NEXT) | instid1(VALU_DEP_4)
	v_perm_b32 v18, v39, v18, 0x5040100
	v_cndmask_b32_e64 v19, 0, v19, s1
	s_delay_alu instid0(VALU_DEP_4) | instskip(NEXT) | instid1(VALU_DEP_1)
	v_cmp_gt_i32_e64 s1, s12, v40
	v_dual_cndmask_b32 v40, 0, v42, s1 :: v_dual_bitop2_b32 v43, 4, v36 bitop3:0x54
	s_delay_alu instid0(VALU_DEP_1) | instskip(SKIP_1) | instid1(VALU_DEP_3)
	v_cmp_gt_i32_e64 s1, s21, v43
	v_or_b32_e32 v43, 6, v36
	v_perm_b32 v19, v40, v19, 0x5040100
	s_delay_alu instid0(VALU_DEP_3) | instskip(SKIP_1) | instid1(VALU_DEP_1)
	v_dual_cndmask_b32 v42, 0, v20, s1 :: v_dual_lshrrev_b32 v20, 16, v20
	v_cmp_gt_i32_e64 s1, s12, v41
	v_cndmask_b32_e64 v20, 0, v20, s1
	v_cmp_gt_i32_e64 s1, s21, v43
	s_delay_alu instid0(VALU_DEP_2) | instskip(NEXT) | instid1(VALU_DEP_2)
	v_perm_b32 v20, v20, v42, 0x5040100
	v_cndmask_b32_e64 v21, 0, v21, s1
	v_cmp_gt_i32_e64 s1, s12, v44
	s_delay_alu instid0(VALU_DEP_1) | instskip(NEXT) | instid1(VALU_DEP_1)
	v_cndmask_b32_e64 v41, 0, v45, s1
	v_perm_b32 v21, v41, v21, 0x5040100
.LBB122_45:                             ;   in Loop: Header=BB122_41 Depth=1
	s_or_b32 exec_lo, exec_lo, s13
	s_wait_dscnt 0x1
	v_cvt_pk_bf16_f32 v39, v14, v15
	v_cvt_pk_bf16_f32 v16, v16, v17
	s_wait_dscnt 0x0
	v_cvt_pk_bf16_f32 v15, v10, v11
	v_cvt_pk_bf16_f32 v14, v12, v13
	s_and_saveexec_b32 s1, vcc_lo
	s_cbranch_execz .LBB122_40
; %bb.46:                               ;   in Loop: Header=BB122_41 Depth=1
	v_add_nc_u64_e32 v[10:11], v[30:31], v[24:25]
	global_load_b128 v[10:13], v[10:11], off
	s_wait_xcnt 0x0
	s_and_saveexec_b32 s13, s0
	s_cbranch_execz .LBB122_39
; %bb.47:                               ;   in Loop: Header=BB122_41 Depth=1
	s_wait_loadcnt 0x0
	v_dual_add_nc_u32 v17, 1, v36 :: v_dual_lshrrev_b32 v30, 16, v10
	v_dual_lshrrev_b32 v40, 16, v11 :: v_dual_bitop2_b32 v41, 4, v36 bitop3:0x54
	v_lshrrev_b32_e32 v43, 16, v13
	s_delay_alu instid0(VALU_DEP_3) | instskip(SKIP_1) | instid1(VALU_DEP_2)
	v_cmp_gt_i32_e64 s0, s12, v17
	v_or_b32_e32 v31, 2, v36
	v_dual_cndmask_b32 v17, 0, v30, s0 :: v_dual_bitop2_b32 v42, 7, v36 bitop3:0x54
	v_cmp_gt_i32_e64 s0, s21, v36
	s_delay_alu instid0(VALU_DEP_1) | instskip(NEXT) | instid1(VALU_DEP_4)
	v_dual_cndmask_b32 v10, 0, v10, s0 :: v_dual_bitop2_b32 v30, 3, v36 bitop3:0x54
	v_cmp_gt_i32_e64 s0, s21, v31
	v_or_b32_e32 v31, 5, v36
	s_delay_alu instid0(VALU_DEP_3) | instskip(NEXT) | instid1(VALU_DEP_3)
	v_perm_b32 v10, v17, v10, 0x5040100
	v_cndmask_b32_e64 v11, 0, v11, s0
	v_cmp_gt_i32_e64 s0, s12, v30
	s_delay_alu instid0(VALU_DEP_1) | instskip(SKIP_2) | instid1(VALU_DEP_3)
	v_cndmask_b32_e64 v30, 0, v40, s0
	v_cmp_gt_i32_e64 s0, s21, v41
	v_or_b32_e32 v41, 6, v36
	v_perm_b32 v11, v30, v11, 0x5040100
	s_delay_alu instid0(VALU_DEP_3) | instskip(SKIP_1) | instid1(VALU_DEP_1)
	v_dual_cndmask_b32 v40, 0, v12, s0 :: v_dual_lshrrev_b32 v12, 16, v12
	v_cmp_gt_i32_e64 s0, s12, v31
	v_cndmask_b32_e64 v12, 0, v12, s0
	v_cmp_gt_i32_e64 s0, s21, v41
	s_delay_alu instid0(VALU_DEP_2) | instskip(NEXT) | instid1(VALU_DEP_2)
	v_perm_b32 v12, v12, v40, 0x5040100
	v_cndmask_b32_e64 v13, 0, v13, s0
	v_cmp_gt_i32_e64 s0, s12, v42
	s_delay_alu instid0(VALU_DEP_1) | instskip(NEXT) | instid1(VALU_DEP_1)
	v_cndmask_b32_e64 v31, 0, v43, s0
	v_perm_b32 v13, v31, v13, 0x5040100
	s_branch .LBB122_39
.LBB122_48:                             ;   in Loop: Header=BB122_41 Depth=1
	s_wait_loadcnt 0x0
	v_dual_add_nc_u32 v6, 1, v36 :: v_dual_lshrrev_b32 v7, 16, v2
	v_dual_lshrrev_b32 v9, 16, v3 :: v_dual_bitop2_b32 v20, 4, v36 bitop3:0x54
	v_lshrrev_b32_e32 v39, 16, v5
	s_delay_alu instid0(VALU_DEP_3) | instskip(SKIP_1) | instid1(VALU_DEP_2)
	v_cmp_gt_i32_e64 s1, s12, v6
	v_or_b32_e32 v8, 2, v36
	v_dual_cndmask_b32 v6, 0, v7, s1 :: v_dual_bitop2_b32 v21, 7, v36 bitop3:0x54
	v_cmp_gt_i32_e64 s1, s21, v36
	s_delay_alu instid0(VALU_DEP_1) | instskip(NEXT) | instid1(VALU_DEP_4)
	v_dual_cndmask_b32 v2, 0, v2, s1 :: v_dual_bitop2_b32 v7, 3, v36 bitop3:0x54
	v_cmp_gt_i32_e64 s1, s21, v8
	v_or_b32_e32 v8, 5, v36
	s_delay_alu instid0(VALU_DEP_3) | instskip(NEXT) | instid1(VALU_DEP_3)
	v_perm_b32 v2, v6, v2, 0x5040100
	v_cndmask_b32_e64 v3, 0, v3, s1
	v_cmp_gt_i32_e64 s1, s12, v7
	s_delay_alu instid0(VALU_DEP_1) | instskip(SKIP_2) | instid1(VALU_DEP_3)
	v_cndmask_b32_e64 v7, 0, v9, s1
	v_cmp_gt_i32_e64 s1, s21, v20
	v_or_b32_e32 v20, 6, v36
	v_perm_b32 v3, v7, v3, 0x5040100
	s_delay_alu instid0(VALU_DEP_3) | instskip(SKIP_1) | instid1(VALU_DEP_1)
	v_dual_cndmask_b32 v9, 0, v4, s1 :: v_dual_lshrrev_b32 v4, 16, v4
	v_cmp_gt_i32_e64 s1, s12, v8
	v_cndmask_b32_e64 v4, 0, v4, s1
	v_cmp_gt_i32_e64 s1, s21, v20
	s_delay_alu instid0(VALU_DEP_2) | instskip(NEXT) | instid1(VALU_DEP_2)
	v_perm_b32 v4, v4, v9, 0x5040100
	v_cndmask_b32_e64 v5, 0, v5, s1
	v_cmp_gt_i32_e64 s1, s12, v21
	s_delay_alu instid0(VALU_DEP_1) | instskip(NEXT) | instid1(VALU_DEP_1)
	v_cndmask_b32_e64 v8, 0, v39, s1
	v_perm_b32 v5, v8, v5, 0x5040100
	s_or_b32 exec_lo, exec_lo, s13
	global_load_b128 v[6:9], v[18:19], off offset:512
	s_wait_xcnt 0x0
	s_and_saveexec_b32 s13, s0
	s_cbranch_execz .LBB122_43
.LBB122_49:                             ;   in Loop: Header=BB122_41 Depth=1
	s_wait_loadcnt 0x0
	v_dual_add_nc_u32 v20, 1, v36 :: v_dual_lshrrev_b32 v21, 16, v6
	v_dual_lshrrev_b32 v40, 16, v7 :: v_dual_bitop2_b32 v41, 4, v36 bitop3:0x54
	v_lshrrev_b32_e32 v43, 16, v9
	s_delay_alu instid0(VALU_DEP_3) | instskip(SKIP_1) | instid1(VALU_DEP_2)
	v_cmp_gt_i32_e64 s1, s12, v20
	v_or_b32_e32 v39, 2, v36
	v_dual_cndmask_b32 v20, 0, v21, s1 :: v_dual_bitop2_b32 v42, 7, v36 bitop3:0x54
	v_cmp_gt_i32_e64 s1, s21, v36
	s_delay_alu instid0(VALU_DEP_1) | instskip(NEXT) | instid1(VALU_DEP_4)
	v_dual_cndmask_b32 v6, 0, v6, s1 :: v_dual_bitop2_b32 v21, 3, v36 bitop3:0x54
	v_cmp_gt_i32_e64 s1, s21, v39
	v_or_b32_e32 v39, 5, v36
	s_delay_alu instid0(VALU_DEP_3) | instskip(NEXT) | instid1(VALU_DEP_3)
	v_perm_b32 v6, v20, v6, 0x5040100
	v_cndmask_b32_e64 v7, 0, v7, s1
	v_cmp_gt_i32_e64 s1, s12, v21
	s_delay_alu instid0(VALU_DEP_1) | instskip(SKIP_2) | instid1(VALU_DEP_3)
	v_cndmask_b32_e64 v21, 0, v40, s1
	v_cmp_gt_i32_e64 s1, s21, v41
	v_or_b32_e32 v41, 6, v36
	v_perm_b32 v7, v21, v7, 0x5040100
	s_delay_alu instid0(VALU_DEP_3) | instskip(SKIP_1) | instid1(VALU_DEP_1)
	v_dual_cndmask_b32 v40, 0, v8, s1 :: v_dual_lshrrev_b32 v8, 16, v8
	v_cmp_gt_i32_e64 s1, s12, v39
	v_cndmask_b32_e64 v8, 0, v8, s1
	v_cmp_gt_i32_e64 s1, s21, v41
	s_delay_alu instid0(VALU_DEP_2) | instskip(NEXT) | instid1(VALU_DEP_2)
	v_perm_b32 v8, v8, v40, 0x5040100
	v_cndmask_b32_e64 v9, 0, v9, s1
	v_cmp_gt_i32_e64 s1, s12, v42
	s_delay_alu instid0(VALU_DEP_1) | instskip(NEXT) | instid1(VALU_DEP_1)
	v_cndmask_b32_e64 v39, 0, v43, s1
	v_perm_b32 v9, v39, v9, 0x5040100
	s_or_b32 exec_lo, exec_lo, s13
	global_load_b128 v[18:21], v[18:19], off offset:1024
	s_wait_xcnt 0x0
	s_and_saveexec_b32 s13, s0
	s_cbranch_execnz .LBB122_44
	s_branch .LBB122_45
.LBB122_50:
	s_or_b32 exec_lo, exec_lo, s11
.LBB122_51:
	s_delay_alu instid0(SALU_CYCLE_1)
	s_or_b32 exec_lo, exec_lo, s23
	s_movk_i32 s0, 0x1e0
	v_and_b32_e32 v2, 0x3c0, v0
	v_mad_u32_u24 v6, v1, s0, 0x110
	v_or_b32_e32 v1, 0x60, v0
	s_mov_b32 s0, exec_lo
	s_barrier_signal -1
	s_barrier_wait -1
	v_cmpx_eq_u32_e32 64, v2
	s_cbranch_execz .LBB122_54
; %bb.52:
	v_add_nc_u32_e32 v2, 0xfffffc40, v6
	v_cmp_gt_u32_e32 vcc_lo, 0x78, v1
	s_delay_alu instid0(VALU_DEP_2)
	v_lshl_add_u32 v3, v32, 2, v2
	ds_store_2addr_b32 v3, v22, v23 offset1:32
	ds_store_b32 v3, v35 offset:256
	s_and_b32 exec_lo, exec_lo, vcc_lo
; %bb.53:
	v_lshl_add_u32 v2, v1, 2, v2
	ds_store_b32 v2, v34
.LBB122_54:
	s_or_b32 exec_lo, exec_lo, s0
	v_lshl_add_u32 v7, v32, 2, v6
	s_mov_b32 s0, exec_lo
	s_wait_dscnt 0x0
	s_barrier_signal -1
	s_barrier_wait -1
	v_cmpx_gt_u32_e32 64, v0
	s_cbranch_execz .LBB122_58
; %bb.55:
	v_lshl_or_b32 v4, v0, 2, 0x80
	ds_load_2addr_stride64_b32 v[2:3], v7 offset1:1
	s_mov_b32 s1, exec_lo
	v_add_nc_u32_e32 v4, v6, v4
	ds_load_b32 v5, v4
	s_wait_dscnt 0x1
	v_mov_b32_e32 v4, v2
	v_cmpx_gt_u32_e32 0x78, v1
	s_cbranch_execz .LBB122_57
; %bb.56:
	v_lshl_add_u32 v2, v1, 2, v6
	ds_load_b32 v2, v2
	s_wait_dscnt 0x0
	v_add_f32_e32 v34, v34, v2
.LBB122_57:
	s_or_b32 exec_lo, exec_lo, s1
	s_wait_dscnt 0x0
	v_pk_add_f32 v[22:23], v[22:23], v[4:5]
	v_add_f32_e32 v35, v35, v3
.LBB122_58:
	s_or_b32 exec_lo, exec_lo, s0
	v_and_b32_e32 v2, 0x3e0, v0
	s_mov_b32 s0, exec_lo
	s_barrier_signal -1
	s_barrier_wait -1
	s_delay_alu instid0(VALU_DEP_1)
	v_cmpx_eq_u32_e32 32, v2
	s_cbranch_execz .LBB122_61
; %bb.59:
	v_lshl_add_u32 v2, v32, 2, 0x110
	v_cmp_gt_u32_e32 vcc_lo, 0x78, v1
	ds_store_b32 v2, v22
	ds_store_b32 v33, v23
	ds_store_b32 v2, v35 offset:256
	s_and_b32 exec_lo, exec_lo, vcc_lo
; %bb.60:
	v_lshl_add_u32 v2, v1, 2, 0x110
	ds_store_b32 v2, v34
.LBB122_61:
	s_or_b32 exec_lo, exec_lo, s0
	v_cmp_gt_u32_e32 vcc_lo, 32, v0
	s_wait_dscnt 0x0
	s_barrier_signal -1
	s_barrier_wait -1
	s_and_saveexec_b32 s1, vcc_lo
	s_cbranch_execz .LBB122_65
; %bb.62:
	v_lshl_add_u32 v6, v0, 2, v6
	s_mov_b32 s2, exec_lo
	ds_load_2addr_b32 v[2:3], v6 offset0:32 offset1:64
	ds_load_b32 v4, v7
	s_wait_dscnt 0x1
	v_mov_b32_e32 v5, v2
	v_cmpx_gt_u32_e32 0x78, v1
	s_cbranch_execz .LBB122_64
; %bb.63:
	ds_load_b32 v2, v6 offset:384
	s_wait_dscnt 0x0
	v_add_f32_e32 v34, v34, v2
.LBB122_64:
	s_or_b32 exec_lo, exec_lo, s2
	s_wait_dscnt 0x0
	v_pk_add_f32 v[22:23], v[22:23], v[4:5]
	v_add_f32_e32 v35, v35, v3
.LBB122_65:
	s_or_b32 exec_lo, exec_lo, s1
	s_barrier_signal -1
	s_barrier_wait -1
	s_and_saveexec_b32 s0, vcc_lo
	s_cbranch_execz .LBB122_68
; %bb.66:
	s_wait_kmcnt 0x0
	s_mul_i32 s1, s20, s9
	s_bfe_u32 s5, ttmp6, 0x40014
	s_mul_i32 s1, s1, s19
	s_mul_i32 s0, s9, s8
	;; [unrolled: 1-line block ×3, first 2 shown]
	s_lshr_b32 s4, ttmp7, 16
	s_ashr_i32 s3, s2, 31
	s_add_co_i32 s5, s5, 1
	s_lshl_b64 s[2:3], s[2:3], 1
	s_ashr_i32 s1, s0, 31
	s_add_nc_u64 s[2:3], s[6:7], s[2:3]
	s_mul_i32 s5, s4, s5
	s_bfe_u32 s6, ttmp6, 0x40008
	s_lshl_b64 s[0:1], s[0:1], 1
	s_add_co_i32 s6, s6, s5
	s_cmp_eq_u32 s18, 0
	s_add_nc_u64 s[0:1], s[2:3], s[0:1]
	s_cselect_b32 s2, s4, s6
	s_mov_b32 s3, 0
	s_mulk_i32 s2, 0xf0
	v_cmp_gt_u32_e32 vcc_lo, 0x78, v1
	s_add_nc_u64 s[0:1], s[0:1], s[2:3]
	s_delay_alu instid0(SALU_CYCLE_1)
	v_cvt_pk_bf16_f32 v2, v22, s0
	v_cvt_pk_bf16_f32 v3, v23, s0
	;; [unrolled: 1-line block ×3, first 2 shown]
	s_clause 0x2
	global_store_b16 v0, v2, s[0:1] scale_offset
	global_store_b16 v0, v3, s[0:1] offset:64 scale_offset
	global_store_b16 v0, v4, s[0:1] offset:128 scale_offset
	s_wait_xcnt 0x0
	s_and_b32 exec_lo, exec_lo, vcc_lo
	s_cbranch_execz .LBB122_68
; %bb.67:
	v_dual_mov_b32 v1, 0 :: v_dual_lshlrev_b32 v0, 1, v0
	v_cvt_pk_bf16_f32 v2, v34, s0
	s_delay_alu instid0(VALU_DEP_2)
	v_add_nc_u64_e32 v[0:1], s[0:1], v[0:1]
	global_store_b16 v[0:1], v2, off offset:192
.LBB122_68:
	s_endpgm
	.section	.rodata,"a",@progbits
	.p2align	6, 0x0
	.amdhsa_kernel _ZN4vllm25paged_attention_v1_kernelI14__hip_bfloat16S1_Li120ELi8ELi128ELNS_18Fp8KVCacheDataTypeE0ELb0EEEvPT_PKS3_PKT0_S9_ifPKiSB_iPKfiiiSD_SD_iiiii
		.amdhsa_group_segment_fixed_size 272
		.amdhsa_private_segment_fixed_size 0
		.amdhsa_kernarg_size 384
		.amdhsa_user_sgpr_count 2
		.amdhsa_user_sgpr_dispatch_ptr 0
		.amdhsa_user_sgpr_queue_ptr 0
		.amdhsa_user_sgpr_kernarg_segment_ptr 1
		.amdhsa_user_sgpr_dispatch_id 0
		.amdhsa_user_sgpr_kernarg_preload_length 0
		.amdhsa_user_sgpr_kernarg_preload_offset 0
		.amdhsa_user_sgpr_private_segment_size 0
		.amdhsa_wavefront_size32 1
		.amdhsa_uses_dynamic_stack 0
		.amdhsa_enable_private_segment 0
		.amdhsa_system_sgpr_workgroup_id_x 1
		.amdhsa_system_sgpr_workgroup_id_y 1
		.amdhsa_system_sgpr_workgroup_id_z 1
		.amdhsa_system_sgpr_workgroup_info 0
		.amdhsa_system_vgpr_workitem_id 0
		.amdhsa_next_free_vgpr 63
		.amdhsa_next_free_sgpr 30
		.amdhsa_named_barrier_count 0
		.amdhsa_reserve_vcc 1
		.amdhsa_float_round_mode_32 0
		.amdhsa_float_round_mode_16_64 0
		.amdhsa_float_denorm_mode_32 3
		.amdhsa_float_denorm_mode_16_64 3
		.amdhsa_fp16_overflow 0
		.amdhsa_memory_ordered 1
		.amdhsa_forward_progress 1
		.amdhsa_inst_pref_size 50
		.amdhsa_round_robin_scheduling 0
		.amdhsa_exception_fp_ieee_invalid_op 0
		.amdhsa_exception_fp_denorm_src 0
		.amdhsa_exception_fp_ieee_div_zero 0
		.amdhsa_exception_fp_ieee_overflow 0
		.amdhsa_exception_fp_ieee_underflow 0
		.amdhsa_exception_fp_ieee_inexact 0
		.amdhsa_exception_int_div_zero 0
	.end_amdhsa_kernel
	.section	.text._ZN4vllm25paged_attention_v1_kernelI14__hip_bfloat16S1_Li120ELi8ELi128ELNS_18Fp8KVCacheDataTypeE0ELb0EEEvPT_PKS3_PKT0_S9_ifPKiSB_iPKfiiiSD_SD_iiiii,"axG",@progbits,_ZN4vllm25paged_attention_v1_kernelI14__hip_bfloat16S1_Li120ELi8ELi128ELNS_18Fp8KVCacheDataTypeE0ELb0EEEvPT_PKS3_PKT0_S9_ifPKiSB_iPKfiiiSD_SD_iiiii,comdat
.Lfunc_end122:
	.size	_ZN4vllm25paged_attention_v1_kernelI14__hip_bfloat16S1_Li120ELi8ELi128ELNS_18Fp8KVCacheDataTypeE0ELb0EEEvPT_PKS3_PKT0_S9_ifPKiSB_iPKfiiiSD_SD_iiiii, .Lfunc_end122-_ZN4vllm25paged_attention_v1_kernelI14__hip_bfloat16S1_Li120ELi8ELi128ELNS_18Fp8KVCacheDataTypeE0ELb0EEEvPT_PKS3_PKT0_S9_ifPKiSB_iPKfiiiSD_SD_iiiii
                                        ; -- End function
	.set _ZN4vllm25paged_attention_v1_kernelI14__hip_bfloat16S1_Li120ELi8ELi128ELNS_18Fp8KVCacheDataTypeE0ELb0EEEvPT_PKS3_PKT0_S9_ifPKiSB_iPKfiiiSD_SD_iiiii.num_vgpr, 63
	.set _ZN4vllm25paged_attention_v1_kernelI14__hip_bfloat16S1_Li120ELi8ELi128ELNS_18Fp8KVCacheDataTypeE0ELb0EEEvPT_PKS3_PKT0_S9_ifPKiSB_iPKfiiiSD_SD_iiiii.num_agpr, 0
	.set _ZN4vllm25paged_attention_v1_kernelI14__hip_bfloat16S1_Li120ELi8ELi128ELNS_18Fp8KVCacheDataTypeE0ELb0EEEvPT_PKS3_PKT0_S9_ifPKiSB_iPKfiiiSD_SD_iiiii.numbered_sgpr, 30
	.set _ZN4vllm25paged_attention_v1_kernelI14__hip_bfloat16S1_Li120ELi8ELi128ELNS_18Fp8KVCacheDataTypeE0ELb0EEEvPT_PKS3_PKT0_S9_ifPKiSB_iPKfiiiSD_SD_iiiii.num_named_barrier, 0
	.set _ZN4vllm25paged_attention_v1_kernelI14__hip_bfloat16S1_Li120ELi8ELi128ELNS_18Fp8KVCacheDataTypeE0ELb0EEEvPT_PKS3_PKT0_S9_ifPKiSB_iPKfiiiSD_SD_iiiii.private_seg_size, 0
	.set _ZN4vllm25paged_attention_v1_kernelI14__hip_bfloat16S1_Li120ELi8ELi128ELNS_18Fp8KVCacheDataTypeE0ELb0EEEvPT_PKS3_PKT0_S9_ifPKiSB_iPKfiiiSD_SD_iiiii.uses_vcc, 1
	.set _ZN4vllm25paged_attention_v1_kernelI14__hip_bfloat16S1_Li120ELi8ELi128ELNS_18Fp8KVCacheDataTypeE0ELb0EEEvPT_PKS3_PKT0_S9_ifPKiSB_iPKfiiiSD_SD_iiiii.uses_flat_scratch, 0
	.set _ZN4vllm25paged_attention_v1_kernelI14__hip_bfloat16S1_Li120ELi8ELi128ELNS_18Fp8KVCacheDataTypeE0ELb0EEEvPT_PKS3_PKT0_S9_ifPKiSB_iPKfiiiSD_SD_iiiii.has_dyn_sized_stack, 0
	.set _ZN4vllm25paged_attention_v1_kernelI14__hip_bfloat16S1_Li120ELi8ELi128ELNS_18Fp8KVCacheDataTypeE0ELb0EEEvPT_PKS3_PKT0_S9_ifPKiSB_iPKfiiiSD_SD_iiiii.has_recursion, 0
	.set _ZN4vllm25paged_attention_v1_kernelI14__hip_bfloat16S1_Li120ELi8ELi128ELNS_18Fp8KVCacheDataTypeE0ELb0EEEvPT_PKS3_PKT0_S9_ifPKiSB_iPKfiiiSD_SD_iiiii.has_indirect_call, 0
	.section	.AMDGPU.csdata,"",@progbits
; Kernel info:
; codeLenInByte = 6296
; TotalNumSgprs: 32
; NumVgprs: 63
; ScratchSize: 0
; MemoryBound: 0
; FloatMode: 240
; IeeeMode: 1
; LDSByteSize: 272 bytes/workgroup (compile time only)
; SGPRBlocks: 0
; VGPRBlocks: 3
; NumSGPRsForWavesPerEU: 32
; NumVGPRsForWavesPerEU: 63
; NamedBarCnt: 0
; Occupancy: 16
; WaveLimiterHint : 1
; COMPUTE_PGM_RSRC2:SCRATCH_EN: 0
; COMPUTE_PGM_RSRC2:USER_SGPR: 2
; COMPUTE_PGM_RSRC2:TRAP_HANDLER: 0
; COMPUTE_PGM_RSRC2:TGID_X_EN: 1
; COMPUTE_PGM_RSRC2:TGID_Y_EN: 1
; COMPUTE_PGM_RSRC2:TGID_Z_EN: 1
; COMPUTE_PGM_RSRC2:TIDIG_COMP_CNT: 0
	.section	.text._ZN4vllm25paged_attention_v1_kernelI14__hip_bfloat16S1_Li128ELi8ELi128ELNS_18Fp8KVCacheDataTypeE0ELb0EEEvPT_PKS3_PKT0_S9_ifPKiSB_iPKfiiiSD_SD_iiiii,"axG",@progbits,_ZN4vllm25paged_attention_v1_kernelI14__hip_bfloat16S1_Li128ELi8ELi128ELNS_18Fp8KVCacheDataTypeE0ELb0EEEvPT_PKS3_PKT0_S9_ifPKiSB_iPKfiiiSD_SD_iiiii,comdat
	.protected	_ZN4vllm25paged_attention_v1_kernelI14__hip_bfloat16S1_Li128ELi8ELi128ELNS_18Fp8KVCacheDataTypeE0ELb0EEEvPT_PKS3_PKT0_S9_ifPKiSB_iPKfiiiSD_SD_iiiii ; -- Begin function _ZN4vllm25paged_attention_v1_kernelI14__hip_bfloat16S1_Li128ELi8ELi128ELNS_18Fp8KVCacheDataTypeE0ELb0EEEvPT_PKS3_PKT0_S9_ifPKiSB_iPKfiiiSD_SD_iiiii
	.globl	_ZN4vllm25paged_attention_v1_kernelI14__hip_bfloat16S1_Li128ELi8ELi128ELNS_18Fp8KVCacheDataTypeE0ELb0EEEvPT_PKS3_PKT0_S9_ifPKiSB_iPKfiiiSD_SD_iiiii
	.p2align	8
	.type	_ZN4vllm25paged_attention_v1_kernelI14__hip_bfloat16S1_Li128ELi8ELi128ELNS_18Fp8KVCacheDataTypeE0ELb0EEEvPT_PKS3_PKT0_S9_ifPKiSB_iPKfiiiSD_SD_iiiii,@function
_ZN4vllm25paged_attention_v1_kernelI14__hip_bfloat16S1_Li128ELi8ELi128ELNS_18Fp8KVCacheDataTypeE0ELb0EEEvPT_PKS3_PKT0_S9_ifPKiSB_iPKfiiiSD_SD_iiiii: ; @_ZN4vllm25paged_attention_v1_kernelI14__hip_bfloat16S1_Li128ELi8ELi128ELNS_18Fp8KVCacheDataTypeE0ELb0EEEvPT_PKS3_PKT0_S9_ifPKiSB_iPKfiiiSD_SD_iiiii
; %bb.0:
	s_load_b64 s[10:11], s[0:1], 0x20
	s_bfe_u32 s3, ttmp6, 0x4000c
	s_bfe_u32 s5, ttmp6, 0x40010
	s_and_b32 s4, ttmp7, 0xffff
	s_add_co_i32 s3, s3, 1
	s_add_co_i32 s5, s5, 1
	s_and_b32 s2, ttmp6, 15
	s_bfe_u32 s6, ttmp6, 0x40004
	s_mul_i32 s3, ttmp9, s3
	s_mul_i32 s5, s4, s5
	s_getreg_b32 s20, hwreg(HW_REG_IB_STS2, 6, 4)
	s_add_co_i32 s7, s2, s3
	s_add_co_i32 s6, s6, s5
	s_cmp_eq_u32 s20, 0
	s_clause 0x1
	s_load_b32 s21, s[0:1], 0x80
	s_load_b64 s[2:3], s[0:1], 0x30
	s_cselect_b32 s22, s4, s6
	s_cselect_b32 s6, ttmp9, s7
	s_wait_kmcnt 0x0
	s_abs_i32 s4, s10
	s_delay_alu instid0(SALU_CYCLE_1) | instskip(SKIP_1) | instid1(SALU_CYCLE_2)
	s_cvt_f32_u32 s5, s4
	s_sub_co_i32 s7, 0, s4
	v_rcp_iflag_f32_e32 v1, s5
	s_abs_i32 s8, s21
	v_nop
	s_delay_alu instid0(TRANS32_DEP_1) | instskip(SKIP_1) | instid1(SALU_CYCLE_3)
	v_readfirstlane_b32 s5, v1
	s_mul_f32 s5, s5, 0x4f7ffffe
	s_cvt_u32_f32 s5, s5
	s_delay_alu instid0(SALU_CYCLE_3) | instskip(NEXT) | instid1(SALU_CYCLE_1)
	s_mul_i32 s7, s7, s5
	s_mul_hi_u32 s7, s5, s7
	s_delay_alu instid0(SALU_CYCLE_1) | instskip(SKIP_4) | instid1(SALU_CYCLE_1)
	s_add_co_i32 s5, s5, s7
	s_xor_b32 s7, s21, s10
	s_mul_hi_u32 s5, s8, s5
	s_ashr_i32 s7, s7, 31
	s_mul_i32 s9, s5, s4
	s_sub_co_i32 s8, s8, s9
	s_add_co_i32 s9, s5, 1
	s_sub_co_i32 s10, s8, s4
	s_cmp_ge_u32 s8, s4
	s_cselect_b32 s5, s9, s5
	s_cselect_b32 s8, s10, s8
	s_add_co_i32 s9, s5, 1
	s_cmp_ge_u32 s8, s4
	s_cselect_b32 s4, s9, s5
	s_load_b64 s[8:9], s[0:1], 0x40
	s_xor_b32 s4, s4, s7
	s_mov_b32 s5, 0
	s_sub_co_i32 s15, s4, s7
	s_mov_b32 s13, s5
	s_abs_i32 s14, s15
	s_mov_b32 s24, s5
	s_cvt_f32_u32 s4, s14
	s_delay_alu instid0(SALU_CYCLE_3) | instskip(SKIP_1) | instid1(TRANS32_DEP_1)
	v_rcp_iflag_f32_e32 v1, s4
	v_nop
	v_readfirstlane_b32 s4, v1
	s_mul_f32 s4, s4, 0x4f7ffffe
	s_delay_alu instid0(SALU_CYCLE_3) | instskip(SKIP_1) | instid1(SALU_CYCLE_2)
	s_cvt_u32_f32 s7, s4
	s_sub_co_i32 s4, 0, s14
	s_mul_i32 s4, s4, s7
	s_delay_alu instid0(SALU_CYCLE_1)
	s_mul_hi_u32 s10, s7, s4
	s_abs_i32 s4, s6
	s_add_co_i32 s12, s7, s10
	s_wait_kmcnt 0x0
	s_cmp_eq_u64 s[8:9], 0
	s_cbranch_scc1 .LBB123_2
; %bb.1:
	s_ashr_i32 s7, s6, 31
	s_delay_alu instid0(SALU_CYCLE_1) | instskip(NEXT) | instid1(SALU_CYCLE_1)
	s_lshl_b64 s[16:17], s[6:7], 2
	s_add_nc_u64 s[8:9], s[8:9], s[16:17]
	s_load_b32 s24, s[8:9], 0x0
.LBB123_2:
	s_load_b32 s23, s[2:3], s22 offset:0x0 scale_offset
	s_wait_xcnt 0x0
	s_load_b96 s[8:10], s[0:1], 0x48
	v_and_b32_e32 v6, 3, v0
	v_cmp_gt_u32_e64 s2, 64, v0
	s_ashr_i32 s3, s6, 31
	s_ashr_i32 s15, s15, 31
	s_mul_u64 s[12:13], s[4:5], s[12:13]
	s_lshl_b32 s6, s6, 7
	s_and_saveexec_b32 s5, s2
	s_cbranch_execz .LBB123_4
; %bb.3:
	s_load_b64 s[16:17], s[0:1], 0x8
	s_wait_kmcnt 0x0
	s_mul_i32 s18, s8, s22
	s_ashr_i32 s7, s6, 31
	s_ashr_i32 s19, s18, 31
	v_and_b32_e32 v2, 0x3fc, v0
	s_lshl_b64 s[18:19], s[18:19], 1
	s_delay_alu instid0(VALU_DEP_1) | instskip(SKIP_2) | instid1(SALU_CYCLE_1)
	v_lshl_add_u32 v2, v6, 6, v2
	s_add_nc_u64 s[16:17], s[16:17], s[18:19]
	s_lshl_b64 s[18:19], s[6:7], 1
	s_add_nc_u64 s[16:17], s[16:17], s[18:19]
	global_load_b32 v1, v0, s[16:17] scale_offset
	s_wait_loadcnt 0x0
	ds_store_b32 v2, v1
.LBB123_4:
	s_or_b32 exec_lo, exec_lo, s5
	s_wait_kmcnt 0x0
	s_add_co_i32 s5, s23, 7
	s_load_b32 s7, s[0:1], 0x38
	s_ashr_i32 s8, s5, 31
	s_mul_i32 s12, s13, s14
	s_lshr_b32 s8, s8, 29
	s_sub_co_i32 s4, s4, s12
	s_add_co_i32 s5, s5, s8
	s_xor_b32 s3, s3, s15
	s_ashr_i32 s8, s5, 3
	s_add_co_i32 s5, s13, 1
	s_sub_co_i32 s12, s4, s14
	s_cmp_ge_u32 s4, s14
	v_lshrrev_b32_e32 v1, 5, v0
	s_cselect_b32 s5, s5, s13
	s_cselect_b32 s4, s12, s4
	s_add_co_i32 s12, s5, 1
	s_cmp_ge_u32 s4, s14
	v_mbcnt_lo_u32_b32 v9, -1, 0
	s_cselect_b32 s4, s12, s5
	s_mov_b32 s5, exec_lo
	s_xor_b32 s4, s4, s3
	s_wait_kmcnt 0x0
	s_mul_i32 s12, s7, s22
	s_sub_co_i32 s4, s4, s3
	v_cmp_gt_i32_e64 s3, s8, v1
	s_ashr_i32 s13, s12, 31
	s_wait_dscnt 0x0
	s_barrier_signal -1
	s_barrier_wait -1
                                        ; implicit-def: $vgpr3
                                        ; implicit-def: $vgpr10
	v_cmpx_le_i32_e64 s8, v1
	s_xor_b32 s5, exec_lo, s5
; %bb.5:
	v_dual_mov_b32 v3, 0 :: v_dual_mov_b32 v10, 32
	v_mbcnt_lo_u32_b32 v9, -1, 0
                                        ; implicit-def: $vgpr6
; %bb.6:
	s_or_saveexec_b32 s25, s5
	s_clause 0x1
	s_load_b64 s[14:15], s[0:1], 0x28
	s_load_b32 s7, s[0:1], 0x88
	v_mov_b32_e32 v2, 0xff7fffff
	v_lshrrev_b32_e32 v8, 3, v0
	s_mul_i32 s16, s4, s10
	s_xor_b32 exec_lo, exec_lo, s25
	s_cbranch_execz .LBB123_12
; %bb.7:
	s_load_b64 s[4:5], s[0:1], 0x10
	v_dual_mov_b32 v3, 0 :: v_dual_lshlrev_b32 v4, 6, v6
	v_bfe_u32 v7, v0, 2, 3
	s_ashr_i32 s17, s16, 31
	v_lshlrev_b32_e32 v10, 2, v0
	ds_load_b128 v[16:19], v4
	ds_load_b128 v[24:27], v4 offset:16
	ds_load_b128 v[32:35], v4 offset:32
	;; [unrolled: 1-line block ×3, first 2 shown]
	v_lshlrev_b32_e32 v2, 4, v7
	s_lshl_b64 s[26:27], s[16:17], 1
	s_ashr_i32 s19, s9, 31
	s_cmp_neq_f32 s24, 0
	s_mov_b32 s18, s9
	s_mov_b32 s10, 0
	v_mov_b32_e32 v47, v1
	s_wait_kmcnt 0x0
	s_add_nc_u64 s[4:5], s[4:5], s[26:27]
	s_delay_alu instid0(SALU_CYCLE_1)
	v_add_nc_u64_e32 v[4:5], s[4:5], v[2:3]
	v_and_b32_e32 v2, 12, v10
	s_cselect_b32 s4, -1, 0
	s_lshl_b64 s[26:27], s[12:13], 2
	s_wait_dscnt 0x3
	v_lshlrev_b32_e32 v11, 16, v16
	v_and_b32_e32 v12, 0xffff0000, v16
	s_wait_dscnt 0x0
	v_dual_lshlrev_b32 v37, 16, v41 :: v_dual_lshlrev_b32 v39, 16, v42
	v_add_nc_u64_e32 v[4:5], v[4:5], v[2:3]
	v_xor_b32_e32 v2, 2, v9
	v_and_b32_e32 v38, 0xffff0000, v41
	v_dual_lshlrev_b32 v41, 16, v43 :: v_dual_lshlrev_b32 v13, 16, v17
	v_lshlrev_b32_e32 v15, 16, v18
	s_delay_alu instid0(VALU_DEP_4) | instskip(SKIP_4) | instid1(VALU_DEP_4)
	v_cmp_gt_i32_e32 vcc_lo, 32, v2
	v_xor_b32_e32 v10, 1, v9
	v_and_b32_e32 v14, 0xffff0000, v17
	v_and_b32_e32 v16, 0xffff0000, v18
	v_dual_cndmask_b32 v2, v9, v2 :: v_dual_lshlrev_b32 v17, 16, v19
	v_cmp_gt_i32_e32 vcc_lo, 32, v10
	v_lshlrev_b32_e32 v45, 2, v7
	v_and_b32_e32 v18, 0xffff0000, v19
	v_lshlrev_b32_e32 v19, 16, v24
	v_and_b32_e32 v20, 0xffff0000, v24
	v_dual_lshlrev_b32 v21, 16, v25 :: v_dual_lshlrev_b32 v23, 16, v26
	v_and_b32_e32 v22, 0xffff0000, v25
	v_and_b32_e32 v24, 0xffff0000, v26
	v_lshlrev_b32_e32 v25, 16, v27
	v_and_b32_e32 v26, 0xffff0000, v27
	v_lshlrev_b32_e32 v27, 16, v32
	v_and_b32_e32 v28, 0xffff0000, v32
	v_dual_lshlrev_b32 v29, 16, v33 :: v_dual_lshlrev_b32 v31, 16, v34
	v_and_b32_e32 v30, 0xffff0000, v33
	v_and_b32_e32 v32, 0xffff0000, v34
	v_lshlrev_b32_e32 v33, 16, v35
	v_and_b32_e32 v34, 0xffff0000, v35
	v_lshlrev_b32_e32 v35, 16, v40
	v_and_b32_e32 v36, 0xffff0000, v40
	v_and_b32_e32 v40, 0xffff0000, v42
	;; [unrolled: 1-line block ×3, first 2 shown]
	v_dual_cndmask_b32 v44, v9, v10, vcc_lo :: v_dual_mov_b32 v10, 32
	v_lshlrev_b32_e32 v43, 2, v2
	v_cmp_eq_u32_e32 vcc_lo, 0, v6
	v_lshl_or_b32 v6, v1, 5, v45
	v_and_b32_e32 v2, 0x7c, v8
	s_add_nc_u64 s[26:27], s[14:15], s[26:27]
	v_lshl_or_b32 v45, v1, 3, v7
	v_lshlrev_b32_e32 v44, 2, v44
	v_add_nc_u32_e32 v46, 0x120, v6
	v_add_nc_u64_e32 v[6:7], s[26:27], v[2:3]
	v_mov_b32_e32 v2, 0xff7fffff
	s_sub_co_i32 s17, 1, s23
	s_branch .LBB123_9
.LBB123_8:                              ;   in Loop: Header=BB123_9 Depth=1
	s_or_b32 exec_lo, exec_lo, s26
	v_dual_add_nc_u32 v47, 4, v47 :: v_dual_add_nc_u32 v45, 32, v45
	v_add_nc_u64_e32 v[6:7], 16, v[6:7]
	v_add_nc_u32_e32 v46, 0x80, v46
	s_delay_alu instid0(VALU_DEP_3) | instskip(SKIP_1) | instid1(SALU_CYCLE_1)
	v_cmp_le_i32_e64 s5, s8, v47
	s_or_b32 s10, s5, s10
	s_and_not1_b32 exec_lo, exec_lo, s10
	s_cbranch_execz .LBB123_11
.LBB123_9:                              ; =>This Inner Loop Header: Depth=1
	global_load_b32 v48, v[6:7], off
	s_wait_loadcnt_dscnt 0x0
	v_ashrrev_i32_e32 v49, 31, v48
	s_delay_alu instid0(VALU_DEP_1) | instskip(NEXT) | instid1(VALU_DEP_1)
	v_mul_u64_e32 v[48:49], s[18:19], v[48:49]
	v_lshl_add_u64 v[48:49], v[48:49], 1, v[4:5]
	s_clause 0xf
	global_load_b32 v50, v[48:49], off offset:128
	global_load_b32 v51, v[48:49], off
	global_load_b32 v52, v[48:49], off offset:256
	global_load_b32 v53, v[48:49], off offset:384
	;; [unrolled: 1-line block ×14, first 2 shown]
	s_wait_loadcnt 0xf
	s_wait_xcnt 0x0
	v_lshlrev_b32_e32 v49, 16, v50
	v_and_b32_e32 v50, 0xffff0000, v50
	s_delay_alu instid0(VALU_DEP_1) | instskip(SKIP_1) | instid1(VALU_DEP_1)
	v_dual_mul_f32 v49, v13, v49 :: v_dual_mul_f32 v50, v14, v50
	s_wait_loadcnt 0xe
	v_fma_mix_f32_bf16 v49, v11, v51, v49 op_sel_hi:[0,1,0]
	s_delay_alu instid0(VALU_DEP_2) | instskip(SKIP_1) | instid1(VALU_DEP_2)
	v_fma_mix_f32_bf16 v50, v12, v51, v50 op_sel:[0,1,0] op_sel_hi:[0,1,0]
	s_wait_loadcnt 0xd
	v_fma_mix_f32_bf16 v49, v15, v52, v49 op_sel_hi:[0,1,0]
	s_delay_alu instid0(VALU_DEP_2) | instskip(SKIP_1) | instid1(VALU_DEP_2)
	v_fma_mix_f32_bf16 v50, v16, v52, v50 op_sel:[0,1,0] op_sel_hi:[0,1,0]
	;; [unrolled: 4-line block ×14, first 2 shown]
	s_wait_loadcnt 0x0
	v_fma_mix_f32_bf16 v49, v41, v48, v49 op_sel_hi:[0,1,0]
	s_delay_alu instid0(VALU_DEP_2) | instskip(NEXT) | instid1(VALU_DEP_1)
	v_fma_mix_f32_bf16 v48, v42, v48, v50 op_sel:[0,1,0] op_sel_hi:[0,1,0]
	v_add_f32_e32 v48, v49, v48
	ds_bpermute_b32 v49, v43, v48
	s_wait_dscnt 0x0
	v_add_f32_e32 v48, v48, v49
	ds_bpermute_b32 v49, v44, v48
	s_and_saveexec_b32 s26, vcc_lo
	s_cbranch_execz .LBB123_8
; %bb.10:                               ;   in Loop: Header=BB123_9 Depth=1
	s_wait_dscnt 0x0
	v_add_f32_e32 v48, v48, v49
	v_add_nc_u32_e32 v50, s17, v45
	v_cmp_gt_i32_e64 s5, s23, v45
	s_delay_alu instid0(VALU_DEP_2) | instskip(NEXT) | instid1(VALU_DEP_1)
	v_cvt_f32_i32_e32 v50, v50
	v_mul_f32_e32 v50, s24, v50
	s_delay_alu instid0(VALU_DEP_1) | instskip(NEXT) | instid1(VALU_DEP_1)
	v_cndmask_b32_e64 v49, 0, v50, s4
	v_dual_max_num_f32 v50, v2, v2 :: v_dual_fmac_f32 v49, s11, v48
	s_delay_alu instid0(VALU_DEP_1) | instskip(NEXT) | instid1(VALU_DEP_1)
	v_dual_max_num_f32 v48, v50, v49 :: v_dual_cndmask_b32 v49, 0, v49, s5
	v_cndmask_b32_e64 v2, v2, v48, s5
	ds_store_b32 v46, v49
	s_branch .LBB123_8
.LBB123_11:
	s_or_b32 exec_lo, exec_lo, s10
.LBB123_12:
	s_delay_alu instid0(SALU_CYCLE_1)
	s_or_b32 exec_lo, exec_lo, s25
	v_dual_max_num_f32 v7, v2, v2 :: v_dual_bitop2_b32 v4, 16, v9 bitop3:0x14
	s_clause 0x1
	s_load_b64 s[10:11], s[0:1], 0x0
	s_load_b64 s[18:19], s[0:1], 0x18
	v_xor_b32_e32 v6, 8, v9
	v_and_b32_e32 v34, 31, v0
	v_cmp_lt_i32_e32 vcc_lo, v4, v10
	v_cndmask_b32_e32 v4, v9, v4, vcc_lo
	s_delay_alu instid0(VALU_DEP_4) | instskip(NEXT) | instid1(VALU_DEP_2)
	v_cmp_lt_i32_e32 vcc_lo, v6, v10
	v_lshlrev_b32_e32 v4, 2, v4
	ds_bpermute_b32 v5, v4, v2
	v_cndmask_b32_e32 v2, v9, v6, vcc_lo
	s_wait_dscnt 0x0
	s_delay_alu instid0(VALU_DEP_1) | instskip(NEXT) | instid1(VALU_DEP_1)
	v_dual_max_num_f32 v5, v5, v5 :: v_dual_lshlrev_b32 v2, 2, v2
	v_max_num_f32_e32 v5, v7, v5
	ds_bpermute_b32 v6, v2, v5
	s_wait_dscnt 0x0
	v_dual_max_num_f32 v6, v6, v6 :: v_dual_bitop2_b32 v7, 4, v9 bitop3:0x14
	s_delay_alu instid0(VALU_DEP_1) | instskip(NEXT) | instid1(VALU_DEP_2)
	v_max_num_f32_e32 v6, v5, v6
	v_cmp_lt_i32_e32 vcc_lo, v7, v10
	v_dual_lshlrev_b32 v5, 2, v1 :: v_dual_cndmask_b32 v7, v9, v7, vcc_lo
	v_cmp_eq_u32_e32 vcc_lo, 0, v34
	s_delay_alu instid0(VALU_DEP_2)
	v_lshlrev_b32_e32 v7, 2, v7
	ds_bpermute_b32 v11, v7, v6
	s_wait_xcnt 0x0
	s_and_saveexec_b32 s0, vcc_lo
	s_cbranch_execz .LBB123_14
; %bb.13:
	s_wait_dscnt 0x0
	v_dual_max_num_f32 v11, v11, v11 :: v_dual_max_num_f32 v6, v6, v6
	s_delay_alu instid0(VALU_DEP_1)
	v_max_num_f32_e32 v6, v6, v11
	ds_store_b32 v5, v6 offset:256
.LBB123_14:
	s_or_b32 exec_lo, exec_lo, s0
	v_cmp_gt_u32_e64 s0, 4, v34
	v_mov_b32_e32 v12, 0xff7fffff
	v_lshlrev_b32_e32 v6, 2, v34
	s_wait_dscnt 0x0
	s_barrier_signal -1
	s_barrier_wait -1
	s_and_saveexec_b32 s1, s0
; %bb.15:
	ds_load_b32 v12, v6 offset:256
; %bb.16:
	s_or_b32 exec_lo, exec_lo, s1
	v_xor_b32_e32 v11, 2, v9
	v_dual_lshlrev_b32 v3, 2, v3 :: v_dual_bitop2_b32 v14, 1, v9 bitop3:0x14
	s_delay_alu instid0(VALU_DEP_2) | instskip(NEXT) | instid1(VALU_DEP_1)
	v_cmp_lt_i32_e64 s1, v11, v10
	v_cndmask_b32_e64 v11, v9, v11, s1
	s_delay_alu instid0(VALU_DEP_3) | instskip(NEXT) | instid1(VALU_DEP_1)
	v_cmp_lt_i32_e64 s1, v14, v10
	v_dual_lshlrev_b32 v11, 2, v11 :: v_dual_cndmask_b32 v10, v9, v14, s1
	s_lshl_b32 s1, s8, 3
	s_delay_alu instid0(SALU_CYCLE_1)
	s_min_i32 s5, s1, s23
	s_wait_dscnt 0x0
	ds_bpermute_b32 v13, v11, v12
	v_dual_max_num_f32 v12, v12, v12 :: v_dual_lshlrev_b32 v10, 2, v10
	v_cmp_gt_i32_e64 s1, s5, v0
	s_wait_dscnt 0x0
	v_max_num_f32_e32 v13, v13, v13
	s_delay_alu instid0(VALU_DEP_1) | instskip(SKIP_3) | instid1(VALU_DEP_1)
	v_max_num_f32_e32 v12, v12, v13
	ds_bpermute_b32 v13, v10, v12
	s_wait_dscnt 0x0
	v_max_num_f32_e32 v13, v13, v13
	v_max_num_f32_e32 v12, v12, v13
	ds_bpermute_b32 v12, v3, v12
	v_mov_b32_e32 v3, 0
	s_and_saveexec_b32 s17, s1
	s_cbranch_execz .LBB123_20
; %bb.17:
	v_lshl_add_u32 v13, v0, 2, 0x120
	v_dual_mov_b32 v3, 0 :: v_dual_mov_b32 v14, v0
	s_mov_b32 s24, 0
.LBB123_18:                             ; =>This Inner Loop Header: Depth=1
	ds_load_b32 v15, v13
	v_add_nc_u32_e32 v14, 0x80, v14
	s_delay_alu instid0(VALU_DEP_1) | instskip(SKIP_3) | instid1(VALU_DEP_1)
	v_cmp_le_i32_e64 s4, s5, v14
	s_or_b32 s24, s4, s24
	s_wait_dscnt 0x0
	v_sub_f32_e32 v15, v15, v12
	v_mul_f32_e32 v15, 0x3fb8aa3b, v15
	s_delay_alu instid0(VALU_DEP_1)
	v_exp_f32_e32 v15, v15
	ds_store_b32 v13, v15
	v_nop
	v_add_f32_e32 v3, v3, v15
	v_add_nc_u32_e32 v13, 0x200, v13
	s_and_not1_b32 exec_lo, exec_lo, s24
	s_cbranch_execnz .LBB123_18
; %bb.19:
	s_or_b32 exec_lo, exec_lo, s24
.LBB123_20:
	s_delay_alu instid0(SALU_CYCLE_1)
	s_or_b32 exec_lo, exec_lo, s17
	ds_bpermute_b32 v4, v4, v3
	s_wait_dscnt 0x0
	v_add_f32_e32 v3, v3, v4
	ds_bpermute_b32 v2, v2, v3
	s_wait_dscnt 0x0
	v_add_f32_e32 v2, v3, v2
	;; [unrolled: 3-line block ×5, first 2 shown]
	s_and_saveexec_b32 s4, vcc_lo
; %bb.21:
	ds_store_b32 v5, v2 offset:272
; %bb.22:
	s_or_b32 exec_lo, exec_lo, s4
	s_wait_dscnt 0x0
	s_barrier_signal -1
	s_barrier_wait -1
	s_and_saveexec_b32 s4, s0
; %bb.23:
	ds_load_b32 v2, v6 offset:272
; %bb.24:
	s_or_b32 exec_lo, exec_lo, s4
	s_wait_dscnt 0x0
	ds_bpermute_b32 v3, v11, v2
	s_wait_dscnt 0x0
	v_dual_lshlrev_b32 v4, 2, v9 :: v_dual_add_f32 v2, v2, v3
	ds_bpermute_b32 v3, v10, v2
	s_wait_dscnt 0x0
	v_add_f32_e32 v2, v2, v3
	v_and_b32_e32 v3, 0xffffff80, v4
	ds_bpermute_b32 v2, v3, v2
	s_and_saveexec_b32 s0, s1
	s_cbranch_execz .LBB123_37
; %bb.25:
	s_wait_dscnt 0x0
	v_add_f32_e32 v2, 0x358637bd, v2
	s_mov_b32 s4, -1
	s_mov_b32 s1, exec_lo
	s_delay_alu instid0(VALU_DEP_1) | instskip(NEXT) | instid1(VALU_DEP_1)
	v_div_scale_f32 v3, null, v2, v2, 1.0
	v_rcp_f32_e32 v5, v3
	v_nop
	s_delay_alu instid0(TRANS32_DEP_1) | instskip(NEXT) | instid1(VALU_DEP_1)
	v_fma_f32 v4, -v3, v5, 1.0
	v_fmac_f32_e32 v5, v4, v5
	v_div_scale_f32 v6, vcc_lo, 1.0, v2, 1.0
	s_delay_alu instid0(VALU_DEP_1) | instskip(NEXT) | instid1(VALU_DEP_1)
	v_mul_f32_e32 v7, v6, v5
	v_fma_f32 v4, -v3, v7, v6
	s_delay_alu instid0(VALU_DEP_1) | instskip(SKIP_1) | instid1(VALU_DEP_2)
	v_fmac_f32_e32 v7, v4, v5
	v_xad_u32 v4, v0, -1, s5
	v_fma_f32 v3, -v3, v7, v6
	s_delay_alu instid0(VALU_DEP_1) | instskip(NEXT) | instid1(VALU_DEP_1)
	v_div_fmas_f32 v3, v3, v5, v7
	v_div_fixup_f32 v2, v3, v2, 1.0
	v_mov_b32_e32 v3, v0
	v_cmpx_lt_u32_e32 0x7f, v4
	s_cbranch_execz .LBB123_34
; %bb.26:
	s_delay_alu instid0(VALU_DEP_3) | instskip(NEXT) | instid1(VALU_DEP_1)
	v_dual_mov_b32 v3, v2 :: v_dual_lshrrev_b32 v4, 7, v4
	v_dual_mov_b32 v9, 0 :: v_dual_add_nc_u32 v5, -1, v4
	s_delay_alu instid0(VALU_DEP_1) | instskip(SKIP_1) | instid1(VALU_DEP_2)
	v_lshrrev_b32_e32 v6, 1, v5
	v_cmp_lt_u32_e32 vcc_lo, 13, v5
	v_add_nc_u32_e32 v5, 1, v6
	s_and_saveexec_b32 s4, vcc_lo
	s_cbranch_execz .LBB123_30
; %bb.27:
	s_delay_alu instid0(VALU_DEP_1)
	v_and_b32_e32 v6, -8, v5
	v_lshl_add_u32 v7, v0, 2, 0x120
	s_mov_b32 s17, 0
	s_mov_b32 s24, 0
.LBB123_28:                             ; =>This Inner Loop Header: Depth=1
	ds_load_2addr_stride64_b32 v[10:11], v7 offset1:2
	ds_load_2addr_stride64_b32 v[12:13], v7 offset0:4 offset1:6
	ds_load_2addr_stride64_b32 v[14:15], v7 offset0:8 offset1:10
	;; [unrolled: 1-line block ×7, first 2 shown]
	s_add_co_i32 s24, s24, 16
	s_delay_alu instid0(SALU_CYCLE_1) | instskip(NEXT) | instid1(VALU_DEP_1)
	v_dual_mov_b32 v9, s24 :: v_dual_add_nc_u32 v6, -8, v6
	v_cmp_eq_u32_e32 vcc_lo, 0, v6
	s_or_b32 s17, vcc_lo, s17
	s_wait_dscnt 0x7
	v_pk_mul_f32 v[10:11], v[2:3], v[10:11]
	s_wait_dscnt 0x6
	v_pk_mul_f32 v[12:13], v[2:3], v[12:13]
	s_wait_dscnt 0x5
	v_pk_mul_f32 v[14:15], v[2:3], v[14:15]
	s_wait_dscnt 0x4
	v_pk_mul_f32 v[16:17], v[2:3], v[16:17]
	s_wait_dscnt 0x3
	v_pk_mul_f32 v[18:19], v[2:3], v[18:19]
	s_wait_dscnt 0x2
	v_pk_mul_f32 v[20:21], v[2:3], v[20:21]
	s_wait_dscnt 0x1
	v_pk_mul_f32 v[22:23], v[2:3], v[22:23]
	s_wait_dscnt 0x0
	v_pk_mul_f32 v[24:25], v[2:3], v[24:25]
	ds_store_2addr_stride64_b32 v7, v10, v11 offset1:2
	ds_store_2addr_stride64_b32 v7, v12, v13 offset0:4 offset1:6
	ds_store_2addr_stride64_b32 v7, v14, v15 offset0:8 offset1:10
	;; [unrolled: 1-line block ×7, first 2 shown]
	v_add_nc_u32_e32 v7, 0x2000, v7
	s_and_not1_b32 exec_lo, exec_lo, s17
	s_cbranch_execnz .LBB123_28
; %bb.29:
	s_or_b32 exec_lo, exec_lo, s17
.LBB123_30:
	s_delay_alu instid0(SALU_CYCLE_1) | instskip(NEXT) | instid1(VALU_DEP_1)
	s_or_b32 exec_lo, exec_lo, s4
	v_and_b32_e32 v5, 7, v5
	s_mov_b32 s17, 0
	s_mov_b32 s4, exec_lo
	s_delay_alu instid0(VALU_DEP_1)
	v_cmpx_ne_u32_e32 0, v5
	s_cbranch_execz .LBB123_33
; %bb.31:
	v_dual_lshlrev_b32 v6, 9, v9 :: v_dual_lshlrev_b32 v7, 2, v0
	s_delay_alu instid0(VALU_DEP_1)
	v_add3_u32 v6, v6, v7, 0x120
.LBB123_32:                             ; =>This Inner Loop Header: Depth=1
	ds_load_2addr_stride64_b32 v[10:11], v6 offset1:2
	v_add_nc_u32_e32 v5, -1, v5
	s_delay_alu instid0(VALU_DEP_1)
	v_cmp_eq_u32_e32 vcc_lo, 0, v5
	s_or_b32 s17, vcc_lo, s17
	s_wait_dscnt 0x0
	v_pk_mul_f32 v[10:11], v[2:3], v[10:11]
	ds_store_2addr_stride64_b32 v6, v10, v11 offset1:2
	v_add_nc_u32_e32 v6, 0x400, v6
	s_and_not1_b32 exec_lo, exec_lo, s17
	s_cbranch_execnz .LBB123_32
.LBB123_33:
	s_or_b32 exec_lo, exec_lo, s4
	v_add_nc_u32_e32 v3, 1, v4
	s_delay_alu instid0(VALU_DEP_1) | instskip(NEXT) | instid1(VALU_DEP_1)
	v_and_b32_e32 v4, 0x3fffffe, v3
	v_cmp_ne_u32_e32 vcc_lo, v3, v4
	v_lshl_add_u32 v3, v4, 7, v0
	s_or_not1_b32 s4, vcc_lo, exec_lo
.LBB123_34:
	s_or_b32 exec_lo, exec_lo, s1
	s_delay_alu instid0(SALU_CYCLE_1)
	s_and_b32 exec_lo, exec_lo, s4
	s_cbranch_execz .LBB123_37
; %bb.35:
	v_lshl_add_u32 v4, v3, 2, 0x120
	s_mov_b32 s1, 0
.LBB123_36:                             ; =>This Inner Loop Header: Depth=1
	ds_load_b32 v5, v4
	v_add_nc_u32_e32 v3, 0x80, v3
	s_delay_alu instid0(VALU_DEP_1)
	v_cmp_le_i32_e32 vcc_lo, s5, v3
	s_or_b32 s1, vcc_lo, s1
	s_wait_dscnt 0x0
	v_mul_f32_e32 v5, v2, v5
	ds_store_b32 v4, v5
	v_add_nc_u32_e32 v4, 0x200, v4
	s_and_not1_b32 exec_lo, exec_lo, s1
	s_cbranch_execnz .LBB123_36
.LBB123_37:
	s_or_b32 exec_lo, exec_lo, s0
	v_mov_b64_e32 v[26:27], 0
	v_mov_b64_e32 v[28:29], 0
	s_wait_dscnt 0x0
	s_barrier_signal -1
	s_barrier_wait -1
	s_and_saveexec_b32 s1, s3
	s_cbranch_execz .LBB123_49
; %bb.38:
	s_ashr_i32 s17, s16, 31
	v_dual_mov_b32 v27, 0 :: v_dual_lshlrev_b32 v26, 4, v34
	s_lshl_b64 s[16:17], s[16:17], 1
	s_lshl_b64 s[12:13], s[12:13], 2
	s_wait_kmcnt 0x0
	s_add_nc_u64 s[16:17], s[18:19], s[16:17]
	s_add_nc_u64 s[12:13], s[14:15], s[12:13]
	v_add_nc_u64_e32 v[30:31], s[16:17], v[26:27]
	v_and_b32_e32 v26, 0x7c, v8
	v_lshlrev_b32_e32 v35, 3, v1
	v_lshl_add_u32 v36, v1, 5, 0x120
	v_dual_mov_b32 v29, v27 :: v_dual_mov_b32 v28, v27
	s_delay_alu instid0(VALU_DEP_4)
	v_add_nc_u64_e32 v[32:33], s[12:13], v[26:27]
	v_dual_mov_b32 v26, v27 :: v_dual_mov_b32 v37, v1
	s_ashr_i32 s5, s9, 31
	s_mov_b32 s4, s9
	s_add_co_i32 s3, s8, -1
	s_mov_b32 s12, s23
	s_mov_b32 s9, 0
	s_branch .LBB123_40
.LBB123_39:                             ;   in Loop: Header=BB123_40 Depth=1
	s_or_b32 exec_lo, exec_lo, s0
	s_wait_dscnt 0x1
	v_cvt_pk_bf16_f32 v10, v10, v11
	v_cvt_pk_bf16_f32 v11, v12, v13
	s_wait_dscnt 0x0
	v_cvt_pk_bf16_f32 v6, v6, v7
	v_cvt_pk_bf16_f32 v8, v8, v9
	v_add_nc_u64_e32 v[32:33], 16, v[32:33]
	s_wait_loadcnt 0x1
	v_pk_mul_bf16 v7, v10, v22
	v_pk_mul_bf16 v12, v11, v23
	;; [unrolled: 1-line block ×5, first 2 shown]
	s_delay_alu instid0(VALU_DEP_4)
	v_dual_lshlrev_b32 v13, 16, v7 :: v_dual_lshlrev_b32 v22, 16, v12
	v_and_b32_e32 v7, 0xffff0000, v7
	v_and_b32_e32 v12, 0xffff0000, v12
	v_lshlrev_b32_e32 v24, 16, v9
	v_and_b32_e32 v9, 0xffff0000, v9
	v_pk_mul_bf16 v3, v11, v3
	s_delay_alu instid0(VALU_DEP_4) | instskip(SKIP_3) | instid1(VALU_DEP_3)
	v_dual_add_f32 v7, v13, v7 :: v_dual_add_f32 v12, v22, v12
	v_pk_mul_bf16 v13, v10, v14
	v_pk_mul_bf16 v14, v11, v15
	v_dual_lshlrev_b32 v15, 16, v23 :: v_dual_add_f32 v9, v24, v9
	v_dual_add_f32 v7, v12, v7 :: v_dual_lshlrev_b32 v22, 16, v13
	v_and_b32_e32 v12, 0xffff0000, v23
	v_and_b32_e32 v13, 0xffff0000, v13
	s_delay_alu instid0(VALU_DEP_3) | instskip(SKIP_2) | instid1(VALU_DEP_4)
	v_dual_add_f32 v24, v9, v7 :: v_dual_lshlrev_b32 v23, 16, v14
	v_and_b32_e32 v7, 0xffff0000, v14
	v_pk_mul_bf16 v9, v6, v16
	v_dual_add_f32 v12, v15, v12 :: v_dual_add_f32 v13, v22, v13
	s_delay_alu instid0(VALU_DEP_3) | instskip(NEXT) | instid1(VALU_DEP_3)
	v_dual_lshlrev_b32 v15, 16, v2 :: v_dual_add_f32 v7, v23, v7
	v_lshlrev_b32_e32 v14, 16, v9
	v_and_b32_e32 v9, 0xffff0000, v9
	v_and_b32_e32 v2, 0xffff0000, v2
	s_delay_alu instid0(VALU_DEP_4) | instskip(SKIP_2) | instid1(VALU_DEP_4)
	v_dual_add_f32 v13, v7, v13 :: v_dual_lshlrev_b32 v16, 16, v3
	v_and_b32_e32 v3, 0xffff0000, v3
	v_pk_mul_bf16 v17, v8, v17
	v_dual_add_f32 v14, v14, v9 :: v_dual_add_f32 v2, v15, v2
	v_pk_mul_bf16 v4, v6, v4
	s_delay_alu instid0(VALU_DEP_3) | instskip(SKIP_2) | instid1(VALU_DEP_3)
	v_dual_add_f32 v3, v16, v3 :: v_dual_lshlrev_b32 v15, 16, v17
	v_and_b32_e32 v16, 0xffff0000, v17
	v_pk_mul_bf16 v17, v8, v5
	v_dual_add_f32 v22, v3, v2 :: v_dual_lshlrev_b32 v23, 16, v4
	s_wait_loadcnt 0x0
	v_pk_mul_bf16 v2, v10, v18
	v_and_b32_e32 v10, 0xffff0000, v4
	v_pk_mul_bf16 v4, v11, v19
	v_pk_mul_bf16 v6, v6, v20
	;; [unrolled: 1-line block ×3, first 2 shown]
	v_and_b32_e32 v3, 0xffff0000, v2
	v_lshlrev_b32_e32 v5, 16, v2
	v_and_b32_e32 v2, 0xffff0000, v4
	v_lshlrev_b32_e32 v4, 16, v4
	;; [unrolled: 2-line block ×4, first 2 shown]
	v_pk_add_f32 v[2:3], v[4:5], v[2:3]
	v_dual_add_f32 v10, v23, v10 :: v_dual_lshlrev_b32 v11, 16, v17
	v_and_b32_e32 v17, 0xffff0000, v17
	s_delay_alu instid0(VALU_DEP_4) | instskip(NEXT) | instid1(VALU_DEP_4)
	v_pk_add_f32 v[4:5], v[8:9], v[6:7]
	v_dual_add_f32 v2, v2, v3 :: v_dual_add_f32 v6, v15, v16
	v_add_f32_e32 v3, v14, v13
	s_delay_alu instid0(VALU_DEP_4) | instskip(NEXT) | instid1(VALU_DEP_3)
	v_dual_add_f32 v7, v10, v22 :: v_dual_add_f32 v8, v11, v17
	v_dual_add_f32 v2, v5, v2 :: v_dual_add_f32 v5, v12, v24
	s_delay_alu instid0(VALU_DEP_3) | instskip(NEXT) | instid1(VALU_DEP_3)
	v_dual_add_f32 v3, v6, v3 :: v_dual_add_nc_u32 v37, 4, v37
	v_add_f32_e32 v6, v8, v7
	s_delay_alu instid0(VALU_DEP_3) | instskip(NEXT) | instid1(VALU_DEP_3)
	v_dual_add_f32 v2, v4, v2 :: v_dual_add_f32 v26, v26, v5
	v_add_f32_e32 v29, v29, v3
	s_delay_alu instid0(VALU_DEP_4) | instskip(NEXT) | instid1(VALU_DEP_4)
	v_cmp_le_i32_e32 vcc_lo, s8, v37
	v_add_f32_e32 v28, v28, v6
	s_delay_alu instid0(VALU_DEP_4) | instskip(SKIP_2) | instid1(SALU_CYCLE_1)
	v_dual_add_f32 v27, v27, v2 :: v_dual_add_nc_u32 v35, 32, v35
	v_add_nc_u32_e32 v36, 0x80, v36
	s_or_b32 s9, vcc_lo, s9
	s_and_not1_b32 exec_lo, exec_lo, s9
	s_cbranch_execz .LBB123_48
.LBB123_40:                             ; =>This Inner Loop Header: Depth=1
	global_load_b32 v2, v[32:33], off
	v_cmp_eq_u32_e32 vcc_lo, s3, v37
	v_or_b32_e32 v42, 3, v35
	v_or_b32_e32 v44, 2, v35
	;; [unrolled: 1-line block ×5, first 2 shown]
	v_dual_add_nc_u32 v43, 1, v35 :: v_dual_bitop2_b32 v40, 6, v35 bitop3:0x54
	s_wait_loadcnt 0x0
	v_ashrrev_i32_e32 v3, 31, v2
	s_delay_alu instid0(VALU_DEP_1) | instskip(NEXT) | instid1(VALU_DEP_1)
	v_mul_u64_e32 v[2:3], s[4:5], v[2:3]
	v_lshl_add_u64 v[18:19], v[2:3], 1, v[30:31]
	global_load_b128 v[2:5], v[18:19], off
	ds_load_2addr_b64 v[10:13], v36 offset1:1
	ds_load_2addr_b64 v[6:9], v36 offset0:2 offset1:3
	s_wait_xcnt 0x0
	s_and_saveexec_b32 s13, vcc_lo
	s_cbranch_execnz .LBB123_44
; %bb.41:                               ;   in Loop: Header=BB123_40 Depth=1
	s_or_b32 exec_lo, exec_lo, s13
	global_load_b128 v[14:17], v[18:19], off offset:512
	s_wait_xcnt 0x0
	s_and_saveexec_b32 s13, vcc_lo
	s_cbranch_execnz .LBB123_45
.LBB123_42:                             ;   in Loop: Header=BB123_40 Depth=1
	s_or_b32 exec_lo, exec_lo, s13
	global_load_b128 v[22:25], v[18:19], off offset:1024
	s_wait_xcnt 0x0
	s_and_saveexec_b32 s13, vcc_lo
	s_cbranch_execnz .LBB123_46
.LBB123_43:                             ;   in Loop: Header=BB123_40 Depth=1
	s_or_b32 exec_lo, exec_lo, s13
	global_load_b128 v[18:21], v[18:19], off offset:1536
	s_wait_xcnt 0x0
	s_and_saveexec_b32 s0, vcc_lo
	s_cbranch_execz .LBB123_39
	s_branch .LBB123_47
.LBB123_44:                             ;   in Loop: Header=BB123_40 Depth=1
	v_cmp_gt_i32_e64 s0, s23, v35
	s_wait_loadcnt 0x0
	v_dual_lshrrev_b32 v14, 16, v2 :: v_dual_lshrrev_b32 v16, 16, v4
	s_delay_alu instid0(VALU_DEP_2) | instskip(SKIP_1) | instid1(VALU_DEP_1)
	v_cndmask_b32_e64 v2, 0, v2, s0
	v_cmp_gt_i32_e64 s0, s12, v43
	v_dual_lshrrev_b32 v15, 16, v3 :: v_dual_cndmask_b32 v14, 0, v14, s0
	v_cmp_gt_i32_e64 s0, s23, v44
	s_delay_alu instid0(VALU_DEP_2) | instskip(NEXT) | instid1(VALU_DEP_2)
	v_perm_b32 v2, v14, v2, 0x5040100
	v_cndmask_b32_e64 v3, 0, v3, s0
	v_cmp_gt_i32_e64 s0, s12, v42
	s_delay_alu instid0(VALU_DEP_1) | instskip(SKIP_1) | instid1(VALU_DEP_1)
	v_cndmask_b32_e64 v15, 0, v15, s0
	v_cmp_gt_i32_e64 s0, s23, v41
	v_cndmask_b32_e64 v4, 0, v4, s0
	v_cmp_gt_i32_e64 s0, s12, v39
	v_lshrrev_b32_e32 v17, 16, v5
	v_perm_b32 v3, v15, v3, 0x5040100
	s_delay_alu instid0(VALU_DEP_3) | instskip(SKIP_1) | instid1(VALU_DEP_2)
	v_cndmask_b32_e64 v16, 0, v16, s0
	v_cmp_gt_i32_e64 s0, s23, v40
	v_perm_b32 v4, v16, v4, 0x5040100
	s_delay_alu instid0(VALU_DEP_2) | instskip(SKIP_1) | instid1(VALU_DEP_1)
	v_cndmask_b32_e64 v5, 0, v5, s0
	v_cmp_gt_i32_e64 s0, s12, v38
	v_cndmask_b32_e64 v17, 0, v17, s0
	s_delay_alu instid0(VALU_DEP_1)
	v_perm_b32 v5, v17, v5, 0x5040100
	s_or_b32 exec_lo, exec_lo, s13
	global_load_b128 v[14:17], v[18:19], off offset:512
	s_wait_xcnt 0x0
	s_and_saveexec_b32 s13, vcc_lo
	s_cbranch_execz .LBB123_42
.LBB123_45:                             ;   in Loop: Header=BB123_40 Depth=1
	v_cmp_gt_i32_e64 s0, s23, v35
	s_wait_loadcnt 0x0
	s_delay_alu instid0(VALU_DEP_1) | instskip(SKIP_1) | instid1(VALU_DEP_1)
	v_dual_lshrrev_b32 v20, 16, v14 :: v_dual_cndmask_b32 v14, 0, v14, s0
	v_cmp_gt_i32_e64 s0, s12, v43
	v_dual_lshrrev_b32 v21, 16, v15 :: v_dual_cndmask_b32 v20, 0, v20, s0
	v_cmp_gt_i32_e64 s0, s23, v44
	s_delay_alu instid0(VALU_DEP_2) | instskip(NEXT) | instid1(VALU_DEP_2)
	v_perm_b32 v14, v20, v14, 0x5040100
	v_cndmask_b32_e64 v15, 0, v15, s0
	v_cmp_gt_i32_e64 s0, s12, v42
	s_delay_alu instid0(VALU_DEP_1) | instskip(SKIP_2) | instid1(VALU_DEP_3)
	v_cndmask_b32_e64 v21, 0, v21, s0
	v_cmp_gt_i32_e64 s0, s23, v41
	v_lshrrev_b32_e32 v22, 16, v16
	v_perm_b32 v15, v21, v15, 0x5040100
	s_delay_alu instid0(VALU_DEP_3) | instskip(SKIP_1) | instid1(VALU_DEP_1)
	v_cndmask_b32_e64 v16, 0, v16, s0
	v_cmp_gt_i32_e64 s0, s12, v39
	v_dual_lshrrev_b32 v23, 16, v17 :: v_dual_cndmask_b32 v22, 0, v22, s0
	v_cmp_gt_i32_e64 s0, s23, v40
	s_delay_alu instid0(VALU_DEP_2) | instskip(NEXT) | instid1(VALU_DEP_2)
	v_perm_b32 v16, v22, v16, 0x5040100
	v_cndmask_b32_e64 v17, 0, v17, s0
	v_cmp_gt_i32_e64 s0, s12, v38
	s_delay_alu instid0(VALU_DEP_1) | instskip(NEXT) | instid1(VALU_DEP_1)
	v_cndmask_b32_e64 v23, 0, v23, s0
	v_perm_b32 v17, v23, v17, 0x5040100
	s_or_b32 exec_lo, exec_lo, s13
	global_load_b128 v[22:25], v[18:19], off offset:1024
	s_wait_xcnt 0x0
	s_and_saveexec_b32 s13, vcc_lo
	s_cbranch_execz .LBB123_43
.LBB123_46:                             ;   in Loop: Header=BB123_40 Depth=1
	v_cmp_gt_i32_e64 s0, s23, v35
	s_wait_loadcnt 0x0
	s_delay_alu instid0(VALU_DEP_1) | instskip(SKIP_1) | instid1(VALU_DEP_1)
	v_dual_lshrrev_b32 v20, 16, v22 :: v_dual_cndmask_b32 v21, 0, v22, s0
	v_cmp_gt_i32_e64 s0, s12, v43
	v_dual_lshrrev_b32 v22, 16, v23 :: v_dual_cndmask_b32 v20, 0, v20, s0
	v_cmp_gt_i32_e64 s0, s23, v44
	s_delay_alu instid0(VALU_DEP_1) | instskip(SKIP_1) | instid1(VALU_DEP_1)
	v_cndmask_b32_e64 v23, 0, v23, s0
	v_cmp_gt_i32_e64 s0, s12, v42
	v_cndmask_b32_e64 v45, 0, v22, s0
	v_cmp_gt_i32_e64 s0, s23, v41
	v_lshrrev_b32_e32 v22, 16, v24
	s_delay_alu instid0(VALU_DEP_3) | instskip(NEXT) | instid1(VALU_DEP_3)
	v_perm_b32 v23, v45, v23, 0x5040100
	v_cndmask_b32_e64 v24, 0, v24, s0
	v_cmp_gt_i32_e64 s0, s12, v39
	s_delay_alu instid0(VALU_DEP_1) | instskip(SKIP_2) | instid1(VALU_DEP_3)
	v_dual_lshrrev_b32 v46, 16, v25 :: v_dual_cndmask_b32 v47, 0, v22, s0
	v_cmp_gt_i32_e64 s0, s23, v40
	v_perm_b32 v22, v20, v21, 0x5040100
	v_perm_b32 v24, v47, v24, 0x5040100
	s_delay_alu instid0(VALU_DEP_3) | instskip(SKIP_1) | instid1(VALU_DEP_1)
	v_cndmask_b32_e64 v25, 0, v25, s0
	v_cmp_gt_i32_e64 s0, s12, v38
	v_cndmask_b32_e64 v46, 0, v46, s0
	s_delay_alu instid0(VALU_DEP_1)
	v_perm_b32 v25, v46, v25, 0x5040100
	s_or_b32 exec_lo, exec_lo, s13
	global_load_b128 v[18:21], v[18:19], off offset:1536
	s_wait_xcnt 0x0
	s_and_saveexec_b32 s0, vcc_lo
	s_cbranch_execz .LBB123_39
.LBB123_47:                             ;   in Loop: Header=BB123_40 Depth=1
	v_cmp_gt_i32_e32 vcc_lo, s23, v35
	s_wait_loadcnt 0x0
	v_dual_cndmask_b32 v18, 0, v18 :: v_dual_lshrrev_b32 v45, 16, v18
	v_cmp_gt_i32_e32 vcc_lo, s12, v43
	s_delay_alu instid0(VALU_DEP_2) | instskip(SKIP_1) | instid1(VALU_DEP_2)
	v_dual_cndmask_b32 v43, 0, v45 :: v_dual_lshrrev_b32 v46, 16, v19
	v_cmp_gt_i32_e32 vcc_lo, s23, v44
	v_perm_b32 v18, v43, v18, 0x5040100
	v_cndmask_b32_e32 v19, 0, v19, vcc_lo
	v_cmp_gt_i32_e32 vcc_lo, s12, v42
	v_cndmask_b32_e32 v42, 0, v46, vcc_lo
	v_cmp_gt_i32_e32 vcc_lo, s23, v41
	v_lshrrev_b32_e32 v44, 16, v20
	s_delay_alu instid0(VALU_DEP_3) | instskip(SKIP_2) | instid1(VALU_DEP_4)
	v_perm_b32 v19, v42, v19, 0x5040100
	v_cndmask_b32_e32 v20, 0, v20, vcc_lo
	v_cmp_gt_i32_e32 vcc_lo, s12, v39
	v_dual_lshrrev_b32 v41, 16, v21 :: v_dual_cndmask_b32 v39, 0, v44, vcc_lo
	v_cmp_gt_i32_e32 vcc_lo, s23, v40
	s_delay_alu instid0(VALU_DEP_2) | instskip(SKIP_3) | instid1(VALU_DEP_1)
	v_perm_b32 v20, v39, v20, 0x5040100
	v_cndmask_b32_e32 v21, 0, v21, vcc_lo
	v_cmp_gt_i32_e32 vcc_lo, s12, v38
	v_cndmask_b32_e32 v38, 0, v41, vcc_lo
	v_perm_b32 v21, v38, v21, 0x5040100
	s_branch .LBB123_39
.LBB123_48:
	s_or_b32 exec_lo, exec_lo, s9
.LBB123_49:
	s_delay_alu instid0(SALU_CYCLE_1) | instskip(SKIP_4) | instid1(VALU_DEP_2)
	s_or_b32 exec_lo, exec_lo, s1
	v_lshl_add_u32 v2, v34, 2, 0x120
	v_and_b32_e32 v3, 0x3c0, v0
	s_mov_b32 s0, exec_lo
	s_barrier_signal -1
	v_lshl_add_u32 v1, v1, 9, v2
	s_barrier_wait -1
	v_cmpx_eq_u32_e32 64, v3
	s_cbranch_execz .LBB123_51
; %bb.50:
	s_delay_alu instid0(VALU_DEP_2)
	v_add_nc_u32_e32 v3, 0xfffffc00, v1
	v_add_nc_u32_e32 v4, 0xfffffc80, v1
	;; [unrolled: 1-line block ×4, first 2 shown]
	ds_store_b32 v3, v28
	ds_store_b32 v4, v29
	;; [unrolled: 1-line block ×4, first 2 shown]
.LBB123_51:
	s_or_b32 exec_lo, exec_lo, s0
	s_wait_dscnt 0x0
	s_barrier_signal -1
	s_barrier_wait -1
	s_and_saveexec_b32 s0, s2
	s_cbranch_execz .LBB123_53
; %bb.52:
	ds_load_2addr_b32 v[4:5], v1 offset1:32
	ds_load_2addr_b32 v[6:7], v1 offset0:64 offset1:96
	s_wait_dscnt 0x1
	v_pk_add_f32 v[28:29], v[28:29], v[4:5]
	s_wait_dscnt 0x0
	v_pk_add_f32 v[26:27], v[26:27], v[6:7]
.LBB123_53:
	s_or_b32 exec_lo, exec_lo, s0
	v_and_b32_e32 v3, 0x3e0, v0
	s_mov_b32 s0, exec_lo
	s_barrier_signal -1
	s_barrier_wait -1
	s_delay_alu instid0(VALU_DEP_1)
	v_cmpx_eq_u32_e32 32, v3
	s_cbranch_execz .LBB123_55
; %bb.54:
	ds_store_2addr_b32 v2, v28, v29 offset1:32
	ds_store_2addr_b32 v2, v26, v27 offset0:64 offset1:96
.LBB123_55:
	s_or_b32 exec_lo, exec_lo, s0
	v_cmp_gt_u32_e32 vcc_lo, 32, v0
	s_wait_dscnt 0x0
	s_barrier_signal -1
	s_barrier_wait -1
	s_and_saveexec_b32 s0, vcc_lo
	s_cbranch_execz .LBB123_57
; %bb.56:
	ds_load_2addr_b32 v[2:3], v1 offset1:32
	ds_load_2addr_b32 v[4:5], v1 offset0:64 offset1:96
	s_wait_dscnt 0x1
	v_pk_add_f32 v[28:29], v[28:29], v[2:3]
	s_wait_dscnt 0x0
	v_pk_add_f32 v[26:27], v[26:27], v[4:5]
.LBB123_57:
	s_or_b32 exec_lo, exec_lo, s0
	s_barrier_signal -1
	s_barrier_wait -1
	s_and_saveexec_b32 s0, vcc_lo
	s_cbranch_execz .LBB123_59
; %bb.58:
	s_wait_kmcnt 0x0
	s_mul_i32 s1, s22, s7
	s_bfe_u32 s5, ttmp6, 0x40014
	s_mul_i32 s1, s1, s21
	s_mul_i32 s0, s7, s6
	s_lshl_b32 s2, s1, 7
	s_lshr_b32 s4, ttmp7, 16
	s_add_co_i32 s5, s5, 1
	s_ashr_i32 s3, s2, 31
	s_ashr_i32 s1, s0, 31
	s_mul_i32 s5, s4, s5
	s_bfe_u32 s6, ttmp6, 0x40008
	s_lshl_b64 s[2:3], s[2:3], 1
	s_lshl_b64 s[0:1], s[0:1], 1
	s_add_co_i32 s6, s6, s5
	s_add_nc_u64 s[2:3], s[10:11], s[2:3]
	s_cmp_eq_u32 s20, 0
	s_add_nc_u64 s[0:1], s[2:3], s[0:1]
	s_cselect_b32 s2, s4, s6
	s_mov_b32 s3, 0
	s_lshl_b32 s2, s2, 8
	s_delay_alu instid0(SALU_CYCLE_1) | instskip(NEXT) | instid1(SALU_CYCLE_1)
	s_add_nc_u64 s[0:1], s[0:1], s[2:3]
	v_cvt_pk_bf16_f32 v1, v28, s0
	v_cvt_pk_bf16_f32 v2, v29, s0
	;; [unrolled: 1-line block ×4, first 2 shown]
	s_clause 0x3
	global_store_b16 v0, v1, s[0:1] scale_offset
	global_store_b16 v0, v2, s[0:1] offset:64 scale_offset
	global_store_b16 v0, v3, s[0:1] offset:128 scale_offset
	;; [unrolled: 1-line block ×3, first 2 shown]
.LBB123_59:
	s_sendmsg sendmsg(MSG_DEALLOC_VGPRS)
	s_endpgm
	.section	.rodata,"a",@progbits
	.p2align	6, 0x0
	.amdhsa_kernel _ZN4vllm25paged_attention_v1_kernelI14__hip_bfloat16S1_Li128ELi8ELi128ELNS_18Fp8KVCacheDataTypeE0ELb0EEEvPT_PKS3_PKT0_S9_ifPKiSB_iPKfiiiSD_SD_iiiii
		.amdhsa_group_segment_fixed_size 288
		.amdhsa_private_segment_fixed_size 0
		.amdhsa_kernarg_size 384
		.amdhsa_user_sgpr_count 2
		.amdhsa_user_sgpr_dispatch_ptr 0
		.amdhsa_user_sgpr_queue_ptr 0
		.amdhsa_user_sgpr_kernarg_segment_ptr 1
		.amdhsa_user_sgpr_dispatch_id 0
		.amdhsa_user_sgpr_kernarg_preload_length 0
		.amdhsa_user_sgpr_kernarg_preload_offset 0
		.amdhsa_user_sgpr_private_segment_size 0
		.amdhsa_wavefront_size32 1
		.amdhsa_uses_dynamic_stack 0
		.amdhsa_enable_private_segment 0
		.amdhsa_system_sgpr_workgroup_id_x 1
		.amdhsa_system_sgpr_workgroup_id_y 1
		.amdhsa_system_sgpr_workgroup_id_z 1
		.amdhsa_system_sgpr_workgroup_info 0
		.amdhsa_system_vgpr_workitem_id 0
		.amdhsa_next_free_vgpr 65
		.amdhsa_next_free_sgpr 28
		.amdhsa_named_barrier_count 0
		.amdhsa_reserve_vcc 1
		.amdhsa_float_round_mode_32 0
		.amdhsa_float_round_mode_16_64 0
		.amdhsa_float_denorm_mode_32 3
		.amdhsa_float_denorm_mode_16_64 3
		.amdhsa_fp16_overflow 0
		.amdhsa_memory_ordered 1
		.amdhsa_forward_progress 1
		.amdhsa_inst_pref_size 46
		.amdhsa_round_robin_scheduling 0
		.amdhsa_exception_fp_ieee_invalid_op 0
		.amdhsa_exception_fp_denorm_src 0
		.amdhsa_exception_fp_ieee_div_zero 0
		.amdhsa_exception_fp_ieee_overflow 0
		.amdhsa_exception_fp_ieee_underflow 0
		.amdhsa_exception_fp_ieee_inexact 0
		.amdhsa_exception_int_div_zero 0
	.end_amdhsa_kernel
	.section	.text._ZN4vllm25paged_attention_v1_kernelI14__hip_bfloat16S1_Li128ELi8ELi128ELNS_18Fp8KVCacheDataTypeE0ELb0EEEvPT_PKS3_PKT0_S9_ifPKiSB_iPKfiiiSD_SD_iiiii,"axG",@progbits,_ZN4vllm25paged_attention_v1_kernelI14__hip_bfloat16S1_Li128ELi8ELi128ELNS_18Fp8KVCacheDataTypeE0ELb0EEEvPT_PKS3_PKT0_S9_ifPKiSB_iPKfiiiSD_SD_iiiii,comdat
.Lfunc_end123:
	.size	_ZN4vllm25paged_attention_v1_kernelI14__hip_bfloat16S1_Li128ELi8ELi128ELNS_18Fp8KVCacheDataTypeE0ELb0EEEvPT_PKS3_PKT0_S9_ifPKiSB_iPKfiiiSD_SD_iiiii, .Lfunc_end123-_ZN4vllm25paged_attention_v1_kernelI14__hip_bfloat16S1_Li128ELi8ELi128ELNS_18Fp8KVCacheDataTypeE0ELb0EEEvPT_PKS3_PKT0_S9_ifPKiSB_iPKfiiiSD_SD_iiiii
                                        ; -- End function
	.set _ZN4vllm25paged_attention_v1_kernelI14__hip_bfloat16S1_Li128ELi8ELi128ELNS_18Fp8KVCacheDataTypeE0ELb0EEEvPT_PKS3_PKT0_S9_ifPKiSB_iPKfiiiSD_SD_iiiii.num_vgpr, 65
	.set _ZN4vllm25paged_attention_v1_kernelI14__hip_bfloat16S1_Li128ELi8ELi128ELNS_18Fp8KVCacheDataTypeE0ELb0EEEvPT_PKS3_PKT0_S9_ifPKiSB_iPKfiiiSD_SD_iiiii.num_agpr, 0
	.set _ZN4vllm25paged_attention_v1_kernelI14__hip_bfloat16S1_Li128ELi8ELi128ELNS_18Fp8KVCacheDataTypeE0ELb0EEEvPT_PKS3_PKT0_S9_ifPKiSB_iPKfiiiSD_SD_iiiii.numbered_sgpr, 28
	.set _ZN4vllm25paged_attention_v1_kernelI14__hip_bfloat16S1_Li128ELi8ELi128ELNS_18Fp8KVCacheDataTypeE0ELb0EEEvPT_PKS3_PKT0_S9_ifPKiSB_iPKfiiiSD_SD_iiiii.num_named_barrier, 0
	.set _ZN4vllm25paged_attention_v1_kernelI14__hip_bfloat16S1_Li128ELi8ELi128ELNS_18Fp8KVCacheDataTypeE0ELb0EEEvPT_PKS3_PKT0_S9_ifPKiSB_iPKfiiiSD_SD_iiiii.private_seg_size, 0
	.set _ZN4vllm25paged_attention_v1_kernelI14__hip_bfloat16S1_Li128ELi8ELi128ELNS_18Fp8KVCacheDataTypeE0ELb0EEEvPT_PKS3_PKT0_S9_ifPKiSB_iPKfiiiSD_SD_iiiii.uses_vcc, 1
	.set _ZN4vllm25paged_attention_v1_kernelI14__hip_bfloat16S1_Li128ELi8ELi128ELNS_18Fp8KVCacheDataTypeE0ELb0EEEvPT_PKS3_PKT0_S9_ifPKiSB_iPKfiiiSD_SD_iiiii.uses_flat_scratch, 0
	.set _ZN4vllm25paged_attention_v1_kernelI14__hip_bfloat16S1_Li128ELi8ELi128ELNS_18Fp8KVCacheDataTypeE0ELb0EEEvPT_PKS3_PKT0_S9_ifPKiSB_iPKfiiiSD_SD_iiiii.has_dyn_sized_stack, 0
	.set _ZN4vllm25paged_attention_v1_kernelI14__hip_bfloat16S1_Li128ELi8ELi128ELNS_18Fp8KVCacheDataTypeE0ELb0EEEvPT_PKS3_PKT0_S9_ifPKiSB_iPKfiiiSD_SD_iiiii.has_recursion, 0
	.set _ZN4vllm25paged_attention_v1_kernelI14__hip_bfloat16S1_Li128ELi8ELi128ELNS_18Fp8KVCacheDataTypeE0ELb0EEEvPT_PKS3_PKT0_S9_ifPKiSB_iPKfiiiSD_SD_iiiii.has_indirect_call, 0
	.section	.AMDGPU.csdata,"",@progbits
; Kernel info:
; codeLenInByte = 5812
; TotalNumSgprs: 30
; NumVgprs: 65
; ScratchSize: 0
; MemoryBound: 0
; FloatMode: 240
; IeeeMode: 1
; LDSByteSize: 288 bytes/workgroup (compile time only)
; SGPRBlocks: 0
; VGPRBlocks: 4
; NumSGPRsForWavesPerEU: 30
; NumVGPRsForWavesPerEU: 65
; NamedBarCnt: 0
; Occupancy: 12
; WaveLimiterHint : 1
; COMPUTE_PGM_RSRC2:SCRATCH_EN: 0
; COMPUTE_PGM_RSRC2:USER_SGPR: 2
; COMPUTE_PGM_RSRC2:TRAP_HANDLER: 0
; COMPUTE_PGM_RSRC2:TGID_X_EN: 1
; COMPUTE_PGM_RSRC2:TGID_Y_EN: 1
; COMPUTE_PGM_RSRC2:TGID_Z_EN: 1
; COMPUTE_PGM_RSRC2:TIDIG_COMP_CNT: 0
	.section	.text._ZN4vllm25paged_attention_v1_kernelI14__hip_bfloat16S1_Li192ELi8ELi128ELNS_18Fp8KVCacheDataTypeE0ELb0EEEvPT_PKS3_PKT0_S9_ifPKiSB_iPKfiiiSD_SD_iiiii,"axG",@progbits,_ZN4vllm25paged_attention_v1_kernelI14__hip_bfloat16S1_Li192ELi8ELi128ELNS_18Fp8KVCacheDataTypeE0ELb0EEEvPT_PKS3_PKT0_S9_ifPKiSB_iPKfiiiSD_SD_iiiii,comdat
	.protected	_ZN4vllm25paged_attention_v1_kernelI14__hip_bfloat16S1_Li192ELi8ELi128ELNS_18Fp8KVCacheDataTypeE0ELb0EEEvPT_PKS3_PKT0_S9_ifPKiSB_iPKfiiiSD_SD_iiiii ; -- Begin function _ZN4vllm25paged_attention_v1_kernelI14__hip_bfloat16S1_Li192ELi8ELi128ELNS_18Fp8KVCacheDataTypeE0ELb0EEEvPT_PKS3_PKT0_S9_ifPKiSB_iPKfiiiSD_SD_iiiii
	.globl	_ZN4vllm25paged_attention_v1_kernelI14__hip_bfloat16S1_Li192ELi8ELi128ELNS_18Fp8KVCacheDataTypeE0ELb0EEEvPT_PKS3_PKT0_S9_ifPKiSB_iPKfiiiSD_SD_iiiii
	.p2align	8
	.type	_ZN4vllm25paged_attention_v1_kernelI14__hip_bfloat16S1_Li192ELi8ELi128ELNS_18Fp8KVCacheDataTypeE0ELb0EEEvPT_PKS3_PKT0_S9_ifPKiSB_iPKfiiiSD_SD_iiiii,@function
_ZN4vllm25paged_attention_v1_kernelI14__hip_bfloat16S1_Li192ELi8ELi128ELNS_18Fp8KVCacheDataTypeE0ELb0EEEvPT_PKS3_PKT0_S9_ifPKiSB_iPKfiiiSD_SD_iiiii: ; @_ZN4vllm25paged_attention_v1_kernelI14__hip_bfloat16S1_Li192ELi8ELi128ELNS_18Fp8KVCacheDataTypeE0ELb0EEEvPT_PKS3_PKT0_S9_ifPKiSB_iPKfiiiSD_SD_iiiii
; %bb.0:
	s_load_b64 s[6:7], s[0:1], 0x20
	s_bfe_u32 s3, ttmp6, 0x4000c
	s_bfe_u32 s5, ttmp6, 0x40010
	s_and_b32 s4, ttmp7, 0xffff
	s_add_co_i32 s3, s3, 1
	s_add_co_i32 s5, s5, 1
	s_and_b32 s2, ttmp6, 15
	s_bfe_u32 s8, ttmp6, 0x40004
	s_mul_i32 s3, ttmp9, s3
	s_mul_i32 s5, s4, s5
	s_getreg_b32 s18, hwreg(HW_REG_IB_STS2, 6, 4)
	s_add_co_i32 s2, s2, s3
	s_add_co_i32 s8, s8, s5
	s_cmp_eq_u32 s18, 0
	s_clause 0x1
	s_load_b32 s19, s[0:1], 0x80
	s_load_b64 s[10:11], s[0:1], 0x30
	s_cselect_b32 s20, s4, s8
	s_cselect_b32 s8, ttmp9, s2
	s_wait_kmcnt 0x0
	s_abs_i32 s2, s6
	s_delay_alu instid0(SALU_CYCLE_1) | instskip(SKIP_1) | instid1(SALU_CYCLE_2)
	s_cvt_f32_u32 s3, s2
	s_sub_co_i32 s4, 0, s2
	v_rcp_iflag_f32_e32 v1, s3
	s_abs_i32 s5, s19
	v_nop
	s_delay_alu instid0(TRANS32_DEP_1) | instskip(SKIP_1) | instid1(SALU_CYCLE_3)
	v_readfirstlane_b32 s3, v1
	s_mul_f32 s3, s3, 0x4f7ffffe
	s_cvt_u32_f32 s3, s3
	s_delay_alu instid0(SALU_CYCLE_3) | instskip(NEXT) | instid1(SALU_CYCLE_1)
	s_mul_i32 s4, s4, s3
	s_mul_hi_u32 s4, s3, s4
	s_delay_alu instid0(SALU_CYCLE_1) | instskip(SKIP_4) | instid1(SALU_CYCLE_1)
	s_add_co_i32 s3, s3, s4
	s_xor_b32 s4, s19, s6
	s_mul_hi_u32 s3, s5, s3
	s_ashr_i32 s4, s4, 31
	s_mul_i32 s6, s3, s2
	s_sub_co_i32 s5, s5, s6
	s_add_co_i32 s6, s3, 1
	s_sub_co_i32 s9, s5, s2
	s_cmp_ge_u32 s5, s2
	s_cselect_b32 s3, s6, s3
	s_cselect_b32 s5, s9, s5
	s_add_co_i32 s6, s3, 1
	s_cmp_ge_u32 s5, s2
	s_cselect_b32 s2, s6, s3
	s_mov_b32 s3, 0
	s_xor_b32 s2, s2, s4
	s_mov_b32 s13, s3
	s_sub_co_i32 s15, s2, s4
	s_load_b64 s[4:5], s[0:1], 0x40
	s_abs_i32 s14, s15
	s_mov_b32 s23, s3
	s_cvt_f32_u32 s2, s14
	s_delay_alu instid0(SALU_CYCLE_3) | instskip(SKIP_1) | instid1(TRANS32_DEP_1)
	v_rcp_iflag_f32_e32 v1, s2
	v_nop
	v_readfirstlane_b32 s2, v1
	s_mul_f32 s2, s2, 0x4f7ffffe
	s_delay_alu instid0(SALU_CYCLE_3) | instskip(SKIP_1) | instid1(SALU_CYCLE_2)
	s_cvt_u32_f32 s6, s2
	s_sub_co_i32 s2, 0, s14
	s_mul_i32 s2, s2, s6
	s_delay_alu instid0(SALU_CYCLE_1)
	s_mul_hi_u32 s9, s6, s2
	s_abs_i32 s2, s8
	s_add_co_i32 s12, s6, s9
	s_wait_kmcnt 0x0
	s_cmp_eq_u64 s[4:5], 0
	s_cbranch_scc1 .LBB124_2
; %bb.1:
	s_ashr_i32 s9, s8, 31
	s_delay_alu instid0(SALU_CYCLE_1) | instskip(NEXT) | instid1(SALU_CYCLE_1)
	s_lshl_b64 s[16:17], s[8:9], 2
	s_add_nc_u64 s[4:5], s[4:5], s[16:17]
	s_load_b32 s23, s[4:5], 0x0
.LBB124_2:
	s_load_b32 s21, s[10:11], s20 offset:0x0 scale_offset
	s_wait_xcnt 0x0
	s_load_b96 s[4:6], s[0:1], 0x48
	v_and_b32_e32 v4, 3, v0
	s_ashr_i32 s16, s8, 31
	s_ashr_i32 s15, s15, 31
	s_mul_u64 s[10:11], s[2:3], s[12:13]
	s_mulk_i32 s8, 0xc0
	s_mov_b32 s3, exec_lo
	v_cmpx_gt_u32_e32 0x60, v0
	s_cbranch_execz .LBB124_4
; %bb.3:
	s_load_b64 s[12:13], s[0:1], 0x8
	s_wait_kmcnt 0x0
	s_mul_i32 s24, s4, s20
	s_ashr_i32 s9, s8, 31
	s_ashr_i32 s25, s24, 31
	v_and_b32_e32 v2, 0x3fc, v0
	s_lshl_b64 s[24:25], s[24:25], 1
	s_delay_alu instid0(VALU_DEP_1) | instskip(SKIP_2) | instid1(SALU_CYCLE_1)
	v_mad_u32_u24 v2, 0x60, v4, v2
	s_add_nc_u64 s[12:13], s[12:13], s[24:25]
	s_lshl_b64 s[24:25], s[8:9], 1
	s_add_nc_u64 s[12:13], s[12:13], s[24:25]
	global_load_b32 v1, v0, s[12:13] scale_offset
	s_wait_loadcnt 0x0
	ds_store_b32 v2, v1
.LBB124_4:
	s_or_b32 exec_lo, exec_lo, s3
	s_wait_kmcnt 0x0
	s_add_co_i32 s3, s21, 7
	s_load_b32 s4, s[0:1], 0x38
	s_ashr_i32 s9, s3, 31
	s_mul_i32 s12, s11, s14
	s_lshr_b32 s9, s9, 29
	s_sub_co_i32 s2, s2, s12
	s_add_co_i32 s3, s3, s9
	s_xor_b32 s10, s16, s15
	s_ashr_i32 s22, s3, 3
	s_add_co_i32 s3, s11, 1
	s_sub_co_i32 s9, s2, s14
	s_cmp_ge_u32 s2, s14
	v_lshrrev_b32_e32 v1, 5, v0
	s_cselect_b32 s3, s3, s11
	s_cselect_b32 s2, s9, s2
	s_add_co_i32 s9, s3, 1
	s_cmp_ge_u32 s2, s14
	v_mbcnt_lo_u32_b32 v9, -1, 0
	s_cselect_b32 s2, s9, s3
	s_wait_dscnt 0x0
	s_xor_b32 s2, s2, s10
	s_barrier_signal -1
	s_sub_co_i32 s3, s2, s10
	v_cmp_gt_i32_e64 s2, s22, v1
	s_wait_kmcnt 0x0
	s_mul_i32 s10, s4, s20
	s_mov_b32 s4, exec_lo
	s_ashr_i32 s11, s10, 31
	s_barrier_wait -1
                                        ; implicit-def: $vgpr3
                                        ; implicit-def: $vgpr10
	v_cmpx_le_i32_e64 s22, v1
	s_xor_b32 s4, exec_lo, s4
; %bb.5:
	v_dual_mov_b32 v3, 0 :: v_dual_mov_b32 v10, 32
	v_mbcnt_lo_u32_b32 v9, -1, 0
                                        ; implicit-def: $vgpr4
; %bb.6:
	s_or_saveexec_b32 s24, s4
	s_clause 0x1
	s_load_b64 s[12:13], s[0:1], 0x28
	s_load_b32 s9, s[0:1], 0x88
	v_mov_b32_e32 v2, 0xff7fffff
	v_lshrrev_b32_e32 v8, 3, v0
	s_mul_i32 s14, s3, s6
	s_xor_b32 exec_lo, exec_lo, s24
	s_cbranch_execz .LBB124_12
; %bb.7:
	v_mul_u32_u24_e32 v5, 0x60, v4
	s_load_b64 s[16:17], s[0:1], 0x10
	v_bfe_u32 v10, v0, 2, 3
	s_ashr_i32 s15, s14, 31
	v_dual_mov_b32 v3, 0 :: v_dual_lshlrev_b32 v60, 2, v0
	ds_load_b128 v[16:19], v5
	ds_load_b128 v[24:27], v5 offset:16
	ds_load_b128 v[32:35], v5 offset:32
	;; [unrolled: 1-line block ×5, first 2 shown]
	v_lshlrev_b32_e32 v2, 4, v10
	s_lshl_b64 s[26:27], s[14:15], 1
	s_mov_b32 s6, 0
	v_dual_lshlrev_b32 v62, 2, v10 :: v_dual_bitop2_b32 v5, 2, v9 bitop3:0x14
	v_mov_b32_e32 v63, v1
	s_delay_alu instid0(VALU_DEP_2)
	v_cmp_gt_i32_e32 vcc_lo, 32, v5
	s_wait_kmcnt 0x0
	s_add_nc_u64 s[16:17], s[16:17], s[26:27]
	s_wait_dscnt 0x5
	v_lshlrev_b32_e32 v11, 16, v16
	v_and_b32_e32 v12, 0xffff0000, v16
	v_dual_lshlrev_b32 v13, 16, v17 :: v_dual_lshlrev_b32 v15, 16, v18
	s_wait_dscnt 0x0
	v_dual_lshlrev_b32 v53, 16, v57 :: v_dual_lshlrev_b32 v55, 16, v58
	v_and_b32_e32 v54, 0xffff0000, v57
	v_lshlrev_b32_e32 v57, 16, v59
	v_and_b32_e32 v14, 0xffff0000, v17
	v_and_b32_e32 v16, 0xffff0000, v18
	v_lshlrev_b32_e32 v17, 16, v19
	v_and_b32_e32 v18, 0xffff0000, v19
	v_lshlrev_b32_e32 v19, 16, v24
	v_and_b32_e32 v20, 0xffff0000, v24
	v_dual_lshlrev_b32 v21, 16, v25 :: v_dual_lshlrev_b32 v23, 16, v26
	v_and_b32_e32 v22, 0xffff0000, v25
	v_and_b32_e32 v24, 0xffff0000, v26
	v_lshlrev_b32_e32 v25, 16, v27
	v_and_b32_e32 v26, 0xffff0000, v27
	v_lshlrev_b32_e32 v27, 16, v32
	v_and_b32_e32 v28, 0xffff0000, v32
	v_dual_lshlrev_b32 v29, 16, v33 :: v_dual_lshlrev_b32 v31, 16, v34
	;; [unrolled: 7-line block ×4, first 2 shown]
	v_and_b32_e32 v46, 0xffff0000, v49
	v_and_b32_e32 v48, 0xffff0000, v50
	v_lshlrev_b32_e32 v49, 16, v51
	v_and_b32_e32 v50, 0xffff0000, v51
	v_lshlrev_b32_e32 v51, 16, v56
	v_and_b32_e32 v52, 0xffff0000, v56
	v_and_b32_e32 v56, 0xffff0000, v58
	;; [unrolled: 1-line block ×3, first 2 shown]
	v_xor_b32_e32 v59, 1, v9
	v_add_nc_u64_e32 v[6:7], s[16:17], v[2:3]
	v_dual_cndmask_b32 v60, v9, v5, vcc_lo :: v_dual_bitop2_b32 v2, 12, v60 bitop3:0x40
	s_ashr_i32 s17, s5, 31
	s_delay_alu instid0(VALU_DEP_3)
	v_cmp_gt_i32_e32 vcc_lo, 32, v59
	s_cmp_neq_f32 s23, 0
	s_mov_b32 s16, s5
	v_dual_cndmask_b32 v61, v9, v59, vcc_lo :: v_dual_lshlrev_b32 v59, 2, v60
	v_cmp_eq_u32_e32 vcc_lo, 0, v4
	v_add_nc_u64_e32 v[4:5], v[6:7], v[2:3]
	v_lshl_or_b32 v6, v1, 5, v62
	v_and_b32_e32 v2, 0x7c, v8
	s_cselect_b32 s3, -1, 0
	s_lshl_b64 s[26:27], s[10:11], 2
	v_lshlrev_b32_e32 v60, 2, v61
	s_add_nc_u64 s[26:27], s[12:13], s[26:27]
	v_add_nc_u32_e32 v62, 0x1a0, v6
	v_add_nc_u64_e32 v[6:7], s[26:27], v[2:3]
	v_lshl_or_b32 v61, v1, 3, v10
	v_mov_b32_e32 v10, 32
	v_mov_b32_e32 v2, 0xff7fffff
	s_sub_co_i32 s15, 1, s21
	s_branch .LBB124_9
.LBB124_8:                              ;   in Loop: Header=BB124_9 Depth=1
	s_or_b32 exec_lo, exec_lo, s25
	v_dual_add_nc_u32 v63, 4, v63 :: v_dual_add_nc_u32 v61, 32, v61
	v_add_nc_u64_e32 v[6:7], 16, v[6:7]
	v_add_nc_u32_e32 v62, 0x80, v62
	s_delay_alu instid0(VALU_DEP_3) | instskip(SKIP_1) | instid1(SALU_CYCLE_1)
	v_cmp_le_i32_e64 s4, s22, v63
	s_or_b32 s6, s4, s6
	s_and_not1_b32 exec_lo, exec_lo, s6
	s_cbranch_execz .LBB124_11
.LBB124_9:                              ; =>This Inner Loop Header: Depth=1
	global_load_b32 v64, v[6:7], off
	s_wait_loadcnt_dscnt 0x0
	v_ashrrev_i32_e32 v65, 31, v64
	s_delay_alu instid0(VALU_DEP_1) | instskip(NEXT) | instid1(VALU_DEP_1)
	v_mul_u64_e32 v[64:65], s[16:17], v[64:65]
	v_lshl_add_u64 v[64:65], v[64:65], 1, v[4:5]
	s_clause 0x17
	global_load_b32 v66, v[64:65], off offset:128
	global_load_b32 v67, v[64:65], off offset:256
	;; [unrolled: 1-line block ×7, first 2 shown]
	global_load_b32 v73, v[64:65], off
	global_load_b32 v74, v[64:65], off offset:1024
	global_load_b32 v75, v[64:65], off offset:1152
	;; [unrolled: 1-line block ×16, first 2 shown]
	s_wait_loadcnt 0x17
	s_wait_xcnt 0x0
	v_lshlrev_b32_e32 v65, 16, v66
	v_and_b32_e32 v66, 0xffff0000, v66
	s_delay_alu instid0(VALU_DEP_1) | instskip(SKIP_1) | instid1(VALU_DEP_1)
	v_dual_mul_f32 v65, v13, v65 :: v_dual_mul_f32 v66, v14, v66
	s_wait_loadcnt 0x10
	v_fma_mix_f32_bf16 v65, v11, v73, v65 op_sel_hi:[0,1,0]
	s_delay_alu instid0(VALU_DEP_2) | instskip(NEXT) | instid1(VALU_DEP_2)
	v_fma_mix_f32_bf16 v66, v12, v73, v66 op_sel:[0,1,0] op_sel_hi:[0,1,0]
	v_fma_mix_f32_bf16 v65, v15, v67, v65 op_sel_hi:[0,1,0]
	s_delay_alu instid0(VALU_DEP_2) | instskip(NEXT) | instid1(VALU_DEP_2)
	v_fma_mix_f32_bf16 v66, v16, v67, v66 op_sel:[0,1,0] op_sel_hi:[0,1,0]
	;; [unrolled: 3-line block ×6, first 2 shown]
	v_fma_mix_f32_bf16 v65, v25, v72, v65 op_sel_hi:[0,1,0]
	s_delay_alu instid0(VALU_DEP_2) | instskip(SKIP_1) | instid1(VALU_DEP_2)
	v_fma_mix_f32_bf16 v66, v26, v72, v66 op_sel:[0,1,0] op_sel_hi:[0,1,0]
	s_wait_loadcnt 0xf
	v_fma_mix_f32_bf16 v65, v27, v74, v65 op_sel_hi:[0,1,0]
	s_delay_alu instid0(VALU_DEP_2) | instskip(SKIP_1) | instid1(VALU_DEP_2)
	v_fma_mix_f32_bf16 v66, v28, v74, v66 op_sel:[0,1,0] op_sel_hi:[0,1,0]
	s_wait_loadcnt 0xe
	;; [unrolled: 4-line block ×16, first 2 shown]
	v_fma_mix_f32_bf16 v65, v57, v64, v65 op_sel_hi:[0,1,0]
	s_delay_alu instid0(VALU_DEP_2) | instskip(NEXT) | instid1(VALU_DEP_1)
	v_fma_mix_f32_bf16 v64, v58, v64, v66 op_sel:[0,1,0] op_sel_hi:[0,1,0]
	v_add_f32_e32 v64, v65, v64
	ds_bpermute_b32 v65, v59, v64
	s_wait_dscnt 0x0
	v_add_f32_e32 v64, v64, v65
	ds_bpermute_b32 v65, v60, v64
	s_and_saveexec_b32 s25, vcc_lo
	s_cbranch_execz .LBB124_8
; %bb.10:                               ;   in Loop: Header=BB124_9 Depth=1
	s_wait_dscnt 0x0
	v_add_f32_e32 v64, v64, v65
	v_add_nc_u32_e32 v66, s15, v61
	v_cmp_gt_i32_e64 s4, s21, v61
	s_delay_alu instid0(VALU_DEP_2) | instskip(NEXT) | instid1(VALU_DEP_1)
	v_cvt_f32_i32_e32 v66, v66
	v_mul_f32_e32 v66, s23, v66
	s_delay_alu instid0(VALU_DEP_1) | instskip(NEXT) | instid1(VALU_DEP_1)
	v_cndmask_b32_e64 v65, 0, v66, s3
	v_dual_max_num_f32 v66, v2, v2 :: v_dual_fmac_f32 v65, s7, v64
	s_delay_alu instid0(VALU_DEP_1) | instskip(NEXT) | instid1(VALU_DEP_1)
	v_dual_max_num_f32 v64, v66, v65 :: v_dual_cndmask_b32 v65, 0, v65, s4
	v_cndmask_b32_e64 v2, v2, v64, s4
	ds_store_b32 v62, v65
	s_branch .LBB124_8
.LBB124_11:
	s_or_b32 exec_lo, exec_lo, s6
.LBB124_12:
	s_delay_alu instid0(SALU_CYCLE_1)
	s_or_b32 exec_lo, exec_lo, s24
	v_dual_max_num_f32 v7, v2, v2 :: v_dual_bitop2_b32 v4, 16, v9 bitop3:0x14
	s_clause 0x1
	s_load_b64 s[6:7], s[0:1], 0x0
	s_load_b64 s[16:17], s[0:1], 0x18
	v_xor_b32_e32 v6, 8, v9
	v_and_b32_e32 v44, 31, v0
	v_cmp_lt_i32_e32 vcc_lo, v4, v10
	v_cndmask_b32_e32 v4, v9, v4, vcc_lo
	s_delay_alu instid0(VALU_DEP_4) | instskip(NEXT) | instid1(VALU_DEP_2)
	v_cmp_lt_i32_e32 vcc_lo, v6, v10
	v_lshlrev_b32_e32 v4, 2, v4
	ds_bpermute_b32 v5, v4, v2
	v_cndmask_b32_e32 v2, v9, v6, vcc_lo
	s_wait_dscnt 0x0
	s_delay_alu instid0(VALU_DEP_1) | instskip(NEXT) | instid1(VALU_DEP_1)
	v_dual_max_num_f32 v5, v5, v5 :: v_dual_lshlrev_b32 v2, 2, v2
	v_max_num_f32_e32 v5, v7, v5
	ds_bpermute_b32 v6, v2, v5
	s_wait_dscnt 0x0
	v_dual_max_num_f32 v6, v6, v6 :: v_dual_bitop2_b32 v7, 4, v9 bitop3:0x14
	s_delay_alu instid0(VALU_DEP_1) | instskip(NEXT) | instid1(VALU_DEP_2)
	v_max_num_f32_e32 v6, v5, v6
	v_cmp_lt_i32_e32 vcc_lo, v7, v10
	v_dual_lshlrev_b32 v5, 2, v1 :: v_dual_cndmask_b32 v7, v9, v7, vcc_lo
	v_cmp_eq_u32_e32 vcc_lo, 0, v44
	s_delay_alu instid0(VALU_DEP_2)
	v_lshlrev_b32_e32 v7, 2, v7
	ds_bpermute_b32 v11, v7, v6
	s_wait_xcnt 0x0
	s_and_saveexec_b32 s0, vcc_lo
	s_cbranch_execz .LBB124_14
; %bb.13:
	s_wait_dscnt 0x0
	v_dual_max_num_f32 v11, v11, v11 :: v_dual_max_num_f32 v6, v6, v6
	s_delay_alu instid0(VALU_DEP_1)
	v_max_num_f32_e32 v6, v6, v11
	ds_store_b32 v5, v6 offset:384
.LBB124_14:
	s_or_b32 exec_lo, exec_lo, s0
	v_cmp_gt_u32_e64 s0, 4, v44
	v_mov_b32_e32 v12, 0xff7fffff
	v_lshlrev_b32_e32 v6, 2, v44
	s_wait_dscnt 0x0
	s_barrier_signal -1
	s_barrier_wait -1
	s_and_saveexec_b32 s1, s0
; %bb.15:
	ds_load_b32 v12, v6 offset:384
; %bb.16:
	s_or_b32 exec_lo, exec_lo, s1
	v_xor_b32_e32 v11, 2, v9
	v_dual_lshlrev_b32 v3, 2, v3 :: v_dual_bitop2_b32 v14, 1, v9 bitop3:0x14
	s_delay_alu instid0(VALU_DEP_2) | instskip(NEXT) | instid1(VALU_DEP_1)
	v_cmp_lt_i32_e64 s1, v11, v10
	v_cndmask_b32_e64 v11, v9, v11, s1
	s_delay_alu instid0(VALU_DEP_3) | instskip(NEXT) | instid1(VALU_DEP_1)
	v_cmp_lt_i32_e64 s1, v14, v10
	v_dual_lshlrev_b32 v11, 2, v11 :: v_dual_cndmask_b32 v10, v9, v14, s1
	s_lshl_b32 s1, s22, 3
	s_delay_alu instid0(SALU_CYCLE_1)
	s_min_i32 s4, s1, s21
	s_wait_dscnt 0x0
	ds_bpermute_b32 v13, v11, v12
	v_dual_max_num_f32 v12, v12, v12 :: v_dual_lshlrev_b32 v10, 2, v10
	v_cmp_gt_i32_e64 s1, s4, v0
	s_wait_dscnt 0x0
	v_max_num_f32_e32 v13, v13, v13
	s_delay_alu instid0(VALU_DEP_1) | instskip(SKIP_3) | instid1(VALU_DEP_1)
	v_max_num_f32_e32 v12, v12, v13
	ds_bpermute_b32 v13, v10, v12
	s_wait_dscnt 0x0
	v_max_num_f32_e32 v13, v13, v13
	v_max_num_f32_e32 v12, v12, v13
	ds_bpermute_b32 v12, v3, v12
	v_mov_b32_e32 v3, 0
	s_and_saveexec_b32 s15, s1
	s_cbranch_execz .LBB124_20
; %bb.17:
	v_lshl_add_u32 v13, v0, 2, 0x1a0
	v_dual_mov_b32 v3, 0 :: v_dual_mov_b32 v14, v0
	s_mov_b32 s23, 0
.LBB124_18:                             ; =>This Inner Loop Header: Depth=1
	ds_load_b32 v15, v13
	v_add_nc_u32_e32 v14, 0x80, v14
	s_delay_alu instid0(VALU_DEP_1) | instskip(SKIP_3) | instid1(VALU_DEP_1)
	v_cmp_le_i32_e64 s3, s4, v14
	s_or_b32 s23, s3, s23
	s_wait_dscnt 0x0
	v_sub_f32_e32 v15, v15, v12
	v_mul_f32_e32 v15, 0x3fb8aa3b, v15
	s_delay_alu instid0(VALU_DEP_1)
	v_exp_f32_e32 v15, v15
	ds_store_b32 v13, v15
	v_nop
	v_add_f32_e32 v3, v3, v15
	v_add_nc_u32_e32 v13, 0x200, v13
	s_and_not1_b32 exec_lo, exec_lo, s23
	s_cbranch_execnz .LBB124_18
; %bb.19:
	s_or_b32 exec_lo, exec_lo, s23
.LBB124_20:
	s_delay_alu instid0(SALU_CYCLE_1)
	s_or_b32 exec_lo, exec_lo, s15
	ds_bpermute_b32 v4, v4, v3
	s_wait_dscnt 0x0
	v_add_f32_e32 v3, v3, v4
	ds_bpermute_b32 v2, v2, v3
	s_wait_dscnt 0x0
	v_add_f32_e32 v2, v3, v2
	ds_bpermute_b32 v3, v7, v2
	s_wait_dscnt 0x0
	v_add_f32_e32 v2, v2, v3
	ds_bpermute_b32 v3, v11, v2
	s_wait_dscnt 0x0
	v_add_f32_e32 v2, v2, v3
	ds_bpermute_b32 v3, v10, v2
	s_wait_dscnt 0x0
	v_add_f32_e32 v2, v2, v3
	s_and_saveexec_b32 s3, vcc_lo
; %bb.21:
	ds_store_b32 v5, v2 offset:400
; %bb.22:
	s_or_b32 exec_lo, exec_lo, s3
	s_wait_dscnt 0x0
	s_barrier_signal -1
	s_barrier_wait -1
	s_and_saveexec_b32 s3, s0
; %bb.23:
	ds_load_b32 v2, v6 offset:400
; %bb.24:
	s_or_b32 exec_lo, exec_lo, s3
	s_wait_dscnt 0x0
	ds_bpermute_b32 v3, v11, v2
	s_wait_dscnt 0x0
	v_dual_lshlrev_b32 v4, 2, v9 :: v_dual_add_f32 v2, v2, v3
	ds_bpermute_b32 v3, v10, v2
	s_wait_dscnt 0x0
	v_add_f32_e32 v2, v2, v3
	v_and_b32_e32 v3, 0xffffff80, v4
	ds_bpermute_b32 v2, v3, v2
	s_and_saveexec_b32 s0, s1
	s_cbranch_execz .LBB124_37
; %bb.25:
	s_wait_dscnt 0x0
	v_add_f32_e32 v2, 0x358637bd, v2
	s_mov_b32 s3, -1
	s_mov_b32 s1, exec_lo
	s_delay_alu instid0(VALU_DEP_1) | instskip(NEXT) | instid1(VALU_DEP_1)
	v_div_scale_f32 v3, null, v2, v2, 1.0
	v_rcp_f32_e32 v5, v3
	v_nop
	s_delay_alu instid0(TRANS32_DEP_1) | instskip(NEXT) | instid1(VALU_DEP_1)
	v_fma_f32 v4, -v3, v5, 1.0
	v_fmac_f32_e32 v5, v4, v5
	v_div_scale_f32 v6, vcc_lo, 1.0, v2, 1.0
	s_delay_alu instid0(VALU_DEP_1) | instskip(NEXT) | instid1(VALU_DEP_1)
	v_mul_f32_e32 v7, v6, v5
	v_fma_f32 v4, -v3, v7, v6
	s_delay_alu instid0(VALU_DEP_1) | instskip(SKIP_1) | instid1(VALU_DEP_2)
	v_fmac_f32_e32 v7, v4, v5
	v_xad_u32 v4, v0, -1, s4
	v_fma_f32 v3, -v3, v7, v6
	s_delay_alu instid0(VALU_DEP_1) | instskip(NEXT) | instid1(VALU_DEP_1)
	v_div_fmas_f32 v3, v3, v5, v7
	v_div_fixup_f32 v2, v3, v2, 1.0
	v_mov_b32_e32 v3, v0
	v_cmpx_lt_u32_e32 0x7f, v4
	s_cbranch_execz .LBB124_34
; %bb.26:
	s_delay_alu instid0(VALU_DEP_3) | instskip(NEXT) | instid1(VALU_DEP_1)
	v_dual_mov_b32 v3, v2 :: v_dual_lshrrev_b32 v4, 7, v4
	v_dual_mov_b32 v9, 0 :: v_dual_add_nc_u32 v5, -1, v4
	s_delay_alu instid0(VALU_DEP_1) | instskip(SKIP_1) | instid1(VALU_DEP_2)
	v_lshrrev_b32_e32 v6, 1, v5
	v_cmp_lt_u32_e32 vcc_lo, 13, v5
	v_add_nc_u32_e32 v5, 1, v6
	s_and_saveexec_b32 s3, vcc_lo
	s_cbranch_execz .LBB124_30
; %bb.27:
	s_delay_alu instid0(VALU_DEP_1)
	v_and_b32_e32 v6, -8, v5
	v_lshl_add_u32 v7, v0, 2, 0x1a0
	s_mov_b32 s15, 0
	s_mov_b32 s23, 0
.LBB124_28:                             ; =>This Inner Loop Header: Depth=1
	ds_load_2addr_stride64_b32 v[10:11], v7 offset1:2
	ds_load_2addr_stride64_b32 v[12:13], v7 offset0:4 offset1:6
	ds_load_2addr_stride64_b32 v[14:15], v7 offset0:8 offset1:10
	;; [unrolled: 1-line block ×7, first 2 shown]
	s_add_co_i32 s23, s23, 16
	s_delay_alu instid0(SALU_CYCLE_1) | instskip(NEXT) | instid1(VALU_DEP_1)
	v_dual_mov_b32 v9, s23 :: v_dual_add_nc_u32 v6, -8, v6
	v_cmp_eq_u32_e32 vcc_lo, 0, v6
	s_or_b32 s15, vcc_lo, s15
	s_wait_dscnt 0x7
	v_pk_mul_f32 v[10:11], v[2:3], v[10:11]
	s_wait_dscnt 0x6
	v_pk_mul_f32 v[12:13], v[2:3], v[12:13]
	;; [unrolled: 2-line block ×8, first 2 shown]
	ds_store_2addr_stride64_b32 v7, v10, v11 offset1:2
	ds_store_2addr_stride64_b32 v7, v12, v13 offset0:4 offset1:6
	ds_store_2addr_stride64_b32 v7, v14, v15 offset0:8 offset1:10
	;; [unrolled: 1-line block ×7, first 2 shown]
	v_add_nc_u32_e32 v7, 0x2000, v7
	s_and_not1_b32 exec_lo, exec_lo, s15
	s_cbranch_execnz .LBB124_28
; %bb.29:
	s_or_b32 exec_lo, exec_lo, s15
.LBB124_30:
	s_delay_alu instid0(SALU_CYCLE_1) | instskip(NEXT) | instid1(VALU_DEP_1)
	s_or_b32 exec_lo, exec_lo, s3
	v_and_b32_e32 v5, 7, v5
	s_mov_b32 s15, 0
	s_mov_b32 s3, exec_lo
	s_delay_alu instid0(VALU_DEP_1)
	v_cmpx_ne_u32_e32 0, v5
	s_cbranch_execz .LBB124_33
; %bb.31:
	v_dual_lshlrev_b32 v6, 9, v9 :: v_dual_lshlrev_b32 v7, 2, v0
	s_delay_alu instid0(VALU_DEP_1)
	v_add3_u32 v6, v6, v7, 0x1a0
.LBB124_32:                             ; =>This Inner Loop Header: Depth=1
	ds_load_2addr_stride64_b32 v[10:11], v6 offset1:2
	v_add_nc_u32_e32 v5, -1, v5
	s_delay_alu instid0(VALU_DEP_1)
	v_cmp_eq_u32_e32 vcc_lo, 0, v5
	s_or_b32 s15, vcc_lo, s15
	s_wait_dscnt 0x0
	v_pk_mul_f32 v[10:11], v[2:3], v[10:11]
	ds_store_2addr_stride64_b32 v6, v10, v11 offset1:2
	v_add_nc_u32_e32 v6, 0x400, v6
	s_and_not1_b32 exec_lo, exec_lo, s15
	s_cbranch_execnz .LBB124_32
.LBB124_33:
	s_or_b32 exec_lo, exec_lo, s3
	v_add_nc_u32_e32 v3, 1, v4
	s_delay_alu instid0(VALU_DEP_1) | instskip(NEXT) | instid1(VALU_DEP_1)
	v_and_b32_e32 v4, 0x3fffffe, v3
	v_cmp_ne_u32_e32 vcc_lo, v3, v4
	v_lshl_add_u32 v3, v4, 7, v0
	s_or_not1_b32 s3, vcc_lo, exec_lo
.LBB124_34:
	s_or_b32 exec_lo, exec_lo, s1
	s_delay_alu instid0(SALU_CYCLE_1)
	s_and_b32 exec_lo, exec_lo, s3
	s_cbranch_execz .LBB124_37
; %bb.35:
	v_lshl_add_u32 v4, v3, 2, 0x1a0
	s_mov_b32 s1, 0
.LBB124_36:                             ; =>This Inner Loop Header: Depth=1
	ds_load_b32 v5, v4
	v_add_nc_u32_e32 v3, 0x80, v3
	s_delay_alu instid0(VALU_DEP_1)
	v_cmp_le_i32_e32 vcc_lo, s4, v3
	s_or_b32 s1, vcc_lo, s1
	s_wait_dscnt 0x0
	v_mul_f32_e32 v5, v2, v5
	ds_store_b32 v4, v5
	v_add_nc_u32_e32 v4, 0x200, v4
	s_and_not1_b32 exec_lo, exec_lo, s1
	s_cbranch_execnz .LBB124_36
.LBB124_37:
	s_or_b32 exec_lo, exec_lo, s0
	v_mov_b64_e32 v[34:35], 0
	v_mov_b64_e32 v[36:37], 0
	;; [unrolled: 1-line block ×3, first 2 shown]
	s_wait_dscnt 0x0
	s_barrier_signal -1
	s_barrier_wait -1
	s_and_saveexec_b32 s1, s2
	s_cbranch_execz .LBB124_53
; %bb.38:
	s_ashr_i32 s15, s14, 31
	v_dual_mov_b32 v35, 0 :: v_dual_lshlrev_b32 v34, 4, v44
	s_lshl_b64 s[14:15], s[14:15], 1
	s_ashr_i32 s3, s5, 31
	s_wait_kmcnt 0x0
	s_add_nc_u64 s[14:15], s[16:17], s[14:15]
	s_mov_b32 s2, s5
	v_add_nc_u64_e32 v[40:41], s[14:15], v[34:35]
	v_and_b32_e32 v34, 0x7c, v8
	s_lshl_b64 s[4:5], s[10:11], 2
	v_lshlrev_b32_e32 v45, 3, v1
	s_add_nc_u64 s[4:5], s[12:13], s[4:5]
	v_lshl_add_u32 v46, v1, 5, 0x1a0
	v_add_nc_u64_e32 v[42:43], s[4:5], v[34:35]
	v_dual_mov_b32 v34, v35 :: v_dual_mov_b32 v37, v35
	v_dual_mov_b32 v36, v35 :: v_dual_mov_b32 v39, v35
	v_dual_mov_b32 v38, v35 :: v_dual_mov_b32 v47, v1
	s_add_co_i32 s4, s22, -1
	s_mov_b32 s10, s21
	s_mov_b32 s5, 0
	s_branch .LBB124_40
.LBB124_39:                             ;   in Loop: Header=BB124_40 Depth=1
	s_or_b32 exec_lo, exec_lo, s0
	s_wait_dscnt 0x1
	v_cvt_pk_bf16_f32 v14, v14, v15
	v_cvt_pk_bf16_f32 v15, v16, v17
	s_wait_dscnt 0x0
	v_cvt_pk_bf16_f32 v10, v10, v11
	v_cvt_pk_bf16_f32 v12, v12, v13
	v_add_nc_u64_e32 v[42:43], 16, v[42:43]
	s_wait_loadcnt 0x1
	v_pk_mul_bf16 v11, v14, v30
	v_pk_mul_bf16 v16, v15, v31
	;; [unrolled: 1-line block ×5, first 2 shown]
	s_delay_alu instid0(VALU_DEP_4)
	v_dual_lshlrev_b32 v17, 16, v11 :: v_dual_lshlrev_b32 v30, 16, v16
	v_and_b32_e32 v11, 0xffff0000, v11
	v_and_b32_e32 v16, 0xffff0000, v16
	v_lshlrev_b32_e32 v32, 16, v13
	v_and_b32_e32 v13, 0xffff0000, v13
	v_pk_mul_bf16 v18, v14, v18
	s_delay_alu instid0(VALU_DEP_4) | instskip(SKIP_3) | instid1(VALU_DEP_3)
	v_dual_add_f32 v11, v17, v11 :: v_dual_add_f32 v16, v30, v16
	v_pk_mul_bf16 v17, v14, v22
	v_pk_mul_bf16 v22, v15, v23
	v_dual_lshlrev_b32 v23, 16, v31 :: v_dual_add_f32 v13, v32, v13
	v_dual_add_f32 v11, v16, v11 :: v_dual_lshlrev_b32 v30, 16, v17
	v_and_b32_e32 v16, 0xffff0000, v31
	v_and_b32_e32 v17, 0xffff0000, v17
	v_lshlrev_b32_e32 v31, 16, v22
	v_and_b32_e32 v22, 0xffff0000, v22
	s_delay_alu instid0(VALU_DEP_4) | instskip(NEXT) | instid1(VALU_DEP_4)
	v_dual_add_f32 v11, v13, v11 :: v_dual_add_f32 v13, v23, v16
	v_add_f32_e32 v16, v30, v17
	v_and_b32_e32 v23, 0xffff0000, v24
	s_delay_alu instid0(VALU_DEP_4)
	v_add_f32_e32 v17, v31, v22
	v_pk_mul_bf16 v19, v15, v19
	v_lshlrev_b32_e32 v22, 16, v24
	v_pk_mul_bf16 v24, v12, v25
	v_pk_mul_bf16 v20, v10, v20
	v_add_f32_e32 v16, v17, v16
	v_add_f32_e32 v11, v13, v11
	v_dual_add_f32 v17, v22, v23 :: v_dual_lshlrev_b32 v22, 16, v18
	v_lshlrev_b32_e32 v25, 16, v24
	v_and_b32_e32 v18, 0xffff0000, v18
	v_lshlrev_b32_e32 v23, 16, v19
	v_and_b32_e32 v19, 0xffff0000, v19
	v_and_b32_e32 v24, 0xffff0000, v24
	v_add_f32_e32 v34, v34, v11
	v_dual_add_f32 v18, v22, v18 :: v_dual_lshlrev_b32 v22, 16, v20
	s_delay_alu instid0(VALU_DEP_4) | instskip(SKIP_4) | instid1(VALU_DEP_4)
	v_add_f32_e32 v19, v23, v19
	v_and_b32_e32 v20, 0xffff0000, v20
	v_add_f32_e32 v13, v17, v16
	v_add_f32_e32 v16, v25, v24
	v_pk_mul_bf16 v11, v12, v21
	v_dual_add_f32 v17, v19, v18 :: v_dual_add_f32 v18, v22, v20
	v_pk_mul_bf16 v6, v14, v6
	v_pk_mul_bf16 v7, v15, v7
	v_add_f32_e32 v13, v16, v13
	v_pk_mul_bf16 v2, v14, v2
	v_dual_add_f32 v16, v18, v17 :: v_dual_lshlrev_b32 v17, 16, v11
	v_and_b32_e32 v11, 0xffff0000, v11
	v_dual_lshlrev_b32 v18, 16, v6 :: v_dual_lshlrev_b32 v19, 16, v7
	v_and_b32_e32 v6, 0xffff0000, v6
	v_and_b32_e32 v7, 0xffff0000, v7
	v_pk_mul_bf16 v3, v15, v3
	v_add_f32_e32 v11, v17, v11
	v_pk_mul_bf16 v8, v10, v8
	s_delay_alu instid0(VALU_DEP_4) | instskip(NEXT) | instid1(VALU_DEP_4)
	v_dual_add_f32 v6, v18, v6 :: v_dual_add_f32 v7, v19, v7
	v_dual_lshlrev_b32 v18, 16, v2 :: v_dual_lshlrev_b32 v19, 16, v3
	v_and_b32_e32 v2, 0xffff0000, v2
	v_and_b32_e32 v3, 0xffff0000, v3
	v_pk_mul_bf16 v9, v12, v9
	v_pk_mul_bf16 v4, v10, v4
	s_delay_alu instid0(VALU_DEP_4) | instskip(NEXT) | instid1(VALU_DEP_4)
	v_dual_add_f32 v2, v18, v2 :: v_dual_lshlrev_b32 v17, 16, v8
	v_add_f32_e32 v3, v19, v3
	v_and_b32_e32 v8, 0xffff0000, v8
	v_dual_lshlrev_b32 v18, 16, v9 :: v_dual_add_f32 v20, v7, v6
	v_pk_mul_bf16 v21, v12, v5
	s_delay_alu instid0(VALU_DEP_4)
	v_add_f32_e32 v22, v3, v2
	s_wait_loadcnt 0x0
	v_pk_mul_bf16 v2, v14, v26
	v_lshlrev_b32_e32 v23, 16, v4
	v_and_b32_e32 v14, 0xffff0000, v4
	v_pk_mul_bf16 v4, v15, v27
	v_add_f32_e32 v17, v17, v8
	v_pk_mul_bf16 v6, v10, v28
	v_pk_mul_bf16 v8, v12, v29
	v_and_b32_e32 v3, 0xffff0000, v2
	v_lshlrev_b32_e32 v5, 16, v2
	v_and_b32_e32 v2, 0xffff0000, v4
	v_lshlrev_b32_e32 v4, 16, v4
	v_and_b32_e32 v19, 0xffff0000, v9
	v_and_b32_e32 v7, 0xffff0000, v6
	v_lshlrev_b32_e32 v9, 16, v6
	v_and_b32_e32 v6, 0xffff0000, v8
	v_dual_lshlrev_b32 v8, 16, v8 :: v_dual_add_f32 v10, v23, v14
	v_pk_add_f32 v[2:3], v[4:5], v[2:3]
	v_lshlrev_b32_e32 v12, 16, v21
	v_and_b32_e32 v14, 0xffff0000, v21
	s_delay_alu instid0(VALU_DEP_4) | instskip(SKIP_4) | instid1(VALU_DEP_3)
	v_pk_add_f32 v[4:5], v[8:9], v[6:7]
	v_add_f32_e32 v6, v18, v19
	v_dual_add_f32 v2, v2, v3 :: v_dual_add_f32 v3, v17, v20
	v_dual_add_f32 v7, v10, v22 :: v_dual_add_f32 v37, v37, v13
	v_add_f32_e32 v8, v12, v14
	v_dual_add_f32 v2, v5, v2 :: v_dual_add_f32 v3, v6, v3
	v_dual_add_nc_u32 v47, 4, v47 :: v_dual_add_f32 v5, v11, v16
	s_delay_alu instid0(VALU_DEP_2) | instskip(NEXT) | instid1(VALU_DEP_4)
	v_dual_add_f32 v2, v4, v2 :: v_dual_add_nc_u32 v45, 32, v45
	v_add_f32_e32 v6, v8, v7
	s_delay_alu instid0(VALU_DEP_3) | instskip(NEXT) | instid1(VALU_DEP_4)
	v_cmp_le_i32_e32 vcc_lo, s22, v47
	v_dual_add_f32 v36, v36, v5 :: v_dual_add_f32 v39, v39, v3
	s_delay_alu instid0(VALU_DEP_4) | instskip(NEXT) | instid1(VALU_DEP_4)
	v_add_f32_e32 v35, v35, v2
	v_add_f32_e32 v38, v38, v6
	v_add_nc_u32_e32 v46, 0x80, v46
	s_or_b32 s5, vcc_lo, s5
	s_delay_alu instid0(SALU_CYCLE_1)
	s_and_not1_b32 exec_lo, exec_lo, s5
	s_cbranch_execz .LBB124_52
.LBB124_40:                             ; =>This Inner Loop Header: Depth=1
	global_load_b32 v2, v[42:43], off
	v_cmp_eq_u32_e32 vcc_lo, s4, v47
	v_or_b32_e32 v52, 3, v45
	v_or_b32_e32 v54, 2, v45
	;; [unrolled: 1-line block ×5, first 2 shown]
	v_dual_add_nc_u32 v53, 1, v45 :: v_dual_bitop2_b32 v50, 6, v45 bitop3:0x54
	s_wait_loadcnt 0x0
	v_ashrrev_i32_e32 v3, 31, v2
	s_delay_alu instid0(VALU_DEP_1) | instskip(NEXT) | instid1(VALU_DEP_1)
	v_mul_u64_e32 v[2:3], s[2:3], v[2:3]
	v_lshl_add_u64 v[26:27], v[2:3], 1, v[40:41]
	global_load_b128 v[2:5], v[26:27], off
	ds_load_2addr_b64 v[14:17], v46 offset1:1
	ds_load_2addr_b64 v[10:13], v46 offset0:2 offset1:3
	s_wait_xcnt 0x0
	s_and_saveexec_b32 s11, vcc_lo
	s_cbranch_execnz .LBB124_46
; %bb.41:                               ;   in Loop: Header=BB124_40 Depth=1
	s_or_b32 exec_lo, exec_lo, s11
	global_load_b128 v[6:9], v[26:27], off offset:512
	s_wait_xcnt 0x0
	s_and_saveexec_b32 s11, vcc_lo
	s_cbranch_execnz .LBB124_47
.LBB124_42:                             ;   in Loop: Header=BB124_40 Depth=1
	s_or_b32 exec_lo, exec_lo, s11
	global_load_b128 v[18:21], v[26:27], off offset:1024
	s_wait_xcnt 0x0
	s_and_saveexec_b32 s11, vcc_lo
	s_cbranch_execnz .LBB124_48
.LBB124_43:                             ;   in Loop: Header=BB124_40 Depth=1
	s_or_b32 exec_lo, exec_lo, s11
	global_load_b128 v[22:25], v[26:27], off offset:1536
	s_wait_xcnt 0x0
	s_and_saveexec_b32 s11, vcc_lo
	s_cbranch_execnz .LBB124_49
.LBB124_44:                             ;   in Loop: Header=BB124_40 Depth=1
	s_or_b32 exec_lo, exec_lo, s11
	global_load_b128 v[30:33], v[26:27], off offset:2048
	s_wait_xcnt 0x0
	s_and_saveexec_b32 s11, vcc_lo
	s_cbranch_execnz .LBB124_50
.LBB124_45:                             ;   in Loop: Header=BB124_40 Depth=1
	s_or_b32 exec_lo, exec_lo, s11
	global_load_b128 v[26:29], v[26:27], off offset:2560
	s_wait_xcnt 0x0
	s_and_saveexec_b32 s0, vcc_lo
	s_cbranch_execz .LBB124_39
	s_branch .LBB124_51
.LBB124_46:                             ;   in Loop: Header=BB124_40 Depth=1
	v_cmp_gt_i32_e64 s0, s21, v45
	s_wait_loadcnt 0x0
	v_dual_lshrrev_b32 v6, 16, v2 :: v_dual_lshrrev_b32 v8, 16, v4
	s_delay_alu instid0(VALU_DEP_2) | instskip(SKIP_1) | instid1(VALU_DEP_1)
	v_cndmask_b32_e64 v2, 0, v2, s0
	v_cmp_gt_i32_e64 s0, s10, v53
	v_dual_lshrrev_b32 v7, 16, v3 :: v_dual_cndmask_b32 v6, 0, v6, s0
	v_cmp_gt_i32_e64 s0, s21, v54
	s_delay_alu instid0(VALU_DEP_2) | instskip(NEXT) | instid1(VALU_DEP_2)
	v_perm_b32 v2, v6, v2, 0x5040100
	v_cndmask_b32_e64 v3, 0, v3, s0
	v_cmp_gt_i32_e64 s0, s10, v52
	s_delay_alu instid0(VALU_DEP_1) | instskip(SKIP_1) | instid1(VALU_DEP_1)
	v_cndmask_b32_e64 v7, 0, v7, s0
	v_cmp_gt_i32_e64 s0, s21, v51
	v_cndmask_b32_e64 v4, 0, v4, s0
	v_cmp_gt_i32_e64 s0, s10, v49
	v_lshrrev_b32_e32 v9, 16, v5
	v_perm_b32 v3, v7, v3, 0x5040100
	s_delay_alu instid0(VALU_DEP_3) | instskip(SKIP_1) | instid1(VALU_DEP_2)
	v_cndmask_b32_e64 v8, 0, v8, s0
	v_cmp_gt_i32_e64 s0, s21, v50
	v_perm_b32 v4, v8, v4, 0x5040100
	s_delay_alu instid0(VALU_DEP_2) | instskip(SKIP_1) | instid1(VALU_DEP_1)
	v_cndmask_b32_e64 v5, 0, v5, s0
	v_cmp_gt_i32_e64 s0, s10, v48
	v_cndmask_b32_e64 v9, 0, v9, s0
	s_delay_alu instid0(VALU_DEP_1)
	v_perm_b32 v5, v9, v5, 0x5040100
	s_or_b32 exec_lo, exec_lo, s11
	global_load_b128 v[6:9], v[26:27], off offset:512
	s_wait_xcnt 0x0
	s_and_saveexec_b32 s11, vcc_lo
	s_cbranch_execz .LBB124_42
.LBB124_47:                             ;   in Loop: Header=BB124_40 Depth=1
	v_cmp_gt_i32_e64 s0, s21, v45
	s_wait_loadcnt 0x0
	v_dual_lshrrev_b32 v18, 16, v6 :: v_dual_lshrrev_b32 v20, 16, v8
	s_delay_alu instid0(VALU_DEP_2) | instskip(SKIP_1) | instid1(VALU_DEP_1)
	v_cndmask_b32_e64 v6, 0, v6, s0
	v_cmp_gt_i32_e64 s0, s10, v53
	v_dual_lshrrev_b32 v19, 16, v7 :: v_dual_cndmask_b32 v18, 0, v18, s0
	v_cmp_gt_i32_e64 s0, s21, v54
	s_delay_alu instid0(VALU_DEP_2) | instskip(NEXT) | instid1(VALU_DEP_2)
	v_perm_b32 v6, v18, v6, 0x5040100
	v_cndmask_b32_e64 v7, 0, v7, s0
	v_cmp_gt_i32_e64 s0, s10, v52
	s_delay_alu instid0(VALU_DEP_1) | instskip(SKIP_1) | instid1(VALU_DEP_1)
	v_cndmask_b32_e64 v19, 0, v19, s0
	v_cmp_gt_i32_e64 s0, s21, v51
	v_cndmask_b32_e64 v8, 0, v8, s0
	v_cmp_gt_i32_e64 s0, s10, v49
	v_lshrrev_b32_e32 v21, 16, v9
	v_perm_b32 v7, v19, v7, 0x5040100
	s_delay_alu instid0(VALU_DEP_3) | instskip(SKIP_1) | instid1(VALU_DEP_2)
	v_cndmask_b32_e64 v20, 0, v20, s0
	v_cmp_gt_i32_e64 s0, s21, v50
	v_perm_b32 v8, v20, v8, 0x5040100
	s_delay_alu instid0(VALU_DEP_2) | instskip(SKIP_1) | instid1(VALU_DEP_1)
	v_cndmask_b32_e64 v9, 0, v9, s0
	v_cmp_gt_i32_e64 s0, s10, v48
	v_cndmask_b32_e64 v21, 0, v21, s0
	s_delay_alu instid0(VALU_DEP_1)
	v_perm_b32 v9, v21, v9, 0x5040100
	s_or_b32 exec_lo, exec_lo, s11
	global_load_b128 v[18:21], v[26:27], off offset:1024
	s_wait_xcnt 0x0
	s_and_saveexec_b32 s11, vcc_lo
	s_cbranch_execz .LBB124_43
.LBB124_48:                             ;   in Loop: Header=BB124_40 Depth=1
	v_cmp_gt_i32_e64 s0, s21, v45
	s_wait_loadcnt 0x0
	v_dual_lshrrev_b32 v22, 16, v18 :: v_dual_lshrrev_b32 v24, 16, v20
	s_delay_alu instid0(VALU_DEP_2) | instskip(SKIP_1) | instid1(VALU_DEP_1)
	v_cndmask_b32_e64 v18, 0, v18, s0
	v_cmp_gt_i32_e64 s0, s10, v53
	v_dual_lshrrev_b32 v23, 16, v19 :: v_dual_cndmask_b32 v22, 0, v22, s0
	v_cmp_gt_i32_e64 s0, s21, v54
	s_delay_alu instid0(VALU_DEP_2) | instskip(NEXT) | instid1(VALU_DEP_2)
	v_perm_b32 v18, v22, v18, 0x5040100
	v_cndmask_b32_e64 v19, 0, v19, s0
	v_cmp_gt_i32_e64 s0, s10, v52
	s_delay_alu instid0(VALU_DEP_1) | instskip(SKIP_1) | instid1(VALU_DEP_1)
	v_cndmask_b32_e64 v23, 0, v23, s0
	v_cmp_gt_i32_e64 s0, s21, v51
	v_cndmask_b32_e64 v20, 0, v20, s0
	v_cmp_gt_i32_e64 s0, s10, v49
	v_lshrrev_b32_e32 v25, 16, v21
	v_perm_b32 v19, v23, v19, 0x5040100
	s_delay_alu instid0(VALU_DEP_3) | instskip(SKIP_1) | instid1(VALU_DEP_2)
	v_cndmask_b32_e64 v24, 0, v24, s0
	v_cmp_gt_i32_e64 s0, s21, v50
	v_perm_b32 v20, v24, v20, 0x5040100
	s_delay_alu instid0(VALU_DEP_2) | instskip(SKIP_1) | instid1(VALU_DEP_1)
	v_cndmask_b32_e64 v21, 0, v21, s0
	v_cmp_gt_i32_e64 s0, s10, v48
	v_cndmask_b32_e64 v25, 0, v25, s0
	s_delay_alu instid0(VALU_DEP_1)
	v_perm_b32 v21, v25, v21, 0x5040100
	s_or_b32 exec_lo, exec_lo, s11
	global_load_b128 v[22:25], v[26:27], off offset:1536
	s_wait_xcnt 0x0
	s_and_saveexec_b32 s11, vcc_lo
	s_cbranch_execz .LBB124_44
.LBB124_49:                             ;   in Loop: Header=BB124_40 Depth=1
	v_cmp_gt_i32_e64 s0, s21, v45
	s_wait_loadcnt 0x0
	s_delay_alu instid0(VALU_DEP_1) | instskip(SKIP_1) | instid1(VALU_DEP_1)
	v_dual_lshrrev_b32 v28, 16, v22 :: v_dual_cndmask_b32 v22, 0, v22, s0
	v_cmp_gt_i32_e64 s0, s10, v53
	v_dual_lshrrev_b32 v29, 16, v23 :: v_dual_cndmask_b32 v28, 0, v28, s0
	v_cmp_gt_i32_e64 s0, s21, v54
	s_delay_alu instid0(VALU_DEP_2) | instskip(NEXT) | instid1(VALU_DEP_2)
	v_perm_b32 v22, v28, v22, 0x5040100
	v_cndmask_b32_e64 v23, 0, v23, s0
	v_cmp_gt_i32_e64 s0, s10, v52
	s_delay_alu instid0(VALU_DEP_1) | instskip(SKIP_2) | instid1(VALU_DEP_3)
	v_cndmask_b32_e64 v29, 0, v29, s0
	v_cmp_gt_i32_e64 s0, s21, v51
	v_lshrrev_b32_e32 v30, 16, v24
	v_perm_b32 v23, v29, v23, 0x5040100
	s_delay_alu instid0(VALU_DEP_3) | instskip(SKIP_1) | instid1(VALU_DEP_1)
	v_cndmask_b32_e64 v24, 0, v24, s0
	v_cmp_gt_i32_e64 s0, s10, v49
	v_dual_lshrrev_b32 v31, 16, v25 :: v_dual_cndmask_b32 v30, 0, v30, s0
	v_cmp_gt_i32_e64 s0, s21, v50
	s_delay_alu instid0(VALU_DEP_2) | instskip(NEXT) | instid1(VALU_DEP_2)
	v_perm_b32 v24, v30, v24, 0x5040100
	v_cndmask_b32_e64 v25, 0, v25, s0
	v_cmp_gt_i32_e64 s0, s10, v48
	s_delay_alu instid0(VALU_DEP_1) | instskip(NEXT) | instid1(VALU_DEP_1)
	v_cndmask_b32_e64 v31, 0, v31, s0
	v_perm_b32 v25, v31, v25, 0x5040100
	s_or_b32 exec_lo, exec_lo, s11
	global_load_b128 v[30:33], v[26:27], off offset:2048
	s_wait_xcnt 0x0
	s_and_saveexec_b32 s11, vcc_lo
	s_cbranch_execz .LBB124_45
.LBB124_50:                             ;   in Loop: Header=BB124_40 Depth=1
	v_cmp_gt_i32_e64 s0, s21, v45
	s_wait_loadcnt 0x0
	s_delay_alu instid0(VALU_DEP_1) | instskip(SKIP_1) | instid1(VALU_DEP_1)
	v_dual_lshrrev_b32 v28, 16, v30 :: v_dual_cndmask_b32 v29, 0, v30, s0
	v_cmp_gt_i32_e64 s0, s10, v53
	v_dual_lshrrev_b32 v30, 16, v31 :: v_dual_cndmask_b32 v28, 0, v28, s0
	v_cmp_gt_i32_e64 s0, s21, v54
	s_delay_alu instid0(VALU_DEP_1) | instskip(SKIP_1) | instid1(VALU_DEP_1)
	v_cndmask_b32_e64 v31, 0, v31, s0
	v_cmp_gt_i32_e64 s0, s10, v52
	v_cndmask_b32_e64 v55, 0, v30, s0
	v_cmp_gt_i32_e64 s0, s21, v51
	v_lshrrev_b32_e32 v30, 16, v32
	s_delay_alu instid0(VALU_DEP_3) | instskip(NEXT) | instid1(VALU_DEP_3)
	v_perm_b32 v31, v55, v31, 0x5040100
	v_cndmask_b32_e64 v32, 0, v32, s0
	v_cmp_gt_i32_e64 s0, s10, v49
	s_delay_alu instid0(VALU_DEP_1) | instskip(SKIP_2) | instid1(VALU_DEP_3)
	v_dual_lshrrev_b32 v56, 16, v33 :: v_dual_cndmask_b32 v57, 0, v30, s0
	v_cmp_gt_i32_e64 s0, s21, v50
	v_perm_b32 v30, v28, v29, 0x5040100
	v_perm_b32 v32, v57, v32, 0x5040100
	s_delay_alu instid0(VALU_DEP_3) | instskip(SKIP_1) | instid1(VALU_DEP_1)
	v_cndmask_b32_e64 v33, 0, v33, s0
	v_cmp_gt_i32_e64 s0, s10, v48
	v_cndmask_b32_e64 v56, 0, v56, s0
	s_delay_alu instid0(VALU_DEP_1)
	v_perm_b32 v33, v56, v33, 0x5040100
	s_or_b32 exec_lo, exec_lo, s11
	global_load_b128 v[26:29], v[26:27], off offset:2560
	s_wait_xcnt 0x0
	s_and_saveexec_b32 s0, vcc_lo
	s_cbranch_execz .LBB124_39
.LBB124_51:                             ;   in Loop: Header=BB124_40 Depth=1
	v_cmp_gt_i32_e32 vcc_lo, s21, v45
	s_wait_loadcnt 0x0
	v_dual_cndmask_b32 v26, 0, v26 :: v_dual_lshrrev_b32 v55, 16, v26
	v_cmp_gt_i32_e32 vcc_lo, s10, v53
	s_delay_alu instid0(VALU_DEP_2) | instskip(SKIP_3) | instid1(VALU_DEP_2)
	v_cndmask_b32_e32 v53, 0, v55, vcc_lo
	v_cmp_gt_i32_e32 vcc_lo, s21, v54
	v_dual_cndmask_b32 v27, 0, v27 :: v_dual_lshrrev_b32 v56, 16, v27
	v_cmp_gt_i32_e32 vcc_lo, s10, v52
	v_cndmask_b32_e32 v52, 0, v56, vcc_lo
	v_cmp_gt_i32_e32 vcc_lo, s21, v51
	v_lshrrev_b32_e32 v54, 16, v28
	v_perm_b32 v26, v53, v26, 0x5040100
	s_delay_alu instid0(VALU_DEP_4) | instskip(SKIP_4) | instid1(VALU_DEP_2)
	v_perm_b32 v27, v52, v27, 0x5040100
	v_cndmask_b32_e32 v28, 0, v28, vcc_lo
	v_cmp_gt_i32_e32 vcc_lo, s10, v49
	v_dual_lshrrev_b32 v51, 16, v29 :: v_dual_cndmask_b32 v49, 0, v54, vcc_lo
	v_cmp_gt_i32_e32 vcc_lo, s21, v50
	v_perm_b32 v28, v49, v28, 0x5040100
	v_cndmask_b32_e32 v29, 0, v29, vcc_lo
	v_cmp_gt_i32_e32 vcc_lo, s10, v48
	v_cndmask_b32_e32 v48, 0, v51, vcc_lo
	s_delay_alu instid0(VALU_DEP_1)
	v_perm_b32 v29, v48, v29, 0x5040100
	s_branch .LBB124_39
.LBB124_52:
	s_or_b32 exec_lo, exec_lo, s5
.LBB124_53:
	s_delay_alu instid0(SALU_CYCLE_1) | instskip(SKIP_4) | instid1(VALU_DEP_2)
	s_or_b32 exec_lo, exec_lo, s1
	v_lshl_add_u32 v2, v44, 2, 0x1a0
	v_and_b32_e32 v3, 0x3c0, v0
	s_mov_b32 s0, exec_lo
	s_barrier_signal -1
	v_mad_u32_u24 v1, 0x300, v1, v2
	s_barrier_wait -1
	v_cmpx_eq_u32_e32 64, v3
	s_cbranch_execz .LBB124_55
; %bb.54:
	s_delay_alu instid0(VALU_DEP_2)
	v_add_nc_u32_e32 v3, 0xfffffa00, v1
	v_add_nc_u32_e32 v4, 0xfffffa80, v1
	;; [unrolled: 1-line block ×6, first 2 shown]
	ds_store_b32 v3, v38
	ds_store_b32 v4, v39
	;; [unrolled: 1-line block ×6, first 2 shown]
.LBB124_55:
	s_or_b32 exec_lo, exec_lo, s0
	s_delay_alu instid0(SALU_CYCLE_1)
	s_mov_b32 s0, exec_lo
	s_wait_dscnt 0x0
	s_barrier_signal -1
	s_barrier_wait -1
	v_cmpx_gt_u32_e32 64, v0
	s_cbranch_execz .LBB124_57
; %bb.56:
	ds_load_2addr_b32 v[4:5], v1 offset1:32
	ds_load_2addr_b32 v[6:7], v1 offset0:64 offset1:96
	ds_load_2addr_b32 v[8:9], v1 offset0:128 offset1:160
	s_wait_dscnt 0x2
	v_pk_add_f32 v[38:39], v[38:39], v[4:5]
	s_wait_dscnt 0x1
	v_pk_add_f32 v[36:37], v[36:37], v[6:7]
	;; [unrolled: 2-line block ×3, first 2 shown]
.LBB124_57:
	s_or_b32 exec_lo, exec_lo, s0
	v_and_b32_e32 v3, 0x3e0, v0
	s_mov_b32 s0, exec_lo
	s_barrier_signal -1
	s_barrier_wait -1
	s_delay_alu instid0(VALU_DEP_1)
	v_cmpx_eq_u32_e32 32, v3
	s_cbranch_execz .LBB124_59
; %bb.58:
	ds_store_2addr_b32 v2, v38, v39 offset1:32
	ds_store_2addr_b32 v2, v36, v37 offset0:64 offset1:96
	ds_store_2addr_b32 v2, v34, v35 offset0:128 offset1:160
.LBB124_59:
	s_or_b32 exec_lo, exec_lo, s0
	v_cmp_gt_u32_e32 vcc_lo, 32, v0
	s_wait_dscnt 0x0
	s_barrier_signal -1
	s_barrier_wait -1
	s_and_saveexec_b32 s0, vcc_lo
	s_cbranch_execz .LBB124_61
; %bb.60:
	ds_load_2addr_b32 v[2:3], v1 offset1:32
	ds_load_2addr_b32 v[4:5], v1 offset0:64 offset1:96
	ds_load_2addr_b32 v[6:7], v1 offset0:128 offset1:160
	s_wait_dscnt 0x2
	v_pk_add_f32 v[38:39], v[38:39], v[2:3]
	s_wait_dscnt 0x1
	v_pk_add_f32 v[36:37], v[36:37], v[4:5]
	;; [unrolled: 2-line block ×3, first 2 shown]
.LBB124_61:
	s_or_b32 exec_lo, exec_lo, s0
	s_barrier_signal -1
	s_barrier_wait -1
	s_and_saveexec_b32 s0, vcc_lo
	s_cbranch_execz .LBB124_63
; %bb.62:
	s_wait_kmcnt 0x0
	s_mul_i32 s1, s20, s9
	s_bfe_u32 s5, ttmp6, 0x40014
	s_mul_i32 s1, s1, s19
	s_mul_i32 s0, s9, s8
	;; [unrolled: 1-line block ×3, first 2 shown]
	s_lshr_b32 s4, ttmp7, 16
	s_ashr_i32 s3, s2, 31
	s_add_co_i32 s5, s5, 1
	s_lshl_b64 s[2:3], s[2:3], 1
	s_ashr_i32 s1, s0, 31
	s_add_nc_u64 s[2:3], s[6:7], s[2:3]
	s_mul_i32 s5, s4, s5
	s_bfe_u32 s6, ttmp6, 0x40008
	s_lshl_b64 s[0:1], s[0:1], 1
	s_add_co_i32 s6, s6, s5
	s_cmp_eq_u32 s18, 0
	s_add_nc_u64 s[0:1], s[2:3], s[0:1]
	s_cselect_b32 s2, s4, s6
	s_mov_b32 s3, 0
	s_mulk_i32 s2, 0x180
	s_delay_alu instid0(SALU_CYCLE_1) | instskip(NEXT) | instid1(SALU_CYCLE_1)
	s_add_nc_u64 s[0:1], s[0:1], s[2:3]
	v_cvt_pk_bf16_f32 v1, v38, s0
	v_cvt_pk_bf16_f32 v2, v39, s0
	;; [unrolled: 1-line block ×6, first 2 shown]
	s_clause 0x5
	global_store_b16 v0, v1, s[0:1] scale_offset
	global_store_b16 v0, v2, s[0:1] offset:64 scale_offset
	global_store_b16 v0, v3, s[0:1] offset:128 scale_offset
	;; [unrolled: 1-line block ×5, first 2 shown]
.LBB124_63:
	s_sendmsg sendmsg(MSG_DEALLOC_VGPRS)
	s_endpgm
	.section	.rodata,"a",@progbits
	.p2align	6, 0x0
	.amdhsa_kernel _ZN4vllm25paged_attention_v1_kernelI14__hip_bfloat16S1_Li192ELi8ELi128ELNS_18Fp8KVCacheDataTypeE0ELb0EEEvPT_PKS3_PKT0_S9_ifPKiSB_iPKfiiiSD_SD_iiiii
		.amdhsa_group_segment_fixed_size 416
		.amdhsa_private_segment_fixed_size 0
		.amdhsa_kernarg_size 384
		.amdhsa_user_sgpr_count 2
		.amdhsa_user_sgpr_dispatch_ptr 0
		.amdhsa_user_sgpr_queue_ptr 0
		.amdhsa_user_sgpr_kernarg_segment_ptr 1
		.amdhsa_user_sgpr_dispatch_id 0
		.amdhsa_user_sgpr_kernarg_preload_length 0
		.amdhsa_user_sgpr_kernarg_preload_offset 0
		.amdhsa_user_sgpr_private_segment_size 0
		.amdhsa_wavefront_size32 1
		.amdhsa_uses_dynamic_stack 0
		.amdhsa_enable_private_segment 0
		.amdhsa_system_sgpr_workgroup_id_x 1
		.amdhsa_system_sgpr_workgroup_id_y 1
		.amdhsa_system_sgpr_workgroup_id_z 1
		.amdhsa_system_sgpr_workgroup_info 0
		.amdhsa_system_vgpr_workitem_id 0
		.amdhsa_next_free_vgpr 89
		.amdhsa_next_free_sgpr 28
		.amdhsa_named_barrier_count 0
		.amdhsa_reserve_vcc 1
		.amdhsa_float_round_mode_32 0
		.amdhsa_float_round_mode_16_64 0
		.amdhsa_float_denorm_mode_32 3
		.amdhsa_float_denorm_mode_16_64 3
		.amdhsa_fp16_overflow 0
		.amdhsa_memory_ordered 1
		.amdhsa_forward_progress 1
		.amdhsa_inst_pref_size 56
		.amdhsa_round_robin_scheduling 0
		.amdhsa_exception_fp_ieee_invalid_op 0
		.amdhsa_exception_fp_denorm_src 0
		.amdhsa_exception_fp_ieee_div_zero 0
		.amdhsa_exception_fp_ieee_overflow 0
		.amdhsa_exception_fp_ieee_underflow 0
		.amdhsa_exception_fp_ieee_inexact 0
		.amdhsa_exception_int_div_zero 0
	.end_amdhsa_kernel
	.section	.text._ZN4vllm25paged_attention_v1_kernelI14__hip_bfloat16S1_Li192ELi8ELi128ELNS_18Fp8KVCacheDataTypeE0ELb0EEEvPT_PKS3_PKT0_S9_ifPKiSB_iPKfiiiSD_SD_iiiii,"axG",@progbits,_ZN4vllm25paged_attention_v1_kernelI14__hip_bfloat16S1_Li192ELi8ELi128ELNS_18Fp8KVCacheDataTypeE0ELb0EEEvPT_PKS3_PKT0_S9_ifPKiSB_iPKfiiiSD_SD_iiiii,comdat
.Lfunc_end124:
	.size	_ZN4vllm25paged_attention_v1_kernelI14__hip_bfloat16S1_Li192ELi8ELi128ELNS_18Fp8KVCacheDataTypeE0ELb0EEEvPT_PKS3_PKT0_S9_ifPKiSB_iPKfiiiSD_SD_iiiii, .Lfunc_end124-_ZN4vllm25paged_attention_v1_kernelI14__hip_bfloat16S1_Li192ELi8ELi128ELNS_18Fp8KVCacheDataTypeE0ELb0EEEvPT_PKS3_PKT0_S9_ifPKiSB_iPKfiiiSD_SD_iiiii
                                        ; -- End function
	.set _ZN4vllm25paged_attention_v1_kernelI14__hip_bfloat16S1_Li192ELi8ELi128ELNS_18Fp8KVCacheDataTypeE0ELb0EEEvPT_PKS3_PKT0_S9_ifPKiSB_iPKfiiiSD_SD_iiiii.num_vgpr, 89
	.set _ZN4vllm25paged_attention_v1_kernelI14__hip_bfloat16S1_Li192ELi8ELi128ELNS_18Fp8KVCacheDataTypeE0ELb0EEEvPT_PKS3_PKT0_S9_ifPKiSB_iPKfiiiSD_SD_iiiii.num_agpr, 0
	.set _ZN4vllm25paged_attention_v1_kernelI14__hip_bfloat16S1_Li192ELi8ELi128ELNS_18Fp8KVCacheDataTypeE0ELb0EEEvPT_PKS3_PKT0_S9_ifPKiSB_iPKfiiiSD_SD_iiiii.numbered_sgpr, 28
	.set _ZN4vllm25paged_attention_v1_kernelI14__hip_bfloat16S1_Li192ELi8ELi128ELNS_18Fp8KVCacheDataTypeE0ELb0EEEvPT_PKS3_PKT0_S9_ifPKiSB_iPKfiiiSD_SD_iiiii.num_named_barrier, 0
	.set _ZN4vllm25paged_attention_v1_kernelI14__hip_bfloat16S1_Li192ELi8ELi128ELNS_18Fp8KVCacheDataTypeE0ELb0EEEvPT_PKS3_PKT0_S9_ifPKiSB_iPKfiiiSD_SD_iiiii.private_seg_size, 0
	.set _ZN4vllm25paged_attention_v1_kernelI14__hip_bfloat16S1_Li192ELi8ELi128ELNS_18Fp8KVCacheDataTypeE0ELb0EEEvPT_PKS3_PKT0_S9_ifPKiSB_iPKfiiiSD_SD_iiiii.uses_vcc, 1
	.set _ZN4vllm25paged_attention_v1_kernelI14__hip_bfloat16S1_Li192ELi8ELi128ELNS_18Fp8KVCacheDataTypeE0ELb0EEEvPT_PKS3_PKT0_S9_ifPKiSB_iPKfiiiSD_SD_iiiii.uses_flat_scratch, 0
	.set _ZN4vllm25paged_attention_v1_kernelI14__hip_bfloat16S1_Li192ELi8ELi128ELNS_18Fp8KVCacheDataTypeE0ELb0EEEvPT_PKS3_PKT0_S9_ifPKiSB_iPKfiiiSD_SD_iiiii.has_dyn_sized_stack, 0
	.set _ZN4vllm25paged_attention_v1_kernelI14__hip_bfloat16S1_Li192ELi8ELi128ELNS_18Fp8KVCacheDataTypeE0ELb0EEEvPT_PKS3_PKT0_S9_ifPKiSB_iPKfiiiSD_SD_iiiii.has_recursion, 0
	.set _ZN4vllm25paged_attention_v1_kernelI14__hip_bfloat16S1_Li192ELi8ELi128ELNS_18Fp8KVCacheDataTypeE0ELb0EEEvPT_PKS3_PKT0_S9_ifPKiSB_iPKfiiiSD_SD_iiiii.has_indirect_call, 0
	.section	.AMDGPU.csdata,"",@progbits
; Kernel info:
; codeLenInByte = 7148
; TotalNumSgprs: 30
; NumVgprs: 89
; ScratchSize: 0
; MemoryBound: 0
; FloatMode: 240
; IeeeMode: 1
; LDSByteSize: 416 bytes/workgroup (compile time only)
; SGPRBlocks: 0
; VGPRBlocks: 5
; NumSGPRsForWavesPerEU: 30
; NumVGPRsForWavesPerEU: 89
; NamedBarCnt: 0
; Occupancy: 10
; WaveLimiterHint : 1
; COMPUTE_PGM_RSRC2:SCRATCH_EN: 0
; COMPUTE_PGM_RSRC2:USER_SGPR: 2
; COMPUTE_PGM_RSRC2:TRAP_HANDLER: 0
; COMPUTE_PGM_RSRC2:TGID_X_EN: 1
; COMPUTE_PGM_RSRC2:TGID_Y_EN: 1
; COMPUTE_PGM_RSRC2:TGID_Z_EN: 1
; COMPUTE_PGM_RSRC2:TIDIG_COMP_CNT: 0
	.section	.text._ZN4vllm25paged_attention_v1_kernelI14__hip_bfloat16S1_Li256ELi8ELi128ELNS_18Fp8KVCacheDataTypeE0ELb0EEEvPT_PKS3_PKT0_S9_ifPKiSB_iPKfiiiSD_SD_iiiii,"axG",@progbits,_ZN4vllm25paged_attention_v1_kernelI14__hip_bfloat16S1_Li256ELi8ELi128ELNS_18Fp8KVCacheDataTypeE0ELb0EEEvPT_PKS3_PKT0_S9_ifPKiSB_iPKfiiiSD_SD_iiiii,comdat
	.protected	_ZN4vllm25paged_attention_v1_kernelI14__hip_bfloat16S1_Li256ELi8ELi128ELNS_18Fp8KVCacheDataTypeE0ELb0EEEvPT_PKS3_PKT0_S9_ifPKiSB_iPKfiiiSD_SD_iiiii ; -- Begin function _ZN4vllm25paged_attention_v1_kernelI14__hip_bfloat16S1_Li256ELi8ELi128ELNS_18Fp8KVCacheDataTypeE0ELb0EEEvPT_PKS3_PKT0_S9_ifPKiSB_iPKfiiiSD_SD_iiiii
	.globl	_ZN4vllm25paged_attention_v1_kernelI14__hip_bfloat16S1_Li256ELi8ELi128ELNS_18Fp8KVCacheDataTypeE0ELb0EEEvPT_PKS3_PKT0_S9_ifPKiSB_iPKfiiiSD_SD_iiiii
	.p2align	8
	.type	_ZN4vllm25paged_attention_v1_kernelI14__hip_bfloat16S1_Li256ELi8ELi128ELNS_18Fp8KVCacheDataTypeE0ELb0EEEvPT_PKS3_PKT0_S9_ifPKiSB_iPKfiiiSD_SD_iiiii,@function
_ZN4vllm25paged_attention_v1_kernelI14__hip_bfloat16S1_Li256ELi8ELi128ELNS_18Fp8KVCacheDataTypeE0ELb0EEEvPT_PKS3_PKT0_S9_ifPKiSB_iPKfiiiSD_SD_iiiii: ; @_ZN4vllm25paged_attention_v1_kernelI14__hip_bfloat16S1_Li256ELi8ELi128ELNS_18Fp8KVCacheDataTypeE0ELb0EEEvPT_PKS3_PKT0_S9_ifPKiSB_iPKfiiiSD_SD_iiiii
; %bb.0:
	s_load_b64 s[6:7], s[0:1], 0x20
	s_bfe_u32 s3, ttmp6, 0x4000c
	s_bfe_u32 s5, ttmp6, 0x40010
	s_and_b32 s4, ttmp7, 0xffff
	s_add_co_i32 s3, s3, 1
	s_add_co_i32 s5, s5, 1
	s_and_b32 s2, ttmp6, 15
	s_bfe_u32 s8, ttmp6, 0x40004
	s_mul_i32 s3, ttmp9, s3
	s_mul_i32 s5, s4, s5
	s_getreg_b32 s18, hwreg(HW_REG_IB_STS2, 6, 4)
	s_add_co_i32 s2, s2, s3
	s_add_co_i32 s8, s8, s5
	s_cmp_eq_u32 s18, 0
	s_clause 0x1
	s_load_b32 s19, s[0:1], 0x80
	s_load_b64 s[10:11], s[0:1], 0x30
	s_cselect_b32 s20, s4, s8
	s_cselect_b32 s8, ttmp9, s2
	s_wait_kmcnt 0x0
	s_abs_i32 s2, s6
	s_delay_alu instid0(SALU_CYCLE_1) | instskip(SKIP_1) | instid1(SALU_CYCLE_2)
	s_cvt_f32_u32 s3, s2
	s_sub_co_i32 s4, 0, s2
	v_rcp_iflag_f32_e32 v1, s3
	s_abs_i32 s5, s19
	v_nop
	s_delay_alu instid0(TRANS32_DEP_1) | instskip(SKIP_1) | instid1(SALU_CYCLE_3)
	v_readfirstlane_b32 s3, v1
	s_mul_f32 s3, s3, 0x4f7ffffe
	s_cvt_u32_f32 s3, s3
	s_delay_alu instid0(SALU_CYCLE_3) | instskip(NEXT) | instid1(SALU_CYCLE_1)
	s_mul_i32 s4, s4, s3
	s_mul_hi_u32 s4, s3, s4
	s_delay_alu instid0(SALU_CYCLE_1) | instskip(SKIP_4) | instid1(SALU_CYCLE_1)
	s_add_co_i32 s3, s3, s4
	s_xor_b32 s4, s19, s6
	s_mul_hi_u32 s3, s5, s3
	s_ashr_i32 s4, s4, 31
	s_mul_i32 s6, s3, s2
	s_sub_co_i32 s5, s5, s6
	s_add_co_i32 s6, s3, 1
	s_sub_co_i32 s9, s5, s2
	s_cmp_ge_u32 s5, s2
	s_cselect_b32 s3, s6, s3
	s_cselect_b32 s5, s9, s5
	s_add_co_i32 s6, s3, 1
	s_cmp_ge_u32 s5, s2
	s_cselect_b32 s2, s6, s3
	s_mov_b32 s3, 0
	s_xor_b32 s2, s2, s4
	s_mov_b32 s13, s3
	s_sub_co_i32 s15, s2, s4
	s_load_b64 s[4:5], s[0:1], 0x40
	s_abs_i32 s14, s15
	s_mov_b32 s23, s3
	s_cvt_f32_u32 s2, s14
	s_delay_alu instid0(SALU_CYCLE_3) | instskip(SKIP_1) | instid1(TRANS32_DEP_1)
	v_rcp_iflag_f32_e32 v1, s2
	v_nop
	v_readfirstlane_b32 s2, v1
	s_mul_f32 s2, s2, 0x4f7ffffe
	s_delay_alu instid0(SALU_CYCLE_3) | instskip(SKIP_1) | instid1(SALU_CYCLE_2)
	s_cvt_u32_f32 s6, s2
	s_sub_co_i32 s2, 0, s14
	s_mul_i32 s2, s2, s6
	s_delay_alu instid0(SALU_CYCLE_1)
	s_mul_hi_u32 s9, s6, s2
	s_abs_i32 s2, s8
	s_add_co_i32 s12, s6, s9
	s_wait_kmcnt 0x0
	s_cmp_eq_u64 s[4:5], 0
	s_cbranch_scc1 .LBB125_2
; %bb.1:
	s_ashr_i32 s9, s8, 31
	s_delay_alu instid0(SALU_CYCLE_1) | instskip(NEXT) | instid1(SALU_CYCLE_1)
	s_lshl_b64 s[16:17], s[8:9], 2
	s_add_nc_u64 s[4:5], s[4:5], s[16:17]
	s_load_b32 s23, s[4:5], 0x0
.LBB125_2:
	s_load_b32 s21, s[10:11], s20 offset:0x0 scale_offset
	s_wait_xcnt 0x0
	s_load_b96 s[4:6], s[0:1], 0x48
	v_and_b32_e32 v4, 3, v0
	s_ashr_i32 s16, s8, 31
	s_ashr_i32 s15, s15, 31
	s_mul_u64 s[10:11], s[2:3], s[12:13]
	s_lshl_b32 s8, s8, 8
	s_mov_b32 s3, exec_lo
	v_cmpx_gt_u32_e32 0x80, v0
	s_cbranch_execz .LBB125_4
; %bb.3:
	s_load_b64 s[12:13], s[0:1], 0x8
	s_wait_kmcnt 0x0
	s_mul_i32 s24, s4, s20
	s_ashr_i32 s9, s8, 31
	s_ashr_i32 s25, s24, 31
	v_and_b32_e32 v2, 0x3fc, v0
	s_lshl_b64 s[24:25], s[24:25], 1
	s_delay_alu instid0(VALU_DEP_1) | instskip(SKIP_2) | instid1(SALU_CYCLE_1)
	v_lshl_add_u32 v2, v4, 7, v2
	s_add_nc_u64 s[12:13], s[12:13], s[24:25]
	s_lshl_b64 s[24:25], s[8:9], 1
	s_add_nc_u64 s[12:13], s[12:13], s[24:25]
	global_load_b32 v1, v0, s[12:13] scale_offset
	s_wait_loadcnt 0x0
	ds_store_b32 v2, v1
.LBB125_4:
	s_or_b32 exec_lo, exec_lo, s3
	s_wait_kmcnt 0x0
	s_add_co_i32 s3, s21, 7
	s_load_b32 s4, s[0:1], 0x38
	s_ashr_i32 s9, s3, 31
	s_mul_i32 s12, s11, s14
	s_lshr_b32 s9, s9, 29
	s_sub_co_i32 s2, s2, s12
	s_add_co_i32 s3, s3, s9
	s_xor_b32 s10, s16, s15
	s_ashr_i32 s22, s3, 3
	s_add_co_i32 s3, s11, 1
	s_sub_co_i32 s9, s2, s14
	s_cmp_ge_u32 s2, s14
	v_lshrrev_b32_e32 v1, 5, v0
	s_cselect_b32 s3, s3, s11
	s_cselect_b32 s2, s9, s2
	s_add_co_i32 s9, s3, 1
	s_cmp_ge_u32 s2, s14
	v_mbcnt_lo_u32_b32 v9, -1, 0
	s_cselect_b32 s2, s9, s3
	s_wait_dscnt 0x0
	s_xor_b32 s2, s2, s10
	s_barrier_signal -1
	s_sub_co_i32 s3, s2, s10
	v_cmp_gt_i32_e64 s2, s22, v1
	s_wait_kmcnt 0x0
	s_mul_i32 s10, s4, s20
	s_mov_b32 s4, exec_lo
	s_ashr_i32 s11, s10, 31
	s_barrier_wait -1
                                        ; implicit-def: $vgpr3
                                        ; implicit-def: $vgpr40
	v_cmpx_le_i32_e64 s22, v1
	s_xor_b32 s4, exec_lo, s4
; %bb.5:
	v_dual_mov_b32 v3, 0 :: v_dual_mov_b32 v40, 32
	v_mbcnt_lo_u32_b32 v9, -1, 0
                                        ; implicit-def: $vgpr4
; %bb.6:
	s_or_saveexec_b32 s24, s4
	s_clause 0x1
	s_load_b64 s[12:13], s[0:1], 0x28
	s_load_b32 s9, s[0:1], 0x88
	v_mov_b32_e32 v2, 0xff7fffff
	v_lshrrev_b32_e32 v8, 3, v0
	s_mul_i32 s14, s3, s6
	s_xor_b32 exec_lo, exec_lo, s24
	s_cbranch_execz .LBB125_12
; %bb.7:
	v_lshlrev_b32_e32 v2, 7, v4
	s_load_b64 s[16:17], s[0:1], 0x10
	v_xor_b32_e32 v76, 1, v9
	s_ashr_i32 s15, s14, 31
	v_dual_mov_b32 v3, 0 :: v_dual_lshlrev_b32 v5, 2, v0
	ds_load_b128 v[14:17], v2
	ds_load_b128 v[22:25], v2 offset:16
	ds_load_b128 v[30:33], v2 offset:32
	;; [unrolled: 1-line block ×4, first 2 shown]
	s_lshl_b64 s[26:27], s[14:15], 1
	v_cmp_eq_u32_e32 vcc_lo, 0, v4
	s_mov_b32 s6, 0
	v_mov_b32_e32 v79, v1
	s_wait_kmcnt 0x0
	s_add_nc_u64 s[16:17], s[16:17], s[26:27]
	s_wait_dscnt 0x4
	v_lshlrev_b32_e32 v10, 16, v14
	ds_load_b128 v[56:59], v2 offset:80
	ds_load_b128 v[64:67], v2 offset:96
	;; [unrolled: 1-line block ×3, first 2 shown]
	v_and_b32_e32 v11, 0xffff0000, v14
	v_dual_lshlrev_b32 v12, 16, v15 :: v_dual_lshlrev_b32 v14, 16, v16
	v_and_b32_e32 v13, 0xffff0000, v15
	v_and_b32_e32 v15, 0xffff0000, v16
	s_wait_dscnt 0x6
	v_dual_lshlrev_b32 v16, 16, v17 :: v_dual_lshlrev_b32 v18, 16, v22
	v_and_b32_e32 v19, 0xffff0000, v22
	v_dual_lshlrev_b32 v20, 16, v23 :: v_dual_lshlrev_b32 v22, 16, v24
	v_and_b32_e32 v21, 0xffff0000, v23
	v_and_b32_e32 v23, 0xffff0000, v24
	s_wait_dscnt 0x5
	v_dual_lshlrev_b32 v24, 16, v25 :: v_dual_lshlrev_b32 v26, 16, v30
	;; [unrolled: 6-line block ×3, first 2 shown]
	v_and_b32_e32 v35, 0xffff0000, v40
	v_bfe_u32 v40, v0, 2, 3
	v_dual_lshlrev_b32 v36, 16, v41 :: v_dual_lshlrev_b32 v38, 16, v42
	v_and_b32_e32 v37, 0xffff0000, v41
	v_and_b32_e32 v39, 0xffff0000, v42
	v_lshlrev_b32_e32 v41, 16, v43
	v_and_b32_e32 v42, 0xffff0000, v43
	s_wait_dscnt 0x3
	v_lshlrev_b32_e32 v43, 16, v48
	v_and_b32_e32 v44, 0xffff0000, v48
	v_dual_lshlrev_b32 v45, 16, v49 :: v_dual_lshlrev_b32 v47, 16, v50
	v_and_b32_e32 v46, 0xffff0000, v49
	v_and_b32_e32 v48, 0xffff0000, v50
	v_lshlrev_b32_e32 v49, 16, v51
	v_and_b32_e32 v50, 0xffff0000, v51
	s_wait_dscnt 0x2
	v_lshlrev_b32_e32 v51, 16, v56
	v_and_b32_e32 v52, 0xffff0000, v56
	;; [unrolled: 8-line block ×4, first 2 shown]
	v_dual_lshlrev_b32 v69, 16, v73 :: v_dual_lshlrev_b32 v71, 16, v74
	v_and_b32_e32 v70, 0xffff0000, v73
	v_and_b32_e32 v72, 0xffff0000, v74
	v_dual_lshlrev_b32 v73, 16, v75 :: v_dual_lshlrev_b32 v2, 4, v40
	v_and_b32_e32 v74, 0xffff0000, v75
	v_dual_lshlrev_b32 v77, 2, v40 :: v_dual_bitop2_b32 v75, 2, v9 bitop3:0x14
	v_and_b32_e32 v17, 0xffff0000, v17
	s_delay_alu instid0(VALU_DEP_4) | instskip(SKIP_1) | instid1(VALU_DEP_4)
	v_add_nc_u64_e32 v[6:7], s[16:17], v[2:3]
	v_and_b32_e32 v2, 12, v5
	v_cmp_gt_i32_e64 s3, 32, v75
	s_ashr_i32 s17, s5, 31
	s_cmp_neq_f32 s23, 0
	v_and_b32_e32 v25, 0xffff0000, v25
	v_and_b32_e32 v33, 0xffff0000, v33
	v_cndmask_b32_e64 v75, v9, v75, s3
	v_cmp_gt_i32_e64 s3, 32, v76
	v_add_nc_u64_e32 v[4:5], v[6:7], v[2:3]
	v_lshl_or_b32 v6, v1, 5, v77
	v_and_b32_e32 v2, 0x7c, v8
	v_lshl_or_b32 v77, v1, 3, v40
	v_cndmask_b32_e64 v76, v9, v76, s3
	s_cselect_b32 s3, -1, 0
	s_lshl_b64 s[26:27], s[10:11], 2
	v_add_nc_u32_e32 v78, 0x220, v6
	s_add_nc_u64 s[26:27], s[12:13], s[26:27]
	v_dual_lshlrev_b32 v75, 2, v75 :: v_dual_lshlrev_b32 v76, 2, v76
	v_add_nc_u64_e32 v[6:7], s[26:27], v[2:3]
	v_mov_b32_e32 v40, 32
	v_mov_b32_e32 v2, 0xff7fffff
	s_mov_b32 s16, s5
	s_sub_co_i32 s15, 1, s21
	s_branch .LBB125_9
.LBB125_8:                              ;   in Loop: Header=BB125_9 Depth=1
	s_or_b32 exec_lo, exec_lo, s25
	v_dual_add_nc_u32 v79, 4, v79 :: v_dual_add_nc_u32 v77, 32, v77
	v_add_nc_u64_e32 v[6:7], 16, v[6:7]
	v_add_nc_u32_e32 v78, 0x80, v78
	s_delay_alu instid0(VALU_DEP_3) | instskip(SKIP_1) | instid1(SALU_CYCLE_1)
	v_cmp_le_i32_e64 s4, s22, v79
	s_or_b32 s6, s4, s6
	s_and_not1_b32 exec_lo, exec_lo, s6
	s_cbranch_execz .LBB125_11
.LBB125_9:                              ; =>This Inner Loop Header: Depth=1
	global_load_b32 v80, v[6:7], off
	s_wait_loadcnt_dscnt 0x0
	v_ashrrev_i32_e32 v81, 31, v80
	s_delay_alu instid0(VALU_DEP_1) | instskip(NEXT) | instid1(VALU_DEP_1)
	v_mul_u64_e32 v[80:81], s[16:17], v[80:81]
	v_lshl_add_u64 v[80:81], v[80:81], 1, v[4:5]
	s_clause 0x1f
	global_load_b32 v82, v[80:81], off offset:128
	global_load_b32 v83, v[80:81], off offset:256
	;; [unrolled: 1-line block ×7, first 2 shown]
	global_load_b32 v89, v[80:81], off
	global_load_b32 v90, v[80:81], off offset:1024
	global_load_b32 v91, v[80:81], off offset:1152
	global_load_b32 v92, v[80:81], off offset:1280
	global_load_b32 v93, v[80:81], off offset:1408
	global_load_b32 v94, v[80:81], off offset:1536
	global_load_b32 v95, v[80:81], off offset:1664
	global_load_b32 v96, v[80:81], off offset:1792
	global_load_b32 v97, v[80:81], off offset:1920
	global_load_b32 v98, v[80:81], off offset:2048
	global_load_b32 v99, v[80:81], off offset:2176
	global_load_b32 v100, v[80:81], off offset:2304
	global_load_b32 v101, v[80:81], off offset:2432
	global_load_b32 v102, v[80:81], off offset:2560
	global_load_b32 v103, v[80:81], off offset:2688
	global_load_b32 v104, v[80:81], off offset:2816
	global_load_b32 v105, v[80:81], off offset:2944
	global_load_b32 v106, v[80:81], off offset:3072
	global_load_b32 v107, v[80:81], off offset:3200
	global_load_b32 v108, v[80:81], off offset:3328
	global_load_b32 v109, v[80:81], off offset:3456
	global_load_b32 v110, v[80:81], off offset:3584
	global_load_b32 v111, v[80:81], off offset:3712
	global_load_b32 v112, v[80:81], off offset:3840
	global_load_b32 v80, v[80:81], off offset:3968
	s_wait_loadcnt 0x1f
	s_wait_xcnt 0x0
	v_lshlrev_b32_e32 v81, 16, v82
	v_and_b32_e32 v82, 0xffff0000, v82
	s_delay_alu instid0(VALU_DEP_1) | instskip(SKIP_1) | instid1(VALU_DEP_1)
	v_dual_mul_f32 v81, v12, v81 :: v_dual_mul_f32 v82, v13, v82
	s_wait_loadcnt 0x18
	v_fma_mix_f32_bf16 v81, v10, v89, v81 op_sel_hi:[0,1,0]
	s_delay_alu instid0(VALU_DEP_2) | instskip(NEXT) | instid1(VALU_DEP_2)
	v_fma_mix_f32_bf16 v82, v11, v89, v82 op_sel:[0,1,0] op_sel_hi:[0,1,0]
	v_fma_mix_f32_bf16 v81, v14, v83, v81 op_sel_hi:[0,1,0]
	s_delay_alu instid0(VALU_DEP_2) | instskip(NEXT) | instid1(VALU_DEP_2)
	v_fma_mix_f32_bf16 v82, v15, v83, v82 op_sel:[0,1,0] op_sel_hi:[0,1,0]
	v_fma_mix_f32_bf16 v81, v16, v84, v81 op_sel_hi:[0,1,0]
	s_delay_alu instid0(VALU_DEP_2) | instskip(NEXT) | instid1(VALU_DEP_2)
	v_fma_mix_f32_bf16 v82, v17, v84, v82 op_sel:[0,1,0] op_sel_hi:[0,1,0]
	v_fma_mix_f32_bf16 v81, v18, v85, v81 op_sel_hi:[0,1,0]
	s_delay_alu instid0(VALU_DEP_2) | instskip(NEXT) | instid1(VALU_DEP_2)
	v_fma_mix_f32_bf16 v82, v19, v85, v82 op_sel:[0,1,0] op_sel_hi:[0,1,0]
	v_fma_mix_f32_bf16 v81, v20, v86, v81 op_sel_hi:[0,1,0]
	s_delay_alu instid0(VALU_DEP_2) | instskip(NEXT) | instid1(VALU_DEP_2)
	v_fma_mix_f32_bf16 v82, v21, v86, v82 op_sel:[0,1,0] op_sel_hi:[0,1,0]
	v_fma_mix_f32_bf16 v81, v22, v87, v81 op_sel_hi:[0,1,0]
	s_delay_alu instid0(VALU_DEP_2) | instskip(NEXT) | instid1(VALU_DEP_2)
	v_fma_mix_f32_bf16 v82, v23, v87, v82 op_sel:[0,1,0] op_sel_hi:[0,1,0]
	v_fma_mix_f32_bf16 v81, v24, v88, v81 op_sel_hi:[0,1,0]
	s_delay_alu instid0(VALU_DEP_2) | instskip(SKIP_1) | instid1(VALU_DEP_2)
	v_fma_mix_f32_bf16 v82, v25, v88, v82 op_sel:[0,1,0] op_sel_hi:[0,1,0]
	s_wait_loadcnt 0x17
	v_fma_mix_f32_bf16 v81, v26, v90, v81 op_sel_hi:[0,1,0]
	s_delay_alu instid0(VALU_DEP_2) | instskip(SKIP_1) | instid1(VALU_DEP_2)
	v_fma_mix_f32_bf16 v82, v27, v90, v82 op_sel:[0,1,0] op_sel_hi:[0,1,0]
	s_wait_loadcnt 0x16
	;; [unrolled: 4-line block ×24, first 2 shown]
	v_fma_mix_f32_bf16 v81, v73, v80, v81 op_sel_hi:[0,1,0]
	s_delay_alu instid0(VALU_DEP_2) | instskip(NEXT) | instid1(VALU_DEP_1)
	v_fma_mix_f32_bf16 v80, v74, v80, v82 op_sel:[0,1,0] op_sel_hi:[0,1,0]
	v_add_f32_e32 v80, v81, v80
	ds_bpermute_b32 v81, v75, v80
	s_wait_dscnt 0x0
	v_add_f32_e32 v80, v80, v81
	ds_bpermute_b32 v81, v76, v80
	s_and_saveexec_b32 s25, vcc_lo
	s_cbranch_execz .LBB125_8
; %bb.10:                               ;   in Loop: Header=BB125_9 Depth=1
	s_wait_dscnt 0x0
	v_add_f32_e32 v80, v80, v81
	v_add_nc_u32_e32 v82, s15, v77
	v_cmp_gt_i32_e64 s4, s21, v77
	s_delay_alu instid0(VALU_DEP_2) | instskip(NEXT) | instid1(VALU_DEP_1)
	v_cvt_f32_i32_e32 v82, v82
	v_mul_f32_e32 v82, s23, v82
	s_delay_alu instid0(VALU_DEP_1) | instskip(NEXT) | instid1(VALU_DEP_1)
	v_cndmask_b32_e64 v81, 0, v82, s3
	v_dual_max_num_f32 v82, v2, v2 :: v_dual_fmac_f32 v81, s7, v80
	s_delay_alu instid0(VALU_DEP_1) | instskip(NEXT) | instid1(VALU_DEP_1)
	v_dual_max_num_f32 v80, v82, v81 :: v_dual_cndmask_b32 v81, 0, v81, s4
	v_cndmask_b32_e64 v2, v2, v80, s4
	ds_store_b32 v78, v81
	s_branch .LBB125_8
.LBB125_11:
	s_or_b32 exec_lo, exec_lo, s6
.LBB125_12:
	s_delay_alu instid0(SALU_CYCLE_1)
	s_or_b32 exec_lo, exec_lo, s24
	v_dual_max_num_f32 v7, v2, v2 :: v_dual_bitop2_b32 v4, 16, v9 bitop3:0x14
	s_clause 0x1
	s_load_b64 s[6:7], s[0:1], 0x0
	s_load_b64 s[16:17], s[0:1], 0x18
	v_xor_b32_e32 v6, 8, v9
	v_and_b32_e32 v54, 31, v0
	v_cmp_lt_i32_e32 vcc_lo, v4, v40
	v_cndmask_b32_e32 v4, v9, v4, vcc_lo
	s_delay_alu instid0(VALU_DEP_4) | instskip(NEXT) | instid1(VALU_DEP_2)
	v_cmp_lt_i32_e32 vcc_lo, v6, v40
	v_lshlrev_b32_e32 v4, 2, v4
	ds_bpermute_b32 v5, v4, v2
	v_cndmask_b32_e32 v2, v9, v6, vcc_lo
	s_wait_dscnt 0x0
	s_delay_alu instid0(VALU_DEP_1) | instskip(NEXT) | instid1(VALU_DEP_1)
	v_dual_max_num_f32 v5, v5, v5 :: v_dual_lshlrev_b32 v2, 2, v2
	v_max_num_f32_e32 v5, v7, v5
	ds_bpermute_b32 v6, v2, v5
	s_wait_dscnt 0x0
	v_dual_max_num_f32 v6, v6, v6 :: v_dual_bitop2_b32 v7, 4, v9 bitop3:0x14
	s_delay_alu instid0(VALU_DEP_1) | instskip(NEXT) | instid1(VALU_DEP_2)
	v_max_num_f32_e32 v6, v5, v6
	v_cmp_lt_i32_e32 vcc_lo, v7, v40
	v_dual_lshlrev_b32 v5, 2, v1 :: v_dual_cndmask_b32 v7, v9, v7, vcc_lo
	v_cmp_eq_u32_e32 vcc_lo, 0, v54
	s_delay_alu instid0(VALU_DEP_2)
	v_lshlrev_b32_e32 v7, 2, v7
	ds_bpermute_b32 v10, v7, v6
	s_wait_xcnt 0x0
	s_and_saveexec_b32 s0, vcc_lo
	s_cbranch_execz .LBB125_14
; %bb.13:
	s_wait_dscnt 0x0
	v_max_num_f32_e32 v10, v10, v10
	v_max_num_f32_e32 v6, v6, v6
	s_delay_alu instid0(VALU_DEP_1)
	v_max_num_f32_e32 v6, v6, v10
	ds_store_b32 v5, v6 offset:512
.LBB125_14:
	s_or_b32 exec_lo, exec_lo, s0
	v_cmp_gt_u32_e64 s0, 4, v54
	v_dual_mov_b32 v11, 0xff7fffff :: v_dual_lshlrev_b32 v6, 2, v54
	s_wait_dscnt 0x0
	s_barrier_signal -1
	s_barrier_wait -1
	s_and_saveexec_b32 s1, s0
; %bb.15:
	ds_load_b32 v11, v6 offset:512
; %bb.16:
	s_or_b32 exec_lo, exec_lo, s1
	s_wait_dscnt 0x0
	v_dual_max_num_f32 v14, v11, v11 :: v_dual_bitop2_b32 v10, 2, v9 bitop3:0x14
	v_dual_lshlrev_b32 v3, 2, v3 :: v_dual_bitop2_b32 v13, 1, v9 bitop3:0x14
	s_delay_alu instid0(VALU_DEP_2) | instskip(NEXT) | instid1(VALU_DEP_1)
	v_cmp_lt_i32_e64 s1, v10, v40
	v_cndmask_b32_e64 v10, v9, v10, s1
	s_delay_alu instid0(VALU_DEP_3) | instskip(NEXT) | instid1(VALU_DEP_2)
	v_cmp_lt_i32_e64 s1, v13, v40
	v_lshlrev_b32_e32 v10, 2, v10
	ds_bpermute_b32 v12, v10, v11
	v_cndmask_b32_e64 v11, v9, v13, s1
	s_lshl_b32 s1, s22, 3
	s_delay_alu instid0(SALU_CYCLE_1) | instskip(NEXT) | instid1(VALU_DEP_1)
	s_min_i32 s4, s1, s21
	v_lshlrev_b32_e32 v11, 2, v11
	v_cmp_gt_i32_e64 s1, s4, v0
	s_wait_dscnt 0x0
	v_max_num_f32_e32 v12, v12, v12
	s_delay_alu instid0(VALU_DEP_1) | instskip(SKIP_3) | instid1(VALU_DEP_1)
	v_max_num_f32_e32 v12, v14, v12
	ds_bpermute_b32 v13, v11, v12
	s_wait_dscnt 0x0
	v_max_num_f32_e32 v13, v13, v13
	v_max_num_f32_e32 v12, v12, v13
	ds_bpermute_b32 v12, v3, v12
	v_mov_b32_e32 v3, 0
	s_and_saveexec_b32 s15, s1
	s_cbranch_execz .LBB125_20
; %bb.17:
	v_lshl_add_u32 v13, v0, 2, 0x220
	v_dual_mov_b32 v3, 0 :: v_dual_mov_b32 v14, v0
	s_mov_b32 s23, 0
.LBB125_18:                             ; =>This Inner Loop Header: Depth=1
	ds_load_b32 v15, v13
	v_add_nc_u32_e32 v14, 0x80, v14
	s_delay_alu instid0(VALU_DEP_1) | instskip(SKIP_3) | instid1(VALU_DEP_1)
	v_cmp_le_i32_e64 s3, s4, v14
	s_or_b32 s23, s3, s23
	s_wait_dscnt 0x0
	v_sub_f32_e32 v15, v15, v12
	v_mul_f32_e32 v15, 0x3fb8aa3b, v15
	s_delay_alu instid0(VALU_DEP_1)
	v_exp_f32_e32 v15, v15
	ds_store_b32 v13, v15
	v_nop
	v_add_f32_e32 v3, v3, v15
	v_add_nc_u32_e32 v13, 0x200, v13
	s_and_not1_b32 exec_lo, exec_lo, s23
	s_cbranch_execnz .LBB125_18
; %bb.19:
	s_or_b32 exec_lo, exec_lo, s23
.LBB125_20:
	s_delay_alu instid0(SALU_CYCLE_1)
	s_or_b32 exec_lo, exec_lo, s15
	ds_bpermute_b32 v4, v4, v3
	s_wait_dscnt 0x0
	v_add_f32_e32 v3, v3, v4
	ds_bpermute_b32 v2, v2, v3
	s_wait_dscnt 0x0
	v_add_f32_e32 v2, v3, v2
	;; [unrolled: 3-line block ×5, first 2 shown]
	s_and_saveexec_b32 s3, vcc_lo
; %bb.21:
	ds_store_b32 v5, v2 offset:528
; %bb.22:
	s_or_b32 exec_lo, exec_lo, s3
	s_wait_dscnt 0x0
	s_barrier_signal -1
	s_barrier_wait -1
	s_and_saveexec_b32 s3, s0
; %bb.23:
	ds_load_b32 v2, v6 offset:528
; %bb.24:
	s_or_b32 exec_lo, exec_lo, s3
	s_wait_dscnt 0x0
	ds_bpermute_b32 v3, v10, v2
	s_wait_dscnt 0x0
	v_dual_lshlrev_b32 v4, 2, v9 :: v_dual_add_f32 v2, v2, v3
	ds_bpermute_b32 v3, v11, v2
	s_wait_dscnt 0x0
	v_add_f32_e32 v2, v2, v3
	v_and_b32_e32 v3, 0xffffff80, v4
	ds_bpermute_b32 v2, v3, v2
	s_and_saveexec_b32 s0, s1
	s_cbranch_execz .LBB125_37
; %bb.25:
	s_wait_dscnt 0x0
	v_add_f32_e32 v2, 0x358637bd, v2
	s_mov_b32 s3, -1
	s_mov_b32 s1, exec_lo
	s_delay_alu instid0(VALU_DEP_1) | instskip(NEXT) | instid1(VALU_DEP_1)
	v_div_scale_f32 v3, null, v2, v2, 1.0
	v_rcp_f32_e32 v5, v3
	v_nop
	s_delay_alu instid0(TRANS32_DEP_1) | instskip(NEXT) | instid1(VALU_DEP_1)
	v_fma_f32 v4, -v3, v5, 1.0
	v_fmac_f32_e32 v5, v4, v5
	v_div_scale_f32 v6, vcc_lo, 1.0, v2, 1.0
	s_delay_alu instid0(VALU_DEP_1) | instskip(NEXT) | instid1(VALU_DEP_1)
	v_mul_f32_e32 v7, v6, v5
	v_fma_f32 v4, -v3, v7, v6
	s_delay_alu instid0(VALU_DEP_1) | instskip(SKIP_1) | instid1(VALU_DEP_2)
	v_fmac_f32_e32 v7, v4, v5
	v_xad_u32 v4, v0, -1, s4
	v_fma_f32 v3, -v3, v7, v6
	s_delay_alu instid0(VALU_DEP_1) | instskip(NEXT) | instid1(VALU_DEP_1)
	v_div_fmas_f32 v3, v3, v5, v7
	v_div_fixup_f32 v2, v3, v2, 1.0
	v_mov_b32_e32 v3, v0
	v_cmpx_lt_u32_e32 0x7f, v4
	s_cbranch_execz .LBB125_34
; %bb.26:
	s_delay_alu instid0(VALU_DEP_3) | instskip(NEXT) | instid1(VALU_DEP_1)
	v_dual_mov_b32 v3, v2 :: v_dual_lshrrev_b32 v4, 7, v4
	v_dual_mov_b32 v9, 0 :: v_dual_add_nc_u32 v5, -1, v4
	s_delay_alu instid0(VALU_DEP_1) | instskip(SKIP_1) | instid1(VALU_DEP_2)
	v_lshrrev_b32_e32 v6, 1, v5
	v_cmp_lt_u32_e32 vcc_lo, 13, v5
	v_add_nc_u32_e32 v5, 1, v6
	s_and_saveexec_b32 s3, vcc_lo
	s_cbranch_execz .LBB125_30
; %bb.27:
	s_delay_alu instid0(VALU_DEP_1)
	v_and_b32_e32 v6, -8, v5
	v_lshl_add_u32 v7, v0, 2, 0x220
	s_mov_b32 s15, 0
	s_mov_b32 s23, 0
.LBB125_28:                             ; =>This Inner Loop Header: Depth=1
	ds_load_2addr_stride64_b32 v[10:11], v7 offset1:2
	ds_load_2addr_stride64_b32 v[12:13], v7 offset0:4 offset1:6
	ds_load_2addr_stride64_b32 v[14:15], v7 offset0:8 offset1:10
	;; [unrolled: 1-line block ×7, first 2 shown]
	s_add_co_i32 s23, s23, 16
	s_delay_alu instid0(SALU_CYCLE_1) | instskip(NEXT) | instid1(VALU_DEP_1)
	v_dual_mov_b32 v9, s23 :: v_dual_add_nc_u32 v6, -8, v6
	v_cmp_eq_u32_e32 vcc_lo, 0, v6
	s_or_b32 s15, vcc_lo, s15
	s_wait_dscnt 0x7
	v_pk_mul_f32 v[10:11], v[2:3], v[10:11]
	s_wait_dscnt 0x6
	v_pk_mul_f32 v[12:13], v[2:3], v[12:13]
	;; [unrolled: 2-line block ×8, first 2 shown]
	ds_store_2addr_stride64_b32 v7, v10, v11 offset1:2
	ds_store_2addr_stride64_b32 v7, v12, v13 offset0:4 offset1:6
	ds_store_2addr_stride64_b32 v7, v14, v15 offset0:8 offset1:10
	;; [unrolled: 1-line block ×7, first 2 shown]
	v_add_nc_u32_e32 v7, 0x2000, v7
	s_and_not1_b32 exec_lo, exec_lo, s15
	s_cbranch_execnz .LBB125_28
; %bb.29:
	s_or_b32 exec_lo, exec_lo, s15
.LBB125_30:
	s_delay_alu instid0(SALU_CYCLE_1) | instskip(NEXT) | instid1(VALU_DEP_1)
	s_or_b32 exec_lo, exec_lo, s3
	v_and_b32_e32 v5, 7, v5
	s_mov_b32 s15, 0
	s_mov_b32 s3, exec_lo
	s_delay_alu instid0(VALU_DEP_1)
	v_cmpx_ne_u32_e32 0, v5
	s_cbranch_execz .LBB125_33
; %bb.31:
	v_dual_lshlrev_b32 v6, 9, v9 :: v_dual_lshlrev_b32 v7, 2, v0
	s_delay_alu instid0(VALU_DEP_1)
	v_add3_u32 v6, v6, v7, 0x220
.LBB125_32:                             ; =>This Inner Loop Header: Depth=1
	ds_load_2addr_stride64_b32 v[10:11], v6 offset1:2
	v_add_nc_u32_e32 v5, -1, v5
	s_delay_alu instid0(VALU_DEP_1)
	v_cmp_eq_u32_e32 vcc_lo, 0, v5
	s_or_b32 s15, vcc_lo, s15
	s_wait_dscnt 0x0
	v_pk_mul_f32 v[10:11], v[2:3], v[10:11]
	ds_store_2addr_stride64_b32 v6, v10, v11 offset1:2
	v_add_nc_u32_e32 v6, 0x400, v6
	s_and_not1_b32 exec_lo, exec_lo, s15
	s_cbranch_execnz .LBB125_32
.LBB125_33:
	s_or_b32 exec_lo, exec_lo, s3
	v_add_nc_u32_e32 v3, 1, v4
	s_delay_alu instid0(VALU_DEP_1) | instskip(NEXT) | instid1(VALU_DEP_1)
	v_and_b32_e32 v4, 0x3fffffe, v3
	v_cmp_ne_u32_e32 vcc_lo, v3, v4
	v_lshl_add_u32 v3, v4, 7, v0
	s_or_not1_b32 s3, vcc_lo, exec_lo
.LBB125_34:
	s_or_b32 exec_lo, exec_lo, s1
	s_delay_alu instid0(SALU_CYCLE_1)
	s_and_b32 exec_lo, exec_lo, s3
	s_cbranch_execz .LBB125_37
; %bb.35:
	v_lshl_add_u32 v4, v3, 2, 0x220
	s_mov_b32 s1, 0
.LBB125_36:                             ; =>This Inner Loop Header: Depth=1
	ds_load_b32 v5, v4
	v_add_nc_u32_e32 v3, 0x80, v3
	s_delay_alu instid0(VALU_DEP_1)
	v_cmp_le_i32_e32 vcc_lo, s4, v3
	s_or_b32 s1, vcc_lo, s1
	s_wait_dscnt 0x0
	v_mul_f32_e32 v5, v2, v5
	ds_store_b32 v4, v5
	v_add_nc_u32_e32 v4, 0x200, v4
	s_and_not1_b32 exec_lo, exec_lo, s1
	s_cbranch_execnz .LBB125_36
.LBB125_37:
	s_or_b32 exec_lo, exec_lo, s0
	v_mov_b64_e32 v[42:43], 0
	v_mov_b64_e32 v[44:45], 0
	;; [unrolled: 1-line block ×4, first 2 shown]
	s_wait_dscnt 0x0
	s_barrier_signal -1
	s_barrier_wait -1
	s_and_saveexec_b32 s1, s2
	s_cbranch_execz .LBB125_57
; %bb.38:
	s_ashr_i32 s15, s14, 31
	v_dual_mov_b32 v43, 0 :: v_dual_lshlrev_b32 v42, 4, v54
	s_lshl_b64 s[14:15], s[14:15], 1
	s_ashr_i32 s3, s5, 31
	s_wait_kmcnt 0x0
	s_add_nc_u64 s[14:15], s[16:17], s[14:15]
	s_mov_b32 s2, s5
	v_add_nc_u64_e32 v[50:51], s[14:15], v[42:43]
	v_and_b32_e32 v42, 0x7c, v8
	s_lshl_b64 s[4:5], s[10:11], 2
	v_lshlrev_b32_e32 v55, 3, v1
	s_add_nc_u64 s[4:5], s[12:13], s[4:5]
	v_lshl_add_u32 v56, v1, 5, 0x220
	v_add_nc_u64_e32 v[52:53], s[4:5], v[42:43]
	v_dual_mov_b32 v42, v43 :: v_dual_mov_b32 v45, v43
	v_dual_mov_b32 v44, v43 :: v_dual_mov_b32 v47, v43
	;; [unrolled: 1-line block ×4, first 2 shown]
	s_add_co_i32 s4, s22, -1
	s_mov_b32 s10, s21
	s_mov_b32 s5, 0
	s_branch .LBB125_40
.LBB125_39:                             ;   in Loop: Header=BB125_40 Depth=1
	s_or_b32 exec_lo, exec_lo, s0
	s_wait_dscnt 0x1
	v_cvt_pk_bf16_f32 v18, v18, v19
	v_cvt_pk_bf16_f32 v19, v20, v21
	s_wait_dscnt 0x0
	v_cvt_pk_bf16_f32 v10, v10, v11
	v_cvt_pk_bf16_f32 v12, v12, v13
	v_add_nc_u64_e32 v[52:53], 16, v[52:53]
	s_wait_loadcnt 0x1
	v_pk_mul_bf16 v11, v18, v38
	v_pk_mul_bf16 v20, v19, v39
	;; [unrolled: 1-line block ×5, first 2 shown]
	s_delay_alu instid0(VALU_DEP_4)
	v_dual_lshlrev_b32 v21, 16, v11 :: v_dual_lshlrev_b32 v38, 16, v20
	v_and_b32_e32 v11, 0xffff0000, v11
	v_and_b32_e32 v20, 0xffff0000, v20
	v_lshlrev_b32_e32 v39, 16, v13
	v_and_b32_e32 v13, 0xffff0000, v13
	v_pk_mul_bf16 v36, v10, v36
	s_delay_alu instid0(VALU_DEP_4)
	v_dual_add_f32 v11, v21, v11 :: v_dual_add_f32 v20, v38, v20
	v_lshlrev_b32_e32 v38, 16, v34
	v_pk_mul_bf16 v21, v12, v41
	v_add_f32_e32 v13, v39, v13
	v_pk_mul_bf16 v37, v12, v37
	v_add_f32_e32 v11, v20, v11
	v_and_b32_e32 v20, 0xffff0000, v34
	v_dual_lshlrev_b32 v34, 16, v35 :: v_dual_lshlrev_b32 v39, 16, v21
	v_and_b32_e32 v35, 0xffff0000, v35
	v_and_b32_e32 v21, 0xffff0000, v21
	s_delay_alu instid0(VALU_DEP_4) | instskip(SKIP_1) | instid1(VALU_DEP_4)
	v_dual_add_f32 v20, v38, v20 :: v_dual_add_f32 v11, v13, v11
	v_pk_mul_bf16 v26, v18, v26
	v_dual_add_f32 v34, v34, v35 :: v_dual_lshlrev_b32 v35, 16, v36
	v_and_b32_e32 v36, 0xffff0000, v36
	v_add_f32_e32 v13, v39, v21
	v_pk_mul_bf16 v28, v10, v28
	s_delay_alu instid0(VALU_DEP_4) | instskip(NEXT) | instid1(VALU_DEP_4)
	v_dual_add_f32 v20, v34, v20 :: v_dual_lshlrev_b32 v34, 16, v37
	v_add_f32_e32 v21, v35, v36
	v_and_b32_e32 v35, 0xffff0000, v37
	v_add_f32_e32 v11, v13, v11
	v_pk_mul_bf16 v13, v19, v27
	s_delay_alu instid0(VALU_DEP_4) | instskip(NEXT) | instid1(VALU_DEP_4)
	v_dual_add_f32 v20, v21, v20 :: v_dual_lshlrev_b32 v27, 16, v26
	v_add_f32_e32 v21, v34, v35
	v_and_b32_e32 v26, 0xffff0000, v26
	s_delay_alu instid0(VALU_DEP_4) | instskip(SKIP_1) | instid1(VALU_DEP_3)
	v_dual_lshlrev_b32 v34, 16, v13 :: v_dual_add_f32 v42, v42, v11
	v_and_b32_e32 v13, 0xffff0000, v13
	v_dual_add_f32 v11, v21, v20 :: v_dual_add_f32 v20, v27, v26
	v_lshlrev_b32_e32 v21, 16, v28
	v_and_b32_e32 v26, 0xffff0000, v28
	s_delay_alu instid0(VALU_DEP_3) | instskip(SKIP_3) | instid1(VALU_DEP_4)
	v_dual_add_f32 v13, v34, v13 :: v_dual_add_f32 v45, v45, v11
	v_pk_mul_bf16 v11, v12, v29
	v_pk_mul_bf16 v24, v10, v24
	;; [unrolled: 1-line block ×3, first 2 shown]
	v_add_f32_e32 v13, v13, v20
	v_pk_mul_bf16 v20, v18, v22
	v_pk_mul_bf16 v22, v19, v23
	v_lshlrev_b32_e32 v23, 16, v11
	v_and_b32_e32 v11, 0xffff0000, v11
	s_delay_alu instid0(VALU_DEP_4) | instskip(SKIP_2) | instid1(VALU_DEP_4)
	v_dual_add_f32 v21, v21, v26 :: v_dual_lshlrev_b32 v26, 16, v20
	v_and_b32_e32 v20, 0xffff0000, v20
	v_pk_mul_bf16 v15, v19, v15
	v_dual_add_f32 v11, v23, v11 :: v_dual_lshlrev_b32 v27, 16, v22
	s_delay_alu instid0(VALU_DEP_4)
	v_add_f32_e32 v13, v21, v13
	v_and_b32_e32 v22, 0xffff0000, v22
	v_add_f32_e32 v20, v26, v20
	v_and_b32_e32 v23, 0xffff0000, v24
	v_pk_mul_bf16 v16, v10, v16
	v_add_f32_e32 v11, v11, v13
	v_dual_add_f32 v21, v27, v22 :: v_dual_lshlrev_b32 v22, 16, v24
	v_pk_mul_bf16 v24, v12, v25
	v_pk_mul_bf16 v6, v18, v6
	s_delay_alu instid0(VALU_DEP_3) | instskip(NEXT) | instid1(VALU_DEP_4)
	v_dual_add_f32 v44, v44, v11 :: v_dual_add_f32 v20, v21, v20
	v_dual_add_f32 v21, v22, v23 :: v_dual_lshlrev_b32 v22, 16, v14
	s_delay_alu instid0(VALU_DEP_4)
	v_lshlrev_b32_e32 v25, 16, v24
	v_and_b32_e32 v14, 0xffff0000, v14
	v_lshlrev_b32_e32 v23, 16, v15
	v_and_b32_e32 v15, 0xffff0000, v15
	v_and_b32_e32 v24, 0xffff0000, v24
	v_pk_mul_bf16 v11, v12, v17
	v_dual_add_f32 v14, v22, v14 :: v_dual_lshlrev_b32 v22, 16, v16
	s_delay_alu instid0(VALU_DEP_4) | instskip(SKIP_4) | instid1(VALU_DEP_4)
	v_add_f32_e32 v15, v23, v15
	v_and_b32_e32 v16, 0xffff0000, v16
	v_add_f32_e32 v13, v21, v20
	v_add_f32_e32 v20, v25, v24
	v_pk_mul_bf16 v7, v19, v7
	v_dual_add_f32 v14, v15, v14 :: v_dual_add_f32 v15, v22, v16
	s_delay_alu instid0(VALU_DEP_3) | instskip(SKIP_1) | instid1(VALU_DEP_3)
	v_dual_add_f32 v13, v20, v13 :: v_dual_lshlrev_b32 v16, 16, v6
	v_and_b32_e32 v6, 0xffff0000, v6
	v_dual_add_f32 v14, v15, v14 :: v_dual_lshlrev_b32 v17, 16, v7
	v_lshlrev_b32_e32 v15, 16, v11
	v_and_b32_e32 v11, 0xffff0000, v11
	v_and_b32_e32 v7, 0xffff0000, v7
	v_pk_mul_bf16 v8, v10, v8
	v_pk_mul_bf16 v2, v18, v2
	;; [unrolled: 1-line block ×3, first 2 shown]
	v_dual_add_f32 v11, v15, v11 :: v_dual_add_f32 v6, v16, v6
	s_delay_alu instid0(VALU_DEP_4) | instskip(SKIP_1) | instid1(VALU_DEP_4)
	v_dual_add_f32 v7, v17, v7 :: v_dual_lshlrev_b32 v15, 16, v8
	v_and_b32_e32 v8, 0xffff0000, v8
	v_dual_lshlrev_b32 v16, 16, v2 :: v_dual_lshlrev_b32 v17, 16, v3
	v_and_b32_e32 v2, 0xffff0000, v2
	v_and_b32_e32 v3, 0xffff0000, v3
	v_pk_mul_bf16 v9, v12, v9
	v_add_f32_e32 v20, v7, v6
	s_delay_alu instid0(VALU_DEP_4) | instskip(NEXT) | instid1(VALU_DEP_4)
	v_dual_add_f32 v15, v15, v8 :: v_dual_add_f32 v2, v16, v2
	v_add_f32_e32 v3, v17, v3
	v_pk_mul_bf16 v4, v10, v4
	v_lshlrev_b32_e32 v16, 16, v9
	v_pk_mul_bf16 v21, v12, v5
	s_wait_loadcnt 0x0
	v_pk_mul_bf16 v6, v10, v32
	v_add_f32_e32 v22, v3, v2
	v_pk_mul_bf16 v2, v18, v30
	v_lshlrev_b32_e32 v23, 16, v4
	v_and_b32_e32 v18, 0xffff0000, v4
	v_pk_mul_bf16 v4, v19, v31
	v_pk_mul_bf16 v8, v12, v33
	v_and_b32_e32 v3, 0xffff0000, v2
	v_lshlrev_b32_e32 v5, 16, v2
	v_and_b32_e32 v17, 0xffff0000, v9
	v_and_b32_e32 v2, 0xffff0000, v4
	v_dual_lshlrev_b32 v4, 16, v4 :: v_dual_lshlrev_b32 v9, 16, v6
	v_and_b32_e32 v7, 0xffff0000, v6
	v_and_b32_e32 v6, 0xffff0000, v8
	v_dual_lshlrev_b32 v8, 16, v8 :: v_dual_add_f32 v10, v23, v18
	s_delay_alu instid0(VALU_DEP_4) | instskip(SKIP_2) | instid1(VALU_DEP_4)
	v_pk_add_f32 v[2:3], v[4:5], v[2:3]
	v_lshlrev_b32_e32 v12, 16, v21
	v_and_b32_e32 v18, 0xffff0000, v21
	v_pk_add_f32 v[4:5], v[8:9], v[6:7]
	s_delay_alu instid0(VALU_DEP_4) | instskip(SKIP_1) | instid1(VALU_DEP_4)
	v_dual_add_f32 v6, v16, v17 :: v_dual_add_f32 v2, v2, v3
	v_dual_add_f32 v3, v15, v20 :: v_dual_add_f32 v7, v10, v22
	;; [unrolled: 1-line block ×3, first 2 shown]
	s_delay_alu instid0(VALU_DEP_3) | instskip(SKIP_1) | instid1(VALU_DEP_4)
	v_add_f32_e32 v2, v5, v2
	v_dual_add_f32 v5, v11, v14 :: v_dual_add_nc_u32 v57, 4, v57
	v_add_f32_e32 v3, v6, v3
	s_delay_alu instid0(VALU_DEP_4) | instskip(NEXT) | instid1(VALU_DEP_3)
	v_add_f32_e32 v6, v8, v7
	v_dual_add_f32 v2, v4, v2 :: v_dual_add_f32 v46, v46, v5
	s_delay_alu instid0(VALU_DEP_4) | instskip(NEXT) | instid1(VALU_DEP_3)
	v_cmp_le_i32_e32 vcc_lo, s22, v57
	v_dual_add_f32 v49, v49, v3 :: v_dual_add_f32 v48, v48, v6
	s_delay_alu instid0(VALU_DEP_3) | instskip(SKIP_2) | instid1(SALU_CYCLE_1)
	v_dual_add_f32 v43, v43, v2 :: v_dual_add_nc_u32 v55, 32, v55
	v_add_nc_u32_e32 v56, 0x80, v56
	s_or_b32 s5, vcc_lo, s5
	s_and_not1_b32 exec_lo, exec_lo, s5
	s_cbranch_execz .LBB125_56
.LBB125_40:                             ; =>This Inner Loop Header: Depth=1
	global_load_b32 v2, v[52:53], off
	v_cmp_eq_u32_e32 vcc_lo, s4, v57
	v_or_b32_e32 v62, 3, v55
	v_or_b32_e32 v64, 2, v55
	;; [unrolled: 1-line block ×5, first 2 shown]
	v_dual_add_nc_u32 v63, 1, v55 :: v_dual_bitop2_b32 v60, 6, v55 bitop3:0x54
	s_wait_loadcnt 0x0
	v_ashrrev_i32_e32 v3, 31, v2
	s_delay_alu instid0(VALU_DEP_1) | instskip(NEXT) | instid1(VALU_DEP_1)
	v_mul_u64_e32 v[2:3], s[2:3], v[2:3]
	v_lshl_add_u64 v[30:31], v[2:3], 1, v[50:51]
	global_load_b128 v[2:5], v[30:31], off
	ds_load_2addr_b64 v[18:21], v56 offset1:1
	ds_load_2addr_b64 v[10:13], v56 offset0:2 offset1:3
	s_wait_xcnt 0x0
	s_and_saveexec_b32 s11, vcc_lo
	s_cbranch_execnz .LBB125_48
; %bb.41:                               ;   in Loop: Header=BB125_40 Depth=1
	s_or_b32 exec_lo, exec_lo, s11
	global_load_b128 v[6:9], v[30:31], off offset:512
	s_wait_xcnt 0x0
	s_and_saveexec_b32 s11, vcc_lo
	s_cbranch_execnz .LBB125_49
.LBB125_42:                             ;   in Loop: Header=BB125_40 Depth=1
	s_or_b32 exec_lo, exec_lo, s11
	global_load_b128 v[14:17], v[30:31], off offset:1024
	s_wait_xcnt 0x0
	s_and_saveexec_b32 s11, vcc_lo
	s_cbranch_execnz .LBB125_50
.LBB125_43:                             ;   in Loop: Header=BB125_40 Depth=1
	s_or_b32 exec_lo, exec_lo, s11
	global_load_b128 v[22:25], v[30:31], off offset:1536
	s_wait_xcnt 0x0
	s_and_saveexec_b32 s11, vcc_lo
	s_cbranch_execnz .LBB125_51
.LBB125_44:                             ;   in Loop: Header=BB125_40 Depth=1
	s_or_b32 exec_lo, exec_lo, s11
	global_load_b128 v[26:29], v[30:31], off offset:2048
	s_wait_xcnt 0x0
	s_and_saveexec_b32 s11, vcc_lo
	s_cbranch_execnz .LBB125_52
.LBB125_45:                             ;   in Loop: Header=BB125_40 Depth=1
	s_or_b32 exec_lo, exec_lo, s11
	global_load_b128 v[34:37], v[30:31], off offset:2560
	s_wait_xcnt 0x0
	s_and_saveexec_b32 s11, vcc_lo
	s_cbranch_execnz .LBB125_53
.LBB125_46:                             ;   in Loop: Header=BB125_40 Depth=1
	s_or_b32 exec_lo, exec_lo, s11
	global_load_b128 v[38:41], v[30:31], off offset:3072
	s_wait_xcnt 0x0
	s_and_saveexec_b32 s11, vcc_lo
	s_cbranch_execnz .LBB125_54
.LBB125_47:                             ;   in Loop: Header=BB125_40 Depth=1
	s_or_b32 exec_lo, exec_lo, s11
	global_load_b128 v[30:33], v[30:31], off offset:3584
	s_wait_xcnt 0x0
	s_and_saveexec_b32 s0, vcc_lo
	s_cbranch_execz .LBB125_39
	s_branch .LBB125_55
.LBB125_48:                             ;   in Loop: Header=BB125_40 Depth=1
	v_cmp_gt_i32_e64 s0, s21, v55
	s_wait_loadcnt 0x0
	v_dual_lshrrev_b32 v6, 16, v2 :: v_dual_lshrrev_b32 v8, 16, v4
	s_delay_alu instid0(VALU_DEP_2) | instskip(SKIP_1) | instid1(VALU_DEP_1)
	v_cndmask_b32_e64 v2, 0, v2, s0
	v_cmp_gt_i32_e64 s0, s10, v63
	v_dual_lshrrev_b32 v7, 16, v3 :: v_dual_cndmask_b32 v6, 0, v6, s0
	v_cmp_gt_i32_e64 s0, s21, v64
	s_delay_alu instid0(VALU_DEP_2) | instskip(NEXT) | instid1(VALU_DEP_2)
	v_perm_b32 v2, v6, v2, 0x5040100
	v_cndmask_b32_e64 v3, 0, v3, s0
	v_cmp_gt_i32_e64 s0, s10, v62
	s_delay_alu instid0(VALU_DEP_1) | instskip(SKIP_1) | instid1(VALU_DEP_1)
	v_cndmask_b32_e64 v7, 0, v7, s0
	v_cmp_gt_i32_e64 s0, s21, v61
	v_cndmask_b32_e64 v4, 0, v4, s0
	v_cmp_gt_i32_e64 s0, s10, v59
	v_lshrrev_b32_e32 v9, 16, v5
	v_perm_b32 v3, v7, v3, 0x5040100
	s_delay_alu instid0(VALU_DEP_3) | instskip(SKIP_1) | instid1(VALU_DEP_2)
	v_cndmask_b32_e64 v8, 0, v8, s0
	v_cmp_gt_i32_e64 s0, s21, v60
	v_perm_b32 v4, v8, v4, 0x5040100
	s_delay_alu instid0(VALU_DEP_2) | instskip(SKIP_1) | instid1(VALU_DEP_1)
	v_cndmask_b32_e64 v5, 0, v5, s0
	v_cmp_gt_i32_e64 s0, s10, v58
	v_cndmask_b32_e64 v9, 0, v9, s0
	s_delay_alu instid0(VALU_DEP_1)
	v_perm_b32 v5, v9, v5, 0x5040100
	s_or_b32 exec_lo, exec_lo, s11
	global_load_b128 v[6:9], v[30:31], off offset:512
	s_wait_xcnt 0x0
	s_and_saveexec_b32 s11, vcc_lo
	s_cbranch_execz .LBB125_42
.LBB125_49:                             ;   in Loop: Header=BB125_40 Depth=1
	v_cmp_gt_i32_e64 s0, s21, v55
	s_wait_loadcnt 0x0
	v_dual_lshrrev_b32 v14, 16, v6 :: v_dual_lshrrev_b32 v16, 16, v8
	s_delay_alu instid0(VALU_DEP_2) | instskip(SKIP_1) | instid1(VALU_DEP_1)
	v_cndmask_b32_e64 v6, 0, v6, s0
	v_cmp_gt_i32_e64 s0, s10, v63
	v_dual_lshrrev_b32 v15, 16, v7 :: v_dual_cndmask_b32 v14, 0, v14, s0
	v_cmp_gt_i32_e64 s0, s21, v64
	s_delay_alu instid0(VALU_DEP_2) | instskip(NEXT) | instid1(VALU_DEP_2)
	v_perm_b32 v6, v14, v6, 0x5040100
	v_cndmask_b32_e64 v7, 0, v7, s0
	v_cmp_gt_i32_e64 s0, s10, v62
	s_delay_alu instid0(VALU_DEP_1) | instskip(SKIP_1) | instid1(VALU_DEP_1)
	v_cndmask_b32_e64 v15, 0, v15, s0
	v_cmp_gt_i32_e64 s0, s21, v61
	v_cndmask_b32_e64 v8, 0, v8, s0
	v_cmp_gt_i32_e64 s0, s10, v59
	v_lshrrev_b32_e32 v17, 16, v9
	v_perm_b32 v7, v15, v7, 0x5040100
	s_delay_alu instid0(VALU_DEP_3) | instskip(SKIP_1) | instid1(VALU_DEP_2)
	v_cndmask_b32_e64 v16, 0, v16, s0
	v_cmp_gt_i32_e64 s0, s21, v60
	v_perm_b32 v8, v16, v8, 0x5040100
	s_delay_alu instid0(VALU_DEP_2) | instskip(SKIP_1) | instid1(VALU_DEP_1)
	v_cndmask_b32_e64 v9, 0, v9, s0
	v_cmp_gt_i32_e64 s0, s10, v58
	v_cndmask_b32_e64 v17, 0, v17, s0
	s_delay_alu instid0(VALU_DEP_1)
	v_perm_b32 v9, v17, v9, 0x5040100
	s_or_b32 exec_lo, exec_lo, s11
	global_load_b128 v[14:17], v[30:31], off offset:1024
	s_wait_xcnt 0x0
	s_and_saveexec_b32 s11, vcc_lo
	s_cbranch_execz .LBB125_43
.LBB125_50:                             ;   in Loop: Header=BB125_40 Depth=1
	v_cmp_gt_i32_e64 s0, s21, v55
	s_wait_loadcnt 0x0
	v_dual_lshrrev_b32 v22, 16, v14 :: v_dual_lshrrev_b32 v24, 16, v16
	s_delay_alu instid0(VALU_DEP_2) | instskip(SKIP_1) | instid1(VALU_DEP_1)
	v_cndmask_b32_e64 v14, 0, v14, s0
	v_cmp_gt_i32_e64 s0, s10, v63
	v_dual_lshrrev_b32 v23, 16, v15 :: v_dual_cndmask_b32 v22, 0, v22, s0
	v_cmp_gt_i32_e64 s0, s21, v64
	s_delay_alu instid0(VALU_DEP_2) | instskip(NEXT) | instid1(VALU_DEP_2)
	v_perm_b32 v14, v22, v14, 0x5040100
	v_cndmask_b32_e64 v15, 0, v15, s0
	v_cmp_gt_i32_e64 s0, s10, v62
	s_delay_alu instid0(VALU_DEP_1) | instskip(SKIP_1) | instid1(VALU_DEP_1)
	v_cndmask_b32_e64 v23, 0, v23, s0
	v_cmp_gt_i32_e64 s0, s21, v61
	v_cndmask_b32_e64 v16, 0, v16, s0
	v_cmp_gt_i32_e64 s0, s10, v59
	v_lshrrev_b32_e32 v25, 16, v17
	v_perm_b32 v15, v23, v15, 0x5040100
	s_delay_alu instid0(VALU_DEP_3) | instskip(SKIP_1) | instid1(VALU_DEP_2)
	v_cndmask_b32_e64 v24, 0, v24, s0
	v_cmp_gt_i32_e64 s0, s21, v60
	v_perm_b32 v16, v24, v16, 0x5040100
	s_delay_alu instid0(VALU_DEP_2) | instskip(SKIP_1) | instid1(VALU_DEP_1)
	v_cndmask_b32_e64 v17, 0, v17, s0
	v_cmp_gt_i32_e64 s0, s10, v58
	v_cndmask_b32_e64 v25, 0, v25, s0
	s_delay_alu instid0(VALU_DEP_1)
	v_perm_b32 v17, v25, v17, 0x5040100
	s_or_b32 exec_lo, exec_lo, s11
	global_load_b128 v[22:25], v[30:31], off offset:1536
	s_wait_xcnt 0x0
	s_and_saveexec_b32 s11, vcc_lo
	s_cbranch_execz .LBB125_44
.LBB125_51:                             ;   in Loop: Header=BB125_40 Depth=1
	v_cmp_gt_i32_e64 s0, s21, v55
	s_wait_loadcnt 0x0
	v_dual_lshrrev_b32 v26, 16, v22 :: v_dual_lshrrev_b32 v28, 16, v24
	s_delay_alu instid0(VALU_DEP_2) | instskip(SKIP_1) | instid1(VALU_DEP_1)
	v_cndmask_b32_e64 v22, 0, v22, s0
	v_cmp_gt_i32_e64 s0, s10, v63
	v_dual_lshrrev_b32 v27, 16, v23 :: v_dual_cndmask_b32 v26, 0, v26, s0
	v_cmp_gt_i32_e64 s0, s21, v64
	s_delay_alu instid0(VALU_DEP_2) | instskip(NEXT) | instid1(VALU_DEP_2)
	v_perm_b32 v22, v26, v22, 0x5040100
	v_cndmask_b32_e64 v23, 0, v23, s0
	v_cmp_gt_i32_e64 s0, s10, v62
	s_delay_alu instid0(VALU_DEP_1) | instskip(SKIP_1) | instid1(VALU_DEP_1)
	v_cndmask_b32_e64 v27, 0, v27, s0
	v_cmp_gt_i32_e64 s0, s21, v61
	v_cndmask_b32_e64 v24, 0, v24, s0
	v_cmp_gt_i32_e64 s0, s10, v59
	v_lshrrev_b32_e32 v29, 16, v25
	v_perm_b32 v23, v27, v23, 0x5040100
	s_delay_alu instid0(VALU_DEP_3) | instskip(SKIP_1) | instid1(VALU_DEP_2)
	v_cndmask_b32_e64 v28, 0, v28, s0
	v_cmp_gt_i32_e64 s0, s21, v60
	v_perm_b32 v24, v28, v24, 0x5040100
	s_delay_alu instid0(VALU_DEP_2) | instskip(SKIP_1) | instid1(VALU_DEP_1)
	v_cndmask_b32_e64 v25, 0, v25, s0
	v_cmp_gt_i32_e64 s0, s10, v58
	v_cndmask_b32_e64 v29, 0, v29, s0
	s_delay_alu instid0(VALU_DEP_1)
	v_perm_b32 v25, v29, v25, 0x5040100
	s_or_b32 exec_lo, exec_lo, s11
	global_load_b128 v[26:29], v[30:31], off offset:2048
	s_wait_xcnt 0x0
	s_and_saveexec_b32 s11, vcc_lo
	s_cbranch_execz .LBB125_45
.LBB125_52:                             ;   in Loop: Header=BB125_40 Depth=1
	v_cmp_gt_i32_e64 s0, s21, v55
	s_wait_loadcnt 0x0
	s_delay_alu instid0(VALU_DEP_1) | instskip(SKIP_1) | instid1(VALU_DEP_1)
	v_dual_lshrrev_b32 v32, 16, v26 :: v_dual_cndmask_b32 v26, 0, v26, s0
	v_cmp_gt_i32_e64 s0, s10, v63
	v_dual_lshrrev_b32 v33, 16, v27 :: v_dual_cndmask_b32 v32, 0, v32, s0
	v_cmp_gt_i32_e64 s0, s21, v64
	s_delay_alu instid0(VALU_DEP_2) | instskip(NEXT) | instid1(VALU_DEP_2)
	v_perm_b32 v26, v32, v26, 0x5040100
	v_cndmask_b32_e64 v27, 0, v27, s0
	v_cmp_gt_i32_e64 s0, s10, v62
	s_delay_alu instid0(VALU_DEP_1) | instskip(SKIP_2) | instid1(VALU_DEP_3)
	v_cndmask_b32_e64 v33, 0, v33, s0
	v_cmp_gt_i32_e64 s0, s21, v61
	v_lshrrev_b32_e32 v34, 16, v28
	v_perm_b32 v27, v33, v27, 0x5040100
	s_delay_alu instid0(VALU_DEP_3) | instskip(SKIP_1) | instid1(VALU_DEP_1)
	v_cndmask_b32_e64 v28, 0, v28, s0
	v_cmp_gt_i32_e64 s0, s10, v59
	v_dual_lshrrev_b32 v35, 16, v29 :: v_dual_cndmask_b32 v34, 0, v34, s0
	v_cmp_gt_i32_e64 s0, s21, v60
	s_delay_alu instid0(VALU_DEP_2) | instskip(NEXT) | instid1(VALU_DEP_2)
	v_perm_b32 v28, v34, v28, 0x5040100
	v_cndmask_b32_e64 v29, 0, v29, s0
	v_cmp_gt_i32_e64 s0, s10, v58
	s_delay_alu instid0(VALU_DEP_1) | instskip(NEXT) | instid1(VALU_DEP_1)
	v_cndmask_b32_e64 v35, 0, v35, s0
	v_perm_b32 v29, v35, v29, 0x5040100
	s_or_b32 exec_lo, exec_lo, s11
	global_load_b128 v[34:37], v[30:31], off offset:2560
	s_wait_xcnt 0x0
	s_and_saveexec_b32 s11, vcc_lo
	s_cbranch_execz .LBB125_46
.LBB125_53:                             ;   in Loop: Header=BB125_40 Depth=1
	v_cmp_gt_i32_e64 s0, s21, v55
	s_wait_loadcnt 0x0
	s_delay_alu instid0(VALU_DEP_1) | instskip(SKIP_1) | instid1(VALU_DEP_1)
	v_dual_lshrrev_b32 v32, 16, v34 :: v_dual_cndmask_b32 v33, 0, v34, s0
	v_cmp_gt_i32_e64 s0, s10, v63
	v_dual_lshrrev_b32 v34, 16, v35 :: v_dual_cndmask_b32 v32, 0, v32, s0
	v_cmp_gt_i32_e64 s0, s21, v64
	s_delay_alu instid0(VALU_DEP_1) | instskip(SKIP_1) | instid1(VALU_DEP_1)
	v_cndmask_b32_e64 v35, 0, v35, s0
	v_cmp_gt_i32_e64 s0, s10, v62
	v_cndmask_b32_e64 v38, 0, v34, s0
	v_cmp_gt_i32_e64 s0, s21, v61
	v_lshrrev_b32_e32 v34, 16, v36
	s_delay_alu instid0(VALU_DEP_3) | instskip(NEXT) | instid1(VALU_DEP_3)
	v_perm_b32 v35, v38, v35, 0x5040100
	v_cndmask_b32_e64 v36, 0, v36, s0
	v_cmp_gt_i32_e64 s0, s10, v59
	s_delay_alu instid0(VALU_DEP_1) | instskip(SKIP_2) | instid1(VALU_DEP_3)
	v_dual_lshrrev_b32 v39, 16, v37 :: v_dual_cndmask_b32 v40, 0, v34, s0
	v_cmp_gt_i32_e64 s0, s21, v60
	v_perm_b32 v34, v32, v33, 0x5040100
	v_perm_b32 v36, v40, v36, 0x5040100
	s_delay_alu instid0(VALU_DEP_3) | instskip(SKIP_1) | instid1(VALU_DEP_1)
	v_cndmask_b32_e64 v37, 0, v37, s0
	v_cmp_gt_i32_e64 s0, s10, v58
	v_cndmask_b32_e64 v39, 0, v39, s0
	s_delay_alu instid0(VALU_DEP_1)
	v_perm_b32 v37, v39, v37, 0x5040100
	s_or_b32 exec_lo, exec_lo, s11
	global_load_b128 v[38:41], v[30:31], off offset:3072
	s_wait_xcnt 0x0
	s_and_saveexec_b32 s11, vcc_lo
	s_cbranch_execz .LBB125_47
.LBB125_54:                             ;   in Loop: Header=BB125_40 Depth=1
	v_cmp_gt_i32_e64 s0, s21, v55
	s_wait_loadcnt 0x0
	s_delay_alu instid0(VALU_DEP_1) | instskip(SKIP_1) | instid1(VALU_DEP_1)
	v_dual_lshrrev_b32 v32, 16, v38 :: v_dual_cndmask_b32 v33, 0, v38, s0
	v_cmp_gt_i32_e64 s0, s10, v63
	v_dual_lshrrev_b32 v38, 16, v39 :: v_dual_cndmask_b32 v32, 0, v32, s0
	v_cmp_gt_i32_e64 s0, s21, v64
	s_delay_alu instid0(VALU_DEP_1) | instskip(SKIP_1) | instid1(VALU_DEP_1)
	v_cndmask_b32_e64 v39, 0, v39, s0
	v_cmp_gt_i32_e64 s0, s10, v62
	v_cndmask_b32_e64 v65, 0, v38, s0
	v_cmp_gt_i32_e64 s0, s21, v61
	v_lshrrev_b32_e32 v38, 16, v40
	s_delay_alu instid0(VALU_DEP_3) | instskip(NEXT) | instid1(VALU_DEP_3)
	v_perm_b32 v39, v65, v39, 0x5040100
	v_cndmask_b32_e64 v40, 0, v40, s0
	v_cmp_gt_i32_e64 s0, s10, v59
	s_delay_alu instid0(VALU_DEP_1) | instskip(SKIP_2) | instid1(VALU_DEP_3)
	v_dual_lshrrev_b32 v66, 16, v41 :: v_dual_cndmask_b32 v67, 0, v38, s0
	v_cmp_gt_i32_e64 s0, s21, v60
	v_perm_b32 v38, v32, v33, 0x5040100
	v_perm_b32 v40, v67, v40, 0x5040100
	s_delay_alu instid0(VALU_DEP_3) | instskip(SKIP_1) | instid1(VALU_DEP_1)
	v_cndmask_b32_e64 v41, 0, v41, s0
	v_cmp_gt_i32_e64 s0, s10, v58
	v_cndmask_b32_e64 v66, 0, v66, s0
	s_delay_alu instid0(VALU_DEP_1)
	v_perm_b32 v41, v66, v41, 0x5040100
	s_or_b32 exec_lo, exec_lo, s11
	global_load_b128 v[30:33], v[30:31], off offset:3584
	s_wait_xcnt 0x0
	s_and_saveexec_b32 s0, vcc_lo
	s_cbranch_execz .LBB125_39
.LBB125_55:                             ;   in Loop: Header=BB125_40 Depth=1
	v_cmp_gt_i32_e32 vcc_lo, s21, v55
	s_wait_loadcnt 0x0
	v_dual_cndmask_b32 v30, 0, v30 :: v_dual_lshrrev_b32 v65, 16, v30
	v_cmp_gt_i32_e32 vcc_lo, s10, v63
	s_delay_alu instid0(VALU_DEP_2) | instskip(SKIP_1) | instid1(VALU_DEP_2)
	v_dual_cndmask_b32 v63, 0, v65 :: v_dual_lshrrev_b32 v66, 16, v31
	v_cmp_gt_i32_e32 vcc_lo, s21, v64
	v_perm_b32 v30, v63, v30, 0x5040100
	v_cndmask_b32_e32 v31, 0, v31, vcc_lo
	v_cmp_gt_i32_e32 vcc_lo, s10, v62
	v_cndmask_b32_e32 v62, 0, v66, vcc_lo
	v_cmp_gt_i32_e32 vcc_lo, s21, v61
	v_lshrrev_b32_e32 v64, 16, v32
	s_delay_alu instid0(VALU_DEP_3) | instskip(SKIP_2) | instid1(VALU_DEP_4)
	v_perm_b32 v31, v62, v31, 0x5040100
	v_cndmask_b32_e32 v32, 0, v32, vcc_lo
	v_cmp_gt_i32_e32 vcc_lo, s10, v59
	v_dual_lshrrev_b32 v61, 16, v33 :: v_dual_cndmask_b32 v59, 0, v64, vcc_lo
	v_cmp_gt_i32_e32 vcc_lo, s21, v60
	s_delay_alu instid0(VALU_DEP_2) | instskip(SKIP_3) | instid1(VALU_DEP_1)
	v_perm_b32 v32, v59, v32, 0x5040100
	v_cndmask_b32_e32 v33, 0, v33, vcc_lo
	v_cmp_gt_i32_e32 vcc_lo, s10, v58
	v_cndmask_b32_e32 v58, 0, v61, vcc_lo
	v_perm_b32 v33, v58, v33, 0x5040100
	s_branch .LBB125_39
.LBB125_56:
	s_or_b32 exec_lo, exec_lo, s5
.LBB125_57:
	s_delay_alu instid0(SALU_CYCLE_1) | instskip(SKIP_4) | instid1(VALU_DEP_2)
	s_or_b32 exec_lo, exec_lo, s1
	v_lshl_add_u32 v2, v54, 2, 0x220
	v_and_b32_e32 v3, 0x3c0, v0
	s_mov_b32 s0, exec_lo
	s_barrier_signal -1
	v_lshl_add_u32 v1, v1, 10, v2
	s_barrier_wait -1
	v_cmpx_eq_u32_e32 64, v3
	s_cbranch_execz .LBB125_59
; %bb.58:
	s_delay_alu instid0(VALU_DEP_2)
	v_add_nc_u32_e32 v3, 0xfffff800, v1
	v_add_nc_u32_e32 v4, 0xfffff880, v1
	;; [unrolled: 1-line block ×8, first 2 shown]
	ds_store_b32 v3, v48
	ds_store_b32 v4, v49
	;; [unrolled: 1-line block ×8, first 2 shown]
.LBB125_59:
	s_or_b32 exec_lo, exec_lo, s0
	s_delay_alu instid0(SALU_CYCLE_1)
	s_mov_b32 s0, exec_lo
	s_wait_dscnt 0x0
	s_barrier_signal -1
	s_barrier_wait -1
	v_cmpx_gt_u32_e32 64, v0
	s_cbranch_execz .LBB125_61
; %bb.60:
	ds_load_2addr_b32 v[4:5], v1 offset1:32
	ds_load_2addr_b32 v[6:7], v1 offset0:64 offset1:96
	ds_load_2addr_b32 v[8:9], v1 offset0:128 offset1:160
	;; [unrolled: 1-line block ×3, first 2 shown]
	s_wait_dscnt 0x3
	v_pk_add_f32 v[48:49], v[48:49], v[4:5]
	s_wait_dscnt 0x2
	v_pk_add_f32 v[46:47], v[46:47], v[6:7]
	;; [unrolled: 2-line block ×4, first 2 shown]
.LBB125_61:
	s_or_b32 exec_lo, exec_lo, s0
	v_and_b32_e32 v3, 0x3e0, v0
	s_mov_b32 s0, exec_lo
	s_barrier_signal -1
	s_barrier_wait -1
	s_delay_alu instid0(VALU_DEP_1)
	v_cmpx_eq_u32_e32 32, v3
	s_cbranch_execz .LBB125_63
; %bb.62:
	ds_store_2addr_b32 v2, v48, v49 offset1:32
	ds_store_2addr_b32 v2, v46, v47 offset0:64 offset1:96
	ds_store_2addr_b32 v2, v44, v45 offset0:128 offset1:160
	;; [unrolled: 1-line block ×3, first 2 shown]
.LBB125_63:
	s_or_b32 exec_lo, exec_lo, s0
	v_cmp_gt_u32_e32 vcc_lo, 32, v0
	s_wait_dscnt 0x0
	s_barrier_signal -1
	s_barrier_wait -1
	s_and_saveexec_b32 s0, vcc_lo
	s_cbranch_execz .LBB125_65
; %bb.64:
	ds_load_2addr_b32 v[2:3], v1 offset1:32
	ds_load_2addr_b32 v[4:5], v1 offset0:64 offset1:96
	ds_load_2addr_b32 v[6:7], v1 offset0:128 offset1:160
	;; [unrolled: 1-line block ×3, first 2 shown]
	s_wait_dscnt 0x3
	v_pk_add_f32 v[48:49], v[48:49], v[2:3]
	s_wait_dscnt 0x2
	v_pk_add_f32 v[46:47], v[46:47], v[4:5]
	;; [unrolled: 2-line block ×4, first 2 shown]
.LBB125_65:
	s_or_b32 exec_lo, exec_lo, s0
	s_barrier_signal -1
	s_barrier_wait -1
	s_and_saveexec_b32 s0, vcc_lo
	s_cbranch_execz .LBB125_67
; %bb.66:
	s_wait_kmcnt 0x0
	s_mul_i32 s1, s20, s9
	s_bfe_u32 s5, ttmp6, 0x40014
	s_mul_i32 s1, s1, s19
	s_mul_i32 s0, s9, s8
	s_lshl_b32 s2, s1, 8
	s_lshr_b32 s4, ttmp7, 16
	s_ashr_i32 s3, s2, 31
	s_add_co_i32 s5, s5, 1
	s_lshl_b64 s[2:3], s[2:3], 1
	s_ashr_i32 s1, s0, 31
	s_add_nc_u64 s[2:3], s[6:7], s[2:3]
	s_mul_i32 s5, s4, s5
	s_bfe_u32 s6, ttmp6, 0x40008
	s_lshl_b64 s[0:1], s[0:1], 1
	s_add_co_i32 s6, s6, s5
	s_cmp_eq_u32 s18, 0
	s_add_nc_u64 s[0:1], s[2:3], s[0:1]
	s_cselect_b32 s2, s4, s6
	s_mov_b32 s3, 0
	s_lshl_b32 s2, s2, 9
	s_delay_alu instid0(SALU_CYCLE_1) | instskip(NEXT) | instid1(SALU_CYCLE_1)
	s_add_nc_u64 s[0:1], s[0:1], s[2:3]
	v_cvt_pk_bf16_f32 v1, v48, s0
	v_cvt_pk_bf16_f32 v2, v49, s0
	;; [unrolled: 1-line block ×8, first 2 shown]
	s_clause 0x7
	global_store_b16 v0, v1, s[0:1] scale_offset
	global_store_b16 v0, v2, s[0:1] offset:64 scale_offset
	global_store_b16 v0, v3, s[0:1] offset:128 scale_offset
	;; [unrolled: 1-line block ×7, first 2 shown]
.LBB125_67:
	s_sendmsg sendmsg(MSG_DEALLOC_VGPRS)
	s_endpgm
	.section	.rodata,"a",@progbits
	.p2align	6, 0x0
	.amdhsa_kernel _ZN4vllm25paged_attention_v1_kernelI14__hip_bfloat16S1_Li256ELi8ELi128ELNS_18Fp8KVCacheDataTypeE0ELb0EEEvPT_PKS3_PKT0_S9_ifPKiSB_iPKfiiiSD_SD_iiiii
		.amdhsa_group_segment_fixed_size 544
		.amdhsa_private_segment_fixed_size 0
		.amdhsa_kernarg_size 384
		.amdhsa_user_sgpr_count 2
		.amdhsa_user_sgpr_dispatch_ptr 0
		.amdhsa_user_sgpr_queue_ptr 0
		.amdhsa_user_sgpr_kernarg_segment_ptr 1
		.amdhsa_user_sgpr_dispatch_id 0
		.amdhsa_user_sgpr_kernarg_preload_length 0
		.amdhsa_user_sgpr_kernarg_preload_offset 0
		.amdhsa_user_sgpr_private_segment_size 0
		.amdhsa_wavefront_size32 1
		.amdhsa_uses_dynamic_stack 0
		.amdhsa_enable_private_segment 0
		.amdhsa_system_sgpr_workgroup_id_x 1
		.amdhsa_system_sgpr_workgroup_id_y 1
		.amdhsa_system_sgpr_workgroup_id_z 1
		.amdhsa_system_sgpr_workgroup_info 0
		.amdhsa_system_vgpr_workitem_id 0
		.amdhsa_next_free_vgpr 113
		.amdhsa_next_free_sgpr 28
		.amdhsa_named_barrier_count 0
		.amdhsa_reserve_vcc 1
		.amdhsa_float_round_mode_32 0
		.amdhsa_float_round_mode_16_64 0
		.amdhsa_float_denorm_mode_32 3
		.amdhsa_float_denorm_mode_16_64 3
		.amdhsa_fp16_overflow 0
		.amdhsa_memory_ordered 1
		.amdhsa_forward_progress 1
		.amdhsa_inst_pref_size 67
		.amdhsa_round_robin_scheduling 0
		.amdhsa_exception_fp_ieee_invalid_op 0
		.amdhsa_exception_fp_denorm_src 0
		.amdhsa_exception_fp_ieee_div_zero 0
		.amdhsa_exception_fp_ieee_overflow 0
		.amdhsa_exception_fp_ieee_underflow 0
		.amdhsa_exception_fp_ieee_inexact 0
		.amdhsa_exception_int_div_zero 0
	.end_amdhsa_kernel
	.section	.text._ZN4vllm25paged_attention_v1_kernelI14__hip_bfloat16S1_Li256ELi8ELi128ELNS_18Fp8KVCacheDataTypeE0ELb0EEEvPT_PKS3_PKT0_S9_ifPKiSB_iPKfiiiSD_SD_iiiii,"axG",@progbits,_ZN4vllm25paged_attention_v1_kernelI14__hip_bfloat16S1_Li256ELi8ELi128ELNS_18Fp8KVCacheDataTypeE0ELb0EEEvPT_PKS3_PKT0_S9_ifPKiSB_iPKfiiiSD_SD_iiiii,comdat
.Lfunc_end125:
	.size	_ZN4vllm25paged_attention_v1_kernelI14__hip_bfloat16S1_Li256ELi8ELi128ELNS_18Fp8KVCacheDataTypeE0ELb0EEEvPT_PKS3_PKT0_S9_ifPKiSB_iPKfiiiSD_SD_iiiii, .Lfunc_end125-_ZN4vllm25paged_attention_v1_kernelI14__hip_bfloat16S1_Li256ELi8ELi128ELNS_18Fp8KVCacheDataTypeE0ELb0EEEvPT_PKS3_PKT0_S9_ifPKiSB_iPKfiiiSD_SD_iiiii
                                        ; -- End function
	.set _ZN4vllm25paged_attention_v1_kernelI14__hip_bfloat16S1_Li256ELi8ELi128ELNS_18Fp8KVCacheDataTypeE0ELb0EEEvPT_PKS3_PKT0_S9_ifPKiSB_iPKfiiiSD_SD_iiiii.num_vgpr, 113
	.set _ZN4vllm25paged_attention_v1_kernelI14__hip_bfloat16S1_Li256ELi8ELi128ELNS_18Fp8KVCacheDataTypeE0ELb0EEEvPT_PKS3_PKT0_S9_ifPKiSB_iPKfiiiSD_SD_iiiii.num_agpr, 0
	.set _ZN4vllm25paged_attention_v1_kernelI14__hip_bfloat16S1_Li256ELi8ELi128ELNS_18Fp8KVCacheDataTypeE0ELb0EEEvPT_PKS3_PKT0_S9_ifPKiSB_iPKfiiiSD_SD_iiiii.numbered_sgpr, 28
	.set _ZN4vllm25paged_attention_v1_kernelI14__hip_bfloat16S1_Li256ELi8ELi128ELNS_18Fp8KVCacheDataTypeE0ELb0EEEvPT_PKS3_PKT0_S9_ifPKiSB_iPKfiiiSD_SD_iiiii.num_named_barrier, 0
	.set _ZN4vllm25paged_attention_v1_kernelI14__hip_bfloat16S1_Li256ELi8ELi128ELNS_18Fp8KVCacheDataTypeE0ELb0EEEvPT_PKS3_PKT0_S9_ifPKiSB_iPKfiiiSD_SD_iiiii.private_seg_size, 0
	.set _ZN4vllm25paged_attention_v1_kernelI14__hip_bfloat16S1_Li256ELi8ELi128ELNS_18Fp8KVCacheDataTypeE0ELb0EEEvPT_PKS3_PKT0_S9_ifPKiSB_iPKfiiiSD_SD_iiiii.uses_vcc, 1
	.set _ZN4vllm25paged_attention_v1_kernelI14__hip_bfloat16S1_Li256ELi8ELi128ELNS_18Fp8KVCacheDataTypeE0ELb0EEEvPT_PKS3_PKT0_S9_ifPKiSB_iPKfiiiSD_SD_iiiii.uses_flat_scratch, 0
	.set _ZN4vllm25paged_attention_v1_kernelI14__hip_bfloat16S1_Li256ELi8ELi128ELNS_18Fp8KVCacheDataTypeE0ELb0EEEvPT_PKS3_PKT0_S9_ifPKiSB_iPKfiiiSD_SD_iiiii.has_dyn_sized_stack, 0
	.set _ZN4vllm25paged_attention_v1_kernelI14__hip_bfloat16S1_Li256ELi8ELi128ELNS_18Fp8KVCacheDataTypeE0ELb0EEEvPT_PKS3_PKT0_S9_ifPKiSB_iPKfiiiSD_SD_iiiii.has_recursion, 0
	.set _ZN4vllm25paged_attention_v1_kernelI14__hip_bfloat16S1_Li256ELi8ELi128ELNS_18Fp8KVCacheDataTypeE0ELb0EEEvPT_PKS3_PKT0_S9_ifPKiSB_iPKfiiiSD_SD_iiiii.has_indirect_call, 0
	.section	.AMDGPU.csdata,"",@progbits
; Kernel info:
; codeLenInByte = 8564
; TotalNumSgprs: 30
; NumVgprs: 113
; ScratchSize: 0
; MemoryBound: 0
; FloatMode: 240
; IeeeMode: 1
; LDSByteSize: 544 bytes/workgroup (compile time only)
; SGPRBlocks: 0
; VGPRBlocks: 7
; NumSGPRsForWavesPerEU: 30
; NumVGPRsForWavesPerEU: 113
; NamedBarCnt: 0
; Occupancy: 8
; WaveLimiterHint : 1
; COMPUTE_PGM_RSRC2:SCRATCH_EN: 0
; COMPUTE_PGM_RSRC2:USER_SGPR: 2
; COMPUTE_PGM_RSRC2:TRAP_HANDLER: 0
; COMPUTE_PGM_RSRC2:TGID_X_EN: 1
; COMPUTE_PGM_RSRC2:TGID_Y_EN: 1
; COMPUTE_PGM_RSRC2:TGID_Z_EN: 1
; COMPUTE_PGM_RSRC2:TIDIG_COMP_CNT: 0
	.section	.text._ZN4vllm25paged_attention_v1_kernelI14__hip_bfloat16S1_Li32ELi16ELi128ELNS_18Fp8KVCacheDataTypeE0ELb1EEEvPT_PKS3_PKT0_S9_ifPKiSB_iPKfiiiSD_SD_iiiii,"axG",@progbits,_ZN4vllm25paged_attention_v1_kernelI14__hip_bfloat16S1_Li32ELi16ELi128ELNS_18Fp8KVCacheDataTypeE0ELb1EEEvPT_PKS3_PKT0_S9_ifPKiSB_iPKfiiiSD_SD_iiiii,comdat
	.protected	_ZN4vllm25paged_attention_v1_kernelI14__hip_bfloat16S1_Li32ELi16ELi128ELNS_18Fp8KVCacheDataTypeE0ELb1EEEvPT_PKS3_PKT0_S9_ifPKiSB_iPKfiiiSD_SD_iiiii ; -- Begin function _ZN4vllm25paged_attention_v1_kernelI14__hip_bfloat16S1_Li32ELi16ELi128ELNS_18Fp8KVCacheDataTypeE0ELb1EEEvPT_PKS3_PKT0_S9_ifPKiSB_iPKfiiiSD_SD_iiiii
	.globl	_ZN4vllm25paged_attention_v1_kernelI14__hip_bfloat16S1_Li32ELi16ELi128ELNS_18Fp8KVCacheDataTypeE0ELb1EEEvPT_PKS3_PKT0_S9_ifPKiSB_iPKfiiiSD_SD_iiiii
	.p2align	8
	.type	_ZN4vllm25paged_attention_v1_kernelI14__hip_bfloat16S1_Li32ELi16ELi128ELNS_18Fp8KVCacheDataTypeE0ELb1EEEvPT_PKS3_PKT0_S9_ifPKiSB_iPKfiiiSD_SD_iiiii,@function
_ZN4vllm25paged_attention_v1_kernelI14__hip_bfloat16S1_Li32ELi16ELi128ELNS_18Fp8KVCacheDataTypeE0ELb1EEEvPT_PKS3_PKT0_S9_ifPKiSB_iPKfiiiSD_SD_iiiii: ; @_ZN4vllm25paged_attention_v1_kernelI14__hip_bfloat16S1_Li32ELi16ELi128ELNS_18Fp8KVCacheDataTypeE0ELb1EEEvPT_PKS3_PKT0_S9_ifPKiSB_iPKfiiiSD_SD_iiiii
; %bb.0:
	s_load_b64 s[22:23], s[0:1], 0x20
	s_bfe_u32 s3, ttmp6, 0x4000c
	s_bfe_u32 s4, ttmp6, 0x40010
	s_and_b32 s6, ttmp7, 0xffff
	s_add_co_i32 s3, s3, 1
	s_add_co_i32 s4, s4, 1
	s_and_b32 s2, ttmp6, 15
	s_bfe_u32 s5, ttmp6, 0x40004
	s_mul_i32 s3, ttmp9, s3
	s_mul_i32 s4, s6, s4
	s_getreg_b32 s28, hwreg(HW_REG_IB_STS2, 6, 4)
	s_add_co_i32 s2, s2, s3
	s_add_co_i32 s3, s5, s4
	s_cmp_eq_u32 s28, 0
	s_clause 0x1
	s_load_b32 s29, s[0:1], 0x80
	s_load_b64 s[4:5], s[0:1], 0x30
	s_cselect_b32 s30, s6, s3
	s_cselect_b32 s2, ttmp9, s2
	s_mov_b32 s17, 0
	s_delay_alu instid0(SALU_CYCLE_1) | instskip(SKIP_2) | instid1(SALU_CYCLE_1)
	s_mov_b32 s35, s17
	s_wait_kmcnt 0x0
	s_abs_i32 s3, s22
	s_cvt_f32_u32 s6, s3
	s_sub_co_i32 s7, 0, s3
	s_delay_alu instid0(SALU_CYCLE_2) | instskip(SKIP_2) | instid1(TRANS32_DEP_1)
	v_rcp_iflag_f32_e32 v1, s6
	s_abs_i32 s8, s29
	v_nop
	v_readfirstlane_b32 s6, v1
	s_mul_f32 s6, s6, 0x4f7ffffe
	s_delay_alu instid0(SALU_CYCLE_3) | instskip(NEXT) | instid1(SALU_CYCLE_3)
	s_cvt_u32_f32 s6, s6
	s_mul_i32 s7, s7, s6
	s_delay_alu instid0(SALU_CYCLE_1) | instskip(NEXT) | instid1(SALU_CYCLE_1)
	s_mul_hi_u32 s7, s6, s7
	s_add_co_i32 s6, s6, s7
	s_xor_b32 s7, s29, s22
	s_mul_hi_u32 s6, s8, s6
	s_ashr_i32 s7, s7, 31
	s_mul_i32 s9, s6, s3
	s_delay_alu instid0(SALU_CYCLE_1)
	s_sub_co_i32 s8, s8, s9
	s_add_co_i32 s9, s6, 1
	s_sub_co_i32 s10, s8, s3
	s_cmp_ge_u32 s8, s3
	s_cselect_b32 s6, s9, s6
	s_cselect_b32 s8, s10, s8
	s_add_co_i32 s9, s6, 1
	s_cmp_ge_u32 s8, s3
	s_cselect_b32 s3, s9, s6
	s_load_b64 s[8:9], s[0:1], 0x40
	s_xor_b32 s3, s3, s7
	s_abs_i32 s16, s2
	s_sub_co_i32 s10, s3, s7
	s_mov_b32 s7, s17
	s_abs_i32 s15, s10
	s_delay_alu instid0(SALU_CYCLE_1) | instskip(SKIP_1) | instid1(SALU_CYCLE_2)
	s_cvt_f32_u32 s3, s15
	s_sub_co_i32 s6, 0, s15
	v_rcp_iflag_f32_e32 v1, s3
	v_nop
	s_delay_alu instid0(TRANS32_DEP_1) | instskip(SKIP_1) | instid1(SALU_CYCLE_3)
	v_readfirstlane_b32 s3, v1
	s_mul_f32 s3, s3, 0x4f7ffffe
	s_cvt_u32_f32 s3, s3
	s_delay_alu instid0(SALU_CYCLE_3) | instskip(NEXT) | instid1(SALU_CYCLE_1)
	s_mul_i32 s6, s6, s3
	s_mul_hi_u32 s6, s3, s6
	s_delay_alu instid0(SALU_CYCLE_1)
	s_add_co_i32 s6, s3, s6
	s_wait_kmcnt 0x0
	s_cmp_eq_u64 s[8:9], 0
	s_cbranch_scc1 .LBB126_2
; %bb.1:
	s_ashr_i32 s3, s2, 31
	s_delay_alu instid0(SALU_CYCLE_1) | instskip(NEXT) | instid1(SALU_CYCLE_1)
	s_lshl_b64 s[12:13], s[2:3], 2
	s_add_nc_u64 s[8:9], s[8:9], s[12:13]
	s_load_b32 s35, s[8:9], 0x0
.LBB126_2:
	s_load_b32 s31, s[4:5], s30 offset:0x0 scale_offset
	s_load_b96 s[12:14], s[0:1], 0x48
	v_dual_lshrrev_b32 v1, 1, v0 :: v_dual_bitop2_b32 v26, 1, v0 bitop3:0x40
	s_wait_xcnt 0x0
	s_mul_u64 s[4:5], s[16:17], s[6:7]
	s_ashr_i32 s3, s2, 31
	s_ashr_i32 s18, s10, 31
	s_lshl_b32 s6, s2, 5
	s_mov_b32 s4, exec_lo
	v_cmpx_gt_u32_e32 8, v0
	s_cbranch_execz .LBB126_4
; %bb.3:
	s_load_b64 s[8:9], s[0:1], 0x8
	s_wait_kmcnt 0x0
	s_mul_i32 s10, s12, s30
	s_ashr_i32 s7, s6, 31
	s_ashr_i32 s11, s10, 31
	v_lshlrev_b32_e32 v4, 3, v1
	s_lshl_b64 s[10:11], s[10:11], 1
	s_delay_alu instid0(VALU_DEP_1) | instskip(SKIP_2) | instid1(SALU_CYCLE_1)
	v_lshl_add_u32 v4, v26, 5, v4
	s_add_nc_u64 s[8:9], s[8:9], s[10:11]
	s_lshl_b64 s[10:11], s[6:7], 1
	s_add_nc_u64 s[8:9], s[8:9], s[10:11]
	global_load_b64 v[2:3], v0, s[8:9] scale_offset
	s_wait_loadcnt 0x0
	ds_store_b64 v4, v[2:3]
.LBB126_4:
	s_or_b32 exec_lo, exec_lo, s4
	s_load_b128 s[8:11], s[0:1], 0x68
	s_mul_i32 s4, s5, s15
	s_xor_b32 s3, s3, s18
	s_sub_co_i32 s4, s16, s4
	s_add_co_i32 s7, s5, 1
	s_wait_kmcnt 0x0
	s_sub_co_i32 s12, s4, s15
	s_cmp_ge_u32 s4, s15
	s_mov_b32 s18, -1
	s_cselect_b32 s5, s7, s5
	s_cselect_b32 s4, s12, s4
	s_add_co_i32 s12, s5, 1
	s_cmp_ge_u32 s4, s15
	s_load_b32 s7, s[0:1], 0x78
	s_cselect_b32 s4, s12, s5
	s_add_co_i32 s15, s31, -1
	s_xor_b32 s4, s4, s3
	s_wait_dscnt 0x0
	s_sub_co_i32 s3, s4, s3
	s_barrier_signal -1
	s_barrier_wait -1
	s_abs_i32 s12, s11
	s_delay_alu instid0(SALU_CYCLE_1) | instskip(NEXT) | instid1(SALU_CYCLE_3)
	s_cvt_f32_u32 s5, s12
                                        ; implicit-def: $sgpr33
	v_rcp_iflag_f32_e32 v2, s5
	v_nop
	s_delay_alu instid0(TRANS32_DEP_1) | instskip(SKIP_1) | instid1(SALU_CYCLE_3)
	v_readfirstlane_b32 s5, v2
	s_mul_f32 s4, s5, 0x4f7ffffe
	s_cvt_u32_f32 s16, s4
	s_sub_co_i32 s4, 0, s12
	s_delay_alu instid0(SALU_CYCLE_2)
	s_mul_i32 s5, s4, s16
	s_abs_i32 s4, s15
	s_mul_hi_u32 s17, s16, s5
	s_mov_b32 s5, 0
	s_add_co_i32 s16, s16, s17
	s_wait_kmcnt 0x0
	s_cmp_lt_i32 s7, 0
	s_mov_b32 s17, s5
	s_cbranch_scc0 .LBB126_6
; %bb.5:
	s_mul_i32 s18, s8, s22
	s_delay_alu instid0(SALU_CYCLE_1) | instskip(NEXT) | instid1(SALU_CYCLE_1)
	s_add_co_i32 s18, s3, s18
	s_mul_i32 s18, s18, s7
	s_delay_alu instid0(SALU_CYCLE_1)
	s_sub_co_i32 s33, 1, s18
	s_mov_b32 s18, s5
.LBB126_6:
	s_ashr_i32 s15, s15, 31
	s_ashr_i32 s11, s11, 31
	s_and_not1_b32 vcc_lo, exec_lo, s18
	s_mul_u64 s[24:25], s[4:5], s[16:17]
	s_cbranch_vccnz .LBB126_8
; %bb.7:
	s_mul_i32 s5, s29, s8
	s_delay_alu instid0(SALU_CYCLE_1) | instskip(NEXT) | instid1(SALU_CYCLE_1)
	s_add_co_i32 s2, s5, s2
	s_mul_i32 s2, s2, s7
	s_delay_alu instid0(SALU_CYCLE_1)
	s_add_co_i32 s33, s2, 1
.LBB126_8:
	s_load_b32 s2, s[0:1], 0x38
	s_mul_i32 s7, s25, s12
	s_xor_b32 s5, s15, s11
	s_sub_co_i32 s4, s4, s7
	s_add_co_i32 s8, s25, 1
	s_clause 0x1
	s_load_b64 s[18:19], s[0:1], 0x28
	s_load_b32 s7, s[0:1], 0x88
	v_dual_lshrrev_b32 v27, 5, v0 :: v_dual_lshlrev_b32 v9, 3, v0
	v_dual_mov_b32 v13, 0xff7fffff :: v_dual_lshrrev_b32 v8, 3, v0
	v_mbcnt_lo_u32_b32 v10, -1, 0
	s_delay_alu instid0(VALU_DEP_3)
	v_lshlrev_b32_e32 v18, 4, v27
	s_mul_i32 s14, s3, s14
	s_wait_kmcnt 0x0
	s_mul_i32 s20, s2, s30
	s_sub_co_i32 s2, s4, s12
	s_ashr_i32 s21, s20, 31
	s_cmp_ge_u32 s4, s12
	s_cselect_b32 s8, s8, s25
	s_cselect_b32 s2, s2, s4
	s_add_co_i32 s4, s8, 1
	s_cmp_ge_u32 s2, s12
	s_cselect_b32 s2, s4, s8
	s_add_co_i32 s4, s31, 15
	s_delay_alu instid0(SALU_CYCLE_1) | instskip(NEXT) | instid1(SALU_CYCLE_1)
	s_ashr_i32 s8, s4, 31
	s_lshr_b32 s8, s8, 28
	s_delay_alu instid0(SALU_CYCLE_1) | instskip(NEXT) | instid1(SALU_CYCLE_1)
	s_add_co_i32 s4, s4, s8
	s_ashr_i32 s34, s4, 4
	s_xor_b32 s4, s2, s5
	v_cmp_gt_i32_e64 s2, s34, v27
	s_sub_co_i32 s8, s4, s5
	s_and_saveexec_b32 s22, s2
	s_cbranch_execz .LBB126_20
; %bb.9:
	s_load_b64 s[4:5], s[0:1], 0x10
	s_ashr_i32 s15, s14, 31
	s_sub_co_i32 s36, s8, s9
	s_ashr_i32 s25, s13, 31
	s_lshl_b64 s[38:39], s[14:15], 1
	s_cmp_neq_f32 s35, 0
	v_bfe_u32 v11, v0, 1, 4
	v_dual_mov_b32 v3, 0 :: v_dual_lshlrev_b32 v12, 5, v26
	s_cselect_b32 vcc_lo, -1, 0
	s_abs_i32 s15, s10
	s_delay_alu instid0(VALU_DEP_2)
	v_lshlrev_b32_e32 v2, 4, v11
	s_cvt_f32_u32 s3, s15
	v_subrev_nc_u32_e32 v6, s31, v11
	v_lshlrev_b32_e32 v7, 2, v11
	s_sub_co_i32 s26, 0, s15
	v_rcp_iflag_f32_e32 v4, s3
	v_cmp_eq_u32_e64 s3, 0, v26
	v_dual_mov_b32 v16, 0xff7fffff :: v_dual_mov_b32 v13, 0xff7fffff
	s_wait_kmcnt 0x0
	s_add_nc_u64 s[4:5], s[4:5], s[38:39]
	v_lshl_or_b32 v7, v27, 6, v7
	v_add_nc_u32_e32 v14, 1, v6
	v_readfirstlane_b32 s24, v4
	v_add_nc_u64_e32 v[4:5], s[4:5], v[2:3]
	v_and_b32_e32 v2, 8, v9
	s_lshl_b64 s[4:5], s[20:21], 2
	v_add_nc_u32_e32 v15, 0x60, v7
	s_mul_f32 s24, s24, 0x4f7ffffe
	s_add_nc_u64 s[4:5], s[18:19], s[4:5]
	v_mov_b32_e32 v19, v27
	v_add_nc_u64_e32 v[4:5], v[4:5], v[2:3]
	v_and_b32_e32 v2, 0x7c, v8
	s_cvt_u32_f32 s37, s24
	v_xor_b32_e32 v17, 1, v10
	s_mov_b32 s27, 0
	s_mov_b32 s24, s13
	v_add_nc_u64_e32 v[6:7], s[4:5], v[2:3]
	s_mul_i32 s26, s26, s37
	v_lshlrev_b32_e32 v2, 4, v27
	s_mul_hi_u32 s4, s37, s26
	s_delay_alu instid0(SALU_CYCLE_1)
	s_add_co_i32 s26, s37, s4
	s_mov_b32 s37, s27
	s_branch .LBB126_12
.LBB126_10:                             ;   in Loop: Header=BB126_12 Depth=1
	s_or_b32 exec_lo, exec_lo, s38
.LBB126_11:                             ;   in Loop: Header=BB126_12 Depth=1
	s_delay_alu instid0(SALU_CYCLE_1) | instskip(SKIP_3) | instid1(VALU_DEP_3)
	s_or_b32 exec_lo, exec_lo, s5
	v_dual_add_nc_u32 v19, 4, v19 :: v_dual_add_nc_u32 v2, 64, v2
	v_add_nc_u64_e32 v[6:7], 16, v[6:7]
	v_add_nc_u32_e32 v15, 0x100, v15
	v_cmp_le_i32_e64 s4, s34, v19
	s_or_b32 s37, s4, s37
	s_delay_alu instid0(SALU_CYCLE_1)
	s_and_not1_b32 exec_lo, exec_lo, s37
	s_cbranch_execz .LBB126_19
.LBB126_12:                             ; =>This Inner Loop Header: Depth=1
	s_wait_dscnt 0x0
	v_mul_u64_e32 v[20:21], s[16:17], v[2:3]
	s_delay_alu instid0(VALU_DEP_1) | instskip(NEXT) | instid1(VALU_DEP_1)
	v_mul_lo_u32 v20, v21, s12
	v_dual_add_nc_u32 v22, 1, v21 :: v_dual_sub_nc_u32 v20, v2, v20
	s_delay_alu instid0(VALU_DEP_1) | instskip(SKIP_1) | instid1(VALU_DEP_1)
	v_subrev_nc_u32_e32 v23, s12, v20
	v_cmp_le_u32_e64 s4, s12, v20
	v_dual_cndmask_b32 v21, v21, v22, s4 :: v_dual_cndmask_b32 v20, v20, v23, s4
	s_delay_alu instid0(VALU_DEP_1) | instskip(NEXT) | instid1(VALU_DEP_2)
	v_add_nc_u32_e32 v22, 1, v21
	v_cmp_le_u32_e64 s4, s12, v20
	s_delay_alu instid0(VALU_DEP_1) | instskip(NEXT) | instid1(VALU_DEP_1)
	v_dual_cndmask_b32 v20, v21, v22, s4 :: v_dual_mov_b32 v21, v3
	v_xor_b32_e32 v20, s11, v20
	s_delay_alu instid0(VALU_DEP_1) | instskip(NEXT) | instid1(VALU_DEP_1)
	v_subrev_nc_u32_e32 v24, s11, v20
	v_add_nc_u32_e32 v25, s33, v24
	v_cmp_ge_i32_e64 s5, s36, v24
	s_delay_alu instid0(VALU_DEP_2) | instskip(NEXT) | instid1(VALU_DEP_1)
	v_sub_nc_u32_e32 v20, 0, v25
	v_max_i32_e32 v20, v25, v20
	s_delay_alu instid0(VALU_DEP_1) | instskip(SKIP_1) | instid1(VALU_DEP_2)
	v_mul_u64_e32 v[22:23], s[26:27], v[20:21]
	v_ashrrev_i32_e32 v22, 31, v25
	v_mul_lo_u32 v21, v23, s15
	s_delay_alu instid0(VALU_DEP_1) | instskip(NEXT) | instid1(VALU_DEP_1)
	v_sub_nc_u32_e32 v20, v20, v21
	v_subrev_nc_u32_e32 v21, s15, v20
	v_cmp_le_u32_e64 s4, s15, v20
	s_delay_alu instid0(VALU_DEP_1) | instskip(NEXT) | instid1(VALU_DEP_1)
	v_cndmask_b32_e64 v20, v20, v21, s4
	v_subrev_nc_u32_e32 v21, s15, v20
	v_cmp_le_u32_e64 s4, s15, v20
	s_delay_alu instid0(VALU_DEP_1) | instskip(NEXT) | instid1(VALU_DEP_1)
	v_cndmask_b32_e64 v20, v20, v21, s4
	v_xor_b32_e32 v20, v20, v22
	s_delay_alu instid0(VALU_DEP_1) | instskip(NEXT) | instid1(VALU_DEP_1)
	v_sub_nc_u32_e32 v20, v20, v22
	v_cmp_ne_u32_e64 s4, 0, v20
	s_and_b32 s4, s4, s5
	s_delay_alu instid0(SALU_CYCLE_1) | instskip(NEXT) | instid1(SALU_CYCLE_1)
	s_and_saveexec_b32 s5, s4
	s_xor_b32 s4, exec_lo, s5
	s_cbranch_execz .LBB126_16
; %bb.13:                               ;   in Loop: Header=BB126_12 Depth=1
	s_and_saveexec_b32 s5, s3
; %bb.14:                               ;   in Loop: Header=BB126_12 Depth=1
	ds_store_b32 v15, v16
; %bb.15:                               ;   in Loop: Header=BB126_12 Depth=1
	s_or_b32 exec_lo, exec_lo, s5
.LBB126_16:                             ;   in Loop: Header=BB126_12 Depth=1
	s_and_not1_saveexec_b32 s5, s4
	s_cbranch_execz .LBB126_11
; %bb.17:                               ;   in Loop: Header=BB126_12 Depth=1
	global_load_b32 v20, v[6:7], off
	v_cmp_gt_i32_e64 s4, 32, v17
	s_wait_loadcnt 0x0
	v_ashrrev_i32_e32 v21, 31, v20
	s_delay_alu instid0(VALU_DEP_1) | instskip(NEXT) | instid1(VALU_DEP_1)
	v_mul_u64_e32 v[20:21], s[24:25], v[20:21]
	v_lshl_add_u64 v[20:21], v[20:21], 1, v[4:5]
	s_clause 0x3
	global_load_b64 v[24:25], v[20:21], off offset:256
	global_load_b64 v[32:33], v[20:21], off
	global_load_b64 v[34:35], v[20:21], off offset:512
	global_load_b64 v[36:37], v[20:21], off offset:768
	s_wait_xcnt 0x0
	ds_load_b128 v[20:23], v12
	ds_load_b128 v[28:31], v12 offset:16
	s_wait_dscnt 0x1
	v_lshlrev_b32_e32 v38, 16, v22
	v_and_b32_e32 v22, 0xffff0000, v22
	v_lshlrev_b32_e32 v40, 16, v23
	v_and_b32_e32 v23, 0xffff0000, v23
	s_wait_loadcnt 0x3
	v_lshlrev_b32_e32 v39, 16, v24
	v_and_b32_e32 v24, 0xffff0000, v24
	s_delay_alu instid0(VALU_DEP_2) | instskip(NEXT) | instid1(VALU_DEP_2)
	v_dual_mul_f32 v38, v38, v39 :: v_dual_lshlrev_b32 v41, 16, v25
	v_mul_f32_e32 v22, v22, v24
	v_and_b32_e32 v24, 0xffff0000, v25
	s_delay_alu instid0(VALU_DEP_3)
	v_mul_f32_e32 v25, v40, v41
	s_wait_loadcnt 0x2
	v_fma_mix_f32_bf16 v38, v20, v32, v38 op_sel_hi:[1,1,0]
	v_fma_mix_f32_bf16 v20, v20, v32, v22 op_sel:[1,1,0] op_sel_hi:[1,1,0]
	v_mul_f32_e32 v22, v23, v24
	v_fma_mix_f32_bf16 v23, v21, v33, v25 op_sel_hi:[1,1,0]
	s_wait_loadcnt_dscnt 0x100
	v_fma_mix_f32_bf16 v24, v28, v34, v38 op_sel_hi:[1,1,0]
	v_fma_mix_f32_bf16 v20, v28, v34, v20 op_sel:[1,1,0] op_sel_hi:[1,1,0]
	v_fma_mix_f32_bf16 v21, v21, v33, v22 op_sel:[1,1,0] op_sel_hi:[1,1,0]
	v_fma_mix_f32_bf16 v22, v29, v35, v23 op_sel_hi:[1,1,0]
	s_wait_loadcnt 0x0
	v_fma_mix_f32_bf16 v23, v30, v36, v24 op_sel_hi:[1,1,0]
	v_fma_mix_f32_bf16 v20, v30, v36, v20 op_sel:[1,1,0] op_sel_hi:[1,1,0]
	v_fma_mix_f32_bf16 v21, v29, v35, v21 op_sel:[1,1,0] op_sel_hi:[1,1,0]
	v_fma_mix_f32_bf16 v22, v31, v37, v22 op_sel_hi:[1,1,0]
	s_delay_alu instid0(VALU_DEP_3) | instskip(NEXT) | instid1(VALU_DEP_3)
	v_dual_add_f32 v20, v23, v20 :: v_dual_cndmask_b32 v23, v10, v17, s4
	v_fma_mix_f32_bf16 v21, v31, v37, v21 op_sel:[1,1,0] op_sel_hi:[1,1,0]
	s_delay_alu instid0(VALU_DEP_2) | instskip(NEXT) | instid1(VALU_DEP_1)
	v_dual_add_f32 v20, v20, v22 :: v_dual_lshlrev_b32 v22, 2, v23
	v_add_f32_e32 v20, v21, v20
	ds_bpermute_b32 v21, v22, v20
	s_and_saveexec_b32 s38, s3
	s_cbranch_execz .LBB126_10
; %bb.18:                               ;   in Loop: Header=BB126_12 Depth=1
	s_wait_dscnt 0x0
	v_dual_add_nc_u32 v22, v14, v2 :: v_dual_add_f32 v20, v20, v21
	s_delay_alu instid0(VALU_DEP_1) | instskip(NEXT) | instid1(VALU_DEP_1)
	v_cvt_f32_i32_e32 v22, v22
	v_mul_f32_e32 v22, s35, v22
	s_delay_alu instid0(VALU_DEP_1) | instskip(NEXT) | instid1(VALU_DEP_1)
	v_dual_cndmask_b32 v21, 0, v22 :: v_dual_max_num_f32 v22, v13, v13
	v_dual_fmac_f32 v21, s23, v20 :: v_dual_add_nc_u32 v20, v11, v2
	s_delay_alu instid0(VALU_DEP_1) | instskip(NEXT) | instid1(VALU_DEP_2)
	v_max_num_f32_e32 v22, v22, v21
	v_cmp_gt_i32_e64 s4, s31, v20
	s_delay_alu instid0(VALU_DEP_1)
	v_dual_cndmask_b32 v20, 0, v21, s4 :: v_dual_cndmask_b32 v13, v13, v22, s4
	ds_store_b32 v15, v20
	s_branch .LBB126_10
.LBB126_19:
	s_or_b32 exec_lo, exec_lo, s37
.LBB126_20:
	s_delay_alu instid0(SALU_CYCLE_1)
	s_or_b32 exec_lo, exec_lo, s22
	v_dual_max_num_f32 v5, v13, v13 :: v_dual_bitop2_b32 v2, 16, v10 bitop3:0x14
	v_xor_b32_e32 v4, 8, v10
	s_clause 0x1
	s_load_b64 s[4:5], s[0:1], 0x0
	s_load_b64 s[22:23], s[0:1], 0x18
	v_and_b32_e32 v28, 31, v0
	v_cmp_gt_i32_e32 vcc_lo, 32, v2
	v_cndmask_b32_e32 v2, v10, v2, vcc_lo
	v_cmp_gt_i32_e32 vcc_lo, 32, v4
	s_delay_alu instid0(VALU_DEP_2) | instskip(SKIP_3) | instid1(VALU_DEP_1)
	v_dual_cndmask_b32 v4, v10, v4 :: v_dual_lshlrev_b32 v3, 2, v2
	ds_bpermute_b32 v2, v3, v13
	s_wait_dscnt 0x0
	v_dual_max_num_f32 v2, v2, v2 :: v_dual_lshlrev_b32 v4, 2, v4
	v_max_num_f32_e32 v2, v5, v2
	ds_bpermute_b32 v5, v4, v2
	s_wait_dscnt 0x0
	v_dual_max_num_f32 v7, v5, v5 :: v_dual_bitop2_b32 v6, 4, v10 bitop3:0x14
	s_delay_alu instid0(VALU_DEP_1) | instskip(NEXT) | instid1(VALU_DEP_2)
	v_max_num_f32_e32 v2, v2, v7
	v_cmp_gt_i32_e32 vcc_lo, 32, v6
	v_xor_b32_e32 v7, 2, v10
	v_cndmask_b32_e32 v6, v10, v6, vcc_lo
	s_delay_alu instid0(VALU_DEP_2) | instskip(NEXT) | instid1(VALU_DEP_2)
	v_cmp_gt_i32_e32 vcc_lo, 32, v7
	v_dual_cndmask_b32 v11, v10, v7, vcc_lo :: v_dual_lshlrev_b32 v5, 2, v6
	v_cmp_eq_u32_e32 vcc_lo, 0, v28
	ds_bpermute_b32 v6, v5, v2
	s_wait_dscnt 0x0
	v_max_num_f32_e32 v6, v6, v6
	s_delay_alu instid0(VALU_DEP_1)
	v_dual_max_num_f32 v7, v2, v6 :: v_dual_lshlrev_b32 v2, 2, v11
	v_lshlrev_b32_e32 v6, 2, v27
	ds_bpermute_b32 v11, v2, v7
	s_wait_xcnt 0x0
	s_and_saveexec_b32 s0, vcc_lo
	s_cbranch_execz .LBB126_22
; %bb.21:
	s_wait_dscnt 0x0
	v_max_num_f32_e32 v11, v11, v11
	v_max_num_f32_e32 v7, v7, v7
	s_delay_alu instid0(VALU_DEP_1)
	v_max_num_f32_e32 v7, v7, v11
	ds_store_b32 v6, v7 offset:64
.LBB126_22:
	s_or_b32 exec_lo, exec_lo, s0
	v_cmp_gt_u32_e64 s0, 4, v28
	s_wait_dscnt 0x0
	v_mov_b32_e32 v11, 0xff7fffff
	v_lshlrev_b32_e32 v7, 2, v28
	s_barrier_signal -1
	s_barrier_wait -1
	s_and_saveexec_b32 s1, s0
; %bb.23:
	ds_load_b32 v11, v7 offset:64
; %bb.24:
	s_or_b32 exec_lo, exec_lo, s1
	s_wait_dscnt 0x0
	ds_bpermute_b32 v12, v2, v11
	v_dual_max_num_f32 v11, v11, v11 :: v_dual_bitop2_b32 v13, 1, v10 bitop3:0x14
	s_delay_alu instid0(VALU_DEP_1) | instskip(NEXT) | instid1(VALU_DEP_1)
	v_cmp_gt_i32_e64 s1, 32, v13
	v_cndmask_b32_e64 v10, v10, v13, s1
	s_lshl_b32 s1, s34, 4
	s_delay_alu instid0(SALU_CYCLE_1) | instskip(NEXT) | instid1(SALU_CYCLE_1)
	s_min_i32 s15, s1, s31
	v_cmp_gt_i32_e64 s1, s15, v0
	s_wait_dscnt 0x0
	v_dual_max_num_f32 v12, v12, v12 :: v_dual_lshlrev_b32 v29, 2, v10
	s_delay_alu instid0(VALU_DEP_1) | instskip(SKIP_3) | instid1(VALU_DEP_1)
	v_max_num_f32_e32 v10, v11, v12
	ds_bpermute_b32 v11, v29, v10
	s_wait_dscnt 0x0
	v_max_num_f32_e32 v11, v11, v11
	v_dual_max_num_f32 v11, v10, v11 :: v_dual_mov_b32 v10, 0
	ds_bpermute_b32 v11, v10, v11
	s_and_saveexec_b32 s24, s1
	s_cbranch_execz .LBB126_28
; %bb.25:
	v_lshl_add_u32 v12, v0, 2, 0x60
	v_dual_mov_b32 v10, 0 :: v_dual_mov_b32 v13, v0
	s_mov_b32 s25, 0
.LBB126_26:                             ; =>This Inner Loop Header: Depth=1
	ds_load_b32 v14, v12
	v_add_nc_u32_e32 v13, 0x80, v13
	s_delay_alu instid0(VALU_DEP_1) | instskip(SKIP_3) | instid1(VALU_DEP_1)
	v_cmp_le_i32_e64 s3, s15, v13
	s_or_b32 s25, s3, s25
	s_wait_dscnt 0x0
	v_sub_f32_e32 v14, v14, v11
	v_mul_f32_e32 v14, 0x3fb8aa3b, v14
	s_delay_alu instid0(VALU_DEP_1)
	v_exp_f32_e32 v14, v14
	ds_store_b32 v12, v14
	v_nop
	v_add_f32_e32 v10, v10, v14
	v_add_nc_u32_e32 v12, 0x200, v12
	s_and_not1_b32 exec_lo, exec_lo, s25
	s_cbranch_execnz .LBB126_26
; %bb.27:
	s_or_b32 exec_lo, exec_lo, s25
.LBB126_28:
	s_delay_alu instid0(SALU_CYCLE_1)
	s_or_b32 exec_lo, exec_lo, s24
	ds_bpermute_b32 v3, v3, v10
	s_wait_dscnt 0x0
	v_add_f32_e32 v3, v10, v3
	ds_bpermute_b32 v4, v4, v3
	s_wait_dscnt 0x0
	v_add_f32_e32 v3, v3, v4
	;; [unrolled: 3-line block ×5, first 2 shown]
	s_and_saveexec_b32 s3, vcc_lo
; %bb.29:
	ds_store_b32 v6, v3 offset:80
; %bb.30:
	s_or_b32 exec_lo, exec_lo, s3
	s_wait_dscnt 0x0
	s_barrier_signal -1
	s_barrier_wait -1
	s_and_saveexec_b32 s3, s0
; %bb.31:
	ds_load_b32 v3, v7 offset:80
; %bb.32:
	s_or_b32 exec_lo, exec_lo, s3
	s_wait_dscnt 0x0
	ds_bpermute_b32 v2, v2, v3
	s_wait_dscnt 0x0
	v_dual_mov_b32 v21, 0 :: v_dual_add_f32 v2, v3, v2
	ds_bpermute_b32 v3, v29, v2
	s_wait_dscnt 0x0
	v_add_f32_e32 v2, v2, v3
	ds_bpermute_b32 v2, v21, v2
	s_and_saveexec_b32 s0, s1
	s_cbranch_execz .LBB126_45
; %bb.33:
	s_wait_dscnt 0x0
	v_add_f32_e32 v2, 0x358637bd, v2
	s_mov_b32 s3, -1
	s_mov_b32 s1, exec_lo
	s_delay_alu instid0(VALU_DEP_1) | instskip(NEXT) | instid1(VALU_DEP_1)
	v_div_scale_f32 v3, null, v2, v2, 1.0
	v_rcp_f32_e32 v5, v3
	v_nop
	s_delay_alu instid0(TRANS32_DEP_1) | instskip(NEXT) | instid1(VALU_DEP_1)
	v_fma_f32 v4, -v3, v5, 1.0
	v_fmac_f32_e32 v5, v4, v5
	v_div_scale_f32 v6, vcc_lo, 1.0, v2, 1.0
	s_delay_alu instid0(VALU_DEP_1) | instskip(NEXT) | instid1(VALU_DEP_1)
	v_mul_f32_e32 v7, v6, v5
	v_fma_f32 v4, -v3, v7, v6
	s_delay_alu instid0(VALU_DEP_1) | instskip(SKIP_1) | instid1(VALU_DEP_2)
	v_fmac_f32_e32 v7, v4, v5
	v_xad_u32 v4, v0, -1, s15
	v_fma_f32 v3, -v3, v7, v6
	s_delay_alu instid0(VALU_DEP_1) | instskip(NEXT) | instid1(VALU_DEP_1)
	v_div_fmas_f32 v3, v3, v5, v7
	v_div_fixup_f32 v2, v3, v2, 1.0
	v_mov_b32_e32 v3, v0
	v_cmpx_lt_u32_e32 0x7f, v4
	s_cbranch_execz .LBB126_42
; %bb.34:
	s_delay_alu instid0(VALU_DEP_3) | instskip(NEXT) | instid1(VALU_DEP_1)
	v_dual_mov_b32 v3, v2 :: v_dual_lshrrev_b32 v4, 7, v4
	v_dual_mov_b32 v10, 0 :: v_dual_add_nc_u32 v5, -1, v4
	s_delay_alu instid0(VALU_DEP_1) | instskip(SKIP_1) | instid1(VALU_DEP_2)
	v_lshrrev_b32_e32 v6, 1, v5
	v_cmp_lt_u32_e32 vcc_lo, 13, v5
	v_add_nc_u32_e32 v5, 1, v6
	s_and_saveexec_b32 s3, vcc_lo
	s_cbranch_execz .LBB126_38
; %bb.35:
	s_delay_alu instid0(VALU_DEP_1)
	v_and_b32_e32 v6, -8, v5
	v_lshl_add_u32 v7, v0, 2, 0x60
	s_mov_b32 s24, 0
	s_mov_b32 s25, 0
.LBB126_36:                             ; =>This Inner Loop Header: Depth=1
	ds_load_2addr_stride64_b32 v[10:11], v7 offset1:2
	ds_load_2addr_stride64_b32 v[12:13], v7 offset0:4 offset1:6
	ds_load_2addr_stride64_b32 v[14:15], v7 offset0:8 offset1:10
	;; [unrolled: 1-line block ×7, first 2 shown]
	s_add_co_i32 s25, s25, 16
	v_add_nc_u32_e32 v6, -8, v6
	s_wait_dscnt 0x7
	v_pk_mul_f32 v[10:11], v[2:3], v[10:11]
	s_wait_dscnt 0x6
	v_pk_mul_f32 v[12:13], v[2:3], v[12:13]
	;; [unrolled: 2-line block ×8, first 2 shown]
	ds_store_2addr_stride64_b32 v7, v10, v11 offset1:2
	ds_store_2addr_stride64_b32 v7, v12, v13 offset0:4 offset1:6
	ds_store_2addr_stride64_b32 v7, v14, v15 offset0:8 offset1:10
	;; [unrolled: 1-line block ×7, first 2 shown]
	v_mov_b32_e32 v10, s25
	v_cmp_eq_u32_e32 vcc_lo, 0, v6
	v_add_nc_u32_e32 v7, 0x2000, v7
	s_or_b32 s24, vcc_lo, s24
	s_delay_alu instid0(SALU_CYCLE_1)
	s_and_not1_b32 exec_lo, exec_lo, s24
	s_cbranch_execnz .LBB126_36
; %bb.37:
	s_or_b32 exec_lo, exec_lo, s24
.LBB126_38:
	s_delay_alu instid0(SALU_CYCLE_1) | instskip(NEXT) | instid1(VALU_DEP_1)
	s_or_b32 exec_lo, exec_lo, s3
	v_and_b32_e32 v5, 7, v5
	s_mov_b32 s24, 0
	s_mov_b32 s3, exec_lo
	s_delay_alu instid0(VALU_DEP_1)
	v_cmpx_ne_u32_e32 0, v5
	s_cbranch_execz .LBB126_41
; %bb.39:
	v_dual_lshlrev_b32 v6, 9, v10 :: v_dual_lshlrev_b32 v7, 2, v0
	s_delay_alu instid0(VALU_DEP_1)
	v_add3_u32 v6, v6, v7, 0x60
.LBB126_40:                             ; =>This Inner Loop Header: Depth=1
	ds_load_2addr_stride64_b32 v[10:11], v6 offset1:2
	v_add_nc_u32_e32 v5, -1, v5
	s_delay_alu instid0(VALU_DEP_1)
	v_cmp_eq_u32_e32 vcc_lo, 0, v5
	s_or_b32 s24, vcc_lo, s24
	s_wait_dscnt 0x0
	v_pk_mul_f32 v[10:11], v[2:3], v[10:11]
	ds_store_2addr_stride64_b32 v6, v10, v11 offset1:2
	v_add_nc_u32_e32 v6, 0x400, v6
	s_and_not1_b32 exec_lo, exec_lo, s24
	s_cbranch_execnz .LBB126_40
.LBB126_41:
	s_or_b32 exec_lo, exec_lo, s3
	v_add_nc_u32_e32 v3, 1, v4
	s_delay_alu instid0(VALU_DEP_1) | instskip(NEXT) | instid1(VALU_DEP_1)
	v_and_b32_e32 v4, 0x3fffffe, v3
	v_cmp_ne_u32_e32 vcc_lo, v3, v4
	v_lshl_add_u32 v3, v4, 7, v0
	s_or_not1_b32 s3, vcc_lo, exec_lo
.LBB126_42:
	s_or_b32 exec_lo, exec_lo, s1
	s_delay_alu instid0(SALU_CYCLE_1)
	s_and_b32 exec_lo, exec_lo, s3
	s_cbranch_execz .LBB126_45
; %bb.43:
	v_lshl_add_u32 v4, v3, 2, 0x60
	s_mov_b32 s1, 0
.LBB126_44:                             ; =>This Inner Loop Header: Depth=1
	ds_load_b32 v5, v4
	v_add_nc_u32_e32 v3, 0x80, v3
	s_delay_alu instid0(VALU_DEP_1)
	v_cmp_le_i32_e32 vcc_lo, s15, v3
	s_or_b32 s1, vcc_lo, s1
	s_wait_dscnt 0x0
	v_mul_f32_e32 v5, v2, v5
	ds_store_b32 v4, v5
	v_add_nc_u32_e32 v4, 0x200, v4
	s_and_not1_b32 exec_lo, exec_lo, s1
	s_cbranch_execnz .LBB126_44
.LBB126_45:
	s_or_b32 exec_lo, exec_lo, s0
	v_mov_b32_e32 v20, 0
	s_wait_dscnt 0x0
	s_barrier_signal -1
	s_barrier_wait -1
	s_and_saveexec_b32 s1, s2
	s_cbranch_execz .LBB126_55
; %bb.46:
	s_abs_i32 s10, s10
	v_dual_lshlrev_b32 v4, 4, v0 :: v_dual_bitop2_b32 v30, 8, v9 bitop3:0x40
	s_cvt_f32_u32 s0, s10
	v_dual_mov_b32 v19, 0 :: v_dual_lshlrev_b32 v6, 5, v26
	s_ashr_i32 s15, s14, 31
	s_delay_alu instid0(SALU_CYCLE_1)
	v_rcp_iflag_f32_e32 v3, s0
	v_and_b32_e32 v2, 0x7c, v8
	v_and_b32_e32 v4, 0x1f0, v4
	v_mov_b32_e32 v5, v19
	s_lshl_b64 s[20:21], s[20:21], 2
	s_lshl_b64 s[14:15], s[14:15], 1
	v_lshl_or_b32 v6, v27, 6, v6
	v_readfirstlane_b32 s0, v3
	v_mov_b32_e32 v3, v19
	s_add_nc_u64 s[18:19], s[18:19], s[20:21]
	s_wait_kmcnt 0x0
	s_add_nc_u64 s[14:15], s[22:23], s[14:15]
	s_sub_co_i32 s24, s8, s9
	s_mul_f32 s0, s0, 0x4f7ffffe
	s_sub_co_i32 s8, 0, s10
	v_add_nc_u64_e32 v[22:23], s[14:15], v[4:5]
	v_add_nc_u64_e32 v[24:25], s[18:19], v[2:3]
	s_cvt_u32_f32 s0, s0
	v_dual_mov_b32 v32, v27 :: v_dual_add_nc_u32 v31, 0x60, v6
	v_dual_mov_b32 v20, v19 :: v_dual_mov_b32 v21, v19
	s_delay_alu instid0(SALU_CYCLE_1)
	s_mul_i32 s8, s8, s0
	s_mov_b32 s9, 0
	s_mul_hi_u32 s8, s0, s8
	s_ashr_i32 s3, s13, 31
	s_mov_b32 s2, s13
	s_add_co_i32 s13, s34, -1
	s_mov_b32 s14, s31
	s_add_co_i32 s8, s0, s8
	s_mov_b32 s15, s9
	s_branch .LBB126_49
.LBB126_47:                             ;   in Loop: Header=BB126_49 Depth=1
	s_or_b32 exec_lo, exec_lo, s0
	s_wait_dscnt 0x1
	v_cvt_pk_bf16_f32 v10, v10, v11
	v_cvt_pk_bf16_f32 v11, v12, v13
	s_wait_dscnt 0x0
	v_cvt_pk_bf16_f32 v6, v6, v7
	v_cvt_pk_bf16_f32 v7, v8, v9
	s_wait_loadcnt 0x1
	v_pk_mul_bf16 v2, v10, v2
	v_pk_mul_bf16 v3, v11, v3
	;; [unrolled: 1-line block ×4, first 2 shown]
	s_wait_loadcnt 0x0
	v_pk_mul_bf16 v4, v10, v14
	v_dual_lshlrev_b32 v5, 16, v2 :: v_dual_lshlrev_b32 v14, 16, v3
	v_and_b32_e32 v2, 0xffff0000, v2
	v_pk_mul_bf16 v8, v11, v15
	v_pk_mul_bf16 v10, v6, v16
	;; [unrolled: 1-line block ×3, first 2 shown]
	s_delay_alu instid0(VALU_DEP_4)
	v_dual_add_f32 v2, v2, v5 :: v_dual_lshlrev_b32 v7, 16, v4
	v_and_b32_e32 v5, 0xffff0000, v4
	v_and_b32_e32 v4, 0xffff0000, v8
	v_dual_lshlrev_b32 v6, 16, v8 :: v_dual_lshlrev_b32 v11, 16, v10
	v_and_b32_e32 v3, 0xffff0000, v3
	v_and_b32_e32 v9, 0xffff0000, v10
	;; [unrolled: 1-line block ×3, first 2 shown]
	v_dual_lshlrev_b32 v10, 16, v15 :: v_dual_lshlrev_b32 v15, 16, v12
	v_pk_add_f32 v[4:5], v[6:7], v[4:5]
	v_and_b32_e32 v12, 0xffff0000, v12
	v_add_f32_e32 v6, v3, v14
	s_delay_alu instid0(VALU_DEP_4) | instskip(NEXT) | instid1(VALU_DEP_4)
	v_pk_add_f32 v[8:9], v[10:11], v[8:9]
	v_dual_mov_b32 v7, v4 :: v_dual_lshlrev_b32 v10, 16, v13
	s_delay_alu instid0(VALU_DEP_4) | instskip(SKIP_1) | instid1(VALU_DEP_4)
	v_dual_mov_b32 v3, v5 :: v_dual_add_f32 v4, v12, v15
	v_and_b32_e32 v11, 0xffff0000, v13
	v_mov_b32_e32 v5, v9
	s_delay_alu instid0(VALU_DEP_3) | instskip(NEXT) | instid1(VALU_DEP_3)
	v_pk_add_f32 v[2:3], v[6:7], v[2:3]
	v_dual_mov_b32 v7, v8 :: v_dual_add_f32 v6, v11, v10
	s_delay_alu instid0(VALU_DEP_2) | instskip(NEXT) | instid1(VALU_DEP_1)
	v_pk_add_f32 v[2:3], v[4:5], v[2:3]
	v_pk_add_f32 v[2:3], v[6:7], v[2:3]
	s_delay_alu instid0(VALU_DEP_1)
	v_pk_add_f32 v[20:21], v[20:21], v[2:3]
.LBB126_48:                             ;   in Loop: Header=BB126_49 Depth=1
	s_or_b32 exec_lo, exec_lo, s18
	v_dual_add_nc_u32 v32, 4, v32 :: v_dual_add_nc_u32 v18, 64, v18
	v_add_nc_u64_e32 v[24:25], 16, v[24:25]
	v_add_nc_u32_e32 v31, 0x100, v31
	s_delay_alu instid0(VALU_DEP_3) | instskip(SKIP_1) | instid1(SALU_CYCLE_1)
	v_cmp_le_i32_e32 vcc_lo, s34, v32
	s_or_b32 s15, vcc_lo, s15
	s_and_not1_b32 exec_lo, exec_lo, s15
	s_cbranch_execz .LBB126_54
.LBB126_49:                             ; =>This Inner Loop Header: Depth=1
	v_mul_u64_e32 v[2:3], s[16:17], v[18:19]
	s_delay_alu instid0(VALU_DEP_1) | instskip(NEXT) | instid1(VALU_DEP_1)
	v_mul_lo_u32 v2, v3, s12
	v_dual_add_nc_u32 v4, 1, v3 :: v_dual_sub_nc_u32 v2, v18, v2
	s_delay_alu instid0(VALU_DEP_1) | instskip(SKIP_1) | instid1(VALU_DEP_2)
	v_subrev_nc_u32_e32 v5, s12, v2
	v_cmp_le_u32_e32 vcc_lo, s12, v2
	v_dual_cndmask_b32 v3, v3, v4 :: v_dual_cndmask_b32 v2, v2, v5
	s_delay_alu instid0(VALU_DEP_1) | instskip(NEXT) | instid1(VALU_DEP_2)
	v_add_nc_u32_e32 v4, 1, v3
	v_cmp_le_u32_e32 vcc_lo, s12, v2
	s_delay_alu instid0(VALU_DEP_2) | instskip(NEXT) | instid1(VALU_DEP_1)
	v_cndmask_b32_e32 v2, v3, v4, vcc_lo
	v_dual_mov_b32 v3, v19 :: v_dual_bitop2_b32 v2, s11, v2 bitop3:0x14
	s_delay_alu instid0(VALU_DEP_1) | instskip(NEXT) | instid1(VALU_DEP_1)
	v_subrev_nc_u32_e32 v6, s11, v2
	v_add_nc_u32_e32 v7, s33, v6
	v_cmp_lt_i32_e64 s0, s24, v6
	s_delay_alu instid0(VALU_DEP_2) | instskip(NEXT) | instid1(VALU_DEP_1)
	v_sub_nc_u32_e32 v2, 0, v7
	v_max_i32_e32 v2, v7, v2
	s_delay_alu instid0(VALU_DEP_1) | instskip(SKIP_1) | instid1(VALU_DEP_2)
	v_mul_u64_e32 v[4:5], s[8:9], v[2:3]
	v_ashrrev_i32_e32 v4, 31, v7
	v_mul_lo_u32 v3, v5, s10
	s_delay_alu instid0(VALU_DEP_1) | instskip(NEXT) | instid1(VALU_DEP_1)
	v_sub_nc_u32_e32 v2, v2, v3
	v_subrev_nc_u32_e32 v3, s10, v2
	v_cmp_le_u32_e32 vcc_lo, s10, v2
	s_delay_alu instid0(VALU_DEP_2) | instskip(NEXT) | instid1(VALU_DEP_1)
	v_cndmask_b32_e32 v2, v2, v3, vcc_lo
	v_subrev_nc_u32_e32 v3, s10, v2
	v_cmp_le_u32_e32 vcc_lo, s10, v2
	s_delay_alu instid0(VALU_DEP_2) | instskip(NEXT) | instid1(VALU_DEP_1)
	v_cndmask_b32_e32 v2, v2, v3, vcc_lo
	v_xor_b32_e32 v2, v2, v4
	s_delay_alu instid0(VALU_DEP_1) | instskip(NEXT) | instid1(VALU_DEP_1)
	v_sub_nc_u32_e32 v2, v2, v4
	v_cmp_eq_u32_e32 vcc_lo, 0, v2
	s_or_b32 s0, vcc_lo, s0
	s_delay_alu instid0(SALU_CYCLE_1)
	s_and_saveexec_b32 s18, s0
	s_cbranch_execz .LBB126_48
; %bb.50:                               ;   in Loop: Header=BB126_49 Depth=1
	global_load_b32 v2, v[24:25], off
	v_add_nc_u32_e32 v40, v30, v18
	v_cmp_eq_u32_e32 vcc_lo, s13, v32
	s_delay_alu instid0(VALU_DEP_2)
	v_or_b32_e32 v37, 3, v40
	v_or_b32_e32 v39, 2, v40
	;; [unrolled: 1-line block ×5, first 2 shown]
	v_dual_add_nc_u32 v38, 1, v40 :: v_dual_bitop2_b32 v35, 6, v40 bitop3:0x54
	s_wait_loadcnt 0x0
	v_ashrrev_i32_e32 v3, 31, v2
	s_delay_alu instid0(VALU_DEP_1) | instskip(NEXT) | instid1(VALU_DEP_1)
	v_mul_u64_e32 v[2:3], s[2:3], v[2:3]
	v_lshl_add_u64 v[14:15], v[2:3], 1, v[22:23]
	global_load_b128 v[2:5], v[14:15], off
	ds_load_2addr_b64 v[10:13], v31 offset1:1
	ds_load_2addr_b64 v[6:9], v31 offset0:2 offset1:3
	s_wait_xcnt 0x0
	s_and_saveexec_b32 s19, vcc_lo
	s_cbranch_execz .LBB126_52
; %bb.51:                               ;   in Loop: Header=BB126_49 Depth=1
	v_cmp_gt_i32_e64 s0, s31, v40
	s_wait_loadcnt 0x0
	s_delay_alu instid0(VALU_DEP_1) | instskip(SKIP_1) | instid1(VALU_DEP_1)
	v_dual_lshrrev_b32 v16, 16, v2 :: v_dual_cndmask_b32 v2, 0, v2, s0
	v_cmp_gt_i32_e64 s0, s14, v38
	v_dual_lshrrev_b32 v17, 16, v3 :: v_dual_cndmask_b32 v16, 0, v16, s0
	v_cmp_gt_i32_e64 s0, s31, v39
	s_delay_alu instid0(VALU_DEP_2) | instskip(NEXT) | instid1(VALU_DEP_2)
	v_perm_b32 v2, v16, v2, 0x5040100
	v_cndmask_b32_e64 v3, 0, v3, s0
	v_cmp_gt_i32_e64 s0, s14, v37
	s_delay_alu instid0(VALU_DEP_1) | instskip(SKIP_2) | instid1(VALU_DEP_3)
	v_cndmask_b32_e64 v17, 0, v17, s0
	v_cmp_gt_i32_e64 s0, s31, v36
	v_lshrrev_b32_e32 v41, 16, v4
	v_perm_b32 v3, v17, v3, 0x5040100
	s_delay_alu instid0(VALU_DEP_3) | instskip(SKIP_1) | instid1(VALU_DEP_1)
	v_cndmask_b32_e64 v4, 0, v4, s0
	v_cmp_gt_i32_e64 s0, s14, v34
	v_cndmask_b32_e64 v41, 0, v41, s0
	v_cmp_gt_i32_e64 s0, s31, v35
	s_delay_alu instid0(VALU_DEP_1) | instskip(SKIP_1) | instid1(VALU_DEP_1)
	v_dual_lshrrev_b32 v42, 16, v5 :: v_dual_cndmask_b32 v5, 0, v5, s0
	v_cmp_gt_i32_e64 s0, s14, v33
	v_cndmask_b32_e64 v42, 0, v42, s0
	v_perm_b32 v4, v41, v4, 0x5040100
	s_delay_alu instid0(VALU_DEP_2)
	v_perm_b32 v5, v42, v5, 0x5040100
.LBB126_52:                             ;   in Loop: Header=BB126_49 Depth=1
	s_or_b32 exec_lo, exec_lo, s19
	global_load_b128 v[14:17], v[14:15], off offset:512
	s_wait_xcnt 0x0
	s_and_saveexec_b32 s0, vcc_lo
	s_cbranch_execz .LBB126_47
; %bb.53:                               ;   in Loop: Header=BB126_49 Depth=1
	v_cmp_gt_i32_e32 vcc_lo, s31, v40
	s_wait_loadcnt 0x0
	v_dual_cndmask_b32 v14, 0, v14 :: v_dual_lshrrev_b32 v41, 16, v14
	v_cmp_gt_i32_e32 vcc_lo, s14, v38
	s_delay_alu instid0(VALU_DEP_2) | instskip(SKIP_1) | instid1(VALU_DEP_2)
	v_dual_lshrrev_b32 v40, 16, v15 :: v_dual_cndmask_b32 v38, 0, v41, vcc_lo
	v_cmp_gt_i32_e32 vcc_lo, s31, v39
	v_perm_b32 v14, v38, v14, 0x5040100
	v_cndmask_b32_e32 v15, 0, v15, vcc_lo
	v_cmp_gt_i32_e32 vcc_lo, s14, v37
	v_cndmask_b32_e32 v37, 0, v40, vcc_lo
	v_cmp_gt_i32_e32 vcc_lo, s31, v36
	v_lshrrev_b32_e32 v39, 16, v16
	s_delay_alu instid0(VALU_DEP_3) | instskip(SKIP_2) | instid1(VALU_DEP_4)
	v_perm_b32 v15, v37, v15, 0x5040100
	v_cndmask_b32_e32 v16, 0, v16, vcc_lo
	v_cmp_gt_i32_e32 vcc_lo, s14, v34
	v_dual_lshrrev_b32 v36, 16, v17 :: v_dual_cndmask_b32 v34, 0, v39, vcc_lo
	v_cmp_gt_i32_e32 vcc_lo, s31, v35
	s_delay_alu instid0(VALU_DEP_2) | instskip(SKIP_3) | instid1(VALU_DEP_1)
	v_perm_b32 v16, v34, v16, 0x5040100
	v_cndmask_b32_e32 v17, 0, v17, vcc_lo
	v_cmp_gt_i32_e32 vcc_lo, s14, v33
	v_cndmask_b32_e32 v33, 0, v36, vcc_lo
	v_perm_b32 v17, v33, v17, 0x5040100
	s_branch .LBB126_47
.LBB126_54:
	s_or_b32 exec_lo, exec_lo, s15
.LBB126_55:
	s_delay_alu instid0(SALU_CYCLE_1)
	s_or_b32 exec_lo, exec_lo, s1
	ds_bpermute_b32 v2, v29, v20
	ds_bpermute_b32 v3, v29, v21
	v_lshrrev_b32_e32 v4, 1, v28
	v_and_b32_e32 v6, 0x3c1, v0
	s_mov_b32 s0, exec_lo
	s_wait_dscnt 0x0
	s_barrier_signal -1
	v_lshl_add_u32 v5, v4, 2, 0x60
	s_barrier_wait -1
	v_pk_add_f32 v[2:3], v[20:21], v[2:3]
	v_cmpx_eq_u32_e32 64, v6
	s_cbranch_execz .LBB126_57
; %bb.56:
	v_lshl_add_u32 v6, v27, 7, v5
	s_delay_alu instid0(VALU_DEP_1)
	v_add_nc_u32_e32 v7, 0xffffff00, v6
	v_add_nc_u32_e32 v6, 0xffffff40, v6
	ds_store_b32 v7, v2
	ds_store_b32 v6, v3
.LBB126_57:
	s_or_b32 exec_lo, exec_lo, s0
	v_and_b32_e32 v6, 0x3e0, v0
	v_lshlrev_b32_e32 v4, 2, v4
	s_mov_b32 s1, exec_lo
	v_cmp_eq_u32_e32 vcc_lo, 0, v26
	s_wait_dscnt 0x0
	v_lshlrev_b32_e32 v6, 2, v6
	s_barrier_signal -1
	s_barrier_wait -1
	s_delay_alu instid0(VALU_DEP_1)
	v_add3_u32 v4, 0x60, v6, v4
	v_cmpx_gt_u32_e32 64, v0
	s_cbranch_execz .LBB126_63
; %bb.58:
	s_and_saveexec_b32 s0, vcc_lo
	s_cbranch_execz .LBB126_60
; %bb.59:
	ds_load_b32 v6, v4
	s_wait_dscnt 0x0
	v_add_f32_e32 v2, v2, v6
.LBB126_60:
	s_or_b32 exec_lo, exec_lo, s0
	s_and_saveexec_b32 s0, vcc_lo
	s_cbranch_execz .LBB126_62
; %bb.61:
	ds_load_b32 v6, v4 offset:64
	s_wait_dscnt 0x0
	v_add_f32_e32 v3, v3, v6
.LBB126_62:
	s_or_b32 exec_lo, exec_lo, s0
.LBB126_63:
	s_delay_alu instid0(SALU_CYCLE_1) | instskip(SKIP_4) | instid1(VALU_DEP_1)
	s_or_b32 exec_lo, exec_lo, s1
	v_and_b32_e32 v6, 0x3e1, v0
	s_mov_b32 s1, exec_lo
	s_barrier_signal -1
	s_barrier_wait -1
	v_cmpx_eq_u32_e32 32, v6
; %bb.64:
	ds_store_2addr_b32 v5, v2, v3 offset1:16
; %bb.65:
	s_or_b32 exec_lo, exec_lo, s1
	s_delay_alu instid0(SALU_CYCLE_1)
	s_mov_b32 s1, exec_lo
	s_wait_dscnt 0x0
	s_barrier_signal -1
	s_barrier_wait -1
	v_cmpx_gt_u32_e32 32, v0
	s_cbranch_execz .LBB126_71
; %bb.66:
	s_and_saveexec_b32 s0, vcc_lo
	s_cbranch_execz .LBB126_68
; %bb.67:
	ds_load_b32 v0, v4
	s_wait_dscnt 0x0
	v_add_f32_e32 v2, v2, v0
.LBB126_68:
	s_or_b32 exec_lo, exec_lo, s0
	s_and_saveexec_b32 s0, vcc_lo
	s_cbranch_execz .LBB126_70
; %bb.69:
	ds_load_b32 v0, v4 offset:64
	s_wait_dscnt 0x0
	v_add_f32_e32 v3, v3, v0
.LBB126_70:
	s_or_b32 exec_lo, exec_lo, s0
.LBB126_71:
	s_delay_alu instid0(SALU_CYCLE_1)
	s_or_b32 exec_lo, exec_lo, s1
	s_mov_b32 s1, 0
	s_barrier_signal -1
	s_barrier_wait -1
	s_mov_b32 s0, exec_lo
	v_cmpx_eq_u32_e32 0, v6
	s_cbranch_execz .LBB126_73
; %bb.72:
	s_mul_i32 s0, s30, s7
	s_mul_i32 s2, s7, s6
	;; [unrolled: 1-line block ×3, first 2 shown]
	s_lshr_b32 s8, ttmp7, 16
	s_lshl_b32 s6, s0, 5
	s_bfe_u32 s0, ttmp6, 0x40014
	s_ashr_i32 s7, s6, 31
	s_add_co_i32 s0, s0, 1
	s_ashr_i32 s3, s2, 31
	s_mul_i32 s0, s8, s0
	s_bfe_u32 s9, ttmp6, 0x40008
	s_lshl_b64 s[6:7], s[6:7], 1
	s_lshl_b64 s[2:3], s[2:3], 1
	s_add_co_i32 s9, s9, s0
	s_cmp_eq_u32 s28, 0
	s_wait_kmcnt 0x0
	s_add_nc_u64 s[4:5], s[4:5], s[6:7]
	s_cselect_b32 s0, s8, s9
	s_add_nc_u64 s[2:3], s[4:5], s[2:3]
	s_lshl_b32 s0, s0, 6
	s_delay_alu instid0(SALU_CYCLE_1)
	v_cvt_pk_bf16_f32 v0, v2, s0
	v_cvt_pk_bf16_f32 v2, v3, s0
	s_add_nc_u64 s[0:1], s[2:3], s[0:1]
	s_clause 0x1
	global_store_b16 v1, v0, s[0:1] scale_offset
	global_store_b16 v1, v2, s[0:1] offset:32 scale_offset
.LBB126_73:
	s_endpgm
	.section	.rodata,"a",@progbits
	.p2align	6, 0x0
	.amdhsa_kernel _ZN4vllm25paged_attention_v1_kernelI14__hip_bfloat16S1_Li32ELi16ELi128ELNS_18Fp8KVCacheDataTypeE0ELb1EEEvPT_PKS3_PKT0_S9_ifPKiSB_iPKfiiiSD_SD_iiiii
		.amdhsa_group_segment_fixed_size 96
		.amdhsa_private_segment_fixed_size 0
		.amdhsa_kernarg_size 384
		.amdhsa_user_sgpr_count 2
		.amdhsa_user_sgpr_dispatch_ptr 0
		.amdhsa_user_sgpr_queue_ptr 0
		.amdhsa_user_sgpr_kernarg_segment_ptr 1
		.amdhsa_user_sgpr_dispatch_id 0
		.amdhsa_user_sgpr_kernarg_preload_length 0
		.amdhsa_user_sgpr_kernarg_preload_offset 0
		.amdhsa_user_sgpr_private_segment_size 0
		.amdhsa_wavefront_size32 1
		.amdhsa_uses_dynamic_stack 0
		.amdhsa_enable_private_segment 0
		.amdhsa_system_sgpr_workgroup_id_x 1
		.amdhsa_system_sgpr_workgroup_id_y 1
		.amdhsa_system_sgpr_workgroup_id_z 1
		.amdhsa_system_sgpr_workgroup_info 0
		.amdhsa_system_vgpr_workitem_id 0
		.amdhsa_next_free_vgpr 43
		.amdhsa_next_free_sgpr 40
		.amdhsa_named_barrier_count 0
		.amdhsa_reserve_vcc 1
		.amdhsa_float_round_mode_32 0
		.amdhsa_float_round_mode_16_64 0
		.amdhsa_float_denorm_mode_32 3
		.amdhsa_float_denorm_mode_16_64 3
		.amdhsa_fp16_overflow 0
		.amdhsa_memory_ordered 1
		.amdhsa_forward_progress 1
		.amdhsa_inst_pref_size 42
		.amdhsa_round_robin_scheduling 0
		.amdhsa_exception_fp_ieee_invalid_op 0
		.amdhsa_exception_fp_denorm_src 0
		.amdhsa_exception_fp_ieee_div_zero 0
		.amdhsa_exception_fp_ieee_overflow 0
		.amdhsa_exception_fp_ieee_underflow 0
		.amdhsa_exception_fp_ieee_inexact 0
		.amdhsa_exception_int_div_zero 0
	.end_amdhsa_kernel
	.section	.text._ZN4vllm25paged_attention_v1_kernelI14__hip_bfloat16S1_Li32ELi16ELi128ELNS_18Fp8KVCacheDataTypeE0ELb1EEEvPT_PKS3_PKT0_S9_ifPKiSB_iPKfiiiSD_SD_iiiii,"axG",@progbits,_ZN4vllm25paged_attention_v1_kernelI14__hip_bfloat16S1_Li32ELi16ELi128ELNS_18Fp8KVCacheDataTypeE0ELb1EEEvPT_PKS3_PKT0_S9_ifPKiSB_iPKfiiiSD_SD_iiiii,comdat
.Lfunc_end126:
	.size	_ZN4vllm25paged_attention_v1_kernelI14__hip_bfloat16S1_Li32ELi16ELi128ELNS_18Fp8KVCacheDataTypeE0ELb1EEEvPT_PKS3_PKT0_S9_ifPKiSB_iPKfiiiSD_SD_iiiii, .Lfunc_end126-_ZN4vllm25paged_attention_v1_kernelI14__hip_bfloat16S1_Li32ELi16ELi128ELNS_18Fp8KVCacheDataTypeE0ELb1EEEvPT_PKS3_PKT0_S9_ifPKiSB_iPKfiiiSD_SD_iiiii
                                        ; -- End function
	.set _ZN4vllm25paged_attention_v1_kernelI14__hip_bfloat16S1_Li32ELi16ELi128ELNS_18Fp8KVCacheDataTypeE0ELb1EEEvPT_PKS3_PKT0_S9_ifPKiSB_iPKfiiiSD_SD_iiiii.num_vgpr, 43
	.set _ZN4vllm25paged_attention_v1_kernelI14__hip_bfloat16S1_Li32ELi16ELi128ELNS_18Fp8KVCacheDataTypeE0ELb1EEEvPT_PKS3_PKT0_S9_ifPKiSB_iPKfiiiSD_SD_iiiii.num_agpr, 0
	.set _ZN4vllm25paged_attention_v1_kernelI14__hip_bfloat16S1_Li32ELi16ELi128ELNS_18Fp8KVCacheDataTypeE0ELb1EEEvPT_PKS3_PKT0_S9_ifPKiSB_iPKfiiiSD_SD_iiiii.numbered_sgpr, 40
	.set _ZN4vllm25paged_attention_v1_kernelI14__hip_bfloat16S1_Li32ELi16ELi128ELNS_18Fp8KVCacheDataTypeE0ELb1EEEvPT_PKS3_PKT0_S9_ifPKiSB_iPKfiiiSD_SD_iiiii.num_named_barrier, 0
	.set _ZN4vllm25paged_attention_v1_kernelI14__hip_bfloat16S1_Li32ELi16ELi128ELNS_18Fp8KVCacheDataTypeE0ELb1EEEvPT_PKS3_PKT0_S9_ifPKiSB_iPKfiiiSD_SD_iiiii.private_seg_size, 0
	.set _ZN4vllm25paged_attention_v1_kernelI14__hip_bfloat16S1_Li32ELi16ELi128ELNS_18Fp8KVCacheDataTypeE0ELb1EEEvPT_PKS3_PKT0_S9_ifPKiSB_iPKfiiiSD_SD_iiiii.uses_vcc, 1
	.set _ZN4vllm25paged_attention_v1_kernelI14__hip_bfloat16S1_Li32ELi16ELi128ELNS_18Fp8KVCacheDataTypeE0ELb1EEEvPT_PKS3_PKT0_S9_ifPKiSB_iPKfiiiSD_SD_iiiii.uses_flat_scratch, 0
	.set _ZN4vllm25paged_attention_v1_kernelI14__hip_bfloat16S1_Li32ELi16ELi128ELNS_18Fp8KVCacheDataTypeE0ELb1EEEvPT_PKS3_PKT0_S9_ifPKiSB_iPKfiiiSD_SD_iiiii.has_dyn_sized_stack, 0
	.set _ZN4vllm25paged_attention_v1_kernelI14__hip_bfloat16S1_Li32ELi16ELi128ELNS_18Fp8KVCacheDataTypeE0ELb1EEEvPT_PKS3_PKT0_S9_ifPKiSB_iPKfiiiSD_SD_iiiii.has_recursion, 0
	.set _ZN4vllm25paged_attention_v1_kernelI14__hip_bfloat16S1_Li32ELi16ELi128ELNS_18Fp8KVCacheDataTypeE0ELb1EEEvPT_PKS3_PKT0_S9_ifPKiSB_iPKfiiiSD_SD_iiiii.has_indirect_call, 0
	.section	.AMDGPU.csdata,"",@progbits
; Kernel info:
; codeLenInByte = 5264
; TotalNumSgprs: 42
; NumVgprs: 43
; ScratchSize: 0
; MemoryBound: 0
; FloatMode: 240
; IeeeMode: 1
; LDSByteSize: 96 bytes/workgroup (compile time only)
; SGPRBlocks: 0
; VGPRBlocks: 2
; NumSGPRsForWavesPerEU: 42
; NumVGPRsForWavesPerEU: 43
; NamedBarCnt: 0
; Occupancy: 16
; WaveLimiterHint : 1
; COMPUTE_PGM_RSRC2:SCRATCH_EN: 0
; COMPUTE_PGM_RSRC2:USER_SGPR: 2
; COMPUTE_PGM_RSRC2:TRAP_HANDLER: 0
; COMPUTE_PGM_RSRC2:TGID_X_EN: 1
; COMPUTE_PGM_RSRC2:TGID_Y_EN: 1
; COMPUTE_PGM_RSRC2:TGID_Z_EN: 1
; COMPUTE_PGM_RSRC2:TIDIG_COMP_CNT: 0
	.section	.text._ZN4vllm25paged_attention_v1_kernelI14__hip_bfloat16S1_Li64ELi16ELi128ELNS_18Fp8KVCacheDataTypeE0ELb1EEEvPT_PKS3_PKT0_S9_ifPKiSB_iPKfiiiSD_SD_iiiii,"axG",@progbits,_ZN4vllm25paged_attention_v1_kernelI14__hip_bfloat16S1_Li64ELi16ELi128ELNS_18Fp8KVCacheDataTypeE0ELb1EEEvPT_PKS3_PKT0_S9_ifPKiSB_iPKfiiiSD_SD_iiiii,comdat
	.protected	_ZN4vllm25paged_attention_v1_kernelI14__hip_bfloat16S1_Li64ELi16ELi128ELNS_18Fp8KVCacheDataTypeE0ELb1EEEvPT_PKS3_PKT0_S9_ifPKiSB_iPKfiiiSD_SD_iiiii ; -- Begin function _ZN4vllm25paged_attention_v1_kernelI14__hip_bfloat16S1_Li64ELi16ELi128ELNS_18Fp8KVCacheDataTypeE0ELb1EEEvPT_PKS3_PKT0_S9_ifPKiSB_iPKfiiiSD_SD_iiiii
	.globl	_ZN4vllm25paged_attention_v1_kernelI14__hip_bfloat16S1_Li64ELi16ELi128ELNS_18Fp8KVCacheDataTypeE0ELb1EEEvPT_PKS3_PKT0_S9_ifPKiSB_iPKfiiiSD_SD_iiiii
	.p2align	8
	.type	_ZN4vllm25paged_attention_v1_kernelI14__hip_bfloat16S1_Li64ELi16ELi128ELNS_18Fp8KVCacheDataTypeE0ELb1EEEvPT_PKS3_PKT0_S9_ifPKiSB_iPKfiiiSD_SD_iiiii,@function
_ZN4vllm25paged_attention_v1_kernelI14__hip_bfloat16S1_Li64ELi16ELi128ELNS_18Fp8KVCacheDataTypeE0ELb1EEEvPT_PKS3_PKT0_S9_ifPKiSB_iPKfiiiSD_SD_iiiii: ; @_ZN4vllm25paged_attention_v1_kernelI14__hip_bfloat16S1_Li64ELi16ELi128ELNS_18Fp8KVCacheDataTypeE0ELb1EEEvPT_PKS3_PKT0_S9_ifPKiSB_iPKfiiiSD_SD_iiiii
; %bb.0:
	s_load_b64 s[22:23], s[0:1], 0x20
	s_bfe_u32 s3, ttmp6, 0x4000c
	s_bfe_u32 s4, ttmp6, 0x40010
	s_and_b32 s6, ttmp7, 0xffff
	s_add_co_i32 s3, s3, 1
	s_add_co_i32 s4, s4, 1
	s_and_b32 s2, ttmp6, 15
	s_bfe_u32 s5, ttmp6, 0x40004
	s_mul_i32 s3, ttmp9, s3
	s_mul_i32 s4, s6, s4
	s_getreg_b32 s28, hwreg(HW_REG_IB_STS2, 6, 4)
	s_add_co_i32 s2, s2, s3
	s_add_co_i32 s3, s5, s4
	s_cmp_eq_u32 s28, 0
	s_clause 0x1
	s_load_b32 s29, s[0:1], 0x80
	s_load_b64 s[4:5], s[0:1], 0x30
	s_cselect_b32 s30, s6, s3
	s_cselect_b32 s2, ttmp9, s2
	s_mov_b32 s17, 0
	s_delay_alu instid0(SALU_CYCLE_1) | instskip(SKIP_2) | instid1(SALU_CYCLE_1)
	s_mov_b32 s35, s17
	s_wait_kmcnt 0x0
	s_abs_i32 s3, s22
	s_cvt_f32_u32 s6, s3
	s_sub_co_i32 s7, 0, s3
	s_delay_alu instid0(SALU_CYCLE_2) | instskip(SKIP_2) | instid1(TRANS32_DEP_1)
	v_rcp_iflag_f32_e32 v1, s6
	s_abs_i32 s8, s29
	v_nop
	v_readfirstlane_b32 s6, v1
	s_mul_f32 s6, s6, 0x4f7ffffe
	s_delay_alu instid0(SALU_CYCLE_3) | instskip(NEXT) | instid1(SALU_CYCLE_3)
	s_cvt_u32_f32 s6, s6
	s_mul_i32 s7, s7, s6
	s_delay_alu instid0(SALU_CYCLE_1) | instskip(NEXT) | instid1(SALU_CYCLE_1)
	s_mul_hi_u32 s7, s6, s7
	s_add_co_i32 s6, s6, s7
	s_xor_b32 s7, s29, s22
	s_mul_hi_u32 s6, s8, s6
	s_ashr_i32 s7, s7, 31
	s_mul_i32 s9, s6, s3
	s_delay_alu instid0(SALU_CYCLE_1)
	s_sub_co_i32 s8, s8, s9
	s_add_co_i32 s9, s6, 1
	s_sub_co_i32 s10, s8, s3
	s_cmp_ge_u32 s8, s3
	s_cselect_b32 s6, s9, s6
	s_cselect_b32 s8, s10, s8
	s_add_co_i32 s9, s6, 1
	s_cmp_ge_u32 s8, s3
	s_cselect_b32 s3, s9, s6
	s_load_b64 s[8:9], s[0:1], 0x40
	s_xor_b32 s3, s3, s7
	s_abs_i32 s16, s2
	s_sub_co_i32 s10, s3, s7
	s_mov_b32 s7, s17
	s_abs_i32 s15, s10
	s_delay_alu instid0(SALU_CYCLE_1) | instskip(SKIP_1) | instid1(SALU_CYCLE_2)
	s_cvt_f32_u32 s3, s15
	s_sub_co_i32 s6, 0, s15
	v_rcp_iflag_f32_e32 v1, s3
	v_nop
	s_delay_alu instid0(TRANS32_DEP_1) | instskip(SKIP_1) | instid1(SALU_CYCLE_3)
	v_readfirstlane_b32 s3, v1
	s_mul_f32 s3, s3, 0x4f7ffffe
	s_cvt_u32_f32 s3, s3
	s_delay_alu instid0(SALU_CYCLE_3) | instskip(NEXT) | instid1(SALU_CYCLE_1)
	s_mul_i32 s6, s6, s3
	s_mul_hi_u32 s6, s3, s6
	s_delay_alu instid0(SALU_CYCLE_1)
	s_add_co_i32 s6, s3, s6
	s_wait_kmcnt 0x0
	s_cmp_eq_u64 s[8:9], 0
	s_cbranch_scc1 .LBB127_2
; %bb.1:
	s_ashr_i32 s3, s2, 31
	s_delay_alu instid0(SALU_CYCLE_1) | instskip(NEXT) | instid1(SALU_CYCLE_1)
	s_lshl_b64 s[12:13], s[2:3], 2
	s_add_nc_u64 s[8:9], s[8:9], s[12:13]
	s_load_b32 s35, s[8:9], 0x0
.LBB127_2:
	s_load_b32 s31, s[4:5], s30 offset:0x0 scale_offset
	s_load_b96 s[12:14], s[0:1], 0x48
	v_dual_lshrrev_b32 v1, 1, v0 :: v_dual_bitop2_b32 v36, 1, v0 bitop3:0x40
	s_wait_xcnt 0x0
	s_mul_u64 s[4:5], s[16:17], s[6:7]
	s_ashr_i32 s3, s2, 31
	s_ashr_i32 s18, s10, 31
	s_lshl_b32 s6, s2, 6
	s_mov_b32 s4, exec_lo
	v_cmpx_gt_u32_e32 16, v0
	s_cbranch_execz .LBB127_4
; %bb.3:
	s_load_b64 s[8:9], s[0:1], 0x8
	s_wait_kmcnt 0x0
	s_mul_i32 s10, s12, s30
	s_ashr_i32 s7, s6, 31
	s_ashr_i32 s11, s10, 31
	v_lshlrev_b32_e32 v4, 3, v1
	s_lshl_b64 s[10:11], s[10:11], 1
	s_delay_alu instid0(VALU_DEP_1) | instskip(SKIP_2) | instid1(SALU_CYCLE_1)
	v_lshl_add_u32 v4, v36, 6, v4
	s_add_nc_u64 s[8:9], s[8:9], s[10:11]
	s_lshl_b64 s[10:11], s[6:7], 1
	s_add_nc_u64 s[8:9], s[8:9], s[10:11]
	global_load_b64 v[2:3], v0, s[8:9] scale_offset
	s_wait_loadcnt 0x0
	ds_store_b64 v4, v[2:3]
.LBB127_4:
	s_or_b32 exec_lo, exec_lo, s4
	s_load_b128 s[8:11], s[0:1], 0x68
	s_mul_i32 s4, s5, s15
	s_xor_b32 s3, s3, s18
	s_sub_co_i32 s4, s16, s4
	s_add_co_i32 s7, s5, 1
	s_wait_kmcnt 0x0
	s_sub_co_i32 s12, s4, s15
	s_cmp_ge_u32 s4, s15
	s_mov_b32 s18, -1
	s_cselect_b32 s5, s7, s5
	s_cselect_b32 s4, s12, s4
	s_add_co_i32 s12, s5, 1
	s_cmp_ge_u32 s4, s15
	s_load_b32 s7, s[0:1], 0x78
	s_cselect_b32 s4, s12, s5
	s_add_co_i32 s15, s31, -1
	s_xor_b32 s4, s4, s3
	s_wait_dscnt 0x0
	s_sub_co_i32 s3, s4, s3
	s_barrier_signal -1
	s_barrier_wait -1
	s_abs_i32 s12, s11
	s_delay_alu instid0(SALU_CYCLE_1) | instskip(NEXT) | instid1(SALU_CYCLE_3)
	s_cvt_f32_u32 s5, s12
                                        ; implicit-def: $sgpr33
	v_rcp_iflag_f32_e32 v2, s5
	v_nop
	s_delay_alu instid0(TRANS32_DEP_1) | instskip(SKIP_1) | instid1(SALU_CYCLE_3)
	v_readfirstlane_b32 s5, v2
	s_mul_f32 s4, s5, 0x4f7ffffe
	s_cvt_u32_f32 s16, s4
	s_sub_co_i32 s4, 0, s12
	s_delay_alu instid0(SALU_CYCLE_2)
	s_mul_i32 s5, s4, s16
	s_abs_i32 s4, s15
	s_mul_hi_u32 s17, s16, s5
	s_mov_b32 s5, 0
	s_add_co_i32 s16, s16, s17
	s_wait_kmcnt 0x0
	s_cmp_lt_i32 s7, 0
	s_mov_b32 s17, s5
	s_cbranch_scc0 .LBB127_6
; %bb.5:
	s_mul_i32 s18, s8, s22
	s_delay_alu instid0(SALU_CYCLE_1) | instskip(NEXT) | instid1(SALU_CYCLE_1)
	s_add_co_i32 s18, s3, s18
	s_mul_i32 s18, s18, s7
	s_delay_alu instid0(SALU_CYCLE_1)
	s_sub_co_i32 s33, 1, s18
	s_mov_b32 s18, s5
.LBB127_6:
	s_ashr_i32 s15, s15, 31
	s_ashr_i32 s11, s11, 31
	s_and_not1_b32 vcc_lo, exec_lo, s18
	s_mul_u64 s[24:25], s[4:5], s[16:17]
	s_cbranch_vccnz .LBB127_8
; %bb.7:
	s_mul_i32 s5, s29, s8
	s_delay_alu instid0(SALU_CYCLE_1) | instskip(NEXT) | instid1(SALU_CYCLE_1)
	s_add_co_i32 s2, s5, s2
	s_mul_i32 s2, s2, s7
	s_delay_alu instid0(SALU_CYCLE_1)
	s_add_co_i32 s33, s2, 1
.LBB127_8:
	s_load_b32 s2, s[0:1], 0x38
	s_mul_i32 s7, s25, s12
	s_xor_b32 s5, s15, s11
	s_sub_co_i32 s4, s4, s7
	s_add_co_i32 s8, s25, 1
	s_clause 0x1
	s_load_b64 s[18:19], s[0:1], 0x28
	s_load_b32 s7, s[0:1], 0x88
	v_dual_lshrrev_b32 v37, 5, v0 :: v_dual_lshlrev_b32 v9, 3, v0
	v_dual_mov_b32 v13, 0xff7fffff :: v_dual_lshrrev_b32 v8, 3, v0
	v_mbcnt_lo_u32_b32 v10, -1, 0
	s_delay_alu instid0(VALU_DEP_3)
	v_lshlrev_b32_e32 v26, 4, v37
	s_mul_i32 s14, s3, s14
	s_wait_kmcnt 0x0
	s_mul_i32 s20, s2, s30
	s_sub_co_i32 s2, s4, s12
	s_ashr_i32 s21, s20, 31
	s_cmp_ge_u32 s4, s12
	s_cselect_b32 s8, s8, s25
	s_cselect_b32 s2, s2, s4
	s_add_co_i32 s4, s8, 1
	s_cmp_ge_u32 s2, s12
	s_cselect_b32 s2, s4, s8
	s_add_co_i32 s4, s31, 15
	s_delay_alu instid0(SALU_CYCLE_1) | instskip(NEXT) | instid1(SALU_CYCLE_1)
	s_ashr_i32 s8, s4, 31
	s_lshr_b32 s8, s8, 28
	s_delay_alu instid0(SALU_CYCLE_1) | instskip(NEXT) | instid1(SALU_CYCLE_1)
	s_add_co_i32 s4, s4, s8
	s_ashr_i32 s34, s4, 4
	s_xor_b32 s4, s2, s5
	v_cmp_gt_i32_e64 s2, s34, v37
	s_sub_co_i32 s8, s4, s5
	s_and_saveexec_b32 s22, s2
	s_cbranch_execz .LBB127_20
; %bb.9:
	s_load_b64 s[4:5], s[0:1], 0x10
	s_ashr_i32 s15, s14, 31
	s_sub_co_i32 s36, s8, s9
	s_ashr_i32 s25, s13, 31
	s_lshl_b64 s[38:39], s[14:15], 1
	s_cmp_neq_f32 s35, 0
	v_bfe_u32 v11, v0, 1, 4
	v_dual_mov_b32 v3, 0 :: v_dual_lshlrev_b32 v12, 6, v36
	s_cselect_b32 vcc_lo, -1, 0
	s_abs_i32 s15, s10
	s_delay_alu instid0(VALU_DEP_2)
	v_lshlrev_b32_e32 v2, 4, v11
	s_cvt_f32_u32 s3, s15
	v_subrev_nc_u32_e32 v6, s31, v11
	v_lshlrev_b32_e32 v7, 2, v11
	s_sub_co_i32 s26, 0, s15
	v_rcp_iflag_f32_e32 v4, s3
	v_cmp_eq_u32_e64 s3, 0, v36
	v_dual_mov_b32 v16, 0xff7fffff :: v_dual_mov_b32 v13, 0xff7fffff
	s_wait_kmcnt 0x0
	s_add_nc_u64 s[4:5], s[4:5], s[38:39]
	v_lshl_or_b32 v7, v37, 6, v7
	v_add_nc_u32_e32 v14, 1, v6
	v_readfirstlane_b32 s24, v4
	v_add_nc_u64_e32 v[4:5], s[4:5], v[2:3]
	v_and_b32_e32 v2, 8, v9
	s_lshl_b64 s[4:5], s[20:21], 2
	v_dual_mov_b32 v18, v37 :: v_dual_add_nc_u32 v15, 0xa0, v7
	s_mul_f32 s24, s24, 0x4f7ffffe
	s_add_nc_u64 s[4:5], s[18:19], s[4:5]
	s_delay_alu instid0(VALU_DEP_3)
	v_add_nc_u64_e32 v[4:5], v[4:5], v[2:3]
	v_and_b32_e32 v2, 0x7c, v8
	s_cvt_u32_f32 s37, s24
	v_xor_b32_e32 v17, 1, v10
	s_mov_b32 s27, 0
	s_mov_b32 s24, s13
	v_add_nc_u64_e32 v[6:7], s[4:5], v[2:3]
	s_mul_i32 s26, s26, s37
	v_lshlrev_b32_e32 v2, 4, v37
	s_mul_hi_u32 s4, s37, s26
	s_delay_alu instid0(SALU_CYCLE_1)
	s_add_co_i32 s26, s37, s4
	s_mov_b32 s37, s27
	s_branch .LBB127_12
.LBB127_10:                             ;   in Loop: Header=BB127_12 Depth=1
	s_or_b32 exec_lo, exec_lo, s38
.LBB127_11:                             ;   in Loop: Header=BB127_12 Depth=1
	s_delay_alu instid0(SALU_CYCLE_1) | instskip(SKIP_4) | instid1(VALU_DEP_4)
	s_or_b32 exec_lo, exec_lo, s5
	v_add_nc_u32_e32 v18, 4, v18
	v_add_nc_u64_e32 v[6:7], 16, v[6:7]
	v_add_nc_u32_e32 v2, 64, v2
	v_add_nc_u32_e32 v15, 0x100, v15
	v_cmp_le_i32_e64 s4, s34, v18
	s_or_b32 s37, s4, s37
	s_delay_alu instid0(SALU_CYCLE_1)
	s_and_not1_b32 exec_lo, exec_lo, s37
	s_cbranch_execz .LBB127_19
.LBB127_12:                             ; =>This Inner Loop Header: Depth=1
	s_wait_dscnt 0x0
	v_mul_u64_e32 v[20:21], s[16:17], v[2:3]
	s_delay_alu instid0(VALU_DEP_1) | instskip(NEXT) | instid1(VALU_DEP_1)
	v_mul_lo_u32 v19, v21, s12
	v_dual_add_nc_u32 v20, 1, v21 :: v_dual_sub_nc_u32 v19, v2, v19
	s_delay_alu instid0(VALU_DEP_1) | instskip(SKIP_1) | instid1(VALU_DEP_1)
	v_subrev_nc_u32_e32 v22, s12, v19
	v_cmp_le_u32_e64 s4, s12, v19
	v_dual_cndmask_b32 v20, v21, v20, s4 :: v_dual_cndmask_b32 v19, v19, v22, s4
	s_delay_alu instid0(VALU_DEP_1) | instskip(NEXT) | instid1(VALU_DEP_2)
	v_add_nc_u32_e32 v21, 1, v20
	v_cmp_le_u32_e64 s4, s12, v19
	s_delay_alu instid0(VALU_DEP_1) | instskip(NEXT) | instid1(VALU_DEP_1)
	v_dual_cndmask_b32 v19, v20, v21, s4 :: v_dual_mov_b32 v21, v3
	v_xor_b32_e32 v19, s11, v19
	s_delay_alu instid0(VALU_DEP_1) | instskip(NEXT) | instid1(VALU_DEP_1)
	v_subrev_nc_u32_e32 v19, s11, v19
	v_add_nc_u32_e32 v24, s33, v19
	v_cmp_ge_i32_e64 s5, s36, v19
	s_delay_alu instid0(VALU_DEP_2) | instskip(NEXT) | instid1(VALU_DEP_1)
	v_sub_nc_u32_e32 v20, 0, v24
	v_max_i32_e32 v20, v24, v20
	s_delay_alu instid0(VALU_DEP_1) | instskip(SKIP_1) | instid1(VALU_DEP_2)
	v_mul_u64_e32 v[22:23], s[26:27], v[20:21]
	v_ashrrev_i32_e32 v22, 31, v24
	v_mul_lo_u32 v21, v23, s15
	s_delay_alu instid0(VALU_DEP_1) | instskip(NEXT) | instid1(VALU_DEP_1)
	v_sub_nc_u32_e32 v20, v20, v21
	v_subrev_nc_u32_e32 v21, s15, v20
	v_cmp_le_u32_e64 s4, s15, v20
	s_delay_alu instid0(VALU_DEP_1) | instskip(NEXT) | instid1(VALU_DEP_1)
	v_cndmask_b32_e64 v20, v20, v21, s4
	v_subrev_nc_u32_e32 v21, s15, v20
	v_cmp_le_u32_e64 s4, s15, v20
	s_delay_alu instid0(VALU_DEP_1) | instskip(NEXT) | instid1(VALU_DEP_1)
	v_cndmask_b32_e64 v20, v20, v21, s4
	v_xor_b32_e32 v20, v20, v22
	s_delay_alu instid0(VALU_DEP_1) | instskip(NEXT) | instid1(VALU_DEP_1)
	v_sub_nc_u32_e32 v20, v20, v22
	v_cmp_ne_u32_e64 s4, 0, v20
	s_and_b32 s4, s4, s5
	s_delay_alu instid0(SALU_CYCLE_1) | instskip(NEXT) | instid1(SALU_CYCLE_1)
	s_and_saveexec_b32 s5, s4
	s_xor_b32 s4, exec_lo, s5
	s_cbranch_execz .LBB127_16
; %bb.13:                               ;   in Loop: Header=BB127_12 Depth=1
	s_and_saveexec_b32 s5, s3
; %bb.14:                               ;   in Loop: Header=BB127_12 Depth=1
	ds_store_b32 v15, v16
; %bb.15:                               ;   in Loop: Header=BB127_12 Depth=1
	s_or_b32 exec_lo, exec_lo, s5
.LBB127_16:                             ;   in Loop: Header=BB127_12 Depth=1
	s_and_not1_saveexec_b32 s5, s4
	s_cbranch_execz .LBB127_11
; %bb.17:                               ;   in Loop: Header=BB127_12 Depth=1
	global_load_b32 v20, v[6:7], off
	v_cmp_gt_i32_e64 s4, 32, v17
	s_wait_loadcnt 0x0
	v_ashrrev_i32_e32 v21, 31, v20
	s_delay_alu instid0(VALU_DEP_1) | instskip(NEXT) | instid1(VALU_DEP_1)
	v_mul_u64_e32 v[20:21], s[24:25], v[20:21]
	v_lshl_add_u64 v[20:21], v[20:21], 1, v[4:5]
	s_clause 0x7
	global_load_b64 v[24:25], v[20:21], off offset:256
	global_load_b64 v[38:39], v[20:21], off
	global_load_b64 v[40:41], v[20:21], off offset:512
	global_load_b64 v[42:43], v[20:21], off offset:768
	;; [unrolled: 1-line block ×6, first 2 shown]
	s_wait_xcnt 0x0
	ds_load_b128 v[20:23], v12
	ds_load_b128 v[28:31], v12 offset:16
	ds_load_b128 v[32:35], v12 offset:32
	s_wait_dscnt 0x2
	v_lshlrev_b32_e32 v19, 16, v22
	v_and_b32_e32 v22, 0xffff0000, v22
	s_wait_loadcnt 0x7
	v_dual_lshlrev_b32 v52, 16, v23 :: v_dual_lshlrev_b32 v27, 16, v24
	v_and_b32_e32 v24, 0xffff0000, v24
	v_lshlrev_b32_e32 v53, 16, v25
	v_and_b32_e32 v54, 0xffff0000, v25
	s_delay_alu instid0(VALU_DEP_3) | instskip(NEXT) | instid1(VALU_DEP_3)
	v_dual_mul_f32 v19, v19, v27 :: v_dual_mul_f32 v22, v22, v24
	v_mul_f32_e32 v52, v52, v53
	v_and_b32_e32 v27, 0xffff0000, v23
	s_wait_loadcnt 0x6
	s_delay_alu instid0(VALU_DEP_3)
	v_fma_mix_f32_bf16 v19, v20, v38, v19 op_sel_hi:[1,1,0]
	v_fma_mix_f32_bf16 v20, v20, v38, v22 op_sel:[1,1,0] op_sel_hi:[1,1,0]
	ds_load_b128 v[22:25], v12 offset:48
	v_mul_f32_e32 v27, v27, v54
	v_fma_mix_f32_bf16 v38, v21, v39, v52 op_sel_hi:[1,1,0]
	s_wait_loadcnt_dscnt 0x502
	v_fma_mix_f32_bf16 v19, v28, v40, v19 op_sel_hi:[1,1,0]
	v_fma_mix_f32_bf16 v20, v28, v40, v20 op_sel:[1,1,0] op_sel_hi:[1,1,0]
	s_wait_loadcnt 0x4
	s_delay_alu instid0(VALU_DEP_2) | instskip(NEXT) | instid1(VALU_DEP_2)
	v_fma_mix_f32_bf16 v19, v30, v42, v19 op_sel_hi:[1,1,0]
	v_fma_mix_f32_bf16 v20, v30, v42, v20 op_sel:[1,1,0] op_sel_hi:[1,1,0]
	s_wait_loadcnt_dscnt 0x301
	s_delay_alu instid0(VALU_DEP_2) | instskip(NEXT) | instid1(VALU_DEP_2)
	v_fma_mix_f32_bf16 v19, v32, v44, v19 op_sel_hi:[1,1,0]
	v_fma_mix_f32_bf16 v20, v32, v44, v20 op_sel:[1,1,0] op_sel_hi:[1,1,0]
	s_wait_loadcnt 0x2
	s_delay_alu instid0(VALU_DEP_2) | instskip(NEXT) | instid1(VALU_DEP_2)
	v_fma_mix_f32_bf16 v19, v34, v46, v19 op_sel_hi:[1,1,0]
	v_fma_mix_f32_bf16 v20, v34, v46, v20 op_sel:[1,1,0] op_sel_hi:[1,1,0]
	s_wait_loadcnt_dscnt 0x100
	s_delay_alu instid0(VALU_DEP_2) | instskip(NEXT) | instid1(VALU_DEP_2)
	v_fma_mix_f32_bf16 v19, v22, v48, v19 op_sel_hi:[1,1,0]
	v_fma_mix_f32_bf16 v20, v22, v48, v20 op_sel:[1,1,0] op_sel_hi:[1,1,0]
	s_wait_loadcnt 0x0
	s_delay_alu instid0(VALU_DEP_2) | instskip(NEXT) | instid1(VALU_DEP_2)
	v_fma_mix_f32_bf16 v19, v24, v50, v19 op_sel_hi:[1,1,0]
	v_fma_mix_f32_bf16 v20, v24, v50, v20 op_sel:[1,1,0] op_sel_hi:[1,1,0]
	s_delay_alu instid0(VALU_DEP_1) | instskip(SKIP_2) | instid1(VALU_DEP_3)
	v_dual_add_f32 v19, v19, v20 :: v_dual_cndmask_b32 v20, v10, v17, s4
	v_fma_mix_f32_bf16 v21, v21, v39, v27 op_sel:[1,1,0] op_sel_hi:[1,1,0]
	v_fma_mix_f32_bf16 v27, v29, v41, v38 op_sel_hi:[1,1,0]
	v_lshlrev_b32_e32 v20, 2, v20
	s_delay_alu instid0(VALU_DEP_3) | instskip(NEXT) | instid1(VALU_DEP_3)
	v_fma_mix_f32_bf16 v21, v29, v41, v21 op_sel:[1,1,0] op_sel_hi:[1,1,0]
	v_fma_mix_f32_bf16 v27, v31, v43, v27 op_sel_hi:[1,1,0]
	s_delay_alu instid0(VALU_DEP_2) | instskip(NEXT) | instid1(VALU_DEP_2)
	v_fma_mix_f32_bf16 v21, v31, v43, v21 op_sel:[1,1,0] op_sel_hi:[1,1,0]
	v_fma_mix_f32_bf16 v27, v33, v45, v27 op_sel_hi:[1,1,0]
	s_delay_alu instid0(VALU_DEP_2) | instskip(NEXT) | instid1(VALU_DEP_2)
	;; [unrolled: 3-line block ×5, first 2 shown]
	v_fma_mix_f32_bf16 v21, v25, v51, v21 op_sel:[1,1,0] op_sel_hi:[1,1,0]
	v_add_f32_e32 v19, v19, v22
	s_delay_alu instid0(VALU_DEP_1)
	v_add_f32_e32 v19, v21, v19
	ds_bpermute_b32 v20, v20, v19
	s_and_saveexec_b32 s38, s3
	s_cbranch_execz .LBB127_10
; %bb.18:                               ;   in Loop: Header=BB127_12 Depth=1
	s_wait_dscnt 0x0
	v_dual_add_nc_u32 v21, v14, v2 :: v_dual_add_f32 v19, v19, v20
	s_delay_alu instid0(VALU_DEP_1) | instskip(NEXT) | instid1(VALU_DEP_1)
	v_cvt_f32_i32_e32 v21, v21
	v_mul_f32_e32 v21, s35, v21
	s_delay_alu instid0(VALU_DEP_1) | instskip(NEXT) | instid1(VALU_DEP_1)
	v_cndmask_b32_e32 v20, 0, v21, vcc_lo
	v_dual_fmac_f32 v20, s23, v19 :: v_dual_add_nc_u32 v19, v11, v2
	s_delay_alu instid0(VALU_DEP_1) | instskip(NEXT) | instid1(VALU_DEP_1)
	v_cmp_gt_i32_e64 s4, s31, v19
	v_dual_max_num_f32 v21, v13, v13 :: v_dual_cndmask_b32 v19, 0, v20, s4
	s_delay_alu instid0(VALU_DEP_1)
	v_max_num_f32_e32 v21, v21, v20
	ds_store_b32 v15, v19
	v_cndmask_b32_e64 v13, v13, v21, s4
	s_branch .LBB127_10
.LBB127_19:
	s_or_b32 exec_lo, exec_lo, s37
.LBB127_20:
	s_delay_alu instid0(SALU_CYCLE_1)
	s_or_b32 exec_lo, exec_lo, s22
	v_dual_max_num_f32 v5, v13, v13 :: v_dual_bitop2_b32 v2, 16, v10 bitop3:0x14
	v_xor_b32_e32 v4, 8, v10
	s_clause 0x1
	s_load_b64 s[4:5], s[0:1], 0x0
	s_load_b64 s[22:23], s[0:1], 0x18
	v_and_b32_e32 v38, 31, v0
	v_cmp_gt_i32_e32 vcc_lo, 32, v2
	v_cndmask_b32_e32 v2, v10, v2, vcc_lo
	v_cmp_gt_i32_e32 vcc_lo, 32, v4
	s_delay_alu instid0(VALU_DEP_2) | instskip(SKIP_3) | instid1(VALU_DEP_1)
	v_dual_cndmask_b32 v4, v10, v4 :: v_dual_lshlrev_b32 v3, 2, v2
	ds_bpermute_b32 v2, v3, v13
	s_wait_dscnt 0x0
	v_dual_max_num_f32 v2, v2, v2 :: v_dual_lshlrev_b32 v4, 2, v4
	v_max_num_f32_e32 v2, v5, v2
	ds_bpermute_b32 v5, v4, v2
	s_wait_dscnt 0x0
	v_dual_max_num_f32 v7, v5, v5 :: v_dual_bitop2_b32 v6, 4, v10 bitop3:0x14
	s_delay_alu instid0(VALU_DEP_1) | instskip(NEXT) | instid1(VALU_DEP_2)
	v_max_num_f32_e32 v2, v2, v7
	v_cmp_gt_i32_e32 vcc_lo, 32, v6
	v_xor_b32_e32 v7, 2, v10
	v_cndmask_b32_e32 v6, v10, v6, vcc_lo
	s_delay_alu instid0(VALU_DEP_2) | instskip(NEXT) | instid1(VALU_DEP_2)
	v_cmp_gt_i32_e32 vcc_lo, 32, v7
	v_dual_cndmask_b32 v11, v10, v7, vcc_lo :: v_dual_lshlrev_b32 v5, 2, v6
	v_cmp_eq_u32_e32 vcc_lo, 0, v38
	ds_bpermute_b32 v6, v5, v2
	s_wait_dscnt 0x0
	v_max_num_f32_e32 v6, v6, v6
	s_delay_alu instid0(VALU_DEP_1)
	v_dual_max_num_f32 v7, v2, v6 :: v_dual_lshlrev_b32 v2, 2, v11
	v_lshlrev_b32_e32 v6, 2, v37
	ds_bpermute_b32 v11, v2, v7
	s_wait_xcnt 0x0
	s_and_saveexec_b32 s0, vcc_lo
	s_cbranch_execz .LBB127_22
; %bb.21:
	s_wait_dscnt 0x0
	v_max_num_f32_e32 v11, v11, v11
	v_max_num_f32_e32 v7, v7, v7
	s_delay_alu instid0(VALU_DEP_1)
	v_max_num_f32_e32 v7, v7, v11
	ds_store_b32 v6, v7 offset:128
.LBB127_22:
	s_or_b32 exec_lo, exec_lo, s0
	v_cmp_gt_u32_e64 s0, 4, v38
	s_wait_dscnt 0x0
	v_mov_b32_e32 v11, 0xff7fffff
	v_lshlrev_b32_e32 v7, 2, v38
	s_barrier_signal -1
	s_barrier_wait -1
	s_and_saveexec_b32 s1, s0
; %bb.23:
	ds_load_b32 v11, v7 offset:128
; %bb.24:
	s_or_b32 exec_lo, exec_lo, s1
	s_wait_dscnt 0x0
	ds_bpermute_b32 v12, v2, v11
	v_dual_max_num_f32 v11, v11, v11 :: v_dual_bitop2_b32 v13, 1, v10 bitop3:0x14
	s_delay_alu instid0(VALU_DEP_1) | instskip(NEXT) | instid1(VALU_DEP_1)
	v_cmp_gt_i32_e64 s1, 32, v13
	v_cndmask_b32_e64 v10, v10, v13, s1
	s_lshl_b32 s1, s34, 4
	s_delay_alu instid0(SALU_CYCLE_1) | instskip(NEXT) | instid1(SALU_CYCLE_1)
	s_min_i32 s15, s1, s31
	v_cmp_gt_i32_e64 s1, s15, v0
	s_wait_dscnt 0x0
	v_dual_max_num_f32 v12, v12, v12 :: v_dual_lshlrev_b32 v39, 2, v10
	s_delay_alu instid0(VALU_DEP_1) | instskip(SKIP_3) | instid1(VALU_DEP_1)
	v_max_num_f32_e32 v10, v11, v12
	ds_bpermute_b32 v11, v39, v10
	s_wait_dscnt 0x0
	v_max_num_f32_e32 v11, v11, v11
	v_dual_max_num_f32 v11, v10, v11 :: v_dual_mov_b32 v10, 0
	ds_bpermute_b32 v11, v10, v11
	s_and_saveexec_b32 s24, s1
	s_cbranch_execz .LBB127_28
; %bb.25:
	v_lshl_add_u32 v12, v0, 2, 0xa0
	v_dual_mov_b32 v10, 0 :: v_dual_mov_b32 v13, v0
	s_mov_b32 s25, 0
.LBB127_26:                             ; =>This Inner Loop Header: Depth=1
	ds_load_b32 v14, v12
	v_add_nc_u32_e32 v13, 0x80, v13
	s_delay_alu instid0(VALU_DEP_1) | instskip(SKIP_3) | instid1(VALU_DEP_1)
	v_cmp_le_i32_e64 s3, s15, v13
	s_or_b32 s25, s3, s25
	s_wait_dscnt 0x0
	v_sub_f32_e32 v14, v14, v11
	v_mul_f32_e32 v14, 0x3fb8aa3b, v14
	s_delay_alu instid0(VALU_DEP_1)
	v_exp_f32_e32 v14, v14
	ds_store_b32 v12, v14
	v_nop
	v_add_f32_e32 v10, v10, v14
	v_add_nc_u32_e32 v12, 0x200, v12
	s_and_not1_b32 exec_lo, exec_lo, s25
	s_cbranch_execnz .LBB127_26
; %bb.27:
	s_or_b32 exec_lo, exec_lo, s25
.LBB127_28:
	s_delay_alu instid0(SALU_CYCLE_1)
	s_or_b32 exec_lo, exec_lo, s24
	ds_bpermute_b32 v3, v3, v10
	s_wait_dscnt 0x0
	v_add_f32_e32 v3, v10, v3
	ds_bpermute_b32 v4, v4, v3
	s_wait_dscnt 0x0
	v_add_f32_e32 v3, v3, v4
	;; [unrolled: 3-line block ×5, first 2 shown]
	s_and_saveexec_b32 s3, vcc_lo
; %bb.29:
	ds_store_b32 v6, v3 offset:144
; %bb.30:
	s_or_b32 exec_lo, exec_lo, s3
	s_wait_dscnt 0x0
	s_barrier_signal -1
	s_barrier_wait -1
	s_and_saveexec_b32 s3, s0
; %bb.31:
	ds_load_b32 v3, v7 offset:144
; %bb.32:
	s_or_b32 exec_lo, exec_lo, s3
	s_wait_dscnt 0x0
	ds_bpermute_b32 v2, v2, v3
	s_wait_dscnt 0x0
	v_dual_mov_b32 v29, 0 :: v_dual_add_f32 v2, v3, v2
	ds_bpermute_b32 v3, v39, v2
	s_wait_dscnt 0x0
	v_add_f32_e32 v2, v2, v3
	ds_bpermute_b32 v2, v29, v2
	s_and_saveexec_b32 s0, s1
	s_cbranch_execz .LBB127_45
; %bb.33:
	s_wait_dscnt 0x0
	v_add_f32_e32 v2, 0x358637bd, v2
	s_mov_b32 s3, -1
	s_mov_b32 s1, exec_lo
	s_delay_alu instid0(VALU_DEP_1) | instskip(NEXT) | instid1(VALU_DEP_1)
	v_div_scale_f32 v3, null, v2, v2, 1.0
	v_rcp_f32_e32 v5, v3
	v_nop
	s_delay_alu instid0(TRANS32_DEP_1) | instskip(NEXT) | instid1(VALU_DEP_1)
	v_fma_f32 v4, -v3, v5, 1.0
	v_fmac_f32_e32 v5, v4, v5
	v_div_scale_f32 v6, vcc_lo, 1.0, v2, 1.0
	s_delay_alu instid0(VALU_DEP_1) | instskip(NEXT) | instid1(VALU_DEP_1)
	v_mul_f32_e32 v7, v6, v5
	v_fma_f32 v4, -v3, v7, v6
	s_delay_alu instid0(VALU_DEP_1) | instskip(SKIP_1) | instid1(VALU_DEP_2)
	v_fmac_f32_e32 v7, v4, v5
	v_xad_u32 v4, v0, -1, s15
	v_fma_f32 v3, -v3, v7, v6
	s_delay_alu instid0(VALU_DEP_1) | instskip(NEXT) | instid1(VALU_DEP_1)
	v_div_fmas_f32 v3, v3, v5, v7
	v_div_fixup_f32 v2, v3, v2, 1.0
	v_mov_b32_e32 v3, v0
	v_cmpx_lt_u32_e32 0x7f, v4
	s_cbranch_execz .LBB127_42
; %bb.34:
	s_delay_alu instid0(VALU_DEP_3) | instskip(NEXT) | instid1(VALU_DEP_1)
	v_dual_mov_b32 v3, v2 :: v_dual_lshrrev_b32 v4, 7, v4
	v_dual_mov_b32 v10, 0 :: v_dual_add_nc_u32 v5, -1, v4
	s_delay_alu instid0(VALU_DEP_1) | instskip(SKIP_1) | instid1(VALU_DEP_2)
	v_lshrrev_b32_e32 v6, 1, v5
	v_cmp_lt_u32_e32 vcc_lo, 13, v5
	v_add_nc_u32_e32 v5, 1, v6
	s_and_saveexec_b32 s3, vcc_lo
	s_cbranch_execz .LBB127_38
; %bb.35:
	s_delay_alu instid0(VALU_DEP_1)
	v_and_b32_e32 v6, -8, v5
	v_lshl_add_u32 v7, v0, 2, 0xa0
	s_mov_b32 s24, 0
	s_mov_b32 s25, 0
.LBB127_36:                             ; =>This Inner Loop Header: Depth=1
	ds_load_2addr_stride64_b32 v[10:11], v7 offset1:2
	ds_load_2addr_stride64_b32 v[12:13], v7 offset0:4 offset1:6
	ds_load_2addr_stride64_b32 v[14:15], v7 offset0:8 offset1:10
	ds_load_2addr_stride64_b32 v[16:17], v7 offset0:12 offset1:14
	ds_load_2addr_stride64_b32 v[18:19], v7 offset0:16 offset1:18
	ds_load_2addr_stride64_b32 v[20:21], v7 offset0:20 offset1:22
	ds_load_2addr_stride64_b32 v[22:23], v7 offset0:24 offset1:26
	ds_load_2addr_stride64_b32 v[24:25], v7 offset0:28 offset1:30
	s_add_co_i32 s25, s25, 16
	v_add_nc_u32_e32 v6, -8, v6
	s_wait_dscnt 0x7
	v_pk_mul_f32 v[10:11], v[2:3], v[10:11]
	s_wait_dscnt 0x6
	v_pk_mul_f32 v[12:13], v[2:3], v[12:13]
	;; [unrolled: 2-line block ×8, first 2 shown]
	ds_store_2addr_stride64_b32 v7, v10, v11 offset1:2
	ds_store_2addr_stride64_b32 v7, v12, v13 offset0:4 offset1:6
	ds_store_2addr_stride64_b32 v7, v14, v15 offset0:8 offset1:10
	;; [unrolled: 1-line block ×7, first 2 shown]
	v_mov_b32_e32 v10, s25
	v_cmp_eq_u32_e32 vcc_lo, 0, v6
	v_add_nc_u32_e32 v7, 0x2000, v7
	s_or_b32 s24, vcc_lo, s24
	s_delay_alu instid0(SALU_CYCLE_1)
	s_and_not1_b32 exec_lo, exec_lo, s24
	s_cbranch_execnz .LBB127_36
; %bb.37:
	s_or_b32 exec_lo, exec_lo, s24
.LBB127_38:
	s_delay_alu instid0(SALU_CYCLE_1) | instskip(NEXT) | instid1(VALU_DEP_1)
	s_or_b32 exec_lo, exec_lo, s3
	v_and_b32_e32 v5, 7, v5
	s_mov_b32 s24, 0
	s_mov_b32 s3, exec_lo
	s_delay_alu instid0(VALU_DEP_1)
	v_cmpx_ne_u32_e32 0, v5
	s_cbranch_execz .LBB127_41
; %bb.39:
	v_dual_lshlrev_b32 v6, 9, v10 :: v_dual_lshlrev_b32 v7, 2, v0
	s_delay_alu instid0(VALU_DEP_1)
	v_add3_u32 v6, v6, v7, 0xa0
.LBB127_40:                             ; =>This Inner Loop Header: Depth=1
	ds_load_2addr_stride64_b32 v[10:11], v6 offset1:2
	v_add_nc_u32_e32 v5, -1, v5
	s_delay_alu instid0(VALU_DEP_1)
	v_cmp_eq_u32_e32 vcc_lo, 0, v5
	s_or_b32 s24, vcc_lo, s24
	s_wait_dscnt 0x0
	v_pk_mul_f32 v[10:11], v[2:3], v[10:11]
	ds_store_2addr_stride64_b32 v6, v10, v11 offset1:2
	v_add_nc_u32_e32 v6, 0x400, v6
	s_and_not1_b32 exec_lo, exec_lo, s24
	s_cbranch_execnz .LBB127_40
.LBB127_41:
	s_or_b32 exec_lo, exec_lo, s3
	v_add_nc_u32_e32 v3, 1, v4
	s_delay_alu instid0(VALU_DEP_1) | instskip(NEXT) | instid1(VALU_DEP_1)
	v_and_b32_e32 v4, 0x3fffffe, v3
	v_cmp_ne_u32_e32 vcc_lo, v3, v4
	v_lshl_add_u32 v3, v4, 7, v0
	s_or_not1_b32 s3, vcc_lo, exec_lo
.LBB127_42:
	s_or_b32 exec_lo, exec_lo, s1
	s_delay_alu instid0(SALU_CYCLE_1)
	s_and_b32 exec_lo, exec_lo, s3
	s_cbranch_execz .LBB127_45
; %bb.43:
	v_lshl_add_u32 v4, v3, 2, 0xa0
	s_mov_b32 s1, 0
.LBB127_44:                             ; =>This Inner Loop Header: Depth=1
	ds_load_b32 v5, v4
	v_add_nc_u32_e32 v3, 0x80, v3
	s_delay_alu instid0(VALU_DEP_1)
	v_cmp_le_i32_e32 vcc_lo, s15, v3
	s_or_b32 s1, vcc_lo, s1
	s_wait_dscnt 0x0
	v_mul_f32_e32 v5, v2, v5
	ds_store_b32 v4, v5
	v_add_nc_u32_e32 v4, 0x200, v4
	s_and_not1_b32 exec_lo, exec_lo, s1
	s_cbranch_execnz .LBB127_44
.LBB127_45:
	s_or_b32 exec_lo, exec_lo, s0
	v_dual_mov_b32 v28, 0 :: v_dual_mov_b32 v31, 0
	v_mov_b32_e32 v30, 0
	s_wait_dscnt 0x0
	s_barrier_signal -1
	s_barrier_wait -1
	s_and_saveexec_b32 s1, s2
	s_cbranch_execz .LBB127_59
; %bb.46:
	s_abs_i32 s10, s10
	v_dual_lshlrev_b32 v4, 4, v0 :: v_dual_bitop2_b32 v40, 8, v9 bitop3:0x40
	s_cvt_f32_u32 s0, s10
	v_dual_mov_b32 v27, 0 :: v_dual_lshlrev_b32 v6, 5, v36
	s_ashr_i32 s15, s14, 31
	s_delay_alu instid0(SALU_CYCLE_1)
	v_rcp_iflag_f32_e32 v3, s0
	v_and_b32_e32 v2, 0x7c, v8
	v_and_b32_e32 v4, 0x1f0, v4
	v_mov_b32_e32 v5, v27
	s_lshl_b64 s[20:21], s[20:21], 2
	s_lshl_b64 s[14:15], s[14:15], 1
	v_lshl_or_b32 v6, v37, 6, v6
	v_readfirstlane_b32 s0, v3
	v_mov_b32_e32 v3, v27
	s_add_nc_u64 s[18:19], s[18:19], s[20:21]
	s_wait_kmcnt 0x0
	s_add_nc_u64 s[14:15], s[22:23], s[14:15]
	s_sub_co_i32 s24, s8, s9
	s_mul_f32 s0, s0, 0x4f7ffffe
	s_sub_co_i32 s8, 0, s10
	v_add_nc_u64_e32 v[32:33], s[14:15], v[4:5]
	v_add_nc_u64_e32 v[34:35], s[18:19], v[2:3]
	s_cvt_u32_f32 s0, s0
	v_dual_mov_b32 v42, v37 :: v_dual_add_nc_u32 v41, 0xa0, v6
	v_dual_mov_b32 v30, v27 :: v_dual_mov_b32 v31, v27
	s_delay_alu instid0(SALU_CYCLE_1)
	s_mul_i32 s8, s8, s0
	v_dual_mov_b32 v28, v27 :: v_dual_mov_b32 v29, v27
	s_mov_b32 s9, 0
	s_mul_hi_u32 s8, s0, s8
	s_ashr_i32 s3, s13, 31
	s_mov_b32 s2, s13
	s_add_co_i32 s13, s34, -1
	s_mov_b32 s14, s31
	s_add_co_i32 s8, s0, s8
	s_mov_b32 s15, s9
	s_branch .LBB127_49
.LBB127_47:                             ;   in Loop: Header=BB127_49 Depth=1
	s_or_b32 exec_lo, exec_lo, s0
	s_wait_dscnt 0x1
	v_cvt_pk_bf16_f32 v10, v10, v11
	v_cvt_pk_bf16_f32 v11, v12, v13
	s_wait_dscnt 0x0
	v_cvt_pk_bf16_f32 v6, v6, v7
	v_cvt_pk_bf16_f32 v8, v8, v9
	s_wait_loadcnt 0x1
	v_pk_mul_bf16 v7, v10, v22
	v_pk_mul_bf16 v12, v11, v23
	;; [unrolled: 1-line block ×5, first 2 shown]
	s_delay_alu instid0(VALU_DEP_4)
	v_dual_lshlrev_b32 v13, 16, v7 :: v_dual_lshlrev_b32 v22, 16, v12
	v_and_b32_e32 v7, 0xffff0000, v7
	v_and_b32_e32 v12, 0xffff0000, v12
	v_lshlrev_b32_e32 v24, 16, v9
	v_and_b32_e32 v9, 0xffff0000, v9
	v_pk_mul_bf16 v3, v11, v3
	s_delay_alu instid0(VALU_DEP_4) | instskip(SKIP_3) | instid1(VALU_DEP_3)
	v_dual_add_f32 v7, v13, v7 :: v_dual_add_f32 v12, v22, v12
	v_pk_mul_bf16 v13, v10, v14
	v_pk_mul_bf16 v14, v11, v15
	v_dual_lshlrev_b32 v15, 16, v23 :: v_dual_add_f32 v9, v24, v9
	v_dual_add_f32 v7, v12, v7 :: v_dual_lshlrev_b32 v22, 16, v13
	v_and_b32_e32 v12, 0xffff0000, v23
	v_and_b32_e32 v13, 0xffff0000, v13
	s_delay_alu instid0(VALU_DEP_3) | instskip(SKIP_2) | instid1(VALU_DEP_4)
	v_dual_add_f32 v24, v9, v7 :: v_dual_lshlrev_b32 v23, 16, v14
	v_and_b32_e32 v7, 0xffff0000, v14
	v_pk_mul_bf16 v9, v6, v16
	v_dual_add_f32 v12, v15, v12 :: v_dual_add_f32 v13, v22, v13
	s_delay_alu instid0(VALU_DEP_3) | instskip(NEXT) | instid1(VALU_DEP_3)
	v_dual_lshlrev_b32 v15, 16, v2 :: v_dual_add_f32 v7, v23, v7
	v_lshlrev_b32_e32 v14, 16, v9
	v_and_b32_e32 v9, 0xffff0000, v9
	v_and_b32_e32 v2, 0xffff0000, v2
	s_delay_alu instid0(VALU_DEP_4) | instskip(SKIP_2) | instid1(VALU_DEP_4)
	v_dual_add_f32 v13, v7, v13 :: v_dual_lshlrev_b32 v16, 16, v3
	v_and_b32_e32 v3, 0xffff0000, v3
	v_pk_mul_bf16 v17, v8, v17
	v_dual_add_f32 v14, v14, v9 :: v_dual_add_f32 v2, v15, v2
	v_pk_mul_bf16 v4, v6, v4
	s_delay_alu instid0(VALU_DEP_3) | instskip(SKIP_2) | instid1(VALU_DEP_3)
	v_dual_add_f32 v3, v16, v3 :: v_dual_lshlrev_b32 v15, 16, v17
	v_and_b32_e32 v16, 0xffff0000, v17
	v_pk_mul_bf16 v17, v8, v5
	v_dual_add_f32 v22, v3, v2 :: v_dual_lshlrev_b32 v23, 16, v4
	s_wait_loadcnt 0x0
	v_pk_mul_bf16 v2, v10, v18
	v_and_b32_e32 v10, 0xffff0000, v4
	v_pk_mul_bf16 v4, v11, v19
	v_pk_mul_bf16 v6, v6, v20
	;; [unrolled: 1-line block ×3, first 2 shown]
	v_and_b32_e32 v3, 0xffff0000, v2
	v_lshlrev_b32_e32 v5, 16, v2
	v_and_b32_e32 v2, 0xffff0000, v4
	v_lshlrev_b32_e32 v4, 16, v4
	;; [unrolled: 2-line block ×4, first 2 shown]
	v_pk_add_f32 v[2:3], v[4:5], v[2:3]
	v_dual_add_f32 v10, v23, v10 :: v_dual_lshlrev_b32 v11, 16, v17
	v_and_b32_e32 v17, 0xffff0000, v17
	s_delay_alu instid0(VALU_DEP_4) | instskip(NEXT) | instid1(VALU_DEP_4)
	v_pk_add_f32 v[4:5], v[8:9], v[6:7]
	v_dual_add_f32 v2, v2, v3 :: v_dual_add_f32 v6, v15, v16
	v_add_f32_e32 v3, v14, v13
	s_delay_alu instid0(VALU_DEP_4) | instskip(NEXT) | instid1(VALU_DEP_3)
	v_dual_add_f32 v7, v10, v22 :: v_dual_add_f32 v8, v11, v17
	v_dual_add_f32 v2, v5, v2 :: v_dual_add_f32 v5, v12, v24
	s_delay_alu instid0(VALU_DEP_1) | instskip(NEXT) | instid1(VALU_DEP_1)
	v_dual_add_f32 v3, v6, v3 :: v_dual_add_f32 v2, v4, v2
	v_add_f32_e32 v31, v31, v3
	s_delay_alu instid0(VALU_DEP_2) | instskip(NEXT) | instid1(VALU_DEP_1)
	v_dual_add_f32 v6, v8, v7 :: v_dual_add_f32 v29, v29, v2
	v_dual_add_f32 v28, v28, v5 :: v_dual_add_f32 v30, v30, v6
.LBB127_48:                             ;   in Loop: Header=BB127_49 Depth=1
	s_or_b32 exec_lo, exec_lo, s18
	v_add_nc_u32_e32 v42, 4, v42
	v_add_nc_u64_e32 v[34:35], 16, v[34:35]
	v_add_nc_u32_e32 v26, 64, v26
	v_add_nc_u32_e32 v41, 0x100, v41
	s_delay_alu instid0(VALU_DEP_4) | instskip(SKIP_1) | instid1(SALU_CYCLE_1)
	v_cmp_le_i32_e32 vcc_lo, s34, v42
	s_or_b32 s15, vcc_lo, s15
	s_and_not1_b32 exec_lo, exec_lo, s15
	s_cbranch_execz .LBB127_58
.LBB127_49:                             ; =>This Inner Loop Header: Depth=1
	v_mul_u64_e32 v[2:3], s[16:17], v[26:27]
	s_delay_alu instid0(VALU_DEP_1) | instskip(NEXT) | instid1(VALU_DEP_1)
	v_mul_lo_u32 v2, v3, s12
	v_dual_add_nc_u32 v4, 1, v3 :: v_dual_sub_nc_u32 v2, v26, v2
	s_delay_alu instid0(VALU_DEP_1) | instskip(SKIP_1) | instid1(VALU_DEP_2)
	v_subrev_nc_u32_e32 v5, s12, v2
	v_cmp_le_u32_e32 vcc_lo, s12, v2
	v_dual_cndmask_b32 v3, v3, v4 :: v_dual_cndmask_b32 v2, v2, v5
	s_delay_alu instid0(VALU_DEP_1) | instskip(NEXT) | instid1(VALU_DEP_2)
	v_add_nc_u32_e32 v4, 1, v3
	v_cmp_le_u32_e32 vcc_lo, s12, v2
	s_delay_alu instid0(VALU_DEP_2) | instskip(NEXT) | instid1(VALU_DEP_1)
	v_cndmask_b32_e32 v2, v3, v4, vcc_lo
	v_dual_mov_b32 v3, v27 :: v_dual_bitop2_b32 v2, s11, v2 bitop3:0x14
	s_delay_alu instid0(VALU_DEP_1) | instskip(NEXT) | instid1(VALU_DEP_1)
	v_subrev_nc_u32_e32 v6, s11, v2
	v_add_nc_u32_e32 v7, s33, v6
	v_cmp_lt_i32_e64 s0, s24, v6
	s_delay_alu instid0(VALU_DEP_2) | instskip(NEXT) | instid1(VALU_DEP_1)
	v_sub_nc_u32_e32 v2, 0, v7
	v_max_i32_e32 v2, v7, v2
	s_delay_alu instid0(VALU_DEP_1) | instskip(SKIP_1) | instid1(VALU_DEP_2)
	v_mul_u64_e32 v[4:5], s[8:9], v[2:3]
	v_ashrrev_i32_e32 v4, 31, v7
	v_mul_lo_u32 v3, v5, s10
	s_delay_alu instid0(VALU_DEP_1) | instskip(NEXT) | instid1(VALU_DEP_1)
	v_sub_nc_u32_e32 v2, v2, v3
	v_subrev_nc_u32_e32 v3, s10, v2
	v_cmp_le_u32_e32 vcc_lo, s10, v2
	s_delay_alu instid0(VALU_DEP_2) | instskip(NEXT) | instid1(VALU_DEP_1)
	v_cndmask_b32_e32 v2, v2, v3, vcc_lo
	v_subrev_nc_u32_e32 v3, s10, v2
	v_cmp_le_u32_e32 vcc_lo, s10, v2
	s_delay_alu instid0(VALU_DEP_2) | instskip(NEXT) | instid1(VALU_DEP_1)
	v_cndmask_b32_e32 v2, v2, v3, vcc_lo
	v_xor_b32_e32 v2, v2, v4
	s_delay_alu instid0(VALU_DEP_1) | instskip(NEXT) | instid1(VALU_DEP_1)
	v_sub_nc_u32_e32 v2, v2, v4
	v_cmp_eq_u32_e32 vcc_lo, 0, v2
	s_or_b32 s0, vcc_lo, s0
	s_delay_alu instid0(SALU_CYCLE_1)
	s_and_saveexec_b32 s18, s0
	s_cbranch_execz .LBB127_48
; %bb.50:                               ;   in Loop: Header=BB127_49 Depth=1
	global_load_b32 v2, v[34:35], off
	v_add_nc_u32_e32 v50, v40, v26
	v_cmp_eq_u32_e32 vcc_lo, s13, v42
	s_delay_alu instid0(VALU_DEP_2)
	v_dual_add_nc_u32 v48, 1, v50 :: v_dual_bitop2_b32 v47, 3, v50 bitop3:0x54
	v_or_b32_e32 v49, 2, v50
	v_or_b32_e32 v44, 5, v50
	;; [unrolled: 1-line block ×5, first 2 shown]
	s_wait_loadcnt 0x0
	v_ashrrev_i32_e32 v3, 31, v2
	s_delay_alu instid0(VALU_DEP_1) | instskip(NEXT) | instid1(VALU_DEP_1)
	v_mul_u64_e32 v[2:3], s[2:3], v[2:3]
	v_lshl_add_u64 v[18:19], v[2:3], 1, v[32:33]
	global_load_b128 v[2:5], v[18:19], off
	ds_load_2addr_b64 v[10:13], v41 offset1:1
	ds_load_2addr_b64 v[6:9], v41 offset0:2 offset1:3
	s_wait_xcnt 0x0
	s_and_saveexec_b32 s19, vcc_lo
	s_cbranch_execnz .LBB127_54
; %bb.51:                               ;   in Loop: Header=BB127_49 Depth=1
	s_or_b32 exec_lo, exec_lo, s19
	global_load_b128 v[14:17], v[18:19], off offset:512
	s_wait_xcnt 0x0
	s_and_saveexec_b32 s19, vcc_lo
	s_cbranch_execnz .LBB127_55
.LBB127_52:                             ;   in Loop: Header=BB127_49 Depth=1
	s_or_b32 exec_lo, exec_lo, s19
	global_load_b128 v[22:25], v[18:19], off offset:1024
	s_wait_xcnt 0x0
	s_and_saveexec_b32 s19, vcc_lo
	s_cbranch_execnz .LBB127_56
.LBB127_53:                             ;   in Loop: Header=BB127_49 Depth=1
	s_or_b32 exec_lo, exec_lo, s19
	global_load_b128 v[18:21], v[18:19], off offset:1536
	s_wait_xcnt 0x0
	s_and_saveexec_b32 s0, vcc_lo
	s_cbranch_execz .LBB127_47
	s_branch .LBB127_57
.LBB127_54:                             ;   in Loop: Header=BB127_49 Depth=1
	v_cmp_gt_i32_e64 s0, s31, v50
	s_wait_loadcnt 0x0
	v_dual_lshrrev_b32 v14, 16, v2 :: v_dual_lshrrev_b32 v16, 16, v4
	s_delay_alu instid0(VALU_DEP_2) | instskip(SKIP_1) | instid1(VALU_DEP_1)
	v_cndmask_b32_e64 v2, 0, v2, s0
	v_cmp_gt_i32_e64 s0, s14, v48
	v_dual_lshrrev_b32 v15, 16, v3 :: v_dual_cndmask_b32 v14, 0, v14, s0
	v_cmp_gt_i32_e64 s0, s31, v49
	s_delay_alu instid0(VALU_DEP_2) | instskip(NEXT) | instid1(VALU_DEP_2)
	v_perm_b32 v2, v14, v2, 0x5040100
	v_cndmask_b32_e64 v3, 0, v3, s0
	v_cmp_gt_i32_e64 s0, s14, v47
	s_delay_alu instid0(VALU_DEP_1) | instskip(SKIP_1) | instid1(VALU_DEP_1)
	v_cndmask_b32_e64 v15, 0, v15, s0
	v_cmp_gt_i32_e64 s0, s31, v46
	v_cndmask_b32_e64 v4, 0, v4, s0
	v_cmp_gt_i32_e64 s0, s14, v44
	v_lshrrev_b32_e32 v17, 16, v5
	v_perm_b32 v3, v15, v3, 0x5040100
	s_delay_alu instid0(VALU_DEP_3) | instskip(SKIP_1) | instid1(VALU_DEP_2)
	v_cndmask_b32_e64 v16, 0, v16, s0
	v_cmp_gt_i32_e64 s0, s31, v45
	v_perm_b32 v4, v16, v4, 0x5040100
	s_delay_alu instid0(VALU_DEP_2) | instskip(SKIP_1) | instid1(VALU_DEP_1)
	v_cndmask_b32_e64 v5, 0, v5, s0
	v_cmp_gt_i32_e64 s0, s14, v43
	v_cndmask_b32_e64 v17, 0, v17, s0
	s_delay_alu instid0(VALU_DEP_1)
	v_perm_b32 v5, v17, v5, 0x5040100
	s_or_b32 exec_lo, exec_lo, s19
	global_load_b128 v[14:17], v[18:19], off offset:512
	s_wait_xcnt 0x0
	s_and_saveexec_b32 s19, vcc_lo
	s_cbranch_execz .LBB127_52
.LBB127_55:                             ;   in Loop: Header=BB127_49 Depth=1
	v_cmp_gt_i32_e64 s0, s31, v50
	s_wait_loadcnt 0x0
	s_delay_alu instid0(VALU_DEP_1) | instskip(SKIP_1) | instid1(VALU_DEP_1)
	v_dual_lshrrev_b32 v20, 16, v14 :: v_dual_cndmask_b32 v14, 0, v14, s0
	v_cmp_gt_i32_e64 s0, s14, v48
	v_dual_lshrrev_b32 v21, 16, v15 :: v_dual_cndmask_b32 v20, 0, v20, s0
	v_cmp_gt_i32_e64 s0, s31, v49
	s_delay_alu instid0(VALU_DEP_2) | instskip(NEXT) | instid1(VALU_DEP_2)
	v_perm_b32 v14, v20, v14, 0x5040100
	v_cndmask_b32_e64 v15, 0, v15, s0
	v_cmp_gt_i32_e64 s0, s14, v47
	s_delay_alu instid0(VALU_DEP_1) | instskip(SKIP_2) | instid1(VALU_DEP_3)
	v_cndmask_b32_e64 v21, 0, v21, s0
	v_cmp_gt_i32_e64 s0, s31, v46
	v_lshrrev_b32_e32 v22, 16, v16
	v_perm_b32 v15, v21, v15, 0x5040100
	s_delay_alu instid0(VALU_DEP_3) | instskip(SKIP_1) | instid1(VALU_DEP_1)
	v_cndmask_b32_e64 v16, 0, v16, s0
	v_cmp_gt_i32_e64 s0, s14, v44
	v_dual_lshrrev_b32 v23, 16, v17 :: v_dual_cndmask_b32 v22, 0, v22, s0
	v_cmp_gt_i32_e64 s0, s31, v45
	s_delay_alu instid0(VALU_DEP_2) | instskip(NEXT) | instid1(VALU_DEP_2)
	v_perm_b32 v16, v22, v16, 0x5040100
	v_cndmask_b32_e64 v17, 0, v17, s0
	v_cmp_gt_i32_e64 s0, s14, v43
	s_delay_alu instid0(VALU_DEP_1) | instskip(NEXT) | instid1(VALU_DEP_1)
	v_cndmask_b32_e64 v23, 0, v23, s0
	v_perm_b32 v17, v23, v17, 0x5040100
	s_or_b32 exec_lo, exec_lo, s19
	global_load_b128 v[22:25], v[18:19], off offset:1024
	s_wait_xcnt 0x0
	s_and_saveexec_b32 s19, vcc_lo
	s_cbranch_execz .LBB127_53
.LBB127_56:                             ;   in Loop: Header=BB127_49 Depth=1
	v_cmp_gt_i32_e64 s0, s31, v50
	s_wait_loadcnt 0x0
	s_delay_alu instid0(VALU_DEP_1) | instskip(SKIP_1) | instid1(VALU_DEP_1)
	v_dual_lshrrev_b32 v20, 16, v22 :: v_dual_cndmask_b32 v21, 0, v22, s0
	v_cmp_gt_i32_e64 s0, s14, v48
	v_dual_lshrrev_b32 v22, 16, v23 :: v_dual_cndmask_b32 v20, 0, v20, s0
	v_cmp_gt_i32_e64 s0, s31, v49
	s_delay_alu instid0(VALU_DEP_1) | instskip(SKIP_1) | instid1(VALU_DEP_1)
	v_cndmask_b32_e64 v23, 0, v23, s0
	v_cmp_gt_i32_e64 s0, s14, v47
	v_cndmask_b32_e64 v51, 0, v22, s0
	v_cmp_gt_i32_e64 s0, s31, v46
	v_lshrrev_b32_e32 v22, 16, v24
	s_delay_alu instid0(VALU_DEP_3) | instskip(NEXT) | instid1(VALU_DEP_3)
	v_perm_b32 v23, v51, v23, 0x5040100
	v_cndmask_b32_e64 v24, 0, v24, s0
	v_cmp_gt_i32_e64 s0, s14, v44
	s_delay_alu instid0(VALU_DEP_1) | instskip(SKIP_2) | instid1(VALU_DEP_3)
	v_dual_lshrrev_b32 v52, 16, v25 :: v_dual_cndmask_b32 v53, 0, v22, s0
	v_cmp_gt_i32_e64 s0, s31, v45
	v_perm_b32 v22, v20, v21, 0x5040100
	v_perm_b32 v24, v53, v24, 0x5040100
	s_delay_alu instid0(VALU_DEP_3) | instskip(SKIP_1) | instid1(VALU_DEP_1)
	v_cndmask_b32_e64 v25, 0, v25, s0
	v_cmp_gt_i32_e64 s0, s14, v43
	v_cndmask_b32_e64 v52, 0, v52, s0
	s_delay_alu instid0(VALU_DEP_1)
	v_perm_b32 v25, v52, v25, 0x5040100
	s_or_b32 exec_lo, exec_lo, s19
	global_load_b128 v[18:21], v[18:19], off offset:1536
	s_wait_xcnt 0x0
	s_and_saveexec_b32 s0, vcc_lo
	s_cbranch_execz .LBB127_47
.LBB127_57:                             ;   in Loop: Header=BB127_49 Depth=1
	v_cmp_gt_i32_e32 vcc_lo, s31, v50
	s_wait_loadcnt 0x0
	v_dual_cndmask_b32 v18, 0, v18 :: v_dual_lshrrev_b32 v51, 16, v18
	v_cmp_gt_i32_e32 vcc_lo, s14, v48
	s_delay_alu instid0(VALU_DEP_2) | instskip(SKIP_3) | instid1(VALU_DEP_2)
	v_cndmask_b32_e32 v48, 0, v51, vcc_lo
	v_cmp_gt_i32_e32 vcc_lo, s31, v49
	v_dual_cndmask_b32 v19, 0, v19 :: v_dual_lshrrev_b32 v50, 16, v19
	v_cmp_gt_i32_e32 vcc_lo, s14, v47
	v_cndmask_b32_e32 v47, 0, v50, vcc_lo
	v_cmp_gt_i32_e32 vcc_lo, s31, v46
	v_lshrrev_b32_e32 v49, 16, v20
	v_perm_b32 v18, v48, v18, 0x5040100
	s_delay_alu instid0(VALU_DEP_4)
	v_perm_b32 v19, v47, v19, 0x5040100
	v_cndmask_b32_e32 v20, 0, v20, vcc_lo
	v_cmp_gt_i32_e32 vcc_lo, s14, v44
	v_cndmask_b32_e32 v44, 0, v49, vcc_lo
	v_cmp_gt_i32_e32 vcc_lo, s31, v45
	v_dual_cndmask_b32 v21, 0, v21 :: v_dual_lshrrev_b32 v46, 16, v21
	v_cmp_gt_i32_e32 vcc_lo, s14, v43
	s_delay_alu instid0(VALU_DEP_2) | instskip(SKIP_1) | instid1(VALU_DEP_2)
	v_cndmask_b32_e32 v43, 0, v46, vcc_lo
	v_perm_b32 v20, v44, v20, 0x5040100
	v_perm_b32 v21, v43, v21, 0x5040100
	s_branch .LBB127_47
.LBB127_58:
	s_or_b32 exec_lo, exec_lo, s15
.LBB127_59:
	s_delay_alu instid0(SALU_CYCLE_1)
	s_or_b32 exec_lo, exec_lo, s1
	ds_bpermute_b32 v2, v39, v30
	ds_bpermute_b32 v3, v39, v31
	;; [unrolled: 1-line block ×4, first 2 shown]
	v_and_b32_e32 v7, 0x3c1, v0
	v_lshrrev_b32_e32 v6, 1, v38
	s_mov_b32 s0, exec_lo
	s_wait_dscnt 0x0
	s_barrier_signal -1
	s_barrier_wait -1
	v_pk_add_f32 v[2:3], v[30:31], v[2:3]
	v_cmpx_ne_u32_e32 64, v7
	s_xor_b32 s0, exec_lo, s0
	s_delay_alu instid0(SALU_CYCLE_1)
	s_or_saveexec_b32 s0, s0
	v_pk_add_f32 v[4:5], v[28:29], v[4:5]
	v_lshl_add_u32 v7, v6, 2, 0xa0
	v_lshlrev_b32_e32 v8, 8, v37
	s_xor_b32 exec_lo, exec_lo, s0
	s_cbranch_execz .LBB127_61
; %bb.60:
	s_delay_alu instid0(VALU_DEP_1) | instskip(NEXT) | instid1(VALU_DEP_1)
	v_add_nc_u32_e32 v9, v7, v8
	v_add_nc_u32_e32 v10, 0xfffffe00, v9
	;; [unrolled: 1-line block ×5, first 2 shown]
	ds_store_b32 v10, v2
	ds_store_b32 v11, v3
	;; [unrolled: 1-line block ×4, first 2 shown]
.LBB127_61:
	s_or_b32 exec_lo, exec_lo, s0
	v_lshlrev_b32_e32 v6, 2, v6
	s_mov_b32 s1, exec_lo
	v_cmp_eq_u32_e32 vcc_lo, 0, v36
	s_wait_dscnt 0x0
	s_barrier_signal -1
	v_add3_u32 v6, 0xa0, v8, v6
	s_barrier_wait -1
	v_cmpx_gt_u32_e32 64, v0
	s_cbranch_execz .LBB127_68
; %bb.62:
	s_and_saveexec_b32 s0, vcc_lo
	s_cbranch_execnz .LBB127_80
; %bb.63:
	s_or_b32 exec_lo, exec_lo, s0
	s_and_saveexec_b32 s0, vcc_lo
	s_cbranch_execnz .LBB127_81
.LBB127_64:
	s_or_b32 exec_lo, exec_lo, s0
	s_and_saveexec_b32 s0, vcc_lo
	s_cbranch_execnz .LBB127_82
.LBB127_65:
	s_or_b32 exec_lo, exec_lo, s0
	s_and_saveexec_b32 s0, vcc_lo
	s_cbranch_execz .LBB127_67
.LBB127_66:
	ds_load_b32 v8, v6 offset:192
	s_wait_dscnt 0x0
	v_add_f32_e32 v5, v5, v8
.LBB127_67:
	s_or_b32 exec_lo, exec_lo, s0
.LBB127_68:
	s_delay_alu instid0(SALU_CYCLE_1) | instskip(SKIP_4) | instid1(VALU_DEP_1)
	s_or_b32 exec_lo, exec_lo, s1
	v_and_b32_e32 v8, 0x3e1, v0
	s_mov_b32 s1, exec_lo
	s_barrier_signal -1
	s_barrier_wait -1
	v_cmpx_eq_u32_e32 32, v8
	s_cbranch_execz .LBB127_70
; %bb.69:
	ds_store_2addr_b32 v7, v2, v3 offset1:16
	ds_store_2addr_b32 v7, v4, v5 offset0:32 offset1:48
.LBB127_70:
	s_or_b32 exec_lo, exec_lo, s1
	s_delay_alu instid0(SALU_CYCLE_1)
	s_mov_b32 s1, exec_lo
	s_wait_dscnt 0x0
	s_barrier_signal -1
	s_barrier_wait -1
	v_cmpx_gt_u32_e32 32, v0
	s_cbranch_execz .LBB127_77
; %bb.71:
	s_and_saveexec_b32 s0, vcc_lo
	s_cbranch_execnz .LBB127_83
; %bb.72:
	s_or_b32 exec_lo, exec_lo, s0
	s_and_saveexec_b32 s0, vcc_lo
	s_cbranch_execnz .LBB127_84
.LBB127_73:
	s_or_b32 exec_lo, exec_lo, s0
	s_and_saveexec_b32 s0, vcc_lo
	s_cbranch_execnz .LBB127_85
.LBB127_74:
	s_or_b32 exec_lo, exec_lo, s0
	s_and_saveexec_b32 s0, vcc_lo
	s_cbranch_execz .LBB127_76
.LBB127_75:
	ds_load_b32 v0, v6 offset:192
	s_wait_dscnt 0x0
	v_add_f32_e32 v5, v5, v0
.LBB127_76:
	s_or_b32 exec_lo, exec_lo, s0
.LBB127_77:
	s_delay_alu instid0(SALU_CYCLE_1)
	s_or_b32 exec_lo, exec_lo, s1
	s_mov_b32 s1, 0
	s_barrier_signal -1
	s_barrier_wait -1
	s_mov_b32 s0, exec_lo
	v_cmpx_eq_u32_e32 0, v8
	s_cbranch_execz .LBB127_79
; %bb.78:
	s_mul_i32 s0, s30, s7
	s_mul_i32 s2, s7, s6
	;; [unrolled: 1-line block ×3, first 2 shown]
	s_lshr_b32 s8, ttmp7, 16
	s_lshl_b32 s6, s0, 6
	s_bfe_u32 s0, ttmp6, 0x40014
	s_ashr_i32 s7, s6, 31
	s_add_co_i32 s0, s0, 1
	s_ashr_i32 s3, s2, 31
	s_mul_i32 s0, s8, s0
	s_bfe_u32 s9, ttmp6, 0x40008
	s_lshl_b64 s[6:7], s[6:7], 1
	s_lshl_b64 s[2:3], s[2:3], 1
	s_add_co_i32 s9, s9, s0
	s_cmp_eq_u32 s28, 0
	s_wait_kmcnt 0x0
	s_add_nc_u64 s[4:5], s[4:5], s[6:7]
	s_cselect_b32 s0, s8, s9
	s_add_nc_u64 s[2:3], s[4:5], s[2:3]
	s_lshl_b32 s0, s0, 7
	s_delay_alu instid0(SALU_CYCLE_1) | instskip(NEXT) | instid1(SALU_CYCLE_1)
	s_add_nc_u64 s[0:1], s[2:3], s[0:1]
	v_cvt_pk_bf16_f32 v0, v2, s0
	v_cvt_pk_bf16_f32 v2, v3, s0
	;; [unrolled: 1-line block ×4, first 2 shown]
	s_clause 0x3
	global_store_b16 v1, v0, s[0:1] scale_offset
	global_store_b16 v1, v2, s[0:1] offset:32 scale_offset
	global_store_b16 v1, v3, s[0:1] offset:64 scale_offset
	;; [unrolled: 1-line block ×3, first 2 shown]
.LBB127_79:
	s_endpgm
.LBB127_80:
	ds_load_b32 v8, v6
	s_wait_dscnt 0x0
	v_add_f32_e32 v2, v2, v8
	s_or_b32 exec_lo, exec_lo, s0
	s_and_saveexec_b32 s0, vcc_lo
	s_cbranch_execz .LBB127_64
.LBB127_81:
	ds_load_b32 v8, v6 offset:64
	s_wait_dscnt 0x0
	v_add_f32_e32 v3, v3, v8
	s_or_b32 exec_lo, exec_lo, s0
	s_and_saveexec_b32 s0, vcc_lo
	s_cbranch_execz .LBB127_65
.LBB127_82:
	ds_load_b32 v8, v6 offset:128
	s_wait_dscnt 0x0
	v_add_f32_e32 v4, v4, v8
	s_or_b32 exec_lo, exec_lo, s0
	s_and_saveexec_b32 s0, vcc_lo
	s_cbranch_execnz .LBB127_66
	s_branch .LBB127_67
.LBB127_83:
	ds_load_b32 v0, v6
	s_wait_dscnt 0x0
	v_add_f32_e32 v2, v2, v0
	s_or_b32 exec_lo, exec_lo, s0
	s_and_saveexec_b32 s0, vcc_lo
	s_cbranch_execz .LBB127_73
.LBB127_84:
	ds_load_b32 v0, v6 offset:64
	s_wait_dscnt 0x0
	v_add_f32_e32 v3, v3, v0
	s_or_b32 exec_lo, exec_lo, s0
	s_and_saveexec_b32 s0, vcc_lo
	s_cbranch_execz .LBB127_74
.LBB127_85:
	ds_load_b32 v0, v6 offset:128
	s_wait_dscnt 0x0
	v_add_f32_e32 v4, v4, v0
	s_or_b32 exec_lo, exec_lo, s0
	s_and_saveexec_b32 s0, vcc_lo
	s_cbranch_execnz .LBB127_75
	s_branch .LBB127_76
	.section	.rodata,"a",@progbits
	.p2align	6, 0x0
	.amdhsa_kernel _ZN4vllm25paged_attention_v1_kernelI14__hip_bfloat16S1_Li64ELi16ELi128ELNS_18Fp8KVCacheDataTypeE0ELb1EEEvPT_PKS3_PKT0_S9_ifPKiSB_iPKfiiiSD_SD_iiiii
		.amdhsa_group_segment_fixed_size 160
		.amdhsa_private_segment_fixed_size 0
		.amdhsa_kernarg_size 384
		.amdhsa_user_sgpr_count 2
		.amdhsa_user_sgpr_dispatch_ptr 0
		.amdhsa_user_sgpr_queue_ptr 0
		.amdhsa_user_sgpr_kernarg_segment_ptr 1
		.amdhsa_user_sgpr_dispatch_id 0
		.amdhsa_user_sgpr_kernarg_preload_length 0
		.amdhsa_user_sgpr_kernarg_preload_offset 0
		.amdhsa_user_sgpr_private_segment_size 0
		.amdhsa_wavefront_size32 1
		.amdhsa_uses_dynamic_stack 0
		.amdhsa_enable_private_segment 0
		.amdhsa_system_sgpr_workgroup_id_x 1
		.amdhsa_system_sgpr_workgroup_id_y 1
		.amdhsa_system_sgpr_workgroup_id_z 1
		.amdhsa_system_sgpr_workgroup_info 0
		.amdhsa_system_vgpr_workitem_id 0
		.amdhsa_next_free_vgpr 55
		.amdhsa_next_free_sgpr 40
		.amdhsa_named_barrier_count 0
		.amdhsa_reserve_vcc 1
		.amdhsa_float_round_mode_32 0
		.amdhsa_float_round_mode_16_64 0
		.amdhsa_float_denorm_mode_32 3
		.amdhsa_float_denorm_mode_16_64 3
		.amdhsa_fp16_overflow 0
		.amdhsa_memory_ordered 1
		.amdhsa_forward_progress 1
		.amdhsa_inst_pref_size 52
		.amdhsa_round_robin_scheduling 0
		.amdhsa_exception_fp_ieee_invalid_op 0
		.amdhsa_exception_fp_denorm_src 0
		.amdhsa_exception_fp_ieee_div_zero 0
		.amdhsa_exception_fp_ieee_overflow 0
		.amdhsa_exception_fp_ieee_underflow 0
		.amdhsa_exception_fp_ieee_inexact 0
		.amdhsa_exception_int_div_zero 0
	.end_amdhsa_kernel
	.section	.text._ZN4vllm25paged_attention_v1_kernelI14__hip_bfloat16S1_Li64ELi16ELi128ELNS_18Fp8KVCacheDataTypeE0ELb1EEEvPT_PKS3_PKT0_S9_ifPKiSB_iPKfiiiSD_SD_iiiii,"axG",@progbits,_ZN4vllm25paged_attention_v1_kernelI14__hip_bfloat16S1_Li64ELi16ELi128ELNS_18Fp8KVCacheDataTypeE0ELb1EEEvPT_PKS3_PKT0_S9_ifPKiSB_iPKfiiiSD_SD_iiiii,comdat
.Lfunc_end127:
	.size	_ZN4vllm25paged_attention_v1_kernelI14__hip_bfloat16S1_Li64ELi16ELi128ELNS_18Fp8KVCacheDataTypeE0ELb1EEEvPT_PKS3_PKT0_S9_ifPKiSB_iPKfiiiSD_SD_iiiii, .Lfunc_end127-_ZN4vllm25paged_attention_v1_kernelI14__hip_bfloat16S1_Li64ELi16ELi128ELNS_18Fp8KVCacheDataTypeE0ELb1EEEvPT_PKS3_PKT0_S9_ifPKiSB_iPKfiiiSD_SD_iiiii
                                        ; -- End function
	.set _ZN4vllm25paged_attention_v1_kernelI14__hip_bfloat16S1_Li64ELi16ELi128ELNS_18Fp8KVCacheDataTypeE0ELb1EEEvPT_PKS3_PKT0_S9_ifPKiSB_iPKfiiiSD_SD_iiiii.num_vgpr, 55
	.set _ZN4vllm25paged_attention_v1_kernelI14__hip_bfloat16S1_Li64ELi16ELi128ELNS_18Fp8KVCacheDataTypeE0ELb1EEEvPT_PKS3_PKT0_S9_ifPKiSB_iPKfiiiSD_SD_iiiii.num_agpr, 0
	.set _ZN4vllm25paged_attention_v1_kernelI14__hip_bfloat16S1_Li64ELi16ELi128ELNS_18Fp8KVCacheDataTypeE0ELb1EEEvPT_PKS3_PKT0_S9_ifPKiSB_iPKfiiiSD_SD_iiiii.numbered_sgpr, 40
	.set _ZN4vllm25paged_attention_v1_kernelI14__hip_bfloat16S1_Li64ELi16ELi128ELNS_18Fp8KVCacheDataTypeE0ELb1EEEvPT_PKS3_PKT0_S9_ifPKiSB_iPKfiiiSD_SD_iiiii.num_named_barrier, 0
	.set _ZN4vllm25paged_attention_v1_kernelI14__hip_bfloat16S1_Li64ELi16ELi128ELNS_18Fp8KVCacheDataTypeE0ELb1EEEvPT_PKS3_PKT0_S9_ifPKiSB_iPKfiiiSD_SD_iiiii.private_seg_size, 0
	.set _ZN4vllm25paged_attention_v1_kernelI14__hip_bfloat16S1_Li64ELi16ELi128ELNS_18Fp8KVCacheDataTypeE0ELb1EEEvPT_PKS3_PKT0_S9_ifPKiSB_iPKfiiiSD_SD_iiiii.uses_vcc, 1
	.set _ZN4vllm25paged_attention_v1_kernelI14__hip_bfloat16S1_Li64ELi16ELi128ELNS_18Fp8KVCacheDataTypeE0ELb1EEEvPT_PKS3_PKT0_S9_ifPKiSB_iPKfiiiSD_SD_iiiii.uses_flat_scratch, 0
	.set _ZN4vllm25paged_attention_v1_kernelI14__hip_bfloat16S1_Li64ELi16ELi128ELNS_18Fp8KVCacheDataTypeE0ELb1EEEvPT_PKS3_PKT0_S9_ifPKiSB_iPKfiiiSD_SD_iiiii.has_dyn_sized_stack, 0
	.set _ZN4vllm25paged_attention_v1_kernelI14__hip_bfloat16S1_Li64ELi16ELi128ELNS_18Fp8KVCacheDataTypeE0ELb1EEEvPT_PKS3_PKT0_S9_ifPKiSB_iPKfiiiSD_SD_iiiii.has_recursion, 0
	.set _ZN4vllm25paged_attention_v1_kernelI14__hip_bfloat16S1_Li64ELi16ELi128ELNS_18Fp8KVCacheDataTypeE0ELb1EEEvPT_PKS3_PKT0_S9_ifPKiSB_iPKfiiiSD_SD_iiiii.has_indirect_call, 0
	.section	.AMDGPU.csdata,"",@progbits
; Kernel info:
; codeLenInByte = 6652
; TotalNumSgprs: 42
; NumVgprs: 55
; ScratchSize: 0
; MemoryBound: 0
; FloatMode: 240
; IeeeMode: 1
; LDSByteSize: 160 bytes/workgroup (compile time only)
; SGPRBlocks: 0
; VGPRBlocks: 3
; NumSGPRsForWavesPerEU: 42
; NumVGPRsForWavesPerEU: 55
; NamedBarCnt: 0
; Occupancy: 16
; WaveLimiterHint : 1
; COMPUTE_PGM_RSRC2:SCRATCH_EN: 0
; COMPUTE_PGM_RSRC2:USER_SGPR: 2
; COMPUTE_PGM_RSRC2:TRAP_HANDLER: 0
; COMPUTE_PGM_RSRC2:TGID_X_EN: 1
; COMPUTE_PGM_RSRC2:TGID_Y_EN: 1
; COMPUTE_PGM_RSRC2:TGID_Z_EN: 1
; COMPUTE_PGM_RSRC2:TIDIG_COMP_CNT: 0
	.section	.text._ZN4vllm25paged_attention_v1_kernelI14__hip_bfloat16S1_Li80ELi16ELi128ELNS_18Fp8KVCacheDataTypeE0ELb1EEEvPT_PKS3_PKT0_S9_ifPKiSB_iPKfiiiSD_SD_iiiii,"axG",@progbits,_ZN4vllm25paged_attention_v1_kernelI14__hip_bfloat16S1_Li80ELi16ELi128ELNS_18Fp8KVCacheDataTypeE0ELb1EEEvPT_PKS3_PKT0_S9_ifPKiSB_iPKfiiiSD_SD_iiiii,comdat
	.protected	_ZN4vllm25paged_attention_v1_kernelI14__hip_bfloat16S1_Li80ELi16ELi128ELNS_18Fp8KVCacheDataTypeE0ELb1EEEvPT_PKS3_PKT0_S9_ifPKiSB_iPKfiiiSD_SD_iiiii ; -- Begin function _ZN4vllm25paged_attention_v1_kernelI14__hip_bfloat16S1_Li80ELi16ELi128ELNS_18Fp8KVCacheDataTypeE0ELb1EEEvPT_PKS3_PKT0_S9_ifPKiSB_iPKfiiiSD_SD_iiiii
	.globl	_ZN4vllm25paged_attention_v1_kernelI14__hip_bfloat16S1_Li80ELi16ELi128ELNS_18Fp8KVCacheDataTypeE0ELb1EEEvPT_PKS3_PKT0_S9_ifPKiSB_iPKfiiiSD_SD_iiiii
	.p2align	8
	.type	_ZN4vllm25paged_attention_v1_kernelI14__hip_bfloat16S1_Li80ELi16ELi128ELNS_18Fp8KVCacheDataTypeE0ELb1EEEvPT_PKS3_PKT0_S9_ifPKiSB_iPKfiiiSD_SD_iiiii,@function
_ZN4vllm25paged_attention_v1_kernelI14__hip_bfloat16S1_Li80ELi16ELi128ELNS_18Fp8KVCacheDataTypeE0ELb1EEEvPT_PKS3_PKT0_S9_ifPKiSB_iPKfiiiSD_SD_iiiii: ; @_ZN4vllm25paged_attention_v1_kernelI14__hip_bfloat16S1_Li80ELi16ELi128ELNS_18Fp8KVCacheDataTypeE0ELb1EEEvPT_PKS3_PKT0_S9_ifPKiSB_iPKfiiiSD_SD_iiiii
; %bb.0:
	s_load_b64 s[22:23], s[0:1], 0x20
	s_bfe_u32 s3, ttmp6, 0x4000c
	s_bfe_u32 s4, ttmp6, 0x40010
	s_and_b32 s6, ttmp7, 0xffff
	s_add_co_i32 s3, s3, 1
	s_add_co_i32 s4, s4, 1
	s_and_b32 s2, ttmp6, 15
	s_bfe_u32 s5, ttmp6, 0x40004
	s_mul_i32 s3, ttmp9, s3
	s_mul_i32 s4, s6, s4
	s_getreg_b32 s28, hwreg(HW_REG_IB_STS2, 6, 4)
	s_add_co_i32 s2, s2, s3
	s_add_co_i32 s3, s5, s4
	s_cmp_eq_u32 s28, 0
	s_clause 0x1
	s_load_b32 s29, s[0:1], 0x80
	s_load_b64 s[4:5], s[0:1], 0x30
	s_cselect_b32 s30, s6, s3
	s_cselect_b32 s2, ttmp9, s2
	s_mov_b32 s17, 0
	s_delay_alu instid0(SALU_CYCLE_1) | instskip(SKIP_2) | instid1(SALU_CYCLE_1)
	s_mov_b32 s35, s17
	s_wait_kmcnt 0x0
	s_abs_i32 s3, s22
	s_cvt_f32_u32 s6, s3
	s_sub_co_i32 s7, 0, s3
	s_delay_alu instid0(SALU_CYCLE_2) | instskip(SKIP_2) | instid1(TRANS32_DEP_1)
	v_rcp_iflag_f32_e32 v1, s6
	s_abs_i32 s8, s29
	v_nop
	v_readfirstlane_b32 s6, v1
	s_mul_f32 s6, s6, 0x4f7ffffe
	s_delay_alu instid0(SALU_CYCLE_3) | instskip(NEXT) | instid1(SALU_CYCLE_3)
	s_cvt_u32_f32 s6, s6
	s_mul_i32 s7, s7, s6
	s_delay_alu instid0(SALU_CYCLE_1) | instskip(NEXT) | instid1(SALU_CYCLE_1)
	s_mul_hi_u32 s7, s6, s7
	s_add_co_i32 s6, s6, s7
	s_xor_b32 s7, s29, s22
	s_mul_hi_u32 s6, s8, s6
	s_ashr_i32 s7, s7, 31
	s_mul_i32 s9, s6, s3
	s_delay_alu instid0(SALU_CYCLE_1)
	s_sub_co_i32 s8, s8, s9
	s_add_co_i32 s9, s6, 1
	s_sub_co_i32 s10, s8, s3
	s_cmp_ge_u32 s8, s3
	s_cselect_b32 s6, s9, s6
	s_cselect_b32 s8, s10, s8
	s_add_co_i32 s9, s6, 1
	s_cmp_ge_u32 s8, s3
	s_cselect_b32 s3, s9, s6
	s_load_b64 s[8:9], s[0:1], 0x40
	s_xor_b32 s3, s3, s7
	s_abs_i32 s16, s2
	s_sub_co_i32 s10, s3, s7
	s_mov_b32 s7, s17
	s_abs_i32 s15, s10
	s_delay_alu instid0(SALU_CYCLE_1) | instskip(SKIP_1) | instid1(SALU_CYCLE_2)
	s_cvt_f32_u32 s3, s15
	s_sub_co_i32 s6, 0, s15
	v_rcp_iflag_f32_e32 v1, s3
	v_nop
	s_delay_alu instid0(TRANS32_DEP_1) | instskip(SKIP_1) | instid1(SALU_CYCLE_3)
	v_readfirstlane_b32 s3, v1
	s_mul_f32 s3, s3, 0x4f7ffffe
	s_cvt_u32_f32 s3, s3
	s_delay_alu instid0(SALU_CYCLE_3) | instskip(NEXT) | instid1(SALU_CYCLE_1)
	s_mul_i32 s6, s6, s3
	s_mul_hi_u32 s6, s3, s6
	s_delay_alu instid0(SALU_CYCLE_1)
	s_add_co_i32 s6, s3, s6
	s_wait_kmcnt 0x0
	s_cmp_eq_u64 s[8:9], 0
	s_cbranch_scc1 .LBB128_2
; %bb.1:
	s_ashr_i32 s3, s2, 31
	s_delay_alu instid0(SALU_CYCLE_1) | instskip(NEXT) | instid1(SALU_CYCLE_1)
	s_lshl_b64 s[12:13], s[2:3], 2
	s_add_nc_u64 s[8:9], s[8:9], s[12:13]
	s_load_b32 s35, s[8:9], 0x0
.LBB128_2:
	s_load_b32 s31, s[4:5], s30 offset:0x0 scale_offset
	s_load_b96 s[12:14], s[0:1], 0x48
	v_dual_lshrrev_b32 v1, 1, v0 :: v_dual_bitop2_b32 v40, 1, v0 bitop3:0x40
	s_wait_xcnt 0x0
	s_mul_u64 s[4:5], s[16:17], s[6:7]
	s_ashr_i32 s3, s2, 31
	s_ashr_i32 s18, s10, 31
	s_mul_i32 s6, s2, 0x50
	s_mov_b32 s4, exec_lo
	v_cmpx_gt_u32_e32 20, v0
	s_cbranch_execz .LBB128_4
; %bb.3:
	s_load_b64 s[8:9], s[0:1], 0x8
	s_wait_kmcnt 0x0
	s_mul_i32 s10, s12, s30
	s_ashr_i32 s7, s6, 31
	s_ashr_i32 s11, s10, 31
	v_lshlrev_b32_e32 v4, 3, v1
	s_lshl_b64 s[10:11], s[10:11], 1
	s_delay_alu instid0(VALU_DEP_1) | instskip(SKIP_2) | instid1(SALU_CYCLE_1)
	v_mad_u32_u24 v4, 0x50, v40, v4
	s_add_nc_u64 s[8:9], s[8:9], s[10:11]
	s_lshl_b64 s[10:11], s[6:7], 1
	s_add_nc_u64 s[8:9], s[8:9], s[10:11]
	global_load_b64 v[2:3], v0, s[8:9] scale_offset
	s_wait_loadcnt 0x0
	ds_store_b64 v4, v[2:3]
.LBB128_4:
	s_or_b32 exec_lo, exec_lo, s4
	s_load_b128 s[8:11], s[0:1], 0x68
	s_mul_i32 s4, s5, s15
	s_xor_b32 s3, s3, s18
	s_sub_co_i32 s4, s16, s4
	s_add_co_i32 s7, s5, 1
	s_wait_kmcnt 0x0
	s_sub_co_i32 s12, s4, s15
	s_cmp_ge_u32 s4, s15
	s_mov_b32 s18, -1
	s_cselect_b32 s5, s7, s5
	s_cselect_b32 s4, s12, s4
	s_add_co_i32 s12, s5, 1
	s_cmp_ge_u32 s4, s15
	s_load_b32 s7, s[0:1], 0x78
	s_cselect_b32 s4, s12, s5
	s_add_co_i32 s15, s31, -1
	s_xor_b32 s4, s4, s3
	s_wait_dscnt 0x0
	s_sub_co_i32 s3, s4, s3
	s_barrier_signal -1
	s_barrier_wait -1
	s_abs_i32 s12, s11
	s_delay_alu instid0(SALU_CYCLE_1) | instskip(NEXT) | instid1(SALU_CYCLE_3)
	s_cvt_f32_u32 s5, s12
                                        ; implicit-def: $sgpr33
	v_rcp_iflag_f32_e32 v2, s5
	v_nop
	s_delay_alu instid0(TRANS32_DEP_1) | instskip(SKIP_1) | instid1(SALU_CYCLE_3)
	v_readfirstlane_b32 s5, v2
	s_mul_f32 s4, s5, 0x4f7ffffe
	s_cvt_u32_f32 s16, s4
	s_sub_co_i32 s4, 0, s12
	s_delay_alu instid0(SALU_CYCLE_2)
	s_mul_i32 s5, s4, s16
	s_abs_i32 s4, s15
	s_mul_hi_u32 s17, s16, s5
	s_mov_b32 s5, 0
	s_add_co_i32 s16, s16, s17
	s_wait_kmcnt 0x0
	s_cmp_lt_i32 s7, 0
	s_mov_b32 s17, s5
	s_cbranch_scc0 .LBB128_6
; %bb.5:
	s_mul_i32 s18, s8, s22
	s_delay_alu instid0(SALU_CYCLE_1) | instskip(NEXT) | instid1(SALU_CYCLE_1)
	s_add_co_i32 s18, s3, s18
	s_mul_i32 s18, s18, s7
	s_delay_alu instid0(SALU_CYCLE_1)
	s_sub_co_i32 s33, 1, s18
	s_mov_b32 s18, s5
.LBB128_6:
	s_ashr_i32 s15, s15, 31
	s_ashr_i32 s11, s11, 31
	s_and_not1_b32 vcc_lo, exec_lo, s18
	s_mul_u64 s[24:25], s[4:5], s[16:17]
	s_cbranch_vccnz .LBB128_8
; %bb.7:
	s_mul_i32 s5, s29, s8
	s_delay_alu instid0(SALU_CYCLE_1) | instskip(NEXT) | instid1(SALU_CYCLE_1)
	s_add_co_i32 s2, s5, s2
	s_mul_i32 s2, s2, s7
	s_delay_alu instid0(SALU_CYCLE_1)
	s_add_co_i32 s33, s2, 1
.LBB128_8:
	s_load_b32 s2, s[0:1], 0x38
	s_mul_i32 s7, s25, s12
	s_xor_b32 s5, s15, s11
	s_sub_co_i32 s4, s4, s7
	s_add_co_i32 s8, s25, 1
	s_clause 0x1
	s_load_b64 s[18:19], s[0:1], 0x28
	s_load_b32 s7, s[0:1], 0x88
	v_dual_lshrrev_b32 v41, 5, v0 :: v_dual_lshlrev_b32 v9, 3, v0
	v_dual_mov_b32 v13, 0xff7fffff :: v_dual_lshrrev_b32 v8, 3, v0
	v_mbcnt_lo_u32_b32 v10, -1, 0
	s_delay_alu instid0(VALU_DEP_3)
	v_lshlrev_b32_e32 v30, 4, v41
	s_mul_i32 s14, s3, s14
	s_wait_kmcnt 0x0
	s_mul_i32 s20, s2, s30
	s_sub_co_i32 s2, s4, s12
	s_ashr_i32 s21, s20, 31
	s_cmp_ge_u32 s4, s12
	s_cselect_b32 s8, s8, s25
	s_cselect_b32 s2, s2, s4
	s_add_co_i32 s4, s8, 1
	s_cmp_ge_u32 s2, s12
	s_cselect_b32 s2, s4, s8
	s_add_co_i32 s4, s31, 15
	s_delay_alu instid0(SALU_CYCLE_1) | instskip(NEXT) | instid1(SALU_CYCLE_1)
	s_ashr_i32 s8, s4, 31
	s_lshr_b32 s8, s8, 28
	s_delay_alu instid0(SALU_CYCLE_1) | instskip(NEXT) | instid1(SALU_CYCLE_1)
	s_add_co_i32 s4, s4, s8
	s_ashr_i32 s34, s4, 4
	s_xor_b32 s4, s2, s5
	v_cmp_gt_i32_e64 s2, s34, v41
	s_sub_co_i32 s8, s4, s5
	s_and_saveexec_b32 s22, s2
	s_cbranch_execz .LBB128_20
; %bb.9:
	s_load_b64 s[4:5], s[0:1], 0x10
	s_ashr_i32 s15, s14, 31
	s_sub_co_i32 s36, s8, s9
	s_ashr_i32 s25, s13, 31
	s_lshl_b64 s[38:39], s[14:15], 1
	s_cmp_neq_f32 s35, 0
	v_bfe_u32 v11, v0, 1, 4
	v_mov_b32_e32 v3, 0
	v_mul_u32_u24_e32 v12, 0x50, v40
	s_cselect_b32 vcc_lo, -1, 0
	s_abs_i32 s15, s10
	v_lshlrev_b32_e32 v2, 4, v11
	s_cvt_f32_u32 s3, s15
	v_lshlrev_b32_e32 v7, 2, v11
	v_subrev_nc_u32_e32 v6, s31, v11
	s_sub_co_i32 s26, 0, s15
	v_rcp_iflag_f32_e32 v4, s3
	v_cmp_eq_u32_e64 s3, 0, v40
	v_dual_mov_b32 v16, 0xff7fffff :: v_dual_mov_b32 v13, 0xff7fffff
	s_wait_kmcnt 0x0
	s_add_nc_u64 s[4:5], s[4:5], s[38:39]
	v_add_nc_u32_e32 v14, 1, v6
	v_xor_b32_e32 v17, 1, v10
	v_readfirstlane_b32 s24, v4
	v_add_nc_u64_e32 v[4:5], s[4:5], v[2:3]
	v_and_b32_e32 v2, 8, v9
	v_lshl_or_b32 v7, v41, 6, v7
	s_lshl_b64 s[4:5], s[20:21], 2
	s_mul_f32 s24, s24, 0x4f7ffffe
	s_add_nc_u64 s[4:5], s[18:19], s[4:5]
	s_delay_alu instid0(VALU_DEP_1)
	v_dual_mov_b32 v18, v41 :: v_dual_add_nc_u32 v15, 0xc0, v7
	v_add_nc_u64_e32 v[4:5], v[4:5], v[2:3]
	v_and_b32_e32 v2, 0x7c, v8
	s_cvt_u32_f32 s37, s24
	s_mov_b32 s27, 0
	s_mov_b32 s24, s13
	s_delay_alu instid0(VALU_DEP_1) | instskip(SKIP_3) | instid1(SALU_CYCLE_1)
	v_add_nc_u64_e32 v[6:7], s[4:5], v[2:3]
	s_mul_i32 s26, s26, s37
	v_lshlrev_b32_e32 v2, 4, v41
	s_mul_hi_u32 s4, s37, s26
	s_add_co_i32 s26, s37, s4
	s_mov_b32 s37, s27
	s_branch .LBB128_12
.LBB128_10:                             ;   in Loop: Header=BB128_12 Depth=1
	s_or_b32 exec_lo, exec_lo, s38
.LBB128_11:                             ;   in Loop: Header=BB128_12 Depth=1
	s_delay_alu instid0(SALU_CYCLE_1) | instskip(SKIP_4) | instid1(VALU_DEP_4)
	s_or_b32 exec_lo, exec_lo, s5
	v_add_nc_u32_e32 v18, 4, v18
	v_add_nc_u64_e32 v[6:7], 16, v[6:7]
	v_add_nc_u32_e32 v2, 64, v2
	v_add_nc_u32_e32 v15, 0x100, v15
	v_cmp_le_i32_e64 s4, s34, v18
	s_or_b32 s37, s4, s37
	s_delay_alu instid0(SALU_CYCLE_1)
	s_and_not1_b32 exec_lo, exec_lo, s37
	s_cbranch_execz .LBB128_19
.LBB128_12:                             ; =>This Inner Loop Header: Depth=1
	s_wait_dscnt 0x0
	v_mul_u64_e32 v[20:21], s[16:17], v[2:3]
	s_delay_alu instid0(VALU_DEP_1) | instskip(NEXT) | instid1(VALU_DEP_1)
	v_mul_lo_u32 v19, v21, s12
	v_dual_add_nc_u32 v20, 1, v21 :: v_dual_sub_nc_u32 v19, v2, v19
	s_delay_alu instid0(VALU_DEP_1) | instskip(SKIP_1) | instid1(VALU_DEP_1)
	v_subrev_nc_u32_e32 v22, s12, v19
	v_cmp_le_u32_e64 s4, s12, v19
	v_dual_cndmask_b32 v20, v21, v20, s4 :: v_dual_cndmask_b32 v19, v19, v22, s4
	s_delay_alu instid0(VALU_DEP_1) | instskip(NEXT) | instid1(VALU_DEP_2)
	v_add_nc_u32_e32 v21, 1, v20
	v_cmp_le_u32_e64 s4, s12, v19
	s_delay_alu instid0(VALU_DEP_1) | instskip(NEXT) | instid1(VALU_DEP_1)
	v_dual_cndmask_b32 v19, v20, v21, s4 :: v_dual_mov_b32 v21, v3
	v_xor_b32_e32 v19, s11, v19
	s_delay_alu instid0(VALU_DEP_1) | instskip(NEXT) | instid1(VALU_DEP_1)
	v_subrev_nc_u32_e32 v19, s11, v19
	v_add_nc_u32_e32 v24, s33, v19
	v_cmp_ge_i32_e64 s5, s36, v19
	s_delay_alu instid0(VALU_DEP_2) | instskip(NEXT) | instid1(VALU_DEP_1)
	v_sub_nc_u32_e32 v20, 0, v24
	v_max_i32_e32 v20, v24, v20
	s_delay_alu instid0(VALU_DEP_1) | instskip(SKIP_1) | instid1(VALU_DEP_2)
	v_mul_u64_e32 v[22:23], s[26:27], v[20:21]
	v_ashrrev_i32_e32 v22, 31, v24
	v_mul_lo_u32 v21, v23, s15
	s_delay_alu instid0(VALU_DEP_1) | instskip(NEXT) | instid1(VALU_DEP_1)
	v_sub_nc_u32_e32 v20, v20, v21
	v_subrev_nc_u32_e32 v21, s15, v20
	v_cmp_le_u32_e64 s4, s15, v20
	s_delay_alu instid0(VALU_DEP_1) | instskip(NEXT) | instid1(VALU_DEP_1)
	v_cndmask_b32_e64 v20, v20, v21, s4
	v_subrev_nc_u32_e32 v21, s15, v20
	v_cmp_le_u32_e64 s4, s15, v20
	s_delay_alu instid0(VALU_DEP_1) | instskip(NEXT) | instid1(VALU_DEP_1)
	v_cndmask_b32_e64 v20, v20, v21, s4
	v_xor_b32_e32 v20, v20, v22
	s_delay_alu instid0(VALU_DEP_1) | instskip(NEXT) | instid1(VALU_DEP_1)
	v_sub_nc_u32_e32 v20, v20, v22
	v_cmp_ne_u32_e64 s4, 0, v20
	s_and_b32 s4, s4, s5
	s_delay_alu instid0(SALU_CYCLE_1) | instskip(NEXT) | instid1(SALU_CYCLE_1)
	s_and_saveexec_b32 s5, s4
	s_xor_b32 s4, exec_lo, s5
	s_cbranch_execz .LBB128_16
; %bb.13:                               ;   in Loop: Header=BB128_12 Depth=1
	s_and_saveexec_b32 s5, s3
; %bb.14:                               ;   in Loop: Header=BB128_12 Depth=1
	ds_store_b32 v15, v16
; %bb.15:                               ;   in Loop: Header=BB128_12 Depth=1
	s_or_b32 exec_lo, exec_lo, s5
.LBB128_16:                             ;   in Loop: Header=BB128_12 Depth=1
	s_and_not1_saveexec_b32 s5, s4
	s_cbranch_execz .LBB128_11
; %bb.17:                               ;   in Loop: Header=BB128_12 Depth=1
	global_load_b32 v20, v[6:7], off
	v_cmp_gt_i32_e64 s4, 32, v17
	s_wait_loadcnt 0x0
	v_ashrrev_i32_e32 v21, 31, v20
	s_delay_alu instid0(VALU_DEP_1) | instskip(NEXT) | instid1(VALU_DEP_1)
	v_mul_u64_e32 v[20:21], s[24:25], v[20:21]
	v_lshl_add_u64 v[20:21], v[20:21], 1, v[4:5]
	s_clause 0x9
	global_load_b64 v[28:29], v[20:21], off offset:256
	global_load_b64 v[42:43], v[20:21], off
	global_load_b64 v[44:45], v[20:21], off offset:512
	global_load_b64 v[46:47], v[20:21], off offset:768
	;; [unrolled: 1-line block ×8, first 2 shown]
	s_wait_xcnt 0x0
	ds_load_b128 v[20:23], v12
	ds_load_b128 v[24:27], v12 offset:16
	ds_load_b128 v[32:35], v12 offset:32
	s_wait_dscnt 0x2
	v_lshlrev_b32_e32 v19, 16, v22
	v_and_b32_e32 v22, 0xffff0000, v22
	v_lshlrev_b32_e32 v36, 16, v23
	v_and_b32_e32 v23, 0xffff0000, v23
	s_wait_loadcnt 0x9
	v_lshlrev_b32_e32 v31, 16, v28
	v_and_b32_e32 v28, 0xffff0000, v28
	s_delay_alu instid0(VALU_DEP_2) | instskip(NEXT) | instid1(VALU_DEP_2)
	v_dual_lshlrev_b32 v37, 16, v29 :: v_dual_mul_f32 v19, v19, v31
	v_mul_f32_e32 v22, v22, v28
	v_and_b32_e32 v28, 0xffff0000, v29
	s_delay_alu instid0(VALU_DEP_3)
	v_mul_f32_e32 v29, v36, v37
	ds_load_b128 v[36:39], v12 offset:48
	s_wait_loadcnt 0x8
	v_fma_mix_f32_bf16 v19, v20, v42, v19 op_sel_hi:[1,1,0]
	v_fma_mix_f32_bf16 v20, v20, v42, v22 op_sel:[1,1,0] op_sel_hi:[1,1,0]
	v_mul_f32_e32 v22, v23, v28
	v_fma_mix_f32_bf16 v23, v21, v43, v29 op_sel_hi:[1,1,0]
	s_wait_loadcnt_dscnt 0x702
	v_fma_mix_f32_bf16 v19, v24, v44, v19 op_sel_hi:[1,1,0]
	v_fma_mix_f32_bf16 v20, v24, v44, v20 op_sel:[1,1,0] op_sel_hi:[1,1,0]
	v_fma_mix_f32_bf16 v24, v21, v43, v22 op_sel:[1,1,0] op_sel_hi:[1,1,0]
	v_fma_mix_f32_bf16 v28, v25, v45, v23 op_sel_hi:[1,1,0]
	s_wait_loadcnt 0x6
	v_fma_mix_f32_bf16 v19, v26, v46, v19 op_sel_hi:[1,1,0]
	v_fma_mix_f32_bf16 v26, v26, v46, v20 op_sel:[1,1,0] op_sel_hi:[1,1,0]
	ds_load_b128 v[20:23], v12 offset:64
	v_fma_mix_f32_bf16 v24, v25, v45, v24 op_sel:[1,1,0] op_sel_hi:[1,1,0]
	v_fma_mix_f32_bf16 v25, v27, v47, v28 op_sel_hi:[1,1,0]
	s_wait_loadcnt_dscnt 0x502
	v_fma_mix_f32_bf16 v19, v32, v48, v19 op_sel_hi:[1,1,0]
	v_fma_mix_f32_bf16 v26, v32, v48, v26 op_sel:[1,1,0] op_sel_hi:[1,1,0]
	v_fma_mix_f32_bf16 v24, v27, v47, v24 op_sel:[1,1,0] op_sel_hi:[1,1,0]
	v_fma_mix_f32_bf16 v25, v33, v49, v25 op_sel_hi:[1,1,0]
	s_wait_loadcnt 0x4
	v_fma_mix_f32_bf16 v19, v34, v50, v19 op_sel_hi:[1,1,0]
	v_fma_mix_f32_bf16 v26, v34, v50, v26 op_sel:[1,1,0] op_sel_hi:[1,1,0]
	v_fma_mix_f32_bf16 v24, v33, v49, v24 op_sel:[1,1,0] op_sel_hi:[1,1,0]
	v_fma_mix_f32_bf16 v25, v35, v51, v25 op_sel_hi:[1,1,0]
	s_wait_loadcnt_dscnt 0x301
	v_fma_mix_f32_bf16 v19, v36, v52, v19 op_sel_hi:[1,1,0]
	v_fma_mix_f32_bf16 v26, v36, v52, v26 op_sel:[1,1,0] op_sel_hi:[1,1,0]
	v_fma_mix_f32_bf16 v24, v35, v51, v24 op_sel:[1,1,0] op_sel_hi:[1,1,0]
	v_fma_mix_f32_bf16 v25, v37, v53, v25 op_sel_hi:[1,1,0]
	s_wait_loadcnt 0x2
	v_fma_mix_f32_bf16 v19, v38, v54, v19 op_sel_hi:[1,1,0]
	v_fma_mix_f32_bf16 v26, v38, v54, v26 op_sel:[1,1,0] op_sel_hi:[1,1,0]
	;; [unrolled: 10-line block ×3, first 2 shown]
	v_fma_mix_f32_bf16 v21, v21, v57, v24 op_sel:[1,1,0] op_sel_hi:[1,1,0]
	v_fma_mix_f32_bf16 v22, v23, v59, v25 op_sel_hi:[1,1,0]
	s_delay_alu instid0(VALU_DEP_3) | instskip(NEXT) | instid1(VALU_DEP_3)
	v_dual_add_f32 v19, v19, v20 :: v_dual_cndmask_b32 v20, v10, v17, s4
	v_fma_mix_f32_bf16 v21, v23, v59, v21 op_sel:[1,1,0] op_sel_hi:[1,1,0]
	s_delay_alu instid0(VALU_DEP_2) | instskip(NEXT) | instid1(VALU_DEP_1)
	v_dual_add_f32 v19, v19, v22 :: v_dual_lshlrev_b32 v20, 2, v20
	v_add_f32_e32 v19, v21, v19
	ds_bpermute_b32 v20, v20, v19
	s_and_saveexec_b32 s38, s3
	s_cbranch_execz .LBB128_10
; %bb.18:                               ;   in Loop: Header=BB128_12 Depth=1
	s_wait_dscnt 0x0
	v_dual_add_nc_u32 v21, v14, v2 :: v_dual_add_f32 v19, v19, v20
	s_delay_alu instid0(VALU_DEP_1) | instskip(NEXT) | instid1(VALU_DEP_1)
	v_cvt_f32_i32_e32 v21, v21
	v_mul_f32_e32 v21, s35, v21
	s_delay_alu instid0(VALU_DEP_1) | instskip(NEXT) | instid1(VALU_DEP_1)
	v_cndmask_b32_e32 v20, 0, v21, vcc_lo
	v_dual_fmac_f32 v20, s23, v19 :: v_dual_add_nc_u32 v19, v11, v2
	s_delay_alu instid0(VALU_DEP_1) | instskip(NEXT) | instid1(VALU_DEP_1)
	v_cmp_gt_i32_e64 s4, s31, v19
	v_dual_max_num_f32 v21, v13, v13 :: v_dual_cndmask_b32 v19, 0, v20, s4
	s_delay_alu instid0(VALU_DEP_1)
	v_max_num_f32_e32 v21, v21, v20
	ds_store_b32 v15, v19
	v_cndmask_b32_e64 v13, v13, v21, s4
	s_branch .LBB128_10
.LBB128_19:
	s_or_b32 exec_lo, exec_lo, s37
.LBB128_20:
	s_delay_alu instid0(SALU_CYCLE_1)
	s_or_b32 exec_lo, exec_lo, s22
	v_dual_max_num_f32 v5, v13, v13 :: v_dual_bitop2_b32 v2, 16, v10 bitop3:0x14
	v_xor_b32_e32 v4, 8, v10
	s_clause 0x1
	s_load_b64 s[4:5], s[0:1], 0x0
	s_load_b64 s[22:23], s[0:1], 0x18
	v_and_b32_e32 v42, 31, v0
	v_cmp_gt_i32_e32 vcc_lo, 32, v2
	v_cndmask_b32_e32 v2, v10, v2, vcc_lo
	v_cmp_gt_i32_e32 vcc_lo, 32, v4
	s_delay_alu instid0(VALU_DEP_2) | instskip(SKIP_3) | instid1(VALU_DEP_1)
	v_dual_cndmask_b32 v4, v10, v4 :: v_dual_lshlrev_b32 v3, 2, v2
	ds_bpermute_b32 v2, v3, v13
	s_wait_dscnt 0x0
	v_dual_max_num_f32 v2, v2, v2 :: v_dual_lshlrev_b32 v4, 2, v4
	v_max_num_f32_e32 v2, v5, v2
	ds_bpermute_b32 v5, v4, v2
	s_wait_dscnt 0x0
	v_dual_max_num_f32 v7, v5, v5 :: v_dual_bitop2_b32 v6, 4, v10 bitop3:0x14
	s_delay_alu instid0(VALU_DEP_1) | instskip(NEXT) | instid1(VALU_DEP_2)
	v_max_num_f32_e32 v2, v2, v7
	v_cmp_gt_i32_e32 vcc_lo, 32, v6
	v_xor_b32_e32 v7, 2, v10
	v_cndmask_b32_e32 v6, v10, v6, vcc_lo
	s_delay_alu instid0(VALU_DEP_2) | instskip(NEXT) | instid1(VALU_DEP_2)
	v_cmp_gt_i32_e32 vcc_lo, 32, v7
	v_dual_cndmask_b32 v11, v10, v7, vcc_lo :: v_dual_lshlrev_b32 v5, 2, v6
	v_cmp_eq_u32_e32 vcc_lo, 0, v42
	ds_bpermute_b32 v6, v5, v2
	s_wait_dscnt 0x0
	v_max_num_f32_e32 v6, v6, v6
	s_delay_alu instid0(VALU_DEP_1)
	v_dual_max_num_f32 v7, v2, v6 :: v_dual_lshlrev_b32 v2, 2, v11
	v_lshlrev_b32_e32 v6, 2, v41
	ds_bpermute_b32 v11, v2, v7
	s_wait_xcnt 0x0
	s_and_saveexec_b32 s0, vcc_lo
	s_cbranch_execz .LBB128_22
; %bb.21:
	s_wait_dscnt 0x0
	v_max_num_f32_e32 v11, v11, v11
	v_max_num_f32_e32 v7, v7, v7
	s_delay_alu instid0(VALU_DEP_1)
	v_max_num_f32_e32 v7, v7, v11
	ds_store_b32 v6, v7 offset:160
.LBB128_22:
	s_or_b32 exec_lo, exec_lo, s0
	v_cmp_gt_u32_e64 s0, 4, v42
	s_wait_dscnt 0x0
	v_mov_b32_e32 v11, 0xff7fffff
	v_lshlrev_b32_e32 v7, 2, v42
	s_barrier_signal -1
	s_barrier_wait -1
	s_and_saveexec_b32 s1, s0
; %bb.23:
	ds_load_b32 v11, v7 offset:160
; %bb.24:
	s_or_b32 exec_lo, exec_lo, s1
	s_wait_dscnt 0x0
	ds_bpermute_b32 v12, v2, v11
	v_dual_max_num_f32 v11, v11, v11 :: v_dual_bitop2_b32 v13, 1, v10 bitop3:0x14
	s_delay_alu instid0(VALU_DEP_1) | instskip(NEXT) | instid1(VALU_DEP_1)
	v_cmp_gt_i32_e64 s1, 32, v13
	v_cndmask_b32_e64 v10, v10, v13, s1
	s_lshl_b32 s1, s34, 4
	s_delay_alu instid0(SALU_CYCLE_1) | instskip(NEXT) | instid1(SALU_CYCLE_1)
	s_min_i32 s15, s1, s31
	v_cmp_gt_i32_e64 s1, s15, v0
	s_wait_dscnt 0x0
	v_dual_max_num_f32 v12, v12, v12 :: v_dual_lshlrev_b32 v43, 2, v10
	s_delay_alu instid0(VALU_DEP_1) | instskip(SKIP_3) | instid1(VALU_DEP_1)
	v_max_num_f32_e32 v10, v11, v12
	ds_bpermute_b32 v11, v43, v10
	s_wait_dscnt 0x0
	v_max_num_f32_e32 v11, v11, v11
	v_dual_max_num_f32 v11, v10, v11 :: v_dual_mov_b32 v10, 0
	ds_bpermute_b32 v11, v10, v11
	s_and_saveexec_b32 s24, s1
	s_cbranch_execz .LBB128_28
; %bb.25:
	v_lshl_add_u32 v12, v0, 2, 0xc0
	v_dual_mov_b32 v10, 0 :: v_dual_mov_b32 v13, v0
	s_mov_b32 s25, 0
.LBB128_26:                             ; =>This Inner Loop Header: Depth=1
	ds_load_b32 v14, v12
	v_add_nc_u32_e32 v13, 0x80, v13
	s_delay_alu instid0(VALU_DEP_1) | instskip(SKIP_3) | instid1(VALU_DEP_1)
	v_cmp_le_i32_e64 s3, s15, v13
	s_or_b32 s25, s3, s25
	s_wait_dscnt 0x0
	v_sub_f32_e32 v14, v14, v11
	v_mul_f32_e32 v14, 0x3fb8aa3b, v14
	s_delay_alu instid0(VALU_DEP_1)
	v_exp_f32_e32 v14, v14
	ds_store_b32 v12, v14
	v_nop
	v_add_f32_e32 v10, v10, v14
	v_add_nc_u32_e32 v12, 0x200, v12
	s_and_not1_b32 exec_lo, exec_lo, s25
	s_cbranch_execnz .LBB128_26
; %bb.27:
	s_or_b32 exec_lo, exec_lo, s25
.LBB128_28:
	s_delay_alu instid0(SALU_CYCLE_1)
	s_or_b32 exec_lo, exec_lo, s24
	ds_bpermute_b32 v3, v3, v10
	s_wait_dscnt 0x0
	v_add_f32_e32 v3, v10, v3
	ds_bpermute_b32 v4, v4, v3
	s_wait_dscnt 0x0
	v_add_f32_e32 v3, v3, v4
	ds_bpermute_b32 v4, v5, v3
	s_wait_dscnt 0x0
	v_add_f32_e32 v3, v3, v4
	ds_bpermute_b32 v4, v2, v3
	s_wait_dscnt 0x0
	v_add_f32_e32 v3, v3, v4
	ds_bpermute_b32 v4, v43, v3
	s_wait_dscnt 0x0
	v_add_f32_e32 v3, v3, v4
	s_and_saveexec_b32 s3, vcc_lo
; %bb.29:
	ds_store_b32 v6, v3 offset:176
; %bb.30:
	s_or_b32 exec_lo, exec_lo, s3
	s_wait_dscnt 0x0
	s_barrier_signal -1
	s_barrier_wait -1
	s_and_saveexec_b32 s3, s0
; %bb.31:
	ds_load_b32 v3, v7 offset:176
; %bb.32:
	s_or_b32 exec_lo, exec_lo, s3
	s_wait_dscnt 0x0
	ds_bpermute_b32 v2, v2, v3
	s_wait_dscnt 0x0
	v_dual_mov_b32 v33, 0 :: v_dual_add_f32 v2, v3, v2
	ds_bpermute_b32 v3, v43, v2
	s_wait_dscnt 0x0
	v_add_f32_e32 v2, v2, v3
	ds_bpermute_b32 v2, v33, v2
	s_and_saveexec_b32 s0, s1
	s_cbranch_execz .LBB128_45
; %bb.33:
	s_wait_dscnt 0x0
	v_add_f32_e32 v2, 0x358637bd, v2
	s_mov_b32 s3, -1
	s_mov_b32 s1, exec_lo
	s_delay_alu instid0(VALU_DEP_1) | instskip(NEXT) | instid1(VALU_DEP_1)
	v_div_scale_f32 v3, null, v2, v2, 1.0
	v_rcp_f32_e32 v5, v3
	v_nop
	s_delay_alu instid0(TRANS32_DEP_1) | instskip(NEXT) | instid1(VALU_DEP_1)
	v_fma_f32 v4, -v3, v5, 1.0
	v_fmac_f32_e32 v5, v4, v5
	v_div_scale_f32 v6, vcc_lo, 1.0, v2, 1.0
	s_delay_alu instid0(VALU_DEP_1) | instskip(NEXT) | instid1(VALU_DEP_1)
	v_mul_f32_e32 v7, v6, v5
	v_fma_f32 v4, -v3, v7, v6
	s_delay_alu instid0(VALU_DEP_1) | instskip(SKIP_1) | instid1(VALU_DEP_2)
	v_fmac_f32_e32 v7, v4, v5
	v_xad_u32 v4, v0, -1, s15
	v_fma_f32 v3, -v3, v7, v6
	s_delay_alu instid0(VALU_DEP_1) | instskip(NEXT) | instid1(VALU_DEP_1)
	v_div_fmas_f32 v3, v3, v5, v7
	v_div_fixup_f32 v2, v3, v2, 1.0
	v_mov_b32_e32 v3, v0
	v_cmpx_lt_u32_e32 0x7f, v4
	s_cbranch_execz .LBB128_42
; %bb.34:
	s_delay_alu instid0(VALU_DEP_3) | instskip(NEXT) | instid1(VALU_DEP_1)
	v_dual_mov_b32 v3, v2 :: v_dual_lshrrev_b32 v4, 7, v4
	v_dual_mov_b32 v10, 0 :: v_dual_add_nc_u32 v5, -1, v4
	s_delay_alu instid0(VALU_DEP_1) | instskip(SKIP_1) | instid1(VALU_DEP_2)
	v_lshrrev_b32_e32 v6, 1, v5
	v_cmp_lt_u32_e32 vcc_lo, 13, v5
	v_add_nc_u32_e32 v5, 1, v6
	s_and_saveexec_b32 s3, vcc_lo
	s_cbranch_execz .LBB128_38
; %bb.35:
	s_delay_alu instid0(VALU_DEP_1)
	v_and_b32_e32 v6, -8, v5
	v_lshl_add_u32 v7, v0, 2, 0xc0
	s_mov_b32 s24, 0
	s_mov_b32 s25, 0
.LBB128_36:                             ; =>This Inner Loop Header: Depth=1
	ds_load_2addr_stride64_b32 v[10:11], v7 offset1:2
	ds_load_2addr_stride64_b32 v[12:13], v7 offset0:4 offset1:6
	ds_load_2addr_stride64_b32 v[14:15], v7 offset0:8 offset1:10
	;; [unrolled: 1-line block ×7, first 2 shown]
	s_add_co_i32 s25, s25, 16
	v_add_nc_u32_e32 v6, -8, v6
	s_wait_dscnt 0x7
	v_pk_mul_f32 v[10:11], v[2:3], v[10:11]
	s_wait_dscnt 0x6
	v_pk_mul_f32 v[12:13], v[2:3], v[12:13]
	s_wait_dscnt 0x5
	v_pk_mul_f32 v[14:15], v[2:3], v[14:15]
	s_wait_dscnt 0x4
	v_pk_mul_f32 v[16:17], v[2:3], v[16:17]
	s_wait_dscnt 0x3
	v_pk_mul_f32 v[18:19], v[2:3], v[18:19]
	s_wait_dscnt 0x2
	v_pk_mul_f32 v[20:21], v[2:3], v[20:21]
	s_wait_dscnt 0x1
	v_pk_mul_f32 v[22:23], v[2:3], v[22:23]
	s_wait_dscnt 0x0
	v_pk_mul_f32 v[24:25], v[2:3], v[24:25]
	ds_store_2addr_stride64_b32 v7, v10, v11 offset1:2
	ds_store_2addr_stride64_b32 v7, v12, v13 offset0:4 offset1:6
	ds_store_2addr_stride64_b32 v7, v14, v15 offset0:8 offset1:10
	;; [unrolled: 1-line block ×7, first 2 shown]
	v_mov_b32_e32 v10, s25
	v_cmp_eq_u32_e32 vcc_lo, 0, v6
	v_add_nc_u32_e32 v7, 0x2000, v7
	s_or_b32 s24, vcc_lo, s24
	s_delay_alu instid0(SALU_CYCLE_1)
	s_and_not1_b32 exec_lo, exec_lo, s24
	s_cbranch_execnz .LBB128_36
; %bb.37:
	s_or_b32 exec_lo, exec_lo, s24
.LBB128_38:
	s_delay_alu instid0(SALU_CYCLE_1) | instskip(NEXT) | instid1(VALU_DEP_1)
	s_or_b32 exec_lo, exec_lo, s3
	v_and_b32_e32 v5, 7, v5
	s_mov_b32 s24, 0
	s_mov_b32 s3, exec_lo
	s_delay_alu instid0(VALU_DEP_1)
	v_cmpx_ne_u32_e32 0, v5
	s_cbranch_execz .LBB128_41
; %bb.39:
	v_dual_lshlrev_b32 v6, 9, v10 :: v_dual_lshlrev_b32 v7, 2, v0
	s_delay_alu instid0(VALU_DEP_1)
	v_add3_u32 v6, v6, v7, 0xc0
.LBB128_40:                             ; =>This Inner Loop Header: Depth=1
	ds_load_2addr_stride64_b32 v[10:11], v6 offset1:2
	v_add_nc_u32_e32 v5, -1, v5
	s_delay_alu instid0(VALU_DEP_1)
	v_cmp_eq_u32_e32 vcc_lo, 0, v5
	s_or_b32 s24, vcc_lo, s24
	s_wait_dscnt 0x0
	v_pk_mul_f32 v[10:11], v[2:3], v[10:11]
	ds_store_2addr_stride64_b32 v6, v10, v11 offset1:2
	v_add_nc_u32_e32 v6, 0x400, v6
	s_and_not1_b32 exec_lo, exec_lo, s24
	s_cbranch_execnz .LBB128_40
.LBB128_41:
	s_or_b32 exec_lo, exec_lo, s3
	v_add_nc_u32_e32 v3, 1, v4
	s_delay_alu instid0(VALU_DEP_1) | instskip(NEXT) | instid1(VALU_DEP_1)
	v_and_b32_e32 v4, 0x3fffffe, v3
	v_cmp_ne_u32_e32 vcc_lo, v3, v4
	v_lshl_add_u32 v3, v4, 7, v0
	s_or_not1_b32 s3, vcc_lo, exec_lo
.LBB128_42:
	s_or_b32 exec_lo, exec_lo, s1
	s_delay_alu instid0(SALU_CYCLE_1)
	s_and_b32 exec_lo, exec_lo, s3
	s_cbranch_execz .LBB128_45
; %bb.43:
	v_lshl_add_u32 v4, v3, 2, 0xc0
	s_mov_b32 s1, 0
.LBB128_44:                             ; =>This Inner Loop Header: Depth=1
	ds_load_b32 v5, v4
	v_add_nc_u32_e32 v3, 0x80, v3
	s_delay_alu instid0(VALU_DEP_1)
	v_cmp_le_i32_e32 vcc_lo, s15, v3
	s_or_b32 s1, vcc_lo, s1
	s_wait_dscnt 0x0
	v_mul_f32_e32 v5, v2, v5
	ds_store_b32 v4, v5
	v_add_nc_u32_e32 v4, 0x200, v4
	s_and_not1_b32 exec_lo, exec_lo, s1
	s_cbranch_execnz .LBB128_44
.LBB128_45:
	s_or_b32 exec_lo, exec_lo, s0
	v_dual_mov_b32 v32, 0 :: v_dual_mov_b32 v35, 0
	v_dual_mov_b32 v34, 0 :: v_dual_mov_b32 v44, 0
	s_wait_dscnt 0x0
	s_barrier_signal -1
	s_barrier_wait -1
	s_and_saveexec_b32 s1, s2
	s_cbranch_execz .LBB128_61
; %bb.46:
	s_abs_i32 s10, s10
	v_dual_lshlrev_b32 v4, 4, v0 :: v_dual_bitop2_b32 v45, 8, v9 bitop3:0x40
	s_cvt_f32_u32 s0, s10
	v_dual_mov_b32 v31, 0 :: v_dual_lshlrev_b32 v6, 5, v40
	s_ashr_i32 s15, s14, 31
	s_delay_alu instid0(SALU_CYCLE_1)
	v_rcp_iflag_f32_e32 v3, s0
	v_and_b32_e32 v2, 0x7c, v8
	v_and_b32_e32 v4, 0x1f0, v4
	v_mov_b32_e32 v5, v31
	s_lshl_b64 s[20:21], s[20:21], 2
	s_lshl_b64 s[14:15], s[14:15], 1
	v_lshl_or_b32 v6, v41, 6, v6
	v_readfirstlane_b32 s0, v3
	v_mov_b32_e32 v3, v31
	s_add_nc_u64 s[18:19], s[18:19], s[20:21]
	s_wait_kmcnt 0x0
	s_add_nc_u64 s[14:15], s[22:23], s[14:15]
	s_sub_co_i32 s24, s8, s9
	s_mul_f32 s0, s0, 0x4f7ffffe
	s_sub_co_i32 s8, 0, s10
	v_add_nc_u64_e32 v[36:37], s[14:15], v[4:5]
	v_add_nc_u64_e32 v[38:39], s[18:19], v[2:3]
	s_cvt_u32_f32 s0, s0
	v_dual_mov_b32 v47, v41 :: v_dual_add_nc_u32 v46, 0xc0, v6
	v_dual_mov_b32 v44, v31 :: v_dual_mov_b32 v34, v31
	s_delay_alu instid0(SALU_CYCLE_1)
	s_mul_i32 s8, s8, s0
	v_dual_mov_b32 v35, v31 :: v_dual_mov_b32 v32, v31
	v_mov_b32_e32 v33, v31
	s_mov_b32 s9, 0
	s_mul_hi_u32 s8, s0, s8
	s_ashr_i32 s3, s13, 31
	s_mov_b32 s2, s13
	s_add_co_i32 s13, s34, -1
	s_mov_b32 s14, s31
	s_add_co_i32 s8, s0, s8
	s_mov_b32 s15, s9
	s_branch .LBB128_49
.LBB128_47:                             ;   in Loop: Header=BB128_49 Depth=1
	s_or_b32 exec_lo, exec_lo, s0
	s_wait_dscnt 0x1
	v_cvt_pk_bf16_f32 v14, v14, v15
	v_cvt_pk_bf16_f32 v15, v16, v17
	s_wait_dscnt 0x0
	v_cvt_pk_bf16_f32 v10, v10, v11
	v_cvt_pk_bf16_f32 v12, v12, v13
	s_wait_loadcnt 0x1
	v_pk_mul_bf16 v11, v14, v26
	v_pk_mul_bf16 v16, v15, v27
	;; [unrolled: 1-line block ×5, first 2 shown]
	s_delay_alu instid0(VALU_DEP_4)
	v_dual_lshlrev_b32 v17, 16, v11 :: v_dual_lshlrev_b32 v26, 16, v16
	v_and_b32_e32 v11, 0xffff0000, v11
	v_and_b32_e32 v16, 0xffff0000, v16
	v_lshlrev_b32_e32 v28, 16, v13
	v_and_b32_e32 v13, 0xffff0000, v13
	v_pk_mul_bf16 v6, v14, v6
	s_delay_alu instid0(VALU_DEP_4) | instskip(SKIP_3) | instid1(VALU_DEP_3)
	v_dual_add_f32 v11, v17, v11 :: v_dual_add_f32 v16, v26, v16
	v_pk_mul_bf16 v17, v14, v18
	v_pk_mul_bf16 v18, v15, v19
	v_dual_lshlrev_b32 v19, 16, v27 :: v_dual_add_f32 v13, v28, v13
	v_dual_add_f32 v11, v16, v11 :: v_dual_lshlrev_b32 v26, 16, v17
	v_and_b32_e32 v16, 0xffff0000, v27
	v_and_b32_e32 v17, 0xffff0000, v17
	v_lshlrev_b32_e32 v27, 16, v18
	v_and_b32_e32 v18, 0xffff0000, v18
	s_delay_alu instid0(VALU_DEP_4) | instskip(NEXT) | instid1(VALU_DEP_4)
	v_dual_add_f32 v11, v13, v11 :: v_dual_add_f32 v13, v19, v16
	v_add_f32_e32 v16, v26, v17
	v_and_b32_e32 v19, 0xffff0000, v20
	s_delay_alu instid0(VALU_DEP_4)
	v_add_f32_e32 v17, v27, v18
	v_pk_mul_bf16 v7, v15, v7
	v_lshlrev_b32_e32 v18, 16, v20
	v_pk_mul_bf16 v20, v12, v21
	v_pk_mul_bf16 v8, v10, v8
	v_add_f32_e32 v16, v17, v16
	v_pk_mul_bf16 v2, v14, v2
	v_dual_add_f32 v17, v18, v19 :: v_dual_lshlrev_b32 v18, 16, v6
	v_and_b32_e32 v6, 0xffff0000, v6
	v_lshlrev_b32_e32 v19, 16, v7
	v_and_b32_e32 v7, 0xffff0000, v7
	s_delay_alu instid0(VALU_DEP_4) | instskip(NEXT) | instid1(VALU_DEP_4)
	v_add_f32_e32 v16, v17, v16
	v_dual_add_f32 v6, v18, v6 :: v_dual_lshlrev_b32 v17, 16, v20
	s_delay_alu instid0(VALU_DEP_3) | instskip(SKIP_4) | instid1(VALU_DEP_4)
	v_dual_add_f32 v7, v19, v7 :: v_dual_lshlrev_b32 v18, 16, v8
	v_and_b32_e32 v8, 0xffff0000, v8
	v_pk_mul_bf16 v3, v15, v3
	v_and_b32_e32 v19, 0xffff0000, v20
	v_pk_mul_bf16 v9, v12, v9
	v_dual_add_f32 v6, v7, v6 :: v_dual_add_f32 v7, v18, v8
	s_delay_alu instid0(VALU_DEP_4) | instskip(SKIP_2) | instid1(VALU_DEP_4)
	v_dual_lshlrev_b32 v8, 16, v2 :: v_dual_lshlrev_b32 v18, 16, v3
	v_and_b32_e32 v2, 0xffff0000, v2
	v_and_b32_e32 v3, 0xffff0000, v3
	v_dual_add_f32 v17, v17, v19 :: v_dual_add_f32 v6, v7, v6
	v_pk_mul_bf16 v4, v10, v4
	s_delay_alu instid0(VALU_DEP_3)
	v_dual_add_f32 v2, v8, v2 :: v_dual_add_f32 v3, v18, v3
	v_lshlrev_b32_e32 v7, 16, v9
	v_and_b32_e32 v8, 0xffff0000, v9
	s_wait_loadcnt 0x0
	v_pk_mul_bf16 v10, v10, v24
	v_pk_mul_bf16 v5, v12, v5
	v_add_f32_e32 v2, v3, v2
	v_pk_mul_bf16 v3, v14, v22
	v_pk_mul_bf16 v14, v15, v23
	v_lshlrev_b32_e32 v9, 16, v4
	v_and_b32_e32 v4, 0xffff0000, v4
	s_delay_alu instid0(VALU_DEP_4) | instskip(SKIP_1) | instid1(VALU_DEP_3)
	v_lshlrev_b32_e32 v15, 16, v3
	v_and_b32_e32 v3, 0xffff0000, v3
	v_dual_lshlrev_b32 v18, 16, v14 :: v_dual_add_f32 v4, v9, v4
	v_and_b32_e32 v14, 0xffff0000, v14
	v_pk_mul_bf16 v9, v12, v25
	s_delay_alu instid0(VALU_DEP_4) | instskip(SKIP_1) | instid1(VALU_DEP_4)
	v_dual_add_f32 v3, v3, v15 :: v_dual_lshlrev_b32 v12, 16, v10
	v_and_b32_e32 v10, 0xffff0000, v10
	v_dual_add_f32 v14, v14, v18 :: v_dual_lshlrev_b32 v15, 16, v5
	v_and_b32_e32 v5, 0xffff0000, v5
	s_delay_alu instid0(VALU_DEP_3) | instskip(NEXT) | instid1(VALU_DEP_3)
	v_dual_lshlrev_b32 v18, 16, v9 :: v_dual_add_f32 v10, v10, v12
	v_dual_add_f32 v2, v4, v2 :: v_dual_add_f32 v3, v14, v3
	v_and_b32_e32 v9, 0xffff0000, v9
	v_add_f32_e32 v7, v7, v8
	s_delay_alu instid0(VALU_DEP_3) | instskip(NEXT) | instid1(VALU_DEP_3)
	v_dual_add_f32 v4, v15, v5 :: v_dual_add_f32 v3, v10, v3
	v_add_f32_e32 v5, v9, v18
	s_delay_alu instid0(VALU_DEP_3) | instskip(NEXT) | instid1(VALU_DEP_3)
	v_dual_add_f32 v8, v13, v11 :: v_dual_add_f32 v6, v7, v6
	v_dual_add_f32 v9, v17, v16 :: v_dual_add_f32 v2, v4, v2
	s_delay_alu instid0(VALU_DEP_3) | instskip(NEXT) | instid1(VALU_DEP_3)
	v_add_f32_e32 v3, v5, v3
	v_dual_add_f32 v33, v33, v8 :: v_dual_add_f32 v35, v35, v6
	s_delay_alu instid0(VALU_DEP_3) | instskip(NEXT) | instid1(VALU_DEP_3)
	v_dual_add_f32 v32, v32, v9 :: v_dual_add_f32 v34, v34, v2
	v_add_f32_e32 v44, v44, v3
.LBB128_48:                             ;   in Loop: Header=BB128_49 Depth=1
	s_or_b32 exec_lo, exec_lo, s18
	v_dual_add_nc_u32 v47, 4, v47 :: v_dual_add_nc_u32 v30, 64, v30
	v_add_nc_u64_e32 v[38:39], 16, v[38:39]
	v_add_nc_u32_e32 v46, 0x100, v46
	s_delay_alu instid0(VALU_DEP_3) | instskip(SKIP_1) | instid1(SALU_CYCLE_1)
	v_cmp_le_i32_e32 vcc_lo, s34, v47
	s_or_b32 s15, vcc_lo, s15
	s_and_not1_b32 exec_lo, exec_lo, s15
	s_cbranch_execz .LBB128_60
.LBB128_49:                             ; =>This Inner Loop Header: Depth=1
	v_mul_u64_e32 v[2:3], s[16:17], v[30:31]
	s_delay_alu instid0(VALU_DEP_1) | instskip(NEXT) | instid1(VALU_DEP_1)
	v_mul_lo_u32 v2, v3, s12
	v_dual_add_nc_u32 v4, 1, v3 :: v_dual_sub_nc_u32 v2, v30, v2
	s_delay_alu instid0(VALU_DEP_1) | instskip(SKIP_1) | instid1(VALU_DEP_2)
	v_subrev_nc_u32_e32 v5, s12, v2
	v_cmp_le_u32_e32 vcc_lo, s12, v2
	v_dual_cndmask_b32 v3, v3, v4 :: v_dual_cndmask_b32 v2, v2, v5
	s_delay_alu instid0(VALU_DEP_1) | instskip(NEXT) | instid1(VALU_DEP_2)
	v_add_nc_u32_e32 v4, 1, v3
	v_cmp_le_u32_e32 vcc_lo, s12, v2
	s_delay_alu instid0(VALU_DEP_2) | instskip(NEXT) | instid1(VALU_DEP_1)
	v_cndmask_b32_e32 v2, v3, v4, vcc_lo
	v_dual_mov_b32 v3, v31 :: v_dual_bitop2_b32 v2, s11, v2 bitop3:0x14
	s_delay_alu instid0(VALU_DEP_1) | instskip(NEXT) | instid1(VALU_DEP_1)
	v_subrev_nc_u32_e32 v6, s11, v2
	v_add_nc_u32_e32 v7, s33, v6
	v_cmp_lt_i32_e64 s0, s24, v6
	s_delay_alu instid0(VALU_DEP_2) | instskip(NEXT) | instid1(VALU_DEP_1)
	v_sub_nc_u32_e32 v2, 0, v7
	v_max_i32_e32 v2, v7, v2
	s_delay_alu instid0(VALU_DEP_1) | instskip(SKIP_1) | instid1(VALU_DEP_2)
	v_mul_u64_e32 v[4:5], s[8:9], v[2:3]
	v_ashrrev_i32_e32 v4, 31, v7
	v_mul_lo_u32 v3, v5, s10
	s_delay_alu instid0(VALU_DEP_1) | instskip(NEXT) | instid1(VALU_DEP_1)
	v_sub_nc_u32_e32 v2, v2, v3
	v_subrev_nc_u32_e32 v3, s10, v2
	v_cmp_le_u32_e32 vcc_lo, s10, v2
	s_delay_alu instid0(VALU_DEP_2) | instskip(NEXT) | instid1(VALU_DEP_1)
	v_cndmask_b32_e32 v2, v2, v3, vcc_lo
	v_subrev_nc_u32_e32 v3, s10, v2
	v_cmp_le_u32_e32 vcc_lo, s10, v2
	s_delay_alu instid0(VALU_DEP_2) | instskip(NEXT) | instid1(VALU_DEP_1)
	v_cndmask_b32_e32 v2, v2, v3, vcc_lo
	v_xor_b32_e32 v2, v2, v4
	s_delay_alu instid0(VALU_DEP_1) | instskip(NEXT) | instid1(VALU_DEP_1)
	v_sub_nc_u32_e32 v2, v2, v4
	v_cmp_eq_u32_e32 vcc_lo, 0, v2
	s_or_b32 s0, vcc_lo, s0
	s_delay_alu instid0(SALU_CYCLE_1)
	s_and_saveexec_b32 s18, s0
	s_cbranch_execz .LBB128_48
; %bb.50:                               ;   in Loop: Header=BB128_49 Depth=1
	global_load_b32 v2, v[38:39], off
	v_add_nc_u32_e32 v55, v45, v30
	v_cmp_eq_u32_e32 vcc_lo, s13, v47
	s_delay_alu instid0(VALU_DEP_2)
	v_or_b32_e32 v52, 3, v55
	v_or_b32_e32 v54, 2, v55
	v_or_b32_e32 v49, 5, v55
	v_or_b32_e32 v51, 4, v55
	v_or_b32_e32 v48, 7, v55
	v_dual_add_nc_u32 v53, 1, v55 :: v_dual_bitop2_b32 v50, 6, v55 bitop3:0x54
	s_wait_loadcnt 0x0
	v_ashrrev_i32_e32 v3, 31, v2
	s_delay_alu instid0(VALU_DEP_1) | instskip(NEXT) | instid1(VALU_DEP_1)
	v_mul_u64_e32 v[2:3], s[2:3], v[2:3]
	v_lshl_add_u64 v[22:23], v[2:3], 1, v[36:37]
	global_load_b128 v[2:5], v[22:23], off
	ds_load_2addr_b64 v[14:17], v46 offset1:1
	ds_load_2addr_b64 v[10:13], v46 offset0:2 offset1:3
	s_wait_xcnt 0x0
	s_and_saveexec_b32 s19, vcc_lo
	s_cbranch_execnz .LBB128_55
; %bb.51:                               ;   in Loop: Header=BB128_49 Depth=1
	s_or_b32 exec_lo, exec_lo, s19
	global_load_b128 v[6:9], v[22:23], off offset:512
	s_wait_xcnt 0x0
	s_and_saveexec_b32 s19, vcc_lo
	s_cbranch_execnz .LBB128_56
.LBB128_52:                             ;   in Loop: Header=BB128_49 Depth=1
	s_or_b32 exec_lo, exec_lo, s19
	global_load_b128 v[18:21], v[22:23], off offset:1024
	s_wait_xcnt 0x0
	s_and_saveexec_b32 s19, vcc_lo
	s_cbranch_execnz .LBB128_57
.LBB128_53:                             ;   in Loop: Header=BB128_49 Depth=1
	s_or_b32 exec_lo, exec_lo, s19
	global_load_b128 v[26:29], v[22:23], off offset:1536
	s_wait_xcnt 0x0
	s_and_saveexec_b32 s19, vcc_lo
	s_cbranch_execnz .LBB128_58
.LBB128_54:                             ;   in Loop: Header=BB128_49 Depth=1
	s_or_b32 exec_lo, exec_lo, s19
	global_load_b128 v[22:25], v[22:23], off offset:2048
	s_wait_xcnt 0x0
	s_and_saveexec_b32 s0, vcc_lo
	s_cbranch_execz .LBB128_47
	s_branch .LBB128_59
.LBB128_55:                             ;   in Loop: Header=BB128_49 Depth=1
	v_cmp_gt_i32_e64 s0, s31, v55
	s_wait_loadcnt 0x0
	v_dual_lshrrev_b32 v6, 16, v2 :: v_dual_lshrrev_b32 v8, 16, v4
	s_delay_alu instid0(VALU_DEP_2) | instskip(SKIP_1) | instid1(VALU_DEP_1)
	v_cndmask_b32_e64 v2, 0, v2, s0
	v_cmp_gt_i32_e64 s0, s14, v53
	v_dual_lshrrev_b32 v7, 16, v3 :: v_dual_cndmask_b32 v6, 0, v6, s0
	v_cmp_gt_i32_e64 s0, s31, v54
	s_delay_alu instid0(VALU_DEP_2) | instskip(NEXT) | instid1(VALU_DEP_2)
	v_perm_b32 v2, v6, v2, 0x5040100
	v_cndmask_b32_e64 v3, 0, v3, s0
	v_cmp_gt_i32_e64 s0, s14, v52
	s_delay_alu instid0(VALU_DEP_1) | instskip(SKIP_1) | instid1(VALU_DEP_1)
	v_cndmask_b32_e64 v7, 0, v7, s0
	v_cmp_gt_i32_e64 s0, s31, v51
	v_cndmask_b32_e64 v4, 0, v4, s0
	v_cmp_gt_i32_e64 s0, s14, v49
	v_lshrrev_b32_e32 v9, 16, v5
	v_perm_b32 v3, v7, v3, 0x5040100
	s_delay_alu instid0(VALU_DEP_3) | instskip(SKIP_1) | instid1(VALU_DEP_2)
	v_cndmask_b32_e64 v8, 0, v8, s0
	v_cmp_gt_i32_e64 s0, s31, v50
	v_perm_b32 v4, v8, v4, 0x5040100
	s_delay_alu instid0(VALU_DEP_2) | instskip(SKIP_1) | instid1(VALU_DEP_1)
	v_cndmask_b32_e64 v5, 0, v5, s0
	v_cmp_gt_i32_e64 s0, s14, v48
	v_cndmask_b32_e64 v9, 0, v9, s0
	s_delay_alu instid0(VALU_DEP_1)
	v_perm_b32 v5, v9, v5, 0x5040100
	s_or_b32 exec_lo, exec_lo, s19
	global_load_b128 v[6:9], v[22:23], off offset:512
	s_wait_xcnt 0x0
	s_and_saveexec_b32 s19, vcc_lo
	s_cbranch_execz .LBB128_52
.LBB128_56:                             ;   in Loop: Header=BB128_49 Depth=1
	v_cmp_gt_i32_e64 s0, s31, v55
	s_wait_loadcnt 0x0
	v_dual_lshrrev_b32 v18, 16, v6 :: v_dual_lshrrev_b32 v20, 16, v8
	s_delay_alu instid0(VALU_DEP_2) | instskip(SKIP_1) | instid1(VALU_DEP_1)
	v_cndmask_b32_e64 v6, 0, v6, s0
	v_cmp_gt_i32_e64 s0, s14, v53
	v_dual_lshrrev_b32 v19, 16, v7 :: v_dual_cndmask_b32 v18, 0, v18, s0
	v_cmp_gt_i32_e64 s0, s31, v54
	s_delay_alu instid0(VALU_DEP_2) | instskip(NEXT) | instid1(VALU_DEP_2)
	v_perm_b32 v6, v18, v6, 0x5040100
	v_cndmask_b32_e64 v7, 0, v7, s0
	v_cmp_gt_i32_e64 s0, s14, v52
	s_delay_alu instid0(VALU_DEP_1) | instskip(SKIP_1) | instid1(VALU_DEP_1)
	v_cndmask_b32_e64 v19, 0, v19, s0
	v_cmp_gt_i32_e64 s0, s31, v51
	v_cndmask_b32_e64 v8, 0, v8, s0
	v_cmp_gt_i32_e64 s0, s14, v49
	v_lshrrev_b32_e32 v21, 16, v9
	v_perm_b32 v7, v19, v7, 0x5040100
	s_delay_alu instid0(VALU_DEP_3) | instskip(SKIP_1) | instid1(VALU_DEP_2)
	v_cndmask_b32_e64 v20, 0, v20, s0
	v_cmp_gt_i32_e64 s0, s31, v50
	v_perm_b32 v8, v20, v8, 0x5040100
	s_delay_alu instid0(VALU_DEP_2) | instskip(SKIP_1) | instid1(VALU_DEP_1)
	v_cndmask_b32_e64 v9, 0, v9, s0
	v_cmp_gt_i32_e64 s0, s14, v48
	v_cndmask_b32_e64 v21, 0, v21, s0
	s_delay_alu instid0(VALU_DEP_1)
	v_perm_b32 v9, v21, v9, 0x5040100
	s_or_b32 exec_lo, exec_lo, s19
	global_load_b128 v[18:21], v[22:23], off offset:1024
	s_wait_xcnt 0x0
	s_and_saveexec_b32 s19, vcc_lo
	s_cbranch_execz .LBB128_53
.LBB128_57:                             ;   in Loop: Header=BB128_49 Depth=1
	v_cmp_gt_i32_e64 s0, s31, v55
	s_wait_loadcnt 0x0
	s_delay_alu instid0(VALU_DEP_1) | instskip(SKIP_1) | instid1(VALU_DEP_1)
	v_dual_lshrrev_b32 v24, 16, v18 :: v_dual_cndmask_b32 v18, 0, v18, s0
	v_cmp_gt_i32_e64 s0, s14, v53
	v_dual_lshrrev_b32 v25, 16, v19 :: v_dual_cndmask_b32 v24, 0, v24, s0
	v_cmp_gt_i32_e64 s0, s31, v54
	s_delay_alu instid0(VALU_DEP_2) | instskip(NEXT) | instid1(VALU_DEP_2)
	v_perm_b32 v18, v24, v18, 0x5040100
	v_cndmask_b32_e64 v19, 0, v19, s0
	v_cmp_gt_i32_e64 s0, s14, v52
	s_delay_alu instid0(VALU_DEP_1) | instskip(SKIP_2) | instid1(VALU_DEP_3)
	v_cndmask_b32_e64 v25, 0, v25, s0
	v_cmp_gt_i32_e64 s0, s31, v51
	v_lshrrev_b32_e32 v26, 16, v20
	v_perm_b32 v19, v25, v19, 0x5040100
	s_delay_alu instid0(VALU_DEP_3) | instskip(SKIP_1) | instid1(VALU_DEP_1)
	v_cndmask_b32_e64 v20, 0, v20, s0
	v_cmp_gt_i32_e64 s0, s14, v49
	v_dual_lshrrev_b32 v27, 16, v21 :: v_dual_cndmask_b32 v26, 0, v26, s0
	v_cmp_gt_i32_e64 s0, s31, v50
	s_delay_alu instid0(VALU_DEP_2) | instskip(NEXT) | instid1(VALU_DEP_2)
	v_perm_b32 v20, v26, v20, 0x5040100
	v_cndmask_b32_e64 v21, 0, v21, s0
	v_cmp_gt_i32_e64 s0, s14, v48
	s_delay_alu instid0(VALU_DEP_1) | instskip(NEXT) | instid1(VALU_DEP_1)
	v_cndmask_b32_e64 v27, 0, v27, s0
	v_perm_b32 v21, v27, v21, 0x5040100
	s_or_b32 exec_lo, exec_lo, s19
	global_load_b128 v[26:29], v[22:23], off offset:1536
	s_wait_xcnt 0x0
	s_and_saveexec_b32 s19, vcc_lo
	s_cbranch_execz .LBB128_54
.LBB128_58:                             ;   in Loop: Header=BB128_49 Depth=1
	v_cmp_gt_i32_e64 s0, s31, v55
	s_wait_loadcnt 0x0
	s_delay_alu instid0(VALU_DEP_1) | instskip(SKIP_1) | instid1(VALU_DEP_1)
	v_dual_lshrrev_b32 v24, 16, v26 :: v_dual_cndmask_b32 v25, 0, v26, s0
	v_cmp_gt_i32_e64 s0, s14, v53
	v_dual_lshrrev_b32 v26, 16, v27 :: v_dual_cndmask_b32 v24, 0, v24, s0
	v_cmp_gt_i32_e64 s0, s31, v54
	s_delay_alu instid0(VALU_DEP_1) | instskip(SKIP_1) | instid1(VALU_DEP_1)
	v_cndmask_b32_e64 v27, 0, v27, s0
	v_cmp_gt_i32_e64 s0, s14, v52
	v_cndmask_b32_e64 v56, 0, v26, s0
	v_cmp_gt_i32_e64 s0, s31, v51
	v_lshrrev_b32_e32 v26, 16, v28
	s_delay_alu instid0(VALU_DEP_3) | instskip(NEXT) | instid1(VALU_DEP_3)
	v_perm_b32 v27, v56, v27, 0x5040100
	v_cndmask_b32_e64 v28, 0, v28, s0
	v_cmp_gt_i32_e64 s0, s14, v49
	s_delay_alu instid0(VALU_DEP_1) | instskip(SKIP_2) | instid1(VALU_DEP_3)
	v_dual_lshrrev_b32 v57, 16, v29 :: v_dual_cndmask_b32 v58, 0, v26, s0
	v_cmp_gt_i32_e64 s0, s31, v50
	v_perm_b32 v26, v24, v25, 0x5040100
	v_perm_b32 v28, v58, v28, 0x5040100
	s_delay_alu instid0(VALU_DEP_3) | instskip(SKIP_1) | instid1(VALU_DEP_1)
	v_cndmask_b32_e64 v29, 0, v29, s0
	v_cmp_gt_i32_e64 s0, s14, v48
	v_cndmask_b32_e64 v57, 0, v57, s0
	s_delay_alu instid0(VALU_DEP_1)
	v_perm_b32 v29, v57, v29, 0x5040100
	s_or_b32 exec_lo, exec_lo, s19
	global_load_b128 v[22:25], v[22:23], off offset:2048
	s_wait_xcnt 0x0
	s_and_saveexec_b32 s0, vcc_lo
	s_cbranch_execz .LBB128_47
.LBB128_59:                             ;   in Loop: Header=BB128_49 Depth=1
	v_cmp_gt_i32_e32 vcc_lo, s31, v55
	s_wait_loadcnt 0x0
	v_dual_lshrrev_b32 v56, 16, v22 :: v_dual_cndmask_b32 v22, 0, v22, vcc_lo
	v_cmp_gt_i32_e32 vcc_lo, s14, v53
	s_delay_alu instid0(VALU_DEP_2) | instskip(SKIP_2) | instid1(VALU_DEP_3)
	v_dual_lshrrev_b32 v55, 16, v23 :: v_dual_cndmask_b32 v53, 0, v56, vcc_lo
	v_cmp_gt_i32_e32 vcc_lo, s31, v54
	v_lshrrev_b32_e32 v54, 16, v24
	v_perm_b32 v22, v53, v22, 0x5040100
	v_cndmask_b32_e32 v23, 0, v23, vcc_lo
	v_cmp_gt_i32_e32 vcc_lo, s14, v52
	v_cndmask_b32_e32 v52, 0, v55, vcc_lo
	v_cmp_gt_i32_e32 vcc_lo, s31, v51
	;; [unrolled: 2-line block ×3, first 2 shown]
	v_lshrrev_b32_e32 v51, 16, v25
	v_perm_b32 v23, v52, v23, 0x5040100
	v_cndmask_b32_e32 v49, 0, v54, vcc_lo
	v_cmp_gt_i32_e32 vcc_lo, s31, v50
	s_delay_alu instid0(VALU_DEP_2) | instskip(SKIP_3) | instid1(VALU_DEP_1)
	v_perm_b32 v24, v49, v24, 0x5040100
	v_cndmask_b32_e32 v25, 0, v25, vcc_lo
	v_cmp_gt_i32_e32 vcc_lo, s14, v48
	v_cndmask_b32_e32 v48, 0, v51, vcc_lo
	v_perm_b32 v25, v48, v25, 0x5040100
	s_branch .LBB128_47
.LBB128_60:
	s_or_b32 exec_lo, exec_lo, s15
.LBB128_61:
	s_delay_alu instid0(SALU_CYCLE_1)
	s_or_b32 exec_lo, exec_lo, s1
	ds_bpermute_b32 v2, v43, v34
	ds_bpermute_b32 v3, v43, v35
	;; [unrolled: 1-line block ×5, first 2 shown]
	v_and_b32_e32 v10, 0x3c1, v0
	v_lshrrev_b32_e32 v7, 1, v42
	s_mov_b32 s0, exec_lo
	s_wait_dscnt 0x0
	s_barrier_signal -1
	s_barrier_wait -1
	v_pk_add_f32 v[4:5], v[34:35], v[2:3]
	v_pk_add_f32 v[2:3], v[32:33], v[8:9]
	v_cmpx_ne_u32_e32 64, v10
	s_xor_b32 s0, exec_lo, s0
	s_delay_alu instid0(SALU_CYCLE_1)
	s_or_saveexec_b32 s0, s0
	v_add_f32_e32 v6, v44, v6
	v_lshl_add_u32 v8, v7, 2, 0xc0
	v_mul_u32_u24_e32 v9, 0x140, v41
	s_xor_b32 exec_lo, exec_lo, s0
	s_cbranch_execz .LBB128_63
; %bb.62:
	s_delay_alu instid0(VALU_DEP_1) | instskip(NEXT) | instid1(VALU_DEP_1)
	v_add_nc_u32_e32 v10, v8, v9
	v_add_nc_u32_e32 v11, 0xfffffd80, v10
	;; [unrolled: 1-line block ×6, first 2 shown]
	ds_store_b32 v11, v4
	ds_store_b32 v12, v5
	ds_store_b32 v13, v2
	ds_store_b32 v14, v3
	ds_store_b32 v10, v6
.LBB128_63:
	s_or_b32 exec_lo, exec_lo, s0
	v_lshlrev_b32_e32 v7, 2, v7
	s_mov_b32 s1, exec_lo
	v_cmp_eq_u32_e32 vcc_lo, 0, v40
	s_wait_dscnt 0x0
	s_barrier_signal -1
	v_add3_u32 v7, 0xc0, v9, v7
	s_barrier_wait -1
	v_cmpx_gt_u32_e32 64, v0
	s_cbranch_execz .LBB128_71
; %bb.64:
	s_and_saveexec_b32 s0, vcc_lo
	s_cbranch_execnz .LBB128_84
; %bb.65:
	s_or_b32 exec_lo, exec_lo, s0
	s_and_saveexec_b32 s0, vcc_lo
	s_cbranch_execnz .LBB128_85
.LBB128_66:
	s_or_b32 exec_lo, exec_lo, s0
	s_and_saveexec_b32 s0, vcc_lo
	s_cbranch_execnz .LBB128_86
.LBB128_67:
	s_or_b32 exec_lo, exec_lo, s0
	s_and_saveexec_b32 s0, vcc_lo
	s_cbranch_execnz .LBB128_87
.LBB128_68:
	s_or_b32 exec_lo, exec_lo, s0
	s_and_saveexec_b32 s0, vcc_lo
	s_cbranch_execz .LBB128_70
.LBB128_69:
	ds_load_b32 v9, v7 offset:256
	s_wait_dscnt 0x0
	v_add_f32_e32 v6, v6, v9
.LBB128_70:
	s_or_b32 exec_lo, exec_lo, s0
.LBB128_71:
	s_delay_alu instid0(SALU_CYCLE_1) | instskip(SKIP_4) | instid1(VALU_DEP_1)
	s_or_b32 exec_lo, exec_lo, s1
	v_and_b32_e32 v9, 0x3e1, v0
	s_mov_b32 s1, exec_lo
	s_barrier_signal -1
	s_barrier_wait -1
	v_cmpx_eq_u32_e32 32, v9
	s_cbranch_execz .LBB128_73
; %bb.72:
	ds_store_2addr_b32 v8, v4, v5 offset1:16
	ds_store_2addr_b32 v8, v2, v3 offset0:32 offset1:48
	ds_store_b32 v8, v6 offset:256
.LBB128_73:
	s_or_b32 exec_lo, exec_lo, s1
	s_delay_alu instid0(SALU_CYCLE_1)
	s_mov_b32 s1, exec_lo
	s_wait_dscnt 0x0
	s_barrier_signal -1
	s_barrier_wait -1
	v_cmpx_gt_u32_e32 32, v0
	s_cbranch_execz .LBB128_81
; %bb.74:
	s_and_saveexec_b32 s0, vcc_lo
	s_cbranch_execnz .LBB128_88
; %bb.75:
	s_or_b32 exec_lo, exec_lo, s0
	s_and_saveexec_b32 s0, vcc_lo
	s_cbranch_execnz .LBB128_89
.LBB128_76:
	s_or_b32 exec_lo, exec_lo, s0
	s_and_saveexec_b32 s0, vcc_lo
	s_cbranch_execnz .LBB128_90
.LBB128_77:
	s_or_b32 exec_lo, exec_lo, s0
	s_and_saveexec_b32 s0, vcc_lo
	s_cbranch_execnz .LBB128_91
.LBB128_78:
	s_or_b32 exec_lo, exec_lo, s0
	s_and_saveexec_b32 s0, vcc_lo
	s_cbranch_execz .LBB128_80
.LBB128_79:
	ds_load_b32 v0, v7 offset:256
	s_wait_dscnt 0x0
	v_add_f32_e32 v6, v6, v0
.LBB128_80:
	s_or_b32 exec_lo, exec_lo, s0
.LBB128_81:
	s_delay_alu instid0(SALU_CYCLE_1)
	s_or_b32 exec_lo, exec_lo, s1
	s_mov_b32 s1, 0
	s_barrier_signal -1
	s_barrier_wait -1
	s_mov_b32 s0, exec_lo
	v_cmpx_eq_u32_e32 0, v9
	s_cbranch_execz .LBB128_83
; %bb.82:
	s_mul_i32 s0, s30, s7
	s_mul_i32 s2, s7, s6
	;; [unrolled: 1-line block ×3, first 2 shown]
	s_lshr_b32 s8, ttmp7, 16
	s_mul_i32 s6, s0, 0x50
	s_bfe_u32 s0, ttmp6, 0x40014
	s_ashr_i32 s7, s6, 31
	s_add_co_i32 s0, s0, 1
	s_ashr_i32 s3, s2, 31
	s_mul_i32 s0, s8, s0
	s_bfe_u32 s9, ttmp6, 0x40008
	s_lshl_b64 s[6:7], s[6:7], 1
	s_lshl_b64 s[2:3], s[2:3], 1
	s_add_co_i32 s9, s9, s0
	s_cmp_eq_u32 s28, 0
	s_wait_kmcnt 0x0
	s_add_nc_u64 s[4:5], s[4:5], s[6:7]
	s_cselect_b32 s0, s8, s9
	s_add_nc_u64 s[2:3], s[4:5], s[2:3]
	s_mulk_i32 s0, 0xa0
	s_delay_alu instid0(SALU_CYCLE_1) | instskip(NEXT) | instid1(SALU_CYCLE_1)
	s_add_nc_u64 s[0:1], s[2:3], s[0:1]
	v_cvt_pk_bf16_f32 v0, v4, s0
	v_cvt_pk_bf16_f32 v4, v5, s0
	;; [unrolled: 1-line block ×5, first 2 shown]
	s_clause 0x4
	global_store_b16 v1, v0, s[0:1] scale_offset
	global_store_b16 v1, v4, s[0:1] offset:32 scale_offset
	global_store_b16 v1, v2, s[0:1] offset:64 scale_offset
	;; [unrolled: 1-line block ×4, first 2 shown]
.LBB128_83:
	s_endpgm
.LBB128_84:
	ds_load_b32 v9, v7
	s_wait_dscnt 0x0
	v_add_f32_e32 v4, v4, v9
	s_or_b32 exec_lo, exec_lo, s0
	s_and_saveexec_b32 s0, vcc_lo
	s_cbranch_execz .LBB128_66
.LBB128_85:
	ds_load_b32 v9, v7 offset:64
	s_wait_dscnt 0x0
	v_add_f32_e32 v5, v5, v9
	s_or_b32 exec_lo, exec_lo, s0
	s_and_saveexec_b32 s0, vcc_lo
	s_cbranch_execz .LBB128_67
.LBB128_86:
	ds_load_b32 v9, v7 offset:128
	s_wait_dscnt 0x0
	v_add_f32_e32 v2, v2, v9
	s_or_b32 exec_lo, exec_lo, s0
	s_and_saveexec_b32 s0, vcc_lo
	s_cbranch_execz .LBB128_68
.LBB128_87:
	ds_load_b32 v9, v7 offset:192
	s_wait_dscnt 0x0
	v_add_f32_e32 v3, v3, v9
	s_or_b32 exec_lo, exec_lo, s0
	s_and_saveexec_b32 s0, vcc_lo
	s_cbranch_execnz .LBB128_69
	s_branch .LBB128_70
.LBB128_88:
	ds_load_b32 v0, v7
	s_wait_dscnt 0x0
	v_add_f32_e32 v4, v4, v0
	s_or_b32 exec_lo, exec_lo, s0
	s_and_saveexec_b32 s0, vcc_lo
	s_cbranch_execz .LBB128_76
.LBB128_89:
	ds_load_b32 v0, v7 offset:64
	s_wait_dscnt 0x0
	v_add_f32_e32 v5, v5, v0
	s_or_b32 exec_lo, exec_lo, s0
	s_and_saveexec_b32 s0, vcc_lo
	s_cbranch_execz .LBB128_77
.LBB128_90:
	ds_load_b32 v0, v7 offset:128
	s_wait_dscnt 0x0
	v_add_f32_e32 v2, v2, v0
	s_or_b32 exec_lo, exec_lo, s0
	s_and_saveexec_b32 s0, vcc_lo
	s_cbranch_execz .LBB128_78
.LBB128_91:
	ds_load_b32 v0, v7 offset:192
	s_wait_dscnt 0x0
	v_add_f32_e32 v3, v3, v0
	s_or_b32 exec_lo, exec_lo, s0
	s_and_saveexec_b32 s0, vcc_lo
	s_cbranch_execnz .LBB128_79
	s_branch .LBB128_80
	.section	.rodata,"a",@progbits
	.p2align	6, 0x0
	.amdhsa_kernel _ZN4vllm25paged_attention_v1_kernelI14__hip_bfloat16S1_Li80ELi16ELi128ELNS_18Fp8KVCacheDataTypeE0ELb1EEEvPT_PKS3_PKT0_S9_ifPKiSB_iPKfiiiSD_SD_iiiii
		.amdhsa_group_segment_fixed_size 192
		.amdhsa_private_segment_fixed_size 0
		.amdhsa_kernarg_size 384
		.amdhsa_user_sgpr_count 2
		.amdhsa_user_sgpr_dispatch_ptr 0
		.amdhsa_user_sgpr_queue_ptr 0
		.amdhsa_user_sgpr_kernarg_segment_ptr 1
		.amdhsa_user_sgpr_dispatch_id 0
		.amdhsa_user_sgpr_kernarg_preload_length 0
		.amdhsa_user_sgpr_kernarg_preload_offset 0
		.amdhsa_user_sgpr_private_segment_size 0
		.amdhsa_wavefront_size32 1
		.amdhsa_uses_dynamic_stack 0
		.amdhsa_enable_private_segment 0
		.amdhsa_system_sgpr_workgroup_id_x 1
		.amdhsa_system_sgpr_workgroup_id_y 1
		.amdhsa_system_sgpr_workgroup_id_z 1
		.amdhsa_system_sgpr_workgroup_info 0
		.amdhsa_system_vgpr_workitem_id 0
		.amdhsa_next_free_vgpr 60
		.amdhsa_next_free_sgpr 40
		.amdhsa_named_barrier_count 0
		.amdhsa_reserve_vcc 1
		.amdhsa_float_round_mode_32 0
		.amdhsa_float_round_mode_16_64 0
		.amdhsa_float_denorm_mode_32 3
		.amdhsa_float_denorm_mode_16_64 3
		.amdhsa_fp16_overflow 0
		.amdhsa_memory_ordered 1
		.amdhsa_forward_progress 1
		.amdhsa_inst_pref_size 58
		.amdhsa_round_robin_scheduling 0
		.amdhsa_exception_fp_ieee_invalid_op 0
		.amdhsa_exception_fp_denorm_src 0
		.amdhsa_exception_fp_ieee_div_zero 0
		.amdhsa_exception_fp_ieee_overflow 0
		.amdhsa_exception_fp_ieee_underflow 0
		.amdhsa_exception_fp_ieee_inexact 0
		.amdhsa_exception_int_div_zero 0
	.end_amdhsa_kernel
	.section	.text._ZN4vllm25paged_attention_v1_kernelI14__hip_bfloat16S1_Li80ELi16ELi128ELNS_18Fp8KVCacheDataTypeE0ELb1EEEvPT_PKS3_PKT0_S9_ifPKiSB_iPKfiiiSD_SD_iiiii,"axG",@progbits,_ZN4vllm25paged_attention_v1_kernelI14__hip_bfloat16S1_Li80ELi16ELi128ELNS_18Fp8KVCacheDataTypeE0ELb1EEEvPT_PKS3_PKT0_S9_ifPKiSB_iPKfiiiSD_SD_iiiii,comdat
.Lfunc_end128:
	.size	_ZN4vllm25paged_attention_v1_kernelI14__hip_bfloat16S1_Li80ELi16ELi128ELNS_18Fp8KVCacheDataTypeE0ELb1EEEvPT_PKS3_PKT0_S9_ifPKiSB_iPKfiiiSD_SD_iiiii, .Lfunc_end128-_ZN4vllm25paged_attention_v1_kernelI14__hip_bfloat16S1_Li80ELi16ELi128ELNS_18Fp8KVCacheDataTypeE0ELb1EEEvPT_PKS3_PKT0_S9_ifPKiSB_iPKfiiiSD_SD_iiiii
                                        ; -- End function
	.set _ZN4vllm25paged_attention_v1_kernelI14__hip_bfloat16S1_Li80ELi16ELi128ELNS_18Fp8KVCacheDataTypeE0ELb1EEEvPT_PKS3_PKT0_S9_ifPKiSB_iPKfiiiSD_SD_iiiii.num_vgpr, 60
	.set _ZN4vllm25paged_attention_v1_kernelI14__hip_bfloat16S1_Li80ELi16ELi128ELNS_18Fp8KVCacheDataTypeE0ELb1EEEvPT_PKS3_PKT0_S9_ifPKiSB_iPKfiiiSD_SD_iiiii.num_agpr, 0
	.set _ZN4vllm25paged_attention_v1_kernelI14__hip_bfloat16S1_Li80ELi16ELi128ELNS_18Fp8KVCacheDataTypeE0ELb1EEEvPT_PKS3_PKT0_S9_ifPKiSB_iPKfiiiSD_SD_iiiii.numbered_sgpr, 40
	.set _ZN4vllm25paged_attention_v1_kernelI14__hip_bfloat16S1_Li80ELi16ELi128ELNS_18Fp8KVCacheDataTypeE0ELb1EEEvPT_PKS3_PKT0_S9_ifPKiSB_iPKfiiiSD_SD_iiiii.num_named_barrier, 0
	.set _ZN4vllm25paged_attention_v1_kernelI14__hip_bfloat16S1_Li80ELi16ELi128ELNS_18Fp8KVCacheDataTypeE0ELb1EEEvPT_PKS3_PKT0_S9_ifPKiSB_iPKfiiiSD_SD_iiiii.private_seg_size, 0
	.set _ZN4vllm25paged_attention_v1_kernelI14__hip_bfloat16S1_Li80ELi16ELi128ELNS_18Fp8KVCacheDataTypeE0ELb1EEEvPT_PKS3_PKT0_S9_ifPKiSB_iPKfiiiSD_SD_iiiii.uses_vcc, 1
	.set _ZN4vllm25paged_attention_v1_kernelI14__hip_bfloat16S1_Li80ELi16ELi128ELNS_18Fp8KVCacheDataTypeE0ELb1EEEvPT_PKS3_PKT0_S9_ifPKiSB_iPKfiiiSD_SD_iiiii.uses_flat_scratch, 0
	.set _ZN4vllm25paged_attention_v1_kernelI14__hip_bfloat16S1_Li80ELi16ELi128ELNS_18Fp8KVCacheDataTypeE0ELb1EEEvPT_PKS3_PKT0_S9_ifPKiSB_iPKfiiiSD_SD_iiiii.has_dyn_sized_stack, 0
	.set _ZN4vllm25paged_attention_v1_kernelI14__hip_bfloat16S1_Li80ELi16ELi128ELNS_18Fp8KVCacheDataTypeE0ELb1EEEvPT_PKS3_PKT0_S9_ifPKiSB_iPKfiiiSD_SD_iiiii.has_recursion, 0
	.set _ZN4vllm25paged_attention_v1_kernelI14__hip_bfloat16S1_Li80ELi16ELi128ELNS_18Fp8KVCacheDataTypeE0ELb1EEEvPT_PKS3_PKT0_S9_ifPKiSB_iPKfiiiSD_SD_iiiii.has_indirect_call, 0
	.section	.AMDGPU.csdata,"",@progbits
; Kernel info:
; codeLenInByte = 7308
; TotalNumSgprs: 42
; NumVgprs: 60
; ScratchSize: 0
; MemoryBound: 0
; FloatMode: 240
; IeeeMode: 1
; LDSByteSize: 192 bytes/workgroup (compile time only)
; SGPRBlocks: 0
; VGPRBlocks: 3
; NumSGPRsForWavesPerEU: 42
; NumVGPRsForWavesPerEU: 60
; NamedBarCnt: 0
; Occupancy: 16
; WaveLimiterHint : 1
; COMPUTE_PGM_RSRC2:SCRATCH_EN: 0
; COMPUTE_PGM_RSRC2:USER_SGPR: 2
; COMPUTE_PGM_RSRC2:TRAP_HANDLER: 0
; COMPUTE_PGM_RSRC2:TGID_X_EN: 1
; COMPUTE_PGM_RSRC2:TGID_Y_EN: 1
; COMPUTE_PGM_RSRC2:TGID_Z_EN: 1
; COMPUTE_PGM_RSRC2:TIDIG_COMP_CNT: 0
	.section	.text._ZN4vllm25paged_attention_v1_kernelI14__hip_bfloat16S1_Li96ELi16ELi128ELNS_18Fp8KVCacheDataTypeE0ELb1EEEvPT_PKS3_PKT0_S9_ifPKiSB_iPKfiiiSD_SD_iiiii,"axG",@progbits,_ZN4vllm25paged_attention_v1_kernelI14__hip_bfloat16S1_Li96ELi16ELi128ELNS_18Fp8KVCacheDataTypeE0ELb1EEEvPT_PKS3_PKT0_S9_ifPKiSB_iPKfiiiSD_SD_iiiii,comdat
	.protected	_ZN4vllm25paged_attention_v1_kernelI14__hip_bfloat16S1_Li96ELi16ELi128ELNS_18Fp8KVCacheDataTypeE0ELb1EEEvPT_PKS3_PKT0_S9_ifPKiSB_iPKfiiiSD_SD_iiiii ; -- Begin function _ZN4vllm25paged_attention_v1_kernelI14__hip_bfloat16S1_Li96ELi16ELi128ELNS_18Fp8KVCacheDataTypeE0ELb1EEEvPT_PKS3_PKT0_S9_ifPKiSB_iPKfiiiSD_SD_iiiii
	.globl	_ZN4vllm25paged_attention_v1_kernelI14__hip_bfloat16S1_Li96ELi16ELi128ELNS_18Fp8KVCacheDataTypeE0ELb1EEEvPT_PKS3_PKT0_S9_ifPKiSB_iPKfiiiSD_SD_iiiii
	.p2align	8
	.type	_ZN4vllm25paged_attention_v1_kernelI14__hip_bfloat16S1_Li96ELi16ELi128ELNS_18Fp8KVCacheDataTypeE0ELb1EEEvPT_PKS3_PKT0_S9_ifPKiSB_iPKfiiiSD_SD_iiiii,@function
_ZN4vllm25paged_attention_v1_kernelI14__hip_bfloat16S1_Li96ELi16ELi128ELNS_18Fp8KVCacheDataTypeE0ELb1EEEvPT_PKS3_PKT0_S9_ifPKiSB_iPKfiiiSD_SD_iiiii: ; @_ZN4vllm25paged_attention_v1_kernelI14__hip_bfloat16S1_Li96ELi16ELi128ELNS_18Fp8KVCacheDataTypeE0ELb1EEEvPT_PKS3_PKT0_S9_ifPKiSB_iPKfiiiSD_SD_iiiii
; %bb.0:
	s_load_b64 s[22:23], s[0:1], 0x20
	s_bfe_u32 s3, ttmp6, 0x4000c
	s_bfe_u32 s4, ttmp6, 0x40010
	s_and_b32 s6, ttmp7, 0xffff
	s_add_co_i32 s3, s3, 1
	s_add_co_i32 s4, s4, 1
	s_and_b32 s2, ttmp6, 15
	s_bfe_u32 s5, ttmp6, 0x40004
	s_mul_i32 s3, ttmp9, s3
	s_mul_i32 s4, s6, s4
	s_getreg_b32 s28, hwreg(HW_REG_IB_STS2, 6, 4)
	s_add_co_i32 s2, s2, s3
	s_add_co_i32 s3, s5, s4
	s_cmp_eq_u32 s28, 0
	s_clause 0x1
	s_load_b32 s29, s[0:1], 0x80
	s_load_b64 s[4:5], s[0:1], 0x30
	s_cselect_b32 s30, s6, s3
	s_cselect_b32 s2, ttmp9, s2
	s_mov_b32 s17, 0
	s_delay_alu instid0(SALU_CYCLE_1) | instskip(SKIP_2) | instid1(SALU_CYCLE_1)
	s_mov_b32 s35, s17
	s_wait_kmcnt 0x0
	s_abs_i32 s3, s22
	s_cvt_f32_u32 s6, s3
	s_sub_co_i32 s7, 0, s3
	s_delay_alu instid0(SALU_CYCLE_2) | instskip(SKIP_2) | instid1(TRANS32_DEP_1)
	v_rcp_iflag_f32_e32 v1, s6
	s_abs_i32 s8, s29
	v_nop
	v_readfirstlane_b32 s6, v1
	s_mul_f32 s6, s6, 0x4f7ffffe
	s_delay_alu instid0(SALU_CYCLE_3) | instskip(NEXT) | instid1(SALU_CYCLE_3)
	s_cvt_u32_f32 s6, s6
	s_mul_i32 s7, s7, s6
	s_delay_alu instid0(SALU_CYCLE_1) | instskip(NEXT) | instid1(SALU_CYCLE_1)
	s_mul_hi_u32 s7, s6, s7
	s_add_co_i32 s6, s6, s7
	s_xor_b32 s7, s29, s22
	s_mul_hi_u32 s6, s8, s6
	s_ashr_i32 s7, s7, 31
	s_mul_i32 s9, s6, s3
	s_delay_alu instid0(SALU_CYCLE_1)
	s_sub_co_i32 s8, s8, s9
	s_add_co_i32 s9, s6, 1
	s_sub_co_i32 s10, s8, s3
	s_cmp_ge_u32 s8, s3
	s_cselect_b32 s6, s9, s6
	s_cselect_b32 s8, s10, s8
	s_add_co_i32 s9, s6, 1
	s_cmp_ge_u32 s8, s3
	s_cselect_b32 s3, s9, s6
	s_load_b64 s[8:9], s[0:1], 0x40
	s_xor_b32 s3, s3, s7
	s_abs_i32 s16, s2
	s_sub_co_i32 s10, s3, s7
	s_mov_b32 s7, s17
	s_abs_i32 s15, s10
	s_delay_alu instid0(SALU_CYCLE_1) | instskip(SKIP_1) | instid1(SALU_CYCLE_2)
	s_cvt_f32_u32 s3, s15
	s_sub_co_i32 s6, 0, s15
	v_rcp_iflag_f32_e32 v1, s3
	v_nop
	s_delay_alu instid0(TRANS32_DEP_1) | instskip(SKIP_1) | instid1(SALU_CYCLE_3)
	v_readfirstlane_b32 s3, v1
	s_mul_f32 s3, s3, 0x4f7ffffe
	s_cvt_u32_f32 s3, s3
	s_delay_alu instid0(SALU_CYCLE_3) | instskip(NEXT) | instid1(SALU_CYCLE_1)
	s_mul_i32 s6, s6, s3
	s_mul_hi_u32 s6, s3, s6
	s_delay_alu instid0(SALU_CYCLE_1)
	s_add_co_i32 s6, s3, s6
	s_wait_kmcnt 0x0
	s_cmp_eq_u64 s[8:9], 0
	s_cbranch_scc1 .LBB129_2
; %bb.1:
	s_ashr_i32 s3, s2, 31
	s_delay_alu instid0(SALU_CYCLE_1) | instskip(NEXT) | instid1(SALU_CYCLE_1)
	s_lshl_b64 s[12:13], s[2:3], 2
	s_add_nc_u64 s[8:9], s[8:9], s[12:13]
	s_load_b32 s35, s[8:9], 0x0
.LBB129_2:
	s_load_b32 s31, s[4:5], s30 offset:0x0 scale_offset
	s_load_b96 s[12:14], s[0:1], 0x48
	v_dual_lshrrev_b32 v1, 1, v0 :: v_dual_bitop2_b32 v46, 1, v0 bitop3:0x40
	s_wait_xcnt 0x0
	s_mul_u64 s[4:5], s[16:17], s[6:7]
	s_ashr_i32 s3, s2, 31
	s_ashr_i32 s18, s10, 31
	s_mul_i32 s6, s2, 0x60
	s_mov_b32 s4, exec_lo
	v_cmpx_gt_u32_e32 24, v0
	s_cbranch_execz .LBB129_4
; %bb.3:
	s_load_b64 s[8:9], s[0:1], 0x8
	s_wait_kmcnt 0x0
	s_mul_i32 s10, s12, s30
	s_ashr_i32 s7, s6, 31
	s_ashr_i32 s11, s10, 31
	v_lshlrev_b32_e32 v4, 3, v1
	s_lshl_b64 s[10:11], s[10:11], 1
	s_delay_alu instid0(VALU_DEP_1) | instskip(SKIP_2) | instid1(SALU_CYCLE_1)
	v_mad_u32_u24 v4, 0x60, v46, v4
	s_add_nc_u64 s[8:9], s[8:9], s[10:11]
	s_lshl_b64 s[10:11], s[6:7], 1
	s_add_nc_u64 s[8:9], s[8:9], s[10:11]
	global_load_b64 v[2:3], v0, s[8:9] scale_offset
	s_wait_loadcnt 0x0
	ds_store_b64 v4, v[2:3]
.LBB129_4:
	s_or_b32 exec_lo, exec_lo, s4
	s_load_b128 s[8:11], s[0:1], 0x68
	s_mul_i32 s4, s5, s15
	s_xor_b32 s3, s3, s18
	s_sub_co_i32 s4, s16, s4
	s_add_co_i32 s7, s5, 1
	s_wait_kmcnt 0x0
	s_sub_co_i32 s12, s4, s15
	s_cmp_ge_u32 s4, s15
	s_mov_b32 s18, -1
	s_cselect_b32 s5, s7, s5
	s_cselect_b32 s4, s12, s4
	s_add_co_i32 s12, s5, 1
	s_cmp_ge_u32 s4, s15
	s_load_b32 s7, s[0:1], 0x78
	s_cselect_b32 s4, s12, s5
	s_add_co_i32 s15, s31, -1
	s_xor_b32 s4, s4, s3
	s_wait_dscnt 0x0
	s_sub_co_i32 s3, s4, s3
	s_barrier_signal -1
	s_barrier_wait -1
	s_abs_i32 s12, s11
	s_delay_alu instid0(SALU_CYCLE_1) | instskip(NEXT) | instid1(SALU_CYCLE_3)
	s_cvt_f32_u32 s5, s12
                                        ; implicit-def: $sgpr33
	v_rcp_iflag_f32_e32 v2, s5
	v_nop
	s_delay_alu instid0(TRANS32_DEP_1) | instskip(SKIP_1) | instid1(SALU_CYCLE_3)
	v_readfirstlane_b32 s5, v2
	s_mul_f32 s4, s5, 0x4f7ffffe
	s_cvt_u32_f32 s16, s4
	s_sub_co_i32 s4, 0, s12
	s_delay_alu instid0(SALU_CYCLE_2)
	s_mul_i32 s5, s4, s16
	s_abs_i32 s4, s15
	s_mul_hi_u32 s17, s16, s5
	s_mov_b32 s5, 0
	s_add_co_i32 s16, s16, s17
	s_wait_kmcnt 0x0
	s_cmp_lt_i32 s7, 0
	s_mov_b32 s17, s5
	s_cbranch_scc0 .LBB129_6
; %bb.5:
	s_mul_i32 s18, s8, s22
	s_delay_alu instid0(SALU_CYCLE_1) | instskip(NEXT) | instid1(SALU_CYCLE_1)
	s_add_co_i32 s18, s3, s18
	s_mul_i32 s18, s18, s7
	s_delay_alu instid0(SALU_CYCLE_1)
	s_sub_co_i32 s33, 1, s18
	s_mov_b32 s18, s5
.LBB129_6:
	s_ashr_i32 s15, s15, 31
	s_ashr_i32 s11, s11, 31
	s_and_not1_b32 vcc_lo, exec_lo, s18
	s_mul_u64 s[24:25], s[4:5], s[16:17]
	s_cbranch_vccnz .LBB129_8
; %bb.7:
	s_mul_i32 s5, s29, s8
	s_delay_alu instid0(SALU_CYCLE_1) | instskip(NEXT) | instid1(SALU_CYCLE_1)
	s_add_co_i32 s2, s5, s2
	s_mul_i32 s2, s2, s7
	s_delay_alu instid0(SALU_CYCLE_1)
	s_add_co_i32 s33, s2, 1
.LBB129_8:
	s_load_b32 s2, s[0:1], 0x38
	s_mul_i32 s7, s25, s12
	s_xor_b32 s5, s15, s11
	s_sub_co_i32 s4, s4, s7
	s_add_co_i32 s8, s25, 1
	s_clause 0x1
	s_load_b64 s[18:19], s[0:1], 0x28
	s_load_b32 s7, s[0:1], 0x88
	v_dual_lshrrev_b32 v47, 5, v0 :: v_dual_lshlrev_b32 v9, 3, v0
	v_dual_mov_b32 v13, 0xff7fffff :: v_dual_lshrrev_b32 v8, 3, v0
	v_mbcnt_lo_u32_b32 v10, -1, 0
	s_delay_alu instid0(VALU_DEP_3)
	v_lshlrev_b32_e32 v34, 4, v47
	s_mul_i32 s14, s3, s14
	s_wait_kmcnt 0x0
	s_mul_i32 s20, s2, s30
	s_sub_co_i32 s2, s4, s12
	s_ashr_i32 s21, s20, 31
	s_cmp_ge_u32 s4, s12
	s_cselect_b32 s8, s8, s25
	s_cselect_b32 s2, s2, s4
	s_add_co_i32 s4, s8, 1
	s_cmp_ge_u32 s2, s12
	s_cselect_b32 s2, s4, s8
	s_add_co_i32 s4, s31, 15
	s_delay_alu instid0(SALU_CYCLE_1) | instskip(NEXT) | instid1(SALU_CYCLE_1)
	s_ashr_i32 s8, s4, 31
	s_lshr_b32 s8, s8, 28
	s_delay_alu instid0(SALU_CYCLE_1) | instskip(NEXT) | instid1(SALU_CYCLE_1)
	s_add_co_i32 s4, s4, s8
	s_ashr_i32 s34, s4, 4
	s_xor_b32 s4, s2, s5
	v_cmp_gt_i32_e64 s2, s34, v47
	s_sub_co_i32 s8, s4, s5
	s_and_saveexec_b32 s22, s2
	s_cbranch_execz .LBB129_20
; %bb.9:
	s_load_b64 s[4:5], s[0:1], 0x10
	s_ashr_i32 s15, s14, 31
	s_sub_co_i32 s36, s8, s9
	s_ashr_i32 s25, s13, 31
	s_lshl_b64 s[38:39], s[14:15], 1
	s_cmp_neq_f32 s35, 0
	v_bfe_u32 v11, v0, 1, 4
	v_mov_b32_e32 v3, 0
	v_mul_u32_u24_e32 v12, 0x60, v46
	s_cselect_b32 vcc_lo, -1, 0
	s_abs_i32 s15, s10
	v_lshlrev_b32_e32 v2, 4, v11
	s_cvt_f32_u32 s3, s15
	v_lshlrev_b32_e32 v7, 2, v11
	v_subrev_nc_u32_e32 v6, s31, v11
	s_sub_co_i32 s26, 0, s15
	v_rcp_iflag_f32_e32 v4, s3
	v_cmp_eq_u32_e64 s3, 0, v46
	v_dual_mov_b32 v16, 0xff7fffff :: v_dual_mov_b32 v13, 0xff7fffff
	s_wait_kmcnt 0x0
	s_add_nc_u64 s[4:5], s[4:5], s[38:39]
	v_add_nc_u32_e32 v14, 1, v6
	v_xor_b32_e32 v17, 1, v10
	v_readfirstlane_b32 s24, v4
	v_add_nc_u64_e32 v[4:5], s[4:5], v[2:3]
	v_and_b32_e32 v2, 8, v9
	v_lshl_or_b32 v7, v47, 6, v7
	s_lshl_b64 s[4:5], s[20:21], 2
	s_mul_f32 s24, s24, 0x4f7ffffe
	s_add_nc_u64 s[4:5], s[18:19], s[4:5]
	s_delay_alu instid0(VALU_DEP_1)
	v_dual_mov_b32 v18, v47 :: v_dual_add_nc_u32 v15, 0xe0, v7
	v_add_nc_u64_e32 v[4:5], v[4:5], v[2:3]
	v_and_b32_e32 v2, 0x7c, v8
	s_cvt_u32_f32 s37, s24
	s_mov_b32 s27, 0
	s_mov_b32 s24, s13
	s_delay_alu instid0(VALU_DEP_1) | instskip(SKIP_3) | instid1(SALU_CYCLE_1)
	v_add_nc_u64_e32 v[6:7], s[4:5], v[2:3]
	s_mul_i32 s26, s26, s37
	v_lshlrev_b32_e32 v2, 4, v47
	s_mul_hi_u32 s4, s37, s26
	s_add_co_i32 s26, s37, s4
	s_mov_b32 s37, s27
	s_branch .LBB129_12
.LBB129_10:                             ;   in Loop: Header=BB129_12 Depth=1
	s_or_b32 exec_lo, exec_lo, s38
.LBB129_11:                             ;   in Loop: Header=BB129_12 Depth=1
	s_delay_alu instid0(SALU_CYCLE_1) | instskip(SKIP_4) | instid1(VALU_DEP_4)
	s_or_b32 exec_lo, exec_lo, s5
	v_add_nc_u32_e32 v18, 4, v18
	v_add_nc_u64_e32 v[6:7], 16, v[6:7]
	v_add_nc_u32_e32 v2, 64, v2
	v_add_nc_u32_e32 v15, 0x100, v15
	v_cmp_le_i32_e64 s4, s34, v18
	s_or_b32 s37, s4, s37
	s_delay_alu instid0(SALU_CYCLE_1)
	s_and_not1_b32 exec_lo, exec_lo, s37
	s_cbranch_execz .LBB129_19
.LBB129_12:                             ; =>This Inner Loop Header: Depth=1
	s_wait_dscnt 0x0
	v_mul_u64_e32 v[20:21], s[16:17], v[2:3]
	s_delay_alu instid0(VALU_DEP_1) | instskip(NEXT) | instid1(VALU_DEP_1)
	v_mul_lo_u32 v19, v21, s12
	v_dual_add_nc_u32 v20, 1, v21 :: v_dual_sub_nc_u32 v19, v2, v19
	s_delay_alu instid0(VALU_DEP_1) | instskip(SKIP_1) | instid1(VALU_DEP_1)
	v_subrev_nc_u32_e32 v22, s12, v19
	v_cmp_le_u32_e64 s4, s12, v19
	v_dual_cndmask_b32 v20, v21, v20, s4 :: v_dual_cndmask_b32 v19, v19, v22, s4
	s_delay_alu instid0(VALU_DEP_1) | instskip(NEXT) | instid1(VALU_DEP_2)
	v_add_nc_u32_e32 v21, 1, v20
	v_cmp_le_u32_e64 s4, s12, v19
	s_delay_alu instid0(VALU_DEP_1) | instskip(NEXT) | instid1(VALU_DEP_1)
	v_dual_cndmask_b32 v19, v20, v21, s4 :: v_dual_mov_b32 v21, v3
	v_xor_b32_e32 v19, s11, v19
	s_delay_alu instid0(VALU_DEP_1) | instskip(NEXT) | instid1(VALU_DEP_1)
	v_subrev_nc_u32_e32 v19, s11, v19
	v_add_nc_u32_e32 v24, s33, v19
	v_cmp_ge_i32_e64 s5, s36, v19
	s_delay_alu instid0(VALU_DEP_2) | instskip(NEXT) | instid1(VALU_DEP_1)
	v_sub_nc_u32_e32 v20, 0, v24
	v_max_i32_e32 v20, v24, v20
	s_delay_alu instid0(VALU_DEP_1) | instskip(SKIP_1) | instid1(VALU_DEP_2)
	v_mul_u64_e32 v[22:23], s[26:27], v[20:21]
	v_ashrrev_i32_e32 v22, 31, v24
	v_mul_lo_u32 v21, v23, s15
	s_delay_alu instid0(VALU_DEP_1) | instskip(NEXT) | instid1(VALU_DEP_1)
	v_sub_nc_u32_e32 v20, v20, v21
	v_subrev_nc_u32_e32 v21, s15, v20
	v_cmp_le_u32_e64 s4, s15, v20
	s_delay_alu instid0(VALU_DEP_1) | instskip(NEXT) | instid1(VALU_DEP_1)
	v_cndmask_b32_e64 v20, v20, v21, s4
	v_subrev_nc_u32_e32 v21, s15, v20
	v_cmp_le_u32_e64 s4, s15, v20
	s_delay_alu instid0(VALU_DEP_1) | instskip(NEXT) | instid1(VALU_DEP_1)
	v_cndmask_b32_e64 v20, v20, v21, s4
	v_xor_b32_e32 v20, v20, v22
	s_delay_alu instid0(VALU_DEP_1) | instskip(NEXT) | instid1(VALU_DEP_1)
	v_sub_nc_u32_e32 v20, v20, v22
	v_cmp_ne_u32_e64 s4, 0, v20
	s_and_b32 s4, s4, s5
	s_delay_alu instid0(SALU_CYCLE_1) | instskip(NEXT) | instid1(SALU_CYCLE_1)
	s_and_saveexec_b32 s5, s4
	s_xor_b32 s4, exec_lo, s5
	s_cbranch_execz .LBB129_16
; %bb.13:                               ;   in Loop: Header=BB129_12 Depth=1
	s_and_saveexec_b32 s5, s3
; %bb.14:                               ;   in Loop: Header=BB129_12 Depth=1
	ds_store_b32 v15, v16
; %bb.15:                               ;   in Loop: Header=BB129_12 Depth=1
	s_or_b32 exec_lo, exec_lo, s5
.LBB129_16:                             ;   in Loop: Header=BB129_12 Depth=1
	s_and_not1_saveexec_b32 s5, s4
	s_cbranch_execz .LBB129_11
; %bb.17:                               ;   in Loop: Header=BB129_12 Depth=1
	global_load_b32 v20, v[6:7], off
	v_cmp_gt_i32_e64 s4, 32, v17
	s_wait_loadcnt 0x0
	v_ashrrev_i32_e32 v21, 31, v20
	s_delay_alu instid0(VALU_DEP_1) | instskip(NEXT) | instid1(VALU_DEP_1)
	v_mul_u64_e32 v[20:21], s[24:25], v[20:21]
	v_lshl_add_u64 v[20:21], v[20:21], 1, v[4:5]
	s_clause 0xb
	global_load_b64 v[32:33], v[20:21], off offset:256
	global_load_b64 v[40:41], v[20:21], off
	global_load_b64 v[42:43], v[20:21], off offset:512
	global_load_b64 v[44:45], v[20:21], off offset:768
	;; [unrolled: 1-line block ×10, first 2 shown]
	s_wait_xcnt 0x0
	ds_load_b128 v[20:23], v12
	ds_load_b128 v[24:27], v12 offset:16
	ds_load_b128 v[28:31], v12 offset:32
	s_wait_dscnt 0x2
	v_lshlrev_b32_e32 v19, 16, v22
	v_and_b32_e32 v22, 0xffff0000, v22
	v_lshlrev_b32_e32 v36, 16, v23
	v_and_b32_e32 v23, 0xffff0000, v23
	s_wait_loadcnt 0xb
	v_lshlrev_b32_e32 v35, 16, v32
	v_and_b32_e32 v32, 0xffff0000, v32
	s_delay_alu instid0(VALU_DEP_2) | instskip(NEXT) | instid1(VALU_DEP_2)
	v_dual_lshlrev_b32 v37, 16, v33 :: v_dual_mul_f32 v19, v19, v35
	v_mul_f32_e32 v22, v22, v32
	v_and_b32_e32 v32, 0xffff0000, v33
	s_delay_alu instid0(VALU_DEP_3)
	v_mul_f32_e32 v33, v36, v37
	ds_load_b128 v[36:39], v12 offset:48
	s_wait_loadcnt 0xa
	v_fma_mix_f32_bf16 v19, v20, v40, v19 op_sel_hi:[1,1,0]
	v_fma_mix_f32_bf16 v20, v20, v40, v22 op_sel:[1,1,0] op_sel_hi:[1,1,0]
	v_mul_f32_e32 v22, v23, v32
	v_fma_mix_f32_bf16 v23, v21, v41, v33 op_sel_hi:[1,1,0]
	s_wait_loadcnt_dscnt 0x902
	v_fma_mix_f32_bf16 v19, v24, v42, v19 op_sel_hi:[1,1,0]
	v_fma_mix_f32_bf16 v20, v24, v42, v20 op_sel:[1,1,0] op_sel_hi:[1,1,0]
	v_fma_mix_f32_bf16 v24, v21, v41, v22 op_sel:[1,1,0] op_sel_hi:[1,1,0]
	v_fma_mix_f32_bf16 v32, v25, v43, v23 op_sel_hi:[1,1,0]
	s_wait_loadcnt 0x8
	v_fma_mix_f32_bf16 v19, v26, v44, v19 op_sel_hi:[1,1,0]
	v_fma_mix_f32_bf16 v26, v26, v44, v20 op_sel:[1,1,0] op_sel_hi:[1,1,0]
	ds_load_b128 v[20:23], v12 offset:64
	v_fma_mix_f32_bf16 v24, v25, v43, v24 op_sel:[1,1,0] op_sel_hi:[1,1,0]
	v_fma_mix_f32_bf16 v25, v27, v45, v32 op_sel_hi:[1,1,0]
	s_wait_loadcnt_dscnt 0x702
	v_fma_mix_f32_bf16 v19, v28, v48, v19 op_sel_hi:[1,1,0]
	v_fma_mix_f32_bf16 v26, v28, v48, v26 op_sel:[1,1,0] op_sel_hi:[1,1,0]
	v_fma_mix_f32_bf16 v28, v27, v45, v24 op_sel:[1,1,0] op_sel_hi:[1,1,0]
	v_fma_mix_f32_bf16 v32, v29, v49, v25 op_sel_hi:[1,1,0]
	s_wait_loadcnt 0x6
	v_fma_mix_f32_bf16 v19, v30, v50, v19 op_sel_hi:[1,1,0]
	v_fma_mix_f32_bf16 v30, v30, v50, v26 op_sel:[1,1,0] op_sel_hi:[1,1,0]
	ds_load_b128 v[24:27], v12 offset:80
	v_fma_mix_f32_bf16 v28, v29, v49, v28 op_sel:[1,1,0] op_sel_hi:[1,1,0]
	v_fma_mix_f32_bf16 v29, v31, v51, v32 op_sel_hi:[1,1,0]
	s_wait_loadcnt_dscnt 0x502
	v_fma_mix_f32_bf16 v19, v36, v52, v19 op_sel_hi:[1,1,0]
	v_fma_mix_f32_bf16 v30, v36, v52, v30 op_sel:[1,1,0] op_sel_hi:[1,1,0]
	v_fma_mix_f32_bf16 v28, v31, v51, v28 op_sel:[1,1,0] op_sel_hi:[1,1,0]
	v_fma_mix_f32_bf16 v29, v37, v53, v29 op_sel_hi:[1,1,0]
	s_wait_loadcnt 0x4
	v_fma_mix_f32_bf16 v19, v38, v54, v19 op_sel_hi:[1,1,0]
	v_fma_mix_f32_bf16 v30, v38, v54, v30 op_sel:[1,1,0] op_sel_hi:[1,1,0]
	v_fma_mix_f32_bf16 v28, v37, v53, v28 op_sel:[1,1,0] op_sel_hi:[1,1,0]
	v_fma_mix_f32_bf16 v29, v39, v55, v29 op_sel_hi:[1,1,0]
	s_wait_loadcnt_dscnt 0x301
	v_fma_mix_f32_bf16 v19, v20, v56, v19 op_sel_hi:[1,1,0]
	v_fma_mix_f32_bf16 v20, v20, v56, v30 op_sel:[1,1,0] op_sel_hi:[1,1,0]
	v_fma_mix_f32_bf16 v28, v39, v55, v28 op_sel:[1,1,0] op_sel_hi:[1,1,0]
	v_fma_mix_f32_bf16 v29, v21, v57, v29 op_sel_hi:[1,1,0]
	s_wait_loadcnt 0x2
	v_fma_mix_f32_bf16 v19, v22, v58, v19 op_sel_hi:[1,1,0]
	v_fma_mix_f32_bf16 v20, v22, v58, v20 op_sel:[1,1,0] op_sel_hi:[1,1,0]
	;; [unrolled: 10-line block ×3, first 2 shown]
	v_fma_mix_f32_bf16 v21, v25, v61, v21 op_sel:[1,1,0] op_sel_hi:[1,1,0]
	v_fma_mix_f32_bf16 v22, v27, v63, v22 op_sel_hi:[1,1,0]
	s_delay_alu instid0(VALU_DEP_3) | instskip(NEXT) | instid1(VALU_DEP_3)
	v_dual_add_f32 v19, v19, v20 :: v_dual_cndmask_b32 v20, v10, v17, s4
	v_fma_mix_f32_bf16 v21, v27, v63, v21 op_sel:[1,1,0] op_sel_hi:[1,1,0]
	s_delay_alu instid0(VALU_DEP_2) | instskip(NEXT) | instid1(VALU_DEP_1)
	v_dual_add_f32 v19, v19, v22 :: v_dual_lshlrev_b32 v20, 2, v20
	v_add_f32_e32 v19, v21, v19
	ds_bpermute_b32 v20, v20, v19
	s_and_saveexec_b32 s38, s3
	s_cbranch_execz .LBB129_10
; %bb.18:                               ;   in Loop: Header=BB129_12 Depth=1
	s_wait_dscnt 0x0
	v_dual_add_nc_u32 v21, v14, v2 :: v_dual_add_f32 v19, v19, v20
	s_delay_alu instid0(VALU_DEP_1) | instskip(NEXT) | instid1(VALU_DEP_1)
	v_cvt_f32_i32_e32 v21, v21
	v_mul_f32_e32 v21, s35, v21
	s_delay_alu instid0(VALU_DEP_1) | instskip(NEXT) | instid1(VALU_DEP_1)
	v_cndmask_b32_e32 v20, 0, v21, vcc_lo
	v_dual_fmac_f32 v20, s23, v19 :: v_dual_add_nc_u32 v19, v11, v2
	s_delay_alu instid0(VALU_DEP_1) | instskip(NEXT) | instid1(VALU_DEP_1)
	v_cmp_gt_i32_e64 s4, s31, v19
	v_dual_max_num_f32 v21, v13, v13 :: v_dual_cndmask_b32 v19, 0, v20, s4
	s_delay_alu instid0(VALU_DEP_1)
	v_max_num_f32_e32 v21, v21, v20
	ds_store_b32 v15, v19
	v_cndmask_b32_e64 v13, v13, v21, s4
	s_branch .LBB129_10
.LBB129_19:
	s_or_b32 exec_lo, exec_lo, s37
.LBB129_20:
	s_delay_alu instid0(SALU_CYCLE_1)
	s_or_b32 exec_lo, exec_lo, s22
	v_dual_max_num_f32 v5, v13, v13 :: v_dual_bitop2_b32 v2, 16, v10 bitop3:0x14
	v_xor_b32_e32 v4, 8, v10
	s_clause 0x1
	s_load_b64 s[4:5], s[0:1], 0x0
	s_load_b64 s[22:23], s[0:1], 0x18
	v_and_b32_e32 v48, 31, v0
	v_cmp_gt_i32_e32 vcc_lo, 32, v2
	v_cndmask_b32_e32 v2, v10, v2, vcc_lo
	v_cmp_gt_i32_e32 vcc_lo, 32, v4
	s_delay_alu instid0(VALU_DEP_2) | instskip(SKIP_3) | instid1(VALU_DEP_1)
	v_dual_cndmask_b32 v4, v10, v4 :: v_dual_lshlrev_b32 v3, 2, v2
	ds_bpermute_b32 v2, v3, v13
	s_wait_dscnt 0x0
	v_dual_max_num_f32 v2, v2, v2 :: v_dual_lshlrev_b32 v4, 2, v4
	v_max_num_f32_e32 v2, v5, v2
	ds_bpermute_b32 v5, v4, v2
	s_wait_dscnt 0x0
	v_dual_max_num_f32 v7, v5, v5 :: v_dual_bitop2_b32 v6, 4, v10 bitop3:0x14
	s_delay_alu instid0(VALU_DEP_1) | instskip(NEXT) | instid1(VALU_DEP_2)
	v_max_num_f32_e32 v2, v2, v7
	v_cmp_gt_i32_e32 vcc_lo, 32, v6
	v_xor_b32_e32 v7, 2, v10
	v_cndmask_b32_e32 v6, v10, v6, vcc_lo
	s_delay_alu instid0(VALU_DEP_2) | instskip(NEXT) | instid1(VALU_DEP_2)
	v_cmp_gt_i32_e32 vcc_lo, 32, v7
	v_dual_cndmask_b32 v11, v10, v7, vcc_lo :: v_dual_lshlrev_b32 v5, 2, v6
	v_cmp_eq_u32_e32 vcc_lo, 0, v48
	ds_bpermute_b32 v6, v5, v2
	s_wait_dscnt 0x0
	v_max_num_f32_e32 v6, v6, v6
	s_delay_alu instid0(VALU_DEP_1)
	v_dual_max_num_f32 v7, v2, v6 :: v_dual_lshlrev_b32 v2, 2, v11
	v_lshlrev_b32_e32 v6, 2, v47
	ds_bpermute_b32 v11, v2, v7
	s_wait_xcnt 0x0
	s_and_saveexec_b32 s0, vcc_lo
	s_cbranch_execz .LBB129_22
; %bb.21:
	s_wait_dscnt 0x0
	v_max_num_f32_e32 v11, v11, v11
	v_max_num_f32_e32 v7, v7, v7
	s_delay_alu instid0(VALU_DEP_1)
	v_max_num_f32_e32 v7, v7, v11
	ds_store_b32 v6, v7 offset:192
.LBB129_22:
	s_or_b32 exec_lo, exec_lo, s0
	v_cmp_gt_u32_e64 s0, 4, v48
	s_wait_dscnt 0x0
	v_mov_b32_e32 v11, 0xff7fffff
	v_lshlrev_b32_e32 v7, 2, v48
	s_barrier_signal -1
	s_barrier_wait -1
	s_and_saveexec_b32 s1, s0
; %bb.23:
	ds_load_b32 v11, v7 offset:192
; %bb.24:
	s_or_b32 exec_lo, exec_lo, s1
	s_wait_dscnt 0x0
	ds_bpermute_b32 v12, v2, v11
	v_dual_max_num_f32 v11, v11, v11 :: v_dual_bitop2_b32 v13, 1, v10 bitop3:0x14
	s_delay_alu instid0(VALU_DEP_1) | instskip(NEXT) | instid1(VALU_DEP_1)
	v_cmp_gt_i32_e64 s1, 32, v13
	v_cndmask_b32_e64 v10, v10, v13, s1
	s_lshl_b32 s1, s34, 4
	s_delay_alu instid0(SALU_CYCLE_1) | instskip(NEXT) | instid1(SALU_CYCLE_1)
	s_min_i32 s15, s1, s31
	v_cmp_gt_i32_e64 s1, s15, v0
	s_wait_dscnt 0x0
	v_dual_max_num_f32 v12, v12, v12 :: v_dual_lshlrev_b32 v49, 2, v10
	s_delay_alu instid0(VALU_DEP_1) | instskip(SKIP_3) | instid1(VALU_DEP_1)
	v_max_num_f32_e32 v10, v11, v12
	ds_bpermute_b32 v11, v49, v10
	s_wait_dscnt 0x0
	v_max_num_f32_e32 v11, v11, v11
	v_dual_max_num_f32 v11, v10, v11 :: v_dual_mov_b32 v10, 0
	ds_bpermute_b32 v11, v10, v11
	s_and_saveexec_b32 s24, s1
	s_cbranch_execz .LBB129_28
; %bb.25:
	v_lshl_add_u32 v12, v0, 2, 0xe0
	v_dual_mov_b32 v10, 0 :: v_dual_mov_b32 v13, v0
	s_mov_b32 s25, 0
.LBB129_26:                             ; =>This Inner Loop Header: Depth=1
	ds_load_b32 v14, v12
	v_add_nc_u32_e32 v13, 0x80, v13
	s_delay_alu instid0(VALU_DEP_1) | instskip(SKIP_3) | instid1(VALU_DEP_1)
	v_cmp_le_i32_e64 s3, s15, v13
	s_or_b32 s25, s3, s25
	s_wait_dscnt 0x0
	v_sub_f32_e32 v14, v14, v11
	v_mul_f32_e32 v14, 0x3fb8aa3b, v14
	s_delay_alu instid0(VALU_DEP_1)
	v_exp_f32_e32 v14, v14
	ds_store_b32 v12, v14
	v_nop
	v_add_f32_e32 v10, v10, v14
	v_add_nc_u32_e32 v12, 0x200, v12
	s_and_not1_b32 exec_lo, exec_lo, s25
	s_cbranch_execnz .LBB129_26
; %bb.27:
	s_or_b32 exec_lo, exec_lo, s25
.LBB129_28:
	s_delay_alu instid0(SALU_CYCLE_1)
	s_or_b32 exec_lo, exec_lo, s24
	ds_bpermute_b32 v3, v3, v10
	s_wait_dscnt 0x0
	v_add_f32_e32 v3, v10, v3
	ds_bpermute_b32 v4, v4, v3
	s_wait_dscnt 0x0
	v_add_f32_e32 v3, v3, v4
	;; [unrolled: 3-line block ×5, first 2 shown]
	s_and_saveexec_b32 s3, vcc_lo
; %bb.29:
	ds_store_b32 v6, v3 offset:208
; %bb.30:
	s_or_b32 exec_lo, exec_lo, s3
	s_wait_dscnt 0x0
	s_barrier_signal -1
	s_barrier_wait -1
	s_and_saveexec_b32 s3, s0
; %bb.31:
	ds_load_b32 v3, v7 offset:208
; %bb.32:
	s_or_b32 exec_lo, exec_lo, s3
	s_wait_dscnt 0x0
	ds_bpermute_b32 v2, v2, v3
	s_wait_dscnt 0x0
	v_dual_mov_b32 v37, 0 :: v_dual_add_f32 v2, v3, v2
	ds_bpermute_b32 v3, v49, v2
	s_wait_dscnt 0x0
	v_add_f32_e32 v2, v2, v3
	ds_bpermute_b32 v2, v37, v2
	s_and_saveexec_b32 s0, s1
	s_cbranch_execz .LBB129_45
; %bb.33:
	s_wait_dscnt 0x0
	v_add_f32_e32 v2, 0x358637bd, v2
	s_mov_b32 s3, -1
	s_mov_b32 s1, exec_lo
	s_delay_alu instid0(VALU_DEP_1) | instskip(NEXT) | instid1(VALU_DEP_1)
	v_div_scale_f32 v3, null, v2, v2, 1.0
	v_rcp_f32_e32 v5, v3
	v_nop
	s_delay_alu instid0(TRANS32_DEP_1) | instskip(NEXT) | instid1(VALU_DEP_1)
	v_fma_f32 v4, -v3, v5, 1.0
	v_fmac_f32_e32 v5, v4, v5
	v_div_scale_f32 v6, vcc_lo, 1.0, v2, 1.0
	s_delay_alu instid0(VALU_DEP_1) | instskip(NEXT) | instid1(VALU_DEP_1)
	v_mul_f32_e32 v7, v6, v5
	v_fma_f32 v4, -v3, v7, v6
	s_delay_alu instid0(VALU_DEP_1) | instskip(SKIP_1) | instid1(VALU_DEP_2)
	v_fmac_f32_e32 v7, v4, v5
	v_xad_u32 v4, v0, -1, s15
	v_fma_f32 v3, -v3, v7, v6
	s_delay_alu instid0(VALU_DEP_1) | instskip(NEXT) | instid1(VALU_DEP_1)
	v_div_fmas_f32 v3, v3, v5, v7
	v_div_fixup_f32 v2, v3, v2, 1.0
	v_mov_b32_e32 v3, v0
	v_cmpx_lt_u32_e32 0x7f, v4
	s_cbranch_execz .LBB129_42
; %bb.34:
	s_delay_alu instid0(VALU_DEP_3) | instskip(NEXT) | instid1(VALU_DEP_1)
	v_dual_mov_b32 v3, v2 :: v_dual_lshrrev_b32 v4, 7, v4
	v_dual_mov_b32 v10, 0 :: v_dual_add_nc_u32 v5, -1, v4
	s_delay_alu instid0(VALU_DEP_1) | instskip(SKIP_1) | instid1(VALU_DEP_2)
	v_lshrrev_b32_e32 v6, 1, v5
	v_cmp_lt_u32_e32 vcc_lo, 13, v5
	v_add_nc_u32_e32 v5, 1, v6
	s_and_saveexec_b32 s3, vcc_lo
	s_cbranch_execz .LBB129_38
; %bb.35:
	s_delay_alu instid0(VALU_DEP_1)
	v_and_b32_e32 v6, -8, v5
	v_lshl_add_u32 v7, v0, 2, 0xe0
	s_mov_b32 s24, 0
	s_mov_b32 s25, 0
.LBB129_36:                             ; =>This Inner Loop Header: Depth=1
	ds_load_2addr_stride64_b32 v[10:11], v7 offset1:2
	ds_load_2addr_stride64_b32 v[12:13], v7 offset0:4 offset1:6
	ds_load_2addr_stride64_b32 v[14:15], v7 offset0:8 offset1:10
	ds_load_2addr_stride64_b32 v[16:17], v7 offset0:12 offset1:14
	ds_load_2addr_stride64_b32 v[18:19], v7 offset0:16 offset1:18
	ds_load_2addr_stride64_b32 v[20:21], v7 offset0:20 offset1:22
	ds_load_2addr_stride64_b32 v[22:23], v7 offset0:24 offset1:26
	ds_load_2addr_stride64_b32 v[24:25], v7 offset0:28 offset1:30
	s_add_co_i32 s25, s25, 16
	v_add_nc_u32_e32 v6, -8, v6
	s_wait_dscnt 0x7
	v_pk_mul_f32 v[10:11], v[2:3], v[10:11]
	s_wait_dscnt 0x6
	v_pk_mul_f32 v[12:13], v[2:3], v[12:13]
	;; [unrolled: 2-line block ×8, first 2 shown]
	ds_store_2addr_stride64_b32 v7, v10, v11 offset1:2
	ds_store_2addr_stride64_b32 v7, v12, v13 offset0:4 offset1:6
	ds_store_2addr_stride64_b32 v7, v14, v15 offset0:8 offset1:10
	;; [unrolled: 1-line block ×7, first 2 shown]
	v_mov_b32_e32 v10, s25
	v_cmp_eq_u32_e32 vcc_lo, 0, v6
	v_add_nc_u32_e32 v7, 0x2000, v7
	s_or_b32 s24, vcc_lo, s24
	s_delay_alu instid0(SALU_CYCLE_1)
	s_and_not1_b32 exec_lo, exec_lo, s24
	s_cbranch_execnz .LBB129_36
; %bb.37:
	s_or_b32 exec_lo, exec_lo, s24
.LBB129_38:
	s_delay_alu instid0(SALU_CYCLE_1) | instskip(NEXT) | instid1(VALU_DEP_1)
	s_or_b32 exec_lo, exec_lo, s3
	v_and_b32_e32 v5, 7, v5
	s_mov_b32 s24, 0
	s_mov_b32 s3, exec_lo
	s_delay_alu instid0(VALU_DEP_1)
	v_cmpx_ne_u32_e32 0, v5
	s_cbranch_execz .LBB129_41
; %bb.39:
	v_dual_lshlrev_b32 v6, 9, v10 :: v_dual_lshlrev_b32 v7, 2, v0
	s_delay_alu instid0(VALU_DEP_1)
	v_add3_u32 v6, v6, v7, 0xe0
.LBB129_40:                             ; =>This Inner Loop Header: Depth=1
	ds_load_2addr_stride64_b32 v[10:11], v6 offset1:2
	v_add_nc_u32_e32 v5, -1, v5
	s_delay_alu instid0(VALU_DEP_1)
	v_cmp_eq_u32_e32 vcc_lo, 0, v5
	s_or_b32 s24, vcc_lo, s24
	s_wait_dscnt 0x0
	v_pk_mul_f32 v[10:11], v[2:3], v[10:11]
	ds_store_2addr_stride64_b32 v6, v10, v11 offset1:2
	v_add_nc_u32_e32 v6, 0x400, v6
	s_and_not1_b32 exec_lo, exec_lo, s24
	s_cbranch_execnz .LBB129_40
.LBB129_41:
	s_or_b32 exec_lo, exec_lo, s3
	v_add_nc_u32_e32 v3, 1, v4
	s_delay_alu instid0(VALU_DEP_1) | instskip(NEXT) | instid1(VALU_DEP_1)
	v_and_b32_e32 v4, 0x3fffffe, v3
	v_cmp_ne_u32_e32 vcc_lo, v3, v4
	v_lshl_add_u32 v3, v4, 7, v0
	s_or_not1_b32 s3, vcc_lo, exec_lo
.LBB129_42:
	s_or_b32 exec_lo, exec_lo, s1
	s_delay_alu instid0(SALU_CYCLE_1)
	s_and_b32 exec_lo, exec_lo, s3
	s_cbranch_execz .LBB129_45
; %bb.43:
	v_lshl_add_u32 v4, v3, 2, 0xe0
	s_mov_b32 s1, 0
.LBB129_44:                             ; =>This Inner Loop Header: Depth=1
	ds_load_b32 v5, v4
	v_add_nc_u32_e32 v3, 0x80, v3
	s_delay_alu instid0(VALU_DEP_1)
	v_cmp_le_i32_e32 vcc_lo, s15, v3
	s_or_b32 s1, vcc_lo, s1
	s_wait_dscnt 0x0
	v_mul_f32_e32 v5, v2, v5
	ds_store_b32 v4, v5
	v_add_nc_u32_e32 v4, 0x200, v4
	s_and_not1_b32 exec_lo, exec_lo, s1
	s_cbranch_execnz .LBB129_44
.LBB129_45:
	s_or_b32 exec_lo, exec_lo, s0
	v_dual_mov_b32 v36, 0 :: v_dual_mov_b32 v39, 0
	v_dual_mov_b32 v38, 0 :: v_dual_mov_b32 v41, 0
	v_mov_b32_e32 v40, 0
	s_wait_dscnt 0x0
	s_barrier_signal -1
	s_barrier_wait -1
	s_and_saveexec_b32 s1, s2
	s_cbranch_execz .LBB129_63
; %bb.46:
	s_abs_i32 s10, s10
	v_dual_lshlrev_b32 v4, 4, v0 :: v_dual_bitop2_b32 v50, 8, v9 bitop3:0x40
	s_cvt_f32_u32 s0, s10
	v_dual_mov_b32 v35, 0 :: v_dual_lshlrev_b32 v6, 5, v46
	s_ashr_i32 s15, s14, 31
	s_delay_alu instid0(SALU_CYCLE_1)
	v_rcp_iflag_f32_e32 v3, s0
	v_and_b32_e32 v2, 0x7c, v8
	v_and_b32_e32 v4, 0x1f0, v4
	v_mov_b32_e32 v5, v35
	s_lshl_b64 s[20:21], s[20:21], 2
	s_lshl_b64 s[14:15], s[14:15], 1
	v_lshl_or_b32 v6, v47, 6, v6
	v_readfirstlane_b32 s0, v3
	v_mov_b32_e32 v3, v35
	s_add_nc_u64 s[18:19], s[18:19], s[20:21]
	s_wait_kmcnt 0x0
	s_add_nc_u64 s[14:15], s[22:23], s[14:15]
	s_sub_co_i32 s24, s8, s9
	s_mul_f32 s0, s0, 0x4f7ffffe
	s_sub_co_i32 s8, 0, s10
	v_add_nc_u64_e32 v[42:43], s[14:15], v[4:5]
	v_add_nc_u64_e32 v[44:45], s[18:19], v[2:3]
	s_cvt_u32_f32 s0, s0
	v_dual_mov_b32 v52, v47 :: v_dual_add_nc_u32 v51, 0xe0, v6
	v_dual_mov_b32 v40, v35 :: v_dual_mov_b32 v41, v35
	s_delay_alu instid0(SALU_CYCLE_1)
	s_mul_i32 s8, s8, s0
	v_dual_mov_b32 v38, v35 :: v_dual_mov_b32 v39, v35
	v_dual_mov_b32 v36, v35 :: v_dual_mov_b32 v37, v35
	s_mov_b32 s9, 0
	s_mul_hi_u32 s8, s0, s8
	s_ashr_i32 s3, s13, 31
	s_mov_b32 s2, s13
	s_add_co_i32 s13, s34, -1
	s_mov_b32 s14, s31
	s_add_co_i32 s8, s0, s8
	s_mov_b32 s15, s9
	s_branch .LBB129_49
.LBB129_47:                             ;   in Loop: Header=BB129_49 Depth=1
	s_or_b32 exec_lo, exec_lo, s0
	s_wait_dscnt 0x1
	v_cvt_pk_bf16_f32 v14, v14, v15
	v_cvt_pk_bf16_f32 v15, v16, v17
	s_wait_dscnt 0x0
	v_cvt_pk_bf16_f32 v10, v10, v11
	v_cvt_pk_bf16_f32 v12, v12, v13
	s_wait_loadcnt 0x1
	v_pk_mul_bf16 v11, v14, v30
	v_pk_mul_bf16 v16, v15, v31
	;; [unrolled: 1-line block ×5, first 2 shown]
	s_delay_alu instid0(VALU_DEP_4)
	v_dual_lshlrev_b32 v17, 16, v11 :: v_dual_lshlrev_b32 v30, 16, v16
	v_and_b32_e32 v11, 0xffff0000, v11
	v_and_b32_e32 v16, 0xffff0000, v16
	v_lshlrev_b32_e32 v32, 16, v13
	v_and_b32_e32 v13, 0xffff0000, v13
	v_pk_mul_bf16 v24, v10, v24
	s_delay_alu instid0(VALU_DEP_4)
	v_dual_add_f32 v11, v17, v11 :: v_dual_add_f32 v16, v30, v16
	v_pk_mul_bf16 v17, v14, v22
	v_lshlrev_b32_e32 v22, 16, v31
	v_and_b32_e32 v30, 0xffff0000, v31
	v_add_f32_e32 v13, v32, v13
	v_add_f32_e32 v11, v16, v11
	v_pk_mul_bf16 v16, v15, v23
	v_lshlrev_b32_e32 v23, 16, v17
	v_and_b32_e32 v17, 0xffff0000, v17
	s_delay_alu instid0(VALU_DEP_4) | instskip(NEXT) | instid1(VALU_DEP_4)
	v_dual_add_f32 v22, v22, v30 :: v_dual_add_f32 v11, v13, v11
	v_lshlrev_b32_e32 v13, 16, v16
	v_and_b32_e32 v16, 0xffff0000, v16
	s_delay_alu instid0(VALU_DEP_4)
	v_add_f32_e32 v17, v23, v17
	v_pk_mul_bf16 v20, v10, v20
	v_add_f32_e32 v11, v22, v11
	v_and_b32_e32 v23, 0xffff0000, v24
	v_add_f32_e32 v13, v13, v16
	v_pk_mul_bf16 v16, v14, v18
	v_pk_mul_bf16 v18, v12, v25
	v_dual_add_f32 v36, v36, v11 :: v_dual_lshlrev_b32 v22, 16, v24
	s_delay_alu instid0(VALU_DEP_3)
	v_dual_add_f32 v11, v13, v17 :: v_dual_lshlrev_b32 v13, 16, v16
	v_and_b32_e32 v16, 0xffff0000, v16
	v_lshlrev_b32_e32 v17, 16, v19
	v_and_b32_e32 v19, 0xffff0000, v19
	v_pk_mul_bf16 v6, v14, v6
	v_pk_mul_bf16 v7, v15, v7
	v_add_f32_e32 v13, v13, v16
	v_pk_mul_bf16 v8, v10, v8
	v_dual_add_f32 v16, v17, v19 :: v_dual_lshlrev_b32 v17, 16, v20
	v_and_b32_e32 v19, 0xffff0000, v20
	v_dual_add_f32 v20, v22, v23 :: v_dual_lshlrev_b32 v22, 16, v18
	s_delay_alu instid0(VALU_DEP_3) | instskip(SKIP_1) | instid1(VALU_DEP_4)
	v_add_f32_e32 v13, v16, v13
	v_and_b32_e32 v18, 0xffff0000, v18
	v_add_f32_e32 v16, v17, v19
	v_pk_mul_bf16 v17, v12, v21
	v_dual_add_f32 v11, v20, v11 :: v_dual_lshlrev_b32 v19, 16, v6
	s_delay_alu instid0(VALU_DEP_3) | instskip(NEXT) | instid1(VALU_DEP_3)
	v_dual_add_f32 v18, v22, v18 :: v_dual_add_f32 v13, v16, v13
	v_lshlrev_b32_e32 v16, 16, v17
	v_and_b32_e32 v17, 0xffff0000, v17
	v_and_b32_e32 v6, 0xffff0000, v6
	v_lshlrev_b32_e32 v20, 16, v7
	v_and_b32_e32 v7, 0xffff0000, v7
	v_pk_mul_bf16 v2, v14, v2
	v_pk_mul_bf16 v3, v15, v3
	v_dual_add_f32 v16, v16, v17 :: v_dual_add_f32 v6, v19, v6
	s_delay_alu instid0(VALU_DEP_4) | instskip(NEXT) | instid1(VALU_DEP_4)
	v_dual_add_f32 v7, v20, v7 :: v_dual_lshlrev_b32 v17, 16, v8
	v_lshlrev_b32_e32 v19, 16, v2
	v_and_b32_e32 v8, 0xffff0000, v8
	v_and_b32_e32 v2, 0xffff0000, v2
	s_delay_alu instid0(VALU_DEP_4) | instskip(SKIP_2) | instid1(VALU_DEP_4)
	v_dual_add_f32 v21, v7, v6 :: v_dual_lshlrev_b32 v20, 16, v3
	v_and_b32_e32 v3, 0xffff0000, v3
	v_pk_mul_bf16 v9, v12, v9
	v_dual_add_f32 v17, v17, v8 :: v_dual_add_f32 v2, v19, v2
	v_pk_mul_bf16 v4, v10, v4
	s_delay_alu instid0(VALU_DEP_3) | instskip(SKIP_3) | instid1(VALU_DEP_3)
	v_dual_add_f32 v3, v20, v3 :: v_dual_lshlrev_b32 v19, 16, v9
	v_pk_mul_bf16 v22, v12, v5
	s_wait_loadcnt 0x0
	v_pk_mul_bf16 v6, v10, v28
	v_dual_add_f32 v23, v3, v2 :: v_dual_lshlrev_b32 v24, 16, v4
	v_pk_mul_bf16 v2, v14, v26
	v_and_b32_e32 v14, 0xffff0000, v4
	v_pk_mul_bf16 v4, v15, v27
	v_pk_mul_bf16 v8, v12, v29
	v_and_b32_e32 v20, 0xffff0000, v9
	v_and_b32_e32 v3, 0xffff0000, v2
	v_lshlrev_b32_e32 v5, 16, v2
	v_and_b32_e32 v2, 0xffff0000, v4
	v_lshlrev_b32_e32 v4, 16, v4
	;; [unrolled: 2-line block ×4, first 2 shown]
	v_pk_add_f32 v[2:3], v[4:5], v[2:3]
	v_add_f32_e32 v10, v24, v14
	v_lshlrev_b32_e32 v12, 16, v22
	v_and_b32_e32 v14, 0xffff0000, v22
	v_pk_add_f32 v[4:5], v[8:9], v[6:7]
	v_dual_add_f32 v2, v2, v3 :: v_dual_add_f32 v3, v17, v21
	v_dual_add_f32 v6, v19, v20 :: v_dual_add_f32 v7, v10, v23
	s_delay_alu instid0(VALU_DEP_4) | instskip(NEXT) | instid1(VALU_DEP_3)
	v_add_f32_e32 v8, v12, v14
	v_dual_add_f32 v2, v5, v2 :: v_dual_add_f32 v9, v16, v13
	v_add_f32_e32 v5, v18, v11
	s_delay_alu instid0(VALU_DEP_4) | instskip(NEXT) | instid1(VALU_DEP_4)
	v_add_f32_e32 v3, v6, v3
	v_add_f32_e32 v6, v8, v7
	s_delay_alu instid0(VALU_DEP_4) | instskip(NEXT) | instid1(VALU_DEP_3)
	v_dual_add_f32 v2, v4, v2 :: v_dual_add_f32 v38, v38, v9
	v_dual_add_f32 v39, v39, v5 :: v_dual_add_f32 v41, v41, v3
	s_delay_alu instid0(VALU_DEP_3) | instskip(NEXT) | instid1(VALU_DEP_3)
	v_add_f32_e32 v40, v40, v6
	v_add_f32_e32 v37, v37, v2
.LBB129_48:                             ;   in Loop: Header=BB129_49 Depth=1
	s_or_b32 exec_lo, exec_lo, s18
	v_dual_add_nc_u32 v52, 4, v52 :: v_dual_add_nc_u32 v34, 64, v34
	v_add_nc_u64_e32 v[44:45], 16, v[44:45]
	v_add_nc_u32_e32 v51, 0x100, v51
	s_delay_alu instid0(VALU_DEP_3) | instskip(SKIP_1) | instid1(SALU_CYCLE_1)
	v_cmp_le_i32_e32 vcc_lo, s34, v52
	s_or_b32 s15, vcc_lo, s15
	s_and_not1_b32 exec_lo, exec_lo, s15
	s_cbranch_execz .LBB129_62
.LBB129_49:                             ; =>This Inner Loop Header: Depth=1
	v_mul_u64_e32 v[2:3], s[16:17], v[34:35]
	s_delay_alu instid0(VALU_DEP_1) | instskip(NEXT) | instid1(VALU_DEP_1)
	v_mul_lo_u32 v2, v3, s12
	v_dual_add_nc_u32 v4, 1, v3 :: v_dual_sub_nc_u32 v2, v34, v2
	s_delay_alu instid0(VALU_DEP_1) | instskip(SKIP_1) | instid1(VALU_DEP_2)
	v_subrev_nc_u32_e32 v5, s12, v2
	v_cmp_le_u32_e32 vcc_lo, s12, v2
	v_dual_cndmask_b32 v3, v3, v4 :: v_dual_cndmask_b32 v2, v2, v5
	s_delay_alu instid0(VALU_DEP_1) | instskip(NEXT) | instid1(VALU_DEP_2)
	v_add_nc_u32_e32 v4, 1, v3
	v_cmp_le_u32_e32 vcc_lo, s12, v2
	s_delay_alu instid0(VALU_DEP_2) | instskip(NEXT) | instid1(VALU_DEP_1)
	v_cndmask_b32_e32 v2, v3, v4, vcc_lo
	v_dual_mov_b32 v3, v35 :: v_dual_bitop2_b32 v2, s11, v2 bitop3:0x14
	s_delay_alu instid0(VALU_DEP_1) | instskip(NEXT) | instid1(VALU_DEP_1)
	v_subrev_nc_u32_e32 v6, s11, v2
	v_add_nc_u32_e32 v7, s33, v6
	v_cmp_lt_i32_e64 s0, s24, v6
	s_delay_alu instid0(VALU_DEP_2) | instskip(NEXT) | instid1(VALU_DEP_1)
	v_sub_nc_u32_e32 v2, 0, v7
	v_max_i32_e32 v2, v7, v2
	s_delay_alu instid0(VALU_DEP_1) | instskip(SKIP_1) | instid1(VALU_DEP_2)
	v_mul_u64_e32 v[4:5], s[8:9], v[2:3]
	v_ashrrev_i32_e32 v4, 31, v7
	v_mul_lo_u32 v3, v5, s10
	s_delay_alu instid0(VALU_DEP_1) | instskip(NEXT) | instid1(VALU_DEP_1)
	v_sub_nc_u32_e32 v2, v2, v3
	v_subrev_nc_u32_e32 v3, s10, v2
	v_cmp_le_u32_e32 vcc_lo, s10, v2
	s_delay_alu instid0(VALU_DEP_2) | instskip(NEXT) | instid1(VALU_DEP_1)
	v_cndmask_b32_e32 v2, v2, v3, vcc_lo
	v_subrev_nc_u32_e32 v3, s10, v2
	v_cmp_le_u32_e32 vcc_lo, s10, v2
	s_delay_alu instid0(VALU_DEP_2) | instskip(NEXT) | instid1(VALU_DEP_1)
	v_cndmask_b32_e32 v2, v2, v3, vcc_lo
	v_xor_b32_e32 v2, v2, v4
	s_delay_alu instid0(VALU_DEP_1) | instskip(NEXT) | instid1(VALU_DEP_1)
	v_sub_nc_u32_e32 v2, v2, v4
	v_cmp_eq_u32_e32 vcc_lo, 0, v2
	s_or_b32 s0, vcc_lo, s0
	s_delay_alu instid0(SALU_CYCLE_1)
	s_and_saveexec_b32 s18, s0
	s_cbranch_execz .LBB129_48
; %bb.50:                               ;   in Loop: Header=BB129_49 Depth=1
	global_load_b32 v2, v[44:45], off
	v_add_nc_u32_e32 v60, v50, v34
	v_cmp_eq_u32_e32 vcc_lo, s13, v52
	s_delay_alu instid0(VALU_DEP_2)
	v_or_b32_e32 v57, 3, v60
	v_or_b32_e32 v59, 2, v60
	;; [unrolled: 1-line block ×5, first 2 shown]
	v_dual_add_nc_u32 v58, 1, v60 :: v_dual_bitop2_b32 v55, 6, v60 bitop3:0x54
	s_wait_loadcnt 0x0
	v_ashrrev_i32_e32 v3, 31, v2
	s_delay_alu instid0(VALU_DEP_1) | instskip(NEXT) | instid1(VALU_DEP_1)
	v_mul_u64_e32 v[2:3], s[2:3], v[2:3]
	v_lshl_add_u64 v[26:27], v[2:3], 1, v[42:43]
	global_load_b128 v[2:5], v[26:27], off
	ds_load_2addr_b64 v[14:17], v51 offset1:1
	ds_load_2addr_b64 v[10:13], v51 offset0:2 offset1:3
	s_wait_xcnt 0x0
	s_and_saveexec_b32 s19, vcc_lo
	s_cbranch_execnz .LBB129_56
; %bb.51:                               ;   in Loop: Header=BB129_49 Depth=1
	s_or_b32 exec_lo, exec_lo, s19
	global_load_b128 v[6:9], v[26:27], off offset:512
	s_wait_xcnt 0x0
	s_and_saveexec_b32 s19, vcc_lo
	s_cbranch_execnz .LBB129_57
.LBB129_52:                             ;   in Loop: Header=BB129_49 Depth=1
	s_or_b32 exec_lo, exec_lo, s19
	global_load_b128 v[18:21], v[26:27], off offset:1024
	s_wait_xcnt 0x0
	s_and_saveexec_b32 s19, vcc_lo
	s_cbranch_execnz .LBB129_58
.LBB129_53:                             ;   in Loop: Header=BB129_49 Depth=1
	s_or_b32 exec_lo, exec_lo, s19
	global_load_b128 v[22:25], v[26:27], off offset:1536
	s_wait_xcnt 0x0
	s_and_saveexec_b32 s19, vcc_lo
	s_cbranch_execnz .LBB129_59
.LBB129_54:                             ;   in Loop: Header=BB129_49 Depth=1
	s_or_b32 exec_lo, exec_lo, s19
	global_load_b128 v[30:33], v[26:27], off offset:2048
	s_wait_xcnt 0x0
	s_and_saveexec_b32 s19, vcc_lo
	s_cbranch_execnz .LBB129_60
.LBB129_55:                             ;   in Loop: Header=BB129_49 Depth=1
	s_or_b32 exec_lo, exec_lo, s19
	global_load_b128 v[26:29], v[26:27], off offset:2560
	s_wait_xcnt 0x0
	s_and_saveexec_b32 s0, vcc_lo
	s_cbranch_execz .LBB129_47
	s_branch .LBB129_61
.LBB129_56:                             ;   in Loop: Header=BB129_49 Depth=1
	v_cmp_gt_i32_e64 s0, s31, v60
	s_wait_loadcnt 0x0
	v_dual_lshrrev_b32 v6, 16, v2 :: v_dual_lshrrev_b32 v8, 16, v4
	s_delay_alu instid0(VALU_DEP_2) | instskip(SKIP_1) | instid1(VALU_DEP_1)
	v_cndmask_b32_e64 v2, 0, v2, s0
	v_cmp_gt_i32_e64 s0, s14, v58
	v_dual_lshrrev_b32 v7, 16, v3 :: v_dual_cndmask_b32 v6, 0, v6, s0
	v_cmp_gt_i32_e64 s0, s31, v59
	s_delay_alu instid0(VALU_DEP_2) | instskip(NEXT) | instid1(VALU_DEP_2)
	v_perm_b32 v2, v6, v2, 0x5040100
	v_cndmask_b32_e64 v3, 0, v3, s0
	v_cmp_gt_i32_e64 s0, s14, v57
	s_delay_alu instid0(VALU_DEP_1) | instskip(SKIP_1) | instid1(VALU_DEP_1)
	v_cndmask_b32_e64 v7, 0, v7, s0
	v_cmp_gt_i32_e64 s0, s31, v56
	v_cndmask_b32_e64 v4, 0, v4, s0
	v_cmp_gt_i32_e64 s0, s14, v54
	v_lshrrev_b32_e32 v9, 16, v5
	v_perm_b32 v3, v7, v3, 0x5040100
	s_delay_alu instid0(VALU_DEP_3) | instskip(SKIP_1) | instid1(VALU_DEP_2)
	v_cndmask_b32_e64 v8, 0, v8, s0
	v_cmp_gt_i32_e64 s0, s31, v55
	v_perm_b32 v4, v8, v4, 0x5040100
	s_delay_alu instid0(VALU_DEP_2) | instskip(SKIP_1) | instid1(VALU_DEP_1)
	v_cndmask_b32_e64 v5, 0, v5, s0
	v_cmp_gt_i32_e64 s0, s14, v53
	v_cndmask_b32_e64 v9, 0, v9, s0
	s_delay_alu instid0(VALU_DEP_1)
	v_perm_b32 v5, v9, v5, 0x5040100
	s_or_b32 exec_lo, exec_lo, s19
	global_load_b128 v[6:9], v[26:27], off offset:512
	s_wait_xcnt 0x0
	s_and_saveexec_b32 s19, vcc_lo
	s_cbranch_execz .LBB129_52
.LBB129_57:                             ;   in Loop: Header=BB129_49 Depth=1
	v_cmp_gt_i32_e64 s0, s31, v60
	s_wait_loadcnt 0x0
	v_dual_lshrrev_b32 v18, 16, v6 :: v_dual_lshrrev_b32 v20, 16, v8
	s_delay_alu instid0(VALU_DEP_2) | instskip(SKIP_1) | instid1(VALU_DEP_1)
	v_cndmask_b32_e64 v6, 0, v6, s0
	v_cmp_gt_i32_e64 s0, s14, v58
	v_dual_lshrrev_b32 v19, 16, v7 :: v_dual_cndmask_b32 v18, 0, v18, s0
	v_cmp_gt_i32_e64 s0, s31, v59
	s_delay_alu instid0(VALU_DEP_2) | instskip(NEXT) | instid1(VALU_DEP_2)
	v_perm_b32 v6, v18, v6, 0x5040100
	v_cndmask_b32_e64 v7, 0, v7, s0
	v_cmp_gt_i32_e64 s0, s14, v57
	s_delay_alu instid0(VALU_DEP_1) | instskip(SKIP_1) | instid1(VALU_DEP_1)
	v_cndmask_b32_e64 v19, 0, v19, s0
	v_cmp_gt_i32_e64 s0, s31, v56
	v_cndmask_b32_e64 v8, 0, v8, s0
	v_cmp_gt_i32_e64 s0, s14, v54
	v_lshrrev_b32_e32 v21, 16, v9
	v_perm_b32 v7, v19, v7, 0x5040100
	s_delay_alu instid0(VALU_DEP_3) | instskip(SKIP_1) | instid1(VALU_DEP_2)
	v_cndmask_b32_e64 v20, 0, v20, s0
	v_cmp_gt_i32_e64 s0, s31, v55
	v_perm_b32 v8, v20, v8, 0x5040100
	s_delay_alu instid0(VALU_DEP_2) | instskip(SKIP_1) | instid1(VALU_DEP_1)
	v_cndmask_b32_e64 v9, 0, v9, s0
	v_cmp_gt_i32_e64 s0, s14, v53
	v_cndmask_b32_e64 v21, 0, v21, s0
	s_delay_alu instid0(VALU_DEP_1)
	v_perm_b32 v9, v21, v9, 0x5040100
	s_or_b32 exec_lo, exec_lo, s19
	global_load_b128 v[18:21], v[26:27], off offset:1024
	s_wait_xcnt 0x0
	s_and_saveexec_b32 s19, vcc_lo
	s_cbranch_execz .LBB129_53
.LBB129_58:                             ;   in Loop: Header=BB129_49 Depth=1
	v_cmp_gt_i32_e64 s0, s31, v60
	s_wait_loadcnt 0x0
	v_dual_lshrrev_b32 v22, 16, v18 :: v_dual_lshrrev_b32 v24, 16, v20
	s_delay_alu instid0(VALU_DEP_2) | instskip(SKIP_1) | instid1(VALU_DEP_1)
	v_cndmask_b32_e64 v18, 0, v18, s0
	v_cmp_gt_i32_e64 s0, s14, v58
	v_dual_lshrrev_b32 v23, 16, v19 :: v_dual_cndmask_b32 v22, 0, v22, s0
	v_cmp_gt_i32_e64 s0, s31, v59
	s_delay_alu instid0(VALU_DEP_2) | instskip(NEXT) | instid1(VALU_DEP_2)
	v_perm_b32 v18, v22, v18, 0x5040100
	v_cndmask_b32_e64 v19, 0, v19, s0
	v_cmp_gt_i32_e64 s0, s14, v57
	s_delay_alu instid0(VALU_DEP_1) | instskip(SKIP_1) | instid1(VALU_DEP_1)
	v_cndmask_b32_e64 v23, 0, v23, s0
	v_cmp_gt_i32_e64 s0, s31, v56
	v_cndmask_b32_e64 v20, 0, v20, s0
	v_cmp_gt_i32_e64 s0, s14, v54
	v_lshrrev_b32_e32 v25, 16, v21
	v_perm_b32 v19, v23, v19, 0x5040100
	s_delay_alu instid0(VALU_DEP_3) | instskip(SKIP_1) | instid1(VALU_DEP_2)
	v_cndmask_b32_e64 v24, 0, v24, s0
	v_cmp_gt_i32_e64 s0, s31, v55
	v_perm_b32 v20, v24, v20, 0x5040100
	s_delay_alu instid0(VALU_DEP_2) | instskip(SKIP_1) | instid1(VALU_DEP_1)
	v_cndmask_b32_e64 v21, 0, v21, s0
	v_cmp_gt_i32_e64 s0, s14, v53
	v_cndmask_b32_e64 v25, 0, v25, s0
	s_delay_alu instid0(VALU_DEP_1)
	v_perm_b32 v21, v25, v21, 0x5040100
	s_or_b32 exec_lo, exec_lo, s19
	global_load_b128 v[22:25], v[26:27], off offset:1536
	s_wait_xcnt 0x0
	s_and_saveexec_b32 s19, vcc_lo
	s_cbranch_execz .LBB129_54
.LBB129_59:                             ;   in Loop: Header=BB129_49 Depth=1
	v_cmp_gt_i32_e64 s0, s31, v60
	s_wait_loadcnt 0x0
	s_delay_alu instid0(VALU_DEP_1) | instskip(SKIP_1) | instid1(VALU_DEP_1)
	v_dual_lshrrev_b32 v28, 16, v22 :: v_dual_cndmask_b32 v22, 0, v22, s0
	v_cmp_gt_i32_e64 s0, s14, v58
	v_dual_lshrrev_b32 v29, 16, v23 :: v_dual_cndmask_b32 v28, 0, v28, s0
	v_cmp_gt_i32_e64 s0, s31, v59
	s_delay_alu instid0(VALU_DEP_2) | instskip(NEXT) | instid1(VALU_DEP_2)
	v_perm_b32 v22, v28, v22, 0x5040100
	v_cndmask_b32_e64 v23, 0, v23, s0
	v_cmp_gt_i32_e64 s0, s14, v57
	s_delay_alu instid0(VALU_DEP_1) | instskip(SKIP_2) | instid1(VALU_DEP_3)
	v_cndmask_b32_e64 v29, 0, v29, s0
	v_cmp_gt_i32_e64 s0, s31, v56
	v_lshrrev_b32_e32 v30, 16, v24
	v_perm_b32 v23, v29, v23, 0x5040100
	s_delay_alu instid0(VALU_DEP_3) | instskip(SKIP_1) | instid1(VALU_DEP_1)
	v_cndmask_b32_e64 v24, 0, v24, s0
	v_cmp_gt_i32_e64 s0, s14, v54
	v_dual_lshrrev_b32 v31, 16, v25 :: v_dual_cndmask_b32 v30, 0, v30, s0
	v_cmp_gt_i32_e64 s0, s31, v55
	s_delay_alu instid0(VALU_DEP_2) | instskip(NEXT) | instid1(VALU_DEP_2)
	v_perm_b32 v24, v30, v24, 0x5040100
	v_cndmask_b32_e64 v25, 0, v25, s0
	v_cmp_gt_i32_e64 s0, s14, v53
	s_delay_alu instid0(VALU_DEP_1) | instskip(NEXT) | instid1(VALU_DEP_1)
	v_cndmask_b32_e64 v31, 0, v31, s0
	v_perm_b32 v25, v31, v25, 0x5040100
	s_or_b32 exec_lo, exec_lo, s19
	global_load_b128 v[30:33], v[26:27], off offset:2048
	s_wait_xcnt 0x0
	s_and_saveexec_b32 s19, vcc_lo
	s_cbranch_execz .LBB129_55
.LBB129_60:                             ;   in Loop: Header=BB129_49 Depth=1
	v_cmp_gt_i32_e64 s0, s31, v60
	s_wait_loadcnt 0x0
	s_delay_alu instid0(VALU_DEP_1) | instskip(SKIP_1) | instid1(VALU_DEP_1)
	v_dual_lshrrev_b32 v28, 16, v30 :: v_dual_cndmask_b32 v29, 0, v30, s0
	v_cmp_gt_i32_e64 s0, s14, v58
	v_dual_lshrrev_b32 v30, 16, v31 :: v_dual_cndmask_b32 v28, 0, v28, s0
	v_cmp_gt_i32_e64 s0, s31, v59
	s_delay_alu instid0(VALU_DEP_1) | instskip(SKIP_1) | instid1(VALU_DEP_1)
	v_cndmask_b32_e64 v31, 0, v31, s0
	v_cmp_gt_i32_e64 s0, s14, v57
	v_cndmask_b32_e64 v61, 0, v30, s0
	v_cmp_gt_i32_e64 s0, s31, v56
	v_lshrrev_b32_e32 v30, 16, v32
	s_delay_alu instid0(VALU_DEP_3) | instskip(NEXT) | instid1(VALU_DEP_3)
	v_perm_b32 v31, v61, v31, 0x5040100
	v_cndmask_b32_e64 v32, 0, v32, s0
	v_cmp_gt_i32_e64 s0, s14, v54
	s_delay_alu instid0(VALU_DEP_1) | instskip(SKIP_2) | instid1(VALU_DEP_3)
	v_dual_lshrrev_b32 v62, 16, v33 :: v_dual_cndmask_b32 v63, 0, v30, s0
	v_cmp_gt_i32_e64 s0, s31, v55
	v_perm_b32 v30, v28, v29, 0x5040100
	v_perm_b32 v32, v63, v32, 0x5040100
	s_delay_alu instid0(VALU_DEP_3) | instskip(SKIP_1) | instid1(VALU_DEP_1)
	v_cndmask_b32_e64 v33, 0, v33, s0
	v_cmp_gt_i32_e64 s0, s14, v53
	v_cndmask_b32_e64 v62, 0, v62, s0
	s_delay_alu instid0(VALU_DEP_1)
	v_perm_b32 v33, v62, v33, 0x5040100
	s_or_b32 exec_lo, exec_lo, s19
	global_load_b128 v[26:29], v[26:27], off offset:2560
	s_wait_xcnt 0x0
	s_and_saveexec_b32 s0, vcc_lo
	s_cbranch_execz .LBB129_47
.LBB129_61:                             ;   in Loop: Header=BB129_49 Depth=1
	v_cmp_gt_i32_e32 vcc_lo, s31, v60
	s_wait_loadcnt 0x0
	v_dual_cndmask_b32 v26, 0, v26 :: v_dual_lshrrev_b32 v61, 16, v26
	v_cmp_gt_i32_e32 vcc_lo, s14, v58
	s_delay_alu instid0(VALU_DEP_2) | instskip(SKIP_1) | instid1(VALU_DEP_2)
	v_dual_lshrrev_b32 v60, 16, v27 :: v_dual_cndmask_b32 v58, 0, v61, vcc_lo
	v_cmp_gt_i32_e32 vcc_lo, s31, v59
	v_perm_b32 v26, v58, v26, 0x5040100
	v_cndmask_b32_e32 v27, 0, v27, vcc_lo
	v_cmp_gt_i32_e32 vcc_lo, s14, v57
	v_cndmask_b32_e32 v57, 0, v60, vcc_lo
	v_cmp_gt_i32_e32 vcc_lo, s31, v56
	v_lshrrev_b32_e32 v59, 16, v28
	s_delay_alu instid0(VALU_DEP_3) | instskip(SKIP_2) | instid1(VALU_DEP_4)
	v_perm_b32 v27, v57, v27, 0x5040100
	v_cndmask_b32_e32 v28, 0, v28, vcc_lo
	v_cmp_gt_i32_e32 vcc_lo, s14, v54
	v_dual_lshrrev_b32 v56, 16, v29 :: v_dual_cndmask_b32 v54, 0, v59, vcc_lo
	v_cmp_gt_i32_e32 vcc_lo, s31, v55
	s_delay_alu instid0(VALU_DEP_2) | instskip(SKIP_3) | instid1(VALU_DEP_1)
	v_perm_b32 v28, v54, v28, 0x5040100
	v_cndmask_b32_e32 v29, 0, v29, vcc_lo
	v_cmp_gt_i32_e32 vcc_lo, s14, v53
	v_cndmask_b32_e32 v53, 0, v56, vcc_lo
	v_perm_b32 v29, v53, v29, 0x5040100
	s_branch .LBB129_47
.LBB129_62:
	s_or_b32 exec_lo, exec_lo, s15
.LBB129_63:
	s_delay_alu instid0(SALU_CYCLE_1)
	s_or_b32 exec_lo, exec_lo, s1
	ds_bpermute_b32 v2, v49, v40
	ds_bpermute_b32 v3, v49, v41
	;; [unrolled: 1-line block ×6, first 2 shown]
	v_and_b32_e32 v9, 0x3c1, v0
	v_lshrrev_b32_e32 v8, 1, v48
	s_mov_b32 s0, exec_lo
	s_wait_dscnt 0x0
	s_barrier_signal -1
	s_barrier_wait -1
	v_pk_add_f32 v[4:5], v[40:41], v[2:3]
	v_pk_add_f32 v[2:3], v[38:39], v[10:11]
	v_cmpx_ne_u32_e32 64, v9
	s_xor_b32 s0, exec_lo, s0
	s_delay_alu instid0(SALU_CYCLE_1)
	s_or_saveexec_b32 s0, s0
	v_pk_add_f32 v[6:7], v[36:37], v[6:7]
	v_lshl_add_u32 v9, v8, 2, 0xe0
	v_mul_u32_u24_e32 v10, 0x180, v47
	s_xor_b32 exec_lo, exec_lo, s0
	s_cbranch_execz .LBB129_65
; %bb.64:
	s_delay_alu instid0(VALU_DEP_1) | instskip(NEXT) | instid1(VALU_DEP_1)
	v_add_nc_u32_e32 v11, v9, v10
	v_add_nc_u32_e32 v12, 0xfffffd00, v11
	;; [unrolled: 1-line block ×7, first 2 shown]
	ds_store_b32 v12, v4
	ds_store_b32 v13, v5
	;; [unrolled: 1-line block ×6, first 2 shown]
.LBB129_65:
	s_or_b32 exec_lo, exec_lo, s0
	v_lshlrev_b32_e32 v8, 2, v8
	s_mov_b32 s1, exec_lo
	v_cmp_eq_u32_e32 vcc_lo, 0, v46
	s_wait_dscnt 0x0
	s_barrier_signal -1
	v_add3_u32 v8, 0xe0, v10, v8
	s_barrier_wait -1
	v_cmpx_gt_u32_e32 64, v0
	s_cbranch_execz .LBB129_74
; %bb.66:
	s_and_saveexec_b32 s0, vcc_lo
	s_cbranch_execnz .LBB129_88
; %bb.67:
	s_or_b32 exec_lo, exec_lo, s0
	s_and_saveexec_b32 s0, vcc_lo
	s_cbranch_execnz .LBB129_89
.LBB129_68:
	s_or_b32 exec_lo, exec_lo, s0
	s_and_saveexec_b32 s0, vcc_lo
	s_cbranch_execnz .LBB129_90
.LBB129_69:
	s_or_b32 exec_lo, exec_lo, s0
	s_and_saveexec_b32 s0, vcc_lo
	s_cbranch_execnz .LBB129_91
.LBB129_70:
	s_or_b32 exec_lo, exec_lo, s0
	s_and_saveexec_b32 s0, vcc_lo
	s_cbranch_execnz .LBB129_92
.LBB129_71:
	s_or_b32 exec_lo, exec_lo, s0
	s_and_saveexec_b32 s0, vcc_lo
	s_cbranch_execz .LBB129_73
.LBB129_72:
	ds_load_b32 v10, v8 offset:320
	s_wait_dscnt 0x0
	v_add_f32_e32 v7, v7, v10
.LBB129_73:
	s_or_b32 exec_lo, exec_lo, s0
.LBB129_74:
	s_delay_alu instid0(SALU_CYCLE_1) | instskip(SKIP_4) | instid1(VALU_DEP_1)
	s_or_b32 exec_lo, exec_lo, s1
	v_and_b32_e32 v10, 0x3e1, v0
	s_mov_b32 s1, exec_lo
	s_barrier_signal -1
	s_barrier_wait -1
	v_cmpx_eq_u32_e32 32, v10
	s_cbranch_execz .LBB129_76
; %bb.75:
	ds_store_2addr_b32 v9, v4, v5 offset1:16
	ds_store_2addr_b32 v9, v2, v3 offset0:32 offset1:48
	ds_store_2addr_b32 v9, v6, v7 offset0:64 offset1:80
.LBB129_76:
	s_or_b32 exec_lo, exec_lo, s1
	s_delay_alu instid0(SALU_CYCLE_1)
	s_mov_b32 s1, exec_lo
	s_wait_dscnt 0x0
	s_barrier_signal -1
	s_barrier_wait -1
	v_cmpx_gt_u32_e32 32, v0
	s_cbranch_execz .LBB129_85
; %bb.77:
	s_and_saveexec_b32 s0, vcc_lo
	s_cbranch_execnz .LBB129_93
; %bb.78:
	s_or_b32 exec_lo, exec_lo, s0
	s_and_saveexec_b32 s0, vcc_lo
	s_cbranch_execnz .LBB129_94
.LBB129_79:
	s_or_b32 exec_lo, exec_lo, s0
	s_and_saveexec_b32 s0, vcc_lo
	s_cbranch_execnz .LBB129_95
.LBB129_80:
	s_or_b32 exec_lo, exec_lo, s0
	s_and_saveexec_b32 s0, vcc_lo
	s_cbranch_execnz .LBB129_96
.LBB129_81:
	s_or_b32 exec_lo, exec_lo, s0
	s_and_saveexec_b32 s0, vcc_lo
	s_cbranch_execnz .LBB129_97
.LBB129_82:
	s_or_b32 exec_lo, exec_lo, s0
	s_and_saveexec_b32 s0, vcc_lo
	s_cbranch_execz .LBB129_84
.LBB129_83:
	ds_load_b32 v0, v8 offset:320
	s_wait_dscnt 0x0
	v_add_f32_e32 v7, v7, v0
.LBB129_84:
	s_or_b32 exec_lo, exec_lo, s0
.LBB129_85:
	s_delay_alu instid0(SALU_CYCLE_1)
	s_or_b32 exec_lo, exec_lo, s1
	s_mov_b32 s1, 0
	s_barrier_signal -1
	s_barrier_wait -1
	s_mov_b32 s0, exec_lo
	v_cmpx_eq_u32_e32 0, v10
	s_cbranch_execz .LBB129_87
; %bb.86:
	s_mul_i32 s0, s30, s7
	s_mul_i32 s2, s7, s6
	;; [unrolled: 1-line block ×3, first 2 shown]
	s_lshr_b32 s8, ttmp7, 16
	s_mul_i32 s6, s0, 0x60
	s_bfe_u32 s0, ttmp6, 0x40014
	s_ashr_i32 s7, s6, 31
	s_add_co_i32 s0, s0, 1
	s_ashr_i32 s3, s2, 31
	s_mul_i32 s0, s8, s0
	s_bfe_u32 s9, ttmp6, 0x40008
	s_lshl_b64 s[6:7], s[6:7], 1
	s_lshl_b64 s[2:3], s[2:3], 1
	s_add_co_i32 s9, s9, s0
	s_cmp_eq_u32 s28, 0
	s_wait_kmcnt 0x0
	s_add_nc_u64 s[4:5], s[4:5], s[6:7]
	s_cselect_b32 s0, s8, s9
	s_add_nc_u64 s[2:3], s[4:5], s[2:3]
	s_mulk_i32 s0, 0xc0
	s_delay_alu instid0(SALU_CYCLE_1) | instskip(NEXT) | instid1(SALU_CYCLE_1)
	s_add_nc_u64 s[0:1], s[2:3], s[0:1]
	v_cvt_pk_bf16_f32 v0, v4, s0
	v_cvt_pk_bf16_f32 v4, v5, s0
	;; [unrolled: 1-line block ×6, first 2 shown]
	s_clause 0x5
	global_store_b16 v1, v0, s[0:1] scale_offset
	global_store_b16 v1, v4, s[0:1] offset:32 scale_offset
	global_store_b16 v1, v2, s[0:1] offset:64 scale_offset
	;; [unrolled: 1-line block ×5, first 2 shown]
.LBB129_87:
	s_endpgm
.LBB129_88:
	ds_load_b32 v10, v8
	s_wait_dscnt 0x0
	v_add_f32_e32 v4, v4, v10
	s_or_b32 exec_lo, exec_lo, s0
	s_and_saveexec_b32 s0, vcc_lo
	s_cbranch_execz .LBB129_68
.LBB129_89:
	ds_load_b32 v10, v8 offset:64
	s_wait_dscnt 0x0
	v_add_f32_e32 v5, v5, v10
	s_or_b32 exec_lo, exec_lo, s0
	s_and_saveexec_b32 s0, vcc_lo
	s_cbranch_execz .LBB129_69
.LBB129_90:
	ds_load_b32 v10, v8 offset:128
	s_wait_dscnt 0x0
	v_add_f32_e32 v2, v2, v10
	s_or_b32 exec_lo, exec_lo, s0
	s_and_saveexec_b32 s0, vcc_lo
	s_cbranch_execz .LBB129_70
.LBB129_91:
	ds_load_b32 v10, v8 offset:192
	s_wait_dscnt 0x0
	v_add_f32_e32 v3, v3, v10
	s_or_b32 exec_lo, exec_lo, s0
	s_and_saveexec_b32 s0, vcc_lo
	s_cbranch_execz .LBB129_71
.LBB129_92:
	ds_load_b32 v10, v8 offset:256
	s_wait_dscnt 0x0
	v_add_f32_e32 v6, v6, v10
	s_or_b32 exec_lo, exec_lo, s0
	s_and_saveexec_b32 s0, vcc_lo
	s_cbranch_execnz .LBB129_72
	s_branch .LBB129_73
.LBB129_93:
	ds_load_b32 v0, v8
	s_wait_dscnt 0x0
	v_add_f32_e32 v4, v4, v0
	s_or_b32 exec_lo, exec_lo, s0
	s_and_saveexec_b32 s0, vcc_lo
	s_cbranch_execz .LBB129_79
.LBB129_94:
	ds_load_b32 v0, v8 offset:64
	s_wait_dscnt 0x0
	v_add_f32_e32 v5, v5, v0
	s_or_b32 exec_lo, exec_lo, s0
	s_and_saveexec_b32 s0, vcc_lo
	s_cbranch_execz .LBB129_80
.LBB129_95:
	ds_load_b32 v0, v8 offset:128
	s_wait_dscnt 0x0
	v_add_f32_e32 v2, v2, v0
	s_or_b32 exec_lo, exec_lo, s0
	s_and_saveexec_b32 s0, vcc_lo
	s_cbranch_execz .LBB129_81
.LBB129_96:
	ds_load_b32 v0, v8 offset:192
	s_wait_dscnt 0x0
	v_add_f32_e32 v3, v3, v0
	s_or_b32 exec_lo, exec_lo, s0
	s_and_saveexec_b32 s0, vcc_lo
	s_cbranch_execz .LBB129_82
.LBB129_97:
	ds_load_b32 v0, v8 offset:256
	s_wait_dscnt 0x0
	v_add_f32_e32 v6, v6, v0
	s_or_b32 exec_lo, exec_lo, s0
	s_and_saveexec_b32 s0, vcc_lo
	s_cbranch_execnz .LBB129_83
	s_branch .LBB129_84
	.section	.rodata,"a",@progbits
	.p2align	6, 0x0
	.amdhsa_kernel _ZN4vllm25paged_attention_v1_kernelI14__hip_bfloat16S1_Li96ELi16ELi128ELNS_18Fp8KVCacheDataTypeE0ELb1EEEvPT_PKS3_PKT0_S9_ifPKiSB_iPKfiiiSD_SD_iiiii
		.amdhsa_group_segment_fixed_size 224
		.amdhsa_private_segment_fixed_size 0
		.amdhsa_kernarg_size 384
		.amdhsa_user_sgpr_count 2
		.amdhsa_user_sgpr_dispatch_ptr 0
		.amdhsa_user_sgpr_queue_ptr 0
		.amdhsa_user_sgpr_kernarg_segment_ptr 1
		.amdhsa_user_sgpr_dispatch_id 0
		.amdhsa_user_sgpr_kernarg_preload_length 0
		.amdhsa_user_sgpr_kernarg_preload_offset 0
		.amdhsa_user_sgpr_private_segment_size 0
		.amdhsa_wavefront_size32 1
		.amdhsa_uses_dynamic_stack 0
		.amdhsa_enable_private_segment 0
		.amdhsa_system_sgpr_workgroup_id_x 1
		.amdhsa_system_sgpr_workgroup_id_y 1
		.amdhsa_system_sgpr_workgroup_id_z 1
		.amdhsa_system_sgpr_workgroup_info 0
		.amdhsa_system_vgpr_workitem_id 0
		.amdhsa_next_free_vgpr 64
		.amdhsa_next_free_sgpr 40
		.amdhsa_named_barrier_count 0
		.amdhsa_reserve_vcc 1
		.amdhsa_float_round_mode_32 0
		.amdhsa_float_round_mode_16_64 0
		.amdhsa_float_denorm_mode_32 3
		.amdhsa_float_denorm_mode_16_64 3
		.amdhsa_fp16_overflow 0
		.amdhsa_memory_ordered 1
		.amdhsa_forward_progress 1
		.amdhsa_inst_pref_size 62
		.amdhsa_round_robin_scheduling 0
		.amdhsa_exception_fp_ieee_invalid_op 0
		.amdhsa_exception_fp_denorm_src 0
		.amdhsa_exception_fp_ieee_div_zero 0
		.amdhsa_exception_fp_ieee_overflow 0
		.amdhsa_exception_fp_ieee_underflow 0
		.amdhsa_exception_fp_ieee_inexact 0
		.amdhsa_exception_int_div_zero 0
	.end_amdhsa_kernel
	.section	.text._ZN4vllm25paged_attention_v1_kernelI14__hip_bfloat16S1_Li96ELi16ELi128ELNS_18Fp8KVCacheDataTypeE0ELb1EEEvPT_PKS3_PKT0_S9_ifPKiSB_iPKfiiiSD_SD_iiiii,"axG",@progbits,_ZN4vllm25paged_attention_v1_kernelI14__hip_bfloat16S1_Li96ELi16ELi128ELNS_18Fp8KVCacheDataTypeE0ELb1EEEvPT_PKS3_PKT0_S9_ifPKiSB_iPKfiiiSD_SD_iiiii,comdat
.Lfunc_end129:
	.size	_ZN4vllm25paged_attention_v1_kernelI14__hip_bfloat16S1_Li96ELi16ELi128ELNS_18Fp8KVCacheDataTypeE0ELb1EEEvPT_PKS3_PKT0_S9_ifPKiSB_iPKfiiiSD_SD_iiiii, .Lfunc_end129-_ZN4vllm25paged_attention_v1_kernelI14__hip_bfloat16S1_Li96ELi16ELi128ELNS_18Fp8KVCacheDataTypeE0ELb1EEEvPT_PKS3_PKT0_S9_ifPKiSB_iPKfiiiSD_SD_iiiii
                                        ; -- End function
	.set _ZN4vllm25paged_attention_v1_kernelI14__hip_bfloat16S1_Li96ELi16ELi128ELNS_18Fp8KVCacheDataTypeE0ELb1EEEvPT_PKS3_PKT0_S9_ifPKiSB_iPKfiiiSD_SD_iiiii.num_vgpr, 64
	.set _ZN4vllm25paged_attention_v1_kernelI14__hip_bfloat16S1_Li96ELi16ELi128ELNS_18Fp8KVCacheDataTypeE0ELb1EEEvPT_PKS3_PKT0_S9_ifPKiSB_iPKfiiiSD_SD_iiiii.num_agpr, 0
	.set _ZN4vllm25paged_attention_v1_kernelI14__hip_bfloat16S1_Li96ELi16ELi128ELNS_18Fp8KVCacheDataTypeE0ELb1EEEvPT_PKS3_PKT0_S9_ifPKiSB_iPKfiiiSD_SD_iiiii.numbered_sgpr, 40
	.set _ZN4vllm25paged_attention_v1_kernelI14__hip_bfloat16S1_Li96ELi16ELi128ELNS_18Fp8KVCacheDataTypeE0ELb1EEEvPT_PKS3_PKT0_S9_ifPKiSB_iPKfiiiSD_SD_iiiii.num_named_barrier, 0
	.set _ZN4vllm25paged_attention_v1_kernelI14__hip_bfloat16S1_Li96ELi16ELi128ELNS_18Fp8KVCacheDataTypeE0ELb1EEEvPT_PKS3_PKT0_S9_ifPKiSB_iPKfiiiSD_SD_iiiii.private_seg_size, 0
	.set _ZN4vllm25paged_attention_v1_kernelI14__hip_bfloat16S1_Li96ELi16ELi128ELNS_18Fp8KVCacheDataTypeE0ELb1EEEvPT_PKS3_PKT0_S9_ifPKiSB_iPKfiiiSD_SD_iiiii.uses_vcc, 1
	.set _ZN4vllm25paged_attention_v1_kernelI14__hip_bfloat16S1_Li96ELi16ELi128ELNS_18Fp8KVCacheDataTypeE0ELb1EEEvPT_PKS3_PKT0_S9_ifPKiSB_iPKfiiiSD_SD_iiiii.uses_flat_scratch, 0
	.set _ZN4vllm25paged_attention_v1_kernelI14__hip_bfloat16S1_Li96ELi16ELi128ELNS_18Fp8KVCacheDataTypeE0ELb1EEEvPT_PKS3_PKT0_S9_ifPKiSB_iPKfiiiSD_SD_iiiii.has_dyn_sized_stack, 0
	.set _ZN4vllm25paged_attention_v1_kernelI14__hip_bfloat16S1_Li96ELi16ELi128ELNS_18Fp8KVCacheDataTypeE0ELb1EEEvPT_PKS3_PKT0_S9_ifPKiSB_iPKfiiiSD_SD_iiiii.has_recursion, 0
	.set _ZN4vllm25paged_attention_v1_kernelI14__hip_bfloat16S1_Li96ELi16ELi128ELNS_18Fp8KVCacheDataTypeE0ELb1EEEvPT_PKS3_PKT0_S9_ifPKiSB_iPKfiiiSD_SD_iiiii.has_indirect_call, 0
	.section	.AMDGPU.csdata,"",@progbits
; Kernel info:
; codeLenInByte = 7936
; TotalNumSgprs: 42
; NumVgprs: 64
; ScratchSize: 0
; MemoryBound: 0
; FloatMode: 240
; IeeeMode: 1
; LDSByteSize: 224 bytes/workgroup (compile time only)
; SGPRBlocks: 0
; VGPRBlocks: 3
; NumSGPRsForWavesPerEU: 42
; NumVGPRsForWavesPerEU: 64
; NamedBarCnt: 0
; Occupancy: 16
; WaveLimiterHint : 1
; COMPUTE_PGM_RSRC2:SCRATCH_EN: 0
; COMPUTE_PGM_RSRC2:USER_SGPR: 2
; COMPUTE_PGM_RSRC2:TRAP_HANDLER: 0
; COMPUTE_PGM_RSRC2:TGID_X_EN: 1
; COMPUTE_PGM_RSRC2:TGID_Y_EN: 1
; COMPUTE_PGM_RSRC2:TGID_Z_EN: 1
; COMPUTE_PGM_RSRC2:TIDIG_COMP_CNT: 0
	.section	.text._ZN4vllm25paged_attention_v1_kernelI14__hip_bfloat16S1_Li112ELi16ELi128ELNS_18Fp8KVCacheDataTypeE0ELb1EEEvPT_PKS3_PKT0_S9_ifPKiSB_iPKfiiiSD_SD_iiiii,"axG",@progbits,_ZN4vllm25paged_attention_v1_kernelI14__hip_bfloat16S1_Li112ELi16ELi128ELNS_18Fp8KVCacheDataTypeE0ELb1EEEvPT_PKS3_PKT0_S9_ifPKiSB_iPKfiiiSD_SD_iiiii,comdat
	.protected	_ZN4vllm25paged_attention_v1_kernelI14__hip_bfloat16S1_Li112ELi16ELi128ELNS_18Fp8KVCacheDataTypeE0ELb1EEEvPT_PKS3_PKT0_S9_ifPKiSB_iPKfiiiSD_SD_iiiii ; -- Begin function _ZN4vllm25paged_attention_v1_kernelI14__hip_bfloat16S1_Li112ELi16ELi128ELNS_18Fp8KVCacheDataTypeE0ELb1EEEvPT_PKS3_PKT0_S9_ifPKiSB_iPKfiiiSD_SD_iiiii
	.globl	_ZN4vllm25paged_attention_v1_kernelI14__hip_bfloat16S1_Li112ELi16ELi128ELNS_18Fp8KVCacheDataTypeE0ELb1EEEvPT_PKS3_PKT0_S9_ifPKiSB_iPKfiiiSD_SD_iiiii
	.p2align	8
	.type	_ZN4vllm25paged_attention_v1_kernelI14__hip_bfloat16S1_Li112ELi16ELi128ELNS_18Fp8KVCacheDataTypeE0ELb1EEEvPT_PKS3_PKT0_S9_ifPKiSB_iPKfiiiSD_SD_iiiii,@function
_ZN4vllm25paged_attention_v1_kernelI14__hip_bfloat16S1_Li112ELi16ELi128ELNS_18Fp8KVCacheDataTypeE0ELb1EEEvPT_PKS3_PKT0_S9_ifPKiSB_iPKfiiiSD_SD_iiiii: ; @_ZN4vllm25paged_attention_v1_kernelI14__hip_bfloat16S1_Li112ELi16ELi128ELNS_18Fp8KVCacheDataTypeE0ELb1EEEvPT_PKS3_PKT0_S9_ifPKiSB_iPKfiiiSD_SD_iiiii
; %bb.0:
	s_load_b64 s[22:23], s[0:1], 0x20
	s_bfe_u32 s3, ttmp6, 0x4000c
	s_bfe_u32 s4, ttmp6, 0x40010
	s_and_b32 s6, ttmp7, 0xffff
	s_add_co_i32 s3, s3, 1
	s_add_co_i32 s4, s4, 1
	s_and_b32 s2, ttmp6, 15
	s_bfe_u32 s5, ttmp6, 0x40004
	s_mul_i32 s3, ttmp9, s3
	s_mul_i32 s4, s6, s4
	s_getreg_b32 s28, hwreg(HW_REG_IB_STS2, 6, 4)
	s_add_co_i32 s2, s2, s3
	s_add_co_i32 s3, s5, s4
	s_cmp_eq_u32 s28, 0
	s_clause 0x1
	s_load_b32 s29, s[0:1], 0x80
	s_load_b64 s[4:5], s[0:1], 0x30
	s_cselect_b32 s30, s6, s3
	s_cselect_b32 s2, ttmp9, s2
	s_mov_b32 s17, 0
	s_delay_alu instid0(SALU_CYCLE_1) | instskip(SKIP_2) | instid1(SALU_CYCLE_1)
	s_mov_b32 s35, s17
	s_wait_kmcnt 0x0
	s_abs_i32 s3, s22
	s_cvt_f32_u32 s6, s3
	s_sub_co_i32 s7, 0, s3
	s_delay_alu instid0(SALU_CYCLE_2) | instskip(SKIP_2) | instid1(TRANS32_DEP_1)
	v_rcp_iflag_f32_e32 v1, s6
	s_abs_i32 s8, s29
	v_nop
	v_readfirstlane_b32 s6, v1
	s_mul_f32 s6, s6, 0x4f7ffffe
	s_delay_alu instid0(SALU_CYCLE_3) | instskip(NEXT) | instid1(SALU_CYCLE_3)
	s_cvt_u32_f32 s6, s6
	s_mul_i32 s7, s7, s6
	s_delay_alu instid0(SALU_CYCLE_1) | instskip(NEXT) | instid1(SALU_CYCLE_1)
	s_mul_hi_u32 s7, s6, s7
	s_add_co_i32 s6, s6, s7
	s_xor_b32 s7, s29, s22
	s_mul_hi_u32 s6, s8, s6
	s_ashr_i32 s7, s7, 31
	s_mul_i32 s9, s6, s3
	s_delay_alu instid0(SALU_CYCLE_1)
	s_sub_co_i32 s8, s8, s9
	s_add_co_i32 s9, s6, 1
	s_sub_co_i32 s10, s8, s3
	s_cmp_ge_u32 s8, s3
	s_cselect_b32 s6, s9, s6
	s_cselect_b32 s8, s10, s8
	s_add_co_i32 s9, s6, 1
	s_cmp_ge_u32 s8, s3
	s_cselect_b32 s3, s9, s6
	s_load_b64 s[8:9], s[0:1], 0x40
	s_xor_b32 s3, s3, s7
	s_abs_i32 s16, s2
	s_sub_co_i32 s10, s3, s7
	s_mov_b32 s7, s17
	s_abs_i32 s15, s10
	s_delay_alu instid0(SALU_CYCLE_1) | instskip(SKIP_1) | instid1(SALU_CYCLE_2)
	s_cvt_f32_u32 s3, s15
	s_sub_co_i32 s6, 0, s15
	v_rcp_iflag_f32_e32 v1, s3
	v_nop
	s_delay_alu instid0(TRANS32_DEP_1) | instskip(SKIP_1) | instid1(SALU_CYCLE_3)
	v_readfirstlane_b32 s3, v1
	s_mul_f32 s3, s3, 0x4f7ffffe
	s_cvt_u32_f32 s3, s3
	s_delay_alu instid0(SALU_CYCLE_3) | instskip(NEXT) | instid1(SALU_CYCLE_1)
	s_mul_i32 s6, s6, s3
	s_mul_hi_u32 s6, s3, s6
	s_delay_alu instid0(SALU_CYCLE_1)
	s_add_co_i32 s6, s3, s6
	s_wait_kmcnt 0x0
	s_cmp_eq_u64 s[8:9], 0
	s_cbranch_scc1 .LBB130_2
; %bb.1:
	s_ashr_i32 s3, s2, 31
	s_delay_alu instid0(SALU_CYCLE_1) | instskip(NEXT) | instid1(SALU_CYCLE_1)
	s_lshl_b64 s[12:13], s[2:3], 2
	s_add_nc_u64 s[8:9], s[8:9], s[12:13]
	s_load_b32 s35, s[8:9], 0x0
.LBB130_2:
	s_load_b32 s31, s[4:5], s30 offset:0x0 scale_offset
	s_load_b96 s[12:14], s[0:1], 0x48
	v_dual_lshrrev_b32 v1, 1, v0 :: v_dual_bitop2_b32 v50, 1, v0 bitop3:0x40
	s_wait_xcnt 0x0
	s_mul_u64 s[4:5], s[16:17], s[6:7]
	s_ashr_i32 s3, s2, 31
	s_ashr_i32 s18, s10, 31
	s_mul_i32 s6, s2, 0x70
	s_mov_b32 s4, exec_lo
	v_cmpx_gt_u32_e32 28, v0
	s_cbranch_execz .LBB130_4
; %bb.3:
	s_load_b64 s[8:9], s[0:1], 0x8
	s_wait_kmcnt 0x0
	s_mul_i32 s10, s12, s30
	s_ashr_i32 s7, s6, 31
	s_ashr_i32 s11, s10, 31
	v_lshlrev_b32_e32 v4, 3, v1
	s_lshl_b64 s[10:11], s[10:11], 1
	s_delay_alu instid0(VALU_DEP_1) | instskip(SKIP_2) | instid1(SALU_CYCLE_1)
	v_mad_u32_u24 v4, 0x70, v50, v4
	s_add_nc_u64 s[8:9], s[8:9], s[10:11]
	s_lshl_b64 s[10:11], s[6:7], 1
	s_add_nc_u64 s[8:9], s[8:9], s[10:11]
	global_load_b64 v[2:3], v0, s[8:9] scale_offset
	s_wait_loadcnt 0x0
	ds_store_b64 v4, v[2:3]
.LBB130_4:
	s_or_b32 exec_lo, exec_lo, s4
	s_load_b128 s[8:11], s[0:1], 0x68
	s_mul_i32 s4, s5, s15
	s_xor_b32 s3, s3, s18
	s_sub_co_i32 s4, s16, s4
	s_add_co_i32 s7, s5, 1
	s_wait_kmcnt 0x0
	s_sub_co_i32 s12, s4, s15
	s_cmp_ge_u32 s4, s15
	s_mov_b32 s18, -1
	s_cselect_b32 s5, s7, s5
	s_cselect_b32 s4, s12, s4
	s_add_co_i32 s12, s5, 1
	s_cmp_ge_u32 s4, s15
	s_load_b32 s7, s[0:1], 0x78
	s_cselect_b32 s4, s12, s5
	s_add_co_i32 s15, s31, -1
	s_xor_b32 s4, s4, s3
	s_wait_dscnt 0x0
	s_sub_co_i32 s3, s4, s3
	s_barrier_signal -1
	s_barrier_wait -1
	s_abs_i32 s12, s11
	s_delay_alu instid0(SALU_CYCLE_1) | instskip(NEXT) | instid1(SALU_CYCLE_3)
	s_cvt_f32_u32 s5, s12
                                        ; implicit-def: $sgpr33
	v_rcp_iflag_f32_e32 v2, s5
	v_nop
	s_delay_alu instid0(TRANS32_DEP_1) | instskip(SKIP_1) | instid1(SALU_CYCLE_3)
	v_readfirstlane_b32 s5, v2
	s_mul_f32 s4, s5, 0x4f7ffffe
	s_cvt_u32_f32 s16, s4
	s_sub_co_i32 s4, 0, s12
	s_delay_alu instid0(SALU_CYCLE_2)
	s_mul_i32 s5, s4, s16
	s_abs_i32 s4, s15
	s_mul_hi_u32 s17, s16, s5
	s_mov_b32 s5, 0
	s_add_co_i32 s16, s16, s17
	s_wait_kmcnt 0x0
	s_cmp_lt_i32 s7, 0
	s_mov_b32 s17, s5
	s_cbranch_scc0 .LBB130_6
; %bb.5:
	s_mul_i32 s18, s8, s22
	s_delay_alu instid0(SALU_CYCLE_1) | instskip(NEXT) | instid1(SALU_CYCLE_1)
	s_add_co_i32 s18, s3, s18
	s_mul_i32 s18, s18, s7
	s_delay_alu instid0(SALU_CYCLE_1)
	s_sub_co_i32 s33, 1, s18
	s_mov_b32 s18, s5
.LBB130_6:
	s_ashr_i32 s15, s15, 31
	s_ashr_i32 s11, s11, 31
	s_and_not1_b32 vcc_lo, exec_lo, s18
	s_mul_u64 s[24:25], s[4:5], s[16:17]
	s_cbranch_vccnz .LBB130_8
; %bb.7:
	s_mul_i32 s5, s29, s8
	s_delay_alu instid0(SALU_CYCLE_1) | instskip(NEXT) | instid1(SALU_CYCLE_1)
	s_add_co_i32 s2, s5, s2
	s_mul_i32 s2, s2, s7
	s_delay_alu instid0(SALU_CYCLE_1)
	s_add_co_i32 s33, s2, 1
.LBB130_8:
	s_load_b32 s2, s[0:1], 0x38
	s_mul_i32 s7, s25, s12
	s_xor_b32 s5, s15, s11
	s_sub_co_i32 s4, s4, s7
	s_add_co_i32 s8, s25, 1
	s_clause 0x1
	s_load_b64 s[18:19], s[0:1], 0x28
	s_load_b32 s7, s[0:1], 0x88
	v_dual_lshrrev_b32 v51, 5, v0 :: v_dual_lshlrev_b32 v9, 3, v0
	v_dual_mov_b32 v13, 0xff7fffff :: v_dual_lshrrev_b32 v8, 3, v0
	v_mbcnt_lo_u32_b32 v10, -1, 0
	s_delay_alu instid0(VALU_DEP_3)
	v_lshlrev_b32_e32 v38, 4, v51
	s_mul_i32 s14, s3, s14
	s_wait_kmcnt 0x0
	s_mul_i32 s20, s2, s30
	s_sub_co_i32 s2, s4, s12
	s_ashr_i32 s21, s20, 31
	s_cmp_ge_u32 s4, s12
	s_cselect_b32 s8, s8, s25
	s_cselect_b32 s2, s2, s4
	s_add_co_i32 s4, s8, 1
	s_cmp_ge_u32 s2, s12
	s_cselect_b32 s2, s4, s8
	s_add_co_i32 s4, s31, 15
	s_delay_alu instid0(SALU_CYCLE_1) | instskip(NEXT) | instid1(SALU_CYCLE_1)
	s_ashr_i32 s8, s4, 31
	s_lshr_b32 s8, s8, 28
	s_delay_alu instid0(SALU_CYCLE_1) | instskip(NEXT) | instid1(SALU_CYCLE_1)
	s_add_co_i32 s4, s4, s8
	s_ashr_i32 s34, s4, 4
	s_xor_b32 s4, s2, s5
	v_cmp_gt_i32_e64 s2, s34, v51
	s_sub_co_i32 s8, s4, s5
	s_and_saveexec_b32 s22, s2
	s_cbranch_execz .LBB130_20
; %bb.9:
	s_load_b64 s[4:5], s[0:1], 0x10
	s_ashr_i32 s15, s14, 31
	s_sub_co_i32 s36, s8, s9
	s_ashr_i32 s25, s13, 31
	s_lshl_b64 s[38:39], s[14:15], 1
	s_cmp_neq_f32 s35, 0
	v_bfe_u32 v11, v0, 1, 4
	v_mov_b32_e32 v3, 0
	v_mul_u32_u24_e32 v12, 0x70, v50
	s_cselect_b32 vcc_lo, -1, 0
	s_abs_i32 s15, s10
	v_lshlrev_b32_e32 v2, 4, v11
	s_cvt_f32_u32 s3, s15
	v_lshlrev_b32_e32 v7, 2, v11
	v_subrev_nc_u32_e32 v6, s31, v11
	s_sub_co_i32 s26, 0, s15
	v_rcp_iflag_f32_e32 v4, s3
	v_cmp_eq_u32_e64 s3, 0, v50
	v_dual_mov_b32 v16, 0xff7fffff :: v_dual_mov_b32 v13, 0xff7fffff
	s_wait_kmcnt 0x0
	s_add_nc_u64 s[4:5], s[4:5], s[38:39]
	v_add_nc_u32_e32 v14, 1, v6
	v_xor_b32_e32 v17, 1, v10
	v_readfirstlane_b32 s24, v4
	v_add_nc_u64_e32 v[4:5], s[4:5], v[2:3]
	v_and_b32_e32 v2, 8, v9
	v_lshl_or_b32 v7, v51, 6, v7
	s_lshl_b64 s[4:5], s[20:21], 2
	s_mul_f32 s24, s24, 0x4f7ffffe
	s_add_nc_u64 s[4:5], s[18:19], s[4:5]
	s_delay_alu instid0(VALU_DEP_1)
	v_dual_mov_b32 v18, v51 :: v_dual_add_nc_u32 v15, 0x100, v7
	v_add_nc_u64_e32 v[4:5], v[4:5], v[2:3]
	v_and_b32_e32 v2, 0x7c, v8
	s_cvt_u32_f32 s37, s24
	s_mov_b32 s27, 0
	s_mov_b32 s24, s13
	s_delay_alu instid0(VALU_DEP_1) | instskip(SKIP_3) | instid1(SALU_CYCLE_1)
	v_add_nc_u64_e32 v[6:7], s[4:5], v[2:3]
	s_mul_i32 s26, s26, s37
	v_lshlrev_b32_e32 v2, 4, v51
	s_mul_hi_u32 s4, s37, s26
	s_add_co_i32 s26, s37, s4
	s_mov_b32 s37, s27
	s_branch .LBB130_12
.LBB130_10:                             ;   in Loop: Header=BB130_12 Depth=1
	s_or_b32 exec_lo, exec_lo, s38
.LBB130_11:                             ;   in Loop: Header=BB130_12 Depth=1
	s_delay_alu instid0(SALU_CYCLE_1) | instskip(SKIP_4) | instid1(VALU_DEP_4)
	s_or_b32 exec_lo, exec_lo, s5
	v_add_nc_u32_e32 v18, 4, v18
	v_add_nc_u64_e32 v[6:7], 16, v[6:7]
	v_add_nc_u32_e32 v2, 64, v2
	v_add_nc_u32_e32 v15, 0x100, v15
	v_cmp_le_i32_e64 s4, s34, v18
	s_or_b32 s37, s4, s37
	s_delay_alu instid0(SALU_CYCLE_1)
	s_and_not1_b32 exec_lo, exec_lo, s37
	s_cbranch_execz .LBB130_19
.LBB130_12:                             ; =>This Inner Loop Header: Depth=1
	s_wait_dscnt 0x0
	v_mul_u64_e32 v[20:21], s[16:17], v[2:3]
	s_delay_alu instid0(VALU_DEP_1) | instskip(NEXT) | instid1(VALU_DEP_1)
	v_mul_lo_u32 v19, v21, s12
	v_dual_add_nc_u32 v20, 1, v21 :: v_dual_sub_nc_u32 v19, v2, v19
	s_delay_alu instid0(VALU_DEP_1) | instskip(SKIP_1) | instid1(VALU_DEP_1)
	v_subrev_nc_u32_e32 v22, s12, v19
	v_cmp_le_u32_e64 s4, s12, v19
	v_dual_cndmask_b32 v20, v21, v20, s4 :: v_dual_cndmask_b32 v19, v19, v22, s4
	s_delay_alu instid0(VALU_DEP_1) | instskip(NEXT) | instid1(VALU_DEP_2)
	v_add_nc_u32_e32 v21, 1, v20
	v_cmp_le_u32_e64 s4, s12, v19
	s_delay_alu instid0(VALU_DEP_1) | instskip(NEXT) | instid1(VALU_DEP_1)
	v_dual_cndmask_b32 v19, v20, v21, s4 :: v_dual_mov_b32 v21, v3
	v_xor_b32_e32 v19, s11, v19
	s_delay_alu instid0(VALU_DEP_1) | instskip(NEXT) | instid1(VALU_DEP_1)
	v_subrev_nc_u32_e32 v19, s11, v19
	v_add_nc_u32_e32 v24, s33, v19
	v_cmp_ge_i32_e64 s5, s36, v19
	s_delay_alu instid0(VALU_DEP_2) | instskip(NEXT) | instid1(VALU_DEP_1)
	v_sub_nc_u32_e32 v20, 0, v24
	v_max_i32_e32 v20, v24, v20
	s_delay_alu instid0(VALU_DEP_1) | instskip(SKIP_1) | instid1(VALU_DEP_2)
	v_mul_u64_e32 v[22:23], s[26:27], v[20:21]
	v_ashrrev_i32_e32 v22, 31, v24
	v_mul_lo_u32 v21, v23, s15
	s_delay_alu instid0(VALU_DEP_1) | instskip(NEXT) | instid1(VALU_DEP_1)
	v_sub_nc_u32_e32 v20, v20, v21
	v_subrev_nc_u32_e32 v21, s15, v20
	v_cmp_le_u32_e64 s4, s15, v20
	s_delay_alu instid0(VALU_DEP_1) | instskip(NEXT) | instid1(VALU_DEP_1)
	v_cndmask_b32_e64 v20, v20, v21, s4
	v_subrev_nc_u32_e32 v21, s15, v20
	v_cmp_le_u32_e64 s4, s15, v20
	s_delay_alu instid0(VALU_DEP_1) | instskip(NEXT) | instid1(VALU_DEP_1)
	v_cndmask_b32_e64 v20, v20, v21, s4
	v_xor_b32_e32 v20, v20, v22
	s_delay_alu instid0(VALU_DEP_1) | instskip(NEXT) | instid1(VALU_DEP_1)
	v_sub_nc_u32_e32 v20, v20, v22
	v_cmp_ne_u32_e64 s4, 0, v20
	s_and_b32 s4, s4, s5
	s_delay_alu instid0(SALU_CYCLE_1) | instskip(NEXT) | instid1(SALU_CYCLE_1)
	s_and_saveexec_b32 s5, s4
	s_xor_b32 s4, exec_lo, s5
	s_cbranch_execz .LBB130_16
; %bb.13:                               ;   in Loop: Header=BB130_12 Depth=1
	s_and_saveexec_b32 s5, s3
; %bb.14:                               ;   in Loop: Header=BB130_12 Depth=1
	ds_store_b32 v15, v16
; %bb.15:                               ;   in Loop: Header=BB130_12 Depth=1
	s_or_b32 exec_lo, exec_lo, s5
.LBB130_16:                             ;   in Loop: Header=BB130_12 Depth=1
	s_and_not1_saveexec_b32 s5, s4
	s_cbranch_execz .LBB130_11
; %bb.17:                               ;   in Loop: Header=BB130_12 Depth=1
	global_load_b32 v20, v[6:7], off
	v_cmp_gt_i32_e64 s4, 32, v17
	s_wait_loadcnt 0x0
	v_ashrrev_i32_e32 v21, 31, v20
	s_delay_alu instid0(VALU_DEP_1) | instskip(NEXT) | instid1(VALU_DEP_1)
	v_mul_u64_e32 v[20:21], s[24:25], v[20:21]
	v_lshl_add_u64 v[20:21], v[20:21], 1, v[4:5]
	s_clause 0xd
	global_load_b64 v[32:33], v[20:21], off offset:256
	global_load_b64 v[36:37], v[20:21], off
	global_load_b64 v[40:41], v[20:21], off offset:512
	global_load_b64 v[42:43], v[20:21], off offset:768
	global_load_b64 v[44:45], v[20:21], off offset:1024
	global_load_b64 v[46:47], v[20:21], off offset:1280
	global_load_b64 v[48:49], v[20:21], off offset:1536
	global_load_b64 v[52:53], v[20:21], off offset:1792
	global_load_b64 v[54:55], v[20:21], off offset:2048
	global_load_b64 v[56:57], v[20:21], off offset:2304
	global_load_b64 v[58:59], v[20:21], off offset:2560
	global_load_b64 v[60:61], v[20:21], off offset:2816
	global_load_b64 v[62:63], v[20:21], off offset:3072
	global_load_b64 v[64:65], v[20:21], off offset:3328
	s_wait_xcnt 0x0
	ds_load_b128 v[20:23], v12
	ds_load_b128 v[24:27], v12 offset:16
	ds_load_b128 v[28:31], v12 offset:32
	s_wait_dscnt 0x2
	v_lshlrev_b32_e32 v19, 16, v22
	v_and_b32_e32 v22, 0xffff0000, v22
	v_lshlrev_b32_e32 v35, 16, v23
	v_and_b32_e32 v23, 0xffff0000, v23
	s_wait_loadcnt 0xd
	v_lshlrev_b32_e32 v34, 16, v32
	v_and_b32_e32 v32, 0xffff0000, v32
	v_lshlrev_b32_e32 v39, 16, v33
	v_and_b32_e32 v66, 0xffff0000, v33
	s_delay_alu instid0(VALU_DEP_3) | instskip(NEXT) | instid1(VALU_DEP_3)
	v_dual_mul_f32 v19, v19, v34 :: v_dual_mul_f32 v22, v22, v32
	v_mul_f32_e32 v39, v35, v39
	ds_load_b128 v[32:35], v12 offset:48
	s_wait_loadcnt 0xc
	v_fma_mix_f32_bf16 v19, v20, v36, v19 op_sel_hi:[1,1,0]
	v_fma_mix_f32_bf16 v20, v20, v36, v22 op_sel:[1,1,0] op_sel_hi:[1,1,0]
	v_mul_f32_e32 v22, v23, v66
	v_fma_mix_f32_bf16 v23, v21, v37, v39 op_sel_hi:[1,1,0]
	s_wait_loadcnt_dscnt 0xb02
	v_fma_mix_f32_bf16 v19, v24, v40, v19 op_sel_hi:[1,1,0]
	v_fma_mix_f32_bf16 v20, v24, v40, v20 op_sel:[1,1,0] op_sel_hi:[1,1,0]
	v_fma_mix_f32_bf16 v24, v21, v37, v22 op_sel:[1,1,0] op_sel_hi:[1,1,0]
	v_fma_mix_f32_bf16 v36, v25, v41, v23 op_sel_hi:[1,1,0]
	s_wait_loadcnt 0xa
	v_fma_mix_f32_bf16 v19, v26, v42, v19 op_sel_hi:[1,1,0]
	v_fma_mix_f32_bf16 v26, v26, v42, v20 op_sel:[1,1,0] op_sel_hi:[1,1,0]
	ds_load_b128 v[20:23], v12 offset:64
	v_fma_mix_f32_bf16 v24, v25, v41, v24 op_sel:[1,1,0] op_sel_hi:[1,1,0]
	v_fma_mix_f32_bf16 v25, v27, v43, v36 op_sel_hi:[1,1,0]
	s_wait_loadcnt_dscnt 0x902
	v_fma_mix_f32_bf16 v19, v28, v44, v19 op_sel_hi:[1,1,0]
	v_fma_mix_f32_bf16 v26, v28, v44, v26 op_sel:[1,1,0] op_sel_hi:[1,1,0]
	v_fma_mix_f32_bf16 v28, v27, v43, v24 op_sel:[1,1,0] op_sel_hi:[1,1,0]
	v_fma_mix_f32_bf16 v36, v29, v45, v25 op_sel_hi:[1,1,0]
	s_wait_loadcnt 0x8
	v_fma_mix_f32_bf16 v19, v30, v46, v19 op_sel_hi:[1,1,0]
	v_fma_mix_f32_bf16 v30, v30, v46, v26 op_sel:[1,1,0] op_sel_hi:[1,1,0]
	ds_load_b128 v[24:27], v12 offset:80
	v_fma_mix_f32_bf16 v28, v29, v45, v28 op_sel:[1,1,0] op_sel_hi:[1,1,0]
	;; [unrolled: 11-line block ×3, first 2 shown]
	v_fma_mix_f32_bf16 v33, v35, v53, v36 op_sel_hi:[1,1,0]
	s_wait_loadcnt_dscnt 0x502
	v_fma_mix_f32_bf16 v19, v20, v54, v19 op_sel_hi:[1,1,0]
	v_fma_mix_f32_bf16 v20, v20, v54, v34 op_sel:[1,1,0] op_sel_hi:[1,1,0]
	v_fma_mix_f32_bf16 v32, v35, v53, v32 op_sel:[1,1,0] op_sel_hi:[1,1,0]
	v_fma_mix_f32_bf16 v33, v21, v55, v33 op_sel_hi:[1,1,0]
	s_wait_loadcnt 0x4
	v_fma_mix_f32_bf16 v19, v22, v56, v19 op_sel_hi:[1,1,0]
	v_fma_mix_f32_bf16 v20, v22, v56, v20 op_sel:[1,1,0] op_sel_hi:[1,1,0]
	v_fma_mix_f32_bf16 v21, v21, v55, v32 op_sel:[1,1,0] op_sel_hi:[1,1,0]
	v_fma_mix_f32_bf16 v22, v23, v57, v33 op_sel_hi:[1,1,0]
	s_wait_loadcnt_dscnt 0x301
	v_fma_mix_f32_bf16 v19, v24, v58, v19 op_sel_hi:[1,1,0]
	v_fma_mix_f32_bf16 v20, v24, v58, v20 op_sel:[1,1,0] op_sel_hi:[1,1,0]
	v_fma_mix_f32_bf16 v21, v23, v57, v21 op_sel:[1,1,0] op_sel_hi:[1,1,0]
	v_fma_mix_f32_bf16 v22, v25, v59, v22 op_sel_hi:[1,1,0]
	s_wait_loadcnt 0x2
	v_fma_mix_f32_bf16 v19, v26, v60, v19 op_sel_hi:[1,1,0]
	v_fma_mix_f32_bf16 v20, v26, v60, v20 op_sel:[1,1,0] op_sel_hi:[1,1,0]
	v_fma_mix_f32_bf16 v21, v25, v59, v21 op_sel:[1,1,0] op_sel_hi:[1,1,0]
	;; [unrolled: 10-line block ×3, first 2 shown]
	v_fma_mix_f32_bf16 v22, v65, v31, v22 op_sel_hi:[1,1,0]
	s_delay_alu instid0(VALU_DEP_3) | instskip(NEXT) | instid1(VALU_DEP_3)
	v_dual_add_f32 v19, v19, v20 :: v_dual_cndmask_b32 v20, v10, v17, s4
	v_fma_mix_f32_bf16 v21, v65, v31, v21 op_sel:[1,1,0] op_sel_hi:[1,1,0]
	s_delay_alu instid0(VALU_DEP_2) | instskip(NEXT) | instid1(VALU_DEP_1)
	v_dual_add_f32 v19, v19, v22 :: v_dual_lshlrev_b32 v20, 2, v20
	v_add_f32_e32 v19, v21, v19
	ds_bpermute_b32 v20, v20, v19
	s_and_saveexec_b32 s38, s3
	s_cbranch_execz .LBB130_10
; %bb.18:                               ;   in Loop: Header=BB130_12 Depth=1
	s_wait_dscnt 0x0
	v_dual_add_nc_u32 v21, v14, v2 :: v_dual_add_f32 v19, v19, v20
	s_delay_alu instid0(VALU_DEP_1) | instskip(NEXT) | instid1(VALU_DEP_1)
	v_cvt_f32_i32_e32 v21, v21
	v_mul_f32_e32 v21, s35, v21
	s_delay_alu instid0(VALU_DEP_1) | instskip(NEXT) | instid1(VALU_DEP_1)
	v_cndmask_b32_e32 v20, 0, v21, vcc_lo
	v_dual_fmac_f32 v20, s23, v19 :: v_dual_add_nc_u32 v19, v11, v2
	s_delay_alu instid0(VALU_DEP_1) | instskip(NEXT) | instid1(VALU_DEP_1)
	v_cmp_gt_i32_e64 s4, s31, v19
	v_dual_max_num_f32 v21, v13, v13 :: v_dual_cndmask_b32 v19, 0, v20, s4
	s_delay_alu instid0(VALU_DEP_1)
	v_max_num_f32_e32 v21, v21, v20
	ds_store_b32 v15, v19
	v_cndmask_b32_e64 v13, v13, v21, s4
	s_branch .LBB130_10
.LBB130_19:
	s_or_b32 exec_lo, exec_lo, s37
.LBB130_20:
	s_delay_alu instid0(SALU_CYCLE_1)
	s_or_b32 exec_lo, exec_lo, s22
	v_dual_max_num_f32 v5, v13, v13 :: v_dual_bitop2_b32 v2, 16, v10 bitop3:0x14
	v_xor_b32_e32 v4, 8, v10
	s_clause 0x1
	s_load_b64 s[4:5], s[0:1], 0x0
	s_load_b64 s[22:23], s[0:1], 0x18
	v_and_b32_e32 v52, 31, v0
	v_cmp_gt_i32_e32 vcc_lo, 32, v2
	v_cndmask_b32_e32 v2, v10, v2, vcc_lo
	v_cmp_gt_i32_e32 vcc_lo, 32, v4
	s_delay_alu instid0(VALU_DEP_2) | instskip(SKIP_3) | instid1(VALU_DEP_1)
	v_dual_cndmask_b32 v4, v10, v4 :: v_dual_lshlrev_b32 v3, 2, v2
	ds_bpermute_b32 v2, v3, v13
	s_wait_dscnt 0x0
	v_dual_max_num_f32 v2, v2, v2 :: v_dual_lshlrev_b32 v4, 2, v4
	v_max_num_f32_e32 v2, v5, v2
	ds_bpermute_b32 v5, v4, v2
	s_wait_dscnt 0x0
	v_dual_max_num_f32 v7, v5, v5 :: v_dual_bitop2_b32 v6, 4, v10 bitop3:0x14
	s_delay_alu instid0(VALU_DEP_1) | instskip(NEXT) | instid1(VALU_DEP_2)
	v_max_num_f32_e32 v2, v2, v7
	v_cmp_gt_i32_e32 vcc_lo, 32, v6
	v_xor_b32_e32 v7, 2, v10
	v_cndmask_b32_e32 v6, v10, v6, vcc_lo
	s_delay_alu instid0(VALU_DEP_2) | instskip(NEXT) | instid1(VALU_DEP_2)
	v_cmp_gt_i32_e32 vcc_lo, 32, v7
	v_dual_cndmask_b32 v11, v10, v7, vcc_lo :: v_dual_lshlrev_b32 v5, 2, v6
	v_cmp_eq_u32_e32 vcc_lo, 0, v52
	ds_bpermute_b32 v6, v5, v2
	s_wait_dscnt 0x0
	v_max_num_f32_e32 v6, v6, v6
	s_delay_alu instid0(VALU_DEP_1)
	v_dual_max_num_f32 v7, v2, v6 :: v_dual_lshlrev_b32 v2, 2, v11
	v_lshlrev_b32_e32 v6, 2, v51
	ds_bpermute_b32 v11, v2, v7
	s_wait_xcnt 0x0
	s_and_saveexec_b32 s0, vcc_lo
	s_cbranch_execz .LBB130_22
; %bb.21:
	s_wait_dscnt 0x0
	v_max_num_f32_e32 v11, v11, v11
	v_max_num_f32_e32 v7, v7, v7
	s_delay_alu instid0(VALU_DEP_1)
	v_max_num_f32_e32 v7, v7, v11
	ds_store_b32 v6, v7 offset:224
.LBB130_22:
	s_or_b32 exec_lo, exec_lo, s0
	v_cmp_gt_u32_e64 s0, 4, v52
	s_wait_dscnt 0x0
	v_mov_b32_e32 v11, 0xff7fffff
	v_lshlrev_b32_e32 v7, 2, v52
	s_barrier_signal -1
	s_barrier_wait -1
	s_and_saveexec_b32 s1, s0
; %bb.23:
	ds_load_b32 v11, v7 offset:224
; %bb.24:
	s_or_b32 exec_lo, exec_lo, s1
	s_wait_dscnt 0x0
	ds_bpermute_b32 v12, v2, v11
	v_dual_max_num_f32 v11, v11, v11 :: v_dual_bitop2_b32 v13, 1, v10 bitop3:0x14
	s_delay_alu instid0(VALU_DEP_1) | instskip(NEXT) | instid1(VALU_DEP_1)
	v_cmp_gt_i32_e64 s1, 32, v13
	v_cndmask_b32_e64 v10, v10, v13, s1
	s_lshl_b32 s1, s34, 4
	s_delay_alu instid0(SALU_CYCLE_1) | instskip(NEXT) | instid1(SALU_CYCLE_1)
	s_min_i32 s15, s1, s31
	v_cmp_gt_i32_e64 s1, s15, v0
	s_wait_dscnt 0x0
	v_dual_max_num_f32 v12, v12, v12 :: v_dual_lshlrev_b32 v53, 2, v10
	s_delay_alu instid0(VALU_DEP_1) | instskip(SKIP_3) | instid1(VALU_DEP_1)
	v_max_num_f32_e32 v10, v11, v12
	ds_bpermute_b32 v11, v53, v10
	s_wait_dscnt 0x0
	v_max_num_f32_e32 v11, v11, v11
	v_dual_max_num_f32 v11, v10, v11 :: v_dual_mov_b32 v10, 0
	ds_bpermute_b32 v11, v10, v11
	s_and_saveexec_b32 s24, s1
	s_cbranch_execz .LBB130_28
; %bb.25:
	v_lshl_add_u32 v12, v0, 2, 0x100
	v_dual_mov_b32 v10, 0 :: v_dual_mov_b32 v13, v0
	s_mov_b32 s25, 0
.LBB130_26:                             ; =>This Inner Loop Header: Depth=1
	ds_load_b32 v14, v12
	v_add_nc_u32_e32 v13, 0x80, v13
	s_delay_alu instid0(VALU_DEP_1) | instskip(SKIP_3) | instid1(VALU_DEP_1)
	v_cmp_le_i32_e64 s3, s15, v13
	s_or_b32 s25, s3, s25
	s_wait_dscnt 0x0
	v_sub_f32_e32 v14, v14, v11
	v_mul_f32_e32 v14, 0x3fb8aa3b, v14
	s_delay_alu instid0(VALU_DEP_1)
	v_exp_f32_e32 v14, v14
	ds_store_b32 v12, v14
	v_nop
	v_add_f32_e32 v10, v10, v14
	v_add_nc_u32_e32 v12, 0x200, v12
	s_and_not1_b32 exec_lo, exec_lo, s25
	s_cbranch_execnz .LBB130_26
; %bb.27:
	s_or_b32 exec_lo, exec_lo, s25
.LBB130_28:
	s_delay_alu instid0(SALU_CYCLE_1)
	s_or_b32 exec_lo, exec_lo, s24
	ds_bpermute_b32 v3, v3, v10
	s_wait_dscnt 0x0
	v_add_f32_e32 v3, v10, v3
	ds_bpermute_b32 v4, v4, v3
	s_wait_dscnt 0x0
	v_add_f32_e32 v3, v3, v4
	;; [unrolled: 3-line block ×5, first 2 shown]
	s_and_saveexec_b32 s3, vcc_lo
; %bb.29:
	ds_store_b32 v6, v3 offset:240
; %bb.30:
	s_or_b32 exec_lo, exec_lo, s3
	s_wait_dscnt 0x0
	s_barrier_signal -1
	s_barrier_wait -1
	s_and_saveexec_b32 s3, s0
; %bb.31:
	ds_load_b32 v3, v7 offset:240
; %bb.32:
	s_or_b32 exec_lo, exec_lo, s3
	s_wait_dscnt 0x0
	ds_bpermute_b32 v2, v2, v3
	s_wait_dscnt 0x0
	v_dual_mov_b32 v41, 0 :: v_dual_add_f32 v2, v3, v2
	ds_bpermute_b32 v3, v53, v2
	s_wait_dscnt 0x0
	v_add_f32_e32 v2, v2, v3
	ds_bpermute_b32 v2, v41, v2
	s_and_saveexec_b32 s0, s1
	s_cbranch_execz .LBB130_45
; %bb.33:
	s_wait_dscnt 0x0
	v_add_f32_e32 v2, 0x358637bd, v2
	s_mov_b32 s3, -1
	s_mov_b32 s1, exec_lo
	s_delay_alu instid0(VALU_DEP_1) | instskip(NEXT) | instid1(VALU_DEP_1)
	v_div_scale_f32 v3, null, v2, v2, 1.0
	v_rcp_f32_e32 v5, v3
	v_nop
	s_delay_alu instid0(TRANS32_DEP_1) | instskip(NEXT) | instid1(VALU_DEP_1)
	v_fma_f32 v4, -v3, v5, 1.0
	v_fmac_f32_e32 v5, v4, v5
	v_div_scale_f32 v6, vcc_lo, 1.0, v2, 1.0
	s_delay_alu instid0(VALU_DEP_1) | instskip(NEXT) | instid1(VALU_DEP_1)
	v_mul_f32_e32 v7, v6, v5
	v_fma_f32 v4, -v3, v7, v6
	s_delay_alu instid0(VALU_DEP_1) | instskip(SKIP_1) | instid1(VALU_DEP_2)
	v_fmac_f32_e32 v7, v4, v5
	v_xad_u32 v4, v0, -1, s15
	v_fma_f32 v3, -v3, v7, v6
	s_delay_alu instid0(VALU_DEP_1) | instskip(NEXT) | instid1(VALU_DEP_1)
	v_div_fmas_f32 v3, v3, v5, v7
	v_div_fixup_f32 v2, v3, v2, 1.0
	v_mov_b32_e32 v3, v0
	v_cmpx_lt_u32_e32 0x7f, v4
	s_cbranch_execz .LBB130_42
; %bb.34:
	s_delay_alu instid0(VALU_DEP_3) | instskip(NEXT) | instid1(VALU_DEP_1)
	v_dual_mov_b32 v3, v2 :: v_dual_lshrrev_b32 v4, 7, v4
	v_dual_mov_b32 v10, 0 :: v_dual_add_nc_u32 v5, -1, v4
	s_delay_alu instid0(VALU_DEP_1) | instskip(SKIP_1) | instid1(VALU_DEP_2)
	v_lshrrev_b32_e32 v6, 1, v5
	v_cmp_lt_u32_e32 vcc_lo, 13, v5
	v_add_nc_u32_e32 v5, 1, v6
	s_and_saveexec_b32 s3, vcc_lo
	s_cbranch_execz .LBB130_38
; %bb.35:
	s_delay_alu instid0(VALU_DEP_1)
	v_and_b32_e32 v6, -8, v5
	v_lshl_add_u32 v7, v0, 2, 0x100
	s_mov_b32 s24, 0
	s_mov_b32 s25, 0
.LBB130_36:                             ; =>This Inner Loop Header: Depth=1
	ds_load_2addr_stride64_b32 v[10:11], v7 offset1:2
	ds_load_2addr_stride64_b32 v[12:13], v7 offset0:4 offset1:6
	ds_load_2addr_stride64_b32 v[14:15], v7 offset0:8 offset1:10
	;; [unrolled: 1-line block ×7, first 2 shown]
	s_add_co_i32 s25, s25, 16
	v_add_nc_u32_e32 v6, -8, v6
	s_wait_dscnt 0x7
	v_pk_mul_f32 v[10:11], v[2:3], v[10:11]
	s_wait_dscnt 0x6
	v_pk_mul_f32 v[12:13], v[2:3], v[12:13]
	;; [unrolled: 2-line block ×8, first 2 shown]
	ds_store_2addr_stride64_b32 v7, v10, v11 offset1:2
	ds_store_2addr_stride64_b32 v7, v12, v13 offset0:4 offset1:6
	ds_store_2addr_stride64_b32 v7, v14, v15 offset0:8 offset1:10
	;; [unrolled: 1-line block ×7, first 2 shown]
	v_mov_b32_e32 v10, s25
	v_cmp_eq_u32_e32 vcc_lo, 0, v6
	v_add_nc_u32_e32 v7, 0x2000, v7
	s_or_b32 s24, vcc_lo, s24
	s_delay_alu instid0(SALU_CYCLE_1)
	s_and_not1_b32 exec_lo, exec_lo, s24
	s_cbranch_execnz .LBB130_36
; %bb.37:
	s_or_b32 exec_lo, exec_lo, s24
.LBB130_38:
	s_delay_alu instid0(SALU_CYCLE_1) | instskip(NEXT) | instid1(VALU_DEP_1)
	s_or_b32 exec_lo, exec_lo, s3
	v_and_b32_e32 v5, 7, v5
	s_mov_b32 s24, 0
	s_mov_b32 s3, exec_lo
	s_delay_alu instid0(VALU_DEP_1)
	v_cmpx_ne_u32_e32 0, v5
	s_cbranch_execz .LBB130_41
; %bb.39:
	v_dual_lshlrev_b32 v6, 9, v10 :: v_dual_lshlrev_b32 v7, 2, v0
	s_delay_alu instid0(VALU_DEP_1)
	v_add3_u32 v6, v6, v7, 0x100
.LBB130_40:                             ; =>This Inner Loop Header: Depth=1
	ds_load_2addr_stride64_b32 v[10:11], v6 offset1:2
	v_add_nc_u32_e32 v5, -1, v5
	s_delay_alu instid0(VALU_DEP_1)
	v_cmp_eq_u32_e32 vcc_lo, 0, v5
	s_or_b32 s24, vcc_lo, s24
	s_wait_dscnt 0x0
	v_pk_mul_f32 v[10:11], v[2:3], v[10:11]
	ds_store_2addr_stride64_b32 v6, v10, v11 offset1:2
	v_add_nc_u32_e32 v6, 0x400, v6
	s_and_not1_b32 exec_lo, exec_lo, s24
	s_cbranch_execnz .LBB130_40
.LBB130_41:
	s_or_b32 exec_lo, exec_lo, s3
	v_add_nc_u32_e32 v3, 1, v4
	s_delay_alu instid0(VALU_DEP_1) | instskip(NEXT) | instid1(VALU_DEP_1)
	v_and_b32_e32 v4, 0x3fffffe, v3
	v_cmp_ne_u32_e32 vcc_lo, v3, v4
	v_lshl_add_u32 v3, v4, 7, v0
	s_or_not1_b32 s3, vcc_lo, exec_lo
.LBB130_42:
	s_or_b32 exec_lo, exec_lo, s1
	s_delay_alu instid0(SALU_CYCLE_1)
	s_and_b32 exec_lo, exec_lo, s3
	s_cbranch_execz .LBB130_45
; %bb.43:
	v_lshl_add_u32 v4, v3, 2, 0x100
	s_mov_b32 s1, 0
.LBB130_44:                             ; =>This Inner Loop Header: Depth=1
	ds_load_b32 v5, v4
	v_add_nc_u32_e32 v3, 0x80, v3
	s_delay_alu instid0(VALU_DEP_1)
	v_cmp_le_i32_e32 vcc_lo, s15, v3
	s_or_b32 s1, vcc_lo, s1
	s_wait_dscnt 0x0
	v_mul_f32_e32 v5, v2, v5
	ds_store_b32 v4, v5
	v_add_nc_u32_e32 v4, 0x200, v4
	s_and_not1_b32 exec_lo, exec_lo, s1
	s_cbranch_execnz .LBB130_44
.LBB130_45:
	s_or_b32 exec_lo, exec_lo, s0
	v_dual_mov_b32 v40, 0 :: v_dual_mov_b32 v43, 0
	v_dual_mov_b32 v42, 0 :: v_dual_mov_b32 v45, 0
	;; [unrolled: 1-line block ×3, first 2 shown]
	s_wait_dscnt 0x0
	s_barrier_signal -1
	s_barrier_wait -1
	s_and_saveexec_b32 s1, s2
	s_cbranch_execz .LBB130_65
; %bb.46:
	s_abs_i32 s10, s10
	v_dual_lshlrev_b32 v4, 4, v0 :: v_dual_bitop2_b32 v55, 8, v9 bitop3:0x40
	s_cvt_f32_u32 s0, s10
	v_dual_mov_b32 v39, 0 :: v_dual_lshlrev_b32 v6, 5, v50
	s_ashr_i32 s15, s14, 31
	s_delay_alu instid0(SALU_CYCLE_1)
	v_rcp_iflag_f32_e32 v3, s0
	v_and_b32_e32 v2, 0x7c, v8
	v_and_b32_e32 v4, 0x1f0, v4
	v_mov_b32_e32 v5, v39
	s_lshl_b64 s[20:21], s[20:21], 2
	s_lshl_b64 s[14:15], s[14:15], 1
	v_lshl_or_b32 v6, v51, 6, v6
	v_readfirstlane_b32 s0, v3
	v_mov_b32_e32 v3, v39
	s_add_nc_u64 s[18:19], s[18:19], s[20:21]
	s_wait_kmcnt 0x0
	s_add_nc_u64 s[14:15], s[22:23], s[14:15]
	s_sub_co_i32 s24, s8, s9
	s_mul_f32 s0, s0, 0x4f7ffffe
	s_sub_co_i32 s8, 0, s10
	v_add_nc_u64_e32 v[46:47], s[14:15], v[4:5]
	v_add_nc_u64_e32 v[48:49], s[18:19], v[2:3]
	s_cvt_u32_f32 s0, s0
	v_dual_mov_b32 v57, v51 :: v_dual_add_nc_u32 v56, 0x100, v6
	v_dual_mov_b32 v54, v39 :: v_dual_mov_b32 v44, v39
	s_delay_alu instid0(SALU_CYCLE_1)
	s_mul_i32 s8, s8, s0
	v_dual_mov_b32 v45, v39 :: v_dual_mov_b32 v42, v39
	v_dual_mov_b32 v43, v39 :: v_dual_mov_b32 v40, v39
	v_mov_b32_e32 v41, v39
	s_mov_b32 s9, 0
	s_mul_hi_u32 s8, s0, s8
	s_ashr_i32 s3, s13, 31
	s_mov_b32 s2, s13
	s_add_co_i32 s13, s34, -1
	s_mov_b32 s14, s31
	s_add_co_i32 s8, s0, s8
	s_mov_b32 s15, s9
	s_branch .LBB130_49
.LBB130_47:                             ;   in Loop: Header=BB130_49 Depth=1
	s_or_b32 exec_lo, exec_lo, s0
	s_wait_dscnt 0x1
	v_cvt_pk_bf16_f32 v14, v14, v15
	v_cvt_pk_bf16_f32 v15, v16, v17
	s_wait_dscnt 0x0
	v_cvt_pk_bf16_f32 v10, v10, v11
	v_cvt_pk_bf16_f32 v12, v12, v13
	s_wait_loadcnt 0x1
	v_pk_mul_bf16 v11, v14, v34
	v_pk_mul_bf16 v16, v15, v35
	v_pk_mul_bf16 v13, v10, v36
	v_pk_mul_bf16 v30, v14, v30
	v_pk_mul_bf16 v31, v15, v31
	s_delay_alu instid0(VALU_DEP_4)
	v_dual_lshlrev_b32 v17, 16, v11 :: v_dual_lshlrev_b32 v34, 16, v16
	v_and_b32_e32 v11, 0xffff0000, v11
	v_and_b32_e32 v16, 0xffff0000, v16
	v_lshlrev_b32_e32 v35, 16, v13
	v_and_b32_e32 v13, 0xffff0000, v13
	v_pk_mul_bf16 v32, v10, v32
	s_delay_alu instid0(VALU_DEP_4)
	v_dual_add_f32 v11, v17, v11 :: v_dual_add_f32 v16, v34, v16
	v_lshlrev_b32_e32 v34, 16, v30
	v_pk_mul_bf16 v17, v12, v37
	v_add_f32_e32 v13, v35, v13
	v_pk_mul_bf16 v33, v12, v33
	v_add_f32_e32 v11, v16, v11
	v_and_b32_e32 v16, 0xffff0000, v30
	v_dual_lshlrev_b32 v30, 16, v31 :: v_dual_lshlrev_b32 v35, 16, v17
	v_and_b32_e32 v31, 0xffff0000, v31
	v_and_b32_e32 v17, 0xffff0000, v17
	s_delay_alu instid0(VALU_DEP_4) | instskip(SKIP_1) | instid1(VALU_DEP_4)
	v_dual_add_f32 v16, v34, v16 :: v_dual_add_f32 v11, v13, v11
	v_pk_mul_bf16 v22, v14, v22
	v_dual_add_f32 v30, v30, v31 :: v_dual_lshlrev_b32 v31, 16, v32
	v_and_b32_e32 v32, 0xffff0000, v32
	v_add_f32_e32 v13, v35, v17
	v_pk_mul_bf16 v24, v10, v24
	s_delay_alu instid0(VALU_DEP_4) | instskip(NEXT) | instid1(VALU_DEP_4)
	v_dual_add_f32 v16, v30, v16 :: v_dual_lshlrev_b32 v30, 16, v33
	v_add_f32_e32 v17, v31, v32
	v_and_b32_e32 v31, 0xffff0000, v33
	v_add_f32_e32 v11, v13, v11
	v_pk_mul_bf16 v13, v15, v23
	s_delay_alu instid0(VALU_DEP_4) | instskip(NEXT) | instid1(VALU_DEP_4)
	v_dual_add_f32 v16, v17, v16 :: v_dual_lshlrev_b32 v23, 16, v22
	v_add_f32_e32 v17, v30, v31
	v_and_b32_e32 v22, 0xffff0000, v22
	s_delay_alu instid0(VALU_DEP_4) | instskip(SKIP_1) | instid1(VALU_DEP_3)
	v_dual_add_f32 v41, v41, v11 :: v_dual_lshlrev_b32 v30, 16, v13
	v_and_b32_e32 v13, 0xffff0000, v13
	v_dual_add_f32 v11, v17, v16 :: v_dual_add_f32 v16, v23, v22
	v_lshlrev_b32_e32 v17, 16, v24
	v_and_b32_e32 v22, 0xffff0000, v24
	s_delay_alu instid0(VALU_DEP_3) | instskip(SKIP_2) | instid1(VALU_DEP_4)
	v_dual_add_f32 v13, v30, v13 :: v_dual_add_f32 v40, v40, v11
	v_pk_mul_bf16 v11, v12, v25
	v_pk_mul_bf16 v20, v10, v20
	v_add_f32_e32 v17, v17, v22
	s_delay_alu instid0(VALU_DEP_4) | instskip(SKIP_4) | instid1(VALU_DEP_4)
	v_add_f32_e32 v13, v13, v16
	v_pk_mul_bf16 v16, v14, v18
	v_pk_mul_bf16 v18, v15, v19
	v_lshlrev_b32_e32 v19, 16, v11
	v_and_b32_e32 v11, 0xffff0000, v11
	v_dual_add_f32 v13, v17, v13 :: v_dual_lshlrev_b32 v22, 16, v16
	s_delay_alu instid0(VALU_DEP_4)
	v_lshlrev_b32_e32 v23, 16, v18
	v_and_b32_e32 v16, 0xffff0000, v16
	v_and_b32_e32 v18, 0xffff0000, v18
	v_add_f32_e32 v11, v19, v11
	v_and_b32_e32 v19, 0xffff0000, v20
	v_pk_mul_bf16 v6, v14, v6
	s_delay_alu instid0(VALU_DEP_4)
	v_dual_add_f32 v16, v22, v16 :: v_dual_add_f32 v17, v23, v18
	v_pk_mul_bf16 v7, v15, v7
	v_lshlrev_b32_e32 v18, 16, v20
	v_pk_mul_bf16 v20, v12, v21
	v_pk_mul_bf16 v8, v10, v8
	v_add_f32_e32 v16, v17, v16
	v_pk_mul_bf16 v2, v14, v2
	v_dual_add_f32 v17, v18, v19 :: v_dual_lshlrev_b32 v18, 16, v6
	v_and_b32_e32 v6, 0xffff0000, v6
	v_lshlrev_b32_e32 v19, 16, v7
	v_and_b32_e32 v7, 0xffff0000, v7
	s_delay_alu instid0(VALU_DEP_4) | instskip(NEXT) | instid1(VALU_DEP_4)
	v_add_f32_e32 v16, v17, v16
	v_dual_add_f32 v6, v18, v6 :: v_dual_lshlrev_b32 v17, 16, v20
	s_delay_alu instid0(VALU_DEP_3) | instskip(SKIP_4) | instid1(VALU_DEP_4)
	v_dual_add_f32 v7, v19, v7 :: v_dual_lshlrev_b32 v18, 16, v8
	v_and_b32_e32 v8, 0xffff0000, v8
	v_pk_mul_bf16 v3, v15, v3
	v_and_b32_e32 v19, 0xffff0000, v20
	v_pk_mul_bf16 v9, v12, v9
	v_dual_add_f32 v6, v7, v6 :: v_dual_add_f32 v7, v18, v8
	s_delay_alu instid0(VALU_DEP_4) | instskip(SKIP_2) | instid1(VALU_DEP_4)
	v_dual_lshlrev_b32 v8, 16, v2 :: v_dual_lshlrev_b32 v18, 16, v3
	v_and_b32_e32 v2, 0xffff0000, v2
	v_and_b32_e32 v3, 0xffff0000, v3
	v_dual_add_f32 v17, v17, v19 :: v_dual_add_f32 v6, v7, v6
	v_pk_mul_bf16 v4, v10, v4
	s_delay_alu instid0(VALU_DEP_3)
	v_dual_add_f32 v2, v8, v2 :: v_dual_add_f32 v3, v18, v3
	v_lshlrev_b32_e32 v7, 16, v9
	v_and_b32_e32 v8, 0xffff0000, v9
	s_wait_loadcnt 0x0
	v_pk_mul_bf16 v10, v10, v28
	v_pk_mul_bf16 v5, v12, v5
	v_add_f32_e32 v2, v3, v2
	v_pk_mul_bf16 v3, v14, v26
	v_pk_mul_bf16 v14, v15, v27
	v_lshlrev_b32_e32 v9, 16, v4
	v_and_b32_e32 v4, 0xffff0000, v4
	s_delay_alu instid0(VALU_DEP_4) | instskip(SKIP_1) | instid1(VALU_DEP_3)
	v_lshlrev_b32_e32 v15, 16, v3
	v_and_b32_e32 v3, 0xffff0000, v3
	v_dual_lshlrev_b32 v18, 16, v14 :: v_dual_add_f32 v4, v9, v4
	v_and_b32_e32 v14, 0xffff0000, v14
	v_pk_mul_bf16 v9, v12, v29
	s_delay_alu instid0(VALU_DEP_4) | instskip(SKIP_1) | instid1(VALU_DEP_4)
	v_dual_add_f32 v3, v3, v15 :: v_dual_lshlrev_b32 v12, 16, v10
	v_and_b32_e32 v10, 0xffff0000, v10
	v_dual_add_f32 v14, v14, v18 :: v_dual_lshlrev_b32 v15, 16, v5
	v_and_b32_e32 v5, 0xffff0000, v5
	s_delay_alu instid0(VALU_DEP_3) | instskip(NEXT) | instid1(VALU_DEP_3)
	v_dual_lshlrev_b32 v18, 16, v9 :: v_dual_add_f32 v10, v10, v12
	v_dual_add_f32 v2, v4, v2 :: v_dual_add_f32 v3, v14, v3
	v_and_b32_e32 v9, 0xffff0000, v9
	v_add_f32_e32 v7, v7, v8
	v_add_f32_e32 v4, v15, v5
	s_delay_alu instid0(VALU_DEP_4) | instskip(NEXT) | instid1(VALU_DEP_4)
	v_dual_add_f32 v8, v11, v13 :: v_dual_add_f32 v3, v10, v3
	v_add_f32_e32 v5, v9, v18
	s_delay_alu instid0(VALU_DEP_4) | instskip(NEXT) | instid1(VALU_DEP_3)
	v_dual_add_f32 v9, v17, v16 :: v_dual_add_f32 v6, v7, v6
	v_dual_add_f32 v2, v4, v2 :: v_dual_add_f32 v43, v43, v8
	s_delay_alu instid0(VALU_DEP_2) | instskip(NEXT) | instid1(VALU_DEP_3)
	v_dual_add_f32 v3, v5, v3 :: v_dual_add_f32 v42, v42, v9
	v_add_f32_e32 v45, v45, v6
	s_delay_alu instid0(VALU_DEP_2)
	v_dual_add_f32 v44, v44, v2 :: v_dual_add_f32 v54, v54, v3
.LBB130_48:                             ;   in Loop: Header=BB130_49 Depth=1
	s_or_b32 exec_lo, exec_lo, s18
	v_dual_add_nc_u32 v57, 4, v57 :: v_dual_add_nc_u32 v38, 64, v38
	v_add_nc_u64_e32 v[48:49], 16, v[48:49]
	v_add_nc_u32_e32 v56, 0x100, v56
	s_delay_alu instid0(VALU_DEP_3) | instskip(SKIP_1) | instid1(SALU_CYCLE_1)
	v_cmp_le_i32_e32 vcc_lo, s34, v57
	s_or_b32 s15, vcc_lo, s15
	s_and_not1_b32 exec_lo, exec_lo, s15
	s_cbranch_execz .LBB130_64
.LBB130_49:                             ; =>This Inner Loop Header: Depth=1
	v_mul_u64_e32 v[2:3], s[16:17], v[38:39]
	s_delay_alu instid0(VALU_DEP_1) | instskip(NEXT) | instid1(VALU_DEP_1)
	v_mul_lo_u32 v2, v3, s12
	v_dual_add_nc_u32 v4, 1, v3 :: v_dual_sub_nc_u32 v2, v38, v2
	s_delay_alu instid0(VALU_DEP_1) | instskip(SKIP_1) | instid1(VALU_DEP_2)
	v_subrev_nc_u32_e32 v5, s12, v2
	v_cmp_le_u32_e32 vcc_lo, s12, v2
	v_dual_cndmask_b32 v3, v3, v4 :: v_dual_cndmask_b32 v2, v2, v5
	s_delay_alu instid0(VALU_DEP_1) | instskip(NEXT) | instid1(VALU_DEP_2)
	v_add_nc_u32_e32 v4, 1, v3
	v_cmp_le_u32_e32 vcc_lo, s12, v2
	s_delay_alu instid0(VALU_DEP_2) | instskip(NEXT) | instid1(VALU_DEP_1)
	v_cndmask_b32_e32 v2, v3, v4, vcc_lo
	v_dual_mov_b32 v3, v39 :: v_dual_bitop2_b32 v2, s11, v2 bitop3:0x14
	s_delay_alu instid0(VALU_DEP_1) | instskip(NEXT) | instid1(VALU_DEP_1)
	v_subrev_nc_u32_e32 v6, s11, v2
	v_add_nc_u32_e32 v7, s33, v6
	v_cmp_lt_i32_e64 s0, s24, v6
	s_delay_alu instid0(VALU_DEP_2) | instskip(NEXT) | instid1(VALU_DEP_1)
	v_sub_nc_u32_e32 v2, 0, v7
	v_max_i32_e32 v2, v7, v2
	s_delay_alu instid0(VALU_DEP_1) | instskip(SKIP_1) | instid1(VALU_DEP_2)
	v_mul_u64_e32 v[4:5], s[8:9], v[2:3]
	v_ashrrev_i32_e32 v4, 31, v7
	v_mul_lo_u32 v3, v5, s10
	s_delay_alu instid0(VALU_DEP_1) | instskip(NEXT) | instid1(VALU_DEP_1)
	v_sub_nc_u32_e32 v2, v2, v3
	v_subrev_nc_u32_e32 v3, s10, v2
	v_cmp_le_u32_e32 vcc_lo, s10, v2
	s_delay_alu instid0(VALU_DEP_2) | instskip(NEXT) | instid1(VALU_DEP_1)
	v_cndmask_b32_e32 v2, v2, v3, vcc_lo
	v_subrev_nc_u32_e32 v3, s10, v2
	v_cmp_le_u32_e32 vcc_lo, s10, v2
	s_delay_alu instid0(VALU_DEP_2) | instskip(NEXT) | instid1(VALU_DEP_1)
	v_cndmask_b32_e32 v2, v2, v3, vcc_lo
	v_xor_b32_e32 v2, v2, v4
	s_delay_alu instid0(VALU_DEP_1) | instskip(NEXT) | instid1(VALU_DEP_1)
	v_sub_nc_u32_e32 v2, v2, v4
	v_cmp_eq_u32_e32 vcc_lo, 0, v2
	s_or_b32 s0, vcc_lo, s0
	s_delay_alu instid0(SALU_CYCLE_1)
	s_and_saveexec_b32 s18, s0
	s_cbranch_execz .LBB130_48
; %bb.50:                               ;   in Loop: Header=BB130_49 Depth=1
	global_load_b32 v2, v[48:49], off
	v_add_nc_u32_e32 v65, v55, v38
	v_cmp_eq_u32_e32 vcc_lo, s13, v57
	s_delay_alu instid0(VALU_DEP_2)
	v_or_b32_e32 v62, 3, v65
	v_or_b32_e32 v64, 2, v65
	;; [unrolled: 1-line block ×5, first 2 shown]
	v_dual_add_nc_u32 v63, 1, v65 :: v_dual_bitop2_b32 v60, 6, v65 bitop3:0x54
	s_wait_loadcnt 0x0
	v_ashrrev_i32_e32 v3, 31, v2
	s_delay_alu instid0(VALU_DEP_1) | instskip(NEXT) | instid1(VALU_DEP_1)
	v_mul_u64_e32 v[2:3], s[2:3], v[2:3]
	v_lshl_add_u64 v[26:27], v[2:3], 1, v[46:47]
	global_load_b128 v[2:5], v[26:27], off
	ds_load_2addr_b64 v[14:17], v56 offset1:1
	ds_load_2addr_b64 v[10:13], v56 offset0:2 offset1:3
	s_wait_xcnt 0x0
	s_and_saveexec_b32 s19, vcc_lo
	s_cbranch_execnz .LBB130_57
; %bb.51:                               ;   in Loop: Header=BB130_49 Depth=1
	s_or_b32 exec_lo, exec_lo, s19
	global_load_b128 v[6:9], v[26:27], off offset:512
	s_wait_xcnt 0x0
	s_and_saveexec_b32 s19, vcc_lo
	s_cbranch_execnz .LBB130_58
.LBB130_52:                             ;   in Loop: Header=BB130_49 Depth=1
	s_or_b32 exec_lo, exec_lo, s19
	global_load_b128 v[18:21], v[26:27], off offset:1024
	s_wait_xcnt 0x0
	s_and_saveexec_b32 s19, vcc_lo
	s_cbranch_execnz .LBB130_59
.LBB130_53:                             ;   in Loop: Header=BB130_49 Depth=1
	s_or_b32 exec_lo, exec_lo, s19
	global_load_b128 v[22:25], v[26:27], off offset:1536
	s_wait_xcnt 0x0
	s_and_saveexec_b32 s19, vcc_lo
	s_cbranch_execnz .LBB130_60
.LBB130_54:                             ;   in Loop: Header=BB130_49 Depth=1
	s_or_b32 exec_lo, exec_lo, s19
	global_load_b128 v[30:33], v[26:27], off offset:2048
	s_wait_xcnt 0x0
	s_and_saveexec_b32 s19, vcc_lo
	s_cbranch_execnz .LBB130_61
.LBB130_55:                             ;   in Loop: Header=BB130_49 Depth=1
	s_or_b32 exec_lo, exec_lo, s19
	global_load_b128 v[34:37], v[26:27], off offset:2560
	s_wait_xcnt 0x0
	s_and_saveexec_b32 s19, vcc_lo
	s_cbranch_execnz .LBB130_62
.LBB130_56:                             ;   in Loop: Header=BB130_49 Depth=1
	s_or_b32 exec_lo, exec_lo, s19
	global_load_b128 v[26:29], v[26:27], off offset:3072
	s_wait_xcnt 0x0
	s_and_saveexec_b32 s0, vcc_lo
	s_cbranch_execz .LBB130_47
	s_branch .LBB130_63
.LBB130_57:                             ;   in Loop: Header=BB130_49 Depth=1
	v_cmp_gt_i32_e64 s0, s31, v65
	s_wait_loadcnt 0x0
	v_dual_lshrrev_b32 v6, 16, v2 :: v_dual_lshrrev_b32 v8, 16, v4
	s_delay_alu instid0(VALU_DEP_2) | instskip(SKIP_1) | instid1(VALU_DEP_1)
	v_cndmask_b32_e64 v2, 0, v2, s0
	v_cmp_gt_i32_e64 s0, s14, v63
	v_dual_lshrrev_b32 v7, 16, v3 :: v_dual_cndmask_b32 v6, 0, v6, s0
	v_cmp_gt_i32_e64 s0, s31, v64
	s_delay_alu instid0(VALU_DEP_2) | instskip(NEXT) | instid1(VALU_DEP_2)
	v_perm_b32 v2, v6, v2, 0x5040100
	v_cndmask_b32_e64 v3, 0, v3, s0
	v_cmp_gt_i32_e64 s0, s14, v62
	s_delay_alu instid0(VALU_DEP_1) | instskip(SKIP_1) | instid1(VALU_DEP_1)
	v_cndmask_b32_e64 v7, 0, v7, s0
	v_cmp_gt_i32_e64 s0, s31, v61
	v_cndmask_b32_e64 v4, 0, v4, s0
	v_cmp_gt_i32_e64 s0, s14, v59
	v_lshrrev_b32_e32 v9, 16, v5
	v_perm_b32 v3, v7, v3, 0x5040100
	s_delay_alu instid0(VALU_DEP_3) | instskip(SKIP_1) | instid1(VALU_DEP_2)
	v_cndmask_b32_e64 v8, 0, v8, s0
	v_cmp_gt_i32_e64 s0, s31, v60
	v_perm_b32 v4, v8, v4, 0x5040100
	s_delay_alu instid0(VALU_DEP_2) | instskip(SKIP_1) | instid1(VALU_DEP_1)
	v_cndmask_b32_e64 v5, 0, v5, s0
	v_cmp_gt_i32_e64 s0, s14, v58
	v_cndmask_b32_e64 v9, 0, v9, s0
	s_delay_alu instid0(VALU_DEP_1)
	v_perm_b32 v5, v9, v5, 0x5040100
	s_or_b32 exec_lo, exec_lo, s19
	global_load_b128 v[6:9], v[26:27], off offset:512
	s_wait_xcnt 0x0
	s_and_saveexec_b32 s19, vcc_lo
	s_cbranch_execz .LBB130_52
.LBB130_58:                             ;   in Loop: Header=BB130_49 Depth=1
	v_cmp_gt_i32_e64 s0, s31, v65
	s_wait_loadcnt 0x0
	v_dual_lshrrev_b32 v18, 16, v6 :: v_dual_lshrrev_b32 v20, 16, v8
	s_delay_alu instid0(VALU_DEP_2) | instskip(SKIP_1) | instid1(VALU_DEP_1)
	v_cndmask_b32_e64 v6, 0, v6, s0
	v_cmp_gt_i32_e64 s0, s14, v63
	v_dual_lshrrev_b32 v19, 16, v7 :: v_dual_cndmask_b32 v18, 0, v18, s0
	v_cmp_gt_i32_e64 s0, s31, v64
	s_delay_alu instid0(VALU_DEP_2) | instskip(NEXT) | instid1(VALU_DEP_2)
	v_perm_b32 v6, v18, v6, 0x5040100
	v_cndmask_b32_e64 v7, 0, v7, s0
	v_cmp_gt_i32_e64 s0, s14, v62
	s_delay_alu instid0(VALU_DEP_1) | instskip(SKIP_1) | instid1(VALU_DEP_1)
	v_cndmask_b32_e64 v19, 0, v19, s0
	v_cmp_gt_i32_e64 s0, s31, v61
	v_cndmask_b32_e64 v8, 0, v8, s0
	v_cmp_gt_i32_e64 s0, s14, v59
	v_lshrrev_b32_e32 v21, 16, v9
	v_perm_b32 v7, v19, v7, 0x5040100
	s_delay_alu instid0(VALU_DEP_3) | instskip(SKIP_1) | instid1(VALU_DEP_2)
	v_cndmask_b32_e64 v20, 0, v20, s0
	v_cmp_gt_i32_e64 s0, s31, v60
	v_perm_b32 v8, v20, v8, 0x5040100
	s_delay_alu instid0(VALU_DEP_2) | instskip(SKIP_1) | instid1(VALU_DEP_1)
	v_cndmask_b32_e64 v9, 0, v9, s0
	v_cmp_gt_i32_e64 s0, s14, v58
	v_cndmask_b32_e64 v21, 0, v21, s0
	s_delay_alu instid0(VALU_DEP_1)
	v_perm_b32 v9, v21, v9, 0x5040100
	s_or_b32 exec_lo, exec_lo, s19
	global_load_b128 v[18:21], v[26:27], off offset:1024
	s_wait_xcnt 0x0
	s_and_saveexec_b32 s19, vcc_lo
	s_cbranch_execz .LBB130_53
.LBB130_59:                             ;   in Loop: Header=BB130_49 Depth=1
	v_cmp_gt_i32_e64 s0, s31, v65
	s_wait_loadcnt 0x0
	v_dual_lshrrev_b32 v22, 16, v18 :: v_dual_lshrrev_b32 v24, 16, v20
	s_delay_alu instid0(VALU_DEP_2) | instskip(SKIP_1) | instid1(VALU_DEP_1)
	v_cndmask_b32_e64 v18, 0, v18, s0
	v_cmp_gt_i32_e64 s0, s14, v63
	v_dual_lshrrev_b32 v23, 16, v19 :: v_dual_cndmask_b32 v22, 0, v22, s0
	v_cmp_gt_i32_e64 s0, s31, v64
	s_delay_alu instid0(VALU_DEP_2) | instskip(NEXT) | instid1(VALU_DEP_2)
	v_perm_b32 v18, v22, v18, 0x5040100
	v_cndmask_b32_e64 v19, 0, v19, s0
	v_cmp_gt_i32_e64 s0, s14, v62
	s_delay_alu instid0(VALU_DEP_1) | instskip(SKIP_1) | instid1(VALU_DEP_1)
	v_cndmask_b32_e64 v23, 0, v23, s0
	v_cmp_gt_i32_e64 s0, s31, v61
	v_cndmask_b32_e64 v20, 0, v20, s0
	v_cmp_gt_i32_e64 s0, s14, v59
	v_lshrrev_b32_e32 v25, 16, v21
	v_perm_b32 v19, v23, v19, 0x5040100
	s_delay_alu instid0(VALU_DEP_3) | instskip(SKIP_1) | instid1(VALU_DEP_2)
	v_cndmask_b32_e64 v24, 0, v24, s0
	v_cmp_gt_i32_e64 s0, s31, v60
	v_perm_b32 v20, v24, v20, 0x5040100
	s_delay_alu instid0(VALU_DEP_2) | instskip(SKIP_1) | instid1(VALU_DEP_1)
	v_cndmask_b32_e64 v21, 0, v21, s0
	v_cmp_gt_i32_e64 s0, s14, v58
	v_cndmask_b32_e64 v25, 0, v25, s0
	s_delay_alu instid0(VALU_DEP_1)
	v_perm_b32 v21, v25, v21, 0x5040100
	s_or_b32 exec_lo, exec_lo, s19
	global_load_b128 v[22:25], v[26:27], off offset:1536
	s_wait_xcnt 0x0
	s_and_saveexec_b32 s19, vcc_lo
	s_cbranch_execz .LBB130_54
.LBB130_60:                             ;   in Loop: Header=BB130_49 Depth=1
	v_cmp_gt_i32_e64 s0, s31, v65
	s_wait_loadcnt 0x0
	s_delay_alu instid0(VALU_DEP_1) | instskip(SKIP_1) | instid1(VALU_DEP_1)
	v_dual_lshrrev_b32 v28, 16, v22 :: v_dual_cndmask_b32 v22, 0, v22, s0
	v_cmp_gt_i32_e64 s0, s14, v63
	v_dual_lshrrev_b32 v29, 16, v23 :: v_dual_cndmask_b32 v28, 0, v28, s0
	v_cmp_gt_i32_e64 s0, s31, v64
	s_delay_alu instid0(VALU_DEP_2) | instskip(NEXT) | instid1(VALU_DEP_2)
	v_perm_b32 v22, v28, v22, 0x5040100
	v_cndmask_b32_e64 v23, 0, v23, s0
	v_cmp_gt_i32_e64 s0, s14, v62
	s_delay_alu instid0(VALU_DEP_1) | instskip(SKIP_2) | instid1(VALU_DEP_3)
	v_cndmask_b32_e64 v29, 0, v29, s0
	v_cmp_gt_i32_e64 s0, s31, v61
	v_lshrrev_b32_e32 v30, 16, v24
	v_perm_b32 v23, v29, v23, 0x5040100
	s_delay_alu instid0(VALU_DEP_3) | instskip(SKIP_1) | instid1(VALU_DEP_1)
	v_cndmask_b32_e64 v24, 0, v24, s0
	v_cmp_gt_i32_e64 s0, s14, v59
	v_dual_lshrrev_b32 v31, 16, v25 :: v_dual_cndmask_b32 v30, 0, v30, s0
	v_cmp_gt_i32_e64 s0, s31, v60
	s_delay_alu instid0(VALU_DEP_2) | instskip(NEXT) | instid1(VALU_DEP_2)
	v_perm_b32 v24, v30, v24, 0x5040100
	v_cndmask_b32_e64 v25, 0, v25, s0
	v_cmp_gt_i32_e64 s0, s14, v58
	s_delay_alu instid0(VALU_DEP_1) | instskip(NEXT) | instid1(VALU_DEP_1)
	v_cndmask_b32_e64 v31, 0, v31, s0
	v_perm_b32 v25, v31, v25, 0x5040100
	s_or_b32 exec_lo, exec_lo, s19
	global_load_b128 v[30:33], v[26:27], off offset:2048
	s_wait_xcnt 0x0
	s_and_saveexec_b32 s19, vcc_lo
	s_cbranch_execz .LBB130_55
.LBB130_61:                             ;   in Loop: Header=BB130_49 Depth=1
	v_cmp_gt_i32_e64 s0, s31, v65
	s_wait_loadcnt 0x0
	s_delay_alu instid0(VALU_DEP_1) | instskip(SKIP_1) | instid1(VALU_DEP_1)
	v_dual_lshrrev_b32 v28, 16, v30 :: v_dual_cndmask_b32 v29, 0, v30, s0
	v_cmp_gt_i32_e64 s0, s14, v63
	v_dual_lshrrev_b32 v30, 16, v31 :: v_dual_cndmask_b32 v28, 0, v28, s0
	v_cmp_gt_i32_e64 s0, s31, v64
	s_delay_alu instid0(VALU_DEP_1) | instskip(SKIP_1) | instid1(VALU_DEP_1)
	v_cndmask_b32_e64 v31, 0, v31, s0
	v_cmp_gt_i32_e64 s0, s14, v62
	v_cndmask_b32_e64 v34, 0, v30, s0
	v_cmp_gt_i32_e64 s0, s31, v61
	v_lshrrev_b32_e32 v30, 16, v32
	s_delay_alu instid0(VALU_DEP_3) | instskip(NEXT) | instid1(VALU_DEP_3)
	v_perm_b32 v31, v34, v31, 0x5040100
	v_cndmask_b32_e64 v32, 0, v32, s0
	v_cmp_gt_i32_e64 s0, s14, v59
	s_delay_alu instid0(VALU_DEP_1) | instskip(SKIP_2) | instid1(VALU_DEP_3)
	v_dual_lshrrev_b32 v35, 16, v33 :: v_dual_cndmask_b32 v36, 0, v30, s0
	v_cmp_gt_i32_e64 s0, s31, v60
	v_perm_b32 v30, v28, v29, 0x5040100
	v_perm_b32 v32, v36, v32, 0x5040100
	s_delay_alu instid0(VALU_DEP_3) | instskip(SKIP_1) | instid1(VALU_DEP_1)
	v_cndmask_b32_e64 v33, 0, v33, s0
	v_cmp_gt_i32_e64 s0, s14, v58
	v_cndmask_b32_e64 v35, 0, v35, s0
	s_delay_alu instid0(VALU_DEP_1)
	v_perm_b32 v33, v35, v33, 0x5040100
	s_or_b32 exec_lo, exec_lo, s19
	global_load_b128 v[34:37], v[26:27], off offset:2560
	s_wait_xcnt 0x0
	s_and_saveexec_b32 s19, vcc_lo
	s_cbranch_execz .LBB130_56
.LBB130_62:                             ;   in Loop: Header=BB130_49 Depth=1
	v_cmp_gt_i32_e64 s0, s31, v65
	s_wait_loadcnt 0x0
	s_delay_alu instid0(VALU_DEP_1) | instskip(SKIP_1) | instid1(VALU_DEP_1)
	v_dual_lshrrev_b32 v28, 16, v34 :: v_dual_cndmask_b32 v29, 0, v34, s0
	v_cmp_gt_i32_e64 s0, s14, v63
	v_dual_lshrrev_b32 v34, 16, v35 :: v_dual_cndmask_b32 v28, 0, v28, s0
	v_cmp_gt_i32_e64 s0, s31, v64
	s_delay_alu instid0(VALU_DEP_1) | instskip(SKIP_1) | instid1(VALU_DEP_1)
	v_cndmask_b32_e64 v35, 0, v35, s0
	v_cmp_gt_i32_e64 s0, s14, v62
	v_cndmask_b32_e64 v66, 0, v34, s0
	v_cmp_gt_i32_e64 s0, s31, v61
	v_lshrrev_b32_e32 v34, 16, v36
	s_delay_alu instid0(VALU_DEP_3) | instskip(NEXT) | instid1(VALU_DEP_3)
	v_perm_b32 v35, v66, v35, 0x5040100
	v_cndmask_b32_e64 v36, 0, v36, s0
	v_cmp_gt_i32_e64 s0, s14, v59
	s_delay_alu instid0(VALU_DEP_1) | instskip(SKIP_2) | instid1(VALU_DEP_3)
	v_dual_lshrrev_b32 v67, 16, v37 :: v_dual_cndmask_b32 v68, 0, v34, s0
	v_cmp_gt_i32_e64 s0, s31, v60
	v_perm_b32 v34, v28, v29, 0x5040100
	v_perm_b32 v36, v68, v36, 0x5040100
	s_delay_alu instid0(VALU_DEP_3) | instskip(SKIP_1) | instid1(VALU_DEP_1)
	v_cndmask_b32_e64 v37, 0, v37, s0
	v_cmp_gt_i32_e64 s0, s14, v58
	v_cndmask_b32_e64 v67, 0, v67, s0
	s_delay_alu instid0(VALU_DEP_1)
	v_perm_b32 v37, v67, v37, 0x5040100
	s_or_b32 exec_lo, exec_lo, s19
	global_load_b128 v[26:29], v[26:27], off offset:3072
	s_wait_xcnt 0x0
	s_and_saveexec_b32 s0, vcc_lo
	s_cbranch_execz .LBB130_47
.LBB130_63:                             ;   in Loop: Header=BB130_49 Depth=1
	v_cmp_gt_i32_e32 vcc_lo, s31, v65
	s_wait_loadcnt 0x0
	v_dual_lshrrev_b32 v66, 16, v26 :: v_dual_cndmask_b32 v26, 0, v26, vcc_lo
	v_cmp_gt_i32_e32 vcc_lo, s14, v63
	s_delay_alu instid0(VALU_DEP_2) | instskip(SKIP_1) | instid1(VALU_DEP_2)
	v_dual_lshrrev_b32 v65, 16, v27 :: v_dual_cndmask_b32 v63, 0, v66, vcc_lo
	v_cmp_gt_i32_e32 vcc_lo, s31, v64
	v_perm_b32 v26, v63, v26, 0x5040100
	v_cndmask_b32_e32 v27, 0, v27, vcc_lo
	v_cmp_gt_i32_e32 vcc_lo, s14, v62
	v_cndmask_b32_e32 v62, 0, v65, vcc_lo
	v_cmp_gt_i32_e32 vcc_lo, s31, v61
	v_lshrrev_b32_e32 v64, 16, v28
	s_delay_alu instid0(VALU_DEP_3) | instskip(SKIP_2) | instid1(VALU_DEP_4)
	v_perm_b32 v27, v62, v27, 0x5040100
	v_cndmask_b32_e32 v28, 0, v28, vcc_lo
	v_cmp_gt_i32_e32 vcc_lo, s14, v59
	v_dual_lshrrev_b32 v61, 16, v29 :: v_dual_cndmask_b32 v59, 0, v64, vcc_lo
	v_cmp_gt_i32_e32 vcc_lo, s31, v60
	s_delay_alu instid0(VALU_DEP_2) | instskip(SKIP_3) | instid1(VALU_DEP_1)
	v_perm_b32 v28, v59, v28, 0x5040100
	v_cndmask_b32_e32 v29, 0, v29, vcc_lo
	v_cmp_gt_i32_e32 vcc_lo, s14, v58
	v_cndmask_b32_e32 v58, 0, v61, vcc_lo
	v_perm_b32 v29, v58, v29, 0x5040100
	s_branch .LBB130_47
.LBB130_64:
	s_or_b32 exec_lo, exec_lo, s15
.LBB130_65:
	s_delay_alu instid0(SALU_CYCLE_1)
	s_or_b32 exec_lo, exec_lo, s1
	ds_bpermute_b32 v2, v53, v44
	ds_bpermute_b32 v3, v53, v45
	;; [unrolled: 1-line block ×7, first 2 shown]
	v_and_b32_e32 v12, 0x3c1, v0
	v_lshrrev_b32_e32 v9, 1, v52
	s_mov_b32 s0, exec_lo
	s_wait_dscnt 0x0
	s_barrier_signal -1
	s_barrier_wait -1
	v_pk_add_f32 v[6:7], v[44:45], v[2:3]
	v_pk_add_f32 v[4:5], v[42:43], v[4:5]
	;; [unrolled: 1-line block ×3, first 2 shown]
	v_cmpx_ne_u32_e32 64, v12
	s_xor_b32 s0, exec_lo, s0
	s_delay_alu instid0(SALU_CYCLE_1)
	s_or_saveexec_b32 s0, s0
	v_add_f32_e32 v8, v54, v8
	v_lshl_add_u32 v10, v9, 2, 0x100
	v_mul_u32_u24_e32 v11, 0x1c0, v51
	s_xor_b32 exec_lo, exec_lo, s0
	s_cbranch_execz .LBB130_67
; %bb.66:
	s_delay_alu instid0(VALU_DEP_1) | instskip(NEXT) | instid1(VALU_DEP_1)
	v_add_nc_u32_e32 v12, v10, v11
	v_add_nc_u32_e32 v13, 0xfffffc80, v12
	v_add_nc_u32_e32 v14, 0xfffffcc0, v12
	v_add_nc_u32_e32 v15, 0xfffffd00, v12
	v_add_nc_u32_e32 v16, 0xfffffd40, v12
	v_add_nc_u32_e32 v17, 0xfffffd80, v12
	v_add_nc_u32_e32 v18, 0xfffffdc0, v12
	v_add_nc_u32_e32 v12, 0xfffffe00, v12
	ds_store_b32 v13, v6
	ds_store_b32 v14, v7
	;; [unrolled: 1-line block ×7, first 2 shown]
.LBB130_67:
	s_or_b32 exec_lo, exec_lo, s0
	v_lshlrev_b32_e32 v9, 2, v9
	s_mov_b32 s1, exec_lo
	v_cmp_eq_u32_e32 vcc_lo, 0, v50
	s_wait_dscnt 0x0
	s_barrier_signal -1
	v_add3_u32 v9, 0x100, v11, v9
	s_barrier_wait -1
	v_cmpx_gt_u32_e32 64, v0
	s_cbranch_execz .LBB130_77
; %bb.68:
	s_and_saveexec_b32 s0, vcc_lo
	s_cbranch_execnz .LBB130_92
; %bb.69:
	s_or_b32 exec_lo, exec_lo, s0
	s_and_saveexec_b32 s0, vcc_lo
	s_cbranch_execnz .LBB130_93
.LBB130_70:
	s_or_b32 exec_lo, exec_lo, s0
	s_and_saveexec_b32 s0, vcc_lo
	s_cbranch_execnz .LBB130_94
.LBB130_71:
	s_or_b32 exec_lo, exec_lo, s0
	s_and_saveexec_b32 s0, vcc_lo
	s_cbranch_execnz .LBB130_95
.LBB130_72:
	s_or_b32 exec_lo, exec_lo, s0
	s_and_saveexec_b32 s0, vcc_lo
	s_cbranch_execnz .LBB130_96
.LBB130_73:
	s_or_b32 exec_lo, exec_lo, s0
	s_and_saveexec_b32 s0, vcc_lo
	s_cbranch_execnz .LBB130_97
.LBB130_74:
	s_or_b32 exec_lo, exec_lo, s0
	s_and_saveexec_b32 s0, vcc_lo
	s_cbranch_execz .LBB130_76
.LBB130_75:
	ds_load_b32 v11, v9 offset:384
	s_wait_dscnt 0x0
	v_add_f32_e32 v8, v8, v11
.LBB130_76:
	s_or_b32 exec_lo, exec_lo, s0
.LBB130_77:
	s_delay_alu instid0(SALU_CYCLE_1) | instskip(SKIP_4) | instid1(VALU_DEP_1)
	s_or_b32 exec_lo, exec_lo, s1
	v_and_b32_e32 v11, 0x3e1, v0
	s_mov_b32 s1, exec_lo
	s_barrier_signal -1
	s_barrier_wait -1
	v_cmpx_eq_u32_e32 32, v11
	s_cbranch_execz .LBB130_79
; %bb.78:
	ds_store_2addr_b32 v10, v6, v7 offset1:16
	ds_store_2addr_b32 v10, v4, v5 offset0:32 offset1:48
	ds_store_2addr_b32 v10, v2, v3 offset0:64 offset1:80
	ds_store_b32 v10, v8 offset:384
.LBB130_79:
	s_or_b32 exec_lo, exec_lo, s1
	s_delay_alu instid0(SALU_CYCLE_1)
	s_mov_b32 s1, exec_lo
	s_wait_dscnt 0x0
	s_barrier_signal -1
	s_barrier_wait -1
	v_cmpx_gt_u32_e32 32, v0
	s_cbranch_execz .LBB130_89
; %bb.80:
	s_and_saveexec_b32 s0, vcc_lo
	s_cbranch_execnz .LBB130_98
; %bb.81:
	s_or_b32 exec_lo, exec_lo, s0
	s_and_saveexec_b32 s0, vcc_lo
	s_cbranch_execnz .LBB130_99
.LBB130_82:
	s_or_b32 exec_lo, exec_lo, s0
	s_and_saveexec_b32 s0, vcc_lo
	s_cbranch_execnz .LBB130_100
.LBB130_83:
	s_or_b32 exec_lo, exec_lo, s0
	s_and_saveexec_b32 s0, vcc_lo
	s_cbranch_execnz .LBB130_101
.LBB130_84:
	s_or_b32 exec_lo, exec_lo, s0
	s_and_saveexec_b32 s0, vcc_lo
	s_cbranch_execnz .LBB130_102
.LBB130_85:
	s_or_b32 exec_lo, exec_lo, s0
	s_and_saveexec_b32 s0, vcc_lo
	s_cbranch_execnz .LBB130_103
.LBB130_86:
	s_or_b32 exec_lo, exec_lo, s0
	s_and_saveexec_b32 s0, vcc_lo
	s_cbranch_execz .LBB130_88
.LBB130_87:
	ds_load_b32 v0, v9 offset:384
	s_wait_dscnt 0x0
	v_add_f32_e32 v8, v8, v0
.LBB130_88:
	s_or_b32 exec_lo, exec_lo, s0
.LBB130_89:
	s_delay_alu instid0(SALU_CYCLE_1)
	s_or_b32 exec_lo, exec_lo, s1
	s_mov_b32 s1, 0
	s_barrier_signal -1
	s_barrier_wait -1
	s_mov_b32 s0, exec_lo
	v_cmpx_eq_u32_e32 0, v11
	s_cbranch_execz .LBB130_91
; %bb.90:
	s_mul_i32 s0, s30, s7
	s_mul_i32 s2, s7, s6
	;; [unrolled: 1-line block ×3, first 2 shown]
	s_lshr_b32 s8, ttmp7, 16
	s_mul_i32 s6, s0, 0x70
	s_bfe_u32 s0, ttmp6, 0x40014
	s_ashr_i32 s7, s6, 31
	s_add_co_i32 s0, s0, 1
	s_ashr_i32 s3, s2, 31
	s_mul_i32 s0, s8, s0
	s_bfe_u32 s9, ttmp6, 0x40008
	s_lshl_b64 s[6:7], s[6:7], 1
	s_lshl_b64 s[2:3], s[2:3], 1
	s_add_co_i32 s9, s9, s0
	s_cmp_eq_u32 s28, 0
	s_wait_kmcnt 0x0
	s_add_nc_u64 s[4:5], s[4:5], s[6:7]
	s_cselect_b32 s0, s8, s9
	s_add_nc_u64 s[2:3], s[4:5], s[2:3]
	s_mulk_i32 s0, 0xe0
	s_delay_alu instid0(SALU_CYCLE_1) | instskip(NEXT) | instid1(SALU_CYCLE_1)
	s_add_nc_u64 s[0:1], s[2:3], s[0:1]
	v_cvt_pk_bf16_f32 v0, v6, s0
	v_cvt_pk_bf16_f32 v6, v7, s0
	;; [unrolled: 1-line block ×7, first 2 shown]
	s_clause 0x6
	global_store_b16 v1, v0, s[0:1] scale_offset
	global_store_b16 v1, v6, s[0:1] offset:32 scale_offset
	global_store_b16 v1, v4, s[0:1] offset:64 scale_offset
	;; [unrolled: 1-line block ×6, first 2 shown]
.LBB130_91:
	s_sendmsg sendmsg(MSG_DEALLOC_VGPRS)
	s_endpgm
.LBB130_92:
	ds_load_b32 v11, v9
	s_wait_dscnt 0x0
	v_add_f32_e32 v6, v6, v11
	s_or_b32 exec_lo, exec_lo, s0
	s_and_saveexec_b32 s0, vcc_lo
	s_cbranch_execz .LBB130_70
.LBB130_93:
	ds_load_b32 v11, v9 offset:64
	s_wait_dscnt 0x0
	v_add_f32_e32 v7, v7, v11
	s_or_b32 exec_lo, exec_lo, s0
	s_and_saveexec_b32 s0, vcc_lo
	s_cbranch_execz .LBB130_71
.LBB130_94:
	ds_load_b32 v11, v9 offset:128
	s_wait_dscnt 0x0
	v_add_f32_e32 v4, v4, v11
	s_or_b32 exec_lo, exec_lo, s0
	s_and_saveexec_b32 s0, vcc_lo
	s_cbranch_execz .LBB130_72
.LBB130_95:
	ds_load_b32 v11, v9 offset:192
	s_wait_dscnt 0x0
	v_add_f32_e32 v5, v5, v11
	s_or_b32 exec_lo, exec_lo, s0
	s_and_saveexec_b32 s0, vcc_lo
	s_cbranch_execz .LBB130_73
.LBB130_96:
	ds_load_b32 v11, v9 offset:256
	s_wait_dscnt 0x0
	v_add_f32_e32 v2, v2, v11
	s_or_b32 exec_lo, exec_lo, s0
	s_and_saveexec_b32 s0, vcc_lo
	s_cbranch_execz .LBB130_74
.LBB130_97:
	ds_load_b32 v11, v9 offset:320
	s_wait_dscnt 0x0
	v_add_f32_e32 v3, v3, v11
	s_or_b32 exec_lo, exec_lo, s0
	s_and_saveexec_b32 s0, vcc_lo
	s_cbranch_execnz .LBB130_75
	s_branch .LBB130_76
.LBB130_98:
	ds_load_b32 v0, v9
	s_wait_dscnt 0x0
	v_add_f32_e32 v6, v6, v0
	s_or_b32 exec_lo, exec_lo, s0
	s_and_saveexec_b32 s0, vcc_lo
	s_cbranch_execz .LBB130_82
.LBB130_99:
	ds_load_b32 v0, v9 offset:64
	s_wait_dscnt 0x0
	v_add_f32_e32 v7, v7, v0
	s_or_b32 exec_lo, exec_lo, s0
	s_and_saveexec_b32 s0, vcc_lo
	s_cbranch_execz .LBB130_83
.LBB130_100:
	ds_load_b32 v0, v9 offset:128
	s_wait_dscnt 0x0
	v_add_f32_e32 v4, v4, v0
	s_or_b32 exec_lo, exec_lo, s0
	s_and_saveexec_b32 s0, vcc_lo
	s_cbranch_execz .LBB130_84
.LBB130_101:
	ds_load_b32 v0, v9 offset:192
	s_wait_dscnt 0x0
	v_add_f32_e32 v5, v5, v0
	s_or_b32 exec_lo, exec_lo, s0
	s_and_saveexec_b32 s0, vcc_lo
	s_cbranch_execz .LBB130_85
.LBB130_102:
	ds_load_b32 v0, v9 offset:256
	s_wait_dscnt 0x0
	v_add_f32_e32 v2, v2, v0
	s_or_b32 exec_lo, exec_lo, s0
	s_and_saveexec_b32 s0, vcc_lo
	s_cbranch_execz .LBB130_86
.LBB130_103:
	ds_load_b32 v0, v9 offset:320
	s_wait_dscnt 0x0
	v_add_f32_e32 v3, v3, v0
	s_or_b32 exec_lo, exec_lo, s0
	s_and_saveexec_b32 s0, vcc_lo
	s_cbranch_execnz .LBB130_87
	s_branch .LBB130_88
	.section	.rodata,"a",@progbits
	.p2align	6, 0x0
	.amdhsa_kernel _ZN4vllm25paged_attention_v1_kernelI14__hip_bfloat16S1_Li112ELi16ELi128ELNS_18Fp8KVCacheDataTypeE0ELb1EEEvPT_PKS3_PKT0_S9_ifPKiSB_iPKfiiiSD_SD_iiiii
		.amdhsa_group_segment_fixed_size 256
		.amdhsa_private_segment_fixed_size 0
		.amdhsa_kernarg_size 384
		.amdhsa_user_sgpr_count 2
		.amdhsa_user_sgpr_dispatch_ptr 0
		.amdhsa_user_sgpr_queue_ptr 0
		.amdhsa_user_sgpr_kernarg_segment_ptr 1
		.amdhsa_user_sgpr_dispatch_id 0
		.amdhsa_user_sgpr_kernarg_preload_length 0
		.amdhsa_user_sgpr_kernarg_preload_offset 0
		.amdhsa_user_sgpr_private_segment_size 0
		.amdhsa_wavefront_size32 1
		.amdhsa_uses_dynamic_stack 0
		.amdhsa_enable_private_segment 0
		.amdhsa_system_sgpr_workgroup_id_x 1
		.amdhsa_system_sgpr_workgroup_id_y 1
		.amdhsa_system_sgpr_workgroup_id_z 1
		.amdhsa_system_sgpr_workgroup_info 0
		.amdhsa_system_vgpr_workitem_id 0
		.amdhsa_next_free_vgpr 69
		.amdhsa_next_free_sgpr 40
		.amdhsa_named_barrier_count 0
		.amdhsa_reserve_vcc 1
		.amdhsa_float_round_mode_32 0
		.amdhsa_float_round_mode_16_64 0
		.amdhsa_float_denorm_mode_32 3
		.amdhsa_float_denorm_mode_16_64 3
		.amdhsa_fp16_overflow 0
		.amdhsa_memory_ordered 1
		.amdhsa_forward_progress 1
		.amdhsa_inst_pref_size 68
		.amdhsa_round_robin_scheduling 0
		.amdhsa_exception_fp_ieee_invalid_op 0
		.amdhsa_exception_fp_denorm_src 0
		.amdhsa_exception_fp_ieee_div_zero 0
		.amdhsa_exception_fp_ieee_overflow 0
		.amdhsa_exception_fp_ieee_underflow 0
		.amdhsa_exception_fp_ieee_inexact 0
		.amdhsa_exception_int_div_zero 0
	.end_amdhsa_kernel
	.section	.text._ZN4vllm25paged_attention_v1_kernelI14__hip_bfloat16S1_Li112ELi16ELi128ELNS_18Fp8KVCacheDataTypeE0ELb1EEEvPT_PKS3_PKT0_S9_ifPKiSB_iPKfiiiSD_SD_iiiii,"axG",@progbits,_ZN4vllm25paged_attention_v1_kernelI14__hip_bfloat16S1_Li112ELi16ELi128ELNS_18Fp8KVCacheDataTypeE0ELb1EEEvPT_PKS3_PKT0_S9_ifPKiSB_iPKfiiiSD_SD_iiiii,comdat
.Lfunc_end130:
	.size	_ZN4vllm25paged_attention_v1_kernelI14__hip_bfloat16S1_Li112ELi16ELi128ELNS_18Fp8KVCacheDataTypeE0ELb1EEEvPT_PKS3_PKT0_S9_ifPKiSB_iPKfiiiSD_SD_iiiii, .Lfunc_end130-_ZN4vllm25paged_attention_v1_kernelI14__hip_bfloat16S1_Li112ELi16ELi128ELNS_18Fp8KVCacheDataTypeE0ELb1EEEvPT_PKS3_PKT0_S9_ifPKiSB_iPKfiiiSD_SD_iiiii
                                        ; -- End function
	.set _ZN4vllm25paged_attention_v1_kernelI14__hip_bfloat16S1_Li112ELi16ELi128ELNS_18Fp8KVCacheDataTypeE0ELb1EEEvPT_PKS3_PKT0_S9_ifPKiSB_iPKfiiiSD_SD_iiiii.num_vgpr, 69
	.set _ZN4vllm25paged_attention_v1_kernelI14__hip_bfloat16S1_Li112ELi16ELi128ELNS_18Fp8KVCacheDataTypeE0ELb1EEEvPT_PKS3_PKT0_S9_ifPKiSB_iPKfiiiSD_SD_iiiii.num_agpr, 0
	.set _ZN4vllm25paged_attention_v1_kernelI14__hip_bfloat16S1_Li112ELi16ELi128ELNS_18Fp8KVCacheDataTypeE0ELb1EEEvPT_PKS3_PKT0_S9_ifPKiSB_iPKfiiiSD_SD_iiiii.numbered_sgpr, 40
	.set _ZN4vllm25paged_attention_v1_kernelI14__hip_bfloat16S1_Li112ELi16ELi128ELNS_18Fp8KVCacheDataTypeE0ELb1EEEvPT_PKS3_PKT0_S9_ifPKiSB_iPKfiiiSD_SD_iiiii.num_named_barrier, 0
	.set _ZN4vllm25paged_attention_v1_kernelI14__hip_bfloat16S1_Li112ELi16ELi128ELNS_18Fp8KVCacheDataTypeE0ELb1EEEvPT_PKS3_PKT0_S9_ifPKiSB_iPKfiiiSD_SD_iiiii.private_seg_size, 0
	.set _ZN4vllm25paged_attention_v1_kernelI14__hip_bfloat16S1_Li112ELi16ELi128ELNS_18Fp8KVCacheDataTypeE0ELb1EEEvPT_PKS3_PKT0_S9_ifPKiSB_iPKfiiiSD_SD_iiiii.uses_vcc, 1
	.set _ZN4vllm25paged_attention_v1_kernelI14__hip_bfloat16S1_Li112ELi16ELi128ELNS_18Fp8KVCacheDataTypeE0ELb1EEEvPT_PKS3_PKT0_S9_ifPKiSB_iPKfiiiSD_SD_iiiii.uses_flat_scratch, 0
	.set _ZN4vllm25paged_attention_v1_kernelI14__hip_bfloat16S1_Li112ELi16ELi128ELNS_18Fp8KVCacheDataTypeE0ELb1EEEvPT_PKS3_PKT0_S9_ifPKiSB_iPKfiiiSD_SD_iiiii.has_dyn_sized_stack, 0
	.set _ZN4vllm25paged_attention_v1_kernelI14__hip_bfloat16S1_Li112ELi16ELi128ELNS_18Fp8KVCacheDataTypeE0ELb1EEEvPT_PKS3_PKT0_S9_ifPKiSB_iPKfiiiSD_SD_iiiii.has_recursion, 0
	.set _ZN4vllm25paged_attention_v1_kernelI14__hip_bfloat16S1_Li112ELi16ELi128ELNS_18Fp8KVCacheDataTypeE0ELb1EEEvPT_PKS3_PKT0_S9_ifPKiSB_iPKfiiiSD_SD_iiiii.has_indirect_call, 0
	.section	.AMDGPU.csdata,"",@progbits
; Kernel info:
; codeLenInByte = 8596
; TotalNumSgprs: 42
; NumVgprs: 69
; ScratchSize: 0
; MemoryBound: 0
; FloatMode: 240
; IeeeMode: 1
; LDSByteSize: 256 bytes/workgroup (compile time only)
; SGPRBlocks: 0
; VGPRBlocks: 4
; NumSGPRsForWavesPerEU: 42
; NumVGPRsForWavesPerEU: 69
; NamedBarCnt: 0
; Occupancy: 12
; WaveLimiterHint : 1
; COMPUTE_PGM_RSRC2:SCRATCH_EN: 0
; COMPUTE_PGM_RSRC2:USER_SGPR: 2
; COMPUTE_PGM_RSRC2:TRAP_HANDLER: 0
; COMPUTE_PGM_RSRC2:TGID_X_EN: 1
; COMPUTE_PGM_RSRC2:TGID_Y_EN: 1
; COMPUTE_PGM_RSRC2:TGID_Z_EN: 1
; COMPUTE_PGM_RSRC2:TIDIG_COMP_CNT: 0
	.section	.text._ZN4vllm25paged_attention_v1_kernelI14__hip_bfloat16S1_Li120ELi16ELi128ELNS_18Fp8KVCacheDataTypeE0ELb1EEEvPT_PKS3_PKT0_S9_ifPKiSB_iPKfiiiSD_SD_iiiii,"axG",@progbits,_ZN4vllm25paged_attention_v1_kernelI14__hip_bfloat16S1_Li120ELi16ELi128ELNS_18Fp8KVCacheDataTypeE0ELb1EEEvPT_PKS3_PKT0_S9_ifPKiSB_iPKfiiiSD_SD_iiiii,comdat
	.protected	_ZN4vllm25paged_attention_v1_kernelI14__hip_bfloat16S1_Li120ELi16ELi128ELNS_18Fp8KVCacheDataTypeE0ELb1EEEvPT_PKS3_PKT0_S9_ifPKiSB_iPKfiiiSD_SD_iiiii ; -- Begin function _ZN4vllm25paged_attention_v1_kernelI14__hip_bfloat16S1_Li120ELi16ELi128ELNS_18Fp8KVCacheDataTypeE0ELb1EEEvPT_PKS3_PKT0_S9_ifPKiSB_iPKfiiiSD_SD_iiiii
	.globl	_ZN4vllm25paged_attention_v1_kernelI14__hip_bfloat16S1_Li120ELi16ELi128ELNS_18Fp8KVCacheDataTypeE0ELb1EEEvPT_PKS3_PKT0_S9_ifPKiSB_iPKfiiiSD_SD_iiiii
	.p2align	8
	.type	_ZN4vllm25paged_attention_v1_kernelI14__hip_bfloat16S1_Li120ELi16ELi128ELNS_18Fp8KVCacheDataTypeE0ELb1EEEvPT_PKS3_PKT0_S9_ifPKiSB_iPKfiiiSD_SD_iiiii,@function
_ZN4vllm25paged_attention_v1_kernelI14__hip_bfloat16S1_Li120ELi16ELi128ELNS_18Fp8KVCacheDataTypeE0ELb1EEEvPT_PKS3_PKT0_S9_ifPKiSB_iPKfiiiSD_SD_iiiii: ; @_ZN4vllm25paged_attention_v1_kernelI14__hip_bfloat16S1_Li120ELi16ELi128ELNS_18Fp8KVCacheDataTypeE0ELb1EEEvPT_PKS3_PKT0_S9_ifPKiSB_iPKfiiiSD_SD_iiiii
; %bb.0:
	s_load_b64 s[22:23], s[0:1], 0x20
	s_bfe_u32 s3, ttmp6, 0x4000c
	s_bfe_u32 s4, ttmp6, 0x40010
	s_and_b32 s6, ttmp7, 0xffff
	s_add_co_i32 s3, s3, 1
	s_add_co_i32 s4, s4, 1
	s_and_b32 s2, ttmp6, 15
	s_bfe_u32 s5, ttmp6, 0x40004
	s_mul_i32 s3, ttmp9, s3
	s_mul_i32 s4, s6, s4
	s_getreg_b32 s28, hwreg(HW_REG_IB_STS2, 6, 4)
	s_add_co_i32 s2, s2, s3
	s_add_co_i32 s3, s5, s4
	s_cmp_eq_u32 s28, 0
	s_clause 0x1
	s_load_b32 s29, s[0:1], 0x80
	s_load_b64 s[4:5], s[0:1], 0x30
	s_cselect_b32 s30, s6, s3
	s_cselect_b32 s2, ttmp9, s2
	s_mov_b32 s17, 0
	s_delay_alu instid0(SALU_CYCLE_1) | instskip(SKIP_2) | instid1(SALU_CYCLE_1)
	s_mov_b32 s36, s17
	s_wait_kmcnt 0x0
	s_abs_i32 s3, s22
	s_cvt_f32_u32 s6, s3
	s_sub_co_i32 s7, 0, s3
	s_delay_alu instid0(SALU_CYCLE_2) | instskip(SKIP_2) | instid1(TRANS32_DEP_1)
	v_rcp_iflag_f32_e32 v1, s6
	s_abs_i32 s8, s29
	v_nop
	v_readfirstlane_b32 s6, v1
	s_mul_f32 s6, s6, 0x4f7ffffe
	s_delay_alu instid0(SALU_CYCLE_3) | instskip(NEXT) | instid1(SALU_CYCLE_3)
	s_cvt_u32_f32 s6, s6
	s_mul_i32 s7, s7, s6
	s_delay_alu instid0(SALU_CYCLE_1) | instskip(NEXT) | instid1(SALU_CYCLE_1)
	s_mul_hi_u32 s7, s6, s7
	s_add_co_i32 s6, s6, s7
	s_xor_b32 s7, s29, s22
	s_mul_hi_u32 s6, s8, s6
	s_ashr_i32 s7, s7, 31
	s_mul_i32 s9, s6, s3
	s_delay_alu instid0(SALU_CYCLE_1)
	s_sub_co_i32 s8, s8, s9
	s_add_co_i32 s9, s6, 1
	s_sub_co_i32 s10, s8, s3
	s_cmp_ge_u32 s8, s3
	s_cselect_b32 s6, s9, s6
	s_cselect_b32 s8, s10, s8
	s_add_co_i32 s9, s6, 1
	s_cmp_ge_u32 s8, s3
	s_cselect_b32 s3, s9, s6
	s_load_b64 s[8:9], s[0:1], 0x40
	s_xor_b32 s3, s3, s7
	s_abs_i32 s16, s2
	s_sub_co_i32 s10, s3, s7
	s_mov_b32 s7, s17
	s_abs_i32 s15, s10
	s_delay_alu instid0(SALU_CYCLE_1) | instskip(SKIP_1) | instid1(SALU_CYCLE_2)
	s_cvt_f32_u32 s3, s15
	s_sub_co_i32 s6, 0, s15
	v_rcp_iflag_f32_e32 v1, s3
	v_nop
	s_delay_alu instid0(TRANS32_DEP_1) | instskip(SKIP_1) | instid1(SALU_CYCLE_3)
	v_readfirstlane_b32 s3, v1
	s_mul_f32 s3, s3, 0x4f7ffffe
	s_cvt_u32_f32 s3, s3
	s_delay_alu instid0(SALU_CYCLE_3) | instskip(NEXT) | instid1(SALU_CYCLE_1)
	s_mul_i32 s6, s6, s3
	s_mul_hi_u32 s6, s3, s6
	s_delay_alu instid0(SALU_CYCLE_1)
	s_add_co_i32 s6, s3, s6
	s_wait_kmcnt 0x0
	s_cmp_eq_u64 s[8:9], 0
	s_cbranch_scc1 .LBB131_2
; %bb.1:
	s_ashr_i32 s3, s2, 31
	s_delay_alu instid0(SALU_CYCLE_1) | instskip(NEXT) | instid1(SALU_CYCLE_1)
	s_lshl_b64 s[12:13], s[2:3], 2
	s_add_nc_u64 s[8:9], s[8:9], s[12:13]
	s_load_b32 s36, s[8:9], 0x0
.LBB131_2:
	s_load_b32 s31, s[4:5], s30 offset:0x0 scale_offset
	s_load_b96 s[12:14], s[0:1], 0x48
	v_dual_lshrrev_b32 v1, 1, v0 :: v_dual_bitop2_b32 v56, 1, v0 bitop3:0x40
	s_wait_xcnt 0x0
	s_mul_u64 s[4:5], s[16:17], s[6:7]
	s_ashr_i32 s3, s2, 31
	s_ashr_i32 s18, s10, 31
	s_mul_i32 s6, s2, 0x78
	s_mov_b32 s4, exec_lo
	v_cmpx_gt_u32_e32 30, v0
	s_cbranch_execz .LBB131_4
; %bb.3:
	s_load_b64 s[8:9], s[0:1], 0x8
	s_wait_kmcnt 0x0
	s_mul_i32 s10, s12, s30
	s_ashr_i32 s7, s6, 31
	s_ashr_i32 s11, s10, 31
	v_lshlrev_b32_e32 v4, 3, v1
	s_lshl_b64 s[10:11], s[10:11], 1
	s_delay_alu instid0(VALU_DEP_1) | instskip(SKIP_2) | instid1(SALU_CYCLE_1)
	v_mad_u32_u24 v4, 0x78, v56, v4
	s_add_nc_u64 s[8:9], s[8:9], s[10:11]
	s_lshl_b64 s[10:11], s[6:7], 1
	s_add_nc_u64 s[8:9], s[8:9], s[10:11]
	global_load_b64 v[2:3], v0, s[8:9] scale_offset
	s_wait_loadcnt 0x0
	ds_store_b64 v4, v[2:3]
.LBB131_4:
	s_or_b32 exec_lo, exec_lo, s4
	s_load_b128 s[8:11], s[0:1], 0x68
	s_mul_i32 s4, s5, s15
	s_xor_b32 s3, s3, s18
	s_sub_co_i32 s4, s16, s4
	s_add_co_i32 s7, s5, 1
	s_wait_kmcnt 0x0
	s_sub_co_i32 s12, s4, s15
	s_cmp_ge_u32 s4, s15
	s_mov_b32 s18, -1
	s_cselect_b32 s5, s7, s5
	s_cselect_b32 s4, s12, s4
	s_add_co_i32 s12, s5, 1
	s_cmp_ge_u32 s4, s15
	s_load_b32 s7, s[0:1], 0x78
	s_cselect_b32 s4, s12, s5
	s_add_co_i32 s15, s31, -1
	s_xor_b32 s4, s4, s3
	s_wait_dscnt 0x0
	s_sub_co_i32 s3, s4, s3
	s_barrier_signal -1
	s_barrier_wait -1
	s_abs_i32 s12, s11
	s_delay_alu instid0(SALU_CYCLE_1) | instskip(NEXT) | instid1(SALU_CYCLE_3)
	s_cvt_f32_u32 s5, s12
                                        ; implicit-def: $sgpr33
	v_rcp_iflag_f32_e32 v2, s5
	v_nop
	s_delay_alu instid0(TRANS32_DEP_1) | instskip(SKIP_1) | instid1(SALU_CYCLE_3)
	v_readfirstlane_b32 s5, v2
	s_mul_f32 s4, s5, 0x4f7ffffe
	s_cvt_u32_f32 s16, s4
	s_sub_co_i32 s4, 0, s12
	s_delay_alu instid0(SALU_CYCLE_2)
	s_mul_i32 s5, s4, s16
	s_abs_i32 s4, s15
	s_mul_hi_u32 s17, s16, s5
	s_mov_b32 s5, 0
	s_add_co_i32 s16, s16, s17
	s_wait_kmcnt 0x0
	s_cmp_lt_i32 s7, 0
	s_mov_b32 s17, s5
	s_cbranch_scc0 .LBB131_6
; %bb.5:
	s_mul_i32 s18, s8, s22
	s_delay_alu instid0(SALU_CYCLE_1) | instskip(NEXT) | instid1(SALU_CYCLE_1)
	s_add_co_i32 s18, s3, s18
	s_mul_i32 s18, s18, s7
	s_delay_alu instid0(SALU_CYCLE_1)
	s_sub_co_i32 s33, 1, s18
	s_mov_b32 s18, s5
.LBB131_6:
	s_ashr_i32 s15, s15, 31
	s_ashr_i32 s34, s11, 31
	s_and_not1_b32 vcc_lo, exec_lo, s18
	s_mul_u64 s[24:25], s[4:5], s[16:17]
	s_cbranch_vccnz .LBB131_8
; %bb.7:
	s_mul_i32 s5, s29, s8
	s_delay_alu instid0(SALU_CYCLE_1) | instskip(NEXT) | instid1(SALU_CYCLE_1)
	s_add_co_i32 s2, s5, s2
	s_mul_i32 s2, s2, s7
	s_delay_alu instid0(SALU_CYCLE_1)
	s_add_co_i32 s33, s2, 1
.LBB131_8:
	s_load_b32 s2, s[0:1], 0x38
	s_mul_i32 s7, s25, s12
	s_xor_b32 s5, s15, s34
	s_sub_co_i32 s4, s4, s7
	s_add_co_i32 s8, s25, 1
	s_clause 0x1
	s_load_b64 s[18:19], s[0:1], 0x28
	s_load_b32 s7, s[0:1], 0x88
	v_dual_lshrrev_b32 v57, 5, v0 :: v_dual_lshlrev_b32 v9, 3, v0
	v_dual_mov_b32 v13, 0xff7fffff :: v_dual_lshrrev_b32 v8, 3, v0
	v_mbcnt_lo_u32_b32 v10, -1, 0
	s_delay_alu instid0(VALU_DEP_3)
	v_lshlrev_b32_e32 v38, 4, v57
	s_mul_i32 s14, s3, s14
	s_mov_b32 s11, exec_lo
	s_wait_kmcnt 0x0
	s_mul_i32 s20, s2, s30
	s_sub_co_i32 s2, s4, s12
	s_ashr_i32 s21, s20, 31
	s_cmp_ge_u32 s4, s12
	s_cselect_b32 s8, s8, s25
	s_cselect_b32 s2, s2, s4
	s_add_co_i32 s4, s8, 1
	s_cmp_ge_u32 s2, s12
	s_cselect_b32 s2, s4, s8
	s_add_co_i32 s4, s31, 15
	s_delay_alu instid0(SALU_CYCLE_1) | instskip(NEXT) | instid1(SALU_CYCLE_1)
	s_ashr_i32 s8, s4, 31
	s_lshr_b32 s8, s8, 28
	s_delay_alu instid0(SALU_CYCLE_1) | instskip(NEXT) | instid1(SALU_CYCLE_1)
	s_add_co_i32 s4, s4, s8
	s_ashr_i32 s35, s4, 4
	s_xor_b32 s4, s2, s5
	v_cmp_le_i32_e64 s2, s35, v57
	s_sub_co_i32 s8, s4, s5
	v_cmpx_gt_i32_e64 s35, v57
	s_cbranch_execz .LBB131_20
; %bb.9:
	s_load_b64 s[4:5], s[0:1], 0x10
	s_ashr_i32 s15, s14, 31
	s_sub_co_i32 s22, s8, s9
	s_ashr_i32 s25, s13, 31
	s_lshl_b64 s[38:39], s[14:15], 1
	s_cmp_neq_f32 s36, 0
	v_bfe_u32 v11, v0, 1, 4
	v_mov_b32_e32 v3, 0
	v_mul_u32_u24_e32 v12, 0x78, v56
	s_cselect_b32 vcc_lo, -1, 0
	s_abs_i32 s15, s10
	v_lshlrev_b32_e32 v2, 4, v11
	s_cvt_f32_u32 s3, s15
	v_lshlrev_b32_e32 v7, 2, v11
	v_subrev_nc_u32_e32 v6, s31, v11
	s_sub_co_i32 s26, 0, s15
	v_rcp_iflag_f32_e32 v4, s3
	v_cmp_eq_u32_e64 s3, 0, v56
	v_dual_mov_b32 v16, 0xff7fffff :: v_dual_mov_b32 v13, 0xff7fffff
	s_wait_kmcnt 0x0
	s_add_nc_u64 s[4:5], s[4:5], s[38:39]
	v_add_nc_u32_e32 v14, 1, v6
	v_xor_b32_e32 v17, 1, v10
	v_readfirstlane_b32 s24, v4
	v_add_nc_u64_e32 v[4:5], s[4:5], v[2:3]
	v_and_b32_e32 v2, 8, v9
	v_lshl_or_b32 v7, v57, 6, v7
	s_lshl_b64 s[4:5], s[20:21], 2
	s_mul_f32 s24, s24, 0x4f7ffffe
	s_add_nc_u64 s[4:5], s[18:19], s[4:5]
	s_delay_alu instid0(VALU_DEP_1)
	v_dual_mov_b32 v18, v57 :: v_dual_add_nc_u32 v15, 0x110, v7
	v_add_nc_u64_e32 v[4:5], v[4:5], v[2:3]
	v_and_b32_e32 v2, 0x7c, v8
	s_cvt_u32_f32 s37, s24
	s_mov_b32 s27, 0
	s_mov_b32 s24, s13
	s_delay_alu instid0(VALU_DEP_1) | instskip(SKIP_3) | instid1(SALU_CYCLE_1)
	v_add_nc_u64_e32 v[6:7], s[4:5], v[2:3]
	s_mul_i32 s26, s26, s37
	v_lshlrev_b32_e32 v2, 4, v57
	s_mul_hi_u32 s4, s37, s26
	s_add_co_i32 s26, s37, s4
	s_mov_b32 s37, s27
	s_branch .LBB131_12
.LBB131_10:                             ;   in Loop: Header=BB131_12 Depth=1
	s_or_b32 exec_lo, exec_lo, s38
.LBB131_11:                             ;   in Loop: Header=BB131_12 Depth=1
	s_delay_alu instid0(SALU_CYCLE_1) | instskip(SKIP_4) | instid1(VALU_DEP_4)
	s_or_b32 exec_lo, exec_lo, s5
	v_add_nc_u32_e32 v18, 4, v18
	v_add_nc_u64_e32 v[6:7], 16, v[6:7]
	v_add_nc_u32_e32 v2, 64, v2
	v_add_nc_u32_e32 v15, 0x100, v15
	v_cmp_le_i32_e64 s4, s35, v18
	s_or_b32 s37, s4, s37
	s_delay_alu instid0(SALU_CYCLE_1)
	s_and_not1_b32 exec_lo, exec_lo, s37
	s_cbranch_execz .LBB131_19
.LBB131_12:                             ; =>This Inner Loop Header: Depth=1
	s_wait_dscnt 0x0
	v_mul_u64_e32 v[20:21], s[16:17], v[2:3]
	s_delay_alu instid0(VALU_DEP_1) | instskip(NEXT) | instid1(VALU_DEP_1)
	v_mul_lo_u32 v19, v21, s12
	v_dual_add_nc_u32 v20, 1, v21 :: v_dual_sub_nc_u32 v19, v2, v19
	s_delay_alu instid0(VALU_DEP_1) | instskip(SKIP_1) | instid1(VALU_DEP_1)
	v_subrev_nc_u32_e32 v22, s12, v19
	v_cmp_le_u32_e64 s4, s12, v19
	v_dual_cndmask_b32 v20, v21, v20, s4 :: v_dual_cndmask_b32 v19, v19, v22, s4
	s_delay_alu instid0(VALU_DEP_1) | instskip(NEXT) | instid1(VALU_DEP_2)
	v_add_nc_u32_e32 v21, 1, v20
	v_cmp_le_u32_e64 s4, s12, v19
	s_delay_alu instid0(VALU_DEP_1) | instskip(NEXT) | instid1(VALU_DEP_1)
	v_dual_cndmask_b32 v19, v20, v21, s4 :: v_dual_mov_b32 v21, v3
	v_xor_b32_e32 v19, s34, v19
	s_delay_alu instid0(VALU_DEP_1) | instskip(NEXT) | instid1(VALU_DEP_1)
	v_subrev_nc_u32_e32 v19, s34, v19
	v_add_nc_u32_e32 v24, s33, v19
	v_cmp_ge_i32_e64 s5, s22, v19
	s_delay_alu instid0(VALU_DEP_2) | instskip(NEXT) | instid1(VALU_DEP_1)
	v_sub_nc_u32_e32 v20, 0, v24
	v_max_i32_e32 v20, v24, v20
	s_delay_alu instid0(VALU_DEP_1) | instskip(SKIP_1) | instid1(VALU_DEP_2)
	v_mul_u64_e32 v[22:23], s[26:27], v[20:21]
	v_ashrrev_i32_e32 v22, 31, v24
	v_mul_lo_u32 v21, v23, s15
	s_delay_alu instid0(VALU_DEP_1) | instskip(NEXT) | instid1(VALU_DEP_1)
	v_sub_nc_u32_e32 v20, v20, v21
	v_subrev_nc_u32_e32 v21, s15, v20
	v_cmp_le_u32_e64 s4, s15, v20
	s_delay_alu instid0(VALU_DEP_1) | instskip(NEXT) | instid1(VALU_DEP_1)
	v_cndmask_b32_e64 v20, v20, v21, s4
	v_subrev_nc_u32_e32 v21, s15, v20
	v_cmp_le_u32_e64 s4, s15, v20
	s_delay_alu instid0(VALU_DEP_1) | instskip(NEXT) | instid1(VALU_DEP_1)
	v_cndmask_b32_e64 v20, v20, v21, s4
	v_xor_b32_e32 v20, v20, v22
	s_delay_alu instid0(VALU_DEP_1) | instskip(NEXT) | instid1(VALU_DEP_1)
	v_sub_nc_u32_e32 v20, v20, v22
	v_cmp_ne_u32_e64 s4, 0, v20
	s_and_b32 s4, s4, s5
	s_delay_alu instid0(SALU_CYCLE_1) | instskip(NEXT) | instid1(SALU_CYCLE_1)
	s_and_saveexec_b32 s5, s4
	s_xor_b32 s4, exec_lo, s5
	s_cbranch_execz .LBB131_16
; %bb.13:                               ;   in Loop: Header=BB131_12 Depth=1
	s_and_saveexec_b32 s5, s3
; %bb.14:                               ;   in Loop: Header=BB131_12 Depth=1
	ds_store_b32 v15, v16
; %bb.15:                               ;   in Loop: Header=BB131_12 Depth=1
	s_or_b32 exec_lo, exec_lo, s5
.LBB131_16:                             ;   in Loop: Header=BB131_12 Depth=1
	s_and_not1_saveexec_b32 s5, s4
	s_cbranch_execz .LBB131_11
; %bb.17:                               ;   in Loop: Header=BB131_12 Depth=1
	global_load_b32 v20, v[6:7], off
	v_cmp_gt_i32_e64 s4, 32, v17
	s_wait_loadcnt 0x0
	v_ashrrev_i32_e32 v21, 31, v20
	s_delay_alu instid0(VALU_DEP_1) | instskip(NEXT) | instid1(VALU_DEP_1)
	v_mul_u64_e32 v[20:21], s[24:25], v[20:21]
	v_lshl_add_u64 v[20:21], v[20:21], 1, v[4:5]
	s_clause 0xe
	global_load_b64 v[32:33], v[20:21], off offset:256
	global_load_b64 v[36:37], v[20:21], off
	global_load_b64 v[40:41], v[20:21], off offset:512
	global_load_b64 v[42:43], v[20:21], off offset:768
	;; [unrolled: 1-line block ×13, first 2 shown]
	s_wait_xcnt 0x0
	ds_load_2addr_b64 v[20:23], v12 offset1:1
	ds_load_2addr_b64 v[24:27], v12 offset0:2 offset1:3
	ds_load_2addr_b64 v[28:31], v12 offset0:4 offset1:5
	s_wait_dscnt 0x2
	v_lshlrev_b32_e32 v19, 16, v22
	v_and_b32_e32 v22, 0xffff0000, v22
	v_lshlrev_b32_e32 v35, 16, v23
	v_and_b32_e32 v23, 0xffff0000, v23
	s_wait_loadcnt 0xe
	v_lshlrev_b32_e32 v34, 16, v32
	v_and_b32_e32 v32, 0xffff0000, v32
	v_lshlrev_b32_e32 v39, 16, v33
	v_and_b32_e32 v68, 0xffff0000, v33
	s_delay_alu instid0(VALU_DEP_3) | instskip(NEXT) | instid1(VALU_DEP_3)
	v_dual_mul_f32 v19, v19, v34 :: v_dual_mul_f32 v22, v22, v32
	v_mul_f32_e32 v39, v35, v39
	ds_load_2addr_b64 v[32:35], v12 offset0:6 offset1:7
	s_wait_loadcnt 0xd
	v_fma_mix_f32_bf16 v19, v20, v36, v19 op_sel_hi:[1,1,0]
	v_fma_mix_f32_bf16 v20, v20, v36, v22 op_sel:[1,1,0] op_sel_hi:[1,1,0]
	v_mul_f32_e32 v22, v23, v68
	v_fma_mix_f32_bf16 v23, v21, v37, v39 op_sel_hi:[1,1,0]
	s_wait_loadcnt_dscnt 0xc02
	v_fma_mix_f32_bf16 v19, v24, v40, v19 op_sel_hi:[1,1,0]
	v_fma_mix_f32_bf16 v20, v24, v40, v20 op_sel:[1,1,0] op_sel_hi:[1,1,0]
	v_fma_mix_f32_bf16 v24, v21, v37, v22 op_sel:[1,1,0] op_sel_hi:[1,1,0]
	v_fma_mix_f32_bf16 v36, v25, v41, v23 op_sel_hi:[1,1,0]
	s_wait_loadcnt 0xb
	v_fma_mix_f32_bf16 v19, v26, v42, v19 op_sel_hi:[1,1,0]
	v_fma_mix_f32_bf16 v26, v26, v42, v20 op_sel:[1,1,0] op_sel_hi:[1,1,0]
	ds_load_2addr_b64 v[20:23], v12 offset0:8 offset1:9
	v_fma_mix_f32_bf16 v24, v25, v41, v24 op_sel:[1,1,0] op_sel_hi:[1,1,0]
	v_fma_mix_f32_bf16 v25, v27, v43, v36 op_sel_hi:[1,1,0]
	s_wait_loadcnt_dscnt 0xa02
	v_fma_mix_f32_bf16 v19, v28, v44, v19 op_sel_hi:[1,1,0]
	v_fma_mix_f32_bf16 v26, v28, v44, v26 op_sel:[1,1,0] op_sel_hi:[1,1,0]
	v_fma_mix_f32_bf16 v28, v27, v43, v24 op_sel:[1,1,0] op_sel_hi:[1,1,0]
	v_fma_mix_f32_bf16 v36, v29, v45, v25 op_sel_hi:[1,1,0]
	s_wait_loadcnt 0x9
	v_fma_mix_f32_bf16 v19, v30, v46, v19 op_sel_hi:[1,1,0]
	v_fma_mix_f32_bf16 v30, v30, v46, v26 op_sel:[1,1,0] op_sel_hi:[1,1,0]
	ds_load_2addr_b64 v[24:27], v12 offset0:10 offset1:11
	v_fma_mix_f32_bf16 v28, v29, v45, v28 op_sel:[1,1,0] op_sel_hi:[1,1,0]
	;; [unrolled: 11-line block ×3, first 2 shown]
	v_fma_mix_f32_bf16 v33, v35, v51, v36 op_sel_hi:[1,1,0]
	s_wait_loadcnt_dscnt 0x602
	v_fma_mix_f32_bf16 v19, v20, v52, v19 op_sel_hi:[1,1,0]
	v_fma_mix_f32_bf16 v20, v20, v52, v34 op_sel:[1,1,0] op_sel_hi:[1,1,0]
	v_fma_mix_f32_bf16 v34, v35, v51, v32 op_sel:[1,1,0] op_sel_hi:[1,1,0]
	v_fma_mix_f32_bf16 v35, v21, v53, v33 op_sel_hi:[1,1,0]
	s_wait_loadcnt 0x5
	v_fma_mix_f32_bf16 v19, v22, v54, v19 op_sel_hi:[1,1,0]
	v_fma_mix_f32_bf16 v20, v22, v54, v20 op_sel:[1,1,0] op_sel_hi:[1,1,0]
	ds_load_b64 v[32:33], v12 offset:112
	v_fma_mix_f32_bf16 v21, v21, v53, v34 op_sel:[1,1,0] op_sel_hi:[1,1,0]
	v_fma_mix_f32_bf16 v22, v23, v55, v35 op_sel_hi:[1,1,0]
	s_wait_loadcnt_dscnt 0x402
	v_fma_mix_f32_bf16 v19, v24, v58, v19 op_sel_hi:[1,1,0]
	v_fma_mix_f32_bf16 v20, v24, v58, v20 op_sel:[1,1,0] op_sel_hi:[1,1,0]
	v_fma_mix_f32_bf16 v21, v23, v55, v21 op_sel:[1,1,0] op_sel_hi:[1,1,0]
	v_fma_mix_f32_bf16 v22, v25, v59, v22 op_sel_hi:[1,1,0]
	s_wait_loadcnt 0x3
	v_fma_mix_f32_bf16 v19, v26, v60, v19 op_sel_hi:[1,1,0]
	v_fma_mix_f32_bf16 v20, v26, v60, v20 op_sel:[1,1,0] op_sel_hi:[1,1,0]
	v_fma_mix_f32_bf16 v21, v25, v59, v21 op_sel:[1,1,0] op_sel_hi:[1,1,0]
	v_fma_mix_f32_bf16 v22, v27, v61, v22 op_sel_hi:[1,1,0]
	s_wait_loadcnt_dscnt 0x201
	v_fma_mix_f32_bf16 v19, v28, v62, v19 op_sel_hi:[1,1,0]
	v_fma_mix_f32_bf16 v20, v28, v62, v20 op_sel:[1,1,0] op_sel_hi:[1,1,0]
	v_fma_mix_f32_bf16 v21, v27, v61, v21 op_sel:[1,1,0] op_sel_hi:[1,1,0]
	v_fma_mix_f32_bf16 v22, v29, v63, v22 op_sel_hi:[1,1,0]
	s_wait_loadcnt 0x1
	v_fma_mix_f32_bf16 v19, v64, v30, v19 op_sel_hi:[1,1,0]
	v_fma_mix_f32_bf16 v20, v64, v30, v20 op_sel:[1,1,0] op_sel_hi:[1,1,0]
	v_fma_mix_f32_bf16 v21, v29, v63, v21 op_sel:[1,1,0] op_sel_hi:[1,1,0]
	v_fma_mix_f32_bf16 v22, v65, v31, v22 op_sel_hi:[1,1,0]
	s_wait_loadcnt_dscnt 0x0
	v_fma_mix_f32_bf16 v19, v66, v32, v19 op_sel_hi:[1,1,0]
	v_fma_mix_f32_bf16 v20, v66, v32, v20 op_sel:[1,1,0] op_sel_hi:[1,1,0]
	v_fma_mix_f32_bf16 v21, v65, v31, v21 op_sel:[1,1,0] op_sel_hi:[1,1,0]
	v_fma_mix_f32_bf16 v22, v67, v33, v22 op_sel_hi:[1,1,0]
	s_delay_alu instid0(VALU_DEP_3) | instskip(NEXT) | instid1(VALU_DEP_3)
	v_dual_add_f32 v19, v19, v20 :: v_dual_cndmask_b32 v20, v10, v17, s4
	v_fma_mix_f32_bf16 v21, v67, v33, v21 op_sel:[1,1,0] op_sel_hi:[1,1,0]
	s_delay_alu instid0(VALU_DEP_2) | instskip(NEXT) | instid1(VALU_DEP_1)
	v_dual_add_f32 v19, v19, v22 :: v_dual_lshlrev_b32 v20, 2, v20
	v_add_f32_e32 v19, v21, v19
	ds_bpermute_b32 v20, v20, v19
	s_and_saveexec_b32 s38, s3
	s_cbranch_execz .LBB131_10
; %bb.18:                               ;   in Loop: Header=BB131_12 Depth=1
	s_wait_dscnt 0x0
	v_dual_add_nc_u32 v21, v14, v2 :: v_dual_add_f32 v19, v19, v20
	s_delay_alu instid0(VALU_DEP_1) | instskip(NEXT) | instid1(VALU_DEP_1)
	v_cvt_f32_i32_e32 v21, v21
	v_mul_f32_e32 v21, s36, v21
	s_delay_alu instid0(VALU_DEP_1) | instskip(NEXT) | instid1(VALU_DEP_1)
	v_cndmask_b32_e32 v20, 0, v21, vcc_lo
	v_dual_fmac_f32 v20, s23, v19 :: v_dual_add_nc_u32 v19, v11, v2
	s_delay_alu instid0(VALU_DEP_1) | instskip(NEXT) | instid1(VALU_DEP_1)
	v_cmp_gt_i32_e64 s4, s31, v19
	v_dual_max_num_f32 v21, v13, v13 :: v_dual_cndmask_b32 v19, 0, v20, s4
	s_delay_alu instid0(VALU_DEP_1)
	v_max_num_f32_e32 v21, v21, v20
	ds_store_b32 v15, v19
	v_cndmask_b32_e64 v13, v13, v21, s4
	s_branch .LBB131_10
.LBB131_19:
	s_or_b32 exec_lo, exec_lo, s37
.LBB131_20:
	s_delay_alu instid0(SALU_CYCLE_1)
	s_or_b32 exec_lo, exec_lo, s11
	v_dual_max_num_f32 v6, v13, v13 :: v_dual_bitop2_b32 v2, 16, v10 bitop3:0x14
	v_xor_b32_e32 v7, 2, v10
	v_xor_b32_e32 v4, 8, v10
	s_clause 0x1
	s_load_b64 s[4:5], s[0:1], 0x0
	s_load_b64 s[22:23], s[0:1], 0x18
	v_cmp_gt_i32_e32 vcc_lo, 32, v2
	v_cndmask_b32_e32 v2, v10, v2, vcc_lo
	v_cmp_gt_i32_e32 vcc_lo, 32, v4
	s_delay_alu instid0(VALU_DEP_2) | instskip(SKIP_3) | instid1(VALU_DEP_1)
	v_dual_cndmask_b32 v4, v10, v4 :: v_dual_lshlrev_b32 v3, 2, v2
	ds_bpermute_b32 v2, v3, v13
	s_wait_dscnt 0x0
	v_dual_max_num_f32 v2, v2, v2 :: v_dual_lshlrev_b32 v5, 2, v4
	v_max_num_f32_e32 v2, v6, v2
	ds_bpermute_b32 v4, v5, v2
	s_wait_dscnt 0x0
	v_dual_max_num_f32 v4, v4, v4 :: v_dual_bitop2_b32 v6, 4, v10 bitop3:0x14
	s_delay_alu instid0(VALU_DEP_1) | instskip(NEXT) | instid1(VALU_DEP_2)
	v_cmp_gt_i32_e32 vcc_lo, 32, v6
	v_max_num_f32_e32 v2, v2, v4
	v_cndmask_b32_e32 v6, v10, v6, vcc_lo
	s_delay_alu instid0(VALU_DEP_1) | instskip(SKIP_3) | instid1(VALU_DEP_1)
	v_lshlrev_b32_e32 v6, 2, v6
	ds_bpermute_b32 v4, v6, v2
	s_wait_dscnt 0x0
	v_max_num_f32_e32 v4, v4, v4
	v_max_num_f32_e32 v11, v2, v4
	v_cmp_gt_i32_e32 vcc_lo, 32, v7
	v_dual_cndmask_b32 v7, v10, v7, vcc_lo :: v_dual_bitop2_b32 v4, 31, v0 bitop3:0x40
	s_delay_alu instid0(VALU_DEP_1) | instskip(NEXT) | instid1(VALU_DEP_2)
	v_cmp_eq_u32_e32 vcc_lo, 0, v4
	v_dual_lshlrev_b32 v2, 2, v7 :: v_dual_lshlrev_b32 v7, 2, v57
	ds_bpermute_b32 v12, v2, v11
	s_wait_xcnt 0x0
	s_and_saveexec_b32 s0, vcc_lo
	s_cbranch_execz .LBB131_22
; %bb.21:
	s_wait_dscnt 0x0
	v_dual_max_num_f32 v12, v12, v12 :: v_dual_max_num_f32 v11, v11, v11
	s_delay_alu instid0(VALU_DEP_1)
	v_max_num_f32_e32 v11, v11, v12
	ds_store_b32 v7, v11 offset:240
.LBB131_22:
	s_or_b32 exec_lo, exec_lo, s0
	v_cmp_gt_u32_e64 s0, 4, v4
	s_wait_dscnt 0x0
	v_dual_mov_b32 v12, 0xff7fffff :: v_dual_lshlrev_b32 v11, 2, v4
	s_barrier_signal -1
	s_barrier_wait -1
	s_and_saveexec_b32 s1, s0
; %bb.23:
	ds_load_b32 v12, v11 offset:240
; %bb.24:
	s_or_b32 exec_lo, exec_lo, s1
	s_wait_dscnt 0x0
	ds_bpermute_b32 v13, v2, v12
	v_dual_max_num_f32 v12, v12, v12 :: v_dual_bitop2_b32 v14, 1, v10 bitop3:0x14
	s_delay_alu instid0(VALU_DEP_1) | instskip(NEXT) | instid1(VALU_DEP_1)
	v_cmp_gt_i32_e64 s1, 32, v14
	v_cndmask_b32_e64 v10, v10, v14, s1
	s_lshl_b32 s1, s35, 4
	s_delay_alu instid0(SALU_CYCLE_1) | instskip(NEXT) | instid1(SALU_CYCLE_1)
	s_min_i32 s11, s1, s31
	v_cmp_gt_i32_e64 s1, s11, v0
	s_wait_dscnt 0x0
	v_dual_max_num_f32 v13, v13, v13 :: v_dual_lshlrev_b32 v59, 2, v10
	s_delay_alu instid0(VALU_DEP_1) | instskip(SKIP_3) | instid1(VALU_DEP_1)
	v_max_num_f32_e32 v10, v12, v13
	ds_bpermute_b32 v12, v59, v10
	s_wait_dscnt 0x0
	v_max_num_f32_e32 v12, v12, v12
	v_dual_max_num_f32 v12, v10, v12 :: v_dual_mov_b32 v10, 0
	ds_bpermute_b32 v12, v10, v12
	s_and_saveexec_b32 s15, s1
	s_cbranch_execz .LBB131_28
; %bb.25:
	v_lshl_add_u32 v13, v0, 2, 0x110
	v_dual_mov_b32 v10, 0 :: v_dual_mov_b32 v14, v0
	s_mov_b32 s24, 0
.LBB131_26:                             ; =>This Inner Loop Header: Depth=1
	ds_load_b32 v15, v13
	v_add_nc_u32_e32 v14, 0x80, v14
	s_delay_alu instid0(VALU_DEP_1) | instskip(SKIP_3) | instid1(VALU_DEP_1)
	v_cmp_le_i32_e64 s3, s11, v14
	s_or_b32 s24, s3, s24
	s_wait_dscnt 0x0
	v_sub_f32_e32 v15, v15, v12
	v_mul_f32_e32 v15, 0x3fb8aa3b, v15
	s_delay_alu instid0(VALU_DEP_1)
	v_exp_f32_e32 v15, v15
	ds_store_b32 v13, v15
	v_nop
	v_dual_add_f32 v10, v10, v15 :: v_dual_add_nc_u32 v13, 0x200, v13
	s_and_not1_b32 exec_lo, exec_lo, s24
	s_cbranch_execnz .LBB131_26
; %bb.27:
	s_or_b32 exec_lo, exec_lo, s24
.LBB131_28:
	s_delay_alu instid0(SALU_CYCLE_1)
	s_or_b32 exec_lo, exec_lo, s15
	ds_bpermute_b32 v3, v3, v10
	s_wait_dscnt 0x0
	v_add_f32_e32 v3, v10, v3
	ds_bpermute_b32 v5, v5, v3
	s_wait_dscnt 0x0
	v_add_f32_e32 v3, v3, v5
	;; [unrolled: 3-line block ×5, first 2 shown]
	s_and_saveexec_b32 s3, vcc_lo
; %bb.29:
	ds_store_b32 v7, v3 offset:256
; %bb.30:
	s_or_b32 exec_lo, exec_lo, s3
	s_wait_dscnt 0x0
	s_barrier_signal -1
	s_barrier_wait -1
	s_and_saveexec_b32 s3, s0
; %bb.31:
	ds_load_b32 v3, v11 offset:256
; %bb.32:
	s_or_b32 exec_lo, exec_lo, s3
	s_wait_dscnt 0x0
	ds_bpermute_b32 v2, v2, v3
	s_wait_dscnt 0x0
	v_add_f32_e32 v2, v3, v2
	ds_bpermute_b32 v3, v59, v2
	s_wait_dscnt 0x0
	v_dual_add_f32 v2, v2, v3 :: v_dual_mov_b32 v3, 0
	ds_bpermute_b32 v2, v3, v2
	s_and_saveexec_b32 s0, s1
	s_cbranch_execz .LBB131_45
; %bb.33:
	s_wait_dscnt 0x0
	v_add_f32_e32 v2, 0x358637bd, v2
	s_mov_b32 s3, -1
	s_mov_b32 s1, exec_lo
	s_delay_alu instid0(VALU_DEP_1) | instskip(SKIP_1) | instid1(VALU_DEP_2)
	v_div_scale_f32 v3, null, v2, v2, 1.0
	v_div_scale_f32 v7, vcc_lo, 1.0, v2, 1.0
	v_rcp_f32_e32 v6, v3
	v_nop
	s_delay_alu instid0(TRANS32_DEP_1) | instskip(NEXT) | instid1(VALU_DEP_1)
	v_fma_f32 v5, -v3, v6, 1.0
	v_fmac_f32_e32 v6, v5, v6
	s_delay_alu instid0(VALU_DEP_1) | instskip(NEXT) | instid1(VALU_DEP_1)
	v_mul_f32_e32 v10, v7, v6
	v_fma_f32 v5, -v3, v10, v7
	s_delay_alu instid0(VALU_DEP_1) | instskip(SKIP_1) | instid1(VALU_DEP_2)
	v_fmac_f32_e32 v10, v5, v6
	v_xad_u32 v5, v0, -1, s11
	v_fma_f32 v3, -v3, v10, v7
	s_delay_alu instid0(VALU_DEP_1) | instskip(NEXT) | instid1(VALU_DEP_1)
	v_div_fmas_f32 v3, v3, v6, v10
	v_div_fixup_f32 v2, v3, v2, 1.0
	v_mov_b32_e32 v3, v0
	v_cmpx_lt_u32_e32 0x7f, v5
	s_cbranch_execz .LBB131_42
; %bb.34:
	s_delay_alu instid0(VALU_DEP_3) | instskip(NEXT) | instid1(VALU_DEP_1)
	v_dual_lshrrev_b32 v5, 7, v5 :: v_dual_mov_b32 v3, v2
	v_dual_mov_b32 v11, 0 :: v_dual_add_nc_u32 v6, -1, v5
	s_delay_alu instid0(VALU_DEP_1) | instskip(SKIP_1) | instid1(VALU_DEP_2)
	v_lshrrev_b32_e32 v7, 1, v6
	v_cmp_lt_u32_e32 vcc_lo, 13, v6
	v_add_nc_u32_e32 v6, 1, v7
	s_and_saveexec_b32 s3, vcc_lo
	s_cbranch_execz .LBB131_38
; %bb.35:
	s_delay_alu instid0(VALU_DEP_1)
	v_and_b32_e32 v7, -8, v6
	v_lshl_add_u32 v10, v0, 2, 0x110
	s_mov_b32 s15, 0
	s_mov_b32 s24, 0
.LBB131_36:                             ; =>This Inner Loop Header: Depth=1
	ds_load_2addr_stride64_b32 v[12:13], v10 offset1:2
	ds_load_2addr_stride64_b32 v[14:15], v10 offset0:4 offset1:6
	ds_load_2addr_stride64_b32 v[16:17], v10 offset0:8 offset1:10
	;; [unrolled: 1-line block ×7, first 2 shown]
	s_add_co_i32 s24, s24, 16
	s_delay_alu instid0(SALU_CYCLE_1) | instskip(NEXT) | instid1(VALU_DEP_1)
	v_dual_add_nc_u32 v7, -8, v7 :: v_dual_mov_b32 v11, s24
	v_cmp_eq_u32_e32 vcc_lo, 0, v7
	s_or_b32 s15, vcc_lo, s15
	s_wait_dscnt 0x7
	v_pk_mul_f32 v[12:13], v[2:3], v[12:13]
	s_wait_dscnt 0x6
	v_pk_mul_f32 v[14:15], v[2:3], v[14:15]
	;; [unrolled: 2-line block ×8, first 2 shown]
	ds_store_2addr_stride64_b32 v10, v12, v13 offset1:2
	ds_store_2addr_stride64_b32 v10, v14, v15 offset0:4 offset1:6
	ds_store_2addr_stride64_b32 v10, v16, v17 offset0:8 offset1:10
	ds_store_2addr_stride64_b32 v10, v18, v19 offset0:12 offset1:14
	ds_store_2addr_stride64_b32 v10, v20, v21 offset0:16 offset1:18
	ds_store_2addr_stride64_b32 v10, v22, v23 offset0:20 offset1:22
	ds_store_2addr_stride64_b32 v10, v24, v25 offset0:24 offset1:26
	ds_store_2addr_stride64_b32 v10, v26, v27 offset0:28 offset1:30
	v_add_nc_u32_e32 v10, 0x2000, v10
	s_and_not1_b32 exec_lo, exec_lo, s15
	s_cbranch_execnz .LBB131_36
; %bb.37:
	s_or_b32 exec_lo, exec_lo, s15
.LBB131_38:
	s_delay_alu instid0(SALU_CYCLE_1) | instskip(NEXT) | instid1(VALU_DEP_1)
	s_or_b32 exec_lo, exec_lo, s3
	v_and_b32_e32 v6, 7, v6
	s_mov_b32 s15, 0
	s_mov_b32 s3, exec_lo
	s_delay_alu instid0(VALU_DEP_1)
	v_cmpx_ne_u32_e32 0, v6
	s_cbranch_execz .LBB131_41
; %bb.39:
	v_dual_lshlrev_b32 v7, 9, v11 :: v_dual_lshlrev_b32 v10, 2, v0
	s_delay_alu instid0(VALU_DEP_1)
	v_add3_u32 v7, v7, v10, 0x110
.LBB131_40:                             ; =>This Inner Loop Header: Depth=1
	ds_load_2addr_stride64_b32 v[10:11], v7 offset1:2
	v_add_nc_u32_e32 v6, -1, v6
	s_delay_alu instid0(VALU_DEP_1)
	v_cmp_eq_u32_e32 vcc_lo, 0, v6
	s_or_b32 s15, vcc_lo, s15
	s_wait_dscnt 0x0
	v_pk_mul_f32 v[10:11], v[2:3], v[10:11]
	ds_store_2addr_stride64_b32 v7, v10, v11 offset1:2
	v_add_nc_u32_e32 v7, 0x400, v7
	s_and_not1_b32 exec_lo, exec_lo, s15
	s_cbranch_execnz .LBB131_40
.LBB131_41:
	s_or_b32 exec_lo, exec_lo, s3
	v_add_nc_u32_e32 v3, 1, v5
	s_delay_alu instid0(VALU_DEP_1) | instskip(NEXT) | instid1(VALU_DEP_1)
	v_and_b32_e32 v5, 0x3fffffe, v3
	v_cmp_ne_u32_e32 vcc_lo, v3, v5
	v_lshl_add_u32 v3, v5, 7, v0
	s_or_not1_b32 s3, vcc_lo, exec_lo
.LBB131_42:
	s_or_b32 exec_lo, exec_lo, s1
	s_delay_alu instid0(SALU_CYCLE_1)
	s_and_b32 exec_lo, exec_lo, s3
	s_cbranch_execz .LBB131_45
; %bb.43:
	v_lshl_add_u32 v5, v3, 2, 0x110
	s_mov_b32 s1, 0
.LBB131_44:                             ; =>This Inner Loop Header: Depth=1
	ds_load_b32 v6, v5
	s_wait_dscnt 0x0
	v_dual_mul_f32 v6, v2, v6 :: v_dual_add_nc_u32 v3, 0x80, v3
	s_delay_alu instid0(VALU_DEP_1) | instskip(SKIP_3) | instid1(SALU_CYCLE_1)
	v_cmp_le_i32_e32 vcc_lo, s11, v3
	ds_store_b32 v5, v6
	v_add_nc_u32_e32 v5, 0x200, v5
	s_or_b32 s1, vcc_lo, s1
	s_and_not1_b32 exec_lo, exec_lo, s1
	s_cbranch_execnz .LBB131_44
.LBB131_45:
	s_or_b32 exec_lo, exec_lo, s0
	v_lshrrev_b32_e32 v58, 1, v4
	s_wait_dscnt 0x0
	s_barrier_signal -1
	s_barrier_wait -1
	s_and_saveexec_b32 s0, s2
	s_delay_alu instid0(SALU_CYCLE_1)
	s_xor_b32 s0, exec_lo, s0
; %bb.46:
	v_lshrrev_b32_e32 v58, 1, v4
                                        ; implicit-def: $vgpr38
                                        ; implicit-def: $vgpr9
                                        ; implicit-def: $vgpr8
; %bb.47:
	s_or_saveexec_b32 s24, s0
	v_dual_mov_b32 v41, 0 :: v_dual_mov_b32 v40, 0
	v_dual_mov_b32 v43, 0 :: v_dual_mov_b32 v42, 0
	;; [unrolled: 1-line block ×4, first 2 shown]
	s_xor_b32 exec_lo, exec_lo, s24
	s_cbranch_execz .LBB131_71
; %bb.48:
	s_abs_i32 s25, s10
	s_sub_co_i32 s26, s8, s9
	s_cvt_f32_u32 s0, s25
	v_dual_mov_b32 v39, 0 :: v_dual_bitop2_b32 v60, 8, v9 bitop3:0x40
	v_or_b32_e32 v5, 0x70, v58
	s_delay_alu instid0(SALU_CYCLE_1)
	v_rcp_iflag_f32_e32 v3, s0
	v_lshlrev_b32_e32 v6, 5, v56
	v_and_b32_e32 v2, 0x7c, v8
	s_lshl_b64 s[0:1], s[20:21], 2
	s_ashr_i32 s15, s14, 31
	v_lshl_or_b32 v4, v58, 4, v60
	s_add_nc_u64 s[0:1], s[18:19], s[0:1]
	v_readfirstlane_b32 s8, v3
	v_mov_b32_e32 v3, v39
	v_lshl_or_b32 v7, v57, 6, v6
	v_lshl_or_b32 v6, v5, 4, v60
	s_lshl_b64 s[10:11], s[14:15], 1
	s_mul_f32 s8, s8, 0x4f7ffffe
	s_sub_co_i32 s14, 0, s25
	v_add_nc_u64_e32 v[48:49], s[0:1], v[2:3]
	v_dual_mov_b32 v62, v57 :: v_dual_add_nc_u32 v61, 0x110, v7
	s_cvt_u32_f32 s8, s8
	v_dual_lshlrev_b32 v50, 1, v4 :: v_dual_lshlrev_b32 v52, 1, v6
	v_dual_mov_b32 v46, v39 :: v_dual_mov_b32 v47, v39
	s_delay_alu instid0(SALU_CYCLE_1)
	s_mul_i32 s14, s14, s8
	v_dual_mov_b32 v44, v39 :: v_dual_mov_b32 v45, v39
	v_dual_mov_b32 v42, v39 :: v_dual_mov_b32 v43, v39
	;; [unrolled: 1-line block ×3, first 2 shown]
	s_mov_b32 s9, 0
	s_mul_hi_u32 s15, s8, s14
	s_ashr_i32 s3, s13, 31
	s_mov_b32 s2, s13
	s_add_co_i32 s13, s35, -1
	s_wait_kmcnt 0x0
	s_add_nc_u64 s[10:11], s[22:23], s[10:11]
	s_mov_b32 s14, s31
	s_add_co_i32 s8, s8, s15
	s_mov_b32 s15, s9
	v_cmp_gt_u32_e32 vcc_lo, 0x78, v5
	s_branch .LBB131_52
.LBB131_49:                             ;   in Loop: Header=BB131_52 Depth=1
	s_or_b32 exec_lo, exec_lo, s19
	s_wait_loadcnt 0x0
	v_pk_mul_bf16 v18, v63, v18
	v_pk_mul_bf16 v19, v24, v19
	;; [unrolled: 1-line block ×4, first 2 shown]
	s_delay_alu instid0(VALU_DEP_3) | instskip(SKIP_4) | instid1(VALU_DEP_3)
	v_dual_lshlrev_b32 v25, 16, v18 :: v_dual_lshlrev_b32 v51, 16, v19
	v_and_b32_e32 v18, 0xffff0000, v18
	v_and_b32_e32 v19, 0xffff0000, v19
	v_lshlrev_b32_e32 v53, 16, v20
	v_and_b32_e32 v20, 0xffff0000, v20
	v_dual_add_f32 v18, v18, v25 :: v_dual_add_f32 v19, v19, v51
	v_lshlrev_b32_e32 v25, 16, v21
	s_delay_alu instid0(VALU_DEP_2) | instskip(SKIP_1) | instid1(VALU_DEP_1)
	v_dual_add_f32 v20, v20, v53 :: v_dual_add_f32 v18, v19, v18
	v_and_b32_e32 v19, 0xffff0000, v21
	v_dual_add_f32 v18, v20, v18 :: v_dual_add_f32 v19, v19, v25
	s_delay_alu instid0(VALU_DEP_1) | instskip(NEXT) | instid1(VALU_DEP_1)
	v_add_f32_e32 v18, v19, v18
	v_add_f32_e32 v41, v41, v18
.LBB131_50:                             ;   in Loop: Header=BB131_52 Depth=1
	s_or_b32 exec_lo, exec_lo, s1
	s_wait_loadcnt 0x0
	v_pk_mul_bf16 v18, v63, v34
	v_pk_mul_bf16 v19, v24, v35
	;; [unrolled: 1-line block ×5, first 2 shown]
	s_delay_alu instid0(VALU_DEP_4)
	v_dual_lshlrev_b32 v21, 16, v18 :: v_dual_lshlrev_b32 v25, 16, v19
	v_and_b32_e32 v18, 0xffff0000, v18
	v_and_b32_e32 v19, 0xffff0000, v19
	v_lshlrev_b32_e32 v34, 16, v20
	v_and_b32_e32 v20, 0xffff0000, v20
	v_pk_mul_bf16 v14, v63, v14
	v_add_f32_e32 v18, v21, v18
	v_add_f32_e32 v19, v25, v19
	v_pk_mul_bf16 v25, v63, v30
	v_dual_add_f32 v20, v34, v20 :: v_dual_lshlrev_b32 v21, 16, v35
	v_and_b32_e32 v30, 0xffff0000, v35
	s_delay_alu instid0(VALU_DEP_4)
	v_add_f32_e32 v18, v19, v18
	v_pk_mul_bf16 v19, v24, v31
	v_lshlrev_b32_e32 v31, 16, v25
	v_pk_mul_bf16 v15, v24, v15
	v_add_f32_e32 v21, v21, v30
	v_add_f32_e32 v18, v20, v18
	v_and_b32_e32 v20, 0xffff0000, v25
	v_lshlrev_b32_e32 v25, 16, v19
	v_and_b32_e32 v19, 0xffff0000, v19
	v_pk_mul_bf16 v30, v23, v32
	s_delay_alu instid0(VALU_DEP_4) | instskip(SKIP_1) | instid1(VALU_DEP_3)
	v_dual_add_f32 v18, v21, v18 :: v_dual_add_f32 v20, v31, v20
	v_pk_mul_bf16 v10, v63, v10
	v_dual_add_f32 v19, v25, v19 :: v_dual_lshlrev_b32 v21, 16, v30
	v_and_b32_e32 v25, 0xffff0000, v30
	s_delay_alu instid0(VALU_DEP_4) | instskip(SKIP_1) | instid1(VALU_DEP_4)
	v_add_f32_e32 v40, v40, v18
	v_pk_mul_bf16 v18, v22, v33
	v_add_f32_e32 v19, v19, v20
	v_pk_mul_bf16 v20, v63, v26
	;; [unrolled: 2-line block ×3, first 2 shown]
	v_lshlrev_b32_e32 v26, 16, v18
	v_and_b32_e32 v18, 0xffff0000, v18
	v_lshlrev_b32_e32 v27, 16, v20
	v_and_b32_e32 v20, 0xffff0000, v20
	;; [unrolled: 2-line block ×3, first 2 shown]
	v_dual_add_f32 v19, v21, v19 :: v_dual_add_f32 v18, v26, v18
	s_delay_alu instid0(VALU_DEP_4) | instskip(SKIP_1) | instid1(VALU_DEP_4)
	v_add_f32_e32 v20, v27, v20
	v_and_b32_e32 v26, 0xffff0000, v28
	v_dual_add_f32 v21, v30, v25 :: v_dual_lshlrev_b32 v25, 16, v28
	s_delay_alu instid0(VALU_DEP_4) | instskip(SKIP_1) | instid1(VALU_DEP_3)
	v_add_f32_e32 v18, v18, v19
	v_pk_mul_bf16 v19, v22, v29
	v_dual_add_f32 v20, v21, v20 :: v_dual_lshlrev_b32 v27, 16, v15
	s_delay_alu instid0(VALU_DEP_4) | instskip(SKIP_1) | instid1(VALU_DEP_4)
	v_add_f32_e32 v21, v25, v26
	v_and_b32_e32 v15, 0xffff0000, v15
	v_dual_lshlrev_b32 v25, 16, v19 :: v_dual_lshlrev_b32 v26, 16, v14
	v_and_b32_e32 v14, 0xffff0000, v14
	v_and_b32_e32 v19, 0xffff0000, v19
	v_dual_add_f32 v43, v43, v18 :: v_dual_add_f32 v18, v21, v20
	s_delay_alu instid0(VALU_DEP_3) | instskip(SKIP_4) | instid1(VALU_DEP_4)
	v_dual_add_f32 v15, v27, v15 :: v_dual_add_f32 v14, v26, v14
	v_pk_mul_bf16 v11, v24, v11
	v_pk_mul_bf16 v16, v23, v16
	v_pk_mul_bf16 v12, v23, v12
	v_pk_mul_bf16 v17, v22, v17
	v_dual_add_f32 v14, v15, v14 :: v_dual_lshlrev_b32 v20, 16, v11
	s_delay_alu instid0(VALU_DEP_4)
	v_dual_lshlrev_b32 v15, 16, v10 :: v_dual_lshlrev_b32 v21, 16, v16
	v_and_b32_e32 v10, 0xffff0000, v10
	v_and_b32_e32 v11, 0xffff0000, v11
	;; [unrolled: 1-line block ×3, first 2 shown]
	v_pk_mul_bf16 v13, v22, v13
	v_pk_mul_bf16 v6, v63, v6
	s_delay_alu instid0(VALU_DEP_4) | instskip(SKIP_2) | instid1(VALU_DEP_3)
	v_dual_add_f32 v10, v15, v10 :: v_dual_add_f32 v11, v20, v11
	v_dual_lshlrev_b32 v15, 16, v12 :: v_dual_lshlrev_b32 v20, 16, v17
	v_and_b32_e32 v12, 0xffff0000, v12
	v_dual_add_f32 v16, v21, v16 :: v_dual_add_f32 v10, v11, v10
	v_and_b32_e32 v17, 0xffff0000, v17
	v_pk_mul_bf16 v7, v24, v7
	s_delay_alu instid0(VALU_DEP_3) | instskip(NEXT) | instid1(VALU_DEP_3)
	v_dual_add_f32 v11, v15, v12 :: v_dual_add_f32 v12, v16, v14
	v_dual_add_f32 v14, v20, v17 :: v_dual_lshlrev_b32 v15, 16, v6
	v_and_b32_e32 v6, 0xffff0000, v6
	s_delay_alu instid0(VALU_DEP_3)
	v_dual_add_f32 v10, v11, v10 :: v_dual_lshlrev_b32 v11, 16, v13
	v_lshlrev_b32_e32 v16, 16, v7
	v_and_b32_e32 v7, 0xffff0000, v7
	v_pk_mul_bf16 v8, v23, v8
	v_pk_mul_bf16 v2, v63, v2
	;; [unrolled: 1-line block ×3, first 2 shown]
	s_delay_alu instid0(VALU_DEP_4) | instskip(NEXT) | instid1(VALU_DEP_4)
	v_dual_add_f32 v6, v15, v6 :: v_dual_add_f32 v7, v16, v7
	v_lshlrev_b32_e32 v15, 16, v8
	v_and_b32_e32 v8, 0xffff0000, v8
	s_delay_alu instid0(VALU_DEP_4)
	v_dual_lshlrev_b32 v16, 16, v2 :: v_dual_lshlrev_b32 v17, 16, v3
	v_and_b32_e32 v2, 0xffff0000, v2
	v_and_b32_e32 v3, 0xffff0000, v3
	v_pk_mul_bf16 v4, v23, v4
	v_pk_mul_bf16 v9, v22, v9
	v_add_f32_e32 v6, v7, v6
	v_dual_add_f32 v7, v15, v8 :: v_dual_add_f32 v2, v16, v2
	s_delay_alu instid0(VALU_DEP_4) | instskip(NEXT) | instid1(VALU_DEP_4)
	v_dual_add_f32 v3, v17, v3 :: v_dual_lshlrev_b32 v8, 16, v4
	v_lshlrev_b32_e32 v15, 16, v9
	v_and_b32_e32 v4, 0xffff0000, v4
	v_pk_mul_bf16 v5, v22, v5
	v_and_b32_e32 v13, 0xffff0000, v13
	v_and_b32_e32 v9, 0xffff0000, v9
	s_delay_alu instid0(VALU_DEP_4) | instskip(NEXT) | instid1(VALU_DEP_4)
	v_dual_add_f32 v2, v3, v2 :: v_dual_add_f32 v3, v8, v4
	v_dual_lshlrev_b32 v4, 16, v5 :: v_dual_add_f32 v6, v7, v6
	v_and_b32_e32 v5, 0xffff0000, v5
	v_dual_add_f32 v19, v25, v19 :: v_dual_add_f32 v8, v11, v13
	s_delay_alu instid0(VALU_DEP_2) | instskip(SKIP_1) | instid1(VALU_DEP_3)
	v_dual_add_f32 v2, v3, v2 :: v_dual_add_f32 v3, v4, v5
	v_dual_add_f32 v5, v14, v12 :: v_dual_add_f32 v7, v15, v9
	v_add_f32_e32 v8, v8, v10
	s_delay_alu instid0(VALU_DEP_4) | instskip(NEXT) | instid1(VALU_DEP_3)
	v_add_f32_e32 v4, v19, v18
	v_dual_add_f32 v2, v3, v2 :: v_dual_add_f32 v45, v45, v5
	s_delay_alu instid0(VALU_DEP_3) | instskip(NEXT) | instid1(VALU_DEP_3)
	v_dual_add_f32 v6, v7, v6 :: v_dual_add_f32 v44, v44, v8
	v_add_f32_e32 v42, v42, v4
	s_delay_alu instid0(VALU_DEP_3) | instskip(NEXT) | instid1(VALU_DEP_3)
	v_add_f32_e32 v46, v46, v2
	v_add_f32_e32 v47, v47, v6
.LBB131_51:                             ;   in Loop: Header=BB131_52 Depth=1
	s_or_b32 exec_lo, exec_lo, s18
	v_add_nc_u32_e32 v62, 4, v62
	v_add_nc_u64_e32 v[48:49], 16, v[48:49]
	v_add_nc_u32_e32 v38, 64, v38
	v_add_nc_u32_e32 v61, 0x100, v61
	s_delay_alu instid0(VALU_DEP_4) | instskip(SKIP_1) | instid1(SALU_CYCLE_1)
	v_cmp_le_i32_e64 s0, s35, v62
	s_or_b32 s15, s0, s15
	s_and_not1_b32 exec_lo, exec_lo, s15
	s_cbranch_execz .LBB131_70
.LBB131_52:                             ; =>This Inner Loop Header: Depth=1
	v_mul_u64_e32 v[2:3], s[16:17], v[38:39]
	s_delay_alu instid0(VALU_DEP_1) | instskip(NEXT) | instid1(VALU_DEP_1)
	v_mul_lo_u32 v2, v3, s12
	v_dual_add_nc_u32 v4, 1, v3 :: v_dual_sub_nc_u32 v2, v38, v2
	s_delay_alu instid0(VALU_DEP_1) | instskip(SKIP_1) | instid1(VALU_DEP_1)
	v_subrev_nc_u32_e32 v5, s12, v2
	v_cmp_le_u32_e64 s0, s12, v2
	v_dual_cndmask_b32 v3, v3, v4, s0 :: v_dual_cndmask_b32 v2, v2, v5, s0
	s_delay_alu instid0(VALU_DEP_1) | instskip(NEXT) | instid1(VALU_DEP_2)
	v_add_nc_u32_e32 v4, 1, v3
	v_cmp_le_u32_e64 s0, s12, v2
	s_delay_alu instid0(VALU_DEP_1) | instskip(NEXT) | instid1(VALU_DEP_1)
	v_cndmask_b32_e64 v2, v3, v4, s0
	v_dual_mov_b32 v3, v39 :: v_dual_bitop2_b32 v2, s34, v2 bitop3:0x14
	s_delay_alu instid0(VALU_DEP_1) | instskip(NEXT) | instid1(VALU_DEP_1)
	v_subrev_nc_u32_e32 v6, s34, v2
	v_add_nc_u32_e32 v7, s33, v6
	v_cmp_lt_i32_e64 s1, s26, v6
	s_delay_alu instid0(VALU_DEP_2) | instskip(NEXT) | instid1(VALU_DEP_1)
	v_sub_nc_u32_e32 v2, 0, v7
	v_max_i32_e32 v2, v7, v2
	s_delay_alu instid0(VALU_DEP_1) | instskip(SKIP_1) | instid1(VALU_DEP_2)
	v_mul_u64_e32 v[4:5], s[8:9], v[2:3]
	v_ashrrev_i32_e32 v4, 31, v7
	v_mul_lo_u32 v3, v5, s25
	s_delay_alu instid0(VALU_DEP_1) | instskip(NEXT) | instid1(VALU_DEP_1)
	v_sub_nc_u32_e32 v2, v2, v3
	v_subrev_nc_u32_e32 v3, s25, v2
	v_cmp_le_u32_e64 s0, s25, v2
	s_delay_alu instid0(VALU_DEP_1) | instskip(NEXT) | instid1(VALU_DEP_1)
	v_cndmask_b32_e64 v2, v2, v3, s0
	v_subrev_nc_u32_e32 v3, s25, v2
	v_cmp_le_u32_e64 s0, s25, v2
	s_delay_alu instid0(VALU_DEP_1) | instskip(NEXT) | instid1(VALU_DEP_1)
	v_cndmask_b32_e64 v2, v2, v3, s0
	v_xor_b32_e32 v2, v2, v4
	s_delay_alu instid0(VALU_DEP_1) | instskip(NEXT) | instid1(VALU_DEP_1)
	v_sub_nc_u32_e32 v2, v2, v4
	v_cmp_eq_u32_e64 s0, 0, v2
	s_or_b32 s0, s0, s1
	s_delay_alu instid0(SALU_CYCLE_1)
	s_and_saveexec_b32 s18, s0
	s_cbranch_execz .LBB131_51
; %bb.53:                               ;   in Loop: Header=BB131_52 Depth=1
	global_load_b32 v2, v[48:49], off
	v_cmp_eq_u32_e64 s0, s13, v62
	s_wait_loadcnt 0x0
	v_dual_mov_b32 v51, v39 :: v_dual_ashrrev_i32 v3, 31, v2
	s_delay_alu instid0(VALU_DEP_1) | instskip(NEXT) | instid1(VALU_DEP_1)
	v_mul_u64_e32 v[2:3], s[2:3], v[2:3]
	v_lshl_add_u64 v[54:55], v[2:3], 1, s[10:11]
	s_delay_alu instid0(VALU_DEP_1)
	v_add_nc_u64_e32 v[34:35], v[54:55], v[50:51]
	v_add_nc_u32_e32 v51, v60, v38
	global_load_b128 v[2:5], v[34:35], off
	ds_load_2addr_b64 v[22:25], v61 offset1:1
	ds_load_2addr_b64 v[18:21], v61 offset0:2 offset1:3
	s_wait_xcnt 0x0
	s_and_saveexec_b32 s19, s0
	s_cbranch_execnz .LBB131_64
; %bb.54:                               ;   in Loop: Header=BB131_52 Depth=1
	s_or_b32 exec_lo, exec_lo, s19
	global_load_b128 v[6:9], v[34:35], off offset:512
	s_wait_xcnt 0x0
	s_and_saveexec_b32 s19, s0
	s_cbranch_execnz .LBB131_65
.LBB131_55:                             ;   in Loop: Header=BB131_52 Depth=1
	s_or_b32 exec_lo, exec_lo, s19
	global_load_b128 v[10:13], v[34:35], off offset:1024
	s_wait_xcnt 0x0
	s_and_saveexec_b32 s19, s0
	s_cbranch_execnz .LBB131_66
.LBB131_56:                             ;   in Loop: Header=BB131_52 Depth=1
	s_or_b32 exec_lo, exec_lo, s19
	global_load_b128 v[14:17], v[34:35], off offset:1536
	s_wait_xcnt 0x0
	s_and_saveexec_b32 s19, s0
	s_cbranch_execnz .LBB131_67
.LBB131_57:                             ;   in Loop: Header=BB131_52 Depth=1
	s_or_b32 exec_lo, exec_lo, s19
	global_load_b128 v[26:29], v[34:35], off offset:2048
	s_wait_xcnt 0x0
	s_and_saveexec_b32 s19, s0
	s_cbranch_execnz .LBB131_68
.LBB131_58:                             ;   in Loop: Header=BB131_52 Depth=1
	s_or_b32 exec_lo, exec_lo, s19
	global_load_b128 v[30:33], v[34:35], off offset:2560
	s_wait_xcnt 0x0
	s_and_saveexec_b32 s19, s0
	s_cbranch_execnz .LBB131_69
.LBB131_59:                             ;   in Loop: Header=BB131_52 Depth=1
	s_or_b32 exec_lo, exec_lo, s19
	global_load_b128 v[34:37], v[34:35], off offset:3072
	s_wait_xcnt 0x0
	s_and_saveexec_b32 s19, s0
	s_cbranch_execz .LBB131_61
.LBB131_60:                             ;   in Loop: Header=BB131_52 Depth=1
	s_wait_loadcnt 0x0
	v_dual_add_nc_u32 v53, 1, v51 :: v_dual_lshrrev_b32 v63, 16, v34
	v_lshrrev_b32_e32 v65, 16, v35
	v_dual_lshrrev_b32 v68, 16, v37 :: v_dual_bitop2_b32 v66, 4, v51 bitop3:0x54
	s_delay_alu instid0(VALU_DEP_3) | instskip(NEXT) | instid1(VALU_DEP_1)
	v_cmp_gt_i32_e64 s1, s14, v53
	v_cndmask_b32_e64 v53, 0, v63, s1
	v_cmp_gt_i32_e64 s1, s31, v51
	v_or_b32_e32 v64, 2, v51
	s_delay_alu instid0(VALU_DEP_2) | instskip(NEXT) | instid1(VALU_DEP_2)
	v_dual_cndmask_b32 v34, 0, v34, s1 :: v_dual_bitop2_b32 v63, 3, v51 bitop3:0x54
	v_cmp_gt_i32_e64 s1, s31, v64
	v_or_b32_e32 v64, 5, v51
	s_delay_alu instid0(VALU_DEP_2) | instskip(NEXT) | instid1(VALU_DEP_4)
	v_cndmask_b32_e64 v35, 0, v35, s1
	v_cmp_gt_i32_e64 s1, s14, v63
	s_delay_alu instid0(VALU_DEP_1) | instskip(SKIP_2) | instid1(VALU_DEP_3)
	v_cndmask_b32_e64 v63, 0, v65, s1
	v_cmp_gt_i32_e64 s1, s31, v66
	v_perm_b32 v34, v53, v34, 0x5040100
	v_perm_b32 v35, v63, v35, 0x5040100
	s_delay_alu instid0(VALU_DEP_3) | instskip(SKIP_1) | instid1(VALU_DEP_1)
	v_dual_cndmask_b32 v65, 0, v36, s1 :: v_dual_lshrrev_b32 v36, 16, v36
	v_cmp_gt_i32_e64 s1, s14, v64
	v_dual_cndmask_b32 v36, 0, v36, s1 :: v_dual_bitop2_b32 v66, 6, v51 bitop3:0x54
	s_delay_alu instid0(VALU_DEP_1) | instskip(SKIP_1) | instid1(VALU_DEP_3)
	v_cmp_gt_i32_e64 s1, s31, v66
	v_or_b32_e32 v67, 7, v51
	v_perm_b32 v36, v36, v65, 0x5040100
	s_delay_alu instid0(VALU_DEP_3) | instskip(NEXT) | instid1(VALU_DEP_3)
	v_cndmask_b32_e64 v37, 0, v37, s1
	v_cmp_gt_i32_e64 s1, s14, v67
	s_delay_alu instid0(VALU_DEP_1) | instskip(NEXT) | instid1(VALU_DEP_1)
	v_cndmask_b32_e64 v64, 0, v68, s1
	v_perm_b32 v37, v64, v37, 0x5040100
.LBB131_61:                             ;   in Loop: Header=BB131_52 Depth=1
	s_or_b32 exec_lo, exec_lo, s19
	s_wait_dscnt 0x1
	v_cvt_pk_bf16_f32 v63, v22, v23
	v_cvt_pk_bf16_f32 v24, v24, v25
	s_wait_dscnt 0x0
	v_cvt_pk_bf16_f32 v23, v18, v19
	v_cvt_pk_bf16_f32 v22, v20, v21
	s_and_saveexec_b32 s1, vcc_lo
	s_cbranch_execz .LBB131_50
; %bb.62:                               ;   in Loop: Header=BB131_52 Depth=1
	v_mov_b32_e32 v53, v39
	s_delay_alu instid0(VALU_DEP_1)
	v_add_nc_u64_e32 v[18:19], v[54:55], v[52:53]
	global_load_b128 v[18:21], v[18:19], off
	s_wait_xcnt 0x0
	s_and_saveexec_b32 s19, s0
	s_cbranch_execz .LBB131_49
; %bb.63:                               ;   in Loop: Header=BB131_52 Depth=1
	s_wait_loadcnt 0x0
	v_dual_add_nc_u32 v25, 1, v51 :: v_dual_lshrrev_b32 v53, 16, v18
	v_dual_lshrrev_b32 v65, 16, v21 :: v_dual_bitop2_b32 v64, 4, v51 bitop3:0x54
	s_delay_alu instid0(VALU_DEP_2) | instskip(NEXT) | instid1(VALU_DEP_1)
	v_cmp_gt_i32_e64 s0, s14, v25
	v_dual_cndmask_b32 v25, 0, v53, s0 :: v_dual_bitop2_b32 v54, 2, v51 bitop3:0x54
	v_cmp_gt_i32_e64 s0, s31, v51
	s_delay_alu instid0(VALU_DEP_1) | instskip(NEXT) | instid1(VALU_DEP_3)
	v_dual_cndmask_b32 v18, 0, v18, s0 :: v_dual_bitop2_b32 v53, 3, v51 bitop3:0x54
	v_cmp_gt_i32_e64 s0, s31, v54
	v_lshrrev_b32_e32 v55, 16, v19
	v_or_b32_e32 v54, 5, v51
	s_delay_alu instid0(VALU_DEP_4) | instskip(NEXT) | instid1(VALU_DEP_4)
	v_perm_b32 v18, v25, v18, 0x5040100
	v_cndmask_b32_e64 v19, 0, v19, s0
	v_cmp_gt_i32_e64 s0, s14, v53
	s_delay_alu instid0(VALU_DEP_1) | instskip(SKIP_1) | instid1(VALU_DEP_1)
	v_cndmask_b32_e64 v53, 0, v55, s0
	v_cmp_gt_i32_e64 s0, s31, v64
	v_dual_cndmask_b32 v55, 0, v20, s0 :: v_dual_lshrrev_b32 v20, 16, v20
	v_cmp_gt_i32_e64 s0, s14, v54
	v_or_b32_e32 v64, 6, v51
	v_perm_b32 v19, v53, v19, 0x5040100
	s_delay_alu instid0(VALU_DEP_3) | instskip(NEXT) | instid1(VALU_DEP_3)
	v_cndmask_b32_e64 v20, 0, v20, s0
	v_cmp_gt_i32_e64 s0, s31, v64
	v_or_b32_e32 v51, 7, v51
	s_delay_alu instid0(VALU_DEP_3) | instskip(NEXT) | instid1(VALU_DEP_3)
	v_perm_b32 v20, v20, v55, 0x5040100
	v_cndmask_b32_e64 v21, 0, v21, s0
	s_delay_alu instid0(VALU_DEP_3) | instskip(NEXT) | instid1(VALU_DEP_1)
	v_cmp_gt_i32_e64 s0, s14, v51
	v_cndmask_b32_e64 v51, 0, v65, s0
	s_delay_alu instid0(VALU_DEP_1)
	v_perm_b32 v21, v51, v21, 0x5040100
	s_branch .LBB131_49
.LBB131_64:                             ;   in Loop: Header=BB131_52 Depth=1
	s_wait_loadcnt 0x0
	v_dual_add_nc_u32 v6, 1, v51 :: v_dual_lshrrev_b32 v7, 16, v2
	v_lshrrev_b32_e32 v9, 16, v3
	v_dual_lshrrev_b32 v12, 16, v5 :: v_dual_bitop2_b32 v10, 4, v51 bitop3:0x54
	s_delay_alu instid0(VALU_DEP_3) | instskip(NEXT) | instid1(VALU_DEP_1)
	v_cmp_gt_i32_e64 s1, s14, v6
	v_cndmask_b32_e64 v6, 0, v7, s1
	v_cmp_gt_i32_e64 s1, s31, v51
	v_or_b32_e32 v8, 2, v51
	s_delay_alu instid0(VALU_DEP_2) | instskip(NEXT) | instid1(VALU_DEP_2)
	v_dual_cndmask_b32 v2, 0, v2, s1 :: v_dual_bitop2_b32 v7, 3, v51 bitop3:0x54
	v_cmp_gt_i32_e64 s1, s31, v8
	v_or_b32_e32 v8, 5, v51
	s_delay_alu instid0(VALU_DEP_2) | instskip(NEXT) | instid1(VALU_DEP_4)
	v_cndmask_b32_e64 v3, 0, v3, s1
	v_cmp_gt_i32_e64 s1, s14, v7
	s_delay_alu instid0(VALU_DEP_1) | instskip(SKIP_2) | instid1(VALU_DEP_3)
	v_cndmask_b32_e64 v7, 0, v9, s1
	v_cmp_gt_i32_e64 s1, s31, v10
	v_perm_b32 v2, v6, v2, 0x5040100
	v_perm_b32 v3, v7, v3, 0x5040100
	s_delay_alu instid0(VALU_DEP_3) | instskip(SKIP_1) | instid1(VALU_DEP_1)
	v_dual_cndmask_b32 v9, 0, v4, s1 :: v_dual_lshrrev_b32 v4, 16, v4
	v_cmp_gt_i32_e64 s1, s14, v8
	v_dual_cndmask_b32 v4, 0, v4, s1 :: v_dual_bitop2_b32 v10, 6, v51 bitop3:0x54
	s_delay_alu instid0(VALU_DEP_1) | instskip(SKIP_1) | instid1(VALU_DEP_3)
	v_cmp_gt_i32_e64 s1, s31, v10
	v_or_b32_e32 v11, 7, v51
	v_perm_b32 v4, v4, v9, 0x5040100
	s_delay_alu instid0(VALU_DEP_3) | instskip(NEXT) | instid1(VALU_DEP_3)
	v_cndmask_b32_e64 v5, 0, v5, s1
	v_cmp_gt_i32_e64 s1, s14, v11
	s_delay_alu instid0(VALU_DEP_1) | instskip(NEXT) | instid1(VALU_DEP_1)
	v_cndmask_b32_e64 v8, 0, v12, s1
	v_perm_b32 v5, v8, v5, 0x5040100
	s_or_b32 exec_lo, exec_lo, s19
	global_load_b128 v[6:9], v[34:35], off offset:512
	s_wait_xcnt 0x0
	s_and_saveexec_b32 s19, s0
	s_cbranch_execz .LBB131_55
.LBB131_65:                             ;   in Loop: Header=BB131_52 Depth=1
	s_wait_loadcnt 0x0
	v_dual_add_nc_u32 v10, 1, v51 :: v_dual_lshrrev_b32 v11, 16, v6
	v_lshrrev_b32_e32 v13, 16, v7
	v_dual_lshrrev_b32 v16, 16, v9 :: v_dual_bitop2_b32 v14, 4, v51 bitop3:0x54
	s_delay_alu instid0(VALU_DEP_3) | instskip(NEXT) | instid1(VALU_DEP_1)
	v_cmp_gt_i32_e64 s1, s14, v10
	v_cndmask_b32_e64 v10, 0, v11, s1
	v_cmp_gt_i32_e64 s1, s31, v51
	v_or_b32_e32 v12, 2, v51
	s_delay_alu instid0(VALU_DEP_2) | instskip(NEXT) | instid1(VALU_DEP_2)
	v_dual_cndmask_b32 v6, 0, v6, s1 :: v_dual_bitop2_b32 v11, 3, v51 bitop3:0x54
	v_cmp_gt_i32_e64 s1, s31, v12
	v_or_b32_e32 v12, 5, v51
	s_delay_alu instid0(VALU_DEP_2) | instskip(NEXT) | instid1(VALU_DEP_4)
	v_cndmask_b32_e64 v7, 0, v7, s1
	v_cmp_gt_i32_e64 s1, s14, v11
	s_delay_alu instid0(VALU_DEP_1) | instskip(SKIP_2) | instid1(VALU_DEP_3)
	v_cndmask_b32_e64 v11, 0, v13, s1
	v_cmp_gt_i32_e64 s1, s31, v14
	v_perm_b32 v6, v10, v6, 0x5040100
	v_perm_b32 v7, v11, v7, 0x5040100
	s_delay_alu instid0(VALU_DEP_3) | instskip(SKIP_1) | instid1(VALU_DEP_1)
	v_dual_cndmask_b32 v13, 0, v8, s1 :: v_dual_lshrrev_b32 v8, 16, v8
	v_cmp_gt_i32_e64 s1, s14, v12
	v_dual_cndmask_b32 v8, 0, v8, s1 :: v_dual_bitop2_b32 v14, 6, v51 bitop3:0x54
	s_delay_alu instid0(VALU_DEP_1) | instskip(SKIP_1) | instid1(VALU_DEP_3)
	v_cmp_gt_i32_e64 s1, s31, v14
	v_or_b32_e32 v15, 7, v51
	v_perm_b32 v8, v8, v13, 0x5040100
	s_delay_alu instid0(VALU_DEP_3) | instskip(NEXT) | instid1(VALU_DEP_3)
	v_cndmask_b32_e64 v9, 0, v9, s1
	v_cmp_gt_i32_e64 s1, s14, v15
	s_delay_alu instid0(VALU_DEP_1) | instskip(NEXT) | instid1(VALU_DEP_1)
	v_cndmask_b32_e64 v12, 0, v16, s1
	v_perm_b32 v9, v12, v9, 0x5040100
	s_or_b32 exec_lo, exec_lo, s19
	global_load_b128 v[10:13], v[34:35], off offset:1024
	s_wait_xcnt 0x0
	s_and_saveexec_b32 s19, s0
	s_cbranch_execz .LBB131_56
.LBB131_66:                             ;   in Loop: Header=BB131_52 Depth=1
	s_wait_loadcnt 0x0
	v_dual_add_nc_u32 v14, 1, v51 :: v_dual_lshrrev_b32 v15, 16, v10
	v_lshrrev_b32_e32 v17, 16, v11
	v_dual_lshrrev_b32 v28, 16, v13 :: v_dual_bitop2_b32 v26, 4, v51 bitop3:0x54
	s_delay_alu instid0(VALU_DEP_3) | instskip(NEXT) | instid1(VALU_DEP_1)
	v_cmp_gt_i32_e64 s1, s14, v14
	v_cndmask_b32_e64 v14, 0, v15, s1
	v_cmp_gt_i32_e64 s1, s31, v51
	v_or_b32_e32 v16, 2, v51
	s_delay_alu instid0(VALU_DEP_2) | instskip(NEXT) | instid1(VALU_DEP_2)
	v_dual_cndmask_b32 v10, 0, v10, s1 :: v_dual_bitop2_b32 v15, 3, v51 bitop3:0x54
	v_cmp_gt_i32_e64 s1, s31, v16
	v_or_b32_e32 v16, 5, v51
	s_delay_alu instid0(VALU_DEP_2) | instskip(NEXT) | instid1(VALU_DEP_4)
	v_cndmask_b32_e64 v11, 0, v11, s1
	v_cmp_gt_i32_e64 s1, s14, v15
	s_delay_alu instid0(VALU_DEP_1) | instskip(SKIP_2) | instid1(VALU_DEP_3)
	v_cndmask_b32_e64 v15, 0, v17, s1
	v_cmp_gt_i32_e64 s1, s31, v26
	v_perm_b32 v10, v14, v10, 0x5040100
	v_perm_b32 v11, v15, v11, 0x5040100
	s_delay_alu instid0(VALU_DEP_3) | instskip(SKIP_1) | instid1(VALU_DEP_1)
	v_dual_cndmask_b32 v17, 0, v12, s1 :: v_dual_lshrrev_b32 v12, 16, v12
	v_cmp_gt_i32_e64 s1, s14, v16
	v_dual_cndmask_b32 v12, 0, v12, s1 :: v_dual_bitop2_b32 v26, 6, v51 bitop3:0x54
	s_delay_alu instid0(VALU_DEP_1) | instskip(SKIP_1) | instid1(VALU_DEP_3)
	v_cmp_gt_i32_e64 s1, s31, v26
	v_or_b32_e32 v27, 7, v51
	v_perm_b32 v12, v12, v17, 0x5040100
	s_delay_alu instid0(VALU_DEP_3) | instskip(NEXT) | instid1(VALU_DEP_3)
	v_cndmask_b32_e64 v13, 0, v13, s1
	v_cmp_gt_i32_e64 s1, s14, v27
	s_delay_alu instid0(VALU_DEP_1) | instskip(NEXT) | instid1(VALU_DEP_1)
	v_cndmask_b32_e64 v16, 0, v28, s1
	v_perm_b32 v13, v16, v13, 0x5040100
	s_or_b32 exec_lo, exec_lo, s19
	global_load_b128 v[14:17], v[34:35], off offset:1536
	s_wait_xcnt 0x0
	s_and_saveexec_b32 s19, s0
	s_cbranch_execz .LBB131_57
.LBB131_67:                             ;   in Loop: Header=BB131_52 Depth=1
	s_wait_loadcnt 0x0
	v_dual_add_nc_u32 v26, 1, v51 :: v_dual_lshrrev_b32 v27, 16, v14
	v_lshrrev_b32_e32 v29, 16, v15
	v_dual_lshrrev_b32 v32, 16, v17 :: v_dual_bitop2_b32 v30, 4, v51 bitop3:0x54
	s_delay_alu instid0(VALU_DEP_3) | instskip(NEXT) | instid1(VALU_DEP_1)
	v_cmp_gt_i32_e64 s1, s14, v26
	v_cndmask_b32_e64 v26, 0, v27, s1
	v_cmp_gt_i32_e64 s1, s31, v51
	v_or_b32_e32 v28, 2, v51
	s_delay_alu instid0(VALU_DEP_2) | instskip(NEXT) | instid1(VALU_DEP_2)
	v_dual_cndmask_b32 v14, 0, v14, s1 :: v_dual_bitop2_b32 v27, 3, v51 bitop3:0x54
	v_cmp_gt_i32_e64 s1, s31, v28
	v_or_b32_e32 v28, 5, v51
	s_delay_alu instid0(VALU_DEP_2) | instskip(NEXT) | instid1(VALU_DEP_4)
	v_cndmask_b32_e64 v15, 0, v15, s1
	v_cmp_gt_i32_e64 s1, s14, v27
	s_delay_alu instid0(VALU_DEP_1) | instskip(SKIP_2) | instid1(VALU_DEP_3)
	v_cndmask_b32_e64 v27, 0, v29, s1
	v_cmp_gt_i32_e64 s1, s31, v30
	v_perm_b32 v14, v26, v14, 0x5040100
	v_perm_b32 v15, v27, v15, 0x5040100
	s_delay_alu instid0(VALU_DEP_3) | instskip(SKIP_1) | instid1(VALU_DEP_1)
	v_dual_cndmask_b32 v29, 0, v16, s1 :: v_dual_lshrrev_b32 v16, 16, v16
	v_cmp_gt_i32_e64 s1, s14, v28
	v_dual_cndmask_b32 v16, 0, v16, s1 :: v_dual_bitop2_b32 v30, 6, v51 bitop3:0x54
	s_delay_alu instid0(VALU_DEP_1) | instskip(SKIP_1) | instid1(VALU_DEP_3)
	v_cmp_gt_i32_e64 s1, s31, v30
	v_or_b32_e32 v31, 7, v51
	v_perm_b32 v16, v16, v29, 0x5040100
	s_delay_alu instid0(VALU_DEP_3) | instskip(NEXT) | instid1(VALU_DEP_3)
	v_cndmask_b32_e64 v17, 0, v17, s1
	v_cmp_gt_i32_e64 s1, s14, v31
	s_delay_alu instid0(VALU_DEP_1) | instskip(NEXT) | instid1(VALU_DEP_1)
	v_cndmask_b32_e64 v28, 0, v32, s1
	v_perm_b32 v17, v28, v17, 0x5040100
	s_or_b32 exec_lo, exec_lo, s19
	global_load_b128 v[26:29], v[34:35], off offset:2048
	s_wait_xcnt 0x0
	s_and_saveexec_b32 s19, s0
	s_cbranch_execz .LBB131_58
.LBB131_68:                             ;   in Loop: Header=BB131_52 Depth=1
	s_wait_loadcnt 0x0
	v_dual_add_nc_u32 v30, 1, v51 :: v_dual_lshrrev_b32 v31, 16, v26
	v_lshrrev_b32_e32 v33, 16, v27
	v_dual_lshrrev_b32 v53, 16, v29 :: v_dual_bitop2_b32 v36, 4, v51 bitop3:0x54
	s_delay_alu instid0(VALU_DEP_3) | instskip(NEXT) | instid1(VALU_DEP_1)
	v_cmp_gt_i32_e64 s1, s14, v30
	v_cndmask_b32_e64 v30, 0, v31, s1
	v_cmp_gt_i32_e64 s1, s31, v51
	v_or_b32_e32 v32, 2, v51
	s_delay_alu instid0(VALU_DEP_2) | instskip(NEXT) | instid1(VALU_DEP_2)
	v_dual_cndmask_b32 v26, 0, v26, s1 :: v_dual_bitop2_b32 v31, 3, v51 bitop3:0x54
	v_cmp_gt_i32_e64 s1, s31, v32
	v_or_b32_e32 v32, 5, v51
	s_delay_alu instid0(VALU_DEP_2) | instskip(NEXT) | instid1(VALU_DEP_4)
	v_cndmask_b32_e64 v27, 0, v27, s1
	v_cmp_gt_i32_e64 s1, s14, v31
	s_delay_alu instid0(VALU_DEP_1) | instskip(SKIP_2) | instid1(VALU_DEP_3)
	v_cndmask_b32_e64 v31, 0, v33, s1
	v_cmp_gt_i32_e64 s1, s31, v36
	v_perm_b32 v26, v30, v26, 0x5040100
	v_perm_b32 v27, v31, v27, 0x5040100
	s_delay_alu instid0(VALU_DEP_3) | instskip(SKIP_1) | instid1(VALU_DEP_1)
	v_dual_cndmask_b32 v33, 0, v28, s1 :: v_dual_lshrrev_b32 v28, 16, v28
	v_cmp_gt_i32_e64 s1, s14, v32
	v_dual_cndmask_b32 v28, 0, v28, s1 :: v_dual_bitop2_b32 v36, 6, v51 bitop3:0x54
	s_delay_alu instid0(VALU_DEP_1) | instskip(SKIP_1) | instid1(VALU_DEP_3)
	v_cmp_gt_i32_e64 s1, s31, v36
	v_or_b32_e32 v37, 7, v51
	v_perm_b32 v28, v28, v33, 0x5040100
	s_delay_alu instid0(VALU_DEP_3) | instskip(NEXT) | instid1(VALU_DEP_3)
	v_cndmask_b32_e64 v29, 0, v29, s1
	v_cmp_gt_i32_e64 s1, s14, v37
	s_delay_alu instid0(VALU_DEP_1) | instskip(NEXT) | instid1(VALU_DEP_1)
	v_cndmask_b32_e64 v32, 0, v53, s1
	v_perm_b32 v29, v32, v29, 0x5040100
	s_or_b32 exec_lo, exec_lo, s19
	global_load_b128 v[30:33], v[34:35], off offset:2560
	s_wait_xcnt 0x0
	s_and_saveexec_b32 s19, s0
	s_cbranch_execz .LBB131_59
.LBB131_69:                             ;   in Loop: Header=BB131_52 Depth=1
	s_wait_loadcnt 0x0
	v_dual_add_nc_u32 v36, 1, v51 :: v_dual_lshrrev_b32 v37, 16, v30
	v_dual_lshrrev_b32 v66, 16, v33 :: v_dual_bitop2_b32 v64, 4, v51 bitop3:0x54
	s_delay_alu instid0(VALU_DEP_2) | instskip(NEXT) | instid1(VALU_DEP_1)
	v_cmp_gt_i32_e64 s1, s14, v36
	v_dual_cndmask_b32 v36, 0, v37, s1 :: v_dual_bitop2_b32 v53, 2, v51 bitop3:0x54
	v_cmp_gt_i32_e64 s1, s31, v51
	s_delay_alu instid0(VALU_DEP_1) | instskip(NEXT) | instid1(VALU_DEP_3)
	v_dual_cndmask_b32 v30, 0, v30, s1 :: v_dual_bitop2_b32 v37, 3, v51 bitop3:0x54
	v_cmp_gt_i32_e64 s1, s31, v53
	v_lshrrev_b32_e32 v63, 16, v31
	v_or_b32_e32 v53, 5, v51
	s_delay_alu instid0(VALU_DEP_4) | instskip(NEXT) | instid1(VALU_DEP_4)
	v_perm_b32 v30, v36, v30, 0x5040100
	v_cndmask_b32_e64 v31, 0, v31, s1
	v_cmp_gt_i32_e64 s1, s14, v37
	s_delay_alu instid0(VALU_DEP_1) | instskip(SKIP_1) | instid1(VALU_DEP_1)
	v_cndmask_b32_e64 v37, 0, v63, s1
	v_cmp_gt_i32_e64 s1, s31, v64
	v_dual_cndmask_b32 v63, 0, v32, s1 :: v_dual_lshrrev_b32 v32, 16, v32
	v_cmp_gt_i32_e64 s1, s14, v53
	v_or_b32_e32 v64, 6, v51
	v_perm_b32 v31, v37, v31, 0x5040100
	s_delay_alu instid0(VALU_DEP_3) | instskip(NEXT) | instid1(VALU_DEP_3)
	v_cndmask_b32_e64 v32, 0, v32, s1
	v_cmp_gt_i32_e64 s1, s31, v64
	v_or_b32_e32 v65, 7, v51
	s_delay_alu instid0(VALU_DEP_3) | instskip(NEXT) | instid1(VALU_DEP_3)
	v_perm_b32 v32, v32, v63, 0x5040100
	v_cndmask_b32_e64 v33, 0, v33, s1
	s_delay_alu instid0(VALU_DEP_3) | instskip(NEXT) | instid1(VALU_DEP_1)
	v_cmp_gt_i32_e64 s1, s14, v65
	v_cndmask_b32_e64 v53, 0, v66, s1
	s_delay_alu instid0(VALU_DEP_1)
	v_perm_b32 v33, v53, v33, 0x5040100
	s_or_b32 exec_lo, exec_lo, s19
	global_load_b128 v[34:37], v[34:35], off offset:3072
	s_wait_xcnt 0x0
	s_and_saveexec_b32 s19, s0
	s_cbranch_execnz .LBB131_60
	s_branch .LBB131_61
.LBB131_70:
	s_or_b32 exec_lo, exec_lo, s15
.LBB131_71:
	s_delay_alu instid0(SALU_CYCLE_1)
	s_or_b32 exec_lo, exec_lo, s24
	ds_bpermute_b32 v2, v59, v46
	ds_bpermute_b32 v3, v59, v47
	;; [unrolled: 1-line block ×8, first 2 shown]
	s_movk_i32 s0, 0x1e0
	v_and_b32_e32 v11, 0x3c0, v0
	v_mad_u32_u24 v10, v57, s0, 0x110
	s_mov_b32 s1, exec_lo
	v_cmp_eq_u32_e32 vcc_lo, 0, v56
	s_wait_dscnt 0x0
	s_barrier_signal -1
	s_barrier_wait -1
	v_pk_add_f32 v[8:9], v[46:47], v[2:3]
	v_pk_add_f32 v[6:7], v[44:45], v[4:5]
	;; [unrolled: 1-line block ×4, first 2 shown]
	v_cmpx_eq_u32_e32 64, v11
	s_cbranch_execz .LBB131_76
; %bb.72:
	v_add_nc_u32_e32 v11, 0xfffffc40, v10
	s_and_saveexec_b32 s0, vcc_lo
	s_cbranch_execz .LBB131_74
; %bb.73:
	s_delay_alu instid0(VALU_DEP_1)
	v_lshl_add_u32 v12, v58, 2, v11
	ds_store_2addr_b32 v12, v8, v9 offset1:16
	ds_store_2addr_b32 v12, v6, v7 offset0:32 offset1:48
	ds_store_2addr_b32 v12, v4, v5 offset0:64 offset1:80
	ds_store_b32 v12, v2 offset:384
.LBB131_74:
	s_or_b32 exec_lo, exec_lo, s0
	v_or_b32_e32 v12, 0x70, v58
	s_delay_alu instid0(VALU_DEP_1) | instskip(SKIP_1) | instid1(SALU_CYCLE_1)
	v_cmp_gt_u32_e64 s0, 0x78, v12
	s_and_b32 s0, vcc_lo, s0
	s_and_b32 exec_lo, exec_lo, s0
; %bb.75:
	v_lshl_add_u32 v11, v12, 2, v11
	ds_store_b32 v11, v3
.LBB131_76:
	s_or_b32 exec_lo, exec_lo, s1
	s_delay_alu instid0(SALU_CYCLE_1)
	s_mov_b32 s1, exec_lo
	s_wait_dscnt 0x0
	s_barrier_signal -1
	s_barrier_wait -1
	v_cmpx_gt_u32_e32 64, v0
	s_cbranch_execz .LBB131_88
; %bb.77:
	s_and_saveexec_b32 s0, vcc_lo
	s_cbranch_execnz .LBB131_123
; %bb.78:
	s_or_b32 exec_lo, exec_lo, s0
	s_and_saveexec_b32 s0, vcc_lo
	s_cbranch_execnz .LBB131_124
.LBB131_79:
	s_or_b32 exec_lo, exec_lo, s0
	s_and_saveexec_b32 s0, vcc_lo
	s_cbranch_execnz .LBB131_125
.LBB131_80:
	s_or_b32 exec_lo, exec_lo, s0
	s_and_saveexec_b32 s0, vcc_lo
	s_cbranch_execnz .LBB131_126
.LBB131_81:
	s_or_b32 exec_lo, exec_lo, s0
	s_and_saveexec_b32 s0, vcc_lo
	s_cbranch_execnz .LBB131_127
.LBB131_82:
	s_or_b32 exec_lo, exec_lo, s0
	s_and_saveexec_b32 s0, vcc_lo
	s_cbranch_execnz .LBB131_128
.LBB131_83:
	s_or_b32 exec_lo, exec_lo, s0
	s_and_saveexec_b32 s0, vcc_lo
	s_cbranch_execz .LBB131_85
.LBB131_84:
	v_lshl_add_u32 v11, v58, 2, v10
	ds_load_b32 v11, v11 offset:384
	s_wait_dscnt 0x0
	v_add_f32_e32 v2, v2, v11
.LBB131_85:
	s_or_b32 exec_lo, exec_lo, s0
	v_or_b32_e32 v11, 0x70, v58
	s_delay_alu instid0(VALU_DEP_1) | instskip(SKIP_1) | instid1(SALU_CYCLE_1)
	v_cmp_gt_u32_e64 s0, 0x78, v11
	s_and_b32 s2, vcc_lo, s0
	s_and_saveexec_b32 s0, s2
	s_cbranch_execz .LBB131_87
; %bb.86:
	v_lshl_add_u32 v11, v58, 2, v10
	ds_load_b32 v11, v11 offset:448
	s_wait_dscnt 0x0
	v_add_f32_e32 v3, v3, v11
.LBB131_87:
	s_or_b32 exec_lo, exec_lo, s0
.LBB131_88:
	s_delay_alu instid0(SALU_CYCLE_1) | instskip(SKIP_4) | instid1(VALU_DEP_1)
	s_or_b32 exec_lo, exec_lo, s1
	v_and_b32_e32 v11, 0x3e0, v0
	s_mov_b32 s1, exec_lo
	s_barrier_signal -1
	s_barrier_wait -1
	v_cmpx_eq_u32_e32 32, v11
	s_cbranch_execz .LBB131_93
; %bb.89:
	v_lshl_add_u32 v11, v58, 2, 0x110
	s_and_saveexec_b32 s0, vcc_lo
	s_cbranch_execz .LBB131_91
; %bb.90:
	ds_store_2addr_b32 v11, v8, v9 offset1:16
	ds_store_2addr_b32 v11, v6, v7 offset0:32 offset1:48
	ds_store_2addr_b32 v11, v4, v5 offset0:64 offset1:80
	ds_store_b32 v11, v2 offset:384
.LBB131_91:
	s_or_b32 exec_lo, exec_lo, s0
	v_or_b32_e32 v12, 0x70, v58
	s_delay_alu instid0(VALU_DEP_1) | instskip(SKIP_1) | instid1(SALU_CYCLE_1)
	v_cmp_gt_u32_e64 s0, 0x78, v12
	s_and_b32 s0, vcc_lo, s0
	s_and_b32 exec_lo, exec_lo, s0
; %bb.92:
	ds_store_b32 v11, v3 offset:448
.LBB131_93:
	s_or_b32 exec_lo, exec_lo, s1
	v_cmp_gt_u32_e64 s0, 32, v0
	s_wait_dscnt 0x0
	s_barrier_signal -1
	s_barrier_wait -1
	s_and_saveexec_b32 s2, s0
	s_cbranch_execz .LBB131_105
; %bb.94:
	v_lshl_add_u32 v0, v58, 2, v10
	s_and_saveexec_b32 s1, vcc_lo
	s_cbranch_execnz .LBB131_129
; %bb.95:
	s_or_b32 exec_lo, exec_lo, s1
	s_and_saveexec_b32 s1, vcc_lo
	s_cbranch_execnz .LBB131_130
.LBB131_96:
	s_or_b32 exec_lo, exec_lo, s1
	s_and_saveexec_b32 s1, vcc_lo
	s_cbranch_execnz .LBB131_131
.LBB131_97:
	s_or_b32 exec_lo, exec_lo, s1
	s_and_saveexec_b32 s1, vcc_lo
	s_cbranch_execnz .LBB131_132
.LBB131_98:
	s_or_b32 exec_lo, exec_lo, s1
	s_and_saveexec_b32 s1, vcc_lo
	s_cbranch_execnz .LBB131_133
.LBB131_99:
	s_or_b32 exec_lo, exec_lo, s1
	s_and_saveexec_b32 s1, vcc_lo
	s_cbranch_execnz .LBB131_134
.LBB131_100:
	s_or_b32 exec_lo, exec_lo, s1
	s_and_saveexec_b32 s1, vcc_lo
	s_cbranch_execz .LBB131_102
.LBB131_101:
	ds_load_b32 v10, v0 offset:384
	s_wait_dscnt 0x0
	v_add_f32_e32 v2, v2, v10
.LBB131_102:
	s_or_b32 exec_lo, exec_lo, s1
	v_or_b32_e32 v10, 0x70, v58
	s_delay_alu instid0(VALU_DEP_1) | instskip(SKIP_1) | instid1(SALU_CYCLE_1)
	v_cmp_gt_u32_e64 s1, 0x78, v10
	s_and_b32 s3, vcc_lo, s1
	s_and_saveexec_b32 s1, s3
	s_cbranch_execz .LBB131_104
; %bb.103:
	ds_load_b32 v0, v0 offset:448
	s_wait_dscnt 0x0
	v_add_f32_e32 v3, v3, v0
.LBB131_104:
	s_or_b32 exec_lo, exec_lo, s1
.LBB131_105:
	s_delay_alu instid0(SALU_CYCLE_1)
	s_or_b32 exec_lo, exec_lo, s2
	s_barrier_signal -1
	s_barrier_wait -1
	s_and_saveexec_b32 s1, s0
	s_cbranch_execz .LBB131_122
; %bb.106:
	s_mul_i32 s1, s30, s7
	s_mul_i32 s0, s7, s6
	s_mul_i32 s1, s1, s29
	s_bfe_u32 s7, ttmp6, 0x40014
	s_mul_i32 s2, s1, 0x78
	s_lshr_b32 s6, ttmp7, 16
	s_ashr_i32 s3, s2, 31
	s_add_co_i32 s7, s7, 1
	s_lshl_b64 s[2:3], s[2:3], 1
	s_ashr_i32 s1, s0, 31
	s_wait_kmcnt 0x0
	s_add_nc_u64 s[2:3], s[4:5], s[2:3]
	s_mul_i32 s4, s6, s7
	s_bfe_u32 s5, ttmp6, 0x40008
	s_lshl_b64 s[0:1], s[0:1], 1
	s_add_co_i32 s5, s5, s4
	s_cmp_eq_u32 s28, 0
	s_add_nc_u64 s[0:1], s[2:3], s[0:1]
	s_cselect_b32 s2, s6, s5
	s_mov_b32 s3, 0
	s_mulk_i32 s2, 0xf0
	s_delay_alu instid0(SALU_CYCLE_1)
	s_add_nc_u64 s[2:3], s[0:1], s[2:3]
	s_and_saveexec_b32 s0, vcc_lo
	s_cbranch_execz .LBB131_108
; %bb.107:
	v_cvt_pk_bf16_f32 v0, v8, s0
	global_store_b16 v1, v0, s[2:3] scale_offset
.LBB131_108:
	s_wait_xcnt 0x0
	s_or_b32 exec_lo, exec_lo, s0
	v_or_b32_e32 v0, 16, v1
	s_delay_alu instid0(VALU_DEP_1) | instskip(SKIP_1) | instid1(SALU_CYCLE_1)
	v_cmp_gt_u32_e64 s0, 0x78, v0
	s_and_b32 s1, vcc_lo, s0
	s_and_saveexec_b32 s0, s1
	s_cbranch_execz .LBB131_110
; %bb.109:
	v_cvt_pk_bf16_f32 v0, v9, s0
	global_store_b16 v1, v0, s[2:3] offset:32 scale_offset
.LBB131_110:
	s_wait_xcnt 0x0
	s_or_b32 exec_lo, exec_lo, s0
	v_or_b32_e32 v0, 32, v1
	s_delay_alu instid0(VALU_DEP_1) | instskip(SKIP_1) | instid1(SALU_CYCLE_1)
	v_cmp_gt_u32_e64 s0, 0x78, v0
	s_and_b32 s1, vcc_lo, s0
	s_and_saveexec_b32 s0, s1
	s_cbranch_execz .LBB131_112
; %bb.111:
	v_cvt_pk_bf16_f32 v0, v6, s0
	global_store_b16 v1, v0, s[2:3] offset:64 scale_offset
.LBB131_112:
	;; [unrolled: 12-line block ×6, first 2 shown]
	s_wait_xcnt 0x0
	s_or_b32 exec_lo, exec_lo, s0
	v_or_b32_e32 v0, 0x70, v1
	s_delay_alu instid0(VALU_DEP_1) | instskip(SKIP_1) | instid1(SALU_CYCLE_1)
	v_cmp_gt_u32_e64 s0, 0x78, v0
	s_and_b32 s0, vcc_lo, s0
	s_and_b32 exec_lo, exec_lo, s0
	s_cbranch_execz .LBB131_122
; %bb.121:
	v_cvt_pk_bf16_f32 v0, v3, s0
	global_store_b16 v1, v0, s[2:3] offset:224 scale_offset
.LBB131_122:
	s_sendmsg sendmsg(MSG_DEALLOC_VGPRS)
	s_endpgm
.LBB131_123:
	v_lshl_add_u32 v11, v58, 2, v10
	ds_load_b32 v11, v11
	s_wait_dscnt 0x0
	v_add_f32_e32 v8, v8, v11
	s_or_b32 exec_lo, exec_lo, s0
	s_and_saveexec_b32 s0, vcc_lo
	s_cbranch_execz .LBB131_79
.LBB131_124:
	v_lshl_add_u32 v11, v58, 2, v10
	ds_load_b32 v11, v11 offset:64
	s_wait_dscnt 0x0
	v_add_f32_e32 v9, v9, v11
	s_or_b32 exec_lo, exec_lo, s0
	s_and_saveexec_b32 s0, vcc_lo
	s_cbranch_execz .LBB131_80
.LBB131_125:
	v_lshl_add_u32 v11, v58, 2, v10
	ds_load_b32 v11, v11 offset:128
	s_wait_dscnt 0x0
	v_add_f32_e32 v6, v6, v11
	s_or_b32 exec_lo, exec_lo, s0
	s_and_saveexec_b32 s0, vcc_lo
	s_cbranch_execz .LBB131_81
.LBB131_126:
	v_lshl_add_u32 v11, v58, 2, v10
	ds_load_b32 v11, v11 offset:192
	s_wait_dscnt 0x0
	v_add_f32_e32 v7, v7, v11
	s_or_b32 exec_lo, exec_lo, s0
	s_and_saveexec_b32 s0, vcc_lo
	s_cbranch_execz .LBB131_82
.LBB131_127:
	v_lshl_add_u32 v11, v58, 2, v10
	ds_load_b32 v11, v11 offset:256
	s_wait_dscnt 0x0
	v_add_f32_e32 v4, v4, v11
	s_or_b32 exec_lo, exec_lo, s0
	s_and_saveexec_b32 s0, vcc_lo
	s_cbranch_execz .LBB131_83
.LBB131_128:
	v_lshl_add_u32 v11, v58, 2, v10
	ds_load_b32 v11, v11 offset:320
	s_wait_dscnt 0x0
	v_add_f32_e32 v5, v5, v11
	s_or_b32 exec_lo, exec_lo, s0
	s_and_saveexec_b32 s0, vcc_lo
	s_cbranch_execnz .LBB131_84
	s_branch .LBB131_85
.LBB131_129:
	ds_load_b32 v10, v0
	s_wait_dscnt 0x0
	v_add_f32_e32 v8, v8, v10
	s_or_b32 exec_lo, exec_lo, s1
	s_and_saveexec_b32 s1, vcc_lo
	s_cbranch_execz .LBB131_96
.LBB131_130:
	ds_load_b32 v10, v0 offset:64
	s_wait_dscnt 0x0
	v_add_f32_e32 v9, v9, v10
	s_or_b32 exec_lo, exec_lo, s1
	s_and_saveexec_b32 s1, vcc_lo
	s_cbranch_execz .LBB131_97
.LBB131_131:
	ds_load_b32 v10, v0 offset:128
	s_wait_dscnt 0x0
	v_add_f32_e32 v6, v6, v10
	s_or_b32 exec_lo, exec_lo, s1
	s_and_saveexec_b32 s1, vcc_lo
	s_cbranch_execz .LBB131_98
.LBB131_132:
	ds_load_b32 v10, v0 offset:192
	s_wait_dscnt 0x0
	v_add_f32_e32 v7, v7, v10
	s_or_b32 exec_lo, exec_lo, s1
	s_and_saveexec_b32 s1, vcc_lo
	s_cbranch_execz .LBB131_99
.LBB131_133:
	ds_load_b32 v10, v0 offset:256
	s_wait_dscnt 0x0
	v_add_f32_e32 v4, v4, v10
	s_or_b32 exec_lo, exec_lo, s1
	s_and_saveexec_b32 s1, vcc_lo
	s_cbranch_execz .LBB131_100
.LBB131_134:
	ds_load_b32 v10, v0 offset:320
	s_wait_dscnt 0x0
	v_add_f32_e32 v5, v5, v10
	s_or_b32 exec_lo, exec_lo, s1
	s_and_saveexec_b32 s1, vcc_lo
	s_cbranch_execnz .LBB131_101
	s_branch .LBB131_102
	.section	.rodata,"a",@progbits
	.p2align	6, 0x0
	.amdhsa_kernel _ZN4vllm25paged_attention_v1_kernelI14__hip_bfloat16S1_Li120ELi16ELi128ELNS_18Fp8KVCacheDataTypeE0ELb1EEEvPT_PKS3_PKT0_S9_ifPKiSB_iPKfiiiSD_SD_iiiii
		.amdhsa_group_segment_fixed_size 272
		.amdhsa_private_segment_fixed_size 0
		.amdhsa_kernarg_size 384
		.amdhsa_user_sgpr_count 2
		.amdhsa_user_sgpr_dispatch_ptr 0
		.amdhsa_user_sgpr_queue_ptr 0
		.amdhsa_user_sgpr_kernarg_segment_ptr 1
		.amdhsa_user_sgpr_dispatch_id 0
		.amdhsa_user_sgpr_kernarg_preload_length 0
		.amdhsa_user_sgpr_kernarg_preload_offset 0
		.amdhsa_user_sgpr_private_segment_size 0
		.amdhsa_wavefront_size32 1
		.amdhsa_uses_dynamic_stack 0
		.amdhsa_enable_private_segment 0
		.amdhsa_system_sgpr_workgroup_id_x 1
		.amdhsa_system_sgpr_workgroup_id_y 1
		.amdhsa_system_sgpr_workgroup_id_z 1
		.amdhsa_system_sgpr_workgroup_info 0
		.amdhsa_system_vgpr_workitem_id 0
		.amdhsa_next_free_vgpr 69
		.amdhsa_next_free_sgpr 40
		.amdhsa_named_barrier_count 0
		.amdhsa_reserve_vcc 1
		.amdhsa_float_round_mode_32 0
		.amdhsa_float_round_mode_16_64 0
		.amdhsa_float_denorm_mode_32 3
		.amdhsa_float_denorm_mode_16_64 3
		.amdhsa_fp16_overflow 0
		.amdhsa_memory_ordered 1
		.amdhsa_forward_progress 1
		.amdhsa_inst_pref_size 79
		.amdhsa_round_robin_scheduling 0
		.amdhsa_exception_fp_ieee_invalid_op 0
		.amdhsa_exception_fp_denorm_src 0
		.amdhsa_exception_fp_ieee_div_zero 0
		.amdhsa_exception_fp_ieee_overflow 0
		.amdhsa_exception_fp_ieee_underflow 0
		.amdhsa_exception_fp_ieee_inexact 0
		.amdhsa_exception_int_div_zero 0
	.end_amdhsa_kernel
	.section	.text._ZN4vllm25paged_attention_v1_kernelI14__hip_bfloat16S1_Li120ELi16ELi128ELNS_18Fp8KVCacheDataTypeE0ELb1EEEvPT_PKS3_PKT0_S9_ifPKiSB_iPKfiiiSD_SD_iiiii,"axG",@progbits,_ZN4vllm25paged_attention_v1_kernelI14__hip_bfloat16S1_Li120ELi16ELi128ELNS_18Fp8KVCacheDataTypeE0ELb1EEEvPT_PKS3_PKT0_S9_ifPKiSB_iPKfiiiSD_SD_iiiii,comdat
.Lfunc_end131:
	.size	_ZN4vllm25paged_attention_v1_kernelI14__hip_bfloat16S1_Li120ELi16ELi128ELNS_18Fp8KVCacheDataTypeE0ELb1EEEvPT_PKS3_PKT0_S9_ifPKiSB_iPKfiiiSD_SD_iiiii, .Lfunc_end131-_ZN4vllm25paged_attention_v1_kernelI14__hip_bfloat16S1_Li120ELi16ELi128ELNS_18Fp8KVCacheDataTypeE0ELb1EEEvPT_PKS3_PKT0_S9_ifPKiSB_iPKfiiiSD_SD_iiiii
                                        ; -- End function
	.set _ZN4vllm25paged_attention_v1_kernelI14__hip_bfloat16S1_Li120ELi16ELi128ELNS_18Fp8KVCacheDataTypeE0ELb1EEEvPT_PKS3_PKT0_S9_ifPKiSB_iPKfiiiSD_SD_iiiii.num_vgpr, 69
	.set _ZN4vllm25paged_attention_v1_kernelI14__hip_bfloat16S1_Li120ELi16ELi128ELNS_18Fp8KVCacheDataTypeE0ELb1EEEvPT_PKS3_PKT0_S9_ifPKiSB_iPKfiiiSD_SD_iiiii.num_agpr, 0
	.set _ZN4vllm25paged_attention_v1_kernelI14__hip_bfloat16S1_Li120ELi16ELi128ELNS_18Fp8KVCacheDataTypeE0ELb1EEEvPT_PKS3_PKT0_S9_ifPKiSB_iPKfiiiSD_SD_iiiii.numbered_sgpr, 40
	.set _ZN4vllm25paged_attention_v1_kernelI14__hip_bfloat16S1_Li120ELi16ELi128ELNS_18Fp8KVCacheDataTypeE0ELb1EEEvPT_PKS3_PKT0_S9_ifPKiSB_iPKfiiiSD_SD_iiiii.num_named_barrier, 0
	.set _ZN4vllm25paged_attention_v1_kernelI14__hip_bfloat16S1_Li120ELi16ELi128ELNS_18Fp8KVCacheDataTypeE0ELb1EEEvPT_PKS3_PKT0_S9_ifPKiSB_iPKfiiiSD_SD_iiiii.private_seg_size, 0
	.set _ZN4vllm25paged_attention_v1_kernelI14__hip_bfloat16S1_Li120ELi16ELi128ELNS_18Fp8KVCacheDataTypeE0ELb1EEEvPT_PKS3_PKT0_S9_ifPKiSB_iPKfiiiSD_SD_iiiii.uses_vcc, 1
	.set _ZN4vllm25paged_attention_v1_kernelI14__hip_bfloat16S1_Li120ELi16ELi128ELNS_18Fp8KVCacheDataTypeE0ELb1EEEvPT_PKS3_PKT0_S9_ifPKiSB_iPKfiiiSD_SD_iiiii.uses_flat_scratch, 0
	.set _ZN4vllm25paged_attention_v1_kernelI14__hip_bfloat16S1_Li120ELi16ELi128ELNS_18Fp8KVCacheDataTypeE0ELb1EEEvPT_PKS3_PKT0_S9_ifPKiSB_iPKfiiiSD_SD_iiiii.has_dyn_sized_stack, 0
	.set _ZN4vllm25paged_attention_v1_kernelI14__hip_bfloat16S1_Li120ELi16ELi128ELNS_18Fp8KVCacheDataTypeE0ELb1EEEvPT_PKS3_PKT0_S9_ifPKiSB_iPKfiiiSD_SD_iiiii.has_recursion, 0
	.set _ZN4vllm25paged_attention_v1_kernelI14__hip_bfloat16S1_Li120ELi16ELi128ELNS_18Fp8KVCacheDataTypeE0ELb1EEEvPT_PKS3_PKT0_S9_ifPKiSB_iPKfiiiSD_SD_iiiii.has_indirect_call, 0
	.section	.AMDGPU.csdata,"",@progbits
; Kernel info:
; codeLenInByte = 10108
; TotalNumSgprs: 42
; NumVgprs: 69
; ScratchSize: 0
; MemoryBound: 0
; FloatMode: 240
; IeeeMode: 1
; LDSByteSize: 272 bytes/workgroup (compile time only)
; SGPRBlocks: 0
; VGPRBlocks: 4
; NumSGPRsForWavesPerEU: 42
; NumVGPRsForWavesPerEU: 69
; NamedBarCnt: 0
; Occupancy: 12
; WaveLimiterHint : 1
; COMPUTE_PGM_RSRC2:SCRATCH_EN: 0
; COMPUTE_PGM_RSRC2:USER_SGPR: 2
; COMPUTE_PGM_RSRC2:TRAP_HANDLER: 0
; COMPUTE_PGM_RSRC2:TGID_X_EN: 1
; COMPUTE_PGM_RSRC2:TGID_Y_EN: 1
; COMPUTE_PGM_RSRC2:TGID_Z_EN: 1
; COMPUTE_PGM_RSRC2:TIDIG_COMP_CNT: 0
	.section	.text._ZN4vllm25paged_attention_v1_kernelI14__hip_bfloat16S1_Li128ELi16ELi128ELNS_18Fp8KVCacheDataTypeE0ELb1EEEvPT_PKS3_PKT0_S9_ifPKiSB_iPKfiiiSD_SD_iiiii,"axG",@progbits,_ZN4vllm25paged_attention_v1_kernelI14__hip_bfloat16S1_Li128ELi16ELi128ELNS_18Fp8KVCacheDataTypeE0ELb1EEEvPT_PKS3_PKT0_S9_ifPKiSB_iPKfiiiSD_SD_iiiii,comdat
	.protected	_ZN4vllm25paged_attention_v1_kernelI14__hip_bfloat16S1_Li128ELi16ELi128ELNS_18Fp8KVCacheDataTypeE0ELb1EEEvPT_PKS3_PKT0_S9_ifPKiSB_iPKfiiiSD_SD_iiiii ; -- Begin function _ZN4vllm25paged_attention_v1_kernelI14__hip_bfloat16S1_Li128ELi16ELi128ELNS_18Fp8KVCacheDataTypeE0ELb1EEEvPT_PKS3_PKT0_S9_ifPKiSB_iPKfiiiSD_SD_iiiii
	.globl	_ZN4vllm25paged_attention_v1_kernelI14__hip_bfloat16S1_Li128ELi16ELi128ELNS_18Fp8KVCacheDataTypeE0ELb1EEEvPT_PKS3_PKT0_S9_ifPKiSB_iPKfiiiSD_SD_iiiii
	.p2align	8
	.type	_ZN4vllm25paged_attention_v1_kernelI14__hip_bfloat16S1_Li128ELi16ELi128ELNS_18Fp8KVCacheDataTypeE0ELb1EEEvPT_PKS3_PKT0_S9_ifPKiSB_iPKfiiiSD_SD_iiiii,@function
_ZN4vllm25paged_attention_v1_kernelI14__hip_bfloat16S1_Li128ELi16ELi128ELNS_18Fp8KVCacheDataTypeE0ELb1EEEvPT_PKS3_PKT0_S9_ifPKiSB_iPKfiiiSD_SD_iiiii: ; @_ZN4vllm25paged_attention_v1_kernelI14__hip_bfloat16S1_Li128ELi16ELi128ELNS_18Fp8KVCacheDataTypeE0ELb1EEEvPT_PKS3_PKT0_S9_ifPKiSB_iPKfiiiSD_SD_iiiii
; %bb.0:
	s_load_b64 s[6:7], s[0:1], 0x20
	s_bfe_u32 s3, ttmp6, 0x4000c
	s_bfe_u32 s5, ttmp6, 0x40010
	s_and_b32 s4, ttmp7, 0xffff
	s_add_co_i32 s3, s3, 1
	s_add_co_i32 s5, s5, 1
	s_and_b32 s2, ttmp6, 15
	s_bfe_u32 s8, ttmp6, 0x40004
	s_mul_i32 s3, ttmp9, s3
	s_mul_i32 s5, s4, s5
	s_getreg_b32 s28, hwreg(HW_REG_IB_STS2, 6, 4)
	s_add_co_i32 s9, s2, s3
	s_add_co_i32 s8, s8, s5
	s_cmp_eq_u32 s28, 0
	s_clause 0x1
	s_load_b32 s29, s[0:1], 0x80
	s_load_b64 s[2:3], s[0:1], 0x30
	s_cselect_b32 s30, s4, s8
	s_cselect_b32 s4, ttmp9, s9
	s_mov_b32 s19, 0
	s_delay_alu instid0(SALU_CYCLE_1) | instskip(SKIP_2) | instid1(SALU_CYCLE_1)
	s_mov_b32 s35, s19
	s_wait_kmcnt 0x0
	s_abs_i32 s5, s6
	s_cvt_f32_u32 s8, s5
	s_sub_co_i32 s9, 0, s5
	s_delay_alu instid0(SALU_CYCLE_2) | instskip(SKIP_2) | instid1(TRANS32_DEP_1)
	v_rcp_iflag_f32_e32 v1, s8
	s_abs_i32 s10, s29
	v_nop
	v_readfirstlane_b32 s8, v1
	s_mul_f32 s8, s8, 0x4f7ffffe
	s_delay_alu instid0(SALU_CYCLE_3) | instskip(NEXT) | instid1(SALU_CYCLE_3)
	s_cvt_u32_f32 s8, s8
	s_mul_i32 s9, s9, s8
	s_delay_alu instid0(SALU_CYCLE_1) | instskip(NEXT) | instid1(SALU_CYCLE_1)
	s_mul_hi_u32 s9, s8, s9
	s_add_co_i32 s8, s8, s9
	s_xor_b32 s9, s29, s6
	s_mul_hi_u32 s8, s10, s8
	s_ashr_i32 s9, s9, 31
	s_mul_i32 s11, s8, s5
	s_delay_alu instid0(SALU_CYCLE_1)
	s_sub_co_i32 s10, s10, s11
	s_add_co_i32 s11, s8, 1
	s_sub_co_i32 s12, s10, s5
	s_cmp_ge_u32 s10, s5
	s_cselect_b32 s8, s11, s8
	s_cselect_b32 s10, s12, s10
	s_add_co_i32 s11, s8, 1
	s_cmp_ge_u32 s10, s5
	s_cselect_b32 s5, s11, s8
	s_load_b64 s[10:11], s[0:1], 0x40
	s_xor_b32 s5, s5, s9
	s_abs_i32 s18, s4
	s_sub_co_i32 s16, s5, s9
	s_mov_b32 s9, s19
	s_abs_i32 s15, s16
	s_delay_alu instid0(SALU_CYCLE_1) | instskip(SKIP_1) | instid1(SALU_CYCLE_2)
	s_cvt_f32_u32 s5, s15
	s_sub_co_i32 s8, 0, s15
	v_rcp_iflag_f32_e32 v1, s5
	v_nop
	s_delay_alu instid0(TRANS32_DEP_1) | instskip(SKIP_1) | instid1(SALU_CYCLE_3)
	v_readfirstlane_b32 s5, v1
	s_mul_f32 s5, s5, 0x4f7ffffe
	s_cvt_u32_f32 s5, s5
	s_delay_alu instid0(SALU_CYCLE_3) | instskip(NEXT) | instid1(SALU_CYCLE_1)
	s_mul_i32 s8, s8, s5
	s_mul_hi_u32 s8, s5, s8
	s_delay_alu instid0(SALU_CYCLE_1)
	s_add_co_i32 s8, s5, s8
	s_wait_kmcnt 0x0
	s_cmp_eq_u64 s[10:11], 0
	s_cbranch_scc1 .LBB132_2
; %bb.1:
	s_ashr_i32 s5, s4, 31
	s_delay_alu instid0(SALU_CYCLE_1) | instskip(NEXT) | instid1(SALU_CYCLE_1)
	s_lshl_b64 s[12:13], s[4:5], 2
	s_add_nc_u64 s[10:11], s[10:11], s[12:13]
	s_load_b32 s35, s[10:11], 0x0
.LBB132_2:
	s_load_b32 s31, s[2:3], s30 offset:0x0 scale_offset
	s_load_b96 s[12:14], s[0:1], 0x48
	v_dual_lshrrev_b32 v1, 1, v0 :: v_dual_bitop2_b32 v56, 1, v0 bitop3:0x40
	s_wait_xcnt 0x0
	v_cmp_gt_u32_e64 s2, 32, v0
	s_ashr_i32 s3, s4, 31
	s_ashr_i32 s5, s16, 31
	s_mul_u64 s[20:21], s[18:19], s[8:9]
	s_lshl_b32 s16, s4, 7
	s_and_saveexec_b32 s8, s2
	s_cbranch_execz .LBB132_4
; %bb.3:
	s_load_b64 s[10:11], s[0:1], 0x8
	s_wait_kmcnt 0x0
	s_mul_i32 s22, s12, s30
	s_ashr_i32 s17, s16, 31
	s_ashr_i32 s23, s22, 31
	v_lshlrev_b32_e32 v4, 3, v1
	s_lshl_b64 s[22:23], s[22:23], 1
	s_delay_alu instid0(VALU_DEP_1) | instskip(SKIP_2) | instid1(SALU_CYCLE_1)
	v_lshl_add_u32 v4, v56, 7, v4
	s_add_nc_u64 s[10:11], s[10:11], s[22:23]
	s_lshl_b64 s[22:23], s[16:17], 1
	s_add_nc_u64 s[10:11], s[10:11], s[22:23]
	global_load_b64 v[2:3], v0, s[10:11] scale_offset
	s_wait_loadcnt 0x0
	ds_store_b64 v4, v[2:3]
.LBB132_4:
	s_or_b32 exec_lo, exec_lo, s8
	s_load_b128 s[8:11], s[0:1], 0x68
	s_wait_kmcnt 0x0
	s_mul_i32 s12, s21, s15
	s_xor_b32 s5, s3, s5
	s_sub_co_i32 s3, s18, s12
	s_add_co_i32 s12, s21, 1
	s_sub_co_i32 s17, s3, s15
	s_cmp_ge_u32 s3, s15
	s_mov_b32 s22, -1
	s_cselect_b32 s12, s12, s21
	s_cselect_b32 s3, s17, s3
	s_add_co_i32 s17, s12, 1
	s_cmp_ge_u32 s3, s15
	s_load_b32 s3, s[0:1], 0x78
	s_cselect_b32 s15, s17, s12
	s_mov_b32 s21, 0
	s_xor_b32 s15, s15, s5
	s_mov_b32 s19, s21
	s_sub_co_i32 s5, s15, s5
	s_wait_dscnt 0x0
	s_barrier_signal -1
	s_abs_i32 s12, s11
	s_barrier_wait -1
	s_cvt_f32_u32 s17, s12
	s_sub_co_i32 s18, 0, s12
	s_delay_alu instid0(SALU_CYCLE_2) | instskip(SKIP_1) | instid1(TRANS32_DEP_1)
	v_rcp_iflag_f32_e32 v2, s17
	v_nop
	v_readfirstlane_b32 s17, v2
	s_mul_f32 s15, s17, 0x4f7ffffe
	s_delay_alu instid0(SALU_CYCLE_3) | instskip(SKIP_1) | instid1(SALU_CYCLE_1)
	s_cvt_u32_f32 s17, s15
	s_add_co_i32 s15, s31, -1
	s_abs_i32 s20, s15
	s_delay_alu instid0(SALU_CYCLE_1) | instskip(NEXT) | instid1(SALU_CYCLE_1)
	s_mul_i32 s18, s18, s17
	s_mul_hi_u32 s18, s17, s18
	s_delay_alu instid0(SALU_CYCLE_1)
	s_add_co_i32 s18, s17, s18
	s_wait_kmcnt 0x0
	s_cmp_lt_i32 s3, 0
                                        ; implicit-def: $sgpr17
	s_cbranch_scc0 .LBB132_6
; %bb.5:
	s_mul_i32 s6, s8, s6
	s_mov_b32 s22, s21
	s_add_co_i32 s6, s5, s6
	s_delay_alu instid0(SALU_CYCLE_1) | instskip(NEXT) | instid1(SALU_CYCLE_1)
	s_mul_i32 s6, s6, s3
	s_sub_co_i32 s17, 1, s6
.LBB132_6:
	s_ashr_i32 s6, s15, 31
	s_ashr_i32 s33, s11, 31
	s_and_not1_b32 vcc_lo, exec_lo, s22
	s_mul_u64 s[24:25], s[20:21], s[18:19]
	s_cbranch_vccnz .LBB132_8
; %bb.7:
	s_mul_i32 s8, s29, s8
	s_delay_alu instid0(SALU_CYCLE_1) | instskip(NEXT) | instid1(SALU_CYCLE_1)
	s_add_co_i32 s4, s8, s4
	s_mul_i32 s3, s4, s3
	s_delay_alu instid0(SALU_CYCLE_1)
	s_add_co_i32 s17, s3, 1
.LBB132_8:
	s_load_b32 s3, s[0:1], 0x38
	s_xor_b32 s4, s6, s33
	s_mul_i32 s6, s25, s12
	s_add_co_i32 s8, s25, 1
	s_sub_co_i32 s6, s20, s6
	s_clause 0x1
	s_load_b64 s[20:21], s[0:1], 0x28
	s_load_b32 s11, s[0:1], 0x88
	v_dual_lshrrev_b32 v57, 5, v0 :: v_dual_lshlrev_b32 v17, 3, v0
	v_dual_mov_b32 v21, 0xff7fffff :: v_dual_lshrrev_b32 v16, 3, v0
	v_mbcnt_lo_u32_b32 v18, -1, 0
	s_delay_alu instid0(VALU_DEP_3)
	v_lshlrev_b32_e32 v42, 4, v57
	s_mul_i32 s14, s5, s14
	s_wait_kmcnt 0x0
	s_mul_i32 s22, s3, s30
	s_sub_co_i32 s3, s6, s12
	s_ashr_i32 s23, s22, 31
	s_cmp_ge_u32 s6, s12
	s_cselect_b32 s8, s8, s25
	s_cselect_b32 s3, s3, s6
	s_add_co_i32 s6, s8, 1
	s_cmp_ge_u32 s3, s12
	s_cselect_b32 s3, s6, s8
	s_add_co_i32 s6, s31, 15
	s_delay_alu instid0(SALU_CYCLE_1) | instskip(NEXT) | instid1(SALU_CYCLE_1)
	s_ashr_i32 s8, s6, 31
	s_lshr_b32 s8, s8, 28
	s_delay_alu instid0(SALU_CYCLE_1) | instskip(NEXT) | instid1(SALU_CYCLE_1)
	s_add_co_i32 s6, s6, s8
	s_ashr_i32 s34, s6, 4
	s_xor_b32 s6, s3, s4
	v_cmp_gt_i32_e64 s3, s34, v57
	s_sub_co_i32 s8, s6, s4
	s_and_saveexec_b32 s36, s3
	s_cbranch_execz .LBB132_20
; %bb.9:
	s_load_b64 s[38:39], s[0:1], 0x10
	s_ashr_i32 s15, s14, 31
	s_sub_co_i32 s37, s8, s9
	s_ashr_i32 s25, s13, 31
	s_lshl_b64 s[40:41], s[14:15], 1
	s_cmp_neq_f32 s35, 0
	v_bfe_u32 v19, v0, 1, 4
	v_dual_mov_b32 v3, 0 :: v_dual_lshlrev_b32 v20, 7, v56
	s_cselect_b32 vcc_lo, -1, 0
	s_abs_i32 s15, s10
	s_delay_alu instid0(VALU_DEP_2)
	v_lshlrev_b32_e32 v2, 4, v19
	s_cvt_f32_u32 s4, s15
	v_subrev_nc_u32_e32 v6, s31, v19
	v_lshlrev_b32_e32 v7, 2, v19
	s_sub_co_i32 s6, 0, s15
	v_rcp_iflag_f32_e32 v4, s4
	v_cmp_eq_u32_e64 s4, 0, v56
	v_dual_mov_b32 v24, 0xff7fffff :: v_dual_mov_b32 v21, 0xff7fffff
	s_wait_kmcnt 0x0
	s_add_nc_u64 s[38:39], s[38:39], s[40:41]
	v_lshl_or_b32 v7, v57, 6, v7
	v_add_nc_u32_e32 v22, 1, v6
	v_readfirstlane_b32 s5, v4
	v_add_nc_u64_e32 v[4:5], s[38:39], v[2:3]
	v_and_b32_e32 v2, 8, v17
	s_lshl_b64 s[38:39], s[22:23], 2
	v_dual_mov_b32 v26, v57 :: v_dual_add_nc_u32 v23, 0x120, v7
	s_mul_f32 s5, s5, 0x4f7ffffe
	s_add_nc_u64 s[38:39], s[20:21], s[38:39]
	s_delay_alu instid0(VALU_DEP_3)
	v_add_nc_u64_e32 v[4:5], v[4:5], v[2:3]
	v_and_b32_e32 v2, 0x7c, v16
	s_cvt_u32_f32 s5, s5
	v_xor_b32_e32 v25, 1, v18
	s_mov_b32 s27, 0
	s_mov_b32 s24, s13
	v_add_nc_u64_e32 v[6:7], s[38:39], v[2:3]
	s_mul_i32 s6, s6, s5
	v_lshlrev_b32_e32 v2, 4, v57
	s_mul_hi_u32 s6, s5, s6
	s_mov_b32 s38, s27
	s_add_co_i32 s26, s5, s6
	s_branch .LBB132_12
.LBB132_10:                             ;   in Loop: Header=BB132_12 Depth=1
	s_or_b32 exec_lo, exec_lo, s39
.LBB132_11:                             ;   in Loop: Header=BB132_12 Depth=1
	s_delay_alu instid0(SALU_CYCLE_1) | instskip(SKIP_4) | instid1(VALU_DEP_4)
	s_or_b32 exec_lo, exec_lo, s6
	v_add_nc_u32_e32 v26, 4, v26
	v_add_nc_u64_e32 v[6:7], 16, v[6:7]
	v_add_nc_u32_e32 v2, 64, v2
	v_add_nc_u32_e32 v23, 0x100, v23
	v_cmp_le_i32_e64 s5, s34, v26
	s_or_b32 s38, s5, s38
	s_delay_alu instid0(SALU_CYCLE_1)
	s_and_not1_b32 exec_lo, exec_lo, s38
	s_cbranch_execz .LBB132_19
.LBB132_12:                             ; =>This Inner Loop Header: Depth=1
	s_wait_dscnt 0x0
	v_mul_u64_e32 v[8:9], s[18:19], v[2:3]
	s_delay_alu instid0(VALU_DEP_1) | instskip(NEXT) | instid1(VALU_DEP_1)
	v_mul_lo_u32 v8, v9, s12
	v_dual_add_nc_u32 v10, 1, v9 :: v_dual_sub_nc_u32 v8, v2, v8
	s_delay_alu instid0(VALU_DEP_1) | instskip(SKIP_1) | instid1(VALU_DEP_1)
	v_subrev_nc_u32_e32 v11, s12, v8
	v_cmp_le_u32_e64 s5, s12, v8
	v_dual_cndmask_b32 v9, v9, v10, s5 :: v_dual_cndmask_b32 v8, v8, v11, s5
	s_delay_alu instid0(VALU_DEP_1) | instskip(NEXT) | instid1(VALU_DEP_2)
	v_add_nc_u32_e32 v10, 1, v9
	v_cmp_le_u32_e64 s5, s12, v8
	s_delay_alu instid0(VALU_DEP_1) | instskip(NEXT) | instid1(VALU_DEP_1)
	v_dual_cndmask_b32 v8, v9, v10, s5 :: v_dual_mov_b32 v9, v3
	v_xor_b32_e32 v8, s33, v8
	s_delay_alu instid0(VALU_DEP_1) | instskip(NEXT) | instid1(VALU_DEP_1)
	v_subrev_nc_u32_e32 v12, s33, v8
	v_add_nc_u32_e32 v13, s17, v12
	v_cmp_ge_i32_e64 s6, s37, v12
	s_delay_alu instid0(VALU_DEP_2) | instskip(NEXT) | instid1(VALU_DEP_1)
	v_sub_nc_u32_e32 v8, 0, v13
	v_max_i32_e32 v8, v13, v8
	s_delay_alu instid0(VALU_DEP_1) | instskip(SKIP_1) | instid1(VALU_DEP_2)
	v_mul_u64_e32 v[10:11], s[26:27], v[8:9]
	v_ashrrev_i32_e32 v10, 31, v13
	v_mul_lo_u32 v9, v11, s15
	s_delay_alu instid0(VALU_DEP_1) | instskip(NEXT) | instid1(VALU_DEP_1)
	v_sub_nc_u32_e32 v8, v8, v9
	v_subrev_nc_u32_e32 v9, s15, v8
	v_cmp_le_u32_e64 s5, s15, v8
	s_delay_alu instid0(VALU_DEP_1) | instskip(NEXT) | instid1(VALU_DEP_1)
	v_cndmask_b32_e64 v8, v8, v9, s5
	v_subrev_nc_u32_e32 v9, s15, v8
	v_cmp_le_u32_e64 s5, s15, v8
	s_delay_alu instid0(VALU_DEP_1) | instskip(NEXT) | instid1(VALU_DEP_1)
	v_cndmask_b32_e64 v8, v8, v9, s5
	v_xor_b32_e32 v8, v8, v10
	s_delay_alu instid0(VALU_DEP_1) | instskip(NEXT) | instid1(VALU_DEP_1)
	v_sub_nc_u32_e32 v8, v8, v10
	v_cmp_ne_u32_e64 s5, 0, v8
	s_and_b32 s5, s5, s6
	s_delay_alu instid0(SALU_CYCLE_1) | instskip(NEXT) | instid1(SALU_CYCLE_1)
	s_and_saveexec_b32 s6, s5
	s_xor_b32 s5, exec_lo, s6
	s_cbranch_execz .LBB132_16
; %bb.13:                               ;   in Loop: Header=BB132_12 Depth=1
	s_and_saveexec_b32 s6, s4
; %bb.14:                               ;   in Loop: Header=BB132_12 Depth=1
	ds_store_b32 v23, v24
; %bb.15:                               ;   in Loop: Header=BB132_12 Depth=1
	s_or_b32 exec_lo, exec_lo, s6
.LBB132_16:                             ;   in Loop: Header=BB132_12 Depth=1
	s_and_not1_saveexec_b32 s6, s5
	s_cbranch_execz .LBB132_11
; %bb.17:                               ;   in Loop: Header=BB132_12 Depth=1
	global_load_b32 v8, v[6:7], off
	v_cmp_gt_i32_e64 s5, 32, v25
	s_wait_loadcnt 0x0
	v_ashrrev_i32_e32 v9, 31, v8
	s_delay_alu instid0(VALU_DEP_1) | instskip(NEXT) | instid1(VALU_DEP_1)
	v_mul_u64_e32 v[8:9], s[24:25], v[8:9]
	v_lshl_add_u64 v[8:9], v[8:9], 1, v[4:5]
	s_clause 0xf
	global_load_b64 v[40:41], v[8:9], off offset:256
	global_load_b64 v[48:49], v[8:9], off offset:512
	;; [unrolled: 1-line block ×3, first 2 shown]
	global_load_b64 v[52:53], v[8:9], off
	global_load_b64 v[54:55], v[8:9], off offset:1024
	global_load_b64 v[58:59], v[8:9], off offset:1280
	;; [unrolled: 1-line block ×12, first 2 shown]
	ds_load_b128 v[28:31], v20
	ds_load_b128 v[32:35], v20 offset:16
	ds_load_b128 v[36:39], v20 offset:32
	s_wait_dscnt 0x2
	v_lshlrev_b32_e32 v27, 16, v30
	v_and_b32_e32 v30, 0xffff0000, v30
	v_lshlrev_b32_e32 v44, 16, v31
	v_and_b32_e32 v31, 0xffff0000, v31
	s_wait_loadcnt 0xf
	v_lshlrev_b32_e32 v43, 16, v40
	v_and_b32_e32 v40, 0xffff0000, v40
	s_delay_alu instid0(VALU_DEP_2) | instskip(NEXT) | instid1(VALU_DEP_2)
	v_dual_lshlrev_b32 v45, 16, v41 :: v_dual_mul_f32 v27, v27, v43
	v_mul_f32_e32 v30, v30, v40
	v_and_b32_e32 v40, 0xffff0000, v41
	s_delay_alu instid0(VALU_DEP_3)
	v_mul_f32_e32 v41, v44, v45
	ds_load_b128 v[44:47], v20 offset:48
	s_wait_loadcnt 0xc
	v_fma_mix_f32_bf16 v27, v28, v52, v27 op_sel_hi:[1,1,0]
	v_fma_mix_f32_bf16 v28, v28, v52, v30 op_sel:[1,1,0] op_sel_hi:[1,1,0]
	v_mul_f32_e32 v30, v31, v40
	v_fma_mix_f32_bf16 v31, v29, v53, v41 op_sel_hi:[1,1,0]
	s_wait_dscnt 0x2
	v_fma_mix_f32_bf16 v27, v32, v48, v27 op_sel_hi:[1,1,0]
	v_fma_mix_f32_bf16 v28, v32, v48, v28 op_sel:[1,1,0] op_sel_hi:[1,1,0]
	v_fma_mix_f32_bf16 v32, v29, v53, v30 op_sel:[1,1,0] op_sel_hi:[1,1,0]
	v_fma_mix_f32_bf16 v40, v33, v49, v31 op_sel_hi:[1,1,0]
	s_delay_alu instid0(VALU_DEP_4) | instskip(NEXT) | instid1(VALU_DEP_4)
	v_fma_mix_f32_bf16 v27, v34, v50, v27 op_sel_hi:[1,1,0]
	v_fma_mix_f32_bf16 v34, v34, v50, v28 op_sel:[1,1,0] op_sel_hi:[1,1,0]
	ds_load_b128 v[28:31], v20 offset:64
	v_fma_mix_f32_bf16 v32, v33, v49, v32 op_sel:[1,1,0] op_sel_hi:[1,1,0]
	v_fma_mix_f32_bf16 v33, v35, v51, v40 op_sel_hi:[1,1,0]
	s_wait_loadcnt_dscnt 0xb02
	v_fma_mix_f32_bf16 v27, v36, v54, v27 op_sel_hi:[1,1,0]
	v_fma_mix_f32_bf16 v34, v36, v54, v34 op_sel:[1,1,0] op_sel_hi:[1,1,0]
	v_fma_mix_f32_bf16 v36, v35, v51, v32 op_sel:[1,1,0] op_sel_hi:[1,1,0]
	v_fma_mix_f32_bf16 v40, v37, v55, v33 op_sel_hi:[1,1,0]
	s_wait_loadcnt 0xa
	v_fma_mix_f32_bf16 v27, v38, v58, v27 op_sel_hi:[1,1,0]
	v_fma_mix_f32_bf16 v38, v38, v58, v34 op_sel:[1,1,0] op_sel_hi:[1,1,0]
	ds_load_b128 v[32:35], v20 offset:80
	v_fma_mix_f32_bf16 v36, v37, v55, v36 op_sel:[1,1,0] op_sel_hi:[1,1,0]
	v_fma_mix_f32_bf16 v37, v39, v59, v40 op_sel_hi:[1,1,0]
	s_wait_loadcnt_dscnt 0x902
	v_fma_mix_f32_bf16 v27, v44, v60, v27 op_sel_hi:[1,1,0]
	v_fma_mix_f32_bf16 v38, v44, v60, v38 op_sel:[1,1,0] op_sel_hi:[1,1,0]
	v_fma_mix_f32_bf16 v40, v39, v59, v36 op_sel:[1,1,0] op_sel_hi:[1,1,0]
	v_fma_mix_f32_bf16 v41, v45, v61, v37 op_sel_hi:[1,1,0]
	s_wait_loadcnt 0x8
	;; [unrolled: 11-line block ×4, first 2 shown]
	v_fma_mix_f32_bf16 v27, v34, v70, v27 op_sel_hi:[1,1,0]
	v_fma_mix_f32_bf16 v28, v34, v70, v28 op_sel:[1,1,0] op_sel_hi:[1,1,0]
	v_fma_mix_f32_bf16 v29, v33, v69, v29 op_sel:[1,1,0] op_sel_hi:[1,1,0]
	v_fma_mix_f32_bf16 v30, v35, v71, v30 op_sel_hi:[1,1,0]
	s_wait_loadcnt_dscnt 0x301
	v_fma_mix_f32_bf16 v27, v36, v14, v27 op_sel_hi:[1,1,0]
	v_fma_mix_f32_bf16 v14, v36, v14, v28 op_sel:[1,1,0] op_sel_hi:[1,1,0]
	v_fma_mix_f32_bf16 v28, v35, v71, v29 op_sel:[1,1,0] op_sel_hi:[1,1,0]
	v_fma_mix_f32_bf16 v29, v37, v15, v30 op_sel_hi:[1,1,0]
	s_wait_loadcnt 0x2
	v_fma_mix_f32_bf16 v27, v12, v38, v27 op_sel_hi:[1,1,0]
	v_fma_mix_f32_bf16 v12, v12, v38, v14 op_sel:[1,1,0] op_sel_hi:[1,1,0]
	v_fma_mix_f32_bf16 v14, v37, v15, v28 op_sel:[1,1,0] op_sel_hi:[1,1,0]
	v_fma_mix_f32_bf16 v15, v13, v39, v29 op_sel_hi:[1,1,0]
	s_wait_loadcnt_dscnt 0x100
	v_fma_mix_f32_bf16 v27, v10, v44, v27 op_sel_hi:[1,1,0]
	v_fma_mix_f32_bf16 v10, v10, v44, v12 op_sel:[1,1,0] op_sel_hi:[1,1,0]
	v_fma_mix_f32_bf16 v12, v13, v39, v14 op_sel:[1,1,0] op_sel_hi:[1,1,0]
	v_fma_mix_f32_bf16 v13, v11, v45, v15 op_sel_hi:[1,1,0]
	s_wait_loadcnt 0x0
	v_fma_mix_f32_bf16 v14, v8, v46, v27 op_sel_hi:[1,1,0]
	v_fma_mix_f32_bf16 v8, v8, v46, v10 op_sel:[1,1,0] op_sel_hi:[1,1,0]
	v_fma_mix_f32_bf16 v10, v11, v45, v12 op_sel:[1,1,0] op_sel_hi:[1,1,0]
	v_fma_mix_f32_bf16 v11, v9, v47, v13 op_sel_hi:[1,1,0]
	v_cndmask_b32_e64 v12, v18, v25, s5
	s_delay_alu instid0(VALU_DEP_4) | instskip(NEXT) | instid1(VALU_DEP_4)
	v_add_f32_e32 v8, v14, v8
	v_fma_mix_f32_bf16 v9, v9, v47, v10 op_sel:[1,1,0] op_sel_hi:[1,1,0]
	s_delay_alu instid0(VALU_DEP_2) | instskip(NEXT) | instid1(VALU_DEP_1)
	v_dual_lshlrev_b32 v10, 2, v12 :: v_dual_add_f32 v8, v8, v11
	v_add_f32_e32 v8, v9, v8
	ds_bpermute_b32 v9, v10, v8
	s_and_saveexec_b32 s39, s4
	s_cbranch_execz .LBB132_10
; %bb.18:                               ;   in Loop: Header=BB132_12 Depth=1
	s_wait_dscnt 0x0
	v_dual_add_nc_u32 v10, v22, v2 :: v_dual_add_f32 v8, v8, v9
	s_delay_alu instid0(VALU_DEP_1) | instskip(NEXT) | instid1(VALU_DEP_1)
	v_cvt_f32_i32_e32 v10, v10
	v_mul_f32_e32 v10, s35, v10
	s_delay_alu instid0(VALU_DEP_1) | instskip(NEXT) | instid1(VALU_DEP_1)
	v_dual_cndmask_b32 v9, 0, v10 :: v_dual_max_num_f32 v10, v21, v21
	v_dual_fmac_f32 v9, s7, v8 :: v_dual_add_nc_u32 v8, v19, v2
	s_delay_alu instid0(VALU_DEP_1) | instskip(NEXT) | instid1(VALU_DEP_2)
	v_max_num_f32_e32 v10, v10, v9
	v_cmp_gt_i32_e64 s5, s31, v8
	s_delay_alu instid0(VALU_DEP_1)
	v_dual_cndmask_b32 v8, 0, v9, s5 :: v_dual_cndmask_b32 v21, v21, v10, s5
	ds_store_b32 v23, v8
	s_branch .LBB132_10
.LBB132_19:
	s_or_b32 exec_lo, exec_lo, s38
.LBB132_20:
	s_delay_alu instid0(SALU_CYCLE_1)
	s_or_b32 exec_lo, exec_lo, s36
	v_dual_max_num_f32 v5, v21, v21 :: v_dual_bitop2_b32 v2, 16, v18 bitop3:0x14
	v_xor_b32_e32 v4, 8, v18
	s_clause 0x1
	s_load_b64 s[6:7], s[0:1], 0x0
	s_load_b64 s[24:25], s[0:1], 0x18
	v_and_b32_e32 v58, 31, v0
	v_cmp_gt_i32_e32 vcc_lo, 32, v2
	v_cndmask_b32_e32 v2, v18, v2, vcc_lo
	v_cmp_gt_i32_e32 vcc_lo, 32, v4
	s_delay_alu instid0(VALU_DEP_2) | instskip(SKIP_3) | instid1(VALU_DEP_1)
	v_dual_cndmask_b32 v4, v18, v4 :: v_dual_lshlrev_b32 v3, 2, v2
	ds_bpermute_b32 v2, v3, v21
	s_wait_dscnt 0x0
	v_dual_max_num_f32 v2, v2, v2 :: v_dual_lshlrev_b32 v4, 2, v4
	v_max_num_f32_e32 v2, v5, v2
	ds_bpermute_b32 v5, v4, v2
	s_wait_dscnt 0x0
	v_dual_max_num_f32 v7, v5, v5 :: v_dual_bitop2_b32 v6, 4, v18 bitop3:0x14
	s_delay_alu instid0(VALU_DEP_1) | instskip(NEXT) | instid1(VALU_DEP_2)
	v_max_num_f32_e32 v2, v2, v7
	v_cmp_gt_i32_e32 vcc_lo, 32, v6
	v_xor_b32_e32 v7, 2, v18
	v_cndmask_b32_e32 v6, v18, v6, vcc_lo
	s_delay_alu instid0(VALU_DEP_2) | instskip(NEXT) | instid1(VALU_DEP_2)
	v_cmp_gt_i32_e32 vcc_lo, 32, v7
	v_dual_cndmask_b32 v8, v18, v7 :: v_dual_lshlrev_b32 v5, 2, v6
	v_cmp_eq_u32_e32 vcc_lo, 0, v58
	ds_bpermute_b32 v6, v5, v2
	s_wait_dscnt 0x0
	v_max_num_f32_e32 v6, v6, v6
	s_delay_alu instid0(VALU_DEP_1)
	v_dual_max_num_f32 v7, v2, v6 :: v_dual_lshlrev_b32 v2, 2, v8
	v_lshlrev_b32_e32 v6, 2, v57
	ds_bpermute_b32 v8, v2, v7
	s_wait_xcnt 0x0
	s_and_saveexec_b32 s0, vcc_lo
	s_cbranch_execz .LBB132_22
; %bb.21:
	s_wait_dscnt 0x0
	v_dual_max_num_f32 v8, v8, v8 :: v_dual_max_num_f32 v7, v7, v7
	s_delay_alu instid0(VALU_DEP_1)
	v_max_num_f32_e32 v7, v7, v8
	ds_store_b32 v6, v7 offset:256
.LBB132_22:
	s_or_b32 exec_lo, exec_lo, s0
	v_cmp_gt_u32_e64 s0, 4, v58
	s_wait_dscnt 0x0
	v_dual_mov_b32 v8, 0xff7fffff :: v_dual_lshlrev_b32 v7, 2, v58
	s_barrier_signal -1
	s_barrier_wait -1
	s_and_saveexec_b32 s1, s0
; %bb.23:
	ds_load_b32 v8, v7 offset:256
; %bb.24:
	s_or_b32 exec_lo, exec_lo, s1
	s_wait_dscnt 0x0
	ds_bpermute_b32 v9, v2, v8
	v_dual_max_num_f32 v8, v8, v8 :: v_dual_bitop2_b32 v10, 1, v18 bitop3:0x14
	s_delay_alu instid0(VALU_DEP_1) | instskip(NEXT) | instid1(VALU_DEP_1)
	v_cmp_gt_i32_e64 s1, 32, v10
	v_cndmask_b32_e64 v10, v18, v10, s1
	s_lshl_b32 s1, s34, 4
	s_delay_alu instid0(SALU_CYCLE_1) | instskip(NEXT) | instid1(SALU_CYCLE_1)
	s_min_i32 s5, s1, s31
	v_cmp_gt_i32_e64 s1, s5, v0
	s_wait_dscnt 0x0
	v_dual_max_num_f32 v9, v9, v9 :: v_dual_lshlrev_b32 v59, 2, v10
	s_delay_alu instid0(VALU_DEP_1) | instskip(SKIP_3) | instid1(VALU_DEP_1)
	v_max_num_f32_e32 v8, v8, v9
	ds_bpermute_b32 v9, v59, v8
	s_wait_dscnt 0x0
	v_max_num_f32_e32 v9, v9, v9
	v_dual_max_num_f32 v9, v8, v9 :: v_dual_mov_b32 v8, 0
	ds_bpermute_b32 v9, v8, v9
	s_and_saveexec_b32 s15, s1
	s_cbranch_execz .LBB132_28
; %bb.25:
	v_lshl_add_u32 v10, v0, 2, 0x120
	v_dual_mov_b32 v8, 0 :: v_dual_mov_b32 v11, v0
	s_mov_b32 s26, 0
.LBB132_26:                             ; =>This Inner Loop Header: Depth=1
	ds_load_b32 v12, v10
	v_add_nc_u32_e32 v11, 0x80, v11
	s_delay_alu instid0(VALU_DEP_1) | instskip(SKIP_3) | instid1(VALU_DEP_1)
	v_cmp_le_i32_e64 s4, s5, v11
	s_or_b32 s26, s4, s26
	s_wait_dscnt 0x0
	v_sub_f32_e32 v12, v12, v9
	v_mul_f32_e32 v12, 0x3fb8aa3b, v12
	s_delay_alu instid0(VALU_DEP_1)
	v_exp_f32_e32 v12, v12
	ds_store_b32 v10, v12
	v_nop
	v_add_f32_e32 v8, v8, v12
	v_add_nc_u32_e32 v10, 0x200, v10
	s_and_not1_b32 exec_lo, exec_lo, s26
	s_cbranch_execnz .LBB132_26
; %bb.27:
	s_or_b32 exec_lo, exec_lo, s26
.LBB132_28:
	s_delay_alu instid0(SALU_CYCLE_1)
	s_or_b32 exec_lo, exec_lo, s15
	ds_bpermute_b32 v3, v3, v8
	s_wait_dscnt 0x0
	v_add_f32_e32 v3, v8, v3
	ds_bpermute_b32 v4, v4, v3
	s_wait_dscnt 0x0
	v_add_f32_e32 v3, v3, v4
	;; [unrolled: 3-line block ×5, first 2 shown]
	s_and_saveexec_b32 s4, vcc_lo
; %bb.29:
	ds_store_b32 v6, v3 offset:272
; %bb.30:
	s_or_b32 exec_lo, exec_lo, s4
	s_wait_dscnt 0x0
	s_barrier_signal -1
	s_barrier_wait -1
	s_and_saveexec_b32 s4, s0
; %bb.31:
	ds_load_b32 v3, v7 offset:272
; %bb.32:
	s_or_b32 exec_lo, exec_lo, s4
	s_wait_dscnt 0x0
	ds_bpermute_b32 v2, v2, v3
	s_wait_dscnt 0x0
	v_dual_mov_b32 v45, 0 :: v_dual_add_f32 v2, v3, v2
	ds_bpermute_b32 v3, v59, v2
	s_wait_dscnt 0x0
	v_add_f32_e32 v2, v2, v3
	ds_bpermute_b32 v2, v45, v2
	s_and_saveexec_b32 s0, s1
	s_cbranch_execz .LBB132_45
; %bb.33:
	s_wait_dscnt 0x0
	v_add_f32_e32 v2, 0x358637bd, v2
	s_mov_b32 s4, -1
	s_mov_b32 s1, exec_lo
	s_delay_alu instid0(VALU_DEP_1) | instskip(NEXT) | instid1(VALU_DEP_1)
	v_div_scale_f32 v3, null, v2, v2, 1.0
	v_rcp_f32_e32 v5, v3
	v_nop
	s_delay_alu instid0(TRANS32_DEP_1) | instskip(NEXT) | instid1(VALU_DEP_1)
	v_fma_f32 v4, -v3, v5, 1.0
	v_fmac_f32_e32 v5, v4, v5
	v_div_scale_f32 v6, vcc_lo, 1.0, v2, 1.0
	s_delay_alu instid0(VALU_DEP_1) | instskip(NEXT) | instid1(VALU_DEP_1)
	v_mul_f32_e32 v7, v6, v5
	v_fma_f32 v4, -v3, v7, v6
	s_delay_alu instid0(VALU_DEP_1) | instskip(SKIP_1) | instid1(VALU_DEP_2)
	v_fmac_f32_e32 v7, v4, v5
	v_xad_u32 v4, v0, -1, s5
	v_fma_f32 v3, -v3, v7, v6
	s_delay_alu instid0(VALU_DEP_1) | instskip(NEXT) | instid1(VALU_DEP_1)
	v_div_fmas_f32 v3, v3, v5, v7
	v_div_fixup_f32 v2, v3, v2, 1.0
	v_mov_b32_e32 v3, v0
	v_cmpx_lt_u32_e32 0x7f, v4
	s_cbranch_execz .LBB132_42
; %bb.34:
	s_delay_alu instid0(VALU_DEP_3) | instskip(NEXT) | instid1(VALU_DEP_1)
	v_dual_mov_b32 v3, v2 :: v_dual_lshrrev_b32 v4, 7, v4
	v_dual_mov_b32 v8, 0 :: v_dual_add_nc_u32 v5, -1, v4
	s_delay_alu instid0(VALU_DEP_1) | instskip(SKIP_1) | instid1(VALU_DEP_2)
	v_lshrrev_b32_e32 v6, 1, v5
	v_cmp_lt_u32_e32 vcc_lo, 13, v5
	v_add_nc_u32_e32 v5, 1, v6
	s_and_saveexec_b32 s4, vcc_lo
	s_cbranch_execz .LBB132_38
; %bb.35:
	s_delay_alu instid0(VALU_DEP_1)
	v_and_b32_e32 v6, -8, v5
	v_lshl_add_u32 v7, v0, 2, 0x120
	s_mov_b32 s15, 0
	s_mov_b32 s26, 0
.LBB132_36:                             ; =>This Inner Loop Header: Depth=1
	ds_load_2addr_stride64_b32 v[8:9], v7 offset1:2
	ds_load_2addr_stride64_b32 v[10:11], v7 offset0:4 offset1:6
	ds_load_2addr_stride64_b32 v[12:13], v7 offset0:8 offset1:10
	;; [unrolled: 1-line block ×7, first 2 shown]
	s_add_co_i32 s26, s26, 16
	v_add_nc_u32_e32 v6, -8, v6
	s_wait_dscnt 0x7
	v_pk_mul_f32 v[8:9], v[2:3], v[8:9]
	s_wait_dscnt 0x6
	v_pk_mul_f32 v[10:11], v[2:3], v[10:11]
	;; [unrolled: 2-line block ×8, first 2 shown]
	ds_store_2addr_stride64_b32 v7, v8, v9 offset1:2
	ds_store_2addr_stride64_b32 v7, v10, v11 offset0:4 offset1:6
	ds_store_2addr_stride64_b32 v7, v12, v13 offset0:8 offset1:10
	;; [unrolled: 1-line block ×7, first 2 shown]
	v_mov_b32_e32 v8, s26
	v_cmp_eq_u32_e32 vcc_lo, 0, v6
	v_add_nc_u32_e32 v7, 0x2000, v7
	s_or_b32 s15, vcc_lo, s15
	s_delay_alu instid0(SALU_CYCLE_1)
	s_and_not1_b32 exec_lo, exec_lo, s15
	s_cbranch_execnz .LBB132_36
; %bb.37:
	s_or_b32 exec_lo, exec_lo, s15
.LBB132_38:
	s_delay_alu instid0(SALU_CYCLE_1) | instskip(NEXT) | instid1(VALU_DEP_1)
	s_or_b32 exec_lo, exec_lo, s4
	v_and_b32_e32 v5, 7, v5
	s_mov_b32 s15, 0
	s_mov_b32 s4, exec_lo
	s_delay_alu instid0(VALU_DEP_1)
	v_cmpx_ne_u32_e32 0, v5
	s_cbranch_execz .LBB132_41
; %bb.39:
	v_lshlrev_b32_e32 v6, 9, v8
	v_lshlrev_b32_e32 v7, 2, v0
	s_delay_alu instid0(VALU_DEP_1)
	v_add3_u32 v6, v6, v7, 0x120
.LBB132_40:                             ; =>This Inner Loop Header: Depth=1
	ds_load_2addr_stride64_b32 v[8:9], v6 offset1:2
	v_add_nc_u32_e32 v5, -1, v5
	s_delay_alu instid0(VALU_DEP_1)
	v_cmp_eq_u32_e32 vcc_lo, 0, v5
	s_or_b32 s15, vcc_lo, s15
	s_wait_dscnt 0x0
	v_pk_mul_f32 v[8:9], v[2:3], v[8:9]
	ds_store_2addr_stride64_b32 v6, v8, v9 offset1:2
	v_add_nc_u32_e32 v6, 0x400, v6
	s_and_not1_b32 exec_lo, exec_lo, s15
	s_cbranch_execnz .LBB132_40
.LBB132_41:
	s_or_b32 exec_lo, exec_lo, s4
	v_add_nc_u32_e32 v3, 1, v4
	s_delay_alu instid0(VALU_DEP_1) | instskip(NEXT) | instid1(VALU_DEP_1)
	v_and_b32_e32 v4, 0x3fffffe, v3
	v_cmp_ne_u32_e32 vcc_lo, v3, v4
	v_lshl_add_u32 v3, v4, 7, v0
	s_or_not1_b32 s4, vcc_lo, exec_lo
.LBB132_42:
	s_or_b32 exec_lo, exec_lo, s1
	s_delay_alu instid0(SALU_CYCLE_1)
	s_and_b32 exec_lo, exec_lo, s4
	s_cbranch_execz .LBB132_45
; %bb.43:
	v_lshl_add_u32 v4, v3, 2, 0x120
	s_mov_b32 s1, 0
.LBB132_44:                             ; =>This Inner Loop Header: Depth=1
	ds_load_b32 v5, v4
	v_add_nc_u32_e32 v3, 0x80, v3
	s_delay_alu instid0(VALU_DEP_1)
	v_cmp_le_i32_e32 vcc_lo, s5, v3
	s_or_b32 s1, vcc_lo, s1
	s_wait_dscnt 0x0
	v_mul_f32_e32 v5, v2, v5
	ds_store_b32 v4, v5
	v_add_nc_u32_e32 v4, 0x200, v4
	s_and_not1_b32 exec_lo, exec_lo, s1
	s_cbranch_execnz .LBB132_44
.LBB132_45:
	s_or_b32 exec_lo, exec_lo, s0
	v_dual_mov_b32 v44, 0 :: v_dual_mov_b32 v47, 0
	v_dual_mov_b32 v46, 0 :: v_dual_mov_b32 v49, 0
	;; [unrolled: 1-line block ×3, first 2 shown]
	v_mov_b32_e32 v50, 0
	s_wait_dscnt 0x0
	s_barrier_signal -1
	s_barrier_wait -1
	s_and_saveexec_b32 s1, s3
	s_cbranch_execz .LBB132_67
; %bb.46:
	s_abs_i32 s3, s10
	v_dual_lshlrev_b32 v4, 4, v0 :: v_dual_bitop2_b32 v60, 8, v17 bitop3:0x40
	s_cvt_f32_u32 s0, s3
	v_dual_mov_b32 v43, 0 :: v_dual_lshlrev_b32 v6, 5, v56
	s_ashr_i32 s15, s14, 31
	s_delay_alu instid0(SALU_CYCLE_1)
	v_rcp_iflag_f32_e32 v3, s0
	v_and_b32_e32 v2, 0x7c, v16
	v_and_b32_e32 v4, 0x1f0, v4
	v_mov_b32_e32 v5, v43
	s_lshl_b64 s[22:23], s[22:23], 2
	s_lshl_b64 s[14:15], s[14:15], 1
	v_lshl_or_b32 v6, v57, 6, v6
	v_readfirstlane_b32 s0, v3
	v_mov_b32_e32 v3, v43
	s_add_nc_u64 s[20:21], s[20:21], s[22:23]
	s_wait_kmcnt 0x0
	s_add_nc_u64 s[14:15], s[24:25], s[14:15]
	s_sub_co_i32 s10, s8, s9
	s_mul_f32 s0, s0, 0x4f7ffffe
	s_sub_co_i32 s8, 0, s3
	v_add_nc_u64_e32 v[52:53], s[14:15], v[4:5]
	v_add_nc_u64_e32 v[54:55], s[20:21], v[2:3]
	s_cvt_u32_f32 s0, s0
	v_dual_mov_b32 v62, v57 :: v_dual_add_nc_u32 v61, 0x120, v6
	v_dual_mov_b32 v50, v43 :: v_dual_mov_b32 v51, v43
	s_delay_alu instid0(SALU_CYCLE_1)
	s_mul_i32 s8, s8, s0
	v_dual_mov_b32 v48, v43 :: v_dual_mov_b32 v49, v43
	v_dual_mov_b32 v46, v43 :: v_dual_mov_b32 v47, v43
	;; [unrolled: 1-line block ×3, first 2 shown]
	s_mov_b32 s9, 0
	s_mul_hi_u32 s8, s0, s8
	s_ashr_i32 s5, s13, 31
	s_mov_b32 s4, s13
	s_add_co_i32 s13, s34, -1
	s_mov_b32 s14, s31
	s_add_co_i32 s8, s0, s8
	s_mov_b32 s15, s9
	s_branch .LBB132_49
.LBB132_47:                             ;   in Loop: Header=BB132_49 Depth=1
	s_or_b32 exec_lo, exec_lo, s0
	s_wait_dscnt 0x1
	v_cvt_pk_bf16_f32 v18, v18, v19
	v_cvt_pk_bf16_f32 v19, v20, v21
	s_wait_dscnt 0x0
	v_cvt_pk_bf16_f32 v10, v10, v11
	v_cvt_pk_bf16_f32 v12, v12, v13
	s_wait_loadcnt 0x1
	v_pk_mul_bf16 v11, v18, v38
	v_pk_mul_bf16 v20, v19, v39
	;; [unrolled: 1-line block ×5, first 2 shown]
	s_delay_alu instid0(VALU_DEP_4)
	v_dual_lshlrev_b32 v21, 16, v11 :: v_dual_lshlrev_b32 v38, 16, v20
	v_and_b32_e32 v11, 0xffff0000, v11
	v_and_b32_e32 v20, 0xffff0000, v20
	v_lshlrev_b32_e32 v40, 16, v13
	v_and_b32_e32 v13, 0xffff0000, v13
	v_pk_mul_bf16 v27, v19, v27
	s_delay_alu instid0(VALU_DEP_4) | instskip(SKIP_3) | instid1(VALU_DEP_3)
	v_dual_add_f32 v11, v21, v11 :: v_dual_add_f32 v20, v38, v20
	v_pk_mul_bf16 v21, v18, v34
	v_pk_mul_bf16 v34, v19, v35
	v_dual_lshlrev_b32 v35, 16, v39 :: v_dual_add_f32 v13, v40, v13
	v_dual_add_f32 v11, v20, v11 :: v_dual_lshlrev_b32 v38, 16, v21
	v_and_b32_e32 v20, 0xffff0000, v39
	v_and_b32_e32 v21, 0xffff0000, v21
	s_delay_alu instid0(VALU_DEP_3) | instskip(SKIP_4) | instid1(VALU_DEP_3)
	v_dual_lshlrev_b32 v39, 16, v34 :: v_dual_add_f32 v11, v13, v11
	v_and_b32_e32 v13, 0xffff0000, v34
	v_pk_mul_bf16 v34, v10, v36
	v_pk_mul_bf16 v36, v12, v37
	v_dual_add_f32 v21, v38, v21 :: v_dual_lshlrev_b32 v38, 16, v26
	v_dual_add_f32 v13, v39, v13 :: v_dual_lshlrev_b32 v37, 16, v34
	v_and_b32_e32 v34, 0xffff0000, v34
	v_and_b32_e32 v26, 0xffff0000, v26
	v_lshlrev_b32_e32 v39, 16, v27
	v_and_b32_e32 v27, 0xffff0000, v27
	v_pk_mul_bf16 v28, v10, v28
	s_delay_alu instid0(VALU_DEP_4) | instskip(NEXT) | instid1(VALU_DEP_3)
	v_dual_add_f32 v13, v13, v21 :: v_dual_add_f32 v26, v38, v26
	v_dual_add_f32 v21, v37, v34 :: v_dual_add_f32 v27, v39, v27
	s_delay_alu instid0(VALU_DEP_3) | instskip(SKIP_4) | instid1(VALU_DEP_4)
	v_lshlrev_b32_e32 v34, 16, v28
	v_and_b32_e32 v28, 0xffff0000, v28
	v_pk_mul_bf16 v29, v12, v29
	v_lshlrev_b32_e32 v37, 16, v36
	v_and_b32_e32 v36, 0xffff0000, v36
	v_dual_add_f32 v26, v27, v26 :: v_dual_add_f32 v27, v34, v28
	v_add_f32_e32 v13, v21, v13
	v_lshlrev_b32_e32 v28, 16, v29
	v_and_b32_e32 v29, 0xffff0000, v29
	v_add_f32_e32 v20, v35, v20
	v_dual_add_f32 v21, v37, v36 :: v_dual_add_f32 v26, v27, v26
	v_pk_mul_bf16 v22, v18, v22
	s_delay_alu instid0(VALU_DEP_4) | instskip(NEXT) | instid1(VALU_DEP_3)
	v_add_f32_e32 v27, v28, v29
	v_dual_add_f32 v11, v20, v11 :: v_dual_add_f32 v13, v21, v13
	v_pk_mul_bf16 v20, v19, v23
	s_delay_alu instid0(VALU_DEP_4) | instskip(NEXT) | instid1(VALU_DEP_4)
	v_lshlrev_b32_e32 v23, 16, v22
	v_add_f32_e32 v21, v27, v26
	v_and_b32_e32 v22, 0xffff0000, v22
	s_delay_alu instid0(VALU_DEP_4) | instskip(SKIP_2) | instid1(VALU_DEP_4)
	v_dual_add_f32 v44, v44, v11 :: v_dual_lshlrev_b32 v26, 16, v20
	v_and_b32_e32 v20, 0xffff0000, v20
	v_add_f32_e32 v47, v47, v13
	v_dual_add_f32 v46, v46, v21 :: v_dual_add_f32 v11, v23, v22
	v_pk_mul_bf16 v14, v18, v14
	s_delay_alu instid0(VALU_DEP_4)
	v_add_f32_e32 v13, v26, v20
	v_pk_mul_bf16 v15, v19, v15
	v_pk_mul_bf16 v20, v10, v24
	;; [unrolled: 1-line block ×4, first 2 shown]
	v_dual_add_f32 v11, v13, v11 :: v_dual_lshlrev_b32 v13, 16, v14
	v_and_b32_e32 v14, 0xffff0000, v14
	v_dual_lshlrev_b32 v22, 16, v15 :: v_dual_lshlrev_b32 v23, 16, v20
	v_and_b32_e32 v15, 0xffff0000, v15
	v_and_b32_e32 v20, 0xffff0000, v20
	s_delay_alu instid0(VALU_DEP_4)
	v_add_f32_e32 v13, v13, v14
	v_pk_mul_bf16 v6, v18, v6
	v_pk_mul_bf16 v7, v19, v7
	v_dual_add_f32 v14, v22, v15 :: v_dual_lshlrev_b32 v15, 16, v16
	v_lshlrev_b32_e32 v22, 16, v21
	v_and_b32_e32 v16, 0xffff0000, v16
	s_delay_alu instid0(VALU_DEP_3) | instskip(SKIP_2) | instid1(VALU_DEP_3)
	v_dual_add_f32 v20, v23, v20 :: v_dual_add_f32 v13, v14, v13
	v_and_b32_e32 v21, 0xffff0000, v21
	v_pk_mul_bf16 v8, v10, v8
	v_dual_add_f32 v14, v15, v16 :: v_dual_add_f32 v11, v20, v11
	v_pk_mul_bf16 v15, v12, v17
	s_delay_alu instid0(VALU_DEP_4) | instskip(NEXT) | instid1(VALU_DEP_3)
	v_dual_add_f32 v16, v22, v21 :: v_dual_lshlrev_b32 v17, 16, v6
	v_add_f32_e32 v13, v14, v13
	v_and_b32_e32 v6, 0xffff0000, v6
	s_delay_alu instid0(VALU_DEP_4)
	v_lshlrev_b32_e32 v14, 16, v15
	v_and_b32_e32 v15, 0xffff0000, v15
	v_lshlrev_b32_e32 v20, 16, v7
	v_and_b32_e32 v7, 0xffff0000, v7
	v_pk_mul_bf16 v2, v18, v2
	v_pk_mul_bf16 v3, v19, v3
	v_dual_add_f32 v14, v14, v15 :: v_dual_lshlrev_b32 v15, 16, v8
	s_delay_alu instid0(VALU_DEP_4) | instskip(NEXT) | instid1(VALU_DEP_4)
	v_dual_add_f32 v6, v17, v6 :: v_dual_add_f32 v7, v20, v7
	v_lshlrev_b32_e32 v17, 16, v2
	v_and_b32_e32 v8, 0xffff0000, v8
	v_and_b32_e32 v2, 0xffff0000, v2
	s_delay_alu instid0(VALU_DEP_4) | instskip(SKIP_2) | instid1(VALU_DEP_4)
	v_dual_add_f32 v21, v7, v6 :: v_dual_lshlrev_b32 v20, 16, v3
	v_and_b32_e32 v3, 0xffff0000, v3
	v_pk_mul_bf16 v9, v12, v9
	v_dual_add_f32 v15, v15, v8 :: v_dual_add_f32 v2, v17, v2
	v_pk_mul_bf16 v4, v10, v4
	s_delay_alu instid0(VALU_DEP_3) | instskip(SKIP_3) | instid1(VALU_DEP_3)
	v_dual_add_f32 v3, v20, v3 :: v_dual_lshlrev_b32 v17, 16, v9
	v_pk_mul_bf16 v22, v12, v5
	s_wait_loadcnt 0x0
	v_pk_mul_bf16 v6, v10, v32
	v_dual_add_f32 v23, v3, v2 :: v_dual_lshlrev_b32 v24, 16, v4
	v_pk_mul_bf16 v2, v18, v30
	v_and_b32_e32 v18, 0xffff0000, v4
	v_pk_mul_bf16 v4, v19, v31
	v_pk_mul_bf16 v8, v12, v33
	v_and_b32_e32 v20, 0xffff0000, v9
	v_and_b32_e32 v3, 0xffff0000, v2
	v_lshlrev_b32_e32 v5, 16, v2
	v_and_b32_e32 v2, 0xffff0000, v4
	v_lshlrev_b32_e32 v4, 16, v4
	;; [unrolled: 2-line block ×4, first 2 shown]
	v_pk_add_f32 v[2:3], v[4:5], v[2:3]
	v_add_f32_e32 v10, v24, v18
	v_lshlrev_b32_e32 v12, 16, v22
	v_and_b32_e32 v18, 0xffff0000, v22
	v_pk_add_f32 v[4:5], v[8:9], v[6:7]
	v_dual_add_f32 v2, v2, v3 :: v_dual_add_f32 v3, v15, v21
	v_dual_add_f32 v6, v17, v20 :: v_dual_add_f32 v7, v10, v23
	s_delay_alu instid0(VALU_DEP_4) | instskip(NEXT) | instid1(VALU_DEP_3)
	v_dual_add_f32 v8, v12, v18 :: v_dual_add_f32 v9, v14, v13
	v_dual_add_f32 v2, v5, v2 :: v_dual_add_f32 v5, v16, v11
	s_delay_alu instid0(VALU_DEP_3) | instskip(NEXT) | instid1(VALU_DEP_3)
	v_add_f32_e32 v3, v6, v3
	v_add_f32_e32 v6, v8, v7
	s_delay_alu instid0(VALU_DEP_3) | instskip(NEXT) | instid1(VALU_DEP_3)
	v_dual_add_f32 v2, v4, v2 :: v_dual_add_f32 v49, v49, v5
	v_dual_add_f32 v48, v48, v9 :: v_dual_add_f32 v51, v51, v3
	s_delay_alu instid0(VALU_DEP_3) | instskip(NEXT) | instid1(VALU_DEP_3)
	v_add_f32_e32 v50, v50, v6
	v_add_f32_e32 v45, v45, v2
.LBB132_48:                             ;   in Loop: Header=BB132_49 Depth=1
	s_or_b32 exec_lo, exec_lo, s20
	v_add_nc_u32_e32 v62, 4, v62
	v_add_nc_u64_e32 v[54:55], 16, v[54:55]
	v_add_nc_u32_e32 v42, 64, v42
	v_add_nc_u32_e32 v61, 0x100, v61
	s_delay_alu instid0(VALU_DEP_4) | instskip(SKIP_1) | instid1(SALU_CYCLE_1)
	v_cmp_le_i32_e32 vcc_lo, s34, v62
	s_or_b32 s15, vcc_lo, s15
	s_and_not1_b32 exec_lo, exec_lo, s15
	s_cbranch_execz .LBB132_66
.LBB132_49:                             ; =>This Inner Loop Header: Depth=1
	v_mul_u64_e32 v[2:3], s[18:19], v[42:43]
	s_delay_alu instid0(VALU_DEP_1) | instskip(NEXT) | instid1(VALU_DEP_1)
	v_mul_lo_u32 v2, v3, s12
	v_dual_add_nc_u32 v4, 1, v3 :: v_dual_sub_nc_u32 v2, v42, v2
	s_delay_alu instid0(VALU_DEP_1) | instskip(SKIP_1) | instid1(VALU_DEP_2)
	v_subrev_nc_u32_e32 v5, s12, v2
	v_cmp_le_u32_e32 vcc_lo, s12, v2
	v_dual_cndmask_b32 v3, v3, v4 :: v_dual_cndmask_b32 v2, v2, v5
	s_delay_alu instid0(VALU_DEP_1) | instskip(NEXT) | instid1(VALU_DEP_2)
	v_add_nc_u32_e32 v4, 1, v3
	v_cmp_le_u32_e32 vcc_lo, s12, v2
	s_delay_alu instid0(VALU_DEP_2) | instskip(NEXT) | instid1(VALU_DEP_1)
	v_cndmask_b32_e32 v2, v3, v4, vcc_lo
	v_dual_mov_b32 v3, v43 :: v_dual_bitop2_b32 v2, s33, v2 bitop3:0x14
	s_delay_alu instid0(VALU_DEP_1) | instskip(NEXT) | instid1(VALU_DEP_1)
	v_subrev_nc_u32_e32 v6, s33, v2
	v_add_nc_u32_e32 v7, s17, v6
	v_cmp_lt_i32_e64 s0, s10, v6
	s_delay_alu instid0(VALU_DEP_2) | instskip(NEXT) | instid1(VALU_DEP_1)
	v_sub_nc_u32_e32 v2, 0, v7
	v_max_i32_e32 v2, v7, v2
	s_delay_alu instid0(VALU_DEP_1) | instskip(SKIP_1) | instid1(VALU_DEP_2)
	v_mul_u64_e32 v[4:5], s[8:9], v[2:3]
	v_ashrrev_i32_e32 v4, 31, v7
	v_mul_lo_u32 v3, v5, s3
	s_delay_alu instid0(VALU_DEP_1) | instskip(NEXT) | instid1(VALU_DEP_1)
	v_sub_nc_u32_e32 v2, v2, v3
	v_subrev_nc_u32_e32 v3, s3, v2
	v_cmp_le_u32_e32 vcc_lo, s3, v2
	s_delay_alu instid0(VALU_DEP_2) | instskip(NEXT) | instid1(VALU_DEP_1)
	v_cndmask_b32_e32 v2, v2, v3, vcc_lo
	v_subrev_nc_u32_e32 v3, s3, v2
	v_cmp_le_u32_e32 vcc_lo, s3, v2
	s_delay_alu instid0(VALU_DEP_2) | instskip(NEXT) | instid1(VALU_DEP_1)
	v_cndmask_b32_e32 v2, v2, v3, vcc_lo
	v_xor_b32_e32 v2, v2, v4
	s_delay_alu instid0(VALU_DEP_1) | instskip(NEXT) | instid1(VALU_DEP_1)
	v_sub_nc_u32_e32 v2, v2, v4
	v_cmp_eq_u32_e32 vcc_lo, 0, v2
	s_or_b32 s0, vcc_lo, s0
	s_delay_alu instid0(SALU_CYCLE_1)
	s_and_saveexec_b32 s20, s0
	s_cbranch_execz .LBB132_48
; %bb.50:                               ;   in Loop: Header=BB132_49 Depth=1
	global_load_b32 v2, v[54:55], off
	v_add_nc_u32_e32 v70, v60, v42
	v_cmp_eq_u32_e32 vcc_lo, s13, v62
	s_delay_alu instid0(VALU_DEP_2)
	v_dual_add_nc_u32 v68, 1, v70 :: v_dual_bitop2_b32 v67, 3, v70 bitop3:0x54
	v_or_b32_e32 v69, 2, v70
	v_or_b32_e32 v64, 5, v70
	;; [unrolled: 1-line block ×5, first 2 shown]
	s_wait_loadcnt 0x0
	v_ashrrev_i32_e32 v3, 31, v2
	s_delay_alu instid0(VALU_DEP_1) | instskip(NEXT) | instid1(VALU_DEP_1)
	v_mul_u64_e32 v[2:3], s[4:5], v[2:3]
	v_lshl_add_u64 v[30:31], v[2:3], 1, v[52:53]
	global_load_b128 v[2:5], v[30:31], off
	ds_load_2addr_b64 v[18:21], v61 offset1:1
	ds_load_2addr_b64 v[10:13], v61 offset0:2 offset1:3
	s_wait_xcnt 0x0
	s_and_saveexec_b32 s21, vcc_lo
	s_cbranch_execnz .LBB132_58
; %bb.51:                               ;   in Loop: Header=BB132_49 Depth=1
	s_or_b32 exec_lo, exec_lo, s21
	global_load_b128 v[6:9], v[30:31], off offset:512
	s_wait_xcnt 0x0
	s_and_saveexec_b32 s21, vcc_lo
	s_cbranch_execnz .LBB132_59
.LBB132_52:                             ;   in Loop: Header=BB132_49 Depth=1
	s_or_b32 exec_lo, exec_lo, s21
	global_load_b128 v[14:17], v[30:31], off offset:1024
	s_wait_xcnt 0x0
	s_and_saveexec_b32 s21, vcc_lo
	s_cbranch_execnz .LBB132_60
.LBB132_53:                             ;   in Loop: Header=BB132_49 Depth=1
	s_or_b32 exec_lo, exec_lo, s21
	global_load_b128 v[22:25], v[30:31], off offset:1536
	s_wait_xcnt 0x0
	s_and_saveexec_b32 s21, vcc_lo
	s_cbranch_execnz .LBB132_61
.LBB132_54:                             ;   in Loop: Header=BB132_49 Depth=1
	s_or_b32 exec_lo, exec_lo, s21
	global_load_b128 v[26:29], v[30:31], off offset:2048
	s_wait_xcnt 0x0
	s_and_saveexec_b32 s21, vcc_lo
	s_cbranch_execnz .LBB132_62
.LBB132_55:                             ;   in Loop: Header=BB132_49 Depth=1
	s_or_b32 exec_lo, exec_lo, s21
	global_load_b128 v[34:37], v[30:31], off offset:2560
	s_wait_xcnt 0x0
	s_and_saveexec_b32 s21, vcc_lo
	s_cbranch_execnz .LBB132_63
.LBB132_56:                             ;   in Loop: Header=BB132_49 Depth=1
	s_or_b32 exec_lo, exec_lo, s21
	global_load_b128 v[38:41], v[30:31], off offset:3072
	s_wait_xcnt 0x0
	s_and_saveexec_b32 s21, vcc_lo
	s_cbranch_execnz .LBB132_64
.LBB132_57:                             ;   in Loop: Header=BB132_49 Depth=1
	s_or_b32 exec_lo, exec_lo, s21
	global_load_b128 v[30:33], v[30:31], off offset:3584
	s_wait_xcnt 0x0
	s_and_saveexec_b32 s0, vcc_lo
	s_cbranch_execz .LBB132_47
	s_branch .LBB132_65
.LBB132_58:                             ;   in Loop: Header=BB132_49 Depth=1
	v_cmp_gt_i32_e64 s0, s31, v70
	s_wait_loadcnt 0x0
	v_dual_lshrrev_b32 v6, 16, v2 :: v_dual_lshrrev_b32 v8, 16, v4
	s_delay_alu instid0(VALU_DEP_2) | instskip(SKIP_1) | instid1(VALU_DEP_1)
	v_cndmask_b32_e64 v2, 0, v2, s0
	v_cmp_gt_i32_e64 s0, s14, v68
	v_dual_lshrrev_b32 v7, 16, v3 :: v_dual_cndmask_b32 v6, 0, v6, s0
	v_cmp_gt_i32_e64 s0, s31, v69
	s_delay_alu instid0(VALU_DEP_2) | instskip(NEXT) | instid1(VALU_DEP_2)
	v_perm_b32 v2, v6, v2, 0x5040100
	v_cndmask_b32_e64 v3, 0, v3, s0
	v_cmp_gt_i32_e64 s0, s14, v67
	s_delay_alu instid0(VALU_DEP_1) | instskip(SKIP_1) | instid1(VALU_DEP_1)
	v_cndmask_b32_e64 v7, 0, v7, s0
	v_cmp_gt_i32_e64 s0, s31, v66
	v_cndmask_b32_e64 v4, 0, v4, s0
	v_cmp_gt_i32_e64 s0, s14, v64
	v_lshrrev_b32_e32 v9, 16, v5
	v_perm_b32 v3, v7, v3, 0x5040100
	s_delay_alu instid0(VALU_DEP_3) | instskip(SKIP_1) | instid1(VALU_DEP_2)
	v_cndmask_b32_e64 v8, 0, v8, s0
	v_cmp_gt_i32_e64 s0, s31, v65
	v_perm_b32 v4, v8, v4, 0x5040100
	s_delay_alu instid0(VALU_DEP_2) | instskip(SKIP_1) | instid1(VALU_DEP_1)
	v_cndmask_b32_e64 v5, 0, v5, s0
	v_cmp_gt_i32_e64 s0, s14, v63
	v_cndmask_b32_e64 v9, 0, v9, s0
	s_delay_alu instid0(VALU_DEP_1)
	v_perm_b32 v5, v9, v5, 0x5040100
	s_or_b32 exec_lo, exec_lo, s21
	global_load_b128 v[6:9], v[30:31], off offset:512
	s_wait_xcnt 0x0
	s_and_saveexec_b32 s21, vcc_lo
	s_cbranch_execz .LBB132_52
.LBB132_59:                             ;   in Loop: Header=BB132_49 Depth=1
	v_cmp_gt_i32_e64 s0, s31, v70
	s_wait_loadcnt 0x0
	v_dual_lshrrev_b32 v14, 16, v6 :: v_dual_lshrrev_b32 v16, 16, v8
	s_delay_alu instid0(VALU_DEP_2) | instskip(SKIP_1) | instid1(VALU_DEP_1)
	v_cndmask_b32_e64 v6, 0, v6, s0
	v_cmp_gt_i32_e64 s0, s14, v68
	v_dual_lshrrev_b32 v15, 16, v7 :: v_dual_cndmask_b32 v14, 0, v14, s0
	v_cmp_gt_i32_e64 s0, s31, v69
	s_delay_alu instid0(VALU_DEP_2) | instskip(NEXT) | instid1(VALU_DEP_2)
	v_perm_b32 v6, v14, v6, 0x5040100
	v_cndmask_b32_e64 v7, 0, v7, s0
	v_cmp_gt_i32_e64 s0, s14, v67
	s_delay_alu instid0(VALU_DEP_1) | instskip(SKIP_1) | instid1(VALU_DEP_1)
	v_cndmask_b32_e64 v15, 0, v15, s0
	v_cmp_gt_i32_e64 s0, s31, v66
	v_cndmask_b32_e64 v8, 0, v8, s0
	v_cmp_gt_i32_e64 s0, s14, v64
	v_lshrrev_b32_e32 v17, 16, v9
	v_perm_b32 v7, v15, v7, 0x5040100
	s_delay_alu instid0(VALU_DEP_3) | instskip(SKIP_1) | instid1(VALU_DEP_2)
	v_cndmask_b32_e64 v16, 0, v16, s0
	v_cmp_gt_i32_e64 s0, s31, v65
	v_perm_b32 v8, v16, v8, 0x5040100
	s_delay_alu instid0(VALU_DEP_2) | instskip(SKIP_1) | instid1(VALU_DEP_1)
	v_cndmask_b32_e64 v9, 0, v9, s0
	v_cmp_gt_i32_e64 s0, s14, v63
	v_cndmask_b32_e64 v17, 0, v17, s0
	s_delay_alu instid0(VALU_DEP_1)
	v_perm_b32 v9, v17, v9, 0x5040100
	s_or_b32 exec_lo, exec_lo, s21
	global_load_b128 v[14:17], v[30:31], off offset:1024
	s_wait_xcnt 0x0
	s_and_saveexec_b32 s21, vcc_lo
	s_cbranch_execz .LBB132_53
.LBB132_60:                             ;   in Loop: Header=BB132_49 Depth=1
	v_cmp_gt_i32_e64 s0, s31, v70
	s_wait_loadcnt 0x0
	v_dual_lshrrev_b32 v22, 16, v14 :: v_dual_lshrrev_b32 v24, 16, v16
	s_delay_alu instid0(VALU_DEP_2) | instskip(SKIP_1) | instid1(VALU_DEP_1)
	v_cndmask_b32_e64 v14, 0, v14, s0
	v_cmp_gt_i32_e64 s0, s14, v68
	v_dual_lshrrev_b32 v23, 16, v15 :: v_dual_cndmask_b32 v22, 0, v22, s0
	v_cmp_gt_i32_e64 s0, s31, v69
	s_delay_alu instid0(VALU_DEP_2) | instskip(NEXT) | instid1(VALU_DEP_2)
	v_perm_b32 v14, v22, v14, 0x5040100
	v_cndmask_b32_e64 v15, 0, v15, s0
	v_cmp_gt_i32_e64 s0, s14, v67
	s_delay_alu instid0(VALU_DEP_1) | instskip(SKIP_1) | instid1(VALU_DEP_1)
	v_cndmask_b32_e64 v23, 0, v23, s0
	v_cmp_gt_i32_e64 s0, s31, v66
	v_cndmask_b32_e64 v16, 0, v16, s0
	v_cmp_gt_i32_e64 s0, s14, v64
	v_lshrrev_b32_e32 v25, 16, v17
	v_perm_b32 v15, v23, v15, 0x5040100
	s_delay_alu instid0(VALU_DEP_3) | instskip(SKIP_1) | instid1(VALU_DEP_2)
	v_cndmask_b32_e64 v24, 0, v24, s0
	v_cmp_gt_i32_e64 s0, s31, v65
	v_perm_b32 v16, v24, v16, 0x5040100
	s_delay_alu instid0(VALU_DEP_2) | instskip(SKIP_1) | instid1(VALU_DEP_1)
	v_cndmask_b32_e64 v17, 0, v17, s0
	v_cmp_gt_i32_e64 s0, s14, v63
	v_cndmask_b32_e64 v25, 0, v25, s0
	s_delay_alu instid0(VALU_DEP_1)
	v_perm_b32 v17, v25, v17, 0x5040100
	s_or_b32 exec_lo, exec_lo, s21
	global_load_b128 v[22:25], v[30:31], off offset:1536
	s_wait_xcnt 0x0
	s_and_saveexec_b32 s21, vcc_lo
	s_cbranch_execz .LBB132_54
.LBB132_61:                             ;   in Loop: Header=BB132_49 Depth=1
	v_cmp_gt_i32_e64 s0, s31, v70
	s_wait_loadcnt 0x0
	v_dual_lshrrev_b32 v26, 16, v22 :: v_dual_lshrrev_b32 v28, 16, v24
	s_delay_alu instid0(VALU_DEP_2) | instskip(SKIP_1) | instid1(VALU_DEP_1)
	v_cndmask_b32_e64 v22, 0, v22, s0
	v_cmp_gt_i32_e64 s0, s14, v68
	v_dual_lshrrev_b32 v27, 16, v23 :: v_dual_cndmask_b32 v26, 0, v26, s0
	v_cmp_gt_i32_e64 s0, s31, v69
	s_delay_alu instid0(VALU_DEP_2) | instskip(NEXT) | instid1(VALU_DEP_2)
	v_perm_b32 v22, v26, v22, 0x5040100
	v_cndmask_b32_e64 v23, 0, v23, s0
	v_cmp_gt_i32_e64 s0, s14, v67
	s_delay_alu instid0(VALU_DEP_1) | instskip(SKIP_1) | instid1(VALU_DEP_1)
	v_cndmask_b32_e64 v27, 0, v27, s0
	v_cmp_gt_i32_e64 s0, s31, v66
	v_cndmask_b32_e64 v24, 0, v24, s0
	v_cmp_gt_i32_e64 s0, s14, v64
	v_lshrrev_b32_e32 v29, 16, v25
	v_perm_b32 v23, v27, v23, 0x5040100
	s_delay_alu instid0(VALU_DEP_3) | instskip(SKIP_1) | instid1(VALU_DEP_2)
	v_cndmask_b32_e64 v28, 0, v28, s0
	v_cmp_gt_i32_e64 s0, s31, v65
	v_perm_b32 v24, v28, v24, 0x5040100
	s_delay_alu instid0(VALU_DEP_2) | instskip(SKIP_1) | instid1(VALU_DEP_1)
	v_cndmask_b32_e64 v25, 0, v25, s0
	v_cmp_gt_i32_e64 s0, s14, v63
	v_cndmask_b32_e64 v29, 0, v29, s0
	s_delay_alu instid0(VALU_DEP_1)
	v_perm_b32 v25, v29, v25, 0x5040100
	s_or_b32 exec_lo, exec_lo, s21
	global_load_b128 v[26:29], v[30:31], off offset:2048
	s_wait_xcnt 0x0
	s_and_saveexec_b32 s21, vcc_lo
	s_cbranch_execz .LBB132_55
.LBB132_62:                             ;   in Loop: Header=BB132_49 Depth=1
	v_cmp_gt_i32_e64 s0, s31, v70
	s_wait_loadcnt 0x0
	s_delay_alu instid0(VALU_DEP_1) | instskip(SKIP_1) | instid1(VALU_DEP_1)
	v_dual_lshrrev_b32 v32, 16, v26 :: v_dual_cndmask_b32 v26, 0, v26, s0
	v_cmp_gt_i32_e64 s0, s14, v68
	v_dual_lshrrev_b32 v33, 16, v27 :: v_dual_cndmask_b32 v32, 0, v32, s0
	v_cmp_gt_i32_e64 s0, s31, v69
	s_delay_alu instid0(VALU_DEP_2) | instskip(NEXT) | instid1(VALU_DEP_2)
	v_perm_b32 v26, v32, v26, 0x5040100
	v_cndmask_b32_e64 v27, 0, v27, s0
	v_cmp_gt_i32_e64 s0, s14, v67
	s_delay_alu instid0(VALU_DEP_1) | instskip(SKIP_2) | instid1(VALU_DEP_3)
	v_cndmask_b32_e64 v33, 0, v33, s0
	v_cmp_gt_i32_e64 s0, s31, v66
	v_lshrrev_b32_e32 v34, 16, v28
	v_perm_b32 v27, v33, v27, 0x5040100
	s_delay_alu instid0(VALU_DEP_3) | instskip(SKIP_1) | instid1(VALU_DEP_1)
	v_cndmask_b32_e64 v28, 0, v28, s0
	v_cmp_gt_i32_e64 s0, s14, v64
	v_dual_lshrrev_b32 v35, 16, v29 :: v_dual_cndmask_b32 v34, 0, v34, s0
	v_cmp_gt_i32_e64 s0, s31, v65
	s_delay_alu instid0(VALU_DEP_2) | instskip(NEXT) | instid1(VALU_DEP_2)
	v_perm_b32 v28, v34, v28, 0x5040100
	v_cndmask_b32_e64 v29, 0, v29, s0
	v_cmp_gt_i32_e64 s0, s14, v63
	s_delay_alu instid0(VALU_DEP_1) | instskip(NEXT) | instid1(VALU_DEP_1)
	v_cndmask_b32_e64 v35, 0, v35, s0
	v_perm_b32 v29, v35, v29, 0x5040100
	s_or_b32 exec_lo, exec_lo, s21
	global_load_b128 v[34:37], v[30:31], off offset:2560
	s_wait_xcnt 0x0
	s_and_saveexec_b32 s21, vcc_lo
	s_cbranch_execz .LBB132_56
.LBB132_63:                             ;   in Loop: Header=BB132_49 Depth=1
	v_cmp_gt_i32_e64 s0, s31, v70
	s_wait_loadcnt 0x0
	s_delay_alu instid0(VALU_DEP_1) | instskip(SKIP_1) | instid1(VALU_DEP_1)
	v_dual_lshrrev_b32 v32, 16, v34 :: v_dual_cndmask_b32 v33, 0, v34, s0
	v_cmp_gt_i32_e64 s0, s14, v68
	v_dual_lshrrev_b32 v34, 16, v35 :: v_dual_cndmask_b32 v32, 0, v32, s0
	v_cmp_gt_i32_e64 s0, s31, v69
	s_delay_alu instid0(VALU_DEP_1) | instskip(SKIP_1) | instid1(VALU_DEP_1)
	v_cndmask_b32_e64 v35, 0, v35, s0
	v_cmp_gt_i32_e64 s0, s14, v67
	v_cndmask_b32_e64 v38, 0, v34, s0
	v_cmp_gt_i32_e64 s0, s31, v66
	v_lshrrev_b32_e32 v34, 16, v36
	s_delay_alu instid0(VALU_DEP_3) | instskip(NEXT) | instid1(VALU_DEP_3)
	v_perm_b32 v35, v38, v35, 0x5040100
	v_cndmask_b32_e64 v36, 0, v36, s0
	v_cmp_gt_i32_e64 s0, s14, v64
	s_delay_alu instid0(VALU_DEP_1) | instskip(SKIP_2) | instid1(VALU_DEP_3)
	v_dual_lshrrev_b32 v39, 16, v37 :: v_dual_cndmask_b32 v40, 0, v34, s0
	v_cmp_gt_i32_e64 s0, s31, v65
	v_perm_b32 v34, v32, v33, 0x5040100
	v_perm_b32 v36, v40, v36, 0x5040100
	s_delay_alu instid0(VALU_DEP_3) | instskip(SKIP_1) | instid1(VALU_DEP_1)
	v_cndmask_b32_e64 v37, 0, v37, s0
	v_cmp_gt_i32_e64 s0, s14, v63
	v_cndmask_b32_e64 v39, 0, v39, s0
	s_delay_alu instid0(VALU_DEP_1)
	v_perm_b32 v37, v39, v37, 0x5040100
	s_or_b32 exec_lo, exec_lo, s21
	global_load_b128 v[38:41], v[30:31], off offset:3072
	s_wait_xcnt 0x0
	s_and_saveexec_b32 s21, vcc_lo
	s_cbranch_execz .LBB132_57
.LBB132_64:                             ;   in Loop: Header=BB132_49 Depth=1
	v_cmp_gt_i32_e64 s0, s31, v70
	s_wait_loadcnt 0x0
	s_delay_alu instid0(VALU_DEP_1) | instskip(SKIP_1) | instid1(VALU_DEP_1)
	v_dual_lshrrev_b32 v32, 16, v38 :: v_dual_cndmask_b32 v33, 0, v38, s0
	v_cmp_gt_i32_e64 s0, s14, v68
	v_dual_lshrrev_b32 v38, 16, v39 :: v_dual_cndmask_b32 v32, 0, v32, s0
	v_cmp_gt_i32_e64 s0, s31, v69
	s_delay_alu instid0(VALU_DEP_1) | instskip(SKIP_1) | instid1(VALU_DEP_1)
	v_cndmask_b32_e64 v39, 0, v39, s0
	v_cmp_gt_i32_e64 s0, s14, v67
	v_cndmask_b32_e64 v71, 0, v38, s0
	v_cmp_gt_i32_e64 s0, s31, v66
	v_lshrrev_b32_e32 v38, 16, v40
	s_delay_alu instid0(VALU_DEP_3) | instskip(NEXT) | instid1(VALU_DEP_3)
	v_perm_b32 v39, v71, v39, 0x5040100
	v_cndmask_b32_e64 v40, 0, v40, s0
	v_cmp_gt_i32_e64 s0, s14, v64
	s_delay_alu instid0(VALU_DEP_1) | instskip(SKIP_2) | instid1(VALU_DEP_3)
	v_dual_lshrrev_b32 v72, 16, v41 :: v_dual_cndmask_b32 v73, 0, v38, s0
	v_cmp_gt_i32_e64 s0, s31, v65
	v_perm_b32 v38, v32, v33, 0x5040100
	v_perm_b32 v40, v73, v40, 0x5040100
	s_delay_alu instid0(VALU_DEP_3) | instskip(SKIP_1) | instid1(VALU_DEP_1)
	v_cndmask_b32_e64 v41, 0, v41, s0
	v_cmp_gt_i32_e64 s0, s14, v63
	v_cndmask_b32_e64 v72, 0, v72, s0
	s_delay_alu instid0(VALU_DEP_1)
	v_perm_b32 v41, v72, v41, 0x5040100
	s_or_b32 exec_lo, exec_lo, s21
	global_load_b128 v[30:33], v[30:31], off offset:3584
	s_wait_xcnt 0x0
	s_and_saveexec_b32 s0, vcc_lo
	s_cbranch_execz .LBB132_47
.LBB132_65:                             ;   in Loop: Header=BB132_49 Depth=1
	v_cmp_gt_i32_e32 vcc_lo, s31, v70
	s_wait_loadcnt 0x0
	v_dual_cndmask_b32 v30, 0, v30 :: v_dual_lshrrev_b32 v71, 16, v30
	v_cmp_gt_i32_e32 vcc_lo, s14, v68
	s_delay_alu instid0(VALU_DEP_2) | instskip(SKIP_3) | instid1(VALU_DEP_2)
	v_cndmask_b32_e32 v68, 0, v71, vcc_lo
	v_cmp_gt_i32_e32 vcc_lo, s31, v69
	v_dual_cndmask_b32 v31, 0, v31 :: v_dual_lshrrev_b32 v70, 16, v31
	v_cmp_gt_i32_e32 vcc_lo, s14, v67
	v_cndmask_b32_e32 v67, 0, v70, vcc_lo
	v_cmp_gt_i32_e32 vcc_lo, s31, v66
	v_lshrrev_b32_e32 v69, 16, v32
	v_perm_b32 v30, v68, v30, 0x5040100
	s_delay_alu instid0(VALU_DEP_4)
	v_perm_b32 v31, v67, v31, 0x5040100
	v_cndmask_b32_e32 v32, 0, v32, vcc_lo
	v_cmp_gt_i32_e32 vcc_lo, s14, v64
	v_cndmask_b32_e32 v64, 0, v69, vcc_lo
	v_cmp_gt_i32_e32 vcc_lo, s31, v65
	v_dual_cndmask_b32 v33, 0, v33 :: v_dual_lshrrev_b32 v66, 16, v33
	v_cmp_gt_i32_e32 vcc_lo, s14, v63
	s_delay_alu instid0(VALU_DEP_2) | instskip(SKIP_1) | instid1(VALU_DEP_2)
	v_cndmask_b32_e32 v63, 0, v66, vcc_lo
	v_perm_b32 v32, v64, v32, 0x5040100
	v_perm_b32 v33, v63, v33, 0x5040100
	s_branch .LBB132_47
.LBB132_66:
	s_or_b32 exec_lo, exec_lo, s15
.LBB132_67:
	s_delay_alu instid0(SALU_CYCLE_1)
	s_or_b32 exec_lo, exec_lo, s1
	ds_bpermute_b32 v2, v59, v50
	ds_bpermute_b32 v3, v59, v51
	;; [unrolled: 1-line block ×8, first 2 shown]
	v_and_b32_e32 v11, 0x3c1, v0
	v_lshrrev_b32_e32 v10, 1, v58
	s_mov_b32 s0, exec_lo
	s_wait_dscnt 0x0
	s_barrier_signal -1
	s_barrier_wait -1
	v_pk_add_f32 v[6:7], v[50:51], v[2:3]
	v_pk_add_f32 v[4:5], v[48:49], v[4:5]
	;; [unrolled: 1-line block ×3, first 2 shown]
	v_cmpx_ne_u32_e32 64, v11
	s_xor_b32 s0, exec_lo, s0
	s_delay_alu instid0(SALU_CYCLE_1)
	s_or_saveexec_b32 s0, s0
	v_pk_add_f32 v[8:9], v[44:45], v[8:9]
	v_lshl_add_u32 v11, v10, 2, 0x120
	v_lshlrev_b32_e32 v12, 9, v57
	s_xor_b32 exec_lo, exec_lo, s0
	s_cbranch_execz .LBB132_69
; %bb.68:
	s_delay_alu instid0(VALU_DEP_1) | instskip(NEXT) | instid1(VALU_DEP_1)
	v_add_nc_u32_e32 v13, v11, v12
	v_add_nc_u32_e32 v14, 0xfffffc00, v13
	;; [unrolled: 1-line block ×9, first 2 shown]
	ds_store_b32 v14, v6
	ds_store_b32 v15, v7
	;; [unrolled: 1-line block ×8, first 2 shown]
.LBB132_69:
	s_or_b32 exec_lo, exec_lo, s0
	v_lshlrev_b32_e32 v10, 2, v10
	s_mov_b32 s1, exec_lo
	v_cmp_eq_u32_e32 vcc_lo, 0, v56
	s_wait_dscnt 0x0
	s_barrier_signal -1
	v_add3_u32 v10, 0x120, v12, v10
	s_barrier_wait -1
	v_cmpx_gt_u32_e32 64, v0
	s_cbranch_execz .LBB132_80
; %bb.70:
	s_and_saveexec_b32 s0, vcc_lo
	s_cbranch_execnz .LBB132_96
; %bb.71:
	s_or_b32 exec_lo, exec_lo, s0
	s_and_saveexec_b32 s0, vcc_lo
	s_cbranch_execnz .LBB132_97
.LBB132_72:
	s_or_b32 exec_lo, exec_lo, s0
	s_and_saveexec_b32 s0, vcc_lo
	s_cbranch_execnz .LBB132_98
.LBB132_73:
	s_or_b32 exec_lo, exec_lo, s0
	s_and_saveexec_b32 s0, vcc_lo
	s_cbranch_execnz .LBB132_99
.LBB132_74:
	s_or_b32 exec_lo, exec_lo, s0
	s_and_saveexec_b32 s0, vcc_lo
	s_cbranch_execnz .LBB132_100
.LBB132_75:
	s_or_b32 exec_lo, exec_lo, s0
	s_and_saveexec_b32 s0, vcc_lo
	s_cbranch_execnz .LBB132_101
.LBB132_76:
	s_or_b32 exec_lo, exec_lo, s0
	s_and_saveexec_b32 s0, vcc_lo
	s_cbranch_execnz .LBB132_102
.LBB132_77:
	s_or_b32 exec_lo, exec_lo, s0
	s_and_saveexec_b32 s0, vcc_lo
	s_cbranch_execz .LBB132_79
.LBB132_78:
	ds_load_b32 v12, v10 offset:448
	s_wait_dscnt 0x0
	v_add_f32_e32 v9, v9, v12
.LBB132_79:
	s_or_b32 exec_lo, exec_lo, s0
.LBB132_80:
	s_delay_alu instid0(SALU_CYCLE_1) | instskip(SKIP_4) | instid1(VALU_DEP_1)
	s_or_b32 exec_lo, exec_lo, s1
	v_and_b32_e32 v0, 0x3e1, v0
	s_mov_b32 s1, exec_lo
	s_barrier_signal -1
	s_barrier_wait -1
	v_cmpx_eq_u32_e32 32, v0
	s_cbranch_execz .LBB132_82
; %bb.81:
	ds_store_2addr_b32 v11, v6, v7 offset1:16
	ds_store_2addr_b32 v11, v4, v5 offset0:32 offset1:48
	ds_store_2addr_b32 v11, v2, v3 offset0:64 offset1:80
	;; [unrolled: 1-line block ×3, first 2 shown]
.LBB132_82:
	s_or_b32 exec_lo, exec_lo, s1
	s_wait_dscnt 0x0
	s_barrier_signal -1
	s_barrier_wait -1
	s_and_saveexec_b32 s0, s2
	s_cbranch_execz .LBB132_93
; %bb.83:
	s_and_saveexec_b32 s1, vcc_lo
	s_cbranch_execnz .LBB132_103
; %bb.84:
	s_or_b32 exec_lo, exec_lo, s1
	s_and_saveexec_b32 s1, vcc_lo
	s_cbranch_execnz .LBB132_104
.LBB132_85:
	s_or_b32 exec_lo, exec_lo, s1
	s_and_saveexec_b32 s1, vcc_lo
	s_cbranch_execnz .LBB132_105
.LBB132_86:
	s_or_b32 exec_lo, exec_lo, s1
	s_and_saveexec_b32 s1, vcc_lo
	s_cbranch_execnz .LBB132_106
.LBB132_87:
	s_or_b32 exec_lo, exec_lo, s1
	s_and_saveexec_b32 s1, vcc_lo
	s_cbranch_execnz .LBB132_107
.LBB132_88:
	s_or_b32 exec_lo, exec_lo, s1
	s_and_saveexec_b32 s1, vcc_lo
	s_cbranch_execnz .LBB132_108
.LBB132_89:
	s_or_b32 exec_lo, exec_lo, s1
	s_and_saveexec_b32 s1, vcc_lo
	s_cbranch_execnz .LBB132_109
.LBB132_90:
	s_or_b32 exec_lo, exec_lo, s1
	s_and_saveexec_b32 s1, vcc_lo
	s_cbranch_execz .LBB132_92
.LBB132_91:
	ds_load_b32 v10, v10 offset:448
	s_wait_dscnt 0x0
	v_add_f32_e32 v9, v9, v10
.LBB132_92:
	s_or_b32 exec_lo, exec_lo, s1
.LBB132_93:
	s_delay_alu instid0(SALU_CYCLE_1)
	s_or_b32 exec_lo, exec_lo, s0
	s_mov_b32 s1, 0
	s_barrier_signal -1
	s_barrier_wait -1
	s_mov_b32 s0, exec_lo
	v_cmpx_eq_u32_e32 0, v0
	s_cbranch_execz .LBB132_95
; %bb.94:
	s_mul_i32 s0, s30, s11
	s_mul_i32 s2, s11, s16
	;; [unrolled: 1-line block ×3, first 2 shown]
	s_lshr_b32 s8, ttmp7, 16
	s_lshl_b32 s4, s0, 7
	s_bfe_u32 s0, ttmp6, 0x40014
	s_ashr_i32 s5, s4, 31
	s_add_co_i32 s0, s0, 1
	s_ashr_i32 s3, s2, 31
	s_mul_i32 s0, s8, s0
	s_bfe_u32 s9, ttmp6, 0x40008
	s_lshl_b64 s[4:5], s[4:5], 1
	s_lshl_b64 s[2:3], s[2:3], 1
	s_add_co_i32 s9, s9, s0
	s_cmp_eq_u32 s28, 0
	s_wait_kmcnt 0x0
	s_add_nc_u64 s[4:5], s[6:7], s[4:5]
	s_cselect_b32 s0, s8, s9
	s_add_nc_u64 s[2:3], s[4:5], s[2:3]
	s_lshl_b32 s0, s0, 8
	s_delay_alu instid0(SALU_CYCLE_1) | instskip(NEXT) | instid1(SALU_CYCLE_1)
	s_add_nc_u64 s[0:1], s[2:3], s[0:1]
	v_cvt_pk_bf16_f32 v0, v6, s0
	v_cvt_pk_bf16_f32 v6, v7, s0
	;; [unrolled: 1-line block ×8, first 2 shown]
	s_clause 0x7
	global_store_b16 v1, v0, s[0:1] scale_offset
	global_store_b16 v1, v6, s[0:1] offset:32 scale_offset
	global_store_b16 v1, v4, s[0:1] offset:64 scale_offset
	;; [unrolled: 1-line block ×7, first 2 shown]
.LBB132_95:
	s_sendmsg sendmsg(MSG_DEALLOC_VGPRS)
	s_endpgm
.LBB132_96:
	ds_load_b32 v12, v10
	s_wait_dscnt 0x0
	v_add_f32_e32 v6, v6, v12
	s_or_b32 exec_lo, exec_lo, s0
	s_and_saveexec_b32 s0, vcc_lo
	s_cbranch_execz .LBB132_72
.LBB132_97:
	ds_load_b32 v12, v10 offset:64
	s_wait_dscnt 0x0
	v_add_f32_e32 v7, v7, v12
	s_or_b32 exec_lo, exec_lo, s0
	s_and_saveexec_b32 s0, vcc_lo
	s_cbranch_execz .LBB132_73
.LBB132_98:
	ds_load_b32 v12, v10 offset:128
	s_wait_dscnt 0x0
	v_add_f32_e32 v4, v4, v12
	s_or_b32 exec_lo, exec_lo, s0
	s_and_saveexec_b32 s0, vcc_lo
	s_cbranch_execz .LBB132_74
.LBB132_99:
	ds_load_b32 v12, v10 offset:192
	s_wait_dscnt 0x0
	v_add_f32_e32 v5, v5, v12
	s_or_b32 exec_lo, exec_lo, s0
	s_and_saveexec_b32 s0, vcc_lo
	s_cbranch_execz .LBB132_75
.LBB132_100:
	ds_load_b32 v12, v10 offset:256
	s_wait_dscnt 0x0
	v_add_f32_e32 v2, v2, v12
	s_or_b32 exec_lo, exec_lo, s0
	s_and_saveexec_b32 s0, vcc_lo
	s_cbranch_execz .LBB132_76
.LBB132_101:
	ds_load_b32 v12, v10 offset:320
	s_wait_dscnt 0x0
	v_add_f32_e32 v3, v3, v12
	s_or_b32 exec_lo, exec_lo, s0
	s_and_saveexec_b32 s0, vcc_lo
	s_cbranch_execz .LBB132_77
.LBB132_102:
	ds_load_b32 v12, v10 offset:384
	s_wait_dscnt 0x0
	v_add_f32_e32 v8, v8, v12
	s_or_b32 exec_lo, exec_lo, s0
	s_and_saveexec_b32 s0, vcc_lo
	s_cbranch_execnz .LBB132_78
	s_branch .LBB132_79
.LBB132_103:
	ds_load_b32 v11, v10
	s_wait_dscnt 0x0
	v_add_f32_e32 v6, v6, v11
	s_or_b32 exec_lo, exec_lo, s1
	s_and_saveexec_b32 s1, vcc_lo
	s_cbranch_execz .LBB132_85
.LBB132_104:
	ds_load_b32 v11, v10 offset:64
	s_wait_dscnt 0x0
	v_add_f32_e32 v7, v7, v11
	s_or_b32 exec_lo, exec_lo, s1
	s_and_saveexec_b32 s1, vcc_lo
	s_cbranch_execz .LBB132_86
.LBB132_105:
	ds_load_b32 v11, v10 offset:128
	s_wait_dscnt 0x0
	v_add_f32_e32 v4, v4, v11
	s_or_b32 exec_lo, exec_lo, s1
	s_and_saveexec_b32 s1, vcc_lo
	s_cbranch_execz .LBB132_87
.LBB132_106:
	ds_load_b32 v11, v10 offset:192
	s_wait_dscnt 0x0
	v_add_f32_e32 v5, v5, v11
	s_or_b32 exec_lo, exec_lo, s1
	s_and_saveexec_b32 s1, vcc_lo
	s_cbranch_execz .LBB132_88
.LBB132_107:
	ds_load_b32 v11, v10 offset:256
	s_wait_dscnt 0x0
	v_add_f32_e32 v2, v2, v11
	s_or_b32 exec_lo, exec_lo, s1
	s_and_saveexec_b32 s1, vcc_lo
	s_cbranch_execz .LBB132_89
.LBB132_108:
	ds_load_b32 v11, v10 offset:320
	s_wait_dscnt 0x0
	v_add_f32_e32 v3, v3, v11
	s_or_b32 exec_lo, exec_lo, s1
	s_and_saveexec_b32 s1, vcc_lo
	s_cbranch_execz .LBB132_90
.LBB132_109:
	ds_load_b32 v11, v10 offset:384
	s_wait_dscnt 0x0
	v_add_f32_e32 v8, v8, v11
	s_or_b32 exec_lo, exec_lo, s1
	s_and_saveexec_b32 s1, vcc_lo
	s_cbranch_execnz .LBB132_91
	s_branch .LBB132_92
	.section	.rodata,"a",@progbits
	.p2align	6, 0x0
	.amdhsa_kernel _ZN4vllm25paged_attention_v1_kernelI14__hip_bfloat16S1_Li128ELi16ELi128ELNS_18Fp8KVCacheDataTypeE0ELb1EEEvPT_PKS3_PKT0_S9_ifPKiSB_iPKfiiiSD_SD_iiiii
		.amdhsa_group_segment_fixed_size 288
		.amdhsa_private_segment_fixed_size 0
		.amdhsa_kernarg_size 384
		.amdhsa_user_sgpr_count 2
		.amdhsa_user_sgpr_dispatch_ptr 0
		.amdhsa_user_sgpr_queue_ptr 0
		.amdhsa_user_sgpr_kernarg_segment_ptr 1
		.amdhsa_user_sgpr_dispatch_id 0
		.amdhsa_user_sgpr_kernarg_preload_length 0
		.amdhsa_user_sgpr_kernarg_preload_offset 0
		.amdhsa_user_sgpr_private_segment_size 0
		.amdhsa_wavefront_size32 1
		.amdhsa_uses_dynamic_stack 0
		.amdhsa_enable_private_segment 0
		.amdhsa_system_sgpr_workgroup_id_x 1
		.amdhsa_system_sgpr_workgroup_id_y 1
		.amdhsa_system_sgpr_workgroup_id_z 1
		.amdhsa_system_sgpr_workgroup_info 0
		.amdhsa_system_vgpr_workitem_id 0
		.amdhsa_next_free_vgpr 74
		.amdhsa_next_free_sgpr 42
		.amdhsa_named_barrier_count 0
		.amdhsa_reserve_vcc 1
		.amdhsa_float_round_mode_32 0
		.amdhsa_float_round_mode_16_64 0
		.amdhsa_float_denorm_mode_32 3
		.amdhsa_float_denorm_mode_16_64 3
		.amdhsa_fp16_overflow 0
		.amdhsa_memory_ordered 1
		.amdhsa_forward_progress 1
		.amdhsa_inst_pref_size 72
		.amdhsa_round_robin_scheduling 0
		.amdhsa_exception_fp_ieee_invalid_op 0
		.amdhsa_exception_fp_denorm_src 0
		.amdhsa_exception_fp_ieee_div_zero 0
		.amdhsa_exception_fp_ieee_overflow 0
		.amdhsa_exception_fp_ieee_underflow 0
		.amdhsa_exception_fp_ieee_inexact 0
		.amdhsa_exception_int_div_zero 0
	.end_amdhsa_kernel
	.section	.text._ZN4vllm25paged_attention_v1_kernelI14__hip_bfloat16S1_Li128ELi16ELi128ELNS_18Fp8KVCacheDataTypeE0ELb1EEEvPT_PKS3_PKT0_S9_ifPKiSB_iPKfiiiSD_SD_iiiii,"axG",@progbits,_ZN4vllm25paged_attention_v1_kernelI14__hip_bfloat16S1_Li128ELi16ELi128ELNS_18Fp8KVCacheDataTypeE0ELb1EEEvPT_PKS3_PKT0_S9_ifPKiSB_iPKfiiiSD_SD_iiiii,comdat
.Lfunc_end132:
	.size	_ZN4vllm25paged_attention_v1_kernelI14__hip_bfloat16S1_Li128ELi16ELi128ELNS_18Fp8KVCacheDataTypeE0ELb1EEEvPT_PKS3_PKT0_S9_ifPKiSB_iPKfiiiSD_SD_iiiii, .Lfunc_end132-_ZN4vllm25paged_attention_v1_kernelI14__hip_bfloat16S1_Li128ELi16ELi128ELNS_18Fp8KVCacheDataTypeE0ELb1EEEvPT_PKS3_PKT0_S9_ifPKiSB_iPKfiiiSD_SD_iiiii
                                        ; -- End function
	.set _ZN4vllm25paged_attention_v1_kernelI14__hip_bfloat16S1_Li128ELi16ELi128ELNS_18Fp8KVCacheDataTypeE0ELb1EEEvPT_PKS3_PKT0_S9_ifPKiSB_iPKfiiiSD_SD_iiiii.num_vgpr, 74
	.set _ZN4vllm25paged_attention_v1_kernelI14__hip_bfloat16S1_Li128ELi16ELi128ELNS_18Fp8KVCacheDataTypeE0ELb1EEEvPT_PKS3_PKT0_S9_ifPKiSB_iPKfiiiSD_SD_iiiii.num_agpr, 0
	.set _ZN4vllm25paged_attention_v1_kernelI14__hip_bfloat16S1_Li128ELi16ELi128ELNS_18Fp8KVCacheDataTypeE0ELb1EEEvPT_PKS3_PKT0_S9_ifPKiSB_iPKfiiiSD_SD_iiiii.numbered_sgpr, 42
	.set _ZN4vllm25paged_attention_v1_kernelI14__hip_bfloat16S1_Li128ELi16ELi128ELNS_18Fp8KVCacheDataTypeE0ELb1EEEvPT_PKS3_PKT0_S9_ifPKiSB_iPKfiiiSD_SD_iiiii.num_named_barrier, 0
	.set _ZN4vllm25paged_attention_v1_kernelI14__hip_bfloat16S1_Li128ELi16ELi128ELNS_18Fp8KVCacheDataTypeE0ELb1EEEvPT_PKS3_PKT0_S9_ifPKiSB_iPKfiiiSD_SD_iiiii.private_seg_size, 0
	.set _ZN4vllm25paged_attention_v1_kernelI14__hip_bfloat16S1_Li128ELi16ELi128ELNS_18Fp8KVCacheDataTypeE0ELb1EEEvPT_PKS3_PKT0_S9_ifPKiSB_iPKfiiiSD_SD_iiiii.uses_vcc, 1
	.set _ZN4vllm25paged_attention_v1_kernelI14__hip_bfloat16S1_Li128ELi16ELi128ELNS_18Fp8KVCacheDataTypeE0ELb1EEEvPT_PKS3_PKT0_S9_ifPKiSB_iPKfiiiSD_SD_iiiii.uses_flat_scratch, 0
	.set _ZN4vllm25paged_attention_v1_kernelI14__hip_bfloat16S1_Li128ELi16ELi128ELNS_18Fp8KVCacheDataTypeE0ELb1EEEvPT_PKS3_PKT0_S9_ifPKiSB_iPKfiiiSD_SD_iiiii.has_dyn_sized_stack, 0
	.set _ZN4vllm25paged_attention_v1_kernelI14__hip_bfloat16S1_Li128ELi16ELi128ELNS_18Fp8KVCacheDataTypeE0ELb1EEEvPT_PKS3_PKT0_S9_ifPKiSB_iPKfiiiSD_SD_iiiii.has_recursion, 0
	.set _ZN4vllm25paged_attention_v1_kernelI14__hip_bfloat16S1_Li128ELi16ELi128ELNS_18Fp8KVCacheDataTypeE0ELb1EEEvPT_PKS3_PKT0_S9_ifPKiSB_iPKfiiiSD_SD_iiiii.has_indirect_call, 0
	.section	.AMDGPU.csdata,"",@progbits
; Kernel info:
; codeLenInByte = 9188
; TotalNumSgprs: 44
; NumVgprs: 74
; ScratchSize: 0
; MemoryBound: 0
; FloatMode: 240
; IeeeMode: 1
; LDSByteSize: 288 bytes/workgroup (compile time only)
; SGPRBlocks: 0
; VGPRBlocks: 4
; NumSGPRsForWavesPerEU: 44
; NumVGPRsForWavesPerEU: 74
; NamedBarCnt: 0
; Occupancy: 12
; WaveLimiterHint : 1
; COMPUTE_PGM_RSRC2:SCRATCH_EN: 0
; COMPUTE_PGM_RSRC2:USER_SGPR: 2
; COMPUTE_PGM_RSRC2:TRAP_HANDLER: 0
; COMPUTE_PGM_RSRC2:TGID_X_EN: 1
; COMPUTE_PGM_RSRC2:TGID_Y_EN: 1
; COMPUTE_PGM_RSRC2:TGID_Z_EN: 1
; COMPUTE_PGM_RSRC2:TIDIG_COMP_CNT: 0
	.section	.text._ZN4vllm25paged_attention_v1_kernelI14__hip_bfloat16S1_Li192ELi16ELi128ELNS_18Fp8KVCacheDataTypeE0ELb1EEEvPT_PKS3_PKT0_S9_ifPKiSB_iPKfiiiSD_SD_iiiii,"axG",@progbits,_ZN4vllm25paged_attention_v1_kernelI14__hip_bfloat16S1_Li192ELi16ELi128ELNS_18Fp8KVCacheDataTypeE0ELb1EEEvPT_PKS3_PKT0_S9_ifPKiSB_iPKfiiiSD_SD_iiiii,comdat
	.protected	_ZN4vllm25paged_attention_v1_kernelI14__hip_bfloat16S1_Li192ELi16ELi128ELNS_18Fp8KVCacheDataTypeE0ELb1EEEvPT_PKS3_PKT0_S9_ifPKiSB_iPKfiiiSD_SD_iiiii ; -- Begin function _ZN4vllm25paged_attention_v1_kernelI14__hip_bfloat16S1_Li192ELi16ELi128ELNS_18Fp8KVCacheDataTypeE0ELb1EEEvPT_PKS3_PKT0_S9_ifPKiSB_iPKfiiiSD_SD_iiiii
	.globl	_ZN4vllm25paged_attention_v1_kernelI14__hip_bfloat16S1_Li192ELi16ELi128ELNS_18Fp8KVCacheDataTypeE0ELb1EEEvPT_PKS3_PKT0_S9_ifPKiSB_iPKfiiiSD_SD_iiiii
	.p2align	8
	.type	_ZN4vllm25paged_attention_v1_kernelI14__hip_bfloat16S1_Li192ELi16ELi128ELNS_18Fp8KVCacheDataTypeE0ELb1EEEvPT_PKS3_PKT0_S9_ifPKiSB_iPKfiiiSD_SD_iiiii,@function
_ZN4vllm25paged_attention_v1_kernelI14__hip_bfloat16S1_Li192ELi16ELi128ELNS_18Fp8KVCacheDataTypeE0ELb1EEEvPT_PKS3_PKT0_S9_ifPKiSB_iPKfiiiSD_SD_iiiii: ; @_ZN4vllm25paged_attention_v1_kernelI14__hip_bfloat16S1_Li192ELi16ELi128ELNS_18Fp8KVCacheDataTypeE0ELb1EEEvPT_PKS3_PKT0_S9_ifPKiSB_iPKfiiiSD_SD_iiiii
; %bb.0:
	s_load_b64 s[24:25], s[0:1], 0x20
	s_bfe_u32 s3, ttmp6, 0x4000c
	s_bfe_u32 s4, ttmp6, 0x40010
	s_and_b32 s6, ttmp7, 0xffff
	s_add_co_i32 s3, s3, 1
	s_add_co_i32 s4, s4, 1
	s_and_b32 s2, ttmp6, 15
	s_bfe_u32 s5, ttmp6, 0x40004
	s_mul_i32 s3, ttmp9, s3
	s_mul_i32 s4, s6, s4
	s_getreg_b32 s28, hwreg(HW_REG_IB_STS2, 6, 4)
	s_add_co_i32 s2, s2, s3
	s_add_co_i32 s3, s5, s4
	s_cmp_eq_u32 s28, 0
	s_clause 0x1
	s_load_b32 s29, s[0:1], 0x80
	s_load_b64 s[4:5], s[0:1], 0x30
	s_cselect_b32 s30, s6, s3
	s_cselect_b32 s2, ttmp9, s2
	s_mov_b32 s17, 0
	s_delay_alu instid0(SALU_CYCLE_1) | instskip(SKIP_2) | instid1(SALU_CYCLE_1)
	s_mov_b32 s35, s17
	s_wait_kmcnt 0x0
	s_abs_i32 s3, s24
	s_cvt_f32_u32 s6, s3
	s_sub_co_i32 s7, 0, s3
	s_delay_alu instid0(SALU_CYCLE_2) | instskip(SKIP_2) | instid1(TRANS32_DEP_1)
	v_rcp_iflag_f32_e32 v1, s6
	s_abs_i32 s8, s29
	v_nop
	v_readfirstlane_b32 s6, v1
	s_mul_f32 s6, s6, 0x4f7ffffe
	s_delay_alu instid0(SALU_CYCLE_3) | instskip(NEXT) | instid1(SALU_CYCLE_3)
	s_cvt_u32_f32 s6, s6
	s_mul_i32 s7, s7, s6
	s_delay_alu instid0(SALU_CYCLE_1) | instskip(NEXT) | instid1(SALU_CYCLE_1)
	s_mul_hi_u32 s7, s6, s7
	s_add_co_i32 s6, s6, s7
	s_xor_b32 s7, s29, s24
	s_mul_hi_u32 s6, s8, s6
	s_ashr_i32 s7, s7, 31
	s_mul_i32 s9, s6, s3
	s_delay_alu instid0(SALU_CYCLE_1)
	s_sub_co_i32 s8, s8, s9
	s_add_co_i32 s9, s6, 1
	s_sub_co_i32 s10, s8, s3
	s_cmp_ge_u32 s8, s3
	s_cselect_b32 s6, s9, s6
	s_cselect_b32 s8, s10, s8
	s_add_co_i32 s9, s6, 1
	s_cmp_ge_u32 s8, s3
	s_cselect_b32 s3, s9, s6
	s_load_b64 s[8:9], s[0:1], 0x40
	s_xor_b32 s3, s3, s7
	s_abs_i32 s16, s2
	s_sub_co_i32 s10, s3, s7
	s_mov_b32 s7, s17
	s_abs_i32 s15, s10
	s_delay_alu instid0(SALU_CYCLE_1) | instskip(SKIP_1) | instid1(SALU_CYCLE_2)
	s_cvt_f32_u32 s3, s15
	s_sub_co_i32 s6, 0, s15
	v_rcp_iflag_f32_e32 v1, s3
	v_nop
	s_delay_alu instid0(TRANS32_DEP_1) | instskip(SKIP_1) | instid1(SALU_CYCLE_3)
	v_readfirstlane_b32 s3, v1
	s_mul_f32 s3, s3, 0x4f7ffffe
	s_cvt_u32_f32 s3, s3
	s_delay_alu instid0(SALU_CYCLE_3) | instskip(NEXT) | instid1(SALU_CYCLE_1)
	s_mul_i32 s6, s6, s3
	s_mul_hi_u32 s6, s3, s6
	s_delay_alu instid0(SALU_CYCLE_1)
	s_add_co_i32 s6, s3, s6
	s_wait_kmcnt 0x0
	s_cmp_eq_u64 s[8:9], 0
	s_cbranch_scc1 .LBB133_2
; %bb.1:
	s_ashr_i32 s3, s2, 31
	s_delay_alu instid0(SALU_CYCLE_1) | instskip(NEXT) | instid1(SALU_CYCLE_1)
	s_lshl_b64 s[12:13], s[2:3], 2
	s_add_nc_u64 s[8:9], s[8:9], s[12:13]
	s_load_b32 s35, s[8:9], 0x0
.LBB133_2:
	s_load_b32 s31, s[4:5], s30 offset:0x0 scale_offset
	s_load_b96 s[12:14], s[0:1], 0x48
	v_dual_lshrrev_b32 v1, 1, v0 :: v_dual_bitop2_b32 v76, 1, v0 bitop3:0x40
	s_wait_xcnt 0x0
	s_mul_u64 s[4:5], s[16:17], s[6:7]
	s_ashr_i32 s3, s2, 31
	s_ashr_i32 s18, s10, 31
	s_mul_i32 s6, s2, 0xc0
	s_mov_b32 s4, exec_lo
	v_cmpx_gt_u32_e32 48, v0
	s_cbranch_execz .LBB133_4
; %bb.3:
	s_load_b64 s[8:9], s[0:1], 0x8
	s_wait_kmcnt 0x0
	s_mul_i32 s10, s12, s30
	s_ashr_i32 s7, s6, 31
	s_ashr_i32 s11, s10, 31
	v_lshlrev_b32_e32 v4, 3, v1
	s_lshl_b64 s[10:11], s[10:11], 1
	s_delay_alu instid0(VALU_DEP_1) | instskip(SKIP_2) | instid1(SALU_CYCLE_1)
	v_mad_u32_u24 v4, 0xc0, v76, v4
	s_add_nc_u64 s[8:9], s[8:9], s[10:11]
	s_lshl_b64 s[10:11], s[6:7], 1
	s_add_nc_u64 s[8:9], s[8:9], s[10:11]
	global_load_b64 v[2:3], v0, s[8:9] scale_offset
	s_wait_loadcnt 0x0
	ds_store_b64 v4, v[2:3]
.LBB133_4:
	s_or_b32 exec_lo, exec_lo, s4
	s_load_b128 s[8:11], s[0:1], 0x68
	s_mul_i32 s4, s5, s15
	s_xor_b32 s3, s3, s18
	s_sub_co_i32 s4, s16, s4
	s_add_co_i32 s7, s5, 1
	s_wait_kmcnt 0x0
	s_sub_co_i32 s12, s4, s15
	s_cmp_ge_u32 s4, s15
	s_mov_b32 s18, -1
	s_cselect_b32 s5, s7, s5
	s_cselect_b32 s4, s12, s4
	s_add_co_i32 s12, s5, 1
	s_cmp_ge_u32 s4, s15
	s_load_b32 s7, s[0:1], 0x78
	s_cselect_b32 s4, s12, s5
	s_add_co_i32 s15, s31, -1
	s_xor_b32 s4, s4, s3
	s_wait_dscnt 0x0
	s_sub_co_i32 s3, s4, s3
	s_barrier_signal -1
	s_barrier_wait -1
	s_abs_i32 s12, s11
	s_delay_alu instid0(SALU_CYCLE_1) | instskip(NEXT) | instid1(SALU_CYCLE_3)
	s_cvt_f32_u32 s5, s12
                                        ; implicit-def: $sgpr33
	v_rcp_iflag_f32_e32 v2, s5
	v_nop
	s_delay_alu instid0(TRANS32_DEP_1) | instskip(SKIP_1) | instid1(SALU_CYCLE_3)
	v_readfirstlane_b32 s5, v2
	s_mul_f32 s4, s5, 0x4f7ffffe
	s_cvt_u32_f32 s16, s4
	s_sub_co_i32 s4, 0, s12
	s_delay_alu instid0(SALU_CYCLE_2)
	s_mul_i32 s5, s4, s16
	s_abs_i32 s4, s15
	s_mul_hi_u32 s17, s16, s5
	s_mov_b32 s5, 0
	s_add_co_i32 s16, s16, s17
	s_wait_kmcnt 0x0
	s_cmp_lt_i32 s7, 0
	s_mov_b32 s17, s5
	s_cbranch_scc0 .LBB133_6
; %bb.5:
	s_mul_i32 s18, s8, s24
	s_delay_alu instid0(SALU_CYCLE_1) | instskip(NEXT) | instid1(SALU_CYCLE_1)
	s_add_co_i32 s18, s3, s18
	s_mul_i32 s18, s18, s7
	s_delay_alu instid0(SALU_CYCLE_1)
	s_sub_co_i32 s33, 1, s18
	s_mov_b32 s18, s5
.LBB133_6:
	s_ashr_i32 s15, s15, 31
	s_ashr_i32 s24, s11, 31
	s_and_not1_b32 vcc_lo, exec_lo, s18
	s_mul_u64 s[22:23], s[4:5], s[16:17]
	s_cbranch_vccnz .LBB133_8
; %bb.7:
	s_mul_i32 s5, s29, s8
	s_delay_alu instid0(SALU_CYCLE_1) | instskip(NEXT) | instid1(SALU_CYCLE_1)
	s_add_co_i32 s2, s5, s2
	s_mul_i32 s2, s2, s7
	s_delay_alu instid0(SALU_CYCLE_1)
	s_add_co_i32 s33, s2, 1
.LBB133_8:
	s_load_b32 s2, s[0:1], 0x38
	s_mul_i32 s7, s23, s12
	s_xor_b32 s5, s15, s24
	s_sub_co_i32 s4, s4, s7
	s_add_co_i32 s8, s23, 1
	s_clause 0x1
	s_load_b64 s[18:19], s[0:1], 0x28
	s_load_b32 s7, s[0:1], 0x88
	v_dual_lshrrev_b32 v77, 5, v0 :: v_dual_lshlrev_b32 v41, 3, v0
	v_dual_mov_b32 v45, 0xff7fffff :: v_dual_lshrrev_b32 v40, 3, v0
	v_mbcnt_lo_u32_b32 v42, -1, 0
	s_delay_alu instid0(VALU_DEP_3)
	v_lshlrev_b32_e32 v58, 4, v77
	s_mul_i32 s22, s3, s14
	s_wait_kmcnt 0x0
	s_mul_i32 s20, s2, s30
	s_sub_co_i32 s2, s4, s12
	s_ashr_i32 s21, s20, 31
	s_cmp_ge_u32 s4, s12
	s_cselect_b32 s8, s8, s23
	s_cselect_b32 s2, s2, s4
	s_add_co_i32 s4, s8, 1
	s_cmp_ge_u32 s2, s12
	s_cselect_b32 s2, s4, s8
	s_add_co_i32 s4, s31, 15
	s_delay_alu instid0(SALU_CYCLE_1) | instskip(NEXT) | instid1(SALU_CYCLE_1)
	s_ashr_i32 s8, s4, 31
	s_lshr_b32 s8, s8, 28
	s_delay_alu instid0(SALU_CYCLE_1) | instskip(NEXT) | instid1(SALU_CYCLE_1)
	s_add_co_i32 s4, s4, s8
	s_ashr_i32 s34, s4, 4
	s_xor_b32 s4, s2, s5
	v_cmp_gt_i32_e64 s2, s34, v77
	s_sub_co_i32 s8, s4, s5
	s_and_saveexec_b32 s11, s2
	s_cbranch_execz .LBB133_20
; %bb.9:
	s_load_b64 s[4:5], s[0:1], 0x10
	s_ashr_i32 s23, s22, 31
	s_sub_co_i32 s36, s8, s9
	s_ashr_i32 s15, s13, 31
	s_lshl_b64 s[38:39], s[22:23], 1
	s_cmp_neq_f32 s35, 0
	v_bfe_u32 v43, v0, 1, 4
	v_mov_b32_e32 v3, 0
	v_mul_u32_u24_e32 v44, 0xc0, v76
	s_cselect_b32 vcc_lo, -1, 0
	s_abs_i32 s23, s10
	v_lshlrev_b32_e32 v2, 4, v43
	s_cvt_f32_u32 s3, s23
	v_lshlrev_b32_e32 v7, 2, v43
	v_subrev_nc_u32_e32 v6, s31, v43
	s_sub_co_i32 s26, 0, s23
	v_rcp_iflag_f32_e32 v4, s3
	v_cmp_eq_u32_e64 s3, 0, v76
	v_dual_mov_b32 v48, 0xff7fffff :: v_dual_mov_b32 v45, 0xff7fffff
	s_wait_kmcnt 0x0
	s_add_nc_u64 s[4:5], s[4:5], s[38:39]
	v_add_nc_u32_e32 v46, 1, v6
	v_xor_b32_e32 v49, 1, v42
	v_readfirstlane_b32 s14, v4
	v_add_nc_u64_e32 v[4:5], s[4:5], v[2:3]
	v_and_b32_e32 v2, 8, v41
	v_lshl_or_b32 v7, v77, 6, v7
	s_lshl_b64 s[4:5], s[20:21], 2
	s_mul_f32 s14, s14, 0x4f7ffffe
	s_add_nc_u64 s[4:5], s[18:19], s[4:5]
	s_delay_alu instid0(VALU_DEP_1)
	v_dual_mov_b32 v50, v77 :: v_dual_add_nc_u32 v47, 0x1a0, v7
	v_add_nc_u64_e32 v[4:5], v[4:5], v[2:3]
	v_and_b32_e32 v2, 0x7c, v40
	s_cvt_u32_f32 s37, s14
	s_mov_b32 s27, 0
	s_mov_b32 s14, s13
	s_delay_alu instid0(VALU_DEP_1) | instskip(SKIP_3) | instid1(SALU_CYCLE_1)
	v_add_nc_u64_e32 v[6:7], s[4:5], v[2:3]
	s_mul_i32 s26, s26, s37
	v_lshlrev_b32_e32 v2, 4, v77
	s_mul_hi_u32 s4, s37, s26
	s_add_co_i32 s26, s37, s4
	s_mov_b32 s37, s27
	s_branch .LBB133_12
.LBB133_10:                             ;   in Loop: Header=BB133_12 Depth=1
	s_or_b32 exec_lo, exec_lo, s38
.LBB133_11:                             ;   in Loop: Header=BB133_12 Depth=1
	s_delay_alu instid0(SALU_CYCLE_1) | instskip(SKIP_4) | instid1(VALU_DEP_4)
	s_or_b32 exec_lo, exec_lo, s5
	v_add_nc_u32_e32 v50, 4, v50
	v_add_nc_u64_e32 v[6:7], 16, v[6:7]
	v_add_nc_u32_e32 v2, 64, v2
	v_add_nc_u32_e32 v47, 0x100, v47
	v_cmp_le_i32_e64 s4, s34, v50
	s_or_b32 s37, s4, s37
	s_delay_alu instid0(SALU_CYCLE_1)
	s_and_not1_b32 exec_lo, exec_lo, s37
	s_cbranch_execz .LBB133_19
.LBB133_12:                             ; =>This Inner Loop Header: Depth=1
	s_wait_dscnt 0x0
	v_mul_u64_e32 v[8:9], s[16:17], v[2:3]
	s_delay_alu instid0(VALU_DEP_1) | instskip(NEXT) | instid1(VALU_DEP_1)
	v_mul_lo_u32 v8, v9, s12
	v_dual_add_nc_u32 v10, 1, v9 :: v_dual_sub_nc_u32 v8, v2, v8
	s_delay_alu instid0(VALU_DEP_1) | instskip(SKIP_1) | instid1(VALU_DEP_1)
	v_subrev_nc_u32_e32 v11, s12, v8
	v_cmp_le_u32_e64 s4, s12, v8
	v_dual_cndmask_b32 v9, v9, v10, s4 :: v_dual_cndmask_b32 v8, v8, v11, s4
	s_delay_alu instid0(VALU_DEP_1) | instskip(NEXT) | instid1(VALU_DEP_2)
	v_add_nc_u32_e32 v10, 1, v9
	v_cmp_le_u32_e64 s4, s12, v8
	s_delay_alu instid0(VALU_DEP_1) | instskip(NEXT) | instid1(VALU_DEP_1)
	v_dual_cndmask_b32 v8, v9, v10, s4 :: v_dual_mov_b32 v9, v3
	v_xor_b32_e32 v8, s24, v8
	s_delay_alu instid0(VALU_DEP_1) | instskip(NEXT) | instid1(VALU_DEP_1)
	v_subrev_nc_u32_e32 v12, s24, v8
	v_add_nc_u32_e32 v13, s33, v12
	v_cmp_ge_i32_e64 s5, s36, v12
	s_delay_alu instid0(VALU_DEP_2) | instskip(NEXT) | instid1(VALU_DEP_1)
	v_sub_nc_u32_e32 v8, 0, v13
	v_max_i32_e32 v8, v13, v8
	s_delay_alu instid0(VALU_DEP_1) | instskip(SKIP_1) | instid1(VALU_DEP_2)
	v_mul_u64_e32 v[10:11], s[26:27], v[8:9]
	v_ashrrev_i32_e32 v10, 31, v13
	v_mul_lo_u32 v9, v11, s23
	s_delay_alu instid0(VALU_DEP_1) | instskip(NEXT) | instid1(VALU_DEP_1)
	v_sub_nc_u32_e32 v8, v8, v9
	v_subrev_nc_u32_e32 v9, s23, v8
	v_cmp_le_u32_e64 s4, s23, v8
	s_delay_alu instid0(VALU_DEP_1) | instskip(NEXT) | instid1(VALU_DEP_1)
	v_cndmask_b32_e64 v8, v8, v9, s4
	v_subrev_nc_u32_e32 v9, s23, v8
	v_cmp_le_u32_e64 s4, s23, v8
	s_delay_alu instid0(VALU_DEP_1) | instskip(NEXT) | instid1(VALU_DEP_1)
	v_cndmask_b32_e64 v8, v8, v9, s4
	v_xor_b32_e32 v8, v8, v10
	s_delay_alu instid0(VALU_DEP_1) | instskip(NEXT) | instid1(VALU_DEP_1)
	v_sub_nc_u32_e32 v8, v8, v10
	v_cmp_ne_u32_e64 s4, 0, v8
	s_and_b32 s4, s4, s5
	s_delay_alu instid0(SALU_CYCLE_1) | instskip(NEXT) | instid1(SALU_CYCLE_1)
	s_and_saveexec_b32 s5, s4
	s_xor_b32 s4, exec_lo, s5
	s_cbranch_execz .LBB133_16
; %bb.13:                               ;   in Loop: Header=BB133_12 Depth=1
	s_and_saveexec_b32 s5, s3
; %bb.14:                               ;   in Loop: Header=BB133_12 Depth=1
	ds_store_b32 v47, v48
; %bb.15:                               ;   in Loop: Header=BB133_12 Depth=1
	s_or_b32 exec_lo, exec_lo, s5
.LBB133_16:                             ;   in Loop: Header=BB133_12 Depth=1
	s_and_not1_saveexec_b32 s5, s4
	s_cbranch_execz .LBB133_11
; %bb.17:                               ;   in Loop: Header=BB133_12 Depth=1
	global_load_b32 v8, v[6:7], off
	v_cmp_gt_i32_e64 s4, 32, v49
	s_wait_loadcnt 0x0
	v_ashrrev_i32_e32 v9, 31, v8
	s_delay_alu instid0(VALU_DEP_1) | instskip(NEXT) | instid1(VALU_DEP_1)
	v_mul_u64_e32 v[8:9], s[14:15], v[8:9]
	v_lshl_add_u64 v[10:11], v[8:9], 1, v[4:5]
	s_clause 0x17
	global_load_b64 v[56:57], v[10:11], off offset:256
	global_load_b64 v[72:73], v[10:11], off offset:512
	;; [unrolled: 1-line block ×3, first 2 shown]
	global_load_b64 v[68:69], v[10:11], off
	global_load_b64 v[78:79], v[10:11], off offset:1024
	global_load_b64 v[80:81], v[10:11], off offset:1280
	;; [unrolled: 1-line block ×20, first 2 shown]
	ds_load_b128 v[52:55], v44
	ds_load_b128 v[60:63], v44 offset:16
	ds_load_b128 v[64:67], v44 offset:32
	s_wait_dscnt 0x2
	v_lshlrev_b32_e32 v51, 16, v54
	v_and_b32_e32 v54, 0xffff0000, v54
	s_wait_loadcnt 0x17
	v_dual_lshlrev_b32 v70, 16, v55 :: v_dual_lshlrev_b32 v59, 16, v56
	v_and_b32_e32 v56, 0xffff0000, v56
	v_lshlrev_b32_e32 v71, 16, v57
	v_and_b32_e32 v86, 0xffff0000, v57
	s_delay_alu instid0(VALU_DEP_4)
	v_mul_f32_e32 v51, v51, v59
	v_and_b32_e32 v59, 0xffff0000, v55
	v_mul_f32_e32 v54, v54, v56
	v_mul_f32_e32 v70, v70, v71
	s_wait_loadcnt 0x14
	v_fma_mix_f32_bf16 v51, v52, v68, v51 op_sel_hi:[1,1,0]
	v_mul_f32_e32 v59, v59, v86
	v_fma_mix_f32_bf16 v52, v52, v68, v54 op_sel:[1,1,0] op_sel_hi:[1,1,0]
	ds_load_b128 v[54:57], v44 offset:48
	v_fma_mix_f32_bf16 v68, v53, v69, v70 op_sel_hi:[1,1,0]
	s_wait_dscnt 0x2
	v_fma_mix_f32_bf16 v51, v60, v72, v51 op_sel_hi:[1,1,0]
	v_fma_mix_f32_bf16 v53, v53, v69, v59 op_sel:[1,1,0] op_sel_hi:[1,1,0]
	v_fma_mix_f32_bf16 v52, v60, v72, v52 op_sel:[1,1,0] op_sel_hi:[1,1,0]
	v_fma_mix_f32_bf16 v59, v61, v73, v68 op_sel_hi:[1,1,0]
	s_delay_alu instid0(VALU_DEP_4)
	v_fma_mix_f32_bf16 v51, v62, v74, v51 op_sel_hi:[1,1,0]
	ds_load_b128 v[68:71], v44 offset:64
	v_fma_mix_f32_bf16 v52, v62, v74, v52 op_sel:[1,1,0] op_sel_hi:[1,1,0]
	v_fma_mix_f32_bf16 v53, v61, v73, v53 op_sel:[1,1,0] op_sel_hi:[1,1,0]
	v_fma_mix_f32_bf16 v59, v63, v75, v59 op_sel_hi:[1,1,0]
	s_wait_loadcnt_dscnt 0x1302
	v_fma_mix_f32_bf16 v51, v64, v78, v51 op_sel_hi:[1,1,0]
	v_fma_mix_f32_bf16 v52, v64, v78, v52 op_sel:[1,1,0] op_sel_hi:[1,1,0]
	v_fma_mix_f32_bf16 v53, v63, v75, v53 op_sel:[1,1,0] op_sel_hi:[1,1,0]
	v_fma_mix_f32_bf16 v59, v65, v79, v59 op_sel_hi:[1,1,0]
	s_wait_loadcnt 0x12
	v_fma_mix_f32_bf16 v51, v66, v80, v51 op_sel_hi:[1,1,0]
	ds_load_b128 v[60:63], v44 offset:80
	v_fma_mix_f32_bf16 v52, v66, v80, v52 op_sel:[1,1,0] op_sel_hi:[1,1,0]
	v_fma_mix_f32_bf16 v53, v65, v79, v53 op_sel:[1,1,0] op_sel_hi:[1,1,0]
	v_fma_mix_f32_bf16 v59, v67, v81, v59 op_sel_hi:[1,1,0]
	s_wait_loadcnt_dscnt 0x1102
	v_fma_mix_f32_bf16 v51, v54, v82, v51 op_sel_hi:[1,1,0]
	v_fma_mix_f32_bf16 v52, v54, v82, v52 op_sel:[1,1,0] op_sel_hi:[1,1,0]
	v_fma_mix_f32_bf16 v53, v67, v81, v53 op_sel:[1,1,0] op_sel_hi:[1,1,0]
	v_fma_mix_f32_bf16 v54, v55, v83, v59 op_sel_hi:[1,1,0]
	s_wait_loadcnt 0x10
	v_fma_mix_f32_bf16 v51, v56, v84, v51 op_sel_hi:[1,1,0]
	ds_load_b128 v[64:67], v44 offset:96
	v_fma_mix_f32_bf16 v52, v56, v84, v52 op_sel:[1,1,0] op_sel_hi:[1,1,0]
	v_fma_mix_f32_bf16 v53, v55, v83, v53 op_sel:[1,1,0] op_sel_hi:[1,1,0]
	v_fma_mix_f32_bf16 v54, v57, v85, v54 op_sel_hi:[1,1,0]
	s_wait_loadcnt_dscnt 0xf02
	v_fma_mix_f32_bf16 v51, v68, v38, v51 op_sel_hi:[1,1,0]
	v_fma_mix_f32_bf16 v38, v68, v38, v52 op_sel:[1,1,0] op_sel_hi:[1,1,0]
	v_fma_mix_f32_bf16 v56, v57, v85, v53 op_sel:[1,1,0] op_sel_hi:[1,1,0]
	v_fma_mix_f32_bf16 v57, v69, v39, v54 op_sel_hi:[1,1,0]
	s_wait_loadcnt 0xe
	v_fma_mix_f32_bf16 v51, v70, v36, v51 op_sel_hi:[1,1,0]
	ds_load_b128 v[52:55], v44 offset:112
	v_fma_mix_f32_bf16 v36, v70, v36, v38 op_sel:[1,1,0] op_sel_hi:[1,1,0]
	v_fma_mix_f32_bf16 v38, v69, v39, v56 op_sel:[1,1,0] op_sel_hi:[1,1,0]
	v_fma_mix_f32_bf16 v39, v71, v37, v57 op_sel_hi:[1,1,0]
	s_wait_loadcnt_dscnt 0xd02
	v_fma_mix_f32_bf16 v51, v60, v34, v51 op_sel_hi:[1,1,0]
	v_fma_mix_f32_bf16 v34, v60, v34, v36 op_sel:[1,1,0] op_sel_hi:[1,1,0]
	v_fma_mix_f32_bf16 v56, v71, v37, v38 op_sel:[1,1,0] op_sel_hi:[1,1,0]
	v_fma_mix_f32_bf16 v57, v61, v35, v39 op_sel_hi:[1,1,0]
	s_wait_loadcnt 0xc
	v_fma_mix_f32_bf16 v51, v62, v32, v51 op_sel_hi:[1,1,0]
	ds_load_b128 v[36:39], v44 offset:128
	v_fma_mix_f32_bf16 v32, v62, v32, v34 op_sel:[1,1,0] op_sel_hi:[1,1,0]
	v_fma_mix_f32_bf16 v34, v61, v35, v56 op_sel:[1,1,0] op_sel_hi:[1,1,0]
	v_fma_mix_f32_bf16 v35, v63, v33, v57 op_sel_hi:[1,1,0]
	s_wait_loadcnt_dscnt 0xb02
	v_fma_mix_f32_bf16 v51, v64, v30, v51 op_sel_hi:[1,1,0]
	v_fma_mix_f32_bf16 v30, v64, v30, v32 op_sel:[1,1,0] op_sel_hi:[1,1,0]
	v_fma_mix_f32_bf16 v56, v63, v33, v34 op_sel:[1,1,0] op_sel_hi:[1,1,0]
	v_fma_mix_f32_bf16 v57, v65, v31, v35 op_sel_hi:[1,1,0]
	s_wait_loadcnt 0xa
	v_fma_mix_f32_bf16 v51, v28, v66, v51 op_sel_hi:[1,1,0]
	ds_load_b128 v[32:35], v44 offset:144
	v_fma_mix_f32_bf16 v28, v28, v66, v30 op_sel:[1,1,0] op_sel_hi:[1,1,0]
	v_fma_mix_f32_bf16 v30, v65, v31, v56 op_sel:[1,1,0] op_sel_hi:[1,1,0]
	v_fma_mix_f32_bf16 v31, v29, v67, v57 op_sel_hi:[1,1,0]
	s_wait_loadcnt_dscnt 0x902
	v_fma_mix_f32_bf16 v51, v18, v52, v51 op_sel_hi:[1,1,0]
	v_fma_mix_f32_bf16 v18, v18, v52, v28 op_sel:[1,1,0] op_sel_hi:[1,1,0]
	v_fma_mix_f32_bf16 v52, v29, v67, v30 op_sel:[1,1,0] op_sel_hi:[1,1,0]
	v_fma_mix_f32_bf16 v56, v19, v53, v31 op_sel_hi:[1,1,0]
	s_wait_loadcnt 0x8
	v_fma_mix_f32_bf16 v51, v16, v54, v51 op_sel_hi:[1,1,0]
	ds_load_b128 v[28:31], v44 offset:160
	v_fma_mix_f32_bf16 v16, v16, v54, v18 op_sel:[1,1,0] op_sel_hi:[1,1,0]
	v_fma_mix_f32_bf16 v18, v19, v53, v52 op_sel:[1,1,0] op_sel_hi:[1,1,0]
	v_fma_mix_f32_bf16 v19, v17, v55, v56 op_sel_hi:[1,1,0]
	s_wait_loadcnt_dscnt 0x702
	v_fma_mix_f32_bf16 v51, v8, v36, v51 op_sel_hi:[1,1,0]
	v_fma_mix_f32_bf16 v8, v8, v36, v16 op_sel:[1,1,0] op_sel_hi:[1,1,0]
	v_fma_mix_f32_bf16 v36, v17, v55, v18 op_sel:[1,1,0] op_sel_hi:[1,1,0]
	v_fma_mix_f32_bf16 v52, v9, v37, v19 op_sel_hi:[1,1,0]
	s_wait_loadcnt 0x6
	v_fma_mix_f32_bf16 v51, v12, v38, v51 op_sel_hi:[1,1,0]
	ds_load_b128 v[16:19], v44 offset:176
	v_fma_mix_f32_bf16 v8, v12, v38, v8 op_sel:[1,1,0] op_sel_hi:[1,1,0]
	v_fma_mix_f32_bf16 v9, v9, v37, v36 op_sel:[1,1,0] op_sel_hi:[1,1,0]
	v_fma_mix_f32_bf16 v12, v13, v39, v52 op_sel_hi:[1,1,0]
	s_wait_loadcnt_dscnt 0x502
	v_fma_mix_f32_bf16 v36, v22, v32, v51 op_sel_hi:[1,1,0]
	v_fma_mix_f32_bf16 v8, v22, v32, v8 op_sel:[1,1,0] op_sel_hi:[1,1,0]
	v_fma_mix_f32_bf16 v9, v13, v39, v9 op_sel:[1,1,0] op_sel_hi:[1,1,0]
	v_fma_mix_f32_bf16 v12, v23, v33, v12 op_sel_hi:[1,1,0]
	s_wait_loadcnt 0x4
	v_fma_mix_f32_bf16 v13, v24, v34, v36 op_sel_hi:[1,1,0]
	v_fma_mix_f32_bf16 v8, v24, v34, v8 op_sel:[1,1,0] op_sel_hi:[1,1,0]
	v_fma_mix_f32_bf16 v9, v23, v33, v9 op_sel:[1,1,0] op_sel_hi:[1,1,0]
	v_fma_mix_f32_bf16 v12, v25, v35, v12 op_sel_hi:[1,1,0]
	s_wait_loadcnt_dscnt 0x301
	v_fma_mix_f32_bf16 v13, v26, v28, v13 op_sel_hi:[1,1,0]
	v_fma_mix_f32_bf16 v8, v26, v28, v8 op_sel:[1,1,0] op_sel_hi:[1,1,0]
	v_fma_mix_f32_bf16 v9, v25, v35, v9 op_sel:[1,1,0] op_sel_hi:[1,1,0]
	v_fma_mix_f32_bf16 v12, v27, v29, v12 op_sel_hi:[1,1,0]
	s_wait_loadcnt 0x2
	v_fma_mix_f32_bf16 v13, v20, v30, v13 op_sel_hi:[1,1,0]
	v_fma_mix_f32_bf16 v8, v20, v30, v8 op_sel:[1,1,0] op_sel_hi:[1,1,0]
	v_fma_mix_f32_bf16 v9, v27, v29, v9 op_sel:[1,1,0] op_sel_hi:[1,1,0]
	v_fma_mix_f32_bf16 v12, v21, v31, v12 op_sel_hi:[1,1,0]
	s_wait_loadcnt_dscnt 0x100
	v_fma_mix_f32_bf16 v13, v14, v16, v13 op_sel_hi:[1,1,0]
	v_fma_mix_f32_bf16 v8, v14, v16, v8 op_sel:[1,1,0] op_sel_hi:[1,1,0]
	v_fma_mix_f32_bf16 v9, v21, v31, v9 op_sel:[1,1,0] op_sel_hi:[1,1,0]
	v_fma_mix_f32_bf16 v12, v15, v17, v12 op_sel_hi:[1,1,0]
	s_wait_loadcnt 0x0
	v_fma_mix_f32_bf16 v13, v10, v18, v13 op_sel_hi:[1,1,0]
	v_fma_mix_f32_bf16 v8, v10, v18, v8 op_sel:[1,1,0] op_sel_hi:[1,1,0]
	v_fma_mix_f32_bf16 v9, v15, v17, v9 op_sel:[1,1,0] op_sel_hi:[1,1,0]
	v_fma_mix_f32_bf16 v10, v11, v19, v12 op_sel_hi:[1,1,0]
	s_delay_alu instid0(VALU_DEP_3) | instskip(NEXT) | instid1(VALU_DEP_3)
	v_dual_add_f32 v8, v13, v8 :: v_dual_cndmask_b32 v12, v42, v49, s4
	v_fma_mix_f32_bf16 v9, v11, v19, v9 op_sel:[1,1,0] op_sel_hi:[1,1,0]
	s_delay_alu instid0(VALU_DEP_2) | instskip(NEXT) | instid1(VALU_DEP_1)
	v_dual_add_f32 v8, v8, v10 :: v_dual_lshlrev_b32 v10, 2, v12
	v_add_f32_e32 v8, v9, v8
	ds_bpermute_b32 v9, v10, v8
	s_and_saveexec_b32 s38, s3
	s_cbranch_execz .LBB133_10
; %bb.18:                               ;   in Loop: Header=BB133_12 Depth=1
	s_wait_dscnt 0x0
	v_dual_add_nc_u32 v10, v46, v2 :: v_dual_add_f32 v8, v8, v9
	s_delay_alu instid0(VALU_DEP_1) | instskip(NEXT) | instid1(VALU_DEP_1)
	v_cvt_f32_i32_e32 v10, v10
	v_mul_f32_e32 v10, s35, v10
	s_delay_alu instid0(VALU_DEP_1) | instskip(NEXT) | instid1(VALU_DEP_1)
	v_dual_cndmask_b32 v9, 0, v10 :: v_dual_max_num_f32 v10, v45, v45
	v_dual_fmac_f32 v9, s25, v8 :: v_dual_add_nc_u32 v8, v43, v2
	s_delay_alu instid0(VALU_DEP_1) | instskip(NEXT) | instid1(VALU_DEP_2)
	v_max_num_f32_e32 v10, v10, v9
	v_cmp_gt_i32_e64 s4, s31, v8
	s_delay_alu instid0(VALU_DEP_1)
	v_dual_cndmask_b32 v8, 0, v9, s4 :: v_dual_cndmask_b32 v45, v45, v10, s4
	ds_store_b32 v47, v8
	s_branch .LBB133_10
.LBB133_19:
	s_or_b32 exec_lo, exec_lo, s37
.LBB133_20:
	s_delay_alu instid0(SALU_CYCLE_1)
	s_or_b32 exec_lo, exec_lo, s11
	v_dual_max_num_f32 v5, v45, v45 :: v_dual_bitop2_b32 v2, 16, v42 bitop3:0x14
	v_xor_b32_e32 v4, 8, v42
	s_clause 0x1
	s_load_b64 s[14:15], s[0:1], 0x0
	s_load_b64 s[4:5], s[0:1], 0x18
	v_and_b32_e32 v78, 31, v0
	v_cmp_gt_i32_e32 vcc_lo, 32, v2
	v_cndmask_b32_e32 v2, v42, v2, vcc_lo
	v_cmp_gt_i32_e32 vcc_lo, 32, v4
	s_delay_alu instid0(VALU_DEP_2) | instskip(SKIP_3) | instid1(VALU_DEP_1)
	v_dual_cndmask_b32 v4, v42, v4 :: v_dual_lshlrev_b32 v3, 2, v2
	ds_bpermute_b32 v2, v3, v45
	s_wait_dscnt 0x0
	v_dual_max_num_f32 v2, v2, v2 :: v_dual_lshlrev_b32 v4, 2, v4
	v_max_num_f32_e32 v2, v5, v2
	ds_bpermute_b32 v5, v4, v2
	s_wait_dscnt 0x0
	v_dual_max_num_f32 v7, v5, v5 :: v_dual_bitop2_b32 v6, 4, v42 bitop3:0x14
	s_delay_alu instid0(VALU_DEP_1) | instskip(NEXT) | instid1(VALU_DEP_2)
	v_max_num_f32_e32 v2, v2, v7
	v_cmp_gt_i32_e32 vcc_lo, 32, v6
	v_xor_b32_e32 v7, 2, v42
	v_cndmask_b32_e32 v6, v42, v6, vcc_lo
	s_delay_alu instid0(VALU_DEP_2) | instskip(NEXT) | instid1(VALU_DEP_2)
	v_cmp_gt_i32_e32 vcc_lo, 32, v7
	v_dual_cndmask_b32 v8, v42, v7 :: v_dual_lshlrev_b32 v5, 2, v6
	v_cmp_eq_u32_e32 vcc_lo, 0, v78
	ds_bpermute_b32 v6, v5, v2
	s_wait_dscnt 0x0
	v_max_num_f32_e32 v6, v6, v6
	s_delay_alu instid0(VALU_DEP_1)
	v_dual_max_num_f32 v7, v2, v6 :: v_dual_lshlrev_b32 v2, 2, v8
	v_lshlrev_b32_e32 v6, 2, v77
	ds_bpermute_b32 v8, v2, v7
	s_wait_xcnt 0x0
	s_and_saveexec_b32 s0, vcc_lo
	s_cbranch_execz .LBB133_22
; %bb.21:
	s_wait_dscnt 0x0
	v_dual_max_num_f32 v8, v8, v8 :: v_dual_max_num_f32 v7, v7, v7
	s_delay_alu instid0(VALU_DEP_1)
	v_max_num_f32_e32 v7, v7, v8
	ds_store_b32 v6, v7 offset:384
.LBB133_22:
	s_or_b32 exec_lo, exec_lo, s0
	v_cmp_gt_u32_e64 s0, 4, v78
	s_wait_dscnt 0x0
	v_dual_mov_b32 v8, 0xff7fffff :: v_dual_lshlrev_b32 v7, 2, v78
	s_barrier_signal -1
	s_barrier_wait -1
	s_and_saveexec_b32 s1, s0
; %bb.23:
	ds_load_b32 v8, v7 offset:384
; %bb.24:
	s_or_b32 exec_lo, exec_lo, s1
	s_wait_dscnt 0x0
	ds_bpermute_b32 v9, v2, v8
	v_dual_max_num_f32 v8, v8, v8 :: v_dual_bitop2_b32 v10, 1, v42 bitop3:0x14
	s_delay_alu instid0(VALU_DEP_1) | instskip(NEXT) | instid1(VALU_DEP_1)
	v_cmp_gt_i32_e64 s1, 32, v10
	v_cndmask_b32_e64 v10, v42, v10, s1
	s_lshl_b32 s1, s34, 4
	s_delay_alu instid0(SALU_CYCLE_1) | instskip(NEXT) | instid1(SALU_CYCLE_1)
	s_min_i32 s11, s1, s31
	v_cmp_gt_i32_e64 s1, s11, v0
	s_wait_dscnt 0x0
	v_dual_max_num_f32 v9, v9, v9 :: v_dual_lshlrev_b32 v79, 2, v10
	s_delay_alu instid0(VALU_DEP_1) | instskip(SKIP_3) | instid1(VALU_DEP_1)
	v_max_num_f32_e32 v8, v8, v9
	ds_bpermute_b32 v9, v79, v8
	s_wait_dscnt 0x0
	v_max_num_f32_e32 v9, v9, v9
	v_dual_max_num_f32 v9, v8, v9 :: v_dual_mov_b32 v8, 0
	ds_bpermute_b32 v9, v8, v9
	s_and_saveexec_b32 s23, s1
	s_cbranch_execz .LBB133_28
; %bb.25:
	v_lshl_add_u32 v10, v0, 2, 0x1a0
	v_dual_mov_b32 v8, 0 :: v_dual_mov_b32 v11, v0
	s_mov_b32 s25, 0
.LBB133_26:                             ; =>This Inner Loop Header: Depth=1
	ds_load_b32 v12, v10
	v_add_nc_u32_e32 v11, 0x80, v11
	s_delay_alu instid0(VALU_DEP_1) | instskip(SKIP_3) | instid1(VALU_DEP_1)
	v_cmp_le_i32_e64 s3, s11, v11
	s_or_b32 s25, s3, s25
	s_wait_dscnt 0x0
	v_sub_f32_e32 v12, v12, v9
	v_mul_f32_e32 v12, 0x3fb8aa3b, v12
	s_delay_alu instid0(VALU_DEP_1)
	v_exp_f32_e32 v12, v12
	ds_store_b32 v10, v12
	v_nop
	v_add_f32_e32 v8, v8, v12
	v_add_nc_u32_e32 v10, 0x200, v10
	s_and_not1_b32 exec_lo, exec_lo, s25
	s_cbranch_execnz .LBB133_26
; %bb.27:
	s_or_b32 exec_lo, exec_lo, s25
.LBB133_28:
	s_delay_alu instid0(SALU_CYCLE_1)
	s_or_b32 exec_lo, exec_lo, s23
	ds_bpermute_b32 v3, v3, v8
	s_wait_dscnt 0x0
	v_add_f32_e32 v3, v8, v3
	ds_bpermute_b32 v4, v4, v3
	s_wait_dscnt 0x0
	v_add_f32_e32 v3, v3, v4
	;; [unrolled: 3-line block ×5, first 2 shown]
	s_and_saveexec_b32 s3, vcc_lo
; %bb.29:
	ds_store_b32 v6, v3 offset:400
; %bb.30:
	s_or_b32 exec_lo, exec_lo, s3
	s_wait_dscnt 0x0
	s_barrier_signal -1
	s_barrier_wait -1
	s_and_saveexec_b32 s3, s0
; %bb.31:
	ds_load_b32 v3, v7 offset:400
; %bb.32:
	s_or_b32 exec_lo, exec_lo, s3
	s_wait_dscnt 0x0
	ds_bpermute_b32 v2, v2, v3
	s_wait_dscnt 0x0
	v_dual_mov_b32 v61, 0 :: v_dual_add_f32 v2, v3, v2
	ds_bpermute_b32 v3, v79, v2
	s_wait_dscnt 0x0
	v_add_f32_e32 v2, v2, v3
	ds_bpermute_b32 v2, v61, v2
	s_and_saveexec_b32 s0, s1
	s_cbranch_execz .LBB133_45
; %bb.33:
	s_wait_dscnt 0x0
	v_add_f32_e32 v2, 0x358637bd, v2
	s_mov_b32 s3, -1
	s_mov_b32 s1, exec_lo
	s_delay_alu instid0(VALU_DEP_1) | instskip(NEXT) | instid1(VALU_DEP_1)
	v_div_scale_f32 v3, null, v2, v2, 1.0
	v_rcp_f32_e32 v5, v3
	v_nop
	s_delay_alu instid0(TRANS32_DEP_1) | instskip(NEXT) | instid1(VALU_DEP_1)
	v_fma_f32 v4, -v3, v5, 1.0
	v_fmac_f32_e32 v5, v4, v5
	v_div_scale_f32 v6, vcc_lo, 1.0, v2, 1.0
	s_delay_alu instid0(VALU_DEP_1) | instskip(NEXT) | instid1(VALU_DEP_1)
	v_mul_f32_e32 v7, v6, v5
	v_fma_f32 v4, -v3, v7, v6
	s_delay_alu instid0(VALU_DEP_1) | instskip(SKIP_1) | instid1(VALU_DEP_2)
	v_fmac_f32_e32 v7, v4, v5
	v_xad_u32 v4, v0, -1, s11
	v_fma_f32 v3, -v3, v7, v6
	s_delay_alu instid0(VALU_DEP_1) | instskip(NEXT) | instid1(VALU_DEP_1)
	v_div_fmas_f32 v3, v3, v5, v7
	v_div_fixup_f32 v2, v3, v2, 1.0
	v_mov_b32_e32 v3, v0
	v_cmpx_lt_u32_e32 0x7f, v4
	s_cbranch_execz .LBB133_42
; %bb.34:
	s_delay_alu instid0(VALU_DEP_3) | instskip(NEXT) | instid1(VALU_DEP_1)
	v_dual_mov_b32 v3, v2 :: v_dual_lshrrev_b32 v4, 7, v4
	v_dual_mov_b32 v8, 0 :: v_dual_add_nc_u32 v5, -1, v4
	s_delay_alu instid0(VALU_DEP_1) | instskip(SKIP_1) | instid1(VALU_DEP_2)
	v_lshrrev_b32_e32 v6, 1, v5
	v_cmp_lt_u32_e32 vcc_lo, 13, v5
	v_add_nc_u32_e32 v5, 1, v6
	s_and_saveexec_b32 s3, vcc_lo
	s_cbranch_execz .LBB133_38
; %bb.35:
	s_delay_alu instid0(VALU_DEP_1)
	v_and_b32_e32 v6, -8, v5
	v_lshl_add_u32 v7, v0, 2, 0x1a0
	s_mov_b32 s23, 0
	s_mov_b32 s25, 0
.LBB133_36:                             ; =>This Inner Loop Header: Depth=1
	ds_load_2addr_stride64_b32 v[8:9], v7 offset1:2
	ds_load_2addr_stride64_b32 v[10:11], v7 offset0:4 offset1:6
	ds_load_2addr_stride64_b32 v[12:13], v7 offset0:8 offset1:10
	;; [unrolled: 1-line block ×7, first 2 shown]
	s_add_co_i32 s25, s25, 16
	v_add_nc_u32_e32 v6, -8, v6
	s_wait_dscnt 0x7
	v_pk_mul_f32 v[8:9], v[2:3], v[8:9]
	s_wait_dscnt 0x6
	v_pk_mul_f32 v[10:11], v[2:3], v[10:11]
	;; [unrolled: 2-line block ×8, first 2 shown]
	ds_store_2addr_stride64_b32 v7, v8, v9 offset1:2
	ds_store_2addr_stride64_b32 v7, v10, v11 offset0:4 offset1:6
	ds_store_2addr_stride64_b32 v7, v12, v13 offset0:8 offset1:10
	;; [unrolled: 1-line block ×7, first 2 shown]
	v_mov_b32_e32 v8, s25
	v_cmp_eq_u32_e32 vcc_lo, 0, v6
	v_add_nc_u32_e32 v7, 0x2000, v7
	s_or_b32 s23, vcc_lo, s23
	s_delay_alu instid0(SALU_CYCLE_1)
	s_and_not1_b32 exec_lo, exec_lo, s23
	s_cbranch_execnz .LBB133_36
; %bb.37:
	s_or_b32 exec_lo, exec_lo, s23
.LBB133_38:
	s_delay_alu instid0(SALU_CYCLE_1) | instskip(NEXT) | instid1(VALU_DEP_1)
	s_or_b32 exec_lo, exec_lo, s3
	v_and_b32_e32 v5, 7, v5
	s_mov_b32 s23, 0
	s_mov_b32 s3, exec_lo
	s_delay_alu instid0(VALU_DEP_1)
	v_cmpx_ne_u32_e32 0, v5
	s_cbranch_execz .LBB133_41
; %bb.39:
	v_lshlrev_b32_e32 v6, 9, v8
	v_lshlrev_b32_e32 v7, 2, v0
	s_delay_alu instid0(VALU_DEP_1)
	v_add3_u32 v6, v6, v7, 0x1a0
.LBB133_40:                             ; =>This Inner Loop Header: Depth=1
	ds_load_2addr_stride64_b32 v[8:9], v6 offset1:2
	v_add_nc_u32_e32 v5, -1, v5
	s_delay_alu instid0(VALU_DEP_1)
	v_cmp_eq_u32_e32 vcc_lo, 0, v5
	s_or_b32 s23, vcc_lo, s23
	s_wait_dscnt 0x0
	v_pk_mul_f32 v[8:9], v[2:3], v[8:9]
	ds_store_2addr_stride64_b32 v6, v8, v9 offset1:2
	v_add_nc_u32_e32 v6, 0x400, v6
	s_and_not1_b32 exec_lo, exec_lo, s23
	s_cbranch_execnz .LBB133_40
.LBB133_41:
	s_or_b32 exec_lo, exec_lo, s3
	v_add_nc_u32_e32 v3, 1, v4
	s_delay_alu instid0(VALU_DEP_1) | instskip(NEXT) | instid1(VALU_DEP_1)
	v_and_b32_e32 v4, 0x3fffffe, v3
	v_cmp_ne_u32_e32 vcc_lo, v3, v4
	v_lshl_add_u32 v3, v4, 7, v0
	s_or_not1_b32 s3, vcc_lo, exec_lo
.LBB133_42:
	s_or_b32 exec_lo, exec_lo, s1
	s_delay_alu instid0(SALU_CYCLE_1)
	s_and_b32 exec_lo, exec_lo, s3
	s_cbranch_execz .LBB133_45
; %bb.43:
	v_lshl_add_u32 v4, v3, 2, 0x1a0
	s_mov_b32 s1, 0
.LBB133_44:                             ; =>This Inner Loop Header: Depth=1
	ds_load_b32 v5, v4
	v_add_nc_u32_e32 v3, 0x80, v3
	s_delay_alu instid0(VALU_DEP_1)
	v_cmp_le_i32_e32 vcc_lo, s11, v3
	s_or_b32 s1, vcc_lo, s1
	s_wait_dscnt 0x0
	v_mul_f32_e32 v5, v2, v5
	ds_store_b32 v4, v5
	v_add_nc_u32_e32 v4, 0x200, v4
	s_and_not1_b32 exec_lo, exec_lo, s1
	s_cbranch_execnz .LBB133_44
.LBB133_45:
	s_or_b32 exec_lo, exec_lo, s0
	v_dual_mov_b32 v60, 0 :: v_dual_mov_b32 v63, 0
	v_dual_mov_b32 v62, 0 :: v_dual_mov_b32 v65, 0
	;; [unrolled: 1-line block ×5, first 2 shown]
	v_mov_b32_e32 v70, 0
	s_wait_dscnt 0x0
	s_barrier_signal -1
	s_barrier_wait -1
	s_and_saveexec_b32 s25, s2
	s_cbranch_execz .LBB133_75
; %bb.46:
	s_abs_i32 s26, s10
	v_dual_lshlrev_b32 v4, 4, v0 :: v_dual_bitop2_b32 v80, 8, v41 bitop3:0x40
	s_cvt_f32_u32 s0, s26
	v_dual_mov_b32 v59, 0 :: v_dual_lshlrev_b32 v6, 5, v76
	s_ashr_i32 s23, s22, 31
	s_delay_alu instid0(SALU_CYCLE_1)
	v_rcp_iflag_f32_e32 v3, s0
	v_and_b32_e32 v2, 0x7c, v40
	v_and_b32_e32 v4, 0x1f0, v4
	v_mov_b32_e32 v5, v59
	s_lshl_b64 s[0:1], s[20:21], 2
	s_lshl_b64 s[2:3], s[22:23], 1
	v_lshl_or_b32 v6, v77, 6, v6
	v_readfirstlane_b32 s10, v3
	v_mov_b32_e32 v3, v59
	s_add_nc_u64 s[0:1], s[18:19], s[0:1]
	s_wait_kmcnt 0x0
	s_add_nc_u64 s[2:3], s[4:5], s[2:3]
	s_sub_co_i32 s20, 0, s26
	s_mul_f32 s10, s10, 0x4f7ffffe
	v_add_nc_u64_e32 v[72:73], s[2:3], v[4:5]
	v_add_nc_u64_e32 v[74:75], s[0:1], v[2:3]
	v_dual_mov_b32 v82, v77 :: v_dual_add_nc_u32 v81, 0x1a0, v6
	s_cvt_u32_f32 s10, s10
	v_dual_mov_b32 v70, v59 :: v_dual_mov_b32 v71, v59
	v_dual_mov_b32 v68, v59 :: v_dual_mov_b32 v69, v59
	s_delay_alu instid0(SALU_CYCLE_1)
	s_mul_i32 s20, s20, s10
	v_dual_mov_b32 v66, v59 :: v_dual_mov_b32 v67, v59
	v_dual_mov_b32 v64, v59 :: v_dual_mov_b32 v65, v59
	v_dual_mov_b32 v62, v59 :: v_dual_mov_b32 v63, v59
	v_dual_mov_b32 v60, v59 :: v_dual_mov_b32 v61, v59
	s_mov_b32 s11, 0
	s_mul_hi_u32 s2, s10, s20
	s_sub_co_i32 s27, s8, s9
	s_ashr_i32 s9, s13, 31
	s_mov_b32 s8, s13
	s_add_co_i32 s13, s34, -1
	s_mov_b32 s5, s31
	s_add_co_i32 s10, s10, s2
	s_mov_b32 s18, s11
	s_branch .LBB133_49
.LBB133_47:                             ;   in Loop: Header=BB133_49 Depth=1
	s_or_b32 exec_lo, exec_lo, s0
	s_wait_dscnt 0x1
	v_cvt_pk_bf16_f32 v23, v22, v23
	v_cvt_pk_bf16_f32 v22, v24, v25
	s_wait_dscnt 0x0
	v_cvt_pk_bf16_f32 v18, v18, v19
	v_cvt_pk_bf16_f32 v19, v20, v21
	s_wait_loadcnt 0x1
	v_pk_mul_bf16 v24, v23, v54
	v_pk_mul_bf16 v25, v22, v55
	;; [unrolled: 1-line block ×5, first 2 shown]
	s_delay_alu instid0(VALU_DEP_4)
	v_dual_lshlrev_b32 v21, 16, v24 :: v_dual_lshlrev_b32 v54, 16, v25
	v_and_b32_e32 v24, 0xffff0000, v24
	v_and_b32_e32 v25, 0xffff0000, v25
	v_lshlrev_b32_e32 v56, 16, v20
	v_and_b32_e32 v20, 0xffff0000, v20
	v_pk_mul_bf16 v46, v23, v46
	s_delay_alu instid0(VALU_DEP_4)
	v_dual_add_f32 v21, v21, v24 :: v_dual_add_f32 v24, v54, v25
	v_pk_mul_bf16 v25, v23, v50
	v_lshlrev_b32_e32 v50, 16, v55
	v_and_b32_e32 v54, 0xffff0000, v55
	v_add_f32_e32 v20, v56, v20
	v_add_f32_e32 v21, v24, v21
	v_pk_mul_bf16 v24, v22, v51
	v_lshlrev_b32_e32 v51, 16, v25
	v_and_b32_e32 v25, 0xffff0000, v25
	s_delay_alu instid0(VALU_DEP_4) | instskip(NEXT) | instid1(VALU_DEP_4)
	v_dual_add_f32 v50, v50, v54 :: v_dual_add_f32 v20, v20, v21
	v_lshlrev_b32_e32 v21, 16, v24
	v_and_b32_e32 v24, 0xffff0000, v24
	s_delay_alu instid0(VALU_DEP_4)
	v_add_f32_e32 v25, v51, v25
	v_pk_mul_bf16 v51, v19, v53
	v_add_f32_e32 v20, v50, v20
	v_and_b32_e32 v50, 0xffff0000, v52
	v_add_f32_e32 v21, v21, v24
	v_lshlrev_b32_e32 v24, 16, v52
	v_pk_mul_bf16 v47, v22, v47
	v_pk_mul_bf16 v48, v18, v48
	v_add_f32_e32 v60, v60, v20
	v_pk_mul_bf16 v38, v23, v38
	v_dual_add_f32 v24, v24, v50 :: v_dual_add_f32 v21, v21, v25
	v_dual_lshlrev_b32 v25, 16, v46 :: v_dual_lshlrev_b32 v50, 16, v47
	v_and_b32_e32 v46, 0xffff0000, v46
	v_and_b32_e32 v47, 0xffff0000, v47
	v_lshlrev_b32_e32 v52, 16, v51
	v_and_b32_e32 v51, 0xffff0000, v51
	v_pk_mul_bf16 v40, v18, v40
	s_delay_alu instid0(VALU_DEP_4) | instskip(SKIP_3) | instid1(VALU_DEP_4)
	v_dual_add_f32 v25, v25, v46 :: v_dual_add_f32 v46, v50, v47
	v_lshlrev_b32_e32 v47, 16, v48
	v_and_b32_e32 v48, 0xffff0000, v48
	v_add_f32_e32 v21, v24, v21
	v_dual_add_f32 v24, v52, v51 :: v_dual_add_f32 v20, v46, v25
	v_pk_mul_bf16 v41, v19, v41
	s_delay_alu instid0(VALU_DEP_4) | instskip(SKIP_1) | instid1(VALU_DEP_4)
	v_add_f32_e32 v25, v47, v48
	v_pk_mul_bf16 v35, v22, v35
	v_add_f32_e32 v21, v24, v21
	v_pk_mul_bf16 v24, v22, v39
	v_pk_mul_bf16 v39, v19, v49
	v_dual_add_f32 v20, v25, v20 :: v_dual_lshlrev_b32 v25, 16, v38
	v_and_b32_e32 v38, 0xffff0000, v38
	s_delay_alu instid0(VALU_DEP_3) | instskip(SKIP_2) | instid1(VALU_DEP_4)
	v_dual_lshlrev_b32 v46, 16, v24 :: v_dual_lshlrev_b32 v47, 16, v39
	v_and_b32_e32 v24, 0xffff0000, v24
	v_and_b32_e32 v39, 0xffff0000, v39
	v_dual_add_f32 v25, v25, v38 :: v_dual_lshlrev_b32 v38, 16, v40
	v_and_b32_e32 v40, 0xffff0000, v40
	s_delay_alu instid0(VALU_DEP_3) | instskip(SKIP_3) | instid1(VALU_DEP_4)
	v_dual_add_f32 v24, v46, v24 :: v_dual_add_f32 v39, v47, v39
	v_lshlrev_b32_e32 v46, 16, v35
	v_and_b32_e32 v35, 0xffff0000, v35
	v_pk_mul_bf16 v36, v18, v36
	v_add_f32_e32 v24, v24, v25
	v_pk_mul_bf16 v25, v23, v34
	v_dual_add_f32 v34, v38, v40 :: v_dual_lshlrev_b32 v38, 16, v41
	v_and_b32_e32 v40, 0xffff0000, v41
	s_delay_alu instid0(VALU_DEP_3) | instskip(NEXT) | instid1(VALU_DEP_3)
	v_dual_add_f32 v35, v46, v35 :: v_dual_lshlrev_b32 v41, 16, v25
	v_add_f32_e32 v24, v34, v24
	v_and_b32_e32 v25, 0xffff0000, v25
	s_delay_alu instid0(VALU_DEP_4)
	v_add_f32_e32 v34, v38, v40
	v_lshlrev_b32_e32 v38, 16, v36
	v_and_b32_e32 v36, 0xffff0000, v36
	v_pk_mul_bf16 v32, v18, v32
	v_add_f32_e32 v25, v41, v25
	v_dual_add_f32 v63, v63, v21 :: v_dual_add_f32 v21, v34, v24
	v_add_f32_e32 v20, v39, v20
	v_pk_mul_bf16 v26, v23, v26
	s_delay_alu instid0(VALU_DEP_4) | instskip(NEXT) | instid1(VALU_DEP_4)
	v_dual_add_f32 v24, v35, v25 :: v_dual_add_f32 v25, v38, v36
	v_add_f32_e32 v65, v65, v21
	v_pk_mul_bf16 v21, v23, v30
	v_pk_mul_bf16 v27, v22, v27
	;; [unrolled: 1-line block ×3, first 2 shown]
	v_add_f32_e32 v24, v25, v24
	v_pk_mul_bf16 v25, v22, v31
	v_lshlrev_b32_e32 v31, 16, v21
	v_and_b32_e32 v21, 0xffff0000, v21
	v_lshlrev_b32_e32 v35, 16, v27
	v_and_b32_e32 v27, 0xffff0000, v27
	;; [unrolled: 2-line block ×3, first 2 shown]
	v_dual_add_f32 v21, v31, v21 :: v_dual_lshlrev_b32 v31, 16, v32
	v_and_b32_e32 v32, 0xffff0000, v32
	v_add_f32_e32 v62, v62, v20
	s_delay_alu instid0(VALU_DEP_4) | instskip(SKIP_3) | instid1(VALU_DEP_4)
	v_dual_add_f32 v25, v34, v25 :: v_dual_lshlrev_b32 v34, 16, v26
	v_and_b32_e32 v26, 0xffff0000, v26
	v_pk_mul_bf16 v20, v19, v37
	v_pk_mul_bf16 v33, v19, v33
	v_dual_add_f32 v21, v25, v21 :: v_dual_add_f32 v25, v31, v32
	s_delay_alu instid0(VALU_DEP_4) | instskip(NEXT) | instid1(VALU_DEP_3)
	v_dual_add_f32 v26, v34, v26 :: v_dual_add_f32 v27, v35, v27
	v_dual_lshlrev_b32 v31, 16, v28 :: v_dual_lshlrev_b32 v32, 16, v33
	v_and_b32_e32 v28, 0xffff0000, v28
	v_pk_mul_bf16 v29, v19, v29
	v_lshlrev_b32_e32 v30, 16, v20
	v_and_b32_e32 v20, 0xffff0000, v20
	v_and_b32_e32 v33, 0xffff0000, v33
	v_add_f32_e32 v26, v27, v26
	v_dual_add_f32 v27, v31, v28 :: v_dual_add_f32 v21, v25, v21
	v_lshlrev_b32_e32 v28, 16, v29
	v_and_b32_e32 v29, 0xffff0000, v29
	v_dual_add_f32 v20, v30, v20 :: v_dual_add_f32 v25, v32, v33
	s_delay_alu instid0(VALU_DEP_4) | instskip(SKIP_1) | instid1(VALU_DEP_4)
	v_add_f32_e32 v26, v27, v26
	v_pk_mul_bf16 v14, v23, v14
	v_add_f32_e32 v27, v28, v29
	v_pk_mul_bf16 v15, v22, v15
	v_dual_add_f32 v20, v20, v24 :: v_dual_add_f32 v21, v25, v21
	s_delay_alu instid0(VALU_DEP_4) | instskip(NEXT) | instid1(VALU_DEP_3)
	v_lshlrev_b32_e32 v25, 16, v14
	v_dual_add_f32 v24, v27, v26 :: v_dual_lshlrev_b32 v26, 16, v15
	v_and_b32_e32 v14, 0xffff0000, v14
	v_and_b32_e32 v15, 0xffff0000, v15
	v_add_f32_e32 v64, v64, v20
	v_pk_mul_bf16 v10, v23, v10
	v_pk_mul_bf16 v11, v22, v11
	s_delay_alu instid0(VALU_DEP_4) | instskip(SKIP_2) | instid1(VALU_DEP_4)
	v_dual_add_f32 v14, v25, v14 :: v_dual_add_f32 v15, v26, v15
	v_pk_mul_bf16 v16, v18, v16
	v_pk_mul_bf16 v12, v18, v12
	v_lshlrev_b32_e32 v20, 16, v11
	v_and_b32_e32 v11, 0xffff0000, v11
	v_add_f32_e32 v14, v15, v14
	v_lshlrev_b32_e32 v15, 16, v10
	v_and_b32_e32 v10, 0xffff0000, v10
	v_dual_add_f32 v67, v67, v21 :: v_dual_add_f32 v66, v66, v24
	v_pk_mul_bf16 v17, v19, v17
	v_lshlrev_b32_e32 v21, 16, v16
	v_and_b32_e32 v16, 0xffff0000, v16
	v_dual_add_f32 v10, v15, v10 :: v_dual_add_f32 v11, v20, v11
	s_delay_alu instid0(VALU_DEP_4) | instskip(SKIP_1) | instid1(VALU_DEP_3)
	v_dual_lshlrev_b32 v15, 16, v12 :: v_dual_lshlrev_b32 v20, 16, v17
	v_and_b32_e32 v12, 0xffff0000, v12
	v_dual_add_f32 v16, v21, v16 :: v_dual_add_f32 v10, v11, v10
	v_and_b32_e32 v17, 0xffff0000, v17
	v_pk_mul_bf16 v13, v19, v13
	s_delay_alu instid0(VALU_DEP_3) | instskip(SKIP_2) | instid1(VALU_DEP_3)
	v_dual_add_f32 v11, v15, v12 :: v_dual_add_f32 v12, v16, v14
	v_pk_mul_bf16 v6, v23, v6
	v_pk_mul_bf16 v7, v22, v7
	v_dual_add_f32 v14, v20, v17 :: v_dual_add_f32 v10, v11, v10
	s_delay_alu instid0(VALU_DEP_3)
	v_dual_lshlrev_b32 v11, 16, v13 :: v_dual_lshlrev_b32 v15, 16, v6
	v_and_b32_e32 v13, 0xffff0000, v13
	v_and_b32_e32 v6, 0xffff0000, v6
	v_lshlrev_b32_e32 v16, 16, v7
	v_and_b32_e32 v7, 0xffff0000, v7
	v_pk_mul_bf16 v8, v18, v8
	v_pk_mul_bf16 v2, v23, v2
	;; [unrolled: 1-line block ×3, first 2 shown]
	v_add_f32_e32 v11, v11, v13
	v_dual_add_f32 v6, v15, v6 :: v_dual_add_f32 v7, v16, v7
	s_delay_alu instid0(VALU_DEP_4) | instskip(SKIP_2) | instid1(VALU_DEP_4)
	v_dual_lshlrev_b32 v13, 16, v8 :: v_dual_lshlrev_b32 v15, 16, v2
	v_and_b32_e32 v8, 0xffff0000, v8
	v_and_b32_e32 v2, 0xffff0000, v2
	v_dual_add_f32 v17, v7, v6 :: v_dual_lshlrev_b32 v16, 16, v3
	v_and_b32_e32 v3, 0xffff0000, v3
	v_pk_mul_bf16 v9, v19, v9
	s_delay_alu instid0(VALU_DEP_4) | instskip(SKIP_1) | instid1(VALU_DEP_3)
	v_dual_add_f32 v13, v13, v8 :: v_dual_add_f32 v2, v15, v2
	v_pk_mul_bf16 v4, v18, v4
	v_dual_add_f32 v3, v16, v3 :: v_dual_lshlrev_b32 v15, 16, v9
	v_pk_mul_bf16 v20, v19, v5
	s_wait_loadcnt 0x0
	v_pk_mul_bf16 v6, v18, v44
	s_delay_alu instid0(VALU_DEP_3)
	v_dual_add_f32 v21, v3, v2 :: v_dual_lshlrev_b32 v24, 16, v4
	v_pk_mul_bf16 v2, v23, v42
	v_and_b32_e32 v23, 0xffff0000, v4
	v_pk_mul_bf16 v4, v22, v43
	v_pk_mul_bf16 v8, v19, v45
	v_and_b32_e32 v16, 0xffff0000, v9
	v_and_b32_e32 v3, 0xffff0000, v2
	v_lshlrev_b32_e32 v5, 16, v2
	v_and_b32_e32 v2, 0xffff0000, v4
	v_lshlrev_b32_e32 v4, 16, v4
	;; [unrolled: 2-line block ×4, first 2 shown]
	v_pk_add_f32 v[2:3], v[4:5], v[2:3]
	v_dual_add_f32 v18, v24, v23 :: v_dual_lshlrev_b32 v19, 16, v20
	v_and_b32_e32 v20, 0xffff0000, v20
	s_delay_alu instid0(VALU_DEP_4) | instskip(NEXT) | instid1(VALU_DEP_4)
	v_pk_add_f32 v[4:5], v[8:9], v[6:7]
	v_dual_add_f32 v2, v2, v3 :: v_dual_add_f32 v3, v13, v17
	s_delay_alu instid0(VALU_DEP_4) | instskip(NEXT) | instid1(VALU_DEP_2)
	v_dual_add_f32 v6, v15, v16 :: v_dual_add_f32 v7, v18, v21
	v_dual_add_f32 v8, v19, v20 :: v_dual_add_f32 v2, v5, v2
	;; [unrolled: 1-line block ×3, first 2 shown]
	s_delay_alu instid0(VALU_DEP_3) | instskip(NEXT) | instid1(VALU_DEP_3)
	v_add_f32_e32 v3, v6, v3
	v_add_f32_e32 v6, v8, v7
	s_delay_alu instid0(VALU_DEP_3) | instskip(NEXT) | instid1(VALU_DEP_3)
	v_dual_add_f32 v2, v4, v2 :: v_dual_add_f32 v69, v69, v5
	v_dual_add_f32 v68, v68, v9 :: v_dual_add_f32 v71, v71, v3
	s_delay_alu instid0(VALU_DEP_3) | instskip(NEXT) | instid1(VALU_DEP_3)
	v_add_f32_e32 v70, v70, v6
	v_add_f32_e32 v61, v61, v2
.LBB133_48:                             ;   in Loop: Header=BB133_49 Depth=1
	s_or_b32 exec_lo, exec_lo, s19
	v_add_nc_u32_e32 v82, 4, v82
	v_add_nc_u64_e32 v[74:75], 16, v[74:75]
	v_add_nc_u32_e32 v58, 64, v58
	v_add_nc_u32_e32 v81, 0x100, v81
	s_delay_alu instid0(VALU_DEP_4) | instskip(SKIP_1) | instid1(SALU_CYCLE_1)
	v_cmp_le_i32_e32 vcc_lo, s34, v82
	s_or_b32 s18, vcc_lo, s18
	s_and_not1_b32 exec_lo, exec_lo, s18
	s_cbranch_execz .LBB133_74
.LBB133_49:                             ; =>This Inner Loop Header: Depth=1
	v_mul_u64_e32 v[2:3], s[16:17], v[58:59]
	s_delay_alu instid0(VALU_DEP_1) | instskip(NEXT) | instid1(VALU_DEP_1)
	v_mul_lo_u32 v2, v3, s12
	v_dual_add_nc_u32 v4, 1, v3 :: v_dual_sub_nc_u32 v2, v58, v2
	s_delay_alu instid0(VALU_DEP_1) | instskip(SKIP_1) | instid1(VALU_DEP_2)
	v_subrev_nc_u32_e32 v5, s12, v2
	v_cmp_le_u32_e32 vcc_lo, s12, v2
	v_dual_cndmask_b32 v3, v3, v4 :: v_dual_cndmask_b32 v2, v2, v5
	s_delay_alu instid0(VALU_DEP_1) | instskip(NEXT) | instid1(VALU_DEP_2)
	v_add_nc_u32_e32 v4, 1, v3
	v_cmp_le_u32_e32 vcc_lo, s12, v2
	s_delay_alu instid0(VALU_DEP_2) | instskip(NEXT) | instid1(VALU_DEP_1)
	v_cndmask_b32_e32 v2, v3, v4, vcc_lo
	v_dual_mov_b32 v3, v59 :: v_dual_bitop2_b32 v2, s24, v2 bitop3:0x14
	s_delay_alu instid0(VALU_DEP_1) | instskip(NEXT) | instid1(VALU_DEP_1)
	v_subrev_nc_u32_e32 v6, s24, v2
	v_add_nc_u32_e32 v7, s33, v6
	v_cmp_lt_i32_e64 s0, s27, v6
	s_delay_alu instid0(VALU_DEP_2) | instskip(NEXT) | instid1(VALU_DEP_1)
	v_sub_nc_u32_e32 v2, 0, v7
	v_max_i32_e32 v2, v7, v2
	s_delay_alu instid0(VALU_DEP_1) | instskip(SKIP_1) | instid1(VALU_DEP_2)
	v_mul_u64_e32 v[4:5], s[10:11], v[2:3]
	v_ashrrev_i32_e32 v4, 31, v7
	v_mul_lo_u32 v3, v5, s26
	s_delay_alu instid0(VALU_DEP_1) | instskip(NEXT) | instid1(VALU_DEP_1)
	v_sub_nc_u32_e32 v2, v2, v3
	v_subrev_nc_u32_e32 v3, s26, v2
	v_cmp_le_u32_e32 vcc_lo, s26, v2
	s_delay_alu instid0(VALU_DEP_2) | instskip(NEXT) | instid1(VALU_DEP_1)
	v_cndmask_b32_e32 v2, v2, v3, vcc_lo
	v_subrev_nc_u32_e32 v3, s26, v2
	v_cmp_le_u32_e32 vcc_lo, s26, v2
	s_delay_alu instid0(VALU_DEP_2) | instskip(NEXT) | instid1(VALU_DEP_1)
	v_cndmask_b32_e32 v2, v2, v3, vcc_lo
	v_xor_b32_e32 v2, v2, v4
	s_delay_alu instid0(VALU_DEP_1) | instskip(NEXT) | instid1(VALU_DEP_1)
	v_sub_nc_u32_e32 v2, v2, v4
	v_cmp_eq_u32_e32 vcc_lo, 0, v2
	s_or_b32 s0, vcc_lo, s0
	s_delay_alu instid0(SALU_CYCLE_1)
	s_and_saveexec_b32 s19, s0
	s_cbranch_execz .LBB133_48
; %bb.50:                               ;   in Loop: Header=BB133_49 Depth=1
	global_load_b32 v2, v[74:75], off
	v_add_nc_u32_e32 v90, v80, v58
	v_cmp_eq_u32_e32 vcc_lo, s13, v82
	s_delay_alu instid0(VALU_DEP_2)
	v_dual_add_nc_u32 v88, 1, v90 :: v_dual_bitop2_b32 v87, 3, v90 bitop3:0x54
	v_or_b32_e32 v89, 2, v90
	v_or_b32_e32 v84, 5, v90
	v_or_b32_e32 v86, 4, v90
	v_or_b32_e32 v83, 7, v90
	v_or_b32_e32 v85, 6, v90
	s_wait_loadcnt 0x0
	v_ashrrev_i32_e32 v3, 31, v2
	s_delay_alu instid0(VALU_DEP_1) | instskip(NEXT) | instid1(VALU_DEP_1)
	v_mul_u64_e32 v[2:3], s[8:9], v[2:3]
	v_lshl_add_u64 v[42:43], v[2:3], 1, v[72:73]
	global_load_b128 v[2:5], v[42:43], off
	ds_load_2addr_b64 v[22:25], v81 offset1:1
	ds_load_2addr_b64 v[18:21], v81 offset0:2 offset1:3
	s_wait_xcnt 0x0
	s_and_saveexec_b32 s1, vcc_lo
	s_cbranch_execnz .LBB133_62
; %bb.51:                               ;   in Loop: Header=BB133_49 Depth=1
	s_or_b32 exec_lo, exec_lo, s1
	global_load_b128 v[6:9], v[42:43], off offset:512
	s_wait_xcnt 0x0
	s_and_saveexec_b32 s1, vcc_lo
	s_cbranch_execnz .LBB133_63
.LBB133_52:                             ;   in Loop: Header=BB133_49 Depth=1
	s_or_b32 exec_lo, exec_lo, s1
	global_load_b128 v[10:13], v[42:43], off offset:1024
	s_wait_xcnt 0x0
	s_and_saveexec_b32 s1, vcc_lo
	s_cbranch_execnz .LBB133_64
.LBB133_53:                             ;   in Loop: Header=BB133_49 Depth=1
	s_or_b32 exec_lo, exec_lo, s1
	global_load_b128 v[14:17], v[42:43], off offset:1536
	s_wait_xcnt 0x0
	s_and_saveexec_b32 s1, vcc_lo
	s_cbranch_execnz .LBB133_65
.LBB133_54:                             ;   in Loop: Header=BB133_49 Depth=1
	s_or_b32 exec_lo, exec_lo, s1
	global_load_b128 v[26:29], v[42:43], off offset:2048
	s_wait_xcnt 0x0
	s_and_saveexec_b32 s1, vcc_lo
	s_cbranch_execnz .LBB133_66
.LBB133_55:                             ;   in Loop: Header=BB133_49 Depth=1
	s_or_b32 exec_lo, exec_lo, s1
	global_load_b128 v[30:33], v[42:43], off offset:2560
	s_wait_xcnt 0x0
	s_and_saveexec_b32 s1, vcc_lo
	s_cbranch_execnz .LBB133_67
.LBB133_56:                             ;   in Loop: Header=BB133_49 Depth=1
	s_or_b32 exec_lo, exec_lo, s1
	global_load_b128 v[34:37], v[42:43], off offset:3072
	s_wait_xcnt 0x0
	s_and_saveexec_b32 s1, vcc_lo
	s_cbranch_execnz .LBB133_68
.LBB133_57:                             ;   in Loop: Header=BB133_49 Depth=1
	s_or_b32 exec_lo, exec_lo, s1
	global_load_b128 v[38:41], v[42:43], off offset:3584
	s_wait_xcnt 0x0
	s_and_saveexec_b32 s20, vcc_lo
	s_cbranch_execnz .LBB133_69
.LBB133_58:                             ;   in Loop: Header=BB133_49 Depth=1
	s_or_b32 exec_lo, exec_lo, s20
	global_load_b128 v[46:49], v[42:43], off offset:4096
	s_wait_xcnt 0x0
	s_and_saveexec_b32 s1, vcc_lo
	s_cbranch_execnz .LBB133_70
.LBB133_59:                             ;   in Loop: Header=BB133_49 Depth=1
	s_or_b32 exec_lo, exec_lo, s1
	global_load_b128 v[50:53], v[42:43], off offset:4608
	s_wait_xcnt 0x0
	s_and_saveexec_b32 s1, vcc_lo
	s_cbranch_execnz .LBB133_71
.LBB133_60:                             ;   in Loop: Header=BB133_49 Depth=1
	s_or_b32 exec_lo, exec_lo, s1
	global_load_b128 v[54:57], v[42:43], off offset:5120
	s_wait_xcnt 0x0
	s_and_saveexec_b32 s1, vcc_lo
	s_cbranch_execnz .LBB133_72
.LBB133_61:                             ;   in Loop: Header=BB133_49 Depth=1
	s_or_b32 exec_lo, exec_lo, s1
	global_load_b128 v[42:45], v[42:43], off offset:5632
	s_wait_xcnt 0x0
	s_and_saveexec_b32 s0, vcc_lo
	s_cbranch_execz .LBB133_47
	s_branch .LBB133_73
.LBB133_62:                             ;   in Loop: Header=BB133_49 Depth=1
	v_cmp_gt_i32_e64 s0, s31, v90
	s_wait_loadcnt 0x0
	v_dual_lshrrev_b32 v6, 16, v2 :: v_dual_lshrrev_b32 v8, 16, v4
	s_delay_alu instid0(VALU_DEP_2) | instskip(SKIP_1) | instid1(VALU_DEP_1)
	v_cndmask_b32_e64 v2, 0, v2, s0
	v_cmp_gt_i32_e64 s0, s5, v88
	v_dual_lshrrev_b32 v7, 16, v3 :: v_dual_cndmask_b32 v6, 0, v6, s0
	v_cmp_gt_i32_e64 s0, s31, v89
	s_delay_alu instid0(VALU_DEP_2) | instskip(NEXT) | instid1(VALU_DEP_2)
	v_perm_b32 v2, v6, v2, 0x5040100
	v_cndmask_b32_e64 v3, 0, v3, s0
	v_cmp_gt_i32_e64 s0, s5, v87
	s_delay_alu instid0(VALU_DEP_1) | instskip(SKIP_1) | instid1(VALU_DEP_1)
	v_cndmask_b32_e64 v7, 0, v7, s0
	v_cmp_gt_i32_e64 s0, s31, v86
	v_cndmask_b32_e64 v4, 0, v4, s0
	v_cmp_gt_i32_e64 s0, s5, v84
	v_lshrrev_b32_e32 v9, 16, v5
	v_perm_b32 v3, v7, v3, 0x5040100
	s_delay_alu instid0(VALU_DEP_3) | instskip(SKIP_1) | instid1(VALU_DEP_2)
	v_cndmask_b32_e64 v8, 0, v8, s0
	v_cmp_gt_i32_e64 s0, s31, v85
	v_perm_b32 v4, v8, v4, 0x5040100
	s_delay_alu instid0(VALU_DEP_2) | instskip(SKIP_1) | instid1(VALU_DEP_1)
	v_cndmask_b32_e64 v5, 0, v5, s0
	v_cmp_gt_i32_e64 s0, s5, v83
	v_cndmask_b32_e64 v9, 0, v9, s0
	s_delay_alu instid0(VALU_DEP_1)
	v_perm_b32 v5, v9, v5, 0x5040100
	s_or_b32 exec_lo, exec_lo, s1
	global_load_b128 v[6:9], v[42:43], off offset:512
	s_wait_xcnt 0x0
	s_and_saveexec_b32 s1, vcc_lo
	s_cbranch_execz .LBB133_52
.LBB133_63:                             ;   in Loop: Header=BB133_49 Depth=1
	v_cmp_gt_i32_e64 s0, s31, v90
	s_wait_loadcnt 0x0
	v_dual_lshrrev_b32 v10, 16, v6 :: v_dual_lshrrev_b32 v12, 16, v8
	s_delay_alu instid0(VALU_DEP_2) | instskip(SKIP_1) | instid1(VALU_DEP_1)
	v_cndmask_b32_e64 v6, 0, v6, s0
	v_cmp_gt_i32_e64 s0, s5, v88
	v_dual_lshrrev_b32 v11, 16, v7 :: v_dual_cndmask_b32 v10, 0, v10, s0
	v_cmp_gt_i32_e64 s0, s31, v89
	s_delay_alu instid0(VALU_DEP_2) | instskip(NEXT) | instid1(VALU_DEP_2)
	v_perm_b32 v6, v10, v6, 0x5040100
	v_cndmask_b32_e64 v7, 0, v7, s0
	v_cmp_gt_i32_e64 s0, s5, v87
	s_delay_alu instid0(VALU_DEP_1) | instskip(SKIP_1) | instid1(VALU_DEP_1)
	v_cndmask_b32_e64 v11, 0, v11, s0
	v_cmp_gt_i32_e64 s0, s31, v86
	v_cndmask_b32_e64 v8, 0, v8, s0
	v_cmp_gt_i32_e64 s0, s5, v84
	v_lshrrev_b32_e32 v13, 16, v9
	v_perm_b32 v7, v11, v7, 0x5040100
	s_delay_alu instid0(VALU_DEP_3) | instskip(SKIP_1) | instid1(VALU_DEP_2)
	v_cndmask_b32_e64 v12, 0, v12, s0
	v_cmp_gt_i32_e64 s0, s31, v85
	v_perm_b32 v8, v12, v8, 0x5040100
	s_delay_alu instid0(VALU_DEP_2) | instskip(SKIP_1) | instid1(VALU_DEP_1)
	v_cndmask_b32_e64 v9, 0, v9, s0
	v_cmp_gt_i32_e64 s0, s5, v83
	v_cndmask_b32_e64 v13, 0, v13, s0
	s_delay_alu instid0(VALU_DEP_1)
	v_perm_b32 v9, v13, v9, 0x5040100
	s_or_b32 exec_lo, exec_lo, s1
	global_load_b128 v[10:13], v[42:43], off offset:1024
	s_wait_xcnt 0x0
	s_and_saveexec_b32 s1, vcc_lo
	s_cbranch_execz .LBB133_53
.LBB133_64:                             ;   in Loop: Header=BB133_49 Depth=1
	v_cmp_gt_i32_e64 s0, s31, v90
	s_wait_loadcnt 0x0
	v_dual_lshrrev_b32 v14, 16, v10 :: v_dual_lshrrev_b32 v16, 16, v12
	s_delay_alu instid0(VALU_DEP_2) | instskip(SKIP_1) | instid1(VALU_DEP_1)
	v_cndmask_b32_e64 v10, 0, v10, s0
	v_cmp_gt_i32_e64 s0, s5, v88
	v_dual_lshrrev_b32 v15, 16, v11 :: v_dual_cndmask_b32 v14, 0, v14, s0
	v_cmp_gt_i32_e64 s0, s31, v89
	s_delay_alu instid0(VALU_DEP_2) | instskip(NEXT) | instid1(VALU_DEP_2)
	v_perm_b32 v10, v14, v10, 0x5040100
	v_cndmask_b32_e64 v11, 0, v11, s0
	v_cmp_gt_i32_e64 s0, s5, v87
	s_delay_alu instid0(VALU_DEP_1) | instskip(SKIP_1) | instid1(VALU_DEP_1)
	v_cndmask_b32_e64 v15, 0, v15, s0
	v_cmp_gt_i32_e64 s0, s31, v86
	v_cndmask_b32_e64 v12, 0, v12, s0
	v_cmp_gt_i32_e64 s0, s5, v84
	v_lshrrev_b32_e32 v17, 16, v13
	v_perm_b32 v11, v15, v11, 0x5040100
	s_delay_alu instid0(VALU_DEP_3) | instskip(SKIP_1) | instid1(VALU_DEP_2)
	v_cndmask_b32_e64 v16, 0, v16, s0
	v_cmp_gt_i32_e64 s0, s31, v85
	v_perm_b32 v12, v16, v12, 0x5040100
	s_delay_alu instid0(VALU_DEP_2) | instskip(SKIP_1) | instid1(VALU_DEP_1)
	v_cndmask_b32_e64 v13, 0, v13, s0
	v_cmp_gt_i32_e64 s0, s5, v83
	v_cndmask_b32_e64 v17, 0, v17, s0
	s_delay_alu instid0(VALU_DEP_1)
	v_perm_b32 v13, v17, v13, 0x5040100
	s_or_b32 exec_lo, exec_lo, s1
	global_load_b128 v[14:17], v[42:43], off offset:1536
	s_wait_xcnt 0x0
	s_and_saveexec_b32 s1, vcc_lo
	s_cbranch_execz .LBB133_54
.LBB133_65:                             ;   in Loop: Header=BB133_49 Depth=1
	v_cmp_gt_i32_e64 s0, s31, v90
	s_wait_loadcnt 0x0
	v_dual_lshrrev_b32 v26, 16, v14 :: v_dual_lshrrev_b32 v28, 16, v16
	s_delay_alu instid0(VALU_DEP_2) | instskip(SKIP_1) | instid1(VALU_DEP_1)
	v_cndmask_b32_e64 v14, 0, v14, s0
	v_cmp_gt_i32_e64 s0, s5, v88
	v_dual_lshrrev_b32 v27, 16, v15 :: v_dual_cndmask_b32 v26, 0, v26, s0
	v_cmp_gt_i32_e64 s0, s31, v89
	s_delay_alu instid0(VALU_DEP_2) | instskip(NEXT) | instid1(VALU_DEP_2)
	v_perm_b32 v14, v26, v14, 0x5040100
	v_cndmask_b32_e64 v15, 0, v15, s0
	v_cmp_gt_i32_e64 s0, s5, v87
	s_delay_alu instid0(VALU_DEP_1) | instskip(SKIP_1) | instid1(VALU_DEP_1)
	v_cndmask_b32_e64 v27, 0, v27, s0
	v_cmp_gt_i32_e64 s0, s31, v86
	v_cndmask_b32_e64 v16, 0, v16, s0
	v_cmp_gt_i32_e64 s0, s5, v84
	v_lshrrev_b32_e32 v29, 16, v17
	v_perm_b32 v15, v27, v15, 0x5040100
	s_delay_alu instid0(VALU_DEP_3) | instskip(SKIP_1) | instid1(VALU_DEP_2)
	v_cndmask_b32_e64 v28, 0, v28, s0
	v_cmp_gt_i32_e64 s0, s31, v85
	v_perm_b32 v16, v28, v16, 0x5040100
	s_delay_alu instid0(VALU_DEP_2) | instskip(SKIP_1) | instid1(VALU_DEP_1)
	v_cndmask_b32_e64 v17, 0, v17, s0
	v_cmp_gt_i32_e64 s0, s5, v83
	v_cndmask_b32_e64 v29, 0, v29, s0
	s_delay_alu instid0(VALU_DEP_1)
	v_perm_b32 v17, v29, v17, 0x5040100
	s_or_b32 exec_lo, exec_lo, s1
	global_load_b128 v[26:29], v[42:43], off offset:2048
	s_wait_xcnt 0x0
	s_and_saveexec_b32 s1, vcc_lo
	s_cbranch_execz .LBB133_55
.LBB133_66:                             ;   in Loop: Header=BB133_49 Depth=1
	v_cmp_gt_i32_e64 s0, s31, v90
	s_wait_loadcnt 0x0
	v_dual_lshrrev_b32 v30, 16, v26 :: v_dual_lshrrev_b32 v32, 16, v28
	s_delay_alu instid0(VALU_DEP_2) | instskip(SKIP_1) | instid1(VALU_DEP_1)
	v_cndmask_b32_e64 v26, 0, v26, s0
	v_cmp_gt_i32_e64 s0, s5, v88
	v_dual_lshrrev_b32 v31, 16, v27 :: v_dual_cndmask_b32 v30, 0, v30, s0
	v_cmp_gt_i32_e64 s0, s31, v89
	s_delay_alu instid0(VALU_DEP_2) | instskip(NEXT) | instid1(VALU_DEP_2)
	v_perm_b32 v26, v30, v26, 0x5040100
	v_cndmask_b32_e64 v27, 0, v27, s0
	v_cmp_gt_i32_e64 s0, s5, v87
	s_delay_alu instid0(VALU_DEP_1) | instskip(SKIP_1) | instid1(VALU_DEP_1)
	v_cndmask_b32_e64 v31, 0, v31, s0
	v_cmp_gt_i32_e64 s0, s31, v86
	v_cndmask_b32_e64 v28, 0, v28, s0
	v_cmp_gt_i32_e64 s0, s5, v84
	v_lshrrev_b32_e32 v33, 16, v29
	v_perm_b32 v27, v31, v27, 0x5040100
	s_delay_alu instid0(VALU_DEP_3) | instskip(SKIP_1) | instid1(VALU_DEP_2)
	v_cndmask_b32_e64 v32, 0, v32, s0
	v_cmp_gt_i32_e64 s0, s31, v85
	v_perm_b32 v28, v32, v28, 0x5040100
	s_delay_alu instid0(VALU_DEP_2) | instskip(SKIP_1) | instid1(VALU_DEP_1)
	v_cndmask_b32_e64 v29, 0, v29, s0
	v_cmp_gt_i32_e64 s0, s5, v83
	v_cndmask_b32_e64 v33, 0, v33, s0
	s_delay_alu instid0(VALU_DEP_1)
	v_perm_b32 v29, v33, v29, 0x5040100
	s_or_b32 exec_lo, exec_lo, s1
	global_load_b128 v[30:33], v[42:43], off offset:2560
	s_wait_xcnt 0x0
	s_and_saveexec_b32 s1, vcc_lo
	s_cbranch_execz .LBB133_56
.LBB133_67:                             ;   in Loop: Header=BB133_49 Depth=1
	v_cmp_gt_i32_e64 s0, s31, v90
	s_wait_loadcnt 0x0
	v_dual_lshrrev_b32 v34, 16, v30 :: v_dual_lshrrev_b32 v36, 16, v32
	s_delay_alu instid0(VALU_DEP_2) | instskip(SKIP_1) | instid1(VALU_DEP_1)
	v_cndmask_b32_e64 v30, 0, v30, s0
	v_cmp_gt_i32_e64 s0, s5, v88
	v_dual_lshrrev_b32 v35, 16, v31 :: v_dual_cndmask_b32 v34, 0, v34, s0
	v_cmp_gt_i32_e64 s0, s31, v89
	s_delay_alu instid0(VALU_DEP_2) | instskip(NEXT) | instid1(VALU_DEP_2)
	v_perm_b32 v30, v34, v30, 0x5040100
	v_cndmask_b32_e64 v31, 0, v31, s0
	v_cmp_gt_i32_e64 s0, s5, v87
	s_delay_alu instid0(VALU_DEP_1) | instskip(SKIP_1) | instid1(VALU_DEP_1)
	v_cndmask_b32_e64 v35, 0, v35, s0
	v_cmp_gt_i32_e64 s0, s31, v86
	v_cndmask_b32_e64 v32, 0, v32, s0
	v_cmp_gt_i32_e64 s0, s5, v84
	v_lshrrev_b32_e32 v37, 16, v33
	v_perm_b32 v31, v35, v31, 0x5040100
	s_delay_alu instid0(VALU_DEP_3) | instskip(SKIP_1) | instid1(VALU_DEP_2)
	v_cndmask_b32_e64 v36, 0, v36, s0
	v_cmp_gt_i32_e64 s0, s31, v85
	v_perm_b32 v32, v36, v32, 0x5040100
	s_delay_alu instid0(VALU_DEP_2) | instskip(SKIP_1) | instid1(VALU_DEP_1)
	v_cndmask_b32_e64 v33, 0, v33, s0
	v_cmp_gt_i32_e64 s0, s5, v83
	v_cndmask_b32_e64 v37, 0, v37, s0
	s_delay_alu instid0(VALU_DEP_1)
	v_perm_b32 v33, v37, v33, 0x5040100
	s_or_b32 exec_lo, exec_lo, s1
	global_load_b128 v[34:37], v[42:43], off offset:3072
	s_wait_xcnt 0x0
	s_and_saveexec_b32 s1, vcc_lo
	s_cbranch_execz .LBB133_57
.LBB133_68:                             ;   in Loop: Header=BB133_49 Depth=1
	v_cmp_gt_i32_e64 s0, s31, v90
	s_wait_loadcnt 0x0
	v_dual_lshrrev_b32 v38, 16, v34 :: v_dual_lshrrev_b32 v40, 16, v36
	s_delay_alu instid0(VALU_DEP_2) | instskip(SKIP_1) | instid1(VALU_DEP_1)
	v_cndmask_b32_e64 v34, 0, v34, s0
	v_cmp_gt_i32_e64 s0, s5, v88
	v_dual_lshrrev_b32 v39, 16, v35 :: v_dual_cndmask_b32 v38, 0, v38, s0
	v_cmp_gt_i32_e64 s0, s31, v89
	s_delay_alu instid0(VALU_DEP_2) | instskip(NEXT) | instid1(VALU_DEP_2)
	v_perm_b32 v34, v38, v34, 0x5040100
	v_cndmask_b32_e64 v35, 0, v35, s0
	v_cmp_gt_i32_e64 s0, s5, v87
	s_delay_alu instid0(VALU_DEP_1) | instskip(SKIP_1) | instid1(VALU_DEP_1)
	v_cndmask_b32_e64 v39, 0, v39, s0
	v_cmp_gt_i32_e64 s0, s31, v86
	v_cndmask_b32_e64 v36, 0, v36, s0
	v_cmp_gt_i32_e64 s0, s5, v84
	v_lshrrev_b32_e32 v41, 16, v37
	v_perm_b32 v35, v39, v35, 0x5040100
	s_delay_alu instid0(VALU_DEP_3) | instskip(SKIP_1) | instid1(VALU_DEP_2)
	v_cndmask_b32_e64 v40, 0, v40, s0
	v_cmp_gt_i32_e64 s0, s31, v85
	v_perm_b32 v36, v40, v36, 0x5040100
	s_delay_alu instid0(VALU_DEP_2) | instskip(SKIP_1) | instid1(VALU_DEP_1)
	v_cndmask_b32_e64 v37, 0, v37, s0
	v_cmp_gt_i32_e64 s0, s5, v83
	v_cndmask_b32_e64 v41, 0, v41, s0
	s_delay_alu instid0(VALU_DEP_1)
	v_perm_b32 v37, v41, v37, 0x5040100
	s_or_b32 exec_lo, exec_lo, s1
	global_load_b128 v[38:41], v[42:43], off offset:3584
	s_wait_xcnt 0x0
	s_and_saveexec_b32 s20, vcc_lo
	s_cbranch_execz .LBB133_58
.LBB133_69:                             ;   in Loop: Header=BB133_49 Depth=1
	s_wait_loadcnt 0x0
	v_dual_lshrrev_b32 v44, 16, v38 :: v_dual_lshrrev_b32 v45, 16, v39
	v_cmp_gt_i32_e64 s0, s31, v90
	v_cmp_gt_i32_e64 s1, s5, v88
	;; [unrolled: 1-line block ×3, first 2 shown]
	v_lshrrev_b32_e32 v46, 16, v40
	v_cmp_gt_i32_e64 s3, s31, v85
	s_delay_alu instid0(VALU_DEP_4) | instskip(NEXT) | instid1(VALU_DEP_4)
	v_dual_cndmask_b32 v38, 0, v38, s0 :: v_dual_cndmask_b32 v44, 0, v44, s1
	v_cndmask_b32_e64 v39, 0, v39, s2
	v_cmp_gt_i32_e64 s0, s5, v87
	v_cmp_gt_i32_e64 s1, s31, v86
	v_lshrrev_b32_e32 v47, 16, v41
	v_cmp_gt_i32_e64 s2, s5, v84
	v_cmp_gt_i32_e64 s4, s5, v83
	s_delay_alu instid0(VALU_DEP_4) | instskip(NEXT) | instid1(VALU_DEP_3)
	v_dual_cndmask_b32 v45, 0, v45, s0 :: v_dual_cndmask_b32 v40, 0, v40, s1
	v_dual_cndmask_b32 v41, 0, v41, s3 :: v_dual_cndmask_b32 v46, 0, v46, s2
	s_delay_alu instid0(VALU_DEP_3) | instskip(SKIP_1) | instid1(VALU_DEP_4)
	v_cndmask_b32_e64 v47, 0, v47, s4
	v_perm_b32 v38, v44, v38, 0x5040100
	v_perm_b32 v39, v45, v39, 0x5040100
	s_delay_alu instid0(VALU_DEP_4) | instskip(NEXT) | instid1(VALU_DEP_4)
	v_perm_b32 v40, v46, v40, 0x5040100
	v_perm_b32 v41, v47, v41, 0x5040100
	s_or_b32 exec_lo, exec_lo, s20
	global_load_b128 v[46:49], v[42:43], off offset:4096
	s_wait_xcnt 0x0
	s_and_saveexec_b32 s1, vcc_lo
	s_cbranch_execz .LBB133_59
.LBB133_70:                             ;   in Loop: Header=BB133_49 Depth=1
	v_cmp_gt_i32_e64 s0, s31, v90
	s_wait_loadcnt 0x0
	s_delay_alu instid0(VALU_DEP_1) | instskip(SKIP_1) | instid1(VALU_DEP_1)
	v_dual_lshrrev_b32 v44, 16, v46 :: v_dual_cndmask_b32 v45, 0, v46, s0
	v_cmp_gt_i32_e64 s0, s5, v88
	v_dual_lshrrev_b32 v46, 16, v47 :: v_dual_cndmask_b32 v44, 0, v44, s0
	v_cmp_gt_i32_e64 s0, s31, v89
	s_delay_alu instid0(VALU_DEP_1) | instskip(SKIP_1) | instid1(VALU_DEP_1)
	v_cndmask_b32_e64 v47, 0, v47, s0
	v_cmp_gt_i32_e64 s0, s5, v87
	v_cndmask_b32_e64 v50, 0, v46, s0
	v_cmp_gt_i32_e64 s0, s31, v86
	v_lshrrev_b32_e32 v46, 16, v48
	s_delay_alu instid0(VALU_DEP_3) | instskip(NEXT) | instid1(VALU_DEP_3)
	v_perm_b32 v47, v50, v47, 0x5040100
	v_cndmask_b32_e64 v48, 0, v48, s0
	v_cmp_gt_i32_e64 s0, s5, v84
	s_delay_alu instid0(VALU_DEP_1) | instskip(SKIP_2) | instid1(VALU_DEP_3)
	v_dual_lshrrev_b32 v51, 16, v49 :: v_dual_cndmask_b32 v52, 0, v46, s0
	v_cmp_gt_i32_e64 s0, s31, v85
	v_perm_b32 v46, v44, v45, 0x5040100
	v_perm_b32 v48, v52, v48, 0x5040100
	s_delay_alu instid0(VALU_DEP_3) | instskip(SKIP_1) | instid1(VALU_DEP_1)
	v_cndmask_b32_e64 v49, 0, v49, s0
	v_cmp_gt_i32_e64 s0, s5, v83
	v_cndmask_b32_e64 v51, 0, v51, s0
	s_delay_alu instid0(VALU_DEP_1)
	v_perm_b32 v49, v51, v49, 0x5040100
	s_or_b32 exec_lo, exec_lo, s1
	global_load_b128 v[50:53], v[42:43], off offset:4608
	s_wait_xcnt 0x0
	s_and_saveexec_b32 s1, vcc_lo
	s_cbranch_execz .LBB133_60
.LBB133_71:                             ;   in Loop: Header=BB133_49 Depth=1
	v_cmp_gt_i32_e64 s0, s31, v90
	s_wait_loadcnt 0x0
	s_delay_alu instid0(VALU_DEP_1) | instskip(SKIP_1) | instid1(VALU_DEP_1)
	v_dual_lshrrev_b32 v44, 16, v50 :: v_dual_cndmask_b32 v45, 0, v50, s0
	v_cmp_gt_i32_e64 s0, s5, v88
	v_dual_lshrrev_b32 v50, 16, v51 :: v_dual_cndmask_b32 v44, 0, v44, s0
	v_cmp_gt_i32_e64 s0, s31, v89
	s_delay_alu instid0(VALU_DEP_1) | instskip(SKIP_1) | instid1(VALU_DEP_1)
	v_cndmask_b32_e64 v51, 0, v51, s0
	v_cmp_gt_i32_e64 s0, s5, v87
	v_cndmask_b32_e64 v54, 0, v50, s0
	v_cmp_gt_i32_e64 s0, s31, v86
	v_lshrrev_b32_e32 v50, 16, v52
	s_delay_alu instid0(VALU_DEP_3) | instskip(NEXT) | instid1(VALU_DEP_3)
	v_perm_b32 v51, v54, v51, 0x5040100
	v_cndmask_b32_e64 v52, 0, v52, s0
	v_cmp_gt_i32_e64 s0, s5, v84
	s_delay_alu instid0(VALU_DEP_1) | instskip(SKIP_2) | instid1(VALU_DEP_3)
	v_dual_lshrrev_b32 v55, 16, v53 :: v_dual_cndmask_b32 v56, 0, v50, s0
	v_cmp_gt_i32_e64 s0, s31, v85
	v_perm_b32 v50, v44, v45, 0x5040100
	v_perm_b32 v52, v56, v52, 0x5040100
	s_delay_alu instid0(VALU_DEP_3) | instskip(SKIP_1) | instid1(VALU_DEP_1)
	v_cndmask_b32_e64 v53, 0, v53, s0
	v_cmp_gt_i32_e64 s0, s5, v83
	v_cndmask_b32_e64 v55, 0, v55, s0
	s_delay_alu instid0(VALU_DEP_1)
	v_perm_b32 v53, v55, v53, 0x5040100
	s_or_b32 exec_lo, exec_lo, s1
	global_load_b128 v[54:57], v[42:43], off offset:5120
	s_wait_xcnt 0x0
	s_and_saveexec_b32 s1, vcc_lo
	s_cbranch_execz .LBB133_61
.LBB133_72:                             ;   in Loop: Header=BB133_49 Depth=1
	v_cmp_gt_i32_e64 s0, s31, v90
	s_wait_loadcnt 0x0
	s_delay_alu instid0(VALU_DEP_1) | instskip(SKIP_1) | instid1(VALU_DEP_1)
	v_dual_lshrrev_b32 v44, 16, v54 :: v_dual_cndmask_b32 v45, 0, v54, s0
	v_cmp_gt_i32_e64 s0, s5, v88
	v_dual_lshrrev_b32 v54, 16, v55 :: v_dual_cndmask_b32 v44, 0, v44, s0
	v_cmp_gt_i32_e64 s0, s31, v89
	s_delay_alu instid0(VALU_DEP_1) | instskip(SKIP_1) | instid1(VALU_DEP_1)
	v_cndmask_b32_e64 v55, 0, v55, s0
	v_cmp_gt_i32_e64 s0, s5, v87
	v_cndmask_b32_e64 v91, 0, v54, s0
	v_cmp_gt_i32_e64 s0, s31, v86
	v_lshrrev_b32_e32 v54, 16, v56
	s_delay_alu instid0(VALU_DEP_3) | instskip(NEXT) | instid1(VALU_DEP_3)
	v_perm_b32 v55, v91, v55, 0x5040100
	v_cndmask_b32_e64 v56, 0, v56, s0
	v_cmp_gt_i32_e64 s0, s5, v84
	s_delay_alu instid0(VALU_DEP_1) | instskip(SKIP_2) | instid1(VALU_DEP_3)
	v_dual_lshrrev_b32 v92, 16, v57 :: v_dual_cndmask_b32 v93, 0, v54, s0
	v_cmp_gt_i32_e64 s0, s31, v85
	v_perm_b32 v54, v44, v45, 0x5040100
	v_perm_b32 v56, v93, v56, 0x5040100
	s_delay_alu instid0(VALU_DEP_3) | instskip(SKIP_1) | instid1(VALU_DEP_1)
	v_cndmask_b32_e64 v57, 0, v57, s0
	v_cmp_gt_i32_e64 s0, s5, v83
	v_cndmask_b32_e64 v92, 0, v92, s0
	s_delay_alu instid0(VALU_DEP_1)
	v_perm_b32 v57, v92, v57, 0x5040100
	s_or_b32 exec_lo, exec_lo, s1
	global_load_b128 v[42:45], v[42:43], off offset:5632
	s_wait_xcnt 0x0
	s_and_saveexec_b32 s0, vcc_lo
	s_cbranch_execz .LBB133_47
.LBB133_73:                             ;   in Loop: Header=BB133_49 Depth=1
	v_cmp_gt_i32_e32 vcc_lo, s31, v90
	s_wait_loadcnt 0x0
	v_dual_cndmask_b32 v42, 0, v42 :: v_dual_lshrrev_b32 v91, 16, v42
	v_cmp_gt_i32_e32 vcc_lo, s5, v88
	s_delay_alu instid0(VALU_DEP_2) | instskip(SKIP_3) | instid1(VALU_DEP_2)
	v_cndmask_b32_e32 v88, 0, v91, vcc_lo
	v_cmp_gt_i32_e32 vcc_lo, s31, v89
	v_dual_cndmask_b32 v43, 0, v43 :: v_dual_lshrrev_b32 v90, 16, v43
	v_cmp_gt_i32_e32 vcc_lo, s5, v87
	v_cndmask_b32_e32 v87, 0, v90, vcc_lo
	v_cmp_gt_i32_e32 vcc_lo, s31, v86
	v_lshrrev_b32_e32 v89, 16, v44
	v_perm_b32 v42, v88, v42, 0x5040100
	s_delay_alu instid0(VALU_DEP_4)
	v_perm_b32 v43, v87, v43, 0x5040100
	v_cndmask_b32_e32 v44, 0, v44, vcc_lo
	v_cmp_gt_i32_e32 vcc_lo, s5, v84
	v_cndmask_b32_e32 v84, 0, v89, vcc_lo
	v_cmp_gt_i32_e32 vcc_lo, s31, v85
	v_dual_cndmask_b32 v45, 0, v45 :: v_dual_lshrrev_b32 v86, 16, v45
	v_cmp_gt_i32_e32 vcc_lo, s5, v83
	s_delay_alu instid0(VALU_DEP_2) | instskip(SKIP_1) | instid1(VALU_DEP_2)
	v_cndmask_b32_e32 v83, 0, v86, vcc_lo
	v_perm_b32 v44, v84, v44, 0x5040100
	v_perm_b32 v45, v83, v45, 0x5040100
	s_branch .LBB133_47
.LBB133_74:
	s_or_b32 exec_lo, exec_lo, s18
.LBB133_75:
	s_delay_alu instid0(SALU_CYCLE_1)
	s_or_b32 exec_lo, exec_lo, s25
	ds_bpermute_b32 v2, v79, v70
	ds_bpermute_b32 v3, v79, v71
	;; [unrolled: 1-line block ×12, first 2 shown]
	v_lshrrev_b32_e32 v14, 1, v78
	v_and_b32_e32 v15, 0x3c1, v0
	s_mov_b32 s0, exec_lo
	s_wait_dscnt 0x0
	s_barrier_signal -1
	s_barrier_wait -1
	v_pk_add_f32 v[10:11], v[70:71], v[2:3]
	v_pk_add_f32 v[8:9], v[68:69], v[4:5]
	;; [unrolled: 1-line block ×5, first 2 shown]
	v_cmpx_ne_u32_e32 64, v15
	s_xor_b32 s0, exec_lo, s0
	s_delay_alu instid0(SALU_CYCLE_1)
	s_or_saveexec_b32 s0, s0
	v_pk_add_f32 v[12:13], v[60:61], v[12:13]
	v_lshl_add_u32 v15, v14, 2, 0x1a0
	v_mul_u32_u24_e32 v16, 0x300, v77
	s_xor_b32 exec_lo, exec_lo, s0
	s_cbranch_execz .LBB133_77
; %bb.76:
	s_delay_alu instid0(VALU_DEP_1) | instskip(NEXT) | instid1(VALU_DEP_1)
	v_add_nc_u32_e32 v17, v15, v16
	v_add_nc_u32_e32 v18, 0xfffffa00, v17
	;; [unrolled: 1-line block ×13, first 2 shown]
	ds_store_b32 v18, v10
	ds_store_b32 v19, v11
	;; [unrolled: 1-line block ×12, first 2 shown]
.LBB133_77:
	s_or_b32 exec_lo, exec_lo, s0
	v_lshlrev_b32_e32 v14, 2, v14
	s_mov_b32 s1, exec_lo
	v_cmp_eq_u32_e32 vcc_lo, 0, v76
	s_wait_dscnt 0x0
	s_barrier_signal -1
	v_add3_u32 v14, 0x1a0, v16, v14
	s_barrier_wait -1
	v_cmpx_gt_u32_e32 64, v0
	s_cbranch_execz .LBB133_92
; %bb.78:
	s_and_saveexec_b32 s0, vcc_lo
	s_cbranch_execnz .LBB133_112
; %bb.79:
	s_or_b32 exec_lo, exec_lo, s0
	s_and_saveexec_b32 s0, vcc_lo
	s_cbranch_execnz .LBB133_113
.LBB133_80:
	s_or_b32 exec_lo, exec_lo, s0
	s_and_saveexec_b32 s0, vcc_lo
	s_cbranch_execnz .LBB133_114
.LBB133_81:
	s_or_b32 exec_lo, exec_lo, s0
	s_and_saveexec_b32 s0, vcc_lo
	s_cbranch_execnz .LBB133_115
.LBB133_82:
	s_or_b32 exec_lo, exec_lo, s0
	s_and_saveexec_b32 s0, vcc_lo
	s_cbranch_execnz .LBB133_116
.LBB133_83:
	s_or_b32 exec_lo, exec_lo, s0
	s_and_saveexec_b32 s0, vcc_lo
	s_cbranch_execnz .LBB133_117
.LBB133_84:
	s_or_b32 exec_lo, exec_lo, s0
	s_and_saveexec_b32 s0, vcc_lo
	s_cbranch_execnz .LBB133_118
.LBB133_85:
	s_or_b32 exec_lo, exec_lo, s0
	s_and_saveexec_b32 s0, vcc_lo
	s_cbranch_execnz .LBB133_119
.LBB133_86:
	s_or_b32 exec_lo, exec_lo, s0
	s_and_saveexec_b32 s0, vcc_lo
	s_cbranch_execnz .LBB133_120
.LBB133_87:
	s_or_b32 exec_lo, exec_lo, s0
	s_and_saveexec_b32 s0, vcc_lo
	s_cbranch_execnz .LBB133_121
.LBB133_88:
	s_or_b32 exec_lo, exec_lo, s0
	s_and_saveexec_b32 s0, vcc_lo
	s_cbranch_execnz .LBB133_122
.LBB133_89:
	s_or_b32 exec_lo, exec_lo, s0
	s_and_saveexec_b32 s0, vcc_lo
	s_cbranch_execz .LBB133_91
.LBB133_90:
	ds_load_b32 v16, v14 offset:704
	s_wait_dscnt 0x0
	v_add_f32_e32 v13, v13, v16
.LBB133_91:
	s_or_b32 exec_lo, exec_lo, s0
.LBB133_92:
	s_delay_alu instid0(SALU_CYCLE_1) | instskip(SKIP_4) | instid1(VALU_DEP_1)
	s_or_b32 exec_lo, exec_lo, s1
	v_and_b32_e32 v16, 0x3e1, v0
	s_mov_b32 s1, exec_lo
	s_barrier_signal -1
	s_barrier_wait -1
	v_cmpx_eq_u32_e32 32, v16
	s_cbranch_execz .LBB133_94
; %bb.93:
	ds_store_2addr_b32 v15, v10, v11 offset1:16
	ds_store_2addr_b32 v15, v8, v9 offset0:32 offset1:48
	ds_store_2addr_b32 v15, v6, v7 offset0:64 offset1:80
	ds_store_2addr_b32 v15, v4, v5 offset0:96 offset1:112
	ds_store_2addr_b32 v15, v2, v3 offset0:128 offset1:144
	ds_store_2addr_b32 v15, v12, v13 offset0:160 offset1:176
.LBB133_94:
	s_or_b32 exec_lo, exec_lo, s1
	s_delay_alu instid0(SALU_CYCLE_1)
	s_mov_b32 s1, exec_lo
	s_wait_dscnt 0x0
	s_barrier_signal -1
	s_barrier_wait -1
	v_cmpx_gt_u32_e32 32, v0
	s_cbranch_execz .LBB133_109
; %bb.95:
	s_and_saveexec_b32 s0, vcc_lo
	s_cbranch_execnz .LBB133_123
; %bb.96:
	s_or_b32 exec_lo, exec_lo, s0
	s_and_saveexec_b32 s0, vcc_lo
	s_cbranch_execnz .LBB133_124
.LBB133_97:
	s_or_b32 exec_lo, exec_lo, s0
	s_and_saveexec_b32 s0, vcc_lo
	s_cbranch_execnz .LBB133_125
.LBB133_98:
	s_or_b32 exec_lo, exec_lo, s0
	s_and_saveexec_b32 s0, vcc_lo
	s_cbranch_execnz .LBB133_126
.LBB133_99:
	s_or_b32 exec_lo, exec_lo, s0
	s_and_saveexec_b32 s0, vcc_lo
	s_cbranch_execnz .LBB133_127
.LBB133_100:
	s_or_b32 exec_lo, exec_lo, s0
	s_and_saveexec_b32 s0, vcc_lo
	s_cbranch_execnz .LBB133_128
.LBB133_101:
	s_or_b32 exec_lo, exec_lo, s0
	s_and_saveexec_b32 s0, vcc_lo
	s_cbranch_execnz .LBB133_129
.LBB133_102:
	s_or_b32 exec_lo, exec_lo, s0
	s_and_saveexec_b32 s0, vcc_lo
	s_cbranch_execnz .LBB133_130
.LBB133_103:
	s_or_b32 exec_lo, exec_lo, s0
	s_and_saveexec_b32 s0, vcc_lo
	s_cbranch_execnz .LBB133_131
.LBB133_104:
	s_or_b32 exec_lo, exec_lo, s0
	s_and_saveexec_b32 s0, vcc_lo
	s_cbranch_execnz .LBB133_132
.LBB133_105:
	s_or_b32 exec_lo, exec_lo, s0
	s_and_saveexec_b32 s0, vcc_lo
	s_cbranch_execnz .LBB133_133
.LBB133_106:
	s_or_b32 exec_lo, exec_lo, s0
	s_and_saveexec_b32 s0, vcc_lo
	s_cbranch_execz .LBB133_108
.LBB133_107:
	ds_load_b32 v0, v14 offset:704
	s_wait_dscnt 0x0
	v_add_f32_e32 v13, v13, v0
.LBB133_108:
	s_or_b32 exec_lo, exec_lo, s0
.LBB133_109:
	s_delay_alu instid0(SALU_CYCLE_1)
	s_or_b32 exec_lo, exec_lo, s1
	s_mov_b32 s1, 0
	s_barrier_signal -1
	s_barrier_wait -1
	s_mov_b32 s0, exec_lo
	v_cmpx_eq_u32_e32 0, v16
	s_cbranch_execz .LBB133_111
; %bb.110:
	s_mul_i32 s0, s30, s7
	s_mul_i32 s2, s7, s6
	;; [unrolled: 1-line block ×3, first 2 shown]
	s_lshr_b32 s6, ttmp7, 16
	s_wait_kmcnt 0x0
	s_mul_i32 s4, s0, 0xc0
	s_bfe_u32 s0, ttmp6, 0x40014
	s_ashr_i32 s5, s4, 31
	s_add_co_i32 s0, s0, 1
	s_ashr_i32 s3, s2, 31
	s_mul_i32 s0, s6, s0
	s_bfe_u32 s7, ttmp6, 0x40008
	s_lshl_b64 s[4:5], s[4:5], 1
	s_lshl_b64 s[2:3], s[2:3], 1
	s_add_co_i32 s7, s7, s0
	s_cmp_eq_u32 s28, 0
	s_add_nc_u64 s[4:5], s[14:15], s[4:5]
	s_cselect_b32 s0, s6, s7
	s_add_nc_u64 s[2:3], s[4:5], s[2:3]
	s_mulk_i32 s0, 0x180
	s_delay_alu instid0(SALU_CYCLE_1) | instskip(NEXT) | instid1(SALU_CYCLE_1)
	s_add_nc_u64 s[0:1], s[2:3], s[0:1]
	v_cvt_pk_bf16_f32 v0, v10, s0
	v_cvt_pk_bf16_f32 v10, v11, s0
	;; [unrolled: 1-line block ×12, first 2 shown]
	s_clause 0xb
	global_store_b16 v1, v0, s[0:1] scale_offset
	global_store_b16 v1, v10, s[0:1] offset:32 scale_offset
	global_store_b16 v1, v8, s[0:1] offset:64 scale_offset
	global_store_b16 v1, v9, s[0:1] offset:96 scale_offset
	global_store_b16 v1, v6, s[0:1] offset:128 scale_offset
	global_store_b16 v1, v7, s[0:1] offset:160 scale_offset
	global_store_b16 v1, v4, s[0:1] offset:192 scale_offset
	global_store_b16 v1, v5, s[0:1] offset:224 scale_offset
	global_store_b16 v1, v2, s[0:1] offset:256 scale_offset
	global_store_b16 v1, v3, s[0:1] offset:288 scale_offset
	global_store_b16 v1, v11, s[0:1] offset:320 scale_offset
	global_store_b16 v1, v12, s[0:1] offset:352 scale_offset
.LBB133_111:
	s_sendmsg sendmsg(MSG_DEALLOC_VGPRS)
	s_endpgm
.LBB133_112:
	ds_load_b32 v16, v14
	s_wait_dscnt 0x0
	v_add_f32_e32 v10, v10, v16
	s_or_b32 exec_lo, exec_lo, s0
	s_and_saveexec_b32 s0, vcc_lo
	s_cbranch_execz .LBB133_80
.LBB133_113:
	ds_load_b32 v16, v14 offset:64
	s_wait_dscnt 0x0
	v_add_f32_e32 v11, v11, v16
	s_or_b32 exec_lo, exec_lo, s0
	s_and_saveexec_b32 s0, vcc_lo
	s_cbranch_execz .LBB133_81
.LBB133_114:
	ds_load_b32 v16, v14 offset:128
	s_wait_dscnt 0x0
	v_add_f32_e32 v8, v8, v16
	s_or_b32 exec_lo, exec_lo, s0
	s_and_saveexec_b32 s0, vcc_lo
	s_cbranch_execz .LBB133_82
.LBB133_115:
	ds_load_b32 v16, v14 offset:192
	s_wait_dscnt 0x0
	v_add_f32_e32 v9, v9, v16
	s_or_b32 exec_lo, exec_lo, s0
	s_and_saveexec_b32 s0, vcc_lo
	s_cbranch_execz .LBB133_83
.LBB133_116:
	ds_load_b32 v16, v14 offset:256
	s_wait_dscnt 0x0
	v_add_f32_e32 v6, v6, v16
	s_or_b32 exec_lo, exec_lo, s0
	s_and_saveexec_b32 s0, vcc_lo
	s_cbranch_execz .LBB133_84
.LBB133_117:
	ds_load_b32 v16, v14 offset:320
	s_wait_dscnt 0x0
	v_add_f32_e32 v7, v7, v16
	s_or_b32 exec_lo, exec_lo, s0
	s_and_saveexec_b32 s0, vcc_lo
	s_cbranch_execz .LBB133_85
.LBB133_118:
	ds_load_b32 v16, v14 offset:384
	s_wait_dscnt 0x0
	v_add_f32_e32 v4, v4, v16
	s_or_b32 exec_lo, exec_lo, s0
	s_and_saveexec_b32 s0, vcc_lo
	s_cbranch_execz .LBB133_86
.LBB133_119:
	ds_load_b32 v16, v14 offset:448
	s_wait_dscnt 0x0
	v_add_f32_e32 v5, v5, v16
	s_or_b32 exec_lo, exec_lo, s0
	s_and_saveexec_b32 s0, vcc_lo
	s_cbranch_execz .LBB133_87
.LBB133_120:
	ds_load_b32 v16, v14 offset:512
	s_wait_dscnt 0x0
	v_add_f32_e32 v2, v2, v16
	s_or_b32 exec_lo, exec_lo, s0
	s_and_saveexec_b32 s0, vcc_lo
	s_cbranch_execz .LBB133_88
.LBB133_121:
	ds_load_b32 v16, v14 offset:576
	s_wait_dscnt 0x0
	v_add_f32_e32 v3, v3, v16
	s_or_b32 exec_lo, exec_lo, s0
	s_and_saveexec_b32 s0, vcc_lo
	s_cbranch_execz .LBB133_89
.LBB133_122:
	ds_load_b32 v16, v14 offset:640
	s_wait_dscnt 0x0
	v_add_f32_e32 v12, v12, v16
	s_or_b32 exec_lo, exec_lo, s0
	s_and_saveexec_b32 s0, vcc_lo
	s_cbranch_execnz .LBB133_90
	s_branch .LBB133_91
.LBB133_123:
	ds_load_b32 v0, v14
	s_wait_dscnt 0x0
	v_add_f32_e32 v10, v10, v0
	s_or_b32 exec_lo, exec_lo, s0
	s_and_saveexec_b32 s0, vcc_lo
	s_cbranch_execz .LBB133_97
.LBB133_124:
	ds_load_b32 v0, v14 offset:64
	s_wait_dscnt 0x0
	v_add_f32_e32 v11, v11, v0
	s_or_b32 exec_lo, exec_lo, s0
	s_and_saveexec_b32 s0, vcc_lo
	s_cbranch_execz .LBB133_98
.LBB133_125:
	ds_load_b32 v0, v14 offset:128
	s_wait_dscnt 0x0
	v_add_f32_e32 v8, v8, v0
	s_or_b32 exec_lo, exec_lo, s0
	s_and_saveexec_b32 s0, vcc_lo
	s_cbranch_execz .LBB133_99
.LBB133_126:
	ds_load_b32 v0, v14 offset:192
	s_wait_dscnt 0x0
	v_add_f32_e32 v9, v9, v0
	s_or_b32 exec_lo, exec_lo, s0
	s_and_saveexec_b32 s0, vcc_lo
	s_cbranch_execz .LBB133_100
.LBB133_127:
	ds_load_b32 v0, v14 offset:256
	s_wait_dscnt 0x0
	v_add_f32_e32 v6, v6, v0
	s_or_b32 exec_lo, exec_lo, s0
	s_and_saveexec_b32 s0, vcc_lo
	s_cbranch_execz .LBB133_101
.LBB133_128:
	ds_load_b32 v0, v14 offset:320
	s_wait_dscnt 0x0
	v_add_f32_e32 v7, v7, v0
	s_or_b32 exec_lo, exec_lo, s0
	s_and_saveexec_b32 s0, vcc_lo
	s_cbranch_execz .LBB133_102
.LBB133_129:
	ds_load_b32 v0, v14 offset:384
	s_wait_dscnt 0x0
	v_add_f32_e32 v4, v4, v0
	s_or_b32 exec_lo, exec_lo, s0
	s_and_saveexec_b32 s0, vcc_lo
	s_cbranch_execz .LBB133_103
.LBB133_130:
	ds_load_b32 v0, v14 offset:448
	s_wait_dscnt 0x0
	v_add_f32_e32 v5, v5, v0
	s_or_b32 exec_lo, exec_lo, s0
	s_and_saveexec_b32 s0, vcc_lo
	s_cbranch_execz .LBB133_104
.LBB133_131:
	ds_load_b32 v0, v14 offset:512
	s_wait_dscnt 0x0
	v_add_f32_e32 v2, v2, v0
	s_or_b32 exec_lo, exec_lo, s0
	s_and_saveexec_b32 s0, vcc_lo
	s_cbranch_execz .LBB133_105
.LBB133_132:
	ds_load_b32 v0, v14 offset:576
	s_wait_dscnt 0x0
	v_add_f32_e32 v3, v3, v0
	s_or_b32 exec_lo, exec_lo, s0
	s_and_saveexec_b32 s0, vcc_lo
	s_cbranch_execz .LBB133_106
.LBB133_133:
	ds_load_b32 v0, v14 offset:640
	s_wait_dscnt 0x0
	v_add_f32_e32 v12, v12, v0
	s_or_b32 exec_lo, exec_lo, s0
	s_and_saveexec_b32 s0, vcc_lo
	s_cbranch_execnz .LBB133_107
	s_branch .LBB133_108
	.section	.rodata,"a",@progbits
	.p2align	6, 0x0
	.amdhsa_kernel _ZN4vllm25paged_attention_v1_kernelI14__hip_bfloat16S1_Li192ELi16ELi128ELNS_18Fp8KVCacheDataTypeE0ELb1EEEvPT_PKS3_PKT0_S9_ifPKiSB_iPKfiiiSD_SD_iiiii
		.amdhsa_group_segment_fixed_size 416
		.amdhsa_private_segment_fixed_size 0
		.amdhsa_kernarg_size 384
		.amdhsa_user_sgpr_count 2
		.amdhsa_user_sgpr_dispatch_ptr 0
		.amdhsa_user_sgpr_queue_ptr 0
		.amdhsa_user_sgpr_kernarg_segment_ptr 1
		.amdhsa_user_sgpr_dispatch_id 0
		.amdhsa_user_sgpr_kernarg_preload_length 0
		.amdhsa_user_sgpr_kernarg_preload_offset 0
		.amdhsa_user_sgpr_private_segment_size 0
		.amdhsa_wavefront_size32 1
		.amdhsa_uses_dynamic_stack 0
		.amdhsa_enable_private_segment 0
		.amdhsa_system_sgpr_workgroup_id_x 1
		.amdhsa_system_sgpr_workgroup_id_y 1
		.amdhsa_system_sgpr_workgroup_id_z 1
		.amdhsa_system_sgpr_workgroup_info 0
		.amdhsa_system_vgpr_workitem_id 0
		.amdhsa_next_free_vgpr 94
		.amdhsa_next_free_sgpr 40
		.amdhsa_named_barrier_count 0
		.amdhsa_reserve_vcc 1
		.amdhsa_float_round_mode_32 0
		.amdhsa_float_round_mode_16_64 0
		.amdhsa_float_denorm_mode_32 3
		.amdhsa_float_denorm_mode_16_64 3
		.amdhsa_fp16_overflow 0
		.amdhsa_memory_ordered 1
		.amdhsa_forward_progress 1
		.amdhsa_inst_pref_size 93
		.amdhsa_round_robin_scheduling 0
		.amdhsa_exception_fp_ieee_invalid_op 0
		.amdhsa_exception_fp_denorm_src 0
		.amdhsa_exception_fp_ieee_div_zero 0
		.amdhsa_exception_fp_ieee_overflow 0
		.amdhsa_exception_fp_ieee_underflow 0
		.amdhsa_exception_fp_ieee_inexact 0
		.amdhsa_exception_int_div_zero 0
	.end_amdhsa_kernel
	.section	.text._ZN4vllm25paged_attention_v1_kernelI14__hip_bfloat16S1_Li192ELi16ELi128ELNS_18Fp8KVCacheDataTypeE0ELb1EEEvPT_PKS3_PKT0_S9_ifPKiSB_iPKfiiiSD_SD_iiiii,"axG",@progbits,_ZN4vllm25paged_attention_v1_kernelI14__hip_bfloat16S1_Li192ELi16ELi128ELNS_18Fp8KVCacheDataTypeE0ELb1EEEvPT_PKS3_PKT0_S9_ifPKiSB_iPKfiiiSD_SD_iiiii,comdat
.Lfunc_end133:
	.size	_ZN4vllm25paged_attention_v1_kernelI14__hip_bfloat16S1_Li192ELi16ELi128ELNS_18Fp8KVCacheDataTypeE0ELb1EEEvPT_PKS3_PKT0_S9_ifPKiSB_iPKfiiiSD_SD_iiiii, .Lfunc_end133-_ZN4vllm25paged_attention_v1_kernelI14__hip_bfloat16S1_Li192ELi16ELi128ELNS_18Fp8KVCacheDataTypeE0ELb1EEEvPT_PKS3_PKT0_S9_ifPKiSB_iPKfiiiSD_SD_iiiii
                                        ; -- End function
	.set _ZN4vllm25paged_attention_v1_kernelI14__hip_bfloat16S1_Li192ELi16ELi128ELNS_18Fp8KVCacheDataTypeE0ELb1EEEvPT_PKS3_PKT0_S9_ifPKiSB_iPKfiiiSD_SD_iiiii.num_vgpr, 94
	.set _ZN4vllm25paged_attention_v1_kernelI14__hip_bfloat16S1_Li192ELi16ELi128ELNS_18Fp8KVCacheDataTypeE0ELb1EEEvPT_PKS3_PKT0_S9_ifPKiSB_iPKfiiiSD_SD_iiiii.num_agpr, 0
	.set _ZN4vllm25paged_attention_v1_kernelI14__hip_bfloat16S1_Li192ELi16ELi128ELNS_18Fp8KVCacheDataTypeE0ELb1EEEvPT_PKS3_PKT0_S9_ifPKiSB_iPKfiiiSD_SD_iiiii.numbered_sgpr, 40
	.set _ZN4vllm25paged_attention_v1_kernelI14__hip_bfloat16S1_Li192ELi16ELi128ELNS_18Fp8KVCacheDataTypeE0ELb1EEEvPT_PKS3_PKT0_S9_ifPKiSB_iPKfiiiSD_SD_iiiii.num_named_barrier, 0
	.set _ZN4vllm25paged_attention_v1_kernelI14__hip_bfloat16S1_Li192ELi16ELi128ELNS_18Fp8KVCacheDataTypeE0ELb1EEEvPT_PKS3_PKT0_S9_ifPKiSB_iPKfiiiSD_SD_iiiii.private_seg_size, 0
	.set _ZN4vllm25paged_attention_v1_kernelI14__hip_bfloat16S1_Li192ELi16ELi128ELNS_18Fp8KVCacheDataTypeE0ELb1EEEvPT_PKS3_PKT0_S9_ifPKiSB_iPKfiiiSD_SD_iiiii.uses_vcc, 1
	.set _ZN4vllm25paged_attention_v1_kernelI14__hip_bfloat16S1_Li192ELi16ELi128ELNS_18Fp8KVCacheDataTypeE0ELb1EEEvPT_PKS3_PKT0_S9_ifPKiSB_iPKfiiiSD_SD_iiiii.uses_flat_scratch, 0
	.set _ZN4vllm25paged_attention_v1_kernelI14__hip_bfloat16S1_Li192ELi16ELi128ELNS_18Fp8KVCacheDataTypeE0ELb1EEEvPT_PKS3_PKT0_S9_ifPKiSB_iPKfiiiSD_SD_iiiii.has_dyn_sized_stack, 0
	.set _ZN4vllm25paged_attention_v1_kernelI14__hip_bfloat16S1_Li192ELi16ELi128ELNS_18Fp8KVCacheDataTypeE0ELb1EEEvPT_PKS3_PKT0_S9_ifPKiSB_iPKfiiiSD_SD_iiiii.has_recursion, 0
	.set _ZN4vllm25paged_attention_v1_kernelI14__hip_bfloat16S1_Li192ELi16ELi128ELNS_18Fp8KVCacheDataTypeE0ELb1EEEvPT_PKS3_PKT0_S9_ifPKiSB_iPKfiiiSD_SD_iiiii.has_indirect_call, 0
	.section	.AMDGPU.csdata,"",@progbits
; Kernel info:
; codeLenInByte = 11804
; TotalNumSgprs: 42
; NumVgprs: 94
; ScratchSize: 0
; MemoryBound: 0
; FloatMode: 240
; IeeeMode: 1
; LDSByteSize: 416 bytes/workgroup (compile time only)
; SGPRBlocks: 0
; VGPRBlocks: 5
; NumSGPRsForWavesPerEU: 42
; NumVGPRsForWavesPerEU: 94
; NamedBarCnt: 0
; Occupancy: 10
; WaveLimiterHint : 1
; COMPUTE_PGM_RSRC2:SCRATCH_EN: 0
; COMPUTE_PGM_RSRC2:USER_SGPR: 2
; COMPUTE_PGM_RSRC2:TRAP_HANDLER: 0
; COMPUTE_PGM_RSRC2:TGID_X_EN: 1
; COMPUTE_PGM_RSRC2:TGID_Y_EN: 1
; COMPUTE_PGM_RSRC2:TGID_Z_EN: 1
; COMPUTE_PGM_RSRC2:TIDIG_COMP_CNT: 0
	.section	.text._ZN4vllm25paged_attention_v1_kernelI14__hip_bfloat16S1_Li256ELi16ELi128ELNS_18Fp8KVCacheDataTypeE0ELb1EEEvPT_PKS3_PKT0_S9_ifPKiSB_iPKfiiiSD_SD_iiiii,"axG",@progbits,_ZN4vllm25paged_attention_v1_kernelI14__hip_bfloat16S1_Li256ELi16ELi128ELNS_18Fp8KVCacheDataTypeE0ELb1EEEvPT_PKS3_PKT0_S9_ifPKiSB_iPKfiiiSD_SD_iiiii,comdat
	.protected	_ZN4vllm25paged_attention_v1_kernelI14__hip_bfloat16S1_Li256ELi16ELi128ELNS_18Fp8KVCacheDataTypeE0ELb1EEEvPT_PKS3_PKT0_S9_ifPKiSB_iPKfiiiSD_SD_iiiii ; -- Begin function _ZN4vllm25paged_attention_v1_kernelI14__hip_bfloat16S1_Li256ELi16ELi128ELNS_18Fp8KVCacheDataTypeE0ELb1EEEvPT_PKS3_PKT0_S9_ifPKiSB_iPKfiiiSD_SD_iiiii
	.globl	_ZN4vllm25paged_attention_v1_kernelI14__hip_bfloat16S1_Li256ELi16ELi128ELNS_18Fp8KVCacheDataTypeE0ELb1EEEvPT_PKS3_PKT0_S9_ifPKiSB_iPKfiiiSD_SD_iiiii
	.p2align	8
	.type	_ZN4vllm25paged_attention_v1_kernelI14__hip_bfloat16S1_Li256ELi16ELi128ELNS_18Fp8KVCacheDataTypeE0ELb1EEEvPT_PKS3_PKT0_S9_ifPKiSB_iPKfiiiSD_SD_iiiii,@function
_ZN4vllm25paged_attention_v1_kernelI14__hip_bfloat16S1_Li256ELi16ELi128ELNS_18Fp8KVCacheDataTypeE0ELb1EEEvPT_PKS3_PKT0_S9_ifPKiSB_iPKfiiiSD_SD_iiiii: ; @_ZN4vllm25paged_attention_v1_kernelI14__hip_bfloat16S1_Li256ELi16ELi128ELNS_18Fp8KVCacheDataTypeE0ELb1EEEvPT_PKS3_PKT0_S9_ifPKiSB_iPKfiiiSD_SD_iiiii
; %bb.0:
	s_load_b64 s[6:7], s[0:1], 0x20
	s_bfe_u32 s3, ttmp6, 0x4000c
	s_bfe_u32 s5, ttmp6, 0x40010
	s_and_b32 s4, ttmp7, 0xffff
	s_add_co_i32 s3, s3, 1
	s_add_co_i32 s5, s5, 1
	s_and_b32 s2, ttmp6, 15
	s_bfe_u32 s8, ttmp6, 0x40004
	s_mul_i32 s3, ttmp9, s3
	s_mul_i32 s5, s4, s5
	s_getreg_b32 s28, hwreg(HW_REG_IB_STS2, 6, 4)
	s_add_co_i32 s9, s2, s3
	s_add_co_i32 s8, s8, s5
	s_cmp_eq_u32 s28, 0
	s_clause 0x1
	s_load_b32 s29, s[0:1], 0x80
	s_load_b64 s[2:3], s[0:1], 0x30
	s_cselect_b32 s30, s4, s8
	s_cselect_b32 s4, ttmp9, s9
	s_mov_b32 s19, 0
	s_delay_alu instid0(SALU_CYCLE_1) | instskip(SKIP_2) | instid1(SALU_CYCLE_1)
	s_mov_b32 s36, s19
	s_wait_kmcnt 0x0
	s_abs_i32 s5, s6
	s_cvt_f32_u32 s8, s5
	s_sub_co_i32 s9, 0, s5
	s_delay_alu instid0(SALU_CYCLE_2) | instskip(SKIP_2) | instid1(TRANS32_DEP_1)
	v_rcp_iflag_f32_e32 v1, s8
	s_abs_i32 s10, s29
	v_nop
	v_readfirstlane_b32 s8, v1
	s_mul_f32 s8, s8, 0x4f7ffffe
	s_delay_alu instid0(SALU_CYCLE_3) | instskip(NEXT) | instid1(SALU_CYCLE_3)
	s_cvt_u32_f32 s8, s8
	s_mul_i32 s9, s9, s8
	s_delay_alu instid0(SALU_CYCLE_1) | instskip(NEXT) | instid1(SALU_CYCLE_1)
	s_mul_hi_u32 s9, s8, s9
	s_add_co_i32 s8, s8, s9
	s_xor_b32 s9, s29, s6
	s_mul_hi_u32 s8, s10, s8
	s_ashr_i32 s9, s9, 31
	s_mul_i32 s11, s8, s5
	s_delay_alu instid0(SALU_CYCLE_1)
	s_sub_co_i32 s10, s10, s11
	s_add_co_i32 s11, s8, 1
	s_sub_co_i32 s12, s10, s5
	s_cmp_ge_u32 s10, s5
	s_cselect_b32 s8, s11, s8
	s_cselect_b32 s10, s12, s10
	s_add_co_i32 s11, s8, 1
	s_cmp_ge_u32 s10, s5
	s_cselect_b32 s5, s11, s8
	s_load_b64 s[10:11], s[0:1], 0x40
	s_xor_b32 s5, s5, s9
	s_abs_i32 s18, s4
	s_sub_co_i32 s16, s5, s9
	s_mov_b32 s9, s19
	s_abs_i32 s15, s16
	s_delay_alu instid0(SALU_CYCLE_1) | instskip(SKIP_1) | instid1(SALU_CYCLE_2)
	s_cvt_f32_u32 s5, s15
	s_sub_co_i32 s8, 0, s15
	v_rcp_iflag_f32_e32 v1, s5
	v_nop
	s_delay_alu instid0(TRANS32_DEP_1) | instskip(SKIP_1) | instid1(SALU_CYCLE_3)
	v_readfirstlane_b32 s5, v1
	s_mul_f32 s5, s5, 0x4f7ffffe
	s_cvt_u32_f32 s5, s5
	s_delay_alu instid0(SALU_CYCLE_3) | instskip(NEXT) | instid1(SALU_CYCLE_1)
	s_mul_i32 s8, s8, s5
	s_mul_hi_u32 s8, s5, s8
	s_delay_alu instid0(SALU_CYCLE_1)
	s_add_co_i32 s8, s5, s8
	s_wait_kmcnt 0x0
	s_cmp_eq_u64 s[10:11], 0
	s_cbranch_scc1 .LBB134_2
; %bb.1:
	s_ashr_i32 s5, s4, 31
	s_delay_alu instid0(SALU_CYCLE_1) | instskip(NEXT) | instid1(SALU_CYCLE_1)
	s_lshl_b64 s[12:13], s[4:5], 2
	s_add_nc_u64 s[10:11], s[10:11], s[12:13]
	s_load_b32 s36, s[10:11], 0x0
.LBB134_2:
	s_load_b32 s31, s[2:3], s30 offset:0x0 scale_offset
	s_load_b96 s[12:14], s[0:1], 0x48
	v_dual_lshrrev_b32 v1, 1, v0 :: v_dual_bitop2_b32 v96, 1, v0 bitop3:0x40
	s_wait_xcnt 0x0
	v_cmp_gt_u32_e64 s2, 64, v0
	s_ashr_i32 s3, s4, 31
	s_ashr_i32 s5, s16, 31
	s_mul_u64 s[20:21], s[18:19], s[8:9]
	s_lshl_b32 s16, s4, 8
	s_and_saveexec_b32 s8, s2
	s_cbranch_execz .LBB134_4
; %bb.3:
	s_load_b64 s[10:11], s[0:1], 0x8
	s_wait_kmcnt 0x0
	s_mul_i32 s22, s12, s30
	s_ashr_i32 s17, s16, 31
	s_ashr_i32 s23, s22, 31
	v_lshlrev_b32_e32 v4, 3, v1
	s_lshl_b64 s[22:23], s[22:23], 1
	s_delay_alu instid0(VALU_DEP_1) | instskip(SKIP_2) | instid1(SALU_CYCLE_1)
	v_lshl_add_u32 v4, v96, 8, v4
	s_add_nc_u64 s[10:11], s[10:11], s[22:23]
	s_lshl_b64 s[22:23], s[16:17], 1
	s_add_nc_u64 s[10:11], s[10:11], s[22:23]
	global_load_b64 v[2:3], v0, s[10:11] scale_offset
	s_wait_loadcnt 0x0
	ds_store_b64 v4, v[2:3]
.LBB134_4:
	s_or_b32 exec_lo, exec_lo, s8
	s_load_b128 s[8:11], s[0:1], 0x68
	s_wait_kmcnt 0x0
	s_mul_i32 s12, s21, s15
	s_xor_b32 s5, s3, s5
	s_sub_co_i32 s3, s18, s12
	s_add_co_i32 s12, s21, 1
	s_sub_co_i32 s17, s3, s15
	s_cmp_ge_u32 s3, s15
	s_wait_dscnt 0x0
	s_cselect_b32 s12, s12, s21
	s_cselect_b32 s3, s17, s3
	s_add_co_i32 s17, s12, 1
	s_cmp_ge_u32 s3, s15
	s_load_b32 s3, s[0:1], 0x78
	s_cselect_b32 s12, s17, s12
	s_mov_b32 s21, 0
	s_xor_b32 s12, s12, s5
	s_barrier_signal -1
	s_sub_co_i32 s5, s12, s5
	s_barrier_wait -1
	s_abs_i32 s17, s11
                                        ; implicit-def: $sgpr33
	s_delay_alu instid0(SALU_CYCLE_1) | instskip(SKIP_1) | instid1(SALU_CYCLE_2)
	s_cvt_f32_u32 s15, s17
	s_sub_co_i32 s19, 0, s17
	v_rcp_iflag_f32_e32 v2, s15
	v_nop
	s_delay_alu instid0(TRANS32_DEP_1) | instskip(SKIP_2) | instid1(SALU_CYCLE_2)
	v_readfirstlane_b32 s15, v2
	s_mul_f32 s12, s15, 0x4f7ffffe
	s_mov_b32 s15, -1
	s_cvt_u32_f32 s18, s12
	s_add_co_i32 s12, s31, -1
	s_delay_alu instid0(SALU_CYCLE_1) | instskip(NEXT) | instid1(SALU_CYCLE_1)
	s_abs_i32 s20, s12
	s_mul_i32 s19, s19, s18
	s_delay_alu instid0(SALU_CYCLE_1) | instskip(NEXT) | instid1(SALU_CYCLE_1)
	s_mul_hi_u32 s19, s18, s19
	s_add_co_i32 s18, s18, s19
	s_wait_kmcnt 0x0
	s_cmp_lt_i32 s3, 0
	s_mov_b32 s19, s21
	s_cbranch_scc0 .LBB134_6
; %bb.5:
	s_mul_i32 s6, s8, s6
	s_mov_b32 s15, s21
	s_add_co_i32 s6, s5, s6
	s_delay_alu instid0(SALU_CYCLE_1) | instskip(NEXT) | instid1(SALU_CYCLE_1)
	s_mul_i32 s6, s6, s3
	s_sub_co_i32 s33, 1, s6
.LBB134_6:
	s_ashr_i32 s6, s12, 31
	s_ashr_i32 s34, s11, 31
	s_and_not1_b32 vcc_lo, exec_lo, s15
	s_mul_u64 s[24:25], s[20:21], s[18:19]
	s_cbranch_vccnz .LBB134_8
; %bb.7:
	s_mul_i32 s8, s29, s8
	s_delay_alu instid0(SALU_CYCLE_1) | instskip(NEXT) | instid1(SALU_CYCLE_1)
	s_add_co_i32 s4, s8, s4
	s_mul_i32 s3, s4, s3
	s_delay_alu instid0(SALU_CYCLE_1)
	s_add_co_i32 s33, s3, 1
.LBB134_8:
	s_load_b32 s3, s[0:1], 0x38
	s_xor_b32 s4, s6, s34
	s_mul_i32 s6, s25, s17
	s_add_co_i32 s8, s25, 1
	s_sub_co_i32 s6, s20, s6
	s_clause 0x1
	s_load_b64 s[20:21], s[0:1], 0x28
	s_load_b32 s12, s[0:1], 0x88
	v_dual_lshrrev_b32 v97, 5, v0 :: v_dual_lshlrev_b32 v69, 3, v0
	v_dual_mov_b32 v73, 0xff7fffff :: v_dual_lshrrev_b32 v68, 3, v0
	v_mbcnt_lo_u32_b32 v70, -1, 0
	s_delay_alu instid0(VALU_DEP_3)
	v_lshlrev_b32_e32 v74, 4, v97
	s_mul_i32 s14, s5, s14
	s_wait_kmcnt 0x0
	s_mul_i32 s22, s3, s30
	s_sub_co_i32 s3, s6, s17
	s_ashr_i32 s23, s22, 31
	s_cmp_ge_u32 s6, s17
	s_cselect_b32 s8, s8, s25
	s_cselect_b32 s3, s3, s6
	s_add_co_i32 s6, s8, 1
	s_cmp_ge_u32 s3, s17
	s_cselect_b32 s3, s6, s8
	s_add_co_i32 s6, s31, 15
	s_delay_alu instid0(SALU_CYCLE_1) | instskip(NEXT) | instid1(SALU_CYCLE_1)
	s_ashr_i32 s8, s6, 31
	s_lshr_b32 s8, s8, 28
	s_delay_alu instid0(SALU_CYCLE_1) | instskip(NEXT) | instid1(SALU_CYCLE_1)
	s_add_co_i32 s6, s6, s8
	s_ashr_i32 s35, s6, 4
	s_xor_b32 s6, s3, s4
	v_cmp_gt_i32_e64 s3, s35, v97
	s_sub_co_i32 s8, s6, s4
	s_and_saveexec_b32 s11, s3
	s_cbranch_execz .LBB134_20
; %bb.9:
	s_load_b64 s[38:39], s[0:1], 0x10
	s_ashr_i32 s15, s14, 31
	s_sub_co_i32 s37, s8, s9
	s_ashr_i32 s25, s13, 31
	s_lshl_b64 s[40:41], s[14:15], 1
	s_cmp_neq_f32 s36, 0
	v_bfe_u32 v71, v0, 1, 4
	v_dual_mov_b32 v3, 0 :: v_dual_lshlrev_b32 v72, 8, v96
	s_cselect_b32 vcc_lo, -1, 0
	s_abs_i32 s15, s10
	s_delay_alu instid0(VALU_DEP_2)
	v_lshlrev_b32_e32 v2, 4, v71
	s_cvt_f32_u32 s4, s15
	v_subrev_nc_u32_e32 v6, s31, v71
	v_lshlrev_b32_e32 v7, 2, v71
	s_sub_co_i32 s6, 0, s15
	v_rcp_iflag_f32_e32 v4, s4
	v_cmp_eq_u32_e64 s4, 0, v96
	v_xor_b32_e32 v78, 1, v70
	v_lshl_or_b32 v7, v97, 6, v7
	s_wait_kmcnt 0x0
	s_add_nc_u64 s[38:39], s[38:39], s[40:41]
	v_mov_b32_e32 v73, 0xff7fffff
	v_add_nc_u32_e32 v75, 1, v6
	v_readfirstlane_b32 s5, v4
	v_add_nc_u64_e32 v[4:5], s[38:39], v[2:3]
	v_and_b32_e32 v2, 8, v69
	s_lshl_b64 s[38:39], s[22:23], 2
	v_dual_mov_b32 v79, v97 :: v_dual_add_nc_u32 v76, 0x220, v7
	s_mul_f32 s5, s5, 0x4f7ffffe
	s_add_nc_u64 s[38:39], s[20:21], s[38:39]
	s_delay_alu instid0(VALU_DEP_3)
	v_add_nc_u64_e32 v[4:5], v[4:5], v[2:3]
	v_and_b32_e32 v2, 0x7c, v68
	s_cvt_u32_f32 s5, s5
	v_mov_b32_e32 v77, 0xff7fffff
	s_mov_b32 s27, 0
	s_mov_b32 s24, s13
	v_add_nc_u64_e32 v[6:7], s[38:39], v[2:3]
	s_mul_i32 s6, s6, s5
	v_lshlrev_b32_e32 v2, 4, v97
	s_mul_hi_u32 s6, s5, s6
	s_mov_b32 s38, s27
	s_add_co_i32 s26, s5, s6
	s_branch .LBB134_12
.LBB134_10:                             ;   in Loop: Header=BB134_12 Depth=1
	s_or_b32 exec_lo, exec_lo, s39
.LBB134_11:                             ;   in Loop: Header=BB134_12 Depth=1
	s_delay_alu instid0(SALU_CYCLE_1) | instskip(SKIP_3) | instid1(VALU_DEP_3)
	s_or_b32 exec_lo, exec_lo, s6
	v_dual_add_nc_u32 v79, 4, v79 :: v_dual_add_nc_u32 v2, 64, v2
	v_add_nc_u64_e32 v[6:7], 16, v[6:7]
	v_add_nc_u32_e32 v76, 0x100, v76
	v_cmp_le_i32_e64 s5, s35, v79
	s_or_b32 s38, s5, s38
	s_delay_alu instid0(SALU_CYCLE_1)
	s_and_not1_b32 exec_lo, exec_lo, s38
	s_cbranch_execz .LBB134_19
.LBB134_12:                             ; =>This Inner Loop Header: Depth=1
	s_wait_dscnt 0x0
	v_mul_u64_e32 v[8:9], s[18:19], v[2:3]
	s_delay_alu instid0(VALU_DEP_1) | instskip(NEXT) | instid1(VALU_DEP_1)
	v_mul_lo_u32 v8, v9, s17
	v_dual_add_nc_u32 v10, 1, v9 :: v_dual_sub_nc_u32 v8, v2, v8
	s_delay_alu instid0(VALU_DEP_1) | instskip(SKIP_1) | instid1(VALU_DEP_1)
	v_subrev_nc_u32_e32 v11, s17, v8
	v_cmp_le_u32_e64 s5, s17, v8
	v_dual_cndmask_b32 v9, v9, v10, s5 :: v_dual_cndmask_b32 v8, v8, v11, s5
	s_delay_alu instid0(VALU_DEP_1) | instskip(NEXT) | instid1(VALU_DEP_2)
	v_add_nc_u32_e32 v10, 1, v9
	v_cmp_le_u32_e64 s5, s17, v8
	s_delay_alu instid0(VALU_DEP_1) | instskip(NEXT) | instid1(VALU_DEP_1)
	v_dual_cndmask_b32 v8, v9, v10, s5 :: v_dual_mov_b32 v9, v3
	v_xor_b32_e32 v8, s34, v8
	s_delay_alu instid0(VALU_DEP_1) | instskip(NEXT) | instid1(VALU_DEP_1)
	v_subrev_nc_u32_e32 v12, s34, v8
	v_add_nc_u32_e32 v13, s33, v12
	v_cmp_ge_i32_e64 s6, s37, v12
	s_delay_alu instid0(VALU_DEP_2) | instskip(NEXT) | instid1(VALU_DEP_1)
	v_sub_nc_u32_e32 v8, 0, v13
	v_max_i32_e32 v8, v13, v8
	s_delay_alu instid0(VALU_DEP_1) | instskip(SKIP_1) | instid1(VALU_DEP_2)
	v_mul_u64_e32 v[10:11], s[26:27], v[8:9]
	v_ashrrev_i32_e32 v10, 31, v13
	v_mul_lo_u32 v9, v11, s15
	s_delay_alu instid0(VALU_DEP_1) | instskip(NEXT) | instid1(VALU_DEP_1)
	v_sub_nc_u32_e32 v8, v8, v9
	v_subrev_nc_u32_e32 v9, s15, v8
	v_cmp_le_u32_e64 s5, s15, v8
	s_delay_alu instid0(VALU_DEP_1) | instskip(NEXT) | instid1(VALU_DEP_1)
	v_cndmask_b32_e64 v8, v8, v9, s5
	v_subrev_nc_u32_e32 v9, s15, v8
	v_cmp_le_u32_e64 s5, s15, v8
	s_delay_alu instid0(VALU_DEP_1) | instskip(NEXT) | instid1(VALU_DEP_1)
	v_cndmask_b32_e64 v8, v8, v9, s5
	v_xor_b32_e32 v8, v8, v10
	s_delay_alu instid0(VALU_DEP_1) | instskip(NEXT) | instid1(VALU_DEP_1)
	v_sub_nc_u32_e32 v8, v8, v10
	v_cmp_ne_u32_e64 s5, 0, v8
	s_and_b32 s5, s5, s6
	s_delay_alu instid0(SALU_CYCLE_1) | instskip(NEXT) | instid1(SALU_CYCLE_1)
	s_and_saveexec_b32 s6, s5
	s_xor_b32 s5, exec_lo, s6
	s_cbranch_execz .LBB134_16
; %bb.13:                               ;   in Loop: Header=BB134_12 Depth=1
	s_and_saveexec_b32 s6, s4
; %bb.14:                               ;   in Loop: Header=BB134_12 Depth=1
	ds_store_b32 v76, v77
; %bb.15:                               ;   in Loop: Header=BB134_12 Depth=1
	s_or_b32 exec_lo, exec_lo, s6
.LBB134_16:                             ;   in Loop: Header=BB134_12 Depth=1
	s_and_not1_saveexec_b32 s6, s5
	s_cbranch_execz .LBB134_11
; %bb.17:                               ;   in Loop: Header=BB134_12 Depth=1
	global_load_b32 v8, v[6:7], off
	v_cmp_gt_i32_e64 s5, 32, v78
	s_wait_loadcnt 0x0
	v_ashrrev_i32_e32 v9, 31, v8
	s_delay_alu instid0(VALU_DEP_1) | instskip(NEXT) | instid1(VALU_DEP_1)
	v_mul_u64_e32 v[8:9], s[24:25], v[8:9]
	v_lshl_add_u64 v[8:9], v[8:9], 1, v[4:5]
	s_clause 0x1f
	global_load_b64 v[92:93], v[8:9], off offset:256
	global_load_b64 v[66:67], v[8:9], off offset:512
	;; [unrolled: 1-line block ×3, first 2 shown]
	global_load_b64 v[98:99], v[8:9], off
	global_load_b64 v[62:63], v[8:9], off offset:1024
	global_load_b64 v[60:61], v[8:9], off offset:1280
	;; [unrolled: 1-line block ×28, first 2 shown]
	ds_load_b128 v[80:83], v72
	ds_load_b128 v[84:87], v72 offset:16
	ds_load_b128 v[88:91], v72 offset:32
	s_wait_dscnt 0x2
	v_lshlrev_b32_e32 v94, 16, v82
	v_and_b32_e32 v82, 0xffff0000, v82
	v_lshlrev_b32_e32 v100, 16, v83
	v_and_b32_e32 v83, 0xffff0000, v83
	s_wait_loadcnt 0x1f
	v_lshlrev_b32_e32 v95, 16, v92
	v_and_b32_e32 v92, 0xffff0000, v92
	v_lshlrev_b32_e32 v101, 16, v93
	v_and_b32_e32 v102, 0xffff0000, v93
	s_delay_alu instid0(VALU_DEP_4) | instskip(NEXT) | instid1(VALU_DEP_3)
	v_mul_f32_e32 v94, v94, v95
	v_dual_mul_f32 v82, v82, v92 :: v_dual_mul_f32 v100, v100, v101
	s_wait_loadcnt 0x1c
	s_delay_alu instid0(VALU_DEP_2) | instskip(NEXT) | instid1(VALU_DEP_2)
	v_fma_mix_f32_bf16 v101, v80, v98, v94 op_sel_hi:[1,1,0]
	v_fma_mix_f32_bf16 v80, v80, v98, v82 op_sel:[1,1,0] op_sel_hi:[1,1,0]
	ds_load_b128 v[92:95], v72 offset:48
	v_mul_f32_e32 v82, v83, v102
	v_fma_mix_f32_bf16 v83, v81, v99, v100 op_sel_hi:[1,1,0]
	s_wait_dscnt 0x2
	v_fma_mix_f32_bf16 v98, v84, v66, v101 op_sel_hi:[1,1,0]
	v_fma_mix_f32_bf16 v66, v84, v66, v80 op_sel:[1,1,0] op_sel_hi:[1,1,0]
	v_fma_mix_f32_bf16 v84, v81, v99, v82 op_sel:[1,1,0] op_sel_hi:[1,1,0]
	v_fma_mix_f32_bf16 v99, v85, v67, v83 op_sel_hi:[1,1,0]
	s_delay_alu instid0(VALU_DEP_4) | instskip(NEXT) | instid1(VALU_DEP_4)
	v_fma_mix_f32_bf16 v98, v86, v64, v98 op_sel_hi:[1,1,0]
	v_fma_mix_f32_bf16 v64, v86, v64, v66 op_sel:[1,1,0] op_sel_hi:[1,1,0]
	ds_load_b128 v[80:83], v72 offset:64
	v_fma_mix_f32_bf16 v66, v85, v67, v84 op_sel:[1,1,0] op_sel_hi:[1,1,0]
	v_fma_mix_f32_bf16 v67, v87, v65, v99 op_sel_hi:[1,1,0]
	s_wait_loadcnt_dscnt 0x1b02
	v_fma_mix_f32_bf16 v84, v88, v62, v98 op_sel_hi:[1,1,0]
	v_fma_mix_f32_bf16 v62, v88, v62, v64 op_sel:[1,1,0] op_sel_hi:[1,1,0]
	v_fma_mix_f32_bf16 v85, v87, v65, v66 op_sel:[1,1,0] op_sel_hi:[1,1,0]
	v_fma_mix_f32_bf16 v86, v89, v63, v67 op_sel_hi:[1,1,0]
	s_wait_loadcnt 0x1a
	v_fma_mix_f32_bf16 v84, v90, v60, v84 op_sel_hi:[1,1,0]
	v_fma_mix_f32_bf16 v60, v90, v60, v62 op_sel:[1,1,0] op_sel_hi:[1,1,0]
	ds_load_b128 v[64:67], v72 offset:80
	v_fma_mix_f32_bf16 v62, v89, v63, v85 op_sel:[1,1,0] op_sel_hi:[1,1,0]
	v_fma_mix_f32_bf16 v63, v91, v61, v86 op_sel_hi:[1,1,0]
	s_wait_loadcnt_dscnt 0x1902
	v_fma_mix_f32_bf16 v84, v92, v58, v84 op_sel_hi:[1,1,0]
	v_fma_mix_f32_bf16 v58, v92, v58, v60 op_sel:[1,1,0] op_sel_hi:[1,1,0]
	v_fma_mix_f32_bf16 v85, v91, v61, v62 op_sel:[1,1,0] op_sel_hi:[1,1,0]
	v_fma_mix_f32_bf16 v86, v93, v59, v63 op_sel_hi:[1,1,0]
	s_wait_loadcnt 0x18
	;; [unrolled: 11-line block ×12, first 2 shown]
	v_fma_mix_f32_bf16 v15, v20, v36, v32 op_sel_hi:[1,1,0]
	v_fma_mix_f32_bf16 v12, v20, v36, v12 op_sel:[1,1,0] op_sel_hi:[1,1,0]
	v_fma_mix_f32_bf16 v13, v19, v35, v13 op_sel:[1,1,0] op_sel_hi:[1,1,0]
	v_fma_mix_f32_bf16 v14, v21, v37, v14 op_sel_hi:[1,1,0]
	s_wait_loadcnt_dscnt 0x301
	v_fma_mix_f32_bf16 v15, v22, v28, v15 op_sel_hi:[1,1,0]
	v_fma_mix_f32_bf16 v12, v22, v28, v12 op_sel:[1,1,0] op_sel_hi:[1,1,0]
	v_fma_mix_f32_bf16 v13, v21, v37, v13 op_sel:[1,1,0] op_sel_hi:[1,1,0]
	v_fma_mix_f32_bf16 v14, v23, v29, v14 op_sel_hi:[1,1,0]
	s_wait_loadcnt 0x2
	v_fma_mix_f32_bf16 v15, v16, v30, v15 op_sel_hi:[1,1,0]
	v_fma_mix_f32_bf16 v12, v16, v30, v12 op_sel:[1,1,0] op_sel_hi:[1,1,0]
	v_fma_mix_f32_bf16 v13, v23, v29, v13 op_sel:[1,1,0] op_sel_hi:[1,1,0]
	v_fma_mix_f32_bf16 v14, v17, v31, v14 op_sel_hi:[1,1,0]
	s_wait_loadcnt_dscnt 0x100
	v_fma_mix_f32_bf16 v15, v10, v24, v15 op_sel_hi:[1,1,0]
	v_fma_mix_f32_bf16 v10, v10, v24, v12 op_sel:[1,1,0] op_sel_hi:[1,1,0]
	v_fma_mix_f32_bf16 v12, v17, v31, v13 op_sel:[1,1,0] op_sel_hi:[1,1,0]
	v_fma_mix_f32_bf16 v13, v11, v25, v14 op_sel_hi:[1,1,0]
	s_wait_loadcnt 0x0
	v_fma_mix_f32_bf16 v14, v8, v26, v15 op_sel_hi:[1,1,0]
	v_fma_mix_f32_bf16 v8, v8, v26, v10 op_sel:[1,1,0] op_sel_hi:[1,1,0]
	v_fma_mix_f32_bf16 v10, v11, v25, v12 op_sel:[1,1,0] op_sel_hi:[1,1,0]
	v_fma_mix_f32_bf16 v11, v9, v27, v13 op_sel_hi:[1,1,0]
	s_delay_alu instid0(VALU_DEP_3) | instskip(SKIP_1) | instid1(VALU_DEP_4)
	v_add_f32_e32 v8, v14, v8
	v_cndmask_b32_e64 v12, v70, v78, s5
	v_fma_mix_f32_bf16 v9, v9, v27, v10 op_sel:[1,1,0] op_sel_hi:[1,1,0]
	s_delay_alu instid0(VALU_DEP_2) | instskip(NEXT) | instid1(VALU_DEP_1)
	v_dual_add_f32 v8, v8, v11 :: v_dual_lshlrev_b32 v10, 2, v12
	v_add_f32_e32 v8, v9, v8
	ds_bpermute_b32 v9, v10, v8
	s_and_saveexec_b32 s39, s4
	s_cbranch_execz .LBB134_10
; %bb.18:                               ;   in Loop: Header=BB134_12 Depth=1
	s_wait_dscnt 0x0
	v_dual_add_nc_u32 v10, v75, v2 :: v_dual_add_f32 v8, v8, v9
	s_delay_alu instid0(VALU_DEP_1) | instskip(NEXT) | instid1(VALU_DEP_1)
	v_cvt_f32_i32_e32 v10, v10
	v_mul_f32_e32 v10, s36, v10
	s_delay_alu instid0(VALU_DEP_1) | instskip(NEXT) | instid1(VALU_DEP_1)
	v_dual_cndmask_b32 v9, 0, v10 :: v_dual_max_num_f32 v10, v73, v73
	v_dual_fmac_f32 v9, s7, v8 :: v_dual_add_nc_u32 v8, v71, v2
	s_delay_alu instid0(VALU_DEP_1) | instskip(NEXT) | instid1(VALU_DEP_2)
	v_max_num_f32_e32 v10, v10, v9
	v_cmp_gt_i32_e64 s5, s31, v8
	s_delay_alu instid0(VALU_DEP_1)
	v_dual_cndmask_b32 v8, 0, v9, s5 :: v_dual_cndmask_b32 v73, v73, v10, s5
	ds_store_b32 v76, v8
	s_branch .LBB134_10
.LBB134_19:
	s_or_b32 exec_lo, exec_lo, s38
.LBB134_20:
	s_delay_alu instid0(SALU_CYCLE_1)
	s_or_b32 exec_lo, exec_lo, s11
	v_dual_max_num_f32 v5, v73, v73 :: v_dual_bitop2_b32 v2, 16, v70 bitop3:0x14
	v_xor_b32_e32 v4, 8, v70
	s_clause 0x1
	s_load_b64 s[6:7], s[0:1], 0x0
	s_load_b64 s[24:25], s[0:1], 0x18
	v_and_b32_e32 v98, 31, v0
	v_cmp_gt_i32_e32 vcc_lo, 32, v2
	v_cndmask_b32_e32 v2, v70, v2, vcc_lo
	v_cmp_gt_i32_e32 vcc_lo, 32, v4
	s_delay_alu instid0(VALU_DEP_2) | instskip(SKIP_3) | instid1(VALU_DEP_1)
	v_dual_cndmask_b32 v4, v70, v4 :: v_dual_lshlrev_b32 v3, 2, v2
	ds_bpermute_b32 v2, v3, v73
	s_wait_dscnt 0x0
	v_dual_max_num_f32 v2, v2, v2 :: v_dual_lshlrev_b32 v4, 2, v4
	v_max_num_f32_e32 v2, v5, v2
	ds_bpermute_b32 v5, v4, v2
	s_wait_dscnt 0x0
	v_dual_max_num_f32 v7, v5, v5 :: v_dual_bitop2_b32 v6, 4, v70 bitop3:0x14
	s_delay_alu instid0(VALU_DEP_1) | instskip(NEXT) | instid1(VALU_DEP_2)
	v_max_num_f32_e32 v2, v2, v7
	v_cmp_gt_i32_e32 vcc_lo, 32, v6
	v_xor_b32_e32 v7, 2, v70
	v_cndmask_b32_e32 v6, v70, v6, vcc_lo
	s_delay_alu instid0(VALU_DEP_2) | instskip(NEXT) | instid1(VALU_DEP_2)
	v_cmp_gt_i32_e32 vcc_lo, 32, v7
	v_dual_cndmask_b32 v8, v70, v7 :: v_dual_lshlrev_b32 v5, 2, v6
	v_cmp_eq_u32_e32 vcc_lo, 0, v98
	ds_bpermute_b32 v6, v5, v2
	s_wait_dscnt 0x0
	v_max_num_f32_e32 v6, v6, v6
	s_delay_alu instid0(VALU_DEP_1)
	v_dual_max_num_f32 v7, v2, v6 :: v_dual_lshlrev_b32 v2, 2, v8
	v_lshlrev_b32_e32 v6, 2, v97
	ds_bpermute_b32 v8, v2, v7
	s_wait_xcnt 0x0
	s_and_saveexec_b32 s0, vcc_lo
	s_cbranch_execz .LBB134_22
; %bb.21:
	s_wait_dscnt 0x0
	v_dual_max_num_f32 v8, v8, v8 :: v_dual_max_num_f32 v7, v7, v7
	s_delay_alu instid0(VALU_DEP_1)
	v_max_num_f32_e32 v7, v7, v8
	ds_store_b32 v6, v7 offset:512
.LBB134_22:
	s_or_b32 exec_lo, exec_lo, s0
	v_cmp_gt_u32_e64 s0, 4, v98
	s_wait_dscnt 0x0
	v_dual_mov_b32 v8, 0xff7fffff :: v_dual_lshlrev_b32 v7, 2, v98
	s_barrier_signal -1
	s_barrier_wait -1
	s_and_saveexec_b32 s1, s0
; %bb.23:
	ds_load_b32 v8, v7 offset:512
; %bb.24:
	s_or_b32 exec_lo, exec_lo, s1
	s_wait_dscnt 0x0
	ds_bpermute_b32 v9, v2, v8
	v_dual_max_num_f32 v8, v8, v8 :: v_dual_bitop2_b32 v10, 1, v70 bitop3:0x14
	s_delay_alu instid0(VALU_DEP_1) | instskip(NEXT) | instid1(VALU_DEP_1)
	v_cmp_gt_i32_e64 s1, 32, v10
	v_cndmask_b32_e64 v10, v70, v10, s1
	s_lshl_b32 s1, s35, 4
	s_delay_alu instid0(SALU_CYCLE_1) | instskip(NEXT) | instid1(SALU_CYCLE_1)
	s_min_i32 s5, s1, s31
	v_cmp_gt_i32_e64 s1, s5, v0
	s_wait_dscnt 0x0
	v_dual_max_num_f32 v9, v9, v9 :: v_dual_lshlrev_b32 v99, 2, v10
	s_delay_alu instid0(VALU_DEP_1) | instskip(SKIP_3) | instid1(VALU_DEP_1)
	v_max_num_f32_e32 v8, v8, v9
	ds_bpermute_b32 v9, v99, v8
	s_wait_dscnt 0x0
	v_max_num_f32_e32 v9, v9, v9
	v_dual_max_num_f32 v9, v8, v9 :: v_dual_mov_b32 v8, 0
	ds_bpermute_b32 v9, v8, v9
	s_and_saveexec_b32 s11, s1
	s_cbranch_execz .LBB134_28
; %bb.25:
	v_lshl_add_u32 v10, v0, 2, 0x220
	v_dual_mov_b32 v8, 0 :: v_dual_mov_b32 v11, v0
	s_mov_b32 s15, 0
.LBB134_26:                             ; =>This Inner Loop Header: Depth=1
	ds_load_b32 v12, v10
	v_add_nc_u32_e32 v11, 0x80, v11
	s_delay_alu instid0(VALU_DEP_1) | instskip(SKIP_3) | instid1(VALU_DEP_1)
	v_cmp_le_i32_e64 s4, s5, v11
	s_or_b32 s15, s4, s15
	s_wait_dscnt 0x0
	v_sub_f32_e32 v12, v12, v9
	v_mul_f32_e32 v12, 0x3fb8aa3b, v12
	s_delay_alu instid0(VALU_DEP_1)
	v_exp_f32_e32 v12, v12
	ds_store_b32 v10, v12
	v_nop
	v_add_f32_e32 v8, v8, v12
	v_add_nc_u32_e32 v10, 0x200, v10
	s_and_not1_b32 exec_lo, exec_lo, s15
	s_cbranch_execnz .LBB134_26
; %bb.27:
	s_or_b32 exec_lo, exec_lo, s15
.LBB134_28:
	s_delay_alu instid0(SALU_CYCLE_1)
	s_or_b32 exec_lo, exec_lo, s11
	ds_bpermute_b32 v3, v3, v8
	s_wait_dscnt 0x0
	v_add_f32_e32 v3, v8, v3
	ds_bpermute_b32 v4, v4, v3
	s_wait_dscnt 0x0
	v_add_f32_e32 v3, v3, v4
	;; [unrolled: 3-line block ×5, first 2 shown]
	s_and_saveexec_b32 s4, vcc_lo
; %bb.29:
	ds_store_b32 v6, v3 offset:528
; %bb.30:
	s_or_b32 exec_lo, exec_lo, s4
	s_wait_dscnt 0x0
	s_barrier_signal -1
	s_barrier_wait -1
	s_and_saveexec_b32 s4, s0
; %bb.31:
	ds_load_b32 v3, v7 offset:528
; %bb.32:
	s_or_b32 exec_lo, exec_lo, s4
	s_wait_dscnt 0x0
	ds_bpermute_b32 v2, v2, v3
	s_wait_dscnt 0x0
	v_dual_mov_b32 v77, 0 :: v_dual_add_f32 v2, v3, v2
	ds_bpermute_b32 v3, v99, v2
	s_wait_dscnt 0x0
	v_add_f32_e32 v2, v2, v3
	ds_bpermute_b32 v2, v77, v2
	s_and_saveexec_b32 s0, s1
	s_cbranch_execz .LBB134_45
; %bb.33:
	s_wait_dscnt 0x0
	v_add_f32_e32 v2, 0x358637bd, v2
	s_mov_b32 s4, -1
	s_mov_b32 s1, exec_lo
	s_delay_alu instid0(VALU_DEP_1) | instskip(NEXT) | instid1(VALU_DEP_1)
	v_div_scale_f32 v3, null, v2, v2, 1.0
	v_rcp_f32_e32 v5, v3
	v_nop
	s_delay_alu instid0(TRANS32_DEP_1) | instskip(NEXT) | instid1(VALU_DEP_1)
	v_fma_f32 v4, -v3, v5, 1.0
	v_fmac_f32_e32 v5, v4, v5
	v_div_scale_f32 v6, vcc_lo, 1.0, v2, 1.0
	s_delay_alu instid0(VALU_DEP_1) | instskip(NEXT) | instid1(VALU_DEP_1)
	v_mul_f32_e32 v7, v6, v5
	v_fma_f32 v4, -v3, v7, v6
	s_delay_alu instid0(VALU_DEP_1) | instskip(SKIP_1) | instid1(VALU_DEP_2)
	v_fmac_f32_e32 v7, v4, v5
	v_xad_u32 v4, v0, -1, s5
	v_fma_f32 v3, -v3, v7, v6
	s_delay_alu instid0(VALU_DEP_1) | instskip(NEXT) | instid1(VALU_DEP_1)
	v_div_fmas_f32 v3, v3, v5, v7
	v_div_fixup_f32 v2, v3, v2, 1.0
	v_mov_b32_e32 v3, v0
	v_cmpx_lt_u32_e32 0x7f, v4
	s_cbranch_execz .LBB134_42
; %bb.34:
	s_delay_alu instid0(VALU_DEP_3) | instskip(NEXT) | instid1(VALU_DEP_1)
	v_dual_mov_b32 v3, v2 :: v_dual_lshrrev_b32 v4, 7, v4
	v_dual_mov_b32 v8, 0 :: v_dual_add_nc_u32 v5, -1, v4
	s_delay_alu instid0(VALU_DEP_1) | instskip(SKIP_1) | instid1(VALU_DEP_2)
	v_lshrrev_b32_e32 v6, 1, v5
	v_cmp_lt_u32_e32 vcc_lo, 13, v5
	v_add_nc_u32_e32 v5, 1, v6
	s_and_saveexec_b32 s4, vcc_lo
	s_cbranch_execz .LBB134_38
; %bb.35:
	s_delay_alu instid0(VALU_DEP_1)
	v_and_b32_e32 v6, -8, v5
	v_lshl_add_u32 v7, v0, 2, 0x220
	s_mov_b32 s11, 0
	s_mov_b32 s15, 0
.LBB134_36:                             ; =>This Inner Loop Header: Depth=1
	ds_load_2addr_stride64_b32 v[8:9], v7 offset1:2
	ds_load_2addr_stride64_b32 v[10:11], v7 offset0:4 offset1:6
	ds_load_2addr_stride64_b32 v[12:13], v7 offset0:8 offset1:10
	;; [unrolled: 1-line block ×7, first 2 shown]
	s_add_co_i32 s15, s15, 16
	v_add_nc_u32_e32 v6, -8, v6
	s_wait_dscnt 0x7
	v_pk_mul_f32 v[8:9], v[2:3], v[8:9]
	s_wait_dscnt 0x6
	v_pk_mul_f32 v[10:11], v[2:3], v[10:11]
	;; [unrolled: 2-line block ×8, first 2 shown]
	ds_store_2addr_stride64_b32 v7, v8, v9 offset1:2
	ds_store_2addr_stride64_b32 v7, v10, v11 offset0:4 offset1:6
	ds_store_2addr_stride64_b32 v7, v12, v13 offset0:8 offset1:10
	;; [unrolled: 1-line block ×7, first 2 shown]
	v_mov_b32_e32 v8, s15
	v_cmp_eq_u32_e32 vcc_lo, 0, v6
	v_add_nc_u32_e32 v7, 0x2000, v7
	s_or_b32 s11, vcc_lo, s11
	s_delay_alu instid0(SALU_CYCLE_1)
	s_and_not1_b32 exec_lo, exec_lo, s11
	s_cbranch_execnz .LBB134_36
; %bb.37:
	s_or_b32 exec_lo, exec_lo, s11
.LBB134_38:
	s_delay_alu instid0(SALU_CYCLE_1) | instskip(NEXT) | instid1(VALU_DEP_1)
	s_or_b32 exec_lo, exec_lo, s4
	v_and_b32_e32 v5, 7, v5
	s_mov_b32 s11, 0
	s_mov_b32 s4, exec_lo
	s_delay_alu instid0(VALU_DEP_1)
	v_cmpx_ne_u32_e32 0, v5
	s_cbranch_execz .LBB134_41
; %bb.39:
	v_lshlrev_b32_e32 v6, 9, v8
	v_lshlrev_b32_e32 v7, 2, v0
	s_delay_alu instid0(VALU_DEP_1)
	v_add3_u32 v6, v6, v7, 0x220
.LBB134_40:                             ; =>This Inner Loop Header: Depth=1
	ds_load_2addr_stride64_b32 v[8:9], v6 offset1:2
	v_add_nc_u32_e32 v5, -1, v5
	s_delay_alu instid0(VALU_DEP_1)
	v_cmp_eq_u32_e32 vcc_lo, 0, v5
	s_or_b32 s11, vcc_lo, s11
	s_wait_dscnt 0x0
	v_pk_mul_f32 v[8:9], v[2:3], v[8:9]
	ds_store_2addr_stride64_b32 v6, v8, v9 offset1:2
	v_add_nc_u32_e32 v6, 0x400, v6
	s_and_not1_b32 exec_lo, exec_lo, s11
	s_cbranch_execnz .LBB134_40
.LBB134_41:
	s_or_b32 exec_lo, exec_lo, s4
	v_add_nc_u32_e32 v3, 1, v4
	s_delay_alu instid0(VALU_DEP_1) | instskip(NEXT) | instid1(VALU_DEP_1)
	v_and_b32_e32 v4, 0x3fffffe, v3
	v_cmp_ne_u32_e32 vcc_lo, v3, v4
	v_lshl_add_u32 v3, v4, 7, v0
	s_or_not1_b32 s4, vcc_lo, exec_lo
.LBB134_42:
	s_or_b32 exec_lo, exec_lo, s1
	s_delay_alu instid0(SALU_CYCLE_1)
	s_and_b32 exec_lo, exec_lo, s4
	s_cbranch_execz .LBB134_45
; %bb.43:
	v_lshl_add_u32 v4, v3, 2, 0x220
	s_mov_b32 s1, 0
.LBB134_44:                             ; =>This Inner Loop Header: Depth=1
	ds_load_b32 v5, v4
	v_add_nc_u32_e32 v3, 0x80, v3
	s_delay_alu instid0(VALU_DEP_1)
	v_cmp_le_i32_e32 vcc_lo, s5, v3
	s_or_b32 s1, vcc_lo, s1
	s_wait_dscnt 0x0
	v_mul_f32_e32 v5, v2, v5
	ds_store_b32 v4, v5
	v_add_nc_u32_e32 v4, 0x200, v4
	s_and_not1_b32 exec_lo, exec_lo, s1
	s_cbranch_execnz .LBB134_44
.LBB134_45:
	s_or_b32 exec_lo, exec_lo, s0
	v_dual_mov_b32 v76, 0 :: v_dual_mov_b32 v79, 0
	v_dual_mov_b32 v78, 0 :: v_dual_mov_b32 v81, 0
	;; [unrolled: 1-line block ×7, first 2 shown]
	v_mov_b32_e32 v90, 0
	s_wait_dscnt 0x0
	s_barrier_signal -1
	s_barrier_wait -1
	s_and_saveexec_b32 s26, s3
	s_cbranch_execz .LBB134_83
; %bb.46:
	s_abs_i32 s27, s10
	v_dual_lshlrev_b32 v4, 4, v0 :: v_dual_bitop2_b32 v100, 8, v69 bitop3:0x40
	s_cvt_f32_u32 s0, s27
	v_dual_mov_b32 v75, 0 :: v_dual_lshlrev_b32 v6, 5, v96
	s_ashr_i32 s15, s14, 31
	s_delay_alu instid0(SALU_CYCLE_1)
	v_rcp_iflag_f32_e32 v3, s0
	v_and_b32_e32 v2, 0x7c, v68
	v_and_b32_e32 v4, 0x1f0, v4
	v_mov_b32_e32 v5, v75
	s_lshl_b64 s[0:1], s[22:23], 2
	s_lshl_b64 s[4:5], s[14:15], 1
	v_lshl_or_b32 v6, v97, 6, v6
	v_readfirstlane_b32 s3, v3
	v_mov_b32_e32 v3, v75
	s_add_nc_u64 s[0:1], s[20:21], s[0:1]
	s_wait_kmcnt 0x0
	s_add_nc_u64 s[4:5], s[24:25], s[4:5]
	s_sub_co_i32 s10, 0, s27
	s_mul_f32 s3, s3, 0x4f7ffffe
	v_add_nc_u64_e32 v[92:93], s[4:5], v[4:5]
	v_add_nc_u64_e32 v[94:95], s[0:1], v[2:3]
	v_dual_mov_b32 v102, v97 :: v_dual_add_nc_u32 v101, 0x220, v6
	s_cvt_u32_f32 s3, s3
	v_dual_mov_b32 v90, v75 :: v_dual_mov_b32 v91, v75
	v_dual_mov_b32 v88, v75 :: v_dual_mov_b32 v89, v75
	s_delay_alu instid0(SALU_CYCLE_1)
	s_mul_i32 s10, s10, s3
	v_dual_mov_b32 v86, v75 :: v_dual_mov_b32 v87, v75
	v_dual_mov_b32 v84, v75 :: v_dual_mov_b32 v85, v75
	;; [unrolled: 1-line block ×6, first 2 shown]
	s_mov_b32 s11, 0
	s_mul_hi_u32 s4, s3, s10
	s_sub_co_i32 s36, s8, s9
	s_ashr_i32 s9, s13, 31
	s_mov_b32 s8, s13
	s_add_co_i32 s13, s35, -1
	s_mov_b32 s14, s31
	s_add_co_i32 s10, s3, s4
	s_mov_b32 s15, s11
	s_branch .LBB134_49
.LBB134_47:                             ;   in Loop: Header=BB134_49 Depth=1
	s_or_b32 exec_lo, exec_lo, s0
	s_wait_dscnt 0x1
	v_cvt_pk_bf16_f32 v27, v26, v27
	v_cvt_pk_bf16_f32 v26, v28, v29
	s_wait_dscnt 0x0
	v_cvt_pk_bf16_f32 v22, v22, v23
	v_cvt_pk_bf16_f32 v23, v24, v25
	s_wait_loadcnt 0x1
	v_pk_mul_bf16 v28, v27, v70
	v_pk_mul_bf16 v29, v26, v71
	;; [unrolled: 1-line block ×5, first 2 shown]
	s_delay_alu instid0(VALU_DEP_4)
	v_dual_lshlrev_b32 v25, 16, v28 :: v_dual_lshlrev_b32 v70, 16, v29
	v_and_b32_e32 v28, 0xffff0000, v28
	v_and_b32_e32 v29, 0xffff0000, v29
	v_lshlrev_b32_e32 v72, 16, v24
	v_and_b32_e32 v24, 0xffff0000, v24
	v_pk_mul_bf16 v62, v27, v62
	s_delay_alu instid0(VALU_DEP_4)
	v_dual_add_f32 v25, v25, v28 :: v_dual_add_f32 v28, v70, v29
	v_pk_mul_bf16 v29, v27, v66
	v_lshlrev_b32_e32 v66, 16, v71
	v_and_b32_e32 v70, 0xffff0000, v71
	v_add_f32_e32 v24, v72, v24
	v_add_f32_e32 v25, v28, v25
	v_pk_mul_bf16 v28, v26, v67
	v_lshlrev_b32_e32 v67, 16, v29
	v_and_b32_e32 v29, 0xffff0000, v29
	s_delay_alu instid0(VALU_DEP_4) | instskip(NEXT) | instid1(VALU_DEP_4)
	v_dual_add_f32 v66, v66, v70 :: v_dual_add_f32 v24, v24, v25
	v_lshlrev_b32_e32 v25, 16, v28
	v_and_b32_e32 v28, 0xffff0000, v28
	s_delay_alu instid0(VALU_DEP_4)
	v_add_f32_e32 v29, v67, v29
	v_and_b32_e32 v67, 0xffff0000, v68
	v_pk_mul_bf16 v69, v23, v69
	v_pk_mul_bf16 v64, v22, v64
	v_add_f32_e32 v25, v25, v28
	v_pk_mul_bf16 v28, v26, v63
	v_dual_lshlrev_b32 v63, 16, v68 :: v_dual_lshlrev_b32 v68, 16, v62
	v_and_b32_e32 v62, 0xffff0000, v62
	s_delay_alu instid0(VALU_DEP_3) | instskip(SKIP_1) | instid1(VALU_DEP_3)
	v_dual_add_f32 v25, v25, v29 :: v_dual_lshlrev_b32 v70, 16, v28
	v_and_b32_e32 v28, 0xffff0000, v28
	v_dual_add_f32 v29, v63, v67 :: v_dual_add_f32 v62, v68, v62
	v_add_f32_e32 v24, v66, v24
	v_pk_mul_bf16 v65, v23, v65
	s_delay_alu instid0(VALU_DEP_4)
	v_dual_add_f32 v28, v70, v28 :: v_dual_lshlrev_b32 v67, 16, v69
	v_lshlrev_b32_e32 v63, 16, v64
	v_and_b32_e32 v64, 0xffff0000, v64
	v_dual_add_f32 v25, v29, v25 :: v_dual_add_f32 v76, v76, v24
	v_pk_mul_bf16 v24, v26, v59
	v_and_b32_e32 v68, 0xffff0000, v69
	s_delay_alu instid0(VALU_DEP_4)
	v_dual_add_f32 v28, v28, v62 :: v_dual_add_f32 v62, v63, v64
	v_lshlrev_b32_e32 v63, 16, v65
	v_and_b32_e32 v64, 0xffff0000, v65
	v_lshlrev_b32_e32 v59, 16, v24
	v_and_b32_e32 v24, 0xffff0000, v24
	v_pk_mul_bf16 v58, v27, v58
	v_pk_mul_bf16 v60, v22, v60
	;; [unrolled: 1-line block ×4, first 2 shown]
	v_add_f32_e32 v24, v59, v24
	v_add_f32_e32 v29, v67, v68
	;; [unrolled: 1-line block ×4, first 2 shown]
	v_pk_mul_bf16 v52, v22, v52
	v_pk_mul_bf16 v46, v27, v46
	v_dual_add_f32 v25, v29, v25 :: v_dual_lshlrev_b32 v29, 16, v58
	s_delay_alu instid0(VALU_DEP_4) | instskip(SKIP_2) | instid1(VALU_DEP_4)
	v_add_f32_e32 v28, v62, v28
	v_and_b32_e32 v58, 0xffff0000, v58
	v_pk_mul_bf16 v48, v22, v48
	v_add_f32_e32 v79, v79, v25
	v_pk_mul_bf16 v42, v27, v42
	s_delay_alu instid0(VALU_DEP_4)
	v_dual_add_f32 v78, v78, v28 :: v_dual_add_f32 v25, v29, v58
	v_lshlrev_b32_e32 v28, 16, v60
	v_and_b32_e32 v29, 0xffff0000, v60
	v_pk_mul_bf16 v58, v23, v61
	v_pk_mul_bf16 v43, v26, v43
	v_add_f32_e32 v24, v24, v25
	v_pk_mul_bf16 v44, v22, v44
	v_dual_add_f32 v25, v28, v29 :: v_dual_lshlrev_b32 v28, 16, v50
	v_and_b32_e32 v29, 0xffff0000, v50
	v_lshlrev_b32_e32 v50, 16, v51
	v_and_b32_e32 v51, 0xffff0000, v51
	v_lshlrev_b32_e32 v59, 16, v58
	v_and_b32_e32 v58, 0xffff0000, v58
	v_add_f32_e32 v28, v28, v29
	v_pk_mul_bf16 v38, v27, v38
	v_dual_add_f32 v29, v50, v51 :: v_dual_lshlrev_b32 v50, 16, v52
	v_and_b32_e32 v51, 0xffff0000, v52
	v_pk_mul_bf16 v52, v23, v53
	v_dual_add_f32 v24, v25, v24 :: v_dual_add_f32 v25, v59, v58
	s_delay_alu instid0(VALU_DEP_3) | instskip(NEXT) | instid1(VALU_DEP_3)
	v_dual_add_f32 v28, v29, v28 :: v_dual_add_f32 v29, v50, v51
	v_lshlrev_b32_e32 v50, 16, v52
	v_and_b32_e32 v51, 0xffff0000, v52
	s_delay_alu instid0(VALU_DEP_4) | instskip(SKIP_2) | instid1(VALU_DEP_4)
	v_add_f32_e32 v24, v25, v24
	v_pk_mul_bf16 v25, v26, v47
	v_dual_add_f32 v28, v29, v28 :: v_dual_lshlrev_b32 v47, 16, v46
	v_add_f32_e32 v29, v50, v51
	v_and_b32_e32 v46, 0xffff0000, v46
	s_delay_alu instid0(VALU_DEP_4)
	v_lshlrev_b32_e32 v50, 16, v25
	v_and_b32_e32 v25, 0xffff0000, v25
	v_add_f32_e32 v81, v81, v24
	v_pk_mul_bf16 v40, v22, v40
	v_pk_mul_bf16 v41, v23, v41
	;; [unrolled: 1-line block ×3, first 2 shown]
	v_dual_add_f32 v25, v50, v25 :: v_dual_add_f32 v24, v29, v28
	v_dual_add_f32 v28, v47, v46 :: v_dual_lshlrev_b32 v29, 16, v48
	v_and_b32_e32 v46, 0xffff0000, v48
	v_pk_mul_bf16 v47, v23, v49
	v_pk_mul_bf16 v36, v22, v36
	s_delay_alu instid0(VALU_DEP_4)
	v_add_f32_e32 v25, v25, v28
	v_pk_mul_bf16 v32, v22, v32
	v_add_f32_e32 v28, v29, v46
	v_lshlrev_b32_e32 v29, 16, v42
	v_and_b32_e32 v42, 0xffff0000, v42
	v_lshlrev_b32_e32 v46, 16, v43
	v_and_b32_e32 v43, 0xffff0000, v43
	;; [unrolled: 2-line block ×3, first 2 shown]
	v_dual_add_f32 v29, v29, v42 :: v_dual_add_f32 v80, v80, v24
	s_delay_alu instid0(VALU_DEP_4) | instskip(SKIP_2) | instid1(VALU_DEP_3)
	v_dual_add_f32 v42, v46, v43 :: v_dual_lshlrev_b32 v43, 16, v44
	v_and_b32_e32 v44, 0xffff0000, v44
	v_add_f32_e32 v25, v28, v25
	v_dual_add_f32 v28, v48, v47 :: v_dual_add_f32 v24, v42, v29
	v_pk_mul_bf16 v18, v27, v18
	s_delay_alu instid0(VALU_DEP_4) | instskip(SKIP_1) | instid1(VALU_DEP_4)
	v_add_f32_e32 v29, v43, v44
	v_pk_mul_bf16 v19, v26, v19
	v_add_f32_e32 v25, v28, v25
	v_pk_mul_bf16 v28, v26, v39
	v_pk_mul_bf16 v39, v23, v45
	v_dual_add_f32 v24, v29, v24 :: v_dual_lshlrev_b32 v29, 16, v38
	v_and_b32_e32 v38, 0xffff0000, v38
	s_delay_alu instid0(VALU_DEP_3) | instskip(SKIP_2) | instid1(VALU_DEP_4)
	v_dual_lshlrev_b32 v42, 16, v28 :: v_dual_lshlrev_b32 v43, 16, v39
	v_and_b32_e32 v28, 0xffff0000, v28
	v_and_b32_e32 v39, 0xffff0000, v39
	v_dual_add_f32 v29, v29, v38 :: v_dual_lshlrev_b32 v38, 16, v40
	v_and_b32_e32 v40, 0xffff0000, v40
	s_delay_alu instid0(VALU_DEP_3) | instskip(SKIP_3) | instid1(VALU_DEP_4)
	v_dual_add_f32 v28, v42, v28 :: v_dual_add_f32 v39, v43, v39
	v_lshlrev_b32_e32 v42, 16, v35
	v_and_b32_e32 v35, 0xffff0000, v35
	v_pk_mul_bf16 v20, v22, v20
	v_add_f32_e32 v28, v28, v29
	v_pk_mul_bf16 v29, v27, v34
	v_dual_add_f32 v34, v38, v40 :: v_dual_lshlrev_b32 v38, 16, v41
	v_and_b32_e32 v40, 0xffff0000, v41
	s_delay_alu instid0(VALU_DEP_3) | instskip(NEXT) | instid1(VALU_DEP_3)
	v_dual_add_f32 v35, v42, v35 :: v_dual_lshlrev_b32 v41, 16, v29
	v_add_f32_e32 v28, v34, v28
	v_and_b32_e32 v29, 0xffff0000, v29
	s_delay_alu instid0(VALU_DEP_4)
	v_add_f32_e32 v34, v38, v40
	v_lshlrev_b32_e32 v38, 16, v36
	v_and_b32_e32 v36, 0xffff0000, v36
	v_pk_mul_bf16 v33, v23, v33
	v_add_f32_e32 v29, v41, v29
	v_dual_add_f32 v83, v83, v25 :: v_dual_add_f32 v25, v34, v28
	v_add_f32_e32 v24, v39, v24
	v_pk_mul_bf16 v21, v23, v21
	s_delay_alu instid0(VALU_DEP_4) | instskip(NEXT) | instid1(VALU_DEP_4)
	v_dual_add_f32 v28, v35, v29 :: v_dual_add_f32 v29, v38, v36
	v_add_f32_e32 v85, v85, v25
	v_pk_mul_bf16 v25, v27, v30
	v_lshlrev_b32_e32 v35, 16, v19
	v_and_b32_e32 v19, 0xffff0000, v19
	v_add_f32_e32 v28, v29, v28
	v_pk_mul_bf16 v29, v26, v31
	v_lshlrev_b32_e32 v31, 16, v25
	v_and_b32_e32 v25, 0xffff0000, v25
	;; [unrolled: 4-line block ×3, first 2 shown]
	v_dual_add_f32 v25, v31, v25 :: v_dual_lshlrev_b32 v31, 16, v32
	v_and_b32_e32 v32, 0xffff0000, v32
	s_delay_alu instid0(VALU_DEP_3)
	v_dual_add_f32 v19, v35, v19 :: v_dual_add_f32 v29, v34, v29
	v_lshlrev_b32_e32 v34, 16, v18
	v_and_b32_e32 v18, 0xffff0000, v18
	v_lshlrev_b32_e32 v30, 16, v24
	v_and_b32_e32 v24, 0xffff0000, v24
	v_dual_add_f32 v25, v29, v25 :: v_dual_add_f32 v29, v31, v32
	s_delay_alu instid0(VALU_DEP_4) | instskip(SKIP_3) | instid1(VALU_DEP_4)
	v_dual_add_f32 v18, v34, v18 :: v_dual_lshlrev_b32 v31, 16, v20
	v_lshlrev_b32_e32 v32, 16, v33
	v_and_b32_e32 v20, 0xffff0000, v20
	v_and_b32_e32 v33, 0xffff0000, v33
	v_dual_add_f32 v18, v19, v18 :: v_dual_add_f32 v24, v30, v24
	s_delay_alu instid0(VALU_DEP_3)
	v_dual_add_f32 v25, v29, v25 :: v_dual_add_f32 v19, v31, v20
	v_lshlrev_b32_e32 v20, 16, v21
	v_and_b32_e32 v21, 0xffff0000, v21
	v_add_f32_e32 v29, v32, v33
	v_pk_mul_bf16 v14, v27, v14
	v_add_f32_e32 v18, v19, v18
	v_pk_mul_bf16 v15, v26, v15
	v_add_f32_e32 v19, v20, v21
	v_dual_add_f32 v20, v24, v28 :: v_dual_add_f32 v21, v29, v25
	v_pk_mul_bf16 v10, v27, v10
	s_delay_alu instid0(VALU_DEP_3) | instskip(NEXT) | instid1(VALU_DEP_3)
	v_dual_lshlrev_b32 v24, 16, v15 :: v_dual_add_f32 v18, v19, v18
	v_dual_add_f32 v84, v84, v20 :: v_dual_lshlrev_b32 v19, 16, v14
	v_and_b32_e32 v14, 0xffff0000, v14
	v_and_b32_e32 v15, 0xffff0000, v15
	v_pk_mul_bf16 v11, v26, v11
	v_dual_add_f32 v87, v87, v21 :: v_dual_add_f32 v86, v86, v18
	s_delay_alu instid0(VALU_DEP_3) | instskip(SKIP_1) | instid1(VALU_DEP_4)
	v_dual_add_f32 v14, v19, v14 :: v_dual_add_f32 v15, v24, v15
	v_pk_mul_bf16 v16, v22, v16
	v_lshlrev_b32_e32 v18, 16, v11
	v_and_b32_e32 v11, 0xffff0000, v11
	v_pk_mul_bf16 v12, v22, v12
	v_add_f32_e32 v14, v15, v14
	v_dual_lshlrev_b32 v15, 16, v10 :: v_dual_lshlrev_b32 v19, 16, v16
	v_and_b32_e32 v10, 0xffff0000, v10
	v_pk_mul_bf16 v17, v23, v17
	v_and_b32_e32 v16, 0xffff0000, v16
	v_add_f32_e32 v11, v18, v11
	v_pk_mul_bf16 v13, v23, v13
	v_dual_add_f32 v10, v15, v10 :: v_dual_lshlrev_b32 v15, 16, v12
	v_lshlrev_b32_e32 v18, 16, v17
	v_and_b32_e32 v12, 0xffff0000, v12
	v_and_b32_e32 v17, 0xffff0000, v17
	v_add_f32_e32 v16, v19, v16
	v_add_f32_e32 v10, v11, v10
	v_pk_mul_bf16 v6, v27, v6
	v_add_f32_e32 v11, v15, v12
	v_pk_mul_bf16 v7, v26, v7
	;; [unrolled: 2-line block ×3, first 2 shown]
	v_pk_mul_bf16 v2, v27, v2
	s_delay_alu instid0(VALU_DEP_4)
	v_dual_add_f32 v10, v11, v10 :: v_dual_lshlrev_b32 v16, 16, v7
	v_lshlrev_b32_e32 v11, 16, v13
	v_and_b32_e32 v13, 0xffff0000, v13
	v_lshlrev_b32_e32 v15, 16, v6
	v_and_b32_e32 v6, 0xffff0000, v6
	v_and_b32_e32 v7, 0xffff0000, v7
	v_pk_mul_bf16 v3, v26, v3
	v_dual_add_f32 v11, v11, v13 :: v_dual_lshlrev_b32 v13, 16, v8
	s_delay_alu instid0(VALU_DEP_3)
	v_dual_add_f32 v6, v15, v6 :: v_dual_add_f32 v7, v16, v7
	v_and_b32_e32 v8, 0xffff0000, v8
	v_lshlrev_b32_e32 v15, 16, v2
	v_and_b32_e32 v2, 0xffff0000, v2
	v_lshlrev_b32_e32 v16, 16, v3
	v_and_b32_e32 v3, 0xffff0000, v3
	v_add_f32_e32 v14, v18, v17
	v_pk_mul_bf16 v9, v23, v9
	v_dual_add_f32 v17, v7, v6 :: v_dual_add_f32 v13, v13, v8
	s_delay_alu instid0(VALU_DEP_4) | instskip(NEXT) | instid1(VALU_DEP_3)
	v_dual_add_f32 v2, v15, v2 :: v_dual_add_f32 v3, v16, v3
	v_lshlrev_b32_e32 v15, 16, v9
	v_pk_mul_bf16 v4, v22, v4
	v_pk_mul_bf16 v18, v23, v5
	s_wait_loadcnt 0x0
	v_pk_mul_bf16 v6, v22, v56
	v_add_f32_e32 v19, v3, v2
	v_pk_mul_bf16 v2, v27, v54
	v_lshlrev_b32_e32 v20, 16, v4
	v_and_b32_e32 v21, 0xffff0000, v4
	v_pk_mul_bf16 v4, v26, v55
	v_pk_mul_bf16 v8, v23, v57
	v_and_b32_e32 v3, 0xffff0000, v2
	v_lshlrev_b32_e32 v5, 16, v2
	v_and_b32_e32 v16, 0xffff0000, v9
	v_and_b32_e32 v2, 0xffff0000, v4
	v_lshlrev_b32_e32 v4, 16, v4
	v_and_b32_e32 v7, 0xffff0000, v6
	v_lshlrev_b32_e32 v9, 16, v6
	;; [unrolled: 2-line block ×3, first 2 shown]
	v_pk_add_f32 v[2:3], v[4:5], v[2:3]
	v_dual_add_f32 v20, v20, v21 :: v_dual_lshlrev_b32 v21, 16, v18
	v_and_b32_e32 v18, 0xffff0000, v18
	s_delay_alu instid0(VALU_DEP_4) | instskip(NEXT) | instid1(VALU_DEP_4)
	v_pk_add_f32 v[4:5], v[8:9], v[6:7]
	v_dual_add_f32 v2, v2, v3 :: v_dual_add_f32 v3, v13, v17
	s_delay_alu instid0(VALU_DEP_4) | instskip(NEXT) | instid1(VALU_DEP_4)
	v_dual_add_f32 v6, v15, v16 :: v_dual_add_f32 v7, v20, v19
	v_add_f32_e32 v8, v21, v18
	s_delay_alu instid0(VALU_DEP_3) | instskip(NEXT) | instid1(VALU_DEP_3)
	v_dual_add_f32 v2, v5, v2 :: v_dual_add_f32 v5, v14, v12
	v_dual_add_f32 v9, v11, v10 :: v_dual_add_f32 v3, v6, v3
	s_delay_alu instid0(VALU_DEP_3) | instskip(NEXT) | instid1(VALU_DEP_3)
	v_add_f32_e32 v6, v8, v7
	v_dual_add_f32 v2, v4, v2 :: v_dual_add_f32 v89, v89, v5
	s_delay_alu instid0(VALU_DEP_3) | instskip(NEXT) | instid1(VALU_DEP_3)
	v_dual_add_f32 v88, v88, v9 :: v_dual_add_f32 v91, v91, v3
	v_add_f32_e32 v90, v90, v6
	s_delay_alu instid0(VALU_DEP_3)
	v_add_f32_e32 v77, v77, v2
.LBB134_48:                             ;   in Loop: Header=BB134_49 Depth=1
	s_or_b32 exec_lo, exec_lo, s20
	v_add_nc_u32_e32 v102, 4, v102
	v_add_nc_u64_e32 v[94:95], 16, v[94:95]
	v_add_nc_u32_e32 v74, 64, v74
	v_add_nc_u32_e32 v101, 0x100, v101
	s_delay_alu instid0(VALU_DEP_4) | instskip(SKIP_1) | instid1(SALU_CYCLE_1)
	v_cmp_le_i32_e32 vcc_lo, s35, v102
	s_or_b32 s15, vcc_lo, s15
	s_and_not1_b32 exec_lo, exec_lo, s15
	s_cbranch_execz .LBB134_82
.LBB134_49:                             ; =>This Inner Loop Header: Depth=1
	v_mul_u64_e32 v[2:3], s[18:19], v[74:75]
	s_delay_alu instid0(VALU_DEP_1) | instskip(NEXT) | instid1(VALU_DEP_1)
	v_mul_lo_u32 v2, v3, s17
	v_dual_add_nc_u32 v4, 1, v3 :: v_dual_sub_nc_u32 v2, v74, v2
	s_delay_alu instid0(VALU_DEP_1) | instskip(SKIP_1) | instid1(VALU_DEP_2)
	v_subrev_nc_u32_e32 v5, s17, v2
	v_cmp_le_u32_e32 vcc_lo, s17, v2
	v_dual_cndmask_b32 v3, v3, v4 :: v_dual_cndmask_b32 v2, v2, v5
	s_delay_alu instid0(VALU_DEP_1) | instskip(NEXT) | instid1(VALU_DEP_2)
	v_add_nc_u32_e32 v4, 1, v3
	v_cmp_le_u32_e32 vcc_lo, s17, v2
	s_delay_alu instid0(VALU_DEP_2) | instskip(NEXT) | instid1(VALU_DEP_1)
	v_cndmask_b32_e32 v2, v3, v4, vcc_lo
	v_dual_mov_b32 v3, v75 :: v_dual_bitop2_b32 v2, s34, v2 bitop3:0x14
	s_delay_alu instid0(VALU_DEP_1) | instskip(NEXT) | instid1(VALU_DEP_1)
	v_subrev_nc_u32_e32 v6, s34, v2
	v_add_nc_u32_e32 v7, s33, v6
	v_cmp_lt_i32_e64 s0, s36, v6
	s_delay_alu instid0(VALU_DEP_2) | instskip(NEXT) | instid1(VALU_DEP_1)
	v_sub_nc_u32_e32 v2, 0, v7
	v_max_i32_e32 v2, v7, v2
	s_delay_alu instid0(VALU_DEP_1) | instskip(SKIP_1) | instid1(VALU_DEP_2)
	v_mul_u64_e32 v[4:5], s[10:11], v[2:3]
	v_ashrrev_i32_e32 v4, 31, v7
	v_mul_lo_u32 v3, v5, s27
	s_delay_alu instid0(VALU_DEP_1) | instskip(NEXT) | instid1(VALU_DEP_1)
	v_sub_nc_u32_e32 v2, v2, v3
	v_subrev_nc_u32_e32 v3, s27, v2
	v_cmp_le_u32_e32 vcc_lo, s27, v2
	s_delay_alu instid0(VALU_DEP_2) | instskip(NEXT) | instid1(VALU_DEP_1)
	v_cndmask_b32_e32 v2, v2, v3, vcc_lo
	v_subrev_nc_u32_e32 v3, s27, v2
	v_cmp_le_u32_e32 vcc_lo, s27, v2
	s_delay_alu instid0(VALU_DEP_2) | instskip(NEXT) | instid1(VALU_DEP_1)
	v_cndmask_b32_e32 v2, v2, v3, vcc_lo
	v_xor_b32_e32 v2, v2, v4
	s_delay_alu instid0(VALU_DEP_1) | instskip(NEXT) | instid1(VALU_DEP_1)
	v_sub_nc_u32_e32 v2, v2, v4
	v_cmp_eq_u32_e32 vcc_lo, 0, v2
	s_or_b32 s0, vcc_lo, s0
	s_delay_alu instid0(SALU_CYCLE_1)
	s_and_saveexec_b32 s20, s0
	s_cbranch_execz .LBB134_48
; %bb.50:                               ;   in Loop: Header=BB134_49 Depth=1
	global_load_b32 v2, v[94:95], off
	v_add_nc_u32_e32 v110, v100, v74
	v_cmp_eq_u32_e32 vcc_lo, s13, v102
	s_delay_alu instid0(VALU_DEP_2)
	v_dual_add_nc_u32 v108, 1, v110 :: v_dual_bitop2_b32 v107, 3, v110 bitop3:0x54
	v_or_b32_e32 v109, 2, v110
	v_or_b32_e32 v104, 5, v110
	;; [unrolled: 1-line block ×5, first 2 shown]
	s_wait_loadcnt 0x0
	v_ashrrev_i32_e32 v3, 31, v2
	s_delay_alu instid0(VALU_DEP_1) | instskip(NEXT) | instid1(VALU_DEP_1)
	v_mul_u64_e32 v[2:3], s[8:9], v[2:3]
	v_lshl_add_u64 v[54:55], v[2:3], 1, v[92:93]
	global_load_b128 v[2:5], v[54:55], off
	ds_load_2addr_b64 v[26:29], v101 offset1:1
	ds_load_2addr_b64 v[22:25], v101 offset0:2 offset1:3
	s_wait_xcnt 0x0
	s_and_saveexec_b32 s1, vcc_lo
	s_cbranch_execnz .LBB134_66
; %bb.51:                               ;   in Loop: Header=BB134_49 Depth=1
	s_or_b32 exec_lo, exec_lo, s1
	global_load_b128 v[6:9], v[54:55], off offset:512
	s_wait_xcnt 0x0
	s_and_saveexec_b32 s1, vcc_lo
	s_cbranch_execnz .LBB134_67
.LBB134_52:                             ;   in Loop: Header=BB134_49 Depth=1
	s_or_b32 exec_lo, exec_lo, s1
	global_load_b128 v[10:13], v[54:55], off offset:1024
	s_wait_xcnt 0x0
	s_and_saveexec_b32 s1, vcc_lo
	s_cbranch_execnz .LBB134_68
.LBB134_53:                             ;   in Loop: Header=BB134_49 Depth=1
	s_or_b32 exec_lo, exec_lo, s1
	global_load_b128 v[14:17], v[54:55], off offset:1536
	s_wait_xcnt 0x0
	s_and_saveexec_b32 s1, vcc_lo
	s_cbranch_execnz .LBB134_69
.LBB134_54:                             ;   in Loop: Header=BB134_49 Depth=1
	s_or_b32 exec_lo, exec_lo, s1
	global_load_b128 v[18:21], v[54:55], off offset:2048
	s_wait_xcnt 0x0
	s_and_saveexec_b32 s1, vcc_lo
	s_cbranch_execnz .LBB134_70
.LBB134_55:                             ;   in Loop: Header=BB134_49 Depth=1
	s_or_b32 exec_lo, exec_lo, s1
	global_load_b128 v[30:33], v[54:55], off offset:2560
	s_wait_xcnt 0x0
	s_and_saveexec_b32 s1, vcc_lo
	s_cbranch_execnz .LBB134_71
.LBB134_56:                             ;   in Loop: Header=BB134_49 Depth=1
	s_or_b32 exec_lo, exec_lo, s1
	global_load_b128 v[34:37], v[54:55], off offset:3072
	s_wait_xcnt 0x0
	s_and_saveexec_b32 s1, vcc_lo
	s_cbranch_execnz .LBB134_72
.LBB134_57:                             ;   in Loop: Header=BB134_49 Depth=1
	s_or_b32 exec_lo, exec_lo, s1
	global_load_b128 v[38:41], v[54:55], off offset:3584
	s_wait_xcnt 0x0
	s_and_saveexec_b32 s1, vcc_lo
	s_cbranch_execnz .LBB134_73
.LBB134_58:                             ;   in Loop: Header=BB134_49 Depth=1
	s_or_b32 exec_lo, exec_lo, s1
	global_load_b128 v[42:45], v[54:55], off offset:4096
	s_wait_xcnt 0x0
	s_and_saveexec_b32 s1, vcc_lo
	s_cbranch_execnz .LBB134_74
.LBB134_59:                             ;   in Loop: Header=BB134_49 Depth=1
	s_or_b32 exec_lo, exec_lo, s1
	global_load_b128 v[46:49], v[54:55], off offset:4608
	s_wait_xcnt 0x0
	s_and_saveexec_b32 s1, vcc_lo
	s_cbranch_execnz .LBB134_75
.LBB134_60:                             ;   in Loop: Header=BB134_49 Depth=1
	s_or_b32 exec_lo, exec_lo, s1
	global_load_b128 v[50:53], v[54:55], off offset:5120
	s_wait_xcnt 0x0
	s_and_saveexec_b32 s1, vcc_lo
	s_cbranch_execnz .LBB134_76
.LBB134_61:                             ;   in Loop: Header=BB134_49 Depth=1
	s_or_b32 exec_lo, exec_lo, s1
	global_load_b128 v[58:61], v[54:55], off offset:5632
	s_wait_xcnt 0x0
	s_and_saveexec_b32 s1, vcc_lo
	s_cbranch_execnz .LBB134_77
.LBB134_62:                             ;   in Loop: Header=BB134_49 Depth=1
	s_or_b32 exec_lo, exec_lo, s1
	global_load_b128 v[62:65], v[54:55], off offset:6144
	s_wait_xcnt 0x0
	s_and_saveexec_b32 s1, vcc_lo
	s_cbranch_execnz .LBB134_78
.LBB134_63:                             ;   in Loop: Header=BB134_49 Depth=1
	s_or_b32 exec_lo, exec_lo, s1
	global_load_b128 v[66:69], v[54:55], off offset:6656
	s_wait_xcnt 0x0
	s_and_saveexec_b32 s1, vcc_lo
	s_cbranch_execnz .LBB134_79
.LBB134_64:                             ;   in Loop: Header=BB134_49 Depth=1
	s_or_b32 exec_lo, exec_lo, s1
	global_load_b128 v[70:73], v[54:55], off offset:7168
	s_wait_xcnt 0x0
	s_and_saveexec_b32 s21, vcc_lo
	s_cbranch_execnz .LBB134_80
.LBB134_65:                             ;   in Loop: Header=BB134_49 Depth=1
	s_or_b32 exec_lo, exec_lo, s21
	global_load_b128 v[54:57], v[54:55], off offset:7680
	s_wait_xcnt 0x0
	s_and_saveexec_b32 s0, vcc_lo
	s_cbranch_execz .LBB134_47
	s_branch .LBB134_81
.LBB134_66:                             ;   in Loop: Header=BB134_49 Depth=1
	v_cmp_gt_i32_e64 s0, s31, v110
	s_wait_loadcnt 0x0
	v_dual_lshrrev_b32 v6, 16, v2 :: v_dual_lshrrev_b32 v8, 16, v4
	s_delay_alu instid0(VALU_DEP_2) | instskip(SKIP_1) | instid1(VALU_DEP_1)
	v_cndmask_b32_e64 v2, 0, v2, s0
	v_cmp_gt_i32_e64 s0, s14, v108
	v_dual_lshrrev_b32 v7, 16, v3 :: v_dual_cndmask_b32 v6, 0, v6, s0
	v_cmp_gt_i32_e64 s0, s31, v109
	s_delay_alu instid0(VALU_DEP_2) | instskip(NEXT) | instid1(VALU_DEP_2)
	v_perm_b32 v2, v6, v2, 0x5040100
	v_cndmask_b32_e64 v3, 0, v3, s0
	v_cmp_gt_i32_e64 s0, s14, v107
	s_delay_alu instid0(VALU_DEP_1) | instskip(SKIP_1) | instid1(VALU_DEP_1)
	v_cndmask_b32_e64 v7, 0, v7, s0
	v_cmp_gt_i32_e64 s0, s31, v106
	v_cndmask_b32_e64 v4, 0, v4, s0
	v_cmp_gt_i32_e64 s0, s14, v104
	v_lshrrev_b32_e32 v9, 16, v5
	v_perm_b32 v3, v7, v3, 0x5040100
	s_delay_alu instid0(VALU_DEP_3) | instskip(SKIP_1) | instid1(VALU_DEP_2)
	v_cndmask_b32_e64 v8, 0, v8, s0
	v_cmp_gt_i32_e64 s0, s31, v105
	v_perm_b32 v4, v8, v4, 0x5040100
	s_delay_alu instid0(VALU_DEP_2) | instskip(SKIP_1) | instid1(VALU_DEP_1)
	v_cndmask_b32_e64 v5, 0, v5, s0
	v_cmp_gt_i32_e64 s0, s14, v103
	v_cndmask_b32_e64 v9, 0, v9, s0
	s_delay_alu instid0(VALU_DEP_1)
	v_perm_b32 v5, v9, v5, 0x5040100
	s_or_b32 exec_lo, exec_lo, s1
	global_load_b128 v[6:9], v[54:55], off offset:512
	s_wait_xcnt 0x0
	s_and_saveexec_b32 s1, vcc_lo
	s_cbranch_execz .LBB134_52
.LBB134_67:                             ;   in Loop: Header=BB134_49 Depth=1
	v_cmp_gt_i32_e64 s0, s31, v110
	s_wait_loadcnt 0x0
	v_dual_lshrrev_b32 v10, 16, v6 :: v_dual_lshrrev_b32 v12, 16, v8
	s_delay_alu instid0(VALU_DEP_2) | instskip(SKIP_1) | instid1(VALU_DEP_1)
	v_cndmask_b32_e64 v6, 0, v6, s0
	v_cmp_gt_i32_e64 s0, s14, v108
	v_dual_lshrrev_b32 v11, 16, v7 :: v_dual_cndmask_b32 v10, 0, v10, s0
	v_cmp_gt_i32_e64 s0, s31, v109
	s_delay_alu instid0(VALU_DEP_2) | instskip(NEXT) | instid1(VALU_DEP_2)
	v_perm_b32 v6, v10, v6, 0x5040100
	v_cndmask_b32_e64 v7, 0, v7, s0
	v_cmp_gt_i32_e64 s0, s14, v107
	s_delay_alu instid0(VALU_DEP_1) | instskip(SKIP_1) | instid1(VALU_DEP_1)
	v_cndmask_b32_e64 v11, 0, v11, s0
	v_cmp_gt_i32_e64 s0, s31, v106
	v_cndmask_b32_e64 v8, 0, v8, s0
	v_cmp_gt_i32_e64 s0, s14, v104
	v_lshrrev_b32_e32 v13, 16, v9
	v_perm_b32 v7, v11, v7, 0x5040100
	s_delay_alu instid0(VALU_DEP_3) | instskip(SKIP_1) | instid1(VALU_DEP_2)
	v_cndmask_b32_e64 v12, 0, v12, s0
	v_cmp_gt_i32_e64 s0, s31, v105
	v_perm_b32 v8, v12, v8, 0x5040100
	s_delay_alu instid0(VALU_DEP_2) | instskip(SKIP_1) | instid1(VALU_DEP_1)
	v_cndmask_b32_e64 v9, 0, v9, s0
	v_cmp_gt_i32_e64 s0, s14, v103
	v_cndmask_b32_e64 v13, 0, v13, s0
	s_delay_alu instid0(VALU_DEP_1)
	v_perm_b32 v9, v13, v9, 0x5040100
	s_or_b32 exec_lo, exec_lo, s1
	global_load_b128 v[10:13], v[54:55], off offset:1024
	s_wait_xcnt 0x0
	s_and_saveexec_b32 s1, vcc_lo
	s_cbranch_execz .LBB134_53
.LBB134_68:                             ;   in Loop: Header=BB134_49 Depth=1
	v_cmp_gt_i32_e64 s0, s31, v110
	s_wait_loadcnt 0x0
	v_dual_lshrrev_b32 v14, 16, v10 :: v_dual_lshrrev_b32 v16, 16, v12
	s_delay_alu instid0(VALU_DEP_2) | instskip(SKIP_1) | instid1(VALU_DEP_1)
	v_cndmask_b32_e64 v10, 0, v10, s0
	v_cmp_gt_i32_e64 s0, s14, v108
	v_dual_lshrrev_b32 v15, 16, v11 :: v_dual_cndmask_b32 v14, 0, v14, s0
	v_cmp_gt_i32_e64 s0, s31, v109
	s_delay_alu instid0(VALU_DEP_2) | instskip(NEXT) | instid1(VALU_DEP_2)
	v_perm_b32 v10, v14, v10, 0x5040100
	v_cndmask_b32_e64 v11, 0, v11, s0
	v_cmp_gt_i32_e64 s0, s14, v107
	s_delay_alu instid0(VALU_DEP_1) | instskip(SKIP_1) | instid1(VALU_DEP_1)
	v_cndmask_b32_e64 v15, 0, v15, s0
	v_cmp_gt_i32_e64 s0, s31, v106
	v_cndmask_b32_e64 v12, 0, v12, s0
	v_cmp_gt_i32_e64 s0, s14, v104
	v_lshrrev_b32_e32 v17, 16, v13
	v_perm_b32 v11, v15, v11, 0x5040100
	s_delay_alu instid0(VALU_DEP_3) | instskip(SKIP_1) | instid1(VALU_DEP_2)
	v_cndmask_b32_e64 v16, 0, v16, s0
	v_cmp_gt_i32_e64 s0, s31, v105
	v_perm_b32 v12, v16, v12, 0x5040100
	s_delay_alu instid0(VALU_DEP_2) | instskip(SKIP_1) | instid1(VALU_DEP_1)
	v_cndmask_b32_e64 v13, 0, v13, s0
	v_cmp_gt_i32_e64 s0, s14, v103
	v_cndmask_b32_e64 v17, 0, v17, s0
	s_delay_alu instid0(VALU_DEP_1)
	v_perm_b32 v13, v17, v13, 0x5040100
	s_or_b32 exec_lo, exec_lo, s1
	global_load_b128 v[14:17], v[54:55], off offset:1536
	s_wait_xcnt 0x0
	s_and_saveexec_b32 s1, vcc_lo
	s_cbranch_execz .LBB134_54
.LBB134_69:                             ;   in Loop: Header=BB134_49 Depth=1
	v_cmp_gt_i32_e64 s0, s31, v110
	s_wait_loadcnt 0x0
	v_dual_lshrrev_b32 v18, 16, v14 :: v_dual_lshrrev_b32 v20, 16, v16
	s_delay_alu instid0(VALU_DEP_2) | instskip(SKIP_1) | instid1(VALU_DEP_1)
	v_cndmask_b32_e64 v14, 0, v14, s0
	v_cmp_gt_i32_e64 s0, s14, v108
	v_dual_lshrrev_b32 v19, 16, v15 :: v_dual_cndmask_b32 v18, 0, v18, s0
	v_cmp_gt_i32_e64 s0, s31, v109
	s_delay_alu instid0(VALU_DEP_2) | instskip(NEXT) | instid1(VALU_DEP_2)
	v_perm_b32 v14, v18, v14, 0x5040100
	v_cndmask_b32_e64 v15, 0, v15, s0
	v_cmp_gt_i32_e64 s0, s14, v107
	s_delay_alu instid0(VALU_DEP_1) | instskip(SKIP_1) | instid1(VALU_DEP_1)
	v_cndmask_b32_e64 v19, 0, v19, s0
	v_cmp_gt_i32_e64 s0, s31, v106
	v_cndmask_b32_e64 v16, 0, v16, s0
	v_cmp_gt_i32_e64 s0, s14, v104
	v_lshrrev_b32_e32 v21, 16, v17
	v_perm_b32 v15, v19, v15, 0x5040100
	s_delay_alu instid0(VALU_DEP_3) | instskip(SKIP_1) | instid1(VALU_DEP_2)
	v_cndmask_b32_e64 v20, 0, v20, s0
	v_cmp_gt_i32_e64 s0, s31, v105
	v_perm_b32 v16, v20, v16, 0x5040100
	s_delay_alu instid0(VALU_DEP_2) | instskip(SKIP_1) | instid1(VALU_DEP_1)
	v_cndmask_b32_e64 v17, 0, v17, s0
	v_cmp_gt_i32_e64 s0, s14, v103
	v_cndmask_b32_e64 v21, 0, v21, s0
	s_delay_alu instid0(VALU_DEP_1)
	v_perm_b32 v17, v21, v17, 0x5040100
	s_or_b32 exec_lo, exec_lo, s1
	global_load_b128 v[18:21], v[54:55], off offset:2048
	s_wait_xcnt 0x0
	s_and_saveexec_b32 s1, vcc_lo
	s_cbranch_execz .LBB134_55
.LBB134_70:                             ;   in Loop: Header=BB134_49 Depth=1
	v_cmp_gt_i32_e64 s0, s31, v110
	s_wait_loadcnt 0x0
	v_dual_lshrrev_b32 v30, 16, v18 :: v_dual_lshrrev_b32 v32, 16, v20
	s_delay_alu instid0(VALU_DEP_2) | instskip(SKIP_1) | instid1(VALU_DEP_1)
	v_cndmask_b32_e64 v18, 0, v18, s0
	v_cmp_gt_i32_e64 s0, s14, v108
	v_dual_lshrrev_b32 v31, 16, v19 :: v_dual_cndmask_b32 v30, 0, v30, s0
	v_cmp_gt_i32_e64 s0, s31, v109
	s_delay_alu instid0(VALU_DEP_2) | instskip(NEXT) | instid1(VALU_DEP_2)
	v_perm_b32 v18, v30, v18, 0x5040100
	v_cndmask_b32_e64 v19, 0, v19, s0
	v_cmp_gt_i32_e64 s0, s14, v107
	s_delay_alu instid0(VALU_DEP_1) | instskip(SKIP_1) | instid1(VALU_DEP_1)
	v_cndmask_b32_e64 v31, 0, v31, s0
	v_cmp_gt_i32_e64 s0, s31, v106
	v_cndmask_b32_e64 v20, 0, v20, s0
	v_cmp_gt_i32_e64 s0, s14, v104
	v_lshrrev_b32_e32 v33, 16, v21
	v_perm_b32 v19, v31, v19, 0x5040100
	s_delay_alu instid0(VALU_DEP_3) | instskip(SKIP_1) | instid1(VALU_DEP_2)
	v_cndmask_b32_e64 v32, 0, v32, s0
	v_cmp_gt_i32_e64 s0, s31, v105
	v_perm_b32 v20, v32, v20, 0x5040100
	s_delay_alu instid0(VALU_DEP_2) | instskip(SKIP_1) | instid1(VALU_DEP_1)
	v_cndmask_b32_e64 v21, 0, v21, s0
	v_cmp_gt_i32_e64 s0, s14, v103
	v_cndmask_b32_e64 v33, 0, v33, s0
	s_delay_alu instid0(VALU_DEP_1)
	v_perm_b32 v21, v33, v21, 0x5040100
	s_or_b32 exec_lo, exec_lo, s1
	global_load_b128 v[30:33], v[54:55], off offset:2560
	s_wait_xcnt 0x0
	s_and_saveexec_b32 s1, vcc_lo
	s_cbranch_execz .LBB134_56
.LBB134_71:                             ;   in Loop: Header=BB134_49 Depth=1
	v_cmp_gt_i32_e64 s0, s31, v110
	s_wait_loadcnt 0x0
	v_dual_lshrrev_b32 v34, 16, v30 :: v_dual_lshrrev_b32 v36, 16, v32
	s_delay_alu instid0(VALU_DEP_2) | instskip(SKIP_1) | instid1(VALU_DEP_1)
	v_cndmask_b32_e64 v30, 0, v30, s0
	v_cmp_gt_i32_e64 s0, s14, v108
	v_dual_lshrrev_b32 v35, 16, v31 :: v_dual_cndmask_b32 v34, 0, v34, s0
	v_cmp_gt_i32_e64 s0, s31, v109
	s_delay_alu instid0(VALU_DEP_2) | instskip(NEXT) | instid1(VALU_DEP_2)
	v_perm_b32 v30, v34, v30, 0x5040100
	v_cndmask_b32_e64 v31, 0, v31, s0
	v_cmp_gt_i32_e64 s0, s14, v107
	s_delay_alu instid0(VALU_DEP_1) | instskip(SKIP_1) | instid1(VALU_DEP_1)
	v_cndmask_b32_e64 v35, 0, v35, s0
	v_cmp_gt_i32_e64 s0, s31, v106
	v_cndmask_b32_e64 v32, 0, v32, s0
	v_cmp_gt_i32_e64 s0, s14, v104
	v_lshrrev_b32_e32 v37, 16, v33
	v_perm_b32 v31, v35, v31, 0x5040100
	s_delay_alu instid0(VALU_DEP_3) | instskip(SKIP_1) | instid1(VALU_DEP_2)
	v_cndmask_b32_e64 v36, 0, v36, s0
	v_cmp_gt_i32_e64 s0, s31, v105
	v_perm_b32 v32, v36, v32, 0x5040100
	s_delay_alu instid0(VALU_DEP_2) | instskip(SKIP_1) | instid1(VALU_DEP_1)
	v_cndmask_b32_e64 v33, 0, v33, s0
	v_cmp_gt_i32_e64 s0, s14, v103
	v_cndmask_b32_e64 v37, 0, v37, s0
	s_delay_alu instid0(VALU_DEP_1)
	v_perm_b32 v33, v37, v33, 0x5040100
	s_or_b32 exec_lo, exec_lo, s1
	global_load_b128 v[34:37], v[54:55], off offset:3072
	s_wait_xcnt 0x0
	s_and_saveexec_b32 s1, vcc_lo
	s_cbranch_execz .LBB134_57
.LBB134_72:                             ;   in Loop: Header=BB134_49 Depth=1
	v_cmp_gt_i32_e64 s0, s31, v110
	s_wait_loadcnt 0x0
	v_dual_lshrrev_b32 v38, 16, v34 :: v_dual_lshrrev_b32 v40, 16, v36
	s_delay_alu instid0(VALU_DEP_2) | instskip(SKIP_1) | instid1(VALU_DEP_1)
	v_cndmask_b32_e64 v34, 0, v34, s0
	v_cmp_gt_i32_e64 s0, s14, v108
	v_dual_lshrrev_b32 v39, 16, v35 :: v_dual_cndmask_b32 v38, 0, v38, s0
	v_cmp_gt_i32_e64 s0, s31, v109
	s_delay_alu instid0(VALU_DEP_2) | instskip(NEXT) | instid1(VALU_DEP_2)
	v_perm_b32 v34, v38, v34, 0x5040100
	v_cndmask_b32_e64 v35, 0, v35, s0
	v_cmp_gt_i32_e64 s0, s14, v107
	s_delay_alu instid0(VALU_DEP_1) | instskip(SKIP_1) | instid1(VALU_DEP_1)
	v_cndmask_b32_e64 v39, 0, v39, s0
	v_cmp_gt_i32_e64 s0, s31, v106
	v_cndmask_b32_e64 v36, 0, v36, s0
	v_cmp_gt_i32_e64 s0, s14, v104
	v_lshrrev_b32_e32 v41, 16, v37
	v_perm_b32 v35, v39, v35, 0x5040100
	s_delay_alu instid0(VALU_DEP_3) | instskip(SKIP_1) | instid1(VALU_DEP_2)
	v_cndmask_b32_e64 v40, 0, v40, s0
	v_cmp_gt_i32_e64 s0, s31, v105
	v_perm_b32 v36, v40, v36, 0x5040100
	s_delay_alu instid0(VALU_DEP_2) | instskip(SKIP_1) | instid1(VALU_DEP_1)
	v_cndmask_b32_e64 v37, 0, v37, s0
	v_cmp_gt_i32_e64 s0, s14, v103
	v_cndmask_b32_e64 v41, 0, v41, s0
	s_delay_alu instid0(VALU_DEP_1)
	v_perm_b32 v37, v41, v37, 0x5040100
	s_or_b32 exec_lo, exec_lo, s1
	global_load_b128 v[38:41], v[54:55], off offset:3584
	s_wait_xcnt 0x0
	s_and_saveexec_b32 s1, vcc_lo
	s_cbranch_execz .LBB134_58
.LBB134_73:                             ;   in Loop: Header=BB134_49 Depth=1
	v_cmp_gt_i32_e64 s0, s31, v110
	s_wait_loadcnt 0x0
	v_dual_lshrrev_b32 v42, 16, v38 :: v_dual_lshrrev_b32 v44, 16, v40
	s_delay_alu instid0(VALU_DEP_2) | instskip(SKIP_1) | instid1(VALU_DEP_1)
	v_cndmask_b32_e64 v38, 0, v38, s0
	v_cmp_gt_i32_e64 s0, s14, v108
	v_dual_lshrrev_b32 v43, 16, v39 :: v_dual_cndmask_b32 v42, 0, v42, s0
	v_cmp_gt_i32_e64 s0, s31, v109
	s_delay_alu instid0(VALU_DEP_2) | instskip(NEXT) | instid1(VALU_DEP_2)
	v_perm_b32 v38, v42, v38, 0x5040100
	v_cndmask_b32_e64 v39, 0, v39, s0
	v_cmp_gt_i32_e64 s0, s14, v107
	s_delay_alu instid0(VALU_DEP_1) | instskip(SKIP_1) | instid1(VALU_DEP_1)
	v_cndmask_b32_e64 v43, 0, v43, s0
	v_cmp_gt_i32_e64 s0, s31, v106
	v_cndmask_b32_e64 v40, 0, v40, s0
	v_cmp_gt_i32_e64 s0, s14, v104
	v_lshrrev_b32_e32 v45, 16, v41
	v_perm_b32 v39, v43, v39, 0x5040100
	s_delay_alu instid0(VALU_DEP_3) | instskip(SKIP_1) | instid1(VALU_DEP_2)
	v_cndmask_b32_e64 v44, 0, v44, s0
	v_cmp_gt_i32_e64 s0, s31, v105
	v_perm_b32 v40, v44, v40, 0x5040100
	s_delay_alu instid0(VALU_DEP_2) | instskip(SKIP_1) | instid1(VALU_DEP_1)
	v_cndmask_b32_e64 v41, 0, v41, s0
	v_cmp_gt_i32_e64 s0, s14, v103
	v_cndmask_b32_e64 v45, 0, v45, s0
	s_delay_alu instid0(VALU_DEP_1)
	v_perm_b32 v41, v45, v41, 0x5040100
	s_or_b32 exec_lo, exec_lo, s1
	global_load_b128 v[42:45], v[54:55], off offset:4096
	s_wait_xcnt 0x0
	s_and_saveexec_b32 s1, vcc_lo
	s_cbranch_execz .LBB134_59
.LBB134_74:                             ;   in Loop: Header=BB134_49 Depth=1
	v_cmp_gt_i32_e64 s0, s31, v110
	s_wait_loadcnt 0x0
	v_dual_lshrrev_b32 v46, 16, v42 :: v_dual_lshrrev_b32 v48, 16, v44
	s_delay_alu instid0(VALU_DEP_2) | instskip(SKIP_1) | instid1(VALU_DEP_1)
	v_cndmask_b32_e64 v42, 0, v42, s0
	v_cmp_gt_i32_e64 s0, s14, v108
	v_dual_lshrrev_b32 v47, 16, v43 :: v_dual_cndmask_b32 v46, 0, v46, s0
	v_cmp_gt_i32_e64 s0, s31, v109
	s_delay_alu instid0(VALU_DEP_2) | instskip(NEXT) | instid1(VALU_DEP_2)
	v_perm_b32 v42, v46, v42, 0x5040100
	v_cndmask_b32_e64 v43, 0, v43, s0
	v_cmp_gt_i32_e64 s0, s14, v107
	s_delay_alu instid0(VALU_DEP_1) | instskip(SKIP_1) | instid1(VALU_DEP_1)
	v_cndmask_b32_e64 v47, 0, v47, s0
	v_cmp_gt_i32_e64 s0, s31, v106
	v_cndmask_b32_e64 v44, 0, v44, s0
	v_cmp_gt_i32_e64 s0, s14, v104
	v_lshrrev_b32_e32 v49, 16, v45
	v_perm_b32 v43, v47, v43, 0x5040100
	s_delay_alu instid0(VALU_DEP_3) | instskip(SKIP_1) | instid1(VALU_DEP_2)
	v_cndmask_b32_e64 v48, 0, v48, s0
	v_cmp_gt_i32_e64 s0, s31, v105
	v_perm_b32 v44, v48, v44, 0x5040100
	s_delay_alu instid0(VALU_DEP_2) | instskip(SKIP_1) | instid1(VALU_DEP_1)
	v_cndmask_b32_e64 v45, 0, v45, s0
	v_cmp_gt_i32_e64 s0, s14, v103
	v_cndmask_b32_e64 v49, 0, v49, s0
	s_delay_alu instid0(VALU_DEP_1)
	v_perm_b32 v45, v49, v45, 0x5040100
	s_or_b32 exec_lo, exec_lo, s1
	global_load_b128 v[46:49], v[54:55], off offset:4608
	s_wait_xcnt 0x0
	s_and_saveexec_b32 s1, vcc_lo
	s_cbranch_execz .LBB134_60
.LBB134_75:                             ;   in Loop: Header=BB134_49 Depth=1
	v_cmp_gt_i32_e64 s0, s31, v110
	s_wait_loadcnt 0x0
	v_dual_lshrrev_b32 v50, 16, v46 :: v_dual_lshrrev_b32 v52, 16, v48
	s_delay_alu instid0(VALU_DEP_2) | instskip(SKIP_1) | instid1(VALU_DEP_1)
	v_cndmask_b32_e64 v46, 0, v46, s0
	v_cmp_gt_i32_e64 s0, s14, v108
	v_dual_lshrrev_b32 v51, 16, v47 :: v_dual_cndmask_b32 v50, 0, v50, s0
	v_cmp_gt_i32_e64 s0, s31, v109
	s_delay_alu instid0(VALU_DEP_2) | instskip(NEXT) | instid1(VALU_DEP_2)
	v_perm_b32 v46, v50, v46, 0x5040100
	v_cndmask_b32_e64 v47, 0, v47, s0
	v_cmp_gt_i32_e64 s0, s14, v107
	s_delay_alu instid0(VALU_DEP_1) | instskip(SKIP_1) | instid1(VALU_DEP_1)
	v_cndmask_b32_e64 v51, 0, v51, s0
	v_cmp_gt_i32_e64 s0, s31, v106
	v_cndmask_b32_e64 v48, 0, v48, s0
	v_cmp_gt_i32_e64 s0, s14, v104
	v_lshrrev_b32_e32 v53, 16, v49
	v_perm_b32 v47, v51, v47, 0x5040100
	s_delay_alu instid0(VALU_DEP_3) | instskip(SKIP_1) | instid1(VALU_DEP_2)
	v_cndmask_b32_e64 v52, 0, v52, s0
	v_cmp_gt_i32_e64 s0, s31, v105
	v_perm_b32 v48, v52, v48, 0x5040100
	s_delay_alu instid0(VALU_DEP_2) | instskip(SKIP_1) | instid1(VALU_DEP_1)
	v_cndmask_b32_e64 v49, 0, v49, s0
	v_cmp_gt_i32_e64 s0, s14, v103
	v_cndmask_b32_e64 v53, 0, v53, s0
	s_delay_alu instid0(VALU_DEP_1)
	v_perm_b32 v49, v53, v49, 0x5040100
	s_or_b32 exec_lo, exec_lo, s1
	global_load_b128 v[50:53], v[54:55], off offset:5120
	s_wait_xcnt 0x0
	s_and_saveexec_b32 s1, vcc_lo
	s_cbranch_execz .LBB134_61
.LBB134_76:                             ;   in Loop: Header=BB134_49 Depth=1
	v_cmp_gt_i32_e64 s0, s31, v110
	s_wait_loadcnt 0x0
	s_delay_alu instid0(VALU_DEP_1) | instskip(SKIP_1) | instid1(VALU_DEP_1)
	v_dual_lshrrev_b32 v56, 16, v50 :: v_dual_cndmask_b32 v50, 0, v50, s0
	v_cmp_gt_i32_e64 s0, s14, v108
	v_dual_lshrrev_b32 v57, 16, v51 :: v_dual_cndmask_b32 v56, 0, v56, s0
	v_cmp_gt_i32_e64 s0, s31, v109
	s_delay_alu instid0(VALU_DEP_2) | instskip(NEXT) | instid1(VALU_DEP_2)
	v_perm_b32 v50, v56, v50, 0x5040100
	v_cndmask_b32_e64 v51, 0, v51, s0
	v_cmp_gt_i32_e64 s0, s14, v107
	s_delay_alu instid0(VALU_DEP_1) | instskip(SKIP_2) | instid1(VALU_DEP_3)
	v_cndmask_b32_e64 v57, 0, v57, s0
	v_cmp_gt_i32_e64 s0, s31, v106
	v_lshrrev_b32_e32 v58, 16, v52
	v_perm_b32 v51, v57, v51, 0x5040100
	s_delay_alu instid0(VALU_DEP_3) | instskip(SKIP_1) | instid1(VALU_DEP_1)
	v_cndmask_b32_e64 v52, 0, v52, s0
	v_cmp_gt_i32_e64 s0, s14, v104
	v_dual_lshrrev_b32 v59, 16, v53 :: v_dual_cndmask_b32 v58, 0, v58, s0
	v_cmp_gt_i32_e64 s0, s31, v105
	s_delay_alu instid0(VALU_DEP_2) | instskip(NEXT) | instid1(VALU_DEP_2)
	v_perm_b32 v52, v58, v52, 0x5040100
	v_cndmask_b32_e64 v53, 0, v53, s0
	v_cmp_gt_i32_e64 s0, s14, v103
	s_delay_alu instid0(VALU_DEP_1) | instskip(NEXT) | instid1(VALU_DEP_1)
	v_cndmask_b32_e64 v59, 0, v59, s0
	v_perm_b32 v53, v59, v53, 0x5040100
	s_or_b32 exec_lo, exec_lo, s1
	global_load_b128 v[58:61], v[54:55], off offset:5632
	s_wait_xcnt 0x0
	s_and_saveexec_b32 s1, vcc_lo
	s_cbranch_execz .LBB134_62
.LBB134_77:                             ;   in Loop: Header=BB134_49 Depth=1
	v_cmp_gt_i32_e64 s0, s31, v110
	s_wait_loadcnt 0x0
	s_delay_alu instid0(VALU_DEP_1) | instskip(SKIP_1) | instid1(VALU_DEP_1)
	v_dual_lshrrev_b32 v56, 16, v58 :: v_dual_cndmask_b32 v57, 0, v58, s0
	v_cmp_gt_i32_e64 s0, s14, v108
	v_dual_lshrrev_b32 v58, 16, v59 :: v_dual_cndmask_b32 v56, 0, v56, s0
	v_cmp_gt_i32_e64 s0, s31, v109
	s_delay_alu instid0(VALU_DEP_1) | instskip(SKIP_1) | instid1(VALU_DEP_1)
	v_cndmask_b32_e64 v59, 0, v59, s0
	v_cmp_gt_i32_e64 s0, s14, v107
	v_cndmask_b32_e64 v62, 0, v58, s0
	v_cmp_gt_i32_e64 s0, s31, v106
	v_lshrrev_b32_e32 v58, 16, v60
	s_delay_alu instid0(VALU_DEP_3) | instskip(NEXT) | instid1(VALU_DEP_3)
	v_perm_b32 v59, v62, v59, 0x5040100
	v_cndmask_b32_e64 v60, 0, v60, s0
	v_cmp_gt_i32_e64 s0, s14, v104
	s_delay_alu instid0(VALU_DEP_1) | instskip(SKIP_2) | instid1(VALU_DEP_3)
	v_dual_lshrrev_b32 v63, 16, v61 :: v_dual_cndmask_b32 v64, 0, v58, s0
	v_cmp_gt_i32_e64 s0, s31, v105
	v_perm_b32 v58, v56, v57, 0x5040100
	v_perm_b32 v60, v64, v60, 0x5040100
	s_delay_alu instid0(VALU_DEP_3) | instskip(SKIP_1) | instid1(VALU_DEP_1)
	v_cndmask_b32_e64 v61, 0, v61, s0
	v_cmp_gt_i32_e64 s0, s14, v103
	v_cndmask_b32_e64 v63, 0, v63, s0
	s_delay_alu instid0(VALU_DEP_1)
	v_perm_b32 v61, v63, v61, 0x5040100
	s_or_b32 exec_lo, exec_lo, s1
	global_load_b128 v[62:65], v[54:55], off offset:6144
	s_wait_xcnt 0x0
	s_and_saveexec_b32 s1, vcc_lo
	s_cbranch_execz .LBB134_63
.LBB134_78:                             ;   in Loop: Header=BB134_49 Depth=1
	v_cmp_gt_i32_e64 s0, s31, v110
	s_wait_loadcnt 0x0
	s_delay_alu instid0(VALU_DEP_1) | instskip(SKIP_1) | instid1(VALU_DEP_1)
	v_dual_lshrrev_b32 v56, 16, v62 :: v_dual_cndmask_b32 v57, 0, v62, s0
	v_cmp_gt_i32_e64 s0, s14, v108
	v_dual_lshrrev_b32 v62, 16, v63 :: v_dual_cndmask_b32 v56, 0, v56, s0
	v_cmp_gt_i32_e64 s0, s31, v109
	s_delay_alu instid0(VALU_DEP_1) | instskip(SKIP_1) | instid1(VALU_DEP_1)
	v_cndmask_b32_e64 v63, 0, v63, s0
	v_cmp_gt_i32_e64 s0, s14, v107
	v_cndmask_b32_e64 v66, 0, v62, s0
	v_cmp_gt_i32_e64 s0, s31, v106
	v_lshrrev_b32_e32 v62, 16, v64
	s_delay_alu instid0(VALU_DEP_3) | instskip(NEXT) | instid1(VALU_DEP_3)
	v_perm_b32 v63, v66, v63, 0x5040100
	v_cndmask_b32_e64 v64, 0, v64, s0
	v_cmp_gt_i32_e64 s0, s14, v104
	s_delay_alu instid0(VALU_DEP_1) | instskip(SKIP_2) | instid1(VALU_DEP_3)
	v_dual_lshrrev_b32 v67, 16, v65 :: v_dual_cndmask_b32 v68, 0, v62, s0
	v_cmp_gt_i32_e64 s0, s31, v105
	v_perm_b32 v62, v56, v57, 0x5040100
	v_perm_b32 v64, v68, v64, 0x5040100
	s_delay_alu instid0(VALU_DEP_3) | instskip(SKIP_1) | instid1(VALU_DEP_1)
	v_cndmask_b32_e64 v65, 0, v65, s0
	v_cmp_gt_i32_e64 s0, s14, v103
	v_cndmask_b32_e64 v67, 0, v67, s0
	s_delay_alu instid0(VALU_DEP_1)
	v_perm_b32 v65, v67, v65, 0x5040100
	s_or_b32 exec_lo, exec_lo, s1
	global_load_b128 v[66:69], v[54:55], off offset:6656
	s_wait_xcnt 0x0
	s_and_saveexec_b32 s1, vcc_lo
	s_cbranch_execz .LBB134_64
.LBB134_79:                             ;   in Loop: Header=BB134_49 Depth=1
	v_cmp_gt_i32_e64 s0, s31, v110
	s_wait_loadcnt 0x0
	s_delay_alu instid0(VALU_DEP_1) | instskip(SKIP_1) | instid1(VALU_DEP_1)
	v_dual_lshrrev_b32 v56, 16, v66 :: v_dual_cndmask_b32 v57, 0, v66, s0
	v_cmp_gt_i32_e64 s0, s14, v108
	v_dual_lshrrev_b32 v66, 16, v67 :: v_dual_cndmask_b32 v56, 0, v56, s0
	v_cmp_gt_i32_e64 s0, s31, v109
	s_delay_alu instid0(VALU_DEP_1) | instskip(SKIP_1) | instid1(VALU_DEP_1)
	v_cndmask_b32_e64 v67, 0, v67, s0
	v_cmp_gt_i32_e64 s0, s14, v107
	v_cndmask_b32_e64 v70, 0, v66, s0
	v_cmp_gt_i32_e64 s0, s31, v106
	v_lshrrev_b32_e32 v66, 16, v68
	s_delay_alu instid0(VALU_DEP_3) | instskip(NEXT) | instid1(VALU_DEP_3)
	v_perm_b32 v67, v70, v67, 0x5040100
	v_cndmask_b32_e64 v68, 0, v68, s0
	v_cmp_gt_i32_e64 s0, s14, v104
	s_delay_alu instid0(VALU_DEP_1) | instskip(SKIP_2) | instid1(VALU_DEP_3)
	v_dual_lshrrev_b32 v71, 16, v69 :: v_dual_cndmask_b32 v72, 0, v66, s0
	v_cmp_gt_i32_e64 s0, s31, v105
	v_perm_b32 v66, v56, v57, 0x5040100
	v_perm_b32 v68, v72, v68, 0x5040100
	s_delay_alu instid0(VALU_DEP_3) | instskip(SKIP_1) | instid1(VALU_DEP_1)
	v_cndmask_b32_e64 v69, 0, v69, s0
	v_cmp_gt_i32_e64 s0, s14, v103
	v_cndmask_b32_e64 v71, 0, v71, s0
	s_delay_alu instid0(VALU_DEP_1)
	v_perm_b32 v69, v71, v69, 0x5040100
	s_or_b32 exec_lo, exec_lo, s1
	global_load_b128 v[70:73], v[54:55], off offset:7168
	s_wait_xcnt 0x0
	s_and_saveexec_b32 s21, vcc_lo
	s_cbranch_execz .LBB134_65
.LBB134_80:                             ;   in Loop: Header=BB134_49 Depth=1
	s_wait_loadcnt 0x0
	v_dual_lshrrev_b32 v56, 16, v70 :: v_dual_lshrrev_b32 v57, 16, v71
	v_cmp_gt_i32_e64 s0, s31, v110
	v_cmp_gt_i32_e64 s1, s14, v108
	;; [unrolled: 1-line block ×3, first 2 shown]
	v_lshrrev_b32_e32 v111, 16, v72
	v_cmp_gt_i32_e64 s4, s31, v105
	s_delay_alu instid0(VALU_DEP_4) | instskip(NEXT) | instid1(VALU_DEP_4)
	v_dual_cndmask_b32 v70, 0, v70, s0 :: v_dual_cndmask_b32 v56, 0, v56, s1
	v_cndmask_b32_e64 v71, 0, v71, s3
	v_cmp_gt_i32_e64 s0, s14, v107
	v_cmp_gt_i32_e64 s1, s31, v106
	v_lshrrev_b32_e32 v112, 16, v73
	v_cmp_gt_i32_e64 s3, s14, v104
	v_cmp_gt_i32_e64 s5, s14, v103
	s_delay_alu instid0(VALU_DEP_4) | instskip(NEXT) | instid1(VALU_DEP_3)
	v_dual_cndmask_b32 v57, 0, v57, s0 :: v_dual_cndmask_b32 v72, 0, v72, s1
	v_dual_cndmask_b32 v73, 0, v73, s4 :: v_dual_cndmask_b32 v111, 0, v111, s3
	s_delay_alu instid0(VALU_DEP_3) | instskip(SKIP_1) | instid1(VALU_DEP_4)
	v_cndmask_b32_e64 v112, 0, v112, s5
	v_perm_b32 v70, v56, v70, 0x5040100
	v_perm_b32 v71, v57, v71, 0x5040100
	s_delay_alu instid0(VALU_DEP_4) | instskip(NEXT) | instid1(VALU_DEP_4)
	v_perm_b32 v72, v111, v72, 0x5040100
	v_perm_b32 v73, v112, v73, 0x5040100
	s_or_b32 exec_lo, exec_lo, s21
	global_load_b128 v[54:57], v[54:55], off offset:7680
	s_wait_xcnt 0x0
	s_and_saveexec_b32 s0, vcc_lo
	s_cbranch_execz .LBB134_47
.LBB134_81:                             ;   in Loop: Header=BB134_49 Depth=1
	v_cmp_gt_i32_e32 vcc_lo, s31, v110
	s_wait_loadcnt 0x0
	v_dual_cndmask_b32 v54, 0, v54 :: v_dual_lshrrev_b32 v111, 16, v54
	v_cmp_gt_i32_e32 vcc_lo, s14, v108
	s_delay_alu instid0(VALU_DEP_2) | instskip(SKIP_3) | instid1(VALU_DEP_2)
	v_cndmask_b32_e32 v108, 0, v111, vcc_lo
	v_cmp_gt_i32_e32 vcc_lo, s31, v109
	v_dual_cndmask_b32 v55, 0, v55 :: v_dual_lshrrev_b32 v110, 16, v55
	v_cmp_gt_i32_e32 vcc_lo, s14, v107
	v_cndmask_b32_e32 v107, 0, v110, vcc_lo
	v_cmp_gt_i32_e32 vcc_lo, s31, v106
	v_lshrrev_b32_e32 v109, 16, v56
	v_perm_b32 v54, v108, v54, 0x5040100
	s_delay_alu instid0(VALU_DEP_4)
	v_perm_b32 v55, v107, v55, 0x5040100
	v_cndmask_b32_e32 v56, 0, v56, vcc_lo
	v_cmp_gt_i32_e32 vcc_lo, s14, v104
	v_cndmask_b32_e32 v104, 0, v109, vcc_lo
	v_cmp_gt_i32_e32 vcc_lo, s31, v105
	v_dual_cndmask_b32 v57, 0, v57 :: v_dual_lshrrev_b32 v106, 16, v57
	v_cmp_gt_i32_e32 vcc_lo, s14, v103
	s_delay_alu instid0(VALU_DEP_2) | instskip(SKIP_1) | instid1(VALU_DEP_2)
	v_cndmask_b32_e32 v103, 0, v106, vcc_lo
	v_perm_b32 v56, v104, v56, 0x5040100
	v_perm_b32 v57, v103, v57, 0x5040100
	s_branch .LBB134_47
.LBB134_82:
	s_or_b32 exec_lo, exec_lo, s15
.LBB134_83:
	s_delay_alu instid0(SALU_CYCLE_1)
	s_or_b32 exec_lo, exec_lo, s26
	ds_bpermute_b32 v2, v99, v90
	ds_bpermute_b32 v3, v99, v91
	;; [unrolled: 1-line block ×16, first 2 shown]
	v_and_b32_e32 v24, 0x3c1, v0
	s_mov_b32 s0, exec_lo
	s_wait_dscnt 0x0
	s_barrier_signal -1
	s_barrier_wait -1
	v_pk_add_f32 v[14:15], v[90:91], v[2:3]
	v_pk_add_f32 v[12:13], v[88:89], v[4:5]
	;; [unrolled: 1-line block ×5, first 2 shown]
	v_lshrrev_b32_e32 v18, 1, v98
	v_pk_add_f32 v[4:5], v[80:81], v[20:21]
	v_pk_add_f32 v[2:3], v[78:79], v[22:23]
	v_cmpx_ne_u32_e32 64, v24
	s_xor_b32 s0, exec_lo, s0
	s_delay_alu instid0(SALU_CYCLE_1)
	s_or_saveexec_b32 s0, s0
	v_pk_add_f32 v[16:17], v[76:77], v[16:17]
	v_lshl_add_u32 v19, v18, 2, 0x220
	v_lshlrev_b32_e32 v20, 10, v97
	s_xor_b32 exec_lo, exec_lo, s0
	s_cbranch_execz .LBB134_85
; %bb.84:
	s_delay_alu instid0(VALU_DEP_1) | instskip(NEXT) | instid1(VALU_DEP_1)
	v_add_nc_u32_e32 v21, v19, v20
	v_add_nc_u32_e32 v22, 0xfffff800, v21
	;; [unrolled: 1-line block ×9, first 2 shown]
	ds_store_b32 v22, v14
	ds_store_b32 v23, v15
	;; [unrolled: 1-line block ×8, first 2 shown]
	v_add_nc_u32_e32 v22, 0xfffffa00, v21
	v_add_nc_u32_e32 v23, 0xfffffa40, v21
	;; [unrolled: 1-line block ×8, first 2 shown]
	ds_store_b32 v22, v6
	ds_store_b32 v23, v7
	;; [unrolled: 1-line block ×8, first 2 shown]
.LBB134_85:
	s_or_b32 exec_lo, exec_lo, s0
	v_lshlrev_b32_e32 v18, 2, v18
	v_cmp_eq_u32_e32 vcc_lo, 0, v96
	s_wait_dscnt 0x0
	s_barrier_signal -1
	s_barrier_wait -1
	v_add3_u32 v18, 0x220, v20, v18
	s_and_saveexec_b32 s0, s2
	s_cbranch_execz .LBB134_104
; %bb.86:
	s_and_saveexec_b32 s1, vcc_lo
	s_cbranch_execnz .LBB134_128
; %bb.87:
	s_or_b32 exec_lo, exec_lo, s1
	s_and_saveexec_b32 s1, vcc_lo
	s_cbranch_execnz .LBB134_129
.LBB134_88:
	s_or_b32 exec_lo, exec_lo, s1
	s_and_saveexec_b32 s1, vcc_lo
	s_cbranch_execnz .LBB134_130
.LBB134_89:
	s_or_b32 exec_lo, exec_lo, s1
	s_and_saveexec_b32 s1, vcc_lo
	s_cbranch_execnz .LBB134_131
.LBB134_90:
	s_or_b32 exec_lo, exec_lo, s1
	s_and_saveexec_b32 s1, vcc_lo
	s_cbranch_execnz .LBB134_132
.LBB134_91:
	s_or_b32 exec_lo, exec_lo, s1
	s_and_saveexec_b32 s1, vcc_lo
	s_cbranch_execnz .LBB134_133
.LBB134_92:
	s_or_b32 exec_lo, exec_lo, s1
	s_and_saveexec_b32 s1, vcc_lo
	s_cbranch_execnz .LBB134_134
.LBB134_93:
	s_or_b32 exec_lo, exec_lo, s1
	s_and_saveexec_b32 s1, vcc_lo
	s_cbranch_execnz .LBB134_135
.LBB134_94:
	s_or_b32 exec_lo, exec_lo, s1
	s_and_saveexec_b32 s1, vcc_lo
	s_cbranch_execnz .LBB134_136
.LBB134_95:
	s_or_b32 exec_lo, exec_lo, s1
	s_and_saveexec_b32 s1, vcc_lo
	s_cbranch_execnz .LBB134_137
.LBB134_96:
	s_or_b32 exec_lo, exec_lo, s1
	s_and_saveexec_b32 s1, vcc_lo
	s_cbranch_execnz .LBB134_138
.LBB134_97:
	s_or_b32 exec_lo, exec_lo, s1
	s_and_saveexec_b32 s1, vcc_lo
	s_cbranch_execnz .LBB134_139
.LBB134_98:
	s_or_b32 exec_lo, exec_lo, s1
	s_and_saveexec_b32 s1, vcc_lo
	s_cbranch_execnz .LBB134_140
.LBB134_99:
	s_or_b32 exec_lo, exec_lo, s1
	s_and_saveexec_b32 s1, vcc_lo
	s_cbranch_execnz .LBB134_141
.LBB134_100:
	s_or_b32 exec_lo, exec_lo, s1
	s_and_saveexec_b32 s1, vcc_lo
	s_cbranch_execnz .LBB134_142
.LBB134_101:
	s_or_b32 exec_lo, exec_lo, s1
	s_and_saveexec_b32 s1, vcc_lo
	s_cbranch_execz .LBB134_103
.LBB134_102:
	ds_load_b32 v20, v18 offset:960
	s_wait_dscnt 0x0
	v_add_f32_e32 v17, v17, v20
.LBB134_103:
	s_or_b32 exec_lo, exec_lo, s1
.LBB134_104:
	s_delay_alu instid0(SALU_CYCLE_1) | instskip(SKIP_4) | instid1(VALU_DEP_1)
	s_or_b32 exec_lo, exec_lo, s0
	v_and_b32_e32 v20, 0x3e1, v0
	s_mov_b32 s1, exec_lo
	s_barrier_signal -1
	s_barrier_wait -1
	v_cmpx_eq_u32_e32 32, v20
	s_cbranch_execz .LBB134_106
; %bb.105:
	ds_store_2addr_b32 v19, v14, v15 offset1:16
	ds_store_2addr_b32 v19, v12, v13 offset0:32 offset1:48
	ds_store_2addr_b32 v19, v10, v11 offset0:64 offset1:80
	;; [unrolled: 1-line block ×7, first 2 shown]
.LBB134_106:
	s_or_b32 exec_lo, exec_lo, s1
	s_delay_alu instid0(SALU_CYCLE_1)
	s_mov_b32 s1, exec_lo
	s_wait_dscnt 0x0
	s_barrier_signal -1
	s_barrier_wait -1
	v_cmpx_gt_u32_e32 32, v0
	s_cbranch_execz .LBB134_125
; %bb.107:
	s_and_saveexec_b32 s0, vcc_lo
	s_cbranch_execnz .LBB134_143
; %bb.108:
	s_or_b32 exec_lo, exec_lo, s0
	s_and_saveexec_b32 s0, vcc_lo
	s_cbranch_execnz .LBB134_144
.LBB134_109:
	s_or_b32 exec_lo, exec_lo, s0
	s_and_saveexec_b32 s0, vcc_lo
	s_cbranch_execnz .LBB134_145
.LBB134_110:
	s_or_b32 exec_lo, exec_lo, s0
	s_and_saveexec_b32 s0, vcc_lo
	s_cbranch_execnz .LBB134_146
.LBB134_111:
	s_or_b32 exec_lo, exec_lo, s0
	s_and_saveexec_b32 s0, vcc_lo
	s_cbranch_execnz .LBB134_147
.LBB134_112:
	s_or_b32 exec_lo, exec_lo, s0
	s_and_saveexec_b32 s0, vcc_lo
	s_cbranch_execnz .LBB134_148
.LBB134_113:
	s_or_b32 exec_lo, exec_lo, s0
	s_and_saveexec_b32 s0, vcc_lo
	s_cbranch_execnz .LBB134_149
.LBB134_114:
	s_or_b32 exec_lo, exec_lo, s0
	s_and_saveexec_b32 s0, vcc_lo
	s_cbranch_execnz .LBB134_150
.LBB134_115:
	s_or_b32 exec_lo, exec_lo, s0
	s_and_saveexec_b32 s0, vcc_lo
	s_cbranch_execnz .LBB134_151
.LBB134_116:
	s_or_b32 exec_lo, exec_lo, s0
	s_and_saveexec_b32 s0, vcc_lo
	s_cbranch_execnz .LBB134_152
.LBB134_117:
	s_or_b32 exec_lo, exec_lo, s0
	s_and_saveexec_b32 s0, vcc_lo
	s_cbranch_execnz .LBB134_153
.LBB134_118:
	s_or_b32 exec_lo, exec_lo, s0
	s_and_saveexec_b32 s0, vcc_lo
	s_cbranch_execnz .LBB134_154
.LBB134_119:
	s_or_b32 exec_lo, exec_lo, s0
	s_and_saveexec_b32 s0, vcc_lo
	s_cbranch_execnz .LBB134_155
.LBB134_120:
	s_or_b32 exec_lo, exec_lo, s0
	s_and_saveexec_b32 s0, vcc_lo
	s_cbranch_execnz .LBB134_156
.LBB134_121:
	s_or_b32 exec_lo, exec_lo, s0
	s_and_saveexec_b32 s0, vcc_lo
	s_cbranch_execnz .LBB134_157
.LBB134_122:
	s_or_b32 exec_lo, exec_lo, s0
	s_and_saveexec_b32 s0, vcc_lo
	s_cbranch_execz .LBB134_124
.LBB134_123:
	ds_load_b32 v0, v18 offset:960
	s_wait_dscnt 0x0
	v_add_f32_e32 v17, v17, v0
.LBB134_124:
	s_or_b32 exec_lo, exec_lo, s0
.LBB134_125:
	s_delay_alu instid0(SALU_CYCLE_1)
	s_or_b32 exec_lo, exec_lo, s1
	s_mov_b32 s1, 0
	s_barrier_signal -1
	s_barrier_wait -1
	s_mov_b32 s0, exec_lo
	v_cmpx_eq_u32_e32 0, v20
	s_cbranch_execz .LBB134_127
; %bb.126:
	s_mul_i32 s0, s30, s12
	s_mul_i32 s2, s12, s16
	;; [unrolled: 1-line block ×3, first 2 shown]
	s_lshr_b32 s8, ttmp7, 16
	s_lshl_b32 s4, s0, 8
	s_bfe_u32 s0, ttmp6, 0x40014
	s_ashr_i32 s5, s4, 31
	s_add_co_i32 s0, s0, 1
	s_ashr_i32 s3, s2, 31
	s_mul_i32 s0, s8, s0
	s_bfe_u32 s9, ttmp6, 0x40008
	s_lshl_b64 s[4:5], s[4:5], 1
	s_lshl_b64 s[2:3], s[2:3], 1
	s_add_co_i32 s9, s9, s0
	s_cmp_eq_u32 s28, 0
	s_wait_kmcnt 0x0
	s_add_nc_u64 s[4:5], s[6:7], s[4:5]
	s_cselect_b32 s0, s8, s9
	s_add_nc_u64 s[2:3], s[4:5], s[2:3]
	s_lshl_b32 s0, s0, 9
	s_delay_alu instid0(SALU_CYCLE_1) | instskip(NEXT) | instid1(SALU_CYCLE_1)
	s_add_nc_u64 s[0:1], s[2:3], s[0:1]
	v_cvt_pk_bf16_f32 v0, v14, s0
	v_cvt_pk_bf16_f32 v14, v15, s0
	;; [unrolled: 1-line block ×8, first 2 shown]
	s_clause 0x7
	global_store_b16 v1, v0, s[0:1] scale_offset
	global_store_b16 v1, v14, s[0:1] offset:32 scale_offset
	global_store_b16 v1, v12, s[0:1] offset:64 scale_offset
	;; [unrolled: 1-line block ×7, first 2 shown]
	s_wait_xcnt 0x7
	v_cvt_pk_bf16_f32 v0, v6, s0
	v_cvt_pk_bf16_f32 v6, v7, s0
	;; [unrolled: 1-line block ×7, first 2 shown]
	s_wait_xcnt 0x1
	v_cvt_pk_bf16_f32 v8, v17, s0
	s_clause 0x7
	global_store_b16 v1, v0, s[0:1] offset:256 scale_offset
	global_store_b16 v1, v6, s[0:1] offset:288 scale_offset
	;; [unrolled: 1-line block ×8, first 2 shown]
.LBB134_127:
	s_sendmsg sendmsg(MSG_DEALLOC_VGPRS)
	s_endpgm
.LBB134_128:
	ds_load_b32 v20, v18
	s_wait_dscnt 0x0
	v_add_f32_e32 v14, v14, v20
	s_or_b32 exec_lo, exec_lo, s1
	s_and_saveexec_b32 s1, vcc_lo
	s_cbranch_execz .LBB134_88
.LBB134_129:
	ds_load_b32 v20, v18 offset:64
	s_wait_dscnt 0x0
	v_add_f32_e32 v15, v15, v20
	s_or_b32 exec_lo, exec_lo, s1
	s_and_saveexec_b32 s1, vcc_lo
	s_cbranch_execz .LBB134_89
.LBB134_130:
	ds_load_b32 v20, v18 offset:128
	s_wait_dscnt 0x0
	v_add_f32_e32 v12, v12, v20
	s_or_b32 exec_lo, exec_lo, s1
	s_and_saveexec_b32 s1, vcc_lo
	s_cbranch_execz .LBB134_90
.LBB134_131:
	ds_load_b32 v20, v18 offset:192
	s_wait_dscnt 0x0
	v_add_f32_e32 v13, v13, v20
	s_or_b32 exec_lo, exec_lo, s1
	s_and_saveexec_b32 s1, vcc_lo
	s_cbranch_execz .LBB134_91
.LBB134_132:
	ds_load_b32 v20, v18 offset:256
	s_wait_dscnt 0x0
	v_add_f32_e32 v10, v10, v20
	s_or_b32 exec_lo, exec_lo, s1
	s_and_saveexec_b32 s1, vcc_lo
	s_cbranch_execz .LBB134_92
.LBB134_133:
	ds_load_b32 v20, v18 offset:320
	s_wait_dscnt 0x0
	v_add_f32_e32 v11, v11, v20
	s_or_b32 exec_lo, exec_lo, s1
	s_and_saveexec_b32 s1, vcc_lo
	s_cbranch_execz .LBB134_93
.LBB134_134:
	ds_load_b32 v20, v18 offset:384
	s_wait_dscnt 0x0
	v_add_f32_e32 v8, v8, v20
	s_or_b32 exec_lo, exec_lo, s1
	s_and_saveexec_b32 s1, vcc_lo
	s_cbranch_execz .LBB134_94
.LBB134_135:
	ds_load_b32 v20, v18 offset:448
	s_wait_dscnt 0x0
	v_add_f32_e32 v9, v9, v20
	s_or_b32 exec_lo, exec_lo, s1
	s_and_saveexec_b32 s1, vcc_lo
	s_cbranch_execz .LBB134_95
.LBB134_136:
	ds_load_b32 v20, v18 offset:512
	s_wait_dscnt 0x0
	v_add_f32_e32 v6, v6, v20
	s_or_b32 exec_lo, exec_lo, s1
	s_and_saveexec_b32 s1, vcc_lo
	s_cbranch_execz .LBB134_96
.LBB134_137:
	ds_load_b32 v20, v18 offset:576
	s_wait_dscnt 0x0
	v_add_f32_e32 v7, v7, v20
	s_or_b32 exec_lo, exec_lo, s1
	s_and_saveexec_b32 s1, vcc_lo
	s_cbranch_execz .LBB134_97
.LBB134_138:
	ds_load_b32 v20, v18 offset:640
	s_wait_dscnt 0x0
	v_add_f32_e32 v4, v4, v20
	s_or_b32 exec_lo, exec_lo, s1
	s_and_saveexec_b32 s1, vcc_lo
	s_cbranch_execz .LBB134_98
.LBB134_139:
	ds_load_b32 v20, v18 offset:704
	s_wait_dscnt 0x0
	v_add_f32_e32 v5, v5, v20
	s_or_b32 exec_lo, exec_lo, s1
	s_and_saveexec_b32 s1, vcc_lo
	s_cbranch_execz .LBB134_99
.LBB134_140:
	ds_load_b32 v20, v18 offset:768
	s_wait_dscnt 0x0
	v_add_f32_e32 v2, v2, v20
	s_or_b32 exec_lo, exec_lo, s1
	s_and_saveexec_b32 s1, vcc_lo
	s_cbranch_execz .LBB134_100
.LBB134_141:
	ds_load_b32 v20, v18 offset:832
	s_wait_dscnt 0x0
	v_add_f32_e32 v3, v3, v20
	s_or_b32 exec_lo, exec_lo, s1
	s_and_saveexec_b32 s1, vcc_lo
	s_cbranch_execz .LBB134_101
.LBB134_142:
	ds_load_b32 v20, v18 offset:896
	s_wait_dscnt 0x0
	v_add_f32_e32 v16, v16, v20
	s_or_b32 exec_lo, exec_lo, s1
	s_and_saveexec_b32 s1, vcc_lo
	s_cbranch_execnz .LBB134_102
	s_branch .LBB134_103
.LBB134_143:
	ds_load_b32 v0, v18
	s_wait_dscnt 0x0
	v_add_f32_e32 v14, v14, v0
	s_or_b32 exec_lo, exec_lo, s0
	s_and_saveexec_b32 s0, vcc_lo
	s_cbranch_execz .LBB134_109
.LBB134_144:
	ds_load_b32 v0, v18 offset:64
	s_wait_dscnt 0x0
	v_add_f32_e32 v15, v15, v0
	s_or_b32 exec_lo, exec_lo, s0
	s_and_saveexec_b32 s0, vcc_lo
	s_cbranch_execz .LBB134_110
.LBB134_145:
	ds_load_b32 v0, v18 offset:128
	s_wait_dscnt 0x0
	v_add_f32_e32 v12, v12, v0
	s_or_b32 exec_lo, exec_lo, s0
	s_and_saveexec_b32 s0, vcc_lo
	s_cbranch_execz .LBB134_111
.LBB134_146:
	ds_load_b32 v0, v18 offset:192
	s_wait_dscnt 0x0
	v_add_f32_e32 v13, v13, v0
	s_or_b32 exec_lo, exec_lo, s0
	s_and_saveexec_b32 s0, vcc_lo
	s_cbranch_execz .LBB134_112
.LBB134_147:
	ds_load_b32 v0, v18 offset:256
	s_wait_dscnt 0x0
	v_add_f32_e32 v10, v10, v0
	s_or_b32 exec_lo, exec_lo, s0
	s_and_saveexec_b32 s0, vcc_lo
	s_cbranch_execz .LBB134_113
.LBB134_148:
	ds_load_b32 v0, v18 offset:320
	s_wait_dscnt 0x0
	v_add_f32_e32 v11, v11, v0
	s_or_b32 exec_lo, exec_lo, s0
	s_and_saveexec_b32 s0, vcc_lo
	s_cbranch_execz .LBB134_114
.LBB134_149:
	ds_load_b32 v0, v18 offset:384
	s_wait_dscnt 0x0
	v_add_f32_e32 v8, v8, v0
	s_or_b32 exec_lo, exec_lo, s0
	s_and_saveexec_b32 s0, vcc_lo
	s_cbranch_execz .LBB134_115
.LBB134_150:
	ds_load_b32 v0, v18 offset:448
	s_wait_dscnt 0x0
	v_add_f32_e32 v9, v9, v0
	s_or_b32 exec_lo, exec_lo, s0
	s_and_saveexec_b32 s0, vcc_lo
	s_cbranch_execz .LBB134_116
.LBB134_151:
	ds_load_b32 v0, v18 offset:512
	s_wait_dscnt 0x0
	v_add_f32_e32 v6, v6, v0
	s_or_b32 exec_lo, exec_lo, s0
	s_and_saveexec_b32 s0, vcc_lo
	s_cbranch_execz .LBB134_117
.LBB134_152:
	ds_load_b32 v0, v18 offset:576
	s_wait_dscnt 0x0
	v_add_f32_e32 v7, v7, v0
	s_or_b32 exec_lo, exec_lo, s0
	s_and_saveexec_b32 s0, vcc_lo
	s_cbranch_execz .LBB134_118
.LBB134_153:
	ds_load_b32 v0, v18 offset:640
	s_wait_dscnt 0x0
	v_add_f32_e32 v4, v4, v0
	s_or_b32 exec_lo, exec_lo, s0
	s_and_saveexec_b32 s0, vcc_lo
	s_cbranch_execz .LBB134_119
.LBB134_154:
	ds_load_b32 v0, v18 offset:704
	s_wait_dscnt 0x0
	v_add_f32_e32 v5, v5, v0
	s_or_b32 exec_lo, exec_lo, s0
	s_and_saveexec_b32 s0, vcc_lo
	s_cbranch_execz .LBB134_120
.LBB134_155:
	ds_load_b32 v0, v18 offset:768
	s_wait_dscnt 0x0
	v_add_f32_e32 v2, v2, v0
	s_or_b32 exec_lo, exec_lo, s0
	s_and_saveexec_b32 s0, vcc_lo
	s_cbranch_execz .LBB134_121
.LBB134_156:
	ds_load_b32 v0, v18 offset:832
	s_wait_dscnt 0x0
	v_add_f32_e32 v3, v3, v0
	s_or_b32 exec_lo, exec_lo, s0
	s_and_saveexec_b32 s0, vcc_lo
	s_cbranch_execz .LBB134_122
.LBB134_157:
	ds_load_b32 v0, v18 offset:896
	s_wait_dscnt 0x0
	v_add_f32_e32 v16, v16, v0
	s_or_b32 exec_lo, exec_lo, s0
	s_and_saveexec_b32 s0, vcc_lo
	s_cbranch_execnz .LBB134_123
	s_branch .LBB134_124
	.section	.rodata,"a",@progbits
	.p2align	6, 0x0
	.amdhsa_kernel _ZN4vllm25paged_attention_v1_kernelI14__hip_bfloat16S1_Li256ELi16ELi128ELNS_18Fp8KVCacheDataTypeE0ELb1EEEvPT_PKS3_PKT0_S9_ifPKiSB_iPKfiiiSD_SD_iiiii
		.amdhsa_group_segment_fixed_size 544
		.amdhsa_private_segment_fixed_size 0
		.amdhsa_kernarg_size 384
		.amdhsa_user_sgpr_count 2
		.amdhsa_user_sgpr_dispatch_ptr 0
		.amdhsa_user_sgpr_queue_ptr 0
		.amdhsa_user_sgpr_kernarg_segment_ptr 1
		.amdhsa_user_sgpr_dispatch_id 0
		.amdhsa_user_sgpr_kernarg_preload_length 0
		.amdhsa_user_sgpr_kernarg_preload_offset 0
		.amdhsa_user_sgpr_private_segment_size 0
		.amdhsa_wavefront_size32 1
		.amdhsa_uses_dynamic_stack 0
		.amdhsa_enable_private_segment 0
		.amdhsa_system_sgpr_workgroup_id_x 1
		.amdhsa_system_sgpr_workgroup_id_y 1
		.amdhsa_system_sgpr_workgroup_id_z 1
		.amdhsa_system_sgpr_workgroup_info 0
		.amdhsa_system_vgpr_workitem_id 0
		.amdhsa_next_free_vgpr 113
		.amdhsa_next_free_sgpr 42
		.amdhsa_named_barrier_count 0
		.amdhsa_reserve_vcc 1
		.amdhsa_float_round_mode_32 0
		.amdhsa_float_round_mode_16_64 0
		.amdhsa_float_denorm_mode_32 3
		.amdhsa_float_denorm_mode_16_64 3
		.amdhsa_fp16_overflow 0
		.amdhsa_memory_ordered 1
		.amdhsa_forward_progress 1
		.amdhsa_inst_pref_size 113
		.amdhsa_round_robin_scheduling 0
		.amdhsa_exception_fp_ieee_invalid_op 0
		.amdhsa_exception_fp_denorm_src 0
		.amdhsa_exception_fp_ieee_div_zero 0
		.amdhsa_exception_fp_ieee_overflow 0
		.amdhsa_exception_fp_ieee_underflow 0
		.amdhsa_exception_fp_ieee_inexact 0
		.amdhsa_exception_int_div_zero 0
	.end_amdhsa_kernel
	.section	.text._ZN4vllm25paged_attention_v1_kernelI14__hip_bfloat16S1_Li256ELi16ELi128ELNS_18Fp8KVCacheDataTypeE0ELb1EEEvPT_PKS3_PKT0_S9_ifPKiSB_iPKfiiiSD_SD_iiiii,"axG",@progbits,_ZN4vllm25paged_attention_v1_kernelI14__hip_bfloat16S1_Li256ELi16ELi128ELNS_18Fp8KVCacheDataTypeE0ELb1EEEvPT_PKS3_PKT0_S9_ifPKiSB_iPKfiiiSD_SD_iiiii,comdat
.Lfunc_end134:
	.size	_ZN4vllm25paged_attention_v1_kernelI14__hip_bfloat16S1_Li256ELi16ELi128ELNS_18Fp8KVCacheDataTypeE0ELb1EEEvPT_PKS3_PKT0_S9_ifPKiSB_iPKfiiiSD_SD_iiiii, .Lfunc_end134-_ZN4vllm25paged_attention_v1_kernelI14__hip_bfloat16S1_Li256ELi16ELi128ELNS_18Fp8KVCacheDataTypeE0ELb1EEEvPT_PKS3_PKT0_S9_ifPKiSB_iPKfiiiSD_SD_iiiii
                                        ; -- End function
	.set _ZN4vllm25paged_attention_v1_kernelI14__hip_bfloat16S1_Li256ELi16ELi128ELNS_18Fp8KVCacheDataTypeE0ELb1EEEvPT_PKS3_PKT0_S9_ifPKiSB_iPKfiiiSD_SD_iiiii.num_vgpr, 113
	.set _ZN4vllm25paged_attention_v1_kernelI14__hip_bfloat16S1_Li256ELi16ELi128ELNS_18Fp8KVCacheDataTypeE0ELb1EEEvPT_PKS3_PKT0_S9_ifPKiSB_iPKfiiiSD_SD_iiiii.num_agpr, 0
	.set _ZN4vllm25paged_attention_v1_kernelI14__hip_bfloat16S1_Li256ELi16ELi128ELNS_18Fp8KVCacheDataTypeE0ELb1EEEvPT_PKS3_PKT0_S9_ifPKiSB_iPKfiiiSD_SD_iiiii.numbered_sgpr, 42
	.set _ZN4vllm25paged_attention_v1_kernelI14__hip_bfloat16S1_Li256ELi16ELi128ELNS_18Fp8KVCacheDataTypeE0ELb1EEEvPT_PKS3_PKT0_S9_ifPKiSB_iPKfiiiSD_SD_iiiii.num_named_barrier, 0
	.set _ZN4vllm25paged_attention_v1_kernelI14__hip_bfloat16S1_Li256ELi16ELi128ELNS_18Fp8KVCacheDataTypeE0ELb1EEEvPT_PKS3_PKT0_S9_ifPKiSB_iPKfiiiSD_SD_iiiii.private_seg_size, 0
	.set _ZN4vllm25paged_attention_v1_kernelI14__hip_bfloat16S1_Li256ELi16ELi128ELNS_18Fp8KVCacheDataTypeE0ELb1EEEvPT_PKS3_PKT0_S9_ifPKiSB_iPKfiiiSD_SD_iiiii.uses_vcc, 1
	.set _ZN4vllm25paged_attention_v1_kernelI14__hip_bfloat16S1_Li256ELi16ELi128ELNS_18Fp8KVCacheDataTypeE0ELb1EEEvPT_PKS3_PKT0_S9_ifPKiSB_iPKfiiiSD_SD_iiiii.uses_flat_scratch, 0
	.set _ZN4vllm25paged_attention_v1_kernelI14__hip_bfloat16S1_Li256ELi16ELi128ELNS_18Fp8KVCacheDataTypeE0ELb1EEEvPT_PKS3_PKT0_S9_ifPKiSB_iPKfiiiSD_SD_iiiii.has_dyn_sized_stack, 0
	.set _ZN4vllm25paged_attention_v1_kernelI14__hip_bfloat16S1_Li256ELi16ELi128ELNS_18Fp8KVCacheDataTypeE0ELb1EEEvPT_PKS3_PKT0_S9_ifPKiSB_iPKfiiiSD_SD_iiiii.has_recursion, 0
	.set _ZN4vllm25paged_attention_v1_kernelI14__hip_bfloat16S1_Li256ELi16ELi128ELNS_18Fp8KVCacheDataTypeE0ELb1EEEvPT_PKS3_PKT0_S9_ifPKiSB_iPKfiiiSD_SD_iiiii.has_indirect_call, 0
	.section	.AMDGPU.csdata,"",@progbits
; Kernel info:
; codeLenInByte = 14376
; TotalNumSgprs: 44
; NumVgprs: 113
; ScratchSize: 0
; MemoryBound: 0
; FloatMode: 240
; IeeeMode: 1
; LDSByteSize: 544 bytes/workgroup (compile time only)
; SGPRBlocks: 0
; VGPRBlocks: 7
; NumSGPRsForWavesPerEU: 44
; NumVGPRsForWavesPerEU: 113
; NamedBarCnt: 0
; Occupancy: 8
; WaveLimiterHint : 1
; COMPUTE_PGM_RSRC2:SCRATCH_EN: 0
; COMPUTE_PGM_RSRC2:USER_SGPR: 2
; COMPUTE_PGM_RSRC2:TRAP_HANDLER: 0
; COMPUTE_PGM_RSRC2:TGID_X_EN: 1
; COMPUTE_PGM_RSRC2:TGID_Y_EN: 1
; COMPUTE_PGM_RSRC2:TGID_Z_EN: 1
; COMPUTE_PGM_RSRC2:TIDIG_COMP_CNT: 0
	.section	.text._ZN4vllm25paged_attention_v1_kernelI14__hip_bfloat16S1_Li32ELi16ELi128ELNS_18Fp8KVCacheDataTypeE0ELb0EEEvPT_PKS3_PKT0_S9_ifPKiSB_iPKfiiiSD_SD_iiiii,"axG",@progbits,_ZN4vllm25paged_attention_v1_kernelI14__hip_bfloat16S1_Li32ELi16ELi128ELNS_18Fp8KVCacheDataTypeE0ELb0EEEvPT_PKS3_PKT0_S9_ifPKiSB_iPKfiiiSD_SD_iiiii,comdat
	.protected	_ZN4vllm25paged_attention_v1_kernelI14__hip_bfloat16S1_Li32ELi16ELi128ELNS_18Fp8KVCacheDataTypeE0ELb0EEEvPT_PKS3_PKT0_S9_ifPKiSB_iPKfiiiSD_SD_iiiii ; -- Begin function _ZN4vllm25paged_attention_v1_kernelI14__hip_bfloat16S1_Li32ELi16ELi128ELNS_18Fp8KVCacheDataTypeE0ELb0EEEvPT_PKS3_PKT0_S9_ifPKiSB_iPKfiiiSD_SD_iiiii
	.globl	_ZN4vllm25paged_attention_v1_kernelI14__hip_bfloat16S1_Li32ELi16ELi128ELNS_18Fp8KVCacheDataTypeE0ELb0EEEvPT_PKS3_PKT0_S9_ifPKiSB_iPKfiiiSD_SD_iiiii
	.p2align	8
	.type	_ZN4vllm25paged_attention_v1_kernelI14__hip_bfloat16S1_Li32ELi16ELi128ELNS_18Fp8KVCacheDataTypeE0ELb0EEEvPT_PKS3_PKT0_S9_ifPKiSB_iPKfiiiSD_SD_iiiii,@function
_ZN4vllm25paged_attention_v1_kernelI14__hip_bfloat16S1_Li32ELi16ELi128ELNS_18Fp8KVCacheDataTypeE0ELb0EEEvPT_PKS3_PKT0_S9_ifPKiSB_iPKfiiiSD_SD_iiiii: ; @_ZN4vllm25paged_attention_v1_kernelI14__hip_bfloat16S1_Li32ELi16ELi128ELNS_18Fp8KVCacheDataTypeE0ELb0EEEvPT_PKS3_PKT0_S9_ifPKiSB_iPKfiiiSD_SD_iiiii
; %bb.0:
	s_load_b64 s[6:7], s[0:1], 0x20
	s_bfe_u32 s3, ttmp6, 0x4000c
	s_bfe_u32 s5, ttmp6, 0x40010
	s_and_b32 s4, ttmp7, 0xffff
	s_add_co_i32 s3, s3, 1
	s_add_co_i32 s5, s5, 1
	s_and_b32 s2, ttmp6, 15
	s_bfe_u32 s8, ttmp6, 0x40004
	s_mul_i32 s3, ttmp9, s3
	s_mul_i32 s5, s4, s5
	s_getreg_b32 s18, hwreg(HW_REG_IB_STS2, 6, 4)
	s_add_co_i32 s2, s2, s3
	s_add_co_i32 s8, s8, s5
	s_cmp_eq_u32 s18, 0
	s_clause 0x1
	s_load_b32 s19, s[0:1], 0x80
	s_load_b64 s[10:11], s[0:1], 0x30
	s_cselect_b32 s20, s4, s8
	s_cselect_b32 s8, ttmp9, s2
	s_wait_kmcnt 0x0
	s_abs_i32 s2, s6
	s_delay_alu instid0(SALU_CYCLE_1) | instskip(SKIP_1) | instid1(SALU_CYCLE_2)
	s_cvt_f32_u32 s3, s2
	s_sub_co_i32 s4, 0, s2
	v_rcp_iflag_f32_e32 v1, s3
	s_abs_i32 s5, s19
	v_nop
	s_delay_alu instid0(TRANS32_DEP_1) | instskip(SKIP_1) | instid1(SALU_CYCLE_3)
	v_readfirstlane_b32 s3, v1
	s_mul_f32 s3, s3, 0x4f7ffffe
	s_cvt_u32_f32 s3, s3
	s_delay_alu instid0(SALU_CYCLE_3) | instskip(NEXT) | instid1(SALU_CYCLE_1)
	s_mul_i32 s4, s4, s3
	s_mul_hi_u32 s4, s3, s4
	s_delay_alu instid0(SALU_CYCLE_1) | instskip(SKIP_4) | instid1(SALU_CYCLE_1)
	s_add_co_i32 s3, s3, s4
	s_xor_b32 s4, s19, s6
	s_mul_hi_u32 s3, s5, s3
	s_ashr_i32 s4, s4, 31
	s_mul_i32 s6, s3, s2
	s_sub_co_i32 s5, s5, s6
	s_add_co_i32 s6, s3, 1
	s_sub_co_i32 s9, s5, s2
	s_cmp_ge_u32 s5, s2
	s_cselect_b32 s3, s6, s3
	s_cselect_b32 s5, s9, s5
	s_add_co_i32 s6, s3, 1
	s_cmp_ge_u32 s5, s2
	s_cselect_b32 s2, s6, s3
	s_mov_b32 s3, 0
	s_xor_b32 s2, s2, s4
	s_mov_b32 s13, s3
	s_sub_co_i32 s15, s2, s4
	s_load_b64 s[4:5], s[0:1], 0x40
	s_abs_i32 s14, s15
	s_mov_b32 s23, s3
	s_cvt_f32_u32 s2, s14
	s_delay_alu instid0(SALU_CYCLE_3) | instskip(SKIP_1) | instid1(TRANS32_DEP_1)
	v_rcp_iflag_f32_e32 v1, s2
	v_nop
	v_readfirstlane_b32 s2, v1
	s_mul_f32 s2, s2, 0x4f7ffffe
	s_delay_alu instid0(SALU_CYCLE_3) | instskip(SKIP_1) | instid1(SALU_CYCLE_2)
	s_cvt_u32_f32 s6, s2
	s_sub_co_i32 s2, 0, s14
	s_mul_i32 s2, s2, s6
	s_delay_alu instid0(SALU_CYCLE_1)
	s_mul_hi_u32 s9, s6, s2
	s_abs_i32 s2, s8
	s_add_co_i32 s12, s6, s9
	s_wait_kmcnt 0x0
	s_cmp_eq_u64 s[4:5], 0
	s_cbranch_scc1 .LBB135_2
; %bb.1:
	s_ashr_i32 s9, s8, 31
	s_delay_alu instid0(SALU_CYCLE_1) | instskip(NEXT) | instid1(SALU_CYCLE_1)
	s_lshl_b64 s[16:17], s[8:9], 2
	s_add_nc_u64 s[4:5], s[4:5], s[16:17]
	s_load_b32 s23, s[4:5], 0x0
.LBB135_2:
	s_load_b32 s21, s[10:11], s20 offset:0x0 scale_offset
	s_wait_xcnt 0x0
	s_load_b96 s[4:6], s[0:1], 0x48
	v_dual_lshrrev_b32 v1, 1, v0 :: v_dual_bitop2_b32 v24, 1, v0 bitop3:0x40
	s_ashr_i32 s16, s8, 31
	s_ashr_i32 s15, s15, 31
	s_mul_u64 s[10:11], s[2:3], s[12:13]
	s_lshl_b32 s8, s8, 5
	s_mov_b32 s3, exec_lo
	v_cmpx_gt_u32_e32 8, v0
	s_cbranch_execz .LBB135_4
; %bb.3:
	s_load_b64 s[12:13], s[0:1], 0x8
	s_wait_kmcnt 0x0
	s_mul_i32 s24, s4, s20
	s_ashr_i32 s9, s8, 31
	s_ashr_i32 s25, s24, 31
	v_lshlrev_b32_e32 v4, 3, v1
	s_lshl_b64 s[24:25], s[24:25], 1
	s_delay_alu instid0(VALU_DEP_1) | instskip(SKIP_2) | instid1(SALU_CYCLE_1)
	v_lshl_add_u32 v4, v24, 5, v4
	s_add_nc_u64 s[12:13], s[12:13], s[24:25]
	s_lshl_b64 s[24:25], s[8:9], 1
	s_add_nc_u64 s[12:13], s[12:13], s[24:25]
	global_load_b64 v[2:3], v0, s[12:13] scale_offset
	s_wait_loadcnt 0x0
	ds_store_b64 v4, v[2:3]
.LBB135_4:
	s_or_b32 exec_lo, exec_lo, s3
	s_wait_kmcnt 0x0
	s_add_co_i32 s3, s21, 15
	s_load_b32 s4, s[0:1], 0x38
	s_ashr_i32 s9, s3, 31
	s_mul_i32 s12, s11, s14
	s_lshr_b32 s9, s9, 28
	s_sub_co_i32 s2, s2, s12
	s_add_co_i32 s3, s3, s9
	s_xor_b32 s10, s16, s15
	s_ashr_i32 s22, s3, 4
	s_add_co_i32 s3, s11, 1
	s_sub_co_i32 s9, s2, s14
	s_cmp_ge_u32 s2, s14
	v_lshrrev_b32_e32 v25, 5, v0
	s_cselect_b32 s3, s3, s11
	s_cselect_b32 s2, s9, s2
	s_add_co_i32 s9, s3, 1
	s_cmp_ge_u32 s2, s14
	v_mbcnt_lo_u32_b32 v10, -1, 0
	s_cselect_b32 s2, s9, s3
	s_wait_dscnt 0x0
	s_xor_b32 s2, s2, s10
	s_barrier_signal -1
	s_sub_co_i32 s3, s2, s10
	v_cmp_gt_i32_e64 s2, s22, v25
	s_wait_kmcnt 0x0
	s_mul_i32 s10, s4, s20
	s_mov_b32 s4, exec_lo
	s_ashr_i32 s11, s10, 31
	s_barrier_wait -1
                                        ; implicit-def: $vgpr3
                                        ; implicit-def: $vgpr11
	v_cmpx_le_i32_e64 s22, v25
	s_xor_b32 s4, exec_lo, s4
; %bb.5:
	v_dual_mov_b32 v3, 0 :: v_dual_mov_b32 v11, 32
	v_mbcnt_lo_u32_b32 v10, -1, 0
; %bb.6:
	s_or_saveexec_b32 s24, s4
	s_clause 0x1
	s_load_b64 s[12:13], s[0:1], 0x28
	s_load_b32 s9, s[0:1], 0x88
	v_dual_mov_b32 v2, 0xff7fffff :: v_dual_lshlrev_b32 v9, 3, v0
	v_lshrrev_b32_e32 v8, 3, v0
	s_mul_i32 s14, s3, s6
	s_xor_b32 exec_lo, exec_lo, s24
	s_cbranch_execz .LBB135_12
; %bb.7:
	s_load_b64 s[26:27], s[0:1], 0x10
	v_dual_mov_b32 v3, 0 :: v_dual_lshlrev_b32 v2, 5, v24
	v_bfe_u32 v32, v0, 1, 4
	s_ashr_i32 s15, s14, 31
	v_xor_b32_e32 v11, 1, v10
	ds_load_b128 v[4:7], v2
	ds_load_b128 v[26:29], v2 offset:16
	v_lshlrev_b32_e32 v2, 4, v32
	s_lshl_b64 s[28:29], s[14:15], 1
	v_cmp_gt_i32_e32 vcc_lo, 32, v11
	s_ashr_i32 s17, s5, 31
	s_cmp_neq_f32 s23, 0
	s_mov_b32 s16, s5
	s_mov_b32 s6, 0
	v_mov_b32_e32 v33, v25
	s_cselect_b32 s3, -1, 0
	s_sub_co_i32 s15, 1, s21
	s_wait_kmcnt 0x0
	s_add_nc_u64 s[26:27], s[26:27], s[28:29]
	s_delay_alu instid0(SALU_CYCLE_1)
	v_add_nc_u64_e32 v[30:31], s[26:27], v[2:3]
	v_and_b32_e32 v2, 8, v9
	s_lshl_b64 s[26:27], s[10:11], 2
	s_wait_dscnt 0x1
	v_lshlrev_b32_e32 v12, 16, v4
	v_and_b32_e32 v13, 0xffff0000, v4
	v_dual_lshlrev_b32 v14, 16, v5 :: v_dual_lshlrev_b32 v16, 16, v6
	v_and_b32_e32 v15, 0xffff0000, v5
	v_and_b32_e32 v17, 0xffff0000, v6
	s_wait_dscnt 0x0
	v_dual_lshlrev_b32 v18, 16, v7 :: v_dual_lshlrev_b32 v20, 16, v26
	v_and_b32_e32 v21, 0xffff0000, v26
	v_dual_lshlrev_b32 v22, 16, v27 :: v_dual_lshlrev_b32 v26, 16, v28
	v_and_b32_e32 v23, 0xffff0000, v27
	v_and_b32_e32 v27, 0xffff0000, v28
	v_lshlrev_b32_e32 v28, 16, v29
	v_add_nc_u64_e32 v[4:5], v[30:31], v[2:3]
	v_dual_cndmask_b32 v2, v10, v11, vcc_lo :: v_dual_lshlrev_b32 v6, 2, v32
	v_mov_b32_e32 v11, 32
	s_add_nc_u64 s[26:27], s[12:13], s[26:27]
	v_and_b32_e32 v19, 0xffff0000, v7
	s_delay_alu instid0(VALU_DEP_3)
	v_lshlrev_b32_e32 v30, 2, v2
	v_lshl_or_b32 v6, v25, 6, v6
	v_and_b32_e32 v2, 0x7c, v8
	v_lshl_or_b32 v31, v25, 4, v32
	v_and_b32_e32 v29, 0xffff0000, v29
	v_cmp_eq_u32_e32 vcc_lo, 0, v24
	v_add_nc_u32_e32 v32, 0x60, v6
	v_add_nc_u64_e32 v[6:7], s[26:27], v[2:3]
	v_mov_b32_e32 v2, 0xff7fffff
	s_branch .LBB135_9
.LBB135_8:                              ;   in Loop: Header=BB135_9 Depth=1
	s_or_b32 exec_lo, exec_lo, s25
	v_dual_add_nc_u32 v33, 4, v33 :: v_dual_add_nc_u32 v31, 64, v31
	v_add_nc_u64_e32 v[6:7], 16, v[6:7]
	v_add_nc_u32_e32 v32, 0x100, v32
	s_delay_alu instid0(VALU_DEP_3) | instskip(SKIP_1) | instid1(SALU_CYCLE_1)
	v_cmp_le_i32_e64 s4, s22, v33
	s_or_b32 s6, s4, s6
	s_and_not1_b32 exec_lo, exec_lo, s6
	s_cbranch_execz .LBB135_11
.LBB135_9:                              ; =>This Inner Loop Header: Depth=1
	global_load_b32 v34, v[6:7], off
	s_wait_loadcnt_dscnt 0x0
	v_ashrrev_i32_e32 v35, 31, v34
	s_delay_alu instid0(VALU_DEP_1) | instskip(NEXT) | instid1(VALU_DEP_1)
	v_mul_u64_e32 v[34:35], s[16:17], v[34:35]
	v_lshl_add_u64 v[34:35], v[34:35], 1, v[4:5]
	s_clause 0x3
	global_load_b64 v[36:37], v[34:35], off offset:256
	global_load_b64 v[38:39], v[34:35], off
	global_load_b64 v[40:41], v[34:35], off offset:512
	global_load_b64 v[42:43], v[34:35], off offset:768
	s_wait_loadcnt 0x3
	s_wait_xcnt 0x0
	v_lshlrev_b32_e32 v34, 16, v36
	v_and_b32_e32 v35, 0xffff0000, v36
	v_lshlrev_b32_e32 v36, 16, v37
	v_and_b32_e32 v37, 0xffff0000, v37
	s_delay_alu instid0(VALU_DEP_3) | instskip(NEXT) | instid1(VALU_DEP_3)
	v_dual_mul_f32 v34, v16, v34 :: v_dual_mul_f32 v35, v17, v35
	v_mul_f32_e32 v36, v18, v36
	s_wait_loadcnt 0x2
	s_delay_alu instid0(VALU_DEP_2) | instskip(NEXT) | instid1(VALU_DEP_3)
	v_fma_mix_f32_bf16 v34, v12, v38, v34 op_sel_hi:[0,1,0]
	v_fma_mix_f32_bf16 v35, v13, v38, v35 op_sel:[0,1,0] op_sel_hi:[0,1,0]
	s_delay_alu instid0(VALU_DEP_3) | instskip(SKIP_1) | instid1(VALU_DEP_3)
	v_fma_mix_f32_bf16 v36, v14, v39, v36 op_sel_hi:[0,1,0]
	s_wait_loadcnt 0x1
	v_fma_mix_f32_bf16 v34, v20, v40, v34 op_sel_hi:[0,1,0]
	s_delay_alu instid0(VALU_DEP_3) | instskip(NEXT) | instid1(VALU_DEP_3)
	v_fma_mix_f32_bf16 v35, v21, v40, v35 op_sel:[0,1,0] op_sel_hi:[0,1,0]
	v_fma_mix_f32_bf16 v36, v22, v41, v36 op_sel_hi:[0,1,0]
	s_wait_loadcnt 0x0
	s_delay_alu instid0(VALU_DEP_3) | instskip(NEXT) | instid1(VALU_DEP_3)
	v_fma_mix_f32_bf16 v34, v26, v42, v34 op_sel_hi:[0,1,0]
	v_fma_mix_f32_bf16 v35, v27, v42, v35 op_sel:[0,1,0] op_sel_hi:[0,1,0]
	v_mul_f32_e32 v37, v19, v37
	v_fma_mix_f32_bf16 v36, v28, v43, v36 op_sel_hi:[0,1,0]
	s_delay_alu instid0(VALU_DEP_3) | instskip(NEXT) | instid1(VALU_DEP_3)
	v_add_f32_e32 v34, v34, v35
	v_fma_mix_f32_bf16 v37, v15, v39, v37 op_sel:[0,1,0] op_sel_hi:[0,1,0]
	s_delay_alu instid0(VALU_DEP_2) | instskip(NEXT) | instid1(VALU_DEP_2)
	v_add_f32_e32 v34, v34, v36
	v_fma_mix_f32_bf16 v37, v23, v41, v37 op_sel:[0,1,0] op_sel_hi:[0,1,0]
	s_delay_alu instid0(VALU_DEP_1) | instskip(NEXT) | instid1(VALU_DEP_1)
	v_fma_mix_f32_bf16 v35, v29, v43, v37 op_sel:[0,1,0] op_sel_hi:[0,1,0]
	v_add_f32_e32 v34, v35, v34
	ds_bpermute_b32 v35, v30, v34
	s_and_saveexec_b32 s25, vcc_lo
	s_cbranch_execz .LBB135_8
; %bb.10:                               ;   in Loop: Header=BB135_9 Depth=1
	s_wait_dscnt 0x0
	v_add_f32_e32 v34, v34, v35
	v_add_nc_u32_e32 v36, s15, v31
	v_cmp_gt_i32_e64 s4, s21, v31
	s_delay_alu instid0(VALU_DEP_2) | instskip(NEXT) | instid1(VALU_DEP_1)
	v_cvt_f32_i32_e32 v36, v36
	v_mul_f32_e32 v36, s23, v36
	s_delay_alu instid0(VALU_DEP_1) | instskip(NEXT) | instid1(VALU_DEP_1)
	v_dual_cndmask_b32 v35, 0, v36, s3 :: v_dual_max_num_f32 v36, v2, v2
	v_fmac_f32_e32 v35, s7, v34
	s_delay_alu instid0(VALU_DEP_1) | instskip(NEXT) | instid1(VALU_DEP_1)
	v_dual_max_num_f32 v34, v36, v35 :: v_dual_cndmask_b32 v35, 0, v35, s4
	v_cndmask_b32_e64 v2, v2, v34, s4
	ds_store_b32 v32, v35
	s_branch .LBB135_8
.LBB135_11:
	s_or_b32 exec_lo, exec_lo, s6
.LBB135_12:
	s_delay_alu instid0(SALU_CYCLE_1)
	s_or_b32 exec_lo, exec_lo, s24
	v_xor_b32_e32 v4, 16, v10
	s_clause 0x1
	s_load_b64 s[6:7], s[0:1], 0x0
	s_load_b64 s[16:17], s[0:1], 0x18
	v_and_b32_e32 v26, 31, v0
	v_xor_b32_e32 v6, 8, v10
	v_cmp_lt_i32_e32 vcc_lo, v4, v11
	v_cndmask_b32_e32 v4, v10, v4, vcc_lo
	s_delay_alu instid0(VALU_DEP_3) | instskip(NEXT) | instid1(VALU_DEP_2)
	v_cmp_lt_i32_e32 vcc_lo, v6, v11
	v_lshlrev_b32_e32 v4, 2, v4
	ds_bpermute_b32 v5, v4, v2
	s_wait_dscnt 0x0
	v_dual_max_num_f32 v2, v2, v2 :: v_dual_max_num_f32 v7, v5, v5
	s_delay_alu instid0(VALU_DEP_1) | instskip(SKIP_1) | instid1(VALU_DEP_2)
	v_dual_max_num_f32 v2, v2, v7 :: v_dual_bitop2_b32 v7, 4, v10 bitop3:0x14
	v_cndmask_b32_e32 v6, v10, v6, vcc_lo
	v_cmp_lt_i32_e32 vcc_lo, v7, v11
	s_delay_alu instid0(VALU_DEP_2) | instskip(SKIP_3) | instid1(VALU_DEP_1)
	v_dual_cndmask_b32 v7, v10, v7, vcc_lo :: v_dual_lshlrev_b32 v5, 2, v6
	ds_bpermute_b32 v6, v5, v2
	s_wait_dscnt 0x0
	v_dual_max_num_f32 v12, v6, v6 :: v_dual_lshlrev_b32 v6, 2, v7
	v_max_num_f32_e32 v2, v2, v12
	ds_bpermute_b32 v7, v6, v2
	s_wait_dscnt 0x0
	v_dual_max_num_f32 v7, v7, v7 :: v_dual_bitop2_b32 v12, 2, v10 bitop3:0x14
	s_delay_alu instid0(VALU_DEP_1) | instskip(SKIP_1) | instid1(VALU_DEP_3)
	v_cmp_lt_i32_e32 vcc_lo, v12, v11
	v_cndmask_b32_e32 v13, v10, v12, vcc_lo
	v_dual_max_num_f32 v12, v2, v7 :: v_dual_lshlrev_b32 v7, 2, v25
	v_cmp_eq_u32_e32 vcc_lo, 0, v26
	s_delay_alu instid0(VALU_DEP_3)
	v_lshlrev_b32_e32 v2, 2, v13
	ds_bpermute_b32 v13, v2, v12
	s_wait_xcnt 0x0
	s_and_saveexec_b32 s0, vcc_lo
	s_cbranch_execz .LBB135_14
; %bb.13:
	s_wait_dscnt 0x0
	v_dual_max_num_f32 v13, v13, v13 :: v_dual_max_num_f32 v12, v12, v12
	s_delay_alu instid0(VALU_DEP_1)
	v_max_num_f32_e32 v12, v12, v13
	ds_store_b32 v7, v12 offset:64
.LBB135_14:
	s_or_b32 exec_lo, exec_lo, s0
	v_cmp_gt_u32_e64 s0, 4, v26
	s_wait_dscnt 0x0
	v_dual_mov_b32 v13, 0xff7fffff :: v_dual_lshlrev_b32 v12, 2, v26
	s_barrier_signal -1
	s_barrier_wait -1
	s_and_saveexec_b32 s1, s0
; %bb.15:
	ds_load_b32 v13, v12 offset:64
; %bb.16:
	s_or_b32 exec_lo, exec_lo, s1
	s_wait_dscnt 0x0
	ds_bpermute_b32 v14, v2, v13
	v_dual_max_num_f32 v13, v13, v13 :: v_dual_bitop2_b32 v15, 1, v10 bitop3:0x14
	v_lshlrev_b32_e32 v3, 2, v3
	s_delay_alu instid0(VALU_DEP_2) | instskip(NEXT) | instid1(VALU_DEP_1)
	v_cmp_lt_i32_e64 s1, v15, v11
	v_cndmask_b32_e64 v11, v10, v15, s1
	s_lshl_b32 s1, s22, 4
	s_delay_alu instid0(SALU_CYCLE_1) | instskip(NEXT) | instid1(VALU_DEP_1)
	s_min_i32 s4, s1, s21
	v_lshlrev_b32_e32 v27, 2, v11
	v_cmp_gt_i32_e64 s1, s4, v0
	s_wait_dscnt 0x0
	v_max_num_f32_e32 v14, v14, v14
	s_delay_alu instid0(VALU_DEP_1) | instskip(SKIP_3) | instid1(VALU_DEP_1)
	v_max_num_f32_e32 v11, v13, v14
	ds_bpermute_b32 v13, v27, v11
	s_wait_dscnt 0x0
	v_max_num_f32_e32 v13, v13, v13
	v_max_num_f32_e32 v11, v11, v13
	ds_bpermute_b32 v11, v3, v11
	v_mov_b32_e32 v3, 0
	s_and_saveexec_b32 s15, s1
	s_cbranch_execz .LBB135_20
; %bb.17:
	v_lshl_add_u32 v13, v0, 2, 0x60
	v_dual_mov_b32 v3, 0 :: v_dual_mov_b32 v14, v0
	s_mov_b32 s23, 0
.LBB135_18:                             ; =>This Inner Loop Header: Depth=1
	ds_load_b32 v15, v13
	v_add_nc_u32_e32 v14, 0x80, v14
	s_delay_alu instid0(VALU_DEP_1) | instskip(SKIP_3) | instid1(VALU_DEP_1)
	v_cmp_le_i32_e64 s3, s4, v14
	s_or_b32 s23, s3, s23
	s_wait_dscnt 0x0
	v_sub_f32_e32 v15, v15, v11
	v_mul_f32_e32 v15, 0x3fb8aa3b, v15
	s_delay_alu instid0(VALU_DEP_1)
	v_exp_f32_e32 v15, v15
	ds_store_b32 v13, v15
	v_nop
	v_add_f32_e32 v3, v3, v15
	v_add_nc_u32_e32 v13, 0x200, v13
	s_and_not1_b32 exec_lo, exec_lo, s23
	s_cbranch_execnz .LBB135_18
; %bb.19:
	s_or_b32 exec_lo, exec_lo, s23
.LBB135_20:
	s_delay_alu instid0(SALU_CYCLE_1)
	s_or_b32 exec_lo, exec_lo, s15
	ds_bpermute_b32 v4, v4, v3
	s_wait_dscnt 0x0
	v_add_f32_e32 v3, v3, v4
	ds_bpermute_b32 v4, v5, v3
	s_wait_dscnt 0x0
	v_add_f32_e32 v3, v3, v4
	;; [unrolled: 3-line block ×5, first 2 shown]
	s_and_saveexec_b32 s3, vcc_lo
; %bb.21:
	ds_store_b32 v7, v3 offset:80
; %bb.22:
	s_or_b32 exec_lo, exec_lo, s3
	s_wait_dscnt 0x0
	s_barrier_signal -1
	s_barrier_wait -1
	s_and_saveexec_b32 s3, s0
; %bb.23:
	ds_load_b32 v3, v12 offset:80
; %bb.24:
	s_or_b32 exec_lo, exec_lo, s3
	s_wait_dscnt 0x0
	ds_bpermute_b32 v2, v2, v3
	s_wait_dscnt 0x0
	v_add_f32_e32 v2, v3, v2
	ds_bpermute_b32 v3, v27, v2
	s_wait_dscnt 0x0
	v_dual_lshlrev_b32 v4, 2, v10 :: v_dual_add_f32 v2, v2, v3
	s_delay_alu instid0(VALU_DEP_1)
	v_and_b32_e32 v3, 0xffffff80, v4
	ds_bpermute_b32 v2, v3, v2
	s_and_saveexec_b32 s0, s1
	s_cbranch_execz .LBB135_37
; %bb.25:
	s_wait_dscnt 0x0
	v_add_f32_e32 v2, 0x358637bd, v2
	s_mov_b32 s3, -1
	s_mov_b32 s1, exec_lo
	s_delay_alu instid0(VALU_DEP_1) | instskip(NEXT) | instid1(VALU_DEP_1)
	v_div_scale_f32 v3, null, v2, v2, 1.0
	v_rcp_f32_e32 v5, v3
	v_nop
	s_delay_alu instid0(TRANS32_DEP_1) | instskip(NEXT) | instid1(VALU_DEP_1)
	v_fma_f32 v4, -v3, v5, 1.0
	v_fmac_f32_e32 v5, v4, v5
	v_div_scale_f32 v6, vcc_lo, 1.0, v2, 1.0
	s_delay_alu instid0(VALU_DEP_1) | instskip(NEXT) | instid1(VALU_DEP_1)
	v_mul_f32_e32 v7, v6, v5
	v_fma_f32 v4, -v3, v7, v6
	s_delay_alu instid0(VALU_DEP_1) | instskip(SKIP_1) | instid1(VALU_DEP_2)
	v_fmac_f32_e32 v7, v4, v5
	v_xad_u32 v4, v0, -1, s4
	v_fma_f32 v3, -v3, v7, v6
	s_delay_alu instid0(VALU_DEP_1) | instskip(NEXT) | instid1(VALU_DEP_1)
	v_div_fmas_f32 v3, v3, v5, v7
	v_div_fixup_f32 v2, v3, v2, 1.0
	v_mov_b32_e32 v3, v0
	v_cmpx_lt_u32_e32 0x7f, v4
	s_cbranch_execz .LBB135_34
; %bb.26:
	s_delay_alu instid0(VALU_DEP_3) | instskip(NEXT) | instid1(VALU_DEP_1)
	v_dual_mov_b32 v3, v2 :: v_dual_lshrrev_b32 v4, 7, v4
	v_dual_mov_b32 v10, 0 :: v_dual_add_nc_u32 v5, -1, v4
	s_delay_alu instid0(VALU_DEP_1) | instskip(SKIP_1) | instid1(VALU_DEP_2)
	v_lshrrev_b32_e32 v6, 1, v5
	v_cmp_lt_u32_e32 vcc_lo, 13, v5
	v_add_nc_u32_e32 v5, 1, v6
	s_and_saveexec_b32 s3, vcc_lo
	s_cbranch_execz .LBB135_30
; %bb.27:
	s_delay_alu instid0(VALU_DEP_1)
	v_and_b32_e32 v6, -8, v5
	v_lshl_add_u32 v7, v0, 2, 0x60
	s_mov_b32 s15, 0
	s_mov_b32 s23, 0
.LBB135_28:                             ; =>This Inner Loop Header: Depth=1
	ds_load_2addr_stride64_b32 v[10:11], v7 offset1:2
	ds_load_2addr_stride64_b32 v[12:13], v7 offset0:4 offset1:6
	ds_load_2addr_stride64_b32 v[14:15], v7 offset0:8 offset1:10
	;; [unrolled: 1-line block ×7, first 2 shown]
	s_add_co_i32 s23, s23, 16
	v_add_nc_u32_e32 v6, -8, v6
	s_wait_dscnt 0x7
	v_pk_mul_f32 v[10:11], v[2:3], v[10:11]
	s_wait_dscnt 0x6
	v_pk_mul_f32 v[12:13], v[2:3], v[12:13]
	;; [unrolled: 2-line block ×8, first 2 shown]
	ds_store_2addr_stride64_b32 v7, v10, v11 offset1:2
	ds_store_2addr_stride64_b32 v7, v12, v13 offset0:4 offset1:6
	ds_store_2addr_stride64_b32 v7, v14, v15 offset0:8 offset1:10
	;; [unrolled: 1-line block ×7, first 2 shown]
	v_mov_b32_e32 v10, s23
	v_cmp_eq_u32_e32 vcc_lo, 0, v6
	v_add_nc_u32_e32 v7, 0x2000, v7
	s_or_b32 s15, vcc_lo, s15
	s_delay_alu instid0(SALU_CYCLE_1)
	s_and_not1_b32 exec_lo, exec_lo, s15
	s_cbranch_execnz .LBB135_28
; %bb.29:
	s_or_b32 exec_lo, exec_lo, s15
.LBB135_30:
	s_delay_alu instid0(SALU_CYCLE_1) | instskip(NEXT) | instid1(VALU_DEP_1)
	s_or_b32 exec_lo, exec_lo, s3
	v_and_b32_e32 v5, 7, v5
	s_mov_b32 s15, 0
	s_mov_b32 s3, exec_lo
	s_delay_alu instid0(VALU_DEP_1)
	v_cmpx_ne_u32_e32 0, v5
	s_cbranch_execz .LBB135_33
; %bb.31:
	v_dual_lshlrev_b32 v6, 9, v10 :: v_dual_lshlrev_b32 v7, 2, v0
	s_delay_alu instid0(VALU_DEP_1)
	v_add3_u32 v6, v6, v7, 0x60
.LBB135_32:                             ; =>This Inner Loop Header: Depth=1
	ds_load_2addr_stride64_b32 v[10:11], v6 offset1:2
	v_add_nc_u32_e32 v5, -1, v5
	s_delay_alu instid0(VALU_DEP_1)
	v_cmp_eq_u32_e32 vcc_lo, 0, v5
	s_or_b32 s15, vcc_lo, s15
	s_wait_dscnt 0x0
	v_pk_mul_f32 v[10:11], v[2:3], v[10:11]
	ds_store_2addr_stride64_b32 v6, v10, v11 offset1:2
	v_add_nc_u32_e32 v6, 0x400, v6
	s_and_not1_b32 exec_lo, exec_lo, s15
	s_cbranch_execnz .LBB135_32
.LBB135_33:
	s_or_b32 exec_lo, exec_lo, s3
	v_add_nc_u32_e32 v3, 1, v4
	s_delay_alu instid0(VALU_DEP_1) | instskip(NEXT) | instid1(VALU_DEP_1)
	v_and_b32_e32 v4, 0x3fffffe, v3
	v_cmp_ne_u32_e32 vcc_lo, v3, v4
	v_lshl_add_u32 v3, v4, 7, v0
	s_or_not1_b32 s3, vcc_lo, exec_lo
.LBB135_34:
	s_or_b32 exec_lo, exec_lo, s1
	s_delay_alu instid0(SALU_CYCLE_1)
	s_and_b32 exec_lo, exec_lo, s3
	s_cbranch_execz .LBB135_37
; %bb.35:
	v_lshl_add_u32 v4, v3, 2, 0x60
	s_mov_b32 s1, 0
.LBB135_36:                             ; =>This Inner Loop Header: Depth=1
	ds_load_b32 v5, v4
	v_add_nc_u32_e32 v3, 0x80, v3
	s_delay_alu instid0(VALU_DEP_1)
	v_cmp_le_i32_e32 vcc_lo, s4, v3
	s_or_b32 s1, vcc_lo, s1
	s_wait_dscnt 0x0
	v_mul_f32_e32 v5, v2, v5
	ds_store_b32 v4, v5
	v_add_nc_u32_e32 v4, 0x200, v4
	s_and_not1_b32 exec_lo, exec_lo, s1
	s_cbranch_execnz .LBB135_36
.LBB135_37:
	s_or_b32 exec_lo, exec_lo, s0
	v_mov_b32_e32 v19, 0
	s_wait_dscnt 0x0
	s_barrier_signal -1
	s_barrier_wait -1
	s_delay_alu instid0(VALU_DEP_1)
	v_mov_b32_e32 v18, v19
	s_and_saveexec_b32 s1, s2
	s_cbranch_execz .LBB135_45
; %bb.38:
	v_dual_lshlrev_b32 v2, 4, v0 :: v_dual_bitop2_b32 v3, 8, v9 bitop3:0x40
	s_ashr_i32 s15, s14, 31
	v_dual_mov_b32 v19, 0 :: v_dual_lshlrev_b32 v4, 5, v24
	s_delay_alu instid0(VALU_DEP_2)
	v_and_b32_e32 v18, 0x1f0, v2
	s_lshl_b64 s[14:15], s[14:15], 1
	s_ashr_i32 s3, s5, 31
	s_wait_kmcnt 0x0
	s_add_nc_u64 s[14:15], s[16:17], s[14:15]
	s_mov_b32 s2, s5
	v_add_nc_u64_e32 v[20:21], s[14:15], v[18:19]
	v_and_b32_e32 v18, 0x7c, v8
	s_lshl_b64 s[4:5], s[10:11], 2
	v_lshl_or_b32 v2, v25, 6, v4
	s_add_nc_u64 s[4:5], s[12:13], s[4:5]
	v_lshl_or_b32 v28, v25, 4, v3
	v_add_nc_u64_e32 v[22:23], s[4:5], v[18:19]
	s_delay_alu instid0(VALU_DEP_3)
	v_dual_mov_b32 v30, v25 :: v_dual_add_nc_u32 v29, 0x60, v2
	v_mov_b32_e32 v18, v19
	s_add_co_i32 s4, s22, -1
	s_mov_b32 s10, s21
	s_mov_b32 s5, 0
	s_branch .LBB135_40
.LBB135_39:                             ;   in Loop: Header=BB135_40 Depth=1
	s_or_b32 exec_lo, exec_lo, s0
	s_wait_dscnt 0x1
	v_cvt_pk_bf16_f32 v10, v10, v11
	v_cvt_pk_bf16_f32 v11, v12, v13
	s_wait_dscnt 0x0
	v_cvt_pk_bf16_f32 v6, v6, v7
	v_cvt_pk_bf16_f32 v7, v8, v9
	v_dual_add_nc_u32 v30, 4, v30 :: v_dual_add_nc_u32 v28, 64, v28
	s_wait_loadcnt 0x1
	v_pk_mul_bf16 v2, v10, v2
	v_pk_mul_bf16 v3, v11, v3
	;; [unrolled: 1-line block ×4, first 2 shown]
	s_wait_loadcnt 0x0
	v_pk_mul_bf16 v4, v10, v14
	v_dual_lshlrev_b32 v5, 16, v2 :: v_dual_lshlrev_b32 v14, 16, v3
	v_and_b32_e32 v2, 0xffff0000, v2
	v_pk_mul_bf16 v8, v11, v15
	v_pk_mul_bf16 v10, v6, v16
	;; [unrolled: 1-line block ×3, first 2 shown]
	s_delay_alu instid0(VALU_DEP_4)
	v_dual_add_f32 v2, v2, v5 :: v_dual_lshlrev_b32 v7, 16, v4
	v_and_b32_e32 v5, 0xffff0000, v4
	v_and_b32_e32 v4, 0xffff0000, v8
	v_dual_lshlrev_b32 v6, 16, v8 :: v_dual_lshlrev_b32 v11, 16, v10
	v_and_b32_e32 v3, 0xffff0000, v3
	v_and_b32_e32 v9, 0xffff0000, v10
	;; [unrolled: 1-line block ×3, first 2 shown]
	v_dual_lshlrev_b32 v10, 16, v15 :: v_dual_lshlrev_b32 v15, 16, v12
	v_pk_add_f32 v[4:5], v[6:7], v[4:5]
	v_and_b32_e32 v12, 0xffff0000, v12
	v_add_f32_e32 v6, v3, v14
	s_delay_alu instid0(VALU_DEP_4) | instskip(NEXT) | instid1(VALU_DEP_4)
	v_pk_add_f32 v[8:9], v[10:11], v[8:9]
	v_dual_mov_b32 v7, v4 :: v_dual_lshlrev_b32 v10, 16, v13
	s_delay_alu instid0(VALU_DEP_4) | instskip(SKIP_1) | instid1(VALU_DEP_4)
	v_dual_mov_b32 v3, v5 :: v_dual_add_f32 v4, v12, v15
	v_and_b32_e32 v11, 0xffff0000, v13
	v_mov_b32_e32 v5, v9
	v_cmp_le_i32_e32 vcc_lo, s22, v30
	s_delay_alu instid0(VALU_DEP_4) | instskip(NEXT) | instid1(VALU_DEP_4)
	v_pk_add_f32 v[2:3], v[6:7], v[2:3]
	v_dual_mov_b32 v7, v8 :: v_dual_add_f32 v6, v11, v10
	v_add_nc_u64_e32 v[22:23], 16, v[22:23]
	v_add_nc_u32_e32 v29, 0x100, v29
	s_delay_alu instid0(VALU_DEP_4) | instskip(SKIP_1) | instid1(VALU_DEP_1)
	v_pk_add_f32 v[2:3], v[4:5], v[2:3]
	s_or_b32 s5, vcc_lo, s5
	v_pk_add_f32 v[2:3], v[6:7], v[2:3]
	s_delay_alu instid0(VALU_DEP_1)
	v_pk_add_f32 v[18:19], v[18:19], v[2:3]
	s_and_not1_b32 exec_lo, exec_lo, s5
	s_cbranch_execz .LBB135_44
.LBB135_40:                             ; =>This Inner Loop Header: Depth=1
	global_load_b32 v2, v[22:23], off
	v_cmp_eq_u32_e32 vcc_lo, s4, v30
	v_or_b32_e32 v35, 3, v28
	v_or_b32_e32 v37, 2, v28
	;; [unrolled: 1-line block ×5, first 2 shown]
	v_dual_add_nc_u32 v36, 1, v28 :: v_dual_bitop2_b32 v33, 6, v28 bitop3:0x54
	s_wait_loadcnt 0x0
	v_ashrrev_i32_e32 v3, 31, v2
	s_delay_alu instid0(VALU_DEP_1) | instskip(NEXT) | instid1(VALU_DEP_1)
	v_mul_u64_e32 v[2:3], s[2:3], v[2:3]
	v_lshl_add_u64 v[14:15], v[2:3], 1, v[20:21]
	global_load_b128 v[2:5], v[14:15], off
	ds_load_2addr_b64 v[10:13], v29 offset1:1
	ds_load_2addr_b64 v[6:9], v29 offset0:2 offset1:3
	s_wait_xcnt 0x0
	s_and_saveexec_b32 s11, vcc_lo
	s_cbranch_execz .LBB135_42
; %bb.41:                               ;   in Loop: Header=BB135_40 Depth=1
	v_cmp_gt_i32_e64 s0, s21, v28
	s_wait_loadcnt 0x0
	s_delay_alu instid0(VALU_DEP_1) | instskip(SKIP_1) | instid1(VALU_DEP_1)
	v_dual_lshrrev_b32 v16, 16, v2 :: v_dual_cndmask_b32 v2, 0, v2, s0
	v_cmp_gt_i32_e64 s0, s10, v36
	v_dual_lshrrev_b32 v17, 16, v3 :: v_dual_cndmask_b32 v16, 0, v16, s0
	v_cmp_gt_i32_e64 s0, s21, v37
	s_delay_alu instid0(VALU_DEP_2) | instskip(NEXT) | instid1(VALU_DEP_2)
	v_perm_b32 v2, v16, v2, 0x5040100
	v_cndmask_b32_e64 v3, 0, v3, s0
	v_cmp_gt_i32_e64 s0, s10, v35
	s_delay_alu instid0(VALU_DEP_1) | instskip(SKIP_2) | instid1(VALU_DEP_3)
	v_cndmask_b32_e64 v17, 0, v17, s0
	v_cmp_gt_i32_e64 s0, s21, v34
	v_lshrrev_b32_e32 v38, 16, v4
	v_perm_b32 v3, v17, v3, 0x5040100
	s_delay_alu instid0(VALU_DEP_3) | instskip(SKIP_1) | instid1(VALU_DEP_1)
	v_cndmask_b32_e64 v4, 0, v4, s0
	v_cmp_gt_i32_e64 s0, s10, v32
	v_dual_lshrrev_b32 v39, 16, v5 :: v_dual_cndmask_b32 v38, 0, v38, s0
	v_cmp_gt_i32_e64 s0, s21, v33
	s_delay_alu instid0(VALU_DEP_2) | instskip(NEXT) | instid1(VALU_DEP_2)
	v_perm_b32 v4, v38, v4, 0x5040100
	v_cndmask_b32_e64 v5, 0, v5, s0
	v_cmp_gt_i32_e64 s0, s10, v31
	s_delay_alu instid0(VALU_DEP_1) | instskip(NEXT) | instid1(VALU_DEP_1)
	v_cndmask_b32_e64 v39, 0, v39, s0
	v_perm_b32 v5, v39, v5, 0x5040100
.LBB135_42:                             ;   in Loop: Header=BB135_40 Depth=1
	s_or_b32 exec_lo, exec_lo, s11
	global_load_b128 v[14:17], v[14:15], off offset:512
	s_wait_xcnt 0x0
	s_and_saveexec_b32 s0, vcc_lo
	s_cbranch_execz .LBB135_39
; %bb.43:                               ;   in Loop: Header=BB135_40 Depth=1
	v_cmp_gt_i32_e32 vcc_lo, s21, v28
	s_wait_loadcnt 0x0
	v_dual_lshrrev_b32 v38, 16, v14 :: v_dual_cndmask_b32 v14, 0, v14, vcc_lo
	v_cmp_gt_i32_e32 vcc_lo, s10, v36
	s_delay_alu instid0(VALU_DEP_2) | instskip(SKIP_2) | instid1(VALU_DEP_3)
	v_dual_cndmask_b32 v36, 0, v38 :: v_dual_lshrrev_b32 v39, 16, v15
	v_cmp_gt_i32_e32 vcc_lo, s21, v37
	v_lshrrev_b32_e32 v37, 16, v16
	v_perm_b32 v14, v36, v14, 0x5040100
	v_cndmask_b32_e32 v15, 0, v15, vcc_lo
	v_cmp_gt_i32_e32 vcc_lo, s10, v35
	v_cndmask_b32_e32 v35, 0, v39, vcc_lo
	v_cmp_gt_i32_e32 vcc_lo, s21, v34
	v_cndmask_b32_e32 v16, 0, v16, vcc_lo
	v_cmp_gt_i32_e32 vcc_lo, s10, v32
	s_delay_alu instid0(VALU_DEP_4) | instskip(SKIP_4) | instid1(VALU_DEP_2)
	v_perm_b32 v15, v35, v15, 0x5040100
	v_cndmask_b32_e32 v32, 0, v37, vcc_lo
	v_cmp_gt_i32_e32 vcc_lo, s21, v33
	v_dual_cndmask_b32 v17, 0, v17 :: v_dual_lshrrev_b32 v34, 16, v17
	v_cmp_gt_i32_e32 vcc_lo, s10, v31
	v_cndmask_b32_e32 v31, 0, v34, vcc_lo
	v_perm_b32 v16, v32, v16, 0x5040100
	s_delay_alu instid0(VALU_DEP_2)
	v_perm_b32 v17, v31, v17, 0x5040100
	s_branch .LBB135_39
.LBB135_44:
	s_or_b32 exec_lo, exec_lo, s5
.LBB135_45:
	s_delay_alu instid0(SALU_CYCLE_1)
	s_or_b32 exec_lo, exec_lo, s1
	ds_bpermute_b32 v2, v27, v18
	ds_bpermute_b32 v3, v27, v19
	v_lshrrev_b32_e32 v4, 1, v26
	v_and_b32_e32 v6, 0x3c1, v0
	s_mov_b32 s0, exec_lo
	s_wait_dscnt 0x0
	s_barrier_signal -1
	v_lshl_add_u32 v5, v4, 2, 0x60
	s_barrier_wait -1
	v_pk_add_f32 v[2:3], v[18:19], v[2:3]
	v_cmpx_eq_u32_e32 64, v6
	s_cbranch_execz .LBB135_47
; %bb.46:
	v_lshl_add_u32 v6, v25, 7, v5
	s_delay_alu instid0(VALU_DEP_1)
	v_add_nc_u32_e32 v7, 0xffffff00, v6
	v_add_nc_u32_e32 v6, 0xffffff40, v6
	ds_store_b32 v7, v2
	ds_store_b32 v6, v3
.LBB135_47:
	s_or_b32 exec_lo, exec_lo, s0
	v_and_b32_e32 v6, 0x3e0, v0
	v_lshlrev_b32_e32 v4, 2, v4
	s_mov_b32 s1, exec_lo
	v_cmp_eq_u32_e32 vcc_lo, 0, v24
	s_wait_dscnt 0x0
	v_lshlrev_b32_e32 v6, 2, v6
	s_barrier_signal -1
	s_barrier_wait -1
	s_delay_alu instid0(VALU_DEP_1)
	v_add3_u32 v4, 0x60, v6, v4
	v_cmpx_gt_u32_e32 64, v0
	s_cbranch_execz .LBB135_53
; %bb.48:
	s_and_saveexec_b32 s0, vcc_lo
	s_cbranch_execz .LBB135_50
; %bb.49:
	ds_load_b32 v6, v4
	s_wait_dscnt 0x0
	v_add_f32_e32 v2, v2, v6
.LBB135_50:
	s_or_b32 exec_lo, exec_lo, s0
	s_and_saveexec_b32 s0, vcc_lo
	s_cbranch_execz .LBB135_52
; %bb.51:
	ds_load_b32 v6, v4 offset:64
	s_wait_dscnt 0x0
	v_add_f32_e32 v3, v3, v6
.LBB135_52:
	s_or_b32 exec_lo, exec_lo, s0
.LBB135_53:
	s_delay_alu instid0(SALU_CYCLE_1) | instskip(SKIP_4) | instid1(VALU_DEP_1)
	s_or_b32 exec_lo, exec_lo, s1
	v_and_b32_e32 v6, 0x3e1, v0
	s_mov_b32 s1, exec_lo
	s_barrier_signal -1
	s_barrier_wait -1
	v_cmpx_eq_u32_e32 32, v6
; %bb.54:
	ds_store_2addr_b32 v5, v2, v3 offset1:16
; %bb.55:
	s_or_b32 exec_lo, exec_lo, s1
	s_delay_alu instid0(SALU_CYCLE_1)
	s_mov_b32 s1, exec_lo
	s_wait_dscnt 0x0
	s_barrier_signal -1
	s_barrier_wait -1
	v_cmpx_gt_u32_e32 32, v0
	s_cbranch_execz .LBB135_61
; %bb.56:
	s_and_saveexec_b32 s0, vcc_lo
	s_cbranch_execz .LBB135_58
; %bb.57:
	ds_load_b32 v0, v4
	s_wait_dscnt 0x0
	v_add_f32_e32 v2, v2, v0
.LBB135_58:
	s_or_b32 exec_lo, exec_lo, s0
	s_and_saveexec_b32 s0, vcc_lo
	s_cbranch_execz .LBB135_60
; %bb.59:
	ds_load_b32 v0, v4 offset:64
	s_wait_dscnt 0x0
	v_add_f32_e32 v3, v3, v0
.LBB135_60:
	s_or_b32 exec_lo, exec_lo, s0
.LBB135_61:
	s_delay_alu instid0(SALU_CYCLE_1)
	s_or_b32 exec_lo, exec_lo, s1
	s_mov_b32 s1, 0
	s_barrier_signal -1
	s_barrier_wait -1
	s_mov_b32 s0, exec_lo
	v_cmpx_eq_u32_e32 0, v6
	s_cbranch_execz .LBB135_63
; %bb.62:
	s_wait_kmcnt 0x0
	s_mul_i32 s0, s20, s9
	s_mul_i32 s2, s9, s8
	;; [unrolled: 1-line block ×3, first 2 shown]
	s_lshr_b32 s8, ttmp7, 16
	s_lshl_b32 s4, s0, 5
	s_bfe_u32 s0, ttmp6, 0x40014
	s_ashr_i32 s5, s4, 31
	s_add_co_i32 s0, s0, 1
	s_ashr_i32 s3, s2, 31
	s_mul_i32 s0, s8, s0
	s_bfe_u32 s9, ttmp6, 0x40008
	s_lshl_b64 s[4:5], s[4:5], 1
	s_lshl_b64 s[2:3], s[2:3], 1
	s_add_co_i32 s9, s9, s0
	s_cmp_eq_u32 s18, 0
	s_add_nc_u64 s[4:5], s[6:7], s[4:5]
	s_cselect_b32 s0, s8, s9
	s_add_nc_u64 s[2:3], s[4:5], s[2:3]
	s_lshl_b32 s0, s0, 6
	s_delay_alu instid0(SALU_CYCLE_1)
	v_cvt_pk_bf16_f32 v0, v2, s0
	v_cvt_pk_bf16_f32 v2, v3, s0
	s_add_nc_u64 s[0:1], s[2:3], s[0:1]
	s_clause 0x1
	global_store_b16 v1, v0, s[0:1] scale_offset
	global_store_b16 v1, v2, s[0:1] offset:32 scale_offset
.LBB135_63:
	s_endpgm
	.section	.rodata,"a",@progbits
	.p2align	6, 0x0
	.amdhsa_kernel _ZN4vllm25paged_attention_v1_kernelI14__hip_bfloat16S1_Li32ELi16ELi128ELNS_18Fp8KVCacheDataTypeE0ELb0EEEvPT_PKS3_PKT0_S9_ifPKiSB_iPKfiiiSD_SD_iiiii
		.amdhsa_group_segment_fixed_size 96
		.amdhsa_private_segment_fixed_size 0
		.amdhsa_kernarg_size 384
		.amdhsa_user_sgpr_count 2
		.amdhsa_user_sgpr_dispatch_ptr 0
		.amdhsa_user_sgpr_queue_ptr 0
		.amdhsa_user_sgpr_kernarg_segment_ptr 1
		.amdhsa_user_sgpr_dispatch_id 0
		.amdhsa_user_sgpr_kernarg_preload_length 0
		.amdhsa_user_sgpr_kernarg_preload_offset 0
		.amdhsa_user_sgpr_private_segment_size 0
		.amdhsa_wavefront_size32 1
		.amdhsa_uses_dynamic_stack 0
		.amdhsa_enable_private_segment 0
		.amdhsa_system_sgpr_workgroup_id_x 1
		.amdhsa_system_sgpr_workgroup_id_y 1
		.amdhsa_system_sgpr_workgroup_id_z 1
		.amdhsa_system_sgpr_workgroup_info 0
		.amdhsa_system_vgpr_workitem_id 0
		.amdhsa_next_free_vgpr 44
		.amdhsa_next_free_sgpr 30
		.amdhsa_named_barrier_count 0
		.amdhsa_reserve_vcc 1
		.amdhsa_float_round_mode_32 0
		.amdhsa_float_round_mode_16_64 0
		.amdhsa_float_denorm_mode_32 3
		.amdhsa_float_denorm_mode_16_64 3
		.amdhsa_fp16_overflow 0
		.amdhsa_memory_ordered 1
		.amdhsa_forward_progress 1
		.amdhsa_inst_pref_size 36
		.amdhsa_round_robin_scheduling 0
		.amdhsa_exception_fp_ieee_invalid_op 0
		.amdhsa_exception_fp_denorm_src 0
		.amdhsa_exception_fp_ieee_div_zero 0
		.amdhsa_exception_fp_ieee_overflow 0
		.amdhsa_exception_fp_ieee_underflow 0
		.amdhsa_exception_fp_ieee_inexact 0
		.amdhsa_exception_int_div_zero 0
	.end_amdhsa_kernel
	.section	.text._ZN4vllm25paged_attention_v1_kernelI14__hip_bfloat16S1_Li32ELi16ELi128ELNS_18Fp8KVCacheDataTypeE0ELb0EEEvPT_PKS3_PKT0_S9_ifPKiSB_iPKfiiiSD_SD_iiiii,"axG",@progbits,_ZN4vllm25paged_attention_v1_kernelI14__hip_bfloat16S1_Li32ELi16ELi128ELNS_18Fp8KVCacheDataTypeE0ELb0EEEvPT_PKS3_PKT0_S9_ifPKiSB_iPKfiiiSD_SD_iiiii,comdat
.Lfunc_end135:
	.size	_ZN4vllm25paged_attention_v1_kernelI14__hip_bfloat16S1_Li32ELi16ELi128ELNS_18Fp8KVCacheDataTypeE0ELb0EEEvPT_PKS3_PKT0_S9_ifPKiSB_iPKfiiiSD_SD_iiiii, .Lfunc_end135-_ZN4vllm25paged_attention_v1_kernelI14__hip_bfloat16S1_Li32ELi16ELi128ELNS_18Fp8KVCacheDataTypeE0ELb0EEEvPT_PKS3_PKT0_S9_ifPKiSB_iPKfiiiSD_SD_iiiii
                                        ; -- End function
	.set _ZN4vllm25paged_attention_v1_kernelI14__hip_bfloat16S1_Li32ELi16ELi128ELNS_18Fp8KVCacheDataTypeE0ELb0EEEvPT_PKS3_PKT0_S9_ifPKiSB_iPKfiiiSD_SD_iiiii.num_vgpr, 44
	.set _ZN4vllm25paged_attention_v1_kernelI14__hip_bfloat16S1_Li32ELi16ELi128ELNS_18Fp8KVCacheDataTypeE0ELb0EEEvPT_PKS3_PKT0_S9_ifPKiSB_iPKfiiiSD_SD_iiiii.num_agpr, 0
	.set _ZN4vllm25paged_attention_v1_kernelI14__hip_bfloat16S1_Li32ELi16ELi128ELNS_18Fp8KVCacheDataTypeE0ELb0EEEvPT_PKS3_PKT0_S9_ifPKiSB_iPKfiiiSD_SD_iiiii.numbered_sgpr, 30
	.set _ZN4vllm25paged_attention_v1_kernelI14__hip_bfloat16S1_Li32ELi16ELi128ELNS_18Fp8KVCacheDataTypeE0ELb0EEEvPT_PKS3_PKT0_S9_ifPKiSB_iPKfiiiSD_SD_iiiii.num_named_barrier, 0
	.set _ZN4vllm25paged_attention_v1_kernelI14__hip_bfloat16S1_Li32ELi16ELi128ELNS_18Fp8KVCacheDataTypeE0ELb0EEEvPT_PKS3_PKT0_S9_ifPKiSB_iPKfiiiSD_SD_iiiii.private_seg_size, 0
	.set _ZN4vllm25paged_attention_v1_kernelI14__hip_bfloat16S1_Li32ELi16ELi128ELNS_18Fp8KVCacheDataTypeE0ELb0EEEvPT_PKS3_PKT0_S9_ifPKiSB_iPKfiiiSD_SD_iiiii.uses_vcc, 1
	.set _ZN4vllm25paged_attention_v1_kernelI14__hip_bfloat16S1_Li32ELi16ELi128ELNS_18Fp8KVCacheDataTypeE0ELb0EEEvPT_PKS3_PKT0_S9_ifPKiSB_iPKfiiiSD_SD_iiiii.uses_flat_scratch, 0
	.set _ZN4vllm25paged_attention_v1_kernelI14__hip_bfloat16S1_Li32ELi16ELi128ELNS_18Fp8KVCacheDataTypeE0ELb0EEEvPT_PKS3_PKT0_S9_ifPKiSB_iPKfiiiSD_SD_iiiii.has_dyn_sized_stack, 0
	.set _ZN4vllm25paged_attention_v1_kernelI14__hip_bfloat16S1_Li32ELi16ELi128ELNS_18Fp8KVCacheDataTypeE0ELb0EEEvPT_PKS3_PKT0_S9_ifPKiSB_iPKfiiiSD_SD_iiiii.has_recursion, 0
	.set _ZN4vllm25paged_attention_v1_kernelI14__hip_bfloat16S1_Li32ELi16ELi128ELNS_18Fp8KVCacheDataTypeE0ELb0EEEvPT_PKS3_PKT0_S9_ifPKiSB_iPKfiiiSD_SD_iiiii.has_indirect_call, 0
	.section	.AMDGPU.csdata,"",@progbits
; Kernel info:
; codeLenInByte = 4556
; TotalNumSgprs: 32
; NumVgprs: 44
; ScratchSize: 0
; MemoryBound: 0
; FloatMode: 240
; IeeeMode: 1
; LDSByteSize: 96 bytes/workgroup (compile time only)
; SGPRBlocks: 0
; VGPRBlocks: 2
; NumSGPRsForWavesPerEU: 32
; NumVGPRsForWavesPerEU: 44
; NamedBarCnt: 0
; Occupancy: 16
; WaveLimiterHint : 1
; COMPUTE_PGM_RSRC2:SCRATCH_EN: 0
; COMPUTE_PGM_RSRC2:USER_SGPR: 2
; COMPUTE_PGM_RSRC2:TRAP_HANDLER: 0
; COMPUTE_PGM_RSRC2:TGID_X_EN: 1
; COMPUTE_PGM_RSRC2:TGID_Y_EN: 1
; COMPUTE_PGM_RSRC2:TGID_Z_EN: 1
; COMPUTE_PGM_RSRC2:TIDIG_COMP_CNT: 0
	.section	.text._ZN4vllm25paged_attention_v1_kernelI14__hip_bfloat16S1_Li64ELi16ELi128ELNS_18Fp8KVCacheDataTypeE0ELb0EEEvPT_PKS3_PKT0_S9_ifPKiSB_iPKfiiiSD_SD_iiiii,"axG",@progbits,_ZN4vllm25paged_attention_v1_kernelI14__hip_bfloat16S1_Li64ELi16ELi128ELNS_18Fp8KVCacheDataTypeE0ELb0EEEvPT_PKS3_PKT0_S9_ifPKiSB_iPKfiiiSD_SD_iiiii,comdat
	.protected	_ZN4vllm25paged_attention_v1_kernelI14__hip_bfloat16S1_Li64ELi16ELi128ELNS_18Fp8KVCacheDataTypeE0ELb0EEEvPT_PKS3_PKT0_S9_ifPKiSB_iPKfiiiSD_SD_iiiii ; -- Begin function _ZN4vllm25paged_attention_v1_kernelI14__hip_bfloat16S1_Li64ELi16ELi128ELNS_18Fp8KVCacheDataTypeE0ELb0EEEvPT_PKS3_PKT0_S9_ifPKiSB_iPKfiiiSD_SD_iiiii
	.globl	_ZN4vllm25paged_attention_v1_kernelI14__hip_bfloat16S1_Li64ELi16ELi128ELNS_18Fp8KVCacheDataTypeE0ELb0EEEvPT_PKS3_PKT0_S9_ifPKiSB_iPKfiiiSD_SD_iiiii
	.p2align	8
	.type	_ZN4vllm25paged_attention_v1_kernelI14__hip_bfloat16S1_Li64ELi16ELi128ELNS_18Fp8KVCacheDataTypeE0ELb0EEEvPT_PKS3_PKT0_S9_ifPKiSB_iPKfiiiSD_SD_iiiii,@function
_ZN4vllm25paged_attention_v1_kernelI14__hip_bfloat16S1_Li64ELi16ELi128ELNS_18Fp8KVCacheDataTypeE0ELb0EEEvPT_PKS3_PKT0_S9_ifPKiSB_iPKfiiiSD_SD_iiiii: ; @_ZN4vllm25paged_attention_v1_kernelI14__hip_bfloat16S1_Li64ELi16ELi128ELNS_18Fp8KVCacheDataTypeE0ELb0EEEvPT_PKS3_PKT0_S9_ifPKiSB_iPKfiiiSD_SD_iiiii
; %bb.0:
	s_load_b64 s[6:7], s[0:1], 0x20
	s_bfe_u32 s3, ttmp6, 0x4000c
	s_bfe_u32 s5, ttmp6, 0x40010
	s_and_b32 s4, ttmp7, 0xffff
	s_add_co_i32 s3, s3, 1
	s_add_co_i32 s5, s5, 1
	s_and_b32 s2, ttmp6, 15
	s_bfe_u32 s8, ttmp6, 0x40004
	s_mul_i32 s3, ttmp9, s3
	s_mul_i32 s5, s4, s5
	s_getreg_b32 s18, hwreg(HW_REG_IB_STS2, 6, 4)
	s_add_co_i32 s2, s2, s3
	s_add_co_i32 s8, s8, s5
	s_cmp_eq_u32 s18, 0
	s_clause 0x1
	s_load_b32 s19, s[0:1], 0x80
	s_load_b64 s[10:11], s[0:1], 0x30
	s_cselect_b32 s20, s4, s8
	s_cselect_b32 s8, ttmp9, s2
	s_wait_kmcnt 0x0
	s_abs_i32 s2, s6
	s_delay_alu instid0(SALU_CYCLE_1) | instskip(SKIP_1) | instid1(SALU_CYCLE_2)
	s_cvt_f32_u32 s3, s2
	s_sub_co_i32 s4, 0, s2
	v_rcp_iflag_f32_e32 v1, s3
	s_abs_i32 s5, s19
	v_nop
	s_delay_alu instid0(TRANS32_DEP_1) | instskip(SKIP_1) | instid1(SALU_CYCLE_3)
	v_readfirstlane_b32 s3, v1
	s_mul_f32 s3, s3, 0x4f7ffffe
	s_cvt_u32_f32 s3, s3
	s_delay_alu instid0(SALU_CYCLE_3) | instskip(NEXT) | instid1(SALU_CYCLE_1)
	s_mul_i32 s4, s4, s3
	s_mul_hi_u32 s4, s3, s4
	s_delay_alu instid0(SALU_CYCLE_1) | instskip(SKIP_4) | instid1(SALU_CYCLE_1)
	s_add_co_i32 s3, s3, s4
	s_xor_b32 s4, s19, s6
	s_mul_hi_u32 s3, s5, s3
	s_ashr_i32 s4, s4, 31
	s_mul_i32 s6, s3, s2
	s_sub_co_i32 s5, s5, s6
	s_add_co_i32 s6, s3, 1
	s_sub_co_i32 s9, s5, s2
	s_cmp_ge_u32 s5, s2
	s_cselect_b32 s3, s6, s3
	s_cselect_b32 s5, s9, s5
	s_add_co_i32 s6, s3, 1
	s_cmp_ge_u32 s5, s2
	s_cselect_b32 s2, s6, s3
	s_mov_b32 s3, 0
	s_xor_b32 s2, s2, s4
	s_mov_b32 s13, s3
	s_sub_co_i32 s15, s2, s4
	s_load_b64 s[4:5], s[0:1], 0x40
	s_abs_i32 s14, s15
	s_mov_b32 s23, s3
	s_cvt_f32_u32 s2, s14
	s_delay_alu instid0(SALU_CYCLE_3) | instskip(SKIP_1) | instid1(TRANS32_DEP_1)
	v_rcp_iflag_f32_e32 v1, s2
	v_nop
	v_readfirstlane_b32 s2, v1
	s_mul_f32 s2, s2, 0x4f7ffffe
	s_delay_alu instid0(SALU_CYCLE_3) | instskip(SKIP_1) | instid1(SALU_CYCLE_2)
	s_cvt_u32_f32 s6, s2
	s_sub_co_i32 s2, 0, s14
	s_mul_i32 s2, s2, s6
	s_delay_alu instid0(SALU_CYCLE_1)
	s_mul_hi_u32 s9, s6, s2
	s_abs_i32 s2, s8
	s_add_co_i32 s12, s6, s9
	s_wait_kmcnt 0x0
	s_cmp_eq_u64 s[4:5], 0
	s_cbranch_scc1 .LBB136_2
; %bb.1:
	s_ashr_i32 s9, s8, 31
	s_delay_alu instid0(SALU_CYCLE_1) | instskip(NEXT) | instid1(SALU_CYCLE_1)
	s_lshl_b64 s[16:17], s[8:9], 2
	s_add_nc_u64 s[4:5], s[4:5], s[16:17]
	s_load_b32 s23, s[4:5], 0x0
.LBB136_2:
	s_load_b32 s21, s[10:11], s20 offset:0x0 scale_offset
	s_wait_xcnt 0x0
	s_load_b96 s[4:6], s[0:1], 0x48
	v_dual_lshrrev_b32 v1, 1, v0 :: v_dual_bitop2_b32 v34, 1, v0 bitop3:0x40
	s_ashr_i32 s16, s8, 31
	s_ashr_i32 s15, s15, 31
	s_mul_u64 s[10:11], s[2:3], s[12:13]
	s_lshl_b32 s8, s8, 6
	s_mov_b32 s3, exec_lo
	v_cmpx_gt_u32_e32 16, v0
	s_cbranch_execz .LBB136_4
; %bb.3:
	s_load_b64 s[12:13], s[0:1], 0x8
	s_wait_kmcnt 0x0
	s_mul_i32 s24, s4, s20
	s_ashr_i32 s9, s8, 31
	s_ashr_i32 s25, s24, 31
	v_lshlrev_b32_e32 v4, 3, v1
	s_lshl_b64 s[24:25], s[24:25], 1
	s_delay_alu instid0(VALU_DEP_1) | instskip(SKIP_2) | instid1(SALU_CYCLE_1)
	v_lshl_add_u32 v4, v34, 6, v4
	s_add_nc_u64 s[12:13], s[12:13], s[24:25]
	s_lshl_b64 s[24:25], s[8:9], 1
	s_add_nc_u64 s[12:13], s[12:13], s[24:25]
	global_load_b64 v[2:3], v0, s[12:13] scale_offset
	s_wait_loadcnt 0x0
	ds_store_b64 v4, v[2:3]
.LBB136_4:
	s_or_b32 exec_lo, exec_lo, s3
	s_wait_kmcnt 0x0
	s_add_co_i32 s3, s21, 15
	s_load_b32 s4, s[0:1], 0x38
	s_ashr_i32 s9, s3, 31
	s_mul_i32 s12, s11, s14
	s_lshr_b32 s9, s9, 28
	s_sub_co_i32 s2, s2, s12
	s_add_co_i32 s3, s3, s9
	s_xor_b32 s10, s16, s15
	s_ashr_i32 s22, s3, 4
	s_add_co_i32 s3, s11, 1
	s_sub_co_i32 s9, s2, s14
	s_cmp_ge_u32 s2, s14
	v_lshrrev_b32_e32 v35, 5, v0
	s_cselect_b32 s3, s3, s11
	s_cselect_b32 s2, s9, s2
	s_add_co_i32 s9, s3, 1
	s_cmp_ge_u32 s2, s14
	v_mbcnt_lo_u32_b32 v10, -1, 0
	s_cselect_b32 s2, s9, s3
	s_wait_dscnt 0x0
	s_xor_b32 s2, s2, s10
	s_barrier_signal -1
	s_sub_co_i32 s3, s2, s10
	v_cmp_gt_i32_e64 s2, s22, v35
	s_wait_kmcnt 0x0
	s_mul_i32 s10, s4, s20
	s_mov_b32 s4, exec_lo
	s_ashr_i32 s11, s10, 31
	s_barrier_wait -1
                                        ; implicit-def: $vgpr3
                                        ; implicit-def: $vgpr11
	v_cmpx_le_i32_e64 s22, v35
	s_xor_b32 s4, exec_lo, s4
; %bb.5:
	v_dual_mov_b32 v3, 0 :: v_dual_mov_b32 v11, 32
	v_mbcnt_lo_u32_b32 v10, -1, 0
; %bb.6:
	s_or_saveexec_b32 s24, s4
	s_clause 0x1
	s_load_b64 s[12:13], s[0:1], 0x28
	s_load_b32 s9, s[0:1], 0x88
	v_dual_mov_b32 v2, 0xff7fffff :: v_dual_lshlrev_b32 v9, 3, v0
	v_lshrrev_b32_e32 v8, 3, v0
	s_mul_i32 s14, s3, s6
	s_xor_b32 exec_lo, exec_lo, s24
	s_cbranch_execz .LBB136_12
; %bb.7:
	v_dual_lshlrev_b32 v11, 6, v34 :: v_dual_mov_b32 v3, 0
	s_load_b64 s[26:27], s[0:1], 0x10
	v_bfe_u32 v47, v0, 1, 4
	s_ashr_i32 s15, s14, 31
	ds_load_b128 v[4:7], v11
	ds_load_b128 v[24:27], v11 offset:16
	ds_load_b128 v[36:39], v11 offset:32
	;; [unrolled: 1-line block ×3, first 2 shown]
	v_lshlrev_b32_e32 v2, 4, v47
	s_lshl_b64 s[28:29], s[14:15], 1
	s_ashr_i32 s17, s5, 31
	s_cmp_neq_f32 s23, 0
	s_mov_b32 s16, s5
	s_mov_b32 s6, 0
	v_mov_b32_e32 v11, 32
	s_cselect_b32 s3, -1, 0
	s_sub_co_i32 s15, 1, s21
	v_mov_b32_e32 v49, v35
	s_wait_kmcnt 0x0
	s_add_nc_u64 s[26:27], s[26:27], s[28:29]
	s_wait_dscnt 0x3
	v_lshlrev_b32_e32 v12, 16, v4
	v_add_nc_u64_e32 v[28:29], s[26:27], v[2:3]
	v_dual_lshlrev_b32 v16, 16, v6 :: v_dual_bitop2_b32 v2, 8, v9 bitop3:0x40
	v_and_b32_e32 v13, 0xffff0000, v4
	v_dual_lshlrev_b32 v14, 16, v5 :: v_dual_lshlrev_b32 v18, 16, v7
	v_and_b32_e32 v15, 0xffff0000, v5
	s_delay_alu instid0(VALU_DEP_4)
	v_add_nc_u64_e32 v[4:5], v[28:29], v[2:3]
	s_wait_dscnt 0x1
	v_dual_lshlrev_b32 v28, 16, v36 :: v_dual_bitop2_b32 v2, 1, v10 bitop3:0x14
	v_lshlrev_b32_e32 v30, 16, v37
	v_and_b32_e32 v29, 0xffff0000, v36
	v_and_b32_e32 v31, 0xffff0000, v37
	v_dual_lshlrev_b32 v32, 16, v38 :: v_dual_lshlrev_b32 v36, 16, v39
	v_and_b32_e32 v33, 0xffff0000, v38
	v_and_b32_e32 v37, 0xffff0000, v39
	s_wait_dscnt 0x0
	v_dual_lshlrev_b32 v38, 16, v42 :: v_dual_lshlrev_b32 v40, 16, v43
	v_and_b32_e32 v39, 0xffff0000, v42
	v_lshlrev_b32_e32 v42, 16, v44
	v_cmp_gt_i32_e32 vcc_lo, 32, v2
	v_and_b32_e32 v17, 0xffff0000, v6
	v_and_b32_e32 v41, 0xffff0000, v43
	;; [unrolled: 1-line block ×3, first 2 shown]
	v_dual_lshlrev_b32 v44, 16, v45 :: v_dual_cndmask_b32 v2, v10, v2, vcc_lo
	v_lshlrev_b32_e32 v6, 2, v47
	s_lshl_b64 s[26:27], s[10:11], 2
	v_and_b32_e32 v19, 0xffff0000, v7
	s_add_nc_u64 s[26:27], s[12:13], s[26:27]
	v_lshlrev_b32_e32 v46, 2, v2
	v_lshl_or_b32 v6, v35, 6, v6
	v_and_b32_e32 v2, 0x7c, v8
	v_dual_lshlrev_b32 v20, 16, v24 :: v_dual_lshlrev_b32 v22, 16, v25
	v_and_b32_e32 v21, 0xffff0000, v24
	s_delay_alu instid0(VALU_DEP_4) | instskip(NEXT) | instid1(VALU_DEP_4)
	v_add_nc_u32_e32 v48, 0xa0, v6
	v_add_nc_u64_e32 v[6:7], s[26:27], v[2:3]
	v_and_b32_e32 v23, 0xffff0000, v25
	v_lshlrev_b32_e32 v24, 16, v26
	v_and_b32_e32 v25, 0xffff0000, v26
	v_lshlrev_b32_e32 v26, 16, v27
	v_and_b32_e32 v27, 0xffff0000, v27
	v_and_b32_e32 v45, 0xffff0000, v45
	v_lshl_or_b32 v47, v35, 4, v47
	v_mov_b32_e32 v2, 0xff7fffff
	v_cmp_eq_u32_e32 vcc_lo, 0, v34
	s_branch .LBB136_9
.LBB136_8:                              ;   in Loop: Header=BB136_9 Depth=1
	s_or_b32 exec_lo, exec_lo, s25
	v_dual_add_nc_u32 v49, 4, v49 :: v_dual_add_nc_u32 v47, 64, v47
	v_add_nc_u64_e32 v[6:7], 16, v[6:7]
	v_add_nc_u32_e32 v48, 0x100, v48
	s_delay_alu instid0(VALU_DEP_3) | instskip(SKIP_1) | instid1(SALU_CYCLE_1)
	v_cmp_le_i32_e64 s4, s22, v49
	s_or_b32 s6, s4, s6
	s_and_not1_b32 exec_lo, exec_lo, s6
	s_cbranch_execz .LBB136_11
.LBB136_9:                              ; =>This Inner Loop Header: Depth=1
	global_load_b32 v50, v[6:7], off
	s_wait_loadcnt_dscnt 0x0
	v_ashrrev_i32_e32 v51, 31, v50
	s_delay_alu instid0(VALU_DEP_1) | instskip(NEXT) | instid1(VALU_DEP_1)
	v_mul_u64_e32 v[50:51], s[16:17], v[50:51]
	v_lshl_add_u64 v[50:51], v[50:51], 1, v[4:5]
	s_clause 0x7
	global_load_b64 v[52:53], v[50:51], off offset:256
	global_load_b64 v[54:55], v[50:51], off
	global_load_b64 v[56:57], v[50:51], off offset:512
	global_load_b64 v[58:59], v[50:51], off offset:768
	;; [unrolled: 1-line block ×6, first 2 shown]
	s_wait_loadcnt 0x7
	v_lshlrev_b32_e32 v66, 16, v52
	v_and_b32_e32 v52, 0xffff0000, v52
	v_lshlrev_b32_e32 v67, 16, v53
	v_and_b32_e32 v53, 0xffff0000, v53
	s_delay_alu instid0(VALU_DEP_3) | instskip(NEXT) | instid1(VALU_DEP_2)
	v_dual_mul_f32 v66, v16, v66 :: v_dual_mul_f32 v52, v17, v52
	v_dual_mul_f32 v67, v18, v67 :: v_dual_mul_f32 v53, v19, v53
	s_wait_loadcnt 0x6
	s_delay_alu instid0(VALU_DEP_2) | instskip(NEXT) | instid1(VALU_DEP_3)
	v_fma_mix_f32_bf16 v66, v12, v54, v66 op_sel_hi:[0,1,0]
	v_fma_mix_f32_bf16 v52, v13, v54, v52 op_sel:[0,1,0] op_sel_hi:[0,1,0]
	s_delay_alu instid0(VALU_DEP_3)
	v_fma_mix_f32_bf16 v54, v14, v55, v67 op_sel_hi:[0,1,0]
	v_fma_mix_f32_bf16 v53, v15, v55, v53 op_sel:[0,1,0] op_sel_hi:[0,1,0]
	s_wait_loadcnt 0x5
	v_fma_mix_f32_bf16 v66, v20, v56, v66 op_sel_hi:[0,1,0]
	v_fma_mix_f32_bf16 v52, v21, v56, v52 op_sel:[0,1,0] op_sel_hi:[0,1,0]
	v_fma_mix_f32_bf16 v54, v22, v57, v54 op_sel_hi:[0,1,0]
	v_fma_mix_f32_bf16 v53, v23, v57, v53 op_sel:[0,1,0] op_sel_hi:[0,1,0]
	s_wait_loadcnt 0x4
	v_fma_mix_f32_bf16 v55, v24, v58, v66 op_sel_hi:[0,1,0]
	v_fma_mix_f32_bf16 v52, v25, v58, v52 op_sel:[0,1,0] op_sel_hi:[0,1,0]
	;; [unrolled: 5-line block ×5, first 2 shown]
	v_fma_mix_f32_bf16 v54, v40, v65, v54 op_sel_hi:[0,1,0]
	s_wait_loadcnt 0x0
	s_delay_alu instid0(VALU_DEP_3) | instskip(SKIP_4) | instid1(VALU_DEP_3)
	v_fma_mix_f32_bf16 v55, v42, v50, v55 op_sel_hi:[0,1,0]
	s_wait_xcnt 0x0
	v_fma_mix_f32_bf16 v50, v43, v50, v52 op_sel:[0,1,0] op_sel_hi:[0,1,0]
	v_fma_mix_f32_bf16 v52, v41, v65, v53 op_sel:[0,1,0] op_sel_hi:[0,1,0]
	v_fma_mix_f32_bf16 v53, v44, v51, v54 op_sel_hi:[0,1,0]
	v_add_f32_e32 v50, v55, v50
	s_delay_alu instid0(VALU_DEP_3) | instskip(NEXT) | instid1(VALU_DEP_2)
	v_fma_mix_f32_bf16 v51, v45, v51, v52 op_sel:[0,1,0] op_sel_hi:[0,1,0]
	v_add_f32_e32 v50, v50, v53
	s_delay_alu instid0(VALU_DEP_1)
	v_add_f32_e32 v50, v51, v50
	ds_bpermute_b32 v51, v46, v50
	s_and_saveexec_b32 s25, vcc_lo
	s_cbranch_execz .LBB136_8
; %bb.10:                               ;   in Loop: Header=BB136_9 Depth=1
	s_wait_dscnt 0x0
	v_add_f32_e32 v50, v50, v51
	v_add_nc_u32_e32 v52, s15, v47
	v_cmp_gt_i32_e64 s4, s21, v47
	s_delay_alu instid0(VALU_DEP_2) | instskip(NEXT) | instid1(VALU_DEP_1)
	v_cvt_f32_i32_e32 v52, v52
	v_mul_f32_e32 v52, s23, v52
	s_delay_alu instid0(VALU_DEP_1) | instskip(NEXT) | instid1(VALU_DEP_1)
	v_dual_cndmask_b32 v51, 0, v52, s3 :: v_dual_max_num_f32 v52, v2, v2
	v_fmac_f32_e32 v51, s7, v50
	s_delay_alu instid0(VALU_DEP_1) | instskip(NEXT) | instid1(VALU_DEP_1)
	v_dual_max_num_f32 v50, v52, v51 :: v_dual_cndmask_b32 v51, 0, v51, s4
	v_cndmask_b32_e64 v2, v2, v50, s4
	ds_store_b32 v48, v51
	s_branch .LBB136_8
.LBB136_11:
	s_or_b32 exec_lo, exec_lo, s6
.LBB136_12:
	s_delay_alu instid0(SALU_CYCLE_1)
	s_or_b32 exec_lo, exec_lo, s24
	v_xor_b32_e32 v4, 16, v10
	s_clause 0x1
	s_load_b64 s[6:7], s[0:1], 0x0
	s_load_b64 s[16:17], s[0:1], 0x18
	v_and_b32_e32 v36, 31, v0
	v_xor_b32_e32 v6, 8, v10
	v_cmp_lt_i32_e32 vcc_lo, v4, v11
	v_cndmask_b32_e32 v4, v10, v4, vcc_lo
	s_delay_alu instid0(VALU_DEP_3) | instskip(NEXT) | instid1(VALU_DEP_2)
	v_cmp_lt_i32_e32 vcc_lo, v6, v11
	v_lshlrev_b32_e32 v4, 2, v4
	ds_bpermute_b32 v5, v4, v2
	s_wait_dscnt 0x0
	v_dual_max_num_f32 v2, v2, v2 :: v_dual_max_num_f32 v7, v5, v5
	s_delay_alu instid0(VALU_DEP_1) | instskip(SKIP_1) | instid1(VALU_DEP_2)
	v_dual_max_num_f32 v2, v2, v7 :: v_dual_bitop2_b32 v7, 4, v10 bitop3:0x14
	v_cndmask_b32_e32 v6, v10, v6, vcc_lo
	v_cmp_lt_i32_e32 vcc_lo, v7, v11
	s_delay_alu instid0(VALU_DEP_2) | instskip(SKIP_3) | instid1(VALU_DEP_1)
	v_dual_cndmask_b32 v7, v10, v7, vcc_lo :: v_dual_lshlrev_b32 v5, 2, v6
	ds_bpermute_b32 v6, v5, v2
	s_wait_dscnt 0x0
	v_dual_max_num_f32 v12, v6, v6 :: v_dual_lshlrev_b32 v6, 2, v7
	v_max_num_f32_e32 v2, v2, v12
	ds_bpermute_b32 v7, v6, v2
	s_wait_dscnt 0x0
	v_dual_max_num_f32 v7, v7, v7 :: v_dual_bitop2_b32 v12, 2, v10 bitop3:0x14
	s_delay_alu instid0(VALU_DEP_1) | instskip(SKIP_1) | instid1(VALU_DEP_3)
	v_cmp_lt_i32_e32 vcc_lo, v12, v11
	v_cndmask_b32_e32 v13, v10, v12, vcc_lo
	v_max_num_f32_e32 v12, v2, v7
	v_lshlrev_b32_e32 v7, 2, v35
	v_cmp_eq_u32_e32 vcc_lo, 0, v36
	s_delay_alu instid0(VALU_DEP_4)
	v_lshlrev_b32_e32 v2, 2, v13
	ds_bpermute_b32 v13, v2, v12
	s_wait_xcnt 0x0
	s_and_saveexec_b32 s0, vcc_lo
	s_cbranch_execz .LBB136_14
; %bb.13:
	s_wait_dscnt 0x0
	v_dual_max_num_f32 v13, v13, v13 :: v_dual_max_num_f32 v12, v12, v12
	s_delay_alu instid0(VALU_DEP_1)
	v_max_num_f32_e32 v12, v12, v13
	ds_store_b32 v7, v12 offset:128
.LBB136_14:
	s_or_b32 exec_lo, exec_lo, s0
	v_cmp_gt_u32_e64 s0, 4, v36
	s_wait_dscnt 0x0
	v_dual_mov_b32 v13, 0xff7fffff :: v_dual_lshlrev_b32 v12, 2, v36
	s_barrier_signal -1
	s_barrier_wait -1
	s_and_saveexec_b32 s1, s0
; %bb.15:
	ds_load_b32 v13, v12 offset:128
; %bb.16:
	s_or_b32 exec_lo, exec_lo, s1
	s_wait_dscnt 0x0
	ds_bpermute_b32 v14, v2, v13
	v_dual_max_num_f32 v13, v13, v13 :: v_dual_bitop2_b32 v15, 1, v10 bitop3:0x14
	v_lshlrev_b32_e32 v3, 2, v3
	s_delay_alu instid0(VALU_DEP_2) | instskip(NEXT) | instid1(VALU_DEP_1)
	v_cmp_lt_i32_e64 s1, v15, v11
	v_cndmask_b32_e64 v11, v10, v15, s1
	s_lshl_b32 s1, s22, 4
	s_delay_alu instid0(SALU_CYCLE_1) | instskip(NEXT) | instid1(VALU_DEP_1)
	s_min_i32 s4, s1, s21
	v_lshlrev_b32_e32 v37, 2, v11
	v_cmp_gt_i32_e64 s1, s4, v0
	s_wait_dscnt 0x0
	v_max_num_f32_e32 v14, v14, v14
	s_delay_alu instid0(VALU_DEP_1) | instskip(SKIP_3) | instid1(VALU_DEP_1)
	v_max_num_f32_e32 v11, v13, v14
	ds_bpermute_b32 v13, v37, v11
	s_wait_dscnt 0x0
	v_max_num_f32_e32 v13, v13, v13
	v_max_num_f32_e32 v11, v11, v13
	ds_bpermute_b32 v11, v3, v11
	v_mov_b32_e32 v3, 0
	s_and_saveexec_b32 s15, s1
	s_cbranch_execz .LBB136_20
; %bb.17:
	v_lshl_add_u32 v13, v0, 2, 0xa0
	v_dual_mov_b32 v3, 0 :: v_dual_mov_b32 v14, v0
	s_mov_b32 s23, 0
.LBB136_18:                             ; =>This Inner Loop Header: Depth=1
	ds_load_b32 v15, v13
	v_add_nc_u32_e32 v14, 0x80, v14
	s_delay_alu instid0(VALU_DEP_1) | instskip(SKIP_3) | instid1(VALU_DEP_1)
	v_cmp_le_i32_e64 s3, s4, v14
	s_or_b32 s23, s3, s23
	s_wait_dscnt 0x0
	v_sub_f32_e32 v15, v15, v11
	v_mul_f32_e32 v15, 0x3fb8aa3b, v15
	s_delay_alu instid0(VALU_DEP_1)
	v_exp_f32_e32 v15, v15
	ds_store_b32 v13, v15
	v_nop
	v_add_f32_e32 v3, v3, v15
	v_add_nc_u32_e32 v13, 0x200, v13
	s_and_not1_b32 exec_lo, exec_lo, s23
	s_cbranch_execnz .LBB136_18
; %bb.19:
	s_or_b32 exec_lo, exec_lo, s23
.LBB136_20:
	s_delay_alu instid0(SALU_CYCLE_1)
	s_or_b32 exec_lo, exec_lo, s15
	ds_bpermute_b32 v4, v4, v3
	s_wait_dscnt 0x0
	v_add_f32_e32 v3, v3, v4
	ds_bpermute_b32 v4, v5, v3
	s_wait_dscnt 0x0
	v_add_f32_e32 v3, v3, v4
	;; [unrolled: 3-line block ×5, first 2 shown]
	s_and_saveexec_b32 s3, vcc_lo
; %bb.21:
	ds_store_b32 v7, v3 offset:144
; %bb.22:
	s_or_b32 exec_lo, exec_lo, s3
	s_wait_dscnt 0x0
	s_barrier_signal -1
	s_barrier_wait -1
	s_and_saveexec_b32 s3, s0
; %bb.23:
	ds_load_b32 v3, v12 offset:144
; %bb.24:
	s_or_b32 exec_lo, exec_lo, s3
	s_wait_dscnt 0x0
	ds_bpermute_b32 v2, v2, v3
	s_wait_dscnt 0x0
	v_add_f32_e32 v2, v3, v2
	ds_bpermute_b32 v3, v37, v2
	s_wait_dscnt 0x0
	v_dual_lshlrev_b32 v4, 2, v10 :: v_dual_add_f32 v2, v2, v3
	s_delay_alu instid0(VALU_DEP_1)
	v_and_b32_e32 v3, 0xffffff80, v4
	ds_bpermute_b32 v2, v3, v2
	s_and_saveexec_b32 s0, s1
	s_cbranch_execz .LBB136_37
; %bb.25:
	s_wait_dscnt 0x0
	v_add_f32_e32 v2, 0x358637bd, v2
	s_mov_b32 s3, -1
	s_mov_b32 s1, exec_lo
	s_delay_alu instid0(VALU_DEP_1) | instskip(NEXT) | instid1(VALU_DEP_1)
	v_div_scale_f32 v3, null, v2, v2, 1.0
	v_rcp_f32_e32 v5, v3
	v_nop
	s_delay_alu instid0(TRANS32_DEP_1) | instskip(NEXT) | instid1(VALU_DEP_1)
	v_fma_f32 v4, -v3, v5, 1.0
	v_fmac_f32_e32 v5, v4, v5
	v_div_scale_f32 v6, vcc_lo, 1.0, v2, 1.0
	s_delay_alu instid0(VALU_DEP_1) | instskip(NEXT) | instid1(VALU_DEP_1)
	v_mul_f32_e32 v7, v6, v5
	v_fma_f32 v4, -v3, v7, v6
	s_delay_alu instid0(VALU_DEP_1) | instskip(SKIP_1) | instid1(VALU_DEP_2)
	v_fmac_f32_e32 v7, v4, v5
	v_xad_u32 v4, v0, -1, s4
	v_fma_f32 v3, -v3, v7, v6
	s_delay_alu instid0(VALU_DEP_1) | instskip(NEXT) | instid1(VALU_DEP_1)
	v_div_fmas_f32 v3, v3, v5, v7
	v_div_fixup_f32 v2, v3, v2, 1.0
	v_mov_b32_e32 v3, v0
	v_cmpx_lt_u32_e32 0x7f, v4
	s_cbranch_execz .LBB136_34
; %bb.26:
	s_delay_alu instid0(VALU_DEP_3) | instskip(NEXT) | instid1(VALU_DEP_1)
	v_dual_mov_b32 v3, v2 :: v_dual_lshrrev_b32 v4, 7, v4
	v_dual_mov_b32 v10, 0 :: v_dual_add_nc_u32 v5, -1, v4
	s_delay_alu instid0(VALU_DEP_1) | instskip(SKIP_1) | instid1(VALU_DEP_2)
	v_lshrrev_b32_e32 v6, 1, v5
	v_cmp_lt_u32_e32 vcc_lo, 13, v5
	v_add_nc_u32_e32 v5, 1, v6
	s_and_saveexec_b32 s3, vcc_lo
	s_cbranch_execz .LBB136_30
; %bb.27:
	s_delay_alu instid0(VALU_DEP_1)
	v_and_b32_e32 v6, -8, v5
	v_lshl_add_u32 v7, v0, 2, 0xa0
	s_mov_b32 s15, 0
	s_mov_b32 s23, 0
.LBB136_28:                             ; =>This Inner Loop Header: Depth=1
	ds_load_2addr_stride64_b32 v[10:11], v7 offset1:2
	ds_load_2addr_stride64_b32 v[12:13], v7 offset0:4 offset1:6
	ds_load_2addr_stride64_b32 v[14:15], v7 offset0:8 offset1:10
	ds_load_2addr_stride64_b32 v[16:17], v7 offset0:12 offset1:14
	ds_load_2addr_stride64_b32 v[18:19], v7 offset0:16 offset1:18
	ds_load_2addr_stride64_b32 v[20:21], v7 offset0:20 offset1:22
	ds_load_2addr_stride64_b32 v[22:23], v7 offset0:24 offset1:26
	ds_load_2addr_stride64_b32 v[24:25], v7 offset0:28 offset1:30
	s_add_co_i32 s23, s23, 16
	v_add_nc_u32_e32 v6, -8, v6
	s_wait_dscnt 0x7
	v_pk_mul_f32 v[10:11], v[2:3], v[10:11]
	s_wait_dscnt 0x6
	v_pk_mul_f32 v[12:13], v[2:3], v[12:13]
	s_wait_dscnt 0x5
	v_pk_mul_f32 v[14:15], v[2:3], v[14:15]
	s_wait_dscnt 0x4
	v_pk_mul_f32 v[16:17], v[2:3], v[16:17]
	s_wait_dscnt 0x3
	v_pk_mul_f32 v[18:19], v[2:3], v[18:19]
	s_wait_dscnt 0x2
	v_pk_mul_f32 v[20:21], v[2:3], v[20:21]
	s_wait_dscnt 0x1
	v_pk_mul_f32 v[22:23], v[2:3], v[22:23]
	s_wait_dscnt 0x0
	v_pk_mul_f32 v[24:25], v[2:3], v[24:25]
	ds_store_2addr_stride64_b32 v7, v10, v11 offset1:2
	ds_store_2addr_stride64_b32 v7, v12, v13 offset0:4 offset1:6
	ds_store_2addr_stride64_b32 v7, v14, v15 offset0:8 offset1:10
	;; [unrolled: 1-line block ×7, first 2 shown]
	v_mov_b32_e32 v10, s23
	v_cmp_eq_u32_e32 vcc_lo, 0, v6
	v_add_nc_u32_e32 v7, 0x2000, v7
	s_or_b32 s15, vcc_lo, s15
	s_delay_alu instid0(SALU_CYCLE_1)
	s_and_not1_b32 exec_lo, exec_lo, s15
	s_cbranch_execnz .LBB136_28
; %bb.29:
	s_or_b32 exec_lo, exec_lo, s15
.LBB136_30:
	s_delay_alu instid0(SALU_CYCLE_1) | instskip(NEXT) | instid1(VALU_DEP_1)
	s_or_b32 exec_lo, exec_lo, s3
	v_and_b32_e32 v5, 7, v5
	s_mov_b32 s15, 0
	s_mov_b32 s3, exec_lo
	s_delay_alu instid0(VALU_DEP_1)
	v_cmpx_ne_u32_e32 0, v5
	s_cbranch_execz .LBB136_33
; %bb.31:
	v_dual_lshlrev_b32 v6, 9, v10 :: v_dual_lshlrev_b32 v7, 2, v0
	s_delay_alu instid0(VALU_DEP_1)
	v_add3_u32 v6, v6, v7, 0xa0
.LBB136_32:                             ; =>This Inner Loop Header: Depth=1
	ds_load_2addr_stride64_b32 v[10:11], v6 offset1:2
	v_add_nc_u32_e32 v5, -1, v5
	s_delay_alu instid0(VALU_DEP_1)
	v_cmp_eq_u32_e32 vcc_lo, 0, v5
	s_or_b32 s15, vcc_lo, s15
	s_wait_dscnt 0x0
	v_pk_mul_f32 v[10:11], v[2:3], v[10:11]
	ds_store_2addr_stride64_b32 v6, v10, v11 offset1:2
	v_add_nc_u32_e32 v6, 0x400, v6
	s_and_not1_b32 exec_lo, exec_lo, s15
	s_cbranch_execnz .LBB136_32
.LBB136_33:
	s_or_b32 exec_lo, exec_lo, s3
	v_add_nc_u32_e32 v3, 1, v4
	s_delay_alu instid0(VALU_DEP_1) | instskip(NEXT) | instid1(VALU_DEP_1)
	v_and_b32_e32 v4, 0x3fffffe, v3
	v_cmp_ne_u32_e32 vcc_lo, v3, v4
	v_lshl_add_u32 v3, v4, 7, v0
	s_or_not1_b32 s3, vcc_lo, exec_lo
.LBB136_34:
	s_or_b32 exec_lo, exec_lo, s1
	s_delay_alu instid0(SALU_CYCLE_1)
	s_and_b32 exec_lo, exec_lo, s3
	s_cbranch_execz .LBB136_37
; %bb.35:
	v_lshl_add_u32 v4, v3, 2, 0xa0
	s_mov_b32 s1, 0
.LBB136_36:                             ; =>This Inner Loop Header: Depth=1
	ds_load_b32 v5, v4
	v_add_nc_u32_e32 v3, 0x80, v3
	s_delay_alu instid0(VALU_DEP_1)
	v_cmp_le_i32_e32 vcc_lo, s4, v3
	s_or_b32 s1, vcc_lo, s1
	s_wait_dscnt 0x0
	v_mul_f32_e32 v5, v2, v5
	ds_store_b32 v4, v5
	v_add_nc_u32_e32 v4, 0x200, v4
	s_and_not1_b32 exec_lo, exec_lo, s1
	s_cbranch_execnz .LBB136_36
.LBB136_37:
	s_or_b32 exec_lo, exec_lo, s0
	v_mov_b32_e32 v27, 0
	s_wait_dscnt 0x0
	s_barrier_signal -1
	s_barrier_wait -1
	s_delay_alu instid0(VALU_DEP_1)
	v_dual_mov_b32 v26, v27 :: v_dual_mov_b32 v29, v27
	v_mov_b32_e32 v28, v27
	s_and_saveexec_b32 s1, s2
	s_cbranch_execz .LBB136_49
; %bb.38:
	v_dual_lshlrev_b32 v2, 4, v0 :: v_dual_bitop2_b32 v3, 8, v9 bitop3:0x40
	s_ashr_i32 s15, s14, 31
	v_dual_mov_b32 v27, 0 :: v_dual_lshlrev_b32 v4, 5, v34
	s_delay_alu instid0(VALU_DEP_2)
	v_and_b32_e32 v26, 0x1f0, v2
	s_lshl_b64 s[14:15], s[14:15], 1
	s_ashr_i32 s3, s5, 31
	s_wait_kmcnt 0x0
	s_add_nc_u64 s[14:15], s[16:17], s[14:15]
	s_mov_b32 s2, s5
	v_add_nc_u64_e32 v[30:31], s[14:15], v[26:27]
	v_and_b32_e32 v26, 0x7c, v8
	s_lshl_b64 s[4:5], s[10:11], 2
	v_lshl_or_b32 v2, v35, 6, v4
	s_add_nc_u64 s[4:5], s[12:13], s[4:5]
	v_lshl_or_b32 v38, v35, 4, v3
	v_add_nc_u64_e32 v[32:33], s[4:5], v[26:27]
	s_delay_alu instid0(VALU_DEP_3)
	v_dual_mov_b32 v26, v27 :: v_dual_add_nc_u32 v39, 0xa0, v2
	v_dual_mov_b32 v29, v27 :: v_dual_mov_b32 v28, v27
	v_mov_b32_e32 v40, v35
	s_add_co_i32 s4, s22, -1
	s_mov_b32 s10, s21
	s_mov_b32 s5, 0
	s_branch .LBB136_40
.LBB136_39:                             ;   in Loop: Header=BB136_40 Depth=1
	s_or_b32 exec_lo, exec_lo, s0
	s_wait_dscnt 0x1
	v_cvt_pk_bf16_f32 v10, v10, v11
	v_cvt_pk_bf16_f32 v11, v12, v13
	s_wait_dscnt 0x0
	v_cvt_pk_bf16_f32 v6, v6, v7
	v_cvt_pk_bf16_f32 v8, v8, v9
	v_add_nc_u64_e32 v[32:33], 16, v[32:33]
	s_wait_loadcnt 0x1
	v_pk_mul_bf16 v7, v10, v22
	v_pk_mul_bf16 v12, v11, v23
	v_pk_mul_bf16 v9, v6, v24
	v_pk_mul_bf16 v23, v8, v25
	v_pk_mul_bf16 v2, v10, v2
	s_delay_alu instid0(VALU_DEP_4)
	v_dual_lshlrev_b32 v13, 16, v7 :: v_dual_lshlrev_b32 v22, 16, v12
	v_and_b32_e32 v7, 0xffff0000, v7
	v_and_b32_e32 v12, 0xffff0000, v12
	v_lshlrev_b32_e32 v24, 16, v9
	v_and_b32_e32 v9, 0xffff0000, v9
	v_pk_mul_bf16 v3, v11, v3
	s_delay_alu instid0(VALU_DEP_4) | instskip(SKIP_3) | instid1(VALU_DEP_3)
	v_dual_add_f32 v7, v13, v7 :: v_dual_add_f32 v12, v22, v12
	v_pk_mul_bf16 v13, v10, v14
	v_pk_mul_bf16 v14, v11, v15
	v_dual_lshlrev_b32 v15, 16, v23 :: v_dual_add_f32 v9, v24, v9
	v_dual_add_f32 v7, v12, v7 :: v_dual_lshlrev_b32 v22, 16, v13
	v_and_b32_e32 v12, 0xffff0000, v23
	v_and_b32_e32 v13, 0xffff0000, v13
	s_delay_alu instid0(VALU_DEP_3) | instskip(SKIP_2) | instid1(VALU_DEP_4)
	v_dual_add_f32 v24, v9, v7 :: v_dual_lshlrev_b32 v23, 16, v14
	v_and_b32_e32 v7, 0xffff0000, v14
	v_pk_mul_bf16 v9, v6, v16
	v_dual_add_f32 v12, v15, v12 :: v_dual_add_f32 v13, v22, v13
	s_delay_alu instid0(VALU_DEP_3) | instskip(NEXT) | instid1(VALU_DEP_3)
	v_dual_lshlrev_b32 v15, 16, v2 :: v_dual_add_f32 v7, v23, v7
	v_lshlrev_b32_e32 v14, 16, v9
	v_and_b32_e32 v9, 0xffff0000, v9
	v_and_b32_e32 v2, 0xffff0000, v2
	s_delay_alu instid0(VALU_DEP_4) | instskip(SKIP_2) | instid1(VALU_DEP_4)
	v_dual_add_f32 v13, v7, v13 :: v_dual_lshlrev_b32 v16, 16, v3
	v_and_b32_e32 v3, 0xffff0000, v3
	v_pk_mul_bf16 v17, v8, v17
	v_dual_add_f32 v14, v14, v9 :: v_dual_add_f32 v2, v15, v2
	v_pk_mul_bf16 v4, v6, v4
	s_delay_alu instid0(VALU_DEP_3) | instskip(SKIP_2) | instid1(VALU_DEP_3)
	v_dual_add_f32 v3, v16, v3 :: v_dual_lshlrev_b32 v15, 16, v17
	v_and_b32_e32 v16, 0xffff0000, v17
	v_pk_mul_bf16 v17, v8, v5
	v_dual_add_f32 v22, v3, v2 :: v_dual_lshlrev_b32 v23, 16, v4
	s_wait_loadcnt 0x0
	v_pk_mul_bf16 v2, v10, v18
	v_and_b32_e32 v10, 0xffff0000, v4
	v_pk_mul_bf16 v4, v11, v19
	v_pk_mul_bf16 v6, v6, v20
	;; [unrolled: 1-line block ×3, first 2 shown]
	v_and_b32_e32 v3, 0xffff0000, v2
	v_lshlrev_b32_e32 v5, 16, v2
	v_and_b32_e32 v2, 0xffff0000, v4
	v_lshlrev_b32_e32 v4, 16, v4
	;; [unrolled: 2-line block ×4, first 2 shown]
	v_pk_add_f32 v[2:3], v[4:5], v[2:3]
	v_dual_add_f32 v10, v23, v10 :: v_dual_lshlrev_b32 v11, 16, v17
	v_and_b32_e32 v17, 0xffff0000, v17
	s_delay_alu instid0(VALU_DEP_4) | instskip(NEXT) | instid1(VALU_DEP_4)
	v_pk_add_f32 v[4:5], v[8:9], v[6:7]
	v_dual_add_f32 v2, v2, v3 :: v_dual_add_f32 v6, v15, v16
	v_add_f32_e32 v3, v14, v13
	s_delay_alu instid0(VALU_DEP_4) | instskip(NEXT) | instid1(VALU_DEP_3)
	v_dual_add_f32 v7, v10, v22 :: v_dual_add_f32 v8, v11, v17
	v_dual_add_f32 v2, v5, v2 :: v_dual_add_f32 v5, v12, v24
	s_delay_alu instid0(VALU_DEP_3) | instskip(NEXT) | instid1(VALU_DEP_3)
	v_dual_add_f32 v3, v6, v3 :: v_dual_add_nc_u32 v40, 4, v40
	v_add_f32_e32 v6, v8, v7
	s_delay_alu instid0(VALU_DEP_3) | instskip(NEXT) | instid1(VALU_DEP_3)
	v_dual_add_f32 v2, v4, v2 :: v_dual_add_f32 v26, v26, v5
	v_add_f32_e32 v29, v29, v3
	s_delay_alu instid0(VALU_DEP_4) | instskip(NEXT) | instid1(VALU_DEP_4)
	v_cmp_le_i32_e32 vcc_lo, s22, v40
	v_add_f32_e32 v28, v28, v6
	s_delay_alu instid0(VALU_DEP_4) | instskip(SKIP_3) | instid1(SALU_CYCLE_1)
	v_add_f32_e32 v27, v27, v2
	v_add_nc_u32_e32 v38, 64, v38
	v_add_nc_u32_e32 v39, 0x100, v39
	s_or_b32 s5, vcc_lo, s5
	s_and_not1_b32 exec_lo, exec_lo, s5
	s_cbranch_execz .LBB136_48
.LBB136_40:                             ; =>This Inner Loop Header: Depth=1
	global_load_b32 v2, v[32:33], off
	v_cmp_eq_u32_e32 vcc_lo, s4, v40
	v_dual_add_nc_u32 v46, 1, v38 :: v_dual_bitop2_b32 v45, 3, v38 bitop3:0x54
	v_or_b32_e32 v47, 2, v38
	v_or_b32_e32 v42, 5, v38
	;; [unrolled: 1-line block ×5, first 2 shown]
	s_wait_loadcnt 0x0
	v_ashrrev_i32_e32 v3, 31, v2
	s_delay_alu instid0(VALU_DEP_1) | instskip(NEXT) | instid1(VALU_DEP_1)
	v_mul_u64_e32 v[2:3], s[2:3], v[2:3]
	v_lshl_add_u64 v[18:19], v[2:3], 1, v[30:31]
	global_load_b128 v[2:5], v[18:19], off
	ds_load_2addr_b64 v[10:13], v39 offset1:1
	ds_load_2addr_b64 v[6:9], v39 offset0:2 offset1:3
	s_wait_xcnt 0x0
	s_and_saveexec_b32 s11, vcc_lo
	s_cbranch_execnz .LBB136_44
; %bb.41:                               ;   in Loop: Header=BB136_40 Depth=1
	s_or_b32 exec_lo, exec_lo, s11
	global_load_b128 v[14:17], v[18:19], off offset:512
	s_wait_xcnt 0x0
	s_and_saveexec_b32 s11, vcc_lo
	s_cbranch_execnz .LBB136_45
.LBB136_42:                             ;   in Loop: Header=BB136_40 Depth=1
	s_or_b32 exec_lo, exec_lo, s11
	global_load_b128 v[22:25], v[18:19], off offset:1024
	s_wait_xcnt 0x0
	s_and_saveexec_b32 s11, vcc_lo
	s_cbranch_execnz .LBB136_46
.LBB136_43:                             ;   in Loop: Header=BB136_40 Depth=1
	s_or_b32 exec_lo, exec_lo, s11
	global_load_b128 v[18:21], v[18:19], off offset:1536
	s_wait_xcnt 0x0
	s_and_saveexec_b32 s0, vcc_lo
	s_cbranch_execz .LBB136_39
	s_branch .LBB136_47
.LBB136_44:                             ;   in Loop: Header=BB136_40 Depth=1
	v_cmp_gt_i32_e64 s0, s21, v38
	s_wait_loadcnt 0x0
	v_dual_lshrrev_b32 v14, 16, v2 :: v_dual_lshrrev_b32 v16, 16, v4
	s_delay_alu instid0(VALU_DEP_2) | instskip(SKIP_1) | instid1(VALU_DEP_1)
	v_cndmask_b32_e64 v2, 0, v2, s0
	v_cmp_gt_i32_e64 s0, s10, v46
	v_dual_lshrrev_b32 v15, 16, v3 :: v_dual_cndmask_b32 v14, 0, v14, s0
	v_cmp_gt_i32_e64 s0, s21, v47
	s_delay_alu instid0(VALU_DEP_2) | instskip(NEXT) | instid1(VALU_DEP_2)
	v_perm_b32 v2, v14, v2, 0x5040100
	v_cndmask_b32_e64 v3, 0, v3, s0
	v_cmp_gt_i32_e64 s0, s10, v45
	s_delay_alu instid0(VALU_DEP_1) | instskip(SKIP_1) | instid1(VALU_DEP_1)
	v_cndmask_b32_e64 v15, 0, v15, s0
	v_cmp_gt_i32_e64 s0, s21, v44
	v_cndmask_b32_e64 v4, 0, v4, s0
	v_cmp_gt_i32_e64 s0, s10, v42
	v_lshrrev_b32_e32 v17, 16, v5
	v_perm_b32 v3, v15, v3, 0x5040100
	s_delay_alu instid0(VALU_DEP_3) | instskip(SKIP_1) | instid1(VALU_DEP_2)
	v_cndmask_b32_e64 v16, 0, v16, s0
	v_cmp_gt_i32_e64 s0, s21, v43
	v_perm_b32 v4, v16, v4, 0x5040100
	s_delay_alu instid0(VALU_DEP_2) | instskip(SKIP_1) | instid1(VALU_DEP_1)
	v_cndmask_b32_e64 v5, 0, v5, s0
	v_cmp_gt_i32_e64 s0, s10, v41
	v_cndmask_b32_e64 v17, 0, v17, s0
	s_delay_alu instid0(VALU_DEP_1)
	v_perm_b32 v5, v17, v5, 0x5040100
	s_or_b32 exec_lo, exec_lo, s11
	global_load_b128 v[14:17], v[18:19], off offset:512
	s_wait_xcnt 0x0
	s_and_saveexec_b32 s11, vcc_lo
	s_cbranch_execz .LBB136_42
.LBB136_45:                             ;   in Loop: Header=BB136_40 Depth=1
	v_cmp_gt_i32_e64 s0, s21, v38
	s_wait_loadcnt 0x0
	s_delay_alu instid0(VALU_DEP_1) | instskip(SKIP_1) | instid1(VALU_DEP_1)
	v_dual_lshrrev_b32 v20, 16, v14 :: v_dual_cndmask_b32 v14, 0, v14, s0
	v_cmp_gt_i32_e64 s0, s10, v46
	v_dual_lshrrev_b32 v21, 16, v15 :: v_dual_cndmask_b32 v20, 0, v20, s0
	v_cmp_gt_i32_e64 s0, s21, v47
	s_delay_alu instid0(VALU_DEP_2) | instskip(NEXT) | instid1(VALU_DEP_2)
	v_perm_b32 v14, v20, v14, 0x5040100
	v_cndmask_b32_e64 v15, 0, v15, s0
	v_cmp_gt_i32_e64 s0, s10, v45
	s_delay_alu instid0(VALU_DEP_1) | instskip(SKIP_2) | instid1(VALU_DEP_3)
	v_cndmask_b32_e64 v21, 0, v21, s0
	v_cmp_gt_i32_e64 s0, s21, v44
	v_lshrrev_b32_e32 v22, 16, v16
	v_perm_b32 v15, v21, v15, 0x5040100
	s_delay_alu instid0(VALU_DEP_3) | instskip(SKIP_1) | instid1(VALU_DEP_1)
	v_cndmask_b32_e64 v16, 0, v16, s0
	v_cmp_gt_i32_e64 s0, s10, v42
	v_dual_lshrrev_b32 v23, 16, v17 :: v_dual_cndmask_b32 v22, 0, v22, s0
	v_cmp_gt_i32_e64 s0, s21, v43
	s_delay_alu instid0(VALU_DEP_2) | instskip(NEXT) | instid1(VALU_DEP_2)
	v_perm_b32 v16, v22, v16, 0x5040100
	v_cndmask_b32_e64 v17, 0, v17, s0
	v_cmp_gt_i32_e64 s0, s10, v41
	s_delay_alu instid0(VALU_DEP_1) | instskip(NEXT) | instid1(VALU_DEP_1)
	v_cndmask_b32_e64 v23, 0, v23, s0
	v_perm_b32 v17, v23, v17, 0x5040100
	s_or_b32 exec_lo, exec_lo, s11
	global_load_b128 v[22:25], v[18:19], off offset:1024
	s_wait_xcnt 0x0
	s_and_saveexec_b32 s11, vcc_lo
	s_cbranch_execz .LBB136_43
.LBB136_46:                             ;   in Loop: Header=BB136_40 Depth=1
	v_cmp_gt_i32_e64 s0, s21, v38
	s_wait_loadcnt 0x0
	s_delay_alu instid0(VALU_DEP_1) | instskip(SKIP_1) | instid1(VALU_DEP_1)
	v_dual_lshrrev_b32 v20, 16, v22 :: v_dual_cndmask_b32 v21, 0, v22, s0
	v_cmp_gt_i32_e64 s0, s10, v46
	v_dual_lshrrev_b32 v22, 16, v23 :: v_dual_cndmask_b32 v20, 0, v20, s0
	v_cmp_gt_i32_e64 s0, s21, v47
	s_delay_alu instid0(VALU_DEP_1) | instskip(SKIP_1) | instid1(VALU_DEP_1)
	v_cndmask_b32_e64 v23, 0, v23, s0
	v_cmp_gt_i32_e64 s0, s10, v45
	v_cndmask_b32_e64 v48, 0, v22, s0
	v_cmp_gt_i32_e64 s0, s21, v44
	v_lshrrev_b32_e32 v22, 16, v24
	s_delay_alu instid0(VALU_DEP_3) | instskip(NEXT) | instid1(VALU_DEP_3)
	v_perm_b32 v23, v48, v23, 0x5040100
	v_cndmask_b32_e64 v24, 0, v24, s0
	v_cmp_gt_i32_e64 s0, s10, v42
	s_delay_alu instid0(VALU_DEP_1) | instskip(SKIP_2) | instid1(VALU_DEP_3)
	v_dual_lshrrev_b32 v49, 16, v25 :: v_dual_cndmask_b32 v50, 0, v22, s0
	v_cmp_gt_i32_e64 s0, s21, v43
	v_perm_b32 v22, v20, v21, 0x5040100
	v_perm_b32 v24, v50, v24, 0x5040100
	s_delay_alu instid0(VALU_DEP_3) | instskip(SKIP_1) | instid1(VALU_DEP_1)
	v_cndmask_b32_e64 v25, 0, v25, s0
	v_cmp_gt_i32_e64 s0, s10, v41
	v_cndmask_b32_e64 v49, 0, v49, s0
	s_delay_alu instid0(VALU_DEP_1)
	v_perm_b32 v25, v49, v25, 0x5040100
	s_or_b32 exec_lo, exec_lo, s11
	global_load_b128 v[18:21], v[18:19], off offset:1536
	s_wait_xcnt 0x0
	s_and_saveexec_b32 s0, vcc_lo
	s_cbranch_execz .LBB136_39
.LBB136_47:                             ;   in Loop: Header=BB136_40 Depth=1
	v_cmp_gt_i32_e32 vcc_lo, s21, v38
	s_wait_loadcnt 0x0
	v_dual_lshrrev_b32 v48, 16, v18 :: v_dual_cndmask_b32 v18, 0, v18, vcc_lo
	v_cmp_gt_i32_e32 vcc_lo, s10, v46
	s_delay_alu instid0(VALU_DEP_2) | instskip(SKIP_1) | instid1(VALU_DEP_2)
	v_dual_cndmask_b32 v46, 0, v48 :: v_dual_lshrrev_b32 v49, 16, v19
	v_cmp_gt_i32_e32 vcc_lo, s21, v47
	v_perm_b32 v18, v46, v18, 0x5040100
	v_cndmask_b32_e32 v19, 0, v19, vcc_lo
	v_cmp_gt_i32_e32 vcc_lo, s10, v45
	v_cndmask_b32_e32 v45, 0, v49, vcc_lo
	v_cmp_gt_i32_e32 vcc_lo, s21, v44
	v_lshrrev_b32_e32 v47, 16, v20
	s_delay_alu instid0(VALU_DEP_3) | instskip(SKIP_2) | instid1(VALU_DEP_4)
	v_perm_b32 v19, v45, v19, 0x5040100
	v_cndmask_b32_e32 v20, 0, v20, vcc_lo
	v_cmp_gt_i32_e32 vcc_lo, s10, v42
	v_dual_lshrrev_b32 v44, 16, v21 :: v_dual_cndmask_b32 v42, 0, v47, vcc_lo
	v_cmp_gt_i32_e32 vcc_lo, s21, v43
	s_delay_alu instid0(VALU_DEP_2) | instskip(SKIP_3) | instid1(VALU_DEP_1)
	v_perm_b32 v20, v42, v20, 0x5040100
	v_cndmask_b32_e32 v21, 0, v21, vcc_lo
	v_cmp_gt_i32_e32 vcc_lo, s10, v41
	v_cndmask_b32_e32 v41, 0, v44, vcc_lo
	v_perm_b32 v21, v41, v21, 0x5040100
	s_branch .LBB136_39
.LBB136_48:
	s_or_b32 exec_lo, exec_lo, s5
.LBB136_49:
	s_delay_alu instid0(SALU_CYCLE_1)
	s_or_b32 exec_lo, exec_lo, s1
	ds_bpermute_b32 v2, v37, v28
	ds_bpermute_b32 v3, v37, v29
	;; [unrolled: 1-line block ×4, first 2 shown]
	v_and_b32_e32 v7, 0x3c1, v0
	v_lshrrev_b32_e32 v6, 1, v36
	s_mov_b32 s0, exec_lo
	s_wait_dscnt 0x0
	s_barrier_signal -1
	s_barrier_wait -1
	v_pk_add_f32 v[2:3], v[28:29], v[2:3]
	v_cmpx_ne_u32_e32 64, v7
	s_xor_b32 s0, exec_lo, s0
	s_delay_alu instid0(SALU_CYCLE_1)
	s_or_saveexec_b32 s0, s0
	v_pk_add_f32 v[4:5], v[26:27], v[4:5]
	v_lshl_add_u32 v7, v6, 2, 0xa0
	v_lshlrev_b32_e32 v8, 8, v35
	s_xor_b32 exec_lo, exec_lo, s0
	s_cbranch_execz .LBB136_51
; %bb.50:
	s_delay_alu instid0(VALU_DEP_1) | instskip(NEXT) | instid1(VALU_DEP_1)
	v_add_nc_u32_e32 v9, v7, v8
	v_add_nc_u32_e32 v10, 0xfffffe00, v9
	;; [unrolled: 1-line block ×5, first 2 shown]
	ds_store_b32 v10, v2
	ds_store_b32 v11, v3
	;; [unrolled: 1-line block ×4, first 2 shown]
.LBB136_51:
	s_or_b32 exec_lo, exec_lo, s0
	v_lshlrev_b32_e32 v6, 2, v6
	s_mov_b32 s1, exec_lo
	v_cmp_eq_u32_e32 vcc_lo, 0, v34
	s_wait_dscnt 0x0
	s_barrier_signal -1
	v_add3_u32 v6, 0xa0, v8, v6
	s_barrier_wait -1
	v_cmpx_gt_u32_e32 64, v0
	s_cbranch_execz .LBB136_58
; %bb.52:
	s_and_saveexec_b32 s0, vcc_lo
	s_cbranch_execnz .LBB136_70
; %bb.53:
	s_or_b32 exec_lo, exec_lo, s0
	s_and_saveexec_b32 s0, vcc_lo
	s_cbranch_execnz .LBB136_71
.LBB136_54:
	s_or_b32 exec_lo, exec_lo, s0
	s_and_saveexec_b32 s0, vcc_lo
	s_cbranch_execnz .LBB136_72
.LBB136_55:
	s_or_b32 exec_lo, exec_lo, s0
	s_and_saveexec_b32 s0, vcc_lo
	s_cbranch_execz .LBB136_57
.LBB136_56:
	ds_load_b32 v8, v6 offset:192
	s_wait_dscnt 0x0
	v_add_f32_e32 v5, v5, v8
.LBB136_57:
	s_or_b32 exec_lo, exec_lo, s0
.LBB136_58:
	s_delay_alu instid0(SALU_CYCLE_1) | instskip(SKIP_4) | instid1(VALU_DEP_1)
	s_or_b32 exec_lo, exec_lo, s1
	v_and_b32_e32 v8, 0x3e1, v0
	s_mov_b32 s1, exec_lo
	s_barrier_signal -1
	s_barrier_wait -1
	v_cmpx_eq_u32_e32 32, v8
	s_cbranch_execz .LBB136_60
; %bb.59:
	ds_store_2addr_b32 v7, v2, v3 offset1:16
	ds_store_2addr_b32 v7, v4, v5 offset0:32 offset1:48
.LBB136_60:
	s_or_b32 exec_lo, exec_lo, s1
	s_delay_alu instid0(SALU_CYCLE_1)
	s_mov_b32 s1, exec_lo
	s_wait_dscnt 0x0
	s_barrier_signal -1
	s_barrier_wait -1
	v_cmpx_gt_u32_e32 32, v0
	s_cbranch_execz .LBB136_67
; %bb.61:
	s_and_saveexec_b32 s0, vcc_lo
	s_cbranch_execnz .LBB136_73
; %bb.62:
	s_or_b32 exec_lo, exec_lo, s0
	s_and_saveexec_b32 s0, vcc_lo
	s_cbranch_execnz .LBB136_74
.LBB136_63:
	s_or_b32 exec_lo, exec_lo, s0
	s_and_saveexec_b32 s0, vcc_lo
	s_cbranch_execnz .LBB136_75
.LBB136_64:
	s_or_b32 exec_lo, exec_lo, s0
	s_and_saveexec_b32 s0, vcc_lo
	s_cbranch_execz .LBB136_66
.LBB136_65:
	ds_load_b32 v0, v6 offset:192
	s_wait_dscnt 0x0
	v_add_f32_e32 v5, v5, v0
.LBB136_66:
	s_or_b32 exec_lo, exec_lo, s0
.LBB136_67:
	s_delay_alu instid0(SALU_CYCLE_1)
	s_or_b32 exec_lo, exec_lo, s1
	s_mov_b32 s1, 0
	s_barrier_signal -1
	s_barrier_wait -1
	s_mov_b32 s0, exec_lo
	v_cmpx_eq_u32_e32 0, v8
	s_cbranch_execz .LBB136_69
; %bb.68:
	s_wait_kmcnt 0x0
	s_mul_i32 s0, s20, s9
	s_mul_i32 s2, s9, s8
	;; [unrolled: 1-line block ×3, first 2 shown]
	s_lshr_b32 s8, ttmp7, 16
	s_lshl_b32 s4, s0, 6
	s_bfe_u32 s0, ttmp6, 0x40014
	s_ashr_i32 s5, s4, 31
	s_add_co_i32 s0, s0, 1
	s_ashr_i32 s3, s2, 31
	s_mul_i32 s0, s8, s0
	s_bfe_u32 s9, ttmp6, 0x40008
	s_lshl_b64 s[4:5], s[4:5], 1
	s_lshl_b64 s[2:3], s[2:3], 1
	s_add_co_i32 s9, s9, s0
	s_cmp_eq_u32 s18, 0
	s_add_nc_u64 s[4:5], s[6:7], s[4:5]
	s_cselect_b32 s0, s8, s9
	s_add_nc_u64 s[2:3], s[4:5], s[2:3]
	s_lshl_b32 s0, s0, 7
	s_delay_alu instid0(SALU_CYCLE_1) | instskip(NEXT) | instid1(SALU_CYCLE_1)
	s_add_nc_u64 s[0:1], s[2:3], s[0:1]
	v_cvt_pk_bf16_f32 v0, v2, s0
	v_cvt_pk_bf16_f32 v2, v3, s0
	;; [unrolled: 1-line block ×4, first 2 shown]
	s_clause 0x3
	global_store_b16 v1, v0, s[0:1] scale_offset
	global_store_b16 v1, v2, s[0:1] offset:32 scale_offset
	global_store_b16 v1, v3, s[0:1] offset:64 scale_offset
	;; [unrolled: 1-line block ×3, first 2 shown]
.LBB136_69:
	s_sendmsg sendmsg(MSG_DEALLOC_VGPRS)
	s_endpgm
.LBB136_70:
	ds_load_b32 v8, v6
	s_wait_dscnt 0x0
	v_add_f32_e32 v2, v2, v8
	s_or_b32 exec_lo, exec_lo, s0
	s_and_saveexec_b32 s0, vcc_lo
	s_cbranch_execz .LBB136_54
.LBB136_71:
	ds_load_b32 v8, v6 offset:64
	s_wait_dscnt 0x0
	v_add_f32_e32 v3, v3, v8
	s_or_b32 exec_lo, exec_lo, s0
	s_and_saveexec_b32 s0, vcc_lo
	s_cbranch_execz .LBB136_55
.LBB136_72:
	ds_load_b32 v8, v6 offset:128
	s_wait_dscnt 0x0
	v_add_f32_e32 v4, v4, v8
	s_or_b32 exec_lo, exec_lo, s0
	s_and_saveexec_b32 s0, vcc_lo
	s_cbranch_execnz .LBB136_56
	s_branch .LBB136_57
.LBB136_73:
	ds_load_b32 v0, v6
	s_wait_dscnt 0x0
	v_add_f32_e32 v2, v2, v0
	s_or_b32 exec_lo, exec_lo, s0
	s_and_saveexec_b32 s0, vcc_lo
	s_cbranch_execz .LBB136_63
.LBB136_74:
	ds_load_b32 v0, v6 offset:64
	s_wait_dscnt 0x0
	v_add_f32_e32 v3, v3, v0
	s_or_b32 exec_lo, exec_lo, s0
	s_and_saveexec_b32 s0, vcc_lo
	s_cbranch_execz .LBB136_64
.LBB136_75:
	ds_load_b32 v0, v6 offset:128
	s_wait_dscnt 0x0
	v_add_f32_e32 v4, v4, v0
	s_or_b32 exec_lo, exec_lo, s0
	s_and_saveexec_b32 s0, vcc_lo
	s_cbranch_execnz .LBB136_65
	s_branch .LBB136_66
	.section	.rodata,"a",@progbits
	.p2align	6, 0x0
	.amdhsa_kernel _ZN4vllm25paged_attention_v1_kernelI14__hip_bfloat16S1_Li64ELi16ELi128ELNS_18Fp8KVCacheDataTypeE0ELb0EEEvPT_PKS3_PKT0_S9_ifPKiSB_iPKfiiiSD_SD_iiiii
		.amdhsa_group_segment_fixed_size 160
		.amdhsa_private_segment_fixed_size 0
		.amdhsa_kernarg_size 384
		.amdhsa_user_sgpr_count 2
		.amdhsa_user_sgpr_dispatch_ptr 0
		.amdhsa_user_sgpr_queue_ptr 0
		.amdhsa_user_sgpr_kernarg_segment_ptr 1
		.amdhsa_user_sgpr_dispatch_id 0
		.amdhsa_user_sgpr_kernarg_preload_length 0
		.amdhsa_user_sgpr_kernarg_preload_offset 0
		.amdhsa_user_sgpr_private_segment_size 0
		.amdhsa_wavefront_size32 1
		.amdhsa_uses_dynamic_stack 0
		.amdhsa_enable_private_segment 0
		.amdhsa_system_sgpr_workgroup_id_x 1
		.amdhsa_system_sgpr_workgroup_id_y 1
		.amdhsa_system_sgpr_workgroup_id_z 1
		.amdhsa_system_sgpr_workgroup_info 0
		.amdhsa_system_vgpr_workitem_id 0
		.amdhsa_next_free_vgpr 68
		.amdhsa_next_free_sgpr 30
		.amdhsa_named_barrier_count 0
		.amdhsa_reserve_vcc 1
		.amdhsa_float_round_mode_32 0
		.amdhsa_float_round_mode_16_64 0
		.amdhsa_float_denorm_mode_32 3
		.amdhsa_float_denorm_mode_16_64 3
		.amdhsa_fp16_overflow 0
		.amdhsa_memory_ordered 1
		.amdhsa_forward_progress 1
		.amdhsa_inst_pref_size 48
		.amdhsa_round_robin_scheduling 0
		.amdhsa_exception_fp_ieee_invalid_op 0
		.amdhsa_exception_fp_denorm_src 0
		.amdhsa_exception_fp_ieee_div_zero 0
		.amdhsa_exception_fp_ieee_overflow 0
		.amdhsa_exception_fp_ieee_underflow 0
		.amdhsa_exception_fp_ieee_inexact 0
		.amdhsa_exception_int_div_zero 0
	.end_amdhsa_kernel
	.section	.text._ZN4vllm25paged_attention_v1_kernelI14__hip_bfloat16S1_Li64ELi16ELi128ELNS_18Fp8KVCacheDataTypeE0ELb0EEEvPT_PKS3_PKT0_S9_ifPKiSB_iPKfiiiSD_SD_iiiii,"axG",@progbits,_ZN4vllm25paged_attention_v1_kernelI14__hip_bfloat16S1_Li64ELi16ELi128ELNS_18Fp8KVCacheDataTypeE0ELb0EEEvPT_PKS3_PKT0_S9_ifPKiSB_iPKfiiiSD_SD_iiiii,comdat
.Lfunc_end136:
	.size	_ZN4vllm25paged_attention_v1_kernelI14__hip_bfloat16S1_Li64ELi16ELi128ELNS_18Fp8KVCacheDataTypeE0ELb0EEEvPT_PKS3_PKT0_S9_ifPKiSB_iPKfiiiSD_SD_iiiii, .Lfunc_end136-_ZN4vllm25paged_attention_v1_kernelI14__hip_bfloat16S1_Li64ELi16ELi128ELNS_18Fp8KVCacheDataTypeE0ELb0EEEvPT_PKS3_PKT0_S9_ifPKiSB_iPKfiiiSD_SD_iiiii
                                        ; -- End function
	.set _ZN4vllm25paged_attention_v1_kernelI14__hip_bfloat16S1_Li64ELi16ELi128ELNS_18Fp8KVCacheDataTypeE0ELb0EEEvPT_PKS3_PKT0_S9_ifPKiSB_iPKfiiiSD_SD_iiiii.num_vgpr, 68
	.set _ZN4vllm25paged_attention_v1_kernelI14__hip_bfloat16S1_Li64ELi16ELi128ELNS_18Fp8KVCacheDataTypeE0ELb0EEEvPT_PKS3_PKT0_S9_ifPKiSB_iPKfiiiSD_SD_iiiii.num_agpr, 0
	.set _ZN4vllm25paged_attention_v1_kernelI14__hip_bfloat16S1_Li64ELi16ELi128ELNS_18Fp8KVCacheDataTypeE0ELb0EEEvPT_PKS3_PKT0_S9_ifPKiSB_iPKfiiiSD_SD_iiiii.numbered_sgpr, 30
	.set _ZN4vllm25paged_attention_v1_kernelI14__hip_bfloat16S1_Li64ELi16ELi128ELNS_18Fp8KVCacheDataTypeE0ELb0EEEvPT_PKS3_PKT0_S9_ifPKiSB_iPKfiiiSD_SD_iiiii.num_named_barrier, 0
	.set _ZN4vllm25paged_attention_v1_kernelI14__hip_bfloat16S1_Li64ELi16ELi128ELNS_18Fp8KVCacheDataTypeE0ELb0EEEvPT_PKS3_PKT0_S9_ifPKiSB_iPKfiiiSD_SD_iiiii.private_seg_size, 0
	.set _ZN4vllm25paged_attention_v1_kernelI14__hip_bfloat16S1_Li64ELi16ELi128ELNS_18Fp8KVCacheDataTypeE0ELb0EEEvPT_PKS3_PKT0_S9_ifPKiSB_iPKfiiiSD_SD_iiiii.uses_vcc, 1
	.set _ZN4vllm25paged_attention_v1_kernelI14__hip_bfloat16S1_Li64ELi16ELi128ELNS_18Fp8KVCacheDataTypeE0ELb0EEEvPT_PKS3_PKT0_S9_ifPKiSB_iPKfiiiSD_SD_iiiii.uses_flat_scratch, 0
	.set _ZN4vllm25paged_attention_v1_kernelI14__hip_bfloat16S1_Li64ELi16ELi128ELNS_18Fp8KVCacheDataTypeE0ELb0EEEvPT_PKS3_PKT0_S9_ifPKiSB_iPKfiiiSD_SD_iiiii.has_dyn_sized_stack, 0
	.set _ZN4vllm25paged_attention_v1_kernelI14__hip_bfloat16S1_Li64ELi16ELi128ELNS_18Fp8KVCacheDataTypeE0ELb0EEEvPT_PKS3_PKT0_S9_ifPKiSB_iPKfiiiSD_SD_iiiii.has_recursion, 0
	.set _ZN4vllm25paged_attention_v1_kernelI14__hip_bfloat16S1_Li64ELi16ELi128ELNS_18Fp8KVCacheDataTypeE0ELb0EEEvPT_PKS3_PKT0_S9_ifPKiSB_iPKfiiiSD_SD_iiiii.has_indirect_call, 0
	.section	.AMDGPU.csdata,"",@progbits
; Kernel info:
; codeLenInByte = 6036
; TotalNumSgprs: 32
; NumVgprs: 68
; ScratchSize: 0
; MemoryBound: 0
; FloatMode: 240
; IeeeMode: 1
; LDSByteSize: 160 bytes/workgroup (compile time only)
; SGPRBlocks: 0
; VGPRBlocks: 4
; NumSGPRsForWavesPerEU: 32
; NumVGPRsForWavesPerEU: 68
; NamedBarCnt: 0
; Occupancy: 12
; WaveLimiterHint : 1
; COMPUTE_PGM_RSRC2:SCRATCH_EN: 0
; COMPUTE_PGM_RSRC2:USER_SGPR: 2
; COMPUTE_PGM_RSRC2:TRAP_HANDLER: 0
; COMPUTE_PGM_RSRC2:TGID_X_EN: 1
; COMPUTE_PGM_RSRC2:TGID_Y_EN: 1
; COMPUTE_PGM_RSRC2:TGID_Z_EN: 1
; COMPUTE_PGM_RSRC2:TIDIG_COMP_CNT: 0
	.section	.text._ZN4vllm25paged_attention_v1_kernelI14__hip_bfloat16S1_Li80ELi16ELi128ELNS_18Fp8KVCacheDataTypeE0ELb0EEEvPT_PKS3_PKT0_S9_ifPKiSB_iPKfiiiSD_SD_iiiii,"axG",@progbits,_ZN4vllm25paged_attention_v1_kernelI14__hip_bfloat16S1_Li80ELi16ELi128ELNS_18Fp8KVCacheDataTypeE0ELb0EEEvPT_PKS3_PKT0_S9_ifPKiSB_iPKfiiiSD_SD_iiiii,comdat
	.protected	_ZN4vllm25paged_attention_v1_kernelI14__hip_bfloat16S1_Li80ELi16ELi128ELNS_18Fp8KVCacheDataTypeE0ELb0EEEvPT_PKS3_PKT0_S9_ifPKiSB_iPKfiiiSD_SD_iiiii ; -- Begin function _ZN4vllm25paged_attention_v1_kernelI14__hip_bfloat16S1_Li80ELi16ELi128ELNS_18Fp8KVCacheDataTypeE0ELb0EEEvPT_PKS3_PKT0_S9_ifPKiSB_iPKfiiiSD_SD_iiiii
	.globl	_ZN4vllm25paged_attention_v1_kernelI14__hip_bfloat16S1_Li80ELi16ELi128ELNS_18Fp8KVCacheDataTypeE0ELb0EEEvPT_PKS3_PKT0_S9_ifPKiSB_iPKfiiiSD_SD_iiiii
	.p2align	8
	.type	_ZN4vllm25paged_attention_v1_kernelI14__hip_bfloat16S1_Li80ELi16ELi128ELNS_18Fp8KVCacheDataTypeE0ELb0EEEvPT_PKS3_PKT0_S9_ifPKiSB_iPKfiiiSD_SD_iiiii,@function
_ZN4vllm25paged_attention_v1_kernelI14__hip_bfloat16S1_Li80ELi16ELi128ELNS_18Fp8KVCacheDataTypeE0ELb0EEEvPT_PKS3_PKT0_S9_ifPKiSB_iPKfiiiSD_SD_iiiii: ; @_ZN4vllm25paged_attention_v1_kernelI14__hip_bfloat16S1_Li80ELi16ELi128ELNS_18Fp8KVCacheDataTypeE0ELb0EEEvPT_PKS3_PKT0_S9_ifPKiSB_iPKfiiiSD_SD_iiiii
; %bb.0:
	s_load_b64 s[6:7], s[0:1], 0x20
	s_bfe_u32 s3, ttmp6, 0x4000c
	s_bfe_u32 s5, ttmp6, 0x40010
	s_and_b32 s4, ttmp7, 0xffff
	s_add_co_i32 s3, s3, 1
	s_add_co_i32 s5, s5, 1
	s_and_b32 s2, ttmp6, 15
	s_bfe_u32 s8, ttmp6, 0x40004
	s_mul_i32 s3, ttmp9, s3
	s_mul_i32 s5, s4, s5
	s_getreg_b32 s18, hwreg(HW_REG_IB_STS2, 6, 4)
	s_add_co_i32 s2, s2, s3
	s_add_co_i32 s8, s8, s5
	s_cmp_eq_u32 s18, 0
	s_clause 0x1
	s_load_b32 s19, s[0:1], 0x80
	s_load_b64 s[10:11], s[0:1], 0x30
	s_cselect_b32 s20, s4, s8
	s_cselect_b32 s8, ttmp9, s2
	s_wait_kmcnt 0x0
	s_abs_i32 s2, s6
	s_delay_alu instid0(SALU_CYCLE_1) | instskip(SKIP_1) | instid1(SALU_CYCLE_2)
	s_cvt_f32_u32 s3, s2
	s_sub_co_i32 s4, 0, s2
	v_rcp_iflag_f32_e32 v1, s3
	s_abs_i32 s5, s19
	v_nop
	s_delay_alu instid0(TRANS32_DEP_1) | instskip(SKIP_1) | instid1(SALU_CYCLE_3)
	v_readfirstlane_b32 s3, v1
	s_mul_f32 s3, s3, 0x4f7ffffe
	s_cvt_u32_f32 s3, s3
	s_delay_alu instid0(SALU_CYCLE_3) | instskip(NEXT) | instid1(SALU_CYCLE_1)
	s_mul_i32 s4, s4, s3
	s_mul_hi_u32 s4, s3, s4
	s_delay_alu instid0(SALU_CYCLE_1) | instskip(SKIP_4) | instid1(SALU_CYCLE_1)
	s_add_co_i32 s3, s3, s4
	s_xor_b32 s4, s19, s6
	s_mul_hi_u32 s3, s5, s3
	s_ashr_i32 s4, s4, 31
	s_mul_i32 s6, s3, s2
	s_sub_co_i32 s5, s5, s6
	s_add_co_i32 s6, s3, 1
	s_sub_co_i32 s9, s5, s2
	s_cmp_ge_u32 s5, s2
	s_cselect_b32 s3, s6, s3
	s_cselect_b32 s5, s9, s5
	s_add_co_i32 s6, s3, 1
	s_cmp_ge_u32 s5, s2
	s_cselect_b32 s2, s6, s3
	s_mov_b32 s3, 0
	s_xor_b32 s2, s2, s4
	s_mov_b32 s13, s3
	s_sub_co_i32 s15, s2, s4
	s_load_b64 s[4:5], s[0:1], 0x40
	s_abs_i32 s14, s15
	s_mov_b32 s23, s3
	s_cvt_f32_u32 s2, s14
	s_delay_alu instid0(SALU_CYCLE_3) | instskip(SKIP_1) | instid1(TRANS32_DEP_1)
	v_rcp_iflag_f32_e32 v1, s2
	v_nop
	v_readfirstlane_b32 s2, v1
	s_mul_f32 s2, s2, 0x4f7ffffe
	s_delay_alu instid0(SALU_CYCLE_3) | instskip(SKIP_1) | instid1(SALU_CYCLE_2)
	s_cvt_u32_f32 s6, s2
	s_sub_co_i32 s2, 0, s14
	s_mul_i32 s2, s2, s6
	s_delay_alu instid0(SALU_CYCLE_1)
	s_mul_hi_u32 s9, s6, s2
	s_abs_i32 s2, s8
	s_add_co_i32 s12, s6, s9
	s_wait_kmcnt 0x0
	s_cmp_eq_u64 s[4:5], 0
	s_cbranch_scc1 .LBB137_2
; %bb.1:
	s_ashr_i32 s9, s8, 31
	s_delay_alu instid0(SALU_CYCLE_1) | instskip(NEXT) | instid1(SALU_CYCLE_1)
	s_lshl_b64 s[16:17], s[8:9], 2
	s_add_nc_u64 s[4:5], s[4:5], s[16:17]
	s_load_b32 s23, s[4:5], 0x0
.LBB137_2:
	s_load_b32 s21, s[10:11], s20 offset:0x0 scale_offset
	s_wait_xcnt 0x0
	s_load_b96 s[4:6], s[0:1], 0x48
	v_dual_lshrrev_b32 v1, 1, v0 :: v_dual_bitop2_b32 v40, 1, v0 bitop3:0x40
	s_ashr_i32 s16, s8, 31
	s_ashr_i32 s15, s15, 31
	s_mul_u64 s[10:11], s[2:3], s[12:13]
	s_mulk_i32 s8, 0x50
	s_mov_b32 s3, exec_lo
	v_cmpx_gt_u32_e32 20, v0
	s_cbranch_execz .LBB137_4
; %bb.3:
	s_load_b64 s[12:13], s[0:1], 0x8
	s_wait_kmcnt 0x0
	s_mul_i32 s24, s4, s20
	s_ashr_i32 s9, s8, 31
	s_ashr_i32 s25, s24, 31
	v_lshlrev_b32_e32 v4, 3, v1
	s_lshl_b64 s[24:25], s[24:25], 1
	s_delay_alu instid0(VALU_DEP_1) | instskip(SKIP_2) | instid1(SALU_CYCLE_1)
	v_mad_u32_u24 v4, 0x50, v40, v4
	s_add_nc_u64 s[12:13], s[12:13], s[24:25]
	s_lshl_b64 s[24:25], s[8:9], 1
	s_add_nc_u64 s[12:13], s[12:13], s[24:25]
	global_load_b64 v[2:3], v0, s[12:13] scale_offset
	s_wait_loadcnt 0x0
	ds_store_b64 v4, v[2:3]
.LBB137_4:
	s_or_b32 exec_lo, exec_lo, s3
	s_wait_kmcnt 0x0
	s_add_co_i32 s3, s21, 15
	s_load_b32 s4, s[0:1], 0x38
	s_ashr_i32 s9, s3, 31
	s_mul_i32 s12, s11, s14
	s_lshr_b32 s9, s9, 28
	s_sub_co_i32 s2, s2, s12
	s_add_co_i32 s3, s3, s9
	s_xor_b32 s10, s16, s15
	s_ashr_i32 s22, s3, 4
	s_add_co_i32 s3, s11, 1
	s_sub_co_i32 s9, s2, s14
	s_cmp_ge_u32 s2, s14
	v_lshrrev_b32_e32 v41, 5, v0
	s_cselect_b32 s3, s3, s11
	s_cselect_b32 s2, s9, s2
	s_add_co_i32 s9, s3, 1
	s_cmp_ge_u32 s2, s14
	v_mbcnt_lo_u32_b32 v10, -1, 0
	s_cselect_b32 s2, s9, s3
	s_wait_dscnt 0x0
	s_xor_b32 s2, s2, s10
	s_barrier_signal -1
	s_sub_co_i32 s3, s2, s10
	v_cmp_gt_i32_e64 s2, s22, v41
	s_wait_kmcnt 0x0
	s_mul_i32 s10, s4, s20
	s_mov_b32 s4, exec_lo
	s_ashr_i32 s11, s10, 31
	s_barrier_wait -1
                                        ; implicit-def: $vgpr3
                                        ; implicit-def: $vgpr11
	v_cmpx_le_i32_e64 s22, v41
	s_xor_b32 s4, exec_lo, s4
; %bb.5:
	v_dual_mov_b32 v3, 0 :: v_dual_mov_b32 v11, 32
	v_mbcnt_lo_u32_b32 v10, -1, 0
; %bb.6:
	s_or_saveexec_b32 s24, s4
	s_clause 0x1
	s_load_b64 s[12:13], s[0:1], 0x28
	s_load_b32 s9, s[0:1], 0x88
	v_dual_mov_b32 v2, 0xff7fffff :: v_dual_lshlrev_b32 v9, 3, v0
	v_lshrrev_b32_e32 v8, 3, v0
	s_mul_i32 s14, s3, s6
	s_xor_b32 exec_lo, exec_lo, s24
	s_cbranch_execz .LBB137_12
; %bb.7:
	s_load_b64 s[26:27], s[0:1], 0x10
	v_mul_u32_u24_e32 v11, 0x50, v40
	v_bfe_u32 v55, v0, 1, 4
	s_ashr_i32 s15, s14, 31
	v_mov_b32_e32 v3, 0
	s_lshl_b64 s[28:29], s[14:15], 1
	ds_load_b128 v[4:7], v11
	ds_load_b128 v[24:27], v11 offset:16
	ds_load_b128 v[32:35], v11 offset:32
	;; [unrolled: 1-line block ×4, first 2 shown]
	v_lshlrev_b32_e32 v2, 4, v55
	s_ashr_i32 s17, s5, 31
	s_cmp_neq_f32 s23, 0
	s_mov_b32 s16, s5
	s_mov_b32 s6, 0
	v_mov_b32_e32 v57, v41
	s_cselect_b32 s3, -1, 0
	s_sub_co_i32 s15, 1, s21
	s_wait_kmcnt 0x0
	s_add_nc_u64 s[26:27], s[26:27], s[28:29]
	s_delay_alu instid0(SALU_CYCLE_1)
	v_add_nc_u64_e32 v[28:29], s[26:27], v[2:3]
	v_and_b32_e32 v2, 8, v9
	s_lshl_b64 s[26:27], s[10:11], 2
	s_wait_dscnt 0x4
	v_lshlrev_b32_e32 v12, 16, v4
	v_and_b32_e32 v13, 0xffff0000, v4
	v_dual_lshlrev_b32 v14, 16, v5 :: v_dual_lshlrev_b32 v16, 16, v6
	v_and_b32_e32 v15, 0xffff0000, v5
	v_add_nc_u64_e32 v[4:5], v[28:29], v[2:3]
	s_wait_dscnt 0x0
	v_dual_lshlrev_b32 v48, 16, v51 :: v_dual_bitop2_b32 v2, 1, v10 bitop3:0x14
	v_and_b32_e32 v17, 0xffff0000, v6
	v_lshlrev_b32_e32 v6, 2, v55
	s_add_nc_u64 s[26:27], s[12:13], s[26:27]
	v_dual_lshlrev_b32 v18, 16, v7 :: v_dual_lshlrev_b32 v20, 16, v24
	v_cmp_gt_i32_e32 vcc_lo, 32, v2
	s_delay_alu instid0(VALU_DEP_3)
	v_lshl_or_b32 v6, v41, 6, v6
	v_and_b32_e32 v19, 0xffff0000, v7
	v_and_b32_e32 v21, 0xffff0000, v24
	v_dual_lshlrev_b32 v22, 16, v25 :: v_dual_lshlrev_b32 v24, 16, v26
	v_dual_cndmask_b32 v2, v10, v2 :: v_dual_mov_b32 v11, 32
	v_add_nc_u32_e32 v56, 0xc0, v6
	v_and_b32_e32 v23, 0xffff0000, v25
	v_and_b32_e32 v25, 0xffff0000, v26
	s_delay_alu instid0(VALU_DEP_4) | instskip(SKIP_4) | instid1(VALU_DEP_4)
	v_lshlrev_b32_e32 v54, 2, v2
	v_and_b32_e32 v2, 0x7c, v8
	v_dual_lshlrev_b32 v26, 16, v27 :: v_dual_lshlrev_b32 v28, 16, v32
	v_and_b32_e32 v27, 0xffff0000, v27
	v_and_b32_e32 v29, 0xffff0000, v32
	v_add_nc_u64_e32 v[6:7], s[26:27], v[2:3]
	v_dual_lshlrev_b32 v30, 16, v33 :: v_dual_lshlrev_b32 v32, 16, v34
	v_and_b32_e32 v31, 0xffff0000, v33
	v_and_b32_e32 v33, 0xffff0000, v34
	v_dual_lshlrev_b32 v34, 16, v35 :: v_dual_lshlrev_b32 v36, 16, v42
	v_and_b32_e32 v35, 0xffff0000, v35
	v_and_b32_e32 v37, 0xffff0000, v42
	;; [unrolled: 3-line block ×4, first 2 shown]
	v_and_b32_e32 v49, 0xffff0000, v51
	v_lshlrev_b32_e32 v50, 16, v52
	v_and_b32_e32 v51, 0xffff0000, v52
	v_lshlrev_b32_e32 v52, 16, v53
	v_and_b32_e32 v53, 0xffff0000, v53
	v_lshl_or_b32 v55, v41, 4, v55
	v_mov_b32_e32 v2, 0xff7fffff
	v_cmp_eq_u32_e32 vcc_lo, 0, v40
	s_branch .LBB137_9
.LBB137_8:                              ;   in Loop: Header=BB137_9 Depth=1
	s_or_b32 exec_lo, exec_lo, s25
	v_dual_add_nc_u32 v57, 4, v57 :: v_dual_add_nc_u32 v55, 64, v55
	v_add_nc_u64_e32 v[6:7], 16, v[6:7]
	v_add_nc_u32_e32 v56, 0x100, v56
	s_delay_alu instid0(VALU_DEP_3) | instskip(SKIP_1) | instid1(SALU_CYCLE_1)
	v_cmp_le_i32_e64 s4, s22, v57
	s_or_b32 s6, s4, s6
	s_and_not1_b32 exec_lo, exec_lo, s6
	s_cbranch_execz .LBB137_11
.LBB137_9:                              ; =>This Inner Loop Header: Depth=1
	global_load_b32 v58, v[6:7], off
	s_wait_loadcnt_dscnt 0x0
	v_ashrrev_i32_e32 v59, 31, v58
	s_delay_alu instid0(VALU_DEP_1) | instskip(NEXT) | instid1(VALU_DEP_1)
	v_mul_u64_e32 v[58:59], s[16:17], v[58:59]
	v_lshl_add_u64 v[58:59], v[58:59], 1, v[4:5]
	s_clause 0x9
	global_load_b64 v[60:61], v[58:59], off offset:256
	global_load_b64 v[62:63], v[58:59], off offset:512
	;; [unrolled: 1-line block ×3, first 2 shown]
	global_load_b64 v[66:67], v[58:59], off
	global_load_b64 v[68:69], v[58:59], off offset:1024
	global_load_b64 v[70:71], v[58:59], off offset:1280
	;; [unrolled: 1-line block ×6, first 2 shown]
	s_wait_loadcnt 0x9
	v_lshlrev_b32_e32 v78, 16, v60
	v_and_b32_e32 v60, 0xffff0000, v60
	v_lshlrev_b32_e32 v79, 16, v61
	v_and_b32_e32 v61, 0xffff0000, v61
	s_delay_alu instid0(VALU_DEP_3) | instskip(NEXT) | instid1(VALU_DEP_2)
	v_dual_mul_f32 v78, v16, v78 :: v_dual_mul_f32 v60, v17, v60
	v_dual_mul_f32 v79, v18, v79 :: v_dual_mul_f32 v61, v19, v61
	s_wait_loadcnt 0x6
	s_delay_alu instid0(VALU_DEP_2) | instskip(NEXT) | instid1(VALU_DEP_3)
	v_fma_mix_f32_bf16 v78, v12, v66, v78 op_sel_hi:[0,1,0]
	v_fma_mix_f32_bf16 v60, v13, v66, v60 op_sel:[0,1,0] op_sel_hi:[0,1,0]
	s_delay_alu instid0(VALU_DEP_3) | instskip(SKIP_1) | instid1(VALU_DEP_4)
	v_fma_mix_f32_bf16 v66, v14, v67, v79 op_sel_hi:[0,1,0]
	v_fma_mix_f32_bf16 v61, v15, v67, v61 op_sel:[0,1,0] op_sel_hi:[0,1,0]
	v_fma_mix_f32_bf16 v78, v20, v62, v78 op_sel_hi:[0,1,0]
	s_delay_alu instid0(VALU_DEP_4) | instskip(NEXT) | instid1(VALU_DEP_4)
	v_fma_mix_f32_bf16 v60, v21, v62, v60 op_sel:[0,1,0] op_sel_hi:[0,1,0]
	v_fma_mix_f32_bf16 v62, v22, v63, v66 op_sel_hi:[0,1,0]
	s_delay_alu instid0(VALU_DEP_4) | instskip(NEXT) | instid1(VALU_DEP_4)
	;; [unrolled: 3-line block ×3, first 2 shown]
	v_fma_mix_f32_bf16 v60, v25, v64, v60 op_sel:[0,1,0] op_sel_hi:[0,1,0]
	v_fma_mix_f32_bf16 v62, v26, v65, v62 op_sel_hi:[0,1,0]
	s_delay_alu instid0(VALU_DEP_4)
	v_fma_mix_f32_bf16 v61, v27, v65, v61 op_sel:[0,1,0] op_sel_hi:[0,1,0]
	s_wait_loadcnt 0x5
	v_fma_mix_f32_bf16 v63, v28, v68, v66 op_sel_hi:[0,1,0]
	v_fma_mix_f32_bf16 v60, v29, v68, v60 op_sel:[0,1,0] op_sel_hi:[0,1,0]
	v_fma_mix_f32_bf16 v62, v30, v69, v62 op_sel_hi:[0,1,0]
	v_fma_mix_f32_bf16 v61, v31, v69, v61 op_sel:[0,1,0] op_sel_hi:[0,1,0]
	s_wait_loadcnt 0x4
	v_fma_mix_f32_bf16 v63, v32, v70, v63 op_sel_hi:[0,1,0]
	v_fma_mix_f32_bf16 v60, v33, v70, v60 op_sel:[0,1,0] op_sel_hi:[0,1,0]
	v_fma_mix_f32_bf16 v62, v34, v71, v62 op_sel_hi:[0,1,0]
	;; [unrolled: 5-line block ×5, first 2 shown]
	s_wait_loadcnt 0x0
	s_delay_alu instid0(VALU_DEP_3) | instskip(SKIP_4) | instid1(VALU_DEP_3)
	v_fma_mix_f32_bf16 v63, v50, v58, v63 op_sel_hi:[0,1,0]
	s_wait_xcnt 0x0
	v_fma_mix_f32_bf16 v58, v51, v58, v60 op_sel:[0,1,0] op_sel_hi:[0,1,0]
	v_fma_mix_f32_bf16 v60, v49, v77, v61 op_sel:[0,1,0] op_sel_hi:[0,1,0]
	v_fma_mix_f32_bf16 v61, v52, v59, v62 op_sel_hi:[0,1,0]
	v_add_f32_e32 v58, v63, v58
	s_delay_alu instid0(VALU_DEP_3) | instskip(NEXT) | instid1(VALU_DEP_2)
	v_fma_mix_f32_bf16 v59, v53, v59, v60 op_sel:[0,1,0] op_sel_hi:[0,1,0]
	v_add_f32_e32 v58, v58, v61
	s_delay_alu instid0(VALU_DEP_1)
	v_add_f32_e32 v58, v59, v58
	ds_bpermute_b32 v59, v54, v58
	s_and_saveexec_b32 s25, vcc_lo
	s_cbranch_execz .LBB137_8
; %bb.10:                               ;   in Loop: Header=BB137_9 Depth=1
	s_wait_dscnt 0x0
	v_add_f32_e32 v58, v58, v59
	v_add_nc_u32_e32 v60, s15, v55
	v_cmp_gt_i32_e64 s4, s21, v55
	s_delay_alu instid0(VALU_DEP_2) | instskip(NEXT) | instid1(VALU_DEP_1)
	v_cvt_f32_i32_e32 v60, v60
	v_mul_f32_e32 v60, s23, v60
	s_delay_alu instid0(VALU_DEP_1) | instskip(NEXT) | instid1(VALU_DEP_1)
	v_dual_cndmask_b32 v59, 0, v60, s3 :: v_dual_max_num_f32 v60, v2, v2
	v_fmac_f32_e32 v59, s7, v58
	s_delay_alu instid0(VALU_DEP_1) | instskip(NEXT) | instid1(VALU_DEP_1)
	v_dual_max_num_f32 v58, v60, v59 :: v_dual_cndmask_b32 v59, 0, v59, s4
	v_cndmask_b32_e64 v2, v2, v58, s4
	ds_store_b32 v56, v59
	s_branch .LBB137_8
.LBB137_11:
	s_or_b32 exec_lo, exec_lo, s6
.LBB137_12:
	s_delay_alu instid0(SALU_CYCLE_1)
	s_or_b32 exec_lo, exec_lo, s24
	v_xor_b32_e32 v4, 16, v10
	s_clause 0x1
	s_load_b64 s[6:7], s[0:1], 0x0
	s_load_b64 s[16:17], s[0:1], 0x18
	v_and_b32_e32 v42, 31, v0
	v_xor_b32_e32 v6, 8, v10
	v_cmp_lt_i32_e32 vcc_lo, v4, v11
	v_cndmask_b32_e32 v4, v10, v4, vcc_lo
	s_delay_alu instid0(VALU_DEP_3) | instskip(NEXT) | instid1(VALU_DEP_2)
	v_cmp_lt_i32_e32 vcc_lo, v6, v11
	v_lshlrev_b32_e32 v4, 2, v4
	ds_bpermute_b32 v5, v4, v2
	s_wait_dscnt 0x0
	v_dual_max_num_f32 v2, v2, v2 :: v_dual_max_num_f32 v7, v5, v5
	s_delay_alu instid0(VALU_DEP_1) | instskip(SKIP_1) | instid1(VALU_DEP_2)
	v_dual_max_num_f32 v2, v2, v7 :: v_dual_bitop2_b32 v7, 4, v10 bitop3:0x14
	v_cndmask_b32_e32 v6, v10, v6, vcc_lo
	v_cmp_lt_i32_e32 vcc_lo, v7, v11
	s_delay_alu instid0(VALU_DEP_2) | instskip(SKIP_3) | instid1(VALU_DEP_1)
	v_dual_cndmask_b32 v7, v10, v7, vcc_lo :: v_dual_lshlrev_b32 v5, 2, v6
	ds_bpermute_b32 v6, v5, v2
	s_wait_dscnt 0x0
	v_dual_max_num_f32 v12, v6, v6 :: v_dual_lshlrev_b32 v6, 2, v7
	v_max_num_f32_e32 v2, v2, v12
	ds_bpermute_b32 v7, v6, v2
	s_wait_dscnt 0x0
	v_dual_max_num_f32 v7, v7, v7 :: v_dual_bitop2_b32 v12, 2, v10 bitop3:0x14
	s_delay_alu instid0(VALU_DEP_1) | instskip(SKIP_1) | instid1(VALU_DEP_3)
	v_cmp_lt_i32_e32 vcc_lo, v12, v11
	v_cndmask_b32_e32 v13, v10, v12, vcc_lo
	v_dual_max_num_f32 v12, v2, v7 :: v_dual_lshlrev_b32 v7, 2, v41
	v_cmp_eq_u32_e32 vcc_lo, 0, v42
	s_delay_alu instid0(VALU_DEP_3)
	v_lshlrev_b32_e32 v2, 2, v13
	ds_bpermute_b32 v13, v2, v12
	s_wait_xcnt 0x0
	s_and_saveexec_b32 s0, vcc_lo
	s_cbranch_execz .LBB137_14
; %bb.13:
	s_wait_dscnt 0x0
	v_dual_max_num_f32 v13, v13, v13 :: v_dual_max_num_f32 v12, v12, v12
	s_delay_alu instid0(VALU_DEP_1)
	v_max_num_f32_e32 v12, v12, v13
	ds_store_b32 v7, v12 offset:160
.LBB137_14:
	s_or_b32 exec_lo, exec_lo, s0
	v_cmp_gt_u32_e64 s0, 4, v42
	s_wait_dscnt 0x0
	v_dual_mov_b32 v13, 0xff7fffff :: v_dual_lshlrev_b32 v12, 2, v42
	s_barrier_signal -1
	s_barrier_wait -1
	s_and_saveexec_b32 s1, s0
; %bb.15:
	ds_load_b32 v13, v12 offset:160
; %bb.16:
	s_or_b32 exec_lo, exec_lo, s1
	s_wait_dscnt 0x0
	ds_bpermute_b32 v14, v2, v13
	v_dual_max_num_f32 v13, v13, v13 :: v_dual_bitop2_b32 v15, 1, v10 bitop3:0x14
	v_lshlrev_b32_e32 v3, 2, v3
	s_delay_alu instid0(VALU_DEP_2) | instskip(NEXT) | instid1(VALU_DEP_1)
	v_cmp_lt_i32_e64 s1, v15, v11
	v_cndmask_b32_e64 v11, v10, v15, s1
	s_lshl_b32 s1, s22, 4
	s_delay_alu instid0(SALU_CYCLE_1) | instskip(NEXT) | instid1(VALU_DEP_1)
	s_min_i32 s4, s1, s21
	v_lshlrev_b32_e32 v43, 2, v11
	v_cmp_gt_i32_e64 s1, s4, v0
	s_wait_dscnt 0x0
	v_max_num_f32_e32 v14, v14, v14
	s_delay_alu instid0(VALU_DEP_1) | instskip(SKIP_3) | instid1(VALU_DEP_1)
	v_max_num_f32_e32 v11, v13, v14
	ds_bpermute_b32 v13, v43, v11
	s_wait_dscnt 0x0
	v_max_num_f32_e32 v13, v13, v13
	v_max_num_f32_e32 v11, v11, v13
	ds_bpermute_b32 v11, v3, v11
	v_mov_b32_e32 v3, 0
	s_and_saveexec_b32 s15, s1
	s_cbranch_execz .LBB137_20
; %bb.17:
	v_lshl_add_u32 v13, v0, 2, 0xc0
	v_dual_mov_b32 v3, 0 :: v_dual_mov_b32 v14, v0
	s_mov_b32 s23, 0
.LBB137_18:                             ; =>This Inner Loop Header: Depth=1
	ds_load_b32 v15, v13
	v_add_nc_u32_e32 v14, 0x80, v14
	s_delay_alu instid0(VALU_DEP_1) | instskip(SKIP_3) | instid1(VALU_DEP_1)
	v_cmp_le_i32_e64 s3, s4, v14
	s_or_b32 s23, s3, s23
	s_wait_dscnt 0x0
	v_sub_f32_e32 v15, v15, v11
	v_mul_f32_e32 v15, 0x3fb8aa3b, v15
	s_delay_alu instid0(VALU_DEP_1)
	v_exp_f32_e32 v15, v15
	ds_store_b32 v13, v15
	v_nop
	v_add_f32_e32 v3, v3, v15
	v_add_nc_u32_e32 v13, 0x200, v13
	s_and_not1_b32 exec_lo, exec_lo, s23
	s_cbranch_execnz .LBB137_18
; %bb.19:
	s_or_b32 exec_lo, exec_lo, s23
.LBB137_20:
	s_delay_alu instid0(SALU_CYCLE_1)
	s_or_b32 exec_lo, exec_lo, s15
	ds_bpermute_b32 v4, v4, v3
	s_wait_dscnt 0x0
	v_add_f32_e32 v3, v3, v4
	ds_bpermute_b32 v4, v5, v3
	s_wait_dscnt 0x0
	v_add_f32_e32 v3, v3, v4
	;; [unrolled: 3-line block ×5, first 2 shown]
	s_and_saveexec_b32 s3, vcc_lo
; %bb.21:
	ds_store_b32 v7, v3 offset:176
; %bb.22:
	s_or_b32 exec_lo, exec_lo, s3
	s_wait_dscnt 0x0
	s_barrier_signal -1
	s_barrier_wait -1
	s_and_saveexec_b32 s3, s0
; %bb.23:
	ds_load_b32 v3, v12 offset:176
; %bb.24:
	s_or_b32 exec_lo, exec_lo, s3
	s_wait_dscnt 0x0
	ds_bpermute_b32 v2, v2, v3
	s_wait_dscnt 0x0
	v_add_f32_e32 v2, v3, v2
	ds_bpermute_b32 v3, v43, v2
	s_wait_dscnt 0x0
	v_dual_lshlrev_b32 v4, 2, v10 :: v_dual_add_f32 v2, v2, v3
	s_delay_alu instid0(VALU_DEP_1)
	v_and_b32_e32 v3, 0xffffff80, v4
	ds_bpermute_b32 v2, v3, v2
	s_and_saveexec_b32 s0, s1
	s_cbranch_execz .LBB137_37
; %bb.25:
	s_wait_dscnt 0x0
	v_add_f32_e32 v2, 0x358637bd, v2
	s_mov_b32 s3, -1
	s_mov_b32 s1, exec_lo
	s_delay_alu instid0(VALU_DEP_1) | instskip(NEXT) | instid1(VALU_DEP_1)
	v_div_scale_f32 v3, null, v2, v2, 1.0
	v_rcp_f32_e32 v5, v3
	v_nop
	s_delay_alu instid0(TRANS32_DEP_1) | instskip(NEXT) | instid1(VALU_DEP_1)
	v_fma_f32 v4, -v3, v5, 1.0
	v_fmac_f32_e32 v5, v4, v5
	v_div_scale_f32 v6, vcc_lo, 1.0, v2, 1.0
	s_delay_alu instid0(VALU_DEP_1) | instskip(NEXT) | instid1(VALU_DEP_1)
	v_mul_f32_e32 v7, v6, v5
	v_fma_f32 v4, -v3, v7, v6
	s_delay_alu instid0(VALU_DEP_1) | instskip(SKIP_1) | instid1(VALU_DEP_2)
	v_fmac_f32_e32 v7, v4, v5
	v_xad_u32 v4, v0, -1, s4
	v_fma_f32 v3, -v3, v7, v6
	s_delay_alu instid0(VALU_DEP_1) | instskip(NEXT) | instid1(VALU_DEP_1)
	v_div_fmas_f32 v3, v3, v5, v7
	v_div_fixup_f32 v2, v3, v2, 1.0
	v_mov_b32_e32 v3, v0
	v_cmpx_lt_u32_e32 0x7f, v4
	s_cbranch_execz .LBB137_34
; %bb.26:
	s_delay_alu instid0(VALU_DEP_3) | instskip(NEXT) | instid1(VALU_DEP_1)
	v_dual_mov_b32 v3, v2 :: v_dual_lshrrev_b32 v4, 7, v4
	v_dual_mov_b32 v10, 0 :: v_dual_add_nc_u32 v5, -1, v4
	s_delay_alu instid0(VALU_DEP_1) | instskip(SKIP_1) | instid1(VALU_DEP_2)
	v_lshrrev_b32_e32 v6, 1, v5
	v_cmp_lt_u32_e32 vcc_lo, 13, v5
	v_add_nc_u32_e32 v5, 1, v6
	s_and_saveexec_b32 s3, vcc_lo
	s_cbranch_execz .LBB137_30
; %bb.27:
	s_delay_alu instid0(VALU_DEP_1)
	v_and_b32_e32 v6, -8, v5
	v_lshl_add_u32 v7, v0, 2, 0xc0
	s_mov_b32 s15, 0
	s_mov_b32 s23, 0
.LBB137_28:                             ; =>This Inner Loop Header: Depth=1
	ds_load_2addr_stride64_b32 v[10:11], v7 offset1:2
	ds_load_2addr_stride64_b32 v[12:13], v7 offset0:4 offset1:6
	ds_load_2addr_stride64_b32 v[14:15], v7 offset0:8 offset1:10
	;; [unrolled: 1-line block ×7, first 2 shown]
	s_add_co_i32 s23, s23, 16
	v_add_nc_u32_e32 v6, -8, v6
	s_wait_dscnt 0x7
	v_pk_mul_f32 v[10:11], v[2:3], v[10:11]
	s_wait_dscnt 0x6
	v_pk_mul_f32 v[12:13], v[2:3], v[12:13]
	;; [unrolled: 2-line block ×8, first 2 shown]
	ds_store_2addr_stride64_b32 v7, v10, v11 offset1:2
	ds_store_2addr_stride64_b32 v7, v12, v13 offset0:4 offset1:6
	ds_store_2addr_stride64_b32 v7, v14, v15 offset0:8 offset1:10
	;; [unrolled: 1-line block ×7, first 2 shown]
	v_mov_b32_e32 v10, s23
	v_cmp_eq_u32_e32 vcc_lo, 0, v6
	v_add_nc_u32_e32 v7, 0x2000, v7
	s_or_b32 s15, vcc_lo, s15
	s_delay_alu instid0(SALU_CYCLE_1)
	s_and_not1_b32 exec_lo, exec_lo, s15
	s_cbranch_execnz .LBB137_28
; %bb.29:
	s_or_b32 exec_lo, exec_lo, s15
.LBB137_30:
	s_delay_alu instid0(SALU_CYCLE_1) | instskip(NEXT) | instid1(VALU_DEP_1)
	s_or_b32 exec_lo, exec_lo, s3
	v_and_b32_e32 v5, 7, v5
	s_mov_b32 s15, 0
	s_mov_b32 s3, exec_lo
	s_delay_alu instid0(VALU_DEP_1)
	v_cmpx_ne_u32_e32 0, v5
	s_cbranch_execz .LBB137_33
; %bb.31:
	v_dual_lshlrev_b32 v6, 9, v10 :: v_dual_lshlrev_b32 v7, 2, v0
	s_delay_alu instid0(VALU_DEP_1)
	v_add3_u32 v6, v6, v7, 0xc0
.LBB137_32:                             ; =>This Inner Loop Header: Depth=1
	ds_load_2addr_stride64_b32 v[10:11], v6 offset1:2
	v_add_nc_u32_e32 v5, -1, v5
	s_delay_alu instid0(VALU_DEP_1)
	v_cmp_eq_u32_e32 vcc_lo, 0, v5
	s_or_b32 s15, vcc_lo, s15
	s_wait_dscnt 0x0
	v_pk_mul_f32 v[10:11], v[2:3], v[10:11]
	ds_store_2addr_stride64_b32 v6, v10, v11 offset1:2
	v_add_nc_u32_e32 v6, 0x400, v6
	s_and_not1_b32 exec_lo, exec_lo, s15
	s_cbranch_execnz .LBB137_32
.LBB137_33:
	s_or_b32 exec_lo, exec_lo, s3
	v_add_nc_u32_e32 v3, 1, v4
	s_delay_alu instid0(VALU_DEP_1) | instskip(NEXT) | instid1(VALU_DEP_1)
	v_and_b32_e32 v4, 0x3fffffe, v3
	v_cmp_ne_u32_e32 vcc_lo, v3, v4
	v_lshl_add_u32 v3, v4, 7, v0
	s_or_not1_b32 s3, vcc_lo, exec_lo
.LBB137_34:
	s_or_b32 exec_lo, exec_lo, s1
	s_delay_alu instid0(SALU_CYCLE_1)
	s_and_b32 exec_lo, exec_lo, s3
	s_cbranch_execz .LBB137_37
; %bb.35:
	v_lshl_add_u32 v4, v3, 2, 0xc0
	s_mov_b32 s1, 0
.LBB137_36:                             ; =>This Inner Loop Header: Depth=1
	ds_load_b32 v5, v4
	v_add_nc_u32_e32 v3, 0x80, v3
	s_delay_alu instid0(VALU_DEP_1)
	v_cmp_le_i32_e32 vcc_lo, s4, v3
	s_or_b32 s1, vcc_lo, s1
	s_wait_dscnt 0x0
	v_mul_f32_e32 v5, v2, v5
	ds_store_b32 v4, v5
	v_add_nc_u32_e32 v4, 0x200, v4
	s_and_not1_b32 exec_lo, exec_lo, s1
	s_cbranch_execnz .LBB137_36
.LBB137_37:
	s_or_b32 exec_lo, exec_lo, s0
	v_dual_mov_b32 v33, 0 :: v_dual_mov_b32 v32, 0
	v_dual_mov_b32 v35, 0 :: v_dual_mov_b32 v34, 0
	v_mov_b32_e32 v31, 0
	s_wait_dscnt 0x0
	s_barrier_signal -1
	s_barrier_wait -1
	s_and_saveexec_b32 s1, s2
	s_cbranch_execz .LBB137_51
; %bb.38:
	v_dual_lshlrev_b32 v2, 4, v0 :: v_dual_bitop2_b32 v3, 8, v9 bitop3:0x40
	s_ashr_i32 s15, s14, 31
	v_dual_mov_b32 v31, 0 :: v_dual_lshlrev_b32 v4, 5, v40
	s_delay_alu instid0(VALU_DEP_2)
	v_and_b32_e32 v30, 0x1f0, v2
	s_lshl_b64 s[14:15], s[14:15], 1
	s_ashr_i32 s3, s5, 31
	s_wait_kmcnt 0x0
	s_add_nc_u64 s[14:15], s[16:17], s[14:15]
	s_mov_b32 s2, s5
	v_add_nc_u64_e32 v[36:37], s[14:15], v[30:31]
	v_and_b32_e32 v30, 0x7c, v8
	s_lshl_b64 s[4:5], s[10:11], 2
	v_lshl_or_b32 v2, v41, 6, v4
	s_add_nc_u64 s[4:5], s[12:13], s[4:5]
	v_lshl_or_b32 v44, v41, 4, v3
	v_add_nc_u64_e32 v[38:39], s[4:5], v[30:31]
	v_dual_mov_b32 v33, v31 :: v_dual_mov_b32 v35, v31
	v_dual_mov_b32 v32, v31 :: v_dual_add_nc_u32 v45, 0xc0, v2
	v_dual_mov_b32 v34, v31 :: v_dual_mov_b32 v30, v41
	s_add_co_i32 s4, s22, -1
	s_mov_b32 s10, s21
	s_mov_b32 s5, 0
	s_branch .LBB137_40
.LBB137_39:                             ;   in Loop: Header=BB137_40 Depth=1
	s_or_b32 exec_lo, exec_lo, s0
	s_wait_dscnt 0x1
	v_cvt_pk_bf16_f32 v14, v14, v15
	v_cvt_pk_bf16_f32 v15, v16, v17
	s_wait_dscnt 0x0
	v_cvt_pk_bf16_f32 v10, v10, v11
	v_cvt_pk_bf16_f32 v12, v12, v13
	v_add_nc_u64_e32 v[38:39], 16, v[38:39]
	s_wait_loadcnt 0x1
	v_pk_mul_bf16 v11, v14, v26
	v_pk_mul_bf16 v16, v15, v27
	;; [unrolled: 1-line block ×5, first 2 shown]
	s_delay_alu instid0(VALU_DEP_4)
	v_dual_lshlrev_b32 v17, 16, v11 :: v_dual_lshlrev_b32 v26, 16, v16
	v_and_b32_e32 v11, 0xffff0000, v11
	v_and_b32_e32 v16, 0xffff0000, v16
	v_lshlrev_b32_e32 v27, 16, v13
	v_and_b32_e32 v13, 0xffff0000, v13
	v_pk_mul_bf16 v20, v10, v20
	s_delay_alu instid0(VALU_DEP_4)
	v_dual_add_f32 v11, v17, v11 :: v_dual_add_f32 v16, v26, v16
	v_lshlrev_b32_e32 v26, 16, v18
	v_pk_mul_bf16 v17, v12, v29
	v_add_f32_e32 v13, v27, v13
	v_pk_mul_bf16 v6, v14, v6
	v_add_f32_e32 v11, v16, v11
	v_and_b32_e32 v16, 0xffff0000, v18
	v_dual_lshlrev_b32 v18, 16, v19 :: v_dual_lshlrev_b32 v27, 16, v17
	v_and_b32_e32 v19, 0xffff0000, v19
	v_and_b32_e32 v17, 0xffff0000, v17
	s_delay_alu instid0(VALU_DEP_4) | instskip(SKIP_1) | instid1(VALU_DEP_4)
	v_dual_add_f32 v16, v26, v16 :: v_dual_add_f32 v11, v13, v11
	v_pk_mul_bf16 v7, v15, v7
	v_dual_add_f32 v18, v18, v19 :: v_dual_lshlrev_b32 v19, 16, v20
	v_and_b32_e32 v20, 0xffff0000, v20
	v_add_f32_e32 v13, v27, v17
	v_pk_mul_bf16 v2, v14, v2
	s_delay_alu instid0(VALU_DEP_4) | instskip(SKIP_1) | instid1(VALU_DEP_4)
	v_add_f32_e32 v16, v18, v16
	v_pk_mul_bf16 v18, v12, v21
	v_dual_add_f32 v17, v19, v20 :: v_dual_add_f32 v11, v13, v11
	v_lshlrev_b32_e32 v19, 16, v7
	v_and_b32_e32 v7, 0xffff0000, v7
	v_pk_mul_bf16 v3, v15, v3
	s_delay_alu instid0(VALU_DEP_4) | instskip(SKIP_4) | instid1(VALU_DEP_4)
	v_dual_add_f32 v13, v17, v16 :: v_dual_lshlrev_b32 v16, 16, v18
	v_and_b32_e32 v17, 0xffff0000, v18
	v_lshlrev_b32_e32 v18, 16, v6
	v_and_b32_e32 v6, 0xffff0000, v6
	v_pk_mul_bf16 v8, v10, v8
	v_dual_add_f32 v7, v19, v7 :: v_dual_add_f32 v16, v16, v17
	s_delay_alu instid0(VALU_DEP_3)
	v_dual_add_f32 v6, v18, v6 :: v_dual_lshlrev_b32 v19, 16, v3
	v_lshlrev_b32_e32 v18, 16, v2
	v_and_b32_e32 v2, 0xffff0000, v2
	v_and_b32_e32 v3, 0xffff0000, v3
	v_pk_mul_bf16 v9, v12, v9
	v_pk_mul_bf16 v4, v10, v4
	s_delay_alu instid0(VALU_DEP_4) | instskip(NEXT) | instid1(VALU_DEP_4)
	v_dual_add_f32 v2, v18, v2 :: v_dual_lshlrev_b32 v17, 16, v8
	v_add_f32_e32 v3, v19, v3
	v_and_b32_e32 v8, 0xffff0000, v8
	v_dual_lshlrev_b32 v18, 16, v9 :: v_dual_add_f32 v20, v7, v6
	v_pk_mul_bf16 v21, v12, v5
	s_delay_alu instid0(VALU_DEP_4)
	v_add_f32_e32 v26, v3, v2
	s_wait_loadcnt 0x0
	v_pk_mul_bf16 v2, v14, v22
	v_lshlrev_b32_e32 v27, 16, v4
	v_and_b32_e32 v14, 0xffff0000, v4
	v_pk_mul_bf16 v4, v15, v23
	v_add_f32_e32 v17, v17, v8
	v_pk_mul_bf16 v6, v10, v24
	v_pk_mul_bf16 v8, v12, v25
	v_and_b32_e32 v3, 0xffff0000, v2
	v_lshlrev_b32_e32 v5, 16, v2
	v_and_b32_e32 v2, 0xffff0000, v4
	v_lshlrev_b32_e32 v4, 16, v4
	v_and_b32_e32 v19, 0xffff0000, v9
	v_and_b32_e32 v7, 0xffff0000, v6
	v_lshlrev_b32_e32 v9, 16, v6
	v_and_b32_e32 v6, 0xffff0000, v8
	v_dual_lshlrev_b32 v8, 16, v8 :: v_dual_add_f32 v10, v27, v14
	v_pk_add_f32 v[2:3], v[4:5], v[2:3]
	v_lshlrev_b32_e32 v12, 16, v21
	v_and_b32_e32 v14, 0xffff0000, v21
	s_delay_alu instid0(VALU_DEP_4) | instskip(SKIP_4) | instid1(VALU_DEP_3)
	v_pk_add_f32 v[4:5], v[8:9], v[6:7]
	v_add_f32_e32 v6, v18, v19
	v_dual_add_f32 v2, v2, v3 :: v_dual_add_f32 v3, v17, v20
	v_dual_add_f32 v7, v10, v26 :: v_dual_add_f32 v33, v33, v11
	v_add_f32_e32 v8, v12, v14
	v_dual_add_f32 v2, v5, v2 :: v_dual_add_f32 v5, v16, v13
	s_delay_alu instid0(VALU_DEP_4) | instskip(NEXT) | instid1(VALU_DEP_3)
	v_dual_add_f32 v3, v6, v3 :: v_dual_add_nc_u32 v30, 4, v30
	v_add_f32_e32 v6, v8, v7
	s_delay_alu instid0(VALU_DEP_3) | instskip(NEXT) | instid1(VALU_DEP_3)
	v_add_f32_e32 v2, v4, v2
	v_dual_add_f32 v32, v32, v5 :: v_dual_add_f32 v35, v35, v3
	s_delay_alu instid0(VALU_DEP_4) | instskip(NEXT) | instid1(VALU_DEP_4)
	v_cmp_le_i32_e32 vcc_lo, s22, v30
	v_add_f32_e32 v34, v34, v6
	s_delay_alu instid0(VALU_DEP_4) | instskip(SKIP_2) | instid1(SALU_CYCLE_1)
	v_dual_add_f32 v31, v31, v2 :: v_dual_add_nc_u32 v44, 64, v44
	v_add_nc_u32_e32 v45, 0x100, v45
	s_or_b32 s5, vcc_lo, s5
	s_and_not1_b32 exec_lo, exec_lo, s5
	s_cbranch_execz .LBB137_50
.LBB137_40:                             ; =>This Inner Loop Header: Depth=1
	global_load_b32 v2, v[38:39], off
	v_cmp_eq_u32_e32 vcc_lo, s4, v30
	v_or_b32_e32 v50, 3, v44
	v_or_b32_e32 v52, 2, v44
	;; [unrolled: 1-line block ×5, first 2 shown]
	v_dual_add_nc_u32 v51, 1, v44 :: v_dual_bitop2_b32 v48, 6, v44 bitop3:0x54
	s_wait_loadcnt 0x0
	v_ashrrev_i32_e32 v3, 31, v2
	s_delay_alu instid0(VALU_DEP_1) | instskip(NEXT) | instid1(VALU_DEP_1)
	v_mul_u64_e32 v[2:3], s[2:3], v[2:3]
	v_lshl_add_u64 v[22:23], v[2:3], 1, v[36:37]
	global_load_b128 v[2:5], v[22:23], off
	ds_load_2addr_b64 v[14:17], v45 offset1:1
	ds_load_2addr_b64 v[10:13], v45 offset0:2 offset1:3
	s_wait_xcnt 0x0
	s_and_saveexec_b32 s11, vcc_lo
	s_cbranch_execnz .LBB137_45
; %bb.41:                               ;   in Loop: Header=BB137_40 Depth=1
	s_or_b32 exec_lo, exec_lo, s11
	global_load_b128 v[6:9], v[22:23], off offset:512
	s_wait_xcnt 0x0
	s_and_saveexec_b32 s11, vcc_lo
	s_cbranch_execnz .LBB137_46
.LBB137_42:                             ;   in Loop: Header=BB137_40 Depth=1
	s_or_b32 exec_lo, exec_lo, s11
	global_load_b128 v[18:21], v[22:23], off offset:1024
	s_wait_xcnt 0x0
	s_and_saveexec_b32 s11, vcc_lo
	s_cbranch_execnz .LBB137_47
.LBB137_43:                             ;   in Loop: Header=BB137_40 Depth=1
	s_or_b32 exec_lo, exec_lo, s11
	global_load_b128 v[26:29], v[22:23], off offset:1536
	s_wait_xcnt 0x0
	s_and_saveexec_b32 s11, vcc_lo
	s_cbranch_execnz .LBB137_48
.LBB137_44:                             ;   in Loop: Header=BB137_40 Depth=1
	s_or_b32 exec_lo, exec_lo, s11
	global_load_b128 v[22:25], v[22:23], off offset:2048
	s_wait_xcnt 0x0
	s_and_saveexec_b32 s0, vcc_lo
	s_cbranch_execz .LBB137_39
	s_branch .LBB137_49
.LBB137_45:                             ;   in Loop: Header=BB137_40 Depth=1
	v_cmp_gt_i32_e64 s0, s21, v44
	s_wait_loadcnt 0x0
	v_dual_lshrrev_b32 v6, 16, v2 :: v_dual_lshrrev_b32 v8, 16, v4
	s_delay_alu instid0(VALU_DEP_2) | instskip(SKIP_1) | instid1(VALU_DEP_1)
	v_cndmask_b32_e64 v2, 0, v2, s0
	v_cmp_gt_i32_e64 s0, s10, v51
	v_dual_lshrrev_b32 v7, 16, v3 :: v_dual_cndmask_b32 v6, 0, v6, s0
	v_cmp_gt_i32_e64 s0, s21, v52
	s_delay_alu instid0(VALU_DEP_2) | instskip(NEXT) | instid1(VALU_DEP_2)
	v_perm_b32 v2, v6, v2, 0x5040100
	v_cndmask_b32_e64 v3, 0, v3, s0
	v_cmp_gt_i32_e64 s0, s10, v50
	s_delay_alu instid0(VALU_DEP_1) | instskip(SKIP_1) | instid1(VALU_DEP_1)
	v_cndmask_b32_e64 v7, 0, v7, s0
	v_cmp_gt_i32_e64 s0, s21, v49
	v_cndmask_b32_e64 v4, 0, v4, s0
	v_cmp_gt_i32_e64 s0, s10, v47
	v_lshrrev_b32_e32 v9, 16, v5
	v_perm_b32 v3, v7, v3, 0x5040100
	s_delay_alu instid0(VALU_DEP_3) | instskip(SKIP_1) | instid1(VALU_DEP_2)
	v_cndmask_b32_e64 v8, 0, v8, s0
	v_cmp_gt_i32_e64 s0, s21, v48
	v_perm_b32 v4, v8, v4, 0x5040100
	s_delay_alu instid0(VALU_DEP_2) | instskip(SKIP_1) | instid1(VALU_DEP_1)
	v_cndmask_b32_e64 v5, 0, v5, s0
	v_cmp_gt_i32_e64 s0, s10, v46
	v_cndmask_b32_e64 v9, 0, v9, s0
	s_delay_alu instid0(VALU_DEP_1)
	v_perm_b32 v5, v9, v5, 0x5040100
	s_or_b32 exec_lo, exec_lo, s11
	global_load_b128 v[6:9], v[22:23], off offset:512
	s_wait_xcnt 0x0
	s_and_saveexec_b32 s11, vcc_lo
	s_cbranch_execz .LBB137_42
.LBB137_46:                             ;   in Loop: Header=BB137_40 Depth=1
	v_cmp_gt_i32_e64 s0, s21, v44
	s_wait_loadcnt 0x0
	v_dual_lshrrev_b32 v18, 16, v6 :: v_dual_lshrrev_b32 v20, 16, v8
	s_delay_alu instid0(VALU_DEP_2) | instskip(SKIP_1) | instid1(VALU_DEP_1)
	v_cndmask_b32_e64 v6, 0, v6, s0
	v_cmp_gt_i32_e64 s0, s10, v51
	v_dual_lshrrev_b32 v19, 16, v7 :: v_dual_cndmask_b32 v18, 0, v18, s0
	v_cmp_gt_i32_e64 s0, s21, v52
	s_delay_alu instid0(VALU_DEP_2) | instskip(NEXT) | instid1(VALU_DEP_2)
	v_perm_b32 v6, v18, v6, 0x5040100
	v_cndmask_b32_e64 v7, 0, v7, s0
	v_cmp_gt_i32_e64 s0, s10, v50
	s_delay_alu instid0(VALU_DEP_1) | instskip(SKIP_1) | instid1(VALU_DEP_1)
	v_cndmask_b32_e64 v19, 0, v19, s0
	v_cmp_gt_i32_e64 s0, s21, v49
	v_cndmask_b32_e64 v8, 0, v8, s0
	v_cmp_gt_i32_e64 s0, s10, v47
	v_lshrrev_b32_e32 v21, 16, v9
	v_perm_b32 v7, v19, v7, 0x5040100
	s_delay_alu instid0(VALU_DEP_3) | instskip(SKIP_1) | instid1(VALU_DEP_2)
	v_cndmask_b32_e64 v20, 0, v20, s0
	v_cmp_gt_i32_e64 s0, s21, v48
	v_perm_b32 v8, v20, v8, 0x5040100
	s_delay_alu instid0(VALU_DEP_2) | instskip(SKIP_1) | instid1(VALU_DEP_1)
	v_cndmask_b32_e64 v9, 0, v9, s0
	v_cmp_gt_i32_e64 s0, s10, v46
	v_cndmask_b32_e64 v21, 0, v21, s0
	s_delay_alu instid0(VALU_DEP_1)
	v_perm_b32 v9, v21, v9, 0x5040100
	s_or_b32 exec_lo, exec_lo, s11
	global_load_b128 v[18:21], v[22:23], off offset:1024
	s_wait_xcnt 0x0
	s_and_saveexec_b32 s11, vcc_lo
	s_cbranch_execz .LBB137_43
.LBB137_47:                             ;   in Loop: Header=BB137_40 Depth=1
	v_cmp_gt_i32_e64 s0, s21, v44
	s_wait_loadcnt 0x0
	s_delay_alu instid0(VALU_DEP_1) | instskip(SKIP_1) | instid1(VALU_DEP_1)
	v_dual_lshrrev_b32 v24, 16, v18 :: v_dual_cndmask_b32 v18, 0, v18, s0
	v_cmp_gt_i32_e64 s0, s10, v51
	v_dual_lshrrev_b32 v25, 16, v19 :: v_dual_cndmask_b32 v24, 0, v24, s0
	v_cmp_gt_i32_e64 s0, s21, v52
	s_delay_alu instid0(VALU_DEP_2) | instskip(NEXT) | instid1(VALU_DEP_2)
	v_perm_b32 v18, v24, v18, 0x5040100
	v_cndmask_b32_e64 v19, 0, v19, s0
	v_cmp_gt_i32_e64 s0, s10, v50
	s_delay_alu instid0(VALU_DEP_1) | instskip(SKIP_2) | instid1(VALU_DEP_3)
	v_cndmask_b32_e64 v25, 0, v25, s0
	v_cmp_gt_i32_e64 s0, s21, v49
	v_lshrrev_b32_e32 v26, 16, v20
	v_perm_b32 v19, v25, v19, 0x5040100
	s_delay_alu instid0(VALU_DEP_3) | instskip(SKIP_1) | instid1(VALU_DEP_1)
	v_cndmask_b32_e64 v20, 0, v20, s0
	v_cmp_gt_i32_e64 s0, s10, v47
	v_dual_lshrrev_b32 v27, 16, v21 :: v_dual_cndmask_b32 v26, 0, v26, s0
	v_cmp_gt_i32_e64 s0, s21, v48
	s_delay_alu instid0(VALU_DEP_2) | instskip(NEXT) | instid1(VALU_DEP_2)
	v_perm_b32 v20, v26, v20, 0x5040100
	v_cndmask_b32_e64 v21, 0, v21, s0
	v_cmp_gt_i32_e64 s0, s10, v46
	s_delay_alu instid0(VALU_DEP_1) | instskip(NEXT) | instid1(VALU_DEP_1)
	v_cndmask_b32_e64 v27, 0, v27, s0
	v_perm_b32 v21, v27, v21, 0x5040100
	s_or_b32 exec_lo, exec_lo, s11
	global_load_b128 v[26:29], v[22:23], off offset:1536
	s_wait_xcnt 0x0
	s_and_saveexec_b32 s11, vcc_lo
	s_cbranch_execz .LBB137_44
.LBB137_48:                             ;   in Loop: Header=BB137_40 Depth=1
	v_cmp_gt_i32_e64 s0, s21, v44
	s_wait_loadcnt 0x0
	s_delay_alu instid0(VALU_DEP_1) | instskip(SKIP_1) | instid1(VALU_DEP_1)
	v_dual_lshrrev_b32 v24, 16, v26 :: v_dual_cndmask_b32 v25, 0, v26, s0
	v_cmp_gt_i32_e64 s0, s10, v51
	v_dual_lshrrev_b32 v26, 16, v27 :: v_dual_cndmask_b32 v24, 0, v24, s0
	v_cmp_gt_i32_e64 s0, s21, v52
	s_delay_alu instid0(VALU_DEP_1) | instskip(SKIP_1) | instid1(VALU_DEP_1)
	v_cndmask_b32_e64 v27, 0, v27, s0
	v_cmp_gt_i32_e64 s0, s10, v50
	v_cndmask_b32_e64 v53, 0, v26, s0
	v_cmp_gt_i32_e64 s0, s21, v49
	v_lshrrev_b32_e32 v26, 16, v28
	s_delay_alu instid0(VALU_DEP_3) | instskip(NEXT) | instid1(VALU_DEP_3)
	v_perm_b32 v27, v53, v27, 0x5040100
	v_cndmask_b32_e64 v28, 0, v28, s0
	v_cmp_gt_i32_e64 s0, s10, v47
	s_delay_alu instid0(VALU_DEP_1) | instskip(SKIP_2) | instid1(VALU_DEP_3)
	v_dual_lshrrev_b32 v54, 16, v29 :: v_dual_cndmask_b32 v55, 0, v26, s0
	v_cmp_gt_i32_e64 s0, s21, v48
	v_perm_b32 v26, v24, v25, 0x5040100
	v_perm_b32 v28, v55, v28, 0x5040100
	s_delay_alu instid0(VALU_DEP_3) | instskip(SKIP_1) | instid1(VALU_DEP_1)
	v_cndmask_b32_e64 v29, 0, v29, s0
	v_cmp_gt_i32_e64 s0, s10, v46
	v_cndmask_b32_e64 v54, 0, v54, s0
	s_delay_alu instid0(VALU_DEP_1)
	v_perm_b32 v29, v54, v29, 0x5040100
	s_or_b32 exec_lo, exec_lo, s11
	global_load_b128 v[22:25], v[22:23], off offset:2048
	s_wait_xcnt 0x0
	s_and_saveexec_b32 s0, vcc_lo
	s_cbranch_execz .LBB137_39
.LBB137_49:                             ;   in Loop: Header=BB137_40 Depth=1
	v_cmp_gt_i32_e32 vcc_lo, s21, v44
	s_wait_loadcnt 0x0
	v_dual_cndmask_b32 v22, 0, v22 :: v_dual_lshrrev_b32 v53, 16, v22
	v_cmp_gt_i32_e32 vcc_lo, s10, v51
	s_delay_alu instid0(VALU_DEP_2) | instskip(SKIP_1) | instid1(VALU_DEP_2)
	v_dual_cndmask_b32 v51, 0, v53 :: v_dual_lshrrev_b32 v54, 16, v23
	v_cmp_gt_i32_e32 vcc_lo, s21, v52
	v_perm_b32 v22, v51, v22, 0x5040100
	v_cndmask_b32_e32 v23, 0, v23, vcc_lo
	v_cmp_gt_i32_e32 vcc_lo, s10, v50
	v_cndmask_b32_e32 v50, 0, v54, vcc_lo
	v_cmp_gt_i32_e32 vcc_lo, s21, v49
	v_lshrrev_b32_e32 v52, 16, v24
	s_delay_alu instid0(VALU_DEP_3) | instskip(SKIP_2) | instid1(VALU_DEP_4)
	v_perm_b32 v23, v50, v23, 0x5040100
	v_cndmask_b32_e32 v24, 0, v24, vcc_lo
	v_cmp_gt_i32_e32 vcc_lo, s10, v47
	v_dual_lshrrev_b32 v49, 16, v25 :: v_dual_cndmask_b32 v47, 0, v52, vcc_lo
	v_cmp_gt_i32_e32 vcc_lo, s21, v48
	s_delay_alu instid0(VALU_DEP_2) | instskip(SKIP_3) | instid1(VALU_DEP_1)
	v_perm_b32 v24, v47, v24, 0x5040100
	v_cndmask_b32_e32 v25, 0, v25, vcc_lo
	v_cmp_gt_i32_e32 vcc_lo, s10, v46
	v_cndmask_b32_e32 v46, 0, v49, vcc_lo
	v_perm_b32 v25, v46, v25, 0x5040100
	s_branch .LBB137_39
.LBB137_50:
	s_or_b32 exec_lo, exec_lo, s5
.LBB137_51:
	s_delay_alu instid0(SALU_CYCLE_1)
	s_or_b32 exec_lo, exec_lo, s1
	ds_bpermute_b32 v2, v43, v34
	ds_bpermute_b32 v3, v43, v35
	;; [unrolled: 1-line block ×5, first 2 shown]
	v_and_b32_e32 v10, 0x3c1, v0
	v_lshrrev_b32_e32 v7, 1, v42
	s_mov_b32 s0, exec_lo
	s_wait_dscnt 0x0
	s_barrier_signal -1
	s_barrier_wait -1
	v_pk_add_f32 v[4:5], v[34:35], v[2:3]
	v_pk_add_f32 v[2:3], v[32:33], v[8:9]
	v_cmpx_ne_u32_e32 64, v10
	s_xor_b32 s0, exec_lo, s0
	s_delay_alu instid0(SALU_CYCLE_1)
	s_or_saveexec_b32 s0, s0
	v_add_f32_e32 v6, v31, v6
	v_lshl_add_u32 v8, v7, 2, 0xc0
	v_mul_u32_u24_e32 v9, 0x140, v41
	s_xor_b32 exec_lo, exec_lo, s0
	s_cbranch_execz .LBB137_53
; %bb.52:
	s_delay_alu instid0(VALU_DEP_1) | instskip(NEXT) | instid1(VALU_DEP_1)
	v_add_nc_u32_e32 v10, v8, v9
	v_add_nc_u32_e32 v11, 0xfffffd80, v10
	;; [unrolled: 1-line block ×6, first 2 shown]
	ds_store_b32 v11, v4
	ds_store_b32 v12, v5
	;; [unrolled: 1-line block ×5, first 2 shown]
.LBB137_53:
	s_or_b32 exec_lo, exec_lo, s0
	v_lshlrev_b32_e32 v7, 2, v7
	s_mov_b32 s1, exec_lo
	v_cmp_eq_u32_e32 vcc_lo, 0, v40
	s_wait_dscnt 0x0
	s_barrier_signal -1
	v_add3_u32 v7, 0xc0, v9, v7
	s_barrier_wait -1
	v_cmpx_gt_u32_e32 64, v0
	s_cbranch_execz .LBB137_61
; %bb.54:
	s_and_saveexec_b32 s0, vcc_lo
	s_cbranch_execnz .LBB137_74
; %bb.55:
	s_or_b32 exec_lo, exec_lo, s0
	s_and_saveexec_b32 s0, vcc_lo
	s_cbranch_execnz .LBB137_75
.LBB137_56:
	s_or_b32 exec_lo, exec_lo, s0
	s_and_saveexec_b32 s0, vcc_lo
	s_cbranch_execnz .LBB137_76
.LBB137_57:
	s_or_b32 exec_lo, exec_lo, s0
	s_and_saveexec_b32 s0, vcc_lo
	s_cbranch_execnz .LBB137_77
.LBB137_58:
	s_or_b32 exec_lo, exec_lo, s0
	s_and_saveexec_b32 s0, vcc_lo
	s_cbranch_execz .LBB137_60
.LBB137_59:
	ds_load_b32 v9, v7 offset:256
	s_wait_dscnt 0x0
	v_add_f32_e32 v6, v6, v9
.LBB137_60:
	s_or_b32 exec_lo, exec_lo, s0
.LBB137_61:
	s_delay_alu instid0(SALU_CYCLE_1) | instskip(SKIP_4) | instid1(VALU_DEP_1)
	s_or_b32 exec_lo, exec_lo, s1
	v_and_b32_e32 v9, 0x3e1, v0
	s_mov_b32 s1, exec_lo
	s_barrier_signal -1
	s_barrier_wait -1
	v_cmpx_eq_u32_e32 32, v9
	s_cbranch_execz .LBB137_63
; %bb.62:
	ds_store_2addr_b32 v8, v4, v5 offset1:16
	ds_store_2addr_b32 v8, v2, v3 offset0:32 offset1:48
	ds_store_b32 v8, v6 offset:256
.LBB137_63:
	s_or_b32 exec_lo, exec_lo, s1
	s_delay_alu instid0(SALU_CYCLE_1)
	s_mov_b32 s1, exec_lo
	s_wait_dscnt 0x0
	s_barrier_signal -1
	s_barrier_wait -1
	v_cmpx_gt_u32_e32 32, v0
	s_cbranch_execz .LBB137_71
; %bb.64:
	s_and_saveexec_b32 s0, vcc_lo
	s_cbranch_execnz .LBB137_78
; %bb.65:
	s_or_b32 exec_lo, exec_lo, s0
	s_and_saveexec_b32 s0, vcc_lo
	s_cbranch_execnz .LBB137_79
.LBB137_66:
	s_or_b32 exec_lo, exec_lo, s0
	s_and_saveexec_b32 s0, vcc_lo
	s_cbranch_execnz .LBB137_80
.LBB137_67:
	s_or_b32 exec_lo, exec_lo, s0
	s_and_saveexec_b32 s0, vcc_lo
	s_cbranch_execnz .LBB137_81
.LBB137_68:
	s_or_b32 exec_lo, exec_lo, s0
	s_and_saveexec_b32 s0, vcc_lo
	s_cbranch_execz .LBB137_70
.LBB137_69:
	ds_load_b32 v0, v7 offset:256
	s_wait_dscnt 0x0
	v_add_f32_e32 v6, v6, v0
.LBB137_70:
	s_or_b32 exec_lo, exec_lo, s0
.LBB137_71:
	s_delay_alu instid0(SALU_CYCLE_1)
	s_or_b32 exec_lo, exec_lo, s1
	s_mov_b32 s1, 0
	s_barrier_signal -1
	s_barrier_wait -1
	s_mov_b32 s0, exec_lo
	v_cmpx_eq_u32_e32 0, v9
	s_cbranch_execz .LBB137_73
; %bb.72:
	s_wait_kmcnt 0x0
	s_mul_i32 s0, s20, s9
	s_mul_i32 s2, s9, s8
	;; [unrolled: 1-line block ×3, first 2 shown]
	s_lshr_b32 s8, ttmp7, 16
	s_mul_i32 s4, s0, 0x50
	s_bfe_u32 s0, ttmp6, 0x40014
	s_ashr_i32 s5, s4, 31
	s_add_co_i32 s0, s0, 1
	s_ashr_i32 s3, s2, 31
	s_mul_i32 s0, s8, s0
	s_bfe_u32 s9, ttmp6, 0x40008
	s_lshl_b64 s[4:5], s[4:5], 1
	s_lshl_b64 s[2:3], s[2:3], 1
	s_add_co_i32 s9, s9, s0
	s_cmp_eq_u32 s18, 0
	s_add_nc_u64 s[4:5], s[6:7], s[4:5]
	s_cselect_b32 s0, s8, s9
	s_add_nc_u64 s[2:3], s[4:5], s[2:3]
	s_mulk_i32 s0, 0xa0
	s_delay_alu instid0(SALU_CYCLE_1) | instskip(NEXT) | instid1(SALU_CYCLE_1)
	s_add_nc_u64 s[0:1], s[2:3], s[0:1]
	v_cvt_pk_bf16_f32 v0, v4, s0
	v_cvt_pk_bf16_f32 v4, v5, s0
	;; [unrolled: 1-line block ×5, first 2 shown]
	s_clause 0x4
	global_store_b16 v1, v0, s[0:1] scale_offset
	global_store_b16 v1, v4, s[0:1] offset:32 scale_offset
	global_store_b16 v1, v2, s[0:1] offset:64 scale_offset
	global_store_b16 v1, v3, s[0:1] offset:96 scale_offset
	global_store_b16 v1, v5, s[0:1] offset:128 scale_offset
.LBB137_73:
	s_sendmsg sendmsg(MSG_DEALLOC_VGPRS)
	s_endpgm
.LBB137_74:
	ds_load_b32 v9, v7
	s_wait_dscnt 0x0
	v_add_f32_e32 v4, v4, v9
	s_or_b32 exec_lo, exec_lo, s0
	s_and_saveexec_b32 s0, vcc_lo
	s_cbranch_execz .LBB137_56
.LBB137_75:
	ds_load_b32 v9, v7 offset:64
	s_wait_dscnt 0x0
	v_add_f32_e32 v5, v5, v9
	s_or_b32 exec_lo, exec_lo, s0
	s_and_saveexec_b32 s0, vcc_lo
	s_cbranch_execz .LBB137_57
.LBB137_76:
	ds_load_b32 v9, v7 offset:128
	s_wait_dscnt 0x0
	v_add_f32_e32 v2, v2, v9
	s_or_b32 exec_lo, exec_lo, s0
	s_and_saveexec_b32 s0, vcc_lo
	s_cbranch_execz .LBB137_58
.LBB137_77:
	ds_load_b32 v9, v7 offset:192
	s_wait_dscnt 0x0
	v_add_f32_e32 v3, v3, v9
	s_or_b32 exec_lo, exec_lo, s0
	s_and_saveexec_b32 s0, vcc_lo
	s_cbranch_execnz .LBB137_59
	s_branch .LBB137_60
.LBB137_78:
	ds_load_b32 v0, v7
	s_wait_dscnt 0x0
	v_add_f32_e32 v4, v4, v0
	s_or_b32 exec_lo, exec_lo, s0
	s_and_saveexec_b32 s0, vcc_lo
	s_cbranch_execz .LBB137_66
.LBB137_79:
	ds_load_b32 v0, v7 offset:64
	s_wait_dscnt 0x0
	v_add_f32_e32 v5, v5, v0
	s_or_b32 exec_lo, exec_lo, s0
	s_and_saveexec_b32 s0, vcc_lo
	s_cbranch_execz .LBB137_67
.LBB137_80:
	ds_load_b32 v0, v7 offset:128
	s_wait_dscnt 0x0
	v_add_f32_e32 v2, v2, v0
	s_or_b32 exec_lo, exec_lo, s0
	s_and_saveexec_b32 s0, vcc_lo
	s_cbranch_execz .LBB137_68
.LBB137_81:
	ds_load_b32 v0, v7 offset:192
	s_wait_dscnt 0x0
	v_add_f32_e32 v3, v3, v0
	s_or_b32 exec_lo, exec_lo, s0
	s_and_saveexec_b32 s0, vcc_lo
	s_cbranch_execnz .LBB137_69
	s_branch .LBB137_70
	.section	.rodata,"a",@progbits
	.p2align	6, 0x0
	.amdhsa_kernel _ZN4vllm25paged_attention_v1_kernelI14__hip_bfloat16S1_Li80ELi16ELi128ELNS_18Fp8KVCacheDataTypeE0ELb0EEEvPT_PKS3_PKT0_S9_ifPKiSB_iPKfiiiSD_SD_iiiii
		.amdhsa_group_segment_fixed_size 192
		.amdhsa_private_segment_fixed_size 0
		.amdhsa_kernarg_size 384
		.amdhsa_user_sgpr_count 2
		.amdhsa_user_sgpr_dispatch_ptr 0
		.amdhsa_user_sgpr_queue_ptr 0
		.amdhsa_user_sgpr_kernarg_segment_ptr 1
		.amdhsa_user_sgpr_dispatch_id 0
		.amdhsa_user_sgpr_kernarg_preload_length 0
		.amdhsa_user_sgpr_kernarg_preload_offset 0
		.amdhsa_user_sgpr_private_segment_size 0
		.amdhsa_wavefront_size32 1
		.amdhsa_uses_dynamic_stack 0
		.amdhsa_enable_private_segment 0
		.amdhsa_system_sgpr_workgroup_id_x 1
		.amdhsa_system_sgpr_workgroup_id_y 1
		.amdhsa_system_sgpr_workgroup_id_z 1
		.amdhsa_system_sgpr_workgroup_info 0
		.amdhsa_system_vgpr_workitem_id 0
		.amdhsa_next_free_vgpr 80
		.amdhsa_next_free_sgpr 30
		.amdhsa_named_barrier_count 0
		.amdhsa_reserve_vcc 1
		.amdhsa_float_round_mode_32 0
		.amdhsa_float_round_mode_16_64 0
		.amdhsa_float_denorm_mode_32 3
		.amdhsa_float_denorm_mode_16_64 3
		.amdhsa_fp16_overflow 0
		.amdhsa_memory_ordered 1
		.amdhsa_forward_progress 1
		.amdhsa_inst_pref_size 53
		.amdhsa_round_robin_scheduling 0
		.amdhsa_exception_fp_ieee_invalid_op 0
		.amdhsa_exception_fp_denorm_src 0
		.amdhsa_exception_fp_ieee_div_zero 0
		.amdhsa_exception_fp_ieee_overflow 0
		.amdhsa_exception_fp_ieee_underflow 0
		.amdhsa_exception_fp_ieee_inexact 0
		.amdhsa_exception_int_div_zero 0
	.end_amdhsa_kernel
	.section	.text._ZN4vllm25paged_attention_v1_kernelI14__hip_bfloat16S1_Li80ELi16ELi128ELNS_18Fp8KVCacheDataTypeE0ELb0EEEvPT_PKS3_PKT0_S9_ifPKiSB_iPKfiiiSD_SD_iiiii,"axG",@progbits,_ZN4vllm25paged_attention_v1_kernelI14__hip_bfloat16S1_Li80ELi16ELi128ELNS_18Fp8KVCacheDataTypeE0ELb0EEEvPT_PKS3_PKT0_S9_ifPKiSB_iPKfiiiSD_SD_iiiii,comdat
.Lfunc_end137:
	.size	_ZN4vllm25paged_attention_v1_kernelI14__hip_bfloat16S1_Li80ELi16ELi128ELNS_18Fp8KVCacheDataTypeE0ELb0EEEvPT_PKS3_PKT0_S9_ifPKiSB_iPKfiiiSD_SD_iiiii, .Lfunc_end137-_ZN4vllm25paged_attention_v1_kernelI14__hip_bfloat16S1_Li80ELi16ELi128ELNS_18Fp8KVCacheDataTypeE0ELb0EEEvPT_PKS3_PKT0_S9_ifPKiSB_iPKfiiiSD_SD_iiiii
                                        ; -- End function
	.set _ZN4vllm25paged_attention_v1_kernelI14__hip_bfloat16S1_Li80ELi16ELi128ELNS_18Fp8KVCacheDataTypeE0ELb0EEEvPT_PKS3_PKT0_S9_ifPKiSB_iPKfiiiSD_SD_iiiii.num_vgpr, 80
	.set _ZN4vllm25paged_attention_v1_kernelI14__hip_bfloat16S1_Li80ELi16ELi128ELNS_18Fp8KVCacheDataTypeE0ELb0EEEvPT_PKS3_PKT0_S9_ifPKiSB_iPKfiiiSD_SD_iiiii.num_agpr, 0
	.set _ZN4vllm25paged_attention_v1_kernelI14__hip_bfloat16S1_Li80ELi16ELi128ELNS_18Fp8KVCacheDataTypeE0ELb0EEEvPT_PKS3_PKT0_S9_ifPKiSB_iPKfiiiSD_SD_iiiii.numbered_sgpr, 30
	.set _ZN4vllm25paged_attention_v1_kernelI14__hip_bfloat16S1_Li80ELi16ELi128ELNS_18Fp8KVCacheDataTypeE0ELb0EEEvPT_PKS3_PKT0_S9_ifPKiSB_iPKfiiiSD_SD_iiiii.num_named_barrier, 0
	.set _ZN4vllm25paged_attention_v1_kernelI14__hip_bfloat16S1_Li80ELi16ELi128ELNS_18Fp8KVCacheDataTypeE0ELb0EEEvPT_PKS3_PKT0_S9_ifPKiSB_iPKfiiiSD_SD_iiiii.private_seg_size, 0
	.set _ZN4vllm25paged_attention_v1_kernelI14__hip_bfloat16S1_Li80ELi16ELi128ELNS_18Fp8KVCacheDataTypeE0ELb0EEEvPT_PKS3_PKT0_S9_ifPKiSB_iPKfiiiSD_SD_iiiii.uses_vcc, 1
	.set _ZN4vllm25paged_attention_v1_kernelI14__hip_bfloat16S1_Li80ELi16ELi128ELNS_18Fp8KVCacheDataTypeE0ELb0EEEvPT_PKS3_PKT0_S9_ifPKiSB_iPKfiiiSD_SD_iiiii.uses_flat_scratch, 0
	.set _ZN4vllm25paged_attention_v1_kernelI14__hip_bfloat16S1_Li80ELi16ELi128ELNS_18Fp8KVCacheDataTypeE0ELb0EEEvPT_PKS3_PKT0_S9_ifPKiSB_iPKfiiiSD_SD_iiiii.has_dyn_sized_stack, 0
	.set _ZN4vllm25paged_attention_v1_kernelI14__hip_bfloat16S1_Li80ELi16ELi128ELNS_18Fp8KVCacheDataTypeE0ELb0EEEvPT_PKS3_PKT0_S9_ifPKiSB_iPKfiiiSD_SD_iiiii.has_recursion, 0
	.set _ZN4vllm25paged_attention_v1_kernelI14__hip_bfloat16S1_Li80ELi16ELi128ELNS_18Fp8KVCacheDataTypeE0ELb0EEEvPT_PKS3_PKT0_S9_ifPKiSB_iPKfiiiSD_SD_iiiii.has_indirect_call, 0
	.section	.AMDGPU.csdata,"",@progbits
; Kernel info:
; codeLenInByte = 6748
; TotalNumSgprs: 32
; NumVgprs: 80
; ScratchSize: 0
; MemoryBound: 0
; FloatMode: 240
; IeeeMode: 1
; LDSByteSize: 192 bytes/workgroup (compile time only)
; SGPRBlocks: 0
; VGPRBlocks: 4
; NumSGPRsForWavesPerEU: 32
; NumVGPRsForWavesPerEU: 80
; NamedBarCnt: 0
; Occupancy: 12
; WaveLimiterHint : 1
; COMPUTE_PGM_RSRC2:SCRATCH_EN: 0
; COMPUTE_PGM_RSRC2:USER_SGPR: 2
; COMPUTE_PGM_RSRC2:TRAP_HANDLER: 0
; COMPUTE_PGM_RSRC2:TGID_X_EN: 1
; COMPUTE_PGM_RSRC2:TGID_Y_EN: 1
; COMPUTE_PGM_RSRC2:TGID_Z_EN: 1
; COMPUTE_PGM_RSRC2:TIDIG_COMP_CNT: 0
	.section	.text._ZN4vllm25paged_attention_v1_kernelI14__hip_bfloat16S1_Li96ELi16ELi128ELNS_18Fp8KVCacheDataTypeE0ELb0EEEvPT_PKS3_PKT0_S9_ifPKiSB_iPKfiiiSD_SD_iiiii,"axG",@progbits,_ZN4vllm25paged_attention_v1_kernelI14__hip_bfloat16S1_Li96ELi16ELi128ELNS_18Fp8KVCacheDataTypeE0ELb0EEEvPT_PKS3_PKT0_S9_ifPKiSB_iPKfiiiSD_SD_iiiii,comdat
	.protected	_ZN4vllm25paged_attention_v1_kernelI14__hip_bfloat16S1_Li96ELi16ELi128ELNS_18Fp8KVCacheDataTypeE0ELb0EEEvPT_PKS3_PKT0_S9_ifPKiSB_iPKfiiiSD_SD_iiiii ; -- Begin function _ZN4vllm25paged_attention_v1_kernelI14__hip_bfloat16S1_Li96ELi16ELi128ELNS_18Fp8KVCacheDataTypeE0ELb0EEEvPT_PKS3_PKT0_S9_ifPKiSB_iPKfiiiSD_SD_iiiii
	.globl	_ZN4vllm25paged_attention_v1_kernelI14__hip_bfloat16S1_Li96ELi16ELi128ELNS_18Fp8KVCacheDataTypeE0ELb0EEEvPT_PKS3_PKT0_S9_ifPKiSB_iPKfiiiSD_SD_iiiii
	.p2align	8
	.type	_ZN4vllm25paged_attention_v1_kernelI14__hip_bfloat16S1_Li96ELi16ELi128ELNS_18Fp8KVCacheDataTypeE0ELb0EEEvPT_PKS3_PKT0_S9_ifPKiSB_iPKfiiiSD_SD_iiiii,@function
_ZN4vllm25paged_attention_v1_kernelI14__hip_bfloat16S1_Li96ELi16ELi128ELNS_18Fp8KVCacheDataTypeE0ELb0EEEvPT_PKS3_PKT0_S9_ifPKiSB_iPKfiiiSD_SD_iiiii: ; @_ZN4vllm25paged_attention_v1_kernelI14__hip_bfloat16S1_Li96ELi16ELi128ELNS_18Fp8KVCacheDataTypeE0ELb0EEEvPT_PKS3_PKT0_S9_ifPKiSB_iPKfiiiSD_SD_iiiii
; %bb.0:
	s_load_b64 s[6:7], s[0:1], 0x20
	s_bfe_u32 s3, ttmp6, 0x4000c
	s_bfe_u32 s5, ttmp6, 0x40010
	s_and_b32 s4, ttmp7, 0xffff
	s_add_co_i32 s3, s3, 1
	s_add_co_i32 s5, s5, 1
	s_and_b32 s2, ttmp6, 15
	s_bfe_u32 s8, ttmp6, 0x40004
	s_mul_i32 s3, ttmp9, s3
	s_mul_i32 s5, s4, s5
	s_getreg_b32 s18, hwreg(HW_REG_IB_STS2, 6, 4)
	s_add_co_i32 s2, s2, s3
	s_add_co_i32 s8, s8, s5
	s_cmp_eq_u32 s18, 0
	s_clause 0x1
	s_load_b32 s19, s[0:1], 0x80
	s_load_b64 s[10:11], s[0:1], 0x30
	s_cselect_b32 s20, s4, s8
	s_cselect_b32 s8, ttmp9, s2
	s_wait_kmcnt 0x0
	s_abs_i32 s2, s6
	s_delay_alu instid0(SALU_CYCLE_1) | instskip(SKIP_1) | instid1(SALU_CYCLE_2)
	s_cvt_f32_u32 s3, s2
	s_sub_co_i32 s4, 0, s2
	v_rcp_iflag_f32_e32 v1, s3
	s_abs_i32 s5, s19
	v_nop
	s_delay_alu instid0(TRANS32_DEP_1) | instskip(SKIP_1) | instid1(SALU_CYCLE_3)
	v_readfirstlane_b32 s3, v1
	s_mul_f32 s3, s3, 0x4f7ffffe
	s_cvt_u32_f32 s3, s3
	s_delay_alu instid0(SALU_CYCLE_3) | instskip(NEXT) | instid1(SALU_CYCLE_1)
	s_mul_i32 s4, s4, s3
	s_mul_hi_u32 s4, s3, s4
	s_delay_alu instid0(SALU_CYCLE_1) | instskip(SKIP_4) | instid1(SALU_CYCLE_1)
	s_add_co_i32 s3, s3, s4
	s_xor_b32 s4, s19, s6
	s_mul_hi_u32 s3, s5, s3
	s_ashr_i32 s4, s4, 31
	s_mul_i32 s6, s3, s2
	s_sub_co_i32 s5, s5, s6
	s_add_co_i32 s6, s3, 1
	s_sub_co_i32 s9, s5, s2
	s_cmp_ge_u32 s5, s2
	s_cselect_b32 s3, s6, s3
	s_cselect_b32 s5, s9, s5
	s_add_co_i32 s6, s3, 1
	s_cmp_ge_u32 s5, s2
	s_cselect_b32 s2, s6, s3
	s_mov_b32 s3, 0
	s_xor_b32 s2, s2, s4
	s_mov_b32 s13, s3
	s_sub_co_i32 s15, s2, s4
	s_load_b64 s[4:5], s[0:1], 0x40
	s_abs_i32 s14, s15
	s_mov_b32 s23, s3
	s_cvt_f32_u32 s2, s14
	s_delay_alu instid0(SALU_CYCLE_3) | instskip(SKIP_1) | instid1(TRANS32_DEP_1)
	v_rcp_iflag_f32_e32 v1, s2
	v_nop
	v_readfirstlane_b32 s2, v1
	s_mul_f32 s2, s2, 0x4f7ffffe
	s_delay_alu instid0(SALU_CYCLE_3) | instskip(SKIP_1) | instid1(SALU_CYCLE_2)
	s_cvt_u32_f32 s6, s2
	s_sub_co_i32 s2, 0, s14
	s_mul_i32 s2, s2, s6
	s_delay_alu instid0(SALU_CYCLE_1)
	s_mul_hi_u32 s9, s6, s2
	s_abs_i32 s2, s8
	s_add_co_i32 s12, s6, s9
	s_wait_kmcnt 0x0
	s_cmp_eq_u64 s[4:5], 0
	s_cbranch_scc1 .LBB138_2
; %bb.1:
	s_ashr_i32 s9, s8, 31
	s_delay_alu instid0(SALU_CYCLE_1) | instskip(NEXT) | instid1(SALU_CYCLE_1)
	s_lshl_b64 s[16:17], s[8:9], 2
	s_add_nc_u64 s[4:5], s[4:5], s[16:17]
	s_load_b32 s23, s[4:5], 0x0
.LBB138_2:
	s_load_b32 s21, s[10:11], s20 offset:0x0 scale_offset
	s_wait_xcnt 0x0
	s_load_b96 s[4:6], s[0:1], 0x48
	v_dual_lshrrev_b32 v1, 1, v0 :: v_dual_bitop2_b32 v44, 1, v0 bitop3:0x40
	s_ashr_i32 s16, s8, 31
	s_ashr_i32 s15, s15, 31
	s_mul_u64 s[10:11], s[2:3], s[12:13]
	s_mulk_i32 s8, 0x60
	s_mov_b32 s3, exec_lo
	v_cmpx_gt_u32_e32 24, v0
	s_cbranch_execz .LBB138_4
; %bb.3:
	s_load_b64 s[12:13], s[0:1], 0x8
	s_wait_kmcnt 0x0
	s_mul_i32 s24, s4, s20
	s_ashr_i32 s9, s8, 31
	s_ashr_i32 s25, s24, 31
	v_lshlrev_b32_e32 v4, 3, v1
	s_lshl_b64 s[24:25], s[24:25], 1
	s_delay_alu instid0(VALU_DEP_1) | instskip(SKIP_2) | instid1(SALU_CYCLE_1)
	v_mad_u32_u24 v4, 0x60, v44, v4
	s_add_nc_u64 s[12:13], s[12:13], s[24:25]
	s_lshl_b64 s[24:25], s[8:9], 1
	s_add_nc_u64 s[12:13], s[12:13], s[24:25]
	global_load_b64 v[2:3], v0, s[12:13] scale_offset
	s_wait_loadcnt 0x0
	ds_store_b64 v4, v[2:3]
.LBB138_4:
	s_or_b32 exec_lo, exec_lo, s3
	s_wait_kmcnt 0x0
	s_add_co_i32 s3, s21, 15
	s_load_b32 s4, s[0:1], 0x38
	s_ashr_i32 s9, s3, 31
	s_mul_i32 s12, s11, s14
	s_lshr_b32 s9, s9, 28
	s_sub_co_i32 s2, s2, s12
	s_add_co_i32 s3, s3, s9
	s_xor_b32 s10, s16, s15
	s_ashr_i32 s22, s3, 4
	s_add_co_i32 s3, s11, 1
	s_sub_co_i32 s9, s2, s14
	s_cmp_ge_u32 s2, s14
	v_lshrrev_b32_e32 v45, 5, v0
	s_cselect_b32 s3, s3, s11
	s_cselect_b32 s2, s9, s2
	s_add_co_i32 s9, s3, 1
	s_cmp_ge_u32 s2, s14
	v_mbcnt_lo_u32_b32 v10, -1, 0
	s_cselect_b32 s2, s9, s3
	s_wait_dscnt 0x0
	s_xor_b32 s2, s2, s10
	s_barrier_signal -1
	s_sub_co_i32 s3, s2, s10
	v_cmp_gt_i32_e64 s2, s22, v45
	s_wait_kmcnt 0x0
	s_mul_i32 s10, s4, s20
	s_mov_b32 s4, exec_lo
	s_ashr_i32 s11, s10, 31
	s_barrier_wait -1
                                        ; implicit-def: $vgpr3
                                        ; implicit-def: $vgpr11
	v_cmpx_le_i32_e64 s22, v45
	s_xor_b32 s4, exec_lo, s4
; %bb.5:
	v_dual_mov_b32 v3, 0 :: v_dual_mov_b32 v11, 32
	v_mbcnt_lo_u32_b32 v10, -1, 0
; %bb.6:
	s_or_saveexec_b32 s24, s4
	s_clause 0x1
	s_load_b64 s[12:13], s[0:1], 0x28
	s_load_b32 s9, s[0:1], 0x88
	v_dual_mov_b32 v2, 0xff7fffff :: v_dual_lshlrev_b32 v9, 3, v0
	v_lshrrev_b32_e32 v8, 3, v0
	s_mul_i32 s14, s3, s6
	s_xor_b32 exec_lo, exec_lo, s24
	s_cbranch_execz .LBB138_12
; %bb.7:
	v_mul_u32_u24_e32 v11, 0x60, v44
	s_load_b64 s[16:17], s[0:1], 0x10
	v_bfe_u32 v63, v0, 1, 4
	s_ashr_i32 s15, s14, 31
	v_mov_b32_e32 v3, 0
	ds_load_b128 v[4:7], v11
	ds_load_b128 v[24:27], v11 offset:16
	ds_load_b128 v[32:35], v11 offset:32
	;; [unrolled: 1-line block ×4, first 2 shown]
	v_lshlrev_b32_e32 v2, 4, v63
	s_lshl_b64 s[26:27], s[14:15], 1
	s_mov_b32 s6, 0
	v_mov_b32_e32 v65, v45
	s_wait_kmcnt 0x0
	s_add_nc_u64 s[16:17], s[16:17], s[26:27]
	s_wait_dscnt 0x4
	v_dual_lshlrev_b32 v12, 16, v4 :: v_dual_lshlrev_b32 v14, 16, v5
	v_and_b32_e32 v13, 0xffff0000, v4
	v_and_b32_e32 v15, 0xffff0000, v5
	v_dual_lshlrev_b32 v16, 16, v6 :: v_dual_lshlrev_b32 v18, 16, v7
	v_and_b32_e32 v17, 0xffff0000, v6
	v_and_b32_e32 v19, 0xffff0000, v7
	ds_load_b128 v[4:7], v11 offset:80
	s_wait_dscnt 0x4
	v_dual_lshlrev_b32 v20, 16, v24 :: v_dual_lshlrev_b32 v22, 16, v25
	v_and_b32_e32 v21, 0xffff0000, v24
	v_and_b32_e32 v23, 0xffff0000, v25
	v_lshlrev_b32_e32 v24, 16, v26
	v_and_b32_e32 v25, 0xffff0000, v26
	v_lshlrev_b32_e32 v26, 16, v27
	v_and_b32_e32 v27, 0xffff0000, v27
	s_wait_dscnt 0x3
	v_dual_lshlrev_b32 v28, 16, v32 :: v_dual_lshlrev_b32 v30, 16, v33
	v_and_b32_e32 v29, 0xffff0000, v32
	v_and_b32_e32 v31, 0xffff0000, v33
	v_lshlrev_b32_e32 v32, 16, v34
	v_and_b32_e32 v33, 0xffff0000, v34
	v_lshlrev_b32_e32 v34, 16, v35
	v_and_b32_e32 v35, 0xffff0000, v35
	s_wait_dscnt 0x2
	v_dual_lshlrev_b32 v36, 16, v40 :: v_dual_lshlrev_b32 v38, 16, v41
	v_and_b32_e32 v37, 0xffff0000, v40
	s_wait_dscnt 0x0
	v_dual_lshlrev_b32 v58, 16, v6 :: v_dual_lshlrev_b32 v60, 16, v7
	v_and_b32_e32 v59, 0xffff0000, v6
	v_xor_b32_e32 v6, 1, v10
	v_and_b32_e32 v61, 0xffff0000, v7
	v_dual_lshlrev_b32 v7, 2, v63 :: v_dual_lshlrev_b32 v54, 16, v4
	v_lshlrev_b32_e32 v56, 16, v5
	s_delay_alu instid0(VALU_DEP_4)
	v_cmp_gt_i32_e32 vcc_lo, 32, v6
	v_and_b32_e32 v55, 0xffff0000, v4
	v_and_b32_e32 v57, 0xffff0000, v5
	v_add_nc_u64_e32 v[4:5], s[16:17], v[2:3]
	v_dual_cndmask_b32 v6, v10, v6, vcc_lo :: v_dual_bitop2_b32 v2, 8, v9 bitop3:0x40
	s_ashr_i32 s17, s5, 31
	s_cmp_neq_f32 s23, 0
	v_and_b32_e32 v39, 0xffff0000, v41
	v_lshlrev_b32_e32 v40, 16, v42
	s_delay_alu instid0(VALU_DEP_4)
	v_add_nc_u64_e32 v[4:5], v[4:5], v[2:3]
	v_dual_mov_b32 v11, 32 :: v_dual_lshlrev_b32 v62, 2, v6
	v_lshl_or_b32 v6, v45, 6, v7
	v_and_b32_e32 v2, 0x7c, v8
	s_cselect_b32 s3, -1, 0
	s_lshl_b64 s[26:27], s[10:11], 2
	v_and_b32_e32 v41, 0xffff0000, v42
	s_add_nc_u64 s[26:27], s[12:13], s[26:27]
	v_add_nc_u32_e32 v64, 0xe0, v6
	v_add_nc_u64_e32 v[6:7], s[26:27], v[2:3]
	v_lshlrev_b32_e32 v42, 16, v43
	v_and_b32_e32 v43, 0xffff0000, v43
	v_dual_lshlrev_b32 v46, 16, v50 :: v_dual_lshlrev_b32 v48, 16, v51
	v_and_b32_e32 v47, 0xffff0000, v50
	v_and_b32_e32 v49, 0xffff0000, v51
	v_lshlrev_b32_e32 v50, 16, v52
	v_and_b32_e32 v51, 0xffff0000, v52
	v_lshlrev_b32_e32 v52, 16, v53
	v_and_b32_e32 v53, 0xffff0000, v53
	v_lshl_or_b32 v63, v45, 4, v63
	v_mov_b32_e32 v2, 0xff7fffff
	s_mov_b32 s16, s5
	s_sub_co_i32 s15, 1, s21
	v_cmp_eq_u32_e32 vcc_lo, 0, v44
	s_branch .LBB138_9
.LBB138_8:                              ;   in Loop: Header=BB138_9 Depth=1
	s_or_b32 exec_lo, exec_lo, s25
	v_dual_add_nc_u32 v65, 4, v65 :: v_dual_add_nc_u32 v63, 64, v63
	v_add_nc_u64_e32 v[6:7], 16, v[6:7]
	v_add_nc_u32_e32 v64, 0x100, v64
	s_delay_alu instid0(VALU_DEP_3) | instskip(SKIP_1) | instid1(SALU_CYCLE_1)
	v_cmp_le_i32_e64 s4, s22, v65
	s_or_b32 s6, s4, s6
	s_and_not1_b32 exec_lo, exec_lo, s6
	s_cbranch_execz .LBB138_11
.LBB138_9:                              ; =>This Inner Loop Header: Depth=1
	global_load_b32 v66, v[6:7], off
	s_wait_loadcnt_dscnt 0x0
	v_ashrrev_i32_e32 v67, 31, v66
	s_delay_alu instid0(VALU_DEP_1) | instskip(NEXT) | instid1(VALU_DEP_1)
	v_mul_u64_e32 v[66:67], s[16:17], v[66:67]
	v_lshl_add_u64 v[66:67], v[66:67], 1, v[4:5]
	s_clause 0xb
	global_load_b64 v[68:69], v[66:67], off offset:256
	global_load_b64 v[70:71], v[66:67], off offset:512
	;; [unrolled: 1-line block ×3, first 2 shown]
	global_load_b64 v[74:75], v[66:67], off
	global_load_b64 v[76:77], v[66:67], off offset:1024
	global_load_b64 v[78:79], v[66:67], off offset:1280
	;; [unrolled: 1-line block ×8, first 2 shown]
	s_wait_loadcnt 0xb
	v_lshlrev_b32_e32 v90, 16, v68
	v_and_b32_e32 v68, 0xffff0000, v68
	v_lshlrev_b32_e32 v91, 16, v69
	v_and_b32_e32 v69, 0xffff0000, v69
	s_delay_alu instid0(VALU_DEP_3) | instskip(NEXT) | instid1(VALU_DEP_2)
	v_dual_mul_f32 v90, v16, v90 :: v_dual_mul_f32 v68, v17, v68
	v_dual_mul_f32 v91, v18, v91 :: v_dual_mul_f32 v69, v19, v69
	s_wait_loadcnt 0x8
	s_delay_alu instid0(VALU_DEP_2) | instskip(NEXT) | instid1(VALU_DEP_3)
	v_fma_mix_f32_bf16 v90, v12, v74, v90 op_sel_hi:[0,1,0]
	v_fma_mix_f32_bf16 v68, v13, v74, v68 op_sel:[0,1,0] op_sel_hi:[0,1,0]
	s_delay_alu instid0(VALU_DEP_3) | instskip(SKIP_1) | instid1(VALU_DEP_4)
	v_fma_mix_f32_bf16 v74, v14, v75, v91 op_sel_hi:[0,1,0]
	v_fma_mix_f32_bf16 v69, v15, v75, v69 op_sel:[0,1,0] op_sel_hi:[0,1,0]
	v_fma_mix_f32_bf16 v90, v20, v70, v90 op_sel_hi:[0,1,0]
	s_delay_alu instid0(VALU_DEP_4) | instskip(NEXT) | instid1(VALU_DEP_4)
	v_fma_mix_f32_bf16 v68, v21, v70, v68 op_sel:[0,1,0] op_sel_hi:[0,1,0]
	v_fma_mix_f32_bf16 v70, v22, v71, v74 op_sel_hi:[0,1,0]
	s_delay_alu instid0(VALU_DEP_4) | instskip(NEXT) | instid1(VALU_DEP_4)
	;; [unrolled: 3-line block ×3, first 2 shown]
	v_fma_mix_f32_bf16 v68, v25, v72, v68 op_sel:[0,1,0] op_sel_hi:[0,1,0]
	v_fma_mix_f32_bf16 v70, v26, v73, v70 op_sel_hi:[0,1,0]
	s_delay_alu instid0(VALU_DEP_4)
	v_fma_mix_f32_bf16 v69, v27, v73, v69 op_sel:[0,1,0] op_sel_hi:[0,1,0]
	s_wait_loadcnt 0x7
	v_fma_mix_f32_bf16 v71, v28, v76, v74 op_sel_hi:[0,1,0]
	v_fma_mix_f32_bf16 v68, v29, v76, v68 op_sel:[0,1,0] op_sel_hi:[0,1,0]
	v_fma_mix_f32_bf16 v70, v30, v77, v70 op_sel_hi:[0,1,0]
	v_fma_mix_f32_bf16 v69, v31, v77, v69 op_sel:[0,1,0] op_sel_hi:[0,1,0]
	s_wait_loadcnt 0x6
	v_fma_mix_f32_bf16 v71, v32, v78, v71 op_sel_hi:[0,1,0]
	v_fma_mix_f32_bf16 v68, v33, v78, v68 op_sel:[0,1,0] op_sel_hi:[0,1,0]
	v_fma_mix_f32_bf16 v70, v34, v79, v70 op_sel_hi:[0,1,0]
	;; [unrolled: 5-line block ×7, first 2 shown]
	s_wait_loadcnt 0x0
	s_delay_alu instid0(VALU_DEP_3) | instskip(SKIP_4) | instid1(VALU_DEP_3)
	v_fma_mix_f32_bf16 v71, v58, v66, v71 op_sel_hi:[0,1,0]
	s_wait_xcnt 0x0
	v_fma_mix_f32_bf16 v66, v59, v66, v68 op_sel:[0,1,0] op_sel_hi:[0,1,0]
	v_fma_mix_f32_bf16 v68, v57, v89, v69 op_sel:[0,1,0] op_sel_hi:[0,1,0]
	v_fma_mix_f32_bf16 v69, v60, v67, v70 op_sel_hi:[0,1,0]
	v_add_f32_e32 v66, v71, v66
	s_delay_alu instid0(VALU_DEP_3) | instskip(NEXT) | instid1(VALU_DEP_2)
	v_fma_mix_f32_bf16 v67, v61, v67, v68 op_sel:[0,1,0] op_sel_hi:[0,1,0]
	v_add_f32_e32 v66, v66, v69
	s_delay_alu instid0(VALU_DEP_1)
	v_add_f32_e32 v66, v67, v66
	ds_bpermute_b32 v67, v62, v66
	s_and_saveexec_b32 s25, vcc_lo
	s_cbranch_execz .LBB138_8
; %bb.10:                               ;   in Loop: Header=BB138_9 Depth=1
	s_wait_dscnt 0x0
	v_add_f32_e32 v66, v66, v67
	v_add_nc_u32_e32 v68, s15, v63
	v_cmp_gt_i32_e64 s4, s21, v63
	s_delay_alu instid0(VALU_DEP_2) | instskip(NEXT) | instid1(VALU_DEP_1)
	v_cvt_f32_i32_e32 v68, v68
	v_mul_f32_e32 v68, s23, v68
	s_delay_alu instid0(VALU_DEP_1) | instskip(NEXT) | instid1(VALU_DEP_1)
	v_dual_cndmask_b32 v67, 0, v68, s3 :: v_dual_max_num_f32 v68, v2, v2
	v_fmac_f32_e32 v67, s7, v66
	s_delay_alu instid0(VALU_DEP_1) | instskip(NEXT) | instid1(VALU_DEP_1)
	v_dual_max_num_f32 v66, v68, v67 :: v_dual_cndmask_b32 v67, 0, v67, s4
	v_cndmask_b32_e64 v2, v2, v66, s4
	ds_store_b32 v64, v67
	s_branch .LBB138_8
.LBB138_11:
	s_or_b32 exec_lo, exec_lo, s6
.LBB138_12:
	s_delay_alu instid0(SALU_CYCLE_1)
	s_or_b32 exec_lo, exec_lo, s24
	v_xor_b32_e32 v4, 16, v10
	s_clause 0x1
	s_load_b64 s[6:7], s[0:1], 0x0
	s_load_b64 s[16:17], s[0:1], 0x18
	v_and_b32_e32 v46, 31, v0
	v_xor_b32_e32 v6, 8, v10
	v_cmp_lt_i32_e32 vcc_lo, v4, v11
	v_cndmask_b32_e32 v4, v10, v4, vcc_lo
	s_delay_alu instid0(VALU_DEP_3) | instskip(NEXT) | instid1(VALU_DEP_2)
	v_cmp_lt_i32_e32 vcc_lo, v6, v11
	v_lshlrev_b32_e32 v4, 2, v4
	ds_bpermute_b32 v5, v4, v2
	s_wait_dscnt 0x0
	v_dual_max_num_f32 v2, v2, v2 :: v_dual_max_num_f32 v7, v5, v5
	s_delay_alu instid0(VALU_DEP_1) | instskip(SKIP_1) | instid1(VALU_DEP_2)
	v_dual_max_num_f32 v2, v2, v7 :: v_dual_bitop2_b32 v7, 4, v10 bitop3:0x14
	v_cndmask_b32_e32 v6, v10, v6, vcc_lo
	v_cmp_lt_i32_e32 vcc_lo, v7, v11
	s_delay_alu instid0(VALU_DEP_2) | instskip(SKIP_3) | instid1(VALU_DEP_1)
	v_dual_cndmask_b32 v7, v10, v7, vcc_lo :: v_dual_lshlrev_b32 v5, 2, v6
	ds_bpermute_b32 v6, v5, v2
	s_wait_dscnt 0x0
	v_dual_max_num_f32 v12, v6, v6 :: v_dual_lshlrev_b32 v6, 2, v7
	v_max_num_f32_e32 v2, v2, v12
	ds_bpermute_b32 v7, v6, v2
	s_wait_dscnt 0x0
	v_dual_max_num_f32 v7, v7, v7 :: v_dual_bitop2_b32 v12, 2, v10 bitop3:0x14
	s_delay_alu instid0(VALU_DEP_1) | instskip(SKIP_1) | instid1(VALU_DEP_3)
	v_cmp_lt_i32_e32 vcc_lo, v12, v11
	v_cndmask_b32_e32 v13, v10, v12, vcc_lo
	v_dual_max_num_f32 v12, v2, v7 :: v_dual_lshlrev_b32 v7, 2, v45
	v_cmp_eq_u32_e32 vcc_lo, 0, v46
	s_delay_alu instid0(VALU_DEP_3)
	v_lshlrev_b32_e32 v2, 2, v13
	ds_bpermute_b32 v13, v2, v12
	s_wait_xcnt 0x0
	s_and_saveexec_b32 s0, vcc_lo
	s_cbranch_execz .LBB138_14
; %bb.13:
	s_wait_dscnt 0x0
	v_dual_max_num_f32 v13, v13, v13 :: v_dual_max_num_f32 v12, v12, v12
	s_delay_alu instid0(VALU_DEP_1)
	v_max_num_f32_e32 v12, v12, v13
	ds_store_b32 v7, v12 offset:192
.LBB138_14:
	s_or_b32 exec_lo, exec_lo, s0
	v_cmp_gt_u32_e64 s0, 4, v46
	s_wait_dscnt 0x0
	v_dual_mov_b32 v13, 0xff7fffff :: v_dual_lshlrev_b32 v12, 2, v46
	s_barrier_signal -1
	s_barrier_wait -1
	s_and_saveexec_b32 s1, s0
; %bb.15:
	ds_load_b32 v13, v12 offset:192
; %bb.16:
	s_or_b32 exec_lo, exec_lo, s1
	s_wait_dscnt 0x0
	ds_bpermute_b32 v14, v2, v13
	v_dual_max_num_f32 v13, v13, v13 :: v_dual_bitop2_b32 v15, 1, v10 bitop3:0x14
	v_lshlrev_b32_e32 v3, 2, v3
	s_delay_alu instid0(VALU_DEP_2) | instskip(NEXT) | instid1(VALU_DEP_1)
	v_cmp_lt_i32_e64 s1, v15, v11
	v_cndmask_b32_e64 v11, v10, v15, s1
	s_lshl_b32 s1, s22, 4
	s_delay_alu instid0(SALU_CYCLE_1) | instskip(NEXT) | instid1(VALU_DEP_1)
	s_min_i32 s4, s1, s21
	v_lshlrev_b32_e32 v47, 2, v11
	v_cmp_gt_i32_e64 s1, s4, v0
	s_wait_dscnt 0x0
	v_max_num_f32_e32 v14, v14, v14
	s_delay_alu instid0(VALU_DEP_1) | instskip(SKIP_3) | instid1(VALU_DEP_1)
	v_max_num_f32_e32 v11, v13, v14
	ds_bpermute_b32 v13, v47, v11
	s_wait_dscnt 0x0
	v_max_num_f32_e32 v13, v13, v13
	v_max_num_f32_e32 v11, v11, v13
	ds_bpermute_b32 v11, v3, v11
	v_mov_b32_e32 v3, 0
	s_and_saveexec_b32 s15, s1
	s_cbranch_execz .LBB138_20
; %bb.17:
	v_lshl_add_u32 v13, v0, 2, 0xe0
	v_dual_mov_b32 v3, 0 :: v_dual_mov_b32 v14, v0
	s_mov_b32 s23, 0
.LBB138_18:                             ; =>This Inner Loop Header: Depth=1
	ds_load_b32 v15, v13
	v_add_nc_u32_e32 v14, 0x80, v14
	s_delay_alu instid0(VALU_DEP_1) | instskip(SKIP_3) | instid1(VALU_DEP_1)
	v_cmp_le_i32_e64 s3, s4, v14
	s_or_b32 s23, s3, s23
	s_wait_dscnt 0x0
	v_sub_f32_e32 v15, v15, v11
	v_mul_f32_e32 v15, 0x3fb8aa3b, v15
	s_delay_alu instid0(VALU_DEP_1)
	v_exp_f32_e32 v15, v15
	ds_store_b32 v13, v15
	v_nop
	v_add_f32_e32 v3, v3, v15
	v_add_nc_u32_e32 v13, 0x200, v13
	s_and_not1_b32 exec_lo, exec_lo, s23
	s_cbranch_execnz .LBB138_18
; %bb.19:
	s_or_b32 exec_lo, exec_lo, s23
.LBB138_20:
	s_delay_alu instid0(SALU_CYCLE_1)
	s_or_b32 exec_lo, exec_lo, s15
	ds_bpermute_b32 v4, v4, v3
	s_wait_dscnt 0x0
	v_add_f32_e32 v3, v3, v4
	ds_bpermute_b32 v4, v5, v3
	s_wait_dscnt 0x0
	v_add_f32_e32 v3, v3, v4
	ds_bpermute_b32 v4, v6, v3
	s_wait_dscnt 0x0
	v_add_f32_e32 v3, v3, v4
	ds_bpermute_b32 v4, v2, v3
	s_wait_dscnt 0x0
	v_add_f32_e32 v3, v3, v4
	ds_bpermute_b32 v4, v47, v3
	s_wait_dscnt 0x0
	v_add_f32_e32 v3, v3, v4
	s_and_saveexec_b32 s3, vcc_lo
; %bb.21:
	ds_store_b32 v7, v3 offset:208
; %bb.22:
	s_or_b32 exec_lo, exec_lo, s3
	s_wait_dscnt 0x0
	s_barrier_signal -1
	s_barrier_wait -1
	s_and_saveexec_b32 s3, s0
; %bb.23:
	ds_load_b32 v3, v12 offset:208
; %bb.24:
	s_or_b32 exec_lo, exec_lo, s3
	s_wait_dscnt 0x0
	ds_bpermute_b32 v2, v2, v3
	s_wait_dscnt 0x0
	v_add_f32_e32 v2, v3, v2
	ds_bpermute_b32 v3, v47, v2
	s_wait_dscnt 0x0
	v_dual_lshlrev_b32 v4, 2, v10 :: v_dual_add_f32 v2, v2, v3
	s_delay_alu instid0(VALU_DEP_1)
	v_and_b32_e32 v3, 0xffffff80, v4
	ds_bpermute_b32 v2, v3, v2
	s_and_saveexec_b32 s0, s1
	s_cbranch_execz .LBB138_37
; %bb.25:
	s_wait_dscnt 0x0
	v_add_f32_e32 v2, 0x358637bd, v2
	s_mov_b32 s3, -1
	s_mov_b32 s1, exec_lo
	s_delay_alu instid0(VALU_DEP_1) | instskip(NEXT) | instid1(VALU_DEP_1)
	v_div_scale_f32 v3, null, v2, v2, 1.0
	v_rcp_f32_e32 v5, v3
	v_nop
	s_delay_alu instid0(TRANS32_DEP_1) | instskip(NEXT) | instid1(VALU_DEP_1)
	v_fma_f32 v4, -v3, v5, 1.0
	v_fmac_f32_e32 v5, v4, v5
	v_div_scale_f32 v6, vcc_lo, 1.0, v2, 1.0
	s_delay_alu instid0(VALU_DEP_1) | instskip(NEXT) | instid1(VALU_DEP_1)
	v_mul_f32_e32 v7, v6, v5
	v_fma_f32 v4, -v3, v7, v6
	s_delay_alu instid0(VALU_DEP_1) | instskip(SKIP_1) | instid1(VALU_DEP_2)
	v_fmac_f32_e32 v7, v4, v5
	v_xad_u32 v4, v0, -1, s4
	v_fma_f32 v3, -v3, v7, v6
	s_delay_alu instid0(VALU_DEP_1) | instskip(NEXT) | instid1(VALU_DEP_1)
	v_div_fmas_f32 v3, v3, v5, v7
	v_div_fixup_f32 v2, v3, v2, 1.0
	v_mov_b32_e32 v3, v0
	v_cmpx_lt_u32_e32 0x7f, v4
	s_cbranch_execz .LBB138_34
; %bb.26:
	s_delay_alu instid0(VALU_DEP_3) | instskip(NEXT) | instid1(VALU_DEP_1)
	v_dual_mov_b32 v3, v2 :: v_dual_lshrrev_b32 v4, 7, v4
	v_dual_mov_b32 v10, 0 :: v_dual_add_nc_u32 v5, -1, v4
	s_delay_alu instid0(VALU_DEP_1) | instskip(SKIP_1) | instid1(VALU_DEP_2)
	v_lshrrev_b32_e32 v6, 1, v5
	v_cmp_lt_u32_e32 vcc_lo, 13, v5
	v_add_nc_u32_e32 v5, 1, v6
	s_and_saveexec_b32 s3, vcc_lo
	s_cbranch_execz .LBB138_30
; %bb.27:
	s_delay_alu instid0(VALU_DEP_1)
	v_and_b32_e32 v6, -8, v5
	v_lshl_add_u32 v7, v0, 2, 0xe0
	s_mov_b32 s15, 0
	s_mov_b32 s23, 0
.LBB138_28:                             ; =>This Inner Loop Header: Depth=1
	ds_load_2addr_stride64_b32 v[10:11], v7 offset1:2
	ds_load_2addr_stride64_b32 v[12:13], v7 offset0:4 offset1:6
	ds_load_2addr_stride64_b32 v[14:15], v7 offset0:8 offset1:10
	;; [unrolled: 1-line block ×7, first 2 shown]
	s_add_co_i32 s23, s23, 16
	v_add_nc_u32_e32 v6, -8, v6
	s_wait_dscnt 0x7
	v_pk_mul_f32 v[10:11], v[2:3], v[10:11]
	s_wait_dscnt 0x6
	v_pk_mul_f32 v[12:13], v[2:3], v[12:13]
	;; [unrolled: 2-line block ×8, first 2 shown]
	ds_store_2addr_stride64_b32 v7, v10, v11 offset1:2
	ds_store_2addr_stride64_b32 v7, v12, v13 offset0:4 offset1:6
	ds_store_2addr_stride64_b32 v7, v14, v15 offset0:8 offset1:10
	;; [unrolled: 1-line block ×7, first 2 shown]
	v_mov_b32_e32 v10, s23
	v_cmp_eq_u32_e32 vcc_lo, 0, v6
	v_add_nc_u32_e32 v7, 0x2000, v7
	s_or_b32 s15, vcc_lo, s15
	s_delay_alu instid0(SALU_CYCLE_1)
	s_and_not1_b32 exec_lo, exec_lo, s15
	s_cbranch_execnz .LBB138_28
; %bb.29:
	s_or_b32 exec_lo, exec_lo, s15
.LBB138_30:
	s_delay_alu instid0(SALU_CYCLE_1) | instskip(NEXT) | instid1(VALU_DEP_1)
	s_or_b32 exec_lo, exec_lo, s3
	v_and_b32_e32 v5, 7, v5
	s_mov_b32 s15, 0
	s_mov_b32 s3, exec_lo
	s_delay_alu instid0(VALU_DEP_1)
	v_cmpx_ne_u32_e32 0, v5
	s_cbranch_execz .LBB138_33
; %bb.31:
	v_dual_lshlrev_b32 v6, 9, v10 :: v_dual_lshlrev_b32 v7, 2, v0
	s_delay_alu instid0(VALU_DEP_1)
	v_add3_u32 v6, v6, v7, 0xe0
.LBB138_32:                             ; =>This Inner Loop Header: Depth=1
	ds_load_2addr_stride64_b32 v[10:11], v6 offset1:2
	v_add_nc_u32_e32 v5, -1, v5
	s_delay_alu instid0(VALU_DEP_1)
	v_cmp_eq_u32_e32 vcc_lo, 0, v5
	s_or_b32 s15, vcc_lo, s15
	s_wait_dscnt 0x0
	v_pk_mul_f32 v[10:11], v[2:3], v[10:11]
	ds_store_2addr_stride64_b32 v6, v10, v11 offset1:2
	v_add_nc_u32_e32 v6, 0x400, v6
	s_and_not1_b32 exec_lo, exec_lo, s15
	s_cbranch_execnz .LBB138_32
.LBB138_33:
	s_or_b32 exec_lo, exec_lo, s3
	v_add_nc_u32_e32 v3, 1, v4
	s_delay_alu instid0(VALU_DEP_1) | instskip(NEXT) | instid1(VALU_DEP_1)
	v_and_b32_e32 v4, 0x3fffffe, v3
	v_cmp_ne_u32_e32 vcc_lo, v3, v4
	v_lshl_add_u32 v3, v4, 7, v0
	s_or_not1_b32 s3, vcc_lo, exec_lo
.LBB138_34:
	s_or_b32 exec_lo, exec_lo, s1
	s_delay_alu instid0(SALU_CYCLE_1)
	s_and_b32 exec_lo, exec_lo, s3
	s_cbranch_execz .LBB138_37
; %bb.35:
	v_lshl_add_u32 v4, v3, 2, 0xe0
	s_mov_b32 s1, 0
.LBB138_36:                             ; =>This Inner Loop Header: Depth=1
	ds_load_b32 v5, v4
	v_add_nc_u32_e32 v3, 0x80, v3
	s_delay_alu instid0(VALU_DEP_1)
	v_cmp_le_i32_e32 vcc_lo, s4, v3
	s_or_b32 s1, vcc_lo, s1
	s_wait_dscnt 0x0
	v_mul_f32_e32 v5, v2, v5
	ds_store_b32 v4, v5
	v_add_nc_u32_e32 v4, 0x200, v4
	s_and_not1_b32 exec_lo, exec_lo, s1
	s_cbranch_execnz .LBB138_36
.LBB138_37:
	s_or_b32 exec_lo, exec_lo, s0
	v_mov_b32_e32 v35, 0
	s_wait_dscnt 0x0
	s_barrier_signal -1
	s_barrier_wait -1
	s_delay_alu instid0(VALU_DEP_1)
	v_dual_mov_b32 v34, v35 :: v_dual_mov_b32 v37, v35
	v_dual_mov_b32 v36, v35 :: v_dual_mov_b32 v39, v35
	v_mov_b32_e32 v38, v35
	s_and_saveexec_b32 s1, s2
	s_cbranch_execz .LBB138_53
; %bb.38:
	v_dual_lshlrev_b32 v2, 4, v0 :: v_dual_bitop2_b32 v3, 8, v9 bitop3:0x40
	s_ashr_i32 s15, s14, 31
	v_dual_mov_b32 v35, 0 :: v_dual_lshlrev_b32 v4, 5, v44
	s_delay_alu instid0(VALU_DEP_2)
	v_and_b32_e32 v34, 0x1f0, v2
	s_lshl_b64 s[14:15], s[14:15], 1
	s_ashr_i32 s3, s5, 31
	s_wait_kmcnt 0x0
	s_add_nc_u64 s[14:15], s[16:17], s[14:15]
	s_mov_b32 s2, s5
	v_add_nc_u64_e32 v[40:41], s[14:15], v[34:35]
	v_and_b32_e32 v34, 0x7c, v8
	s_lshl_b64 s[4:5], s[10:11], 2
	v_lshl_or_b32 v2, v45, 6, v4
	s_add_nc_u64 s[4:5], s[12:13], s[4:5]
	v_lshl_or_b32 v48, v45, 4, v3
	v_add_nc_u64_e32 v[42:43], s[4:5], v[34:35]
	s_delay_alu instid0(VALU_DEP_3)
	v_dual_mov_b32 v34, v35 :: v_dual_add_nc_u32 v49, 0xe0, v2
	v_dual_mov_b32 v37, v35 :: v_dual_mov_b32 v36, v35
	v_dual_mov_b32 v39, v35 :: v_dual_mov_b32 v38, v35
	v_mov_b32_e32 v50, v45
	s_add_co_i32 s4, s22, -1
	s_mov_b32 s10, s21
	s_mov_b32 s5, 0
	s_branch .LBB138_40
.LBB138_39:                             ;   in Loop: Header=BB138_40 Depth=1
	s_or_b32 exec_lo, exec_lo, s0
	s_wait_dscnt 0x1
	v_cvt_pk_bf16_f32 v14, v14, v15
	v_cvt_pk_bf16_f32 v15, v16, v17
	s_wait_dscnt 0x0
	v_cvt_pk_bf16_f32 v10, v10, v11
	v_cvt_pk_bf16_f32 v12, v12, v13
	v_add_nc_u64_e32 v[42:43], 16, v[42:43]
	s_wait_loadcnt 0x1
	v_pk_mul_bf16 v11, v14, v30
	v_pk_mul_bf16 v16, v15, v31
	;; [unrolled: 1-line block ×5, first 2 shown]
	s_delay_alu instid0(VALU_DEP_4)
	v_dual_lshlrev_b32 v17, 16, v11 :: v_dual_lshlrev_b32 v30, 16, v16
	v_and_b32_e32 v11, 0xffff0000, v11
	v_and_b32_e32 v16, 0xffff0000, v16
	v_lshlrev_b32_e32 v32, 16, v13
	v_and_b32_e32 v13, 0xffff0000, v13
	v_pk_mul_bf16 v18, v14, v18
	s_delay_alu instid0(VALU_DEP_4) | instskip(SKIP_3) | instid1(VALU_DEP_3)
	v_dual_add_f32 v11, v17, v11 :: v_dual_add_f32 v16, v30, v16
	v_pk_mul_bf16 v17, v14, v22
	v_pk_mul_bf16 v22, v15, v23
	v_dual_lshlrev_b32 v23, 16, v31 :: v_dual_add_f32 v13, v32, v13
	v_dual_add_f32 v11, v16, v11 :: v_dual_lshlrev_b32 v30, 16, v17
	v_and_b32_e32 v16, 0xffff0000, v31
	v_and_b32_e32 v17, 0xffff0000, v17
	v_lshlrev_b32_e32 v31, 16, v22
	v_and_b32_e32 v22, 0xffff0000, v22
	s_delay_alu instid0(VALU_DEP_4) | instskip(NEXT) | instid1(VALU_DEP_4)
	v_dual_add_f32 v11, v13, v11 :: v_dual_add_f32 v13, v23, v16
	v_add_f32_e32 v16, v30, v17
	v_and_b32_e32 v23, 0xffff0000, v24
	s_delay_alu instid0(VALU_DEP_4)
	v_add_f32_e32 v17, v31, v22
	v_pk_mul_bf16 v19, v15, v19
	v_lshlrev_b32_e32 v22, 16, v24
	v_pk_mul_bf16 v24, v12, v25
	v_pk_mul_bf16 v20, v10, v20
	v_add_f32_e32 v16, v17, v16
	v_add_f32_e32 v11, v13, v11
	v_dual_add_f32 v17, v22, v23 :: v_dual_lshlrev_b32 v22, 16, v18
	v_lshlrev_b32_e32 v25, 16, v24
	v_and_b32_e32 v18, 0xffff0000, v18
	v_lshlrev_b32_e32 v23, 16, v19
	v_and_b32_e32 v19, 0xffff0000, v19
	v_and_b32_e32 v24, 0xffff0000, v24
	v_add_f32_e32 v34, v34, v11
	v_dual_add_f32 v18, v22, v18 :: v_dual_lshlrev_b32 v22, 16, v20
	s_delay_alu instid0(VALU_DEP_4) | instskip(SKIP_4) | instid1(VALU_DEP_4)
	v_add_f32_e32 v19, v23, v19
	v_and_b32_e32 v20, 0xffff0000, v20
	v_add_f32_e32 v13, v17, v16
	v_add_f32_e32 v16, v25, v24
	v_pk_mul_bf16 v11, v12, v21
	v_dual_add_f32 v17, v19, v18 :: v_dual_add_f32 v18, v22, v20
	v_pk_mul_bf16 v6, v14, v6
	v_pk_mul_bf16 v7, v15, v7
	v_add_f32_e32 v13, v16, v13
	v_pk_mul_bf16 v2, v14, v2
	v_dual_add_f32 v16, v18, v17 :: v_dual_lshlrev_b32 v17, 16, v11
	v_and_b32_e32 v11, 0xffff0000, v11
	v_dual_lshlrev_b32 v18, 16, v6 :: v_dual_lshlrev_b32 v19, 16, v7
	v_and_b32_e32 v6, 0xffff0000, v6
	v_and_b32_e32 v7, 0xffff0000, v7
	v_pk_mul_bf16 v3, v15, v3
	v_add_f32_e32 v11, v17, v11
	v_pk_mul_bf16 v8, v10, v8
	s_delay_alu instid0(VALU_DEP_4) | instskip(NEXT) | instid1(VALU_DEP_4)
	v_dual_add_f32 v6, v18, v6 :: v_dual_add_f32 v7, v19, v7
	v_dual_lshlrev_b32 v18, 16, v2 :: v_dual_lshlrev_b32 v19, 16, v3
	v_and_b32_e32 v2, 0xffff0000, v2
	v_and_b32_e32 v3, 0xffff0000, v3
	v_pk_mul_bf16 v9, v12, v9
	v_pk_mul_bf16 v4, v10, v4
	s_delay_alu instid0(VALU_DEP_4) | instskip(NEXT) | instid1(VALU_DEP_4)
	v_dual_add_f32 v2, v18, v2 :: v_dual_lshlrev_b32 v17, 16, v8
	v_add_f32_e32 v3, v19, v3
	v_and_b32_e32 v8, 0xffff0000, v8
	v_dual_lshlrev_b32 v18, 16, v9 :: v_dual_add_f32 v20, v7, v6
	v_pk_mul_bf16 v21, v12, v5
	s_delay_alu instid0(VALU_DEP_4)
	v_add_f32_e32 v22, v3, v2
	s_wait_loadcnt 0x0
	v_pk_mul_bf16 v2, v14, v26
	v_lshlrev_b32_e32 v23, 16, v4
	v_and_b32_e32 v14, 0xffff0000, v4
	v_pk_mul_bf16 v4, v15, v27
	v_add_f32_e32 v17, v17, v8
	v_pk_mul_bf16 v6, v10, v28
	v_pk_mul_bf16 v8, v12, v29
	v_and_b32_e32 v3, 0xffff0000, v2
	v_lshlrev_b32_e32 v5, 16, v2
	v_and_b32_e32 v2, 0xffff0000, v4
	v_lshlrev_b32_e32 v4, 16, v4
	v_and_b32_e32 v19, 0xffff0000, v9
	v_and_b32_e32 v7, 0xffff0000, v6
	v_lshlrev_b32_e32 v9, 16, v6
	v_and_b32_e32 v6, 0xffff0000, v8
	v_dual_lshlrev_b32 v8, 16, v8 :: v_dual_add_f32 v10, v23, v14
	v_pk_add_f32 v[2:3], v[4:5], v[2:3]
	v_lshlrev_b32_e32 v12, 16, v21
	v_and_b32_e32 v14, 0xffff0000, v21
	s_delay_alu instid0(VALU_DEP_4) | instskip(SKIP_4) | instid1(VALU_DEP_3)
	v_pk_add_f32 v[4:5], v[8:9], v[6:7]
	v_add_f32_e32 v6, v18, v19
	v_dual_add_f32 v2, v2, v3 :: v_dual_add_f32 v3, v17, v20
	v_dual_add_f32 v7, v10, v22 :: v_dual_add_f32 v37, v37, v13
	v_add_f32_e32 v8, v12, v14
	v_dual_add_f32 v2, v5, v2 :: v_dual_add_f32 v3, v6, v3
	v_dual_add_f32 v5, v11, v16 :: v_dual_add_nc_u32 v50, 4, v50
	s_delay_alu instid0(VALU_DEP_3) | instskip(NEXT) | instid1(VALU_DEP_3)
	v_add_f32_e32 v6, v8, v7
	v_dual_add_f32 v2, v4, v2 :: v_dual_add_f32 v39, v39, v3
	s_delay_alu instid0(VALU_DEP_3) | instskip(NEXT) | instid1(VALU_DEP_4)
	v_add_f32_e32 v36, v36, v5
	v_cmp_le_i32_e32 vcc_lo, s22, v50
	s_delay_alu instid0(VALU_DEP_4) | instskip(NEXT) | instid1(VALU_DEP_4)
	v_add_f32_e32 v38, v38, v6
	v_dual_add_f32 v35, v35, v2 :: v_dual_add_nc_u32 v48, 64, v48
	v_add_nc_u32_e32 v49, 0x100, v49
	s_or_b32 s5, vcc_lo, s5
	s_delay_alu instid0(SALU_CYCLE_1)
	s_and_not1_b32 exec_lo, exec_lo, s5
	s_cbranch_execz .LBB138_52
.LBB138_40:                             ; =>This Inner Loop Header: Depth=1
	global_load_b32 v2, v[42:43], off
	v_cmp_eq_u32_e32 vcc_lo, s4, v50
	v_or_b32_e32 v55, 3, v48
	v_or_b32_e32 v57, 2, v48
	;; [unrolled: 1-line block ×5, first 2 shown]
	v_dual_add_nc_u32 v56, 1, v48 :: v_dual_bitop2_b32 v53, 6, v48 bitop3:0x54
	s_wait_loadcnt 0x0
	v_ashrrev_i32_e32 v3, 31, v2
	s_delay_alu instid0(VALU_DEP_1) | instskip(NEXT) | instid1(VALU_DEP_1)
	v_mul_u64_e32 v[2:3], s[2:3], v[2:3]
	v_lshl_add_u64 v[26:27], v[2:3], 1, v[40:41]
	global_load_b128 v[2:5], v[26:27], off
	ds_load_2addr_b64 v[14:17], v49 offset1:1
	ds_load_2addr_b64 v[10:13], v49 offset0:2 offset1:3
	s_wait_xcnt 0x0
	s_and_saveexec_b32 s11, vcc_lo
	s_cbranch_execnz .LBB138_46
; %bb.41:                               ;   in Loop: Header=BB138_40 Depth=1
	s_or_b32 exec_lo, exec_lo, s11
	global_load_b128 v[6:9], v[26:27], off offset:512
	s_wait_xcnt 0x0
	s_and_saveexec_b32 s11, vcc_lo
	s_cbranch_execnz .LBB138_47
.LBB138_42:                             ;   in Loop: Header=BB138_40 Depth=1
	s_or_b32 exec_lo, exec_lo, s11
	global_load_b128 v[18:21], v[26:27], off offset:1024
	s_wait_xcnt 0x0
	s_and_saveexec_b32 s11, vcc_lo
	s_cbranch_execnz .LBB138_48
.LBB138_43:                             ;   in Loop: Header=BB138_40 Depth=1
	s_or_b32 exec_lo, exec_lo, s11
	global_load_b128 v[22:25], v[26:27], off offset:1536
	s_wait_xcnt 0x0
	s_and_saveexec_b32 s11, vcc_lo
	s_cbranch_execnz .LBB138_49
.LBB138_44:                             ;   in Loop: Header=BB138_40 Depth=1
	s_or_b32 exec_lo, exec_lo, s11
	global_load_b128 v[30:33], v[26:27], off offset:2048
	s_wait_xcnt 0x0
	s_and_saveexec_b32 s11, vcc_lo
	s_cbranch_execnz .LBB138_50
.LBB138_45:                             ;   in Loop: Header=BB138_40 Depth=1
	s_or_b32 exec_lo, exec_lo, s11
	global_load_b128 v[26:29], v[26:27], off offset:2560
	s_wait_xcnt 0x0
	s_and_saveexec_b32 s0, vcc_lo
	s_cbranch_execz .LBB138_39
	s_branch .LBB138_51
.LBB138_46:                             ;   in Loop: Header=BB138_40 Depth=1
	v_cmp_gt_i32_e64 s0, s21, v48
	s_wait_loadcnt 0x0
	v_dual_lshrrev_b32 v6, 16, v2 :: v_dual_lshrrev_b32 v8, 16, v4
	s_delay_alu instid0(VALU_DEP_2) | instskip(SKIP_1) | instid1(VALU_DEP_1)
	v_cndmask_b32_e64 v2, 0, v2, s0
	v_cmp_gt_i32_e64 s0, s10, v56
	v_dual_lshrrev_b32 v7, 16, v3 :: v_dual_cndmask_b32 v6, 0, v6, s0
	v_cmp_gt_i32_e64 s0, s21, v57
	s_delay_alu instid0(VALU_DEP_2) | instskip(NEXT) | instid1(VALU_DEP_2)
	v_perm_b32 v2, v6, v2, 0x5040100
	v_cndmask_b32_e64 v3, 0, v3, s0
	v_cmp_gt_i32_e64 s0, s10, v55
	s_delay_alu instid0(VALU_DEP_1) | instskip(SKIP_1) | instid1(VALU_DEP_1)
	v_cndmask_b32_e64 v7, 0, v7, s0
	v_cmp_gt_i32_e64 s0, s21, v54
	v_cndmask_b32_e64 v4, 0, v4, s0
	v_cmp_gt_i32_e64 s0, s10, v52
	v_lshrrev_b32_e32 v9, 16, v5
	v_perm_b32 v3, v7, v3, 0x5040100
	s_delay_alu instid0(VALU_DEP_3) | instskip(SKIP_1) | instid1(VALU_DEP_2)
	v_cndmask_b32_e64 v8, 0, v8, s0
	v_cmp_gt_i32_e64 s0, s21, v53
	v_perm_b32 v4, v8, v4, 0x5040100
	s_delay_alu instid0(VALU_DEP_2) | instskip(SKIP_1) | instid1(VALU_DEP_1)
	v_cndmask_b32_e64 v5, 0, v5, s0
	v_cmp_gt_i32_e64 s0, s10, v51
	v_cndmask_b32_e64 v9, 0, v9, s0
	s_delay_alu instid0(VALU_DEP_1)
	v_perm_b32 v5, v9, v5, 0x5040100
	s_or_b32 exec_lo, exec_lo, s11
	global_load_b128 v[6:9], v[26:27], off offset:512
	s_wait_xcnt 0x0
	s_and_saveexec_b32 s11, vcc_lo
	s_cbranch_execz .LBB138_42
.LBB138_47:                             ;   in Loop: Header=BB138_40 Depth=1
	v_cmp_gt_i32_e64 s0, s21, v48
	s_wait_loadcnt 0x0
	v_dual_lshrrev_b32 v18, 16, v6 :: v_dual_lshrrev_b32 v20, 16, v8
	s_delay_alu instid0(VALU_DEP_2) | instskip(SKIP_1) | instid1(VALU_DEP_1)
	v_cndmask_b32_e64 v6, 0, v6, s0
	v_cmp_gt_i32_e64 s0, s10, v56
	v_dual_lshrrev_b32 v19, 16, v7 :: v_dual_cndmask_b32 v18, 0, v18, s0
	v_cmp_gt_i32_e64 s0, s21, v57
	s_delay_alu instid0(VALU_DEP_2) | instskip(NEXT) | instid1(VALU_DEP_2)
	v_perm_b32 v6, v18, v6, 0x5040100
	v_cndmask_b32_e64 v7, 0, v7, s0
	v_cmp_gt_i32_e64 s0, s10, v55
	s_delay_alu instid0(VALU_DEP_1) | instskip(SKIP_1) | instid1(VALU_DEP_1)
	v_cndmask_b32_e64 v19, 0, v19, s0
	v_cmp_gt_i32_e64 s0, s21, v54
	v_cndmask_b32_e64 v8, 0, v8, s0
	v_cmp_gt_i32_e64 s0, s10, v52
	v_lshrrev_b32_e32 v21, 16, v9
	v_perm_b32 v7, v19, v7, 0x5040100
	s_delay_alu instid0(VALU_DEP_3) | instskip(SKIP_1) | instid1(VALU_DEP_2)
	v_cndmask_b32_e64 v20, 0, v20, s0
	v_cmp_gt_i32_e64 s0, s21, v53
	v_perm_b32 v8, v20, v8, 0x5040100
	s_delay_alu instid0(VALU_DEP_2) | instskip(SKIP_1) | instid1(VALU_DEP_1)
	v_cndmask_b32_e64 v9, 0, v9, s0
	v_cmp_gt_i32_e64 s0, s10, v51
	v_cndmask_b32_e64 v21, 0, v21, s0
	s_delay_alu instid0(VALU_DEP_1)
	v_perm_b32 v9, v21, v9, 0x5040100
	s_or_b32 exec_lo, exec_lo, s11
	global_load_b128 v[18:21], v[26:27], off offset:1024
	s_wait_xcnt 0x0
	s_and_saveexec_b32 s11, vcc_lo
	s_cbranch_execz .LBB138_43
.LBB138_48:                             ;   in Loop: Header=BB138_40 Depth=1
	v_cmp_gt_i32_e64 s0, s21, v48
	s_wait_loadcnt 0x0
	v_dual_lshrrev_b32 v22, 16, v18 :: v_dual_lshrrev_b32 v24, 16, v20
	s_delay_alu instid0(VALU_DEP_2) | instskip(SKIP_1) | instid1(VALU_DEP_1)
	v_cndmask_b32_e64 v18, 0, v18, s0
	v_cmp_gt_i32_e64 s0, s10, v56
	v_dual_lshrrev_b32 v23, 16, v19 :: v_dual_cndmask_b32 v22, 0, v22, s0
	v_cmp_gt_i32_e64 s0, s21, v57
	s_delay_alu instid0(VALU_DEP_2) | instskip(NEXT) | instid1(VALU_DEP_2)
	v_perm_b32 v18, v22, v18, 0x5040100
	v_cndmask_b32_e64 v19, 0, v19, s0
	v_cmp_gt_i32_e64 s0, s10, v55
	s_delay_alu instid0(VALU_DEP_1) | instskip(SKIP_1) | instid1(VALU_DEP_1)
	v_cndmask_b32_e64 v23, 0, v23, s0
	v_cmp_gt_i32_e64 s0, s21, v54
	v_cndmask_b32_e64 v20, 0, v20, s0
	v_cmp_gt_i32_e64 s0, s10, v52
	v_lshrrev_b32_e32 v25, 16, v21
	v_perm_b32 v19, v23, v19, 0x5040100
	s_delay_alu instid0(VALU_DEP_3) | instskip(SKIP_1) | instid1(VALU_DEP_2)
	v_cndmask_b32_e64 v24, 0, v24, s0
	v_cmp_gt_i32_e64 s0, s21, v53
	v_perm_b32 v20, v24, v20, 0x5040100
	s_delay_alu instid0(VALU_DEP_2) | instskip(SKIP_1) | instid1(VALU_DEP_1)
	v_cndmask_b32_e64 v21, 0, v21, s0
	v_cmp_gt_i32_e64 s0, s10, v51
	v_cndmask_b32_e64 v25, 0, v25, s0
	s_delay_alu instid0(VALU_DEP_1)
	v_perm_b32 v21, v25, v21, 0x5040100
	s_or_b32 exec_lo, exec_lo, s11
	global_load_b128 v[22:25], v[26:27], off offset:1536
	s_wait_xcnt 0x0
	s_and_saveexec_b32 s11, vcc_lo
	s_cbranch_execz .LBB138_44
.LBB138_49:                             ;   in Loop: Header=BB138_40 Depth=1
	v_cmp_gt_i32_e64 s0, s21, v48
	s_wait_loadcnt 0x0
	s_delay_alu instid0(VALU_DEP_1) | instskip(SKIP_1) | instid1(VALU_DEP_1)
	v_dual_lshrrev_b32 v28, 16, v22 :: v_dual_cndmask_b32 v22, 0, v22, s0
	v_cmp_gt_i32_e64 s0, s10, v56
	v_dual_lshrrev_b32 v29, 16, v23 :: v_dual_cndmask_b32 v28, 0, v28, s0
	v_cmp_gt_i32_e64 s0, s21, v57
	s_delay_alu instid0(VALU_DEP_2) | instskip(NEXT) | instid1(VALU_DEP_2)
	v_perm_b32 v22, v28, v22, 0x5040100
	v_cndmask_b32_e64 v23, 0, v23, s0
	v_cmp_gt_i32_e64 s0, s10, v55
	s_delay_alu instid0(VALU_DEP_1) | instskip(SKIP_2) | instid1(VALU_DEP_3)
	v_cndmask_b32_e64 v29, 0, v29, s0
	v_cmp_gt_i32_e64 s0, s21, v54
	v_lshrrev_b32_e32 v30, 16, v24
	v_perm_b32 v23, v29, v23, 0x5040100
	s_delay_alu instid0(VALU_DEP_3) | instskip(SKIP_1) | instid1(VALU_DEP_1)
	v_cndmask_b32_e64 v24, 0, v24, s0
	v_cmp_gt_i32_e64 s0, s10, v52
	v_dual_lshrrev_b32 v31, 16, v25 :: v_dual_cndmask_b32 v30, 0, v30, s0
	v_cmp_gt_i32_e64 s0, s21, v53
	s_delay_alu instid0(VALU_DEP_2) | instskip(NEXT) | instid1(VALU_DEP_2)
	v_perm_b32 v24, v30, v24, 0x5040100
	v_cndmask_b32_e64 v25, 0, v25, s0
	v_cmp_gt_i32_e64 s0, s10, v51
	s_delay_alu instid0(VALU_DEP_1) | instskip(NEXT) | instid1(VALU_DEP_1)
	v_cndmask_b32_e64 v31, 0, v31, s0
	v_perm_b32 v25, v31, v25, 0x5040100
	s_or_b32 exec_lo, exec_lo, s11
	global_load_b128 v[30:33], v[26:27], off offset:2048
	s_wait_xcnt 0x0
	s_and_saveexec_b32 s11, vcc_lo
	s_cbranch_execz .LBB138_45
.LBB138_50:                             ;   in Loop: Header=BB138_40 Depth=1
	v_cmp_gt_i32_e64 s0, s21, v48
	s_wait_loadcnt 0x0
	s_delay_alu instid0(VALU_DEP_1) | instskip(SKIP_1) | instid1(VALU_DEP_1)
	v_dual_lshrrev_b32 v28, 16, v30 :: v_dual_cndmask_b32 v29, 0, v30, s0
	v_cmp_gt_i32_e64 s0, s10, v56
	v_dual_lshrrev_b32 v30, 16, v31 :: v_dual_cndmask_b32 v28, 0, v28, s0
	v_cmp_gt_i32_e64 s0, s21, v57
	s_delay_alu instid0(VALU_DEP_1) | instskip(SKIP_1) | instid1(VALU_DEP_1)
	v_cndmask_b32_e64 v31, 0, v31, s0
	v_cmp_gt_i32_e64 s0, s10, v55
	v_cndmask_b32_e64 v58, 0, v30, s0
	v_cmp_gt_i32_e64 s0, s21, v54
	v_lshrrev_b32_e32 v30, 16, v32
	s_delay_alu instid0(VALU_DEP_3) | instskip(NEXT) | instid1(VALU_DEP_3)
	v_perm_b32 v31, v58, v31, 0x5040100
	v_cndmask_b32_e64 v32, 0, v32, s0
	v_cmp_gt_i32_e64 s0, s10, v52
	s_delay_alu instid0(VALU_DEP_1) | instskip(SKIP_2) | instid1(VALU_DEP_3)
	v_dual_lshrrev_b32 v59, 16, v33 :: v_dual_cndmask_b32 v60, 0, v30, s0
	v_cmp_gt_i32_e64 s0, s21, v53
	v_perm_b32 v30, v28, v29, 0x5040100
	v_perm_b32 v32, v60, v32, 0x5040100
	s_delay_alu instid0(VALU_DEP_3) | instskip(SKIP_1) | instid1(VALU_DEP_1)
	v_cndmask_b32_e64 v33, 0, v33, s0
	v_cmp_gt_i32_e64 s0, s10, v51
	v_cndmask_b32_e64 v59, 0, v59, s0
	s_delay_alu instid0(VALU_DEP_1)
	v_perm_b32 v33, v59, v33, 0x5040100
	s_or_b32 exec_lo, exec_lo, s11
	global_load_b128 v[26:29], v[26:27], off offset:2560
	s_wait_xcnt 0x0
	s_and_saveexec_b32 s0, vcc_lo
	s_cbranch_execz .LBB138_39
.LBB138_51:                             ;   in Loop: Header=BB138_40 Depth=1
	v_cmp_gt_i32_e32 vcc_lo, s21, v48
	s_wait_loadcnt 0x0
	v_dual_lshrrev_b32 v58, 16, v26 :: v_dual_cndmask_b32 v26, 0, v26, vcc_lo
	v_cmp_gt_i32_e32 vcc_lo, s10, v56
	s_delay_alu instid0(VALU_DEP_2) | instskip(SKIP_2) | instid1(VALU_DEP_3)
	v_dual_cndmask_b32 v56, 0, v58 :: v_dual_lshrrev_b32 v59, 16, v27
	v_cmp_gt_i32_e32 vcc_lo, s21, v57
	v_lshrrev_b32_e32 v57, 16, v28
	v_perm_b32 v26, v56, v26, 0x5040100
	v_cndmask_b32_e32 v27, 0, v27, vcc_lo
	v_cmp_gt_i32_e32 vcc_lo, s10, v55
	v_cndmask_b32_e32 v55, 0, v59, vcc_lo
	v_cmp_gt_i32_e32 vcc_lo, s21, v54
	;; [unrolled: 2-line block ×3, first 2 shown]
	s_delay_alu instid0(VALU_DEP_4) | instskip(SKIP_4) | instid1(VALU_DEP_2)
	v_perm_b32 v27, v55, v27, 0x5040100
	v_cndmask_b32_e32 v52, 0, v57, vcc_lo
	v_cmp_gt_i32_e32 vcc_lo, s21, v53
	v_dual_cndmask_b32 v29, 0, v29 :: v_dual_lshrrev_b32 v54, 16, v29
	v_cmp_gt_i32_e32 vcc_lo, s10, v51
	v_cndmask_b32_e32 v51, 0, v54, vcc_lo
	v_perm_b32 v28, v52, v28, 0x5040100
	s_delay_alu instid0(VALU_DEP_2)
	v_perm_b32 v29, v51, v29, 0x5040100
	s_branch .LBB138_39
.LBB138_52:
	s_or_b32 exec_lo, exec_lo, s5
.LBB138_53:
	s_delay_alu instid0(SALU_CYCLE_1)
	s_or_b32 exec_lo, exec_lo, s1
	ds_bpermute_b32 v2, v47, v38
	ds_bpermute_b32 v3, v47, v39
	;; [unrolled: 1-line block ×6, first 2 shown]
	v_and_b32_e32 v9, 0x3c1, v0
	v_lshrrev_b32_e32 v8, 1, v46
	s_mov_b32 s0, exec_lo
	s_wait_dscnt 0x0
	s_barrier_signal -1
	s_barrier_wait -1
	v_pk_add_f32 v[4:5], v[38:39], v[2:3]
	v_pk_add_f32 v[2:3], v[36:37], v[10:11]
	v_cmpx_ne_u32_e32 64, v9
	s_xor_b32 s0, exec_lo, s0
	s_delay_alu instid0(SALU_CYCLE_1)
	s_or_saveexec_b32 s0, s0
	v_pk_add_f32 v[6:7], v[34:35], v[6:7]
	v_lshl_add_u32 v9, v8, 2, 0xe0
	v_mul_u32_u24_e32 v10, 0x180, v45
	s_xor_b32 exec_lo, exec_lo, s0
	s_cbranch_execz .LBB138_55
; %bb.54:
	s_delay_alu instid0(VALU_DEP_1) | instskip(NEXT) | instid1(VALU_DEP_1)
	v_add_nc_u32_e32 v11, v9, v10
	v_add_nc_u32_e32 v12, 0xfffffd00, v11
	;; [unrolled: 1-line block ×7, first 2 shown]
	ds_store_b32 v12, v4
	ds_store_b32 v13, v5
	;; [unrolled: 1-line block ×6, first 2 shown]
.LBB138_55:
	s_or_b32 exec_lo, exec_lo, s0
	v_lshlrev_b32_e32 v8, 2, v8
	s_mov_b32 s1, exec_lo
	v_cmp_eq_u32_e32 vcc_lo, 0, v44
	s_wait_dscnt 0x0
	s_barrier_signal -1
	v_add3_u32 v8, 0xe0, v10, v8
	s_barrier_wait -1
	v_cmpx_gt_u32_e32 64, v0
	s_cbranch_execz .LBB138_64
; %bb.56:
	s_and_saveexec_b32 s0, vcc_lo
	s_cbranch_execnz .LBB138_78
; %bb.57:
	s_or_b32 exec_lo, exec_lo, s0
	s_and_saveexec_b32 s0, vcc_lo
	s_cbranch_execnz .LBB138_79
.LBB138_58:
	s_or_b32 exec_lo, exec_lo, s0
	s_and_saveexec_b32 s0, vcc_lo
	s_cbranch_execnz .LBB138_80
.LBB138_59:
	s_or_b32 exec_lo, exec_lo, s0
	s_and_saveexec_b32 s0, vcc_lo
	s_cbranch_execnz .LBB138_81
.LBB138_60:
	s_or_b32 exec_lo, exec_lo, s0
	s_and_saveexec_b32 s0, vcc_lo
	s_cbranch_execnz .LBB138_82
.LBB138_61:
	s_or_b32 exec_lo, exec_lo, s0
	s_and_saveexec_b32 s0, vcc_lo
	s_cbranch_execz .LBB138_63
.LBB138_62:
	ds_load_b32 v10, v8 offset:320
	s_wait_dscnt 0x0
	v_add_f32_e32 v7, v7, v10
.LBB138_63:
	s_or_b32 exec_lo, exec_lo, s0
.LBB138_64:
	s_delay_alu instid0(SALU_CYCLE_1) | instskip(SKIP_4) | instid1(VALU_DEP_1)
	s_or_b32 exec_lo, exec_lo, s1
	v_and_b32_e32 v10, 0x3e1, v0
	s_mov_b32 s1, exec_lo
	s_barrier_signal -1
	s_barrier_wait -1
	v_cmpx_eq_u32_e32 32, v10
	s_cbranch_execz .LBB138_66
; %bb.65:
	ds_store_2addr_b32 v9, v4, v5 offset1:16
	ds_store_2addr_b32 v9, v2, v3 offset0:32 offset1:48
	ds_store_2addr_b32 v9, v6, v7 offset0:64 offset1:80
.LBB138_66:
	s_or_b32 exec_lo, exec_lo, s1
	s_delay_alu instid0(SALU_CYCLE_1)
	s_mov_b32 s1, exec_lo
	s_wait_dscnt 0x0
	s_barrier_signal -1
	s_barrier_wait -1
	v_cmpx_gt_u32_e32 32, v0
	s_cbranch_execz .LBB138_75
; %bb.67:
	s_and_saveexec_b32 s0, vcc_lo
	s_cbranch_execnz .LBB138_83
; %bb.68:
	s_or_b32 exec_lo, exec_lo, s0
	s_and_saveexec_b32 s0, vcc_lo
	s_cbranch_execnz .LBB138_84
.LBB138_69:
	s_or_b32 exec_lo, exec_lo, s0
	s_and_saveexec_b32 s0, vcc_lo
	s_cbranch_execnz .LBB138_85
.LBB138_70:
	s_or_b32 exec_lo, exec_lo, s0
	s_and_saveexec_b32 s0, vcc_lo
	s_cbranch_execnz .LBB138_86
.LBB138_71:
	s_or_b32 exec_lo, exec_lo, s0
	s_and_saveexec_b32 s0, vcc_lo
	s_cbranch_execnz .LBB138_87
.LBB138_72:
	s_or_b32 exec_lo, exec_lo, s0
	s_and_saveexec_b32 s0, vcc_lo
	s_cbranch_execz .LBB138_74
.LBB138_73:
	ds_load_b32 v0, v8 offset:320
	s_wait_dscnt 0x0
	v_add_f32_e32 v7, v7, v0
.LBB138_74:
	s_or_b32 exec_lo, exec_lo, s0
.LBB138_75:
	s_delay_alu instid0(SALU_CYCLE_1)
	s_or_b32 exec_lo, exec_lo, s1
	s_mov_b32 s1, 0
	s_barrier_signal -1
	s_barrier_wait -1
	s_mov_b32 s0, exec_lo
	v_cmpx_eq_u32_e32 0, v10
	s_cbranch_execz .LBB138_77
; %bb.76:
	s_wait_kmcnt 0x0
	s_mul_i32 s0, s20, s9
	s_mul_i32 s2, s9, s8
	;; [unrolled: 1-line block ×3, first 2 shown]
	s_lshr_b32 s8, ttmp7, 16
	s_mul_i32 s4, s0, 0x60
	s_bfe_u32 s0, ttmp6, 0x40014
	s_ashr_i32 s5, s4, 31
	s_add_co_i32 s0, s0, 1
	s_ashr_i32 s3, s2, 31
	s_mul_i32 s0, s8, s0
	s_bfe_u32 s9, ttmp6, 0x40008
	s_lshl_b64 s[4:5], s[4:5], 1
	s_lshl_b64 s[2:3], s[2:3], 1
	s_add_co_i32 s9, s9, s0
	s_cmp_eq_u32 s18, 0
	s_add_nc_u64 s[4:5], s[6:7], s[4:5]
	s_cselect_b32 s0, s8, s9
	s_add_nc_u64 s[2:3], s[4:5], s[2:3]
	s_mulk_i32 s0, 0xc0
	s_delay_alu instid0(SALU_CYCLE_1) | instskip(NEXT) | instid1(SALU_CYCLE_1)
	s_add_nc_u64 s[0:1], s[2:3], s[0:1]
	v_cvt_pk_bf16_f32 v0, v4, s0
	v_cvt_pk_bf16_f32 v4, v5, s0
	;; [unrolled: 1-line block ×6, first 2 shown]
	s_clause 0x5
	global_store_b16 v1, v0, s[0:1] scale_offset
	global_store_b16 v1, v4, s[0:1] offset:32 scale_offset
	global_store_b16 v1, v2, s[0:1] offset:64 scale_offset
	;; [unrolled: 1-line block ×5, first 2 shown]
.LBB138_77:
	s_sendmsg sendmsg(MSG_DEALLOC_VGPRS)
	s_endpgm
.LBB138_78:
	ds_load_b32 v10, v8
	s_wait_dscnt 0x0
	v_add_f32_e32 v4, v4, v10
	s_or_b32 exec_lo, exec_lo, s0
	s_and_saveexec_b32 s0, vcc_lo
	s_cbranch_execz .LBB138_58
.LBB138_79:
	ds_load_b32 v10, v8 offset:64
	s_wait_dscnt 0x0
	v_add_f32_e32 v5, v5, v10
	s_or_b32 exec_lo, exec_lo, s0
	s_and_saveexec_b32 s0, vcc_lo
	s_cbranch_execz .LBB138_59
.LBB138_80:
	ds_load_b32 v10, v8 offset:128
	s_wait_dscnt 0x0
	v_add_f32_e32 v2, v2, v10
	s_or_b32 exec_lo, exec_lo, s0
	s_and_saveexec_b32 s0, vcc_lo
	s_cbranch_execz .LBB138_60
.LBB138_81:
	ds_load_b32 v10, v8 offset:192
	s_wait_dscnt 0x0
	v_add_f32_e32 v3, v3, v10
	s_or_b32 exec_lo, exec_lo, s0
	s_and_saveexec_b32 s0, vcc_lo
	s_cbranch_execz .LBB138_61
.LBB138_82:
	ds_load_b32 v10, v8 offset:256
	s_wait_dscnt 0x0
	v_add_f32_e32 v6, v6, v10
	s_or_b32 exec_lo, exec_lo, s0
	s_and_saveexec_b32 s0, vcc_lo
	s_cbranch_execnz .LBB138_62
	s_branch .LBB138_63
.LBB138_83:
	ds_load_b32 v0, v8
	s_wait_dscnt 0x0
	v_add_f32_e32 v4, v4, v0
	s_or_b32 exec_lo, exec_lo, s0
	s_and_saveexec_b32 s0, vcc_lo
	s_cbranch_execz .LBB138_69
.LBB138_84:
	ds_load_b32 v0, v8 offset:64
	s_wait_dscnt 0x0
	v_add_f32_e32 v5, v5, v0
	s_or_b32 exec_lo, exec_lo, s0
	s_and_saveexec_b32 s0, vcc_lo
	s_cbranch_execz .LBB138_70
.LBB138_85:
	ds_load_b32 v0, v8 offset:128
	s_wait_dscnt 0x0
	v_add_f32_e32 v2, v2, v0
	s_or_b32 exec_lo, exec_lo, s0
	s_and_saveexec_b32 s0, vcc_lo
	s_cbranch_execz .LBB138_71
.LBB138_86:
	ds_load_b32 v0, v8 offset:192
	s_wait_dscnt 0x0
	v_add_f32_e32 v3, v3, v0
	s_or_b32 exec_lo, exec_lo, s0
	s_and_saveexec_b32 s0, vcc_lo
	s_cbranch_execz .LBB138_72
.LBB138_87:
	ds_load_b32 v0, v8 offset:256
	s_wait_dscnt 0x0
	v_add_f32_e32 v6, v6, v0
	s_or_b32 exec_lo, exec_lo, s0
	s_and_saveexec_b32 s0, vcc_lo
	s_cbranch_execnz .LBB138_73
	s_branch .LBB138_74
	.section	.rodata,"a",@progbits
	.p2align	6, 0x0
	.amdhsa_kernel _ZN4vllm25paged_attention_v1_kernelI14__hip_bfloat16S1_Li96ELi16ELi128ELNS_18Fp8KVCacheDataTypeE0ELb0EEEvPT_PKS3_PKT0_S9_ifPKiSB_iPKfiiiSD_SD_iiiii
		.amdhsa_group_segment_fixed_size 224
		.amdhsa_private_segment_fixed_size 0
		.amdhsa_kernarg_size 384
		.amdhsa_user_sgpr_count 2
		.amdhsa_user_sgpr_dispatch_ptr 0
		.amdhsa_user_sgpr_queue_ptr 0
		.amdhsa_user_sgpr_kernarg_segment_ptr 1
		.amdhsa_user_sgpr_dispatch_id 0
		.amdhsa_user_sgpr_kernarg_preload_length 0
		.amdhsa_user_sgpr_kernarg_preload_offset 0
		.amdhsa_user_sgpr_private_segment_size 0
		.amdhsa_wavefront_size32 1
		.amdhsa_uses_dynamic_stack 0
		.amdhsa_enable_private_segment 0
		.amdhsa_system_sgpr_workgroup_id_x 1
		.amdhsa_system_sgpr_workgroup_id_y 1
		.amdhsa_system_sgpr_workgroup_id_z 1
		.amdhsa_system_sgpr_workgroup_info 0
		.amdhsa_system_vgpr_workitem_id 0
		.amdhsa_next_free_vgpr 92
		.amdhsa_next_free_sgpr 28
		.amdhsa_named_barrier_count 0
		.amdhsa_reserve_vcc 1
		.amdhsa_float_round_mode_32 0
		.amdhsa_float_round_mode_16_64 0
		.amdhsa_float_denorm_mode_32 3
		.amdhsa_float_denorm_mode_16_64 3
		.amdhsa_fp16_overflow 0
		.amdhsa_memory_ordered 1
		.amdhsa_forward_progress 1
		.amdhsa_inst_pref_size 59
		.amdhsa_round_robin_scheduling 0
		.amdhsa_exception_fp_ieee_invalid_op 0
		.amdhsa_exception_fp_denorm_src 0
		.amdhsa_exception_fp_ieee_div_zero 0
		.amdhsa_exception_fp_ieee_overflow 0
		.amdhsa_exception_fp_ieee_underflow 0
		.amdhsa_exception_fp_ieee_inexact 0
		.amdhsa_exception_int_div_zero 0
	.end_amdhsa_kernel
	.section	.text._ZN4vllm25paged_attention_v1_kernelI14__hip_bfloat16S1_Li96ELi16ELi128ELNS_18Fp8KVCacheDataTypeE0ELb0EEEvPT_PKS3_PKT0_S9_ifPKiSB_iPKfiiiSD_SD_iiiii,"axG",@progbits,_ZN4vllm25paged_attention_v1_kernelI14__hip_bfloat16S1_Li96ELi16ELi128ELNS_18Fp8KVCacheDataTypeE0ELb0EEEvPT_PKS3_PKT0_S9_ifPKiSB_iPKfiiiSD_SD_iiiii,comdat
.Lfunc_end138:
	.size	_ZN4vllm25paged_attention_v1_kernelI14__hip_bfloat16S1_Li96ELi16ELi128ELNS_18Fp8KVCacheDataTypeE0ELb0EEEvPT_PKS3_PKT0_S9_ifPKiSB_iPKfiiiSD_SD_iiiii, .Lfunc_end138-_ZN4vllm25paged_attention_v1_kernelI14__hip_bfloat16S1_Li96ELi16ELi128ELNS_18Fp8KVCacheDataTypeE0ELb0EEEvPT_PKS3_PKT0_S9_ifPKiSB_iPKfiiiSD_SD_iiiii
                                        ; -- End function
	.set _ZN4vllm25paged_attention_v1_kernelI14__hip_bfloat16S1_Li96ELi16ELi128ELNS_18Fp8KVCacheDataTypeE0ELb0EEEvPT_PKS3_PKT0_S9_ifPKiSB_iPKfiiiSD_SD_iiiii.num_vgpr, 92
	.set _ZN4vllm25paged_attention_v1_kernelI14__hip_bfloat16S1_Li96ELi16ELi128ELNS_18Fp8KVCacheDataTypeE0ELb0EEEvPT_PKS3_PKT0_S9_ifPKiSB_iPKfiiiSD_SD_iiiii.num_agpr, 0
	.set _ZN4vllm25paged_attention_v1_kernelI14__hip_bfloat16S1_Li96ELi16ELi128ELNS_18Fp8KVCacheDataTypeE0ELb0EEEvPT_PKS3_PKT0_S9_ifPKiSB_iPKfiiiSD_SD_iiiii.numbered_sgpr, 28
	.set _ZN4vllm25paged_attention_v1_kernelI14__hip_bfloat16S1_Li96ELi16ELi128ELNS_18Fp8KVCacheDataTypeE0ELb0EEEvPT_PKS3_PKT0_S9_ifPKiSB_iPKfiiiSD_SD_iiiii.num_named_barrier, 0
	.set _ZN4vllm25paged_attention_v1_kernelI14__hip_bfloat16S1_Li96ELi16ELi128ELNS_18Fp8KVCacheDataTypeE0ELb0EEEvPT_PKS3_PKT0_S9_ifPKiSB_iPKfiiiSD_SD_iiiii.private_seg_size, 0
	.set _ZN4vllm25paged_attention_v1_kernelI14__hip_bfloat16S1_Li96ELi16ELi128ELNS_18Fp8KVCacheDataTypeE0ELb0EEEvPT_PKS3_PKT0_S9_ifPKiSB_iPKfiiiSD_SD_iiiii.uses_vcc, 1
	.set _ZN4vllm25paged_attention_v1_kernelI14__hip_bfloat16S1_Li96ELi16ELi128ELNS_18Fp8KVCacheDataTypeE0ELb0EEEvPT_PKS3_PKT0_S9_ifPKiSB_iPKfiiiSD_SD_iiiii.uses_flat_scratch, 0
	.set _ZN4vllm25paged_attention_v1_kernelI14__hip_bfloat16S1_Li96ELi16ELi128ELNS_18Fp8KVCacheDataTypeE0ELb0EEEvPT_PKS3_PKT0_S9_ifPKiSB_iPKfiiiSD_SD_iiiii.has_dyn_sized_stack, 0
	.set _ZN4vllm25paged_attention_v1_kernelI14__hip_bfloat16S1_Li96ELi16ELi128ELNS_18Fp8KVCacheDataTypeE0ELb0EEEvPT_PKS3_PKT0_S9_ifPKiSB_iPKfiiiSD_SD_iiiii.has_recursion, 0
	.set _ZN4vllm25paged_attention_v1_kernelI14__hip_bfloat16S1_Li96ELi16ELi128ELNS_18Fp8KVCacheDataTypeE0ELb0EEEvPT_PKS3_PKT0_S9_ifPKiSB_iPKfiiiSD_SD_iiiii.has_indirect_call, 0
	.section	.AMDGPU.csdata,"",@progbits
; Kernel info:
; codeLenInByte = 7448
; TotalNumSgprs: 30
; NumVgprs: 92
; ScratchSize: 0
; MemoryBound: 0
; FloatMode: 240
; IeeeMode: 1
; LDSByteSize: 224 bytes/workgroup (compile time only)
; SGPRBlocks: 0
; VGPRBlocks: 5
; NumSGPRsForWavesPerEU: 30
; NumVGPRsForWavesPerEU: 92
; NamedBarCnt: 0
; Occupancy: 10
; WaveLimiterHint : 1
; COMPUTE_PGM_RSRC2:SCRATCH_EN: 0
; COMPUTE_PGM_RSRC2:USER_SGPR: 2
; COMPUTE_PGM_RSRC2:TRAP_HANDLER: 0
; COMPUTE_PGM_RSRC2:TGID_X_EN: 1
; COMPUTE_PGM_RSRC2:TGID_Y_EN: 1
; COMPUTE_PGM_RSRC2:TGID_Z_EN: 1
; COMPUTE_PGM_RSRC2:TIDIG_COMP_CNT: 0
	.section	.text._ZN4vllm25paged_attention_v1_kernelI14__hip_bfloat16S1_Li112ELi16ELi128ELNS_18Fp8KVCacheDataTypeE0ELb0EEEvPT_PKS3_PKT0_S9_ifPKiSB_iPKfiiiSD_SD_iiiii,"axG",@progbits,_ZN4vllm25paged_attention_v1_kernelI14__hip_bfloat16S1_Li112ELi16ELi128ELNS_18Fp8KVCacheDataTypeE0ELb0EEEvPT_PKS3_PKT0_S9_ifPKiSB_iPKfiiiSD_SD_iiiii,comdat
	.protected	_ZN4vllm25paged_attention_v1_kernelI14__hip_bfloat16S1_Li112ELi16ELi128ELNS_18Fp8KVCacheDataTypeE0ELb0EEEvPT_PKS3_PKT0_S9_ifPKiSB_iPKfiiiSD_SD_iiiii ; -- Begin function _ZN4vllm25paged_attention_v1_kernelI14__hip_bfloat16S1_Li112ELi16ELi128ELNS_18Fp8KVCacheDataTypeE0ELb0EEEvPT_PKS3_PKT0_S9_ifPKiSB_iPKfiiiSD_SD_iiiii
	.globl	_ZN4vllm25paged_attention_v1_kernelI14__hip_bfloat16S1_Li112ELi16ELi128ELNS_18Fp8KVCacheDataTypeE0ELb0EEEvPT_PKS3_PKT0_S9_ifPKiSB_iPKfiiiSD_SD_iiiii
	.p2align	8
	.type	_ZN4vllm25paged_attention_v1_kernelI14__hip_bfloat16S1_Li112ELi16ELi128ELNS_18Fp8KVCacheDataTypeE0ELb0EEEvPT_PKS3_PKT0_S9_ifPKiSB_iPKfiiiSD_SD_iiiii,@function
_ZN4vllm25paged_attention_v1_kernelI14__hip_bfloat16S1_Li112ELi16ELi128ELNS_18Fp8KVCacheDataTypeE0ELb0EEEvPT_PKS3_PKT0_S9_ifPKiSB_iPKfiiiSD_SD_iiiii: ; @_ZN4vllm25paged_attention_v1_kernelI14__hip_bfloat16S1_Li112ELi16ELi128ELNS_18Fp8KVCacheDataTypeE0ELb0EEEvPT_PKS3_PKT0_S9_ifPKiSB_iPKfiiiSD_SD_iiiii
; %bb.0:
	s_load_b64 s[6:7], s[0:1], 0x20
	s_bfe_u32 s3, ttmp6, 0x4000c
	s_bfe_u32 s5, ttmp6, 0x40010
	s_and_b32 s4, ttmp7, 0xffff
	s_add_co_i32 s3, s3, 1
	s_add_co_i32 s5, s5, 1
	s_and_b32 s2, ttmp6, 15
	s_bfe_u32 s8, ttmp6, 0x40004
	s_mul_i32 s3, ttmp9, s3
	s_mul_i32 s5, s4, s5
	s_getreg_b32 s18, hwreg(HW_REG_IB_STS2, 6, 4)
	s_add_co_i32 s2, s2, s3
	s_add_co_i32 s8, s8, s5
	s_cmp_eq_u32 s18, 0
	s_clause 0x1
	s_load_b32 s19, s[0:1], 0x80
	s_load_b64 s[10:11], s[0:1], 0x30
	s_cselect_b32 s20, s4, s8
	s_cselect_b32 s8, ttmp9, s2
	s_wait_kmcnt 0x0
	s_abs_i32 s2, s6
	s_delay_alu instid0(SALU_CYCLE_1) | instskip(SKIP_1) | instid1(SALU_CYCLE_2)
	s_cvt_f32_u32 s3, s2
	s_sub_co_i32 s4, 0, s2
	v_rcp_iflag_f32_e32 v1, s3
	s_abs_i32 s5, s19
	v_nop
	s_delay_alu instid0(TRANS32_DEP_1) | instskip(SKIP_1) | instid1(SALU_CYCLE_3)
	v_readfirstlane_b32 s3, v1
	s_mul_f32 s3, s3, 0x4f7ffffe
	s_cvt_u32_f32 s3, s3
	s_delay_alu instid0(SALU_CYCLE_3) | instskip(NEXT) | instid1(SALU_CYCLE_1)
	s_mul_i32 s4, s4, s3
	s_mul_hi_u32 s4, s3, s4
	s_delay_alu instid0(SALU_CYCLE_1) | instskip(SKIP_4) | instid1(SALU_CYCLE_1)
	s_add_co_i32 s3, s3, s4
	s_xor_b32 s4, s19, s6
	s_mul_hi_u32 s3, s5, s3
	s_ashr_i32 s4, s4, 31
	s_mul_i32 s6, s3, s2
	s_sub_co_i32 s5, s5, s6
	s_add_co_i32 s6, s3, 1
	s_sub_co_i32 s9, s5, s2
	s_cmp_ge_u32 s5, s2
	s_cselect_b32 s3, s6, s3
	s_cselect_b32 s5, s9, s5
	s_add_co_i32 s6, s3, 1
	s_cmp_ge_u32 s5, s2
	s_cselect_b32 s2, s6, s3
	s_mov_b32 s3, 0
	s_xor_b32 s2, s2, s4
	s_mov_b32 s13, s3
	s_sub_co_i32 s15, s2, s4
	s_load_b64 s[4:5], s[0:1], 0x40
	s_abs_i32 s14, s15
	s_mov_b32 s23, s3
	s_cvt_f32_u32 s2, s14
	s_delay_alu instid0(SALU_CYCLE_3) | instskip(SKIP_1) | instid1(TRANS32_DEP_1)
	v_rcp_iflag_f32_e32 v1, s2
	v_nop
	v_readfirstlane_b32 s2, v1
	s_mul_f32 s2, s2, 0x4f7ffffe
	s_delay_alu instid0(SALU_CYCLE_3) | instskip(SKIP_1) | instid1(SALU_CYCLE_2)
	s_cvt_u32_f32 s6, s2
	s_sub_co_i32 s2, 0, s14
	s_mul_i32 s2, s2, s6
	s_delay_alu instid0(SALU_CYCLE_1)
	s_mul_hi_u32 s9, s6, s2
	s_abs_i32 s2, s8
	s_add_co_i32 s12, s6, s9
	s_wait_kmcnt 0x0
	s_cmp_eq_u64 s[4:5], 0
	s_cbranch_scc1 .LBB139_2
; %bb.1:
	s_ashr_i32 s9, s8, 31
	s_delay_alu instid0(SALU_CYCLE_1) | instskip(NEXT) | instid1(SALU_CYCLE_1)
	s_lshl_b64 s[16:17], s[8:9], 2
	s_add_nc_u64 s[4:5], s[4:5], s[16:17]
	s_load_b32 s23, s[4:5], 0x0
.LBB139_2:
	s_load_b32 s21, s[10:11], s20 offset:0x0 scale_offset
	s_wait_xcnt 0x0
	s_load_b96 s[4:6], s[0:1], 0x48
	v_dual_lshrrev_b32 v1, 1, v0 :: v_dual_bitop2_b32 v50, 1, v0 bitop3:0x40
	s_ashr_i32 s16, s8, 31
	s_ashr_i32 s15, s15, 31
	s_mul_u64 s[10:11], s[2:3], s[12:13]
	s_mulk_i32 s8, 0x70
	s_mov_b32 s3, exec_lo
	v_cmpx_gt_u32_e32 28, v0
	s_cbranch_execz .LBB139_4
; %bb.3:
	s_load_b64 s[12:13], s[0:1], 0x8
	s_wait_kmcnt 0x0
	s_mul_i32 s24, s4, s20
	s_ashr_i32 s9, s8, 31
	s_ashr_i32 s25, s24, 31
	v_lshlrev_b32_e32 v4, 3, v1
	s_lshl_b64 s[24:25], s[24:25], 1
	s_delay_alu instid0(VALU_DEP_1) | instskip(SKIP_2) | instid1(SALU_CYCLE_1)
	v_mad_u32_u24 v4, 0x70, v50, v4
	s_add_nc_u64 s[12:13], s[12:13], s[24:25]
	s_lshl_b64 s[24:25], s[8:9], 1
	s_add_nc_u64 s[12:13], s[12:13], s[24:25]
	global_load_b64 v[2:3], v0, s[12:13] scale_offset
	s_wait_loadcnt 0x0
	ds_store_b64 v4, v[2:3]
.LBB139_4:
	s_or_b32 exec_lo, exec_lo, s3
	s_wait_kmcnt 0x0
	s_add_co_i32 s3, s21, 15
	s_load_b32 s4, s[0:1], 0x38
	s_ashr_i32 s9, s3, 31
	s_mul_i32 s12, s11, s14
	s_lshr_b32 s9, s9, 28
	s_sub_co_i32 s2, s2, s12
	s_add_co_i32 s3, s3, s9
	s_xor_b32 s10, s16, s15
	s_ashr_i32 s22, s3, 4
	s_add_co_i32 s3, s11, 1
	s_sub_co_i32 s9, s2, s14
	s_cmp_ge_u32 s2, s14
	v_lshrrev_b32_e32 v51, 5, v0
	s_cselect_b32 s3, s3, s11
	s_cselect_b32 s2, s9, s2
	s_add_co_i32 s9, s3, 1
	s_cmp_ge_u32 s2, s14
	v_mbcnt_lo_u32_b32 v10, -1, 0
	s_cselect_b32 s2, s9, s3
	s_wait_dscnt 0x0
	s_xor_b32 s2, s2, s10
	s_barrier_signal -1
	s_sub_co_i32 s3, s2, s10
	v_cmp_gt_i32_e64 s2, s22, v51
	s_wait_kmcnt 0x0
	s_mul_i32 s10, s4, s20
	s_mov_b32 s4, exec_lo
	s_ashr_i32 s11, s10, 31
	s_barrier_wait -1
                                        ; implicit-def: $vgpr3
                                        ; implicit-def: $vgpr18
	v_cmpx_le_i32_e64 s22, v51
	s_xor_b32 s4, exec_lo, s4
; %bb.5:
	v_dual_mov_b32 v3, 0 :: v_dual_mov_b32 v18, 32
	v_mbcnt_lo_u32_b32 v10, -1, 0
; %bb.6:
	s_or_saveexec_b32 s24, s4
	s_clause 0x1
	s_load_b64 s[12:13], s[0:1], 0x28
	s_load_b32 s9, s[0:1], 0x88
	v_dual_mov_b32 v2, 0xff7fffff :: v_dual_lshlrev_b32 v9, 3, v0
	v_lshrrev_b32_e32 v8, 3, v0
	s_mul_i32 s14, s3, s6
	s_xor_b32 exec_lo, exec_lo, s24
	s_cbranch_execz .LBB139_12
; %bb.7:
	v_mul_u32_u24_e32 v6, 0x70, v50
	s_load_b64 s[16:17], s[0:1], 0x10
	s_ashr_i32 s15, s14, 31
	s_mov_b32 s6, 0
	s_lshl_b64 s[26:27], s[14:15], 1
	ds_load_b128 v[2:5], v6
	ds_load_b128 v[24:27], v6 offset:16
	ds_load_b128 v[32:35], v6 offset:32
	;; [unrolled: 1-line block ×5, first 2 shown]
	v_dual_mov_b32 v73, v51 :: v_dual_bitop2_b32 v7, 1, v10 bitop3:0x14
	s_delay_alu instid0(VALU_DEP_1)
	v_cmp_gt_i32_e32 vcc_lo, 32, v7
	v_cndmask_b32_e32 v7, v10, v7, vcc_lo
	v_cmp_eq_u32_e32 vcc_lo, 0, v50
	s_wait_dscnt 0x5
	v_dual_lshlrev_b32 v11, 16, v2 :: v_dual_lshlrev_b32 v13, 16, v3
	v_and_b32_e32 v12, 0xffff0000, v2
	v_and_b32_e32 v14, 0xffff0000, v3
	v_dual_lshlrev_b32 v15, 16, v4 :: v_dual_lshlrev_b32 v17, 16, v5
	v_and_b32_e32 v16, 0xffff0000, v4
	v_and_b32_e32 v19, 0xffff0000, v5
	ds_load_b128 v[2:5], v6 offset:80
	v_bfe_u32 v6, v0, 1, 4
	s_wait_dscnt 0x2
	v_lshlrev_b32_e32 v48, 16, v54
	v_and_b32_e32 v49, 0xffff0000, v54
	v_dual_lshlrev_b32 v44, 16, v52 :: v_dual_lshlrev_b32 v46, 16, v53
	v_and_b32_e32 v45, 0xffff0000, v52
	v_and_b32_e32 v47, 0xffff0000, v53
	v_lshlrev_b32_e32 v52, 16, v55
	v_and_b32_e32 v53, 0xffff0000, v55
	s_wait_dscnt 0x1
	v_dual_lshlrev_b32 v62, 16, v66 :: v_dual_lshlrev_b32 v64, 16, v67
	v_and_b32_e32 v63, 0xffff0000, v66
	v_lshlrev_b32_e32 v66, 16, v68
	s_wait_kmcnt 0x0
	s_add_nc_u64 s[16:17], s[16:17], s[26:27]
	v_and_b32_e32 v65, 0xffff0000, v67
	v_and_b32_e32 v67, 0xffff0000, v68
	v_dual_lshlrev_b32 v68, 16, v69 :: v_dual_lshlrev_b32 v18, 2, v6
	s_wait_dscnt 0x0
	v_dual_lshlrev_b32 v70, 2, v7 :: v_dual_lshlrev_b32 v54, 16, v2
	v_lshlrev_b32_e32 v56, 16, v3
	v_and_b32_e32 v57, 0xffff0000, v3
	v_mov_b32_e32 v3, 0
	v_and_b32_e32 v55, 0xffff0000, v2
	v_dual_lshlrev_b32 v2, 4, v6 :: v_dual_lshlrev_b32 v58, 16, v4
	v_lshlrev_b32_e32 v60, 16, v5
	v_and_b32_e32 v59, 0xffff0000, v4
	v_and_b32_e32 v61, 0xffff0000, v5
	s_delay_alu instid0(VALU_DEP_4)
	v_add_nc_u64_e32 v[4:5], s[16:17], v[2:3]
	v_and_b32_e32 v2, 8, v9
	s_ashr_i32 s17, s5, 31
	s_cmp_neq_f32 s23, 0
	v_lshl_or_b32 v7, v51, 6, v18
	v_lshl_or_b32 v71, v51, 4, v6
	v_dual_lshlrev_b32 v20, 16, v24 :: v_dual_lshlrev_b32 v22, 16, v25
	v_add_nc_u64_e32 v[4:5], v[4:5], v[2:3]
	v_and_b32_e32 v2, 0x7c, v8
	s_cselect_b32 s3, -1, 0
	s_lshl_b64 s[26:27], s[10:11], 2
	v_add_nc_u32_e32 v72, 0x100, v7
	s_add_nc_u64 s[26:27], s[12:13], s[26:27]
	v_and_b32_e32 v21, 0xffff0000, v24
	v_add_nc_u64_e32 v[6:7], s[26:27], v[2:3]
	v_and_b32_e32 v23, 0xffff0000, v25
	v_lshlrev_b32_e32 v24, 16, v26
	v_and_b32_e32 v25, 0xffff0000, v26
	v_lshlrev_b32_e32 v26, 16, v27
	v_and_b32_e32 v27, 0xffff0000, v27
	v_dual_lshlrev_b32 v28, 16, v32 :: v_dual_lshlrev_b32 v30, 16, v33
	v_and_b32_e32 v29, 0xffff0000, v32
	v_and_b32_e32 v31, 0xffff0000, v33
	v_lshlrev_b32_e32 v32, 16, v34
	v_and_b32_e32 v33, 0xffff0000, v34
	v_lshlrev_b32_e32 v34, 16, v35
	v_and_b32_e32 v35, 0xffff0000, v35
	v_dual_lshlrev_b32 v36, 16, v40 :: v_dual_lshlrev_b32 v38, 16, v41
	v_and_b32_e32 v37, 0xffff0000, v40
	v_and_b32_e32 v39, 0xffff0000, v41
	v_lshlrev_b32_e32 v40, 16, v42
	v_and_b32_e32 v41, 0xffff0000, v42
	v_lshlrev_b32_e32 v42, 16, v43
	v_and_b32_e32 v43, 0xffff0000, v43
	v_and_b32_e32 v69, 0xffff0000, v69
	v_mov_b32_e32 v18, 32
	v_mov_b32_e32 v2, 0xff7fffff
	s_mov_b32 s16, s5
	s_sub_co_i32 s15, 1, s21
	s_branch .LBB139_9
.LBB139_8:                              ;   in Loop: Header=BB139_9 Depth=1
	s_or_b32 exec_lo, exec_lo, s25
	v_dual_add_nc_u32 v73, 4, v73 :: v_dual_add_nc_u32 v71, 64, v71
	v_add_nc_u64_e32 v[6:7], 16, v[6:7]
	v_add_nc_u32_e32 v72, 0x100, v72
	s_delay_alu instid0(VALU_DEP_3) | instskip(SKIP_1) | instid1(SALU_CYCLE_1)
	v_cmp_le_i32_e64 s4, s22, v73
	s_or_b32 s6, s4, s6
	s_and_not1_b32 exec_lo, exec_lo, s6
	s_cbranch_execz .LBB139_11
.LBB139_9:                              ; =>This Inner Loop Header: Depth=1
	global_load_b32 v74, v[6:7], off
	s_wait_loadcnt_dscnt 0x0
	v_ashrrev_i32_e32 v75, 31, v74
	s_delay_alu instid0(VALU_DEP_1) | instskip(NEXT) | instid1(VALU_DEP_1)
	v_mul_u64_e32 v[74:75], s[16:17], v[74:75]
	v_lshl_add_u64 v[74:75], v[74:75], 1, v[4:5]
	s_clause 0xd
	global_load_b64 v[76:77], v[74:75], off offset:256
	global_load_b64 v[78:79], v[74:75], off offset:512
	;; [unrolled: 1-line block ×3, first 2 shown]
	global_load_b64 v[82:83], v[74:75], off
	global_load_b64 v[84:85], v[74:75], off offset:1024
	global_load_b64 v[86:87], v[74:75], off offset:1280
	;; [unrolled: 1-line block ×10, first 2 shown]
	s_wait_loadcnt 0xd
	v_lshlrev_b32_e32 v102, 16, v76
	v_and_b32_e32 v76, 0xffff0000, v76
	v_lshlrev_b32_e32 v103, 16, v77
	v_and_b32_e32 v77, 0xffff0000, v77
	s_delay_alu instid0(VALU_DEP_3) | instskip(NEXT) | instid1(VALU_DEP_2)
	v_dual_mul_f32 v102, v15, v102 :: v_dual_mul_f32 v76, v16, v76
	v_dual_mul_f32 v103, v17, v103 :: v_dual_mul_f32 v77, v19, v77
	s_wait_loadcnt 0xa
	s_delay_alu instid0(VALU_DEP_2) | instskip(NEXT) | instid1(VALU_DEP_3)
	v_fma_mix_f32_bf16 v102, v11, v82, v102 op_sel_hi:[0,1,0]
	v_fma_mix_f32_bf16 v76, v12, v82, v76 op_sel:[0,1,0] op_sel_hi:[0,1,0]
	s_delay_alu instid0(VALU_DEP_3) | instskip(SKIP_1) | instid1(VALU_DEP_4)
	v_fma_mix_f32_bf16 v82, v13, v83, v103 op_sel_hi:[0,1,0]
	v_fma_mix_f32_bf16 v77, v14, v83, v77 op_sel:[0,1,0] op_sel_hi:[0,1,0]
	v_fma_mix_f32_bf16 v102, v20, v78, v102 op_sel_hi:[0,1,0]
	s_delay_alu instid0(VALU_DEP_4) | instskip(NEXT) | instid1(VALU_DEP_4)
	v_fma_mix_f32_bf16 v76, v21, v78, v76 op_sel:[0,1,0] op_sel_hi:[0,1,0]
	v_fma_mix_f32_bf16 v78, v22, v79, v82 op_sel_hi:[0,1,0]
	s_delay_alu instid0(VALU_DEP_4) | instskip(NEXT) | instid1(VALU_DEP_4)
	;; [unrolled: 3-line block ×3, first 2 shown]
	v_fma_mix_f32_bf16 v76, v25, v80, v76 op_sel:[0,1,0] op_sel_hi:[0,1,0]
	v_fma_mix_f32_bf16 v78, v26, v81, v78 op_sel_hi:[0,1,0]
	s_delay_alu instid0(VALU_DEP_4)
	v_fma_mix_f32_bf16 v77, v27, v81, v77 op_sel:[0,1,0] op_sel_hi:[0,1,0]
	s_wait_loadcnt 0x9
	v_fma_mix_f32_bf16 v79, v28, v84, v82 op_sel_hi:[0,1,0]
	v_fma_mix_f32_bf16 v76, v29, v84, v76 op_sel:[0,1,0] op_sel_hi:[0,1,0]
	v_fma_mix_f32_bf16 v78, v30, v85, v78 op_sel_hi:[0,1,0]
	v_fma_mix_f32_bf16 v77, v31, v85, v77 op_sel:[0,1,0] op_sel_hi:[0,1,0]
	s_wait_loadcnt 0x8
	v_fma_mix_f32_bf16 v79, v32, v86, v79 op_sel_hi:[0,1,0]
	v_fma_mix_f32_bf16 v76, v33, v86, v76 op_sel:[0,1,0] op_sel_hi:[0,1,0]
	v_fma_mix_f32_bf16 v78, v34, v87, v78 op_sel_hi:[0,1,0]
	;; [unrolled: 5-line block ×9, first 2 shown]
	s_wait_loadcnt 0x0
	s_delay_alu instid0(VALU_DEP_3) | instskip(SKIP_4) | instid1(VALU_DEP_3)
	v_fma_mix_f32_bf16 v79, v66, v74, v79 op_sel_hi:[0,1,0]
	s_wait_xcnt 0x0
	v_fma_mix_f32_bf16 v74, v67, v74, v76 op_sel:[0,1,0] op_sel_hi:[0,1,0]
	v_fma_mix_f32_bf16 v76, v65, v101, v77 op_sel:[0,1,0] op_sel_hi:[0,1,0]
	v_fma_mix_f32_bf16 v77, v68, v75, v78 op_sel_hi:[0,1,0]
	v_add_f32_e32 v74, v79, v74
	s_delay_alu instid0(VALU_DEP_3) | instskip(NEXT) | instid1(VALU_DEP_2)
	v_fma_mix_f32_bf16 v75, v69, v75, v76 op_sel:[0,1,0] op_sel_hi:[0,1,0]
	v_add_f32_e32 v74, v74, v77
	s_delay_alu instid0(VALU_DEP_1)
	v_add_f32_e32 v74, v75, v74
	ds_bpermute_b32 v75, v70, v74
	s_and_saveexec_b32 s25, vcc_lo
	s_cbranch_execz .LBB139_8
; %bb.10:                               ;   in Loop: Header=BB139_9 Depth=1
	s_wait_dscnt 0x0
	v_add_f32_e32 v74, v74, v75
	v_add_nc_u32_e32 v76, s15, v71
	v_cmp_gt_i32_e64 s4, s21, v71
	s_delay_alu instid0(VALU_DEP_2) | instskip(NEXT) | instid1(VALU_DEP_1)
	v_cvt_f32_i32_e32 v76, v76
	v_mul_f32_e32 v76, s23, v76
	s_delay_alu instid0(VALU_DEP_1) | instskip(NEXT) | instid1(VALU_DEP_1)
	v_dual_cndmask_b32 v75, 0, v76, s3 :: v_dual_max_num_f32 v76, v2, v2
	v_fmac_f32_e32 v75, s7, v74
	s_delay_alu instid0(VALU_DEP_1) | instskip(NEXT) | instid1(VALU_DEP_1)
	v_dual_max_num_f32 v74, v76, v75 :: v_dual_cndmask_b32 v75, 0, v75, s4
	v_cndmask_b32_e64 v2, v2, v74, s4
	ds_store_b32 v72, v75
	s_branch .LBB139_8
.LBB139_11:
	s_or_b32 exec_lo, exec_lo, s6
.LBB139_12:
	s_delay_alu instid0(SALU_CYCLE_1)
	s_or_b32 exec_lo, exec_lo, s24
	v_xor_b32_e32 v4, 16, v10
	s_clause 0x1
	s_load_b64 s[6:7], s[0:1], 0x0
	s_load_b64 s[16:17], s[0:1], 0x18
	v_xor_b32_e32 v6, 8, v10
	v_and_b32_e32 v52, 31, v0
	v_cmp_lt_i32_e32 vcc_lo, v4, v18
	v_cndmask_b32_e32 v4, v10, v4, vcc_lo
	s_delay_alu instid0(VALU_DEP_4) | instskip(NEXT) | instid1(VALU_DEP_2)
	v_cmp_lt_i32_e32 vcc_lo, v6, v18
	v_lshlrev_b32_e32 v4, 2, v4
	ds_bpermute_b32 v5, v4, v2
	s_wait_dscnt 0x0
	v_dual_max_num_f32 v2, v2, v2 :: v_dual_max_num_f32 v7, v5, v5
	s_delay_alu instid0(VALU_DEP_1) | instskip(SKIP_1) | instid1(VALU_DEP_2)
	v_dual_max_num_f32 v2, v2, v7 :: v_dual_bitop2_b32 v7, 4, v10 bitop3:0x14
	v_cndmask_b32_e32 v6, v10, v6, vcc_lo
	v_cmp_lt_i32_e32 vcc_lo, v7, v18
	s_delay_alu instid0(VALU_DEP_2) | instskip(SKIP_3) | instid1(VALU_DEP_1)
	v_dual_cndmask_b32 v7, v10, v7, vcc_lo :: v_dual_lshlrev_b32 v5, 2, v6
	ds_bpermute_b32 v6, v5, v2
	s_wait_dscnt 0x0
	v_dual_max_num_f32 v11, v6, v6 :: v_dual_lshlrev_b32 v6, 2, v7
	v_dual_max_num_f32 v2, v2, v11 :: v_dual_bitop2_b32 v11, 2, v10 bitop3:0x14
	ds_bpermute_b32 v7, v6, v2
	v_cmp_lt_i32_e32 vcc_lo, v11, v18
	v_cndmask_b32_e32 v12, v10, v11, vcc_lo
	v_cmp_eq_u32_e32 vcc_lo, 0, v52
	s_wait_dscnt 0x0
	v_max_num_f32_e32 v7, v7, v7
	s_delay_alu instid0(VALU_DEP_1)
	v_dual_max_num_f32 v11, v2, v7 :: v_dual_lshlrev_b32 v2, 2, v12
	v_lshlrev_b32_e32 v7, 2, v51
	ds_bpermute_b32 v12, v2, v11
	s_wait_xcnt 0x0
	s_and_saveexec_b32 s0, vcc_lo
	s_cbranch_execz .LBB139_14
; %bb.13:
	s_wait_dscnt 0x0
	v_dual_max_num_f32 v12, v12, v12 :: v_dual_max_num_f32 v11, v11, v11
	s_delay_alu instid0(VALU_DEP_1)
	v_max_num_f32_e32 v11, v11, v12
	ds_store_b32 v7, v11 offset:224
.LBB139_14:
	s_or_b32 exec_lo, exec_lo, s0
	v_cmp_gt_u32_e64 s0, 4, v52
	s_wait_dscnt 0x0
	v_dual_mov_b32 v12, 0xff7fffff :: v_dual_lshlrev_b32 v11, 2, v52
	s_barrier_signal -1
	s_barrier_wait -1
	s_and_saveexec_b32 s1, s0
; %bb.15:
	ds_load_b32 v12, v11 offset:224
; %bb.16:
	s_or_b32 exec_lo, exec_lo, s1
	s_wait_dscnt 0x0
	ds_bpermute_b32 v13, v2, v12
	v_dual_max_num_f32 v12, v12, v12 :: v_dual_bitop2_b32 v14, 1, v10 bitop3:0x14
	v_lshlrev_b32_e32 v3, 2, v3
	s_delay_alu instid0(VALU_DEP_2) | instskip(NEXT) | instid1(VALU_DEP_1)
	v_cmp_lt_i32_e64 s1, v14, v18
	v_cndmask_b32_e64 v14, v10, v14, s1
	s_lshl_b32 s1, s22, 4
	s_delay_alu instid0(SALU_CYCLE_1) | instskip(NEXT) | instid1(SALU_CYCLE_1)
	s_min_i32 s4, s1, s21
	v_cmp_gt_i32_e64 s1, s4, v0
	s_wait_dscnt 0x0
	v_dual_max_num_f32 v13, v13, v13 :: v_dual_lshlrev_b32 v53, 2, v14
	s_delay_alu instid0(VALU_DEP_1) | instskip(SKIP_3) | instid1(VALU_DEP_1)
	v_max_num_f32_e32 v12, v12, v13
	ds_bpermute_b32 v13, v53, v12
	s_wait_dscnt 0x0
	v_max_num_f32_e32 v13, v13, v13
	v_max_num_f32_e32 v12, v12, v13
	ds_bpermute_b32 v12, v3, v12
	v_mov_b32_e32 v3, 0
	s_and_saveexec_b32 s15, s1
	s_cbranch_execz .LBB139_20
; %bb.17:
	v_lshl_add_u32 v13, v0, 2, 0x100
	v_dual_mov_b32 v3, 0 :: v_dual_mov_b32 v14, v0
	s_mov_b32 s23, 0
.LBB139_18:                             ; =>This Inner Loop Header: Depth=1
	ds_load_b32 v15, v13
	v_add_nc_u32_e32 v14, 0x80, v14
	s_delay_alu instid0(VALU_DEP_1) | instskip(SKIP_3) | instid1(VALU_DEP_1)
	v_cmp_le_i32_e64 s3, s4, v14
	s_or_b32 s23, s3, s23
	s_wait_dscnt 0x0
	v_sub_f32_e32 v15, v15, v12
	v_mul_f32_e32 v15, 0x3fb8aa3b, v15
	s_delay_alu instid0(VALU_DEP_1)
	v_exp_f32_e32 v15, v15
	ds_store_b32 v13, v15
	v_nop
	v_add_f32_e32 v3, v3, v15
	v_add_nc_u32_e32 v13, 0x200, v13
	s_and_not1_b32 exec_lo, exec_lo, s23
	s_cbranch_execnz .LBB139_18
; %bb.19:
	s_or_b32 exec_lo, exec_lo, s23
.LBB139_20:
	s_delay_alu instid0(SALU_CYCLE_1)
	s_or_b32 exec_lo, exec_lo, s15
	ds_bpermute_b32 v4, v4, v3
	s_wait_dscnt 0x0
	v_add_f32_e32 v3, v3, v4
	ds_bpermute_b32 v4, v5, v3
	s_wait_dscnt 0x0
	v_add_f32_e32 v3, v3, v4
	;; [unrolled: 3-line block ×5, first 2 shown]
	s_and_saveexec_b32 s3, vcc_lo
; %bb.21:
	ds_store_b32 v7, v3 offset:240
; %bb.22:
	s_or_b32 exec_lo, exec_lo, s3
	s_wait_dscnt 0x0
	s_barrier_signal -1
	s_barrier_wait -1
	s_and_saveexec_b32 s3, s0
; %bb.23:
	ds_load_b32 v3, v11 offset:240
; %bb.24:
	s_or_b32 exec_lo, exec_lo, s3
	s_wait_dscnt 0x0
	ds_bpermute_b32 v2, v2, v3
	s_wait_dscnt 0x0
	v_add_f32_e32 v2, v3, v2
	ds_bpermute_b32 v3, v53, v2
	s_wait_dscnt 0x0
	v_dual_lshlrev_b32 v4, 2, v10 :: v_dual_add_f32 v2, v2, v3
	s_delay_alu instid0(VALU_DEP_1)
	v_and_b32_e32 v3, 0xffffff80, v4
	ds_bpermute_b32 v2, v3, v2
	s_and_saveexec_b32 s0, s1
	s_cbranch_execz .LBB139_37
; %bb.25:
	s_wait_dscnt 0x0
	v_add_f32_e32 v2, 0x358637bd, v2
	s_mov_b32 s3, -1
	s_mov_b32 s1, exec_lo
	s_delay_alu instid0(VALU_DEP_1) | instskip(NEXT) | instid1(VALU_DEP_1)
	v_div_scale_f32 v3, null, v2, v2, 1.0
	v_rcp_f32_e32 v5, v3
	v_nop
	s_delay_alu instid0(TRANS32_DEP_1) | instskip(NEXT) | instid1(VALU_DEP_1)
	v_fma_f32 v4, -v3, v5, 1.0
	v_fmac_f32_e32 v5, v4, v5
	v_div_scale_f32 v6, vcc_lo, 1.0, v2, 1.0
	s_delay_alu instid0(VALU_DEP_1) | instskip(NEXT) | instid1(VALU_DEP_1)
	v_mul_f32_e32 v7, v6, v5
	v_fma_f32 v4, -v3, v7, v6
	s_delay_alu instid0(VALU_DEP_1) | instskip(SKIP_1) | instid1(VALU_DEP_2)
	v_fmac_f32_e32 v7, v4, v5
	v_xad_u32 v4, v0, -1, s4
	v_fma_f32 v3, -v3, v7, v6
	s_delay_alu instid0(VALU_DEP_1) | instskip(NEXT) | instid1(VALU_DEP_1)
	v_div_fmas_f32 v3, v3, v5, v7
	v_div_fixup_f32 v2, v3, v2, 1.0
	v_mov_b32_e32 v3, v0
	v_cmpx_lt_u32_e32 0x7f, v4
	s_cbranch_execz .LBB139_34
; %bb.26:
	s_delay_alu instid0(VALU_DEP_3) | instskip(NEXT) | instid1(VALU_DEP_1)
	v_dual_mov_b32 v3, v2 :: v_dual_lshrrev_b32 v4, 7, v4
	v_dual_mov_b32 v10, 0 :: v_dual_add_nc_u32 v5, -1, v4
	s_delay_alu instid0(VALU_DEP_1) | instskip(SKIP_1) | instid1(VALU_DEP_2)
	v_lshrrev_b32_e32 v6, 1, v5
	v_cmp_lt_u32_e32 vcc_lo, 13, v5
	v_add_nc_u32_e32 v5, 1, v6
	s_and_saveexec_b32 s3, vcc_lo
	s_cbranch_execz .LBB139_30
; %bb.27:
	s_delay_alu instid0(VALU_DEP_1)
	v_and_b32_e32 v6, -8, v5
	v_lshl_add_u32 v7, v0, 2, 0x100
	s_mov_b32 s15, 0
	s_mov_b32 s23, 0
.LBB139_28:                             ; =>This Inner Loop Header: Depth=1
	ds_load_2addr_stride64_b32 v[10:11], v7 offset1:2
	ds_load_2addr_stride64_b32 v[12:13], v7 offset0:4 offset1:6
	ds_load_2addr_stride64_b32 v[14:15], v7 offset0:8 offset1:10
	;; [unrolled: 1-line block ×7, first 2 shown]
	s_add_co_i32 s23, s23, 16
	v_add_nc_u32_e32 v6, -8, v6
	s_wait_dscnt 0x7
	v_pk_mul_f32 v[10:11], v[2:3], v[10:11]
	s_wait_dscnt 0x6
	v_pk_mul_f32 v[12:13], v[2:3], v[12:13]
	;; [unrolled: 2-line block ×8, first 2 shown]
	ds_store_2addr_stride64_b32 v7, v10, v11 offset1:2
	ds_store_2addr_stride64_b32 v7, v12, v13 offset0:4 offset1:6
	ds_store_2addr_stride64_b32 v7, v14, v15 offset0:8 offset1:10
	;; [unrolled: 1-line block ×7, first 2 shown]
	v_mov_b32_e32 v10, s23
	v_cmp_eq_u32_e32 vcc_lo, 0, v6
	v_add_nc_u32_e32 v7, 0x2000, v7
	s_or_b32 s15, vcc_lo, s15
	s_delay_alu instid0(SALU_CYCLE_1)
	s_and_not1_b32 exec_lo, exec_lo, s15
	s_cbranch_execnz .LBB139_28
; %bb.29:
	s_or_b32 exec_lo, exec_lo, s15
.LBB139_30:
	s_delay_alu instid0(SALU_CYCLE_1) | instskip(NEXT) | instid1(VALU_DEP_1)
	s_or_b32 exec_lo, exec_lo, s3
	v_and_b32_e32 v5, 7, v5
	s_mov_b32 s15, 0
	s_mov_b32 s3, exec_lo
	s_delay_alu instid0(VALU_DEP_1)
	v_cmpx_ne_u32_e32 0, v5
	s_cbranch_execz .LBB139_33
; %bb.31:
	v_dual_lshlrev_b32 v6, 9, v10 :: v_dual_lshlrev_b32 v7, 2, v0
	s_delay_alu instid0(VALU_DEP_1)
	v_add3_u32 v6, v6, v7, 0x100
.LBB139_32:                             ; =>This Inner Loop Header: Depth=1
	ds_load_2addr_stride64_b32 v[10:11], v6 offset1:2
	v_add_nc_u32_e32 v5, -1, v5
	s_delay_alu instid0(VALU_DEP_1)
	v_cmp_eq_u32_e32 vcc_lo, 0, v5
	s_or_b32 s15, vcc_lo, s15
	s_wait_dscnt 0x0
	v_pk_mul_f32 v[10:11], v[2:3], v[10:11]
	ds_store_2addr_stride64_b32 v6, v10, v11 offset1:2
	v_add_nc_u32_e32 v6, 0x400, v6
	s_and_not1_b32 exec_lo, exec_lo, s15
	s_cbranch_execnz .LBB139_32
.LBB139_33:
	s_or_b32 exec_lo, exec_lo, s3
	v_add_nc_u32_e32 v3, 1, v4
	s_delay_alu instid0(VALU_DEP_1) | instskip(NEXT) | instid1(VALU_DEP_1)
	v_and_b32_e32 v4, 0x3fffffe, v3
	v_cmp_ne_u32_e32 vcc_lo, v3, v4
	v_lshl_add_u32 v3, v4, 7, v0
	s_or_not1_b32 s3, vcc_lo, exec_lo
.LBB139_34:
	s_or_b32 exec_lo, exec_lo, s1
	s_delay_alu instid0(SALU_CYCLE_1)
	s_and_b32 exec_lo, exec_lo, s3
	s_cbranch_execz .LBB139_37
; %bb.35:
	v_lshl_add_u32 v4, v3, 2, 0x100
	s_mov_b32 s1, 0
.LBB139_36:                             ; =>This Inner Loop Header: Depth=1
	ds_load_b32 v5, v4
	v_add_nc_u32_e32 v3, 0x80, v3
	s_delay_alu instid0(VALU_DEP_1)
	v_cmp_le_i32_e32 vcc_lo, s4, v3
	s_or_b32 s1, vcc_lo, s1
	s_wait_dscnt 0x0
	v_mul_f32_e32 v5, v2, v5
	ds_store_b32 v4, v5
	v_add_nc_u32_e32 v4, 0x200, v4
	s_and_not1_b32 exec_lo, exec_lo, s1
	s_cbranch_execnz .LBB139_36
.LBB139_37:
	s_or_b32 exec_lo, exec_lo, s0
	v_dual_mov_b32 v41, 0 :: v_dual_mov_b32 v40, 0
	v_dual_mov_b32 v43, 0 :: v_dual_mov_b32 v42, 0
	;; [unrolled: 1-line block ×3, first 2 shown]
	v_mov_b32_e32 v39, 0
	s_wait_dscnt 0x0
	s_barrier_signal -1
	s_barrier_wait -1
	s_and_saveexec_b32 s1, s2
	s_cbranch_execz .LBB139_55
; %bb.38:
	v_dual_lshlrev_b32 v2, 4, v0 :: v_dual_bitop2_b32 v3, 8, v9 bitop3:0x40
	s_ashr_i32 s15, s14, 31
	v_dual_mov_b32 v39, 0 :: v_dual_lshlrev_b32 v4, 5, v50
	s_delay_alu instid0(VALU_DEP_2)
	v_and_b32_e32 v38, 0x1f0, v2
	s_lshl_b64 s[14:15], s[14:15], 1
	s_ashr_i32 s3, s5, 31
	s_wait_kmcnt 0x0
	s_add_nc_u64 s[14:15], s[16:17], s[14:15]
	s_mov_b32 s2, s5
	v_add_nc_u64_e32 v[46:47], s[14:15], v[38:39]
	v_and_b32_e32 v38, 0x7c, v8
	s_lshl_b64 s[4:5], s[10:11], 2
	v_lshl_or_b32 v2, v51, 6, v4
	s_add_nc_u64 s[4:5], s[12:13], s[4:5]
	v_lshl_or_b32 v54, v51, 4, v3
	v_add_nc_u64_e32 v[48:49], s[4:5], v[38:39]
	v_dual_mov_b32 v41, v39 :: v_dual_mov_b32 v43, v39
	v_dual_mov_b32 v40, v39 :: v_dual_add_nc_u32 v55, 0x100, v2
	v_dual_mov_b32 v42, v39 :: v_dual_mov_b32 v45, v39
	v_dual_mov_b32 v44, v39 :: v_dual_mov_b32 v38, v51
	s_add_co_i32 s4, s22, -1
	s_mov_b32 s10, s21
	s_mov_b32 s5, 0
	s_branch .LBB139_40
.LBB139_39:                             ;   in Loop: Header=BB139_40 Depth=1
	s_or_b32 exec_lo, exec_lo, s0
	s_wait_dscnt 0x1
	v_cvt_pk_bf16_f32 v14, v14, v15
	v_cvt_pk_bf16_f32 v15, v16, v17
	s_wait_dscnt 0x0
	v_cvt_pk_bf16_f32 v10, v10, v11
	v_cvt_pk_bf16_f32 v12, v12, v13
	v_add_nc_u64_e32 v[48:49], 16, v[48:49]
	s_wait_loadcnt 0x1
	v_pk_mul_bf16 v11, v14, v34
	v_pk_mul_bf16 v16, v15, v35
	;; [unrolled: 1-line block ×5, first 2 shown]
	s_delay_alu instid0(VALU_DEP_4)
	v_dual_lshlrev_b32 v17, 16, v11 :: v_dual_lshlrev_b32 v34, 16, v16
	v_and_b32_e32 v11, 0xffff0000, v11
	v_and_b32_e32 v16, 0xffff0000, v16
	v_lshlrev_b32_e32 v36, 16, v13
	v_and_b32_e32 v13, 0xffff0000, v13
	v_pk_mul_bf16 v24, v10, v24
	s_delay_alu instid0(VALU_DEP_4)
	v_dual_add_f32 v11, v17, v11 :: v_dual_add_f32 v16, v34, v16
	v_pk_mul_bf16 v17, v14, v30
	v_lshlrev_b32_e32 v30, 16, v35
	v_and_b32_e32 v34, 0xffff0000, v35
	v_add_f32_e32 v13, v36, v13
	v_add_f32_e32 v11, v16, v11
	v_pk_mul_bf16 v16, v15, v31
	v_lshlrev_b32_e32 v31, 16, v17
	v_and_b32_e32 v17, 0xffff0000, v17
	s_delay_alu instid0(VALU_DEP_4) | instskip(NEXT) | instid1(VALU_DEP_4)
	v_dual_add_f32 v30, v30, v34 :: v_dual_add_f32 v11, v13, v11
	v_lshlrev_b32_e32 v13, 16, v16
	v_and_b32_e32 v16, 0xffff0000, v16
	s_delay_alu instid0(VALU_DEP_4)
	v_add_f32_e32 v17, v31, v17
	v_pk_mul_bf16 v31, v12, v33
	v_add_f32_e32 v11, v30, v11
	v_and_b32_e32 v30, 0xffff0000, v32
	v_add_f32_e32 v13, v13, v16
	v_lshlrev_b32_e32 v16, 16, v32
	v_pk_mul_bf16 v18, v14, v18
	v_add_f32_e32 v41, v41, v11
	v_pk_mul_bf16 v19, v15, v19
	v_pk_mul_bf16 v20, v10, v20
	v_dual_add_f32 v16, v16, v30 :: v_dual_add_f32 v11, v13, v17
	v_pk_mul_bf16 v13, v14, v22
	v_pk_mul_bf16 v17, v15, v23
	v_lshlrev_b32_e32 v22, 16, v31
	v_and_b32_e32 v23, 0xffff0000, v31
	s_delay_alu instid0(VALU_DEP_4) | instskip(SKIP_1) | instid1(VALU_DEP_3)
	v_dual_add_f32 v11, v16, v11 :: v_dual_lshlrev_b32 v30, 16, v13
	v_and_b32_e32 v13, 0xffff0000, v13
	v_dual_add_f32 v16, v22, v23 :: v_dual_lshlrev_b32 v31, 16, v17
	v_and_b32_e32 v17, 0xffff0000, v17
	s_delay_alu instid0(VALU_DEP_3) | instskip(SKIP_2) | instid1(VALU_DEP_4)
	v_dual_add_f32 v13, v30, v13 :: v_dual_lshlrev_b32 v22, 16, v24
	v_and_b32_e32 v23, 0xffff0000, v24
	v_pk_mul_bf16 v24, v12, v25
	v_dual_add_f32 v17, v31, v17 :: v_dual_add_f32 v11, v16, v11
	v_pk_mul_bf16 v6, v14, v6
	v_pk_mul_bf16 v7, v15, v7
	s_delay_alu instid0(VALU_DEP_3)
	v_dual_lshlrev_b32 v25, 16, v24 :: v_dual_add_f32 v13, v17, v13
	v_dual_add_f32 v17, v22, v23 :: v_dual_lshlrev_b32 v22, 16, v18
	v_and_b32_e32 v18, 0xffff0000, v18
	v_lshlrev_b32_e32 v23, 16, v19
	v_and_b32_e32 v19, 0xffff0000, v19
	v_and_b32_e32 v24, 0xffff0000, v24
	s_delay_alu instid0(VALU_DEP_4) | instskip(NEXT) | instid1(VALU_DEP_3)
	v_dual_add_f32 v40, v40, v11 :: v_dual_add_f32 v18, v22, v18
	v_dual_add_f32 v19, v23, v19 :: v_dual_lshlrev_b32 v22, 16, v20
	v_and_b32_e32 v20, 0xffff0000, v20
	v_add_f32_e32 v13, v17, v13
	v_add_f32_e32 v16, v25, v24
	v_pk_mul_bf16 v11, v12, v21
	s_delay_alu instid0(VALU_DEP_4) | instskip(NEXT) | instid1(VALU_DEP_3)
	v_dual_add_f32 v17, v19, v18 :: v_dual_add_f32 v18, v22, v20
	v_dual_lshlrev_b32 v19, 16, v7 :: v_dual_add_f32 v13, v16, v13
	v_and_b32_e32 v7, 0xffff0000, v7
	v_pk_mul_bf16 v2, v14, v2
	s_delay_alu instid0(VALU_DEP_4)
	v_dual_add_f32 v16, v18, v17 :: v_dual_lshlrev_b32 v17, 16, v11
	v_and_b32_e32 v11, 0xffff0000, v11
	v_lshlrev_b32_e32 v18, 16, v6
	v_and_b32_e32 v6, 0xffff0000, v6
	v_pk_mul_bf16 v3, v15, v3
	v_pk_mul_bf16 v8, v10, v8
	v_add_f32_e32 v11, v17, v11
	s_delay_alu instid0(VALU_DEP_4) | instskip(NEXT) | instid1(VALU_DEP_4)
	v_dual_add_f32 v7, v19, v7 :: v_dual_add_f32 v6, v18, v6
	v_dual_lshlrev_b32 v18, 16, v2 :: v_dual_lshlrev_b32 v19, 16, v3
	v_and_b32_e32 v2, 0xffff0000, v2
	v_and_b32_e32 v3, 0xffff0000, v3
	v_pk_mul_bf16 v9, v12, v9
	v_pk_mul_bf16 v4, v10, v4
	s_delay_alu instid0(VALU_DEP_4) | instskip(NEXT) | instid1(VALU_DEP_4)
	v_dual_add_f32 v2, v18, v2 :: v_dual_lshlrev_b32 v17, 16, v8
	v_add_f32_e32 v3, v19, v3
	v_and_b32_e32 v8, 0xffff0000, v8
	v_dual_lshlrev_b32 v18, 16, v9 :: v_dual_add_f32 v20, v7, v6
	v_pk_mul_bf16 v21, v12, v5
	s_delay_alu instid0(VALU_DEP_4)
	v_add_f32_e32 v22, v3, v2
	s_wait_loadcnt 0x0
	v_pk_mul_bf16 v2, v14, v26
	v_lshlrev_b32_e32 v23, 16, v4
	v_and_b32_e32 v14, 0xffff0000, v4
	v_pk_mul_bf16 v4, v15, v27
	v_add_f32_e32 v17, v17, v8
	v_pk_mul_bf16 v6, v10, v28
	v_pk_mul_bf16 v8, v12, v29
	v_and_b32_e32 v3, 0xffff0000, v2
	v_lshlrev_b32_e32 v5, 16, v2
	v_and_b32_e32 v2, 0xffff0000, v4
	v_lshlrev_b32_e32 v4, 16, v4
	v_and_b32_e32 v19, 0xffff0000, v9
	v_and_b32_e32 v7, 0xffff0000, v6
	v_lshlrev_b32_e32 v9, 16, v6
	v_and_b32_e32 v6, 0xffff0000, v8
	v_dual_lshlrev_b32 v8, 16, v8 :: v_dual_add_f32 v10, v23, v14
	v_pk_add_f32 v[2:3], v[4:5], v[2:3]
	v_lshlrev_b32_e32 v12, 16, v21
	v_and_b32_e32 v14, 0xffff0000, v21
	s_delay_alu instid0(VALU_DEP_4) | instskip(SKIP_4) | instid1(VALU_DEP_3)
	v_pk_add_f32 v[4:5], v[8:9], v[6:7]
	v_add_f32_e32 v6, v18, v19
	v_dual_add_f32 v2, v2, v3 :: v_dual_add_f32 v3, v17, v20
	v_dual_add_f32 v7, v10, v22 :: v_dual_add_f32 v43, v43, v13
	v_add_f32_e32 v8, v12, v14
	v_dual_add_f32 v2, v5, v2 :: v_dual_add_f32 v3, v6, v3
	v_dual_add_f32 v5, v11, v16 :: v_dual_add_nc_u32 v38, 4, v38
	s_delay_alu instid0(VALU_DEP_3) | instskip(NEXT) | instid1(VALU_DEP_3)
	v_add_f32_e32 v6, v8, v7
	v_dual_add_f32 v2, v4, v2 :: v_dual_add_f32 v45, v45, v3
	s_delay_alu instid0(VALU_DEP_3) | instskip(NEXT) | instid1(VALU_DEP_4)
	v_add_f32_e32 v42, v42, v5
	v_cmp_le_i32_e32 vcc_lo, s22, v38
	s_delay_alu instid0(VALU_DEP_4) | instskip(NEXT) | instid1(VALU_DEP_4)
	v_add_f32_e32 v44, v44, v6
	v_add_f32_e32 v39, v39, v2
	v_add_nc_u32_e32 v54, 64, v54
	v_add_nc_u32_e32 v55, 0x100, v55
	s_or_b32 s5, vcc_lo, s5
	s_delay_alu instid0(SALU_CYCLE_1)
	s_and_not1_b32 exec_lo, exec_lo, s5
	s_cbranch_execz .LBB139_54
.LBB139_40:                             ; =>This Inner Loop Header: Depth=1
	global_load_b32 v2, v[48:49], off
	v_cmp_eq_u32_e32 vcc_lo, s4, v38
	v_dual_add_nc_u32 v61, 1, v54 :: v_dual_bitop2_b32 v60, 3, v54 bitop3:0x54
	v_or_b32_e32 v62, 2, v54
	v_or_b32_e32 v57, 5, v54
	;; [unrolled: 1-line block ×5, first 2 shown]
	s_wait_loadcnt 0x0
	v_ashrrev_i32_e32 v3, 31, v2
	s_delay_alu instid0(VALU_DEP_1) | instskip(NEXT) | instid1(VALU_DEP_1)
	v_mul_u64_e32 v[2:3], s[2:3], v[2:3]
	v_lshl_add_u64 v[26:27], v[2:3], 1, v[46:47]
	global_load_b128 v[2:5], v[26:27], off
	ds_load_2addr_b64 v[14:17], v55 offset1:1
	ds_load_2addr_b64 v[10:13], v55 offset0:2 offset1:3
	s_wait_xcnt 0x0
	s_and_saveexec_b32 s11, vcc_lo
	s_cbranch_execnz .LBB139_47
; %bb.41:                               ;   in Loop: Header=BB139_40 Depth=1
	s_or_b32 exec_lo, exec_lo, s11
	global_load_b128 v[6:9], v[26:27], off offset:512
	s_wait_xcnt 0x0
	s_and_saveexec_b32 s11, vcc_lo
	s_cbranch_execnz .LBB139_48
.LBB139_42:                             ;   in Loop: Header=BB139_40 Depth=1
	s_or_b32 exec_lo, exec_lo, s11
	global_load_b128 v[18:21], v[26:27], off offset:1024
	s_wait_xcnt 0x0
	s_and_saveexec_b32 s11, vcc_lo
	s_cbranch_execnz .LBB139_49
.LBB139_43:                             ;   in Loop: Header=BB139_40 Depth=1
	s_or_b32 exec_lo, exec_lo, s11
	global_load_b128 v[22:25], v[26:27], off offset:1536
	s_wait_xcnt 0x0
	s_and_saveexec_b32 s11, vcc_lo
	s_cbranch_execnz .LBB139_50
.LBB139_44:                             ;   in Loop: Header=BB139_40 Depth=1
	s_or_b32 exec_lo, exec_lo, s11
	global_load_b128 v[30:33], v[26:27], off offset:2048
	s_wait_xcnt 0x0
	s_and_saveexec_b32 s11, vcc_lo
	s_cbranch_execnz .LBB139_51
.LBB139_45:                             ;   in Loop: Header=BB139_40 Depth=1
	s_or_b32 exec_lo, exec_lo, s11
	global_load_b128 v[34:37], v[26:27], off offset:2560
	s_wait_xcnt 0x0
	s_and_saveexec_b32 s11, vcc_lo
	s_cbranch_execnz .LBB139_52
.LBB139_46:                             ;   in Loop: Header=BB139_40 Depth=1
	s_or_b32 exec_lo, exec_lo, s11
	global_load_b128 v[26:29], v[26:27], off offset:3072
	s_wait_xcnt 0x0
	s_and_saveexec_b32 s0, vcc_lo
	s_cbranch_execz .LBB139_39
	s_branch .LBB139_53
.LBB139_47:                             ;   in Loop: Header=BB139_40 Depth=1
	v_cmp_gt_i32_e64 s0, s21, v54
	s_wait_loadcnt 0x0
	v_dual_lshrrev_b32 v6, 16, v2 :: v_dual_lshrrev_b32 v8, 16, v4
	s_delay_alu instid0(VALU_DEP_2) | instskip(SKIP_1) | instid1(VALU_DEP_1)
	v_cndmask_b32_e64 v2, 0, v2, s0
	v_cmp_gt_i32_e64 s0, s10, v61
	v_dual_lshrrev_b32 v7, 16, v3 :: v_dual_cndmask_b32 v6, 0, v6, s0
	v_cmp_gt_i32_e64 s0, s21, v62
	s_delay_alu instid0(VALU_DEP_2) | instskip(NEXT) | instid1(VALU_DEP_2)
	v_perm_b32 v2, v6, v2, 0x5040100
	v_cndmask_b32_e64 v3, 0, v3, s0
	v_cmp_gt_i32_e64 s0, s10, v60
	s_delay_alu instid0(VALU_DEP_1) | instskip(SKIP_1) | instid1(VALU_DEP_1)
	v_cndmask_b32_e64 v7, 0, v7, s0
	v_cmp_gt_i32_e64 s0, s21, v59
	v_cndmask_b32_e64 v4, 0, v4, s0
	v_cmp_gt_i32_e64 s0, s10, v57
	v_lshrrev_b32_e32 v9, 16, v5
	v_perm_b32 v3, v7, v3, 0x5040100
	s_delay_alu instid0(VALU_DEP_3) | instskip(SKIP_1) | instid1(VALU_DEP_2)
	v_cndmask_b32_e64 v8, 0, v8, s0
	v_cmp_gt_i32_e64 s0, s21, v58
	v_perm_b32 v4, v8, v4, 0x5040100
	s_delay_alu instid0(VALU_DEP_2) | instskip(SKIP_1) | instid1(VALU_DEP_1)
	v_cndmask_b32_e64 v5, 0, v5, s0
	v_cmp_gt_i32_e64 s0, s10, v56
	v_cndmask_b32_e64 v9, 0, v9, s0
	s_delay_alu instid0(VALU_DEP_1)
	v_perm_b32 v5, v9, v5, 0x5040100
	s_or_b32 exec_lo, exec_lo, s11
	global_load_b128 v[6:9], v[26:27], off offset:512
	s_wait_xcnt 0x0
	s_and_saveexec_b32 s11, vcc_lo
	s_cbranch_execz .LBB139_42
.LBB139_48:                             ;   in Loop: Header=BB139_40 Depth=1
	v_cmp_gt_i32_e64 s0, s21, v54
	s_wait_loadcnt 0x0
	v_dual_lshrrev_b32 v18, 16, v6 :: v_dual_lshrrev_b32 v20, 16, v8
	s_delay_alu instid0(VALU_DEP_2) | instskip(SKIP_1) | instid1(VALU_DEP_1)
	v_cndmask_b32_e64 v6, 0, v6, s0
	v_cmp_gt_i32_e64 s0, s10, v61
	v_dual_lshrrev_b32 v19, 16, v7 :: v_dual_cndmask_b32 v18, 0, v18, s0
	v_cmp_gt_i32_e64 s0, s21, v62
	s_delay_alu instid0(VALU_DEP_2) | instskip(NEXT) | instid1(VALU_DEP_2)
	v_perm_b32 v6, v18, v6, 0x5040100
	v_cndmask_b32_e64 v7, 0, v7, s0
	v_cmp_gt_i32_e64 s0, s10, v60
	s_delay_alu instid0(VALU_DEP_1) | instskip(SKIP_1) | instid1(VALU_DEP_1)
	v_cndmask_b32_e64 v19, 0, v19, s0
	v_cmp_gt_i32_e64 s0, s21, v59
	v_cndmask_b32_e64 v8, 0, v8, s0
	v_cmp_gt_i32_e64 s0, s10, v57
	v_lshrrev_b32_e32 v21, 16, v9
	v_perm_b32 v7, v19, v7, 0x5040100
	s_delay_alu instid0(VALU_DEP_3) | instskip(SKIP_1) | instid1(VALU_DEP_2)
	v_cndmask_b32_e64 v20, 0, v20, s0
	v_cmp_gt_i32_e64 s0, s21, v58
	v_perm_b32 v8, v20, v8, 0x5040100
	s_delay_alu instid0(VALU_DEP_2) | instskip(SKIP_1) | instid1(VALU_DEP_1)
	v_cndmask_b32_e64 v9, 0, v9, s0
	v_cmp_gt_i32_e64 s0, s10, v56
	v_cndmask_b32_e64 v21, 0, v21, s0
	s_delay_alu instid0(VALU_DEP_1)
	v_perm_b32 v9, v21, v9, 0x5040100
	s_or_b32 exec_lo, exec_lo, s11
	global_load_b128 v[18:21], v[26:27], off offset:1024
	s_wait_xcnt 0x0
	s_and_saveexec_b32 s11, vcc_lo
	s_cbranch_execz .LBB139_43
.LBB139_49:                             ;   in Loop: Header=BB139_40 Depth=1
	v_cmp_gt_i32_e64 s0, s21, v54
	s_wait_loadcnt 0x0
	v_dual_lshrrev_b32 v22, 16, v18 :: v_dual_lshrrev_b32 v24, 16, v20
	s_delay_alu instid0(VALU_DEP_2) | instskip(SKIP_1) | instid1(VALU_DEP_1)
	v_cndmask_b32_e64 v18, 0, v18, s0
	v_cmp_gt_i32_e64 s0, s10, v61
	v_dual_lshrrev_b32 v23, 16, v19 :: v_dual_cndmask_b32 v22, 0, v22, s0
	v_cmp_gt_i32_e64 s0, s21, v62
	s_delay_alu instid0(VALU_DEP_2) | instskip(NEXT) | instid1(VALU_DEP_2)
	v_perm_b32 v18, v22, v18, 0x5040100
	v_cndmask_b32_e64 v19, 0, v19, s0
	v_cmp_gt_i32_e64 s0, s10, v60
	s_delay_alu instid0(VALU_DEP_1) | instskip(SKIP_1) | instid1(VALU_DEP_1)
	v_cndmask_b32_e64 v23, 0, v23, s0
	v_cmp_gt_i32_e64 s0, s21, v59
	v_cndmask_b32_e64 v20, 0, v20, s0
	v_cmp_gt_i32_e64 s0, s10, v57
	v_lshrrev_b32_e32 v25, 16, v21
	v_perm_b32 v19, v23, v19, 0x5040100
	s_delay_alu instid0(VALU_DEP_3) | instskip(SKIP_1) | instid1(VALU_DEP_2)
	v_cndmask_b32_e64 v24, 0, v24, s0
	v_cmp_gt_i32_e64 s0, s21, v58
	v_perm_b32 v20, v24, v20, 0x5040100
	s_delay_alu instid0(VALU_DEP_2) | instskip(SKIP_1) | instid1(VALU_DEP_1)
	v_cndmask_b32_e64 v21, 0, v21, s0
	v_cmp_gt_i32_e64 s0, s10, v56
	v_cndmask_b32_e64 v25, 0, v25, s0
	s_delay_alu instid0(VALU_DEP_1)
	v_perm_b32 v21, v25, v21, 0x5040100
	s_or_b32 exec_lo, exec_lo, s11
	global_load_b128 v[22:25], v[26:27], off offset:1536
	s_wait_xcnt 0x0
	s_and_saveexec_b32 s11, vcc_lo
	s_cbranch_execz .LBB139_44
.LBB139_50:                             ;   in Loop: Header=BB139_40 Depth=1
	v_cmp_gt_i32_e64 s0, s21, v54
	s_wait_loadcnt 0x0
	s_delay_alu instid0(VALU_DEP_1) | instskip(SKIP_1) | instid1(VALU_DEP_1)
	v_dual_lshrrev_b32 v28, 16, v22 :: v_dual_cndmask_b32 v22, 0, v22, s0
	v_cmp_gt_i32_e64 s0, s10, v61
	v_dual_lshrrev_b32 v29, 16, v23 :: v_dual_cndmask_b32 v28, 0, v28, s0
	v_cmp_gt_i32_e64 s0, s21, v62
	s_delay_alu instid0(VALU_DEP_2) | instskip(NEXT) | instid1(VALU_DEP_2)
	v_perm_b32 v22, v28, v22, 0x5040100
	v_cndmask_b32_e64 v23, 0, v23, s0
	v_cmp_gt_i32_e64 s0, s10, v60
	s_delay_alu instid0(VALU_DEP_1) | instskip(SKIP_2) | instid1(VALU_DEP_3)
	v_cndmask_b32_e64 v29, 0, v29, s0
	v_cmp_gt_i32_e64 s0, s21, v59
	v_lshrrev_b32_e32 v30, 16, v24
	v_perm_b32 v23, v29, v23, 0x5040100
	s_delay_alu instid0(VALU_DEP_3) | instskip(SKIP_1) | instid1(VALU_DEP_1)
	v_cndmask_b32_e64 v24, 0, v24, s0
	v_cmp_gt_i32_e64 s0, s10, v57
	v_dual_lshrrev_b32 v31, 16, v25 :: v_dual_cndmask_b32 v30, 0, v30, s0
	v_cmp_gt_i32_e64 s0, s21, v58
	s_delay_alu instid0(VALU_DEP_2) | instskip(NEXT) | instid1(VALU_DEP_2)
	v_perm_b32 v24, v30, v24, 0x5040100
	v_cndmask_b32_e64 v25, 0, v25, s0
	v_cmp_gt_i32_e64 s0, s10, v56
	s_delay_alu instid0(VALU_DEP_1) | instskip(NEXT) | instid1(VALU_DEP_1)
	v_cndmask_b32_e64 v31, 0, v31, s0
	v_perm_b32 v25, v31, v25, 0x5040100
	s_or_b32 exec_lo, exec_lo, s11
	global_load_b128 v[30:33], v[26:27], off offset:2048
	s_wait_xcnt 0x0
	s_and_saveexec_b32 s11, vcc_lo
	s_cbranch_execz .LBB139_45
.LBB139_51:                             ;   in Loop: Header=BB139_40 Depth=1
	v_cmp_gt_i32_e64 s0, s21, v54
	s_wait_loadcnt 0x0
	s_delay_alu instid0(VALU_DEP_1) | instskip(SKIP_1) | instid1(VALU_DEP_1)
	v_dual_lshrrev_b32 v28, 16, v30 :: v_dual_cndmask_b32 v29, 0, v30, s0
	v_cmp_gt_i32_e64 s0, s10, v61
	v_dual_lshrrev_b32 v30, 16, v31 :: v_dual_cndmask_b32 v28, 0, v28, s0
	v_cmp_gt_i32_e64 s0, s21, v62
	s_delay_alu instid0(VALU_DEP_1) | instskip(SKIP_1) | instid1(VALU_DEP_1)
	v_cndmask_b32_e64 v31, 0, v31, s0
	v_cmp_gt_i32_e64 s0, s10, v60
	v_cndmask_b32_e64 v34, 0, v30, s0
	v_cmp_gt_i32_e64 s0, s21, v59
	v_lshrrev_b32_e32 v30, 16, v32
	s_delay_alu instid0(VALU_DEP_3) | instskip(NEXT) | instid1(VALU_DEP_3)
	v_perm_b32 v31, v34, v31, 0x5040100
	v_cndmask_b32_e64 v32, 0, v32, s0
	v_cmp_gt_i32_e64 s0, s10, v57
	s_delay_alu instid0(VALU_DEP_1) | instskip(SKIP_2) | instid1(VALU_DEP_3)
	v_dual_lshrrev_b32 v35, 16, v33 :: v_dual_cndmask_b32 v36, 0, v30, s0
	v_cmp_gt_i32_e64 s0, s21, v58
	v_perm_b32 v30, v28, v29, 0x5040100
	v_perm_b32 v32, v36, v32, 0x5040100
	s_delay_alu instid0(VALU_DEP_3) | instskip(SKIP_1) | instid1(VALU_DEP_1)
	v_cndmask_b32_e64 v33, 0, v33, s0
	v_cmp_gt_i32_e64 s0, s10, v56
	v_cndmask_b32_e64 v35, 0, v35, s0
	s_delay_alu instid0(VALU_DEP_1)
	v_perm_b32 v33, v35, v33, 0x5040100
	s_or_b32 exec_lo, exec_lo, s11
	global_load_b128 v[34:37], v[26:27], off offset:2560
	s_wait_xcnt 0x0
	s_and_saveexec_b32 s11, vcc_lo
	s_cbranch_execz .LBB139_46
.LBB139_52:                             ;   in Loop: Header=BB139_40 Depth=1
	v_cmp_gt_i32_e64 s0, s21, v54
	s_wait_loadcnt 0x0
	s_delay_alu instid0(VALU_DEP_1) | instskip(SKIP_1) | instid1(VALU_DEP_1)
	v_dual_lshrrev_b32 v28, 16, v34 :: v_dual_cndmask_b32 v29, 0, v34, s0
	v_cmp_gt_i32_e64 s0, s10, v61
	v_dual_lshrrev_b32 v34, 16, v35 :: v_dual_cndmask_b32 v28, 0, v28, s0
	v_cmp_gt_i32_e64 s0, s21, v62
	s_delay_alu instid0(VALU_DEP_1) | instskip(SKIP_1) | instid1(VALU_DEP_1)
	v_cndmask_b32_e64 v35, 0, v35, s0
	v_cmp_gt_i32_e64 s0, s10, v60
	v_cndmask_b32_e64 v63, 0, v34, s0
	v_cmp_gt_i32_e64 s0, s21, v59
	v_lshrrev_b32_e32 v34, 16, v36
	s_delay_alu instid0(VALU_DEP_3) | instskip(NEXT) | instid1(VALU_DEP_3)
	v_perm_b32 v35, v63, v35, 0x5040100
	v_cndmask_b32_e64 v36, 0, v36, s0
	v_cmp_gt_i32_e64 s0, s10, v57
	s_delay_alu instid0(VALU_DEP_1) | instskip(SKIP_2) | instid1(VALU_DEP_3)
	v_dual_lshrrev_b32 v64, 16, v37 :: v_dual_cndmask_b32 v65, 0, v34, s0
	v_cmp_gt_i32_e64 s0, s21, v58
	v_perm_b32 v34, v28, v29, 0x5040100
	v_perm_b32 v36, v65, v36, 0x5040100
	s_delay_alu instid0(VALU_DEP_3) | instskip(SKIP_1) | instid1(VALU_DEP_1)
	v_cndmask_b32_e64 v37, 0, v37, s0
	v_cmp_gt_i32_e64 s0, s10, v56
	v_cndmask_b32_e64 v64, 0, v64, s0
	s_delay_alu instid0(VALU_DEP_1)
	v_perm_b32 v37, v64, v37, 0x5040100
	s_or_b32 exec_lo, exec_lo, s11
	global_load_b128 v[26:29], v[26:27], off offset:3072
	s_wait_xcnt 0x0
	s_and_saveexec_b32 s0, vcc_lo
	s_cbranch_execz .LBB139_39
.LBB139_53:                             ;   in Loop: Header=BB139_40 Depth=1
	v_cmp_gt_i32_e32 vcc_lo, s21, v54
	s_wait_loadcnt 0x0
	v_dual_cndmask_b32 v26, 0, v26 :: v_dual_lshrrev_b32 v63, 16, v26
	v_cmp_gt_i32_e32 vcc_lo, s10, v61
	s_delay_alu instid0(VALU_DEP_2) | instskip(SKIP_3) | instid1(VALU_DEP_2)
	v_cndmask_b32_e32 v61, 0, v63, vcc_lo
	v_cmp_gt_i32_e32 vcc_lo, s21, v62
	v_dual_cndmask_b32 v27, 0, v27 :: v_dual_lshrrev_b32 v64, 16, v27
	v_cmp_gt_i32_e32 vcc_lo, s10, v60
	v_cndmask_b32_e32 v60, 0, v64, vcc_lo
	v_cmp_gt_i32_e32 vcc_lo, s21, v59
	v_lshrrev_b32_e32 v62, 16, v28
	v_perm_b32 v26, v61, v26, 0x5040100
	s_delay_alu instid0(VALU_DEP_4) | instskip(SKIP_4) | instid1(VALU_DEP_2)
	v_perm_b32 v27, v60, v27, 0x5040100
	v_cndmask_b32_e32 v28, 0, v28, vcc_lo
	v_cmp_gt_i32_e32 vcc_lo, s10, v57
	v_dual_lshrrev_b32 v59, 16, v29 :: v_dual_cndmask_b32 v57, 0, v62, vcc_lo
	v_cmp_gt_i32_e32 vcc_lo, s21, v58
	v_perm_b32 v28, v57, v28, 0x5040100
	v_cndmask_b32_e32 v29, 0, v29, vcc_lo
	v_cmp_gt_i32_e32 vcc_lo, s10, v56
	v_cndmask_b32_e32 v56, 0, v59, vcc_lo
	s_delay_alu instid0(VALU_DEP_1)
	v_perm_b32 v29, v56, v29, 0x5040100
	s_branch .LBB139_39
.LBB139_54:
	s_or_b32 exec_lo, exec_lo, s5
.LBB139_55:
	s_delay_alu instid0(SALU_CYCLE_1)
	s_or_b32 exec_lo, exec_lo, s1
	ds_bpermute_b32 v2, v53, v44
	ds_bpermute_b32 v3, v53, v45
	;; [unrolled: 1-line block ×7, first 2 shown]
	v_and_b32_e32 v12, 0x3c1, v0
	v_lshrrev_b32_e32 v9, 1, v52
	s_mov_b32 s0, exec_lo
	s_wait_dscnt 0x0
	s_barrier_signal -1
	s_barrier_wait -1
	v_pk_add_f32 v[6:7], v[44:45], v[2:3]
	v_pk_add_f32 v[4:5], v[42:43], v[4:5]
	;; [unrolled: 1-line block ×3, first 2 shown]
	v_cmpx_ne_u32_e32 64, v12
	s_xor_b32 s0, exec_lo, s0
	s_delay_alu instid0(SALU_CYCLE_1)
	s_or_saveexec_b32 s0, s0
	v_add_f32_e32 v8, v39, v8
	v_lshl_add_u32 v10, v9, 2, 0x100
	v_mul_u32_u24_e32 v11, 0x1c0, v51
	s_xor_b32 exec_lo, exec_lo, s0
	s_cbranch_execz .LBB139_57
; %bb.56:
	s_delay_alu instid0(VALU_DEP_1) | instskip(NEXT) | instid1(VALU_DEP_1)
	v_add_nc_u32_e32 v12, v10, v11
	v_add_nc_u32_e32 v13, 0xfffffc80, v12
	;; [unrolled: 1-line block ×8, first 2 shown]
	ds_store_b32 v13, v6
	ds_store_b32 v14, v7
	;; [unrolled: 1-line block ×7, first 2 shown]
.LBB139_57:
	s_or_b32 exec_lo, exec_lo, s0
	v_lshlrev_b32_e32 v9, 2, v9
	s_mov_b32 s1, exec_lo
	v_cmp_eq_u32_e32 vcc_lo, 0, v50
	s_wait_dscnt 0x0
	s_barrier_signal -1
	v_add3_u32 v9, 0x100, v11, v9
	s_barrier_wait -1
	v_cmpx_gt_u32_e32 64, v0
	s_cbranch_execz .LBB139_67
; %bb.58:
	s_and_saveexec_b32 s0, vcc_lo
	s_cbranch_execnz .LBB139_82
; %bb.59:
	s_or_b32 exec_lo, exec_lo, s0
	s_and_saveexec_b32 s0, vcc_lo
	s_cbranch_execnz .LBB139_83
.LBB139_60:
	s_or_b32 exec_lo, exec_lo, s0
	s_and_saveexec_b32 s0, vcc_lo
	s_cbranch_execnz .LBB139_84
.LBB139_61:
	s_or_b32 exec_lo, exec_lo, s0
	s_and_saveexec_b32 s0, vcc_lo
	s_cbranch_execnz .LBB139_85
.LBB139_62:
	s_or_b32 exec_lo, exec_lo, s0
	s_and_saveexec_b32 s0, vcc_lo
	s_cbranch_execnz .LBB139_86
.LBB139_63:
	s_or_b32 exec_lo, exec_lo, s0
	s_and_saveexec_b32 s0, vcc_lo
	s_cbranch_execnz .LBB139_87
.LBB139_64:
	s_or_b32 exec_lo, exec_lo, s0
	s_and_saveexec_b32 s0, vcc_lo
	s_cbranch_execz .LBB139_66
.LBB139_65:
	ds_load_b32 v11, v9 offset:384
	s_wait_dscnt 0x0
	v_add_f32_e32 v8, v8, v11
.LBB139_66:
	s_or_b32 exec_lo, exec_lo, s0
.LBB139_67:
	s_delay_alu instid0(SALU_CYCLE_1) | instskip(SKIP_4) | instid1(VALU_DEP_1)
	s_or_b32 exec_lo, exec_lo, s1
	v_and_b32_e32 v11, 0x3e1, v0
	s_mov_b32 s1, exec_lo
	s_barrier_signal -1
	s_barrier_wait -1
	v_cmpx_eq_u32_e32 32, v11
	s_cbranch_execz .LBB139_69
; %bb.68:
	ds_store_2addr_b32 v10, v6, v7 offset1:16
	ds_store_2addr_b32 v10, v4, v5 offset0:32 offset1:48
	ds_store_2addr_b32 v10, v2, v3 offset0:64 offset1:80
	ds_store_b32 v10, v8 offset:384
.LBB139_69:
	s_or_b32 exec_lo, exec_lo, s1
	s_delay_alu instid0(SALU_CYCLE_1)
	s_mov_b32 s1, exec_lo
	s_wait_dscnt 0x0
	s_barrier_signal -1
	s_barrier_wait -1
	v_cmpx_gt_u32_e32 32, v0
	s_cbranch_execz .LBB139_79
; %bb.70:
	s_and_saveexec_b32 s0, vcc_lo
	s_cbranch_execnz .LBB139_88
; %bb.71:
	s_or_b32 exec_lo, exec_lo, s0
	s_and_saveexec_b32 s0, vcc_lo
	s_cbranch_execnz .LBB139_89
.LBB139_72:
	s_or_b32 exec_lo, exec_lo, s0
	s_and_saveexec_b32 s0, vcc_lo
	s_cbranch_execnz .LBB139_90
.LBB139_73:
	s_or_b32 exec_lo, exec_lo, s0
	s_and_saveexec_b32 s0, vcc_lo
	s_cbranch_execnz .LBB139_91
.LBB139_74:
	s_or_b32 exec_lo, exec_lo, s0
	s_and_saveexec_b32 s0, vcc_lo
	s_cbranch_execnz .LBB139_92
.LBB139_75:
	s_or_b32 exec_lo, exec_lo, s0
	s_and_saveexec_b32 s0, vcc_lo
	s_cbranch_execnz .LBB139_93
.LBB139_76:
	s_or_b32 exec_lo, exec_lo, s0
	s_and_saveexec_b32 s0, vcc_lo
	s_cbranch_execz .LBB139_78
.LBB139_77:
	ds_load_b32 v0, v9 offset:384
	s_wait_dscnt 0x0
	v_add_f32_e32 v8, v8, v0
.LBB139_78:
	s_or_b32 exec_lo, exec_lo, s0
.LBB139_79:
	s_delay_alu instid0(SALU_CYCLE_1)
	s_or_b32 exec_lo, exec_lo, s1
	s_mov_b32 s1, 0
	s_barrier_signal -1
	s_barrier_wait -1
	s_mov_b32 s0, exec_lo
	v_cmpx_eq_u32_e32 0, v11
	s_cbranch_execz .LBB139_81
; %bb.80:
	s_wait_kmcnt 0x0
	s_mul_i32 s0, s20, s9
	s_mul_i32 s2, s9, s8
	;; [unrolled: 1-line block ×3, first 2 shown]
	s_lshr_b32 s8, ttmp7, 16
	s_mul_i32 s4, s0, 0x70
	s_bfe_u32 s0, ttmp6, 0x40014
	s_ashr_i32 s5, s4, 31
	s_add_co_i32 s0, s0, 1
	s_ashr_i32 s3, s2, 31
	s_mul_i32 s0, s8, s0
	s_bfe_u32 s9, ttmp6, 0x40008
	s_lshl_b64 s[4:5], s[4:5], 1
	s_lshl_b64 s[2:3], s[2:3], 1
	s_add_co_i32 s9, s9, s0
	s_cmp_eq_u32 s18, 0
	s_add_nc_u64 s[4:5], s[6:7], s[4:5]
	s_cselect_b32 s0, s8, s9
	s_add_nc_u64 s[2:3], s[4:5], s[2:3]
	s_mulk_i32 s0, 0xe0
	s_delay_alu instid0(SALU_CYCLE_1) | instskip(NEXT) | instid1(SALU_CYCLE_1)
	s_add_nc_u64 s[0:1], s[2:3], s[0:1]
	v_cvt_pk_bf16_f32 v0, v6, s0
	v_cvt_pk_bf16_f32 v6, v7, s0
	;; [unrolled: 1-line block ×7, first 2 shown]
	s_clause 0x6
	global_store_b16 v1, v0, s[0:1] scale_offset
	global_store_b16 v1, v6, s[0:1] offset:32 scale_offset
	global_store_b16 v1, v4, s[0:1] offset:64 scale_offset
	;; [unrolled: 1-line block ×6, first 2 shown]
.LBB139_81:
	s_sendmsg sendmsg(MSG_DEALLOC_VGPRS)
	s_endpgm
.LBB139_82:
	ds_load_b32 v11, v9
	s_wait_dscnt 0x0
	v_add_f32_e32 v6, v6, v11
	s_or_b32 exec_lo, exec_lo, s0
	s_and_saveexec_b32 s0, vcc_lo
	s_cbranch_execz .LBB139_60
.LBB139_83:
	ds_load_b32 v11, v9 offset:64
	s_wait_dscnt 0x0
	v_add_f32_e32 v7, v7, v11
	s_or_b32 exec_lo, exec_lo, s0
	s_and_saveexec_b32 s0, vcc_lo
	s_cbranch_execz .LBB139_61
.LBB139_84:
	ds_load_b32 v11, v9 offset:128
	s_wait_dscnt 0x0
	v_add_f32_e32 v4, v4, v11
	s_or_b32 exec_lo, exec_lo, s0
	s_and_saveexec_b32 s0, vcc_lo
	s_cbranch_execz .LBB139_62
.LBB139_85:
	ds_load_b32 v11, v9 offset:192
	s_wait_dscnt 0x0
	v_add_f32_e32 v5, v5, v11
	s_or_b32 exec_lo, exec_lo, s0
	s_and_saveexec_b32 s0, vcc_lo
	s_cbranch_execz .LBB139_63
.LBB139_86:
	ds_load_b32 v11, v9 offset:256
	s_wait_dscnt 0x0
	v_add_f32_e32 v2, v2, v11
	s_or_b32 exec_lo, exec_lo, s0
	s_and_saveexec_b32 s0, vcc_lo
	s_cbranch_execz .LBB139_64
.LBB139_87:
	ds_load_b32 v11, v9 offset:320
	s_wait_dscnt 0x0
	v_add_f32_e32 v3, v3, v11
	s_or_b32 exec_lo, exec_lo, s0
	s_and_saveexec_b32 s0, vcc_lo
	s_cbranch_execnz .LBB139_65
	s_branch .LBB139_66
.LBB139_88:
	ds_load_b32 v0, v9
	s_wait_dscnt 0x0
	v_add_f32_e32 v6, v6, v0
	s_or_b32 exec_lo, exec_lo, s0
	s_and_saveexec_b32 s0, vcc_lo
	s_cbranch_execz .LBB139_72
.LBB139_89:
	ds_load_b32 v0, v9 offset:64
	s_wait_dscnt 0x0
	v_add_f32_e32 v7, v7, v0
	s_or_b32 exec_lo, exec_lo, s0
	s_and_saveexec_b32 s0, vcc_lo
	s_cbranch_execz .LBB139_73
.LBB139_90:
	ds_load_b32 v0, v9 offset:128
	s_wait_dscnt 0x0
	v_add_f32_e32 v4, v4, v0
	s_or_b32 exec_lo, exec_lo, s0
	s_and_saveexec_b32 s0, vcc_lo
	s_cbranch_execz .LBB139_74
.LBB139_91:
	ds_load_b32 v0, v9 offset:192
	s_wait_dscnt 0x0
	v_add_f32_e32 v5, v5, v0
	s_or_b32 exec_lo, exec_lo, s0
	s_and_saveexec_b32 s0, vcc_lo
	s_cbranch_execz .LBB139_75
.LBB139_92:
	ds_load_b32 v0, v9 offset:256
	s_wait_dscnt 0x0
	v_add_f32_e32 v2, v2, v0
	s_or_b32 exec_lo, exec_lo, s0
	s_and_saveexec_b32 s0, vcc_lo
	s_cbranch_execz .LBB139_76
.LBB139_93:
	ds_load_b32 v0, v9 offset:320
	s_wait_dscnt 0x0
	v_add_f32_e32 v3, v3, v0
	s_or_b32 exec_lo, exec_lo, s0
	s_and_saveexec_b32 s0, vcc_lo
	s_cbranch_execnz .LBB139_77
	s_branch .LBB139_78
	.section	.rodata,"a",@progbits
	.p2align	6, 0x0
	.amdhsa_kernel _ZN4vllm25paged_attention_v1_kernelI14__hip_bfloat16S1_Li112ELi16ELi128ELNS_18Fp8KVCacheDataTypeE0ELb0EEEvPT_PKS3_PKT0_S9_ifPKiSB_iPKfiiiSD_SD_iiiii
		.amdhsa_group_segment_fixed_size 256
		.amdhsa_private_segment_fixed_size 0
		.amdhsa_kernarg_size 384
		.amdhsa_user_sgpr_count 2
		.amdhsa_user_sgpr_dispatch_ptr 0
		.amdhsa_user_sgpr_queue_ptr 0
		.amdhsa_user_sgpr_kernarg_segment_ptr 1
		.amdhsa_user_sgpr_dispatch_id 0
		.amdhsa_user_sgpr_kernarg_preload_length 0
		.amdhsa_user_sgpr_kernarg_preload_offset 0
		.amdhsa_user_sgpr_private_segment_size 0
		.amdhsa_wavefront_size32 1
		.amdhsa_uses_dynamic_stack 0
		.amdhsa_enable_private_segment 0
		.amdhsa_system_sgpr_workgroup_id_x 1
		.amdhsa_system_sgpr_workgroup_id_y 1
		.amdhsa_system_sgpr_workgroup_id_z 1
		.amdhsa_system_sgpr_workgroup_info 0
		.amdhsa_system_vgpr_workitem_id 0
		.amdhsa_next_free_vgpr 104
		.amdhsa_next_free_sgpr 28
		.amdhsa_named_barrier_count 0
		.amdhsa_reserve_vcc 1
		.amdhsa_float_round_mode_32 0
		.amdhsa_float_round_mode_16_64 0
		.amdhsa_float_denorm_mode_32 3
		.amdhsa_float_denorm_mode_16_64 3
		.amdhsa_fp16_overflow 0
		.amdhsa_memory_ordered 1
		.amdhsa_forward_progress 1
		.amdhsa_inst_pref_size 64
		.amdhsa_round_robin_scheduling 0
		.amdhsa_exception_fp_ieee_invalid_op 0
		.amdhsa_exception_fp_denorm_src 0
		.amdhsa_exception_fp_ieee_div_zero 0
		.amdhsa_exception_fp_ieee_overflow 0
		.amdhsa_exception_fp_ieee_underflow 0
		.amdhsa_exception_fp_ieee_inexact 0
		.amdhsa_exception_int_div_zero 0
	.end_amdhsa_kernel
	.section	.text._ZN4vllm25paged_attention_v1_kernelI14__hip_bfloat16S1_Li112ELi16ELi128ELNS_18Fp8KVCacheDataTypeE0ELb0EEEvPT_PKS3_PKT0_S9_ifPKiSB_iPKfiiiSD_SD_iiiii,"axG",@progbits,_ZN4vllm25paged_attention_v1_kernelI14__hip_bfloat16S1_Li112ELi16ELi128ELNS_18Fp8KVCacheDataTypeE0ELb0EEEvPT_PKS3_PKT0_S9_ifPKiSB_iPKfiiiSD_SD_iiiii,comdat
.Lfunc_end139:
	.size	_ZN4vllm25paged_attention_v1_kernelI14__hip_bfloat16S1_Li112ELi16ELi128ELNS_18Fp8KVCacheDataTypeE0ELb0EEEvPT_PKS3_PKT0_S9_ifPKiSB_iPKfiiiSD_SD_iiiii, .Lfunc_end139-_ZN4vllm25paged_attention_v1_kernelI14__hip_bfloat16S1_Li112ELi16ELi128ELNS_18Fp8KVCacheDataTypeE0ELb0EEEvPT_PKS3_PKT0_S9_ifPKiSB_iPKfiiiSD_SD_iiiii
                                        ; -- End function
	.set _ZN4vllm25paged_attention_v1_kernelI14__hip_bfloat16S1_Li112ELi16ELi128ELNS_18Fp8KVCacheDataTypeE0ELb0EEEvPT_PKS3_PKT0_S9_ifPKiSB_iPKfiiiSD_SD_iiiii.num_vgpr, 104
	.set _ZN4vllm25paged_attention_v1_kernelI14__hip_bfloat16S1_Li112ELi16ELi128ELNS_18Fp8KVCacheDataTypeE0ELb0EEEvPT_PKS3_PKT0_S9_ifPKiSB_iPKfiiiSD_SD_iiiii.num_agpr, 0
	.set _ZN4vllm25paged_attention_v1_kernelI14__hip_bfloat16S1_Li112ELi16ELi128ELNS_18Fp8KVCacheDataTypeE0ELb0EEEvPT_PKS3_PKT0_S9_ifPKiSB_iPKfiiiSD_SD_iiiii.numbered_sgpr, 28
	.set _ZN4vllm25paged_attention_v1_kernelI14__hip_bfloat16S1_Li112ELi16ELi128ELNS_18Fp8KVCacheDataTypeE0ELb0EEEvPT_PKS3_PKT0_S9_ifPKiSB_iPKfiiiSD_SD_iiiii.num_named_barrier, 0
	.set _ZN4vllm25paged_attention_v1_kernelI14__hip_bfloat16S1_Li112ELi16ELi128ELNS_18Fp8KVCacheDataTypeE0ELb0EEEvPT_PKS3_PKT0_S9_ifPKiSB_iPKfiiiSD_SD_iiiii.private_seg_size, 0
	.set _ZN4vllm25paged_attention_v1_kernelI14__hip_bfloat16S1_Li112ELi16ELi128ELNS_18Fp8KVCacheDataTypeE0ELb0EEEvPT_PKS3_PKT0_S9_ifPKiSB_iPKfiiiSD_SD_iiiii.uses_vcc, 1
	.set _ZN4vllm25paged_attention_v1_kernelI14__hip_bfloat16S1_Li112ELi16ELi128ELNS_18Fp8KVCacheDataTypeE0ELb0EEEvPT_PKS3_PKT0_S9_ifPKiSB_iPKfiiiSD_SD_iiiii.uses_flat_scratch, 0
	.set _ZN4vllm25paged_attention_v1_kernelI14__hip_bfloat16S1_Li112ELi16ELi128ELNS_18Fp8KVCacheDataTypeE0ELb0EEEvPT_PKS3_PKT0_S9_ifPKiSB_iPKfiiiSD_SD_iiiii.has_dyn_sized_stack, 0
	.set _ZN4vllm25paged_attention_v1_kernelI14__hip_bfloat16S1_Li112ELi16ELi128ELNS_18Fp8KVCacheDataTypeE0ELb0EEEvPT_PKS3_PKT0_S9_ifPKiSB_iPKfiiiSD_SD_iiiii.has_recursion, 0
	.set _ZN4vllm25paged_attention_v1_kernelI14__hip_bfloat16S1_Li112ELi16ELi128ELNS_18Fp8KVCacheDataTypeE0ELb0EEEvPT_PKS3_PKT0_S9_ifPKiSB_iPKfiiiSD_SD_iiiii.has_indirect_call, 0
	.section	.AMDGPU.csdata,"",@progbits
; Kernel info:
; codeLenInByte = 8148
; TotalNumSgprs: 30
; NumVgprs: 104
; ScratchSize: 0
; MemoryBound: 0
; FloatMode: 240
; IeeeMode: 1
; LDSByteSize: 256 bytes/workgroup (compile time only)
; SGPRBlocks: 0
; VGPRBlocks: 6
; NumSGPRsForWavesPerEU: 30
; NumVGPRsForWavesPerEU: 104
; NamedBarCnt: 0
; Occupancy: 9
; WaveLimiterHint : 1
; COMPUTE_PGM_RSRC2:SCRATCH_EN: 0
; COMPUTE_PGM_RSRC2:USER_SGPR: 2
; COMPUTE_PGM_RSRC2:TRAP_HANDLER: 0
; COMPUTE_PGM_RSRC2:TGID_X_EN: 1
; COMPUTE_PGM_RSRC2:TGID_Y_EN: 1
; COMPUTE_PGM_RSRC2:TGID_Z_EN: 1
; COMPUTE_PGM_RSRC2:TIDIG_COMP_CNT: 0
	.section	.text._ZN4vllm25paged_attention_v1_kernelI14__hip_bfloat16S1_Li120ELi16ELi128ELNS_18Fp8KVCacheDataTypeE0ELb0EEEvPT_PKS3_PKT0_S9_ifPKiSB_iPKfiiiSD_SD_iiiii,"axG",@progbits,_ZN4vllm25paged_attention_v1_kernelI14__hip_bfloat16S1_Li120ELi16ELi128ELNS_18Fp8KVCacheDataTypeE0ELb0EEEvPT_PKS3_PKT0_S9_ifPKiSB_iPKfiiiSD_SD_iiiii,comdat
	.protected	_ZN4vllm25paged_attention_v1_kernelI14__hip_bfloat16S1_Li120ELi16ELi128ELNS_18Fp8KVCacheDataTypeE0ELb0EEEvPT_PKS3_PKT0_S9_ifPKiSB_iPKfiiiSD_SD_iiiii ; -- Begin function _ZN4vllm25paged_attention_v1_kernelI14__hip_bfloat16S1_Li120ELi16ELi128ELNS_18Fp8KVCacheDataTypeE0ELb0EEEvPT_PKS3_PKT0_S9_ifPKiSB_iPKfiiiSD_SD_iiiii
	.globl	_ZN4vllm25paged_attention_v1_kernelI14__hip_bfloat16S1_Li120ELi16ELi128ELNS_18Fp8KVCacheDataTypeE0ELb0EEEvPT_PKS3_PKT0_S9_ifPKiSB_iPKfiiiSD_SD_iiiii
	.p2align	8
	.type	_ZN4vllm25paged_attention_v1_kernelI14__hip_bfloat16S1_Li120ELi16ELi128ELNS_18Fp8KVCacheDataTypeE0ELb0EEEvPT_PKS3_PKT0_S9_ifPKiSB_iPKfiiiSD_SD_iiiii,@function
_ZN4vllm25paged_attention_v1_kernelI14__hip_bfloat16S1_Li120ELi16ELi128ELNS_18Fp8KVCacheDataTypeE0ELb0EEEvPT_PKS3_PKT0_S9_ifPKiSB_iPKfiiiSD_SD_iiiii: ; @_ZN4vllm25paged_attention_v1_kernelI14__hip_bfloat16S1_Li120ELi16ELi128ELNS_18Fp8KVCacheDataTypeE0ELb0EEEvPT_PKS3_PKT0_S9_ifPKiSB_iPKfiiiSD_SD_iiiii
; %bb.0:
	s_load_b64 s[6:7], s[0:1], 0x20
	s_bfe_u32 s3, ttmp6, 0x4000c
	s_bfe_u32 s5, ttmp6, 0x40010
	s_and_b32 s4, ttmp7, 0xffff
	s_add_co_i32 s3, s3, 1
	s_add_co_i32 s5, s5, 1
	s_and_b32 s2, ttmp6, 15
	s_bfe_u32 s8, ttmp6, 0x40004
	s_mul_i32 s3, ttmp9, s3
	s_mul_i32 s5, s4, s5
	s_getreg_b32 s18, hwreg(HW_REG_IB_STS2, 6, 4)
	s_add_co_i32 s2, s2, s3
	s_add_co_i32 s8, s8, s5
	s_cmp_eq_u32 s18, 0
	s_clause 0x1
	s_load_b32 s19, s[0:1], 0x80
	s_load_b64 s[10:11], s[0:1], 0x30
	s_cselect_b32 s20, s4, s8
	s_cselect_b32 s8, ttmp9, s2
	s_wait_kmcnt 0x0
	s_abs_i32 s2, s6
	s_delay_alu instid0(SALU_CYCLE_1) | instskip(SKIP_1) | instid1(SALU_CYCLE_2)
	s_cvt_f32_u32 s3, s2
	s_sub_co_i32 s4, 0, s2
	v_rcp_iflag_f32_e32 v1, s3
	s_abs_i32 s5, s19
	v_nop
	s_delay_alu instid0(TRANS32_DEP_1) | instskip(SKIP_1) | instid1(SALU_CYCLE_3)
	v_readfirstlane_b32 s3, v1
	s_mul_f32 s3, s3, 0x4f7ffffe
	s_cvt_u32_f32 s3, s3
	s_delay_alu instid0(SALU_CYCLE_3) | instskip(NEXT) | instid1(SALU_CYCLE_1)
	s_mul_i32 s4, s4, s3
	s_mul_hi_u32 s4, s3, s4
	s_delay_alu instid0(SALU_CYCLE_1) | instskip(SKIP_4) | instid1(SALU_CYCLE_1)
	s_add_co_i32 s3, s3, s4
	s_xor_b32 s4, s19, s6
	s_mul_hi_u32 s3, s5, s3
	s_ashr_i32 s4, s4, 31
	s_mul_i32 s6, s3, s2
	s_sub_co_i32 s5, s5, s6
	s_add_co_i32 s6, s3, 1
	s_sub_co_i32 s9, s5, s2
	s_cmp_ge_u32 s5, s2
	s_cselect_b32 s3, s6, s3
	s_cselect_b32 s5, s9, s5
	s_add_co_i32 s6, s3, 1
	s_cmp_ge_u32 s5, s2
	s_cselect_b32 s2, s6, s3
	s_mov_b32 s3, 0
	s_xor_b32 s2, s2, s4
	s_mov_b32 s13, s3
	s_sub_co_i32 s15, s2, s4
	s_load_b64 s[4:5], s[0:1], 0x40
	s_abs_i32 s14, s15
	s_mov_b32 s23, s3
	s_cvt_f32_u32 s2, s14
	s_delay_alu instid0(SALU_CYCLE_3) | instskip(SKIP_1) | instid1(TRANS32_DEP_1)
	v_rcp_iflag_f32_e32 v1, s2
	v_nop
	v_readfirstlane_b32 s2, v1
	s_mul_f32 s2, s2, 0x4f7ffffe
	s_delay_alu instid0(SALU_CYCLE_3) | instskip(SKIP_1) | instid1(SALU_CYCLE_2)
	s_cvt_u32_f32 s6, s2
	s_sub_co_i32 s2, 0, s14
	s_mul_i32 s2, s2, s6
	s_delay_alu instid0(SALU_CYCLE_1)
	s_mul_hi_u32 s9, s6, s2
	s_abs_i32 s2, s8
	s_add_co_i32 s12, s6, s9
	s_wait_kmcnt 0x0
	s_cmp_eq_u64 s[4:5], 0
	s_cbranch_scc1 .LBB140_2
; %bb.1:
	s_ashr_i32 s9, s8, 31
	s_delay_alu instid0(SALU_CYCLE_1) | instskip(NEXT) | instid1(SALU_CYCLE_1)
	s_lshl_b64 s[16:17], s[8:9], 2
	s_add_nc_u64 s[4:5], s[4:5], s[16:17]
	s_load_b32 s23, s[4:5], 0x0
.LBB140_2:
	s_load_b32 s21, s[10:11], s20 offset:0x0 scale_offset
	s_wait_xcnt 0x0
	s_load_b96 s[4:6], s[0:1], 0x48
	v_dual_lshrrev_b32 v1, 1, v0 :: v_dual_bitop2_b32 v54, 1, v0 bitop3:0x40
	s_ashr_i32 s16, s8, 31
	s_ashr_i32 s15, s15, 31
	s_mul_u64 s[10:11], s[2:3], s[12:13]
	s_mulk_i32 s8, 0x78
	s_mov_b32 s3, exec_lo
	v_cmpx_gt_u32_e32 30, v0
	s_cbranch_execz .LBB140_4
; %bb.3:
	s_load_b64 s[12:13], s[0:1], 0x8
	s_wait_kmcnt 0x0
	s_mul_i32 s24, s4, s20
	s_ashr_i32 s9, s8, 31
	s_ashr_i32 s25, s24, 31
	v_lshlrev_b32_e32 v4, 3, v1
	s_lshl_b64 s[24:25], s[24:25], 1
	s_delay_alu instid0(VALU_DEP_1) | instskip(SKIP_2) | instid1(SALU_CYCLE_1)
	v_mad_u32_u24 v4, 0x78, v54, v4
	s_add_nc_u64 s[12:13], s[12:13], s[24:25]
	s_lshl_b64 s[24:25], s[8:9], 1
	s_add_nc_u64 s[12:13], s[12:13], s[24:25]
	global_load_b64 v[2:3], v0, s[12:13] scale_offset
	s_wait_loadcnt 0x0
	ds_store_b64 v4, v[2:3]
.LBB140_4:
	s_or_b32 exec_lo, exec_lo, s3
	s_wait_kmcnt 0x0
	s_add_co_i32 s3, s21, 15
	s_load_b32 s4, s[0:1], 0x38
	s_ashr_i32 s9, s3, 31
	s_mul_i32 s12, s11, s14
	s_lshr_b32 s9, s9, 28
	s_sub_co_i32 s2, s2, s12
	s_add_co_i32 s3, s3, s9
	s_xor_b32 s10, s16, s15
	s_ashr_i32 s22, s3, 4
	s_add_co_i32 s3, s11, 1
	s_sub_co_i32 s9, s2, s14
	s_cmp_ge_u32 s2, s14
	v_lshrrev_b32_e32 v55, 5, v0
	s_cselect_b32 s3, s3, s11
	s_cselect_b32 s2, s9, s2
	s_add_co_i32 s9, s3, 1
	s_cmp_ge_u32 s2, s14
	v_mbcnt_lo_u32_b32 v12, -1, 0
	s_cselect_b32 s2, s9, s3
	s_wait_dscnt 0x0
	s_xor_b32 s2, s2, s10
	s_barrier_signal -1
	s_sub_co_i32 s3, s2, s10
	v_cmp_le_i32_e64 s2, s22, v55
	s_wait_kmcnt 0x0
	s_mul_i32 s10, s4, s20
	s_barrier_wait -1
	s_ashr_i32 s11, s10, 31
                                        ; implicit-def: $vgpr3
                                        ; implicit-def: $vgpr34
	s_and_saveexec_b32 s4, s2
	s_delay_alu instid0(SALU_CYCLE_1)
	s_xor_b32 s4, exec_lo, s4
; %bb.5:
	v_dual_mov_b32 v3, 0 :: v_dual_mov_b32 v34, 32
	v_mbcnt_lo_u32_b32 v12, -1, 0
; %bb.6:
	s_or_saveexec_b32 s24, s4
	s_clause 0x1
	s_load_b64 s[12:13], s[0:1], 0x28
	s_load_b32 s9, s[0:1], 0x88
	v_dual_mov_b32 v2, 0xff7fffff :: v_dual_lshlrev_b32 v11, 3, v0
	v_lshrrev_b32_e32 v10, 3, v0
	s_mul_i32 s14, s3, s6
	s_xor_b32 exec_lo, exec_lo, s24
	s_cbranch_execz .LBB140_12
; %bb.7:
	v_mul_u32_u24_e32 v56, 0x78, v54
	s_load_b64 s[16:17], s[0:1], 0x10
	s_ashr_i32 s15, s14, 31
	s_mov_b32 s6, 0
	s_lshl_b64 s[26:27], s[14:15], 1
	ds_load_2addr_b64 v[2:5], v56 offset1:1
	ds_load_2addr_b64 v[6:9], v56 offset0:2 offset1:3
	ds_load_2addr_b64 v[34:37], v56 offset0:4 offset1:5
	;; [unrolled: 1-line block ×4, first 2 shown]
	ds_load_b64 v[74:75], v56 offset:112
	s_wait_dscnt 0x5
	v_dual_mov_b32 v79, v55 :: v_dual_lshlrev_b32 v13, 16, v2
	v_lshlrev_b32_e32 v15, 16, v3
	v_and_b32_e32 v14, 0xffff0000, v2
	v_and_b32_e32 v16, 0xffff0000, v3
	v_dual_lshlrev_b32 v17, 16, v4 :: v_dual_lshlrev_b32 v19, 16, v5
	v_and_b32_e32 v18, 0xffff0000, v4
	v_and_b32_e32 v20, 0xffff0000, v5
	s_wait_dscnt 0x4
	v_dual_lshlrev_b32 v21, 16, v6 :: v_dual_lshlrev_b32 v23, 16, v7
	v_and_b32_e32 v22, 0xffff0000, v6
	v_and_b32_e32 v24, 0xffff0000, v7
	v_dual_lshlrev_b32 v25, 16, v8 :: v_dual_lshlrev_b32 v27, 16, v9
	v_and_b32_e32 v26, 0xffff0000, v8
	v_and_b32_e32 v28, 0xffff0000, v9
	ds_load_2addr_b64 v[2:5], v56 offset0:10 offset1:11
	ds_load_2addr_b64 v[6:9], v56 offset0:12 offset1:13
	s_wait_dscnt 0x2
	v_lshlrev_b32_e32 v72, 16, v74
	s_wait_kmcnt 0x0
	s_add_nc_u64 s[16:17], s[16:17], s[26:27]
	v_and_b32_e32 v73, 0xffff0000, v74
	v_dual_lshlrev_b32 v29, 16, v34 :: v_dual_lshlrev_b32 v31, 16, v35
	v_and_b32_e32 v30, 0xffff0000, v34
	v_mov_b32_e32 v34, 32
	v_and_b32_e32 v32, 0xffff0000, v35
	v_lshlrev_b32_e32 v33, 16, v36
	v_and_b32_e32 v35, 0xffff0000, v36
	v_lshlrev_b32_e32 v36, 16, v37
	v_and_b32_e32 v37, 0xffff0000, v37
	v_dual_lshlrev_b32 v38, 16, v42 :: v_dual_lshlrev_b32 v40, 16, v43
	v_and_b32_e32 v39, 0xffff0000, v42
	v_and_b32_e32 v41, 0xffff0000, v43
	v_lshlrev_b32_e32 v42, 16, v44
	v_and_b32_e32 v43, 0xffff0000, v44
	s_wait_dscnt 0x1
	v_dual_lshlrev_b32 v56, 16, v2 :: v_dual_lshlrev_b32 v58, 16, v3
	s_wait_dscnt 0x0
	v_dual_lshlrev_b32 v64, 16, v6 :: v_dual_lshlrev_b32 v66, 16, v7
	v_and_b32_e32 v65, 0xffff0000, v6
	v_bfe_u32 v6, v0, 1, 4
	v_and_b32_e32 v57, 0xffff0000, v2
	v_and_b32_e32 v67, 0xffff0000, v7
	v_xor_b32_e32 v7, 1, v12
	v_and_b32_e32 v59, 0xffff0000, v3
	v_dual_mov_b32 v3, 0 :: v_dual_lshlrev_b32 v2, 4, v6
	v_dual_lshlrev_b32 v60, 16, v4 :: v_dual_lshlrev_b32 v62, 16, v5
	s_delay_alu instid0(VALU_DEP_4)
	v_cmp_gt_i32_e32 vcc_lo, 32, v7
	v_and_b32_e32 v61, 0xffff0000, v4
	v_and_b32_e32 v63, 0xffff0000, v5
	v_add_nc_u64_e32 v[4:5], s[16:17], v[2:3]
	v_dual_lshlrev_b32 v68, 16, v8 :: v_dual_lshlrev_b32 v70, 16, v9
	v_and_b32_e32 v69, 0xffff0000, v8
	v_dual_lshlrev_b32 v74, 16, v75 :: v_dual_lshlrev_b32 v8, 2, v6
	v_and_b32_e32 v2, 8, v11
	v_cndmask_b32_e32 v7, v12, v7, vcc_lo
	s_ashr_i32 s17, s5, 31
	s_cmp_neq_f32 s23, 0
	v_lshl_or_b32 v77, v55, 4, v6
	v_add_nc_u64_e32 v[4:5], v[4:5], v[2:3]
	v_lshlrev_b32_e32 v76, 2, v7
	v_lshl_or_b32 v7, v55, 6, v8
	v_and_b32_e32 v2, 0x7c, v10
	s_cselect_b32 s3, -1, 0
	s_lshl_b64 s[26:27], s[10:11], 2
	v_lshlrev_b32_e32 v44, 16, v45
	s_add_nc_u64 s[26:27], s[12:13], s[26:27]
	v_add_nc_u32_e32 v78, 0x110, v7
	v_add_nc_u64_e32 v[6:7], s[26:27], v[2:3]
	v_and_b32_e32 v45, 0xffff0000, v45
	v_dual_lshlrev_b32 v46, 16, v50 :: v_dual_lshlrev_b32 v48, 16, v51
	v_and_b32_e32 v47, 0xffff0000, v50
	v_and_b32_e32 v49, 0xffff0000, v51
	v_lshlrev_b32_e32 v50, 16, v52
	v_and_b32_e32 v51, 0xffff0000, v52
	v_lshlrev_b32_e32 v52, 16, v53
	v_and_b32_e32 v53, 0xffff0000, v53
	v_and_b32_e32 v71, 0xffff0000, v9
	;; [unrolled: 1-line block ×3, first 2 shown]
	v_mov_b32_e32 v2, 0xff7fffff
	s_mov_b32 s16, s5
	s_sub_co_i32 s15, 1, s21
	v_cmp_eq_u32_e32 vcc_lo, 0, v54
	s_branch .LBB140_9
.LBB140_8:                              ;   in Loop: Header=BB140_9 Depth=1
	s_or_b32 exec_lo, exec_lo, s25
	v_dual_add_nc_u32 v79, 4, v79 :: v_dual_add_nc_u32 v77, 64, v77
	v_add_nc_u64_e32 v[6:7], 16, v[6:7]
	v_add_nc_u32_e32 v78, 0x100, v78
	s_delay_alu instid0(VALU_DEP_3) | instskip(SKIP_1) | instid1(SALU_CYCLE_1)
	v_cmp_le_i32_e64 s4, s22, v79
	s_or_b32 s6, s4, s6
	s_and_not1_b32 exec_lo, exec_lo, s6
	s_cbranch_execz .LBB140_11
.LBB140_9:                              ; =>This Inner Loop Header: Depth=1
	global_load_b32 v8, v[6:7], off
	s_wait_loadcnt_dscnt 0x0
	v_ashrrev_i32_e32 v9, 31, v8
	s_delay_alu instid0(VALU_DEP_1) | instskip(NEXT) | instid1(VALU_DEP_1)
	v_mul_u64_e32 v[8:9], s[16:17], v[8:9]
	v_lshl_add_u64 v[8:9], v[8:9], 1, v[4:5]
	s_clause 0x8
	global_load_b64 v[80:81], v[8:9], off offset:256
	global_load_b64 v[82:83], v[8:9], off offset:512
	;; [unrolled: 1-line block ×3, first 2 shown]
	global_load_b64 v[86:87], v[8:9], off
	global_load_b64 v[88:89], v[8:9], off offset:1024
	global_load_b64 v[90:91], v[8:9], off offset:1280
	;; [unrolled: 1-line block ×5, first 2 shown]
	s_wait_loadcnt 0x8
	v_and_b32_e32 v99, 0xffff0000, v80
	v_dual_lshlrev_b32 v98, 16, v80 :: v_dual_lshlrev_b32 v100, 16, v81
	v_and_b32_e32 v101, 0xffff0000, v81
	global_load_b64 v[80:81], v[8:9], off offset:2304
	v_dual_mul_f32 v103, v18, v99 :: v_dual_mul_f32 v102, v17, v98
	v_dual_mul_f32 v100, v19, v100 :: v_dual_mul_f32 v101, v20, v101
	global_load_b64 v[98:99], v[8:9], off offset:2560
	s_wait_loadcnt 0x7
	v_fma_mix_f32_bf16 v103, v14, v86, v103 op_sel:[0,1,0] op_sel_hi:[0,1,0]
	v_fma_mix_f32_bf16 v102, v13, v86, v102 op_sel_hi:[0,1,0]
	v_fma_mix_f32_bf16 v100, v15, v87, v100 op_sel_hi:[0,1,0]
	v_fma_mix_f32_bf16 v101, v16, v87, v101 op_sel:[0,1,0] op_sel_hi:[0,1,0]
	global_load_b64 v[86:87], v[8:9], off offset:2816
	v_fma_mix_f32_bf16 v103, v22, v82, v103 op_sel:[0,1,0] op_sel_hi:[0,1,0]
	v_fma_mix_f32_bf16 v102, v21, v82, v102 op_sel_hi:[0,1,0]
	v_fma_mix_f32_bf16 v100, v23, v83, v100 op_sel_hi:[0,1,0]
	v_fma_mix_f32_bf16 v101, v24, v83, v101 op_sel:[0,1,0] op_sel_hi:[0,1,0]
	global_load_b64 v[82:83], v[8:9], off offset:3072
	v_fma_mix_f32_bf16 v103, v26, v84, v103 op_sel:[0,1,0] op_sel_hi:[0,1,0]
	v_fma_mix_f32_bf16 v102, v25, v84, v102 op_sel_hi:[0,1,0]
	v_fma_mix_f32_bf16 v100, v27, v85, v100 op_sel_hi:[0,1,0]
	v_fma_mix_f32_bf16 v101, v28, v85, v101 op_sel:[0,1,0] op_sel_hi:[0,1,0]
	s_clause 0x1
	global_load_b64 v[84:85], v[8:9], off offset:3328
	global_load_b64 v[8:9], v[8:9], off offset:3584
	s_wait_loadcnt 0xa
	v_fma_mix_f32_bf16 v102, v29, v88, v102 op_sel_hi:[0,1,0]
	v_fma_mix_f32_bf16 v88, v30, v88, v103 op_sel:[0,1,0] op_sel_hi:[0,1,0]
	v_fma_mix_f32_bf16 v100, v31, v89, v100 op_sel_hi:[0,1,0]
	v_fma_mix_f32_bf16 v89, v32, v89, v101 op_sel:[0,1,0] op_sel_hi:[0,1,0]
	s_wait_loadcnt 0x9
	v_fma_mix_f32_bf16 v102, v33, v90, v102 op_sel_hi:[0,1,0]
	v_fma_mix_f32_bf16 v88, v35, v90, v88 op_sel:[0,1,0] op_sel_hi:[0,1,0]
	v_fma_mix_f32_bf16 v90, v36, v91, v100 op_sel_hi:[0,1,0]
	v_fma_mix_f32_bf16 v89, v37, v91, v89 op_sel:[0,1,0] op_sel_hi:[0,1,0]
	;; [unrolled: 5-line block ×4, first 2 shown]
	s_wait_loadcnt 0x6
	v_fma_mix_f32_bf16 v91, v46, v96, v91 op_sel_hi:[0,1,0]
	v_fma_mix_f32_bf16 v88, v47, v96, v88 op_sel:[0,1,0] op_sel_hi:[0,1,0]
	v_fma_mix_f32_bf16 v90, v48, v97, v90 op_sel_hi:[0,1,0]
	s_wait_loadcnt 0x5
	s_delay_alu instid0(VALU_DEP_3) | instskip(NEXT) | instid1(VALU_DEP_3)
	v_fma_mix_f32_bf16 v91, v50, v80, v91 op_sel_hi:[0,1,0]
	v_fma_mix_f32_bf16 v80, v51, v80, v88 op_sel:[0,1,0] op_sel_hi:[0,1,0]
	v_fma_mix_f32_bf16 v88, v49, v97, v89 op_sel:[0,1,0] op_sel_hi:[0,1,0]
	v_fma_mix_f32_bf16 v89, v52, v81, v90 op_sel_hi:[0,1,0]
	s_wait_loadcnt 0x4
	v_fma_mix_f32_bf16 v90, v56, v98, v91 op_sel_hi:[0,1,0]
	v_fma_mix_f32_bf16 v80, v57, v98, v80 op_sel:[0,1,0] op_sel_hi:[0,1,0]
	v_fma_mix_f32_bf16 v81, v53, v81, v88 op_sel:[0,1,0] op_sel_hi:[0,1,0]
	v_fma_mix_f32_bf16 v88, v58, v99, v89 op_sel_hi:[0,1,0]
	s_wait_loadcnt 0x3
	;; [unrolled: 5-line block ×5, first 2 shown]
	v_fma_mix_f32_bf16 v83, v72, v8, v86 op_sel_hi:[0,1,0]
	s_wait_xcnt 0x0
	v_fma_mix_f32_bf16 v8, v73, v8, v80 op_sel:[0,1,0] op_sel_hi:[0,1,0]
	v_fma_mix_f32_bf16 v80, v71, v85, v81 op_sel:[0,1,0] op_sel_hi:[0,1,0]
	v_fma_mix_f32_bf16 v81, v74, v9, v82 op_sel_hi:[0,1,0]
	s_delay_alu instid0(VALU_DEP_3) | instskip(NEXT) | instid1(VALU_DEP_3)
	v_add_f32_e32 v8, v83, v8
	v_fma_mix_f32_bf16 v9, v75, v9, v80 op_sel:[0,1,0] op_sel_hi:[0,1,0]
	s_delay_alu instid0(VALU_DEP_2) | instskip(NEXT) | instid1(VALU_DEP_1)
	v_add_f32_e32 v8, v8, v81
	v_add_f32_e32 v8, v9, v8
	ds_bpermute_b32 v9, v76, v8
	s_and_saveexec_b32 s25, vcc_lo
	s_cbranch_execz .LBB140_8
; %bb.10:                               ;   in Loop: Header=BB140_9 Depth=1
	s_wait_dscnt 0x0
	v_add_f32_e32 v8, v8, v9
	v_add_nc_u32_e32 v80, s15, v77
	v_cmp_gt_i32_e64 s4, s21, v77
	s_delay_alu instid0(VALU_DEP_2) | instskip(NEXT) | instid1(VALU_DEP_1)
	v_cvt_f32_i32_e32 v80, v80
	v_mul_f32_e32 v80, s23, v80
	s_delay_alu instid0(VALU_DEP_1) | instskip(NEXT) | instid1(VALU_DEP_1)
	v_dual_cndmask_b32 v9, 0, v80, s3 :: v_dual_max_num_f32 v80, v2, v2
	v_fmac_f32_e32 v9, s7, v8
	s_delay_alu instid0(VALU_DEP_1) | instskip(NEXT) | instid1(VALU_DEP_1)
	v_dual_max_num_f32 v8, v80, v9 :: v_dual_cndmask_b32 v9, 0, v9, s4
	v_cndmask_b32_e64 v2, v2, v8, s4
	ds_store_b32 v78, v9
	s_branch .LBB140_8
.LBB140_11:
	s_or_b32 exec_lo, exec_lo, s6
.LBB140_12:
	s_delay_alu instid0(SALU_CYCLE_1)
	s_or_b32 exec_lo, exec_lo, s24
	v_xor_b32_e32 v4, 16, v12
	v_xor_b32_e32 v7, 4, v12
	;; [unrolled: 1-line block ×4, first 2 shown]
	s_clause 0x1
	s_load_b64 s[6:7], s[0:1], 0x0
	s_load_b64 s[16:17], s[0:1], 0x18
	v_cmp_lt_i32_e32 vcc_lo, v4, v34
	v_cndmask_b32_e32 v4, v12, v4, vcc_lo
	v_cmp_lt_i32_e32 vcc_lo, v6, v34
	s_delay_alu instid0(VALU_DEP_2) | instskip(SKIP_4) | instid1(VALU_DEP_2)
	v_dual_cndmask_b32 v6, v12, v6 :: v_dual_lshlrev_b32 v5, 2, v4
	v_cmp_lt_i32_e32 vcc_lo, v7, v34
	ds_bpermute_b32 v4, v5, v2
	v_dual_max_num_f32 v2, v2, v2 :: v_dual_cndmask_b32 v7, v12, v7
	v_cmp_lt_i32_e32 vcc_lo, v8, v34
	v_dual_cndmask_b32 v8, v12, v8 :: v_dual_lshlrev_b32 v7, 2, v7
	s_wait_dscnt 0x0
	v_dual_max_num_f32 v4, v4, v4 :: v_dual_lshlrev_b32 v6, 2, v6
	s_delay_alu instid0(VALU_DEP_1) | instskip(SKIP_3) | instid1(VALU_DEP_1)
	v_max_num_f32_e32 v2, v2, v4
	ds_bpermute_b32 v4, v6, v2
	s_wait_dscnt 0x0
	v_max_num_f32_e32 v4, v4, v4
	v_max_num_f32_e32 v2, v2, v4
	ds_bpermute_b32 v4, v7, v2
	s_wait_dscnt 0x0
	v_max_num_f32_e32 v4, v4, v4
	s_delay_alu instid0(VALU_DEP_1)
	v_max_num_f32_e32 v9, v2, v4
	v_lshlrev_b32_e32 v2, 2, v8
	v_dual_lshlrev_b32 v8, 2, v55 :: v_dual_bitop2_b32 v4, 31, v0 bitop3:0x40
	ds_bpermute_b32 v13, v2, v9
	v_cmp_eq_u32_e32 vcc_lo, 0, v4
	s_wait_xcnt 0x0
	s_and_saveexec_b32 s0, vcc_lo
	s_cbranch_execz .LBB140_14
; %bb.13:
	s_wait_dscnt 0x0
	v_max_num_f32_e32 v13, v13, v13
	v_max_num_f32_e32 v9, v9, v9
	s_delay_alu instid0(VALU_DEP_1)
	v_max_num_f32_e32 v9, v9, v13
	ds_store_b32 v8, v9 offset:240
.LBB140_14:
	s_or_b32 exec_lo, exec_lo, s0
	v_cmp_gt_u32_e64 s0, 4, v4
	s_wait_dscnt 0x0
	v_mov_b32_e32 v13, 0xff7fffff
	v_lshlrev_b32_e32 v9, 2, v4
	s_barrier_signal -1
	s_barrier_wait -1
	s_and_saveexec_b32 s1, s0
; %bb.15:
	ds_load_b32 v13, v9 offset:240
; %bb.16:
	s_or_b32 exec_lo, exec_lo, s1
	s_wait_dscnt 0x0
	ds_bpermute_b32 v14, v2, v13
	v_dual_max_num_f32 v13, v13, v13 :: v_dual_bitop2_b32 v15, 1, v12 bitop3:0x14
	v_lshlrev_b32_e32 v3, 2, v3
	s_delay_alu instid0(VALU_DEP_2) | instskip(NEXT) | instid1(VALU_DEP_1)
	v_cmp_lt_i32_e64 s1, v15, v34
	v_cndmask_b32_e64 v15, v12, v15, s1
	s_lshl_b32 s1, s22, 4
	s_delay_alu instid0(SALU_CYCLE_1) | instskip(NEXT) | instid1(SALU_CYCLE_1)
	s_min_i32 s4, s1, s21
	v_cmp_gt_i32_e64 s1, s4, v0
	s_wait_dscnt 0x0
	v_dual_max_num_f32 v14, v14, v14 :: v_dual_lshlrev_b32 v57, 2, v15
	s_delay_alu instid0(VALU_DEP_1) | instskip(SKIP_3) | instid1(VALU_DEP_1)
	v_max_num_f32_e32 v13, v13, v14
	ds_bpermute_b32 v14, v57, v13
	s_wait_dscnt 0x0
	v_max_num_f32_e32 v14, v14, v14
	v_max_num_f32_e32 v13, v13, v14
	ds_bpermute_b32 v13, v3, v13
	v_mov_b32_e32 v3, 0
	s_and_saveexec_b32 s15, s1
	s_cbranch_execz .LBB140_20
; %bb.17:
	v_lshl_add_u32 v14, v0, 2, 0x110
	v_dual_mov_b32 v3, 0 :: v_dual_mov_b32 v15, v0
	s_mov_b32 s23, 0
.LBB140_18:                             ; =>This Inner Loop Header: Depth=1
	ds_load_b32 v16, v14
	v_add_nc_u32_e32 v15, 0x80, v15
	s_delay_alu instid0(VALU_DEP_1) | instskip(SKIP_3) | instid1(VALU_DEP_1)
	v_cmp_le_i32_e64 s3, s4, v15
	s_or_b32 s23, s3, s23
	s_wait_dscnt 0x0
	v_sub_f32_e32 v16, v16, v13
	v_mul_f32_e32 v16, 0x3fb8aa3b, v16
	s_delay_alu instid0(VALU_DEP_1)
	v_exp_f32_e32 v16, v16
	ds_store_b32 v14, v16
	v_nop
	v_dual_add_f32 v3, v3, v16 :: v_dual_add_nc_u32 v14, 0x200, v14
	s_and_not1_b32 exec_lo, exec_lo, s23
	s_cbranch_execnz .LBB140_18
; %bb.19:
	s_or_b32 exec_lo, exec_lo, s23
.LBB140_20:
	s_delay_alu instid0(SALU_CYCLE_1)
	s_or_b32 exec_lo, exec_lo, s15
	ds_bpermute_b32 v5, v5, v3
	s_wait_dscnt 0x0
	v_add_f32_e32 v3, v3, v5
	ds_bpermute_b32 v5, v6, v3
	s_wait_dscnt 0x0
	v_add_f32_e32 v3, v3, v5
	;; [unrolled: 3-line block ×5, first 2 shown]
	s_and_saveexec_b32 s3, vcc_lo
; %bb.21:
	ds_store_b32 v8, v3 offset:256
; %bb.22:
	s_or_b32 exec_lo, exec_lo, s3
	s_wait_dscnt 0x0
	s_barrier_signal -1
	s_barrier_wait -1
	s_and_saveexec_b32 s3, s0
; %bb.23:
	ds_load_b32 v3, v9 offset:256
; %bb.24:
	s_or_b32 exec_lo, exec_lo, s3
	s_wait_dscnt 0x0
	ds_bpermute_b32 v2, v2, v3
	s_wait_dscnt 0x0
	v_dual_add_f32 v2, v3, v2 :: v_dual_lshlrev_b32 v5, 2, v12
	ds_bpermute_b32 v3, v57, v2
	s_wait_dscnt 0x0
	v_add_f32_e32 v2, v2, v3
	v_and_b32_e32 v3, 0xffffff80, v5
	ds_bpermute_b32 v2, v3, v2
	s_and_saveexec_b32 s0, s1
	s_cbranch_execz .LBB140_37
; %bb.25:
	s_wait_dscnt 0x0
	v_add_f32_e32 v2, 0x358637bd, v2
	s_mov_b32 s3, -1
	s_mov_b32 s1, exec_lo
	s_delay_alu instid0(VALU_DEP_1) | instskip(SKIP_1) | instid1(VALU_DEP_2)
	v_div_scale_f32 v3, null, v2, v2, 1.0
	v_div_scale_f32 v7, vcc_lo, 1.0, v2, 1.0
	v_rcp_f32_e32 v6, v3
	v_nop
	s_delay_alu instid0(TRANS32_DEP_1) | instskip(NEXT) | instid1(VALU_DEP_1)
	v_fma_f32 v5, -v3, v6, 1.0
	v_fmac_f32_e32 v6, v5, v6
	s_delay_alu instid0(VALU_DEP_1) | instskip(NEXT) | instid1(VALU_DEP_1)
	v_mul_f32_e32 v8, v7, v6
	v_fma_f32 v5, -v3, v8, v7
	s_delay_alu instid0(VALU_DEP_1) | instskip(SKIP_1) | instid1(VALU_DEP_2)
	v_fmac_f32_e32 v8, v5, v6
	v_xad_u32 v5, v0, -1, s4
	v_fma_f32 v3, -v3, v8, v7
	s_delay_alu instid0(VALU_DEP_1) | instskip(NEXT) | instid1(VALU_DEP_1)
	v_div_fmas_f32 v3, v3, v6, v8
	v_div_fixup_f32 v2, v3, v2, 1.0
	v_mov_b32_e32 v3, v0
	v_cmpx_lt_u32_e32 0x7f, v5
	s_cbranch_execz .LBB140_34
; %bb.26:
	s_delay_alu instid0(VALU_DEP_3) | instskip(NEXT) | instid1(VALU_DEP_1)
	v_dual_lshrrev_b32 v5, 7, v5 :: v_dual_mov_b32 v3, v2
	v_dual_mov_b32 v9, 0 :: v_dual_add_nc_u32 v6, -1, v5
	s_delay_alu instid0(VALU_DEP_1) | instskip(SKIP_1) | instid1(VALU_DEP_2)
	v_lshrrev_b32_e32 v7, 1, v6
	v_cmp_lt_u32_e32 vcc_lo, 13, v6
	v_add_nc_u32_e32 v6, 1, v7
	s_and_saveexec_b32 s3, vcc_lo
	s_cbranch_execz .LBB140_30
; %bb.27:
	s_delay_alu instid0(VALU_DEP_1)
	v_and_b32_e32 v7, -8, v6
	v_lshl_add_u32 v8, v0, 2, 0x110
	s_mov_b32 s15, 0
	s_mov_b32 s23, 0
.LBB140_28:                             ; =>This Inner Loop Header: Depth=1
	ds_load_2addr_stride64_b32 v[12:13], v8 offset1:2
	ds_load_2addr_stride64_b32 v[14:15], v8 offset0:4 offset1:6
	ds_load_2addr_stride64_b32 v[16:17], v8 offset0:8 offset1:10
	;; [unrolled: 1-line block ×7, first 2 shown]
	s_add_co_i32 s23, s23, 16
	s_delay_alu instid0(SALU_CYCLE_1) | instskip(NEXT) | instid1(VALU_DEP_1)
	v_dual_add_nc_u32 v7, -8, v7 :: v_dual_mov_b32 v9, s23
	v_cmp_eq_u32_e32 vcc_lo, 0, v7
	s_or_b32 s15, vcc_lo, s15
	s_wait_dscnt 0x7
	v_pk_mul_f32 v[12:13], v[2:3], v[12:13]
	s_wait_dscnt 0x6
	v_pk_mul_f32 v[14:15], v[2:3], v[14:15]
	;; [unrolled: 2-line block ×8, first 2 shown]
	ds_store_2addr_stride64_b32 v8, v12, v13 offset1:2
	ds_store_2addr_stride64_b32 v8, v14, v15 offset0:4 offset1:6
	ds_store_2addr_stride64_b32 v8, v16, v17 offset0:8 offset1:10
	;; [unrolled: 1-line block ×7, first 2 shown]
	v_add_nc_u32_e32 v8, 0x2000, v8
	s_and_not1_b32 exec_lo, exec_lo, s15
	s_cbranch_execnz .LBB140_28
; %bb.29:
	s_or_b32 exec_lo, exec_lo, s15
.LBB140_30:
	s_delay_alu instid0(SALU_CYCLE_1) | instskip(NEXT) | instid1(VALU_DEP_1)
	s_or_b32 exec_lo, exec_lo, s3
	v_and_b32_e32 v6, 7, v6
	s_mov_b32 s15, 0
	s_mov_b32 s3, exec_lo
	s_delay_alu instid0(VALU_DEP_1)
	v_cmpx_ne_u32_e32 0, v6
	s_cbranch_execz .LBB140_33
; %bb.31:
	v_dual_lshlrev_b32 v7, 9, v9 :: v_dual_lshlrev_b32 v8, 2, v0
	s_delay_alu instid0(VALU_DEP_1)
	v_add3_u32 v7, v7, v8, 0x110
.LBB140_32:                             ; =>This Inner Loop Header: Depth=1
	ds_load_2addr_stride64_b32 v[8:9], v7 offset1:2
	v_add_nc_u32_e32 v6, -1, v6
	s_delay_alu instid0(VALU_DEP_1)
	v_cmp_eq_u32_e32 vcc_lo, 0, v6
	s_or_b32 s15, vcc_lo, s15
	s_wait_dscnt 0x0
	v_pk_mul_f32 v[8:9], v[2:3], v[8:9]
	ds_store_2addr_stride64_b32 v7, v8, v9 offset1:2
	v_add_nc_u32_e32 v7, 0x400, v7
	s_and_not1_b32 exec_lo, exec_lo, s15
	s_cbranch_execnz .LBB140_32
.LBB140_33:
	s_or_b32 exec_lo, exec_lo, s3
	v_add_nc_u32_e32 v3, 1, v5
	s_delay_alu instid0(VALU_DEP_1) | instskip(NEXT) | instid1(VALU_DEP_1)
	v_and_b32_e32 v5, 0x3fffffe, v3
	v_cmp_ne_u32_e32 vcc_lo, v3, v5
	v_lshl_add_u32 v3, v5, 7, v0
	s_or_not1_b32 s3, vcc_lo, exec_lo
.LBB140_34:
	s_or_b32 exec_lo, exec_lo, s1
	s_delay_alu instid0(SALU_CYCLE_1)
	s_and_b32 exec_lo, exec_lo, s3
	s_cbranch_execz .LBB140_37
; %bb.35:
	v_lshl_add_u32 v5, v3, 2, 0x110
	s_mov_b32 s1, 0
.LBB140_36:                             ; =>This Inner Loop Header: Depth=1
	ds_load_b32 v6, v5
	s_wait_dscnt 0x0
	v_dual_mul_f32 v6, v2, v6 :: v_dual_add_nc_u32 v3, 0x80, v3
	s_delay_alu instid0(VALU_DEP_1) | instskip(SKIP_3) | instid1(SALU_CYCLE_1)
	v_cmp_le_i32_e32 vcc_lo, s4, v3
	ds_store_b32 v5, v6
	v_add_nc_u32_e32 v5, 0x200, v5
	s_or_b32 s1, vcc_lo, s1
	s_and_not1_b32 exec_lo, exec_lo, s1
	s_cbranch_execnz .LBB140_36
.LBB140_37:
	s_or_b32 exec_lo, exec_lo, s0
	v_lshrrev_b32_e32 v56, 1, v4
	s_wait_dscnt 0x0
	s_barrier_signal -1
	s_barrier_wait -1
	s_and_saveexec_b32 s0, s2
	s_delay_alu instid0(SALU_CYCLE_1)
	s_xor_b32 s0, exec_lo, s0
; %bb.38:
	v_lshrrev_b32_e32 v56, 1, v4
                                        ; implicit-def: $vgpr11
                                        ; implicit-def: $vgpr10
; %bb.39:
	s_or_saveexec_b32 s23, s0
	v_dual_mov_b32 v39, 0 :: v_dual_mov_b32 v38, 0
	v_dual_mov_b32 v41, 0 :: v_dual_mov_b32 v40, 0
	;; [unrolled: 1-line block ×4, first 2 shown]
	s_xor_b32 exec_lo, exec_lo, s23
	s_cbranch_execz .LBB140_61
; %bb.40:
	v_dual_lshlrev_b32 v5, 5, v54 :: v_dual_bitop2_b32 v3, 8, v11 bitop3:0x40
	s_ashr_i32 s15, s14, 31
	v_or_b32_e32 v4, 0x70, v56
	s_lshl_b64 s[0:1], s[14:15], 1
	s_delay_alu instid0(VALU_DEP_2)
	v_lshl_or_b32 v2, v56, 4, v3
	v_mov_b32_e32 v47, 0
	v_and_b32_e32 v46, 0x7c, v10
	s_ashr_i32 s3, s5, 31
	s_mov_b32 s2, s5
	s_wait_kmcnt 0x0
	s_add_nc_u64 s[4:5], s[16:17], s[0:1]
	s_lshl_b64 s[0:1], s[10:11], 2
	v_cmp_gt_u32_e32 vcc_lo, 0x78, v4
	v_lshl_or_b32 v4, v4, 4, v3
	v_lshl_or_b32 v5, v55, 6, v5
	s_add_nc_u64 s[0:1], s[12:13], s[0:1]
	v_lshlrev_b32_e32 v50, 1, v2
	v_add_nc_u64_e32 v[48:49], s[0:1], v[46:47]
	v_lshl_or_b32 v58, v55, 4, v3
	v_dual_mov_b32 v38, v47 :: v_dual_add_nc_u32 v59, 0x110, v5
	v_dual_mov_b32 v51, v47 :: v_dual_lshlrev_b32 v46, 1, v4
	v_dual_mov_b32 v39, v47 :: v_dual_mov_b32 v41, v47
	v_dual_mov_b32 v40, v47 :: v_dual_mov_b32 v43, v47
	;; [unrolled: 1-line block ×4, first 2 shown]
	s_add_co_i32 s10, s22, -1
	s_mov_b32 s12, s21
	s_mov_b32 s11, 0
	s_branch .LBB140_43
.LBB140_41:                             ;   in Loop: Header=BB140_43 Depth=1
	s_or_b32 exec_lo, exec_lo, s13
	s_wait_loadcnt 0x0
	v_pk_mul_bf16 v18, v61, v18
	v_pk_mul_bf16 v19, v24, v19
	;; [unrolled: 1-line block ×4, first 2 shown]
	s_delay_alu instid0(VALU_DEP_3) | instskip(SKIP_4) | instid1(VALU_DEP_3)
	v_dual_lshlrev_b32 v25, 16, v18 :: v_dual_lshlrev_b32 v52, 16, v19
	v_and_b32_e32 v18, 0xffff0000, v18
	v_and_b32_e32 v19, 0xffff0000, v19
	v_lshlrev_b32_e32 v53, 16, v20
	v_and_b32_e32 v20, 0xffff0000, v20
	v_dual_add_f32 v18, v18, v25 :: v_dual_add_f32 v19, v19, v52
	v_lshlrev_b32_e32 v25, 16, v21
	s_delay_alu instid0(VALU_DEP_2) | instskip(SKIP_1) | instid1(VALU_DEP_1)
	v_dual_add_f32 v20, v20, v53 :: v_dual_add_f32 v18, v19, v18
	v_and_b32_e32 v19, 0xffff0000, v21
	v_dual_add_f32 v18, v20, v18 :: v_dual_add_f32 v19, v19, v25
	s_delay_alu instid0(VALU_DEP_1) | instskip(NEXT) | instid1(VALU_DEP_1)
	v_add_f32_e32 v18, v19, v18
	v_add_f32_e32 v39, v39, v18
.LBB140_42:                             ;   in Loop: Header=BB140_43 Depth=1
	s_or_b32 exec_lo, exec_lo, s1
	s_wait_loadcnt 0x0
	v_pk_mul_bf16 v18, v61, v34
	v_pk_mul_bf16 v19, v24, v35
	;; [unrolled: 1-line block ×5, first 2 shown]
	s_delay_alu instid0(VALU_DEP_4)
	v_dual_lshlrev_b32 v21, 16, v18 :: v_dual_lshlrev_b32 v25, 16, v19
	v_and_b32_e32 v18, 0xffff0000, v18
	v_and_b32_e32 v19, 0xffff0000, v19
	v_lshlrev_b32_e32 v34, 16, v20
	v_and_b32_e32 v20, 0xffff0000, v20
	v_pk_mul_bf16 v27, v24, v27
	v_add_f32_e32 v18, v21, v18
	v_add_f32_e32 v19, v25, v19
	v_pk_mul_bf16 v25, v61, v30
	v_dual_add_f32 v20, v34, v20 :: v_dual_lshlrev_b32 v21, 16, v35
	v_and_b32_e32 v30, 0xffff0000, v35
	s_delay_alu instid0(VALU_DEP_4)
	v_add_f32_e32 v18, v19, v18
	v_pk_mul_bf16 v19, v24, v31
	v_lshlrev_b32_e32 v31, 16, v25
	v_pk_mul_bf16 v28, v23, v28
	v_add_f32_e32 v21, v21, v30
	v_add_f32_e32 v18, v20, v18
	v_and_b32_e32 v20, 0xffff0000, v25
	v_lshlrev_b32_e32 v25, 16, v19
	v_and_b32_e32 v19, 0xffff0000, v19
	v_pk_mul_bf16 v30, v23, v32
	s_delay_alu instid0(VALU_DEP_4) | instskip(SKIP_1) | instid1(VALU_DEP_3)
	v_dual_add_f32 v18, v21, v18 :: v_dual_add_f32 v20, v31, v20
	v_pk_mul_bf16 v14, v61, v14
	v_dual_add_f32 v19, v25, v19 :: v_dual_lshlrev_b32 v21, 16, v30
	v_and_b32_e32 v25, 0xffff0000, v30
	v_pk_mul_bf16 v30, v22, v33
	v_pk_mul_bf16 v15, v24, v15
	s_delay_alu instid0(VALU_DEP_4)
	v_add_f32_e32 v19, v19, v20
	v_pk_mul_bf16 v10, v61, v10
	v_dual_add_f32 v20, v21, v25 :: v_dual_lshlrev_b32 v21, 16, v26
	v_and_b32_e32 v25, 0xffff0000, v26
	v_lshlrev_b32_e32 v26, 16, v27
	v_and_b32_e32 v27, 0xffff0000, v27
	v_lshlrev_b32_e32 v31, 16, v30
	v_and_b32_e32 v30, 0xffff0000, v30
	v_dual_add_f32 v21, v21, v25 :: v_dual_add_f32 v19, v20, v19
	s_delay_alu instid0(VALU_DEP_4) | instskip(SKIP_2) | instid1(VALU_DEP_3)
	v_dual_add_f32 v25, v26, v27 :: v_dual_lshlrev_b32 v26, 16, v28
	v_and_b32_e32 v27, 0xffff0000, v28
	v_pk_mul_bf16 v28, v22, v29
	v_dual_add_f32 v20, v31, v30 :: v_dual_add_f32 v21, v25, v21
	v_pk_mul_bf16 v11, v24, v11
	s_delay_alu instid0(VALU_DEP_3) | instskip(NEXT) | instid1(VALU_DEP_3)
	v_dual_add_f32 v25, v26, v27 :: v_dual_lshlrev_b32 v26, 16, v28
	v_add_f32_e32 v19, v20, v19
	v_and_b32_e32 v27, 0xffff0000, v28
	s_delay_alu instid0(VALU_DEP_3) | instskip(SKIP_2) | instid1(VALU_DEP_4)
	v_dual_add_f32 v38, v38, v18 :: v_dual_add_f32 v20, v25, v21
	v_lshlrev_b32_e32 v25, 16, v14
	v_and_b32_e32 v14, 0xffff0000, v14
	v_add_f32_e32 v21, v26, v27
	v_lshlrev_b32_e32 v26, 16, v15
	v_and_b32_e32 v15, 0xffff0000, v15
	v_add_f32_e32 v41, v41, v19
	v_dual_add_f32 v14, v25, v14 :: v_dual_lshlrev_b32 v19, 16, v11
	s_delay_alu instid0(VALU_DEP_3) | instskip(SKIP_4) | instid1(VALU_DEP_4)
	v_dual_add_f32 v18, v21, v20 :: v_dual_add_f32 v15, v26, v15
	v_pk_mul_bf16 v16, v23, v16
	v_and_b32_e32 v11, 0xffff0000, v11
	v_pk_mul_bf16 v12, v23, v12
	v_pk_mul_bf16 v17, v22, v17
	v_dual_add_f32 v14, v15, v14 :: v_dual_lshlrev_b32 v20, 16, v16
	s_delay_alu instid0(VALU_DEP_4)
	v_dual_lshlrev_b32 v15, 16, v10 :: v_dual_add_f32 v11, v19, v11
	v_and_b32_e32 v10, 0xffff0000, v10
	v_and_b32_e32 v16, 0xffff0000, v16
	v_lshlrev_b32_e32 v19, 16, v17
	v_and_b32_e32 v17, 0xffff0000, v17
	v_pk_mul_bf16 v13, v22, v13
	v_dual_add_f32 v10, v15, v10 :: v_dual_lshlrev_b32 v15, 16, v12
	v_and_b32_e32 v12, 0xffff0000, v12
	v_add_f32_e32 v16, v20, v16
	v_pk_mul_bf16 v6, v61, v6
	s_delay_alu instid0(VALU_DEP_4) | instskip(SKIP_1) | instid1(VALU_DEP_4)
	v_add_f32_e32 v10, v11, v10
	v_pk_mul_bf16 v7, v24, v7
	v_dual_add_f32 v11, v15, v12 :: v_dual_add_f32 v12, v16, v14
	s_delay_alu instid0(VALU_DEP_4) | instskip(SKIP_1) | instid1(VALU_DEP_3)
	v_dual_add_f32 v14, v19, v17 :: v_dual_lshlrev_b32 v15, 16, v6
	v_and_b32_e32 v6, 0xffff0000, v6
	v_dual_add_f32 v10, v11, v10 :: v_dual_lshlrev_b32 v16, 16, v7
	v_and_b32_e32 v7, 0xffff0000, v7
	v_pk_mul_bf16 v8, v23, v8
	v_pk_mul_bf16 v2, v61, v2
	;; [unrolled: 1-line block ×3, first 2 shown]
	s_delay_alu instid0(VALU_DEP_4) | instskip(NEXT) | instid1(VALU_DEP_3)
	v_dual_add_f32 v6, v15, v6 :: v_dual_add_f32 v7, v16, v7
	v_dual_lshlrev_b32 v15, 16, v8 :: v_dual_lshlrev_b32 v16, 16, v2
	v_and_b32_e32 v8, 0xffff0000, v8
	v_and_b32_e32 v2, 0xffff0000, v2
	s_delay_alu instid0(VALU_DEP_4) | instskip(SKIP_4) | instid1(VALU_DEP_3)
	v_dual_add_f32 v6, v7, v6 :: v_dual_lshlrev_b32 v17, 16, v3
	v_and_b32_e32 v3, 0xffff0000, v3
	v_pk_mul_bf16 v4, v23, v4
	v_pk_mul_bf16 v9, v22, v9
	v_dual_add_f32 v7, v15, v8 :: v_dual_add_f32 v2, v16, v2
	v_dual_add_f32 v3, v17, v3 :: v_dual_lshlrev_b32 v8, 16, v4
	v_and_b32_e32 v4, 0xffff0000, v4
	v_pk_mul_bf16 v5, v22, v5
	v_lshlrev_b32_e32 v11, 16, v13
	v_and_b32_e32 v13, 0xffff0000, v13
	v_dual_add_f32 v2, v3, v2 :: v_dual_lshlrev_b32 v15, 16, v9
	v_and_b32_e32 v9, 0xffff0000, v9
	v_dual_add_f32 v3, v8, v4 :: v_dual_lshlrev_b32 v4, 16, v5
	v_and_b32_e32 v5, 0xffff0000, v5
	v_dual_add_f32 v8, v11, v13 :: v_dual_add_f32 v40, v40, v18
	v_add_f32_e32 v6, v7, v6
	v_add_f32_e32 v7, v15, v9
	v_dual_add_f32 v2, v3, v2 :: v_dual_add_nc_u32 v60, 4, v60
	v_dual_add_f32 v3, v4, v5 :: v_dual_add_f32 v4, v14, v12
	v_add_f32_e32 v5, v8, v10
	v_add_nc_u64_e32 v[48:49], 16, v[48:49]
	s_delay_alu instid0(VALU_DEP_4) | instskip(NEXT) | instid1(VALU_DEP_4)
	v_cmp_le_i32_e64 s0, s22, v60
	v_dual_add_f32 v2, v3, v2 :: v_dual_add_nc_u32 v59, 0x100, v59
	v_add_f32_e32 v43, v43, v4
	v_dual_add_f32 v6, v7, v6 :: v_dual_add_f32 v42, v42, v5
	s_delay_alu instid0(VALU_DEP_3) | instskip(SKIP_2) | instid1(VALU_DEP_3)
	v_add_f32_e32 v44, v44, v2
	v_add_nc_u32_e32 v58, 64, v58
	s_or_b32 s11, s0, s11
	v_add_f32_e32 v45, v45, v6
	s_and_not1_b32 exec_lo, exec_lo, s11
	s_cbranch_execz .LBB140_60
.LBB140_43:                             ; =>This Inner Loop Header: Depth=1
	global_load_b32 v2, v[48:49], off
	v_cmp_eq_u32_e64 s0, s10, v60
	s_wait_loadcnt 0x0
	v_ashrrev_i32_e32 v3, 31, v2
	s_delay_alu instid0(VALU_DEP_1) | instskip(NEXT) | instid1(VALU_DEP_1)
	v_mul_u64_e32 v[2:3], s[2:3], v[2:3]
	v_lshl_add_u64 v[52:53], v[2:3], 1, s[4:5]
	s_delay_alu instid0(VALU_DEP_1)
	v_add_nc_u64_e32 v[34:35], v[52:53], v[50:51]
	global_load_b128 v[2:5], v[34:35], off
	ds_load_2addr_b64 v[22:25], v59 offset1:1
	ds_load_2addr_b64 v[18:21], v59 offset0:2 offset1:3
	s_wait_xcnt 0x0
	s_and_saveexec_b32 s13, s0
	s_cbranch_execnz .LBB140_54
; %bb.44:                               ;   in Loop: Header=BB140_43 Depth=1
	s_or_b32 exec_lo, exec_lo, s13
	global_load_b128 v[6:9], v[34:35], off offset:512
	s_wait_xcnt 0x0
	s_and_saveexec_b32 s13, s0
	s_cbranch_execnz .LBB140_55
.LBB140_45:                             ;   in Loop: Header=BB140_43 Depth=1
	s_or_b32 exec_lo, exec_lo, s13
	global_load_b128 v[10:13], v[34:35], off offset:1024
	s_wait_xcnt 0x0
	s_and_saveexec_b32 s13, s0
	s_cbranch_execnz .LBB140_56
.LBB140_46:                             ;   in Loop: Header=BB140_43 Depth=1
	s_or_b32 exec_lo, exec_lo, s13
	global_load_b128 v[14:17], v[34:35], off offset:1536
	s_wait_xcnt 0x0
	s_and_saveexec_b32 s13, s0
	s_cbranch_execnz .LBB140_57
.LBB140_47:                             ;   in Loop: Header=BB140_43 Depth=1
	s_or_b32 exec_lo, exec_lo, s13
	global_load_b128 v[26:29], v[34:35], off offset:2048
	s_wait_xcnt 0x0
	s_and_saveexec_b32 s13, s0
	s_cbranch_execnz .LBB140_58
.LBB140_48:                             ;   in Loop: Header=BB140_43 Depth=1
	s_or_b32 exec_lo, exec_lo, s13
	global_load_b128 v[30:33], v[34:35], off offset:2560
	s_wait_xcnt 0x0
	s_and_saveexec_b32 s13, s0
	s_cbranch_execnz .LBB140_59
.LBB140_49:                             ;   in Loop: Header=BB140_43 Depth=1
	s_or_b32 exec_lo, exec_lo, s13
	global_load_b128 v[34:37], v[34:35], off offset:3072
	s_wait_xcnt 0x0
	s_and_saveexec_b32 s13, s0
	s_cbranch_execz .LBB140_51
.LBB140_50:                             ;   in Loop: Header=BB140_43 Depth=1
	v_dual_add_nc_u32 v61, 1, v58 :: v_dual_bitop2_b32 v63, 2, v58 bitop3:0x54
	s_wait_loadcnt 0x0
	v_lshrrev_b32_e32 v62, 16, v34
	v_dual_lshrrev_b32 v67, 16, v37 :: v_dual_bitop2_b32 v66, 7, v58 bitop3:0x54
	s_delay_alu instid0(VALU_DEP_3) | instskip(NEXT) | instid1(VALU_DEP_1)
	v_cmp_gt_i32_e64 s1, s12, v61
	v_dual_lshrrev_b32 v64, 16, v35 :: v_dual_cndmask_b32 v61, 0, v62, s1
	v_cmp_gt_i32_e64 s1, s21, v58
	s_delay_alu instid0(VALU_DEP_1) | instskip(SKIP_2) | instid1(VALU_DEP_3)
	v_cndmask_b32_e64 v34, 0, v34, s1
	v_cmp_gt_i32_e64 s1, s21, v63
	v_or_b32_e32 v62, 3, v58
	v_perm_b32 v34, v61, v34, 0x5040100
	s_delay_alu instid0(VALU_DEP_3) | instskip(NEXT) | instid1(VALU_DEP_3)
	v_cndmask_b32_e64 v35, 0, v35, s1
	v_cmp_gt_i32_e64 s1, s12, v62
	s_delay_alu instid0(VALU_DEP_1) | instskip(NEXT) | instid1(VALU_DEP_1)
	v_dual_cndmask_b32 v62, 0, v64, s1 :: v_dual_bitop2_b32 v65, 4, v58 bitop3:0x54
	v_cmp_gt_i32_e64 s1, s21, v65
	v_or_b32_e32 v63, 5, v58
	v_or_b32_e32 v65, 6, v58
	s_delay_alu instid0(VALU_DEP_4) | instskip(NEXT) | instid1(VALU_DEP_4)
	v_perm_b32 v35, v62, v35, 0x5040100
	v_dual_cndmask_b32 v64, 0, v36, s1 :: v_dual_lshrrev_b32 v36, 16, v36
	s_delay_alu instid0(VALU_DEP_4) | instskip(NEXT) | instid1(VALU_DEP_1)
	v_cmp_gt_i32_e64 s1, s12, v63
	v_cndmask_b32_e64 v36, 0, v36, s1
	v_cmp_gt_i32_e64 s1, s21, v65
	s_delay_alu instid0(VALU_DEP_1) | instskip(SKIP_1) | instid1(VALU_DEP_4)
	v_cndmask_b32_e64 v37, 0, v37, s1
	v_cmp_gt_i32_e64 s1, s12, v66
	v_perm_b32 v36, v36, v64, 0x5040100
	s_delay_alu instid0(VALU_DEP_2) | instskip(NEXT) | instid1(VALU_DEP_1)
	v_cndmask_b32_e64 v63, 0, v67, s1
	v_perm_b32 v37, v63, v37, 0x5040100
.LBB140_51:                             ;   in Loop: Header=BB140_43 Depth=1
	s_or_b32 exec_lo, exec_lo, s13
	s_wait_dscnt 0x1
	v_cvt_pk_bf16_f32 v61, v22, v23
	v_cvt_pk_bf16_f32 v24, v24, v25
	s_wait_dscnt 0x0
	v_cvt_pk_bf16_f32 v23, v18, v19
	v_cvt_pk_bf16_f32 v22, v20, v21
	s_and_saveexec_b32 s1, vcc_lo
	s_cbranch_execz .LBB140_42
; %bb.52:                               ;   in Loop: Header=BB140_43 Depth=1
	v_add_nc_u64_e32 v[18:19], v[52:53], v[46:47]
	global_load_b128 v[18:21], v[18:19], off
	s_wait_xcnt 0x0
	s_and_saveexec_b32 s13, s0
	s_cbranch_execz .LBB140_41
; %bb.53:                               ;   in Loop: Header=BB140_43 Depth=1
	v_dual_add_nc_u32 v25, 1, v58 :: v_dual_bitop2_b32 v53, 2, v58 bitop3:0x54
	s_wait_loadcnt 0x0
	v_dual_lshrrev_b32 v52, 16, v18 :: v_dual_lshrrev_b32 v62, 16, v19
	v_or_b32_e32 v63, 4, v58
	s_delay_alu instid0(VALU_DEP_3) | instskip(SKIP_1) | instid1(VALU_DEP_2)
	v_cmp_gt_i32_e64 s0, s12, v25
	v_dual_lshrrev_b32 v65, 16, v21 :: v_dual_bitop2_b32 v64, 7, v58 bitop3:0x54
	v_dual_cndmask_b32 v25, 0, v52, s0 :: v_dual_bitop2_b32 v52, 3, v58 bitop3:0x54
	v_cmp_gt_i32_e64 s0, s21, v58
	s_delay_alu instid0(VALU_DEP_1) | instskip(SKIP_1) | instid1(VALU_DEP_2)
	v_cndmask_b32_e64 v18, 0, v18, s0
	v_cmp_gt_i32_e64 s0, s21, v53
	v_perm_b32 v18, v25, v18, 0x5040100
	s_delay_alu instid0(VALU_DEP_2) | instskip(SKIP_1) | instid1(VALU_DEP_1)
	v_cndmask_b32_e64 v19, 0, v19, s0
	v_cmp_gt_i32_e64 s0, s12, v52
	v_cndmask_b32_e64 v52, 0, v62, s0
	v_cmp_gt_i32_e64 s0, s21, v63
	v_or_b32_e32 v53, 5, v58
	v_or_b32_e32 v63, 6, v58
	s_delay_alu instid0(VALU_DEP_4) | instskip(NEXT) | instid1(VALU_DEP_4)
	v_perm_b32 v19, v52, v19, 0x5040100
	v_dual_cndmask_b32 v62, 0, v20, s0 :: v_dual_lshrrev_b32 v20, 16, v20
	s_delay_alu instid0(VALU_DEP_4) | instskip(NEXT) | instid1(VALU_DEP_1)
	v_cmp_gt_i32_e64 s0, s12, v53
	v_cndmask_b32_e64 v20, 0, v20, s0
	v_cmp_gt_i32_e64 s0, s21, v63
	s_delay_alu instid0(VALU_DEP_1) | instskip(SKIP_1) | instid1(VALU_DEP_4)
	v_cndmask_b32_e64 v21, 0, v21, s0
	v_cmp_gt_i32_e64 s0, s12, v64
	v_perm_b32 v20, v20, v62, 0x5040100
	s_delay_alu instid0(VALU_DEP_2) | instskip(NEXT) | instid1(VALU_DEP_1)
	v_cndmask_b32_e64 v53, 0, v65, s0
	v_perm_b32 v21, v53, v21, 0x5040100
	s_branch .LBB140_41
.LBB140_54:                             ;   in Loop: Header=BB140_43 Depth=1
	v_dual_add_nc_u32 v6, 1, v58 :: v_dual_bitop2_b32 v8, 2, v58 bitop3:0x54
	s_wait_loadcnt 0x0
	v_dual_lshrrev_b32 v7, 16, v2 :: v_dual_lshrrev_b32 v9, 16, v3
	v_or_b32_e32 v10, 4, v58
	s_delay_alu instid0(VALU_DEP_3) | instskip(SKIP_1) | instid1(VALU_DEP_2)
	v_cmp_gt_i32_e64 s1, s12, v6
	v_dual_lshrrev_b32 v12, 16, v5 :: v_dual_bitop2_b32 v11, 7, v58 bitop3:0x54
	v_dual_cndmask_b32 v6, 0, v7, s1 :: v_dual_bitop2_b32 v7, 3, v58 bitop3:0x54
	v_cmp_gt_i32_e64 s1, s21, v58
	s_delay_alu instid0(VALU_DEP_1) | instskip(SKIP_1) | instid1(VALU_DEP_2)
	v_cndmask_b32_e64 v2, 0, v2, s1
	v_cmp_gt_i32_e64 s1, s21, v8
	v_perm_b32 v2, v6, v2, 0x5040100
	s_delay_alu instid0(VALU_DEP_2) | instskip(SKIP_1) | instid1(VALU_DEP_1)
	v_cndmask_b32_e64 v3, 0, v3, s1
	v_cmp_gt_i32_e64 s1, s12, v7
	v_cndmask_b32_e64 v7, 0, v9, s1
	v_cmp_gt_i32_e64 s1, s21, v10
	v_or_b32_e32 v8, 5, v58
	v_or_b32_e32 v10, 6, v58
	s_delay_alu instid0(VALU_DEP_4) | instskip(NEXT) | instid1(VALU_DEP_4)
	v_perm_b32 v3, v7, v3, 0x5040100
	v_dual_cndmask_b32 v9, 0, v4, s1 :: v_dual_lshrrev_b32 v4, 16, v4
	s_delay_alu instid0(VALU_DEP_4) | instskip(NEXT) | instid1(VALU_DEP_1)
	v_cmp_gt_i32_e64 s1, s12, v8
	v_cndmask_b32_e64 v4, 0, v4, s1
	v_cmp_gt_i32_e64 s1, s21, v10
	s_delay_alu instid0(VALU_DEP_1) | instskip(SKIP_1) | instid1(VALU_DEP_4)
	v_cndmask_b32_e64 v5, 0, v5, s1
	v_cmp_gt_i32_e64 s1, s12, v11
	v_perm_b32 v4, v4, v9, 0x5040100
	s_delay_alu instid0(VALU_DEP_2) | instskip(NEXT) | instid1(VALU_DEP_1)
	v_cndmask_b32_e64 v8, 0, v12, s1
	v_perm_b32 v5, v8, v5, 0x5040100
	s_or_b32 exec_lo, exec_lo, s13
	global_load_b128 v[6:9], v[34:35], off offset:512
	s_wait_xcnt 0x0
	s_and_saveexec_b32 s13, s0
	s_cbranch_execz .LBB140_45
.LBB140_55:                             ;   in Loop: Header=BB140_43 Depth=1
	v_dual_add_nc_u32 v10, 1, v58 :: v_dual_bitop2_b32 v12, 2, v58 bitop3:0x54
	s_wait_loadcnt 0x0
	v_dual_lshrrev_b32 v11, 16, v6 :: v_dual_lshrrev_b32 v13, 16, v7
	v_or_b32_e32 v14, 4, v58
	s_delay_alu instid0(VALU_DEP_3) | instskip(SKIP_1) | instid1(VALU_DEP_2)
	v_cmp_gt_i32_e64 s1, s12, v10
	v_dual_lshrrev_b32 v16, 16, v9 :: v_dual_bitop2_b32 v15, 7, v58 bitop3:0x54
	v_dual_cndmask_b32 v10, 0, v11, s1 :: v_dual_bitop2_b32 v11, 3, v58 bitop3:0x54
	v_cmp_gt_i32_e64 s1, s21, v58
	s_delay_alu instid0(VALU_DEP_1) | instskip(SKIP_1) | instid1(VALU_DEP_2)
	v_cndmask_b32_e64 v6, 0, v6, s1
	v_cmp_gt_i32_e64 s1, s21, v12
	v_perm_b32 v6, v10, v6, 0x5040100
	s_delay_alu instid0(VALU_DEP_2) | instskip(SKIP_1) | instid1(VALU_DEP_1)
	v_cndmask_b32_e64 v7, 0, v7, s1
	v_cmp_gt_i32_e64 s1, s12, v11
	v_cndmask_b32_e64 v11, 0, v13, s1
	v_cmp_gt_i32_e64 s1, s21, v14
	v_or_b32_e32 v12, 5, v58
	v_or_b32_e32 v14, 6, v58
	s_delay_alu instid0(VALU_DEP_4) | instskip(NEXT) | instid1(VALU_DEP_4)
	v_perm_b32 v7, v11, v7, 0x5040100
	v_dual_cndmask_b32 v13, 0, v8, s1 :: v_dual_lshrrev_b32 v8, 16, v8
	s_delay_alu instid0(VALU_DEP_4) | instskip(NEXT) | instid1(VALU_DEP_1)
	v_cmp_gt_i32_e64 s1, s12, v12
	v_cndmask_b32_e64 v8, 0, v8, s1
	v_cmp_gt_i32_e64 s1, s21, v14
	s_delay_alu instid0(VALU_DEP_1) | instskip(SKIP_1) | instid1(VALU_DEP_4)
	v_cndmask_b32_e64 v9, 0, v9, s1
	v_cmp_gt_i32_e64 s1, s12, v15
	v_perm_b32 v8, v8, v13, 0x5040100
	s_delay_alu instid0(VALU_DEP_2) | instskip(NEXT) | instid1(VALU_DEP_1)
	v_cndmask_b32_e64 v12, 0, v16, s1
	v_perm_b32 v9, v12, v9, 0x5040100
	s_or_b32 exec_lo, exec_lo, s13
	global_load_b128 v[10:13], v[34:35], off offset:1024
	s_wait_xcnt 0x0
	s_and_saveexec_b32 s13, s0
	s_cbranch_execz .LBB140_46
.LBB140_56:                             ;   in Loop: Header=BB140_43 Depth=1
	v_dual_add_nc_u32 v14, 1, v58 :: v_dual_bitop2_b32 v16, 2, v58 bitop3:0x54
	s_wait_loadcnt 0x0
	v_dual_lshrrev_b32 v15, 16, v10 :: v_dual_lshrrev_b32 v17, 16, v11
	v_or_b32_e32 v26, 4, v58
	s_delay_alu instid0(VALU_DEP_3) | instskip(SKIP_1) | instid1(VALU_DEP_2)
	v_cmp_gt_i32_e64 s1, s12, v14
	v_dual_lshrrev_b32 v28, 16, v13 :: v_dual_bitop2_b32 v27, 7, v58 bitop3:0x54
	v_dual_cndmask_b32 v14, 0, v15, s1 :: v_dual_bitop2_b32 v15, 3, v58 bitop3:0x54
	v_cmp_gt_i32_e64 s1, s21, v58
	s_delay_alu instid0(VALU_DEP_1) | instskip(SKIP_1) | instid1(VALU_DEP_2)
	v_cndmask_b32_e64 v10, 0, v10, s1
	v_cmp_gt_i32_e64 s1, s21, v16
	v_perm_b32 v10, v14, v10, 0x5040100
	s_delay_alu instid0(VALU_DEP_2) | instskip(SKIP_1) | instid1(VALU_DEP_1)
	v_cndmask_b32_e64 v11, 0, v11, s1
	v_cmp_gt_i32_e64 s1, s12, v15
	v_cndmask_b32_e64 v15, 0, v17, s1
	v_cmp_gt_i32_e64 s1, s21, v26
	v_or_b32_e32 v16, 5, v58
	v_or_b32_e32 v26, 6, v58
	s_delay_alu instid0(VALU_DEP_4) | instskip(NEXT) | instid1(VALU_DEP_4)
	v_perm_b32 v11, v15, v11, 0x5040100
	v_dual_cndmask_b32 v17, 0, v12, s1 :: v_dual_lshrrev_b32 v12, 16, v12
	s_delay_alu instid0(VALU_DEP_4) | instskip(NEXT) | instid1(VALU_DEP_1)
	v_cmp_gt_i32_e64 s1, s12, v16
	v_cndmask_b32_e64 v12, 0, v12, s1
	v_cmp_gt_i32_e64 s1, s21, v26
	s_delay_alu instid0(VALU_DEP_1) | instskip(SKIP_1) | instid1(VALU_DEP_4)
	v_cndmask_b32_e64 v13, 0, v13, s1
	v_cmp_gt_i32_e64 s1, s12, v27
	v_perm_b32 v12, v12, v17, 0x5040100
	s_delay_alu instid0(VALU_DEP_2) | instskip(NEXT) | instid1(VALU_DEP_1)
	v_cndmask_b32_e64 v16, 0, v28, s1
	v_perm_b32 v13, v16, v13, 0x5040100
	s_or_b32 exec_lo, exec_lo, s13
	global_load_b128 v[14:17], v[34:35], off offset:1536
	s_wait_xcnt 0x0
	s_and_saveexec_b32 s13, s0
	s_cbranch_execz .LBB140_47
.LBB140_57:                             ;   in Loop: Header=BB140_43 Depth=1
	v_dual_add_nc_u32 v26, 1, v58 :: v_dual_bitop2_b32 v28, 2, v58 bitop3:0x54
	s_wait_loadcnt 0x0
	v_dual_lshrrev_b32 v27, 16, v14 :: v_dual_lshrrev_b32 v29, 16, v15
	v_or_b32_e32 v30, 4, v58
	s_delay_alu instid0(VALU_DEP_3) | instskip(SKIP_1) | instid1(VALU_DEP_2)
	v_cmp_gt_i32_e64 s1, s12, v26
	v_dual_lshrrev_b32 v32, 16, v17 :: v_dual_bitop2_b32 v31, 7, v58 bitop3:0x54
	v_dual_cndmask_b32 v26, 0, v27, s1 :: v_dual_bitop2_b32 v27, 3, v58 bitop3:0x54
	v_cmp_gt_i32_e64 s1, s21, v58
	s_delay_alu instid0(VALU_DEP_1) | instskip(SKIP_1) | instid1(VALU_DEP_2)
	v_cndmask_b32_e64 v14, 0, v14, s1
	v_cmp_gt_i32_e64 s1, s21, v28
	v_perm_b32 v14, v26, v14, 0x5040100
	s_delay_alu instid0(VALU_DEP_2) | instskip(SKIP_1) | instid1(VALU_DEP_1)
	v_cndmask_b32_e64 v15, 0, v15, s1
	v_cmp_gt_i32_e64 s1, s12, v27
	v_cndmask_b32_e64 v27, 0, v29, s1
	v_cmp_gt_i32_e64 s1, s21, v30
	v_or_b32_e32 v28, 5, v58
	v_or_b32_e32 v30, 6, v58
	s_delay_alu instid0(VALU_DEP_4) | instskip(NEXT) | instid1(VALU_DEP_4)
	v_perm_b32 v15, v27, v15, 0x5040100
	v_dual_cndmask_b32 v29, 0, v16, s1 :: v_dual_lshrrev_b32 v16, 16, v16
	s_delay_alu instid0(VALU_DEP_4) | instskip(NEXT) | instid1(VALU_DEP_1)
	v_cmp_gt_i32_e64 s1, s12, v28
	v_cndmask_b32_e64 v16, 0, v16, s1
	v_cmp_gt_i32_e64 s1, s21, v30
	s_delay_alu instid0(VALU_DEP_1) | instskip(SKIP_1) | instid1(VALU_DEP_4)
	v_cndmask_b32_e64 v17, 0, v17, s1
	v_cmp_gt_i32_e64 s1, s12, v31
	v_perm_b32 v16, v16, v29, 0x5040100
	s_delay_alu instid0(VALU_DEP_2) | instskip(NEXT) | instid1(VALU_DEP_1)
	v_cndmask_b32_e64 v28, 0, v32, s1
	v_perm_b32 v17, v28, v17, 0x5040100
	s_or_b32 exec_lo, exec_lo, s13
	global_load_b128 v[26:29], v[34:35], off offset:2048
	s_wait_xcnt 0x0
	s_and_saveexec_b32 s13, s0
	s_cbranch_execz .LBB140_48
.LBB140_58:                             ;   in Loop: Header=BB140_43 Depth=1
	v_dual_add_nc_u32 v30, 1, v58 :: v_dual_bitop2_b32 v32, 2, v58 bitop3:0x54
	s_wait_loadcnt 0x0
	v_dual_lshrrev_b32 v31, 16, v26 :: v_dual_lshrrev_b32 v33, 16, v27
	v_or_b32_e32 v36, 4, v58
	s_delay_alu instid0(VALU_DEP_3) | instskip(SKIP_1) | instid1(VALU_DEP_2)
	v_cmp_gt_i32_e64 s1, s12, v30
	v_dual_lshrrev_b32 v61, 16, v29 :: v_dual_bitop2_b32 v37, 7, v58 bitop3:0x54
	v_dual_cndmask_b32 v30, 0, v31, s1 :: v_dual_bitop2_b32 v31, 3, v58 bitop3:0x54
	v_cmp_gt_i32_e64 s1, s21, v58
	s_delay_alu instid0(VALU_DEP_1) | instskip(SKIP_1) | instid1(VALU_DEP_2)
	v_cndmask_b32_e64 v26, 0, v26, s1
	v_cmp_gt_i32_e64 s1, s21, v32
	v_perm_b32 v26, v30, v26, 0x5040100
	s_delay_alu instid0(VALU_DEP_2) | instskip(SKIP_1) | instid1(VALU_DEP_1)
	v_cndmask_b32_e64 v27, 0, v27, s1
	v_cmp_gt_i32_e64 s1, s12, v31
	v_cndmask_b32_e64 v31, 0, v33, s1
	v_cmp_gt_i32_e64 s1, s21, v36
	v_or_b32_e32 v32, 5, v58
	v_or_b32_e32 v36, 6, v58
	s_delay_alu instid0(VALU_DEP_4) | instskip(NEXT) | instid1(VALU_DEP_4)
	v_perm_b32 v27, v31, v27, 0x5040100
	v_dual_cndmask_b32 v33, 0, v28, s1 :: v_dual_lshrrev_b32 v28, 16, v28
	s_delay_alu instid0(VALU_DEP_4) | instskip(NEXT) | instid1(VALU_DEP_1)
	v_cmp_gt_i32_e64 s1, s12, v32
	v_cndmask_b32_e64 v28, 0, v28, s1
	v_cmp_gt_i32_e64 s1, s21, v36
	s_delay_alu instid0(VALU_DEP_1) | instskip(SKIP_1) | instid1(VALU_DEP_4)
	v_cndmask_b32_e64 v29, 0, v29, s1
	v_cmp_gt_i32_e64 s1, s12, v37
	v_perm_b32 v28, v28, v33, 0x5040100
	s_delay_alu instid0(VALU_DEP_2) | instskip(NEXT) | instid1(VALU_DEP_1)
	v_cndmask_b32_e64 v32, 0, v61, s1
	v_perm_b32 v29, v32, v29, 0x5040100
	s_or_b32 exec_lo, exec_lo, s13
	global_load_b128 v[30:33], v[34:35], off offset:2560
	s_wait_xcnt 0x0
	s_and_saveexec_b32 s13, s0
	s_cbranch_execz .LBB140_49
.LBB140_59:                             ;   in Loop: Header=BB140_43 Depth=1
	v_dual_add_nc_u32 v36, 1, v58 :: v_dual_bitop2_b32 v61, 2, v58 bitop3:0x54
	s_wait_loadcnt 0x0
	v_dual_lshrrev_b32 v37, 16, v30 :: v_dual_lshrrev_b32 v62, 16, v31
	v_or_b32_e32 v63, 4, v58
	s_delay_alu instid0(VALU_DEP_3) | instskip(SKIP_1) | instid1(VALU_DEP_2)
	v_cmp_gt_i32_e64 s1, s12, v36
	v_dual_lshrrev_b32 v65, 16, v33 :: v_dual_bitop2_b32 v64, 7, v58 bitop3:0x54
	v_dual_cndmask_b32 v36, 0, v37, s1 :: v_dual_bitop2_b32 v37, 3, v58 bitop3:0x54
	v_cmp_gt_i32_e64 s1, s21, v58
	s_delay_alu instid0(VALU_DEP_1) | instskip(SKIP_1) | instid1(VALU_DEP_2)
	v_cndmask_b32_e64 v30, 0, v30, s1
	v_cmp_gt_i32_e64 s1, s21, v61
	v_perm_b32 v30, v36, v30, 0x5040100
	s_delay_alu instid0(VALU_DEP_2) | instskip(SKIP_1) | instid1(VALU_DEP_1)
	v_cndmask_b32_e64 v31, 0, v31, s1
	v_cmp_gt_i32_e64 s1, s12, v37
	v_cndmask_b32_e64 v37, 0, v62, s1
	v_cmp_gt_i32_e64 s1, s21, v63
	v_or_b32_e32 v61, 5, v58
	v_or_b32_e32 v63, 6, v58
	s_delay_alu instid0(VALU_DEP_4) | instskip(NEXT) | instid1(VALU_DEP_4)
	v_perm_b32 v31, v37, v31, 0x5040100
	v_dual_cndmask_b32 v62, 0, v32, s1 :: v_dual_lshrrev_b32 v32, 16, v32
	s_delay_alu instid0(VALU_DEP_4) | instskip(NEXT) | instid1(VALU_DEP_1)
	v_cmp_gt_i32_e64 s1, s12, v61
	v_cndmask_b32_e64 v32, 0, v32, s1
	v_cmp_gt_i32_e64 s1, s21, v63
	s_delay_alu instid0(VALU_DEP_1) | instskip(SKIP_1) | instid1(VALU_DEP_4)
	v_cndmask_b32_e64 v33, 0, v33, s1
	v_cmp_gt_i32_e64 s1, s12, v64
	v_perm_b32 v32, v32, v62, 0x5040100
	s_delay_alu instid0(VALU_DEP_2) | instskip(NEXT) | instid1(VALU_DEP_1)
	v_cndmask_b32_e64 v61, 0, v65, s1
	v_perm_b32 v33, v61, v33, 0x5040100
	s_or_b32 exec_lo, exec_lo, s13
	global_load_b128 v[34:37], v[34:35], off offset:3072
	s_wait_xcnt 0x0
	s_and_saveexec_b32 s13, s0
	s_cbranch_execnz .LBB140_50
	s_branch .LBB140_51
.LBB140_60:
	s_or_b32 exec_lo, exec_lo, s11
.LBB140_61:
	s_delay_alu instid0(SALU_CYCLE_1)
	s_or_b32 exec_lo, exec_lo, s23
	ds_bpermute_b32 v2, v57, v44
	ds_bpermute_b32 v3, v57, v45
	;; [unrolled: 1-line block ×8, first 2 shown]
	s_movk_i32 s0, 0x1e0
	v_and_b32_e32 v11, 0x3c0, v0
	v_mad_u32_u24 v10, v55, s0, 0x110
	s_mov_b32 s1, exec_lo
	v_cmp_eq_u32_e32 vcc_lo, 0, v54
	s_wait_dscnt 0x0
	s_barrier_signal -1
	s_barrier_wait -1
	v_pk_add_f32 v[8:9], v[44:45], v[2:3]
	v_pk_add_f32 v[6:7], v[42:43], v[4:5]
	;; [unrolled: 1-line block ×4, first 2 shown]
	v_cmpx_eq_u32_e32 64, v11
	s_cbranch_execz .LBB140_66
; %bb.62:
	v_add_nc_u32_e32 v11, 0xfffffc40, v10
	s_and_saveexec_b32 s0, vcc_lo
	s_cbranch_execz .LBB140_64
; %bb.63:
	s_delay_alu instid0(VALU_DEP_1)
	v_lshl_add_u32 v12, v56, 2, v11
	ds_store_2addr_b32 v12, v8, v9 offset1:16
	ds_store_2addr_b32 v12, v6, v7 offset0:32 offset1:48
	ds_store_2addr_b32 v12, v4, v5 offset0:64 offset1:80
	ds_store_b32 v12, v2 offset:384
.LBB140_64:
	s_or_b32 exec_lo, exec_lo, s0
	v_or_b32_e32 v12, 0x70, v56
	s_delay_alu instid0(VALU_DEP_1) | instskip(SKIP_1) | instid1(SALU_CYCLE_1)
	v_cmp_gt_u32_e64 s0, 0x78, v12
	s_and_b32 s0, vcc_lo, s0
	s_and_b32 exec_lo, exec_lo, s0
; %bb.65:
	v_lshl_add_u32 v11, v12, 2, v11
	ds_store_b32 v11, v3
.LBB140_66:
	s_or_b32 exec_lo, exec_lo, s1
	s_delay_alu instid0(SALU_CYCLE_1)
	s_mov_b32 s1, exec_lo
	s_wait_dscnt 0x0
	s_barrier_signal -1
	s_barrier_wait -1
	v_cmpx_gt_u32_e32 64, v0
	s_cbranch_execz .LBB140_78
; %bb.67:
	s_and_saveexec_b32 s0, vcc_lo
	s_cbranch_execnz .LBB140_113
; %bb.68:
	s_or_b32 exec_lo, exec_lo, s0
	s_and_saveexec_b32 s0, vcc_lo
	s_cbranch_execnz .LBB140_114
.LBB140_69:
	s_or_b32 exec_lo, exec_lo, s0
	s_and_saveexec_b32 s0, vcc_lo
	s_cbranch_execnz .LBB140_115
.LBB140_70:
	s_or_b32 exec_lo, exec_lo, s0
	s_and_saveexec_b32 s0, vcc_lo
	s_cbranch_execnz .LBB140_116
.LBB140_71:
	s_or_b32 exec_lo, exec_lo, s0
	s_and_saveexec_b32 s0, vcc_lo
	s_cbranch_execnz .LBB140_117
.LBB140_72:
	s_or_b32 exec_lo, exec_lo, s0
	s_and_saveexec_b32 s0, vcc_lo
	s_cbranch_execnz .LBB140_118
.LBB140_73:
	s_or_b32 exec_lo, exec_lo, s0
	s_and_saveexec_b32 s0, vcc_lo
	s_cbranch_execz .LBB140_75
.LBB140_74:
	v_lshl_add_u32 v11, v56, 2, v10
	ds_load_b32 v11, v11 offset:384
	s_wait_dscnt 0x0
	v_add_f32_e32 v2, v2, v11
.LBB140_75:
	s_or_b32 exec_lo, exec_lo, s0
	v_or_b32_e32 v11, 0x70, v56
	s_delay_alu instid0(VALU_DEP_1) | instskip(SKIP_1) | instid1(SALU_CYCLE_1)
	v_cmp_gt_u32_e64 s0, 0x78, v11
	s_and_b32 s2, vcc_lo, s0
	s_and_saveexec_b32 s0, s2
	s_cbranch_execz .LBB140_77
; %bb.76:
	v_lshl_add_u32 v11, v56, 2, v10
	ds_load_b32 v11, v11 offset:448
	s_wait_dscnt 0x0
	v_add_f32_e32 v3, v3, v11
.LBB140_77:
	s_or_b32 exec_lo, exec_lo, s0
.LBB140_78:
	s_delay_alu instid0(SALU_CYCLE_1) | instskip(SKIP_4) | instid1(VALU_DEP_1)
	s_or_b32 exec_lo, exec_lo, s1
	v_and_b32_e32 v11, 0x3e0, v0
	s_mov_b32 s1, exec_lo
	s_barrier_signal -1
	s_barrier_wait -1
	v_cmpx_eq_u32_e32 32, v11
	s_cbranch_execz .LBB140_83
; %bb.79:
	v_lshl_add_u32 v11, v56, 2, 0x110
	s_and_saveexec_b32 s0, vcc_lo
	s_cbranch_execz .LBB140_81
; %bb.80:
	ds_store_2addr_b32 v11, v8, v9 offset1:16
	ds_store_2addr_b32 v11, v6, v7 offset0:32 offset1:48
	ds_store_2addr_b32 v11, v4, v5 offset0:64 offset1:80
	ds_store_b32 v11, v2 offset:384
.LBB140_81:
	s_or_b32 exec_lo, exec_lo, s0
	v_or_b32_e32 v12, 0x70, v56
	s_delay_alu instid0(VALU_DEP_1) | instskip(SKIP_1) | instid1(SALU_CYCLE_1)
	v_cmp_gt_u32_e64 s0, 0x78, v12
	s_and_b32 s0, vcc_lo, s0
	s_and_b32 exec_lo, exec_lo, s0
; %bb.82:
	ds_store_b32 v11, v3 offset:448
.LBB140_83:
	s_or_b32 exec_lo, exec_lo, s1
	v_cmp_gt_u32_e64 s0, 32, v0
	s_wait_dscnt 0x0
	s_barrier_signal -1
	s_barrier_wait -1
	s_and_saveexec_b32 s2, s0
	s_cbranch_execz .LBB140_95
; %bb.84:
	v_lshl_add_u32 v0, v56, 2, v10
	s_and_saveexec_b32 s1, vcc_lo
	s_cbranch_execnz .LBB140_119
; %bb.85:
	s_or_b32 exec_lo, exec_lo, s1
	s_and_saveexec_b32 s1, vcc_lo
	s_cbranch_execnz .LBB140_120
.LBB140_86:
	s_or_b32 exec_lo, exec_lo, s1
	s_and_saveexec_b32 s1, vcc_lo
	s_cbranch_execnz .LBB140_121
.LBB140_87:
	s_or_b32 exec_lo, exec_lo, s1
	s_and_saveexec_b32 s1, vcc_lo
	s_cbranch_execnz .LBB140_122
.LBB140_88:
	s_or_b32 exec_lo, exec_lo, s1
	s_and_saveexec_b32 s1, vcc_lo
	s_cbranch_execnz .LBB140_123
.LBB140_89:
	s_or_b32 exec_lo, exec_lo, s1
	s_and_saveexec_b32 s1, vcc_lo
	s_cbranch_execnz .LBB140_124
.LBB140_90:
	s_or_b32 exec_lo, exec_lo, s1
	s_and_saveexec_b32 s1, vcc_lo
	s_cbranch_execz .LBB140_92
.LBB140_91:
	ds_load_b32 v10, v0 offset:384
	s_wait_dscnt 0x0
	v_add_f32_e32 v2, v2, v10
.LBB140_92:
	s_or_b32 exec_lo, exec_lo, s1
	v_or_b32_e32 v10, 0x70, v56
	s_delay_alu instid0(VALU_DEP_1) | instskip(SKIP_1) | instid1(SALU_CYCLE_1)
	v_cmp_gt_u32_e64 s1, 0x78, v10
	s_and_b32 s3, vcc_lo, s1
	s_and_saveexec_b32 s1, s3
	s_cbranch_execz .LBB140_94
; %bb.93:
	ds_load_b32 v0, v0 offset:448
	s_wait_dscnt 0x0
	v_add_f32_e32 v3, v3, v0
.LBB140_94:
	s_or_b32 exec_lo, exec_lo, s1
.LBB140_95:
	s_delay_alu instid0(SALU_CYCLE_1)
	s_or_b32 exec_lo, exec_lo, s2
	s_barrier_signal -1
	s_barrier_wait -1
	s_and_saveexec_b32 s1, s0
	s_cbranch_execz .LBB140_112
; %bb.96:
	s_wait_kmcnt 0x0
	s_mul_i32 s1, s20, s9
	s_bfe_u32 s5, ttmp6, 0x40014
	s_mul_i32 s1, s1, s19
	s_mul_i32 s0, s9, s8
	;; [unrolled: 1-line block ×3, first 2 shown]
	s_lshr_b32 s4, ttmp7, 16
	s_ashr_i32 s3, s2, 31
	s_add_co_i32 s5, s5, 1
	s_lshl_b64 s[2:3], s[2:3], 1
	s_ashr_i32 s1, s0, 31
	s_add_nc_u64 s[2:3], s[6:7], s[2:3]
	s_mul_i32 s5, s4, s5
	s_bfe_u32 s6, ttmp6, 0x40008
	s_lshl_b64 s[0:1], s[0:1], 1
	s_add_co_i32 s6, s6, s5
	s_cmp_eq_u32 s18, 0
	s_add_nc_u64 s[0:1], s[2:3], s[0:1]
	s_cselect_b32 s2, s4, s6
	s_mov_b32 s3, 0
	s_mulk_i32 s2, 0xf0
	s_delay_alu instid0(SALU_CYCLE_1)
	s_add_nc_u64 s[2:3], s[0:1], s[2:3]
	s_and_saveexec_b32 s0, vcc_lo
	s_cbranch_execz .LBB140_98
; %bb.97:
	v_cvt_pk_bf16_f32 v0, v8, s0
	global_store_b16 v1, v0, s[2:3] scale_offset
.LBB140_98:
	s_wait_xcnt 0x0
	s_or_b32 exec_lo, exec_lo, s0
	v_or_b32_e32 v0, 16, v1
	s_delay_alu instid0(VALU_DEP_1) | instskip(SKIP_1) | instid1(SALU_CYCLE_1)
	v_cmp_gt_u32_e64 s0, 0x78, v0
	s_and_b32 s1, vcc_lo, s0
	s_and_saveexec_b32 s0, s1
	s_cbranch_execz .LBB140_100
; %bb.99:
	v_cvt_pk_bf16_f32 v0, v9, s0
	global_store_b16 v1, v0, s[2:3] offset:32 scale_offset
.LBB140_100:
	s_wait_xcnt 0x0
	s_or_b32 exec_lo, exec_lo, s0
	v_or_b32_e32 v0, 32, v1
	s_delay_alu instid0(VALU_DEP_1) | instskip(SKIP_1) | instid1(SALU_CYCLE_1)
	v_cmp_gt_u32_e64 s0, 0x78, v0
	s_and_b32 s1, vcc_lo, s0
	s_and_saveexec_b32 s0, s1
	s_cbranch_execz .LBB140_102
; %bb.101:
	v_cvt_pk_bf16_f32 v0, v6, s0
	global_store_b16 v1, v0, s[2:3] offset:64 scale_offset
.LBB140_102:
	;; [unrolled: 12-line block ×6, first 2 shown]
	s_wait_xcnt 0x0
	s_or_b32 exec_lo, exec_lo, s0
	v_or_b32_e32 v0, 0x70, v1
	s_delay_alu instid0(VALU_DEP_1) | instskip(SKIP_1) | instid1(SALU_CYCLE_1)
	v_cmp_gt_u32_e64 s0, 0x78, v0
	s_and_b32 s0, vcc_lo, s0
	s_and_b32 exec_lo, exec_lo, s0
	s_cbranch_execz .LBB140_112
; %bb.111:
	v_cvt_pk_bf16_f32 v0, v3, s0
	global_store_b16 v1, v0, s[2:3] offset:224 scale_offset
.LBB140_112:
	s_sendmsg sendmsg(MSG_DEALLOC_VGPRS)
	s_endpgm
.LBB140_113:
	v_lshl_add_u32 v11, v56, 2, v10
	ds_load_b32 v11, v11
	s_wait_dscnt 0x0
	v_add_f32_e32 v8, v8, v11
	s_or_b32 exec_lo, exec_lo, s0
	s_and_saveexec_b32 s0, vcc_lo
	s_cbranch_execz .LBB140_69
.LBB140_114:
	v_lshl_add_u32 v11, v56, 2, v10
	ds_load_b32 v11, v11 offset:64
	s_wait_dscnt 0x0
	v_add_f32_e32 v9, v9, v11
	s_or_b32 exec_lo, exec_lo, s0
	s_and_saveexec_b32 s0, vcc_lo
	s_cbranch_execz .LBB140_70
.LBB140_115:
	v_lshl_add_u32 v11, v56, 2, v10
	ds_load_b32 v11, v11 offset:128
	s_wait_dscnt 0x0
	v_add_f32_e32 v6, v6, v11
	s_or_b32 exec_lo, exec_lo, s0
	s_and_saveexec_b32 s0, vcc_lo
	s_cbranch_execz .LBB140_71
.LBB140_116:
	v_lshl_add_u32 v11, v56, 2, v10
	ds_load_b32 v11, v11 offset:192
	s_wait_dscnt 0x0
	v_add_f32_e32 v7, v7, v11
	s_or_b32 exec_lo, exec_lo, s0
	s_and_saveexec_b32 s0, vcc_lo
	s_cbranch_execz .LBB140_72
.LBB140_117:
	v_lshl_add_u32 v11, v56, 2, v10
	ds_load_b32 v11, v11 offset:256
	s_wait_dscnt 0x0
	v_add_f32_e32 v4, v4, v11
	s_or_b32 exec_lo, exec_lo, s0
	s_and_saveexec_b32 s0, vcc_lo
	s_cbranch_execz .LBB140_73
.LBB140_118:
	v_lshl_add_u32 v11, v56, 2, v10
	ds_load_b32 v11, v11 offset:320
	s_wait_dscnt 0x0
	v_add_f32_e32 v5, v5, v11
	s_or_b32 exec_lo, exec_lo, s0
	s_and_saveexec_b32 s0, vcc_lo
	s_cbranch_execnz .LBB140_74
	s_branch .LBB140_75
.LBB140_119:
	ds_load_b32 v10, v0
	s_wait_dscnt 0x0
	v_add_f32_e32 v8, v8, v10
	s_or_b32 exec_lo, exec_lo, s1
	s_and_saveexec_b32 s1, vcc_lo
	s_cbranch_execz .LBB140_86
.LBB140_120:
	ds_load_b32 v10, v0 offset:64
	s_wait_dscnt 0x0
	v_add_f32_e32 v9, v9, v10
	s_or_b32 exec_lo, exec_lo, s1
	s_and_saveexec_b32 s1, vcc_lo
	s_cbranch_execz .LBB140_87
.LBB140_121:
	ds_load_b32 v10, v0 offset:128
	s_wait_dscnt 0x0
	v_add_f32_e32 v6, v6, v10
	s_or_b32 exec_lo, exec_lo, s1
	s_and_saveexec_b32 s1, vcc_lo
	s_cbranch_execz .LBB140_88
.LBB140_122:
	ds_load_b32 v10, v0 offset:192
	s_wait_dscnt 0x0
	v_add_f32_e32 v7, v7, v10
	s_or_b32 exec_lo, exec_lo, s1
	s_and_saveexec_b32 s1, vcc_lo
	s_cbranch_execz .LBB140_89
.LBB140_123:
	ds_load_b32 v10, v0 offset:256
	s_wait_dscnt 0x0
	v_add_f32_e32 v4, v4, v10
	s_or_b32 exec_lo, exec_lo, s1
	s_and_saveexec_b32 s1, vcc_lo
	s_cbranch_execz .LBB140_90
.LBB140_124:
	ds_load_b32 v10, v0 offset:320
	s_wait_dscnt 0x0
	v_add_f32_e32 v5, v5, v10
	s_or_b32 exec_lo, exec_lo, s1
	s_and_saveexec_b32 s1, vcc_lo
	s_cbranch_execnz .LBB140_91
	s_branch .LBB140_92
	.section	.rodata,"a",@progbits
	.p2align	6, 0x0
	.amdhsa_kernel _ZN4vllm25paged_attention_v1_kernelI14__hip_bfloat16S1_Li120ELi16ELi128ELNS_18Fp8KVCacheDataTypeE0ELb0EEEvPT_PKS3_PKT0_S9_ifPKiSB_iPKfiiiSD_SD_iiiii
		.amdhsa_group_segment_fixed_size 272
		.amdhsa_private_segment_fixed_size 0
		.amdhsa_kernarg_size 384
		.amdhsa_user_sgpr_count 2
		.amdhsa_user_sgpr_dispatch_ptr 0
		.amdhsa_user_sgpr_queue_ptr 0
		.amdhsa_user_sgpr_kernarg_segment_ptr 1
		.amdhsa_user_sgpr_dispatch_id 0
		.amdhsa_user_sgpr_kernarg_preload_length 0
		.amdhsa_user_sgpr_kernarg_preload_offset 0
		.amdhsa_user_sgpr_private_segment_size 0
		.amdhsa_wavefront_size32 1
		.amdhsa_uses_dynamic_stack 0
		.amdhsa_enable_private_segment 0
		.amdhsa_system_sgpr_workgroup_id_x 1
		.amdhsa_system_sgpr_workgroup_id_y 1
		.amdhsa_system_sgpr_workgroup_id_z 1
		.amdhsa_system_sgpr_workgroup_info 0
		.amdhsa_system_vgpr_workitem_id 0
		.amdhsa_next_free_vgpr 104
		.amdhsa_next_free_sgpr 28
		.amdhsa_named_barrier_count 0
		.amdhsa_reserve_vcc 1
		.amdhsa_float_round_mode_32 0
		.amdhsa_float_round_mode_16_64 0
		.amdhsa_float_denorm_mode_32 3
		.amdhsa_float_denorm_mode_16_64 3
		.amdhsa_fp16_overflow 0
		.amdhsa_memory_ordered 1
		.amdhsa_forward_progress 1
		.amdhsa_inst_pref_size 75
		.amdhsa_round_robin_scheduling 0
		.amdhsa_exception_fp_ieee_invalid_op 0
		.amdhsa_exception_fp_denorm_src 0
		.amdhsa_exception_fp_ieee_div_zero 0
		.amdhsa_exception_fp_ieee_overflow 0
		.amdhsa_exception_fp_ieee_underflow 0
		.amdhsa_exception_fp_ieee_inexact 0
		.amdhsa_exception_int_div_zero 0
	.end_amdhsa_kernel
	.section	.text._ZN4vllm25paged_attention_v1_kernelI14__hip_bfloat16S1_Li120ELi16ELi128ELNS_18Fp8KVCacheDataTypeE0ELb0EEEvPT_PKS3_PKT0_S9_ifPKiSB_iPKfiiiSD_SD_iiiii,"axG",@progbits,_ZN4vllm25paged_attention_v1_kernelI14__hip_bfloat16S1_Li120ELi16ELi128ELNS_18Fp8KVCacheDataTypeE0ELb0EEEvPT_PKS3_PKT0_S9_ifPKiSB_iPKfiiiSD_SD_iiiii,comdat
.Lfunc_end140:
	.size	_ZN4vllm25paged_attention_v1_kernelI14__hip_bfloat16S1_Li120ELi16ELi128ELNS_18Fp8KVCacheDataTypeE0ELb0EEEvPT_PKS3_PKT0_S9_ifPKiSB_iPKfiiiSD_SD_iiiii, .Lfunc_end140-_ZN4vllm25paged_attention_v1_kernelI14__hip_bfloat16S1_Li120ELi16ELi128ELNS_18Fp8KVCacheDataTypeE0ELb0EEEvPT_PKS3_PKT0_S9_ifPKiSB_iPKfiiiSD_SD_iiiii
                                        ; -- End function
	.set _ZN4vllm25paged_attention_v1_kernelI14__hip_bfloat16S1_Li120ELi16ELi128ELNS_18Fp8KVCacheDataTypeE0ELb0EEEvPT_PKS3_PKT0_S9_ifPKiSB_iPKfiiiSD_SD_iiiii.num_vgpr, 104
	.set _ZN4vllm25paged_attention_v1_kernelI14__hip_bfloat16S1_Li120ELi16ELi128ELNS_18Fp8KVCacheDataTypeE0ELb0EEEvPT_PKS3_PKT0_S9_ifPKiSB_iPKfiiiSD_SD_iiiii.num_agpr, 0
	.set _ZN4vllm25paged_attention_v1_kernelI14__hip_bfloat16S1_Li120ELi16ELi128ELNS_18Fp8KVCacheDataTypeE0ELb0EEEvPT_PKS3_PKT0_S9_ifPKiSB_iPKfiiiSD_SD_iiiii.numbered_sgpr, 28
	.set _ZN4vllm25paged_attention_v1_kernelI14__hip_bfloat16S1_Li120ELi16ELi128ELNS_18Fp8KVCacheDataTypeE0ELb0EEEvPT_PKS3_PKT0_S9_ifPKiSB_iPKfiiiSD_SD_iiiii.num_named_barrier, 0
	.set _ZN4vllm25paged_attention_v1_kernelI14__hip_bfloat16S1_Li120ELi16ELi128ELNS_18Fp8KVCacheDataTypeE0ELb0EEEvPT_PKS3_PKT0_S9_ifPKiSB_iPKfiiiSD_SD_iiiii.private_seg_size, 0
	.set _ZN4vllm25paged_attention_v1_kernelI14__hip_bfloat16S1_Li120ELi16ELi128ELNS_18Fp8KVCacheDataTypeE0ELb0EEEvPT_PKS3_PKT0_S9_ifPKiSB_iPKfiiiSD_SD_iiiii.uses_vcc, 1
	.set _ZN4vllm25paged_attention_v1_kernelI14__hip_bfloat16S1_Li120ELi16ELi128ELNS_18Fp8KVCacheDataTypeE0ELb0EEEvPT_PKS3_PKT0_S9_ifPKiSB_iPKfiiiSD_SD_iiiii.uses_flat_scratch, 0
	.set _ZN4vllm25paged_attention_v1_kernelI14__hip_bfloat16S1_Li120ELi16ELi128ELNS_18Fp8KVCacheDataTypeE0ELb0EEEvPT_PKS3_PKT0_S9_ifPKiSB_iPKfiiiSD_SD_iiiii.has_dyn_sized_stack, 0
	.set _ZN4vllm25paged_attention_v1_kernelI14__hip_bfloat16S1_Li120ELi16ELi128ELNS_18Fp8KVCacheDataTypeE0ELb0EEEvPT_PKS3_PKT0_S9_ifPKiSB_iPKfiiiSD_SD_iiiii.has_recursion, 0
	.set _ZN4vllm25paged_attention_v1_kernelI14__hip_bfloat16S1_Li120ELi16ELi128ELNS_18Fp8KVCacheDataTypeE0ELb0EEEvPT_PKS3_PKT0_S9_ifPKiSB_iPKfiiiSD_SD_iiiii.has_indirect_call, 0
	.section	.AMDGPU.csdata,"",@progbits
; Kernel info:
; codeLenInByte = 9576
; TotalNumSgprs: 30
; NumVgprs: 104
; ScratchSize: 0
; MemoryBound: 0
; FloatMode: 240
; IeeeMode: 1
; LDSByteSize: 272 bytes/workgroup (compile time only)
; SGPRBlocks: 0
; VGPRBlocks: 6
; NumSGPRsForWavesPerEU: 30
; NumVGPRsForWavesPerEU: 104
; NamedBarCnt: 0
; Occupancy: 9
; WaveLimiterHint : 1
; COMPUTE_PGM_RSRC2:SCRATCH_EN: 0
; COMPUTE_PGM_RSRC2:USER_SGPR: 2
; COMPUTE_PGM_RSRC2:TRAP_HANDLER: 0
; COMPUTE_PGM_RSRC2:TGID_X_EN: 1
; COMPUTE_PGM_RSRC2:TGID_Y_EN: 1
; COMPUTE_PGM_RSRC2:TGID_Z_EN: 1
; COMPUTE_PGM_RSRC2:TIDIG_COMP_CNT: 0
	.section	.text._ZN4vllm25paged_attention_v1_kernelI14__hip_bfloat16S1_Li128ELi16ELi128ELNS_18Fp8KVCacheDataTypeE0ELb0EEEvPT_PKS3_PKT0_S9_ifPKiSB_iPKfiiiSD_SD_iiiii,"axG",@progbits,_ZN4vllm25paged_attention_v1_kernelI14__hip_bfloat16S1_Li128ELi16ELi128ELNS_18Fp8KVCacheDataTypeE0ELb0EEEvPT_PKS3_PKT0_S9_ifPKiSB_iPKfiiiSD_SD_iiiii,comdat
	.protected	_ZN4vllm25paged_attention_v1_kernelI14__hip_bfloat16S1_Li128ELi16ELi128ELNS_18Fp8KVCacheDataTypeE0ELb0EEEvPT_PKS3_PKT0_S9_ifPKiSB_iPKfiiiSD_SD_iiiii ; -- Begin function _ZN4vllm25paged_attention_v1_kernelI14__hip_bfloat16S1_Li128ELi16ELi128ELNS_18Fp8KVCacheDataTypeE0ELb0EEEvPT_PKS3_PKT0_S9_ifPKiSB_iPKfiiiSD_SD_iiiii
	.globl	_ZN4vllm25paged_attention_v1_kernelI14__hip_bfloat16S1_Li128ELi16ELi128ELNS_18Fp8KVCacheDataTypeE0ELb0EEEvPT_PKS3_PKT0_S9_ifPKiSB_iPKfiiiSD_SD_iiiii
	.p2align	8
	.type	_ZN4vllm25paged_attention_v1_kernelI14__hip_bfloat16S1_Li128ELi16ELi128ELNS_18Fp8KVCacheDataTypeE0ELb0EEEvPT_PKS3_PKT0_S9_ifPKiSB_iPKfiiiSD_SD_iiiii,@function
_ZN4vllm25paged_attention_v1_kernelI14__hip_bfloat16S1_Li128ELi16ELi128ELNS_18Fp8KVCacheDataTypeE0ELb0EEEvPT_PKS3_PKT0_S9_ifPKiSB_iPKfiiiSD_SD_iiiii: ; @_ZN4vllm25paged_attention_v1_kernelI14__hip_bfloat16S1_Li128ELi16ELi128ELNS_18Fp8KVCacheDataTypeE0ELb0EEEvPT_PKS3_PKT0_S9_ifPKiSB_iPKfiiiSD_SD_iiiii
; %bb.0:
	s_load_b64 s[10:11], s[0:1], 0x20
	s_bfe_u32 s3, ttmp6, 0x4000c
	s_bfe_u32 s5, ttmp6, 0x40010
	s_and_b32 s4, ttmp7, 0xffff
	s_add_co_i32 s3, s3, 1
	s_add_co_i32 s5, s5, 1
	s_and_b32 s2, ttmp6, 15
	s_bfe_u32 s6, ttmp6, 0x40004
	s_mul_i32 s3, ttmp9, s3
	s_mul_i32 s5, s4, s5
	s_getreg_b32 s20, hwreg(HW_REG_IB_STS2, 6, 4)
	s_add_co_i32 s7, s2, s3
	s_add_co_i32 s6, s6, s5
	s_cmp_eq_u32 s20, 0
	s_clause 0x1
	s_load_b32 s21, s[0:1], 0x80
	s_load_b64 s[2:3], s[0:1], 0x30
	s_cselect_b32 s22, s4, s6
	s_cselect_b32 s6, ttmp9, s7
	s_wait_kmcnt 0x0
	s_abs_i32 s4, s10
	s_delay_alu instid0(SALU_CYCLE_1) | instskip(SKIP_1) | instid1(SALU_CYCLE_2)
	s_cvt_f32_u32 s5, s4
	s_sub_co_i32 s7, 0, s4
	v_rcp_iflag_f32_e32 v1, s5
	s_abs_i32 s8, s21
	v_nop
	s_delay_alu instid0(TRANS32_DEP_1) | instskip(SKIP_1) | instid1(SALU_CYCLE_3)
	v_readfirstlane_b32 s5, v1
	s_mul_f32 s5, s5, 0x4f7ffffe
	s_cvt_u32_f32 s5, s5
	s_delay_alu instid0(SALU_CYCLE_3) | instskip(NEXT) | instid1(SALU_CYCLE_1)
	s_mul_i32 s7, s7, s5
	s_mul_hi_u32 s7, s5, s7
	s_delay_alu instid0(SALU_CYCLE_1) | instskip(SKIP_4) | instid1(SALU_CYCLE_1)
	s_add_co_i32 s5, s5, s7
	s_xor_b32 s7, s21, s10
	s_mul_hi_u32 s5, s8, s5
	s_ashr_i32 s7, s7, 31
	s_mul_i32 s9, s5, s4
	s_sub_co_i32 s8, s8, s9
	s_add_co_i32 s9, s5, 1
	s_sub_co_i32 s10, s8, s4
	s_cmp_ge_u32 s8, s4
	s_cselect_b32 s5, s9, s5
	s_cselect_b32 s8, s10, s8
	s_add_co_i32 s9, s5, 1
	s_cmp_ge_u32 s8, s4
	s_cselect_b32 s4, s9, s5
	s_load_b64 s[8:9], s[0:1], 0x40
	s_xor_b32 s4, s4, s7
	s_mov_b32 s5, 0
	s_sub_co_i32 s15, s4, s7
	s_mov_b32 s13, s5
	s_abs_i32 s14, s15
	s_mov_b32 s24, s5
	s_cvt_f32_u32 s4, s14
	s_delay_alu instid0(SALU_CYCLE_3) | instskip(SKIP_1) | instid1(TRANS32_DEP_1)
	v_rcp_iflag_f32_e32 v1, s4
	v_nop
	v_readfirstlane_b32 s4, v1
	s_mul_f32 s4, s4, 0x4f7ffffe
	s_delay_alu instid0(SALU_CYCLE_3) | instskip(SKIP_1) | instid1(SALU_CYCLE_2)
	s_cvt_u32_f32 s7, s4
	s_sub_co_i32 s4, 0, s14
	s_mul_i32 s4, s4, s7
	s_delay_alu instid0(SALU_CYCLE_1)
	s_mul_hi_u32 s10, s7, s4
	s_abs_i32 s4, s6
	s_add_co_i32 s12, s7, s10
	s_wait_kmcnt 0x0
	s_cmp_eq_u64 s[8:9], 0
	s_cbranch_scc1 .LBB141_2
; %bb.1:
	s_ashr_i32 s7, s6, 31
	s_delay_alu instid0(SALU_CYCLE_1) | instskip(NEXT) | instid1(SALU_CYCLE_1)
	s_lshl_b64 s[16:17], s[6:7], 2
	s_add_nc_u64 s[8:9], s[8:9], s[16:17]
	s_load_b32 s24, s[8:9], 0x0
.LBB141_2:
	s_load_b32 s23, s[2:3], s22 offset:0x0 scale_offset
	s_wait_xcnt 0x0
	s_load_b96 s[8:10], s[0:1], 0x48
	v_dual_lshrrev_b32 v1, 1, v0 :: v_dual_bitop2_b32 v54, 1, v0 bitop3:0x40
	v_cmp_gt_u32_e64 s2, 32, v0
	s_ashr_i32 s3, s6, 31
	s_ashr_i32 s15, s15, 31
	s_mul_u64 s[12:13], s[4:5], s[12:13]
	s_lshl_b32 s6, s6, 7
	s_and_saveexec_b32 s5, s2
	s_cbranch_execz .LBB141_4
; %bb.3:
	s_load_b64 s[16:17], s[0:1], 0x8
	s_wait_kmcnt 0x0
	s_mul_i32 s18, s8, s22
	s_ashr_i32 s7, s6, 31
	s_ashr_i32 s19, s18, 31
	v_lshlrev_b32_e32 v4, 3, v1
	s_lshl_b64 s[18:19], s[18:19], 1
	s_delay_alu instid0(VALU_DEP_1) | instskip(SKIP_2) | instid1(SALU_CYCLE_1)
	v_lshl_add_u32 v4, v54, 7, v4
	s_add_nc_u64 s[16:17], s[16:17], s[18:19]
	s_lshl_b64 s[18:19], s[6:7], 1
	s_add_nc_u64 s[16:17], s[16:17], s[18:19]
	global_load_b64 v[2:3], v0, s[16:17] scale_offset
	s_wait_loadcnt 0x0
	ds_store_b64 v4, v[2:3]
.LBB141_4:
	s_or_b32 exec_lo, exec_lo, s5
	s_wait_kmcnt 0x0
	s_add_co_i32 s5, s23, 15
	s_load_b32 s7, s[0:1], 0x38
	s_ashr_i32 s8, s5, 31
	s_mul_i32 s12, s13, s14
	s_lshr_b32 s8, s8, 28
	s_sub_co_i32 s4, s4, s12
	s_add_co_i32 s5, s5, s8
	s_xor_b32 s3, s3, s15
	s_ashr_i32 s8, s5, 4
	s_add_co_i32 s5, s13, 1
	s_sub_co_i32 s12, s4, s14
	s_cmp_ge_u32 s4, s14
	v_lshrrev_b32_e32 v55, 5, v0
	s_cselect_b32 s5, s5, s13
	s_cselect_b32 s4, s12, s4
	s_add_co_i32 s12, s5, 1
	s_cmp_ge_u32 s4, s14
	v_mbcnt_lo_u32_b32 v10, -1, 0
	s_cselect_b32 s4, s12, s5
	s_mov_b32 s5, exec_lo
	s_xor_b32 s4, s4, s3
	s_wait_kmcnt 0x0
	s_mul_i32 s12, s7, s22
	s_sub_co_i32 s4, s4, s3
	v_cmp_gt_i32_e64 s3, s8, v55
	s_ashr_i32 s13, s12, 31
	s_wait_dscnt 0x0
	s_barrier_signal -1
	s_barrier_wait -1
                                        ; implicit-def: $vgpr3
                                        ; implicit-def: $vgpr33
	v_cmpx_le_i32_e64 s8, v55
	s_xor_b32 s5, exec_lo, s5
; %bb.5:
	v_dual_mov_b32 v3, 0 :: v_dual_mov_b32 v33, 32
	v_mbcnt_lo_u32_b32 v10, -1, 0
; %bb.6:
	s_or_saveexec_b32 s25, s5
	s_clause 0x1
	s_load_b64 s[14:15], s[0:1], 0x28
	s_load_b32 s7, s[0:1], 0x88
	v_dual_mov_b32 v2, 0xff7fffff :: v_dual_lshlrev_b32 v9, 3, v0
	v_lshrrev_b32_e32 v8, 3, v0
	s_mul_i32 s16, s4, s10
	s_xor_b32 exec_lo, exec_lo, s25
	s_cbranch_execz .LBB141_12
; %bb.7:
	v_lshlrev_b32_e32 v6, 7, v54
	s_load_b64 s[4:5], s[0:1], 0x10
	s_ashr_i32 s17, s16, 31
	s_mov_b32 s10, 0
	s_lshl_b64 s[18:19], s[16:17], 1
	ds_load_b128 v[2:5], v6
	ds_load_b128 v[24:27], v6 offset:16
	ds_load_b128 v[30:33], v6 offset:32
	;; [unrolled: 1-line block ×4, first 2 shown]
	s_wait_dscnt 0x4
	v_dual_mov_b32 v81, v55 :: v_dual_lshlrev_b32 v11, 16, v2
	v_lshlrev_b32_e32 v15, 16, v4
	v_and_b32_e32 v12, 0xffff0000, v2
	v_lshlrev_b32_e32 v13, 16, v3
	v_and_b32_e32 v14, 0xffff0000, v3
	v_and_b32_e32 v16, 0xffff0000, v4
	s_wait_dscnt 0x3
	v_dual_lshlrev_b32 v17, 16, v5 :: v_dual_lshlrev_b32 v19, 16, v24
	v_and_b32_e32 v18, 0xffff0000, v5
	ds_load_b128 v[2:5], v6 offset:80
	ds_load_b128 v[66:69], v6 offset:96
	;; [unrolled: 1-line block ×3, first 2 shown]
	v_bfe_u32 v6, v0, 1, 4
	s_wait_dscnt 0x5
	v_dual_lshlrev_b32 v34, 16, v33 :: v_dual_bitop2_b32 v7, 1, v10 bitop3:0x14
	s_wait_dscnt 0x4
	v_lshlrev_b32_e32 v36, 16, v40
	v_and_b32_e32 v37, 0xffff0000, v40
	v_dual_lshlrev_b32 v38, 16, v41 :: v_dual_lshlrev_b32 v40, 16, v42
	v_and_b32_e32 v39, 0xffff0000, v41
	v_and_b32_e32 v41, 0xffff0000, v42
	s_wait_dscnt 0x3
	v_dual_lshlrev_b32 v42, 16, v43 :: v_dual_lshlrev_b32 v44, 16, v48
	v_and_b32_e32 v45, 0xffff0000, v48
	v_dual_lshlrev_b32 v46, 16, v49 :: v_dual_lshlrev_b32 v48, 16, v50
	v_and_b32_e32 v47, 0xffff0000, v49
	v_and_b32_e32 v49, 0xffff0000, v50
	s_wait_dscnt 0x2
	v_dual_lshlrev_b32 v50, 16, v51 :: v_dual_lshlrev_b32 v52, 16, v2
	v_and_b32_e32 v53, 0xffff0000, v2
	v_dual_lshlrev_b32 v56, 16, v3 :: v_dual_lshlrev_b32 v58, 16, v4
	v_and_b32_e32 v57, 0xffff0000, v3
	v_dual_mov_b32 v3, 0 :: v_dual_lshlrev_b32 v2, 4, v6
	s_wait_dscnt 0x1
	v_dual_lshlrev_b32 v60, 16, v5 :: v_dual_lshlrev_b32 v62, 16, v66
	v_and_b32_e32 v63, 0xffff0000, v66
	v_dual_lshlrev_b32 v64, 16, v67 :: v_dual_lshlrev_b32 v66, 16, v68
	v_and_b32_e32 v65, 0xffff0000, v67
	v_and_b32_e32 v67, 0xffff0000, v68
	s_wait_dscnt 0x0
	v_dual_lshlrev_b32 v68, 16, v69 :: v_dual_lshlrev_b32 v70, 16, v74
	v_and_b32_e32 v71, 0xffff0000, v74
	v_dual_lshlrev_b32 v72, 16, v75 :: v_dual_lshlrev_b32 v74, 16, v76
	v_and_b32_e32 v73, 0xffff0000, v75
	v_and_b32_e32 v75, 0xffff0000, v76
	v_lshlrev_b32_e32 v76, 16, v77
	v_cmp_gt_i32_e32 vcc_lo, 32, v7
	s_wait_kmcnt 0x0
	s_add_nc_u64 s[4:5], s[4:5], s[18:19]
	v_and_b32_e32 v59, 0xffff0000, v4
	v_and_b32_e32 v61, 0xffff0000, v5
	v_add_nc_u64_e32 v[4:5], s[4:5], v[2:3]
	v_and_b32_e32 v35, 0xffff0000, v33
	v_dual_cndmask_b32 v7, v10, v7, vcc_lo :: v_dual_bitop2_b32 v2, 8, v9 bitop3:0x40
	v_lshlrev_b32_e32 v33, 2, v6
	s_ashr_i32 s19, s9, 31
	s_cmp_neq_f32 s24, 0
	s_delay_alu instid0(VALU_DEP_2)
	v_add_nc_u64_e32 v[4:5], v[4:5], v[2:3]
	v_lshlrev_b32_e32 v78, 2, v7
	v_lshl_or_b32 v7, v55, 6, v33
	v_and_b32_e32 v2, 0x7c, v8
	s_cselect_b32 s4, -1, 0
	s_lshl_b64 s[26:27], s[12:13], 2
	v_lshl_or_b32 v79, v55, 4, v6
	s_add_nc_u64 s[26:27], s[14:15], s[26:27]
	v_dual_mov_b32 v33, 32 :: v_dual_add_nc_u32 v80, 0x120, v7
	v_add_nc_u64_e32 v[6:7], s[26:27], v[2:3]
	v_and_b32_e32 v20, 0xffff0000, v24
	v_dual_lshlrev_b32 v21, 16, v25 :: v_dual_lshlrev_b32 v23, 16, v26
	v_and_b32_e32 v22, 0xffff0000, v25
	v_and_b32_e32 v24, 0xffff0000, v26
	v_lshlrev_b32_e32 v25, 16, v27
	v_and_b32_e32 v26, 0xffff0000, v27
	v_lshlrev_b32_e32 v27, 16, v30
	;; [unrolled: 2-line block ×4, first 2 shown]
	v_and_b32_e32 v32, 0xffff0000, v32
	v_and_b32_e32 v43, 0xffff0000, v43
	;; [unrolled: 1-line block ×5, first 2 shown]
	v_mov_b32_e32 v2, 0xff7fffff
	s_mov_b32 s18, s9
	s_sub_co_i32 s17, 1, s23
	v_cmp_eq_u32_e32 vcc_lo, 0, v54
	s_branch .LBB141_9
.LBB141_8:                              ;   in Loop: Header=BB141_9 Depth=1
	s_or_b32 exec_lo, exec_lo, s26
	v_dual_add_nc_u32 v81, 4, v81 :: v_dual_add_nc_u32 v79, 64, v79
	v_add_nc_u64_e32 v[6:7], 16, v[6:7]
	v_add_nc_u32_e32 v80, 0x100, v80
	s_delay_alu instid0(VALU_DEP_3) | instskip(SKIP_1) | instid1(SALU_CYCLE_1)
	v_cmp_le_i32_e64 s5, s8, v81
	s_or_b32 s10, s5, s10
	s_and_not1_b32 exec_lo, exec_lo, s10
	s_cbranch_execz .LBB141_11
.LBB141_9:                              ; =>This Inner Loop Header: Depth=1
	global_load_b32 v82, v[6:7], off
	s_wait_loadcnt_dscnt 0x0
	v_ashrrev_i32_e32 v83, 31, v82
	s_delay_alu instid0(VALU_DEP_1) | instskip(NEXT) | instid1(VALU_DEP_1)
	v_mul_u64_e32 v[82:83], s[18:19], v[82:83]
	v_lshl_add_u64 v[82:83], v[82:83], 1, v[4:5]
	s_clause 0xf
	global_load_b64 v[84:85], v[82:83], off offset:256
	global_load_b64 v[86:87], v[82:83], off offset:512
	;; [unrolled: 1-line block ×3, first 2 shown]
	global_load_b64 v[90:91], v[82:83], off
	global_load_b64 v[92:93], v[82:83], off offset:1024
	global_load_b64 v[94:95], v[82:83], off offset:1280
	global_load_b64 v[96:97], v[82:83], off offset:1536
	global_load_b64 v[98:99], v[82:83], off offset:1792
	global_load_b64 v[100:101], v[82:83], off offset:2048
	global_load_b64 v[102:103], v[82:83], off offset:2304
	global_load_b64 v[104:105], v[82:83], off offset:2560
	global_load_b64 v[106:107], v[82:83], off offset:2816
	global_load_b64 v[108:109], v[82:83], off offset:3072
	global_load_b64 v[110:111], v[82:83], off offset:3328
	global_load_b64 v[112:113], v[82:83], off offset:3584
	global_load_b64 v[82:83], v[82:83], off offset:3840
	s_wait_loadcnt 0xf
	v_lshlrev_b32_e32 v114, 16, v84
	v_and_b32_e32 v84, 0xffff0000, v84
	v_lshlrev_b32_e32 v115, 16, v85
	v_and_b32_e32 v85, 0xffff0000, v85
	s_delay_alu instid0(VALU_DEP_3) | instskip(NEXT) | instid1(VALU_DEP_2)
	v_dual_mul_f32 v114, v15, v114 :: v_dual_mul_f32 v84, v16, v84
	v_dual_mul_f32 v115, v17, v115 :: v_dual_mul_f32 v85, v18, v85
	s_wait_loadcnt 0xc
	s_delay_alu instid0(VALU_DEP_2) | instskip(NEXT) | instid1(VALU_DEP_3)
	v_fma_mix_f32_bf16 v114, v11, v90, v114 op_sel_hi:[0,1,0]
	v_fma_mix_f32_bf16 v84, v12, v90, v84 op_sel:[0,1,0] op_sel_hi:[0,1,0]
	s_delay_alu instid0(VALU_DEP_3) | instskip(SKIP_1) | instid1(VALU_DEP_4)
	v_fma_mix_f32_bf16 v90, v13, v91, v115 op_sel_hi:[0,1,0]
	v_fma_mix_f32_bf16 v85, v14, v91, v85 op_sel:[0,1,0] op_sel_hi:[0,1,0]
	v_fma_mix_f32_bf16 v114, v19, v86, v114 op_sel_hi:[0,1,0]
	s_delay_alu instid0(VALU_DEP_4) | instskip(NEXT) | instid1(VALU_DEP_4)
	v_fma_mix_f32_bf16 v84, v20, v86, v84 op_sel:[0,1,0] op_sel_hi:[0,1,0]
	v_fma_mix_f32_bf16 v86, v21, v87, v90 op_sel_hi:[0,1,0]
	s_delay_alu instid0(VALU_DEP_4) | instskip(NEXT) | instid1(VALU_DEP_4)
	;; [unrolled: 3-line block ×3, first 2 shown]
	v_fma_mix_f32_bf16 v84, v24, v88, v84 op_sel:[0,1,0] op_sel_hi:[0,1,0]
	v_fma_mix_f32_bf16 v86, v25, v89, v86 op_sel_hi:[0,1,0]
	s_delay_alu instid0(VALU_DEP_4)
	v_fma_mix_f32_bf16 v85, v26, v89, v85 op_sel:[0,1,0] op_sel_hi:[0,1,0]
	s_wait_loadcnt 0xb
	v_fma_mix_f32_bf16 v87, v27, v92, v90 op_sel_hi:[0,1,0]
	v_fma_mix_f32_bf16 v84, v28, v92, v84 op_sel:[0,1,0] op_sel_hi:[0,1,0]
	v_fma_mix_f32_bf16 v86, v29, v93, v86 op_sel_hi:[0,1,0]
	v_fma_mix_f32_bf16 v85, v30, v93, v85 op_sel:[0,1,0] op_sel_hi:[0,1,0]
	s_wait_loadcnt 0xa
	v_fma_mix_f32_bf16 v87, v31, v94, v87 op_sel_hi:[0,1,0]
	v_fma_mix_f32_bf16 v84, v32, v94, v84 op_sel:[0,1,0] op_sel_hi:[0,1,0]
	v_fma_mix_f32_bf16 v86, v34, v95, v86 op_sel_hi:[0,1,0]
	;; [unrolled: 5-line block ×11, first 2 shown]
	s_wait_loadcnt 0x0
	s_delay_alu instid0(VALU_DEP_3) | instskip(SKIP_4) | instid1(VALU_DEP_3)
	v_fma_mix_f32_bf16 v87, v74, v82, v87 op_sel_hi:[0,1,0]
	s_wait_xcnt 0x0
	v_fma_mix_f32_bf16 v82, v75, v82, v84 op_sel:[0,1,0] op_sel_hi:[0,1,0]
	v_fma_mix_f32_bf16 v84, v73, v113, v85 op_sel:[0,1,0] op_sel_hi:[0,1,0]
	v_fma_mix_f32_bf16 v85, v76, v83, v86 op_sel_hi:[0,1,0]
	v_add_f32_e32 v82, v87, v82
	s_delay_alu instid0(VALU_DEP_3) | instskip(NEXT) | instid1(VALU_DEP_2)
	v_fma_mix_f32_bf16 v83, v77, v83, v84 op_sel:[0,1,0] op_sel_hi:[0,1,0]
	v_add_f32_e32 v82, v82, v85
	s_delay_alu instid0(VALU_DEP_1)
	v_add_f32_e32 v82, v83, v82
	ds_bpermute_b32 v83, v78, v82
	s_and_saveexec_b32 s26, vcc_lo
	s_cbranch_execz .LBB141_8
; %bb.10:                               ;   in Loop: Header=BB141_9 Depth=1
	s_wait_dscnt 0x0
	v_add_f32_e32 v82, v82, v83
	v_add_nc_u32_e32 v84, s17, v79
	v_cmp_gt_i32_e64 s5, s23, v79
	s_delay_alu instid0(VALU_DEP_2) | instskip(NEXT) | instid1(VALU_DEP_1)
	v_cvt_f32_i32_e32 v84, v84
	v_mul_f32_e32 v84, s24, v84
	s_delay_alu instid0(VALU_DEP_1) | instskip(NEXT) | instid1(VALU_DEP_1)
	v_dual_cndmask_b32 v83, 0, v84, s4 :: v_dual_max_num_f32 v84, v2, v2
	v_fmac_f32_e32 v83, s11, v82
	s_delay_alu instid0(VALU_DEP_1) | instskip(NEXT) | instid1(VALU_DEP_1)
	v_dual_max_num_f32 v82, v84, v83 :: v_dual_cndmask_b32 v83, 0, v83, s5
	v_cndmask_b32_e64 v2, v2, v82, s5
	ds_store_b32 v80, v83
	s_branch .LBB141_8
.LBB141_11:
	s_or_b32 exec_lo, exec_lo, s10
.LBB141_12:
	s_delay_alu instid0(SALU_CYCLE_1)
	s_or_b32 exec_lo, exec_lo, s25
	v_xor_b32_e32 v4, 16, v10
	s_clause 0x1
	s_load_b64 s[10:11], s[0:1], 0x0
	s_load_b64 s[18:19], s[0:1], 0x18
	v_xor_b32_e32 v6, 8, v10
	v_and_b32_e32 v56, 31, v0
	v_cmp_lt_i32_e32 vcc_lo, v4, v33
	v_cndmask_b32_e32 v4, v10, v4, vcc_lo
	s_delay_alu instid0(VALU_DEP_4) | instskip(NEXT) | instid1(VALU_DEP_2)
	v_cmp_lt_i32_e32 vcc_lo, v6, v33
	v_lshlrev_b32_e32 v4, 2, v4
	ds_bpermute_b32 v5, v4, v2
	s_wait_dscnt 0x0
	v_dual_max_num_f32 v2, v2, v2 :: v_dual_max_num_f32 v7, v5, v5
	s_delay_alu instid0(VALU_DEP_1) | instskip(SKIP_1) | instid1(VALU_DEP_2)
	v_dual_max_num_f32 v2, v2, v7 :: v_dual_bitop2_b32 v7, 4, v10 bitop3:0x14
	v_cndmask_b32_e32 v6, v10, v6, vcc_lo
	v_cmp_lt_i32_e32 vcc_lo, v7, v33
	s_delay_alu instid0(VALU_DEP_2) | instskip(SKIP_3) | instid1(VALU_DEP_1)
	v_dual_cndmask_b32 v7, v10, v7, vcc_lo :: v_dual_lshlrev_b32 v5, 2, v6
	ds_bpermute_b32 v6, v5, v2
	s_wait_dscnt 0x0
	v_dual_max_num_f32 v11, v6, v6 :: v_dual_lshlrev_b32 v6, 2, v7
	v_dual_max_num_f32 v2, v2, v11 :: v_dual_bitop2_b32 v11, 2, v10 bitop3:0x14
	ds_bpermute_b32 v7, v6, v2
	v_cmp_lt_i32_e32 vcc_lo, v11, v33
	v_cndmask_b32_e32 v12, v10, v11, vcc_lo
	v_cmp_eq_u32_e32 vcc_lo, 0, v56
	s_wait_dscnt 0x0
	v_max_num_f32_e32 v7, v7, v7
	s_delay_alu instid0(VALU_DEP_1)
	v_dual_max_num_f32 v11, v2, v7 :: v_dual_lshlrev_b32 v2, 2, v12
	v_lshlrev_b32_e32 v7, 2, v55
	ds_bpermute_b32 v12, v2, v11
	s_wait_xcnt 0x0
	s_and_saveexec_b32 s0, vcc_lo
	s_cbranch_execz .LBB141_14
; %bb.13:
	s_wait_dscnt 0x0
	v_dual_max_num_f32 v12, v12, v12 :: v_dual_max_num_f32 v11, v11, v11
	s_delay_alu instid0(VALU_DEP_1)
	v_max_num_f32_e32 v11, v11, v12
	ds_store_b32 v7, v11 offset:256
.LBB141_14:
	s_or_b32 exec_lo, exec_lo, s0
	v_cmp_gt_u32_e64 s0, 4, v56
	s_wait_dscnt 0x0
	v_dual_mov_b32 v12, 0xff7fffff :: v_dual_lshlrev_b32 v11, 2, v56
	s_barrier_signal -1
	s_barrier_wait -1
	s_and_saveexec_b32 s1, s0
; %bb.15:
	ds_load_b32 v12, v11 offset:256
; %bb.16:
	s_or_b32 exec_lo, exec_lo, s1
	s_wait_dscnt 0x0
	ds_bpermute_b32 v13, v2, v12
	v_dual_max_num_f32 v12, v12, v12 :: v_dual_bitop2_b32 v14, 1, v10 bitop3:0x14
	v_lshlrev_b32_e32 v3, 2, v3
	s_delay_alu instid0(VALU_DEP_2) | instskip(NEXT) | instid1(VALU_DEP_1)
	v_cmp_lt_i32_e64 s1, v14, v33
	v_cndmask_b32_e64 v14, v10, v14, s1
	s_lshl_b32 s1, s8, 4
	s_delay_alu instid0(SALU_CYCLE_1) | instskip(NEXT) | instid1(SALU_CYCLE_1)
	s_min_i32 s5, s1, s23
	v_cmp_gt_i32_e64 s1, s5, v0
	s_wait_dscnt 0x0
	v_dual_max_num_f32 v13, v13, v13 :: v_dual_lshlrev_b32 v57, 2, v14
	s_delay_alu instid0(VALU_DEP_1) | instskip(SKIP_3) | instid1(VALU_DEP_1)
	v_max_num_f32_e32 v12, v12, v13
	ds_bpermute_b32 v13, v57, v12
	s_wait_dscnt 0x0
	v_max_num_f32_e32 v13, v13, v13
	v_max_num_f32_e32 v12, v12, v13
	ds_bpermute_b32 v12, v3, v12
	v_mov_b32_e32 v3, 0
	s_and_saveexec_b32 s17, s1
	s_cbranch_execz .LBB141_20
; %bb.17:
	v_lshl_add_u32 v13, v0, 2, 0x120
	v_dual_mov_b32 v3, 0 :: v_dual_mov_b32 v14, v0
	s_mov_b32 s24, 0
.LBB141_18:                             ; =>This Inner Loop Header: Depth=1
	ds_load_b32 v15, v13
	v_add_nc_u32_e32 v14, 0x80, v14
	s_delay_alu instid0(VALU_DEP_1) | instskip(SKIP_3) | instid1(VALU_DEP_1)
	v_cmp_le_i32_e64 s4, s5, v14
	s_or_b32 s24, s4, s24
	s_wait_dscnt 0x0
	v_sub_f32_e32 v15, v15, v12
	v_mul_f32_e32 v15, 0x3fb8aa3b, v15
	s_delay_alu instid0(VALU_DEP_1)
	v_exp_f32_e32 v15, v15
	ds_store_b32 v13, v15
	v_nop
	v_add_f32_e32 v3, v3, v15
	v_add_nc_u32_e32 v13, 0x200, v13
	s_and_not1_b32 exec_lo, exec_lo, s24
	s_cbranch_execnz .LBB141_18
; %bb.19:
	s_or_b32 exec_lo, exec_lo, s24
.LBB141_20:
	s_delay_alu instid0(SALU_CYCLE_1)
	s_or_b32 exec_lo, exec_lo, s17
	ds_bpermute_b32 v4, v4, v3
	s_wait_dscnt 0x0
	v_add_f32_e32 v3, v3, v4
	ds_bpermute_b32 v4, v5, v3
	s_wait_dscnt 0x0
	v_add_f32_e32 v3, v3, v4
	;; [unrolled: 3-line block ×5, first 2 shown]
	s_and_saveexec_b32 s4, vcc_lo
; %bb.21:
	ds_store_b32 v7, v3 offset:272
; %bb.22:
	s_or_b32 exec_lo, exec_lo, s4
	s_wait_dscnt 0x0
	s_barrier_signal -1
	s_barrier_wait -1
	s_and_saveexec_b32 s4, s0
; %bb.23:
	ds_load_b32 v3, v11 offset:272
; %bb.24:
	s_or_b32 exec_lo, exec_lo, s4
	s_wait_dscnt 0x0
	ds_bpermute_b32 v2, v2, v3
	s_wait_dscnt 0x0
	v_add_f32_e32 v2, v3, v2
	ds_bpermute_b32 v3, v57, v2
	s_wait_dscnt 0x0
	v_dual_lshlrev_b32 v4, 2, v10 :: v_dual_add_f32 v2, v2, v3
	s_delay_alu instid0(VALU_DEP_1)
	v_and_b32_e32 v3, 0xffffff80, v4
	ds_bpermute_b32 v2, v3, v2
	s_and_saveexec_b32 s0, s1
	s_cbranch_execz .LBB141_37
; %bb.25:
	s_wait_dscnt 0x0
	v_add_f32_e32 v2, 0x358637bd, v2
	s_mov_b32 s4, -1
	s_mov_b32 s1, exec_lo
	s_delay_alu instid0(VALU_DEP_1) | instskip(NEXT) | instid1(VALU_DEP_1)
	v_div_scale_f32 v3, null, v2, v2, 1.0
	v_rcp_f32_e32 v5, v3
	v_nop
	s_delay_alu instid0(TRANS32_DEP_1) | instskip(NEXT) | instid1(VALU_DEP_1)
	v_fma_f32 v4, -v3, v5, 1.0
	v_fmac_f32_e32 v5, v4, v5
	v_div_scale_f32 v6, vcc_lo, 1.0, v2, 1.0
	s_delay_alu instid0(VALU_DEP_1) | instskip(NEXT) | instid1(VALU_DEP_1)
	v_mul_f32_e32 v7, v6, v5
	v_fma_f32 v4, -v3, v7, v6
	s_delay_alu instid0(VALU_DEP_1) | instskip(SKIP_1) | instid1(VALU_DEP_2)
	v_fmac_f32_e32 v7, v4, v5
	v_xad_u32 v4, v0, -1, s5
	v_fma_f32 v3, -v3, v7, v6
	s_delay_alu instid0(VALU_DEP_1) | instskip(NEXT) | instid1(VALU_DEP_1)
	v_div_fmas_f32 v3, v3, v5, v7
	v_div_fixup_f32 v2, v3, v2, 1.0
	v_mov_b32_e32 v3, v0
	v_cmpx_lt_u32_e32 0x7f, v4
	s_cbranch_execz .LBB141_34
; %bb.26:
	s_delay_alu instid0(VALU_DEP_3) | instskip(NEXT) | instid1(VALU_DEP_1)
	v_dual_mov_b32 v3, v2 :: v_dual_lshrrev_b32 v4, 7, v4
	v_dual_mov_b32 v10, 0 :: v_dual_add_nc_u32 v5, -1, v4
	s_delay_alu instid0(VALU_DEP_1) | instskip(SKIP_1) | instid1(VALU_DEP_2)
	v_lshrrev_b32_e32 v6, 1, v5
	v_cmp_lt_u32_e32 vcc_lo, 13, v5
	v_add_nc_u32_e32 v5, 1, v6
	s_and_saveexec_b32 s4, vcc_lo
	s_cbranch_execz .LBB141_30
; %bb.27:
	s_delay_alu instid0(VALU_DEP_1)
	v_and_b32_e32 v6, -8, v5
	v_lshl_add_u32 v7, v0, 2, 0x120
	s_mov_b32 s17, 0
	s_mov_b32 s24, 0
.LBB141_28:                             ; =>This Inner Loop Header: Depth=1
	ds_load_2addr_stride64_b32 v[10:11], v7 offset1:2
	ds_load_2addr_stride64_b32 v[12:13], v7 offset0:4 offset1:6
	ds_load_2addr_stride64_b32 v[14:15], v7 offset0:8 offset1:10
	;; [unrolled: 1-line block ×7, first 2 shown]
	s_add_co_i32 s24, s24, 16
	v_add_nc_u32_e32 v6, -8, v6
	s_wait_dscnt 0x7
	v_pk_mul_f32 v[10:11], v[2:3], v[10:11]
	s_wait_dscnt 0x6
	v_pk_mul_f32 v[12:13], v[2:3], v[12:13]
	;; [unrolled: 2-line block ×8, first 2 shown]
	ds_store_2addr_stride64_b32 v7, v10, v11 offset1:2
	ds_store_2addr_stride64_b32 v7, v12, v13 offset0:4 offset1:6
	ds_store_2addr_stride64_b32 v7, v14, v15 offset0:8 offset1:10
	;; [unrolled: 1-line block ×7, first 2 shown]
	v_mov_b32_e32 v10, s24
	v_cmp_eq_u32_e32 vcc_lo, 0, v6
	v_add_nc_u32_e32 v7, 0x2000, v7
	s_or_b32 s17, vcc_lo, s17
	s_delay_alu instid0(SALU_CYCLE_1)
	s_and_not1_b32 exec_lo, exec_lo, s17
	s_cbranch_execnz .LBB141_28
; %bb.29:
	s_or_b32 exec_lo, exec_lo, s17
.LBB141_30:
	s_delay_alu instid0(SALU_CYCLE_1) | instskip(NEXT) | instid1(VALU_DEP_1)
	s_or_b32 exec_lo, exec_lo, s4
	v_and_b32_e32 v5, 7, v5
	s_mov_b32 s17, 0
	s_mov_b32 s4, exec_lo
	s_delay_alu instid0(VALU_DEP_1)
	v_cmpx_ne_u32_e32 0, v5
	s_cbranch_execz .LBB141_33
; %bb.31:
	v_dual_lshlrev_b32 v6, 9, v10 :: v_dual_lshlrev_b32 v7, 2, v0
	s_delay_alu instid0(VALU_DEP_1)
	v_add3_u32 v6, v6, v7, 0x120
.LBB141_32:                             ; =>This Inner Loop Header: Depth=1
	ds_load_2addr_stride64_b32 v[10:11], v6 offset1:2
	v_add_nc_u32_e32 v5, -1, v5
	s_delay_alu instid0(VALU_DEP_1)
	v_cmp_eq_u32_e32 vcc_lo, 0, v5
	s_or_b32 s17, vcc_lo, s17
	s_wait_dscnt 0x0
	v_pk_mul_f32 v[10:11], v[2:3], v[10:11]
	ds_store_2addr_stride64_b32 v6, v10, v11 offset1:2
	v_add_nc_u32_e32 v6, 0x400, v6
	s_and_not1_b32 exec_lo, exec_lo, s17
	s_cbranch_execnz .LBB141_32
.LBB141_33:
	s_or_b32 exec_lo, exec_lo, s4
	v_add_nc_u32_e32 v3, 1, v4
	s_delay_alu instid0(VALU_DEP_1) | instskip(NEXT) | instid1(VALU_DEP_1)
	v_and_b32_e32 v4, 0x3fffffe, v3
	v_cmp_ne_u32_e32 vcc_lo, v3, v4
	v_lshl_add_u32 v3, v4, 7, v0
	s_or_not1_b32 s4, vcc_lo, exec_lo
.LBB141_34:
	s_or_b32 exec_lo, exec_lo, s1
	s_delay_alu instid0(SALU_CYCLE_1)
	s_and_b32 exec_lo, exec_lo, s4
	s_cbranch_execz .LBB141_37
; %bb.35:
	v_lshl_add_u32 v4, v3, 2, 0x120
	s_mov_b32 s1, 0
.LBB141_36:                             ; =>This Inner Loop Header: Depth=1
	ds_load_b32 v5, v4
	v_add_nc_u32_e32 v3, 0x80, v3
	s_delay_alu instid0(VALU_DEP_1)
	v_cmp_le_i32_e32 vcc_lo, s5, v3
	s_or_b32 s1, vcc_lo, s1
	s_wait_dscnt 0x0
	v_mul_f32_e32 v5, v2, v5
	ds_store_b32 v4, v5
	v_add_nc_u32_e32 v4, 0x200, v4
	s_and_not1_b32 exec_lo, exec_lo, s1
	s_cbranch_execnz .LBB141_36
.LBB141_37:
	s_or_b32 exec_lo, exec_lo, s0
	v_mov_b32_e32 v43, 0
	s_wait_dscnt 0x0
	s_barrier_signal -1
	s_barrier_wait -1
	s_delay_alu instid0(VALU_DEP_1)
	v_dual_mov_b32 v42, v43 :: v_dual_mov_b32 v45, v43
	v_dual_mov_b32 v44, v43 :: v_dual_mov_b32 v47, v43
	;; [unrolled: 1-line block ×3, first 2 shown]
	v_mov_b32_e32 v48, v43
	s_and_saveexec_b32 s1, s3
	s_cbranch_execz .LBB141_57
; %bb.38:
	v_dual_lshlrev_b32 v2, 4, v0 :: v_dual_bitop2_b32 v3, 8, v9 bitop3:0x40
	s_ashr_i32 s17, s16, 31
	v_dual_mov_b32 v43, 0 :: v_dual_lshlrev_b32 v4, 5, v54
	s_delay_alu instid0(VALU_DEP_2)
	v_and_b32_e32 v42, 0x1f0, v2
	s_lshl_b64 s[16:17], s[16:17], 1
	s_lshl_b64 s[12:13], s[12:13], 2
	s_wait_kmcnt 0x0
	s_add_nc_u64 s[16:17], s[18:19], s[16:17]
	v_lshl_or_b32 v2, v55, 6, v4
	v_add_nc_u64_e32 v[50:51], s[16:17], v[42:43]
	v_and_b32_e32 v42, 0x7c, v8
	s_add_nc_u64 s[12:13], s[14:15], s[12:13]
	v_lshl_or_b32 v58, v55, 4, v3
	v_add_nc_u32_e32 v59, 0x120, v2
	v_dual_mov_b32 v45, v43 :: v_dual_mov_b32 v44, v43
	v_add_nc_u64_e32 v[52:53], s[12:13], v[42:43]
	v_dual_mov_b32 v42, v43 :: v_dual_mov_b32 v47, v43
	v_dual_mov_b32 v46, v43 :: v_dual_mov_b32 v49, v43
	;; [unrolled: 1-line block ×3, first 2 shown]
	s_ashr_i32 s5, s9, 31
	s_mov_b32 s4, s9
	s_add_co_i32 s3, s8, -1
	s_mov_b32 s12, s23
	s_mov_b32 s9, 0
	s_branch .LBB141_40
.LBB141_39:                             ;   in Loop: Header=BB141_40 Depth=1
	s_or_b32 exec_lo, exec_lo, s0
	s_wait_dscnt 0x1
	v_cvt_pk_bf16_f32 v18, v18, v19
	v_cvt_pk_bf16_f32 v19, v20, v21
	s_wait_dscnt 0x0
	v_cvt_pk_bf16_f32 v10, v10, v11
	v_cvt_pk_bf16_f32 v12, v12, v13
	v_add_nc_u64_e32 v[52:53], 16, v[52:53]
	s_wait_loadcnt 0x1
	v_pk_mul_bf16 v11, v18, v38
	v_pk_mul_bf16 v20, v19, v39
	;; [unrolled: 1-line block ×5, first 2 shown]
	s_delay_alu instid0(VALU_DEP_4)
	v_dual_lshlrev_b32 v21, 16, v11 :: v_dual_lshlrev_b32 v38, 16, v20
	v_and_b32_e32 v11, 0xffff0000, v11
	v_and_b32_e32 v20, 0xffff0000, v20
	v_lshlrev_b32_e32 v39, 16, v13
	v_and_b32_e32 v13, 0xffff0000, v13
	v_pk_mul_bf16 v36, v10, v36
	s_delay_alu instid0(VALU_DEP_4)
	v_dual_add_f32 v11, v21, v11 :: v_dual_add_f32 v20, v38, v20
	v_lshlrev_b32_e32 v38, 16, v34
	v_pk_mul_bf16 v21, v12, v41
	v_add_f32_e32 v13, v39, v13
	v_pk_mul_bf16 v37, v12, v37
	v_add_f32_e32 v11, v20, v11
	v_and_b32_e32 v20, 0xffff0000, v34
	v_dual_lshlrev_b32 v34, 16, v35 :: v_dual_lshlrev_b32 v39, 16, v21
	v_and_b32_e32 v35, 0xffff0000, v35
	v_and_b32_e32 v21, 0xffff0000, v21
	s_delay_alu instid0(VALU_DEP_4) | instskip(SKIP_1) | instid1(VALU_DEP_4)
	v_dual_add_f32 v20, v38, v20 :: v_dual_add_f32 v11, v13, v11
	v_pk_mul_bf16 v26, v18, v26
	v_dual_add_f32 v34, v34, v35 :: v_dual_lshlrev_b32 v35, 16, v36
	v_and_b32_e32 v36, 0xffff0000, v36
	v_add_f32_e32 v13, v39, v21
	v_pk_mul_bf16 v28, v10, v28
	s_delay_alu instid0(VALU_DEP_4) | instskip(NEXT) | instid1(VALU_DEP_4)
	v_dual_add_f32 v20, v34, v20 :: v_dual_lshlrev_b32 v34, 16, v37
	v_add_f32_e32 v21, v35, v36
	v_and_b32_e32 v35, 0xffff0000, v37
	v_add_f32_e32 v11, v13, v11
	v_pk_mul_bf16 v13, v19, v27
	s_delay_alu instid0(VALU_DEP_4) | instskip(NEXT) | instid1(VALU_DEP_4)
	v_dual_add_f32 v20, v21, v20 :: v_dual_lshlrev_b32 v27, 16, v26
	v_add_f32_e32 v21, v34, v35
	v_and_b32_e32 v26, 0xffff0000, v26
	s_delay_alu instid0(VALU_DEP_4) | instskip(SKIP_1) | instid1(VALU_DEP_3)
	v_dual_lshlrev_b32 v34, 16, v13 :: v_dual_add_f32 v42, v42, v11
	v_and_b32_e32 v13, 0xffff0000, v13
	v_dual_add_f32 v11, v21, v20 :: v_dual_add_f32 v20, v27, v26
	v_lshlrev_b32_e32 v21, 16, v28
	v_and_b32_e32 v26, 0xffff0000, v28
	s_delay_alu instid0(VALU_DEP_3) | instskip(SKIP_3) | instid1(VALU_DEP_4)
	v_dual_add_f32 v13, v34, v13 :: v_dual_add_f32 v45, v45, v11
	v_pk_mul_bf16 v11, v12, v29
	v_pk_mul_bf16 v24, v10, v24
	;; [unrolled: 1-line block ×3, first 2 shown]
	v_add_f32_e32 v13, v13, v20
	v_pk_mul_bf16 v20, v18, v22
	v_pk_mul_bf16 v22, v19, v23
	v_lshlrev_b32_e32 v23, 16, v11
	v_and_b32_e32 v11, 0xffff0000, v11
	s_delay_alu instid0(VALU_DEP_4) | instskip(SKIP_2) | instid1(VALU_DEP_4)
	v_dual_add_f32 v21, v21, v26 :: v_dual_lshlrev_b32 v26, 16, v20
	v_and_b32_e32 v20, 0xffff0000, v20
	v_pk_mul_bf16 v15, v19, v15
	v_dual_add_f32 v11, v23, v11 :: v_dual_lshlrev_b32 v27, 16, v22
	s_delay_alu instid0(VALU_DEP_4)
	v_add_f32_e32 v13, v21, v13
	v_and_b32_e32 v22, 0xffff0000, v22
	v_add_f32_e32 v20, v26, v20
	v_and_b32_e32 v23, 0xffff0000, v24
	v_pk_mul_bf16 v16, v10, v16
	v_add_f32_e32 v11, v11, v13
	v_dual_add_f32 v21, v27, v22 :: v_dual_lshlrev_b32 v22, 16, v24
	v_pk_mul_bf16 v24, v12, v25
	v_pk_mul_bf16 v6, v18, v6
	s_delay_alu instid0(VALU_DEP_3) | instskip(NEXT) | instid1(VALU_DEP_4)
	v_dual_add_f32 v44, v44, v11 :: v_dual_add_f32 v20, v21, v20
	v_dual_add_f32 v21, v22, v23 :: v_dual_lshlrev_b32 v22, 16, v14
	s_delay_alu instid0(VALU_DEP_4)
	v_lshlrev_b32_e32 v25, 16, v24
	v_and_b32_e32 v14, 0xffff0000, v14
	v_lshlrev_b32_e32 v23, 16, v15
	v_and_b32_e32 v15, 0xffff0000, v15
	v_and_b32_e32 v24, 0xffff0000, v24
	v_pk_mul_bf16 v11, v12, v17
	v_dual_add_f32 v14, v22, v14 :: v_dual_lshlrev_b32 v22, 16, v16
	s_delay_alu instid0(VALU_DEP_4) | instskip(SKIP_4) | instid1(VALU_DEP_4)
	v_add_f32_e32 v15, v23, v15
	v_and_b32_e32 v16, 0xffff0000, v16
	v_add_f32_e32 v13, v21, v20
	v_add_f32_e32 v20, v25, v24
	v_pk_mul_bf16 v7, v19, v7
	v_dual_add_f32 v14, v15, v14 :: v_dual_add_f32 v15, v22, v16
	s_delay_alu instid0(VALU_DEP_3) | instskip(SKIP_1) | instid1(VALU_DEP_3)
	v_dual_add_f32 v13, v20, v13 :: v_dual_lshlrev_b32 v16, 16, v6
	v_and_b32_e32 v6, 0xffff0000, v6
	v_dual_add_f32 v14, v15, v14 :: v_dual_lshlrev_b32 v17, 16, v7
	v_lshlrev_b32_e32 v15, 16, v11
	v_and_b32_e32 v11, 0xffff0000, v11
	v_and_b32_e32 v7, 0xffff0000, v7
	v_pk_mul_bf16 v8, v10, v8
	v_pk_mul_bf16 v2, v18, v2
	;; [unrolled: 1-line block ×3, first 2 shown]
	v_dual_add_f32 v11, v15, v11 :: v_dual_add_f32 v6, v16, v6
	s_delay_alu instid0(VALU_DEP_4) | instskip(SKIP_1) | instid1(VALU_DEP_4)
	v_dual_add_f32 v7, v17, v7 :: v_dual_lshlrev_b32 v15, 16, v8
	v_and_b32_e32 v8, 0xffff0000, v8
	v_dual_lshlrev_b32 v16, 16, v2 :: v_dual_lshlrev_b32 v17, 16, v3
	v_and_b32_e32 v2, 0xffff0000, v2
	v_and_b32_e32 v3, 0xffff0000, v3
	v_pk_mul_bf16 v9, v12, v9
	v_add_f32_e32 v20, v7, v6
	s_delay_alu instid0(VALU_DEP_4) | instskip(NEXT) | instid1(VALU_DEP_4)
	v_dual_add_f32 v15, v15, v8 :: v_dual_add_f32 v2, v16, v2
	v_add_f32_e32 v3, v17, v3
	v_pk_mul_bf16 v4, v10, v4
	v_lshlrev_b32_e32 v16, 16, v9
	v_pk_mul_bf16 v21, v12, v5
	s_wait_loadcnt 0x0
	v_pk_mul_bf16 v6, v10, v32
	v_add_f32_e32 v22, v3, v2
	v_pk_mul_bf16 v2, v18, v30
	v_lshlrev_b32_e32 v23, 16, v4
	v_and_b32_e32 v18, 0xffff0000, v4
	v_pk_mul_bf16 v4, v19, v31
	v_pk_mul_bf16 v8, v12, v33
	v_and_b32_e32 v3, 0xffff0000, v2
	v_lshlrev_b32_e32 v5, 16, v2
	v_and_b32_e32 v17, 0xffff0000, v9
	v_and_b32_e32 v2, 0xffff0000, v4
	v_dual_lshlrev_b32 v4, 16, v4 :: v_dual_lshlrev_b32 v9, 16, v6
	v_and_b32_e32 v7, 0xffff0000, v6
	v_and_b32_e32 v6, 0xffff0000, v8
	v_dual_lshlrev_b32 v8, 16, v8 :: v_dual_add_f32 v10, v23, v18
	s_delay_alu instid0(VALU_DEP_4) | instskip(SKIP_2) | instid1(VALU_DEP_4)
	v_pk_add_f32 v[2:3], v[4:5], v[2:3]
	v_lshlrev_b32_e32 v12, 16, v21
	v_and_b32_e32 v18, 0xffff0000, v21
	v_pk_add_f32 v[4:5], v[8:9], v[6:7]
	s_delay_alu instid0(VALU_DEP_4) | instskip(SKIP_1) | instid1(VALU_DEP_4)
	v_dual_add_f32 v6, v16, v17 :: v_dual_add_f32 v2, v2, v3
	v_dual_add_f32 v3, v15, v20 :: v_dual_add_f32 v7, v10, v22
	;; [unrolled: 1-line block ×3, first 2 shown]
	s_delay_alu instid0(VALU_DEP_3) | instskip(SKIP_1) | instid1(VALU_DEP_4)
	v_add_f32_e32 v2, v5, v2
	v_dual_add_f32 v5, v11, v14 :: v_dual_add_nc_u32 v60, 4, v60
	v_add_f32_e32 v3, v6, v3
	s_delay_alu instid0(VALU_DEP_4) | instskip(NEXT) | instid1(VALU_DEP_3)
	v_add_f32_e32 v6, v8, v7
	v_dual_add_f32 v2, v4, v2 :: v_dual_add_f32 v46, v46, v5
	s_delay_alu instid0(VALU_DEP_4) | instskip(NEXT) | instid1(VALU_DEP_3)
	v_cmp_le_i32_e32 vcc_lo, s8, v60
	v_dual_add_f32 v49, v49, v3 :: v_dual_add_f32 v48, v48, v6
	s_delay_alu instid0(VALU_DEP_3) | instskip(SKIP_3) | instid1(SALU_CYCLE_1)
	v_add_f32_e32 v43, v43, v2
	v_add_nc_u32_e32 v58, 64, v58
	v_add_nc_u32_e32 v59, 0x100, v59
	s_or_b32 s9, vcc_lo, s9
	s_and_not1_b32 exec_lo, exec_lo, s9
	s_cbranch_execz .LBB141_56
.LBB141_40:                             ; =>This Inner Loop Header: Depth=1
	global_load_b32 v2, v[52:53], off
	v_cmp_eq_u32_e32 vcc_lo, s3, v60
	v_dual_add_nc_u32 v66, 1, v58 :: v_dual_bitop2_b32 v65, 3, v58 bitop3:0x54
	v_or_b32_e32 v67, 2, v58
	v_or_b32_e32 v62, 5, v58
	;; [unrolled: 1-line block ×5, first 2 shown]
	s_wait_loadcnt 0x0
	v_ashrrev_i32_e32 v3, 31, v2
	s_delay_alu instid0(VALU_DEP_1) | instskip(NEXT) | instid1(VALU_DEP_1)
	v_mul_u64_e32 v[2:3], s[4:5], v[2:3]
	v_lshl_add_u64 v[30:31], v[2:3], 1, v[50:51]
	global_load_b128 v[2:5], v[30:31], off
	ds_load_2addr_b64 v[18:21], v59 offset1:1
	ds_load_2addr_b64 v[10:13], v59 offset0:2 offset1:3
	s_wait_xcnt 0x0
	s_and_saveexec_b32 s13, vcc_lo
	s_cbranch_execnz .LBB141_48
; %bb.41:                               ;   in Loop: Header=BB141_40 Depth=1
	s_or_b32 exec_lo, exec_lo, s13
	global_load_b128 v[6:9], v[30:31], off offset:512
	s_wait_xcnt 0x0
	s_and_saveexec_b32 s13, vcc_lo
	s_cbranch_execnz .LBB141_49
.LBB141_42:                             ;   in Loop: Header=BB141_40 Depth=1
	s_or_b32 exec_lo, exec_lo, s13
	global_load_b128 v[14:17], v[30:31], off offset:1024
	s_wait_xcnt 0x0
	s_and_saveexec_b32 s13, vcc_lo
	s_cbranch_execnz .LBB141_50
.LBB141_43:                             ;   in Loop: Header=BB141_40 Depth=1
	s_or_b32 exec_lo, exec_lo, s13
	global_load_b128 v[22:25], v[30:31], off offset:1536
	s_wait_xcnt 0x0
	s_and_saveexec_b32 s13, vcc_lo
	s_cbranch_execnz .LBB141_51
.LBB141_44:                             ;   in Loop: Header=BB141_40 Depth=1
	s_or_b32 exec_lo, exec_lo, s13
	global_load_b128 v[26:29], v[30:31], off offset:2048
	s_wait_xcnt 0x0
	s_and_saveexec_b32 s13, vcc_lo
	s_cbranch_execnz .LBB141_52
.LBB141_45:                             ;   in Loop: Header=BB141_40 Depth=1
	s_or_b32 exec_lo, exec_lo, s13
	global_load_b128 v[34:37], v[30:31], off offset:2560
	s_wait_xcnt 0x0
	s_and_saveexec_b32 s13, vcc_lo
	s_cbranch_execnz .LBB141_53
.LBB141_46:                             ;   in Loop: Header=BB141_40 Depth=1
	s_or_b32 exec_lo, exec_lo, s13
	global_load_b128 v[38:41], v[30:31], off offset:3072
	s_wait_xcnt 0x0
	s_and_saveexec_b32 s13, vcc_lo
	s_cbranch_execnz .LBB141_54
.LBB141_47:                             ;   in Loop: Header=BB141_40 Depth=1
	s_or_b32 exec_lo, exec_lo, s13
	global_load_b128 v[30:33], v[30:31], off offset:3584
	s_wait_xcnt 0x0
	s_and_saveexec_b32 s0, vcc_lo
	s_cbranch_execz .LBB141_39
	s_branch .LBB141_55
.LBB141_48:                             ;   in Loop: Header=BB141_40 Depth=1
	v_cmp_gt_i32_e64 s0, s23, v58
	s_wait_loadcnt 0x0
	v_dual_lshrrev_b32 v6, 16, v2 :: v_dual_lshrrev_b32 v8, 16, v4
	s_delay_alu instid0(VALU_DEP_2) | instskip(SKIP_1) | instid1(VALU_DEP_1)
	v_cndmask_b32_e64 v2, 0, v2, s0
	v_cmp_gt_i32_e64 s0, s12, v66
	v_dual_lshrrev_b32 v7, 16, v3 :: v_dual_cndmask_b32 v6, 0, v6, s0
	v_cmp_gt_i32_e64 s0, s23, v67
	s_delay_alu instid0(VALU_DEP_2) | instskip(NEXT) | instid1(VALU_DEP_2)
	v_perm_b32 v2, v6, v2, 0x5040100
	v_cndmask_b32_e64 v3, 0, v3, s0
	v_cmp_gt_i32_e64 s0, s12, v65
	s_delay_alu instid0(VALU_DEP_1) | instskip(SKIP_1) | instid1(VALU_DEP_1)
	v_cndmask_b32_e64 v7, 0, v7, s0
	v_cmp_gt_i32_e64 s0, s23, v64
	v_cndmask_b32_e64 v4, 0, v4, s0
	v_cmp_gt_i32_e64 s0, s12, v62
	v_lshrrev_b32_e32 v9, 16, v5
	v_perm_b32 v3, v7, v3, 0x5040100
	s_delay_alu instid0(VALU_DEP_3) | instskip(SKIP_1) | instid1(VALU_DEP_2)
	v_cndmask_b32_e64 v8, 0, v8, s0
	v_cmp_gt_i32_e64 s0, s23, v63
	v_perm_b32 v4, v8, v4, 0x5040100
	s_delay_alu instid0(VALU_DEP_2) | instskip(SKIP_1) | instid1(VALU_DEP_1)
	v_cndmask_b32_e64 v5, 0, v5, s0
	v_cmp_gt_i32_e64 s0, s12, v61
	v_cndmask_b32_e64 v9, 0, v9, s0
	s_delay_alu instid0(VALU_DEP_1)
	v_perm_b32 v5, v9, v5, 0x5040100
	s_or_b32 exec_lo, exec_lo, s13
	global_load_b128 v[6:9], v[30:31], off offset:512
	s_wait_xcnt 0x0
	s_and_saveexec_b32 s13, vcc_lo
	s_cbranch_execz .LBB141_42
.LBB141_49:                             ;   in Loop: Header=BB141_40 Depth=1
	v_cmp_gt_i32_e64 s0, s23, v58
	s_wait_loadcnt 0x0
	v_dual_lshrrev_b32 v14, 16, v6 :: v_dual_lshrrev_b32 v16, 16, v8
	s_delay_alu instid0(VALU_DEP_2) | instskip(SKIP_1) | instid1(VALU_DEP_1)
	v_cndmask_b32_e64 v6, 0, v6, s0
	v_cmp_gt_i32_e64 s0, s12, v66
	v_dual_lshrrev_b32 v15, 16, v7 :: v_dual_cndmask_b32 v14, 0, v14, s0
	v_cmp_gt_i32_e64 s0, s23, v67
	s_delay_alu instid0(VALU_DEP_2) | instskip(NEXT) | instid1(VALU_DEP_2)
	v_perm_b32 v6, v14, v6, 0x5040100
	v_cndmask_b32_e64 v7, 0, v7, s0
	v_cmp_gt_i32_e64 s0, s12, v65
	s_delay_alu instid0(VALU_DEP_1) | instskip(SKIP_1) | instid1(VALU_DEP_1)
	v_cndmask_b32_e64 v15, 0, v15, s0
	v_cmp_gt_i32_e64 s0, s23, v64
	v_cndmask_b32_e64 v8, 0, v8, s0
	v_cmp_gt_i32_e64 s0, s12, v62
	v_lshrrev_b32_e32 v17, 16, v9
	v_perm_b32 v7, v15, v7, 0x5040100
	s_delay_alu instid0(VALU_DEP_3) | instskip(SKIP_1) | instid1(VALU_DEP_2)
	v_cndmask_b32_e64 v16, 0, v16, s0
	v_cmp_gt_i32_e64 s0, s23, v63
	v_perm_b32 v8, v16, v8, 0x5040100
	s_delay_alu instid0(VALU_DEP_2) | instskip(SKIP_1) | instid1(VALU_DEP_1)
	v_cndmask_b32_e64 v9, 0, v9, s0
	v_cmp_gt_i32_e64 s0, s12, v61
	v_cndmask_b32_e64 v17, 0, v17, s0
	s_delay_alu instid0(VALU_DEP_1)
	v_perm_b32 v9, v17, v9, 0x5040100
	s_or_b32 exec_lo, exec_lo, s13
	global_load_b128 v[14:17], v[30:31], off offset:1024
	s_wait_xcnt 0x0
	s_and_saveexec_b32 s13, vcc_lo
	s_cbranch_execz .LBB141_43
.LBB141_50:                             ;   in Loop: Header=BB141_40 Depth=1
	v_cmp_gt_i32_e64 s0, s23, v58
	s_wait_loadcnt 0x0
	v_dual_lshrrev_b32 v22, 16, v14 :: v_dual_lshrrev_b32 v24, 16, v16
	s_delay_alu instid0(VALU_DEP_2) | instskip(SKIP_1) | instid1(VALU_DEP_1)
	v_cndmask_b32_e64 v14, 0, v14, s0
	v_cmp_gt_i32_e64 s0, s12, v66
	v_dual_lshrrev_b32 v23, 16, v15 :: v_dual_cndmask_b32 v22, 0, v22, s0
	v_cmp_gt_i32_e64 s0, s23, v67
	s_delay_alu instid0(VALU_DEP_2) | instskip(NEXT) | instid1(VALU_DEP_2)
	v_perm_b32 v14, v22, v14, 0x5040100
	v_cndmask_b32_e64 v15, 0, v15, s0
	v_cmp_gt_i32_e64 s0, s12, v65
	s_delay_alu instid0(VALU_DEP_1) | instskip(SKIP_1) | instid1(VALU_DEP_1)
	v_cndmask_b32_e64 v23, 0, v23, s0
	v_cmp_gt_i32_e64 s0, s23, v64
	v_cndmask_b32_e64 v16, 0, v16, s0
	v_cmp_gt_i32_e64 s0, s12, v62
	v_lshrrev_b32_e32 v25, 16, v17
	v_perm_b32 v15, v23, v15, 0x5040100
	s_delay_alu instid0(VALU_DEP_3) | instskip(SKIP_1) | instid1(VALU_DEP_2)
	v_cndmask_b32_e64 v24, 0, v24, s0
	v_cmp_gt_i32_e64 s0, s23, v63
	v_perm_b32 v16, v24, v16, 0x5040100
	s_delay_alu instid0(VALU_DEP_2) | instskip(SKIP_1) | instid1(VALU_DEP_1)
	v_cndmask_b32_e64 v17, 0, v17, s0
	v_cmp_gt_i32_e64 s0, s12, v61
	v_cndmask_b32_e64 v25, 0, v25, s0
	s_delay_alu instid0(VALU_DEP_1)
	v_perm_b32 v17, v25, v17, 0x5040100
	s_or_b32 exec_lo, exec_lo, s13
	global_load_b128 v[22:25], v[30:31], off offset:1536
	s_wait_xcnt 0x0
	s_and_saveexec_b32 s13, vcc_lo
	s_cbranch_execz .LBB141_44
.LBB141_51:                             ;   in Loop: Header=BB141_40 Depth=1
	v_cmp_gt_i32_e64 s0, s23, v58
	s_wait_loadcnt 0x0
	v_dual_lshrrev_b32 v26, 16, v22 :: v_dual_lshrrev_b32 v28, 16, v24
	s_delay_alu instid0(VALU_DEP_2) | instskip(SKIP_1) | instid1(VALU_DEP_1)
	v_cndmask_b32_e64 v22, 0, v22, s0
	v_cmp_gt_i32_e64 s0, s12, v66
	v_dual_lshrrev_b32 v27, 16, v23 :: v_dual_cndmask_b32 v26, 0, v26, s0
	v_cmp_gt_i32_e64 s0, s23, v67
	s_delay_alu instid0(VALU_DEP_2) | instskip(NEXT) | instid1(VALU_DEP_2)
	v_perm_b32 v22, v26, v22, 0x5040100
	v_cndmask_b32_e64 v23, 0, v23, s0
	v_cmp_gt_i32_e64 s0, s12, v65
	s_delay_alu instid0(VALU_DEP_1) | instskip(SKIP_1) | instid1(VALU_DEP_1)
	v_cndmask_b32_e64 v27, 0, v27, s0
	v_cmp_gt_i32_e64 s0, s23, v64
	v_cndmask_b32_e64 v24, 0, v24, s0
	v_cmp_gt_i32_e64 s0, s12, v62
	v_lshrrev_b32_e32 v29, 16, v25
	v_perm_b32 v23, v27, v23, 0x5040100
	s_delay_alu instid0(VALU_DEP_3) | instskip(SKIP_1) | instid1(VALU_DEP_2)
	v_cndmask_b32_e64 v28, 0, v28, s0
	v_cmp_gt_i32_e64 s0, s23, v63
	v_perm_b32 v24, v28, v24, 0x5040100
	s_delay_alu instid0(VALU_DEP_2) | instskip(SKIP_1) | instid1(VALU_DEP_1)
	v_cndmask_b32_e64 v25, 0, v25, s0
	v_cmp_gt_i32_e64 s0, s12, v61
	v_cndmask_b32_e64 v29, 0, v29, s0
	s_delay_alu instid0(VALU_DEP_1)
	v_perm_b32 v25, v29, v25, 0x5040100
	s_or_b32 exec_lo, exec_lo, s13
	global_load_b128 v[26:29], v[30:31], off offset:2048
	s_wait_xcnt 0x0
	s_and_saveexec_b32 s13, vcc_lo
	s_cbranch_execz .LBB141_45
.LBB141_52:                             ;   in Loop: Header=BB141_40 Depth=1
	v_cmp_gt_i32_e64 s0, s23, v58
	s_wait_loadcnt 0x0
	s_delay_alu instid0(VALU_DEP_1) | instskip(SKIP_1) | instid1(VALU_DEP_1)
	v_dual_lshrrev_b32 v32, 16, v26 :: v_dual_cndmask_b32 v26, 0, v26, s0
	v_cmp_gt_i32_e64 s0, s12, v66
	v_dual_lshrrev_b32 v33, 16, v27 :: v_dual_cndmask_b32 v32, 0, v32, s0
	v_cmp_gt_i32_e64 s0, s23, v67
	s_delay_alu instid0(VALU_DEP_2) | instskip(NEXT) | instid1(VALU_DEP_2)
	v_perm_b32 v26, v32, v26, 0x5040100
	v_cndmask_b32_e64 v27, 0, v27, s0
	v_cmp_gt_i32_e64 s0, s12, v65
	s_delay_alu instid0(VALU_DEP_1) | instskip(SKIP_2) | instid1(VALU_DEP_3)
	v_cndmask_b32_e64 v33, 0, v33, s0
	v_cmp_gt_i32_e64 s0, s23, v64
	v_lshrrev_b32_e32 v34, 16, v28
	v_perm_b32 v27, v33, v27, 0x5040100
	s_delay_alu instid0(VALU_DEP_3) | instskip(SKIP_1) | instid1(VALU_DEP_1)
	v_cndmask_b32_e64 v28, 0, v28, s0
	v_cmp_gt_i32_e64 s0, s12, v62
	v_dual_lshrrev_b32 v35, 16, v29 :: v_dual_cndmask_b32 v34, 0, v34, s0
	v_cmp_gt_i32_e64 s0, s23, v63
	s_delay_alu instid0(VALU_DEP_2) | instskip(NEXT) | instid1(VALU_DEP_2)
	v_perm_b32 v28, v34, v28, 0x5040100
	v_cndmask_b32_e64 v29, 0, v29, s0
	v_cmp_gt_i32_e64 s0, s12, v61
	s_delay_alu instid0(VALU_DEP_1) | instskip(NEXT) | instid1(VALU_DEP_1)
	v_cndmask_b32_e64 v35, 0, v35, s0
	v_perm_b32 v29, v35, v29, 0x5040100
	s_or_b32 exec_lo, exec_lo, s13
	global_load_b128 v[34:37], v[30:31], off offset:2560
	s_wait_xcnt 0x0
	s_and_saveexec_b32 s13, vcc_lo
	s_cbranch_execz .LBB141_46
.LBB141_53:                             ;   in Loop: Header=BB141_40 Depth=1
	v_cmp_gt_i32_e64 s0, s23, v58
	s_wait_loadcnt 0x0
	s_delay_alu instid0(VALU_DEP_1) | instskip(SKIP_1) | instid1(VALU_DEP_1)
	v_dual_lshrrev_b32 v32, 16, v34 :: v_dual_cndmask_b32 v33, 0, v34, s0
	v_cmp_gt_i32_e64 s0, s12, v66
	v_dual_lshrrev_b32 v34, 16, v35 :: v_dual_cndmask_b32 v32, 0, v32, s0
	v_cmp_gt_i32_e64 s0, s23, v67
	s_delay_alu instid0(VALU_DEP_1) | instskip(SKIP_1) | instid1(VALU_DEP_1)
	v_cndmask_b32_e64 v35, 0, v35, s0
	v_cmp_gt_i32_e64 s0, s12, v65
	v_cndmask_b32_e64 v38, 0, v34, s0
	v_cmp_gt_i32_e64 s0, s23, v64
	v_lshrrev_b32_e32 v34, 16, v36
	s_delay_alu instid0(VALU_DEP_3) | instskip(NEXT) | instid1(VALU_DEP_3)
	v_perm_b32 v35, v38, v35, 0x5040100
	v_cndmask_b32_e64 v36, 0, v36, s0
	v_cmp_gt_i32_e64 s0, s12, v62
	s_delay_alu instid0(VALU_DEP_1) | instskip(SKIP_2) | instid1(VALU_DEP_3)
	v_dual_lshrrev_b32 v39, 16, v37 :: v_dual_cndmask_b32 v40, 0, v34, s0
	v_cmp_gt_i32_e64 s0, s23, v63
	v_perm_b32 v34, v32, v33, 0x5040100
	v_perm_b32 v36, v40, v36, 0x5040100
	s_delay_alu instid0(VALU_DEP_3) | instskip(SKIP_1) | instid1(VALU_DEP_1)
	v_cndmask_b32_e64 v37, 0, v37, s0
	v_cmp_gt_i32_e64 s0, s12, v61
	v_cndmask_b32_e64 v39, 0, v39, s0
	s_delay_alu instid0(VALU_DEP_1)
	v_perm_b32 v37, v39, v37, 0x5040100
	s_or_b32 exec_lo, exec_lo, s13
	global_load_b128 v[38:41], v[30:31], off offset:3072
	s_wait_xcnt 0x0
	s_and_saveexec_b32 s13, vcc_lo
	s_cbranch_execz .LBB141_47
.LBB141_54:                             ;   in Loop: Header=BB141_40 Depth=1
	v_cmp_gt_i32_e64 s0, s23, v58
	s_wait_loadcnt 0x0
	s_delay_alu instid0(VALU_DEP_1) | instskip(SKIP_1) | instid1(VALU_DEP_1)
	v_dual_lshrrev_b32 v32, 16, v38 :: v_dual_cndmask_b32 v33, 0, v38, s0
	v_cmp_gt_i32_e64 s0, s12, v66
	v_dual_lshrrev_b32 v38, 16, v39 :: v_dual_cndmask_b32 v32, 0, v32, s0
	v_cmp_gt_i32_e64 s0, s23, v67
	s_delay_alu instid0(VALU_DEP_1) | instskip(SKIP_1) | instid1(VALU_DEP_1)
	v_cndmask_b32_e64 v39, 0, v39, s0
	v_cmp_gt_i32_e64 s0, s12, v65
	v_cndmask_b32_e64 v68, 0, v38, s0
	v_cmp_gt_i32_e64 s0, s23, v64
	v_lshrrev_b32_e32 v38, 16, v40
	s_delay_alu instid0(VALU_DEP_3) | instskip(NEXT) | instid1(VALU_DEP_3)
	v_perm_b32 v39, v68, v39, 0x5040100
	v_cndmask_b32_e64 v40, 0, v40, s0
	v_cmp_gt_i32_e64 s0, s12, v62
	s_delay_alu instid0(VALU_DEP_1) | instskip(SKIP_2) | instid1(VALU_DEP_3)
	v_dual_lshrrev_b32 v69, 16, v41 :: v_dual_cndmask_b32 v70, 0, v38, s0
	v_cmp_gt_i32_e64 s0, s23, v63
	v_perm_b32 v38, v32, v33, 0x5040100
	v_perm_b32 v40, v70, v40, 0x5040100
	s_delay_alu instid0(VALU_DEP_3) | instskip(SKIP_1) | instid1(VALU_DEP_1)
	v_cndmask_b32_e64 v41, 0, v41, s0
	v_cmp_gt_i32_e64 s0, s12, v61
	v_cndmask_b32_e64 v69, 0, v69, s0
	s_delay_alu instid0(VALU_DEP_1)
	v_perm_b32 v41, v69, v41, 0x5040100
	s_or_b32 exec_lo, exec_lo, s13
	global_load_b128 v[30:33], v[30:31], off offset:3584
	s_wait_xcnt 0x0
	s_and_saveexec_b32 s0, vcc_lo
	s_cbranch_execz .LBB141_39
.LBB141_55:                             ;   in Loop: Header=BB141_40 Depth=1
	v_cmp_gt_i32_e32 vcc_lo, s23, v58
	s_wait_loadcnt 0x0
	v_dual_lshrrev_b32 v68, 16, v30 :: v_dual_cndmask_b32 v30, 0, v30, vcc_lo
	v_cmp_gt_i32_e32 vcc_lo, s12, v66
	s_delay_alu instid0(VALU_DEP_2) | instskip(SKIP_1) | instid1(VALU_DEP_2)
	v_dual_cndmask_b32 v66, 0, v68 :: v_dual_lshrrev_b32 v69, 16, v31
	v_cmp_gt_i32_e32 vcc_lo, s23, v67
	v_perm_b32 v30, v66, v30, 0x5040100
	v_cndmask_b32_e32 v31, 0, v31, vcc_lo
	v_cmp_gt_i32_e32 vcc_lo, s12, v65
	v_cndmask_b32_e32 v65, 0, v69, vcc_lo
	v_cmp_gt_i32_e32 vcc_lo, s23, v64
	v_lshrrev_b32_e32 v67, 16, v32
	s_delay_alu instid0(VALU_DEP_3) | instskip(SKIP_2) | instid1(VALU_DEP_4)
	v_perm_b32 v31, v65, v31, 0x5040100
	v_cndmask_b32_e32 v32, 0, v32, vcc_lo
	v_cmp_gt_i32_e32 vcc_lo, s12, v62
	v_dual_lshrrev_b32 v64, 16, v33 :: v_dual_cndmask_b32 v62, 0, v67, vcc_lo
	v_cmp_gt_i32_e32 vcc_lo, s23, v63
	s_delay_alu instid0(VALU_DEP_2) | instskip(SKIP_3) | instid1(VALU_DEP_1)
	v_perm_b32 v32, v62, v32, 0x5040100
	v_cndmask_b32_e32 v33, 0, v33, vcc_lo
	v_cmp_gt_i32_e32 vcc_lo, s12, v61
	v_cndmask_b32_e32 v61, 0, v64, vcc_lo
	v_perm_b32 v33, v61, v33, 0x5040100
	s_branch .LBB141_39
.LBB141_56:
	s_or_b32 exec_lo, exec_lo, s9
.LBB141_57:
	s_delay_alu instid0(SALU_CYCLE_1)
	s_or_b32 exec_lo, exec_lo, s1
	ds_bpermute_b32 v2, v57, v48
	ds_bpermute_b32 v3, v57, v49
	;; [unrolled: 1-line block ×8, first 2 shown]
	v_and_b32_e32 v11, 0x3c1, v0
	v_lshrrev_b32_e32 v10, 1, v56
	s_mov_b32 s0, exec_lo
	s_wait_dscnt 0x0
	s_barrier_signal -1
	s_barrier_wait -1
	v_pk_add_f32 v[6:7], v[48:49], v[2:3]
	v_pk_add_f32 v[4:5], v[46:47], v[4:5]
	;; [unrolled: 1-line block ×3, first 2 shown]
	v_cmpx_ne_u32_e32 64, v11
	s_xor_b32 s0, exec_lo, s0
	s_delay_alu instid0(SALU_CYCLE_1)
	s_or_saveexec_b32 s0, s0
	v_pk_add_f32 v[8:9], v[42:43], v[8:9]
	v_lshl_add_u32 v11, v10, 2, 0x120
	v_lshlrev_b32_e32 v12, 9, v55
	s_xor_b32 exec_lo, exec_lo, s0
	s_cbranch_execz .LBB141_59
; %bb.58:
	s_delay_alu instid0(VALU_DEP_1) | instskip(NEXT) | instid1(VALU_DEP_1)
	v_add_nc_u32_e32 v13, v11, v12
	v_add_nc_u32_e32 v14, 0xfffffc00, v13
	;; [unrolled: 1-line block ×9, first 2 shown]
	ds_store_b32 v14, v6
	ds_store_b32 v15, v7
	;; [unrolled: 1-line block ×8, first 2 shown]
.LBB141_59:
	s_or_b32 exec_lo, exec_lo, s0
	v_lshlrev_b32_e32 v10, 2, v10
	s_mov_b32 s1, exec_lo
	v_cmp_eq_u32_e32 vcc_lo, 0, v54
	s_wait_dscnt 0x0
	s_barrier_signal -1
	v_add3_u32 v10, 0x120, v12, v10
	s_barrier_wait -1
	v_cmpx_gt_u32_e32 64, v0
	s_cbranch_execz .LBB141_70
; %bb.60:
	s_and_saveexec_b32 s0, vcc_lo
	s_cbranch_execnz .LBB141_86
; %bb.61:
	s_or_b32 exec_lo, exec_lo, s0
	s_and_saveexec_b32 s0, vcc_lo
	s_cbranch_execnz .LBB141_87
.LBB141_62:
	s_or_b32 exec_lo, exec_lo, s0
	s_and_saveexec_b32 s0, vcc_lo
	s_cbranch_execnz .LBB141_88
.LBB141_63:
	s_or_b32 exec_lo, exec_lo, s0
	s_and_saveexec_b32 s0, vcc_lo
	s_cbranch_execnz .LBB141_89
.LBB141_64:
	s_or_b32 exec_lo, exec_lo, s0
	s_and_saveexec_b32 s0, vcc_lo
	s_cbranch_execnz .LBB141_90
.LBB141_65:
	s_or_b32 exec_lo, exec_lo, s0
	s_and_saveexec_b32 s0, vcc_lo
	s_cbranch_execnz .LBB141_91
.LBB141_66:
	s_or_b32 exec_lo, exec_lo, s0
	s_and_saveexec_b32 s0, vcc_lo
	s_cbranch_execnz .LBB141_92
.LBB141_67:
	s_or_b32 exec_lo, exec_lo, s0
	s_and_saveexec_b32 s0, vcc_lo
	s_cbranch_execz .LBB141_69
.LBB141_68:
	ds_load_b32 v12, v10 offset:448
	s_wait_dscnt 0x0
	v_add_f32_e32 v9, v9, v12
.LBB141_69:
	s_or_b32 exec_lo, exec_lo, s0
.LBB141_70:
	s_delay_alu instid0(SALU_CYCLE_1) | instskip(SKIP_4) | instid1(VALU_DEP_1)
	s_or_b32 exec_lo, exec_lo, s1
	v_and_b32_e32 v0, 0x3e1, v0
	s_mov_b32 s1, exec_lo
	s_barrier_signal -1
	s_barrier_wait -1
	v_cmpx_eq_u32_e32 32, v0
	s_cbranch_execz .LBB141_72
; %bb.71:
	ds_store_2addr_b32 v11, v6, v7 offset1:16
	ds_store_2addr_b32 v11, v4, v5 offset0:32 offset1:48
	ds_store_2addr_b32 v11, v2, v3 offset0:64 offset1:80
	ds_store_2addr_b32 v11, v8, v9 offset0:96 offset1:112
.LBB141_72:
	s_or_b32 exec_lo, exec_lo, s1
	s_wait_dscnt 0x0
	s_barrier_signal -1
	s_barrier_wait -1
	s_and_saveexec_b32 s0, s2
	s_cbranch_execz .LBB141_83
; %bb.73:
	s_and_saveexec_b32 s1, vcc_lo
	s_cbranch_execnz .LBB141_93
; %bb.74:
	s_or_b32 exec_lo, exec_lo, s1
	s_and_saveexec_b32 s1, vcc_lo
	s_cbranch_execnz .LBB141_94
.LBB141_75:
	s_or_b32 exec_lo, exec_lo, s1
	s_and_saveexec_b32 s1, vcc_lo
	s_cbranch_execnz .LBB141_95
.LBB141_76:
	s_or_b32 exec_lo, exec_lo, s1
	s_and_saveexec_b32 s1, vcc_lo
	s_cbranch_execnz .LBB141_96
.LBB141_77:
	s_or_b32 exec_lo, exec_lo, s1
	s_and_saveexec_b32 s1, vcc_lo
	s_cbranch_execnz .LBB141_97
.LBB141_78:
	s_or_b32 exec_lo, exec_lo, s1
	s_and_saveexec_b32 s1, vcc_lo
	s_cbranch_execnz .LBB141_98
.LBB141_79:
	s_or_b32 exec_lo, exec_lo, s1
	s_and_saveexec_b32 s1, vcc_lo
	s_cbranch_execnz .LBB141_99
.LBB141_80:
	s_or_b32 exec_lo, exec_lo, s1
	s_and_saveexec_b32 s1, vcc_lo
	s_cbranch_execz .LBB141_82
.LBB141_81:
	ds_load_b32 v10, v10 offset:448
	s_wait_dscnt 0x0
	v_add_f32_e32 v9, v9, v10
.LBB141_82:
	s_or_b32 exec_lo, exec_lo, s1
.LBB141_83:
	s_delay_alu instid0(SALU_CYCLE_1)
	s_or_b32 exec_lo, exec_lo, s0
	s_mov_b32 s1, 0
	s_barrier_signal -1
	s_barrier_wait -1
	s_mov_b32 s0, exec_lo
	v_cmpx_eq_u32_e32 0, v0
	s_cbranch_execz .LBB141_85
; %bb.84:
	s_wait_kmcnt 0x0
	s_mul_i32 s0, s22, s7
	s_mul_i32 s2, s7, s6
	s_mul_i32 s0, s0, s21
	s_lshr_b32 s6, ttmp7, 16
	s_lshl_b32 s4, s0, 7
	s_bfe_u32 s0, ttmp6, 0x40014
	s_ashr_i32 s5, s4, 31
	s_add_co_i32 s0, s0, 1
	s_ashr_i32 s3, s2, 31
	s_mul_i32 s0, s6, s0
	s_bfe_u32 s7, ttmp6, 0x40008
	s_lshl_b64 s[4:5], s[4:5], 1
	s_lshl_b64 s[2:3], s[2:3], 1
	s_add_co_i32 s7, s7, s0
	s_cmp_eq_u32 s20, 0
	s_add_nc_u64 s[4:5], s[10:11], s[4:5]
	s_cselect_b32 s0, s6, s7
	s_add_nc_u64 s[2:3], s[4:5], s[2:3]
	s_lshl_b32 s0, s0, 8
	s_delay_alu instid0(SALU_CYCLE_1) | instskip(NEXT) | instid1(SALU_CYCLE_1)
	s_add_nc_u64 s[0:1], s[2:3], s[0:1]
	v_cvt_pk_bf16_f32 v0, v6, s0
	v_cvt_pk_bf16_f32 v6, v7, s0
	;; [unrolled: 1-line block ×8, first 2 shown]
	s_clause 0x7
	global_store_b16 v1, v0, s[0:1] scale_offset
	global_store_b16 v1, v6, s[0:1] offset:32 scale_offset
	global_store_b16 v1, v4, s[0:1] offset:64 scale_offset
	;; [unrolled: 1-line block ×7, first 2 shown]
.LBB141_85:
	s_sendmsg sendmsg(MSG_DEALLOC_VGPRS)
	s_endpgm
.LBB141_86:
	ds_load_b32 v12, v10
	s_wait_dscnt 0x0
	v_add_f32_e32 v6, v6, v12
	s_or_b32 exec_lo, exec_lo, s0
	s_and_saveexec_b32 s0, vcc_lo
	s_cbranch_execz .LBB141_62
.LBB141_87:
	ds_load_b32 v12, v10 offset:64
	s_wait_dscnt 0x0
	v_add_f32_e32 v7, v7, v12
	s_or_b32 exec_lo, exec_lo, s0
	s_and_saveexec_b32 s0, vcc_lo
	s_cbranch_execz .LBB141_63
.LBB141_88:
	ds_load_b32 v12, v10 offset:128
	s_wait_dscnt 0x0
	v_add_f32_e32 v4, v4, v12
	s_or_b32 exec_lo, exec_lo, s0
	s_and_saveexec_b32 s0, vcc_lo
	s_cbranch_execz .LBB141_64
.LBB141_89:
	ds_load_b32 v12, v10 offset:192
	s_wait_dscnt 0x0
	v_add_f32_e32 v5, v5, v12
	s_or_b32 exec_lo, exec_lo, s0
	s_and_saveexec_b32 s0, vcc_lo
	s_cbranch_execz .LBB141_65
.LBB141_90:
	ds_load_b32 v12, v10 offset:256
	s_wait_dscnt 0x0
	v_add_f32_e32 v2, v2, v12
	s_or_b32 exec_lo, exec_lo, s0
	s_and_saveexec_b32 s0, vcc_lo
	s_cbranch_execz .LBB141_66
.LBB141_91:
	ds_load_b32 v12, v10 offset:320
	s_wait_dscnt 0x0
	v_add_f32_e32 v3, v3, v12
	s_or_b32 exec_lo, exec_lo, s0
	s_and_saveexec_b32 s0, vcc_lo
	s_cbranch_execz .LBB141_67
.LBB141_92:
	ds_load_b32 v12, v10 offset:384
	s_wait_dscnt 0x0
	v_add_f32_e32 v8, v8, v12
	s_or_b32 exec_lo, exec_lo, s0
	s_and_saveexec_b32 s0, vcc_lo
	s_cbranch_execnz .LBB141_68
	s_branch .LBB141_69
.LBB141_93:
	ds_load_b32 v11, v10
	s_wait_dscnt 0x0
	v_add_f32_e32 v6, v6, v11
	s_or_b32 exec_lo, exec_lo, s1
	s_and_saveexec_b32 s1, vcc_lo
	s_cbranch_execz .LBB141_75
.LBB141_94:
	ds_load_b32 v11, v10 offset:64
	s_wait_dscnt 0x0
	v_add_f32_e32 v7, v7, v11
	s_or_b32 exec_lo, exec_lo, s1
	s_and_saveexec_b32 s1, vcc_lo
	s_cbranch_execz .LBB141_76
.LBB141_95:
	ds_load_b32 v11, v10 offset:128
	s_wait_dscnt 0x0
	v_add_f32_e32 v4, v4, v11
	s_or_b32 exec_lo, exec_lo, s1
	s_and_saveexec_b32 s1, vcc_lo
	s_cbranch_execz .LBB141_77
.LBB141_96:
	ds_load_b32 v11, v10 offset:192
	s_wait_dscnt 0x0
	v_add_f32_e32 v5, v5, v11
	s_or_b32 exec_lo, exec_lo, s1
	s_and_saveexec_b32 s1, vcc_lo
	s_cbranch_execz .LBB141_78
.LBB141_97:
	ds_load_b32 v11, v10 offset:256
	s_wait_dscnt 0x0
	v_add_f32_e32 v2, v2, v11
	s_or_b32 exec_lo, exec_lo, s1
	s_and_saveexec_b32 s1, vcc_lo
	s_cbranch_execz .LBB141_79
.LBB141_98:
	ds_load_b32 v11, v10 offset:320
	s_wait_dscnt 0x0
	v_add_f32_e32 v3, v3, v11
	s_or_b32 exec_lo, exec_lo, s1
	s_and_saveexec_b32 s1, vcc_lo
	s_cbranch_execz .LBB141_80
.LBB141_99:
	ds_load_b32 v11, v10 offset:384
	s_wait_dscnt 0x0
	v_add_f32_e32 v8, v8, v11
	s_or_b32 exec_lo, exec_lo, s1
	s_and_saveexec_b32 s1, vcc_lo
	s_cbranch_execnz .LBB141_81
	s_branch .LBB141_82
	.section	.rodata,"a",@progbits
	.p2align	6, 0x0
	.amdhsa_kernel _ZN4vllm25paged_attention_v1_kernelI14__hip_bfloat16S1_Li128ELi16ELi128ELNS_18Fp8KVCacheDataTypeE0ELb0EEEvPT_PKS3_PKT0_S9_ifPKiSB_iPKfiiiSD_SD_iiiii
		.amdhsa_group_segment_fixed_size 288
		.amdhsa_private_segment_fixed_size 0
		.amdhsa_kernarg_size 384
		.amdhsa_user_sgpr_count 2
		.amdhsa_user_sgpr_dispatch_ptr 0
		.amdhsa_user_sgpr_queue_ptr 0
		.amdhsa_user_sgpr_kernarg_segment_ptr 1
		.amdhsa_user_sgpr_dispatch_id 0
		.amdhsa_user_sgpr_kernarg_preload_length 0
		.amdhsa_user_sgpr_kernarg_preload_offset 0
		.amdhsa_user_sgpr_private_segment_size 0
		.amdhsa_wavefront_size32 1
		.amdhsa_uses_dynamic_stack 0
		.amdhsa_enable_private_segment 0
		.amdhsa_system_sgpr_workgroup_id_x 1
		.amdhsa_system_sgpr_workgroup_id_y 1
		.amdhsa_system_sgpr_workgroup_id_z 1
		.amdhsa_system_sgpr_workgroup_info 0
		.amdhsa_system_vgpr_workitem_id 0
		.amdhsa_next_free_vgpr 116
		.amdhsa_next_free_sgpr 28
		.amdhsa_named_barrier_count 0
		.amdhsa_reserve_vcc 1
		.amdhsa_float_round_mode_32 0
		.amdhsa_float_round_mode_16_64 0
		.amdhsa_float_denorm_mode_32 3
		.amdhsa_float_denorm_mode_16_64 3
		.amdhsa_fp16_overflow 0
		.amdhsa_memory_ordered 1
		.amdhsa_forward_progress 1
		.amdhsa_inst_pref_size 70
		.amdhsa_round_robin_scheduling 0
		.amdhsa_exception_fp_ieee_invalid_op 0
		.amdhsa_exception_fp_denorm_src 0
		.amdhsa_exception_fp_ieee_div_zero 0
		.amdhsa_exception_fp_ieee_overflow 0
		.amdhsa_exception_fp_ieee_underflow 0
		.amdhsa_exception_fp_ieee_inexact 0
		.amdhsa_exception_int_div_zero 0
	.end_amdhsa_kernel
	.section	.text._ZN4vllm25paged_attention_v1_kernelI14__hip_bfloat16S1_Li128ELi16ELi128ELNS_18Fp8KVCacheDataTypeE0ELb0EEEvPT_PKS3_PKT0_S9_ifPKiSB_iPKfiiiSD_SD_iiiii,"axG",@progbits,_ZN4vllm25paged_attention_v1_kernelI14__hip_bfloat16S1_Li128ELi16ELi128ELNS_18Fp8KVCacheDataTypeE0ELb0EEEvPT_PKS3_PKT0_S9_ifPKiSB_iPKfiiiSD_SD_iiiii,comdat
.Lfunc_end141:
	.size	_ZN4vllm25paged_attention_v1_kernelI14__hip_bfloat16S1_Li128ELi16ELi128ELNS_18Fp8KVCacheDataTypeE0ELb0EEEvPT_PKS3_PKT0_S9_ifPKiSB_iPKfiiiSD_SD_iiiii, .Lfunc_end141-_ZN4vllm25paged_attention_v1_kernelI14__hip_bfloat16S1_Li128ELi16ELi128ELNS_18Fp8KVCacheDataTypeE0ELb0EEEvPT_PKS3_PKT0_S9_ifPKiSB_iPKfiiiSD_SD_iiiii
                                        ; -- End function
	.set _ZN4vllm25paged_attention_v1_kernelI14__hip_bfloat16S1_Li128ELi16ELi128ELNS_18Fp8KVCacheDataTypeE0ELb0EEEvPT_PKS3_PKT0_S9_ifPKiSB_iPKfiiiSD_SD_iiiii.num_vgpr, 116
	.set _ZN4vllm25paged_attention_v1_kernelI14__hip_bfloat16S1_Li128ELi16ELi128ELNS_18Fp8KVCacheDataTypeE0ELb0EEEvPT_PKS3_PKT0_S9_ifPKiSB_iPKfiiiSD_SD_iiiii.num_agpr, 0
	.set _ZN4vllm25paged_attention_v1_kernelI14__hip_bfloat16S1_Li128ELi16ELi128ELNS_18Fp8KVCacheDataTypeE0ELb0EEEvPT_PKS3_PKT0_S9_ifPKiSB_iPKfiiiSD_SD_iiiii.numbered_sgpr, 28
	.set _ZN4vllm25paged_attention_v1_kernelI14__hip_bfloat16S1_Li128ELi16ELi128ELNS_18Fp8KVCacheDataTypeE0ELb0EEEvPT_PKS3_PKT0_S9_ifPKiSB_iPKfiiiSD_SD_iiiii.num_named_barrier, 0
	.set _ZN4vllm25paged_attention_v1_kernelI14__hip_bfloat16S1_Li128ELi16ELi128ELNS_18Fp8KVCacheDataTypeE0ELb0EEEvPT_PKS3_PKT0_S9_ifPKiSB_iPKfiiiSD_SD_iiiii.private_seg_size, 0
	.set _ZN4vllm25paged_attention_v1_kernelI14__hip_bfloat16S1_Li128ELi16ELi128ELNS_18Fp8KVCacheDataTypeE0ELb0EEEvPT_PKS3_PKT0_S9_ifPKiSB_iPKfiiiSD_SD_iiiii.uses_vcc, 1
	.set _ZN4vllm25paged_attention_v1_kernelI14__hip_bfloat16S1_Li128ELi16ELi128ELNS_18Fp8KVCacheDataTypeE0ELb0EEEvPT_PKS3_PKT0_S9_ifPKiSB_iPKfiiiSD_SD_iiiii.uses_flat_scratch, 0
	.set _ZN4vllm25paged_attention_v1_kernelI14__hip_bfloat16S1_Li128ELi16ELi128ELNS_18Fp8KVCacheDataTypeE0ELb0EEEvPT_PKS3_PKT0_S9_ifPKiSB_iPKfiiiSD_SD_iiiii.has_dyn_sized_stack, 0
	.set _ZN4vllm25paged_attention_v1_kernelI14__hip_bfloat16S1_Li128ELi16ELi128ELNS_18Fp8KVCacheDataTypeE0ELb0EEEvPT_PKS3_PKT0_S9_ifPKiSB_iPKfiiiSD_SD_iiiii.has_recursion, 0
	.set _ZN4vllm25paged_attention_v1_kernelI14__hip_bfloat16S1_Li128ELi16ELi128ELNS_18Fp8KVCacheDataTypeE0ELb0EEEvPT_PKS3_PKT0_S9_ifPKiSB_iPKfiiiSD_SD_iiiii.has_indirect_call, 0
	.section	.AMDGPU.csdata,"",@progbits
; Kernel info:
; codeLenInByte = 8876
; TotalNumSgprs: 30
; NumVgprs: 116
; ScratchSize: 0
; MemoryBound: 0
; FloatMode: 240
; IeeeMode: 1
; LDSByteSize: 288 bytes/workgroup (compile time only)
; SGPRBlocks: 0
; VGPRBlocks: 7
; NumSGPRsForWavesPerEU: 30
; NumVGPRsForWavesPerEU: 116
; NamedBarCnt: 0
; Occupancy: 8
; WaveLimiterHint : 1
; COMPUTE_PGM_RSRC2:SCRATCH_EN: 0
; COMPUTE_PGM_RSRC2:USER_SGPR: 2
; COMPUTE_PGM_RSRC2:TRAP_HANDLER: 0
; COMPUTE_PGM_RSRC2:TGID_X_EN: 1
; COMPUTE_PGM_RSRC2:TGID_Y_EN: 1
; COMPUTE_PGM_RSRC2:TGID_Z_EN: 1
; COMPUTE_PGM_RSRC2:TIDIG_COMP_CNT: 0
	.section	.text._ZN4vllm25paged_attention_v1_kernelI14__hip_bfloat16S1_Li192ELi16ELi128ELNS_18Fp8KVCacheDataTypeE0ELb0EEEvPT_PKS3_PKT0_S9_ifPKiSB_iPKfiiiSD_SD_iiiii,"axG",@progbits,_ZN4vllm25paged_attention_v1_kernelI14__hip_bfloat16S1_Li192ELi16ELi128ELNS_18Fp8KVCacheDataTypeE0ELb0EEEvPT_PKS3_PKT0_S9_ifPKiSB_iPKfiiiSD_SD_iiiii,comdat
	.protected	_ZN4vllm25paged_attention_v1_kernelI14__hip_bfloat16S1_Li192ELi16ELi128ELNS_18Fp8KVCacheDataTypeE0ELb0EEEvPT_PKS3_PKT0_S9_ifPKiSB_iPKfiiiSD_SD_iiiii ; -- Begin function _ZN4vllm25paged_attention_v1_kernelI14__hip_bfloat16S1_Li192ELi16ELi128ELNS_18Fp8KVCacheDataTypeE0ELb0EEEvPT_PKS3_PKT0_S9_ifPKiSB_iPKfiiiSD_SD_iiiii
	.globl	_ZN4vllm25paged_attention_v1_kernelI14__hip_bfloat16S1_Li192ELi16ELi128ELNS_18Fp8KVCacheDataTypeE0ELb0EEEvPT_PKS3_PKT0_S9_ifPKiSB_iPKfiiiSD_SD_iiiii
	.p2align	8
	.type	_ZN4vllm25paged_attention_v1_kernelI14__hip_bfloat16S1_Li192ELi16ELi128ELNS_18Fp8KVCacheDataTypeE0ELb0EEEvPT_PKS3_PKT0_S9_ifPKiSB_iPKfiiiSD_SD_iiiii,@function
_ZN4vllm25paged_attention_v1_kernelI14__hip_bfloat16S1_Li192ELi16ELi128ELNS_18Fp8KVCacheDataTypeE0ELb0EEEvPT_PKS3_PKT0_S9_ifPKiSB_iPKfiiiSD_SD_iiiii: ; @_ZN4vllm25paged_attention_v1_kernelI14__hip_bfloat16S1_Li192ELi16ELi128ELNS_18Fp8KVCacheDataTypeE0ELb0EEEvPT_PKS3_PKT0_S9_ifPKiSB_iPKfiiiSD_SD_iiiii
; %bb.0:
	s_load_b64 s[6:7], s[0:1], 0x20
	s_bfe_u32 s3, ttmp6, 0x4000c
	s_bfe_u32 s5, ttmp6, 0x40010
	s_and_b32 s4, ttmp7, 0xffff
	s_add_co_i32 s3, s3, 1
	s_add_co_i32 s5, s5, 1
	s_and_b32 s2, ttmp6, 15
	s_bfe_u32 s8, ttmp6, 0x40004
	s_mul_i32 s3, ttmp9, s3
	s_mul_i32 s5, s4, s5
	s_getreg_b32 s18, hwreg(HW_REG_IB_STS2, 6, 4)
	s_add_co_i32 s2, s2, s3
	s_add_co_i32 s8, s8, s5
	s_cmp_eq_u32 s18, 0
	s_clause 0x1
	s_load_b32 s19, s[0:1], 0x80
	s_load_b64 s[10:11], s[0:1], 0x30
	s_cselect_b32 s20, s4, s8
	s_cselect_b32 s8, ttmp9, s2
	s_wait_kmcnt 0x0
	s_abs_i32 s2, s6
	s_delay_alu instid0(SALU_CYCLE_1) | instskip(SKIP_1) | instid1(SALU_CYCLE_2)
	s_cvt_f32_u32 s3, s2
	s_sub_co_i32 s4, 0, s2
	v_rcp_iflag_f32_e32 v1, s3
	s_abs_i32 s5, s19
	v_nop
	s_delay_alu instid0(TRANS32_DEP_1) | instskip(SKIP_1) | instid1(SALU_CYCLE_3)
	v_readfirstlane_b32 s3, v1
	s_mul_f32 s3, s3, 0x4f7ffffe
	s_cvt_u32_f32 s3, s3
	s_delay_alu instid0(SALU_CYCLE_3) | instskip(NEXT) | instid1(SALU_CYCLE_1)
	s_mul_i32 s4, s4, s3
	s_mul_hi_u32 s4, s3, s4
	s_delay_alu instid0(SALU_CYCLE_1) | instskip(SKIP_4) | instid1(SALU_CYCLE_1)
	s_add_co_i32 s3, s3, s4
	s_xor_b32 s4, s19, s6
	s_mul_hi_u32 s3, s5, s3
	s_ashr_i32 s4, s4, 31
	s_mul_i32 s6, s3, s2
	s_sub_co_i32 s5, s5, s6
	s_add_co_i32 s6, s3, 1
	s_sub_co_i32 s9, s5, s2
	s_cmp_ge_u32 s5, s2
	s_cselect_b32 s3, s6, s3
	s_cselect_b32 s5, s9, s5
	s_add_co_i32 s6, s3, 1
	s_cmp_ge_u32 s5, s2
	s_cselect_b32 s2, s6, s3
	s_mov_b32 s3, 0
	s_xor_b32 s2, s2, s4
	s_mov_b32 s13, s3
	s_sub_co_i32 s15, s2, s4
	s_load_b64 s[4:5], s[0:1], 0x40
	s_abs_i32 s14, s15
	s_mov_b32 s23, s3
	s_cvt_f32_u32 s2, s14
	s_delay_alu instid0(SALU_CYCLE_3) | instskip(SKIP_1) | instid1(TRANS32_DEP_1)
	v_rcp_iflag_f32_e32 v1, s2
	v_nop
	v_readfirstlane_b32 s2, v1
	s_mul_f32 s2, s2, 0x4f7ffffe
	s_delay_alu instid0(SALU_CYCLE_3) | instskip(SKIP_1) | instid1(SALU_CYCLE_2)
	s_cvt_u32_f32 s6, s2
	s_sub_co_i32 s2, 0, s14
	s_mul_i32 s2, s2, s6
	s_delay_alu instid0(SALU_CYCLE_1)
	s_mul_hi_u32 s9, s6, s2
	s_abs_i32 s2, s8
	s_add_co_i32 s12, s6, s9
	s_wait_kmcnt 0x0
	s_cmp_eq_u64 s[4:5], 0
	s_cbranch_scc1 .LBB142_2
; %bb.1:
	s_ashr_i32 s9, s8, 31
	s_delay_alu instid0(SALU_CYCLE_1) | instskip(NEXT) | instid1(SALU_CYCLE_1)
	s_lshl_b64 s[16:17], s[8:9], 2
	s_add_nc_u64 s[4:5], s[4:5], s[16:17]
	s_load_b32 s23, s[4:5], 0x0
.LBB142_2:
	s_load_b32 s21, s[10:11], s20 offset:0x0 scale_offset
	s_wait_xcnt 0x0
	s_load_b96 s[4:6], s[0:1], 0x48
	v_dual_lshrrev_b32 v1, 1, v0 :: v_dual_bitop2_b32 v113, 1, v0 bitop3:0x40
	s_ashr_i32 s16, s8, 31
	s_ashr_i32 s15, s15, 31
	s_mul_u64 s[10:11], s[2:3], s[12:13]
	s_mulk_i32 s8, 0xc0
	s_mov_b32 s3, exec_lo
	v_cmpx_gt_u32_e32 48, v0
	s_cbranch_execz .LBB142_4
; %bb.3:
	s_load_b64 s[12:13], s[0:1], 0x8
	s_wait_kmcnt 0x0
	s_mul_i32 s24, s4, s20
	s_ashr_i32 s9, s8, 31
	s_ashr_i32 s25, s24, 31
	v_lshlrev_b32_e32 v4, 3, v1
	s_lshl_b64 s[24:25], s[24:25], 1
	s_delay_alu instid0(VALU_DEP_1) | instskip(SKIP_2) | instid1(SALU_CYCLE_1)
	v_mad_u32_u24 v4, 0xc0, v113, v4
	s_add_nc_u64 s[12:13], s[12:13], s[24:25]
	s_lshl_b64 s[24:25], s[8:9], 1
	s_add_nc_u64 s[12:13], s[12:13], s[24:25]
	global_load_b64 v[2:3], v0, s[12:13] scale_offset
	s_wait_loadcnt 0x0
	ds_store_b64 v4, v[2:3]
.LBB142_4:
	s_or_b32 exec_lo, exec_lo, s3
	s_wait_kmcnt 0x0
	s_add_co_i32 s3, s21, 15
	s_load_b32 s4, s[0:1], 0x38
	s_ashr_i32 s9, s3, 31
	s_mul_i32 s12, s11, s14
	s_lshr_b32 s9, s9, 28
	s_sub_co_i32 s2, s2, s12
	s_add_co_i32 s3, s3, s9
	s_xor_b32 s10, s16, s15
	s_ashr_i32 s22, s3, 4
	s_add_co_i32 s3, s11, 1
	s_sub_co_i32 s9, s2, s14
	s_cmp_ge_u32 s2, s14
	v_lshrrev_b32_e32 v75, 5, v0
	s_cselect_b32 s3, s3, s11
	s_cselect_b32 s2, s9, s2
	s_add_co_i32 s9, s3, 1
	s_cmp_ge_u32 s2, s14
	v_mbcnt_lo_u32_b32 v12, -1, 0
	s_cselect_b32 s2, s9, s3
	s_wait_dscnt 0x0
	s_xor_b32 s2, s2, s10
	s_barrier_signal -1
	s_sub_co_i32 s3, s2, s10
	v_cmp_gt_i32_e64 s2, s22, v75
	s_wait_kmcnt 0x0
	s_mul_i32 s10, s4, s20
	s_mov_b32 s4, exec_lo
	s_ashr_i32 s11, s10, 31
	s_barrier_wait -1
                                        ; implicit-def: $vgpr3
                                        ; implicit-def: $vgpr66
	v_cmpx_le_i32_e64 s22, v75
	s_xor_b32 s4, exec_lo, s4
; %bb.5:
	v_dual_mov_b32 v3, 0 :: v_dual_mov_b32 v66, 32
	v_mbcnt_lo_u32_b32 v12, -1, 0
; %bb.6:
	s_or_saveexec_b32 s24, s4
	s_clause 0x1
	s_load_b64 s[12:13], s[0:1], 0x28
	s_load_b32 s9, s[0:1], 0x88
	v_dual_mov_b32 v2, 0xff7fffff :: v_dual_lshlrev_b32 v11, 3, v0
	v_lshrrev_b32_e32 v74, 3, v0
	s_mul_i32 s14, s3, s6
	s_xor_b32 exec_lo, exec_lo, s24
	s_cbranch_execz .LBB142_12
; %bb.7:
	v_mul_u32_u24_e32 v66, 0xc0, v113
	s_load_b64 s[16:17], s[0:1], 0x10
	s_ashr_i32 s15, s14, 31
	s_mov_b32 s6, 0
	s_lshl_b64 s[26:27], s[14:15], 1
	ds_load_b128 v[2:5], v66
	ds_load_b128 v[6:9], v66 offset:16
	ds_load_b128 v[34:37], v66 offset:32
	ds_load_b128 v[42:45], v66 offset:48
	ds_load_b128 v[50:53], v66 offset:64
	ds_load_b128 v[108:111], v66 offset:176
	ds_load_b128 v[76:79], v66 offset:112
	ds_load_b128 v[84:87], v66 offset:128
	s_wait_dscnt 0x7
	v_dual_mov_b32 v115, v75 :: v_dual_lshlrev_b32 v13, 16, v2
	v_lshlrev_b32_e32 v15, 16, v3
	v_and_b32_e32 v14, 0xffff0000, v2
	v_and_b32_e32 v16, 0xffff0000, v3
	v_dual_lshlrev_b32 v17, 16, v4 :: v_dual_lshlrev_b32 v19, 16, v5
	v_and_b32_e32 v18, 0xffff0000, v4
	v_and_b32_e32 v20, 0xffff0000, v5
	s_wait_dscnt 0x6
	v_dual_lshlrev_b32 v21, 16, v6 :: v_dual_lshlrev_b32 v23, 16, v7
	v_and_b32_e32 v22, 0xffff0000, v6
	v_and_b32_e32 v24, 0xffff0000, v7
	v_dual_lshlrev_b32 v25, 16, v8 :: v_dual_lshlrev_b32 v27, 16, v9
	v_and_b32_e32 v26, 0xffff0000, v8
	v_and_b32_e32 v28, 0xffff0000, v9
	ds_load_b128 v[2:5], v66 offset:80
	ds_load_b128 v[6:9], v66 offset:96
	s_wait_dscnt 0x7
	v_dual_lshlrev_b32 v29, 16, v34 :: v_dual_lshlrev_b32 v31, 16, v35
	v_and_b32_e32 v30, 0xffff0000, v34
	v_and_b32_e32 v32, 0xffff0000, v35
	v_dual_lshlrev_b32 v33, 16, v36 :: v_dual_lshlrev_b32 v35, 16, v37
	v_and_b32_e32 v34, 0xffff0000, v36
	v_and_b32_e32 v36, 0xffff0000, v37
	s_wait_dscnt 0x6
	v_dual_lshlrev_b32 v37, 16, v42 :: v_dual_lshlrev_b32 v39, 16, v43
	v_and_b32_e32 v38, 0xffff0000, v42
	v_and_b32_e32 v40, 0xffff0000, v43
	v_dual_lshlrev_b32 v41, 16, v44 :: v_dual_lshlrev_b32 v43, 16, v45
	v_and_b32_e32 v42, 0xffff0000, v44
	v_and_b32_e32 v44, 0xffff0000, v45
	;; [unrolled: 7-line block ×4, first 2 shown]
	s_wait_dscnt 0x0
	v_dual_lshlrev_b32 v61, 16, v6 :: v_dual_lshlrev_b32 v63, 16, v7
	v_and_b32_e32 v62, 0xffff0000, v6
	v_and_b32_e32 v64, 0xffff0000, v7
	v_dual_lshlrev_b32 v65, 16, v8 :: v_dual_lshlrev_b32 v68, 16, v9
	v_and_b32_e32 v67, 0xffff0000, v8
	ds_load_b128 v[2:5], v66 offset:144
	v_and_b32_e32 v69, 0xffff0000, v9
	ds_load_b128 v[6:9], v66 offset:160
	v_dual_lshlrev_b32 v104, 16, v108 :: v_dual_lshlrev_b32 v106, 16, v109
	v_and_b32_e32 v105, 0xffff0000, v108
	v_lshlrev_b32_e32 v108, 16, v110
	s_wait_kmcnt 0x0
	s_add_nc_u64 s[16:17], s[16:17], s[26:27]
	v_and_b32_e32 v107, 0xffff0000, v109
	v_and_b32_e32 v109, 0xffff0000, v110
	v_dual_mov_b32 v66, 32 :: v_dual_lshlrev_b32 v70, 16, v76
	v_lshlrev_b32_e32 v72, 16, v77
	v_and_b32_e32 v71, 0xffff0000, v76
	v_and_b32_e32 v73, 0xffff0000, v77
	v_lshlrev_b32_e32 v76, 16, v78
	v_and_b32_e32 v77, 0xffff0000, v78
	v_lshlrev_b32_e32 v78, 16, v79
	v_and_b32_e32 v79, 0xffff0000, v79
	v_dual_lshlrev_b32 v80, 16, v84 :: v_dual_lshlrev_b32 v82, 16, v85
	s_wait_dscnt 0x1
	v_dual_lshlrev_b32 v88, 16, v2 :: v_dual_lshlrev_b32 v90, 16, v3
	s_wait_dscnt 0x0
	v_dual_lshlrev_b32 v96, 16, v6 :: v_dual_lshlrev_b32 v98, 16, v7
	v_and_b32_e32 v97, 0xffff0000, v6
	v_bfe_u32 v6, v0, 1, 4
	v_and_b32_e32 v89, 0xffff0000, v2
	v_and_b32_e32 v99, 0xffff0000, v7
	v_xor_b32_e32 v7, 1, v12
	v_and_b32_e32 v91, 0xffff0000, v3
	v_dual_mov_b32 v3, 0 :: v_dual_lshlrev_b32 v2, 4, v6
	v_dual_lshlrev_b32 v92, 16, v4 :: v_dual_lshlrev_b32 v94, 16, v5
	s_delay_alu instid0(VALU_DEP_4)
	v_cmp_gt_i32_e32 vcc_lo, 32, v7
	v_and_b32_e32 v93, 0xffff0000, v4
	v_and_b32_e32 v95, 0xffff0000, v5
	v_add_nc_u64_e32 v[4:5], s[16:17], v[2:3]
	v_dual_lshlrev_b32 v100, 16, v8 :: v_dual_lshlrev_b32 v102, 16, v9
	v_and_b32_e32 v101, 0xffff0000, v8
	v_dual_lshlrev_b32 v110, 16, v111 :: v_dual_lshlrev_b32 v8, 2, v6
	v_dual_mov_b32 v11, v74 :: v_dual_bitop2_b32 v2, 8, v11 bitop3:0x40
	v_cndmask_b32_e32 v7, v12, v7, vcc_lo
	s_ashr_i32 s17, s5, 31
	s_cmp_neq_f32 s23, 0
	s_delay_alu instid0(VALU_DEP_2)
	v_add_nc_u64_e32 v[4:5], v[4:5], v[2:3]
	v_and_b32_e32 v2, 0x7c, v74
	v_lshlrev_b32_e32 v112, 2, v7
	v_lshl_or_b32 v7, v75, 6, v8
	s_cselect_b32 s3, -1, 0
	s_lshl_b64 s[26:27], s[10:11], 2
	v_cmp_eq_u32_e32 vcc_lo, 0, v113
	s_add_nc_u64 s[26:27], s[12:13], s[26:27]
	v_lshl_or_b32 v113, v75, 4, v6
	v_add_nc_u32_e32 v114, 0x1a0, v7
	v_add_nc_u64_e32 v[6:7], s[26:27], v[2:3]
	v_and_b32_e32 v81, 0xffff0000, v84
	v_and_b32_e32 v83, 0xffff0000, v85
	v_lshlrev_b32_e32 v84, 16, v86
	v_and_b32_e32 v85, 0xffff0000, v86
	v_lshlrev_b32_e32 v86, 16, v87
	v_and_b32_e32 v87, 0xffff0000, v87
	v_and_b32_e32 v103, 0xffff0000, v9
	;; [unrolled: 1-line block ×3, first 2 shown]
	v_mov_b32_e32 v2, 0xff7fffff
	s_mov_b32 s16, s5
	s_sub_co_i32 s15, 1, s21
	s_branch .LBB142_9
.LBB142_8:                              ;   in Loop: Header=BB142_9 Depth=1
	s_or_b32 exec_lo, exec_lo, s25
	v_dual_add_nc_u32 v115, 4, v115 :: v_dual_add_nc_u32 v113, 64, v113
	v_add_nc_u64_e32 v[6:7], 16, v[6:7]
	v_add_nc_u32_e32 v114, 0x100, v114
	s_delay_alu instid0(VALU_DEP_3) | instskip(SKIP_1) | instid1(SALU_CYCLE_1)
	v_cmp_le_i32_e64 s4, s22, v115
	s_or_b32 s6, s4, s6
	s_and_not1_b32 exec_lo, exec_lo, s6
	s_cbranch_execz .LBB142_11
.LBB142_9:                              ; =>This Inner Loop Header: Depth=1
	global_load_b32 v8, v[6:7], off
	s_wait_loadcnt_dscnt 0x0
	v_ashrrev_i32_e32 v9, 31, v8
	s_delay_alu instid0(VALU_DEP_1) | instskip(NEXT) | instid1(VALU_DEP_1)
	v_mul_u64_e32 v[8:9], s[16:17], v[8:9]
	v_lshl_add_u64 v[8:9], v[8:9], 1, v[4:5]
	s_clause 0x3
	global_load_b64 v[116:117], v[8:9], off offset:256
	global_load_b64 v[118:119], v[8:9], off
	global_load_b64 v[120:121], v[8:9], off offset:512
	global_load_b64 v[122:123], v[8:9], off offset:768
	s_wait_loadcnt 0x3
	v_and_b32_e32 v125, 0xffff0000, v116
	v_dual_lshlrev_b32 v124, 16, v116 :: v_dual_lshlrev_b32 v126, 16, v117
	v_and_b32_e32 v127, 0xffff0000, v117
	global_load_b64 v[116:117], v[8:9], off offset:1024
	v_dual_mul_f32 v10, v18, v125 :: v_dual_mul_f32 v74, v17, v124
	v_dual_mul_f32 v126, v19, v126 :: v_dual_mul_f32 v127, v20, v127
	global_load_b64 v[124:125], v[8:9], off offset:1280
	s_wait_loadcnt 0x4
	v_fma_mix_f32_bf16 v10, v14, v118, v10 op_sel:[0,1,0] op_sel_hi:[0,1,0]
	v_fma_mix_f32_bf16 v74, v13, v118, v74 op_sel_hi:[0,1,0]
	v_fma_mix_f32_bf16 v126, v15, v119, v126 op_sel_hi:[0,1,0]
	v_fma_mix_f32_bf16 v127, v16, v119, v127 op_sel:[0,1,0] op_sel_hi:[0,1,0]
	global_load_b64 v[118:119], v[8:9], off offset:1536
	s_wait_loadcnt 0x4
	v_fma_mix_f32_bf16 v10, v22, v120, v10 op_sel:[0,1,0] op_sel_hi:[0,1,0]
	v_fma_mix_f32_bf16 v74, v21, v120, v74 op_sel_hi:[0,1,0]
	v_fma_mix_f32_bf16 v126, v23, v121, v126 op_sel_hi:[0,1,0]
	v_fma_mix_f32_bf16 v127, v24, v121, v127 op_sel:[0,1,0] op_sel_hi:[0,1,0]
	;; [unrolled: 6-line block ×3, first 2 shown]
	global_load_b64 v[122:123], v[8:9], off offset:2048
	s_wait_loadcnt 0x4
	v_fma_mix_f32_bf16 v74, v29, v116, v74 op_sel_hi:[0,1,0]
	v_fma_mix_f32_bf16 v10, v30, v116, v10 op_sel:[0,1,0] op_sel_hi:[0,1,0]
	v_fma_mix_f32_bf16 v126, v31, v117, v126 op_sel_hi:[0,1,0]
	v_fma_mix_f32_bf16 v127, v32, v117, v127 op_sel:[0,1,0] op_sel_hi:[0,1,0]
	global_load_b64 v[116:117], v[8:9], off offset:2304
	s_wait_loadcnt 0x4
	v_fma_mix_f32_bf16 v74, v33, v124, v74 op_sel_hi:[0,1,0]
	v_fma_mix_f32_bf16 v10, v34, v124, v10 op_sel:[0,1,0] op_sel_hi:[0,1,0]
	v_fma_mix_f32_bf16 v126, v35, v125, v126 op_sel_hi:[0,1,0]
	v_fma_mix_f32_bf16 v127, v36, v125, v127 op_sel:[0,1,0] op_sel_hi:[0,1,0]
	;; [unrolled: 6-line block ×14, first 2 shown]
	s_clause 0x1
	global_load_b64 v[120:121], v[8:9], off offset:5632
	global_load_b64 v[8:9], v[8:9], off offset:5888
	s_wait_loadcnt 0x5
	v_fma_mix_f32_bf16 v74, v88, v122, v74 op_sel_hi:[0,1,0]
	v_fma_mix_f32_bf16 v10, v89, v122, v10 op_sel:[0,1,0] op_sel_hi:[0,1,0]
	v_fma_mix_f32_bf16 v122, v90, v123, v126 op_sel_hi:[0,1,0]
	s_wait_loadcnt 0x4
	s_delay_alu instid0(VALU_DEP_3) | instskip(NEXT) | instid1(VALU_DEP_3)
	v_fma_mix_f32_bf16 v74, v92, v116, v74 op_sel_hi:[0,1,0]
	v_fma_mix_f32_bf16 v10, v93, v116, v10 op_sel:[0,1,0] op_sel_hi:[0,1,0]
	v_fma_mix_f32_bf16 v116, v91, v123, v127 op_sel:[0,1,0] op_sel_hi:[0,1,0]
	v_fma_mix_f32_bf16 v122, v94, v117, v122 op_sel_hi:[0,1,0]
	s_wait_loadcnt 0x3
	v_fma_mix_f32_bf16 v74, v96, v124, v74 op_sel_hi:[0,1,0]
	v_fma_mix_f32_bf16 v10, v97, v124, v10 op_sel:[0,1,0] op_sel_hi:[0,1,0]
	v_fma_mix_f32_bf16 v116, v95, v117, v116 op_sel:[0,1,0] op_sel_hi:[0,1,0]
	v_fma_mix_f32_bf16 v117, v98, v125, v122 op_sel_hi:[0,1,0]
	s_wait_loadcnt 0x2
	;; [unrolled: 5-line block ×4, first 2 shown]
	v_fma_mix_f32_bf16 v74, v108, v8, v74 op_sel_hi:[0,1,0]
	s_wait_xcnt 0x0
	v_fma_mix_f32_bf16 v8, v109, v8, v10 op_sel:[0,1,0] op_sel_hi:[0,1,0]
	v_fma_mix_f32_bf16 v10, v107, v121, v116 op_sel:[0,1,0] op_sel_hi:[0,1,0]
	v_fma_mix_f32_bf16 v116, v110, v9, v117 op_sel_hi:[0,1,0]
	s_delay_alu instid0(VALU_DEP_3) | instskip(NEXT) | instid1(VALU_DEP_3)
	v_add_f32_e32 v8, v74, v8
	v_fma_mix_f32_bf16 v9, v111, v9, v10 op_sel:[0,1,0] op_sel_hi:[0,1,0]
	s_delay_alu instid0(VALU_DEP_2) | instskip(NEXT) | instid1(VALU_DEP_1)
	v_add_f32_e32 v8, v8, v116
	v_add_f32_e32 v8, v9, v8
	ds_bpermute_b32 v9, v112, v8
	s_and_saveexec_b32 s25, vcc_lo
	s_cbranch_execz .LBB142_8
; %bb.10:                               ;   in Loop: Header=BB142_9 Depth=1
	s_wait_dscnt 0x0
	v_add_f32_e32 v8, v8, v9
	v_add_nc_u32_e32 v10, s15, v113
	v_cmp_gt_i32_e64 s4, s21, v113
	s_delay_alu instid0(VALU_DEP_2) | instskip(NEXT) | instid1(VALU_DEP_1)
	v_cvt_f32_i32_e32 v10, v10
	v_mul_f32_e32 v10, s23, v10
	s_delay_alu instid0(VALU_DEP_1) | instskip(NEXT) | instid1(VALU_DEP_1)
	v_cndmask_b32_e64 v9, 0, v10, s3
	v_dual_max_num_f32 v10, v2, v2 :: v_dual_fmac_f32 v9, s7, v8
	s_delay_alu instid0(VALU_DEP_1) | instskip(NEXT) | instid1(VALU_DEP_1)
	v_dual_max_num_f32 v8, v10, v9 :: v_dual_cndmask_b32 v9, 0, v9, s4
	v_cndmask_b32_e64 v2, v2, v8, s4
	ds_store_b32 v114, v9
	s_branch .LBB142_8
.LBB142_11:
	s_or_b32 exec_lo, exec_lo, s6
	v_dual_mov_b32 v74, v11 :: v_dual_bitop2_b32 v113, 1, v0 bitop3:0x40
	v_lshlrev_b32_e32 v11, 3, v0
.LBB142_12:
	s_or_b32 exec_lo, exec_lo, s24
	v_xor_b32_e32 v4, 16, v12
	v_xor_b32_e32 v6, 8, v12
	s_clause 0x1
	s_load_b64 s[6:7], s[0:1], 0x0
	s_load_b64 s[16:17], s[0:1], 0x18
	v_and_b32_e32 v76, 31, v0
	v_cmp_lt_i32_e32 vcc_lo, v4, v66
	v_cndmask_b32_e32 v4, v12, v4, vcc_lo
	v_cmp_lt_i32_e32 vcc_lo, v6, v66
	s_delay_alu instid0(VALU_DEP_2) | instskip(SKIP_3) | instid1(VALU_DEP_1)
	v_dual_cndmask_b32 v6, v12, v6, vcc_lo :: v_dual_lshlrev_b32 v4, 2, v4
	ds_bpermute_b32 v5, v4, v2
	s_wait_dscnt 0x0
	v_dual_max_num_f32 v2, v2, v2 :: v_dual_max_num_f32 v7, v5, v5
	v_dual_max_num_f32 v2, v2, v7 :: v_dual_lshlrev_b32 v5, 2, v6
	v_xor_b32_e32 v7, 4, v12
	ds_bpermute_b32 v6, v5, v2
	v_cmp_lt_i32_e32 vcc_lo, v7, v66
	s_wait_dscnt 0x0
	v_dual_cndmask_b32 v7, v12, v7 :: v_dual_max_num_f32 v8, v6, v6
	s_delay_alu instid0(VALU_DEP_1) | instskip(SKIP_3) | instid1(VALU_DEP_1)
	v_dual_lshlrev_b32 v6, 2, v7 :: v_dual_max_num_f32 v2, v2, v8
	ds_bpermute_b32 v7, v6, v2
	s_wait_dscnt 0x0
	v_dual_max_num_f32 v7, v7, v7 :: v_dual_bitop2_b32 v8, 2, v12 bitop3:0x14
	v_cmp_lt_i32_e32 vcc_lo, v8, v66
	s_delay_alu instid0(VALU_DEP_2) | instskip(SKIP_2) | instid1(VALU_DEP_3)
	v_dual_cndmask_b32 v9, v12, v8 :: v_dual_max_num_f32 v8, v2, v7
	v_lshlrev_b32_e32 v7, 2, v75
	v_cmp_eq_u32_e32 vcc_lo, 0, v76
	v_lshlrev_b32_e32 v2, 2, v9
	ds_bpermute_b32 v9, v2, v8
	s_wait_xcnt 0x0
	s_and_saveexec_b32 s0, vcc_lo
	s_cbranch_execz .LBB142_14
; %bb.13:
	s_wait_dscnt 0x0
	v_dual_max_num_f32 v9, v9, v9 :: v_dual_max_num_f32 v8, v8, v8
	s_delay_alu instid0(VALU_DEP_1)
	v_max_num_f32_e32 v8, v8, v9
	ds_store_b32 v7, v8 offset:384
.LBB142_14:
	s_or_b32 exec_lo, exec_lo, s0
	v_cmp_gt_u32_e64 s0, 4, v76
	s_wait_dscnt 0x0
	v_dual_mov_b32 v9, 0xff7fffff :: v_dual_lshlrev_b32 v8, 2, v76
	s_barrier_signal -1
	s_barrier_wait -1
	s_and_saveexec_b32 s1, s0
; %bb.15:
	ds_load_b32 v9, v8 offset:384
; %bb.16:
	s_or_b32 exec_lo, exec_lo, s1
	s_wait_dscnt 0x0
	ds_bpermute_b32 v10, v2, v9
	v_dual_max_num_f32 v9, v9, v9 :: v_dual_bitop2_b32 v13, 1, v12 bitop3:0x14
	v_lshlrev_b32_e32 v3, 2, v3
	s_delay_alu instid0(VALU_DEP_2) | instskip(NEXT) | instid1(VALU_DEP_1)
	v_cmp_lt_i32_e64 s1, v13, v66
	v_cndmask_b32_e64 v13, v12, v13, s1
	s_lshl_b32 s1, s22, 4
	s_delay_alu instid0(SALU_CYCLE_1) | instskip(NEXT) | instid1(SALU_CYCLE_1)
	s_min_i32 s4, s1, s21
	v_cmp_gt_i32_e64 s1, s4, v0
	s_wait_dscnt 0x0
	v_dual_max_num_f32 v10, v10, v10 :: v_dual_lshlrev_b32 v77, 2, v13
	s_delay_alu instid0(VALU_DEP_1) | instskip(SKIP_3) | instid1(VALU_DEP_1)
	v_max_num_f32_e32 v9, v9, v10
	ds_bpermute_b32 v10, v77, v9
	s_wait_dscnt 0x0
	v_max_num_f32_e32 v10, v10, v10
	v_max_num_f32_e32 v9, v9, v10
	ds_bpermute_b32 v9, v3, v9
	v_mov_b32_e32 v3, 0
	s_and_saveexec_b32 s15, s1
	s_cbranch_execz .LBB142_20
; %bb.17:
	v_lshl_add_u32 v13, v0, 2, 0x1a0
	v_dual_mov_b32 v3, 0 :: v_dual_mov_b32 v14, v0
	s_mov_b32 s23, 0
.LBB142_18:                             ; =>This Inner Loop Header: Depth=1
	ds_load_b32 v10, v13
	v_add_nc_u32_e32 v14, 0x80, v14
	s_delay_alu instid0(VALU_DEP_1) | instskip(SKIP_3) | instid1(VALU_DEP_1)
	v_cmp_le_i32_e64 s3, s4, v14
	s_or_b32 s23, s3, s23
	s_wait_dscnt 0x0
	v_sub_f32_e32 v10, v10, v9
	v_mul_f32_e32 v10, 0x3fb8aa3b, v10
	s_delay_alu instid0(VALU_DEP_1)
	v_exp_f32_e32 v10, v10
	ds_store_b32 v13, v10
	v_nop
	v_add_f32_e32 v3, v3, v10
	v_add_nc_u32_e32 v13, 0x200, v13
	s_and_not1_b32 exec_lo, exec_lo, s23
	s_cbranch_execnz .LBB142_18
; %bb.19:
	s_or_b32 exec_lo, exec_lo, s23
.LBB142_20:
	s_delay_alu instid0(SALU_CYCLE_1)
	s_or_b32 exec_lo, exec_lo, s15
	ds_bpermute_b32 v4, v4, v3
	s_wait_dscnt 0x0
	v_add_f32_e32 v3, v3, v4
	ds_bpermute_b32 v4, v5, v3
	s_wait_dscnt 0x0
	v_add_f32_e32 v3, v3, v4
	;; [unrolled: 3-line block ×5, first 2 shown]
	s_and_saveexec_b32 s3, vcc_lo
; %bb.21:
	ds_store_b32 v7, v3 offset:400
; %bb.22:
	s_or_b32 exec_lo, exec_lo, s3
	s_wait_dscnt 0x0
	s_barrier_signal -1
	s_barrier_wait -1
	s_and_saveexec_b32 s3, s0
; %bb.23:
	ds_load_b32 v3, v8 offset:400
; %bb.24:
	s_or_b32 exec_lo, exec_lo, s3
	s_wait_dscnt 0x0
	ds_bpermute_b32 v2, v2, v3
	s_wait_dscnt 0x0
	v_dual_lshlrev_b32 v4, 2, v12 :: v_dual_add_f32 v2, v3, v2
	ds_bpermute_b32 v3, v77, v2
	s_wait_dscnt 0x0
	v_add_f32_e32 v2, v2, v3
	v_and_b32_e32 v3, 0xffffff80, v4
	ds_bpermute_b32 v2, v3, v2
	s_and_saveexec_b32 s0, s1
	s_cbranch_execz .LBB142_37
; %bb.25:
	s_wait_dscnt 0x0
	v_add_f32_e32 v2, 0x358637bd, v2
	s_mov_b32 s3, -1
	s_mov_b32 s1, exec_lo
	s_delay_alu instid0(VALU_DEP_1) | instskip(NEXT) | instid1(VALU_DEP_1)
	v_div_scale_f32 v3, null, v2, v2, 1.0
	v_rcp_f32_e32 v5, v3
	v_nop
	s_delay_alu instid0(TRANS32_DEP_1) | instskip(NEXT) | instid1(VALU_DEP_1)
	v_fma_f32 v4, -v3, v5, 1.0
	v_fmac_f32_e32 v5, v4, v5
	v_div_scale_f32 v6, vcc_lo, 1.0, v2, 1.0
	s_delay_alu instid0(VALU_DEP_1) | instskip(NEXT) | instid1(VALU_DEP_1)
	v_mul_f32_e32 v7, v6, v5
	v_fma_f32 v4, -v3, v7, v6
	s_delay_alu instid0(VALU_DEP_1) | instskip(SKIP_1) | instid1(VALU_DEP_2)
	v_fmac_f32_e32 v7, v4, v5
	v_xad_u32 v4, v0, -1, s4
	v_fma_f32 v3, -v3, v7, v6
	s_delay_alu instid0(VALU_DEP_1) | instskip(NEXT) | instid1(VALU_DEP_1)
	v_div_fmas_f32 v3, v3, v5, v7
	v_div_fixup_f32 v2, v3, v2, 1.0
	v_mov_b32_e32 v3, v0
	v_cmpx_lt_u32_e32 0x7f, v4
	s_cbranch_execz .LBB142_34
; %bb.26:
	s_delay_alu instid0(VALU_DEP_3) | instskip(NEXT) | instid1(VALU_DEP_1)
	v_dual_mov_b32 v3, v2 :: v_dual_lshrrev_b32 v4, 7, v4
	v_dual_mov_b32 v8, 0 :: v_dual_add_nc_u32 v5, -1, v4
	s_delay_alu instid0(VALU_DEP_1) | instskip(SKIP_1) | instid1(VALU_DEP_2)
	v_lshrrev_b32_e32 v6, 1, v5
	v_cmp_lt_u32_e32 vcc_lo, 13, v5
	v_add_nc_u32_e32 v5, 1, v6
	s_and_saveexec_b32 s3, vcc_lo
	s_cbranch_execz .LBB142_30
; %bb.27:
	s_delay_alu instid0(VALU_DEP_1)
	v_and_b32_e32 v6, -8, v5
	v_lshl_add_u32 v7, v0, 2, 0x1a0
	s_mov_b32 s15, 0
	s_mov_b32 s23, 0
.LBB142_28:                             ; =>This Inner Loop Header: Depth=1
	ds_load_2addr_stride64_b32 v[8:9], v7 offset1:2
	ds_load_2addr_stride64_b32 v[12:13], v7 offset0:4 offset1:6
	ds_load_2addr_stride64_b32 v[14:15], v7 offset0:8 offset1:10
	ds_load_2addr_stride64_b32 v[16:17], v7 offset0:12 offset1:14
	ds_load_2addr_stride64_b32 v[18:19], v7 offset0:16 offset1:18
	ds_load_2addr_stride64_b32 v[20:21], v7 offset0:20 offset1:22
	ds_load_2addr_stride64_b32 v[22:23], v7 offset0:24 offset1:26
	ds_load_2addr_stride64_b32 v[24:25], v7 offset0:28 offset1:30
	s_add_co_i32 s23, s23, 16
	v_add_nc_u32_e32 v6, -8, v6
	s_wait_dscnt 0x7
	v_pk_mul_f32 v[8:9], v[2:3], v[8:9]
	s_wait_dscnt 0x6
	v_pk_mul_f32 v[12:13], v[2:3], v[12:13]
	;; [unrolled: 2-line block ×8, first 2 shown]
	ds_store_2addr_stride64_b32 v7, v8, v9 offset1:2
	ds_store_2addr_stride64_b32 v7, v12, v13 offset0:4 offset1:6
	ds_store_2addr_stride64_b32 v7, v14, v15 offset0:8 offset1:10
	;; [unrolled: 1-line block ×7, first 2 shown]
	v_mov_b32_e32 v8, s23
	v_cmp_eq_u32_e32 vcc_lo, 0, v6
	v_add_nc_u32_e32 v7, 0x2000, v7
	s_or_b32 s15, vcc_lo, s15
	s_delay_alu instid0(SALU_CYCLE_1)
	s_and_not1_b32 exec_lo, exec_lo, s15
	s_cbranch_execnz .LBB142_28
; %bb.29:
	s_or_b32 exec_lo, exec_lo, s15
.LBB142_30:
	s_delay_alu instid0(SALU_CYCLE_1) | instskip(NEXT) | instid1(VALU_DEP_1)
	s_or_b32 exec_lo, exec_lo, s3
	v_and_b32_e32 v5, 7, v5
	s_mov_b32 s15, 0
	s_mov_b32 s3, exec_lo
	s_delay_alu instid0(VALU_DEP_1)
	v_cmpx_ne_u32_e32 0, v5
	s_cbranch_execz .LBB142_33
; %bb.31:
	v_lshlrev_b32_e32 v6, 9, v8
	v_lshlrev_b32_e32 v7, 2, v0
	s_delay_alu instid0(VALU_DEP_1)
	v_add3_u32 v6, v6, v7, 0x1a0
.LBB142_32:                             ; =>This Inner Loop Header: Depth=1
	ds_load_2addr_stride64_b32 v[8:9], v6 offset1:2
	v_add_nc_u32_e32 v5, -1, v5
	s_delay_alu instid0(VALU_DEP_1)
	v_cmp_eq_u32_e32 vcc_lo, 0, v5
	s_or_b32 s15, vcc_lo, s15
	s_wait_dscnt 0x0
	v_pk_mul_f32 v[8:9], v[2:3], v[8:9]
	ds_store_2addr_stride64_b32 v6, v8, v9 offset1:2
	v_add_nc_u32_e32 v6, 0x400, v6
	s_and_not1_b32 exec_lo, exec_lo, s15
	s_cbranch_execnz .LBB142_32
.LBB142_33:
	s_or_b32 exec_lo, exec_lo, s3
	v_add_nc_u32_e32 v3, 1, v4
	s_delay_alu instid0(VALU_DEP_1) | instskip(NEXT) | instid1(VALU_DEP_1)
	v_and_b32_e32 v4, 0x3fffffe, v3
	v_cmp_ne_u32_e32 vcc_lo, v3, v4
	v_lshl_add_u32 v3, v4, 7, v0
	s_or_not1_b32 s3, vcc_lo, exec_lo
.LBB142_34:
	s_or_b32 exec_lo, exec_lo, s1
	s_delay_alu instid0(SALU_CYCLE_1)
	s_and_b32 exec_lo, exec_lo, s3
	s_cbranch_execz .LBB142_37
; %bb.35:
	v_lshl_add_u32 v4, v3, 2, 0x1a0
	s_mov_b32 s1, 0
.LBB142_36:                             ; =>This Inner Loop Header: Depth=1
	ds_load_b32 v5, v4
	v_add_nc_u32_e32 v3, 0x80, v3
	s_delay_alu instid0(VALU_DEP_1)
	v_cmp_le_i32_e32 vcc_lo, s4, v3
	s_or_b32 s1, vcc_lo, s1
	s_wait_dscnt 0x0
	v_mul_f32_e32 v5, v2, v5
	ds_store_b32 v4, v5
	v_add_nc_u32_e32 v4, 0x200, v4
	s_and_not1_b32 exec_lo, exec_lo, s1
	s_cbranch_execnz .LBB142_36
.LBB142_37:
	s_or_b32 exec_lo, exec_lo, s0
	v_mov_b32_e32 v59, 0
	s_wait_dscnt 0x0
	s_barrier_signal -1
	s_barrier_wait -1
	s_delay_alu instid0(VALU_DEP_1)
	v_dual_mov_b32 v58, v59 :: v_dual_mov_b32 v61, v59
	v_dual_mov_b32 v60, v59 :: v_dual_mov_b32 v63, v59
	;; [unrolled: 1-line block ×5, first 2 shown]
	v_mov_b32_e32 v68, v59
	s_and_saveexec_b32 s1, s2
	s_cbranch_execz .LBB142_65
; %bb.38:
	v_dual_lshlrev_b32 v2, 4, v0 :: v_dual_bitop2_b32 v3, 8, v11 bitop3:0x40
	s_ashr_i32 s15, s14, 31
	v_dual_mov_b32 v59, 0 :: v_dual_lshlrev_b32 v4, 5, v113
	s_delay_alu instid0(VALU_DEP_2)
	v_and_b32_e32 v58, 0x1f0, v2
	s_lshl_b64 s[14:15], s[14:15], 1
	s_ashr_i32 s3, s5, 31
	s_wait_kmcnt 0x0
	s_add_nc_u64 s[14:15], s[16:17], s[14:15]
	s_mov_b32 s2, s5
	v_add_nc_u64_e32 v[70:71], s[14:15], v[58:59]
	v_and_b32_e32 v58, 0x7c, v74
	s_lshl_b64 s[4:5], s[10:11], 2
	v_lshl_or_b32 v2, v75, 6, v4
	s_add_nc_u64 s[4:5], s[12:13], s[4:5]
	v_lshl_or_b32 v78, v75, 4, v3
	v_add_nc_u64_e32 v[72:73], s[4:5], v[58:59]
	s_delay_alu instid0(VALU_DEP_3)
	v_dual_mov_b32 v58, v59 :: v_dual_add_nc_u32 v79, 0x1a0, v2
	v_dual_mov_b32 v61, v59 :: v_dual_mov_b32 v60, v59
	v_dual_mov_b32 v63, v59 :: v_dual_mov_b32 v62, v59
	;; [unrolled: 1-line block ×5, first 2 shown]
	v_mov_b32_e32 v80, v75
	s_add_co_i32 s4, s22, -1
	s_mov_b32 s10, s21
	s_mov_b32 s5, 0
	s_branch .LBB142_40
.LBB142_39:                             ;   in Loop: Header=BB142_40 Depth=1
	s_or_b32 exec_lo, exec_lo, s0
	s_wait_dscnt 0x1
	v_cvt_pk_bf16_f32 v23, v22, v23
	v_cvt_pk_bf16_f32 v22, v24, v25
	s_wait_dscnt 0x0
	v_cvt_pk_bf16_f32 v18, v18, v19
	v_cvt_pk_bf16_f32 v19, v20, v21
	v_add_nc_u64_e32 v[72:73], 16, v[72:73]
	s_wait_loadcnt 0x1
	v_pk_mul_bf16 v24, v23, v54
	v_pk_mul_bf16 v25, v22, v55
	;; [unrolled: 1-line block ×5, first 2 shown]
	s_delay_alu instid0(VALU_DEP_4)
	v_dual_lshlrev_b32 v21, 16, v24 :: v_dual_lshlrev_b32 v54, 16, v25
	v_and_b32_e32 v24, 0xffff0000, v24
	v_and_b32_e32 v25, 0xffff0000, v25
	v_lshlrev_b32_e32 v56, 16, v20
	v_and_b32_e32 v20, 0xffff0000, v20
	v_pk_mul_bf16 v46, v23, v46
	s_delay_alu instid0(VALU_DEP_4) | instskip(SKIP_3) | instid1(VALU_DEP_4)
	v_dual_add_f32 v21, v21, v24 :: v_dual_add_f32 v24, v54, v25
	v_pk_mul_bf16 v25, v23, v50
	v_pk_mul_bf16 v50, v22, v51
	v_dual_add_f32 v20, v56, v20 :: v_dual_lshlrev_b32 v51, 16, v55
	v_add_f32_e32 v21, v24, v21
	v_and_b32_e32 v24, 0xffff0000, v55
	v_lshlrev_b32_e32 v54, 16, v25
	v_and_b32_e32 v25, 0xffff0000, v25
	v_lshlrev_b32_e32 v55, 16, v50
	v_and_b32_e32 v50, 0xffff0000, v50
	v_dual_add_f32 v20, v20, v21 :: v_dual_add_f32 v21, v51, v24
	s_delay_alu instid0(VALU_DEP_4) | instskip(SKIP_1) | instid1(VALU_DEP_4)
	v_add_f32_e32 v24, v54, v25
	v_and_b32_e32 v51, 0xffff0000, v52
	v_dual_add_f32 v25, v55, v50 :: v_dual_lshlrev_b32 v50, 16, v52
	v_pk_mul_bf16 v52, v19, v53
	v_add_f32_e32 v20, v21, v20
	v_pk_mul_bf16 v48, v18, v48
	s_delay_alu instid0(VALU_DEP_4)
	v_add_f32_e32 v21, v25, v24
	v_pk_mul_bf16 v38, v23, v38
	v_dual_add_f32 v24, v50, v51 :: v_dual_lshlrev_b32 v25, 16, v52
	v_and_b32_e32 v50, 0xffff0000, v52
	v_add_f32_e32 v58, v58, v20
	v_pk_mul_bf16 v20, v22, v47
	v_pk_mul_bf16 v39, v22, v39
	s_delay_alu instid0(VALU_DEP_4) | instskip(NEXT) | instid1(VALU_DEP_3)
	v_dual_add_f32 v21, v24, v21 :: v_dual_add_f32 v24, v25, v50
	v_dual_lshlrev_b32 v25, 16, v46 :: v_dual_lshlrev_b32 v47, 16, v20
	v_and_b32_e32 v46, 0xffff0000, v46
	v_and_b32_e32 v20, 0xffff0000, v20
	v_pk_mul_bf16 v40, v18, v40
	v_pk_mul_bf16 v49, v19, v49
	;; [unrolled: 1-line block ×3, first 2 shown]
	s_delay_alu instid0(VALU_DEP_4)
	v_dual_add_f32 v25, v25, v46 :: v_dual_add_f32 v20, v47, v20
	v_lshlrev_b32_e32 v46, 16, v48
	v_and_b32_e32 v47, 0xffff0000, v48
	v_lshlrev_b32_e32 v48, 16, v38
	v_and_b32_e32 v38, 0xffff0000, v38
	v_dual_lshlrev_b32 v50, 16, v39 :: v_dual_add_f32 v20, v20, v25
	v_and_b32_e32 v39, 0xffff0000, v39
	s_delay_alu instid0(VALU_DEP_3) | instskip(SKIP_2) | instid1(VALU_DEP_4)
	v_dual_add_f32 v25, v46, v47 :: v_dual_add_f32 v38, v48, v38
	v_lshlrev_b32_e32 v46, 16, v40
	v_and_b32_e32 v40, 0xffff0000, v40
	v_dual_add_f32 v39, v50, v39 :: v_dual_lshlrev_b32 v47, 16, v49
	v_and_b32_e32 v48, 0xffff0000, v49
	v_dual_add_f32 v21, v24, v21 :: v_dual_add_f32 v20, v25, v20
	s_delay_alu instid0(VALU_DEP_3)
	v_dual_add_f32 v38, v39, v38 :: v_dual_add_f32 v39, v46, v40
	v_lshlrev_b32_e32 v40, 16, v41
	v_and_b32_e32 v41, 0xffff0000, v41
	v_add_f32_e32 v24, v47, v48
	v_pk_mul_bf16 v34, v23, v34
	v_dual_add_f32 v25, v39, v38 :: v_dual_add_f32 v61, v61, v21
	s_delay_alu instid0(VALU_DEP_4)
	v_add_f32_e32 v38, v40, v41
	v_pk_mul_bf16 v21, v22, v35
	v_add_f32_e32 v20, v24, v20
	v_pk_mul_bf16 v36, v18, v36
	v_pk_mul_bf16 v30, v23, v30
	v_dual_add_f32 v24, v38, v25 :: v_dual_lshlrev_b32 v25, 16, v34
	v_lshlrev_b32_e32 v35, 16, v21
	v_and_b32_e32 v34, 0xffff0000, v34
	v_and_b32_e32 v21, 0xffff0000, v21
	v_add_f32_e32 v60, v60, v20
	v_pk_mul_bf16 v31, v22, v31
	v_pk_mul_bf16 v32, v18, v32
	s_delay_alu instid0(VALU_DEP_4)
	v_dual_add_f32 v20, v25, v34 :: v_dual_add_f32 v21, v35, v21
	v_and_b32_e32 v25, 0xffff0000, v36
	v_add_f32_e32 v63, v63, v24
	v_lshlrev_b32_e32 v24, 16, v36
	v_pk_mul_bf16 v34, v19, v37
	v_add_f32_e32 v20, v21, v20
	v_pk_mul_bf16 v26, v23, v26
	v_pk_mul_bf16 v28, v18, v28
	v_dual_add_f32 v21, v24, v25 :: v_dual_lshlrev_b32 v24, 16, v30
	v_and_b32_e32 v25, 0xffff0000, v30
	v_dual_lshlrev_b32 v30, 16, v31 :: v_dual_lshlrev_b32 v35, 16, v34
	v_and_b32_e32 v31, 0xffff0000, v31
	v_and_b32_e32 v34, 0xffff0000, v34
	s_delay_alu instid0(VALU_DEP_4)
	v_add_f32_e32 v24, v24, v25
	v_pk_mul_bf16 v14, v23, v14
	v_pk_mul_bf16 v15, v22, v15
	v_dual_add_f32 v25, v30, v31 :: v_dual_lshlrev_b32 v30, 16, v32
	v_and_b32_e32 v31, 0xffff0000, v32
	v_pk_mul_bf16 v32, v19, v33
	v_dual_add_f32 v20, v21, v20 :: v_dual_add_f32 v21, v35, v34
	s_delay_alu instid0(VALU_DEP_3) | instskip(NEXT) | instid1(VALU_DEP_3)
	v_dual_add_f32 v24, v25, v24 :: v_dual_add_f32 v25, v30, v31
	v_lshlrev_b32_e32 v30, 16, v32
	v_and_b32_e32 v31, 0xffff0000, v32
	s_delay_alu instid0(VALU_DEP_4) | instskip(SKIP_2) | instid1(VALU_DEP_4)
	v_add_f32_e32 v20, v21, v20
	v_pk_mul_bf16 v21, v22, v27
	v_dual_add_f32 v24, v25, v24 :: v_dual_lshlrev_b32 v27, 16, v26
	v_add_f32_e32 v25, v30, v31
	v_and_b32_e32 v26, 0xffff0000, v26
	s_delay_alu instid0(VALU_DEP_4)
	v_lshlrev_b32_e32 v30, 16, v21
	v_and_b32_e32 v21, 0xffff0000, v21
	v_add_f32_e32 v62, v62, v20
	v_pk_mul_bf16 v16, v18, v16
	v_pk_mul_bf16 v10, v23, v10
	;; [unrolled: 1-line block ×3, first 2 shown]
	v_dual_add_f32 v21, v30, v21 :: v_dual_add_f32 v20, v25, v24
	v_dual_add_f32 v24, v27, v26 :: v_dual_lshlrev_b32 v25, 16, v28
	v_and_b32_e32 v26, 0xffff0000, v28
	v_lshlrev_b32_e32 v27, 16, v15
	v_and_b32_e32 v15, 0xffff0000, v15
	s_delay_alu instid0(VALU_DEP_4)
	v_add_f32_e32 v21, v21, v24
	v_pk_mul_bf16 v17, v19, v17
	v_add_f32_e32 v24, v25, v26
	v_add_f32_e32 v65, v65, v20
	v_pk_mul_bf16 v20, v19, v29
	v_lshlrev_b32_e32 v26, 16, v14
	v_and_b32_e32 v14, 0xffff0000, v14
	v_add_f32_e32 v15, v27, v15
	v_pk_mul_bf16 v12, v18, v12
	v_lshlrev_b32_e32 v25, 16, v20
	v_and_b32_e32 v20, 0xffff0000, v20
	v_dual_add_f32 v21, v24, v21 :: v_dual_add_f32 v14, v26, v14
	v_lshlrev_b32_e32 v24, 16, v16
	v_and_b32_e32 v16, 0xffff0000, v16
	s_delay_alu instid0(VALU_DEP_4) | instskip(NEXT) | instid1(VALU_DEP_4)
	v_dual_add_f32 v20, v25, v20 :: v_dual_lshlrev_b32 v25, 16, v17
	v_add_f32_e32 v14, v15, v14
	v_and_b32_e32 v17, 0xffff0000, v17
	s_delay_alu instid0(VALU_DEP_4) | instskip(SKIP_3) | instid1(VALU_DEP_4)
	v_dual_add_f32 v15, v24, v16 :: v_dual_lshlrev_b32 v16, 16, v10
	v_and_b32_e32 v10, 0xffff0000, v10
	v_lshlrev_b32_e32 v24, 16, v11
	v_and_b32_e32 v11, 0xffff0000, v11
	v_add_f32_e32 v14, v15, v14
	v_pk_mul_bf16 v6, v23, v6
	v_dual_add_f32 v10, v16, v10 :: v_dual_lshlrev_b32 v16, 16, v12
	s_delay_alu instid0(VALU_DEP_4) | instskip(SKIP_4) | instid1(VALU_DEP_4)
	v_add_f32_e32 v11, v24, v11
	v_and_b32_e32 v12, 0xffff0000, v12
	v_add_f32_e32 v20, v20, v21
	v_add_f32_e32 v15, v25, v17
	v_pk_mul_bf16 v7, v22, v7
	v_dual_add_f32 v10, v11, v10 :: v_dual_add_f32 v11, v16, v12
	v_pk_mul_bf16 v12, v19, v13
	s_delay_alu instid0(VALU_DEP_4) | instskip(NEXT) | instid1(VALU_DEP_4)
	v_dual_add_f32 v64, v64, v20 :: v_dual_add_f32 v13, v15, v14
	v_dual_lshlrev_b32 v14, 16, v6 :: v_dual_lshlrev_b32 v15, 16, v7
	s_delay_alu instid0(VALU_DEP_3)
	v_dual_add_f32 v10, v11, v10 :: v_dual_lshlrev_b32 v11, 16, v12
	v_and_b32_e32 v12, 0xffff0000, v12
	v_and_b32_e32 v6, 0xffff0000, v6
	;; [unrolled: 1-line block ×3, first 2 shown]
	v_pk_mul_bf16 v2, v23, v2
	v_pk_mul_bf16 v3, v22, v3
	s_delay_alu instid0(VALU_DEP_4) | instskip(SKIP_1) | instid1(VALU_DEP_4)
	v_dual_add_f32 v11, v11, v12 :: v_dual_add_f32 v6, v14, v6
	v_pk_mul_bf16 v8, v18, v8
	v_dual_add_f32 v7, v15, v7 :: v_dual_lshlrev_b32 v14, 16, v2
	s_delay_alu instid0(VALU_DEP_4) | instskip(SKIP_4) | instid1(VALU_DEP_4)
	v_lshlrev_b32_e32 v15, 16, v3
	v_and_b32_e32 v2, 0xffff0000, v2
	v_and_b32_e32 v3, 0xffff0000, v3
	v_pk_mul_bf16 v9, v19, v9
	v_pk_mul_bf16 v4, v18, v4
	v_dual_lshlrev_b32 v12, 16, v8 :: v_dual_add_f32 v2, v14, v2
	s_delay_alu instid0(VALU_DEP_4) | instskip(SKIP_3) | instid1(VALU_DEP_4)
	v_add_f32_e32 v3, v15, v3
	v_and_b32_e32 v8, 0xffff0000, v8
	v_dual_lshlrev_b32 v14, 16, v9 :: v_dual_add_f32 v16, v7, v6
	v_pk_mul_bf16 v17, v19, v5
	v_add_f32_e32 v20, v3, v2
	s_wait_loadcnt 0x0
	v_pk_mul_bf16 v2, v23, v42
	v_lshlrev_b32_e32 v21, 16, v4
	v_and_b32_e32 v23, 0xffff0000, v4
	v_pk_mul_bf16 v4, v22, v43
	v_add_f32_e32 v12, v12, v8
	v_pk_mul_bf16 v6, v18, v44
	v_pk_mul_bf16 v8, v19, v45
	v_and_b32_e32 v3, 0xffff0000, v2
	v_lshlrev_b32_e32 v5, 16, v2
	v_and_b32_e32 v2, 0xffff0000, v4
	v_lshlrev_b32_e32 v4, 16, v4
	v_and_b32_e32 v15, 0xffff0000, v9
	v_and_b32_e32 v7, 0xffff0000, v6
	v_lshlrev_b32_e32 v9, 16, v6
	v_and_b32_e32 v6, 0xffff0000, v8
	v_dual_lshlrev_b32 v8, 16, v8 :: v_dual_add_f32 v18, v21, v23
	v_pk_add_f32 v[2:3], v[4:5], v[2:3]
	v_lshlrev_b32_e32 v19, 16, v17
	v_and_b32_e32 v17, 0xffff0000, v17
	s_delay_alu instid0(VALU_DEP_4) | instskip(SKIP_2) | instid1(VALU_DEP_4)
	v_pk_add_f32 v[4:5], v[8:9], v[6:7]
	v_add_f32_e32 v6, v14, v15
	v_dual_add_f32 v2, v2, v3 :: v_dual_add_f32 v3, v12, v16
	v_dual_add_f32 v7, v18, v20 :: v_dual_add_f32 v8, v19, v17
	s_delay_alu instid0(VALU_DEP_2) | instskip(SKIP_1) | instid1(VALU_DEP_4)
	v_dual_add_nc_u32 v80, 4, v80 :: v_dual_add_f32 v2, v5, v2
	v_add_f32_e32 v67, v67, v13
	v_dual_add_f32 v5, v11, v10 :: v_dual_add_f32 v3, v6, v3
	s_delay_alu instid0(VALU_DEP_4) | instskip(NEXT) | instid1(VALU_DEP_4)
	v_add_f32_e32 v6, v8, v7
	v_add_f32_e32 v2, v4, v2
	v_cmp_le_i32_e32 vcc_lo, s22, v80
	s_delay_alu instid0(VALU_DEP_4) | instskip(NEXT) | instid1(VALU_DEP_4)
	v_dual_add_f32 v66, v66, v5 :: v_dual_add_f32 v69, v69, v3
	v_add_f32_e32 v68, v68, v6
	s_delay_alu instid0(VALU_DEP_4) | instskip(SKIP_3) | instid1(SALU_CYCLE_1)
	v_add_f32_e32 v59, v59, v2
	v_add_nc_u32_e32 v78, 64, v78
	v_add_nc_u32_e32 v79, 0x100, v79
	s_or_b32 s5, vcc_lo, s5
	s_and_not1_b32 exec_lo, exec_lo, s5
	s_cbranch_execz .LBB142_64
.LBB142_40:                             ; =>This Inner Loop Header: Depth=1
	global_load_b32 v2, v[72:73], off
	v_cmp_eq_u32_e32 vcc_lo, s4, v80
	v_dual_add_nc_u32 v86, 1, v78 :: v_dual_bitop2_b32 v85, 3, v78 bitop3:0x54
	v_or_b32_e32 v87, 2, v78
	v_or_b32_e32 v82, 5, v78
	;; [unrolled: 1-line block ×5, first 2 shown]
	s_wait_loadcnt 0x0
	v_ashrrev_i32_e32 v3, 31, v2
	s_delay_alu instid0(VALU_DEP_1) | instskip(NEXT) | instid1(VALU_DEP_1)
	v_mul_u64_e32 v[2:3], s[2:3], v[2:3]
	v_lshl_add_u64 v[42:43], v[2:3], 1, v[70:71]
	global_load_b128 v[2:5], v[42:43], off
	ds_load_2addr_b64 v[22:25], v79 offset1:1
	ds_load_2addr_b64 v[18:21], v79 offset0:2 offset1:3
	s_wait_xcnt 0x0
	s_and_saveexec_b32 s11, vcc_lo
	s_cbranch_execnz .LBB142_52
; %bb.41:                               ;   in Loop: Header=BB142_40 Depth=1
	s_or_b32 exec_lo, exec_lo, s11
	global_load_b128 v[6:9], v[42:43], off offset:512
	s_wait_xcnt 0x0
	s_and_saveexec_b32 s11, vcc_lo
	s_cbranch_execnz .LBB142_53
.LBB142_42:                             ;   in Loop: Header=BB142_40 Depth=1
	s_or_b32 exec_lo, exec_lo, s11
	global_load_b128 v[10:13], v[42:43], off offset:1024
	s_wait_xcnt 0x0
	s_and_saveexec_b32 s11, vcc_lo
	s_cbranch_execnz .LBB142_54
.LBB142_43:                             ;   in Loop: Header=BB142_40 Depth=1
	s_or_b32 exec_lo, exec_lo, s11
	global_load_b128 v[14:17], v[42:43], off offset:1536
	s_wait_xcnt 0x0
	s_and_saveexec_b32 s11, vcc_lo
	s_cbranch_execnz .LBB142_55
.LBB142_44:                             ;   in Loop: Header=BB142_40 Depth=1
	s_or_b32 exec_lo, exec_lo, s11
	global_load_b128 v[26:29], v[42:43], off offset:2048
	s_wait_xcnt 0x0
	s_and_saveexec_b32 s11, vcc_lo
	s_cbranch_execnz .LBB142_56
.LBB142_45:                             ;   in Loop: Header=BB142_40 Depth=1
	s_or_b32 exec_lo, exec_lo, s11
	global_load_b128 v[30:33], v[42:43], off offset:2560
	s_wait_xcnt 0x0
	s_and_saveexec_b32 s11, vcc_lo
	s_cbranch_execnz .LBB142_57
.LBB142_46:                             ;   in Loop: Header=BB142_40 Depth=1
	s_or_b32 exec_lo, exec_lo, s11
	global_load_b128 v[34:37], v[42:43], off offset:3072
	s_wait_xcnt 0x0
	s_and_saveexec_b32 s11, vcc_lo
	s_cbranch_execnz .LBB142_58
.LBB142_47:                             ;   in Loop: Header=BB142_40 Depth=1
	s_or_b32 exec_lo, exec_lo, s11
	global_load_b128 v[38:41], v[42:43], off offset:3584
	s_wait_xcnt 0x0
	s_and_saveexec_b32 s11, vcc_lo
	s_cbranch_execnz .LBB142_59
.LBB142_48:                             ;   in Loop: Header=BB142_40 Depth=1
	s_or_b32 exec_lo, exec_lo, s11
	global_load_b128 v[46:49], v[42:43], off offset:4096
	s_wait_xcnt 0x0
	s_and_saveexec_b32 s11, vcc_lo
	s_cbranch_execnz .LBB142_60
.LBB142_49:                             ;   in Loop: Header=BB142_40 Depth=1
	s_or_b32 exec_lo, exec_lo, s11
	global_load_b128 v[50:53], v[42:43], off offset:4608
	s_wait_xcnt 0x0
	s_and_saveexec_b32 s11, vcc_lo
	s_cbranch_execnz .LBB142_61
.LBB142_50:                             ;   in Loop: Header=BB142_40 Depth=1
	s_or_b32 exec_lo, exec_lo, s11
	global_load_b128 v[54:57], v[42:43], off offset:5120
	s_wait_xcnt 0x0
	s_and_saveexec_b32 s11, vcc_lo
	s_cbranch_execnz .LBB142_62
.LBB142_51:                             ;   in Loop: Header=BB142_40 Depth=1
	s_or_b32 exec_lo, exec_lo, s11
	global_load_b128 v[42:45], v[42:43], off offset:5632
	s_wait_xcnt 0x0
	s_and_saveexec_b32 s0, vcc_lo
	s_cbranch_execz .LBB142_39
	s_branch .LBB142_63
.LBB142_52:                             ;   in Loop: Header=BB142_40 Depth=1
	v_cmp_gt_i32_e64 s0, s21, v78
	s_wait_loadcnt 0x0
	v_dual_lshrrev_b32 v6, 16, v2 :: v_dual_lshrrev_b32 v8, 16, v4
	s_delay_alu instid0(VALU_DEP_2) | instskip(SKIP_1) | instid1(VALU_DEP_1)
	v_cndmask_b32_e64 v2, 0, v2, s0
	v_cmp_gt_i32_e64 s0, s10, v86
	v_dual_lshrrev_b32 v7, 16, v3 :: v_dual_cndmask_b32 v6, 0, v6, s0
	v_cmp_gt_i32_e64 s0, s21, v87
	s_delay_alu instid0(VALU_DEP_2) | instskip(NEXT) | instid1(VALU_DEP_2)
	v_perm_b32 v2, v6, v2, 0x5040100
	v_cndmask_b32_e64 v3, 0, v3, s0
	v_cmp_gt_i32_e64 s0, s10, v85
	s_delay_alu instid0(VALU_DEP_1) | instskip(SKIP_1) | instid1(VALU_DEP_1)
	v_cndmask_b32_e64 v7, 0, v7, s0
	v_cmp_gt_i32_e64 s0, s21, v84
	v_cndmask_b32_e64 v4, 0, v4, s0
	v_cmp_gt_i32_e64 s0, s10, v82
	v_lshrrev_b32_e32 v9, 16, v5
	v_perm_b32 v3, v7, v3, 0x5040100
	s_delay_alu instid0(VALU_DEP_3) | instskip(SKIP_1) | instid1(VALU_DEP_2)
	v_cndmask_b32_e64 v8, 0, v8, s0
	v_cmp_gt_i32_e64 s0, s21, v83
	v_perm_b32 v4, v8, v4, 0x5040100
	s_delay_alu instid0(VALU_DEP_2) | instskip(SKIP_1) | instid1(VALU_DEP_1)
	v_cndmask_b32_e64 v5, 0, v5, s0
	v_cmp_gt_i32_e64 s0, s10, v81
	v_cndmask_b32_e64 v9, 0, v9, s0
	s_delay_alu instid0(VALU_DEP_1)
	v_perm_b32 v5, v9, v5, 0x5040100
	s_or_b32 exec_lo, exec_lo, s11
	global_load_b128 v[6:9], v[42:43], off offset:512
	s_wait_xcnt 0x0
	s_and_saveexec_b32 s11, vcc_lo
	s_cbranch_execz .LBB142_42
.LBB142_53:                             ;   in Loop: Header=BB142_40 Depth=1
	v_cmp_gt_i32_e64 s0, s21, v78
	s_wait_loadcnt 0x0
	v_dual_lshrrev_b32 v10, 16, v6 :: v_dual_lshrrev_b32 v12, 16, v8
	s_delay_alu instid0(VALU_DEP_2) | instskip(SKIP_1) | instid1(VALU_DEP_1)
	v_cndmask_b32_e64 v6, 0, v6, s0
	v_cmp_gt_i32_e64 s0, s10, v86
	v_dual_lshrrev_b32 v11, 16, v7 :: v_dual_cndmask_b32 v10, 0, v10, s0
	v_cmp_gt_i32_e64 s0, s21, v87
	s_delay_alu instid0(VALU_DEP_2) | instskip(NEXT) | instid1(VALU_DEP_2)
	v_perm_b32 v6, v10, v6, 0x5040100
	v_cndmask_b32_e64 v7, 0, v7, s0
	v_cmp_gt_i32_e64 s0, s10, v85
	s_delay_alu instid0(VALU_DEP_1) | instskip(SKIP_1) | instid1(VALU_DEP_1)
	v_cndmask_b32_e64 v11, 0, v11, s0
	v_cmp_gt_i32_e64 s0, s21, v84
	v_cndmask_b32_e64 v8, 0, v8, s0
	v_cmp_gt_i32_e64 s0, s10, v82
	v_lshrrev_b32_e32 v13, 16, v9
	v_perm_b32 v7, v11, v7, 0x5040100
	s_delay_alu instid0(VALU_DEP_3) | instskip(SKIP_1) | instid1(VALU_DEP_2)
	v_cndmask_b32_e64 v12, 0, v12, s0
	v_cmp_gt_i32_e64 s0, s21, v83
	v_perm_b32 v8, v12, v8, 0x5040100
	s_delay_alu instid0(VALU_DEP_2) | instskip(SKIP_1) | instid1(VALU_DEP_1)
	v_cndmask_b32_e64 v9, 0, v9, s0
	v_cmp_gt_i32_e64 s0, s10, v81
	v_cndmask_b32_e64 v13, 0, v13, s0
	s_delay_alu instid0(VALU_DEP_1)
	v_perm_b32 v9, v13, v9, 0x5040100
	s_or_b32 exec_lo, exec_lo, s11
	global_load_b128 v[10:13], v[42:43], off offset:1024
	s_wait_xcnt 0x0
	s_and_saveexec_b32 s11, vcc_lo
	s_cbranch_execz .LBB142_43
.LBB142_54:                             ;   in Loop: Header=BB142_40 Depth=1
	v_cmp_gt_i32_e64 s0, s21, v78
	s_wait_loadcnt 0x0
	v_dual_lshrrev_b32 v14, 16, v10 :: v_dual_lshrrev_b32 v16, 16, v12
	s_delay_alu instid0(VALU_DEP_2) | instskip(SKIP_1) | instid1(VALU_DEP_1)
	v_cndmask_b32_e64 v10, 0, v10, s0
	v_cmp_gt_i32_e64 s0, s10, v86
	v_dual_lshrrev_b32 v15, 16, v11 :: v_dual_cndmask_b32 v14, 0, v14, s0
	v_cmp_gt_i32_e64 s0, s21, v87
	s_delay_alu instid0(VALU_DEP_2) | instskip(NEXT) | instid1(VALU_DEP_2)
	v_perm_b32 v10, v14, v10, 0x5040100
	v_cndmask_b32_e64 v11, 0, v11, s0
	v_cmp_gt_i32_e64 s0, s10, v85
	s_delay_alu instid0(VALU_DEP_1) | instskip(SKIP_1) | instid1(VALU_DEP_1)
	v_cndmask_b32_e64 v15, 0, v15, s0
	v_cmp_gt_i32_e64 s0, s21, v84
	v_cndmask_b32_e64 v12, 0, v12, s0
	v_cmp_gt_i32_e64 s0, s10, v82
	v_lshrrev_b32_e32 v17, 16, v13
	v_perm_b32 v11, v15, v11, 0x5040100
	s_delay_alu instid0(VALU_DEP_3) | instskip(SKIP_1) | instid1(VALU_DEP_2)
	v_cndmask_b32_e64 v16, 0, v16, s0
	v_cmp_gt_i32_e64 s0, s21, v83
	v_perm_b32 v12, v16, v12, 0x5040100
	s_delay_alu instid0(VALU_DEP_2) | instskip(SKIP_1) | instid1(VALU_DEP_1)
	v_cndmask_b32_e64 v13, 0, v13, s0
	v_cmp_gt_i32_e64 s0, s10, v81
	v_cndmask_b32_e64 v17, 0, v17, s0
	s_delay_alu instid0(VALU_DEP_1)
	v_perm_b32 v13, v17, v13, 0x5040100
	s_or_b32 exec_lo, exec_lo, s11
	global_load_b128 v[14:17], v[42:43], off offset:1536
	s_wait_xcnt 0x0
	s_and_saveexec_b32 s11, vcc_lo
	s_cbranch_execz .LBB142_44
.LBB142_55:                             ;   in Loop: Header=BB142_40 Depth=1
	v_cmp_gt_i32_e64 s0, s21, v78
	s_wait_loadcnt 0x0
	v_dual_lshrrev_b32 v26, 16, v14 :: v_dual_lshrrev_b32 v28, 16, v16
	s_delay_alu instid0(VALU_DEP_2) | instskip(SKIP_1) | instid1(VALU_DEP_1)
	v_cndmask_b32_e64 v14, 0, v14, s0
	v_cmp_gt_i32_e64 s0, s10, v86
	v_dual_lshrrev_b32 v27, 16, v15 :: v_dual_cndmask_b32 v26, 0, v26, s0
	v_cmp_gt_i32_e64 s0, s21, v87
	s_delay_alu instid0(VALU_DEP_2) | instskip(NEXT) | instid1(VALU_DEP_2)
	v_perm_b32 v14, v26, v14, 0x5040100
	v_cndmask_b32_e64 v15, 0, v15, s0
	v_cmp_gt_i32_e64 s0, s10, v85
	s_delay_alu instid0(VALU_DEP_1) | instskip(SKIP_1) | instid1(VALU_DEP_1)
	v_cndmask_b32_e64 v27, 0, v27, s0
	v_cmp_gt_i32_e64 s0, s21, v84
	v_cndmask_b32_e64 v16, 0, v16, s0
	v_cmp_gt_i32_e64 s0, s10, v82
	v_lshrrev_b32_e32 v29, 16, v17
	v_perm_b32 v15, v27, v15, 0x5040100
	s_delay_alu instid0(VALU_DEP_3) | instskip(SKIP_1) | instid1(VALU_DEP_2)
	v_cndmask_b32_e64 v28, 0, v28, s0
	v_cmp_gt_i32_e64 s0, s21, v83
	v_perm_b32 v16, v28, v16, 0x5040100
	s_delay_alu instid0(VALU_DEP_2) | instskip(SKIP_1) | instid1(VALU_DEP_1)
	v_cndmask_b32_e64 v17, 0, v17, s0
	v_cmp_gt_i32_e64 s0, s10, v81
	v_cndmask_b32_e64 v29, 0, v29, s0
	s_delay_alu instid0(VALU_DEP_1)
	v_perm_b32 v17, v29, v17, 0x5040100
	s_or_b32 exec_lo, exec_lo, s11
	global_load_b128 v[26:29], v[42:43], off offset:2048
	s_wait_xcnt 0x0
	s_and_saveexec_b32 s11, vcc_lo
	s_cbranch_execz .LBB142_45
.LBB142_56:                             ;   in Loop: Header=BB142_40 Depth=1
	v_cmp_gt_i32_e64 s0, s21, v78
	s_wait_loadcnt 0x0
	v_dual_lshrrev_b32 v30, 16, v26 :: v_dual_lshrrev_b32 v32, 16, v28
	s_delay_alu instid0(VALU_DEP_2) | instskip(SKIP_1) | instid1(VALU_DEP_1)
	v_cndmask_b32_e64 v26, 0, v26, s0
	v_cmp_gt_i32_e64 s0, s10, v86
	v_dual_lshrrev_b32 v31, 16, v27 :: v_dual_cndmask_b32 v30, 0, v30, s0
	v_cmp_gt_i32_e64 s0, s21, v87
	s_delay_alu instid0(VALU_DEP_2) | instskip(NEXT) | instid1(VALU_DEP_2)
	v_perm_b32 v26, v30, v26, 0x5040100
	v_cndmask_b32_e64 v27, 0, v27, s0
	v_cmp_gt_i32_e64 s0, s10, v85
	s_delay_alu instid0(VALU_DEP_1) | instskip(SKIP_1) | instid1(VALU_DEP_1)
	v_cndmask_b32_e64 v31, 0, v31, s0
	v_cmp_gt_i32_e64 s0, s21, v84
	v_cndmask_b32_e64 v28, 0, v28, s0
	v_cmp_gt_i32_e64 s0, s10, v82
	v_lshrrev_b32_e32 v33, 16, v29
	v_perm_b32 v27, v31, v27, 0x5040100
	s_delay_alu instid0(VALU_DEP_3) | instskip(SKIP_1) | instid1(VALU_DEP_2)
	v_cndmask_b32_e64 v32, 0, v32, s0
	v_cmp_gt_i32_e64 s0, s21, v83
	v_perm_b32 v28, v32, v28, 0x5040100
	s_delay_alu instid0(VALU_DEP_2) | instskip(SKIP_1) | instid1(VALU_DEP_1)
	v_cndmask_b32_e64 v29, 0, v29, s0
	v_cmp_gt_i32_e64 s0, s10, v81
	v_cndmask_b32_e64 v33, 0, v33, s0
	s_delay_alu instid0(VALU_DEP_1)
	v_perm_b32 v29, v33, v29, 0x5040100
	s_or_b32 exec_lo, exec_lo, s11
	global_load_b128 v[30:33], v[42:43], off offset:2560
	s_wait_xcnt 0x0
	s_and_saveexec_b32 s11, vcc_lo
	s_cbranch_execz .LBB142_46
.LBB142_57:                             ;   in Loop: Header=BB142_40 Depth=1
	v_cmp_gt_i32_e64 s0, s21, v78
	s_wait_loadcnt 0x0
	v_dual_lshrrev_b32 v34, 16, v30 :: v_dual_lshrrev_b32 v36, 16, v32
	s_delay_alu instid0(VALU_DEP_2) | instskip(SKIP_1) | instid1(VALU_DEP_1)
	v_cndmask_b32_e64 v30, 0, v30, s0
	v_cmp_gt_i32_e64 s0, s10, v86
	v_dual_lshrrev_b32 v35, 16, v31 :: v_dual_cndmask_b32 v34, 0, v34, s0
	v_cmp_gt_i32_e64 s0, s21, v87
	s_delay_alu instid0(VALU_DEP_2) | instskip(NEXT) | instid1(VALU_DEP_2)
	v_perm_b32 v30, v34, v30, 0x5040100
	v_cndmask_b32_e64 v31, 0, v31, s0
	v_cmp_gt_i32_e64 s0, s10, v85
	s_delay_alu instid0(VALU_DEP_1) | instskip(SKIP_1) | instid1(VALU_DEP_1)
	v_cndmask_b32_e64 v35, 0, v35, s0
	v_cmp_gt_i32_e64 s0, s21, v84
	v_cndmask_b32_e64 v32, 0, v32, s0
	v_cmp_gt_i32_e64 s0, s10, v82
	v_lshrrev_b32_e32 v37, 16, v33
	v_perm_b32 v31, v35, v31, 0x5040100
	s_delay_alu instid0(VALU_DEP_3) | instskip(SKIP_1) | instid1(VALU_DEP_2)
	v_cndmask_b32_e64 v36, 0, v36, s0
	v_cmp_gt_i32_e64 s0, s21, v83
	v_perm_b32 v32, v36, v32, 0x5040100
	s_delay_alu instid0(VALU_DEP_2) | instskip(SKIP_1) | instid1(VALU_DEP_1)
	v_cndmask_b32_e64 v33, 0, v33, s0
	v_cmp_gt_i32_e64 s0, s10, v81
	v_cndmask_b32_e64 v37, 0, v37, s0
	s_delay_alu instid0(VALU_DEP_1)
	v_perm_b32 v33, v37, v33, 0x5040100
	s_or_b32 exec_lo, exec_lo, s11
	global_load_b128 v[34:37], v[42:43], off offset:3072
	s_wait_xcnt 0x0
	s_and_saveexec_b32 s11, vcc_lo
	s_cbranch_execz .LBB142_47
.LBB142_58:                             ;   in Loop: Header=BB142_40 Depth=1
	v_cmp_gt_i32_e64 s0, s21, v78
	s_wait_loadcnt 0x0
	v_dual_lshrrev_b32 v38, 16, v34 :: v_dual_lshrrev_b32 v40, 16, v36
	s_delay_alu instid0(VALU_DEP_2) | instskip(SKIP_1) | instid1(VALU_DEP_1)
	v_cndmask_b32_e64 v34, 0, v34, s0
	v_cmp_gt_i32_e64 s0, s10, v86
	v_dual_lshrrev_b32 v39, 16, v35 :: v_dual_cndmask_b32 v38, 0, v38, s0
	v_cmp_gt_i32_e64 s0, s21, v87
	s_delay_alu instid0(VALU_DEP_2) | instskip(NEXT) | instid1(VALU_DEP_2)
	v_perm_b32 v34, v38, v34, 0x5040100
	v_cndmask_b32_e64 v35, 0, v35, s0
	v_cmp_gt_i32_e64 s0, s10, v85
	s_delay_alu instid0(VALU_DEP_1) | instskip(SKIP_1) | instid1(VALU_DEP_1)
	v_cndmask_b32_e64 v39, 0, v39, s0
	v_cmp_gt_i32_e64 s0, s21, v84
	v_cndmask_b32_e64 v36, 0, v36, s0
	v_cmp_gt_i32_e64 s0, s10, v82
	v_lshrrev_b32_e32 v41, 16, v37
	v_perm_b32 v35, v39, v35, 0x5040100
	s_delay_alu instid0(VALU_DEP_3) | instskip(SKIP_1) | instid1(VALU_DEP_2)
	v_cndmask_b32_e64 v40, 0, v40, s0
	v_cmp_gt_i32_e64 s0, s21, v83
	v_perm_b32 v36, v40, v36, 0x5040100
	s_delay_alu instid0(VALU_DEP_2) | instskip(SKIP_1) | instid1(VALU_DEP_1)
	v_cndmask_b32_e64 v37, 0, v37, s0
	v_cmp_gt_i32_e64 s0, s10, v81
	v_cndmask_b32_e64 v41, 0, v41, s0
	s_delay_alu instid0(VALU_DEP_1)
	v_perm_b32 v37, v41, v37, 0x5040100
	s_or_b32 exec_lo, exec_lo, s11
	global_load_b128 v[38:41], v[42:43], off offset:3584
	s_wait_xcnt 0x0
	s_and_saveexec_b32 s11, vcc_lo
	s_cbranch_execz .LBB142_48
.LBB142_59:                             ;   in Loop: Header=BB142_40 Depth=1
	v_cmp_gt_i32_e64 s0, s21, v78
	s_wait_loadcnt 0x0
	s_delay_alu instid0(VALU_DEP_1) | instskip(SKIP_1) | instid1(VALU_DEP_1)
	v_dual_lshrrev_b32 v44, 16, v38 :: v_dual_cndmask_b32 v38, 0, v38, s0
	v_cmp_gt_i32_e64 s0, s10, v86
	v_dual_lshrrev_b32 v45, 16, v39 :: v_dual_cndmask_b32 v44, 0, v44, s0
	v_cmp_gt_i32_e64 s0, s21, v87
	s_delay_alu instid0(VALU_DEP_2) | instskip(NEXT) | instid1(VALU_DEP_2)
	v_perm_b32 v38, v44, v38, 0x5040100
	v_cndmask_b32_e64 v39, 0, v39, s0
	v_cmp_gt_i32_e64 s0, s10, v85
	s_delay_alu instid0(VALU_DEP_1) | instskip(SKIP_2) | instid1(VALU_DEP_3)
	v_cndmask_b32_e64 v45, 0, v45, s0
	v_cmp_gt_i32_e64 s0, s21, v84
	v_lshrrev_b32_e32 v46, 16, v40
	v_perm_b32 v39, v45, v39, 0x5040100
	s_delay_alu instid0(VALU_DEP_3) | instskip(SKIP_1) | instid1(VALU_DEP_1)
	v_cndmask_b32_e64 v40, 0, v40, s0
	v_cmp_gt_i32_e64 s0, s10, v82
	v_dual_lshrrev_b32 v47, 16, v41 :: v_dual_cndmask_b32 v46, 0, v46, s0
	v_cmp_gt_i32_e64 s0, s21, v83
	s_delay_alu instid0(VALU_DEP_2) | instskip(NEXT) | instid1(VALU_DEP_2)
	v_perm_b32 v40, v46, v40, 0x5040100
	v_cndmask_b32_e64 v41, 0, v41, s0
	v_cmp_gt_i32_e64 s0, s10, v81
	s_delay_alu instid0(VALU_DEP_1) | instskip(NEXT) | instid1(VALU_DEP_1)
	v_cndmask_b32_e64 v47, 0, v47, s0
	v_perm_b32 v41, v47, v41, 0x5040100
	s_or_b32 exec_lo, exec_lo, s11
	global_load_b128 v[46:49], v[42:43], off offset:4096
	s_wait_xcnt 0x0
	s_and_saveexec_b32 s11, vcc_lo
	s_cbranch_execz .LBB142_49
.LBB142_60:                             ;   in Loop: Header=BB142_40 Depth=1
	v_cmp_gt_i32_e64 s0, s21, v78
	s_wait_loadcnt 0x0
	s_delay_alu instid0(VALU_DEP_1) | instskip(SKIP_1) | instid1(VALU_DEP_1)
	v_dual_lshrrev_b32 v44, 16, v46 :: v_dual_cndmask_b32 v45, 0, v46, s0
	v_cmp_gt_i32_e64 s0, s10, v86
	v_dual_lshrrev_b32 v46, 16, v47 :: v_dual_cndmask_b32 v44, 0, v44, s0
	v_cmp_gt_i32_e64 s0, s21, v87
	s_delay_alu instid0(VALU_DEP_1) | instskip(SKIP_1) | instid1(VALU_DEP_1)
	v_cndmask_b32_e64 v47, 0, v47, s0
	v_cmp_gt_i32_e64 s0, s10, v85
	v_cndmask_b32_e64 v50, 0, v46, s0
	v_cmp_gt_i32_e64 s0, s21, v84
	v_lshrrev_b32_e32 v46, 16, v48
	s_delay_alu instid0(VALU_DEP_3) | instskip(NEXT) | instid1(VALU_DEP_3)
	v_perm_b32 v47, v50, v47, 0x5040100
	v_cndmask_b32_e64 v48, 0, v48, s0
	v_cmp_gt_i32_e64 s0, s10, v82
	s_delay_alu instid0(VALU_DEP_1) | instskip(SKIP_2) | instid1(VALU_DEP_3)
	v_dual_lshrrev_b32 v51, 16, v49 :: v_dual_cndmask_b32 v52, 0, v46, s0
	v_cmp_gt_i32_e64 s0, s21, v83
	v_perm_b32 v46, v44, v45, 0x5040100
	v_perm_b32 v48, v52, v48, 0x5040100
	s_delay_alu instid0(VALU_DEP_3) | instskip(SKIP_1) | instid1(VALU_DEP_1)
	v_cndmask_b32_e64 v49, 0, v49, s0
	v_cmp_gt_i32_e64 s0, s10, v81
	v_cndmask_b32_e64 v51, 0, v51, s0
	s_delay_alu instid0(VALU_DEP_1)
	v_perm_b32 v49, v51, v49, 0x5040100
	s_or_b32 exec_lo, exec_lo, s11
	global_load_b128 v[50:53], v[42:43], off offset:4608
	s_wait_xcnt 0x0
	s_and_saveexec_b32 s11, vcc_lo
	s_cbranch_execz .LBB142_50
.LBB142_61:                             ;   in Loop: Header=BB142_40 Depth=1
	v_cmp_gt_i32_e64 s0, s21, v78
	s_wait_loadcnt 0x0
	s_delay_alu instid0(VALU_DEP_1) | instskip(SKIP_1) | instid1(VALU_DEP_1)
	v_dual_lshrrev_b32 v44, 16, v50 :: v_dual_cndmask_b32 v45, 0, v50, s0
	v_cmp_gt_i32_e64 s0, s10, v86
	v_dual_lshrrev_b32 v50, 16, v51 :: v_dual_cndmask_b32 v44, 0, v44, s0
	v_cmp_gt_i32_e64 s0, s21, v87
	s_delay_alu instid0(VALU_DEP_1) | instskip(SKIP_1) | instid1(VALU_DEP_1)
	v_cndmask_b32_e64 v51, 0, v51, s0
	v_cmp_gt_i32_e64 s0, s10, v85
	v_cndmask_b32_e64 v54, 0, v50, s0
	v_cmp_gt_i32_e64 s0, s21, v84
	v_lshrrev_b32_e32 v50, 16, v52
	s_delay_alu instid0(VALU_DEP_3) | instskip(NEXT) | instid1(VALU_DEP_3)
	v_perm_b32 v51, v54, v51, 0x5040100
	v_cndmask_b32_e64 v52, 0, v52, s0
	v_cmp_gt_i32_e64 s0, s10, v82
	s_delay_alu instid0(VALU_DEP_1) | instskip(SKIP_2) | instid1(VALU_DEP_3)
	v_dual_lshrrev_b32 v55, 16, v53 :: v_dual_cndmask_b32 v56, 0, v50, s0
	v_cmp_gt_i32_e64 s0, s21, v83
	v_perm_b32 v50, v44, v45, 0x5040100
	v_perm_b32 v52, v56, v52, 0x5040100
	s_delay_alu instid0(VALU_DEP_3) | instskip(SKIP_1) | instid1(VALU_DEP_1)
	v_cndmask_b32_e64 v53, 0, v53, s0
	v_cmp_gt_i32_e64 s0, s10, v81
	v_cndmask_b32_e64 v55, 0, v55, s0
	s_delay_alu instid0(VALU_DEP_1)
	v_perm_b32 v53, v55, v53, 0x5040100
	s_or_b32 exec_lo, exec_lo, s11
	global_load_b128 v[54:57], v[42:43], off offset:5120
	s_wait_xcnt 0x0
	s_and_saveexec_b32 s11, vcc_lo
	s_cbranch_execz .LBB142_51
.LBB142_62:                             ;   in Loop: Header=BB142_40 Depth=1
	v_cmp_gt_i32_e64 s0, s21, v78
	s_wait_loadcnt 0x0
	s_delay_alu instid0(VALU_DEP_1) | instskip(SKIP_1) | instid1(VALU_DEP_1)
	v_dual_lshrrev_b32 v44, 16, v54 :: v_dual_cndmask_b32 v45, 0, v54, s0
	v_cmp_gt_i32_e64 s0, s10, v86
	v_dual_lshrrev_b32 v54, 16, v55 :: v_dual_cndmask_b32 v44, 0, v44, s0
	v_cmp_gt_i32_e64 s0, s21, v87
	s_delay_alu instid0(VALU_DEP_1) | instskip(SKIP_1) | instid1(VALU_DEP_1)
	v_cndmask_b32_e64 v55, 0, v55, s0
	v_cmp_gt_i32_e64 s0, s10, v85
	v_cndmask_b32_e64 v74, 0, v54, s0
	v_cmp_gt_i32_e64 s0, s21, v84
	v_lshrrev_b32_e32 v54, 16, v56
	s_delay_alu instid0(VALU_DEP_3) | instskip(NEXT) | instid1(VALU_DEP_3)
	v_perm_b32 v55, v74, v55, 0x5040100
	v_cndmask_b32_e64 v56, 0, v56, s0
	v_cmp_gt_i32_e64 s0, s10, v82
	s_delay_alu instid0(VALU_DEP_1) | instskip(SKIP_2) | instid1(VALU_DEP_3)
	v_dual_lshrrev_b32 v88, 16, v57 :: v_dual_cndmask_b32 v89, 0, v54, s0
	v_cmp_gt_i32_e64 s0, s21, v83
	v_perm_b32 v54, v44, v45, 0x5040100
	v_perm_b32 v56, v89, v56, 0x5040100
	s_delay_alu instid0(VALU_DEP_3) | instskip(SKIP_1) | instid1(VALU_DEP_1)
	v_cndmask_b32_e64 v57, 0, v57, s0
	v_cmp_gt_i32_e64 s0, s10, v81
	v_cndmask_b32_e64 v88, 0, v88, s0
	s_delay_alu instid0(VALU_DEP_1)
	v_perm_b32 v57, v88, v57, 0x5040100
	s_or_b32 exec_lo, exec_lo, s11
	global_load_b128 v[42:45], v[42:43], off offset:5632
	s_wait_xcnt 0x0
	s_and_saveexec_b32 s0, vcc_lo
	s_cbranch_execz .LBB142_39
.LBB142_63:                             ;   in Loop: Header=BB142_40 Depth=1
	v_cmp_gt_i32_e32 vcc_lo, s21, v78
	s_wait_loadcnt 0x0
	v_dual_lshrrev_b32 v74, 16, v42 :: v_dual_cndmask_b32 v42, 0, v42, vcc_lo
	v_cmp_gt_i32_e32 vcc_lo, s10, v86
	s_delay_alu instid0(VALU_DEP_2) | instskip(SKIP_1) | instid1(VALU_DEP_2)
	v_dual_lshrrev_b32 v88, 16, v43 :: v_dual_cndmask_b32 v74, 0, v74, vcc_lo
	v_cmp_gt_i32_e32 vcc_lo, s21, v87
	v_perm_b32 v42, v74, v42, 0x5040100
	v_cndmask_b32_e32 v43, 0, v43, vcc_lo
	v_cmp_gt_i32_e32 vcc_lo, s10, v85
	v_cndmask_b32_e32 v85, 0, v88, vcc_lo
	v_cmp_gt_i32_e32 vcc_lo, s21, v84
	v_lshrrev_b32_e32 v86, 16, v44
	s_delay_alu instid0(VALU_DEP_3) | instskip(SKIP_2) | instid1(VALU_DEP_4)
	v_perm_b32 v43, v85, v43, 0x5040100
	v_cndmask_b32_e32 v44, 0, v44, vcc_lo
	v_cmp_gt_i32_e32 vcc_lo, s10, v82
	v_dual_lshrrev_b32 v84, 16, v45 :: v_dual_cndmask_b32 v82, 0, v86, vcc_lo
	v_cmp_gt_i32_e32 vcc_lo, s21, v83
	s_delay_alu instid0(VALU_DEP_2) | instskip(SKIP_3) | instid1(VALU_DEP_1)
	v_perm_b32 v44, v82, v44, 0x5040100
	v_cndmask_b32_e32 v45, 0, v45, vcc_lo
	v_cmp_gt_i32_e32 vcc_lo, s10, v81
	v_cndmask_b32_e32 v81, 0, v84, vcc_lo
	v_perm_b32 v45, v81, v45, 0x5040100
	s_branch .LBB142_39
.LBB142_64:
	s_or_b32 exec_lo, exec_lo, s5
.LBB142_65:
	s_delay_alu instid0(SALU_CYCLE_1)
	s_or_b32 exec_lo, exec_lo, s1
	ds_bpermute_b32 v2, v77, v68
	ds_bpermute_b32 v3, v77, v69
	;; [unrolled: 1-line block ×12, first 2 shown]
	v_lshrrev_b32_e32 v14, 1, v76
	v_and_b32_e32 v15, 0x3c1, v0
	s_mov_b32 s0, exec_lo
	s_wait_dscnt 0x0
	s_barrier_signal -1
	s_barrier_wait -1
	v_pk_add_f32 v[10:11], v[68:69], v[2:3]
	v_pk_add_f32 v[8:9], v[66:67], v[4:5]
	;; [unrolled: 1-line block ×5, first 2 shown]
	v_cmpx_ne_u32_e32 64, v15
	s_xor_b32 s0, exec_lo, s0
	s_delay_alu instid0(SALU_CYCLE_1)
	s_or_saveexec_b32 s0, s0
	v_pk_add_f32 v[12:13], v[58:59], v[12:13]
	v_lshl_add_u32 v15, v14, 2, 0x1a0
	v_mul_u32_u24_e32 v16, 0x300, v75
	s_xor_b32 exec_lo, exec_lo, s0
	s_cbranch_execz .LBB142_67
; %bb.66:
	s_delay_alu instid0(VALU_DEP_1) | instskip(NEXT) | instid1(VALU_DEP_1)
	v_add_nc_u32_e32 v17, v15, v16
	v_add_nc_u32_e32 v18, 0xfffffa00, v17
	;; [unrolled: 1-line block ×13, first 2 shown]
	ds_store_b32 v18, v10
	ds_store_b32 v19, v11
	ds_store_b32 v20, v8
	ds_store_b32 v21, v9
	ds_store_b32 v22, v6
	ds_store_b32 v23, v7
	ds_store_b32 v24, v4
	ds_store_b32 v25, v5
	ds_store_b32 v26, v2
	ds_store_b32 v27, v3
	ds_store_b32 v28, v12
	ds_store_b32 v17, v13
.LBB142_67:
	s_or_b32 exec_lo, exec_lo, s0
	v_lshlrev_b32_e32 v14, 2, v14
	s_mov_b32 s1, exec_lo
	v_cmp_eq_u32_e32 vcc_lo, 0, v113
	s_wait_dscnt 0x0
	s_barrier_signal -1
	v_add3_u32 v14, 0x1a0, v16, v14
	s_barrier_wait -1
	v_cmpx_gt_u32_e32 64, v0
	s_cbranch_execz .LBB142_82
; %bb.68:
	s_and_saveexec_b32 s0, vcc_lo
	s_cbranch_execnz .LBB142_102
; %bb.69:
	s_or_b32 exec_lo, exec_lo, s0
	s_and_saveexec_b32 s0, vcc_lo
	s_cbranch_execnz .LBB142_103
.LBB142_70:
	s_or_b32 exec_lo, exec_lo, s0
	s_and_saveexec_b32 s0, vcc_lo
	s_cbranch_execnz .LBB142_104
.LBB142_71:
	s_or_b32 exec_lo, exec_lo, s0
	s_and_saveexec_b32 s0, vcc_lo
	s_cbranch_execnz .LBB142_105
.LBB142_72:
	s_or_b32 exec_lo, exec_lo, s0
	s_and_saveexec_b32 s0, vcc_lo
	s_cbranch_execnz .LBB142_106
.LBB142_73:
	s_or_b32 exec_lo, exec_lo, s0
	s_and_saveexec_b32 s0, vcc_lo
	s_cbranch_execnz .LBB142_107
.LBB142_74:
	s_or_b32 exec_lo, exec_lo, s0
	s_and_saveexec_b32 s0, vcc_lo
	s_cbranch_execnz .LBB142_108
.LBB142_75:
	s_or_b32 exec_lo, exec_lo, s0
	s_and_saveexec_b32 s0, vcc_lo
	s_cbranch_execnz .LBB142_109
.LBB142_76:
	s_or_b32 exec_lo, exec_lo, s0
	s_and_saveexec_b32 s0, vcc_lo
	s_cbranch_execnz .LBB142_110
.LBB142_77:
	s_or_b32 exec_lo, exec_lo, s0
	s_and_saveexec_b32 s0, vcc_lo
	s_cbranch_execnz .LBB142_111
.LBB142_78:
	s_or_b32 exec_lo, exec_lo, s0
	s_and_saveexec_b32 s0, vcc_lo
	s_cbranch_execnz .LBB142_112
.LBB142_79:
	s_or_b32 exec_lo, exec_lo, s0
	s_and_saveexec_b32 s0, vcc_lo
	s_cbranch_execz .LBB142_81
.LBB142_80:
	ds_load_b32 v16, v14 offset:704
	s_wait_dscnt 0x0
	v_add_f32_e32 v13, v13, v16
.LBB142_81:
	s_or_b32 exec_lo, exec_lo, s0
.LBB142_82:
	s_delay_alu instid0(SALU_CYCLE_1) | instskip(SKIP_4) | instid1(VALU_DEP_1)
	s_or_b32 exec_lo, exec_lo, s1
	v_and_b32_e32 v16, 0x3e1, v0
	s_mov_b32 s1, exec_lo
	s_barrier_signal -1
	s_barrier_wait -1
	v_cmpx_eq_u32_e32 32, v16
	s_cbranch_execz .LBB142_84
; %bb.83:
	ds_store_2addr_b32 v15, v10, v11 offset1:16
	ds_store_2addr_b32 v15, v8, v9 offset0:32 offset1:48
	ds_store_2addr_b32 v15, v6, v7 offset0:64 offset1:80
	;; [unrolled: 1-line block ×5, first 2 shown]
.LBB142_84:
	s_or_b32 exec_lo, exec_lo, s1
	s_delay_alu instid0(SALU_CYCLE_1)
	s_mov_b32 s1, exec_lo
	s_wait_dscnt 0x0
	s_barrier_signal -1
	s_barrier_wait -1
	v_cmpx_gt_u32_e32 32, v0
	s_cbranch_execz .LBB142_99
; %bb.85:
	s_and_saveexec_b32 s0, vcc_lo
	s_cbranch_execnz .LBB142_113
; %bb.86:
	s_or_b32 exec_lo, exec_lo, s0
	s_and_saveexec_b32 s0, vcc_lo
	s_cbranch_execnz .LBB142_114
.LBB142_87:
	s_or_b32 exec_lo, exec_lo, s0
	s_and_saveexec_b32 s0, vcc_lo
	s_cbranch_execnz .LBB142_115
.LBB142_88:
	s_or_b32 exec_lo, exec_lo, s0
	s_and_saveexec_b32 s0, vcc_lo
	s_cbranch_execnz .LBB142_116
.LBB142_89:
	s_or_b32 exec_lo, exec_lo, s0
	s_and_saveexec_b32 s0, vcc_lo
	s_cbranch_execnz .LBB142_117
.LBB142_90:
	s_or_b32 exec_lo, exec_lo, s0
	s_and_saveexec_b32 s0, vcc_lo
	s_cbranch_execnz .LBB142_118
.LBB142_91:
	s_or_b32 exec_lo, exec_lo, s0
	s_and_saveexec_b32 s0, vcc_lo
	s_cbranch_execnz .LBB142_119
.LBB142_92:
	s_or_b32 exec_lo, exec_lo, s0
	s_and_saveexec_b32 s0, vcc_lo
	s_cbranch_execnz .LBB142_120
.LBB142_93:
	s_or_b32 exec_lo, exec_lo, s0
	s_and_saveexec_b32 s0, vcc_lo
	s_cbranch_execnz .LBB142_121
.LBB142_94:
	s_or_b32 exec_lo, exec_lo, s0
	s_and_saveexec_b32 s0, vcc_lo
	s_cbranch_execnz .LBB142_122
.LBB142_95:
	s_or_b32 exec_lo, exec_lo, s0
	s_and_saveexec_b32 s0, vcc_lo
	s_cbranch_execnz .LBB142_123
.LBB142_96:
	s_or_b32 exec_lo, exec_lo, s0
	s_and_saveexec_b32 s0, vcc_lo
	s_cbranch_execz .LBB142_98
.LBB142_97:
	ds_load_b32 v0, v14 offset:704
	s_wait_dscnt 0x0
	v_add_f32_e32 v13, v13, v0
.LBB142_98:
	s_or_b32 exec_lo, exec_lo, s0
.LBB142_99:
	s_delay_alu instid0(SALU_CYCLE_1)
	s_or_b32 exec_lo, exec_lo, s1
	s_mov_b32 s1, 0
	s_barrier_signal -1
	s_barrier_wait -1
	s_mov_b32 s0, exec_lo
	v_cmpx_eq_u32_e32 0, v16
	s_cbranch_execz .LBB142_101
; %bb.100:
	s_wait_kmcnt 0x0
	s_mul_i32 s0, s20, s9
	s_mul_i32 s2, s9, s8
	;; [unrolled: 1-line block ×3, first 2 shown]
	s_lshr_b32 s8, ttmp7, 16
	s_mul_i32 s4, s0, 0xc0
	s_bfe_u32 s0, ttmp6, 0x40014
	s_ashr_i32 s5, s4, 31
	s_add_co_i32 s0, s0, 1
	s_ashr_i32 s3, s2, 31
	s_mul_i32 s0, s8, s0
	s_bfe_u32 s9, ttmp6, 0x40008
	s_lshl_b64 s[4:5], s[4:5], 1
	s_lshl_b64 s[2:3], s[2:3], 1
	s_add_co_i32 s9, s9, s0
	s_cmp_eq_u32 s18, 0
	s_add_nc_u64 s[4:5], s[6:7], s[4:5]
	s_cselect_b32 s0, s8, s9
	s_add_nc_u64 s[2:3], s[4:5], s[2:3]
	s_mulk_i32 s0, 0x180
	s_delay_alu instid0(SALU_CYCLE_1) | instskip(NEXT) | instid1(SALU_CYCLE_1)
	s_add_nc_u64 s[0:1], s[2:3], s[0:1]
	v_cvt_pk_bf16_f32 v0, v10, s0
	v_cvt_pk_bf16_f32 v10, v11, s0
	;; [unrolled: 1-line block ×12, first 2 shown]
	s_clause 0xb
	global_store_b16 v1, v0, s[0:1] scale_offset
	global_store_b16 v1, v10, s[0:1] offset:32 scale_offset
	global_store_b16 v1, v8, s[0:1] offset:64 scale_offset
	;; [unrolled: 1-line block ×11, first 2 shown]
.LBB142_101:
	s_sendmsg sendmsg(MSG_DEALLOC_VGPRS)
	s_endpgm
.LBB142_102:
	ds_load_b32 v16, v14
	s_wait_dscnt 0x0
	v_add_f32_e32 v10, v10, v16
	s_or_b32 exec_lo, exec_lo, s0
	s_and_saveexec_b32 s0, vcc_lo
	s_cbranch_execz .LBB142_70
.LBB142_103:
	ds_load_b32 v16, v14 offset:64
	s_wait_dscnt 0x0
	v_add_f32_e32 v11, v11, v16
	s_or_b32 exec_lo, exec_lo, s0
	s_and_saveexec_b32 s0, vcc_lo
	s_cbranch_execz .LBB142_71
.LBB142_104:
	ds_load_b32 v16, v14 offset:128
	s_wait_dscnt 0x0
	v_add_f32_e32 v8, v8, v16
	s_or_b32 exec_lo, exec_lo, s0
	s_and_saveexec_b32 s0, vcc_lo
	s_cbranch_execz .LBB142_72
.LBB142_105:
	ds_load_b32 v16, v14 offset:192
	s_wait_dscnt 0x0
	v_add_f32_e32 v9, v9, v16
	s_or_b32 exec_lo, exec_lo, s0
	s_and_saveexec_b32 s0, vcc_lo
	s_cbranch_execz .LBB142_73
.LBB142_106:
	ds_load_b32 v16, v14 offset:256
	s_wait_dscnt 0x0
	v_add_f32_e32 v6, v6, v16
	s_or_b32 exec_lo, exec_lo, s0
	s_and_saveexec_b32 s0, vcc_lo
	s_cbranch_execz .LBB142_74
.LBB142_107:
	ds_load_b32 v16, v14 offset:320
	s_wait_dscnt 0x0
	v_add_f32_e32 v7, v7, v16
	s_or_b32 exec_lo, exec_lo, s0
	s_and_saveexec_b32 s0, vcc_lo
	s_cbranch_execz .LBB142_75
.LBB142_108:
	ds_load_b32 v16, v14 offset:384
	s_wait_dscnt 0x0
	v_add_f32_e32 v4, v4, v16
	s_or_b32 exec_lo, exec_lo, s0
	s_and_saveexec_b32 s0, vcc_lo
	s_cbranch_execz .LBB142_76
.LBB142_109:
	ds_load_b32 v16, v14 offset:448
	s_wait_dscnt 0x0
	v_add_f32_e32 v5, v5, v16
	s_or_b32 exec_lo, exec_lo, s0
	s_and_saveexec_b32 s0, vcc_lo
	s_cbranch_execz .LBB142_77
.LBB142_110:
	ds_load_b32 v16, v14 offset:512
	s_wait_dscnt 0x0
	v_add_f32_e32 v2, v2, v16
	s_or_b32 exec_lo, exec_lo, s0
	s_and_saveexec_b32 s0, vcc_lo
	s_cbranch_execz .LBB142_78
.LBB142_111:
	ds_load_b32 v16, v14 offset:576
	s_wait_dscnt 0x0
	v_add_f32_e32 v3, v3, v16
	s_or_b32 exec_lo, exec_lo, s0
	s_and_saveexec_b32 s0, vcc_lo
	s_cbranch_execz .LBB142_79
.LBB142_112:
	ds_load_b32 v16, v14 offset:640
	s_wait_dscnt 0x0
	v_add_f32_e32 v12, v12, v16
	s_or_b32 exec_lo, exec_lo, s0
	s_and_saveexec_b32 s0, vcc_lo
	s_cbranch_execnz .LBB142_80
	s_branch .LBB142_81
.LBB142_113:
	ds_load_b32 v0, v14
	s_wait_dscnt 0x0
	v_add_f32_e32 v10, v10, v0
	s_or_b32 exec_lo, exec_lo, s0
	s_and_saveexec_b32 s0, vcc_lo
	s_cbranch_execz .LBB142_87
.LBB142_114:
	ds_load_b32 v0, v14 offset:64
	s_wait_dscnt 0x0
	v_add_f32_e32 v11, v11, v0
	s_or_b32 exec_lo, exec_lo, s0
	s_and_saveexec_b32 s0, vcc_lo
	s_cbranch_execz .LBB142_88
.LBB142_115:
	ds_load_b32 v0, v14 offset:128
	s_wait_dscnt 0x0
	v_add_f32_e32 v8, v8, v0
	s_or_b32 exec_lo, exec_lo, s0
	s_and_saveexec_b32 s0, vcc_lo
	s_cbranch_execz .LBB142_89
.LBB142_116:
	ds_load_b32 v0, v14 offset:192
	s_wait_dscnt 0x0
	v_add_f32_e32 v9, v9, v0
	s_or_b32 exec_lo, exec_lo, s0
	s_and_saveexec_b32 s0, vcc_lo
	s_cbranch_execz .LBB142_90
.LBB142_117:
	ds_load_b32 v0, v14 offset:256
	s_wait_dscnt 0x0
	v_add_f32_e32 v6, v6, v0
	s_or_b32 exec_lo, exec_lo, s0
	s_and_saveexec_b32 s0, vcc_lo
	s_cbranch_execz .LBB142_91
.LBB142_118:
	ds_load_b32 v0, v14 offset:320
	s_wait_dscnt 0x0
	v_add_f32_e32 v7, v7, v0
	s_or_b32 exec_lo, exec_lo, s0
	s_and_saveexec_b32 s0, vcc_lo
	s_cbranch_execz .LBB142_92
.LBB142_119:
	ds_load_b32 v0, v14 offset:384
	s_wait_dscnt 0x0
	v_add_f32_e32 v4, v4, v0
	s_or_b32 exec_lo, exec_lo, s0
	s_and_saveexec_b32 s0, vcc_lo
	s_cbranch_execz .LBB142_93
.LBB142_120:
	ds_load_b32 v0, v14 offset:448
	s_wait_dscnt 0x0
	v_add_f32_e32 v5, v5, v0
	s_or_b32 exec_lo, exec_lo, s0
	s_and_saveexec_b32 s0, vcc_lo
	s_cbranch_execz .LBB142_94
.LBB142_121:
	ds_load_b32 v0, v14 offset:512
	s_wait_dscnt 0x0
	v_add_f32_e32 v2, v2, v0
	s_or_b32 exec_lo, exec_lo, s0
	s_and_saveexec_b32 s0, vcc_lo
	s_cbranch_execz .LBB142_95
.LBB142_122:
	ds_load_b32 v0, v14 offset:576
	s_wait_dscnt 0x0
	v_add_f32_e32 v3, v3, v0
	s_or_b32 exec_lo, exec_lo, s0
	s_and_saveexec_b32 s0, vcc_lo
	s_cbranch_execz .LBB142_96
.LBB142_123:
	ds_load_b32 v0, v14 offset:640
	s_wait_dscnt 0x0
	v_add_f32_e32 v12, v12, v0
	s_or_b32 exec_lo, exec_lo, s0
	s_and_saveexec_b32 s0, vcc_lo
	s_cbranch_execnz .LBB142_97
	s_branch .LBB142_98
	.section	.rodata,"a",@progbits
	.p2align	6, 0x0
	.amdhsa_kernel _ZN4vllm25paged_attention_v1_kernelI14__hip_bfloat16S1_Li192ELi16ELi128ELNS_18Fp8KVCacheDataTypeE0ELb0EEEvPT_PKS3_PKT0_S9_ifPKiSB_iPKfiiiSD_SD_iiiii
		.amdhsa_group_segment_fixed_size 416
		.amdhsa_private_segment_fixed_size 0
		.amdhsa_kernarg_size 384
		.amdhsa_user_sgpr_count 2
		.amdhsa_user_sgpr_dispatch_ptr 0
		.amdhsa_user_sgpr_queue_ptr 0
		.amdhsa_user_sgpr_kernarg_segment_ptr 1
		.amdhsa_user_sgpr_dispatch_id 0
		.amdhsa_user_sgpr_kernarg_preload_length 0
		.amdhsa_user_sgpr_kernarg_preload_offset 0
		.amdhsa_user_sgpr_private_segment_size 0
		.amdhsa_wavefront_size32 1
		.amdhsa_uses_dynamic_stack 0
		.amdhsa_enable_private_segment 0
		.amdhsa_system_sgpr_workgroup_id_x 1
		.amdhsa_system_sgpr_workgroup_id_y 1
		.amdhsa_system_sgpr_workgroup_id_z 1
		.amdhsa_system_sgpr_workgroup_info 0
		.amdhsa_system_vgpr_workitem_id 0
		.amdhsa_next_free_vgpr 128
		.amdhsa_next_free_sgpr 28
		.amdhsa_named_barrier_count 0
		.amdhsa_reserve_vcc 1
		.amdhsa_float_round_mode_32 0
		.amdhsa_float_round_mode_16_64 0
		.amdhsa_float_denorm_mode_32 3
		.amdhsa_float_denorm_mode_16_64 3
		.amdhsa_fp16_overflow 0
		.amdhsa_memory_ordered 1
		.amdhsa_forward_progress 1
		.amdhsa_inst_pref_size 92
		.amdhsa_round_robin_scheduling 0
		.amdhsa_exception_fp_ieee_invalid_op 0
		.amdhsa_exception_fp_denorm_src 0
		.amdhsa_exception_fp_ieee_div_zero 0
		.amdhsa_exception_fp_ieee_overflow 0
		.amdhsa_exception_fp_ieee_underflow 0
		.amdhsa_exception_fp_ieee_inexact 0
		.amdhsa_exception_int_div_zero 0
	.end_amdhsa_kernel
	.section	.text._ZN4vllm25paged_attention_v1_kernelI14__hip_bfloat16S1_Li192ELi16ELi128ELNS_18Fp8KVCacheDataTypeE0ELb0EEEvPT_PKS3_PKT0_S9_ifPKiSB_iPKfiiiSD_SD_iiiii,"axG",@progbits,_ZN4vllm25paged_attention_v1_kernelI14__hip_bfloat16S1_Li192ELi16ELi128ELNS_18Fp8KVCacheDataTypeE0ELb0EEEvPT_PKS3_PKT0_S9_ifPKiSB_iPKfiiiSD_SD_iiiii,comdat
.Lfunc_end142:
	.size	_ZN4vllm25paged_attention_v1_kernelI14__hip_bfloat16S1_Li192ELi16ELi128ELNS_18Fp8KVCacheDataTypeE0ELb0EEEvPT_PKS3_PKT0_S9_ifPKiSB_iPKfiiiSD_SD_iiiii, .Lfunc_end142-_ZN4vllm25paged_attention_v1_kernelI14__hip_bfloat16S1_Li192ELi16ELi128ELNS_18Fp8KVCacheDataTypeE0ELb0EEEvPT_PKS3_PKT0_S9_ifPKiSB_iPKfiiiSD_SD_iiiii
                                        ; -- End function
	.set _ZN4vllm25paged_attention_v1_kernelI14__hip_bfloat16S1_Li192ELi16ELi128ELNS_18Fp8KVCacheDataTypeE0ELb0EEEvPT_PKS3_PKT0_S9_ifPKiSB_iPKfiiiSD_SD_iiiii.num_vgpr, 128
	.set _ZN4vllm25paged_attention_v1_kernelI14__hip_bfloat16S1_Li192ELi16ELi128ELNS_18Fp8KVCacheDataTypeE0ELb0EEEvPT_PKS3_PKT0_S9_ifPKiSB_iPKfiiiSD_SD_iiiii.num_agpr, 0
	.set _ZN4vllm25paged_attention_v1_kernelI14__hip_bfloat16S1_Li192ELi16ELi128ELNS_18Fp8KVCacheDataTypeE0ELb0EEEvPT_PKS3_PKT0_S9_ifPKiSB_iPKfiiiSD_SD_iiiii.numbered_sgpr, 28
	.set _ZN4vllm25paged_attention_v1_kernelI14__hip_bfloat16S1_Li192ELi16ELi128ELNS_18Fp8KVCacheDataTypeE0ELb0EEEvPT_PKS3_PKT0_S9_ifPKiSB_iPKfiiiSD_SD_iiiii.num_named_barrier, 0
	.set _ZN4vllm25paged_attention_v1_kernelI14__hip_bfloat16S1_Li192ELi16ELi128ELNS_18Fp8KVCacheDataTypeE0ELb0EEEvPT_PKS3_PKT0_S9_ifPKiSB_iPKfiiiSD_SD_iiiii.private_seg_size, 0
	.set _ZN4vllm25paged_attention_v1_kernelI14__hip_bfloat16S1_Li192ELi16ELi128ELNS_18Fp8KVCacheDataTypeE0ELb0EEEvPT_PKS3_PKT0_S9_ifPKiSB_iPKfiiiSD_SD_iiiii.uses_vcc, 1
	.set _ZN4vllm25paged_attention_v1_kernelI14__hip_bfloat16S1_Li192ELi16ELi128ELNS_18Fp8KVCacheDataTypeE0ELb0EEEvPT_PKS3_PKT0_S9_ifPKiSB_iPKfiiiSD_SD_iiiii.uses_flat_scratch, 0
	.set _ZN4vllm25paged_attention_v1_kernelI14__hip_bfloat16S1_Li192ELi16ELi128ELNS_18Fp8KVCacheDataTypeE0ELb0EEEvPT_PKS3_PKT0_S9_ifPKiSB_iPKfiiiSD_SD_iiiii.has_dyn_sized_stack, 0
	.set _ZN4vllm25paged_attention_v1_kernelI14__hip_bfloat16S1_Li192ELi16ELi128ELNS_18Fp8KVCacheDataTypeE0ELb0EEEvPT_PKS3_PKT0_S9_ifPKiSB_iPKfiiiSD_SD_iiiii.has_recursion, 0
	.set _ZN4vllm25paged_attention_v1_kernelI14__hip_bfloat16S1_Li192ELi16ELi128ELNS_18Fp8KVCacheDataTypeE0ELb0EEEvPT_PKS3_PKT0_S9_ifPKiSB_iPKfiiiSD_SD_iiiii.has_indirect_call, 0
	.section	.AMDGPU.csdata,"",@progbits
; Kernel info:
; codeLenInByte = 11676
; TotalNumSgprs: 30
; NumVgprs: 128
; ScratchSize: 0
; MemoryBound: 0
; FloatMode: 240
; IeeeMode: 1
; LDSByteSize: 416 bytes/workgroup (compile time only)
; SGPRBlocks: 0
; VGPRBlocks: 7
; NumSGPRsForWavesPerEU: 30
; NumVGPRsForWavesPerEU: 128
; NamedBarCnt: 0
; Occupancy: 8
; WaveLimiterHint : 1
; COMPUTE_PGM_RSRC2:SCRATCH_EN: 0
; COMPUTE_PGM_RSRC2:USER_SGPR: 2
; COMPUTE_PGM_RSRC2:TRAP_HANDLER: 0
; COMPUTE_PGM_RSRC2:TGID_X_EN: 1
; COMPUTE_PGM_RSRC2:TGID_Y_EN: 1
; COMPUTE_PGM_RSRC2:TGID_Z_EN: 1
; COMPUTE_PGM_RSRC2:TIDIG_COMP_CNT: 0
	.section	.text._ZN4vllm25paged_attention_v1_kernelI14__hip_bfloat16S1_Li256ELi16ELi128ELNS_18Fp8KVCacheDataTypeE0ELb0EEEvPT_PKS3_PKT0_S9_ifPKiSB_iPKfiiiSD_SD_iiiii,"axG",@progbits,_ZN4vllm25paged_attention_v1_kernelI14__hip_bfloat16S1_Li256ELi16ELi128ELNS_18Fp8KVCacheDataTypeE0ELb0EEEvPT_PKS3_PKT0_S9_ifPKiSB_iPKfiiiSD_SD_iiiii,comdat
	.protected	_ZN4vllm25paged_attention_v1_kernelI14__hip_bfloat16S1_Li256ELi16ELi128ELNS_18Fp8KVCacheDataTypeE0ELb0EEEvPT_PKS3_PKT0_S9_ifPKiSB_iPKfiiiSD_SD_iiiii ; -- Begin function _ZN4vllm25paged_attention_v1_kernelI14__hip_bfloat16S1_Li256ELi16ELi128ELNS_18Fp8KVCacheDataTypeE0ELb0EEEvPT_PKS3_PKT0_S9_ifPKiSB_iPKfiiiSD_SD_iiiii
	.globl	_ZN4vllm25paged_attention_v1_kernelI14__hip_bfloat16S1_Li256ELi16ELi128ELNS_18Fp8KVCacheDataTypeE0ELb0EEEvPT_PKS3_PKT0_S9_ifPKiSB_iPKfiiiSD_SD_iiiii
	.p2align	8
	.type	_ZN4vllm25paged_attention_v1_kernelI14__hip_bfloat16S1_Li256ELi16ELi128ELNS_18Fp8KVCacheDataTypeE0ELb0EEEvPT_PKS3_PKT0_S9_ifPKiSB_iPKfiiiSD_SD_iiiii,@function
_ZN4vllm25paged_attention_v1_kernelI14__hip_bfloat16S1_Li256ELi16ELi128ELNS_18Fp8KVCacheDataTypeE0ELb0EEEvPT_PKS3_PKT0_S9_ifPKiSB_iPKfiiiSD_SD_iiiii: ; @_ZN4vllm25paged_attention_v1_kernelI14__hip_bfloat16S1_Li256ELi16ELi128ELNS_18Fp8KVCacheDataTypeE0ELb0EEEvPT_PKS3_PKT0_S9_ifPKiSB_iPKfiiiSD_SD_iiiii
; %bb.0:
	s_load_b64 s[10:11], s[0:1], 0x20
	s_bfe_u32 s3, ttmp6, 0x4000c
	s_bfe_u32 s5, ttmp6, 0x40010
	s_and_b32 s4, ttmp7, 0xffff
	s_add_co_i32 s3, s3, 1
	s_add_co_i32 s5, s5, 1
	s_and_b32 s2, ttmp6, 15
	s_bfe_u32 s6, ttmp6, 0x40004
	s_mul_i32 s3, ttmp9, s3
	s_mul_i32 s5, s4, s5
	s_getreg_b32 s20, hwreg(HW_REG_IB_STS2, 6, 4)
	s_add_co_i32 s7, s2, s3
	s_add_co_i32 s6, s6, s5
	s_cmp_eq_u32 s20, 0
	v_mov_b32_e32 v109, v0
	s_cselect_b32 s22, s4, s6
	s_cselect_b32 s6, ttmp9, s7
	s_clause 0x1
	s_load_b32 s21, s[0:1], 0x80
	s_load_b64 s[2:3], s[0:1], 0x30
	s_wait_kmcnt 0x0
	s_abs_i32 s4, s10
	s_delay_alu instid0(SALU_CYCLE_1) | instskip(SKIP_1) | instid1(SALU_CYCLE_2)
	s_cvt_f32_u32 s5, s4
	s_sub_co_i32 s7, 0, s4
	v_rcp_iflag_f32_e32 v0, s5
	v_nop
	s_delay_alu instid0(TRANS32_DEP_1) | instskip(SKIP_2) | instid1(SALU_CYCLE_3)
	v_readfirstlane_b32 s5, v0
	s_abs_i32 s8, s21
	s_mul_f32 s5, s5, 0x4f7ffffe
	s_cvt_u32_f32 s5, s5
	s_delay_alu instid0(SALU_CYCLE_3) | instskip(NEXT) | instid1(SALU_CYCLE_1)
	s_mul_i32 s7, s7, s5
	s_mul_hi_u32 s7, s5, s7
	s_delay_alu instid0(SALU_CYCLE_1) | instskip(SKIP_4) | instid1(SALU_CYCLE_1)
	s_add_co_i32 s5, s5, s7
	s_xor_b32 s7, s21, s10
	s_mul_hi_u32 s5, s8, s5
	s_ashr_i32 s7, s7, 31
	s_mul_i32 s9, s5, s4
	s_sub_co_i32 s8, s8, s9
	s_add_co_i32 s9, s5, 1
	s_sub_co_i32 s10, s8, s4
	s_cmp_ge_u32 s8, s4
	s_cselect_b32 s5, s9, s5
	s_cselect_b32 s8, s10, s8
	s_add_co_i32 s9, s5, 1
	s_cmp_ge_u32 s8, s4
	s_cselect_b32 s4, s9, s5
	s_load_b64 s[8:9], s[0:1], 0x40
	s_xor_b32 s4, s4, s7
	s_mov_b32 s5, 0
	s_sub_co_i32 s15, s4, s7
	s_mov_b32 s13, s5
	s_abs_i32 s14, s15
	s_mov_b32 s24, s5
	s_cvt_f32_u32 s4, s14
	s_delay_alu instid0(SALU_CYCLE_3) | instskip(SKIP_1) | instid1(TRANS32_DEP_1)
	v_rcp_iflag_f32_e32 v0, s4
	v_nop
	v_readfirstlane_b32 s4, v0
	s_mul_f32 s4, s4, 0x4f7ffffe
	s_delay_alu instid0(SALU_CYCLE_3) | instskip(SKIP_1) | instid1(SALU_CYCLE_2)
	s_cvt_u32_f32 s7, s4
	s_sub_co_i32 s4, 0, s14
	s_mul_i32 s4, s4, s7
	s_delay_alu instid0(SALU_CYCLE_1)
	s_mul_hi_u32 s10, s7, s4
	s_abs_i32 s4, s6
	s_add_co_i32 s12, s7, s10
	s_wait_kmcnt 0x0
	s_cmp_eq_u64 s[8:9], 0
	s_cbranch_scc1 .LBB143_2
; %bb.1:
	s_ashr_i32 s7, s6, 31
	s_delay_alu instid0(SALU_CYCLE_1) | instskip(NEXT) | instid1(SALU_CYCLE_1)
	s_lshl_b64 s[16:17], s[6:7], 2
	s_add_nc_u64 s[8:9], s[8:9], s[16:17]
	s_load_b32 s24, s[8:9], 0x0
.LBB143_2:
	s_load_b32 s23, s[2:3], s22 offset:0x0 scale_offset
	s_wait_xcnt 0x0
	s_load_b96 s[8:10], s[0:1], 0x48
	v_dual_lshrrev_b32 v108, 1, v109 :: v_dual_bitop2_b32 v110, 1, v109 bitop3:0x40
	v_cmp_gt_u32_e64 s2, 64, v109
	s_ashr_i32 s3, s6, 31
	s_ashr_i32 s15, s15, 31
	s_mul_u64 s[12:13], s[4:5], s[12:13]
	s_lshl_b32 s6, s6, 8
	s_and_saveexec_b32 s5, s2
	s_cbranch_execz .LBB143_4
; %bb.3:
	s_load_b64 s[16:17], s[0:1], 0x8
	s_wait_kmcnt 0x0
	s_mul_i32 s18, s8, s22
	s_ashr_i32 s7, s6, 31
	s_ashr_i32 s19, s18, 31
	v_lshlrev_b32_e32 v2, 3, v108
	s_lshl_b64 s[18:19], s[18:19], 1
	s_delay_alu instid0(VALU_DEP_1) | instskip(SKIP_2) | instid1(SALU_CYCLE_1)
	v_lshl_add_u32 v2, v110, 8, v2
	s_add_nc_u64 s[16:17], s[16:17], s[18:19]
	s_lshl_b64 s[18:19], s[6:7], 1
	s_add_nc_u64 s[16:17], s[16:17], s[18:19]
	global_load_b64 v[0:1], v109, s[16:17] scale_offset
	s_wait_loadcnt 0x0
	ds_store_b64 v2, v[0:1]
.LBB143_4:
	s_or_b32 exec_lo, exec_lo, s5
	s_wait_kmcnt 0x0
	s_add_co_i32 s5, s23, 15
	s_load_b32 s7, s[0:1], 0x38
	s_ashr_i32 s8, s5, 31
	s_mul_i32 s12, s13, s14
	s_lshr_b32 s8, s8, 28
	s_sub_co_i32 s4, s4, s12
	s_add_co_i32 s5, s5, s8
	s_xor_b32 s3, s3, s15
	s_ashr_i32 s8, s5, 4
	s_add_co_i32 s5, s13, 1
	s_sub_co_i32 s12, s4, s14
	s_cmp_ge_u32 s4, s14
	v_lshrrev_b32_e32 v111, 5, v109
	s_cselect_b32 s5, s5, s13
	s_cselect_b32 s4, s12, s4
	s_add_co_i32 s12, s5, 1
	s_cmp_ge_u32 s4, s14
	v_mbcnt_lo_u32_b32 v20, -1, 0
	s_cselect_b32 s4, s12, s5
	s_mov_b32 s5, exec_lo
	s_xor_b32 s4, s4, s3
	s_wait_kmcnt 0x0
	s_mul_i32 s12, s7, s22
	s_sub_co_i32 s4, s4, s3
	v_cmp_gt_i32_e64 s3, s8, v111
	s_ashr_i32 s13, s12, 31
	s_wait_dscnt 0x0
	s_barrier_signal -1
	s_barrier_wait -1
                                        ; implicit-def: $vgpr9
                                        ; implicit-def: $vgpr10
	v_cmpx_le_i32_e64 s8, v111
	s_xor_b32 s5, exec_lo, s5
; %bb.5:
	v_dual_mov_b32 v9, 0 :: v_dual_mov_b32 v10, 32
	v_mbcnt_lo_u32_b32 v20, -1, 0
; %bb.6:
	s_or_saveexec_b32 s25, s5
	s_clause 0x1
	s_load_b64 s[14:15], s[0:1], 0x28
	s_load_b32 s7, s[0:1], 0x88
	v_dual_mov_b32 v19, 0xff7fffff :: v_dual_lshrrev_b32 v22, 3, v109
	v_lshlrev_b32_e32 v23, 3, v109
	s_mul_i32 s16, s4, s10
	s_xor_b32 exec_lo, exec_lo, s25
	s_cbranch_execz .LBB143_12
; %bb.7:
	s_load_b64 s[4:5], s[0:1], 0x10
	v_bfe_u32 v6, v109, 1, 4
	s_ashr_i32 s17, s16, 31
	v_mov_b32_e32 v21, v111
	s_lshl_b64 s[26:27], s[16:17], 1
	s_delay_alu instid0(VALU_DEP_2)
	v_dual_mov_b32 v25, 0 :: v_dual_lshlrev_b32 v24, 4, v6
	s_ashr_i32 s19, s9, 31
	s_cmp_neq_f32 s24, 0
	s_mov_b32 s18, s9
	s_mov_b32 s10, 0
	v_lshlrev_b32_e32 v7, 8, v110
	scratch_store_b32 off, v23, off offset:88 ; 4-byte Folded Spill
	s_wait_kmcnt 0x0
	s_add_nc_u64 s[4:5], s[4:5], s[26:27]
	s_delay_alu instid0(SALU_CYCLE_1)
	v_add_nc_u64_e32 v[0:1], s[4:5], v[24:25]
	v_and_b32_e32 v24, 8, v23
	s_cselect_b32 s4, -1, 0
	s_lshl_b64 s[26:27], s[12:13], 2
	s_sub_co_i32 s17, 1, s23
	s_add_nc_u64 s[26:27], s[14:15], s[26:27]
	s_delay_alu instid0(VALU_DEP_2)
	v_add_nc_u64_e32 v[0:1], v[0:1], v[24:25]
	scratch_store_b32 off, v109, off offset:72 ; 4-byte Folded Spill
	v_and_b32_e32 v24, 0x7c, v22
	scratch_store_b64 off, v[0:1], off      ; 8-byte Folded Spill
	s_wait_xcnt 0x0
	ds_load_b128 v[0:3], v7
	ds_load_b128 v[8:11], v7 offset:16
	ds_load_b128 v[12:15], v7 offset:32
	;; [unrolled: 1-line block ×3, first 2 shown]
	s_clause 0x2
	scratch_store_b32 off, v110, off offset:76
	scratch_store_b32 off, v22, off offset:84
	;; [unrolled: 1-line block ×3, first 2 shown]
	s_wait_dscnt 0x3
	v_lshlrev_b32_e32 v4, 16, v0
	v_and_b32_e32 v0, 0xffff0000, v0
	s_wait_dscnt 0x1
	v_lshlrev_b32_e32 v29, 16, v12
	v_and_b32_e32 v34, 0xffff0000, v14
	v_and_b32_e32 v36, 0xffff0000, v15
	s_clause 0x1
	scratch_store_b32 off, v4, off offset:8
	scratch_store_b32 off, v0, off offset:12
	s_wait_xcnt 0x0
	v_lshlrev_b32_e32 v0, 16, v1
	s_wait_dscnt 0x0
	v_and_b32_e32 v38, 0xffff0000, v16
	v_and_b32_e32 v40, 0xffff0000, v17
	v_dual_lshlrev_b32 v41, 16, v18 :: v_dual_lshlrev_b32 v43, 16, v19
	scratch_store_b32 off, v0, off offset:16 ; 4-byte Folded Spill
	s_wait_xcnt 0x0
	v_and_b32_e32 v0, 0xffff0000, v1
	v_and_b32_e32 v42, 0xffff0000, v18
	;; [unrolled: 1-line block ×5, first 2 shown]
	scratch_store_b32 off, v0, off offset:20 ; 4-byte Folded Spill
	s_wait_xcnt 0x0
	v_dual_mov_b32 v19, 0xff7fffff :: v_dual_lshlrev_b32 v0, 16, v2
	v_dual_lshlrev_b32 v31, 16, v13 :: v_dual_lshlrev_b32 v33, 16, v14
	v_lshlrev_b32_e32 v35, 16, v15
	scratch_store_b32 off, v0, off offset:24 ; 4-byte Folded Spill
	s_wait_xcnt 0x0
	v_and_b32_e32 v0, 0xffff0000, v2
	v_dual_lshlrev_b32 v37, 16, v16 :: v_dual_lshlrev_b32 v39, 16, v17
	ds_load_b128 v[14:17], v7 offset:240
	scratch_store_b32 off, v0, off offset:28 ; 4-byte Folded Spill
	s_wait_xcnt 0x0
	v_lshlrev_b32_e32 v0, 16, v3
	scratch_store_b32 off, v0, off offset:32 ; 4-byte Folded Spill
	s_wait_xcnt 0x0
	v_and_b32_e32 v0, 0xffff0000, v3
	scratch_store_b32 off, v0, off offset:36 ; 4-byte Folded Spill
	s_wait_xcnt 0x0
	v_lshlrev_b32_e32 v0, 16, v8
	scratch_store_b32 off, v0, off offset:40 ; 4-byte Folded Spill
	s_wait_xcnt 0x0
	v_and_b32_e32 v0, 0xffff0000, v8
	s_wait_dscnt 0x0
	v_lshlrev_b32_e32 v12, 16, v14
	v_and_b32_e32 v13, 0xffff0000, v15
	scratch_store_b32 off, v0, off offset:44 ; 4-byte Folded Spill
	s_wait_xcnt 0x0
	v_lshlrev_b32_e32 v0, 16, v9
	scratch_store_b32 off, v0, off offset:48 ; 4-byte Folded Spill
	s_wait_xcnt 0x0
	v_and_b32_e32 v0, 0xffff0000, v9
	scratch_store_b32 off, v0, off offset:52 ; 4-byte Folded Spill
	s_wait_xcnt 0x0
	v_lshlrev_b32_e32 v0, 16, v10
	scratch_store_b32 off, v0, off offset:56 ; 4-byte Folded Spill
	s_wait_xcnt 0x0
	;; [unrolled: 6-line block ×3, first 2 shown]
	v_and_b32_e32 v0, 0xffff0000, v11
	scratch_store_b32 off, v0, off offset:68 ; 4-byte Folded Spill
	s_wait_xcnt 0x0
	ds_load_b128 v[0:3], v7 offset:64
	s_wait_dscnt 0x0
	v_dual_lshlrev_b32 v45, 16, v0 :: v_dual_lshlrev_b32 v47, 16, v1
	v_and_b32_e32 v46, 0xffff0000, v0
	v_and_b32_e32 v48, 0xffff0000, v1
	v_dual_lshlrev_b32 v49, 16, v2 :: v_dual_lshlrev_b32 v51, 16, v3
	v_and_b32_e32 v50, 0xffff0000, v2
	v_and_b32_e32 v52, 0xffff0000, v3
	ds_load_b128 v[0:3], v7 offset:80
	s_wait_dscnt 0x0
	v_dual_lshlrev_b32 v54, 16, v0 :: v_dual_lshlrev_b32 v56, 16, v1
	v_and_b32_e32 v55, 0xffff0000, v0
	v_and_b32_e32 v57, 0xffff0000, v1
	v_dual_lshlrev_b32 v58, 16, v2 :: v_dual_lshlrev_b32 v60, 16, v3
	v_and_b32_e32 v59, 0xffff0000, v2
	v_and_b32_e32 v61, 0xffff0000, v3
	ds_load_b128 v[0:3], v7 offset:96
	s_wait_dscnt 0x0
	v_dual_lshlrev_b32 v62, 16, v0 :: v_dual_lshlrev_b32 v64, 16, v1
	v_and_b32_e32 v63, 0xffff0000, v0
	v_dual_lshlrev_b32 v67, 16, v2 :: v_dual_bitop2_b32 v0, 1, v20 bitop3:0x14
	v_and_b32_e32 v65, 0xffff0000, v1
	v_and_b32_e32 v68, 0xffff0000, v2
	v_lshlrev_b32_e32 v69, 16, v3
	s_delay_alu instid0(VALU_DEP_4) | instskip(SKIP_3) | instid1(VALU_DEP_2)
	v_cmp_gt_i32_e32 vcc_lo, 32, v0
	v_and_b32_e32 v70, 0xffff0000, v3
	v_cndmask_b32_e32 v0, v20, v0, vcc_lo
	v_cmp_eq_u32_e32 vcc_lo, 0, v110
	v_lshlrev_b32_e32 v66, 2, v0
	ds_load_b128 v[0:3], v7 offset:112
	s_wait_dscnt 0x0
	v_lshlrev_b32_e32 v71, 16, v0
	v_and_b32_e32 v72, 0xffff0000, v0
	v_dual_lshlrev_b32 v73, 16, v1 :: v_dual_lshlrev_b32 v75, 16, v2
	v_and_b32_e32 v74, 0xffff0000, v1
	v_and_b32_e32 v76, 0xffff0000, v2
	v_lshlrev_b32_e32 v77, 16, v3
	v_and_b32_e32 v78, 0xffff0000, v3
	ds_load_b128 v[0:3], v7 offset:128
	s_wait_dscnt 0x0
	v_lshlrev_b32_e32 v79, 16, v0
	v_and_b32_e32 v80, 0xffff0000, v0
	v_dual_lshlrev_b32 v81, 16, v1 :: v_dual_lshlrev_b32 v83, 16, v2
	v_and_b32_e32 v82, 0xffff0000, v1
	v_and_b32_e32 v84, 0xffff0000, v2
	v_lshlrev_b32_e32 v85, 16, v3
	v_and_b32_e32 v86, 0xffff0000, v3
	;; [unrolled: 9-line block ×5, first 2 shown]
	ds_load_b128 v[0:3], v7 offset:192
	v_lshl_or_b32 v18, v21, 4, v6
	v_lshlrev_b32_e32 v6, 2, v6
	scratch_store_b32 off, v21, off offset:80 ; 4-byte Folded Spill
	s_wait_dscnt 0x0
	v_dual_lshlrev_b32 v113, 16, v0 :: v_dual_lshlrev_b32 v115, 16, v1
	v_and_b32_e32 v114, 0xffff0000, v0
	v_and_b32_e32 v116, 0xffff0000, v1
	v_dual_lshlrev_b32 v117, 16, v2 :: v_dual_lshlrev_b32 v119, 16, v3
	v_and_b32_e32 v118, 0xffff0000, v2
	v_and_b32_e32 v120, 0xffff0000, v3
	ds_load_b128 v[0:3], v7 offset:208
	s_wait_dscnt 0x0
	v_dual_lshlrev_b32 v125, 16, v2 :: v_dual_lshlrev_b32 v127, 16, v3
	v_and_b32_e32 v126, 0xffff0000, v2
	v_and_b32_e32 v94, 0xffff0000, v3
	ds_load_b128 v[2:5], v7 offset:224
	v_mov_b32_e32 v7, v25
	v_lshl_or_b32 v6, v21, 6, v6
	v_dual_lshlrev_b32 v121, 16, v0 :: v_dual_lshlrev_b32 v123, 16, v1
	v_and_b32_e32 v122, 0xffff0000, v0
	v_and_b32_e32 v124, 0xffff0000, v1
	s_delay_alu instid0(VALU_DEP_4)
	v_add_nc_u32_e32 v20, 0x220, v6
	scratch_store_b64 off, v[6:7], off offset:96 ; 8-byte Folded Spill
	s_wait_xcnt 0x0
	v_add_nc_u64_e32 v[6:7], s[26:27], v[24:25]
	s_wait_dscnt 0x0
	v_dual_lshlrev_b32 v10, 16, v2 :: v_dual_lshlrev_b32 v95, 16, v3
	v_and_b32_e32 v11, 0xffff0000, v2
	v_and_b32_e32 v1, 0xffff0000, v3
	v_dual_lshlrev_b32 v3, 16, v4 :: v_dual_lshlrev_b32 v0, 16, v5
	v_and_b32_e32 v53, 0xffff0000, v4
	v_and_b32_e32 v2, 0xffff0000, v5
	;; [unrolled: 1-line block ×3, first 2 shown]
	v_dual_lshlrev_b32 v5, 16, v15 :: v_dual_lshlrev_b32 v14, 16, v16
	v_and_b32_e32 v15, 0xffff0000, v16
	v_lshlrev_b32_e32 v16, 16, v17
	v_and_b32_e32 v17, 0xffff0000, v17
	s_branch .LBB143_9
.LBB143_8:                              ;   in Loop: Header=BB143_9 Depth=1
	s_or_b32 exec_lo, exec_lo, s26
	v_dual_add_nc_u32 v21, 4, v21 :: v_dual_add_nc_u32 v18, 64, v18
	v_add_nc_u64_e32 v[6:7], 16, v[6:7]
	v_add_nc_u32_e32 v20, 0x100, v20
	s_delay_alu instid0(VALU_DEP_3) | instskip(SKIP_1) | instid1(SALU_CYCLE_1)
	v_cmp_le_i32_e64 s5, s8, v21
	s_or_b32 s10, s5, s10
	s_and_not1_b32 exec_lo, exec_lo, s10
	s_cbranch_execz .LBB143_11
.LBB143_9:                              ; =>This Inner Loop Header: Depth=1
	global_load_b32 v8, v[6:7], off
	s_clause 0x1
	scratch_load_b64 v[22:23], off, off
	scratch_load_b32 v26, off, off offset:24
	s_wait_loadcnt_dscnt 0x200
	v_ashrrev_i32_e32 v9, 31, v8
	s_delay_alu instid0(VALU_DEP_1) | instskip(SKIP_1) | instid1(VALU_DEP_1)
	v_mul_u64_e32 v[8:9], s[18:19], v[8:9]
	s_wait_loadcnt 0x1
	v_lshl_add_u64 v[8:9], v[8:9], 1, v[22:23]
	global_load_b64 v[22:23], v[8:9], off offset:256
	s_wait_loadcnt 0x0
	v_dual_lshlrev_b32 v24, 16, v22 :: v_dual_lshlrev_b32 v25, 16, v23
	v_and_b32_e32 v22, 0xffff0000, v22
	v_and_b32_e32 v23, 0xffff0000, v23
	s_delay_alu instid0(VALU_DEP_3)
	v_mul_f32_e32 v24, v26, v24
	scratch_load_b32 v26, off, off offset:28 ; 4-byte Folded Reload
	s_wait_loadcnt 0x0
	v_mul_f32_e32 v26, v26, v22
	scratch_load_b32 v22, off, off offset:32 ; 4-byte Folded Reload
	s_wait_loadcnt 0x0
	;; [unrolled: 3-line block ×3, first 2 shown]
	v_mul_f32_e32 v27, v22, v23
	global_load_b64 v[22:23], v[8:9], off
	scratch_load_b32 v28, off, off offset:8 ; 4-byte Folded Reload
	s_wait_loadcnt 0x0
	v_fma_mix_f32_bf16 v24, v28, v22, v24 op_sel_hi:[0,1,0]
	scratch_load_b32 v28, off, off offset:12 ; 4-byte Folded Reload
	s_wait_loadcnt 0x0
	v_fma_mix_f32_bf16 v26, v28, v22, v26 op_sel:[0,1,0] op_sel_hi:[0,1,0]
	scratch_load_b32 v22, off, off offset:16 ; 4-byte Folded Reload
	s_wait_loadcnt 0x0
	v_fma_mix_f32_bf16 v25, v22, v23, v25 op_sel_hi:[0,1,0]
	scratch_load_b32 v22, off, off offset:20 ; 4-byte Folded Reload
	s_wait_loadcnt 0x0
	v_fma_mix_f32_bf16 v27, v22, v23, v27 op_sel:[0,1,0] op_sel_hi:[0,1,0]
	global_load_b64 v[22:23], v[8:9], off offset:512
	scratch_load_b32 v28, off, off offset:40 ; 4-byte Folded Reload
	s_wait_loadcnt 0x0
	v_fma_mix_f32_bf16 v24, v28, v22, v24 op_sel_hi:[0,1,0]
	scratch_load_b32 v28, off, off offset:44 ; 4-byte Folded Reload
	s_wait_loadcnt 0x0
	v_fma_mix_f32_bf16 v26, v28, v22, v26 op_sel:[0,1,0] op_sel_hi:[0,1,0]
	scratch_load_b32 v22, off, off offset:48 ; 4-byte Folded Reload
	s_wait_loadcnt 0x0
	v_fma_mix_f32_bf16 v25, v22, v23, v25 op_sel_hi:[0,1,0]
	scratch_load_b32 v22, off, off offset:52 ; 4-byte Folded Reload
	s_wait_loadcnt 0x0
	v_fma_mix_f32_bf16 v27, v22, v23, v27 op_sel:[0,1,0] op_sel_hi:[0,1,0]
	global_load_b64 v[22:23], v[8:9], off offset:768
	;; [unrolled: 13-line block ×3, first 2 shown]
	s_wait_loadcnt 0x0
	v_fma_mix_f32_bf16 v24, v29, v22, v24 op_sel_hi:[0,1,0]
	v_fma_mix_f32_bf16 v26, v30, v22, v26 op_sel:[0,1,0] op_sel_hi:[0,1,0]
	v_fma_mix_f32_bf16 v25, v31, v23, v25 op_sel_hi:[0,1,0]
	v_fma_mix_f32_bf16 v27, v32, v23, v27 op_sel:[0,1,0] op_sel_hi:[0,1,0]
	global_load_b64 v[22:23], v[8:9], off offset:1280
	s_wait_loadcnt 0x0
	v_fma_mix_f32_bf16 v24, v33, v22, v24 op_sel_hi:[0,1,0]
	v_fma_mix_f32_bf16 v26, v34, v22, v26 op_sel:[0,1,0] op_sel_hi:[0,1,0]
	v_fma_mix_f32_bf16 v25, v35, v23, v25 op_sel_hi:[0,1,0]
	v_fma_mix_f32_bf16 v27, v36, v23, v27 op_sel:[0,1,0] op_sel_hi:[0,1,0]
	global_load_b64 v[22:23], v[8:9], off offset:1536
	;; [unrolled: 6-line block ×25, first 2 shown]
	s_wait_loadcnt 0x0
	v_fma_mix_f32_bf16 v24, v3, v22, v24 op_sel_hi:[0,1,0]
	v_fma_mix_f32_bf16 v26, v53, v22, v26 op_sel:[0,1,0] op_sel_hi:[0,1,0]
	v_fma_mix_f32_bf16 v25, v0, v23, v25 op_sel_hi:[0,1,0]
	v_fma_mix_f32_bf16 v27, v2, v23, v27 op_sel:[0,1,0] op_sel_hi:[0,1,0]
	s_clause 0x1
	global_load_b64 v[22:23], v[8:9], off offset:7680
	global_load_b64 v[8:9], v[8:9], off offset:7936
	s_wait_loadcnt 0x1
	v_fma_mix_f32_bf16 v24, v12, v22, v24 op_sel_hi:[0,1,0]
	v_fma_mix_f32_bf16 v22, v4, v22, v26 op_sel:[0,1,0] op_sel_hi:[0,1,0]
	v_fma_mix_f32_bf16 v25, v5, v23, v25 op_sel_hi:[0,1,0]
	v_fma_mix_f32_bf16 v23, v13, v23, v27 op_sel:[0,1,0] op_sel_hi:[0,1,0]
	s_wait_loadcnt 0x0
	v_fma_mix_f32_bf16 v24, v14, v8, v24 op_sel_hi:[0,1,0]
	s_wait_xcnt 0x0
	v_fma_mix_f32_bf16 v8, v15, v8, v22 op_sel:[0,1,0] op_sel_hi:[0,1,0]
	v_fma_mix_f32_bf16 v22, v16, v9, v25 op_sel_hi:[0,1,0]
	v_fma_mix_f32_bf16 v9, v17, v9, v23 op_sel:[0,1,0] op_sel_hi:[0,1,0]
	s_delay_alu instid0(VALU_DEP_3) | instskip(NEXT) | instid1(VALU_DEP_1)
	v_add_f32_e32 v8, v24, v8
	v_add_f32_e32 v8, v8, v22
	s_delay_alu instid0(VALU_DEP_1)
	v_add_f32_e32 v8, v9, v8
	ds_bpermute_b32 v9, v66, v8
	s_and_saveexec_b32 s26, vcc_lo
	s_cbranch_execz .LBB143_8
; %bb.10:                               ;   in Loop: Header=BB143_9 Depth=1
	s_wait_dscnt 0x0
	v_dual_add_nc_u32 v22, s17, v18 :: v_dual_add_f32 v8, v8, v9
	v_cmp_gt_i32_e64 s5, s23, v18
	s_delay_alu instid0(VALU_DEP_2) | instskip(NEXT) | instid1(VALU_DEP_1)
	v_cvt_f32_i32_e32 v22, v22
	v_mul_f32_e32 v22, s24, v22
	s_delay_alu instid0(VALU_DEP_1) | instskip(NEXT) | instid1(VALU_DEP_1)
	v_dual_cndmask_b32 v9, 0, v22, s4 :: v_dual_max_num_f32 v22, v19, v19
	v_fmac_f32_e32 v9, s11, v8
	s_delay_alu instid0(VALU_DEP_1) | instskip(NEXT) | instid1(VALU_DEP_1)
	v_dual_max_num_f32 v8, v22, v9 :: v_dual_cndmask_b32 v9, 0, v9, s5
	v_cndmask_b32_e64 v19, v19, v8, s5
	ds_store_b32 v20, v9
	s_branch .LBB143_8
.LBB143_11:
	s_or_b32 exec_lo, exec_lo, s10
	s_clause 0x5
	scratch_load_b32 v109, off, off offset:72
	scratch_load_b32 v110, off, off offset:76
	;; [unrolled: 1-line block ×6, first 2 shown]
	s_wait_dscnt 0x0
	scratch_load_b64 v[8:9], off, off offset:96 ; 8-byte Folded Reload
	s_wait_loadcnt 0x6
	v_dual_mov_b32 v10, 32 :: v_dual_lshrrev_b32 v108, 1, v109
.LBB143_12:
	s_wait_xcnt 0x0
	s_or_b32 exec_lo, exec_lo, s25
	s_wait_loadcnt 0x1
	v_dual_max_num_f32 v3, v19, v19 :: v_dual_bitop2_b32 v0, 16, v20 bitop3:0x14
	v_xor_b32_e32 v2, 8, v20
	s_clause 0x1
	s_load_b64 s[10:11], s[0:1], 0x0
	s_load_b64 s[18:19], s[0:1], 0x18
	v_and_b32_e32 v96, 31, v109
	v_cmp_lt_i32_e32 vcc_lo, v0, v10
	v_cndmask_b32_e32 v0, v20, v0, vcc_lo
	v_cmp_lt_i32_e32 vcc_lo, v2, v10
	s_delay_alu instid0(VALU_DEP_2) | instskip(SKIP_3) | instid1(VALU_DEP_1)
	v_dual_cndmask_b32 v2, v20, v2 :: v_dual_lshlrev_b32 v1, 2, v0
	ds_bpermute_b32 v0, v1, v19
	s_wait_dscnt 0x0
	v_dual_max_num_f32 v0, v0, v0 :: v_dual_lshlrev_b32 v2, 2, v2
	v_max_num_f32_e32 v0, v3, v0
	ds_bpermute_b32 v3, v2, v0
	s_wait_dscnt 0x0
	v_dual_max_num_f32 v5, v3, v3 :: v_dual_bitop2_b32 v4, 4, v20 bitop3:0x14
	s_delay_alu instid0(VALU_DEP_1) | instskip(NEXT) | instid1(VALU_DEP_2)
	v_max_num_f32_e32 v0, v0, v5
	v_cmp_lt_i32_e32 vcc_lo, v4, v10
	v_xor_b32_e32 v5, 2, v20
	v_cndmask_b32_e32 v4, v20, v4, vcc_lo
	s_delay_alu instid0(VALU_DEP_2) | instskip(NEXT) | instid1(VALU_DEP_2)
	v_cmp_lt_i32_e32 vcc_lo, v5, v10
	v_dual_cndmask_b32 v6, v20, v5 :: v_dual_lshlrev_b32 v3, 2, v4
	v_cmp_eq_u32_e32 vcc_lo, 0, v96
	ds_bpermute_b32 v4, v3, v0
	s_wait_dscnt 0x0
	v_max_num_f32_e32 v4, v4, v4
	s_delay_alu instid0(VALU_DEP_1)
	v_dual_max_num_f32 v5, v0, v4 :: v_dual_lshlrev_b32 v0, 2, v6
	v_lshlrev_b32_e32 v4, 2, v111
	ds_bpermute_b32 v6, v0, v5
	s_wait_xcnt 0x0
	s_and_saveexec_b32 s0, vcc_lo
	s_cbranch_execz .LBB143_14
; %bb.13:
	s_wait_dscnt 0x0
	v_dual_max_num_f32 v6, v6, v6 :: v_dual_max_num_f32 v5, v5, v5
	s_delay_alu instid0(VALU_DEP_1)
	v_max_num_f32_e32 v5, v5, v6
	ds_store_b32 v4, v5 offset:512
.LBB143_14:
	s_or_b32 exec_lo, exec_lo, s0
	v_cmp_gt_u32_e64 s0, 4, v96
	s_wait_dscnt 0x0
	v_dual_mov_b32 v6, 0xff7fffff :: v_dual_lshlrev_b32 v5, 2, v96
	s_wait_loadcnt 0x0
	s_wait_storecnt 0x0
	s_barrier_signal -1
	s_barrier_wait -1
	s_and_saveexec_b32 s1, s0
; %bb.15:
	ds_load_b32 v6, v5 offset:512
; %bb.16:
	s_or_b32 exec_lo, exec_lo, s1
	s_wait_dscnt 0x0
	ds_bpermute_b32 v7, v0, v6
	v_dual_max_num_f32 v6, v6, v6 :: v_dual_bitop2_b32 v8, 1, v20 bitop3:0x14
	s_delay_alu instid0(VALU_DEP_1) | instskip(NEXT) | instid1(VALU_DEP_1)
	v_cmp_lt_i32_e64 s1, v8, v10
	v_cndmask_b32_e64 v8, v20, v8, s1
	s_lshl_b32 s1, s8, 4
	s_delay_alu instid0(SALU_CYCLE_1) | instskip(NEXT) | instid1(SALU_CYCLE_1)
	s_min_i32 s5, s1, s23
	v_cmp_gt_i32_e64 s1, s5, v109
	s_wait_dscnt 0x0
	v_dual_max_num_f32 v7, v7, v7 :: v_dual_lshlrev_b32 v97, 2, v8
	s_delay_alu instid0(VALU_DEP_1) | instskip(SKIP_3) | instid1(VALU_DEP_1)
	v_max_num_f32_e32 v6, v6, v7
	ds_bpermute_b32 v7, v97, v6
	s_wait_dscnt 0x0
	v_max_num_f32_e32 v7, v7, v7
	v_dual_max_num_f32 v6, v6, v7 :: v_dual_lshlrev_b32 v7, 2, v9
	ds_bpermute_b32 v7, v7, v6
	v_mov_b32_e32 v6, 0
	s_and_saveexec_b32 s17, s1
	s_cbranch_execz .LBB143_20
; %bb.17:
	v_lshl_add_u32 v8, v109, 2, 0x220
	v_dual_mov_b32 v6, 0 :: v_dual_mov_b32 v9, v109
	s_mov_b32 s24, 0
.LBB143_18:                             ; =>This Inner Loop Header: Depth=1
	ds_load_b32 v10, v8
	v_add_nc_u32_e32 v9, 0x80, v9
	s_delay_alu instid0(VALU_DEP_1) | instskip(SKIP_3) | instid1(VALU_DEP_1)
	v_cmp_le_i32_e64 s4, s5, v9
	s_or_b32 s24, s4, s24
	s_wait_dscnt 0x0
	v_sub_f32_e32 v10, v10, v7
	v_mul_f32_e32 v10, 0x3fb8aa3b, v10
	s_delay_alu instid0(VALU_DEP_1)
	v_exp_f32_e32 v10, v10
	ds_store_b32 v8, v10
	v_nop
	v_add_f32_e32 v6, v6, v10
	v_add_nc_u32_e32 v8, 0x200, v8
	s_and_not1_b32 exec_lo, exec_lo, s24
	s_cbranch_execnz .LBB143_18
; %bb.19:
	s_or_b32 exec_lo, exec_lo, s24
.LBB143_20:
	s_delay_alu instid0(SALU_CYCLE_1)
	s_or_b32 exec_lo, exec_lo, s17
	ds_bpermute_b32 v1, v1, v6
	s_wait_dscnt 0x0
	v_add_f32_e32 v1, v6, v1
	ds_bpermute_b32 v2, v2, v1
	s_wait_dscnt 0x0
	v_add_f32_e32 v1, v1, v2
	;; [unrolled: 3-line block ×5, first 2 shown]
	s_and_saveexec_b32 s4, vcc_lo
; %bb.21:
	ds_store_b32 v4, v1 offset:528
; %bb.22:
	s_or_b32 exec_lo, exec_lo, s4
	s_wait_dscnt 0x0
	s_barrier_signal -1
	s_barrier_wait -1
	s_and_saveexec_b32 s4, s0
; %bb.23:
	ds_load_b32 v1, v5 offset:528
; %bb.24:
	s_or_b32 exec_lo, exec_lo, s4
	s_wait_dscnt 0x0
	ds_bpermute_b32 v0, v0, v1
	s_wait_dscnt 0x0
	v_add_f32_e32 v0, v1, v0
	ds_bpermute_b32 v1, v97, v0
	s_wait_dscnt 0x0
	v_dual_lshlrev_b32 v2, 2, v20 :: v_dual_add_f32 v0, v0, v1
	s_delay_alu instid0(VALU_DEP_1)
	v_and_b32_e32 v1, 0xffffff80, v2
	ds_bpermute_b32 v0, v1, v0
	s_and_saveexec_b32 s0, s1
	s_cbranch_execz .LBB143_37
; %bb.25:
	s_wait_dscnt 0x0
	v_add_f32_e32 v0, 0x358637bd, v0
	s_mov_b32 s4, -1
	s_mov_b32 s1, exec_lo
	s_delay_alu instid0(VALU_DEP_1) | instskip(SKIP_1) | instid1(VALU_DEP_2)
	v_div_scale_f32 v1, null, v0, v0, 1.0
	v_div_scale_f32 v4, vcc_lo, 1.0, v0, 1.0
	v_rcp_f32_e32 v2, v1
	v_nop
	s_delay_alu instid0(TRANS32_DEP_1) | instskip(NEXT) | instid1(VALU_DEP_1)
	v_fma_f32 v3, -v1, v2, 1.0
	v_fmac_f32_e32 v2, v3, v2
	s_delay_alu instid0(VALU_DEP_1) | instskip(NEXT) | instid1(VALU_DEP_1)
	v_mul_f32_e32 v3, v4, v2
	v_fma_f32 v5, -v1, v3, v4
	s_delay_alu instid0(VALU_DEP_1) | instskip(NEXT) | instid1(VALU_DEP_1)
	v_fmac_f32_e32 v3, v5, v2
	v_fma_f32 v4, -v1, v3, v4
	v_xad_u32 v1, v109, -1, s5
	s_delay_alu instid0(VALU_DEP_2) | instskip(NEXT) | instid1(VALU_DEP_1)
	v_div_fmas_f32 v2, v4, v2, v3
	v_div_fixup_f32 v2, v2, v0, 1.0
	v_mov_b32_e32 v0, v109
	s_delay_alu instid0(VALU_DEP_4)
	v_cmpx_lt_u32_e32 0x7f, v1
	s_cbranch_execz .LBB143_34
; %bb.26:
	s_delay_alu instid0(VALU_DEP_3) | instskip(NEXT) | instid1(VALU_DEP_1)
	v_dual_mov_b32 v3, v2 :: v_dual_lshrrev_b32 v0, 7, v1
	v_dual_mov_b32 v6, 0 :: v_dual_add_nc_u32 v1, -1, v0
	s_delay_alu instid0(VALU_DEP_1) | instskip(SKIP_1) | instid1(VALU_DEP_2)
	v_lshrrev_b32_e32 v4, 1, v1
	v_cmp_lt_u32_e32 vcc_lo, 13, v1
	v_add_nc_u32_e32 v1, 1, v4
	s_and_saveexec_b32 s4, vcc_lo
	s_cbranch_execz .LBB143_30
; %bb.27:
	s_delay_alu instid0(VALU_DEP_1)
	v_and_b32_e32 v4, -8, v1
	v_lshl_add_u32 v5, v109, 2, 0x220
	s_mov_b32 s17, 0
	s_mov_b32 s24, 0
.LBB143_28:                             ; =>This Inner Loop Header: Depth=1
	ds_load_2addr_stride64_b32 v[6:7], v5 offset1:2
	ds_load_2addr_stride64_b32 v[8:9], v5 offset0:4 offset1:6
	ds_load_2addr_stride64_b32 v[10:11], v5 offset0:8 offset1:10
	;; [unrolled: 1-line block ×7, first 2 shown]
	s_add_co_i32 s24, s24, 16
	v_add_nc_u32_e32 v4, -8, v4
	s_wait_dscnt 0x7
	v_pk_mul_f32 v[6:7], v[2:3], v[6:7]
	s_wait_dscnt 0x6
	v_pk_mul_f32 v[8:9], v[2:3], v[8:9]
	;; [unrolled: 2-line block ×8, first 2 shown]
	ds_store_2addr_stride64_b32 v5, v6, v7 offset1:2
	ds_store_2addr_stride64_b32 v5, v8, v9 offset0:4 offset1:6
	ds_store_2addr_stride64_b32 v5, v10, v11 offset0:8 offset1:10
	;; [unrolled: 1-line block ×7, first 2 shown]
	v_mov_b32_e32 v6, s24
	v_cmp_eq_u32_e32 vcc_lo, 0, v4
	v_add_nc_u32_e32 v5, 0x2000, v5
	s_or_b32 s17, vcc_lo, s17
	s_delay_alu instid0(SALU_CYCLE_1)
	s_and_not1_b32 exec_lo, exec_lo, s17
	s_cbranch_execnz .LBB143_28
; %bb.29:
	s_or_b32 exec_lo, exec_lo, s17
.LBB143_30:
	s_delay_alu instid0(SALU_CYCLE_1) | instskip(NEXT) | instid1(VALU_DEP_1)
	s_or_b32 exec_lo, exec_lo, s4
	v_and_b32_e32 v1, 7, v1
	s_mov_b32 s17, 0
	s_mov_b32 s4, exec_lo
	s_delay_alu instid0(VALU_DEP_1)
	v_cmpx_ne_u32_e32 0, v1
	s_cbranch_execz .LBB143_33
; %bb.31:
	v_dual_lshlrev_b32 v4, 9, v6 :: v_dual_lshlrev_b32 v5, 2, v109
	s_delay_alu instid0(VALU_DEP_1)
	v_add3_u32 v4, v4, v5, 0x220
.LBB143_32:                             ; =>This Inner Loop Header: Depth=1
	ds_load_2addr_stride64_b32 v[6:7], v4 offset1:2
	v_add_nc_u32_e32 v1, -1, v1
	s_delay_alu instid0(VALU_DEP_1)
	v_cmp_eq_u32_e32 vcc_lo, 0, v1
	s_or_b32 s17, vcc_lo, s17
	s_wait_dscnt 0x0
	v_pk_mul_f32 v[6:7], v[2:3], v[6:7]
	ds_store_2addr_stride64_b32 v4, v6, v7 offset1:2
	v_add_nc_u32_e32 v4, 0x400, v4
	s_and_not1_b32 exec_lo, exec_lo, s17
	s_cbranch_execnz .LBB143_32
.LBB143_33:
	s_or_b32 exec_lo, exec_lo, s4
	v_add_nc_u32_e32 v0, 1, v0
	s_delay_alu instid0(VALU_DEP_1) | instskip(NEXT) | instid1(VALU_DEP_1)
	v_and_b32_e32 v1, 0x3fffffe, v0
	v_cmp_ne_u32_e32 vcc_lo, v0, v1
	v_lshl_add_u32 v0, v1, 7, v109
	s_or_not1_b32 s4, vcc_lo, exec_lo
.LBB143_34:
	s_or_b32 exec_lo, exec_lo, s1
	s_delay_alu instid0(SALU_CYCLE_1)
	s_and_b32 exec_lo, exec_lo, s4
	s_cbranch_execz .LBB143_37
; %bb.35:
	v_lshl_add_u32 v1, v0, 2, 0x220
	s_mov_b32 s1, 0
.LBB143_36:                             ; =>This Inner Loop Header: Depth=1
	ds_load_b32 v3, v1
	s_wait_dscnt 0x0
	v_dual_mul_f32 v3, v2, v3 :: v_dual_add_nc_u32 v0, 0x80, v0
	s_delay_alu instid0(VALU_DEP_1) | instskip(SKIP_3) | instid1(SALU_CYCLE_1)
	v_cmp_le_i32_e32 vcc_lo, s5, v0
	ds_store_b32 v1, v3
	v_add_nc_u32_e32 v1, 0x200, v1
	s_or_b32 s1, vcc_lo, s1
	s_and_not1_b32 exec_lo, exec_lo, s1
	s_cbranch_execnz .LBB143_36
.LBB143_37:
	s_or_b32 exec_lo, exec_lo, s0
	v_mov_b32_e32 v75, 0
	s_wait_dscnt 0x0
	s_barrier_signal -1
	s_barrier_wait -1
	s_delay_alu instid0(VALU_DEP_1)
	v_dual_mov_b32 v74, v75 :: v_dual_mov_b32 v77, v75
	v_dual_mov_b32 v76, v75 :: v_dual_mov_b32 v79, v75
	;; [unrolled: 1-line block ×7, first 2 shown]
	v_mov_b32_e32 v88, v75
	s_and_saveexec_b32 s1, s3
	s_cbranch_execz .LBB143_73
; %bb.38:
	v_dual_lshlrev_b32 v0, 4, v109 :: v_dual_bitop2_b32 v1, 8, v23 bitop3:0x40
	s_ashr_i32 s17, s16, 31
	v_dual_mov_b32 v75, 0 :: v_dual_lshlrev_b32 v2, 5, v110
	s_delay_alu instid0(VALU_DEP_2)
	v_and_b32_e32 v74, 0x1f0, v0
	s_lshl_b64 s[16:17], s[16:17], 1
	s_lshl_b64 s[12:13], s[12:13], 2
	s_wait_kmcnt 0x0
	s_add_nc_u64 s[16:17], s[18:19], s[16:17]
	v_lshl_or_b32 v0, v111, 6, v2
	v_add_nc_u64_e32 v[90:91], s[16:17], v[74:75]
	v_and_b32_e32 v74, 0x7c, v22
	s_add_nc_u64 s[12:13], s[14:15], s[12:13]
	v_lshl_or_b32 v98, v111, 4, v1
	v_add_nc_u32_e32 v99, 0x220, v0
	v_dual_mov_b32 v77, v75 :: v_dual_mov_b32 v76, v75
	v_add_nc_u64_e32 v[92:93], s[12:13], v[74:75]
	v_dual_mov_b32 v74, v75 :: v_dual_mov_b32 v79, v75
	v_dual_mov_b32 v78, v75 :: v_dual_mov_b32 v81, v75
	;; [unrolled: 1-line block ×7, first 2 shown]
	s_ashr_i32 s5, s9, 31
	s_mov_b32 s4, s9
	s_add_co_i32 s3, s8, -1
	s_mov_b32 s12, s23
	s_mov_b32 s9, 0
	s_branch .LBB143_40
.LBB143_39:                             ;   in Loop: Header=BB143_40 Depth=1
	s_or_b32 exec_lo, exec_lo, s0
	s_wait_dscnt 0x1
	v_cvt_pk_bf16_f32 v26, v26, v27
	v_cvt_pk_bf16_f32 v0, v28, v29
	s_wait_dscnt 0x0
	v_cvt_pk_bf16_f32 v1, v22, v23
	v_cvt_pk_bf16_f32 v22, v24, v25
	v_add_nc_u64_e32 v[92:93], 16, v[92:93]
	s_wait_loadcnt 0x1
	v_pk_mul_bf16 v23, v26, v70
	v_pk_mul_bf16 v27, v0, v71
	;; [unrolled: 1-line block ×5, first 2 shown]
	v_lshlrev_b32_e32 v25, 16, v23
	v_and_b32_e32 v23, 0xffff0000, v23
	v_lshlrev_b32_e32 v70, 16, v24
	v_and_b32_e32 v24, 0xffff0000, v24
	;; [unrolled: 2-line block ×3, first 2 shown]
	v_add_f32_e32 v23, v25, v23
	v_pk_mul_bf16 v52, v1, v52
	v_add_f32_e32 v24, v70, v24
	v_pk_mul_bf16 v48, v1, v48
	v_dual_add_f32 v25, v28, v27 :: v_dual_lshlrev_b32 v28, 16, v29
	v_and_b32_e32 v29, 0xffff0000, v29
	v_pk_mul_bf16 v27, v26, v66
	v_pk_mul_bf16 v66, v1, v68
	s_delay_alu instid0(VALU_DEP_4) | instskip(SKIP_1) | instid1(VALU_DEP_4)
	v_add_f32_e32 v23, v25, v23
	v_pk_mul_bf16 v25, v0, v67
	v_dual_add_f32 v28, v28, v29 :: v_dual_lshlrev_b32 v67, 16, v27
	v_pk_mul_bf16 v29, v26, v62
	s_delay_alu instid0(VALU_DEP_4)
	v_add_f32_e32 v23, v24, v23
	v_and_b32_e32 v24, 0xffff0000, v27
	v_lshlrev_b32_e32 v27, 16, v25
	v_and_b32_e32 v25, 0xffff0000, v25
	v_pk_mul_bf16 v62, v0, v63
	v_dual_add_f32 v23, v28, v23 :: v_dual_lshlrev_b32 v28, 16, v66
	v_add_f32_e32 v24, v67, v24
	s_delay_alu instid0(VALU_DEP_4) | instskip(SKIP_1) | instid1(VALU_DEP_4)
	v_add_f32_e32 v25, v27, v25
	v_and_b32_e32 v27, 0xffff0000, v66
	v_add_f32_e32 v74, v74, v23
	v_pk_mul_bf16 v23, v22, v69
	v_pk_mul_bf16 v63, v1, v64
	s_delay_alu instid0(VALU_DEP_4) | instskip(NEXT) | instid1(VALU_DEP_3)
	v_dual_add_f32 v24, v25, v24 :: v_dual_add_f32 v25, v28, v27
	v_dual_lshlrev_b32 v27, 16, v29 :: v_dual_lshlrev_b32 v64, 16, v23
	v_and_b32_e32 v28, 0xffff0000, v29
	v_lshlrev_b32_e32 v29, 16, v62
	v_and_b32_e32 v62, 0xffff0000, v62
	v_and_b32_e32 v23, 0xffff0000, v23
	v_add_f32_e32 v24, v25, v24
	v_add_f32_e32 v27, v27, v28
	v_pk_mul_bf16 v40, v1, v40
	v_dual_add_f32 v28, v29, v62 :: v_dual_lshlrev_b32 v29, 16, v63
	v_and_b32_e32 v62, 0xffff0000, v63
	v_pk_mul_bf16 v63, v22, v65
	v_add_f32_e32 v23, v64, v23
	s_delay_alu instid0(VALU_DEP_4)
	v_add_f32_e32 v25, v28, v27
	v_pk_mul_bf16 v18, v26, v18
	v_add_f32_e32 v27, v29, v62
	v_and_b32_e32 v29, 0xffff0000, v63
	v_dual_add_f32 v23, v23, v24 :: v_dual_lshlrev_b32 v28, 16, v63
	v_pk_mul_bf16 v24, v0, v59
	s_delay_alu instid0(VALU_DEP_4) | instskip(SKIP_1) | instid1(VALU_DEP_4)
	v_add_f32_e32 v25, v27, v25
	v_pk_mul_bf16 v59, v1, v60
	v_dual_add_f32 v77, v77, v23 :: v_dual_add_f32 v27, v28, v29
	v_lshlrev_b32_e32 v28, 16, v58
	v_and_b32_e32 v29, 0xffff0000, v58
	v_lshlrev_b32_e32 v58, 16, v24
	v_and_b32_e32 v24, 0xffff0000, v24
	v_dual_add_f32 v23, v27, v25 :: v_dual_lshlrev_b32 v27, 16, v59
	s_delay_alu instid0(VALU_DEP_4) | instskip(SKIP_1) | instid1(VALU_DEP_3)
	v_add_f32_e32 v25, v28, v29
	v_and_b32_e32 v28, 0xffff0000, v59
	v_dual_add_f32 v24, v58, v24 :: v_dual_add_f32 v76, v76, v23
	v_pk_mul_bf16 v23, v22, v61
	v_pk_mul_bf16 v19, v0, v19
	s_delay_alu instid0(VALU_DEP_3) | instskip(SKIP_4) | instid1(VALU_DEP_4)
	v_dual_add_f32 v27, v27, v28 :: v_dual_add_f32 v24, v24, v25
	v_pk_mul_bf16 v25, v26, v50
	v_pk_mul_bf16 v28, v0, v51
	v_lshlrev_b32_e32 v29, 16, v23
	v_and_b32_e32 v23, 0xffff0000, v23
	v_dual_add_f32 v24, v27, v24 :: v_dual_lshlrev_b32 v50, 16, v25
	s_delay_alu instid0(VALU_DEP_4)
	v_lshlrev_b32_e32 v51, 16, v28
	v_and_b32_e32 v25, 0xffff0000, v25
	v_and_b32_e32 v28, 0xffff0000, v28
	v_add_f32_e32 v23, v29, v23
	v_and_b32_e32 v29, 0xffff0000, v52
	v_pk_mul_bf16 v20, v1, v20
	s_delay_alu instid0(VALU_DEP_4)
	v_dual_add_f32 v25, v50, v25 :: v_dual_add_f32 v27, v51, v28
	v_lshlrev_b32_e32 v28, 16, v52
	v_pk_mul_bf16 v21, v22, v21
	v_pk_mul_bf16 v14, v26, v14
	;; [unrolled: 1-line block ×3, first 2 shown]
	v_add_f32_e32 v25, v27, v25
	v_dual_add_f32 v23, v23, v24 :: v_dual_add_f32 v28, v28, v29
	v_pk_mul_bf16 v24, v22, v53
	v_pk_mul_bf16 v27, v26, v46
	;; [unrolled: 1-line block ×5, first 2 shown]
	s_delay_alu instid0(VALU_DEP_4) | instskip(SKIP_4) | instid1(VALU_DEP_4)
	v_dual_lshlrev_b32 v46, 16, v24 :: v_dual_lshlrev_b32 v47, 16, v27
	v_and_b32_e32 v24, 0xffff0000, v24
	v_and_b32_e32 v27, 0xffff0000, v27
	v_lshlrev_b32_e32 v50, 16, v29
	v_and_b32_e32 v29, 0xffff0000, v29
	v_dual_add_f32 v25, v28, v25 :: v_dual_add_f32 v24, v46, v24
	s_delay_alu instid0(VALU_DEP_4) | instskip(SKIP_1) | instid1(VALU_DEP_4)
	v_add_f32_e32 v27, v47, v27
	v_and_b32_e32 v46, 0xffff0000, v48
	v_dual_add_f32 v28, v50, v29 :: v_dual_lshlrev_b32 v29, 16, v48
	v_pk_mul_bf16 v47, v22, v49
	v_dual_add_f32 v79, v79, v23 :: v_dual_add_f32 v23, v24, v25
	s_delay_alu instid0(VALU_DEP_3) | instskip(NEXT) | instid1(VALU_DEP_3)
	v_dual_add_f32 v24, v28, v27 :: v_dual_add_f32 v25, v29, v46
	v_lshlrev_b32_e32 v27, 16, v47
	v_and_b32_e32 v28, 0xffff0000, v47
	v_pk_mul_bf16 v29, v26, v42
	v_add_f32_e32 v78, v78, v23
	v_pk_mul_bf16 v23, v0, v43
	v_add_f32_e32 v24, v25, v24
	s_delay_alu instid0(VALU_DEP_4) | instskip(SKIP_1) | instid1(VALU_DEP_4)
	v_dual_add_f32 v25, v27, v28 :: v_dual_lshlrev_b32 v27, 16, v29
	v_and_b32_e32 v28, 0xffff0000, v29
	v_lshlrev_b32_e32 v29, 16, v23
	v_and_b32_e32 v23, 0xffff0000, v23
	v_pk_mul_bf16 v42, v1, v44
	v_pk_mul_bf16 v43, v22, v45
	v_add_f32_e32 v27, v27, v28
	v_pk_mul_bf16 v28, v26, v38
	v_add_f32_e32 v23, v29, v23
	v_pk_mul_bf16 v29, v0, v39
	v_lshlrev_b32_e32 v38, 16, v42
	v_and_b32_e32 v39, 0xffff0000, v42
	v_lshlrev_b32_e32 v42, 16, v28
	v_and_b32_e32 v28, 0xffff0000, v28
	v_dual_add_f32 v23, v23, v27 :: v_dual_lshlrev_b32 v44, 16, v29
	v_and_b32_e32 v29, 0xffff0000, v29
	v_add_f32_e32 v27, v38, v39
	s_delay_alu instid0(VALU_DEP_4)
	v_add_f32_e32 v28, v42, v28
	v_and_b32_e32 v39, 0xffff0000, v40
	v_and_b32_e32 v42, 0xffff0000, v43
	v_dual_add_f32 v29, v44, v29 :: v_dual_lshlrev_b32 v38, 16, v40
	v_add_f32_e32 v23, v27, v23
	v_pk_mul_bf16 v40, v22, v41
	s_delay_alu instid0(VALU_DEP_3) | instskip(NEXT) | instid1(VALU_DEP_4)
	v_dual_add_f32 v28, v29, v28 :: v_dual_lshlrev_b32 v41, 16, v43
	v_add_f32_e32 v29, v38, v39
	v_pk_mul_bf16 v17, v22, v17
	s_delay_alu instid0(VALU_DEP_4)
	v_lshlrev_b32_e32 v38, 16, v40
	v_and_b32_e32 v39, 0xffff0000, v40
	v_add_f32_e32 v24, v25, v24
	v_add_f32_e32 v25, v41, v42
	v_pk_mul_bf16 v11, v0, v11
	v_pk_mul_bf16 v12, v1, v12
	;; [unrolled: 1-line block ×4, first 2 shown]
	v_add_f32_e32 v23, v25, v23
	v_dual_add_f32 v27, v29, v28 :: v_dual_add_f32 v28, v38, v39
	v_pk_mul_bf16 v29, v26, v34
	v_pk_mul_bf16 v34, v1, v36
	s_delay_alu instid0(VALU_DEP_4) | instskip(NEXT) | instid1(VALU_DEP_4)
	v_dual_add_f32 v80, v80, v23 :: v_dual_add_f32 v81, v81, v24
	v_add_f32_e32 v25, v28, v27
	v_pk_mul_bf16 v24, v0, v35
	v_lshlrev_b32_e32 v27, 16, v29
	v_and_b32_e32 v28, 0xffff0000, v29
	v_pk_mul_bf16 v2, v26, v2
	s_delay_alu instid0(VALU_DEP_4) | instskip(SKIP_1) | instid1(VALU_DEP_4)
	v_dual_add_f32 v83, v83, v25 :: v_dual_lshlrev_b32 v29, 16, v24
	v_and_b32_e32 v24, 0xffff0000, v24
	v_dual_add_f32 v23, v27, v28 :: v_dual_lshlrev_b32 v25, 16, v34
	v_and_b32_e32 v27, 0xffff0000, v34
	v_pk_mul_bf16 v28, v26, v30
	v_pk_mul_bf16 v30, v0, v31
	v_add_f32_e32 v24, v29, v24
	v_pk_mul_bf16 v29, v22, v37
	v_pk_mul_bf16 v31, v1, v32
	;; [unrolled: 1-line block ×4, first 2 shown]
	v_add_f32_e32 v23, v24, v23
	v_dual_add_f32 v24, v25, v27 :: v_dual_lshlrev_b32 v32, 16, v29
	v_lshlrev_b32_e32 v25, 16, v28
	v_and_b32_e32 v27, 0xffff0000, v28
	v_lshlrev_b32_e32 v28, 16, v30
	v_and_b32_e32 v30, 0xffff0000, v30
	v_and_b32_e32 v29, 0xffff0000, v29
	v_pk_mul_bf16 v9, v22, v9
	v_add_f32_e32 v25, v25, v27
	v_pk_mul_bf16 v4, v1, v4
	v_dual_add_f32 v27, v28, v30 :: v_dual_lshlrev_b32 v28, 16, v31
	v_and_b32_e32 v30, 0xffff0000, v31
	v_pk_mul_bf16 v31, v22, v33
	s_delay_alu instid0(VALU_DEP_3) | instskip(SKIP_1) | instid1(VALU_DEP_3)
	v_dual_add_f32 v23, v24, v23 :: v_dual_add_f32 v25, v27, v25
	v_add_f32_e32 v24, v32, v29
	v_dual_add_f32 v27, v28, v30 :: v_dual_lshlrev_b32 v28, 16, v31
	v_and_b32_e32 v29, 0xffff0000, v31
	v_add_nc_u32_e32 v99, 0x100, v99
	s_delay_alu instid0(VALU_DEP_3) | instskip(NEXT) | instid1(VALU_DEP_3)
	v_dual_add_f32 v23, v24, v23 :: v_dual_add_f32 v24, v27, v25
	v_dual_lshlrev_b32 v27, 16, v18 :: v_dual_add_f32 v25, v28, v29
	v_and_b32_e32 v18, 0xffff0000, v18
	v_lshlrev_b32_e32 v28, 16, v19
	v_and_b32_e32 v19, 0xffff0000, v19
	s_delay_alu instid0(VALU_DEP_4) | instskip(NEXT) | instid1(VALU_DEP_4)
	v_dual_add_f32 v82, v82, v23 :: v_dual_add_f32 v23, v25, v24
	v_dual_add_f32 v18, v27, v18 :: v_dual_lshlrev_b32 v24, 16, v20
	s_delay_alu instid0(VALU_DEP_3) | instskip(SKIP_1) | instid1(VALU_DEP_4)
	v_add_f32_e32 v19, v28, v19
	v_and_b32_e32 v20, 0xffff0000, v20
	v_dual_add_f32 v85, v85, v23 :: v_dual_lshlrev_b32 v23, 16, v14
	v_and_b32_e32 v14, 0xffff0000, v14
	s_delay_alu instid0(VALU_DEP_3)
	v_dual_add_f32 v18, v19, v18 :: v_dual_add_f32 v19, v24, v20
	v_lshlrev_b32_e32 v20, 16, v21
	v_and_b32_e32 v21, 0xffff0000, v21
	v_lshlrev_b32_e32 v24, 16, v15
	v_and_b32_e32 v15, 0xffff0000, v15
	v_add_f32_e32 v18, v19, v18
	s_delay_alu instid0(VALU_DEP_4) | instskip(NEXT) | instid1(VALU_DEP_3)
	v_dual_add_f32 v14, v23, v14 :: v_dual_add_f32 v19, v20, v21
	v_dual_lshlrev_b32 v21, 16, v17 :: v_dual_add_f32 v15, v24, v15
	v_lshlrev_b32_e32 v20, 16, v16
	v_and_b32_e32 v16, 0xffff0000, v16
	v_and_b32_e32 v17, 0xffff0000, v17
	v_add_f32_e32 v18, v19, v18
	v_add_f32_e32 v14, v15, v14
	s_wait_loadcnt 0x0
	v_pk_mul_bf16 v19, v22, v57
	v_dual_add_f32 v15, v20, v16 :: v_dual_lshlrev_b32 v16, 16, v10
	v_and_b32_e32 v10, 0xffff0000, v10
	v_lshlrev_b32_e32 v20, 16, v11
	v_and_b32_e32 v11, 0xffff0000, v11
	s_delay_alu instid0(VALU_DEP_4) | instskip(NEXT) | instid1(VALU_DEP_4)
	v_dual_add_f32 v14, v15, v14 :: v_dual_add_f32 v15, v21, v17
	v_dual_add_f32 v10, v16, v10 :: v_dual_lshlrev_b32 v16, 16, v12
	s_delay_alu instid0(VALU_DEP_3) | instskip(SKIP_2) | instid1(VALU_DEP_2)
	v_add_f32_e32 v11, v20, v11
	v_and_b32_e32 v12, 0xffff0000, v12
	v_add_nc_u32_e32 v98, 64, v98
	v_dual_add_f32 v10, v11, v10 :: v_dual_add_f32 v11, v16, v12
	v_pk_mul_bf16 v12, v22, v13
	v_dual_add_f32 v13, v15, v14 :: v_dual_lshlrev_b32 v15, 16, v7
	v_and_b32_e32 v7, 0xffff0000, v7
	v_lshlrev_b32_e32 v14, 16, v6
	v_and_b32_e32 v6, 0xffff0000, v6
	v_add_f32_e32 v84, v84, v18
	v_dual_add_f32 v10, v11, v10 :: v_dual_lshlrev_b32 v11, 16, v12
	v_and_b32_e32 v12, 0xffff0000, v12
	s_delay_alu instid0(VALU_DEP_4)
	v_dual_add_f32 v7, v15, v7 :: v_dual_add_f32 v6, v14, v6
	v_dual_lshlrev_b32 v14, 16, v2 :: v_dual_lshlrev_b32 v15, 16, v3
	v_and_b32_e32 v2, 0xffff0000, v2
	v_and_b32_e32 v3, 0xffff0000, v3
	v_add_f32_e32 v11, v11, v12
	v_lshlrev_b32_e32 v12, 16, v8
	v_and_b32_e32 v8, 0xffff0000, v8
	s_delay_alu instid0(VALU_DEP_4) | instskip(SKIP_2) | instid1(VALU_DEP_4)
	v_dual_add_f32 v2, v14, v2 :: v_dual_add_f32 v3, v15, v3
	v_add_f32_e32 v16, v7, v6
	v_and_b32_e32 v18, 0xffff0000, v4
	v_dual_add_f32 v8, v12, v8 :: v_dual_lshlrev_b32 v12, 16, v9
	s_delay_alu instid0(VALU_DEP_4)
	v_add_f32_e32 v15, v3, v2
	v_pk_mul_bf16 v2, v26, v54
	v_lshlrev_b32_e32 v17, 16, v4
	v_pk_mul_bf16 v4, v0, v55
	v_pk_mul_bf16 v6, v1, v56
	;; [unrolled: 1-line block ×3, first 2 shown]
	v_and_b32_e32 v1, 0xffff0000, v2
	v_lshlrev_b32_e32 v3, 16, v2
	v_and_b32_e32 v0, 0xffff0000, v4
	v_dual_lshlrev_b32 v2, 16, v4 :: v_dual_lshlrev_b32 v7, 16, v6
	v_and_b32_e32 v5, 0xffff0000, v6
	v_and_b32_e32 v4, 0xffff0000, v19
	v_dual_add_f32 v17, v17, v18 :: v_dual_lshlrev_b32 v6, 16, v19
	s_delay_alu instid0(VALU_DEP_4)
	v_pk_add_f32 v[0:1], v[2:3], v[0:1]
	v_and_b32_e32 v9, 0xffff0000, v9
	v_lshlrev_b32_e32 v18, 16, v14
	v_and_b32_e32 v14, 0xffff0000, v14
	v_pk_add_f32 v[2:3], v[6:7], v[4:5]
	v_add_f32_e32 v0, v0, v1
	v_dual_add_f32 v1, v8, v16 :: v_dual_add_f32 v5, v17, v15
	s_delay_alu instid0(VALU_DEP_4) | instskip(NEXT) | instid1(VALU_DEP_3)
	v_dual_add_f32 v4, v12, v9 :: v_dual_add_f32 v6, v18, v14
	v_add_f32_e32 v0, v3, v0
	s_delay_alu instid0(VALU_DEP_2) | instskip(NEXT) | instid1(VALU_DEP_3)
	v_dual_add_f32 v3, v11, v10 :: v_dual_add_f32 v1, v4, v1
	v_dual_add_f32 v4, v6, v5 :: v_dual_add_nc_u32 v100, 4, v100
	s_delay_alu instid0(VALU_DEP_2) | instskip(NEXT) | instid1(VALU_DEP_3)
	v_dual_add_f32 v86, v86, v3 :: v_dual_add_f32 v87, v87, v13
	v_dual_add_f32 v0, v2, v0 :: v_dual_add_f32 v89, v89, v1
	s_delay_alu instid0(VALU_DEP_3) | instskip(NEXT) | instid1(VALU_DEP_4)
	v_add_f32_e32 v88, v88, v4
	v_cmp_le_i32_e32 vcc_lo, s8, v100
	s_delay_alu instid0(VALU_DEP_3) | instskip(SKIP_1) | instid1(SALU_CYCLE_1)
	v_add_f32_e32 v75, v75, v0
	s_or_b32 s9, vcc_lo, s9
	s_and_not1_b32 exec_lo, exec_lo, s9
	s_cbranch_execz .LBB143_72
.LBB143_40:                             ; =>This Inner Loop Header: Depth=1
	global_load_b32 v0, v[92:93], off
	v_cmp_eq_u32_e32 vcc_lo, s3, v100
	v_or_b32_e32 v105, 3, v98
	v_or_b32_e32 v107, 2, v98
	;; [unrolled: 1-line block ×5, first 2 shown]
	v_dual_add_nc_u32 v106, 1, v98 :: v_dual_bitop2_b32 v103, 6, v98 bitop3:0x54
	s_wait_loadcnt 0x0
	v_ashrrev_i32_e32 v1, 31, v0
	s_delay_alu instid0(VALU_DEP_1) | instskip(NEXT) | instid1(VALU_DEP_1)
	v_mul_u64_e32 v[0:1], s[4:5], v[0:1]
	v_lshl_add_u64 v[54:55], v[0:1], 1, v[90:91]
	global_load_b128 v[2:5], v[54:55], off
	ds_load_2addr_b64 v[26:29], v99 offset1:1
	ds_load_2addr_b64 v[22:25], v99 offset0:2 offset1:3
	s_wait_xcnt 0x0
	s_and_saveexec_b32 s13, vcc_lo
	s_cbranch_execnz .LBB143_56
; %bb.41:                               ;   in Loop: Header=BB143_40 Depth=1
	s_or_b32 exec_lo, exec_lo, s13
	global_load_b128 v[6:9], v[54:55], off offset:512
	s_wait_xcnt 0x0
	s_and_saveexec_b32 s13, vcc_lo
	s_cbranch_execnz .LBB143_57
.LBB143_42:                             ;   in Loop: Header=BB143_40 Depth=1
	s_or_b32 exec_lo, exec_lo, s13
	global_load_b128 v[10:13], v[54:55], off offset:1024
	s_wait_xcnt 0x0
	s_and_saveexec_b32 s13, vcc_lo
	s_cbranch_execnz .LBB143_58
.LBB143_43:                             ;   in Loop: Header=BB143_40 Depth=1
	s_or_b32 exec_lo, exec_lo, s13
	global_load_b128 v[14:17], v[54:55], off offset:1536
	s_wait_xcnt 0x0
	s_and_saveexec_b32 s13, vcc_lo
	s_cbranch_execnz .LBB143_59
.LBB143_44:                             ;   in Loop: Header=BB143_40 Depth=1
	s_or_b32 exec_lo, exec_lo, s13
	global_load_b128 v[18:21], v[54:55], off offset:2048
	s_wait_xcnt 0x0
	s_and_saveexec_b32 s13, vcc_lo
	s_cbranch_execnz .LBB143_60
.LBB143_45:                             ;   in Loop: Header=BB143_40 Depth=1
	s_or_b32 exec_lo, exec_lo, s13
	global_load_b128 v[30:33], v[54:55], off offset:2560
	s_wait_xcnt 0x0
	s_and_saveexec_b32 s13, vcc_lo
	s_cbranch_execnz .LBB143_61
.LBB143_46:                             ;   in Loop: Header=BB143_40 Depth=1
	s_or_b32 exec_lo, exec_lo, s13
	global_load_b128 v[34:37], v[54:55], off offset:3072
	s_wait_xcnt 0x0
	s_and_saveexec_b32 s13, vcc_lo
	s_cbranch_execnz .LBB143_62
.LBB143_47:                             ;   in Loop: Header=BB143_40 Depth=1
	s_or_b32 exec_lo, exec_lo, s13
	global_load_b128 v[38:41], v[54:55], off offset:3584
	s_wait_xcnt 0x0
	s_and_saveexec_b32 s13, vcc_lo
	s_cbranch_execnz .LBB143_63
.LBB143_48:                             ;   in Loop: Header=BB143_40 Depth=1
	s_or_b32 exec_lo, exec_lo, s13
	global_load_b128 v[42:45], v[54:55], off offset:4096
	s_wait_xcnt 0x0
	s_and_saveexec_b32 s13, vcc_lo
	s_cbranch_execnz .LBB143_64
.LBB143_49:                             ;   in Loop: Header=BB143_40 Depth=1
	s_or_b32 exec_lo, exec_lo, s13
	global_load_b128 v[46:49], v[54:55], off offset:4608
	s_wait_xcnt 0x0
	s_and_saveexec_b32 s13, vcc_lo
	s_cbranch_execnz .LBB143_65
.LBB143_50:                             ;   in Loop: Header=BB143_40 Depth=1
	s_or_b32 exec_lo, exec_lo, s13
	global_load_b128 v[50:53], v[54:55], off offset:5120
	s_wait_xcnt 0x0
	s_and_saveexec_b32 s13, vcc_lo
	s_cbranch_execnz .LBB143_66
.LBB143_51:                             ;   in Loop: Header=BB143_40 Depth=1
	s_or_b32 exec_lo, exec_lo, s13
	global_load_b128 v[58:61], v[54:55], off offset:5632
	s_wait_xcnt 0x0
	s_and_saveexec_b32 s13, vcc_lo
	s_cbranch_execnz .LBB143_67
.LBB143_52:                             ;   in Loop: Header=BB143_40 Depth=1
	s_or_b32 exec_lo, exec_lo, s13
	global_load_b128 v[62:65], v[54:55], off offset:6144
	s_wait_xcnt 0x0
	s_and_saveexec_b32 s13, vcc_lo
	s_cbranch_execnz .LBB143_68
.LBB143_53:                             ;   in Loop: Header=BB143_40 Depth=1
	s_or_b32 exec_lo, exec_lo, s13
	global_load_b128 v[66:69], v[54:55], off offset:6656
	s_wait_xcnt 0x0
	s_and_saveexec_b32 s13, vcc_lo
	s_cbranch_execnz .LBB143_69
.LBB143_54:                             ;   in Loop: Header=BB143_40 Depth=1
	s_or_b32 exec_lo, exec_lo, s13
	global_load_b128 v[70:73], v[54:55], off offset:7168
	s_wait_xcnt 0x0
	s_and_saveexec_b32 s13, vcc_lo
	s_cbranch_execnz .LBB143_70
.LBB143_55:                             ;   in Loop: Header=BB143_40 Depth=1
	s_or_b32 exec_lo, exec_lo, s13
	global_load_b128 v[54:57], v[54:55], off offset:7680
	s_wait_xcnt 0x0
	s_and_saveexec_b32 s0, vcc_lo
	s_cbranch_execz .LBB143_39
	s_branch .LBB143_71
.LBB143_56:                             ;   in Loop: Header=BB143_40 Depth=1
	v_cmp_gt_i32_e64 s0, s23, v98
	s_wait_loadcnt 0x0
	s_delay_alu instid0(VALU_DEP_1) | instskip(SKIP_1) | instid1(VALU_DEP_1)
	v_dual_lshrrev_b32 v0, 16, v2 :: v_dual_cndmask_b32 v1, 0, v2, s0
	v_cmp_gt_i32_e64 s0, s12, v106
	v_dual_lshrrev_b32 v2, 16, v3 :: v_dual_cndmask_b32 v0, 0, v0, s0
	v_cmp_gt_i32_e64 s0, s23, v107
	s_delay_alu instid0(VALU_DEP_1) | instskip(SKIP_1) | instid1(VALU_DEP_1)
	v_cndmask_b32_e64 v3, 0, v3, s0
	v_cmp_gt_i32_e64 s0, s12, v105
	v_cndmask_b32_e64 v6, 0, v2, s0
	v_cmp_gt_i32_e64 s0, s23, v104
	v_lshrrev_b32_e32 v2, 16, v4
	s_delay_alu instid0(VALU_DEP_3) | instskip(NEXT) | instid1(VALU_DEP_3)
	v_perm_b32 v3, v6, v3, 0x5040100
	v_cndmask_b32_e64 v4, 0, v4, s0
	v_cmp_gt_i32_e64 s0, s12, v102
	s_delay_alu instid0(VALU_DEP_1) | instskip(SKIP_2) | instid1(VALU_DEP_3)
	v_dual_lshrrev_b32 v7, 16, v5 :: v_dual_cndmask_b32 v8, 0, v2, s0
	v_cmp_gt_i32_e64 s0, s23, v103
	v_perm_b32 v2, v0, v1, 0x5040100
	v_perm_b32 v4, v8, v4, 0x5040100
	s_delay_alu instid0(VALU_DEP_3) | instskip(SKIP_1) | instid1(VALU_DEP_1)
	v_cndmask_b32_e64 v5, 0, v5, s0
	v_cmp_gt_i32_e64 s0, s12, v101
	v_cndmask_b32_e64 v7, 0, v7, s0
	s_delay_alu instid0(VALU_DEP_1)
	v_perm_b32 v5, v7, v5, 0x5040100
	s_or_b32 exec_lo, exec_lo, s13
	global_load_b128 v[6:9], v[54:55], off offset:512
	s_wait_xcnt 0x0
	s_and_saveexec_b32 s13, vcc_lo
	s_cbranch_execz .LBB143_42
.LBB143_57:                             ;   in Loop: Header=BB143_40 Depth=1
	v_cmp_gt_i32_e64 s0, s23, v98
	s_wait_loadcnt 0x0
	s_delay_alu instid0(VALU_DEP_1) | instskip(SKIP_1) | instid1(VALU_DEP_1)
	v_dual_lshrrev_b32 v0, 16, v6 :: v_dual_cndmask_b32 v1, 0, v6, s0
	v_cmp_gt_i32_e64 s0, s12, v106
	v_dual_lshrrev_b32 v6, 16, v7 :: v_dual_cndmask_b32 v0, 0, v0, s0
	v_cmp_gt_i32_e64 s0, s23, v107
	s_delay_alu instid0(VALU_DEP_1) | instskip(SKIP_1) | instid1(VALU_DEP_1)
	v_cndmask_b32_e64 v7, 0, v7, s0
	v_cmp_gt_i32_e64 s0, s12, v105
	v_cndmask_b32_e64 v10, 0, v6, s0
	v_cmp_gt_i32_e64 s0, s23, v104
	v_lshrrev_b32_e32 v6, 16, v8
	s_delay_alu instid0(VALU_DEP_3) | instskip(NEXT) | instid1(VALU_DEP_3)
	v_perm_b32 v7, v10, v7, 0x5040100
	v_cndmask_b32_e64 v8, 0, v8, s0
	v_cmp_gt_i32_e64 s0, s12, v102
	s_delay_alu instid0(VALU_DEP_1) | instskip(SKIP_2) | instid1(VALU_DEP_3)
	v_dual_lshrrev_b32 v11, 16, v9 :: v_dual_cndmask_b32 v12, 0, v6, s0
	v_cmp_gt_i32_e64 s0, s23, v103
	v_perm_b32 v6, v0, v1, 0x5040100
	v_perm_b32 v8, v12, v8, 0x5040100
	s_delay_alu instid0(VALU_DEP_3) | instskip(SKIP_1) | instid1(VALU_DEP_1)
	v_cndmask_b32_e64 v9, 0, v9, s0
	v_cmp_gt_i32_e64 s0, s12, v101
	v_cndmask_b32_e64 v11, 0, v11, s0
	s_delay_alu instid0(VALU_DEP_1)
	v_perm_b32 v9, v11, v9, 0x5040100
	s_or_b32 exec_lo, exec_lo, s13
	global_load_b128 v[10:13], v[54:55], off offset:1024
	s_wait_xcnt 0x0
	s_and_saveexec_b32 s13, vcc_lo
	s_cbranch_execz .LBB143_43
.LBB143_58:                             ;   in Loop: Header=BB143_40 Depth=1
	v_cmp_gt_i32_e64 s0, s23, v98
	s_wait_loadcnt 0x0
	s_delay_alu instid0(VALU_DEP_1) | instskip(SKIP_1) | instid1(VALU_DEP_1)
	v_dual_lshrrev_b32 v0, 16, v10 :: v_dual_cndmask_b32 v1, 0, v10, s0
	v_cmp_gt_i32_e64 s0, s12, v106
	v_dual_lshrrev_b32 v10, 16, v11 :: v_dual_cndmask_b32 v0, 0, v0, s0
	v_cmp_gt_i32_e64 s0, s23, v107
	s_delay_alu instid0(VALU_DEP_1) | instskip(SKIP_1) | instid1(VALU_DEP_1)
	v_cndmask_b32_e64 v11, 0, v11, s0
	v_cmp_gt_i32_e64 s0, s12, v105
	v_cndmask_b32_e64 v14, 0, v10, s0
	v_cmp_gt_i32_e64 s0, s23, v104
	v_lshrrev_b32_e32 v10, 16, v12
	s_delay_alu instid0(VALU_DEP_3) | instskip(NEXT) | instid1(VALU_DEP_3)
	v_perm_b32 v11, v14, v11, 0x5040100
	v_cndmask_b32_e64 v12, 0, v12, s0
	v_cmp_gt_i32_e64 s0, s12, v102
	s_delay_alu instid0(VALU_DEP_1) | instskip(SKIP_2) | instid1(VALU_DEP_3)
	v_dual_lshrrev_b32 v15, 16, v13 :: v_dual_cndmask_b32 v16, 0, v10, s0
	v_cmp_gt_i32_e64 s0, s23, v103
	v_perm_b32 v10, v0, v1, 0x5040100
	v_perm_b32 v12, v16, v12, 0x5040100
	s_delay_alu instid0(VALU_DEP_3) | instskip(SKIP_1) | instid1(VALU_DEP_1)
	v_cndmask_b32_e64 v13, 0, v13, s0
	v_cmp_gt_i32_e64 s0, s12, v101
	v_cndmask_b32_e64 v15, 0, v15, s0
	s_delay_alu instid0(VALU_DEP_1)
	v_perm_b32 v13, v15, v13, 0x5040100
	s_or_b32 exec_lo, exec_lo, s13
	global_load_b128 v[14:17], v[54:55], off offset:1536
	s_wait_xcnt 0x0
	s_and_saveexec_b32 s13, vcc_lo
	s_cbranch_execz .LBB143_44
.LBB143_59:                             ;   in Loop: Header=BB143_40 Depth=1
	v_cmp_gt_i32_e64 s0, s23, v98
	s_wait_loadcnt 0x0
	s_delay_alu instid0(VALU_DEP_1) | instskip(SKIP_1) | instid1(VALU_DEP_1)
	v_dual_lshrrev_b32 v0, 16, v14 :: v_dual_cndmask_b32 v1, 0, v14, s0
	v_cmp_gt_i32_e64 s0, s12, v106
	v_dual_lshrrev_b32 v14, 16, v15 :: v_dual_cndmask_b32 v0, 0, v0, s0
	v_cmp_gt_i32_e64 s0, s23, v107
	s_delay_alu instid0(VALU_DEP_1) | instskip(SKIP_1) | instid1(VALU_DEP_1)
	v_cndmask_b32_e64 v15, 0, v15, s0
	v_cmp_gt_i32_e64 s0, s12, v105
	v_cndmask_b32_e64 v18, 0, v14, s0
	v_cmp_gt_i32_e64 s0, s23, v104
	v_lshrrev_b32_e32 v14, 16, v16
	s_delay_alu instid0(VALU_DEP_3) | instskip(NEXT) | instid1(VALU_DEP_3)
	v_perm_b32 v15, v18, v15, 0x5040100
	v_cndmask_b32_e64 v16, 0, v16, s0
	v_cmp_gt_i32_e64 s0, s12, v102
	s_delay_alu instid0(VALU_DEP_1) | instskip(SKIP_2) | instid1(VALU_DEP_3)
	v_dual_lshrrev_b32 v19, 16, v17 :: v_dual_cndmask_b32 v20, 0, v14, s0
	v_cmp_gt_i32_e64 s0, s23, v103
	v_perm_b32 v14, v0, v1, 0x5040100
	v_perm_b32 v16, v20, v16, 0x5040100
	s_delay_alu instid0(VALU_DEP_3) | instskip(SKIP_1) | instid1(VALU_DEP_1)
	v_cndmask_b32_e64 v17, 0, v17, s0
	v_cmp_gt_i32_e64 s0, s12, v101
	v_cndmask_b32_e64 v19, 0, v19, s0
	s_delay_alu instid0(VALU_DEP_1)
	v_perm_b32 v17, v19, v17, 0x5040100
	s_or_b32 exec_lo, exec_lo, s13
	global_load_b128 v[18:21], v[54:55], off offset:2048
	s_wait_xcnt 0x0
	s_and_saveexec_b32 s13, vcc_lo
	s_cbranch_execz .LBB143_45
.LBB143_60:                             ;   in Loop: Header=BB143_40 Depth=1
	v_cmp_gt_i32_e64 s0, s23, v98
	s_wait_loadcnt 0x0
	s_delay_alu instid0(VALU_DEP_1) | instskip(SKIP_1) | instid1(VALU_DEP_1)
	v_dual_lshrrev_b32 v0, 16, v18 :: v_dual_cndmask_b32 v1, 0, v18, s0
	v_cmp_gt_i32_e64 s0, s12, v106
	v_dual_lshrrev_b32 v18, 16, v19 :: v_dual_cndmask_b32 v0, 0, v0, s0
	v_cmp_gt_i32_e64 s0, s23, v107
	s_delay_alu instid0(VALU_DEP_1) | instskip(SKIP_1) | instid1(VALU_DEP_1)
	v_cndmask_b32_e64 v19, 0, v19, s0
	v_cmp_gt_i32_e64 s0, s12, v105
	v_cndmask_b32_e64 v30, 0, v18, s0
	v_cmp_gt_i32_e64 s0, s23, v104
	v_lshrrev_b32_e32 v18, 16, v20
	s_delay_alu instid0(VALU_DEP_3) | instskip(NEXT) | instid1(VALU_DEP_3)
	v_perm_b32 v19, v30, v19, 0x5040100
	v_cndmask_b32_e64 v20, 0, v20, s0
	v_cmp_gt_i32_e64 s0, s12, v102
	s_delay_alu instid0(VALU_DEP_1) | instskip(SKIP_2) | instid1(VALU_DEP_3)
	v_dual_lshrrev_b32 v31, 16, v21 :: v_dual_cndmask_b32 v32, 0, v18, s0
	v_cmp_gt_i32_e64 s0, s23, v103
	v_perm_b32 v18, v0, v1, 0x5040100
	v_perm_b32 v20, v32, v20, 0x5040100
	s_delay_alu instid0(VALU_DEP_3) | instskip(SKIP_1) | instid1(VALU_DEP_1)
	v_cndmask_b32_e64 v21, 0, v21, s0
	v_cmp_gt_i32_e64 s0, s12, v101
	v_cndmask_b32_e64 v31, 0, v31, s0
	s_delay_alu instid0(VALU_DEP_1)
	v_perm_b32 v21, v31, v21, 0x5040100
	s_or_b32 exec_lo, exec_lo, s13
	global_load_b128 v[30:33], v[54:55], off offset:2560
	s_wait_xcnt 0x0
	s_and_saveexec_b32 s13, vcc_lo
	s_cbranch_execz .LBB143_46
.LBB143_61:                             ;   in Loop: Header=BB143_40 Depth=1
	v_cmp_gt_i32_e64 s0, s23, v98
	s_wait_loadcnt 0x0
	s_delay_alu instid0(VALU_DEP_1) | instskip(SKIP_1) | instid1(VALU_DEP_1)
	v_dual_lshrrev_b32 v0, 16, v30 :: v_dual_cndmask_b32 v1, 0, v30, s0
	v_cmp_gt_i32_e64 s0, s12, v106
	v_dual_lshrrev_b32 v30, 16, v31 :: v_dual_cndmask_b32 v0, 0, v0, s0
	v_cmp_gt_i32_e64 s0, s23, v107
	s_delay_alu instid0(VALU_DEP_1) | instskip(SKIP_1) | instid1(VALU_DEP_1)
	v_cndmask_b32_e64 v31, 0, v31, s0
	v_cmp_gt_i32_e64 s0, s12, v105
	v_cndmask_b32_e64 v34, 0, v30, s0
	v_cmp_gt_i32_e64 s0, s23, v104
	v_lshrrev_b32_e32 v30, 16, v32
	s_delay_alu instid0(VALU_DEP_3) | instskip(NEXT) | instid1(VALU_DEP_3)
	v_perm_b32 v31, v34, v31, 0x5040100
	v_cndmask_b32_e64 v32, 0, v32, s0
	v_cmp_gt_i32_e64 s0, s12, v102
	s_delay_alu instid0(VALU_DEP_1) | instskip(SKIP_2) | instid1(VALU_DEP_3)
	v_dual_lshrrev_b32 v35, 16, v33 :: v_dual_cndmask_b32 v36, 0, v30, s0
	v_cmp_gt_i32_e64 s0, s23, v103
	v_perm_b32 v30, v0, v1, 0x5040100
	v_perm_b32 v32, v36, v32, 0x5040100
	s_delay_alu instid0(VALU_DEP_3) | instskip(SKIP_1) | instid1(VALU_DEP_1)
	v_cndmask_b32_e64 v33, 0, v33, s0
	v_cmp_gt_i32_e64 s0, s12, v101
	v_cndmask_b32_e64 v35, 0, v35, s0
	s_delay_alu instid0(VALU_DEP_1)
	v_perm_b32 v33, v35, v33, 0x5040100
	s_or_b32 exec_lo, exec_lo, s13
	global_load_b128 v[34:37], v[54:55], off offset:3072
	s_wait_xcnt 0x0
	s_and_saveexec_b32 s13, vcc_lo
	s_cbranch_execz .LBB143_47
.LBB143_62:                             ;   in Loop: Header=BB143_40 Depth=1
	v_cmp_gt_i32_e64 s0, s23, v98
	s_wait_loadcnt 0x0
	s_delay_alu instid0(VALU_DEP_1) | instskip(SKIP_1) | instid1(VALU_DEP_1)
	v_dual_lshrrev_b32 v0, 16, v34 :: v_dual_cndmask_b32 v1, 0, v34, s0
	v_cmp_gt_i32_e64 s0, s12, v106
	v_dual_lshrrev_b32 v34, 16, v35 :: v_dual_cndmask_b32 v0, 0, v0, s0
	v_cmp_gt_i32_e64 s0, s23, v107
	s_delay_alu instid0(VALU_DEP_1) | instskip(SKIP_1) | instid1(VALU_DEP_1)
	v_cndmask_b32_e64 v35, 0, v35, s0
	v_cmp_gt_i32_e64 s0, s12, v105
	v_cndmask_b32_e64 v38, 0, v34, s0
	v_cmp_gt_i32_e64 s0, s23, v104
	v_lshrrev_b32_e32 v34, 16, v36
	s_delay_alu instid0(VALU_DEP_3) | instskip(NEXT) | instid1(VALU_DEP_3)
	v_perm_b32 v35, v38, v35, 0x5040100
	v_cndmask_b32_e64 v36, 0, v36, s0
	v_cmp_gt_i32_e64 s0, s12, v102
	s_delay_alu instid0(VALU_DEP_1) | instskip(SKIP_2) | instid1(VALU_DEP_3)
	v_dual_lshrrev_b32 v39, 16, v37 :: v_dual_cndmask_b32 v40, 0, v34, s0
	v_cmp_gt_i32_e64 s0, s23, v103
	v_perm_b32 v34, v0, v1, 0x5040100
	v_perm_b32 v36, v40, v36, 0x5040100
	s_delay_alu instid0(VALU_DEP_3) | instskip(SKIP_1) | instid1(VALU_DEP_1)
	v_cndmask_b32_e64 v37, 0, v37, s0
	v_cmp_gt_i32_e64 s0, s12, v101
	v_cndmask_b32_e64 v39, 0, v39, s0
	s_delay_alu instid0(VALU_DEP_1)
	v_perm_b32 v37, v39, v37, 0x5040100
	s_or_b32 exec_lo, exec_lo, s13
	global_load_b128 v[38:41], v[54:55], off offset:3584
	s_wait_xcnt 0x0
	s_and_saveexec_b32 s13, vcc_lo
	s_cbranch_execz .LBB143_48
.LBB143_63:                             ;   in Loop: Header=BB143_40 Depth=1
	v_cmp_gt_i32_e64 s0, s23, v98
	s_wait_loadcnt 0x0
	s_delay_alu instid0(VALU_DEP_1) | instskip(SKIP_1) | instid1(VALU_DEP_1)
	v_dual_lshrrev_b32 v0, 16, v38 :: v_dual_cndmask_b32 v1, 0, v38, s0
	v_cmp_gt_i32_e64 s0, s12, v106
	v_dual_lshrrev_b32 v38, 16, v39 :: v_dual_cndmask_b32 v0, 0, v0, s0
	v_cmp_gt_i32_e64 s0, s23, v107
	s_delay_alu instid0(VALU_DEP_1) | instskip(SKIP_1) | instid1(VALU_DEP_1)
	v_cndmask_b32_e64 v39, 0, v39, s0
	v_cmp_gt_i32_e64 s0, s12, v105
	v_cndmask_b32_e64 v42, 0, v38, s0
	v_cmp_gt_i32_e64 s0, s23, v104
	v_lshrrev_b32_e32 v38, 16, v40
	s_delay_alu instid0(VALU_DEP_3) | instskip(NEXT) | instid1(VALU_DEP_3)
	v_perm_b32 v39, v42, v39, 0x5040100
	v_cndmask_b32_e64 v40, 0, v40, s0
	v_cmp_gt_i32_e64 s0, s12, v102
	s_delay_alu instid0(VALU_DEP_1) | instskip(SKIP_2) | instid1(VALU_DEP_3)
	v_dual_lshrrev_b32 v43, 16, v41 :: v_dual_cndmask_b32 v44, 0, v38, s0
	v_cmp_gt_i32_e64 s0, s23, v103
	v_perm_b32 v38, v0, v1, 0x5040100
	v_perm_b32 v40, v44, v40, 0x5040100
	s_delay_alu instid0(VALU_DEP_3) | instskip(SKIP_1) | instid1(VALU_DEP_1)
	v_cndmask_b32_e64 v41, 0, v41, s0
	v_cmp_gt_i32_e64 s0, s12, v101
	v_cndmask_b32_e64 v43, 0, v43, s0
	s_delay_alu instid0(VALU_DEP_1)
	v_perm_b32 v41, v43, v41, 0x5040100
	s_or_b32 exec_lo, exec_lo, s13
	global_load_b128 v[42:45], v[54:55], off offset:4096
	s_wait_xcnt 0x0
	s_and_saveexec_b32 s13, vcc_lo
	s_cbranch_execz .LBB143_49
.LBB143_64:                             ;   in Loop: Header=BB143_40 Depth=1
	v_cmp_gt_i32_e64 s0, s23, v98
	s_wait_loadcnt 0x0
	s_delay_alu instid0(VALU_DEP_1) | instskip(SKIP_1) | instid1(VALU_DEP_1)
	v_dual_lshrrev_b32 v0, 16, v42 :: v_dual_cndmask_b32 v1, 0, v42, s0
	v_cmp_gt_i32_e64 s0, s12, v106
	v_dual_lshrrev_b32 v42, 16, v43 :: v_dual_cndmask_b32 v0, 0, v0, s0
	v_cmp_gt_i32_e64 s0, s23, v107
	s_delay_alu instid0(VALU_DEP_1) | instskip(SKIP_1) | instid1(VALU_DEP_1)
	v_cndmask_b32_e64 v43, 0, v43, s0
	v_cmp_gt_i32_e64 s0, s12, v105
	v_cndmask_b32_e64 v46, 0, v42, s0
	v_cmp_gt_i32_e64 s0, s23, v104
	v_lshrrev_b32_e32 v42, 16, v44
	s_delay_alu instid0(VALU_DEP_3) | instskip(NEXT) | instid1(VALU_DEP_3)
	v_perm_b32 v43, v46, v43, 0x5040100
	v_cndmask_b32_e64 v44, 0, v44, s0
	v_cmp_gt_i32_e64 s0, s12, v102
	s_delay_alu instid0(VALU_DEP_1) | instskip(SKIP_2) | instid1(VALU_DEP_3)
	v_dual_lshrrev_b32 v47, 16, v45 :: v_dual_cndmask_b32 v48, 0, v42, s0
	v_cmp_gt_i32_e64 s0, s23, v103
	v_perm_b32 v42, v0, v1, 0x5040100
	v_perm_b32 v44, v48, v44, 0x5040100
	s_delay_alu instid0(VALU_DEP_3) | instskip(SKIP_1) | instid1(VALU_DEP_1)
	v_cndmask_b32_e64 v45, 0, v45, s0
	v_cmp_gt_i32_e64 s0, s12, v101
	v_cndmask_b32_e64 v47, 0, v47, s0
	s_delay_alu instid0(VALU_DEP_1)
	v_perm_b32 v45, v47, v45, 0x5040100
	s_or_b32 exec_lo, exec_lo, s13
	global_load_b128 v[46:49], v[54:55], off offset:4608
	s_wait_xcnt 0x0
	s_and_saveexec_b32 s13, vcc_lo
	s_cbranch_execz .LBB143_50
.LBB143_65:                             ;   in Loop: Header=BB143_40 Depth=1
	v_cmp_gt_i32_e64 s0, s23, v98
	s_wait_loadcnt 0x0
	s_delay_alu instid0(VALU_DEP_1) | instskip(SKIP_1) | instid1(VALU_DEP_1)
	v_dual_lshrrev_b32 v0, 16, v46 :: v_dual_cndmask_b32 v1, 0, v46, s0
	v_cmp_gt_i32_e64 s0, s12, v106
	v_dual_lshrrev_b32 v46, 16, v47 :: v_dual_cndmask_b32 v0, 0, v0, s0
	v_cmp_gt_i32_e64 s0, s23, v107
	s_delay_alu instid0(VALU_DEP_1) | instskip(SKIP_1) | instid1(VALU_DEP_1)
	v_cndmask_b32_e64 v47, 0, v47, s0
	v_cmp_gt_i32_e64 s0, s12, v105
	v_cndmask_b32_e64 v50, 0, v46, s0
	v_cmp_gt_i32_e64 s0, s23, v104
	v_lshrrev_b32_e32 v46, 16, v48
	s_delay_alu instid0(VALU_DEP_3) | instskip(NEXT) | instid1(VALU_DEP_3)
	v_perm_b32 v47, v50, v47, 0x5040100
	v_cndmask_b32_e64 v48, 0, v48, s0
	v_cmp_gt_i32_e64 s0, s12, v102
	s_delay_alu instid0(VALU_DEP_1) | instskip(SKIP_2) | instid1(VALU_DEP_3)
	v_dual_lshrrev_b32 v51, 16, v49 :: v_dual_cndmask_b32 v52, 0, v46, s0
	v_cmp_gt_i32_e64 s0, s23, v103
	v_perm_b32 v46, v0, v1, 0x5040100
	v_perm_b32 v48, v52, v48, 0x5040100
	s_delay_alu instid0(VALU_DEP_3) | instskip(SKIP_1) | instid1(VALU_DEP_1)
	v_cndmask_b32_e64 v49, 0, v49, s0
	v_cmp_gt_i32_e64 s0, s12, v101
	v_cndmask_b32_e64 v51, 0, v51, s0
	s_delay_alu instid0(VALU_DEP_1)
	v_perm_b32 v49, v51, v49, 0x5040100
	s_or_b32 exec_lo, exec_lo, s13
	global_load_b128 v[50:53], v[54:55], off offset:5120
	s_wait_xcnt 0x0
	s_and_saveexec_b32 s13, vcc_lo
	s_cbranch_execz .LBB143_51
.LBB143_66:                             ;   in Loop: Header=BB143_40 Depth=1
	v_cmp_gt_i32_e64 s0, s23, v98
	s_wait_loadcnt 0x0
	s_delay_alu instid0(VALU_DEP_1) | instskip(SKIP_1) | instid1(VALU_DEP_1)
	v_dual_lshrrev_b32 v0, 16, v50 :: v_dual_cndmask_b32 v1, 0, v50, s0
	v_cmp_gt_i32_e64 s0, s12, v106
	v_dual_lshrrev_b32 v50, 16, v51 :: v_dual_cndmask_b32 v0, 0, v0, s0
	v_cmp_gt_i32_e64 s0, s23, v107
	s_delay_alu instid0(VALU_DEP_1) | instskip(SKIP_1) | instid1(VALU_DEP_1)
	v_cndmask_b32_e64 v51, 0, v51, s0
	v_cmp_gt_i32_e64 s0, s12, v105
	v_cndmask_b32_e64 v56, 0, v50, s0
	v_cmp_gt_i32_e64 s0, s23, v104
	v_lshrrev_b32_e32 v50, 16, v52
	s_delay_alu instid0(VALU_DEP_3) | instskip(NEXT) | instid1(VALU_DEP_3)
	v_perm_b32 v51, v56, v51, 0x5040100
	v_cndmask_b32_e64 v52, 0, v52, s0
	v_cmp_gt_i32_e64 s0, s12, v102
	s_delay_alu instid0(VALU_DEP_1) | instskip(SKIP_2) | instid1(VALU_DEP_3)
	v_dual_lshrrev_b32 v57, 16, v53 :: v_dual_cndmask_b32 v58, 0, v50, s0
	v_cmp_gt_i32_e64 s0, s23, v103
	v_perm_b32 v50, v0, v1, 0x5040100
	v_perm_b32 v52, v58, v52, 0x5040100
	s_delay_alu instid0(VALU_DEP_3) | instskip(SKIP_1) | instid1(VALU_DEP_1)
	v_cndmask_b32_e64 v53, 0, v53, s0
	v_cmp_gt_i32_e64 s0, s12, v101
	v_cndmask_b32_e64 v57, 0, v57, s0
	s_delay_alu instid0(VALU_DEP_1)
	v_perm_b32 v53, v57, v53, 0x5040100
	s_or_b32 exec_lo, exec_lo, s13
	global_load_b128 v[58:61], v[54:55], off offset:5632
	s_wait_xcnt 0x0
	s_and_saveexec_b32 s13, vcc_lo
	s_cbranch_execz .LBB143_52
.LBB143_67:                             ;   in Loop: Header=BB143_40 Depth=1
	v_cmp_gt_i32_e64 s0, s23, v98
	s_wait_loadcnt 0x0
	s_delay_alu instid0(VALU_DEP_1) | instskip(SKIP_1) | instid1(VALU_DEP_1)
	v_dual_lshrrev_b32 v0, 16, v58 :: v_dual_cndmask_b32 v1, 0, v58, s0
	v_cmp_gt_i32_e64 s0, s12, v106
	v_dual_lshrrev_b32 v56, 16, v59 :: v_dual_cndmask_b32 v0, 0, v0, s0
	v_cmp_gt_i32_e64 s0, s23, v107
	s_delay_alu instid0(VALU_DEP_1) | instskip(SKIP_1) | instid1(VALU_DEP_1)
	v_cndmask_b32_e64 v57, 0, v59, s0
	v_cmp_gt_i32_e64 s0, s12, v105
	v_cndmask_b32_e64 v56, 0, v56, s0
	v_cmp_gt_i32_e64 s0, s23, v104
	s_delay_alu instid0(VALU_DEP_1) | instskip(SKIP_1) | instid1(VALU_DEP_1)
	v_dual_lshrrev_b32 v58, 16, v60 :: v_dual_cndmask_b32 v60, 0, v60, s0
	v_cmp_gt_i32_e64 s0, s12, v102
	v_dual_lshrrev_b32 v59, 16, v61 :: v_dual_cndmask_b32 v62, 0, v58, s0
	v_cmp_gt_i32_e64 s0, s23, v103
	v_perm_b32 v58, v0, v1, 0x5040100
	s_delay_alu instid0(VALU_DEP_3) | instskip(NEXT) | instid1(VALU_DEP_3)
	v_perm_b32 v60, v62, v60, 0x5040100
	v_cndmask_b32_e64 v61, 0, v61, s0
	v_cmp_gt_i32_e64 s0, s12, v101
	s_delay_alu instid0(VALU_DEP_1) | instskip(SKIP_1) | instid1(VALU_DEP_2)
	v_cndmask_b32_e64 v63, 0, v59, s0
	v_perm_b32 v59, v56, v57, 0x5040100
	v_perm_b32 v61, v63, v61, 0x5040100
	s_or_b32 exec_lo, exec_lo, s13
	global_load_b128 v[62:65], v[54:55], off offset:6144
	s_wait_xcnt 0x0
	s_and_saveexec_b32 s13, vcc_lo
	s_cbranch_execz .LBB143_53
.LBB143_68:                             ;   in Loop: Header=BB143_40 Depth=1
	v_cmp_gt_i32_e64 s0, s23, v98
	s_wait_loadcnt 0x0
	s_delay_alu instid0(VALU_DEP_1) | instskip(SKIP_1) | instid1(VALU_DEP_1)
	v_dual_lshrrev_b32 v0, 16, v62 :: v_dual_cndmask_b32 v1, 0, v62, s0
	v_cmp_gt_i32_e64 s0, s12, v106
	v_dual_lshrrev_b32 v56, 16, v63 :: v_dual_cndmask_b32 v0, 0, v0, s0
	v_cmp_gt_i32_e64 s0, s23, v107
	s_delay_alu instid0(VALU_DEP_1) | instskip(SKIP_1) | instid1(VALU_DEP_1)
	v_cndmask_b32_e64 v57, 0, v63, s0
	v_cmp_gt_i32_e64 s0, s12, v105
	v_cndmask_b32_e64 v56, 0, v56, s0
	v_cmp_gt_i32_e64 s0, s23, v104
	s_delay_alu instid0(VALU_DEP_1) | instskip(SKIP_1) | instid1(VALU_DEP_1)
	v_dual_lshrrev_b32 v62, 16, v64 :: v_dual_cndmask_b32 v64, 0, v64, s0
	v_cmp_gt_i32_e64 s0, s12, v102
	v_dual_lshrrev_b32 v63, 16, v65 :: v_dual_cndmask_b32 v66, 0, v62, s0
	v_cmp_gt_i32_e64 s0, s23, v103
	v_perm_b32 v62, v0, v1, 0x5040100
	s_delay_alu instid0(VALU_DEP_3) | instskip(NEXT) | instid1(VALU_DEP_3)
	v_perm_b32 v64, v66, v64, 0x5040100
	v_cndmask_b32_e64 v65, 0, v65, s0
	v_cmp_gt_i32_e64 s0, s12, v101
	s_delay_alu instid0(VALU_DEP_1) | instskip(SKIP_1) | instid1(VALU_DEP_2)
	v_cndmask_b32_e64 v67, 0, v63, s0
	v_perm_b32 v63, v56, v57, 0x5040100
	v_perm_b32 v65, v67, v65, 0x5040100
	s_or_b32 exec_lo, exec_lo, s13
	global_load_b128 v[66:69], v[54:55], off offset:6656
	s_wait_xcnt 0x0
	s_and_saveexec_b32 s13, vcc_lo
	s_cbranch_execz .LBB143_54
.LBB143_69:                             ;   in Loop: Header=BB143_40 Depth=1
	v_cmp_gt_i32_e64 s0, s23, v98
	s_wait_loadcnt 0x0
	s_delay_alu instid0(VALU_DEP_1) | instskip(SKIP_1) | instid1(VALU_DEP_1)
	v_dual_lshrrev_b32 v0, 16, v66 :: v_dual_cndmask_b32 v1, 0, v66, s0
	v_cmp_gt_i32_e64 s0, s12, v106
	v_dual_lshrrev_b32 v56, 16, v67 :: v_dual_cndmask_b32 v0, 0, v0, s0
	v_cmp_gt_i32_e64 s0, s23, v107
	s_delay_alu instid0(VALU_DEP_1) | instskip(SKIP_1) | instid1(VALU_DEP_1)
	v_cndmask_b32_e64 v57, 0, v67, s0
	v_cmp_gt_i32_e64 s0, s12, v105
	v_cndmask_b32_e64 v56, 0, v56, s0
	v_cmp_gt_i32_e64 s0, s23, v104
	s_delay_alu instid0(VALU_DEP_1) | instskip(SKIP_1) | instid1(VALU_DEP_1)
	v_dual_lshrrev_b32 v66, 16, v68 :: v_dual_cndmask_b32 v68, 0, v68, s0
	v_cmp_gt_i32_e64 s0, s12, v102
	v_dual_lshrrev_b32 v67, 16, v69 :: v_dual_cndmask_b32 v70, 0, v66, s0
	v_cmp_gt_i32_e64 s0, s23, v103
	v_perm_b32 v66, v0, v1, 0x5040100
	s_delay_alu instid0(VALU_DEP_3) | instskip(NEXT) | instid1(VALU_DEP_3)
	v_perm_b32 v68, v70, v68, 0x5040100
	v_cndmask_b32_e64 v69, 0, v69, s0
	v_cmp_gt_i32_e64 s0, s12, v101
	s_delay_alu instid0(VALU_DEP_1) | instskip(SKIP_1) | instid1(VALU_DEP_2)
	v_cndmask_b32_e64 v71, 0, v67, s0
	v_perm_b32 v67, v56, v57, 0x5040100
	v_perm_b32 v69, v71, v69, 0x5040100
	s_or_b32 exec_lo, exec_lo, s13
	global_load_b128 v[70:73], v[54:55], off offset:7168
	s_wait_xcnt 0x0
	s_and_saveexec_b32 s13, vcc_lo
	s_cbranch_execz .LBB143_55
.LBB143_70:                             ;   in Loop: Header=BB143_40 Depth=1
	v_cmp_gt_i32_e64 s0, s23, v98
	s_wait_loadcnt 0x0
	s_delay_alu instid0(VALU_DEP_1) | instskip(SKIP_1) | instid1(VALU_DEP_1)
	v_dual_lshrrev_b32 v0, 16, v70 :: v_dual_cndmask_b32 v1, 0, v70, s0
	v_cmp_gt_i32_e64 s0, s12, v106
	v_dual_lshrrev_b32 v56, 16, v71 :: v_dual_cndmask_b32 v0, 0, v0, s0
	v_cmp_gt_i32_e64 s0, s23, v107
	s_delay_alu instid0(VALU_DEP_1) | instskip(SKIP_1) | instid1(VALU_DEP_1)
	v_cndmask_b32_e64 v57, 0, v71, s0
	v_cmp_gt_i32_e64 s0, s12, v105
	v_cndmask_b32_e64 v56, 0, v56, s0
	v_cmp_gt_i32_e64 s0, s23, v104
	s_delay_alu instid0(VALU_DEP_1) | instskip(SKIP_1) | instid1(VALU_DEP_1)
	v_dual_lshrrev_b32 v70, 16, v72 :: v_dual_cndmask_b32 v72, 0, v72, s0
	v_cmp_gt_i32_e64 s0, s12, v102
	v_dual_lshrrev_b32 v71, 16, v73 :: v_dual_cndmask_b32 v94, 0, v70, s0
	v_cmp_gt_i32_e64 s0, s23, v103
	v_perm_b32 v70, v0, v1, 0x5040100
	s_delay_alu instid0(VALU_DEP_3) | instskip(NEXT) | instid1(VALU_DEP_3)
	v_perm_b32 v72, v94, v72, 0x5040100
	v_cndmask_b32_e64 v73, 0, v73, s0
	v_cmp_gt_i32_e64 s0, s12, v101
	s_delay_alu instid0(VALU_DEP_1) | instskip(SKIP_1) | instid1(VALU_DEP_2)
	v_cndmask_b32_e64 v95, 0, v71, s0
	v_perm_b32 v71, v56, v57, 0x5040100
	v_perm_b32 v73, v95, v73, 0x5040100
	s_or_b32 exec_lo, exec_lo, s13
	global_load_b128 v[54:57], v[54:55], off offset:7680
	s_wait_xcnt 0x0
	s_and_saveexec_b32 s0, vcc_lo
	s_cbranch_execz .LBB143_39
.LBB143_71:                             ;   in Loop: Header=BB143_40 Depth=1
	v_cmp_gt_i32_e32 vcc_lo, s23, v98
	s_wait_loadcnt 0x0
	v_dual_cndmask_b32 v1, 0, v54 :: v_dual_lshrrev_b32 v0, 16, v54
	v_cmp_gt_i32_e32 vcc_lo, s12, v106
	s_delay_alu instid0(VALU_DEP_2) | instskip(SKIP_3) | instid1(VALU_DEP_4)
	v_dual_lshrrev_b32 v54, 16, v55 :: v_dual_cndmask_b32 v0, 0, v0, vcc_lo
	v_cmp_gt_i32_e32 vcc_lo, s23, v107
	v_cndmask_b32_e32 v55, 0, v55, vcc_lo
	v_cmp_gt_i32_e32 vcc_lo, s12, v105
	v_cndmask_b32_e32 v94, 0, v54, vcc_lo
	v_cmp_gt_i32_e32 vcc_lo, s23, v104
	v_lshrrev_b32_e32 v54, 16, v56
	s_delay_alu instid0(VALU_DEP_3) | instskip(SKIP_2) | instid1(VALU_DEP_4)
	v_perm_b32 v55, v94, v55, 0x5040100
	v_cndmask_b32_e32 v56, 0, v56, vcc_lo
	v_cmp_gt_i32_e32 vcc_lo, s12, v102
	v_dual_cndmask_b32 v102, 0, v54 :: v_dual_lshrrev_b32 v95, 16, v57
	v_cmp_gt_i32_e32 vcc_lo, s23, v103
	v_perm_b32 v54, v0, v1, 0x5040100
	s_delay_alu instid0(VALU_DEP_3) | instskip(SKIP_3) | instid1(VALU_DEP_1)
	v_perm_b32 v56, v102, v56, 0x5040100
	v_cndmask_b32_e32 v57, 0, v57, vcc_lo
	v_cmp_gt_i32_e32 vcc_lo, s12, v101
	v_cndmask_b32_e32 v95, 0, v95, vcc_lo
	v_perm_b32 v57, v95, v57, 0x5040100
	s_branch .LBB143_39
.LBB143_72:
	s_or_b32 exec_lo, exec_lo, s9
.LBB143_73:
	s_delay_alu instid0(SALU_CYCLE_1)
	s_or_b32 exec_lo, exec_lo, s1
	ds_bpermute_b32 v0, v97, v88
	ds_bpermute_b32 v1, v97, v89
	;; [unrolled: 1-line block ×16, first 2 shown]
	v_and_b32_e32 v24, 0x3c1, v109
	s_mov_b32 s0, exec_lo
	s_wait_dscnt 0x0
	s_barrier_signal -1
	s_barrier_wait -1
	v_pk_add_f32 v[14:15], v[88:89], v[0:1]
	v_lshrrev_b32_e32 v0, 1, v96
	v_pk_add_f32 v[12:13], v[86:87], v[2:3]
	v_pk_add_f32 v[10:11], v[84:85], v[4:5]
	;; [unrolled: 1-line block ×6, first 2 shown]
	v_cmpx_ne_u32_e32 64, v24
	s_xor_b32 s0, exec_lo, s0
	s_delay_alu instid0(SALU_CYCLE_1)
	s_or_saveexec_b32 s0, s0
	v_pk_add_f32 v[16:17], v[74:75], v[16:17]
	v_lshl_add_u32 v1, v0, 2, 0x220
	v_lshlrev_b32_e32 v18, 10, v111
	s_xor_b32 exec_lo, exec_lo, s0
	s_cbranch_execz .LBB143_75
; %bb.74:
	s_delay_alu instid0(VALU_DEP_1) | instskip(NEXT) | instid1(VALU_DEP_1)
	v_add_nc_u32_e32 v19, v1, v18
	v_add_nc_u32_e32 v20, 0xfffff800, v19
	;; [unrolled: 1-line block ×9, first 2 shown]
	ds_store_b32 v20, v14
	ds_store_b32 v21, v15
	;; [unrolled: 1-line block ×8, first 2 shown]
	v_add_nc_u32_e32 v20, 0xfffffa00, v19
	v_add_nc_u32_e32 v21, 0xfffffa40, v19
	;; [unrolled: 1-line block ×8, first 2 shown]
	ds_store_b32 v20, v6
	ds_store_b32 v21, v7
	;; [unrolled: 1-line block ×8, first 2 shown]
.LBB143_75:
	s_or_b32 exec_lo, exec_lo, s0
	v_lshlrev_b32_e32 v0, 2, v0
	v_cmp_eq_u32_e32 vcc_lo, 0, v110
	s_wait_dscnt 0x0
	s_barrier_signal -1
	s_barrier_wait -1
	v_add3_u32 v0, 0x220, v18, v0
	s_and_saveexec_b32 s0, s2
	s_cbranch_execz .LBB143_94
; %bb.76:
	s_and_saveexec_b32 s1, vcc_lo
	s_cbranch_execnz .LBB143_118
; %bb.77:
	s_or_b32 exec_lo, exec_lo, s1
	s_and_saveexec_b32 s1, vcc_lo
	s_cbranch_execnz .LBB143_119
.LBB143_78:
	s_or_b32 exec_lo, exec_lo, s1
	s_and_saveexec_b32 s1, vcc_lo
	s_cbranch_execnz .LBB143_120
.LBB143_79:
	s_or_b32 exec_lo, exec_lo, s1
	s_and_saveexec_b32 s1, vcc_lo
	s_cbranch_execnz .LBB143_121
.LBB143_80:
	s_or_b32 exec_lo, exec_lo, s1
	s_and_saveexec_b32 s1, vcc_lo
	s_cbranch_execnz .LBB143_122
.LBB143_81:
	s_or_b32 exec_lo, exec_lo, s1
	s_and_saveexec_b32 s1, vcc_lo
	s_cbranch_execnz .LBB143_123
.LBB143_82:
	s_or_b32 exec_lo, exec_lo, s1
	s_and_saveexec_b32 s1, vcc_lo
	s_cbranch_execnz .LBB143_124
.LBB143_83:
	s_or_b32 exec_lo, exec_lo, s1
	s_and_saveexec_b32 s1, vcc_lo
	s_cbranch_execnz .LBB143_125
.LBB143_84:
	s_or_b32 exec_lo, exec_lo, s1
	s_and_saveexec_b32 s1, vcc_lo
	s_cbranch_execnz .LBB143_126
.LBB143_85:
	s_or_b32 exec_lo, exec_lo, s1
	s_and_saveexec_b32 s1, vcc_lo
	s_cbranch_execnz .LBB143_127
.LBB143_86:
	s_or_b32 exec_lo, exec_lo, s1
	s_and_saveexec_b32 s1, vcc_lo
	s_cbranch_execnz .LBB143_128
.LBB143_87:
	s_or_b32 exec_lo, exec_lo, s1
	s_and_saveexec_b32 s1, vcc_lo
	s_cbranch_execnz .LBB143_129
.LBB143_88:
	s_or_b32 exec_lo, exec_lo, s1
	s_and_saveexec_b32 s1, vcc_lo
	s_cbranch_execnz .LBB143_130
.LBB143_89:
	s_or_b32 exec_lo, exec_lo, s1
	s_and_saveexec_b32 s1, vcc_lo
	s_cbranch_execnz .LBB143_131
.LBB143_90:
	s_or_b32 exec_lo, exec_lo, s1
	s_and_saveexec_b32 s1, vcc_lo
	s_cbranch_execnz .LBB143_132
.LBB143_91:
	s_or_b32 exec_lo, exec_lo, s1
	s_and_saveexec_b32 s1, vcc_lo
	s_cbranch_execz .LBB143_93
.LBB143_92:
	ds_load_b32 v18, v0 offset:960
	s_wait_dscnt 0x0
	v_add_f32_e32 v17, v17, v18
.LBB143_93:
	s_or_b32 exec_lo, exec_lo, s1
.LBB143_94:
	s_delay_alu instid0(SALU_CYCLE_1) | instskip(SKIP_4) | instid1(VALU_DEP_1)
	s_or_b32 exec_lo, exec_lo, s0
	v_and_b32_e32 v18, 0x3e1, v109
	s_mov_b32 s1, exec_lo
	s_barrier_signal -1
	s_barrier_wait -1
	v_cmpx_eq_u32_e32 32, v18
	s_cbranch_execz .LBB143_96
; %bb.95:
	ds_store_2addr_b32 v1, v14, v15 offset1:16
	ds_store_2addr_b32 v1, v12, v13 offset0:32 offset1:48
	ds_store_2addr_b32 v1, v10, v11 offset0:64 offset1:80
	;; [unrolled: 1-line block ×7, first 2 shown]
.LBB143_96:
	s_or_b32 exec_lo, exec_lo, s1
	s_delay_alu instid0(SALU_CYCLE_1)
	s_mov_b32 s1, exec_lo
	s_wait_dscnt 0x0
	s_barrier_signal -1
	s_barrier_wait -1
	v_cmpx_gt_u32_e32 32, v109
	s_cbranch_execz .LBB143_115
; %bb.97:
	s_and_saveexec_b32 s0, vcc_lo
	s_cbranch_execnz .LBB143_133
; %bb.98:
	s_or_b32 exec_lo, exec_lo, s0
	s_and_saveexec_b32 s0, vcc_lo
	s_cbranch_execnz .LBB143_134
.LBB143_99:
	s_or_b32 exec_lo, exec_lo, s0
	s_and_saveexec_b32 s0, vcc_lo
	s_cbranch_execnz .LBB143_135
.LBB143_100:
	s_or_b32 exec_lo, exec_lo, s0
	s_and_saveexec_b32 s0, vcc_lo
	s_cbranch_execnz .LBB143_136
.LBB143_101:
	s_or_b32 exec_lo, exec_lo, s0
	s_and_saveexec_b32 s0, vcc_lo
	s_cbranch_execnz .LBB143_137
.LBB143_102:
	s_or_b32 exec_lo, exec_lo, s0
	s_and_saveexec_b32 s0, vcc_lo
	s_cbranch_execnz .LBB143_138
.LBB143_103:
	s_or_b32 exec_lo, exec_lo, s0
	s_and_saveexec_b32 s0, vcc_lo
	s_cbranch_execnz .LBB143_139
.LBB143_104:
	s_or_b32 exec_lo, exec_lo, s0
	s_and_saveexec_b32 s0, vcc_lo
	s_cbranch_execnz .LBB143_140
.LBB143_105:
	s_or_b32 exec_lo, exec_lo, s0
	s_and_saveexec_b32 s0, vcc_lo
	s_cbranch_execnz .LBB143_141
.LBB143_106:
	s_or_b32 exec_lo, exec_lo, s0
	s_and_saveexec_b32 s0, vcc_lo
	s_cbranch_execnz .LBB143_142
.LBB143_107:
	s_or_b32 exec_lo, exec_lo, s0
	s_and_saveexec_b32 s0, vcc_lo
	s_cbranch_execnz .LBB143_143
.LBB143_108:
	s_or_b32 exec_lo, exec_lo, s0
	s_and_saveexec_b32 s0, vcc_lo
	s_cbranch_execnz .LBB143_144
.LBB143_109:
	s_or_b32 exec_lo, exec_lo, s0
	s_and_saveexec_b32 s0, vcc_lo
	s_cbranch_execnz .LBB143_145
.LBB143_110:
	s_or_b32 exec_lo, exec_lo, s0
	s_and_saveexec_b32 s0, vcc_lo
	s_cbranch_execnz .LBB143_146
.LBB143_111:
	s_or_b32 exec_lo, exec_lo, s0
	s_and_saveexec_b32 s0, vcc_lo
	s_cbranch_execnz .LBB143_147
.LBB143_112:
	s_or_b32 exec_lo, exec_lo, s0
	s_and_saveexec_b32 s0, vcc_lo
	s_cbranch_execz .LBB143_114
.LBB143_113:
	ds_load_b32 v0, v0 offset:960
	s_wait_dscnt 0x0
	v_add_f32_e32 v17, v17, v0
.LBB143_114:
	s_or_b32 exec_lo, exec_lo, s0
.LBB143_115:
	s_delay_alu instid0(SALU_CYCLE_1)
	s_or_b32 exec_lo, exec_lo, s1
	s_mov_b32 s1, 0
	s_barrier_signal -1
	s_barrier_wait -1
	s_mov_b32 s0, exec_lo
	v_cmpx_eq_u32_e32 0, v18
	s_cbranch_execz .LBB143_117
; %bb.116:
	s_wait_kmcnt 0x0
	s_mul_i32 s0, s22, s7
	s_mul_i32 s2, s7, s6
	;; [unrolled: 1-line block ×3, first 2 shown]
	s_lshr_b32 s6, ttmp7, 16
	s_lshl_b32 s4, s0, 8
	s_bfe_u32 s0, ttmp6, 0x40014
	s_ashr_i32 s5, s4, 31
	s_add_co_i32 s0, s0, 1
	s_ashr_i32 s3, s2, 31
	s_mul_i32 s0, s6, s0
	s_bfe_u32 s7, ttmp6, 0x40008
	s_lshl_b64 s[4:5], s[4:5], 1
	s_lshl_b64 s[2:3], s[2:3], 1
	s_add_co_i32 s7, s7, s0
	s_cmp_eq_u32 s20, 0
	s_add_nc_u64 s[4:5], s[10:11], s[4:5]
	s_cselect_b32 s0, s6, s7
	s_add_nc_u64 s[2:3], s[4:5], s[2:3]
	s_lshl_b32 s0, s0, 9
	s_delay_alu instid0(SALU_CYCLE_1) | instskip(NEXT) | instid1(SALU_CYCLE_1)
	s_add_nc_u64 s[0:1], s[2:3], s[0:1]
	v_cvt_pk_bf16_f32 v0, v14, s0
	v_cvt_pk_bf16_f32 v1, v15, s0
	;; [unrolled: 1-line block ×8, first 2 shown]
	s_clause 0x7
	global_store_b16 v108, v0, s[0:1] scale_offset
	global_store_b16 v108, v1, s[0:1] offset:32 scale_offset
	global_store_b16 v108, v12, s[0:1] offset:64 scale_offset
	;; [unrolled: 1-line block ×7, first 2 shown]
	s_wait_xcnt 0x7
	v_cvt_pk_bf16_f32 v0, v6, s0
	s_wait_xcnt 0x6
	v_cvt_pk_bf16_f32 v1, v7, s0
	v_cvt_pk_bf16_f32 v4, v4, s0
	;; [unrolled: 1-line block ×7, first 2 shown]
	s_clause 0x7
	global_store_b16 v108, v0, s[0:1] offset:256 scale_offset
	global_store_b16 v108, v1, s[0:1] offset:288 scale_offset
	;; [unrolled: 1-line block ×8, first 2 shown]
.LBB143_117:
	s_sendmsg sendmsg(MSG_DEALLOC_VGPRS)
	s_endpgm
.LBB143_118:
	ds_load_b32 v18, v0
	s_wait_dscnt 0x0
	v_add_f32_e32 v14, v14, v18
	s_or_b32 exec_lo, exec_lo, s1
	s_and_saveexec_b32 s1, vcc_lo
	s_cbranch_execz .LBB143_78
.LBB143_119:
	ds_load_b32 v18, v0 offset:64
	s_wait_dscnt 0x0
	v_add_f32_e32 v15, v15, v18
	s_or_b32 exec_lo, exec_lo, s1
	s_and_saveexec_b32 s1, vcc_lo
	s_cbranch_execz .LBB143_79
.LBB143_120:
	ds_load_b32 v18, v0 offset:128
	s_wait_dscnt 0x0
	v_add_f32_e32 v12, v12, v18
	s_or_b32 exec_lo, exec_lo, s1
	s_and_saveexec_b32 s1, vcc_lo
	s_cbranch_execz .LBB143_80
.LBB143_121:
	ds_load_b32 v18, v0 offset:192
	s_wait_dscnt 0x0
	v_add_f32_e32 v13, v13, v18
	s_or_b32 exec_lo, exec_lo, s1
	s_and_saveexec_b32 s1, vcc_lo
	s_cbranch_execz .LBB143_81
.LBB143_122:
	ds_load_b32 v18, v0 offset:256
	s_wait_dscnt 0x0
	v_add_f32_e32 v10, v10, v18
	s_or_b32 exec_lo, exec_lo, s1
	s_and_saveexec_b32 s1, vcc_lo
	s_cbranch_execz .LBB143_82
.LBB143_123:
	ds_load_b32 v18, v0 offset:320
	s_wait_dscnt 0x0
	v_add_f32_e32 v11, v11, v18
	s_or_b32 exec_lo, exec_lo, s1
	s_and_saveexec_b32 s1, vcc_lo
	s_cbranch_execz .LBB143_83
.LBB143_124:
	ds_load_b32 v18, v0 offset:384
	s_wait_dscnt 0x0
	v_add_f32_e32 v8, v8, v18
	s_or_b32 exec_lo, exec_lo, s1
	s_and_saveexec_b32 s1, vcc_lo
	s_cbranch_execz .LBB143_84
.LBB143_125:
	ds_load_b32 v18, v0 offset:448
	s_wait_dscnt 0x0
	v_add_f32_e32 v9, v9, v18
	s_or_b32 exec_lo, exec_lo, s1
	s_and_saveexec_b32 s1, vcc_lo
	s_cbranch_execz .LBB143_85
.LBB143_126:
	ds_load_b32 v18, v0 offset:512
	s_wait_dscnt 0x0
	v_add_f32_e32 v6, v6, v18
	s_or_b32 exec_lo, exec_lo, s1
	s_and_saveexec_b32 s1, vcc_lo
	s_cbranch_execz .LBB143_86
.LBB143_127:
	ds_load_b32 v18, v0 offset:576
	s_wait_dscnt 0x0
	v_add_f32_e32 v7, v7, v18
	s_or_b32 exec_lo, exec_lo, s1
	s_and_saveexec_b32 s1, vcc_lo
	s_cbranch_execz .LBB143_87
.LBB143_128:
	ds_load_b32 v18, v0 offset:640
	s_wait_dscnt 0x0
	v_add_f32_e32 v4, v4, v18
	s_or_b32 exec_lo, exec_lo, s1
	s_and_saveexec_b32 s1, vcc_lo
	s_cbranch_execz .LBB143_88
.LBB143_129:
	ds_load_b32 v18, v0 offset:704
	s_wait_dscnt 0x0
	v_add_f32_e32 v5, v5, v18
	s_or_b32 exec_lo, exec_lo, s1
	s_and_saveexec_b32 s1, vcc_lo
	s_cbranch_execz .LBB143_89
.LBB143_130:
	ds_load_b32 v18, v0 offset:768
	s_wait_dscnt 0x0
	v_add_f32_e32 v2, v2, v18
	s_or_b32 exec_lo, exec_lo, s1
	s_and_saveexec_b32 s1, vcc_lo
	s_cbranch_execz .LBB143_90
.LBB143_131:
	ds_load_b32 v18, v0 offset:832
	s_wait_dscnt 0x0
	v_add_f32_e32 v3, v3, v18
	s_or_b32 exec_lo, exec_lo, s1
	s_and_saveexec_b32 s1, vcc_lo
	s_cbranch_execz .LBB143_91
.LBB143_132:
	ds_load_b32 v18, v0 offset:896
	s_wait_dscnt 0x0
	v_add_f32_e32 v16, v16, v18
	s_or_b32 exec_lo, exec_lo, s1
	s_and_saveexec_b32 s1, vcc_lo
	s_cbranch_execnz .LBB143_92
	s_branch .LBB143_93
.LBB143_133:
	ds_load_b32 v1, v0
	s_wait_dscnt 0x0
	v_add_f32_e32 v14, v14, v1
	s_or_b32 exec_lo, exec_lo, s0
	s_and_saveexec_b32 s0, vcc_lo
	s_cbranch_execz .LBB143_99
.LBB143_134:
	ds_load_b32 v1, v0 offset:64
	s_wait_dscnt 0x0
	v_add_f32_e32 v15, v15, v1
	s_or_b32 exec_lo, exec_lo, s0
	s_and_saveexec_b32 s0, vcc_lo
	s_cbranch_execz .LBB143_100
.LBB143_135:
	ds_load_b32 v1, v0 offset:128
	s_wait_dscnt 0x0
	v_add_f32_e32 v12, v12, v1
	s_or_b32 exec_lo, exec_lo, s0
	s_and_saveexec_b32 s0, vcc_lo
	s_cbranch_execz .LBB143_101
.LBB143_136:
	ds_load_b32 v1, v0 offset:192
	s_wait_dscnt 0x0
	v_add_f32_e32 v13, v13, v1
	s_or_b32 exec_lo, exec_lo, s0
	s_and_saveexec_b32 s0, vcc_lo
	s_cbranch_execz .LBB143_102
.LBB143_137:
	ds_load_b32 v1, v0 offset:256
	s_wait_dscnt 0x0
	v_add_f32_e32 v10, v10, v1
	s_or_b32 exec_lo, exec_lo, s0
	s_and_saveexec_b32 s0, vcc_lo
	s_cbranch_execz .LBB143_103
.LBB143_138:
	ds_load_b32 v1, v0 offset:320
	s_wait_dscnt 0x0
	v_add_f32_e32 v11, v11, v1
	s_or_b32 exec_lo, exec_lo, s0
	s_and_saveexec_b32 s0, vcc_lo
	s_cbranch_execz .LBB143_104
.LBB143_139:
	ds_load_b32 v1, v0 offset:384
	s_wait_dscnt 0x0
	v_add_f32_e32 v8, v8, v1
	s_or_b32 exec_lo, exec_lo, s0
	s_and_saveexec_b32 s0, vcc_lo
	s_cbranch_execz .LBB143_105
.LBB143_140:
	ds_load_b32 v1, v0 offset:448
	s_wait_dscnt 0x0
	v_add_f32_e32 v9, v9, v1
	s_or_b32 exec_lo, exec_lo, s0
	s_and_saveexec_b32 s0, vcc_lo
	s_cbranch_execz .LBB143_106
.LBB143_141:
	ds_load_b32 v1, v0 offset:512
	s_wait_dscnt 0x0
	v_add_f32_e32 v6, v6, v1
	s_or_b32 exec_lo, exec_lo, s0
	s_and_saveexec_b32 s0, vcc_lo
	s_cbranch_execz .LBB143_107
.LBB143_142:
	ds_load_b32 v1, v0 offset:576
	s_wait_dscnt 0x0
	v_add_f32_e32 v7, v7, v1
	s_or_b32 exec_lo, exec_lo, s0
	s_and_saveexec_b32 s0, vcc_lo
	s_cbranch_execz .LBB143_108
.LBB143_143:
	ds_load_b32 v1, v0 offset:640
	s_wait_dscnt 0x0
	v_add_f32_e32 v4, v4, v1
	s_or_b32 exec_lo, exec_lo, s0
	s_and_saveexec_b32 s0, vcc_lo
	s_cbranch_execz .LBB143_109
.LBB143_144:
	ds_load_b32 v1, v0 offset:704
	s_wait_dscnt 0x0
	v_add_f32_e32 v5, v5, v1
	s_or_b32 exec_lo, exec_lo, s0
	s_and_saveexec_b32 s0, vcc_lo
	s_cbranch_execz .LBB143_110
.LBB143_145:
	ds_load_b32 v1, v0 offset:768
	s_wait_dscnt 0x0
	v_add_f32_e32 v2, v2, v1
	s_or_b32 exec_lo, exec_lo, s0
	s_and_saveexec_b32 s0, vcc_lo
	s_cbranch_execz .LBB143_111
.LBB143_146:
	ds_load_b32 v1, v0 offset:832
	s_wait_dscnt 0x0
	v_add_f32_e32 v3, v3, v1
	s_or_b32 exec_lo, exec_lo, s0
	s_and_saveexec_b32 s0, vcc_lo
	s_cbranch_execz .LBB143_112
.LBB143_147:
	ds_load_b32 v1, v0 offset:896
	s_wait_dscnt 0x0
	v_add_f32_e32 v16, v16, v1
	s_or_b32 exec_lo, exec_lo, s0
	s_and_saveexec_b32 s0, vcc_lo
	s_cbranch_execnz .LBB143_113
	s_branch .LBB143_114
	.section	.rodata,"a",@progbits
	.p2align	6, 0x0
	.amdhsa_kernel _ZN4vllm25paged_attention_v1_kernelI14__hip_bfloat16S1_Li256ELi16ELi128ELNS_18Fp8KVCacheDataTypeE0ELb0EEEvPT_PKS3_PKT0_S9_ifPKiSB_iPKfiiiSD_SD_iiiii
		.amdhsa_group_segment_fixed_size 544
		.amdhsa_private_segment_fixed_size 108
		.amdhsa_kernarg_size 384
		.amdhsa_user_sgpr_count 2
		.amdhsa_user_sgpr_dispatch_ptr 0
		.amdhsa_user_sgpr_queue_ptr 0
		.amdhsa_user_sgpr_kernarg_segment_ptr 1
		.amdhsa_user_sgpr_dispatch_id 0
		.amdhsa_user_sgpr_kernarg_preload_length 0
		.amdhsa_user_sgpr_kernarg_preload_offset 0
		.amdhsa_user_sgpr_private_segment_size 0
		.amdhsa_wavefront_size32 1
		.amdhsa_uses_dynamic_stack 0
		.amdhsa_enable_private_segment 1
		.amdhsa_system_sgpr_workgroup_id_x 1
		.amdhsa_system_sgpr_workgroup_id_y 1
		.amdhsa_system_sgpr_workgroup_id_z 1
		.amdhsa_system_sgpr_workgroup_info 0
		.amdhsa_system_vgpr_workitem_id 0
		.amdhsa_next_free_vgpr 128
		.amdhsa_next_free_sgpr 28
		.amdhsa_named_barrier_count 0
		.amdhsa_reserve_vcc 1
		.amdhsa_float_round_mode_32 0
		.amdhsa_float_round_mode_16_64 0
		.amdhsa_float_denorm_mode_32 3
		.amdhsa_float_denorm_mode_16_64 3
		.amdhsa_fp16_overflow 0
		.amdhsa_memory_ordered 1
		.amdhsa_forward_progress 1
		.amdhsa_inst_pref_size 119
		.amdhsa_round_robin_scheduling 0
		.amdhsa_exception_fp_ieee_invalid_op 0
		.amdhsa_exception_fp_denorm_src 0
		.amdhsa_exception_fp_ieee_div_zero 0
		.amdhsa_exception_fp_ieee_overflow 0
		.amdhsa_exception_fp_ieee_underflow 0
		.amdhsa_exception_fp_ieee_inexact 0
		.amdhsa_exception_int_div_zero 0
	.end_amdhsa_kernel
	.section	.text._ZN4vllm25paged_attention_v1_kernelI14__hip_bfloat16S1_Li256ELi16ELi128ELNS_18Fp8KVCacheDataTypeE0ELb0EEEvPT_PKS3_PKT0_S9_ifPKiSB_iPKfiiiSD_SD_iiiii,"axG",@progbits,_ZN4vllm25paged_attention_v1_kernelI14__hip_bfloat16S1_Li256ELi16ELi128ELNS_18Fp8KVCacheDataTypeE0ELb0EEEvPT_PKS3_PKT0_S9_ifPKiSB_iPKfiiiSD_SD_iiiii,comdat
.Lfunc_end143:
	.size	_ZN4vllm25paged_attention_v1_kernelI14__hip_bfloat16S1_Li256ELi16ELi128ELNS_18Fp8KVCacheDataTypeE0ELb0EEEvPT_PKS3_PKT0_S9_ifPKiSB_iPKfiiiSD_SD_iiiii, .Lfunc_end143-_ZN4vllm25paged_attention_v1_kernelI14__hip_bfloat16S1_Li256ELi16ELi128ELNS_18Fp8KVCacheDataTypeE0ELb0EEEvPT_PKS3_PKT0_S9_ifPKiSB_iPKfiiiSD_SD_iiiii
                                        ; -- End function
	.set _ZN4vllm25paged_attention_v1_kernelI14__hip_bfloat16S1_Li256ELi16ELi128ELNS_18Fp8KVCacheDataTypeE0ELb0EEEvPT_PKS3_PKT0_S9_ifPKiSB_iPKfiiiSD_SD_iiiii.num_vgpr, 128
	.set _ZN4vllm25paged_attention_v1_kernelI14__hip_bfloat16S1_Li256ELi16ELi128ELNS_18Fp8KVCacheDataTypeE0ELb0EEEvPT_PKS3_PKT0_S9_ifPKiSB_iPKfiiiSD_SD_iiiii.num_agpr, 0
	.set _ZN4vllm25paged_attention_v1_kernelI14__hip_bfloat16S1_Li256ELi16ELi128ELNS_18Fp8KVCacheDataTypeE0ELb0EEEvPT_PKS3_PKT0_S9_ifPKiSB_iPKfiiiSD_SD_iiiii.numbered_sgpr, 28
	.set _ZN4vllm25paged_attention_v1_kernelI14__hip_bfloat16S1_Li256ELi16ELi128ELNS_18Fp8KVCacheDataTypeE0ELb0EEEvPT_PKS3_PKT0_S9_ifPKiSB_iPKfiiiSD_SD_iiiii.num_named_barrier, 0
	.set _ZN4vllm25paged_attention_v1_kernelI14__hip_bfloat16S1_Li256ELi16ELi128ELNS_18Fp8KVCacheDataTypeE0ELb0EEEvPT_PKS3_PKT0_S9_ifPKiSB_iPKfiiiSD_SD_iiiii.private_seg_size, 108
	.set _ZN4vllm25paged_attention_v1_kernelI14__hip_bfloat16S1_Li256ELi16ELi128ELNS_18Fp8KVCacheDataTypeE0ELb0EEEvPT_PKS3_PKT0_S9_ifPKiSB_iPKfiiiSD_SD_iiiii.uses_vcc, 1
	.set _ZN4vllm25paged_attention_v1_kernelI14__hip_bfloat16S1_Li256ELi16ELi128ELNS_18Fp8KVCacheDataTypeE0ELb0EEEvPT_PKS3_PKT0_S9_ifPKiSB_iPKfiiiSD_SD_iiiii.uses_flat_scratch, 1
	.set _ZN4vllm25paged_attention_v1_kernelI14__hip_bfloat16S1_Li256ELi16ELi128ELNS_18Fp8KVCacheDataTypeE0ELb0EEEvPT_PKS3_PKT0_S9_ifPKiSB_iPKfiiiSD_SD_iiiii.has_dyn_sized_stack, 0
	.set _ZN4vllm25paged_attention_v1_kernelI14__hip_bfloat16S1_Li256ELi16ELi128ELNS_18Fp8KVCacheDataTypeE0ELb0EEEvPT_PKS3_PKT0_S9_ifPKiSB_iPKfiiiSD_SD_iiiii.has_recursion, 0
	.set _ZN4vllm25paged_attention_v1_kernelI14__hip_bfloat16S1_Li256ELi16ELi128ELNS_18Fp8KVCacheDataTypeE0ELb0EEEvPT_PKS3_PKT0_S9_ifPKiSB_iPKfiiiSD_SD_iiiii.has_indirect_call, 0
	.section	.AMDGPU.csdata,"",@progbits
; Kernel info:
; codeLenInByte = 15200
; TotalNumSgprs: 30
; NumVgprs: 128
; ScratchSize: 108
; MemoryBound: 0
; FloatMode: 240
; IeeeMode: 1
; LDSByteSize: 544 bytes/workgroup (compile time only)
; SGPRBlocks: 0
; VGPRBlocks: 7
; NumSGPRsForWavesPerEU: 30
; NumVGPRsForWavesPerEU: 128
; NamedBarCnt: 0
; Occupancy: 8
; WaveLimiterHint : 1
; COMPUTE_PGM_RSRC2:SCRATCH_EN: 1
; COMPUTE_PGM_RSRC2:USER_SGPR: 2
; COMPUTE_PGM_RSRC2:TRAP_HANDLER: 0
; COMPUTE_PGM_RSRC2:TGID_X_EN: 1
; COMPUTE_PGM_RSRC2:TGID_Y_EN: 1
; COMPUTE_PGM_RSRC2:TGID_Z_EN: 1
; COMPUTE_PGM_RSRC2:TIDIG_COMP_CNT: 0
	.section	.text._ZN4vllm25paged_attention_v1_kernelI14__hip_bfloat16S1_Li32ELi32ELi128ELNS_18Fp8KVCacheDataTypeE0ELb1EEEvPT_PKS3_PKT0_S9_ifPKiSB_iPKfiiiSD_SD_iiiii,"axG",@progbits,_ZN4vllm25paged_attention_v1_kernelI14__hip_bfloat16S1_Li32ELi32ELi128ELNS_18Fp8KVCacheDataTypeE0ELb1EEEvPT_PKS3_PKT0_S9_ifPKiSB_iPKfiiiSD_SD_iiiii,comdat
	.protected	_ZN4vllm25paged_attention_v1_kernelI14__hip_bfloat16S1_Li32ELi32ELi128ELNS_18Fp8KVCacheDataTypeE0ELb1EEEvPT_PKS3_PKT0_S9_ifPKiSB_iPKfiiiSD_SD_iiiii ; -- Begin function _ZN4vllm25paged_attention_v1_kernelI14__hip_bfloat16S1_Li32ELi32ELi128ELNS_18Fp8KVCacheDataTypeE0ELb1EEEvPT_PKS3_PKT0_S9_ifPKiSB_iPKfiiiSD_SD_iiiii
	.globl	_ZN4vllm25paged_attention_v1_kernelI14__hip_bfloat16S1_Li32ELi32ELi128ELNS_18Fp8KVCacheDataTypeE0ELb1EEEvPT_PKS3_PKT0_S9_ifPKiSB_iPKfiiiSD_SD_iiiii
	.p2align	8
	.type	_ZN4vllm25paged_attention_v1_kernelI14__hip_bfloat16S1_Li32ELi32ELi128ELNS_18Fp8KVCacheDataTypeE0ELb1EEEvPT_PKS3_PKT0_S9_ifPKiSB_iPKfiiiSD_SD_iiiii,@function
_ZN4vllm25paged_attention_v1_kernelI14__hip_bfloat16S1_Li32ELi32ELi128ELNS_18Fp8KVCacheDataTypeE0ELb1EEEvPT_PKS3_PKT0_S9_ifPKiSB_iPKfiiiSD_SD_iiiii: ; @_ZN4vllm25paged_attention_v1_kernelI14__hip_bfloat16S1_Li32ELi32ELi128ELNS_18Fp8KVCacheDataTypeE0ELb1EEEvPT_PKS3_PKT0_S9_ifPKiSB_iPKfiiiSD_SD_iiiii
; %bb.0:
	s_load_b64 s[22:23], s[0:1], 0x20
	s_bfe_u32 s3, ttmp6, 0x4000c
	s_bfe_u32 s4, ttmp6, 0x40010
	s_and_b32 s6, ttmp7, 0xffff
	s_add_co_i32 s3, s3, 1
	s_add_co_i32 s4, s4, 1
	s_and_b32 s2, ttmp6, 15
	s_bfe_u32 s5, ttmp6, 0x40004
	s_mul_i32 s3, ttmp9, s3
	s_mul_i32 s4, s6, s4
	s_getreg_b32 s26, hwreg(HW_REG_IB_STS2, 6, 4)
	s_add_co_i32 s2, s2, s3
	s_add_co_i32 s3, s5, s4
	s_cmp_eq_u32 s26, 0
	s_clause 0x1
	s_load_b32 s27, s[0:1], 0x80
	s_load_b64 s[4:5], s[0:1], 0x30
	s_cselect_b32 s28, s6, s3
	s_cselect_b32 s2, ttmp9, s2
	s_mov_b32 s15, 0
	s_delay_alu instid0(SALU_CYCLE_1) | instskip(SKIP_2) | instid1(SALU_CYCLE_1)
	s_mov_b32 s34, s15
	s_wait_kmcnt 0x0
	s_abs_i32 s3, s22
	s_cvt_f32_u32 s6, s3
	s_sub_co_i32 s7, 0, s3
	s_delay_alu instid0(SALU_CYCLE_2) | instskip(SKIP_2) | instid1(TRANS32_DEP_1)
	v_rcp_iflag_f32_e32 v1, s6
	s_abs_i32 s8, s27
	v_nop
	v_readfirstlane_b32 s6, v1
	s_mul_f32 s6, s6, 0x4f7ffffe
	s_delay_alu instid0(SALU_CYCLE_3) | instskip(NEXT) | instid1(SALU_CYCLE_3)
	s_cvt_u32_f32 s6, s6
	s_mul_i32 s7, s7, s6
	s_delay_alu instid0(SALU_CYCLE_1) | instskip(NEXT) | instid1(SALU_CYCLE_1)
	s_mul_hi_u32 s7, s6, s7
	s_add_co_i32 s6, s6, s7
	s_xor_b32 s7, s27, s22
	s_mul_hi_u32 s6, s8, s6
	s_ashr_i32 s7, s7, 31
	s_mul_i32 s9, s6, s3
	s_delay_alu instid0(SALU_CYCLE_1)
	s_sub_co_i32 s8, s8, s9
	s_add_co_i32 s9, s6, 1
	s_sub_co_i32 s10, s8, s3
	s_cmp_ge_u32 s8, s3
	s_cselect_b32 s6, s9, s6
	s_cselect_b32 s8, s10, s8
	s_add_co_i32 s9, s6, 1
	s_cmp_ge_u32 s8, s3
	s_cselect_b32 s3, s9, s6
	s_load_b64 s[8:9], s[0:1], 0x40
	s_xor_b32 s3, s3, s7
	s_abs_i32 s14, s2
	s_sub_co_i32 s12, s3, s7
	s_mov_b32 s7, s15
	s_abs_i32 s11, s12
	s_delay_alu instid0(SALU_CYCLE_1) | instskip(SKIP_1) | instid1(SALU_CYCLE_2)
	s_cvt_f32_u32 s3, s11
	s_sub_co_i32 s6, 0, s11
	v_rcp_iflag_f32_e32 v1, s3
	v_nop
	s_delay_alu instid0(TRANS32_DEP_1) | instskip(SKIP_1) | instid1(SALU_CYCLE_3)
	v_readfirstlane_b32 s3, v1
	s_mul_f32 s3, s3, 0x4f7ffffe
	s_cvt_u32_f32 s3, s3
	s_delay_alu instid0(SALU_CYCLE_3) | instskip(NEXT) | instid1(SALU_CYCLE_1)
	s_mul_i32 s6, s6, s3
	s_mul_hi_u32 s6, s3, s6
	s_delay_alu instid0(SALU_CYCLE_1)
	s_add_co_i32 s6, s3, s6
	s_wait_kmcnt 0x0
	s_cmp_eq_u64 s[8:9], 0
	s_cbranch_scc1 .LBB144_2
; %bb.1:
	s_ashr_i32 s3, s2, 31
	s_delay_alu instid0(SALU_CYCLE_1) | instskip(NEXT) | instid1(SALU_CYCLE_1)
	s_lshl_b64 s[16:17], s[2:3], 2
	s_add_nc_u64 s[8:9], s[8:9], s[16:17]
	s_load_b32 s34, s[8:9], 0x0
.LBB144_2:
	s_load_b32 s29, s[4:5], s28 offset:0x0 scale_offset
	s_wait_xcnt 0x0
	s_load_b96 s[8:10], s[0:1], 0x48
	v_lshlrev_b32_e32 v27, 4, v0
	s_ashr_i32 s3, s2, 31
	s_ashr_i32 s18, s12, 31
	s_mul_u64 s[16:17], s[14:15], s[6:7]
	s_lshl_b32 s12, s2, 5
	s_mov_b32 s4, exec_lo
	v_cmpx_gt_u32_e32 4, v0
	s_cbranch_execz .LBB144_4
; %bb.3:
	s_load_b64 s[6:7], s[0:1], 0x8
	s_wait_kmcnt 0x0
	s_mul_i32 s20, s8, s28
	s_ashr_i32 s13, s12, 31
	s_ashr_i32 s21, s20, 31
	s_delay_alu instid0(SALU_CYCLE_1) | instskip(NEXT) | instid1(SALU_CYCLE_1)
	s_lshl_b64 s[20:21], s[20:21], 1
	s_add_nc_u64 s[6:7], s[6:7], s[20:21]
	s_lshl_b64 s[20:21], s[12:13], 1
	s_delay_alu instid0(SALU_CYCLE_1)
	s_add_nc_u64 s[6:7], s[6:7], s[20:21]
	global_load_b128 v[2:5], v0, s[6:7] scale_offset
	s_wait_loadcnt 0x0
	ds_store_b128 v27, v[2:5]
.LBB144_4:
	s_or_b32 exec_lo, exec_lo, s4
	s_load_b128 s[4:7], s[0:1], 0x68
	s_wait_kmcnt 0x0
	s_mul_i32 s8, s17, s11
	s_xor_b32 s3, s3, s18
	s_sub_co_i32 s8, s14, s8
	s_add_co_i32 s13, s17, 1
	s_sub_co_i32 s14, s8, s11
	s_cmp_ge_u32 s8, s11
	s_mov_b32 s19, -1
	s_cselect_b32 s13, s13, s17
	s_cselect_b32 s8, s14, s8
	s_add_co_i32 s14, s13, 1
	s_cmp_ge_u32 s8, s11
	s_load_b32 s11, s[0:1], 0x78
	s_cselect_b32 s13, s14, s13
	s_add_co_i32 s18, s29, -1
	s_xor_b32 s13, s13, s3
	s_mov_b32 s17, 0
	s_sub_co_i32 s3, s13, s3
	s_abs_i32 s16, s18
	s_mov_b32 s15, s17
	s_abs_i32 s8, s7
	s_wait_dscnt 0x0
	s_cvt_f32_u32 s14, s8
	s_barrier_signal -1
	s_barrier_wait -1
	s_delay_alu instid0(SALU_CYCLE_1) | instskip(SKIP_1) | instid1(TRANS32_DEP_1)
	v_rcp_iflag_f32_e32 v1, s14
	v_nop
	v_readfirstlane_b32 s14, v1
	s_mul_f32 s13, s14, 0x4f7ffffe
	s_sub_co_i32 s14, 0, s8
	s_delay_alu instid0(SALU_CYCLE_2) | instskip(NEXT) | instid1(SALU_CYCLE_3)
	s_cvt_u32_f32 s13, s13
	s_mul_i32 s14, s14, s13
	s_delay_alu instid0(SALU_CYCLE_1) | instskip(NEXT) | instid1(SALU_CYCLE_1)
	s_mul_hi_u32 s14, s13, s14
	s_add_co_i32 s14, s13, s14
	s_wait_kmcnt 0x0
	s_cmp_lt_i32 s11, 0
                                        ; implicit-def: $sgpr13
	s_cbranch_scc0 .LBB144_6
; %bb.5:
	s_mul_i32 s13, s4, s22
	s_mov_b32 s19, s17
	s_add_co_i32 s13, s3, s13
	s_delay_alu instid0(SALU_CYCLE_1) | instskip(NEXT) | instid1(SALU_CYCLE_1)
	s_mul_i32 s13, s13, s11
	s_sub_co_i32 s13, 1, s13
.LBB144_6:
	s_ashr_i32 s18, s18, 31
	s_ashr_i32 s30, s7, 31
	s_and_not1_b32 vcc_lo, exec_lo, s19
	s_mul_u64 s[20:21], s[16:17], s[14:15]
	s_cbranch_vccnz .LBB144_8
; %bb.7:
	s_mul_i32 s4, s27, s4
	s_delay_alu instid0(SALU_CYCLE_1) | instskip(NEXT) | instid1(SALU_CYCLE_1)
	s_add_co_i32 s2, s4, s2
	s_mul_i32 s2, s2, s11
	s_delay_alu instid0(SALU_CYCLE_1)
	s_add_co_i32 s13, s2, 1
.LBB144_8:
	s_load_b32 s2, s[0:1], 0x38
	s_mul_i32 s7, s21, s8
	s_xor_b32 s4, s18, s30
	s_sub_co_i32 s20, s16, s7
	s_add_co_i32 s11, s21, 1
	s_clause 0x1
	s_load_b64 s[16:17], s[0:1], 0x28
	s_load_b32 s7, s[0:1], 0x88
	v_dual_lshrrev_b32 v1, 5, v0 :: v_dual_bitop2_b32 v42, 31, v0 bitop3:0x40
	v_mov_b32_e32 v45, 0xff7fffff
	s_delay_alu instid0(VALU_DEP_2) | instskip(NEXT) | instid1(VALU_DEP_3)
	v_dual_lshrrev_b32 v43, 3, v0 :: v_dual_lshlrev_b32 v26, 5, v1
	v_lshlrev_b32_e32 v44, 2, v42
	s_wait_kmcnt 0x0
	s_mul_i32 s18, s2, s28
	s_sub_co_i32 s2, s20, s8
	s_ashr_i32 s19, s18, 31
	s_cmp_ge_u32 s20, s8
	s_cselect_b32 s11, s11, s21
	s_cselect_b32 s2, s2, s20
	s_add_co_i32 s20, s11, 1
	s_cmp_ge_u32 s2, s8
	s_cselect_b32 s2, s20, s11
	s_add_co_i32 s11, s29, 31
	s_delay_alu instid0(SALU_CYCLE_1) | instskip(NEXT) | instid1(SALU_CYCLE_1)
	s_ashr_i32 s20, s11, 31
	s_lshr_b32 s20, s20, 27
	s_delay_alu instid0(SALU_CYCLE_1)
	s_add_co_i32 s11, s11, s20
	s_mul_i32 s20, s3, s10
	s_ashr_i32 s31, s11, 5
	s_xor_b32 s11, s2, s4
	v_cmp_gt_i32_e64 s2, s31, v1
	s_sub_co_i32 s33, s11, s4
	s_and_saveexec_b32 s22, s2
	s_cbranch_execz .LBB144_16
; %bb.9:
	s_load_b64 s[24:25], s[0:1], 0x10
	s_ashr_i32 s21, s20, 31
	s_sub_co_i32 s35, s33, s5
	s_ashr_i32 s11, s9, 31
	s_lshl_b64 s[36:37], s[20:21], 1
	s_cmp_neq_f32 s34, 0
	v_dual_mov_b32 v3, 0 :: v_dual_lshlrev_b32 v2, 4, v42
	ds_load_b128 v[28:31], v3
	ds_load_b128 v[32:35], v3 offset:16
	ds_load_b128 v[36:39], v3 offset:32
	s_cselect_b32 vcc_lo, -1, 0
	s_abs_i32 s21, s6
	ds_load_b128 v[46:49], v3 offset:48
	s_cvt_f32_u32 s3, s21
	v_subrev_nc_u32_e32 v45, s29, v42
	s_sub_co_i32 s4, 0, s21
	s_mov_b32 s10, s9
	s_wait_kmcnt 0x0
	s_add_nc_u64 s[24:25], s[24:25], s[36:37]
	s_delay_alu instid0(SALU_CYCLE_1) | instskip(SKIP_2) | instid1(SALU_CYCLE_1)
	v_add_nc_u64_e32 v[4:5], s[24:25], v[2:3]
	v_rcp_iflag_f32_e32 v2, s3
	s_lshl_b64 s[24:25], s[18:19], 2
	s_add_nc_u64 s[24:25], s[16:17], s[24:25]
	s_wait_dscnt 0x3
	v_and_b32_e32 v7, 0xffff0000, v28
	s_delay_alu instid0(TRANS32_DEP_1)
	v_readfirstlane_b32 s3, v2
	v_and_b32_e32 v2, 0x7c, v43
	v_dual_lshlrev_b32 v6, 16, v28 :: v_dual_lshlrev_b32 v12, 16, v29
	s_wait_dscnt 0x2
	v_and_b32_e32 v9, 0xffff0000, v32
	s_mul_f32 s3, s3, 0x4f7ffffe
	v_dual_lshlrev_b32 v8, 16, v32 :: v_dual_lshlrev_b32 v14, 16, v33
	v_and_b32_e32 v13, 0xffff0000, v29
	v_and_b32_e32 v21, 0xffff0000, v34
	v_dual_lshlrev_b32 v20, 16, v34 :: v_dual_lshlrev_b32 v28, 16, v35
	v_and_b32_e32 v29, 0xffff0000, v35
	s_wait_dscnt 0x0
	v_dual_lshlrev_b32 v32, 16, v46 :: v_dual_lshlrev_b32 v34, 16, v47
	v_and_b32_e32 v35, 0xffff0000, v47
	s_cvt_u32_f32 s3, s3
	v_lshl_or_b32 v47, v1, 7, v44
	v_add_nc_u64_e32 v[40:41], s[24:25], v[2:3]
	v_and_b32_e32 v11, 0xffff0000, v36
	s_mul_i32 s4, s4, s3
	v_dual_lshlrev_b32 v10, 16, v36 :: v_dual_lshlrev_b32 v16, 16, v37
	v_and_b32_e32 v15, 0xffff0000, v33
	v_and_b32_e32 v17, 0xffff0000, v37
	;; [unrolled: 1-line block ×3, first 2 shown]
	v_dual_lshlrev_b32 v18, 16, v30 :: v_dual_lshlrev_b32 v24, 16, v31
	v_and_b32_e32 v23, 0xffff0000, v38
	v_dual_lshlrev_b32 v22, 16, v38 :: v_dual_lshlrev_b32 v30, 16, v39
	v_and_b32_e32 v25, 0xffff0000, v31
	v_and_b32_e32 v31, 0xffff0000, v39
	;; [unrolled: 1-line block ×4, first 2 shown]
	v_dual_lshlrev_b32 v36, 16, v48 :: v_dual_lshlrev_b32 v38, 16, v49
	v_and_b32_e32 v39, 0xffff0000, v49
	v_lshlrev_b32_e32 v2, 5, v1
	v_dual_mov_b32 v49, v1 :: v_dual_add_nc_u32 v46, 1, v45
	v_add_nc_u32_e32 v47, 0x60, v47
	v_dual_mov_b32 v48, 0xff7fffff :: v_dual_mov_b32 v45, 0xff7fffff
	s_mul_hi_u32 s4, s3, s4
	s_mov_b32 s25, 0
	s_add_co_i32 s24, s3, s4
	s_mov_b32 s36, s25
	s_branch .LBB144_11
.LBB144_10:                             ;   in Loop: Header=BB144_11 Depth=1
	s_or_b32 exec_lo, exec_lo, s4
	v_add_nc_u32_e32 v49, 4, v49
	v_add_nc_u64_e32 v[40:41], 16, v[40:41]
	v_add_nc_u32_e32 v2, 0x80, v2
	v_add_nc_u32_e32 v47, 0x200, v47
	s_delay_alu instid0(VALU_DEP_4) | instskip(SKIP_1) | instid1(SALU_CYCLE_1)
	v_cmp_le_i32_e64 s3, s31, v49
	s_or_b32 s36, s3, s36
	s_and_not1_b32 exec_lo, exec_lo, s36
	s_cbranch_execz .LBB144_15
.LBB144_11:                             ; =>This Inner Loop Header: Depth=1
	v_mul_u64_e32 v[50:51], s[14:15], v[2:3]
	s_delay_alu instid0(VALU_DEP_1) | instskip(NEXT) | instid1(VALU_DEP_1)
	v_mul_lo_u32 v50, v51, s8
	v_dual_add_nc_u32 v52, 1, v51 :: v_dual_sub_nc_u32 v50, v2, v50
	s_delay_alu instid0(VALU_DEP_1) | instskip(SKIP_1) | instid1(VALU_DEP_1)
	v_subrev_nc_u32_e32 v53, s8, v50
	v_cmp_le_u32_e64 s3, s8, v50
	v_dual_cndmask_b32 v51, v51, v52, s3 :: v_dual_cndmask_b32 v50, v50, v53, s3
	s_delay_alu instid0(VALU_DEP_1) | instskip(NEXT) | instid1(VALU_DEP_2)
	v_add_nc_u32_e32 v52, 1, v51
	v_cmp_le_u32_e64 s3, s8, v50
	s_delay_alu instid0(VALU_DEP_1) | instskip(NEXT) | instid1(VALU_DEP_1)
	v_cndmask_b32_e64 v50, v51, v52, s3
	v_dual_mov_b32 v51, v3 :: v_dual_bitop2_b32 v50, s30, v50 bitop3:0x14
	s_delay_alu instid0(VALU_DEP_1) | instskip(NEXT) | instid1(VALU_DEP_1)
	v_subrev_nc_u32_e32 v54, s30, v50
	v_add_nc_u32_e32 v55, s13, v54
	v_cmp_ge_i32_e64 s4, s35, v54
	s_delay_alu instid0(VALU_DEP_2) | instskip(NEXT) | instid1(VALU_DEP_1)
	v_sub_nc_u32_e32 v50, 0, v55
	v_max_i32_e32 v50, v55, v50
	s_delay_alu instid0(VALU_DEP_1) | instskip(SKIP_1) | instid1(VALU_DEP_2)
	v_mul_u64_e32 v[52:53], s[24:25], v[50:51]
	v_ashrrev_i32_e32 v52, 31, v55
	v_mul_lo_u32 v51, v53, s21
	s_delay_alu instid0(VALU_DEP_1) | instskip(NEXT) | instid1(VALU_DEP_1)
	v_sub_nc_u32_e32 v50, v50, v51
	v_subrev_nc_u32_e32 v51, s21, v50
	v_cmp_le_u32_e64 s3, s21, v50
	s_delay_alu instid0(VALU_DEP_1) | instskip(NEXT) | instid1(VALU_DEP_1)
	v_cndmask_b32_e64 v50, v50, v51, s3
	v_subrev_nc_u32_e32 v51, s21, v50
	v_cmp_le_u32_e64 s3, s21, v50
	s_delay_alu instid0(VALU_DEP_1) | instskip(NEXT) | instid1(VALU_DEP_1)
	v_cndmask_b32_e64 v50, v50, v51, s3
	v_xor_b32_e32 v50, v50, v52
	s_delay_alu instid0(VALU_DEP_1) | instskip(NEXT) | instid1(VALU_DEP_1)
	v_sub_nc_u32_e32 v50, v50, v52
	v_cmp_ne_u32_e64 s3, 0, v50
	s_and_b32 s3, s3, s4
	s_delay_alu instid0(SALU_CYCLE_1) | instskip(NEXT) | instid1(SALU_CYCLE_1)
	s_and_saveexec_b32 s4, s3
	s_xor_b32 s3, exec_lo, s4
; %bb.12:                               ;   in Loop: Header=BB144_11 Depth=1
	ds_store_b32 v47, v48
; %bb.13:                               ;   in Loop: Header=BB144_11 Depth=1
	s_and_not1_saveexec_b32 s4, s3
	s_cbranch_execz .LBB144_10
; %bb.14:                               ;   in Loop: Header=BB144_11 Depth=1
	global_load_b32 v50, v[40:41], off
	s_wait_loadcnt 0x0
	v_ashrrev_i32_e32 v51, 31, v50
	s_delay_alu instid0(VALU_DEP_1) | instskip(NEXT) | instid1(VALU_DEP_1)
	v_mul_u64_e32 v[50:51], s[10:11], v[50:51]
	v_lshl_add_u64 v[62:63], v[50:51], 1, v[4:5]
	s_clause 0x3
	global_load_b128 v[50:53], v[62:63], off
	global_load_b128 v[54:57], v[62:63], off offset:512
	global_load_b128 v[58:61], v[62:63], off offset:1024
	;; [unrolled: 1-line block ×3, first 2 shown]
	s_wait_loadcnt 0x3
	v_and_b32_e32 v67, 0xffff0000, v50
	v_lshlrev_b32_e32 v66, 16, v50
	v_and_b32_e32 v69, 0xffff0000, v51
	v_dual_lshlrev_b32 v68, 16, v51 :: v_dual_lshlrev_b32 v50, 16, v52
	v_and_b32_e32 v51, 0xffff0000, v52
	v_and_b32_e32 v71, 0xffff0000, v53
	s_wait_loadcnt 0x2
	v_dual_lshlrev_b32 v70, 16, v53 :: v_dual_lshlrev_b32 v52, 16, v54
	v_and_b32_e32 v53, 0xffff0000, v54
	v_and_b32_e32 v73, 0xffff0000, v55
	v_dual_lshlrev_b32 v72, 16, v55 :: v_dual_lshlrev_b32 v54, 16, v56
	v_and_b32_e32 v55, 0xffff0000, v56
	s_delay_alu instid0(VALU_DEP_4)
	v_pk_mul_f32 v[52:53], v[8:9], v[52:53]
	v_and_b32_e32 v75, 0xffff0000, v57
	s_wait_loadcnt 0x1
	v_dual_lshlrev_b32 v74, 16, v57 :: v_dual_lshlrev_b32 v56, 16, v58
	v_and_b32_e32 v57, 0xffff0000, v58
	v_pk_mul_f32 v[72:73], v[14:15], v[72:73]
	v_pk_fma_f32 v[52:53], v[6:7], v[66:67], v[52:53]
	v_and_b32_e32 v77, 0xffff0000, v59
	s_wait_loadcnt 0x0
	v_dual_lshlrev_b32 v76, 16, v59 :: v_dual_lshlrev_b32 v58, 16, v62
	v_and_b32_e32 v59, 0xffff0000, v62
	v_pk_fma_f32 v[66:67], v[12:13], v[68:69], v[72:73]
	v_pk_fma_f32 v[52:53], v[10:11], v[56:57], v[52:53]
	v_and_b32_e32 v57, 0xffff0000, v63
	v_lshlrev_b32_e32 v56, 16, v63
	v_pk_mul_f32 v[54:55], v[20:21], v[54:55]
	v_pk_fma_f32 v[62:63], v[16:17], v[76:77], v[66:67]
	v_pk_fma_f32 v[52:53], v[32:33], v[58:59], v[52:53]
	v_and_b32_e32 v59, 0xffff0000, v60
	v_lshlrev_b32_e32 v58, 16, v60
	v_pk_fma_f32 v[50:51], v[18:19], v[50:51], v[54:55]
	v_pk_fma_f32 v[54:55], v[34:35], v[56:57], v[62:63]
	v_dual_add_f32 v60, v52, v53 :: v_dual_lshlrev_b32 v52, 16, v64
	v_and_b32_e32 v53, 0xffff0000, v64
	v_pk_mul_f32 v[56:57], v[28:29], v[74:75]
	v_pk_fma_f32 v[50:51], v[22:23], v[58:59], v[50:51]
	s_delay_alu instid0(VALU_DEP_4) | instskip(SKIP_1) | instid1(VALU_DEP_4)
	v_dual_add_f32 v54, v60, v54 :: v_dual_lshlrev_b32 v58, 16, v61
	v_and_b32_e32 v59, 0xffff0000, v61
	v_pk_fma_f32 v[56:57], v[24:25], v[70:71], v[56:57]
	s_delay_alu instid0(VALU_DEP_4) | instskip(NEXT) | instid1(VALU_DEP_4)
	v_pk_fma_f32 v[50:51], v[36:37], v[52:53], v[50:51]
	v_dual_add_f32 v60, v55, v54 :: v_dual_lshlrev_b32 v52, 16, v65
	v_add_nc_u32_e32 v61, v46, v2
	v_and_b32_e32 v53, 0xffff0000, v65
	v_pk_fma_f32 v[54:55], v[30:31], v[58:59], v[56:57]
	s_delay_alu instid0(VALU_DEP_4) | instskip(NEXT) | instid1(VALU_DEP_4)
	v_add_f32_e32 v50, v50, v60
	v_cvt_f32_i32_e32 v56, v61
	s_delay_alu instid0(VALU_DEP_3) | instskip(NEXT) | instid1(VALU_DEP_2)
	v_pk_fma_f32 v[52:53], v[38:39], v[52:53], v[54:55]
	v_dual_add_f32 v50, v51, v50 :: v_dual_mul_f32 v51, s34, v56
	s_delay_alu instid0(VALU_DEP_1) | instskip(NEXT) | instid1(VALU_DEP_1)
	v_dual_add_f32 v50, v52, v50 :: v_dual_max_num_f32 v52, v45, v45
	v_dual_cndmask_b32 v51, 0, v51 :: v_dual_add_f32 v50, v53, v50
	s_delay_alu instid0(VALU_DEP_1) | instskip(NEXT) | instid1(VALU_DEP_1)
	v_fmac_f32_e32 v51, s23, v50
	v_dual_add_nc_u32 v50, v42, v2 :: v_dual_max_num_f32 v52, v52, v51
	s_delay_alu instid0(VALU_DEP_1) | instskip(NEXT) | instid1(VALU_DEP_1)
	v_cmp_gt_i32_e64 s3, s29, v50
	v_dual_cndmask_b32 v45, v45, v52, s3 :: v_dual_cndmask_b32 v50, 0, v51, s3
	ds_store_b32 v47, v50
	s_branch .LBB144_10
.LBB144_15:
	s_or_b32 exec_lo, exec_lo, s36
.LBB144_16:
	s_delay_alu instid0(SALU_CYCLE_1)
	s_or_b32 exec_lo, exec_lo, s22
	v_mbcnt_lo_u32_b32 v5, -1, 0
	s_clause 0x1
	s_load_b64 s[10:11], s[0:1], 0x0
	s_load_b64 s[22:23], s[0:1], 0x18
	v_max_num_f32_e32 v6, v45, v45
	v_xor_b32_e32 v4, 8, v5
	v_xor_b32_e32 v2, 16, v5
	s_delay_alu instid0(VALU_DEP_1) | instskip(SKIP_1) | instid1(VALU_DEP_1)
	v_cmp_gt_i32_e32 vcc_lo, 32, v2
	v_cndmask_b32_e32 v2, v5, v2, vcc_lo
	v_lshlrev_b32_e32 v2, 2, v2
	ds_bpermute_b32 v3, v2, v45
	s_wait_dscnt 0x0
	v_max_num_f32_e32 v7, v3, v3
	s_delay_alu instid0(VALU_DEP_1) | instskip(SKIP_2) | instid1(VALU_DEP_1)
	v_max_num_f32_e32 v6, v6, v7
	v_cmp_gt_i32_e32 vcc_lo, 32, v4
	v_dual_cndmask_b32 v4, v5, v4, vcc_lo :: v_dual_bitop2_b32 v7, 4, v5 bitop3:0x14
	v_cmp_gt_i32_e32 vcc_lo, 32, v7
	s_delay_alu instid0(VALU_DEP_2) | instskip(SKIP_3) | instid1(VALU_DEP_1)
	v_lshlrev_b32_e32 v3, 2, v4
	ds_bpermute_b32 v4, v3, v6
	s_wait_dscnt 0x0
	v_dual_cndmask_b32 v7, v5, v7 :: v_dual_max_num_f32 v8, v4, v4
	v_dual_lshlrev_b32 v4, 2, v7 :: v_dual_max_num_f32 v6, v6, v8
	ds_bpermute_b32 v7, v4, v6
	s_wait_dscnt 0x0
	v_dual_max_num_f32 v7, v7, v7 :: v_dual_bitop2_b32 v8, 2, v5 bitop3:0x14
	s_delay_alu instid0(VALU_DEP_1) | instskip(NEXT) | instid1(VALU_DEP_2)
	v_cmp_gt_i32_e32 vcc_lo, 32, v8
	v_dual_max_num_f32 v6, v6, v7 :: v_dual_cndmask_b32 v8, v5, v8, vcc_lo
	s_delay_alu instid0(VALU_DEP_1) | instskip(SKIP_4) | instid1(VALU_DEP_2)
	v_dual_lshlrev_b32 v36, 2, v8 :: v_dual_bitop2_b32 v8, 1, v5 bitop3:0x14
	ds_bpermute_b32 v7, v36, v6
	v_cmp_gt_i32_e32 vcc_lo, 32, v8
	v_cndmask_b32_e32 v5, v5, v8, vcc_lo
	v_cmp_eq_u32_e32 vcc_lo, 0, v42
	v_lshlrev_b32_e32 v37, 2, v5
	s_wait_dscnt 0x0
	v_dual_lshlrev_b32 v5, 2, v1 :: v_dual_max_num_f32 v7, v7, v7
	s_delay_alu instid0(VALU_DEP_1)
	v_max_num_f32_e32 v6, v6, v7
	ds_bpermute_b32 v7, v37, v6
	s_wait_xcnt 0x0
	s_and_saveexec_b32 s0, vcc_lo
	s_cbranch_execz .LBB144_18
; %bb.17:
	s_wait_dscnt 0x0
	v_dual_max_num_f32 v7, v7, v7 :: v_dual_max_num_f32 v6, v6, v6
	s_delay_alu instid0(VALU_DEP_1)
	v_max_num_f32_e32 v6, v6, v7
	ds_store_b32 v5, v6 offset:64
.LBB144_18:
	s_or_b32 exec_lo, exec_lo, s0
	v_cmp_gt_u32_e64 s0, 4, v42
	v_mov_b32_e32 v6, 0xff7fffff
	s_wait_dscnt 0x0
	s_barrier_signal -1
	s_barrier_wait -1
	s_and_saveexec_b32 s1, s0
; %bb.19:
	ds_load_b32 v6, v44 offset:64
; %bb.20:
	s_or_b32 exec_lo, exec_lo, s1
	s_wait_dscnt 0x0
	ds_bpermute_b32 v7, v36, v6
	v_max_num_f32_e32 v6, v6, v6
	s_lshl_b32 s1, s31, 5
	s_delay_alu instid0(SALU_CYCLE_1) | instskip(NEXT) | instid1(SALU_CYCLE_1)
	s_min_i32 s4, s1, s29
	v_cmp_gt_i32_e64 s1, s4, v0
	s_wait_dscnt 0x0
	v_max_num_f32_e32 v7, v7, v7
	s_delay_alu instid0(VALU_DEP_1) | instskip(SKIP_3) | instid1(VALU_DEP_1)
	v_max_num_f32_e32 v6, v6, v7
	ds_bpermute_b32 v7, v37, v6
	s_wait_dscnt 0x0
	v_max_num_f32_e32 v7, v7, v7
	v_dual_max_num_f32 v7, v6, v7 :: v_dual_mov_b32 v6, 0
	ds_bpermute_b32 v7, v6, v7
	s_and_saveexec_b32 s21, s1
	s_cbranch_execz .LBB144_24
; %bb.21:
	v_lshl_add_u32 v8, v0, 2, 0x60
	v_dual_mov_b32 v6, 0 :: v_dual_mov_b32 v9, v0
	s_mov_b32 s24, 0
.LBB144_22:                             ; =>This Inner Loop Header: Depth=1
	ds_load_b32 v10, v8
	v_add_nc_u32_e32 v9, 0x80, v9
	s_delay_alu instid0(VALU_DEP_1) | instskip(SKIP_3) | instid1(VALU_DEP_1)
	v_cmp_le_i32_e64 s3, s4, v9
	s_or_b32 s24, s3, s24
	s_wait_dscnt 0x0
	v_sub_f32_e32 v10, v10, v7
	v_mul_f32_e32 v10, 0x3fb8aa3b, v10
	s_delay_alu instid0(VALU_DEP_1)
	v_exp_f32_e32 v10, v10
	ds_store_b32 v8, v10
	v_nop
	v_add_f32_e32 v6, v6, v10
	v_add_nc_u32_e32 v8, 0x200, v8
	s_and_not1_b32 exec_lo, exec_lo, s24
	s_cbranch_execnz .LBB144_22
; %bb.23:
	s_or_b32 exec_lo, exec_lo, s24
.LBB144_24:
	s_delay_alu instid0(SALU_CYCLE_1)
	s_or_b32 exec_lo, exec_lo, s21
	ds_bpermute_b32 v2, v2, v6
	s_wait_dscnt 0x0
	v_add_f32_e32 v2, v6, v2
	ds_bpermute_b32 v3, v3, v2
	s_wait_dscnt 0x0
	v_add_f32_e32 v2, v2, v3
	;; [unrolled: 3-line block ×5, first 2 shown]
	s_and_saveexec_b32 s3, vcc_lo
; %bb.25:
	ds_store_b32 v5, v2 offset:80
; %bb.26:
	s_or_b32 exec_lo, exec_lo, s3
	s_wait_dscnt 0x0
	s_barrier_signal -1
	s_barrier_wait -1
	s_and_saveexec_b32 s3, s0
; %bb.27:
	ds_load_b32 v2, v44 offset:80
; %bb.28:
	s_or_b32 exec_lo, exec_lo, s3
	s_wait_dscnt 0x0
	ds_bpermute_b32 v3, v36, v2
	s_wait_dscnt 0x0
	v_dual_mov_b32 v29, 0 :: v_dual_add_f32 v2, v2, v3
	ds_bpermute_b32 v3, v37, v2
	s_wait_dscnt 0x0
	v_add_f32_e32 v2, v2, v3
	ds_bpermute_b32 v2, v29, v2
	s_and_saveexec_b32 s0, s1
	s_cbranch_execz .LBB144_41
; %bb.29:
	s_wait_dscnt 0x0
	v_add_f32_e32 v2, 0x358637bd, v2
	s_mov_b32 s3, -1
	s_mov_b32 s1, exec_lo
	s_delay_alu instid0(VALU_DEP_1) | instskip(NEXT) | instid1(VALU_DEP_1)
	v_div_scale_f32 v3, null, v2, v2, 1.0
	v_rcp_f32_e32 v5, v3
	v_nop
	s_delay_alu instid0(TRANS32_DEP_1) | instskip(NEXT) | instid1(VALU_DEP_1)
	v_fma_f32 v4, -v3, v5, 1.0
	v_fmac_f32_e32 v5, v4, v5
	v_div_scale_f32 v6, vcc_lo, 1.0, v2, 1.0
	s_delay_alu instid0(VALU_DEP_1) | instskip(NEXT) | instid1(VALU_DEP_1)
	v_mul_f32_e32 v7, v6, v5
	v_fma_f32 v4, -v3, v7, v6
	s_delay_alu instid0(VALU_DEP_1) | instskip(SKIP_1) | instid1(VALU_DEP_2)
	v_fmac_f32_e32 v7, v4, v5
	v_xad_u32 v4, v0, -1, s4
	v_fma_f32 v3, -v3, v7, v6
	s_delay_alu instid0(VALU_DEP_1) | instskip(NEXT) | instid1(VALU_DEP_1)
	v_div_fmas_f32 v3, v3, v5, v7
	v_div_fixup_f32 v2, v3, v2, 1.0
	v_mov_b32_e32 v3, v0
	v_cmpx_lt_u32_e32 0x7f, v4
	s_cbranch_execz .LBB144_38
; %bb.30:
	s_delay_alu instid0(VALU_DEP_3) | instskip(NEXT) | instid1(VALU_DEP_1)
	v_dual_mov_b32 v3, v2 :: v_dual_lshrrev_b32 v4, 7, v4
	v_dual_mov_b32 v8, 0 :: v_dual_add_nc_u32 v5, -1, v4
	s_delay_alu instid0(VALU_DEP_1) | instskip(SKIP_1) | instid1(VALU_DEP_2)
	v_lshrrev_b32_e32 v6, 1, v5
	v_cmp_lt_u32_e32 vcc_lo, 13, v5
	v_add_nc_u32_e32 v5, 1, v6
	s_and_saveexec_b32 s3, vcc_lo
	s_cbranch_execz .LBB144_34
; %bb.31:
	s_delay_alu instid0(VALU_DEP_1)
	v_and_b32_e32 v6, -8, v5
	v_lshl_add_u32 v7, v0, 2, 0x60
	s_mov_b32 s21, 0
	s_mov_b32 s24, 0
.LBB144_32:                             ; =>This Inner Loop Header: Depth=1
	ds_load_2addr_stride64_b32 v[8:9], v7 offset1:2
	ds_load_2addr_stride64_b32 v[10:11], v7 offset0:4 offset1:6
	ds_load_2addr_stride64_b32 v[12:13], v7 offset0:8 offset1:10
	ds_load_2addr_stride64_b32 v[14:15], v7 offset0:12 offset1:14
	ds_load_2addr_stride64_b32 v[16:17], v7 offset0:16 offset1:18
	ds_load_2addr_stride64_b32 v[18:19], v7 offset0:20 offset1:22
	ds_load_2addr_stride64_b32 v[20:21], v7 offset0:24 offset1:26
	ds_load_2addr_stride64_b32 v[22:23], v7 offset0:28 offset1:30
	s_add_co_i32 s24, s24, 16
	v_add_nc_u32_e32 v6, -8, v6
	s_wait_dscnt 0x7
	v_pk_mul_f32 v[8:9], v[2:3], v[8:9]
	s_wait_dscnt 0x6
	v_pk_mul_f32 v[10:11], v[2:3], v[10:11]
	;; [unrolled: 2-line block ×8, first 2 shown]
	ds_store_2addr_stride64_b32 v7, v8, v9 offset1:2
	ds_store_2addr_stride64_b32 v7, v10, v11 offset0:4 offset1:6
	ds_store_2addr_stride64_b32 v7, v12, v13 offset0:8 offset1:10
	;; [unrolled: 1-line block ×7, first 2 shown]
	v_mov_b32_e32 v8, s24
	v_cmp_eq_u32_e32 vcc_lo, 0, v6
	v_add_nc_u32_e32 v7, 0x2000, v7
	s_or_b32 s21, vcc_lo, s21
	s_delay_alu instid0(SALU_CYCLE_1)
	s_and_not1_b32 exec_lo, exec_lo, s21
	s_cbranch_execnz .LBB144_32
; %bb.33:
	s_or_b32 exec_lo, exec_lo, s21
.LBB144_34:
	s_delay_alu instid0(SALU_CYCLE_1) | instskip(NEXT) | instid1(VALU_DEP_1)
	s_or_b32 exec_lo, exec_lo, s3
	v_and_b32_e32 v5, 7, v5
	s_mov_b32 s21, 0
	s_mov_b32 s3, exec_lo
	s_delay_alu instid0(VALU_DEP_1)
	v_cmpx_ne_u32_e32 0, v5
	s_cbranch_execz .LBB144_37
; %bb.35:
	v_lshlrev_b32_e32 v6, 9, v8
	v_lshlrev_b32_e32 v7, 2, v0
	s_delay_alu instid0(VALU_DEP_1)
	v_add3_u32 v6, v6, v7, 0x60
.LBB144_36:                             ; =>This Inner Loop Header: Depth=1
	ds_load_2addr_stride64_b32 v[8:9], v6 offset1:2
	v_add_nc_u32_e32 v5, -1, v5
	s_delay_alu instid0(VALU_DEP_1)
	v_cmp_eq_u32_e32 vcc_lo, 0, v5
	s_or_b32 s21, vcc_lo, s21
	s_wait_dscnt 0x0
	v_pk_mul_f32 v[8:9], v[2:3], v[8:9]
	ds_store_2addr_stride64_b32 v6, v8, v9 offset1:2
	v_add_nc_u32_e32 v6, 0x400, v6
	s_and_not1_b32 exec_lo, exec_lo, s21
	s_cbranch_execnz .LBB144_36
.LBB144_37:
	s_or_b32 exec_lo, exec_lo, s3
	v_add_nc_u32_e32 v3, 1, v4
	s_delay_alu instid0(VALU_DEP_1) | instskip(NEXT) | instid1(VALU_DEP_1)
	v_and_b32_e32 v4, 0x3fffffe, v3
	v_cmp_ne_u32_e32 vcc_lo, v3, v4
	v_lshl_add_u32 v3, v4, 7, v0
	s_or_not1_b32 s3, vcc_lo, exec_lo
.LBB144_38:
	s_or_b32 exec_lo, exec_lo, s1
	s_delay_alu instid0(SALU_CYCLE_1)
	s_and_b32 exec_lo, exec_lo, s3
	s_cbranch_execz .LBB144_41
; %bb.39:
	v_lshl_add_u32 v4, v3, 2, 0x60
	s_mov_b32 s1, 0
.LBB144_40:                             ; =>This Inner Loop Header: Depth=1
	ds_load_b32 v5, v4
	v_add_nc_u32_e32 v3, 0x80, v3
	s_delay_alu instid0(VALU_DEP_1)
	v_cmp_le_i32_e32 vcc_lo, s4, v3
	s_or_b32 s1, vcc_lo, s1
	s_wait_dscnt 0x0
	v_mul_f32_e32 v5, v2, v5
	ds_store_b32 v4, v5
	v_add_nc_u32_e32 v4, 0x200, v4
	s_and_not1_b32 exec_lo, exec_lo, s1
	s_cbranch_execnz .LBB144_40
.LBB144_41:
	s_or_b32 exec_lo, exec_lo, s0
	v_dual_mov_b32 v28, 0 :: v_dual_bitop2_b32 v38, 3, v0 bitop3:0x40
	v_dual_mov_b32 v31, 0 :: v_dual_mov_b32 v30, 0
	s_wait_dscnt 0x0
	s_barrier_signal -1
	s_barrier_wait -1
	s_and_saveexec_b32 s1, s2
	s_cbranch_execz .LBB144_55
; %bb.42:
	s_abs_i32 s6, s6
	v_lshlrev_b32_e32 v5, 3, v0
	s_cvt_f32_u32 s0, s6
	v_and_b32_e32 v2, 0x1f0, v27
	v_dual_mov_b32 v27, 0 :: v_dual_lshlrev_b32 v6, 5, v38
	s_delay_alu instid0(SALU_CYCLE_1) | instskip(SKIP_2) | instid1(VALU_DEP_2)
	v_rcp_iflag_f32_e32 v3, s0
	s_ashr_i32 s21, s20, 31
	v_and_b32_e32 v4, 0x7c, v43
	v_dual_mov_b32 v5, v27 :: v_dual_bitop2_b32 v39, 24, v5 bitop3:0x40
	s_lshl_b64 s[18:19], s[18:19], 2
	s_lshl_b64 s[20:21], s[20:21], 1
	s_delay_alu instid0(TRANS32_DEP_1)
	v_readfirstlane_b32 s0, v3
	v_mov_b32_e32 v3, v27
	v_lshl_or_b32 v6, v1, 7, v6
	s_add_nc_u64 s[16:17], s[16:17], s[18:19]
	s_wait_kmcnt 0x0
	s_add_nc_u64 s[18:19], s[22:23], s[20:21]
	s_mul_f32 s0, s0, 0x4f7ffffe
	s_sub_co_i32 s4, 0, s6
	v_add_nc_u64_e32 v[32:33], s[18:19], v[2:3]
	v_add_nc_u64_e32 v[34:35], s[16:17], v[4:5]
	s_cvt_u32_f32 s0, s0
	v_dual_mov_b32 v41, v1 :: v_dual_add_nc_u32 v40, 0x60, v6
	v_dual_mov_b32 v30, v27 :: v_dual_mov_b32 v31, v27
	s_delay_alu instid0(SALU_CYCLE_1)
	s_mul_i32 s4, s4, s0
	v_dual_mov_b32 v28, v27 :: v_dual_mov_b32 v29, v27
	s_sub_co_i32 s24, s33, s5
	s_mov_b32 s5, 0
	s_mul_hi_u32 s4, s0, s4
	s_ashr_i32 s3, s9, 31
	s_mov_b32 s2, s9
	s_add_co_i32 s9, s31, -1
	s_mov_b32 s16, s29
	s_add_co_i32 s4, s0, s4
	s_mov_b32 s17, s5
	s_branch .LBB144_45
.LBB144_43:                             ;   in Loop: Header=BB144_45 Depth=1
	s_or_b32 exec_lo, exec_lo, s0
	s_wait_dscnt 0x1
	v_cvt_pk_bf16_f32 v10, v10, v11
	v_cvt_pk_bf16_f32 v11, v12, v13
	s_wait_dscnt 0x0
	v_cvt_pk_bf16_f32 v6, v6, v7
	v_cvt_pk_bf16_f32 v8, v8, v9
	s_wait_loadcnt 0x1
	v_pk_mul_bf16 v7, v10, v22
	v_pk_mul_bf16 v12, v11, v23
	;; [unrolled: 1-line block ×5, first 2 shown]
	s_delay_alu instid0(VALU_DEP_4)
	v_dual_lshlrev_b32 v13, 16, v7 :: v_dual_lshlrev_b32 v22, 16, v12
	v_and_b32_e32 v7, 0xffff0000, v7
	v_and_b32_e32 v12, 0xffff0000, v12
	v_lshlrev_b32_e32 v24, 16, v9
	v_and_b32_e32 v9, 0xffff0000, v9
	v_pk_mul_bf16 v3, v11, v3
	s_delay_alu instid0(VALU_DEP_4) | instskip(SKIP_3) | instid1(VALU_DEP_3)
	v_dual_add_f32 v7, v13, v7 :: v_dual_add_f32 v12, v22, v12
	v_pk_mul_bf16 v13, v10, v14
	v_pk_mul_bf16 v14, v11, v15
	v_dual_lshlrev_b32 v15, 16, v23 :: v_dual_add_f32 v9, v24, v9
	v_dual_add_f32 v7, v12, v7 :: v_dual_lshlrev_b32 v22, 16, v13
	v_and_b32_e32 v12, 0xffff0000, v23
	v_and_b32_e32 v13, 0xffff0000, v13
	s_delay_alu instid0(VALU_DEP_3) | instskip(SKIP_2) | instid1(VALU_DEP_4)
	v_dual_add_f32 v24, v9, v7 :: v_dual_lshlrev_b32 v23, 16, v14
	v_and_b32_e32 v7, 0xffff0000, v14
	v_pk_mul_bf16 v9, v6, v16
	v_dual_add_f32 v12, v15, v12 :: v_dual_add_f32 v13, v22, v13
	s_delay_alu instid0(VALU_DEP_3) | instskip(NEXT) | instid1(VALU_DEP_3)
	v_dual_lshlrev_b32 v15, 16, v2 :: v_dual_add_f32 v7, v23, v7
	v_lshlrev_b32_e32 v14, 16, v9
	v_and_b32_e32 v9, 0xffff0000, v9
	v_and_b32_e32 v2, 0xffff0000, v2
	s_delay_alu instid0(VALU_DEP_4) | instskip(SKIP_2) | instid1(VALU_DEP_4)
	v_dual_add_f32 v13, v7, v13 :: v_dual_lshlrev_b32 v16, 16, v3
	v_and_b32_e32 v3, 0xffff0000, v3
	v_pk_mul_bf16 v17, v8, v17
	v_dual_add_f32 v14, v14, v9 :: v_dual_add_f32 v2, v15, v2
	v_pk_mul_bf16 v4, v6, v4
	s_delay_alu instid0(VALU_DEP_3) | instskip(SKIP_2) | instid1(VALU_DEP_3)
	v_dual_add_f32 v3, v16, v3 :: v_dual_lshlrev_b32 v15, 16, v17
	v_and_b32_e32 v16, 0xffff0000, v17
	v_pk_mul_bf16 v17, v8, v5
	v_dual_add_f32 v22, v3, v2 :: v_dual_lshlrev_b32 v23, 16, v4
	s_wait_loadcnt 0x0
	v_pk_mul_bf16 v2, v10, v18
	v_and_b32_e32 v10, 0xffff0000, v4
	v_pk_mul_bf16 v4, v11, v19
	v_pk_mul_bf16 v6, v6, v20
	;; [unrolled: 1-line block ×3, first 2 shown]
	v_and_b32_e32 v3, 0xffff0000, v2
	v_lshlrev_b32_e32 v5, 16, v2
	v_and_b32_e32 v2, 0xffff0000, v4
	v_lshlrev_b32_e32 v4, 16, v4
	v_and_b32_e32 v7, 0xffff0000, v6
	v_lshlrev_b32_e32 v9, 16, v6
	v_and_b32_e32 v6, 0xffff0000, v8
	v_lshlrev_b32_e32 v8, 16, v8
	v_pk_add_f32 v[2:3], v[4:5], v[2:3]
	v_dual_add_f32 v10, v23, v10 :: v_dual_lshlrev_b32 v11, 16, v17
	v_and_b32_e32 v17, 0xffff0000, v17
	s_delay_alu instid0(VALU_DEP_4) | instskip(NEXT) | instid1(VALU_DEP_4)
	v_pk_add_f32 v[4:5], v[8:9], v[6:7]
	v_dual_add_f32 v2, v2, v3 :: v_dual_add_f32 v6, v15, v16
	v_add_f32_e32 v3, v14, v13
	s_delay_alu instid0(VALU_DEP_4) | instskip(NEXT) | instid1(VALU_DEP_3)
	v_dual_add_f32 v7, v10, v22 :: v_dual_add_f32 v8, v11, v17
	v_dual_add_f32 v2, v5, v2 :: v_dual_add_f32 v5, v12, v24
	s_delay_alu instid0(VALU_DEP_1) | instskip(NEXT) | instid1(VALU_DEP_1)
	v_dual_add_f32 v3, v6, v3 :: v_dual_add_f32 v2, v4, v2
	v_add_f32_e32 v31, v31, v3
	s_delay_alu instid0(VALU_DEP_2) | instskip(NEXT) | instid1(VALU_DEP_1)
	v_dual_add_f32 v6, v8, v7 :: v_dual_add_f32 v29, v29, v2
	v_dual_add_f32 v28, v28, v5 :: v_dual_add_f32 v30, v30, v6
.LBB144_44:                             ;   in Loop: Header=BB144_45 Depth=1
	s_or_b32 exec_lo, exec_lo, s18
	v_add_nc_u32_e32 v41, 4, v41
	v_add_nc_u64_e32 v[34:35], 16, v[34:35]
	v_add_nc_u32_e32 v26, 0x80, v26
	v_add_nc_u32_e32 v40, 0x200, v40
	s_delay_alu instid0(VALU_DEP_4) | instskip(SKIP_1) | instid1(SALU_CYCLE_1)
	v_cmp_le_i32_e32 vcc_lo, s31, v41
	s_or_b32 s17, vcc_lo, s17
	s_and_not1_b32 exec_lo, exec_lo, s17
	s_cbranch_execz .LBB144_54
.LBB144_45:                             ; =>This Inner Loop Header: Depth=1
	v_mul_u64_e32 v[2:3], s[14:15], v[26:27]
	s_delay_alu instid0(VALU_DEP_1) | instskip(NEXT) | instid1(VALU_DEP_1)
	v_mul_lo_u32 v2, v3, s8
	v_dual_add_nc_u32 v4, 1, v3 :: v_dual_sub_nc_u32 v2, v26, v2
	s_delay_alu instid0(VALU_DEP_1) | instskip(SKIP_1) | instid1(VALU_DEP_2)
	v_subrev_nc_u32_e32 v5, s8, v2
	v_cmp_le_u32_e32 vcc_lo, s8, v2
	v_dual_cndmask_b32 v3, v3, v4 :: v_dual_cndmask_b32 v2, v2, v5
	s_delay_alu instid0(VALU_DEP_1) | instskip(NEXT) | instid1(VALU_DEP_2)
	v_add_nc_u32_e32 v4, 1, v3
	v_cmp_le_u32_e32 vcc_lo, s8, v2
	s_delay_alu instid0(VALU_DEP_2) | instskip(NEXT) | instid1(VALU_DEP_1)
	v_cndmask_b32_e32 v2, v3, v4, vcc_lo
	v_dual_mov_b32 v3, v27 :: v_dual_bitop2_b32 v2, s30, v2 bitop3:0x14
	s_delay_alu instid0(VALU_DEP_1) | instskip(NEXT) | instid1(VALU_DEP_1)
	v_subrev_nc_u32_e32 v6, s30, v2
	v_add_nc_u32_e32 v7, s13, v6
	v_cmp_lt_i32_e64 s0, s24, v6
	s_delay_alu instid0(VALU_DEP_2) | instskip(NEXT) | instid1(VALU_DEP_1)
	v_sub_nc_u32_e32 v2, 0, v7
	v_max_i32_e32 v2, v7, v2
	s_delay_alu instid0(VALU_DEP_1) | instskip(SKIP_1) | instid1(VALU_DEP_2)
	v_mul_u64_e32 v[4:5], s[4:5], v[2:3]
	v_ashrrev_i32_e32 v4, 31, v7
	v_mul_lo_u32 v3, v5, s6
	s_delay_alu instid0(VALU_DEP_1) | instskip(NEXT) | instid1(VALU_DEP_1)
	v_sub_nc_u32_e32 v2, v2, v3
	v_subrev_nc_u32_e32 v3, s6, v2
	v_cmp_le_u32_e32 vcc_lo, s6, v2
	s_delay_alu instid0(VALU_DEP_2) | instskip(NEXT) | instid1(VALU_DEP_1)
	v_cndmask_b32_e32 v2, v2, v3, vcc_lo
	v_subrev_nc_u32_e32 v3, s6, v2
	v_cmp_le_u32_e32 vcc_lo, s6, v2
	s_delay_alu instid0(VALU_DEP_2) | instskip(NEXT) | instid1(VALU_DEP_1)
	v_cndmask_b32_e32 v2, v2, v3, vcc_lo
	v_xor_b32_e32 v2, v2, v4
	s_delay_alu instid0(VALU_DEP_1) | instskip(NEXT) | instid1(VALU_DEP_1)
	v_sub_nc_u32_e32 v2, v2, v4
	v_cmp_eq_u32_e32 vcc_lo, 0, v2
	s_or_b32 s0, vcc_lo, s0
	s_delay_alu instid0(SALU_CYCLE_1)
	s_and_saveexec_b32 s18, s0
	s_cbranch_execz .LBB144_44
; %bb.46:                               ;   in Loop: Header=BB144_45 Depth=1
	global_load_b32 v2, v[34:35], off
	v_add_nc_u32_e32 v50, v39, v26
	v_cmp_eq_u32_e32 vcc_lo, s9, v41
	s_delay_alu instid0(VALU_DEP_2)
	v_dual_add_nc_u32 v48, 1, v50 :: v_dual_bitop2_b32 v47, 3, v50 bitop3:0x54
	v_or_b32_e32 v49, 2, v50
	v_or_b32_e32 v44, 5, v50
	;; [unrolled: 1-line block ×5, first 2 shown]
	s_wait_loadcnt 0x0
	v_ashrrev_i32_e32 v3, 31, v2
	s_delay_alu instid0(VALU_DEP_1) | instskip(NEXT) | instid1(VALU_DEP_1)
	v_mul_u64_e32 v[2:3], s[2:3], v[2:3]
	v_lshl_add_u64 v[18:19], v[2:3], 1, v[32:33]
	global_load_b128 v[2:5], v[18:19], off
	ds_load_2addr_b64 v[10:13], v40 offset1:1
	ds_load_2addr_b64 v[6:9], v40 offset0:2 offset1:3
	s_wait_xcnt 0x0
	s_and_saveexec_b32 s19, vcc_lo
	s_cbranch_execnz .LBB144_50
; %bb.47:                               ;   in Loop: Header=BB144_45 Depth=1
	s_or_b32 exec_lo, exec_lo, s19
	global_load_b128 v[14:17], v[18:19], off offset:512
	s_wait_xcnt 0x0
	s_and_saveexec_b32 s19, vcc_lo
	s_cbranch_execnz .LBB144_51
.LBB144_48:                             ;   in Loop: Header=BB144_45 Depth=1
	s_or_b32 exec_lo, exec_lo, s19
	global_load_b128 v[22:25], v[18:19], off offset:1024
	s_wait_xcnt 0x0
	s_and_saveexec_b32 s19, vcc_lo
	s_cbranch_execnz .LBB144_52
.LBB144_49:                             ;   in Loop: Header=BB144_45 Depth=1
	s_or_b32 exec_lo, exec_lo, s19
	global_load_b128 v[18:21], v[18:19], off offset:1536
	s_wait_xcnt 0x0
	s_and_saveexec_b32 s0, vcc_lo
	s_cbranch_execz .LBB144_43
	s_branch .LBB144_53
.LBB144_50:                             ;   in Loop: Header=BB144_45 Depth=1
	v_cmp_gt_i32_e64 s0, s29, v50
	s_wait_loadcnt 0x0
	v_dual_lshrrev_b32 v14, 16, v2 :: v_dual_lshrrev_b32 v16, 16, v4
	s_delay_alu instid0(VALU_DEP_2) | instskip(SKIP_1) | instid1(VALU_DEP_1)
	v_cndmask_b32_e64 v2, 0, v2, s0
	v_cmp_gt_i32_e64 s0, s16, v48
	v_dual_lshrrev_b32 v15, 16, v3 :: v_dual_cndmask_b32 v14, 0, v14, s0
	v_cmp_gt_i32_e64 s0, s29, v49
	s_delay_alu instid0(VALU_DEP_2) | instskip(NEXT) | instid1(VALU_DEP_2)
	v_perm_b32 v2, v14, v2, 0x5040100
	v_cndmask_b32_e64 v3, 0, v3, s0
	v_cmp_gt_i32_e64 s0, s16, v47
	s_delay_alu instid0(VALU_DEP_1) | instskip(SKIP_1) | instid1(VALU_DEP_1)
	v_cndmask_b32_e64 v15, 0, v15, s0
	v_cmp_gt_i32_e64 s0, s29, v46
	v_cndmask_b32_e64 v4, 0, v4, s0
	v_cmp_gt_i32_e64 s0, s16, v44
	v_lshrrev_b32_e32 v17, 16, v5
	v_perm_b32 v3, v15, v3, 0x5040100
	s_delay_alu instid0(VALU_DEP_3) | instskip(SKIP_1) | instid1(VALU_DEP_2)
	v_cndmask_b32_e64 v16, 0, v16, s0
	v_cmp_gt_i32_e64 s0, s29, v45
	v_perm_b32 v4, v16, v4, 0x5040100
	s_delay_alu instid0(VALU_DEP_2) | instskip(SKIP_1) | instid1(VALU_DEP_1)
	v_cndmask_b32_e64 v5, 0, v5, s0
	v_cmp_gt_i32_e64 s0, s16, v43
	v_cndmask_b32_e64 v17, 0, v17, s0
	s_delay_alu instid0(VALU_DEP_1)
	v_perm_b32 v5, v17, v5, 0x5040100
	s_or_b32 exec_lo, exec_lo, s19
	global_load_b128 v[14:17], v[18:19], off offset:512
	s_wait_xcnt 0x0
	s_and_saveexec_b32 s19, vcc_lo
	s_cbranch_execz .LBB144_48
.LBB144_51:                             ;   in Loop: Header=BB144_45 Depth=1
	v_cmp_gt_i32_e64 s0, s29, v50
	s_wait_loadcnt 0x0
	s_delay_alu instid0(VALU_DEP_1) | instskip(SKIP_1) | instid1(VALU_DEP_1)
	v_dual_lshrrev_b32 v20, 16, v14 :: v_dual_cndmask_b32 v14, 0, v14, s0
	v_cmp_gt_i32_e64 s0, s16, v48
	v_dual_lshrrev_b32 v21, 16, v15 :: v_dual_cndmask_b32 v20, 0, v20, s0
	v_cmp_gt_i32_e64 s0, s29, v49
	s_delay_alu instid0(VALU_DEP_2) | instskip(NEXT) | instid1(VALU_DEP_2)
	v_perm_b32 v14, v20, v14, 0x5040100
	v_cndmask_b32_e64 v15, 0, v15, s0
	v_cmp_gt_i32_e64 s0, s16, v47
	s_delay_alu instid0(VALU_DEP_1) | instskip(SKIP_2) | instid1(VALU_DEP_3)
	v_cndmask_b32_e64 v21, 0, v21, s0
	v_cmp_gt_i32_e64 s0, s29, v46
	v_lshrrev_b32_e32 v22, 16, v16
	v_perm_b32 v15, v21, v15, 0x5040100
	s_delay_alu instid0(VALU_DEP_3) | instskip(SKIP_1) | instid1(VALU_DEP_1)
	v_cndmask_b32_e64 v16, 0, v16, s0
	v_cmp_gt_i32_e64 s0, s16, v44
	v_dual_lshrrev_b32 v23, 16, v17 :: v_dual_cndmask_b32 v22, 0, v22, s0
	v_cmp_gt_i32_e64 s0, s29, v45
	s_delay_alu instid0(VALU_DEP_2) | instskip(NEXT) | instid1(VALU_DEP_2)
	v_perm_b32 v16, v22, v16, 0x5040100
	v_cndmask_b32_e64 v17, 0, v17, s0
	v_cmp_gt_i32_e64 s0, s16, v43
	s_delay_alu instid0(VALU_DEP_1) | instskip(NEXT) | instid1(VALU_DEP_1)
	v_cndmask_b32_e64 v23, 0, v23, s0
	v_perm_b32 v17, v23, v17, 0x5040100
	s_or_b32 exec_lo, exec_lo, s19
	global_load_b128 v[22:25], v[18:19], off offset:1024
	s_wait_xcnt 0x0
	s_and_saveexec_b32 s19, vcc_lo
	s_cbranch_execz .LBB144_49
.LBB144_52:                             ;   in Loop: Header=BB144_45 Depth=1
	v_cmp_gt_i32_e64 s0, s29, v50
	s_wait_loadcnt 0x0
	s_delay_alu instid0(VALU_DEP_1) | instskip(SKIP_1) | instid1(VALU_DEP_1)
	v_dual_lshrrev_b32 v20, 16, v22 :: v_dual_cndmask_b32 v21, 0, v22, s0
	v_cmp_gt_i32_e64 s0, s16, v48
	v_dual_lshrrev_b32 v22, 16, v23 :: v_dual_cndmask_b32 v20, 0, v20, s0
	v_cmp_gt_i32_e64 s0, s29, v49
	s_delay_alu instid0(VALU_DEP_1) | instskip(SKIP_1) | instid1(VALU_DEP_1)
	v_cndmask_b32_e64 v23, 0, v23, s0
	v_cmp_gt_i32_e64 s0, s16, v47
	v_cndmask_b32_e64 v51, 0, v22, s0
	v_cmp_gt_i32_e64 s0, s29, v46
	v_lshrrev_b32_e32 v22, 16, v24
	s_delay_alu instid0(VALU_DEP_3) | instskip(NEXT) | instid1(VALU_DEP_3)
	v_perm_b32 v23, v51, v23, 0x5040100
	v_cndmask_b32_e64 v24, 0, v24, s0
	v_cmp_gt_i32_e64 s0, s16, v44
	s_delay_alu instid0(VALU_DEP_1) | instskip(SKIP_2) | instid1(VALU_DEP_3)
	v_dual_lshrrev_b32 v52, 16, v25 :: v_dual_cndmask_b32 v53, 0, v22, s0
	v_cmp_gt_i32_e64 s0, s29, v45
	v_perm_b32 v22, v20, v21, 0x5040100
	v_perm_b32 v24, v53, v24, 0x5040100
	s_delay_alu instid0(VALU_DEP_3) | instskip(SKIP_1) | instid1(VALU_DEP_1)
	v_cndmask_b32_e64 v25, 0, v25, s0
	v_cmp_gt_i32_e64 s0, s16, v43
	v_cndmask_b32_e64 v52, 0, v52, s0
	s_delay_alu instid0(VALU_DEP_1)
	v_perm_b32 v25, v52, v25, 0x5040100
	s_or_b32 exec_lo, exec_lo, s19
	global_load_b128 v[18:21], v[18:19], off offset:1536
	s_wait_xcnt 0x0
	s_and_saveexec_b32 s0, vcc_lo
	s_cbranch_execz .LBB144_43
.LBB144_53:                             ;   in Loop: Header=BB144_45 Depth=1
	v_cmp_gt_i32_e32 vcc_lo, s29, v50
	s_wait_loadcnt 0x0
	v_dual_cndmask_b32 v18, 0, v18 :: v_dual_lshrrev_b32 v51, 16, v18
	v_cmp_gt_i32_e32 vcc_lo, s16, v48
	s_delay_alu instid0(VALU_DEP_2) | instskip(SKIP_3) | instid1(VALU_DEP_2)
	v_cndmask_b32_e32 v48, 0, v51, vcc_lo
	v_cmp_gt_i32_e32 vcc_lo, s29, v49
	v_dual_cndmask_b32 v19, 0, v19 :: v_dual_lshrrev_b32 v50, 16, v19
	v_cmp_gt_i32_e32 vcc_lo, s16, v47
	v_cndmask_b32_e32 v47, 0, v50, vcc_lo
	v_cmp_gt_i32_e32 vcc_lo, s29, v46
	v_lshrrev_b32_e32 v49, 16, v20
	v_perm_b32 v18, v48, v18, 0x5040100
	s_delay_alu instid0(VALU_DEP_4)
	v_perm_b32 v19, v47, v19, 0x5040100
	v_cndmask_b32_e32 v20, 0, v20, vcc_lo
	v_cmp_gt_i32_e32 vcc_lo, s16, v44
	v_cndmask_b32_e32 v44, 0, v49, vcc_lo
	v_cmp_gt_i32_e32 vcc_lo, s29, v45
	v_dual_cndmask_b32 v21, 0, v21 :: v_dual_lshrrev_b32 v46, 16, v21
	v_cmp_gt_i32_e32 vcc_lo, s16, v43
	s_delay_alu instid0(VALU_DEP_2) | instskip(SKIP_1) | instid1(VALU_DEP_2)
	v_cndmask_b32_e32 v43, 0, v46, vcc_lo
	v_perm_b32 v20, v44, v20, 0x5040100
	v_perm_b32 v21, v43, v21, 0x5040100
	s_branch .LBB144_43
.LBB144_54:
	s_or_b32 exec_lo, exec_lo, s17
.LBB144_55:
	s_delay_alu instid0(SALU_CYCLE_1)
	s_or_b32 exec_lo, exec_lo, s1
	ds_bpermute_b32 v2, v36, v30
	ds_bpermute_b32 v3, v36, v31
	;; [unrolled: 1-line block ×4, first 2 shown]
	v_and_b32_e32 v9, 0x3c3, v0
	v_and_b32_e32 v8, 28, v42
	s_mov_b32 s0, exec_lo
	s_wait_dscnt 0x0
	s_barrier_signal -1
	s_barrier_wait -1
	v_pk_add_f32 v[2:3], v[30:31], v[2:3]
	v_pk_add_f32 v[4:5], v[28:29], v[4:5]
	ds_bpermute_b32 v10, v37, v2
	ds_bpermute_b32 v11, v37, v3
	;; [unrolled: 1-line block ×4, first 2 shown]
	s_wait_dscnt 0x2
	v_pk_add_f32 v[2:3], v[2:3], v[10:11]
	v_cmpx_ne_u32_e32 64, v9
	s_xor_b32 s0, exec_lo, s0
; %bb.56:
                                        ; implicit-def: $vgpr1
; %bb.57:
	s_delay_alu instid0(SALU_CYCLE_1)
	s_or_saveexec_b32 s0, s0
	s_wait_dscnt 0x0
	v_pk_add_f32 v[4:5], v[4:5], v[6:7]
	v_lshrrev_b32_e32 v7, 2, v42
	v_add_nc_u32_e32 v6, 0x60, v8
	s_xor_b32 exec_lo, exec_lo, s0
	s_cbranch_execz .LBB144_59
; %bb.58:
	s_delay_alu instid0(VALU_DEP_1) | instskip(NEXT) | instid1(VALU_DEP_1)
	v_lshl_add_u32 v1, v1, 7, v6
	v_add_nc_u32_e32 v8, 0xffffff00, v1
	v_add_nc_u32_e32 v9, 0xffffff20, v1
	;; [unrolled: 1-line block ×4, first 2 shown]
	ds_store_b32 v8, v2
	ds_store_b32 v9, v3
	;; [unrolled: 1-line block ×4, first 2 shown]
.LBB144_59:
	s_or_b32 exec_lo, exec_lo, s0
	v_and_b32_e32 v1, 0x3e0, v0
	v_lshlrev_b32_e32 v7, 2, v7
	s_mov_b32 s1, exec_lo
	v_cmp_eq_u32_e32 vcc_lo, 0, v38
	s_wait_dscnt 0x0
	v_lshlrev_b32_e32 v1, 2, v1
	s_barrier_signal -1
	s_barrier_wait -1
	s_delay_alu instid0(VALU_DEP_1)
	v_add3_u32 v1, 0x60, v1, v7
	v_cmpx_gt_u32_e32 64, v0
	s_cbranch_execz .LBB144_66
; %bb.60:
	s_and_saveexec_b32 s0, vcc_lo
	s_cbranch_execnz .LBB144_78
; %bb.61:
	s_or_b32 exec_lo, exec_lo, s0
	s_and_saveexec_b32 s0, vcc_lo
	s_cbranch_execnz .LBB144_79
.LBB144_62:
	s_or_b32 exec_lo, exec_lo, s0
	s_and_saveexec_b32 s0, vcc_lo
	s_cbranch_execnz .LBB144_80
.LBB144_63:
	s_or_b32 exec_lo, exec_lo, s0
	s_and_saveexec_b32 s0, vcc_lo
	s_cbranch_execz .LBB144_65
.LBB144_64:
	ds_load_b32 v7, v1 offset:96
	s_wait_dscnt 0x0
	v_add_f32_e32 v5, v5, v7
.LBB144_65:
	s_or_b32 exec_lo, exec_lo, s0
.LBB144_66:
	s_delay_alu instid0(SALU_CYCLE_1) | instskip(SKIP_4) | instid1(VALU_DEP_1)
	s_or_b32 exec_lo, exec_lo, s1
	v_and_b32_e32 v7, 0x3e3, v0
	s_mov_b32 s1, exec_lo
	s_barrier_signal -1
	s_barrier_wait -1
	v_cmpx_eq_u32_e32 32, v7
	s_cbranch_execz .LBB144_68
; %bb.67:
	ds_store_2addr_b32 v6, v2, v3 offset1:8
	ds_store_2addr_b32 v6, v4, v5 offset0:16 offset1:24
.LBB144_68:
	s_or_b32 exec_lo, exec_lo, s1
	s_delay_alu instid0(SALU_CYCLE_1)
	s_mov_b32 s1, exec_lo
	s_wait_dscnt 0x0
	s_barrier_signal -1
	s_barrier_wait -1
	v_cmpx_gt_u32_e32 32, v0
	s_cbranch_execz .LBB144_75
; %bb.69:
	s_and_saveexec_b32 s0, vcc_lo
	s_cbranch_execnz .LBB144_81
; %bb.70:
	s_or_b32 exec_lo, exec_lo, s0
	s_and_saveexec_b32 s0, vcc_lo
	s_cbranch_execnz .LBB144_82
.LBB144_71:
	s_or_b32 exec_lo, exec_lo, s0
	s_and_saveexec_b32 s0, vcc_lo
	s_cbranch_execnz .LBB144_83
.LBB144_72:
	s_or_b32 exec_lo, exec_lo, s0
	s_and_saveexec_b32 s0, vcc_lo
	s_cbranch_execz .LBB144_74
.LBB144_73:
	ds_load_b32 v1, v1 offset:96
	s_wait_dscnt 0x0
	v_add_f32_e32 v5, v5, v1
.LBB144_74:
	s_or_b32 exec_lo, exec_lo, s0
.LBB144_75:
	s_delay_alu instid0(SALU_CYCLE_1)
	s_or_b32 exec_lo, exec_lo, s1
	s_mov_b32 s1, 0
	s_barrier_signal -1
	s_barrier_wait -1
	s_mov_b32 s0, exec_lo
	v_cmpx_eq_u32_e32 0, v7
	s_cbranch_execz .LBB144_77
; %bb.76:
	s_mul_i32 s0, s28, s7
	s_mul_i32 s2, s7, s12
	;; [unrolled: 1-line block ×3, first 2 shown]
	s_lshr_b32 s6, ttmp7, 16
	s_lshl_b32 s4, s0, 5
	s_bfe_u32 s0, ttmp6, 0x40014
	s_ashr_i32 s5, s4, 31
	s_add_co_i32 s0, s0, 1
	s_ashr_i32 s3, s2, 31
	s_mul_i32 s0, s6, s0
	s_bfe_u32 s7, ttmp6, 0x40008
	s_lshl_b64 s[4:5], s[4:5], 1
	s_lshl_b64 s[2:3], s[2:3], 1
	s_add_co_i32 s7, s7, s0
	s_cmp_eq_u32 s26, 0
	s_wait_kmcnt 0x0
	s_add_nc_u64 s[4:5], s[10:11], s[4:5]
	s_cselect_b32 s0, s6, s7
	s_add_nc_u64 s[2:3], s[4:5], s[2:3]
	s_lshl_b32 s0, s0, 6
	v_lshrrev_b32_e32 v0, 1, v0
	s_add_nc_u64 s[0:1], s[2:3], s[0:1]
	s_delay_alu instid0(SALU_CYCLE_1)
	v_cvt_pk_bf16_f32 v1, v2, s0
	v_cvt_pk_bf16_f32 v2, v3, s0
	;; [unrolled: 1-line block ×4, first 2 shown]
	s_clause 0x3
	global_store_b16 v0, v1, s[0:1]
	global_store_b16 v0, v2, s[0:1] offset:16
	global_store_b16 v0, v3, s[0:1] offset:32
	;; [unrolled: 1-line block ×3, first 2 shown]
.LBB144_77:
	s_sendmsg sendmsg(MSG_DEALLOC_VGPRS)
	s_endpgm
.LBB144_78:
	ds_load_b32 v7, v1
	s_wait_dscnt 0x0
	v_add_f32_e32 v2, v2, v7
	s_or_b32 exec_lo, exec_lo, s0
	s_and_saveexec_b32 s0, vcc_lo
	s_cbranch_execz .LBB144_62
.LBB144_79:
	ds_load_b32 v7, v1 offset:32
	s_wait_dscnt 0x0
	v_add_f32_e32 v3, v3, v7
	s_or_b32 exec_lo, exec_lo, s0
	s_and_saveexec_b32 s0, vcc_lo
	s_cbranch_execz .LBB144_63
.LBB144_80:
	ds_load_b32 v7, v1 offset:64
	s_wait_dscnt 0x0
	v_add_f32_e32 v4, v4, v7
	s_or_b32 exec_lo, exec_lo, s0
	s_and_saveexec_b32 s0, vcc_lo
	s_cbranch_execnz .LBB144_64
	s_branch .LBB144_65
.LBB144_81:
	ds_load_b32 v6, v1
	s_wait_dscnt 0x0
	v_add_f32_e32 v2, v2, v6
	s_or_b32 exec_lo, exec_lo, s0
	s_and_saveexec_b32 s0, vcc_lo
	s_cbranch_execz .LBB144_71
.LBB144_82:
	ds_load_b32 v6, v1 offset:32
	s_wait_dscnt 0x0
	v_add_f32_e32 v3, v3, v6
	s_or_b32 exec_lo, exec_lo, s0
	s_and_saveexec_b32 s0, vcc_lo
	s_cbranch_execz .LBB144_72
.LBB144_83:
	ds_load_b32 v6, v1 offset:64
	s_wait_dscnt 0x0
	v_add_f32_e32 v4, v4, v6
	s_or_b32 exec_lo, exec_lo, s0
	s_and_saveexec_b32 s0, vcc_lo
	s_cbranch_execnz .LBB144_73
	s_branch .LBB144_74
	.section	.rodata,"a",@progbits
	.p2align	6, 0x0
	.amdhsa_kernel _ZN4vllm25paged_attention_v1_kernelI14__hip_bfloat16S1_Li32ELi32ELi128ELNS_18Fp8KVCacheDataTypeE0ELb1EEEvPT_PKS3_PKT0_S9_ifPKiSB_iPKfiiiSD_SD_iiiii
		.amdhsa_group_segment_fixed_size 96
		.amdhsa_private_segment_fixed_size 0
		.amdhsa_kernarg_size 384
		.amdhsa_user_sgpr_count 2
		.amdhsa_user_sgpr_dispatch_ptr 0
		.amdhsa_user_sgpr_queue_ptr 0
		.amdhsa_user_sgpr_kernarg_segment_ptr 1
		.amdhsa_user_sgpr_dispatch_id 0
		.amdhsa_user_sgpr_kernarg_preload_length 0
		.amdhsa_user_sgpr_kernarg_preload_offset 0
		.amdhsa_user_sgpr_private_segment_size 0
		.amdhsa_wavefront_size32 1
		.amdhsa_uses_dynamic_stack 0
		.amdhsa_enable_private_segment 0
		.amdhsa_system_sgpr_workgroup_id_x 1
		.amdhsa_system_sgpr_workgroup_id_y 1
		.amdhsa_system_sgpr_workgroup_id_z 1
		.amdhsa_system_sgpr_workgroup_info 0
		.amdhsa_system_vgpr_workitem_id 0
		.amdhsa_next_free_vgpr 78
		.amdhsa_next_free_sgpr 38
		.amdhsa_named_barrier_count 0
		.amdhsa_reserve_vcc 1
		.amdhsa_float_round_mode_32 0
		.amdhsa_float_round_mode_16_64 0
		.amdhsa_float_denorm_mode_32 3
		.amdhsa_float_denorm_mode_16_64 3
		.amdhsa_fp16_overflow 0
		.amdhsa_memory_ordered 1
		.amdhsa_forward_progress 1
		.amdhsa_inst_pref_size 54
		.amdhsa_round_robin_scheduling 0
		.amdhsa_exception_fp_ieee_invalid_op 0
		.amdhsa_exception_fp_denorm_src 0
		.amdhsa_exception_fp_ieee_div_zero 0
		.amdhsa_exception_fp_ieee_overflow 0
		.amdhsa_exception_fp_ieee_underflow 0
		.amdhsa_exception_fp_ieee_inexact 0
		.amdhsa_exception_int_div_zero 0
	.end_amdhsa_kernel
	.section	.text._ZN4vllm25paged_attention_v1_kernelI14__hip_bfloat16S1_Li32ELi32ELi128ELNS_18Fp8KVCacheDataTypeE0ELb1EEEvPT_PKS3_PKT0_S9_ifPKiSB_iPKfiiiSD_SD_iiiii,"axG",@progbits,_ZN4vllm25paged_attention_v1_kernelI14__hip_bfloat16S1_Li32ELi32ELi128ELNS_18Fp8KVCacheDataTypeE0ELb1EEEvPT_PKS3_PKT0_S9_ifPKiSB_iPKfiiiSD_SD_iiiii,comdat
.Lfunc_end144:
	.size	_ZN4vllm25paged_attention_v1_kernelI14__hip_bfloat16S1_Li32ELi32ELi128ELNS_18Fp8KVCacheDataTypeE0ELb1EEEvPT_PKS3_PKT0_S9_ifPKiSB_iPKfiiiSD_SD_iiiii, .Lfunc_end144-_ZN4vllm25paged_attention_v1_kernelI14__hip_bfloat16S1_Li32ELi32ELi128ELNS_18Fp8KVCacheDataTypeE0ELb1EEEvPT_PKS3_PKT0_S9_ifPKiSB_iPKfiiiSD_SD_iiiii
                                        ; -- End function
	.set _ZN4vllm25paged_attention_v1_kernelI14__hip_bfloat16S1_Li32ELi32ELi128ELNS_18Fp8KVCacheDataTypeE0ELb1EEEvPT_PKS3_PKT0_S9_ifPKiSB_iPKfiiiSD_SD_iiiii.num_vgpr, 78
	.set _ZN4vllm25paged_attention_v1_kernelI14__hip_bfloat16S1_Li32ELi32ELi128ELNS_18Fp8KVCacheDataTypeE0ELb1EEEvPT_PKS3_PKT0_S9_ifPKiSB_iPKfiiiSD_SD_iiiii.num_agpr, 0
	.set _ZN4vllm25paged_attention_v1_kernelI14__hip_bfloat16S1_Li32ELi32ELi128ELNS_18Fp8KVCacheDataTypeE0ELb1EEEvPT_PKS3_PKT0_S9_ifPKiSB_iPKfiiiSD_SD_iiiii.numbered_sgpr, 38
	.set _ZN4vllm25paged_attention_v1_kernelI14__hip_bfloat16S1_Li32ELi32ELi128ELNS_18Fp8KVCacheDataTypeE0ELb1EEEvPT_PKS3_PKT0_S9_ifPKiSB_iPKfiiiSD_SD_iiiii.num_named_barrier, 0
	.set _ZN4vllm25paged_attention_v1_kernelI14__hip_bfloat16S1_Li32ELi32ELi128ELNS_18Fp8KVCacheDataTypeE0ELb1EEEvPT_PKS3_PKT0_S9_ifPKiSB_iPKfiiiSD_SD_iiiii.private_seg_size, 0
	.set _ZN4vllm25paged_attention_v1_kernelI14__hip_bfloat16S1_Li32ELi32ELi128ELNS_18Fp8KVCacheDataTypeE0ELb1EEEvPT_PKS3_PKT0_S9_ifPKiSB_iPKfiiiSD_SD_iiiii.uses_vcc, 1
	.set _ZN4vllm25paged_attention_v1_kernelI14__hip_bfloat16S1_Li32ELi32ELi128ELNS_18Fp8KVCacheDataTypeE0ELb1EEEvPT_PKS3_PKT0_S9_ifPKiSB_iPKfiiiSD_SD_iiiii.uses_flat_scratch, 0
	.set _ZN4vllm25paged_attention_v1_kernelI14__hip_bfloat16S1_Li32ELi32ELi128ELNS_18Fp8KVCacheDataTypeE0ELb1EEEvPT_PKS3_PKT0_S9_ifPKiSB_iPKfiiiSD_SD_iiiii.has_dyn_sized_stack, 0
	.set _ZN4vllm25paged_attention_v1_kernelI14__hip_bfloat16S1_Li32ELi32ELi128ELNS_18Fp8KVCacheDataTypeE0ELb1EEEvPT_PKS3_PKT0_S9_ifPKiSB_iPKfiiiSD_SD_iiiii.has_recursion, 0
	.set _ZN4vllm25paged_attention_v1_kernelI14__hip_bfloat16S1_Li32ELi32ELi128ELNS_18Fp8KVCacheDataTypeE0ELb1EEEvPT_PKS3_PKT0_S9_ifPKiSB_iPKfiiiSD_SD_iiiii.has_indirect_call, 0
	.section	.AMDGPU.csdata,"",@progbits
; Kernel info:
; codeLenInByte = 6840
; TotalNumSgprs: 40
; NumVgprs: 78
; ScratchSize: 0
; MemoryBound: 0
; FloatMode: 240
; IeeeMode: 1
; LDSByteSize: 96 bytes/workgroup (compile time only)
; SGPRBlocks: 0
; VGPRBlocks: 4
; NumSGPRsForWavesPerEU: 40
; NumVGPRsForWavesPerEU: 78
; NamedBarCnt: 0
; Occupancy: 12
; WaveLimiterHint : 1
; COMPUTE_PGM_RSRC2:SCRATCH_EN: 0
; COMPUTE_PGM_RSRC2:USER_SGPR: 2
; COMPUTE_PGM_RSRC2:TRAP_HANDLER: 0
; COMPUTE_PGM_RSRC2:TGID_X_EN: 1
; COMPUTE_PGM_RSRC2:TGID_Y_EN: 1
; COMPUTE_PGM_RSRC2:TGID_Z_EN: 1
; COMPUTE_PGM_RSRC2:TIDIG_COMP_CNT: 0
	.section	.text._ZN4vllm25paged_attention_v1_kernelI14__hip_bfloat16S1_Li64ELi32ELi128ELNS_18Fp8KVCacheDataTypeE0ELb1EEEvPT_PKS3_PKT0_S9_ifPKiSB_iPKfiiiSD_SD_iiiii,"axG",@progbits,_ZN4vllm25paged_attention_v1_kernelI14__hip_bfloat16S1_Li64ELi32ELi128ELNS_18Fp8KVCacheDataTypeE0ELb1EEEvPT_PKS3_PKT0_S9_ifPKiSB_iPKfiiiSD_SD_iiiii,comdat
	.protected	_ZN4vllm25paged_attention_v1_kernelI14__hip_bfloat16S1_Li64ELi32ELi128ELNS_18Fp8KVCacheDataTypeE0ELb1EEEvPT_PKS3_PKT0_S9_ifPKiSB_iPKfiiiSD_SD_iiiii ; -- Begin function _ZN4vllm25paged_attention_v1_kernelI14__hip_bfloat16S1_Li64ELi32ELi128ELNS_18Fp8KVCacheDataTypeE0ELb1EEEvPT_PKS3_PKT0_S9_ifPKiSB_iPKfiiiSD_SD_iiiii
	.globl	_ZN4vllm25paged_attention_v1_kernelI14__hip_bfloat16S1_Li64ELi32ELi128ELNS_18Fp8KVCacheDataTypeE0ELb1EEEvPT_PKS3_PKT0_S9_ifPKiSB_iPKfiiiSD_SD_iiiii
	.p2align	8
	.type	_ZN4vllm25paged_attention_v1_kernelI14__hip_bfloat16S1_Li64ELi32ELi128ELNS_18Fp8KVCacheDataTypeE0ELb1EEEvPT_PKS3_PKT0_S9_ifPKiSB_iPKfiiiSD_SD_iiiii,@function
_ZN4vllm25paged_attention_v1_kernelI14__hip_bfloat16S1_Li64ELi32ELi128ELNS_18Fp8KVCacheDataTypeE0ELb1EEEvPT_PKS3_PKT0_S9_ifPKiSB_iPKfiiiSD_SD_iiiii: ; @_ZN4vllm25paged_attention_v1_kernelI14__hip_bfloat16S1_Li64ELi32ELi128ELNS_18Fp8KVCacheDataTypeE0ELb1EEEvPT_PKS3_PKT0_S9_ifPKiSB_iPKfiiiSD_SD_iiiii
; %bb.0:
	s_load_b64 s[22:23], s[0:1], 0x20
	s_bfe_u32 s3, ttmp6, 0x4000c
	s_bfe_u32 s4, ttmp6, 0x40010
	s_and_b32 s6, ttmp7, 0xffff
	s_add_co_i32 s3, s3, 1
	s_add_co_i32 s4, s4, 1
	s_and_b32 s2, ttmp6, 15
	s_bfe_u32 s5, ttmp6, 0x40004
	s_mul_i32 s3, ttmp9, s3
	s_mul_i32 s4, s6, s4
	s_getreg_b32 s26, hwreg(HW_REG_IB_STS2, 6, 4)
	s_add_co_i32 s2, s2, s3
	s_add_co_i32 s3, s5, s4
	s_cmp_eq_u32 s26, 0
	s_clause 0x1
	s_load_b32 s27, s[0:1], 0x80
	s_load_b64 s[4:5], s[0:1], 0x30
	s_cselect_b32 s28, s6, s3
	s_cselect_b32 s2, ttmp9, s2
	s_mov_b32 s15, 0
	s_delay_alu instid0(SALU_CYCLE_1) | instskip(SKIP_2) | instid1(SALU_CYCLE_1)
	s_mov_b32 s34, s15
	s_wait_kmcnt 0x0
	s_abs_i32 s3, s22
	s_cvt_f32_u32 s6, s3
	s_sub_co_i32 s7, 0, s3
	s_delay_alu instid0(SALU_CYCLE_2) | instskip(SKIP_2) | instid1(TRANS32_DEP_1)
	v_rcp_iflag_f32_e32 v1, s6
	s_abs_i32 s8, s27
	v_nop
	v_readfirstlane_b32 s6, v1
	s_mul_f32 s6, s6, 0x4f7ffffe
	s_delay_alu instid0(SALU_CYCLE_3) | instskip(NEXT) | instid1(SALU_CYCLE_3)
	s_cvt_u32_f32 s6, s6
	s_mul_i32 s7, s7, s6
	s_delay_alu instid0(SALU_CYCLE_1) | instskip(NEXT) | instid1(SALU_CYCLE_1)
	s_mul_hi_u32 s7, s6, s7
	s_add_co_i32 s6, s6, s7
	s_xor_b32 s7, s27, s22
	s_mul_hi_u32 s6, s8, s6
	s_ashr_i32 s7, s7, 31
	s_mul_i32 s9, s6, s3
	s_delay_alu instid0(SALU_CYCLE_1)
	s_sub_co_i32 s8, s8, s9
	s_add_co_i32 s9, s6, 1
	s_sub_co_i32 s10, s8, s3
	s_cmp_ge_u32 s8, s3
	s_cselect_b32 s6, s9, s6
	s_cselect_b32 s8, s10, s8
	s_add_co_i32 s9, s6, 1
	s_cmp_ge_u32 s8, s3
	s_cselect_b32 s3, s9, s6
	s_load_b64 s[8:9], s[0:1], 0x40
	s_xor_b32 s3, s3, s7
	s_abs_i32 s14, s2
	s_sub_co_i32 s12, s3, s7
	s_mov_b32 s7, s15
	s_abs_i32 s11, s12
	s_delay_alu instid0(SALU_CYCLE_1) | instskip(SKIP_1) | instid1(SALU_CYCLE_2)
	s_cvt_f32_u32 s3, s11
	s_sub_co_i32 s6, 0, s11
	v_rcp_iflag_f32_e32 v1, s3
	v_nop
	s_delay_alu instid0(TRANS32_DEP_1) | instskip(SKIP_1) | instid1(SALU_CYCLE_3)
	v_readfirstlane_b32 s3, v1
	s_mul_f32 s3, s3, 0x4f7ffffe
	s_cvt_u32_f32 s3, s3
	s_delay_alu instid0(SALU_CYCLE_3) | instskip(NEXT) | instid1(SALU_CYCLE_1)
	s_mul_i32 s6, s6, s3
	s_mul_hi_u32 s6, s3, s6
	s_delay_alu instid0(SALU_CYCLE_1)
	s_add_co_i32 s6, s3, s6
	s_wait_kmcnt 0x0
	s_cmp_eq_u64 s[8:9], 0
	s_cbranch_scc1 .LBB145_2
; %bb.1:
	s_ashr_i32 s3, s2, 31
	s_delay_alu instid0(SALU_CYCLE_1) | instskip(NEXT) | instid1(SALU_CYCLE_1)
	s_lshl_b64 s[16:17], s[2:3], 2
	s_add_nc_u64 s[8:9], s[8:9], s[16:17]
	s_load_b32 s34, s[8:9], 0x0
.LBB145_2:
	s_load_b32 s29, s[4:5], s28 offset:0x0 scale_offset
	s_wait_xcnt 0x0
	s_load_b96 s[8:10], s[0:1], 0x48
	v_lshlrev_b32_e32 v43, 4, v0
	s_ashr_i32 s3, s2, 31
	s_ashr_i32 s18, s12, 31
	s_mul_u64 s[16:17], s[14:15], s[6:7]
	s_lshl_b32 s12, s2, 6
	s_mov_b32 s4, exec_lo
	v_cmpx_gt_u32_e32 8, v0
	s_cbranch_execz .LBB145_4
; %bb.3:
	s_load_b64 s[6:7], s[0:1], 0x8
	s_wait_kmcnt 0x0
	s_mul_i32 s20, s8, s28
	s_ashr_i32 s13, s12, 31
	s_ashr_i32 s21, s20, 31
	s_delay_alu instid0(SALU_CYCLE_1) | instskip(NEXT) | instid1(SALU_CYCLE_1)
	s_lshl_b64 s[20:21], s[20:21], 1
	s_add_nc_u64 s[6:7], s[6:7], s[20:21]
	s_lshl_b64 s[20:21], s[12:13], 1
	s_delay_alu instid0(SALU_CYCLE_1)
	s_add_nc_u64 s[6:7], s[6:7], s[20:21]
	global_load_b128 v[2:5], v0, s[6:7] scale_offset
	s_wait_loadcnt 0x0
	ds_store_b128 v43, v[2:5]
.LBB145_4:
	s_or_b32 exec_lo, exec_lo, s4
	s_load_b128 s[4:7], s[0:1], 0x68
	s_wait_kmcnt 0x0
	s_mul_i32 s8, s17, s11
	s_xor_b32 s3, s3, s18
	s_sub_co_i32 s8, s14, s8
	s_add_co_i32 s13, s17, 1
	s_sub_co_i32 s14, s8, s11
	s_cmp_ge_u32 s8, s11
	s_mov_b32 s19, -1
	s_cselect_b32 s13, s13, s17
	s_cselect_b32 s8, s14, s8
	s_add_co_i32 s14, s13, 1
	s_cmp_ge_u32 s8, s11
	s_load_b32 s11, s[0:1], 0x78
	s_cselect_b32 s13, s14, s13
	s_add_co_i32 s18, s29, -1
	s_xor_b32 s13, s13, s3
	s_mov_b32 s17, 0
	s_sub_co_i32 s3, s13, s3
	s_abs_i32 s16, s18
	s_mov_b32 s15, s17
	s_abs_i32 s8, s7
	s_wait_dscnt 0x0
	s_cvt_f32_u32 s14, s8
	s_barrier_signal -1
	s_barrier_wait -1
	s_delay_alu instid0(SALU_CYCLE_1) | instskip(SKIP_1) | instid1(TRANS32_DEP_1)
	v_rcp_iflag_f32_e32 v1, s14
	v_nop
	v_readfirstlane_b32 s14, v1
	s_mul_f32 s13, s14, 0x4f7ffffe
	s_sub_co_i32 s14, 0, s8
	s_delay_alu instid0(SALU_CYCLE_2) | instskip(NEXT) | instid1(SALU_CYCLE_3)
	s_cvt_u32_f32 s13, s13
	s_mul_i32 s14, s14, s13
	s_delay_alu instid0(SALU_CYCLE_1) | instskip(NEXT) | instid1(SALU_CYCLE_1)
	s_mul_hi_u32 s14, s13, s14
	s_add_co_i32 s14, s13, s14
	s_wait_kmcnt 0x0
	s_cmp_lt_i32 s11, 0
                                        ; implicit-def: $sgpr13
	s_cbranch_scc0 .LBB145_6
; %bb.5:
	s_mul_i32 s13, s4, s22
	s_mov_b32 s19, s17
	s_add_co_i32 s13, s3, s13
	s_delay_alu instid0(SALU_CYCLE_1) | instskip(NEXT) | instid1(SALU_CYCLE_1)
	s_mul_i32 s13, s13, s11
	s_sub_co_i32 s13, 1, s13
.LBB145_6:
	s_ashr_i32 s18, s18, 31
	s_ashr_i32 s30, s7, 31
	s_and_not1_b32 vcc_lo, exec_lo, s19
	s_mul_u64 s[20:21], s[16:17], s[14:15]
	s_cbranch_vccnz .LBB145_8
; %bb.7:
	s_mul_i32 s4, s27, s4
	s_delay_alu instid0(SALU_CYCLE_1) | instskip(NEXT) | instid1(SALU_CYCLE_1)
	s_add_co_i32 s2, s4, s2
	s_mul_i32 s2, s2, s11
	s_delay_alu instid0(SALU_CYCLE_1)
	s_add_co_i32 s13, s2, 1
.LBB145_8:
	s_load_b32 s2, s[0:1], 0x38
	s_mul_i32 s7, s21, s8
	s_xor_b32 s4, s18, s30
	s_sub_co_i32 s20, s16, s7
	s_add_co_i32 s11, s21, 1
	s_clause 0x1
	s_load_b64 s[16:17], s[0:1], 0x28
	s_load_b32 s7, s[0:1], 0x88
	v_dual_lshrrev_b32 v1, 5, v0 :: v_dual_bitop2_b32 v108, 31, v0 bitop3:0x40
	v_mov_b32_e32 v111, 0xff7fffff
	s_delay_alu instid0(VALU_DEP_2) | instskip(NEXT) | instid1(VALU_DEP_3)
	v_dual_lshrrev_b32 v109, 3, v0 :: v_dual_lshlrev_b32 v42, 5, v1
	v_lshlrev_b32_e32 v110, 2, v108
	s_wait_kmcnt 0x0
	s_mul_i32 s18, s2, s28
	s_sub_co_i32 s2, s20, s8
	s_ashr_i32 s19, s18, 31
	s_cmp_ge_u32 s20, s8
	s_cselect_b32 s11, s11, s21
	s_cselect_b32 s2, s2, s20
	s_add_co_i32 s20, s11, 1
	s_cmp_ge_u32 s2, s8
	s_cselect_b32 s2, s20, s11
	s_add_co_i32 s11, s29, 31
	s_delay_alu instid0(SALU_CYCLE_1) | instskip(NEXT) | instid1(SALU_CYCLE_1)
	s_ashr_i32 s20, s11, 31
	s_lshr_b32 s20, s20, 27
	s_delay_alu instid0(SALU_CYCLE_1)
	s_add_co_i32 s11, s11, s20
	s_mul_i32 s20, s3, s10
	s_ashr_i32 s31, s11, 5
	s_xor_b32 s11, s2, s4
	v_cmp_gt_i32_e64 s2, s31, v1
	s_sub_co_i32 s33, s11, s4
	s_and_saveexec_b32 s22, s2
	s_cbranch_execz .LBB145_16
; %bb.9:
	v_mov_b32_e32 v35, 0
	s_ashr_i32 s21, s20, 31
	s_sub_co_i32 s35, s33, s5
	s_ashr_i32 s11, s9, 31
	s_lshl_b64 s[24:25], s[20:21], 1
	ds_load_b128 v[14:17], v35
	ds_load_b128 v[18:21], v35 offset:16
	ds_load_b128 v[10:13], v35 offset:32
	;; [unrolled: 1-line block ×5, first 2 shown]
	s_cmp_neq_f32 s34, 0
	s_load_b64 s[36:37], s[0:1], 0x10
	v_dual_mov_b32 v114, 0xff7fffff :: v_dual_mov_b32 v111, 0xff7fffff
	s_cselect_b32 vcc_lo, -1, 0
	s_abs_i32 s21, s6
	v_mov_b32_e32 v115, v1
	s_cvt_f32_u32 s3, s21
	s_sub_co_i32 s4, 0, s21
	s_mov_b32 s10, s9
	v_lshlrev_b32_e32 v34, 4, v108
	s_wait_dscnt 0x5
	v_and_b32_e32 v37, 0xffff0000, v14
	v_lshlrev_b32_e32 v36, 16, v14
	s_wait_dscnt 0x4
	v_dual_lshlrev_b32 v38, 16, v18 :: v_dual_lshlrev_b32 v50, 16, v15
	s_wait_dscnt 0x2
	v_and_b32_e32 v45, 0xffff0000, v6
	v_dual_lshlrev_b32 v44, 16, v6 :: v_dual_lshlrev_b32 v54, 16, v11
	s_wait_dscnt 0x1
	v_dual_lshlrev_b32 v46, 16, v22 :: v_dual_lshlrev_b32 v56, 16, v7
	v_and_b32_e32 v51, 0xffff0000, v15
	v_and_b32_e32 v57, 0xffff0000, v7
	s_wait_dscnt 0x0
	v_dual_lshlrev_b32 v60, 16, v3 :: v_dual_lshlrev_b32 v62, 16, v16
	v_and_b32_e32 v63, 0xffff0000, v16
	v_dual_lshlrev_b32 v64, 16, v20 :: v_dual_lshlrev_b32 v66, 16, v17
	v_and_b32_e32 v67, 0xffff0000, v17
	v_and_b32_e32 v73, 0xffff0000, v8
	ds_load_b128 v[14:17], v35 offset:96
	v_dual_lshlrev_b32 v72, 16, v8 :: v_dual_lshlrev_b32 v74, 16, v13
	v_dual_lshlrev_b32 v76, 16, v24 :: v_dual_lshlrev_b32 v78, 16, v9
	v_and_b32_e32 v79, 0xffff0000, v9
	ds_load_b128 v[6:9], v35 offset:112
	v_and_b32_e32 v49, 0xffff0000, v2
	v_dual_lshlrev_b32 v48, 16, v2 :: v_dual_lshlrev_b32 v58, 16, v23
	v_rcp_iflag_f32_e32 v2, s3
	s_wait_kmcnt 0x0
	s_add_nc_u64 s[24:25], s[36:37], s[24:25]
	v_and_b32_e32 v61, 0xffff0000, v3
	v_add_nc_u64_e32 v[102:103], s[24:25], v[34:35]
	v_and_b32_e32 v34, 0x7c, v109
	s_lshl_b64 s[24:25], s[18:19], 2
	v_lshl_or_b32 v3, v1, 7, v110
	v_readfirstlane_b32 s3, v2
	v_subrev_nc_u32_e32 v2, s29, v108
	s_add_nc_u64 s[24:25], s[16:17], s[24:25]
	v_and_b32_e32 v39, 0xffff0000, v18
	v_add_nc_u64_e32 v[104:105], s[24:25], v[34:35]
	s_mul_f32 s3, s3, 0x4f7ffffe
	v_and_b32_e32 v41, 0xffff0000, v10
	v_dual_lshlrev_b32 v40, 16, v10 :: v_dual_lshlrev_b32 v52, 16, v19
	s_wait_dscnt 0x0
	v_lshlrev_b32_e32 v100, 16, v9
	s_cvt_u32_f32 s3, s3
	v_and_b32_e32 v47, 0xffff0000, v22
	v_and_b32_e32 v53, 0xffff0000, v19
	;; [unrolled: 1-line block ×3, first 2 shown]
	s_mul_i32 s4, s4, s3
	v_and_b32_e32 v59, 0xffff0000, v23
	v_and_b32_e32 v65, 0xffff0000, v20
	;; [unrolled: 1-line block ×3, first 2 shown]
	v_dual_lshlrev_b32 v68, 16, v12 :: v_dual_lshlrev_b32 v70, 16, v21
	v_and_b32_e32 v71, 0xffff0000, v21
	v_and_b32_e32 v75, 0xffff0000, v13
	;; [unrolled: 1-line block ×4, first 2 shown]
	v_dual_lshlrev_b32 v80, 16, v4 :: v_dual_lshlrev_b32 v82, 16, v25
	v_and_b32_e32 v83, 0xffff0000, v25
	v_and_b32_e32 v85, 0xffff0000, v5
	v_dual_lshlrev_b32 v84, 16, v5 :: v_dual_lshlrev_b32 v86, 16, v14
	v_and_b32_e32 v87, 0xffff0000, v14
	v_and_b32_e32 v89, 0xffff0000, v15
	;; [unrolled: 3-line block ×5, first 2 shown]
	v_dual_lshlrev_b32 v34, 5, v1 :: v_dual_add_nc_u32 v112, 1, v2
	v_add_nc_u32_e32 v113, 0xa0, v3
	s_mul_hi_u32 s4, s3, s4
	s_mov_b32 s25, 0
	s_add_co_i32 s24, s3, s4
	s_mov_b32 s36, s25
	s_branch .LBB145_11
.LBB145_10:                             ;   in Loop: Header=BB145_11 Depth=1
	s_or_b32 exec_lo, exec_lo, s4
	v_add_nc_u32_e32 v115, 4, v115
	v_add_nc_u64_e32 v[104:105], 16, v[104:105]
	v_add_nc_u32_e32 v34, 0x80, v34
	v_add_nc_u32_e32 v113, 0x200, v113
	s_delay_alu instid0(VALU_DEP_4) | instskip(SKIP_1) | instid1(SALU_CYCLE_1)
	v_cmp_le_i32_e64 s3, s31, v115
	s_or_b32 s36, s3, s36
	s_and_not1_b32 exec_lo, exec_lo, s36
	s_cbranch_execz .LBB145_15
.LBB145_11:                             ; =>This Inner Loop Header: Depth=1
	v_mul_u64_e32 v[2:3], s[14:15], v[34:35]
	s_delay_alu instid0(VALU_DEP_1) | instskip(NEXT) | instid1(VALU_DEP_1)
	v_mul_lo_u32 v2, v3, s8
	v_dual_add_nc_u32 v4, 1, v3 :: v_dual_sub_nc_u32 v2, v34, v2
	s_delay_alu instid0(VALU_DEP_1) | instskip(SKIP_1) | instid1(VALU_DEP_1)
	v_subrev_nc_u32_e32 v5, s8, v2
	v_cmp_le_u32_e64 s3, s8, v2
	v_dual_cndmask_b32 v3, v3, v4, s3 :: v_dual_cndmask_b32 v2, v2, v5, s3
	s_delay_alu instid0(VALU_DEP_1) | instskip(NEXT) | instid1(VALU_DEP_2)
	v_add_nc_u32_e32 v4, 1, v3
	v_cmp_le_u32_e64 s3, s8, v2
	s_delay_alu instid0(VALU_DEP_1) | instskip(NEXT) | instid1(VALU_DEP_1)
	v_cndmask_b32_e64 v2, v3, v4, s3
	v_dual_mov_b32 v3, v35 :: v_dual_bitop2_b32 v2, s30, v2 bitop3:0x14
	s_delay_alu instid0(VALU_DEP_1) | instskip(NEXT) | instid1(VALU_DEP_1)
	v_subrev_nc_u32_e32 v6, s30, v2
	v_add_nc_u32_e32 v7, s13, v6
	v_cmp_ge_i32_e64 s4, s35, v6
	s_delay_alu instid0(VALU_DEP_2) | instskip(NEXT) | instid1(VALU_DEP_1)
	v_sub_nc_u32_e32 v2, 0, v7
	v_max_i32_e32 v2, v7, v2
	s_delay_alu instid0(VALU_DEP_1) | instskip(SKIP_1) | instid1(VALU_DEP_2)
	v_mul_u64_e32 v[4:5], s[24:25], v[2:3]
	v_ashrrev_i32_e32 v4, 31, v7
	v_mul_lo_u32 v3, v5, s21
	s_delay_alu instid0(VALU_DEP_1) | instskip(NEXT) | instid1(VALU_DEP_1)
	v_sub_nc_u32_e32 v2, v2, v3
	v_subrev_nc_u32_e32 v3, s21, v2
	v_cmp_le_u32_e64 s3, s21, v2
	s_delay_alu instid0(VALU_DEP_1) | instskip(NEXT) | instid1(VALU_DEP_1)
	v_cndmask_b32_e64 v2, v2, v3, s3
	v_subrev_nc_u32_e32 v3, s21, v2
	v_cmp_le_u32_e64 s3, s21, v2
	s_delay_alu instid0(VALU_DEP_1) | instskip(NEXT) | instid1(VALU_DEP_1)
	v_cndmask_b32_e64 v2, v2, v3, s3
	v_xor_b32_e32 v2, v2, v4
	s_delay_alu instid0(VALU_DEP_1) | instskip(NEXT) | instid1(VALU_DEP_1)
	v_sub_nc_u32_e32 v2, v2, v4
	v_cmp_ne_u32_e64 s3, 0, v2
	s_and_b32 s3, s3, s4
	s_delay_alu instid0(SALU_CYCLE_1) | instskip(NEXT) | instid1(SALU_CYCLE_1)
	s_and_saveexec_b32 s4, s3
	s_xor_b32 s3, exec_lo, s4
; %bb.12:                               ;   in Loop: Header=BB145_11 Depth=1
	ds_store_b32 v113, v114
; %bb.13:                               ;   in Loop: Header=BB145_11 Depth=1
	s_and_not1_saveexec_b32 s4, s3
	s_cbranch_execz .LBB145_10
; %bb.14:                               ;   in Loop: Header=BB145_11 Depth=1
	global_load_b32 v2, v[104:105], off
	v_add_nc_u32_e32 v5, v112, v34
	s_delay_alu instid0(VALU_DEP_1) | instskip(NEXT) | instid1(VALU_DEP_1)
	v_cvt_f32_i32_e32 v5, v5
	v_dual_mul_f32 v5, s34, v5 :: v_dual_add_nc_u32 v4, v108, v34
	s_delay_alu instid0(VALU_DEP_1) | instskip(NEXT) | instid1(VALU_DEP_2)
	v_cndmask_b32_e32 v116, 0, v5, vcc_lo
	v_cmp_gt_i32_e64 s3, s29, v4
	s_wait_loadcnt 0x0
	v_ashrrev_i32_e32 v3, 31, v2
	s_delay_alu instid0(VALU_DEP_1) | instskip(NEXT) | instid1(VALU_DEP_1)
	v_mul_u64_e32 v[2:3], s[10:11], v[2:3]
	v_lshl_add_u64 v[2:3], v[2:3], 1, v[102:103]
	s_clause 0x7
	global_load_b128 v[30:33], v[2:3], off
	global_load_b128 v[26:29], v[2:3], off offset:512
	global_load_b128 v[22:25], v[2:3], off offset:1024
	;; [unrolled: 1-line block ×7, first 2 shown]
	s_wait_loadcnt 0x7
	v_and_b32_e32 v107, 0xffff0000, v30
	s_wait_loadcnt 0x6
	v_and_b32_e32 v119, 0xffff0000, v26
	v_lshlrev_b32_e32 v118, 16, v26
	v_dual_lshlrev_b32 v106, 16, v30 :: v_dual_lshlrev_b32 v30, 16, v27
	s_delay_alu instid0(VALU_DEP_2) | instskip(NEXT) | instid1(VALU_DEP_1)
	v_pk_mul_f32 v[118:119], v[38:39], v[118:119]
	v_pk_fma_f32 v[106:107], v[36:37], v[106:107], v[118:119]
	s_wait_loadcnt 0x5
	v_and_b32_e32 v119, 0xffff0000, v22
	v_lshlrev_b32_e32 v118, 16, v22
	s_delay_alu instid0(VALU_DEP_1) | instskip(SKIP_3) | instid1(VALU_DEP_1)
	v_pk_fma_f32 v[106:107], v[40:41], v[118:119], v[106:107]
	s_wait_loadcnt 0x4
	v_and_b32_e32 v119, 0xffff0000, v18
	v_lshlrev_b32_e32 v118, 16, v18
	v_pk_fma_f32 v[106:107], v[44:45], v[118:119], v[106:107]
	s_wait_loadcnt 0x3
	v_and_b32_e32 v119, 0xffff0000, v14
	v_lshlrev_b32_e32 v118, 16, v14
	s_delay_alu instid0(VALU_DEP_1) | instskip(SKIP_3) | instid1(VALU_DEP_1)
	v_pk_fma_f32 v[106:107], v[46:47], v[118:119], v[106:107]
	s_wait_loadcnt 0x2
	v_and_b32_e32 v119, 0xffff0000, v10
	v_lshlrev_b32_e32 v118, 16, v10
	;; [unrolled: 9-line block ×3, first 2 shown]
	v_pk_fma_f32 v[106:107], v[94:95], v[118:119], v[106:107]
	v_and_b32_e32 v119, 0xffff0000, v31
	v_lshlrev_b32_e32 v118, 16, v31
	v_and_b32_e32 v31, 0xffff0000, v27
	s_delay_alu instid0(VALU_DEP_1) | instskip(SKIP_2) | instid1(VALU_DEP_3)
	v_pk_mul_f32 v[26:27], v[52:53], v[30:31]
	v_and_b32_e32 v31, 0xffff0000, v23
	v_lshlrev_b32_e32 v30, 16, v23
	v_pk_fma_f32 v[26:27], v[50:51], v[118:119], v[26:27]
	s_delay_alu instid0(VALU_DEP_1) | instskip(SKIP_2) | instid1(VALU_DEP_1)
	v_pk_fma_f32 v[22:23], v[54:55], v[30:31], v[26:27]
	v_and_b32_e32 v27, 0xffff0000, v19
	v_lshlrev_b32_e32 v26, 16, v19
	v_pk_fma_f32 v[18:19], v[56:57], v[26:27], v[22:23]
	v_and_b32_e32 v23, 0xffff0000, v15
	v_lshlrev_b32_e32 v22, 16, v15
	s_delay_alu instid0(VALU_DEP_1) | instskip(SKIP_2) | instid1(VALU_DEP_1)
	v_pk_fma_f32 v[14:15], v[58:59], v[22:23], v[18:19]
	v_and_b32_e32 v19, 0xffff0000, v11
	v_lshlrev_b32_e32 v18, 16, v11
	v_pk_fma_f32 v[10:11], v[60:61], v[18:19], v[14:15]
	v_and_b32_e32 v15, 0xffff0000, v7
	v_lshlrev_b32_e32 v14, 16, v7
	s_delay_alu instid0(VALU_DEP_1) | instskip(SKIP_3) | instid1(VALU_DEP_2)
	v_pk_fma_f32 v[6:7], v[88:89], v[14:15], v[10:11]
	v_and_b32_e32 v11, 0xffff0000, v3
	v_dual_lshlrev_b32 v10, 16, v3 :: v_dual_lshlrev_b32 v14, 16, v29
	v_and_b32_e32 v15, 0xffff0000, v29
	v_pk_fma_f32 v[2:3], v[96:97], v[10:11], v[6:7]
	v_and_b32_e32 v11, 0xffff0000, v28
	v_lshlrev_b32_e32 v10, 16, v28
	v_and_b32_e32 v7, 0xffff0000, v32
	v_lshlrev_b32_e32 v6, 16, v32
	v_pk_mul_f32 v[14:15], v[70:71], v[14:15]
	s_delay_alu instid0(VALU_DEP_4) | instskip(NEXT) | instid1(VALU_DEP_1)
	v_pk_mul_f32 v[10:11], v[64:65], v[10:11]
	v_pk_fma_f32 v[6:7], v[62:63], v[6:7], v[10:11]
	v_and_b32_e32 v11, 0xffff0000, v24
	v_lshlrev_b32_e32 v10, 16, v24
	s_delay_alu instid0(VALU_DEP_1) | instskip(SKIP_2) | instid1(VALU_DEP_1)
	v_pk_fma_f32 v[6:7], v[68:69], v[10:11], v[6:7]
	v_and_b32_e32 v11, 0xffff0000, v20
	v_lshlrev_b32_e32 v10, 16, v20
	v_pk_fma_f32 v[6:7], v[72:73], v[10:11], v[6:7]
	v_and_b32_e32 v11, 0xffff0000, v16
	v_lshlrev_b32_e32 v10, 16, v16
	s_delay_alu instid0(VALU_DEP_1) | instskip(SKIP_2) | instid1(VALU_DEP_1)
	v_pk_fma_f32 v[6:7], v[76:77], v[10:11], v[6:7]
	v_and_b32_e32 v11, 0xffff0000, v12
	v_dual_lshlrev_b32 v10, 16, v12 :: v_dual_lshlrev_b32 v12, 16, v9
	v_pk_fma_f32 v[6:7], v[80:81], v[10:11], v[6:7]
	v_and_b32_e32 v11, 0xffff0000, v8
	v_lshlrev_b32_e32 v10, 16, v8
	s_delay_alu instid0(VALU_DEP_1) | instskip(SKIP_2) | instid1(VALU_DEP_1)
	v_pk_fma_f32 v[6:7], v[90:91], v[10:11], v[6:7]
	v_and_b32_e32 v11, 0xffff0000, v4
	v_lshlrev_b32_e32 v10, 16, v4
	v_pk_fma_f32 v[6:7], v[98:99], v[10:11], v[6:7]
	v_and_b32_e32 v11, 0xffff0000, v33
	v_lshlrev_b32_e32 v10, 16, v33
	s_delay_alu instid0(VALU_DEP_1) | instskip(SKIP_2) | instid1(VALU_DEP_1)
	v_pk_fma_f32 v[10:11], v[66:67], v[10:11], v[14:15]
	v_and_b32_e32 v15, 0xffff0000, v25
	v_lshlrev_b32_e32 v14, 16, v25
	;; [unrolled: 7-line block ×3, first 2 shown]
	v_pk_fma_f32 v[10:11], v[82:83], v[14:15], v[10:11]
	v_and_b32_e32 v15, 0xffff0000, v13
	v_lshlrev_b32_e32 v14, 16, v13
	v_and_b32_e32 v13, 0xffff0000, v9
	s_delay_alu instid0(VALU_DEP_2) | instskip(NEXT) | instid1(VALU_DEP_1)
	v_pk_fma_f32 v[10:11], v[84:85], v[14:15], v[10:11]
	v_pk_fma_f32 v[8:9], v[92:93], v[12:13], v[10:11]
	v_and_b32_e32 v11, 0xffff0000, v5
	v_lshlrev_b32_e32 v10, 16, v5
	s_delay_alu instid0(VALU_DEP_1) | instskip(SKIP_1) | instid1(VALU_DEP_1)
	v_pk_fma_f32 v[4:5], v[100:101], v[10:11], v[8:9]
	v_add_f32_e32 v8, v106, v107
	v_add_f32_e32 v2, v8, v2
	s_delay_alu instid0(VALU_DEP_1) | instskip(NEXT) | instid1(VALU_DEP_1)
	v_add_f32_e32 v2, v3, v2
	v_dual_max_num_f32 v3, v111, v111 :: v_dual_add_f32 v2, v6, v2
	s_delay_alu instid0(VALU_DEP_1) | instskip(NEXT) | instid1(VALU_DEP_1)
	v_add_f32_e32 v2, v7, v2
	v_add_f32_e32 v2, v4, v2
	s_delay_alu instid0(VALU_DEP_1) | instskip(NEXT) | instid1(VALU_DEP_1)
	v_add_f32_e32 v2, v5, v2
	v_fmac_f32_e32 v116, s23, v2
	s_delay_alu instid0(VALU_DEP_1) | instskip(NEXT) | instid1(VALU_DEP_1)
	v_dual_max_num_f32 v3, v3, v116 :: v_dual_cndmask_b32 v2, 0, v116, s3
	v_cndmask_b32_e64 v111, v111, v3, s3
	ds_store_b32 v113, v2
	s_branch .LBB145_10
.LBB145_15:
	s_or_b32 exec_lo, exec_lo, s36
.LBB145_16:
	s_delay_alu instid0(SALU_CYCLE_1) | instskip(SKIP_4) | instid1(VALU_DEP_1)
	s_or_b32 exec_lo, exec_lo, s22
	v_mbcnt_lo_u32_b32 v5, -1, 0
	s_clause 0x1
	s_load_b64 s[10:11], s[0:1], 0x0
	s_load_b64 s[22:23], s[0:1], 0x18
	v_dual_max_num_f32 v6, v111, v111 :: v_dual_bitop2_b32 v2, 16, v5 bitop3:0x14
	v_xor_b32_e32 v4, 8, v5
	s_delay_alu instid0(VALU_DEP_2) | instskip(SKIP_1) | instid1(VALU_DEP_3)
	v_cmp_gt_i32_e32 vcc_lo, 32, v2
	v_cndmask_b32_e32 v2, v5, v2, vcc_lo
	v_cmp_gt_i32_e32 vcc_lo, 32, v4
	s_delay_alu instid0(VALU_DEP_2) | instskip(SKIP_3) | instid1(VALU_DEP_1)
	v_dual_lshlrev_b32 v2, 2, v2 :: v_dual_cndmask_b32 v4, v5, v4, vcc_lo
	ds_bpermute_b32 v3, v2, v111
	s_wait_dscnt 0x0
	v_dual_max_num_f32 v7, v3, v3 :: v_dual_lshlrev_b32 v3, 2, v4
	v_dual_max_num_f32 v6, v6, v7 :: v_dual_bitop2_b32 v7, 4, v5 bitop3:0x14
	ds_bpermute_b32 v4, v3, v6
	v_cmp_gt_i32_e32 vcc_lo, 32, v7
	s_wait_dscnt 0x0
	v_dual_cndmask_b32 v7, v5, v7 :: v_dual_max_num_f32 v8, v4, v4
	s_delay_alu instid0(VALU_DEP_1) | instskip(SKIP_3) | instid1(VALU_DEP_1)
	v_dual_lshlrev_b32 v4, 2, v7 :: v_dual_max_num_f32 v6, v6, v8
	ds_bpermute_b32 v7, v4, v6
	s_wait_dscnt 0x0
	v_dual_max_num_f32 v7, v7, v7 :: v_dual_bitop2_b32 v8, 2, v5 bitop3:0x14
	v_cmp_gt_i32_e32 vcc_lo, 32, v8
	s_delay_alu instid0(VALU_DEP_2) | instskip(NEXT) | instid1(VALU_DEP_1)
	v_dual_max_num_f32 v6, v6, v7 :: v_dual_cndmask_b32 v8, v5, v8, vcc_lo
	v_dual_lshlrev_b32 v57, 2, v8 :: v_dual_bitop2_b32 v8, 1, v5 bitop3:0x14
	ds_bpermute_b32 v7, v57, v6
	v_cmp_gt_i32_e32 vcc_lo, 32, v8
	v_cndmask_b32_e32 v5, v5, v8, vcc_lo
	v_cmp_eq_u32_e32 vcc_lo, 0, v108
	s_delay_alu instid0(VALU_DEP_2) | instskip(SKIP_2) | instid1(VALU_DEP_1)
	v_lshlrev_b32_e32 v56, 2, v5
	s_wait_dscnt 0x0
	v_dual_lshlrev_b32 v5, 2, v1 :: v_dual_max_num_f32 v7, v7, v7
	v_max_num_f32_e32 v6, v6, v7
	ds_bpermute_b32 v7, v56, v6
	s_wait_xcnt 0x0
	s_and_saveexec_b32 s0, vcc_lo
	s_cbranch_execz .LBB145_18
; %bb.17:
	s_wait_dscnt 0x0
	v_dual_max_num_f32 v7, v7, v7 :: v_dual_max_num_f32 v6, v6, v6
	s_delay_alu instid0(VALU_DEP_1)
	v_max_num_f32_e32 v6, v6, v7
	ds_store_b32 v5, v6 offset:128
.LBB145_18:
	s_or_b32 exec_lo, exec_lo, s0
	v_cmp_gt_u32_e64 s0, 4, v108
	v_mov_b32_e32 v6, 0xff7fffff
	s_wait_dscnt 0x0
	s_barrier_signal -1
	s_barrier_wait -1
	s_and_saveexec_b32 s1, s0
; %bb.19:
	ds_load_b32 v6, v110 offset:128
; %bb.20:
	s_or_b32 exec_lo, exec_lo, s1
	s_wait_dscnt 0x0
	ds_bpermute_b32 v7, v57, v6
	v_max_num_f32_e32 v6, v6, v6
	s_lshl_b32 s1, s31, 5
	s_delay_alu instid0(SALU_CYCLE_1) | instskip(NEXT) | instid1(SALU_CYCLE_1)
	s_min_i32 s4, s1, s29
	v_cmp_gt_i32_e64 s1, s4, v0
	s_wait_dscnt 0x0
	v_max_num_f32_e32 v7, v7, v7
	s_delay_alu instid0(VALU_DEP_1) | instskip(SKIP_3) | instid1(VALU_DEP_1)
	v_max_num_f32_e32 v6, v6, v7
	ds_bpermute_b32 v7, v56, v6
	s_wait_dscnt 0x0
	v_max_num_f32_e32 v7, v7, v7
	v_dual_max_num_f32 v7, v6, v7 :: v_dual_mov_b32 v6, 0
	ds_bpermute_b32 v7, v6, v7
	s_and_saveexec_b32 s21, s1
	s_cbranch_execz .LBB145_24
; %bb.21:
	v_lshl_add_u32 v8, v0, 2, 0xa0
	v_dual_mov_b32 v6, 0 :: v_dual_mov_b32 v9, v0
	s_mov_b32 s24, 0
.LBB145_22:                             ; =>This Inner Loop Header: Depth=1
	ds_load_b32 v10, v8
	v_add_nc_u32_e32 v9, 0x80, v9
	s_delay_alu instid0(VALU_DEP_1) | instskip(SKIP_3) | instid1(VALU_DEP_1)
	v_cmp_le_i32_e64 s3, s4, v9
	s_or_b32 s24, s3, s24
	s_wait_dscnt 0x0
	v_sub_f32_e32 v10, v10, v7
	v_mul_f32_e32 v10, 0x3fb8aa3b, v10
	s_delay_alu instid0(VALU_DEP_1)
	v_exp_f32_e32 v10, v10
	ds_store_b32 v8, v10
	v_nop
	v_add_f32_e32 v6, v6, v10
	v_add_nc_u32_e32 v8, 0x200, v8
	s_and_not1_b32 exec_lo, exec_lo, s24
	s_cbranch_execnz .LBB145_22
; %bb.23:
	s_or_b32 exec_lo, exec_lo, s24
.LBB145_24:
	s_delay_alu instid0(SALU_CYCLE_1)
	s_or_b32 exec_lo, exec_lo, s21
	ds_bpermute_b32 v2, v2, v6
	s_wait_dscnt 0x0
	v_add_f32_e32 v2, v6, v2
	ds_bpermute_b32 v3, v3, v2
	s_wait_dscnt 0x0
	v_add_f32_e32 v2, v2, v3
	;; [unrolled: 3-line block ×5, first 2 shown]
	s_and_saveexec_b32 s3, vcc_lo
; %bb.25:
	ds_store_b32 v5, v2 offset:144
; %bb.26:
	s_or_b32 exec_lo, exec_lo, s3
	s_wait_dscnt 0x0
	s_barrier_signal -1
	s_barrier_wait -1
	s_and_saveexec_b32 s3, s0
; %bb.27:
	ds_load_b32 v2, v110 offset:144
; %bb.28:
	s_or_b32 exec_lo, exec_lo, s3
	s_wait_dscnt 0x0
	ds_bpermute_b32 v3, v57, v2
	s_wait_dscnt 0x0
	v_dual_mov_b32 v45, 0 :: v_dual_add_f32 v2, v2, v3
	ds_bpermute_b32 v3, v56, v2
	s_wait_dscnt 0x0
	v_add_f32_e32 v2, v2, v3
	ds_bpermute_b32 v2, v45, v2
	s_and_saveexec_b32 s0, s1
	s_cbranch_execz .LBB145_41
; %bb.29:
	s_wait_dscnt 0x0
	v_add_f32_e32 v2, 0x358637bd, v2
	s_mov_b32 s3, -1
	s_mov_b32 s1, exec_lo
	s_delay_alu instid0(VALU_DEP_1) | instskip(NEXT) | instid1(VALU_DEP_1)
	v_div_scale_f32 v3, null, v2, v2, 1.0
	v_rcp_f32_e32 v5, v3
	v_nop
	s_delay_alu instid0(TRANS32_DEP_1) | instskip(NEXT) | instid1(VALU_DEP_1)
	v_fma_f32 v4, -v3, v5, 1.0
	v_fmac_f32_e32 v5, v4, v5
	v_div_scale_f32 v6, vcc_lo, 1.0, v2, 1.0
	s_delay_alu instid0(VALU_DEP_1) | instskip(NEXT) | instid1(VALU_DEP_1)
	v_mul_f32_e32 v7, v6, v5
	v_fma_f32 v4, -v3, v7, v6
	s_delay_alu instid0(VALU_DEP_1) | instskip(SKIP_1) | instid1(VALU_DEP_2)
	v_fmac_f32_e32 v7, v4, v5
	v_xad_u32 v4, v0, -1, s4
	v_fma_f32 v3, -v3, v7, v6
	s_delay_alu instid0(VALU_DEP_1) | instskip(NEXT) | instid1(VALU_DEP_1)
	v_div_fmas_f32 v3, v3, v5, v7
	v_div_fixup_f32 v2, v3, v2, 1.0
	v_mov_b32_e32 v3, v0
	v_cmpx_lt_u32_e32 0x7f, v4
	s_cbranch_execz .LBB145_38
; %bb.30:
	s_delay_alu instid0(VALU_DEP_3) | instskip(NEXT) | instid1(VALU_DEP_1)
	v_dual_mov_b32 v3, v2 :: v_dual_lshrrev_b32 v4, 7, v4
	v_dual_mov_b32 v8, 0 :: v_dual_add_nc_u32 v5, -1, v4
	s_delay_alu instid0(VALU_DEP_1) | instskip(SKIP_1) | instid1(VALU_DEP_2)
	v_lshrrev_b32_e32 v6, 1, v5
	v_cmp_lt_u32_e32 vcc_lo, 13, v5
	v_add_nc_u32_e32 v5, 1, v6
	s_and_saveexec_b32 s3, vcc_lo
	s_cbranch_execz .LBB145_34
; %bb.31:
	s_delay_alu instid0(VALU_DEP_1)
	v_and_b32_e32 v6, -8, v5
	v_lshl_add_u32 v7, v0, 2, 0xa0
	s_mov_b32 s21, 0
	s_mov_b32 s24, 0
.LBB145_32:                             ; =>This Inner Loop Header: Depth=1
	ds_load_2addr_stride64_b32 v[8:9], v7 offset1:2
	ds_load_2addr_stride64_b32 v[10:11], v7 offset0:4 offset1:6
	ds_load_2addr_stride64_b32 v[12:13], v7 offset0:8 offset1:10
	;; [unrolled: 1-line block ×7, first 2 shown]
	s_add_co_i32 s24, s24, 16
	v_add_nc_u32_e32 v6, -8, v6
	s_wait_dscnt 0x7
	v_pk_mul_f32 v[8:9], v[2:3], v[8:9]
	s_wait_dscnt 0x6
	v_pk_mul_f32 v[10:11], v[2:3], v[10:11]
	;; [unrolled: 2-line block ×8, first 2 shown]
	ds_store_2addr_stride64_b32 v7, v8, v9 offset1:2
	ds_store_2addr_stride64_b32 v7, v10, v11 offset0:4 offset1:6
	ds_store_2addr_stride64_b32 v7, v12, v13 offset0:8 offset1:10
	;; [unrolled: 1-line block ×7, first 2 shown]
	v_mov_b32_e32 v8, s24
	v_cmp_eq_u32_e32 vcc_lo, 0, v6
	v_add_nc_u32_e32 v7, 0x2000, v7
	s_or_b32 s21, vcc_lo, s21
	s_delay_alu instid0(SALU_CYCLE_1)
	s_and_not1_b32 exec_lo, exec_lo, s21
	s_cbranch_execnz .LBB145_32
; %bb.33:
	s_or_b32 exec_lo, exec_lo, s21
.LBB145_34:
	s_delay_alu instid0(SALU_CYCLE_1) | instskip(NEXT) | instid1(VALU_DEP_1)
	s_or_b32 exec_lo, exec_lo, s3
	v_and_b32_e32 v5, 7, v5
	s_mov_b32 s21, 0
	s_mov_b32 s3, exec_lo
	s_delay_alu instid0(VALU_DEP_1)
	v_cmpx_ne_u32_e32 0, v5
	s_cbranch_execz .LBB145_37
; %bb.35:
	v_lshlrev_b32_e32 v6, 9, v8
	v_lshlrev_b32_e32 v7, 2, v0
	s_delay_alu instid0(VALU_DEP_1)
	v_add3_u32 v6, v6, v7, 0xa0
.LBB145_36:                             ; =>This Inner Loop Header: Depth=1
	ds_load_2addr_stride64_b32 v[8:9], v6 offset1:2
	v_add_nc_u32_e32 v5, -1, v5
	s_delay_alu instid0(VALU_DEP_1)
	v_cmp_eq_u32_e32 vcc_lo, 0, v5
	s_or_b32 s21, vcc_lo, s21
	s_wait_dscnt 0x0
	v_pk_mul_f32 v[8:9], v[2:3], v[8:9]
	ds_store_2addr_stride64_b32 v6, v8, v9 offset1:2
	v_add_nc_u32_e32 v6, 0x400, v6
	s_and_not1_b32 exec_lo, exec_lo, s21
	s_cbranch_execnz .LBB145_36
.LBB145_37:
	s_or_b32 exec_lo, exec_lo, s3
	v_add_nc_u32_e32 v3, 1, v4
	s_delay_alu instid0(VALU_DEP_1) | instskip(NEXT) | instid1(VALU_DEP_1)
	v_and_b32_e32 v4, 0x3fffffe, v3
	v_cmp_ne_u32_e32 vcc_lo, v3, v4
	v_lshl_add_u32 v3, v4, 7, v0
	s_or_not1_b32 s3, vcc_lo, exec_lo
.LBB145_38:
	s_or_b32 exec_lo, exec_lo, s1
	s_delay_alu instid0(SALU_CYCLE_1)
	s_and_b32 exec_lo, exec_lo, s3
	s_cbranch_execz .LBB145_41
; %bb.39:
	v_lshl_add_u32 v4, v3, 2, 0xa0
	s_mov_b32 s1, 0
.LBB145_40:                             ; =>This Inner Loop Header: Depth=1
	ds_load_b32 v5, v4
	v_add_nc_u32_e32 v3, 0x80, v3
	s_delay_alu instid0(VALU_DEP_1)
	v_cmp_le_i32_e32 vcc_lo, s4, v3
	s_or_b32 s1, vcc_lo, s1
	s_wait_dscnt 0x0
	v_mul_f32_e32 v5, v2, v5
	ds_store_b32 v4, v5
	v_add_nc_u32_e32 v4, 0x200, v4
	s_and_not1_b32 exec_lo, exec_lo, s1
	s_cbranch_execnz .LBB145_40
.LBB145_41:
	s_or_b32 exec_lo, exec_lo, s0
	v_dual_mov_b32 v44, 0 :: v_dual_bitop2_b32 v58, 3, v0 bitop3:0x40
	v_dual_mov_b32 v47, 0 :: v_dual_mov_b32 v46, 0
	v_dual_mov_b32 v49, 0 :: v_dual_mov_b32 v48, 0
	v_dual_mov_b32 v51, 0 :: v_dual_mov_b32 v50, 0
	s_wait_dscnt 0x0
	s_barrier_signal -1
	s_barrier_wait -1
	s_and_saveexec_b32 s1, s2
	s_cbranch_execz .LBB145_63
; %bb.42:
	s_abs_i32 s6, s6
	v_lshlrev_b32_e32 v5, 3, v0
	s_cvt_f32_u32 s0, s6
	v_and_b32_e32 v2, 0x1f0, v43
	v_dual_mov_b32 v43, 0 :: v_dual_lshlrev_b32 v6, 5, v58
	s_delay_alu instid0(SALU_CYCLE_1) | instskip(SKIP_2) | instid1(VALU_DEP_2)
	v_rcp_iflag_f32_e32 v3, s0
	s_ashr_i32 s21, s20, 31
	v_and_b32_e32 v4, 0x7c, v109
	v_dual_mov_b32 v5, v43 :: v_dual_bitop2_b32 v59, 24, v5 bitop3:0x40
	s_lshl_b64 s[18:19], s[18:19], 2
	s_lshl_b64 s[20:21], s[20:21], 1
	s_delay_alu instid0(TRANS32_DEP_1)
	v_readfirstlane_b32 s0, v3
	v_mov_b32_e32 v3, v43
	v_lshl_or_b32 v6, v1, 7, v6
	s_add_nc_u64 s[16:17], s[16:17], s[18:19]
	s_wait_kmcnt 0x0
	s_add_nc_u64 s[18:19], s[22:23], s[20:21]
	s_mul_f32 s0, s0, 0x4f7ffffe
	s_sub_co_i32 s4, 0, s6
	v_add_nc_u64_e32 v[52:53], s[18:19], v[2:3]
	v_add_nc_u64_e32 v[54:55], s[16:17], v[4:5]
	s_cvt_u32_f32 s0, s0
	v_dual_mov_b32 v61, v1 :: v_dual_add_nc_u32 v60, 0xa0, v6
	v_dual_mov_b32 v50, v43 :: v_dual_mov_b32 v51, v43
	s_delay_alu instid0(SALU_CYCLE_1)
	s_mul_i32 s4, s4, s0
	v_dual_mov_b32 v48, v43 :: v_dual_mov_b32 v49, v43
	v_dual_mov_b32 v46, v43 :: v_dual_mov_b32 v47, v43
	;; [unrolled: 1-line block ×3, first 2 shown]
	s_sub_co_i32 s24, s33, s5
	s_mov_b32 s5, 0
	s_mul_hi_u32 s4, s0, s4
	s_ashr_i32 s3, s9, 31
	s_mov_b32 s2, s9
	s_add_co_i32 s9, s31, -1
	s_mov_b32 s16, s29
	s_add_co_i32 s4, s0, s4
	s_mov_b32 s17, s5
	s_branch .LBB145_45
.LBB145_43:                             ;   in Loop: Header=BB145_45 Depth=1
	s_or_b32 exec_lo, exec_lo, s0
	s_wait_dscnt 0x1
	v_cvt_pk_bf16_f32 v18, v18, v19
	v_cvt_pk_bf16_f32 v19, v20, v21
	s_wait_dscnt 0x0
	v_cvt_pk_bf16_f32 v10, v10, v11
	v_cvt_pk_bf16_f32 v12, v12, v13
	s_wait_loadcnt 0x1
	v_pk_mul_bf16 v11, v18, v38
	v_pk_mul_bf16 v20, v19, v39
	;; [unrolled: 1-line block ×5, first 2 shown]
	s_delay_alu instid0(VALU_DEP_4)
	v_dual_lshlrev_b32 v21, 16, v11 :: v_dual_lshlrev_b32 v38, 16, v20
	v_and_b32_e32 v11, 0xffff0000, v11
	v_and_b32_e32 v20, 0xffff0000, v20
	v_lshlrev_b32_e32 v40, 16, v13
	v_and_b32_e32 v13, 0xffff0000, v13
	v_pk_mul_bf16 v27, v19, v27
	s_delay_alu instid0(VALU_DEP_4) | instskip(SKIP_3) | instid1(VALU_DEP_3)
	v_dual_add_f32 v11, v21, v11 :: v_dual_add_f32 v20, v38, v20
	v_pk_mul_bf16 v21, v18, v34
	v_pk_mul_bf16 v34, v19, v35
	v_dual_lshlrev_b32 v35, 16, v39 :: v_dual_add_f32 v13, v40, v13
	v_dual_add_f32 v11, v20, v11 :: v_dual_lshlrev_b32 v38, 16, v21
	v_and_b32_e32 v20, 0xffff0000, v39
	v_and_b32_e32 v21, 0xffff0000, v21
	s_delay_alu instid0(VALU_DEP_3) | instskip(SKIP_4) | instid1(VALU_DEP_3)
	v_dual_lshlrev_b32 v39, 16, v34 :: v_dual_add_f32 v11, v13, v11
	v_and_b32_e32 v13, 0xffff0000, v34
	v_pk_mul_bf16 v34, v10, v36
	v_pk_mul_bf16 v36, v12, v37
	v_dual_add_f32 v21, v38, v21 :: v_dual_lshlrev_b32 v38, 16, v26
	v_dual_add_f32 v13, v39, v13 :: v_dual_lshlrev_b32 v37, 16, v34
	v_and_b32_e32 v34, 0xffff0000, v34
	v_and_b32_e32 v26, 0xffff0000, v26
	v_lshlrev_b32_e32 v39, 16, v27
	v_and_b32_e32 v27, 0xffff0000, v27
	v_pk_mul_bf16 v28, v10, v28
	s_delay_alu instid0(VALU_DEP_4) | instskip(NEXT) | instid1(VALU_DEP_3)
	v_dual_add_f32 v13, v13, v21 :: v_dual_add_f32 v26, v38, v26
	v_dual_add_f32 v21, v37, v34 :: v_dual_add_f32 v27, v39, v27
	s_delay_alu instid0(VALU_DEP_3) | instskip(SKIP_4) | instid1(VALU_DEP_4)
	v_lshlrev_b32_e32 v34, 16, v28
	v_and_b32_e32 v28, 0xffff0000, v28
	v_pk_mul_bf16 v29, v12, v29
	v_lshlrev_b32_e32 v37, 16, v36
	v_and_b32_e32 v36, 0xffff0000, v36
	v_dual_add_f32 v26, v27, v26 :: v_dual_add_f32 v27, v34, v28
	v_add_f32_e32 v13, v21, v13
	v_lshlrev_b32_e32 v28, 16, v29
	v_and_b32_e32 v29, 0xffff0000, v29
	v_add_f32_e32 v20, v35, v20
	v_dual_add_f32 v21, v37, v36 :: v_dual_add_f32 v26, v27, v26
	v_pk_mul_bf16 v22, v18, v22
	s_delay_alu instid0(VALU_DEP_4) | instskip(NEXT) | instid1(VALU_DEP_3)
	v_add_f32_e32 v27, v28, v29
	v_dual_add_f32 v11, v20, v11 :: v_dual_add_f32 v13, v21, v13
	v_pk_mul_bf16 v20, v19, v23
	s_delay_alu instid0(VALU_DEP_4) | instskip(NEXT) | instid1(VALU_DEP_4)
	v_lshlrev_b32_e32 v23, 16, v22
	v_add_f32_e32 v21, v27, v26
	v_and_b32_e32 v22, 0xffff0000, v22
	s_delay_alu instid0(VALU_DEP_4) | instskip(SKIP_2) | instid1(VALU_DEP_4)
	v_dual_add_f32 v44, v44, v11 :: v_dual_lshlrev_b32 v26, 16, v20
	v_and_b32_e32 v20, 0xffff0000, v20
	v_add_f32_e32 v47, v47, v13
	v_dual_add_f32 v46, v46, v21 :: v_dual_add_f32 v11, v23, v22
	v_pk_mul_bf16 v14, v18, v14
	s_delay_alu instid0(VALU_DEP_4)
	v_add_f32_e32 v13, v26, v20
	v_pk_mul_bf16 v15, v19, v15
	v_pk_mul_bf16 v20, v10, v24
	;; [unrolled: 1-line block ×4, first 2 shown]
	v_dual_add_f32 v11, v13, v11 :: v_dual_lshlrev_b32 v13, 16, v14
	v_and_b32_e32 v14, 0xffff0000, v14
	v_dual_lshlrev_b32 v22, 16, v15 :: v_dual_lshlrev_b32 v23, 16, v20
	v_and_b32_e32 v15, 0xffff0000, v15
	v_and_b32_e32 v20, 0xffff0000, v20
	s_delay_alu instid0(VALU_DEP_4)
	v_add_f32_e32 v13, v13, v14
	v_pk_mul_bf16 v6, v18, v6
	v_pk_mul_bf16 v7, v19, v7
	v_dual_add_f32 v14, v22, v15 :: v_dual_lshlrev_b32 v15, 16, v16
	v_lshlrev_b32_e32 v22, 16, v21
	v_and_b32_e32 v16, 0xffff0000, v16
	s_delay_alu instid0(VALU_DEP_3) | instskip(SKIP_2) | instid1(VALU_DEP_3)
	v_dual_add_f32 v20, v23, v20 :: v_dual_add_f32 v13, v14, v13
	v_and_b32_e32 v21, 0xffff0000, v21
	v_pk_mul_bf16 v8, v10, v8
	v_dual_add_f32 v14, v15, v16 :: v_dual_add_f32 v11, v20, v11
	v_pk_mul_bf16 v15, v12, v17
	s_delay_alu instid0(VALU_DEP_4) | instskip(NEXT) | instid1(VALU_DEP_3)
	v_dual_add_f32 v16, v22, v21 :: v_dual_lshlrev_b32 v17, 16, v6
	v_add_f32_e32 v13, v14, v13
	v_and_b32_e32 v6, 0xffff0000, v6
	s_delay_alu instid0(VALU_DEP_4)
	v_lshlrev_b32_e32 v14, 16, v15
	v_and_b32_e32 v15, 0xffff0000, v15
	v_lshlrev_b32_e32 v20, 16, v7
	v_and_b32_e32 v7, 0xffff0000, v7
	v_pk_mul_bf16 v2, v18, v2
	v_pk_mul_bf16 v3, v19, v3
	v_dual_add_f32 v14, v14, v15 :: v_dual_lshlrev_b32 v15, 16, v8
	s_delay_alu instid0(VALU_DEP_4) | instskip(NEXT) | instid1(VALU_DEP_4)
	v_dual_add_f32 v6, v17, v6 :: v_dual_add_f32 v7, v20, v7
	v_lshlrev_b32_e32 v17, 16, v2
	v_and_b32_e32 v8, 0xffff0000, v8
	v_and_b32_e32 v2, 0xffff0000, v2
	s_delay_alu instid0(VALU_DEP_4) | instskip(SKIP_2) | instid1(VALU_DEP_4)
	v_dual_add_f32 v21, v7, v6 :: v_dual_lshlrev_b32 v20, 16, v3
	v_and_b32_e32 v3, 0xffff0000, v3
	v_pk_mul_bf16 v9, v12, v9
	v_dual_add_f32 v15, v15, v8 :: v_dual_add_f32 v2, v17, v2
	v_pk_mul_bf16 v4, v10, v4
	s_delay_alu instid0(VALU_DEP_3) | instskip(SKIP_3) | instid1(VALU_DEP_3)
	v_dual_add_f32 v3, v20, v3 :: v_dual_lshlrev_b32 v17, 16, v9
	v_pk_mul_bf16 v22, v12, v5
	s_wait_loadcnt 0x0
	v_pk_mul_bf16 v6, v10, v32
	v_dual_add_f32 v23, v3, v2 :: v_dual_lshlrev_b32 v24, 16, v4
	v_pk_mul_bf16 v2, v18, v30
	v_and_b32_e32 v18, 0xffff0000, v4
	v_pk_mul_bf16 v4, v19, v31
	v_pk_mul_bf16 v8, v12, v33
	v_and_b32_e32 v20, 0xffff0000, v9
	v_and_b32_e32 v3, 0xffff0000, v2
	v_lshlrev_b32_e32 v5, 16, v2
	v_and_b32_e32 v2, 0xffff0000, v4
	v_lshlrev_b32_e32 v4, 16, v4
	;; [unrolled: 2-line block ×4, first 2 shown]
	v_pk_add_f32 v[2:3], v[4:5], v[2:3]
	v_add_f32_e32 v10, v24, v18
	v_lshlrev_b32_e32 v12, 16, v22
	v_and_b32_e32 v18, 0xffff0000, v22
	v_pk_add_f32 v[4:5], v[8:9], v[6:7]
	v_dual_add_f32 v2, v2, v3 :: v_dual_add_f32 v3, v15, v21
	v_dual_add_f32 v6, v17, v20 :: v_dual_add_f32 v7, v10, v23
	s_delay_alu instid0(VALU_DEP_4) | instskip(NEXT) | instid1(VALU_DEP_3)
	v_dual_add_f32 v8, v12, v18 :: v_dual_add_f32 v9, v14, v13
	v_dual_add_f32 v2, v5, v2 :: v_dual_add_f32 v5, v16, v11
	s_delay_alu instid0(VALU_DEP_3) | instskip(NEXT) | instid1(VALU_DEP_3)
	v_add_f32_e32 v3, v6, v3
	v_add_f32_e32 v6, v8, v7
	s_delay_alu instid0(VALU_DEP_3) | instskip(NEXT) | instid1(VALU_DEP_3)
	v_dual_add_f32 v2, v4, v2 :: v_dual_add_f32 v49, v49, v5
	v_dual_add_f32 v48, v48, v9 :: v_dual_add_f32 v51, v51, v3
	s_delay_alu instid0(VALU_DEP_3) | instskip(NEXT) | instid1(VALU_DEP_3)
	v_add_f32_e32 v50, v50, v6
	v_add_f32_e32 v45, v45, v2
.LBB145_44:                             ;   in Loop: Header=BB145_45 Depth=1
	s_or_b32 exec_lo, exec_lo, s18
	v_add_nc_u32_e32 v61, 4, v61
	v_add_nc_u64_e32 v[54:55], 16, v[54:55]
	v_add_nc_u32_e32 v42, 0x80, v42
	v_add_nc_u32_e32 v60, 0x200, v60
	s_delay_alu instid0(VALU_DEP_4) | instskip(SKIP_1) | instid1(SALU_CYCLE_1)
	v_cmp_le_i32_e32 vcc_lo, s31, v61
	s_or_b32 s17, vcc_lo, s17
	s_and_not1_b32 exec_lo, exec_lo, s17
	s_cbranch_execz .LBB145_62
.LBB145_45:                             ; =>This Inner Loop Header: Depth=1
	v_mul_u64_e32 v[2:3], s[14:15], v[42:43]
	s_delay_alu instid0(VALU_DEP_1) | instskip(NEXT) | instid1(VALU_DEP_1)
	v_mul_lo_u32 v2, v3, s8
	v_dual_add_nc_u32 v4, 1, v3 :: v_dual_sub_nc_u32 v2, v42, v2
	s_delay_alu instid0(VALU_DEP_1) | instskip(SKIP_1) | instid1(VALU_DEP_2)
	v_subrev_nc_u32_e32 v5, s8, v2
	v_cmp_le_u32_e32 vcc_lo, s8, v2
	v_dual_cndmask_b32 v3, v3, v4 :: v_dual_cndmask_b32 v2, v2, v5
	s_delay_alu instid0(VALU_DEP_1) | instskip(NEXT) | instid1(VALU_DEP_2)
	v_add_nc_u32_e32 v4, 1, v3
	v_cmp_le_u32_e32 vcc_lo, s8, v2
	s_delay_alu instid0(VALU_DEP_2) | instskip(NEXT) | instid1(VALU_DEP_1)
	v_cndmask_b32_e32 v2, v3, v4, vcc_lo
	v_dual_mov_b32 v3, v43 :: v_dual_bitop2_b32 v2, s30, v2 bitop3:0x14
	s_delay_alu instid0(VALU_DEP_1) | instskip(NEXT) | instid1(VALU_DEP_1)
	v_subrev_nc_u32_e32 v6, s30, v2
	v_add_nc_u32_e32 v7, s13, v6
	v_cmp_lt_i32_e64 s0, s24, v6
	s_delay_alu instid0(VALU_DEP_2) | instskip(NEXT) | instid1(VALU_DEP_1)
	v_sub_nc_u32_e32 v2, 0, v7
	v_max_i32_e32 v2, v7, v2
	s_delay_alu instid0(VALU_DEP_1) | instskip(SKIP_1) | instid1(VALU_DEP_2)
	v_mul_u64_e32 v[4:5], s[4:5], v[2:3]
	v_ashrrev_i32_e32 v4, 31, v7
	v_mul_lo_u32 v3, v5, s6
	s_delay_alu instid0(VALU_DEP_1) | instskip(NEXT) | instid1(VALU_DEP_1)
	v_sub_nc_u32_e32 v2, v2, v3
	v_subrev_nc_u32_e32 v3, s6, v2
	v_cmp_le_u32_e32 vcc_lo, s6, v2
	s_delay_alu instid0(VALU_DEP_2) | instskip(NEXT) | instid1(VALU_DEP_1)
	v_cndmask_b32_e32 v2, v2, v3, vcc_lo
	v_subrev_nc_u32_e32 v3, s6, v2
	v_cmp_le_u32_e32 vcc_lo, s6, v2
	s_delay_alu instid0(VALU_DEP_2) | instskip(NEXT) | instid1(VALU_DEP_1)
	v_cndmask_b32_e32 v2, v2, v3, vcc_lo
	v_xor_b32_e32 v2, v2, v4
	s_delay_alu instid0(VALU_DEP_1) | instskip(NEXT) | instid1(VALU_DEP_1)
	v_sub_nc_u32_e32 v2, v2, v4
	v_cmp_eq_u32_e32 vcc_lo, 0, v2
	s_or_b32 s0, vcc_lo, s0
	s_delay_alu instid0(SALU_CYCLE_1)
	s_and_saveexec_b32 s18, s0
	s_cbranch_execz .LBB145_44
; %bb.46:                               ;   in Loop: Header=BB145_45 Depth=1
	global_load_b32 v2, v[54:55], off
	v_add_nc_u32_e32 v69, v59, v42
	v_cmp_eq_u32_e32 vcc_lo, s9, v61
	s_delay_alu instid0(VALU_DEP_2)
	v_or_b32_e32 v66, 3, v69
	v_or_b32_e32 v68, 2, v69
	v_or_b32_e32 v63, 5, v69
	v_or_b32_e32 v65, 4, v69
	v_or_b32_e32 v62, 7, v69
	v_dual_add_nc_u32 v67, 1, v69 :: v_dual_bitop2_b32 v64, 6, v69 bitop3:0x54
	s_wait_loadcnt 0x0
	v_ashrrev_i32_e32 v3, 31, v2
	s_delay_alu instid0(VALU_DEP_1) | instskip(NEXT) | instid1(VALU_DEP_1)
	v_mul_u64_e32 v[2:3], s[2:3], v[2:3]
	v_lshl_add_u64 v[30:31], v[2:3], 1, v[52:53]
	global_load_b128 v[2:5], v[30:31], off
	ds_load_2addr_b64 v[18:21], v60 offset1:1
	ds_load_2addr_b64 v[10:13], v60 offset0:2 offset1:3
	s_wait_xcnt 0x0
	s_and_saveexec_b32 s19, vcc_lo
	s_cbranch_execnz .LBB145_54
; %bb.47:                               ;   in Loop: Header=BB145_45 Depth=1
	s_or_b32 exec_lo, exec_lo, s19
	global_load_b128 v[6:9], v[30:31], off offset:512
	s_wait_xcnt 0x0
	s_and_saveexec_b32 s19, vcc_lo
	s_cbranch_execnz .LBB145_55
.LBB145_48:                             ;   in Loop: Header=BB145_45 Depth=1
	s_or_b32 exec_lo, exec_lo, s19
	global_load_b128 v[14:17], v[30:31], off offset:1024
	s_wait_xcnt 0x0
	s_and_saveexec_b32 s19, vcc_lo
	s_cbranch_execnz .LBB145_56
.LBB145_49:                             ;   in Loop: Header=BB145_45 Depth=1
	s_or_b32 exec_lo, exec_lo, s19
	global_load_b128 v[22:25], v[30:31], off offset:1536
	s_wait_xcnt 0x0
	s_and_saveexec_b32 s19, vcc_lo
	s_cbranch_execnz .LBB145_57
.LBB145_50:                             ;   in Loop: Header=BB145_45 Depth=1
	s_or_b32 exec_lo, exec_lo, s19
	global_load_b128 v[26:29], v[30:31], off offset:2048
	s_wait_xcnt 0x0
	s_and_saveexec_b32 s19, vcc_lo
	s_cbranch_execnz .LBB145_58
.LBB145_51:                             ;   in Loop: Header=BB145_45 Depth=1
	s_or_b32 exec_lo, exec_lo, s19
	global_load_b128 v[34:37], v[30:31], off offset:2560
	s_wait_xcnt 0x0
	s_and_saveexec_b32 s19, vcc_lo
	s_cbranch_execnz .LBB145_59
.LBB145_52:                             ;   in Loop: Header=BB145_45 Depth=1
	s_or_b32 exec_lo, exec_lo, s19
	global_load_b128 v[38:41], v[30:31], off offset:3072
	s_wait_xcnt 0x0
	s_and_saveexec_b32 s19, vcc_lo
	s_cbranch_execnz .LBB145_60
.LBB145_53:                             ;   in Loop: Header=BB145_45 Depth=1
	s_or_b32 exec_lo, exec_lo, s19
	global_load_b128 v[30:33], v[30:31], off offset:3584
	s_wait_xcnt 0x0
	s_and_saveexec_b32 s0, vcc_lo
	s_cbranch_execz .LBB145_43
	s_branch .LBB145_61
.LBB145_54:                             ;   in Loop: Header=BB145_45 Depth=1
	v_cmp_gt_i32_e64 s0, s29, v69
	s_wait_loadcnt 0x0
	v_dual_lshrrev_b32 v6, 16, v2 :: v_dual_lshrrev_b32 v8, 16, v4
	s_delay_alu instid0(VALU_DEP_2) | instskip(SKIP_1) | instid1(VALU_DEP_1)
	v_cndmask_b32_e64 v2, 0, v2, s0
	v_cmp_gt_i32_e64 s0, s16, v67
	v_dual_lshrrev_b32 v7, 16, v3 :: v_dual_cndmask_b32 v6, 0, v6, s0
	v_cmp_gt_i32_e64 s0, s29, v68
	s_delay_alu instid0(VALU_DEP_2) | instskip(NEXT) | instid1(VALU_DEP_2)
	v_perm_b32 v2, v6, v2, 0x5040100
	v_cndmask_b32_e64 v3, 0, v3, s0
	v_cmp_gt_i32_e64 s0, s16, v66
	s_delay_alu instid0(VALU_DEP_1) | instskip(SKIP_1) | instid1(VALU_DEP_1)
	v_cndmask_b32_e64 v7, 0, v7, s0
	v_cmp_gt_i32_e64 s0, s29, v65
	v_cndmask_b32_e64 v4, 0, v4, s0
	v_cmp_gt_i32_e64 s0, s16, v63
	v_lshrrev_b32_e32 v9, 16, v5
	v_perm_b32 v3, v7, v3, 0x5040100
	s_delay_alu instid0(VALU_DEP_3) | instskip(SKIP_1) | instid1(VALU_DEP_2)
	v_cndmask_b32_e64 v8, 0, v8, s0
	v_cmp_gt_i32_e64 s0, s29, v64
	v_perm_b32 v4, v8, v4, 0x5040100
	s_delay_alu instid0(VALU_DEP_2) | instskip(SKIP_1) | instid1(VALU_DEP_1)
	v_cndmask_b32_e64 v5, 0, v5, s0
	v_cmp_gt_i32_e64 s0, s16, v62
	v_cndmask_b32_e64 v9, 0, v9, s0
	s_delay_alu instid0(VALU_DEP_1)
	v_perm_b32 v5, v9, v5, 0x5040100
	s_or_b32 exec_lo, exec_lo, s19
	global_load_b128 v[6:9], v[30:31], off offset:512
	s_wait_xcnt 0x0
	s_and_saveexec_b32 s19, vcc_lo
	s_cbranch_execz .LBB145_48
.LBB145_55:                             ;   in Loop: Header=BB145_45 Depth=1
	v_cmp_gt_i32_e64 s0, s29, v69
	s_wait_loadcnt 0x0
	v_dual_lshrrev_b32 v14, 16, v6 :: v_dual_lshrrev_b32 v16, 16, v8
	s_delay_alu instid0(VALU_DEP_2) | instskip(SKIP_1) | instid1(VALU_DEP_1)
	v_cndmask_b32_e64 v6, 0, v6, s0
	v_cmp_gt_i32_e64 s0, s16, v67
	v_dual_lshrrev_b32 v15, 16, v7 :: v_dual_cndmask_b32 v14, 0, v14, s0
	v_cmp_gt_i32_e64 s0, s29, v68
	s_delay_alu instid0(VALU_DEP_2) | instskip(NEXT) | instid1(VALU_DEP_2)
	v_perm_b32 v6, v14, v6, 0x5040100
	v_cndmask_b32_e64 v7, 0, v7, s0
	v_cmp_gt_i32_e64 s0, s16, v66
	s_delay_alu instid0(VALU_DEP_1) | instskip(SKIP_1) | instid1(VALU_DEP_1)
	v_cndmask_b32_e64 v15, 0, v15, s0
	v_cmp_gt_i32_e64 s0, s29, v65
	v_cndmask_b32_e64 v8, 0, v8, s0
	v_cmp_gt_i32_e64 s0, s16, v63
	v_lshrrev_b32_e32 v17, 16, v9
	v_perm_b32 v7, v15, v7, 0x5040100
	s_delay_alu instid0(VALU_DEP_3) | instskip(SKIP_1) | instid1(VALU_DEP_2)
	v_cndmask_b32_e64 v16, 0, v16, s0
	v_cmp_gt_i32_e64 s0, s29, v64
	v_perm_b32 v8, v16, v8, 0x5040100
	s_delay_alu instid0(VALU_DEP_2) | instskip(SKIP_1) | instid1(VALU_DEP_1)
	v_cndmask_b32_e64 v9, 0, v9, s0
	v_cmp_gt_i32_e64 s0, s16, v62
	v_cndmask_b32_e64 v17, 0, v17, s0
	s_delay_alu instid0(VALU_DEP_1)
	v_perm_b32 v9, v17, v9, 0x5040100
	s_or_b32 exec_lo, exec_lo, s19
	global_load_b128 v[14:17], v[30:31], off offset:1024
	s_wait_xcnt 0x0
	s_and_saveexec_b32 s19, vcc_lo
	s_cbranch_execz .LBB145_49
.LBB145_56:                             ;   in Loop: Header=BB145_45 Depth=1
	v_cmp_gt_i32_e64 s0, s29, v69
	s_wait_loadcnt 0x0
	v_dual_lshrrev_b32 v22, 16, v14 :: v_dual_lshrrev_b32 v24, 16, v16
	s_delay_alu instid0(VALU_DEP_2) | instskip(SKIP_1) | instid1(VALU_DEP_1)
	v_cndmask_b32_e64 v14, 0, v14, s0
	v_cmp_gt_i32_e64 s0, s16, v67
	v_dual_lshrrev_b32 v23, 16, v15 :: v_dual_cndmask_b32 v22, 0, v22, s0
	v_cmp_gt_i32_e64 s0, s29, v68
	s_delay_alu instid0(VALU_DEP_2) | instskip(NEXT) | instid1(VALU_DEP_2)
	v_perm_b32 v14, v22, v14, 0x5040100
	v_cndmask_b32_e64 v15, 0, v15, s0
	v_cmp_gt_i32_e64 s0, s16, v66
	s_delay_alu instid0(VALU_DEP_1) | instskip(SKIP_1) | instid1(VALU_DEP_1)
	v_cndmask_b32_e64 v23, 0, v23, s0
	v_cmp_gt_i32_e64 s0, s29, v65
	v_cndmask_b32_e64 v16, 0, v16, s0
	v_cmp_gt_i32_e64 s0, s16, v63
	v_lshrrev_b32_e32 v25, 16, v17
	v_perm_b32 v15, v23, v15, 0x5040100
	s_delay_alu instid0(VALU_DEP_3) | instskip(SKIP_1) | instid1(VALU_DEP_2)
	v_cndmask_b32_e64 v24, 0, v24, s0
	v_cmp_gt_i32_e64 s0, s29, v64
	v_perm_b32 v16, v24, v16, 0x5040100
	s_delay_alu instid0(VALU_DEP_2) | instskip(SKIP_1) | instid1(VALU_DEP_1)
	v_cndmask_b32_e64 v17, 0, v17, s0
	v_cmp_gt_i32_e64 s0, s16, v62
	v_cndmask_b32_e64 v25, 0, v25, s0
	s_delay_alu instid0(VALU_DEP_1)
	v_perm_b32 v17, v25, v17, 0x5040100
	s_or_b32 exec_lo, exec_lo, s19
	global_load_b128 v[22:25], v[30:31], off offset:1536
	s_wait_xcnt 0x0
	s_and_saveexec_b32 s19, vcc_lo
	s_cbranch_execz .LBB145_50
.LBB145_57:                             ;   in Loop: Header=BB145_45 Depth=1
	v_cmp_gt_i32_e64 s0, s29, v69
	s_wait_loadcnt 0x0
	v_dual_lshrrev_b32 v26, 16, v22 :: v_dual_lshrrev_b32 v28, 16, v24
	s_delay_alu instid0(VALU_DEP_2) | instskip(SKIP_1) | instid1(VALU_DEP_1)
	v_cndmask_b32_e64 v22, 0, v22, s0
	v_cmp_gt_i32_e64 s0, s16, v67
	v_dual_lshrrev_b32 v27, 16, v23 :: v_dual_cndmask_b32 v26, 0, v26, s0
	v_cmp_gt_i32_e64 s0, s29, v68
	s_delay_alu instid0(VALU_DEP_2) | instskip(NEXT) | instid1(VALU_DEP_2)
	v_perm_b32 v22, v26, v22, 0x5040100
	v_cndmask_b32_e64 v23, 0, v23, s0
	v_cmp_gt_i32_e64 s0, s16, v66
	s_delay_alu instid0(VALU_DEP_1) | instskip(SKIP_1) | instid1(VALU_DEP_1)
	v_cndmask_b32_e64 v27, 0, v27, s0
	v_cmp_gt_i32_e64 s0, s29, v65
	v_cndmask_b32_e64 v24, 0, v24, s0
	v_cmp_gt_i32_e64 s0, s16, v63
	v_lshrrev_b32_e32 v29, 16, v25
	v_perm_b32 v23, v27, v23, 0x5040100
	s_delay_alu instid0(VALU_DEP_3) | instskip(SKIP_1) | instid1(VALU_DEP_2)
	v_cndmask_b32_e64 v28, 0, v28, s0
	v_cmp_gt_i32_e64 s0, s29, v64
	v_perm_b32 v24, v28, v24, 0x5040100
	s_delay_alu instid0(VALU_DEP_2) | instskip(SKIP_1) | instid1(VALU_DEP_1)
	v_cndmask_b32_e64 v25, 0, v25, s0
	v_cmp_gt_i32_e64 s0, s16, v62
	v_cndmask_b32_e64 v29, 0, v29, s0
	s_delay_alu instid0(VALU_DEP_1)
	v_perm_b32 v25, v29, v25, 0x5040100
	s_or_b32 exec_lo, exec_lo, s19
	global_load_b128 v[26:29], v[30:31], off offset:2048
	s_wait_xcnt 0x0
	s_and_saveexec_b32 s19, vcc_lo
	s_cbranch_execz .LBB145_51
.LBB145_58:                             ;   in Loop: Header=BB145_45 Depth=1
	v_cmp_gt_i32_e64 s0, s29, v69
	s_wait_loadcnt 0x0
	s_delay_alu instid0(VALU_DEP_1) | instskip(SKIP_1) | instid1(VALU_DEP_1)
	v_dual_lshrrev_b32 v32, 16, v26 :: v_dual_cndmask_b32 v26, 0, v26, s0
	v_cmp_gt_i32_e64 s0, s16, v67
	v_dual_lshrrev_b32 v33, 16, v27 :: v_dual_cndmask_b32 v32, 0, v32, s0
	v_cmp_gt_i32_e64 s0, s29, v68
	s_delay_alu instid0(VALU_DEP_2) | instskip(NEXT) | instid1(VALU_DEP_2)
	v_perm_b32 v26, v32, v26, 0x5040100
	v_cndmask_b32_e64 v27, 0, v27, s0
	v_cmp_gt_i32_e64 s0, s16, v66
	s_delay_alu instid0(VALU_DEP_1) | instskip(SKIP_2) | instid1(VALU_DEP_3)
	v_cndmask_b32_e64 v33, 0, v33, s0
	v_cmp_gt_i32_e64 s0, s29, v65
	v_lshrrev_b32_e32 v34, 16, v28
	v_perm_b32 v27, v33, v27, 0x5040100
	s_delay_alu instid0(VALU_DEP_3) | instskip(SKIP_1) | instid1(VALU_DEP_1)
	v_cndmask_b32_e64 v28, 0, v28, s0
	v_cmp_gt_i32_e64 s0, s16, v63
	v_dual_lshrrev_b32 v35, 16, v29 :: v_dual_cndmask_b32 v34, 0, v34, s0
	v_cmp_gt_i32_e64 s0, s29, v64
	s_delay_alu instid0(VALU_DEP_2) | instskip(NEXT) | instid1(VALU_DEP_2)
	v_perm_b32 v28, v34, v28, 0x5040100
	v_cndmask_b32_e64 v29, 0, v29, s0
	v_cmp_gt_i32_e64 s0, s16, v62
	s_delay_alu instid0(VALU_DEP_1) | instskip(NEXT) | instid1(VALU_DEP_1)
	v_cndmask_b32_e64 v35, 0, v35, s0
	v_perm_b32 v29, v35, v29, 0x5040100
	s_or_b32 exec_lo, exec_lo, s19
	global_load_b128 v[34:37], v[30:31], off offset:2560
	s_wait_xcnt 0x0
	s_and_saveexec_b32 s19, vcc_lo
	s_cbranch_execz .LBB145_52
.LBB145_59:                             ;   in Loop: Header=BB145_45 Depth=1
	v_cmp_gt_i32_e64 s0, s29, v69
	s_wait_loadcnt 0x0
	s_delay_alu instid0(VALU_DEP_1) | instskip(SKIP_1) | instid1(VALU_DEP_1)
	v_dual_lshrrev_b32 v32, 16, v34 :: v_dual_cndmask_b32 v33, 0, v34, s0
	v_cmp_gt_i32_e64 s0, s16, v67
	v_dual_lshrrev_b32 v34, 16, v35 :: v_dual_cndmask_b32 v32, 0, v32, s0
	v_cmp_gt_i32_e64 s0, s29, v68
	s_delay_alu instid0(VALU_DEP_1) | instskip(SKIP_1) | instid1(VALU_DEP_1)
	v_cndmask_b32_e64 v35, 0, v35, s0
	v_cmp_gt_i32_e64 s0, s16, v66
	v_cndmask_b32_e64 v38, 0, v34, s0
	v_cmp_gt_i32_e64 s0, s29, v65
	v_lshrrev_b32_e32 v34, 16, v36
	s_delay_alu instid0(VALU_DEP_3) | instskip(NEXT) | instid1(VALU_DEP_3)
	v_perm_b32 v35, v38, v35, 0x5040100
	v_cndmask_b32_e64 v36, 0, v36, s0
	v_cmp_gt_i32_e64 s0, s16, v63
	s_delay_alu instid0(VALU_DEP_1) | instskip(SKIP_2) | instid1(VALU_DEP_3)
	v_dual_lshrrev_b32 v39, 16, v37 :: v_dual_cndmask_b32 v40, 0, v34, s0
	v_cmp_gt_i32_e64 s0, s29, v64
	v_perm_b32 v34, v32, v33, 0x5040100
	v_perm_b32 v36, v40, v36, 0x5040100
	s_delay_alu instid0(VALU_DEP_3) | instskip(SKIP_1) | instid1(VALU_DEP_1)
	v_cndmask_b32_e64 v37, 0, v37, s0
	v_cmp_gt_i32_e64 s0, s16, v62
	v_cndmask_b32_e64 v39, 0, v39, s0
	s_delay_alu instid0(VALU_DEP_1)
	v_perm_b32 v37, v39, v37, 0x5040100
	s_or_b32 exec_lo, exec_lo, s19
	global_load_b128 v[38:41], v[30:31], off offset:3072
	s_wait_xcnt 0x0
	s_and_saveexec_b32 s19, vcc_lo
	s_cbranch_execz .LBB145_53
.LBB145_60:                             ;   in Loop: Header=BB145_45 Depth=1
	v_cmp_gt_i32_e64 s0, s29, v69
	s_wait_loadcnt 0x0
	s_delay_alu instid0(VALU_DEP_1) | instskip(SKIP_1) | instid1(VALU_DEP_1)
	v_dual_lshrrev_b32 v32, 16, v38 :: v_dual_cndmask_b32 v33, 0, v38, s0
	v_cmp_gt_i32_e64 s0, s16, v67
	v_dual_lshrrev_b32 v38, 16, v39 :: v_dual_cndmask_b32 v32, 0, v32, s0
	v_cmp_gt_i32_e64 s0, s29, v68
	s_delay_alu instid0(VALU_DEP_1) | instskip(SKIP_1) | instid1(VALU_DEP_1)
	v_cndmask_b32_e64 v39, 0, v39, s0
	v_cmp_gt_i32_e64 s0, s16, v66
	v_cndmask_b32_e64 v70, 0, v38, s0
	v_cmp_gt_i32_e64 s0, s29, v65
	v_lshrrev_b32_e32 v38, 16, v40
	s_delay_alu instid0(VALU_DEP_3) | instskip(NEXT) | instid1(VALU_DEP_3)
	v_perm_b32 v39, v70, v39, 0x5040100
	v_cndmask_b32_e64 v40, 0, v40, s0
	v_cmp_gt_i32_e64 s0, s16, v63
	s_delay_alu instid0(VALU_DEP_1) | instskip(SKIP_2) | instid1(VALU_DEP_3)
	v_dual_lshrrev_b32 v71, 16, v41 :: v_dual_cndmask_b32 v72, 0, v38, s0
	v_cmp_gt_i32_e64 s0, s29, v64
	v_perm_b32 v38, v32, v33, 0x5040100
	v_perm_b32 v40, v72, v40, 0x5040100
	s_delay_alu instid0(VALU_DEP_3) | instskip(SKIP_1) | instid1(VALU_DEP_1)
	v_cndmask_b32_e64 v41, 0, v41, s0
	v_cmp_gt_i32_e64 s0, s16, v62
	v_cndmask_b32_e64 v71, 0, v71, s0
	s_delay_alu instid0(VALU_DEP_1)
	v_perm_b32 v41, v71, v41, 0x5040100
	s_or_b32 exec_lo, exec_lo, s19
	global_load_b128 v[30:33], v[30:31], off offset:3584
	s_wait_xcnt 0x0
	s_and_saveexec_b32 s0, vcc_lo
	s_cbranch_execz .LBB145_43
.LBB145_61:                             ;   in Loop: Header=BB145_45 Depth=1
	v_cmp_gt_i32_e32 vcc_lo, s29, v69
	s_wait_loadcnt 0x0
	v_dual_lshrrev_b32 v70, 16, v30 :: v_dual_cndmask_b32 v30, 0, v30, vcc_lo
	v_cmp_gt_i32_e32 vcc_lo, s16, v67
	s_delay_alu instid0(VALU_DEP_2) | instskip(SKIP_1) | instid1(VALU_DEP_2)
	v_dual_lshrrev_b32 v69, 16, v31 :: v_dual_cndmask_b32 v67, 0, v70, vcc_lo
	v_cmp_gt_i32_e32 vcc_lo, s29, v68
	v_perm_b32 v30, v67, v30, 0x5040100
	v_cndmask_b32_e32 v31, 0, v31, vcc_lo
	v_cmp_gt_i32_e32 vcc_lo, s16, v66
	v_cndmask_b32_e32 v66, 0, v69, vcc_lo
	v_cmp_gt_i32_e32 vcc_lo, s29, v65
	v_lshrrev_b32_e32 v68, 16, v32
	s_delay_alu instid0(VALU_DEP_3) | instskip(SKIP_2) | instid1(VALU_DEP_4)
	v_perm_b32 v31, v66, v31, 0x5040100
	v_cndmask_b32_e32 v32, 0, v32, vcc_lo
	v_cmp_gt_i32_e32 vcc_lo, s16, v63
	v_dual_lshrrev_b32 v65, 16, v33 :: v_dual_cndmask_b32 v63, 0, v68, vcc_lo
	v_cmp_gt_i32_e32 vcc_lo, s29, v64
	s_delay_alu instid0(VALU_DEP_2) | instskip(SKIP_3) | instid1(VALU_DEP_1)
	v_perm_b32 v32, v63, v32, 0x5040100
	v_cndmask_b32_e32 v33, 0, v33, vcc_lo
	v_cmp_gt_i32_e32 vcc_lo, s16, v62
	v_cndmask_b32_e32 v62, 0, v65, vcc_lo
	v_perm_b32 v33, v62, v33, 0x5040100
	s_branch .LBB145_43
.LBB145_62:
	s_or_b32 exec_lo, exec_lo, s17
.LBB145_63:
	s_delay_alu instid0(SALU_CYCLE_1)
	s_or_b32 exec_lo, exec_lo, s1
	ds_bpermute_b32 v2, v57, v50
	ds_bpermute_b32 v3, v57, v51
	;; [unrolled: 1-line block ×8, first 2 shown]
	v_and_b32_e32 v13, 0x3c3, v0
	s_mov_b32 s0, exec_lo
	v_and_b32_e32 v12, 28, v108
	s_wait_dscnt 0x0
	s_barrier_signal -1
	s_barrier_wait -1
	v_pk_add_f32 v[2:3], v[50:51], v[2:3]
	v_pk_add_f32 v[4:5], v[48:49], v[4:5]
	;; [unrolled: 1-line block ×3, first 2 shown]
	ds_bpermute_b32 v6, v56, v2
	v_pk_add_f32 v[8:9], v[44:45], v[8:9]
	ds_bpermute_b32 v7, v56, v3
	ds_bpermute_b32 v16, v56, v4
	;; [unrolled: 1-line block ×7, first 2 shown]
	s_wait_dscnt 0x6
	v_pk_add_f32 v[6:7], v[2:3], v[6:7]
	s_wait_dscnt 0x4
	v_pk_add_f32 v[4:5], v[4:5], v[16:17]
	s_wait_dscnt 0x2
	v_pk_add_f32 v[2:3], v[14:15], v[18:19]
	v_cmpx_ne_u32_e32 64, v13
	s_xor_b32 s0, exec_lo, s0
	s_delay_alu instid0(SALU_CYCLE_1)
	s_or_saveexec_b32 s0, s0
	s_wait_dscnt 0x0
	v_pk_add_f32 v[8:9], v[8:9], v[10:11]
	v_dual_lshrrev_b32 v11, 2, v108 :: v_dual_lshlrev_b32 v1, 8, v1
	v_add_nc_u32_e32 v10, 0xa0, v12
	s_xor_b32 exec_lo, exec_lo, s0
	s_cbranch_execz .LBB145_65
; %bb.64:
	s_delay_alu instid0(VALU_DEP_1) | instskip(NEXT) | instid1(VALU_DEP_1)
	v_add_nc_u32_e32 v12, v10, v1
	v_add_nc_u32_e32 v13, 0xfffffe00, v12
	;; [unrolled: 1-line block ×9, first 2 shown]
	ds_store_b32 v13, v6
	ds_store_b32 v14, v7
	;; [unrolled: 1-line block ×8, first 2 shown]
.LBB145_65:
	s_or_b32 exec_lo, exec_lo, s0
	v_lshlrev_b32_e32 v11, 2, v11
	s_mov_b32 s1, exec_lo
	v_cmp_eq_u32_e32 vcc_lo, 0, v58
	s_wait_dscnt 0x0
	s_barrier_signal -1
	v_add3_u32 v1, 0xa0, v1, v11
	s_barrier_wait -1
	v_cmpx_gt_u32_e32 64, v0
	s_cbranch_execz .LBB145_76
; %bb.66:
	s_and_saveexec_b32 s0, vcc_lo
	s_cbranch_execnz .LBB145_92
; %bb.67:
	s_or_b32 exec_lo, exec_lo, s0
	s_and_saveexec_b32 s0, vcc_lo
	s_cbranch_execnz .LBB145_93
.LBB145_68:
	s_or_b32 exec_lo, exec_lo, s0
	s_and_saveexec_b32 s0, vcc_lo
	s_cbranch_execnz .LBB145_94
.LBB145_69:
	s_or_b32 exec_lo, exec_lo, s0
	s_and_saveexec_b32 s0, vcc_lo
	s_cbranch_execnz .LBB145_95
.LBB145_70:
	s_or_b32 exec_lo, exec_lo, s0
	s_and_saveexec_b32 s0, vcc_lo
	s_cbranch_execnz .LBB145_96
.LBB145_71:
	s_or_b32 exec_lo, exec_lo, s0
	s_and_saveexec_b32 s0, vcc_lo
	s_cbranch_execnz .LBB145_97
.LBB145_72:
	s_or_b32 exec_lo, exec_lo, s0
	s_and_saveexec_b32 s0, vcc_lo
	s_cbranch_execnz .LBB145_98
.LBB145_73:
	s_or_b32 exec_lo, exec_lo, s0
	s_and_saveexec_b32 s0, vcc_lo
	s_cbranch_execz .LBB145_75
.LBB145_74:
	ds_load_b32 v11, v1 offset:224
	s_wait_dscnt 0x0
	v_add_f32_e32 v9, v9, v11
.LBB145_75:
	s_or_b32 exec_lo, exec_lo, s0
.LBB145_76:
	s_delay_alu instid0(SALU_CYCLE_1) | instskip(SKIP_4) | instid1(VALU_DEP_1)
	s_or_b32 exec_lo, exec_lo, s1
	v_and_b32_e32 v11, 0x3e3, v0
	s_mov_b32 s1, exec_lo
	s_barrier_signal -1
	s_barrier_wait -1
	v_cmpx_eq_u32_e32 32, v11
	s_cbranch_execz .LBB145_78
; %bb.77:
	ds_store_2addr_b32 v10, v6, v7 offset1:8
	ds_store_2addr_b32 v10, v4, v5 offset0:16 offset1:24
	ds_store_2addr_b32 v10, v2, v3 offset0:32 offset1:40
	;; [unrolled: 1-line block ×3, first 2 shown]
.LBB145_78:
	s_or_b32 exec_lo, exec_lo, s1
	s_delay_alu instid0(SALU_CYCLE_1)
	s_mov_b32 s1, exec_lo
	s_wait_dscnt 0x0
	s_barrier_signal -1
	s_barrier_wait -1
	v_cmpx_gt_u32_e32 32, v0
	s_cbranch_execz .LBB145_89
; %bb.79:
	s_and_saveexec_b32 s0, vcc_lo
	s_cbranch_execnz .LBB145_99
; %bb.80:
	s_or_b32 exec_lo, exec_lo, s0
	s_and_saveexec_b32 s0, vcc_lo
	s_cbranch_execnz .LBB145_100
.LBB145_81:
	s_or_b32 exec_lo, exec_lo, s0
	s_and_saveexec_b32 s0, vcc_lo
	s_cbranch_execnz .LBB145_101
.LBB145_82:
	s_or_b32 exec_lo, exec_lo, s0
	s_and_saveexec_b32 s0, vcc_lo
	s_cbranch_execnz .LBB145_102
.LBB145_83:
	s_or_b32 exec_lo, exec_lo, s0
	s_and_saveexec_b32 s0, vcc_lo
	s_cbranch_execnz .LBB145_103
.LBB145_84:
	s_or_b32 exec_lo, exec_lo, s0
	s_and_saveexec_b32 s0, vcc_lo
	s_cbranch_execnz .LBB145_104
.LBB145_85:
	s_or_b32 exec_lo, exec_lo, s0
	s_and_saveexec_b32 s0, vcc_lo
	s_cbranch_execnz .LBB145_105
.LBB145_86:
	s_or_b32 exec_lo, exec_lo, s0
	s_and_saveexec_b32 s0, vcc_lo
	s_cbranch_execz .LBB145_88
.LBB145_87:
	ds_load_b32 v1, v1 offset:224
	s_wait_dscnt 0x0
	v_add_f32_e32 v9, v9, v1
.LBB145_88:
	s_or_b32 exec_lo, exec_lo, s0
.LBB145_89:
	s_delay_alu instid0(SALU_CYCLE_1)
	s_or_b32 exec_lo, exec_lo, s1
	s_mov_b32 s1, 0
	s_barrier_signal -1
	s_barrier_wait -1
	s_mov_b32 s0, exec_lo
	v_cmpx_eq_u32_e32 0, v11
	s_cbranch_execz .LBB145_91
; %bb.90:
	s_mul_i32 s0, s28, s7
	s_mul_i32 s2, s7, s12
	s_mul_i32 s0, s0, s27
	s_lshr_b32 s6, ttmp7, 16
	s_lshl_b32 s4, s0, 6
	s_bfe_u32 s0, ttmp6, 0x40014
	s_ashr_i32 s5, s4, 31
	s_add_co_i32 s0, s0, 1
	s_ashr_i32 s3, s2, 31
	s_mul_i32 s0, s6, s0
	s_bfe_u32 s7, ttmp6, 0x40008
	s_lshl_b64 s[4:5], s[4:5], 1
	s_lshl_b64 s[2:3], s[2:3], 1
	s_add_co_i32 s7, s7, s0
	s_cmp_eq_u32 s26, 0
	s_wait_kmcnt 0x0
	s_add_nc_u64 s[4:5], s[10:11], s[4:5]
	s_cselect_b32 s0, s6, s7
	s_add_nc_u64 s[2:3], s[4:5], s[2:3]
	s_lshl_b32 s0, s0, 7
	v_lshrrev_b32_e32 v0, 1, v0
	s_add_nc_u64 s[0:1], s[2:3], s[0:1]
	s_delay_alu instid0(SALU_CYCLE_1)
	v_cvt_pk_bf16_f32 v1, v6, s0
	v_cvt_pk_bf16_f32 v6, v7, s0
	;; [unrolled: 1-line block ×8, first 2 shown]
	s_clause 0x7
	global_store_b16 v0, v1, s[0:1]
	global_store_b16 v0, v6, s[0:1] offset:16
	global_store_b16 v0, v4, s[0:1] offset:32
	;; [unrolled: 1-line block ×7, first 2 shown]
.LBB145_91:
	s_sendmsg sendmsg(MSG_DEALLOC_VGPRS)
	s_endpgm
.LBB145_92:
	ds_load_b32 v11, v1
	s_wait_dscnt 0x0
	v_add_f32_e32 v6, v6, v11
	s_or_b32 exec_lo, exec_lo, s0
	s_and_saveexec_b32 s0, vcc_lo
	s_cbranch_execz .LBB145_68
.LBB145_93:
	ds_load_b32 v11, v1 offset:32
	s_wait_dscnt 0x0
	v_add_f32_e32 v7, v7, v11
	s_or_b32 exec_lo, exec_lo, s0
	s_and_saveexec_b32 s0, vcc_lo
	s_cbranch_execz .LBB145_69
.LBB145_94:
	ds_load_b32 v11, v1 offset:64
	s_wait_dscnt 0x0
	v_add_f32_e32 v4, v4, v11
	s_or_b32 exec_lo, exec_lo, s0
	s_and_saveexec_b32 s0, vcc_lo
	s_cbranch_execz .LBB145_70
.LBB145_95:
	ds_load_b32 v11, v1 offset:96
	s_wait_dscnt 0x0
	v_add_f32_e32 v5, v5, v11
	s_or_b32 exec_lo, exec_lo, s0
	s_and_saveexec_b32 s0, vcc_lo
	s_cbranch_execz .LBB145_71
.LBB145_96:
	ds_load_b32 v11, v1 offset:128
	s_wait_dscnt 0x0
	v_add_f32_e32 v2, v2, v11
	s_or_b32 exec_lo, exec_lo, s0
	s_and_saveexec_b32 s0, vcc_lo
	s_cbranch_execz .LBB145_72
.LBB145_97:
	ds_load_b32 v11, v1 offset:160
	s_wait_dscnt 0x0
	v_add_f32_e32 v3, v3, v11
	s_or_b32 exec_lo, exec_lo, s0
	s_and_saveexec_b32 s0, vcc_lo
	s_cbranch_execz .LBB145_73
.LBB145_98:
	ds_load_b32 v11, v1 offset:192
	s_wait_dscnt 0x0
	v_add_f32_e32 v8, v8, v11
	s_or_b32 exec_lo, exec_lo, s0
	s_and_saveexec_b32 s0, vcc_lo
	s_cbranch_execnz .LBB145_74
	s_branch .LBB145_75
.LBB145_99:
	ds_load_b32 v10, v1
	s_wait_dscnt 0x0
	v_add_f32_e32 v6, v6, v10
	s_or_b32 exec_lo, exec_lo, s0
	s_and_saveexec_b32 s0, vcc_lo
	s_cbranch_execz .LBB145_81
.LBB145_100:
	ds_load_b32 v10, v1 offset:32
	s_wait_dscnt 0x0
	v_add_f32_e32 v7, v7, v10
	s_or_b32 exec_lo, exec_lo, s0
	s_and_saveexec_b32 s0, vcc_lo
	s_cbranch_execz .LBB145_82
.LBB145_101:
	ds_load_b32 v10, v1 offset:64
	s_wait_dscnt 0x0
	v_add_f32_e32 v4, v4, v10
	s_or_b32 exec_lo, exec_lo, s0
	s_and_saveexec_b32 s0, vcc_lo
	s_cbranch_execz .LBB145_83
.LBB145_102:
	ds_load_b32 v10, v1 offset:96
	s_wait_dscnt 0x0
	v_add_f32_e32 v5, v5, v10
	s_or_b32 exec_lo, exec_lo, s0
	s_and_saveexec_b32 s0, vcc_lo
	s_cbranch_execz .LBB145_84
.LBB145_103:
	ds_load_b32 v10, v1 offset:128
	s_wait_dscnt 0x0
	v_add_f32_e32 v2, v2, v10
	s_or_b32 exec_lo, exec_lo, s0
	s_and_saveexec_b32 s0, vcc_lo
	s_cbranch_execz .LBB145_85
.LBB145_104:
	ds_load_b32 v10, v1 offset:160
	s_wait_dscnt 0x0
	v_add_f32_e32 v3, v3, v10
	s_or_b32 exec_lo, exec_lo, s0
	s_and_saveexec_b32 s0, vcc_lo
	s_cbranch_execz .LBB145_86
.LBB145_105:
	ds_load_b32 v10, v1 offset:192
	s_wait_dscnt 0x0
	v_add_f32_e32 v8, v8, v10
	s_or_b32 exec_lo, exec_lo, s0
	s_and_saveexec_b32 s0, vcc_lo
	s_cbranch_execnz .LBB145_87
	s_branch .LBB145_88
	.section	.rodata,"a",@progbits
	.p2align	6, 0x0
	.amdhsa_kernel _ZN4vllm25paged_attention_v1_kernelI14__hip_bfloat16S1_Li64ELi32ELi128ELNS_18Fp8KVCacheDataTypeE0ELb1EEEvPT_PKS3_PKT0_S9_ifPKiSB_iPKfiiiSD_SD_iiiii
		.amdhsa_group_segment_fixed_size 160
		.amdhsa_private_segment_fixed_size 0
		.amdhsa_kernarg_size 384
		.amdhsa_user_sgpr_count 2
		.amdhsa_user_sgpr_dispatch_ptr 0
		.amdhsa_user_sgpr_queue_ptr 0
		.amdhsa_user_sgpr_kernarg_segment_ptr 1
		.amdhsa_user_sgpr_dispatch_id 0
		.amdhsa_user_sgpr_kernarg_preload_length 0
		.amdhsa_user_sgpr_kernarg_preload_offset 0
		.amdhsa_user_sgpr_private_segment_size 0
		.amdhsa_wavefront_size32 1
		.amdhsa_uses_dynamic_stack 0
		.amdhsa_enable_private_segment 0
		.amdhsa_system_sgpr_workgroup_id_x 1
		.amdhsa_system_sgpr_workgroup_id_y 1
		.amdhsa_system_sgpr_workgroup_id_z 1
		.amdhsa_system_sgpr_workgroup_info 0
		.amdhsa_system_vgpr_workitem_id 0
		.amdhsa_next_free_vgpr 120
		.amdhsa_next_free_sgpr 38
		.amdhsa_named_barrier_count 0
		.amdhsa_reserve_vcc 1
		.amdhsa_float_round_mode_32 0
		.amdhsa_float_round_mode_16_64 0
		.amdhsa_float_denorm_mode_32 3
		.amdhsa_float_denorm_mode_16_64 3
		.amdhsa_fp16_overflow 0
		.amdhsa_memory_ordered 1
		.amdhsa_forward_progress 1
		.amdhsa_inst_pref_size 77
		.amdhsa_round_robin_scheduling 0
		.amdhsa_exception_fp_ieee_invalid_op 0
		.amdhsa_exception_fp_denorm_src 0
		.amdhsa_exception_fp_ieee_div_zero 0
		.amdhsa_exception_fp_ieee_overflow 0
		.amdhsa_exception_fp_ieee_underflow 0
		.amdhsa_exception_fp_ieee_inexact 0
		.amdhsa_exception_int_div_zero 0
	.end_amdhsa_kernel
	.section	.text._ZN4vllm25paged_attention_v1_kernelI14__hip_bfloat16S1_Li64ELi32ELi128ELNS_18Fp8KVCacheDataTypeE0ELb1EEEvPT_PKS3_PKT0_S9_ifPKiSB_iPKfiiiSD_SD_iiiii,"axG",@progbits,_ZN4vllm25paged_attention_v1_kernelI14__hip_bfloat16S1_Li64ELi32ELi128ELNS_18Fp8KVCacheDataTypeE0ELb1EEEvPT_PKS3_PKT0_S9_ifPKiSB_iPKfiiiSD_SD_iiiii,comdat
.Lfunc_end145:
	.size	_ZN4vllm25paged_attention_v1_kernelI14__hip_bfloat16S1_Li64ELi32ELi128ELNS_18Fp8KVCacheDataTypeE0ELb1EEEvPT_PKS3_PKT0_S9_ifPKiSB_iPKfiiiSD_SD_iiiii, .Lfunc_end145-_ZN4vllm25paged_attention_v1_kernelI14__hip_bfloat16S1_Li64ELi32ELi128ELNS_18Fp8KVCacheDataTypeE0ELb1EEEvPT_PKS3_PKT0_S9_ifPKiSB_iPKfiiiSD_SD_iiiii
                                        ; -- End function
	.set _ZN4vllm25paged_attention_v1_kernelI14__hip_bfloat16S1_Li64ELi32ELi128ELNS_18Fp8KVCacheDataTypeE0ELb1EEEvPT_PKS3_PKT0_S9_ifPKiSB_iPKfiiiSD_SD_iiiii.num_vgpr, 120
	.set _ZN4vllm25paged_attention_v1_kernelI14__hip_bfloat16S1_Li64ELi32ELi128ELNS_18Fp8KVCacheDataTypeE0ELb1EEEvPT_PKS3_PKT0_S9_ifPKiSB_iPKfiiiSD_SD_iiiii.num_agpr, 0
	.set _ZN4vllm25paged_attention_v1_kernelI14__hip_bfloat16S1_Li64ELi32ELi128ELNS_18Fp8KVCacheDataTypeE0ELb1EEEvPT_PKS3_PKT0_S9_ifPKiSB_iPKfiiiSD_SD_iiiii.numbered_sgpr, 38
	.set _ZN4vllm25paged_attention_v1_kernelI14__hip_bfloat16S1_Li64ELi32ELi128ELNS_18Fp8KVCacheDataTypeE0ELb1EEEvPT_PKS3_PKT0_S9_ifPKiSB_iPKfiiiSD_SD_iiiii.num_named_barrier, 0
	.set _ZN4vllm25paged_attention_v1_kernelI14__hip_bfloat16S1_Li64ELi32ELi128ELNS_18Fp8KVCacheDataTypeE0ELb1EEEvPT_PKS3_PKT0_S9_ifPKiSB_iPKfiiiSD_SD_iiiii.private_seg_size, 0
	.set _ZN4vllm25paged_attention_v1_kernelI14__hip_bfloat16S1_Li64ELi32ELi128ELNS_18Fp8KVCacheDataTypeE0ELb1EEEvPT_PKS3_PKT0_S9_ifPKiSB_iPKfiiiSD_SD_iiiii.uses_vcc, 1
	.set _ZN4vllm25paged_attention_v1_kernelI14__hip_bfloat16S1_Li64ELi32ELi128ELNS_18Fp8KVCacheDataTypeE0ELb1EEEvPT_PKS3_PKT0_S9_ifPKiSB_iPKfiiiSD_SD_iiiii.uses_flat_scratch, 0
	.set _ZN4vllm25paged_attention_v1_kernelI14__hip_bfloat16S1_Li64ELi32ELi128ELNS_18Fp8KVCacheDataTypeE0ELb1EEEvPT_PKS3_PKT0_S9_ifPKiSB_iPKfiiiSD_SD_iiiii.has_dyn_sized_stack, 0
	.set _ZN4vllm25paged_attention_v1_kernelI14__hip_bfloat16S1_Li64ELi32ELi128ELNS_18Fp8KVCacheDataTypeE0ELb1EEEvPT_PKS3_PKT0_S9_ifPKiSB_iPKfiiiSD_SD_iiiii.has_recursion, 0
	.set _ZN4vllm25paged_attention_v1_kernelI14__hip_bfloat16S1_Li64ELi32ELi128ELNS_18Fp8KVCacheDataTypeE0ELb1EEEvPT_PKS3_PKT0_S9_ifPKiSB_iPKfiiiSD_SD_iiiii.has_indirect_call, 0
	.section	.AMDGPU.csdata,"",@progbits
; Kernel info:
; codeLenInByte = 9756
; TotalNumSgprs: 40
; NumVgprs: 120
; ScratchSize: 0
; MemoryBound: 0
; FloatMode: 240
; IeeeMode: 1
; LDSByteSize: 160 bytes/workgroup (compile time only)
; SGPRBlocks: 0
; VGPRBlocks: 7
; NumSGPRsForWavesPerEU: 40
; NumVGPRsForWavesPerEU: 120
; NamedBarCnt: 0
; Occupancy: 8
; WaveLimiterHint : 1
; COMPUTE_PGM_RSRC2:SCRATCH_EN: 0
; COMPUTE_PGM_RSRC2:USER_SGPR: 2
; COMPUTE_PGM_RSRC2:TRAP_HANDLER: 0
; COMPUTE_PGM_RSRC2:TGID_X_EN: 1
; COMPUTE_PGM_RSRC2:TGID_Y_EN: 1
; COMPUTE_PGM_RSRC2:TGID_Z_EN: 1
; COMPUTE_PGM_RSRC2:TIDIG_COMP_CNT: 0
	.section	.text._ZN4vllm25paged_attention_v1_kernelI14__hip_bfloat16S1_Li80ELi32ELi128ELNS_18Fp8KVCacheDataTypeE0ELb1EEEvPT_PKS3_PKT0_S9_ifPKiSB_iPKfiiiSD_SD_iiiii,"axG",@progbits,_ZN4vllm25paged_attention_v1_kernelI14__hip_bfloat16S1_Li80ELi32ELi128ELNS_18Fp8KVCacheDataTypeE0ELb1EEEvPT_PKS3_PKT0_S9_ifPKiSB_iPKfiiiSD_SD_iiiii,comdat
	.protected	_ZN4vllm25paged_attention_v1_kernelI14__hip_bfloat16S1_Li80ELi32ELi128ELNS_18Fp8KVCacheDataTypeE0ELb1EEEvPT_PKS3_PKT0_S9_ifPKiSB_iPKfiiiSD_SD_iiiii ; -- Begin function _ZN4vllm25paged_attention_v1_kernelI14__hip_bfloat16S1_Li80ELi32ELi128ELNS_18Fp8KVCacheDataTypeE0ELb1EEEvPT_PKS3_PKT0_S9_ifPKiSB_iPKfiiiSD_SD_iiiii
	.globl	_ZN4vllm25paged_attention_v1_kernelI14__hip_bfloat16S1_Li80ELi32ELi128ELNS_18Fp8KVCacheDataTypeE0ELb1EEEvPT_PKS3_PKT0_S9_ifPKiSB_iPKfiiiSD_SD_iiiii
	.p2align	8
	.type	_ZN4vllm25paged_attention_v1_kernelI14__hip_bfloat16S1_Li80ELi32ELi128ELNS_18Fp8KVCacheDataTypeE0ELb1EEEvPT_PKS3_PKT0_S9_ifPKiSB_iPKfiiiSD_SD_iiiii,@function
_ZN4vllm25paged_attention_v1_kernelI14__hip_bfloat16S1_Li80ELi32ELi128ELNS_18Fp8KVCacheDataTypeE0ELb1EEEvPT_PKS3_PKT0_S9_ifPKiSB_iPKfiiiSD_SD_iiiii: ; @_ZN4vllm25paged_attention_v1_kernelI14__hip_bfloat16S1_Li80ELi32ELi128ELNS_18Fp8KVCacheDataTypeE0ELb1EEEvPT_PKS3_PKT0_S9_ifPKiSB_iPKfiiiSD_SD_iiiii
; %bb.0:
	s_load_b64 s[22:23], s[0:1], 0x20
	s_bfe_u32 s3, ttmp6, 0x4000c
	s_bfe_u32 s4, ttmp6, 0x40010
	s_and_b32 s6, ttmp7, 0xffff
	s_add_co_i32 s3, s3, 1
	s_add_co_i32 s4, s4, 1
	s_and_b32 s2, ttmp6, 15
	s_bfe_u32 s5, ttmp6, 0x40004
	s_mul_i32 s3, ttmp9, s3
	s_mul_i32 s4, s6, s4
	s_getreg_b32 s26, hwreg(HW_REG_IB_STS2, 6, 4)
	s_add_co_i32 s2, s2, s3
	s_add_co_i32 s3, s5, s4
	s_cmp_eq_u32 s26, 0
	v_mov_b32_e32 v81, v0
	s_cselect_b32 s28, s6, s3
	s_cselect_b32 s2, ttmp9, s2
	s_clause 0x1
	s_load_b32 s27, s[0:1], 0x80
	s_load_b64 s[4:5], s[0:1], 0x30
	s_mov_b32 s15, 0
	s_delay_alu instid0(SALU_CYCLE_1) | instskip(SKIP_2) | instid1(SALU_CYCLE_1)
	s_mov_b32 s34, s15
	s_wait_kmcnt 0x0
	s_abs_i32 s3, s22
	s_cvt_f32_u32 s6, s3
	s_sub_co_i32 s7, 0, s3
	s_delay_alu instid0(SALU_CYCLE_2) | instskip(SKIP_1) | instid1(TRANS32_DEP_1)
	v_rcp_iflag_f32_e32 v0, s6
	v_nop
	v_readfirstlane_b32 s6, v0
	s_abs_i32 s8, s27
	s_mul_f32 s6, s6, 0x4f7ffffe
	s_delay_alu instid0(SALU_CYCLE_3) | instskip(NEXT) | instid1(SALU_CYCLE_3)
	s_cvt_u32_f32 s6, s6
	s_mul_i32 s7, s7, s6
	s_delay_alu instid0(SALU_CYCLE_1) | instskip(NEXT) | instid1(SALU_CYCLE_1)
	s_mul_hi_u32 s7, s6, s7
	s_add_co_i32 s6, s6, s7
	s_xor_b32 s7, s27, s22
	s_mul_hi_u32 s6, s8, s6
	s_ashr_i32 s7, s7, 31
	s_mul_i32 s9, s6, s3
	s_delay_alu instid0(SALU_CYCLE_1)
	s_sub_co_i32 s8, s8, s9
	s_add_co_i32 s9, s6, 1
	s_sub_co_i32 s10, s8, s3
	s_cmp_ge_u32 s8, s3
	s_cselect_b32 s6, s9, s6
	s_cselect_b32 s8, s10, s8
	s_add_co_i32 s9, s6, 1
	s_cmp_ge_u32 s8, s3
	s_cselect_b32 s3, s9, s6
	s_load_b64 s[8:9], s[0:1], 0x40
	s_xor_b32 s3, s3, s7
	s_abs_i32 s14, s2
	s_sub_co_i32 s12, s3, s7
	s_mov_b32 s7, s15
	s_abs_i32 s11, s12
	s_delay_alu instid0(SALU_CYCLE_1) | instskip(SKIP_1) | instid1(SALU_CYCLE_2)
	s_cvt_f32_u32 s3, s11
	s_sub_co_i32 s6, 0, s11
	v_rcp_iflag_f32_e32 v0, s3
	v_nop
	s_delay_alu instid0(TRANS32_DEP_1) | instskip(SKIP_1) | instid1(SALU_CYCLE_3)
	v_readfirstlane_b32 s3, v0
	s_mul_f32 s3, s3, 0x4f7ffffe
	s_cvt_u32_f32 s3, s3
	s_delay_alu instid0(SALU_CYCLE_3) | instskip(NEXT) | instid1(SALU_CYCLE_1)
	s_mul_i32 s6, s6, s3
	s_mul_hi_u32 s6, s3, s6
	s_delay_alu instid0(SALU_CYCLE_1)
	s_add_co_i32 s6, s3, s6
	s_wait_kmcnt 0x0
	s_cmp_eq_u64 s[8:9], 0
	s_cbranch_scc1 .LBB146_2
; %bb.1:
	s_ashr_i32 s3, s2, 31
	s_delay_alu instid0(SALU_CYCLE_1) | instskip(NEXT) | instid1(SALU_CYCLE_1)
	s_lshl_b64 s[16:17], s[2:3], 2
	s_add_nc_u64 s[8:9], s[8:9], s[16:17]
	s_load_b32 s34, s[8:9], 0x0
.LBB146_2:
	s_load_b32 s29, s[4:5], s28 offset:0x0 scale_offset
	s_wait_xcnt 0x0
	s_load_b96 s[8:10], s[0:1], 0x48
	v_lshlrev_b32_e32 v22, 4, v81
	s_ashr_i32 s3, s2, 31
	s_ashr_i32 s18, s12, 31
	s_mul_u64 s[16:17], s[14:15], s[6:7]
	s_mul_i32 s12, s2, 0x50
	s_mov_b32 s4, exec_lo
	v_cmpx_gt_u32_e32 10, v81
	s_cbranch_execz .LBB146_4
; %bb.3:
	s_load_b64 s[6:7], s[0:1], 0x8
	s_wait_kmcnt 0x0
	s_mul_i32 s20, s8, s28
	s_ashr_i32 s13, s12, 31
	s_ashr_i32 s21, s20, 31
	s_delay_alu instid0(SALU_CYCLE_1) | instskip(NEXT) | instid1(SALU_CYCLE_1)
	s_lshl_b64 s[20:21], s[20:21], 1
	s_add_nc_u64 s[6:7], s[6:7], s[20:21]
	s_lshl_b64 s[20:21], s[12:13], 1
	s_delay_alu instid0(SALU_CYCLE_1)
	s_add_nc_u64 s[6:7], s[6:7], s[20:21]
	global_load_b128 v[0:3], v81, s[6:7] scale_offset
	s_wait_loadcnt 0x0
	ds_store_b128 v22, v[0:3]
.LBB146_4:
	s_or_b32 exec_lo, exec_lo, s4
	s_load_b128 s[4:7], s[0:1], 0x68
	s_wait_kmcnt 0x0
	s_mul_i32 s8, s17, s11
	s_xor_b32 s3, s3, s18
	s_sub_co_i32 s8, s14, s8
	s_add_co_i32 s13, s17, 1
	s_sub_co_i32 s14, s8, s11
	s_cmp_ge_u32 s8, s11
	s_mov_b32 s19, -1
	s_cselect_b32 s13, s13, s17
	s_cselect_b32 s8, s14, s8
	s_add_co_i32 s14, s13, 1
	s_cmp_ge_u32 s8, s11
	s_load_b32 s11, s[0:1], 0x78
	s_cselect_b32 s13, s14, s13
	s_add_co_i32 s18, s29, -1
	s_xor_b32 s13, s13, s3
	s_mov_b32 s17, 0
	s_sub_co_i32 s3, s13, s3
	s_abs_i32 s16, s18
	s_mov_b32 s15, s17
	s_abs_i32 s8, s7
	s_wait_dscnt 0x0
	s_cvt_f32_u32 s14, s8
	s_barrier_signal -1
	s_barrier_wait -1
	s_delay_alu instid0(SALU_CYCLE_1) | instskip(SKIP_1) | instid1(TRANS32_DEP_1)
	v_rcp_iflag_f32_e32 v0, s14
	v_nop
	v_readfirstlane_b32 s14, v0
	s_mul_f32 s13, s14, 0x4f7ffffe
	s_sub_co_i32 s14, 0, s8
	s_delay_alu instid0(SALU_CYCLE_2) | instskip(NEXT) | instid1(SALU_CYCLE_3)
	s_cvt_u32_f32 s13, s13
	s_mul_i32 s14, s14, s13
	s_delay_alu instid0(SALU_CYCLE_1) | instskip(NEXT) | instid1(SALU_CYCLE_1)
	s_mul_hi_u32 s14, s13, s14
	s_add_co_i32 s14, s13, s14
	s_wait_kmcnt 0x0
	s_cmp_lt_i32 s11, 0
                                        ; implicit-def: $sgpr13
	s_cbranch_scc0 .LBB146_6
; %bb.5:
	s_mul_i32 s13, s4, s22
	s_mov_b32 s19, s17
	s_add_co_i32 s13, s3, s13
	s_delay_alu instid0(SALU_CYCLE_1) | instskip(NEXT) | instid1(SALU_CYCLE_1)
	s_mul_i32 s13, s13, s11
	s_sub_co_i32 s13, 1, s13
.LBB146_6:
	s_ashr_i32 s18, s18, 31
	s_ashr_i32 s30, s7, 31
	s_and_not1_b32 vcc_lo, exec_lo, s19
	s_mul_u64 s[20:21], s[16:17], s[14:15]
	s_cbranch_vccnz .LBB146_8
; %bb.7:
	s_mul_i32 s4, s27, s4
	s_delay_alu instid0(SALU_CYCLE_1) | instskip(NEXT) | instid1(SALU_CYCLE_1)
	s_add_co_i32 s2, s4, s2
	s_mul_i32 s2, s2, s11
	s_delay_alu instid0(SALU_CYCLE_1)
	s_add_co_i32 s13, s2, 1
.LBB146_8:
	s_load_b32 s2, s[0:1], 0x38
	s_mul_i32 s7, s21, s8
	s_xor_b32 s4, s18, s30
	s_sub_co_i32 s20, s16, s7
	s_add_co_i32 s11, s21, 1
	s_clause 0x1
	s_load_b64 s[16:17], s[0:1], 0x28
	s_load_b32 s7, s[0:1], 0x88
	v_dual_lshrrev_b32 v82, 5, v81 :: v_dual_bitop2_b32 v0, 31, v81 bitop3:0x40
	v_dual_mov_b32 v51, 0xff7fffff :: v_dual_lshrrev_b32 v26, 3, v81
	s_delay_alu instid0(VALU_DEP_2)
	v_dual_lshlrev_b32 v50, 5, v82 :: v_dual_lshlrev_b32 v27, 2, v0
	scratch_store_b32 off, v0, off          ; 4-byte Folded Spill
	s_wait_kmcnt 0x0
	s_mul_i32 s18, s2, s28
	s_sub_co_i32 s2, s20, s8
	s_ashr_i32 s19, s18, 31
	s_cmp_ge_u32 s20, s8
	s_cselect_b32 s11, s11, s21
	s_cselect_b32 s2, s2, s20
	s_add_co_i32 s20, s11, 1
	s_cmp_ge_u32 s2, s8
	s_cselect_b32 s2, s20, s11
	s_add_co_i32 s11, s29, 31
	s_delay_alu instid0(SALU_CYCLE_1) | instskip(NEXT) | instid1(SALU_CYCLE_1)
	s_ashr_i32 s20, s11, 31
	s_lshr_b32 s20, s20, 27
	s_delay_alu instid0(SALU_CYCLE_1)
	s_add_co_i32 s11, s11, s20
	s_mul_i32 s20, s3, s10
	s_ashr_i32 s31, s11, 5
	s_xor_b32 s11, s2, s4
	v_cmp_gt_i32_e64 s2, s31, v82
	s_sub_co_i32 s33, s11, s4
	s_wait_xcnt 0x0
	s_and_saveexec_b32 s22, s2
	s_cbranch_execz .LBB146_16
; %bb.9:
	v_mov_b32_e32 v43, 0
	s_clause 0x1
	scratch_store_b32 off, v22, off offset:52
	scratch_store_b32 off, v81, off offset:44
	s_ashr_i32 s21, s20, 31
	s_sub_co_i32 s35, s33, s5
	s_ashr_i32 s11, s9, 31
	s_wait_xcnt 0x1
	ds_load_b128 v[22:25], v43
	ds_load_b128 v[10:13], v43 offset:16
	ds_load_b128 v[6:9], v43 offset:32
	;; [unrolled: 1-line block ×5, first 2 shown]
	s_lshl_b64 s[24:25], s[20:21], 1
	s_cmp_neq_f32 s34, 0
	s_load_b64 s[36:37], s[0:1], 0x10
	s_mov_b32 s10, s9
	v_mov_b32_e32 v48, v82
	s_cselect_b32 vcc_lo, -1, 0
	s_abs_i32 s21, s6
	scratch_store_b32 off, v26, off offset:56 ; 4-byte Folded Spill
	s_cvt_f32_u32 s3, s21
	s_sub_co_i32 s4, 0, s21
	s_clause 0x1
	scratch_store_b32 off, v48, off offset:48
	scratch_store_b32 off, v27, off offset:60
	v_mov_b32_e32 v51, 0xff7fffff
	s_wait_dscnt 0x5
	v_and_b32_e32 v1, 0xffff0000, v22
	v_dual_lshlrev_b32 v0, 16, v22 :: v_dual_lshlrev_b32 v58, 16, v23
	s_wait_dscnt 0x2
	v_dual_lshlrev_b32 v80, 16, v4 :: v_dual_lshlrev_b32 v60, 16, v11
	v_lshlrev_b32_e32 v62, 16, v7
	scratch_store_b64 off, v[0:1], off offset:4 ; 8-byte Folded Spill
	s_wait_xcnt 0x0
	v_and_b32_e32 v1, 0xffff0000, v10
	v_lshlrev_b32_e32 v0, 16, v10
	v_and_b32_e32 v65, 0xffff0000, v3
	v_lshlrev_b32_e32 v64, 16, v3
	v_and_b32_e32 v61, 0xffff0000, v11
	v_and_b32_e32 v63, 0xffff0000, v7
	scratch_store_b64 off, v[0:1], off offset:12 ; 8-byte Folded Spill
	s_wait_xcnt 0x0
	v_and_b32_e32 v1, 0xffff0000, v6
	v_lshlrev_b32_e32 v0, 16, v6
	v_and_b32_e32 v73, 0xffff0000, v12
	v_dual_lshlrev_b32 v72, 16, v12 :: v_dual_lshlrev_b32 v74, 16, v25
	v_and_b32_e32 v77, 0xffff0000, v8
	scratch_store_b64 off, v[0:1], off offset:20 ; 8-byte Folded Spill
	s_wait_xcnt 0x0
	v_and_b32_e32 v1, 0xffff0000, v2
	v_dual_lshlrev_b32 v0, 16, v2 :: v_dual_lshlrev_b32 v76, 16, v8
	v_lshlrev_b32_e32 v78, 16, v13
	v_and_b32_e32 v79, 0xffff0000, v13
	v_and_b32_e32 v83, 0xffff0000, v9
	scratch_store_b64 off, v[0:1], off offset:28 ; 8-byte Folded Spill
	s_wait_dscnt 0x1
	s_wait_xcnt 0x0
	v_and_b32_e32 v1, 0xffff0000, v14
	v_dual_lshlrev_b32 v0, 16, v14 :: v_dual_lshlrev_b32 v82, 16, v9
	v_lshlrev_b32_e32 v84, 16, v16
	ds_load_b128 v[6:9], v43 offset:112
	ds_load_b128 v[10:13], v43 offset:128
	scratch_store_b64 off, v[0:1], off offset:36 ; 8-byte Folded Spill
	s_wait_xcnt 0x0
	ds_load_b128 v[0:3], v43 offset:96
	v_lshlrev_b32_e32 v90, 16, v17
	s_wait_dscnt 0x3
	v_lshlrev_b32_e32 v92, 16, v21
	v_and_b32_e32 v81, 0xffff0000, v4
	v_rcp_iflag_f32_e32 v4, s3
	s_wait_kmcnt 0x0
	s_add_nc_u64 s[24:25], s[36:37], s[24:25]
	v_and_b32_e32 v57, 0xffff0000, v18
	v_dual_lshlrev_b32 v56, 16, v18 :: v_dual_lshlrev_b32 v66, 16, v15
	v_and_b32_e32 v59, 0xffff0000, v23
	v_and_b32_e32 v67, 0xffff0000, v15
	v_readfirstlane_b32 s3, v4
	v_and_b32_e32 v69, 0xffff0000, v19
	v_dual_lshlrev_b32 v68, 16, v19 :: v_dual_lshlrev_b32 v70, 16, v24
	v_and_b32_e32 v71, 0xffff0000, v24
	s_mul_f32 s3, s3, 0x4f7ffffe
	v_and_b32_e32 v75, 0xffff0000, v25
	v_and_b32_e32 v85, 0xffff0000, v16
	;; [unrolled: 1-line block ×3, first 2 shown]
	s_wait_dscnt 0x0
	v_and_b32_e32 v95, 0xffff0000, v0
	v_lshlrev_b32_e32 v94, 16, v0
	v_and_b32_e32 v97, 0xffff0000, v1
	v_dual_lshlrev_b32 v96, 16, v1 :: v_dual_lshlrev_b32 v100, 16, v3
	v_and_b32_e32 v99, 0xffff0000, v2
	v_lshlrev_b32_e32 v98, 16, v2
	v_and_b32_e32 v101, 0xffff0000, v3
	ds_load_b128 v[0:3], v43 offset:144
	s_cvt_u32_f32 s3, s3
	v_dual_lshlrev_b32 v86, 16, v5 :: v_dual_lshlrev_b32 v88, 16, v20
	v_and_b32_e32 v89, 0xffff0000, v20
	s_delay_alu instid0(SALU_CYCLE_1)
	s_mul_i32 s4, s4, s3
	v_and_b32_e32 v91, 0xffff0000, v17
	v_and_b32_e32 v93, 0xffff0000, v21
	;; [unrolled: 1-line block ×3, first 2 shown]
	v_dual_lshlrev_b32 v102, 16, v6 :: v_dual_lshlrev_b32 v104, 16, v7
	v_and_b32_e32 v105, 0xffff0000, v7
	v_and_b32_e32 v107, 0xffff0000, v8
	v_dual_lshlrev_b32 v106, 16, v8 :: v_dual_lshlrev_b32 v108, 16, v9
	v_and_b32_e32 v109, 0xffff0000, v9
	v_and_b32_e32 v111, 0xffff0000, v10
	v_dual_lshlrev_b32 v110, 16, v10 :: v_dual_lshlrev_b32 v112, 16, v11
	v_and_b32_e32 v113, 0xffff0000, v11
	s_wait_dscnt 0x0
	v_and_b32_e32 v119, 0xffff0000, v0
	v_dual_lshlrev_b32 v118, 16, v0 :: v_dual_lshlrev_b32 v120, 16, v1
	scratch_load_b32 v0, off, off           ; 4-byte Folded Reload
	v_and_b32_e32 v121, 0xffff0000, v1
	v_lshl_or_b32 v1, v48, 7, v27
	v_and_b32_e32 v115, 0xffff0000, v12
	v_dual_lshlrev_b32 v114, 16, v12 :: v_dual_lshlrev_b32 v116, 16, v13
	v_and_b32_e32 v117, 0xffff0000, v13
	v_and_b32_e32 v123, 0xffff0000, v2
	v_dual_lshlrev_b32 v122, 16, v2 :: v_dual_lshlrev_b32 v124, 16, v3
	v_and_b32_e32 v125, 0xffff0000, v3
	v_add_nc_u32_e32 v47, 0xc0, v1
	s_mul_hi_u32 s4, s3, s4
	s_wait_loadcnt 0x0
	v_lshlrev_b32_e32 v42, 4, v0
	v_subrev_nc_u32_e32 v0, s29, v0
	s_delay_alu instid0(VALU_DEP_1) | instskip(NEXT) | instid1(VALU_DEP_3)
	v_add_nc_u32_e32 v46, 1, v0
	v_add_nc_u64_e32 v[126:127], s[24:25], v[42:43]
	v_and_b32_e32 v42, 0x7c, v26
	s_lshl_b64 s[24:25], s[18:19], 2
	s_delay_alu instid0(SALU_CYCLE_1)
	s_add_nc_u64 s[24:25], s[16:17], s[24:25]
	s_delay_alu instid0(VALU_DEP_1) | instid1(SALU_CYCLE_1)
	v_add_nc_u64_e32 v[44:45], s[24:25], v[42:43]
	v_lshlrev_b32_e32 v42, 5, v48
	s_mov_b32 s25, 0
	s_add_co_i32 s24, s3, s4
	s_mov_b32 s36, s25
	s_branch .LBB146_11
.LBB146_10:                             ;   in Loop: Header=BB146_11 Depth=1
	s_wait_xcnt 0x0
	s_or_b32 exec_lo, exec_lo, s4
	v_add_nc_u32_e32 v48, 4, v48
	v_add_nc_u64_e32 v[44:45], 16, v[44:45]
	v_add_nc_u32_e32 v42, 0x80, v42
	v_add_nc_u32_e32 v47, 0x200, v47
	s_delay_alu instid0(VALU_DEP_4) | instskip(SKIP_1) | instid1(SALU_CYCLE_1)
	v_cmp_le_i32_e64 s3, s31, v48
	s_or_b32 s36, s3, s36
	s_and_not1_b32 exec_lo, exec_lo, s36
	s_cbranch_execz .LBB146_15
.LBB146_11:                             ; =>This Inner Loop Header: Depth=1
	v_mul_u64_e32 v[0:1], s[14:15], v[42:43]
	s_delay_alu instid0(VALU_DEP_1) | instskip(NEXT) | instid1(VALU_DEP_1)
	v_mul_lo_u32 v0, v1, s8
	v_dual_add_nc_u32 v2, 1, v1 :: v_dual_sub_nc_u32 v0, v42, v0
	s_delay_alu instid0(VALU_DEP_1) | instskip(SKIP_1) | instid1(VALU_DEP_1)
	v_subrev_nc_u32_e32 v3, s8, v0
	v_cmp_le_u32_e64 s3, s8, v0
	v_dual_cndmask_b32 v1, v1, v2, s3 :: v_dual_cndmask_b32 v0, v0, v3, s3
	s_delay_alu instid0(VALU_DEP_1) | instskip(NEXT) | instid1(VALU_DEP_2)
	v_add_nc_u32_e32 v2, 1, v1
	v_cmp_le_u32_e64 s3, s8, v0
	s_delay_alu instid0(VALU_DEP_1) | instskip(NEXT) | instid1(VALU_DEP_1)
	v_dual_cndmask_b32 v0, v1, v2, s3 :: v_dual_mov_b32 v1, v43
	v_xor_b32_e32 v0, s30, v0
	s_delay_alu instid0(VALU_DEP_1) | instskip(NEXT) | instid1(VALU_DEP_1)
	v_subrev_nc_u32_e32 v4, s30, v0
	v_add_nc_u32_e32 v5, s13, v4
	v_cmp_ge_i32_e64 s4, s35, v4
	s_delay_alu instid0(VALU_DEP_2) | instskip(NEXT) | instid1(VALU_DEP_1)
	v_sub_nc_u32_e32 v0, 0, v5
	v_max_i32_e32 v0, v5, v0
	s_delay_alu instid0(VALU_DEP_1) | instskip(SKIP_1) | instid1(VALU_DEP_2)
	v_mul_u64_e32 v[2:3], s[24:25], v[0:1]
	v_ashrrev_i32_e32 v2, 31, v5
	v_mul_lo_u32 v1, v3, s21
	s_delay_alu instid0(VALU_DEP_1) | instskip(NEXT) | instid1(VALU_DEP_1)
	v_sub_nc_u32_e32 v0, v0, v1
	v_subrev_nc_u32_e32 v1, s21, v0
	v_cmp_le_u32_e64 s3, s21, v0
	s_delay_alu instid0(VALU_DEP_1) | instskip(NEXT) | instid1(VALU_DEP_1)
	v_cndmask_b32_e64 v0, v0, v1, s3
	v_subrev_nc_u32_e32 v1, s21, v0
	v_cmp_le_u32_e64 s3, s21, v0
	s_delay_alu instid0(VALU_DEP_1) | instskip(NEXT) | instid1(VALU_DEP_1)
	v_cndmask_b32_e64 v0, v0, v1, s3
	v_xor_b32_e32 v0, v0, v2
	s_delay_alu instid0(VALU_DEP_1) | instskip(NEXT) | instid1(VALU_DEP_1)
	v_sub_nc_u32_e32 v0, v0, v2
	v_cmp_ne_u32_e64 s3, 0, v0
	s_and_b32 s3, s3, s4
	s_wait_xcnt 0x0
	s_and_saveexec_b32 s4, s3
	s_delay_alu instid0(SALU_CYCLE_1)
	s_xor_b32 s3, exec_lo, s4
; %bb.12:                               ;   in Loop: Header=BB146_11 Depth=1
	v_mov_b32_e32 v0, 0xff7fffff
	ds_store_b32 v47, v0
; %bb.13:                               ;   in Loop: Header=BB146_11 Depth=1
	s_and_not1_saveexec_b32 s4, s3
	s_cbranch_execz .LBB146_10
; %bb.14:                               ;   in Loop: Header=BB146_11 Depth=1
	global_load_b32 v0, v[44:45], off
	scratch_load_b32 v2, off, off           ; 4-byte Folded Reload
	v_add_nc_u32_e32 v3, v46, v42
	s_delay_alu instid0(VALU_DEP_1) | instskip(NEXT) | instid1(VALU_DEP_1)
	v_cvt_f32_i32_e32 v3, v3
	v_mul_f32_e32 v3, s34, v3
	s_wait_loadcnt 0x1
	s_delay_alu instid0(VALU_DEP_1) | instskip(SKIP_2) | instid1(VALU_DEP_2)
	v_dual_cndmask_b32 v49, 0, v3, vcc_lo :: v_dual_ashrrev_i32 v1, 31, v0
	s_wait_loadcnt 0x0
	v_add_nc_u32_e32 v2, v2, v42
	v_mul_u64_e32 v[0:1], s[10:11], v[0:1]
	s_delay_alu instid0(VALU_DEP_2) | instskip(NEXT) | instid1(VALU_DEP_2)
	v_cmp_gt_i32_e64 s3, s29, v2
	v_lshl_add_u64 v[0:1], v[0:1], 1, v[126:127]
	s_clause 0x9
	global_load_b128 v[38:41], v[0:1], off
	global_load_b128 v[34:37], v[0:1], off offset:512
	global_load_b128 v[30:33], v[0:1], off offset:1024
	global_load_b128 v[26:29], v[0:1], off offset:1536
	global_load_b128 v[22:25], v[0:1], off offset:2048
	global_load_b128 v[18:21], v[0:1], off offset:2560
	global_load_b128 v[14:17], v[0:1], off offset:3072
	global_load_b128 v[10:13], v[0:1], off offset:3584
	global_load_b128 v[6:9], v[0:1], off offset:4096
	global_load_b128 v[2:5], v[0:1], off offset:4608
	scratch_load_b64 v[54:55], off, off offset:12 ; 8-byte Folded Reload
	s_wait_loadcnt 0xa
	s_wait_xcnt 0x1
	v_and_b32_e32 v1, 0xffff0000, v38
	s_wait_loadcnt 0x9
	v_and_b32_e32 v53, 0xffff0000, v34
	v_lshlrev_b32_e32 v52, 16, v34
	v_dual_lshlrev_b32 v0, 16, v38 :: v_dual_lshlrev_b32 v38, 16, v35
	s_wait_loadcnt 0x0
	s_delay_alu instid0(VALU_DEP_2)
	v_pk_mul_f32 v[52:53], v[54:55], v[52:53]
	scratch_load_b64 v[54:55], off, off offset:4 ; 8-byte Folded Reload
	s_wait_loadcnt 0x0
	v_pk_fma_f32 v[0:1], v[54:55], v[0:1], v[52:53]
	scratch_load_b64 v[54:55], off, off offset:20 ; 8-byte Folded Reload
	v_and_b32_e32 v53, 0xffff0000, v30
	v_lshlrev_b32_e32 v52, 16, v30
	s_wait_loadcnt 0x0
	s_delay_alu instid0(VALU_DEP_1) | instskip(SKIP_4) | instid1(VALU_DEP_1)
	v_pk_fma_f32 v[0:1], v[54:55], v[52:53], v[0:1]
	scratch_load_b64 v[54:55], off, off offset:28 ; 8-byte Folded Reload
	v_and_b32_e32 v53, 0xffff0000, v26
	v_lshlrev_b32_e32 v52, 16, v26
	s_wait_loadcnt 0x0
	v_pk_fma_f32 v[0:1], v[54:55], v[52:53], v[0:1]
	scratch_load_b64 v[54:55], off, off offset:36 ; 8-byte Folded Reload
	v_and_b32_e32 v53, 0xffff0000, v22
	v_lshlrev_b32_e32 v52, 16, v22
	s_wait_loadcnt 0x0
	s_delay_alu instid0(VALU_DEP_1) | instskip(SKIP_2) | instid1(VALU_DEP_1)
	v_pk_fma_f32 v[0:1], v[54:55], v[52:53], v[0:1]
	v_and_b32_e32 v53, 0xffff0000, v18
	v_lshlrev_b32_e32 v52, 16, v18
	v_pk_fma_f32 v[0:1], v[56:57], v[52:53], v[0:1]
	v_and_b32_e32 v53, 0xffff0000, v14
	v_lshlrev_b32_e32 v52, 16, v14
	s_delay_alu instid0(VALU_DEP_1) | instskip(SKIP_2) | instid1(VALU_DEP_1)
	v_pk_fma_f32 v[0:1], v[94:95], v[52:53], v[0:1]
	v_and_b32_e32 v53, 0xffff0000, v10
	v_lshlrev_b32_e32 v52, 16, v10
	v_pk_fma_f32 v[0:1], v[102:103], v[52:53], v[0:1]
	v_and_b32_e32 v53, 0xffff0000, v6
	v_lshlrev_b32_e32 v52, 16, v6
	;; [unrolled: 7-line block ×3, first 2 shown]
	v_and_b32_e32 v39, 0xffff0000, v35
	s_delay_alu instid0(VALU_DEP_4) | instskip(NEXT) | instid1(VALU_DEP_2)
	v_dual_add_f32 v0, v0, v1 :: v_dual_max_num_f32 v1, v51, v51
	v_pk_mul_f32 v[34:35], v[60:61], v[38:39]
	v_and_b32_e32 v39, 0xffff0000, v31
	v_lshlrev_b32_e32 v38, 16, v31
	s_delay_alu instid0(VALU_DEP_3) | instskip(NEXT) | instid1(VALU_DEP_1)
	v_pk_fma_f32 v[34:35], v[58:59], v[52:53], v[34:35]
	v_pk_fma_f32 v[30:31], v[62:63], v[38:39], v[34:35]
	v_and_b32_e32 v35, 0xffff0000, v27
	v_lshlrev_b32_e32 v34, 16, v27
	s_delay_alu instid0(VALU_DEP_1) | instskip(SKIP_2) | instid1(VALU_DEP_1)
	v_pk_fma_f32 v[26:27], v[64:65], v[34:35], v[30:31]
	v_and_b32_e32 v31, 0xffff0000, v23
	v_lshlrev_b32_e32 v30, 16, v23
	v_pk_fma_f32 v[22:23], v[66:67], v[30:31], v[26:27]
	v_and_b32_e32 v27, 0xffff0000, v19
	v_lshlrev_b32_e32 v26, 16, v19
	s_delay_alu instid0(VALU_DEP_1) | instskip(SKIP_2) | instid1(VALU_DEP_1)
	v_pk_fma_f32 v[18:19], v[68:69], v[26:27], v[22:23]
	v_and_b32_e32 v23, 0xffff0000, v15
	v_lshlrev_b32_e32 v22, 16, v15
	;; [unrolled: 7-line block ×3, first 2 shown]
	v_pk_fma_f32 v[6:7], v[112:113], v[14:15], v[10:11]
	v_and_b32_e32 v11, 0xffff0000, v3
	v_dual_lshlrev_b32 v10, 16, v3 :: v_dual_lshlrev_b32 v14, 16, v37
	v_and_b32_e32 v15, 0xffff0000, v37
	s_delay_alu instid0(VALU_DEP_2)
	v_pk_fma_f32 v[2:3], v[120:121], v[10:11], v[6:7]
	v_and_b32_e32 v11, 0xffff0000, v36
	v_lshlrev_b32_e32 v10, 16, v36
	v_and_b32_e32 v7, 0xffff0000, v40
	v_lshlrev_b32_e32 v6, 16, v40
	v_pk_mul_f32 v[14:15], v[78:79], v[14:15]
	v_add_f32_e32 v0, v0, v2
	v_pk_mul_f32 v[10:11], v[72:73], v[10:11]
	s_delay_alu instid0(VALU_DEP_2) | instskip(NEXT) | instid1(VALU_DEP_2)
	v_add_f32_e32 v0, v3, v0
	v_pk_fma_f32 v[6:7], v[70:71], v[6:7], v[10:11]
	v_and_b32_e32 v11, 0xffff0000, v32
	v_lshlrev_b32_e32 v10, 16, v32
	s_delay_alu instid0(VALU_DEP_1) | instskip(SKIP_2) | instid1(VALU_DEP_1)
	v_pk_fma_f32 v[6:7], v[76:77], v[10:11], v[6:7]
	v_and_b32_e32 v11, 0xffff0000, v28
	v_lshlrev_b32_e32 v10, 16, v28
	v_pk_fma_f32 v[6:7], v[80:81], v[10:11], v[6:7]
	v_and_b32_e32 v11, 0xffff0000, v24
	v_lshlrev_b32_e32 v10, 16, v24
	s_delay_alu instid0(VALU_DEP_1) | instskip(SKIP_2) | instid1(VALU_DEP_1)
	v_pk_fma_f32 v[6:7], v[84:85], v[10:11], v[6:7]
	v_and_b32_e32 v11, 0xffff0000, v20
	v_lshlrev_b32_e32 v10, 16, v20
	v_pk_fma_f32 v[6:7], v[88:89], v[10:11], v[6:7]
	v_and_b32_e32 v11, 0xffff0000, v16
	v_lshlrev_b32_e32 v10, 16, v16
	s_delay_alu instid0(VALU_DEP_1) | instskip(SKIP_2) | instid1(VALU_DEP_1)
	v_pk_fma_f32 v[6:7], v[98:99], v[10:11], v[6:7]
	v_and_b32_e32 v11, 0xffff0000, v12
	v_dual_lshlrev_b32 v10, 16, v12 :: v_dual_lshlrev_b32 v12, 16, v9
	v_pk_fma_f32 v[6:7], v[106:107], v[10:11], v[6:7]
	v_and_b32_e32 v11, 0xffff0000, v8
	v_lshlrev_b32_e32 v10, 16, v8
	s_delay_alu instid0(VALU_DEP_1) | instskip(SKIP_2) | instid1(VALU_DEP_1)
	v_pk_fma_f32 v[6:7], v[114:115], v[10:11], v[6:7]
	v_and_b32_e32 v11, 0xffff0000, v4
	v_lshlrev_b32_e32 v10, 16, v4
	v_pk_fma_f32 v[6:7], v[122:123], v[10:11], v[6:7]
	v_and_b32_e32 v11, 0xffff0000, v41
	s_delay_alu instid0(VALU_DEP_2) | instskip(NEXT) | instid1(VALU_DEP_1)
	v_dual_lshlrev_b32 v10, 16, v41 :: v_dual_add_f32 v0, v6, v0
	v_pk_fma_f32 v[10:11], v[74:75], v[10:11], v[14:15]
	v_and_b32_e32 v15, 0xffff0000, v33
	s_delay_alu instid0(VALU_DEP_3) | instskip(NEXT) | instid1(VALU_DEP_1)
	v_dual_lshlrev_b32 v14, 16, v33 :: v_dual_add_f32 v0, v7, v0
	v_pk_fma_f32 v[10:11], v[82:83], v[14:15], v[10:11]
	v_and_b32_e32 v15, 0xffff0000, v29
	v_lshlrev_b32_e32 v14, 16, v29
	s_delay_alu instid0(VALU_DEP_1) | instskip(SKIP_2) | instid1(VALU_DEP_1)
	v_pk_fma_f32 v[10:11], v[86:87], v[14:15], v[10:11]
	v_and_b32_e32 v15, 0xffff0000, v25
	v_lshlrev_b32_e32 v14, 16, v25
	v_pk_fma_f32 v[10:11], v[90:91], v[14:15], v[10:11]
	v_and_b32_e32 v15, 0xffff0000, v21
	v_lshlrev_b32_e32 v14, 16, v21
	s_delay_alu instid0(VALU_DEP_1) | instskip(SKIP_2) | instid1(VALU_DEP_1)
	v_pk_fma_f32 v[10:11], v[92:93], v[14:15], v[10:11]
	v_and_b32_e32 v15, 0xffff0000, v17
	v_lshlrev_b32_e32 v14, 16, v17
	v_pk_fma_f32 v[10:11], v[100:101], v[14:15], v[10:11]
	v_and_b32_e32 v15, 0xffff0000, v13
	v_lshlrev_b32_e32 v14, 16, v13
	v_and_b32_e32 v13, 0xffff0000, v9
	s_delay_alu instid0(VALU_DEP_2) | instskip(NEXT) | instid1(VALU_DEP_1)
	v_pk_fma_f32 v[10:11], v[108:109], v[14:15], v[10:11]
	v_pk_fma_f32 v[8:9], v[116:117], v[12:13], v[10:11]
	v_lshlrev_b32_e32 v10, 16, v5
	v_and_b32_e32 v11, 0xffff0000, v5
	s_delay_alu instid0(VALU_DEP_1) | instskip(NEXT) | instid1(VALU_DEP_1)
	v_pk_fma_f32 v[4:5], v[124:125], v[10:11], v[8:9]
	v_add_f32_e32 v0, v4, v0
	s_delay_alu instid0(VALU_DEP_1) | instskip(NEXT) | instid1(VALU_DEP_1)
	v_add_f32_e32 v0, v5, v0
	v_fmac_f32_e32 v49, s23, v0
	s_delay_alu instid0(VALU_DEP_1) | instskip(NEXT) | instid1(VALU_DEP_1)
	v_dual_max_num_f32 v1, v1, v49 :: v_dual_cndmask_b32 v0, 0, v49, s3
	v_cndmask_b32_e64 v51, v51, v1, s3
	ds_store_b32 v47, v0
	s_branch .LBB146_10
.LBB146_15:
	s_or_b32 exec_lo, exec_lo, s36
	s_clause 0x4
	scratch_load_b32 v81, off, off offset:44
	scratch_load_b32 v82, off, off offset:48
	;; [unrolled: 1-line block ×5, first 2 shown]
.LBB146_16:
	s_wait_xcnt 0x0
	s_or_b32 exec_lo, exec_lo, s22
	v_mbcnt_lo_u32_b32 v3, -1, 0
	s_clause 0x1
	s_load_b64 s[10:11], s[0:1], 0x0
	s_load_b64 s[22:23], s[0:1], 0x18
	v_max_num_f32_e32 v4, v51, v51
	v_xor_b32_e32 v2, 8, v3
	v_xor_b32_e32 v0, 16, v3
	s_delay_alu instid0(VALU_DEP_1) | instskip(SKIP_1) | instid1(VALU_DEP_1)
	v_cmp_gt_i32_e32 vcc_lo, 32, v0
	v_cndmask_b32_e32 v0, v3, v0, vcc_lo
	v_lshlrev_b32_e32 v0, 2, v0
	ds_bpermute_b32 v1, v0, v51
	s_wait_dscnt 0x0
	v_max_num_f32_e32 v5, v1, v1
	s_delay_alu instid0(VALU_DEP_1) | instskip(SKIP_2) | instid1(VALU_DEP_1)
	v_max_num_f32_e32 v4, v4, v5
	v_cmp_gt_i32_e32 vcc_lo, 32, v2
	v_dual_cndmask_b32 v2, v3, v2, vcc_lo :: v_dual_bitop2_b32 v5, 4, v3 bitop3:0x14
	v_cmp_gt_i32_e32 vcc_lo, 32, v5
	s_delay_alu instid0(VALU_DEP_2) | instskip(SKIP_3) | instid1(VALU_DEP_1)
	v_lshlrev_b32_e32 v1, 2, v2
	ds_bpermute_b32 v2, v1, v4
	s_wait_dscnt 0x0
	v_dual_cndmask_b32 v5, v3, v5 :: v_dual_max_num_f32 v6, v2, v2
	v_dual_lshlrev_b32 v2, 2, v5 :: v_dual_max_num_f32 v4, v4, v6
	ds_bpermute_b32 v5, v2, v4
	s_wait_dscnt 0x0
	v_dual_max_num_f32 v5, v5, v5 :: v_dual_bitop2_b32 v6, 2, v3 bitop3:0x14
	s_delay_alu instid0(VALU_DEP_1) | instskip(NEXT) | instid1(VALU_DEP_2)
	v_cmp_gt_i32_e32 vcc_lo, 32, v6
	v_dual_max_num_f32 v4, v4, v5 :: v_dual_cndmask_b32 v6, v3, v6, vcc_lo
	s_delay_alu instid0(VALU_DEP_1) | instskip(SKIP_3) | instid1(VALU_DEP_1)
	v_dual_lshlrev_b32 v65, 2, v6 :: v_dual_bitop2_b32 v6, 1, v3 bitop3:0x14
	ds_bpermute_b32 v5, v65, v4
	v_cmp_gt_i32_e32 vcc_lo, 32, v6
	v_cndmask_b32_e32 v3, v3, v6, vcc_lo
	v_lshlrev_b32_e32 v64, 2, v3
	scratch_load_b32 v3, off, off           ; 4-byte Folded Reload
	s_wait_dscnt 0x0
	v_max_num_f32_e32 v5, v5, v5
	s_delay_alu instid0(VALU_DEP_1)
	v_max_num_f32_e32 v4, v4, v5
	ds_bpermute_b32 v5, v64, v4
	s_wait_loadcnt 0x0
	v_cmp_eq_u32_e32 vcc_lo, 0, v3
	v_lshlrev_b32_e32 v3, 2, v82
	s_wait_xcnt 0x0
	s_and_saveexec_b32 s0, vcc_lo
	s_cbranch_execz .LBB146_18
; %bb.17:
	s_wait_dscnt 0x0
	v_dual_max_num_f32 v5, v5, v5 :: v_dual_max_num_f32 v4, v4, v4
	s_delay_alu instid0(VALU_DEP_1)
	v_max_num_f32_e32 v4, v4, v5
	ds_store_b32 v3, v4 offset:160
.LBB146_18:
	s_or_b32 exec_lo, exec_lo, s0
	scratch_load_b32 v4, off, off           ; 4-byte Folded Reload
	s_wait_storecnt 0x0
	s_wait_loadcnt_dscnt 0x0
	s_barrier_signal -1
	s_barrier_wait -1
	v_cmp_gt_u32_e64 s0, 4, v4
	v_mov_b32_e32 v4, 0xff7fffff
	s_and_saveexec_b32 s1, s0
; %bb.19:
	ds_load_b32 v4, v27 offset:160
; %bb.20:
	s_or_b32 exec_lo, exec_lo, s1
	s_wait_dscnt 0x0
	ds_bpermute_b32 v5, v65, v4
	v_max_num_f32_e32 v4, v4, v4
	s_lshl_b32 s1, s31, 5
	s_delay_alu instid0(SALU_CYCLE_1) | instskip(NEXT) | instid1(SALU_CYCLE_1)
	s_min_i32 s4, s1, s29
	v_cmp_gt_i32_e64 s1, s4, v81
	s_wait_dscnt 0x0
	v_max_num_f32_e32 v5, v5, v5
	s_delay_alu instid0(VALU_DEP_1) | instskip(SKIP_3) | instid1(VALU_DEP_1)
	v_max_num_f32_e32 v4, v4, v5
	ds_bpermute_b32 v5, v64, v4
	s_wait_dscnt 0x0
	v_max_num_f32_e32 v5, v5, v5
	v_dual_max_num_f32 v5, v4, v5 :: v_dual_mov_b32 v4, 0
	ds_bpermute_b32 v5, v4, v5
	s_and_saveexec_b32 s21, s1
	s_cbranch_execz .LBB146_24
; %bb.21:
	v_lshl_add_u32 v6, v81, 2, 0xc0
	v_dual_mov_b32 v4, 0 :: v_dual_mov_b32 v7, v81
	s_mov_b32 s24, 0
.LBB146_22:                             ; =>This Inner Loop Header: Depth=1
	ds_load_b32 v8, v6
	v_add_nc_u32_e32 v7, 0x80, v7
	s_delay_alu instid0(VALU_DEP_1) | instskip(SKIP_3) | instid1(VALU_DEP_1)
	v_cmp_le_i32_e64 s3, s4, v7
	s_or_b32 s24, s3, s24
	s_wait_dscnt 0x0
	v_sub_f32_e32 v8, v8, v5
	v_mul_f32_e32 v8, 0x3fb8aa3b, v8
	s_delay_alu instid0(VALU_DEP_1)
	v_exp_f32_e32 v8, v8
	ds_store_b32 v6, v8
	v_nop
	v_add_f32_e32 v4, v4, v8
	v_add_nc_u32_e32 v6, 0x200, v6
	s_and_not1_b32 exec_lo, exec_lo, s24
	s_cbranch_execnz .LBB146_22
; %bb.23:
	s_or_b32 exec_lo, exec_lo, s24
.LBB146_24:
	s_delay_alu instid0(SALU_CYCLE_1)
	s_or_b32 exec_lo, exec_lo, s21
	ds_bpermute_b32 v0, v0, v4
	s_wait_dscnt 0x0
	v_add_f32_e32 v0, v4, v0
	ds_bpermute_b32 v1, v1, v0
	s_wait_dscnt 0x0
	v_add_f32_e32 v0, v0, v1
	ds_bpermute_b32 v1, v2, v0
	s_wait_dscnt 0x0
	v_add_f32_e32 v0, v0, v1
	ds_bpermute_b32 v1, v65, v0
	s_wait_dscnt 0x0
	v_add_f32_e32 v0, v0, v1
	ds_bpermute_b32 v1, v64, v0
	s_wait_dscnt 0x0
	v_add_f32_e32 v0, v0, v1
	s_and_saveexec_b32 s3, vcc_lo
; %bb.25:
	ds_store_b32 v3, v0 offset:176
; %bb.26:
	s_or_b32 exec_lo, exec_lo, s3
	s_wait_dscnt 0x0
	s_barrier_signal -1
	s_barrier_wait -1
	s_and_saveexec_b32 s3, s0
; %bb.27:
	ds_load_b32 v0, v27 offset:176
; %bb.28:
	s_or_b32 exec_lo, exec_lo, s3
	s_wait_dscnt 0x0
	ds_bpermute_b32 v1, v65, v0
	s_wait_dscnt 0x0
	v_dual_mov_b32 v53, 0 :: v_dual_add_f32 v0, v0, v1
	ds_bpermute_b32 v1, v64, v0
	s_wait_dscnt 0x0
	v_add_f32_e32 v0, v0, v1
	ds_bpermute_b32 v0, v53, v0
	s_and_saveexec_b32 s0, s1
	s_cbranch_execz .LBB146_41
; %bb.29:
	s_wait_dscnt 0x0
	v_add_f32_e32 v0, 0x358637bd, v0
	s_mov_b32 s3, -1
	s_mov_b32 s1, exec_lo
	s_delay_alu instid0(VALU_DEP_1) | instskip(NEXT) | instid1(VALU_DEP_1)
	v_div_scale_f32 v1, null, v0, v0, 1.0
	v_rcp_f32_e32 v3, v1
	v_nop
	s_delay_alu instid0(TRANS32_DEP_1) | instskip(NEXT) | instid1(VALU_DEP_1)
	v_fma_f32 v2, -v1, v3, 1.0
	v_fmac_f32_e32 v3, v2, v3
	v_div_scale_f32 v4, vcc_lo, 1.0, v0, 1.0
	s_delay_alu instid0(VALU_DEP_1) | instskip(NEXT) | instid1(VALU_DEP_1)
	v_mul_f32_e32 v5, v4, v3
	v_fma_f32 v2, -v1, v5, v4
	s_delay_alu instid0(VALU_DEP_1) | instskip(SKIP_1) | instid1(VALU_DEP_2)
	v_fmac_f32_e32 v5, v2, v3
	v_xad_u32 v2, v81, -1, s4
	v_fma_f32 v1, -v1, v5, v4
	s_delay_alu instid0(VALU_DEP_1) | instskip(NEXT) | instid1(VALU_DEP_1)
	v_div_fmas_f32 v1, v1, v3, v5
	v_div_fixup_f32 v0, v1, v0, 1.0
	v_mov_b32_e32 v1, v81
	v_cmpx_lt_u32_e32 0x7f, v2
	s_cbranch_execz .LBB146_38
; %bb.30:
	s_delay_alu instid0(VALU_DEP_3) | instskip(NEXT) | instid1(VALU_DEP_1)
	v_dual_mov_b32 v1, v0 :: v_dual_lshrrev_b32 v2, 7, v2
	v_dual_mov_b32 v6, 0 :: v_dual_add_nc_u32 v3, -1, v2
	s_delay_alu instid0(VALU_DEP_1) | instskip(SKIP_1) | instid1(VALU_DEP_2)
	v_lshrrev_b32_e32 v4, 1, v3
	v_cmp_lt_u32_e32 vcc_lo, 13, v3
	v_add_nc_u32_e32 v3, 1, v4
	s_and_saveexec_b32 s3, vcc_lo
	s_cbranch_execz .LBB146_34
; %bb.31:
	s_delay_alu instid0(VALU_DEP_1)
	v_and_b32_e32 v4, -8, v3
	v_lshl_add_u32 v5, v81, 2, 0xc0
	s_mov_b32 s21, 0
	s_mov_b32 s24, 0
.LBB146_32:                             ; =>This Inner Loop Header: Depth=1
	ds_load_2addr_stride64_b32 v[6:7], v5 offset1:2
	ds_load_2addr_stride64_b32 v[8:9], v5 offset0:4 offset1:6
	ds_load_2addr_stride64_b32 v[10:11], v5 offset0:8 offset1:10
	;; [unrolled: 1-line block ×7, first 2 shown]
	s_add_co_i32 s24, s24, 16
	v_add_nc_u32_e32 v4, -8, v4
	s_wait_dscnt 0x7
	v_pk_mul_f32 v[6:7], v[0:1], v[6:7]
	s_wait_dscnt 0x6
	v_pk_mul_f32 v[8:9], v[0:1], v[8:9]
	;; [unrolled: 2-line block ×8, first 2 shown]
	ds_store_2addr_stride64_b32 v5, v6, v7 offset1:2
	ds_store_2addr_stride64_b32 v5, v8, v9 offset0:4 offset1:6
	ds_store_2addr_stride64_b32 v5, v10, v11 offset0:8 offset1:10
	;; [unrolled: 1-line block ×7, first 2 shown]
	v_mov_b32_e32 v6, s24
	v_cmp_eq_u32_e32 vcc_lo, 0, v4
	v_add_nc_u32_e32 v5, 0x2000, v5
	s_or_b32 s21, vcc_lo, s21
	s_delay_alu instid0(SALU_CYCLE_1)
	s_and_not1_b32 exec_lo, exec_lo, s21
	s_cbranch_execnz .LBB146_32
; %bb.33:
	s_or_b32 exec_lo, exec_lo, s21
.LBB146_34:
	s_delay_alu instid0(SALU_CYCLE_1) | instskip(NEXT) | instid1(VALU_DEP_1)
	s_or_b32 exec_lo, exec_lo, s3
	v_and_b32_e32 v3, 7, v3
	s_mov_b32 s21, 0
	s_mov_b32 s3, exec_lo
	s_delay_alu instid0(VALU_DEP_1)
	v_cmpx_ne_u32_e32 0, v3
	s_cbranch_execz .LBB146_37
; %bb.35:
	v_dual_lshlrev_b32 v4, 9, v6 :: v_dual_lshlrev_b32 v5, 2, v81
	s_delay_alu instid0(VALU_DEP_1)
	v_add3_u32 v4, v4, v5, 0xc0
.LBB146_36:                             ; =>This Inner Loop Header: Depth=1
	ds_load_2addr_stride64_b32 v[6:7], v4 offset1:2
	v_add_nc_u32_e32 v3, -1, v3
	s_delay_alu instid0(VALU_DEP_1)
	v_cmp_eq_u32_e32 vcc_lo, 0, v3
	s_or_b32 s21, vcc_lo, s21
	s_wait_dscnt 0x0
	v_pk_mul_f32 v[6:7], v[0:1], v[6:7]
	ds_store_2addr_stride64_b32 v4, v6, v7 offset1:2
	v_add_nc_u32_e32 v4, 0x400, v4
	s_and_not1_b32 exec_lo, exec_lo, s21
	s_cbranch_execnz .LBB146_36
.LBB146_37:
	s_or_b32 exec_lo, exec_lo, s3
	v_add_nc_u32_e32 v1, 1, v2
	s_delay_alu instid0(VALU_DEP_1) | instskip(NEXT) | instid1(VALU_DEP_1)
	v_and_b32_e32 v2, 0x3fffffe, v1
	v_cmp_ne_u32_e32 vcc_lo, v1, v2
	v_lshl_add_u32 v1, v2, 7, v81
	s_or_not1_b32 s3, vcc_lo, exec_lo
.LBB146_38:
	s_or_b32 exec_lo, exec_lo, s1
	s_delay_alu instid0(SALU_CYCLE_1)
	s_and_b32 exec_lo, exec_lo, s3
	s_cbranch_execz .LBB146_41
; %bb.39:
	v_lshl_add_u32 v2, v1, 2, 0xc0
	s_mov_b32 s1, 0
.LBB146_40:                             ; =>This Inner Loop Header: Depth=1
	ds_load_b32 v3, v2
	v_add_nc_u32_e32 v1, 0x80, v1
	s_delay_alu instid0(VALU_DEP_1)
	v_cmp_le_i32_e32 vcc_lo, s4, v1
	s_or_b32 s1, vcc_lo, s1
	s_wait_dscnt 0x0
	v_mul_f32_e32 v3, v0, v3
	ds_store_b32 v2, v3
	v_add_nc_u32_e32 v2, 0x200, v2
	s_and_not1_b32 exec_lo, exec_lo, s1
	s_cbranch_execnz .LBB146_40
.LBB146_41:
	s_or_b32 exec_lo, exec_lo, s0
	v_dual_mov_b32 v52, 0 :: v_dual_bitop2_b32 v66, 3, v81 bitop3:0x40
	s_wait_dscnt 0x0
	v_dual_mov_b32 v1, 0 :: v_dual_mov_b32 v0, 0
	v_dual_mov_b32 v55, 0 :: v_dual_mov_b32 v54, 0
	v_dual_mov_b32 v57, 0 :: v_dual_mov_b32 v56, 0
	v_dual_mov_b32 v59, 0 :: v_dual_mov_b32 v58, 0
	s_barrier_signal -1
	s_barrier_wait -1
	s_and_saveexec_b32 s1, s2
	s_cbranch_execz .LBB146_67
; %bb.42:
	s_abs_i32 s6, s6
	v_dual_lshlrev_b32 v3, 3, v81 :: v_dual_mov_b32 v51, 0
	s_cvt_f32_u32 s0, s6
	v_lshlrev_b32_e32 v4, 5, v66
	s_ashr_i32 s21, s20, 31
	v_and_b32_e32 v0, 0x1f0, v22
	v_rcp_iflag_f32_e32 v1, s0
	v_and_b32_e32 v2, 0x7c, v26
	v_dual_mov_b32 v3, v51 :: v_dual_bitop2_b32 v67, 24, v3 bitop3:0x40
	s_lshl_b64 s[18:19], s[18:19], 2
	s_lshl_b64 s[20:21], s[20:21], 1
	s_add_nc_u64 s[16:17], s[16:17], s[18:19]
	s_delay_alu instid0(TRANS32_DEP_1)
	v_readfirstlane_b32 s0, v1
	v_mov_b32_e32 v1, v51
	v_lshl_or_b32 v4, v82, 7, v4
	s_wait_kmcnt 0x0
	s_add_nc_u64 s[18:19], s[22:23], s[20:21]
	s_sub_co_i32 s4, 0, s6
	s_mul_f32 s0, s0, 0x4f7ffffe
	v_add_nc_u64_e32 v[60:61], s[18:19], v[0:1]
	v_add_nc_u64_e32 v[62:63], s[16:17], v[2:3]
	v_dual_mov_b32 v69, v82 :: v_dual_add_nc_u32 v68, 0xc0, v4
	s_cvt_u32_f32 s0, s0
	v_dual_mov_b32 v58, v51 :: v_dual_mov_b32 v59, v51
	v_dual_mov_b32 v56, v51 :: v_dual_mov_b32 v57, v51
	s_delay_alu instid0(SALU_CYCLE_1)
	s_mul_i32 s4, s4, s0
	v_dual_mov_b32 v54, v51 :: v_dual_mov_b32 v55, v51
	v_dual_mov_b32 v0, v51 :: v_dual_mov_b32 v52, v51
	v_mov_b32_e32 v53, v51
	s_sub_co_i32 s24, s33, s5
	s_mov_b32 s5, 0
	s_mul_hi_u32 s4, s0, s4
	s_ashr_i32 s3, s9, 31
	s_mov_b32 s2, s9
	s_add_co_i32 s9, s31, -1
	s_mov_b32 s16, s29
	s_add_co_i32 s4, s0, s4
	s_mov_b32 s17, s5
	s_branch .LBB146_45
.LBB146_43:                             ;   in Loop: Header=BB146_45 Depth=1
	s_or_b32 exec_lo, exec_lo, s0
	s_wait_dscnt 0x1
	v_cvt_pk_bf16_f32 v19, v18, v19
	v_cvt_pk_bf16_f32 v18, v20, v21
	s_wait_dscnt 0x0
	v_cvt_pk_bf16_f32 v14, v14, v15
	v_cvt_pk_bf16_f32 v15, v16, v17
	s_wait_loadcnt 0x1
	v_pk_mul_bf16 v20, v19, v46
	v_pk_mul_bf16 v21, v18, v47
	;; [unrolled: 1-line block ×5, first 2 shown]
	s_delay_alu instid0(VALU_DEP_4)
	v_dual_lshlrev_b32 v17, 16, v20 :: v_dual_lshlrev_b32 v46, 16, v21
	v_and_b32_e32 v20, 0xffff0000, v20
	v_and_b32_e32 v21, 0xffff0000, v21
	v_lshlrev_b32_e32 v48, 16, v16
	v_and_b32_e32 v16, 0xffff0000, v16
	v_pk_mul_bf16 v36, v14, v36
	s_delay_alu instid0(VALU_DEP_4)
	v_dual_add_f32 v17, v17, v20 :: v_dual_add_f32 v20, v46, v21
	v_pk_mul_bf16 v21, v19, v42
	v_pk_mul_bf16 v42, v18, v43
	;; [unrolled: 1-line block ×3, first 2 shown]
	v_add_f32_e32 v16, v48, v16
	v_add_f32_e32 v17, v20, v17
	v_lshlrev_b32_e32 v20, 16, v21
	v_and_b32_e32 v21, 0xffff0000, v21
	v_lshlrev_b32_e32 v44, 16, v42
	v_and_b32_e32 v42, 0xffff0000, v42
	v_and_b32_e32 v46, 0xffff0000, v47
	v_pk_mul_bf16 v32, v14, v32
	v_add_f32_e32 v20, v20, v21
	v_pk_mul_bf16 v26, v19, v26
	v_dual_add_f32 v21, v44, v42 :: v_dual_lshlrev_b32 v42, 16, v43
	v_dual_add_f32 v16, v16, v17 :: v_dual_lshlrev_b32 v17, 16, v47
	v_and_b32_e32 v43, 0xffff0000, v43
	v_pk_mul_bf16 v44, v15, v45
	v_lshlrev_b32_e32 v45, 16, v35
	v_and_b32_e32 v35, 0xffff0000, v35
	v_add_f32_e32 v17, v17, v46
	v_add_f32_e32 v20, v21, v20
	v_pk_mul_bf16 v21, v19, v34
	v_dual_add_f32 v34, v42, v43 :: v_dual_lshlrev_b32 v42, 16, v44
	v_and_b32_e32 v43, 0xffff0000, v44
	v_pk_mul_bf16 v27, v18, v27
	s_delay_alu instid0(VALU_DEP_4) | instskip(SKIP_4) | instid1(VALU_DEP_4)
	v_lshlrev_b32_e32 v44, 16, v21
	v_and_b32_e32 v21, 0xffff0000, v21
	v_add_f32_e32 v20, v34, v20
	v_dual_add_f32 v34, v42, v43 :: v_dual_lshlrev_b32 v42, 16, v36
	v_and_b32_e32 v36, 0xffff0000, v36
	v_dual_add_f32 v21, v44, v21 :: v_dual_add_f32 v35, v45, v35
	v_add_f32_e32 v16, v17, v16
	s_delay_alu instid0(VALU_DEP_4) | instskip(SKIP_3) | instid1(VALU_DEP_4)
	v_add_f32_e32 v17, v34, v20
	v_pk_mul_bf16 v28, v14, v28
	v_pk_mul_bf16 v33, v15, v33
	v_dual_add_f32 v20, v35, v21 :: v_dual_add_f32 v21, v42, v36
	v_add_f32_e32 v1, v1, v17
	v_pk_mul_bf16 v17, v19, v30
	v_add_f32_e32 v52, v52, v16
	v_pk_mul_bf16 v16, v15, v37
	;; [unrolled: 2-line block ×3, first 2 shown]
	v_lshlrev_b32_e32 v31, 16, v17
	v_and_b32_e32 v17, 0xffff0000, v17
	v_lshlrev_b32_e32 v35, 16, v27
	v_and_b32_e32 v27, 0xffff0000, v27
	;; [unrolled: 2-line block ×3, first 2 shown]
	v_dual_add_f32 v17, v31, v17 :: v_dual_lshlrev_b32 v31, 16, v32
	v_and_b32_e32 v32, 0xffff0000, v32
	s_delay_alu instid0(VALU_DEP_3) | instskip(SKIP_3) | instid1(VALU_DEP_4)
	v_dual_add_f32 v21, v34, v21 :: v_dual_lshlrev_b32 v30, 16, v16
	v_lshlrev_b32_e32 v34, 16, v26
	v_and_b32_e32 v26, 0xffff0000, v26
	v_and_b32_e32 v16, 0xffff0000, v16
	v_dual_add_f32 v27, v35, v27 :: v_dual_add_f32 v17, v21, v17
	s_delay_alu instid0(VALU_DEP_3)
	v_dual_add_f32 v21, v31, v32 :: v_dual_add_f32 v26, v34, v26
	v_dual_lshlrev_b32 v31, 16, v28 :: v_dual_lshlrev_b32 v32, 16, v33
	v_and_b32_e32 v28, 0xffff0000, v28
	v_pk_mul_bf16 v29, v15, v29
	v_and_b32_e32 v33, 0xffff0000, v33
	v_dual_add_f32 v26, v27, v26 :: v_dual_add_f32 v16, v30, v16
	s_delay_alu instid0(VALU_DEP_4) | instskip(NEXT) | instid1(VALU_DEP_4)
	v_dual_add_f32 v27, v31, v28 :: v_dual_add_f32 v17, v21, v17
	v_lshlrev_b32_e32 v28, 16, v29
	v_and_b32_e32 v29, 0xffff0000, v29
	s_delay_alu instid0(VALU_DEP_3) | instskip(SKIP_2) | instid1(VALU_DEP_4)
	v_dual_add_f32 v21, v32, v33 :: v_dual_add_f32 v26, v27, v26
	v_pk_mul_bf16 v22, v19, v22
	v_add_f32_e32 v16, v16, v20
	v_add_f32_e32 v27, v28, v29
	v_pk_mul_bf16 v20, v18, v23
	s_delay_alu instid0(VALU_DEP_4) | instskip(NEXT) | instid1(VALU_DEP_3)
	v_dual_add_f32 v17, v21, v17 :: v_dual_lshlrev_b32 v23, 16, v22
	v_dual_add_f32 v0, v0, v16 :: v_dual_add_f32 v21, v27, v26
	s_delay_alu instid0(VALU_DEP_3)
	v_lshlrev_b32_e32 v26, 16, v20
	v_and_b32_e32 v22, 0xffff0000, v22
	v_and_b32_e32 v20, 0xffff0000, v20
	v_add_f32_e32 v55, v55, v17
	v_add_f32_e32 v54, v54, v21
	v_pk_mul_bf16 v10, v19, v10
	s_delay_alu instid0(VALU_DEP_4)
	v_dual_add_f32 v16, v23, v22 :: v_dual_add_f32 v17, v26, v20
	v_pk_mul_bf16 v11, v18, v11
	v_pk_mul_bf16 v20, v14, v24
	;; [unrolled: 1-line block ×4, first 2 shown]
	v_dual_add_f32 v16, v17, v16 :: v_dual_lshlrev_b32 v17, 16, v10
	v_and_b32_e32 v10, 0xffff0000, v10
	v_dual_lshlrev_b32 v22, 16, v11 :: v_dual_lshlrev_b32 v23, 16, v20
	v_and_b32_e32 v11, 0xffff0000, v11
	v_and_b32_e32 v20, 0xffff0000, v20
	s_delay_alu instid0(VALU_DEP_4) | instskip(SKIP_1) | instid1(VALU_DEP_4)
	v_dual_add_f32 v10, v17, v10 :: v_dual_lshlrev_b32 v17, 16, v12
	v_and_b32_e32 v12, 0xffff0000, v12
	v_dual_add_f32 v11, v22, v11 :: v_dual_lshlrev_b32 v22, 16, v21
	v_and_b32_e32 v21, 0xffff0000, v21
	v_add_f32_e32 v20, v23, v20
	v_pk_mul_bf16 v13, v15, v13
	s_delay_alu instid0(VALU_DEP_4)
	v_dual_add_f32 v10, v11, v10 :: v_dual_add_f32 v11, v17, v12
	v_pk_mul_bf16 v6, v19, v6
	v_pk_mul_bf16 v7, v18, v7
	v_add_f32_e32 v12, v20, v16
	v_pk_mul_bf16 v8, v14, v8
	v_dual_add_f32 v10, v11, v10 :: v_dual_lshlrev_b32 v11, 16, v13
	v_lshlrev_b32_e32 v17, 16, v6
	v_and_b32_e32 v13, 0xffff0000, v13
	v_and_b32_e32 v6, 0xffff0000, v6
	v_lshlrev_b32_e32 v20, 16, v7
	v_and_b32_e32 v7, 0xffff0000, v7
	v_pk_mul_bf16 v2, v19, v2
	v_pk_mul_bf16 v3, v18, v3
	v_dual_add_f32 v11, v11, v13 :: v_dual_add_f32 v6, v17, v6
	s_delay_alu instid0(VALU_DEP_4) | instskip(NEXT) | instid1(VALU_DEP_4)
	v_dual_add_f32 v7, v20, v7 :: v_dual_lshlrev_b32 v13, 16, v8
	v_lshlrev_b32_e32 v17, 16, v2
	v_and_b32_e32 v8, 0xffff0000, v8
	v_and_b32_e32 v2, 0xffff0000, v2
	v_lshlrev_b32_e32 v20, 16, v3
	v_and_b32_e32 v3, 0xffff0000, v3
	v_add_f32_e32 v16, v22, v21
	v_pk_mul_bf16 v9, v15, v9
	v_dual_add_f32 v21, v7, v6 :: v_dual_add_f32 v13, v13, v8
	s_delay_alu instid0(VALU_DEP_4) | instskip(NEXT) | instid1(VALU_DEP_3)
	v_dual_add_f32 v3, v20, v3 :: v_dual_add_f32 v2, v17, v2
	v_lshlrev_b32_e32 v17, 16, v9
	v_pk_mul_bf16 v4, v14, v4
	v_pk_mul_bf16 v22, v15, v5
	s_wait_loadcnt 0x0
	v_pk_mul_bf16 v6, v14, v40
	v_add_f32_e32 v23, v3, v2
	v_pk_mul_bf16 v2, v19, v38
	v_lshlrev_b32_e32 v24, 16, v4
	v_and_b32_e32 v19, 0xffff0000, v4
	v_pk_mul_bf16 v4, v18, v39
	v_pk_mul_bf16 v8, v15, v41
	v_and_b32_e32 v3, 0xffff0000, v2
	v_lshlrev_b32_e32 v5, 16, v2
	v_and_b32_e32 v20, 0xffff0000, v9
	v_and_b32_e32 v2, 0xffff0000, v4
	v_lshlrev_b32_e32 v4, 16, v4
	v_and_b32_e32 v7, 0xffff0000, v6
	v_lshlrev_b32_e32 v9, 16, v6
	v_and_b32_e32 v6, 0xffff0000, v8
	v_lshlrev_b32_e32 v8, 16, v8
	v_pk_add_f32 v[2:3], v[4:5], v[2:3]
	v_dual_add_f32 v14, v24, v19 :: v_dual_lshlrev_b32 v15, 16, v22
	v_and_b32_e32 v18, 0xffff0000, v22
	s_delay_alu instid0(VALU_DEP_4) | instskip(NEXT) | instid1(VALU_DEP_4)
	v_pk_add_f32 v[4:5], v[8:9], v[6:7]
	v_dual_add_f32 v2, v2, v3 :: v_dual_add_f32 v3, v13, v21
	s_delay_alu instid0(VALU_DEP_4) | instskip(NEXT) | instid1(VALU_DEP_4)
	v_dual_add_f32 v6, v17, v20 :: v_dual_add_f32 v7, v14, v23
	v_add_f32_e32 v8, v15, v18
	s_delay_alu instid0(VALU_DEP_3) | instskip(NEXT) | instid1(VALU_DEP_3)
	v_dual_add_f32 v2, v5, v2 :: v_dual_add_f32 v5, v16, v12
	v_dual_add_f32 v9, v11, v10 :: v_dual_add_f32 v3, v6, v3
	s_delay_alu instid0(VALU_DEP_3) | instskip(NEXT) | instid1(VALU_DEP_3)
	v_add_f32_e32 v6, v8, v7
	v_dual_add_f32 v2, v4, v2 :: v_dual_add_f32 v57, v57, v5
	s_delay_alu instid0(VALU_DEP_3) | instskip(NEXT) | instid1(VALU_DEP_3)
	v_dual_add_f32 v56, v56, v9 :: v_dual_add_f32 v59, v59, v3
	v_add_f32_e32 v58, v58, v6
	s_delay_alu instid0(VALU_DEP_3)
	v_add_f32_e32 v53, v53, v2
.LBB146_44:                             ;   in Loop: Header=BB146_45 Depth=1
	s_or_b32 exec_lo, exec_lo, s18
	v_add_nc_u32_e32 v69, 4, v69
	v_add_nc_u64_e32 v[62:63], 16, v[62:63]
	v_add_nc_u32_e32 v50, 0x80, v50
	v_add_nc_u32_e32 v68, 0x200, v68
	s_delay_alu instid0(VALU_DEP_4) | instskip(SKIP_1) | instid1(SALU_CYCLE_1)
	v_cmp_le_i32_e32 vcc_lo, s31, v69
	s_or_b32 s17, vcc_lo, s17
	s_and_not1_b32 exec_lo, exec_lo, s17
	s_cbranch_execz .LBB146_66
.LBB146_45:                             ; =>This Inner Loop Header: Depth=1
	v_mul_u64_e32 v[2:3], s[14:15], v[50:51]
	s_delay_alu instid0(VALU_DEP_1) | instskip(NEXT) | instid1(VALU_DEP_1)
	v_mul_lo_u32 v2, v3, s8
	v_dual_add_nc_u32 v4, 1, v3 :: v_dual_sub_nc_u32 v2, v50, v2
	s_delay_alu instid0(VALU_DEP_1) | instskip(SKIP_1) | instid1(VALU_DEP_2)
	v_subrev_nc_u32_e32 v5, s8, v2
	v_cmp_le_u32_e32 vcc_lo, s8, v2
	v_dual_cndmask_b32 v3, v3, v4 :: v_dual_cndmask_b32 v2, v2, v5
	s_delay_alu instid0(VALU_DEP_1) | instskip(NEXT) | instid1(VALU_DEP_2)
	v_add_nc_u32_e32 v4, 1, v3
	v_cmp_le_u32_e32 vcc_lo, s8, v2
	s_delay_alu instid0(VALU_DEP_2) | instskip(NEXT) | instid1(VALU_DEP_1)
	v_cndmask_b32_e32 v2, v3, v4, vcc_lo
	v_dual_mov_b32 v3, v51 :: v_dual_bitop2_b32 v2, s30, v2 bitop3:0x14
	s_delay_alu instid0(VALU_DEP_1) | instskip(NEXT) | instid1(VALU_DEP_1)
	v_subrev_nc_u32_e32 v6, s30, v2
	v_add_nc_u32_e32 v7, s13, v6
	v_cmp_lt_i32_e64 s0, s24, v6
	s_delay_alu instid0(VALU_DEP_2) | instskip(NEXT) | instid1(VALU_DEP_1)
	v_sub_nc_u32_e32 v2, 0, v7
	v_max_i32_e32 v2, v7, v2
	s_delay_alu instid0(VALU_DEP_1) | instskip(SKIP_1) | instid1(VALU_DEP_2)
	v_mul_u64_e32 v[4:5], s[4:5], v[2:3]
	v_ashrrev_i32_e32 v4, 31, v7
	v_mul_lo_u32 v3, v5, s6
	s_delay_alu instid0(VALU_DEP_1) | instskip(NEXT) | instid1(VALU_DEP_1)
	v_sub_nc_u32_e32 v2, v2, v3
	v_subrev_nc_u32_e32 v3, s6, v2
	v_cmp_le_u32_e32 vcc_lo, s6, v2
	s_delay_alu instid0(VALU_DEP_2) | instskip(NEXT) | instid1(VALU_DEP_1)
	v_cndmask_b32_e32 v2, v2, v3, vcc_lo
	v_subrev_nc_u32_e32 v3, s6, v2
	v_cmp_le_u32_e32 vcc_lo, s6, v2
	s_delay_alu instid0(VALU_DEP_2) | instskip(NEXT) | instid1(VALU_DEP_1)
	v_cndmask_b32_e32 v2, v2, v3, vcc_lo
	v_xor_b32_e32 v2, v2, v4
	s_delay_alu instid0(VALU_DEP_1) | instskip(NEXT) | instid1(VALU_DEP_1)
	v_sub_nc_u32_e32 v2, v2, v4
	v_cmp_eq_u32_e32 vcc_lo, 0, v2
	s_or_b32 s0, vcc_lo, s0
	s_delay_alu instid0(SALU_CYCLE_1)
	s_and_saveexec_b32 s18, s0
	s_cbranch_execz .LBB146_44
; %bb.46:                               ;   in Loop: Header=BB146_45 Depth=1
	global_load_b32 v2, v[62:63], off
	v_add_nc_u32_e32 v77, v67, v50
	v_cmp_eq_u32_e32 vcc_lo, s9, v69
	s_delay_alu instid0(VALU_DEP_2)
	v_or_b32_e32 v74, 3, v77
	v_or_b32_e32 v76, 2, v77
	v_or_b32_e32 v71, 5, v77
	v_or_b32_e32 v73, 4, v77
	v_or_b32_e32 v70, 7, v77
	v_dual_add_nc_u32 v75, 1, v77 :: v_dual_bitop2_b32 v72, 6, v77 bitop3:0x54
	s_wait_loadcnt 0x0
	v_ashrrev_i32_e32 v3, 31, v2
	s_delay_alu instid0(VALU_DEP_1) | instskip(NEXT) | instid1(VALU_DEP_1)
	v_mul_u64_e32 v[2:3], s[2:3], v[2:3]
	v_lshl_add_u64 v[38:39], v[2:3], 1, v[60:61]
	global_load_b128 v[2:5], v[38:39], off
	ds_load_2addr_b64 v[18:21], v68 offset1:1
	ds_load_2addr_b64 v[14:17], v68 offset0:2 offset1:3
	s_wait_xcnt 0x0
	s_and_saveexec_b32 s19, vcc_lo
	s_cbranch_execnz .LBB146_56
; %bb.47:                               ;   in Loop: Header=BB146_45 Depth=1
	s_or_b32 exec_lo, exec_lo, s19
	global_load_b128 v[6:9], v[38:39], off offset:512
	s_wait_xcnt 0x0
	s_and_saveexec_b32 s19, vcc_lo
	s_cbranch_execnz .LBB146_57
.LBB146_48:                             ;   in Loop: Header=BB146_45 Depth=1
	s_or_b32 exec_lo, exec_lo, s19
	global_load_b128 v[10:13], v[38:39], off offset:1024
	s_wait_xcnt 0x0
	s_and_saveexec_b32 s19, vcc_lo
	s_cbranch_execnz .LBB146_58
.LBB146_49:                             ;   in Loop: Header=BB146_45 Depth=1
	s_or_b32 exec_lo, exec_lo, s19
	global_load_b128 v[22:25], v[38:39], off offset:1536
	s_wait_xcnt 0x0
	s_and_saveexec_b32 s19, vcc_lo
	s_cbranch_execnz .LBB146_59
.LBB146_50:                             ;   in Loop: Header=BB146_45 Depth=1
	s_or_b32 exec_lo, exec_lo, s19
	global_load_b128 v[26:29], v[38:39], off offset:2048
	s_wait_xcnt 0x0
	s_and_saveexec_b32 s19, vcc_lo
	s_cbranch_execnz .LBB146_60
.LBB146_51:                             ;   in Loop: Header=BB146_45 Depth=1
	s_or_b32 exec_lo, exec_lo, s19
	global_load_b128 v[30:33], v[38:39], off offset:2560
	s_wait_xcnt 0x0
	s_and_saveexec_b32 s19, vcc_lo
	s_cbranch_execnz .LBB146_61
.LBB146_52:                             ;   in Loop: Header=BB146_45 Depth=1
	s_or_b32 exec_lo, exec_lo, s19
	global_load_b128 v[34:37], v[38:39], off offset:3072
	s_wait_xcnt 0x0
	s_and_saveexec_b32 s19, vcc_lo
	s_cbranch_execnz .LBB146_62
.LBB146_53:                             ;   in Loop: Header=BB146_45 Depth=1
	s_or_b32 exec_lo, exec_lo, s19
	global_load_b128 v[42:45], v[38:39], off offset:3584
	s_wait_xcnt 0x0
	s_and_saveexec_b32 s19, vcc_lo
	s_cbranch_execnz .LBB146_63
.LBB146_54:                             ;   in Loop: Header=BB146_45 Depth=1
	s_or_b32 exec_lo, exec_lo, s19
	global_load_b128 v[46:49], v[38:39], off offset:4096
	s_wait_xcnt 0x0
	s_and_saveexec_b32 s19, vcc_lo
	s_cbranch_execnz .LBB146_64
.LBB146_55:                             ;   in Loop: Header=BB146_45 Depth=1
	s_or_b32 exec_lo, exec_lo, s19
	global_load_b128 v[38:41], v[38:39], off offset:4608
	s_wait_xcnt 0x0
	s_and_saveexec_b32 s0, vcc_lo
	s_cbranch_execz .LBB146_43
	s_branch .LBB146_65
.LBB146_56:                             ;   in Loop: Header=BB146_45 Depth=1
	v_cmp_gt_i32_e64 s0, s29, v77
	s_wait_loadcnt 0x0
	v_dual_lshrrev_b32 v6, 16, v2 :: v_dual_lshrrev_b32 v8, 16, v4
	s_delay_alu instid0(VALU_DEP_2) | instskip(SKIP_1) | instid1(VALU_DEP_1)
	v_cndmask_b32_e64 v2, 0, v2, s0
	v_cmp_gt_i32_e64 s0, s16, v75
	v_dual_lshrrev_b32 v7, 16, v3 :: v_dual_cndmask_b32 v6, 0, v6, s0
	v_cmp_gt_i32_e64 s0, s29, v76
	s_delay_alu instid0(VALU_DEP_2) | instskip(NEXT) | instid1(VALU_DEP_2)
	v_perm_b32 v2, v6, v2, 0x5040100
	v_cndmask_b32_e64 v3, 0, v3, s0
	v_cmp_gt_i32_e64 s0, s16, v74
	s_delay_alu instid0(VALU_DEP_1) | instskip(SKIP_1) | instid1(VALU_DEP_1)
	v_cndmask_b32_e64 v7, 0, v7, s0
	v_cmp_gt_i32_e64 s0, s29, v73
	v_cndmask_b32_e64 v4, 0, v4, s0
	v_cmp_gt_i32_e64 s0, s16, v71
	v_lshrrev_b32_e32 v9, 16, v5
	v_perm_b32 v3, v7, v3, 0x5040100
	s_delay_alu instid0(VALU_DEP_3) | instskip(SKIP_1) | instid1(VALU_DEP_2)
	v_cndmask_b32_e64 v8, 0, v8, s0
	v_cmp_gt_i32_e64 s0, s29, v72
	v_perm_b32 v4, v8, v4, 0x5040100
	s_delay_alu instid0(VALU_DEP_2) | instskip(SKIP_1) | instid1(VALU_DEP_1)
	v_cndmask_b32_e64 v5, 0, v5, s0
	v_cmp_gt_i32_e64 s0, s16, v70
	v_cndmask_b32_e64 v9, 0, v9, s0
	s_delay_alu instid0(VALU_DEP_1)
	v_perm_b32 v5, v9, v5, 0x5040100
	s_or_b32 exec_lo, exec_lo, s19
	global_load_b128 v[6:9], v[38:39], off offset:512
	s_wait_xcnt 0x0
	s_and_saveexec_b32 s19, vcc_lo
	s_cbranch_execz .LBB146_48
.LBB146_57:                             ;   in Loop: Header=BB146_45 Depth=1
	v_cmp_gt_i32_e64 s0, s29, v77
	s_wait_loadcnt 0x0
	v_dual_lshrrev_b32 v10, 16, v6 :: v_dual_lshrrev_b32 v12, 16, v8
	s_delay_alu instid0(VALU_DEP_2) | instskip(SKIP_1) | instid1(VALU_DEP_1)
	v_cndmask_b32_e64 v6, 0, v6, s0
	v_cmp_gt_i32_e64 s0, s16, v75
	v_dual_lshrrev_b32 v11, 16, v7 :: v_dual_cndmask_b32 v10, 0, v10, s0
	v_cmp_gt_i32_e64 s0, s29, v76
	s_delay_alu instid0(VALU_DEP_2) | instskip(NEXT) | instid1(VALU_DEP_2)
	v_perm_b32 v6, v10, v6, 0x5040100
	v_cndmask_b32_e64 v7, 0, v7, s0
	v_cmp_gt_i32_e64 s0, s16, v74
	s_delay_alu instid0(VALU_DEP_1) | instskip(SKIP_1) | instid1(VALU_DEP_1)
	v_cndmask_b32_e64 v11, 0, v11, s0
	v_cmp_gt_i32_e64 s0, s29, v73
	v_cndmask_b32_e64 v8, 0, v8, s0
	v_cmp_gt_i32_e64 s0, s16, v71
	v_lshrrev_b32_e32 v13, 16, v9
	v_perm_b32 v7, v11, v7, 0x5040100
	s_delay_alu instid0(VALU_DEP_3) | instskip(SKIP_1) | instid1(VALU_DEP_2)
	v_cndmask_b32_e64 v12, 0, v12, s0
	v_cmp_gt_i32_e64 s0, s29, v72
	v_perm_b32 v8, v12, v8, 0x5040100
	s_delay_alu instid0(VALU_DEP_2) | instskip(SKIP_1) | instid1(VALU_DEP_1)
	v_cndmask_b32_e64 v9, 0, v9, s0
	v_cmp_gt_i32_e64 s0, s16, v70
	v_cndmask_b32_e64 v13, 0, v13, s0
	s_delay_alu instid0(VALU_DEP_1)
	v_perm_b32 v9, v13, v9, 0x5040100
	s_or_b32 exec_lo, exec_lo, s19
	global_load_b128 v[10:13], v[38:39], off offset:1024
	s_wait_xcnt 0x0
	s_and_saveexec_b32 s19, vcc_lo
	s_cbranch_execz .LBB146_49
.LBB146_58:                             ;   in Loop: Header=BB146_45 Depth=1
	v_cmp_gt_i32_e64 s0, s29, v77
	s_wait_loadcnt 0x0
	v_dual_lshrrev_b32 v22, 16, v10 :: v_dual_lshrrev_b32 v24, 16, v12
	s_delay_alu instid0(VALU_DEP_2) | instskip(SKIP_1) | instid1(VALU_DEP_1)
	v_cndmask_b32_e64 v10, 0, v10, s0
	v_cmp_gt_i32_e64 s0, s16, v75
	v_dual_lshrrev_b32 v23, 16, v11 :: v_dual_cndmask_b32 v22, 0, v22, s0
	v_cmp_gt_i32_e64 s0, s29, v76
	s_delay_alu instid0(VALU_DEP_2) | instskip(NEXT) | instid1(VALU_DEP_2)
	v_perm_b32 v10, v22, v10, 0x5040100
	v_cndmask_b32_e64 v11, 0, v11, s0
	v_cmp_gt_i32_e64 s0, s16, v74
	s_delay_alu instid0(VALU_DEP_1) | instskip(SKIP_1) | instid1(VALU_DEP_1)
	v_cndmask_b32_e64 v23, 0, v23, s0
	v_cmp_gt_i32_e64 s0, s29, v73
	v_cndmask_b32_e64 v12, 0, v12, s0
	v_cmp_gt_i32_e64 s0, s16, v71
	v_lshrrev_b32_e32 v25, 16, v13
	v_perm_b32 v11, v23, v11, 0x5040100
	s_delay_alu instid0(VALU_DEP_3) | instskip(SKIP_1) | instid1(VALU_DEP_2)
	v_cndmask_b32_e64 v24, 0, v24, s0
	v_cmp_gt_i32_e64 s0, s29, v72
	v_perm_b32 v12, v24, v12, 0x5040100
	s_delay_alu instid0(VALU_DEP_2) | instskip(SKIP_1) | instid1(VALU_DEP_1)
	v_cndmask_b32_e64 v13, 0, v13, s0
	v_cmp_gt_i32_e64 s0, s16, v70
	v_cndmask_b32_e64 v25, 0, v25, s0
	s_delay_alu instid0(VALU_DEP_1)
	v_perm_b32 v13, v25, v13, 0x5040100
	s_or_b32 exec_lo, exec_lo, s19
	global_load_b128 v[22:25], v[38:39], off offset:1536
	s_wait_xcnt 0x0
	s_and_saveexec_b32 s19, vcc_lo
	s_cbranch_execz .LBB146_50
.LBB146_59:                             ;   in Loop: Header=BB146_45 Depth=1
	v_cmp_gt_i32_e64 s0, s29, v77
	s_wait_loadcnt 0x0
	v_dual_lshrrev_b32 v26, 16, v22 :: v_dual_lshrrev_b32 v28, 16, v24
	s_delay_alu instid0(VALU_DEP_2) | instskip(SKIP_1) | instid1(VALU_DEP_1)
	v_cndmask_b32_e64 v22, 0, v22, s0
	v_cmp_gt_i32_e64 s0, s16, v75
	v_dual_lshrrev_b32 v27, 16, v23 :: v_dual_cndmask_b32 v26, 0, v26, s0
	v_cmp_gt_i32_e64 s0, s29, v76
	s_delay_alu instid0(VALU_DEP_2) | instskip(NEXT) | instid1(VALU_DEP_2)
	v_perm_b32 v22, v26, v22, 0x5040100
	v_cndmask_b32_e64 v23, 0, v23, s0
	v_cmp_gt_i32_e64 s0, s16, v74
	s_delay_alu instid0(VALU_DEP_1) | instskip(SKIP_1) | instid1(VALU_DEP_1)
	v_cndmask_b32_e64 v27, 0, v27, s0
	v_cmp_gt_i32_e64 s0, s29, v73
	v_cndmask_b32_e64 v24, 0, v24, s0
	v_cmp_gt_i32_e64 s0, s16, v71
	v_lshrrev_b32_e32 v29, 16, v25
	v_perm_b32 v23, v27, v23, 0x5040100
	s_delay_alu instid0(VALU_DEP_3) | instskip(SKIP_1) | instid1(VALU_DEP_2)
	v_cndmask_b32_e64 v28, 0, v28, s0
	v_cmp_gt_i32_e64 s0, s29, v72
	v_perm_b32 v24, v28, v24, 0x5040100
	s_delay_alu instid0(VALU_DEP_2) | instskip(SKIP_1) | instid1(VALU_DEP_1)
	v_cndmask_b32_e64 v25, 0, v25, s0
	v_cmp_gt_i32_e64 s0, s16, v70
	v_cndmask_b32_e64 v29, 0, v29, s0
	s_delay_alu instid0(VALU_DEP_1)
	v_perm_b32 v25, v29, v25, 0x5040100
	s_or_b32 exec_lo, exec_lo, s19
	global_load_b128 v[26:29], v[38:39], off offset:2048
	s_wait_xcnt 0x0
	s_and_saveexec_b32 s19, vcc_lo
	s_cbranch_execz .LBB146_51
.LBB146_60:                             ;   in Loop: Header=BB146_45 Depth=1
	v_cmp_gt_i32_e64 s0, s29, v77
	s_wait_loadcnt 0x0
	v_dual_lshrrev_b32 v30, 16, v26 :: v_dual_lshrrev_b32 v32, 16, v28
	s_delay_alu instid0(VALU_DEP_2) | instskip(SKIP_1) | instid1(VALU_DEP_1)
	v_cndmask_b32_e64 v26, 0, v26, s0
	v_cmp_gt_i32_e64 s0, s16, v75
	v_dual_lshrrev_b32 v31, 16, v27 :: v_dual_cndmask_b32 v30, 0, v30, s0
	v_cmp_gt_i32_e64 s0, s29, v76
	s_delay_alu instid0(VALU_DEP_2) | instskip(NEXT) | instid1(VALU_DEP_2)
	v_perm_b32 v26, v30, v26, 0x5040100
	v_cndmask_b32_e64 v27, 0, v27, s0
	v_cmp_gt_i32_e64 s0, s16, v74
	s_delay_alu instid0(VALU_DEP_1) | instskip(SKIP_1) | instid1(VALU_DEP_1)
	v_cndmask_b32_e64 v31, 0, v31, s0
	v_cmp_gt_i32_e64 s0, s29, v73
	v_cndmask_b32_e64 v28, 0, v28, s0
	v_cmp_gt_i32_e64 s0, s16, v71
	v_lshrrev_b32_e32 v33, 16, v29
	v_perm_b32 v27, v31, v27, 0x5040100
	s_delay_alu instid0(VALU_DEP_3) | instskip(SKIP_1) | instid1(VALU_DEP_2)
	v_cndmask_b32_e64 v32, 0, v32, s0
	v_cmp_gt_i32_e64 s0, s29, v72
	v_perm_b32 v28, v32, v28, 0x5040100
	s_delay_alu instid0(VALU_DEP_2) | instskip(SKIP_1) | instid1(VALU_DEP_1)
	v_cndmask_b32_e64 v29, 0, v29, s0
	v_cmp_gt_i32_e64 s0, s16, v70
	v_cndmask_b32_e64 v33, 0, v33, s0
	s_delay_alu instid0(VALU_DEP_1)
	v_perm_b32 v29, v33, v29, 0x5040100
	s_or_b32 exec_lo, exec_lo, s19
	global_load_b128 v[30:33], v[38:39], off offset:2560
	s_wait_xcnt 0x0
	s_and_saveexec_b32 s19, vcc_lo
	s_cbranch_execz .LBB146_52
.LBB146_61:                             ;   in Loop: Header=BB146_45 Depth=1
	v_cmp_gt_i32_e64 s0, s29, v77
	s_wait_loadcnt 0x0
	v_dual_lshrrev_b32 v34, 16, v30 :: v_dual_lshrrev_b32 v36, 16, v32
	s_delay_alu instid0(VALU_DEP_2) | instskip(SKIP_1) | instid1(VALU_DEP_1)
	v_cndmask_b32_e64 v30, 0, v30, s0
	v_cmp_gt_i32_e64 s0, s16, v75
	v_dual_lshrrev_b32 v35, 16, v31 :: v_dual_cndmask_b32 v34, 0, v34, s0
	v_cmp_gt_i32_e64 s0, s29, v76
	s_delay_alu instid0(VALU_DEP_2) | instskip(NEXT) | instid1(VALU_DEP_2)
	v_perm_b32 v30, v34, v30, 0x5040100
	v_cndmask_b32_e64 v31, 0, v31, s0
	v_cmp_gt_i32_e64 s0, s16, v74
	s_delay_alu instid0(VALU_DEP_1) | instskip(SKIP_1) | instid1(VALU_DEP_1)
	v_cndmask_b32_e64 v35, 0, v35, s0
	v_cmp_gt_i32_e64 s0, s29, v73
	v_cndmask_b32_e64 v32, 0, v32, s0
	v_cmp_gt_i32_e64 s0, s16, v71
	v_lshrrev_b32_e32 v37, 16, v33
	v_perm_b32 v31, v35, v31, 0x5040100
	s_delay_alu instid0(VALU_DEP_3) | instskip(SKIP_1) | instid1(VALU_DEP_2)
	v_cndmask_b32_e64 v36, 0, v36, s0
	v_cmp_gt_i32_e64 s0, s29, v72
	v_perm_b32 v32, v36, v32, 0x5040100
	s_delay_alu instid0(VALU_DEP_2) | instskip(SKIP_1) | instid1(VALU_DEP_1)
	v_cndmask_b32_e64 v33, 0, v33, s0
	v_cmp_gt_i32_e64 s0, s16, v70
	v_cndmask_b32_e64 v37, 0, v37, s0
	s_delay_alu instid0(VALU_DEP_1)
	v_perm_b32 v33, v37, v33, 0x5040100
	s_or_b32 exec_lo, exec_lo, s19
	global_load_b128 v[34:37], v[38:39], off offset:3072
	s_wait_xcnt 0x0
	s_and_saveexec_b32 s19, vcc_lo
	s_cbranch_execz .LBB146_53
.LBB146_62:                             ;   in Loop: Header=BB146_45 Depth=1
	v_cmp_gt_i32_e64 s0, s29, v77
	s_wait_loadcnt 0x0
	s_delay_alu instid0(VALU_DEP_1) | instskip(SKIP_1) | instid1(VALU_DEP_1)
	v_dual_lshrrev_b32 v40, 16, v34 :: v_dual_cndmask_b32 v34, 0, v34, s0
	v_cmp_gt_i32_e64 s0, s16, v75
	v_dual_lshrrev_b32 v41, 16, v35 :: v_dual_cndmask_b32 v40, 0, v40, s0
	v_cmp_gt_i32_e64 s0, s29, v76
	s_delay_alu instid0(VALU_DEP_2) | instskip(NEXT) | instid1(VALU_DEP_2)
	v_perm_b32 v34, v40, v34, 0x5040100
	v_cndmask_b32_e64 v35, 0, v35, s0
	v_cmp_gt_i32_e64 s0, s16, v74
	s_delay_alu instid0(VALU_DEP_1) | instskip(SKIP_2) | instid1(VALU_DEP_3)
	v_cndmask_b32_e64 v41, 0, v41, s0
	v_cmp_gt_i32_e64 s0, s29, v73
	v_lshrrev_b32_e32 v42, 16, v36
	v_perm_b32 v35, v41, v35, 0x5040100
	s_delay_alu instid0(VALU_DEP_3) | instskip(SKIP_1) | instid1(VALU_DEP_1)
	v_cndmask_b32_e64 v36, 0, v36, s0
	v_cmp_gt_i32_e64 s0, s16, v71
	v_dual_lshrrev_b32 v43, 16, v37 :: v_dual_cndmask_b32 v42, 0, v42, s0
	v_cmp_gt_i32_e64 s0, s29, v72
	s_delay_alu instid0(VALU_DEP_2) | instskip(NEXT) | instid1(VALU_DEP_2)
	v_perm_b32 v36, v42, v36, 0x5040100
	v_cndmask_b32_e64 v37, 0, v37, s0
	v_cmp_gt_i32_e64 s0, s16, v70
	s_delay_alu instid0(VALU_DEP_1) | instskip(NEXT) | instid1(VALU_DEP_1)
	v_cndmask_b32_e64 v43, 0, v43, s0
	v_perm_b32 v37, v43, v37, 0x5040100
	s_or_b32 exec_lo, exec_lo, s19
	global_load_b128 v[42:45], v[38:39], off offset:3584
	s_wait_xcnt 0x0
	s_and_saveexec_b32 s19, vcc_lo
	s_cbranch_execz .LBB146_54
.LBB146_63:                             ;   in Loop: Header=BB146_45 Depth=1
	v_cmp_gt_i32_e64 s0, s29, v77
	s_wait_loadcnt 0x0
	s_delay_alu instid0(VALU_DEP_1) | instskip(SKIP_1) | instid1(VALU_DEP_1)
	v_dual_lshrrev_b32 v40, 16, v42 :: v_dual_cndmask_b32 v41, 0, v42, s0
	v_cmp_gt_i32_e64 s0, s16, v75
	v_dual_lshrrev_b32 v42, 16, v43 :: v_dual_cndmask_b32 v40, 0, v40, s0
	v_cmp_gt_i32_e64 s0, s29, v76
	s_delay_alu instid0(VALU_DEP_1) | instskip(SKIP_1) | instid1(VALU_DEP_1)
	v_cndmask_b32_e64 v43, 0, v43, s0
	v_cmp_gt_i32_e64 s0, s16, v74
	v_cndmask_b32_e64 v46, 0, v42, s0
	v_cmp_gt_i32_e64 s0, s29, v73
	v_lshrrev_b32_e32 v42, 16, v44
	s_delay_alu instid0(VALU_DEP_3) | instskip(NEXT) | instid1(VALU_DEP_3)
	v_perm_b32 v43, v46, v43, 0x5040100
	v_cndmask_b32_e64 v44, 0, v44, s0
	v_cmp_gt_i32_e64 s0, s16, v71
	s_delay_alu instid0(VALU_DEP_1) | instskip(SKIP_2) | instid1(VALU_DEP_3)
	v_dual_lshrrev_b32 v47, 16, v45 :: v_dual_cndmask_b32 v48, 0, v42, s0
	v_cmp_gt_i32_e64 s0, s29, v72
	v_perm_b32 v42, v40, v41, 0x5040100
	v_perm_b32 v44, v48, v44, 0x5040100
	s_delay_alu instid0(VALU_DEP_3) | instskip(SKIP_1) | instid1(VALU_DEP_1)
	v_cndmask_b32_e64 v45, 0, v45, s0
	v_cmp_gt_i32_e64 s0, s16, v70
	v_cndmask_b32_e64 v47, 0, v47, s0
	s_delay_alu instid0(VALU_DEP_1)
	v_perm_b32 v45, v47, v45, 0x5040100
	s_or_b32 exec_lo, exec_lo, s19
	global_load_b128 v[46:49], v[38:39], off offset:4096
	s_wait_xcnt 0x0
	s_and_saveexec_b32 s19, vcc_lo
	s_cbranch_execz .LBB146_55
.LBB146_64:                             ;   in Loop: Header=BB146_45 Depth=1
	v_cmp_gt_i32_e64 s0, s29, v77
	s_wait_loadcnt 0x0
	s_delay_alu instid0(VALU_DEP_1) | instskip(SKIP_1) | instid1(VALU_DEP_1)
	v_dual_lshrrev_b32 v40, 16, v46 :: v_dual_cndmask_b32 v41, 0, v46, s0
	v_cmp_gt_i32_e64 s0, s16, v75
	v_dual_lshrrev_b32 v46, 16, v47 :: v_dual_cndmask_b32 v40, 0, v40, s0
	v_cmp_gt_i32_e64 s0, s29, v76
	s_delay_alu instid0(VALU_DEP_1) | instskip(SKIP_1) | instid1(VALU_DEP_1)
	v_cndmask_b32_e64 v47, 0, v47, s0
	v_cmp_gt_i32_e64 s0, s16, v74
	v_cndmask_b32_e64 v78, 0, v46, s0
	v_cmp_gt_i32_e64 s0, s29, v73
	v_lshrrev_b32_e32 v46, 16, v48
	s_delay_alu instid0(VALU_DEP_3) | instskip(NEXT) | instid1(VALU_DEP_3)
	v_perm_b32 v47, v78, v47, 0x5040100
	v_cndmask_b32_e64 v48, 0, v48, s0
	v_cmp_gt_i32_e64 s0, s16, v71
	s_delay_alu instid0(VALU_DEP_1) | instskip(SKIP_2) | instid1(VALU_DEP_3)
	v_dual_lshrrev_b32 v79, 16, v49 :: v_dual_cndmask_b32 v80, 0, v46, s0
	v_cmp_gt_i32_e64 s0, s29, v72
	v_perm_b32 v46, v40, v41, 0x5040100
	v_perm_b32 v48, v80, v48, 0x5040100
	s_delay_alu instid0(VALU_DEP_3) | instskip(SKIP_1) | instid1(VALU_DEP_1)
	v_cndmask_b32_e64 v49, 0, v49, s0
	v_cmp_gt_i32_e64 s0, s16, v70
	v_cndmask_b32_e64 v79, 0, v79, s0
	s_delay_alu instid0(VALU_DEP_1)
	v_perm_b32 v49, v79, v49, 0x5040100
	s_or_b32 exec_lo, exec_lo, s19
	global_load_b128 v[38:41], v[38:39], off offset:4608
	s_wait_xcnt 0x0
	s_and_saveexec_b32 s0, vcc_lo
	s_cbranch_execz .LBB146_43
.LBB146_65:                             ;   in Loop: Header=BB146_45 Depth=1
	v_cmp_gt_i32_e32 vcc_lo, s29, v77
	s_wait_loadcnt 0x0
	v_dual_lshrrev_b32 v78, 16, v38 :: v_dual_cndmask_b32 v38, 0, v38, vcc_lo
	v_cmp_gt_i32_e32 vcc_lo, s16, v75
	s_delay_alu instid0(VALU_DEP_2) | instskip(SKIP_1) | instid1(VALU_DEP_2)
	v_dual_lshrrev_b32 v77, 16, v39 :: v_dual_cndmask_b32 v75, 0, v78, vcc_lo
	v_cmp_gt_i32_e32 vcc_lo, s29, v76
	v_perm_b32 v38, v75, v38, 0x5040100
	v_cndmask_b32_e32 v39, 0, v39, vcc_lo
	v_cmp_gt_i32_e32 vcc_lo, s16, v74
	v_cndmask_b32_e32 v74, 0, v77, vcc_lo
	v_cmp_gt_i32_e32 vcc_lo, s29, v73
	v_lshrrev_b32_e32 v76, 16, v40
	s_delay_alu instid0(VALU_DEP_3) | instskip(SKIP_2) | instid1(VALU_DEP_4)
	v_perm_b32 v39, v74, v39, 0x5040100
	v_cndmask_b32_e32 v40, 0, v40, vcc_lo
	v_cmp_gt_i32_e32 vcc_lo, s16, v71
	v_dual_lshrrev_b32 v73, 16, v41 :: v_dual_cndmask_b32 v71, 0, v76, vcc_lo
	v_cmp_gt_i32_e32 vcc_lo, s29, v72
	s_delay_alu instid0(VALU_DEP_2) | instskip(SKIP_3) | instid1(VALU_DEP_1)
	v_perm_b32 v40, v71, v40, 0x5040100
	v_cndmask_b32_e32 v41, 0, v41, vcc_lo
	v_cmp_gt_i32_e32 vcc_lo, s16, v70
	v_cndmask_b32_e32 v70, 0, v73, vcc_lo
	v_perm_b32 v41, v70, v41, 0x5040100
	s_branch .LBB146_43
.LBB146_66:
	s_or_b32 exec_lo, exec_lo, s17
.LBB146_67:
	s_delay_alu instid0(SALU_CYCLE_1)
	s_or_b32 exec_lo, exec_lo, s1
	scratch_load_b32 v12, off, off          ; 4-byte Folded Reload
	ds_bpermute_b32 v2, v65, v58
	ds_bpermute_b32 v3, v65, v59
	;; [unrolled: 1-line block ×10, first 2 shown]
	v_and_b32_e32 v13, 0x3c3, v81
	s_mov_b32 s0, exec_lo
	s_wait_loadcnt_dscnt 0x0
	s_barrier_signal -1
	s_barrier_wait -1
	v_pk_add_f32 v[2:3], v[58:59], v[2:3]
	v_pk_add_f32 v[4:5], v[56:57], v[4:5]
	;; [unrolled: 1-line block ×3, first 2 shown]
	ds_bpermute_b32 v6, v64, v2
	v_pk_add_f32 v[0:1], v[0:1], v[8:9]
	ds_bpermute_b32 v7, v64, v3
	v_pk_add_f32 v[8:9], v[52:53], v[10:11]
	ds_bpermute_b32 v16, v64, v4
	ds_bpermute_b32 v17, v64, v5
	;; [unrolled: 1-line block ×8, first 2 shown]
	s_wait_dscnt 0x8
	v_pk_add_f32 v[6:7], v[2:3], v[6:7]
	s_wait_dscnt 0x6
	v_pk_add_f32 v[4:5], v[4:5], v[16:17]
	;; [unrolled: 2-line block ×4, first 2 shown]
	v_and_b32_e32 v12, 28, v12
	v_cmpx_ne_u32_e32 64, v13
	s_xor_b32 s0, exec_lo, s0
	s_delay_alu instid0(SALU_CYCLE_1)
	s_or_saveexec_b32 s0, s0
	s_wait_dscnt 0x0
	v_pk_add_f32 v[8:9], v[8:9], v[10:11]
	scratch_load_b32 v10, off, off th:TH_LOAD_LU ; 4-byte Folded Reload
	v_add_nc_u32_e32 v11, 0xc0, v12
	v_mul_u32_u24_e32 v12, 0x140, v82
	s_wait_loadcnt 0x0
	v_lshrrev_b32_e32 v10, 2, v10
	s_xor_b32 exec_lo, exec_lo, s0
	s_cbranch_execz .LBB146_69
; %bb.68:
	v_add_nc_u32_e32 v13, v11, v12
	s_delay_alu instid0(VALU_DEP_1)
	v_add_nc_u32_e32 v14, 0xfffffd80, v13
	v_add_nc_u32_e32 v15, 0xfffffda0, v13
	;; [unrolled: 1-line block ×10, first 2 shown]
	ds_store_b32 v14, v6
	ds_store_b32 v15, v7
	;; [unrolled: 1-line block ×10, first 2 shown]
.LBB146_69:
	s_or_b32 exec_lo, exec_lo, s0
	s_delay_alu instid0(VALU_DEP_1)
	v_lshlrev_b32_e32 v10, 2, v10
	s_mov_b32 s1, exec_lo
	v_cmp_eq_u32_e32 vcc_lo, 0, v66
	s_wait_dscnt 0x0
	s_barrier_signal -1
	v_add3_u32 v10, 0xc0, v12, v10
	s_barrier_wait -1
	v_cmpx_gt_u32_e32 64, v81
	s_cbranch_execz .LBB146_82
; %bb.70:
	s_and_saveexec_b32 s0, vcc_lo
	s_cbranch_execnz .LBB146_100
; %bb.71:
	s_or_b32 exec_lo, exec_lo, s0
	s_and_saveexec_b32 s0, vcc_lo
	s_cbranch_execnz .LBB146_101
.LBB146_72:
	s_or_b32 exec_lo, exec_lo, s0
	s_and_saveexec_b32 s0, vcc_lo
	s_cbranch_execnz .LBB146_102
.LBB146_73:
	s_or_b32 exec_lo, exec_lo, s0
	s_and_saveexec_b32 s0, vcc_lo
	s_cbranch_execnz .LBB146_103
.LBB146_74:
	s_or_b32 exec_lo, exec_lo, s0
	s_and_saveexec_b32 s0, vcc_lo
	s_cbranch_execnz .LBB146_104
.LBB146_75:
	s_or_b32 exec_lo, exec_lo, s0
	s_and_saveexec_b32 s0, vcc_lo
	s_cbranch_execnz .LBB146_105
.LBB146_76:
	s_or_b32 exec_lo, exec_lo, s0
	s_and_saveexec_b32 s0, vcc_lo
	s_cbranch_execnz .LBB146_106
.LBB146_77:
	s_or_b32 exec_lo, exec_lo, s0
	s_and_saveexec_b32 s0, vcc_lo
	s_cbranch_execnz .LBB146_107
.LBB146_78:
	s_or_b32 exec_lo, exec_lo, s0
	s_and_saveexec_b32 s0, vcc_lo
	s_cbranch_execnz .LBB146_108
.LBB146_79:
	s_or_b32 exec_lo, exec_lo, s0
	s_and_saveexec_b32 s0, vcc_lo
	s_cbranch_execz .LBB146_81
.LBB146_80:
	ds_load_b32 v12, v10 offset:288
	s_wait_dscnt 0x0
	v_add_f32_e32 v9, v9, v12
.LBB146_81:
	s_or_b32 exec_lo, exec_lo, s0
.LBB146_82:
	s_delay_alu instid0(SALU_CYCLE_1) | instskip(SKIP_4) | instid1(VALU_DEP_1)
	s_or_b32 exec_lo, exec_lo, s1
	v_and_b32_e32 v12, 0x3e3, v81
	s_mov_b32 s1, exec_lo
	s_barrier_signal -1
	s_barrier_wait -1
	v_cmpx_eq_u32_e32 32, v12
	s_cbranch_execz .LBB146_84
; %bb.83:
	ds_store_2addr_b32 v11, v6, v7 offset1:8
	ds_store_2addr_b32 v11, v4, v5 offset0:16 offset1:24
	ds_store_2addr_b32 v11, v2, v3 offset0:32 offset1:40
	;; [unrolled: 1-line block ×4, first 2 shown]
.LBB146_84:
	s_or_b32 exec_lo, exec_lo, s1
	s_delay_alu instid0(SALU_CYCLE_1)
	s_mov_b32 s1, exec_lo
	s_wait_dscnt 0x0
	s_barrier_signal -1
	s_barrier_wait -1
	v_cmpx_gt_u32_e32 32, v81
	s_cbranch_execz .LBB146_97
; %bb.85:
	s_and_saveexec_b32 s0, vcc_lo
	s_cbranch_execnz .LBB146_109
; %bb.86:
	s_or_b32 exec_lo, exec_lo, s0
	s_and_saveexec_b32 s0, vcc_lo
	s_cbranch_execnz .LBB146_110
.LBB146_87:
	s_or_b32 exec_lo, exec_lo, s0
	s_and_saveexec_b32 s0, vcc_lo
	s_cbranch_execnz .LBB146_111
.LBB146_88:
	s_or_b32 exec_lo, exec_lo, s0
	s_and_saveexec_b32 s0, vcc_lo
	s_cbranch_execnz .LBB146_112
.LBB146_89:
	s_or_b32 exec_lo, exec_lo, s0
	s_and_saveexec_b32 s0, vcc_lo
	s_cbranch_execnz .LBB146_113
.LBB146_90:
	s_or_b32 exec_lo, exec_lo, s0
	s_and_saveexec_b32 s0, vcc_lo
	s_cbranch_execnz .LBB146_114
.LBB146_91:
	s_or_b32 exec_lo, exec_lo, s0
	s_and_saveexec_b32 s0, vcc_lo
	s_cbranch_execnz .LBB146_115
.LBB146_92:
	s_or_b32 exec_lo, exec_lo, s0
	s_and_saveexec_b32 s0, vcc_lo
	s_cbranch_execnz .LBB146_116
.LBB146_93:
	s_or_b32 exec_lo, exec_lo, s0
	s_and_saveexec_b32 s0, vcc_lo
	s_cbranch_execnz .LBB146_117
.LBB146_94:
	s_or_b32 exec_lo, exec_lo, s0
	s_and_saveexec_b32 s0, vcc_lo
	s_cbranch_execz .LBB146_96
.LBB146_95:
	ds_load_b32 v10, v10 offset:288
	s_wait_dscnt 0x0
	v_add_f32_e32 v9, v9, v10
.LBB146_96:
	s_or_b32 exec_lo, exec_lo, s0
.LBB146_97:
	s_delay_alu instid0(SALU_CYCLE_1)
	s_or_b32 exec_lo, exec_lo, s1
	s_mov_b32 s1, 0
	s_barrier_signal -1
	s_barrier_wait -1
	s_mov_b32 s0, exec_lo
	v_cmpx_eq_u32_e32 0, v12
	s_cbranch_execz .LBB146_99
; %bb.98:
	s_mul_i32 s0, s28, s7
	s_mul_i32 s2, s7, s12
	s_mul_i32 s0, s0, s27
	s_lshr_b32 s6, ttmp7, 16
	s_mul_i32 s4, s0, 0x50
	s_bfe_u32 s0, ttmp6, 0x40014
	s_ashr_i32 s5, s4, 31
	s_add_co_i32 s0, s0, 1
	s_ashr_i32 s3, s2, 31
	s_mul_i32 s0, s6, s0
	s_bfe_u32 s7, ttmp6, 0x40008
	s_lshl_b64 s[4:5], s[4:5], 1
	s_lshl_b64 s[2:3], s[2:3], 1
	s_add_co_i32 s7, s7, s0
	s_cmp_eq_u32 s26, 0
	s_wait_kmcnt 0x0
	s_add_nc_u64 s[4:5], s[10:11], s[4:5]
	s_cselect_b32 s0, s6, s7
	s_add_nc_u64 s[2:3], s[4:5], s[2:3]
	s_mulk_i32 s0, 0xa0
	v_lshrrev_b32_e32 v10, 1, v81
	s_add_nc_u64 s[0:1], s[2:3], s[0:1]
	s_delay_alu instid0(SALU_CYCLE_1)
	v_cvt_pk_bf16_f32 v6, v6, s0
	v_cvt_pk_bf16_f32 v7, v7, s0
	;; [unrolled: 1-line block ×10, first 2 shown]
	s_clause 0x9
	global_store_b16 v10, v6, s[0:1]
	global_store_b16 v10, v7, s[0:1] offset:16
	global_store_b16 v10, v4, s[0:1] offset:32
	;; [unrolled: 1-line block ×9, first 2 shown]
.LBB146_99:
	s_sendmsg sendmsg(MSG_DEALLOC_VGPRS)
	s_endpgm
.LBB146_100:
	ds_load_b32 v12, v10
	s_wait_dscnt 0x0
	v_add_f32_e32 v6, v6, v12
	s_or_b32 exec_lo, exec_lo, s0
	s_and_saveexec_b32 s0, vcc_lo
	s_cbranch_execz .LBB146_72
.LBB146_101:
	ds_load_b32 v12, v10 offset:32
	s_wait_dscnt 0x0
	v_add_f32_e32 v7, v7, v12
	s_or_b32 exec_lo, exec_lo, s0
	s_and_saveexec_b32 s0, vcc_lo
	s_cbranch_execz .LBB146_73
.LBB146_102:
	ds_load_b32 v12, v10 offset:64
	s_wait_dscnt 0x0
	v_add_f32_e32 v4, v4, v12
	s_or_b32 exec_lo, exec_lo, s0
	s_and_saveexec_b32 s0, vcc_lo
	s_cbranch_execz .LBB146_74
.LBB146_103:
	ds_load_b32 v12, v10 offset:96
	s_wait_dscnt 0x0
	v_add_f32_e32 v5, v5, v12
	s_or_b32 exec_lo, exec_lo, s0
	s_and_saveexec_b32 s0, vcc_lo
	s_cbranch_execz .LBB146_75
.LBB146_104:
	ds_load_b32 v12, v10 offset:128
	s_wait_dscnt 0x0
	v_add_f32_e32 v2, v2, v12
	s_or_b32 exec_lo, exec_lo, s0
	s_and_saveexec_b32 s0, vcc_lo
	s_cbranch_execz .LBB146_76
.LBB146_105:
	ds_load_b32 v12, v10 offset:160
	s_wait_dscnt 0x0
	v_add_f32_e32 v3, v3, v12
	s_or_b32 exec_lo, exec_lo, s0
	s_and_saveexec_b32 s0, vcc_lo
	s_cbranch_execz .LBB146_77
.LBB146_106:
	ds_load_b32 v12, v10 offset:192
	s_wait_dscnt 0x0
	v_add_f32_e32 v0, v0, v12
	s_or_b32 exec_lo, exec_lo, s0
	s_and_saveexec_b32 s0, vcc_lo
	s_cbranch_execz .LBB146_78
.LBB146_107:
	ds_load_b32 v12, v10 offset:224
	s_wait_dscnt 0x0
	v_add_f32_e32 v1, v1, v12
	s_or_b32 exec_lo, exec_lo, s0
	s_and_saveexec_b32 s0, vcc_lo
	s_cbranch_execz .LBB146_79
.LBB146_108:
	ds_load_b32 v12, v10 offset:256
	s_wait_dscnt 0x0
	v_add_f32_e32 v8, v8, v12
	s_or_b32 exec_lo, exec_lo, s0
	s_and_saveexec_b32 s0, vcc_lo
	s_cbranch_execnz .LBB146_80
	s_branch .LBB146_81
.LBB146_109:
	ds_load_b32 v11, v10
	s_wait_dscnt 0x0
	v_add_f32_e32 v6, v6, v11
	s_or_b32 exec_lo, exec_lo, s0
	s_and_saveexec_b32 s0, vcc_lo
	s_cbranch_execz .LBB146_87
.LBB146_110:
	ds_load_b32 v11, v10 offset:32
	s_wait_dscnt 0x0
	v_add_f32_e32 v7, v7, v11
	s_or_b32 exec_lo, exec_lo, s0
	s_and_saveexec_b32 s0, vcc_lo
	s_cbranch_execz .LBB146_88
.LBB146_111:
	ds_load_b32 v11, v10 offset:64
	s_wait_dscnt 0x0
	v_add_f32_e32 v4, v4, v11
	s_or_b32 exec_lo, exec_lo, s0
	s_and_saveexec_b32 s0, vcc_lo
	s_cbranch_execz .LBB146_89
.LBB146_112:
	ds_load_b32 v11, v10 offset:96
	s_wait_dscnt 0x0
	v_add_f32_e32 v5, v5, v11
	s_or_b32 exec_lo, exec_lo, s0
	s_and_saveexec_b32 s0, vcc_lo
	s_cbranch_execz .LBB146_90
.LBB146_113:
	ds_load_b32 v11, v10 offset:128
	s_wait_dscnt 0x0
	v_add_f32_e32 v2, v2, v11
	s_or_b32 exec_lo, exec_lo, s0
	s_and_saveexec_b32 s0, vcc_lo
	s_cbranch_execz .LBB146_91
.LBB146_114:
	ds_load_b32 v11, v10 offset:160
	s_wait_dscnt 0x0
	v_add_f32_e32 v3, v3, v11
	s_or_b32 exec_lo, exec_lo, s0
	s_and_saveexec_b32 s0, vcc_lo
	s_cbranch_execz .LBB146_92
.LBB146_115:
	ds_load_b32 v11, v10 offset:192
	s_wait_dscnt 0x0
	v_add_f32_e32 v0, v0, v11
	s_or_b32 exec_lo, exec_lo, s0
	s_and_saveexec_b32 s0, vcc_lo
	s_cbranch_execz .LBB146_93
.LBB146_116:
	ds_load_b32 v11, v10 offset:224
	s_wait_dscnt 0x0
	v_add_f32_e32 v1, v1, v11
	s_or_b32 exec_lo, exec_lo, s0
	s_and_saveexec_b32 s0, vcc_lo
	s_cbranch_execz .LBB146_94
.LBB146_117:
	ds_load_b32 v11, v10 offset:256
	s_wait_dscnt 0x0
	v_add_f32_e32 v8, v8, v11
	s_or_b32 exec_lo, exec_lo, s0
	s_and_saveexec_b32 s0, vcc_lo
	s_cbranch_execnz .LBB146_95
	s_branch .LBB146_96
	.section	.rodata,"a",@progbits
	.p2align	6, 0x0
	.amdhsa_kernel _ZN4vllm25paged_attention_v1_kernelI14__hip_bfloat16S1_Li80ELi32ELi128ELNS_18Fp8KVCacheDataTypeE0ELb1EEEvPT_PKS3_PKT0_S9_ifPKiSB_iPKfiiiSD_SD_iiiii
		.amdhsa_group_segment_fixed_size 192
		.amdhsa_private_segment_fixed_size 68
		.amdhsa_kernarg_size 384
		.amdhsa_user_sgpr_count 2
		.amdhsa_user_sgpr_dispatch_ptr 0
		.amdhsa_user_sgpr_queue_ptr 0
		.amdhsa_user_sgpr_kernarg_segment_ptr 1
		.amdhsa_user_sgpr_dispatch_id 0
		.amdhsa_user_sgpr_kernarg_preload_length 0
		.amdhsa_user_sgpr_kernarg_preload_offset 0
		.amdhsa_user_sgpr_private_segment_size 0
		.amdhsa_wavefront_size32 1
		.amdhsa_uses_dynamic_stack 0
		.amdhsa_enable_private_segment 1
		.amdhsa_system_sgpr_workgroup_id_x 1
		.amdhsa_system_sgpr_workgroup_id_y 1
		.amdhsa_system_sgpr_workgroup_id_z 1
		.amdhsa_system_sgpr_workgroup_info 0
		.amdhsa_system_vgpr_workitem_id 0
		.amdhsa_next_free_vgpr 128
		.amdhsa_next_free_sgpr 38
		.amdhsa_named_barrier_count 0
		.amdhsa_reserve_vcc 1
		.amdhsa_float_round_mode_32 0
		.amdhsa_float_round_mode_16_64 0
		.amdhsa_float_denorm_mode_32 3
		.amdhsa_float_denorm_mode_16_64 3
		.amdhsa_fp16_overflow 0
		.amdhsa_memory_ordered 1
		.amdhsa_forward_progress 1
		.amdhsa_inst_pref_size 91
		.amdhsa_round_robin_scheduling 0
		.amdhsa_exception_fp_ieee_invalid_op 0
		.amdhsa_exception_fp_denorm_src 0
		.amdhsa_exception_fp_ieee_div_zero 0
		.amdhsa_exception_fp_ieee_overflow 0
		.amdhsa_exception_fp_ieee_underflow 0
		.amdhsa_exception_fp_ieee_inexact 0
		.amdhsa_exception_int_div_zero 0
	.end_amdhsa_kernel
	.section	.text._ZN4vllm25paged_attention_v1_kernelI14__hip_bfloat16S1_Li80ELi32ELi128ELNS_18Fp8KVCacheDataTypeE0ELb1EEEvPT_PKS3_PKT0_S9_ifPKiSB_iPKfiiiSD_SD_iiiii,"axG",@progbits,_ZN4vllm25paged_attention_v1_kernelI14__hip_bfloat16S1_Li80ELi32ELi128ELNS_18Fp8KVCacheDataTypeE0ELb1EEEvPT_PKS3_PKT0_S9_ifPKiSB_iPKfiiiSD_SD_iiiii,comdat
.Lfunc_end146:
	.size	_ZN4vllm25paged_attention_v1_kernelI14__hip_bfloat16S1_Li80ELi32ELi128ELNS_18Fp8KVCacheDataTypeE0ELb1EEEvPT_PKS3_PKT0_S9_ifPKiSB_iPKfiiiSD_SD_iiiii, .Lfunc_end146-_ZN4vllm25paged_attention_v1_kernelI14__hip_bfloat16S1_Li80ELi32ELi128ELNS_18Fp8KVCacheDataTypeE0ELb1EEEvPT_PKS3_PKT0_S9_ifPKiSB_iPKfiiiSD_SD_iiiii
                                        ; -- End function
	.set _ZN4vllm25paged_attention_v1_kernelI14__hip_bfloat16S1_Li80ELi32ELi128ELNS_18Fp8KVCacheDataTypeE0ELb1EEEvPT_PKS3_PKT0_S9_ifPKiSB_iPKfiiiSD_SD_iiiii.num_vgpr, 128
	.set _ZN4vllm25paged_attention_v1_kernelI14__hip_bfloat16S1_Li80ELi32ELi128ELNS_18Fp8KVCacheDataTypeE0ELb1EEEvPT_PKS3_PKT0_S9_ifPKiSB_iPKfiiiSD_SD_iiiii.num_agpr, 0
	.set _ZN4vllm25paged_attention_v1_kernelI14__hip_bfloat16S1_Li80ELi32ELi128ELNS_18Fp8KVCacheDataTypeE0ELb1EEEvPT_PKS3_PKT0_S9_ifPKiSB_iPKfiiiSD_SD_iiiii.numbered_sgpr, 38
	.set _ZN4vllm25paged_attention_v1_kernelI14__hip_bfloat16S1_Li80ELi32ELi128ELNS_18Fp8KVCacheDataTypeE0ELb1EEEvPT_PKS3_PKT0_S9_ifPKiSB_iPKfiiiSD_SD_iiiii.num_named_barrier, 0
	.set _ZN4vllm25paged_attention_v1_kernelI14__hip_bfloat16S1_Li80ELi32ELi128ELNS_18Fp8KVCacheDataTypeE0ELb1EEEvPT_PKS3_PKT0_S9_ifPKiSB_iPKfiiiSD_SD_iiiii.private_seg_size, 68
	.set _ZN4vllm25paged_attention_v1_kernelI14__hip_bfloat16S1_Li80ELi32ELi128ELNS_18Fp8KVCacheDataTypeE0ELb1EEEvPT_PKS3_PKT0_S9_ifPKiSB_iPKfiiiSD_SD_iiiii.uses_vcc, 1
	.set _ZN4vllm25paged_attention_v1_kernelI14__hip_bfloat16S1_Li80ELi32ELi128ELNS_18Fp8KVCacheDataTypeE0ELb1EEEvPT_PKS3_PKT0_S9_ifPKiSB_iPKfiiiSD_SD_iiiii.uses_flat_scratch, 1
	.set _ZN4vllm25paged_attention_v1_kernelI14__hip_bfloat16S1_Li80ELi32ELi128ELNS_18Fp8KVCacheDataTypeE0ELb1EEEvPT_PKS3_PKT0_S9_ifPKiSB_iPKfiiiSD_SD_iiiii.has_dyn_sized_stack, 0
	.set _ZN4vllm25paged_attention_v1_kernelI14__hip_bfloat16S1_Li80ELi32ELi128ELNS_18Fp8KVCacheDataTypeE0ELb1EEEvPT_PKS3_PKT0_S9_ifPKiSB_iPKfiiiSD_SD_iiiii.has_recursion, 0
	.set _ZN4vllm25paged_attention_v1_kernelI14__hip_bfloat16S1_Li80ELi32ELi128ELNS_18Fp8KVCacheDataTypeE0ELb1EEEvPT_PKS3_PKT0_S9_ifPKiSB_iPKfiiiSD_SD_iiiii.has_indirect_call, 0
	.section	.AMDGPU.csdata,"",@progbits
; Kernel info:
; codeLenInByte = 11604
; TotalNumSgprs: 40
; NumVgprs: 128
; ScratchSize: 68
; MemoryBound: 0
; FloatMode: 240
; IeeeMode: 1
; LDSByteSize: 192 bytes/workgroup (compile time only)
; SGPRBlocks: 0
; VGPRBlocks: 7
; NumSGPRsForWavesPerEU: 40
; NumVGPRsForWavesPerEU: 128
; NamedBarCnt: 0
; Occupancy: 8
; WaveLimiterHint : 1
; COMPUTE_PGM_RSRC2:SCRATCH_EN: 1
; COMPUTE_PGM_RSRC2:USER_SGPR: 2
; COMPUTE_PGM_RSRC2:TRAP_HANDLER: 0
; COMPUTE_PGM_RSRC2:TGID_X_EN: 1
; COMPUTE_PGM_RSRC2:TGID_Y_EN: 1
; COMPUTE_PGM_RSRC2:TGID_Z_EN: 1
; COMPUTE_PGM_RSRC2:TIDIG_COMP_CNT: 0
	.section	.text._ZN4vllm25paged_attention_v1_kernelI14__hip_bfloat16S1_Li96ELi32ELi128ELNS_18Fp8KVCacheDataTypeE0ELb1EEEvPT_PKS3_PKT0_S9_ifPKiSB_iPKfiiiSD_SD_iiiii,"axG",@progbits,_ZN4vllm25paged_attention_v1_kernelI14__hip_bfloat16S1_Li96ELi32ELi128ELNS_18Fp8KVCacheDataTypeE0ELb1EEEvPT_PKS3_PKT0_S9_ifPKiSB_iPKfiiiSD_SD_iiiii,comdat
	.protected	_ZN4vllm25paged_attention_v1_kernelI14__hip_bfloat16S1_Li96ELi32ELi128ELNS_18Fp8KVCacheDataTypeE0ELb1EEEvPT_PKS3_PKT0_S9_ifPKiSB_iPKfiiiSD_SD_iiiii ; -- Begin function _ZN4vllm25paged_attention_v1_kernelI14__hip_bfloat16S1_Li96ELi32ELi128ELNS_18Fp8KVCacheDataTypeE0ELb1EEEvPT_PKS3_PKT0_S9_ifPKiSB_iPKfiiiSD_SD_iiiii
	.globl	_ZN4vllm25paged_attention_v1_kernelI14__hip_bfloat16S1_Li96ELi32ELi128ELNS_18Fp8KVCacheDataTypeE0ELb1EEEvPT_PKS3_PKT0_S9_ifPKiSB_iPKfiiiSD_SD_iiiii
	.p2align	8
	.type	_ZN4vllm25paged_attention_v1_kernelI14__hip_bfloat16S1_Li96ELi32ELi128ELNS_18Fp8KVCacheDataTypeE0ELb1EEEvPT_PKS3_PKT0_S9_ifPKiSB_iPKfiiiSD_SD_iiiii,@function
_ZN4vllm25paged_attention_v1_kernelI14__hip_bfloat16S1_Li96ELi32ELi128ELNS_18Fp8KVCacheDataTypeE0ELb1EEEvPT_PKS3_PKT0_S9_ifPKiSB_iPKfiiiSD_SD_iiiii: ; @_ZN4vllm25paged_attention_v1_kernelI14__hip_bfloat16S1_Li96ELi32ELi128ELNS_18Fp8KVCacheDataTypeE0ELb1EEEvPT_PKS3_PKT0_S9_ifPKiSB_iPKfiiiSD_SD_iiiii
; %bb.0:
	s_load_b64 s[22:23], s[0:1], 0x20
	s_bfe_u32 s3, ttmp6, 0x4000c
	s_bfe_u32 s4, ttmp6, 0x40010
	s_and_b32 s6, ttmp7, 0xffff
	s_add_co_i32 s3, s3, 1
	s_add_co_i32 s4, s4, 1
	s_and_b32 s2, ttmp6, 15
	s_bfe_u32 s5, ttmp6, 0x40004
	s_mul_i32 s3, ttmp9, s3
	s_mul_i32 s4, s6, s4
	s_getreg_b32 s26, hwreg(HW_REG_IB_STS2, 6, 4)
	s_add_co_i32 s2, s2, s3
	s_add_co_i32 s3, s5, s4
	s_cmp_eq_u32 s26, 0
	v_mov_b32_e32 v91, v0
	s_cselect_b32 s28, s6, s3
	s_cselect_b32 s2, ttmp9, s2
	s_clause 0x1
	s_load_b32 s27, s[0:1], 0x80
	s_load_b64 s[4:5], s[0:1], 0x30
	s_mov_b32 s15, 0
	s_delay_alu instid0(SALU_CYCLE_1) | instskip(SKIP_2) | instid1(SALU_CYCLE_1)
	s_mov_b32 s34, s15
	s_wait_kmcnt 0x0
	s_abs_i32 s3, s22
	s_cvt_f32_u32 s6, s3
	s_sub_co_i32 s7, 0, s3
	s_delay_alu instid0(SALU_CYCLE_2) | instskip(SKIP_1) | instid1(TRANS32_DEP_1)
	v_rcp_iflag_f32_e32 v0, s6
	v_nop
	v_readfirstlane_b32 s6, v0
	s_abs_i32 s8, s27
	s_mul_f32 s6, s6, 0x4f7ffffe
	s_delay_alu instid0(SALU_CYCLE_3) | instskip(NEXT) | instid1(SALU_CYCLE_3)
	s_cvt_u32_f32 s6, s6
	s_mul_i32 s7, s7, s6
	s_delay_alu instid0(SALU_CYCLE_1) | instskip(NEXT) | instid1(SALU_CYCLE_1)
	s_mul_hi_u32 s7, s6, s7
	s_add_co_i32 s6, s6, s7
	s_xor_b32 s7, s27, s22
	s_mul_hi_u32 s6, s8, s6
	s_ashr_i32 s7, s7, 31
	s_mul_i32 s9, s6, s3
	s_delay_alu instid0(SALU_CYCLE_1)
	s_sub_co_i32 s8, s8, s9
	s_add_co_i32 s9, s6, 1
	s_sub_co_i32 s10, s8, s3
	s_cmp_ge_u32 s8, s3
	s_cselect_b32 s6, s9, s6
	s_cselect_b32 s8, s10, s8
	s_add_co_i32 s9, s6, 1
	s_cmp_ge_u32 s8, s3
	s_cselect_b32 s3, s9, s6
	s_load_b64 s[8:9], s[0:1], 0x40
	s_xor_b32 s3, s3, s7
	s_abs_i32 s14, s2
	s_sub_co_i32 s12, s3, s7
	s_mov_b32 s7, s15
	s_abs_i32 s11, s12
	s_delay_alu instid0(SALU_CYCLE_1) | instskip(SKIP_1) | instid1(SALU_CYCLE_2)
	s_cvt_f32_u32 s3, s11
	s_sub_co_i32 s6, 0, s11
	v_rcp_iflag_f32_e32 v0, s3
	v_nop
	s_delay_alu instid0(TRANS32_DEP_1) | instskip(SKIP_1) | instid1(SALU_CYCLE_3)
	v_readfirstlane_b32 s3, v0
	s_mul_f32 s3, s3, 0x4f7ffffe
	s_cvt_u32_f32 s3, s3
	s_delay_alu instid0(SALU_CYCLE_3) | instskip(NEXT) | instid1(SALU_CYCLE_1)
	s_mul_i32 s6, s6, s3
	s_mul_hi_u32 s6, s3, s6
	s_delay_alu instid0(SALU_CYCLE_1)
	s_add_co_i32 s6, s3, s6
	s_wait_kmcnt 0x0
	s_cmp_eq_u64 s[8:9], 0
	s_cbranch_scc1 .LBB147_2
; %bb.1:
	s_ashr_i32 s3, s2, 31
	s_delay_alu instid0(SALU_CYCLE_1) | instskip(NEXT) | instid1(SALU_CYCLE_1)
	s_lshl_b64 s[16:17], s[2:3], 2
	s_add_nc_u64 s[8:9], s[8:9], s[16:17]
	s_load_b32 s34, s[8:9], 0x0
.LBB147_2:
	s_load_b32 s29, s[4:5], s28 offset:0x0 scale_offset
	s_wait_xcnt 0x0
	s_load_b96 s[8:10], s[0:1], 0x48
	v_lshlrev_b32_e32 v22, 4, v91
	s_ashr_i32 s3, s2, 31
	s_ashr_i32 s18, s12, 31
	s_mul_u64 s[16:17], s[14:15], s[6:7]
	s_mul_i32 s12, s2, 0x60
	s_mov_b32 s4, exec_lo
	v_cmpx_gt_u32_e32 12, v91
	s_cbranch_execz .LBB147_4
; %bb.3:
	s_load_b64 s[6:7], s[0:1], 0x8
	s_wait_kmcnt 0x0
	s_mul_i32 s20, s8, s28
	s_ashr_i32 s13, s12, 31
	s_ashr_i32 s21, s20, 31
	s_delay_alu instid0(SALU_CYCLE_1) | instskip(NEXT) | instid1(SALU_CYCLE_1)
	s_lshl_b64 s[20:21], s[20:21], 1
	s_add_nc_u64 s[6:7], s[6:7], s[20:21]
	s_lshl_b64 s[20:21], s[12:13], 1
	s_delay_alu instid0(SALU_CYCLE_1)
	s_add_nc_u64 s[6:7], s[6:7], s[20:21]
	global_load_b128 v[0:3], v91, s[6:7] scale_offset
	s_wait_loadcnt 0x0
	ds_store_b128 v22, v[0:3]
.LBB147_4:
	s_or_b32 exec_lo, exec_lo, s4
	s_load_b128 s[4:7], s[0:1], 0x68
	s_wait_kmcnt 0x0
	s_mul_i32 s8, s17, s11
	s_xor_b32 s3, s3, s18
	s_sub_co_i32 s8, s14, s8
	s_add_co_i32 s13, s17, 1
	s_sub_co_i32 s14, s8, s11
	s_cmp_ge_u32 s8, s11
	s_mov_b32 s19, -1
	s_cselect_b32 s13, s13, s17
	s_cselect_b32 s8, s14, s8
	s_add_co_i32 s14, s13, 1
	s_cmp_ge_u32 s8, s11
	s_load_b32 s11, s[0:1], 0x78
	s_cselect_b32 s13, s14, s13
	s_add_co_i32 s18, s29, -1
	s_xor_b32 s13, s13, s3
	s_mov_b32 s17, 0
	s_sub_co_i32 s3, s13, s3
	s_abs_i32 s16, s18
	s_mov_b32 s15, s17
	s_abs_i32 s8, s7
	s_wait_dscnt 0x0
	s_cvt_f32_u32 s14, s8
	s_barrier_signal -1
	s_barrier_wait -1
	s_delay_alu instid0(SALU_CYCLE_1) | instskip(SKIP_1) | instid1(TRANS32_DEP_1)
	v_rcp_iflag_f32_e32 v0, s14
	v_nop
	v_readfirstlane_b32 s14, v0
	s_mul_f32 s13, s14, 0x4f7ffffe
	s_sub_co_i32 s14, 0, s8
	s_delay_alu instid0(SALU_CYCLE_2) | instskip(NEXT) | instid1(SALU_CYCLE_3)
	s_cvt_u32_f32 s13, s13
	s_mul_i32 s14, s14, s13
	s_delay_alu instid0(SALU_CYCLE_1) | instskip(NEXT) | instid1(SALU_CYCLE_1)
	s_mul_hi_u32 s14, s13, s14
	s_add_co_i32 s14, s13, s14
	s_wait_kmcnt 0x0
	s_cmp_lt_i32 s11, 0
                                        ; implicit-def: $sgpr13
	s_cbranch_scc0 .LBB147_6
; %bb.5:
	s_mul_i32 s13, s4, s22
	s_mov_b32 s19, s17
	s_add_co_i32 s13, s3, s13
	s_delay_alu instid0(SALU_CYCLE_1) | instskip(NEXT) | instid1(SALU_CYCLE_1)
	s_mul_i32 s13, s13, s11
	s_sub_co_i32 s13, 1, s13
.LBB147_6:
	s_ashr_i32 s18, s18, 31
	s_ashr_i32 s30, s7, 31
	s_and_not1_b32 vcc_lo, exec_lo, s19
	s_mul_u64 s[20:21], s[16:17], s[14:15]
	s_cbranch_vccnz .LBB147_8
; %bb.7:
	s_mul_i32 s4, s27, s4
	s_delay_alu instid0(SALU_CYCLE_1) | instskip(NEXT) | instid1(SALU_CYCLE_1)
	s_add_co_i32 s2, s4, s2
	s_mul_i32 s2, s2, s11
	s_delay_alu instid0(SALU_CYCLE_1)
	s_add_co_i32 s13, s2, 1
.LBB147_8:
	s_load_b32 s2, s[0:1], 0x38
	s_mul_i32 s7, s21, s8
	s_xor_b32 s4, s18, s30
	s_sub_co_i32 s20, s16, s7
	s_add_co_i32 s11, s21, 1
	s_clause 0x1
	s_load_b64 s[16:17], s[0:1], 0x28
	s_load_b32 s7, s[0:1], 0x88
	v_dual_lshrrev_b32 v92, 5, v91 :: v_dual_bitop2_b32 v0, 31, v91 bitop3:0x40
	v_mov_b32_e32 v59, 0xff7fffff
	s_delay_alu instid0(VALU_DEP_2) | instskip(NEXT) | instid1(VALU_DEP_3)
	v_dual_lshrrev_b32 v1, 3, v91 :: v_dual_lshlrev_b32 v58, 5, v92
	v_lshlrev_b32_e32 v26, 2, v0
	s_clause 0x1
	scratch_store_b32 off, v0, off
	scratch_store_b32 off, v1, off offset:156
	s_wait_kmcnt 0x0
	s_mul_i32 s18, s2, s28
	s_sub_co_i32 s2, s20, s8
	s_ashr_i32 s19, s18, 31
	s_cmp_ge_u32 s20, s8
	s_cselect_b32 s11, s11, s21
	s_cselect_b32 s2, s2, s20
	s_add_co_i32 s20, s11, 1
	s_cmp_ge_u32 s2, s8
	s_cselect_b32 s2, s20, s11
	s_add_co_i32 s11, s29, 31
	s_delay_alu instid0(SALU_CYCLE_1) | instskip(NEXT) | instid1(SALU_CYCLE_1)
	s_ashr_i32 s20, s11, 31
	s_lshr_b32 s20, s20, 27
	s_delay_alu instid0(SALU_CYCLE_1)
	s_add_co_i32 s11, s11, s20
	s_mul_i32 s20, s3, s10
	s_ashr_i32 s31, s11, 5
	s_xor_b32 s11, s2, s4
	v_cmp_gt_i32_e64 s2, s31, v92
	s_sub_co_i32 s33, s11, s4
	s_wait_xcnt 0x0
	s_and_saveexec_b32 s22, s2
	s_cbranch_execz .LBB147_16
; %bb.9:
	v_mov_b32_e32 v43, 0
	s_clause 0x1
	scratch_store_b32 off, v22, off offset:168
	scratch_store_b32 off, v91, off offset:160
	v_mov_b32_e32 v76, v92
	s_ashr_i32 s21, s20, 31
	s_sub_co_i32 s35, s33, s5
	ds_load_b128 v[18:21], v43
	s_wait_xcnt 0x1
	ds_load_b128 v[22:25], v43 offset:16
	ds_load_b128 v[6:9], v43 offset:32
	;; [unrolled: 1-line block ×5, first 2 shown]
	s_ashr_i32 s11, s9, 31
	s_lshl_b64 s[24:25], s[20:21], 1
	s_cmp_neq_f32 s34, 0
	s_load_b64 s[36:37], s[0:1], 0x10
	s_mov_b32 s10, s9
	scratch_store_b32 off, v26, off offset:172 ; 4-byte Folded Spill
	s_cselect_b32 vcc_lo, -1, 0
	s_abs_i32 s21, s6
	v_mov_b32_e32 v59, 0xff7fffff
	s_cvt_f32_u32 s3, s21
	s_sub_co_i32 s4, 0, s21
	s_wait_dscnt 0x5
	v_and_b32_e32 v1, 0xffff0000, v18
	s_wait_dscnt 0x3
	v_dual_lshlrev_b32 v0, 16, v18 :: v_dual_lshlrev_b32 v82, 16, v9
	s_wait_dscnt 0x1
	v_dual_lshlrev_b32 v86, 16, v5 :: v_dual_lshlrev_b32 v84, 16, v16
	s_wait_dscnt 0x0
	v_lshlrev_b32_e32 v88, 16, v12
	scratch_store_b64 off, v[0:1], off offset:4 ; 8-byte Folded Spill
	s_wait_xcnt 0x0
	v_and_b32_e32 v1, 0xffff0000, v19
	v_dual_lshlrev_b32 v0, 16, v19 :: v_dual_lshlrev_b32 v90, 16, v17
	v_lshlrev_b32_e32 v92, 16, v13
	v_and_b32_e32 v83, 0xffff0000, v9
	v_and_b32_e32 v87, 0xffff0000, v5
	scratch_store_b64 off, v[0:1], off offset:12 ; 8-byte Folded Spill
	s_wait_xcnt 0x0
	v_and_b32_e32 v1, 0xffff0000, v20
	v_lshlrev_b32_e32 v0, 16, v20
	v_and_b32_e32 v85, 0xffff0000, v16
	v_and_b32_e32 v89, 0xffff0000, v12
	;; [unrolled: 1-line block ×4, first 2 shown]
	scratch_store_b64 off, v[0:1], off offset:20 ; 8-byte Folded Spill
	s_wait_xcnt 0x0
	v_and_b32_e32 v1, 0xffff0000, v21
	v_lshlrev_b32_e32 v0, 16, v21
	s_wait_kmcnt 0x0
	s_add_nc_u64 s[24:25], s[36:37], s[24:25]
	scratch_store_b64 off, v[0:1], off offset:28 ; 8-byte Folded Spill
	s_wait_xcnt 0x0
	v_and_b32_e32 v1, 0xffff0000, v22
	v_lshlrev_b32_e32 v0, 16, v22
	scratch_store_b64 off, v[0:1], off offset:36 ; 8-byte Folded Spill
	s_wait_xcnt 0x0
	v_and_b32_e32 v1, 0xffff0000, v23
	v_lshlrev_b32_e32 v0, 16, v23
	;; [unrolled: 4-line block ×4, first 2 shown]
	scratch_store_b64 off, v[0:1], off offset:60 ; 8-byte Folded Spill
	s_wait_xcnt 0x0
	v_and_b32_e32 v1, 0xffff0000, v6
	v_dual_lshlrev_b32 v0, 16, v6 :: v_dual_lshlrev_b32 v6, 16, v11
	scratch_store_b64 off, v[0:1], off offset:68 ; 8-byte Folded Spill
	s_wait_xcnt 0x0
	v_and_b32_e32 v1, 0xffff0000, v2
	v_lshlrev_b32_e32 v0, 16, v2
	scratch_store_b64 off, v[0:1], off offset:76 ; 8-byte Folded Spill
	s_wait_xcnt 0x0
	v_and_b32_e32 v1, 0xffff0000, v14
	v_lshlrev_b32_e32 v0, 16, v14
	;; [unrolled: 4-line block ×4, first 2 shown]
	v_and_b32_e32 v7, 0xffff0000, v11
	ds_load_b128 v[10:13], v43 offset:144
	s_clause 0x1
	scratch_store_b64 off, v[0:1], off offset:100
	scratch_store_b64 off, v[6:7], off offset:124
	s_wait_xcnt 0x1
	v_and_b32_e32 v1, 0xffff0000, v3
	v_lshlrev_b32_e32 v0, 16, v3
	s_wait_xcnt 0x0
	v_and_b32_e32 v7, 0xffff0000, v8
	v_lshlrev_b32_e32 v6, 16, v8
	scratch_store_b64 off, v[0:1], off offset:108 ; 8-byte Folded Spill
	s_wait_xcnt 0x0
	v_and_b32_e32 v1, 0xffff0000, v15
	v_lshlrev_b32_e32 v0, 16, v15
	scratch_store_b64 off, v[6:7], off offset:132 ; 8-byte Folded Spill
	s_wait_xcnt 0x0
	v_and_b32_e32 v7, 0xffff0000, v4
	v_lshlrev_b32_e32 v6, 16, v4
	ds_load_b128 v[14:17], v43 offset:128
	scratch_store_b64 off, v[0:1], off offset:116 ; 8-byte Folded Spill
	s_wait_xcnt 0x0
	ds_load_b128 v[0:3], v43 offset:96
	s_wait_dscnt 0x2
	v_and_b32_e32 v119, 0xffff0000, v10
	scratch_store_b64 off, v[6:7], off offset:140 ; 8-byte Folded Spill
	s_wait_xcnt 0x0
	ds_load_b128 v[6:9], v43 offset:112
	v_dual_lshlrev_b32 v118, 16, v10 :: v_dual_lshlrev_b32 v120, 16, v11
	v_and_b32_e32 v121, 0xffff0000, v11
	v_and_b32_e32 v123, 0xffff0000, v12
	v_dual_lshlrev_b32 v122, 16, v12 :: v_dual_lshlrev_b32 v124, 16, v13
	v_and_b32_e32 v125, 0xffff0000, v13
	s_wait_dscnt 0x2
	v_and_b32_e32 v111, 0xffff0000, v14
	v_dual_lshlrev_b32 v110, 16, v14 :: v_dual_lshlrev_b32 v112, 16, v15
	s_wait_dscnt 0x1
	v_and_b32_e32 v95, 0xffff0000, v0
	v_lshlrev_b32_e32 v94, 16, v0
	v_and_b32_e32 v97, 0xffff0000, v1
	v_lshlrev_b32_e32 v96, 16, v1
	;; [unrolled: 2-line block ×4, first 2 shown]
	ds_load_b128 v[0:3], v43 offset:160
	s_wait_dscnt 0x1
	v_and_b32_e32 v103, 0xffff0000, v6
	v_lshlrev_b32_e32 v102, 16, v6
	v_and_b32_e32 v105, 0xffff0000, v7
	v_dual_lshlrev_b32 v104, 16, v7 :: v_dual_lshlrev_b32 v108, 16, v9
	ds_load_b128 v[4:7], v43 offset:176
	v_and_b32_e32 v107, 0xffff0000, v8
	v_lshlrev_b32_e32 v106, 16, v8
	v_rcp_iflag_f32_e32 v8, s3
	v_and_b32_e32 v109, 0xffff0000, v9
	v_and_b32_e32 v113, 0xffff0000, v15
	v_and_b32_e32 v115, 0xffff0000, v16
	v_dual_lshlrev_b32 v114, 16, v16 :: v_dual_lshlrev_b32 v116, 16, v17
	v_and_b32_e32 v117, 0xffff0000, v17
	s_delay_alu instid0(TRANS32_DEP_1)
	v_readfirstlane_b32 s3, v8
	scratch_store_b32 off, v76, off offset:164 ; 4-byte Folded Spill
	s_wait_dscnt 0x1
	v_and_b32_e32 v127, 0xffff0000, v0
	v_dual_lshlrev_b32 v126, 16, v0 :: v_dual_lshlrev_b32 v44, 16, v1
	v_and_b32_e32 v45, 0xffff0000, v1
	v_and_b32_e32 v1, 0xffff0000, v2
	v_dual_lshlrev_b32 v0, 16, v2 :: v_dual_lshlrev_b32 v46, 16, v3
	scratch_load_b32 v2, off, off           ; 4-byte Folded Reload
	v_and_b32_e32 v47, 0xffff0000, v3
	scratch_load_b32 v3, off, off offset:156 ; 4-byte Folded Reload
	s_mul_f32 s3, s3, 0x4f7ffffe
	s_wait_dscnt 0x0
	v_and_b32_e32 v49, 0xffff0000, v4
	v_dual_lshlrev_b32 v48, 16, v4 :: v_dual_lshlrev_b32 v50, 16, v5
	v_and_b32_e32 v51, 0xffff0000, v5
	s_cvt_u32_f32 s3, s3
	v_and_b32_e32 v53, 0xffff0000, v6
	v_dual_lshlrev_b32 v52, 16, v6 :: v_dual_lshlrev_b32 v54, 16, v7
	s_delay_alu instid0(SALU_CYCLE_1)
	s_mul_i32 s4, s4, s3
	v_and_b32_e32 v55, 0xffff0000, v7
	s_mul_hi_u32 s4, s3, s4
	s_wait_loadcnt 0x1
	v_lshlrev_b32_e32 v42, 4, v2
	v_subrev_nc_u32_e32 v2, s29, v2
	s_delay_alu instid0(VALU_DEP_1) | instskip(NEXT) | instid1(VALU_DEP_3)
	v_add_nc_u32_e32 v74, 1, v2
	v_add_nc_u64_e32 v[4:5], s[24:25], v[42:43]
	s_wait_loadcnt 0x0
	v_and_b32_e32 v42, 0x7c, v3
	s_lshl_b64 s[24:25], s[18:19], 2
	v_lshl_or_b32 v3, v76, 7, v26
	s_add_nc_u64 s[24:25], s[16:17], s[24:25]
	s_delay_alu instid0(VALU_DEP_2) | instid1(SALU_CYCLE_1)
	v_add_nc_u64_e32 v[60:61], s[24:25], v[42:43]
	v_lshlrev_b32_e32 v42, 5, v76
	s_delay_alu instid0(VALU_DEP_3)
	v_add_nc_u32_e32 v75, 0xe0, v3
	s_mov_b32 s25, 0
	s_add_co_i32 s24, s3, s4
	s_mov_b32 s36, s25
	scratch_store_b64 off, v[4:5], off offset:148 ; 8-byte Folded Spill
	s_branch .LBB147_11
.LBB147_10:                             ;   in Loop: Header=BB147_11 Depth=1
	s_wait_xcnt 0x0
	s_or_b32 exec_lo, exec_lo, s4
	v_add_nc_u32_e32 v76, 4, v76
	v_add_nc_u64_e32 v[60:61], 16, v[60:61]
	v_add_nc_u32_e32 v42, 0x80, v42
	v_add_nc_u32_e32 v75, 0x200, v75
	s_delay_alu instid0(VALU_DEP_4) | instskip(SKIP_1) | instid1(SALU_CYCLE_1)
	v_cmp_le_i32_e64 s3, s31, v76
	s_or_b32 s36, s3, s36
	s_and_not1_b32 exec_lo, exec_lo, s36
	s_cbranch_execz .LBB147_15
.LBB147_11:                             ; =>This Inner Loop Header: Depth=1
	v_mul_u64_e32 v[2:3], s[14:15], v[42:43]
	s_delay_alu instid0(VALU_DEP_1) | instskip(SKIP_1) | instid1(VALU_DEP_1)
	v_mul_lo_u32 v2, v3, s8
	s_wait_xcnt 0x0
	v_dual_add_nc_u32 v4, 1, v3 :: v_dual_sub_nc_u32 v2, v42, v2
	s_delay_alu instid0(VALU_DEP_1) | instskip(SKIP_1) | instid1(VALU_DEP_1)
	v_subrev_nc_u32_e32 v5, s8, v2
	v_cmp_le_u32_e64 s3, s8, v2
	v_dual_cndmask_b32 v3, v3, v4, s3 :: v_dual_cndmask_b32 v2, v2, v5, s3
	s_delay_alu instid0(VALU_DEP_1) | instskip(NEXT) | instid1(VALU_DEP_2)
	v_add_nc_u32_e32 v4, 1, v3
	v_cmp_le_u32_e64 s3, s8, v2
	s_delay_alu instid0(VALU_DEP_1) | instskip(NEXT) | instid1(VALU_DEP_1)
	v_cndmask_b32_e64 v2, v3, v4, s3
	v_dual_mov_b32 v3, v43 :: v_dual_bitop2_b32 v2, s30, v2 bitop3:0x14
	s_delay_alu instid0(VALU_DEP_1) | instskip(NEXT) | instid1(VALU_DEP_1)
	v_subrev_nc_u32_e32 v6, s30, v2
	v_add_nc_u32_e32 v7, s13, v6
	v_cmp_ge_i32_e64 s4, s35, v6
	s_delay_alu instid0(VALU_DEP_2) | instskip(NEXT) | instid1(VALU_DEP_1)
	v_sub_nc_u32_e32 v2, 0, v7
	v_max_i32_e32 v2, v7, v2
	s_delay_alu instid0(VALU_DEP_1) | instskip(SKIP_1) | instid1(VALU_DEP_2)
	v_mul_u64_e32 v[4:5], s[24:25], v[2:3]
	v_ashrrev_i32_e32 v4, 31, v7
	v_mul_lo_u32 v3, v5, s21
	s_delay_alu instid0(VALU_DEP_1) | instskip(NEXT) | instid1(VALU_DEP_1)
	v_sub_nc_u32_e32 v2, v2, v3
	v_subrev_nc_u32_e32 v3, s21, v2
	v_cmp_le_u32_e64 s3, s21, v2
	s_delay_alu instid0(VALU_DEP_1) | instskip(NEXT) | instid1(VALU_DEP_1)
	v_cndmask_b32_e64 v2, v2, v3, s3
	v_subrev_nc_u32_e32 v3, s21, v2
	v_cmp_le_u32_e64 s3, s21, v2
	s_delay_alu instid0(VALU_DEP_1) | instskip(NEXT) | instid1(VALU_DEP_1)
	v_cndmask_b32_e64 v2, v2, v3, s3
	v_xor_b32_e32 v2, v2, v4
	s_delay_alu instid0(VALU_DEP_1) | instskip(NEXT) | instid1(VALU_DEP_1)
	v_sub_nc_u32_e32 v2, v2, v4
	v_cmp_ne_u32_e64 s3, 0, v2
	s_and_b32 s3, s3, s4
	s_delay_alu instid0(SALU_CYCLE_1) | instskip(NEXT) | instid1(SALU_CYCLE_1)
	s_and_saveexec_b32 s4, s3
	s_xor_b32 s3, exec_lo, s4
; %bb.12:                               ;   in Loop: Header=BB147_11 Depth=1
	v_mov_b32_e32 v2, 0xff7fffff
	ds_store_b32 v75, v2
; %bb.13:                               ;   in Loop: Header=BB147_11 Depth=1
	s_and_not1_saveexec_b32 s4, s3
	s_cbranch_execz .LBB147_10
; %bb.14:                               ;   in Loop: Header=BB147_11 Depth=1
	global_load_b32 v2, v[60:61], off
	s_clause 0x1
	scratch_load_b32 v4, off, off
	scratch_load_b64 v[6:7], off, off offset:148
	s_wait_loadcnt 0x2
	v_ashrrev_i32_e32 v3, 31, v2
	s_wait_loadcnt 0x1
	v_add_nc_u32_e32 v4, v4, v42
	s_delay_alu instid0(VALU_DEP_2) | instskip(SKIP_1) | instid1(VALU_DEP_1)
	v_mul_u64_e32 v[2:3], s[10:11], v[2:3]
	s_wait_loadcnt 0x0
	v_lshl_add_u64 v[62:63], v[2:3], 1, v[6:7]
	v_add_nc_u32_e32 v2, v74, v42
	v_cmp_gt_i32_e64 s3, s29, v4
	s_delay_alu instid0(VALU_DEP_2) | instskip(NEXT) | instid1(VALU_DEP_1)
	v_cvt_f32_i32_e32 v2, v2
	v_mul_f32_e32 v2, s34, v2
	s_delay_alu instid0(VALU_DEP_1)
	v_cndmask_b32_e32 v77, 0, v2, vcc_lo
	global_load_b128 v[2:5], v[62:63], off
	s_wait_loadcnt 0x0
	v_and_b32_e32 v57, 0xffff0000, v2
	v_lshlrev_b32_e32 v56, 16, v2
	v_and_b32_e32 v73, 0xffff0000, v3
	v_dual_lshlrev_b32 v72, 16, v3 :: v_dual_lshlrev_b32 v68, 16, v4
	v_and_b32_e32 v69, 0xffff0000, v4
	v_and_b32_e32 v65, 0xffff0000, v5
	v_lshlrev_b32_e32 v64, 16, v5
	global_load_b128 v[2:5], v[62:63], off offset:512
	s_wait_loadcnt 0x0
	v_and_b32_e32 v79, 0xffff0000, v2
	v_lshlrev_b32_e32 v78, 16, v2
	v_and_b32_e32 v81, 0xffff0000, v3
	v_dual_lshlrev_b32 v80, 16, v3 :: v_dual_lshlrev_b32 v70, 16, v4
	v_and_b32_e32 v71, 0xffff0000, v4
	v_and_b32_e32 v67, 0xffff0000, v5
	v_lshlrev_b32_e32 v66, 16, v5
	s_clause 0x9
	global_load_b128 v[38:41], v[62:63], off offset:1024
	global_load_b128 v[34:37], v[62:63], off offset:1536
	;; [unrolled: 1-line block ×10, first 2 shown]
	scratch_load_b64 v[62:63], off, off offset:36 ; 8-byte Folded Reload
	s_wait_loadcnt 0x0
	v_pk_mul_f32 v[62:63], v[62:63], v[78:79]
	scratch_load_b64 v[78:79], off, off offset:4 ; 8-byte Folded Reload
	s_wait_loadcnt 0x0
	v_pk_fma_f32 v[56:57], v[78:79], v[56:57], v[62:63]
	scratch_load_b64 v[78:79], off, off offset:68 ; 8-byte Folded Reload
	v_and_b32_e32 v63, 0xffff0000, v38
	v_lshlrev_b32_e32 v62, 16, v38
	s_wait_loadcnt 0x0
	s_delay_alu instid0(VALU_DEP_1) | instskip(SKIP_4) | instid1(VALU_DEP_1)
	v_pk_fma_f32 v[56:57], v[78:79], v[62:63], v[56:57]
	scratch_load_b64 v[78:79], off, off offset:76 ; 8-byte Folded Reload
	v_and_b32_e32 v63, 0xffff0000, v34
	v_lshlrev_b32_e32 v62, 16, v34
	s_wait_loadcnt 0x0
	v_pk_fma_f32 v[56:57], v[78:79], v[62:63], v[56:57]
	scratch_load_b64 v[78:79], off, off offset:84 ; 8-byte Folded Reload
	v_and_b32_e32 v63, 0xffff0000, v30
	v_lshlrev_b32_e32 v62, 16, v30
	s_wait_loadcnt 0x0
	s_delay_alu instid0(VALU_DEP_1) | instskip(SKIP_4) | instid1(VALU_DEP_1)
	v_pk_fma_f32 v[56:57], v[78:79], v[62:63], v[56:57]
	scratch_load_b64 v[78:79], off, off offset:92 ; 8-byte Folded Reload
	v_and_b32_e32 v63, 0xffff0000, v26
	v_lshlrev_b32_e32 v62, 16, v26
	s_wait_loadcnt 0x0
	v_pk_fma_f32 v[56:57], v[78:79], v[62:63], v[56:57]
	v_and_b32_e32 v63, 0xffff0000, v22
	v_lshlrev_b32_e32 v62, 16, v22
	scratch_load_b64 v[78:79], off, off offset:12 ; 8-byte Folded Reload
	v_pk_fma_f32 v[56:57], v[94:95], v[62:63], v[56:57]
	v_and_b32_e32 v63, 0xffff0000, v18
	v_lshlrev_b32_e32 v62, 16, v18
	s_delay_alu instid0(VALU_DEP_1) | instskip(SKIP_2) | instid1(VALU_DEP_1)
	v_pk_fma_f32 v[56:57], v[102:103], v[62:63], v[56:57]
	v_and_b32_e32 v63, 0xffff0000, v14
	v_lshlrev_b32_e32 v62, 16, v14
	v_pk_fma_f32 v[56:57], v[110:111], v[62:63], v[56:57]
	v_and_b32_e32 v63, 0xffff0000, v10
	v_lshlrev_b32_e32 v62, 16, v10
	s_delay_alu instid0(VALU_DEP_1) | instskip(SKIP_2) | instid1(VALU_DEP_1)
	v_pk_fma_f32 v[56:57], v[118:119], v[62:63], v[56:57]
	v_and_b32_e32 v63, 0xffff0000, v6
	v_lshlrev_b32_e32 v62, 16, v6
	v_pk_fma_f32 v[56:57], v[126:127], v[62:63], v[56:57]
	v_and_b32_e32 v63, 0xffff0000, v2
	v_lshlrev_b32_e32 v62, 16, v2
	s_delay_alu instid0(VALU_DEP_1) | instskip(SKIP_3) | instid1(VALU_DEP_1)
	v_pk_fma_f32 v[62:63], v[48:49], v[62:63], v[56:57]
	scratch_load_b64 v[56:57], off, off offset:44 ; 8-byte Folded Reload
	s_wait_loadcnt 0x0
	v_pk_mul_f32 v[56:57], v[56:57], v[80:81]
	v_pk_fma_f32 v[72:73], v[78:79], v[72:73], v[56:57]
	v_and_b32_e32 v57, 0xffff0000, v39
	v_lshlrev_b32_e32 v56, 16, v39
	scratch_load_b64 v[38:39], off, off offset:100 ; 8-byte Folded Reload
	s_wait_loadcnt 0x0
	v_pk_fma_f32 v[38:39], v[38:39], v[56:57], v[72:73]
	v_and_b32_e32 v57, 0xffff0000, v35
	v_lshlrev_b32_e32 v56, 16, v35
	scratch_load_b64 v[34:35], off, off offset:108 ; 8-byte Folded Reload
	s_wait_loadcnt 0x0
	;; [unrolled: 5-line block ×4, first 2 shown]
	v_pk_fma_f32 v[26:27], v[26:27], v[34:35], v[30:31]
	v_and_b32_e32 v31, 0xffff0000, v23
	v_lshlrev_b32_e32 v30, 16, v23
	s_delay_alu instid0(VALU_DEP_1) | instskip(SKIP_2) | instid1(VALU_DEP_1)
	v_pk_fma_f32 v[22:23], v[96:97], v[30:31], v[26:27]
	v_and_b32_e32 v27, 0xffff0000, v19
	v_lshlrev_b32_e32 v26, 16, v19
	v_pk_fma_f32 v[18:19], v[104:105], v[26:27], v[22:23]
	v_and_b32_e32 v23, 0xffff0000, v15
	v_lshlrev_b32_e32 v22, 16, v15
	s_delay_alu instid0(VALU_DEP_1) | instskip(SKIP_2) | instid1(VALU_DEP_1)
	v_pk_fma_f32 v[14:15], v[112:113], v[22:23], v[18:19]
	v_and_b32_e32 v19, 0xffff0000, v11
	v_lshlrev_b32_e32 v18, 16, v11
	v_pk_fma_f32 v[10:11], v[120:121], v[18:19], v[14:15]
	v_and_b32_e32 v15, 0xffff0000, v7
	v_lshlrev_b32_e32 v14, 16, v7
	s_delay_alu instid0(VALU_DEP_1)
	v_pk_fma_f32 v[6:7], v[44:45], v[14:15], v[10:11]
	v_and_b32_e32 v11, 0xffff0000, v3
	v_lshlrev_b32_e32 v10, 16, v3
	scratch_load_b64 v[14:15], off, off offset:132 ; 8-byte Folded Reload
	v_pk_fma_f32 v[2:3], v[50:51], v[10:11], v[6:7]
	s_clause 0x1
	scratch_load_b64 v[6:7], off, off offset:52
	scratch_load_b64 v[10:11], off, off offset:20
	s_wait_loadcnt 0x1
	v_pk_mul_f32 v[6:7], v[6:7], v[70:71]
	s_wait_loadcnt 0x0
	s_delay_alu instid0(VALU_DEP_1) | instskip(SKIP_2) | instid1(VALU_DEP_1)
	v_pk_fma_f32 v[6:7], v[10:11], v[68:69], v[6:7]
	v_and_b32_e32 v11, 0xffff0000, v40
	v_lshlrev_b32_e32 v10, 16, v40
	v_pk_fma_f32 v[6:7], v[14:15], v[10:11], v[6:7]
	scratch_load_b64 v[14:15], off, off offset:140 ; 8-byte Folded Reload
	v_and_b32_e32 v11, 0xffff0000, v36
	v_lshlrev_b32_e32 v10, 16, v36
	s_wait_loadcnt 0x0
	s_delay_alu instid0(VALU_DEP_1)
	v_pk_fma_f32 v[6:7], v[14:15], v[10:11], v[6:7]
	v_and_b32_e32 v11, 0xffff0000, v32
	v_lshlrev_b32_e32 v10, 16, v32
	scratch_load_b64 v[14:15], off, off offset:28 ; 8-byte Folded Reload
	v_pk_fma_f32 v[6:7], v[84:85], v[10:11], v[6:7]
	v_and_b32_e32 v11, 0xffff0000, v28
	v_lshlrev_b32_e32 v10, 16, v28
	s_delay_alu instid0(VALU_DEP_1) | instskip(SKIP_2) | instid1(VALU_DEP_1)
	v_pk_fma_f32 v[6:7], v[88:89], v[10:11], v[6:7]
	v_and_b32_e32 v11, 0xffff0000, v24
	v_lshlrev_b32_e32 v10, 16, v24
	v_pk_fma_f32 v[6:7], v[98:99], v[10:11], v[6:7]
	v_and_b32_e32 v11, 0xffff0000, v20
	v_lshlrev_b32_e32 v10, 16, v20
	s_delay_alu instid0(VALU_DEP_1) | instskip(SKIP_2) | instid1(VALU_DEP_1)
	v_pk_fma_f32 v[6:7], v[106:107], v[10:11], v[6:7]
	v_and_b32_e32 v11, 0xffff0000, v16
	v_lshlrev_b32_e32 v10, 16, v16
	v_pk_fma_f32 v[6:7], v[114:115], v[10:11], v[6:7]
	v_and_b32_e32 v11, 0xffff0000, v12
	v_dual_lshlrev_b32 v10, 16, v12 :: v_dual_lshlrev_b32 v12, 16, v9
	s_delay_alu instid0(VALU_DEP_1) | instskip(SKIP_2) | instid1(VALU_DEP_1)
	v_pk_fma_f32 v[6:7], v[122:123], v[10:11], v[6:7]
	v_and_b32_e32 v11, 0xffff0000, v8
	v_lshlrev_b32_e32 v10, 16, v8
	v_pk_fma_f32 v[6:7], v[0:1], v[10:11], v[6:7]
	v_and_b32_e32 v11, 0xffff0000, v4
	v_lshlrev_b32_e32 v10, 16, v4
	s_delay_alu instid0(VALU_DEP_1) | instskip(SKIP_3) | instid1(VALU_DEP_1)
	v_pk_fma_f32 v[6:7], v[52:53], v[10:11], v[6:7]
	scratch_load_b64 v[10:11], off, off offset:60 ; 8-byte Folded Reload
	s_wait_loadcnt 0x0
	v_pk_mul_f32 v[10:11], v[10:11], v[66:67]
	v_pk_fma_f32 v[10:11], v[14:15], v[64:65], v[10:11]
	v_and_b32_e32 v15, 0xffff0000, v41
	v_lshlrev_b32_e32 v14, 16, v41
	s_delay_alu instid0(VALU_DEP_1) | instskip(SKIP_2) | instid1(VALU_DEP_1)
	v_pk_fma_f32 v[10:11], v[82:83], v[14:15], v[10:11]
	v_and_b32_e32 v15, 0xffff0000, v37
	v_lshlrev_b32_e32 v14, 16, v37
	v_pk_fma_f32 v[10:11], v[86:87], v[14:15], v[10:11]
	v_and_b32_e32 v15, 0xffff0000, v33
	v_lshlrev_b32_e32 v14, 16, v33
	s_delay_alu instid0(VALU_DEP_1) | instskip(SKIP_2) | instid1(VALU_DEP_1)
	v_pk_fma_f32 v[10:11], v[90:91], v[14:15], v[10:11]
	v_and_b32_e32 v15, 0xffff0000, v29
	v_lshlrev_b32_e32 v14, 16, v29
	;; [unrolled: 7-line block ×3, first 2 shown]
	v_pk_fma_f32 v[10:11], v[108:109], v[14:15], v[10:11]
	v_and_b32_e32 v15, 0xffff0000, v17
	v_lshlrev_b32_e32 v14, 16, v17
	s_delay_alu instid0(VALU_DEP_1) | instskip(SKIP_3) | instid1(VALU_DEP_2)
	v_pk_fma_f32 v[10:11], v[116:117], v[14:15], v[10:11]
	v_and_b32_e32 v15, 0xffff0000, v13
	v_lshlrev_b32_e32 v14, 16, v13
	v_and_b32_e32 v13, 0xffff0000, v9
	v_pk_fma_f32 v[10:11], v[124:125], v[14:15], v[10:11]
	s_delay_alu instid0(VALU_DEP_1) | instskip(SKIP_2) | instid1(VALU_DEP_1)
	v_pk_fma_f32 v[8:9], v[46:47], v[12:13], v[10:11]
	v_and_b32_e32 v11, 0xffff0000, v5
	v_lshlrev_b32_e32 v10, 16, v5
	v_pk_fma_f32 v[4:5], v[54:55], v[10:11], v[8:9]
	v_add_f32_e32 v8, v62, v63
	s_delay_alu instid0(VALU_DEP_1) | instskip(NEXT) | instid1(VALU_DEP_1)
	v_add_f32_e32 v2, v8, v2
	v_add_f32_e32 v2, v3, v2
	s_delay_alu instid0(VALU_DEP_1) | instskip(NEXT) | instid1(VALU_DEP_1)
	v_dual_max_num_f32 v3, v59, v59 :: v_dual_add_f32 v2, v6, v2
	v_add_f32_e32 v2, v7, v2
	s_delay_alu instid0(VALU_DEP_1) | instskip(NEXT) | instid1(VALU_DEP_1)
	v_add_f32_e32 v2, v4, v2
	v_add_f32_e32 v2, v5, v2
	s_delay_alu instid0(VALU_DEP_1) | instskip(NEXT) | instid1(VALU_DEP_1)
	v_fmac_f32_e32 v77, s23, v2
	v_dual_max_num_f32 v3, v3, v77 :: v_dual_cndmask_b32 v2, 0, v77, s3
	s_delay_alu instid0(VALU_DEP_1)
	v_cndmask_b32_e64 v59, v59, v3, s3
	ds_store_b32 v75, v2
	s_branch .LBB147_10
.LBB147_15:
	s_or_b32 exec_lo, exec_lo, s36
	s_clause 0x3
	scratch_load_b32 v91, off, off offset:160
	scratch_load_b32 v92, off, off offset:164
	;; [unrolled: 1-line block ×4, first 2 shown]
.LBB147_16:
	s_wait_xcnt 0x0
	s_or_b32 exec_lo, exec_lo, s22
	v_mbcnt_lo_u32_b32 v3, -1, 0
	s_clause 0x1
	s_load_b64 s[10:11], s[0:1], 0x0
	s_load_b64 s[22:23], s[0:1], 0x18
	v_max_num_f32_e32 v4, v59, v59
	v_xor_b32_e32 v2, 8, v3
	v_xor_b32_e32 v0, 16, v3
	s_delay_alu instid0(VALU_DEP_1) | instskip(SKIP_1) | instid1(VALU_DEP_1)
	v_cmp_gt_i32_e32 vcc_lo, 32, v0
	v_cndmask_b32_e32 v0, v3, v0, vcc_lo
	v_lshlrev_b32_e32 v0, 2, v0
	ds_bpermute_b32 v1, v0, v59
	s_wait_dscnt 0x0
	v_max_num_f32_e32 v5, v1, v1
	s_delay_alu instid0(VALU_DEP_1) | instskip(SKIP_2) | instid1(VALU_DEP_1)
	v_max_num_f32_e32 v4, v4, v5
	v_cmp_gt_i32_e32 vcc_lo, 32, v2
	v_dual_cndmask_b32 v2, v3, v2, vcc_lo :: v_dual_bitop2_b32 v5, 4, v3 bitop3:0x14
	v_cmp_gt_i32_e32 vcc_lo, 32, v5
	s_delay_alu instid0(VALU_DEP_2) | instskip(SKIP_3) | instid1(VALU_DEP_1)
	v_lshlrev_b32_e32 v1, 2, v2
	ds_bpermute_b32 v2, v1, v4
	s_wait_dscnt 0x0
	v_dual_cndmask_b32 v5, v3, v5 :: v_dual_max_num_f32 v6, v2, v2
	v_dual_lshlrev_b32 v2, 2, v5 :: v_dual_max_num_f32 v4, v4, v6
	ds_bpermute_b32 v5, v2, v4
	s_wait_dscnt 0x0
	v_dual_max_num_f32 v5, v5, v5 :: v_dual_bitop2_b32 v6, 2, v3 bitop3:0x14
	s_delay_alu instid0(VALU_DEP_1) | instskip(NEXT) | instid1(VALU_DEP_2)
	v_cmp_gt_i32_e32 vcc_lo, 32, v6
	v_dual_max_num_f32 v4, v4, v5 :: v_dual_cndmask_b32 v6, v3, v6, vcc_lo
	s_delay_alu instid0(VALU_DEP_1) | instskip(SKIP_3) | instid1(VALU_DEP_1)
	v_dual_lshlrev_b32 v75, 2, v6 :: v_dual_bitop2_b32 v6, 1, v3 bitop3:0x14
	ds_bpermute_b32 v5, v75, v4
	v_cmp_gt_i32_e32 vcc_lo, 32, v6
	v_cndmask_b32_e32 v3, v3, v6, vcc_lo
	v_lshlrev_b32_e32 v74, 2, v3
	scratch_load_b32 v3, off, off           ; 4-byte Folded Reload
	s_wait_dscnt 0x0
	v_max_num_f32_e32 v5, v5, v5
	s_delay_alu instid0(VALU_DEP_1)
	v_max_num_f32_e32 v4, v4, v5
	ds_bpermute_b32 v5, v74, v4
	s_wait_loadcnt 0x0
	v_cmp_eq_u32_e32 vcc_lo, 0, v3
	v_lshlrev_b32_e32 v3, 2, v92
	s_wait_xcnt 0x0
	s_and_saveexec_b32 s0, vcc_lo
	s_cbranch_execz .LBB147_18
; %bb.17:
	s_wait_dscnt 0x0
	v_dual_max_num_f32 v5, v5, v5 :: v_dual_max_num_f32 v4, v4, v4
	s_delay_alu instid0(VALU_DEP_1)
	v_max_num_f32_e32 v4, v4, v5
	ds_store_b32 v3, v4 offset:192
.LBB147_18:
	s_or_b32 exec_lo, exec_lo, s0
	scratch_load_b32 v4, off, off           ; 4-byte Folded Reload
	s_wait_storecnt 0x0
	s_wait_loadcnt_dscnt 0x0
	s_barrier_signal -1
	s_barrier_wait -1
	v_cmp_gt_u32_e64 s0, 4, v4
	v_mov_b32_e32 v4, 0xff7fffff
	s_and_saveexec_b32 s1, s0
; %bb.19:
	ds_load_b32 v4, v26 offset:192
; %bb.20:
	s_or_b32 exec_lo, exec_lo, s1
	s_wait_dscnt 0x0
	ds_bpermute_b32 v5, v75, v4
	v_max_num_f32_e32 v4, v4, v4
	s_lshl_b32 s1, s31, 5
	s_delay_alu instid0(SALU_CYCLE_1) | instskip(NEXT) | instid1(SALU_CYCLE_1)
	s_min_i32 s4, s1, s29
	v_cmp_gt_i32_e64 s1, s4, v91
	s_wait_dscnt 0x0
	v_max_num_f32_e32 v5, v5, v5
	s_delay_alu instid0(VALU_DEP_1) | instskip(SKIP_3) | instid1(VALU_DEP_1)
	v_max_num_f32_e32 v4, v4, v5
	ds_bpermute_b32 v5, v74, v4
	s_wait_dscnt 0x0
	v_max_num_f32_e32 v5, v5, v5
	v_dual_max_num_f32 v5, v4, v5 :: v_dual_mov_b32 v4, 0
	ds_bpermute_b32 v5, v4, v5
	s_and_saveexec_b32 s21, s1
	s_cbranch_execz .LBB147_24
; %bb.21:
	v_lshl_add_u32 v6, v91, 2, 0xe0
	v_dual_mov_b32 v4, 0 :: v_dual_mov_b32 v7, v91
	s_mov_b32 s24, 0
.LBB147_22:                             ; =>This Inner Loop Header: Depth=1
	ds_load_b32 v8, v6
	v_add_nc_u32_e32 v7, 0x80, v7
	s_delay_alu instid0(VALU_DEP_1) | instskip(SKIP_3) | instid1(VALU_DEP_1)
	v_cmp_le_i32_e64 s3, s4, v7
	s_or_b32 s24, s3, s24
	s_wait_dscnt 0x0
	v_sub_f32_e32 v8, v8, v5
	v_mul_f32_e32 v8, 0x3fb8aa3b, v8
	s_delay_alu instid0(VALU_DEP_1)
	v_exp_f32_e32 v8, v8
	ds_store_b32 v6, v8
	v_nop
	v_add_f32_e32 v4, v4, v8
	v_add_nc_u32_e32 v6, 0x200, v6
	s_and_not1_b32 exec_lo, exec_lo, s24
	s_cbranch_execnz .LBB147_22
; %bb.23:
	s_or_b32 exec_lo, exec_lo, s24
.LBB147_24:
	s_delay_alu instid0(SALU_CYCLE_1)
	s_or_b32 exec_lo, exec_lo, s21
	ds_bpermute_b32 v0, v0, v4
	s_wait_dscnt 0x0
	v_add_f32_e32 v0, v4, v0
	ds_bpermute_b32 v1, v1, v0
	s_wait_dscnt 0x0
	v_add_f32_e32 v0, v0, v1
	;; [unrolled: 3-line block ×5, first 2 shown]
	s_and_saveexec_b32 s3, vcc_lo
; %bb.25:
	ds_store_b32 v3, v0 offset:208
; %bb.26:
	s_or_b32 exec_lo, exec_lo, s3
	s_wait_dscnt 0x0
	s_barrier_signal -1
	s_barrier_wait -1
	s_and_saveexec_b32 s3, s0
; %bb.27:
	ds_load_b32 v0, v26 offset:208
; %bb.28:
	s_or_b32 exec_lo, exec_lo, s3
	s_wait_dscnt 0x0
	ds_bpermute_b32 v1, v75, v0
	s_wait_dscnt 0x0
	v_dual_mov_b32 v61, 0 :: v_dual_add_f32 v0, v0, v1
	ds_bpermute_b32 v1, v74, v0
	s_wait_dscnt 0x0
	v_add_f32_e32 v0, v0, v1
	ds_bpermute_b32 v0, v61, v0
	s_and_saveexec_b32 s0, s1
	s_cbranch_execz .LBB147_41
; %bb.29:
	s_wait_dscnt 0x0
	v_add_f32_e32 v0, 0x358637bd, v0
	s_mov_b32 s3, -1
	s_mov_b32 s1, exec_lo
	s_delay_alu instid0(VALU_DEP_1) | instskip(NEXT) | instid1(VALU_DEP_1)
	v_div_scale_f32 v1, null, v0, v0, 1.0
	v_rcp_f32_e32 v3, v1
	v_nop
	s_delay_alu instid0(TRANS32_DEP_1) | instskip(NEXT) | instid1(VALU_DEP_1)
	v_fma_f32 v2, -v1, v3, 1.0
	v_fmac_f32_e32 v3, v2, v3
	v_div_scale_f32 v4, vcc_lo, 1.0, v0, 1.0
	s_delay_alu instid0(VALU_DEP_1) | instskip(NEXT) | instid1(VALU_DEP_1)
	v_mul_f32_e32 v5, v4, v3
	v_fma_f32 v2, -v1, v5, v4
	s_delay_alu instid0(VALU_DEP_1) | instskip(SKIP_1) | instid1(VALU_DEP_2)
	v_fmac_f32_e32 v5, v2, v3
	v_xad_u32 v2, v91, -1, s4
	v_fma_f32 v1, -v1, v5, v4
	s_delay_alu instid0(VALU_DEP_1) | instskip(NEXT) | instid1(VALU_DEP_1)
	v_div_fmas_f32 v1, v1, v3, v5
	v_div_fixup_f32 v0, v1, v0, 1.0
	v_mov_b32_e32 v1, v91
	v_cmpx_lt_u32_e32 0x7f, v2
	s_cbranch_execz .LBB147_38
; %bb.30:
	s_delay_alu instid0(VALU_DEP_3) | instskip(NEXT) | instid1(VALU_DEP_1)
	v_dual_mov_b32 v1, v0 :: v_dual_lshrrev_b32 v2, 7, v2
	v_dual_mov_b32 v6, 0 :: v_dual_add_nc_u32 v3, -1, v2
	s_delay_alu instid0(VALU_DEP_1) | instskip(SKIP_1) | instid1(VALU_DEP_2)
	v_lshrrev_b32_e32 v4, 1, v3
	v_cmp_lt_u32_e32 vcc_lo, 13, v3
	v_add_nc_u32_e32 v3, 1, v4
	s_and_saveexec_b32 s3, vcc_lo
	s_cbranch_execz .LBB147_34
; %bb.31:
	s_delay_alu instid0(VALU_DEP_1)
	v_and_b32_e32 v4, -8, v3
	v_lshl_add_u32 v5, v91, 2, 0xe0
	s_mov_b32 s21, 0
	s_mov_b32 s24, 0
.LBB147_32:                             ; =>This Inner Loop Header: Depth=1
	ds_load_2addr_stride64_b32 v[6:7], v5 offset1:2
	ds_load_2addr_stride64_b32 v[8:9], v5 offset0:4 offset1:6
	ds_load_2addr_stride64_b32 v[10:11], v5 offset0:8 offset1:10
	ds_load_2addr_stride64_b32 v[12:13], v5 offset0:12 offset1:14
	ds_load_2addr_stride64_b32 v[14:15], v5 offset0:16 offset1:18
	ds_load_2addr_stride64_b32 v[16:17], v5 offset0:20 offset1:22
	ds_load_2addr_stride64_b32 v[18:19], v5 offset0:24 offset1:26
	ds_load_2addr_stride64_b32 v[20:21], v5 offset0:28 offset1:30
	s_add_co_i32 s24, s24, 16
	v_add_nc_u32_e32 v4, -8, v4
	s_wait_dscnt 0x7
	v_pk_mul_f32 v[6:7], v[0:1], v[6:7]
	s_wait_dscnt 0x6
	v_pk_mul_f32 v[8:9], v[0:1], v[8:9]
	;; [unrolled: 2-line block ×8, first 2 shown]
	ds_store_2addr_stride64_b32 v5, v6, v7 offset1:2
	ds_store_2addr_stride64_b32 v5, v8, v9 offset0:4 offset1:6
	ds_store_2addr_stride64_b32 v5, v10, v11 offset0:8 offset1:10
	;; [unrolled: 1-line block ×7, first 2 shown]
	v_mov_b32_e32 v6, s24
	v_cmp_eq_u32_e32 vcc_lo, 0, v4
	v_add_nc_u32_e32 v5, 0x2000, v5
	s_or_b32 s21, vcc_lo, s21
	s_delay_alu instid0(SALU_CYCLE_1)
	s_and_not1_b32 exec_lo, exec_lo, s21
	s_cbranch_execnz .LBB147_32
; %bb.33:
	s_or_b32 exec_lo, exec_lo, s21
.LBB147_34:
	s_delay_alu instid0(SALU_CYCLE_1) | instskip(NEXT) | instid1(VALU_DEP_1)
	s_or_b32 exec_lo, exec_lo, s3
	v_and_b32_e32 v3, 7, v3
	s_mov_b32 s21, 0
	s_mov_b32 s3, exec_lo
	s_delay_alu instid0(VALU_DEP_1)
	v_cmpx_ne_u32_e32 0, v3
	s_cbranch_execz .LBB147_37
; %bb.35:
	v_dual_lshlrev_b32 v4, 9, v6 :: v_dual_lshlrev_b32 v5, 2, v91
	s_delay_alu instid0(VALU_DEP_1)
	v_add3_u32 v4, v4, v5, 0xe0
.LBB147_36:                             ; =>This Inner Loop Header: Depth=1
	ds_load_2addr_stride64_b32 v[6:7], v4 offset1:2
	v_add_nc_u32_e32 v3, -1, v3
	s_delay_alu instid0(VALU_DEP_1)
	v_cmp_eq_u32_e32 vcc_lo, 0, v3
	s_or_b32 s21, vcc_lo, s21
	s_wait_dscnt 0x0
	v_pk_mul_f32 v[6:7], v[0:1], v[6:7]
	ds_store_2addr_stride64_b32 v4, v6, v7 offset1:2
	v_add_nc_u32_e32 v4, 0x400, v4
	s_and_not1_b32 exec_lo, exec_lo, s21
	s_cbranch_execnz .LBB147_36
.LBB147_37:
	s_or_b32 exec_lo, exec_lo, s3
	v_add_nc_u32_e32 v1, 1, v2
	s_delay_alu instid0(VALU_DEP_1) | instskip(NEXT) | instid1(VALU_DEP_1)
	v_and_b32_e32 v2, 0x3fffffe, v1
	v_cmp_ne_u32_e32 vcc_lo, v1, v2
	v_lshl_add_u32 v1, v2, 7, v91
	s_or_not1_b32 s3, vcc_lo, exec_lo
.LBB147_38:
	s_or_b32 exec_lo, exec_lo, s1
	s_delay_alu instid0(SALU_CYCLE_1)
	s_and_b32 exec_lo, exec_lo, s3
	s_cbranch_execz .LBB147_41
; %bb.39:
	v_lshl_add_u32 v2, v1, 2, 0xe0
	s_mov_b32 s1, 0
.LBB147_40:                             ; =>This Inner Loop Header: Depth=1
	ds_load_b32 v3, v2
	v_add_nc_u32_e32 v1, 0x80, v1
	s_delay_alu instid0(VALU_DEP_1)
	v_cmp_le_i32_e32 vcc_lo, s4, v1
	s_or_b32 s1, vcc_lo, s1
	s_wait_dscnt 0x0
	v_mul_f32_e32 v3, v0, v3
	ds_store_b32 v2, v3
	v_add_nc_u32_e32 v2, 0x200, v2
	s_and_not1_b32 exec_lo, exec_lo, s1
	s_cbranch_execnz .LBB147_40
.LBB147_41:
	s_or_b32 exec_lo, exec_lo, s0
	v_dual_mov_b32 v60, 0 :: v_dual_bitop2_b32 v76, 3, v91 bitop3:0x40
	v_dual_mov_b32 v63, 0 :: v_dual_mov_b32 v62, 0
	v_dual_mov_b32 v65, 0 :: v_dual_mov_b32 v64, 0
	;; [unrolled: 1-line block ×5, first 2 shown]
	s_wait_dscnt 0x0
	s_barrier_signal -1
	s_barrier_wait -1
	s_and_saveexec_b32 s1, s2
	s_cbranch_execz .LBB147_71
; %bb.42:
	scratch_load_b32 v2, off, off offset:156 th:TH_LOAD_LU ; 4-byte Folded Reload
	s_abs_i32 s6, s6
	v_dual_lshlrev_b32 v3, 3, v91 :: v_dual_mov_b32 v59, 0
	s_cvt_f32_u32 s0, s6
	v_lshlrev_b32_e32 v4, 5, v76
	s_ashr_i32 s21, s20, 31
	v_and_b32_e32 v0, 0x1f0, v22
	v_rcp_iflag_f32_e32 v1, s0
	v_dual_mov_b32 v3, v59 :: v_dual_bitop2_b32 v77, 24, v3 bitop3:0x40
	s_lshl_b64 s[18:19], s[18:19], 2
	s_lshl_b64 s[20:21], s[20:21], 1
	s_add_nc_u64 s[16:17], s[16:17], s[18:19]
	s_wait_kmcnt 0x0
	s_add_nc_u64 s[18:19], s[22:23], s[20:21]
	v_readfirstlane_b32 s0, v1
	v_mov_b32_e32 v1, v59
	v_lshl_or_b32 v4, v92, 7, v4
	s_sub_co_i32 s4, 0, s6
	v_mov_b32_e32 v79, v92
	s_mul_f32 s0, s0, 0x4f7ffffe
	v_add_nc_u64_e32 v[0:1], s[18:19], v[0:1]
	v_add_nc_u32_e32 v78, 0xe0, v4
	v_dual_mov_b32 v70, v59 :: v_dual_mov_b32 v71, v59
	s_cvt_u32_f32 s0, s0
	v_dual_mov_b32 v68, v59 :: v_dual_mov_b32 v69, v59
	v_dual_mov_b32 v66, v59 :: v_dual_mov_b32 v67, v59
	s_delay_alu instid0(SALU_CYCLE_1)
	s_mul_i32 s4, s4, s0
	v_dual_mov_b32 v64, v59 :: v_dual_mov_b32 v65, v59
	v_dual_mov_b32 v62, v59 :: v_dual_mov_b32 v63, v59
	;; [unrolled: 1-line block ×3, first 2 shown]
	s_sub_co_i32 s24, s33, s5
	s_mov_b32 s5, 0
	s_mul_hi_u32 s4, s0, s4
	s_ashr_i32 s3, s9, 31
	s_mov_b32 s2, s9
	s_add_co_i32 s9, s31, -1
	s_add_co_i32 s4, s0, s4
	s_wait_loadcnt 0x0
	v_and_b32_e32 v2, 0x7c, v2
	s_delay_alu instid0(VALU_DEP_1)
	v_add_nc_u64_e32 v[72:73], s[16:17], v[2:3]
	s_mov_b32 s16, s29
	s_mov_b32 s17, s5
	s_branch .LBB147_45
.LBB147_43:                             ;   in Loop: Header=BB147_45 Depth=1
	s_or_b32 exec_lo, exec_lo, s0
	s_wait_dscnt 0x1
	v_cvt_pk_bf16_f32 v23, v22, v23
	v_cvt_pk_bf16_f32 v22, v24, v25
	s_wait_dscnt 0x0
	v_cvt_pk_bf16_f32 v18, v18, v19
	v_cvt_pk_bf16_f32 v19, v20, v21
	s_wait_loadcnt 0x1
	v_pk_mul_bf16 v24, v23, v54
	v_pk_mul_bf16 v25, v22, v55
	;; [unrolled: 1-line block ×5, first 2 shown]
	s_delay_alu instid0(VALU_DEP_4)
	v_dual_lshlrev_b32 v21, 16, v24 :: v_dual_lshlrev_b32 v54, 16, v25
	v_and_b32_e32 v24, 0xffff0000, v24
	v_and_b32_e32 v25, 0xffff0000, v25
	v_lshlrev_b32_e32 v56, 16, v20
	v_and_b32_e32 v20, 0xffff0000, v20
	v_pk_mul_bf16 v46, v23, v46
	s_delay_alu instid0(VALU_DEP_4)
	v_dual_add_f32 v21, v21, v24 :: v_dual_add_f32 v24, v54, v25
	v_pk_mul_bf16 v25, v23, v50
	v_lshlrev_b32_e32 v50, 16, v55
	v_and_b32_e32 v54, 0xffff0000, v55
	v_add_f32_e32 v20, v56, v20
	v_add_f32_e32 v21, v24, v21
	v_pk_mul_bf16 v24, v22, v51
	v_lshlrev_b32_e32 v51, 16, v25
	v_and_b32_e32 v25, 0xffff0000, v25
	s_delay_alu instid0(VALU_DEP_4) | instskip(NEXT) | instid1(VALU_DEP_4)
	v_dual_add_f32 v50, v50, v54 :: v_dual_add_f32 v20, v20, v21
	v_lshlrev_b32_e32 v21, 16, v24
	v_and_b32_e32 v24, 0xffff0000, v24
	s_delay_alu instid0(VALU_DEP_4)
	v_add_f32_e32 v25, v51, v25
	v_pk_mul_bf16 v51, v19, v53
	v_add_f32_e32 v20, v50, v20
	v_and_b32_e32 v50, 0xffff0000, v52
	v_add_f32_e32 v21, v21, v24
	v_lshlrev_b32_e32 v24, 16, v52
	v_pk_mul_bf16 v47, v22, v47
	v_pk_mul_bf16 v48, v18, v48
	v_add_f32_e32 v60, v60, v20
	v_pk_mul_bf16 v38, v23, v38
	v_dual_add_f32 v24, v24, v50 :: v_dual_add_f32 v21, v21, v25
	v_dual_lshlrev_b32 v25, 16, v46 :: v_dual_lshlrev_b32 v50, 16, v47
	v_and_b32_e32 v46, 0xffff0000, v46
	v_and_b32_e32 v47, 0xffff0000, v47
	v_lshlrev_b32_e32 v52, 16, v51
	v_and_b32_e32 v51, 0xffff0000, v51
	v_pk_mul_bf16 v40, v18, v40
	s_delay_alu instid0(VALU_DEP_4) | instskip(SKIP_3) | instid1(VALU_DEP_4)
	v_dual_add_f32 v25, v25, v46 :: v_dual_add_f32 v46, v50, v47
	v_lshlrev_b32_e32 v47, 16, v48
	v_and_b32_e32 v48, 0xffff0000, v48
	v_add_f32_e32 v21, v24, v21
	v_dual_add_f32 v24, v52, v51 :: v_dual_add_f32 v20, v46, v25
	v_pk_mul_bf16 v41, v19, v41
	s_delay_alu instid0(VALU_DEP_4) | instskip(SKIP_1) | instid1(VALU_DEP_4)
	v_add_f32_e32 v25, v47, v48
	v_pk_mul_bf16 v35, v22, v35
	v_add_f32_e32 v21, v24, v21
	v_pk_mul_bf16 v24, v22, v39
	v_pk_mul_bf16 v39, v19, v49
	v_dual_add_f32 v20, v25, v20 :: v_dual_lshlrev_b32 v25, 16, v38
	v_and_b32_e32 v38, 0xffff0000, v38
	s_delay_alu instid0(VALU_DEP_3) | instskip(SKIP_2) | instid1(VALU_DEP_4)
	v_dual_lshlrev_b32 v46, 16, v24 :: v_dual_lshlrev_b32 v47, 16, v39
	v_and_b32_e32 v24, 0xffff0000, v24
	v_and_b32_e32 v39, 0xffff0000, v39
	v_dual_add_f32 v25, v25, v38 :: v_dual_lshlrev_b32 v38, 16, v40
	v_and_b32_e32 v40, 0xffff0000, v40
	s_delay_alu instid0(VALU_DEP_3) | instskip(SKIP_3) | instid1(VALU_DEP_4)
	v_dual_add_f32 v24, v46, v24 :: v_dual_add_f32 v39, v47, v39
	v_lshlrev_b32_e32 v46, 16, v35
	v_and_b32_e32 v35, 0xffff0000, v35
	v_pk_mul_bf16 v36, v18, v36
	v_add_f32_e32 v24, v24, v25
	v_pk_mul_bf16 v25, v23, v34
	v_dual_add_f32 v34, v38, v40 :: v_dual_lshlrev_b32 v38, 16, v41
	v_and_b32_e32 v40, 0xffff0000, v41
	s_delay_alu instid0(VALU_DEP_3) | instskip(NEXT) | instid1(VALU_DEP_3)
	v_dual_add_f32 v35, v46, v35 :: v_dual_lshlrev_b32 v41, 16, v25
	v_add_f32_e32 v24, v34, v24
	v_and_b32_e32 v25, 0xffff0000, v25
	s_delay_alu instid0(VALU_DEP_4)
	v_add_f32_e32 v34, v38, v40
	v_lshlrev_b32_e32 v38, 16, v36
	v_and_b32_e32 v36, 0xffff0000, v36
	v_pk_mul_bf16 v32, v18, v32
	v_add_f32_e32 v25, v41, v25
	v_dual_add_f32 v63, v63, v21 :: v_dual_add_f32 v21, v34, v24
	v_add_f32_e32 v20, v39, v20
	v_pk_mul_bf16 v26, v23, v26
	s_delay_alu instid0(VALU_DEP_4) | instskip(NEXT) | instid1(VALU_DEP_4)
	v_dual_add_f32 v24, v35, v25 :: v_dual_add_f32 v25, v38, v36
	v_add_f32_e32 v65, v65, v21
	v_pk_mul_bf16 v21, v23, v30
	v_pk_mul_bf16 v27, v22, v27
	;; [unrolled: 1-line block ×3, first 2 shown]
	v_add_f32_e32 v24, v25, v24
	v_pk_mul_bf16 v25, v22, v31
	v_lshlrev_b32_e32 v31, 16, v21
	v_and_b32_e32 v21, 0xffff0000, v21
	v_lshlrev_b32_e32 v35, 16, v27
	v_and_b32_e32 v27, 0xffff0000, v27
	v_lshlrev_b32_e32 v34, 16, v25
	v_and_b32_e32 v25, 0xffff0000, v25
	v_dual_add_f32 v21, v31, v21 :: v_dual_lshlrev_b32 v31, 16, v32
	v_and_b32_e32 v32, 0xffff0000, v32
	v_add_f32_e32 v62, v62, v20
	s_delay_alu instid0(VALU_DEP_4) | instskip(SKIP_3) | instid1(VALU_DEP_4)
	v_dual_add_f32 v25, v34, v25 :: v_dual_lshlrev_b32 v34, 16, v26
	v_and_b32_e32 v26, 0xffff0000, v26
	v_pk_mul_bf16 v20, v19, v37
	v_pk_mul_bf16 v33, v19, v33
	v_dual_add_f32 v21, v25, v21 :: v_dual_add_f32 v25, v31, v32
	s_delay_alu instid0(VALU_DEP_4) | instskip(NEXT) | instid1(VALU_DEP_3)
	v_dual_add_f32 v26, v34, v26 :: v_dual_add_f32 v27, v35, v27
	v_dual_lshlrev_b32 v31, 16, v28 :: v_dual_lshlrev_b32 v32, 16, v33
	v_and_b32_e32 v28, 0xffff0000, v28
	v_pk_mul_bf16 v29, v19, v29
	v_lshlrev_b32_e32 v30, 16, v20
	v_and_b32_e32 v20, 0xffff0000, v20
	v_and_b32_e32 v33, 0xffff0000, v33
	v_add_f32_e32 v26, v27, v26
	v_dual_add_f32 v27, v31, v28 :: v_dual_add_f32 v21, v25, v21
	v_lshlrev_b32_e32 v28, 16, v29
	v_and_b32_e32 v29, 0xffff0000, v29
	v_dual_add_f32 v20, v30, v20 :: v_dual_add_f32 v25, v32, v33
	s_delay_alu instid0(VALU_DEP_4) | instskip(SKIP_1) | instid1(VALU_DEP_4)
	v_add_f32_e32 v26, v27, v26
	v_pk_mul_bf16 v14, v23, v14
	v_add_f32_e32 v27, v28, v29
	v_pk_mul_bf16 v15, v22, v15
	v_dual_add_f32 v20, v20, v24 :: v_dual_add_f32 v21, v25, v21
	s_delay_alu instid0(VALU_DEP_4) | instskip(NEXT) | instid1(VALU_DEP_3)
	v_lshlrev_b32_e32 v25, 16, v14
	v_dual_add_f32 v24, v27, v26 :: v_dual_lshlrev_b32 v26, 16, v15
	v_and_b32_e32 v14, 0xffff0000, v14
	v_and_b32_e32 v15, 0xffff0000, v15
	v_add_f32_e32 v64, v64, v20
	v_pk_mul_bf16 v10, v23, v10
	v_pk_mul_bf16 v11, v22, v11
	s_delay_alu instid0(VALU_DEP_4) | instskip(SKIP_2) | instid1(VALU_DEP_4)
	v_dual_add_f32 v14, v25, v14 :: v_dual_add_f32 v15, v26, v15
	v_pk_mul_bf16 v16, v18, v16
	v_pk_mul_bf16 v12, v18, v12
	v_lshlrev_b32_e32 v20, 16, v11
	v_and_b32_e32 v11, 0xffff0000, v11
	v_add_f32_e32 v14, v15, v14
	v_lshlrev_b32_e32 v15, 16, v10
	v_and_b32_e32 v10, 0xffff0000, v10
	v_dual_add_f32 v67, v67, v21 :: v_dual_add_f32 v66, v66, v24
	v_pk_mul_bf16 v17, v19, v17
	v_lshlrev_b32_e32 v21, 16, v16
	v_and_b32_e32 v16, 0xffff0000, v16
	v_dual_add_f32 v10, v15, v10 :: v_dual_add_f32 v11, v20, v11
	s_delay_alu instid0(VALU_DEP_4) | instskip(SKIP_1) | instid1(VALU_DEP_3)
	v_dual_lshlrev_b32 v15, 16, v12 :: v_dual_lshlrev_b32 v20, 16, v17
	v_and_b32_e32 v12, 0xffff0000, v12
	v_dual_add_f32 v16, v21, v16 :: v_dual_add_f32 v10, v11, v10
	v_and_b32_e32 v17, 0xffff0000, v17
	v_pk_mul_bf16 v13, v19, v13
	s_delay_alu instid0(VALU_DEP_3) | instskip(SKIP_2) | instid1(VALU_DEP_3)
	v_dual_add_f32 v11, v15, v12 :: v_dual_add_f32 v12, v16, v14
	v_pk_mul_bf16 v6, v23, v6
	v_pk_mul_bf16 v7, v22, v7
	v_dual_add_f32 v14, v20, v17 :: v_dual_add_f32 v10, v11, v10
	s_delay_alu instid0(VALU_DEP_3)
	v_dual_lshlrev_b32 v11, 16, v13 :: v_dual_lshlrev_b32 v15, 16, v6
	v_and_b32_e32 v13, 0xffff0000, v13
	v_and_b32_e32 v6, 0xffff0000, v6
	v_lshlrev_b32_e32 v16, 16, v7
	v_and_b32_e32 v7, 0xffff0000, v7
	v_pk_mul_bf16 v8, v18, v8
	v_pk_mul_bf16 v2, v23, v2
	;; [unrolled: 1-line block ×3, first 2 shown]
	v_add_f32_e32 v11, v11, v13
	v_dual_add_f32 v6, v15, v6 :: v_dual_add_f32 v7, v16, v7
	s_delay_alu instid0(VALU_DEP_4) | instskip(SKIP_2) | instid1(VALU_DEP_4)
	v_dual_lshlrev_b32 v13, 16, v8 :: v_dual_lshlrev_b32 v15, 16, v2
	v_and_b32_e32 v8, 0xffff0000, v8
	v_and_b32_e32 v2, 0xffff0000, v2
	v_dual_add_f32 v17, v7, v6 :: v_dual_lshlrev_b32 v16, 16, v3
	v_and_b32_e32 v3, 0xffff0000, v3
	v_pk_mul_bf16 v9, v19, v9
	s_delay_alu instid0(VALU_DEP_4) | instskip(SKIP_1) | instid1(VALU_DEP_3)
	v_dual_add_f32 v13, v13, v8 :: v_dual_add_f32 v2, v15, v2
	v_pk_mul_bf16 v4, v18, v4
	v_dual_add_f32 v3, v16, v3 :: v_dual_lshlrev_b32 v15, 16, v9
	v_pk_mul_bf16 v20, v19, v5
	s_wait_loadcnt 0x0
	v_pk_mul_bf16 v6, v18, v44
	s_delay_alu instid0(VALU_DEP_3)
	v_dual_add_f32 v21, v3, v2 :: v_dual_lshlrev_b32 v24, 16, v4
	v_pk_mul_bf16 v2, v23, v42
	v_and_b32_e32 v23, 0xffff0000, v4
	v_pk_mul_bf16 v4, v22, v43
	v_pk_mul_bf16 v8, v19, v45
	v_and_b32_e32 v16, 0xffff0000, v9
	v_and_b32_e32 v3, 0xffff0000, v2
	v_lshlrev_b32_e32 v5, 16, v2
	v_and_b32_e32 v2, 0xffff0000, v4
	v_lshlrev_b32_e32 v4, 16, v4
	;; [unrolled: 2-line block ×4, first 2 shown]
	v_pk_add_f32 v[2:3], v[4:5], v[2:3]
	v_dual_add_f32 v18, v24, v23 :: v_dual_lshlrev_b32 v19, 16, v20
	v_and_b32_e32 v20, 0xffff0000, v20
	s_delay_alu instid0(VALU_DEP_4) | instskip(NEXT) | instid1(VALU_DEP_4)
	v_pk_add_f32 v[4:5], v[8:9], v[6:7]
	v_dual_add_f32 v2, v2, v3 :: v_dual_add_f32 v3, v13, v17
	s_delay_alu instid0(VALU_DEP_4) | instskip(NEXT) | instid1(VALU_DEP_2)
	v_dual_add_f32 v6, v15, v16 :: v_dual_add_f32 v7, v18, v21
	v_dual_add_f32 v8, v19, v20 :: v_dual_add_f32 v2, v5, v2
	;; [unrolled: 1-line block ×3, first 2 shown]
	s_delay_alu instid0(VALU_DEP_3) | instskip(NEXT) | instid1(VALU_DEP_3)
	v_add_f32_e32 v3, v6, v3
	v_add_f32_e32 v6, v8, v7
	s_delay_alu instid0(VALU_DEP_3) | instskip(NEXT) | instid1(VALU_DEP_3)
	v_dual_add_f32 v2, v4, v2 :: v_dual_add_f32 v69, v69, v5
	v_dual_add_f32 v68, v68, v9 :: v_dual_add_f32 v71, v71, v3
	s_delay_alu instid0(VALU_DEP_3) | instskip(NEXT) | instid1(VALU_DEP_3)
	v_add_f32_e32 v70, v70, v6
	v_add_f32_e32 v61, v61, v2
.LBB147_44:                             ;   in Loop: Header=BB147_45 Depth=1
	s_or_b32 exec_lo, exec_lo, s18
	v_add_nc_u32_e32 v79, 4, v79
	v_add_nc_u64_e32 v[72:73], 16, v[72:73]
	v_add_nc_u32_e32 v58, 0x80, v58
	v_add_nc_u32_e32 v78, 0x200, v78
	s_delay_alu instid0(VALU_DEP_4) | instskip(SKIP_1) | instid1(SALU_CYCLE_1)
	v_cmp_le_i32_e32 vcc_lo, s31, v79
	s_or_b32 s17, vcc_lo, s17
	s_and_not1_b32 exec_lo, exec_lo, s17
	s_cbranch_execz .LBB147_70
.LBB147_45:                             ; =>This Inner Loop Header: Depth=1
	v_mul_u64_e32 v[2:3], s[14:15], v[58:59]
	s_delay_alu instid0(VALU_DEP_1) | instskip(NEXT) | instid1(VALU_DEP_1)
	v_mul_lo_u32 v2, v3, s8
	v_dual_add_nc_u32 v4, 1, v3 :: v_dual_sub_nc_u32 v2, v58, v2
	s_delay_alu instid0(VALU_DEP_1) | instskip(SKIP_1) | instid1(VALU_DEP_2)
	v_subrev_nc_u32_e32 v5, s8, v2
	v_cmp_le_u32_e32 vcc_lo, s8, v2
	v_dual_cndmask_b32 v3, v3, v4 :: v_dual_cndmask_b32 v2, v2, v5
	s_delay_alu instid0(VALU_DEP_1) | instskip(NEXT) | instid1(VALU_DEP_2)
	v_add_nc_u32_e32 v4, 1, v3
	v_cmp_le_u32_e32 vcc_lo, s8, v2
	s_delay_alu instid0(VALU_DEP_2) | instskip(NEXT) | instid1(VALU_DEP_1)
	v_cndmask_b32_e32 v2, v3, v4, vcc_lo
	v_dual_mov_b32 v3, v59 :: v_dual_bitop2_b32 v2, s30, v2 bitop3:0x14
	s_delay_alu instid0(VALU_DEP_1) | instskip(NEXT) | instid1(VALU_DEP_1)
	v_subrev_nc_u32_e32 v6, s30, v2
	v_add_nc_u32_e32 v7, s13, v6
	v_cmp_lt_i32_e64 s0, s24, v6
	s_delay_alu instid0(VALU_DEP_2) | instskip(NEXT) | instid1(VALU_DEP_1)
	v_sub_nc_u32_e32 v2, 0, v7
	v_max_i32_e32 v2, v7, v2
	s_delay_alu instid0(VALU_DEP_1) | instskip(SKIP_1) | instid1(VALU_DEP_2)
	v_mul_u64_e32 v[4:5], s[4:5], v[2:3]
	v_ashrrev_i32_e32 v4, 31, v7
	v_mul_lo_u32 v3, v5, s6
	s_delay_alu instid0(VALU_DEP_1) | instskip(NEXT) | instid1(VALU_DEP_1)
	v_sub_nc_u32_e32 v2, v2, v3
	v_subrev_nc_u32_e32 v3, s6, v2
	v_cmp_le_u32_e32 vcc_lo, s6, v2
	s_delay_alu instid0(VALU_DEP_2) | instskip(NEXT) | instid1(VALU_DEP_1)
	v_cndmask_b32_e32 v2, v2, v3, vcc_lo
	v_subrev_nc_u32_e32 v3, s6, v2
	v_cmp_le_u32_e32 vcc_lo, s6, v2
	s_delay_alu instid0(VALU_DEP_2) | instskip(NEXT) | instid1(VALU_DEP_1)
	v_cndmask_b32_e32 v2, v2, v3, vcc_lo
	v_xor_b32_e32 v2, v2, v4
	s_delay_alu instid0(VALU_DEP_1) | instskip(NEXT) | instid1(VALU_DEP_1)
	v_sub_nc_u32_e32 v2, v2, v4
	v_cmp_eq_u32_e32 vcc_lo, 0, v2
	s_or_b32 s0, vcc_lo, s0
	s_delay_alu instid0(SALU_CYCLE_1)
	s_and_saveexec_b32 s18, s0
	s_cbranch_execz .LBB147_44
; %bb.46:                               ;   in Loop: Header=BB147_45 Depth=1
	global_load_b32 v2, v[72:73], off
	v_add_nc_u32_e32 v87, v77, v58
	v_cmp_eq_u32_e32 vcc_lo, s9, v79
	s_delay_alu instid0(VALU_DEP_2)
	v_or_b32_e32 v84, 3, v87
	v_or_b32_e32 v86, 2, v87
	;; [unrolled: 1-line block ×5, first 2 shown]
	v_dual_add_nc_u32 v85, 1, v87 :: v_dual_bitop2_b32 v82, 6, v87 bitop3:0x54
	s_wait_loadcnt 0x0
	v_ashrrev_i32_e32 v3, 31, v2
	s_delay_alu instid0(VALU_DEP_1) | instskip(NEXT) | instid1(VALU_DEP_1)
	v_mul_u64_e32 v[2:3], s[2:3], v[2:3]
	v_lshl_add_u64 v[42:43], v[2:3], 1, v[0:1]
	global_load_b128 v[2:5], v[42:43], off
	ds_load_2addr_b64 v[22:25], v78 offset1:1
	ds_load_2addr_b64 v[18:21], v78 offset0:2 offset1:3
	s_wait_xcnt 0x0
	s_and_saveexec_b32 s19, vcc_lo
	s_cbranch_execnz .LBB147_58
; %bb.47:                               ;   in Loop: Header=BB147_45 Depth=1
	s_or_b32 exec_lo, exec_lo, s19
	global_load_b128 v[6:9], v[42:43], off offset:512
	s_wait_xcnt 0x0
	s_and_saveexec_b32 s19, vcc_lo
	s_cbranch_execnz .LBB147_59
.LBB147_48:                             ;   in Loop: Header=BB147_45 Depth=1
	s_or_b32 exec_lo, exec_lo, s19
	global_load_b128 v[10:13], v[42:43], off offset:1024
	s_wait_xcnt 0x0
	s_and_saveexec_b32 s19, vcc_lo
	s_cbranch_execnz .LBB147_60
.LBB147_49:                             ;   in Loop: Header=BB147_45 Depth=1
	s_or_b32 exec_lo, exec_lo, s19
	global_load_b128 v[14:17], v[42:43], off offset:1536
	s_wait_xcnt 0x0
	s_and_saveexec_b32 s19, vcc_lo
	s_cbranch_execnz .LBB147_61
.LBB147_50:                             ;   in Loop: Header=BB147_45 Depth=1
	s_or_b32 exec_lo, exec_lo, s19
	global_load_b128 v[26:29], v[42:43], off offset:2048
	s_wait_xcnt 0x0
	s_and_saveexec_b32 s19, vcc_lo
	s_cbranch_execnz .LBB147_62
.LBB147_51:                             ;   in Loop: Header=BB147_45 Depth=1
	s_or_b32 exec_lo, exec_lo, s19
	global_load_b128 v[30:33], v[42:43], off offset:2560
	s_wait_xcnt 0x0
	s_and_saveexec_b32 s19, vcc_lo
	s_cbranch_execnz .LBB147_63
.LBB147_52:                             ;   in Loop: Header=BB147_45 Depth=1
	s_or_b32 exec_lo, exec_lo, s19
	global_load_b128 v[34:37], v[42:43], off offset:3072
	s_wait_xcnt 0x0
	s_and_saveexec_b32 s19, vcc_lo
	s_cbranch_execnz .LBB147_64
.LBB147_53:                             ;   in Loop: Header=BB147_45 Depth=1
	s_or_b32 exec_lo, exec_lo, s19
	global_load_b128 v[38:41], v[42:43], off offset:3584
	s_wait_xcnt 0x0
	s_and_saveexec_b32 s19, vcc_lo
	s_cbranch_execnz .LBB147_65
.LBB147_54:                             ;   in Loop: Header=BB147_45 Depth=1
	s_or_b32 exec_lo, exec_lo, s19
	global_load_b128 v[46:49], v[42:43], off offset:4096
	s_wait_xcnt 0x0
	s_and_saveexec_b32 s19, vcc_lo
	s_cbranch_execnz .LBB147_66
.LBB147_55:                             ;   in Loop: Header=BB147_45 Depth=1
	s_or_b32 exec_lo, exec_lo, s19
	global_load_b128 v[50:53], v[42:43], off offset:4608
	s_wait_xcnt 0x0
	s_and_saveexec_b32 s19, vcc_lo
	s_cbranch_execnz .LBB147_67
.LBB147_56:                             ;   in Loop: Header=BB147_45 Depth=1
	s_or_b32 exec_lo, exec_lo, s19
	global_load_b128 v[54:57], v[42:43], off offset:5120
	s_wait_xcnt 0x0
	s_and_saveexec_b32 s19, vcc_lo
	s_cbranch_execnz .LBB147_68
.LBB147_57:                             ;   in Loop: Header=BB147_45 Depth=1
	s_or_b32 exec_lo, exec_lo, s19
	global_load_b128 v[42:45], v[42:43], off offset:5632
	s_wait_xcnt 0x0
	s_and_saveexec_b32 s0, vcc_lo
	s_cbranch_execz .LBB147_43
	s_branch .LBB147_69
.LBB147_58:                             ;   in Loop: Header=BB147_45 Depth=1
	v_cmp_gt_i32_e64 s0, s29, v87
	s_wait_loadcnt 0x0
	v_dual_lshrrev_b32 v6, 16, v2 :: v_dual_lshrrev_b32 v8, 16, v4
	s_delay_alu instid0(VALU_DEP_2) | instskip(SKIP_1) | instid1(VALU_DEP_1)
	v_cndmask_b32_e64 v2, 0, v2, s0
	v_cmp_gt_i32_e64 s0, s16, v85
	v_dual_lshrrev_b32 v7, 16, v3 :: v_dual_cndmask_b32 v6, 0, v6, s0
	v_cmp_gt_i32_e64 s0, s29, v86
	s_delay_alu instid0(VALU_DEP_2) | instskip(NEXT) | instid1(VALU_DEP_2)
	v_perm_b32 v2, v6, v2, 0x5040100
	v_cndmask_b32_e64 v3, 0, v3, s0
	v_cmp_gt_i32_e64 s0, s16, v84
	s_delay_alu instid0(VALU_DEP_1) | instskip(SKIP_1) | instid1(VALU_DEP_1)
	v_cndmask_b32_e64 v7, 0, v7, s0
	v_cmp_gt_i32_e64 s0, s29, v83
	v_cndmask_b32_e64 v4, 0, v4, s0
	v_cmp_gt_i32_e64 s0, s16, v81
	v_lshrrev_b32_e32 v9, 16, v5
	v_perm_b32 v3, v7, v3, 0x5040100
	s_delay_alu instid0(VALU_DEP_3) | instskip(SKIP_1) | instid1(VALU_DEP_2)
	v_cndmask_b32_e64 v8, 0, v8, s0
	v_cmp_gt_i32_e64 s0, s29, v82
	v_perm_b32 v4, v8, v4, 0x5040100
	s_delay_alu instid0(VALU_DEP_2) | instskip(SKIP_1) | instid1(VALU_DEP_1)
	v_cndmask_b32_e64 v5, 0, v5, s0
	v_cmp_gt_i32_e64 s0, s16, v80
	v_cndmask_b32_e64 v9, 0, v9, s0
	s_delay_alu instid0(VALU_DEP_1)
	v_perm_b32 v5, v9, v5, 0x5040100
	s_or_b32 exec_lo, exec_lo, s19
	global_load_b128 v[6:9], v[42:43], off offset:512
	s_wait_xcnt 0x0
	s_and_saveexec_b32 s19, vcc_lo
	s_cbranch_execz .LBB147_48
.LBB147_59:                             ;   in Loop: Header=BB147_45 Depth=1
	v_cmp_gt_i32_e64 s0, s29, v87
	s_wait_loadcnt 0x0
	v_dual_lshrrev_b32 v10, 16, v6 :: v_dual_lshrrev_b32 v12, 16, v8
	s_delay_alu instid0(VALU_DEP_2) | instskip(SKIP_1) | instid1(VALU_DEP_1)
	v_cndmask_b32_e64 v6, 0, v6, s0
	v_cmp_gt_i32_e64 s0, s16, v85
	v_dual_lshrrev_b32 v11, 16, v7 :: v_dual_cndmask_b32 v10, 0, v10, s0
	v_cmp_gt_i32_e64 s0, s29, v86
	s_delay_alu instid0(VALU_DEP_2) | instskip(NEXT) | instid1(VALU_DEP_2)
	v_perm_b32 v6, v10, v6, 0x5040100
	v_cndmask_b32_e64 v7, 0, v7, s0
	v_cmp_gt_i32_e64 s0, s16, v84
	s_delay_alu instid0(VALU_DEP_1) | instskip(SKIP_1) | instid1(VALU_DEP_1)
	v_cndmask_b32_e64 v11, 0, v11, s0
	v_cmp_gt_i32_e64 s0, s29, v83
	v_cndmask_b32_e64 v8, 0, v8, s0
	v_cmp_gt_i32_e64 s0, s16, v81
	v_lshrrev_b32_e32 v13, 16, v9
	v_perm_b32 v7, v11, v7, 0x5040100
	s_delay_alu instid0(VALU_DEP_3) | instskip(SKIP_1) | instid1(VALU_DEP_2)
	v_cndmask_b32_e64 v12, 0, v12, s0
	v_cmp_gt_i32_e64 s0, s29, v82
	v_perm_b32 v8, v12, v8, 0x5040100
	s_delay_alu instid0(VALU_DEP_2) | instskip(SKIP_1) | instid1(VALU_DEP_1)
	v_cndmask_b32_e64 v9, 0, v9, s0
	v_cmp_gt_i32_e64 s0, s16, v80
	v_cndmask_b32_e64 v13, 0, v13, s0
	s_delay_alu instid0(VALU_DEP_1)
	v_perm_b32 v9, v13, v9, 0x5040100
	s_or_b32 exec_lo, exec_lo, s19
	global_load_b128 v[10:13], v[42:43], off offset:1024
	s_wait_xcnt 0x0
	s_and_saveexec_b32 s19, vcc_lo
	s_cbranch_execz .LBB147_49
.LBB147_60:                             ;   in Loop: Header=BB147_45 Depth=1
	v_cmp_gt_i32_e64 s0, s29, v87
	s_wait_loadcnt 0x0
	v_dual_lshrrev_b32 v14, 16, v10 :: v_dual_lshrrev_b32 v16, 16, v12
	s_delay_alu instid0(VALU_DEP_2) | instskip(SKIP_1) | instid1(VALU_DEP_1)
	v_cndmask_b32_e64 v10, 0, v10, s0
	v_cmp_gt_i32_e64 s0, s16, v85
	v_dual_lshrrev_b32 v15, 16, v11 :: v_dual_cndmask_b32 v14, 0, v14, s0
	v_cmp_gt_i32_e64 s0, s29, v86
	s_delay_alu instid0(VALU_DEP_2) | instskip(NEXT) | instid1(VALU_DEP_2)
	v_perm_b32 v10, v14, v10, 0x5040100
	v_cndmask_b32_e64 v11, 0, v11, s0
	v_cmp_gt_i32_e64 s0, s16, v84
	s_delay_alu instid0(VALU_DEP_1) | instskip(SKIP_1) | instid1(VALU_DEP_1)
	v_cndmask_b32_e64 v15, 0, v15, s0
	v_cmp_gt_i32_e64 s0, s29, v83
	v_cndmask_b32_e64 v12, 0, v12, s0
	v_cmp_gt_i32_e64 s0, s16, v81
	v_lshrrev_b32_e32 v17, 16, v13
	v_perm_b32 v11, v15, v11, 0x5040100
	s_delay_alu instid0(VALU_DEP_3) | instskip(SKIP_1) | instid1(VALU_DEP_2)
	v_cndmask_b32_e64 v16, 0, v16, s0
	v_cmp_gt_i32_e64 s0, s29, v82
	v_perm_b32 v12, v16, v12, 0x5040100
	s_delay_alu instid0(VALU_DEP_2) | instskip(SKIP_1) | instid1(VALU_DEP_1)
	v_cndmask_b32_e64 v13, 0, v13, s0
	v_cmp_gt_i32_e64 s0, s16, v80
	v_cndmask_b32_e64 v17, 0, v17, s0
	s_delay_alu instid0(VALU_DEP_1)
	v_perm_b32 v13, v17, v13, 0x5040100
	s_or_b32 exec_lo, exec_lo, s19
	global_load_b128 v[14:17], v[42:43], off offset:1536
	s_wait_xcnt 0x0
	s_and_saveexec_b32 s19, vcc_lo
	s_cbranch_execz .LBB147_50
.LBB147_61:                             ;   in Loop: Header=BB147_45 Depth=1
	v_cmp_gt_i32_e64 s0, s29, v87
	s_wait_loadcnt 0x0
	v_dual_lshrrev_b32 v26, 16, v14 :: v_dual_lshrrev_b32 v28, 16, v16
	s_delay_alu instid0(VALU_DEP_2) | instskip(SKIP_1) | instid1(VALU_DEP_1)
	v_cndmask_b32_e64 v14, 0, v14, s0
	v_cmp_gt_i32_e64 s0, s16, v85
	v_dual_lshrrev_b32 v27, 16, v15 :: v_dual_cndmask_b32 v26, 0, v26, s0
	v_cmp_gt_i32_e64 s0, s29, v86
	s_delay_alu instid0(VALU_DEP_2) | instskip(NEXT) | instid1(VALU_DEP_2)
	v_perm_b32 v14, v26, v14, 0x5040100
	v_cndmask_b32_e64 v15, 0, v15, s0
	v_cmp_gt_i32_e64 s0, s16, v84
	s_delay_alu instid0(VALU_DEP_1) | instskip(SKIP_1) | instid1(VALU_DEP_1)
	v_cndmask_b32_e64 v27, 0, v27, s0
	v_cmp_gt_i32_e64 s0, s29, v83
	v_cndmask_b32_e64 v16, 0, v16, s0
	v_cmp_gt_i32_e64 s0, s16, v81
	v_lshrrev_b32_e32 v29, 16, v17
	v_perm_b32 v15, v27, v15, 0x5040100
	s_delay_alu instid0(VALU_DEP_3) | instskip(SKIP_1) | instid1(VALU_DEP_2)
	v_cndmask_b32_e64 v28, 0, v28, s0
	v_cmp_gt_i32_e64 s0, s29, v82
	v_perm_b32 v16, v28, v16, 0x5040100
	s_delay_alu instid0(VALU_DEP_2) | instskip(SKIP_1) | instid1(VALU_DEP_1)
	v_cndmask_b32_e64 v17, 0, v17, s0
	v_cmp_gt_i32_e64 s0, s16, v80
	v_cndmask_b32_e64 v29, 0, v29, s0
	s_delay_alu instid0(VALU_DEP_1)
	v_perm_b32 v17, v29, v17, 0x5040100
	s_or_b32 exec_lo, exec_lo, s19
	global_load_b128 v[26:29], v[42:43], off offset:2048
	s_wait_xcnt 0x0
	s_and_saveexec_b32 s19, vcc_lo
	s_cbranch_execz .LBB147_51
.LBB147_62:                             ;   in Loop: Header=BB147_45 Depth=1
	v_cmp_gt_i32_e64 s0, s29, v87
	s_wait_loadcnt 0x0
	v_dual_lshrrev_b32 v30, 16, v26 :: v_dual_lshrrev_b32 v32, 16, v28
	s_delay_alu instid0(VALU_DEP_2) | instskip(SKIP_1) | instid1(VALU_DEP_1)
	v_cndmask_b32_e64 v26, 0, v26, s0
	v_cmp_gt_i32_e64 s0, s16, v85
	v_dual_lshrrev_b32 v31, 16, v27 :: v_dual_cndmask_b32 v30, 0, v30, s0
	v_cmp_gt_i32_e64 s0, s29, v86
	s_delay_alu instid0(VALU_DEP_2) | instskip(NEXT) | instid1(VALU_DEP_2)
	v_perm_b32 v26, v30, v26, 0x5040100
	v_cndmask_b32_e64 v27, 0, v27, s0
	v_cmp_gt_i32_e64 s0, s16, v84
	s_delay_alu instid0(VALU_DEP_1) | instskip(SKIP_1) | instid1(VALU_DEP_1)
	v_cndmask_b32_e64 v31, 0, v31, s0
	v_cmp_gt_i32_e64 s0, s29, v83
	v_cndmask_b32_e64 v28, 0, v28, s0
	v_cmp_gt_i32_e64 s0, s16, v81
	v_lshrrev_b32_e32 v33, 16, v29
	v_perm_b32 v27, v31, v27, 0x5040100
	s_delay_alu instid0(VALU_DEP_3) | instskip(SKIP_1) | instid1(VALU_DEP_2)
	v_cndmask_b32_e64 v32, 0, v32, s0
	v_cmp_gt_i32_e64 s0, s29, v82
	v_perm_b32 v28, v32, v28, 0x5040100
	s_delay_alu instid0(VALU_DEP_2) | instskip(SKIP_1) | instid1(VALU_DEP_1)
	v_cndmask_b32_e64 v29, 0, v29, s0
	v_cmp_gt_i32_e64 s0, s16, v80
	v_cndmask_b32_e64 v33, 0, v33, s0
	s_delay_alu instid0(VALU_DEP_1)
	v_perm_b32 v29, v33, v29, 0x5040100
	s_or_b32 exec_lo, exec_lo, s19
	global_load_b128 v[30:33], v[42:43], off offset:2560
	s_wait_xcnt 0x0
	s_and_saveexec_b32 s19, vcc_lo
	s_cbranch_execz .LBB147_52
.LBB147_63:                             ;   in Loop: Header=BB147_45 Depth=1
	v_cmp_gt_i32_e64 s0, s29, v87
	s_wait_loadcnt 0x0
	v_dual_lshrrev_b32 v34, 16, v30 :: v_dual_lshrrev_b32 v36, 16, v32
	s_delay_alu instid0(VALU_DEP_2) | instskip(SKIP_1) | instid1(VALU_DEP_1)
	v_cndmask_b32_e64 v30, 0, v30, s0
	v_cmp_gt_i32_e64 s0, s16, v85
	v_dual_lshrrev_b32 v35, 16, v31 :: v_dual_cndmask_b32 v34, 0, v34, s0
	v_cmp_gt_i32_e64 s0, s29, v86
	s_delay_alu instid0(VALU_DEP_2) | instskip(NEXT) | instid1(VALU_DEP_2)
	v_perm_b32 v30, v34, v30, 0x5040100
	v_cndmask_b32_e64 v31, 0, v31, s0
	v_cmp_gt_i32_e64 s0, s16, v84
	s_delay_alu instid0(VALU_DEP_1) | instskip(SKIP_1) | instid1(VALU_DEP_1)
	v_cndmask_b32_e64 v35, 0, v35, s0
	v_cmp_gt_i32_e64 s0, s29, v83
	v_cndmask_b32_e64 v32, 0, v32, s0
	v_cmp_gt_i32_e64 s0, s16, v81
	v_lshrrev_b32_e32 v37, 16, v33
	v_perm_b32 v31, v35, v31, 0x5040100
	s_delay_alu instid0(VALU_DEP_3) | instskip(SKIP_1) | instid1(VALU_DEP_2)
	v_cndmask_b32_e64 v36, 0, v36, s0
	v_cmp_gt_i32_e64 s0, s29, v82
	v_perm_b32 v32, v36, v32, 0x5040100
	s_delay_alu instid0(VALU_DEP_2) | instskip(SKIP_1) | instid1(VALU_DEP_1)
	v_cndmask_b32_e64 v33, 0, v33, s0
	v_cmp_gt_i32_e64 s0, s16, v80
	v_cndmask_b32_e64 v37, 0, v37, s0
	s_delay_alu instid0(VALU_DEP_1)
	v_perm_b32 v33, v37, v33, 0x5040100
	s_or_b32 exec_lo, exec_lo, s19
	global_load_b128 v[34:37], v[42:43], off offset:3072
	s_wait_xcnt 0x0
	s_and_saveexec_b32 s19, vcc_lo
	s_cbranch_execz .LBB147_53
.LBB147_64:                             ;   in Loop: Header=BB147_45 Depth=1
	v_cmp_gt_i32_e64 s0, s29, v87
	s_wait_loadcnt 0x0
	v_dual_lshrrev_b32 v38, 16, v34 :: v_dual_lshrrev_b32 v40, 16, v36
	s_delay_alu instid0(VALU_DEP_2) | instskip(SKIP_1) | instid1(VALU_DEP_1)
	v_cndmask_b32_e64 v34, 0, v34, s0
	v_cmp_gt_i32_e64 s0, s16, v85
	v_dual_lshrrev_b32 v39, 16, v35 :: v_dual_cndmask_b32 v38, 0, v38, s0
	v_cmp_gt_i32_e64 s0, s29, v86
	s_delay_alu instid0(VALU_DEP_2) | instskip(NEXT) | instid1(VALU_DEP_2)
	v_perm_b32 v34, v38, v34, 0x5040100
	v_cndmask_b32_e64 v35, 0, v35, s0
	v_cmp_gt_i32_e64 s0, s16, v84
	s_delay_alu instid0(VALU_DEP_1) | instskip(SKIP_1) | instid1(VALU_DEP_1)
	v_cndmask_b32_e64 v39, 0, v39, s0
	v_cmp_gt_i32_e64 s0, s29, v83
	v_cndmask_b32_e64 v36, 0, v36, s0
	v_cmp_gt_i32_e64 s0, s16, v81
	v_lshrrev_b32_e32 v41, 16, v37
	v_perm_b32 v35, v39, v35, 0x5040100
	s_delay_alu instid0(VALU_DEP_3) | instskip(SKIP_1) | instid1(VALU_DEP_2)
	v_cndmask_b32_e64 v40, 0, v40, s0
	v_cmp_gt_i32_e64 s0, s29, v82
	v_perm_b32 v36, v40, v36, 0x5040100
	s_delay_alu instid0(VALU_DEP_2) | instskip(SKIP_1) | instid1(VALU_DEP_1)
	v_cndmask_b32_e64 v37, 0, v37, s0
	v_cmp_gt_i32_e64 s0, s16, v80
	v_cndmask_b32_e64 v41, 0, v41, s0
	s_delay_alu instid0(VALU_DEP_1)
	v_perm_b32 v37, v41, v37, 0x5040100
	s_or_b32 exec_lo, exec_lo, s19
	global_load_b128 v[38:41], v[42:43], off offset:3584
	s_wait_xcnt 0x0
	s_and_saveexec_b32 s19, vcc_lo
	s_cbranch_execz .LBB147_54
.LBB147_65:                             ;   in Loop: Header=BB147_45 Depth=1
	v_cmp_gt_i32_e64 s0, s29, v87
	s_wait_loadcnt 0x0
	s_delay_alu instid0(VALU_DEP_1) | instskip(SKIP_1) | instid1(VALU_DEP_1)
	v_dual_lshrrev_b32 v44, 16, v38 :: v_dual_cndmask_b32 v38, 0, v38, s0
	v_cmp_gt_i32_e64 s0, s16, v85
	v_dual_lshrrev_b32 v45, 16, v39 :: v_dual_cndmask_b32 v44, 0, v44, s0
	v_cmp_gt_i32_e64 s0, s29, v86
	s_delay_alu instid0(VALU_DEP_2) | instskip(NEXT) | instid1(VALU_DEP_2)
	v_perm_b32 v38, v44, v38, 0x5040100
	v_cndmask_b32_e64 v39, 0, v39, s0
	v_cmp_gt_i32_e64 s0, s16, v84
	s_delay_alu instid0(VALU_DEP_1) | instskip(SKIP_2) | instid1(VALU_DEP_3)
	v_cndmask_b32_e64 v45, 0, v45, s0
	v_cmp_gt_i32_e64 s0, s29, v83
	v_lshrrev_b32_e32 v46, 16, v40
	v_perm_b32 v39, v45, v39, 0x5040100
	s_delay_alu instid0(VALU_DEP_3) | instskip(SKIP_1) | instid1(VALU_DEP_1)
	v_cndmask_b32_e64 v40, 0, v40, s0
	v_cmp_gt_i32_e64 s0, s16, v81
	v_dual_lshrrev_b32 v47, 16, v41 :: v_dual_cndmask_b32 v46, 0, v46, s0
	v_cmp_gt_i32_e64 s0, s29, v82
	s_delay_alu instid0(VALU_DEP_2) | instskip(NEXT) | instid1(VALU_DEP_2)
	v_perm_b32 v40, v46, v40, 0x5040100
	v_cndmask_b32_e64 v41, 0, v41, s0
	v_cmp_gt_i32_e64 s0, s16, v80
	s_delay_alu instid0(VALU_DEP_1) | instskip(NEXT) | instid1(VALU_DEP_1)
	v_cndmask_b32_e64 v47, 0, v47, s0
	v_perm_b32 v41, v47, v41, 0x5040100
	s_or_b32 exec_lo, exec_lo, s19
	global_load_b128 v[46:49], v[42:43], off offset:4096
	s_wait_xcnt 0x0
	s_and_saveexec_b32 s19, vcc_lo
	s_cbranch_execz .LBB147_55
.LBB147_66:                             ;   in Loop: Header=BB147_45 Depth=1
	v_cmp_gt_i32_e64 s0, s29, v87
	s_wait_loadcnt 0x0
	s_delay_alu instid0(VALU_DEP_1) | instskip(SKIP_1) | instid1(VALU_DEP_1)
	v_dual_lshrrev_b32 v44, 16, v46 :: v_dual_cndmask_b32 v45, 0, v46, s0
	v_cmp_gt_i32_e64 s0, s16, v85
	v_dual_lshrrev_b32 v46, 16, v47 :: v_dual_cndmask_b32 v44, 0, v44, s0
	v_cmp_gt_i32_e64 s0, s29, v86
	s_delay_alu instid0(VALU_DEP_1) | instskip(SKIP_1) | instid1(VALU_DEP_1)
	v_cndmask_b32_e64 v47, 0, v47, s0
	v_cmp_gt_i32_e64 s0, s16, v84
	v_cndmask_b32_e64 v50, 0, v46, s0
	v_cmp_gt_i32_e64 s0, s29, v83
	v_lshrrev_b32_e32 v46, 16, v48
	s_delay_alu instid0(VALU_DEP_3) | instskip(NEXT) | instid1(VALU_DEP_3)
	v_perm_b32 v47, v50, v47, 0x5040100
	v_cndmask_b32_e64 v48, 0, v48, s0
	v_cmp_gt_i32_e64 s0, s16, v81
	s_delay_alu instid0(VALU_DEP_1) | instskip(SKIP_2) | instid1(VALU_DEP_3)
	v_dual_lshrrev_b32 v51, 16, v49 :: v_dual_cndmask_b32 v52, 0, v46, s0
	v_cmp_gt_i32_e64 s0, s29, v82
	v_perm_b32 v46, v44, v45, 0x5040100
	v_perm_b32 v48, v52, v48, 0x5040100
	s_delay_alu instid0(VALU_DEP_3) | instskip(SKIP_1) | instid1(VALU_DEP_1)
	v_cndmask_b32_e64 v49, 0, v49, s0
	v_cmp_gt_i32_e64 s0, s16, v80
	v_cndmask_b32_e64 v51, 0, v51, s0
	s_delay_alu instid0(VALU_DEP_1)
	v_perm_b32 v49, v51, v49, 0x5040100
	s_or_b32 exec_lo, exec_lo, s19
	global_load_b128 v[50:53], v[42:43], off offset:4608
	s_wait_xcnt 0x0
	s_and_saveexec_b32 s19, vcc_lo
	s_cbranch_execz .LBB147_56
.LBB147_67:                             ;   in Loop: Header=BB147_45 Depth=1
	v_cmp_gt_i32_e64 s0, s29, v87
	s_wait_loadcnt 0x0
	s_delay_alu instid0(VALU_DEP_1) | instskip(SKIP_1) | instid1(VALU_DEP_1)
	v_dual_lshrrev_b32 v44, 16, v50 :: v_dual_cndmask_b32 v45, 0, v50, s0
	v_cmp_gt_i32_e64 s0, s16, v85
	v_dual_lshrrev_b32 v50, 16, v51 :: v_dual_cndmask_b32 v44, 0, v44, s0
	v_cmp_gt_i32_e64 s0, s29, v86
	s_delay_alu instid0(VALU_DEP_1) | instskip(SKIP_1) | instid1(VALU_DEP_1)
	v_cndmask_b32_e64 v51, 0, v51, s0
	v_cmp_gt_i32_e64 s0, s16, v84
	v_cndmask_b32_e64 v54, 0, v50, s0
	v_cmp_gt_i32_e64 s0, s29, v83
	v_lshrrev_b32_e32 v50, 16, v52
	s_delay_alu instid0(VALU_DEP_3) | instskip(NEXT) | instid1(VALU_DEP_3)
	v_perm_b32 v51, v54, v51, 0x5040100
	v_cndmask_b32_e64 v52, 0, v52, s0
	v_cmp_gt_i32_e64 s0, s16, v81
	s_delay_alu instid0(VALU_DEP_1) | instskip(SKIP_2) | instid1(VALU_DEP_3)
	v_dual_lshrrev_b32 v55, 16, v53 :: v_dual_cndmask_b32 v56, 0, v50, s0
	v_cmp_gt_i32_e64 s0, s29, v82
	v_perm_b32 v50, v44, v45, 0x5040100
	v_perm_b32 v52, v56, v52, 0x5040100
	s_delay_alu instid0(VALU_DEP_3) | instskip(SKIP_1) | instid1(VALU_DEP_1)
	v_cndmask_b32_e64 v53, 0, v53, s0
	v_cmp_gt_i32_e64 s0, s16, v80
	v_cndmask_b32_e64 v55, 0, v55, s0
	s_delay_alu instid0(VALU_DEP_1)
	v_perm_b32 v53, v55, v53, 0x5040100
	s_or_b32 exec_lo, exec_lo, s19
	global_load_b128 v[54:57], v[42:43], off offset:5120
	s_wait_xcnt 0x0
	s_and_saveexec_b32 s19, vcc_lo
	s_cbranch_execz .LBB147_57
.LBB147_68:                             ;   in Loop: Header=BB147_45 Depth=1
	v_cmp_gt_i32_e64 s0, s29, v87
	s_wait_loadcnt 0x0
	s_delay_alu instid0(VALU_DEP_1) | instskip(SKIP_1) | instid1(VALU_DEP_1)
	v_dual_lshrrev_b32 v44, 16, v54 :: v_dual_cndmask_b32 v45, 0, v54, s0
	v_cmp_gt_i32_e64 s0, s16, v85
	v_dual_lshrrev_b32 v54, 16, v55 :: v_dual_cndmask_b32 v44, 0, v44, s0
	v_cmp_gt_i32_e64 s0, s29, v86
	s_delay_alu instid0(VALU_DEP_1) | instskip(SKIP_1) | instid1(VALU_DEP_1)
	v_cndmask_b32_e64 v55, 0, v55, s0
	v_cmp_gt_i32_e64 s0, s16, v84
	v_cndmask_b32_e64 v88, 0, v54, s0
	v_cmp_gt_i32_e64 s0, s29, v83
	v_lshrrev_b32_e32 v54, 16, v56
	s_delay_alu instid0(VALU_DEP_3) | instskip(NEXT) | instid1(VALU_DEP_3)
	v_perm_b32 v55, v88, v55, 0x5040100
	v_cndmask_b32_e64 v56, 0, v56, s0
	v_cmp_gt_i32_e64 s0, s16, v81
	s_delay_alu instid0(VALU_DEP_1) | instskip(SKIP_2) | instid1(VALU_DEP_3)
	v_dual_lshrrev_b32 v89, 16, v57 :: v_dual_cndmask_b32 v90, 0, v54, s0
	v_cmp_gt_i32_e64 s0, s29, v82
	v_perm_b32 v54, v44, v45, 0x5040100
	v_perm_b32 v56, v90, v56, 0x5040100
	s_delay_alu instid0(VALU_DEP_3) | instskip(SKIP_1) | instid1(VALU_DEP_1)
	v_cndmask_b32_e64 v57, 0, v57, s0
	v_cmp_gt_i32_e64 s0, s16, v80
	v_cndmask_b32_e64 v89, 0, v89, s0
	s_delay_alu instid0(VALU_DEP_1)
	v_perm_b32 v57, v89, v57, 0x5040100
	s_or_b32 exec_lo, exec_lo, s19
	global_load_b128 v[42:45], v[42:43], off offset:5632
	s_wait_xcnt 0x0
	s_and_saveexec_b32 s0, vcc_lo
	s_cbranch_execz .LBB147_43
.LBB147_69:                             ;   in Loop: Header=BB147_45 Depth=1
	v_cmp_gt_i32_e32 vcc_lo, s29, v87
	s_wait_loadcnt 0x0
	v_dual_lshrrev_b32 v88, 16, v42 :: v_dual_cndmask_b32 v42, 0, v42, vcc_lo
	v_cmp_gt_i32_e32 vcc_lo, s16, v85
	s_delay_alu instid0(VALU_DEP_2) | instskip(SKIP_2) | instid1(VALU_DEP_3)
	v_dual_lshrrev_b32 v87, 16, v43 :: v_dual_cndmask_b32 v85, 0, v88, vcc_lo
	v_cmp_gt_i32_e32 vcc_lo, s29, v86
	v_lshrrev_b32_e32 v86, 16, v44
	v_perm_b32 v42, v85, v42, 0x5040100
	v_cndmask_b32_e32 v43, 0, v43, vcc_lo
	v_cmp_gt_i32_e32 vcc_lo, s16, v84
	v_cndmask_b32_e32 v84, 0, v87, vcc_lo
	v_cmp_gt_i32_e32 vcc_lo, s29, v83
	v_cndmask_b32_e32 v44, 0, v44, vcc_lo
	v_cmp_gt_i32_e32 vcc_lo, s16, v81
	v_lshrrev_b32_e32 v83, 16, v45
	v_perm_b32 v43, v84, v43, 0x5040100
	v_cndmask_b32_e32 v81, 0, v86, vcc_lo
	v_cmp_gt_i32_e32 vcc_lo, s29, v82
	s_delay_alu instid0(VALU_DEP_2) | instskip(SKIP_3) | instid1(VALU_DEP_1)
	v_perm_b32 v44, v81, v44, 0x5040100
	v_cndmask_b32_e32 v45, 0, v45, vcc_lo
	v_cmp_gt_i32_e32 vcc_lo, s16, v80
	v_cndmask_b32_e32 v80, 0, v83, vcc_lo
	v_perm_b32 v45, v80, v45, 0x5040100
	s_branch .LBB147_43
.LBB147_70:
	s_or_b32 exec_lo, exec_lo, s17
.LBB147_71:
	s_delay_alu instid0(SALU_CYCLE_1)
	s_or_b32 exec_lo, exec_lo, s1
	ds_bpermute_b32 v8, v75, v62
	ds_bpermute_b32 v9, v75, v63
	ds_bpermute_b32 v0, v75, v70
	ds_bpermute_b32 v1, v75, v71
	ds_bpermute_b32 v2, v75, v68
	ds_bpermute_b32 v3, v75, v69
	ds_bpermute_b32 v4, v75, v66
	ds_bpermute_b32 v5, v75, v67
	ds_bpermute_b32 v6, v75, v64
	ds_bpermute_b32 v7, v75, v65
	ds_bpermute_b32 v10, v75, v60
	ds_bpermute_b32 v11, v75, v61
	v_and_b32_e32 v15, 0x3c3, v91
	s_mov_b32 s0, exec_lo
	s_wait_dscnt 0xa
	v_pk_add_f32 v[18:19], v[62:63], v[8:9]
	scratch_load_b32 v8, off, off           ; 4-byte Folded Reload
	s_wait_dscnt 0x8
	v_pk_add_f32 v[0:1], v[70:71], v[0:1]
	s_wait_loadcnt_dscnt 0x0
	v_pk_add_f32 v[2:3], v[68:69], v[2:3]
	ds_bpermute_b32 v26, v74, v18
	v_pk_add_f32 v[4:5], v[66:67], v[4:5]
	ds_bpermute_b32 v27, v74, v19
	;; [unrolled: 2-line block ×4, first 2 shown]
	ds_bpermute_b32 v20, v74, v2
	ds_bpermute_b32 v21, v74, v3
	;; [unrolled: 1-line block ×8, first 2 shown]
	s_barrier_signal -1
	s_barrier_wait -1
	s_wait_dscnt 0x0
	v_pk_add_f32 v[4:5], v[4:5], v[22:23]
	v_and_b32_e32 v14, 28, v8
	v_pk_add_f32 v[8:9], v[0:1], v[6:7]
	v_pk_add_f32 v[6:7], v[2:3], v[20:21]
	;; [unrolled: 1-line block ×4, first 2 shown]
	v_cmpx_ne_u32_e32 64, v15
	s_xor_b32 s0, exec_lo, s0
	s_delay_alu instid0(SALU_CYCLE_1)
	s_or_saveexec_b32 s0, s0
	v_pk_add_f32 v[10:11], v[10:11], v[12:13]
	scratch_load_b32 v12, off, off th:TH_LOAD_LU ; 4-byte Folded Reload
	v_add_nc_u32_e32 v13, 0xe0, v14
	v_mul_u32_u24_e32 v14, 0x180, v92
	s_wait_loadcnt 0x0
	v_lshrrev_b32_e32 v12, 2, v12
	s_xor_b32 exec_lo, exec_lo, s0
	s_cbranch_execz .LBB147_73
; %bb.72:
	v_add_nc_u32_e32 v15, v13, v14
	s_delay_alu instid0(VALU_DEP_1)
	v_add_nc_u32_e32 v16, 0xfffffd00, v15
	v_add_nc_u32_e32 v17, 0xfffffd20, v15
	;; [unrolled: 1-line block ×12, first 2 shown]
	ds_store_b32 v16, v8
	ds_store_b32 v17, v9
	ds_store_b32 v18, v6
	ds_store_b32 v19, v7
	ds_store_b32 v20, v4
	ds_store_b32 v21, v5
	ds_store_b32 v22, v2
	ds_store_b32 v23, v3
	ds_store_b32 v24, v0
	ds_store_b32 v25, v1
	ds_store_b32 v26, v10
	ds_store_b32 v15, v11
.LBB147_73:
	s_or_b32 exec_lo, exec_lo, s0
	s_delay_alu instid0(VALU_DEP_1)
	v_lshlrev_b32_e32 v12, 2, v12
	s_mov_b32 s1, exec_lo
	v_cmp_eq_u32_e32 vcc_lo, 0, v76
	s_wait_dscnt 0x0
	s_barrier_signal -1
	v_add3_u32 v12, 0xe0, v14, v12
	s_barrier_wait -1
	v_cmpx_gt_u32_e32 64, v91
	s_cbranch_execz .LBB147_88
; %bb.74:
	s_and_saveexec_b32 s0, vcc_lo
	s_cbranch_execnz .LBB147_108
; %bb.75:
	s_or_b32 exec_lo, exec_lo, s0
	s_and_saveexec_b32 s0, vcc_lo
	s_cbranch_execnz .LBB147_109
.LBB147_76:
	s_or_b32 exec_lo, exec_lo, s0
	s_and_saveexec_b32 s0, vcc_lo
	s_cbranch_execnz .LBB147_110
.LBB147_77:
	s_or_b32 exec_lo, exec_lo, s0
	s_and_saveexec_b32 s0, vcc_lo
	s_cbranch_execnz .LBB147_111
.LBB147_78:
	s_or_b32 exec_lo, exec_lo, s0
	s_and_saveexec_b32 s0, vcc_lo
	s_cbranch_execnz .LBB147_112
.LBB147_79:
	s_or_b32 exec_lo, exec_lo, s0
	s_and_saveexec_b32 s0, vcc_lo
	s_cbranch_execnz .LBB147_113
.LBB147_80:
	s_or_b32 exec_lo, exec_lo, s0
	s_and_saveexec_b32 s0, vcc_lo
	s_cbranch_execnz .LBB147_114
.LBB147_81:
	s_or_b32 exec_lo, exec_lo, s0
	s_and_saveexec_b32 s0, vcc_lo
	s_cbranch_execnz .LBB147_115
.LBB147_82:
	s_or_b32 exec_lo, exec_lo, s0
	s_and_saveexec_b32 s0, vcc_lo
	s_cbranch_execnz .LBB147_116
.LBB147_83:
	s_or_b32 exec_lo, exec_lo, s0
	s_and_saveexec_b32 s0, vcc_lo
	s_cbranch_execnz .LBB147_117
.LBB147_84:
	s_or_b32 exec_lo, exec_lo, s0
	s_and_saveexec_b32 s0, vcc_lo
	s_cbranch_execnz .LBB147_118
.LBB147_85:
	s_or_b32 exec_lo, exec_lo, s0
	s_and_saveexec_b32 s0, vcc_lo
	s_cbranch_execz .LBB147_87
.LBB147_86:
	ds_load_b32 v14, v12 offset:352
	s_wait_dscnt 0x0
	v_add_f32_e32 v11, v11, v14
.LBB147_87:
	s_or_b32 exec_lo, exec_lo, s0
.LBB147_88:
	s_delay_alu instid0(SALU_CYCLE_1) | instskip(SKIP_4) | instid1(VALU_DEP_1)
	s_or_b32 exec_lo, exec_lo, s1
	v_and_b32_e32 v14, 0x3e3, v91
	s_mov_b32 s1, exec_lo
	s_barrier_signal -1
	s_barrier_wait -1
	v_cmpx_eq_u32_e32 32, v14
	s_cbranch_execz .LBB147_90
; %bb.89:
	ds_store_2addr_b32 v13, v8, v9 offset1:8
	ds_store_2addr_b32 v13, v6, v7 offset0:16 offset1:24
	ds_store_2addr_b32 v13, v4, v5 offset0:32 offset1:40
	ds_store_2addr_b32 v13, v2, v3 offset0:48 offset1:56
	ds_store_2addr_b32 v13, v0, v1 offset0:64 offset1:72
	ds_store_2addr_b32 v13, v10, v11 offset0:80 offset1:88
.LBB147_90:
	s_or_b32 exec_lo, exec_lo, s1
	s_delay_alu instid0(SALU_CYCLE_1)
	s_mov_b32 s1, exec_lo
	s_wait_dscnt 0x0
	s_barrier_signal -1
	s_barrier_wait -1
	v_cmpx_gt_u32_e32 32, v91
	s_cbranch_execz .LBB147_105
; %bb.91:
	s_and_saveexec_b32 s0, vcc_lo
	s_cbranch_execnz .LBB147_119
; %bb.92:
	s_or_b32 exec_lo, exec_lo, s0
	s_and_saveexec_b32 s0, vcc_lo
	s_cbranch_execnz .LBB147_120
.LBB147_93:
	s_or_b32 exec_lo, exec_lo, s0
	s_and_saveexec_b32 s0, vcc_lo
	s_cbranch_execnz .LBB147_121
.LBB147_94:
	s_or_b32 exec_lo, exec_lo, s0
	s_and_saveexec_b32 s0, vcc_lo
	s_cbranch_execnz .LBB147_122
.LBB147_95:
	s_or_b32 exec_lo, exec_lo, s0
	s_and_saveexec_b32 s0, vcc_lo
	s_cbranch_execnz .LBB147_123
.LBB147_96:
	s_or_b32 exec_lo, exec_lo, s0
	s_and_saveexec_b32 s0, vcc_lo
	s_cbranch_execnz .LBB147_124
.LBB147_97:
	s_or_b32 exec_lo, exec_lo, s0
	s_and_saveexec_b32 s0, vcc_lo
	s_cbranch_execnz .LBB147_125
.LBB147_98:
	s_or_b32 exec_lo, exec_lo, s0
	s_and_saveexec_b32 s0, vcc_lo
	s_cbranch_execnz .LBB147_126
.LBB147_99:
	s_or_b32 exec_lo, exec_lo, s0
	s_and_saveexec_b32 s0, vcc_lo
	s_cbranch_execnz .LBB147_127
.LBB147_100:
	s_or_b32 exec_lo, exec_lo, s0
	s_and_saveexec_b32 s0, vcc_lo
	s_cbranch_execnz .LBB147_128
.LBB147_101:
	s_or_b32 exec_lo, exec_lo, s0
	s_and_saveexec_b32 s0, vcc_lo
	s_cbranch_execnz .LBB147_129
.LBB147_102:
	s_or_b32 exec_lo, exec_lo, s0
	s_and_saveexec_b32 s0, vcc_lo
	s_cbranch_execz .LBB147_104
.LBB147_103:
	ds_load_b32 v12, v12 offset:352
	s_wait_dscnt 0x0
	v_add_f32_e32 v11, v11, v12
.LBB147_104:
	s_or_b32 exec_lo, exec_lo, s0
.LBB147_105:
	s_delay_alu instid0(SALU_CYCLE_1)
	s_or_b32 exec_lo, exec_lo, s1
	s_mov_b32 s1, 0
	s_barrier_signal -1
	s_barrier_wait -1
	s_mov_b32 s0, exec_lo
	v_cmpx_eq_u32_e32 0, v14
	s_cbranch_execz .LBB147_107
; %bb.106:
	s_mul_i32 s0, s28, s7
	s_mul_i32 s2, s7, s12
	;; [unrolled: 1-line block ×3, first 2 shown]
	s_lshr_b32 s6, ttmp7, 16
	s_mul_i32 s4, s0, 0x60
	s_bfe_u32 s0, ttmp6, 0x40014
	s_ashr_i32 s5, s4, 31
	s_add_co_i32 s0, s0, 1
	s_ashr_i32 s3, s2, 31
	s_mul_i32 s0, s6, s0
	s_bfe_u32 s7, ttmp6, 0x40008
	s_lshl_b64 s[4:5], s[4:5], 1
	s_lshl_b64 s[2:3], s[2:3], 1
	s_add_co_i32 s7, s7, s0
	s_cmp_eq_u32 s26, 0
	s_wait_kmcnt 0x0
	s_add_nc_u64 s[4:5], s[10:11], s[4:5]
	s_cselect_b32 s0, s6, s7
	s_add_nc_u64 s[2:3], s[4:5], s[2:3]
	s_mulk_i32 s0, 0xc0
	v_lshrrev_b32_e32 v12, 1, v91
	s_add_nc_u64 s[0:1], s[2:3], s[0:1]
	s_delay_alu instid0(SALU_CYCLE_1)
	v_cvt_pk_bf16_f32 v8, v8, s0
	v_cvt_pk_bf16_f32 v9, v9, s0
	v_cvt_pk_bf16_f32 v6, v6, s0
	v_cvt_pk_bf16_f32 v7, v7, s0
	v_cvt_pk_bf16_f32 v4, v4, s0
	v_cvt_pk_bf16_f32 v5, v5, s0
	v_cvt_pk_bf16_f32 v2, v2, s0
	v_cvt_pk_bf16_f32 v3, v3, s0
	v_cvt_pk_bf16_f32 v0, v0, s0
	v_cvt_pk_bf16_f32 v1, v1, s0
	v_cvt_pk_bf16_f32 v10, v10, s0
	v_cvt_pk_bf16_f32 v11, v11, s0
	s_clause 0xb
	global_store_b16 v12, v8, s[0:1]
	global_store_b16 v12, v9, s[0:1] offset:16
	global_store_b16 v12, v6, s[0:1] offset:32
	;; [unrolled: 1-line block ×11, first 2 shown]
.LBB147_107:
	s_sendmsg sendmsg(MSG_DEALLOC_VGPRS)
	s_endpgm
.LBB147_108:
	ds_load_b32 v14, v12
	s_wait_dscnt 0x0
	v_add_f32_e32 v8, v8, v14
	s_or_b32 exec_lo, exec_lo, s0
	s_and_saveexec_b32 s0, vcc_lo
	s_cbranch_execz .LBB147_76
.LBB147_109:
	ds_load_b32 v14, v12 offset:32
	s_wait_dscnt 0x0
	v_add_f32_e32 v9, v9, v14
	s_or_b32 exec_lo, exec_lo, s0
	s_and_saveexec_b32 s0, vcc_lo
	s_cbranch_execz .LBB147_77
.LBB147_110:
	ds_load_b32 v14, v12 offset:64
	s_wait_dscnt 0x0
	v_add_f32_e32 v6, v6, v14
	s_or_b32 exec_lo, exec_lo, s0
	s_and_saveexec_b32 s0, vcc_lo
	s_cbranch_execz .LBB147_78
.LBB147_111:
	ds_load_b32 v14, v12 offset:96
	s_wait_dscnt 0x0
	v_add_f32_e32 v7, v7, v14
	s_or_b32 exec_lo, exec_lo, s0
	s_and_saveexec_b32 s0, vcc_lo
	s_cbranch_execz .LBB147_79
.LBB147_112:
	ds_load_b32 v14, v12 offset:128
	s_wait_dscnt 0x0
	v_add_f32_e32 v4, v4, v14
	s_or_b32 exec_lo, exec_lo, s0
	s_and_saveexec_b32 s0, vcc_lo
	s_cbranch_execz .LBB147_80
.LBB147_113:
	ds_load_b32 v14, v12 offset:160
	s_wait_dscnt 0x0
	v_add_f32_e32 v5, v5, v14
	s_or_b32 exec_lo, exec_lo, s0
	s_and_saveexec_b32 s0, vcc_lo
	s_cbranch_execz .LBB147_81
.LBB147_114:
	ds_load_b32 v14, v12 offset:192
	s_wait_dscnt 0x0
	v_add_f32_e32 v2, v2, v14
	s_or_b32 exec_lo, exec_lo, s0
	s_and_saveexec_b32 s0, vcc_lo
	s_cbranch_execz .LBB147_82
.LBB147_115:
	ds_load_b32 v14, v12 offset:224
	s_wait_dscnt 0x0
	v_add_f32_e32 v3, v3, v14
	s_or_b32 exec_lo, exec_lo, s0
	s_and_saveexec_b32 s0, vcc_lo
	s_cbranch_execz .LBB147_83
.LBB147_116:
	ds_load_b32 v14, v12 offset:256
	s_wait_dscnt 0x0
	v_add_f32_e32 v0, v0, v14
	s_or_b32 exec_lo, exec_lo, s0
	s_and_saveexec_b32 s0, vcc_lo
	s_cbranch_execz .LBB147_84
.LBB147_117:
	ds_load_b32 v14, v12 offset:288
	s_wait_dscnt 0x0
	v_add_f32_e32 v1, v1, v14
	s_or_b32 exec_lo, exec_lo, s0
	s_and_saveexec_b32 s0, vcc_lo
	s_cbranch_execz .LBB147_85
.LBB147_118:
	ds_load_b32 v14, v12 offset:320
	s_wait_dscnt 0x0
	v_add_f32_e32 v10, v10, v14
	s_or_b32 exec_lo, exec_lo, s0
	s_and_saveexec_b32 s0, vcc_lo
	s_cbranch_execnz .LBB147_86
	s_branch .LBB147_87
.LBB147_119:
	ds_load_b32 v13, v12
	s_wait_dscnt 0x0
	v_add_f32_e32 v8, v8, v13
	s_or_b32 exec_lo, exec_lo, s0
	s_and_saveexec_b32 s0, vcc_lo
	s_cbranch_execz .LBB147_93
.LBB147_120:
	ds_load_b32 v13, v12 offset:32
	s_wait_dscnt 0x0
	v_add_f32_e32 v9, v9, v13
	s_or_b32 exec_lo, exec_lo, s0
	s_and_saveexec_b32 s0, vcc_lo
	s_cbranch_execz .LBB147_94
.LBB147_121:
	ds_load_b32 v13, v12 offset:64
	s_wait_dscnt 0x0
	v_add_f32_e32 v6, v6, v13
	s_or_b32 exec_lo, exec_lo, s0
	s_and_saveexec_b32 s0, vcc_lo
	s_cbranch_execz .LBB147_95
.LBB147_122:
	ds_load_b32 v13, v12 offset:96
	s_wait_dscnt 0x0
	v_add_f32_e32 v7, v7, v13
	s_or_b32 exec_lo, exec_lo, s0
	s_and_saveexec_b32 s0, vcc_lo
	s_cbranch_execz .LBB147_96
.LBB147_123:
	ds_load_b32 v13, v12 offset:128
	s_wait_dscnt 0x0
	v_add_f32_e32 v4, v4, v13
	s_or_b32 exec_lo, exec_lo, s0
	s_and_saveexec_b32 s0, vcc_lo
	s_cbranch_execz .LBB147_97
.LBB147_124:
	ds_load_b32 v13, v12 offset:160
	s_wait_dscnt 0x0
	v_add_f32_e32 v5, v5, v13
	s_or_b32 exec_lo, exec_lo, s0
	s_and_saveexec_b32 s0, vcc_lo
	s_cbranch_execz .LBB147_98
.LBB147_125:
	ds_load_b32 v13, v12 offset:192
	s_wait_dscnt 0x0
	v_add_f32_e32 v2, v2, v13
	s_or_b32 exec_lo, exec_lo, s0
	s_and_saveexec_b32 s0, vcc_lo
	s_cbranch_execz .LBB147_99
.LBB147_126:
	ds_load_b32 v13, v12 offset:224
	s_wait_dscnt 0x0
	v_add_f32_e32 v3, v3, v13
	s_or_b32 exec_lo, exec_lo, s0
	s_and_saveexec_b32 s0, vcc_lo
	s_cbranch_execz .LBB147_100
.LBB147_127:
	ds_load_b32 v13, v12 offset:256
	s_wait_dscnt 0x0
	v_add_f32_e32 v0, v0, v13
	s_or_b32 exec_lo, exec_lo, s0
	s_and_saveexec_b32 s0, vcc_lo
	s_cbranch_execz .LBB147_101
.LBB147_128:
	ds_load_b32 v13, v12 offset:288
	s_wait_dscnt 0x0
	v_add_f32_e32 v1, v1, v13
	s_or_b32 exec_lo, exec_lo, s0
	s_and_saveexec_b32 s0, vcc_lo
	s_cbranch_execz .LBB147_102
.LBB147_129:
	ds_load_b32 v13, v12 offset:320
	s_wait_dscnt 0x0
	v_add_f32_e32 v10, v10, v13
	s_or_b32 exec_lo, exec_lo, s0
	s_and_saveexec_b32 s0, vcc_lo
	s_cbranch_execnz .LBB147_103
	s_branch .LBB147_104
	.section	.rodata,"a",@progbits
	.p2align	6, 0x0
	.amdhsa_kernel _ZN4vllm25paged_attention_v1_kernelI14__hip_bfloat16S1_Li96ELi32ELi128ELNS_18Fp8KVCacheDataTypeE0ELb1EEEvPT_PKS3_PKT0_S9_ifPKiSB_iPKfiiiSD_SD_iiiii
		.amdhsa_group_segment_fixed_size 224
		.amdhsa_private_segment_fixed_size 180
		.amdhsa_kernarg_size 384
		.amdhsa_user_sgpr_count 2
		.amdhsa_user_sgpr_dispatch_ptr 0
		.amdhsa_user_sgpr_queue_ptr 0
		.amdhsa_user_sgpr_kernarg_segment_ptr 1
		.amdhsa_user_sgpr_dispatch_id 0
		.amdhsa_user_sgpr_kernarg_preload_length 0
		.amdhsa_user_sgpr_kernarg_preload_offset 0
		.amdhsa_user_sgpr_private_segment_size 0
		.amdhsa_wavefront_size32 1
		.amdhsa_uses_dynamic_stack 0
		.amdhsa_enable_private_segment 1
		.amdhsa_system_sgpr_workgroup_id_x 1
		.amdhsa_system_sgpr_workgroup_id_y 1
		.amdhsa_system_sgpr_workgroup_id_z 1
		.amdhsa_system_sgpr_workgroup_info 0
		.amdhsa_system_vgpr_workitem_id 0
		.amdhsa_next_free_vgpr 128
		.amdhsa_next_free_sgpr 38
		.amdhsa_named_barrier_count 0
		.amdhsa_reserve_vcc 1
		.amdhsa_float_round_mode_32 0
		.amdhsa_float_round_mode_16_64 0
		.amdhsa_float_denorm_mode_32 3
		.amdhsa_float_denorm_mode_16_64 3
		.amdhsa_fp16_overflow 0
		.amdhsa_memory_ordered 1
		.amdhsa_forward_progress 1
		.amdhsa_inst_pref_size 106
		.amdhsa_round_robin_scheduling 0
		.amdhsa_exception_fp_ieee_invalid_op 0
		.amdhsa_exception_fp_denorm_src 0
		.amdhsa_exception_fp_ieee_div_zero 0
		.amdhsa_exception_fp_ieee_overflow 0
		.amdhsa_exception_fp_ieee_underflow 0
		.amdhsa_exception_fp_ieee_inexact 0
		.amdhsa_exception_int_div_zero 0
	.end_amdhsa_kernel
	.section	.text._ZN4vllm25paged_attention_v1_kernelI14__hip_bfloat16S1_Li96ELi32ELi128ELNS_18Fp8KVCacheDataTypeE0ELb1EEEvPT_PKS3_PKT0_S9_ifPKiSB_iPKfiiiSD_SD_iiiii,"axG",@progbits,_ZN4vllm25paged_attention_v1_kernelI14__hip_bfloat16S1_Li96ELi32ELi128ELNS_18Fp8KVCacheDataTypeE0ELb1EEEvPT_PKS3_PKT0_S9_ifPKiSB_iPKfiiiSD_SD_iiiii,comdat
.Lfunc_end147:
	.size	_ZN4vllm25paged_attention_v1_kernelI14__hip_bfloat16S1_Li96ELi32ELi128ELNS_18Fp8KVCacheDataTypeE0ELb1EEEvPT_PKS3_PKT0_S9_ifPKiSB_iPKfiiiSD_SD_iiiii, .Lfunc_end147-_ZN4vllm25paged_attention_v1_kernelI14__hip_bfloat16S1_Li96ELi32ELi128ELNS_18Fp8KVCacheDataTypeE0ELb1EEEvPT_PKS3_PKT0_S9_ifPKiSB_iPKfiiiSD_SD_iiiii
                                        ; -- End function
	.set _ZN4vllm25paged_attention_v1_kernelI14__hip_bfloat16S1_Li96ELi32ELi128ELNS_18Fp8KVCacheDataTypeE0ELb1EEEvPT_PKS3_PKT0_S9_ifPKiSB_iPKfiiiSD_SD_iiiii.num_vgpr, 128
	.set _ZN4vllm25paged_attention_v1_kernelI14__hip_bfloat16S1_Li96ELi32ELi128ELNS_18Fp8KVCacheDataTypeE0ELb1EEEvPT_PKS3_PKT0_S9_ifPKiSB_iPKfiiiSD_SD_iiiii.num_agpr, 0
	.set _ZN4vllm25paged_attention_v1_kernelI14__hip_bfloat16S1_Li96ELi32ELi128ELNS_18Fp8KVCacheDataTypeE0ELb1EEEvPT_PKS3_PKT0_S9_ifPKiSB_iPKfiiiSD_SD_iiiii.numbered_sgpr, 38
	.set _ZN4vllm25paged_attention_v1_kernelI14__hip_bfloat16S1_Li96ELi32ELi128ELNS_18Fp8KVCacheDataTypeE0ELb1EEEvPT_PKS3_PKT0_S9_ifPKiSB_iPKfiiiSD_SD_iiiii.num_named_barrier, 0
	.set _ZN4vllm25paged_attention_v1_kernelI14__hip_bfloat16S1_Li96ELi32ELi128ELNS_18Fp8KVCacheDataTypeE0ELb1EEEvPT_PKS3_PKT0_S9_ifPKiSB_iPKfiiiSD_SD_iiiii.private_seg_size, 180
	.set _ZN4vllm25paged_attention_v1_kernelI14__hip_bfloat16S1_Li96ELi32ELi128ELNS_18Fp8KVCacheDataTypeE0ELb1EEEvPT_PKS3_PKT0_S9_ifPKiSB_iPKfiiiSD_SD_iiiii.uses_vcc, 1
	.set _ZN4vllm25paged_attention_v1_kernelI14__hip_bfloat16S1_Li96ELi32ELi128ELNS_18Fp8KVCacheDataTypeE0ELb1EEEvPT_PKS3_PKT0_S9_ifPKiSB_iPKfiiiSD_SD_iiiii.uses_flat_scratch, 1
	.set _ZN4vllm25paged_attention_v1_kernelI14__hip_bfloat16S1_Li96ELi32ELi128ELNS_18Fp8KVCacheDataTypeE0ELb1EEEvPT_PKS3_PKT0_S9_ifPKiSB_iPKfiiiSD_SD_iiiii.has_dyn_sized_stack, 0
	.set _ZN4vllm25paged_attention_v1_kernelI14__hip_bfloat16S1_Li96ELi32ELi128ELNS_18Fp8KVCacheDataTypeE0ELb1EEEvPT_PKS3_PKT0_S9_ifPKiSB_iPKfiiiSD_SD_iiiii.has_recursion, 0
	.set _ZN4vllm25paged_attention_v1_kernelI14__hip_bfloat16S1_Li96ELi32ELi128ELNS_18Fp8KVCacheDataTypeE0ELb1EEEvPT_PKS3_PKT0_S9_ifPKiSB_iPKfiiiSD_SD_iiiii.has_indirect_call, 0
	.section	.AMDGPU.csdata,"",@progbits
; Kernel info:
; codeLenInByte = 13484
; TotalNumSgprs: 40
; NumVgprs: 128
; ScratchSize: 180
; MemoryBound: 0
; FloatMode: 240
; IeeeMode: 1
; LDSByteSize: 224 bytes/workgroup (compile time only)
; SGPRBlocks: 0
; VGPRBlocks: 7
; NumSGPRsForWavesPerEU: 40
; NumVGPRsForWavesPerEU: 128
; NamedBarCnt: 0
; Occupancy: 8
; WaveLimiterHint : 1
; COMPUTE_PGM_RSRC2:SCRATCH_EN: 1
; COMPUTE_PGM_RSRC2:USER_SGPR: 2
; COMPUTE_PGM_RSRC2:TRAP_HANDLER: 0
; COMPUTE_PGM_RSRC2:TGID_X_EN: 1
; COMPUTE_PGM_RSRC2:TGID_Y_EN: 1
; COMPUTE_PGM_RSRC2:TGID_Z_EN: 1
; COMPUTE_PGM_RSRC2:TIDIG_COMP_CNT: 0
	.section	.text._ZN4vllm25paged_attention_v1_kernelI14__hip_bfloat16S1_Li112ELi32ELi128ELNS_18Fp8KVCacheDataTypeE0ELb1EEEvPT_PKS3_PKT0_S9_ifPKiSB_iPKfiiiSD_SD_iiiii,"axG",@progbits,_ZN4vllm25paged_attention_v1_kernelI14__hip_bfloat16S1_Li112ELi32ELi128ELNS_18Fp8KVCacheDataTypeE0ELb1EEEvPT_PKS3_PKT0_S9_ifPKiSB_iPKfiiiSD_SD_iiiii,comdat
	.protected	_ZN4vllm25paged_attention_v1_kernelI14__hip_bfloat16S1_Li112ELi32ELi128ELNS_18Fp8KVCacheDataTypeE0ELb1EEEvPT_PKS3_PKT0_S9_ifPKiSB_iPKfiiiSD_SD_iiiii ; -- Begin function _ZN4vllm25paged_attention_v1_kernelI14__hip_bfloat16S1_Li112ELi32ELi128ELNS_18Fp8KVCacheDataTypeE0ELb1EEEvPT_PKS3_PKT0_S9_ifPKiSB_iPKfiiiSD_SD_iiiii
	.globl	_ZN4vllm25paged_attention_v1_kernelI14__hip_bfloat16S1_Li112ELi32ELi128ELNS_18Fp8KVCacheDataTypeE0ELb1EEEvPT_PKS3_PKT0_S9_ifPKiSB_iPKfiiiSD_SD_iiiii
	.p2align	8
	.type	_ZN4vllm25paged_attention_v1_kernelI14__hip_bfloat16S1_Li112ELi32ELi128ELNS_18Fp8KVCacheDataTypeE0ELb1EEEvPT_PKS3_PKT0_S9_ifPKiSB_iPKfiiiSD_SD_iiiii,@function
_ZN4vllm25paged_attention_v1_kernelI14__hip_bfloat16S1_Li112ELi32ELi128ELNS_18Fp8KVCacheDataTypeE0ELb1EEEvPT_PKS3_PKT0_S9_ifPKiSB_iPKfiiiSD_SD_iiiii: ; @_ZN4vllm25paged_attention_v1_kernelI14__hip_bfloat16S1_Li112ELi32ELi128ELNS_18Fp8KVCacheDataTypeE0ELb1EEEvPT_PKS3_PKT0_S9_ifPKiSB_iPKfiiiSD_SD_iiiii
; %bb.0:
	s_load_b64 s[22:23], s[0:1], 0x20
	s_bfe_u32 s3, ttmp6, 0x4000c
	s_bfe_u32 s4, ttmp6, 0x40010
	s_and_b32 s6, ttmp7, 0xffff
	s_add_co_i32 s3, s3, 1
	s_add_co_i32 s4, s4, 1
	s_and_b32 s2, ttmp6, 15
	s_bfe_u32 s5, ttmp6, 0x40004
	s_mul_i32 s3, ttmp9, s3
	s_mul_i32 s4, s6, s4
	s_getreg_b32 s26, hwreg(HW_REG_IB_STS2, 6, 4)
	s_add_co_i32 s2, s2, s3
	s_add_co_i32 s3, s5, s4
	s_cmp_eq_u32 s26, 0
	v_mov_b32_e32 v101, v0
	s_cselect_b32 s28, s6, s3
	s_cselect_b32 s2, ttmp9, s2
	s_clause 0x1
	s_load_b32 s27, s[0:1], 0x80
	s_load_b64 s[4:5], s[0:1], 0x30
	s_mov_b32 s15, 0
	s_delay_alu instid0(SALU_CYCLE_1) | instskip(SKIP_2) | instid1(SALU_CYCLE_1)
	s_mov_b32 s34, s15
	s_wait_kmcnt 0x0
	s_abs_i32 s3, s22
	s_cvt_f32_u32 s6, s3
	s_sub_co_i32 s7, 0, s3
	s_delay_alu instid0(SALU_CYCLE_2) | instskip(SKIP_1) | instid1(TRANS32_DEP_1)
	v_rcp_iflag_f32_e32 v0, s6
	v_nop
	v_readfirstlane_b32 s6, v0
	s_abs_i32 s8, s27
	s_mul_f32 s6, s6, 0x4f7ffffe
	s_delay_alu instid0(SALU_CYCLE_3) | instskip(NEXT) | instid1(SALU_CYCLE_3)
	s_cvt_u32_f32 s6, s6
	s_mul_i32 s7, s7, s6
	s_delay_alu instid0(SALU_CYCLE_1) | instskip(NEXT) | instid1(SALU_CYCLE_1)
	s_mul_hi_u32 s7, s6, s7
	s_add_co_i32 s6, s6, s7
	s_xor_b32 s7, s27, s22
	s_mul_hi_u32 s6, s8, s6
	s_ashr_i32 s7, s7, 31
	s_mul_i32 s9, s6, s3
	s_delay_alu instid0(SALU_CYCLE_1)
	s_sub_co_i32 s8, s8, s9
	s_add_co_i32 s9, s6, 1
	s_sub_co_i32 s10, s8, s3
	s_cmp_ge_u32 s8, s3
	s_cselect_b32 s6, s9, s6
	s_cselect_b32 s8, s10, s8
	s_add_co_i32 s9, s6, 1
	s_cmp_ge_u32 s8, s3
	s_cselect_b32 s3, s9, s6
	s_load_b64 s[8:9], s[0:1], 0x40
	s_xor_b32 s3, s3, s7
	s_abs_i32 s14, s2
	s_sub_co_i32 s12, s3, s7
	s_mov_b32 s7, s15
	s_abs_i32 s11, s12
	s_delay_alu instid0(SALU_CYCLE_1) | instskip(SKIP_1) | instid1(SALU_CYCLE_2)
	s_cvt_f32_u32 s3, s11
	s_sub_co_i32 s6, 0, s11
	v_rcp_iflag_f32_e32 v0, s3
	v_nop
	s_delay_alu instid0(TRANS32_DEP_1) | instskip(SKIP_1) | instid1(SALU_CYCLE_3)
	v_readfirstlane_b32 s3, v0
	s_mul_f32 s3, s3, 0x4f7ffffe
	s_cvt_u32_f32 s3, s3
	s_delay_alu instid0(SALU_CYCLE_3) | instskip(NEXT) | instid1(SALU_CYCLE_1)
	s_mul_i32 s6, s6, s3
	s_mul_hi_u32 s6, s3, s6
	s_delay_alu instid0(SALU_CYCLE_1)
	s_add_co_i32 s6, s3, s6
	s_wait_kmcnt 0x0
	s_cmp_eq_u64 s[8:9], 0
	s_cbranch_scc1 .LBB148_2
; %bb.1:
	s_ashr_i32 s3, s2, 31
	s_delay_alu instid0(SALU_CYCLE_1) | instskip(NEXT) | instid1(SALU_CYCLE_1)
	s_lshl_b64 s[16:17], s[2:3], 2
	s_add_nc_u64 s[8:9], s[8:9], s[16:17]
	s_load_b32 s34, s[8:9], 0x0
.LBB148_2:
	s_load_b32 s29, s[4:5], s28 offset:0x0 scale_offset
	s_wait_xcnt 0x0
	s_load_b96 s[8:10], s[0:1], 0x48
	v_lshlrev_b32_e32 v22, 4, v101
	s_ashr_i32 s3, s2, 31
	s_ashr_i32 s18, s12, 31
	s_mul_u64 s[16:17], s[14:15], s[6:7]
	s_mul_i32 s12, s2, 0x70
	s_mov_b32 s4, exec_lo
	v_cmpx_gt_u32_e32 14, v101
	s_cbranch_execz .LBB148_4
; %bb.3:
	s_load_b64 s[6:7], s[0:1], 0x8
	s_wait_kmcnt 0x0
	s_mul_i32 s20, s8, s28
	s_ashr_i32 s13, s12, 31
	s_ashr_i32 s21, s20, 31
	s_delay_alu instid0(SALU_CYCLE_1) | instskip(NEXT) | instid1(SALU_CYCLE_1)
	s_lshl_b64 s[20:21], s[20:21], 1
	s_add_nc_u64 s[6:7], s[6:7], s[20:21]
	s_lshl_b64 s[20:21], s[12:13], 1
	s_delay_alu instid0(SALU_CYCLE_1)
	s_add_nc_u64 s[6:7], s[6:7], s[20:21]
	global_load_b128 v[0:3], v101, s[6:7] scale_offset
	s_wait_loadcnt 0x0
	ds_store_b128 v22, v[0:3]
.LBB148_4:
	s_or_b32 exec_lo, exec_lo, s4
	s_load_b128 s[4:7], s[0:1], 0x68
	s_wait_kmcnt 0x0
	s_mul_i32 s8, s17, s11
	s_xor_b32 s3, s3, s18
	s_sub_co_i32 s8, s14, s8
	s_add_co_i32 s13, s17, 1
	s_sub_co_i32 s14, s8, s11
	s_cmp_ge_u32 s8, s11
	s_mov_b32 s19, -1
	s_cselect_b32 s13, s13, s17
	s_cselect_b32 s8, s14, s8
	s_add_co_i32 s14, s13, 1
	s_cmp_ge_u32 s8, s11
	s_load_b32 s11, s[0:1], 0x78
	s_cselect_b32 s13, s14, s13
	s_add_co_i32 s18, s29, -1
	s_xor_b32 s13, s13, s3
	s_mov_b32 s17, 0
	s_sub_co_i32 s3, s13, s3
	s_abs_i32 s16, s18
	s_mov_b32 s15, s17
	s_abs_i32 s8, s7
	s_wait_dscnt 0x0
	s_cvt_f32_u32 s14, s8
	s_barrier_signal -1
	s_barrier_wait -1
	s_delay_alu instid0(SALU_CYCLE_1) | instskip(SKIP_1) | instid1(TRANS32_DEP_1)
	v_rcp_iflag_f32_e32 v0, s14
	v_nop
	v_readfirstlane_b32 s14, v0
	s_mul_f32 s13, s14, 0x4f7ffffe
	s_sub_co_i32 s14, 0, s8
	s_delay_alu instid0(SALU_CYCLE_2) | instskip(NEXT) | instid1(SALU_CYCLE_3)
	s_cvt_u32_f32 s13, s13
	s_mul_i32 s14, s14, s13
	s_delay_alu instid0(SALU_CYCLE_1) | instskip(NEXT) | instid1(SALU_CYCLE_1)
	s_mul_hi_u32 s14, s13, s14
	s_add_co_i32 s14, s13, s14
	s_wait_kmcnt 0x0
	s_cmp_lt_i32 s11, 0
                                        ; implicit-def: $sgpr13
	s_cbranch_scc0 .LBB148_6
; %bb.5:
	s_mul_i32 s13, s4, s22
	s_mov_b32 s19, s17
	s_add_co_i32 s13, s3, s13
	s_delay_alu instid0(SALU_CYCLE_1) | instskip(NEXT) | instid1(SALU_CYCLE_1)
	s_mul_i32 s13, s13, s11
	s_sub_co_i32 s13, 1, s13
.LBB148_6:
	s_ashr_i32 s18, s18, 31
	s_ashr_i32 s30, s7, 31
	s_and_not1_b32 vcc_lo, exec_lo, s19
	s_mul_u64 s[20:21], s[16:17], s[14:15]
	s_cbranch_vccnz .LBB148_8
; %bb.7:
	s_mul_i32 s4, s27, s4
	s_delay_alu instid0(SALU_CYCLE_1) | instskip(NEXT) | instid1(SALU_CYCLE_1)
	s_add_co_i32 s2, s4, s2
	s_mul_i32 s2, s2, s11
	s_delay_alu instid0(SALU_CYCLE_1)
	s_add_co_i32 s13, s2, 1
.LBB148_8:
	s_load_b32 s2, s[0:1], 0x38
	s_mul_i32 s7, s21, s8
	s_xor_b32 s4, s18, s30
	s_sub_co_i32 s20, s16, s7
	s_add_co_i32 s11, s21, 1
	s_clause 0x1
	s_load_b64 s[16:17], s[0:1], 0x28
	s_load_b32 s7, s[0:1], 0x88
	v_dual_lshrrev_b32 v102, 5, v101 :: v_dual_bitop2_b32 v0, 31, v101 bitop3:0x40
	v_dual_mov_b32 v67, 0xff7fffff :: v_dual_lshrrev_b32 v26, 3, v101
	s_delay_alu instid0(VALU_DEP_2)
	v_dual_lshlrev_b32 v66, 5, v102 :: v_dual_lshlrev_b32 v27, 2, v0
	scratch_store_b32 off, v0, off          ; 4-byte Folded Spill
	s_wait_kmcnt 0x0
	s_mul_i32 s18, s2, s28
	s_sub_co_i32 s2, s20, s8
	s_ashr_i32 s19, s18, 31
	s_cmp_ge_u32 s20, s8
	s_cselect_b32 s11, s11, s21
	s_cselect_b32 s2, s2, s20
	s_add_co_i32 s20, s11, 1
	s_cmp_ge_u32 s2, s8
	s_cselect_b32 s2, s20, s11
	s_add_co_i32 s11, s29, 31
	s_delay_alu instid0(SALU_CYCLE_1) | instskip(NEXT) | instid1(SALU_CYCLE_1)
	s_ashr_i32 s20, s11, 31
	s_lshr_b32 s20, s20, 27
	s_delay_alu instid0(SALU_CYCLE_1)
	s_add_co_i32 s11, s11, s20
	s_mul_i32 s20, s3, s10
	s_ashr_i32 s31, s11, 5
	s_xor_b32 s11, s2, s4
	v_cmp_gt_i32_e64 s2, s31, v102
	s_sub_co_i32 s33, s11, s4
	s_wait_xcnt 0x0
	s_and_saveexec_b32 s22, s2
	s_cbranch_execz .LBB148_16
; %bb.9:
	v_mov_b32_e32 v43, 0
	s_clause 0x1
	scratch_store_b32 off, v22, off offset:260
	scratch_store_b32 off, v101, off offset:252
	v_mov_b32_e32 v98, v102
	s_ashr_i32 s21, s20, 31
	s_sub_co_i32 s35, s33, s5
	ds_load_b128 v[14:17], v43
	ds_load_b128 v[18:21], v43 offset:16
	s_wait_xcnt 0x1
	ds_load_b128 v[22:25], v43 offset:32
	ds_load_b128 v[2:5], v43 offset:48
	;; [unrolled: 1-line block ×4, first 2 shown]
	s_ashr_i32 s11, s9, 31
	s_lshl_b64 s[24:25], s[20:21], 1
	s_cmp_neq_f32 s34, 0
	s_load_b64 s[36:37], s[0:1], 0x10
	s_mov_b32 s10, s9
	scratch_store_b32 off, v26, off offset:264 ; 4-byte Folded Spill
	s_cselect_b32 vcc_lo, -1, 0
	s_abs_i32 s21, s6
	scratch_store_b32 off, v27, off offset:268 ; 4-byte Folded Spill
	s_cvt_f32_u32 s3, s21
	s_sub_co_i32 s4, 0, s21
	v_mov_b32_e32 v67, 0xff7fffff
	s_wait_dscnt 0x5
	v_and_b32_e32 v1, 0xffff0000, v14
	s_wait_dscnt 0x2
	v_dual_lshlrev_b32 v0, 16, v14 :: v_dual_lshlrev_b32 v14, 16, v5
	scratch_store_b64 off, v[0:1], off offset:4 ; 8-byte Folded Spill
	s_wait_xcnt 0x0
	v_and_b32_e32 v1, 0xffff0000, v15
	v_lshlrev_b32_e32 v0, 16, v15
	v_and_b32_e32 v15, 0xffff0000, v5
	s_wait_dscnt 0x1
	v_and_b32_e32 v5, 0xffff0000, v10
	s_wait_kmcnt 0x0
	s_add_nc_u64 s[36:37], s[36:37], s[24:25]
	s_mov_b32 s25, 0
	scratch_store_b64 off, v[0:1], off offset:12 ; 8-byte Folded Spill
	s_wait_xcnt 0x0
	v_and_b32_e32 v1, 0xffff0000, v16
	v_lshlrev_b32_e32 v0, 16, v16
	scratch_store_b64 off, v[0:1], off offset:20 ; 8-byte Folded Spill
	s_wait_xcnt 0x0
	v_and_b32_e32 v1, 0xffff0000, v17
	v_lshlrev_b32_e32 v0, 16, v17
	;; [unrolled: 4-line block ×12, first 2 shown]
	scratch_store_b64 off, v[0:1], off offset:108 ; 8-byte Folded Spill
	s_wait_xcnt 0x0
	v_and_b32_e32 v1, 0xffff0000, v4
	v_dual_lshlrev_b32 v0, 16, v4 :: v_dual_lshlrev_b32 v4, 16, v10
	s_wait_dscnt 0x0
	v_lshlrev_b32_e32 v10, 16, v9
	s_clause 0x1
	scratch_store_b64 off, v[0:1], off offset:116
	scratch_store_b64 off, v[4:5], off offset:132
	s_wait_xcnt 0x1
	ds_load_b128 v[0:3], v43 offset:96
	s_wait_xcnt 0x0
	v_and_b32_e32 v5, 0xffff0000, v6
	v_lshlrev_b32_e32 v4, 16, v6
	scratch_store_b64 off, v[14:15], off offset:124 ; 8-byte Folded Spill
	s_wait_xcnt 0x0
	ds_load_b128 v[14:17], v43 offset:112
	scratch_store_b64 off, v[4:5], off offset:140 ; 8-byte Folded Spill
	s_wait_xcnt 0x0
	v_and_b32_e32 v5, 0xffff0000, v11
	v_lshlrev_b32_e32 v4, 16, v11
	v_and_b32_e32 v11, 0xffff0000, v9
	scratch_store_b64 off, v[4:5], off offset:148 ; 8-byte Folded Spill
	s_wait_xcnt 0x0
	v_and_b32_e32 v5, 0xffff0000, v7
	v_lshlrev_b32_e32 v4, 16, v7
	s_wait_dscnt 0x1
	v_and_b32_e32 v9, 0xffff0000, v0
	scratch_store_b64 off, v[4:5], off offset:156 ; 8-byte Folded Spill
	s_wait_xcnt 0x0
	v_and_b32_e32 v5, 0xffff0000, v12
	v_lshlrev_b32_e32 v4, 16, v12
	s_wait_dscnt 0x0
	v_and_b32_e32 v109, 0xffff0000, v17
	v_lshlrev_b32_e32 v108, 16, v17
	scratch_store_b64 off, v[4:5], off offset:164 ; 8-byte Folded Spill
	s_wait_xcnt 0x0
	v_and_b32_e32 v5, 0xffff0000, v8
	v_lshlrev_b32_e32 v4, 16, v8
	v_dual_lshlrev_b32 v8, 16, v0 :: v_dual_lshlrev_b32 v0, 16, v2
	s_clause 0x1
	scratch_store_b64 off, v[4:5], off offset:172
	scratch_store_b64 off, v[8:9], off offset:196
	s_wait_xcnt 0x1
	v_and_b32_e32 v5, 0xffff0000, v13
	v_lshlrev_b32_e32 v4, 16, v13
	s_wait_xcnt 0x0
	v_and_b32_e32 v9, 0xffff0000, v1
	v_lshlrev_b32_e32 v8, 16, v1
	v_and_b32_e32 v1, 0xffff0000, v2
	s_clause 0x1
	scratch_store_b64 off, v[10:11], off offset:188
	scratch_store_b64 off, v[4:5], off offset:180
	s_wait_xcnt 0x0
	ds_load_b128 v[4:7], v43 offset:128
	scratch_store_b64 off, v[0:1], off offset:212 ; 8-byte Folded Spill
	s_wait_xcnt 0x0
	v_and_b32_e32 v1, 0xffff0000, v3
	v_lshlrev_b32_e32 v0, 16, v3
	scratch_store_b64 off, v[8:9], off offset:204 ; 8-byte Folded Spill
	s_wait_xcnt 0x0
	ds_load_b128 v[8:11], v43 offset:144
	s_wait_dscnt 0x1
	v_lshlrev_b32_e32 v116, 16, v7
	v_and_b32_e32 v111, 0xffff0000, v4
	v_lshlrev_b32_e32 v110, 16, v4
	v_and_b32_e32 v113, 0xffff0000, v5
	;; [unrolled: 2-line block ×3, first 2 shown]
	s_wait_dscnt 0x0
	v_lshlrev_b32_e32 v118, 16, v8
	scratch_store_b64 off, v[0:1], off offset:220 ; 8-byte Folded Spill
	s_wait_xcnt 0x0
	v_and_b32_e32 v1, 0xffff0000, v14
	v_dual_lshlrev_b32 v0, 16, v14 :: v_dual_lshlrev_b32 v120, 16, v9
	v_lshlrev_b32_e32 v114, 16, v6
	v_and_b32_e32 v117, 0xffff0000, v7
	v_and_b32_e32 v119, 0xffff0000, v8
	scratch_store_b64 off, v[0:1], off offset:228 ; 8-byte Folded Spill
	s_wait_xcnt 0x0
	v_and_b32_e32 v1, 0xffff0000, v15
	v_lshlrev_b32_e32 v0, 16, v15
	ds_load_b128 v[12:15], v43 offset:176
	v_and_b32_e32 v121, 0xffff0000, v9
	v_and_b32_e32 v123, 0xffff0000, v10
	v_dual_lshlrev_b32 v122, 16, v10 :: v_dual_lshlrev_b32 v124, 16, v11
	scratch_store_b64 off, v[0:1], off offset:236 ; 8-byte Folded Spill
	s_wait_xcnt 0x0
	v_and_b32_e32 v1, 0xffff0000, v16
	v_lshlrev_b32_e32 v0, 16, v16
	v_and_b32_e32 v125, 0xffff0000, v11
	ds_load_b128 v[4:7], v43 offset:192
	ds_load_b128 v[8:11], v43 offset:208
	s_clause 0x1
	scratch_store_b32 off, v98, off offset:256
	scratch_store_b64 off, v[0:1], off offset:244
	s_wait_xcnt 0x0
	ds_load_b128 v[0:3], v43 offset:160
	s_wait_dscnt 0x3
	v_and_b32_e32 v49, 0xffff0000, v12
	v_dual_lshlrev_b32 v48, 16, v12 :: v_dual_lshlrev_b32 v50, 16, v13
	v_and_b32_e32 v51, 0xffff0000, v13
	v_and_b32_e32 v53, 0xffff0000, v14
	v_dual_lshlrev_b32 v52, 16, v14 :: v_dual_lshlrev_b32 v54, 16, v15
	v_and_b32_e32 v55, 0xffff0000, v15
	s_wait_dscnt 0x2
	v_and_b32_e32 v57, 0xffff0000, v4
	v_dual_lshlrev_b32 v56, 16, v4 :: v_dual_lshlrev_b32 v58, 16, v5
	v_and_b32_e32 v59, 0xffff0000, v5
	s_wait_dscnt 0x0
	v_and_b32_e32 v127, 0xffff0000, v0
	v_dual_lshlrev_b32 v126, 16, v0 :: v_dual_lshlrev_b32 v44, 16, v1
	v_and_b32_e32 v45, 0xffff0000, v1
	v_and_b32_e32 v1, 0xffff0000, v2
	v_dual_lshlrev_b32 v0, 16, v2 :: v_dual_lshlrev_b32 v46, 16, v3
	v_rcp_iflag_f32_e32 v2, s3
	v_and_b32_e32 v47, 0xffff0000, v3
	v_lshl_or_b32 v3, v98, 7, v27
	v_and_b32_e32 v61, 0xffff0000, v6
	v_dual_lshlrev_b32 v60, 16, v6 :: v_dual_lshlrev_b32 v62, 16, v7
	v_and_b32_e32 v63, 0xffff0000, v7
	s_delay_alu instid0(TRANS32_DEP_1)
	v_readfirstlane_b32 s3, v2
	scratch_load_b32 v2, off, off           ; 4-byte Folded Reload
	v_and_b32_e32 v65, 0xffff0000, v8
	v_dual_lshlrev_b32 v64, 16, v8 :: v_dual_lshlrev_b32 v68, 16, v9
	s_mul_f32 s3, s3, 0x4f7ffffe
	v_and_b32_e32 v69, 0xffff0000, v9
	v_and_b32_e32 v71, 0xffff0000, v10
	v_dual_lshlrev_b32 v70, 16, v10 :: v_dual_lshlrev_b32 v72, 16, v11
	s_cvt_u32_f32 s3, s3
	v_and_b32_e32 v73, 0xffff0000, v11
	v_add_nc_u32_e32 v97, 0x100, v3
	s_delay_alu instid0(SALU_CYCLE_1) | instskip(NEXT) | instid1(SALU_CYCLE_1)
	s_mul_i32 s4, s4, s3
	s_mul_hi_u32 s4, s3, s4
	s_delay_alu instid0(SALU_CYCLE_1) | instskip(SKIP_3) | instid1(VALU_DEP_1)
	s_add_co_i32 s24, s3, s4
	s_wait_loadcnt 0x0
	v_lshlrev_b32_e32 v42, 4, v2
	v_subrev_nc_u32_e32 v2, s29, v2
	v_add_nc_u32_e32 v96, 1, v2
	s_delay_alu instid0(VALU_DEP_3) | instskip(SKIP_2) | instid1(SALU_CYCLE_1)
	v_add_nc_u64_e32 v[74:75], s[36:37], v[42:43]
	v_and_b32_e32 v42, 0x7c, v26
	s_lshl_b64 s[36:37], s[18:19], 2
	s_add_nc_u64 s[36:37], s[16:17], s[36:37]
	s_delay_alu instid0(VALU_DEP_1) | instid1(SALU_CYCLE_1)
	v_add_nc_u64_e32 v[76:77], s[36:37], v[42:43]
	v_lshlrev_b32_e32 v42, 5, v98
	s_mov_b32 s36, s25
	s_branch .LBB148_11
.LBB148_10:                             ;   in Loop: Header=BB148_11 Depth=1
	s_wait_xcnt 0x0
	s_or_b32 exec_lo, exec_lo, s4
	v_add_nc_u32_e32 v98, 4, v98
	v_add_nc_u64_e32 v[76:77], 16, v[76:77]
	v_add_nc_u32_e32 v42, 0x80, v42
	v_add_nc_u32_e32 v97, 0x200, v97
	s_delay_alu instid0(VALU_DEP_4) | instskip(SKIP_1) | instid1(SALU_CYCLE_1)
	v_cmp_le_i32_e64 s3, s31, v98
	s_or_b32 s36, s3, s36
	s_and_not1_b32 exec_lo, exec_lo, s36
	s_cbranch_execz .LBB148_15
.LBB148_11:                             ; =>This Inner Loop Header: Depth=1
	s_delay_alu instid0(VALU_DEP_1) | instskip(NEXT) | instid1(VALU_DEP_1)
	v_mul_u64_e32 v[2:3], s[14:15], v[42:43]
	v_mul_lo_u32 v2, v3, s8
	s_delay_alu instid0(VALU_DEP_1) | instskip(NEXT) | instid1(VALU_DEP_1)
	v_dual_add_nc_u32 v4, 1, v3 :: v_dual_sub_nc_u32 v2, v42, v2
	v_subrev_nc_u32_e32 v5, s8, v2
	v_cmp_le_u32_e64 s3, s8, v2
	s_delay_alu instid0(VALU_DEP_1) | instskip(NEXT) | instid1(VALU_DEP_1)
	v_dual_cndmask_b32 v3, v3, v4, s3 :: v_dual_cndmask_b32 v2, v2, v5, s3
	v_add_nc_u32_e32 v4, 1, v3
	s_delay_alu instid0(VALU_DEP_2) | instskip(NEXT) | instid1(VALU_DEP_1)
	v_cmp_le_u32_e64 s3, s8, v2
	v_cndmask_b32_e64 v2, v3, v4, s3
	s_delay_alu instid0(VALU_DEP_1) | instskip(NEXT) | instid1(VALU_DEP_1)
	v_dual_mov_b32 v3, v43 :: v_dual_bitop2_b32 v2, s30, v2 bitop3:0x14
	v_subrev_nc_u32_e32 v6, s30, v2
	s_delay_alu instid0(VALU_DEP_1) | instskip(SKIP_1) | instid1(VALU_DEP_2)
	v_add_nc_u32_e32 v7, s13, v6
	v_cmp_ge_i32_e64 s4, s35, v6
	v_sub_nc_u32_e32 v2, 0, v7
	s_delay_alu instid0(VALU_DEP_1) | instskip(NEXT) | instid1(VALU_DEP_1)
	v_max_i32_e32 v2, v7, v2
	v_mul_u64_e32 v[4:5], s[24:25], v[2:3]
	v_ashrrev_i32_e32 v4, 31, v7
	s_delay_alu instid0(VALU_DEP_2) | instskip(NEXT) | instid1(VALU_DEP_1)
	v_mul_lo_u32 v3, v5, s21
	v_sub_nc_u32_e32 v2, v2, v3
	s_delay_alu instid0(VALU_DEP_1) | instskip(SKIP_1) | instid1(VALU_DEP_1)
	v_subrev_nc_u32_e32 v3, s21, v2
	v_cmp_le_u32_e64 s3, s21, v2
	v_cndmask_b32_e64 v2, v2, v3, s3
	s_delay_alu instid0(VALU_DEP_1) | instskip(SKIP_1) | instid1(VALU_DEP_1)
	v_subrev_nc_u32_e32 v3, s21, v2
	v_cmp_le_u32_e64 s3, s21, v2
	v_cndmask_b32_e64 v2, v2, v3, s3
	s_delay_alu instid0(VALU_DEP_1) | instskip(NEXT) | instid1(VALU_DEP_1)
	v_xor_b32_e32 v2, v2, v4
	v_sub_nc_u32_e32 v2, v2, v4
	s_delay_alu instid0(VALU_DEP_1) | instskip(SKIP_3) | instid1(SALU_CYCLE_1)
	v_cmp_ne_u32_e64 s3, 0, v2
	s_and_b32 s3, s3, s4
	s_wait_xcnt 0x0
	s_and_saveexec_b32 s4, s3
	s_xor_b32 s3, exec_lo, s4
; %bb.12:                               ;   in Loop: Header=BB148_11 Depth=1
	v_mov_b32_e32 v2, 0xff7fffff
	ds_store_b32 v97, v2
; %bb.13:                               ;   in Loop: Header=BB148_11 Depth=1
	s_and_not1_saveexec_b32 s4, s3
	s_cbranch_execz .LBB148_10
; %bb.14:                               ;   in Loop: Header=BB148_11 Depth=1
	global_load_b32 v2, v[76:77], off
	scratch_load_b32 v4, off, off           ; 4-byte Folded Reload
	v_add_nc_u32_e32 v5, v96, v42
	s_delay_alu instid0(VALU_DEP_1) | instskip(NEXT) | instid1(VALU_DEP_1)
	v_cvt_f32_i32_e32 v5, v5
	v_mul_f32_e32 v5, s34, v5
	s_wait_loadcnt 0x1
	s_delay_alu instid0(VALU_DEP_1) | instskip(SKIP_2) | instid1(VALU_DEP_2)
	v_dual_cndmask_b32 v99, 0, v5, vcc_lo :: v_dual_ashrrev_i32 v3, 31, v2
	s_wait_loadcnt 0x0
	v_add_nc_u32_e32 v4, v4, v42
	v_mul_u64_e32 v[2:3], s[10:11], v[2:3]
	s_delay_alu instid0(VALU_DEP_2) | instskip(NEXT) | instid1(VALU_DEP_2)
	v_cmp_gt_i32_e64 s3, s29, v4
	v_lshl_add_u64 v[2:3], v[2:3], 1, v[74:75]
	s_clause 0x1
	global_load_b128 v[4:7], v[2:3], off
	global_load_b128 v[8:11], v[2:3], off offset:512
	scratch_load_b64 v[16:17], off, off offset:36 ; 8-byte Folded Reload
	s_wait_loadcnt 0x2
	v_and_b32_e32 v13, 0xffff0000, v4
	s_wait_loadcnt 0x1
	v_and_b32_e32 v15, 0xffff0000, v8
	v_lshlrev_b32_e32 v14, 16, v8
	v_dual_lshlrev_b32 v12, 16, v4 :: v_dual_lshlrev_b32 v4, 16, v9
	s_wait_loadcnt 0x0
	s_delay_alu instid0(VALU_DEP_2)
	v_pk_mul_f32 v[14:15], v[16:17], v[14:15]
	scratch_load_b64 v[16:17], off, off offset:4 ; 8-byte Folded Reload
	s_wait_loadcnt 0x0
	v_pk_fma_f32 v[78:79], v[16:17], v[12:13], v[14:15]
	v_and_b32_e32 v13, 0xffff0000, v5
	v_lshlrev_b32_e32 v12, 16, v5
	v_and_b32_e32 v5, 0xffff0000, v9
	scratch_load_b64 v[8:9], off, off offset:44 ; 8-byte Folded Reload
	s_wait_loadcnt 0x0
	v_pk_mul_f32 v[4:5], v[8:9], v[4:5]
	scratch_load_b64 v[8:9], off, off offset:12 ; 8-byte Folded Reload
	s_wait_loadcnt 0x0
	v_pk_fma_f32 v[92:93], v[8:9], v[12:13], v[4:5]
	scratch_load_b64 v[12:13], off, off offset:52 ; 8-byte Folded Reload
	v_and_b32_e32 v9, 0xffff0000, v10
	v_lshlrev_b32_e32 v8, 16, v10
	v_and_b32_e32 v5, 0xffff0000, v6
	v_dual_lshlrev_b32 v4, 16, v6 :: v_dual_lshlrev_b32 v6, 16, v11
	s_wait_loadcnt 0x0
	s_delay_alu instid0(VALU_DEP_3)
	v_pk_mul_f32 v[8:9], v[12:13], v[8:9]
	scratch_load_b64 v[12:13], off, off offset:20 ; 8-byte Folded Reload
	s_wait_loadcnt 0x0
	v_pk_fma_f32 v[86:87], v[12:13], v[4:5], v[8:9]
	scratch_load_b64 v[8:9], off, off offset:60 ; 8-byte Folded Reload
	v_and_b32_e32 v5, 0xffff0000, v7
	v_lshlrev_b32_e32 v4, 16, v7
	v_and_b32_e32 v7, 0xffff0000, v11
	s_wait_loadcnt 0x0
	s_delay_alu instid0(VALU_DEP_1)
	v_pk_mul_f32 v[6:7], v[8:9], v[6:7]
	scratch_load_b64 v[8:9], off, off offset:28 ; 8-byte Folded Reload
	s_wait_loadcnt 0x0
	v_pk_fma_f32 v[80:81], v[8:9], v[4:5], v[6:7]
	global_load_b128 v[4:7], v[2:3], off offset:1024
	s_wait_loadcnt 0x0
	v_and_b32_e32 v101, 0xffff0000, v4
	v_dual_lshlrev_b32 v100, 16, v4 :: v_dual_lshlrev_b32 v88, 16, v6
	v_and_b32_e32 v95, 0xffff0000, v5
	v_lshlrev_b32_e32 v94, 16, v5
	v_and_b32_e32 v89, 0xffff0000, v6
	v_and_b32_e32 v83, 0xffff0000, v7
	v_lshlrev_b32_e32 v82, 16, v7
	global_load_b128 v[4:7], v[2:3], off offset:1536
	s_wait_loadcnt 0x0
	v_and_b32_e32 v103, 0xffff0000, v4
	v_lshlrev_b32_e32 v102, 16, v4
	v_and_b32_e32 v105, 0xffff0000, v5
	v_dual_lshlrev_b32 v104, 16, v5 :: v_dual_lshlrev_b32 v90, 16, v6
	v_and_b32_e32 v91, 0xffff0000, v6
	v_and_b32_e32 v85, 0xffff0000, v7
	v_lshlrev_b32_e32 v84, 16, v7
	s_clause 0x9
	global_load_b128 v[38:41], v[2:3], off offset:2048
	global_load_b128 v[34:37], v[2:3], off offset:2560
	;; [unrolled: 1-line block ×10, first 2 shown]
	scratch_load_b64 v[106:107], off, off offset:68 ; 8-byte Folded Reload
	s_wait_loadcnt 0x0
	v_pk_fma_f32 v[78:79], v[106:107], v[100:101], v[78:79]
	scratch_load_b64 v[100:101], off, off offset:100 ; 8-byte Folded Reload
	s_wait_loadcnt 0x0
	v_pk_fma_f32 v[78:79], v[100:101], v[102:103], v[78:79]
	scratch_load_b64 v[102:103], off, off offset:132 ; 8-byte Folded Reload
	v_and_b32_e32 v101, 0xffff0000, v38
	v_lshlrev_b32_e32 v100, 16, v38
	s_wait_loadcnt 0x0
	s_delay_alu instid0(VALU_DEP_1) | instskip(SKIP_4) | instid1(VALU_DEP_1)
	v_pk_fma_f32 v[78:79], v[102:103], v[100:101], v[78:79]
	scratch_load_b64 v[102:103], off, off offset:140 ; 8-byte Folded Reload
	v_and_b32_e32 v101, 0xffff0000, v34
	v_lshlrev_b32_e32 v100, 16, v34
	s_wait_loadcnt 0x0
	v_pk_fma_f32 v[78:79], v[102:103], v[100:101], v[78:79]
	scratch_load_b64 v[102:103], off, off offset:196 ; 8-byte Folded Reload
	v_and_b32_e32 v101, 0xffff0000, v30
	v_lshlrev_b32_e32 v100, 16, v30
	s_wait_loadcnt 0x0
	s_delay_alu instid0(VALU_DEP_1) | instskip(SKIP_4) | instid1(VALU_DEP_1)
	v_pk_fma_f32 v[78:79], v[102:103], v[100:101], v[78:79]
	scratch_load_b64 v[102:103], off, off offset:228 ; 8-byte Folded Reload
	v_and_b32_e32 v101, 0xffff0000, v26
	v_lshlrev_b32_e32 v100, 16, v26
	s_wait_loadcnt 0x0
	v_pk_fma_f32 v[78:79], v[102:103], v[100:101], v[78:79]
	v_and_b32_e32 v101, 0xffff0000, v22
	v_lshlrev_b32_e32 v100, 16, v22
	s_delay_alu instid0(VALU_DEP_1) | instskip(SKIP_2) | instid1(VALU_DEP_1)
	v_pk_fma_f32 v[78:79], v[110:111], v[100:101], v[78:79]
	v_and_b32_e32 v101, 0xffff0000, v18
	v_lshlrev_b32_e32 v100, 16, v18
	v_pk_fma_f32 v[78:79], v[118:119], v[100:101], v[78:79]
	v_and_b32_e32 v101, 0xffff0000, v14
	v_lshlrev_b32_e32 v100, 16, v14
	s_delay_alu instid0(VALU_DEP_1) | instskip(SKIP_2) | instid1(VALU_DEP_1)
	v_pk_fma_f32 v[78:79], v[126:127], v[100:101], v[78:79]
	v_and_b32_e32 v101, 0xffff0000, v10
	v_lshlrev_b32_e32 v100, 16, v10
	v_pk_fma_f32 v[78:79], v[48:49], v[100:101], v[78:79]
	v_and_b32_e32 v101, 0xffff0000, v6
	v_lshlrev_b32_e32 v100, 16, v6
	s_delay_alu instid0(VALU_DEP_1) | instskip(SKIP_2) | instid1(VALU_DEP_1)
	v_pk_fma_f32 v[78:79], v[56:57], v[100:101], v[78:79]
	v_and_b32_e32 v101, 0xffff0000, v2
	v_lshlrev_b32_e32 v100, 16, v2
	v_pk_fma_f32 v[78:79], v[64:65], v[100:101], v[78:79]
	scratch_load_b64 v[100:101], off, off offset:76 ; 8-byte Folded Reload
	s_wait_loadcnt 0x0
	v_pk_fma_f32 v[92:93], v[100:101], v[94:95], v[92:93]
	scratch_load_b64 v[94:95], off, off offset:108 ; 8-byte Folded Reload
	s_wait_loadcnt 0x0
	v_pk_fma_f32 v[92:93], v[94:95], v[104:105], v[92:93]
	v_and_b32_e32 v95, 0xffff0000, v39
	v_lshlrev_b32_e32 v94, 16, v39
	scratch_load_b64 v[38:39], off, off offset:148 ; 8-byte Folded Reload
	s_wait_loadcnt 0x0
	v_pk_fma_f32 v[38:39], v[38:39], v[94:95], v[92:93]
	v_and_b32_e32 v93, 0xffff0000, v35
	v_lshlrev_b32_e32 v92, 16, v35
	;; [unrolled: 5-line block ×5, first 2 shown]
	s_delay_alu instid0(VALU_DEP_1) | instskip(SKIP_2) | instid1(VALU_DEP_1)
	v_pk_fma_f32 v[22:23], v[112:113], v[30:31], v[26:27]
	v_and_b32_e32 v27, 0xffff0000, v19
	v_lshlrev_b32_e32 v26, 16, v19
	v_pk_fma_f32 v[18:19], v[120:121], v[26:27], v[22:23]
	v_and_b32_e32 v23, 0xffff0000, v15
	v_lshlrev_b32_e32 v22, 16, v15
	s_delay_alu instid0(VALU_DEP_1) | instskip(SKIP_2) | instid1(VALU_DEP_1)
	v_pk_fma_f32 v[14:15], v[44:45], v[22:23], v[18:19]
	v_and_b32_e32 v19, 0xffff0000, v11
	v_lshlrev_b32_e32 v18, 16, v11
	v_pk_fma_f32 v[10:11], v[50:51], v[18:19], v[14:15]
	v_and_b32_e32 v15, 0xffff0000, v7
	v_lshlrev_b32_e32 v14, 16, v7
	scratch_load_b64 v[18:19], off, off offset:180 ; 8-byte Folded Reload
	v_pk_fma_f32 v[6:7], v[58:59], v[14:15], v[10:11]
	v_and_b32_e32 v11, 0xffff0000, v3
	v_lshlrev_b32_e32 v10, 16, v3
	scratch_load_b64 v[14:15], off, off offset:164 ; 8-byte Folded Reload
	s_wait_xcnt 0xe
	v_pk_fma_f32 v[2:3], v[68:69], v[10:11], v[6:7]
	s_clause 0x1
	scratch_load_b64 v[6:7], off, off offset:84
	scratch_load_b64 v[10:11], off, off offset:116
	s_wait_loadcnt 0x1
	v_pk_fma_f32 v[6:7], v[6:7], v[88:89], v[86:87]
	s_wait_loadcnt 0x0
	s_delay_alu instid0(VALU_DEP_1) | instskip(SKIP_2) | instid1(VALU_DEP_1)
	v_pk_fma_f32 v[6:7], v[10:11], v[90:91], v[6:7]
	v_and_b32_e32 v11, 0xffff0000, v40
	v_lshlrev_b32_e32 v10, 16, v40
	v_pk_fma_f32 v[6:7], v[14:15], v[10:11], v[6:7]
	scratch_load_b64 v[14:15], off, off offset:172 ; 8-byte Folded Reload
	v_and_b32_e32 v11, 0xffff0000, v36
	v_lshlrev_b32_e32 v10, 16, v36
	s_wait_loadcnt 0x0
	s_delay_alu instid0(VALU_DEP_1) | instskip(SKIP_4) | instid1(VALU_DEP_1)
	v_pk_fma_f32 v[6:7], v[14:15], v[10:11], v[6:7]
	scratch_load_b64 v[14:15], off, off offset:212 ; 8-byte Folded Reload
	v_and_b32_e32 v11, 0xffff0000, v32
	v_lshlrev_b32_e32 v10, 16, v32
	s_wait_loadcnt 0x0
	v_pk_fma_f32 v[6:7], v[14:15], v[10:11], v[6:7]
	scratch_load_b64 v[14:15], off, off offset:244 ; 8-byte Folded Reload
	v_and_b32_e32 v11, 0xffff0000, v28
	v_lshlrev_b32_e32 v10, 16, v28
	s_wait_loadcnt 0x0
	s_delay_alu instid0(VALU_DEP_1)
	v_pk_fma_f32 v[6:7], v[14:15], v[10:11], v[6:7]
	v_and_b32_e32 v11, 0xffff0000, v24
	v_lshlrev_b32_e32 v10, 16, v24
	scratch_load_b64 v[14:15], off, off offset:124 ; 8-byte Folded Reload
	v_pk_fma_f32 v[6:7], v[114:115], v[10:11], v[6:7]
	v_and_b32_e32 v11, 0xffff0000, v20
	v_lshlrev_b32_e32 v10, 16, v20
	s_delay_alu instid0(VALU_DEP_1) | instskip(SKIP_2) | instid1(VALU_DEP_1)
	v_pk_fma_f32 v[6:7], v[122:123], v[10:11], v[6:7]
	v_and_b32_e32 v11, 0xffff0000, v16
	v_lshlrev_b32_e32 v10, 16, v16
	v_pk_fma_f32 v[6:7], v[0:1], v[10:11], v[6:7]
	v_and_b32_e32 v11, 0xffff0000, v12
	v_dual_lshlrev_b32 v10, 16, v12 :: v_dual_lshlrev_b32 v12, 16, v9
	s_delay_alu instid0(VALU_DEP_1) | instskip(SKIP_2) | instid1(VALU_DEP_1)
	v_pk_fma_f32 v[6:7], v[52:53], v[10:11], v[6:7]
	v_and_b32_e32 v11, 0xffff0000, v8
	v_lshlrev_b32_e32 v10, 16, v8
	v_pk_fma_f32 v[6:7], v[60:61], v[10:11], v[6:7]
	v_and_b32_e32 v11, 0xffff0000, v4
	v_lshlrev_b32_e32 v10, 16, v4
	s_delay_alu instid0(VALU_DEP_1) | instskip(SKIP_3) | instid1(VALU_DEP_1)
	v_pk_fma_f32 v[6:7], v[70:71], v[10:11], v[6:7]
	scratch_load_b64 v[10:11], off, off offset:92 ; 8-byte Folded Reload
	s_wait_loadcnt 0x0
	v_pk_fma_f32 v[10:11], v[10:11], v[82:83], v[80:81]
	v_pk_fma_f32 v[10:11], v[14:15], v[84:85], v[10:11]
	v_and_b32_e32 v15, 0xffff0000, v41
	v_lshlrev_b32_e32 v14, 16, v41
	s_delay_alu instid0(VALU_DEP_1) | instskip(SKIP_4) | instid1(VALU_DEP_1)
	v_pk_fma_f32 v[10:11], v[18:19], v[14:15], v[10:11]
	scratch_load_b64 v[18:19], off, off offset:188 ; 8-byte Folded Reload
	v_and_b32_e32 v15, 0xffff0000, v37
	v_lshlrev_b32_e32 v14, 16, v37
	s_wait_loadcnt 0x0
	v_pk_fma_f32 v[10:11], v[18:19], v[14:15], v[10:11]
	scratch_load_b64 v[18:19], off, off offset:220 ; 8-byte Folded Reload
	v_and_b32_e32 v15, 0xffff0000, v33
	v_lshlrev_b32_e32 v14, 16, v33
	s_wait_loadcnt 0x0
	s_delay_alu instid0(VALU_DEP_1) | instskip(SKIP_2) | instid1(VALU_DEP_1)
	v_pk_fma_f32 v[10:11], v[18:19], v[14:15], v[10:11]
	v_and_b32_e32 v15, 0xffff0000, v29
	v_lshlrev_b32_e32 v14, 16, v29
	v_pk_fma_f32 v[10:11], v[108:109], v[14:15], v[10:11]
	v_and_b32_e32 v15, 0xffff0000, v25
	v_lshlrev_b32_e32 v14, 16, v25
	s_delay_alu instid0(VALU_DEP_1) | instskip(SKIP_2) | instid1(VALU_DEP_1)
	v_pk_fma_f32 v[10:11], v[116:117], v[14:15], v[10:11]
	v_and_b32_e32 v15, 0xffff0000, v21
	v_lshlrev_b32_e32 v14, 16, v21
	v_pk_fma_f32 v[10:11], v[124:125], v[14:15], v[10:11]
	v_and_b32_e32 v15, 0xffff0000, v17
	v_lshlrev_b32_e32 v14, 16, v17
	s_delay_alu instid0(VALU_DEP_1) | instskip(SKIP_3) | instid1(VALU_DEP_2)
	v_pk_fma_f32 v[10:11], v[46:47], v[14:15], v[10:11]
	v_and_b32_e32 v15, 0xffff0000, v13
	v_lshlrev_b32_e32 v14, 16, v13
	v_and_b32_e32 v13, 0xffff0000, v9
	v_pk_fma_f32 v[10:11], v[54:55], v[14:15], v[10:11]
	s_delay_alu instid0(VALU_DEP_1) | instskip(SKIP_2) | instid1(VALU_DEP_1)
	v_pk_fma_f32 v[8:9], v[62:63], v[12:13], v[10:11]
	v_and_b32_e32 v11, 0xffff0000, v5
	v_lshlrev_b32_e32 v10, 16, v5
	v_pk_fma_f32 v[4:5], v[72:73], v[10:11], v[8:9]
	v_add_f32_e32 v8, v78, v79
	s_delay_alu instid0(VALU_DEP_1) | instskip(NEXT) | instid1(VALU_DEP_1)
	v_add_f32_e32 v2, v8, v2
	v_add_f32_e32 v2, v3, v2
	s_delay_alu instid0(VALU_DEP_1) | instskip(NEXT) | instid1(VALU_DEP_1)
	v_dual_max_num_f32 v3, v67, v67 :: v_dual_add_f32 v2, v6, v2
	v_add_f32_e32 v2, v7, v2
	s_delay_alu instid0(VALU_DEP_1) | instskip(NEXT) | instid1(VALU_DEP_1)
	v_add_f32_e32 v2, v4, v2
	v_add_f32_e32 v2, v5, v2
	s_delay_alu instid0(VALU_DEP_1) | instskip(NEXT) | instid1(VALU_DEP_1)
	v_fmac_f32_e32 v99, s23, v2
	v_dual_max_num_f32 v3, v3, v99 :: v_dual_cndmask_b32 v2, 0, v99, s3
	s_delay_alu instid0(VALU_DEP_1)
	v_cndmask_b32_e64 v67, v67, v3, s3
	ds_store_b32 v97, v2
	s_branch .LBB148_10
.LBB148_15:
	s_or_b32 exec_lo, exec_lo, s36
	s_clause 0x4
	scratch_load_b32 v101, off, off offset:252
	scratch_load_b32 v102, off, off offset:256
	;; [unrolled: 1-line block ×5, first 2 shown]
.LBB148_16:
	s_wait_xcnt 0x0
	s_or_b32 exec_lo, exec_lo, s22
	v_mbcnt_lo_u32_b32 v3, -1, 0
	s_clause 0x1
	s_load_b64 s[10:11], s[0:1], 0x0
	s_load_b64 s[22:23], s[0:1], 0x18
	v_max_num_f32_e32 v4, v67, v67
	v_xor_b32_e32 v2, 8, v3
	v_xor_b32_e32 v0, 16, v3
	s_delay_alu instid0(VALU_DEP_1) | instskip(SKIP_1) | instid1(VALU_DEP_1)
	v_cmp_gt_i32_e32 vcc_lo, 32, v0
	v_cndmask_b32_e32 v0, v3, v0, vcc_lo
	v_lshlrev_b32_e32 v0, 2, v0
	ds_bpermute_b32 v1, v0, v67
	s_wait_dscnt 0x0
	v_max_num_f32_e32 v5, v1, v1
	s_delay_alu instid0(VALU_DEP_1) | instskip(SKIP_2) | instid1(VALU_DEP_1)
	v_max_num_f32_e32 v4, v4, v5
	v_cmp_gt_i32_e32 vcc_lo, 32, v2
	v_dual_cndmask_b32 v2, v3, v2, vcc_lo :: v_dual_bitop2_b32 v5, 4, v3 bitop3:0x14
	v_cmp_gt_i32_e32 vcc_lo, 32, v5
	s_delay_alu instid0(VALU_DEP_2) | instskip(SKIP_3) | instid1(VALU_DEP_1)
	v_lshlrev_b32_e32 v1, 2, v2
	ds_bpermute_b32 v2, v1, v4
	s_wait_dscnt 0x0
	v_dual_cndmask_b32 v5, v3, v5 :: v_dual_max_num_f32 v6, v2, v2
	v_dual_lshlrev_b32 v2, 2, v5 :: v_dual_max_num_f32 v4, v4, v6
	ds_bpermute_b32 v5, v2, v4
	s_wait_dscnt 0x0
	v_dual_max_num_f32 v5, v5, v5 :: v_dual_bitop2_b32 v6, 2, v3 bitop3:0x14
	s_delay_alu instid0(VALU_DEP_1) | instskip(NEXT) | instid1(VALU_DEP_2)
	v_cmp_gt_i32_e32 vcc_lo, 32, v6
	v_dual_max_num_f32 v4, v4, v5 :: v_dual_cndmask_b32 v6, v3, v6, vcc_lo
	s_delay_alu instid0(VALU_DEP_1) | instskip(SKIP_3) | instid1(VALU_DEP_1)
	v_dual_lshlrev_b32 v85, 2, v6 :: v_dual_bitop2_b32 v6, 1, v3 bitop3:0x14
	ds_bpermute_b32 v5, v85, v4
	v_cmp_gt_i32_e32 vcc_lo, 32, v6
	v_cndmask_b32_e32 v3, v3, v6, vcc_lo
	v_lshlrev_b32_e32 v84, 2, v3
	scratch_load_b32 v3, off, off           ; 4-byte Folded Reload
	s_wait_dscnt 0x0
	v_max_num_f32_e32 v5, v5, v5
	s_delay_alu instid0(VALU_DEP_1)
	v_max_num_f32_e32 v4, v4, v5
	ds_bpermute_b32 v5, v84, v4
	s_wait_loadcnt 0x0
	v_cmp_eq_u32_e32 vcc_lo, 0, v3
	v_lshlrev_b32_e32 v3, 2, v102
	s_wait_xcnt 0x0
	s_and_saveexec_b32 s0, vcc_lo
	s_cbranch_execz .LBB148_18
; %bb.17:
	s_wait_dscnt 0x0
	v_dual_max_num_f32 v5, v5, v5 :: v_dual_max_num_f32 v4, v4, v4
	s_delay_alu instid0(VALU_DEP_1)
	v_max_num_f32_e32 v4, v4, v5
	ds_store_b32 v3, v4 offset:224
.LBB148_18:
	s_or_b32 exec_lo, exec_lo, s0
	scratch_load_b32 v4, off, off           ; 4-byte Folded Reload
	s_wait_storecnt 0x0
	s_wait_loadcnt_dscnt 0x0
	s_barrier_signal -1
	s_barrier_wait -1
	v_cmp_gt_u32_e64 s0, 4, v4
	v_mov_b32_e32 v4, 0xff7fffff
	s_and_saveexec_b32 s1, s0
; %bb.19:
	ds_load_b32 v4, v27 offset:224
; %bb.20:
	s_or_b32 exec_lo, exec_lo, s1
	s_wait_dscnt 0x0
	ds_bpermute_b32 v5, v85, v4
	v_max_num_f32_e32 v4, v4, v4
	s_lshl_b32 s1, s31, 5
	s_delay_alu instid0(SALU_CYCLE_1) | instskip(NEXT) | instid1(SALU_CYCLE_1)
	s_min_i32 s4, s1, s29
	v_cmp_gt_i32_e64 s1, s4, v101
	s_wait_dscnt 0x0
	v_max_num_f32_e32 v5, v5, v5
	s_delay_alu instid0(VALU_DEP_1) | instskip(SKIP_3) | instid1(VALU_DEP_1)
	v_max_num_f32_e32 v4, v4, v5
	ds_bpermute_b32 v5, v84, v4
	s_wait_dscnt 0x0
	v_max_num_f32_e32 v5, v5, v5
	v_dual_max_num_f32 v5, v4, v5 :: v_dual_mov_b32 v4, 0
	ds_bpermute_b32 v5, v4, v5
	s_and_saveexec_b32 s21, s1
	s_cbranch_execz .LBB148_24
; %bb.21:
	v_lshl_add_u32 v6, v101, 2, 0x100
	v_dual_mov_b32 v4, 0 :: v_dual_mov_b32 v7, v101
	s_mov_b32 s24, 0
.LBB148_22:                             ; =>This Inner Loop Header: Depth=1
	ds_load_b32 v8, v6
	v_add_nc_u32_e32 v7, 0x80, v7
	s_delay_alu instid0(VALU_DEP_1) | instskip(SKIP_3) | instid1(VALU_DEP_1)
	v_cmp_le_i32_e64 s3, s4, v7
	s_or_b32 s24, s3, s24
	s_wait_dscnt 0x0
	v_sub_f32_e32 v8, v8, v5
	v_mul_f32_e32 v8, 0x3fb8aa3b, v8
	s_delay_alu instid0(VALU_DEP_1)
	v_exp_f32_e32 v8, v8
	ds_store_b32 v6, v8
	v_nop
	v_add_f32_e32 v4, v4, v8
	v_add_nc_u32_e32 v6, 0x200, v6
	s_and_not1_b32 exec_lo, exec_lo, s24
	s_cbranch_execnz .LBB148_22
; %bb.23:
	s_or_b32 exec_lo, exec_lo, s24
.LBB148_24:
	s_delay_alu instid0(SALU_CYCLE_1)
	s_or_b32 exec_lo, exec_lo, s21
	ds_bpermute_b32 v0, v0, v4
	s_wait_dscnt 0x0
	v_add_f32_e32 v0, v4, v0
	ds_bpermute_b32 v1, v1, v0
	s_wait_dscnt 0x0
	v_add_f32_e32 v0, v0, v1
	;; [unrolled: 3-line block ×5, first 2 shown]
	s_and_saveexec_b32 s3, vcc_lo
; %bb.25:
	ds_store_b32 v3, v0 offset:240
; %bb.26:
	s_or_b32 exec_lo, exec_lo, s3
	s_wait_dscnt 0x0
	s_barrier_signal -1
	s_barrier_wait -1
	s_and_saveexec_b32 s3, s0
; %bb.27:
	ds_load_b32 v0, v27 offset:240
; %bb.28:
	s_or_b32 exec_lo, exec_lo, s3
	s_wait_dscnt 0x0
	ds_bpermute_b32 v1, v85, v0
	s_wait_dscnt 0x0
	v_dual_mov_b32 v69, 0 :: v_dual_add_f32 v0, v0, v1
	ds_bpermute_b32 v1, v84, v0
	s_wait_dscnt 0x0
	v_add_f32_e32 v0, v0, v1
	ds_bpermute_b32 v0, v69, v0
	s_and_saveexec_b32 s0, s1
	s_cbranch_execz .LBB148_41
; %bb.29:
	s_wait_dscnt 0x0
	v_add_f32_e32 v0, 0x358637bd, v0
	s_mov_b32 s3, -1
	s_mov_b32 s1, exec_lo
	s_delay_alu instid0(VALU_DEP_1) | instskip(NEXT) | instid1(VALU_DEP_1)
	v_div_scale_f32 v1, null, v0, v0, 1.0
	v_rcp_f32_e32 v3, v1
	v_nop
	s_delay_alu instid0(TRANS32_DEP_1) | instskip(NEXT) | instid1(VALU_DEP_1)
	v_fma_f32 v2, -v1, v3, 1.0
	v_fmac_f32_e32 v3, v2, v3
	v_div_scale_f32 v4, vcc_lo, 1.0, v0, 1.0
	s_delay_alu instid0(VALU_DEP_1) | instskip(NEXT) | instid1(VALU_DEP_1)
	v_mul_f32_e32 v5, v4, v3
	v_fma_f32 v2, -v1, v5, v4
	s_delay_alu instid0(VALU_DEP_1) | instskip(SKIP_1) | instid1(VALU_DEP_2)
	v_fmac_f32_e32 v5, v2, v3
	v_xad_u32 v2, v101, -1, s4
	v_fma_f32 v1, -v1, v5, v4
	s_delay_alu instid0(VALU_DEP_1) | instskip(NEXT) | instid1(VALU_DEP_1)
	v_div_fmas_f32 v1, v1, v3, v5
	v_div_fixup_f32 v0, v1, v0, 1.0
	v_mov_b32_e32 v1, v101
	v_cmpx_lt_u32_e32 0x7f, v2
	s_cbranch_execz .LBB148_38
; %bb.30:
	s_delay_alu instid0(VALU_DEP_3) | instskip(NEXT) | instid1(VALU_DEP_1)
	v_dual_mov_b32 v1, v0 :: v_dual_lshrrev_b32 v2, 7, v2
	v_dual_mov_b32 v6, 0 :: v_dual_add_nc_u32 v3, -1, v2
	s_delay_alu instid0(VALU_DEP_1) | instskip(SKIP_1) | instid1(VALU_DEP_2)
	v_lshrrev_b32_e32 v4, 1, v3
	v_cmp_lt_u32_e32 vcc_lo, 13, v3
	v_add_nc_u32_e32 v3, 1, v4
	s_and_saveexec_b32 s3, vcc_lo
	s_cbranch_execz .LBB148_34
; %bb.31:
	s_delay_alu instid0(VALU_DEP_1)
	v_and_b32_e32 v4, -8, v3
	v_lshl_add_u32 v5, v101, 2, 0x100
	s_mov_b32 s21, 0
	s_mov_b32 s24, 0
.LBB148_32:                             ; =>This Inner Loop Header: Depth=1
	ds_load_2addr_stride64_b32 v[6:7], v5 offset1:2
	ds_load_2addr_stride64_b32 v[8:9], v5 offset0:4 offset1:6
	ds_load_2addr_stride64_b32 v[10:11], v5 offset0:8 offset1:10
	;; [unrolled: 1-line block ×7, first 2 shown]
	s_add_co_i32 s24, s24, 16
	v_add_nc_u32_e32 v4, -8, v4
	s_wait_dscnt 0x7
	v_pk_mul_f32 v[6:7], v[0:1], v[6:7]
	s_wait_dscnt 0x6
	v_pk_mul_f32 v[8:9], v[0:1], v[8:9]
	;; [unrolled: 2-line block ×8, first 2 shown]
	ds_store_2addr_stride64_b32 v5, v6, v7 offset1:2
	ds_store_2addr_stride64_b32 v5, v8, v9 offset0:4 offset1:6
	ds_store_2addr_stride64_b32 v5, v10, v11 offset0:8 offset1:10
	;; [unrolled: 1-line block ×7, first 2 shown]
	v_mov_b32_e32 v6, s24
	v_cmp_eq_u32_e32 vcc_lo, 0, v4
	v_add_nc_u32_e32 v5, 0x2000, v5
	s_or_b32 s21, vcc_lo, s21
	s_delay_alu instid0(SALU_CYCLE_1)
	s_and_not1_b32 exec_lo, exec_lo, s21
	s_cbranch_execnz .LBB148_32
; %bb.33:
	s_or_b32 exec_lo, exec_lo, s21
.LBB148_34:
	s_delay_alu instid0(SALU_CYCLE_1) | instskip(NEXT) | instid1(VALU_DEP_1)
	s_or_b32 exec_lo, exec_lo, s3
	v_and_b32_e32 v3, 7, v3
	s_mov_b32 s21, 0
	s_mov_b32 s3, exec_lo
	s_delay_alu instid0(VALU_DEP_1)
	v_cmpx_ne_u32_e32 0, v3
	s_cbranch_execz .LBB148_37
; %bb.35:
	v_dual_lshlrev_b32 v4, 9, v6 :: v_dual_lshlrev_b32 v5, 2, v101
	s_delay_alu instid0(VALU_DEP_1)
	v_add3_u32 v4, v4, v5, 0x100
.LBB148_36:                             ; =>This Inner Loop Header: Depth=1
	ds_load_2addr_stride64_b32 v[6:7], v4 offset1:2
	v_add_nc_u32_e32 v3, -1, v3
	s_delay_alu instid0(VALU_DEP_1)
	v_cmp_eq_u32_e32 vcc_lo, 0, v3
	s_or_b32 s21, vcc_lo, s21
	s_wait_dscnt 0x0
	v_pk_mul_f32 v[6:7], v[0:1], v[6:7]
	ds_store_2addr_stride64_b32 v4, v6, v7 offset1:2
	v_add_nc_u32_e32 v4, 0x400, v4
	s_and_not1_b32 exec_lo, exec_lo, s21
	s_cbranch_execnz .LBB148_36
.LBB148_37:
	s_or_b32 exec_lo, exec_lo, s3
	v_add_nc_u32_e32 v1, 1, v2
	s_delay_alu instid0(VALU_DEP_1) | instskip(NEXT) | instid1(VALU_DEP_1)
	v_and_b32_e32 v2, 0x3fffffe, v1
	v_cmp_ne_u32_e32 vcc_lo, v1, v2
	v_lshl_add_u32 v1, v2, 7, v101
	s_or_not1_b32 s3, vcc_lo, exec_lo
.LBB148_38:
	s_or_b32 exec_lo, exec_lo, s1
	s_delay_alu instid0(SALU_CYCLE_1)
	s_and_b32 exec_lo, exec_lo, s3
	s_cbranch_execz .LBB148_41
; %bb.39:
	v_lshl_add_u32 v2, v1, 2, 0x100
	s_mov_b32 s1, 0
.LBB148_40:                             ; =>This Inner Loop Header: Depth=1
	ds_load_b32 v3, v2
	v_add_nc_u32_e32 v1, 0x80, v1
	s_delay_alu instid0(VALU_DEP_1)
	v_cmp_le_i32_e32 vcc_lo, s4, v1
	s_or_b32 s1, vcc_lo, s1
	s_wait_dscnt 0x0
	v_mul_f32_e32 v3, v0, v3
	ds_store_b32 v2, v3
	v_add_nc_u32_e32 v2, 0x200, v2
	s_and_not1_b32 exec_lo, exec_lo, s1
	s_cbranch_execnz .LBB148_40
.LBB148_41:
	s_or_b32 exec_lo, exec_lo, s0
	v_dual_mov_b32 v68, 0 :: v_dual_bitop2_b32 v86, 3, v101 bitop3:0x40
	s_wait_dscnt 0x0
	v_dual_mov_b32 v1, 0 :: v_dual_mov_b32 v0, 0
	v_dual_mov_b32 v71, 0 :: v_dual_mov_b32 v70, 0
	;; [unrolled: 1-line block ×6, first 2 shown]
	s_barrier_signal -1
	s_barrier_wait -1
	s_and_saveexec_b32 s1, s2
	s_cbranch_execz .LBB148_75
; %bb.42:
	s_abs_i32 s6, s6
	v_dual_lshlrev_b32 v3, 3, v101 :: v_dual_mov_b32 v67, 0
	s_cvt_f32_u32 s0, s6
	v_lshlrev_b32_e32 v4, 5, v86
	s_ashr_i32 s21, s20, 31
	v_and_b32_e32 v0, 0x1f0, v22
	v_rcp_iflag_f32_e32 v1, s0
	v_and_b32_e32 v2, 0x7c, v26
	v_dual_mov_b32 v3, v67 :: v_dual_bitop2_b32 v87, 24, v3 bitop3:0x40
	s_lshl_b64 s[18:19], s[18:19], 2
	s_lshl_b64 s[20:21], s[20:21], 1
	s_add_nc_u64 s[16:17], s[16:17], s[18:19]
	s_delay_alu instid0(TRANS32_DEP_1)
	v_readfirstlane_b32 s0, v1
	v_mov_b32_e32 v1, v67
	v_lshl_or_b32 v4, v102, 7, v4
	s_wait_kmcnt 0x0
	s_add_nc_u64 s[18:19], s[22:23], s[20:21]
	s_sub_co_i32 s4, 0, s6
	s_mul_f32 s0, s0, 0x4f7ffffe
	v_add_nc_u64_e32 v[80:81], s[18:19], v[0:1]
	v_add_nc_u64_e32 v[82:83], s[16:17], v[2:3]
	v_dual_mov_b32 v89, v102 :: v_dual_add_nc_u32 v88, 0x100, v4
	s_cvt_u32_f32 s0, s0
	v_dual_mov_b32 v78, v67 :: v_dual_mov_b32 v79, v67
	v_dual_mov_b32 v76, v67 :: v_dual_mov_b32 v77, v67
	s_delay_alu instid0(SALU_CYCLE_1)
	s_mul_i32 s4, s4, s0
	v_dual_mov_b32 v74, v67 :: v_dual_mov_b32 v75, v67
	v_dual_mov_b32 v72, v67 :: v_dual_mov_b32 v73, v67
	;; [unrolled: 1-line block ×4, first 2 shown]
	v_mov_b32_e32 v69, v67
	s_sub_co_i32 s24, s33, s5
	s_mov_b32 s5, 0
	s_mul_hi_u32 s4, s0, s4
	s_ashr_i32 s3, s9, 31
	s_mov_b32 s2, s9
	s_add_co_i32 s9, s31, -1
	s_mov_b32 s16, s29
	s_add_co_i32 s4, s0, s4
	s_mov_b32 s17, s5
	s_branch .LBB148_45
.LBB148_43:                             ;   in Loop: Header=BB148_45 Depth=1
	s_or_b32 exec_lo, exec_lo, s0
	s_wait_dscnt 0x1
	v_cvt_pk_bf16_f32 v23, v22, v23
	v_cvt_pk_bf16_f32 v22, v24, v25
	s_wait_dscnt 0x0
	v_cvt_pk_bf16_f32 v18, v18, v19
	v_cvt_pk_bf16_f32 v19, v20, v21
	s_wait_loadcnt 0x1
	v_pk_mul_bf16 v24, v23, v62
	v_pk_mul_bf16 v25, v22, v63
	;; [unrolled: 1-line block ×5, first 2 shown]
	s_delay_alu instid0(VALU_DEP_4)
	v_dual_lshlrev_b32 v21, 16, v24 :: v_dual_lshlrev_b32 v62, 16, v25
	v_and_b32_e32 v24, 0xffff0000, v24
	v_and_b32_e32 v25, 0xffff0000, v25
	v_lshlrev_b32_e32 v64, 16, v20
	v_and_b32_e32 v20, 0xffff0000, v20
	v_pk_mul_bf16 v55, v22, v55
	s_delay_alu instid0(VALU_DEP_4)
	v_dual_add_f32 v21, v21, v24 :: v_dual_add_f32 v24, v62, v25
	v_pk_mul_bf16 v25, v23, v58
	v_lshlrev_b32_e32 v58, 16, v63
	v_and_b32_e32 v62, 0xffff0000, v63
	v_add_f32_e32 v20, v64, v20
	v_add_f32_e32 v21, v24, v21
	v_pk_mul_bf16 v24, v22, v59
	v_pk_mul_bf16 v59, v18, v60
	v_dual_lshlrev_b32 v60, 16, v25 :: v_dual_add_f32 v58, v58, v62
	s_delay_alu instid0(VALU_DEP_4)
	v_add_f32_e32 v20, v20, v21
	v_and_b32_e32 v21, 0xffff0000, v25
	v_lshlrev_b32_e32 v25, 16, v24
	v_and_b32_e32 v24, 0xffff0000, v24
	v_pk_mul_bf16 v56, v18, v56
	v_dual_add_f32 v20, v58, v20 :: v_dual_lshlrev_b32 v58, 16, v59
	s_delay_alu instid0(VALU_DEP_3) | instskip(SKIP_1) | instid1(VALU_DEP_3)
	v_dual_add_f32 v21, v60, v21 :: v_dual_add_f32 v24, v25, v24
	v_and_b32_e32 v25, 0xffff0000, v59
	v_add_f32_e32 v68, v68, v20
	v_pk_mul_bf16 v20, v19, v61
	v_pk_mul_bf16 v57, v19, v57
	v_add_f32_e32 v21, v24, v21
	v_dual_add_f32 v24, v58, v25 :: v_dual_lshlrev_b32 v25, 16, v54
	v_and_b32_e32 v54, 0xffff0000, v54
	v_dual_lshlrev_b32 v58, 16, v55 :: v_dual_lshlrev_b32 v59, 16, v20
	v_and_b32_e32 v55, 0xffff0000, v55
	v_and_b32_e32 v20, 0xffff0000, v20
	s_delay_alu instid0(VALU_DEP_4) | instskip(SKIP_1) | instid1(VALU_DEP_4)
	v_dual_add_f32 v25, v25, v54 :: v_dual_add_f32 v21, v24, v21
	v_pk_mul_bf16 v50, v23, v50
	v_dual_add_f32 v54, v58, v55 :: v_dual_lshlrev_b32 v55, 16, v56
	v_and_b32_e32 v56, 0xffff0000, v56
	v_add_f32_e32 v20, v59, v20
	v_pk_mul_bf16 v52, v18, v52
	s_delay_alu instid0(VALU_DEP_4) | instskip(NEXT) | instid1(VALU_DEP_4)
	v_add_f32_e32 v24, v54, v25
	v_dual_add_f32 v25, v55, v56 :: v_dual_lshlrev_b32 v54, 16, v57
	v_and_b32_e32 v55, 0xffff0000, v57
	v_add_f32_e32 v20, v20, v21
	v_pk_mul_bf16 v21, v22, v51
	s_delay_alu instid0(VALU_DEP_4) | instskip(NEXT) | instid1(VALU_DEP_4)
	v_dual_add_f32 v24, v25, v24 :: v_dual_lshlrev_b32 v51, 16, v50
	v_add_f32_e32 v25, v54, v55
	v_and_b32_e32 v50, 0xffff0000, v50
	s_delay_alu instid0(VALU_DEP_4) | instskip(SKIP_1) | instid1(VALU_DEP_3)
	v_dual_add_f32 v1, v1, v20 :: v_dual_lshlrev_b32 v54, 16, v21
	v_and_b32_e32 v21, 0xffff0000, v21
	v_dual_add_f32 v20, v25, v24 :: v_dual_add_f32 v24, v51, v50
	v_lshlrev_b32_e32 v25, 16, v52
	v_and_b32_e32 v50, 0xffff0000, v52
	s_delay_alu instid0(VALU_DEP_4)
	v_add_f32_e32 v21, v54, v21
	v_pk_mul_bf16 v42, v23, v42
	v_pk_mul_bf16 v51, v19, v53
	;; [unrolled: 1-line block ×4, first 2 shown]
	v_add_f32_e32 v21, v21, v24
	v_add_f32_e32 v24, v25, v50
	v_lshlrev_b32_e32 v25, 16, v42
	v_and_b32_e32 v42, 0xffff0000, v42
	v_lshlrev_b32_e32 v50, 16, v43
	v_and_b32_e32 v43, 0xffff0000, v43
	;; [unrolled: 2-line block ×3, first 2 shown]
	v_dual_add_f32 v25, v25, v42 :: v_dual_add_f32 v0, v0, v20
	s_delay_alu instid0(VALU_DEP_4) | instskip(SKIP_2) | instid1(VALU_DEP_3)
	v_dual_add_f32 v42, v50, v43 :: v_dual_lshlrev_b32 v43, 16, v44
	v_and_b32_e32 v44, 0xffff0000, v44
	v_add_f32_e32 v21, v24, v21
	v_dual_add_f32 v24, v52, v51 :: v_dual_add_f32 v20, v42, v25
	v_pk_mul_bf16 v38, v23, v38
	s_delay_alu instid0(VALU_DEP_4) | instskip(SKIP_1) | instid1(VALU_DEP_4)
	v_add_f32_e32 v25, v43, v44
	v_pk_mul_bf16 v40, v18, v40
	v_add_f32_e32 v21, v24, v21
	v_pk_mul_bf16 v24, v22, v39
	v_pk_mul_bf16 v39, v19, v45
	v_dual_add_f32 v20, v25, v20 :: v_dual_lshlrev_b32 v25, 16, v38
	v_and_b32_e32 v38, 0xffff0000, v38
	s_delay_alu instid0(VALU_DEP_3) | instskip(SKIP_2) | instid1(VALU_DEP_4)
	v_dual_lshlrev_b32 v42, 16, v24 :: v_dual_lshlrev_b32 v43, 16, v39
	v_and_b32_e32 v24, 0xffff0000, v24
	v_and_b32_e32 v39, 0xffff0000, v39
	v_dual_add_f32 v25, v25, v38 :: v_dual_lshlrev_b32 v38, 16, v40
	v_and_b32_e32 v40, 0xffff0000, v40
	s_delay_alu instid0(VALU_DEP_3) | instskip(SKIP_3) | instid1(VALU_DEP_4)
	v_dual_add_f32 v24, v42, v24 :: v_dual_add_f32 v39, v43, v39
	v_pk_mul_bf16 v41, v19, v41
	v_pk_mul_bf16 v35, v22, v35
	;; [unrolled: 1-line block ×3, first 2 shown]
	v_add_f32_e32 v24, v24, v25
	v_pk_mul_bf16 v25, v23, v34
	v_dual_add_f32 v34, v38, v40 :: v_dual_lshlrev_b32 v38, 16, v41
	v_lshlrev_b32_e32 v42, 16, v35
	v_and_b32_e32 v40, 0xffff0000, v41
	s_delay_alu instid0(VALU_DEP_3) | instskip(SKIP_2) | instid1(VALU_DEP_4)
	v_dual_add_f32 v24, v34, v24 :: v_dual_lshlrev_b32 v41, 16, v25
	v_and_b32_e32 v25, 0xffff0000, v25
	v_and_b32_e32 v35, 0xffff0000, v35
	v_add_f32_e32 v34, v38, v40
	v_lshlrev_b32_e32 v38, 16, v36
	v_and_b32_e32 v36, 0xffff0000, v36
	s_delay_alu instid0(VALU_DEP_4) | instskip(NEXT) | instid1(VALU_DEP_4)
	v_dual_add_f32 v25, v41, v25 :: v_dual_add_f32 v35, v42, v35
	v_dual_add_f32 v71, v71, v21 :: v_dual_add_f32 v21, v34, v24
	v_add_f32_e32 v20, v39, v20
	v_pk_mul_bf16 v32, v18, v32
	s_delay_alu instid0(VALU_DEP_4) | instskip(NEXT) | instid1(VALU_DEP_4)
	v_dual_add_f32 v24, v35, v25 :: v_dual_add_f32 v25, v38, v36
	v_add_f32_e32 v73, v73, v21
	v_pk_mul_bf16 v21, v23, v30
	v_pk_mul_bf16 v26, v23, v26
	;; [unrolled: 1-line block ×3, first 2 shown]
	v_add_f32_e32 v24, v25, v24
	v_pk_mul_bf16 v25, v22, v31
	v_lshlrev_b32_e32 v31, 16, v21
	v_and_b32_e32 v21, 0xffff0000, v21
	v_lshlrev_b32_e32 v35, 16, v27
	v_and_b32_e32 v27, 0xffff0000, v27
	v_lshlrev_b32_e32 v34, 16, v25
	v_and_b32_e32 v25, 0xffff0000, v25
	v_dual_add_f32 v21, v31, v21 :: v_dual_lshlrev_b32 v31, 16, v32
	v_and_b32_e32 v32, 0xffff0000, v32
	v_pk_mul_bf16 v28, v18, v28
	s_delay_alu instid0(VALU_DEP_4)
	v_dual_add_f32 v25, v34, v25 :: v_dual_lshlrev_b32 v34, 16, v26
	v_and_b32_e32 v26, 0xffff0000, v26
	v_add_f32_e32 v70, v70, v20
	v_pk_mul_bf16 v20, v19, v37
	v_pk_mul_bf16 v33, v19, v33
	v_dual_add_f32 v21, v25, v21 :: v_dual_add_f32 v25, v31, v32
	v_dual_add_f32 v26, v34, v26 :: v_dual_add_f32 v27, v35, v27
	s_delay_alu instid0(VALU_DEP_3)
	v_dual_lshlrev_b32 v31, 16, v28 :: v_dual_lshlrev_b32 v32, 16, v33
	v_and_b32_e32 v28, 0xffff0000, v28
	v_pk_mul_bf16 v29, v19, v29
	v_lshlrev_b32_e32 v30, 16, v20
	v_and_b32_e32 v20, 0xffff0000, v20
	v_and_b32_e32 v33, 0xffff0000, v33
	v_add_f32_e32 v26, v27, v26
	v_dual_add_f32 v27, v31, v28 :: v_dual_add_f32 v21, v25, v21
	v_lshlrev_b32_e32 v28, 16, v29
	v_and_b32_e32 v29, 0xffff0000, v29
	v_dual_add_f32 v20, v30, v20 :: v_dual_add_f32 v25, v32, v33
	s_delay_alu instid0(VALU_DEP_4) | instskip(SKIP_1) | instid1(VALU_DEP_4)
	v_add_f32_e32 v26, v27, v26
	v_pk_mul_bf16 v14, v23, v14
	v_add_f32_e32 v27, v28, v29
	v_pk_mul_bf16 v15, v22, v15
	v_dual_add_f32 v20, v20, v24 :: v_dual_add_f32 v21, v25, v21
	s_delay_alu instid0(VALU_DEP_4) | instskip(NEXT) | instid1(VALU_DEP_3)
	v_lshlrev_b32_e32 v25, 16, v14
	v_dual_add_f32 v24, v27, v26 :: v_dual_lshlrev_b32 v26, 16, v15
	v_and_b32_e32 v14, 0xffff0000, v14
	v_and_b32_e32 v15, 0xffff0000, v15
	v_add_f32_e32 v72, v72, v20
	v_pk_mul_bf16 v10, v23, v10
	v_pk_mul_bf16 v11, v22, v11
	s_delay_alu instid0(VALU_DEP_4) | instskip(SKIP_2) | instid1(VALU_DEP_4)
	v_dual_add_f32 v14, v25, v14 :: v_dual_add_f32 v15, v26, v15
	v_pk_mul_bf16 v16, v18, v16
	v_pk_mul_bf16 v12, v18, v12
	v_lshlrev_b32_e32 v20, 16, v11
	v_and_b32_e32 v11, 0xffff0000, v11
	v_add_f32_e32 v14, v15, v14
	v_lshlrev_b32_e32 v15, 16, v10
	v_and_b32_e32 v10, 0xffff0000, v10
	v_dual_add_f32 v75, v75, v21 :: v_dual_add_f32 v74, v74, v24
	v_pk_mul_bf16 v17, v19, v17
	v_lshlrev_b32_e32 v21, 16, v16
	v_and_b32_e32 v16, 0xffff0000, v16
	v_dual_add_f32 v10, v15, v10 :: v_dual_add_f32 v11, v20, v11
	s_delay_alu instid0(VALU_DEP_4) | instskip(SKIP_1) | instid1(VALU_DEP_3)
	v_dual_lshlrev_b32 v15, 16, v12 :: v_dual_lshlrev_b32 v20, 16, v17
	v_and_b32_e32 v12, 0xffff0000, v12
	v_dual_add_f32 v16, v21, v16 :: v_dual_add_f32 v10, v11, v10
	v_and_b32_e32 v17, 0xffff0000, v17
	v_pk_mul_bf16 v13, v19, v13
	s_delay_alu instid0(VALU_DEP_3) | instskip(SKIP_2) | instid1(VALU_DEP_3)
	v_dual_add_f32 v11, v15, v12 :: v_dual_add_f32 v12, v16, v14
	v_pk_mul_bf16 v6, v23, v6
	v_pk_mul_bf16 v7, v22, v7
	v_dual_add_f32 v14, v20, v17 :: v_dual_add_f32 v10, v11, v10
	s_delay_alu instid0(VALU_DEP_3)
	v_dual_lshlrev_b32 v11, 16, v13 :: v_dual_lshlrev_b32 v15, 16, v6
	v_and_b32_e32 v13, 0xffff0000, v13
	v_and_b32_e32 v6, 0xffff0000, v6
	v_lshlrev_b32_e32 v16, 16, v7
	v_and_b32_e32 v7, 0xffff0000, v7
	v_pk_mul_bf16 v8, v18, v8
	v_pk_mul_bf16 v2, v23, v2
	;; [unrolled: 1-line block ×3, first 2 shown]
	v_add_f32_e32 v11, v11, v13
	v_dual_add_f32 v6, v15, v6 :: v_dual_add_f32 v7, v16, v7
	s_delay_alu instid0(VALU_DEP_4) | instskip(SKIP_2) | instid1(VALU_DEP_4)
	v_dual_lshlrev_b32 v13, 16, v8 :: v_dual_lshlrev_b32 v15, 16, v2
	v_and_b32_e32 v8, 0xffff0000, v8
	v_and_b32_e32 v2, 0xffff0000, v2
	v_dual_add_f32 v17, v7, v6 :: v_dual_lshlrev_b32 v16, 16, v3
	v_and_b32_e32 v3, 0xffff0000, v3
	v_pk_mul_bf16 v9, v19, v9
	s_delay_alu instid0(VALU_DEP_4) | instskip(SKIP_1) | instid1(VALU_DEP_3)
	v_dual_add_f32 v13, v13, v8 :: v_dual_add_f32 v2, v15, v2
	v_pk_mul_bf16 v4, v18, v4
	v_dual_add_f32 v3, v16, v3 :: v_dual_lshlrev_b32 v15, 16, v9
	v_pk_mul_bf16 v20, v19, v5
	s_wait_loadcnt 0x0
	v_pk_mul_bf16 v6, v18, v48
	s_delay_alu instid0(VALU_DEP_3)
	v_dual_add_f32 v21, v3, v2 :: v_dual_lshlrev_b32 v24, 16, v4
	v_pk_mul_bf16 v2, v23, v46
	v_and_b32_e32 v23, 0xffff0000, v4
	v_pk_mul_bf16 v4, v22, v47
	v_pk_mul_bf16 v8, v19, v49
	v_and_b32_e32 v16, 0xffff0000, v9
	v_and_b32_e32 v3, 0xffff0000, v2
	v_lshlrev_b32_e32 v5, 16, v2
	v_and_b32_e32 v2, 0xffff0000, v4
	v_lshlrev_b32_e32 v4, 16, v4
	;; [unrolled: 2-line block ×4, first 2 shown]
	v_pk_add_f32 v[2:3], v[4:5], v[2:3]
	v_dual_add_f32 v18, v24, v23 :: v_dual_lshlrev_b32 v19, 16, v20
	v_and_b32_e32 v20, 0xffff0000, v20
	s_delay_alu instid0(VALU_DEP_4) | instskip(NEXT) | instid1(VALU_DEP_4)
	v_pk_add_f32 v[4:5], v[8:9], v[6:7]
	v_dual_add_f32 v2, v2, v3 :: v_dual_add_f32 v3, v13, v17
	s_delay_alu instid0(VALU_DEP_4) | instskip(NEXT) | instid1(VALU_DEP_2)
	v_dual_add_f32 v6, v15, v16 :: v_dual_add_f32 v7, v18, v21
	v_dual_add_f32 v8, v19, v20 :: v_dual_add_f32 v2, v5, v2
	;; [unrolled: 1-line block ×3, first 2 shown]
	s_delay_alu instid0(VALU_DEP_3) | instskip(NEXT) | instid1(VALU_DEP_3)
	v_add_f32_e32 v3, v6, v3
	v_add_f32_e32 v6, v8, v7
	s_delay_alu instid0(VALU_DEP_3) | instskip(NEXT) | instid1(VALU_DEP_3)
	v_dual_add_f32 v2, v4, v2 :: v_dual_add_f32 v77, v77, v5
	v_dual_add_f32 v76, v76, v9 :: v_dual_add_f32 v79, v79, v3
	s_delay_alu instid0(VALU_DEP_3) | instskip(NEXT) | instid1(VALU_DEP_3)
	v_add_f32_e32 v78, v78, v6
	v_add_f32_e32 v69, v69, v2
.LBB148_44:                             ;   in Loop: Header=BB148_45 Depth=1
	s_or_b32 exec_lo, exec_lo, s18
	v_add_nc_u32_e32 v89, 4, v89
	v_add_nc_u64_e32 v[82:83], 16, v[82:83]
	v_add_nc_u32_e32 v66, 0x80, v66
	v_add_nc_u32_e32 v88, 0x200, v88
	s_delay_alu instid0(VALU_DEP_4) | instskip(SKIP_1) | instid1(SALU_CYCLE_1)
	v_cmp_le_i32_e32 vcc_lo, s31, v89
	s_or_b32 s17, vcc_lo, s17
	s_and_not1_b32 exec_lo, exec_lo, s17
	s_cbranch_execz .LBB148_74
.LBB148_45:                             ; =>This Inner Loop Header: Depth=1
	v_mul_u64_e32 v[2:3], s[14:15], v[66:67]
	s_delay_alu instid0(VALU_DEP_1) | instskip(NEXT) | instid1(VALU_DEP_1)
	v_mul_lo_u32 v2, v3, s8
	v_dual_add_nc_u32 v4, 1, v3 :: v_dual_sub_nc_u32 v2, v66, v2
	s_delay_alu instid0(VALU_DEP_1) | instskip(SKIP_1) | instid1(VALU_DEP_2)
	v_subrev_nc_u32_e32 v5, s8, v2
	v_cmp_le_u32_e32 vcc_lo, s8, v2
	v_dual_cndmask_b32 v3, v3, v4 :: v_dual_cndmask_b32 v2, v2, v5
	s_delay_alu instid0(VALU_DEP_1) | instskip(NEXT) | instid1(VALU_DEP_2)
	v_add_nc_u32_e32 v4, 1, v3
	v_cmp_le_u32_e32 vcc_lo, s8, v2
	s_delay_alu instid0(VALU_DEP_2) | instskip(NEXT) | instid1(VALU_DEP_1)
	v_cndmask_b32_e32 v2, v3, v4, vcc_lo
	v_dual_mov_b32 v3, v67 :: v_dual_bitop2_b32 v2, s30, v2 bitop3:0x14
	s_delay_alu instid0(VALU_DEP_1) | instskip(NEXT) | instid1(VALU_DEP_1)
	v_subrev_nc_u32_e32 v6, s30, v2
	v_add_nc_u32_e32 v7, s13, v6
	v_cmp_lt_i32_e64 s0, s24, v6
	s_delay_alu instid0(VALU_DEP_2) | instskip(NEXT) | instid1(VALU_DEP_1)
	v_sub_nc_u32_e32 v2, 0, v7
	v_max_i32_e32 v2, v7, v2
	s_delay_alu instid0(VALU_DEP_1) | instskip(SKIP_1) | instid1(VALU_DEP_2)
	v_mul_u64_e32 v[4:5], s[4:5], v[2:3]
	v_ashrrev_i32_e32 v4, 31, v7
	v_mul_lo_u32 v3, v5, s6
	s_delay_alu instid0(VALU_DEP_1) | instskip(NEXT) | instid1(VALU_DEP_1)
	v_sub_nc_u32_e32 v2, v2, v3
	v_subrev_nc_u32_e32 v3, s6, v2
	v_cmp_le_u32_e32 vcc_lo, s6, v2
	s_delay_alu instid0(VALU_DEP_2) | instskip(NEXT) | instid1(VALU_DEP_1)
	v_cndmask_b32_e32 v2, v2, v3, vcc_lo
	v_subrev_nc_u32_e32 v3, s6, v2
	v_cmp_le_u32_e32 vcc_lo, s6, v2
	s_delay_alu instid0(VALU_DEP_2) | instskip(NEXT) | instid1(VALU_DEP_1)
	v_cndmask_b32_e32 v2, v2, v3, vcc_lo
	v_xor_b32_e32 v2, v2, v4
	s_delay_alu instid0(VALU_DEP_1) | instskip(NEXT) | instid1(VALU_DEP_1)
	v_sub_nc_u32_e32 v2, v2, v4
	v_cmp_eq_u32_e32 vcc_lo, 0, v2
	s_or_b32 s0, vcc_lo, s0
	s_delay_alu instid0(SALU_CYCLE_1)
	s_and_saveexec_b32 s18, s0
	s_cbranch_execz .LBB148_44
; %bb.46:                               ;   in Loop: Header=BB148_45 Depth=1
	global_load_b32 v2, v[82:83], off
	v_add_nc_u32_e32 v97, v87, v66
	v_cmp_eq_u32_e32 vcc_lo, s9, v89
	s_delay_alu instid0(VALU_DEP_2)
	v_or_b32_e32 v94, 3, v97
	v_or_b32_e32 v96, 2, v97
	;; [unrolled: 1-line block ×5, first 2 shown]
	v_dual_add_nc_u32 v95, 1, v97 :: v_dual_bitop2_b32 v92, 6, v97 bitop3:0x54
	s_wait_loadcnt 0x0
	v_ashrrev_i32_e32 v3, 31, v2
	s_delay_alu instid0(VALU_DEP_1) | instskip(NEXT) | instid1(VALU_DEP_1)
	v_mul_u64_e32 v[2:3], s[2:3], v[2:3]
	v_lshl_add_u64 v[46:47], v[2:3], 1, v[80:81]
	global_load_b128 v[2:5], v[46:47], off
	ds_load_2addr_b64 v[22:25], v88 offset1:1
	ds_load_2addr_b64 v[18:21], v88 offset0:2 offset1:3
	s_wait_xcnt 0x0
	s_and_saveexec_b32 s19, vcc_lo
	s_cbranch_execnz .LBB148_60
; %bb.47:                               ;   in Loop: Header=BB148_45 Depth=1
	s_or_b32 exec_lo, exec_lo, s19
	global_load_b128 v[6:9], v[46:47], off offset:512
	s_wait_xcnt 0x0
	s_and_saveexec_b32 s19, vcc_lo
	s_cbranch_execnz .LBB148_61
.LBB148_48:                             ;   in Loop: Header=BB148_45 Depth=1
	s_or_b32 exec_lo, exec_lo, s19
	global_load_b128 v[10:13], v[46:47], off offset:1024
	s_wait_xcnt 0x0
	s_and_saveexec_b32 s19, vcc_lo
	s_cbranch_execnz .LBB148_62
.LBB148_49:                             ;   in Loop: Header=BB148_45 Depth=1
	s_or_b32 exec_lo, exec_lo, s19
	global_load_b128 v[14:17], v[46:47], off offset:1536
	s_wait_xcnt 0x0
	s_and_saveexec_b32 s19, vcc_lo
	s_cbranch_execnz .LBB148_63
.LBB148_50:                             ;   in Loop: Header=BB148_45 Depth=1
	s_or_b32 exec_lo, exec_lo, s19
	global_load_b128 v[26:29], v[46:47], off offset:2048
	s_wait_xcnt 0x0
	s_and_saveexec_b32 s19, vcc_lo
	s_cbranch_execnz .LBB148_64
.LBB148_51:                             ;   in Loop: Header=BB148_45 Depth=1
	s_or_b32 exec_lo, exec_lo, s19
	global_load_b128 v[30:33], v[46:47], off offset:2560
	s_wait_xcnt 0x0
	s_and_saveexec_b32 s19, vcc_lo
	s_cbranch_execnz .LBB148_65
.LBB148_52:                             ;   in Loop: Header=BB148_45 Depth=1
	s_or_b32 exec_lo, exec_lo, s19
	global_load_b128 v[34:37], v[46:47], off offset:3072
	s_wait_xcnt 0x0
	s_and_saveexec_b32 s19, vcc_lo
	s_cbranch_execnz .LBB148_66
.LBB148_53:                             ;   in Loop: Header=BB148_45 Depth=1
	s_or_b32 exec_lo, exec_lo, s19
	global_load_b128 v[38:41], v[46:47], off offset:3584
	s_wait_xcnt 0x0
	s_and_saveexec_b32 s19, vcc_lo
	s_cbranch_execnz .LBB148_67
.LBB148_54:                             ;   in Loop: Header=BB148_45 Depth=1
	s_or_b32 exec_lo, exec_lo, s19
	global_load_b128 v[42:45], v[46:47], off offset:4096
	s_wait_xcnt 0x0
	s_and_saveexec_b32 s19, vcc_lo
	s_cbranch_execnz .LBB148_68
.LBB148_55:                             ;   in Loop: Header=BB148_45 Depth=1
	s_or_b32 exec_lo, exec_lo, s19
	global_load_b128 v[50:53], v[46:47], off offset:4608
	s_wait_xcnt 0x0
	s_and_saveexec_b32 s19, vcc_lo
	s_cbranch_execnz .LBB148_69
.LBB148_56:                             ;   in Loop: Header=BB148_45 Depth=1
	s_or_b32 exec_lo, exec_lo, s19
	global_load_b128 v[54:57], v[46:47], off offset:5120
	s_wait_xcnt 0x0
	s_and_saveexec_b32 s19, vcc_lo
	s_cbranch_execnz .LBB148_70
.LBB148_57:                             ;   in Loop: Header=BB148_45 Depth=1
	s_or_b32 exec_lo, exec_lo, s19
	global_load_b128 v[58:61], v[46:47], off offset:5632
	s_wait_xcnt 0x0
	s_and_saveexec_b32 s19, vcc_lo
	s_cbranch_execnz .LBB148_71
.LBB148_58:                             ;   in Loop: Header=BB148_45 Depth=1
	s_or_b32 exec_lo, exec_lo, s19
	global_load_b128 v[62:65], v[46:47], off offset:6144
	s_wait_xcnt 0x0
	s_and_saveexec_b32 s19, vcc_lo
	s_cbranch_execnz .LBB148_72
.LBB148_59:                             ;   in Loop: Header=BB148_45 Depth=1
	s_or_b32 exec_lo, exec_lo, s19
	global_load_b128 v[46:49], v[46:47], off offset:6656
	s_wait_xcnt 0x0
	s_and_saveexec_b32 s0, vcc_lo
	s_cbranch_execz .LBB148_43
	s_branch .LBB148_73
.LBB148_60:                             ;   in Loop: Header=BB148_45 Depth=1
	v_cmp_gt_i32_e64 s0, s29, v97
	s_wait_loadcnt 0x0
	v_dual_lshrrev_b32 v6, 16, v2 :: v_dual_lshrrev_b32 v8, 16, v4
	s_delay_alu instid0(VALU_DEP_2) | instskip(SKIP_1) | instid1(VALU_DEP_1)
	v_cndmask_b32_e64 v2, 0, v2, s0
	v_cmp_gt_i32_e64 s0, s16, v95
	v_dual_lshrrev_b32 v7, 16, v3 :: v_dual_cndmask_b32 v6, 0, v6, s0
	v_cmp_gt_i32_e64 s0, s29, v96
	s_delay_alu instid0(VALU_DEP_2) | instskip(NEXT) | instid1(VALU_DEP_2)
	v_perm_b32 v2, v6, v2, 0x5040100
	v_cndmask_b32_e64 v3, 0, v3, s0
	v_cmp_gt_i32_e64 s0, s16, v94
	s_delay_alu instid0(VALU_DEP_1) | instskip(SKIP_1) | instid1(VALU_DEP_1)
	v_cndmask_b32_e64 v7, 0, v7, s0
	v_cmp_gt_i32_e64 s0, s29, v93
	v_cndmask_b32_e64 v4, 0, v4, s0
	v_cmp_gt_i32_e64 s0, s16, v91
	v_lshrrev_b32_e32 v9, 16, v5
	v_perm_b32 v3, v7, v3, 0x5040100
	s_delay_alu instid0(VALU_DEP_3) | instskip(SKIP_1) | instid1(VALU_DEP_2)
	v_cndmask_b32_e64 v8, 0, v8, s0
	v_cmp_gt_i32_e64 s0, s29, v92
	v_perm_b32 v4, v8, v4, 0x5040100
	s_delay_alu instid0(VALU_DEP_2) | instskip(SKIP_1) | instid1(VALU_DEP_1)
	v_cndmask_b32_e64 v5, 0, v5, s0
	v_cmp_gt_i32_e64 s0, s16, v90
	v_cndmask_b32_e64 v9, 0, v9, s0
	s_delay_alu instid0(VALU_DEP_1)
	v_perm_b32 v5, v9, v5, 0x5040100
	s_or_b32 exec_lo, exec_lo, s19
	global_load_b128 v[6:9], v[46:47], off offset:512
	s_wait_xcnt 0x0
	s_and_saveexec_b32 s19, vcc_lo
	s_cbranch_execz .LBB148_48
.LBB148_61:                             ;   in Loop: Header=BB148_45 Depth=1
	v_cmp_gt_i32_e64 s0, s29, v97
	s_wait_loadcnt 0x0
	v_dual_lshrrev_b32 v10, 16, v6 :: v_dual_lshrrev_b32 v12, 16, v8
	s_delay_alu instid0(VALU_DEP_2) | instskip(SKIP_1) | instid1(VALU_DEP_1)
	v_cndmask_b32_e64 v6, 0, v6, s0
	v_cmp_gt_i32_e64 s0, s16, v95
	v_dual_lshrrev_b32 v11, 16, v7 :: v_dual_cndmask_b32 v10, 0, v10, s0
	v_cmp_gt_i32_e64 s0, s29, v96
	s_delay_alu instid0(VALU_DEP_2) | instskip(NEXT) | instid1(VALU_DEP_2)
	v_perm_b32 v6, v10, v6, 0x5040100
	v_cndmask_b32_e64 v7, 0, v7, s0
	v_cmp_gt_i32_e64 s0, s16, v94
	s_delay_alu instid0(VALU_DEP_1) | instskip(SKIP_1) | instid1(VALU_DEP_1)
	v_cndmask_b32_e64 v11, 0, v11, s0
	v_cmp_gt_i32_e64 s0, s29, v93
	v_cndmask_b32_e64 v8, 0, v8, s0
	v_cmp_gt_i32_e64 s0, s16, v91
	v_lshrrev_b32_e32 v13, 16, v9
	v_perm_b32 v7, v11, v7, 0x5040100
	s_delay_alu instid0(VALU_DEP_3) | instskip(SKIP_1) | instid1(VALU_DEP_2)
	v_cndmask_b32_e64 v12, 0, v12, s0
	v_cmp_gt_i32_e64 s0, s29, v92
	v_perm_b32 v8, v12, v8, 0x5040100
	s_delay_alu instid0(VALU_DEP_2) | instskip(SKIP_1) | instid1(VALU_DEP_1)
	v_cndmask_b32_e64 v9, 0, v9, s0
	v_cmp_gt_i32_e64 s0, s16, v90
	v_cndmask_b32_e64 v13, 0, v13, s0
	s_delay_alu instid0(VALU_DEP_1)
	v_perm_b32 v9, v13, v9, 0x5040100
	s_or_b32 exec_lo, exec_lo, s19
	global_load_b128 v[10:13], v[46:47], off offset:1024
	s_wait_xcnt 0x0
	s_and_saveexec_b32 s19, vcc_lo
	s_cbranch_execz .LBB148_49
.LBB148_62:                             ;   in Loop: Header=BB148_45 Depth=1
	v_cmp_gt_i32_e64 s0, s29, v97
	s_wait_loadcnt 0x0
	v_dual_lshrrev_b32 v14, 16, v10 :: v_dual_lshrrev_b32 v16, 16, v12
	s_delay_alu instid0(VALU_DEP_2) | instskip(SKIP_1) | instid1(VALU_DEP_1)
	v_cndmask_b32_e64 v10, 0, v10, s0
	v_cmp_gt_i32_e64 s0, s16, v95
	v_dual_lshrrev_b32 v15, 16, v11 :: v_dual_cndmask_b32 v14, 0, v14, s0
	v_cmp_gt_i32_e64 s0, s29, v96
	s_delay_alu instid0(VALU_DEP_2) | instskip(NEXT) | instid1(VALU_DEP_2)
	v_perm_b32 v10, v14, v10, 0x5040100
	v_cndmask_b32_e64 v11, 0, v11, s0
	v_cmp_gt_i32_e64 s0, s16, v94
	s_delay_alu instid0(VALU_DEP_1) | instskip(SKIP_1) | instid1(VALU_DEP_1)
	v_cndmask_b32_e64 v15, 0, v15, s0
	v_cmp_gt_i32_e64 s0, s29, v93
	v_cndmask_b32_e64 v12, 0, v12, s0
	v_cmp_gt_i32_e64 s0, s16, v91
	v_lshrrev_b32_e32 v17, 16, v13
	v_perm_b32 v11, v15, v11, 0x5040100
	s_delay_alu instid0(VALU_DEP_3) | instskip(SKIP_1) | instid1(VALU_DEP_2)
	v_cndmask_b32_e64 v16, 0, v16, s0
	v_cmp_gt_i32_e64 s0, s29, v92
	v_perm_b32 v12, v16, v12, 0x5040100
	s_delay_alu instid0(VALU_DEP_2) | instskip(SKIP_1) | instid1(VALU_DEP_1)
	v_cndmask_b32_e64 v13, 0, v13, s0
	v_cmp_gt_i32_e64 s0, s16, v90
	v_cndmask_b32_e64 v17, 0, v17, s0
	s_delay_alu instid0(VALU_DEP_1)
	v_perm_b32 v13, v17, v13, 0x5040100
	s_or_b32 exec_lo, exec_lo, s19
	global_load_b128 v[14:17], v[46:47], off offset:1536
	s_wait_xcnt 0x0
	s_and_saveexec_b32 s19, vcc_lo
	s_cbranch_execz .LBB148_50
.LBB148_63:                             ;   in Loop: Header=BB148_45 Depth=1
	v_cmp_gt_i32_e64 s0, s29, v97
	s_wait_loadcnt 0x0
	v_dual_lshrrev_b32 v26, 16, v14 :: v_dual_lshrrev_b32 v28, 16, v16
	s_delay_alu instid0(VALU_DEP_2) | instskip(SKIP_1) | instid1(VALU_DEP_1)
	v_cndmask_b32_e64 v14, 0, v14, s0
	v_cmp_gt_i32_e64 s0, s16, v95
	v_dual_lshrrev_b32 v27, 16, v15 :: v_dual_cndmask_b32 v26, 0, v26, s0
	v_cmp_gt_i32_e64 s0, s29, v96
	s_delay_alu instid0(VALU_DEP_2) | instskip(NEXT) | instid1(VALU_DEP_2)
	v_perm_b32 v14, v26, v14, 0x5040100
	v_cndmask_b32_e64 v15, 0, v15, s0
	v_cmp_gt_i32_e64 s0, s16, v94
	s_delay_alu instid0(VALU_DEP_1) | instskip(SKIP_1) | instid1(VALU_DEP_1)
	v_cndmask_b32_e64 v27, 0, v27, s0
	v_cmp_gt_i32_e64 s0, s29, v93
	v_cndmask_b32_e64 v16, 0, v16, s0
	v_cmp_gt_i32_e64 s0, s16, v91
	v_lshrrev_b32_e32 v29, 16, v17
	v_perm_b32 v15, v27, v15, 0x5040100
	s_delay_alu instid0(VALU_DEP_3) | instskip(SKIP_1) | instid1(VALU_DEP_2)
	v_cndmask_b32_e64 v28, 0, v28, s0
	v_cmp_gt_i32_e64 s0, s29, v92
	v_perm_b32 v16, v28, v16, 0x5040100
	s_delay_alu instid0(VALU_DEP_2) | instskip(SKIP_1) | instid1(VALU_DEP_1)
	v_cndmask_b32_e64 v17, 0, v17, s0
	v_cmp_gt_i32_e64 s0, s16, v90
	v_cndmask_b32_e64 v29, 0, v29, s0
	s_delay_alu instid0(VALU_DEP_1)
	v_perm_b32 v17, v29, v17, 0x5040100
	s_or_b32 exec_lo, exec_lo, s19
	global_load_b128 v[26:29], v[46:47], off offset:2048
	s_wait_xcnt 0x0
	s_and_saveexec_b32 s19, vcc_lo
	s_cbranch_execz .LBB148_51
.LBB148_64:                             ;   in Loop: Header=BB148_45 Depth=1
	v_cmp_gt_i32_e64 s0, s29, v97
	s_wait_loadcnt 0x0
	v_dual_lshrrev_b32 v30, 16, v26 :: v_dual_lshrrev_b32 v32, 16, v28
	s_delay_alu instid0(VALU_DEP_2) | instskip(SKIP_1) | instid1(VALU_DEP_1)
	v_cndmask_b32_e64 v26, 0, v26, s0
	v_cmp_gt_i32_e64 s0, s16, v95
	v_dual_lshrrev_b32 v31, 16, v27 :: v_dual_cndmask_b32 v30, 0, v30, s0
	v_cmp_gt_i32_e64 s0, s29, v96
	s_delay_alu instid0(VALU_DEP_2) | instskip(NEXT) | instid1(VALU_DEP_2)
	v_perm_b32 v26, v30, v26, 0x5040100
	v_cndmask_b32_e64 v27, 0, v27, s0
	v_cmp_gt_i32_e64 s0, s16, v94
	s_delay_alu instid0(VALU_DEP_1) | instskip(SKIP_1) | instid1(VALU_DEP_1)
	v_cndmask_b32_e64 v31, 0, v31, s0
	v_cmp_gt_i32_e64 s0, s29, v93
	v_cndmask_b32_e64 v28, 0, v28, s0
	v_cmp_gt_i32_e64 s0, s16, v91
	v_lshrrev_b32_e32 v33, 16, v29
	v_perm_b32 v27, v31, v27, 0x5040100
	s_delay_alu instid0(VALU_DEP_3) | instskip(SKIP_1) | instid1(VALU_DEP_2)
	v_cndmask_b32_e64 v32, 0, v32, s0
	v_cmp_gt_i32_e64 s0, s29, v92
	v_perm_b32 v28, v32, v28, 0x5040100
	s_delay_alu instid0(VALU_DEP_2) | instskip(SKIP_1) | instid1(VALU_DEP_1)
	v_cndmask_b32_e64 v29, 0, v29, s0
	v_cmp_gt_i32_e64 s0, s16, v90
	v_cndmask_b32_e64 v33, 0, v33, s0
	s_delay_alu instid0(VALU_DEP_1)
	v_perm_b32 v29, v33, v29, 0x5040100
	s_or_b32 exec_lo, exec_lo, s19
	global_load_b128 v[30:33], v[46:47], off offset:2560
	s_wait_xcnt 0x0
	s_and_saveexec_b32 s19, vcc_lo
	s_cbranch_execz .LBB148_52
.LBB148_65:                             ;   in Loop: Header=BB148_45 Depth=1
	v_cmp_gt_i32_e64 s0, s29, v97
	s_wait_loadcnt 0x0
	v_dual_lshrrev_b32 v34, 16, v30 :: v_dual_lshrrev_b32 v36, 16, v32
	s_delay_alu instid0(VALU_DEP_2) | instskip(SKIP_1) | instid1(VALU_DEP_1)
	v_cndmask_b32_e64 v30, 0, v30, s0
	v_cmp_gt_i32_e64 s0, s16, v95
	v_dual_lshrrev_b32 v35, 16, v31 :: v_dual_cndmask_b32 v34, 0, v34, s0
	v_cmp_gt_i32_e64 s0, s29, v96
	s_delay_alu instid0(VALU_DEP_2) | instskip(NEXT) | instid1(VALU_DEP_2)
	v_perm_b32 v30, v34, v30, 0x5040100
	v_cndmask_b32_e64 v31, 0, v31, s0
	v_cmp_gt_i32_e64 s0, s16, v94
	s_delay_alu instid0(VALU_DEP_1) | instskip(SKIP_1) | instid1(VALU_DEP_1)
	v_cndmask_b32_e64 v35, 0, v35, s0
	v_cmp_gt_i32_e64 s0, s29, v93
	v_cndmask_b32_e64 v32, 0, v32, s0
	v_cmp_gt_i32_e64 s0, s16, v91
	v_lshrrev_b32_e32 v37, 16, v33
	v_perm_b32 v31, v35, v31, 0x5040100
	s_delay_alu instid0(VALU_DEP_3) | instskip(SKIP_1) | instid1(VALU_DEP_2)
	v_cndmask_b32_e64 v36, 0, v36, s0
	v_cmp_gt_i32_e64 s0, s29, v92
	v_perm_b32 v32, v36, v32, 0x5040100
	s_delay_alu instid0(VALU_DEP_2) | instskip(SKIP_1) | instid1(VALU_DEP_1)
	v_cndmask_b32_e64 v33, 0, v33, s0
	v_cmp_gt_i32_e64 s0, s16, v90
	v_cndmask_b32_e64 v37, 0, v37, s0
	s_delay_alu instid0(VALU_DEP_1)
	v_perm_b32 v33, v37, v33, 0x5040100
	s_or_b32 exec_lo, exec_lo, s19
	global_load_b128 v[34:37], v[46:47], off offset:3072
	s_wait_xcnt 0x0
	s_and_saveexec_b32 s19, vcc_lo
	s_cbranch_execz .LBB148_53
.LBB148_66:                             ;   in Loop: Header=BB148_45 Depth=1
	v_cmp_gt_i32_e64 s0, s29, v97
	s_wait_loadcnt 0x0
	v_dual_lshrrev_b32 v38, 16, v34 :: v_dual_lshrrev_b32 v40, 16, v36
	s_delay_alu instid0(VALU_DEP_2) | instskip(SKIP_1) | instid1(VALU_DEP_1)
	v_cndmask_b32_e64 v34, 0, v34, s0
	v_cmp_gt_i32_e64 s0, s16, v95
	v_dual_lshrrev_b32 v39, 16, v35 :: v_dual_cndmask_b32 v38, 0, v38, s0
	v_cmp_gt_i32_e64 s0, s29, v96
	s_delay_alu instid0(VALU_DEP_2) | instskip(NEXT) | instid1(VALU_DEP_2)
	v_perm_b32 v34, v38, v34, 0x5040100
	v_cndmask_b32_e64 v35, 0, v35, s0
	v_cmp_gt_i32_e64 s0, s16, v94
	s_delay_alu instid0(VALU_DEP_1) | instskip(SKIP_1) | instid1(VALU_DEP_1)
	v_cndmask_b32_e64 v39, 0, v39, s0
	v_cmp_gt_i32_e64 s0, s29, v93
	v_cndmask_b32_e64 v36, 0, v36, s0
	v_cmp_gt_i32_e64 s0, s16, v91
	v_lshrrev_b32_e32 v41, 16, v37
	v_perm_b32 v35, v39, v35, 0x5040100
	s_delay_alu instid0(VALU_DEP_3) | instskip(SKIP_1) | instid1(VALU_DEP_2)
	v_cndmask_b32_e64 v40, 0, v40, s0
	v_cmp_gt_i32_e64 s0, s29, v92
	v_perm_b32 v36, v40, v36, 0x5040100
	s_delay_alu instid0(VALU_DEP_2) | instskip(SKIP_1) | instid1(VALU_DEP_1)
	v_cndmask_b32_e64 v37, 0, v37, s0
	v_cmp_gt_i32_e64 s0, s16, v90
	v_cndmask_b32_e64 v41, 0, v41, s0
	s_delay_alu instid0(VALU_DEP_1)
	v_perm_b32 v37, v41, v37, 0x5040100
	s_or_b32 exec_lo, exec_lo, s19
	global_load_b128 v[38:41], v[46:47], off offset:3584
	s_wait_xcnt 0x0
	s_and_saveexec_b32 s19, vcc_lo
	s_cbranch_execz .LBB148_54
.LBB148_67:                             ;   in Loop: Header=BB148_45 Depth=1
	v_cmp_gt_i32_e64 s0, s29, v97
	s_wait_loadcnt 0x0
	v_dual_lshrrev_b32 v42, 16, v38 :: v_dual_lshrrev_b32 v44, 16, v40
	s_delay_alu instid0(VALU_DEP_2) | instskip(SKIP_1) | instid1(VALU_DEP_1)
	v_cndmask_b32_e64 v38, 0, v38, s0
	v_cmp_gt_i32_e64 s0, s16, v95
	v_dual_lshrrev_b32 v43, 16, v39 :: v_dual_cndmask_b32 v42, 0, v42, s0
	v_cmp_gt_i32_e64 s0, s29, v96
	s_delay_alu instid0(VALU_DEP_2) | instskip(NEXT) | instid1(VALU_DEP_2)
	v_perm_b32 v38, v42, v38, 0x5040100
	v_cndmask_b32_e64 v39, 0, v39, s0
	v_cmp_gt_i32_e64 s0, s16, v94
	s_delay_alu instid0(VALU_DEP_1) | instskip(SKIP_1) | instid1(VALU_DEP_1)
	v_cndmask_b32_e64 v43, 0, v43, s0
	v_cmp_gt_i32_e64 s0, s29, v93
	v_cndmask_b32_e64 v40, 0, v40, s0
	v_cmp_gt_i32_e64 s0, s16, v91
	v_lshrrev_b32_e32 v45, 16, v41
	v_perm_b32 v39, v43, v39, 0x5040100
	s_delay_alu instid0(VALU_DEP_3) | instskip(SKIP_1) | instid1(VALU_DEP_2)
	v_cndmask_b32_e64 v44, 0, v44, s0
	v_cmp_gt_i32_e64 s0, s29, v92
	v_perm_b32 v40, v44, v40, 0x5040100
	s_delay_alu instid0(VALU_DEP_2) | instskip(SKIP_1) | instid1(VALU_DEP_1)
	v_cndmask_b32_e64 v41, 0, v41, s0
	v_cmp_gt_i32_e64 s0, s16, v90
	v_cndmask_b32_e64 v45, 0, v45, s0
	s_delay_alu instid0(VALU_DEP_1)
	v_perm_b32 v41, v45, v41, 0x5040100
	s_or_b32 exec_lo, exec_lo, s19
	global_load_b128 v[42:45], v[46:47], off offset:4096
	s_wait_xcnt 0x0
	s_and_saveexec_b32 s19, vcc_lo
	s_cbranch_execz .LBB148_55
.LBB148_68:                             ;   in Loop: Header=BB148_45 Depth=1
	v_cmp_gt_i32_e64 s0, s29, v97
	s_wait_loadcnt 0x0
	s_delay_alu instid0(VALU_DEP_1) | instskip(SKIP_1) | instid1(VALU_DEP_1)
	v_dual_lshrrev_b32 v48, 16, v42 :: v_dual_cndmask_b32 v42, 0, v42, s0
	v_cmp_gt_i32_e64 s0, s16, v95
	v_dual_lshrrev_b32 v49, 16, v43 :: v_dual_cndmask_b32 v48, 0, v48, s0
	v_cmp_gt_i32_e64 s0, s29, v96
	s_delay_alu instid0(VALU_DEP_2) | instskip(NEXT) | instid1(VALU_DEP_2)
	v_perm_b32 v42, v48, v42, 0x5040100
	v_cndmask_b32_e64 v43, 0, v43, s0
	v_cmp_gt_i32_e64 s0, s16, v94
	s_delay_alu instid0(VALU_DEP_1) | instskip(SKIP_2) | instid1(VALU_DEP_3)
	v_cndmask_b32_e64 v49, 0, v49, s0
	v_cmp_gt_i32_e64 s0, s29, v93
	v_lshrrev_b32_e32 v50, 16, v44
	v_perm_b32 v43, v49, v43, 0x5040100
	s_delay_alu instid0(VALU_DEP_3) | instskip(SKIP_1) | instid1(VALU_DEP_1)
	v_cndmask_b32_e64 v44, 0, v44, s0
	v_cmp_gt_i32_e64 s0, s16, v91
	v_dual_lshrrev_b32 v51, 16, v45 :: v_dual_cndmask_b32 v50, 0, v50, s0
	v_cmp_gt_i32_e64 s0, s29, v92
	s_delay_alu instid0(VALU_DEP_2) | instskip(NEXT) | instid1(VALU_DEP_2)
	v_perm_b32 v44, v50, v44, 0x5040100
	v_cndmask_b32_e64 v45, 0, v45, s0
	v_cmp_gt_i32_e64 s0, s16, v90
	s_delay_alu instid0(VALU_DEP_1) | instskip(NEXT) | instid1(VALU_DEP_1)
	v_cndmask_b32_e64 v51, 0, v51, s0
	v_perm_b32 v45, v51, v45, 0x5040100
	s_or_b32 exec_lo, exec_lo, s19
	global_load_b128 v[50:53], v[46:47], off offset:4608
	s_wait_xcnt 0x0
	s_and_saveexec_b32 s19, vcc_lo
	s_cbranch_execz .LBB148_56
.LBB148_69:                             ;   in Loop: Header=BB148_45 Depth=1
	v_cmp_gt_i32_e64 s0, s29, v97
	s_wait_loadcnt 0x0
	s_delay_alu instid0(VALU_DEP_1) | instskip(SKIP_1) | instid1(VALU_DEP_1)
	v_dual_lshrrev_b32 v48, 16, v50 :: v_dual_cndmask_b32 v49, 0, v50, s0
	v_cmp_gt_i32_e64 s0, s16, v95
	v_dual_lshrrev_b32 v50, 16, v51 :: v_dual_cndmask_b32 v48, 0, v48, s0
	v_cmp_gt_i32_e64 s0, s29, v96
	s_delay_alu instid0(VALU_DEP_1) | instskip(SKIP_1) | instid1(VALU_DEP_1)
	v_cndmask_b32_e64 v51, 0, v51, s0
	v_cmp_gt_i32_e64 s0, s16, v94
	v_cndmask_b32_e64 v54, 0, v50, s0
	v_cmp_gt_i32_e64 s0, s29, v93
	v_lshrrev_b32_e32 v50, 16, v52
	s_delay_alu instid0(VALU_DEP_3) | instskip(NEXT) | instid1(VALU_DEP_3)
	v_perm_b32 v51, v54, v51, 0x5040100
	v_cndmask_b32_e64 v52, 0, v52, s0
	v_cmp_gt_i32_e64 s0, s16, v91
	s_delay_alu instid0(VALU_DEP_1) | instskip(SKIP_2) | instid1(VALU_DEP_3)
	v_dual_lshrrev_b32 v55, 16, v53 :: v_dual_cndmask_b32 v56, 0, v50, s0
	v_cmp_gt_i32_e64 s0, s29, v92
	v_perm_b32 v50, v48, v49, 0x5040100
	v_perm_b32 v52, v56, v52, 0x5040100
	s_delay_alu instid0(VALU_DEP_3) | instskip(SKIP_1) | instid1(VALU_DEP_1)
	v_cndmask_b32_e64 v53, 0, v53, s0
	v_cmp_gt_i32_e64 s0, s16, v90
	v_cndmask_b32_e64 v55, 0, v55, s0
	s_delay_alu instid0(VALU_DEP_1)
	v_perm_b32 v53, v55, v53, 0x5040100
	s_or_b32 exec_lo, exec_lo, s19
	global_load_b128 v[54:57], v[46:47], off offset:5120
	s_wait_xcnt 0x0
	s_and_saveexec_b32 s19, vcc_lo
	s_cbranch_execz .LBB148_57
.LBB148_70:                             ;   in Loop: Header=BB148_45 Depth=1
	v_cmp_gt_i32_e64 s0, s29, v97
	s_wait_loadcnt 0x0
	s_delay_alu instid0(VALU_DEP_1) | instskip(SKIP_1) | instid1(VALU_DEP_1)
	v_dual_lshrrev_b32 v48, 16, v54 :: v_dual_cndmask_b32 v49, 0, v54, s0
	v_cmp_gt_i32_e64 s0, s16, v95
	v_dual_lshrrev_b32 v54, 16, v55 :: v_dual_cndmask_b32 v48, 0, v48, s0
	v_cmp_gt_i32_e64 s0, s29, v96
	s_delay_alu instid0(VALU_DEP_1) | instskip(SKIP_1) | instid1(VALU_DEP_1)
	v_cndmask_b32_e64 v55, 0, v55, s0
	v_cmp_gt_i32_e64 s0, s16, v94
	v_cndmask_b32_e64 v58, 0, v54, s0
	v_cmp_gt_i32_e64 s0, s29, v93
	v_lshrrev_b32_e32 v54, 16, v56
	s_delay_alu instid0(VALU_DEP_3) | instskip(NEXT) | instid1(VALU_DEP_3)
	v_perm_b32 v55, v58, v55, 0x5040100
	v_cndmask_b32_e64 v56, 0, v56, s0
	v_cmp_gt_i32_e64 s0, s16, v91
	s_delay_alu instid0(VALU_DEP_1) | instskip(SKIP_2) | instid1(VALU_DEP_3)
	v_dual_lshrrev_b32 v59, 16, v57 :: v_dual_cndmask_b32 v60, 0, v54, s0
	v_cmp_gt_i32_e64 s0, s29, v92
	v_perm_b32 v54, v48, v49, 0x5040100
	v_perm_b32 v56, v60, v56, 0x5040100
	s_delay_alu instid0(VALU_DEP_3) | instskip(SKIP_1) | instid1(VALU_DEP_1)
	v_cndmask_b32_e64 v57, 0, v57, s0
	v_cmp_gt_i32_e64 s0, s16, v90
	v_cndmask_b32_e64 v59, 0, v59, s0
	s_delay_alu instid0(VALU_DEP_1)
	v_perm_b32 v57, v59, v57, 0x5040100
	s_or_b32 exec_lo, exec_lo, s19
	global_load_b128 v[58:61], v[46:47], off offset:5632
	s_wait_xcnt 0x0
	s_and_saveexec_b32 s19, vcc_lo
	s_cbranch_execz .LBB148_58
.LBB148_71:                             ;   in Loop: Header=BB148_45 Depth=1
	v_cmp_gt_i32_e64 s0, s29, v97
	s_wait_loadcnt 0x0
	s_delay_alu instid0(VALU_DEP_1) | instskip(SKIP_1) | instid1(VALU_DEP_1)
	v_dual_lshrrev_b32 v48, 16, v58 :: v_dual_cndmask_b32 v49, 0, v58, s0
	v_cmp_gt_i32_e64 s0, s16, v95
	v_dual_lshrrev_b32 v58, 16, v59 :: v_dual_cndmask_b32 v48, 0, v48, s0
	v_cmp_gt_i32_e64 s0, s29, v96
	s_delay_alu instid0(VALU_DEP_1) | instskip(SKIP_1) | instid1(VALU_DEP_1)
	v_cndmask_b32_e64 v59, 0, v59, s0
	v_cmp_gt_i32_e64 s0, s16, v94
	v_cndmask_b32_e64 v62, 0, v58, s0
	v_cmp_gt_i32_e64 s0, s29, v93
	v_lshrrev_b32_e32 v58, 16, v60
	s_delay_alu instid0(VALU_DEP_3) | instskip(NEXT) | instid1(VALU_DEP_3)
	v_perm_b32 v59, v62, v59, 0x5040100
	v_cndmask_b32_e64 v60, 0, v60, s0
	v_cmp_gt_i32_e64 s0, s16, v91
	s_delay_alu instid0(VALU_DEP_1) | instskip(SKIP_2) | instid1(VALU_DEP_3)
	v_dual_lshrrev_b32 v63, 16, v61 :: v_dual_cndmask_b32 v64, 0, v58, s0
	v_cmp_gt_i32_e64 s0, s29, v92
	v_perm_b32 v58, v48, v49, 0x5040100
	v_perm_b32 v60, v64, v60, 0x5040100
	s_delay_alu instid0(VALU_DEP_3) | instskip(SKIP_1) | instid1(VALU_DEP_1)
	v_cndmask_b32_e64 v61, 0, v61, s0
	v_cmp_gt_i32_e64 s0, s16, v90
	v_cndmask_b32_e64 v63, 0, v63, s0
	s_delay_alu instid0(VALU_DEP_1)
	v_perm_b32 v61, v63, v61, 0x5040100
	s_or_b32 exec_lo, exec_lo, s19
	global_load_b128 v[62:65], v[46:47], off offset:6144
	s_wait_xcnt 0x0
	s_and_saveexec_b32 s19, vcc_lo
	s_cbranch_execz .LBB148_59
.LBB148_72:                             ;   in Loop: Header=BB148_45 Depth=1
	v_cmp_gt_i32_e64 s0, s29, v97
	s_wait_loadcnt 0x0
	s_delay_alu instid0(VALU_DEP_1) | instskip(SKIP_1) | instid1(VALU_DEP_1)
	v_dual_lshrrev_b32 v48, 16, v62 :: v_dual_cndmask_b32 v49, 0, v62, s0
	v_cmp_gt_i32_e64 s0, s16, v95
	v_dual_lshrrev_b32 v62, 16, v63 :: v_dual_cndmask_b32 v48, 0, v48, s0
	v_cmp_gt_i32_e64 s0, s29, v96
	s_delay_alu instid0(VALU_DEP_1) | instskip(SKIP_1) | instid1(VALU_DEP_1)
	v_cndmask_b32_e64 v63, 0, v63, s0
	v_cmp_gt_i32_e64 s0, s16, v94
	v_cndmask_b32_e64 v98, 0, v62, s0
	v_cmp_gt_i32_e64 s0, s29, v93
	v_lshrrev_b32_e32 v62, 16, v64
	s_delay_alu instid0(VALU_DEP_3) | instskip(NEXT) | instid1(VALU_DEP_3)
	v_perm_b32 v63, v98, v63, 0x5040100
	v_cndmask_b32_e64 v64, 0, v64, s0
	v_cmp_gt_i32_e64 s0, s16, v91
	s_delay_alu instid0(VALU_DEP_1) | instskip(SKIP_2) | instid1(VALU_DEP_3)
	v_dual_lshrrev_b32 v99, 16, v65 :: v_dual_cndmask_b32 v100, 0, v62, s0
	v_cmp_gt_i32_e64 s0, s29, v92
	v_perm_b32 v62, v48, v49, 0x5040100
	v_perm_b32 v64, v100, v64, 0x5040100
	s_delay_alu instid0(VALU_DEP_3) | instskip(SKIP_1) | instid1(VALU_DEP_1)
	v_cndmask_b32_e64 v65, 0, v65, s0
	v_cmp_gt_i32_e64 s0, s16, v90
	v_cndmask_b32_e64 v99, 0, v99, s0
	s_delay_alu instid0(VALU_DEP_1)
	v_perm_b32 v65, v99, v65, 0x5040100
	s_or_b32 exec_lo, exec_lo, s19
	global_load_b128 v[46:49], v[46:47], off offset:6656
	s_wait_xcnt 0x0
	s_and_saveexec_b32 s0, vcc_lo
	s_cbranch_execz .LBB148_43
.LBB148_73:                             ;   in Loop: Header=BB148_45 Depth=1
	v_cmp_gt_i32_e32 vcc_lo, s29, v97
	s_wait_loadcnt 0x0
	v_dual_lshrrev_b32 v98, 16, v46 :: v_dual_cndmask_b32 v46, 0, v46, vcc_lo
	v_cmp_gt_i32_e32 vcc_lo, s16, v95
	s_delay_alu instid0(VALU_DEP_2) | instskip(SKIP_1) | instid1(VALU_DEP_2)
	v_dual_lshrrev_b32 v97, 16, v47 :: v_dual_cndmask_b32 v95, 0, v98, vcc_lo
	v_cmp_gt_i32_e32 vcc_lo, s29, v96
	v_perm_b32 v46, v95, v46, 0x5040100
	v_cndmask_b32_e32 v47, 0, v47, vcc_lo
	v_cmp_gt_i32_e32 vcc_lo, s16, v94
	v_cndmask_b32_e32 v94, 0, v97, vcc_lo
	v_cmp_gt_i32_e32 vcc_lo, s29, v93
	v_lshrrev_b32_e32 v96, 16, v48
	s_delay_alu instid0(VALU_DEP_3) | instskip(SKIP_2) | instid1(VALU_DEP_4)
	v_perm_b32 v47, v94, v47, 0x5040100
	v_cndmask_b32_e32 v48, 0, v48, vcc_lo
	v_cmp_gt_i32_e32 vcc_lo, s16, v91
	v_dual_lshrrev_b32 v93, 16, v49 :: v_dual_cndmask_b32 v91, 0, v96, vcc_lo
	v_cmp_gt_i32_e32 vcc_lo, s29, v92
	s_delay_alu instid0(VALU_DEP_2) | instskip(SKIP_3) | instid1(VALU_DEP_1)
	v_perm_b32 v48, v91, v48, 0x5040100
	v_cndmask_b32_e32 v49, 0, v49, vcc_lo
	v_cmp_gt_i32_e32 vcc_lo, s16, v90
	v_cndmask_b32_e32 v90, 0, v93, vcc_lo
	v_perm_b32 v49, v90, v49, 0x5040100
	s_branch .LBB148_43
.LBB148_74:
	s_or_b32 exec_lo, exec_lo, s17
.LBB148_75:
	s_delay_alu instid0(SALU_CYCLE_1)
	s_or_b32 exec_lo, exec_lo, s1
	ds_bpermute_b32 v10, v85, v70
	ds_bpermute_b32 v11, v85, v71
	;; [unrolled: 1-line block ×14, first 2 shown]
	v_and_b32_e32 v17, 0x3c3, v101
	s_mov_b32 s0, exec_lo
	s_wait_dscnt 0xc
	v_pk_add_f32 v[20:21], v[70:71], v[10:11]
	scratch_load_b32 v10, off, off          ; 4-byte Folded Reload
	s_wait_dscnt 0xa
	v_pk_add_f32 v[2:3], v[78:79], v[2:3]
	s_wait_loadcnt_dscnt 0x0
	v_pk_add_f32 v[4:5], v[76:77], v[4:5]
	ds_bpermute_b32 v28, v84, v20
	v_pk_add_f32 v[6:7], v[74:75], v[6:7]
	ds_bpermute_b32 v29, v84, v21
	;; [unrolled: 2-line block ×4, first 2 shown]
	ds_bpermute_b32 v22, v84, v4
	ds_bpermute_b32 v23, v84, v5
	;; [unrolled: 1-line block ×7, first 2 shown]
	v_pk_add_f32 v[12:13], v[68:69], v[14:15]
	ds_bpermute_b32 v31, v84, v1
	s_barrier_signal -1
	s_barrier_wait -1
	s_wait_dscnt 0x0
	ds_bpermute_b32 v14, v84, v12
	ds_bpermute_b32 v15, v84, v13
	v_pk_add_f32 v[6:7], v[6:7], v[24:25]
	v_pk_add_f32 v[0:1], v[0:1], v[30:31]
	v_and_b32_e32 v16, 28, v10
	v_pk_add_f32 v[10:11], v[2:3], v[8:9]
	v_pk_add_f32 v[8:9], v[4:5], v[22:23]
	;; [unrolled: 1-line block ×4, first 2 shown]
	v_cmpx_ne_u32_e32 64, v17
	s_xor_b32 s0, exec_lo, s0
	s_delay_alu instid0(SALU_CYCLE_1)
	s_or_saveexec_b32 s0, s0
	s_wait_dscnt 0x0
	v_pk_add_f32 v[12:13], v[12:13], v[14:15]
	scratch_load_b32 v14, off, off th:TH_LOAD_LU ; 4-byte Folded Reload
	v_add_nc_u32_e32 v15, 0x100, v16
	v_mul_u32_u24_e32 v16, 0x1c0, v102
	s_wait_loadcnt 0x0
	v_lshrrev_b32_e32 v14, 2, v14
	s_xor_b32 exec_lo, exec_lo, s0
	s_cbranch_execz .LBB148_77
; %bb.76:
	v_add_nc_u32_e32 v17, v15, v16
	s_delay_alu instid0(VALU_DEP_1)
	v_add_nc_u32_e32 v18, 0xfffffc80, v17
	v_add_nc_u32_e32 v19, 0xfffffca0, v17
	;; [unrolled: 1-line block ×8, first 2 shown]
	ds_store_b32 v18, v10
	ds_store_b32 v19, v11
	;; [unrolled: 1-line block ×8, first 2 shown]
	v_add_nc_u32_e32 v18, 0xfffffd80, v17
	v_add_nc_u32_e32 v19, 0xfffffda0, v17
	;; [unrolled: 1-line block ×6, first 2 shown]
	ds_store_b32 v18, v2
	ds_store_b32 v19, v3
	;; [unrolled: 1-line block ×6, first 2 shown]
.LBB148_77:
	s_or_b32 exec_lo, exec_lo, s0
	s_delay_alu instid0(VALU_DEP_1)
	v_lshlrev_b32_e32 v14, 2, v14
	s_mov_b32 s1, exec_lo
	v_cmp_eq_u32_e32 vcc_lo, 0, v86
	s_wait_dscnt 0x0
	s_barrier_signal -1
	v_add3_u32 v14, 0x100, v16, v14
	s_barrier_wait -1
	v_cmpx_gt_u32_e32 64, v101
	s_cbranch_execz .LBB148_94
; %bb.78:
	s_and_saveexec_b32 s0, vcc_lo
	s_cbranch_execnz .LBB148_116
; %bb.79:
	s_or_b32 exec_lo, exec_lo, s0
	s_and_saveexec_b32 s0, vcc_lo
	s_cbranch_execnz .LBB148_117
.LBB148_80:
	s_or_b32 exec_lo, exec_lo, s0
	s_and_saveexec_b32 s0, vcc_lo
	s_cbranch_execnz .LBB148_118
.LBB148_81:
	s_or_b32 exec_lo, exec_lo, s0
	s_and_saveexec_b32 s0, vcc_lo
	s_cbranch_execnz .LBB148_119
.LBB148_82:
	s_or_b32 exec_lo, exec_lo, s0
	s_and_saveexec_b32 s0, vcc_lo
	s_cbranch_execnz .LBB148_120
.LBB148_83:
	s_or_b32 exec_lo, exec_lo, s0
	s_and_saveexec_b32 s0, vcc_lo
	s_cbranch_execnz .LBB148_121
.LBB148_84:
	s_or_b32 exec_lo, exec_lo, s0
	s_and_saveexec_b32 s0, vcc_lo
	s_cbranch_execnz .LBB148_122
.LBB148_85:
	s_or_b32 exec_lo, exec_lo, s0
	s_and_saveexec_b32 s0, vcc_lo
	s_cbranch_execnz .LBB148_123
.LBB148_86:
	s_or_b32 exec_lo, exec_lo, s0
	s_and_saveexec_b32 s0, vcc_lo
	s_cbranch_execnz .LBB148_124
.LBB148_87:
	s_or_b32 exec_lo, exec_lo, s0
	s_and_saveexec_b32 s0, vcc_lo
	s_cbranch_execnz .LBB148_125
.LBB148_88:
	s_or_b32 exec_lo, exec_lo, s0
	s_and_saveexec_b32 s0, vcc_lo
	s_cbranch_execnz .LBB148_126
.LBB148_89:
	s_or_b32 exec_lo, exec_lo, s0
	s_and_saveexec_b32 s0, vcc_lo
	s_cbranch_execnz .LBB148_127
.LBB148_90:
	s_or_b32 exec_lo, exec_lo, s0
	s_and_saveexec_b32 s0, vcc_lo
	s_cbranch_execnz .LBB148_128
.LBB148_91:
	s_or_b32 exec_lo, exec_lo, s0
	s_and_saveexec_b32 s0, vcc_lo
	s_cbranch_execz .LBB148_93
.LBB148_92:
	ds_load_b32 v16, v14 offset:416
	s_wait_dscnt 0x0
	v_add_f32_e32 v13, v13, v16
.LBB148_93:
	s_or_b32 exec_lo, exec_lo, s0
.LBB148_94:
	s_delay_alu instid0(SALU_CYCLE_1) | instskip(SKIP_4) | instid1(VALU_DEP_1)
	s_or_b32 exec_lo, exec_lo, s1
	v_and_b32_e32 v16, 0x3e3, v101
	s_mov_b32 s1, exec_lo
	s_barrier_signal -1
	s_barrier_wait -1
	v_cmpx_eq_u32_e32 32, v16
	s_cbranch_execz .LBB148_96
; %bb.95:
	ds_store_2addr_b32 v15, v10, v11 offset1:8
	ds_store_2addr_b32 v15, v8, v9 offset0:16 offset1:24
	ds_store_2addr_b32 v15, v6, v7 offset0:32 offset1:40
	ds_store_2addr_b32 v15, v4, v5 offset0:48 offset1:56
	ds_store_2addr_b32 v15, v2, v3 offset0:64 offset1:72
	ds_store_2addr_b32 v15, v0, v1 offset0:80 offset1:88
	ds_store_2addr_b32 v15, v12, v13 offset0:96 offset1:104
.LBB148_96:
	s_or_b32 exec_lo, exec_lo, s1
	s_delay_alu instid0(SALU_CYCLE_1)
	s_mov_b32 s1, exec_lo
	s_wait_dscnt 0x0
	s_barrier_signal -1
	s_barrier_wait -1
	v_cmpx_gt_u32_e32 32, v101
	s_cbranch_execz .LBB148_113
; %bb.97:
	s_and_saveexec_b32 s0, vcc_lo
	s_cbranch_execnz .LBB148_129
; %bb.98:
	s_or_b32 exec_lo, exec_lo, s0
	s_and_saveexec_b32 s0, vcc_lo
	s_cbranch_execnz .LBB148_130
.LBB148_99:
	s_or_b32 exec_lo, exec_lo, s0
	s_and_saveexec_b32 s0, vcc_lo
	s_cbranch_execnz .LBB148_131
.LBB148_100:
	s_or_b32 exec_lo, exec_lo, s0
	s_and_saveexec_b32 s0, vcc_lo
	s_cbranch_execnz .LBB148_132
.LBB148_101:
	s_or_b32 exec_lo, exec_lo, s0
	s_and_saveexec_b32 s0, vcc_lo
	s_cbranch_execnz .LBB148_133
.LBB148_102:
	s_or_b32 exec_lo, exec_lo, s0
	s_and_saveexec_b32 s0, vcc_lo
	s_cbranch_execnz .LBB148_134
.LBB148_103:
	s_or_b32 exec_lo, exec_lo, s0
	s_and_saveexec_b32 s0, vcc_lo
	s_cbranch_execnz .LBB148_135
.LBB148_104:
	s_or_b32 exec_lo, exec_lo, s0
	s_and_saveexec_b32 s0, vcc_lo
	s_cbranch_execnz .LBB148_136
.LBB148_105:
	s_or_b32 exec_lo, exec_lo, s0
	s_and_saveexec_b32 s0, vcc_lo
	s_cbranch_execnz .LBB148_137
.LBB148_106:
	s_or_b32 exec_lo, exec_lo, s0
	s_and_saveexec_b32 s0, vcc_lo
	s_cbranch_execnz .LBB148_138
.LBB148_107:
	s_or_b32 exec_lo, exec_lo, s0
	s_and_saveexec_b32 s0, vcc_lo
	s_cbranch_execnz .LBB148_139
.LBB148_108:
	s_or_b32 exec_lo, exec_lo, s0
	s_and_saveexec_b32 s0, vcc_lo
	s_cbranch_execnz .LBB148_140
.LBB148_109:
	s_or_b32 exec_lo, exec_lo, s0
	s_and_saveexec_b32 s0, vcc_lo
	s_cbranch_execnz .LBB148_141
.LBB148_110:
	s_or_b32 exec_lo, exec_lo, s0
	s_and_saveexec_b32 s0, vcc_lo
	s_cbranch_execz .LBB148_112
.LBB148_111:
	ds_load_b32 v14, v14 offset:416
	s_wait_dscnt 0x0
	v_add_f32_e32 v13, v13, v14
.LBB148_112:
	s_or_b32 exec_lo, exec_lo, s0
.LBB148_113:
	s_delay_alu instid0(SALU_CYCLE_1)
	s_or_b32 exec_lo, exec_lo, s1
	s_mov_b32 s1, 0
	s_barrier_signal -1
	s_barrier_wait -1
	s_mov_b32 s0, exec_lo
	v_cmpx_eq_u32_e32 0, v16
	s_cbranch_execz .LBB148_115
; %bb.114:
	s_mul_i32 s0, s28, s7
	s_mul_i32 s2, s7, s12
	;; [unrolled: 1-line block ×3, first 2 shown]
	s_lshr_b32 s6, ttmp7, 16
	s_mul_i32 s4, s0, 0x70
	s_bfe_u32 s0, ttmp6, 0x40014
	s_ashr_i32 s5, s4, 31
	s_add_co_i32 s0, s0, 1
	s_ashr_i32 s3, s2, 31
	s_mul_i32 s0, s6, s0
	s_bfe_u32 s7, ttmp6, 0x40008
	s_lshl_b64 s[4:5], s[4:5], 1
	s_lshl_b64 s[2:3], s[2:3], 1
	s_add_co_i32 s7, s7, s0
	s_cmp_eq_u32 s26, 0
	s_wait_kmcnt 0x0
	s_add_nc_u64 s[4:5], s[10:11], s[4:5]
	s_cselect_b32 s0, s6, s7
	s_add_nc_u64 s[2:3], s[4:5], s[2:3]
	s_mulk_i32 s0, 0xe0
	v_lshrrev_b32_e32 v14, 1, v101
	s_add_nc_u64 s[0:1], s[2:3], s[0:1]
	s_delay_alu instid0(SALU_CYCLE_1)
	v_cvt_pk_bf16_f32 v10, v10, s0
	v_cvt_pk_bf16_f32 v11, v11, s0
	;; [unrolled: 1-line block ×12, first 2 shown]
	s_clause 0x7
	global_store_b16 v14, v10, s[0:1]
	global_store_b16 v14, v11, s[0:1] offset:16
	global_store_b16 v14, v8, s[0:1] offset:32
	;; [unrolled: 1-line block ×7, first 2 shown]
	s_wait_xcnt 0x1
	v_cvt_pk_bf16_f32 v4, v12, s0
	s_wait_xcnt 0x0
	v_cvt_pk_bf16_f32 v5, v13, s0
	s_clause 0x5
	global_store_b16 v14, v2, s[0:1] offset:128
	global_store_b16 v14, v3, s[0:1] offset:144
	;; [unrolled: 1-line block ×6, first 2 shown]
.LBB148_115:
	s_sendmsg sendmsg(MSG_DEALLOC_VGPRS)
	s_endpgm
.LBB148_116:
	ds_load_b32 v16, v14
	s_wait_dscnt 0x0
	v_add_f32_e32 v10, v10, v16
	s_or_b32 exec_lo, exec_lo, s0
	s_and_saveexec_b32 s0, vcc_lo
	s_cbranch_execz .LBB148_80
.LBB148_117:
	ds_load_b32 v16, v14 offset:32
	s_wait_dscnt 0x0
	v_add_f32_e32 v11, v11, v16
	s_or_b32 exec_lo, exec_lo, s0
	s_and_saveexec_b32 s0, vcc_lo
	s_cbranch_execz .LBB148_81
.LBB148_118:
	ds_load_b32 v16, v14 offset:64
	s_wait_dscnt 0x0
	v_add_f32_e32 v8, v8, v16
	s_or_b32 exec_lo, exec_lo, s0
	s_and_saveexec_b32 s0, vcc_lo
	s_cbranch_execz .LBB148_82
.LBB148_119:
	ds_load_b32 v16, v14 offset:96
	s_wait_dscnt 0x0
	v_add_f32_e32 v9, v9, v16
	s_or_b32 exec_lo, exec_lo, s0
	s_and_saveexec_b32 s0, vcc_lo
	s_cbranch_execz .LBB148_83
.LBB148_120:
	ds_load_b32 v16, v14 offset:128
	s_wait_dscnt 0x0
	v_add_f32_e32 v6, v6, v16
	s_or_b32 exec_lo, exec_lo, s0
	s_and_saveexec_b32 s0, vcc_lo
	s_cbranch_execz .LBB148_84
.LBB148_121:
	ds_load_b32 v16, v14 offset:160
	s_wait_dscnt 0x0
	v_add_f32_e32 v7, v7, v16
	s_or_b32 exec_lo, exec_lo, s0
	s_and_saveexec_b32 s0, vcc_lo
	s_cbranch_execz .LBB148_85
.LBB148_122:
	ds_load_b32 v16, v14 offset:192
	s_wait_dscnt 0x0
	v_add_f32_e32 v4, v4, v16
	s_or_b32 exec_lo, exec_lo, s0
	s_and_saveexec_b32 s0, vcc_lo
	s_cbranch_execz .LBB148_86
.LBB148_123:
	ds_load_b32 v16, v14 offset:224
	s_wait_dscnt 0x0
	v_add_f32_e32 v5, v5, v16
	s_or_b32 exec_lo, exec_lo, s0
	s_and_saveexec_b32 s0, vcc_lo
	s_cbranch_execz .LBB148_87
.LBB148_124:
	ds_load_b32 v16, v14 offset:256
	s_wait_dscnt 0x0
	v_add_f32_e32 v2, v2, v16
	s_or_b32 exec_lo, exec_lo, s0
	s_and_saveexec_b32 s0, vcc_lo
	s_cbranch_execz .LBB148_88
.LBB148_125:
	ds_load_b32 v16, v14 offset:288
	s_wait_dscnt 0x0
	v_add_f32_e32 v3, v3, v16
	s_or_b32 exec_lo, exec_lo, s0
	s_and_saveexec_b32 s0, vcc_lo
	s_cbranch_execz .LBB148_89
.LBB148_126:
	ds_load_b32 v16, v14 offset:320
	s_wait_dscnt 0x0
	v_add_f32_e32 v0, v0, v16
	s_or_b32 exec_lo, exec_lo, s0
	s_and_saveexec_b32 s0, vcc_lo
	s_cbranch_execz .LBB148_90
.LBB148_127:
	ds_load_b32 v16, v14 offset:352
	s_wait_dscnt 0x0
	v_add_f32_e32 v1, v1, v16
	s_or_b32 exec_lo, exec_lo, s0
	s_and_saveexec_b32 s0, vcc_lo
	s_cbranch_execz .LBB148_91
.LBB148_128:
	ds_load_b32 v16, v14 offset:384
	s_wait_dscnt 0x0
	v_add_f32_e32 v12, v12, v16
	s_or_b32 exec_lo, exec_lo, s0
	s_and_saveexec_b32 s0, vcc_lo
	s_cbranch_execnz .LBB148_92
	s_branch .LBB148_93
.LBB148_129:
	ds_load_b32 v15, v14
	s_wait_dscnt 0x0
	v_add_f32_e32 v10, v10, v15
	s_or_b32 exec_lo, exec_lo, s0
	s_and_saveexec_b32 s0, vcc_lo
	s_cbranch_execz .LBB148_99
.LBB148_130:
	ds_load_b32 v15, v14 offset:32
	s_wait_dscnt 0x0
	v_add_f32_e32 v11, v11, v15
	s_or_b32 exec_lo, exec_lo, s0
	s_and_saveexec_b32 s0, vcc_lo
	s_cbranch_execz .LBB148_100
.LBB148_131:
	ds_load_b32 v15, v14 offset:64
	s_wait_dscnt 0x0
	v_add_f32_e32 v8, v8, v15
	s_or_b32 exec_lo, exec_lo, s0
	s_and_saveexec_b32 s0, vcc_lo
	s_cbranch_execz .LBB148_101
.LBB148_132:
	ds_load_b32 v15, v14 offset:96
	s_wait_dscnt 0x0
	v_add_f32_e32 v9, v9, v15
	s_or_b32 exec_lo, exec_lo, s0
	s_and_saveexec_b32 s0, vcc_lo
	s_cbranch_execz .LBB148_102
.LBB148_133:
	ds_load_b32 v15, v14 offset:128
	s_wait_dscnt 0x0
	v_add_f32_e32 v6, v6, v15
	s_or_b32 exec_lo, exec_lo, s0
	s_and_saveexec_b32 s0, vcc_lo
	s_cbranch_execz .LBB148_103
.LBB148_134:
	ds_load_b32 v15, v14 offset:160
	s_wait_dscnt 0x0
	v_add_f32_e32 v7, v7, v15
	s_or_b32 exec_lo, exec_lo, s0
	s_and_saveexec_b32 s0, vcc_lo
	s_cbranch_execz .LBB148_104
.LBB148_135:
	ds_load_b32 v15, v14 offset:192
	s_wait_dscnt 0x0
	v_add_f32_e32 v4, v4, v15
	s_or_b32 exec_lo, exec_lo, s0
	s_and_saveexec_b32 s0, vcc_lo
	s_cbranch_execz .LBB148_105
.LBB148_136:
	ds_load_b32 v15, v14 offset:224
	s_wait_dscnt 0x0
	v_add_f32_e32 v5, v5, v15
	s_or_b32 exec_lo, exec_lo, s0
	s_and_saveexec_b32 s0, vcc_lo
	s_cbranch_execz .LBB148_106
.LBB148_137:
	ds_load_b32 v15, v14 offset:256
	s_wait_dscnt 0x0
	v_add_f32_e32 v2, v2, v15
	s_or_b32 exec_lo, exec_lo, s0
	s_and_saveexec_b32 s0, vcc_lo
	s_cbranch_execz .LBB148_107
.LBB148_138:
	ds_load_b32 v15, v14 offset:288
	s_wait_dscnt 0x0
	v_add_f32_e32 v3, v3, v15
	s_or_b32 exec_lo, exec_lo, s0
	s_and_saveexec_b32 s0, vcc_lo
	s_cbranch_execz .LBB148_108
.LBB148_139:
	ds_load_b32 v15, v14 offset:320
	s_wait_dscnt 0x0
	v_add_f32_e32 v0, v0, v15
	s_or_b32 exec_lo, exec_lo, s0
	s_and_saveexec_b32 s0, vcc_lo
	s_cbranch_execz .LBB148_109
.LBB148_140:
	ds_load_b32 v15, v14 offset:352
	s_wait_dscnt 0x0
	v_add_f32_e32 v1, v1, v15
	s_or_b32 exec_lo, exec_lo, s0
	s_and_saveexec_b32 s0, vcc_lo
	s_cbranch_execz .LBB148_110
.LBB148_141:
	ds_load_b32 v15, v14 offset:384
	s_wait_dscnt 0x0
	v_add_f32_e32 v12, v12, v15
	s_or_b32 exec_lo, exec_lo, s0
	s_and_saveexec_b32 s0, vcc_lo
	s_cbranch_execnz .LBB148_111
	s_branch .LBB148_112
	.section	.rodata,"a",@progbits
	.p2align	6, 0x0
	.amdhsa_kernel _ZN4vllm25paged_attention_v1_kernelI14__hip_bfloat16S1_Li112ELi32ELi128ELNS_18Fp8KVCacheDataTypeE0ELb1EEEvPT_PKS3_PKT0_S9_ifPKiSB_iPKfiiiSD_SD_iiiii
		.amdhsa_group_segment_fixed_size 256
		.amdhsa_private_segment_fixed_size 276
		.amdhsa_kernarg_size 384
		.amdhsa_user_sgpr_count 2
		.amdhsa_user_sgpr_dispatch_ptr 0
		.amdhsa_user_sgpr_queue_ptr 0
		.amdhsa_user_sgpr_kernarg_segment_ptr 1
		.amdhsa_user_sgpr_dispatch_id 0
		.amdhsa_user_sgpr_kernarg_preload_length 0
		.amdhsa_user_sgpr_kernarg_preload_offset 0
		.amdhsa_user_sgpr_private_segment_size 0
		.amdhsa_wavefront_size32 1
		.amdhsa_uses_dynamic_stack 0
		.amdhsa_enable_private_segment 1
		.amdhsa_system_sgpr_workgroup_id_x 1
		.amdhsa_system_sgpr_workgroup_id_y 1
		.amdhsa_system_sgpr_workgroup_id_z 1
		.amdhsa_system_sgpr_workgroup_info 0
		.amdhsa_system_vgpr_workitem_id 0
		.amdhsa_next_free_vgpr 128
		.amdhsa_next_free_sgpr 38
		.amdhsa_named_barrier_count 0
		.amdhsa_reserve_vcc 1
		.amdhsa_float_round_mode_32 0
		.amdhsa_float_round_mode_16_64 0
		.amdhsa_float_denorm_mode_32 3
		.amdhsa_float_denorm_mode_16_64 3
		.amdhsa_fp16_overflow 0
		.amdhsa_memory_ordered 1
		.amdhsa_forward_progress 1
		.amdhsa_inst_pref_size 120
		.amdhsa_round_robin_scheduling 0
		.amdhsa_exception_fp_ieee_invalid_op 0
		.amdhsa_exception_fp_denorm_src 0
		.amdhsa_exception_fp_ieee_div_zero 0
		.amdhsa_exception_fp_ieee_overflow 0
		.amdhsa_exception_fp_ieee_underflow 0
		.amdhsa_exception_fp_ieee_inexact 0
		.amdhsa_exception_int_div_zero 0
	.end_amdhsa_kernel
	.section	.text._ZN4vllm25paged_attention_v1_kernelI14__hip_bfloat16S1_Li112ELi32ELi128ELNS_18Fp8KVCacheDataTypeE0ELb1EEEvPT_PKS3_PKT0_S9_ifPKiSB_iPKfiiiSD_SD_iiiii,"axG",@progbits,_ZN4vllm25paged_attention_v1_kernelI14__hip_bfloat16S1_Li112ELi32ELi128ELNS_18Fp8KVCacheDataTypeE0ELb1EEEvPT_PKS3_PKT0_S9_ifPKiSB_iPKfiiiSD_SD_iiiii,comdat
.Lfunc_end148:
	.size	_ZN4vllm25paged_attention_v1_kernelI14__hip_bfloat16S1_Li112ELi32ELi128ELNS_18Fp8KVCacheDataTypeE0ELb1EEEvPT_PKS3_PKT0_S9_ifPKiSB_iPKfiiiSD_SD_iiiii, .Lfunc_end148-_ZN4vllm25paged_attention_v1_kernelI14__hip_bfloat16S1_Li112ELi32ELi128ELNS_18Fp8KVCacheDataTypeE0ELb1EEEvPT_PKS3_PKT0_S9_ifPKiSB_iPKfiiiSD_SD_iiiii
                                        ; -- End function
	.set _ZN4vllm25paged_attention_v1_kernelI14__hip_bfloat16S1_Li112ELi32ELi128ELNS_18Fp8KVCacheDataTypeE0ELb1EEEvPT_PKS3_PKT0_S9_ifPKiSB_iPKfiiiSD_SD_iiiii.num_vgpr, 128
	.set _ZN4vllm25paged_attention_v1_kernelI14__hip_bfloat16S1_Li112ELi32ELi128ELNS_18Fp8KVCacheDataTypeE0ELb1EEEvPT_PKS3_PKT0_S9_ifPKiSB_iPKfiiiSD_SD_iiiii.num_agpr, 0
	.set _ZN4vllm25paged_attention_v1_kernelI14__hip_bfloat16S1_Li112ELi32ELi128ELNS_18Fp8KVCacheDataTypeE0ELb1EEEvPT_PKS3_PKT0_S9_ifPKiSB_iPKfiiiSD_SD_iiiii.numbered_sgpr, 38
	.set _ZN4vllm25paged_attention_v1_kernelI14__hip_bfloat16S1_Li112ELi32ELi128ELNS_18Fp8KVCacheDataTypeE0ELb1EEEvPT_PKS3_PKT0_S9_ifPKiSB_iPKfiiiSD_SD_iiiii.num_named_barrier, 0
	.set _ZN4vllm25paged_attention_v1_kernelI14__hip_bfloat16S1_Li112ELi32ELi128ELNS_18Fp8KVCacheDataTypeE0ELb1EEEvPT_PKS3_PKT0_S9_ifPKiSB_iPKfiiiSD_SD_iiiii.private_seg_size, 276
	.set _ZN4vllm25paged_attention_v1_kernelI14__hip_bfloat16S1_Li112ELi32ELi128ELNS_18Fp8KVCacheDataTypeE0ELb1EEEvPT_PKS3_PKT0_S9_ifPKiSB_iPKfiiiSD_SD_iiiii.uses_vcc, 1
	.set _ZN4vllm25paged_attention_v1_kernelI14__hip_bfloat16S1_Li112ELi32ELi128ELNS_18Fp8KVCacheDataTypeE0ELb1EEEvPT_PKS3_PKT0_S9_ifPKiSB_iPKfiiiSD_SD_iiiii.uses_flat_scratch, 1
	.set _ZN4vllm25paged_attention_v1_kernelI14__hip_bfloat16S1_Li112ELi32ELi128ELNS_18Fp8KVCacheDataTypeE0ELb1EEEvPT_PKS3_PKT0_S9_ifPKiSB_iPKfiiiSD_SD_iiiii.has_dyn_sized_stack, 0
	.set _ZN4vllm25paged_attention_v1_kernelI14__hip_bfloat16S1_Li112ELi32ELi128ELNS_18Fp8KVCacheDataTypeE0ELb1EEEvPT_PKS3_PKT0_S9_ifPKiSB_iPKfiiiSD_SD_iiiii.has_recursion, 0
	.set _ZN4vllm25paged_attention_v1_kernelI14__hip_bfloat16S1_Li112ELi32ELi128ELNS_18Fp8KVCacheDataTypeE0ELb1EEEvPT_PKS3_PKT0_S9_ifPKiSB_iPKfiiiSD_SD_iiiii.has_indirect_call, 0
	.section	.AMDGPU.csdata,"",@progbits
; Kernel info:
; codeLenInByte = 15328
; TotalNumSgprs: 40
; NumVgprs: 128
; ScratchSize: 276
; MemoryBound: 0
; FloatMode: 240
; IeeeMode: 1
; LDSByteSize: 256 bytes/workgroup (compile time only)
; SGPRBlocks: 0
; VGPRBlocks: 7
; NumSGPRsForWavesPerEU: 40
; NumVGPRsForWavesPerEU: 128
; NamedBarCnt: 0
; Occupancy: 8
; WaveLimiterHint : 1
; COMPUTE_PGM_RSRC2:SCRATCH_EN: 1
; COMPUTE_PGM_RSRC2:USER_SGPR: 2
; COMPUTE_PGM_RSRC2:TRAP_HANDLER: 0
; COMPUTE_PGM_RSRC2:TGID_X_EN: 1
; COMPUTE_PGM_RSRC2:TGID_Y_EN: 1
; COMPUTE_PGM_RSRC2:TGID_Z_EN: 1
; COMPUTE_PGM_RSRC2:TIDIG_COMP_CNT: 0
	.section	.text._ZN4vllm25paged_attention_v1_kernelI14__hip_bfloat16S1_Li120ELi32ELi128ELNS_18Fp8KVCacheDataTypeE0ELb1EEEvPT_PKS3_PKT0_S9_ifPKiSB_iPKfiiiSD_SD_iiiii,"axG",@progbits,_ZN4vllm25paged_attention_v1_kernelI14__hip_bfloat16S1_Li120ELi32ELi128ELNS_18Fp8KVCacheDataTypeE0ELb1EEEvPT_PKS3_PKT0_S9_ifPKiSB_iPKfiiiSD_SD_iiiii,comdat
	.protected	_ZN4vllm25paged_attention_v1_kernelI14__hip_bfloat16S1_Li120ELi32ELi128ELNS_18Fp8KVCacheDataTypeE0ELb1EEEvPT_PKS3_PKT0_S9_ifPKiSB_iPKfiiiSD_SD_iiiii ; -- Begin function _ZN4vllm25paged_attention_v1_kernelI14__hip_bfloat16S1_Li120ELi32ELi128ELNS_18Fp8KVCacheDataTypeE0ELb1EEEvPT_PKS3_PKT0_S9_ifPKiSB_iPKfiiiSD_SD_iiiii
	.globl	_ZN4vllm25paged_attention_v1_kernelI14__hip_bfloat16S1_Li120ELi32ELi128ELNS_18Fp8KVCacheDataTypeE0ELb1EEEvPT_PKS3_PKT0_S9_ifPKiSB_iPKfiiiSD_SD_iiiii
	.p2align	8
	.type	_ZN4vllm25paged_attention_v1_kernelI14__hip_bfloat16S1_Li120ELi32ELi128ELNS_18Fp8KVCacheDataTypeE0ELb1EEEvPT_PKS3_PKT0_S9_ifPKiSB_iPKfiiiSD_SD_iiiii,@function
_ZN4vllm25paged_attention_v1_kernelI14__hip_bfloat16S1_Li120ELi32ELi128ELNS_18Fp8KVCacheDataTypeE0ELb1EEEvPT_PKS3_PKT0_S9_ifPKiSB_iPKfiiiSD_SD_iiiii: ; @_ZN4vllm25paged_attention_v1_kernelI14__hip_bfloat16S1_Li120ELi32ELi128ELNS_18Fp8KVCacheDataTypeE0ELb1EEEvPT_PKS3_PKT0_S9_ifPKiSB_iPKfiiiSD_SD_iiiii
; %bb.0:
	s_load_b64 s[22:23], s[0:1], 0x20
	s_bfe_u32 s3, ttmp6, 0x4000c
	s_bfe_u32 s4, ttmp6, 0x40010
	s_and_b32 s6, ttmp7, 0xffff
	s_add_co_i32 s3, s3, 1
	s_add_co_i32 s4, s4, 1
	s_and_b32 s2, ttmp6, 15
	s_bfe_u32 s5, ttmp6, 0x40004
	s_mul_i32 s3, ttmp9, s3
	s_mul_i32 s4, s6, s4
	s_getreg_b32 s26, hwreg(HW_REG_IB_STS2, 6, 4)
	s_add_co_i32 s2, s2, s3
	s_add_co_i32 s3, s5, s4
	s_cmp_eq_u32 s26, 0
	v_mov_b32_e32 v106, v0
	s_cselect_b32 s28, s6, s3
	s_cselect_b32 s2, ttmp9, s2
	s_clause 0x1
	s_load_b32 s27, s[0:1], 0x80
	s_load_b64 s[4:5], s[0:1], 0x30
	s_mov_b32 s15, 0
	s_delay_alu instid0(SALU_CYCLE_1) | instskip(SKIP_2) | instid1(SALU_CYCLE_1)
	s_mov_b32 s34, s15
	s_wait_kmcnt 0x0
	s_abs_i32 s3, s22
	s_cvt_f32_u32 s6, s3
	s_sub_co_i32 s7, 0, s3
	s_delay_alu instid0(SALU_CYCLE_2) | instskip(SKIP_1) | instid1(TRANS32_DEP_1)
	v_rcp_iflag_f32_e32 v0, s6
	v_nop
	v_readfirstlane_b32 s6, v0
	s_abs_i32 s8, s27
	s_mul_f32 s6, s6, 0x4f7ffffe
	s_delay_alu instid0(SALU_CYCLE_3) | instskip(NEXT) | instid1(SALU_CYCLE_3)
	s_cvt_u32_f32 s6, s6
	s_mul_i32 s7, s7, s6
	s_delay_alu instid0(SALU_CYCLE_1) | instskip(NEXT) | instid1(SALU_CYCLE_1)
	s_mul_hi_u32 s7, s6, s7
	s_add_co_i32 s6, s6, s7
	s_xor_b32 s7, s27, s22
	s_mul_hi_u32 s6, s8, s6
	s_ashr_i32 s7, s7, 31
	s_mul_i32 s9, s6, s3
	s_delay_alu instid0(SALU_CYCLE_1)
	s_sub_co_i32 s8, s8, s9
	s_add_co_i32 s9, s6, 1
	s_sub_co_i32 s10, s8, s3
	s_cmp_ge_u32 s8, s3
	s_cselect_b32 s6, s9, s6
	s_cselect_b32 s8, s10, s8
	s_add_co_i32 s9, s6, 1
	s_cmp_ge_u32 s8, s3
	s_cselect_b32 s3, s9, s6
	s_load_b64 s[8:9], s[0:1], 0x40
	s_xor_b32 s3, s3, s7
	s_abs_i32 s14, s2
	s_sub_co_i32 s12, s3, s7
	s_mov_b32 s7, s15
	s_abs_i32 s11, s12
	s_delay_alu instid0(SALU_CYCLE_1) | instskip(SKIP_1) | instid1(SALU_CYCLE_2)
	s_cvt_f32_u32 s3, s11
	s_sub_co_i32 s6, 0, s11
	v_rcp_iflag_f32_e32 v0, s3
	v_nop
	s_delay_alu instid0(TRANS32_DEP_1) | instskip(SKIP_1) | instid1(SALU_CYCLE_3)
	v_readfirstlane_b32 s3, v0
	s_mul_f32 s3, s3, 0x4f7ffffe
	s_cvt_u32_f32 s3, s3
	s_delay_alu instid0(SALU_CYCLE_3) | instskip(NEXT) | instid1(SALU_CYCLE_1)
	s_mul_i32 s6, s6, s3
	s_mul_hi_u32 s6, s3, s6
	s_delay_alu instid0(SALU_CYCLE_1)
	s_add_co_i32 s6, s3, s6
	s_wait_kmcnt 0x0
	s_cmp_eq_u64 s[8:9], 0
	s_cbranch_scc1 .LBB149_2
; %bb.1:
	s_ashr_i32 s3, s2, 31
	s_delay_alu instid0(SALU_CYCLE_1) | instskip(NEXT) | instid1(SALU_CYCLE_1)
	s_lshl_b64 s[16:17], s[2:3], 2
	s_add_nc_u64 s[8:9], s[8:9], s[16:17]
	s_load_b32 s34, s[8:9], 0x0
.LBB149_2:
	s_load_b32 s29, s[4:5], s28 offset:0x0 scale_offset
	s_wait_xcnt 0x0
	s_load_b96 s[8:10], s[0:1], 0x48
	v_lshlrev_b32_e32 v22, 4, v106
	s_ashr_i32 s3, s2, 31
	s_ashr_i32 s18, s12, 31
	s_mul_u64 s[16:17], s[14:15], s[6:7]
	s_mul_i32 s12, s2, 0x78
	s_mov_b32 s4, exec_lo
	v_cmpx_gt_u32_e32 15, v106
	s_cbranch_execz .LBB149_4
; %bb.3:
	s_load_b64 s[6:7], s[0:1], 0x8
	s_wait_kmcnt 0x0
	s_mul_i32 s20, s8, s28
	s_ashr_i32 s13, s12, 31
	s_ashr_i32 s21, s20, 31
	s_delay_alu instid0(SALU_CYCLE_1) | instskip(NEXT) | instid1(SALU_CYCLE_1)
	s_lshl_b64 s[20:21], s[20:21], 1
	s_add_nc_u64 s[6:7], s[6:7], s[20:21]
	s_lshl_b64 s[20:21], s[12:13], 1
	s_delay_alu instid0(SALU_CYCLE_1)
	s_add_nc_u64 s[6:7], s[6:7], s[20:21]
	global_load_b128 v[0:3], v106, s[6:7] scale_offset
	s_wait_loadcnt 0x0
	ds_store_b128 v22, v[0:3]
.LBB149_4:
	s_or_b32 exec_lo, exec_lo, s4
	s_load_b128 s[4:7], s[0:1], 0x68
	s_wait_kmcnt 0x0
	s_mul_i32 s8, s17, s11
	s_xor_b32 s3, s3, s18
	s_sub_co_i32 s8, s14, s8
	s_add_co_i32 s13, s17, 1
	s_sub_co_i32 s14, s8, s11
	s_cmp_ge_u32 s8, s11
	s_mov_b32 s19, -1
	s_cselect_b32 s13, s13, s17
	s_cselect_b32 s8, s14, s8
	s_add_co_i32 s14, s13, 1
	s_cmp_ge_u32 s8, s11
	s_load_b32 s11, s[0:1], 0x78
	s_cselect_b32 s13, s14, s13
	s_add_co_i32 s18, s29, -1
	s_xor_b32 s13, s13, s3
	s_mov_b32 s17, 0
	s_sub_co_i32 s3, s13, s3
	s_abs_i32 s16, s18
	s_mov_b32 s15, s17
	s_abs_i32 s8, s7
	s_wait_dscnt 0x0
	s_cvt_f32_u32 s14, s8
	s_barrier_signal -1
	s_barrier_wait -1
	s_delay_alu instid0(SALU_CYCLE_1) | instskip(SKIP_1) | instid1(TRANS32_DEP_1)
	v_rcp_iflag_f32_e32 v0, s14
	v_nop
	v_readfirstlane_b32 s14, v0
	s_mul_f32 s13, s14, 0x4f7ffffe
	s_sub_co_i32 s14, 0, s8
	s_delay_alu instid0(SALU_CYCLE_2) | instskip(NEXT) | instid1(SALU_CYCLE_3)
	s_cvt_u32_f32 s13, s13
	s_mul_i32 s14, s14, s13
	s_delay_alu instid0(SALU_CYCLE_1) | instskip(NEXT) | instid1(SALU_CYCLE_1)
	s_mul_hi_u32 s14, s13, s14
	s_add_co_i32 s14, s13, s14
	s_wait_kmcnt 0x0
	s_cmp_lt_i32 s11, 0
                                        ; implicit-def: $sgpr13
	s_cbranch_scc0 .LBB149_6
; %bb.5:
	s_mul_i32 s13, s4, s22
	s_mov_b32 s19, s17
	s_add_co_i32 s13, s3, s13
	s_delay_alu instid0(SALU_CYCLE_1) | instskip(NEXT) | instid1(SALU_CYCLE_1)
	s_mul_i32 s13, s13, s11
	s_sub_co_i32 s13, 1, s13
.LBB149_6:
	s_ashr_i32 s18, s18, 31
	s_ashr_i32 s30, s7, 31
	s_and_not1_b32 vcc_lo, exec_lo, s19
	s_mul_u64 s[20:21], s[16:17], s[14:15]
	s_cbranch_vccnz .LBB149_8
; %bb.7:
	s_mul_i32 s4, s27, s4
	s_delay_alu instid0(SALU_CYCLE_1) | instskip(NEXT) | instid1(SALU_CYCLE_1)
	s_add_co_i32 s2, s4, s2
	s_mul_i32 s2, s2, s11
	s_delay_alu instid0(SALU_CYCLE_1)
	s_add_co_i32 s13, s2, 1
.LBB149_8:
	s_load_b32 s2, s[0:1], 0x38
	s_mul_i32 s7, s21, s8
	s_xor_b32 s4, s18, s30
	s_sub_co_i32 s20, s16, s7
	s_add_co_i32 s11, s21, 1
	s_clause 0x1
	s_load_b64 s[16:17], s[0:1], 0x28
	s_load_b32 s7, s[0:1], 0x88
	v_dual_lshrrev_b32 v107, 5, v106 :: v_dual_bitop2_b32 v0, 31, v106 bitop3:0x40
	v_mov_b32_e32 v71, 0xff7fffff
	s_delay_alu instid0(VALU_DEP_2) | instskip(NEXT) | instid1(VALU_DEP_3)
	v_dual_lshrrev_b32 v23, 3, v106 :: v_dual_lshlrev_b32 v70, 5, v107
	v_lshlrev_b32_e32 v24, 2, v0
	scratch_store_b32 off, v0, off          ; 4-byte Folded Spill
	s_wait_kmcnt 0x0
	s_mul_i32 s18, s2, s28
	s_sub_co_i32 s2, s20, s8
	s_ashr_i32 s19, s18, 31
	s_cmp_ge_u32 s20, s8
	s_cselect_b32 s11, s11, s21
	s_cselect_b32 s2, s2, s20
	s_add_co_i32 s20, s11, 1
	s_cmp_ge_u32 s2, s8
	s_cselect_b32 s2, s20, s11
	s_add_co_i32 s11, s29, 31
	s_delay_alu instid0(SALU_CYCLE_1) | instskip(NEXT) | instid1(SALU_CYCLE_1)
	s_ashr_i32 s20, s11, 31
	s_lshr_b32 s20, s20, 27
	s_delay_alu instid0(SALU_CYCLE_1)
	s_add_co_i32 s11, s11, s20
	s_mul_i32 s20, s3, s10
	s_ashr_i32 s31, s11, 5
	s_xor_b32 s11, s2, s4
	v_cmp_gt_i32_e64 s2, s31, v107
	s_sub_co_i32 s33, s11, s4
	s_wait_xcnt 0x0
	s_and_saveexec_b32 s22, s2
	s_cbranch_execz .LBB149_16
; %bb.9:
	v_mov_b32_e32 v43, 0
	s_clause 0x1
	scratch_store_b32 off, v22, off offset:292
	scratch_store_b32 off, v106, off offset:284
	s_ashr_i32 s21, s20, 31
	s_sub_co_i32 s35, s33, s5
	s_ashr_i32 s11, s9, 31
	ds_load_b128 v[6:9], v43
	ds_load_b128 v[14:17], v43 offset:16
	ds_load_b128 v[18:21], v43 offset:32
	;; [unrolled: 1-line block ×4, first 2 shown]
	s_lshl_b64 s[24:25], s[20:21], 1
	s_cmp_neq_f32 s34, 0
	s_load_b64 s[36:37], s[0:1], 0x10
	s_mov_b32 s10, s9
	v_mov_b32_e32 v71, 0xff7fffff
	s_cselect_b32 vcc_lo, -1, 0
	s_abs_i32 s21, s6
	v_mov_b32_e32 v82, v107
	s_cvt_f32_u32 s3, s21
	s_sub_co_i32 s4, 0, s21
	s_wait_dscnt 0x4
	v_and_b32_e32 v1, 0xffff0000, v6
	v_lshlrev_b32_e32 v0, 16, v6
	scratch_store_b64 off, v[0:1], off offset:4 ; 8-byte Folded Spill
	s_wait_dscnt 0x3
	s_wait_xcnt 0x0
	v_and_b32_e32 v1, 0xffff0000, v14
	s_wait_dscnt 0x1
	v_dual_lshlrev_b32 v0, 16, v14 :: v_dual_lshlrev_b32 v14, 16, v5
	s_wait_kmcnt 0x0
	s_add_nc_u64 s[36:37], s[36:37], s[24:25]
	s_mov_b32 s25, 0
	scratch_store_b64 off, v[0:1], off offset:12 ; 8-byte Folded Spill
	s_wait_xcnt 0x0
	v_and_b32_e32 v1, 0xffff0000, v7
	v_lshlrev_b32_e32 v0, 16, v7
	scratch_store_b64 off, v[0:1], off offset:20 ; 8-byte Folded Spill
	s_wait_xcnt 0x0
	v_and_b32_e32 v1, 0xffff0000, v15
	v_lshlrev_b32_e32 v0, 16, v15
	v_and_b32_e32 v15, 0xffff0000, v5
	s_wait_dscnt 0x0
	v_and_b32_e32 v5, 0xffff0000, v10
	scratch_store_b64 off, v[0:1], off offset:28 ; 8-byte Folded Spill
	s_wait_xcnt 0x0
	v_and_b32_e32 v1, 0xffff0000, v8
	v_lshlrev_b32_e32 v0, 16, v8
	scratch_store_b64 off, v[0:1], off offset:36 ; 8-byte Folded Spill
	s_wait_xcnt 0x0
	v_and_b32_e32 v1, 0xffff0000, v16
	v_lshlrev_b32_e32 v0, 16, v16
	scratch_store_b64 off, v[0:1], off offset:44 ; 8-byte Folded Spill
	s_wait_xcnt 0x0
	v_and_b32_e32 v1, 0xffff0000, v9
	v_lshlrev_b32_e32 v0, 16, v9
	ds_load_b128 v[6:9], v43 offset:80
	scratch_store_b64 off, v[0:1], off offset:52 ; 8-byte Folded Spill
	s_wait_xcnt 0x0
	v_and_b32_e32 v1, 0xffff0000, v17
	v_lshlrev_b32_e32 v0, 16, v17
	scratch_store_b64 off, v[0:1], off offset:60 ; 8-byte Folded Spill
	s_wait_xcnt 0x0
	v_and_b32_e32 v1, 0xffff0000, v18
	v_lshlrev_b32_e32 v0, 16, v18
	;; [unrolled: 4-line block ×7, first 2 shown]
	scratch_store_b64 off, v[0:1], off offset:108 ; 8-byte Folded Spill
	s_wait_xcnt 0x0
	v_and_b32_e32 v1, 0xffff0000, v4
	v_dual_lshlrev_b32 v0, 16, v4 :: v_dual_lshlrev_b32 v4, 16, v10
	s_clause 0x1
	scratch_store_b64 off, v[0:1], off offset:116
	scratch_store_b64 off, v[4:5], off offset:132
	s_wait_xcnt 0x0
	v_and_b32_e32 v5, 0xffff0000, v11
	v_lshlrev_b32_e32 v4, 16, v11
	ds_load_b128 v[0:3], v43 offset:96
	scratch_store_b64 off, v[14:15], off offset:124 ; 8-byte Folded Spill
	s_wait_dscnt 0x1
	v_and_b32_e32 v11, 0xffff0000, v9
	v_lshlrev_b32_e32 v10, 16, v9
	scratch_store_b64 off, v[4:5], off offset:140 ; 8-byte Folded Spill
	s_wait_xcnt 0x0
	v_and_b32_e32 v5, 0xffff0000, v12
	v_lshlrev_b32_e32 v4, 16, v12
	ds_load_b128 v[14:17], v43 offset:112
	s_clause 0x1
	scratch_store_b64 off, v[10:11], off offset:188
	scratch_store_b64 off, v[4:5], off offset:148
	s_wait_xcnt 0x0
	v_and_b32_e32 v5, 0xffff0000, v13
	v_lshlrev_b32_e32 v4, 16, v13
	scratch_store_b64 off, v[4:5], off offset:156 ; 8-byte Folded Spill
	s_wait_xcnt 0x0
	v_and_b32_e32 v5, 0xffff0000, v6
	v_lshlrev_b32_e32 v4, 16, v6
	s_wait_dscnt 0x1
	v_and_b32_e32 v9, 0xffff0000, v0
	scratch_store_b64 off, v[4:5], off offset:164 ; 8-byte Folded Spill
	s_wait_xcnt 0x0
	v_and_b32_e32 v5, 0xffff0000, v7
	v_lshlrev_b32_e32 v4, 16, v7
	scratch_store_b64 off, v[4:5], off offset:172 ; 8-byte Folded Spill
	s_wait_xcnt 0x0
	v_and_b32_e32 v5, 0xffff0000, v8
	v_lshlrev_b32_e32 v4, 16, v8
	v_dual_lshlrev_b32 v8, 16, v0 :: v_dual_lshlrev_b32 v0, 16, v2
	scratch_store_b64 off, v[4:5], off offset:180 ; 8-byte Folded Spill
	s_wait_xcnt 0x0
	ds_load_b128 v[4:7], v43 offset:128
	s_wait_dscnt 0x1
	v_and_b32_e32 v13, 0xffff0000, v17
	v_lshlrev_b32_e32 v12, 16, v17
	scratch_store_b64 off, v[8:9], off offset:196 ; 8-byte Folded Spill
	s_wait_xcnt 0x0
	v_and_b32_e32 v9, 0xffff0000, v1
	v_lshlrev_b32_e32 v8, 16, v1
	v_and_b32_e32 v1, 0xffff0000, v2
	s_clause 0x1
	scratch_store_b64 off, v[12:13], off offset:252
	scratch_store_b64 off, v[8:9], off offset:204
	s_wait_xcnt 0x0
	ds_load_b128 v[8:11], v43 offset:144
	s_wait_dscnt 0x1
	v_and_b32_e32 v13, 0xffff0000, v4
	v_lshlrev_b32_e32 v12, 16, v4
	scratch_store_b64 off, v[0:1], off offset:212 ; 8-byte Folded Spill
	s_wait_xcnt 0x0
	v_and_b32_e32 v1, 0xffff0000, v3
	v_lshlrev_b32_e32 v0, 16, v3
	v_lshlrev_b32_e32 v116, 16, v7
	scratch_store_b64 off, v[12:13], off offset:260 ; 8-byte Folded Spill
	s_wait_xcnt 0x0
	v_and_b32_e32 v13, 0xffff0000, v5
	v_lshlrev_b32_e32 v12, 16, v5
	scratch_store_b64 off, v[0:1], off offset:220 ; 8-byte Folded Spill
	s_wait_xcnt 0x0
	v_and_b32_e32 v1, 0xffff0000, v14
	v_lshlrev_b32_e32 v0, 16, v14
	v_and_b32_e32 v115, 0xffff0000, v6
	scratch_store_b64 off, v[12:13], off offset:268 ; 8-byte Folded Spill
	v_lshlrev_b32_e32 v114, 16, v6
	v_and_b32_e32 v117, 0xffff0000, v7
	scratch_store_b64 off, v[0:1], off offset:228 ; 8-byte Folded Spill
	s_wait_xcnt 0x0
	v_and_b32_e32 v1, 0xffff0000, v15
	v_lshlrev_b32_e32 v0, 16, v15
	ds_load_b128 v[12:15], v43 offset:176
	ds_load_b128 v[4:7], v43 offset:192
	scratch_store_b64 off, v[0:1], off offset:236 ; 8-byte Folded Spill
	s_wait_xcnt 0x0
	v_and_b32_e32 v1, 0xffff0000, v16
	v_lshlrev_b32_e32 v0, 16, v16
	scratch_store_b64 off, v[0:1], off offset:244 ; 8-byte Folded Spill
	s_wait_xcnt 0x0
	ds_load_b128 v[0:3], v43 offset:160
	s_wait_dscnt 0x3
	v_and_b32_e32 v119, 0xffff0000, v8
	v_lshlrev_b32_e32 v118, 16, v8
	v_and_b32_e32 v121, 0xffff0000, v9
	v_lshlrev_b32_e32 v120, 16, v9
	;; [unrolled: 2-line block ×4, first 2 shown]
	ds_load_b128 v[8:11], v43 offset:208
	s_wait_dscnt 0x2
	v_dual_lshlrev_b32 v54, 16, v15 :: v_dual_lshlrev_b32 v56, 16, v4
	v_and_b32_e32 v57, 0xffff0000, v4
	v_and_b32_e32 v59, 0xffff0000, v5
	v_dual_lshlrev_b32 v58, 16, v5 :: v_dual_lshlrev_b32 v60, 16, v6
	v_and_b32_e32 v49, 0xffff0000, v12
	v_lshlrev_b32_e32 v48, 16, v12
	v_and_b32_e32 v51, 0xffff0000, v13
	v_dual_lshlrev_b32 v50, 16, v13 :: v_dual_lshlrev_b32 v52, 16, v14
	s_wait_dscnt 0x1
	v_and_b32_e32 v127, 0xffff0000, v0
	v_lshlrev_b32_e32 v126, 16, v0
	v_and_b32_e32 v45, 0xffff0000, v1
	v_dual_lshlrev_b32 v44, 16, v1 :: v_dual_lshlrev_b32 v0, 16, v2
	v_and_b32_e32 v1, 0xffff0000, v2
	v_and_b32_e32 v47, 0xffff0000, v3
	v_lshlrev_b32_e32 v46, 16, v3
	ds_load_b128 v[2:5], v43 offset:224
	s_wait_dscnt 0x1
	v_lshlrev_b32_e32 v72, 16, v11
	v_and_b32_e32 v53, 0xffff0000, v14
	v_and_b32_e32 v55, 0xffff0000, v15
	;; [unrolled: 1-line block ×4, first 2 shown]
	v_dual_lshlrev_b32 v62, 16, v7 :: v_dual_lshlrev_b32 v64, 16, v8
	v_and_b32_e32 v65, 0xffff0000, v8
	v_and_b32_e32 v67, 0xffff0000, v9
	v_dual_lshlrev_b32 v66, 16, v9 :: v_dual_lshlrev_b32 v68, 16, v10
	v_and_b32_e32 v69, 0xffff0000, v10
	v_and_b32_e32 v73, 0xffff0000, v11
	s_wait_dscnt 0x0
	v_and_b32_e32 v75, 0xffff0000, v2
	v_lshlrev_b32_e32 v74, 16, v2
	v_rcp_iflag_f32_e32 v2, s3
	v_dual_lshlrev_b32 v76, 16, v3 :: v_dual_lshlrev_b32 v78, 16, v4
	v_and_b32_e32 v79, 0xffff0000, v4
	v_and_b32_e32 v81, 0xffff0000, v5
	;; [unrolled: 1-line block ×3, first 2 shown]
	s_delay_alu instid0(TRANS32_DEP_1) | instskip(SKIP_3) | instid1(SALU_CYCLE_3)
	v_readfirstlane_b32 s3, v2
	scratch_load_b32 v2, off, off           ; 4-byte Folded Reload
	v_lshlrev_b32_e32 v80, 16, v5
	s_mul_f32 s3, s3, 0x4f7ffffe
	s_cvt_u32_f32 s3, s3
	s_delay_alu instid0(SALU_CYCLE_3) | instskip(NEXT) | instid1(SALU_CYCLE_1)
	s_mul_i32 s4, s4, s3
	s_mul_hi_u32 s4, s3, s4
	s_delay_alu instid0(SALU_CYCLE_1) | instskip(SKIP_3) | instid1(VALU_DEP_2)
	s_add_co_i32 s24, s3, s4
	s_wait_loadcnt 0x0
	v_lshlrev_b32_e32 v42, 4, v2
	v_subrev_nc_u32_e32 v2, s29, v2
	v_add_nc_u64_e32 v[4:5], s[36:37], v[42:43]
	v_and_b32_e32 v42, 0x7c, v23
	s_lshl_b64 s[36:37], s[18:19], 2
	s_delay_alu instid0(VALU_DEP_3)
	v_add_nc_u32_e32 v108, 1, v2
	s_add_nc_u64 s[36:37], s[16:17], s[36:37]
	v_lshl_or_b32 v2, v82, 7, v24
	v_add_nc_u64_e32 v[84:85], s[36:37], v[42:43]
	v_lshlrev_b32_e32 v42, 5, v107
	s_mov_b32 s36, s25
	s_clause 0x1
	scratch_store_b64 off, v[4:5], off offset:276
	scratch_store_b32 off, v23, off offset:296
	v_add_nc_u32_e32 v109, 0x110, v2
	s_clause 0x1
	scratch_store_b32 off, v24, off offset:300
	scratch_store_b32 off, v82, off offset:288
	s_branch .LBB149_11
.LBB149_10:                             ;   in Loop: Header=BB149_11 Depth=1
	s_wait_xcnt 0x0
	s_or_b32 exec_lo, exec_lo, s4
	v_add_nc_u32_e32 v82, 4, v82
	v_add_nc_u64_e32 v[84:85], 16, v[84:85]
	v_add_nc_u32_e32 v42, 0x80, v42
	v_add_nc_u32_e32 v109, 0x200, v109
	s_delay_alu instid0(VALU_DEP_4) | instskip(SKIP_1) | instid1(SALU_CYCLE_1)
	v_cmp_le_i32_e64 s3, s31, v82
	s_or_b32 s36, s3, s36
	s_and_not1_b32 exec_lo, exec_lo, s36
	s_cbranch_execz .LBB149_15
.LBB149_11:                             ; =>This Inner Loop Header: Depth=1
	v_mul_u64_e32 v[2:3], s[14:15], v[42:43]
	s_delay_alu instid0(VALU_DEP_1) | instskip(SKIP_1) | instid1(VALU_DEP_1)
	v_mul_lo_u32 v2, v3, s8
	s_wait_xcnt 0x3
	v_dual_add_nc_u32 v4, 1, v3 :: v_dual_sub_nc_u32 v2, v42, v2
	s_delay_alu instid0(VALU_DEP_1) | instskip(SKIP_1) | instid1(VALU_DEP_1)
	v_subrev_nc_u32_e32 v5, s8, v2
	v_cmp_le_u32_e64 s3, s8, v2
	v_dual_cndmask_b32 v3, v3, v4, s3 :: v_dual_cndmask_b32 v2, v2, v5, s3
	s_delay_alu instid0(VALU_DEP_1) | instskip(NEXT) | instid1(VALU_DEP_2)
	v_add_nc_u32_e32 v4, 1, v3
	v_cmp_le_u32_e64 s3, s8, v2
	s_delay_alu instid0(VALU_DEP_1) | instskip(NEXT) | instid1(VALU_DEP_1)
	v_cndmask_b32_e64 v2, v3, v4, s3
	v_dual_mov_b32 v3, v43 :: v_dual_bitop2_b32 v2, s30, v2 bitop3:0x14
	s_delay_alu instid0(VALU_DEP_1) | instskip(NEXT) | instid1(VALU_DEP_1)
	v_subrev_nc_u32_e32 v6, s30, v2
	v_add_nc_u32_e32 v7, s13, v6
	v_cmp_ge_i32_e64 s4, s35, v6
	s_delay_alu instid0(VALU_DEP_2) | instskip(NEXT) | instid1(VALU_DEP_1)
	v_sub_nc_u32_e32 v2, 0, v7
	v_max_i32_e32 v2, v7, v2
	s_delay_alu instid0(VALU_DEP_1) | instskip(SKIP_1) | instid1(VALU_DEP_2)
	v_mul_u64_e32 v[4:5], s[24:25], v[2:3]
	v_ashrrev_i32_e32 v4, 31, v7
	v_mul_lo_u32 v3, v5, s21
	s_delay_alu instid0(VALU_DEP_1) | instskip(NEXT) | instid1(VALU_DEP_1)
	v_sub_nc_u32_e32 v2, v2, v3
	v_subrev_nc_u32_e32 v3, s21, v2
	v_cmp_le_u32_e64 s3, s21, v2
	s_delay_alu instid0(VALU_DEP_1) | instskip(NEXT) | instid1(VALU_DEP_1)
	v_cndmask_b32_e64 v2, v2, v3, s3
	v_subrev_nc_u32_e32 v3, s21, v2
	v_cmp_le_u32_e64 s3, s21, v2
	s_delay_alu instid0(VALU_DEP_1) | instskip(NEXT) | instid1(VALU_DEP_1)
	v_cndmask_b32_e64 v2, v2, v3, s3
	v_xor_b32_e32 v2, v2, v4
	s_delay_alu instid0(VALU_DEP_1) | instskip(NEXT) | instid1(VALU_DEP_1)
	v_sub_nc_u32_e32 v2, v2, v4
	v_cmp_ne_u32_e64 s3, 0, v2
	s_and_b32 s3, s3, s4
	s_wait_xcnt 0x0
	s_and_saveexec_b32 s4, s3
	s_delay_alu instid0(SALU_CYCLE_1)
	s_xor_b32 s3, exec_lo, s4
; %bb.12:                               ;   in Loop: Header=BB149_11 Depth=1
	v_mov_b32_e32 v2, 0xff7fffff
	ds_store_b32 v109, v2
; %bb.13:                               ;   in Loop: Header=BB149_11 Depth=1
	s_and_not1_saveexec_b32 s4, s3
	s_cbranch_execz .LBB149_10
; %bb.14:                               ;   in Loop: Header=BB149_11 Depth=1
	global_load_b32 v2, v[84:85], off
	s_clause 0x1
	scratch_load_b32 v4, off, off
	scratch_load_b64 v[6:7], off, off offset:276
	s_wait_loadcnt 0x2
	v_ashrrev_i32_e32 v3, 31, v2
	s_wait_loadcnt 0x1
	v_add_nc_u32_e32 v4, v4, v42
	s_delay_alu instid0(VALU_DEP_2) | instskip(NEXT) | instid1(VALU_DEP_2)
	v_mul_u64_e32 v[2:3], s[10:11], v[2:3]
	v_cmp_gt_i32_e64 s3, s29, v4
	s_wait_loadcnt 0x0
	s_delay_alu instid0(VALU_DEP_2) | instskip(SKIP_1) | instid1(VALU_DEP_1)
	v_lshl_add_u64 v[86:87], v[2:3], 1, v[6:7]
	v_add_nc_u32_e32 v2, v108, v42
	v_cvt_f32_i32_e32 v2, v2
	s_delay_alu instid0(VALU_DEP_1) | instskip(NEXT) | instid1(VALU_DEP_1)
	v_mul_f32_e32 v2, s34, v2
	v_cndmask_b32_e32 v83, 0, v2, vcc_lo
	s_clause 0x2
	global_load_b128 v[10:13], v[86:87], off
	global_load_b128 v[6:9], v[86:87], off offset:512
	global_load_b128 v[2:5], v[86:87], off offset:1024
	scratch_load_b64 v[18:19], off, off offset:12 ; 8-byte Folded Reload
	s_wait_loadcnt 0x3
	v_and_b32_e32 v15, 0xffff0000, v10
	s_wait_loadcnt 0x2
	v_and_b32_e32 v17, 0xffff0000, v6
	v_lshlrev_b32_e32 v16, 16, v6
	v_dual_lshlrev_b32 v14, 16, v10 :: v_dual_lshlrev_b32 v10, 16, v7
	s_wait_loadcnt 0x0
	s_delay_alu instid0(VALU_DEP_2)
	v_pk_mul_f32 v[16:17], v[18:19], v[16:17]
	scratch_load_b64 v[18:19], off, off offset:4 ; 8-byte Folded Reload
	s_wait_loadcnt 0x0
	v_pk_fma_f32 v[14:15], v[18:19], v[14:15], v[16:17]
	scratch_load_b64 v[18:19], off, off offset:68 ; 8-byte Folded Reload
	v_and_b32_e32 v17, 0xffff0000, v2
	v_lshlrev_b32_e32 v16, 16, v2
	s_wait_loadcnt 0x0
	s_delay_alu instid0(VALU_DEP_1)
	v_pk_fma_f32 v[102:103], v[18:19], v[16:17], v[14:15]
	v_and_b32_e32 v15, 0xffff0000, v11
	v_lshlrev_b32_e32 v14, 16, v11
	v_and_b32_e32 v11, 0xffff0000, v7
	scratch_load_b64 v[6:7], off, off offset:28 ; 8-byte Folded Reload
	s_wait_loadcnt 0x0
	v_pk_mul_f32 v[6:7], v[6:7], v[10:11]
	scratch_load_b64 v[10:11], off, off offset:20 ; 8-byte Folded Reload
	s_wait_loadcnt 0x0
	v_pk_fma_f32 v[6:7], v[10:11], v[14:15], v[6:7]
	v_and_b32_e32 v11, 0xffff0000, v3
	v_lshlrev_b32_e32 v10, 16, v3
	scratch_load_b64 v[2:3], off, off offset:76 ; 8-byte Folded Reload
	s_wait_loadcnt 0x0
	v_pk_fma_f32 v[96:97], v[2:3], v[10:11], v[6:7]
	scratch_load_b64 v[10:11], off, off offset:44 ; 8-byte Folded Reload
	v_and_b32_e32 v7, 0xffff0000, v8
	v_lshlrev_b32_e32 v6, 16, v8
	v_and_b32_e32 v3, 0xffff0000, v12
	v_lshlrev_b32_e32 v2, 16, v12
	s_wait_loadcnt 0x0
	s_delay_alu instid0(VALU_DEP_3)
	v_pk_mul_f32 v[6:7], v[10:11], v[6:7]
	scratch_load_b64 v[10:11], off, off offset:36 ; 8-byte Folded Reload
	s_wait_loadcnt 0x0
	v_pk_fma_f32 v[2:3], v[10:11], v[2:3], v[6:7]
	scratch_load_b64 v[10:11], off, off offset:84 ; 8-byte Folded Reload
	v_and_b32_e32 v7, 0xffff0000, v4
	v_lshlrev_b32_e32 v6, 16, v4
	s_wait_loadcnt 0x0
	s_delay_alu instid0(VALU_DEP_1)
	v_pk_fma_f32 v[94:95], v[10:11], v[6:7], v[2:3]
	v_and_b32_e32 v7, 0xffff0000, v9
	v_lshlrev_b32_e32 v6, 16, v9
	scratch_load_b64 v[8:9], off, off offset:60 ; 8-byte Folded Reload
	v_and_b32_e32 v3, 0xffff0000, v13
	v_lshlrev_b32_e32 v2, 16, v13
	s_wait_loadcnt 0x0
	v_pk_mul_f32 v[6:7], v[8:9], v[6:7]
	scratch_load_b64 v[8:9], off, off offset:52 ; 8-byte Folded Reload
	s_wait_loadcnt 0x0
	v_pk_fma_f32 v[2:3], v[8:9], v[2:3], v[6:7]
	v_and_b32_e32 v7, 0xffff0000, v5
	v_lshlrev_b32_e32 v6, 16, v5
	scratch_load_b64 v[4:5], off, off offset:92 ; 8-byte Folded Reload
	s_wait_loadcnt 0x0
	v_pk_fma_f32 v[88:89], v[4:5], v[6:7], v[2:3]
	global_load_b128 v[2:5], v[86:87], off offset:1536
	s_wait_loadcnt 0x0
	v_and_b32_e32 v111, 0xffff0000, v2
	v_lshlrev_b32_e32 v110, 16, v2
	v_and_b32_e32 v105, 0xffff0000, v3
	v_lshlrev_b32_e32 v104, 16, v3
	;; [unrolled: 2-line block ×4, first 2 shown]
	global_load_b128 v[2:5], v[86:87], off offset:2048
	s_wait_loadcnt 0x0
	v_and_b32_e32 v113, 0xffff0000, v2
	v_lshlrev_b32_e32 v112, 16, v2
	v_and_b32_e32 v107, 0xffff0000, v3
	v_dual_lshlrev_b32 v106, 16, v3 :: v_dual_lshlrev_b32 v100, 16, v4
	v_and_b32_e32 v101, 0xffff0000, v4
	v_and_b32_e32 v93, 0xffff0000, v5
	v_lshlrev_b32_e32 v92, 16, v5
	s_clause 0x9
	global_load_b128 v[38:41], v[86:87], off offset:2560
	global_load_b128 v[34:37], v[86:87], off offset:3072
	;; [unrolled: 1-line block ×10, first 2 shown]
	scratch_load_b64 v[86:87], off, off offset:100 ; 8-byte Folded Reload
	s_wait_loadcnt 0x0
	v_pk_fma_f32 v[86:87], v[86:87], v[110:111], v[102:103]
	s_clause 0x1
	scratch_load_b64 v[102:103], off, off offset:132
	scratch_load_b64 v[110:111], off, off offset:164
	s_wait_loadcnt 0x1
	v_pk_fma_f32 v[86:87], v[102:103], v[112:113], v[86:87]
	v_and_b32_e32 v103, 0xffff0000, v38
	v_lshlrev_b32_e32 v102, 16, v38
	s_wait_loadcnt 0x0
	s_delay_alu instid0(VALU_DEP_1) | instskip(SKIP_4) | instid1(VALU_DEP_1)
	v_pk_fma_f32 v[86:87], v[110:111], v[102:103], v[86:87]
	scratch_load_b64 v[110:111], off, off offset:196 ; 8-byte Folded Reload
	v_and_b32_e32 v103, 0xffff0000, v34
	v_lshlrev_b32_e32 v102, 16, v34
	s_wait_loadcnt 0x0
	v_pk_fma_f32 v[86:87], v[110:111], v[102:103], v[86:87]
	scratch_load_b64 v[110:111], off, off offset:228 ; 8-byte Folded Reload
	v_and_b32_e32 v103, 0xffff0000, v30
	v_lshlrev_b32_e32 v102, 16, v30
	s_wait_loadcnt 0x0
	s_delay_alu instid0(VALU_DEP_1) | instskip(SKIP_4) | instid1(VALU_DEP_1)
	v_pk_fma_f32 v[86:87], v[110:111], v[102:103], v[86:87]
	scratch_load_b64 v[110:111], off, off offset:260 ; 8-byte Folded Reload
	v_and_b32_e32 v103, 0xffff0000, v26
	v_lshlrev_b32_e32 v102, 16, v26
	s_wait_loadcnt 0x0
	v_pk_fma_f32 v[86:87], v[110:111], v[102:103], v[86:87]
	v_and_b32_e32 v103, 0xffff0000, v22
	v_lshlrev_b32_e32 v102, 16, v22
	s_delay_alu instid0(VALU_DEP_1) | instskip(SKIP_2) | instid1(VALU_DEP_1)
	v_pk_fma_f32 v[86:87], v[118:119], v[102:103], v[86:87]
	v_and_b32_e32 v103, 0xffff0000, v18
	v_lshlrev_b32_e32 v102, 16, v18
	v_pk_fma_f32 v[86:87], v[126:127], v[102:103], v[86:87]
	v_and_b32_e32 v103, 0xffff0000, v14
	v_lshlrev_b32_e32 v102, 16, v14
	s_delay_alu instid0(VALU_DEP_1) | instskip(SKIP_2) | instid1(VALU_DEP_1)
	v_pk_fma_f32 v[86:87], v[48:49], v[102:103], v[86:87]
	v_and_b32_e32 v103, 0xffff0000, v10
	v_lshlrev_b32_e32 v102, 16, v10
	;; [unrolled: 7-line block ×3, first 2 shown]
	v_pk_fma_f32 v[86:87], v[74:75], v[102:103], v[86:87]
	scratch_load_b64 v[102:103], off, off offset:108 ; 8-byte Folded Reload
	s_wait_loadcnt 0x0
	v_pk_fma_f32 v[96:97], v[102:103], v[104:105], v[96:97]
	scratch_load_b64 v[102:103], off, off offset:140 ; 8-byte Folded Reload
	s_wait_loadcnt 0x0
	v_pk_fma_f32 v[96:97], v[102:103], v[106:107], v[96:97]
	v_and_b32_e32 v103, 0xffff0000, v39
	v_lshlrev_b32_e32 v102, 16, v39
	scratch_load_b64 v[38:39], off, off offset:172 ; 8-byte Folded Reload
	s_wait_loadcnt 0x0
	v_pk_fma_f32 v[38:39], v[38:39], v[102:103], v[96:97]
	v_and_b32_e32 v97, 0xffff0000, v35
	v_lshlrev_b32_e32 v96, 16, v35
	;; [unrolled: 5-line block ×5, first 2 shown]
	s_delay_alu instid0(VALU_DEP_1) | instskip(SKIP_2) | instid1(VALU_DEP_1)
	v_pk_fma_f32 v[22:23], v[120:121], v[30:31], v[26:27]
	v_and_b32_e32 v27, 0xffff0000, v19
	v_lshlrev_b32_e32 v26, 16, v19
	v_pk_fma_f32 v[18:19], v[44:45], v[26:27], v[22:23]
	v_and_b32_e32 v23, 0xffff0000, v15
	v_lshlrev_b32_e32 v22, 16, v15
	s_delay_alu instid0(VALU_DEP_1) | instskip(SKIP_2) | instid1(VALU_DEP_1)
	v_pk_fma_f32 v[14:15], v[50:51], v[22:23], v[18:19]
	v_and_b32_e32 v19, 0xffff0000, v11
	v_lshlrev_b32_e32 v18, 16, v11
	v_pk_fma_f32 v[10:11], v[58:59], v[18:19], v[14:15]
	v_and_b32_e32 v15, 0xffff0000, v7
	v_lshlrev_b32_e32 v14, 16, v7
	scratch_load_b64 v[18:19], off, off offset:188 ; 8-byte Folded Reload
	v_pk_fma_f32 v[6:7], v[66:67], v[14:15], v[10:11]
	v_and_b32_e32 v11, 0xffff0000, v3
	v_lshlrev_b32_e32 v10, 16, v3
	scratch_load_b64 v[14:15], off, off offset:180 ; 8-byte Folded Reload
	v_pk_fma_f32 v[2:3], v[76:77], v[10:11], v[6:7]
	s_clause 0x1
	scratch_load_b64 v[6:7], off, off offset:116
	scratch_load_b64 v[10:11], off, off offset:148
	s_wait_loadcnt 0x1
	v_pk_fma_f32 v[6:7], v[6:7], v[98:99], v[94:95]
	s_wait_loadcnt 0x0
	s_delay_alu instid0(VALU_DEP_1) | instskip(SKIP_2) | instid1(VALU_DEP_1)
	v_pk_fma_f32 v[6:7], v[10:11], v[100:101], v[6:7]
	v_and_b32_e32 v11, 0xffff0000, v40
	v_lshlrev_b32_e32 v10, 16, v40
	v_pk_fma_f32 v[6:7], v[14:15], v[10:11], v[6:7]
	scratch_load_b64 v[14:15], off, off offset:212 ; 8-byte Folded Reload
	v_and_b32_e32 v11, 0xffff0000, v36
	v_lshlrev_b32_e32 v10, 16, v36
	s_wait_loadcnt 0x0
	s_delay_alu instid0(VALU_DEP_1) | instskip(SKIP_4) | instid1(VALU_DEP_1)
	v_pk_fma_f32 v[6:7], v[14:15], v[10:11], v[6:7]
	scratch_load_b64 v[14:15], off, off offset:244 ; 8-byte Folded Reload
	v_and_b32_e32 v11, 0xffff0000, v32
	v_lshlrev_b32_e32 v10, 16, v32
	s_wait_loadcnt 0x0
	v_pk_fma_f32 v[6:7], v[14:15], v[10:11], v[6:7]
	v_and_b32_e32 v11, 0xffff0000, v28
	v_lshlrev_b32_e32 v10, 16, v28
	scratch_load_b64 v[14:15], off, off offset:156 ; 8-byte Folded Reload
	v_pk_fma_f32 v[6:7], v[114:115], v[10:11], v[6:7]
	v_and_b32_e32 v11, 0xffff0000, v24
	v_lshlrev_b32_e32 v10, 16, v24
	s_delay_alu instid0(VALU_DEP_1) | instskip(SKIP_2) | instid1(VALU_DEP_1)
	v_pk_fma_f32 v[6:7], v[122:123], v[10:11], v[6:7]
	v_and_b32_e32 v11, 0xffff0000, v20
	v_lshlrev_b32_e32 v10, 16, v20
	v_pk_fma_f32 v[6:7], v[0:1], v[10:11], v[6:7]
	v_and_b32_e32 v11, 0xffff0000, v16
	v_lshlrev_b32_e32 v10, 16, v16
	s_delay_alu instid0(VALU_DEP_1) | instskip(SKIP_2) | instid1(VALU_DEP_1)
	v_pk_fma_f32 v[6:7], v[52:53], v[10:11], v[6:7]
	v_and_b32_e32 v11, 0xffff0000, v12
	v_dual_lshlrev_b32 v10, 16, v12 :: v_dual_lshlrev_b32 v12, 16, v9
	v_pk_fma_f32 v[6:7], v[60:61], v[10:11], v[6:7]
	v_and_b32_e32 v11, 0xffff0000, v8
	v_lshlrev_b32_e32 v10, 16, v8
	s_delay_alu instid0(VALU_DEP_1) | instskip(SKIP_2) | instid1(VALU_DEP_1)
	v_pk_fma_f32 v[6:7], v[68:69], v[10:11], v[6:7]
	v_and_b32_e32 v11, 0xffff0000, v4
	v_lshlrev_b32_e32 v10, 16, v4
	v_pk_fma_f32 v[6:7], v[78:79], v[10:11], v[6:7]
	scratch_load_b64 v[10:11], off, off offset:124 ; 8-byte Folded Reload
	s_wait_loadcnt 0x0
	v_pk_fma_f32 v[10:11], v[10:11], v[90:91], v[88:89]
	s_delay_alu instid0(VALU_DEP_1) | instskip(SKIP_2) | instid1(VALU_DEP_1)
	v_pk_fma_f32 v[10:11], v[14:15], v[92:93], v[10:11]
	v_and_b32_e32 v15, 0xffff0000, v41
	v_lshlrev_b32_e32 v14, 16, v41
	v_pk_fma_f32 v[10:11], v[18:19], v[14:15], v[10:11]
	scratch_load_b64 v[18:19], off, off offset:220 ; 8-byte Folded Reload
	v_and_b32_e32 v15, 0xffff0000, v37
	v_lshlrev_b32_e32 v14, 16, v37
	s_wait_loadcnt 0x0
	s_delay_alu instid0(VALU_DEP_1) | instskip(SKIP_4) | instid1(VALU_DEP_1)
	v_pk_fma_f32 v[10:11], v[18:19], v[14:15], v[10:11]
	scratch_load_b64 v[18:19], off, off offset:252 ; 8-byte Folded Reload
	v_and_b32_e32 v15, 0xffff0000, v33
	v_lshlrev_b32_e32 v14, 16, v33
	s_wait_loadcnt 0x0
	v_pk_fma_f32 v[10:11], v[18:19], v[14:15], v[10:11]
	v_and_b32_e32 v15, 0xffff0000, v29
	v_lshlrev_b32_e32 v14, 16, v29
	s_delay_alu instid0(VALU_DEP_1) | instskip(SKIP_2) | instid1(VALU_DEP_1)
	v_pk_fma_f32 v[10:11], v[116:117], v[14:15], v[10:11]
	v_and_b32_e32 v15, 0xffff0000, v25
	v_lshlrev_b32_e32 v14, 16, v25
	v_pk_fma_f32 v[10:11], v[124:125], v[14:15], v[10:11]
	v_and_b32_e32 v15, 0xffff0000, v21
	v_lshlrev_b32_e32 v14, 16, v21
	s_delay_alu instid0(VALU_DEP_1) | instskip(SKIP_2) | instid1(VALU_DEP_1)
	v_pk_fma_f32 v[10:11], v[46:47], v[14:15], v[10:11]
	v_and_b32_e32 v15, 0xffff0000, v17
	v_lshlrev_b32_e32 v14, 16, v17
	v_pk_fma_f32 v[10:11], v[54:55], v[14:15], v[10:11]
	v_and_b32_e32 v15, 0xffff0000, v13
	v_lshlrev_b32_e32 v14, 16, v13
	v_and_b32_e32 v13, 0xffff0000, v9
	s_delay_alu instid0(VALU_DEP_2) | instskip(NEXT) | instid1(VALU_DEP_1)
	v_pk_fma_f32 v[10:11], v[62:63], v[14:15], v[10:11]
	v_pk_fma_f32 v[8:9], v[72:73], v[12:13], v[10:11]
	v_and_b32_e32 v11, 0xffff0000, v5
	v_lshlrev_b32_e32 v10, 16, v5
	s_delay_alu instid0(VALU_DEP_1) | instskip(SKIP_1) | instid1(VALU_DEP_1)
	v_pk_fma_f32 v[4:5], v[80:81], v[10:11], v[8:9]
	v_add_f32_e32 v8, v86, v87
	v_add_f32_e32 v2, v8, v2
	s_delay_alu instid0(VALU_DEP_1) | instskip(NEXT) | instid1(VALU_DEP_1)
	v_add_f32_e32 v2, v3, v2
	v_add_f32_e32 v2, v6, v2
	s_delay_alu instid0(VALU_DEP_1) | instskip(NEXT) | instid1(VALU_DEP_1)
	;; [unrolled: 3-line block ×3, first 2 shown]
	v_add_f32_e32 v2, v5, v2
	v_fmac_f32_e32 v83, s23, v2
	s_delay_alu instid0(VALU_DEP_1) | instskip(SKIP_2) | instid1(VALU_DEP_1)
	v_cndmask_b32_e64 v2, 0, v83, s3
	ds_store_b32 v109, v2
	v_max_num_f32_e32 v2, v71, v71
	v_max_num_f32_e32 v2, v2, v83
	s_delay_alu instid0(VALU_DEP_1)
	v_cndmask_b32_e64 v71, v71, v2, s3
	s_branch .LBB149_10
.LBB149_15:
	s_or_b32 exec_lo, exec_lo, s36
	s_clause 0x4
	scratch_load_b32 v106, off, off offset:284
	scratch_load_b32 v107, off, off offset:288
	;; [unrolled: 1-line block ×5, first 2 shown]
.LBB149_16:
	s_wait_xcnt 0x0
	s_or_b32 exec_lo, exec_lo, s22
	v_mbcnt_lo_u32_b32 v3, -1, 0
	s_clause 0x1
	s_load_b64 s[10:11], s[0:1], 0x0
	s_load_b64 s[22:23], s[0:1], 0x18
	v_max_num_f32_e32 v4, v71, v71
	v_xor_b32_e32 v2, 8, v3
	v_xor_b32_e32 v0, 16, v3
	s_delay_alu instid0(VALU_DEP_1) | instskip(SKIP_1) | instid1(VALU_DEP_1)
	v_cmp_gt_i32_e32 vcc_lo, 32, v0
	v_cndmask_b32_e32 v0, v3, v0, vcc_lo
	v_lshlrev_b32_e32 v0, 2, v0
	ds_bpermute_b32 v1, v0, v71
	s_wait_dscnt 0x0
	v_max_num_f32_e32 v5, v1, v1
	s_delay_alu instid0(VALU_DEP_1) | instskip(SKIP_2) | instid1(VALU_DEP_1)
	v_max_num_f32_e32 v4, v4, v5
	v_cmp_gt_i32_e32 vcc_lo, 32, v2
	v_dual_cndmask_b32 v2, v3, v2, vcc_lo :: v_dual_bitop2_b32 v5, 4, v3 bitop3:0x14
	v_cmp_gt_i32_e32 vcc_lo, 32, v5
	s_delay_alu instid0(VALU_DEP_2) | instskip(SKIP_3) | instid1(VALU_DEP_1)
	v_lshlrev_b32_e32 v1, 2, v2
	ds_bpermute_b32 v2, v1, v4
	s_wait_dscnt 0x0
	v_dual_cndmask_b32 v5, v3, v5 :: v_dual_max_num_f32 v6, v2, v2
	v_dual_lshlrev_b32 v2, 2, v5 :: v_dual_max_num_f32 v4, v4, v6
	ds_bpermute_b32 v5, v2, v4
	s_wait_dscnt 0x0
	v_dual_max_num_f32 v5, v5, v5 :: v_dual_bitop2_b32 v6, 2, v3 bitop3:0x14
	s_delay_alu instid0(VALU_DEP_1) | instskip(NEXT) | instid1(VALU_DEP_2)
	v_cmp_gt_i32_e32 vcc_lo, 32, v6
	v_dual_max_num_f32 v4, v4, v5 :: v_dual_cndmask_b32 v6, v3, v6, vcc_lo
	s_delay_alu instid0(VALU_DEP_1) | instskip(SKIP_3) | instid1(VALU_DEP_1)
	v_dual_lshlrev_b32 v89, 2, v6 :: v_dual_bitop2_b32 v6, 1, v3 bitop3:0x14
	ds_bpermute_b32 v5, v89, v4
	v_cmp_gt_i32_e32 vcc_lo, 32, v6
	v_cndmask_b32_e32 v3, v3, v6, vcc_lo
	v_lshlrev_b32_e32 v88, 2, v3
	scratch_load_b32 v3, off, off           ; 4-byte Folded Reload
	s_wait_dscnt 0x0
	v_max_num_f32_e32 v5, v5, v5
	s_delay_alu instid0(VALU_DEP_1)
	v_max_num_f32_e32 v4, v4, v5
	ds_bpermute_b32 v5, v88, v4
	s_wait_loadcnt 0x0
	v_cmp_eq_u32_e32 vcc_lo, 0, v3
	v_lshlrev_b32_e32 v3, 2, v107
	s_wait_xcnt 0x0
	s_and_saveexec_b32 s0, vcc_lo
	s_cbranch_execz .LBB149_18
; %bb.17:
	s_wait_dscnt 0x0
	v_dual_max_num_f32 v5, v5, v5 :: v_dual_max_num_f32 v4, v4, v4
	s_delay_alu instid0(VALU_DEP_1)
	v_max_num_f32_e32 v4, v4, v5
	ds_store_b32 v3, v4 offset:240
.LBB149_18:
	s_or_b32 exec_lo, exec_lo, s0
	scratch_load_b32 v4, off, off           ; 4-byte Folded Reload
	s_wait_storecnt 0x0
	s_wait_loadcnt_dscnt 0x0
	s_barrier_signal -1
	s_barrier_wait -1
	v_cmp_gt_u32_e64 s0, 4, v4
	v_mov_b32_e32 v4, 0xff7fffff
	s_and_saveexec_b32 s1, s0
; %bb.19:
	ds_load_b32 v4, v24 offset:240
; %bb.20:
	s_or_b32 exec_lo, exec_lo, s1
	s_wait_dscnt 0x0
	ds_bpermute_b32 v5, v89, v4
	v_max_num_f32_e32 v4, v4, v4
	s_lshl_b32 s1, s31, 5
	s_delay_alu instid0(SALU_CYCLE_1) | instskip(NEXT) | instid1(SALU_CYCLE_1)
	s_min_i32 s4, s1, s29
	v_cmp_gt_i32_e64 s1, s4, v106
	s_wait_dscnt 0x0
	v_max_num_f32_e32 v5, v5, v5
	s_delay_alu instid0(VALU_DEP_1) | instskip(SKIP_3) | instid1(VALU_DEP_1)
	v_max_num_f32_e32 v4, v4, v5
	ds_bpermute_b32 v5, v88, v4
	s_wait_dscnt 0x0
	v_max_num_f32_e32 v5, v5, v5
	v_dual_max_num_f32 v5, v4, v5 :: v_dual_mov_b32 v4, 0
	ds_bpermute_b32 v5, v4, v5
	s_and_saveexec_b32 s21, s1
	s_cbranch_execz .LBB149_24
; %bb.21:
	v_lshl_add_u32 v6, v106, 2, 0x110
	v_dual_mov_b32 v4, 0 :: v_dual_mov_b32 v7, v106
	s_mov_b32 s24, 0
.LBB149_22:                             ; =>This Inner Loop Header: Depth=1
	ds_load_b32 v8, v6
	v_add_nc_u32_e32 v7, 0x80, v7
	s_delay_alu instid0(VALU_DEP_1) | instskip(SKIP_3) | instid1(VALU_DEP_1)
	v_cmp_le_i32_e64 s3, s4, v7
	s_or_b32 s24, s3, s24
	s_wait_dscnt 0x0
	v_sub_f32_e32 v8, v8, v5
	v_mul_f32_e32 v8, 0x3fb8aa3b, v8
	s_delay_alu instid0(VALU_DEP_1)
	v_exp_f32_e32 v8, v8
	ds_store_b32 v6, v8
	v_nop
	v_add_f32_e32 v4, v4, v8
	v_add_nc_u32_e32 v6, 0x200, v6
	s_and_not1_b32 exec_lo, exec_lo, s24
	s_cbranch_execnz .LBB149_22
; %bb.23:
	s_or_b32 exec_lo, exec_lo, s24
.LBB149_24:
	s_delay_alu instid0(SALU_CYCLE_1)
	s_or_b32 exec_lo, exec_lo, s21
	ds_bpermute_b32 v0, v0, v4
	s_wait_dscnt 0x0
	v_add_f32_e32 v0, v4, v0
	ds_bpermute_b32 v1, v1, v0
	s_wait_dscnt 0x0
	v_add_f32_e32 v0, v0, v1
	;; [unrolled: 3-line block ×5, first 2 shown]
	s_and_saveexec_b32 s3, vcc_lo
; %bb.25:
	ds_store_b32 v3, v0 offset:256
; %bb.26:
	s_or_b32 exec_lo, exec_lo, s3
	s_wait_dscnt 0x0
	s_barrier_signal -1
	s_barrier_wait -1
	s_and_saveexec_b32 s3, s0
; %bb.27:
	ds_load_b32 v0, v24 offset:256
; %bb.28:
	s_or_b32 exec_lo, exec_lo, s3
	s_wait_dscnt 0x0
	ds_bpermute_b32 v1, v89, v0
	s_wait_dscnt 0x0
	v_dual_mov_b32 v73, 0 :: v_dual_add_f32 v0, v0, v1
	ds_bpermute_b32 v1, v88, v0
	s_wait_dscnt 0x0
	v_add_f32_e32 v0, v0, v1
	ds_bpermute_b32 v0, v73, v0
	s_and_saveexec_b32 s0, s1
	s_cbranch_execz .LBB149_41
; %bb.29:
	s_wait_dscnt 0x0
	v_add_f32_e32 v0, 0x358637bd, v0
	s_mov_b32 s3, -1
	s_mov_b32 s1, exec_lo
	s_delay_alu instid0(VALU_DEP_1) | instskip(NEXT) | instid1(VALU_DEP_1)
	v_div_scale_f32 v1, null, v0, v0, 1.0
	v_rcp_f32_e32 v3, v1
	v_nop
	s_delay_alu instid0(TRANS32_DEP_1) | instskip(NEXT) | instid1(VALU_DEP_1)
	v_fma_f32 v2, -v1, v3, 1.0
	v_fmac_f32_e32 v3, v2, v3
	v_div_scale_f32 v4, vcc_lo, 1.0, v0, 1.0
	s_delay_alu instid0(VALU_DEP_1) | instskip(NEXT) | instid1(VALU_DEP_1)
	v_mul_f32_e32 v5, v4, v3
	v_fma_f32 v2, -v1, v5, v4
	s_delay_alu instid0(VALU_DEP_1) | instskip(SKIP_1) | instid1(VALU_DEP_2)
	v_fmac_f32_e32 v5, v2, v3
	v_xad_u32 v2, v106, -1, s4
	v_fma_f32 v1, -v1, v5, v4
	s_delay_alu instid0(VALU_DEP_1) | instskip(NEXT) | instid1(VALU_DEP_1)
	v_div_fmas_f32 v1, v1, v3, v5
	v_div_fixup_f32 v0, v1, v0, 1.0
	v_mov_b32_e32 v1, v106
	v_cmpx_lt_u32_e32 0x7f, v2
	s_cbranch_execz .LBB149_38
; %bb.30:
	s_delay_alu instid0(VALU_DEP_3) | instskip(NEXT) | instid1(VALU_DEP_1)
	v_dual_mov_b32 v1, v0 :: v_dual_lshrrev_b32 v2, 7, v2
	v_dual_mov_b32 v6, 0 :: v_dual_add_nc_u32 v3, -1, v2
	s_delay_alu instid0(VALU_DEP_1) | instskip(SKIP_1) | instid1(VALU_DEP_2)
	v_lshrrev_b32_e32 v4, 1, v3
	v_cmp_lt_u32_e32 vcc_lo, 13, v3
	v_add_nc_u32_e32 v3, 1, v4
	s_and_saveexec_b32 s3, vcc_lo
	s_cbranch_execz .LBB149_34
; %bb.31:
	s_delay_alu instid0(VALU_DEP_1)
	v_and_b32_e32 v4, -8, v3
	v_lshl_add_u32 v5, v106, 2, 0x110
	s_mov_b32 s21, 0
	s_mov_b32 s24, 0
.LBB149_32:                             ; =>This Inner Loop Header: Depth=1
	ds_load_2addr_stride64_b32 v[6:7], v5 offset1:2
	ds_load_2addr_stride64_b32 v[8:9], v5 offset0:4 offset1:6
	ds_load_2addr_stride64_b32 v[10:11], v5 offset0:8 offset1:10
	;; [unrolled: 1-line block ×7, first 2 shown]
	s_add_co_i32 s24, s24, 16
	v_add_nc_u32_e32 v4, -8, v4
	s_wait_dscnt 0x7
	v_pk_mul_f32 v[6:7], v[0:1], v[6:7]
	s_wait_dscnt 0x6
	v_pk_mul_f32 v[8:9], v[0:1], v[8:9]
	;; [unrolled: 2-line block ×8, first 2 shown]
	ds_store_2addr_stride64_b32 v5, v6, v7 offset1:2
	ds_store_2addr_stride64_b32 v5, v8, v9 offset0:4 offset1:6
	ds_store_2addr_stride64_b32 v5, v10, v11 offset0:8 offset1:10
	;; [unrolled: 1-line block ×7, first 2 shown]
	v_mov_b32_e32 v6, s24
	v_cmp_eq_u32_e32 vcc_lo, 0, v4
	v_add_nc_u32_e32 v5, 0x2000, v5
	s_or_b32 s21, vcc_lo, s21
	s_delay_alu instid0(SALU_CYCLE_1)
	s_and_not1_b32 exec_lo, exec_lo, s21
	s_cbranch_execnz .LBB149_32
; %bb.33:
	s_or_b32 exec_lo, exec_lo, s21
.LBB149_34:
	s_delay_alu instid0(SALU_CYCLE_1) | instskip(NEXT) | instid1(VALU_DEP_1)
	s_or_b32 exec_lo, exec_lo, s3
	v_and_b32_e32 v3, 7, v3
	s_mov_b32 s21, 0
	s_mov_b32 s3, exec_lo
	s_delay_alu instid0(VALU_DEP_1)
	v_cmpx_ne_u32_e32 0, v3
	s_cbranch_execz .LBB149_37
; %bb.35:
	v_lshlrev_b32_e32 v4, 9, v6
	v_lshlrev_b32_e32 v5, 2, v106
	s_delay_alu instid0(VALU_DEP_1)
	v_add3_u32 v4, v4, v5, 0x110
.LBB149_36:                             ; =>This Inner Loop Header: Depth=1
	ds_load_2addr_stride64_b32 v[6:7], v4 offset1:2
	v_add_nc_u32_e32 v3, -1, v3
	s_delay_alu instid0(VALU_DEP_1)
	v_cmp_eq_u32_e32 vcc_lo, 0, v3
	s_or_b32 s21, vcc_lo, s21
	s_wait_dscnt 0x0
	v_pk_mul_f32 v[6:7], v[0:1], v[6:7]
	ds_store_2addr_stride64_b32 v4, v6, v7 offset1:2
	v_add_nc_u32_e32 v4, 0x400, v4
	s_and_not1_b32 exec_lo, exec_lo, s21
	s_cbranch_execnz .LBB149_36
.LBB149_37:
	s_or_b32 exec_lo, exec_lo, s3
	v_add_nc_u32_e32 v1, 1, v2
	s_delay_alu instid0(VALU_DEP_1) | instskip(NEXT) | instid1(VALU_DEP_1)
	v_and_b32_e32 v2, 0x3fffffe, v1
	v_cmp_ne_u32_e32 vcc_lo, v1, v2
	v_lshl_add_u32 v1, v2, 7, v106
	s_or_not1_b32 s3, vcc_lo, exec_lo
.LBB149_38:
	s_or_b32 exec_lo, exec_lo, s1
	s_delay_alu instid0(SALU_CYCLE_1)
	s_and_b32 exec_lo, exec_lo, s3
	s_cbranch_execz .LBB149_41
; %bb.39:
	v_lshl_add_u32 v2, v1, 2, 0x110
	s_mov_b32 s1, 0
.LBB149_40:                             ; =>This Inner Loop Header: Depth=1
	ds_load_b32 v3, v2
	v_add_nc_u32_e32 v1, 0x80, v1
	s_delay_alu instid0(VALU_DEP_1)
	v_cmp_le_i32_e32 vcc_lo, s4, v1
	s_or_b32 s1, vcc_lo, s1
	s_wait_dscnt 0x0
	v_mul_f32_e32 v3, v0, v3
	ds_store_b32 v2, v3
	v_add_nc_u32_e32 v2, 0x200, v2
	s_and_not1_b32 exec_lo, exec_lo, s1
	s_cbranch_execnz .LBB149_40
.LBB149_41:
	s_or_b32 exec_lo, exec_lo, s0
	v_dual_mov_b32 v72, 0 :: v_dual_bitop2_b32 v90, 3, v106 bitop3:0x40
	v_dual_mov_b32 v75, 0 :: v_dual_mov_b32 v74, 0
	s_wait_dscnt 0x0
	v_dual_mov_b32 v1, 0 :: v_dual_mov_b32 v0, 0
	v_dual_mov_b32 v77, 0 :: v_dual_mov_b32 v76, 0
	;; [unrolled: 1-line block ×5, first 2 shown]
	v_mov_b32_e32 v91, 0
	s_barrier_signal -1
	s_barrier_wait -1
	s_and_saveexec_b32 s1, s2
	s_cbranch_execz .LBB149_77
; %bb.42:
	s_abs_i32 s6, s6
	v_dual_lshlrev_b32 v3, 3, v106 :: v_dual_mov_b32 v71, 0
	s_cvt_f32_u32 s0, s6
	v_lshlrev_b32_e32 v4, 5, v90
	s_ashr_i32 s21, s20, 31
	v_and_b32_e32 v0, 0x1f0, v22
	v_rcp_iflag_f32_e32 v1, s0
	v_and_b32_e32 v2, 0x7c, v23
	v_dual_mov_b32 v3, v71 :: v_dual_bitop2_b32 v92, 24, v3 bitop3:0x40
	s_lshl_b64 s[18:19], s[18:19], 2
	s_lshl_b64 s[20:21], s[20:21], 1
	s_add_nc_u64 s[16:17], s[16:17], s[18:19]
	s_delay_alu instid0(TRANS32_DEP_1)
	v_readfirstlane_b32 s0, v1
	v_mov_b32_e32 v1, v71
	v_lshl_or_b32 v4, v107, 7, v4
	s_wait_kmcnt 0x0
	s_add_nc_u64 s[18:19], s[22:23], s[20:21]
	s_sub_co_i32 s4, 0, s6
	s_mul_f32 s0, s0, 0x4f7ffffe
	v_add_nc_u64_e32 v[84:85], s[18:19], v[0:1]
	v_add_nc_u64_e32 v[86:87], s[16:17], v[2:3]
	v_dual_mov_b32 v94, v107 :: v_dual_add_nc_u32 v93, 0x110, v4
	s_cvt_u32_f32 s0, s0
	v_dual_mov_b32 v91, v71 :: v_dual_mov_b32 v82, v71
	v_dual_mov_b32 v83, v71 :: v_dual_mov_b32 v80, v71
	s_delay_alu instid0(SALU_CYCLE_1)
	s_mul_i32 s4, s4, s0
	v_dual_mov_b32 v81, v71 :: v_dual_mov_b32 v78, v71
	v_dual_mov_b32 v79, v71 :: v_dual_mov_b32 v76, v71
	;; [unrolled: 1-line block ×5, first 2 shown]
	s_sub_co_i32 s24, s33, s5
	s_mov_b32 s5, 0
	s_mul_hi_u32 s4, s0, s4
	s_ashr_i32 s3, s9, 31
	s_mov_b32 s2, s9
	s_add_co_i32 s9, s31, -1
	s_mov_b32 s16, s29
	s_add_co_i32 s4, s0, s4
	s_mov_b32 s17, s5
	s_branch .LBB149_45
.LBB149_43:                             ;   in Loop: Header=BB149_45 Depth=1
	s_or_b32 exec_lo, exec_lo, s0
	s_wait_dscnt 0x1
	v_cvt_pk_bf16_f32 v27, v26, v27
	v_cvt_pk_bf16_f32 v26, v28, v29
	s_wait_dscnt 0x0
	v_cvt_pk_bf16_f32 v23, v22, v23
	v_cvt_pk_bf16_f32 v22, v24, v25
	s_wait_loadcnt 0x1
	v_pk_mul_bf16 v28, v27, v66
	v_pk_mul_bf16 v29, v26, v67
	;; [unrolled: 1-line block ×5, first 2 shown]
	s_delay_alu instid0(VALU_DEP_4)
	v_dual_lshlrev_b32 v25, 16, v28 :: v_dual_lshlrev_b32 v66, 16, v29
	v_and_b32_e32 v28, 0xffff0000, v28
	v_and_b32_e32 v29, 0xffff0000, v29
	v_lshlrev_b32_e32 v68, 16, v24
	v_and_b32_e32 v24, 0xffff0000, v24
	v_pk_mul_bf16 v59, v26, v59
	s_delay_alu instid0(VALU_DEP_4)
	v_dual_add_f32 v25, v25, v28 :: v_dual_add_f32 v28, v66, v29
	v_pk_mul_bf16 v29, v27, v62
	v_lshlrev_b32_e32 v62, 16, v67
	v_and_b32_e32 v66, 0xffff0000, v67
	v_add_f32_e32 v24, v68, v24
	v_add_f32_e32 v25, v28, v25
	v_pk_mul_bf16 v28, v26, v63
	v_pk_mul_bf16 v63, v23, v64
	v_dual_lshlrev_b32 v64, 16, v29 :: v_dual_add_f32 v62, v62, v66
	s_delay_alu instid0(VALU_DEP_4)
	v_add_f32_e32 v24, v24, v25
	v_and_b32_e32 v25, 0xffff0000, v29
	v_lshlrev_b32_e32 v29, 16, v28
	v_and_b32_e32 v28, 0xffff0000, v28
	v_pk_mul_bf16 v60, v23, v60
	v_dual_add_f32 v24, v62, v24 :: v_dual_lshlrev_b32 v62, 16, v63
	s_delay_alu instid0(VALU_DEP_3) | instskip(SKIP_1) | instid1(VALU_DEP_3)
	v_dual_add_f32 v25, v64, v25 :: v_dual_add_f32 v28, v29, v28
	v_and_b32_e32 v29, 0xffff0000, v63
	v_add_f32_e32 v73, v73, v24
	v_pk_mul_bf16 v24, v22, v65
	v_pk_mul_bf16 v61, v22, v61
	v_add_f32_e32 v25, v28, v25
	v_dual_add_f32 v28, v62, v29 :: v_dual_lshlrev_b32 v29, 16, v58
	v_and_b32_e32 v58, 0xffff0000, v58
	v_dual_lshlrev_b32 v62, 16, v59 :: v_dual_lshlrev_b32 v63, 16, v24
	v_and_b32_e32 v59, 0xffff0000, v59
	v_and_b32_e32 v24, 0xffff0000, v24
	s_delay_alu instid0(VALU_DEP_4) | instskip(SKIP_1) | instid1(VALU_DEP_4)
	v_dual_add_f32 v29, v29, v58 :: v_dual_add_f32 v25, v28, v25
	v_pk_mul_bf16 v54, v27, v54
	v_dual_add_f32 v58, v62, v59 :: v_dual_lshlrev_b32 v59, 16, v60
	v_and_b32_e32 v60, 0xffff0000, v60
	v_add_f32_e32 v24, v63, v24
	v_pk_mul_bf16 v56, v23, v56
	s_delay_alu instid0(VALU_DEP_4) | instskip(NEXT) | instid1(VALU_DEP_4)
	v_add_f32_e32 v28, v58, v29
	v_dual_add_f32 v29, v59, v60 :: v_dual_lshlrev_b32 v58, 16, v61
	v_and_b32_e32 v59, 0xffff0000, v61
	v_add_f32_e32 v24, v24, v25
	v_pk_mul_bf16 v25, v26, v55
	s_delay_alu instid0(VALU_DEP_4) | instskip(NEXT) | instid1(VALU_DEP_4)
	v_dual_add_f32 v28, v29, v28 :: v_dual_lshlrev_b32 v55, 16, v54
	v_add_f32_e32 v29, v58, v59
	v_and_b32_e32 v54, 0xffff0000, v54
	s_delay_alu instid0(VALU_DEP_4) | instskip(SKIP_1) | instid1(VALU_DEP_3)
	v_dual_lshlrev_b32 v58, 16, v25 :: v_dual_add_f32 v72, v72, v24
	v_and_b32_e32 v25, 0xffff0000, v25
	v_dual_add_f32 v24, v29, v28 :: v_dual_add_f32 v28, v55, v54
	v_lshlrev_b32_e32 v29, 16, v56
	v_and_b32_e32 v54, 0xffff0000, v56
	s_delay_alu instid0(VALU_DEP_3) | instskip(SKIP_2) | instid1(VALU_DEP_4)
	v_dual_add_f32 v25, v58, v25 :: v_dual_add_f32 v75, v75, v24
	v_pk_mul_bf16 v24, v22, v57
	v_pk_mul_bf16 v48, v23, v48
	v_add_f32_e32 v29, v29, v54
	s_delay_alu instid0(VALU_DEP_4)
	v_add_f32_e32 v25, v25, v28
	v_pk_mul_bf16 v28, v27, v46
	v_pk_mul_bf16 v46, v26, v47
	v_lshlrev_b32_e32 v47, 16, v24
	v_and_b32_e32 v24, 0xffff0000, v24
	v_pk_mul_bf16 v43, v26, v43
	v_lshlrev_b32_e32 v54, 16, v28
	v_and_b32_e32 v28, 0xffff0000, v28
	v_lshlrev_b32_e32 v55, 16, v46
	v_and_b32_e32 v46, 0xffff0000, v46
	v_dual_add_f32 v25, v29, v25 :: v_dual_add_f32 v24, v47, v24
	s_delay_alu instid0(VALU_DEP_4) | instskip(SKIP_1) | instid1(VALU_DEP_4)
	v_add_f32_e32 v28, v54, v28
	v_and_b32_e32 v47, 0xffff0000, v48
	v_dual_add_f32 v29, v55, v46 :: v_dual_lshlrev_b32 v46, 16, v48
	s_delay_alu instid0(VALU_DEP_4) | instskip(SKIP_1) | instid1(VALU_DEP_3)
	v_add_f32_e32 v24, v24, v25
	v_pk_mul_bf16 v25, v22, v49
	v_dual_lshlrev_b32 v48, 16, v43 :: v_dual_add_f32 v28, v29, v28
	v_pk_mul_bf16 v29, v27, v42
	s_delay_alu instid0(VALU_DEP_3) | instskip(SKIP_2) | instid1(VALU_DEP_3)
	v_dual_add_f32 v42, v46, v47 :: v_dual_lshlrev_b32 v46, 16, v25
	v_and_b32_e32 v25, 0xffff0000, v25
	v_and_b32_e32 v43, 0xffff0000, v43
	v_dual_add_f32 v28, v42, v28 :: v_dual_lshlrev_b32 v47, 16, v29
	v_and_b32_e32 v29, 0xffff0000, v29
	v_pk_mul_bf16 v44, v23, v44
	s_delay_alu instid0(VALU_DEP_4) | instskip(SKIP_1) | instid1(VALU_DEP_3)
	v_dual_add_f32 v25, v46, v25 :: v_dual_add_f32 v42, v48, v43
	v_pk_mul_bf16 v45, v22, v45
	v_dual_add_f32 v29, v47, v29 :: v_dual_lshlrev_b32 v43, 16, v44
	v_and_b32_e32 v44, 0xffff0000, v44
	v_add_f32_e32 v74, v74, v24
	s_delay_alu instid0(VALU_DEP_3)
	v_dual_add_f32 v24, v25, v28 :: v_dual_add_f32 v25, v42, v29
	v_lshlrev_b32_e32 v29, 16, v45
	v_and_b32_e32 v42, 0xffff0000, v45
	v_pk_mul_bf16 v38, v27, v38
	v_add_f32_e32 v28, v43, v44
	v_add_f32_e32 v1, v1, v24
	v_pk_mul_bf16 v24, v26, v39
	v_pk_mul_bf16 v40, v23, v40
	;; [unrolled: 1-line block ×3, first 2 shown]
	v_dual_add_f32 v25, v28, v25 :: v_dual_add_f32 v28, v29, v42
	s_delay_alu instid0(VALU_DEP_4)
	v_dual_lshlrev_b32 v39, 16, v24 :: v_dual_lshlrev_b32 v29, 16, v38
	v_and_b32_e32 v38, 0xffff0000, v38
	v_and_b32_e32 v24, 0xffff0000, v24
	v_pk_mul_bf16 v35, v26, v35
	v_pk_mul_bf16 v36, v23, v36
	;; [unrolled: 1-line block ×3, first 2 shown]
	s_delay_alu instid0(VALU_DEP_4)
	v_dual_add_f32 v29, v29, v38 :: v_dual_add_f32 v24, v39, v24
	v_lshlrev_b32_e32 v38, 16, v40
	v_and_b32_e32 v39, 0xffff0000, v40
	v_lshlrev_b32_e32 v40, 16, v34
	v_and_b32_e32 v34, 0xffff0000, v34
	v_dual_lshlrev_b32 v42, 16, v35 :: v_dual_add_f32 v24, v24, v29
	v_and_b32_e32 v35, 0xffff0000, v35
	s_delay_alu instid0(VALU_DEP_3) | instskip(SKIP_2) | instid1(VALU_DEP_4)
	v_dual_add_f32 v29, v38, v39 :: v_dual_add_f32 v34, v40, v34
	v_lshlrev_b32_e32 v38, 16, v36
	v_and_b32_e32 v36, 0xffff0000, v36
	v_add_f32_e32 v35, v42, v35
	v_pk_mul_bf16 v37, v22, v37
	v_lshlrev_b32_e32 v39, 16, v41
	v_and_b32_e32 v40, 0xffff0000, v41
	v_dual_add_f32 v25, v28, v25 :: v_dual_add_f32 v24, v29, v24
	v_dual_add_f32 v34, v35, v34 :: v_dual_add_f32 v35, v38, v36
	v_lshlrev_b32_e32 v36, 16, v37
	v_and_b32_e32 v37, 0xffff0000, v37
	v_add_f32_e32 v28, v39, v40
	v_pk_mul_bf16 v30, v27, v30
	v_dual_add_f32 v29, v35, v34 :: v_dual_add_f32 v0, v0, v25
	s_delay_alu instid0(VALU_DEP_4)
	v_add_f32_e32 v34, v36, v37
	v_pk_mul_bf16 v25, v26, v31
	v_add_f32_e32 v24, v28, v24
	v_pk_mul_bf16 v32, v23, v32
	v_pk_mul_bf16 v18, v27, v18
	v_dual_add_f32 v28, v34, v29 :: v_dual_lshlrev_b32 v29, 16, v30
	v_lshlrev_b32_e32 v31, 16, v25
	v_and_b32_e32 v30, 0xffff0000, v30
	v_and_b32_e32 v25, 0xffff0000, v25
	v_add_f32_e32 v77, v77, v24
	v_add_f32_e32 v76, v76, v28
	v_pk_mul_bf16 v19, v26, v19
	s_delay_alu instid0(VALU_DEP_4)
	v_dual_add_f32 v24, v29, v30 :: v_dual_add_f32 v25, v31, v25
	v_lshlrev_b32_e32 v28, 16, v32
	v_and_b32_e32 v29, 0xffff0000, v32
	v_pk_mul_bf16 v30, v22, v33
	v_pk_mul_bf16 v20, v23, v20
	v_add_f32_e32 v24, v25, v24
	v_pk_mul_bf16 v21, v22, v21
	v_dual_add_f32 v25, v28, v29 :: v_dual_lshlrev_b32 v29, 16, v19
	v_and_b32_e32 v19, 0xffff0000, v19
	v_lshlrev_b32_e32 v28, 16, v18
	v_and_b32_e32 v18, 0xffff0000, v18
	v_lshlrev_b32_e32 v31, 16, v30
	v_and_b32_e32 v30, 0xffff0000, v30
	v_add_f32_e32 v19, v29, v19
	s_delay_alu instid0(VALU_DEP_4)
	v_dual_add_f32 v24, v25, v24 :: v_dual_add_f32 v18, v28, v18
	v_lshlrev_b32_e32 v28, 16, v20
	v_and_b32_e32 v20, 0xffff0000, v20
	v_add_f32_e32 v25, v31, v30
	v_pk_mul_bf16 v14, v27, v14
	v_add_f32_e32 v18, v19, v18
	v_pk_mul_bf16 v15, v26, v15
	v_dual_add_f32 v19, v28, v20 :: v_dual_lshlrev_b32 v20, 16, v21
	v_and_b32_e32 v21, 0xffff0000, v21
	v_add_f32_e32 v24, v25, v24
	v_pk_mul_bf16 v16, v23, v16
	s_delay_alu instid0(VALU_DEP_4)
	v_add_f32_e32 v18, v19, v18
	v_pk_mul_bf16 v17, v22, v17
	v_dual_add_f32 v19, v20, v21 :: v_dual_lshlrev_b32 v20, 16, v14
	v_and_b32_e32 v14, 0xffff0000, v14
	v_dual_lshlrev_b32 v21, 16, v15 :: v_dual_add_f32 v79, v79, v24
	v_and_b32_e32 v15, 0xffff0000, v15
	s_delay_alu instid0(VALU_DEP_4) | instskip(NEXT) | instid1(VALU_DEP_4)
	v_add_f32_e32 v18, v19, v18
	v_dual_add_f32 v14, v20, v14 :: v_dual_lshlrev_b32 v19, 16, v16
	v_and_b32_e32 v16, 0xffff0000, v16
	s_delay_alu instid0(VALU_DEP_4)
	v_add_f32_e32 v15, v21, v15
	v_pk_mul_bf16 v10, v27, v10
	v_pk_mul_bf16 v11, v26, v11
	v_add_f32_e32 v78, v78, v18
	v_pk_mul_bf16 v12, v23, v12
	v_add_f32_e32 v14, v15, v14
	v_dual_add_f32 v15, v19, v16 :: v_dual_lshlrev_b32 v16, 16, v17
	v_and_b32_e32 v17, 0xffff0000, v17
	v_dual_lshlrev_b32 v18, 16, v10 :: v_dual_lshlrev_b32 v19, 16, v11
	v_and_b32_e32 v10, 0xffff0000, v10
	v_and_b32_e32 v11, 0xffff0000, v11
	s_delay_alu instid0(VALU_DEP_4) | instskip(SKIP_1) | instid1(VALU_DEP_3)
	v_dual_add_f32 v14, v15, v14 :: v_dual_add_f32 v15, v16, v17
	v_pk_mul_bf16 v6, v27, v6
	v_dual_add_f32 v10, v18, v10 :: v_dual_add_f32 v11, v19, v11
	v_lshlrev_b32_e32 v16, 16, v12
	v_and_b32_e32 v12, 0xffff0000, v12
	v_pk_mul_bf16 v7, v26, v7
	v_pk_mul_bf16 v13, v22, v13
	v_add_f32_e32 v10, v11, v10
	v_pk_mul_bf16 v8, v23, v8
	v_dual_add_f32 v11, v16, v12 :: v_dual_lshlrev_b32 v12, 16, v6
	v_and_b32_e32 v6, 0xffff0000, v6
	v_lshlrev_b32_e32 v16, 16, v7
	v_and_b32_e32 v7, 0xffff0000, v7
	s_delay_alu instid0(VALU_DEP_4) | instskip(NEXT) | instid1(VALU_DEP_4)
	v_dual_add_f32 v10, v11, v10 :: v_dual_lshlrev_b32 v11, 16, v13
	v_dual_add_f32 v6, v12, v6 :: v_dual_lshlrev_b32 v12, 16, v8
	s_delay_alu instid0(VALU_DEP_3) | instskip(SKIP_4) | instid1(VALU_DEP_4)
	v_add_f32_e32 v7, v16, v7
	v_and_b32_e32 v8, 0xffff0000, v8
	v_pk_mul_bf16 v2, v27, v2
	v_pk_mul_bf16 v3, v26, v3
	v_and_b32_e32 v13, 0xffff0000, v13
	v_dual_add_f32 v6, v7, v6 :: v_dual_add_f32 v7, v12, v8
	s_delay_alu instid0(VALU_DEP_3)
	v_dual_lshlrev_b32 v8, 16, v2 :: v_dual_lshlrev_b32 v12, 16, v3
	v_and_b32_e32 v2, 0xffff0000, v2
	v_and_b32_e32 v3, 0xffff0000, v3
	v_pk_mul_bf16 v9, v22, v9
	v_add_f32_e32 v11, v11, v13
	v_add_f32_e32 v6, v7, v6
	;; [unrolled: 1-line block ×3, first 2 shown]
	s_delay_alu instid0(VALU_DEP_4)
	v_dual_add_f32 v3, v12, v3 :: v_dual_lshlrev_b32 v7, 16, v9
	v_pk_mul_bf16 v4, v23, v4
	s_wait_loadcnt 0x0
	v_pk_mul_bf16 v12, v26, v51
	v_and_b32_e32 v8, 0xffff0000, v9
	v_add_f32_e32 v2, v3, v2
	v_pk_mul_bf16 v3, v27, v50
	v_lshlrev_b32_e32 v9, 16, v4
	v_and_b32_e32 v4, 0xffff0000, v4
	v_pk_mul_bf16 v13, v23, v52
	s_delay_alu instid0(VALU_DEP_4)
	v_dual_lshlrev_b32 v17, 16, v12 :: v_dual_lshlrev_b32 v16, 16, v3
	v_and_b32_e32 v3, 0xffff0000, v3
	v_and_b32_e32 v12, 0xffff0000, v12
	v_pk_mul_bf16 v5, v22, v5
	v_dual_lshlrev_b32 v18, 16, v13 :: v_dual_add_f32 v4, v9, v4
	v_pk_mul_bf16 v9, v22, v53
	s_delay_alu instid0(VALU_DEP_3)
	v_dual_add_f32 v3, v3, v16 :: v_dual_lshlrev_b32 v16, 16, v5
	v_add_f32_e32 v12, v12, v17
	v_and_b32_e32 v13, 0xffff0000, v13
	v_and_b32_e32 v5, 0xffff0000, v5
	v_lshlrev_b32_e32 v17, 16, v9
	v_and_b32_e32 v9, 0xffff0000, v9
	s_delay_alu instid0(VALU_DEP_4) | instskip(SKIP_2) | instid1(VALU_DEP_3)
	v_dual_add_f32 v3, v12, v3 :: v_dual_add_f32 v12, v13, v18
	v_dual_add_f32 v7, v7, v8 :: v_dual_add_f32 v2, v4, v2
	;; [unrolled: 1-line block ×4, first 2 shown]
	v_add_f32_e32 v9, v11, v10
	s_delay_alu instid0(VALU_DEP_4) | instskip(NEXT) | instid1(VALU_DEP_4)
	v_add_f32_e32 v6, v7, v6
	v_dual_add_f32 v2, v4, v2 :: v_dual_add_f32 v81, v81, v8
	s_delay_alu instid0(VALU_DEP_3) | instskip(NEXT) | instid1(VALU_DEP_3)
	v_dual_add_f32 v3, v5, v3 :: v_dual_add_f32 v80, v80, v9
	v_add_f32_e32 v83, v83, v6
	s_delay_alu instid0(VALU_DEP_2)
	v_dual_add_f32 v82, v82, v2 :: v_dual_add_f32 v91, v91, v3
.LBB149_44:                             ;   in Loop: Header=BB149_45 Depth=1
	s_or_b32 exec_lo, exec_lo, s18
	v_add_nc_u32_e32 v94, 4, v94
	v_add_nc_u64_e32 v[86:87], 16, v[86:87]
	v_add_nc_u32_e32 v70, 0x80, v70
	v_add_nc_u32_e32 v93, 0x200, v93
	s_delay_alu instid0(VALU_DEP_4) | instskip(SKIP_1) | instid1(SALU_CYCLE_1)
	v_cmp_le_i32_e32 vcc_lo, s31, v94
	s_or_b32 s17, vcc_lo, s17
	s_and_not1_b32 exec_lo, exec_lo, s17
	s_cbranch_execz .LBB149_76
.LBB149_45:                             ; =>This Inner Loop Header: Depth=1
	v_mul_u64_e32 v[2:3], s[14:15], v[70:71]
	s_delay_alu instid0(VALU_DEP_1) | instskip(NEXT) | instid1(VALU_DEP_1)
	v_mul_lo_u32 v2, v3, s8
	v_dual_add_nc_u32 v4, 1, v3 :: v_dual_sub_nc_u32 v2, v70, v2
	s_delay_alu instid0(VALU_DEP_1) | instskip(SKIP_1) | instid1(VALU_DEP_2)
	v_subrev_nc_u32_e32 v5, s8, v2
	v_cmp_le_u32_e32 vcc_lo, s8, v2
	v_dual_cndmask_b32 v3, v3, v4 :: v_dual_cndmask_b32 v2, v2, v5
	s_delay_alu instid0(VALU_DEP_1) | instskip(NEXT) | instid1(VALU_DEP_2)
	v_add_nc_u32_e32 v4, 1, v3
	v_cmp_le_u32_e32 vcc_lo, s8, v2
	s_delay_alu instid0(VALU_DEP_2) | instskip(NEXT) | instid1(VALU_DEP_1)
	v_cndmask_b32_e32 v2, v3, v4, vcc_lo
	v_dual_mov_b32 v3, v71 :: v_dual_bitop2_b32 v2, s30, v2 bitop3:0x14
	s_delay_alu instid0(VALU_DEP_1) | instskip(NEXT) | instid1(VALU_DEP_1)
	v_subrev_nc_u32_e32 v6, s30, v2
	v_add_nc_u32_e32 v7, s13, v6
	v_cmp_lt_i32_e64 s0, s24, v6
	s_delay_alu instid0(VALU_DEP_2) | instskip(NEXT) | instid1(VALU_DEP_1)
	v_sub_nc_u32_e32 v2, 0, v7
	v_max_i32_e32 v2, v7, v2
	s_delay_alu instid0(VALU_DEP_1) | instskip(SKIP_1) | instid1(VALU_DEP_2)
	v_mul_u64_e32 v[4:5], s[4:5], v[2:3]
	v_ashrrev_i32_e32 v4, 31, v7
	v_mul_lo_u32 v3, v5, s6
	s_delay_alu instid0(VALU_DEP_1) | instskip(NEXT) | instid1(VALU_DEP_1)
	v_sub_nc_u32_e32 v2, v2, v3
	v_subrev_nc_u32_e32 v3, s6, v2
	v_cmp_le_u32_e32 vcc_lo, s6, v2
	s_delay_alu instid0(VALU_DEP_2) | instskip(NEXT) | instid1(VALU_DEP_1)
	v_cndmask_b32_e32 v2, v2, v3, vcc_lo
	v_subrev_nc_u32_e32 v3, s6, v2
	v_cmp_le_u32_e32 vcc_lo, s6, v2
	s_delay_alu instid0(VALU_DEP_2) | instskip(NEXT) | instid1(VALU_DEP_1)
	v_cndmask_b32_e32 v2, v2, v3, vcc_lo
	v_xor_b32_e32 v2, v2, v4
	s_delay_alu instid0(VALU_DEP_1) | instskip(NEXT) | instid1(VALU_DEP_1)
	v_sub_nc_u32_e32 v2, v2, v4
	v_cmp_eq_u32_e32 vcc_lo, 0, v2
	s_or_b32 s0, vcc_lo, s0
	s_delay_alu instid0(SALU_CYCLE_1)
	s_and_saveexec_b32 s18, s0
	s_cbranch_execz .LBB149_44
; %bb.46:                               ;   in Loop: Header=BB149_45 Depth=1
	global_load_b32 v2, v[86:87], off
	v_add_nc_u32_e32 v102, v92, v70
	v_cmp_eq_u32_e32 vcc_lo, s9, v94
	s_delay_alu instid0(VALU_DEP_2)
	v_dual_add_nc_u32 v100, 1, v102 :: v_dual_bitop2_b32 v99, 3, v102 bitop3:0x54
	v_or_b32_e32 v101, 2, v102
	v_or_b32_e32 v96, 5, v102
	;; [unrolled: 1-line block ×5, first 2 shown]
	s_wait_loadcnt 0x0
	v_ashrrev_i32_e32 v3, 31, v2
	s_delay_alu instid0(VALU_DEP_1) | instskip(NEXT) | instid1(VALU_DEP_1)
	v_mul_u64_e32 v[2:3], s[2:3], v[2:3]
	v_lshl_add_u64 v[50:51], v[2:3], 1, v[84:85]
	global_load_b128 v[2:5], v[50:51], off
	ds_load_2addr_b64 v[26:29], v93 offset1:1
	ds_load_2addr_b64 v[22:25], v93 offset0:2 offset1:3
	s_wait_xcnt 0x0
	s_and_saveexec_b32 s19, vcc_lo
	s_cbranch_execnz .LBB149_61
; %bb.47:                               ;   in Loop: Header=BB149_45 Depth=1
	s_or_b32 exec_lo, exec_lo, s19
	global_load_b128 v[6:9], v[50:51], off offset:512
	s_wait_xcnt 0x0
	s_and_saveexec_b32 s19, vcc_lo
	s_cbranch_execnz .LBB149_62
.LBB149_48:                             ;   in Loop: Header=BB149_45 Depth=1
	s_or_b32 exec_lo, exec_lo, s19
	global_load_b128 v[10:13], v[50:51], off offset:1024
	s_wait_xcnt 0x0
	s_and_saveexec_b32 s19, vcc_lo
	s_cbranch_execnz .LBB149_63
.LBB149_49:                             ;   in Loop: Header=BB149_45 Depth=1
	s_or_b32 exec_lo, exec_lo, s19
	global_load_b128 v[14:17], v[50:51], off offset:1536
	s_wait_xcnt 0x0
	s_and_saveexec_b32 s19, vcc_lo
	s_cbranch_execnz .LBB149_64
.LBB149_50:                             ;   in Loop: Header=BB149_45 Depth=1
	s_or_b32 exec_lo, exec_lo, s19
	global_load_b128 v[18:21], v[50:51], off offset:2048
	s_wait_xcnt 0x0
	s_and_saveexec_b32 s19, vcc_lo
	s_cbranch_execnz .LBB149_65
.LBB149_51:                             ;   in Loop: Header=BB149_45 Depth=1
	s_or_b32 exec_lo, exec_lo, s19
	global_load_b128 v[30:33], v[50:51], off offset:2560
	s_wait_xcnt 0x0
	s_and_saveexec_b32 s19, vcc_lo
	s_cbranch_execnz .LBB149_66
.LBB149_52:                             ;   in Loop: Header=BB149_45 Depth=1
	s_or_b32 exec_lo, exec_lo, s19
	global_load_b128 v[34:37], v[50:51], off offset:3072
	s_wait_xcnt 0x0
	s_and_saveexec_b32 s19, vcc_lo
	s_cbranch_execnz .LBB149_67
.LBB149_53:                             ;   in Loop: Header=BB149_45 Depth=1
	s_or_b32 exec_lo, exec_lo, s19
	global_load_b128 v[38:41], v[50:51], off offset:3584
	s_wait_xcnt 0x0
	s_and_saveexec_b32 s19, vcc_lo
	s_cbranch_execnz .LBB149_68
.LBB149_54:                             ;   in Loop: Header=BB149_45 Depth=1
	s_or_b32 exec_lo, exec_lo, s19
	global_load_b128 v[42:45], v[50:51], off offset:4096
	s_wait_xcnt 0x0
	s_and_saveexec_b32 s19, vcc_lo
	s_cbranch_execnz .LBB149_69
.LBB149_55:                             ;   in Loop: Header=BB149_45 Depth=1
	s_or_b32 exec_lo, exec_lo, s19
	global_load_b128 v[46:49], v[50:51], off offset:4608
	s_wait_xcnt 0x0
	s_and_saveexec_b32 s19, vcc_lo
	s_cbranch_execnz .LBB149_70
.LBB149_56:                             ;   in Loop: Header=BB149_45 Depth=1
	s_or_b32 exec_lo, exec_lo, s19
	global_load_b128 v[54:57], v[50:51], off offset:5120
	s_wait_xcnt 0x0
	s_and_saveexec_b32 s19, vcc_lo
	s_cbranch_execnz .LBB149_71
.LBB149_57:                             ;   in Loop: Header=BB149_45 Depth=1
	s_or_b32 exec_lo, exec_lo, s19
	global_load_b128 v[58:61], v[50:51], off offset:5632
	s_wait_xcnt 0x0
	s_and_saveexec_b32 s19, vcc_lo
	s_cbranch_execnz .LBB149_72
.LBB149_58:                             ;   in Loop: Header=BB149_45 Depth=1
	s_or_b32 exec_lo, exec_lo, s19
	global_load_b128 v[62:65], v[50:51], off offset:6144
	s_wait_xcnt 0x0
	s_and_saveexec_b32 s19, vcc_lo
	s_cbranch_execnz .LBB149_73
.LBB149_59:                             ;   in Loop: Header=BB149_45 Depth=1
	s_or_b32 exec_lo, exec_lo, s19
	global_load_b128 v[66:69], v[50:51], off offset:6656
	s_wait_xcnt 0x0
	s_and_saveexec_b32 s19, vcc_lo
	s_cbranch_execnz .LBB149_74
.LBB149_60:                             ;   in Loop: Header=BB149_45 Depth=1
	s_or_b32 exec_lo, exec_lo, s19
	global_load_b128 v[50:53], v[50:51], off offset:7168
	s_wait_xcnt 0x0
	s_and_saveexec_b32 s0, vcc_lo
	s_cbranch_execz .LBB149_43
	s_branch .LBB149_75
.LBB149_61:                             ;   in Loop: Header=BB149_45 Depth=1
	v_cmp_gt_i32_e64 s0, s29, v102
	s_wait_loadcnt 0x0
	v_dual_lshrrev_b32 v6, 16, v2 :: v_dual_lshrrev_b32 v8, 16, v4
	s_delay_alu instid0(VALU_DEP_2) | instskip(SKIP_1) | instid1(VALU_DEP_1)
	v_cndmask_b32_e64 v2, 0, v2, s0
	v_cmp_gt_i32_e64 s0, s16, v100
	v_dual_lshrrev_b32 v7, 16, v3 :: v_dual_cndmask_b32 v6, 0, v6, s0
	v_cmp_gt_i32_e64 s0, s29, v101
	s_delay_alu instid0(VALU_DEP_2) | instskip(NEXT) | instid1(VALU_DEP_2)
	v_perm_b32 v2, v6, v2, 0x5040100
	v_cndmask_b32_e64 v3, 0, v3, s0
	v_cmp_gt_i32_e64 s0, s16, v99
	s_delay_alu instid0(VALU_DEP_1) | instskip(SKIP_1) | instid1(VALU_DEP_1)
	v_cndmask_b32_e64 v7, 0, v7, s0
	v_cmp_gt_i32_e64 s0, s29, v98
	v_cndmask_b32_e64 v4, 0, v4, s0
	v_cmp_gt_i32_e64 s0, s16, v96
	v_lshrrev_b32_e32 v9, 16, v5
	v_perm_b32 v3, v7, v3, 0x5040100
	s_delay_alu instid0(VALU_DEP_3) | instskip(SKIP_1) | instid1(VALU_DEP_2)
	v_cndmask_b32_e64 v8, 0, v8, s0
	v_cmp_gt_i32_e64 s0, s29, v97
	v_perm_b32 v4, v8, v4, 0x5040100
	s_delay_alu instid0(VALU_DEP_2) | instskip(SKIP_1) | instid1(VALU_DEP_1)
	v_cndmask_b32_e64 v5, 0, v5, s0
	v_cmp_gt_i32_e64 s0, s16, v95
	v_cndmask_b32_e64 v9, 0, v9, s0
	s_delay_alu instid0(VALU_DEP_1)
	v_perm_b32 v5, v9, v5, 0x5040100
	s_or_b32 exec_lo, exec_lo, s19
	global_load_b128 v[6:9], v[50:51], off offset:512
	s_wait_xcnt 0x0
	s_and_saveexec_b32 s19, vcc_lo
	s_cbranch_execz .LBB149_48
.LBB149_62:                             ;   in Loop: Header=BB149_45 Depth=1
	v_cmp_gt_i32_e64 s0, s29, v102
	s_wait_loadcnt 0x0
	v_dual_lshrrev_b32 v10, 16, v6 :: v_dual_lshrrev_b32 v12, 16, v8
	s_delay_alu instid0(VALU_DEP_2) | instskip(SKIP_1) | instid1(VALU_DEP_1)
	v_cndmask_b32_e64 v6, 0, v6, s0
	v_cmp_gt_i32_e64 s0, s16, v100
	v_dual_lshrrev_b32 v11, 16, v7 :: v_dual_cndmask_b32 v10, 0, v10, s0
	v_cmp_gt_i32_e64 s0, s29, v101
	s_delay_alu instid0(VALU_DEP_2) | instskip(NEXT) | instid1(VALU_DEP_2)
	v_perm_b32 v6, v10, v6, 0x5040100
	v_cndmask_b32_e64 v7, 0, v7, s0
	v_cmp_gt_i32_e64 s0, s16, v99
	s_delay_alu instid0(VALU_DEP_1) | instskip(SKIP_1) | instid1(VALU_DEP_1)
	v_cndmask_b32_e64 v11, 0, v11, s0
	v_cmp_gt_i32_e64 s0, s29, v98
	v_cndmask_b32_e64 v8, 0, v8, s0
	v_cmp_gt_i32_e64 s0, s16, v96
	v_lshrrev_b32_e32 v13, 16, v9
	v_perm_b32 v7, v11, v7, 0x5040100
	s_delay_alu instid0(VALU_DEP_3) | instskip(SKIP_1) | instid1(VALU_DEP_2)
	v_cndmask_b32_e64 v12, 0, v12, s0
	v_cmp_gt_i32_e64 s0, s29, v97
	v_perm_b32 v8, v12, v8, 0x5040100
	s_delay_alu instid0(VALU_DEP_2) | instskip(SKIP_1) | instid1(VALU_DEP_1)
	v_cndmask_b32_e64 v9, 0, v9, s0
	v_cmp_gt_i32_e64 s0, s16, v95
	v_cndmask_b32_e64 v13, 0, v13, s0
	s_delay_alu instid0(VALU_DEP_1)
	v_perm_b32 v9, v13, v9, 0x5040100
	s_or_b32 exec_lo, exec_lo, s19
	global_load_b128 v[10:13], v[50:51], off offset:1024
	s_wait_xcnt 0x0
	s_and_saveexec_b32 s19, vcc_lo
	s_cbranch_execz .LBB149_49
.LBB149_63:                             ;   in Loop: Header=BB149_45 Depth=1
	v_cmp_gt_i32_e64 s0, s29, v102
	s_wait_loadcnt 0x0
	v_dual_lshrrev_b32 v14, 16, v10 :: v_dual_lshrrev_b32 v16, 16, v12
	s_delay_alu instid0(VALU_DEP_2) | instskip(SKIP_1) | instid1(VALU_DEP_1)
	v_cndmask_b32_e64 v10, 0, v10, s0
	v_cmp_gt_i32_e64 s0, s16, v100
	v_dual_lshrrev_b32 v15, 16, v11 :: v_dual_cndmask_b32 v14, 0, v14, s0
	v_cmp_gt_i32_e64 s0, s29, v101
	s_delay_alu instid0(VALU_DEP_2) | instskip(NEXT) | instid1(VALU_DEP_2)
	v_perm_b32 v10, v14, v10, 0x5040100
	v_cndmask_b32_e64 v11, 0, v11, s0
	v_cmp_gt_i32_e64 s0, s16, v99
	s_delay_alu instid0(VALU_DEP_1) | instskip(SKIP_1) | instid1(VALU_DEP_1)
	v_cndmask_b32_e64 v15, 0, v15, s0
	v_cmp_gt_i32_e64 s0, s29, v98
	v_cndmask_b32_e64 v12, 0, v12, s0
	v_cmp_gt_i32_e64 s0, s16, v96
	v_lshrrev_b32_e32 v17, 16, v13
	v_perm_b32 v11, v15, v11, 0x5040100
	s_delay_alu instid0(VALU_DEP_3) | instskip(SKIP_1) | instid1(VALU_DEP_2)
	v_cndmask_b32_e64 v16, 0, v16, s0
	v_cmp_gt_i32_e64 s0, s29, v97
	v_perm_b32 v12, v16, v12, 0x5040100
	s_delay_alu instid0(VALU_DEP_2) | instskip(SKIP_1) | instid1(VALU_DEP_1)
	v_cndmask_b32_e64 v13, 0, v13, s0
	v_cmp_gt_i32_e64 s0, s16, v95
	v_cndmask_b32_e64 v17, 0, v17, s0
	s_delay_alu instid0(VALU_DEP_1)
	v_perm_b32 v13, v17, v13, 0x5040100
	s_or_b32 exec_lo, exec_lo, s19
	global_load_b128 v[14:17], v[50:51], off offset:1536
	s_wait_xcnt 0x0
	s_and_saveexec_b32 s19, vcc_lo
	s_cbranch_execz .LBB149_50
.LBB149_64:                             ;   in Loop: Header=BB149_45 Depth=1
	v_cmp_gt_i32_e64 s0, s29, v102
	s_wait_loadcnt 0x0
	v_dual_lshrrev_b32 v18, 16, v14 :: v_dual_lshrrev_b32 v20, 16, v16
	s_delay_alu instid0(VALU_DEP_2) | instskip(SKIP_1) | instid1(VALU_DEP_1)
	v_cndmask_b32_e64 v14, 0, v14, s0
	v_cmp_gt_i32_e64 s0, s16, v100
	v_dual_lshrrev_b32 v19, 16, v15 :: v_dual_cndmask_b32 v18, 0, v18, s0
	v_cmp_gt_i32_e64 s0, s29, v101
	s_delay_alu instid0(VALU_DEP_2) | instskip(NEXT) | instid1(VALU_DEP_2)
	v_perm_b32 v14, v18, v14, 0x5040100
	v_cndmask_b32_e64 v15, 0, v15, s0
	v_cmp_gt_i32_e64 s0, s16, v99
	s_delay_alu instid0(VALU_DEP_1) | instskip(SKIP_1) | instid1(VALU_DEP_1)
	v_cndmask_b32_e64 v19, 0, v19, s0
	v_cmp_gt_i32_e64 s0, s29, v98
	v_cndmask_b32_e64 v16, 0, v16, s0
	v_cmp_gt_i32_e64 s0, s16, v96
	v_lshrrev_b32_e32 v21, 16, v17
	v_perm_b32 v15, v19, v15, 0x5040100
	s_delay_alu instid0(VALU_DEP_3) | instskip(SKIP_1) | instid1(VALU_DEP_2)
	v_cndmask_b32_e64 v20, 0, v20, s0
	v_cmp_gt_i32_e64 s0, s29, v97
	v_perm_b32 v16, v20, v16, 0x5040100
	s_delay_alu instid0(VALU_DEP_2) | instskip(SKIP_1) | instid1(VALU_DEP_1)
	v_cndmask_b32_e64 v17, 0, v17, s0
	v_cmp_gt_i32_e64 s0, s16, v95
	v_cndmask_b32_e64 v21, 0, v21, s0
	s_delay_alu instid0(VALU_DEP_1)
	v_perm_b32 v17, v21, v17, 0x5040100
	s_or_b32 exec_lo, exec_lo, s19
	global_load_b128 v[18:21], v[50:51], off offset:2048
	s_wait_xcnt 0x0
	s_and_saveexec_b32 s19, vcc_lo
	s_cbranch_execz .LBB149_51
.LBB149_65:                             ;   in Loop: Header=BB149_45 Depth=1
	v_cmp_gt_i32_e64 s0, s29, v102
	s_wait_loadcnt 0x0
	v_dual_lshrrev_b32 v30, 16, v18 :: v_dual_lshrrev_b32 v32, 16, v20
	s_delay_alu instid0(VALU_DEP_2) | instskip(SKIP_1) | instid1(VALU_DEP_1)
	v_cndmask_b32_e64 v18, 0, v18, s0
	v_cmp_gt_i32_e64 s0, s16, v100
	v_dual_lshrrev_b32 v31, 16, v19 :: v_dual_cndmask_b32 v30, 0, v30, s0
	v_cmp_gt_i32_e64 s0, s29, v101
	s_delay_alu instid0(VALU_DEP_2) | instskip(NEXT) | instid1(VALU_DEP_2)
	v_perm_b32 v18, v30, v18, 0x5040100
	v_cndmask_b32_e64 v19, 0, v19, s0
	v_cmp_gt_i32_e64 s0, s16, v99
	s_delay_alu instid0(VALU_DEP_1) | instskip(SKIP_1) | instid1(VALU_DEP_1)
	v_cndmask_b32_e64 v31, 0, v31, s0
	v_cmp_gt_i32_e64 s0, s29, v98
	v_cndmask_b32_e64 v20, 0, v20, s0
	v_cmp_gt_i32_e64 s0, s16, v96
	v_lshrrev_b32_e32 v33, 16, v21
	v_perm_b32 v19, v31, v19, 0x5040100
	s_delay_alu instid0(VALU_DEP_3) | instskip(SKIP_1) | instid1(VALU_DEP_2)
	v_cndmask_b32_e64 v32, 0, v32, s0
	v_cmp_gt_i32_e64 s0, s29, v97
	v_perm_b32 v20, v32, v20, 0x5040100
	s_delay_alu instid0(VALU_DEP_2) | instskip(SKIP_1) | instid1(VALU_DEP_1)
	v_cndmask_b32_e64 v21, 0, v21, s0
	v_cmp_gt_i32_e64 s0, s16, v95
	v_cndmask_b32_e64 v33, 0, v33, s0
	s_delay_alu instid0(VALU_DEP_1)
	v_perm_b32 v21, v33, v21, 0x5040100
	s_or_b32 exec_lo, exec_lo, s19
	global_load_b128 v[30:33], v[50:51], off offset:2560
	s_wait_xcnt 0x0
	s_and_saveexec_b32 s19, vcc_lo
	s_cbranch_execz .LBB149_52
.LBB149_66:                             ;   in Loop: Header=BB149_45 Depth=1
	v_cmp_gt_i32_e64 s0, s29, v102
	s_wait_loadcnt 0x0
	v_dual_lshrrev_b32 v34, 16, v30 :: v_dual_lshrrev_b32 v36, 16, v32
	s_delay_alu instid0(VALU_DEP_2) | instskip(SKIP_1) | instid1(VALU_DEP_1)
	v_cndmask_b32_e64 v30, 0, v30, s0
	v_cmp_gt_i32_e64 s0, s16, v100
	v_dual_lshrrev_b32 v35, 16, v31 :: v_dual_cndmask_b32 v34, 0, v34, s0
	v_cmp_gt_i32_e64 s0, s29, v101
	s_delay_alu instid0(VALU_DEP_2) | instskip(NEXT) | instid1(VALU_DEP_2)
	v_perm_b32 v30, v34, v30, 0x5040100
	v_cndmask_b32_e64 v31, 0, v31, s0
	v_cmp_gt_i32_e64 s0, s16, v99
	s_delay_alu instid0(VALU_DEP_1) | instskip(SKIP_1) | instid1(VALU_DEP_1)
	v_cndmask_b32_e64 v35, 0, v35, s0
	v_cmp_gt_i32_e64 s0, s29, v98
	v_cndmask_b32_e64 v32, 0, v32, s0
	v_cmp_gt_i32_e64 s0, s16, v96
	v_lshrrev_b32_e32 v37, 16, v33
	v_perm_b32 v31, v35, v31, 0x5040100
	s_delay_alu instid0(VALU_DEP_3) | instskip(SKIP_1) | instid1(VALU_DEP_2)
	v_cndmask_b32_e64 v36, 0, v36, s0
	v_cmp_gt_i32_e64 s0, s29, v97
	v_perm_b32 v32, v36, v32, 0x5040100
	s_delay_alu instid0(VALU_DEP_2) | instskip(SKIP_1) | instid1(VALU_DEP_1)
	v_cndmask_b32_e64 v33, 0, v33, s0
	v_cmp_gt_i32_e64 s0, s16, v95
	v_cndmask_b32_e64 v37, 0, v37, s0
	s_delay_alu instid0(VALU_DEP_1)
	v_perm_b32 v33, v37, v33, 0x5040100
	s_or_b32 exec_lo, exec_lo, s19
	global_load_b128 v[34:37], v[50:51], off offset:3072
	s_wait_xcnt 0x0
	s_and_saveexec_b32 s19, vcc_lo
	s_cbranch_execz .LBB149_53
.LBB149_67:                             ;   in Loop: Header=BB149_45 Depth=1
	v_cmp_gt_i32_e64 s0, s29, v102
	s_wait_loadcnt 0x0
	v_dual_lshrrev_b32 v38, 16, v34 :: v_dual_lshrrev_b32 v40, 16, v36
	s_delay_alu instid0(VALU_DEP_2) | instskip(SKIP_1) | instid1(VALU_DEP_1)
	v_cndmask_b32_e64 v34, 0, v34, s0
	v_cmp_gt_i32_e64 s0, s16, v100
	v_dual_lshrrev_b32 v39, 16, v35 :: v_dual_cndmask_b32 v38, 0, v38, s0
	v_cmp_gt_i32_e64 s0, s29, v101
	s_delay_alu instid0(VALU_DEP_2) | instskip(NEXT) | instid1(VALU_DEP_2)
	v_perm_b32 v34, v38, v34, 0x5040100
	v_cndmask_b32_e64 v35, 0, v35, s0
	v_cmp_gt_i32_e64 s0, s16, v99
	s_delay_alu instid0(VALU_DEP_1) | instskip(SKIP_1) | instid1(VALU_DEP_1)
	v_cndmask_b32_e64 v39, 0, v39, s0
	v_cmp_gt_i32_e64 s0, s29, v98
	v_cndmask_b32_e64 v36, 0, v36, s0
	v_cmp_gt_i32_e64 s0, s16, v96
	v_lshrrev_b32_e32 v41, 16, v37
	v_perm_b32 v35, v39, v35, 0x5040100
	s_delay_alu instid0(VALU_DEP_3) | instskip(SKIP_1) | instid1(VALU_DEP_2)
	v_cndmask_b32_e64 v40, 0, v40, s0
	v_cmp_gt_i32_e64 s0, s29, v97
	v_perm_b32 v36, v40, v36, 0x5040100
	s_delay_alu instid0(VALU_DEP_2) | instskip(SKIP_1) | instid1(VALU_DEP_1)
	v_cndmask_b32_e64 v37, 0, v37, s0
	v_cmp_gt_i32_e64 s0, s16, v95
	v_cndmask_b32_e64 v41, 0, v41, s0
	s_delay_alu instid0(VALU_DEP_1)
	v_perm_b32 v37, v41, v37, 0x5040100
	s_or_b32 exec_lo, exec_lo, s19
	global_load_b128 v[38:41], v[50:51], off offset:3584
	s_wait_xcnt 0x0
	s_and_saveexec_b32 s19, vcc_lo
	s_cbranch_execz .LBB149_54
.LBB149_68:                             ;   in Loop: Header=BB149_45 Depth=1
	v_cmp_gt_i32_e64 s0, s29, v102
	s_wait_loadcnt 0x0
	v_dual_lshrrev_b32 v42, 16, v38 :: v_dual_lshrrev_b32 v44, 16, v40
	s_delay_alu instid0(VALU_DEP_2) | instskip(SKIP_1) | instid1(VALU_DEP_1)
	v_cndmask_b32_e64 v38, 0, v38, s0
	v_cmp_gt_i32_e64 s0, s16, v100
	v_dual_lshrrev_b32 v43, 16, v39 :: v_dual_cndmask_b32 v42, 0, v42, s0
	v_cmp_gt_i32_e64 s0, s29, v101
	s_delay_alu instid0(VALU_DEP_2) | instskip(NEXT) | instid1(VALU_DEP_2)
	v_perm_b32 v38, v42, v38, 0x5040100
	v_cndmask_b32_e64 v39, 0, v39, s0
	v_cmp_gt_i32_e64 s0, s16, v99
	s_delay_alu instid0(VALU_DEP_1) | instskip(SKIP_1) | instid1(VALU_DEP_1)
	v_cndmask_b32_e64 v43, 0, v43, s0
	v_cmp_gt_i32_e64 s0, s29, v98
	v_cndmask_b32_e64 v40, 0, v40, s0
	v_cmp_gt_i32_e64 s0, s16, v96
	v_lshrrev_b32_e32 v45, 16, v41
	v_perm_b32 v39, v43, v39, 0x5040100
	s_delay_alu instid0(VALU_DEP_3) | instskip(SKIP_1) | instid1(VALU_DEP_2)
	v_cndmask_b32_e64 v44, 0, v44, s0
	v_cmp_gt_i32_e64 s0, s29, v97
	v_perm_b32 v40, v44, v40, 0x5040100
	s_delay_alu instid0(VALU_DEP_2) | instskip(SKIP_1) | instid1(VALU_DEP_1)
	v_cndmask_b32_e64 v41, 0, v41, s0
	v_cmp_gt_i32_e64 s0, s16, v95
	v_cndmask_b32_e64 v45, 0, v45, s0
	s_delay_alu instid0(VALU_DEP_1)
	v_perm_b32 v41, v45, v41, 0x5040100
	s_or_b32 exec_lo, exec_lo, s19
	global_load_b128 v[42:45], v[50:51], off offset:4096
	s_wait_xcnt 0x0
	s_and_saveexec_b32 s19, vcc_lo
	s_cbranch_execz .LBB149_55
.LBB149_69:                             ;   in Loop: Header=BB149_45 Depth=1
	v_cmp_gt_i32_e64 s0, s29, v102
	s_wait_loadcnt 0x0
	v_dual_lshrrev_b32 v46, 16, v42 :: v_dual_lshrrev_b32 v48, 16, v44
	s_delay_alu instid0(VALU_DEP_2) | instskip(SKIP_1) | instid1(VALU_DEP_1)
	v_cndmask_b32_e64 v42, 0, v42, s0
	v_cmp_gt_i32_e64 s0, s16, v100
	v_dual_lshrrev_b32 v47, 16, v43 :: v_dual_cndmask_b32 v46, 0, v46, s0
	v_cmp_gt_i32_e64 s0, s29, v101
	s_delay_alu instid0(VALU_DEP_2) | instskip(NEXT) | instid1(VALU_DEP_2)
	v_perm_b32 v42, v46, v42, 0x5040100
	v_cndmask_b32_e64 v43, 0, v43, s0
	v_cmp_gt_i32_e64 s0, s16, v99
	s_delay_alu instid0(VALU_DEP_1) | instskip(SKIP_1) | instid1(VALU_DEP_1)
	v_cndmask_b32_e64 v47, 0, v47, s0
	v_cmp_gt_i32_e64 s0, s29, v98
	v_cndmask_b32_e64 v44, 0, v44, s0
	v_cmp_gt_i32_e64 s0, s16, v96
	v_lshrrev_b32_e32 v49, 16, v45
	v_perm_b32 v43, v47, v43, 0x5040100
	s_delay_alu instid0(VALU_DEP_3) | instskip(SKIP_1) | instid1(VALU_DEP_2)
	v_cndmask_b32_e64 v48, 0, v48, s0
	v_cmp_gt_i32_e64 s0, s29, v97
	v_perm_b32 v44, v48, v44, 0x5040100
	s_delay_alu instid0(VALU_DEP_2) | instskip(SKIP_1) | instid1(VALU_DEP_1)
	v_cndmask_b32_e64 v45, 0, v45, s0
	v_cmp_gt_i32_e64 s0, s16, v95
	v_cndmask_b32_e64 v49, 0, v49, s0
	s_delay_alu instid0(VALU_DEP_1)
	v_perm_b32 v45, v49, v45, 0x5040100
	s_or_b32 exec_lo, exec_lo, s19
	global_load_b128 v[46:49], v[50:51], off offset:4608
	s_wait_xcnt 0x0
	s_and_saveexec_b32 s19, vcc_lo
	s_cbranch_execz .LBB149_56
.LBB149_70:                             ;   in Loop: Header=BB149_45 Depth=1
	v_cmp_gt_i32_e64 s0, s29, v102
	s_wait_loadcnt 0x0
	s_delay_alu instid0(VALU_DEP_1) | instskip(SKIP_1) | instid1(VALU_DEP_1)
	v_dual_lshrrev_b32 v52, 16, v46 :: v_dual_cndmask_b32 v46, 0, v46, s0
	v_cmp_gt_i32_e64 s0, s16, v100
	v_dual_lshrrev_b32 v53, 16, v47 :: v_dual_cndmask_b32 v52, 0, v52, s0
	v_cmp_gt_i32_e64 s0, s29, v101
	s_delay_alu instid0(VALU_DEP_2) | instskip(NEXT) | instid1(VALU_DEP_2)
	v_perm_b32 v46, v52, v46, 0x5040100
	v_cndmask_b32_e64 v47, 0, v47, s0
	v_cmp_gt_i32_e64 s0, s16, v99
	s_delay_alu instid0(VALU_DEP_1) | instskip(SKIP_2) | instid1(VALU_DEP_3)
	v_cndmask_b32_e64 v53, 0, v53, s0
	v_cmp_gt_i32_e64 s0, s29, v98
	v_lshrrev_b32_e32 v54, 16, v48
	v_perm_b32 v47, v53, v47, 0x5040100
	s_delay_alu instid0(VALU_DEP_3) | instskip(SKIP_1) | instid1(VALU_DEP_1)
	v_cndmask_b32_e64 v48, 0, v48, s0
	v_cmp_gt_i32_e64 s0, s16, v96
	v_dual_lshrrev_b32 v55, 16, v49 :: v_dual_cndmask_b32 v54, 0, v54, s0
	v_cmp_gt_i32_e64 s0, s29, v97
	s_delay_alu instid0(VALU_DEP_2) | instskip(NEXT) | instid1(VALU_DEP_2)
	v_perm_b32 v48, v54, v48, 0x5040100
	v_cndmask_b32_e64 v49, 0, v49, s0
	v_cmp_gt_i32_e64 s0, s16, v95
	s_delay_alu instid0(VALU_DEP_1) | instskip(NEXT) | instid1(VALU_DEP_1)
	v_cndmask_b32_e64 v55, 0, v55, s0
	v_perm_b32 v49, v55, v49, 0x5040100
	s_or_b32 exec_lo, exec_lo, s19
	global_load_b128 v[54:57], v[50:51], off offset:5120
	s_wait_xcnt 0x0
	s_and_saveexec_b32 s19, vcc_lo
	s_cbranch_execz .LBB149_57
.LBB149_71:                             ;   in Loop: Header=BB149_45 Depth=1
	v_cmp_gt_i32_e64 s0, s29, v102
	s_wait_loadcnt 0x0
	s_delay_alu instid0(VALU_DEP_1) | instskip(SKIP_1) | instid1(VALU_DEP_1)
	v_dual_lshrrev_b32 v52, 16, v54 :: v_dual_cndmask_b32 v53, 0, v54, s0
	v_cmp_gt_i32_e64 s0, s16, v100
	v_dual_lshrrev_b32 v54, 16, v55 :: v_dual_cndmask_b32 v52, 0, v52, s0
	v_cmp_gt_i32_e64 s0, s29, v101
	s_delay_alu instid0(VALU_DEP_1) | instskip(SKIP_1) | instid1(VALU_DEP_1)
	v_cndmask_b32_e64 v55, 0, v55, s0
	v_cmp_gt_i32_e64 s0, s16, v99
	v_cndmask_b32_e64 v58, 0, v54, s0
	v_cmp_gt_i32_e64 s0, s29, v98
	v_lshrrev_b32_e32 v54, 16, v56
	s_delay_alu instid0(VALU_DEP_3) | instskip(NEXT) | instid1(VALU_DEP_3)
	v_perm_b32 v55, v58, v55, 0x5040100
	v_cndmask_b32_e64 v56, 0, v56, s0
	v_cmp_gt_i32_e64 s0, s16, v96
	s_delay_alu instid0(VALU_DEP_1) | instskip(SKIP_2) | instid1(VALU_DEP_3)
	v_dual_lshrrev_b32 v59, 16, v57 :: v_dual_cndmask_b32 v60, 0, v54, s0
	v_cmp_gt_i32_e64 s0, s29, v97
	v_perm_b32 v54, v52, v53, 0x5040100
	v_perm_b32 v56, v60, v56, 0x5040100
	s_delay_alu instid0(VALU_DEP_3) | instskip(SKIP_1) | instid1(VALU_DEP_1)
	v_cndmask_b32_e64 v57, 0, v57, s0
	v_cmp_gt_i32_e64 s0, s16, v95
	v_cndmask_b32_e64 v59, 0, v59, s0
	s_delay_alu instid0(VALU_DEP_1)
	v_perm_b32 v57, v59, v57, 0x5040100
	s_or_b32 exec_lo, exec_lo, s19
	global_load_b128 v[58:61], v[50:51], off offset:5632
	s_wait_xcnt 0x0
	s_and_saveexec_b32 s19, vcc_lo
	s_cbranch_execz .LBB149_58
.LBB149_72:                             ;   in Loop: Header=BB149_45 Depth=1
	v_cmp_gt_i32_e64 s0, s29, v102
	s_wait_loadcnt 0x0
	s_delay_alu instid0(VALU_DEP_1) | instskip(SKIP_1) | instid1(VALU_DEP_1)
	v_dual_lshrrev_b32 v52, 16, v58 :: v_dual_cndmask_b32 v53, 0, v58, s0
	v_cmp_gt_i32_e64 s0, s16, v100
	v_dual_lshrrev_b32 v58, 16, v59 :: v_dual_cndmask_b32 v52, 0, v52, s0
	v_cmp_gt_i32_e64 s0, s29, v101
	s_delay_alu instid0(VALU_DEP_1) | instskip(SKIP_1) | instid1(VALU_DEP_1)
	v_cndmask_b32_e64 v59, 0, v59, s0
	v_cmp_gt_i32_e64 s0, s16, v99
	v_cndmask_b32_e64 v62, 0, v58, s0
	v_cmp_gt_i32_e64 s0, s29, v98
	v_lshrrev_b32_e32 v58, 16, v60
	s_delay_alu instid0(VALU_DEP_3) | instskip(NEXT) | instid1(VALU_DEP_3)
	v_perm_b32 v59, v62, v59, 0x5040100
	v_cndmask_b32_e64 v60, 0, v60, s0
	v_cmp_gt_i32_e64 s0, s16, v96
	s_delay_alu instid0(VALU_DEP_1) | instskip(SKIP_2) | instid1(VALU_DEP_3)
	v_dual_lshrrev_b32 v63, 16, v61 :: v_dual_cndmask_b32 v64, 0, v58, s0
	v_cmp_gt_i32_e64 s0, s29, v97
	v_perm_b32 v58, v52, v53, 0x5040100
	v_perm_b32 v60, v64, v60, 0x5040100
	s_delay_alu instid0(VALU_DEP_3) | instskip(SKIP_1) | instid1(VALU_DEP_1)
	v_cndmask_b32_e64 v61, 0, v61, s0
	v_cmp_gt_i32_e64 s0, s16, v95
	v_cndmask_b32_e64 v63, 0, v63, s0
	s_delay_alu instid0(VALU_DEP_1)
	v_perm_b32 v61, v63, v61, 0x5040100
	s_or_b32 exec_lo, exec_lo, s19
	global_load_b128 v[62:65], v[50:51], off offset:6144
	s_wait_xcnt 0x0
	s_and_saveexec_b32 s19, vcc_lo
	s_cbranch_execz .LBB149_59
.LBB149_73:                             ;   in Loop: Header=BB149_45 Depth=1
	v_cmp_gt_i32_e64 s0, s29, v102
	s_wait_loadcnt 0x0
	s_delay_alu instid0(VALU_DEP_1) | instskip(SKIP_1) | instid1(VALU_DEP_1)
	v_dual_lshrrev_b32 v52, 16, v62 :: v_dual_cndmask_b32 v53, 0, v62, s0
	v_cmp_gt_i32_e64 s0, s16, v100
	v_dual_lshrrev_b32 v62, 16, v63 :: v_dual_cndmask_b32 v52, 0, v52, s0
	v_cmp_gt_i32_e64 s0, s29, v101
	s_delay_alu instid0(VALU_DEP_1) | instskip(SKIP_1) | instid1(VALU_DEP_1)
	v_cndmask_b32_e64 v63, 0, v63, s0
	v_cmp_gt_i32_e64 s0, s16, v99
	v_cndmask_b32_e64 v66, 0, v62, s0
	v_cmp_gt_i32_e64 s0, s29, v98
	v_lshrrev_b32_e32 v62, 16, v64
	s_delay_alu instid0(VALU_DEP_3) | instskip(NEXT) | instid1(VALU_DEP_3)
	v_perm_b32 v63, v66, v63, 0x5040100
	v_cndmask_b32_e64 v64, 0, v64, s0
	v_cmp_gt_i32_e64 s0, s16, v96
	s_delay_alu instid0(VALU_DEP_1) | instskip(SKIP_2) | instid1(VALU_DEP_3)
	v_dual_lshrrev_b32 v67, 16, v65 :: v_dual_cndmask_b32 v68, 0, v62, s0
	v_cmp_gt_i32_e64 s0, s29, v97
	v_perm_b32 v62, v52, v53, 0x5040100
	v_perm_b32 v64, v68, v64, 0x5040100
	s_delay_alu instid0(VALU_DEP_3) | instskip(SKIP_1) | instid1(VALU_DEP_1)
	v_cndmask_b32_e64 v65, 0, v65, s0
	v_cmp_gt_i32_e64 s0, s16, v95
	v_cndmask_b32_e64 v67, 0, v67, s0
	s_delay_alu instid0(VALU_DEP_1)
	v_perm_b32 v65, v67, v65, 0x5040100
	s_or_b32 exec_lo, exec_lo, s19
	global_load_b128 v[66:69], v[50:51], off offset:6656
	s_wait_xcnt 0x0
	s_and_saveexec_b32 s19, vcc_lo
	s_cbranch_execz .LBB149_60
.LBB149_74:                             ;   in Loop: Header=BB149_45 Depth=1
	v_cmp_gt_i32_e64 s0, s29, v102
	s_wait_loadcnt 0x0
	s_delay_alu instid0(VALU_DEP_1) | instskip(SKIP_1) | instid1(VALU_DEP_1)
	v_dual_lshrrev_b32 v52, 16, v66 :: v_dual_cndmask_b32 v53, 0, v66, s0
	v_cmp_gt_i32_e64 s0, s16, v100
	v_dual_lshrrev_b32 v66, 16, v67 :: v_dual_cndmask_b32 v52, 0, v52, s0
	v_cmp_gt_i32_e64 s0, s29, v101
	s_delay_alu instid0(VALU_DEP_1) | instskip(SKIP_1) | instid1(VALU_DEP_1)
	v_cndmask_b32_e64 v67, 0, v67, s0
	v_cmp_gt_i32_e64 s0, s16, v99
	v_cndmask_b32_e64 v103, 0, v66, s0
	v_cmp_gt_i32_e64 s0, s29, v98
	v_lshrrev_b32_e32 v66, 16, v68
	s_delay_alu instid0(VALU_DEP_3) | instskip(NEXT) | instid1(VALU_DEP_3)
	v_perm_b32 v67, v103, v67, 0x5040100
	v_cndmask_b32_e64 v68, 0, v68, s0
	v_cmp_gt_i32_e64 s0, s16, v96
	s_delay_alu instid0(VALU_DEP_1) | instskip(SKIP_2) | instid1(VALU_DEP_3)
	v_dual_lshrrev_b32 v104, 16, v69 :: v_dual_cndmask_b32 v105, 0, v66, s0
	v_cmp_gt_i32_e64 s0, s29, v97
	v_perm_b32 v66, v52, v53, 0x5040100
	v_perm_b32 v68, v105, v68, 0x5040100
	s_delay_alu instid0(VALU_DEP_3) | instskip(SKIP_1) | instid1(VALU_DEP_1)
	v_cndmask_b32_e64 v69, 0, v69, s0
	v_cmp_gt_i32_e64 s0, s16, v95
	v_cndmask_b32_e64 v104, 0, v104, s0
	s_delay_alu instid0(VALU_DEP_1)
	v_perm_b32 v69, v104, v69, 0x5040100
	s_or_b32 exec_lo, exec_lo, s19
	global_load_b128 v[50:53], v[50:51], off offset:7168
	s_wait_xcnt 0x0
	s_and_saveexec_b32 s0, vcc_lo
	s_cbranch_execz .LBB149_43
.LBB149_75:                             ;   in Loop: Header=BB149_45 Depth=1
	v_cmp_gt_i32_e32 vcc_lo, s29, v102
	s_wait_loadcnt 0x0
	v_dual_cndmask_b32 v50, 0, v50 :: v_dual_lshrrev_b32 v103, 16, v50
	v_cmp_gt_i32_e32 vcc_lo, s16, v100
	s_delay_alu instid0(VALU_DEP_2) | instskip(SKIP_3) | instid1(VALU_DEP_2)
	v_cndmask_b32_e32 v100, 0, v103, vcc_lo
	v_cmp_gt_i32_e32 vcc_lo, s29, v101
	v_dual_cndmask_b32 v51, 0, v51 :: v_dual_lshrrev_b32 v102, 16, v51
	v_cmp_gt_i32_e32 vcc_lo, s16, v99
	v_cndmask_b32_e32 v99, 0, v102, vcc_lo
	v_cmp_gt_i32_e32 vcc_lo, s29, v98
	v_lshrrev_b32_e32 v101, 16, v52
	v_perm_b32 v50, v100, v50, 0x5040100
	s_delay_alu instid0(VALU_DEP_4)
	v_perm_b32 v51, v99, v51, 0x5040100
	v_cndmask_b32_e32 v52, 0, v52, vcc_lo
	v_cmp_gt_i32_e32 vcc_lo, s16, v96
	v_cndmask_b32_e32 v96, 0, v101, vcc_lo
	v_cmp_gt_i32_e32 vcc_lo, s29, v97
	v_dual_cndmask_b32 v53, 0, v53 :: v_dual_lshrrev_b32 v98, 16, v53
	v_cmp_gt_i32_e32 vcc_lo, s16, v95
	s_delay_alu instid0(VALU_DEP_2) | instskip(SKIP_1) | instid1(VALU_DEP_2)
	v_cndmask_b32_e32 v95, 0, v98, vcc_lo
	v_perm_b32 v52, v96, v52, 0x5040100
	v_perm_b32 v53, v95, v53, 0x5040100
	s_branch .LBB149_43
.LBB149_76:
	s_or_b32 exec_lo, exec_lo, s17
.LBB149_77:
	s_delay_alu instid0(SALU_CYCLE_1)
	s_or_b32 exec_lo, exec_lo, s1
	ds_bpermute_b32 v2, v89, v82
	ds_bpermute_b32 v3, v89, v83
	;; [unrolled: 1-line block ×15, first 2 shown]
	s_mov_b32 s0, exec_lo
	s_wait_dscnt 0xd
	v_pk_add_f32 v[2:3], v[82:83], v[2:3]
	s_wait_dscnt 0xb
	v_pk_add_f32 v[6:7], v[78:79], v[6:7]
	;; [unrolled: 2-line block ×3, first 2 shown]
	ds_bpermute_b32 v8, v88, v2
	ds_bpermute_b32 v9, v88, v3
	ds_bpermute_b32 v18, v88, v6
	ds_bpermute_b32 v19, v88, v7
	ds_bpermute_b32 v20, v88, v16
	ds_bpermute_b32 v21, v88, v17
	s_wait_dscnt 0xd
	v_pk_add_f32 v[22:23], v[74:75], v[12:13]
	s_wait_dscnt 0xb
	v_pk_add_f32 v[4:5], v[80:81], v[4:5]
	;; [unrolled: 2-line block ×4, first 2 shown]
	s_wait_dscnt 0x6
	v_add_f32_e32 v14, v91, v32
	ds_bpermute_b32 v28, v88, v22
	ds_bpermute_b32 v10, v88, v4
	;; [unrolled: 1-line block ×9, first 2 shown]
	v_and_b32_e32 v32, 0x3c3, v106
	s_wait_dscnt 0xd
	v_pk_add_f32 v[12:13], v[2:3], v[8:9]
	s_wait_dscnt 0xb
	v_pk_add_f32 v[8:9], v[6:7], v[18:19]
	;; [unrolled: 2-line block ×3, first 2 shown]
	scratch_load_b32 v16, off, off          ; 4-byte Folded Reload
	s_wait_loadcnt_dscnt 0x0
	s_barrier_signal -1
	s_barrier_wait -1
	v_pk_add_f32 v[10:11], v[4:5], v[10:11]
	v_pk_add_f32 v[4:5], v[0:1], v[26:27]
	v_pk_add_f32 v[2:3], v[22:23], v[28:29]
	v_pk_add_f32 v[0:1], v[24:25], v[30:31]
	v_and_b32_e32 v16, 28, v16
	v_cmpx_ne_u32_e32 64, v32
	s_xor_b32 s0, exec_lo, s0
	s_delay_alu instid0(SALU_CYCLE_1)
	s_or_saveexec_b32 s0, s0
	v_add_f32_e32 v14, v14, v15
	scratch_load_b32 v15, off, off th:TH_LOAD_LU ; 4-byte Folded Reload
	v_add_nc_u32_e32 v16, 0x110, v16
	v_mul_u32_u24_e32 v17, 0x1e0, v107
	s_wait_loadcnt 0x0
	v_lshrrev_b32_e32 v15, 2, v15
	s_xor_b32 exec_lo, exec_lo, s0
	s_cbranch_execz .LBB149_79
; %bb.78:
	v_add_nc_u32_e32 v18, v16, v17
	s_delay_alu instid0(VALU_DEP_1)
	v_add_nc_u32_e32 v19, 0xfffffc40, v18
	v_add_nc_u32_e32 v20, 0xfffffc60, v18
	;; [unrolled: 1-line block ×8, first 2 shown]
	ds_store_b32 v19, v12
	ds_store_b32 v20, v13
	;; [unrolled: 1-line block ×8, first 2 shown]
	v_add_nc_u32_e32 v19, 0xfffffd40, v18
	v_add_nc_u32_e32 v20, 0xfffffd60, v18
	;; [unrolled: 1-line block ×7, first 2 shown]
	ds_store_b32 v19, v4
	ds_store_b32 v20, v5
	;; [unrolled: 1-line block ×7, first 2 shown]
.LBB149_79:
	s_or_b32 exec_lo, exec_lo, s0
	s_delay_alu instid0(VALU_DEP_1)
	v_lshlrev_b32_e32 v15, 2, v15
	s_mov_b32 s1, exec_lo
	v_cmp_eq_u32_e32 vcc_lo, 0, v90
	s_wait_dscnt 0x0
	s_barrier_signal -1
	v_add3_u32 v15, 0x110, v17, v15
	s_barrier_wait -1
	v_cmpx_gt_u32_e32 64, v106
	s_cbranch_execz .LBB149_97
; %bb.80:
	s_and_saveexec_b32 s0, vcc_lo
	s_cbranch_execnz .LBB149_120
; %bb.81:
	s_or_b32 exec_lo, exec_lo, s0
	s_and_saveexec_b32 s0, vcc_lo
	s_cbranch_execnz .LBB149_121
.LBB149_82:
	s_or_b32 exec_lo, exec_lo, s0
	s_and_saveexec_b32 s0, vcc_lo
	s_cbranch_execnz .LBB149_122
.LBB149_83:
	s_or_b32 exec_lo, exec_lo, s0
	s_and_saveexec_b32 s0, vcc_lo
	s_cbranch_execnz .LBB149_123
.LBB149_84:
	s_or_b32 exec_lo, exec_lo, s0
	s_and_saveexec_b32 s0, vcc_lo
	s_cbranch_execnz .LBB149_124
.LBB149_85:
	s_or_b32 exec_lo, exec_lo, s0
	s_and_saveexec_b32 s0, vcc_lo
	s_cbranch_execnz .LBB149_125
.LBB149_86:
	s_or_b32 exec_lo, exec_lo, s0
	s_and_saveexec_b32 s0, vcc_lo
	s_cbranch_execnz .LBB149_126
.LBB149_87:
	s_or_b32 exec_lo, exec_lo, s0
	s_and_saveexec_b32 s0, vcc_lo
	s_cbranch_execnz .LBB149_127
.LBB149_88:
	s_or_b32 exec_lo, exec_lo, s0
	s_and_saveexec_b32 s0, vcc_lo
	s_cbranch_execnz .LBB149_128
.LBB149_89:
	s_or_b32 exec_lo, exec_lo, s0
	s_and_saveexec_b32 s0, vcc_lo
	s_cbranch_execnz .LBB149_129
.LBB149_90:
	s_or_b32 exec_lo, exec_lo, s0
	s_and_saveexec_b32 s0, vcc_lo
	s_cbranch_execnz .LBB149_130
.LBB149_91:
	s_or_b32 exec_lo, exec_lo, s0
	s_and_saveexec_b32 s0, vcc_lo
	s_cbranch_execnz .LBB149_131
.LBB149_92:
	s_or_b32 exec_lo, exec_lo, s0
	s_and_saveexec_b32 s0, vcc_lo
	s_cbranch_execnz .LBB149_132
.LBB149_93:
	s_or_b32 exec_lo, exec_lo, s0
	s_and_saveexec_b32 s0, vcc_lo
	s_cbranch_execnz .LBB149_133
.LBB149_94:
	s_or_b32 exec_lo, exec_lo, s0
	s_and_saveexec_b32 s0, vcc_lo
	s_cbranch_execz .LBB149_96
.LBB149_95:
	ds_load_b32 v17, v15 offset:448
	s_wait_dscnt 0x0
	v_add_f32_e32 v14, v14, v17
.LBB149_96:
	s_or_b32 exec_lo, exec_lo, s0
.LBB149_97:
	s_delay_alu instid0(SALU_CYCLE_1) | instskip(SKIP_4) | instid1(VALU_DEP_1)
	s_or_b32 exec_lo, exec_lo, s1
	v_and_b32_e32 v17, 0x3e3, v106
	s_mov_b32 s1, exec_lo
	s_barrier_signal -1
	s_barrier_wait -1
	v_cmpx_eq_u32_e32 32, v17
	s_cbranch_execz .LBB149_99
; %bb.98:
	ds_store_2addr_b32 v16, v12, v13 offset1:8
	ds_store_2addr_b32 v16, v10, v11 offset0:16 offset1:24
	ds_store_2addr_b32 v16, v8, v9 offset0:32 offset1:40
	;; [unrolled: 1-line block ×6, first 2 shown]
	ds_store_b32 v16, v14 offset:448
.LBB149_99:
	s_or_b32 exec_lo, exec_lo, s1
	s_delay_alu instid0(SALU_CYCLE_1)
	s_mov_b32 s1, exec_lo
	s_wait_dscnt 0x0
	s_barrier_signal -1
	s_barrier_wait -1
	v_cmpx_gt_u32_e32 32, v106
	s_cbranch_execz .LBB149_117
; %bb.100:
	s_and_saveexec_b32 s0, vcc_lo
	s_cbranch_execnz .LBB149_134
; %bb.101:
	s_or_b32 exec_lo, exec_lo, s0
	s_and_saveexec_b32 s0, vcc_lo
	s_cbranch_execnz .LBB149_135
.LBB149_102:
	s_or_b32 exec_lo, exec_lo, s0
	s_and_saveexec_b32 s0, vcc_lo
	s_cbranch_execnz .LBB149_136
.LBB149_103:
	s_or_b32 exec_lo, exec_lo, s0
	s_and_saveexec_b32 s0, vcc_lo
	s_cbranch_execnz .LBB149_137
.LBB149_104:
	s_or_b32 exec_lo, exec_lo, s0
	s_and_saveexec_b32 s0, vcc_lo
	s_cbranch_execnz .LBB149_138
.LBB149_105:
	s_or_b32 exec_lo, exec_lo, s0
	s_and_saveexec_b32 s0, vcc_lo
	s_cbranch_execnz .LBB149_139
.LBB149_106:
	s_or_b32 exec_lo, exec_lo, s0
	s_and_saveexec_b32 s0, vcc_lo
	s_cbranch_execnz .LBB149_140
.LBB149_107:
	s_or_b32 exec_lo, exec_lo, s0
	s_and_saveexec_b32 s0, vcc_lo
	s_cbranch_execnz .LBB149_141
.LBB149_108:
	s_or_b32 exec_lo, exec_lo, s0
	s_and_saveexec_b32 s0, vcc_lo
	s_cbranch_execnz .LBB149_142
.LBB149_109:
	s_or_b32 exec_lo, exec_lo, s0
	s_and_saveexec_b32 s0, vcc_lo
	s_cbranch_execnz .LBB149_143
.LBB149_110:
	s_or_b32 exec_lo, exec_lo, s0
	s_and_saveexec_b32 s0, vcc_lo
	s_cbranch_execnz .LBB149_144
.LBB149_111:
	s_or_b32 exec_lo, exec_lo, s0
	s_and_saveexec_b32 s0, vcc_lo
	s_cbranch_execnz .LBB149_145
.LBB149_112:
	s_or_b32 exec_lo, exec_lo, s0
	s_and_saveexec_b32 s0, vcc_lo
	s_cbranch_execnz .LBB149_146
.LBB149_113:
	s_or_b32 exec_lo, exec_lo, s0
	s_and_saveexec_b32 s0, vcc_lo
	s_cbranch_execnz .LBB149_147
.LBB149_114:
	s_or_b32 exec_lo, exec_lo, s0
	s_and_saveexec_b32 s0, vcc_lo
	s_cbranch_execz .LBB149_116
.LBB149_115:
	ds_load_b32 v15, v15 offset:448
	s_wait_dscnt 0x0
	v_add_f32_e32 v14, v14, v15
.LBB149_116:
	s_or_b32 exec_lo, exec_lo, s0
.LBB149_117:
	s_delay_alu instid0(SALU_CYCLE_1)
	s_or_b32 exec_lo, exec_lo, s1
	s_mov_b32 s1, 0
	s_barrier_signal -1
	s_barrier_wait -1
	s_mov_b32 s0, exec_lo
	v_cmpx_eq_u32_e32 0, v17
	s_cbranch_execz .LBB149_119
; %bb.118:
	s_mul_i32 s0, s28, s7
	s_mul_i32 s2, s7, s12
	;; [unrolled: 1-line block ×3, first 2 shown]
	s_lshr_b32 s6, ttmp7, 16
	s_mul_i32 s4, s0, 0x78
	s_bfe_u32 s0, ttmp6, 0x40014
	s_ashr_i32 s5, s4, 31
	s_add_co_i32 s0, s0, 1
	s_ashr_i32 s3, s2, 31
	s_mul_i32 s0, s6, s0
	s_bfe_u32 s7, ttmp6, 0x40008
	s_lshl_b64 s[4:5], s[4:5], 1
	s_lshl_b64 s[2:3], s[2:3], 1
	s_add_co_i32 s7, s7, s0
	s_cmp_eq_u32 s26, 0
	s_wait_kmcnt 0x0
	s_add_nc_u64 s[4:5], s[10:11], s[4:5]
	s_cselect_b32 s0, s6, s7
	s_add_nc_u64 s[2:3], s[4:5], s[2:3]
	s_mulk_i32 s0, 0xf0
	v_lshrrev_b32_e32 v15, 1, v106
	s_add_nc_u64 s[0:1], s[2:3], s[0:1]
	s_delay_alu instid0(SALU_CYCLE_1)
	v_cvt_pk_bf16_f32 v12, v12, s0
	v_cvt_pk_bf16_f32 v4, v4, s0
	;; [unrolled: 1-line block ×13, first 2 shown]
	s_clause 0x7
	global_store_b16 v15, v12, s[0:1]
	global_store_b16 v15, v13, s[0:1] offset:16
	global_store_b16 v15, v10, s[0:1] offset:32
	;; [unrolled: 1-line block ×7, first 2 shown]
	v_cvt_pk_bf16_f32 v1, v1, s0
	s_wait_xcnt 0x1
	v_cvt_pk_bf16_f32 v6, v14, s0
	s_clause 0x6
	global_store_b16 v15, v4, s[0:1] offset:128
	global_store_b16 v15, v5, s[0:1] offset:144
	;; [unrolled: 1-line block ×7, first 2 shown]
.LBB149_119:
	s_sendmsg sendmsg(MSG_DEALLOC_VGPRS)
	s_endpgm
.LBB149_120:
	ds_load_b32 v17, v15
	s_wait_dscnt 0x0
	v_add_f32_e32 v12, v12, v17
	s_or_b32 exec_lo, exec_lo, s0
	s_and_saveexec_b32 s0, vcc_lo
	s_cbranch_execz .LBB149_82
.LBB149_121:
	ds_load_b32 v17, v15 offset:32
	s_wait_dscnt 0x0
	v_add_f32_e32 v13, v13, v17
	s_or_b32 exec_lo, exec_lo, s0
	s_and_saveexec_b32 s0, vcc_lo
	s_cbranch_execz .LBB149_83
.LBB149_122:
	ds_load_b32 v17, v15 offset:64
	s_wait_dscnt 0x0
	v_add_f32_e32 v10, v10, v17
	s_or_b32 exec_lo, exec_lo, s0
	s_and_saveexec_b32 s0, vcc_lo
	s_cbranch_execz .LBB149_84
.LBB149_123:
	ds_load_b32 v17, v15 offset:96
	s_wait_dscnt 0x0
	v_add_f32_e32 v11, v11, v17
	s_or_b32 exec_lo, exec_lo, s0
	s_and_saveexec_b32 s0, vcc_lo
	s_cbranch_execz .LBB149_85
.LBB149_124:
	ds_load_b32 v17, v15 offset:128
	s_wait_dscnt 0x0
	v_add_f32_e32 v8, v8, v17
	s_or_b32 exec_lo, exec_lo, s0
	s_and_saveexec_b32 s0, vcc_lo
	s_cbranch_execz .LBB149_86
.LBB149_125:
	ds_load_b32 v17, v15 offset:160
	s_wait_dscnt 0x0
	v_add_f32_e32 v9, v9, v17
	s_or_b32 exec_lo, exec_lo, s0
	s_and_saveexec_b32 s0, vcc_lo
	s_cbranch_execz .LBB149_87
.LBB149_126:
	ds_load_b32 v17, v15 offset:192
	s_wait_dscnt 0x0
	v_add_f32_e32 v6, v6, v17
	s_or_b32 exec_lo, exec_lo, s0
	s_and_saveexec_b32 s0, vcc_lo
	s_cbranch_execz .LBB149_88
.LBB149_127:
	ds_load_b32 v17, v15 offset:224
	s_wait_dscnt 0x0
	v_add_f32_e32 v7, v7, v17
	s_or_b32 exec_lo, exec_lo, s0
	s_and_saveexec_b32 s0, vcc_lo
	s_cbranch_execz .LBB149_89
.LBB149_128:
	ds_load_b32 v17, v15 offset:256
	s_wait_dscnt 0x0
	v_add_f32_e32 v4, v4, v17
	s_or_b32 exec_lo, exec_lo, s0
	s_and_saveexec_b32 s0, vcc_lo
	s_cbranch_execz .LBB149_90
.LBB149_129:
	ds_load_b32 v17, v15 offset:288
	s_wait_dscnt 0x0
	v_add_f32_e32 v5, v5, v17
	s_or_b32 exec_lo, exec_lo, s0
	s_and_saveexec_b32 s0, vcc_lo
	s_cbranch_execz .LBB149_91
.LBB149_130:
	ds_load_b32 v17, v15 offset:320
	s_wait_dscnt 0x0
	v_add_f32_e32 v2, v2, v17
	s_or_b32 exec_lo, exec_lo, s0
	s_and_saveexec_b32 s0, vcc_lo
	s_cbranch_execz .LBB149_92
.LBB149_131:
	ds_load_b32 v17, v15 offset:352
	s_wait_dscnt 0x0
	v_add_f32_e32 v3, v3, v17
	s_or_b32 exec_lo, exec_lo, s0
	s_and_saveexec_b32 s0, vcc_lo
	s_cbranch_execz .LBB149_93
.LBB149_132:
	ds_load_b32 v17, v15 offset:384
	s_wait_dscnt 0x0
	v_add_f32_e32 v0, v0, v17
	s_or_b32 exec_lo, exec_lo, s0
	s_and_saveexec_b32 s0, vcc_lo
	s_cbranch_execz .LBB149_94
.LBB149_133:
	ds_load_b32 v17, v15 offset:416
	s_wait_dscnt 0x0
	v_add_f32_e32 v1, v1, v17
	s_or_b32 exec_lo, exec_lo, s0
	s_and_saveexec_b32 s0, vcc_lo
	s_cbranch_execnz .LBB149_95
	s_branch .LBB149_96
.LBB149_134:
	ds_load_b32 v16, v15
	s_wait_dscnt 0x0
	v_add_f32_e32 v12, v12, v16
	s_or_b32 exec_lo, exec_lo, s0
	s_and_saveexec_b32 s0, vcc_lo
	s_cbranch_execz .LBB149_102
.LBB149_135:
	ds_load_b32 v16, v15 offset:32
	s_wait_dscnt 0x0
	v_add_f32_e32 v13, v13, v16
	s_or_b32 exec_lo, exec_lo, s0
	s_and_saveexec_b32 s0, vcc_lo
	s_cbranch_execz .LBB149_103
.LBB149_136:
	ds_load_b32 v16, v15 offset:64
	s_wait_dscnt 0x0
	v_add_f32_e32 v10, v10, v16
	s_or_b32 exec_lo, exec_lo, s0
	s_and_saveexec_b32 s0, vcc_lo
	s_cbranch_execz .LBB149_104
.LBB149_137:
	ds_load_b32 v16, v15 offset:96
	s_wait_dscnt 0x0
	v_add_f32_e32 v11, v11, v16
	s_or_b32 exec_lo, exec_lo, s0
	s_and_saveexec_b32 s0, vcc_lo
	s_cbranch_execz .LBB149_105
.LBB149_138:
	ds_load_b32 v16, v15 offset:128
	s_wait_dscnt 0x0
	v_add_f32_e32 v8, v8, v16
	s_or_b32 exec_lo, exec_lo, s0
	s_and_saveexec_b32 s0, vcc_lo
	s_cbranch_execz .LBB149_106
.LBB149_139:
	ds_load_b32 v16, v15 offset:160
	s_wait_dscnt 0x0
	v_add_f32_e32 v9, v9, v16
	s_or_b32 exec_lo, exec_lo, s0
	s_and_saveexec_b32 s0, vcc_lo
	s_cbranch_execz .LBB149_107
.LBB149_140:
	ds_load_b32 v16, v15 offset:192
	s_wait_dscnt 0x0
	v_add_f32_e32 v6, v6, v16
	s_or_b32 exec_lo, exec_lo, s0
	s_and_saveexec_b32 s0, vcc_lo
	s_cbranch_execz .LBB149_108
.LBB149_141:
	ds_load_b32 v16, v15 offset:224
	s_wait_dscnt 0x0
	v_add_f32_e32 v7, v7, v16
	s_or_b32 exec_lo, exec_lo, s0
	s_and_saveexec_b32 s0, vcc_lo
	s_cbranch_execz .LBB149_109
.LBB149_142:
	ds_load_b32 v16, v15 offset:256
	s_wait_dscnt 0x0
	v_add_f32_e32 v4, v4, v16
	s_or_b32 exec_lo, exec_lo, s0
	s_and_saveexec_b32 s0, vcc_lo
	s_cbranch_execz .LBB149_110
.LBB149_143:
	ds_load_b32 v16, v15 offset:288
	s_wait_dscnt 0x0
	v_add_f32_e32 v5, v5, v16
	s_or_b32 exec_lo, exec_lo, s0
	s_and_saveexec_b32 s0, vcc_lo
	s_cbranch_execz .LBB149_111
.LBB149_144:
	ds_load_b32 v16, v15 offset:320
	s_wait_dscnt 0x0
	v_add_f32_e32 v2, v2, v16
	s_or_b32 exec_lo, exec_lo, s0
	s_and_saveexec_b32 s0, vcc_lo
	s_cbranch_execz .LBB149_112
.LBB149_145:
	ds_load_b32 v16, v15 offset:352
	s_wait_dscnt 0x0
	v_add_f32_e32 v3, v3, v16
	s_or_b32 exec_lo, exec_lo, s0
	s_and_saveexec_b32 s0, vcc_lo
	s_cbranch_execz .LBB149_113
.LBB149_146:
	ds_load_b32 v16, v15 offset:384
	s_wait_dscnt 0x0
	v_add_f32_e32 v0, v0, v16
	s_or_b32 exec_lo, exec_lo, s0
	s_and_saveexec_b32 s0, vcc_lo
	s_cbranch_execz .LBB149_114
.LBB149_147:
	ds_load_b32 v16, v15 offset:416
	s_wait_dscnt 0x0
	v_add_f32_e32 v1, v1, v16
	s_or_b32 exec_lo, exec_lo, s0
	s_and_saveexec_b32 s0, vcc_lo
	s_cbranch_execnz .LBB149_115
	s_branch .LBB149_116
	.section	.rodata,"a",@progbits
	.p2align	6, 0x0
	.amdhsa_kernel _ZN4vllm25paged_attention_v1_kernelI14__hip_bfloat16S1_Li120ELi32ELi128ELNS_18Fp8KVCacheDataTypeE0ELb1EEEvPT_PKS3_PKT0_S9_ifPKiSB_iPKfiiiSD_SD_iiiii
		.amdhsa_group_segment_fixed_size 272
		.amdhsa_private_segment_fixed_size 308
		.amdhsa_kernarg_size 384
		.amdhsa_user_sgpr_count 2
		.amdhsa_user_sgpr_dispatch_ptr 0
		.amdhsa_user_sgpr_queue_ptr 0
		.amdhsa_user_sgpr_kernarg_segment_ptr 1
		.amdhsa_user_sgpr_dispatch_id 0
		.amdhsa_user_sgpr_kernarg_preload_length 0
		.amdhsa_user_sgpr_kernarg_preload_offset 0
		.amdhsa_user_sgpr_private_segment_size 0
		.amdhsa_wavefront_size32 1
		.amdhsa_uses_dynamic_stack 0
		.amdhsa_enable_private_segment 1
		.amdhsa_system_sgpr_workgroup_id_x 1
		.amdhsa_system_sgpr_workgroup_id_y 1
		.amdhsa_system_sgpr_workgroup_id_z 1
		.amdhsa_system_sgpr_workgroup_info 0
		.amdhsa_system_vgpr_workitem_id 0
		.amdhsa_next_free_vgpr 128
		.amdhsa_next_free_sgpr 38
		.amdhsa_named_barrier_count 0
		.amdhsa_reserve_vcc 1
		.amdhsa_float_round_mode_32 0
		.amdhsa_float_round_mode_16_64 0
		.amdhsa_float_denorm_mode_32 3
		.amdhsa_float_denorm_mode_16_64 3
		.amdhsa_fp16_overflow 0
		.amdhsa_memory_ordered 1
		.amdhsa_forward_progress 1
		.amdhsa_inst_pref_size 127
		.amdhsa_round_robin_scheduling 0
		.amdhsa_exception_fp_ieee_invalid_op 0
		.amdhsa_exception_fp_denorm_src 0
		.amdhsa_exception_fp_ieee_div_zero 0
		.amdhsa_exception_fp_ieee_overflow 0
		.amdhsa_exception_fp_ieee_underflow 0
		.amdhsa_exception_fp_ieee_inexact 0
		.amdhsa_exception_int_div_zero 0
	.end_amdhsa_kernel
	.section	.text._ZN4vllm25paged_attention_v1_kernelI14__hip_bfloat16S1_Li120ELi32ELi128ELNS_18Fp8KVCacheDataTypeE0ELb1EEEvPT_PKS3_PKT0_S9_ifPKiSB_iPKfiiiSD_SD_iiiii,"axG",@progbits,_ZN4vllm25paged_attention_v1_kernelI14__hip_bfloat16S1_Li120ELi32ELi128ELNS_18Fp8KVCacheDataTypeE0ELb1EEEvPT_PKS3_PKT0_S9_ifPKiSB_iPKfiiiSD_SD_iiiii,comdat
.Lfunc_end149:
	.size	_ZN4vllm25paged_attention_v1_kernelI14__hip_bfloat16S1_Li120ELi32ELi128ELNS_18Fp8KVCacheDataTypeE0ELb1EEEvPT_PKS3_PKT0_S9_ifPKiSB_iPKfiiiSD_SD_iiiii, .Lfunc_end149-_ZN4vllm25paged_attention_v1_kernelI14__hip_bfloat16S1_Li120ELi32ELi128ELNS_18Fp8KVCacheDataTypeE0ELb1EEEvPT_PKS3_PKT0_S9_ifPKiSB_iPKfiiiSD_SD_iiiii
                                        ; -- End function
	.set _ZN4vllm25paged_attention_v1_kernelI14__hip_bfloat16S1_Li120ELi32ELi128ELNS_18Fp8KVCacheDataTypeE0ELb1EEEvPT_PKS3_PKT0_S9_ifPKiSB_iPKfiiiSD_SD_iiiii.num_vgpr, 128
	.set _ZN4vllm25paged_attention_v1_kernelI14__hip_bfloat16S1_Li120ELi32ELi128ELNS_18Fp8KVCacheDataTypeE0ELb1EEEvPT_PKS3_PKT0_S9_ifPKiSB_iPKfiiiSD_SD_iiiii.num_agpr, 0
	.set _ZN4vllm25paged_attention_v1_kernelI14__hip_bfloat16S1_Li120ELi32ELi128ELNS_18Fp8KVCacheDataTypeE0ELb1EEEvPT_PKS3_PKT0_S9_ifPKiSB_iPKfiiiSD_SD_iiiii.numbered_sgpr, 38
	.set _ZN4vllm25paged_attention_v1_kernelI14__hip_bfloat16S1_Li120ELi32ELi128ELNS_18Fp8KVCacheDataTypeE0ELb1EEEvPT_PKS3_PKT0_S9_ifPKiSB_iPKfiiiSD_SD_iiiii.num_named_barrier, 0
	.set _ZN4vllm25paged_attention_v1_kernelI14__hip_bfloat16S1_Li120ELi32ELi128ELNS_18Fp8KVCacheDataTypeE0ELb1EEEvPT_PKS3_PKT0_S9_ifPKiSB_iPKfiiiSD_SD_iiiii.private_seg_size, 308
	.set _ZN4vllm25paged_attention_v1_kernelI14__hip_bfloat16S1_Li120ELi32ELi128ELNS_18Fp8KVCacheDataTypeE0ELb1EEEvPT_PKS3_PKT0_S9_ifPKiSB_iPKfiiiSD_SD_iiiii.uses_vcc, 1
	.set _ZN4vllm25paged_attention_v1_kernelI14__hip_bfloat16S1_Li120ELi32ELi128ELNS_18Fp8KVCacheDataTypeE0ELb1EEEvPT_PKS3_PKT0_S9_ifPKiSB_iPKfiiiSD_SD_iiiii.uses_flat_scratch, 1
	.set _ZN4vllm25paged_attention_v1_kernelI14__hip_bfloat16S1_Li120ELi32ELi128ELNS_18Fp8KVCacheDataTypeE0ELb1EEEvPT_PKS3_PKT0_S9_ifPKiSB_iPKfiiiSD_SD_iiiii.has_dyn_sized_stack, 0
	.set _ZN4vllm25paged_attention_v1_kernelI14__hip_bfloat16S1_Li120ELi32ELi128ELNS_18Fp8KVCacheDataTypeE0ELb1EEEvPT_PKS3_PKT0_S9_ifPKiSB_iPKfiiiSD_SD_iiiii.has_recursion, 0
	.set _ZN4vllm25paged_attention_v1_kernelI14__hip_bfloat16S1_Li120ELi32ELi128ELNS_18Fp8KVCacheDataTypeE0ELb1EEEvPT_PKS3_PKT0_S9_ifPKiSB_iPKfiiiSD_SD_iiiii.has_indirect_call, 0
	.section	.AMDGPU.csdata,"",@progbits
; Kernel info:
; codeLenInByte = 16140
; TotalNumSgprs: 40
; NumVgprs: 128
; ScratchSize: 308
; MemoryBound: 0
; FloatMode: 240
; IeeeMode: 1
; LDSByteSize: 272 bytes/workgroup (compile time only)
; SGPRBlocks: 0
; VGPRBlocks: 7
; NumSGPRsForWavesPerEU: 40
; NumVGPRsForWavesPerEU: 128
; NamedBarCnt: 0
; Occupancy: 8
; WaveLimiterHint : 1
; COMPUTE_PGM_RSRC2:SCRATCH_EN: 1
; COMPUTE_PGM_RSRC2:USER_SGPR: 2
; COMPUTE_PGM_RSRC2:TRAP_HANDLER: 0
; COMPUTE_PGM_RSRC2:TGID_X_EN: 1
; COMPUTE_PGM_RSRC2:TGID_Y_EN: 1
; COMPUTE_PGM_RSRC2:TGID_Z_EN: 1
; COMPUTE_PGM_RSRC2:TIDIG_COMP_CNT: 0
	.section	.text._ZN4vllm25paged_attention_v1_kernelI14__hip_bfloat16S1_Li128ELi32ELi128ELNS_18Fp8KVCacheDataTypeE0ELb1EEEvPT_PKS3_PKT0_S9_ifPKiSB_iPKfiiiSD_SD_iiiii,"axG",@progbits,_ZN4vllm25paged_attention_v1_kernelI14__hip_bfloat16S1_Li128ELi32ELi128ELNS_18Fp8KVCacheDataTypeE0ELb1EEEvPT_PKS3_PKT0_S9_ifPKiSB_iPKfiiiSD_SD_iiiii,comdat
	.protected	_ZN4vllm25paged_attention_v1_kernelI14__hip_bfloat16S1_Li128ELi32ELi128ELNS_18Fp8KVCacheDataTypeE0ELb1EEEvPT_PKS3_PKT0_S9_ifPKiSB_iPKfiiiSD_SD_iiiii ; -- Begin function _ZN4vllm25paged_attention_v1_kernelI14__hip_bfloat16S1_Li128ELi32ELi128ELNS_18Fp8KVCacheDataTypeE0ELb1EEEvPT_PKS3_PKT0_S9_ifPKiSB_iPKfiiiSD_SD_iiiii
	.globl	_ZN4vllm25paged_attention_v1_kernelI14__hip_bfloat16S1_Li128ELi32ELi128ELNS_18Fp8KVCacheDataTypeE0ELb1EEEvPT_PKS3_PKT0_S9_ifPKiSB_iPKfiiiSD_SD_iiiii
	.p2align	8
	.type	_ZN4vllm25paged_attention_v1_kernelI14__hip_bfloat16S1_Li128ELi32ELi128ELNS_18Fp8KVCacheDataTypeE0ELb1EEEvPT_PKS3_PKT0_S9_ifPKiSB_iPKfiiiSD_SD_iiiii,@function
_ZN4vllm25paged_attention_v1_kernelI14__hip_bfloat16S1_Li128ELi32ELi128ELNS_18Fp8KVCacheDataTypeE0ELb1EEEvPT_PKS3_PKT0_S9_ifPKiSB_iPKfiiiSD_SD_iiiii: ; @_ZN4vllm25paged_attention_v1_kernelI14__hip_bfloat16S1_Li128ELi32ELi128ELNS_18Fp8KVCacheDataTypeE0ELb1EEEvPT_PKS3_PKT0_S9_ifPKiSB_iPKfiiiSD_SD_iiiii
; %bb.0:
	s_load_b64 s[22:23], s[0:1], 0x20
	s_bfe_u32 s3, ttmp6, 0x4000c
	s_bfe_u32 s4, ttmp6, 0x40010
	s_and_b32 s6, ttmp7, 0xffff
	s_add_co_i32 s3, s3, 1
	s_add_co_i32 s4, s4, 1
	s_and_b32 s2, ttmp6, 15
	s_bfe_u32 s5, ttmp6, 0x40004
	s_mul_i32 s3, ttmp9, s3
	s_mul_i32 s4, s6, s4
	s_getreg_b32 s26, hwreg(HW_REG_IB_STS2, 6, 4)
	s_add_co_i32 s2, s2, s3
	s_add_co_i32 s3, s5, s4
	s_cmp_eq_u32 s26, 0
	v_mov_b32_e32 v115, v0
	s_cselect_b32 s28, s6, s3
	s_cselect_b32 s2, ttmp9, s2
	s_clause 0x1
	s_load_b32 s27, s[0:1], 0x80
	s_load_b64 s[4:5], s[0:1], 0x30
	s_mov_b32 s15, 0
	s_delay_alu instid0(SALU_CYCLE_1) | instskip(SKIP_2) | instid1(SALU_CYCLE_1)
	s_mov_b32 s34, s15
	s_wait_kmcnt 0x0
	s_abs_i32 s3, s22
	s_cvt_f32_u32 s6, s3
	s_sub_co_i32 s7, 0, s3
	s_delay_alu instid0(SALU_CYCLE_2) | instskip(SKIP_1) | instid1(TRANS32_DEP_1)
	v_rcp_iflag_f32_e32 v0, s6
	v_nop
	v_readfirstlane_b32 s6, v0
	s_abs_i32 s8, s27
	s_mul_f32 s6, s6, 0x4f7ffffe
	s_delay_alu instid0(SALU_CYCLE_3) | instskip(NEXT) | instid1(SALU_CYCLE_3)
	s_cvt_u32_f32 s6, s6
	s_mul_i32 s7, s7, s6
	s_delay_alu instid0(SALU_CYCLE_1) | instskip(NEXT) | instid1(SALU_CYCLE_1)
	s_mul_hi_u32 s7, s6, s7
	s_add_co_i32 s6, s6, s7
	s_xor_b32 s7, s27, s22
	s_mul_hi_u32 s6, s8, s6
	s_ashr_i32 s7, s7, 31
	s_mul_i32 s9, s6, s3
	s_delay_alu instid0(SALU_CYCLE_1)
	s_sub_co_i32 s8, s8, s9
	s_add_co_i32 s9, s6, 1
	s_sub_co_i32 s10, s8, s3
	s_cmp_ge_u32 s8, s3
	s_cselect_b32 s6, s9, s6
	s_cselect_b32 s8, s10, s8
	s_add_co_i32 s9, s6, 1
	s_cmp_ge_u32 s8, s3
	s_cselect_b32 s3, s9, s6
	s_load_b64 s[8:9], s[0:1], 0x40
	s_xor_b32 s3, s3, s7
	s_abs_i32 s14, s2
	s_sub_co_i32 s12, s3, s7
	s_mov_b32 s7, s15
	s_abs_i32 s11, s12
	s_delay_alu instid0(SALU_CYCLE_1) | instskip(SKIP_1) | instid1(SALU_CYCLE_2)
	s_cvt_f32_u32 s3, s11
	s_sub_co_i32 s6, 0, s11
	v_rcp_iflag_f32_e32 v0, s3
	v_nop
	s_delay_alu instid0(TRANS32_DEP_1) | instskip(SKIP_1) | instid1(SALU_CYCLE_3)
	v_readfirstlane_b32 s3, v0
	s_mul_f32 s3, s3, 0x4f7ffffe
	s_cvt_u32_f32 s3, s3
	s_delay_alu instid0(SALU_CYCLE_3) | instskip(NEXT) | instid1(SALU_CYCLE_1)
	s_mul_i32 s6, s6, s3
	s_mul_hi_u32 s6, s3, s6
	s_delay_alu instid0(SALU_CYCLE_1)
	s_add_co_i32 s6, s3, s6
	s_wait_kmcnt 0x0
	s_cmp_eq_u64 s[8:9], 0
	s_cbranch_scc1 .LBB150_2
; %bb.1:
	s_ashr_i32 s3, s2, 31
	s_delay_alu instid0(SALU_CYCLE_1) | instskip(NEXT) | instid1(SALU_CYCLE_1)
	s_lshl_b64 s[16:17], s[2:3], 2
	s_add_nc_u64 s[8:9], s[8:9], s[16:17]
	s_load_b32 s34, s[8:9], 0x0
.LBB150_2:
	s_load_b32 s29, s[4:5], s28 offset:0x0 scale_offset
	s_wait_xcnt 0x0
	s_load_b96 s[8:10], s[0:1], 0x48
	v_lshlrev_b32_e32 v22, 4, v115
	s_ashr_i32 s3, s2, 31
	s_ashr_i32 s18, s12, 31
	s_mul_u64 s[16:17], s[14:15], s[6:7]
	s_lshl_b32 s12, s2, 7
	s_mov_b32 s4, exec_lo
	v_cmpx_gt_u32_e32 16, v115
	s_cbranch_execz .LBB150_4
; %bb.3:
	s_load_b64 s[6:7], s[0:1], 0x8
	s_wait_kmcnt 0x0
	s_mul_i32 s20, s8, s28
	s_ashr_i32 s13, s12, 31
	s_ashr_i32 s21, s20, 31
	s_delay_alu instid0(SALU_CYCLE_1) | instskip(NEXT) | instid1(SALU_CYCLE_1)
	s_lshl_b64 s[20:21], s[20:21], 1
	s_add_nc_u64 s[6:7], s[6:7], s[20:21]
	s_lshl_b64 s[20:21], s[12:13], 1
	s_delay_alu instid0(SALU_CYCLE_1)
	s_add_nc_u64 s[6:7], s[6:7], s[20:21]
	global_load_b128 v[0:3], v115, s[6:7] scale_offset
	s_wait_loadcnt 0x0
	ds_store_b128 v22, v[0:3]
.LBB150_4:
	s_or_b32 exec_lo, exec_lo, s4
	s_load_b128 s[4:7], s[0:1], 0x68
	s_wait_kmcnt 0x0
	s_mul_i32 s8, s17, s11
	s_xor_b32 s3, s3, s18
	s_sub_co_i32 s8, s14, s8
	s_add_co_i32 s13, s17, 1
	s_sub_co_i32 s14, s8, s11
	s_cmp_ge_u32 s8, s11
	s_mov_b32 s19, -1
	s_cselect_b32 s13, s13, s17
	s_cselect_b32 s8, s14, s8
	s_add_co_i32 s14, s13, 1
	s_cmp_ge_u32 s8, s11
	s_load_b32 s11, s[0:1], 0x78
	s_cselect_b32 s13, s14, s13
	s_add_co_i32 s18, s29, -1
	s_xor_b32 s13, s13, s3
	s_mov_b32 s17, 0
	s_sub_co_i32 s3, s13, s3
	s_abs_i32 s16, s18
	s_mov_b32 s15, s17
	s_abs_i32 s8, s7
	s_wait_dscnt 0x0
	s_cvt_f32_u32 s14, s8
	s_barrier_signal -1
	s_barrier_wait -1
	s_delay_alu instid0(SALU_CYCLE_1) | instskip(SKIP_1) | instid1(TRANS32_DEP_1)
	v_rcp_iflag_f32_e32 v0, s14
	v_nop
	v_readfirstlane_b32 s14, v0
	s_mul_f32 s13, s14, 0x4f7ffffe
	s_sub_co_i32 s14, 0, s8
	s_delay_alu instid0(SALU_CYCLE_2) | instskip(NEXT) | instid1(SALU_CYCLE_3)
	s_cvt_u32_f32 s13, s13
	s_mul_i32 s14, s14, s13
	s_delay_alu instid0(SALU_CYCLE_1) | instskip(NEXT) | instid1(SALU_CYCLE_1)
	s_mul_hi_u32 s14, s13, s14
	s_add_co_i32 s14, s13, s14
	s_wait_kmcnt 0x0
	s_cmp_lt_i32 s11, 0
                                        ; implicit-def: $sgpr13
	s_cbranch_scc0 .LBB150_6
; %bb.5:
	s_mul_i32 s13, s4, s22
	s_mov_b32 s19, s17
	s_add_co_i32 s13, s3, s13
	s_delay_alu instid0(SALU_CYCLE_1) | instskip(NEXT) | instid1(SALU_CYCLE_1)
	s_mul_i32 s13, s13, s11
	s_sub_co_i32 s13, 1, s13
.LBB150_6:
	s_ashr_i32 s18, s18, 31
	s_ashr_i32 s30, s7, 31
	s_and_not1_b32 vcc_lo, exec_lo, s19
	s_mul_u64 s[20:21], s[16:17], s[14:15]
	s_cbranch_vccnz .LBB150_8
; %bb.7:
	s_mul_i32 s4, s27, s4
	s_delay_alu instid0(SALU_CYCLE_1) | instskip(NEXT) | instid1(SALU_CYCLE_1)
	s_add_co_i32 s2, s4, s2
	s_mul_i32 s2, s2, s11
	s_delay_alu instid0(SALU_CYCLE_1)
	s_add_co_i32 s13, s2, 1
.LBB150_8:
	s_load_b32 s2, s[0:1], 0x38
	s_mul_i32 s7, s21, s8
	s_xor_b32 s4, s18, s30
	s_sub_co_i32 s20, s16, s7
	s_add_co_i32 s11, s21, 1
	s_clause 0x1
	s_load_b64 s[16:17], s[0:1], 0x28
	s_load_b32 s7, s[0:1], 0x88
	v_dual_lshrrev_b32 v113, 5, v115 :: v_dual_bitop2_b32 v0, 31, v115 bitop3:0x40
	v_mov_b32_e32 v75, 0xff7fffff
	s_delay_alu instid0(VALU_DEP_2) | instskip(NEXT) | instid1(VALU_DEP_3)
	v_dual_lshrrev_b32 v23, 3, v115 :: v_dual_lshlrev_b32 v74, 5, v113
	v_lshlrev_b32_e32 v24, 2, v0
	s_wait_kmcnt 0x0
	s_mul_i32 s18, s2, s28
	s_sub_co_i32 s2, s20, s8
	s_ashr_i32 s19, s18, 31
	s_cmp_ge_u32 s20, s8
	s_cselect_b32 s11, s11, s21
	s_cselect_b32 s2, s2, s20
	s_add_co_i32 s20, s11, 1
	s_cmp_ge_u32 s2, s8
	s_cselect_b32 s2, s20, s11
	s_add_co_i32 s11, s29, 31
	s_delay_alu instid0(SALU_CYCLE_1) | instskip(NEXT) | instid1(SALU_CYCLE_1)
	s_ashr_i32 s20, s11, 31
	s_lshr_b32 s20, s20, 27
	s_delay_alu instid0(SALU_CYCLE_1)
	s_add_co_i32 s11, s11, s20
	s_mul_i32 s20, s3, s10
	s_ashr_i32 s31, s11, 5
	s_xor_b32 s11, s2, s4
	v_cmp_gt_i32_e64 s2, s31, v113
	s_sub_co_i32 s33, s11, s4
	s_and_saveexec_b32 s22, s2
	s_cbranch_execz .LBB150_16
; %bb.9:
	v_mov_b32_e32 v43, 0
	s_ashr_i32 s21, s20, 31
	s_sub_co_i32 s35, s33, s5
	s_ashr_i32 s11, s9, 31
	s_lshl_b64 s[24:25], s[20:21], 1
	ds_load_b128 v[0:3], v43
	ds_load_b128 v[10:13], v43 offset:16
	ds_load_b128 v[14:17], v43 offset:32
	;; [unrolled: 1-line block ×4, first 2 shown]
	s_cmp_neq_f32 s34, 0
	s_load_b64 s[36:37], s[0:1], 0x10
	s_mov_b32 s10, s9
	v_mov_b32_e32 v75, 0xff7fffff
	s_cselect_b32 vcc_lo, -1, 0
	s_abs_i32 s21, s6
	s_delay_alu instid0(SALU_CYCLE_1)
	s_cvt_f32_u32 s3, s21
	s_sub_co_i32 s4, 0, s21
	s_wait_dscnt 0x4
	v_and_b32_e32 v5, 0xffff0000, v0
	s_wait_dscnt 0x3
	v_dual_lshlrev_b32 v4, 16, v0 :: v_dual_lshlrev_b32 v0, 16, v11
	scratch_store_b64 off, v[4:5], off      ; 8-byte Folded Spill
	s_wait_xcnt 0x0
	v_and_b32_e32 v5, 0xffff0000, v10
	v_lshlrev_b32_e32 v4, 16, v10
	s_wait_kmcnt 0x0
	s_add_nc_u64 s[36:37], s[36:37], s[24:25]
	s_mov_b32 s25, 0
	scratch_store_b64 off, v[4:5], off offset:8 ; 8-byte Folded Spill
	s_wait_dscnt 0x2
	s_wait_xcnt 0x0
	v_and_b32_e32 v5, 0xffff0000, v14
	v_lshlrev_b32_e32 v4, 16, v14
	scratch_store_b64 off, v[4:5], off offset:16 ; 8-byte Folded Spill
	s_wait_xcnt 0x0
	v_and_b32_e32 v5, 0xffff0000, v1
	v_lshlrev_b32_e32 v4, 16, v1
	v_and_b32_e32 v1, 0xffff0000, v11
	s_clause 0x1
	scratch_store_b64 off, v[4:5], off offset:24
	scratch_store_b64 off, v[0:1], off offset:32
	s_wait_xcnt 0x0
	v_and_b32_e32 v1, 0xffff0000, v15
	v_lshlrev_b32_e32 v0, 16, v15
	scratch_store_b64 off, v[0:1], off offset:40 ; 8-byte Folded Spill
	s_wait_xcnt 0x0
	v_and_b32_e32 v1, 0xffff0000, v2
	v_lshlrev_b32_e32 v0, 16, v2
	scratch_store_b64 off, v[0:1], off offset:48 ; 8-byte Folded Spill
	;; [unrolled: 4-line block ×4, first 2 shown]
	s_wait_xcnt 0x0
	v_and_b32_e32 v1, 0xffff0000, v3
	v_lshlrev_b32_e32 v0, 16, v3
	ds_load_b128 v[2:5], v43 offset:80
	scratch_store_b64 off, v[0:1], off offset:72 ; 8-byte Folded Spill
	s_wait_xcnt 0x0
	v_and_b32_e32 v1, 0xffff0000, v13
	v_lshlrev_b32_e32 v0, 16, v13
	ds_load_b128 v[10:13], v43 offset:96
	s_wait_dscnt 0x1
	v_and_b32_e32 v15, 0xffff0000, v5
	v_lshlrev_b32_e32 v14, 16, v5
	scratch_store_b64 off, v[0:1], off offset:80 ; 8-byte Folded Spill
	s_wait_xcnt 0x0
	v_and_b32_e32 v1, 0xffff0000, v17
	v_lshlrev_b32_e32 v0, 16, v17
	s_wait_dscnt 0x0
	v_and_b32_e32 v5, 0xffff0000, v10
	scratch_store_b64 off, v[0:1], off offset:88 ; 8-byte Folded Spill
	s_wait_xcnt 0x0
	v_and_b32_e32 v1, 0xffff0000, v6
	v_lshlrev_b32_e32 v0, 16, v6
	scratch_store_b64 off, v[0:1], off offset:96 ; 8-byte Folded Spill
	s_wait_xcnt 0x0
	v_and_b32_e32 v1, 0xffff0000, v7
	v_lshlrev_b32_e32 v0, 16, v7
	;; [unrolled: 4-line block ×4, first 2 shown]
	ds_load_b128 v[6:9], v43 offset:112
	scratch_store_b64 off, v[0:1], off offset:120 ; 8-byte Folded Spill
	s_wait_xcnt 0x0
	v_and_b32_e32 v1, 0xffff0000, v18
	v_lshlrev_b32_e32 v0, 16, v18
	scratch_store_b64 off, v[0:1], off offset:128 ; 8-byte Folded Spill
	s_wait_xcnt 0x0
	v_and_b32_e32 v1, 0xffff0000, v19
	v_lshlrev_b32_e32 v0, 16, v19
	;; [unrolled: 4-line block ×6, first 2 shown]
	scratch_store_b64 off, v[0:1], off offset:168 ; 8-byte Folded Spill
	s_wait_xcnt 0x0
	v_and_b32_e32 v1, 0xffff0000, v4
	v_dual_lshlrev_b32 v0, 16, v4 :: v_dual_lshlrev_b32 v4, 16, v10
	s_clause 0x1
	scratch_store_b64 off, v[0:1], off offset:176
	scratch_store_b64 off, v[4:5], off offset:192
	s_wait_xcnt 0x0
	v_and_b32_e32 v5, 0xffff0000, v11
	v_lshlrev_b32_e32 v4, 16, v11
	ds_load_b128 v[0:3], v43 offset:128
	scratch_store_b64 off, v[14:15], off offset:184 ; 8-byte Folded Spill
	s_wait_dscnt 0x1
	v_and_b32_e32 v11, 0xffff0000, v9
	v_lshlrev_b32_e32 v10, 16, v9
	scratch_store_b64 off, v[4:5], off offset:200 ; 8-byte Folded Spill
	s_wait_xcnt 0x0
	v_and_b32_e32 v5, 0xffff0000, v12
	v_lshlrev_b32_e32 v4, 16, v12
	ds_load_b128 v[14:17], v43 offset:144
	s_clause 0x1
	scratch_store_b64 off, v[10:11], off offset:248
	scratch_store_b64 off, v[4:5], off offset:208
	s_wait_xcnt 0x0
	v_and_b32_e32 v5, 0xffff0000, v13
	v_lshlrev_b32_e32 v4, 16, v13
	scratch_store_b64 off, v[4:5], off offset:216 ; 8-byte Folded Spill
	s_wait_xcnt 0x0
	v_and_b32_e32 v5, 0xffff0000, v6
	v_lshlrev_b32_e32 v4, 16, v6
	s_wait_dscnt 0x1
	v_and_b32_e32 v9, 0xffff0000, v0
	scratch_store_b64 off, v[4:5], off offset:224 ; 8-byte Folded Spill
	s_wait_xcnt 0x0
	v_and_b32_e32 v5, 0xffff0000, v7
	v_lshlrev_b32_e32 v4, 16, v7
	scratch_store_b64 off, v[4:5], off offset:232 ; 8-byte Folded Spill
	s_wait_xcnt 0x0
	v_and_b32_e32 v5, 0xffff0000, v8
	v_lshlrev_b32_e32 v4, 16, v8
	v_dual_lshlrev_b32 v8, 16, v0 :: v_dual_lshlrev_b32 v0, 16, v2
	s_clause 0x1
	scratch_store_b64 off, v[4:5], off offset:240
	scratch_store_b64 off, v[8:9], off offset:256
	s_wait_xcnt 0x1
	ds_load_b128 v[4:7], v43 offset:160
	s_wait_xcnt 0x0
	v_and_b32_e32 v9, 0xffff0000, v1
	v_lshlrev_b32_e32 v8, 16, v1
	v_and_b32_e32 v1, 0xffff0000, v2
	s_wait_dscnt 0x1
	v_and_b32_e32 v123, 0xffff0000, v16
	v_lshlrev_b32_e32 v122, 16, v16
	v_and_b32_e32 v125, 0xffff0000, v17
	s_clause 0x1
	scratch_store_b64 off, v[8:9], off offset:264
	scratch_store_b64 off, v[0:1], off offset:272
	s_wait_xcnt 0x0
	v_and_b32_e32 v1, 0xffff0000, v3
	ds_load_b128 v[8:11], v43 offset:176
	v_dual_lshlrev_b32 v0, 16, v3 :: v_dual_lshlrev_b32 v124, 16, v17
	scratch_store_b64 off, v[0:1], off offset:280 ; 8-byte Folded Spill
	s_wait_xcnt 0x0
	v_and_b32_e32 v1, 0xffff0000, v14
	v_lshlrev_b32_e32 v0, 16, v14
	s_wait_dscnt 0x1
	v_and_b32_e32 v127, 0xffff0000, v4
	v_lshlrev_b32_e32 v126, 16, v4
	v_and_b32_e32 v45, 0xffff0000, v5
	scratch_store_b64 off, v[0:1], off offset:288 ; 8-byte Folded Spill
	s_wait_xcnt 0x0
	v_and_b32_e32 v1, 0xffff0000, v15
	v_lshlrev_b32_e32 v0, 16, v15
	ds_load_b128 v[12:15], v43 offset:192
	v_lshlrev_b32_e32 v44, 16, v5
	ds_load_b128 v[2:5], v43 offset:208
	v_and_b32_e32 v47, 0xffff0000, v7
	s_wait_dscnt 0x2
	v_lshlrev_b32_e32 v52, 16, v10
	scratch_store_b64 off, v[0:1], off offset:296 ; 8-byte Folded Spill
	s_wait_xcnt 0x0
	v_and_b32_e32 v1, 0xffff0000, v6
	v_dual_lshlrev_b32 v0, 16, v6 :: v_dual_lshlrev_b32 v46, 16, v7
	v_and_b32_e32 v49, 0xffff0000, v8
	v_lshlrev_b32_e32 v48, 16, v8
	v_and_b32_e32 v51, 0xffff0000, v9
	v_lshlrev_b32_e32 v50, 16, v9
	v_and_b32_e32 v53, 0xffff0000, v10
	v_and_b32_e32 v55, 0xffff0000, v11
	v_lshlrev_b32_e32 v54, 16, v11
	s_wait_dscnt 0x1
	v_lshlrev_b32_e32 v62, 16, v15
	v_and_b32_e32 v57, 0xffff0000, v12
	s_wait_dscnt 0x0
	v_and_b32_e32 v65, 0xffff0000, v2
	v_lshlrev_b32_e32 v64, 16, v2
	v_and_b32_e32 v67, 0xffff0000, v3
	v_dual_lshlrev_b32 v66, 16, v3 :: v_dual_lshlrev_b32 v68, 16, v4
	v_and_b32_e32 v69, 0xffff0000, v4
	v_and_b32_e32 v71, 0xffff0000, v5
	v_lshlrev_b32_e32 v70, 16, v5
	ds_load_b128 v[2:5], v43 offset:224
	ds_load_b128 v[6:9], v43 offset:240
	v_lshlrev_b32_e32 v56, 16, v12
	v_and_b32_e32 v59, 0xffff0000, v13
	v_dual_lshlrev_b32 v58, 16, v13 :: v_dual_lshlrev_b32 v60, 16, v14
	v_and_b32_e32 v61, 0xffff0000, v14
	v_and_b32_e32 v63, 0xffff0000, v15
	s_wait_dscnt 0x1
	v_and_b32_e32 v73, 0xffff0000, v2
	v_lshlrev_b32_e32 v72, 16, v2
	v_rcp_iflag_f32_e32 v2, s3
	s_wait_dscnt 0x0
	v_dual_lshlrev_b32 v88, 16, v9 :: v_dual_lshlrev_b32 v76, 16, v3
	v_lshlrev_b32_e32 v78, 16, v4
	v_and_b32_e32 v79, 0xffff0000, v4
	v_and_b32_e32 v81, 0xffff0000, v5
	v_dual_lshlrev_b32 v80, 16, v5 :: v_dual_lshlrev_b32 v82, 16, v6
	v_readfirstlane_b32 s3, v2
	v_and_b32_e32 v2, 31, v115
	v_and_b32_e32 v77, 0xffff0000, v3
	;; [unrolled: 1-line block ×4, first 2 shown]
	s_mul_f32 s3, s3, 0x4f7ffffe
	v_lshlrev_b32_e32 v42, 4, v2
	v_subrev_nc_u32_e32 v2, s29, v2
	v_dual_lshlrev_b32 v84, 16, v7 :: v_dual_lshlrev_b32 v86, 16, v8
	s_cvt_u32_f32 s3, s3
	v_and_b32_e32 v87, 0xffff0000, v8
	s_delay_alu instid0(VALU_DEP_3)
	v_add_nc_u32_e32 v2, 1, v2
	v_add_nc_u64_e32 v[4:5], s[36:37], v[42:43]
	v_and_b32_e32 v42, 0x7c, v23
	s_lshl_b64 s[36:37], s[18:19], 2
	s_mul_i32 s4, s4, s3
	s_add_nc_u64 s[36:37], s[16:17], s[36:37]
	v_and_b32_e32 v89, 0xffff0000, v9
	v_add_nc_u64_e32 v[92:93], s[36:37], v[42:43]
	s_clause 0x2
	scratch_store_b64 off, v[4:5], off offset:304
	scratch_store_b32 off, v2, off offset:312
	scratch_store_b32 off, v24, off offset:316
	s_wait_xcnt 0x1
	v_lshl_or_b32 v2, v113, 7, v24
	v_lshlrev_b32_e32 v42, 5, v113
	s_mul_hi_u32 s4, s3, s4
	s_mov_b32 s36, s25
	s_add_co_i32 s24, s3, s4
	v_add_nc_u32_e32 v112, 0x120, v2
	s_branch .LBB150_11
.LBB150_10:                             ;   in Loop: Header=BB150_11 Depth=1
	s_wait_xcnt 0x0
	s_or_b32 exec_lo, exec_lo, s4
	v_add_nc_u32_e32 v113, 4, v113
	v_add_nc_u64_e32 v[92:93], 16, v[92:93]
	v_add_nc_u32_e32 v42, 0x80, v42
	v_add_nc_u32_e32 v112, 0x200, v112
	s_delay_alu instid0(VALU_DEP_4) | instskip(SKIP_1) | instid1(SALU_CYCLE_1)
	v_cmp_le_i32_e64 s3, s31, v113
	s_or_b32 s36, s3, s36
	s_and_not1_b32 exec_lo, exec_lo, s36
	s_cbranch_execz .LBB150_15
.LBB150_11:                             ; =>This Inner Loop Header: Depth=1
	v_mul_u64_e32 v[2:3], s[14:15], v[42:43]
	s_delay_alu instid0(VALU_DEP_1) | instskip(NEXT) | instid1(VALU_DEP_1)
	v_mul_lo_u32 v2, v3, s8
	v_dual_add_nc_u32 v4, 1, v3 :: v_dual_sub_nc_u32 v2, v42, v2
	s_delay_alu instid0(VALU_DEP_1) | instskip(SKIP_1) | instid1(VALU_DEP_1)
	v_subrev_nc_u32_e32 v5, s8, v2
	v_cmp_le_u32_e64 s3, s8, v2
	v_dual_cndmask_b32 v3, v3, v4, s3 :: v_dual_cndmask_b32 v2, v2, v5, s3
	s_delay_alu instid0(VALU_DEP_1) | instskip(NEXT) | instid1(VALU_DEP_2)
	v_add_nc_u32_e32 v4, 1, v3
	v_cmp_le_u32_e64 s3, s8, v2
	s_delay_alu instid0(VALU_DEP_1) | instskip(NEXT) | instid1(VALU_DEP_1)
	v_cndmask_b32_e64 v2, v3, v4, s3
	v_dual_mov_b32 v3, v43 :: v_dual_bitop2_b32 v2, s30, v2 bitop3:0x14
	s_delay_alu instid0(VALU_DEP_1) | instskip(NEXT) | instid1(VALU_DEP_1)
	v_subrev_nc_u32_e32 v6, s30, v2
	v_add_nc_u32_e32 v7, s13, v6
	v_cmp_ge_i32_e64 s4, s35, v6
	s_delay_alu instid0(VALU_DEP_2) | instskip(NEXT) | instid1(VALU_DEP_1)
	v_sub_nc_u32_e32 v2, 0, v7
	v_max_i32_e32 v2, v7, v2
	s_delay_alu instid0(VALU_DEP_1) | instskip(SKIP_1) | instid1(VALU_DEP_2)
	v_mul_u64_e32 v[4:5], s[24:25], v[2:3]
	v_ashrrev_i32_e32 v4, 31, v7
	v_mul_lo_u32 v3, v5, s21
	s_delay_alu instid0(VALU_DEP_1) | instskip(NEXT) | instid1(VALU_DEP_1)
	v_sub_nc_u32_e32 v2, v2, v3
	v_subrev_nc_u32_e32 v3, s21, v2
	v_cmp_le_u32_e64 s3, s21, v2
	s_delay_alu instid0(VALU_DEP_1) | instskip(NEXT) | instid1(VALU_DEP_1)
	v_cndmask_b32_e64 v2, v2, v3, s3
	v_subrev_nc_u32_e32 v3, s21, v2
	v_cmp_le_u32_e64 s3, s21, v2
	s_delay_alu instid0(VALU_DEP_1) | instskip(NEXT) | instid1(VALU_DEP_1)
	v_cndmask_b32_e64 v2, v2, v3, s3
	v_xor_b32_e32 v2, v2, v4
	s_delay_alu instid0(VALU_DEP_1) | instskip(NEXT) | instid1(VALU_DEP_1)
	v_sub_nc_u32_e32 v2, v2, v4
	v_cmp_ne_u32_e64 s3, 0, v2
	s_and_b32 s3, s3, s4
	s_wait_xcnt 0x0
	s_and_saveexec_b32 s4, s3
	s_delay_alu instid0(SALU_CYCLE_1)
	s_xor_b32 s3, exec_lo, s4
; %bb.12:                               ;   in Loop: Header=BB150_11 Depth=1
	v_mov_b32_e32 v2, 0xff7fffff
	ds_store_b32 v112, v2
; %bb.13:                               ;   in Loop: Header=BB150_11 Depth=1
	s_and_not1_saveexec_b32 s4, s3
	s_cbranch_execz .LBB150_10
; %bb.14:                               ;   in Loop: Header=BB150_11 Depth=1
	global_load_b32 v2, v[92:93], off
	scratch_load_b64 v[6:7], off, off offset:304 ; 8-byte Folded Reload
	s_wait_loadcnt 0x1
	v_dual_ashrrev_i32 v3, 31, v2 :: v_dual_bitop2_b32 v4, 31, v115 bitop3:0x40
	s_delay_alu instid0(VALU_DEP_1) | instskip(SKIP_1) | instid1(VALU_DEP_1)
	v_mul_u64_e32 v[2:3], s[10:11], v[2:3]
	s_wait_loadcnt 0x0
	v_lshl_add_u64 v[94:95], v[2:3], 1, v[6:7]
	scratch_load_b32 v2, off, off offset:312 ; 4-byte Folded Reload
	s_wait_loadcnt 0x0
	v_dual_add_nc_u32 v4, v4, v42 :: v_dual_add_nc_u32 v2, v2, v42
	s_delay_alu instid0(VALU_DEP_1) | instskip(NEXT) | instid1(VALU_DEP_2)
	v_cmp_gt_i32_e64 s3, s29, v4
	v_cvt_f32_i32_e32 v2, v2
	s_delay_alu instid0(VALU_DEP_1) | instskip(NEXT) | instid1(VALU_DEP_1)
	v_mul_f32_e32 v2, s34, v2
	v_cndmask_b32_e32 v114, 0, v2, vcc_lo
	s_clause 0x3
	global_load_b128 v[14:17], v[94:95], off
	global_load_b128 v[10:13], v[94:95], off offset:512
	global_load_b128 v[6:9], v[94:95], off offset:1024
	;; [unrolled: 1-line block ×3, first 2 shown]
	scratch_load_b64 v[22:23], off, off offset:8 ; 8-byte Folded Reload
	s_wait_loadcnt 0x4
	v_and_b32_e32 v19, 0xffff0000, v14
	s_wait_loadcnt 0x3
	v_and_b32_e32 v21, 0xffff0000, v10
	v_lshlrev_b32_e32 v20, 16, v10
	v_dual_lshlrev_b32 v18, 16, v14 :: v_dual_lshlrev_b32 v14, 16, v11
	s_wait_loadcnt 0x0
	s_delay_alu instid0(VALU_DEP_2)
	v_pk_mul_f32 v[20:21], v[22:23], v[20:21]
	scratch_load_b64 v[22:23], off, off     ; 8-byte Folded Reload
	s_wait_loadcnt 0x0
	v_pk_fma_f32 v[18:19], v[22:23], v[18:19], v[20:21]
	scratch_load_b64 v[22:23], off, off offset:16 ; 8-byte Folded Reload
	v_and_b32_e32 v21, 0xffff0000, v6
	v_lshlrev_b32_e32 v20, 16, v6
	s_wait_loadcnt 0x0
	s_delay_alu instid0(VALU_DEP_1) | instskip(SKIP_4) | instid1(VALU_DEP_1)
	v_pk_fma_f32 v[18:19], v[22:23], v[20:21], v[18:19]
	scratch_load_b64 v[22:23], off, off offset:96 ; 8-byte Folded Reload
	v_and_b32_e32 v21, 0xffff0000, v2
	v_lshlrev_b32_e32 v20, 16, v2
	s_wait_loadcnt 0x0
	v_pk_fma_f32 v[106:107], v[22:23], v[20:21], v[18:19]
	v_and_b32_e32 v19, 0xffff0000, v15
	v_lshlrev_b32_e32 v18, 16, v15
	v_and_b32_e32 v15, 0xffff0000, v11
	scratch_load_b64 v[10:11], off, off offset:32 ; 8-byte Folded Reload
	s_wait_loadcnt 0x0
	v_pk_mul_f32 v[10:11], v[10:11], v[14:15]
	scratch_load_b64 v[14:15], off, off offset:24 ; 8-byte Folded Reload
	s_wait_loadcnt 0x0
	v_pk_fma_f32 v[10:11], v[14:15], v[18:19], v[10:11]
	v_and_b32_e32 v15, 0xffff0000, v7
	v_lshlrev_b32_e32 v14, 16, v7
	scratch_load_b64 v[6:7], off, off offset:40 ; 8-byte Folded Reload
	s_wait_loadcnt 0x0
	v_pk_fma_f32 v[6:7], v[6:7], v[14:15], v[10:11]
	v_and_b32_e32 v11, 0xffff0000, v3
	v_lshlrev_b32_e32 v10, 16, v3
	scratch_load_b64 v[2:3], off, off offset:104 ; 8-byte Folded Reload
	s_wait_loadcnt 0x0
	v_pk_fma_f32 v[104:105], v[2:3], v[10:11], v[6:7]
	scratch_load_b64 v[10:11], off, off offset:56 ; 8-byte Folded Reload
	v_and_b32_e32 v7, 0xffff0000, v12
	v_lshlrev_b32_e32 v6, 16, v12
	v_and_b32_e32 v3, 0xffff0000, v16
	v_lshlrev_b32_e32 v2, 16, v16
	s_wait_loadcnt 0x0
	s_delay_alu instid0(VALU_DEP_3)
	v_pk_mul_f32 v[6:7], v[10:11], v[6:7]
	scratch_load_b64 v[10:11], off, off offset:48 ; 8-byte Folded Reload
	s_wait_loadcnt 0x0
	v_pk_fma_f32 v[2:3], v[10:11], v[2:3], v[6:7]
	scratch_load_b64 v[10:11], off, off offset:64 ; 8-byte Folded Reload
	v_and_b32_e32 v7, 0xffff0000, v8
	v_lshlrev_b32_e32 v6, 16, v8
	s_wait_loadcnt 0x0
	s_delay_alu instid0(VALU_DEP_1) | instskip(SKIP_4) | instid1(VALU_DEP_1)
	v_pk_fma_f32 v[2:3], v[10:11], v[6:7], v[2:3]
	scratch_load_b64 v[10:11], off, off offset:112 ; 8-byte Folded Reload
	v_and_b32_e32 v7, 0xffff0000, v4
	v_lshlrev_b32_e32 v6, 16, v4
	s_wait_loadcnt 0x0
	v_pk_fma_f32 v[98:99], v[10:11], v[6:7], v[2:3]
	scratch_load_b64 v[10:11], off, off offset:80 ; 8-byte Folded Reload
	v_and_b32_e32 v7, 0xffff0000, v13
	v_lshlrev_b32_e32 v6, 16, v13
	v_and_b32_e32 v3, 0xffff0000, v17
	v_lshlrev_b32_e32 v2, 16, v17
	s_wait_loadcnt 0x0
	s_delay_alu instid0(VALU_DEP_3)
	v_pk_mul_f32 v[6:7], v[10:11], v[6:7]
	scratch_load_b64 v[10:11], off, off offset:72 ; 8-byte Folded Reload
	s_wait_loadcnt 0x0
	v_pk_fma_f32 v[2:3], v[10:11], v[2:3], v[6:7]
	v_and_b32_e32 v7, 0xffff0000, v9
	v_lshlrev_b32_e32 v6, 16, v9
	scratch_load_b64 v[8:9], off, off offset:88 ; 8-byte Folded Reload
	s_wait_loadcnt 0x0
	v_pk_fma_f32 v[2:3], v[8:9], v[6:7], v[2:3]
	v_and_b32_e32 v7, 0xffff0000, v5
	v_lshlrev_b32_e32 v6, 16, v5
	scratch_load_b64 v[4:5], off, off offset:120 ; 8-byte Folded Reload
	s_wait_loadcnt 0x0
	v_pk_fma_f32 v[96:97], v[4:5], v[6:7], v[2:3]
	global_load_b128 v[2:5], v[94:95], off offset:2048
	s_wait_loadcnt 0x0
	v_and_b32_e32 v117, 0xffff0000, v2
	v_lshlrev_b32_e32 v116, 16, v2
	v_and_b32_e32 v111, 0xffff0000, v3
	v_lshlrev_b32_e32 v110, 16, v3
	;; [unrolled: 2-line block ×4, first 2 shown]
	global_load_b128 v[2:5], v[94:95], off offset:2560
	s_wait_loadcnt 0x0
	v_and_b32_e32 v119, 0xffff0000, v2
	v_dual_lshlrev_b32 v118, 16, v2 :: v_dual_lshlrev_b32 v120, 16, v3
	v_and_b32_e32 v121, 0xffff0000, v3
	v_and_b32_e32 v91, 0xffff0000, v4
	v_dual_lshlrev_b32 v90, 16, v4 :: v_dual_lshlrev_b32 v102, 16, v5
	v_and_b32_e32 v103, 0xffff0000, v5
	s_clause 0x9
	global_load_b128 v[38:41], v[94:95], off offset:3072
	global_load_b128 v[34:37], v[94:95], off offset:3584
	;; [unrolled: 1-line block ×10, first 2 shown]
	scratch_load_b64 v[94:95], off, off offset:128 ; 8-byte Folded Reload
	s_wait_loadcnt 0x0
	v_pk_fma_f32 v[94:95], v[94:95], v[116:117], v[106:107]
	s_clause 0x1
	scratch_load_b64 v[106:107], off, off offset:160
	scratch_load_b64 v[116:117], off, off offset:192
	s_wait_loadcnt 0x1
	v_pk_fma_f32 v[94:95], v[106:107], v[118:119], v[94:95]
	v_and_b32_e32 v107, 0xffff0000, v38
	v_lshlrev_b32_e32 v106, 16, v38
	s_wait_loadcnt 0x0
	s_delay_alu instid0(VALU_DEP_1) | instskip(SKIP_4) | instid1(VALU_DEP_1)
	v_pk_fma_f32 v[94:95], v[116:117], v[106:107], v[94:95]
	scratch_load_b64 v[116:117], off, off offset:224 ; 8-byte Folded Reload
	v_and_b32_e32 v107, 0xffff0000, v34
	v_lshlrev_b32_e32 v106, 16, v34
	s_wait_loadcnt 0x0
	v_pk_fma_f32 v[94:95], v[116:117], v[106:107], v[94:95]
	scratch_load_b64 v[116:117], off, off offset:256 ; 8-byte Folded Reload
	v_and_b32_e32 v107, 0xffff0000, v30
	v_lshlrev_b32_e32 v106, 16, v30
	s_wait_loadcnt 0x0
	s_delay_alu instid0(VALU_DEP_1) | instskip(SKIP_4) | instid1(VALU_DEP_1)
	v_pk_fma_f32 v[94:95], v[116:117], v[106:107], v[94:95]
	scratch_load_b64 v[116:117], off, off offset:288 ; 8-byte Folded Reload
	v_and_b32_e32 v107, 0xffff0000, v26
	v_lshlrev_b32_e32 v106, 16, v26
	s_wait_loadcnt 0x0
	v_pk_fma_f32 v[94:95], v[116:117], v[106:107], v[94:95]
	v_and_b32_e32 v107, 0xffff0000, v22
	v_lshlrev_b32_e32 v106, 16, v22
	s_delay_alu instid0(VALU_DEP_1) | instskip(SKIP_2) | instid1(VALU_DEP_1)
	v_pk_fma_f32 v[94:95], v[126:127], v[106:107], v[94:95]
	v_and_b32_e32 v107, 0xffff0000, v18
	v_lshlrev_b32_e32 v106, 16, v18
	v_pk_fma_f32 v[94:95], v[48:49], v[106:107], v[94:95]
	v_and_b32_e32 v107, 0xffff0000, v14
	v_lshlrev_b32_e32 v106, 16, v14
	s_delay_alu instid0(VALU_DEP_1) | instskip(SKIP_2) | instid1(VALU_DEP_1)
	v_pk_fma_f32 v[94:95], v[56:57], v[106:107], v[94:95]
	v_and_b32_e32 v107, 0xffff0000, v10
	v_lshlrev_b32_e32 v106, 16, v10
	;; [unrolled: 7-line block ×3, first 2 shown]
	v_pk_fma_f32 v[94:95], v[82:83], v[106:107], v[94:95]
	scratch_load_b64 v[106:107], off, off offset:136 ; 8-byte Folded Reload
	s_wait_loadcnt 0x0
	v_pk_fma_f32 v[104:105], v[106:107], v[110:111], v[104:105]
	scratch_load_b64 v[106:107], off, off offset:168 ; 8-byte Folded Reload
	s_wait_loadcnt 0x0
	v_pk_fma_f32 v[104:105], v[106:107], v[120:121], v[104:105]
	v_and_b32_e32 v107, 0xffff0000, v39
	v_lshlrev_b32_e32 v106, 16, v39
	scratch_load_b64 v[38:39], off, off offset:200 ; 8-byte Folded Reload
	s_wait_loadcnt 0x0
	v_pk_fma_f32 v[38:39], v[38:39], v[106:107], v[104:105]
	v_and_b32_e32 v105, 0xffff0000, v35
	v_lshlrev_b32_e32 v104, 16, v35
	;; [unrolled: 5-line block ×5, first 2 shown]
	s_delay_alu instid0(VALU_DEP_1) | instskip(SKIP_2) | instid1(VALU_DEP_1)
	v_pk_fma_f32 v[22:23], v[44:45], v[30:31], v[26:27]
	v_and_b32_e32 v27, 0xffff0000, v19
	v_lshlrev_b32_e32 v26, 16, v19
	v_pk_fma_f32 v[18:19], v[50:51], v[26:27], v[22:23]
	v_and_b32_e32 v23, 0xffff0000, v15
	v_lshlrev_b32_e32 v22, 16, v15
	s_delay_alu instid0(VALU_DEP_1) | instskip(SKIP_2) | instid1(VALU_DEP_1)
	v_pk_fma_f32 v[14:15], v[58:59], v[22:23], v[18:19]
	v_and_b32_e32 v19, 0xffff0000, v11
	v_lshlrev_b32_e32 v18, 16, v11
	v_pk_fma_f32 v[10:11], v[66:67], v[18:19], v[14:15]
	v_and_b32_e32 v15, 0xffff0000, v7
	v_lshlrev_b32_e32 v14, 16, v7
	scratch_load_b64 v[18:19], off, off offset:216 ; 8-byte Folded Reload
	v_pk_fma_f32 v[6:7], v[76:77], v[14:15], v[10:11]
	v_and_b32_e32 v11, 0xffff0000, v3
	v_lshlrev_b32_e32 v10, 16, v3
	scratch_load_b64 v[14:15], off, off offset:208 ; 8-byte Folded Reload
	v_pk_fma_f32 v[2:3], v[84:85], v[10:11], v[6:7]
	s_clause 0x1
	scratch_load_b64 v[6:7], off, off offset:144
	scratch_load_b64 v[10:11], off, off offset:176
	s_wait_loadcnt 0x1
	v_pk_fma_f32 v[6:7], v[6:7], v[108:109], v[98:99]
	s_wait_loadcnt 0x0
	s_delay_alu instid0(VALU_DEP_1) | instskip(SKIP_2) | instid1(VALU_DEP_1)
	v_pk_fma_f32 v[6:7], v[10:11], v[90:91], v[6:7]
	v_and_b32_e32 v11, 0xffff0000, v40
	v_lshlrev_b32_e32 v10, 16, v40
	v_pk_fma_f32 v[6:7], v[14:15], v[10:11], v[6:7]
	scratch_load_b64 v[14:15], off, off offset:240 ; 8-byte Folded Reload
	v_and_b32_e32 v11, 0xffff0000, v36
	v_lshlrev_b32_e32 v10, 16, v36
	s_wait_loadcnt 0x0
	s_delay_alu instid0(VALU_DEP_1) | instskip(SKIP_4) | instid1(VALU_DEP_1)
	v_pk_fma_f32 v[6:7], v[14:15], v[10:11], v[6:7]
	scratch_load_b64 v[14:15], off, off offset:272 ; 8-byte Folded Reload
	v_and_b32_e32 v11, 0xffff0000, v32
	v_lshlrev_b32_e32 v10, 16, v32
	s_wait_loadcnt 0x0
	v_pk_fma_f32 v[6:7], v[14:15], v[10:11], v[6:7]
	v_and_b32_e32 v11, 0xffff0000, v28
	v_lshlrev_b32_e32 v10, 16, v28
	scratch_load_b64 v[14:15], off, off offset:184 ; 8-byte Folded Reload
	v_pk_fma_f32 v[6:7], v[122:123], v[10:11], v[6:7]
	v_and_b32_e32 v11, 0xffff0000, v24
	v_lshlrev_b32_e32 v10, 16, v24
	s_delay_alu instid0(VALU_DEP_1) | instskip(SKIP_2) | instid1(VALU_DEP_1)
	v_pk_fma_f32 v[6:7], v[0:1], v[10:11], v[6:7]
	v_and_b32_e32 v11, 0xffff0000, v20
	v_lshlrev_b32_e32 v10, 16, v20
	v_pk_fma_f32 v[6:7], v[52:53], v[10:11], v[6:7]
	v_and_b32_e32 v11, 0xffff0000, v16
	v_lshlrev_b32_e32 v10, 16, v16
	s_delay_alu instid0(VALU_DEP_1) | instskip(SKIP_2) | instid1(VALU_DEP_1)
	v_pk_fma_f32 v[6:7], v[60:61], v[10:11], v[6:7]
	v_and_b32_e32 v11, 0xffff0000, v12
	v_dual_lshlrev_b32 v10, 16, v12 :: v_dual_lshlrev_b32 v12, 16, v9
	v_pk_fma_f32 v[6:7], v[68:69], v[10:11], v[6:7]
	v_and_b32_e32 v11, 0xffff0000, v8
	v_lshlrev_b32_e32 v10, 16, v8
	s_delay_alu instid0(VALU_DEP_1) | instskip(SKIP_2) | instid1(VALU_DEP_1)
	v_pk_fma_f32 v[6:7], v[78:79], v[10:11], v[6:7]
	v_and_b32_e32 v11, 0xffff0000, v4
	v_lshlrev_b32_e32 v10, 16, v4
	v_pk_fma_f32 v[6:7], v[86:87], v[10:11], v[6:7]
	scratch_load_b64 v[10:11], off, off offset:152 ; 8-byte Folded Reload
	s_wait_loadcnt 0x0
	v_pk_fma_f32 v[10:11], v[10:11], v[100:101], v[96:97]
	s_delay_alu instid0(VALU_DEP_1) | instskip(SKIP_2) | instid1(VALU_DEP_1)
	v_pk_fma_f32 v[10:11], v[14:15], v[102:103], v[10:11]
	v_and_b32_e32 v15, 0xffff0000, v41
	v_lshlrev_b32_e32 v14, 16, v41
	v_pk_fma_f32 v[10:11], v[18:19], v[14:15], v[10:11]
	scratch_load_b64 v[18:19], off, off offset:248 ; 8-byte Folded Reload
	v_and_b32_e32 v15, 0xffff0000, v37
	v_lshlrev_b32_e32 v14, 16, v37
	s_wait_loadcnt 0x0
	s_delay_alu instid0(VALU_DEP_1) | instskip(SKIP_4) | instid1(VALU_DEP_1)
	v_pk_fma_f32 v[10:11], v[18:19], v[14:15], v[10:11]
	scratch_load_b64 v[18:19], off, off offset:280 ; 8-byte Folded Reload
	v_and_b32_e32 v15, 0xffff0000, v33
	v_lshlrev_b32_e32 v14, 16, v33
	s_wait_loadcnt 0x0
	v_pk_fma_f32 v[10:11], v[18:19], v[14:15], v[10:11]
	v_and_b32_e32 v15, 0xffff0000, v29
	v_lshlrev_b32_e32 v14, 16, v29
	s_delay_alu instid0(VALU_DEP_1) | instskip(SKIP_2) | instid1(VALU_DEP_1)
	v_pk_fma_f32 v[10:11], v[124:125], v[14:15], v[10:11]
	v_and_b32_e32 v15, 0xffff0000, v25
	v_lshlrev_b32_e32 v14, 16, v25
	v_pk_fma_f32 v[10:11], v[46:47], v[14:15], v[10:11]
	v_and_b32_e32 v15, 0xffff0000, v21
	v_lshlrev_b32_e32 v14, 16, v21
	s_delay_alu instid0(VALU_DEP_1) | instskip(SKIP_2) | instid1(VALU_DEP_1)
	v_pk_fma_f32 v[10:11], v[54:55], v[14:15], v[10:11]
	v_and_b32_e32 v15, 0xffff0000, v17
	v_lshlrev_b32_e32 v14, 16, v17
	v_pk_fma_f32 v[10:11], v[62:63], v[14:15], v[10:11]
	v_and_b32_e32 v15, 0xffff0000, v13
	v_lshlrev_b32_e32 v14, 16, v13
	v_and_b32_e32 v13, 0xffff0000, v9
	s_delay_alu instid0(VALU_DEP_2) | instskip(NEXT) | instid1(VALU_DEP_1)
	v_pk_fma_f32 v[10:11], v[70:71], v[14:15], v[10:11]
	v_pk_fma_f32 v[8:9], v[80:81], v[12:13], v[10:11]
	v_and_b32_e32 v11, 0xffff0000, v5
	v_lshlrev_b32_e32 v10, 16, v5
	s_delay_alu instid0(VALU_DEP_1) | instskip(SKIP_1) | instid1(VALU_DEP_1)
	v_pk_fma_f32 v[4:5], v[88:89], v[10:11], v[8:9]
	v_add_f32_e32 v8, v94, v95
	v_add_f32_e32 v2, v8, v2
	s_delay_alu instid0(VALU_DEP_1) | instskip(NEXT) | instid1(VALU_DEP_1)
	v_add_f32_e32 v2, v3, v2
	v_add_f32_e32 v2, v6, v2
	s_delay_alu instid0(VALU_DEP_1) | instskip(NEXT) | instid1(VALU_DEP_1)
	;; [unrolled: 3-line block ×3, first 2 shown]
	v_add_f32_e32 v2, v5, v2
	v_fmac_f32_e32 v114, s23, v2
	s_delay_alu instid0(VALU_DEP_1) | instskip(SKIP_2) | instid1(VALU_DEP_1)
	v_cndmask_b32_e64 v2, 0, v114, s3
	ds_store_b32 v112, v2
	v_max_num_f32_e32 v2, v75, v75
	v_max_num_f32_e32 v2, v2, v114
	s_delay_alu instid0(VALU_DEP_1)
	v_cndmask_b32_e64 v75, v75, v2, s3
	s_branch .LBB150_10
.LBB150_15:
	s_or_b32 exec_lo, exec_lo, s36
	scratch_load_b32 v24, off, off offset:316 ; 4-byte Folded Reload
	v_dual_lshrrev_b32 v113, 5, v115 :: v_dual_lshlrev_b32 v22, 4, v115
	v_lshrrev_b32_e32 v23, 3, v115
.LBB150_16:
	s_wait_xcnt 0x0
	s_or_b32 exec_lo, exec_lo, s22
	v_mbcnt_lo_u32_b32 v3, -1, 0
	s_clause 0x1
	s_load_b64 s[10:11], s[0:1], 0x0
	s_load_b64 s[22:23], s[0:1], 0x18
	v_max_num_f32_e32 v4, v75, v75
	v_xor_b32_e32 v2, 8, v3
	v_xor_b32_e32 v0, 16, v3
	s_delay_alu instid0(VALU_DEP_1) | instskip(SKIP_1) | instid1(VALU_DEP_1)
	v_cmp_gt_i32_e32 vcc_lo, 32, v0
	v_cndmask_b32_e32 v0, v3, v0, vcc_lo
	v_lshlrev_b32_e32 v0, 2, v0
	ds_bpermute_b32 v1, v0, v75
	s_wait_dscnt 0x0
	v_max_num_f32_e32 v5, v1, v1
	s_delay_alu instid0(VALU_DEP_1) | instskip(SKIP_2) | instid1(VALU_DEP_1)
	v_max_num_f32_e32 v4, v4, v5
	v_cmp_gt_i32_e32 vcc_lo, 32, v2
	v_dual_cndmask_b32 v2, v3, v2, vcc_lo :: v_dual_bitop2_b32 v5, 4, v3 bitop3:0x14
	v_cmp_gt_i32_e32 vcc_lo, 32, v5
	s_delay_alu instid0(VALU_DEP_2) | instskip(SKIP_3) | instid1(VALU_DEP_1)
	v_lshlrev_b32_e32 v1, 2, v2
	ds_bpermute_b32 v2, v1, v4
	s_wait_dscnt 0x0
	v_dual_cndmask_b32 v5, v3, v5 :: v_dual_max_num_f32 v6, v2, v2
	v_dual_lshlrev_b32 v2, 2, v5 :: v_dual_max_num_f32 v4, v4, v6
	ds_bpermute_b32 v5, v2, v4
	s_wait_dscnt 0x0
	v_dual_max_num_f32 v5, v5, v5 :: v_dual_bitop2_b32 v6, 2, v3 bitop3:0x14
	s_delay_alu instid0(VALU_DEP_1) | instskip(NEXT) | instid1(VALU_DEP_2)
	v_cmp_gt_i32_e32 vcc_lo, 32, v6
	v_dual_max_num_f32 v4, v4, v5 :: v_dual_cndmask_b32 v6, v3, v6, vcc_lo
	s_delay_alu instid0(VALU_DEP_1) | instskip(SKIP_3) | instid1(VALU_DEP_1)
	v_dual_lshlrev_b32 v95, 2, v6 :: v_dual_bitop2_b32 v6, 1, v3 bitop3:0x14
	ds_bpermute_b32 v5, v95, v4
	v_cmp_gt_i32_e32 vcc_lo, 32, v6
	v_cndmask_b32_e32 v3, v3, v6, vcc_lo
	v_lshlrev_b32_e32 v94, 2, v3
	v_and_b32_e32 v3, 31, v115
	s_delay_alu instid0(VALU_DEP_1) | instskip(SKIP_3) | instid1(VALU_DEP_1)
	v_cmp_eq_u32_e32 vcc_lo, 0, v3
	v_lshlrev_b32_e32 v3, 2, v113
	s_wait_dscnt 0x0
	v_max_num_f32_e32 v5, v5, v5
	v_max_num_f32_e32 v4, v4, v5
	ds_bpermute_b32 v5, v94, v4
	s_wait_xcnt 0x0
	s_and_saveexec_b32 s0, vcc_lo
	s_cbranch_execz .LBB150_18
; %bb.17:
	s_wait_dscnt 0x0
	v_dual_max_num_f32 v5, v5, v5 :: v_dual_max_num_f32 v4, v4, v4
	s_delay_alu instid0(VALU_DEP_1)
	v_max_num_f32_e32 v4, v4, v5
	ds_store_b32 v3, v4 offset:256
.LBB150_18:
	s_or_b32 exec_lo, exec_lo, s0
	v_and_b32_e32 v4, 31, v115
	s_wait_storecnt 0x0
	s_wait_loadcnt_dscnt 0x0
	s_barrier_signal -1
	s_barrier_wait -1
	v_cmp_gt_u32_e64 s0, 4, v4
	v_mov_b32_e32 v4, 0xff7fffff
	s_and_saveexec_b32 s1, s0
; %bb.19:
	ds_load_b32 v4, v24 offset:256
; %bb.20:
	s_or_b32 exec_lo, exec_lo, s1
	s_wait_dscnt 0x0
	ds_bpermute_b32 v5, v95, v4
	v_max_num_f32_e32 v4, v4, v4
	s_lshl_b32 s1, s31, 5
	s_delay_alu instid0(SALU_CYCLE_1) | instskip(NEXT) | instid1(SALU_CYCLE_1)
	s_min_i32 s4, s1, s29
	v_cmp_gt_i32_e64 s1, s4, v115
	s_wait_dscnt 0x0
	v_max_num_f32_e32 v5, v5, v5
	s_delay_alu instid0(VALU_DEP_1) | instskip(SKIP_3) | instid1(VALU_DEP_1)
	v_max_num_f32_e32 v4, v4, v5
	ds_bpermute_b32 v5, v94, v4
	s_wait_dscnt 0x0
	v_max_num_f32_e32 v5, v5, v5
	v_dual_max_num_f32 v5, v4, v5 :: v_dual_mov_b32 v4, 0
	ds_bpermute_b32 v5, v4, v5
	s_and_saveexec_b32 s21, s1
	s_cbranch_execz .LBB150_24
; %bb.21:
	v_lshl_add_u32 v6, v115, 2, 0x120
	v_dual_mov_b32 v4, 0 :: v_dual_mov_b32 v7, v115
	s_mov_b32 s24, 0
.LBB150_22:                             ; =>This Inner Loop Header: Depth=1
	ds_load_b32 v8, v6
	v_add_nc_u32_e32 v7, 0x80, v7
	s_delay_alu instid0(VALU_DEP_1) | instskip(SKIP_3) | instid1(VALU_DEP_1)
	v_cmp_le_i32_e64 s3, s4, v7
	s_or_b32 s24, s3, s24
	s_wait_dscnt 0x0
	v_sub_f32_e32 v8, v8, v5
	v_mul_f32_e32 v8, 0x3fb8aa3b, v8
	s_delay_alu instid0(VALU_DEP_1)
	v_exp_f32_e32 v8, v8
	ds_store_b32 v6, v8
	v_nop
	v_add_f32_e32 v4, v4, v8
	v_add_nc_u32_e32 v6, 0x200, v6
	s_and_not1_b32 exec_lo, exec_lo, s24
	s_cbranch_execnz .LBB150_22
; %bb.23:
	s_or_b32 exec_lo, exec_lo, s24
.LBB150_24:
	s_delay_alu instid0(SALU_CYCLE_1)
	s_or_b32 exec_lo, exec_lo, s21
	ds_bpermute_b32 v0, v0, v4
	s_wait_dscnt 0x0
	v_add_f32_e32 v0, v4, v0
	ds_bpermute_b32 v1, v1, v0
	s_wait_dscnt 0x0
	v_add_f32_e32 v0, v0, v1
	;; [unrolled: 3-line block ×5, first 2 shown]
	s_and_saveexec_b32 s3, vcc_lo
; %bb.25:
	ds_store_b32 v3, v0 offset:272
; %bb.26:
	s_or_b32 exec_lo, exec_lo, s3
	s_wait_dscnt 0x0
	s_barrier_signal -1
	s_barrier_wait -1
	s_and_saveexec_b32 s3, s0
; %bb.27:
	ds_load_b32 v0, v24 offset:272
; %bb.28:
	s_or_b32 exec_lo, exec_lo, s3
	s_wait_dscnt 0x0
	ds_bpermute_b32 v1, v95, v0
	s_wait_dscnt 0x0
	v_dual_mov_b32 v77, 0 :: v_dual_add_f32 v0, v0, v1
	ds_bpermute_b32 v1, v94, v0
	s_wait_dscnt 0x0
	v_add_f32_e32 v0, v0, v1
	ds_bpermute_b32 v0, v77, v0
	s_and_saveexec_b32 s0, s1
	s_cbranch_execz .LBB150_41
; %bb.29:
	s_wait_dscnt 0x0
	v_add_f32_e32 v0, 0x358637bd, v0
	s_mov_b32 s3, -1
	s_mov_b32 s1, exec_lo
	s_delay_alu instid0(VALU_DEP_1) | instskip(NEXT) | instid1(VALU_DEP_1)
	v_div_scale_f32 v1, null, v0, v0, 1.0
	v_rcp_f32_e32 v3, v1
	v_nop
	s_delay_alu instid0(TRANS32_DEP_1) | instskip(NEXT) | instid1(VALU_DEP_1)
	v_fma_f32 v2, -v1, v3, 1.0
	v_fmac_f32_e32 v3, v2, v3
	v_div_scale_f32 v4, vcc_lo, 1.0, v0, 1.0
	s_delay_alu instid0(VALU_DEP_1) | instskip(NEXT) | instid1(VALU_DEP_1)
	v_mul_f32_e32 v5, v4, v3
	v_fma_f32 v2, -v1, v5, v4
	s_delay_alu instid0(VALU_DEP_1) | instskip(SKIP_1) | instid1(VALU_DEP_2)
	v_fmac_f32_e32 v5, v2, v3
	v_xad_u32 v2, v115, -1, s4
	v_fma_f32 v1, -v1, v5, v4
	s_delay_alu instid0(VALU_DEP_1) | instskip(NEXT) | instid1(VALU_DEP_1)
	v_div_fmas_f32 v1, v1, v3, v5
	v_div_fixup_f32 v0, v1, v0, 1.0
	v_mov_b32_e32 v1, v115
	v_cmpx_lt_u32_e32 0x7f, v2
	s_cbranch_execz .LBB150_38
; %bb.30:
	s_delay_alu instid0(VALU_DEP_3) | instskip(NEXT) | instid1(VALU_DEP_1)
	v_dual_mov_b32 v1, v0 :: v_dual_lshrrev_b32 v2, 7, v2
	v_dual_mov_b32 v6, 0 :: v_dual_add_nc_u32 v3, -1, v2
	s_delay_alu instid0(VALU_DEP_1) | instskip(SKIP_1) | instid1(VALU_DEP_2)
	v_lshrrev_b32_e32 v4, 1, v3
	v_cmp_lt_u32_e32 vcc_lo, 13, v3
	v_add_nc_u32_e32 v3, 1, v4
	s_and_saveexec_b32 s3, vcc_lo
	s_cbranch_execz .LBB150_34
; %bb.31:
	s_delay_alu instid0(VALU_DEP_1)
	v_and_b32_e32 v4, -8, v3
	v_lshl_add_u32 v5, v115, 2, 0x120
	s_mov_b32 s21, 0
	s_mov_b32 s24, 0
.LBB150_32:                             ; =>This Inner Loop Header: Depth=1
	ds_load_2addr_stride64_b32 v[6:7], v5 offset1:2
	ds_load_2addr_stride64_b32 v[8:9], v5 offset0:4 offset1:6
	ds_load_2addr_stride64_b32 v[10:11], v5 offset0:8 offset1:10
	ds_load_2addr_stride64_b32 v[12:13], v5 offset0:12 offset1:14
	ds_load_2addr_stride64_b32 v[14:15], v5 offset0:16 offset1:18
	ds_load_2addr_stride64_b32 v[16:17], v5 offset0:20 offset1:22
	ds_load_2addr_stride64_b32 v[18:19], v5 offset0:24 offset1:26
	ds_load_2addr_stride64_b32 v[20:21], v5 offset0:28 offset1:30
	s_add_co_i32 s24, s24, 16
	v_add_nc_u32_e32 v4, -8, v4
	s_wait_dscnt 0x7
	v_pk_mul_f32 v[6:7], v[0:1], v[6:7]
	s_wait_dscnt 0x6
	v_pk_mul_f32 v[8:9], v[0:1], v[8:9]
	s_wait_dscnt 0x5
	v_pk_mul_f32 v[10:11], v[0:1], v[10:11]
	s_wait_dscnt 0x4
	v_pk_mul_f32 v[12:13], v[0:1], v[12:13]
	s_wait_dscnt 0x3
	v_pk_mul_f32 v[14:15], v[0:1], v[14:15]
	s_wait_dscnt 0x2
	v_pk_mul_f32 v[16:17], v[0:1], v[16:17]
	s_wait_dscnt 0x1
	v_pk_mul_f32 v[18:19], v[0:1], v[18:19]
	s_wait_dscnt 0x0
	v_pk_mul_f32 v[20:21], v[0:1], v[20:21]
	ds_store_2addr_stride64_b32 v5, v6, v7 offset1:2
	ds_store_2addr_stride64_b32 v5, v8, v9 offset0:4 offset1:6
	ds_store_2addr_stride64_b32 v5, v10, v11 offset0:8 offset1:10
	;; [unrolled: 1-line block ×7, first 2 shown]
	v_mov_b32_e32 v6, s24
	v_cmp_eq_u32_e32 vcc_lo, 0, v4
	v_add_nc_u32_e32 v5, 0x2000, v5
	s_or_b32 s21, vcc_lo, s21
	s_delay_alu instid0(SALU_CYCLE_1)
	s_and_not1_b32 exec_lo, exec_lo, s21
	s_cbranch_execnz .LBB150_32
; %bb.33:
	s_or_b32 exec_lo, exec_lo, s21
.LBB150_34:
	s_delay_alu instid0(SALU_CYCLE_1) | instskip(NEXT) | instid1(VALU_DEP_1)
	s_or_b32 exec_lo, exec_lo, s3
	v_and_b32_e32 v3, 7, v3
	s_mov_b32 s21, 0
	s_mov_b32 s3, exec_lo
	s_delay_alu instid0(VALU_DEP_1)
	v_cmpx_ne_u32_e32 0, v3
	s_cbranch_execz .LBB150_37
; %bb.35:
	v_dual_lshlrev_b32 v4, 9, v6 :: v_dual_lshlrev_b32 v5, 2, v115
	s_delay_alu instid0(VALU_DEP_1)
	v_add3_u32 v4, v4, v5, 0x120
.LBB150_36:                             ; =>This Inner Loop Header: Depth=1
	ds_load_2addr_stride64_b32 v[6:7], v4 offset1:2
	v_add_nc_u32_e32 v3, -1, v3
	s_delay_alu instid0(VALU_DEP_1)
	v_cmp_eq_u32_e32 vcc_lo, 0, v3
	s_or_b32 s21, vcc_lo, s21
	s_wait_dscnt 0x0
	v_pk_mul_f32 v[6:7], v[0:1], v[6:7]
	ds_store_2addr_stride64_b32 v4, v6, v7 offset1:2
	v_add_nc_u32_e32 v4, 0x400, v4
	s_and_not1_b32 exec_lo, exec_lo, s21
	s_cbranch_execnz .LBB150_36
.LBB150_37:
	s_or_b32 exec_lo, exec_lo, s3
	v_add_nc_u32_e32 v1, 1, v2
	s_delay_alu instid0(VALU_DEP_1) | instskip(NEXT) | instid1(VALU_DEP_1)
	v_and_b32_e32 v2, 0x3fffffe, v1
	v_cmp_ne_u32_e32 vcc_lo, v1, v2
	v_lshl_add_u32 v1, v2, 7, v115
	s_or_not1_b32 s3, vcc_lo, exec_lo
.LBB150_38:
	s_or_b32 exec_lo, exec_lo, s1
	s_delay_alu instid0(SALU_CYCLE_1)
	s_and_b32 exec_lo, exec_lo, s3
	s_cbranch_execz .LBB150_41
; %bb.39:
	v_lshl_add_u32 v2, v1, 2, 0x120
	s_mov_b32 s1, 0
.LBB150_40:                             ; =>This Inner Loop Header: Depth=1
	ds_load_b32 v3, v2
	v_add_nc_u32_e32 v1, 0x80, v1
	s_delay_alu instid0(VALU_DEP_1)
	v_cmp_le_i32_e32 vcc_lo, s4, v1
	s_or_b32 s1, vcc_lo, s1
	s_wait_dscnt 0x0
	v_mul_f32_e32 v3, v0, v3
	ds_store_b32 v2, v3
	v_add_nc_u32_e32 v2, 0x200, v2
	s_and_not1_b32 exec_lo, exec_lo, s1
	s_cbranch_execnz .LBB150_40
.LBB150_41:
	s_or_b32 exec_lo, exec_lo, s0
	v_dual_mov_b32 v76, 0 :: v_dual_bitop2_b32 v96, 3, v115 bitop3:0x40
	v_dual_mov_b32 v79, 0 :: v_dual_mov_b32 v78, 0
	v_dual_mov_b32 v81, 0 :: v_dual_mov_b32 v80, 0
	;; [unrolled: 1-line block ×5, first 2 shown]
	s_wait_dscnt 0x0
	v_dual_mov_b32 v1, 0 :: v_dual_mov_b32 v0, 0
	v_dual_mov_b32 v89, 0 :: v_dual_mov_b32 v88, 0
	s_barrier_signal -1
	s_barrier_wait -1
	s_and_saveexec_b32 s1, s2
	s_cbranch_execz .LBB150_79
; %bb.42:
	s_abs_i32 s6, s6
	v_dual_lshlrev_b32 v3, 3, v115 :: v_dual_mov_b32 v75, 0
	s_cvt_f32_u32 s0, s6
	v_lshlrev_b32_e32 v4, 5, v96
	s_ashr_i32 s21, s20, 31
	v_and_b32_e32 v0, 0x1f0, v22
	v_rcp_iflag_f32_e32 v1, s0
	v_and_b32_e32 v2, 0x7c, v23
	v_dual_mov_b32 v3, v75 :: v_dual_bitop2_b32 v97, 24, v3 bitop3:0x40
	s_lshl_b64 s[18:19], s[18:19], 2
	s_lshl_b64 s[20:21], s[20:21], 1
	s_add_nc_u64 s[16:17], s[16:17], s[18:19]
	s_delay_alu instid0(TRANS32_DEP_1)
	v_readfirstlane_b32 s0, v1
	v_mov_b32_e32 v1, v75
	v_lshl_or_b32 v4, v113, 7, v4
	s_wait_kmcnt 0x0
	s_add_nc_u64 s[18:19], s[22:23], s[20:21]
	s_sub_co_i32 s4, 0, s6
	s_mul_f32 s0, s0, 0x4f7ffffe
	v_add_nc_u64_e32 v[90:91], s[18:19], v[0:1]
	v_add_nc_u64_e32 v[92:93], s[16:17], v[2:3]
	v_dual_mov_b32 v99, v113 :: v_dual_add_nc_u32 v98, 0x120, v4
	s_cvt_u32_f32 s0, s0
	v_dual_mov_b32 v88, v75 :: v_dual_mov_b32 v89, v75
	v_dual_mov_b32 v0, v75 :: v_dual_mov_b32 v86, v75
	s_delay_alu instid0(SALU_CYCLE_1)
	s_mul_i32 s4, s4, s0
	v_dual_mov_b32 v87, v75 :: v_dual_mov_b32 v84, v75
	v_dual_mov_b32 v85, v75 :: v_dual_mov_b32 v82, v75
	;; [unrolled: 1-line block ×5, first 2 shown]
	v_mov_b32_e32 v77, v75
	s_sub_co_i32 s24, s33, s5
	s_mov_b32 s5, 0
	s_mul_hi_u32 s4, s0, s4
	s_ashr_i32 s3, s9, 31
	s_mov_b32 s2, s9
	s_add_co_i32 s9, s31, -1
	s_mov_b32 s16, s29
	s_add_co_i32 s4, s0, s4
	s_mov_b32 s17, s5
	s_branch .LBB150_45
.LBB150_43:                             ;   in Loop: Header=BB150_45 Depth=1
	s_or_b32 exec_lo, exec_lo, s0
	s_wait_dscnt 0x1
	v_cvt_pk_bf16_f32 v27, v26, v27
	v_cvt_pk_bf16_f32 v26, v28, v29
	s_wait_dscnt 0x0
	v_cvt_pk_bf16_f32 v22, v22, v23
	v_cvt_pk_bf16_f32 v23, v24, v25
	s_wait_loadcnt 0x1
	v_pk_mul_bf16 v28, v27, v70
	v_pk_mul_bf16 v29, v26, v71
	;; [unrolled: 1-line block ×5, first 2 shown]
	s_delay_alu instid0(VALU_DEP_4)
	v_dual_lshlrev_b32 v25, 16, v28 :: v_dual_lshlrev_b32 v70, 16, v29
	v_and_b32_e32 v28, 0xffff0000, v28
	v_and_b32_e32 v29, 0xffff0000, v29
	v_lshlrev_b32_e32 v72, 16, v24
	v_and_b32_e32 v24, 0xffff0000, v24
	v_pk_mul_bf16 v62, v27, v62
	s_delay_alu instid0(VALU_DEP_4)
	v_dual_add_f32 v25, v25, v28 :: v_dual_add_f32 v28, v70, v29
	v_pk_mul_bf16 v29, v27, v66
	v_lshlrev_b32_e32 v66, 16, v71
	v_and_b32_e32 v70, 0xffff0000, v71
	v_add_f32_e32 v24, v72, v24
	v_add_f32_e32 v25, v28, v25
	v_pk_mul_bf16 v28, v26, v67
	v_lshlrev_b32_e32 v67, 16, v29
	v_and_b32_e32 v29, 0xffff0000, v29
	s_delay_alu instid0(VALU_DEP_4) | instskip(NEXT) | instid1(VALU_DEP_4)
	v_dual_add_f32 v66, v66, v70 :: v_dual_add_f32 v24, v24, v25
	v_lshlrev_b32_e32 v25, 16, v28
	v_and_b32_e32 v28, 0xffff0000, v28
	s_delay_alu instid0(VALU_DEP_4)
	v_add_f32_e32 v29, v67, v29
	v_and_b32_e32 v67, 0xffff0000, v68
	v_pk_mul_bf16 v69, v23, v69
	v_pk_mul_bf16 v64, v22, v64
	v_add_f32_e32 v25, v25, v28
	v_pk_mul_bf16 v28, v26, v63
	v_dual_lshlrev_b32 v63, 16, v68 :: v_dual_lshlrev_b32 v68, 16, v62
	v_and_b32_e32 v62, 0xffff0000, v62
	s_delay_alu instid0(VALU_DEP_3) | instskip(SKIP_1) | instid1(VALU_DEP_3)
	v_dual_add_f32 v25, v25, v29 :: v_dual_lshlrev_b32 v70, 16, v28
	v_and_b32_e32 v28, 0xffff0000, v28
	v_dual_add_f32 v29, v63, v67 :: v_dual_add_f32 v62, v68, v62
	v_add_f32_e32 v24, v66, v24
	v_pk_mul_bf16 v65, v23, v65
	s_delay_alu instid0(VALU_DEP_4)
	v_dual_add_f32 v28, v70, v28 :: v_dual_lshlrev_b32 v67, 16, v69
	v_lshlrev_b32_e32 v63, 16, v64
	v_and_b32_e32 v64, 0xffff0000, v64
	v_dual_add_f32 v25, v29, v25 :: v_dual_add_f32 v76, v76, v24
	v_pk_mul_bf16 v24, v26, v59
	v_and_b32_e32 v68, 0xffff0000, v69
	s_delay_alu instid0(VALU_DEP_4)
	v_dual_add_f32 v28, v28, v62 :: v_dual_add_f32 v62, v63, v64
	v_lshlrev_b32_e32 v63, 16, v65
	v_and_b32_e32 v64, 0xffff0000, v65
	v_lshlrev_b32_e32 v59, 16, v24
	v_and_b32_e32 v24, 0xffff0000, v24
	v_pk_mul_bf16 v58, v27, v58
	v_pk_mul_bf16 v60, v22, v60
	;; [unrolled: 1-line block ×4, first 2 shown]
	v_add_f32_e32 v24, v59, v24
	v_add_f32_e32 v29, v67, v68
	;; [unrolled: 1-line block ×4, first 2 shown]
	v_pk_mul_bf16 v52, v22, v52
	v_pk_mul_bf16 v46, v27, v46
	v_dual_add_f32 v25, v29, v25 :: v_dual_lshlrev_b32 v29, 16, v58
	s_delay_alu instid0(VALU_DEP_4) | instskip(SKIP_2) | instid1(VALU_DEP_4)
	v_add_f32_e32 v28, v62, v28
	v_and_b32_e32 v58, 0xffff0000, v58
	v_pk_mul_bf16 v48, v22, v48
	v_add_f32_e32 v79, v79, v25
	v_pk_mul_bf16 v42, v27, v42
	s_delay_alu instid0(VALU_DEP_4)
	v_dual_add_f32 v78, v78, v28 :: v_dual_add_f32 v25, v29, v58
	v_lshlrev_b32_e32 v28, 16, v60
	v_and_b32_e32 v29, 0xffff0000, v60
	v_pk_mul_bf16 v58, v23, v61
	v_pk_mul_bf16 v43, v26, v43
	v_add_f32_e32 v24, v24, v25
	v_pk_mul_bf16 v44, v22, v44
	v_dual_add_f32 v25, v28, v29 :: v_dual_lshlrev_b32 v28, 16, v50
	v_and_b32_e32 v29, 0xffff0000, v50
	v_lshlrev_b32_e32 v50, 16, v51
	v_and_b32_e32 v51, 0xffff0000, v51
	v_lshlrev_b32_e32 v59, 16, v58
	v_and_b32_e32 v58, 0xffff0000, v58
	v_add_f32_e32 v28, v28, v29
	v_pk_mul_bf16 v38, v27, v38
	v_dual_add_f32 v29, v50, v51 :: v_dual_lshlrev_b32 v50, 16, v52
	v_and_b32_e32 v51, 0xffff0000, v52
	v_pk_mul_bf16 v52, v23, v53
	v_dual_add_f32 v24, v25, v24 :: v_dual_add_f32 v25, v59, v58
	s_delay_alu instid0(VALU_DEP_3) | instskip(NEXT) | instid1(VALU_DEP_3)
	v_dual_add_f32 v28, v29, v28 :: v_dual_add_f32 v29, v50, v51
	v_lshlrev_b32_e32 v50, 16, v52
	v_and_b32_e32 v51, 0xffff0000, v52
	s_delay_alu instid0(VALU_DEP_4) | instskip(SKIP_2) | instid1(VALU_DEP_4)
	v_add_f32_e32 v24, v25, v24
	v_pk_mul_bf16 v25, v26, v47
	v_dual_add_f32 v28, v29, v28 :: v_dual_lshlrev_b32 v47, 16, v46
	v_add_f32_e32 v29, v50, v51
	v_and_b32_e32 v46, 0xffff0000, v46
	s_delay_alu instid0(VALU_DEP_4)
	v_lshlrev_b32_e32 v50, 16, v25
	v_and_b32_e32 v25, 0xffff0000, v25
	v_add_f32_e32 v81, v81, v24
	v_pk_mul_bf16 v40, v22, v40
	v_pk_mul_bf16 v41, v23, v41
	v_pk_mul_bf16 v35, v26, v35
	v_dual_add_f32 v25, v50, v25 :: v_dual_add_f32 v24, v29, v28
	v_dual_add_f32 v28, v47, v46 :: v_dual_lshlrev_b32 v29, 16, v48
	v_and_b32_e32 v46, 0xffff0000, v48
	v_pk_mul_bf16 v47, v23, v49
	v_pk_mul_bf16 v36, v22, v36
	s_delay_alu instid0(VALU_DEP_4)
	v_add_f32_e32 v25, v25, v28
	v_pk_mul_bf16 v32, v22, v32
	v_add_f32_e32 v28, v29, v46
	v_lshlrev_b32_e32 v29, 16, v42
	v_and_b32_e32 v42, 0xffff0000, v42
	v_lshlrev_b32_e32 v46, 16, v43
	v_and_b32_e32 v43, 0xffff0000, v43
	;; [unrolled: 2-line block ×3, first 2 shown]
	v_dual_add_f32 v29, v29, v42 :: v_dual_add_f32 v80, v80, v24
	s_delay_alu instid0(VALU_DEP_4) | instskip(SKIP_2) | instid1(VALU_DEP_3)
	v_dual_add_f32 v42, v46, v43 :: v_dual_lshlrev_b32 v43, 16, v44
	v_and_b32_e32 v44, 0xffff0000, v44
	v_add_f32_e32 v25, v28, v25
	v_dual_add_f32 v28, v48, v47 :: v_dual_add_f32 v24, v42, v29
	v_pk_mul_bf16 v18, v27, v18
	s_delay_alu instid0(VALU_DEP_4) | instskip(SKIP_1) | instid1(VALU_DEP_4)
	v_add_f32_e32 v29, v43, v44
	v_pk_mul_bf16 v19, v26, v19
	v_add_f32_e32 v25, v28, v25
	v_pk_mul_bf16 v28, v26, v39
	v_pk_mul_bf16 v39, v23, v45
	v_dual_add_f32 v24, v29, v24 :: v_dual_lshlrev_b32 v29, 16, v38
	v_and_b32_e32 v38, 0xffff0000, v38
	s_delay_alu instid0(VALU_DEP_3) | instskip(SKIP_2) | instid1(VALU_DEP_4)
	v_dual_lshlrev_b32 v42, 16, v28 :: v_dual_lshlrev_b32 v43, 16, v39
	v_and_b32_e32 v28, 0xffff0000, v28
	v_and_b32_e32 v39, 0xffff0000, v39
	v_dual_add_f32 v29, v29, v38 :: v_dual_lshlrev_b32 v38, 16, v40
	v_and_b32_e32 v40, 0xffff0000, v40
	s_delay_alu instid0(VALU_DEP_3) | instskip(SKIP_3) | instid1(VALU_DEP_4)
	v_dual_add_f32 v28, v42, v28 :: v_dual_add_f32 v39, v43, v39
	v_lshlrev_b32_e32 v42, 16, v35
	v_and_b32_e32 v35, 0xffff0000, v35
	v_pk_mul_bf16 v20, v22, v20
	v_add_f32_e32 v28, v28, v29
	v_pk_mul_bf16 v29, v27, v34
	v_dual_add_f32 v34, v38, v40 :: v_dual_lshlrev_b32 v38, 16, v41
	v_and_b32_e32 v40, 0xffff0000, v41
	s_delay_alu instid0(VALU_DEP_3) | instskip(NEXT) | instid1(VALU_DEP_3)
	v_dual_add_f32 v35, v42, v35 :: v_dual_lshlrev_b32 v41, 16, v29
	v_add_f32_e32 v28, v34, v28
	v_and_b32_e32 v29, 0xffff0000, v29
	s_delay_alu instid0(VALU_DEP_4)
	v_add_f32_e32 v34, v38, v40
	v_lshlrev_b32_e32 v38, 16, v36
	v_and_b32_e32 v36, 0xffff0000, v36
	v_pk_mul_bf16 v33, v23, v33
	v_add_f32_e32 v29, v41, v29
	v_dual_add_f32 v83, v83, v25 :: v_dual_add_f32 v25, v34, v28
	v_add_f32_e32 v24, v39, v24
	v_pk_mul_bf16 v21, v23, v21
	s_delay_alu instid0(VALU_DEP_4) | instskip(NEXT) | instid1(VALU_DEP_4)
	v_dual_add_f32 v28, v35, v29 :: v_dual_add_f32 v29, v38, v36
	v_add_f32_e32 v85, v85, v25
	v_pk_mul_bf16 v25, v27, v30
	v_lshlrev_b32_e32 v35, 16, v19
	v_and_b32_e32 v19, 0xffff0000, v19
	v_add_f32_e32 v28, v29, v28
	v_pk_mul_bf16 v29, v26, v31
	v_lshlrev_b32_e32 v31, 16, v25
	v_and_b32_e32 v25, 0xffff0000, v25
	;; [unrolled: 4-line block ×3, first 2 shown]
	v_dual_add_f32 v25, v31, v25 :: v_dual_lshlrev_b32 v31, 16, v32
	v_and_b32_e32 v32, 0xffff0000, v32
	s_delay_alu instid0(VALU_DEP_3)
	v_dual_add_f32 v19, v35, v19 :: v_dual_add_f32 v29, v34, v29
	v_lshlrev_b32_e32 v34, 16, v18
	v_and_b32_e32 v18, 0xffff0000, v18
	v_lshlrev_b32_e32 v30, 16, v24
	v_and_b32_e32 v24, 0xffff0000, v24
	v_dual_add_f32 v25, v29, v25 :: v_dual_add_f32 v29, v31, v32
	s_delay_alu instid0(VALU_DEP_4) | instskip(SKIP_3) | instid1(VALU_DEP_4)
	v_dual_add_f32 v18, v34, v18 :: v_dual_lshlrev_b32 v31, 16, v20
	v_lshlrev_b32_e32 v32, 16, v33
	v_and_b32_e32 v20, 0xffff0000, v20
	v_and_b32_e32 v33, 0xffff0000, v33
	v_dual_add_f32 v18, v19, v18 :: v_dual_add_f32 v24, v30, v24
	s_delay_alu instid0(VALU_DEP_3)
	v_dual_add_f32 v25, v29, v25 :: v_dual_add_f32 v19, v31, v20
	v_lshlrev_b32_e32 v20, 16, v21
	v_and_b32_e32 v21, 0xffff0000, v21
	v_add_f32_e32 v29, v32, v33
	v_pk_mul_bf16 v14, v27, v14
	v_add_f32_e32 v18, v19, v18
	v_pk_mul_bf16 v15, v26, v15
	v_add_f32_e32 v19, v20, v21
	v_dual_add_f32 v20, v24, v28 :: v_dual_add_f32 v21, v29, v25
	v_pk_mul_bf16 v10, v27, v10
	s_delay_alu instid0(VALU_DEP_3) | instskip(NEXT) | instid1(VALU_DEP_3)
	v_dual_lshlrev_b32 v24, 16, v15 :: v_dual_add_f32 v18, v19, v18
	v_dual_add_f32 v84, v84, v20 :: v_dual_lshlrev_b32 v19, 16, v14
	v_and_b32_e32 v14, 0xffff0000, v14
	v_and_b32_e32 v15, 0xffff0000, v15
	v_pk_mul_bf16 v11, v26, v11
	v_dual_add_f32 v87, v87, v21 :: v_dual_add_f32 v86, v86, v18
	s_delay_alu instid0(VALU_DEP_3) | instskip(SKIP_1) | instid1(VALU_DEP_4)
	v_dual_add_f32 v14, v19, v14 :: v_dual_add_f32 v15, v24, v15
	v_pk_mul_bf16 v16, v22, v16
	v_lshlrev_b32_e32 v18, 16, v11
	v_and_b32_e32 v11, 0xffff0000, v11
	v_pk_mul_bf16 v12, v22, v12
	v_add_f32_e32 v14, v15, v14
	v_dual_lshlrev_b32 v15, 16, v10 :: v_dual_lshlrev_b32 v19, 16, v16
	v_and_b32_e32 v10, 0xffff0000, v10
	v_pk_mul_bf16 v17, v23, v17
	v_and_b32_e32 v16, 0xffff0000, v16
	v_add_f32_e32 v11, v18, v11
	v_pk_mul_bf16 v13, v23, v13
	v_dual_add_f32 v10, v15, v10 :: v_dual_lshlrev_b32 v15, 16, v12
	v_lshlrev_b32_e32 v18, 16, v17
	v_and_b32_e32 v12, 0xffff0000, v12
	v_and_b32_e32 v17, 0xffff0000, v17
	v_add_f32_e32 v16, v19, v16
	v_add_f32_e32 v10, v11, v10
	v_pk_mul_bf16 v6, v27, v6
	v_add_f32_e32 v11, v15, v12
	v_pk_mul_bf16 v7, v26, v7
	;; [unrolled: 2-line block ×3, first 2 shown]
	v_pk_mul_bf16 v2, v27, v2
	s_delay_alu instid0(VALU_DEP_4)
	v_dual_add_f32 v10, v11, v10 :: v_dual_lshlrev_b32 v16, 16, v7
	v_lshlrev_b32_e32 v11, 16, v13
	v_and_b32_e32 v13, 0xffff0000, v13
	v_lshlrev_b32_e32 v15, 16, v6
	v_and_b32_e32 v6, 0xffff0000, v6
	v_and_b32_e32 v7, 0xffff0000, v7
	v_pk_mul_bf16 v3, v26, v3
	v_dual_add_f32 v11, v11, v13 :: v_dual_lshlrev_b32 v13, 16, v8
	s_delay_alu instid0(VALU_DEP_3)
	v_dual_add_f32 v6, v15, v6 :: v_dual_add_f32 v7, v16, v7
	v_and_b32_e32 v8, 0xffff0000, v8
	v_lshlrev_b32_e32 v15, 16, v2
	v_and_b32_e32 v2, 0xffff0000, v2
	v_lshlrev_b32_e32 v16, 16, v3
	v_and_b32_e32 v3, 0xffff0000, v3
	v_add_f32_e32 v14, v18, v17
	v_pk_mul_bf16 v9, v23, v9
	v_dual_add_f32 v17, v7, v6 :: v_dual_add_f32 v13, v13, v8
	s_delay_alu instid0(VALU_DEP_4) | instskip(NEXT) | instid1(VALU_DEP_3)
	v_dual_add_f32 v2, v15, v2 :: v_dual_add_f32 v3, v16, v3
	v_lshlrev_b32_e32 v15, 16, v9
	v_pk_mul_bf16 v4, v22, v4
	v_pk_mul_bf16 v18, v23, v5
	s_wait_loadcnt 0x0
	v_pk_mul_bf16 v6, v22, v56
	v_add_f32_e32 v19, v3, v2
	v_pk_mul_bf16 v2, v27, v54
	v_lshlrev_b32_e32 v20, 16, v4
	v_and_b32_e32 v21, 0xffff0000, v4
	v_pk_mul_bf16 v4, v26, v55
	v_pk_mul_bf16 v8, v23, v57
	v_and_b32_e32 v3, 0xffff0000, v2
	v_lshlrev_b32_e32 v5, 16, v2
	v_and_b32_e32 v16, 0xffff0000, v9
	v_and_b32_e32 v2, 0xffff0000, v4
	v_lshlrev_b32_e32 v4, 16, v4
	v_and_b32_e32 v7, 0xffff0000, v6
	v_lshlrev_b32_e32 v9, 16, v6
	;; [unrolled: 2-line block ×3, first 2 shown]
	v_pk_add_f32 v[2:3], v[4:5], v[2:3]
	v_dual_add_f32 v20, v20, v21 :: v_dual_lshlrev_b32 v21, 16, v18
	v_and_b32_e32 v18, 0xffff0000, v18
	s_delay_alu instid0(VALU_DEP_4) | instskip(NEXT) | instid1(VALU_DEP_4)
	v_pk_add_f32 v[4:5], v[8:9], v[6:7]
	v_dual_add_f32 v2, v2, v3 :: v_dual_add_f32 v3, v13, v17
	s_delay_alu instid0(VALU_DEP_4) | instskip(NEXT) | instid1(VALU_DEP_4)
	v_dual_add_f32 v6, v15, v16 :: v_dual_add_f32 v7, v20, v19
	v_add_f32_e32 v8, v21, v18
	s_delay_alu instid0(VALU_DEP_3) | instskip(NEXT) | instid1(VALU_DEP_3)
	v_dual_add_f32 v2, v5, v2 :: v_dual_add_f32 v5, v14, v12
	v_dual_add_f32 v9, v11, v10 :: v_dual_add_f32 v3, v6, v3
	s_delay_alu instid0(VALU_DEP_3) | instskip(NEXT) | instid1(VALU_DEP_3)
	v_add_f32_e32 v6, v8, v7
	v_dual_add_f32 v2, v4, v2 :: v_dual_add_f32 v1, v1, v5
	s_delay_alu instid0(VALU_DEP_3) | instskip(NEXT) | instid1(VALU_DEP_3)
	v_dual_add_f32 v0, v0, v9 :: v_dual_add_f32 v89, v89, v3
	v_add_f32_e32 v88, v88, v6
	s_delay_alu instid0(VALU_DEP_3)
	v_add_f32_e32 v77, v77, v2
.LBB150_44:                             ;   in Loop: Header=BB150_45 Depth=1
	s_or_b32 exec_lo, exec_lo, s18
	v_add_nc_u32_e32 v99, 4, v99
	v_add_nc_u64_e32 v[92:93], 16, v[92:93]
	v_add_nc_u32_e32 v74, 0x80, v74
	v_add_nc_u32_e32 v98, 0x200, v98
	s_delay_alu instid0(VALU_DEP_4) | instskip(SKIP_1) | instid1(SALU_CYCLE_1)
	v_cmp_le_i32_e32 vcc_lo, s31, v99
	s_or_b32 s17, vcc_lo, s17
	s_and_not1_b32 exec_lo, exec_lo, s17
	s_cbranch_execz .LBB150_78
.LBB150_45:                             ; =>This Inner Loop Header: Depth=1
	v_mul_u64_e32 v[2:3], s[14:15], v[74:75]
	s_delay_alu instid0(VALU_DEP_1) | instskip(NEXT) | instid1(VALU_DEP_1)
	v_mul_lo_u32 v2, v3, s8
	v_dual_add_nc_u32 v4, 1, v3 :: v_dual_sub_nc_u32 v2, v74, v2
	s_delay_alu instid0(VALU_DEP_1) | instskip(SKIP_1) | instid1(VALU_DEP_2)
	v_subrev_nc_u32_e32 v5, s8, v2
	v_cmp_le_u32_e32 vcc_lo, s8, v2
	v_dual_cndmask_b32 v3, v3, v4 :: v_dual_cndmask_b32 v2, v2, v5
	s_delay_alu instid0(VALU_DEP_1) | instskip(NEXT) | instid1(VALU_DEP_2)
	v_add_nc_u32_e32 v4, 1, v3
	v_cmp_le_u32_e32 vcc_lo, s8, v2
	s_delay_alu instid0(VALU_DEP_2) | instskip(NEXT) | instid1(VALU_DEP_1)
	v_cndmask_b32_e32 v2, v3, v4, vcc_lo
	v_dual_mov_b32 v3, v75 :: v_dual_bitop2_b32 v2, s30, v2 bitop3:0x14
	s_delay_alu instid0(VALU_DEP_1) | instskip(NEXT) | instid1(VALU_DEP_1)
	v_subrev_nc_u32_e32 v6, s30, v2
	v_add_nc_u32_e32 v7, s13, v6
	v_cmp_lt_i32_e64 s0, s24, v6
	s_delay_alu instid0(VALU_DEP_2) | instskip(NEXT) | instid1(VALU_DEP_1)
	v_sub_nc_u32_e32 v2, 0, v7
	v_max_i32_e32 v2, v7, v2
	s_delay_alu instid0(VALU_DEP_1) | instskip(SKIP_1) | instid1(VALU_DEP_2)
	v_mul_u64_e32 v[4:5], s[4:5], v[2:3]
	v_ashrrev_i32_e32 v4, 31, v7
	v_mul_lo_u32 v3, v5, s6
	s_delay_alu instid0(VALU_DEP_1) | instskip(NEXT) | instid1(VALU_DEP_1)
	v_sub_nc_u32_e32 v2, v2, v3
	v_subrev_nc_u32_e32 v3, s6, v2
	v_cmp_le_u32_e32 vcc_lo, s6, v2
	s_delay_alu instid0(VALU_DEP_2) | instskip(NEXT) | instid1(VALU_DEP_1)
	v_cndmask_b32_e32 v2, v2, v3, vcc_lo
	v_subrev_nc_u32_e32 v3, s6, v2
	v_cmp_le_u32_e32 vcc_lo, s6, v2
	s_delay_alu instid0(VALU_DEP_2) | instskip(NEXT) | instid1(VALU_DEP_1)
	v_cndmask_b32_e32 v2, v2, v3, vcc_lo
	v_xor_b32_e32 v2, v2, v4
	s_delay_alu instid0(VALU_DEP_1) | instskip(NEXT) | instid1(VALU_DEP_1)
	v_sub_nc_u32_e32 v2, v2, v4
	v_cmp_eq_u32_e32 vcc_lo, 0, v2
	s_or_b32 s0, vcc_lo, s0
	s_delay_alu instid0(SALU_CYCLE_1)
	s_and_saveexec_b32 s18, s0
	s_cbranch_execz .LBB150_44
; %bb.46:                               ;   in Loop: Header=BB150_45 Depth=1
	global_load_b32 v2, v[92:93], off
	v_add_nc_u32_e32 v107, v97, v74
	v_cmp_eq_u32_e32 vcc_lo, s9, v99
	s_delay_alu instid0(VALU_DEP_2)
	v_or_b32_e32 v104, 3, v107
	v_or_b32_e32 v106, 2, v107
	;; [unrolled: 1-line block ×5, first 2 shown]
	v_dual_add_nc_u32 v105, 1, v107 :: v_dual_bitop2_b32 v102, 6, v107 bitop3:0x54
	s_wait_loadcnt 0x0
	v_ashrrev_i32_e32 v3, 31, v2
	s_delay_alu instid0(VALU_DEP_1) | instskip(NEXT) | instid1(VALU_DEP_1)
	v_mul_u64_e32 v[2:3], s[2:3], v[2:3]
	v_lshl_add_u64 v[54:55], v[2:3], 1, v[90:91]
	global_load_b128 v[2:5], v[54:55], off
	ds_load_2addr_b64 v[26:29], v98 offset1:1
	ds_load_2addr_b64 v[22:25], v98 offset0:2 offset1:3
	s_wait_xcnt 0x0
	s_and_saveexec_b32 s19, vcc_lo
	s_cbranch_execnz .LBB150_62
; %bb.47:                               ;   in Loop: Header=BB150_45 Depth=1
	s_or_b32 exec_lo, exec_lo, s19
	global_load_b128 v[6:9], v[54:55], off offset:512
	s_wait_xcnt 0x0
	s_and_saveexec_b32 s19, vcc_lo
	s_cbranch_execnz .LBB150_63
.LBB150_48:                             ;   in Loop: Header=BB150_45 Depth=1
	s_or_b32 exec_lo, exec_lo, s19
	global_load_b128 v[10:13], v[54:55], off offset:1024
	s_wait_xcnt 0x0
	s_and_saveexec_b32 s19, vcc_lo
	s_cbranch_execnz .LBB150_64
.LBB150_49:                             ;   in Loop: Header=BB150_45 Depth=1
	s_or_b32 exec_lo, exec_lo, s19
	global_load_b128 v[14:17], v[54:55], off offset:1536
	s_wait_xcnt 0x0
	s_and_saveexec_b32 s19, vcc_lo
	s_cbranch_execnz .LBB150_65
.LBB150_50:                             ;   in Loop: Header=BB150_45 Depth=1
	s_or_b32 exec_lo, exec_lo, s19
	global_load_b128 v[18:21], v[54:55], off offset:2048
	s_wait_xcnt 0x0
	s_and_saveexec_b32 s19, vcc_lo
	s_cbranch_execnz .LBB150_66
.LBB150_51:                             ;   in Loop: Header=BB150_45 Depth=1
	s_or_b32 exec_lo, exec_lo, s19
	global_load_b128 v[30:33], v[54:55], off offset:2560
	s_wait_xcnt 0x0
	s_and_saveexec_b32 s19, vcc_lo
	s_cbranch_execnz .LBB150_67
.LBB150_52:                             ;   in Loop: Header=BB150_45 Depth=1
	s_or_b32 exec_lo, exec_lo, s19
	global_load_b128 v[34:37], v[54:55], off offset:3072
	s_wait_xcnt 0x0
	s_and_saveexec_b32 s19, vcc_lo
	s_cbranch_execnz .LBB150_68
.LBB150_53:                             ;   in Loop: Header=BB150_45 Depth=1
	s_or_b32 exec_lo, exec_lo, s19
	global_load_b128 v[38:41], v[54:55], off offset:3584
	s_wait_xcnt 0x0
	s_and_saveexec_b32 s19, vcc_lo
	s_cbranch_execnz .LBB150_69
.LBB150_54:                             ;   in Loop: Header=BB150_45 Depth=1
	s_or_b32 exec_lo, exec_lo, s19
	global_load_b128 v[42:45], v[54:55], off offset:4096
	s_wait_xcnt 0x0
	s_and_saveexec_b32 s19, vcc_lo
	s_cbranch_execnz .LBB150_70
.LBB150_55:                             ;   in Loop: Header=BB150_45 Depth=1
	s_or_b32 exec_lo, exec_lo, s19
	global_load_b128 v[46:49], v[54:55], off offset:4608
	s_wait_xcnt 0x0
	s_and_saveexec_b32 s19, vcc_lo
	s_cbranch_execnz .LBB150_71
.LBB150_56:                             ;   in Loop: Header=BB150_45 Depth=1
	s_or_b32 exec_lo, exec_lo, s19
	global_load_b128 v[50:53], v[54:55], off offset:5120
	s_wait_xcnt 0x0
	s_and_saveexec_b32 s19, vcc_lo
	s_cbranch_execnz .LBB150_72
.LBB150_57:                             ;   in Loop: Header=BB150_45 Depth=1
	s_or_b32 exec_lo, exec_lo, s19
	global_load_b128 v[58:61], v[54:55], off offset:5632
	s_wait_xcnt 0x0
	s_and_saveexec_b32 s19, vcc_lo
	s_cbranch_execnz .LBB150_73
.LBB150_58:                             ;   in Loop: Header=BB150_45 Depth=1
	s_or_b32 exec_lo, exec_lo, s19
	global_load_b128 v[62:65], v[54:55], off offset:6144
	s_wait_xcnt 0x0
	s_and_saveexec_b32 s19, vcc_lo
	s_cbranch_execnz .LBB150_74
.LBB150_59:                             ;   in Loop: Header=BB150_45 Depth=1
	s_or_b32 exec_lo, exec_lo, s19
	global_load_b128 v[66:69], v[54:55], off offset:6656
	s_wait_xcnt 0x0
	s_and_saveexec_b32 s19, vcc_lo
	s_cbranch_execnz .LBB150_75
.LBB150_60:                             ;   in Loop: Header=BB150_45 Depth=1
	s_or_b32 exec_lo, exec_lo, s19
	global_load_b128 v[70:73], v[54:55], off offset:7168
	s_wait_xcnt 0x0
	s_and_saveexec_b32 s19, vcc_lo
	s_cbranch_execnz .LBB150_76
.LBB150_61:                             ;   in Loop: Header=BB150_45 Depth=1
	s_or_b32 exec_lo, exec_lo, s19
	global_load_b128 v[54:57], v[54:55], off offset:7680
	s_wait_xcnt 0x0
	s_and_saveexec_b32 s0, vcc_lo
	s_cbranch_execz .LBB150_43
	s_branch .LBB150_77
.LBB150_62:                             ;   in Loop: Header=BB150_45 Depth=1
	v_cmp_gt_i32_e64 s0, s29, v107
	s_wait_loadcnt 0x0
	v_dual_lshrrev_b32 v6, 16, v2 :: v_dual_lshrrev_b32 v8, 16, v4
	s_delay_alu instid0(VALU_DEP_2) | instskip(SKIP_1) | instid1(VALU_DEP_1)
	v_cndmask_b32_e64 v2, 0, v2, s0
	v_cmp_gt_i32_e64 s0, s16, v105
	v_dual_lshrrev_b32 v7, 16, v3 :: v_dual_cndmask_b32 v6, 0, v6, s0
	v_cmp_gt_i32_e64 s0, s29, v106
	s_delay_alu instid0(VALU_DEP_2) | instskip(NEXT) | instid1(VALU_DEP_2)
	v_perm_b32 v2, v6, v2, 0x5040100
	v_cndmask_b32_e64 v3, 0, v3, s0
	v_cmp_gt_i32_e64 s0, s16, v104
	s_delay_alu instid0(VALU_DEP_1) | instskip(SKIP_1) | instid1(VALU_DEP_1)
	v_cndmask_b32_e64 v7, 0, v7, s0
	v_cmp_gt_i32_e64 s0, s29, v103
	v_cndmask_b32_e64 v4, 0, v4, s0
	v_cmp_gt_i32_e64 s0, s16, v101
	v_lshrrev_b32_e32 v9, 16, v5
	v_perm_b32 v3, v7, v3, 0x5040100
	s_delay_alu instid0(VALU_DEP_3) | instskip(SKIP_1) | instid1(VALU_DEP_2)
	v_cndmask_b32_e64 v8, 0, v8, s0
	v_cmp_gt_i32_e64 s0, s29, v102
	v_perm_b32 v4, v8, v4, 0x5040100
	s_delay_alu instid0(VALU_DEP_2) | instskip(SKIP_1) | instid1(VALU_DEP_1)
	v_cndmask_b32_e64 v5, 0, v5, s0
	v_cmp_gt_i32_e64 s0, s16, v100
	v_cndmask_b32_e64 v9, 0, v9, s0
	s_delay_alu instid0(VALU_DEP_1)
	v_perm_b32 v5, v9, v5, 0x5040100
	s_or_b32 exec_lo, exec_lo, s19
	global_load_b128 v[6:9], v[54:55], off offset:512
	s_wait_xcnt 0x0
	s_and_saveexec_b32 s19, vcc_lo
	s_cbranch_execz .LBB150_48
.LBB150_63:                             ;   in Loop: Header=BB150_45 Depth=1
	v_cmp_gt_i32_e64 s0, s29, v107
	s_wait_loadcnt 0x0
	v_dual_lshrrev_b32 v10, 16, v6 :: v_dual_lshrrev_b32 v12, 16, v8
	s_delay_alu instid0(VALU_DEP_2) | instskip(SKIP_1) | instid1(VALU_DEP_1)
	v_cndmask_b32_e64 v6, 0, v6, s0
	v_cmp_gt_i32_e64 s0, s16, v105
	v_dual_lshrrev_b32 v11, 16, v7 :: v_dual_cndmask_b32 v10, 0, v10, s0
	v_cmp_gt_i32_e64 s0, s29, v106
	s_delay_alu instid0(VALU_DEP_2) | instskip(NEXT) | instid1(VALU_DEP_2)
	v_perm_b32 v6, v10, v6, 0x5040100
	v_cndmask_b32_e64 v7, 0, v7, s0
	v_cmp_gt_i32_e64 s0, s16, v104
	s_delay_alu instid0(VALU_DEP_1) | instskip(SKIP_1) | instid1(VALU_DEP_1)
	v_cndmask_b32_e64 v11, 0, v11, s0
	v_cmp_gt_i32_e64 s0, s29, v103
	v_cndmask_b32_e64 v8, 0, v8, s0
	v_cmp_gt_i32_e64 s0, s16, v101
	v_lshrrev_b32_e32 v13, 16, v9
	v_perm_b32 v7, v11, v7, 0x5040100
	s_delay_alu instid0(VALU_DEP_3) | instskip(SKIP_1) | instid1(VALU_DEP_2)
	v_cndmask_b32_e64 v12, 0, v12, s0
	v_cmp_gt_i32_e64 s0, s29, v102
	v_perm_b32 v8, v12, v8, 0x5040100
	s_delay_alu instid0(VALU_DEP_2) | instskip(SKIP_1) | instid1(VALU_DEP_1)
	v_cndmask_b32_e64 v9, 0, v9, s0
	v_cmp_gt_i32_e64 s0, s16, v100
	v_cndmask_b32_e64 v13, 0, v13, s0
	s_delay_alu instid0(VALU_DEP_1)
	v_perm_b32 v9, v13, v9, 0x5040100
	s_or_b32 exec_lo, exec_lo, s19
	global_load_b128 v[10:13], v[54:55], off offset:1024
	s_wait_xcnt 0x0
	s_and_saveexec_b32 s19, vcc_lo
	s_cbranch_execz .LBB150_49
.LBB150_64:                             ;   in Loop: Header=BB150_45 Depth=1
	v_cmp_gt_i32_e64 s0, s29, v107
	s_wait_loadcnt 0x0
	v_dual_lshrrev_b32 v14, 16, v10 :: v_dual_lshrrev_b32 v16, 16, v12
	s_delay_alu instid0(VALU_DEP_2) | instskip(SKIP_1) | instid1(VALU_DEP_1)
	v_cndmask_b32_e64 v10, 0, v10, s0
	v_cmp_gt_i32_e64 s0, s16, v105
	v_dual_lshrrev_b32 v15, 16, v11 :: v_dual_cndmask_b32 v14, 0, v14, s0
	v_cmp_gt_i32_e64 s0, s29, v106
	s_delay_alu instid0(VALU_DEP_2) | instskip(NEXT) | instid1(VALU_DEP_2)
	v_perm_b32 v10, v14, v10, 0x5040100
	v_cndmask_b32_e64 v11, 0, v11, s0
	v_cmp_gt_i32_e64 s0, s16, v104
	s_delay_alu instid0(VALU_DEP_1) | instskip(SKIP_1) | instid1(VALU_DEP_1)
	v_cndmask_b32_e64 v15, 0, v15, s0
	v_cmp_gt_i32_e64 s0, s29, v103
	v_cndmask_b32_e64 v12, 0, v12, s0
	v_cmp_gt_i32_e64 s0, s16, v101
	v_lshrrev_b32_e32 v17, 16, v13
	v_perm_b32 v11, v15, v11, 0x5040100
	s_delay_alu instid0(VALU_DEP_3) | instskip(SKIP_1) | instid1(VALU_DEP_2)
	v_cndmask_b32_e64 v16, 0, v16, s0
	v_cmp_gt_i32_e64 s0, s29, v102
	v_perm_b32 v12, v16, v12, 0x5040100
	s_delay_alu instid0(VALU_DEP_2) | instskip(SKIP_1) | instid1(VALU_DEP_1)
	v_cndmask_b32_e64 v13, 0, v13, s0
	v_cmp_gt_i32_e64 s0, s16, v100
	v_cndmask_b32_e64 v17, 0, v17, s0
	s_delay_alu instid0(VALU_DEP_1)
	v_perm_b32 v13, v17, v13, 0x5040100
	s_or_b32 exec_lo, exec_lo, s19
	global_load_b128 v[14:17], v[54:55], off offset:1536
	s_wait_xcnt 0x0
	s_and_saveexec_b32 s19, vcc_lo
	s_cbranch_execz .LBB150_50
.LBB150_65:                             ;   in Loop: Header=BB150_45 Depth=1
	v_cmp_gt_i32_e64 s0, s29, v107
	s_wait_loadcnt 0x0
	v_dual_lshrrev_b32 v18, 16, v14 :: v_dual_lshrrev_b32 v20, 16, v16
	s_delay_alu instid0(VALU_DEP_2) | instskip(SKIP_1) | instid1(VALU_DEP_1)
	v_cndmask_b32_e64 v14, 0, v14, s0
	v_cmp_gt_i32_e64 s0, s16, v105
	v_dual_lshrrev_b32 v19, 16, v15 :: v_dual_cndmask_b32 v18, 0, v18, s0
	v_cmp_gt_i32_e64 s0, s29, v106
	s_delay_alu instid0(VALU_DEP_2) | instskip(NEXT) | instid1(VALU_DEP_2)
	v_perm_b32 v14, v18, v14, 0x5040100
	v_cndmask_b32_e64 v15, 0, v15, s0
	v_cmp_gt_i32_e64 s0, s16, v104
	s_delay_alu instid0(VALU_DEP_1) | instskip(SKIP_1) | instid1(VALU_DEP_1)
	v_cndmask_b32_e64 v19, 0, v19, s0
	v_cmp_gt_i32_e64 s0, s29, v103
	v_cndmask_b32_e64 v16, 0, v16, s0
	v_cmp_gt_i32_e64 s0, s16, v101
	v_lshrrev_b32_e32 v21, 16, v17
	v_perm_b32 v15, v19, v15, 0x5040100
	s_delay_alu instid0(VALU_DEP_3) | instskip(SKIP_1) | instid1(VALU_DEP_2)
	v_cndmask_b32_e64 v20, 0, v20, s0
	v_cmp_gt_i32_e64 s0, s29, v102
	v_perm_b32 v16, v20, v16, 0x5040100
	s_delay_alu instid0(VALU_DEP_2) | instskip(SKIP_1) | instid1(VALU_DEP_1)
	v_cndmask_b32_e64 v17, 0, v17, s0
	v_cmp_gt_i32_e64 s0, s16, v100
	v_cndmask_b32_e64 v21, 0, v21, s0
	s_delay_alu instid0(VALU_DEP_1)
	v_perm_b32 v17, v21, v17, 0x5040100
	s_or_b32 exec_lo, exec_lo, s19
	global_load_b128 v[18:21], v[54:55], off offset:2048
	s_wait_xcnt 0x0
	s_and_saveexec_b32 s19, vcc_lo
	s_cbranch_execz .LBB150_51
.LBB150_66:                             ;   in Loop: Header=BB150_45 Depth=1
	v_cmp_gt_i32_e64 s0, s29, v107
	s_wait_loadcnt 0x0
	v_dual_lshrrev_b32 v30, 16, v18 :: v_dual_lshrrev_b32 v32, 16, v20
	s_delay_alu instid0(VALU_DEP_2) | instskip(SKIP_1) | instid1(VALU_DEP_1)
	v_cndmask_b32_e64 v18, 0, v18, s0
	v_cmp_gt_i32_e64 s0, s16, v105
	v_dual_lshrrev_b32 v31, 16, v19 :: v_dual_cndmask_b32 v30, 0, v30, s0
	v_cmp_gt_i32_e64 s0, s29, v106
	s_delay_alu instid0(VALU_DEP_2) | instskip(NEXT) | instid1(VALU_DEP_2)
	v_perm_b32 v18, v30, v18, 0x5040100
	v_cndmask_b32_e64 v19, 0, v19, s0
	v_cmp_gt_i32_e64 s0, s16, v104
	s_delay_alu instid0(VALU_DEP_1) | instskip(SKIP_1) | instid1(VALU_DEP_1)
	v_cndmask_b32_e64 v31, 0, v31, s0
	v_cmp_gt_i32_e64 s0, s29, v103
	v_cndmask_b32_e64 v20, 0, v20, s0
	v_cmp_gt_i32_e64 s0, s16, v101
	v_lshrrev_b32_e32 v33, 16, v21
	v_perm_b32 v19, v31, v19, 0x5040100
	s_delay_alu instid0(VALU_DEP_3) | instskip(SKIP_1) | instid1(VALU_DEP_2)
	v_cndmask_b32_e64 v32, 0, v32, s0
	v_cmp_gt_i32_e64 s0, s29, v102
	v_perm_b32 v20, v32, v20, 0x5040100
	s_delay_alu instid0(VALU_DEP_2) | instskip(SKIP_1) | instid1(VALU_DEP_1)
	v_cndmask_b32_e64 v21, 0, v21, s0
	v_cmp_gt_i32_e64 s0, s16, v100
	v_cndmask_b32_e64 v33, 0, v33, s0
	s_delay_alu instid0(VALU_DEP_1)
	v_perm_b32 v21, v33, v21, 0x5040100
	s_or_b32 exec_lo, exec_lo, s19
	global_load_b128 v[30:33], v[54:55], off offset:2560
	s_wait_xcnt 0x0
	s_and_saveexec_b32 s19, vcc_lo
	s_cbranch_execz .LBB150_52
.LBB150_67:                             ;   in Loop: Header=BB150_45 Depth=1
	v_cmp_gt_i32_e64 s0, s29, v107
	s_wait_loadcnt 0x0
	v_dual_lshrrev_b32 v34, 16, v30 :: v_dual_lshrrev_b32 v36, 16, v32
	s_delay_alu instid0(VALU_DEP_2) | instskip(SKIP_1) | instid1(VALU_DEP_1)
	v_cndmask_b32_e64 v30, 0, v30, s0
	v_cmp_gt_i32_e64 s0, s16, v105
	v_dual_lshrrev_b32 v35, 16, v31 :: v_dual_cndmask_b32 v34, 0, v34, s0
	v_cmp_gt_i32_e64 s0, s29, v106
	s_delay_alu instid0(VALU_DEP_2) | instskip(NEXT) | instid1(VALU_DEP_2)
	v_perm_b32 v30, v34, v30, 0x5040100
	v_cndmask_b32_e64 v31, 0, v31, s0
	v_cmp_gt_i32_e64 s0, s16, v104
	s_delay_alu instid0(VALU_DEP_1) | instskip(SKIP_1) | instid1(VALU_DEP_1)
	v_cndmask_b32_e64 v35, 0, v35, s0
	v_cmp_gt_i32_e64 s0, s29, v103
	v_cndmask_b32_e64 v32, 0, v32, s0
	v_cmp_gt_i32_e64 s0, s16, v101
	v_lshrrev_b32_e32 v37, 16, v33
	v_perm_b32 v31, v35, v31, 0x5040100
	s_delay_alu instid0(VALU_DEP_3) | instskip(SKIP_1) | instid1(VALU_DEP_2)
	v_cndmask_b32_e64 v36, 0, v36, s0
	v_cmp_gt_i32_e64 s0, s29, v102
	v_perm_b32 v32, v36, v32, 0x5040100
	s_delay_alu instid0(VALU_DEP_2) | instskip(SKIP_1) | instid1(VALU_DEP_1)
	v_cndmask_b32_e64 v33, 0, v33, s0
	v_cmp_gt_i32_e64 s0, s16, v100
	v_cndmask_b32_e64 v37, 0, v37, s0
	s_delay_alu instid0(VALU_DEP_1)
	v_perm_b32 v33, v37, v33, 0x5040100
	s_or_b32 exec_lo, exec_lo, s19
	global_load_b128 v[34:37], v[54:55], off offset:3072
	s_wait_xcnt 0x0
	s_and_saveexec_b32 s19, vcc_lo
	s_cbranch_execz .LBB150_53
.LBB150_68:                             ;   in Loop: Header=BB150_45 Depth=1
	v_cmp_gt_i32_e64 s0, s29, v107
	s_wait_loadcnt 0x0
	v_dual_lshrrev_b32 v38, 16, v34 :: v_dual_lshrrev_b32 v40, 16, v36
	s_delay_alu instid0(VALU_DEP_2) | instskip(SKIP_1) | instid1(VALU_DEP_1)
	v_cndmask_b32_e64 v34, 0, v34, s0
	v_cmp_gt_i32_e64 s0, s16, v105
	v_dual_lshrrev_b32 v39, 16, v35 :: v_dual_cndmask_b32 v38, 0, v38, s0
	v_cmp_gt_i32_e64 s0, s29, v106
	s_delay_alu instid0(VALU_DEP_2) | instskip(NEXT) | instid1(VALU_DEP_2)
	v_perm_b32 v34, v38, v34, 0x5040100
	v_cndmask_b32_e64 v35, 0, v35, s0
	v_cmp_gt_i32_e64 s0, s16, v104
	s_delay_alu instid0(VALU_DEP_1) | instskip(SKIP_1) | instid1(VALU_DEP_1)
	v_cndmask_b32_e64 v39, 0, v39, s0
	v_cmp_gt_i32_e64 s0, s29, v103
	v_cndmask_b32_e64 v36, 0, v36, s0
	v_cmp_gt_i32_e64 s0, s16, v101
	v_lshrrev_b32_e32 v41, 16, v37
	v_perm_b32 v35, v39, v35, 0x5040100
	s_delay_alu instid0(VALU_DEP_3) | instskip(SKIP_1) | instid1(VALU_DEP_2)
	v_cndmask_b32_e64 v40, 0, v40, s0
	v_cmp_gt_i32_e64 s0, s29, v102
	v_perm_b32 v36, v40, v36, 0x5040100
	s_delay_alu instid0(VALU_DEP_2) | instskip(SKIP_1) | instid1(VALU_DEP_1)
	v_cndmask_b32_e64 v37, 0, v37, s0
	v_cmp_gt_i32_e64 s0, s16, v100
	v_cndmask_b32_e64 v41, 0, v41, s0
	s_delay_alu instid0(VALU_DEP_1)
	v_perm_b32 v37, v41, v37, 0x5040100
	s_or_b32 exec_lo, exec_lo, s19
	global_load_b128 v[38:41], v[54:55], off offset:3584
	s_wait_xcnt 0x0
	s_and_saveexec_b32 s19, vcc_lo
	s_cbranch_execz .LBB150_54
.LBB150_69:                             ;   in Loop: Header=BB150_45 Depth=1
	v_cmp_gt_i32_e64 s0, s29, v107
	s_wait_loadcnt 0x0
	v_dual_lshrrev_b32 v42, 16, v38 :: v_dual_lshrrev_b32 v44, 16, v40
	s_delay_alu instid0(VALU_DEP_2) | instskip(SKIP_1) | instid1(VALU_DEP_1)
	v_cndmask_b32_e64 v38, 0, v38, s0
	v_cmp_gt_i32_e64 s0, s16, v105
	v_dual_lshrrev_b32 v43, 16, v39 :: v_dual_cndmask_b32 v42, 0, v42, s0
	v_cmp_gt_i32_e64 s0, s29, v106
	s_delay_alu instid0(VALU_DEP_2) | instskip(NEXT) | instid1(VALU_DEP_2)
	v_perm_b32 v38, v42, v38, 0x5040100
	v_cndmask_b32_e64 v39, 0, v39, s0
	v_cmp_gt_i32_e64 s0, s16, v104
	s_delay_alu instid0(VALU_DEP_1) | instskip(SKIP_1) | instid1(VALU_DEP_1)
	v_cndmask_b32_e64 v43, 0, v43, s0
	v_cmp_gt_i32_e64 s0, s29, v103
	v_cndmask_b32_e64 v40, 0, v40, s0
	v_cmp_gt_i32_e64 s0, s16, v101
	v_lshrrev_b32_e32 v45, 16, v41
	v_perm_b32 v39, v43, v39, 0x5040100
	s_delay_alu instid0(VALU_DEP_3) | instskip(SKIP_1) | instid1(VALU_DEP_2)
	v_cndmask_b32_e64 v44, 0, v44, s0
	v_cmp_gt_i32_e64 s0, s29, v102
	v_perm_b32 v40, v44, v40, 0x5040100
	s_delay_alu instid0(VALU_DEP_2) | instskip(SKIP_1) | instid1(VALU_DEP_1)
	v_cndmask_b32_e64 v41, 0, v41, s0
	v_cmp_gt_i32_e64 s0, s16, v100
	v_cndmask_b32_e64 v45, 0, v45, s0
	s_delay_alu instid0(VALU_DEP_1)
	v_perm_b32 v41, v45, v41, 0x5040100
	s_or_b32 exec_lo, exec_lo, s19
	global_load_b128 v[42:45], v[54:55], off offset:4096
	s_wait_xcnt 0x0
	s_and_saveexec_b32 s19, vcc_lo
	s_cbranch_execz .LBB150_55
.LBB150_70:                             ;   in Loop: Header=BB150_45 Depth=1
	v_cmp_gt_i32_e64 s0, s29, v107
	s_wait_loadcnt 0x0
	v_dual_lshrrev_b32 v46, 16, v42 :: v_dual_lshrrev_b32 v48, 16, v44
	s_delay_alu instid0(VALU_DEP_2) | instskip(SKIP_1) | instid1(VALU_DEP_1)
	v_cndmask_b32_e64 v42, 0, v42, s0
	v_cmp_gt_i32_e64 s0, s16, v105
	v_dual_lshrrev_b32 v47, 16, v43 :: v_dual_cndmask_b32 v46, 0, v46, s0
	v_cmp_gt_i32_e64 s0, s29, v106
	s_delay_alu instid0(VALU_DEP_2) | instskip(NEXT) | instid1(VALU_DEP_2)
	v_perm_b32 v42, v46, v42, 0x5040100
	v_cndmask_b32_e64 v43, 0, v43, s0
	v_cmp_gt_i32_e64 s0, s16, v104
	s_delay_alu instid0(VALU_DEP_1) | instskip(SKIP_1) | instid1(VALU_DEP_1)
	v_cndmask_b32_e64 v47, 0, v47, s0
	v_cmp_gt_i32_e64 s0, s29, v103
	v_cndmask_b32_e64 v44, 0, v44, s0
	v_cmp_gt_i32_e64 s0, s16, v101
	v_lshrrev_b32_e32 v49, 16, v45
	v_perm_b32 v43, v47, v43, 0x5040100
	s_delay_alu instid0(VALU_DEP_3) | instskip(SKIP_1) | instid1(VALU_DEP_2)
	v_cndmask_b32_e64 v48, 0, v48, s0
	v_cmp_gt_i32_e64 s0, s29, v102
	v_perm_b32 v44, v48, v44, 0x5040100
	s_delay_alu instid0(VALU_DEP_2) | instskip(SKIP_1) | instid1(VALU_DEP_1)
	v_cndmask_b32_e64 v45, 0, v45, s0
	v_cmp_gt_i32_e64 s0, s16, v100
	v_cndmask_b32_e64 v49, 0, v49, s0
	s_delay_alu instid0(VALU_DEP_1)
	v_perm_b32 v45, v49, v45, 0x5040100
	s_or_b32 exec_lo, exec_lo, s19
	global_load_b128 v[46:49], v[54:55], off offset:4608
	s_wait_xcnt 0x0
	s_and_saveexec_b32 s19, vcc_lo
	s_cbranch_execz .LBB150_56
.LBB150_71:                             ;   in Loop: Header=BB150_45 Depth=1
	v_cmp_gt_i32_e64 s0, s29, v107
	s_wait_loadcnt 0x0
	v_dual_lshrrev_b32 v50, 16, v46 :: v_dual_lshrrev_b32 v52, 16, v48
	s_delay_alu instid0(VALU_DEP_2) | instskip(SKIP_1) | instid1(VALU_DEP_1)
	v_cndmask_b32_e64 v46, 0, v46, s0
	v_cmp_gt_i32_e64 s0, s16, v105
	v_dual_lshrrev_b32 v51, 16, v47 :: v_dual_cndmask_b32 v50, 0, v50, s0
	v_cmp_gt_i32_e64 s0, s29, v106
	s_delay_alu instid0(VALU_DEP_2) | instskip(NEXT) | instid1(VALU_DEP_2)
	v_perm_b32 v46, v50, v46, 0x5040100
	v_cndmask_b32_e64 v47, 0, v47, s0
	v_cmp_gt_i32_e64 s0, s16, v104
	s_delay_alu instid0(VALU_DEP_1) | instskip(SKIP_1) | instid1(VALU_DEP_1)
	v_cndmask_b32_e64 v51, 0, v51, s0
	v_cmp_gt_i32_e64 s0, s29, v103
	v_cndmask_b32_e64 v48, 0, v48, s0
	v_cmp_gt_i32_e64 s0, s16, v101
	v_lshrrev_b32_e32 v53, 16, v49
	v_perm_b32 v47, v51, v47, 0x5040100
	s_delay_alu instid0(VALU_DEP_3) | instskip(SKIP_1) | instid1(VALU_DEP_2)
	v_cndmask_b32_e64 v52, 0, v52, s0
	v_cmp_gt_i32_e64 s0, s29, v102
	v_perm_b32 v48, v52, v48, 0x5040100
	s_delay_alu instid0(VALU_DEP_2) | instskip(SKIP_1) | instid1(VALU_DEP_1)
	v_cndmask_b32_e64 v49, 0, v49, s0
	v_cmp_gt_i32_e64 s0, s16, v100
	v_cndmask_b32_e64 v53, 0, v53, s0
	s_delay_alu instid0(VALU_DEP_1)
	v_perm_b32 v49, v53, v49, 0x5040100
	s_or_b32 exec_lo, exec_lo, s19
	global_load_b128 v[50:53], v[54:55], off offset:5120
	s_wait_xcnt 0x0
	s_and_saveexec_b32 s19, vcc_lo
	s_cbranch_execz .LBB150_57
.LBB150_72:                             ;   in Loop: Header=BB150_45 Depth=1
	v_cmp_gt_i32_e64 s0, s29, v107
	s_wait_loadcnt 0x0
	s_delay_alu instid0(VALU_DEP_1) | instskip(SKIP_1) | instid1(VALU_DEP_1)
	v_dual_lshrrev_b32 v56, 16, v50 :: v_dual_cndmask_b32 v50, 0, v50, s0
	v_cmp_gt_i32_e64 s0, s16, v105
	v_dual_lshrrev_b32 v57, 16, v51 :: v_dual_cndmask_b32 v56, 0, v56, s0
	v_cmp_gt_i32_e64 s0, s29, v106
	s_delay_alu instid0(VALU_DEP_2) | instskip(NEXT) | instid1(VALU_DEP_2)
	v_perm_b32 v50, v56, v50, 0x5040100
	v_cndmask_b32_e64 v51, 0, v51, s0
	v_cmp_gt_i32_e64 s0, s16, v104
	s_delay_alu instid0(VALU_DEP_1) | instskip(SKIP_2) | instid1(VALU_DEP_3)
	v_cndmask_b32_e64 v57, 0, v57, s0
	v_cmp_gt_i32_e64 s0, s29, v103
	v_lshrrev_b32_e32 v58, 16, v52
	v_perm_b32 v51, v57, v51, 0x5040100
	s_delay_alu instid0(VALU_DEP_3) | instskip(SKIP_1) | instid1(VALU_DEP_1)
	v_cndmask_b32_e64 v52, 0, v52, s0
	v_cmp_gt_i32_e64 s0, s16, v101
	v_dual_lshrrev_b32 v59, 16, v53 :: v_dual_cndmask_b32 v58, 0, v58, s0
	v_cmp_gt_i32_e64 s0, s29, v102
	s_delay_alu instid0(VALU_DEP_2) | instskip(NEXT) | instid1(VALU_DEP_2)
	v_perm_b32 v52, v58, v52, 0x5040100
	v_cndmask_b32_e64 v53, 0, v53, s0
	v_cmp_gt_i32_e64 s0, s16, v100
	s_delay_alu instid0(VALU_DEP_1) | instskip(NEXT) | instid1(VALU_DEP_1)
	v_cndmask_b32_e64 v59, 0, v59, s0
	v_perm_b32 v53, v59, v53, 0x5040100
	s_or_b32 exec_lo, exec_lo, s19
	global_load_b128 v[58:61], v[54:55], off offset:5632
	s_wait_xcnt 0x0
	s_and_saveexec_b32 s19, vcc_lo
	s_cbranch_execz .LBB150_58
.LBB150_73:                             ;   in Loop: Header=BB150_45 Depth=1
	v_cmp_gt_i32_e64 s0, s29, v107
	s_wait_loadcnt 0x0
	s_delay_alu instid0(VALU_DEP_1) | instskip(SKIP_1) | instid1(VALU_DEP_1)
	v_dual_lshrrev_b32 v56, 16, v58 :: v_dual_cndmask_b32 v57, 0, v58, s0
	v_cmp_gt_i32_e64 s0, s16, v105
	v_dual_lshrrev_b32 v58, 16, v59 :: v_dual_cndmask_b32 v56, 0, v56, s0
	v_cmp_gt_i32_e64 s0, s29, v106
	s_delay_alu instid0(VALU_DEP_1) | instskip(SKIP_1) | instid1(VALU_DEP_1)
	v_cndmask_b32_e64 v59, 0, v59, s0
	v_cmp_gt_i32_e64 s0, s16, v104
	v_cndmask_b32_e64 v62, 0, v58, s0
	v_cmp_gt_i32_e64 s0, s29, v103
	v_lshrrev_b32_e32 v58, 16, v60
	s_delay_alu instid0(VALU_DEP_3) | instskip(NEXT) | instid1(VALU_DEP_3)
	v_perm_b32 v59, v62, v59, 0x5040100
	v_cndmask_b32_e64 v60, 0, v60, s0
	v_cmp_gt_i32_e64 s0, s16, v101
	s_delay_alu instid0(VALU_DEP_1) | instskip(SKIP_2) | instid1(VALU_DEP_3)
	v_dual_lshrrev_b32 v63, 16, v61 :: v_dual_cndmask_b32 v64, 0, v58, s0
	v_cmp_gt_i32_e64 s0, s29, v102
	v_perm_b32 v58, v56, v57, 0x5040100
	v_perm_b32 v60, v64, v60, 0x5040100
	s_delay_alu instid0(VALU_DEP_3) | instskip(SKIP_1) | instid1(VALU_DEP_1)
	v_cndmask_b32_e64 v61, 0, v61, s0
	v_cmp_gt_i32_e64 s0, s16, v100
	v_cndmask_b32_e64 v63, 0, v63, s0
	s_delay_alu instid0(VALU_DEP_1)
	v_perm_b32 v61, v63, v61, 0x5040100
	s_or_b32 exec_lo, exec_lo, s19
	global_load_b128 v[62:65], v[54:55], off offset:6144
	s_wait_xcnt 0x0
	s_and_saveexec_b32 s19, vcc_lo
	s_cbranch_execz .LBB150_59
.LBB150_74:                             ;   in Loop: Header=BB150_45 Depth=1
	v_cmp_gt_i32_e64 s0, s29, v107
	s_wait_loadcnt 0x0
	s_delay_alu instid0(VALU_DEP_1) | instskip(SKIP_1) | instid1(VALU_DEP_1)
	v_dual_lshrrev_b32 v56, 16, v62 :: v_dual_cndmask_b32 v57, 0, v62, s0
	v_cmp_gt_i32_e64 s0, s16, v105
	v_dual_lshrrev_b32 v62, 16, v63 :: v_dual_cndmask_b32 v56, 0, v56, s0
	v_cmp_gt_i32_e64 s0, s29, v106
	s_delay_alu instid0(VALU_DEP_1) | instskip(SKIP_1) | instid1(VALU_DEP_1)
	v_cndmask_b32_e64 v63, 0, v63, s0
	v_cmp_gt_i32_e64 s0, s16, v104
	v_cndmask_b32_e64 v66, 0, v62, s0
	v_cmp_gt_i32_e64 s0, s29, v103
	v_lshrrev_b32_e32 v62, 16, v64
	s_delay_alu instid0(VALU_DEP_3) | instskip(NEXT) | instid1(VALU_DEP_3)
	v_perm_b32 v63, v66, v63, 0x5040100
	v_cndmask_b32_e64 v64, 0, v64, s0
	v_cmp_gt_i32_e64 s0, s16, v101
	s_delay_alu instid0(VALU_DEP_1) | instskip(SKIP_2) | instid1(VALU_DEP_3)
	v_dual_lshrrev_b32 v67, 16, v65 :: v_dual_cndmask_b32 v68, 0, v62, s0
	v_cmp_gt_i32_e64 s0, s29, v102
	v_perm_b32 v62, v56, v57, 0x5040100
	v_perm_b32 v64, v68, v64, 0x5040100
	s_delay_alu instid0(VALU_DEP_3) | instskip(SKIP_1) | instid1(VALU_DEP_1)
	v_cndmask_b32_e64 v65, 0, v65, s0
	v_cmp_gt_i32_e64 s0, s16, v100
	v_cndmask_b32_e64 v67, 0, v67, s0
	s_delay_alu instid0(VALU_DEP_1)
	v_perm_b32 v65, v67, v65, 0x5040100
	s_or_b32 exec_lo, exec_lo, s19
	global_load_b128 v[66:69], v[54:55], off offset:6656
	s_wait_xcnt 0x0
	s_and_saveexec_b32 s19, vcc_lo
	s_cbranch_execz .LBB150_60
.LBB150_75:                             ;   in Loop: Header=BB150_45 Depth=1
	v_cmp_gt_i32_e64 s0, s29, v107
	s_wait_loadcnt 0x0
	s_delay_alu instid0(VALU_DEP_1) | instskip(SKIP_1) | instid1(VALU_DEP_1)
	v_dual_lshrrev_b32 v56, 16, v66 :: v_dual_cndmask_b32 v57, 0, v66, s0
	v_cmp_gt_i32_e64 s0, s16, v105
	v_dual_lshrrev_b32 v66, 16, v67 :: v_dual_cndmask_b32 v56, 0, v56, s0
	v_cmp_gt_i32_e64 s0, s29, v106
	s_delay_alu instid0(VALU_DEP_1) | instskip(SKIP_1) | instid1(VALU_DEP_1)
	v_cndmask_b32_e64 v67, 0, v67, s0
	v_cmp_gt_i32_e64 s0, s16, v104
	v_cndmask_b32_e64 v70, 0, v66, s0
	v_cmp_gt_i32_e64 s0, s29, v103
	v_lshrrev_b32_e32 v66, 16, v68
	s_delay_alu instid0(VALU_DEP_3) | instskip(NEXT) | instid1(VALU_DEP_3)
	v_perm_b32 v67, v70, v67, 0x5040100
	v_cndmask_b32_e64 v68, 0, v68, s0
	v_cmp_gt_i32_e64 s0, s16, v101
	s_delay_alu instid0(VALU_DEP_1) | instskip(SKIP_2) | instid1(VALU_DEP_3)
	v_dual_lshrrev_b32 v71, 16, v69 :: v_dual_cndmask_b32 v72, 0, v66, s0
	v_cmp_gt_i32_e64 s0, s29, v102
	v_perm_b32 v66, v56, v57, 0x5040100
	v_perm_b32 v68, v72, v68, 0x5040100
	s_delay_alu instid0(VALU_DEP_3) | instskip(SKIP_1) | instid1(VALU_DEP_1)
	v_cndmask_b32_e64 v69, 0, v69, s0
	v_cmp_gt_i32_e64 s0, s16, v100
	v_cndmask_b32_e64 v71, 0, v71, s0
	s_delay_alu instid0(VALU_DEP_1)
	v_perm_b32 v69, v71, v69, 0x5040100
	s_or_b32 exec_lo, exec_lo, s19
	global_load_b128 v[70:73], v[54:55], off offset:7168
	s_wait_xcnt 0x0
	s_and_saveexec_b32 s19, vcc_lo
	s_cbranch_execz .LBB150_61
.LBB150_76:                             ;   in Loop: Header=BB150_45 Depth=1
	v_cmp_gt_i32_e64 s0, s29, v107
	s_wait_loadcnt 0x0
	s_delay_alu instid0(VALU_DEP_1) | instskip(SKIP_1) | instid1(VALU_DEP_1)
	v_dual_lshrrev_b32 v56, 16, v70 :: v_dual_cndmask_b32 v57, 0, v70, s0
	v_cmp_gt_i32_e64 s0, s16, v105
	v_dual_lshrrev_b32 v70, 16, v71 :: v_dual_cndmask_b32 v56, 0, v56, s0
	v_cmp_gt_i32_e64 s0, s29, v106
	s_delay_alu instid0(VALU_DEP_1) | instskip(SKIP_1) | instid1(VALU_DEP_1)
	v_cndmask_b32_e64 v71, 0, v71, s0
	v_cmp_gt_i32_e64 s0, s16, v104
	v_cndmask_b32_e64 v108, 0, v70, s0
	v_cmp_gt_i32_e64 s0, s29, v103
	v_lshrrev_b32_e32 v70, 16, v72
	s_delay_alu instid0(VALU_DEP_3) | instskip(NEXT) | instid1(VALU_DEP_3)
	v_perm_b32 v71, v108, v71, 0x5040100
	v_cndmask_b32_e64 v72, 0, v72, s0
	v_cmp_gt_i32_e64 s0, s16, v101
	s_delay_alu instid0(VALU_DEP_1) | instskip(SKIP_2) | instid1(VALU_DEP_3)
	v_dual_lshrrev_b32 v109, 16, v73 :: v_dual_cndmask_b32 v110, 0, v70, s0
	v_cmp_gt_i32_e64 s0, s29, v102
	v_perm_b32 v70, v56, v57, 0x5040100
	v_perm_b32 v72, v110, v72, 0x5040100
	s_delay_alu instid0(VALU_DEP_3) | instskip(SKIP_1) | instid1(VALU_DEP_1)
	v_cndmask_b32_e64 v73, 0, v73, s0
	v_cmp_gt_i32_e64 s0, s16, v100
	v_cndmask_b32_e64 v109, 0, v109, s0
	s_delay_alu instid0(VALU_DEP_1)
	v_perm_b32 v73, v109, v73, 0x5040100
	s_or_b32 exec_lo, exec_lo, s19
	global_load_b128 v[54:57], v[54:55], off offset:7680
	s_wait_xcnt 0x0
	s_and_saveexec_b32 s0, vcc_lo
	s_cbranch_execz .LBB150_43
.LBB150_77:                             ;   in Loop: Header=BB150_45 Depth=1
	v_cmp_gt_i32_e32 vcc_lo, s29, v107
	s_wait_loadcnt 0x0
	v_dual_lshrrev_b32 v108, 16, v54 :: v_dual_cndmask_b32 v54, 0, v54, vcc_lo
	v_cmp_gt_i32_e32 vcc_lo, s16, v105
	s_delay_alu instid0(VALU_DEP_2) | instskip(SKIP_2) | instid1(VALU_DEP_3)
	v_dual_lshrrev_b32 v107, 16, v55 :: v_dual_cndmask_b32 v105, 0, v108, vcc_lo
	v_cmp_gt_i32_e32 vcc_lo, s29, v106
	v_lshrrev_b32_e32 v106, 16, v56
	v_perm_b32 v54, v105, v54, 0x5040100
	v_cndmask_b32_e32 v55, 0, v55, vcc_lo
	v_cmp_gt_i32_e32 vcc_lo, s16, v104
	v_cndmask_b32_e32 v104, 0, v107, vcc_lo
	v_cmp_gt_i32_e32 vcc_lo, s29, v103
	;; [unrolled: 2-line block ×3, first 2 shown]
	v_lshrrev_b32_e32 v103, 16, v57
	v_perm_b32 v55, v104, v55, 0x5040100
	v_cndmask_b32_e32 v101, 0, v106, vcc_lo
	v_cmp_gt_i32_e32 vcc_lo, s29, v102
	s_delay_alu instid0(VALU_DEP_2) | instskip(SKIP_3) | instid1(VALU_DEP_1)
	v_perm_b32 v56, v101, v56, 0x5040100
	v_cndmask_b32_e32 v57, 0, v57, vcc_lo
	v_cmp_gt_i32_e32 vcc_lo, s16, v100
	v_cndmask_b32_e32 v100, 0, v103, vcc_lo
	v_perm_b32 v57, v100, v57, 0x5040100
	s_branch .LBB150_43
.LBB150_78:
	s_or_b32 exec_lo, exec_lo, s17
.LBB150_79:
	s_delay_alu instid0(SALU_CYCLE_1)
	s_or_b32 exec_lo, exec_lo, s1
	ds_bpermute_b32 v4, v95, v0
	ds_bpermute_b32 v5, v95, v1
	;; [unrolled: 1-line block ×16, first 2 shown]
	v_and_b32_e32 v36, 0x3c3, v115
	s_mov_b32 s0, exec_lo
	s_wait_dscnt 0x0
	s_barrier_signal -1
	s_barrier_wait -1
	v_pk_add_f32 v[0:1], v[0:1], v[4:5]
	v_pk_add_f32 v[2:3], v[88:89], v[2:3]
	;; [unrolled: 1-line block ×3, first 2 shown]
	ds_bpermute_b32 v18, v94, v0
	v_pk_add_f32 v[6:7], v[84:85], v[8:9]
	ds_bpermute_b32 v19, v94, v1
	v_pk_add_f32 v[22:23], v[82:83], v[10:11]
	;; [unrolled: 2-line block ×4, first 2 shown]
	ds_bpermute_b32 v20, v94, v4
	ds_bpermute_b32 v21, v94, v5
	;; [unrolled: 1-line block ×10, first 2 shown]
	v_pk_add_f32 v[14:15], v[76:77], v[16:17]
	s_wait_dscnt 0xc
	v_pk_add_f32 v[10:11], v[0:1], v[18:19]
	ds_bpermute_b32 v16, v94, v14
	ds_bpermute_b32 v17, v94, v15
	v_and_b32_e32 v18, 31, v115
	s_wait_dscnt 0xc
	v_pk_add_f32 v[12:13], v[2:3], v[8:9]
	s_wait_dscnt 0xa
	v_pk_add_f32 v[8:9], v[4:5], v[20:21]
	v_and_b32_e32 v18, 28, v18
	s_wait_dscnt 0x8
	v_pk_add_f32 v[6:7], v[6:7], v[24:25]
	s_wait_dscnt 0x6
	v_pk_add_f32 v[4:5], v[22:23], v[30:31]
	;; [unrolled: 2-line block ×4, first 2 shown]
	v_cmpx_ne_u32_e32 64, v36
	s_xor_b32 s0, exec_lo, s0
	s_delay_alu instid0(SALU_CYCLE_1) | instskip(SKIP_4) | instid1(VALU_DEP_2)
	s_or_saveexec_b32 s0, s0
	s_wait_dscnt 0x0
	v_pk_add_f32 v[14:15], v[14:15], v[16:17]
	v_and_b32_e32 v16, 31, v115
	v_add_nc_u32_e32 v17, 0x120, v18
	v_dual_lshlrev_b32 v18, 9, v113 :: v_dual_lshrrev_b32 v16, 2, v16
	s_xor_b32 exec_lo, exec_lo, s0
	s_cbranch_execz .LBB150_81
; %bb.80:
	s_delay_alu instid0(VALU_DEP_1) | instskip(NEXT) | instid1(VALU_DEP_1)
	v_add_nc_u32_e32 v19, v17, v18
	v_add_nc_u32_e32 v20, 0xfffffc00, v19
	;; [unrolled: 1-line block ×9, first 2 shown]
	ds_store_b32 v20, v12
	ds_store_b32 v21, v13
	ds_store_b32 v22, v10
	ds_store_b32 v23, v11
	ds_store_b32 v24, v8
	ds_store_b32 v25, v9
	ds_store_b32 v26, v6
	ds_store_b32 v27, v7
	v_add_nc_u32_e32 v20, 0xfffffd00, v19
	v_add_nc_u32_e32 v21, 0xfffffd20, v19
	;; [unrolled: 1-line block ×8, first 2 shown]
	ds_store_b32 v20, v4
	ds_store_b32 v21, v5
	;; [unrolled: 1-line block ×8, first 2 shown]
.LBB150_81:
	s_or_b32 exec_lo, exec_lo, s0
	s_delay_alu instid0(VALU_DEP_1)
	v_lshlrev_b32_e32 v16, 2, v16
	s_mov_b32 s1, exec_lo
	v_cmp_eq_u32_e32 vcc_lo, 0, v96
	s_wait_dscnt 0x0
	s_barrier_signal -1
	v_add3_u32 v16, 0x120, v18, v16
	s_barrier_wait -1
	v_cmpx_gt_u32_e32 64, v115
	s_cbranch_execz .LBB150_100
; %bb.82:
	s_and_saveexec_b32 s0, vcc_lo
	s_cbranch_execnz .LBB150_124
; %bb.83:
	s_or_b32 exec_lo, exec_lo, s0
	s_and_saveexec_b32 s0, vcc_lo
	s_cbranch_execnz .LBB150_125
.LBB150_84:
	s_or_b32 exec_lo, exec_lo, s0
	s_and_saveexec_b32 s0, vcc_lo
	s_cbranch_execnz .LBB150_126
.LBB150_85:
	s_or_b32 exec_lo, exec_lo, s0
	s_and_saveexec_b32 s0, vcc_lo
	s_cbranch_execnz .LBB150_127
.LBB150_86:
	s_or_b32 exec_lo, exec_lo, s0
	s_and_saveexec_b32 s0, vcc_lo
	s_cbranch_execnz .LBB150_128
.LBB150_87:
	s_or_b32 exec_lo, exec_lo, s0
	s_and_saveexec_b32 s0, vcc_lo
	s_cbranch_execnz .LBB150_129
.LBB150_88:
	s_or_b32 exec_lo, exec_lo, s0
	s_and_saveexec_b32 s0, vcc_lo
	s_cbranch_execnz .LBB150_130
.LBB150_89:
	s_or_b32 exec_lo, exec_lo, s0
	s_and_saveexec_b32 s0, vcc_lo
	s_cbranch_execnz .LBB150_131
.LBB150_90:
	s_or_b32 exec_lo, exec_lo, s0
	s_and_saveexec_b32 s0, vcc_lo
	s_cbranch_execnz .LBB150_132
.LBB150_91:
	s_or_b32 exec_lo, exec_lo, s0
	s_and_saveexec_b32 s0, vcc_lo
	s_cbranch_execnz .LBB150_133
.LBB150_92:
	s_or_b32 exec_lo, exec_lo, s0
	s_and_saveexec_b32 s0, vcc_lo
	s_cbranch_execnz .LBB150_134
.LBB150_93:
	s_or_b32 exec_lo, exec_lo, s0
	s_and_saveexec_b32 s0, vcc_lo
	s_cbranch_execnz .LBB150_135
.LBB150_94:
	s_or_b32 exec_lo, exec_lo, s0
	s_and_saveexec_b32 s0, vcc_lo
	s_cbranch_execnz .LBB150_136
.LBB150_95:
	s_or_b32 exec_lo, exec_lo, s0
	s_and_saveexec_b32 s0, vcc_lo
	s_cbranch_execnz .LBB150_137
.LBB150_96:
	s_or_b32 exec_lo, exec_lo, s0
	s_and_saveexec_b32 s0, vcc_lo
	s_cbranch_execnz .LBB150_138
.LBB150_97:
	s_or_b32 exec_lo, exec_lo, s0
	s_and_saveexec_b32 s0, vcc_lo
	s_cbranch_execz .LBB150_99
.LBB150_98:
	ds_load_b32 v18, v16 offset:480
	s_wait_dscnt 0x0
	v_add_f32_e32 v15, v15, v18
.LBB150_99:
	s_or_b32 exec_lo, exec_lo, s0
.LBB150_100:
	s_delay_alu instid0(SALU_CYCLE_1) | instskip(SKIP_4) | instid1(VALU_DEP_1)
	s_or_b32 exec_lo, exec_lo, s1
	v_and_b32_e32 v18, 0x3e3, v115
	s_mov_b32 s1, exec_lo
	s_barrier_signal -1
	s_barrier_wait -1
	v_cmpx_eq_u32_e32 32, v18
	s_cbranch_execz .LBB150_102
; %bb.101:
	ds_store_2addr_b32 v17, v12, v13 offset1:8
	ds_store_2addr_b32 v17, v10, v11 offset0:16 offset1:24
	ds_store_2addr_b32 v17, v8, v9 offset0:32 offset1:40
	;; [unrolled: 1-line block ×7, first 2 shown]
.LBB150_102:
	s_or_b32 exec_lo, exec_lo, s1
	s_delay_alu instid0(SALU_CYCLE_1)
	s_mov_b32 s1, exec_lo
	s_wait_dscnt 0x0
	s_barrier_signal -1
	s_barrier_wait -1
	v_cmpx_gt_u32_e32 32, v115
	s_cbranch_execz .LBB150_121
; %bb.103:
	s_and_saveexec_b32 s0, vcc_lo
	s_cbranch_execnz .LBB150_139
; %bb.104:
	s_or_b32 exec_lo, exec_lo, s0
	s_and_saveexec_b32 s0, vcc_lo
	s_cbranch_execnz .LBB150_140
.LBB150_105:
	s_or_b32 exec_lo, exec_lo, s0
	s_and_saveexec_b32 s0, vcc_lo
	s_cbranch_execnz .LBB150_141
.LBB150_106:
	s_or_b32 exec_lo, exec_lo, s0
	s_and_saveexec_b32 s0, vcc_lo
	s_cbranch_execnz .LBB150_142
.LBB150_107:
	s_or_b32 exec_lo, exec_lo, s0
	s_and_saveexec_b32 s0, vcc_lo
	s_cbranch_execnz .LBB150_143
.LBB150_108:
	s_or_b32 exec_lo, exec_lo, s0
	s_and_saveexec_b32 s0, vcc_lo
	s_cbranch_execnz .LBB150_144
.LBB150_109:
	s_or_b32 exec_lo, exec_lo, s0
	s_and_saveexec_b32 s0, vcc_lo
	s_cbranch_execnz .LBB150_145
.LBB150_110:
	s_or_b32 exec_lo, exec_lo, s0
	s_and_saveexec_b32 s0, vcc_lo
	s_cbranch_execnz .LBB150_146
.LBB150_111:
	s_or_b32 exec_lo, exec_lo, s0
	s_and_saveexec_b32 s0, vcc_lo
	s_cbranch_execnz .LBB150_147
.LBB150_112:
	s_or_b32 exec_lo, exec_lo, s0
	s_and_saveexec_b32 s0, vcc_lo
	s_cbranch_execnz .LBB150_148
.LBB150_113:
	s_or_b32 exec_lo, exec_lo, s0
	s_and_saveexec_b32 s0, vcc_lo
	s_cbranch_execnz .LBB150_149
.LBB150_114:
	s_or_b32 exec_lo, exec_lo, s0
	s_and_saveexec_b32 s0, vcc_lo
	s_cbranch_execnz .LBB150_150
.LBB150_115:
	s_or_b32 exec_lo, exec_lo, s0
	s_and_saveexec_b32 s0, vcc_lo
	s_cbranch_execnz .LBB150_151
.LBB150_116:
	s_or_b32 exec_lo, exec_lo, s0
	s_and_saveexec_b32 s0, vcc_lo
	s_cbranch_execnz .LBB150_152
.LBB150_117:
	s_or_b32 exec_lo, exec_lo, s0
	s_and_saveexec_b32 s0, vcc_lo
	s_cbranch_execnz .LBB150_153
.LBB150_118:
	s_or_b32 exec_lo, exec_lo, s0
	s_and_saveexec_b32 s0, vcc_lo
	s_cbranch_execz .LBB150_120
.LBB150_119:
	ds_load_b32 v16, v16 offset:480
	s_wait_dscnt 0x0
	v_add_f32_e32 v15, v15, v16
.LBB150_120:
	s_or_b32 exec_lo, exec_lo, s0
.LBB150_121:
	s_delay_alu instid0(SALU_CYCLE_1)
	s_or_b32 exec_lo, exec_lo, s1
	s_mov_b32 s1, 0
	s_barrier_signal -1
	s_barrier_wait -1
	s_mov_b32 s0, exec_lo
	v_cmpx_eq_u32_e32 0, v18
	s_cbranch_execz .LBB150_123
; %bb.122:
	s_mul_i32 s0, s28, s7
	s_mul_i32 s2, s7, s12
	;; [unrolled: 1-line block ×3, first 2 shown]
	s_lshr_b32 s6, ttmp7, 16
	s_lshl_b32 s4, s0, 7
	s_bfe_u32 s0, ttmp6, 0x40014
	s_ashr_i32 s5, s4, 31
	s_add_co_i32 s0, s0, 1
	s_ashr_i32 s3, s2, 31
	s_mul_i32 s0, s6, s0
	s_bfe_u32 s7, ttmp6, 0x40008
	s_lshl_b64 s[4:5], s[4:5], 1
	s_lshl_b64 s[2:3], s[2:3], 1
	s_add_co_i32 s7, s7, s0
	s_cmp_eq_u32 s26, 0
	s_wait_kmcnt 0x0
	s_add_nc_u64 s[4:5], s[10:11], s[4:5]
	s_cselect_b32 s0, s6, s7
	s_add_nc_u64 s[2:3], s[4:5], s[2:3]
	s_lshl_b32 s0, s0, 8
	v_lshrrev_b32_e32 v16, 1, v115
	s_add_nc_u64 s[0:1], s[2:3], s[0:1]
	s_delay_alu instid0(SALU_CYCLE_1)
	v_cvt_pk_bf16_f32 v12, v12, s0
	v_cvt_pk_bf16_f32 v4, v4, s0
	;; [unrolled: 1-line block ×13, first 2 shown]
	s_clause 0x7
	global_store_b16 v16, v12, s[0:1]
	global_store_b16 v16, v13, s[0:1] offset:16
	global_store_b16 v16, v10, s[0:1] offset:32
	;; [unrolled: 1-line block ×7, first 2 shown]
	v_cvt_pk_bf16_f32 v1, v1, s0
	s_wait_xcnt 0x1
	v_cvt_pk_bf16_f32 v6, v14, s0
	s_wait_xcnt 0x0
	v_cvt_pk_bf16_f32 v7, v15, s0
	s_clause 0x7
	global_store_b16 v16, v4, s[0:1] offset:128
	global_store_b16 v16, v5, s[0:1] offset:144
	;; [unrolled: 1-line block ×8, first 2 shown]
.LBB150_123:
	s_sendmsg sendmsg(MSG_DEALLOC_VGPRS)
	s_endpgm
.LBB150_124:
	ds_load_b32 v18, v16
	s_wait_dscnt 0x0
	v_add_f32_e32 v12, v12, v18
	s_or_b32 exec_lo, exec_lo, s0
	s_and_saveexec_b32 s0, vcc_lo
	s_cbranch_execz .LBB150_84
.LBB150_125:
	ds_load_b32 v18, v16 offset:32
	s_wait_dscnt 0x0
	v_add_f32_e32 v13, v13, v18
	s_or_b32 exec_lo, exec_lo, s0
	s_and_saveexec_b32 s0, vcc_lo
	s_cbranch_execz .LBB150_85
.LBB150_126:
	ds_load_b32 v18, v16 offset:64
	s_wait_dscnt 0x0
	v_add_f32_e32 v10, v10, v18
	s_or_b32 exec_lo, exec_lo, s0
	s_and_saveexec_b32 s0, vcc_lo
	s_cbranch_execz .LBB150_86
.LBB150_127:
	ds_load_b32 v18, v16 offset:96
	s_wait_dscnt 0x0
	v_add_f32_e32 v11, v11, v18
	s_or_b32 exec_lo, exec_lo, s0
	s_and_saveexec_b32 s0, vcc_lo
	s_cbranch_execz .LBB150_87
.LBB150_128:
	ds_load_b32 v18, v16 offset:128
	s_wait_dscnt 0x0
	v_add_f32_e32 v8, v8, v18
	s_or_b32 exec_lo, exec_lo, s0
	s_and_saveexec_b32 s0, vcc_lo
	s_cbranch_execz .LBB150_88
.LBB150_129:
	ds_load_b32 v18, v16 offset:160
	s_wait_dscnt 0x0
	v_add_f32_e32 v9, v9, v18
	s_or_b32 exec_lo, exec_lo, s0
	s_and_saveexec_b32 s0, vcc_lo
	s_cbranch_execz .LBB150_89
.LBB150_130:
	ds_load_b32 v18, v16 offset:192
	s_wait_dscnt 0x0
	v_add_f32_e32 v6, v6, v18
	s_or_b32 exec_lo, exec_lo, s0
	s_and_saveexec_b32 s0, vcc_lo
	s_cbranch_execz .LBB150_90
.LBB150_131:
	ds_load_b32 v18, v16 offset:224
	s_wait_dscnt 0x0
	v_add_f32_e32 v7, v7, v18
	s_or_b32 exec_lo, exec_lo, s0
	s_and_saveexec_b32 s0, vcc_lo
	s_cbranch_execz .LBB150_91
.LBB150_132:
	ds_load_b32 v18, v16 offset:256
	s_wait_dscnt 0x0
	v_add_f32_e32 v4, v4, v18
	s_or_b32 exec_lo, exec_lo, s0
	s_and_saveexec_b32 s0, vcc_lo
	s_cbranch_execz .LBB150_92
.LBB150_133:
	ds_load_b32 v18, v16 offset:288
	s_wait_dscnt 0x0
	v_add_f32_e32 v5, v5, v18
	s_or_b32 exec_lo, exec_lo, s0
	s_and_saveexec_b32 s0, vcc_lo
	s_cbranch_execz .LBB150_93
.LBB150_134:
	ds_load_b32 v18, v16 offset:320
	s_wait_dscnt 0x0
	v_add_f32_e32 v2, v2, v18
	s_or_b32 exec_lo, exec_lo, s0
	s_and_saveexec_b32 s0, vcc_lo
	s_cbranch_execz .LBB150_94
.LBB150_135:
	ds_load_b32 v18, v16 offset:352
	s_wait_dscnt 0x0
	v_add_f32_e32 v3, v3, v18
	s_or_b32 exec_lo, exec_lo, s0
	s_and_saveexec_b32 s0, vcc_lo
	s_cbranch_execz .LBB150_95
.LBB150_136:
	ds_load_b32 v18, v16 offset:384
	s_wait_dscnt 0x0
	v_add_f32_e32 v0, v0, v18
	s_or_b32 exec_lo, exec_lo, s0
	s_and_saveexec_b32 s0, vcc_lo
	s_cbranch_execz .LBB150_96
.LBB150_137:
	ds_load_b32 v18, v16 offset:416
	s_wait_dscnt 0x0
	v_add_f32_e32 v1, v1, v18
	s_or_b32 exec_lo, exec_lo, s0
	s_and_saveexec_b32 s0, vcc_lo
	s_cbranch_execz .LBB150_97
.LBB150_138:
	ds_load_b32 v18, v16 offset:448
	s_wait_dscnt 0x0
	v_add_f32_e32 v14, v14, v18
	s_or_b32 exec_lo, exec_lo, s0
	s_and_saveexec_b32 s0, vcc_lo
	s_cbranch_execnz .LBB150_98
	s_branch .LBB150_99
.LBB150_139:
	ds_load_b32 v17, v16
	s_wait_dscnt 0x0
	v_add_f32_e32 v12, v12, v17
	s_or_b32 exec_lo, exec_lo, s0
	s_and_saveexec_b32 s0, vcc_lo
	s_cbranch_execz .LBB150_105
.LBB150_140:
	ds_load_b32 v17, v16 offset:32
	s_wait_dscnt 0x0
	v_add_f32_e32 v13, v13, v17
	s_or_b32 exec_lo, exec_lo, s0
	s_and_saveexec_b32 s0, vcc_lo
	s_cbranch_execz .LBB150_106
.LBB150_141:
	ds_load_b32 v17, v16 offset:64
	s_wait_dscnt 0x0
	v_add_f32_e32 v10, v10, v17
	s_or_b32 exec_lo, exec_lo, s0
	s_and_saveexec_b32 s0, vcc_lo
	s_cbranch_execz .LBB150_107
.LBB150_142:
	ds_load_b32 v17, v16 offset:96
	s_wait_dscnt 0x0
	v_add_f32_e32 v11, v11, v17
	s_or_b32 exec_lo, exec_lo, s0
	s_and_saveexec_b32 s0, vcc_lo
	s_cbranch_execz .LBB150_108
.LBB150_143:
	ds_load_b32 v17, v16 offset:128
	s_wait_dscnt 0x0
	v_add_f32_e32 v8, v8, v17
	s_or_b32 exec_lo, exec_lo, s0
	s_and_saveexec_b32 s0, vcc_lo
	s_cbranch_execz .LBB150_109
.LBB150_144:
	ds_load_b32 v17, v16 offset:160
	s_wait_dscnt 0x0
	v_add_f32_e32 v9, v9, v17
	s_or_b32 exec_lo, exec_lo, s0
	s_and_saveexec_b32 s0, vcc_lo
	s_cbranch_execz .LBB150_110
.LBB150_145:
	ds_load_b32 v17, v16 offset:192
	s_wait_dscnt 0x0
	v_add_f32_e32 v6, v6, v17
	s_or_b32 exec_lo, exec_lo, s0
	s_and_saveexec_b32 s0, vcc_lo
	s_cbranch_execz .LBB150_111
.LBB150_146:
	ds_load_b32 v17, v16 offset:224
	s_wait_dscnt 0x0
	v_add_f32_e32 v7, v7, v17
	s_or_b32 exec_lo, exec_lo, s0
	s_and_saveexec_b32 s0, vcc_lo
	s_cbranch_execz .LBB150_112
.LBB150_147:
	ds_load_b32 v17, v16 offset:256
	s_wait_dscnt 0x0
	v_add_f32_e32 v4, v4, v17
	s_or_b32 exec_lo, exec_lo, s0
	s_and_saveexec_b32 s0, vcc_lo
	s_cbranch_execz .LBB150_113
.LBB150_148:
	ds_load_b32 v17, v16 offset:288
	s_wait_dscnt 0x0
	v_add_f32_e32 v5, v5, v17
	s_or_b32 exec_lo, exec_lo, s0
	s_and_saveexec_b32 s0, vcc_lo
	s_cbranch_execz .LBB150_114
.LBB150_149:
	ds_load_b32 v17, v16 offset:320
	s_wait_dscnt 0x0
	v_add_f32_e32 v2, v2, v17
	s_or_b32 exec_lo, exec_lo, s0
	s_and_saveexec_b32 s0, vcc_lo
	s_cbranch_execz .LBB150_115
.LBB150_150:
	ds_load_b32 v17, v16 offset:352
	s_wait_dscnt 0x0
	v_add_f32_e32 v3, v3, v17
	s_or_b32 exec_lo, exec_lo, s0
	s_and_saveexec_b32 s0, vcc_lo
	s_cbranch_execz .LBB150_116
.LBB150_151:
	ds_load_b32 v17, v16 offset:384
	s_wait_dscnt 0x0
	v_add_f32_e32 v0, v0, v17
	s_or_b32 exec_lo, exec_lo, s0
	s_and_saveexec_b32 s0, vcc_lo
	s_cbranch_execz .LBB150_117
.LBB150_152:
	ds_load_b32 v17, v16 offset:416
	s_wait_dscnt 0x0
	v_add_f32_e32 v1, v1, v17
	s_or_b32 exec_lo, exec_lo, s0
	s_and_saveexec_b32 s0, vcc_lo
	s_cbranch_execz .LBB150_118
.LBB150_153:
	ds_load_b32 v17, v16 offset:448
	s_wait_dscnt 0x0
	v_add_f32_e32 v14, v14, v17
	s_or_b32 exec_lo, exec_lo, s0
	s_and_saveexec_b32 s0, vcc_lo
	s_cbranch_execnz .LBB150_119
	s_branch .LBB150_120
	.section	.rodata,"a",@progbits
	.p2align	6, 0x0
	.amdhsa_kernel _ZN4vllm25paged_attention_v1_kernelI14__hip_bfloat16S1_Li128ELi32ELi128ELNS_18Fp8KVCacheDataTypeE0ELb1EEEvPT_PKS3_PKT0_S9_ifPKiSB_iPKfiiiSD_SD_iiiii
		.amdhsa_group_segment_fixed_size 288
		.amdhsa_private_segment_fixed_size 324
		.amdhsa_kernarg_size 384
		.amdhsa_user_sgpr_count 2
		.amdhsa_user_sgpr_dispatch_ptr 0
		.amdhsa_user_sgpr_queue_ptr 0
		.amdhsa_user_sgpr_kernarg_segment_ptr 1
		.amdhsa_user_sgpr_dispatch_id 0
		.amdhsa_user_sgpr_kernarg_preload_length 0
		.amdhsa_user_sgpr_kernarg_preload_offset 0
		.amdhsa_user_sgpr_private_segment_size 0
		.amdhsa_wavefront_size32 1
		.amdhsa_uses_dynamic_stack 0
		.amdhsa_enable_private_segment 1
		.amdhsa_system_sgpr_workgroup_id_x 1
		.amdhsa_system_sgpr_workgroup_id_y 1
		.amdhsa_system_sgpr_workgroup_id_z 1
		.amdhsa_system_sgpr_workgroup_info 0
		.amdhsa_system_vgpr_workitem_id 0
		.amdhsa_next_free_vgpr 128
		.amdhsa_next_free_sgpr 38
		.amdhsa_named_barrier_count 0
		.amdhsa_reserve_vcc 1
		.amdhsa_float_round_mode_32 0
		.amdhsa_float_round_mode_16_64 0
		.amdhsa_float_denorm_mode_32 3
		.amdhsa_float_denorm_mode_16_64 3
		.amdhsa_fp16_overflow 0
		.amdhsa_memory_ordered 1
		.amdhsa_forward_progress 1
		.amdhsa_inst_pref_size 132
		.amdhsa_round_robin_scheduling 0
		.amdhsa_exception_fp_ieee_invalid_op 0
		.amdhsa_exception_fp_denorm_src 0
		.amdhsa_exception_fp_ieee_div_zero 0
		.amdhsa_exception_fp_ieee_overflow 0
		.amdhsa_exception_fp_ieee_underflow 0
		.amdhsa_exception_fp_ieee_inexact 0
		.amdhsa_exception_int_div_zero 0
	.end_amdhsa_kernel
	.section	.text._ZN4vllm25paged_attention_v1_kernelI14__hip_bfloat16S1_Li128ELi32ELi128ELNS_18Fp8KVCacheDataTypeE0ELb1EEEvPT_PKS3_PKT0_S9_ifPKiSB_iPKfiiiSD_SD_iiiii,"axG",@progbits,_ZN4vllm25paged_attention_v1_kernelI14__hip_bfloat16S1_Li128ELi32ELi128ELNS_18Fp8KVCacheDataTypeE0ELb1EEEvPT_PKS3_PKT0_S9_ifPKiSB_iPKfiiiSD_SD_iiiii,comdat
.Lfunc_end150:
	.size	_ZN4vllm25paged_attention_v1_kernelI14__hip_bfloat16S1_Li128ELi32ELi128ELNS_18Fp8KVCacheDataTypeE0ELb1EEEvPT_PKS3_PKT0_S9_ifPKiSB_iPKfiiiSD_SD_iiiii, .Lfunc_end150-_ZN4vllm25paged_attention_v1_kernelI14__hip_bfloat16S1_Li128ELi32ELi128ELNS_18Fp8KVCacheDataTypeE0ELb1EEEvPT_PKS3_PKT0_S9_ifPKiSB_iPKfiiiSD_SD_iiiii
                                        ; -- End function
	.set _ZN4vllm25paged_attention_v1_kernelI14__hip_bfloat16S1_Li128ELi32ELi128ELNS_18Fp8KVCacheDataTypeE0ELb1EEEvPT_PKS3_PKT0_S9_ifPKiSB_iPKfiiiSD_SD_iiiii.num_vgpr, 128
	.set _ZN4vllm25paged_attention_v1_kernelI14__hip_bfloat16S1_Li128ELi32ELi128ELNS_18Fp8KVCacheDataTypeE0ELb1EEEvPT_PKS3_PKT0_S9_ifPKiSB_iPKfiiiSD_SD_iiiii.num_agpr, 0
	.set _ZN4vllm25paged_attention_v1_kernelI14__hip_bfloat16S1_Li128ELi32ELi128ELNS_18Fp8KVCacheDataTypeE0ELb1EEEvPT_PKS3_PKT0_S9_ifPKiSB_iPKfiiiSD_SD_iiiii.numbered_sgpr, 38
	.set _ZN4vllm25paged_attention_v1_kernelI14__hip_bfloat16S1_Li128ELi32ELi128ELNS_18Fp8KVCacheDataTypeE0ELb1EEEvPT_PKS3_PKT0_S9_ifPKiSB_iPKfiiiSD_SD_iiiii.num_named_barrier, 0
	.set _ZN4vllm25paged_attention_v1_kernelI14__hip_bfloat16S1_Li128ELi32ELi128ELNS_18Fp8KVCacheDataTypeE0ELb1EEEvPT_PKS3_PKT0_S9_ifPKiSB_iPKfiiiSD_SD_iiiii.private_seg_size, 324
	.set _ZN4vllm25paged_attention_v1_kernelI14__hip_bfloat16S1_Li128ELi32ELi128ELNS_18Fp8KVCacheDataTypeE0ELb1EEEvPT_PKS3_PKT0_S9_ifPKiSB_iPKfiiiSD_SD_iiiii.uses_vcc, 1
	.set _ZN4vllm25paged_attention_v1_kernelI14__hip_bfloat16S1_Li128ELi32ELi128ELNS_18Fp8KVCacheDataTypeE0ELb1EEEvPT_PKS3_PKT0_S9_ifPKiSB_iPKfiiiSD_SD_iiiii.uses_flat_scratch, 1
	.set _ZN4vllm25paged_attention_v1_kernelI14__hip_bfloat16S1_Li128ELi32ELi128ELNS_18Fp8KVCacheDataTypeE0ELb1EEEvPT_PKS3_PKT0_S9_ifPKiSB_iPKfiiiSD_SD_iiiii.has_dyn_sized_stack, 0
	.set _ZN4vllm25paged_attention_v1_kernelI14__hip_bfloat16S1_Li128ELi32ELi128ELNS_18Fp8KVCacheDataTypeE0ELb1EEEvPT_PKS3_PKT0_S9_ifPKiSB_iPKfiiiSD_SD_iiiii.has_recursion, 0
	.set _ZN4vllm25paged_attention_v1_kernelI14__hip_bfloat16S1_Li128ELi32ELi128ELNS_18Fp8KVCacheDataTypeE0ELb1EEEvPT_PKS3_PKT0_S9_ifPKiSB_iPKfiiiSD_SD_iiiii.has_indirect_call, 0
	.section	.AMDGPU.csdata,"",@progbits
; Kernel info:
; codeLenInByte = 16804
; TotalNumSgprs: 40
; NumVgprs: 128
; ScratchSize: 324
; MemoryBound: 0
; FloatMode: 240
; IeeeMode: 1
; LDSByteSize: 288 bytes/workgroup (compile time only)
; SGPRBlocks: 0
; VGPRBlocks: 7
; NumSGPRsForWavesPerEU: 40
; NumVGPRsForWavesPerEU: 128
; NamedBarCnt: 0
; Occupancy: 8
; WaveLimiterHint : 1
; COMPUTE_PGM_RSRC2:SCRATCH_EN: 1
; COMPUTE_PGM_RSRC2:USER_SGPR: 2
; COMPUTE_PGM_RSRC2:TRAP_HANDLER: 0
; COMPUTE_PGM_RSRC2:TGID_X_EN: 1
; COMPUTE_PGM_RSRC2:TGID_Y_EN: 1
; COMPUTE_PGM_RSRC2:TGID_Z_EN: 1
; COMPUTE_PGM_RSRC2:TIDIG_COMP_CNT: 0
	.section	.text._ZN4vllm25paged_attention_v1_kernelI14__hip_bfloat16S1_Li192ELi32ELi128ELNS_18Fp8KVCacheDataTypeE0ELb1EEEvPT_PKS3_PKT0_S9_ifPKiSB_iPKfiiiSD_SD_iiiii,"axG",@progbits,_ZN4vllm25paged_attention_v1_kernelI14__hip_bfloat16S1_Li192ELi32ELi128ELNS_18Fp8KVCacheDataTypeE0ELb1EEEvPT_PKS3_PKT0_S9_ifPKiSB_iPKfiiiSD_SD_iiiii,comdat
	.protected	_ZN4vllm25paged_attention_v1_kernelI14__hip_bfloat16S1_Li192ELi32ELi128ELNS_18Fp8KVCacheDataTypeE0ELb1EEEvPT_PKS3_PKT0_S9_ifPKiSB_iPKfiiiSD_SD_iiiii ; -- Begin function _ZN4vllm25paged_attention_v1_kernelI14__hip_bfloat16S1_Li192ELi32ELi128ELNS_18Fp8KVCacheDataTypeE0ELb1EEEvPT_PKS3_PKT0_S9_ifPKiSB_iPKfiiiSD_SD_iiiii
	.globl	_ZN4vllm25paged_attention_v1_kernelI14__hip_bfloat16S1_Li192ELi32ELi128ELNS_18Fp8KVCacheDataTypeE0ELb1EEEvPT_PKS3_PKT0_S9_ifPKiSB_iPKfiiiSD_SD_iiiii
	.p2align	8
	.type	_ZN4vllm25paged_attention_v1_kernelI14__hip_bfloat16S1_Li192ELi32ELi128ELNS_18Fp8KVCacheDataTypeE0ELb1EEEvPT_PKS3_PKT0_S9_ifPKiSB_iPKfiiiSD_SD_iiiii,@function
_ZN4vllm25paged_attention_v1_kernelI14__hip_bfloat16S1_Li192ELi32ELi128ELNS_18Fp8KVCacheDataTypeE0ELb1EEEvPT_PKS3_PKT0_S9_ifPKiSB_iPKfiiiSD_SD_iiiii: ; @_ZN4vllm25paged_attention_v1_kernelI14__hip_bfloat16S1_Li192ELi32ELi128ELNS_18Fp8KVCacheDataTypeE0ELb1EEEvPT_PKS3_PKT0_S9_ifPKiSB_iPKfiiiSD_SD_iiiii
; %bb.0:
	s_load_b64 s[22:23], s[0:1], 0x20
	s_bfe_u32 s3, ttmp6, 0x4000c
	s_bfe_u32 s4, ttmp6, 0x40010
	s_and_b32 s6, ttmp7, 0xffff
	s_add_co_i32 s3, s3, 1
	s_add_co_i32 s4, s4, 1
	s_and_b32 s2, ttmp6, 15
	s_bfe_u32 s5, ttmp6, 0x40004
	s_mul_i32 s3, ttmp9, s3
	s_mul_i32 s4, s6, s4
	s_getreg_b32 s26, hwreg(HW_REG_IB_STS2, 6, 4)
	s_add_co_i32 s2, s2, s3
	s_add_co_i32 s3, s5, s4
	s_cmp_eq_u32 s26, 0
	v_mov_b32_e32 v22, v0
	s_cselect_b32 s28, s6, s3
	s_cselect_b32 s2, ttmp9, s2
	s_clause 0x1
	s_load_b32 s27, s[0:1], 0x80
	s_load_b64 s[4:5], s[0:1], 0x30
	s_mov_b32 s15, 0
	s_delay_alu instid0(SALU_CYCLE_1) | instskip(SKIP_2) | instid1(SALU_CYCLE_1)
	s_mov_b32 s34, s15
	s_wait_kmcnt 0x0
	s_abs_i32 s3, s22
	s_cvt_f32_u32 s6, s3
	s_sub_co_i32 s7, 0, s3
	s_delay_alu instid0(SALU_CYCLE_2) | instskip(SKIP_1) | instid1(TRANS32_DEP_1)
	v_rcp_iflag_f32_e32 v0, s6
	v_nop
	v_readfirstlane_b32 s6, v0
	s_abs_i32 s8, s27
	s_mul_f32 s6, s6, 0x4f7ffffe
	s_delay_alu instid0(SALU_CYCLE_3) | instskip(NEXT) | instid1(SALU_CYCLE_3)
	s_cvt_u32_f32 s6, s6
	s_mul_i32 s7, s7, s6
	s_delay_alu instid0(SALU_CYCLE_1) | instskip(NEXT) | instid1(SALU_CYCLE_1)
	s_mul_hi_u32 s7, s6, s7
	s_add_co_i32 s6, s6, s7
	s_xor_b32 s7, s27, s22
	s_mul_hi_u32 s6, s8, s6
	s_ashr_i32 s7, s7, 31
	s_mul_i32 s9, s6, s3
	s_delay_alu instid0(SALU_CYCLE_1)
	s_sub_co_i32 s8, s8, s9
	s_add_co_i32 s9, s6, 1
	s_sub_co_i32 s10, s8, s3
	s_cmp_ge_u32 s8, s3
	s_cselect_b32 s6, s9, s6
	s_cselect_b32 s8, s10, s8
	s_add_co_i32 s9, s6, 1
	s_cmp_ge_u32 s8, s3
	s_cselect_b32 s3, s9, s6
	s_load_b64 s[8:9], s[0:1], 0x40
	s_xor_b32 s3, s3, s7
	s_abs_i32 s14, s2
	s_sub_co_i32 s12, s3, s7
	s_mov_b32 s7, s15
	s_abs_i32 s11, s12
	s_delay_alu instid0(SALU_CYCLE_1) | instskip(SKIP_1) | instid1(SALU_CYCLE_2)
	s_cvt_f32_u32 s3, s11
	s_sub_co_i32 s6, 0, s11
	v_rcp_iflag_f32_e32 v0, s3
	v_nop
	s_delay_alu instid0(TRANS32_DEP_1) | instskip(SKIP_1) | instid1(SALU_CYCLE_3)
	v_readfirstlane_b32 s3, v0
	s_mul_f32 s3, s3, 0x4f7ffffe
	s_cvt_u32_f32 s3, s3
	s_delay_alu instid0(SALU_CYCLE_3) | instskip(NEXT) | instid1(SALU_CYCLE_1)
	s_mul_i32 s6, s6, s3
	s_mul_hi_u32 s6, s3, s6
	s_delay_alu instid0(SALU_CYCLE_1)
	s_add_co_i32 s6, s3, s6
	s_wait_kmcnt 0x0
	s_cmp_eq_u64 s[8:9], 0
	s_cbranch_scc1 .LBB151_2
; %bb.1:
	s_ashr_i32 s3, s2, 31
	s_delay_alu instid0(SALU_CYCLE_1) | instskip(NEXT) | instid1(SALU_CYCLE_1)
	s_lshl_b64 s[16:17], s[2:3], 2
	s_add_nc_u64 s[8:9], s[8:9], s[16:17]
	s_load_b32 s34, s[8:9], 0x0
.LBB151_2:
	s_load_b32 s29, s[4:5], s28 offset:0x0 scale_offset
	s_wait_xcnt 0x0
	s_load_b96 s[8:10], s[0:1], 0x48
	v_lshlrev_b32_e32 v23, 4, v22
	s_ashr_i32 s3, s2, 31
	s_ashr_i32 s18, s12, 31
	s_mul_u64 s[16:17], s[14:15], s[6:7]
	s_mul_i32 s12, s2, 0xc0
	s_mov_b32 s4, exec_lo
	v_cmpx_gt_u32_e32 24, v22
	s_cbranch_execz .LBB151_4
; %bb.3:
	s_load_b64 s[6:7], s[0:1], 0x8
	s_wait_kmcnt 0x0
	s_mul_i32 s20, s8, s28
	s_ashr_i32 s13, s12, 31
	s_ashr_i32 s21, s20, 31
	s_delay_alu instid0(SALU_CYCLE_1) | instskip(NEXT) | instid1(SALU_CYCLE_1)
	s_lshl_b64 s[20:21], s[20:21], 1
	s_add_nc_u64 s[6:7], s[6:7], s[20:21]
	s_lshl_b64 s[20:21], s[12:13], 1
	s_delay_alu instid0(SALU_CYCLE_1)
	s_add_nc_u64 s[6:7], s[6:7], s[20:21]
	global_load_b128 v[0:3], v22, s[6:7] scale_offset
	s_wait_loadcnt 0x0
	ds_store_b128 v23, v[0:3]
.LBB151_4:
	s_or_b32 exec_lo, exec_lo, s4
	s_load_b128 s[4:7], s[0:1], 0x68
	s_wait_kmcnt 0x0
	s_mul_i32 s8, s17, s11
	s_xor_b32 s3, s3, s18
	s_sub_co_i32 s8, s14, s8
	s_add_co_i32 s13, s17, 1
	s_sub_co_i32 s14, s8, s11
	s_cmp_ge_u32 s8, s11
	s_mov_b32 s19, -1
	s_cselect_b32 s13, s13, s17
	s_cselect_b32 s8, s14, s8
	s_add_co_i32 s14, s13, 1
	s_cmp_ge_u32 s8, s11
	s_load_b32 s11, s[0:1], 0x78
	s_cselect_b32 s13, s14, s13
	s_add_co_i32 s18, s29, -1
	s_xor_b32 s13, s13, s3
	s_mov_b32 s17, 0
	s_sub_co_i32 s3, s13, s3
	s_abs_i32 s16, s18
	s_mov_b32 s15, s17
	s_abs_i32 s8, s7
	s_wait_dscnt 0x0
	s_cvt_f32_u32 s14, s8
	s_barrier_signal -1
	s_barrier_wait -1
	s_delay_alu instid0(SALU_CYCLE_1) | instskip(SKIP_1) | instid1(TRANS32_DEP_1)
	v_rcp_iflag_f32_e32 v0, s14
	v_nop
	v_readfirstlane_b32 s14, v0
	s_mul_f32 s13, s14, 0x4f7ffffe
	s_sub_co_i32 s14, 0, s8
	s_delay_alu instid0(SALU_CYCLE_2) | instskip(NEXT) | instid1(SALU_CYCLE_3)
	s_cvt_u32_f32 s13, s13
	s_mul_i32 s14, s14, s13
	s_delay_alu instid0(SALU_CYCLE_1) | instskip(NEXT) | instid1(SALU_CYCLE_1)
	s_mul_hi_u32 s14, s13, s14
	s_add_co_i32 s14, s13, s14
	s_wait_kmcnt 0x0
	s_cmp_lt_i32 s11, 0
                                        ; implicit-def: $sgpr13
	s_cbranch_scc0 .LBB151_6
; %bb.5:
	s_mul_i32 s13, s4, s22
	s_mov_b32 s19, s17
	s_add_co_i32 s13, s3, s13
	s_delay_alu instid0(SALU_CYCLE_1) | instskip(NEXT) | instid1(SALU_CYCLE_1)
	s_mul_i32 s13, s13, s11
	s_sub_co_i32 s13, 1, s13
.LBB151_6:
	s_ashr_i32 s18, s18, 31
	s_ashr_i32 s30, s7, 31
	s_and_not1_b32 vcc_lo, exec_lo, s19
	s_mul_u64 s[20:21], s[16:17], s[14:15]
	s_cbranch_vccnz .LBB151_8
; %bb.7:
	s_mul_i32 s4, s27, s4
	s_delay_alu instid0(SALU_CYCLE_1) | instskip(NEXT) | instid1(SALU_CYCLE_1)
	s_add_co_i32 s2, s4, s2
	s_mul_i32 s2, s2, s11
	s_delay_alu instid0(SALU_CYCLE_1)
	s_add_co_i32 s13, s2, 1
.LBB151_8:
	s_load_b32 s2, s[0:1], 0x38
	s_mul_i32 s7, s21, s8
	s_xor_b32 s4, s18, s30
	s_sub_co_i32 s20, s16, s7
	s_add_co_i32 s11, s21, 1
	s_clause 0x1
	s_load_b64 s[16:17], s[0:1], 0x28
	s_load_b32 s7, s[0:1], 0x88
	v_dual_lshrrev_b32 v0, 5, v22 :: v_dual_bitop2_b32 v1, 31, v22 bitop3:0x40
	v_dual_mov_b32 v107, 0xff7fffff :: v_dual_lshrrev_b32 v26, 3, v22
	s_delay_alu instid0(VALU_DEP_2)
	v_dual_lshlrev_b32 v106, 5, v0 :: v_dual_lshlrev_b32 v27, 2, v1
	s_clause 0x1
	scratch_store_b32 off, v0, off offset:592
	scratch_store_b32 off, v1, off offset:64
	s_wait_kmcnt 0x0
	s_mul_i32 s18, s2, s28
	s_sub_co_i32 s2, s20, s8
	s_ashr_i32 s19, s18, 31
	s_cmp_ge_u32 s20, s8
	s_cselect_b32 s11, s11, s21
	s_cselect_b32 s2, s2, s20
	s_add_co_i32 s20, s11, 1
	s_cmp_ge_u32 s2, s8
	s_cselect_b32 s2, s20, s11
	s_add_co_i32 s11, s29, 31
	s_delay_alu instid0(SALU_CYCLE_1) | instskip(NEXT) | instid1(SALU_CYCLE_1)
	s_ashr_i32 s20, s11, 31
	s_lshr_b32 s20, s20, 27
	s_delay_alu instid0(SALU_CYCLE_1)
	s_add_co_i32 s11, s11, s20
	s_mul_i32 s20, s3, s10
	s_ashr_i32 s31, s11, 5
	s_xor_b32 s11, s2, s4
	v_cmp_gt_i32_e64 s2, s31, v0
	s_sub_co_i32 s33, s11, s4
	s_wait_xcnt 0x0
	s_mov_b32 s22, exec_lo
	s_delay_alu instid0(SALU_CYCLE_1)
	s_and_b32 s3, s22, s2
	scratch_store_b32 off, v22, off offset:596 ; 4-byte Folded Spill
	s_wait_xcnt 0x0
	s_mov_b32 exec_lo, s3
	s_cbranch_execz .LBB151_16
; %bb.9:
	v_mov_b32_e32 v1, 0
	scratch_store_b32 off, v23, off offset:600 ; 4-byte Folded Spill
	s_ashr_i32 s21, s20, 31
	s_sub_co_i32 s35, s33, s5
	s_ashr_i32 s11, s9, 31
	ds_load_b128 v[14:17], v1
	ds_load_b128 v[18:21], v1 offset:16
	s_wait_xcnt 0x0
	ds_load_b128 v[22:25], v1 offset:32
	ds_load_b128 v[2:5], v1 offset:48
	;; [unrolled: 1-line block ×4, first 2 shown]
	s_lshl_b64 s[24:25], s[20:21], 1
	s_cmp_neq_f32 s34, 0
	s_load_b64 s[36:37], s[0:1], 0x10
	v_mov_b32_e32 v107, 0xff7fffff
	s_mov_b32 s10, s9
	s_cselect_b32 vcc_lo, -1, 0
	s_abs_i32 s21, s6
	s_delay_alu instid0(SALU_CYCLE_1) | instskip(SKIP_1) | instid1(SALU_CYCLE_2)
	s_cvt_f32_u32 s3, s21
	s_sub_co_i32 s4, 0, s21
	v_rcp_iflag_f32_e32 v0, s3
	s_wait_dscnt 0x5
	v_and_b32_e32 v29, 0xffff0000, v14
	v_dual_lshlrev_b32 v28, 16, v14 :: v_dual_lshlrev_b32 v14, 16, v16
	s_delay_alu instid0(TRANS32_DEP_1)
	v_readfirstlane_b32 s3, v0
	scratch_store_b64 off, v[28:29], off    ; 8-byte Folded Spill
	s_wait_xcnt 0x0
	v_and_b32_e32 v29, 0xffff0000, v15
	v_lshlrev_b32_e32 v28, 16, v15
	v_and_b32_e32 v15, 0xffff0000, v16
	s_wait_kmcnt 0x0
	s_add_nc_u64 s[36:37], s[36:37], s[24:25]
	s_mul_f32 s3, s3, 0x4f7ffffe
	s_mov_b32 s25, 0
	s_clause 0x1
	scratch_store_b64 off, v[28:29], off offset:8
	scratch_store_b64 off, v[14:15], off offset:16
	s_wait_xcnt 0x0
	v_and_b32_e32 v15, 0xffff0000, v17
	v_lshlrev_b32_e32 v14, 16, v17
	s_cvt_u32_f32 s3, s3
	scratch_store_b64 off, v[14:15], off offset:24 ; 8-byte Folded Spill
	s_wait_dscnt 0x4
	s_wait_xcnt 0x0
	v_and_b32_e32 v15, 0xffff0000, v18
	s_wait_dscnt 0x2
	v_dual_lshlrev_b32 v14, 16, v18 :: v_dual_lshlrev_b32 v18, 16, v3
	s_mul_i32 s4, s4, s3
	s_delay_alu instid0(SALU_CYCLE_1)
	s_mul_hi_u32 s4, s3, s4
	scratch_store_b64 off, v[14:15], off offset:32 ; 8-byte Folded Spill
	s_wait_xcnt 0x0
	v_and_b32_e32 v15, 0xffff0000, v19
	v_lshlrev_b32_e32 v14, 16, v19
	v_and_b32_e32 v19, 0xffff0000, v3
	s_wait_dscnt 0x1
	v_and_b32_e32 v3, 0xffff0000, v11
	s_add_co_i32 s24, s3, s4
	scratch_store_b64 off, v[14:15], off offset:48 ; 8-byte Folded Spill
	s_wait_xcnt 0x0
	v_and_b32_e32 v15, 0xffff0000, v20
	v_lshlrev_b32_e32 v14, 16, v20
	scratch_store_b64 off, v[14:15], off offset:68 ; 8-byte Folded Spill
	s_wait_xcnt 0x0
	v_and_b32_e32 v15, 0xffff0000, v21
	v_lshlrev_b32_e32 v14, 16, v21
	;; [unrolled: 4-line block ×6, first 2 shown]
	scratch_store_b64 off, v[14:15], off offset:108 ; 8-byte Folded Spill
	s_wait_xcnt 0x0
	v_and_b32_e32 v15, 0xffff0000, v2
	v_dual_lshlrev_b32 v14, 16, v2 :: v_dual_lshlrev_b32 v2, 16, v11
	s_clause 0x1
	scratch_store_b64 off, v[14:15], off offset:116
	scratch_store_b64 off, v[2:3], off offset:148
	s_wait_xcnt 0x1
	v_and_b32_e32 v15, 0xffff0000, v10
	v_lshlrev_b32_e32 v14, 16, v10
	s_wait_dscnt 0x0
	s_wait_xcnt 0x0
	v_and_b32_e32 v3, 0xffff0000, v7
	v_lshlrev_b32_e32 v2, 16, v7
	scratch_store_b64 off, v[14:15], off offset:124 ; 8-byte Folded Spill
	s_wait_xcnt 0x0
	v_and_b32_e32 v15, 0xffff0000, v6
	v_lshlrev_b32_e32 v14, 16, v6
	scratch_store_b64 off, v[2:3], off offset:156 ; 8-byte Folded Spill
	;; [unrolled: 4-line block ×3, first 2 shown]
	s_wait_xcnt 0x0
	ds_load_b128 v[14:17], v1 offset:96
	scratch_store_b64 off, v[2:3], off offset:164 ; 8-byte Folded Spill
	s_wait_xcnt 0x0
	v_and_b32_e32 v3, 0xffff0000, v12
	v_lshlrev_b32_e32 v2, 16, v12
	scratch_store_b64 off, v[18:19], off offset:140 ; 8-byte Folded Spill
	s_wait_xcnt 0x0
	ds_load_b128 v[18:21], v1 offset:112
	s_wait_dscnt 0x1
	v_and_b32_e32 v7, 0xffff0000, v17
	v_lshlrev_b32_e32 v6, 16, v17
	scratch_store_b64 off, v[2:3], off offset:172 ; 8-byte Folded Spill
	s_wait_xcnt 0x0
	v_and_b32_e32 v3, 0xffff0000, v5
	v_lshlrev_b32_e32 v2, 16, v5
	scratch_store_b64 off, v[6:7], off offset:236 ; 8-byte Folded Spill
	s_wait_dscnt 0x0
	s_wait_xcnt 0x0
	v_and_b32_e32 v7, 0xffff0000, v18
	v_lshlrev_b32_e32 v6, 16, v18
	scratch_store_b64 off, v[2:3], off offset:180 ; 8-byte Folded Spill
	s_wait_xcnt 0x0
	v_and_b32_e32 v3, 0xffff0000, v8
	v_lshlrev_b32_e32 v2, 16, v8
	scratch_store_b64 off, v[6:7], off offset:244 ; 8-byte Folded Spill
	;; [unrolled: 4-line block ×3, first 2 shown]
	s_wait_xcnt 0x0
	v_and_b32_e32 v3, 0xffff0000, v13
	v_lshlrev_b32_e32 v2, 16, v13
	ds_load_b128 v[10:13], v1 offset:128
	scratch_store_b64 off, v[6:7], off offset:252 ; 8-byte Folded Spill
	s_wait_xcnt 0x0
	v_and_b32_e32 v7, 0xffff0000, v20
	v_lshlrev_b32_e32 v6, 16, v20
	scratch_store_b64 off, v[2:3], off offset:196 ; 8-byte Folded Spill
	s_wait_xcnt 0x0
	v_and_b32_e32 v3, 0xffff0000, v9
	v_lshlrev_b32_e32 v2, 16, v9
	scratch_store_b64 off, v[2:3], off offset:204 ; 8-byte Folded Spill
	s_wait_xcnt 0x0
	v_and_b32_e32 v3, 0xffff0000, v14
	v_dual_lshlrev_b32 v2, 16, v14 :: v_dual_lshlrev_b32 v14, 16, v21
	scratch_store_b64 off, v[2:3], off offset:212 ; 8-byte Folded Spill
	s_wait_xcnt 0x0
	v_and_b32_e32 v3, 0xffff0000, v15
	v_lshlrev_b32_e32 v2, 16, v15
	v_and_b32_e32 v15, 0xffff0000, v21
	s_clause 0x1
	scratch_store_b64 off, v[2:3], off offset:220
	scratch_store_b64 off, v[14:15], off offset:268
	s_wait_xcnt 0x1
	v_and_b32_e32 v3, 0xffff0000, v16
	v_lshlrev_b32_e32 v2, 16, v16
	scratch_store_b64 off, v[2:3], off offset:228 ; 8-byte Folded Spill
	s_wait_xcnt 0x0
	ds_load_b128 v[2:5], v1 offset:144
	s_wait_dscnt 0x1
	v_and_b32_e32 v15, 0xffff0000, v10
	v_lshlrev_b32_e32 v14, 16, v10
	scratch_store_b64 off, v[6:7], off offset:260 ; 8-byte Folded Spill
	v_lshlrev_b32_e32 v10, 16, v12
	s_wait_xcnt 0x0
	ds_load_b128 v[6:9], v1 offset:160
	scratch_store_b64 off, v[14:15], off offset:276 ; 8-byte Folded Spill
	s_wait_xcnt 0x0
	v_and_b32_e32 v15, 0xffff0000, v11
	v_lshlrev_b32_e32 v14, 16, v11
	v_and_b32_e32 v11, 0xffff0000, v12
	s_clause 0x1
	scratch_store_b64 off, v[14:15], off offset:284
	scratch_store_b64 off, v[10:11], off offset:292
	s_wait_xcnt 0x0
	v_and_b32_e32 v11, 0xffff0000, v13
	v_lshlrev_b32_e32 v10, 16, v13
	ds_load_b128 v[14:17], v1 offset:176
	scratch_store_b64 off, v[10:11], off offset:300 ; 8-byte Folded Spill
	s_wait_dscnt 0x2
	s_wait_xcnt 0x0
	v_and_b32_e32 v11, 0xffff0000, v2
	v_dual_lshlrev_b32 v10, 16, v2 :: v_dual_lshlrev_b32 v2, 16, v4
	scratch_store_b64 off, v[10:11], off offset:308 ; 8-byte Folded Spill
	s_wait_xcnt 0x0
	v_and_b32_e32 v11, 0xffff0000, v3
	v_lshlrev_b32_e32 v10, 16, v3
	v_and_b32_e32 v3, 0xffff0000, v4
	s_clause 0x1
	scratch_store_b64 off, v[10:11], off offset:316
	scratch_store_b64 off, v[2:3], off offset:324
	s_wait_xcnt 0x0
	v_and_b32_e32 v3, 0xffff0000, v5
	v_lshlrev_b32_e32 v2, 16, v5
	ds_load_b128 v[10:13], v1 offset:192
	scratch_store_b64 off, v[2:3], off offset:332 ; 8-byte Folded Spill
	s_wait_dscnt 0x2
	s_wait_xcnt 0x0
	v_and_b32_e32 v3, 0xffff0000, v6
	v_dual_lshlrev_b32 v2, 16, v6 :: v_dual_lshlrev_b32 v6, 16, v8
	scratch_store_b64 off, v[2:3], off offset:340 ; 8-byte Folded Spill
	s_wait_xcnt 0x0
	v_and_b32_e32 v3, 0xffff0000, v7
	v_lshlrev_b32_e32 v2, 16, v7
	v_and_b32_e32 v7, 0xffff0000, v8
	s_clause 0x1
	scratch_store_b64 off, v[2:3], off offset:348
	scratch_store_b64 off, v[6:7], off offset:356
	s_wait_xcnt 0x1
	ds_load_b128 v[2:5], v1 offset:208
	s_wait_xcnt 0x0
	v_and_b32_e32 v7, 0xffff0000, v9
	v_lshlrev_b32_e32 v6, 16, v9
	scratch_store_b64 off, v[6:7], off offset:364 ; 8-byte Folded Spill
	s_wait_dscnt 0x2
	s_wait_xcnt 0x0
	v_and_b32_e32 v7, 0xffff0000, v14
	v_lshlrev_b32_e32 v6, 16, v14
	scratch_store_b64 off, v[6:7], off offset:372 ; 8-byte Folded Spill
	s_wait_xcnt 0x0
	v_and_b32_e32 v7, 0xffff0000, v15
	v_lshlrev_b32_e32 v6, 16, v15
	scratch_store_b64 off, v[6:7], off offset:380 ; 8-byte Folded Spill
	;; [unrolled: 4-line block ×4, first 2 shown]
	s_wait_dscnt 0x1
	s_wait_xcnt 0x0
	v_and_b32_e32 v7, 0xffff0000, v10
	v_lshlrev_b32_e32 v6, 16, v10
	scratch_store_b64 off, v[6:7], off offset:404 ; 8-byte Folded Spill
	s_wait_xcnt 0x0
	v_and_b32_e32 v7, 0xffff0000, v11
	v_lshlrev_b32_e32 v6, 16, v11
	scratch_store_b64 off, v[6:7], off offset:412 ; 8-byte Folded Spill
	s_wait_xcnt 0x0
	v_and_b32_e32 v7, 0xffff0000, v12
	v_lshlrev_b32_e32 v6, 16, v12
	scratch_store_b64 off, v[6:7], off offset:420 ; 8-byte Folded Spill
	s_wait_xcnt 0x0
	v_and_b32_e32 v7, 0xffff0000, v13
	v_lshlrev_b32_e32 v6, 16, v13
	scratch_store_b64 off, v[6:7], off offset:428 ; 8-byte Folded Spill
	s_wait_dscnt 0x0
	s_wait_xcnt 0x0
	v_and_b32_e32 v7, 0xffff0000, v2
	v_dual_lshlrev_b32 v6, 16, v2 :: v_dual_lshlrev_b32 v2, 16, v4
	scratch_store_b64 off, v[6:7], off offset:436 ; 8-byte Folded Spill
	s_wait_xcnt 0x0
	v_and_b32_e32 v7, 0xffff0000, v3
	v_lshlrev_b32_e32 v6, 16, v3
	v_and_b32_e32 v3, 0xffff0000, v4
	s_clause 0x1
	scratch_store_b64 off, v[6:7], off offset:444
	scratch_store_b64 off, v[2:3], off offset:452
	s_wait_xcnt 0x0
	v_and_b32_e32 v3, 0xffff0000, v5
	v_lshlrev_b32_e32 v2, 16, v5
	scratch_store_b64 off, v[2:3], off offset:460 ; 8-byte Folded Spill
	ds_load_b128 v[6:9], v1 offset:224
	s_wait_xcnt 0x0
	ds_load_b128 v[2:5], v1 offset:240
	s_wait_dscnt 0x1
	v_and_b32_e32 v11, 0xffff0000, v6
	v_dual_lshlrev_b32 v10, 16, v6 :: v_dual_lshlrev_b32 v6, 16, v8
	scratch_store_b64 off, v[10:11], off offset:468 ; 8-byte Folded Spill
	s_wait_xcnt 0x0
	v_and_b32_e32 v11, 0xffff0000, v7
	v_lshlrev_b32_e32 v10, 16, v7
	v_and_b32_e32 v7, 0xffff0000, v8
	s_clause 0x1
	scratch_store_b64 off, v[10:11], off offset:476
	scratch_store_b64 off, v[6:7], off offset:484
	s_wait_xcnt 0x0
	v_and_b32_e32 v7, 0xffff0000, v9
	v_lshlrev_b32_e32 v6, 16, v9
	scratch_store_b64 off, v[6:7], off offset:492 ; 8-byte Folded Spill
	s_wait_dscnt 0x0
	s_wait_xcnt 0x0
	v_and_b32_e32 v7, 0xffff0000, v2
	v_dual_lshlrev_b32 v6, 16, v2 :: v_dual_lshlrev_b32 v2, 16, v4
	scratch_store_b64 off, v[6:7], off offset:500 ; 8-byte Folded Spill
	s_wait_xcnt 0x0
	v_and_b32_e32 v7, 0xffff0000, v3
	v_lshlrev_b32_e32 v6, 16, v3
	v_and_b32_e32 v3, 0xffff0000, v4
	s_clause 0x1
	scratch_store_b64 off, v[6:7], off offset:508
	scratch_store_b64 off, v[2:3], off offset:516
	s_wait_xcnt 0x0
	v_and_b32_e32 v3, 0xffff0000, v5
	v_lshlrev_b32_e32 v2, 16, v5
	scratch_store_b64 off, v[2:3], off offset:524 ; 8-byte Folded Spill
	s_wait_xcnt 0x0
	ds_load_b128 v[2:5], v1 offset:256
	ds_load_b128 v[6:9], v1 offset:272
	s_wait_dscnt 0x1
	v_and_b32_e32 v11, 0xffff0000, v2
	v_dual_lshlrev_b32 v10, 16, v2 :: v_dual_lshlrev_b32 v2, 16, v4
	s_wait_dscnt 0x0
	v_and_b32_e32 v99, 0xffff0000, v8
	v_lshlrev_b32_e32 v98, 16, v8
	v_and_b32_e32 v101, 0xffff0000, v9
	scratch_store_b64 off, v[10:11], off offset:532 ; 8-byte Folded Spill
	s_wait_xcnt 0x0
	v_and_b32_e32 v11, 0xffff0000, v3
	v_lshlrev_b32_e32 v10, 16, v3
	v_and_b32_e32 v3, 0xffff0000, v4
	v_lshlrev_b32_e32 v100, 16, v9
	s_clause 0x1
	scratch_store_b64 off, v[10:11], off offset:540
	scratch_store_b64 off, v[2:3], off offset:548
	s_wait_xcnt 0x0
	v_and_b32_e32 v3, 0xffff0000, v5
	v_lshlrev_b32_e32 v2, 16, v5
	scratch_store_b64 off, v[2:3], off offset:556 ; 8-byte Folded Spill
	s_wait_xcnt 0x0
	v_and_b32_e32 v3, 0xffff0000, v6
	v_lshlrev_b32_e32 v2, 16, v6
	scratch_store_b64 off, v[2:3], off offset:564 ; 8-byte Folded Spill
	s_wait_xcnt 0x0
	v_and_b32_e32 v3, 0xffff0000, v7
	v_lshlrev_b32_e32 v2, 16, v7
	scratch_store_b64 off, v[2:3], off offset:572 ; 8-byte Folded Spill
	s_wait_xcnt 0x0
	ds_load_b128 v[2:5], v1 offset:288
	ds_load_b128 v[6:9], v1 offset:304
	s_wait_dscnt 0x1
	v_and_b32_e32 v103, 0xffff0000, v2
	v_lshlrev_b32_e32 v102, 16, v2
	v_and_b32_e32 v105, 0xffff0000, v3
	v_lshlrev_b32_e32 v104, 16, v3
	;; [unrolled: 2-line block ×3, first 2 shown]
	v_and_b32_e32 v111, 0xffff0000, v5
	s_wait_dscnt 0x0
	v_dual_lshlrev_b32 v110, 16, v5 :: v_dual_lshlrev_b32 v112, 16, v6
	v_and_b32_e32 v113, 0xffff0000, v6
	v_and_b32_e32 v115, 0xffff0000, v7
	v_dual_lshlrev_b32 v114, 16, v7 :: v_dual_lshlrev_b32 v116, 16, v8
	v_and_b32_e32 v117, 0xffff0000, v8
	v_and_b32_e32 v119, 0xffff0000, v9
	v_lshlrev_b32_e32 v118, 16, v9
	ds_load_b128 v[2:5], v1 offset:320
	ds_load_b128 v[6:9], v1 offset:336
	s_wait_dscnt 0x1
	v_and_b32_e32 v121, 0xffff0000, v2
	v_lshlrev_b32_e32 v120, 16, v2
	v_and_b32_e32 v123, 0xffff0000, v3
	v_dual_lshlrev_b32 v122, 16, v3 :: v_dual_lshlrev_b32 v124, 16, v4
	v_and_b32_e32 v125, 0xffff0000, v4
	v_and_b32_e32 v127, 0xffff0000, v5
	s_wait_dscnt 0x0
	v_dual_lshlrev_b32 v126, 16, v5 :: v_dual_lshlrev_b32 v42, 16, v6
	v_and_b32_e32 v43, 0xffff0000, v6
	v_and_b32_e32 v45, 0xffff0000, v7
	v_dual_lshlrev_b32 v44, 16, v7 :: v_dual_lshlrev_b32 v46, 16, v8
	v_and_b32_e32 v47, 0xffff0000, v8
	v_and_b32_e32 v49, 0xffff0000, v9
	v_lshlrev_b32_e32 v48, 16, v9
	ds_load_b128 v[2:5], v1 offset:352
	ds_load_b128 v[6:9], v1 offset:368
	s_wait_dscnt 0x1
	v_and_b32_e32 v51, 0xffff0000, v2
	v_lshlrev_b32_e32 v50, 16, v2
	scratch_load_b32 v2, off, off offset:64 ; 4-byte Folded Reload
	s_wait_dscnt 0x0
	v_dual_lshlrev_b32 v64, 16, v9 :: v_dual_lshlrev_b32 v52, 16, v3
	v_lshlrev_b32_e32 v54, 16, v4
	v_and_b32_e32 v55, 0xffff0000, v4
	v_and_b32_e32 v57, 0xffff0000, v5
	v_dual_lshlrev_b32 v56, 16, v5 :: v_dual_lshlrev_b32 v58, 16, v6
	v_and_b32_e32 v53, 0xffff0000, v3
	v_and_b32_e32 v59, 0xffff0000, v6
	v_and_b32_e32 v61, 0xffff0000, v7
	v_dual_lshlrev_b32 v60, 16, v7 :: v_dual_lshlrev_b32 v62, 16, v8
	v_and_b32_e32 v63, 0xffff0000, v8
	v_and_b32_e32 v65, 0xffff0000, v9
	s_wait_loadcnt 0x0
	v_lshlrev_b32_e32 v0, 4, v2
	v_subrev_nc_u32_e32 v2, s29, v2
	s_delay_alu instid0(VALU_DEP_2)
	v_add_nc_u64_e32 v[4:5], s[36:37], v[0:1]
	s_clause 0x2
	scratch_store_b64 off, v[4:5], off offset:580
	scratch_store_b32 off, v26, off offset:604
	scratch_load_b32 v89, off, off offset:592
	v_and_b32_e32 v0, 0x7c, v26
	s_lshl_b64 s[36:37], s[18:19], 2
	v_add_nc_u32_e32 v2, 1, v2
	s_add_nc_u64 s[36:37], s[16:17], s[36:37]
	s_delay_alu instid0(VALU_DEP_2) | instid1(SALU_CYCLE_1)
	v_add_nc_u64_e32 v[66:67], s[36:37], v[0:1]
	s_mov_b32 s36, s25
	scratch_store_b32 off, v2, off offset:588 ; 4-byte Folded Spill
	s_wait_loadcnt 0x0
	v_lshlrev_b32_e32 v0, 5, v89
	s_wait_xcnt 0x0
	v_lshl_or_b32 v2, v89, 7, v27
	s_delay_alu instid0(VALU_DEP_1)
	v_dual_mov_b32 v91, v27 :: v_dual_add_nc_u32 v88, 0x1a0, v2
	s_branch .LBB151_11
.LBB151_10:                             ;   in Loop: Header=BB151_11 Depth=1
	s_wait_xcnt 0x0
	s_or_b32 exec_lo, exec_lo, s4
	v_add_nc_u32_e32 v89, 4, v89
	v_add_nc_u64_e32 v[66:67], 16, v[66:67]
	v_add_nc_u32_e32 v0, 0x80, v0
	v_add_nc_u32_e32 v88, 0x200, v88
	s_delay_alu instid0(VALU_DEP_4) | instskip(SKIP_1) | instid1(SALU_CYCLE_1)
	v_cmp_le_i32_e64 s3, s31, v89
	s_or_b32 s36, s3, s36
	s_and_not1_b32 exec_lo, exec_lo, s36
	s_cbranch_execz .LBB151_15
.LBB151_11:                             ; =>This Inner Loop Header: Depth=1
	v_mul_u64_e32 v[2:3], s[14:15], v[0:1]
	s_delay_alu instid0(VALU_DEP_1) | instskip(NEXT) | instid1(VALU_DEP_1)
	v_mul_lo_u32 v2, v3, s8
	v_dual_add_nc_u32 v4, 1, v3 :: v_dual_sub_nc_u32 v2, v0, v2
	s_delay_alu instid0(VALU_DEP_1) | instskip(SKIP_1) | instid1(VALU_DEP_1)
	v_subrev_nc_u32_e32 v5, s8, v2
	v_cmp_le_u32_e64 s3, s8, v2
	v_dual_cndmask_b32 v3, v3, v4, s3 :: v_dual_cndmask_b32 v2, v2, v5, s3
	s_delay_alu instid0(VALU_DEP_1) | instskip(NEXT) | instid1(VALU_DEP_2)
	v_add_nc_u32_e32 v4, 1, v3
	v_cmp_le_u32_e64 s3, s8, v2
	s_delay_alu instid0(VALU_DEP_1) | instskip(NEXT) | instid1(VALU_DEP_1)
	v_dual_cndmask_b32 v2, v3, v4, s3 :: v_dual_mov_b32 v3, v1
	v_xor_b32_e32 v2, s30, v2
	s_delay_alu instid0(VALU_DEP_1) | instskip(NEXT) | instid1(VALU_DEP_1)
	v_subrev_nc_u32_e32 v6, s30, v2
	v_add_nc_u32_e32 v7, s13, v6
	v_cmp_ge_i32_e64 s4, s35, v6
	s_delay_alu instid0(VALU_DEP_2) | instskip(NEXT) | instid1(VALU_DEP_1)
	v_sub_nc_u32_e32 v2, 0, v7
	v_max_i32_e32 v2, v7, v2
	s_delay_alu instid0(VALU_DEP_1) | instskip(SKIP_1) | instid1(VALU_DEP_2)
	v_mul_u64_e32 v[4:5], s[24:25], v[2:3]
	v_ashrrev_i32_e32 v4, 31, v7
	v_mul_lo_u32 v3, v5, s21
	s_delay_alu instid0(VALU_DEP_1) | instskip(NEXT) | instid1(VALU_DEP_1)
	v_sub_nc_u32_e32 v2, v2, v3
	v_subrev_nc_u32_e32 v3, s21, v2
	v_cmp_le_u32_e64 s3, s21, v2
	s_delay_alu instid0(VALU_DEP_1) | instskip(NEXT) | instid1(VALU_DEP_1)
	v_cndmask_b32_e64 v2, v2, v3, s3
	v_subrev_nc_u32_e32 v3, s21, v2
	v_cmp_le_u32_e64 s3, s21, v2
	s_delay_alu instid0(VALU_DEP_1) | instskip(NEXT) | instid1(VALU_DEP_1)
	v_cndmask_b32_e64 v2, v2, v3, s3
	v_xor_b32_e32 v2, v2, v4
	s_delay_alu instid0(VALU_DEP_1) | instskip(NEXT) | instid1(VALU_DEP_1)
	v_sub_nc_u32_e32 v2, v2, v4
	v_cmp_ne_u32_e64 s3, 0, v2
	s_and_b32 s3, s3, s4
	s_delay_alu instid0(SALU_CYCLE_1) | instskip(NEXT) | instid1(SALU_CYCLE_1)
	s_and_saveexec_b32 s4, s3
	s_xor_b32 s3, exec_lo, s4
; %bb.12:                               ;   in Loop: Header=BB151_11 Depth=1
	v_mov_b32_e32 v2, 0xff7fffff
	ds_store_b32 v88, v2
; %bb.13:                               ;   in Loop: Header=BB151_11 Depth=1
	s_and_not1_saveexec_b32 s4, s3
	s_cbranch_execz .LBB151_10
; %bb.14:                               ;   in Loop: Header=BB151_11 Depth=1
	global_load_b32 v2, v[66:67], off
	s_clause 0x2
	scratch_load_b32 v4, off, off offset:64
	scratch_load_b64 v[6:7], off, off offset:580
	scratch_load_b64 v[8:9], off, off offset:32
	s_wait_loadcnt 0x2
	v_dual_ashrrev_i32 v3, 31, v2 :: v_dual_add_nc_u32 v4, v4, v0
	s_delay_alu instid0(VALU_DEP_1) | instskip(NEXT) | instid1(VALU_DEP_2)
	v_mul_u64_e32 v[2:3], s[10:11], v[2:3]
	v_cmp_gt_i32_e64 s3, s29, v4
	s_wait_loadcnt 0x1
	s_delay_alu instid0(VALU_DEP_2) | instskip(SKIP_3) | instid1(VALU_DEP_1)
	v_lshl_add_u64 v[68:69], v[2:3], 1, v[6:7]
	scratch_load_b32 v2, off, off offset:588 ; 4-byte Folded Reload
	s_wait_loadcnt 0x0
	v_add_nc_u32_e32 v2, v2, v0
	v_cvt_f32_i32_e32 v2, v2
	s_delay_alu instid0(VALU_DEP_1) | instskip(NEXT) | instid1(VALU_DEP_1)
	v_mul_f32_e32 v2, s34, v2
	v_cndmask_b32_e32 v90, 0, v2, vcc_lo
	global_load_b128 v[2:5], v[68:69], off
	s_wait_loadcnt 0x0
	v_and_b32_e32 v71, 0xffff0000, v2
	v_lshlrev_b32_e32 v70, 16, v2
	v_and_b32_e32 v75, 0xffff0000, v3
	v_lshlrev_b32_e32 v74, 16, v3
	;; [unrolled: 2-line block ×4, first 2 shown]
	global_load_b128 v[2:5], v[68:69], off offset:512
	s_wait_loadcnt 0x0
	v_and_b32_e32 v7, 0xffff0000, v2
	v_lshlrev_b32_e32 v6, 16, v2
	s_delay_alu instid0(VALU_DEP_1)
	v_pk_mul_f32 v[86:87], v[8:9], v[6:7]
	v_and_b32_e32 v7, 0xffff0000, v3
	v_lshlrev_b32_e32 v6, 16, v3
	scratch_load_b64 v[2:3], off, off offset:48 ; 8-byte Folded Reload
	s_wait_loadcnt 0x0
	v_pk_mul_f32 v[82:83], v[2:3], v[6:7]
	scratch_load_b64 v[6:7], off, off offset:68 ; 8-byte Folded Reload
	v_and_b32_e32 v3, 0xffff0000, v4
	v_lshlrev_b32_e32 v2, 16, v4
	s_wait_loadcnt 0x0
	s_delay_alu instid0(VALU_DEP_1)
	v_pk_mul_f32 v[78:79], v[6:7], v[2:3]
	v_and_b32_e32 v3, 0xffff0000, v5
	v_lshlrev_b32_e32 v2, 16, v5
	scratch_load_b64 v[4:5], off, off offset:76 ; 8-byte Folded Reload
	s_wait_loadcnt 0x0
	v_pk_mul_f32 v[40:41], v[4:5], v[2:3]
	global_load_b128 v[2:5], v[68:69], off offset:1024
	s_wait_loadcnt 0x0
	v_and_b32_e32 v93, 0xffff0000, v2
	v_dual_lshlrev_b32 v92, 16, v2 :: v_dual_lshlrev_b32 v80, 16, v4
	v_and_b32_e32 v85, 0xffff0000, v3
	v_lshlrev_b32_e32 v84, 16, v3
	v_and_b32_e32 v81, 0xffff0000, v4
	v_and_b32_e32 v77, 0xffff0000, v5
	v_lshlrev_b32_e32 v76, 16, v5
	s_clause 0x8
	global_load_b128 v[34:37], v[68:69], off offset:1536
	global_load_b128 v[30:33], v[68:69], off offset:2048
	;; [unrolled: 1-line block ×9, first 2 shown]
	scratch_load_b64 v[94:95], off, off     ; 8-byte Folded Reload
	s_wait_loadcnt 0x0
	v_pk_fma_f32 v[70:71], v[94:95], v[70:71], v[86:87]
	scratch_load_b64 v[86:87], off, off offset:84 ; 8-byte Folded Reload
	s_wait_loadcnt 0x0
	v_pk_fma_f32 v[70:71], v[86:87], v[92:93], v[70:71]
	scratch_load_b64 v[92:93], off, off offset:116 ; 8-byte Folded Reload
	v_and_b32_e32 v87, 0xffff0000, v34
	v_lshlrev_b32_e32 v86, 16, v34
	s_wait_loadcnt 0x0
	s_delay_alu instid0(VALU_DEP_1) | instskip(SKIP_4) | instid1(VALU_DEP_1)
	v_pk_fma_f32 v[70:71], v[92:93], v[86:87], v[70:71]
	scratch_load_b64 v[92:93], off, off offset:124 ; 8-byte Folded Reload
	v_and_b32_e32 v87, 0xffff0000, v30
	v_lshlrev_b32_e32 v86, 16, v30
	s_wait_loadcnt 0x0
	v_pk_fma_f32 v[70:71], v[92:93], v[86:87], v[70:71]
	scratch_load_b64 v[92:93], off, off offset:132 ; 8-byte Folded Reload
	v_and_b32_e32 v87, 0xffff0000, v26
	v_lshlrev_b32_e32 v86, 16, v26
	s_wait_loadcnt 0x0
	s_delay_alu instid0(VALU_DEP_1) | instskip(SKIP_4) | instid1(VALU_DEP_1)
	v_pk_fma_f32 v[70:71], v[92:93], v[86:87], v[70:71]
	scratch_load_b64 v[92:93], off, off offset:212 ; 8-byte Folded Reload
	v_and_b32_e32 v87, 0xffff0000, v22
	v_lshlrev_b32_e32 v86, 16, v22
	;; [unrolled: 11-line block ×4, first 2 shown]
	s_wait_loadcnt 0x0
	v_pk_fma_f32 v[70:71], v[92:93], v[86:87], v[70:71]
	scratch_load_b64 v[92:93], off, off offset:372 ; 8-byte Folded Reload
	v_and_b32_e32 v87, 0xffff0000, v2
	v_lshlrev_b32_e32 v86, 16, v2
	s_wait_loadcnt 0x0
	s_delay_alu instid0(VALU_DEP_1)
	v_pk_fma_f32 v[70:71], v[92:93], v[86:87], v[70:71]
	scratch_load_b64 v[86:87], off, off offset:8 ; 8-byte Folded Reload
	s_wait_loadcnt 0x0
	v_pk_fma_f32 v[74:75], v[86:87], v[74:75], v[82:83]
	scratch_load_b64 v[82:83], off, off offset:92 ; 8-byte Folded Reload
	s_wait_loadcnt 0x0
	v_pk_fma_f32 v[74:75], v[82:83], v[84:85], v[74:75]
	v_and_b32_e32 v83, 0xffff0000, v35
	v_lshlrev_b32_e32 v82, 16, v35
	scratch_load_b64 v[34:35], off, off offset:140 ; 8-byte Folded Reload
	s_wait_loadcnt 0x0
	v_pk_fma_f32 v[34:35], v[34:35], v[82:83], v[74:75]
	v_and_b32_e32 v75, 0xffff0000, v31
	v_lshlrev_b32_e32 v74, 16, v31
	;; [unrolled: 5-line block ×9, first 2 shown]
	scratch_load_b64 v[2:3], off, off offset:380 ; 8-byte Folded Reload
	s_wait_loadcnt 0x0
	v_pk_fma_f32 v[74:75], v[2:3], v[10:11], v[6:7]
	s_clause 0x2
	scratch_load_b64 v[2:3], off, off offset:16
	scratch_load_b64 v[6:7], off, off offset:100
	;; [unrolled: 1-line block ×3, first 2 shown]
	s_wait_loadcnt 0x2
	v_pk_fma_f32 v[2:3], v[2:3], v[72:73], v[78:79]
	s_wait_loadcnt 0x1
	s_delay_alu instid0(VALU_DEP_1) | instskip(SKIP_3) | instid1(VALU_DEP_1)
	v_pk_fma_f32 v[2:3], v[6:7], v[80:81], v[2:3]
	v_and_b32_e32 v7, 0xffff0000, v36
	v_lshlrev_b32_e32 v6, 16, v36
	s_wait_loadcnt 0x0
	v_pk_fma_f32 v[2:3], v[10:11], v[6:7], v[2:3]
	scratch_load_b64 v[10:11], off, off offset:172 ; 8-byte Folded Reload
	v_and_b32_e32 v7, 0xffff0000, v32
	v_lshlrev_b32_e32 v6, 16, v32
	s_wait_loadcnt 0x0
	s_delay_alu instid0(VALU_DEP_1) | instskip(SKIP_4) | instid1(VALU_DEP_1)
	v_pk_fma_f32 v[2:3], v[10:11], v[6:7], v[2:3]
	scratch_load_b64 v[10:11], off, off offset:188 ; 8-byte Folded Reload
	v_and_b32_e32 v7, 0xffff0000, v28
	v_lshlrev_b32_e32 v6, 16, v28
	s_wait_loadcnt 0x0
	v_pk_fma_f32 v[2:3], v[10:11], v[6:7], v[2:3]
	scratch_load_b64 v[10:11], off, off offset:228 ; 8-byte Folded Reload
	v_and_b32_e32 v7, 0xffff0000, v24
	v_lshlrev_b32_e32 v6, 16, v24
	s_wait_loadcnt 0x0
	s_delay_alu instid0(VALU_DEP_1) | instskip(SKIP_4) | instid1(VALU_DEP_1)
	v_pk_fma_f32 v[2:3], v[10:11], v[6:7], v[2:3]
	scratch_load_b64 v[10:11], off, off offset:260 ; 8-byte Folded Reload
	;; [unrolled: 11-line block ×4, first 2 shown]
	v_and_b32_e32 v7, 0xffff0000, v4
	v_lshlrev_b32_e32 v6, 16, v4
	s_wait_loadcnt 0x0
	v_pk_fma_f32 v[72:73], v[10:11], v[6:7], v[2:3]
	s_clause 0x2
	scratch_load_b64 v[2:3], off, off offset:24
	scratch_load_b64 v[6:7], off, off offset:108
	;; [unrolled: 1-line block ×3, first 2 shown]
	s_wait_loadcnt 0x2
	v_pk_fma_f32 v[2:3], v[2:3], v[38:39], v[40:41]
	s_wait_loadcnt 0x1
	s_delay_alu instid0(VALU_DEP_1) | instskip(SKIP_3) | instid1(VALU_DEP_1)
	v_pk_fma_f32 v[2:3], v[6:7], v[76:77], v[2:3]
	v_and_b32_e32 v7, 0xffff0000, v37
	v_lshlrev_b32_e32 v6, 16, v37
	s_wait_loadcnt 0x0
	v_pk_fma_f32 v[2:3], v[10:11], v[6:7], v[2:3]
	scratch_load_b64 v[10:11], off, off offset:196 ; 8-byte Folded Reload
	v_and_b32_e32 v7, 0xffff0000, v33
	v_lshlrev_b32_e32 v6, 16, v33
	s_wait_loadcnt 0x0
	s_delay_alu instid0(VALU_DEP_1) | instskip(SKIP_4) | instid1(VALU_DEP_1)
	v_pk_fma_f32 v[2:3], v[10:11], v[6:7], v[2:3]
	scratch_load_b64 v[10:11], off, off offset:204 ; 8-byte Folded Reload
	v_and_b32_e32 v7, 0xffff0000, v29
	v_lshlrev_b32_e32 v6, 16, v29
	s_wait_loadcnt 0x0
	v_pk_fma_f32 v[2:3], v[10:11], v[6:7], v[2:3]
	scratch_load_b64 v[10:11], off, off offset:236 ; 8-byte Folded Reload
	v_and_b32_e32 v7, 0xffff0000, v25
	v_lshlrev_b32_e32 v6, 16, v25
	s_wait_loadcnt 0x0
	s_delay_alu instid0(VALU_DEP_1) | instskip(SKIP_4) | instid1(VALU_DEP_1)
	v_pk_fma_f32 v[2:3], v[10:11], v[6:7], v[2:3]
	scratch_load_b64 v[10:11], off, off offset:268 ; 8-byte Folded Reload
	v_and_b32_e32 v7, 0xffff0000, v21
	v_lshlrev_b32_e32 v6, 16, v21
	s_wait_loadcnt 0x0
	v_pk_fma_f32 v[2:3], v[10:11], v[6:7], v[2:3]
	scratch_load_b64 v[10:11], off, off offset:300 ; 8-byte Folded Reload
	v_and_b32_e32 v7, 0xffff0000, v17
	v_lshlrev_b32_e32 v6, 16, v17
	s_wait_loadcnt 0x0
	s_delay_alu instid0(VALU_DEP_1) | instskip(SKIP_4) | instid1(VALU_DEP_1)
	v_pk_fma_f32 v[2:3], v[10:11], v[6:7], v[2:3]
	scratch_load_b64 v[10:11], off, off offset:332 ; 8-byte Folded Reload
	v_and_b32_e32 v7, 0xffff0000, v13
	v_lshlrev_b32_e32 v6, 16, v13
	s_wait_loadcnt 0x0
	v_pk_fma_f32 v[2:3], v[10:11], v[6:7], v[2:3]
	v_and_b32_e32 v7, 0xffff0000, v9
	v_lshlrev_b32_e32 v6, 16, v9
	scratch_load_b64 v[8:9], off, off offset:364 ; 8-byte Folded Reload
	s_wait_loadcnt 0x0
	v_pk_fma_f32 v[2:3], v[8:9], v[6:7], v[2:3]
	v_and_b32_e32 v7, 0xffff0000, v5
	v_lshlrev_b32_e32 v6, 16, v5
	scratch_load_b64 v[4:5], off, off offset:396 ; 8-byte Folded Reload
	s_wait_loadcnt 0x0
	v_pk_fma_f32 v[76:77], v[4:5], v[6:7], v[2:3]
	global_load_b128 v[2:5], v[68:69], off offset:6144
	s_wait_loadcnt 0x0
	v_and_b32_e32 v93, 0xffff0000, v2
	v_lshlrev_b32_e32 v92, 16, v2
	v_and_b32_e32 v87, 0xffff0000, v3
	v_lshlrev_b32_e32 v86, 16, v3
	;; [unrolled: 2-line block ×4, first 2 shown]
	global_load_b128 v[2:5], v[68:69], off offset:6656
	s_wait_loadcnt 0x0
	v_and_b32_e32 v95, 0xffff0000, v2
	v_lshlrev_b32_e32 v94, 16, v2
	v_and_b32_e32 v97, 0xffff0000, v3
	v_lshlrev_b32_e32 v96, 16, v3
	;; [unrolled: 2-line block ×4, first 2 shown]
	s_clause 0x9
	global_load_b128 v[38:41], v[68:69], off offset:7168
	global_load_b128 v[34:37], v[68:69], off offset:7680
	;; [unrolled: 1-line block ×10, first 2 shown]
	scratch_load_b64 v[68:69], off, off offset:404 ; 8-byte Folded Reload
	s_wait_loadcnt 0x0
	v_pk_fma_f32 v[68:69], v[68:69], v[92:93], v[70:71]
	s_clause 0x1
	scratch_load_b64 v[70:71], off, off offset:436
	scratch_load_b64 v[92:93], off, off offset:468
	s_wait_loadcnt 0x1
	v_pk_fma_f32 v[68:69], v[70:71], v[94:95], v[68:69]
	v_and_b32_e32 v71, 0xffff0000, v38
	v_lshlrev_b32_e32 v70, 16, v38
	s_wait_loadcnt 0x0
	s_delay_alu instid0(VALU_DEP_1) | instskip(SKIP_4) | instid1(VALU_DEP_1)
	v_pk_fma_f32 v[68:69], v[92:93], v[70:71], v[68:69]
	scratch_load_b64 v[92:93], off, off offset:500 ; 8-byte Folded Reload
	v_and_b32_e32 v71, 0xffff0000, v34
	v_lshlrev_b32_e32 v70, 16, v34
	s_wait_loadcnt 0x0
	v_pk_fma_f32 v[68:69], v[92:93], v[70:71], v[68:69]
	scratch_load_b64 v[92:93], off, off offset:532 ; 8-byte Folded Reload
	v_and_b32_e32 v71, 0xffff0000, v30
	v_lshlrev_b32_e32 v70, 16, v30
	s_wait_loadcnt 0x0
	s_delay_alu instid0(VALU_DEP_1) | instskip(SKIP_4) | instid1(VALU_DEP_1)
	v_pk_fma_f32 v[68:69], v[92:93], v[70:71], v[68:69]
	scratch_load_b64 v[92:93], off, off offset:564 ; 8-byte Folded Reload
	v_and_b32_e32 v71, 0xffff0000, v26
	v_lshlrev_b32_e32 v70, 16, v26
	s_wait_loadcnt 0x0
	v_pk_fma_f32 v[68:69], v[92:93], v[70:71], v[68:69]
	v_and_b32_e32 v71, 0xffff0000, v22
	v_lshlrev_b32_e32 v70, 16, v22
	s_delay_alu instid0(VALU_DEP_1) | instskip(SKIP_2) | instid1(VALU_DEP_1)
	v_pk_fma_f32 v[68:69], v[102:103], v[70:71], v[68:69]
	v_and_b32_e32 v71, 0xffff0000, v18
	v_lshlrev_b32_e32 v70, 16, v18
	v_pk_fma_f32 v[68:69], v[112:113], v[70:71], v[68:69]
	v_and_b32_e32 v71, 0xffff0000, v14
	v_lshlrev_b32_e32 v70, 16, v14
	s_delay_alu instid0(VALU_DEP_1) | instskip(SKIP_2) | instid1(VALU_DEP_1)
	v_pk_fma_f32 v[68:69], v[120:121], v[70:71], v[68:69]
	v_and_b32_e32 v71, 0xffff0000, v10
	v_lshlrev_b32_e32 v70, 16, v10
	;; [unrolled: 7-line block ×3, first 2 shown]
	v_pk_fma_f32 v[68:69], v[58:59], v[70:71], v[68:69]
	scratch_load_b64 v[70:71], off, off offset:412 ; 8-byte Folded Reload
	s_wait_loadcnt 0x0
	v_pk_fma_f32 v[70:71], v[70:71], v[86:87], v[74:75]
	scratch_load_b64 v[74:75], off, off offset:444 ; 8-byte Folded Reload
	s_wait_loadcnt 0x0
	v_pk_fma_f32 v[70:71], v[74:75], v[96:97], v[70:71]
	v_and_b32_e32 v75, 0xffff0000, v39
	v_lshlrev_b32_e32 v74, 16, v39
	scratch_load_b64 v[38:39], off, off offset:476 ; 8-byte Folded Reload
	s_wait_loadcnt 0x0
	v_pk_fma_f32 v[38:39], v[38:39], v[74:75], v[70:71]
	v_and_b32_e32 v71, 0xffff0000, v35
	v_lshlrev_b32_e32 v70, 16, v35
	;; [unrolled: 5-line block ×5, first 2 shown]
	s_delay_alu instid0(VALU_DEP_1) | instskip(SKIP_2) | instid1(VALU_DEP_1)
	v_pk_fma_f32 v[22:23], v[104:105], v[30:31], v[26:27]
	v_and_b32_e32 v27, 0xffff0000, v19
	v_lshlrev_b32_e32 v26, 16, v19
	v_pk_fma_f32 v[18:19], v[114:115], v[26:27], v[22:23]
	v_and_b32_e32 v23, 0xffff0000, v15
	v_lshlrev_b32_e32 v22, 16, v15
	s_delay_alu instid0(VALU_DEP_1) | instskip(SKIP_2) | instid1(VALU_DEP_1)
	v_pk_fma_f32 v[14:15], v[122:123], v[22:23], v[18:19]
	v_and_b32_e32 v19, 0xffff0000, v11
	v_lshlrev_b32_e32 v18, 16, v11
	v_pk_fma_f32 v[10:11], v[44:45], v[18:19], v[14:15]
	v_and_b32_e32 v15, 0xffff0000, v7
	v_lshlrev_b32_e32 v14, 16, v7
	scratch_load_b64 v[18:19], off, off offset:492 ; 8-byte Folded Reload
	v_pk_fma_f32 v[6:7], v[52:53], v[14:15], v[10:11]
	v_and_b32_e32 v11, 0xffff0000, v3
	v_lshlrev_b32_e32 v10, 16, v3
	scratch_load_b64 v[14:15], off, off offset:484 ; 8-byte Folded Reload
	v_pk_fma_f32 v[2:3], v[60:61], v[10:11], v[6:7]
	s_clause 0x1
	scratch_load_b64 v[6:7], off, off offset:420
	scratch_load_b64 v[10:11], off, off offset:452
	s_wait_loadcnt 0x1
	v_pk_fma_f32 v[6:7], v[6:7], v[82:83], v[72:73]
	s_wait_loadcnt 0x0
	s_delay_alu instid0(VALU_DEP_1) | instskip(SKIP_2) | instid1(VALU_DEP_1)
	v_pk_fma_f32 v[6:7], v[10:11], v[84:85], v[6:7]
	v_and_b32_e32 v11, 0xffff0000, v40
	v_lshlrev_b32_e32 v10, 16, v40
	v_pk_fma_f32 v[6:7], v[14:15], v[10:11], v[6:7]
	scratch_load_b64 v[14:15], off, off offset:516 ; 8-byte Folded Reload
	v_and_b32_e32 v11, 0xffff0000, v36
	v_lshlrev_b32_e32 v10, 16, v36
	s_wait_loadcnt 0x0
	s_delay_alu instid0(VALU_DEP_1) | instskip(SKIP_4) | instid1(VALU_DEP_1)
	v_pk_fma_f32 v[6:7], v[14:15], v[10:11], v[6:7]
	scratch_load_b64 v[14:15], off, off offset:548 ; 8-byte Folded Reload
	v_and_b32_e32 v11, 0xffff0000, v32
	v_lshlrev_b32_e32 v10, 16, v32
	s_wait_loadcnt 0x0
	v_pk_fma_f32 v[6:7], v[14:15], v[10:11], v[6:7]
	v_and_b32_e32 v11, 0xffff0000, v28
	v_lshlrev_b32_e32 v10, 16, v28
	scratch_load_b64 v[14:15], off, off offset:460 ; 8-byte Folded Reload
	v_pk_fma_f32 v[6:7], v[98:99], v[10:11], v[6:7]
	v_and_b32_e32 v11, 0xffff0000, v24
	v_lshlrev_b32_e32 v10, 16, v24
	s_delay_alu instid0(VALU_DEP_1) | instskip(SKIP_2) | instid1(VALU_DEP_1)
	v_pk_fma_f32 v[6:7], v[108:109], v[10:11], v[6:7]
	v_and_b32_e32 v11, 0xffff0000, v20
	v_lshlrev_b32_e32 v10, 16, v20
	v_pk_fma_f32 v[6:7], v[116:117], v[10:11], v[6:7]
	v_and_b32_e32 v11, 0xffff0000, v16
	v_lshlrev_b32_e32 v10, 16, v16
	s_delay_alu instid0(VALU_DEP_1) | instskip(SKIP_2) | instid1(VALU_DEP_1)
	v_pk_fma_f32 v[6:7], v[124:125], v[10:11], v[6:7]
	v_and_b32_e32 v11, 0xffff0000, v12
	v_dual_lshlrev_b32 v10, 16, v12 :: v_dual_lshlrev_b32 v12, 16, v9
	v_pk_fma_f32 v[6:7], v[46:47], v[10:11], v[6:7]
	v_and_b32_e32 v11, 0xffff0000, v8
	v_lshlrev_b32_e32 v10, 16, v8
	s_delay_alu instid0(VALU_DEP_1) | instskip(SKIP_2) | instid1(VALU_DEP_1)
	v_pk_fma_f32 v[6:7], v[54:55], v[10:11], v[6:7]
	v_and_b32_e32 v11, 0xffff0000, v4
	v_lshlrev_b32_e32 v10, 16, v4
	v_pk_fma_f32 v[6:7], v[62:63], v[10:11], v[6:7]
	scratch_load_b64 v[10:11], off, off offset:428 ; 8-byte Folded Reload
	s_wait_loadcnt 0x0
	v_pk_fma_f32 v[10:11], v[10:11], v[78:79], v[76:77]
	s_delay_alu instid0(VALU_DEP_1) | instskip(SKIP_2) | instid1(VALU_DEP_1)
	v_pk_fma_f32 v[10:11], v[14:15], v[80:81], v[10:11]
	v_and_b32_e32 v15, 0xffff0000, v41
	v_lshlrev_b32_e32 v14, 16, v41
	v_pk_fma_f32 v[10:11], v[18:19], v[14:15], v[10:11]
	scratch_load_b64 v[18:19], off, off offset:524 ; 8-byte Folded Reload
	v_and_b32_e32 v15, 0xffff0000, v37
	v_lshlrev_b32_e32 v14, 16, v37
	s_wait_loadcnt 0x0
	s_delay_alu instid0(VALU_DEP_1) | instskip(SKIP_4) | instid1(VALU_DEP_1)
	v_pk_fma_f32 v[10:11], v[18:19], v[14:15], v[10:11]
	scratch_load_b64 v[18:19], off, off offset:556 ; 8-byte Folded Reload
	v_and_b32_e32 v15, 0xffff0000, v33
	v_lshlrev_b32_e32 v14, 16, v33
	s_wait_loadcnt 0x0
	v_pk_fma_f32 v[10:11], v[18:19], v[14:15], v[10:11]
	v_and_b32_e32 v15, 0xffff0000, v29
	v_lshlrev_b32_e32 v14, 16, v29
	s_delay_alu instid0(VALU_DEP_1) | instskip(SKIP_2) | instid1(VALU_DEP_1)
	v_pk_fma_f32 v[10:11], v[100:101], v[14:15], v[10:11]
	v_and_b32_e32 v15, 0xffff0000, v25
	v_lshlrev_b32_e32 v14, 16, v25
	v_pk_fma_f32 v[10:11], v[110:111], v[14:15], v[10:11]
	v_and_b32_e32 v15, 0xffff0000, v21
	v_lshlrev_b32_e32 v14, 16, v21
	s_delay_alu instid0(VALU_DEP_1) | instskip(SKIP_2) | instid1(VALU_DEP_1)
	v_pk_fma_f32 v[10:11], v[118:119], v[14:15], v[10:11]
	v_and_b32_e32 v15, 0xffff0000, v17
	v_lshlrev_b32_e32 v14, 16, v17
	v_pk_fma_f32 v[10:11], v[126:127], v[14:15], v[10:11]
	v_and_b32_e32 v15, 0xffff0000, v13
	v_lshlrev_b32_e32 v14, 16, v13
	v_and_b32_e32 v13, 0xffff0000, v9
	s_delay_alu instid0(VALU_DEP_2) | instskip(NEXT) | instid1(VALU_DEP_1)
	v_pk_fma_f32 v[10:11], v[48:49], v[14:15], v[10:11]
	v_pk_fma_f32 v[8:9], v[56:57], v[12:13], v[10:11]
	v_and_b32_e32 v11, 0xffff0000, v5
	v_lshlrev_b32_e32 v10, 16, v5
	s_delay_alu instid0(VALU_DEP_1) | instskip(SKIP_1) | instid1(VALU_DEP_1)
	v_pk_fma_f32 v[4:5], v[64:65], v[10:11], v[8:9]
	v_add_f32_e32 v8, v68, v69
	v_add_f32_e32 v2, v8, v2
	s_delay_alu instid0(VALU_DEP_1) | instskip(NEXT) | instid1(VALU_DEP_1)
	v_add_f32_e32 v2, v3, v2
	v_add_f32_e32 v2, v6, v2
	s_delay_alu instid0(VALU_DEP_1) | instskip(NEXT) | instid1(VALU_DEP_1)
	;; [unrolled: 3-line block ×3, first 2 shown]
	v_add_f32_e32 v2, v5, v2
	v_fmac_f32_e32 v90, s23, v2
	s_delay_alu instid0(VALU_DEP_1) | instskip(SKIP_2) | instid1(VALU_DEP_1)
	v_cndmask_b32_e64 v2, 0, v90, s3
	ds_store_b32 v88, v2
	v_max_num_f32_e32 v2, v107, v107
	v_max_num_f32_e32 v2, v2, v90
	s_delay_alu instid0(VALU_DEP_1)
	v_cndmask_b32_e64 v107, v107, v2, s3
	s_branch .LBB151_10
.LBB151_15:
	s_or_b32 exec_lo, exec_lo, s36
	s_clause 0x2
	scratch_load_b32 v22, off, off offset:596
	scratch_load_b32 v26, off, off offset:604
	;; [unrolled: 1-line block ×3, first 2 shown]
	v_mov_b32_e32 v27, v91
.LBB151_16:
	s_wait_xcnt 0x0
	s_or_b32 exec_lo, exec_lo, s22
	v_mbcnt_lo_u32_b32 v3, -1, 0
	s_clause 0x1
	s_load_b64 s[10:11], s[0:1], 0x0
	s_load_b64 s[22:23], s[0:1], 0x18
	v_max_num_f32_e32 v4, v107, v107
	v_xor_b32_e32 v2, 8, v3
	v_xor_b32_e32 v0, 16, v3
	s_delay_alu instid0(VALU_DEP_1) | instskip(SKIP_1) | instid1(VALU_DEP_1)
	v_cmp_gt_i32_e32 vcc_lo, 32, v0
	v_cndmask_b32_e32 v0, v3, v0, vcc_lo
	v_lshlrev_b32_e32 v0, 2, v0
	ds_bpermute_b32 v1, v0, v107
	s_wait_dscnt 0x0
	v_max_num_f32_e32 v5, v1, v1
	s_delay_alu instid0(VALU_DEP_1) | instskip(SKIP_2) | instid1(VALU_DEP_1)
	v_max_num_f32_e32 v4, v4, v5
	v_cmp_gt_i32_e32 vcc_lo, 32, v2
	v_dual_cndmask_b32 v2, v3, v2, vcc_lo :: v_dual_bitop2_b32 v5, 4, v3 bitop3:0x14
	v_cmp_gt_i32_e32 vcc_lo, 32, v5
	s_delay_alu instid0(VALU_DEP_2) | instskip(SKIP_3) | instid1(VALU_DEP_1)
	v_lshlrev_b32_e32 v1, 2, v2
	ds_bpermute_b32 v2, v1, v4
	s_wait_dscnt 0x0
	v_dual_cndmask_b32 v5, v3, v5 :: v_dual_max_num_f32 v6, v2, v2
	v_dual_lshlrev_b32 v2, 2, v5 :: v_dual_max_num_f32 v4, v4, v6
	ds_bpermute_b32 v5, v2, v4
	s_wait_dscnt 0x0
	v_dual_max_num_f32 v5, v5, v5 :: v_dual_bitop2_b32 v6, 2, v3 bitop3:0x14
	s_delay_alu instid0(VALU_DEP_1) | instskip(NEXT) | instid1(VALU_DEP_2)
	v_cmp_gt_i32_e32 vcc_lo, 32, v6
	v_dual_max_num_f32 v4, v4, v5 :: v_dual_cndmask_b32 v6, v3, v6, vcc_lo
	s_delay_alu instid0(VALU_DEP_1) | instskip(SKIP_3) | instid1(VALU_DEP_1)
	v_dual_lshlrev_b32 v24, 2, v6 :: v_dual_bitop2_b32 v6, 1, v3 bitop3:0x14
	ds_bpermute_b32 v5, v24, v4
	v_cmp_gt_i32_e32 vcc_lo, 32, v6
	v_cndmask_b32_e32 v3, v3, v6, vcc_lo
	v_lshlrev_b32_e32 v25, 2, v3
	scratch_load_b32 v3, off, off offset:64 ; 4-byte Folded Reload
	s_wait_dscnt 0x0
	v_max_num_f32_e32 v5, v5, v5
	s_delay_alu instid0(VALU_DEP_1)
	v_max_num_f32_e32 v4, v4, v5
	ds_bpermute_b32 v5, v25, v4
	s_wait_loadcnt 0x0
	v_cmp_eq_u32_e32 vcc_lo, 0, v3
	scratch_load_b32 v3, off, off offset:592 ; 4-byte Folded Reload
	s_wait_loadcnt 0x0
	v_lshlrev_b32_e32 v3, 2, v3
	s_wait_xcnt 0x0
	s_and_saveexec_b32 s0, vcc_lo
	s_cbranch_execz .LBB151_18
; %bb.17:
	s_wait_dscnt 0x0
	v_dual_max_num_f32 v5, v5, v5 :: v_dual_max_num_f32 v4, v4, v4
	s_delay_alu instid0(VALU_DEP_1)
	v_max_num_f32_e32 v4, v4, v5
	ds_store_b32 v3, v4 offset:384
.LBB151_18:
	s_or_b32 exec_lo, exec_lo, s0
	scratch_load_b32 v4, off, off offset:64 ; 4-byte Folded Reload
	s_wait_storecnt 0x0
	s_wait_loadcnt_dscnt 0x0
	s_barrier_signal -1
	s_barrier_wait -1
	v_cmp_gt_u32_e64 s0, 4, v4
	v_mov_b32_e32 v4, 0xff7fffff
	s_and_saveexec_b32 s1, s0
; %bb.19:
	ds_load_b32 v4, v27 offset:384
; %bb.20:
	s_or_b32 exec_lo, exec_lo, s1
	s_wait_dscnt 0x0
	ds_bpermute_b32 v5, v24, v4
	v_max_num_f32_e32 v4, v4, v4
	s_lshl_b32 s1, s31, 5
	s_delay_alu instid0(SALU_CYCLE_1) | instskip(NEXT) | instid1(SALU_CYCLE_1)
	s_min_i32 s4, s1, s29
	v_cmp_gt_i32_e64 s1, s4, v22
	s_wait_dscnt 0x0
	v_max_num_f32_e32 v5, v5, v5
	s_delay_alu instid0(VALU_DEP_1) | instskip(SKIP_3) | instid1(VALU_DEP_1)
	v_max_num_f32_e32 v4, v4, v5
	ds_bpermute_b32 v5, v25, v4
	s_wait_dscnt 0x0
	v_max_num_f32_e32 v5, v5, v5
	v_dual_max_num_f32 v5, v4, v5 :: v_dual_mov_b32 v4, 0
	ds_bpermute_b32 v5, v4, v5
	s_and_saveexec_b32 s21, s1
	s_cbranch_execz .LBB151_24
; %bb.21:
	v_lshl_add_u32 v6, v22, 2, 0x1a0
	v_dual_mov_b32 v4, 0 :: v_dual_mov_b32 v7, v22
	s_mov_b32 s24, 0
.LBB151_22:                             ; =>This Inner Loop Header: Depth=1
	ds_load_b32 v8, v6
	v_add_nc_u32_e32 v7, 0x80, v7
	s_delay_alu instid0(VALU_DEP_1) | instskip(SKIP_3) | instid1(VALU_DEP_1)
	v_cmp_le_i32_e64 s3, s4, v7
	s_or_b32 s24, s3, s24
	s_wait_dscnt 0x0
	v_sub_f32_e32 v8, v8, v5
	v_mul_f32_e32 v8, 0x3fb8aa3b, v8
	s_delay_alu instid0(VALU_DEP_1)
	v_exp_f32_e32 v8, v8
	ds_store_b32 v6, v8
	v_nop
	v_add_f32_e32 v4, v4, v8
	v_add_nc_u32_e32 v6, 0x200, v6
	s_and_not1_b32 exec_lo, exec_lo, s24
	s_cbranch_execnz .LBB151_22
; %bb.23:
	s_or_b32 exec_lo, exec_lo, s24
.LBB151_24:
	s_delay_alu instid0(SALU_CYCLE_1)
	s_or_b32 exec_lo, exec_lo, s21
	ds_bpermute_b32 v0, v0, v4
	s_wait_dscnt 0x0
	v_add_f32_e32 v0, v4, v0
	ds_bpermute_b32 v1, v1, v0
	s_wait_dscnt 0x0
	v_add_f32_e32 v0, v0, v1
	;; [unrolled: 3-line block ×5, first 2 shown]
	s_and_saveexec_b32 s3, vcc_lo
; %bb.25:
	ds_store_b32 v3, v0 offset:400
; %bb.26:
	s_or_b32 exec_lo, exec_lo, s3
	s_wait_dscnt 0x0
	s_barrier_signal -1
	s_barrier_wait -1
	s_and_saveexec_b32 s3, s0
; %bb.27:
	ds_load_b32 v0, v27 offset:400
; %bb.28:
	s_or_b32 exec_lo, exec_lo, s3
	s_wait_dscnt 0x0
	ds_bpermute_b32 v1, v24, v0
	s_wait_dscnt 0x0
	v_dual_mov_b32 v105, 0 :: v_dual_add_f32 v0, v0, v1
	ds_bpermute_b32 v1, v25, v0
	s_wait_dscnt 0x0
	v_add_f32_e32 v0, v0, v1
	ds_bpermute_b32 v0, v105, v0
	s_and_saveexec_b32 s0, s1
	s_cbranch_execz .LBB151_41
; %bb.29:
	s_wait_dscnt 0x0
	v_add_f32_e32 v0, 0x358637bd, v0
	s_mov_b32 s3, -1
	s_mov_b32 s1, exec_lo
	s_delay_alu instid0(VALU_DEP_1) | instskip(NEXT) | instid1(VALU_DEP_1)
	v_div_scale_f32 v1, null, v0, v0, 1.0
	v_rcp_f32_e32 v3, v1
	v_nop
	s_delay_alu instid0(TRANS32_DEP_1) | instskip(NEXT) | instid1(VALU_DEP_1)
	v_fma_f32 v2, -v1, v3, 1.0
	v_fmac_f32_e32 v3, v2, v3
	v_div_scale_f32 v4, vcc_lo, 1.0, v0, 1.0
	s_delay_alu instid0(VALU_DEP_1) | instskip(NEXT) | instid1(VALU_DEP_1)
	v_mul_f32_e32 v5, v4, v3
	v_fma_f32 v2, -v1, v5, v4
	s_delay_alu instid0(VALU_DEP_1) | instskip(SKIP_1) | instid1(VALU_DEP_2)
	v_fmac_f32_e32 v5, v2, v3
	v_xad_u32 v2, v22, -1, s4
	v_fma_f32 v1, -v1, v5, v4
	s_delay_alu instid0(VALU_DEP_1) | instskip(NEXT) | instid1(VALU_DEP_1)
	v_div_fmas_f32 v1, v1, v3, v5
	v_div_fixup_f32 v0, v1, v0, 1.0
	v_mov_b32_e32 v1, v22
	v_cmpx_lt_u32_e32 0x7f, v2
	s_cbranch_execz .LBB151_38
; %bb.30:
	s_delay_alu instid0(VALU_DEP_3) | instskip(NEXT) | instid1(VALU_DEP_1)
	v_dual_mov_b32 v1, v0 :: v_dual_lshrrev_b32 v2, 7, v2
	v_dual_mov_b32 v6, 0 :: v_dual_add_nc_u32 v3, -1, v2
	s_delay_alu instid0(VALU_DEP_1) | instskip(SKIP_1) | instid1(VALU_DEP_2)
	v_lshrrev_b32_e32 v4, 1, v3
	v_cmp_lt_u32_e32 vcc_lo, 13, v3
	v_add_nc_u32_e32 v3, 1, v4
	s_and_saveexec_b32 s3, vcc_lo
	s_cbranch_execz .LBB151_34
; %bb.31:
	s_delay_alu instid0(VALU_DEP_1)
	v_and_b32_e32 v4, -8, v3
	v_lshl_add_u32 v5, v22, 2, 0x1a0
	s_mov_b32 s21, 0
	s_mov_b32 s24, 0
.LBB151_32:                             ; =>This Inner Loop Header: Depth=1
	ds_load_2addr_stride64_b32 v[6:7], v5 offset1:2
	ds_load_2addr_stride64_b32 v[8:9], v5 offset0:4 offset1:6
	ds_load_2addr_stride64_b32 v[10:11], v5 offset0:8 offset1:10
	;; [unrolled: 1-line block ×7, first 2 shown]
	s_add_co_i32 s24, s24, 16
	v_add_nc_u32_e32 v4, -8, v4
	s_wait_dscnt 0x7
	v_pk_mul_f32 v[6:7], v[0:1], v[6:7]
	s_wait_dscnt 0x6
	v_pk_mul_f32 v[8:9], v[0:1], v[8:9]
	;; [unrolled: 2-line block ×8, first 2 shown]
	ds_store_2addr_stride64_b32 v5, v6, v7 offset1:2
	ds_store_2addr_stride64_b32 v5, v8, v9 offset0:4 offset1:6
	ds_store_2addr_stride64_b32 v5, v10, v11 offset0:8 offset1:10
	ds_store_2addr_stride64_b32 v5, v12, v13 offset0:12 offset1:14
	ds_store_2addr_stride64_b32 v5, v14, v15 offset0:16 offset1:18
	ds_store_2addr_stride64_b32 v5, v16, v17 offset0:20 offset1:22
	ds_store_2addr_stride64_b32 v5, v18, v19 offset0:24 offset1:26
	ds_store_2addr_stride64_b32 v5, v20, v21 offset0:28 offset1:30
	v_mov_b32_e32 v6, s24
	v_cmp_eq_u32_e32 vcc_lo, 0, v4
	v_add_nc_u32_e32 v5, 0x2000, v5
	s_or_b32 s21, vcc_lo, s21
	s_delay_alu instid0(SALU_CYCLE_1)
	s_and_not1_b32 exec_lo, exec_lo, s21
	s_cbranch_execnz .LBB151_32
; %bb.33:
	s_or_b32 exec_lo, exec_lo, s21
.LBB151_34:
	s_delay_alu instid0(SALU_CYCLE_1) | instskip(NEXT) | instid1(VALU_DEP_1)
	s_or_b32 exec_lo, exec_lo, s3
	v_and_b32_e32 v3, 7, v3
	s_mov_b32 s21, 0
	s_mov_b32 s3, exec_lo
	s_delay_alu instid0(VALU_DEP_1)
	v_cmpx_ne_u32_e32 0, v3
	s_cbranch_execz .LBB151_37
; %bb.35:
	v_lshlrev_b32_e32 v4, 9, v6
	v_lshlrev_b32_e32 v5, 2, v22
	s_delay_alu instid0(VALU_DEP_1)
	v_add3_u32 v4, v4, v5, 0x1a0
.LBB151_36:                             ; =>This Inner Loop Header: Depth=1
	ds_load_2addr_stride64_b32 v[6:7], v4 offset1:2
	v_add_nc_u32_e32 v3, -1, v3
	s_delay_alu instid0(VALU_DEP_1)
	v_cmp_eq_u32_e32 vcc_lo, 0, v3
	s_or_b32 s21, vcc_lo, s21
	s_wait_dscnt 0x0
	v_pk_mul_f32 v[6:7], v[0:1], v[6:7]
	ds_store_2addr_stride64_b32 v4, v6, v7 offset1:2
	v_add_nc_u32_e32 v4, 0x400, v4
	s_and_not1_b32 exec_lo, exec_lo, s21
	s_cbranch_execnz .LBB151_36
.LBB151_37:
	s_or_b32 exec_lo, exec_lo, s3
	v_add_nc_u32_e32 v1, 1, v2
	s_delay_alu instid0(VALU_DEP_1) | instskip(NEXT) | instid1(VALU_DEP_1)
	v_and_b32_e32 v2, 0x3fffffe, v1
	v_cmp_ne_u32_e32 vcc_lo, v1, v2
	v_lshl_add_u32 v1, v2, 7, v22
	s_or_not1_b32 s3, vcc_lo, exec_lo
.LBB151_38:
	s_or_b32 exec_lo, exec_lo, s1
	s_delay_alu instid0(SALU_CYCLE_1)
	s_and_b32 exec_lo, exec_lo, s3
	s_cbranch_execz .LBB151_41
; %bb.39:
	v_lshl_add_u32 v2, v1, 2, 0x1a0
	s_mov_b32 s1, 0
.LBB151_40:                             ; =>This Inner Loop Header: Depth=1
	ds_load_b32 v3, v2
	v_add_nc_u32_e32 v1, 0x80, v1
	s_delay_alu instid0(VALU_DEP_1)
	v_cmp_le_i32_e32 vcc_lo, s4, v1
	s_or_b32 s1, vcc_lo, s1
	s_wait_dscnt 0x0
	v_mul_f32_e32 v3, v0, v3
	ds_store_b32 v2, v3
	v_add_nc_u32_e32 v2, 0x200, v2
	s_and_not1_b32 exec_lo, exec_lo, s1
	s_cbranch_execnz .LBB151_40
.LBB151_41:
	s_or_b32 exec_lo, exec_lo, s0
	v_dual_mov_b32 v104, 0 :: v_dual_bitop2_b32 v56, 3, v22 bitop3:0x40
	v_dual_mov_b32 v99, 0 :: v_dual_mov_b32 v98, 0
	v_dual_mov_b32 v95, 0 :: v_dual_mov_b32 v94, 0
	;; [unrolled: 1-line block ×10, first 2 shown]
	s_wait_dscnt 0x0
	v_dual_mov_b32 v1, 0 :: v_dual_mov_b32 v0, 0
	s_barrier_signal -1
	s_barrier_wait -1
	s_and_saveexec_b32 s24, s2
	s_cbranch_execz .LBB151_95
; %bb.42:
	s_clause 0x2
	scratch_store_b32 off, v24, off offset:92
	scratch_store_b32 off, v25, off offset:84
	scratch_load_b32 v43, off, off offset:592
	s_abs_i32 s6, s6
	v_dual_lshlrev_b32 v3, 3, v22 :: v_dual_mov_b32 v107, 0
	s_cvt_f32_u32 s0, s6
	s_ashr_i32 s21, s20, 31
	v_and_b32_e32 v0, 0x1f0, v23
	v_lshlrev_b32_e32 v4, 5, v56
	v_rcp_iflag_f32_e32 v1, s0
	v_and_b32_e32 v3, 24, v3
	s_lshl_b64 s[0:1], s[18:19], 2
	s_lshl_b64 s[18:19], s[20:21], 1
	s_add_nc_u64 s[0:1], s[16:17], s[0:1]
	s_wait_kmcnt 0x0
	s_add_nc_u64 s[16:17], s[22:23], s[18:19]
	v_and_b32_e32 v2, 0x7c, v26
	v_readfirstlane_b32 s4, v1
	v_mov_b32_e32 v1, v107
	s_sub_co_i32 s20, 0, s6
	v_dual_mov_b32 v109, v107 :: v_dual_mov_b32 v126, v107
	s_mul_f32 s4, s4, 0x4f7ffffe
	s_delay_alu instid0(VALU_DEP_2)
	v_add_nc_u64_e32 v[0:1], s[16:17], v[0:1]
	s_clause 0x1
	scratch_store_b32 off, v3, off offset:68
	scratch_store_b32 off, v56, off offset:100
	s_cvt_u32_f32 s4, s4
	v_dual_mov_b32 v108, v107 :: v_dual_mov_b32 v127, v107
	v_mov_b32_e32 v124, v107
	s_delay_alu instid0(SALU_CYCLE_1)
	s_mul_i32 s20, s20, s4
	scratch_store_b64 off, v[0:1], off offset:76 ; 8-byte Folded Spill
	s_wait_xcnt 0x0
	v_dual_mov_b32 v0, v107 :: v_dual_mov_b32 v1, v107
	v_dual_mov_b32 v125, v107 :: v_dual_mov_b32 v122, v107
	;; [unrolled: 1-line block ×9, first 2 shown]
	v_mov_b32_e32 v105, v107
	s_sub_co_i32 s25, s33, s5
	s_mov_b32 s5, 0
	s_mul_hi_u32 s17, s4, s20
	s_ashr_i32 s3, s9, 31
	s_mov_b32 s2, s9
	s_add_co_i32 s9, s31, -1
	s_mov_b32 s16, s29
	s_add_co_i32 s4, s4, s17
	s_mov_b32 s17, s5
	s_wait_loadcnt 0x0
	v_lshl_or_b32 v4, v43, 7, v4
	s_delay_alu instid0(VALU_DEP_1) | instskip(NEXT) | instid1(VALU_DEP_1)
	v_dual_mov_b32 v3, v107 :: v_dual_add_nc_u32 v42, 0x1a0, v4
	v_add_nc_u64_e32 v[38:39], s[0:1], v[2:3]
	s_branch .LBB151_45
.LBB151_43:                             ;   in Loop: Header=BB151_45 Depth=1
	s_or_b32 exec_lo, exec_lo, s1
	scratch_load_b128 v[110:113], off, off offset:48 th:TH_LOAD_LU ; 16-byte Folded Reload
	s_wait_loadcnt 0x0
	v_cvt_pk_bf16_f32 v45, v110, v111
	v_cvt_pk_bf16_f32 v40, v112, v113
	scratch_load_b128 v[110:113], off, off offset:32 th:TH_LOAD_LU ; 16-byte Folded Reload
	v_pk_mul_bf16 v102, v45, v102
	v_pk_mul_bf16 v103, v40, v103
	;; [unrolled: 1-line block ×46, first 2 shown]
	s_wait_loadcnt 0x0
	v_cvt_pk_bf16_f32 v41, v110, v111
	v_lshlrev_b32_e32 v110, 16, v102
	v_and_b32_e32 v102, 0xffff0000, v102
	v_cvt_pk_bf16_f32 v44, v112, v113
	s_delay_alu instid0(VALU_DEP_4) | instskip(SKIP_1) | instid1(VALU_DEP_4)
	v_pk_mul_bf16 v104, v41, v104
	v_pk_mul_bf16 v100, v41, v100
	v_dual_add_f32 v102, v110, v102 :: v_dual_lshlrev_b32 v110, 16, v103
	v_and_b32_e32 v103, 0xffff0000, v103
	v_pk_mul_bf16 v105, v44, v105
	v_pk_mul_bf16 v101, v44, v101
	;; [unrolled: 1-line block ×4, first 2 shown]
	v_add_f32_e32 v103, v110, v103
	v_pk_mul_bf16 v92, v41, v92
	v_pk_mul_bf16 v93, v44, v93
	v_pk_mul_bf16 v84, v41, v84
	v_pk_mul_bf16 v85, v44, v85
	v_dual_add_f32 v102, v103, v102 :: v_dual_lshlrev_b32 v103, 16, v104
	v_and_b32_e32 v104, 0xffff0000, v104
	v_pk_mul_bf16 v80, v41, v80
	v_pk_mul_bf16 v81, v44, v81
	v_pk_mul_bf16 v77, v44, v77
	v_pk_mul_bf16 v76, v41, v76
	v_dual_add_f32 v103, v103, v104 :: v_dual_lshlrev_b32 v104, 16, v105
	v_and_b32_e32 v105, 0xffff0000, v105
	;; [unrolled: 6-line block ×3, first 2 shown]
	v_add_f32_e32 v102, v103, v102
	v_pk_mul_bf16 v64, v41, v64
	v_pk_mul_bf16 v60, v41, v60
	;; [unrolled: 1-line block ×3, first 2 shown]
	v_dual_add_f32 v99, v105, v99 :: v_dual_lshlrev_b32 v103, 16, v98
	v_and_b32_e32 v98, 0xffff0000, v98
	v_pk_mul_bf16 v61, v44, v61
	v_pk_mul_bf16 v56, v41, v56
	v_pk_mul_bf16 v57, v44, v57
	v_pk_mul_bf16 v52, v41, v52
	v_dual_add_f32 v98, v103, v98 :: v_dual_lshlrev_b32 v103, 16, v100
	v_and_b32_e32 v100, 0xffff0000, v100
	v_add_f32_e32 v102, v104, v102
	scratch_load_b64 v[104:105], off, off th:TH_LOAD_LU ; 8-byte Folded Reload
	v_add_f32_e32 v98, v99, v98
	v_pk_mul_bf16 v53, v44, v53
	v_dual_add_f32 v99, v103, v100 :: v_dual_lshlrev_b32 v100, 16, v101
	v_and_b32_e32 v101, 0xffff0000, v101
	v_pk_mul_bf16 v48, v41, v48
	v_pk_mul_bf16 v49, v44, v49
	;; [unrolled: 1-line block ×18, first 2 shown]
	s_wait_loadcnt 0x0
	v_add_f32_e32 v104, v104, v102
	v_dual_add_f32 v98, v99, v98 :: v_dual_add_f32 v99, v100, v101
	v_dual_lshlrev_b32 v100, 16, v94 :: v_dual_lshlrev_b32 v101, 16, v95
	v_and_b32_e32 v94, 0xffff0000, v94
	v_and_b32_e32 v95, 0xffff0000, v95
	s_delay_alu instid0(VALU_DEP_1) | instskip(SKIP_3) | instid1(VALU_DEP_4)
	v_dual_add_f32 v94, v100, v94 :: v_dual_add_f32 v95, v101, v95
	v_dual_lshlrev_b32 v100, 16, v96 :: v_dual_lshlrev_b32 v101, 16, v90
	v_and_b32_e32 v96, 0xffff0000, v96
	v_and_b32_e32 v90, 0xffff0000, v90
	v_dual_lshlrev_b32 v102, 16, v91 :: v_dual_add_f32 v94, v95, v94
	v_and_b32_e32 v91, 0xffff0000, v91
	s_delay_alu instid0(VALU_DEP_3) | instskip(SKIP_2) | instid1(VALU_DEP_4)
	v_dual_add_f32 v95, v100, v96 :: v_dual_add_f32 v90, v101, v90
	v_lshlrev_b32_e32 v96, 16, v92
	v_and_b32_e32 v92, 0xffff0000, v92
	v_dual_add_f32 v91, v102, v91 :: v_dual_lshlrev_b32 v100, 16, v97
	v_and_b32_e32 v97, 0xffff0000, v97
	s_delay_alu instid0(VALU_DEP_2)
	v_dual_add_f32 v90, v91, v90 :: v_dual_add_f32 v91, v96, v92
	v_lshlrev_b32_e32 v92, 16, v93
	v_and_b32_e32 v93, 0xffff0000, v93
	v_add_f32_e32 v96, v99, v98
	v_dual_add_f32 v94, v95, v94 :: v_dual_add_f32 v95, v100, v97
	scratch_load_b64 v[98:99], off, off offset:8 th:TH_LOAD_LU ; 8-byte Folded Reload
	v_dual_add_f32 v90, v91, v90 :: v_dual_add_f32 v91, v92, v93
	v_lshlrev_b32_e32 v93, 16, v83
	v_and_b32_e32 v83, 0xffff0000, v83
	v_add_f32_e32 v92, v95, v94
	scratch_load_b64 v[94:95], off, off offset:16 th:TH_LOAD_LU ; 8-byte Folded Reload
	v_dual_add_f32 v83, v93, v83 :: v_dual_add_f32 v90, v91, v90
	v_lshlrev_b32_e32 v91, 16, v82
	v_and_b32_e32 v82, 0xffff0000, v82
	s_wait_loadcnt 0x1
	v_add_f32_e32 v99, v99, v96
	s_wait_loadcnt 0x0
	v_dual_add_f32 v98, v98, v92 :: v_dual_add_f32 v95, v95, v90
	v_lshlrev_b32_e32 v90, 16, v84
	v_and_b32_e32 v84, 0xffff0000, v84
	v_dual_add_f32 v82, v91, v82 :: v_dual_lshlrev_b32 v91, 16, v85
	v_and_b32_e32 v85, 0xffff0000, v85
	s_delay_alu instid0(VALU_DEP_2)
	v_dual_add_f32 v82, v83, v82 :: v_dual_add_f32 v83, v90, v84
	v_lshlrev_b32_e32 v84, 16, v78
	v_and_b32_e32 v78, 0xffff0000, v78
	v_lshlrev_b32_e32 v90, 16, v79
	v_and_b32_e32 v79, 0xffff0000, v79
	v_add_f32_e32 v82, v83, v82
	s_delay_alu instid0(VALU_DEP_4) | instskip(NEXT) | instid1(VALU_DEP_3)
	v_dual_add_f32 v78, v84, v78 :: v_dual_lshlrev_b32 v84, 16, v80
	v_add_f32_e32 v79, v90, v79
	v_and_b32_e32 v80, 0xffff0000, v80
	v_add_f32_e32 v83, v91, v85
	s_delay_alu instid0(VALU_DEP_2) | instskip(SKIP_2) | instid1(VALU_DEP_4)
	v_dual_add_f32 v78, v79, v78 :: v_dual_add_f32 v79, v84, v80
	v_lshlrev_b32_e32 v80, 16, v81
	v_and_b32_e32 v81, 0xffff0000, v81
	v_add_f32_e32 v82, v83, v82
	s_delay_alu instid0(VALU_DEP_2)
	v_dual_add_f32 v78, v79, v78 :: v_dual_add_f32 v79, v80, v81
	v_lshlrev_b32_e32 v81, 16, v75
	v_and_b32_e32 v75, 0xffff0000, v75
	v_lshlrev_b32_e32 v80, 16, v74
	v_and_b32_e32 v74, 0xffff0000, v74
	v_add_f32_e32 v94, v94, v82
	s_delay_alu instid0(VALU_DEP_4) | instskip(NEXT) | instid1(VALU_DEP_3)
	v_dual_add_f32 v78, v79, v78 :: v_dual_add_f32 v75, v81, v75
	v_dual_add_f32 v74, v80, v74 :: v_dual_lshlrev_b32 v79, 16, v76
	scratch_load_b64 v[80:81], off, off offset:24 th:TH_LOAD_LU ; 8-byte Folded Reload
	v_and_b32_e32 v76, 0xffff0000, v76
	v_add_f32_e32 v74, v75, v74
	s_delay_alu instid0(VALU_DEP_2) | instskip(SKIP_3) | instid1(VALU_DEP_3)
	v_dual_add_f32 v75, v79, v76 :: v_dual_lshlrev_b32 v76, 16, v77
	v_and_b32_e32 v77, 0xffff0000, v77
	v_lshlrev_b32_e32 v79, 16, v71
	v_and_b32_e32 v71, 0xffff0000, v71
	v_dual_add_f32 v74, v75, v74 :: v_dual_add_f32 v75, v76, v77
	v_lshlrev_b32_e32 v76, 16, v72
	v_and_b32_e32 v72, 0xffff0000, v72
	s_delay_alu instid0(VALU_DEP_4) | instskip(NEXT) | instid1(VALU_DEP_4)
	v_add_f32_e32 v71, v79, v71
	v_add_f32_e32 v74, v75, v74
	s_wait_loadcnt 0x0
	v_add_f32_e32 v81, v81, v78
	v_lshlrev_b32_e32 v78, 16, v70
	v_and_b32_e32 v70, 0xffff0000, v70
	s_delay_alu instid0(VALU_DEP_1) | instskip(NEXT) | instid1(VALU_DEP_1)
	v_add_f32_e32 v70, v78, v70
	v_dual_add_f32 v70, v71, v70 :: v_dual_add_f32 v71, v76, v72
	v_lshlrev_b32_e32 v72, 16, v73
	v_and_b32_e32 v73, 0xffff0000, v73
	v_lshlrev_b32_e32 v75, 16, v66
	v_and_b32_e32 v66, 0xffff0000, v66
	;; [unrolled: 2-line block ×3, first 2 shown]
	v_dual_add_f32 v70, v71, v70 :: v_dual_add_f32 v71, v72, v73
	s_delay_alu instid0(VALU_DEP_4) | instskip(NEXT) | instid1(VALU_DEP_3)
	v_dual_add_f32 v66, v75, v66 :: v_dual_lshlrev_b32 v72, 16, v68
	v_add_f32_e32 v67, v76, v67
	v_and_b32_e32 v68, 0xffff0000, v68
	v_add_f32_e32 v80, v80, v74
	v_add_f32_e32 v70, v71, v70
	s_delay_alu instid0(VALU_DEP_3) | instskip(SKIP_2) | instid1(VALU_DEP_4)
	v_dual_add_f32 v66, v67, v66 :: v_dual_add_f32 v67, v72, v68
	v_lshlrev_b32_e32 v68, 16, v69
	v_and_b32_e32 v69, 0xffff0000, v69
	v_dual_add_f32 v117, v117, v70 :: v_dual_lshlrev_b32 v70, 16, v59
	s_delay_alu instid0(VALU_DEP_4) | instskip(SKIP_1) | instid1(VALU_DEP_4)
	v_add_f32_e32 v66, v67, v66
	v_and_b32_e32 v59, 0xffff0000, v59
	v_dual_add_f32 v67, v68, v69 :: v_dual_lshlrev_b32 v68, 16, v62
	v_and_b32_e32 v62, 0xffff0000, v62
	v_lshlrev_b32_e32 v69, 16, v63
	v_and_b32_e32 v63, 0xffff0000, v63
	s_delay_alu instid0(VALU_DEP_3) | instskip(NEXT) | instid1(VALU_DEP_2)
	v_dual_add_f32 v59, v70, v59 :: v_dual_add_f32 v62, v68, v62
	v_dual_add_f32 v63, v69, v63 :: v_dual_lshlrev_b32 v68, 16, v64
	v_and_b32_e32 v64, 0xffff0000, v64
	v_lshlrev_b32_e32 v69, 16, v58
	v_and_b32_e32 v58, 0xffff0000, v58
	s_delay_alu instid0(VALU_DEP_3) | instskip(NEXT) | instid1(VALU_DEP_2)
	v_dual_add_f32 v62, v63, v62 :: v_dual_add_f32 v63, v68, v64
	v_dual_lshlrev_b32 v64, 16, v60 :: v_dual_add_f32 v58, v69, v58
	v_and_b32_e32 v60, 0xffff0000, v60
	v_lshlrev_b32_e32 v68, 16, v65
	v_and_b32_e32 v65, 0xffff0000, v65
	s_delay_alu instid0(VALU_DEP_3) | instskip(SKIP_4) | instid1(VALU_DEP_3)
	v_dual_add_f32 v58, v59, v58 :: v_dual_add_f32 v59, v64, v60
	v_lshlrev_b32_e32 v60, 16, v61
	v_and_b32_e32 v61, 0xffff0000, v61
	v_add_f32_e32 v64, v67, v66
	v_dual_add_f32 v62, v63, v62 :: v_dual_add_f32 v63, v68, v65
	v_dual_add_f32 v58, v59, v58 :: v_dual_add_f32 v59, v60, v61
	s_delay_alu instid0(VALU_DEP_3) | instskip(NEXT) | instid1(VALU_DEP_3)
	v_dual_add_f32 v116, v116, v64 :: v_dual_lshlrev_b32 v61, 16, v55
	v_add_f32_e32 v60, v63, v62
	v_and_b32_e32 v55, 0xffff0000, v55
	s_delay_alu instid0(VALU_DEP_4) | instskip(SKIP_2) | instid1(VALU_DEP_4)
	v_add_f32_e32 v58, v59, v58
	v_lshlrev_b32_e32 v59, 16, v54
	v_and_b32_e32 v54, 0xffff0000, v54
	v_dual_add_f32 v119, v119, v60 :: v_dual_add_f32 v55, v61, v55
	s_delay_alu instid0(VALU_DEP_4) | instskip(SKIP_1) | instid1(VALU_DEP_4)
	v_dual_add_f32 v118, v118, v58 :: v_dual_lshlrev_b32 v58, 16, v56
	v_and_b32_e32 v56, 0xffff0000, v56
	v_dual_add_f32 v54, v59, v54 :: v_dual_lshlrev_b32 v59, 16, v57
	v_and_b32_e32 v57, 0xffff0000, v57
	s_delay_alu instid0(VALU_DEP_2)
	v_dual_add_f32 v54, v55, v54 :: v_dual_add_f32 v55, v58, v56
	v_lshlrev_b32_e32 v56, 16, v50
	v_and_b32_e32 v50, 0xffff0000, v50
	v_lshlrev_b32_e32 v58, 16, v51
	v_and_b32_e32 v51, 0xffff0000, v51
	v_add_f32_e32 v54, v55, v54
	s_delay_alu instid0(VALU_DEP_4) | instskip(NEXT) | instid1(VALU_DEP_3)
	v_dual_add_f32 v50, v56, v50 :: v_dual_lshlrev_b32 v56, 16, v52
	v_add_f32_e32 v51, v58, v51
	v_and_b32_e32 v52, 0xffff0000, v52
	v_add_f32_e32 v55, v59, v57
	s_delay_alu instid0(VALU_DEP_2) | instskip(SKIP_2) | instid1(VALU_DEP_4)
	v_dual_add_f32 v50, v51, v50 :: v_dual_add_f32 v51, v56, v52
	v_lshlrev_b32_e32 v52, 16, v53
	v_and_b32_e32 v53, 0xffff0000, v53
	v_add_f32_e32 v54, v55, v54
	s_delay_alu instid0(VALU_DEP_2)
	v_dual_add_f32 v50, v51, v50 :: v_dual_add_f32 v51, v52, v53
	v_lshlrev_b32_e32 v53, 16, v47
	v_and_b32_e32 v47, 0xffff0000, v47
	v_lshlrev_b32_e32 v52, 16, v46
	v_and_b32_e32 v46, 0xffff0000, v46
	v_add_f32_e32 v121, v121, v54
	s_delay_alu instid0(VALU_DEP_4) | instskip(NEXT) | instid1(VALU_DEP_3)
	v_dual_add_f32 v50, v51, v50 :: v_dual_add_f32 v47, v53, v47
	v_dual_add_f32 v46, v52, v46 :: v_dual_lshlrev_b32 v51, 16, v48
	v_and_b32_e32 v48, 0xffff0000, v48
	v_lshlrev_b32_e32 v52, 16, v49
	v_and_b32_e32 v49, 0xffff0000, v49
	s_delay_alu instid0(VALU_DEP_4) | instskip(NEXT) | instid1(VALU_DEP_4)
	v_add_f32_e32 v46, v47, v46
	v_dual_add_f32 v47, v51, v48 :: v_dual_lshlrev_b32 v51, 16, v35
	v_and_b32_e32 v35, 0xffff0000, v35
	v_lshlrev_b32_e32 v48, 16, v34
	v_and_b32_e32 v34, 0xffff0000, v34
	s_delay_alu instid0(VALU_DEP_4) | instskip(NEXT) | instid1(VALU_DEP_4)
	v_dual_add_f32 v46, v47, v46 :: v_dual_add_f32 v47, v52, v49
	v_dual_add_f32 v35, v51, v35 :: v_dual_add_f32 v120, v120, v50
	s_delay_alu instid0(VALU_DEP_3) | instskip(SKIP_1) | instid1(VALU_DEP_1)
	v_dual_add_f32 v34, v48, v34 :: v_dual_lshlrev_b32 v48, 16, v36
	v_and_b32_e32 v36, 0xffff0000, v36
	v_dual_add_f32 v34, v35, v34 :: v_dual_add_f32 v35, v48, v36
	v_dual_add_f32 v36, v47, v46 :: v_dual_lshlrev_b32 v47, 16, v37
	v_lshlrev_b32_e32 v46, 16, v31
	v_and_b32_e32 v31, 0xffff0000, v31
	s_delay_alu instid0(VALU_DEP_4) | instskip(SKIP_4) | instid1(VALU_DEP_4)
	v_add_f32_e32 v34, v35, v34
	v_and_b32_e32 v37, 0xffff0000, v37
	v_lshlrev_b32_e32 v35, 16, v30
	v_and_b32_e32 v30, 0xffff0000, v30
	v_dual_add_f32 v31, v46, v31 :: v_dual_add_f32 v123, v123, v36
	v_add_f32_e32 v37, v47, v37
	s_delay_alu instid0(VALU_DEP_3) | instskip(SKIP_1) | instid1(VALU_DEP_2)
	v_dual_add_f32 v30, v35, v30 :: v_dual_lshlrev_b32 v35, 16, v32
	v_and_b32_e32 v32, 0xffff0000, v32
	v_add_f32_e32 v30, v31, v30
	s_delay_alu instid0(VALU_DEP_2) | instskip(SKIP_3) | instid1(VALU_DEP_4)
	v_dual_add_f32 v31, v35, v32 :: v_dual_lshlrev_b32 v35, 16, v26
	v_lshlrev_b32_e32 v32, 16, v33
	v_and_b32_e32 v33, 0xffff0000, v33
	v_and_b32_e32 v26, 0xffff0000, v26
	v_dual_lshlrev_b32 v46, 16, v27 :: v_dual_add_f32 v30, v31, v30
	v_and_b32_e32 v27, 0xffff0000, v27
	s_delay_alu instid0(VALU_DEP_3) | instskip(SKIP_2) | instid1(VALU_DEP_4)
	v_dual_add_f32 v31, v32, v33 :: v_dual_add_f32 v26, v35, v26
	v_lshlrev_b32_e32 v32, 16, v28
	v_and_b32_e32 v28, 0xffff0000, v28
	v_dual_add_f32 v27, v46, v27 :: v_dual_add_f32 v33, v37, v34
	s_delay_alu instid0(VALU_DEP_4) | instskip(SKIP_1) | instid1(VALU_DEP_3)
	v_dual_add_f32 v30, v31, v30 :: v_dual_lshlrev_b32 v31, 16, v19
	v_and_b32_e32 v19, 0xffff0000, v19
	v_dual_add_f32 v26, v27, v26 :: v_dual_add_f32 v122, v122, v33
	v_add_f32_e32 v27, v32, v28
	v_pk_mul_bf16 v28, v44, v29
	v_dual_add_f32 v125, v125, v30 :: v_dual_lshlrev_b32 v30, 16, v23
	v_and_b32_e32 v23, 0xffff0000, v23
	s_delay_alu instid0(VALU_DEP_4) | instskip(SKIP_2) | instid1(VALU_DEP_4)
	v_add_f32_e32 v26, v27, v26
	v_lshlrev_b32_e32 v29, 16, v22
	v_and_b32_e32 v22, 0xffff0000, v22
	v_dual_lshlrev_b32 v27, 16, v28 :: v_dual_add_f32 v23, v30, v23
	v_lshlrev_b32_e32 v30, 16, v18
	v_and_b32_e32 v18, 0xffff0000, v18
	s_delay_alu instid0(VALU_DEP_4) | instskip(SKIP_2) | instid1(VALU_DEP_4)
	v_dual_add_f32 v22, v29, v22 :: v_dual_lshlrev_b32 v29, 16, v24
	v_and_b32_e32 v24, 0xffff0000, v24
	v_and_b32_e32 v28, 0xffff0000, v28
	v_dual_add_f32 v18, v30, v18 :: v_dual_add_f32 v19, v31, v19
	s_delay_alu instid0(VALU_DEP_3) | instskip(SKIP_4) | instid1(VALU_DEP_3)
	v_dual_add_f32 v22, v23, v22 :: v_dual_add_f32 v23, v29, v24
	v_dual_lshlrev_b32 v24, 16, v20 :: v_dual_lshlrev_b32 v29, 16, v25
	v_and_b32_e32 v20, 0xffff0000, v20
	v_and_b32_e32 v25, 0xffff0000, v25
	v_add_f32_e32 v18, v19, v18
	v_dual_add_f32 v22, v23, v22 :: v_dual_add_f32 v19, v24, v20
	v_dual_lshlrev_b32 v20, 16, v21 :: v_dual_add_f32 v24, v27, v28
	v_and_b32_e32 v21, 0xffff0000, v21
	s_delay_alu instid0(VALU_DEP_3) | instskip(NEXT) | instid1(VALU_DEP_2)
	v_dual_add_f32 v23, v29, v25 :: v_dual_add_f32 v18, v19, v18
	v_add_f32_e32 v19, v20, v21
	s_delay_alu instid0(VALU_DEP_4) | instskip(NEXT) | instid1(VALU_DEP_3)
	v_add_f32_e32 v20, v24, v26
	v_dual_add_f32 v21, v23, v22 :: v_dual_lshlrev_b32 v22, 16, v15
	v_and_b32_e32 v15, 0xffff0000, v15
	s_delay_alu instid0(VALU_DEP_3) | instskip(NEXT) | instid1(VALU_DEP_3)
	v_dual_add_f32 v18, v19, v18 :: v_dual_add_f32 v124, v124, v20
	v_dual_lshlrev_b32 v19, 16, v14 :: v_dual_add_f32 v127, v127, v21
	v_and_b32_e32 v14, 0xffff0000, v14
	s_delay_alu instid0(VALU_DEP_4) | instskip(NEXT) | instid1(VALU_DEP_4)
	v_add_f32_e32 v15, v22, v15
	v_dual_add_f32 v126, v126, v18 :: v_dual_lshlrev_b32 v18, 16, v11
	v_and_b32_e32 v11, 0xffff0000, v11
	s_delay_alu instid0(VALU_DEP_4) | instskip(SKIP_1) | instid1(VALU_DEP_3)
	v_dual_add_f32 v14, v19, v14 :: v_dual_lshlrev_b32 v19, 16, v16
	v_and_b32_e32 v16, 0xffff0000, v16
	v_dual_add_f32 v11, v18, v11 :: v_dual_lshlrev_b32 v20, 16, v4
	s_delay_alu instid0(VALU_DEP_3) | instskip(NEXT) | instid1(VALU_DEP_3)
	v_add_f32_e32 v14, v15, v14
	v_dual_add_f32 v16, v19, v16 :: v_dual_lshlrev_b32 v15, 16, v10
	v_and_b32_e32 v10, 0xffff0000, v10
	v_and_b32_e32 v21, 0xffff0000, v4
	v_pk_mul_bf16 v4, v40, v87
	s_delay_alu instid0(VALU_DEP_3) | instskip(SKIP_3) | instid1(VALU_DEP_4)
	v_dual_add_f32 v10, v15, v10 :: v_dual_lshlrev_b32 v15, 16, v12
	v_and_b32_e32 v12, 0xffff0000, v12
	v_lshlrev_b32_e32 v18, 16, v17
	v_and_b32_e32 v17, 0xffff0000, v17
	v_add_f32_e32 v10, v11, v10
	s_delay_alu instid0(VALU_DEP_4) | instskip(NEXT) | instid1(VALU_DEP_3)
	v_dual_add_f32 v11, v15, v12 :: v_dual_add_f32 v12, v16, v14
	v_dual_add_f32 v14, v18, v17 :: v_dual_lshlrev_b32 v15, 16, v6
	v_and_b32_e32 v6, 0xffff0000, v6
	s_delay_alu instid0(VALU_DEP_3)
	v_dual_add_f32 v10, v11, v10 :: v_dual_lshlrev_b32 v11, 16, v13
	v_and_b32_e32 v13, 0xffff0000, v13
	v_lshlrev_b32_e32 v16, 16, v7
	v_and_b32_e32 v7, 0xffff0000, v7
	v_pk_mul_bf16 v18, v44, v5
	v_add_f32_e32 v20, v20, v21
	v_add_f32_e32 v11, v11, v13
	s_delay_alu instid0(VALU_DEP_4) | instskip(SKIP_3) | instid1(VALU_DEP_4)
	v_dual_add_f32 v6, v15, v6 :: v_dual_add_f32 v7, v16, v7
	v_dual_lshlrev_b32 v13, 16, v8 :: v_dual_lshlrev_b32 v15, 16, v2
	v_and_b32_e32 v8, 0xffff0000, v8
	v_and_b32_e32 v2, 0xffff0000, v2
	v_dual_add_f32 v17, v7, v6 :: v_dual_lshlrev_b32 v16, 16, v3
	v_and_b32_e32 v3, 0xffff0000, v3
	s_delay_alu instid0(VALU_DEP_3) | instskip(SKIP_2) | instid1(VALU_DEP_4)
	v_dual_add_f32 v13, v13, v8 :: v_dual_add_f32 v2, v15, v2
	v_lshlrev_b32_e32 v15, 16, v9
	v_pk_mul_bf16 v6, v41, v88
	v_add_f32_e32 v3, v16, v3
	v_pk_mul_bf16 v8, v44, v89
	v_and_b32_e32 v16, 0xffff0000, v9
	v_lshlrev_b32_e32 v21, 16, v18
	v_and_b32_e32 v7, 0xffff0000, v6
	v_add_f32_e32 v19, v3, v2
	v_pk_mul_bf16 v2, v45, v86
	v_lshlrev_b32_e32 v9, 16, v6
	v_and_b32_e32 v6, 0xffff0000, v8
	v_lshlrev_b32_e32 v8, 16, v8
	v_and_b32_e32 v18, 0xffff0000, v18
	v_and_b32_e32 v3, 0xffff0000, v2
	v_lshlrev_b32_e32 v5, 16, v2
	v_and_b32_e32 v2, 0xffff0000, v4
	v_lshlrev_b32_e32 v4, 16, v4
	s_delay_alu instid0(VALU_DEP_1) | instskip(SKIP_2) | instid1(VALU_DEP_3)
	v_pk_add_f32 v[2:3], v[4:5], v[2:3]
	v_pk_add_f32 v[4:5], v[8:9], v[6:7]
	v_dual_add_f32 v6, v15, v16 :: v_dual_add_f32 v7, v20, v19
	v_dual_add_f32 v8, v21, v18 :: v_dual_add_f32 v2, v2, v3
	v_add_f32_e32 v3, v13, v17
	s_delay_alu instid0(VALU_DEP_1) | instskip(SKIP_1) | instid1(VALU_DEP_4)
	v_dual_add_f32 v2, v5, v2 :: v_dual_add_f32 v3, v6, v3
	v_dual_add_f32 v5, v14, v12 :: v_dual_add_f32 v9, v11, v10
	v_add_f32_e32 v6, v8, v7
	s_delay_alu instid0(VALU_DEP_3) | instskip(NEXT) | instid1(VALU_DEP_3)
	v_dual_add_f32 v2, v4, v2 :: v_dual_add_f32 v1, v1, v3
	v_add_f32_e32 v109, v109, v5
	s_delay_alu instid0(VALU_DEP_4) | instskip(NEXT) | instid1(VALU_DEP_4)
	v_add_f32_e32 v108, v108, v9
	v_add_f32_e32 v0, v0, v6
	s_delay_alu instid0(VALU_DEP_4)
	v_add_f32_e32 v105, v105, v2
.LBB151_44:                             ;   in Loop: Header=BB151_45 Depth=1
	s_wait_xcnt 0x0
	s_or_b32 exec_lo, exec_lo, s18
	v_add_nc_u32_e32 v43, 4, v43
	v_add_nc_u64_e32 v[38:39], 16, v[38:39]
	v_add_nc_u32_e32 v106, 0x80, v106
	v_add_nc_u32_e32 v42, 0x200, v42
	s_delay_alu instid0(VALU_DEP_4) | instskip(SKIP_1) | instid1(SALU_CYCLE_1)
	v_cmp_le_i32_e32 vcc_lo, s31, v43
	s_or_b32 s17, vcc_lo, s17
	s_and_not1_b32 exec_lo, exec_lo, s17
	s_cbranch_execz .LBB151_94
.LBB151_45:                             ; =>This Inner Loop Header: Depth=1
	v_mul_u64_e32 v[2:3], s[14:15], v[106:107]
	s_delay_alu instid0(VALU_DEP_1) | instskip(NEXT) | instid1(VALU_DEP_1)
	v_mul_lo_u32 v2, v3, s8
	v_dual_add_nc_u32 v4, 1, v3 :: v_dual_sub_nc_u32 v2, v106, v2
	s_delay_alu instid0(VALU_DEP_1) | instskip(SKIP_1) | instid1(VALU_DEP_2)
	v_subrev_nc_u32_e32 v5, s8, v2
	v_cmp_le_u32_e32 vcc_lo, s8, v2
	v_dual_cndmask_b32 v3, v3, v4 :: v_dual_cndmask_b32 v2, v2, v5
	s_delay_alu instid0(VALU_DEP_1) | instskip(NEXT) | instid1(VALU_DEP_2)
	v_add_nc_u32_e32 v4, 1, v3
	v_cmp_le_u32_e32 vcc_lo, s8, v2
	s_delay_alu instid0(VALU_DEP_2) | instskip(NEXT) | instid1(VALU_DEP_1)
	v_cndmask_b32_e32 v2, v3, v4, vcc_lo
	v_dual_mov_b32 v3, v107 :: v_dual_bitop2_b32 v2, s30, v2 bitop3:0x14
	s_delay_alu instid0(VALU_DEP_1) | instskip(NEXT) | instid1(VALU_DEP_1)
	v_subrev_nc_u32_e32 v6, s30, v2
	v_add_nc_u32_e32 v7, s13, v6
	v_cmp_lt_i32_e64 s0, s25, v6
	s_delay_alu instid0(VALU_DEP_2) | instskip(NEXT) | instid1(VALU_DEP_1)
	v_sub_nc_u32_e32 v2, 0, v7
	v_max_i32_e32 v2, v7, v2
	s_delay_alu instid0(VALU_DEP_1) | instskip(SKIP_1) | instid1(VALU_DEP_2)
	v_mul_u64_e32 v[4:5], s[4:5], v[2:3]
	v_ashrrev_i32_e32 v4, 31, v7
	v_mul_lo_u32 v3, v5, s6
	s_delay_alu instid0(VALU_DEP_1) | instskip(NEXT) | instid1(VALU_DEP_1)
	v_sub_nc_u32_e32 v2, v2, v3
	v_subrev_nc_u32_e32 v3, s6, v2
	v_cmp_le_u32_e32 vcc_lo, s6, v2
	s_delay_alu instid0(VALU_DEP_2) | instskip(NEXT) | instid1(VALU_DEP_1)
	v_cndmask_b32_e32 v2, v2, v3, vcc_lo
	v_subrev_nc_u32_e32 v3, s6, v2
	v_cmp_le_u32_e32 vcc_lo, s6, v2
	s_delay_alu instid0(VALU_DEP_2) | instskip(NEXT) | instid1(VALU_DEP_1)
	v_cndmask_b32_e32 v2, v2, v3, vcc_lo
	v_xor_b32_e32 v2, v2, v4
	s_delay_alu instid0(VALU_DEP_1) | instskip(NEXT) | instid1(VALU_DEP_1)
	v_sub_nc_u32_e32 v2, v2, v4
	v_cmp_eq_u32_e32 vcc_lo, 0, v2
	s_or_b32 s0, vcc_lo, s0
	s_delay_alu instid0(SALU_CYCLE_1)
	s_and_saveexec_b32 s18, s0
	s_cbranch_execz .LBB151_44
; %bb.46:                               ;   in Loop: Header=BB151_45 Depth=1
	s_clause 0x3
	scratch_store_b64 off, v[80:81], off offset:24
	scratch_store_b64 off, v[94:95], off offset:16
	;; [unrolled: 1-line block ×3, first 2 shown]
	scratch_store_b64 off, v[104:105], off
	global_load_b32 v2, v[38:39], off
	scratch_load_b64 v[4:5], off, off offset:76 ; 8-byte Folded Reload
	ds_load_2addr_b64 v[6:9], v42 offset1:1
	v_cmp_eq_u32_e32 vcc_lo, s9, v43
	s_wait_dscnt 0x0
	scratch_store_b128 off, v[6:9], off offset:48 ; 16-byte Folded Spill
	s_wait_xcnt 0x0
	ds_load_2addr_b64 v[6:9], v42 offset0:2 offset1:3
	s_wait_dscnt 0x0
	s_clause 0x1
	scratch_store_b128 off, v[6:9], off offset:32
	scratch_load_b32 v6, off, off offset:68
	s_wait_loadcnt 0x2
	v_ashrrev_i32_e32 v3, 31, v2
	s_delay_alu instid0(VALU_DEP_1) | instskip(SKIP_1) | instid1(VALU_DEP_1)
	v_mul_u64_e32 v[2:3], s[2:3], v[2:3]
	s_wait_loadcnt 0x1
	v_lshl_add_u64 v[40:41], v[2:3], 1, v[4:5]
	global_load_b128 v[2:5], v[40:41], off
	s_wait_loadcnt 0x1
	v_add_nc_u32_e32 v114, v6, v106
	s_delay_alu instid0(VALU_DEP_1)
	v_dual_add_nc_u32 v115, 1, v114 :: v_dual_bitop2_b32 v112, 3, v114 bitop3:0x54
	v_or_b32_e32 v113, 2, v114
	v_or_b32_e32 v110, 5, v114
	;; [unrolled: 1-line block ×5, first 2 shown]
	s_wait_xcnt 0x0
	s_and_saveexec_b32 s1, vcc_lo
	s_cbranch_execnz .LBB151_70
; %bb.47:                               ;   in Loop: Header=BB151_45 Depth=1
	s_or_b32 exec_lo, exec_lo, s1
	global_load_b128 v[6:9], v[40:41], off offset:512
	s_wait_xcnt 0x0
	s_and_saveexec_b32 s1, vcc_lo
	s_cbranch_execnz .LBB151_71
.LBB151_48:                             ;   in Loop: Header=BB151_45 Depth=1
	s_or_b32 exec_lo, exec_lo, s1
	global_load_b128 v[10:13], v[40:41], off offset:1024
	s_wait_xcnt 0x0
	s_and_saveexec_b32 s1, vcc_lo
	s_cbranch_execnz .LBB151_72
.LBB151_49:                             ;   in Loop: Header=BB151_45 Depth=1
	s_or_b32 exec_lo, exec_lo, s1
	global_load_b128 v[14:17], v[40:41], off offset:1536
	s_wait_xcnt 0x0
	s_and_saveexec_b32 s1, vcc_lo
	s_cbranch_execnz .LBB151_73
.LBB151_50:                             ;   in Loop: Header=BB151_45 Depth=1
	s_or_b32 exec_lo, exec_lo, s1
	global_load_b128 v[18:21], v[40:41], off offset:2048
	s_wait_xcnt 0x0
	s_and_saveexec_b32 s1, vcc_lo
	s_cbranch_execnz .LBB151_74
.LBB151_51:                             ;   in Loop: Header=BB151_45 Depth=1
	s_or_b32 exec_lo, exec_lo, s1
	global_load_b128 v[22:25], v[40:41], off offset:2560
	s_wait_xcnt 0x0
	s_and_saveexec_b32 s1, vcc_lo
	s_cbranch_execnz .LBB151_75
.LBB151_52:                             ;   in Loop: Header=BB151_45 Depth=1
	s_or_b32 exec_lo, exec_lo, s1
	global_load_b128 v[26:29], v[40:41], off offset:3072
	s_wait_xcnt 0x0
	s_and_saveexec_b32 s1, vcc_lo
	s_cbranch_execnz .LBB151_76
.LBB151_53:                             ;   in Loop: Header=BB151_45 Depth=1
	s_or_b32 exec_lo, exec_lo, s1
	global_load_b128 v[30:33], v[40:41], off offset:3584
	s_wait_xcnt 0x0
	s_and_saveexec_b32 s1, vcc_lo
	s_cbranch_execnz .LBB151_77
.LBB151_54:                             ;   in Loop: Header=BB151_45 Depth=1
	s_or_b32 exec_lo, exec_lo, s1
	global_load_b128 v[34:37], v[40:41], off offset:4096
	s_wait_xcnt 0x0
	s_and_saveexec_b32 s1, vcc_lo
	s_cbranch_execnz .LBB151_78
.LBB151_55:                             ;   in Loop: Header=BB151_45 Depth=1
	s_or_b32 exec_lo, exec_lo, s1
	global_load_b128 v[46:49], v[40:41], off offset:4608
	s_wait_xcnt 0x0
	s_and_saveexec_b32 s1, vcc_lo
	s_cbranch_execnz .LBB151_79
.LBB151_56:                             ;   in Loop: Header=BB151_45 Depth=1
	s_or_b32 exec_lo, exec_lo, s1
	global_load_b128 v[50:53], v[40:41], off offset:5120
	s_wait_xcnt 0x0
	s_and_saveexec_b32 s1, vcc_lo
	s_cbranch_execnz .LBB151_80
.LBB151_57:                             ;   in Loop: Header=BB151_45 Depth=1
	s_or_b32 exec_lo, exec_lo, s1
	global_load_b128 v[54:57], v[40:41], off offset:5632
	s_wait_xcnt 0x0
	s_and_saveexec_b32 s1, vcc_lo
	s_cbranch_execnz .LBB151_81
.LBB151_58:                             ;   in Loop: Header=BB151_45 Depth=1
	s_or_b32 exec_lo, exec_lo, s1
	global_load_b128 v[58:61], v[40:41], off offset:6144
	s_wait_xcnt 0x0
	s_and_saveexec_b32 s1, vcc_lo
	s_cbranch_execnz .LBB151_82
.LBB151_59:                             ;   in Loop: Header=BB151_45 Depth=1
	s_or_b32 exec_lo, exec_lo, s1
	global_load_b128 v[62:65], v[40:41], off offset:6656
	s_wait_xcnt 0x0
	s_and_saveexec_b32 s1, vcc_lo
	s_cbranch_execnz .LBB151_83
.LBB151_60:                             ;   in Loop: Header=BB151_45 Depth=1
	s_or_b32 exec_lo, exec_lo, s1
	global_load_b128 v[66:69], v[40:41], off offset:7168
	s_wait_xcnt 0x0
	s_and_saveexec_b32 s1, vcc_lo
	s_cbranch_execnz .LBB151_84
.LBB151_61:                             ;   in Loop: Header=BB151_45 Depth=1
	s_or_b32 exec_lo, exec_lo, s1
	global_load_b128 v[70:73], v[40:41], off offset:7680
	s_wait_xcnt 0x0
	s_and_saveexec_b32 s1, vcc_lo
	s_cbranch_execnz .LBB151_85
.LBB151_62:                             ;   in Loop: Header=BB151_45 Depth=1
	s_or_b32 exec_lo, exec_lo, s1
	global_load_b128 v[74:77], v[40:41], off offset:8192
	s_wait_xcnt 0x0
	s_and_saveexec_b32 s19, vcc_lo
	s_cbranch_execnz .LBB151_86
.LBB151_63:                             ;   in Loop: Header=BB151_45 Depth=1
	s_or_b32 exec_lo, exec_lo, s19
	global_load_b128 v[78:81], v[40:41], off offset:8704
	s_wait_xcnt 0x0
	s_and_saveexec_b32 s19, vcc_lo
	s_cbranch_execnz .LBB151_87
.LBB151_64:                             ;   in Loop: Header=BB151_45 Depth=1
	s_or_b32 exec_lo, exec_lo, s19
	global_load_b128 v[82:85], v[40:41], off offset:9216
	s_wait_xcnt 0x0
	s_and_saveexec_b32 s19, vcc_lo
	s_cbranch_execnz .LBB151_88
.LBB151_65:                             ;   in Loop: Header=BB151_45 Depth=1
	s_or_b32 exec_lo, exec_lo, s19
	global_load_b128 v[90:93], v[40:41], off offset:9728
	s_wait_xcnt 0x0
	s_and_saveexec_b32 s19, vcc_lo
	s_cbranch_execnz .LBB151_89
.LBB151_66:                             ;   in Loop: Header=BB151_45 Depth=1
	s_or_b32 exec_lo, exec_lo, s19
	global_load_b128 v[94:97], v[40:41], off offset:10240
	s_wait_xcnt 0x0
	s_and_saveexec_b32 s19, vcc_lo
	s_cbranch_execnz .LBB151_90
.LBB151_67:                             ;   in Loop: Header=BB151_45 Depth=1
	s_or_b32 exec_lo, exec_lo, s19
	global_load_b128 v[98:101], v[40:41], off offset:10752
	s_wait_xcnt 0x0
	s_and_saveexec_b32 s19, vcc_lo
	s_cbranch_execnz .LBB151_91
.LBB151_68:                             ;   in Loop: Header=BB151_45 Depth=1
	s_or_b32 exec_lo, exec_lo, s19
	global_load_b128 v[102:105], v[40:41], off offset:11264
	s_wait_xcnt 0x0
	s_and_saveexec_b32 s19, vcc_lo
	s_cbranch_execnz .LBB151_92
.LBB151_69:                             ;   in Loop: Header=BB151_45 Depth=1
	s_or_b32 exec_lo, exec_lo, s19
	global_load_b128 v[86:89], v[40:41], off offset:11776
	s_wait_xcnt 0x0
	s_and_saveexec_b32 s1, vcc_lo
	s_cbranch_execz .LBB151_43
	s_branch .LBB151_93
.LBB151_70:                             ;   in Loop: Header=BB151_45 Depth=1
	v_cmp_gt_i32_e64 s0, s29, v114
	s_wait_loadcnt 0x0
	v_dual_lshrrev_b32 v6, 16, v2 :: v_dual_lshrrev_b32 v8, 16, v4
	s_delay_alu instid0(VALU_DEP_2) | instskip(SKIP_1) | instid1(VALU_DEP_1)
	v_cndmask_b32_e64 v2, 0, v2, s0
	v_cmp_gt_i32_e64 s0, s16, v115
	v_dual_lshrrev_b32 v7, 16, v3 :: v_dual_cndmask_b32 v6, 0, v6, s0
	v_cmp_gt_i32_e64 s0, s29, v113
	s_delay_alu instid0(VALU_DEP_2) | instskip(NEXT) | instid1(VALU_DEP_2)
	v_perm_b32 v2, v6, v2, 0x5040100
	v_cndmask_b32_e64 v3, 0, v3, s0
	v_cmp_gt_i32_e64 s0, s16, v112
	s_delay_alu instid0(VALU_DEP_1) | instskip(SKIP_1) | instid1(VALU_DEP_1)
	v_cndmask_b32_e64 v7, 0, v7, s0
	v_cmp_gt_i32_e64 s0, s29, v111
	v_cndmask_b32_e64 v4, 0, v4, s0
	v_cmp_gt_i32_e64 s0, s16, v110
	v_lshrrev_b32_e32 v9, 16, v5
	v_perm_b32 v3, v7, v3, 0x5040100
	s_delay_alu instid0(VALU_DEP_3) | instskip(SKIP_1) | instid1(VALU_DEP_2)
	v_cndmask_b32_e64 v8, 0, v8, s0
	v_cmp_gt_i32_e64 s0, s29, v45
	v_perm_b32 v4, v8, v4, 0x5040100
	s_delay_alu instid0(VALU_DEP_2) | instskip(SKIP_1) | instid1(VALU_DEP_1)
	v_cndmask_b32_e64 v5, 0, v5, s0
	v_cmp_gt_i32_e64 s0, s16, v44
	v_cndmask_b32_e64 v9, 0, v9, s0
	s_delay_alu instid0(VALU_DEP_1)
	v_perm_b32 v5, v9, v5, 0x5040100
	s_or_b32 exec_lo, exec_lo, s1
	global_load_b128 v[6:9], v[40:41], off offset:512
	s_wait_xcnt 0x0
	s_and_saveexec_b32 s1, vcc_lo
	s_cbranch_execz .LBB151_48
.LBB151_71:                             ;   in Loop: Header=BB151_45 Depth=1
	v_cmp_gt_i32_e64 s0, s29, v114
	s_wait_loadcnt 0x0
	v_dual_lshrrev_b32 v10, 16, v6 :: v_dual_lshrrev_b32 v12, 16, v8
	s_delay_alu instid0(VALU_DEP_2) | instskip(SKIP_1) | instid1(VALU_DEP_1)
	v_cndmask_b32_e64 v6, 0, v6, s0
	v_cmp_gt_i32_e64 s0, s16, v115
	v_dual_lshrrev_b32 v11, 16, v7 :: v_dual_cndmask_b32 v10, 0, v10, s0
	v_cmp_gt_i32_e64 s0, s29, v113
	s_delay_alu instid0(VALU_DEP_2) | instskip(NEXT) | instid1(VALU_DEP_2)
	v_perm_b32 v6, v10, v6, 0x5040100
	v_cndmask_b32_e64 v7, 0, v7, s0
	v_cmp_gt_i32_e64 s0, s16, v112
	s_delay_alu instid0(VALU_DEP_1) | instskip(SKIP_1) | instid1(VALU_DEP_1)
	v_cndmask_b32_e64 v11, 0, v11, s0
	v_cmp_gt_i32_e64 s0, s29, v111
	v_cndmask_b32_e64 v8, 0, v8, s0
	v_cmp_gt_i32_e64 s0, s16, v110
	v_lshrrev_b32_e32 v13, 16, v9
	v_perm_b32 v7, v11, v7, 0x5040100
	s_delay_alu instid0(VALU_DEP_3) | instskip(SKIP_1) | instid1(VALU_DEP_2)
	v_cndmask_b32_e64 v12, 0, v12, s0
	v_cmp_gt_i32_e64 s0, s29, v45
	v_perm_b32 v8, v12, v8, 0x5040100
	s_delay_alu instid0(VALU_DEP_2) | instskip(SKIP_1) | instid1(VALU_DEP_1)
	v_cndmask_b32_e64 v9, 0, v9, s0
	v_cmp_gt_i32_e64 s0, s16, v44
	v_cndmask_b32_e64 v13, 0, v13, s0
	s_delay_alu instid0(VALU_DEP_1)
	v_perm_b32 v9, v13, v9, 0x5040100
	s_or_b32 exec_lo, exec_lo, s1
	global_load_b128 v[10:13], v[40:41], off offset:1024
	s_wait_xcnt 0x0
	s_and_saveexec_b32 s1, vcc_lo
	s_cbranch_execz .LBB151_49
.LBB151_72:                             ;   in Loop: Header=BB151_45 Depth=1
	v_cmp_gt_i32_e64 s0, s29, v114
	s_wait_loadcnt 0x0
	v_dual_lshrrev_b32 v14, 16, v10 :: v_dual_lshrrev_b32 v16, 16, v12
	s_delay_alu instid0(VALU_DEP_2) | instskip(SKIP_1) | instid1(VALU_DEP_1)
	v_cndmask_b32_e64 v10, 0, v10, s0
	v_cmp_gt_i32_e64 s0, s16, v115
	v_dual_lshrrev_b32 v15, 16, v11 :: v_dual_cndmask_b32 v14, 0, v14, s0
	v_cmp_gt_i32_e64 s0, s29, v113
	s_delay_alu instid0(VALU_DEP_2) | instskip(NEXT) | instid1(VALU_DEP_2)
	v_perm_b32 v10, v14, v10, 0x5040100
	v_cndmask_b32_e64 v11, 0, v11, s0
	v_cmp_gt_i32_e64 s0, s16, v112
	s_delay_alu instid0(VALU_DEP_1) | instskip(SKIP_1) | instid1(VALU_DEP_1)
	v_cndmask_b32_e64 v15, 0, v15, s0
	v_cmp_gt_i32_e64 s0, s29, v111
	v_cndmask_b32_e64 v12, 0, v12, s0
	v_cmp_gt_i32_e64 s0, s16, v110
	v_lshrrev_b32_e32 v17, 16, v13
	v_perm_b32 v11, v15, v11, 0x5040100
	s_delay_alu instid0(VALU_DEP_3) | instskip(SKIP_1) | instid1(VALU_DEP_2)
	v_cndmask_b32_e64 v16, 0, v16, s0
	v_cmp_gt_i32_e64 s0, s29, v45
	v_perm_b32 v12, v16, v12, 0x5040100
	s_delay_alu instid0(VALU_DEP_2) | instskip(SKIP_1) | instid1(VALU_DEP_1)
	v_cndmask_b32_e64 v13, 0, v13, s0
	v_cmp_gt_i32_e64 s0, s16, v44
	v_cndmask_b32_e64 v17, 0, v17, s0
	s_delay_alu instid0(VALU_DEP_1)
	v_perm_b32 v13, v17, v13, 0x5040100
	s_or_b32 exec_lo, exec_lo, s1
	global_load_b128 v[14:17], v[40:41], off offset:1536
	s_wait_xcnt 0x0
	s_and_saveexec_b32 s1, vcc_lo
	s_cbranch_execz .LBB151_50
.LBB151_73:                             ;   in Loop: Header=BB151_45 Depth=1
	v_cmp_gt_i32_e64 s0, s29, v114
	s_wait_loadcnt 0x0
	v_dual_lshrrev_b32 v18, 16, v14 :: v_dual_lshrrev_b32 v20, 16, v16
	s_delay_alu instid0(VALU_DEP_2) | instskip(SKIP_1) | instid1(VALU_DEP_1)
	v_cndmask_b32_e64 v14, 0, v14, s0
	v_cmp_gt_i32_e64 s0, s16, v115
	v_dual_lshrrev_b32 v19, 16, v15 :: v_dual_cndmask_b32 v18, 0, v18, s0
	v_cmp_gt_i32_e64 s0, s29, v113
	s_delay_alu instid0(VALU_DEP_2) | instskip(NEXT) | instid1(VALU_DEP_2)
	v_perm_b32 v14, v18, v14, 0x5040100
	v_cndmask_b32_e64 v15, 0, v15, s0
	v_cmp_gt_i32_e64 s0, s16, v112
	s_delay_alu instid0(VALU_DEP_1) | instskip(SKIP_1) | instid1(VALU_DEP_1)
	v_cndmask_b32_e64 v19, 0, v19, s0
	v_cmp_gt_i32_e64 s0, s29, v111
	v_cndmask_b32_e64 v16, 0, v16, s0
	v_cmp_gt_i32_e64 s0, s16, v110
	v_lshrrev_b32_e32 v21, 16, v17
	v_perm_b32 v15, v19, v15, 0x5040100
	s_delay_alu instid0(VALU_DEP_3) | instskip(SKIP_1) | instid1(VALU_DEP_2)
	v_cndmask_b32_e64 v20, 0, v20, s0
	v_cmp_gt_i32_e64 s0, s29, v45
	v_perm_b32 v16, v20, v16, 0x5040100
	s_delay_alu instid0(VALU_DEP_2) | instskip(SKIP_1) | instid1(VALU_DEP_1)
	v_cndmask_b32_e64 v17, 0, v17, s0
	v_cmp_gt_i32_e64 s0, s16, v44
	v_cndmask_b32_e64 v21, 0, v21, s0
	s_delay_alu instid0(VALU_DEP_1)
	v_perm_b32 v17, v21, v17, 0x5040100
	s_or_b32 exec_lo, exec_lo, s1
	global_load_b128 v[18:21], v[40:41], off offset:2048
	s_wait_xcnt 0x0
	s_and_saveexec_b32 s1, vcc_lo
	s_cbranch_execz .LBB151_51
.LBB151_74:                             ;   in Loop: Header=BB151_45 Depth=1
	v_cmp_gt_i32_e64 s0, s29, v114
	s_wait_loadcnt 0x0
	v_dual_lshrrev_b32 v22, 16, v18 :: v_dual_lshrrev_b32 v24, 16, v20
	s_delay_alu instid0(VALU_DEP_2) | instskip(SKIP_1) | instid1(VALU_DEP_1)
	v_cndmask_b32_e64 v18, 0, v18, s0
	v_cmp_gt_i32_e64 s0, s16, v115
	v_dual_lshrrev_b32 v23, 16, v19 :: v_dual_cndmask_b32 v22, 0, v22, s0
	v_cmp_gt_i32_e64 s0, s29, v113
	s_delay_alu instid0(VALU_DEP_2) | instskip(NEXT) | instid1(VALU_DEP_2)
	v_perm_b32 v18, v22, v18, 0x5040100
	v_cndmask_b32_e64 v19, 0, v19, s0
	v_cmp_gt_i32_e64 s0, s16, v112
	s_delay_alu instid0(VALU_DEP_1) | instskip(SKIP_1) | instid1(VALU_DEP_1)
	v_cndmask_b32_e64 v23, 0, v23, s0
	v_cmp_gt_i32_e64 s0, s29, v111
	v_cndmask_b32_e64 v20, 0, v20, s0
	v_cmp_gt_i32_e64 s0, s16, v110
	v_lshrrev_b32_e32 v25, 16, v21
	v_perm_b32 v19, v23, v19, 0x5040100
	s_delay_alu instid0(VALU_DEP_3) | instskip(SKIP_1) | instid1(VALU_DEP_2)
	v_cndmask_b32_e64 v24, 0, v24, s0
	v_cmp_gt_i32_e64 s0, s29, v45
	v_perm_b32 v20, v24, v20, 0x5040100
	s_delay_alu instid0(VALU_DEP_2) | instskip(SKIP_1) | instid1(VALU_DEP_1)
	v_cndmask_b32_e64 v21, 0, v21, s0
	v_cmp_gt_i32_e64 s0, s16, v44
	v_cndmask_b32_e64 v25, 0, v25, s0
	s_delay_alu instid0(VALU_DEP_1)
	v_perm_b32 v21, v25, v21, 0x5040100
	s_or_b32 exec_lo, exec_lo, s1
	global_load_b128 v[22:25], v[40:41], off offset:2560
	s_wait_xcnt 0x0
	s_and_saveexec_b32 s1, vcc_lo
	s_cbranch_execz .LBB151_52
.LBB151_75:                             ;   in Loop: Header=BB151_45 Depth=1
	v_cmp_gt_i32_e64 s0, s29, v114
	s_wait_loadcnt 0x0
	v_dual_lshrrev_b32 v26, 16, v22 :: v_dual_lshrrev_b32 v28, 16, v24
	s_delay_alu instid0(VALU_DEP_2) | instskip(SKIP_1) | instid1(VALU_DEP_1)
	v_cndmask_b32_e64 v22, 0, v22, s0
	v_cmp_gt_i32_e64 s0, s16, v115
	v_dual_lshrrev_b32 v27, 16, v23 :: v_dual_cndmask_b32 v26, 0, v26, s0
	v_cmp_gt_i32_e64 s0, s29, v113
	s_delay_alu instid0(VALU_DEP_2) | instskip(NEXT) | instid1(VALU_DEP_2)
	v_perm_b32 v22, v26, v22, 0x5040100
	v_cndmask_b32_e64 v23, 0, v23, s0
	v_cmp_gt_i32_e64 s0, s16, v112
	s_delay_alu instid0(VALU_DEP_1) | instskip(SKIP_1) | instid1(VALU_DEP_1)
	v_cndmask_b32_e64 v27, 0, v27, s0
	v_cmp_gt_i32_e64 s0, s29, v111
	v_cndmask_b32_e64 v24, 0, v24, s0
	v_cmp_gt_i32_e64 s0, s16, v110
	v_lshrrev_b32_e32 v29, 16, v25
	v_perm_b32 v23, v27, v23, 0x5040100
	s_delay_alu instid0(VALU_DEP_3) | instskip(SKIP_1) | instid1(VALU_DEP_2)
	v_cndmask_b32_e64 v28, 0, v28, s0
	v_cmp_gt_i32_e64 s0, s29, v45
	v_perm_b32 v24, v28, v24, 0x5040100
	s_delay_alu instid0(VALU_DEP_2) | instskip(SKIP_1) | instid1(VALU_DEP_1)
	v_cndmask_b32_e64 v25, 0, v25, s0
	v_cmp_gt_i32_e64 s0, s16, v44
	v_cndmask_b32_e64 v29, 0, v29, s0
	s_delay_alu instid0(VALU_DEP_1)
	v_perm_b32 v25, v29, v25, 0x5040100
	s_or_b32 exec_lo, exec_lo, s1
	global_load_b128 v[26:29], v[40:41], off offset:3072
	s_wait_xcnt 0x0
	s_and_saveexec_b32 s1, vcc_lo
	s_cbranch_execz .LBB151_53
.LBB151_76:                             ;   in Loop: Header=BB151_45 Depth=1
	v_cmp_gt_i32_e64 s0, s29, v114
	s_wait_loadcnt 0x0
	v_dual_lshrrev_b32 v30, 16, v26 :: v_dual_lshrrev_b32 v32, 16, v28
	s_delay_alu instid0(VALU_DEP_2) | instskip(SKIP_1) | instid1(VALU_DEP_1)
	v_cndmask_b32_e64 v26, 0, v26, s0
	v_cmp_gt_i32_e64 s0, s16, v115
	v_dual_lshrrev_b32 v31, 16, v27 :: v_dual_cndmask_b32 v30, 0, v30, s0
	v_cmp_gt_i32_e64 s0, s29, v113
	s_delay_alu instid0(VALU_DEP_2) | instskip(NEXT) | instid1(VALU_DEP_2)
	v_perm_b32 v26, v30, v26, 0x5040100
	v_cndmask_b32_e64 v27, 0, v27, s0
	v_cmp_gt_i32_e64 s0, s16, v112
	s_delay_alu instid0(VALU_DEP_1) | instskip(SKIP_1) | instid1(VALU_DEP_1)
	v_cndmask_b32_e64 v31, 0, v31, s0
	v_cmp_gt_i32_e64 s0, s29, v111
	v_cndmask_b32_e64 v28, 0, v28, s0
	v_cmp_gt_i32_e64 s0, s16, v110
	v_lshrrev_b32_e32 v33, 16, v29
	v_perm_b32 v27, v31, v27, 0x5040100
	s_delay_alu instid0(VALU_DEP_3) | instskip(SKIP_1) | instid1(VALU_DEP_2)
	v_cndmask_b32_e64 v32, 0, v32, s0
	v_cmp_gt_i32_e64 s0, s29, v45
	v_perm_b32 v28, v32, v28, 0x5040100
	s_delay_alu instid0(VALU_DEP_2) | instskip(SKIP_1) | instid1(VALU_DEP_1)
	v_cndmask_b32_e64 v29, 0, v29, s0
	v_cmp_gt_i32_e64 s0, s16, v44
	v_cndmask_b32_e64 v33, 0, v33, s0
	s_delay_alu instid0(VALU_DEP_1)
	v_perm_b32 v29, v33, v29, 0x5040100
	s_or_b32 exec_lo, exec_lo, s1
	global_load_b128 v[30:33], v[40:41], off offset:3584
	s_wait_xcnt 0x0
	s_and_saveexec_b32 s1, vcc_lo
	s_cbranch_execz .LBB151_54
.LBB151_77:                             ;   in Loop: Header=BB151_45 Depth=1
	v_cmp_gt_i32_e64 s0, s29, v114
	s_wait_loadcnt 0x0
	v_dual_lshrrev_b32 v34, 16, v30 :: v_dual_lshrrev_b32 v36, 16, v32
	s_delay_alu instid0(VALU_DEP_2) | instskip(SKIP_1) | instid1(VALU_DEP_1)
	v_cndmask_b32_e64 v30, 0, v30, s0
	v_cmp_gt_i32_e64 s0, s16, v115
	v_dual_lshrrev_b32 v35, 16, v31 :: v_dual_cndmask_b32 v34, 0, v34, s0
	v_cmp_gt_i32_e64 s0, s29, v113
	s_delay_alu instid0(VALU_DEP_2) | instskip(NEXT) | instid1(VALU_DEP_2)
	v_perm_b32 v30, v34, v30, 0x5040100
	v_cndmask_b32_e64 v31, 0, v31, s0
	v_cmp_gt_i32_e64 s0, s16, v112
	s_delay_alu instid0(VALU_DEP_1) | instskip(SKIP_1) | instid1(VALU_DEP_1)
	v_cndmask_b32_e64 v35, 0, v35, s0
	v_cmp_gt_i32_e64 s0, s29, v111
	v_cndmask_b32_e64 v32, 0, v32, s0
	v_cmp_gt_i32_e64 s0, s16, v110
	v_lshrrev_b32_e32 v37, 16, v33
	v_perm_b32 v31, v35, v31, 0x5040100
	s_delay_alu instid0(VALU_DEP_3) | instskip(SKIP_1) | instid1(VALU_DEP_2)
	v_cndmask_b32_e64 v36, 0, v36, s0
	v_cmp_gt_i32_e64 s0, s29, v45
	v_perm_b32 v32, v36, v32, 0x5040100
	s_delay_alu instid0(VALU_DEP_2) | instskip(SKIP_1) | instid1(VALU_DEP_1)
	v_cndmask_b32_e64 v33, 0, v33, s0
	v_cmp_gt_i32_e64 s0, s16, v44
	v_cndmask_b32_e64 v37, 0, v37, s0
	s_delay_alu instid0(VALU_DEP_1)
	v_perm_b32 v33, v37, v33, 0x5040100
	s_or_b32 exec_lo, exec_lo, s1
	global_load_b128 v[34:37], v[40:41], off offset:4096
	s_wait_xcnt 0x0
	s_and_saveexec_b32 s1, vcc_lo
	s_cbranch_execz .LBB151_55
.LBB151_78:                             ;   in Loop: Header=BB151_45 Depth=1
	v_cmp_gt_i32_e64 s0, s29, v114
	s_wait_loadcnt 0x0
	v_dual_lshrrev_b32 v46, 16, v34 :: v_dual_lshrrev_b32 v48, 16, v36
	s_delay_alu instid0(VALU_DEP_2) | instskip(SKIP_1) | instid1(VALU_DEP_1)
	v_cndmask_b32_e64 v34, 0, v34, s0
	v_cmp_gt_i32_e64 s0, s16, v115
	v_dual_lshrrev_b32 v47, 16, v35 :: v_dual_cndmask_b32 v46, 0, v46, s0
	v_cmp_gt_i32_e64 s0, s29, v113
	s_delay_alu instid0(VALU_DEP_2) | instskip(NEXT) | instid1(VALU_DEP_2)
	v_perm_b32 v34, v46, v34, 0x5040100
	v_cndmask_b32_e64 v35, 0, v35, s0
	v_cmp_gt_i32_e64 s0, s16, v112
	s_delay_alu instid0(VALU_DEP_1) | instskip(SKIP_1) | instid1(VALU_DEP_1)
	v_cndmask_b32_e64 v47, 0, v47, s0
	v_cmp_gt_i32_e64 s0, s29, v111
	v_cndmask_b32_e64 v36, 0, v36, s0
	v_cmp_gt_i32_e64 s0, s16, v110
	v_lshrrev_b32_e32 v49, 16, v37
	v_perm_b32 v35, v47, v35, 0x5040100
	s_delay_alu instid0(VALU_DEP_3) | instskip(SKIP_1) | instid1(VALU_DEP_2)
	v_cndmask_b32_e64 v48, 0, v48, s0
	v_cmp_gt_i32_e64 s0, s29, v45
	v_perm_b32 v36, v48, v36, 0x5040100
	s_delay_alu instid0(VALU_DEP_2) | instskip(SKIP_1) | instid1(VALU_DEP_1)
	v_cndmask_b32_e64 v37, 0, v37, s0
	v_cmp_gt_i32_e64 s0, s16, v44
	v_cndmask_b32_e64 v49, 0, v49, s0
	s_delay_alu instid0(VALU_DEP_1)
	v_perm_b32 v37, v49, v37, 0x5040100
	s_or_b32 exec_lo, exec_lo, s1
	global_load_b128 v[46:49], v[40:41], off offset:4608
	s_wait_xcnt 0x0
	s_and_saveexec_b32 s1, vcc_lo
	s_cbranch_execz .LBB151_56
.LBB151_79:                             ;   in Loop: Header=BB151_45 Depth=1
	v_cmp_gt_i32_e64 s0, s29, v114
	s_wait_loadcnt 0x0
	v_dual_lshrrev_b32 v50, 16, v46 :: v_dual_lshrrev_b32 v52, 16, v48
	s_delay_alu instid0(VALU_DEP_2) | instskip(SKIP_1) | instid1(VALU_DEP_1)
	v_cndmask_b32_e64 v46, 0, v46, s0
	v_cmp_gt_i32_e64 s0, s16, v115
	v_dual_lshrrev_b32 v51, 16, v47 :: v_dual_cndmask_b32 v50, 0, v50, s0
	v_cmp_gt_i32_e64 s0, s29, v113
	s_delay_alu instid0(VALU_DEP_2) | instskip(NEXT) | instid1(VALU_DEP_2)
	v_perm_b32 v46, v50, v46, 0x5040100
	v_cndmask_b32_e64 v47, 0, v47, s0
	v_cmp_gt_i32_e64 s0, s16, v112
	s_delay_alu instid0(VALU_DEP_1) | instskip(SKIP_1) | instid1(VALU_DEP_1)
	v_cndmask_b32_e64 v51, 0, v51, s0
	v_cmp_gt_i32_e64 s0, s29, v111
	v_cndmask_b32_e64 v48, 0, v48, s0
	v_cmp_gt_i32_e64 s0, s16, v110
	v_lshrrev_b32_e32 v53, 16, v49
	v_perm_b32 v47, v51, v47, 0x5040100
	s_delay_alu instid0(VALU_DEP_3) | instskip(SKIP_1) | instid1(VALU_DEP_2)
	v_cndmask_b32_e64 v52, 0, v52, s0
	v_cmp_gt_i32_e64 s0, s29, v45
	v_perm_b32 v48, v52, v48, 0x5040100
	s_delay_alu instid0(VALU_DEP_2) | instskip(SKIP_1) | instid1(VALU_DEP_1)
	v_cndmask_b32_e64 v49, 0, v49, s0
	v_cmp_gt_i32_e64 s0, s16, v44
	v_cndmask_b32_e64 v53, 0, v53, s0
	s_delay_alu instid0(VALU_DEP_1)
	v_perm_b32 v49, v53, v49, 0x5040100
	s_or_b32 exec_lo, exec_lo, s1
	global_load_b128 v[50:53], v[40:41], off offset:5120
	s_wait_xcnt 0x0
	s_and_saveexec_b32 s1, vcc_lo
	s_cbranch_execz .LBB151_57
.LBB151_80:                             ;   in Loop: Header=BB151_45 Depth=1
	v_cmp_gt_i32_e64 s0, s29, v114
	s_wait_loadcnt 0x0
	v_dual_lshrrev_b32 v54, 16, v50 :: v_dual_lshrrev_b32 v56, 16, v52
	s_delay_alu instid0(VALU_DEP_2) | instskip(SKIP_1) | instid1(VALU_DEP_1)
	v_cndmask_b32_e64 v50, 0, v50, s0
	v_cmp_gt_i32_e64 s0, s16, v115
	v_dual_lshrrev_b32 v55, 16, v51 :: v_dual_cndmask_b32 v54, 0, v54, s0
	v_cmp_gt_i32_e64 s0, s29, v113
	s_delay_alu instid0(VALU_DEP_2) | instskip(NEXT) | instid1(VALU_DEP_2)
	v_perm_b32 v50, v54, v50, 0x5040100
	v_cndmask_b32_e64 v51, 0, v51, s0
	v_cmp_gt_i32_e64 s0, s16, v112
	s_delay_alu instid0(VALU_DEP_1) | instskip(SKIP_1) | instid1(VALU_DEP_1)
	v_cndmask_b32_e64 v55, 0, v55, s0
	v_cmp_gt_i32_e64 s0, s29, v111
	v_cndmask_b32_e64 v52, 0, v52, s0
	v_cmp_gt_i32_e64 s0, s16, v110
	v_lshrrev_b32_e32 v57, 16, v53
	v_perm_b32 v51, v55, v51, 0x5040100
	s_delay_alu instid0(VALU_DEP_3) | instskip(SKIP_1) | instid1(VALU_DEP_2)
	v_cndmask_b32_e64 v56, 0, v56, s0
	v_cmp_gt_i32_e64 s0, s29, v45
	v_perm_b32 v52, v56, v52, 0x5040100
	s_delay_alu instid0(VALU_DEP_2) | instskip(SKIP_1) | instid1(VALU_DEP_1)
	v_cndmask_b32_e64 v53, 0, v53, s0
	v_cmp_gt_i32_e64 s0, s16, v44
	v_cndmask_b32_e64 v57, 0, v57, s0
	s_delay_alu instid0(VALU_DEP_1)
	v_perm_b32 v53, v57, v53, 0x5040100
	s_or_b32 exec_lo, exec_lo, s1
	global_load_b128 v[54:57], v[40:41], off offset:5632
	s_wait_xcnt 0x0
	s_and_saveexec_b32 s1, vcc_lo
	s_cbranch_execz .LBB151_58
.LBB151_81:                             ;   in Loop: Header=BB151_45 Depth=1
	v_cmp_gt_i32_e64 s0, s29, v114
	s_wait_loadcnt 0x0
	v_dual_lshrrev_b32 v58, 16, v54 :: v_dual_lshrrev_b32 v60, 16, v56
	s_delay_alu instid0(VALU_DEP_2) | instskip(SKIP_1) | instid1(VALU_DEP_1)
	v_cndmask_b32_e64 v54, 0, v54, s0
	v_cmp_gt_i32_e64 s0, s16, v115
	v_dual_lshrrev_b32 v59, 16, v55 :: v_dual_cndmask_b32 v58, 0, v58, s0
	v_cmp_gt_i32_e64 s0, s29, v113
	s_delay_alu instid0(VALU_DEP_2) | instskip(NEXT) | instid1(VALU_DEP_2)
	v_perm_b32 v54, v58, v54, 0x5040100
	v_cndmask_b32_e64 v55, 0, v55, s0
	v_cmp_gt_i32_e64 s0, s16, v112
	s_delay_alu instid0(VALU_DEP_1) | instskip(SKIP_1) | instid1(VALU_DEP_1)
	v_cndmask_b32_e64 v59, 0, v59, s0
	v_cmp_gt_i32_e64 s0, s29, v111
	v_cndmask_b32_e64 v56, 0, v56, s0
	v_cmp_gt_i32_e64 s0, s16, v110
	v_lshrrev_b32_e32 v61, 16, v57
	v_perm_b32 v55, v59, v55, 0x5040100
	s_delay_alu instid0(VALU_DEP_3) | instskip(SKIP_1) | instid1(VALU_DEP_2)
	v_cndmask_b32_e64 v60, 0, v60, s0
	v_cmp_gt_i32_e64 s0, s29, v45
	v_perm_b32 v56, v60, v56, 0x5040100
	s_delay_alu instid0(VALU_DEP_2) | instskip(SKIP_1) | instid1(VALU_DEP_1)
	v_cndmask_b32_e64 v57, 0, v57, s0
	v_cmp_gt_i32_e64 s0, s16, v44
	v_cndmask_b32_e64 v61, 0, v61, s0
	s_delay_alu instid0(VALU_DEP_1)
	v_perm_b32 v57, v61, v57, 0x5040100
	s_or_b32 exec_lo, exec_lo, s1
	global_load_b128 v[58:61], v[40:41], off offset:6144
	s_wait_xcnt 0x0
	s_and_saveexec_b32 s1, vcc_lo
	s_cbranch_execz .LBB151_59
.LBB151_82:                             ;   in Loop: Header=BB151_45 Depth=1
	v_cmp_gt_i32_e64 s0, s29, v114
	s_wait_loadcnt 0x0
	v_dual_lshrrev_b32 v62, 16, v58 :: v_dual_lshrrev_b32 v64, 16, v60
	s_delay_alu instid0(VALU_DEP_2) | instskip(SKIP_1) | instid1(VALU_DEP_1)
	v_cndmask_b32_e64 v58, 0, v58, s0
	v_cmp_gt_i32_e64 s0, s16, v115
	v_dual_lshrrev_b32 v63, 16, v59 :: v_dual_cndmask_b32 v62, 0, v62, s0
	v_cmp_gt_i32_e64 s0, s29, v113
	s_delay_alu instid0(VALU_DEP_2) | instskip(NEXT) | instid1(VALU_DEP_2)
	v_perm_b32 v58, v62, v58, 0x5040100
	v_cndmask_b32_e64 v59, 0, v59, s0
	v_cmp_gt_i32_e64 s0, s16, v112
	s_delay_alu instid0(VALU_DEP_1) | instskip(SKIP_1) | instid1(VALU_DEP_1)
	v_cndmask_b32_e64 v63, 0, v63, s0
	v_cmp_gt_i32_e64 s0, s29, v111
	v_cndmask_b32_e64 v60, 0, v60, s0
	v_cmp_gt_i32_e64 s0, s16, v110
	v_lshrrev_b32_e32 v65, 16, v61
	v_perm_b32 v59, v63, v59, 0x5040100
	s_delay_alu instid0(VALU_DEP_3) | instskip(SKIP_1) | instid1(VALU_DEP_2)
	v_cndmask_b32_e64 v64, 0, v64, s0
	v_cmp_gt_i32_e64 s0, s29, v45
	v_perm_b32 v60, v64, v60, 0x5040100
	s_delay_alu instid0(VALU_DEP_2) | instskip(SKIP_1) | instid1(VALU_DEP_1)
	v_cndmask_b32_e64 v61, 0, v61, s0
	v_cmp_gt_i32_e64 s0, s16, v44
	v_cndmask_b32_e64 v65, 0, v65, s0
	s_delay_alu instid0(VALU_DEP_1)
	v_perm_b32 v61, v65, v61, 0x5040100
	s_or_b32 exec_lo, exec_lo, s1
	global_load_b128 v[62:65], v[40:41], off offset:6656
	s_wait_xcnt 0x0
	s_and_saveexec_b32 s1, vcc_lo
	s_cbranch_execz .LBB151_60
.LBB151_83:                             ;   in Loop: Header=BB151_45 Depth=1
	v_cmp_gt_i32_e64 s0, s29, v114
	s_wait_loadcnt 0x0
	v_dual_lshrrev_b32 v66, 16, v62 :: v_dual_lshrrev_b32 v68, 16, v64
	s_delay_alu instid0(VALU_DEP_2) | instskip(SKIP_1) | instid1(VALU_DEP_1)
	v_cndmask_b32_e64 v62, 0, v62, s0
	v_cmp_gt_i32_e64 s0, s16, v115
	v_dual_lshrrev_b32 v67, 16, v63 :: v_dual_cndmask_b32 v66, 0, v66, s0
	v_cmp_gt_i32_e64 s0, s29, v113
	s_delay_alu instid0(VALU_DEP_2) | instskip(NEXT) | instid1(VALU_DEP_2)
	v_perm_b32 v62, v66, v62, 0x5040100
	v_cndmask_b32_e64 v63, 0, v63, s0
	v_cmp_gt_i32_e64 s0, s16, v112
	s_delay_alu instid0(VALU_DEP_1) | instskip(SKIP_1) | instid1(VALU_DEP_1)
	v_cndmask_b32_e64 v67, 0, v67, s0
	v_cmp_gt_i32_e64 s0, s29, v111
	v_cndmask_b32_e64 v64, 0, v64, s0
	v_cmp_gt_i32_e64 s0, s16, v110
	v_lshrrev_b32_e32 v69, 16, v65
	v_perm_b32 v63, v67, v63, 0x5040100
	s_delay_alu instid0(VALU_DEP_3) | instskip(SKIP_1) | instid1(VALU_DEP_2)
	v_cndmask_b32_e64 v68, 0, v68, s0
	v_cmp_gt_i32_e64 s0, s29, v45
	v_perm_b32 v64, v68, v64, 0x5040100
	s_delay_alu instid0(VALU_DEP_2) | instskip(SKIP_1) | instid1(VALU_DEP_1)
	v_cndmask_b32_e64 v65, 0, v65, s0
	v_cmp_gt_i32_e64 s0, s16, v44
	v_cndmask_b32_e64 v69, 0, v69, s0
	s_delay_alu instid0(VALU_DEP_1)
	v_perm_b32 v65, v69, v65, 0x5040100
	s_or_b32 exec_lo, exec_lo, s1
	global_load_b128 v[66:69], v[40:41], off offset:7168
	s_wait_xcnt 0x0
	s_and_saveexec_b32 s1, vcc_lo
	s_cbranch_execz .LBB151_61
.LBB151_84:                             ;   in Loop: Header=BB151_45 Depth=1
	v_cmp_gt_i32_e64 s0, s29, v114
	s_wait_loadcnt 0x0
	v_dual_lshrrev_b32 v70, 16, v66 :: v_dual_lshrrev_b32 v72, 16, v68
	s_delay_alu instid0(VALU_DEP_2) | instskip(SKIP_1) | instid1(VALU_DEP_1)
	v_cndmask_b32_e64 v66, 0, v66, s0
	v_cmp_gt_i32_e64 s0, s16, v115
	v_dual_lshrrev_b32 v71, 16, v67 :: v_dual_cndmask_b32 v70, 0, v70, s0
	v_cmp_gt_i32_e64 s0, s29, v113
	s_delay_alu instid0(VALU_DEP_2) | instskip(NEXT) | instid1(VALU_DEP_2)
	v_perm_b32 v66, v70, v66, 0x5040100
	v_cndmask_b32_e64 v67, 0, v67, s0
	v_cmp_gt_i32_e64 s0, s16, v112
	s_delay_alu instid0(VALU_DEP_1) | instskip(SKIP_1) | instid1(VALU_DEP_1)
	v_cndmask_b32_e64 v71, 0, v71, s0
	v_cmp_gt_i32_e64 s0, s29, v111
	v_cndmask_b32_e64 v68, 0, v68, s0
	v_cmp_gt_i32_e64 s0, s16, v110
	v_lshrrev_b32_e32 v73, 16, v69
	v_perm_b32 v67, v71, v67, 0x5040100
	s_delay_alu instid0(VALU_DEP_3) | instskip(SKIP_1) | instid1(VALU_DEP_2)
	v_cndmask_b32_e64 v72, 0, v72, s0
	v_cmp_gt_i32_e64 s0, s29, v45
	v_perm_b32 v68, v72, v68, 0x5040100
	s_delay_alu instid0(VALU_DEP_2) | instskip(SKIP_1) | instid1(VALU_DEP_1)
	v_cndmask_b32_e64 v69, 0, v69, s0
	v_cmp_gt_i32_e64 s0, s16, v44
	v_cndmask_b32_e64 v73, 0, v73, s0
	s_delay_alu instid0(VALU_DEP_1)
	v_perm_b32 v69, v73, v69, 0x5040100
	s_or_b32 exec_lo, exec_lo, s1
	global_load_b128 v[70:73], v[40:41], off offset:7680
	s_wait_xcnt 0x0
	s_and_saveexec_b32 s1, vcc_lo
	s_cbranch_execz .LBB151_62
.LBB151_85:                             ;   in Loop: Header=BB151_45 Depth=1
	v_cmp_gt_i32_e64 s0, s29, v114
	s_wait_loadcnt 0x0
	v_dual_lshrrev_b32 v74, 16, v70 :: v_dual_lshrrev_b32 v76, 16, v72
	s_delay_alu instid0(VALU_DEP_2) | instskip(SKIP_1) | instid1(VALU_DEP_1)
	v_cndmask_b32_e64 v70, 0, v70, s0
	v_cmp_gt_i32_e64 s0, s16, v115
	v_dual_lshrrev_b32 v75, 16, v71 :: v_dual_cndmask_b32 v74, 0, v74, s0
	v_cmp_gt_i32_e64 s0, s29, v113
	s_delay_alu instid0(VALU_DEP_2) | instskip(NEXT) | instid1(VALU_DEP_2)
	v_perm_b32 v70, v74, v70, 0x5040100
	v_cndmask_b32_e64 v71, 0, v71, s0
	v_cmp_gt_i32_e64 s0, s16, v112
	s_delay_alu instid0(VALU_DEP_1) | instskip(SKIP_1) | instid1(VALU_DEP_1)
	v_cndmask_b32_e64 v75, 0, v75, s0
	v_cmp_gt_i32_e64 s0, s29, v111
	v_cndmask_b32_e64 v72, 0, v72, s0
	v_cmp_gt_i32_e64 s0, s16, v110
	v_lshrrev_b32_e32 v77, 16, v73
	v_perm_b32 v71, v75, v71, 0x5040100
	s_delay_alu instid0(VALU_DEP_3) | instskip(SKIP_1) | instid1(VALU_DEP_2)
	v_cndmask_b32_e64 v76, 0, v76, s0
	v_cmp_gt_i32_e64 s0, s29, v45
	v_perm_b32 v72, v76, v72, 0x5040100
	s_delay_alu instid0(VALU_DEP_2) | instskip(SKIP_1) | instid1(VALU_DEP_1)
	v_cndmask_b32_e64 v73, 0, v73, s0
	v_cmp_gt_i32_e64 s0, s16, v44
	v_cndmask_b32_e64 v77, 0, v77, s0
	s_delay_alu instid0(VALU_DEP_1)
	v_perm_b32 v73, v77, v73, 0x5040100
	s_or_b32 exec_lo, exec_lo, s1
	global_load_b128 v[74:77], v[40:41], off offset:8192
	s_wait_xcnt 0x0
	s_and_saveexec_b32 s19, vcc_lo
	s_cbranch_execz .LBB151_63
.LBB151_86:                             ;   in Loop: Header=BB151_45 Depth=1
	v_cmp_gt_i32_e64 s0, s29, v114
	v_cmp_gt_i32_e64 s1, s16, v115
	s_wait_loadcnt 0x0
	s_delay_alu instid0(VALU_DEP_2) | instskip(SKIP_1) | instid1(VALU_DEP_2)
	v_dual_lshrrev_b32 v78, 16, v74 :: v_dual_cndmask_b32 v74, 0, v74, s0
	v_cmp_gt_i32_e64 s0, s16, v112
	v_cndmask_b32_e64 v78, 0, v78, s1
	v_cmp_gt_i32_e64 s1, s29, v113
	s_delay_alu instid0(VALU_DEP_2) | instskip(NEXT) | instid1(VALU_DEP_2)
	v_perm_b32 v74, v78, v74, 0x5040100
	v_dual_cndmask_b32 v78, 0, v75, s1 :: v_dual_lshrrev_b32 v75, 16, v75
	v_cmp_gt_i32_e64 s1, s29, v111
	s_delay_alu instid0(VALU_DEP_2) | instskip(SKIP_1) | instid1(VALU_DEP_2)
	v_cndmask_b32_e64 v75, 0, v75, s0
	v_cmp_gt_i32_e64 s0, s16, v110
	v_perm_b32 v75, v75, v78, 0x5040100
	s_delay_alu instid0(VALU_DEP_4) | instskip(SKIP_1) | instid1(VALU_DEP_2)
	v_dual_cndmask_b32 v78, 0, v76, s1 :: v_dual_lshrrev_b32 v76, 16, v76
	v_cmp_gt_i32_e64 s1, s29, v45
	v_cndmask_b32_e64 v76, 0, v76, s0
	v_cmp_gt_i32_e64 s0, s16, v44
	s_delay_alu instid0(VALU_DEP_2) | instskip(NEXT) | instid1(VALU_DEP_4)
	v_perm_b32 v76, v76, v78, 0x5040100
	v_dual_cndmask_b32 v78, 0, v77, s1 :: v_dual_lshrrev_b32 v77, 16, v77
	s_delay_alu instid0(VALU_DEP_1) | instskip(NEXT) | instid1(VALU_DEP_1)
	v_cndmask_b32_e64 v77, 0, v77, s0
	v_perm_b32 v77, v77, v78, 0x5040100
	s_or_b32 exec_lo, exec_lo, s19
	global_load_b128 v[78:81], v[40:41], off offset:8704
	s_wait_xcnt 0x0
	s_and_saveexec_b32 s19, vcc_lo
	s_cbranch_execz .LBB151_64
.LBB151_87:                             ;   in Loop: Header=BB151_45 Depth=1
	v_cmp_gt_i32_e64 s0, s29, v114
	v_cmp_gt_i32_e64 s1, s16, v115
	s_wait_loadcnt 0x0
	s_delay_alu instid0(VALU_DEP_2) | instskip(SKIP_1) | instid1(VALU_DEP_2)
	v_dual_lshrrev_b32 v82, 16, v78 :: v_dual_cndmask_b32 v78, 0, v78, s0
	v_cmp_gt_i32_e64 s0, s16, v112
	v_cndmask_b32_e64 v82, 0, v82, s1
	v_cmp_gt_i32_e64 s1, s29, v113
	s_delay_alu instid0(VALU_DEP_2) | instskip(NEXT) | instid1(VALU_DEP_2)
	v_perm_b32 v78, v82, v78, 0x5040100
	v_dual_cndmask_b32 v82, 0, v79, s1 :: v_dual_lshrrev_b32 v79, 16, v79
	v_cmp_gt_i32_e64 s1, s29, v111
	s_delay_alu instid0(VALU_DEP_2) | instskip(SKIP_1) | instid1(VALU_DEP_2)
	v_cndmask_b32_e64 v79, 0, v79, s0
	v_cmp_gt_i32_e64 s0, s16, v110
	v_perm_b32 v79, v79, v82, 0x5040100
	s_delay_alu instid0(VALU_DEP_4) | instskip(SKIP_1) | instid1(VALU_DEP_2)
	v_dual_cndmask_b32 v82, 0, v80, s1 :: v_dual_lshrrev_b32 v80, 16, v80
	v_cmp_gt_i32_e64 s1, s29, v45
	v_cndmask_b32_e64 v80, 0, v80, s0
	v_cmp_gt_i32_e64 s0, s16, v44
	s_delay_alu instid0(VALU_DEP_2) | instskip(NEXT) | instid1(VALU_DEP_4)
	v_perm_b32 v80, v80, v82, 0x5040100
	v_dual_cndmask_b32 v82, 0, v81, s1 :: v_dual_lshrrev_b32 v81, 16, v81
	s_delay_alu instid0(VALU_DEP_1) | instskip(NEXT) | instid1(VALU_DEP_1)
	v_cndmask_b32_e64 v81, 0, v81, s0
	v_perm_b32 v81, v81, v82, 0x5040100
	s_or_b32 exec_lo, exec_lo, s19
	global_load_b128 v[82:85], v[40:41], off offset:9216
	s_wait_xcnt 0x0
	s_and_saveexec_b32 s19, vcc_lo
	s_cbranch_execz .LBB151_65
.LBB151_88:                             ;   in Loop: Header=BB151_45 Depth=1
	v_cmp_gt_i32_e64 s0, s29, v114
	v_cmp_gt_i32_e64 s1, s16, v115
	s_wait_loadcnt 0x0
	s_delay_alu instid0(VALU_DEP_2) | instskip(SKIP_1) | instid1(VALU_DEP_2)
	v_dual_lshrrev_b32 v86, 16, v82 :: v_dual_cndmask_b32 v82, 0, v82, s0
	v_cmp_gt_i32_e64 s0, s16, v112
	v_cndmask_b32_e64 v86, 0, v86, s1
	v_cmp_gt_i32_e64 s1, s29, v113
	s_delay_alu instid0(VALU_DEP_2) | instskip(NEXT) | instid1(VALU_DEP_2)
	v_perm_b32 v82, v86, v82, 0x5040100
	v_dual_cndmask_b32 v86, 0, v83, s1 :: v_dual_lshrrev_b32 v83, 16, v83
	v_cmp_gt_i32_e64 s1, s29, v111
	s_delay_alu instid0(VALU_DEP_2) | instskip(SKIP_1) | instid1(VALU_DEP_2)
	v_cndmask_b32_e64 v83, 0, v83, s0
	v_cmp_gt_i32_e64 s0, s16, v110
	v_perm_b32 v83, v83, v86, 0x5040100
	s_delay_alu instid0(VALU_DEP_4) | instskip(SKIP_1) | instid1(VALU_DEP_2)
	v_dual_cndmask_b32 v86, 0, v84, s1 :: v_dual_lshrrev_b32 v84, 16, v84
	v_cmp_gt_i32_e64 s1, s29, v45
	v_cndmask_b32_e64 v84, 0, v84, s0
	v_cmp_gt_i32_e64 s0, s16, v44
	s_delay_alu instid0(VALU_DEP_2) | instskip(NEXT) | instid1(VALU_DEP_4)
	v_perm_b32 v84, v84, v86, 0x5040100
	v_dual_cndmask_b32 v86, 0, v85, s1 :: v_dual_lshrrev_b32 v85, 16, v85
	s_delay_alu instid0(VALU_DEP_1) | instskip(NEXT) | instid1(VALU_DEP_1)
	v_cndmask_b32_e64 v85, 0, v85, s0
	v_perm_b32 v85, v85, v86, 0x5040100
	s_or_b32 exec_lo, exec_lo, s19
	global_load_b128 v[90:93], v[40:41], off offset:9728
	s_wait_xcnt 0x0
	s_and_saveexec_b32 s19, vcc_lo
	s_cbranch_execz .LBB151_66
.LBB151_89:                             ;   in Loop: Header=BB151_45 Depth=1
	v_cmp_gt_i32_e64 s0, s29, v114
	v_cmp_gt_i32_e64 s1, s16, v115
	s_wait_loadcnt 0x0
	s_delay_alu instid0(VALU_DEP_2) | instskip(SKIP_1) | instid1(VALU_DEP_2)
	v_dual_lshrrev_b32 v86, 16, v90 :: v_dual_cndmask_b32 v87, 0, v90, s0
	v_cmp_gt_i32_e64 s0, s16, v112
	v_cndmask_b32_e64 v86, 0, v86, s1
	v_cmp_gt_i32_e64 s1, s29, v113
	s_delay_alu instid0(VALU_DEP_2) | instskip(NEXT) | instid1(VALU_DEP_2)
	v_perm_b32 v90, v86, v87, 0x5040100
	v_dual_lshrrev_b32 v87, 16, v91 :: v_dual_cndmask_b32 v86, 0, v91, s1
	v_cmp_gt_i32_e64 s1, s29, v111
	s_delay_alu instid0(VALU_DEP_2) | instskip(SKIP_1) | instid1(VALU_DEP_2)
	v_cndmask_b32_e64 v87, 0, v87, s0
	v_cmp_gt_i32_e64 s0, s16, v110
	v_perm_b32 v91, v87, v86, 0x5040100
	s_delay_alu instid0(VALU_DEP_4) | instskip(SKIP_1) | instid1(VALU_DEP_2)
	v_dual_lshrrev_b32 v87, 16, v92 :: v_dual_cndmask_b32 v86, 0, v92, s1
	v_cmp_gt_i32_e64 s1, s29, v45
	v_cndmask_b32_e64 v87, 0, v87, s0
	v_cmp_gt_i32_e64 s0, s16, v44
	s_delay_alu instid0(VALU_DEP_2) | instskip(NEXT) | instid1(VALU_DEP_4)
	v_perm_b32 v92, v87, v86, 0x5040100
	v_dual_lshrrev_b32 v87, 16, v93 :: v_dual_cndmask_b32 v86, 0, v93, s1
	s_delay_alu instid0(VALU_DEP_1) | instskip(NEXT) | instid1(VALU_DEP_1)
	v_cndmask_b32_e64 v87, 0, v87, s0
	v_perm_b32 v93, v87, v86, 0x5040100
	s_or_b32 exec_lo, exec_lo, s19
	global_load_b128 v[94:97], v[40:41], off offset:10240
	s_wait_xcnt 0x0
	s_and_saveexec_b32 s19, vcc_lo
	s_cbranch_execz .LBB151_67
.LBB151_90:                             ;   in Loop: Header=BB151_45 Depth=1
	v_cmp_gt_i32_e64 s0, s29, v114
	v_cmp_gt_i32_e64 s1, s16, v115
	s_wait_loadcnt 0x0
	s_delay_alu instid0(VALU_DEP_2) | instskip(SKIP_1) | instid1(VALU_DEP_2)
	v_dual_lshrrev_b32 v86, 16, v94 :: v_dual_cndmask_b32 v87, 0, v94, s0
	v_cmp_gt_i32_e64 s0, s16, v112
	v_cndmask_b32_e64 v86, 0, v86, s1
	v_cmp_gt_i32_e64 s1, s29, v113
	s_delay_alu instid0(VALU_DEP_2) | instskip(NEXT) | instid1(VALU_DEP_2)
	v_perm_b32 v94, v86, v87, 0x5040100
	v_dual_lshrrev_b32 v87, 16, v95 :: v_dual_cndmask_b32 v86, 0, v95, s1
	v_cmp_gt_i32_e64 s1, s29, v111
	s_delay_alu instid0(VALU_DEP_2) | instskip(SKIP_1) | instid1(VALU_DEP_2)
	v_cndmask_b32_e64 v87, 0, v87, s0
	v_cmp_gt_i32_e64 s0, s16, v110
	v_perm_b32 v95, v87, v86, 0x5040100
	s_delay_alu instid0(VALU_DEP_4) | instskip(SKIP_1) | instid1(VALU_DEP_2)
	v_dual_lshrrev_b32 v87, 16, v96 :: v_dual_cndmask_b32 v86, 0, v96, s1
	v_cmp_gt_i32_e64 s1, s29, v45
	v_cndmask_b32_e64 v87, 0, v87, s0
	v_cmp_gt_i32_e64 s0, s16, v44
	s_delay_alu instid0(VALU_DEP_2) | instskip(NEXT) | instid1(VALU_DEP_4)
	v_perm_b32 v96, v87, v86, 0x5040100
	v_dual_lshrrev_b32 v87, 16, v97 :: v_dual_cndmask_b32 v86, 0, v97, s1
	s_delay_alu instid0(VALU_DEP_1) | instskip(NEXT) | instid1(VALU_DEP_1)
	v_cndmask_b32_e64 v87, 0, v87, s0
	v_perm_b32 v97, v87, v86, 0x5040100
	s_or_b32 exec_lo, exec_lo, s19
	global_load_b128 v[98:101], v[40:41], off offset:10752
	s_wait_xcnt 0x0
	s_and_saveexec_b32 s19, vcc_lo
	s_cbranch_execz .LBB151_68
.LBB151_91:                             ;   in Loop: Header=BB151_45 Depth=1
	v_cmp_gt_i32_e64 s0, s29, v114
	v_cmp_gt_i32_e64 s1, s16, v115
	s_wait_loadcnt 0x0
	s_delay_alu instid0(VALU_DEP_2) | instskip(SKIP_1) | instid1(VALU_DEP_2)
	v_dual_lshrrev_b32 v86, 16, v98 :: v_dual_cndmask_b32 v87, 0, v98, s0
	v_cmp_gt_i32_e64 s0, s16, v112
	v_cndmask_b32_e64 v86, 0, v86, s1
	v_cmp_gt_i32_e64 s1, s29, v113
	s_delay_alu instid0(VALU_DEP_2) | instskip(NEXT) | instid1(VALU_DEP_2)
	v_perm_b32 v98, v86, v87, 0x5040100
	v_dual_lshrrev_b32 v87, 16, v99 :: v_dual_cndmask_b32 v86, 0, v99, s1
	v_cmp_gt_i32_e64 s1, s29, v111
	s_delay_alu instid0(VALU_DEP_2) | instskip(SKIP_1) | instid1(VALU_DEP_2)
	v_cndmask_b32_e64 v87, 0, v87, s0
	v_cmp_gt_i32_e64 s0, s16, v110
	v_perm_b32 v99, v87, v86, 0x5040100
	s_delay_alu instid0(VALU_DEP_4) | instskip(SKIP_1) | instid1(VALU_DEP_2)
	v_dual_lshrrev_b32 v87, 16, v100 :: v_dual_cndmask_b32 v86, 0, v100, s1
	v_cmp_gt_i32_e64 s1, s29, v45
	v_cndmask_b32_e64 v87, 0, v87, s0
	v_cmp_gt_i32_e64 s0, s16, v44
	s_delay_alu instid0(VALU_DEP_2) | instskip(NEXT) | instid1(VALU_DEP_4)
	v_perm_b32 v100, v87, v86, 0x5040100
	v_dual_lshrrev_b32 v87, 16, v101 :: v_dual_cndmask_b32 v86, 0, v101, s1
	s_delay_alu instid0(VALU_DEP_1) | instskip(NEXT) | instid1(VALU_DEP_1)
	v_cndmask_b32_e64 v87, 0, v87, s0
	v_perm_b32 v101, v87, v86, 0x5040100
	s_or_b32 exec_lo, exec_lo, s19
	global_load_b128 v[102:105], v[40:41], off offset:11264
	s_wait_xcnt 0x0
	s_and_saveexec_b32 s19, vcc_lo
	s_cbranch_execz .LBB151_69
.LBB151_92:                             ;   in Loop: Header=BB151_45 Depth=1
	v_cmp_gt_i32_e64 s0, s29, v114
	v_cmp_gt_i32_e64 s1, s16, v115
	s_wait_loadcnt 0x0
	s_delay_alu instid0(VALU_DEP_2) | instskip(SKIP_1) | instid1(VALU_DEP_2)
	v_dual_lshrrev_b32 v86, 16, v102 :: v_dual_cndmask_b32 v87, 0, v102, s0
	v_cmp_gt_i32_e64 s0, s16, v112
	v_cndmask_b32_e64 v86, 0, v86, s1
	v_cmp_gt_i32_e64 s1, s29, v113
	s_delay_alu instid0(VALU_DEP_2) | instskip(NEXT) | instid1(VALU_DEP_2)
	v_perm_b32 v102, v86, v87, 0x5040100
	v_dual_lshrrev_b32 v87, 16, v103 :: v_dual_cndmask_b32 v86, 0, v103, s1
	v_cmp_gt_i32_e64 s1, s29, v111
	s_delay_alu instid0(VALU_DEP_2) | instskip(SKIP_1) | instid1(VALU_DEP_2)
	v_cndmask_b32_e64 v87, 0, v87, s0
	v_cmp_gt_i32_e64 s0, s16, v110
	v_perm_b32 v103, v87, v86, 0x5040100
	s_delay_alu instid0(VALU_DEP_4) | instskip(SKIP_1) | instid1(VALU_DEP_2)
	v_dual_lshrrev_b32 v87, 16, v104 :: v_dual_cndmask_b32 v86, 0, v104, s1
	v_cmp_gt_i32_e64 s1, s29, v45
	v_cndmask_b32_e64 v87, 0, v87, s0
	v_cmp_gt_i32_e64 s0, s16, v44
	s_delay_alu instid0(VALU_DEP_2) | instskip(NEXT) | instid1(VALU_DEP_4)
	v_perm_b32 v104, v87, v86, 0x5040100
	v_dual_lshrrev_b32 v87, 16, v105 :: v_dual_cndmask_b32 v86, 0, v105, s1
	s_delay_alu instid0(VALU_DEP_1) | instskip(NEXT) | instid1(VALU_DEP_1)
	v_cndmask_b32_e64 v87, 0, v87, s0
	v_perm_b32 v105, v87, v86, 0x5040100
	s_or_b32 exec_lo, exec_lo, s19
	global_load_b128 v[86:89], v[40:41], off offset:11776
	s_wait_xcnt 0x0
	s_and_saveexec_b32 s1, vcc_lo
	s_cbranch_execz .LBB151_43
.LBB151_93:                             ;   in Loop: Header=BB151_45 Depth=1
	v_cmp_gt_i32_e32 vcc_lo, s29, v114
	v_cmp_gt_i32_e64 s0, s16, v115
	s_wait_loadcnt 0x0
	v_dual_cndmask_b32 v41, 0, v86 :: v_dual_lshrrev_b32 v40, 16, v86
	v_cmp_gt_i32_e32 vcc_lo, s16, v112
	s_delay_alu instid0(VALU_DEP_2) | instskip(SKIP_1) | instid1(VALU_DEP_2)
	v_cndmask_b32_e64 v40, 0, v40, s0
	v_cmp_gt_i32_e64 s0, s29, v113
	v_perm_b32 v86, v40, v41, 0x5040100
	s_delay_alu instid0(VALU_DEP_2) | instskip(SKIP_1) | instid1(VALU_DEP_2)
	v_dual_lshrrev_b32 v41, 16, v87 :: v_dual_cndmask_b32 v40, 0, v87, s0
	v_cmp_gt_i32_e64 s0, s29, v111
	v_cndmask_b32_e32 v41, 0, v41, vcc_lo
	v_cmp_gt_i32_e32 vcc_lo, s16, v110
	s_delay_alu instid0(VALU_DEP_2) | instskip(NEXT) | instid1(VALU_DEP_4)
	v_perm_b32 v87, v41, v40, 0x5040100
	v_dual_cndmask_b32 v40, 0, v88, s0 :: v_dual_lshrrev_b32 v41, 16, v88
	v_cmp_gt_i32_e64 s0, s29, v45
	s_delay_alu instid0(VALU_DEP_2) | instskip(SKIP_1) | instid1(VALU_DEP_2)
	v_cndmask_b32_e32 v41, 0, v41, vcc_lo
	v_cmp_gt_i32_e32 vcc_lo, s16, v44
	v_perm_b32 v88, v41, v40, 0x5040100
	s_delay_alu instid0(VALU_DEP_4) | instskip(NEXT) | instid1(VALU_DEP_1)
	v_dual_cndmask_b32 v40, 0, v89, s0 :: v_dual_lshrrev_b32 v41, 16, v89
	v_cndmask_b32_e32 v41, 0, v41, vcc_lo
	s_delay_alu instid0(VALU_DEP_1)
	v_perm_b32 v89, v41, v40, 0x5040100
	s_branch .LBB151_43
.LBB151_94:
	s_or_b32 exec_lo, exec_lo, s17
	s_clause 0x2
	scratch_load_b32 v25, off, off offset:84
	scratch_load_b32 v24, off, off offset:92
	;; [unrolled: 1-line block ×3, first 2 shown]
.LBB151_95:
	s_wait_xcnt 0x0
	s_or_b32 exec_lo, exec_lo, s24
	s_wait_loadcnt 0x1
	ds_bpermute_b32 v2, v24, v0
	ds_bpermute_b32 v3, v24, v1
	;; [unrolled: 1-line block ×20, first 2 shown]
	s_mov_b32 s0, exec_lo
	s_wait_dscnt 0x12
	v_pk_add_f32 v[0:1], v[0:1], v[2:3]
	ds_bpermute_b32 v2, v24, v80
	s_wait_dscnt 0x11
	v_pk_add_f32 v[4:5], v[108:109], v[4:5]
	ds_bpermute_b32 v3, v24, v81
	;; [unrolled: 3-line block ×4, first 2 shown]
	ds_bpermute_b32 v26, v25, v4
	ds_bpermute_b32 v27, v25, v5
	;; [unrolled: 1-line block ×6, first 2 shown]
	s_wait_dscnt 0x14
	v_pk_add_f32 v[46:47], v[94:95], v[20:21]
	s_wait_dscnt 0x12
	v_pk_add_f32 v[32:33], v[120:121], v[12:13]
	ds_bpermute_b32 v12, v24, v104
	ds_bpermute_b32 v13, v24, v105
	s_wait_dscnt 0x12
	v_pk_add_f32 v[6:7], v[126:127], v[6:7]
	s_wait_dscnt 0x10
	v_pk_add_f32 v[10:11], v[122:123], v[10:11]
	;; [unrolled: 2-line block ×4, first 2 shown]
	ds_bpermute_b32 v38, v25, v32
	s_wait_dscnt 0xb
	v_pk_add_f32 v[2:3], v[80:81], v[2:3]
	ds_bpermute_b32 v28, v25, v6
	ds_bpermute_b32 v29, v25, v7
	;; [unrolled: 1-line block ×3, first 2 shown]
	s_wait_dscnt 0xc
	v_pk_add_f32 v[20:21], v[0:1], v[18:19]
	ds_bpermute_b32 v35, v25, v11
	s_wait_dscnt 0xb
	v_pk_add_f32 v[18:19], v[4:5], v[26:27]
	scratch_load_b32 v26, off, off offset:64 ; 4-byte Folded Reload
	s_wait_dscnt 0x9
	v_pk_add_f32 v[14:15], v[8:9], v[30:31]
	ds_bpermute_b32 v39, v25, v33
	s_wait_dscnt 0x8
	v_pk_add_f32 v[8:9], v[36:37], v[42:43]
	scratch_load_b32 v36, off, off offset:596 ; 4-byte Folded Reload
	ds_bpermute_b32 v44, v25, v40
	ds_bpermute_b32 v45, v25, v41
	;; [unrolled: 1-line block ×8, first 2 shown]
	s_wait_dscnt 0xe
	v_pk_add_f32 v[22:23], v[104:105], v[12:13]
	s_wait_storecnt 0x0
	s_wait_loadcnt_dscnt 0x0
	v_pk_add_f32 v[16:17], v[6:7], v[28:29]
	s_barrier_signal -1
	s_barrier_wait -1
	ds_bpermute_b32 v24, v25, v22
	ds_bpermute_b32 v25, v25, v23
	v_pk_add_f32 v[12:13], v[10:11], v[34:35]
	s_wait_dscnt 0x0
	v_pk_add_f32 v[10:11], v[32:33], v[38:39]
	v_pk_add_f32 v[6:7], v[40:41], v[44:45]
	;; [unrolled: 1-line block ×5, first 2 shown]
	v_and_b32_e32 v26, 28, v26
	v_and_b32_e32 v27, 0x3c3, v36
	s_delay_alu instid0(VALU_DEP_1) | instskip(SKIP_1) | instid1(SALU_CYCLE_1)
	v_cmpx_ne_u32_e32 64, v27
	s_xor_b32 s0, exec_lo, s0
	s_or_saveexec_b32 s0, s0
	v_pk_add_f32 v[22:23], v[22:23], v[24:25]
	scratch_load_b32 v24, off, off offset:64 th:TH_LOAD_LU ; 4-byte Folded Reload
	v_add_nc_u32_e32 v25, 0x1a0, v26
	scratch_load_b32 v26, off, off offset:592 th:TH_LOAD_LU ; 4-byte Folded Reload
	s_wait_loadcnt 0x1
	v_lshrrev_b32_e32 v24, 2, v24
	s_wait_loadcnt 0x0
	v_mul_u32_u24_e32 v26, 0x300, v26
	s_xor_b32 exec_lo, exec_lo, s0
	s_cbranch_execz .LBB151_97
; %bb.96:
	s_delay_alu instid0(VALU_DEP_1) | instskip(NEXT) | instid1(VALU_DEP_1)
	v_add_nc_u32_e32 v27, v25, v26
	v_add_nc_u32_e32 v28, 0xfffffa00, v27
	;; [unrolled: 1-line block ×9, first 2 shown]
	ds_store_b32 v28, v20
	ds_store_b32 v29, v21
	;; [unrolled: 1-line block ×8, first 2 shown]
	v_add_nc_u32_e32 v28, 0xfffffb00, v27
	v_add_nc_u32_e32 v29, 0xfffffb20, v27
	;; [unrolled: 1-line block ×8, first 2 shown]
	ds_store_b32 v28, v12
	ds_store_b32 v29, v13
	;; [unrolled: 1-line block ×8, first 2 shown]
	v_add_nc_u32_e32 v28, 0xfffffc00, v27
	v_add_nc_u32_e32 v29, 0xfffffc20, v27
	;; [unrolled: 1-line block ×8, first 2 shown]
	ds_store_b32 v28, v4
	ds_store_b32 v29, v5
	;; [unrolled: 1-line block ×8, first 2 shown]
.LBB151_97:
	s_or_b32 exec_lo, exec_lo, s0
	v_lshlrev_b32_e32 v24, 2, v24
	s_mov_b32 s1, exec_lo
	v_cmp_eq_u32_e32 vcc_lo, 0, v56
	s_wait_dscnt 0x0
	s_barrier_signal -1
	v_add3_u32 v24, 0x1a0, v26, v24
	s_barrier_wait -1
	v_cmpx_gt_u32_e32 64, v36
	s_cbranch_execz .LBB151_124
; %bb.98:
	s_and_saveexec_b32 s0, vcc_lo
	s_cbranch_execnz .LBB151_156
; %bb.99:
	s_or_b32 exec_lo, exec_lo, s0
	s_and_saveexec_b32 s0, vcc_lo
	s_cbranch_execnz .LBB151_157
.LBB151_100:
	s_or_b32 exec_lo, exec_lo, s0
	s_and_saveexec_b32 s0, vcc_lo
	s_cbranch_execnz .LBB151_158
.LBB151_101:
	s_or_b32 exec_lo, exec_lo, s0
	s_and_saveexec_b32 s0, vcc_lo
	s_cbranch_execnz .LBB151_159
.LBB151_102:
	s_or_b32 exec_lo, exec_lo, s0
	s_and_saveexec_b32 s0, vcc_lo
	s_cbranch_execnz .LBB151_160
.LBB151_103:
	s_or_b32 exec_lo, exec_lo, s0
	s_and_saveexec_b32 s0, vcc_lo
	s_cbranch_execnz .LBB151_161
.LBB151_104:
	s_or_b32 exec_lo, exec_lo, s0
	s_and_saveexec_b32 s0, vcc_lo
	s_cbranch_execnz .LBB151_162
.LBB151_105:
	s_or_b32 exec_lo, exec_lo, s0
	s_and_saveexec_b32 s0, vcc_lo
	s_cbranch_execnz .LBB151_163
.LBB151_106:
	s_or_b32 exec_lo, exec_lo, s0
	s_and_saveexec_b32 s0, vcc_lo
	s_cbranch_execnz .LBB151_164
.LBB151_107:
	s_or_b32 exec_lo, exec_lo, s0
	s_and_saveexec_b32 s0, vcc_lo
	s_cbranch_execnz .LBB151_165
.LBB151_108:
	s_or_b32 exec_lo, exec_lo, s0
	s_and_saveexec_b32 s0, vcc_lo
	s_cbranch_execnz .LBB151_166
.LBB151_109:
	s_or_b32 exec_lo, exec_lo, s0
	s_and_saveexec_b32 s0, vcc_lo
	s_cbranch_execnz .LBB151_167
.LBB151_110:
	s_or_b32 exec_lo, exec_lo, s0
	s_and_saveexec_b32 s0, vcc_lo
	s_cbranch_execnz .LBB151_168
.LBB151_111:
	s_or_b32 exec_lo, exec_lo, s0
	s_and_saveexec_b32 s0, vcc_lo
	s_cbranch_execnz .LBB151_169
.LBB151_112:
	s_or_b32 exec_lo, exec_lo, s0
	s_and_saveexec_b32 s0, vcc_lo
	s_cbranch_execnz .LBB151_170
.LBB151_113:
	s_or_b32 exec_lo, exec_lo, s0
	s_and_saveexec_b32 s0, vcc_lo
	s_cbranch_execnz .LBB151_171
.LBB151_114:
	s_or_b32 exec_lo, exec_lo, s0
	s_and_saveexec_b32 s0, vcc_lo
	s_cbranch_execnz .LBB151_172
.LBB151_115:
	s_or_b32 exec_lo, exec_lo, s0
	s_and_saveexec_b32 s0, vcc_lo
	s_cbranch_execnz .LBB151_173
.LBB151_116:
	s_or_b32 exec_lo, exec_lo, s0
	s_and_saveexec_b32 s0, vcc_lo
	s_cbranch_execnz .LBB151_174
.LBB151_117:
	s_or_b32 exec_lo, exec_lo, s0
	s_and_saveexec_b32 s0, vcc_lo
	s_cbranch_execnz .LBB151_175
.LBB151_118:
	s_or_b32 exec_lo, exec_lo, s0
	s_and_saveexec_b32 s0, vcc_lo
	s_cbranch_execnz .LBB151_176
.LBB151_119:
	s_or_b32 exec_lo, exec_lo, s0
	s_and_saveexec_b32 s0, vcc_lo
	s_cbranch_execnz .LBB151_177
.LBB151_120:
	s_or_b32 exec_lo, exec_lo, s0
	s_and_saveexec_b32 s0, vcc_lo
	s_cbranch_execnz .LBB151_178
.LBB151_121:
	s_or_b32 exec_lo, exec_lo, s0
	s_and_saveexec_b32 s0, vcc_lo
	s_cbranch_execz .LBB151_123
.LBB151_122:
	ds_load_b32 v26, v24 offset:736
	s_wait_dscnt 0x0
	v_add_f32_e32 v23, v23, v26
.LBB151_123:
	s_or_b32 exec_lo, exec_lo, s0
.LBB151_124:
	s_delay_alu instid0(SALU_CYCLE_1) | instskip(SKIP_4) | instid1(VALU_DEP_1)
	s_or_b32 exec_lo, exec_lo, s1
	v_and_b32_e32 v26, 0x3e3, v36
	s_mov_b32 s1, exec_lo
	s_barrier_signal -1
	s_barrier_wait -1
	v_cmpx_eq_u32_e32 32, v26
	s_cbranch_execz .LBB151_126
; %bb.125:
	ds_store_2addr_b32 v25, v20, v21 offset1:8
	ds_store_2addr_b32 v25, v18, v19 offset0:16 offset1:24
	ds_store_2addr_b32 v25, v16, v17 offset0:32 offset1:40
	;; [unrolled: 1-line block ×11, first 2 shown]
.LBB151_126:
	s_or_b32 exec_lo, exec_lo, s1
	s_delay_alu instid0(SALU_CYCLE_1)
	s_mov_b32 s1, exec_lo
	s_wait_dscnt 0x0
	s_barrier_signal -1
	s_barrier_wait -1
	v_cmpx_gt_u32_e32 32, v36
	s_cbranch_execz .LBB151_153
; %bb.127:
	s_and_saveexec_b32 s0, vcc_lo
	s_cbranch_execnz .LBB151_179
; %bb.128:
	s_or_b32 exec_lo, exec_lo, s0
	s_and_saveexec_b32 s0, vcc_lo
	s_cbranch_execnz .LBB151_180
.LBB151_129:
	s_or_b32 exec_lo, exec_lo, s0
	s_and_saveexec_b32 s0, vcc_lo
	s_cbranch_execnz .LBB151_181
.LBB151_130:
	s_or_b32 exec_lo, exec_lo, s0
	s_and_saveexec_b32 s0, vcc_lo
	s_cbranch_execnz .LBB151_182
.LBB151_131:
	s_or_b32 exec_lo, exec_lo, s0
	s_and_saveexec_b32 s0, vcc_lo
	s_cbranch_execnz .LBB151_183
.LBB151_132:
	s_or_b32 exec_lo, exec_lo, s0
	s_and_saveexec_b32 s0, vcc_lo
	s_cbranch_execnz .LBB151_184
.LBB151_133:
	s_or_b32 exec_lo, exec_lo, s0
	s_and_saveexec_b32 s0, vcc_lo
	s_cbranch_execnz .LBB151_185
.LBB151_134:
	s_or_b32 exec_lo, exec_lo, s0
	s_and_saveexec_b32 s0, vcc_lo
	s_cbranch_execnz .LBB151_186
.LBB151_135:
	s_or_b32 exec_lo, exec_lo, s0
	s_and_saveexec_b32 s0, vcc_lo
	s_cbranch_execnz .LBB151_187
.LBB151_136:
	s_or_b32 exec_lo, exec_lo, s0
	s_and_saveexec_b32 s0, vcc_lo
	s_cbranch_execnz .LBB151_188
.LBB151_137:
	s_or_b32 exec_lo, exec_lo, s0
	s_and_saveexec_b32 s0, vcc_lo
	s_cbranch_execnz .LBB151_189
.LBB151_138:
	s_or_b32 exec_lo, exec_lo, s0
	s_and_saveexec_b32 s0, vcc_lo
	s_cbranch_execnz .LBB151_190
.LBB151_139:
	s_or_b32 exec_lo, exec_lo, s0
	s_and_saveexec_b32 s0, vcc_lo
	s_cbranch_execnz .LBB151_191
.LBB151_140:
	s_or_b32 exec_lo, exec_lo, s0
	s_and_saveexec_b32 s0, vcc_lo
	s_cbranch_execnz .LBB151_192
.LBB151_141:
	s_or_b32 exec_lo, exec_lo, s0
	s_and_saveexec_b32 s0, vcc_lo
	s_cbranch_execnz .LBB151_193
.LBB151_142:
	s_or_b32 exec_lo, exec_lo, s0
	s_and_saveexec_b32 s0, vcc_lo
	s_cbranch_execnz .LBB151_194
.LBB151_143:
	s_or_b32 exec_lo, exec_lo, s0
	s_and_saveexec_b32 s0, vcc_lo
	s_cbranch_execnz .LBB151_195
.LBB151_144:
	s_or_b32 exec_lo, exec_lo, s0
	s_and_saveexec_b32 s0, vcc_lo
	s_cbranch_execnz .LBB151_196
.LBB151_145:
	s_or_b32 exec_lo, exec_lo, s0
	s_and_saveexec_b32 s0, vcc_lo
	s_cbranch_execnz .LBB151_197
.LBB151_146:
	s_or_b32 exec_lo, exec_lo, s0
	s_and_saveexec_b32 s0, vcc_lo
	s_cbranch_execnz .LBB151_198
.LBB151_147:
	s_or_b32 exec_lo, exec_lo, s0
	s_and_saveexec_b32 s0, vcc_lo
	s_cbranch_execnz .LBB151_199
.LBB151_148:
	s_or_b32 exec_lo, exec_lo, s0
	s_and_saveexec_b32 s0, vcc_lo
	s_cbranch_execnz .LBB151_200
.LBB151_149:
	s_or_b32 exec_lo, exec_lo, s0
	s_and_saveexec_b32 s0, vcc_lo
	s_cbranch_execnz .LBB151_201
.LBB151_150:
	s_or_b32 exec_lo, exec_lo, s0
	s_and_saveexec_b32 s0, vcc_lo
	s_cbranch_execz .LBB151_152
.LBB151_151:
	ds_load_b32 v24, v24 offset:736
	s_wait_dscnt 0x0
	v_add_f32_e32 v23, v23, v24
.LBB151_152:
	s_or_b32 exec_lo, exec_lo, s0
.LBB151_153:
	s_delay_alu instid0(SALU_CYCLE_1)
	s_or_b32 exec_lo, exec_lo, s1
	s_mov_b32 s1, 0
	s_barrier_signal -1
	s_barrier_wait -1
	s_mov_b32 s0, exec_lo
	v_cmpx_eq_u32_e32 0, v26
	s_cbranch_execz .LBB151_155
; %bb.154:
	s_mul_i32 s0, s28, s7
	s_mul_i32 s2, s7, s12
	;; [unrolled: 1-line block ×3, first 2 shown]
	s_lshr_b32 s6, ttmp7, 16
	s_mul_i32 s4, s0, 0xc0
	s_bfe_u32 s0, ttmp6, 0x40014
	s_ashr_i32 s5, s4, 31
	s_add_co_i32 s0, s0, 1
	s_ashr_i32 s3, s2, 31
	s_mul_i32 s0, s6, s0
	s_bfe_u32 s7, ttmp6, 0x40008
	s_lshl_b64 s[4:5], s[4:5], 1
	s_lshl_b64 s[2:3], s[2:3], 1
	s_add_co_i32 s7, s7, s0
	s_cmp_eq_u32 s26, 0
	s_wait_kmcnt 0x0
	s_add_nc_u64 s[4:5], s[10:11], s[4:5]
	s_cselect_b32 s0, s6, s7
	s_add_nc_u64 s[2:3], s[4:5], s[2:3]
	s_mulk_i32 s0, 0x180
	v_lshrrev_b32_e32 v24, 1, v36
	s_add_nc_u64 s[0:1], s[2:3], s[0:1]
	s_delay_alu instid0(SALU_CYCLE_1)
	v_cvt_pk_bf16_f32 v20, v20, s0
	v_cvt_pk_bf16_f32 v12, v12, s0
	;; [unrolled: 1-line block ×20, first 2 shown]
	s_clause 0x7
	global_store_b16 v24, v20, s[0:1]
	global_store_b16 v24, v21, s[0:1] offset:16
	global_store_b16 v24, v18, s[0:1] offset:32
	;; [unrolled: 1-line block ×7, first 2 shown]
	v_cvt_pk_bf16_f32 v9, v9, s0
	s_clause 0x7
	global_store_b16 v24, v12, s[0:1] offset:128
	global_store_b16 v24, v13, s[0:1] offset:144
	;; [unrolled: 1-line block ×8, first 2 shown]
	v_cvt_pk_bf16_f32 v1, v1, s0
	s_wait_xcnt 0x1
	v_cvt_pk_bf16_f32 v6, v22, s0
	s_wait_xcnt 0x0
	v_cvt_pk_bf16_f32 v7, v23, s0
	s_clause 0x7
	global_store_b16 v24, v4, s[0:1] offset:256
	global_store_b16 v24, v5, s[0:1] offset:272
	;; [unrolled: 1-line block ×8, first 2 shown]
.LBB151_155:
	s_sendmsg sendmsg(MSG_DEALLOC_VGPRS)
	s_endpgm
.LBB151_156:
	ds_load_b32 v26, v24
	s_wait_dscnt 0x0
	v_add_f32_e32 v20, v20, v26
	s_or_b32 exec_lo, exec_lo, s0
	s_and_saveexec_b32 s0, vcc_lo
	s_cbranch_execz .LBB151_100
.LBB151_157:
	ds_load_b32 v26, v24 offset:32
	s_wait_dscnt 0x0
	v_add_f32_e32 v21, v21, v26
	s_or_b32 exec_lo, exec_lo, s0
	s_and_saveexec_b32 s0, vcc_lo
	s_cbranch_execz .LBB151_101
.LBB151_158:
	ds_load_b32 v26, v24 offset:64
	s_wait_dscnt 0x0
	v_add_f32_e32 v18, v18, v26
	s_or_b32 exec_lo, exec_lo, s0
	s_and_saveexec_b32 s0, vcc_lo
	s_cbranch_execz .LBB151_102
.LBB151_159:
	ds_load_b32 v26, v24 offset:96
	s_wait_dscnt 0x0
	v_add_f32_e32 v19, v19, v26
	s_or_b32 exec_lo, exec_lo, s0
	s_and_saveexec_b32 s0, vcc_lo
	s_cbranch_execz .LBB151_103
.LBB151_160:
	ds_load_b32 v26, v24 offset:128
	s_wait_dscnt 0x0
	v_add_f32_e32 v16, v16, v26
	s_or_b32 exec_lo, exec_lo, s0
	s_and_saveexec_b32 s0, vcc_lo
	s_cbranch_execz .LBB151_104
.LBB151_161:
	ds_load_b32 v26, v24 offset:160
	s_wait_dscnt 0x0
	v_add_f32_e32 v17, v17, v26
	s_or_b32 exec_lo, exec_lo, s0
	s_and_saveexec_b32 s0, vcc_lo
	s_cbranch_execz .LBB151_105
.LBB151_162:
	ds_load_b32 v26, v24 offset:192
	s_wait_dscnt 0x0
	v_add_f32_e32 v14, v14, v26
	s_or_b32 exec_lo, exec_lo, s0
	s_and_saveexec_b32 s0, vcc_lo
	s_cbranch_execz .LBB151_106
.LBB151_163:
	ds_load_b32 v26, v24 offset:224
	s_wait_dscnt 0x0
	v_add_f32_e32 v15, v15, v26
	s_or_b32 exec_lo, exec_lo, s0
	s_and_saveexec_b32 s0, vcc_lo
	s_cbranch_execz .LBB151_107
.LBB151_164:
	ds_load_b32 v26, v24 offset:256
	s_wait_dscnt 0x0
	v_add_f32_e32 v12, v12, v26
	s_or_b32 exec_lo, exec_lo, s0
	s_and_saveexec_b32 s0, vcc_lo
	s_cbranch_execz .LBB151_108
.LBB151_165:
	ds_load_b32 v26, v24 offset:288
	s_wait_dscnt 0x0
	v_add_f32_e32 v13, v13, v26
	s_or_b32 exec_lo, exec_lo, s0
	s_and_saveexec_b32 s0, vcc_lo
	s_cbranch_execz .LBB151_109
.LBB151_166:
	ds_load_b32 v26, v24 offset:320
	s_wait_dscnt 0x0
	v_add_f32_e32 v10, v10, v26
	s_or_b32 exec_lo, exec_lo, s0
	s_and_saveexec_b32 s0, vcc_lo
	s_cbranch_execz .LBB151_110
.LBB151_167:
	ds_load_b32 v26, v24 offset:352
	s_wait_dscnt 0x0
	v_add_f32_e32 v11, v11, v26
	s_or_b32 exec_lo, exec_lo, s0
	s_and_saveexec_b32 s0, vcc_lo
	s_cbranch_execz .LBB151_111
.LBB151_168:
	ds_load_b32 v26, v24 offset:384
	s_wait_dscnt 0x0
	v_add_f32_e32 v8, v8, v26
	s_or_b32 exec_lo, exec_lo, s0
	s_and_saveexec_b32 s0, vcc_lo
	s_cbranch_execz .LBB151_112
.LBB151_169:
	ds_load_b32 v26, v24 offset:416
	s_wait_dscnt 0x0
	v_add_f32_e32 v9, v9, v26
	s_or_b32 exec_lo, exec_lo, s0
	s_and_saveexec_b32 s0, vcc_lo
	s_cbranch_execz .LBB151_113
.LBB151_170:
	ds_load_b32 v26, v24 offset:448
	s_wait_dscnt 0x0
	v_add_f32_e32 v6, v6, v26
	s_or_b32 exec_lo, exec_lo, s0
	s_and_saveexec_b32 s0, vcc_lo
	s_cbranch_execz .LBB151_114
.LBB151_171:
	ds_load_b32 v26, v24 offset:480
	s_wait_dscnt 0x0
	v_add_f32_e32 v7, v7, v26
	s_or_b32 exec_lo, exec_lo, s0
	s_and_saveexec_b32 s0, vcc_lo
	s_cbranch_execz .LBB151_115
.LBB151_172:
	ds_load_b32 v26, v24 offset:512
	s_wait_dscnt 0x0
	v_add_f32_e32 v4, v4, v26
	s_or_b32 exec_lo, exec_lo, s0
	s_and_saveexec_b32 s0, vcc_lo
	s_cbranch_execz .LBB151_116
.LBB151_173:
	ds_load_b32 v26, v24 offset:544
	s_wait_dscnt 0x0
	v_add_f32_e32 v5, v5, v26
	s_or_b32 exec_lo, exec_lo, s0
	s_and_saveexec_b32 s0, vcc_lo
	s_cbranch_execz .LBB151_117
.LBB151_174:
	ds_load_b32 v26, v24 offset:576
	s_wait_dscnt 0x0
	v_add_f32_e32 v2, v2, v26
	s_or_b32 exec_lo, exec_lo, s0
	s_and_saveexec_b32 s0, vcc_lo
	s_cbranch_execz .LBB151_118
.LBB151_175:
	ds_load_b32 v26, v24 offset:608
	s_wait_dscnt 0x0
	v_add_f32_e32 v3, v3, v26
	s_or_b32 exec_lo, exec_lo, s0
	s_and_saveexec_b32 s0, vcc_lo
	s_cbranch_execz .LBB151_119
.LBB151_176:
	ds_load_b32 v26, v24 offset:640
	s_wait_dscnt 0x0
	v_add_f32_e32 v0, v0, v26
	s_or_b32 exec_lo, exec_lo, s0
	s_and_saveexec_b32 s0, vcc_lo
	s_cbranch_execz .LBB151_120
.LBB151_177:
	ds_load_b32 v26, v24 offset:672
	s_wait_dscnt 0x0
	v_add_f32_e32 v1, v1, v26
	s_or_b32 exec_lo, exec_lo, s0
	s_and_saveexec_b32 s0, vcc_lo
	s_cbranch_execz .LBB151_121
.LBB151_178:
	ds_load_b32 v26, v24 offset:704
	s_wait_dscnt 0x0
	v_add_f32_e32 v22, v22, v26
	s_or_b32 exec_lo, exec_lo, s0
	s_and_saveexec_b32 s0, vcc_lo
	s_cbranch_execnz .LBB151_122
	s_branch .LBB151_123
.LBB151_179:
	ds_load_b32 v25, v24
	s_wait_dscnt 0x0
	v_add_f32_e32 v20, v20, v25
	s_or_b32 exec_lo, exec_lo, s0
	s_and_saveexec_b32 s0, vcc_lo
	s_cbranch_execz .LBB151_129
.LBB151_180:
	ds_load_b32 v25, v24 offset:32
	s_wait_dscnt 0x0
	v_add_f32_e32 v21, v21, v25
	s_or_b32 exec_lo, exec_lo, s0
	s_and_saveexec_b32 s0, vcc_lo
	s_cbranch_execz .LBB151_130
.LBB151_181:
	ds_load_b32 v25, v24 offset:64
	s_wait_dscnt 0x0
	v_add_f32_e32 v18, v18, v25
	s_or_b32 exec_lo, exec_lo, s0
	s_and_saveexec_b32 s0, vcc_lo
	s_cbranch_execz .LBB151_131
.LBB151_182:
	ds_load_b32 v25, v24 offset:96
	s_wait_dscnt 0x0
	v_add_f32_e32 v19, v19, v25
	s_or_b32 exec_lo, exec_lo, s0
	s_and_saveexec_b32 s0, vcc_lo
	s_cbranch_execz .LBB151_132
.LBB151_183:
	ds_load_b32 v25, v24 offset:128
	s_wait_dscnt 0x0
	v_add_f32_e32 v16, v16, v25
	s_or_b32 exec_lo, exec_lo, s0
	s_and_saveexec_b32 s0, vcc_lo
	s_cbranch_execz .LBB151_133
.LBB151_184:
	ds_load_b32 v25, v24 offset:160
	s_wait_dscnt 0x0
	v_add_f32_e32 v17, v17, v25
	s_or_b32 exec_lo, exec_lo, s0
	s_and_saveexec_b32 s0, vcc_lo
	s_cbranch_execz .LBB151_134
.LBB151_185:
	ds_load_b32 v25, v24 offset:192
	s_wait_dscnt 0x0
	v_add_f32_e32 v14, v14, v25
	s_or_b32 exec_lo, exec_lo, s0
	s_and_saveexec_b32 s0, vcc_lo
	s_cbranch_execz .LBB151_135
.LBB151_186:
	ds_load_b32 v25, v24 offset:224
	s_wait_dscnt 0x0
	v_add_f32_e32 v15, v15, v25
	s_or_b32 exec_lo, exec_lo, s0
	s_and_saveexec_b32 s0, vcc_lo
	s_cbranch_execz .LBB151_136
.LBB151_187:
	ds_load_b32 v25, v24 offset:256
	s_wait_dscnt 0x0
	v_add_f32_e32 v12, v12, v25
	s_or_b32 exec_lo, exec_lo, s0
	s_and_saveexec_b32 s0, vcc_lo
	s_cbranch_execz .LBB151_137
.LBB151_188:
	ds_load_b32 v25, v24 offset:288
	s_wait_dscnt 0x0
	v_add_f32_e32 v13, v13, v25
	s_or_b32 exec_lo, exec_lo, s0
	s_and_saveexec_b32 s0, vcc_lo
	s_cbranch_execz .LBB151_138
.LBB151_189:
	ds_load_b32 v25, v24 offset:320
	s_wait_dscnt 0x0
	v_add_f32_e32 v10, v10, v25
	s_or_b32 exec_lo, exec_lo, s0
	s_and_saveexec_b32 s0, vcc_lo
	s_cbranch_execz .LBB151_139
.LBB151_190:
	ds_load_b32 v25, v24 offset:352
	s_wait_dscnt 0x0
	v_add_f32_e32 v11, v11, v25
	s_or_b32 exec_lo, exec_lo, s0
	s_and_saveexec_b32 s0, vcc_lo
	s_cbranch_execz .LBB151_140
.LBB151_191:
	ds_load_b32 v25, v24 offset:384
	s_wait_dscnt 0x0
	v_add_f32_e32 v8, v8, v25
	s_or_b32 exec_lo, exec_lo, s0
	s_and_saveexec_b32 s0, vcc_lo
	s_cbranch_execz .LBB151_141
.LBB151_192:
	ds_load_b32 v25, v24 offset:416
	s_wait_dscnt 0x0
	v_add_f32_e32 v9, v9, v25
	s_or_b32 exec_lo, exec_lo, s0
	s_and_saveexec_b32 s0, vcc_lo
	s_cbranch_execz .LBB151_142
.LBB151_193:
	ds_load_b32 v25, v24 offset:448
	s_wait_dscnt 0x0
	v_add_f32_e32 v6, v6, v25
	s_or_b32 exec_lo, exec_lo, s0
	s_and_saveexec_b32 s0, vcc_lo
	s_cbranch_execz .LBB151_143
.LBB151_194:
	ds_load_b32 v25, v24 offset:480
	s_wait_dscnt 0x0
	v_add_f32_e32 v7, v7, v25
	s_or_b32 exec_lo, exec_lo, s0
	s_and_saveexec_b32 s0, vcc_lo
	s_cbranch_execz .LBB151_144
.LBB151_195:
	ds_load_b32 v25, v24 offset:512
	s_wait_dscnt 0x0
	v_add_f32_e32 v4, v4, v25
	s_or_b32 exec_lo, exec_lo, s0
	s_and_saveexec_b32 s0, vcc_lo
	s_cbranch_execz .LBB151_145
.LBB151_196:
	ds_load_b32 v25, v24 offset:544
	s_wait_dscnt 0x0
	v_add_f32_e32 v5, v5, v25
	s_or_b32 exec_lo, exec_lo, s0
	s_and_saveexec_b32 s0, vcc_lo
	s_cbranch_execz .LBB151_146
.LBB151_197:
	ds_load_b32 v25, v24 offset:576
	s_wait_dscnt 0x0
	v_add_f32_e32 v2, v2, v25
	s_or_b32 exec_lo, exec_lo, s0
	s_and_saveexec_b32 s0, vcc_lo
	s_cbranch_execz .LBB151_147
.LBB151_198:
	ds_load_b32 v25, v24 offset:608
	s_wait_dscnt 0x0
	v_add_f32_e32 v3, v3, v25
	s_or_b32 exec_lo, exec_lo, s0
	s_and_saveexec_b32 s0, vcc_lo
	s_cbranch_execz .LBB151_148
.LBB151_199:
	ds_load_b32 v25, v24 offset:640
	s_wait_dscnt 0x0
	v_add_f32_e32 v0, v0, v25
	s_or_b32 exec_lo, exec_lo, s0
	s_and_saveexec_b32 s0, vcc_lo
	s_cbranch_execz .LBB151_149
.LBB151_200:
	ds_load_b32 v25, v24 offset:672
	s_wait_dscnt 0x0
	v_add_f32_e32 v1, v1, v25
	s_or_b32 exec_lo, exec_lo, s0
	s_and_saveexec_b32 s0, vcc_lo
	s_cbranch_execz .LBB151_150
.LBB151_201:
	ds_load_b32 v25, v24 offset:704
	s_wait_dscnt 0x0
	v_add_f32_e32 v22, v22, v25
	s_or_b32 exec_lo, exec_lo, s0
	s_and_saveexec_b32 s0, vcc_lo
	s_cbranch_execnz .LBB151_151
	s_branch .LBB151_152
	.section	.rodata,"a",@progbits
	.p2align	6, 0x0
	.amdhsa_kernel _ZN4vllm25paged_attention_v1_kernelI14__hip_bfloat16S1_Li192ELi32ELi128ELNS_18Fp8KVCacheDataTypeE0ELb1EEEvPT_PKS3_PKT0_S9_ifPKiSB_iPKfiiiSD_SD_iiiii
		.amdhsa_group_segment_fixed_size 416
		.amdhsa_private_segment_fixed_size 612
		.amdhsa_kernarg_size 384
		.amdhsa_user_sgpr_count 2
		.amdhsa_user_sgpr_dispatch_ptr 0
		.amdhsa_user_sgpr_queue_ptr 0
		.amdhsa_user_sgpr_kernarg_segment_ptr 1
		.amdhsa_user_sgpr_dispatch_id 0
		.amdhsa_user_sgpr_kernarg_preload_length 0
		.amdhsa_user_sgpr_kernarg_preload_offset 0
		.amdhsa_user_sgpr_private_segment_size 0
		.amdhsa_wavefront_size32 1
		.amdhsa_uses_dynamic_stack 0
		.amdhsa_enable_private_segment 1
		.amdhsa_system_sgpr_workgroup_id_x 1
		.amdhsa_system_sgpr_workgroup_id_y 1
		.amdhsa_system_sgpr_workgroup_id_z 1
		.amdhsa_system_sgpr_workgroup_info 0
		.amdhsa_system_vgpr_workitem_id 0
		.amdhsa_next_free_vgpr 128
		.amdhsa_next_free_sgpr 38
		.amdhsa_named_barrier_count 0
		.amdhsa_reserve_vcc 1
		.amdhsa_float_round_mode_32 0
		.amdhsa_float_round_mode_16_64 0
		.amdhsa_float_denorm_mode_32 3
		.amdhsa_float_denorm_mode_16_64 3
		.amdhsa_fp16_overflow 0
		.amdhsa_memory_ordered 1
		.amdhsa_forward_progress 1
		.amdhsa_inst_pref_size 190
		.amdhsa_round_robin_scheduling 0
		.amdhsa_exception_fp_ieee_invalid_op 0
		.amdhsa_exception_fp_denorm_src 0
		.amdhsa_exception_fp_ieee_div_zero 0
		.amdhsa_exception_fp_ieee_overflow 0
		.amdhsa_exception_fp_ieee_underflow 0
		.amdhsa_exception_fp_ieee_inexact 0
		.amdhsa_exception_int_div_zero 0
	.end_amdhsa_kernel
	.section	.text._ZN4vllm25paged_attention_v1_kernelI14__hip_bfloat16S1_Li192ELi32ELi128ELNS_18Fp8KVCacheDataTypeE0ELb1EEEvPT_PKS3_PKT0_S9_ifPKiSB_iPKfiiiSD_SD_iiiii,"axG",@progbits,_ZN4vllm25paged_attention_v1_kernelI14__hip_bfloat16S1_Li192ELi32ELi128ELNS_18Fp8KVCacheDataTypeE0ELb1EEEvPT_PKS3_PKT0_S9_ifPKiSB_iPKfiiiSD_SD_iiiii,comdat
.Lfunc_end151:
	.size	_ZN4vllm25paged_attention_v1_kernelI14__hip_bfloat16S1_Li192ELi32ELi128ELNS_18Fp8KVCacheDataTypeE0ELb1EEEvPT_PKS3_PKT0_S9_ifPKiSB_iPKfiiiSD_SD_iiiii, .Lfunc_end151-_ZN4vllm25paged_attention_v1_kernelI14__hip_bfloat16S1_Li192ELi32ELi128ELNS_18Fp8KVCacheDataTypeE0ELb1EEEvPT_PKS3_PKT0_S9_ifPKiSB_iPKfiiiSD_SD_iiiii
                                        ; -- End function
	.set _ZN4vllm25paged_attention_v1_kernelI14__hip_bfloat16S1_Li192ELi32ELi128ELNS_18Fp8KVCacheDataTypeE0ELb1EEEvPT_PKS3_PKT0_S9_ifPKiSB_iPKfiiiSD_SD_iiiii.num_vgpr, 128
	.set _ZN4vllm25paged_attention_v1_kernelI14__hip_bfloat16S1_Li192ELi32ELi128ELNS_18Fp8KVCacheDataTypeE0ELb1EEEvPT_PKS3_PKT0_S9_ifPKiSB_iPKfiiiSD_SD_iiiii.num_agpr, 0
	.set _ZN4vllm25paged_attention_v1_kernelI14__hip_bfloat16S1_Li192ELi32ELi128ELNS_18Fp8KVCacheDataTypeE0ELb1EEEvPT_PKS3_PKT0_S9_ifPKiSB_iPKfiiiSD_SD_iiiii.numbered_sgpr, 38
	.set _ZN4vllm25paged_attention_v1_kernelI14__hip_bfloat16S1_Li192ELi32ELi128ELNS_18Fp8KVCacheDataTypeE0ELb1EEEvPT_PKS3_PKT0_S9_ifPKiSB_iPKfiiiSD_SD_iiiii.num_named_barrier, 0
	.set _ZN4vllm25paged_attention_v1_kernelI14__hip_bfloat16S1_Li192ELi32ELi128ELNS_18Fp8KVCacheDataTypeE0ELb1EEEvPT_PKS3_PKT0_S9_ifPKiSB_iPKfiiiSD_SD_iiiii.private_seg_size, 612
	.set _ZN4vllm25paged_attention_v1_kernelI14__hip_bfloat16S1_Li192ELi32ELi128ELNS_18Fp8KVCacheDataTypeE0ELb1EEEvPT_PKS3_PKT0_S9_ifPKiSB_iPKfiiiSD_SD_iiiii.uses_vcc, 1
	.set _ZN4vllm25paged_attention_v1_kernelI14__hip_bfloat16S1_Li192ELi32ELi128ELNS_18Fp8KVCacheDataTypeE0ELb1EEEvPT_PKS3_PKT0_S9_ifPKiSB_iPKfiiiSD_SD_iiiii.uses_flat_scratch, 1
	.set _ZN4vllm25paged_attention_v1_kernelI14__hip_bfloat16S1_Li192ELi32ELi128ELNS_18Fp8KVCacheDataTypeE0ELb1EEEvPT_PKS3_PKT0_S9_ifPKiSB_iPKfiiiSD_SD_iiiii.has_dyn_sized_stack, 0
	.set _ZN4vllm25paged_attention_v1_kernelI14__hip_bfloat16S1_Li192ELi32ELi128ELNS_18Fp8KVCacheDataTypeE0ELb1EEEvPT_PKS3_PKT0_S9_ifPKiSB_iPKfiiiSD_SD_iiiii.has_recursion, 0
	.set _ZN4vllm25paged_attention_v1_kernelI14__hip_bfloat16S1_Li192ELi32ELi128ELNS_18Fp8KVCacheDataTypeE0ELb1EEEvPT_PKS3_PKT0_S9_ifPKiSB_iPKfiiiSD_SD_iiiii.has_indirect_call, 0
	.section	.AMDGPU.csdata,"",@progbits
; Kernel info:
; codeLenInByte = 24220
; TotalNumSgprs: 40
; NumVgprs: 128
; ScratchSize: 612
; MemoryBound: 0
; FloatMode: 240
; IeeeMode: 1
; LDSByteSize: 416 bytes/workgroup (compile time only)
; SGPRBlocks: 0
; VGPRBlocks: 7
; NumSGPRsForWavesPerEU: 40
; NumVGPRsForWavesPerEU: 128
; NamedBarCnt: 0
; Occupancy: 8
; WaveLimiterHint : 1
; COMPUTE_PGM_RSRC2:SCRATCH_EN: 1
; COMPUTE_PGM_RSRC2:USER_SGPR: 2
; COMPUTE_PGM_RSRC2:TRAP_HANDLER: 0
; COMPUTE_PGM_RSRC2:TGID_X_EN: 1
; COMPUTE_PGM_RSRC2:TGID_Y_EN: 1
; COMPUTE_PGM_RSRC2:TGID_Z_EN: 1
; COMPUTE_PGM_RSRC2:TIDIG_COMP_CNT: 0
	.section	.text._ZN4vllm25paged_attention_v1_kernelI14__hip_bfloat16S1_Li256ELi32ELi128ELNS_18Fp8KVCacheDataTypeE0ELb1EEEvPT_PKS3_PKT0_S9_ifPKiSB_iPKfiiiSD_SD_iiiii,"axG",@progbits,_ZN4vllm25paged_attention_v1_kernelI14__hip_bfloat16S1_Li256ELi32ELi128ELNS_18Fp8KVCacheDataTypeE0ELb1EEEvPT_PKS3_PKT0_S9_ifPKiSB_iPKfiiiSD_SD_iiiii,comdat
	.protected	_ZN4vllm25paged_attention_v1_kernelI14__hip_bfloat16S1_Li256ELi32ELi128ELNS_18Fp8KVCacheDataTypeE0ELb1EEEvPT_PKS3_PKT0_S9_ifPKiSB_iPKfiiiSD_SD_iiiii ; -- Begin function _ZN4vllm25paged_attention_v1_kernelI14__hip_bfloat16S1_Li256ELi32ELi128ELNS_18Fp8KVCacheDataTypeE0ELb1EEEvPT_PKS3_PKT0_S9_ifPKiSB_iPKfiiiSD_SD_iiiii
	.globl	_ZN4vllm25paged_attention_v1_kernelI14__hip_bfloat16S1_Li256ELi32ELi128ELNS_18Fp8KVCacheDataTypeE0ELb1EEEvPT_PKS3_PKT0_S9_ifPKiSB_iPKfiiiSD_SD_iiiii
	.p2align	8
	.type	_ZN4vllm25paged_attention_v1_kernelI14__hip_bfloat16S1_Li256ELi32ELi128ELNS_18Fp8KVCacheDataTypeE0ELb1EEEvPT_PKS3_PKT0_S9_ifPKiSB_iPKfiiiSD_SD_iiiii,@function
_ZN4vllm25paged_attention_v1_kernelI14__hip_bfloat16S1_Li256ELi32ELi128ELNS_18Fp8KVCacheDataTypeE0ELb1EEEvPT_PKS3_PKT0_S9_ifPKiSB_iPKfiiiSD_SD_iiiii: ; @_ZN4vllm25paged_attention_v1_kernelI14__hip_bfloat16S1_Li256ELi32ELi128ELNS_18Fp8KVCacheDataTypeE0ELb1EEEvPT_PKS3_PKT0_S9_ifPKiSB_iPKfiiiSD_SD_iiiii
; %bb.0:
	s_load_b64 s[24:25], s[0:1], 0x20
	s_bfe_u32 s3, ttmp6, 0x4000c
	s_bfe_u32 s5, ttmp6, 0x40010
	s_and_b32 s4, ttmp7, 0xffff
	s_add_co_i32 s3, s3, 1
	s_add_co_i32 s5, s5, 1
	s_and_b32 s2, ttmp6, 15
	s_bfe_u32 s6, ttmp6, 0x40004
	s_mul_i32 s3, ttmp9, s3
	s_mul_i32 s5, s4, s5
	s_getreg_b32 s28, hwreg(HW_REG_IB_STS2, 6, 4)
	s_add_co_i32 s7, s2, s3
	s_add_co_i32 s6, s6, s5
	s_cmp_eq_u32 s28, 0
	v_mov_b32_e32 v70, v0
	s_cselect_b32 s30, s4, s6
	s_cselect_b32 s4, ttmp9, s7
	s_clause 0x1
	s_load_b32 s29, s[0:1], 0x80
	s_load_b64 s[2:3], s[0:1], 0x30
	s_mov_b32 s17, 0
	s_delay_alu instid0(SALU_CYCLE_1) | instskip(SKIP_2) | instid1(SALU_CYCLE_1)
	s_mov_b32 s36, s17
	s_wait_kmcnt 0x0
	s_abs_i32 s5, s24
	s_cvt_f32_u32 s6, s5
	s_sub_co_i32 s7, 0, s5
	s_delay_alu instid0(SALU_CYCLE_2) | instskip(SKIP_1) | instid1(TRANS32_DEP_1)
	v_rcp_iflag_f32_e32 v0, s6
	v_nop
	v_readfirstlane_b32 s6, v0
	s_abs_i32 s8, s29
	s_mul_f32 s6, s6, 0x4f7ffffe
	s_delay_alu instid0(SALU_CYCLE_3) | instskip(NEXT) | instid1(SALU_CYCLE_3)
	s_cvt_u32_f32 s6, s6
	s_mul_i32 s7, s7, s6
	s_delay_alu instid0(SALU_CYCLE_1) | instskip(NEXT) | instid1(SALU_CYCLE_1)
	s_mul_hi_u32 s7, s6, s7
	s_add_co_i32 s6, s6, s7
	s_xor_b32 s7, s29, s24
	s_mul_hi_u32 s6, s8, s6
	s_ashr_i32 s7, s7, 31
	s_mul_i32 s9, s6, s5
	s_delay_alu instid0(SALU_CYCLE_1)
	s_sub_co_i32 s8, s8, s9
	s_add_co_i32 s9, s6, 1
	s_sub_co_i32 s10, s8, s5
	s_cmp_ge_u32 s8, s5
	s_cselect_b32 s6, s9, s6
	s_cselect_b32 s8, s10, s8
	s_add_co_i32 s9, s6, 1
	s_cmp_ge_u32 s8, s5
	s_cselect_b32 s5, s9, s6
	s_load_b64 s[8:9], s[0:1], 0x40
	s_xor_b32 s5, s5, s7
	s_abs_i32 s16, s4
	s_sub_co_i32 s10, s5, s7
	s_mov_b32 s7, s17
	s_abs_i32 s15, s10
	s_delay_alu instid0(SALU_CYCLE_1) | instskip(SKIP_1) | instid1(SALU_CYCLE_2)
	s_cvt_f32_u32 s5, s15
	s_sub_co_i32 s6, 0, s15
	v_rcp_iflag_f32_e32 v0, s5
	v_nop
	s_delay_alu instid0(TRANS32_DEP_1) | instskip(SKIP_1) | instid1(SALU_CYCLE_3)
	v_readfirstlane_b32 s5, v0
	s_mul_f32 s5, s5, 0x4f7ffffe
	s_cvt_u32_f32 s5, s5
	s_delay_alu instid0(SALU_CYCLE_3) | instskip(NEXT) | instid1(SALU_CYCLE_1)
	s_mul_i32 s6, s6, s5
	s_mul_hi_u32 s6, s5, s6
	s_delay_alu instid0(SALU_CYCLE_1)
	s_add_co_i32 s6, s5, s6
	s_wait_kmcnt 0x0
	s_cmp_eq_u64 s[8:9], 0
	s_cbranch_scc1 .LBB152_2
; %bb.1:
	s_ashr_i32 s5, s4, 31
	s_delay_alu instid0(SALU_CYCLE_1) | instskip(NEXT) | instid1(SALU_CYCLE_1)
	s_lshl_b64 s[12:13], s[4:5], 2
	s_add_nc_u64 s[8:9], s[8:9], s[12:13]
	s_load_b32 s36, s[8:9], 0x0
.LBB152_2:
	s_load_b32 s31, s[2:3], s30 offset:0x0 scale_offset
	s_load_b96 s[12:14], s[0:1], 0x48
	s_wait_xcnt 0x0
	v_cmp_gt_u32_e64 s2, 32, v70
	s_ashr_i32 s3, s4, 31
	s_ashr_i32 s5, s10, 31
	s_mul_u64 s[18:19], s[16:17], s[6:7]
	s_lshl_b32 s6, s4, 8
	s_and_saveexec_b32 s8, s2
	s_cbranch_execz .LBB152_4
; %bb.3:
	s_load_b64 s[10:11], s[0:1], 0x8
	s_wait_kmcnt 0x0
	s_mul_i32 s20, s12, s30
	s_ashr_i32 s7, s6, 31
	s_ashr_i32 s21, s20, 31
	v_lshlrev_b32_e32 v4, 4, v70
	s_lshl_b64 s[20:21], s[20:21], 1
	s_delay_alu instid0(SALU_CYCLE_1) | instskip(SKIP_1) | instid1(SALU_CYCLE_1)
	s_add_nc_u64 s[10:11], s[10:11], s[20:21]
	s_lshl_b64 s[20:21], s[6:7], 1
	s_add_nc_u64 s[10:11], s[10:11], s[20:21]
	global_load_b128 v[0:3], v70, s[10:11] scale_offset
	s_wait_loadcnt 0x0
	ds_store_b128 v4, v[0:3]
.LBB152_4:
	s_or_b32 exec_lo, exec_lo, s8
	s_load_b128 s[8:11], s[0:1], 0x68
	s_mul_i32 s7, s19, s15
	s_xor_b32 s5, s3, s5
	s_sub_co_i32 s3, s16, s7
	s_add_co_i32 s7, s19, 1
	s_wait_kmcnt 0x0
	s_sub_co_i32 s12, s3, s15
	s_cmp_ge_u32 s3, s15
	s_wait_dscnt 0x0
	s_cselect_b32 s7, s7, s19
	s_cselect_b32 s3, s12, s3
	s_add_co_i32 s12, s7, 1
	s_cmp_ge_u32 s3, s15
	s_load_b32 s3, s[0:1], 0x78
	s_cselect_b32 s7, s12, s7
	s_mov_b32 s19, 0
	s_xor_b32 s7, s7, s5
	s_barrier_signal -1
	s_sub_co_i32 s5, s7, s5
	s_barrier_wait -1
	s_abs_i32 s12, s11
                                        ; implicit-def: $sgpr33
	s_delay_alu instid0(SALU_CYCLE_1) | instskip(SKIP_1) | instid1(SALU_CYCLE_2)
	s_cvt_f32_u32 s15, s12
	s_sub_co_i32 s17, 0, s12
	v_rcp_iflag_f32_e32 v0, s15
	v_nop
	s_delay_alu instid0(TRANS32_DEP_1) | instskip(SKIP_2) | instid1(SALU_CYCLE_2)
	v_readfirstlane_b32 s15, v0
	s_mul_f32 s7, s15, 0x4f7ffffe
	s_mov_b32 s15, -1
	s_cvt_u32_f32 s16, s7
	s_add_co_i32 s7, s31, -1
	s_delay_alu instid0(SALU_CYCLE_1) | instskip(NEXT) | instid1(SALU_CYCLE_1)
	s_abs_i32 s18, s7
	s_mul_i32 s17, s17, s16
	s_delay_alu instid0(SALU_CYCLE_1) | instskip(NEXT) | instid1(SALU_CYCLE_1)
	s_mul_hi_u32 s17, s16, s17
	s_add_co_i32 s16, s16, s17
	s_wait_kmcnt 0x0
	s_cmp_lt_i32 s3, 0
	s_mov_b32 s17, s19
	s_cbranch_scc0 .LBB152_6
; %bb.5:
	s_mul_i32 s15, s8, s24
	s_delay_alu instid0(SALU_CYCLE_1) | instskip(NEXT) | instid1(SALU_CYCLE_1)
	s_add_co_i32 s15, s5, s15
	s_mul_i32 s15, s15, s3
	s_delay_alu instid0(SALU_CYCLE_1)
	s_sub_co_i32 s33, 1, s15
	s_mov_b32 s15, s19
.LBB152_6:
	s_ashr_i32 s7, s7, 31
	s_ashr_i32 s34, s11, 31
	s_and_not1_b32 vcc_lo, exec_lo, s15
	s_mul_u64 s[22:23], s[18:19], s[16:17]
	s_cbranch_vccnz .LBB152_8
; %bb.7:
	s_mul_i32 s8, s29, s8
	s_delay_alu instid0(SALU_CYCLE_1) | instskip(NEXT) | instid1(SALU_CYCLE_1)
	s_add_co_i32 s4, s8, s4
	s_mul_i32 s3, s4, s3
	s_delay_alu instid0(SALU_CYCLE_1)
	s_add_co_i32 s33, s3, 1
.LBB152_8:
	s_load_b32 s3, s[0:1], 0x38
	s_xor_b32 s4, s7, s34
	s_mul_i32 s7, s23, s12
	s_add_co_i32 s8, s23, 1
	s_sub_co_i32 s11, s18, s7
	s_clause 0x1
	s_load_b64 s[18:19], s[0:1], 0x28
	s_load_b32 s7, s[0:1], 0x88
	v_dual_lshrrev_b32 v127, 5, v70 :: v_dual_bitop2_b32 v0, 31, v70 bitop3:0x40
	v_mov_b32_e32 v126, 0xff7fffff
	v_lshrrev_b32_e32 v26, 3, v70
	s_mul_i32 s22, s5, s14
	s_delay_alu instid0(VALU_DEP_3)
	v_dual_lshlrev_b32 v2, 5, v127 :: v_dual_lshlrev_b32 v27, 2, v0
	s_clause 0x1
	scratch_store_b32 off, v0, off offset:240
	scratch_store_b64 off, v[2:3], off
	s_wait_kmcnt 0x0
	s_mul_i32 s20, s3, s30
	s_sub_co_i32 s3, s11, s12
	s_ashr_i32 s21, s20, 31
	s_cmp_ge_u32 s11, s12
	s_cselect_b32 s8, s8, s23
	s_cselect_b32 s3, s3, s11
	s_add_co_i32 s11, s8, 1
	s_cmp_ge_u32 s3, s12
	s_cselect_b32 s3, s11, s8
	s_add_co_i32 s8, s31, 31
	s_delay_alu instid0(SALU_CYCLE_1) | instskip(NEXT) | instid1(SALU_CYCLE_1)
	s_ashr_i32 s11, s8, 31
	s_lshr_b32 s11, s11, 27
	s_delay_alu instid0(SALU_CYCLE_1) | instskip(NEXT) | instid1(SALU_CYCLE_1)
	s_add_co_i32 s8, s8, s11
	s_ashr_i32 s35, s8, 5
	s_xor_b32 s8, s3, s4
	v_cmp_gt_i32_e64 s3, s35, v127
	s_sub_co_i32 s8, s8, s4
	s_wait_xcnt 0x0
	s_mov_b32 s11, exec_lo
	s_delay_alu instid0(SALU_CYCLE_1)
	s_and_b32 s4, s11, s3
	s_clause 0x1
	scratch_store_b32 off, v70, off offset:872
	scratch_store_b32 off, v127, off offset:876
	s_wait_xcnt 0x0
	s_mov_b32 exec_lo, s4
	s_cbranch_execz .LBB152_16
; %bb.9:
	v_mov_b32_e32 v1, 0
	s_ashr_i32 s23, s22, 31
	s_sub_co_i32 s24, s8, s9
	s_ashr_i32 s15, s13, 31
	s_lshl_b64 s[4:5], s[22:23], 1
	ds_load_b128 v[22:25], v1
	ds_load_b128 v[18:21], v1 offset:16
	ds_load_b128 v[10:13], v1 offset:32
	;; [unrolled: 1-line block ×5, first 2 shown]
	s_cmp_neq_f32 s36, 0
	s_load_b64 s[26:27], s[0:1], 0x10
	v_mov_b32_e32 v126, 0xff7fffff
	s_cselect_b32 vcc_lo, -1, 0
	s_abs_i32 s23, s10
	s_delay_alu instid0(SALU_CYCLE_1) | instskip(SKIP_1) | instid1(SALU_CYCLE_2)
	s_cvt_f32_u32 s14, s23
	s_sub_co_i32 s37, 0, s23
	v_rcp_iflag_f32_e32 v0, s14
	s_wait_dscnt 0x5
	v_and_b32_e32 v29, 0xffff0000, v22
	s_wait_dscnt 0x4
	v_dual_lshlrev_b32 v28, 16, v22 :: v_dual_lshlrev_b32 v22, 16, v19
	s_delay_alu instid0(TRANS32_DEP_1)
	v_readfirstlane_b32 s14, v0
	scratch_store_b64 off, v[28:29], off offset:8 ; 8-byte Folded Spill
	s_wait_xcnt 0x0
	v_and_b32_e32 v29, 0xffff0000, v18
	v_lshlrev_b32_e32 v28, 16, v18
	s_wait_kmcnt 0x0
	s_add_nc_u64 s[4:5], s[26:27], s[4:5]
	s_wait_dscnt 0x3
	v_lshlrev_b32_e32 v18, 16, v11
	s_lshl_b64 s[26:27], s[20:21], 2
	s_mul_f32 s14, s14, 0x4f7ffffe
	scratch_store_b64 off, v[28:29], off offset:16 ; 8-byte Folded Spill
	s_wait_xcnt 0x0
	v_and_b32_e32 v29, 0xffff0000, v10
	s_wait_dscnt 0x2
	v_dual_lshlrev_b32 v28, 16, v10 :: v_dual_lshlrev_b32 v10, 16, v7
	s_cvt_u32_f32 s38, s14
	s_mov_b32 s14, s13
	scratch_store_b64 off, v[28:29], off offset:32 ; 8-byte Folded Spill
	s_wait_xcnt 0x0
	v_and_b32_e32 v29, 0xffff0000, v6
	s_wait_dscnt 0x1
	v_dual_lshlrev_b32 v28, 16, v6 :: v_dual_lshlrev_b32 v6, 16, v15
	s_mul_i32 s37, s37, s38
	scratch_store_b64 off, v[28:29], off offset:48 ; 8-byte Folded Spill
	s_wait_xcnt 0x0
	v_and_b32_e32 v29, 0xffff0000, v14
	v_lshlrev_b32_e32 v28, 16, v14
	scratch_store_b64 off, v[28:29], off offset:64 ; 8-byte Folded Spill
	s_wait_dscnt 0x0
	s_wait_xcnt 0x0
	v_and_b32_e32 v29, 0xffff0000, v2
	v_dual_lshlrev_b32 v28, 16, v2 :: v_dual_lshlrev_b32 v2, 16, v24
	scratch_store_b64 off, v[28:29], off offset:72 ; 8-byte Folded Spill
	s_wait_xcnt 0x0
	v_and_b32_e32 v29, 0xffff0000, v23
	v_lshlrev_b32_e32 v28, 16, v23
	v_and_b32_e32 v23, 0xffff0000, v19
	v_and_b32_e32 v19, 0xffff0000, v11
	;; [unrolled: 1-line block ×4, first 2 shown]
	s_clause 0x4
	scratch_store_b64 off, v[28:29], off offset:80
	scratch_store_b64 off, v[22:23], off offset:88
	;; [unrolled: 1-line block ×5, first 2 shown]
	s_wait_xcnt 0x0
	v_and_b32_e32 v7, 0xffff0000, v3
	v_lshlrev_b32_e32 v6, 16, v3
	v_and_b32_e32 v3, 0xffff0000, v24
	s_clause 0x1
	scratch_store_b64 off, v[6:7], off offset:120
	scratch_store_b64 off, v[2:3], off offset:128
	s_wait_xcnt 0x0
	v_and_b32_e32 v3, 0xffff0000, v20
	v_lshlrev_b32_e32 v2, 16, v20
	scratch_store_b64 off, v[2:3], off offset:136 ; 8-byte Folded Spill
	s_wait_xcnt 0x0
	v_and_b32_e32 v3, 0xffff0000, v25
	v_lshlrev_b32_e32 v2, 16, v25
	ds_load_b128 v[22:25], v1 offset:96
	scratch_store_b64 off, v[2:3], off offset:144 ; 8-byte Folded Spill
	s_wait_xcnt 0x0
	v_and_b32_e32 v3, 0xffff0000, v12
	v_lshlrev_b32_e32 v2, 16, v12
	scratch_store_b64 off, v[2:3], off offset:152 ; 8-byte Folded Spill
	s_wait_xcnt 0x0
	v_and_b32_e32 v3, 0xffff0000, v21
	v_lshlrev_b32_e32 v2, 16, v21
	;; [unrolled: 4-line block ×4, first 2 shown]
	ds_load_b128 v[10:13], v1 offset:112
	s_wait_dscnt 0x1
	v_and_b32_e32 v7, 0xffff0000, v25
	v_lshlrev_b32_e32 v6, 16, v25
	scratch_store_b64 off, v[2:3], off offset:176 ; 8-byte Folded Spill
	s_wait_xcnt 0x0
	v_and_b32_e32 v3, 0xffff0000, v16
	v_lshlrev_b32_e32 v2, 16, v16
	scratch_store_b64 off, v[6:7], off offset:268 ; 8-byte Folded Spill
	s_wait_dscnt 0x0
	s_wait_xcnt 0x0
	v_and_b32_e32 v7, 0xffff0000, v10
	v_lshlrev_b32_e32 v6, 16, v10
	scratch_store_b64 off, v[2:3], off offset:184 ; 8-byte Folded Spill
	s_wait_xcnt 0x0
	v_and_b32_e32 v3, 0xffff0000, v9
	v_lshlrev_b32_e32 v2, 16, v9
	v_lshlrev_b32_e32 v10, 16, v13
	scratch_store_b64 off, v[6:7], off offset:276 ; 8-byte Folded Spill
	s_wait_xcnt 0x0
	v_and_b32_e32 v7, 0xffff0000, v11
	v_lshlrev_b32_e32 v6, 16, v11
	scratch_store_b64 off, v[2:3], off offset:192 ; 8-byte Folded Spill
	s_wait_xcnt 0x0
	v_and_b32_e32 v3, 0xffff0000, v4
	v_lshlrev_b32_e32 v2, 16, v4
	v_and_b32_e32 v11, 0xffff0000, v13
	scratch_store_b64 off, v[6:7], off offset:284 ; 8-byte Folded Spill
	s_wait_xcnt 0x0
	v_and_b32_e32 v7, 0xffff0000, v12
	v_lshlrev_b32_e32 v6, 16, v12
	scratch_store_b64 off, v[2:3], off offset:200 ; 8-byte Folded Spill
	s_wait_xcnt 0x0
	v_and_b32_e32 v3, 0xffff0000, v17
	v_lshlrev_b32_e32 v2, 16, v17
	ds_load_b128 v[14:17], v1 offset:128
	s_clause 0x1
	scratch_store_b64 off, v[10:11], off offset:300
	scratch_store_b64 off, v[2:3], off offset:208
	s_wait_xcnt 0x0
	v_and_b32_e32 v3, 0xffff0000, v5
	v_lshlrev_b32_e32 v2, 16, v5
	scratch_store_b64 off, v[2:3], off offset:224 ; 8-byte Folded Spill
	s_wait_xcnt 0x0
	v_and_b32_e32 v3, 0xffff0000, v22
	v_lshlrev_b32_e32 v2, 16, v22
	scratch_store_b64 off, v[2:3], off offset:244 ; 8-byte Folded Spill
	;; [unrolled: 4-line block ×4, first 2 shown]
	s_wait_xcnt 0x0
	ds_load_b128 v[2:5], v1 offset:144
	s_wait_dscnt 0x1
	v_and_b32_e32 v11, 0xffff0000, v14
	v_lshlrev_b32_e32 v10, 16, v14
	scratch_store_b64 off, v[6:7], off offset:292 ; 8-byte Folded Spill
	s_wait_xcnt 0x0
	ds_load_b128 v[6:9], v1 offset:160
	v_lshlrev_b32_e32 v14, 16, v17
	scratch_store_b64 off, v[10:11], off offset:308 ; 8-byte Folded Spill
	s_wait_xcnt 0x0
	v_and_b32_e32 v11, 0xffff0000, v15
	v_lshlrev_b32_e32 v10, 16, v15
	v_and_b32_e32 v15, 0xffff0000, v17
	s_clause 0x1
	scratch_store_b64 off, v[10:11], off offset:316
	scratch_store_b64 off, v[14:15], off offset:332
	s_wait_xcnt 0x1
	v_and_b32_e32 v11, 0xffff0000, v16
	v_lshlrev_b32_e32 v10, 16, v16
	s_wait_dscnt 0x1
	s_wait_xcnt 0x0
	v_and_b32_e32 v15, 0xffff0000, v2
	v_dual_lshlrev_b32 v14, 16, v2 :: v_dual_lshlrev_b32 v2, 16, v4
	scratch_store_b64 off, v[10:11], off offset:324 ; 8-byte Folded Spill
	s_wait_xcnt 0x0
	ds_load_b128 v[10:13], v1 offset:176
	scratch_store_b64 off, v[14:15], off offset:340 ; 8-byte Folded Spill
	s_wait_xcnt 0x0
	v_and_b32_e32 v15, 0xffff0000, v3
	v_lshlrev_b32_e32 v14, 16, v3
	v_and_b32_e32 v3, 0xffff0000, v4
	s_clause 0x1
	scratch_store_b64 off, v[14:15], off offset:348
	scratch_store_b64 off, v[2:3], off offset:356
	s_wait_xcnt 0x0
	v_and_b32_e32 v3, 0xffff0000, v5
	v_lshlrev_b32_e32 v2, 16, v5
	ds_load_b128 v[14:17], v1 offset:192
	scratch_store_b64 off, v[2:3], off offset:364 ; 8-byte Folded Spill
	s_wait_dscnt 0x2
	s_wait_xcnt 0x0
	v_and_b32_e32 v3, 0xffff0000, v6
	v_dual_lshlrev_b32 v2, 16, v6 :: v_dual_lshlrev_b32 v6, 16, v8
	scratch_store_b64 off, v[2:3], off offset:372 ; 8-byte Folded Spill
	s_wait_xcnt 0x0
	v_and_b32_e32 v3, 0xffff0000, v7
	v_lshlrev_b32_e32 v2, 16, v7
	v_and_b32_e32 v7, 0xffff0000, v8
	s_clause 0x1
	scratch_store_b64 off, v[2:3], off offset:380
	scratch_store_b64 off, v[6:7], off offset:388
	s_wait_xcnt 0x0
	v_and_b32_e32 v7, 0xffff0000, v9
	v_lshlrev_b32_e32 v6, 16, v9
	ds_load_b128 v[2:5], v1 offset:208
	scratch_store_b64 off, v[6:7], off offset:396 ; 8-byte Folded Spill
	s_wait_dscnt 0x2
	s_wait_xcnt 0x0
	v_and_b32_e32 v7, 0xffff0000, v10
	v_lshlrev_b32_e32 v6, 16, v10
	scratch_store_b64 off, v[6:7], off offset:404 ; 8-byte Folded Spill
	s_wait_xcnt 0x0
	v_and_b32_e32 v7, 0xffff0000, v11
	v_lshlrev_b32_e32 v6, 16, v11
	scratch_store_b64 off, v[6:7], off offset:412 ; 8-byte Folded Spill
	;; [unrolled: 4-line block ×4, first 2 shown]
	s_wait_dscnt 0x1
	s_wait_xcnt 0x0
	v_and_b32_e32 v7, 0xffff0000, v14
	v_lshlrev_b32_e32 v6, 16, v14
	scratch_store_b64 off, v[6:7], off offset:436 ; 8-byte Folded Spill
	s_wait_xcnt 0x0
	v_and_b32_e32 v7, 0xffff0000, v15
	v_lshlrev_b32_e32 v6, 16, v15
	scratch_store_b64 off, v[6:7], off offset:444 ; 8-byte Folded Spill
	;; [unrolled: 4-line block ×4, first 2 shown]
	s_wait_dscnt 0x0
	s_wait_xcnt 0x0
	v_and_b32_e32 v7, 0xffff0000, v2
	v_dual_lshlrev_b32 v6, 16, v2 :: v_dual_lshlrev_b32 v2, 16, v4
	scratch_store_b64 off, v[6:7], off offset:468 ; 8-byte Folded Spill
	s_wait_xcnt 0x0
	v_and_b32_e32 v7, 0xffff0000, v3
	v_lshlrev_b32_e32 v6, 16, v3
	v_and_b32_e32 v3, 0xffff0000, v4
	s_clause 0x1
	scratch_store_b64 off, v[6:7], off offset:476
	scratch_store_b64 off, v[2:3], off offset:484
	s_wait_xcnt 0x0
	v_and_b32_e32 v3, 0xffff0000, v5
	v_lshlrev_b32_e32 v2, 16, v5
	scratch_store_b64 off, v[2:3], off offset:492 ; 8-byte Folded Spill
	s_wait_xcnt 0x0
	ds_load_b128 v[2:5], v1 offset:224
	ds_load_b128 v[6:9], v1 offset:240
	s_wait_dscnt 0x1
	v_and_b32_e32 v11, 0xffff0000, v2
	v_dual_lshlrev_b32 v10, 16, v2 :: v_dual_lshlrev_b32 v2, 16, v4
	scratch_store_b64 off, v[10:11], off offset:500 ; 8-byte Folded Spill
	s_wait_xcnt 0x0
	v_and_b32_e32 v11, 0xffff0000, v3
	v_lshlrev_b32_e32 v10, 16, v3
	v_and_b32_e32 v3, 0xffff0000, v4
	s_clause 0x1
	scratch_store_b64 off, v[10:11], off offset:508
	scratch_store_b64 off, v[2:3], off offset:516
	s_wait_xcnt 0x0
	v_and_b32_e32 v3, 0xffff0000, v5
	v_lshlrev_b32_e32 v2, 16, v5
	scratch_store_b64 off, v[2:3], off offset:524 ; 8-byte Folded Spill
	s_wait_dscnt 0x0
	s_wait_xcnt 0x0
	v_and_b32_e32 v3, 0xffff0000, v6
	v_lshlrev_b32_e32 v2, 16, v6
	scratch_store_b64 off, v[2:3], off offset:532 ; 8-byte Folded Spill
	s_wait_xcnt 0x0
	v_and_b32_e32 v3, 0xffff0000, v7
	v_lshlrev_b32_e32 v2, 16, v7
	scratch_store_b64 off, v[2:3], off offset:540 ; 8-byte Folded Spill
	s_wait_xcnt 0x0
	v_and_b32_e32 v3, 0xffff0000, v8
	v_lshlrev_b32_e32 v2, 16, v8
	scratch_store_b64 off, v[2:3], off offset:548 ; 8-byte Folded Spill
	s_wait_xcnt 0x0
	v_and_b32_e32 v3, 0xffff0000, v9
	v_lshlrev_b32_e32 v2, 16, v9
	scratch_store_b64 off, v[2:3], off offset:556 ; 8-byte Folded Spill
	s_wait_xcnt 0x0
	ds_load_b128 v[2:5], v1 offset:256
	ds_load_b128 v[6:9], v1 offset:272
	s_wait_dscnt 0x1
	v_and_b32_e32 v11, 0xffff0000, v2
	v_dual_lshlrev_b32 v10, 16, v2 :: v_dual_lshlrev_b32 v2, 16, v4
	scratch_store_b64 off, v[10:11], off offset:564 ; 8-byte Folded Spill
	s_wait_xcnt 0x0
	v_and_b32_e32 v11, 0xffff0000, v3
	v_lshlrev_b32_e32 v10, 16, v3
	v_and_b32_e32 v3, 0xffff0000, v4
	s_clause 0x1
	scratch_store_b64 off, v[10:11], off offset:572
	scratch_store_b64 off, v[2:3], off offset:580
	s_wait_xcnt 0x0
	v_and_b32_e32 v3, 0xffff0000, v5
	v_lshlrev_b32_e32 v2, 16, v5
	scratch_store_b64 off, v[2:3], off offset:588 ; 8-byte Folded Spill
	s_wait_dscnt 0x0
	s_wait_xcnt 0x0
	v_and_b32_e32 v3, 0xffff0000, v6
	v_lshlrev_b32_e32 v2, 16, v6
	scratch_store_b64 off, v[2:3], off offset:596 ; 8-byte Folded Spill
	s_wait_xcnt 0x0
	v_and_b32_e32 v3, 0xffff0000, v7
	v_lshlrev_b32_e32 v2, 16, v7
	scratch_store_b64 off, v[2:3], off offset:604 ; 8-byte Folded Spill
	s_wait_xcnt 0x0
	v_and_b32_e32 v3, 0xffff0000, v8
	v_lshlrev_b32_e32 v2, 16, v8
	scratch_store_b64 off, v[2:3], off offset:612 ; 8-byte Folded Spill
	;; [unrolled: 35-line block ×4, first 2 shown]
	s_wait_xcnt 0x0
	v_and_b32_e32 v3, 0xffff0000, v9
	v_lshlrev_b32_e32 v2, 16, v9
	scratch_store_b64 off, v[2:3], off offset:748 ; 8-byte Folded Spill
	ds_load_b128 v[6:9], v1 offset:352
	s_wait_xcnt 0x0
	ds_load_b128 v[2:5], v1 offset:368
	s_wait_dscnt 0x1
	v_and_b32_e32 v11, 0xffff0000, v6
	v_dual_lshlrev_b32 v10, 16, v6 :: v_dual_lshlrev_b32 v6, 16, v8
	scratch_store_b64 off, v[10:11], off offset:756 ; 8-byte Folded Spill
	s_wait_xcnt 0x0
	v_and_b32_e32 v11, 0xffff0000, v7
	v_lshlrev_b32_e32 v10, 16, v7
	v_and_b32_e32 v7, 0xffff0000, v8
	s_clause 0x1
	scratch_store_b64 off, v[10:11], off offset:764
	scratch_store_b64 off, v[6:7], off offset:772
	s_wait_xcnt 0x0
	v_and_b32_e32 v7, 0xffff0000, v9
	v_lshlrev_b32_e32 v6, 16, v9
	scratch_store_b64 off, v[6:7], off offset:780 ; 8-byte Folded Spill
	s_wait_dscnt 0x0
	s_wait_xcnt 0x0
	v_and_b32_e32 v7, 0xffff0000, v2
	v_dual_lshlrev_b32 v6, 16, v2 :: v_dual_lshlrev_b32 v2, 16, v4
	scratch_store_b64 off, v[6:7], off offset:788 ; 8-byte Folded Spill
	s_wait_xcnt 0x0
	v_and_b32_e32 v7, 0xffff0000, v3
	v_lshlrev_b32_e32 v6, 16, v3
	v_and_b32_e32 v3, 0xffff0000, v4
	s_clause 0x1
	scratch_store_b64 off, v[6:7], off offset:796
	scratch_store_b64 off, v[2:3], off offset:804
	s_wait_xcnt 0x0
	v_and_b32_e32 v3, 0xffff0000, v5
	v_lshlrev_b32_e32 v2, 16, v5
	scratch_store_b64 off, v[2:3], off offset:812 ; 8-byte Folded Spill
	s_wait_xcnt 0x0
	ds_load_b128 v[2:5], v1 offset:384
	ds_load_b128 v[6:9], v1 offset:400
	s_wait_dscnt 0x1
	v_and_b32_e32 v11, 0xffff0000, v2
	v_dual_lshlrev_b32 v10, 16, v2 :: v_dual_lshlrev_b32 v2, 16, v4
	s_wait_dscnt 0x0
	v_and_b32_e32 v77, 0xffff0000, v7
	v_lshlrev_b32_e32 v76, 16, v7
	v_and_b32_e32 v79, 0xffff0000, v8
	scratch_store_b64 off, v[10:11], off offset:820 ; 8-byte Folded Spill
	s_wait_xcnt 0x0
	v_and_b32_e32 v11, 0xffff0000, v3
	v_lshlrev_b32_e32 v10, 16, v3
	v_and_b32_e32 v3, 0xffff0000, v4
	v_lshlrev_b32_e32 v78, 16, v8
	v_and_b32_e32 v81, 0xffff0000, v9
	v_lshlrev_b32_e32 v80, 16, v9
	s_clause 0x1
	scratch_store_b64 off, v[10:11], off offset:828
	scratch_store_b64 off, v[2:3], off offset:836
	s_wait_xcnt 0x0
	v_and_b32_e32 v3, 0xffff0000, v5
	v_lshlrev_b32_e32 v2, 16, v5
	scratch_store_b64 off, v[2:3], off offset:844 ; 8-byte Folded Spill
	s_wait_xcnt 0x0
	v_and_b32_e32 v3, 0xffff0000, v6
	v_lshlrev_b32_e32 v2, 16, v6
	scratch_store_b64 off, v[2:3], off offset:852 ; 8-byte Folded Spill
	s_wait_xcnt 0x0
	ds_load_b128 v[2:5], v1 offset:416
	ds_load_b128 v[6:9], v1 offset:432
	s_wait_dscnt 0x1
	v_and_b32_e32 v83, 0xffff0000, v2
	v_lshlrev_b32_e32 v82, 16, v2
	v_and_b32_e32 v85, 0xffff0000, v3
	v_lshlrev_b32_e32 v84, 16, v3
	;; [unrolled: 2-line block ×4, first 2 shown]
	s_wait_dscnt 0x0
	v_and_b32_e32 v91, 0xffff0000, v6
	v_lshlrev_b32_e32 v90, 16, v6
	v_and_b32_e32 v93, 0xffff0000, v7
	v_lshlrev_b32_e32 v92, 16, v7
	;; [unrolled: 2-line block ×4, first 2 shown]
	ds_load_b128 v[2:5], v1 offset:448
	ds_load_b128 v[6:9], v1 offset:464
	s_wait_dscnt 0x1
	v_and_b32_e32 v99, 0xffff0000, v2
	v_lshlrev_b32_e32 v98, 16, v2
	v_and_b32_e32 v101, 0xffff0000, v3
	v_lshlrev_b32_e32 v100, 16, v3
	;; [unrolled: 2-line block ×4, first 2 shown]
	s_wait_dscnt 0x0
	v_and_b32_e32 v107, 0xffff0000, v6
	v_lshlrev_b32_e32 v106, 16, v6
	v_and_b32_e32 v109, 0xffff0000, v7
	v_dual_lshlrev_b32 v108, 16, v7 :: v_dual_lshlrev_b32 v110, 16, v8
	v_and_b32_e32 v111, 0xffff0000, v8
	v_and_b32_e32 v113, 0xffff0000, v9
	v_lshlrev_b32_e32 v112, 16, v9
	ds_load_b128 v[2:5], v1 offset:480
	ds_load_b128 v[6:9], v1 offset:496
	s_wait_dscnt 0x1
	v_and_b32_e32 v115, 0xffff0000, v2
	v_lshlrev_b32_e32 v114, 16, v2
	scratch_load_b32 v2, off, off offset:240 ; 4-byte Folded Reload
	s_wait_dscnt 0x0
	v_dual_lshlrev_b32 v44, 16, v9 :: v_dual_lshlrev_b32 v116, 16, v3
	v_lshlrev_b32_e32 v118, 16, v4
	v_and_b32_e32 v119, 0xffff0000, v4
	v_and_b32_e32 v121, 0xffff0000, v5
	v_dual_lshlrev_b32 v120, 16, v5 :: v_dual_lshlrev_b32 v122, 16, v6
	v_and_b32_e32 v117, 0xffff0000, v3
	v_and_b32_e32 v123, 0xffff0000, v6
	;; [unrolled: 1-line block ×3, first 2 shown]
	v_dual_lshlrev_b32 v124, 16, v7 :: v_dual_lshlrev_b32 v42, 16, v8
	v_and_b32_e32 v43, 0xffff0000, v8
	v_and_b32_e32 v45, 0xffff0000, v9
	s_wait_loadcnt 0x0
	v_lshlrev_b32_e32 v0, 4, v2
	v_subrev_nc_u32_e32 v2, s31, v2
	s_delay_alu instid0(VALU_DEP_2) | instskip(SKIP_2) | instid1(VALU_DEP_3)
	v_add_nc_u64_e32 v[4:5], s[4:5], v[0:1]
	v_and_b32_e32 v0, 0x7c, v26
	s_add_nc_u64 s[4:5], s[18:19], s[26:27]
	v_add_nc_u32_e32 v2, 1, v2
	s_clause 0x1
	scratch_store_b64 off, v[4:5], off offset:860
	scratch_store_b32 off, v26, off offset:880
	v_add_nc_u64_e32 v[46:47], s[4:5], v[0:1]
	v_lshlrev_b32_e32 v0, 5, v127
	s_clause 0x1
	scratch_store_b32 off, v2, off offset:868
	scratch_store_b32 off, v27, off offset:884
	s_wait_xcnt 0x1
	v_lshl_or_b32 v2, v127, 7, v27
	v_mov_b32_e32 v68, v127
	s_mul_hi_u32 s26, s38, s37
	s_mov_b32 s27, 0
	s_add_co_i32 s26, s38, s26
	v_add_nc_u32_e32 v127, 0x220, v2
	s_mov_b32 s37, s27
	s_branch .LBB152_11
.LBB152_10:                             ;   in Loop: Header=BB152_11 Depth=1
	s_wait_xcnt 0x0
	s_or_b32 exec_lo, exec_lo, s5
	v_add_nc_u32_e32 v68, 4, v68
	v_add_nc_u64_e32 v[46:47], 16, v[46:47]
	v_add_nc_u32_e32 v0, 0x80, v0
	v_add_nc_u32_e32 v127, 0x200, v127
	s_delay_alu instid0(VALU_DEP_4) | instskip(SKIP_1) | instid1(SALU_CYCLE_1)
	v_cmp_le_i32_e64 s4, s35, v68
	s_or_b32 s37, s4, s37
	s_and_not1_b32 exec_lo, exec_lo, s37
	s_cbranch_execz .LBB152_15
.LBB152_11:                             ; =>This Inner Loop Header: Depth=1
	v_mul_u64_e32 v[2:3], s[16:17], v[0:1]
	s_delay_alu instid0(VALU_DEP_1) | instskip(NEXT) | instid1(VALU_DEP_1)
	v_mul_lo_u32 v2, v3, s12
	v_dual_add_nc_u32 v4, 1, v3 :: v_dual_sub_nc_u32 v2, v0, v2
	s_delay_alu instid0(VALU_DEP_1) | instskip(SKIP_1) | instid1(VALU_DEP_1)
	v_subrev_nc_u32_e32 v5, s12, v2
	v_cmp_le_u32_e64 s4, s12, v2
	v_dual_cndmask_b32 v3, v3, v4, s4 :: v_dual_cndmask_b32 v2, v2, v5, s4
	s_delay_alu instid0(VALU_DEP_1) | instskip(NEXT) | instid1(VALU_DEP_2)
	v_add_nc_u32_e32 v4, 1, v3
	v_cmp_le_u32_e64 s4, s12, v2
	s_delay_alu instid0(VALU_DEP_1) | instskip(NEXT) | instid1(VALU_DEP_1)
	v_dual_cndmask_b32 v2, v3, v4, s4 :: v_dual_mov_b32 v3, v1
	v_xor_b32_e32 v2, s34, v2
	s_delay_alu instid0(VALU_DEP_1) | instskip(NEXT) | instid1(VALU_DEP_1)
	v_subrev_nc_u32_e32 v6, s34, v2
	v_add_nc_u32_e32 v7, s33, v6
	v_cmp_ge_i32_e64 s5, s24, v6
	s_delay_alu instid0(VALU_DEP_2) | instskip(NEXT) | instid1(VALU_DEP_1)
	v_sub_nc_u32_e32 v2, 0, v7
	v_max_i32_e32 v2, v7, v2
	s_delay_alu instid0(VALU_DEP_1) | instskip(SKIP_1) | instid1(VALU_DEP_2)
	v_mul_u64_e32 v[4:5], s[26:27], v[2:3]
	v_ashrrev_i32_e32 v4, 31, v7
	v_mul_lo_u32 v3, v5, s23
	s_delay_alu instid0(VALU_DEP_1) | instskip(NEXT) | instid1(VALU_DEP_1)
	v_sub_nc_u32_e32 v2, v2, v3
	v_subrev_nc_u32_e32 v3, s23, v2
	v_cmp_le_u32_e64 s4, s23, v2
	s_delay_alu instid0(VALU_DEP_1) | instskip(NEXT) | instid1(VALU_DEP_1)
	v_cndmask_b32_e64 v2, v2, v3, s4
	v_subrev_nc_u32_e32 v3, s23, v2
	v_cmp_le_u32_e64 s4, s23, v2
	s_delay_alu instid0(VALU_DEP_1) | instskip(NEXT) | instid1(VALU_DEP_1)
	v_cndmask_b32_e64 v2, v2, v3, s4
	v_xor_b32_e32 v2, v2, v4
	s_delay_alu instid0(VALU_DEP_1) | instskip(NEXT) | instid1(VALU_DEP_1)
	v_sub_nc_u32_e32 v2, v2, v4
	v_cmp_ne_u32_e64 s4, 0, v2
	s_and_b32 s4, s4, s5
	s_wait_xcnt 0x0
	s_and_saveexec_b32 s5, s4
	s_delay_alu instid0(SALU_CYCLE_1)
	s_xor_b32 s4, exec_lo, s5
; %bb.12:                               ;   in Loop: Header=BB152_11 Depth=1
	v_mov_b32_e32 v2, 0xff7fffff
	ds_store_b32 v127, v2
; %bb.13:                               ;   in Loop: Header=BB152_11 Depth=1
	s_and_not1_saveexec_b32 s5, s4
	s_cbranch_execz .LBB152_10
; %bb.14:                               ;   in Loop: Header=BB152_11 Depth=1
	global_load_b32 v2, v[46:47], off
	s_clause 0x1
	scratch_load_b32 v4, off, off offset:240
	scratch_load_b64 v[6:7], off, off offset:860
	s_wait_loadcnt 0x1
	v_dual_ashrrev_i32 v3, 31, v2 :: v_dual_add_nc_u32 v4, v4, v0
	s_delay_alu instid0(VALU_DEP_1) | instskip(NEXT) | instid1(VALU_DEP_2)
	v_mul_u64_e32 v[2:3], s[14:15], v[2:3]
	v_cmp_gt_i32_e64 s4, s31, v4
	s_wait_loadcnt 0x0
	s_delay_alu instid0(VALU_DEP_2) | instskip(SKIP_3) | instid1(VALU_DEP_1)
	v_lshl_add_u64 v[48:49], v[2:3], 1, v[6:7]
	scratch_load_b32 v2, off, off offset:868 ; 4-byte Folded Reload
	s_wait_loadcnt 0x0
	v_add_nc_u32_e32 v2, v2, v0
	v_cvt_f32_i32_e32 v2, v2
	s_delay_alu instid0(VALU_DEP_1) | instskip(NEXT) | instid1(VALU_DEP_1)
	v_mul_f32_e32 v2, s36, v2
	v_cndmask_b32_e32 v69, 0, v2, vcc_lo
	s_clause 0x8
	global_load_b128 v[34:37], v[48:49], off
	global_load_b128 v[30:33], v[48:49], off offset:512
	global_load_b128 v[26:29], v[48:49], off offset:1024
	;; [unrolled: 1-line block ×8, first 2 shown]
	scratch_load_b64 v[50:51], off, off offset:16 ; 8-byte Folded Reload
	s_wait_loadcnt 0x9
	v_and_b32_e32 v39, 0xffff0000, v34
	s_wait_loadcnt 0x8
	v_and_b32_e32 v41, 0xffff0000, v30
	v_lshlrev_b32_e32 v40, 16, v30
	v_dual_lshlrev_b32 v38, 16, v34 :: v_dual_lshlrev_b32 v34, 16, v31
	s_wait_loadcnt 0x0
	s_delay_alu instid0(VALU_DEP_2)
	v_pk_mul_f32 v[40:41], v[50:51], v[40:41]
	scratch_load_b64 v[50:51], off, off offset:8 ; 8-byte Folded Reload
	s_wait_loadcnt 0x0
	v_pk_fma_f32 v[38:39], v[50:51], v[38:39], v[40:41]
	scratch_load_b64 v[50:51], off, off offset:32 ; 8-byte Folded Reload
	v_and_b32_e32 v41, 0xffff0000, v26
	v_lshlrev_b32_e32 v40, 16, v26
	s_wait_loadcnt 0x0
	s_delay_alu instid0(VALU_DEP_1) | instskip(SKIP_4) | instid1(VALU_DEP_1)
	v_pk_fma_f32 v[38:39], v[50:51], v[40:41], v[38:39]
	scratch_load_b64 v[50:51], off, off offset:48 ; 8-byte Folded Reload
	v_and_b32_e32 v41, 0xffff0000, v22
	v_lshlrev_b32_e32 v40, 16, v22
	s_wait_loadcnt 0x0
	v_pk_fma_f32 v[38:39], v[50:51], v[40:41], v[38:39]
	scratch_load_b64 v[50:51], off, off offset:64 ; 8-byte Folded Reload
	v_and_b32_e32 v41, 0xffff0000, v18
	v_lshlrev_b32_e32 v40, 16, v18
	s_wait_loadcnt 0x0
	s_delay_alu instid0(VALU_DEP_1) | instskip(SKIP_4) | instid1(VALU_DEP_1)
	v_pk_fma_f32 v[38:39], v[50:51], v[40:41], v[38:39]
	scratch_load_b64 v[50:51], off, off offset:72 ; 8-byte Folded Reload
	v_and_b32_e32 v41, 0xffff0000, v14
	v_lshlrev_b32_e32 v40, 16, v14
	;; [unrolled: 11-line block ×3, first 2 shown]
	s_wait_loadcnt 0x0
	v_pk_fma_f32 v[38:39], v[50:51], v[40:41], v[38:39]
	scratch_load_b64 v[50:51], off, off offset:308 ; 8-byte Folded Reload
	v_and_b32_e32 v41, 0xffff0000, v2
	v_lshlrev_b32_e32 v40, 16, v2
	s_wait_loadcnt 0x0
	s_delay_alu instid0(VALU_DEP_1)
	v_pk_fma_f32 v[38:39], v[50:51], v[40:41], v[38:39]
	v_and_b32_e32 v41, 0xffff0000, v35
	v_lshlrev_b32_e32 v40, 16, v35
	v_and_b32_e32 v35, 0xffff0000, v31
	scratch_load_b64 v[30:31], off, off offset:88 ; 8-byte Folded Reload
	s_wait_loadcnt 0x0
	v_pk_mul_f32 v[30:31], v[30:31], v[34:35]
	scratch_load_b64 v[34:35], off, off offset:80 ; 8-byte Folded Reload
	s_wait_loadcnt 0x0
	v_pk_fma_f32 v[30:31], v[34:35], v[40:41], v[30:31]
	v_and_b32_e32 v35, 0xffff0000, v27
	v_lshlrev_b32_e32 v34, 16, v27
	scratch_load_b64 v[26:27], off, off offset:96 ; 8-byte Folded Reload
	s_wait_loadcnt 0x0
	v_pk_fma_f32 v[26:27], v[26:27], v[34:35], v[30:31]
	v_and_b32_e32 v31, 0xffff0000, v23
	v_lshlrev_b32_e32 v30, 16, v23
	scratch_load_b64 v[22:23], off, off offset:104 ; 8-byte Folded Reload
	s_wait_loadcnt 0x0
	v_pk_fma_f32 v[22:23], v[22:23], v[30:31], v[26:27]
	v_and_b32_e32 v27, 0xffff0000, v19
	v_lshlrev_b32_e32 v26, 16, v19
	scratch_load_b64 v[18:19], off, off offset:112 ; 8-byte Folded Reload
	s_wait_loadcnt 0x0
	v_pk_fma_f32 v[18:19], v[18:19], v[26:27], v[22:23]
	v_and_b32_e32 v23, 0xffff0000, v15
	v_lshlrev_b32_e32 v22, 16, v15
	scratch_load_b64 v[14:15], off, off offset:120 ; 8-byte Folded Reload
	s_wait_loadcnt 0x0
	v_pk_fma_f32 v[14:15], v[14:15], v[22:23], v[18:19]
	v_and_b32_e32 v19, 0xffff0000, v11
	v_lshlrev_b32_e32 v18, 16, v11
	scratch_load_b64 v[10:11], off, off offset:252 ; 8-byte Folded Reload
	s_wait_loadcnt 0x0
	v_pk_fma_f32 v[10:11], v[10:11], v[18:19], v[14:15]
	v_and_b32_e32 v15, 0xffff0000, v7
	v_lshlrev_b32_e32 v14, 16, v7
	scratch_load_b64 v[6:7], off, off offset:284 ; 8-byte Folded Reload
	s_wait_loadcnt 0x0
	v_pk_fma_f32 v[6:7], v[6:7], v[14:15], v[10:11]
	v_and_b32_e32 v11, 0xffff0000, v3
	v_lshlrev_b32_e32 v10, 16, v3
	scratch_load_b64 v[2:3], off, off offset:316 ; 8-byte Folded Reload
	s_wait_loadcnt 0x0
	v_pk_fma_f32 v[52:53], v[2:3], v[10:11], v[6:7]
	scratch_load_b64 v[10:11], off, off offset:136 ; 8-byte Folded Reload
	v_and_b32_e32 v7, 0xffff0000, v32
	v_lshlrev_b32_e32 v6, 16, v32
	v_and_b32_e32 v3, 0xffff0000, v36
	v_lshlrev_b32_e32 v2, 16, v36
	s_wait_loadcnt 0x0
	s_delay_alu instid0(VALU_DEP_3)
	v_pk_mul_f32 v[6:7], v[10:11], v[6:7]
	scratch_load_b64 v[10:11], off, off offset:128 ; 8-byte Folded Reload
	s_wait_loadcnt 0x0
	v_pk_fma_f32 v[2:3], v[10:11], v[2:3], v[6:7]
	scratch_load_b64 v[10:11], off, off offset:152 ; 8-byte Folded Reload
	v_and_b32_e32 v7, 0xffff0000, v28
	v_lshlrev_b32_e32 v6, 16, v28
	s_wait_loadcnt 0x0
	s_delay_alu instid0(VALU_DEP_1) | instskip(SKIP_4) | instid1(VALU_DEP_1)
	v_pk_fma_f32 v[2:3], v[10:11], v[6:7], v[2:3]
	scratch_load_b64 v[10:11], off, off offset:168 ; 8-byte Folded Reload
	v_and_b32_e32 v7, 0xffff0000, v24
	v_lshlrev_b32_e32 v6, 16, v24
	s_wait_loadcnt 0x0
	v_pk_fma_f32 v[2:3], v[10:11], v[6:7], v[2:3]
	scratch_load_b64 v[10:11], off, off offset:184 ; 8-byte Folded Reload
	v_and_b32_e32 v7, 0xffff0000, v20
	v_lshlrev_b32_e32 v6, 16, v20
	s_wait_loadcnt 0x0
	s_delay_alu instid0(VALU_DEP_1) | instskip(SKIP_4) | instid1(VALU_DEP_1)
	v_pk_fma_f32 v[2:3], v[10:11], v[6:7], v[2:3]
	scratch_load_b64 v[10:11], off, off offset:200 ; 8-byte Folded Reload
	v_and_b32_e32 v7, 0xffff0000, v16
	v_lshlrev_b32_e32 v6, 16, v16
	;; [unrolled: 11-line block ×3, first 2 shown]
	s_wait_loadcnt 0x0
	v_pk_fma_f32 v[2:3], v[10:11], v[6:7], v[2:3]
	scratch_load_b64 v[10:11], off, off offset:324 ; 8-byte Folded Reload
	v_and_b32_e32 v7, 0xffff0000, v4
	v_lshlrev_b32_e32 v6, 16, v4
	s_wait_loadcnt 0x0
	s_delay_alu instid0(VALU_DEP_1)
	v_pk_fma_f32 v[40:41], v[10:11], v[6:7], v[2:3]
	scratch_load_b64 v[10:11], off, off offset:160 ; 8-byte Folded Reload
	v_and_b32_e32 v7, 0xffff0000, v33
	v_lshlrev_b32_e32 v6, 16, v33
	v_and_b32_e32 v3, 0xffff0000, v37
	v_lshlrev_b32_e32 v2, 16, v37
	s_wait_loadcnt 0x0
	s_delay_alu instid0(VALU_DEP_3)
	v_pk_mul_f32 v[6:7], v[10:11], v[6:7]
	scratch_load_b64 v[10:11], off, off offset:144 ; 8-byte Folded Reload
	s_wait_loadcnt 0x0
	v_pk_fma_f32 v[2:3], v[10:11], v[2:3], v[6:7]
	scratch_load_b64 v[10:11], off, off offset:176 ; 8-byte Folded Reload
	v_and_b32_e32 v7, 0xffff0000, v29
	v_lshlrev_b32_e32 v6, 16, v29
	s_wait_loadcnt 0x0
	s_delay_alu instid0(VALU_DEP_1) | instskip(SKIP_4) | instid1(VALU_DEP_1)
	v_pk_fma_f32 v[2:3], v[10:11], v[6:7], v[2:3]
	scratch_load_b64 v[10:11], off, off offset:192 ; 8-byte Folded Reload
	v_and_b32_e32 v7, 0xffff0000, v25
	v_lshlrev_b32_e32 v6, 16, v25
	s_wait_loadcnt 0x0
	v_pk_fma_f32 v[2:3], v[10:11], v[6:7], v[2:3]
	scratch_load_b64 v[10:11], off, off offset:208 ; 8-byte Folded Reload
	v_and_b32_e32 v7, 0xffff0000, v21
	v_lshlrev_b32_e32 v6, 16, v21
	s_wait_loadcnt 0x0
	s_delay_alu instid0(VALU_DEP_1) | instskip(SKIP_4) | instid1(VALU_DEP_1)
	v_pk_fma_f32 v[2:3], v[10:11], v[6:7], v[2:3]
	scratch_load_b64 v[10:11], off, off offset:224 ; 8-byte Folded Reload
	v_and_b32_e32 v7, 0xffff0000, v17
	v_lshlrev_b32_e32 v6, 16, v17
	s_wait_loadcnt 0x0
	v_pk_fma_f32 v[2:3], v[10:11], v[6:7], v[2:3]
	scratch_load_b64 v[10:11], off, off offset:268 ; 8-byte Folded Reload
	v_and_b32_e32 v7, 0xffff0000, v13
	v_lshlrev_b32_e32 v6, 16, v13
	s_wait_loadcnt 0x0
	s_delay_alu instid0(VALU_DEP_1)
	v_pk_fma_f32 v[2:3], v[10:11], v[6:7], v[2:3]
	v_and_b32_e32 v7, 0xffff0000, v9
	v_lshlrev_b32_e32 v6, 16, v9
	scratch_load_b64 v[8:9], off, off offset:300 ; 8-byte Folded Reload
	s_wait_loadcnt 0x0
	v_pk_fma_f32 v[2:3], v[8:9], v[6:7], v[2:3]
	v_and_b32_e32 v7, 0xffff0000, v5
	v_lshlrev_b32_e32 v6, 16, v5
	scratch_load_b64 v[4:5], off, off offset:332 ; 8-byte Folded Reload
	s_wait_loadcnt 0x0
	v_pk_fma_f32 v[56:57], v[4:5], v[6:7], v[2:3]
	global_load_b128 v[2:5], v[48:49], off offset:4608
	s_wait_loadcnt 0x0
	v_and_b32_e32 v51, 0xffff0000, v2
	v_lshlrev_b32_e32 v50, 16, v2
	v_and_b32_e32 v55, 0xffff0000, v3
	v_lshlrev_b32_e32 v54, 16, v3
	;; [unrolled: 2-line block ×4, first 2 shown]
	global_load_b128 v[2:5], v[48:49], off offset:5120
	s_wait_loadcnt 0x0
	v_and_b32_e32 v71, 0xffff0000, v2
	v_lshlrev_b32_e32 v70, 16, v2
	v_and_b32_e32 v67, 0xffff0000, v3
	v_lshlrev_b32_e32 v66, 16, v3
	;; [unrolled: 2-line block ×4, first 2 shown]
	s_clause 0x8
	global_load_b128 v[34:37], v[48:49], off offset:5632
	global_load_b128 v[30:33], v[48:49], off offset:6144
	;; [unrolled: 1-line block ×9, first 2 shown]
	scratch_load_b64 v[72:73], off, off offset:340 ; 8-byte Folded Reload
	s_wait_loadcnt 0x0
	v_pk_fma_f32 v[38:39], v[72:73], v[50:51], v[38:39]
	scratch_load_b64 v[50:51], off, off offset:372 ; 8-byte Folded Reload
	s_wait_loadcnt 0x0
	v_pk_fma_f32 v[38:39], v[50:51], v[70:71], v[38:39]
	scratch_load_b64 v[70:71], off, off offset:404 ; 8-byte Folded Reload
	v_and_b32_e32 v51, 0xffff0000, v34
	v_lshlrev_b32_e32 v50, 16, v34
	s_wait_loadcnt 0x0
	s_delay_alu instid0(VALU_DEP_1) | instskip(SKIP_4) | instid1(VALU_DEP_1)
	v_pk_fma_f32 v[38:39], v[70:71], v[50:51], v[38:39]
	scratch_load_b64 v[70:71], off, off offset:436 ; 8-byte Folded Reload
	v_and_b32_e32 v51, 0xffff0000, v30
	v_lshlrev_b32_e32 v50, 16, v30
	s_wait_loadcnt 0x0
	v_pk_fma_f32 v[38:39], v[70:71], v[50:51], v[38:39]
	scratch_load_b64 v[70:71], off, off offset:468 ; 8-byte Folded Reload
	v_and_b32_e32 v51, 0xffff0000, v26
	v_lshlrev_b32_e32 v50, 16, v26
	s_wait_loadcnt 0x0
	s_delay_alu instid0(VALU_DEP_1) | instskip(SKIP_4) | instid1(VALU_DEP_1)
	v_pk_fma_f32 v[38:39], v[70:71], v[50:51], v[38:39]
	scratch_load_b64 v[70:71], off, off offset:500 ; 8-byte Folded Reload
	v_and_b32_e32 v51, 0xffff0000, v22
	v_lshlrev_b32_e32 v50, 16, v22
	;; [unrolled: 11-line block ×4, first 2 shown]
	s_wait_loadcnt 0x0
	v_pk_fma_f32 v[38:39], v[70:71], v[50:51], v[38:39]
	scratch_load_b64 v[70:71], off, off offset:660 ; 8-byte Folded Reload
	v_and_b32_e32 v51, 0xffff0000, v2
	v_lshlrev_b32_e32 v50, 16, v2
	s_wait_loadcnt 0x0
	s_delay_alu instid0(VALU_DEP_1)
	v_pk_fma_f32 v[50:51], v[70:71], v[50:51], v[38:39]
	scratch_load_b64 v[38:39], off, off offset:348 ; 8-byte Folded Reload
	s_wait_loadcnt 0x0
	v_pk_fma_f32 v[38:39], v[38:39], v[54:55], v[52:53]
	scratch_load_b64 v[52:53], off, off offset:380 ; 8-byte Folded Reload
	s_wait_loadcnt 0x0
	v_pk_fma_f32 v[38:39], v[52:53], v[66:67], v[38:39]
	v_and_b32_e32 v53, 0xffff0000, v35
	v_lshlrev_b32_e32 v52, 16, v35
	scratch_load_b64 v[34:35], off, off offset:412 ; 8-byte Folded Reload
	s_wait_loadcnt 0x0
	v_pk_fma_f32 v[34:35], v[34:35], v[52:53], v[38:39]
	v_and_b32_e32 v39, 0xffff0000, v31
	v_lshlrev_b32_e32 v38, 16, v31
	;; [unrolled: 5-line block ×9, first 2 shown]
	scratch_load_b64 v[2:3], off, off offset:668 ; 8-byte Folded Reload
	s_wait_loadcnt 0x0
	v_pk_fma_f32 v[54:55], v[2:3], v[10:11], v[6:7]
	s_clause 0x2
	scratch_load_b64 v[2:3], off, off offset:356
	scratch_load_b64 v[6:7], off, off offset:388
	;; [unrolled: 1-line block ×3, first 2 shown]
	s_wait_loadcnt 0x2
	v_pk_fma_f32 v[2:3], v[2:3], v[62:63], v[40:41]
	s_wait_loadcnt 0x1
	s_delay_alu instid0(VALU_DEP_1) | instskip(SKIP_3) | instid1(VALU_DEP_1)
	v_pk_fma_f32 v[2:3], v[6:7], v[64:65], v[2:3]
	v_and_b32_e32 v7, 0xffff0000, v36
	v_lshlrev_b32_e32 v6, 16, v36
	s_wait_loadcnt 0x0
	v_pk_fma_f32 v[2:3], v[10:11], v[6:7], v[2:3]
	scratch_load_b64 v[10:11], off, off offset:452 ; 8-byte Folded Reload
	v_and_b32_e32 v7, 0xffff0000, v32
	v_lshlrev_b32_e32 v6, 16, v32
	s_wait_loadcnt 0x0
	s_delay_alu instid0(VALU_DEP_1) | instskip(SKIP_4) | instid1(VALU_DEP_1)
	v_pk_fma_f32 v[2:3], v[10:11], v[6:7], v[2:3]
	scratch_load_b64 v[10:11], off, off offset:484 ; 8-byte Folded Reload
	v_and_b32_e32 v7, 0xffff0000, v28
	v_lshlrev_b32_e32 v6, 16, v28
	s_wait_loadcnt 0x0
	v_pk_fma_f32 v[2:3], v[10:11], v[6:7], v[2:3]
	scratch_load_b64 v[10:11], off, off offset:516 ; 8-byte Folded Reload
	v_and_b32_e32 v7, 0xffff0000, v24
	v_lshlrev_b32_e32 v6, 16, v24
	s_wait_loadcnt 0x0
	s_delay_alu instid0(VALU_DEP_1) | instskip(SKIP_4) | instid1(VALU_DEP_1)
	v_pk_fma_f32 v[2:3], v[10:11], v[6:7], v[2:3]
	scratch_load_b64 v[10:11], off, off offset:548 ; 8-byte Folded Reload
	;; [unrolled: 11-line block ×4, first 2 shown]
	v_and_b32_e32 v7, 0xffff0000, v4
	v_lshlrev_b32_e32 v6, 16, v4
	s_wait_loadcnt 0x0
	v_pk_fma_f32 v[52:53], v[10:11], v[6:7], v[2:3]
	s_clause 0x2
	scratch_load_b64 v[2:3], off, off offset:364
	scratch_load_b64 v[6:7], off, off offset:396
	;; [unrolled: 1-line block ×3, first 2 shown]
	s_wait_loadcnt 0x2
	v_pk_fma_f32 v[2:3], v[2:3], v[58:59], v[56:57]
	s_wait_loadcnt 0x1
	s_delay_alu instid0(VALU_DEP_1) | instskip(SKIP_3) | instid1(VALU_DEP_1)
	v_pk_fma_f32 v[2:3], v[6:7], v[60:61], v[2:3]
	v_and_b32_e32 v7, 0xffff0000, v37
	v_lshlrev_b32_e32 v6, 16, v37
	s_wait_loadcnt 0x0
	v_pk_fma_f32 v[2:3], v[10:11], v[6:7], v[2:3]
	scratch_load_b64 v[10:11], off, off offset:460 ; 8-byte Folded Reload
	v_and_b32_e32 v7, 0xffff0000, v33
	v_lshlrev_b32_e32 v6, 16, v33
	s_wait_loadcnt 0x0
	s_delay_alu instid0(VALU_DEP_1) | instskip(SKIP_4) | instid1(VALU_DEP_1)
	v_pk_fma_f32 v[2:3], v[10:11], v[6:7], v[2:3]
	scratch_load_b64 v[10:11], off, off offset:492 ; 8-byte Folded Reload
	v_and_b32_e32 v7, 0xffff0000, v29
	v_lshlrev_b32_e32 v6, 16, v29
	s_wait_loadcnt 0x0
	v_pk_fma_f32 v[2:3], v[10:11], v[6:7], v[2:3]
	scratch_load_b64 v[10:11], off, off offset:524 ; 8-byte Folded Reload
	v_and_b32_e32 v7, 0xffff0000, v25
	v_lshlrev_b32_e32 v6, 16, v25
	s_wait_loadcnt 0x0
	s_delay_alu instid0(VALU_DEP_1) | instskip(SKIP_4) | instid1(VALU_DEP_1)
	v_pk_fma_f32 v[2:3], v[10:11], v[6:7], v[2:3]
	scratch_load_b64 v[10:11], off, off offset:556 ; 8-byte Folded Reload
	;; [unrolled: 11-line block ×3, first 2 shown]
	v_and_b32_e32 v7, 0xffff0000, v13
	v_lshlrev_b32_e32 v6, 16, v13
	s_wait_loadcnt 0x0
	v_pk_fma_f32 v[2:3], v[10:11], v[6:7], v[2:3]
	v_and_b32_e32 v7, 0xffff0000, v9
	v_lshlrev_b32_e32 v6, 16, v9
	scratch_load_b64 v[8:9], off, off offset:652 ; 8-byte Folded Reload
	s_wait_loadcnt 0x0
	v_pk_fma_f32 v[2:3], v[8:9], v[6:7], v[2:3]
	v_and_b32_e32 v7, 0xffff0000, v5
	v_lshlrev_b32_e32 v6, 16, v5
	scratch_load_b64 v[4:5], off, off offset:684 ; 8-byte Folded Reload
	s_wait_loadcnt 0x0
	v_pk_fma_f32 v[56:57], v[4:5], v[6:7], v[2:3]
	global_load_b128 v[2:5], v[48:49], off offset:10240
	s_wait_loadcnt 0x0
	v_and_b32_e32 v71, 0xffff0000, v2
	v_lshlrev_b32_e32 v70, 16, v2
	v_and_b32_e32 v67, 0xffff0000, v3
	v_lshlrev_b32_e32 v66, 16, v3
	;; [unrolled: 2-line block ×4, first 2 shown]
	global_load_b128 v[2:5], v[48:49], off offset:10752
	s_wait_loadcnt 0x0
	v_and_b32_e32 v73, 0xffff0000, v2
	v_lshlrev_b32_e32 v72, 16, v2
	v_and_b32_e32 v75, 0xffff0000, v3
	v_lshlrev_b32_e32 v74, 16, v3
	;; [unrolled: 2-line block ×4, first 2 shown]
	s_clause 0x9
	global_load_b128 v[38:41], v[48:49], off offset:11264
	global_load_b128 v[34:37], v[48:49], off offset:11776
	global_load_b128 v[30:33], v[48:49], off offset:12288
	global_load_b128 v[26:29], v[48:49], off offset:12800
	global_load_b128 v[22:25], v[48:49], off offset:13312
	global_load_b128 v[18:21], v[48:49], off offset:13824
	global_load_b128 v[14:17], v[48:49], off offset:14336
	global_load_b128 v[10:13], v[48:49], off offset:14848
	global_load_b128 v[6:9], v[48:49], off offset:15360
	global_load_b128 v[2:5], v[48:49], off offset:15872
	scratch_load_b64 v[48:49], off, off offset:692 ; 8-byte Folded Reload
	s_wait_loadcnt 0x0
	v_pk_fma_f32 v[48:49], v[48:49], v[70:71], v[50:51]
	s_clause 0x1
	scratch_load_b64 v[50:51], off, off offset:724
	scratch_load_b64 v[70:71], off, off offset:756
	s_wait_loadcnt 0x1
	v_pk_fma_f32 v[48:49], v[50:51], v[72:73], v[48:49]
	v_and_b32_e32 v51, 0xffff0000, v38
	v_lshlrev_b32_e32 v50, 16, v38
	s_wait_loadcnt 0x0
	s_delay_alu instid0(VALU_DEP_1) | instskip(SKIP_4) | instid1(VALU_DEP_1)
	v_pk_fma_f32 v[48:49], v[70:71], v[50:51], v[48:49]
	scratch_load_b64 v[70:71], off, off offset:788 ; 8-byte Folded Reload
	v_and_b32_e32 v51, 0xffff0000, v34
	v_lshlrev_b32_e32 v50, 16, v34
	s_wait_loadcnt 0x0
	v_pk_fma_f32 v[48:49], v[70:71], v[50:51], v[48:49]
	scratch_load_b64 v[70:71], off, off offset:820 ; 8-byte Folded Reload
	v_and_b32_e32 v51, 0xffff0000, v30
	v_lshlrev_b32_e32 v50, 16, v30
	s_wait_loadcnt 0x0
	s_delay_alu instid0(VALU_DEP_1) | instskip(SKIP_4) | instid1(VALU_DEP_1)
	v_pk_fma_f32 v[48:49], v[70:71], v[50:51], v[48:49]
	scratch_load_b64 v[70:71], off, off offset:852 ; 8-byte Folded Reload
	v_and_b32_e32 v51, 0xffff0000, v26
	v_lshlrev_b32_e32 v50, 16, v26
	s_wait_loadcnt 0x0
	v_pk_fma_f32 v[48:49], v[50:51], v[70:71], v[48:49]
	v_and_b32_e32 v51, 0xffff0000, v22
	v_lshlrev_b32_e32 v50, 16, v22
	s_delay_alu instid0(VALU_DEP_1) | instskip(SKIP_2) | instid1(VALU_DEP_1)
	v_pk_fma_f32 v[48:49], v[50:51], v[82:83], v[48:49]
	v_and_b32_e32 v51, 0xffff0000, v18
	v_lshlrev_b32_e32 v50, 16, v18
	v_pk_fma_f32 v[48:49], v[50:51], v[90:91], v[48:49]
	v_and_b32_e32 v51, 0xffff0000, v14
	v_lshlrev_b32_e32 v50, 16, v14
	s_delay_alu instid0(VALU_DEP_1) | instskip(SKIP_2) | instid1(VALU_DEP_1)
	v_pk_fma_f32 v[48:49], v[50:51], v[98:99], v[48:49]
	v_and_b32_e32 v51, 0xffff0000, v10
	v_lshlrev_b32_e32 v50, 16, v10
	;; [unrolled: 7-line block ×3, first 2 shown]
	v_pk_fma_f32 v[48:49], v[50:51], v[122:123], v[48:49]
	scratch_load_b64 v[50:51], off, off offset:700 ; 8-byte Folded Reload
	s_wait_loadcnt 0x0
	v_pk_fma_f32 v[50:51], v[50:51], v[66:67], v[54:55]
	scratch_load_b64 v[54:55], off, off offset:732 ; 8-byte Folded Reload
	s_wait_loadcnt 0x0
	v_pk_fma_f32 v[50:51], v[54:55], v[74:75], v[50:51]
	v_and_b32_e32 v55, 0xffff0000, v39
	v_lshlrev_b32_e32 v54, 16, v39
	scratch_load_b64 v[38:39], off, off offset:764 ; 8-byte Folded Reload
	s_wait_loadcnt 0x0
	v_pk_fma_f32 v[38:39], v[38:39], v[54:55], v[50:51]
	v_and_b32_e32 v51, 0xffff0000, v35
	v_lshlrev_b32_e32 v50, 16, v35
	;; [unrolled: 5-line block ×4, first 2 shown]
	s_delay_alu instid0(VALU_DEP_1) | instskip(SKIP_2) | instid1(VALU_DEP_1)
	v_pk_fma_f32 v[26:27], v[34:35], v[76:77], v[30:31]
	v_and_b32_e32 v31, 0xffff0000, v23
	v_lshlrev_b32_e32 v30, 16, v23
	v_pk_fma_f32 v[22:23], v[30:31], v[84:85], v[26:27]
	v_and_b32_e32 v27, 0xffff0000, v19
	v_lshlrev_b32_e32 v26, 16, v19
	s_delay_alu instid0(VALU_DEP_1) | instskip(SKIP_2) | instid1(VALU_DEP_1)
	v_pk_fma_f32 v[18:19], v[26:27], v[92:93], v[22:23]
	v_and_b32_e32 v23, 0xffff0000, v15
	v_lshlrev_b32_e32 v22, 16, v15
	v_pk_fma_f32 v[14:15], v[22:23], v[100:101], v[18:19]
	v_and_b32_e32 v19, 0xffff0000, v11
	v_lshlrev_b32_e32 v18, 16, v11
	s_delay_alu instid0(VALU_DEP_1)
	v_pk_fma_f32 v[10:11], v[18:19], v[108:109], v[14:15]
	v_and_b32_e32 v15, 0xffff0000, v7
	v_lshlrev_b32_e32 v14, 16, v7
	scratch_load_b64 v[18:19], off, off offset:780 ; 8-byte Folded Reload
	v_pk_fma_f32 v[6:7], v[14:15], v[116:117], v[10:11]
	v_and_b32_e32 v11, 0xffff0000, v3
	v_lshlrev_b32_e32 v10, 16, v3
	scratch_load_b64 v[14:15], off, off offset:772 ; 8-byte Folded Reload
	v_pk_fma_f32 v[2:3], v[10:11], v[124:125], v[6:7]
	s_clause 0x1
	scratch_load_b64 v[6:7], off, off offset:708
	scratch_load_b64 v[10:11], off, off offset:740
	s_wait_loadcnt 0x1
	v_pk_fma_f32 v[6:7], v[6:7], v[62:63], v[52:53]
	s_wait_loadcnt 0x0
	s_delay_alu instid0(VALU_DEP_1) | instskip(SKIP_2) | instid1(VALU_DEP_1)
	v_pk_fma_f32 v[6:7], v[10:11], v[64:65], v[6:7]
	v_and_b32_e32 v11, 0xffff0000, v40
	v_lshlrev_b32_e32 v10, 16, v40
	v_pk_fma_f32 v[6:7], v[14:15], v[10:11], v[6:7]
	scratch_load_b64 v[14:15], off, off offset:804 ; 8-byte Folded Reload
	v_and_b32_e32 v11, 0xffff0000, v36
	v_lshlrev_b32_e32 v10, 16, v36
	s_wait_loadcnt 0x0
	s_delay_alu instid0(VALU_DEP_1) | instskip(SKIP_4) | instid1(VALU_DEP_1)
	v_pk_fma_f32 v[6:7], v[14:15], v[10:11], v[6:7]
	scratch_load_b64 v[14:15], off, off offset:836 ; 8-byte Folded Reload
	v_and_b32_e32 v11, 0xffff0000, v32
	v_lshlrev_b32_e32 v10, 16, v32
	s_wait_loadcnt 0x0
	v_pk_fma_f32 v[6:7], v[14:15], v[10:11], v[6:7]
	v_and_b32_e32 v11, 0xffff0000, v28
	v_lshlrev_b32_e32 v10, 16, v28
	scratch_load_b64 v[14:15], off, off offset:748 ; 8-byte Folded Reload
	v_pk_fma_f32 v[6:7], v[10:11], v[78:79], v[6:7]
	v_and_b32_e32 v11, 0xffff0000, v24
	v_lshlrev_b32_e32 v10, 16, v24
	s_delay_alu instid0(VALU_DEP_1) | instskip(SKIP_2) | instid1(VALU_DEP_1)
	v_pk_fma_f32 v[6:7], v[10:11], v[86:87], v[6:7]
	v_and_b32_e32 v11, 0xffff0000, v20
	v_lshlrev_b32_e32 v10, 16, v20
	v_pk_fma_f32 v[6:7], v[10:11], v[94:95], v[6:7]
	v_and_b32_e32 v11, 0xffff0000, v16
	v_lshlrev_b32_e32 v10, 16, v16
	s_delay_alu instid0(VALU_DEP_1) | instskip(SKIP_2) | instid1(VALU_DEP_1)
	v_pk_fma_f32 v[6:7], v[10:11], v[102:103], v[6:7]
	v_and_b32_e32 v11, 0xffff0000, v12
	v_dual_lshlrev_b32 v10, 16, v12 :: v_dual_lshlrev_b32 v12, 16, v9
	v_pk_fma_f32 v[6:7], v[10:11], v[110:111], v[6:7]
	v_and_b32_e32 v11, 0xffff0000, v8
	v_lshlrev_b32_e32 v10, 16, v8
	s_delay_alu instid0(VALU_DEP_1) | instskip(SKIP_2) | instid1(VALU_DEP_1)
	v_pk_fma_f32 v[6:7], v[10:11], v[118:119], v[6:7]
	v_and_b32_e32 v11, 0xffff0000, v4
	v_lshlrev_b32_e32 v10, 16, v4
	v_pk_fma_f32 v[6:7], v[10:11], v[42:43], v[6:7]
	scratch_load_b64 v[10:11], off, off offset:716 ; 8-byte Folded Reload
	s_wait_loadcnt 0x0
	v_pk_fma_f32 v[10:11], v[10:11], v[58:59], v[56:57]
	s_delay_alu instid0(VALU_DEP_1) | instskip(SKIP_2) | instid1(VALU_DEP_1)
	v_pk_fma_f32 v[10:11], v[14:15], v[60:61], v[10:11]
	v_and_b32_e32 v15, 0xffff0000, v41
	v_lshlrev_b32_e32 v14, 16, v41
	v_pk_fma_f32 v[10:11], v[18:19], v[14:15], v[10:11]
	scratch_load_b64 v[18:19], off, off offset:812 ; 8-byte Folded Reload
	v_and_b32_e32 v15, 0xffff0000, v37
	v_lshlrev_b32_e32 v14, 16, v37
	s_wait_loadcnt 0x0
	s_delay_alu instid0(VALU_DEP_1) | instskip(SKIP_4) | instid1(VALU_DEP_1)
	v_pk_fma_f32 v[10:11], v[18:19], v[14:15], v[10:11]
	scratch_load_b64 v[18:19], off, off offset:844 ; 8-byte Folded Reload
	v_and_b32_e32 v15, 0xffff0000, v33
	v_lshlrev_b32_e32 v14, 16, v33
	s_wait_loadcnt 0x0
	v_pk_fma_f32 v[10:11], v[18:19], v[14:15], v[10:11]
	v_and_b32_e32 v15, 0xffff0000, v29
	v_lshlrev_b32_e32 v14, 16, v29
	s_delay_alu instid0(VALU_DEP_1) | instskip(SKIP_2) | instid1(VALU_DEP_1)
	v_pk_fma_f32 v[10:11], v[14:15], v[80:81], v[10:11]
	v_and_b32_e32 v15, 0xffff0000, v25
	v_lshlrev_b32_e32 v14, 16, v25
	v_pk_fma_f32 v[10:11], v[14:15], v[88:89], v[10:11]
	v_and_b32_e32 v15, 0xffff0000, v21
	v_lshlrev_b32_e32 v14, 16, v21
	s_delay_alu instid0(VALU_DEP_1) | instskip(SKIP_2) | instid1(VALU_DEP_1)
	v_pk_fma_f32 v[10:11], v[14:15], v[96:97], v[10:11]
	v_and_b32_e32 v15, 0xffff0000, v17
	v_lshlrev_b32_e32 v14, 16, v17
	v_pk_fma_f32 v[10:11], v[14:15], v[104:105], v[10:11]
	v_and_b32_e32 v15, 0xffff0000, v13
	v_lshlrev_b32_e32 v14, 16, v13
	v_and_b32_e32 v13, 0xffff0000, v9
	s_delay_alu instid0(VALU_DEP_2) | instskip(NEXT) | instid1(VALU_DEP_1)
	v_pk_fma_f32 v[10:11], v[14:15], v[112:113], v[10:11]
	v_pk_fma_f32 v[8:9], v[12:13], v[120:121], v[10:11]
	v_and_b32_e32 v11, 0xffff0000, v5
	v_lshlrev_b32_e32 v10, 16, v5
	s_delay_alu instid0(VALU_DEP_1) | instskip(SKIP_1) | instid1(VALU_DEP_1)
	v_pk_fma_f32 v[4:5], v[10:11], v[44:45], v[8:9]
	v_add_f32_e32 v8, v48, v49
	v_add_f32_e32 v2, v8, v2
	s_delay_alu instid0(VALU_DEP_1) | instskip(NEXT) | instid1(VALU_DEP_1)
	v_add_f32_e32 v2, v3, v2
	v_add_f32_e32 v2, v6, v2
	s_delay_alu instid0(VALU_DEP_1) | instskip(NEXT) | instid1(VALU_DEP_1)
	;; [unrolled: 3-line block ×3, first 2 shown]
	v_add_f32_e32 v2, v5, v2
	v_fmac_f32_e32 v69, s25, v2
	s_delay_alu instid0(VALU_DEP_1) | instskip(SKIP_2) | instid1(VALU_DEP_1)
	v_cndmask_b32_e64 v2, 0, v69, s4
	ds_store_b32 v127, v2
	v_max_num_f32_e32 v2, v126, v126
	v_max_num_f32_e32 v2, v2, v69
	s_delay_alu instid0(VALU_DEP_1)
	v_cndmask_b32_e64 v126, v126, v2, s4
	s_branch .LBB152_10
.LBB152_15:
	s_or_b32 exec_lo, exec_lo, s37
	s_clause 0x3
	scratch_load_b32 v70, off, off offset:872
	scratch_load_b32 v127, off, off offset:876
	scratch_load_b32 v26, off, off offset:880
	scratch_load_b32 v27, off, off offset:884
.LBB152_16:
	s_wait_xcnt 0x0
	s_or_b32 exec_lo, exec_lo, s11
	v_mbcnt_lo_u32_b32 v3, -1, 0
	s_clause 0x1
	s_load_b64 s[14:15], s[0:1], 0x0
	s_load_b64 s[24:25], s[0:1], 0x18
	s_delay_alu instid0(VALU_DEP_1) | instskip(SKIP_1) | instid1(VALU_DEP_2)
	v_dual_max_num_f32 v4, v126, v126 :: v_dual_bitop2_b32 v0, 16, v3 bitop3:0x14
	v_xor_b32_e32 v2, 8, v3
	v_cmp_gt_i32_e32 vcc_lo, 32, v0
	v_cndmask_b32_e32 v0, v3, v0, vcc_lo
	s_delay_alu instid0(VALU_DEP_3) | instskip(NEXT) | instid1(VALU_DEP_2)
	v_cmp_gt_i32_e32 vcc_lo, 32, v2
	v_dual_lshlrev_b32 v0, 2, v0 :: v_dual_cndmask_b32 v2, v3, v2, vcc_lo
	ds_bpermute_b32 v1, v0, v126
	s_wait_dscnt 0x0
	v_dual_max_num_f32 v5, v1, v1 :: v_dual_lshlrev_b32 v1, 2, v2
	s_delay_alu instid0(VALU_DEP_1) | instskip(SKIP_4) | instid1(VALU_DEP_1)
	v_dual_max_num_f32 v4, v4, v5 :: v_dual_bitop2_b32 v5, 4, v3 bitop3:0x14
	ds_bpermute_b32 v2, v1, v4
	v_cmp_gt_i32_e32 vcc_lo, 32, v5
	s_wait_dscnt 0x0
	v_dual_cndmask_b32 v5, v3, v5 :: v_dual_max_num_f32 v6, v2, v2
	v_dual_lshlrev_b32 v2, 2, v5 :: v_dual_max_num_f32 v4, v4, v6
	ds_bpermute_b32 v5, v2, v4
	s_wait_dscnt 0x0
	v_dual_max_num_f32 v5, v5, v5 :: v_dual_bitop2_b32 v6, 2, v3 bitop3:0x14
	s_delay_alu instid0(VALU_DEP_1) | instskip(NEXT) | instid1(VALU_DEP_2)
	v_cmp_gt_i32_e32 vcc_lo, 32, v6
	v_dual_max_num_f32 v4, v4, v5 :: v_dual_cndmask_b32 v6, v3, v6, vcc_lo
	s_delay_alu instid0(VALU_DEP_1) | instskip(SKIP_3) | instid1(VALU_DEP_1)
	v_dual_lshlrev_b32 v50, 2, v6 :: v_dual_bitop2_b32 v6, 1, v3 bitop3:0x14
	ds_bpermute_b32 v5, v50, v4
	v_cmp_gt_i32_e32 vcc_lo, 32, v6
	v_cndmask_b32_e32 v3, v3, v6, vcc_lo
	v_lshlrev_b32_e32 v71, 2, v3
	scratch_load_b32 v3, off, off offset:240 ; 4-byte Folded Reload
	s_wait_dscnt 0x0
	v_max_num_f32_e32 v5, v5, v5
	s_delay_alu instid0(VALU_DEP_1)
	v_max_num_f32_e32 v4, v4, v5
	ds_bpermute_b32 v5, v71, v4
	s_wait_loadcnt 0x0
	v_cmp_eq_u32_e32 vcc_lo, 0, v3
	v_lshlrev_b32_e32 v3, 2, v127
	s_wait_xcnt 0x0
	s_and_saveexec_b32 s0, vcc_lo
	s_cbranch_execz .LBB152_18
; %bb.17:
	s_wait_dscnt 0x0
	v_dual_max_num_f32 v5, v5, v5 :: v_dual_max_num_f32 v4, v4, v4
	s_delay_alu instid0(VALU_DEP_1)
	v_max_num_f32_e32 v4, v4, v5
	ds_store_b32 v3, v4 offset:512
.LBB152_18:
	s_or_b32 exec_lo, exec_lo, s0
	scratch_load_b32 v4, off, off offset:240 ; 4-byte Folded Reload
	s_wait_storecnt 0x0
	s_wait_loadcnt_dscnt 0x0
	s_barrier_signal -1
	s_barrier_wait -1
	v_cmp_gt_u32_e64 s0, 4, v4
	v_mov_b32_e32 v4, 0xff7fffff
	s_and_saveexec_b32 s1, s0
; %bb.19:
	ds_load_b32 v4, v27 offset:512
; %bb.20:
	s_or_b32 exec_lo, exec_lo, s1
	s_wait_dscnt 0x0
	ds_bpermute_b32 v5, v50, v4
	v_max_num_f32_e32 v4, v4, v4
	s_lshl_b32 s1, s35, 5
	s_delay_alu instid0(SALU_CYCLE_1) | instskip(NEXT) | instid1(SALU_CYCLE_1)
	s_min_i32 s5, s1, s31
	v_cmp_gt_i32_e64 s1, s5, v70
	s_wait_dscnt 0x0
	v_max_num_f32_e32 v5, v5, v5
	s_delay_alu instid0(VALU_DEP_1) | instskip(SKIP_3) | instid1(VALU_DEP_1)
	v_max_num_f32_e32 v4, v4, v5
	ds_bpermute_b32 v5, v71, v4
	s_wait_dscnt 0x0
	v_max_num_f32_e32 v5, v5, v5
	v_dual_max_num_f32 v5, v4, v5 :: v_dual_mov_b32 v4, 0
	ds_bpermute_b32 v5, v4, v5
	s_and_saveexec_b32 s11, s1
	s_cbranch_execz .LBB152_24
; %bb.21:
	v_lshl_add_u32 v6, v70, 2, 0x220
	v_dual_mov_b32 v4, 0 :: v_dual_mov_b32 v7, v70
	s_mov_b32 s23, 0
.LBB152_22:                             ; =>This Inner Loop Header: Depth=1
	ds_load_b32 v8, v6
	v_add_nc_u32_e32 v7, 0x80, v7
	s_delay_alu instid0(VALU_DEP_1) | instskip(SKIP_3) | instid1(VALU_DEP_1)
	v_cmp_le_i32_e64 s4, s5, v7
	s_or_b32 s23, s4, s23
	s_wait_dscnt 0x0
	v_sub_f32_e32 v8, v8, v5
	v_mul_f32_e32 v8, 0x3fb8aa3b, v8
	s_delay_alu instid0(VALU_DEP_1)
	v_exp_f32_e32 v8, v8
	ds_store_b32 v6, v8
	v_nop
	v_add_f32_e32 v4, v4, v8
	v_add_nc_u32_e32 v6, 0x200, v6
	s_and_not1_b32 exec_lo, exec_lo, s23
	s_cbranch_execnz .LBB152_22
; %bb.23:
	s_or_b32 exec_lo, exec_lo, s23
.LBB152_24:
	s_delay_alu instid0(SALU_CYCLE_1)
	s_or_b32 exec_lo, exec_lo, s11
	ds_bpermute_b32 v0, v0, v4
	s_wait_dscnt 0x0
	v_add_f32_e32 v0, v4, v0
	ds_bpermute_b32 v1, v1, v0
	s_wait_dscnt 0x0
	v_add_f32_e32 v0, v0, v1
	;; [unrolled: 3-line block ×5, first 2 shown]
	s_and_saveexec_b32 s4, vcc_lo
; %bb.25:
	ds_store_b32 v3, v0 offset:528
; %bb.26:
	s_or_b32 exec_lo, exec_lo, s4
	s_wait_dscnt 0x0
	s_barrier_signal -1
	s_barrier_wait -1
	s_and_saveexec_b32 s4, s0
; %bb.27:
	ds_load_b32 v0, v27 offset:528
; %bb.28:
	s_or_b32 exec_lo, exec_lo, s4
	s_wait_dscnt 0x0
	ds_bpermute_b32 v1, v50, v0
	s_wait_dscnt 0x0
	v_dual_mov_b32 v3, 0 :: v_dual_add_f32 v0, v0, v1
	ds_bpermute_b32 v1, v71, v0
	s_wait_dscnt 0x0
	v_dual_add_f32 v0, v0, v1 :: v_dual_mov_b32 v1, 0
	scratch_store_b64 off, v[0:1], off offset:64 ; 8-byte Folded Spill
	s_wait_xcnt 0x0
	ds_bpermute_b32 v0, v3, v0
	s_and_saveexec_b32 s0, s1
	s_cbranch_execz .LBB152_41
; %bb.29:
	s_wait_dscnt 0x0
	v_add_f32_e32 v0, 0x358637bd, v0
	s_mov_b32 s4, -1
	s_mov_b32 s1, exec_lo
	s_delay_alu instid0(VALU_DEP_1) | instskip(NEXT) | instid1(VALU_DEP_1)
	v_div_scale_f32 v1, null, v0, v0, 1.0
	v_rcp_f32_e32 v3, v1
	v_nop
	s_delay_alu instid0(TRANS32_DEP_1) | instskip(NEXT) | instid1(VALU_DEP_1)
	v_fma_f32 v2, -v1, v3, 1.0
	v_fmac_f32_e32 v3, v2, v3
	v_div_scale_f32 v4, vcc_lo, 1.0, v0, 1.0
	s_delay_alu instid0(VALU_DEP_1) | instskip(NEXT) | instid1(VALU_DEP_1)
	v_mul_f32_e32 v5, v4, v3
	v_fma_f32 v2, -v1, v5, v4
	s_delay_alu instid0(VALU_DEP_1) | instskip(SKIP_1) | instid1(VALU_DEP_2)
	v_fmac_f32_e32 v5, v2, v3
	v_xad_u32 v2, v70, -1, s5
	v_fma_f32 v1, -v1, v5, v4
	s_delay_alu instid0(VALU_DEP_1) | instskip(NEXT) | instid1(VALU_DEP_1)
	v_div_fmas_f32 v1, v1, v3, v5
	v_div_fixup_f32 v0, v1, v0, 1.0
	v_mov_b32_e32 v1, v70
	v_cmpx_lt_u32_e32 0x7f, v2
	s_cbranch_execz .LBB152_38
; %bb.30:
	s_delay_alu instid0(VALU_DEP_3) | instskip(NEXT) | instid1(VALU_DEP_1)
	v_dual_mov_b32 v1, v0 :: v_dual_lshrrev_b32 v2, 7, v2
	v_dual_mov_b32 v6, 0 :: v_dual_add_nc_u32 v3, -1, v2
	s_delay_alu instid0(VALU_DEP_1) | instskip(SKIP_1) | instid1(VALU_DEP_2)
	v_lshrrev_b32_e32 v4, 1, v3
	v_cmp_lt_u32_e32 vcc_lo, 13, v3
	v_add_nc_u32_e32 v3, 1, v4
	s_and_saveexec_b32 s4, vcc_lo
	s_cbranch_execz .LBB152_34
; %bb.31:
	s_delay_alu instid0(VALU_DEP_1)
	v_and_b32_e32 v4, -8, v3
	v_lshl_add_u32 v5, v70, 2, 0x220
	s_mov_b32 s11, 0
	s_mov_b32 s23, 0
.LBB152_32:                             ; =>This Inner Loop Header: Depth=1
	ds_load_2addr_stride64_b32 v[6:7], v5 offset1:2
	ds_load_2addr_stride64_b32 v[8:9], v5 offset0:4 offset1:6
	ds_load_2addr_stride64_b32 v[10:11], v5 offset0:8 offset1:10
	;; [unrolled: 1-line block ×7, first 2 shown]
	s_add_co_i32 s23, s23, 16
	v_add_nc_u32_e32 v4, -8, v4
	s_wait_dscnt 0x7
	v_pk_mul_f32 v[6:7], v[0:1], v[6:7]
	s_wait_dscnt 0x6
	v_pk_mul_f32 v[8:9], v[0:1], v[8:9]
	;; [unrolled: 2-line block ×8, first 2 shown]
	ds_store_2addr_stride64_b32 v5, v6, v7 offset1:2
	ds_store_2addr_stride64_b32 v5, v8, v9 offset0:4 offset1:6
	ds_store_2addr_stride64_b32 v5, v10, v11 offset0:8 offset1:10
	;; [unrolled: 1-line block ×7, first 2 shown]
	v_mov_b32_e32 v6, s23
	v_cmp_eq_u32_e32 vcc_lo, 0, v4
	v_add_nc_u32_e32 v5, 0x2000, v5
	s_or_b32 s11, vcc_lo, s11
	s_delay_alu instid0(SALU_CYCLE_1)
	s_and_not1_b32 exec_lo, exec_lo, s11
	s_cbranch_execnz .LBB152_32
; %bb.33:
	s_or_b32 exec_lo, exec_lo, s11
.LBB152_34:
	s_delay_alu instid0(SALU_CYCLE_1) | instskip(NEXT) | instid1(VALU_DEP_1)
	s_or_b32 exec_lo, exec_lo, s4
	v_and_b32_e32 v3, 7, v3
	s_mov_b32 s11, 0
	s_mov_b32 s4, exec_lo
	s_delay_alu instid0(VALU_DEP_1)
	v_cmpx_ne_u32_e32 0, v3
	s_cbranch_execz .LBB152_37
; %bb.35:
	v_lshlrev_b32_e32 v4, 9, v6
	v_lshlrev_b32_e32 v5, 2, v70
	s_delay_alu instid0(VALU_DEP_1)
	v_add3_u32 v4, v4, v5, 0x220
.LBB152_36:                             ; =>This Inner Loop Header: Depth=1
	ds_load_2addr_stride64_b32 v[6:7], v4 offset1:2
	v_add_nc_u32_e32 v3, -1, v3
	s_delay_alu instid0(VALU_DEP_1)
	v_cmp_eq_u32_e32 vcc_lo, 0, v3
	s_or_b32 s11, vcc_lo, s11
	s_wait_dscnt 0x0
	v_pk_mul_f32 v[6:7], v[0:1], v[6:7]
	ds_store_2addr_stride64_b32 v4, v6, v7 offset1:2
	v_add_nc_u32_e32 v4, 0x400, v4
	s_and_not1_b32 exec_lo, exec_lo, s11
	s_cbranch_execnz .LBB152_36
.LBB152_37:
	s_or_b32 exec_lo, exec_lo, s4
	v_add_nc_u32_e32 v1, 1, v2
	s_delay_alu instid0(VALU_DEP_1) | instskip(NEXT) | instid1(VALU_DEP_1)
	v_and_b32_e32 v2, 0x3fffffe, v1
	v_cmp_ne_u32_e32 vcc_lo, v1, v2
	v_lshl_add_u32 v1, v2, 7, v70
	s_or_not1_b32 s4, vcc_lo, exec_lo
.LBB152_38:
	s_or_b32 exec_lo, exec_lo, s1
	s_delay_alu instid0(SALU_CYCLE_1)
	s_and_b32 exec_lo, exec_lo, s4
	s_cbranch_execz .LBB152_41
; %bb.39:
	v_lshl_add_u32 v2, v1, 2, 0x220
	s_mov_b32 s1, 0
.LBB152_40:                             ; =>This Inner Loop Header: Depth=1
	ds_load_b32 v3, v2
	v_add_nc_u32_e32 v1, 0x80, v1
	s_delay_alu instid0(VALU_DEP_1)
	v_cmp_le_i32_e32 vcc_lo, s5, v1
	s_or_b32 s1, vcc_lo, s1
	s_wait_dscnt 0x0
	v_mul_f32_e32 v3, v0, v3
	ds_store_b32 v2, v3
	v_add_nc_u32_e32 v2, 0x200, v2
	s_and_not1_b32 exec_lo, exec_lo, s1
	s_cbranch_execnz .LBB152_40
.LBB152_41:
	s_or_b32 exec_lo, exec_lo, s0
	s_wait_dscnt 0x0
	scratch_load_b64 v[0:1], off, off offset:64 ; 8-byte Folded Reload
	s_wait_loadcnt 0x0
	v_dual_mov_b32 v0, 0 :: v_dual_bitop2_b32 v72, 3, v70 bitop3:0x40
	v_dual_mov_b32 v7, 0 :: v_dual_mov_b32 v6, 0
	v_dual_mov_b32 v5, 0 :: v_dual_mov_b32 v4, 0
	;; [unrolled: 1-line block ×4, first 2 shown]
	scratch_store_b64 off, v[0:1], off offset:64 ; 8-byte Folded Spill
	s_wait_xcnt 0x0
	v_dual_mov_b32 v1, 0 :: v_dual_mov_b32 v0, 0
	scratch_store_b64 off, v[0:1], off offset:72 ; 8-byte Folded Spill
	s_wait_xcnt 0x0
	v_dual_mov_b32 v1, 0 :: v_dual_mov_b32 v0, 0
	;; [unrolled: 3-line block ×11, first 2 shown]
	scratch_store_b64 off, v[0:1], off offset:152 ; 8-byte Folded Spill
	s_wait_storecnt 0x0
	s_barrier_signal -1
	s_barrier_wait -1
	s_wait_xcnt 0x0
	s_and_saveexec_b32 s26, s3
	s_cbranch_execz .LBB152_111
; %bb.42:
	s_clause 0x2
	scratch_store_b32 off, v50, off offset:260
	scratch_store_b32 off, v71, off offset:252
	scratch_load_b64 v[6:7], off, off th:TH_LOAD_LU
	s_abs_i32 s3, s10
	s_wait_loadcnt 0x0
	v_dual_lshlrev_b32 v3, 3, v70 :: v_dual_mov_b32 v7, 0
	s_cvt_f32_u32 s0, s3
	s_sub_co_i32 s27, s8, s9
	v_lshlrev_b32_e32 v4, 5, v72
	v_and_b32_e32 v0, 0x7c, v26
	v_rcp_iflag_f32_e32 v1, s0
	s_lshl_b64 s[0:1], s[20:21], 2
	v_and_b32_e32 v2, 0xf8, v3
	s_add_nc_u64 s[0:1], s[18:19], s[0:1]
	s_sub_co_i32 s20, 0, s3
	s_ashr_i32 s23, s22, 31
	v_dual_mov_b32 v18, v7 :: v_dual_mov_b32 v19, v7
	v_readfirstlane_b32 s8, v1
	v_and_b32_e32 v1, 24, v3
	v_lshl_or_b32 v5, v127, 7, v4
	v_or_b32_e32 v4, 0x1f00, v3
	s_mov_b32 s9, 0
	s_mul_f32 s8, s8, 0x4f7ffffe
	scratch_store_b32 off, v1, off offset:244 ; 4-byte Folded Spill
	s_wait_xcnt 0x0
	v_dual_mov_b32 v1, v7 :: v_dual_add_nc_u32 v126, 0x220, v5
	s_cvt_u32_f32 s8, s8
	s_lshl_b64 s[10:11], s[22:23], 1
	s_ashr_i32 s5, s13, 31
	s_delay_alu instid0(VALU_DEP_1)
	v_add_nc_u64_e32 v[0:1], s[0:1], v[0:1]
	scratch_store_b32 off, v72, off offset:268 ; 4-byte Folded Spill
	v_mov_b32_e32 v16, v7
	s_mul_i32 s20, s20, s8
	s_mov_b32 s4, s13
	s_mul_hi_u32 s0, s8, s20
	v_mov_b32_e32 v17, v7
	scratch_store_b64 off, v[0:1], off offset:8 ; 8-byte Folded Spill
	s_wait_xcnt 0x0
	v_lshlrev_b32_e32 v0, 1, v2
	s_add_co_i32 s13, s35, -1
	s_wait_kmcnt 0x0
	s_add_nc_u64 s[10:11], s[24:25], s[10:11]
	s_mov_b32 s18, s31
	s_add_co_i32 s8, s8, s0
	scratch_store_b64 off, v[0:1], off offset:176 ; 8-byte Folded Spill
	s_wait_xcnt 0x0
	v_lshlrev_b32_e32 v0, 1, v4
	s_mov_b32 s19, s9
	scratch_store_b64 off, v[0:1], off offset:184 ; 8-byte Folded Spill
	s_wait_xcnt 0x0
	v_dual_mov_b32 v0, v7 :: v_dual_mov_b32 v1, v7
	s_clause 0xd
	scratch_store_b64 off, v[0:1], off offset:168
	scratch_store_b64 off, v[0:1], off offset:160
	;; [unrolled: 1-line block ×14, first 2 shown]
	s_branch .LBB152_45
.LBB152_43:                             ;   in Loop: Header=BB152_45 Depth=1
	s_or_b32 exec_lo, exec_lo, s1
	scratch_load_b128 v[6:9], off, off offset:224 th:TH_LOAD_LU ; 16-byte Folded Reload
	s_wait_loadcnt 0x0
	v_cvt_pk_bf16_f32 v0, v8, v9
	scratch_load_b128 v[8:11], off, off offset:208 th:TH_LOAD_LU ; 16-byte Folded Reload
	v_cvt_pk_bf16_f32 v7, v6, v7
	v_pk_mul_bf16 v3, v0, v3
	v_pk_mul_bf16 v13, v0, v63
	s_delay_alu instid0(VALU_DEP_3)
	v_pk_mul_bf16 v2, v7, v2
	v_pk_mul_bf16 v12, v7, v62
	v_pk_mul_bf16 v114, v7, v114
	v_pk_mul_bf16 v115, v0, v115
	v_pk_mul_bf16 v110, v7, v110
	v_pk_mul_bf16 v111, v0, v111
	v_pk_mul_bf16 v106, v7, v106
	v_pk_mul_bf16 v107, v0, v107
	v_pk_mul_bf16 v102, v7, v102
	v_pk_mul_bf16 v103, v0, v103
	v_pk_mul_bf16 v94, v7, v94
	v_pk_mul_bf16 v95, v0, v95
	v_pk_mul_bf16 v90, v7, v90
	v_pk_mul_bf16 v91, v0, v91
	v_pk_mul_bf16 v86, v7, v86
	v_pk_mul_bf16 v87, v0, v87
	s_wait_loadcnt 0x0
	v_cvt_pk_bf16_f32 v1, v8, v9
	v_cvt_pk_bf16_f32 v6, v10, v11
	v_pk_mul_bf16 v9, v0, v67
	v_pk_mul_bf16 v8, v7, v66
	s_delay_alu instid0(VALU_DEP_4)
	v_pk_mul_bf16 v10, v1, v68
	v_pk_mul_bf16 v68, v7, v118
	;; [unrolled: 1-line block ×3, first 2 shown]
	v_lshlrev_b32_e32 v120, 16, v2
	v_and_b32_e32 v2, 0xffff0000, v2
	v_pk_mul_bf16 v4, v1, v4
	v_pk_mul_bf16 v5, v6, v5
	;; [unrolled: 1-line block ×4, first 2 shown]
	v_dual_add_f32 v2, v120, v2 :: v_dual_lshlrev_b32 v120, 16, v3
	v_and_b32_e32 v3, 0xffff0000, v3
	v_pk_mul_bf16 v64, v7, v122
	v_pk_mul_bf16 v63, v6, v65
	;; [unrolled: 1-line block ×4, first 2 shown]
	v_add_f32_e32 v3, v120, v3
	v_pk_mul_bf16 v69, v0, v119
	v_pk_mul_bf16 v67, v6, v125
	;; [unrolled: 1-line block ×4, first 2 shown]
	v_dual_add_f32 v2, v3, v2 :: v_dual_lshlrev_b32 v3, 16, v4
	v_and_b32_e32 v4, 0xffff0000, v4
	v_pk_mul_bf16 v117, v6, v117
	v_pk_mul_bf16 v112, v1, v112
	v_pk_mul_bf16 v108, v1, v108
	v_pk_mul_bf16 v113, v6, v113
	v_add_f32_e32 v3, v3, v4
	v_and_b32_e32 v4, 0xffff0000, v8
	v_pk_mul_bf16 v109, v6, v109
	v_pk_mul_bf16 v104, v1, v104
	v_pk_mul_bf16 v105, v6, v105
	v_dual_add_f32 v2, v3, v2 :: v_dual_lshlrev_b32 v3, 16, v8
	v_and_b32_e32 v8, 0xffff0000, v9
	v_pk_mul_bf16 v97, v6, v97
	v_pk_mul_bf16 v96, v1, v96
	v_pk_mul_bf16 v92, v1, v92
	v_dual_add_f32 v3, v3, v4 :: v_dual_lshlrev_b32 v4, 16, v9
	;; [unrolled: 5-line block ×3, first 2 shown]
	v_and_b32_e32 v5, 0xffff0000, v5
	v_pk_mul_bf16 v20, v1, v20
	s_delay_alu instid0(VALU_DEP_2) | instskip(SKIP_3) | instid1(VALU_DEP_4)
	v_add_f32_e32 v5, v8, v5
	v_and_b32_e32 v8, 0xffff0000, v10
	v_dual_add_f32 v3, v4, v3 :: v_dual_lshlrev_b32 v4, 16, v10
	v_and_b32_e32 v10, 0xffff0000, v13
	v_add_f32_e32 v2, v5, v2
	s_delay_alu instid0(VALU_DEP_3) | instskip(SKIP_2) | instid1(VALU_DEP_2)
	v_dual_add_f32 v4, v4, v8 :: v_dual_lshlrev_b32 v5, 16, v62
	v_lshlrev_b32_e32 v8, 16, v12
	v_and_b32_e32 v12, 0xffff0000, v68
	v_add_f32_e32 v8, v8, v9
	v_lshlrev_b32_e32 v9, 16, v13
	v_and_b32_e32 v13, 0xffff0000, v69
	s_delay_alu instid0(VALU_DEP_2) | instskip(SKIP_1) | instid1(VALU_DEP_2)
	v_dual_add_f32 v9, v9, v10 :: v_dual_add_f32 v3, v4, v3
	v_and_b32_e32 v10, 0xffff0000, v65
	v_add_f32_e32 v4, v9, v8
	v_and_b32_e32 v8, 0xffff0000, v62
	v_and_b32_e32 v9, 0xffff0000, v11
	s_delay_alu instid0(VALU_DEP_2) | instskip(SKIP_1) | instid1(VALU_DEP_2)
	v_dual_add_f32 v5, v5, v8 :: v_dual_lshlrev_b32 v8, 16, v11
	v_and_b32_e32 v11, 0xffff0000, v63
	v_add_f32_e32 v8, v8, v9
	v_and_b32_e32 v9, 0xffff0000, v64
	s_delay_alu instid0(VALU_DEP_4) | instskip(SKIP_1) | instid1(VALU_DEP_1)
	v_add_f32_e32 v4, v5, v4
	v_lshlrev_b32_e32 v5, 16, v64
	v_add_f32_e32 v5, v5, v9
	v_lshlrev_b32_e32 v9, 16, v65
	scratch_load_b64 v[64:65], off, off offset:88 th:TH_LOAD_LU ; 8-byte Folded Reload
	v_dual_add_f32 v9, v9, v10 :: v_dual_lshlrev_b32 v10, 16, v63
	scratch_load_b64 v[62:63], off, off offset:64 th:TH_LOAD_LU ; 8-byte Folded Reload
	v_dual_add_f32 v5, v9, v5 :: v_dual_add_f32 v10, v10, v11
	v_lshlrev_b32_e32 v9, 16, v66
	v_and_b32_e32 v11, 0xffff0000, v66
	s_delay_alu instid0(VALU_DEP_1) | instskip(NEXT) | instid1(VALU_DEP_1)
	v_dual_add_f32 v9, v9, v11 :: v_dual_lshlrev_b32 v11, 16, v68
	v_dual_add_f32 v11, v11, v12 :: v_dual_lshlrev_b32 v12, 16, v69
	s_wait_loadcnt 0x0
	s_delay_alu instid0(VALU_DEP_1) | instskip(SKIP_2) | instid1(VALU_DEP_3)
	v_dual_add_f32 v62, v62, v2 :: v_dual_add_f32 v12, v12, v13
	v_dual_add_f32 v2, v8, v3 :: v_dual_add_f32 v3, v10, v4
	v_dual_add_f32 v4, v9, v5 :: v_dual_lshlrev_b32 v8, 16, v118
	v_add_f32_e32 v5, v12, v11
	v_and_b32_e32 v9, 0xffff0000, v118
	v_and_b32_e32 v10, 0xffff0000, v67
	;; [unrolled: 1-line block ×4, first 2 shown]
	s_delay_alu instid0(VALU_DEP_4) | instskip(NEXT) | instid1(VALU_DEP_1)
	v_dual_add_f32 v8, v8, v9 :: v_dual_lshlrev_b32 v9, 16, v67
	v_dual_add_f32 v5, v8, v5 :: v_dual_add_f32 v9, v9, v10
	v_lshlrev_b32_e32 v8, 16, v114
	v_and_b32_e32 v10, 0xffff0000, v114
	s_delay_alu instid0(VALU_DEP_1) | instskip(NEXT) | instid1(VALU_DEP_1)
	v_dual_add_f32 v8, v8, v10 :: v_dual_lshlrev_b32 v10, 16, v115
	v_add_f32_e32 v10, v10, v11
	s_delay_alu instid0(VALU_DEP_1) | instskip(SKIP_1) | instid1(VALU_DEP_2)
	v_dual_add_f32 v8, v10, v8 :: v_dual_lshlrev_b32 v11, 16, v119
	v_lshlrev_b32_e32 v10, 16, v116
	v_add_f32_e32 v11, v11, v12
	v_and_b32_e32 v12, 0xffff0000, v116
	s_delay_alu instid0(VALU_DEP_1)
	v_add_f32_e32 v10, v10, v12
	scratch_load_b64 v[12:13], off, off offset:72 th:TH_LOAD_LU ; 8-byte Folded Reload
	s_wait_loadcnt 0x0
	v_dual_add_f32 v13, v13, v2 :: v_dual_add_f32 v12, v12, v3
	v_dual_add_f32 v2, v9, v4 :: v_dual_add_f32 v3, v11, v5
	v_dual_add_f32 v4, v10, v8 :: v_dual_lshlrev_b32 v5, 16, v110
	v_and_b32_e32 v8, 0xffff0000, v110
	v_and_b32_e32 v9, 0xffff0000, v111
	v_and_b32_e32 v10, 0xffff0000, v117
	v_and_b32_e32 v11, 0xffff0000, v106
	scratch_store_b64 off, v[12:13], off offset:72 ; 8-byte Folded Spill
	v_dual_add_f32 v5, v5, v8 :: v_dual_lshlrev_b32 v8, 16, v111
	s_wait_xcnt 0x0
	v_and_b32_e32 v12, 0xffff0000, v107
	s_delay_alu instid0(VALU_DEP_2) | instskip(SKIP_1) | instid1(VALU_DEP_2)
	v_add_f32_e32 v8, v8, v9
	v_lshlrev_b32_e32 v9, 16, v117
	v_dual_add_f32 v5, v8, v5 :: v_dual_lshlrev_b32 v8, 16, v112
	s_delay_alu instid0(VALU_DEP_2) | instskip(SKIP_1) | instid1(VALU_DEP_1)
	v_add_f32_e32 v9, v9, v10
	v_and_b32_e32 v10, 0xffff0000, v112
	v_add_f32_e32 v8, v8, v10
	v_lshlrev_b32_e32 v10, 16, v106
	s_delay_alu instid0(VALU_DEP_1) | instskip(SKIP_1) | instid1(VALU_DEP_1)
	v_add_f32_e32 v10, v10, v11
	v_lshlrev_b32_e32 v11, 16, v107
	v_add_f32_e32 v11, v11, v12
	scratch_load_b64 v[12:13], off, off offset:80 th:TH_LOAD_LU ; 8-byte Folded Reload
	s_wait_loadcnt 0x0
	v_add_f32_e32 v12, v12, v3
	v_dual_add_f32 v3, v8, v5 :: v_dual_lshlrev_b32 v5, 16, v108
	v_and_b32_e32 v8, 0xffff0000, v108
	v_add_f32_e32 v13, v13, v2
	v_add_f32_e32 v2, v9, v4
	v_and_b32_e32 v9, 0xffff0000, v102
	s_delay_alu instid0(VALU_DEP_4) | instskip(SKIP_3) | instid1(VALU_DEP_3)
	v_dual_add_f32 v4, v11, v10 :: v_dual_add_f32 v5, v5, v8
	v_lshlrev_b32_e32 v8, 16, v102
	v_and_b32_e32 v10, 0xffff0000, v103
	v_and_b32_e32 v11, 0xffff0000, v113
	v_dual_add_f32 v8, v8, v9 :: v_dual_lshlrev_b32 v9, 16, v103
	v_add_f32_e32 v4, v5, v4
	s_delay_alu instid0(VALU_DEP_2) | instskip(NEXT) | instid1(VALU_DEP_1)
	v_dual_add_f32 v9, v9, v10 :: v_dual_lshlrev_b32 v10, 16, v113
	v_dual_add_f32 v10, v10, v11 :: v_dual_add_f32 v5, v9, v8
	v_and_b32_e32 v9, 0xffff0000, v104
	v_and_b32_e32 v11, 0xffff0000, v109
	v_dual_add_f32 v65, v65, v2 :: v_dual_lshlrev_b32 v8, 16, v104
	s_delay_alu instid0(VALU_DEP_4) | instskip(SKIP_1) | instid1(VALU_DEP_3)
	v_add_f32_e32 v2, v10, v3
	v_and_b32_e32 v10, 0xffff0000, v90
	v_add_f32_e32 v8, v8, v9
	v_lshlrev_b32_e32 v9, 16, v109
	s_delay_alu instid0(VALU_DEP_2) | instskip(NEXT) | instid1(VALU_DEP_2)
	v_dual_add_f32 v5, v8, v5 :: v_dual_lshlrev_b32 v8, 16, v94
	v_add_f32_e32 v9, v9, v11
	v_and_b32_e32 v11, 0xffff0000, v94
	s_delay_alu instid0(VALU_DEP_2)
	v_dual_add_f32 v3, v9, v4 :: v_dual_add_f32 v64, v64, v2
	scratch_store_b64 off, v[12:13], off offset:80 ; 8-byte Folded Spill
	s_wait_xcnt 0x0
	v_and_b32_e32 v12, 0xffff0000, v95
	v_add_f32_e32 v8, v8, v11
	v_lshlrev_b32_e32 v11, 16, v95
	v_and_b32_e32 v13, 0xffff0000, v105
	v_and_b32_e32 v9, 0xffff0000, v97
	s_clause 0x1
	scratch_store_b64 off, v[64:65], off offset:88
	scratch_load_b64 v[64:65], off, off offset:112 th:TH_LOAD_LU
	v_dual_add_f32 v11, v11, v12 :: v_dual_lshlrev_b32 v12, 16, v105
	s_delay_alu instid0(VALU_DEP_1) | instskip(SKIP_2) | instid1(VALU_DEP_3)
	v_dual_add_f32 v8, v11, v8 :: v_dual_add_f32 v12, v12, v13
	v_lshlrev_b32_e32 v11, 16, v96
	v_and_b32_e32 v13, 0xffff0000, v96
	v_add_f32_e32 v4, v12, v5
	s_delay_alu instid0(VALU_DEP_2) | instskip(SKIP_3) | instid1(VALU_DEP_2)
	v_add_f32_e32 v11, v11, v13
	scratch_load_b64 v[12:13], off, off offset:96 th:TH_LOAD_LU ; 8-byte Folded Reload
	v_dual_add_f32 v5, v11, v8 :: v_dual_lshlrev_b32 v8, 16, v97
	v_and_b32_e32 v11, 0xffff0000, v91
	v_dual_add_f32 v8, v8, v9 :: v_dual_lshlrev_b32 v9, 16, v90
	s_delay_alu instid0(VALU_DEP_1) | instskip(SKIP_3) | instid1(VALU_DEP_3)
	v_dual_add_f32 v2, v8, v5 :: v_dual_add_f32 v9, v9, v10
	v_lshlrev_b32_e32 v10, 16, v91
	v_and_b32_e32 v5, 0xffff0000, v92
	v_and_b32_e32 v8, 0xffff0000, v86
	v_add_f32_e32 v10, v10, v11
	v_and_b32_e32 v11, 0xffff0000, v89
	s_wait_loadcnt 0x0
	v_dual_add_f32 v13, v13, v3 :: v_dual_add_f32 v12, v12, v4
	s_delay_alu instid0(VALU_DEP_3)
	v_dual_add_f32 v3, v10, v9 :: v_dual_lshlrev_b32 v4, 16, v92
	v_and_b32_e32 v9, 0xffff0000, v87
	v_and_b32_e32 v10, 0xffff0000, v93
	s_clause 0x1
	scratch_store_b64 off, v[12:13], off offset:96
	scratch_load_b64 v[12:13], off, off offset:104 th:TH_LOAD_LU
	v_dual_add_f32 v4, v4, v5 :: v_dual_lshlrev_b32 v5, 16, v86
	s_delay_alu instid0(VALU_DEP_1) | instskip(NEXT) | instid1(VALU_DEP_2)
	v_dual_add_f32 v5, v5, v8 :: v_dual_lshlrev_b32 v8, 16, v87
	v_dual_add_f32 v3, v4, v3 :: v_dual_lshlrev_b32 v4, 16, v88
	s_delay_alu instid0(VALU_DEP_2) | instskip(SKIP_1) | instid1(VALU_DEP_2)
	v_add_f32_e32 v8, v8, v9
	v_and_b32_e32 v9, 0xffff0000, v88
	v_add_f32_e32 v5, v8, v5
	v_lshlrev_b32_e32 v8, 16, v93
	s_delay_alu instid0(VALU_DEP_3) | instskip(NEXT) | instid1(VALU_DEP_2)
	v_add_f32_e32 v4, v4, v9
	v_dual_add_f32 v8, v8, v10 :: v_dual_lshlrev_b32 v9, 16, v89
	v_pk_mul_bf16 v10, v1, v84
	s_wait_loadcnt 0x0
	s_delay_alu instid0(VALU_DEP_2) | instskip(SKIP_4) | instid1(VALU_DEP_2)
	v_dual_add_f32 v3, v8, v3 :: v_dual_add_f32 v13, v13, v2
	v_pk_mul_bf16 v2, v0, v83
	v_dual_add_f32 v4, v4, v5 :: v_dual_add_f32 v5, v9, v11
	v_pk_mul_bf16 v9, v7, v82
	v_pk_mul_bf16 v11, v1, v80
	v_dual_add_f32 v4, v5, v4 :: v_dual_lshlrev_b32 v5, 16, v9
	v_and_b32_e32 v8, 0xffff0000, v9
	v_lshlrev_b32_e32 v9, 16, v2
	v_and_b32_e32 v2, 0xffff0000, v2
	s_delay_alu instid0(VALU_DEP_4) | instskip(NEXT) | instid1(VALU_DEP_4)
	v_dual_add_f32 v12, v12, v3 :: v_dual_add_f32 v65, v65, v4
	v_dual_add_f32 v3, v5, v8 :: v_dual_lshlrev_b32 v4, 16, v10
	v_and_b32_e32 v5, 0xffff0000, v10
	s_delay_alu instid0(VALU_DEP_4)
	v_add_f32_e32 v2, v9, v2
	v_pk_mul_bf16 v8, v7, v78
	v_pk_mul_bf16 v9, v6, v85
	;; [unrolled: 1-line block ×3, first 2 shown]
	scratch_store_b64 off, v[12:13], off offset:104 ; 8-byte Folded Spill
	v_dual_add_f32 v2, v2, v3 :: v_dual_add_f32 v3, v4, v5
	v_lshlrev_b32_e32 v4, 16, v8
	v_and_b32_e32 v5, 0xffff0000, v8
	s_wait_xcnt 0x0
	v_dual_lshlrev_b32 v8, 16, v10 :: v_dual_lshlrev_b32 v12, 16, v9
	v_and_b32_e32 v10, 0xffff0000, v10
	v_and_b32_e32 v9, 0xffff0000, v9
	v_dual_add_f32 v4, v4, v5 :: v_dual_add_f32 v2, v3, v2
	v_pk_mul_bf16 v13, v1, v60
	s_delay_alu instid0(VALU_DEP_4) | instskip(SKIP_2) | instid1(VALU_DEP_3)
	v_dual_add_f32 v5, v8, v10 :: v_dual_lshlrev_b32 v8, 16, v11
	v_and_b32_e32 v10, 0xffff0000, v11
	v_pk_mul_bf16 v11, v6, v81
	v_dual_add_f32 v3, v12, v9 :: v_dual_add_f32 v4, v5, v4
	v_pk_mul_bf16 v12, v1, v72
	s_delay_alu instid0(VALU_DEP_3) | instskip(SKIP_2) | instid1(VALU_DEP_3)
	v_dual_add_f32 v5, v8, v10 :: v_dual_lshlrev_b32 v8, 16, v11
	v_and_b32_e32 v9, 0xffff0000, v11
	v_pk_mul_bf16 v10, v7, v74
	v_dual_add_f32 v2, v3, v2 :: v_dual_add_f32 v4, v5, v4
	v_pk_mul_bf16 v3, v0, v75
	s_delay_alu instid0(VALU_DEP_3) | instskip(SKIP_1) | instid1(VALU_DEP_3)
	v_dual_add_f32 v5, v8, v9 :: v_dual_lshlrev_b32 v8, 16, v10
	v_and_b32_e32 v9, 0xffff0000, v10
	v_dual_add_f32 v64, v64, v2 :: v_dual_lshlrev_b32 v10, 16, v3
	v_and_b32_e32 v3, 0xffff0000, v3
	v_pk_mul_bf16 v11, v1, v76
	s_delay_alu instid0(VALU_DEP_4)
	v_dual_add_f32 v2, v5, v4 :: v_dual_add_f32 v4, v8, v9
	s_clause 0x1
	scratch_store_b64 off, v[64:65], off offset:112
	scratch_load_b64 v[64:65], off, off offset:120 th:TH_LOAD_LU
	v_add_f32_e32 v3, v10, v3
	v_and_b32_e32 v8, 0xffff0000, v11
	s_wait_loadcnt 0x0
	v_dual_add_f32 v65, v65, v2 :: v_dual_lshlrev_b32 v5, 16, v11
	s_delay_alu instid0(VALU_DEP_3) | instskip(SKIP_2) | instid1(VALU_DEP_4)
	v_add_f32_e32 v3, v3, v4
	v_pk_mul_bf16 v2, v6, v77
	v_pk_mul_bf16 v4, v7, v70
	v_add_f32_e32 v5, v5, v8
	v_pk_mul_bf16 v8, v0, v71
	s_delay_alu instid0(VALU_DEP_4) | instskip(SKIP_1) | instid1(VALU_DEP_4)
	v_lshlrev_b32_e32 v9, 16, v2
	v_and_b32_e32 v2, 0xffff0000, v2
	v_dual_add_f32 v3, v5, v3 :: v_dual_lshlrev_b32 v10, 16, v4
	v_and_b32_e32 v4, 0xffff0000, v4
	s_delay_alu instid0(VALU_DEP_3) | instskip(SKIP_2) | instid1(VALU_DEP_2)
	v_dual_add_f32 v2, v9, v2 :: v_dual_lshlrev_b32 v11, 16, v8
	v_and_b32_e32 v8, 0xffff0000, v8
	v_and_b32_e32 v9, 0xffff0000, v12
	v_dual_add_f32 v2, v2, v3 :: v_dual_add_f32 v5, v11, v8
	v_pk_mul_bf16 v3, v6, v73
	v_lshlrev_b32_e32 v8, 16, v12
	s_delay_alu instid0(VALU_DEP_3) | instskip(NEXT) | instid1(VALU_DEP_2)
	v_dual_add_f32 v4, v10, v4 :: v_dual_add_f32 v64, v64, v2
	v_dual_lshlrev_b32 v10, 16, v3 :: v_dual_add_f32 v8, v8, v9
	s_delay_alu instid0(VALU_DEP_2)
	v_add_f32_e32 v4, v5, v4
	v_pk_mul_bf16 v5, v7, v58
	v_pk_mul_bf16 v9, v0, v59
	scratch_load_b64 v[58:59], off, off offset:128 th:TH_LOAD_LU ; 8-byte Folded Reload
	v_and_b32_e32 v3, 0xffff0000, v3
	v_lshlrev_b32_e32 v11, 16, v5
	v_and_b32_e32 v5, 0xffff0000, v5
	v_dual_lshlrev_b32 v12, 16, v9 :: v_dual_add_f32 v4, v8, v4
	v_and_b32_e32 v9, 0xffff0000, v9
	s_delay_alu instid0(VALU_DEP_3) | instskip(SKIP_2) | instid1(VALU_DEP_3)
	v_dual_add_f32 v3, v10, v3 :: v_dual_add_f32 v5, v11, v5
	v_and_b32_e32 v10, 0xffff0000, v13
	v_pk_mul_bf16 v11, v6, v61
	v_dual_add_f32 v8, v12, v9 :: v_dual_add_f32 v2, v3, v4
	v_lshlrev_b32_e32 v9, 16, v13
	s_delay_alu instid0(VALU_DEP_2) | instskip(NEXT) | instid1(VALU_DEP_2)
	v_dual_add_f32 v3, v8, v5 :: v_dual_lshlrev_b32 v5, 16, v11
	v_add_f32_e32 v4, v9, v10
	v_and_b32_e32 v8, 0xffff0000, v11
	v_pk_mul_bf16 v9, v7, v54
	v_pk_mul_bf16 v10, v1, v56
	;; [unrolled: 1-line block ×3, first 2 shown]
	s_delay_alu instid0(VALU_DEP_2)
	v_lshlrev_b32_e32 v12, 16, v10
	v_and_b32_e32 v10, 0xffff0000, v10
	s_wait_loadcnt 0x0
	v_add_f32_e32 v59, v59, v2
	v_pk_mul_bf16 v2, v0, v55
	v_dual_add_f32 v3, v4, v3 :: v_dual_add_f32 v4, v5, v8
	v_lshlrev_b32_e32 v5, 16, v9
	v_and_b32_e32 v8, 0xffff0000, v9
	s_delay_alu instid0(VALU_DEP_4) | instskip(SKIP_1) | instid1(VALU_DEP_3)
	v_lshlrev_b32_e32 v9, 16, v2
	v_and_b32_e32 v2, 0xffff0000, v2
	v_add_f32_e32 v5, v5, v8
	v_pk_mul_bf16 v8, v7, v50
	s_delay_alu instid0(VALU_DEP_3) | instskip(SKIP_2) | instid1(VALU_DEP_4)
	v_add_f32_e32 v2, v9, v2
	v_pk_mul_bf16 v9, v0, v51
	v_pk_mul_bf16 v51, v1, v52
	v_lshlrev_b32_e32 v13, 16, v8
	v_and_b32_e32 v8, 0xffff0000, v8
	s_delay_alu instid0(VALU_DEP_4) | instskip(SKIP_2) | instid1(VALU_DEP_4)
	v_lshlrev_b32_e32 v50, 16, v9
	v_and_b32_e32 v9, 0xffff0000, v9
	v_dual_add_f32 v2, v2, v5 :: v_dual_add_f32 v5, v12, v10
	v_dual_add_f32 v8, v13, v8 :: v_dual_lshlrev_b32 v10, 16, v51
	s_delay_alu instid0(VALU_DEP_3)
	v_add_f32_e32 v9, v50, v9
	v_and_b32_e32 v12, 0xffff0000, v51
	v_pk_mul_bf16 v13, v6, v53
	v_lshlrev_b32_e32 v50, 16, v11
	v_and_b32_e32 v11, 0xffff0000, v11
	v_add_f32_e32 v8, v9, v8
	s_delay_alu instid0(VALU_DEP_4) | instskip(SKIP_2) | instid1(VALU_DEP_3)
	v_dual_add_f32 v9, v10, v12 :: v_dual_lshlrev_b32 v10, 16, v13
	v_and_b32_e32 v12, 0xffff0000, v13
	v_dual_add_f32 v3, v4, v3 :: v_dual_add_f32 v2, v5, v2
	v_dual_add_f32 v4, v50, v11 :: v_dual_add_f32 v5, v9, v8
	s_delay_alu instid0(VALU_DEP_3)
	v_add_f32_e32 v8, v10, v12
	scratch_load_b64 v[12:13], off, off offset:136 th:TH_LOAD_LU ; 8-byte Folded Reload
	v_pk_mul_bf16 v9, v7, v46
	v_add_f32_e32 v58, v58, v3
	v_pk_mul_bf16 v3, v0, v47
	v_add_f32_e32 v2, v4, v2
	v_add_f32_e32 v4, v8, v5
	v_lshlrev_b32_e32 v5, 16, v9
	v_and_b32_e32 v8, 0xffff0000, v9
	v_lshlrev_b32_e32 v9, 16, v3
	v_and_b32_e32 v3, 0xffff0000, v3
	v_pk_mul_bf16 v10, v1, v48
	v_pk_mul_bf16 v11, v1, v44
	s_wait_loadcnt 0x0
	v_dual_add_f32 v13, v13, v2 :: v_dual_add_f32 v12, v12, v4
	s_delay_alu instid0(VALU_DEP_3)
	v_dual_add_f32 v2, v5, v8 :: v_dual_lshlrev_b32 v4, 16, v10
	v_and_b32_e32 v5, 0xffff0000, v10
	v_pk_mul_bf16 v8, v7, v42
	v_add_f32_e32 v3, v9, v3
	v_pk_mul_bf16 v9, v6, v49
	v_pk_mul_bf16 v10, v0, v43
	scratch_store_b64 off, v[12:13], off offset:136 ; 8-byte Folded Spill
	v_dual_add_f32 v2, v3, v2 :: v_dual_add_f32 v3, v4, v5
	v_lshlrev_b32_e32 v4, 16, v8
	v_and_b32_e32 v5, 0xffff0000, v8
	s_wait_xcnt 0x0
	v_dual_lshlrev_b32 v8, 16, v10 :: v_dual_lshlrev_b32 v12, 16, v9
	v_and_b32_e32 v10, 0xffff0000, v10
	v_and_b32_e32 v9, 0xffff0000, v9
	v_dual_add_f32 v4, v4, v5 :: v_dual_add_f32 v2, v3, v2
	s_delay_alu instid0(VALU_DEP_3) | instskip(SKIP_1) | instid1(VALU_DEP_4)
	v_dual_add_f32 v5, v8, v10 :: v_dual_lshlrev_b32 v8, 16, v11
	v_and_b32_e32 v10, 0xffff0000, v11
	v_add_f32_e32 v3, v12, v9
	v_pk_mul_bf16 v11, v6, v45
	s_delay_alu instid0(VALU_DEP_4)
	v_add_f32_e32 v4, v5, v4
	v_pk_mul_bf16 v12, v1, v36
	v_add_f32_e32 v5, v8, v10
	v_pk_mul_bf16 v10, v7, v38
	;; [unrolled: 2-line block ×3, first 2 shown]
	scratch_load_b64 v[38:39], off, off offset:144 th:TH_LOAD_LU ; 8-byte Folded Reload
	v_lshlrev_b32_e32 v8, 16, v11
	v_and_b32_e32 v9, 0xffff0000, v11
	v_add_f32_e32 v4, v5, v4
	v_pk_mul_bf16 v11, v1, v40
	s_delay_alu instid0(VALU_DEP_3)
	v_dual_add_f32 v5, v8, v9 :: v_dual_lshlrev_b32 v8, 16, v10
	v_and_b32_e32 v9, 0xffff0000, v10
	v_lshlrev_b32_e32 v10, 16, v3
	v_and_b32_e32 v3, 0xffff0000, v3
	s_wait_loadcnt 0x0
	v_dual_add_f32 v39, v39, v2 :: v_dual_add_f32 v2, v5, v4
	v_dual_add_f32 v4, v8, v9 :: v_dual_lshlrev_b32 v5, 16, v11
	v_and_b32_e32 v8, 0xffff0000, v11
	v_add_f32_e32 v3, v10, v3
	v_pk_mul_bf16 v9, v7, v34
	v_pk_mul_bf16 v10, v6, v41
	;; [unrolled: 1-line block ×3, first 2 shown]
	s_delay_alu instid0(VALU_DEP_4) | instskip(NEXT) | instid1(VALU_DEP_4)
	v_add_f32_e32 v3, v3, v4
	v_dual_add_f32 v4, v5, v8 :: v_dual_lshlrev_b32 v5, 16, v9
	v_and_b32_e32 v8, 0xffff0000, v9
	s_delay_alu instid0(VALU_DEP_4) | instskip(SKIP_4) | instid1(VALU_DEP_4)
	v_lshlrev_b32_e32 v9, 16, v11
	v_and_b32_e32 v11, 0xffff0000, v11
	v_lshlrev_b32_e32 v13, 16, v10
	v_and_b32_e32 v10, 0xffff0000, v10
	v_dual_add_f32 v5, v5, v8 :: v_dual_add_f32 v3, v4, v3
	v_dual_add_f32 v8, v9, v11 :: v_dual_lshlrev_b32 v9, 16, v12
	v_and_b32_e32 v11, 0xffff0000, v12
	s_delay_alu instid0(VALU_DEP_4) | instskip(NEXT) | instid1(VALU_DEP_3)
	v_add_f32_e32 v4, v13, v10
	v_dual_add_f32 v38, v38, v2 :: v_dual_add_f32 v2, v8, v5
	v_pk_mul_bf16 v8, v7, v30
	scratch_store_b64 off, v[58:59], off offset:128 ; 8-byte Folded Spill
	v_add_f32_e32 v3, v4, v3
	v_pk_mul_bf16 v4, v0, v31
	v_add_f32_e32 v5, v9, v11
	v_pk_mul_bf16 v9, v6, v37
	v_pk_mul_bf16 v11, v1, v32
	scratch_store_b64 off, v[38:39], off offset:144 ; 8-byte Folded Spill
	v_dual_lshlrev_b32 v10, 16, v4 :: v_dual_add_f32 v2, v5, v2
	v_dual_lshlrev_b32 v5, 16, v8 :: v_dual_lshlrev_b32 v12, 16, v9
	v_and_b32_e32 v8, 0xffff0000, v8
	v_and_b32_e32 v4, 0xffff0000, v4
	;; [unrolled: 1-line block ×3, first 2 shown]
	s_delay_alu instid0(VALU_DEP_3) | instskip(NEXT) | instid1(VALU_DEP_2)
	v_dual_add_f32 v5, v5, v8 :: v_dual_lshlrev_b32 v8, 16, v11
	v_dual_add_f32 v4, v10, v4 :: v_dual_add_f32 v9, v12, v9
	v_and_b32_e32 v10, 0xffff0000, v11
	v_pk_mul_bf16 v11, v6, v33
	s_delay_alu instid0(VALU_DEP_3) | instskip(SKIP_1) | instid1(VALU_DEP_4)
	v_add_f32_e32 v4, v4, v5
	v_pk_mul_bf16 v5, v7, v26
	v_add_f32_e32 v8, v8, v10
	v_pk_mul_bf16 v10, v0, v27
	v_lshlrev_b32_e32 v12, 16, v11
	v_and_b32_e32 v11, 0xffff0000, v11
	v_lshlrev_b32_e32 v13, 16, v5
	v_pk_mul_bf16 v27, v1, v28
	v_dual_lshlrev_b32 v26, 16, v10 :: v_dual_add_f32 v4, v8, v4
	v_and_b32_e32 v10, 0xffff0000, v10
	v_and_b32_e32 v5, 0xffff0000, v5
	v_add_f32_e32 v8, v12, v11
	v_lshlrev_b32_e32 v11, 16, v27
	v_and_b32_e32 v12, 0xffff0000, v27
	v_add_f32_e32 v10, v26, v10
	scratch_load_b64 v[26:27], off, off offset:152 th:TH_LOAD_LU ; 8-byte Folded Reload
	v_add_f32_e32 v5, v13, v5
	s_wait_loadcnt 0x0
	v_dual_add_f32 v2, v9, v2 :: v_dual_add_f32 v27, v27, v3
	s_delay_alu instid0(VALU_DEP_2) | instskip(NEXT) | instid1(VALU_DEP_2)
	v_dual_add_f32 v3, v8, v4 :: v_dual_add_f32 v4, v10, v5
	v_dual_add_f32 v5, v11, v12 :: v_dual_add_f32 v26, v26, v2
	v_pk_mul_bf16 v2, v6, v29
	v_pk_mul_bf16 v11, v1, v24
	v_pk_mul_bf16 v12, v6, v25
	s_delay_alu instid0(VALU_DEP_4)
	v_add_f32_e32 v4, v5, v4
	s_clause 0x1
	scratch_store_b64 off, v[26:27], off offset:152
	scratch_load_b64 v[26:27], off, off offset:160 th:TH_LOAD_LU
	v_pk_mul_bf16 v5, v0, v23
	v_lshlrev_b32_e32 v13, 16, v11
	v_and_b32_e32 v11, 0xffff0000, v11
	s_wait_loadcnt 0x0
	v_add_f32_e32 v27, v27, v3
	v_pk_mul_bf16 v3, v7, v22
	v_lshlrev_b32_e32 v8, 16, v2
	v_and_b32_e32 v2, 0xffff0000, v2
	s_delay_alu instid0(VALU_DEP_3) | instskip(SKIP_3) | instid1(VALU_DEP_3)
	v_lshlrev_b32_e32 v9, 16, v3
	v_and_b32_e32 v3, 0xffff0000, v3
	v_lshlrev_b32_e32 v10, 16, v5
	v_and_b32_e32 v5, 0xffff0000, v5
	v_add_f32_e32 v3, v9, v3
	v_pk_mul_bf16 v9, v7, v18
	s_delay_alu instid0(VALU_DEP_3) | instskip(SKIP_1) | instid1(VALU_DEP_3)
	v_add_f32_e32 v5, v10, v5
	v_pk_mul_bf16 v10, v0, v19
	v_lshlrev_b32_e32 v18, 16, v9
	v_and_b32_e32 v9, 0xffff0000, v9
	s_delay_alu instid0(VALU_DEP_3) | instskip(SKIP_2) | instid1(VALU_DEP_4)
	v_lshlrev_b32_e32 v19, 16, v10
	v_and_b32_e32 v10, 0xffff0000, v10
	v_add_f32_e32 v3, v5, v3
	v_dual_add_f32 v5, v13, v11 :: v_dual_add_f32 v9, v18, v9
	v_and_b32_e32 v13, 0xffff0000, v20
	s_delay_alu instid0(VALU_DEP_4) | instskip(SKIP_3) | instid1(VALU_DEP_4)
	v_dual_add_f32 v10, v19, v10 :: v_dual_lshlrev_b32 v11, 16, v20
	v_pk_mul_bf16 v18, v6, v21
	v_lshlrev_b32_e32 v19, 16, v12
	v_and_b32_e32 v12, 0xffff0000, v12
	v_add_f32_e32 v9, v10, v9
	s_delay_alu instid0(VALU_DEP_4) | instskip(SKIP_3) | instid1(VALU_DEP_4)
	v_dual_add_f32 v10, v11, v13 :: v_dual_lshlrev_b32 v11, 16, v18
	v_add_f32_e32 v3, v5, v3
	v_and_b32_e32 v13, 0xffff0000, v18
	v_dual_add_f32 v2, v8, v2 :: v_dual_add_f32 v5, v19, v12
	v_add_f32_e32 v8, v10, v9
	v_pk_mul_bf16 v10, v7, v14
	s_delay_alu instid0(VALU_DEP_3)
	v_dual_add_f32 v9, v11, v13 :: v_dual_add_f32 v2, v2, v4
	scratch_load_b64 v[12:13], off, off offset:168 th:TH_LOAD_LU ; 8-byte Folded Reload
	v_pk_mul_bf16 v4, v0, v15
	v_add_f32_e32 v3, v5, v3
	v_dual_add_f32 v5, v9, v8 :: v_dual_lshlrev_b32 v8, 16, v10
	v_and_b32_e32 v9, 0xffff0000, v10
	s_delay_alu instid0(VALU_DEP_4)
	v_dual_lshlrev_b32 v10, 16, v4 :: v_dual_add_f32 v26, v26, v2
	v_and_b32_e32 v4, 0xffff0000, v4
	scratch_load_b128 v[18:21], off, off offset:32 th:TH_LOAD_LU ; 16-byte Folded Reload
	v_add_f32_e32 v2, v8, v9
	v_pk_mul_bf16 v9, v6, v17
	s_wait_loadcnt 0x1
	v_dual_add_f32 v13, v13, v3 :: v_dual_add_f32 v12, v12, v5
	scratch_store_b64 off, v[26:27], off offset:160 ; 8-byte Folded Spill
	v_add_f32_e32 v3, v10, v4
	v_pk_mul_bf16 v5, v1, v16
	s_clause 0x1
	scratch_store_b64 off, v[12:13], off offset:168
	scratch_load_b128 v[10:13], off, off offset:48 th:TH_LOAD_LU
	s_wait_loadcnt 0x0
	v_pk_mul_bf16 v4, v7, v10
	v_pk_mul_bf16 v8, v0, v11
	v_add_f32_e32 v2, v3, v2
	v_pk_mul_bf16 v11, v1, v12
	s_delay_alu instid0(VALU_DEP_4) | instskip(SKIP_4) | instid1(VALU_DEP_4)
	v_dual_lshlrev_b32 v12, 16, v5 :: v_dual_lshlrev_b32 v3, 16, v4
	v_and_b32_e32 v4, 0xffff0000, v4
	v_lshlrev_b32_e32 v10, 16, v8
	v_and_b32_e32 v8, 0xffff0000, v8
	v_and_b32_e32 v5, 0xffff0000, v5
	v_add_f32_e32 v3, v3, v4
	s_delay_alu instid0(VALU_DEP_2) | instskip(SKIP_2) | instid1(VALU_DEP_3)
	v_dual_add_f32 v4, v10, v8 :: v_dual_add_f32 v5, v12, v5
	v_lshlrev_b32_e32 v8, 16, v11
	v_and_b32_e32 v10, 0xffff0000, v11
	v_dual_lshlrev_b32 v11, 16, v9 :: v_dual_add_f32 v3, v4, v3
	v_and_b32_e32 v9, 0xffff0000, v9
	s_delay_alu instid0(VALU_DEP_1) | instskip(NEXT) | instid1(VALU_DEP_1)
	v_dual_add_f32 v4, v8, v10 :: v_dual_add_f32 v9, v11, v9
	v_dual_add_f32 v8, v5, v2 :: v_dual_add_f32 v10, v4, v3
	v_pk_mul_bf16 v5, v7, v18
	v_pk_mul_bf16 v3, v0, v19
	scratch_load_b128 v[16:19], off, off offset:16 th:TH_LOAD_LU ; 16-byte Folded Reload
	v_pk_mul_bf16 v2, v6, v13
	v_lshlrev_b32_e32 v11, 16, v5
	v_and_b32_e32 v5, 0xffff0000, v5
	s_delay_alu instid0(VALU_DEP_3) | instskip(SKIP_3) | instid1(VALU_DEP_3)
	v_lshlrev_b32_e32 v4, 16, v2
	v_and_b32_e32 v2, 0xffff0000, v2
	v_lshlrev_b32_e32 v12, 16, v3
	v_and_b32_e32 v3, 0xffff0000, v3
	v_add_f32_e32 v13, v4, v2
	v_pk_mul_bf16 v2, v1, v20
	s_delay_alu instid0(VALU_DEP_3)
	v_dual_add_f32 v4, v11, v5 :: v_dual_add_f32 v3, v12, v3
	s_wait_loadcnt 0x0
	v_pk_mul_bf16 v5, v7, v16
	v_pk_mul_bf16 v11, v0, v17
	v_lshlrev_b32_e32 v12, 16, v2
	v_and_b32_e32 v2, 0xffff0000, v2
	v_pk_mul_bf16 v16, v6, v21
	v_lshlrev_b32_e32 v14, 16, v5
	v_and_b32_e32 v5, 0xffff0000, v5
	v_dual_lshlrev_b32 v15, 16, v11 :: v_dual_add_f32 v17, v3, v4
	v_and_b32_e32 v11, 0xffff0000, v11
	s_delay_alu instid0(VALU_DEP_3) | instskip(SKIP_2) | instid1(VALU_DEP_4)
	v_dual_add_f32 v12, v12, v2 :: v_dual_add_f32 v2, v14, v5
	v_pk_mul_bf16 v4, v1, v18
	v_and_b32_e32 v14, 0xffff0000, v16
	v_dual_add_f32 v3, v15, v11 :: v_dual_lshlrev_b32 v11, 16, v16
	v_pk_mul_bf16 v15, v6, v19
	s_delay_alu instid0(VALU_DEP_4) | instskip(SKIP_1) | instid1(VALU_DEP_4)
	v_lshlrev_b32_e32 v18, 16, v4
	v_and_b32_e32 v19, 0xffff0000, v4
	v_add_f32_e32 v16, v3, v2
	v_pk_mul_bf16 v2, v7, v98
	v_pk_mul_bf16 v4, v0, v99
	;; [unrolled: 1-line block ×4, first 2 shown]
	s_delay_alu instid0(VALU_DEP_4) | instskip(NEXT) | instid1(VALU_DEP_4)
	v_and_b32_e32 v1, 0xffff0000, v2
	v_dual_lshlrev_b32 v3, 16, v2 :: v_dual_lshlrev_b32 v2, 16, v4
	v_and_b32_e32 v0, 0xffff0000, v4
	v_and_b32_e32 v5, 0xffff0000, v7
	v_lshlrev_b32_e32 v7, 16, v7
	v_and_b32_e32 v4, 0xffff0000, v6
	v_lshlrev_b32_e32 v6, 16, v6
	v_pk_add_f32 v[0:1], v[2:3], v[0:1]
	v_add_f32_e32 v18, v18, v19
	v_lshlrev_b32_e32 v19, 16, v15
	v_and_b32_e32 v15, 0xffff0000, v15
	v_pk_add_f32 v[2:3], v[6:7], v[4:5]
	v_add_f32_e32 v0, v0, v1
	v_dual_add_f32 v1, v12, v17 :: v_dual_add_f32 v4, v11, v14
	s_delay_alu instid0(VALU_DEP_4)
	v_dual_add_f32 v5, v18, v16 :: v_dual_add_f32 v6, v19, v15
	s_clause 0x1
	scratch_load_b64 v[18:19], off, off offset:192 th:TH_LOAD_LU
	scratch_load_b64 v[16:17], off, off offset:200 th:TH_LOAD_LU
	v_dual_add_f32 v0, v3, v0 :: v_dual_add_f32 v7, v13, v10
	v_dual_add_f32 v3, v9, v8 :: v_dual_add_f32 v1, v4, v1
	v_add_f32_e32 v4, v6, v5
	s_delay_alu instid0(VALU_DEP_3) | instskip(NEXT) | instid1(VALU_DEP_1)
	v_add_f32_e32 v0, v2, v0
	v_add_f32_e32 v63, v63, v0
	s_clause 0x1
	scratch_store_b64 off, v[64:65], off offset:120
	scratch_store_b64 off, v[62:63], off offset:64
	s_wait_loadcnt 0x1
	v_add_f32_e32 v19, v19, v3
	s_wait_loadcnt 0x0
	v_dual_add_f32 v18, v18, v7 :: v_dual_add_f32 v17, v17, v1
	v_add_f32_e32 v16, v16, v4
.LBB152_44:                             ;   in Loop: Header=BB152_45 Depth=1
	s_wait_xcnt 0x0
	s_or_b32 exec_lo, exec_lo, s20
	s_clause 0x1
	scratch_load_b64 v[0:1], off, off offset:8
	scratch_load_b64 v[6:7], off, off th:TH_LOAD_LU
	v_add_nc_u32_e32 v127, 4, v127
	v_add_nc_u32_e32 v126, 0x200, v126
	s_delay_alu instid0(VALU_DEP_2)
	v_cmp_le_i32_e32 vcc_lo, s35, v127
	s_or_b32 s19, vcc_lo, s19
	s_wait_loadcnt 0x1
	v_add_nc_u64_e32 v[0:1], 16, v[0:1]
	s_wait_loadcnt 0x0
	v_add_nc_u32_e32 v6, 0x80, v6
	scratch_store_b64 off, v[0:1], off offset:8 ; 8-byte Folded Spill
	s_wait_xcnt 0x0
	s_and_not1_b32 exec_lo, exec_lo, s19
	s_cbranch_execz .LBB152_110
.LBB152_45:                             ; =>This Inner Loop Header: Depth=1
	s_wait_xcnt 0x0
	v_mul_u64_e32 v[0:1], s[16:17], v[6:7]
	scratch_store_b64 off, v[6:7], off      ; 8-byte Folded Spill
	v_mul_lo_u32 v0, v1, s12
	s_delay_alu instid0(VALU_DEP_1) | instskip(NEXT) | instid1(VALU_DEP_1)
	v_dual_add_nc_u32 v2, 1, v1 :: v_dual_sub_nc_u32 v0, v6, v0
	v_subrev_nc_u32_e32 v3, s12, v0
	v_cmp_le_u32_e32 vcc_lo, s12, v0
	s_delay_alu instid0(VALU_DEP_2) | instskip(NEXT) | instid1(VALU_DEP_1)
	v_dual_cndmask_b32 v1, v1, v2 :: v_dual_cndmask_b32 v0, v0, v3
	v_add_nc_u32_e32 v2, 1, v1
	s_delay_alu instid0(VALU_DEP_2) | instskip(NEXT) | instid1(VALU_DEP_2)
	v_cmp_le_u32_e32 vcc_lo, s12, v0
	v_dual_cndmask_b32 v0, v1, v2 :: v_dual_mov_b32 v1, v7
	s_delay_alu instid0(VALU_DEP_1) | instskip(NEXT) | instid1(VALU_DEP_1)
	v_xor_b32_e32 v0, s34, v0
	v_subrev_nc_u32_e32 v4, s34, v0
	s_delay_alu instid0(VALU_DEP_1) | instskip(SKIP_1) | instid1(VALU_DEP_2)
	v_add_nc_u32_e32 v5, s33, v4
	v_cmp_lt_i32_e64 s0, s27, v4
	v_sub_nc_u32_e32 v0, 0, v5
	s_delay_alu instid0(VALU_DEP_1) | instskip(NEXT) | instid1(VALU_DEP_1)
	v_max_i32_e32 v0, v5, v0
	v_mul_u64_e32 v[2:3], s[8:9], v[0:1]
	v_ashrrev_i32_e32 v2, 31, v5
	s_delay_alu instid0(VALU_DEP_2) | instskip(NEXT) | instid1(VALU_DEP_1)
	v_mul_lo_u32 v1, v3, s3
	v_sub_nc_u32_e32 v0, v0, v1
	s_delay_alu instid0(VALU_DEP_1) | instskip(SKIP_1) | instid1(VALU_DEP_2)
	v_subrev_nc_u32_e32 v1, s3, v0
	v_cmp_le_u32_e32 vcc_lo, s3, v0
	v_cndmask_b32_e32 v0, v0, v1, vcc_lo
	s_delay_alu instid0(VALU_DEP_1) | instskip(SKIP_1) | instid1(VALU_DEP_2)
	v_subrev_nc_u32_e32 v1, s3, v0
	v_cmp_le_u32_e32 vcc_lo, s3, v0
	v_cndmask_b32_e32 v0, v0, v1, vcc_lo
	s_delay_alu instid0(VALU_DEP_1) | instskip(NEXT) | instid1(VALU_DEP_1)
	v_xor_b32_e32 v0, v0, v2
	v_sub_nc_u32_e32 v0, v0, v2
	s_delay_alu instid0(VALU_DEP_1)
	v_cmp_eq_u32_e32 vcc_lo, 0, v0
	s_or_b32 s0, vcc_lo, s0
	s_wait_xcnt 0x0
	s_and_saveexec_b32 s20, s0
	s_cbranch_execz .LBB152_44
; %bb.46:                               ;   in Loop: Header=BB152_45 Depth=1
	s_clause 0x2
	scratch_store_b64 off, v[16:17], off offset:200
	scratch_store_b64 off, v[18:19], off offset:192
	scratch_load_b64 v[0:1], off, off offset:8
	v_cmp_eq_u32_e32 vcc_lo, s13, v127
	s_wait_loadcnt 0x0
	global_load_b32 v0, v[0:1], off
	s_wait_loadcnt 0x0
	v_ashrrev_i32_e32 v1, 31, v0
	s_delay_alu instid0(VALU_DEP_1) | instskip(NEXT) | instid1(VALU_DEP_1)
	v_mul_u64_e32 v[0:1], s[4:5], v[0:1]
	v_lshl_add_u64 v[98:99], v[0:1], 1, s[10:11]
	s_clause 0x1
	scratch_load_b64 v[0:1], off, off
	scratch_load_b64 v[2:3], off, off offset:176 th:TH_LOAD_LU
	s_wait_loadcnt 0x0
	v_mov_b32_e32 v3, v1
	scratch_load_b32 v1, off, off offset:244 ; 4-byte Folded Reload
	v_mov_b32_e32 v4, v2
	scratch_store_b64 off, v[4:5], off offset:176 ; 8-byte Folded Spill
	s_wait_loadcnt 0x0
	v_add_nc_u32_e32 v10, v1, v0
	v_add_nc_u64_e32 v[2:3], v[98:99], v[2:3]
	s_delay_alu instid0(VALU_DEP_2)
	v_dual_add_nc_u32 v11, 1, v10 :: v_dual_bitop2_b32 v8, 3, v10 bitop3:0x54
	v_or_b32_e32 v9, 2, v10
	global_load_b128 v[4:7], v[2:3], off
	v_or_b32_e32 v0, 7, v10
	v_or_b32_e32 v1, 6, v10
	s_wait_loadcnt 0x0
	scratch_store_b128 off, v[4:7], off offset:16 ; 16-byte Folded Spill
	s_wait_xcnt 0x0
	ds_load_2addr_b64 v[4:7], v126 offset1:1
	s_wait_dscnt 0x0
	scratch_store_b128 off, v[4:7], off offset:224 ; 16-byte Folded Spill
	s_wait_xcnt 0x0
	ds_load_2addr_b64 v[4:7], v126 offset0:2 offset1:3
	s_wait_dscnt 0x0
	scratch_store_b128 off, v[4:7], off offset:208 ; 16-byte Folded Spill
	s_wait_xcnt 0x0
	v_or_b32_e32 v6, 5, v10
	v_or_b32_e32 v7, 4, v10
	s_and_saveexec_b32 s1, vcc_lo
	s_cbranch_execz .LBB152_48
; %bb.47:                               ;   in Loop: Header=BB152_45 Depth=1
	scratch_load_b128 v[14:17], off, off offset:16 th:TH_LOAD_LU ; 16-byte Folded Reload
	v_cmp_gt_i32_e64 s0, s31, v10
	s_wait_loadcnt 0x0
	s_delay_alu instid0(VALU_DEP_1) | instskip(SKIP_1) | instid1(VALU_DEP_1)
	v_dual_lshrrev_b32 v4, 16, v14 :: v_dual_cndmask_b32 v5, 0, v14, s0
	v_cmp_gt_i32_e64 s0, s18, v11
	v_dual_lshrrev_b32 v12, 16, v15 :: v_dual_cndmask_b32 v4, 0, v4, s0
	v_cmp_gt_i32_e64 s0, s31, v9
	s_delay_alu instid0(VALU_DEP_2) | instskip(NEXT) | instid1(VALU_DEP_2)
	v_perm_b32 v18, v4, v5, 0x5040100
	v_cndmask_b32_e64 v13, 0, v15, s0
	v_cmp_gt_i32_e64 s0, s18, v8
	s_delay_alu instid0(VALU_DEP_1) | instskip(SKIP_2) | instid1(VALU_DEP_3)
	v_cndmask_b32_e64 v12, 0, v12, s0
	v_cmp_gt_i32_e64 s0, s31, v7
	v_lshrrev_b32_e32 v14, 16, v16
	v_perm_b32 v19, v12, v13, 0x5040100
	s_delay_alu instid0(VALU_DEP_3) | instskip(SKIP_1) | instid1(VALU_DEP_1)
	v_cndmask_b32_e64 v15, 0, v16, s0
	v_cmp_gt_i32_e64 s0, s18, v6
	v_dual_lshrrev_b32 v16, 16, v17 :: v_dual_cndmask_b32 v14, 0, v14, s0
	v_cmp_gt_i32_e64 s0, s31, v1
	s_delay_alu instid0(VALU_DEP_2) | instskip(NEXT) | instid1(VALU_DEP_2)
	v_perm_b32 v20, v14, v15, 0x5040100
	v_cndmask_b32_e64 v17, 0, v17, s0
	v_cmp_gt_i32_e64 s0, s18, v0
	s_delay_alu instid0(VALU_DEP_1) | instskip(NEXT) | instid1(VALU_DEP_1)
	v_cndmask_b32_e64 v16, 0, v16, s0
	v_perm_b32 v21, v16, v17, 0x5040100
	scratch_store_b128 off, v[18:21], off offset:16 ; 16-byte Folded Spill
.LBB152_48:                             ;   in Loop: Header=BB152_45 Depth=1
	s_wait_xcnt 0x0
	s_or_b32 exec_lo, exec_lo, s1
	global_load_b128 v[12:15], v[2:3], off offset:512
	s_wait_loadcnt 0x0
	scratch_store_b128 off, v[12:15], off offset:32 ; 16-byte Folded Spill
	s_wait_xcnt 0x0
	s_and_saveexec_b32 s1, vcc_lo
	s_cbranch_execz .LBB152_50
; %bb.49:                               ;   in Loop: Header=BB152_45 Depth=1
	scratch_load_b128 v[14:17], off, off offset:32 th:TH_LOAD_LU ; 16-byte Folded Reload
	v_cmp_gt_i32_e64 s0, s31, v10
	s_wait_loadcnt 0x0
	s_delay_alu instid0(VALU_DEP_1) | instskip(SKIP_1) | instid1(VALU_DEP_1)
	v_dual_lshrrev_b32 v4, 16, v14 :: v_dual_cndmask_b32 v5, 0, v14, s0
	v_cmp_gt_i32_e64 s0, s18, v11
	v_dual_lshrrev_b32 v12, 16, v15 :: v_dual_cndmask_b32 v4, 0, v4, s0
	v_cmp_gt_i32_e64 s0, s31, v9
	s_delay_alu instid0(VALU_DEP_2) | instskip(NEXT) | instid1(VALU_DEP_2)
	v_perm_b32 v18, v4, v5, 0x5040100
	v_cndmask_b32_e64 v13, 0, v15, s0
	v_cmp_gt_i32_e64 s0, s18, v8
	s_delay_alu instid0(VALU_DEP_1) | instskip(SKIP_2) | instid1(VALU_DEP_3)
	v_cndmask_b32_e64 v12, 0, v12, s0
	v_cmp_gt_i32_e64 s0, s31, v7
	v_lshrrev_b32_e32 v14, 16, v16
	v_perm_b32 v19, v12, v13, 0x5040100
	s_delay_alu instid0(VALU_DEP_3) | instskip(SKIP_1) | instid1(VALU_DEP_1)
	v_cndmask_b32_e64 v15, 0, v16, s0
	v_cmp_gt_i32_e64 s0, s18, v6
	v_dual_lshrrev_b32 v16, 16, v17 :: v_dual_cndmask_b32 v14, 0, v14, s0
	v_cmp_gt_i32_e64 s0, s31, v1
	s_delay_alu instid0(VALU_DEP_2) | instskip(NEXT) | instid1(VALU_DEP_2)
	v_perm_b32 v20, v14, v15, 0x5040100
	v_cndmask_b32_e64 v17, 0, v17, s0
	v_cmp_gt_i32_e64 s0, s18, v0
	s_delay_alu instid0(VALU_DEP_1) | instskip(NEXT) | instid1(VALU_DEP_1)
	v_cndmask_b32_e64 v16, 0, v16, s0
	v_perm_b32 v21, v16, v17, 0x5040100
	scratch_store_b128 off, v[18:21], off offset:32 ; 16-byte Folded Spill
.LBB152_50:                             ;   in Loop: Header=BB152_45 Depth=1
	s_wait_xcnt 0x0
	s_or_b32 exec_lo, exec_lo, s1
	global_load_b128 v[12:15], v[2:3], off offset:1024
	s_wait_loadcnt 0x0
	scratch_store_b128 off, v[12:15], off offset:48 ; 16-byte Folded Spill
	s_wait_xcnt 0x0
	s_and_saveexec_b32 s1, vcc_lo
	s_cbranch_execnz .LBB152_82
; %bb.51:                               ;   in Loop: Header=BB152_45 Depth=1
	s_or_b32 exec_lo, exec_lo, s1
	global_load_b128 v[14:17], v[2:3], off offset:1536
	s_wait_xcnt 0x0
	s_and_saveexec_b32 s1, vcc_lo
	s_cbranch_execnz .LBB152_83
.LBB152_52:                             ;   in Loop: Header=BB152_45 Depth=1
	s_or_b32 exec_lo, exec_lo, s1
	global_load_b128 v[18:21], v[2:3], off offset:2048
	s_wait_xcnt 0x0
	s_and_saveexec_b32 s1, vcc_lo
	s_cbranch_execnz .LBB152_84
.LBB152_53:                             ;   in Loop: Header=BB152_45 Depth=1
	s_or_b32 exec_lo, exec_lo, s1
	global_load_b128 v[22:25], v[2:3], off offset:2560
	s_wait_xcnt 0x0
	s_and_saveexec_b32 s1, vcc_lo
	s_cbranch_execnz .LBB152_85
.LBB152_54:                             ;   in Loop: Header=BB152_45 Depth=1
	s_or_b32 exec_lo, exec_lo, s1
	global_load_b128 v[26:29], v[2:3], off offset:3072
	s_wait_xcnt 0x0
	s_and_saveexec_b32 s1, vcc_lo
	s_cbranch_execnz .LBB152_86
.LBB152_55:                             ;   in Loop: Header=BB152_45 Depth=1
	s_or_b32 exec_lo, exec_lo, s1
	global_load_b128 v[30:33], v[2:3], off offset:3584
	s_wait_xcnt 0x0
	s_and_saveexec_b32 s1, vcc_lo
	s_cbranch_execnz .LBB152_87
.LBB152_56:                             ;   in Loop: Header=BB152_45 Depth=1
	s_or_b32 exec_lo, exec_lo, s1
	global_load_b128 v[34:37], v[2:3], off offset:4096
	s_wait_xcnt 0x0
	s_and_saveexec_b32 s1, vcc_lo
	s_cbranch_execnz .LBB152_88
.LBB152_57:                             ;   in Loop: Header=BB152_45 Depth=1
	s_or_b32 exec_lo, exec_lo, s1
	global_load_b128 v[38:41], v[2:3], off offset:4608
	s_wait_xcnt 0x0
	s_and_saveexec_b32 s1, vcc_lo
	s_cbranch_execnz .LBB152_89
.LBB152_58:                             ;   in Loop: Header=BB152_45 Depth=1
	s_or_b32 exec_lo, exec_lo, s1
	global_load_b128 v[42:45], v[2:3], off offset:5120
	s_wait_xcnt 0x0
	s_and_saveexec_b32 s1, vcc_lo
	s_cbranch_execnz .LBB152_90
.LBB152_59:                             ;   in Loop: Header=BB152_45 Depth=1
	s_or_b32 exec_lo, exec_lo, s1
	global_load_b128 v[46:49], v[2:3], off offset:5632
	s_wait_xcnt 0x0
	s_and_saveexec_b32 s1, vcc_lo
	s_cbranch_execnz .LBB152_91
.LBB152_60:                             ;   in Loop: Header=BB152_45 Depth=1
	s_or_b32 exec_lo, exec_lo, s1
	global_load_b128 v[50:53], v[2:3], off offset:6144
	s_wait_xcnt 0x0
	s_and_saveexec_b32 s1, vcc_lo
	s_cbranch_execnz .LBB152_92
.LBB152_61:                             ;   in Loop: Header=BB152_45 Depth=1
	s_or_b32 exec_lo, exec_lo, s1
	global_load_b128 v[54:57], v[2:3], off offset:6656
	s_wait_xcnt 0x0
	s_and_saveexec_b32 s1, vcc_lo
	s_cbranch_execnz .LBB152_93
.LBB152_62:                             ;   in Loop: Header=BB152_45 Depth=1
	s_or_b32 exec_lo, exec_lo, s1
	global_load_b128 v[58:61], v[2:3], off offset:7168
	s_wait_xcnt 0x0
	s_and_saveexec_b32 s21, vcc_lo
	s_cbranch_execnz .LBB152_94
.LBB152_63:                             ;   in Loop: Header=BB152_45 Depth=1
	s_or_b32 exec_lo, exec_lo, s21
	global_load_b128 v[70:73], v[2:3], off offset:7680
	s_wait_xcnt 0x0
	s_and_saveexec_b32 s21, vcc_lo
	s_cbranch_execnz .LBB152_95
.LBB152_64:                             ;   in Loop: Header=BB152_45 Depth=1
	s_or_b32 exec_lo, exec_lo, s21
	global_load_b128 v[74:77], v[2:3], off offset:8192
	s_wait_xcnt 0x0
	s_and_saveexec_b32 s21, vcc_lo
	s_cbranch_execnz .LBB152_96
.LBB152_65:                             ;   in Loop: Header=BB152_45 Depth=1
	s_or_b32 exec_lo, exec_lo, s21
	global_load_b128 v[78:81], v[2:3], off offset:8704
	s_wait_xcnt 0x0
	s_and_saveexec_b32 s21, vcc_lo
	s_cbranch_execnz .LBB152_97
.LBB152_66:                             ;   in Loop: Header=BB152_45 Depth=1
	s_or_b32 exec_lo, exec_lo, s21
	global_load_b128 v[82:85], v[2:3], off offset:9216
	s_wait_xcnt 0x0
	s_and_saveexec_b32 s21, vcc_lo
	s_cbranch_execnz .LBB152_98
.LBB152_67:                             ;   in Loop: Header=BB152_45 Depth=1
	s_or_b32 exec_lo, exec_lo, s21
	global_load_b128 v[86:89], v[2:3], off offset:9728
	s_wait_xcnt 0x0
	s_and_saveexec_b32 s21, vcc_lo
	s_cbranch_execnz .LBB152_99
.LBB152_68:                             ;   in Loop: Header=BB152_45 Depth=1
	s_or_b32 exec_lo, exec_lo, s21
	global_load_b128 v[90:93], v[2:3], off offset:10240
	s_wait_xcnt 0x0
	s_and_saveexec_b32 s21, vcc_lo
	s_cbranch_execnz .LBB152_100
.LBB152_69:                             ;   in Loop: Header=BB152_45 Depth=1
	s_or_b32 exec_lo, exec_lo, s21
	global_load_b128 v[94:97], v[2:3], off offset:10752
	s_wait_xcnt 0x0
	s_and_saveexec_b32 s21, vcc_lo
	s_cbranch_execnz .LBB152_101
.LBB152_70:                             ;   in Loop: Header=BB152_45 Depth=1
	s_or_b32 exec_lo, exec_lo, s21
	global_load_b128 v[102:105], v[2:3], off offset:11264
	s_wait_xcnt 0x0
	s_and_saveexec_b32 s21, vcc_lo
	s_cbranch_execnz .LBB152_102
.LBB152_71:                             ;   in Loop: Header=BB152_45 Depth=1
	s_or_b32 exec_lo, exec_lo, s21
	global_load_b128 v[106:109], v[2:3], off offset:11776
	s_wait_xcnt 0x0
	s_and_saveexec_b32 s21, vcc_lo
	s_cbranch_execnz .LBB152_103
.LBB152_72:                             ;   in Loop: Header=BB152_45 Depth=1
	s_or_b32 exec_lo, exec_lo, s21
	global_load_b128 v[110:113], v[2:3], off offset:12288
	s_wait_xcnt 0x0
	s_and_saveexec_b32 s21, vcc_lo
	s_cbranch_execnz .LBB152_104
.LBB152_73:                             ;   in Loop: Header=BB152_45 Depth=1
	s_or_b32 exec_lo, exec_lo, s21
	global_load_b128 v[114:117], v[2:3], off offset:12800
	s_wait_xcnt 0x0
	s_and_saveexec_b32 s21, vcc_lo
	s_cbranch_execnz .LBB152_105
.LBB152_74:                             ;   in Loop: Header=BB152_45 Depth=1
	s_or_b32 exec_lo, exec_lo, s21
	global_load_b128 v[118:121], v[2:3], off offset:13312
	s_wait_xcnt 0x0
	s_and_saveexec_b32 s21, vcc_lo
	s_cbranch_execnz .LBB152_106
.LBB152_75:                             ;   in Loop: Header=BB152_45 Depth=1
	s_or_b32 exec_lo, exec_lo, s21
	global_load_b128 v[122:125], v[2:3], off offset:13824
	s_wait_xcnt 0x0
	s_and_saveexec_b32 s21, vcc_lo
	s_cbranch_execnz .LBB152_107
.LBB152_76:                             ;   in Loop: Header=BB152_45 Depth=1
	s_or_b32 exec_lo, exec_lo, s21
	global_load_b128 v[62:65], v[2:3], off offset:14336
	s_wait_xcnt 0x0
	s_and_saveexec_b32 s21, vcc_lo
	s_cbranch_execnz .LBB152_108
.LBB152_77:                             ;   in Loop: Header=BB152_45 Depth=1
	s_or_b32 exec_lo, exec_lo, s21
	global_load_b128 v[66:69], v[2:3], off offset:14848
	s_wait_xcnt 0x0
	s_and_saveexec_b32 s21, vcc_lo
	s_cbranch_execnz .LBB152_109
.LBB152_78:                             ;   in Loop: Header=BB152_45 Depth=1
	s_or_b32 exec_lo, exec_lo, s21
	global_load_b128 v[2:5], v[2:3], off offset:15360
	s_wait_xcnt 0x0
	s_and_saveexec_b32 s21, vcc_lo
	s_cbranch_execz .LBB152_80
.LBB152_79:                             ;   in Loop: Header=BB152_45 Depth=1
	v_cmp_gt_i32_e64 s0, s31, v10
	v_cmp_gt_i32_e64 s1, s18, v11
	s_wait_loadcnt 0x0
	s_delay_alu instid0(VALU_DEP_2) | instskip(SKIP_1) | instid1(VALU_DEP_2)
	v_dual_lshrrev_b32 v12, 16, v2 :: v_dual_cndmask_b32 v2, 0, v2, s0
	v_cmp_gt_i32_e64 s0, s18, v8
	v_cndmask_b32_e64 v12, 0, v12, s1
	v_cmp_gt_i32_e64 s1, s31, v9
	s_delay_alu instid0(VALU_DEP_2) | instskip(NEXT) | instid1(VALU_DEP_2)
	v_perm_b32 v2, v12, v2, 0x5040100
	v_dual_cndmask_b32 v12, 0, v3, s1 :: v_dual_lshrrev_b32 v3, 16, v3
	v_cmp_gt_i32_e64 s1, s31, v7
	s_delay_alu instid0(VALU_DEP_2) | instskip(SKIP_1) | instid1(VALU_DEP_2)
	v_cndmask_b32_e64 v3, 0, v3, s0
	v_cmp_gt_i32_e64 s0, s18, v6
	v_perm_b32 v3, v3, v12, 0x5040100
	s_delay_alu instid0(VALU_DEP_4) | instskip(SKIP_1) | instid1(VALU_DEP_2)
	v_dual_cndmask_b32 v12, 0, v4, s1 :: v_dual_lshrrev_b32 v4, 16, v4
	v_cmp_gt_i32_e64 s1, s31, v1
	v_cndmask_b32_e64 v4, 0, v4, s0
	v_cmp_gt_i32_e64 s0, s18, v0
	s_delay_alu instid0(VALU_DEP_2) | instskip(NEXT) | instid1(VALU_DEP_4)
	v_perm_b32 v4, v4, v12, 0x5040100
	v_dual_cndmask_b32 v12, 0, v5, s1 :: v_dual_lshrrev_b32 v5, 16, v5
	s_delay_alu instid0(VALU_DEP_1) | instskip(NEXT) | instid1(VALU_DEP_1)
	v_cndmask_b32_e64 v5, 0, v5, s0
	v_perm_b32 v5, v5, v12, 0x5040100
.LBB152_80:                             ;   in Loop: Header=BB152_45 Depth=1
	s_or_b32 exec_lo, exec_lo, s21
	s_clause 0x1
	scratch_load_b64 v[12:13], off, off
	scratch_load_b64 v[100:101], off, off offset:184 th:TH_LOAD_LU
	s_wait_loadcnt 0x0
	v_mov_b32_e32 v12, v100
	scratch_store_b64 off, v[100:101], off offset:184 ; 8-byte Folded Spill
	v_add_nc_u64_e32 v[12:13], v[98:99], v[12:13]
	global_load_b128 v[98:101], v[12:13], off
	s_wait_xcnt 0x0
	s_and_saveexec_b32 s1, vcc_lo
	s_cbranch_execz .LBB152_43
; %bb.81:                               ;   in Loop: Header=BB152_45 Depth=1
	v_cmp_gt_i32_e32 vcc_lo, s31, v10
	v_cmp_gt_i32_e64 s0, s18, v11
	s_wait_loadcnt 0x0
	v_dual_cndmask_b32 v11, 0, v98 :: v_dual_lshrrev_b32 v10, 16, v98
	v_cmp_gt_i32_e32 vcc_lo, s18, v8
	s_delay_alu instid0(VALU_DEP_2) | instskip(SKIP_1) | instid1(VALU_DEP_1)
	v_cndmask_b32_e64 v10, 0, v10, s0
	v_cmp_gt_i32_e64 s0, s31, v9
	v_cndmask_b32_e64 v8, 0, v99, s0
	v_cmp_gt_i32_e64 s0, s31, v7
	v_dual_lshrrev_b32 v9, 16, v99 :: v_dual_lshrrev_b32 v7, 16, v100
	v_perm_b32 v98, v10, v11, 0x5040100
	s_delay_alu instid0(VALU_DEP_2)
	v_cndmask_b32_e32 v9, 0, v9, vcc_lo
	v_cmp_gt_i32_e32 vcc_lo, s18, v6
	v_cndmask_b32_e64 v6, 0, v100, s0
	v_cmp_gt_i32_e64 s0, s31, v1
	v_lshrrev_b32_e32 v1, 16, v101
	v_perm_b32 v99, v9, v8, 0x5040100
	v_cndmask_b32_e32 v7, 0, v7, vcc_lo
	v_cmp_gt_i32_e32 vcc_lo, s18, v0
	v_cndmask_b32_e64 v0, 0, v101, s0
	s_delay_alu instid0(VALU_DEP_3) | instskip(SKIP_1) | instid1(VALU_DEP_1)
	v_perm_b32 v100, v7, v6, 0x5040100
	v_cndmask_b32_e32 v1, 0, v1, vcc_lo
	v_perm_b32 v101, v1, v0, 0x5040100
	s_branch .LBB152_43
.LBB152_82:                             ;   in Loop: Header=BB152_45 Depth=1
	scratch_load_b128 v[14:17], off, off offset:48 th:TH_LOAD_LU ; 16-byte Folded Reload
	v_cmp_gt_i32_e64 s0, s31, v10
	s_wait_loadcnt 0x0
	s_delay_alu instid0(VALU_DEP_1) | instskip(SKIP_1) | instid1(VALU_DEP_1)
	v_dual_lshrrev_b32 v4, 16, v14 :: v_dual_cndmask_b32 v5, 0, v14, s0
	v_cmp_gt_i32_e64 s0, s18, v11
	v_dual_lshrrev_b32 v12, 16, v15 :: v_dual_cndmask_b32 v4, 0, v4, s0
	v_cmp_gt_i32_e64 s0, s31, v9
	s_delay_alu instid0(VALU_DEP_2) | instskip(NEXT) | instid1(VALU_DEP_2)
	v_perm_b32 v18, v4, v5, 0x5040100
	v_cndmask_b32_e64 v13, 0, v15, s0
	v_cmp_gt_i32_e64 s0, s18, v8
	s_delay_alu instid0(VALU_DEP_1) | instskip(SKIP_2) | instid1(VALU_DEP_3)
	v_cndmask_b32_e64 v12, 0, v12, s0
	v_cmp_gt_i32_e64 s0, s31, v7
	v_lshrrev_b32_e32 v14, 16, v16
	v_perm_b32 v19, v12, v13, 0x5040100
	s_delay_alu instid0(VALU_DEP_3) | instskip(SKIP_1) | instid1(VALU_DEP_1)
	v_cndmask_b32_e64 v15, 0, v16, s0
	v_cmp_gt_i32_e64 s0, s18, v6
	v_dual_lshrrev_b32 v16, 16, v17 :: v_dual_cndmask_b32 v14, 0, v14, s0
	v_cmp_gt_i32_e64 s0, s31, v1
	s_delay_alu instid0(VALU_DEP_2) | instskip(NEXT) | instid1(VALU_DEP_2)
	v_perm_b32 v20, v14, v15, 0x5040100
	v_cndmask_b32_e64 v17, 0, v17, s0
	v_cmp_gt_i32_e64 s0, s18, v0
	s_delay_alu instid0(VALU_DEP_1) | instskip(NEXT) | instid1(VALU_DEP_1)
	v_cndmask_b32_e64 v16, 0, v16, s0
	v_perm_b32 v21, v16, v17, 0x5040100
	scratch_store_b128 off, v[18:21], off offset:48 ; 16-byte Folded Spill
	s_wait_xcnt 0x0
	s_or_b32 exec_lo, exec_lo, s1
	global_load_b128 v[14:17], v[2:3], off offset:1536
	s_wait_xcnt 0x0
	s_and_saveexec_b32 s1, vcc_lo
	s_cbranch_execz .LBB152_52
.LBB152_83:                             ;   in Loop: Header=BB152_45 Depth=1
	v_cmp_gt_i32_e64 s0, s31, v10
	s_wait_loadcnt 0x0
	s_delay_alu instid0(VALU_DEP_1) | instskip(SKIP_1) | instid1(VALU_DEP_1)
	v_dual_lshrrev_b32 v4, 16, v14 :: v_dual_cndmask_b32 v5, 0, v14, s0
	v_cmp_gt_i32_e64 s0, s18, v11
	v_dual_lshrrev_b32 v12, 16, v15 :: v_dual_cndmask_b32 v4, 0, v4, s0
	v_cmp_gt_i32_e64 s0, s31, v9
	s_delay_alu instid0(VALU_DEP_1) | instskip(SKIP_1) | instid1(VALU_DEP_1)
	v_cndmask_b32_e64 v13, 0, v15, s0
	v_cmp_gt_i32_e64 s0, s18, v8
	v_cndmask_b32_e64 v12, 0, v12, s0
	v_cmp_gt_i32_e64 s0, s31, v7
	s_delay_alu instid0(VALU_DEP_1) | instskip(SKIP_1) | instid1(VALU_DEP_1)
	v_dual_lshrrev_b32 v14, 16, v16 :: v_dual_cndmask_b32 v16, 0, v16, s0
	v_cmp_gt_i32_e64 s0, s18, v6
	v_dual_lshrrev_b32 v15, 16, v17 :: v_dual_cndmask_b32 v18, 0, v14, s0
	v_cmp_gt_i32_e64 s0, s31, v1
	v_perm_b32 v14, v4, v5, 0x5040100
	s_delay_alu instid0(VALU_DEP_3) | instskip(NEXT) | instid1(VALU_DEP_3)
	v_perm_b32 v16, v18, v16, 0x5040100
	v_cndmask_b32_e64 v17, 0, v17, s0
	v_cmp_gt_i32_e64 s0, s18, v0
	s_delay_alu instid0(VALU_DEP_1) | instskip(SKIP_1) | instid1(VALU_DEP_2)
	v_cndmask_b32_e64 v19, 0, v15, s0
	v_perm_b32 v15, v12, v13, 0x5040100
	v_perm_b32 v17, v19, v17, 0x5040100
	s_or_b32 exec_lo, exec_lo, s1
	global_load_b128 v[18:21], v[2:3], off offset:2048
	s_wait_xcnt 0x0
	s_and_saveexec_b32 s1, vcc_lo
	s_cbranch_execz .LBB152_53
.LBB152_84:                             ;   in Loop: Header=BB152_45 Depth=1
	v_cmp_gt_i32_e64 s0, s31, v10
	s_wait_loadcnt 0x0
	s_delay_alu instid0(VALU_DEP_1) | instskip(SKIP_1) | instid1(VALU_DEP_1)
	v_dual_lshrrev_b32 v4, 16, v18 :: v_dual_cndmask_b32 v5, 0, v18, s0
	v_cmp_gt_i32_e64 s0, s18, v11
	v_dual_lshrrev_b32 v12, 16, v19 :: v_dual_cndmask_b32 v4, 0, v4, s0
	v_cmp_gt_i32_e64 s0, s31, v9
	s_delay_alu instid0(VALU_DEP_1) | instskip(SKIP_1) | instid1(VALU_DEP_1)
	v_cndmask_b32_e64 v13, 0, v19, s0
	v_cmp_gt_i32_e64 s0, s18, v8
	v_cndmask_b32_e64 v12, 0, v12, s0
	v_cmp_gt_i32_e64 s0, s31, v7
	s_delay_alu instid0(VALU_DEP_1) | instskip(SKIP_1) | instid1(VALU_DEP_1)
	v_dual_lshrrev_b32 v18, 16, v20 :: v_dual_cndmask_b32 v20, 0, v20, s0
	v_cmp_gt_i32_e64 s0, s18, v6
	v_dual_lshrrev_b32 v19, 16, v21 :: v_dual_cndmask_b32 v22, 0, v18, s0
	v_cmp_gt_i32_e64 s0, s31, v1
	v_perm_b32 v18, v4, v5, 0x5040100
	s_delay_alu instid0(VALU_DEP_3) | instskip(NEXT) | instid1(VALU_DEP_3)
	v_perm_b32 v20, v22, v20, 0x5040100
	v_cndmask_b32_e64 v21, 0, v21, s0
	v_cmp_gt_i32_e64 s0, s18, v0
	s_delay_alu instid0(VALU_DEP_1) | instskip(SKIP_1) | instid1(VALU_DEP_2)
	v_cndmask_b32_e64 v23, 0, v19, s0
	v_perm_b32 v19, v12, v13, 0x5040100
	v_perm_b32 v21, v23, v21, 0x5040100
	s_or_b32 exec_lo, exec_lo, s1
	global_load_b128 v[22:25], v[2:3], off offset:2560
	s_wait_xcnt 0x0
	s_and_saveexec_b32 s1, vcc_lo
	s_cbranch_execz .LBB152_54
.LBB152_85:                             ;   in Loop: Header=BB152_45 Depth=1
	v_cmp_gt_i32_e64 s0, s31, v10
	s_wait_loadcnt 0x0
	s_delay_alu instid0(VALU_DEP_1) | instskip(SKIP_1) | instid1(VALU_DEP_1)
	v_dual_lshrrev_b32 v4, 16, v22 :: v_dual_cndmask_b32 v5, 0, v22, s0
	v_cmp_gt_i32_e64 s0, s18, v11
	v_dual_lshrrev_b32 v12, 16, v23 :: v_dual_cndmask_b32 v4, 0, v4, s0
	v_cmp_gt_i32_e64 s0, s31, v9
	s_delay_alu instid0(VALU_DEP_1) | instskip(SKIP_1) | instid1(VALU_DEP_1)
	v_cndmask_b32_e64 v13, 0, v23, s0
	v_cmp_gt_i32_e64 s0, s18, v8
	v_cndmask_b32_e64 v12, 0, v12, s0
	v_cmp_gt_i32_e64 s0, s31, v7
	s_delay_alu instid0(VALU_DEP_1) | instskip(SKIP_1) | instid1(VALU_DEP_1)
	v_dual_lshrrev_b32 v22, 16, v24 :: v_dual_cndmask_b32 v24, 0, v24, s0
	v_cmp_gt_i32_e64 s0, s18, v6
	v_dual_lshrrev_b32 v23, 16, v25 :: v_dual_cndmask_b32 v26, 0, v22, s0
	v_cmp_gt_i32_e64 s0, s31, v1
	v_perm_b32 v22, v4, v5, 0x5040100
	s_delay_alu instid0(VALU_DEP_3) | instskip(NEXT) | instid1(VALU_DEP_3)
	v_perm_b32 v24, v26, v24, 0x5040100
	v_cndmask_b32_e64 v25, 0, v25, s0
	v_cmp_gt_i32_e64 s0, s18, v0
	s_delay_alu instid0(VALU_DEP_1) | instskip(SKIP_1) | instid1(VALU_DEP_2)
	v_cndmask_b32_e64 v27, 0, v23, s0
	v_perm_b32 v23, v12, v13, 0x5040100
	v_perm_b32 v25, v27, v25, 0x5040100
	s_or_b32 exec_lo, exec_lo, s1
	global_load_b128 v[26:29], v[2:3], off offset:3072
	s_wait_xcnt 0x0
	s_and_saveexec_b32 s1, vcc_lo
	s_cbranch_execz .LBB152_55
.LBB152_86:                             ;   in Loop: Header=BB152_45 Depth=1
	v_cmp_gt_i32_e64 s0, s31, v10
	s_wait_loadcnt 0x0
	s_delay_alu instid0(VALU_DEP_1) | instskip(SKIP_1) | instid1(VALU_DEP_1)
	v_dual_lshrrev_b32 v4, 16, v26 :: v_dual_cndmask_b32 v5, 0, v26, s0
	v_cmp_gt_i32_e64 s0, s18, v11
	v_dual_lshrrev_b32 v12, 16, v27 :: v_dual_cndmask_b32 v4, 0, v4, s0
	v_cmp_gt_i32_e64 s0, s31, v9
	s_delay_alu instid0(VALU_DEP_1) | instskip(SKIP_1) | instid1(VALU_DEP_1)
	v_cndmask_b32_e64 v13, 0, v27, s0
	v_cmp_gt_i32_e64 s0, s18, v8
	v_cndmask_b32_e64 v12, 0, v12, s0
	v_cmp_gt_i32_e64 s0, s31, v7
	s_delay_alu instid0(VALU_DEP_1) | instskip(SKIP_1) | instid1(VALU_DEP_1)
	v_dual_lshrrev_b32 v26, 16, v28 :: v_dual_cndmask_b32 v28, 0, v28, s0
	v_cmp_gt_i32_e64 s0, s18, v6
	v_dual_lshrrev_b32 v27, 16, v29 :: v_dual_cndmask_b32 v30, 0, v26, s0
	v_cmp_gt_i32_e64 s0, s31, v1
	v_perm_b32 v26, v4, v5, 0x5040100
	s_delay_alu instid0(VALU_DEP_3) | instskip(NEXT) | instid1(VALU_DEP_3)
	v_perm_b32 v28, v30, v28, 0x5040100
	v_cndmask_b32_e64 v29, 0, v29, s0
	v_cmp_gt_i32_e64 s0, s18, v0
	s_delay_alu instid0(VALU_DEP_1) | instskip(SKIP_1) | instid1(VALU_DEP_2)
	v_cndmask_b32_e64 v31, 0, v27, s0
	v_perm_b32 v27, v12, v13, 0x5040100
	v_perm_b32 v29, v31, v29, 0x5040100
	s_or_b32 exec_lo, exec_lo, s1
	global_load_b128 v[30:33], v[2:3], off offset:3584
	s_wait_xcnt 0x0
	s_and_saveexec_b32 s1, vcc_lo
	s_cbranch_execz .LBB152_56
.LBB152_87:                             ;   in Loop: Header=BB152_45 Depth=1
	v_cmp_gt_i32_e64 s0, s31, v10
	s_wait_loadcnt 0x0
	s_delay_alu instid0(VALU_DEP_1) | instskip(SKIP_1) | instid1(VALU_DEP_1)
	v_dual_lshrrev_b32 v4, 16, v30 :: v_dual_cndmask_b32 v5, 0, v30, s0
	v_cmp_gt_i32_e64 s0, s18, v11
	v_dual_lshrrev_b32 v12, 16, v31 :: v_dual_cndmask_b32 v4, 0, v4, s0
	v_cmp_gt_i32_e64 s0, s31, v9
	s_delay_alu instid0(VALU_DEP_1) | instskip(SKIP_1) | instid1(VALU_DEP_1)
	v_cndmask_b32_e64 v13, 0, v31, s0
	v_cmp_gt_i32_e64 s0, s18, v8
	v_cndmask_b32_e64 v12, 0, v12, s0
	v_cmp_gt_i32_e64 s0, s31, v7
	s_delay_alu instid0(VALU_DEP_1) | instskip(SKIP_1) | instid1(VALU_DEP_1)
	v_dual_lshrrev_b32 v30, 16, v32 :: v_dual_cndmask_b32 v32, 0, v32, s0
	v_cmp_gt_i32_e64 s0, s18, v6
	v_dual_lshrrev_b32 v31, 16, v33 :: v_dual_cndmask_b32 v34, 0, v30, s0
	v_cmp_gt_i32_e64 s0, s31, v1
	v_perm_b32 v30, v4, v5, 0x5040100
	s_delay_alu instid0(VALU_DEP_3) | instskip(NEXT) | instid1(VALU_DEP_3)
	v_perm_b32 v32, v34, v32, 0x5040100
	v_cndmask_b32_e64 v33, 0, v33, s0
	v_cmp_gt_i32_e64 s0, s18, v0
	s_delay_alu instid0(VALU_DEP_1) | instskip(SKIP_1) | instid1(VALU_DEP_2)
	v_cndmask_b32_e64 v35, 0, v31, s0
	v_perm_b32 v31, v12, v13, 0x5040100
	v_perm_b32 v33, v35, v33, 0x5040100
	s_or_b32 exec_lo, exec_lo, s1
	global_load_b128 v[34:37], v[2:3], off offset:4096
	s_wait_xcnt 0x0
	s_and_saveexec_b32 s1, vcc_lo
	s_cbranch_execz .LBB152_57
.LBB152_88:                             ;   in Loop: Header=BB152_45 Depth=1
	v_cmp_gt_i32_e64 s0, s31, v10
	s_wait_loadcnt 0x0
	s_delay_alu instid0(VALU_DEP_1) | instskip(SKIP_1) | instid1(VALU_DEP_1)
	v_dual_lshrrev_b32 v4, 16, v34 :: v_dual_cndmask_b32 v5, 0, v34, s0
	v_cmp_gt_i32_e64 s0, s18, v11
	v_dual_lshrrev_b32 v12, 16, v35 :: v_dual_cndmask_b32 v4, 0, v4, s0
	v_cmp_gt_i32_e64 s0, s31, v9
	s_delay_alu instid0(VALU_DEP_1) | instskip(SKIP_1) | instid1(VALU_DEP_1)
	v_cndmask_b32_e64 v13, 0, v35, s0
	v_cmp_gt_i32_e64 s0, s18, v8
	v_cndmask_b32_e64 v12, 0, v12, s0
	v_cmp_gt_i32_e64 s0, s31, v7
	s_delay_alu instid0(VALU_DEP_1) | instskip(SKIP_1) | instid1(VALU_DEP_1)
	v_dual_lshrrev_b32 v34, 16, v36 :: v_dual_cndmask_b32 v36, 0, v36, s0
	v_cmp_gt_i32_e64 s0, s18, v6
	v_dual_lshrrev_b32 v35, 16, v37 :: v_dual_cndmask_b32 v38, 0, v34, s0
	v_cmp_gt_i32_e64 s0, s31, v1
	v_perm_b32 v34, v4, v5, 0x5040100
	s_delay_alu instid0(VALU_DEP_3) | instskip(NEXT) | instid1(VALU_DEP_3)
	v_perm_b32 v36, v38, v36, 0x5040100
	v_cndmask_b32_e64 v37, 0, v37, s0
	v_cmp_gt_i32_e64 s0, s18, v0
	s_delay_alu instid0(VALU_DEP_1) | instskip(SKIP_1) | instid1(VALU_DEP_2)
	v_cndmask_b32_e64 v39, 0, v35, s0
	v_perm_b32 v35, v12, v13, 0x5040100
	v_perm_b32 v37, v39, v37, 0x5040100
	s_or_b32 exec_lo, exec_lo, s1
	global_load_b128 v[38:41], v[2:3], off offset:4608
	s_wait_xcnt 0x0
	s_and_saveexec_b32 s1, vcc_lo
	s_cbranch_execz .LBB152_58
.LBB152_89:                             ;   in Loop: Header=BB152_45 Depth=1
	v_cmp_gt_i32_e64 s0, s31, v10
	s_wait_loadcnt 0x0
	s_delay_alu instid0(VALU_DEP_1) | instskip(SKIP_1) | instid1(VALU_DEP_1)
	v_dual_lshrrev_b32 v4, 16, v38 :: v_dual_cndmask_b32 v5, 0, v38, s0
	v_cmp_gt_i32_e64 s0, s18, v11
	v_dual_lshrrev_b32 v12, 16, v39 :: v_dual_cndmask_b32 v4, 0, v4, s0
	v_cmp_gt_i32_e64 s0, s31, v9
	s_delay_alu instid0(VALU_DEP_1) | instskip(SKIP_1) | instid1(VALU_DEP_1)
	v_cndmask_b32_e64 v13, 0, v39, s0
	v_cmp_gt_i32_e64 s0, s18, v8
	v_cndmask_b32_e64 v12, 0, v12, s0
	v_cmp_gt_i32_e64 s0, s31, v7
	s_delay_alu instid0(VALU_DEP_1) | instskip(SKIP_1) | instid1(VALU_DEP_1)
	v_dual_lshrrev_b32 v38, 16, v40 :: v_dual_cndmask_b32 v40, 0, v40, s0
	v_cmp_gt_i32_e64 s0, s18, v6
	v_dual_lshrrev_b32 v39, 16, v41 :: v_dual_cndmask_b32 v42, 0, v38, s0
	v_cmp_gt_i32_e64 s0, s31, v1
	v_perm_b32 v38, v4, v5, 0x5040100
	s_delay_alu instid0(VALU_DEP_3) | instskip(NEXT) | instid1(VALU_DEP_3)
	v_perm_b32 v40, v42, v40, 0x5040100
	v_cndmask_b32_e64 v41, 0, v41, s0
	v_cmp_gt_i32_e64 s0, s18, v0
	s_delay_alu instid0(VALU_DEP_1) | instskip(SKIP_1) | instid1(VALU_DEP_2)
	v_cndmask_b32_e64 v43, 0, v39, s0
	v_perm_b32 v39, v12, v13, 0x5040100
	v_perm_b32 v41, v43, v41, 0x5040100
	s_or_b32 exec_lo, exec_lo, s1
	global_load_b128 v[42:45], v[2:3], off offset:5120
	s_wait_xcnt 0x0
	s_and_saveexec_b32 s1, vcc_lo
	s_cbranch_execz .LBB152_59
.LBB152_90:                             ;   in Loop: Header=BB152_45 Depth=1
	v_cmp_gt_i32_e64 s0, s31, v10
	s_wait_loadcnt 0x0
	s_delay_alu instid0(VALU_DEP_1) | instskip(SKIP_1) | instid1(VALU_DEP_1)
	v_dual_lshrrev_b32 v4, 16, v42 :: v_dual_cndmask_b32 v5, 0, v42, s0
	v_cmp_gt_i32_e64 s0, s18, v11
	v_dual_lshrrev_b32 v12, 16, v43 :: v_dual_cndmask_b32 v4, 0, v4, s0
	v_cmp_gt_i32_e64 s0, s31, v9
	s_delay_alu instid0(VALU_DEP_1) | instskip(SKIP_1) | instid1(VALU_DEP_1)
	v_cndmask_b32_e64 v13, 0, v43, s0
	v_cmp_gt_i32_e64 s0, s18, v8
	v_cndmask_b32_e64 v12, 0, v12, s0
	v_cmp_gt_i32_e64 s0, s31, v7
	s_delay_alu instid0(VALU_DEP_1) | instskip(SKIP_1) | instid1(VALU_DEP_1)
	v_dual_lshrrev_b32 v42, 16, v44 :: v_dual_cndmask_b32 v44, 0, v44, s0
	v_cmp_gt_i32_e64 s0, s18, v6
	v_dual_lshrrev_b32 v43, 16, v45 :: v_dual_cndmask_b32 v46, 0, v42, s0
	v_cmp_gt_i32_e64 s0, s31, v1
	v_perm_b32 v42, v4, v5, 0x5040100
	s_delay_alu instid0(VALU_DEP_3) | instskip(NEXT) | instid1(VALU_DEP_3)
	v_perm_b32 v44, v46, v44, 0x5040100
	v_cndmask_b32_e64 v45, 0, v45, s0
	v_cmp_gt_i32_e64 s0, s18, v0
	s_delay_alu instid0(VALU_DEP_1) | instskip(SKIP_1) | instid1(VALU_DEP_2)
	v_cndmask_b32_e64 v47, 0, v43, s0
	v_perm_b32 v43, v12, v13, 0x5040100
	v_perm_b32 v45, v47, v45, 0x5040100
	s_or_b32 exec_lo, exec_lo, s1
	global_load_b128 v[46:49], v[2:3], off offset:5632
	s_wait_xcnt 0x0
	s_and_saveexec_b32 s1, vcc_lo
	s_cbranch_execz .LBB152_60
.LBB152_91:                             ;   in Loop: Header=BB152_45 Depth=1
	v_cmp_gt_i32_e64 s0, s31, v10
	s_wait_loadcnt 0x0
	s_delay_alu instid0(VALU_DEP_1) | instskip(SKIP_1) | instid1(VALU_DEP_1)
	v_dual_lshrrev_b32 v4, 16, v46 :: v_dual_cndmask_b32 v5, 0, v46, s0
	v_cmp_gt_i32_e64 s0, s18, v11
	v_dual_lshrrev_b32 v12, 16, v47 :: v_dual_cndmask_b32 v4, 0, v4, s0
	v_cmp_gt_i32_e64 s0, s31, v9
	s_delay_alu instid0(VALU_DEP_1) | instskip(SKIP_1) | instid1(VALU_DEP_1)
	v_cndmask_b32_e64 v13, 0, v47, s0
	v_cmp_gt_i32_e64 s0, s18, v8
	v_cndmask_b32_e64 v12, 0, v12, s0
	v_cmp_gt_i32_e64 s0, s31, v7
	s_delay_alu instid0(VALU_DEP_1) | instskip(SKIP_1) | instid1(VALU_DEP_1)
	v_dual_lshrrev_b32 v46, 16, v48 :: v_dual_cndmask_b32 v48, 0, v48, s0
	v_cmp_gt_i32_e64 s0, s18, v6
	v_dual_lshrrev_b32 v47, 16, v49 :: v_dual_cndmask_b32 v50, 0, v46, s0
	v_cmp_gt_i32_e64 s0, s31, v1
	v_perm_b32 v46, v4, v5, 0x5040100
	s_delay_alu instid0(VALU_DEP_3) | instskip(NEXT) | instid1(VALU_DEP_3)
	v_perm_b32 v48, v50, v48, 0x5040100
	v_cndmask_b32_e64 v49, 0, v49, s0
	v_cmp_gt_i32_e64 s0, s18, v0
	s_delay_alu instid0(VALU_DEP_1) | instskip(SKIP_1) | instid1(VALU_DEP_2)
	v_cndmask_b32_e64 v51, 0, v47, s0
	v_perm_b32 v47, v12, v13, 0x5040100
	v_perm_b32 v49, v51, v49, 0x5040100
	s_or_b32 exec_lo, exec_lo, s1
	global_load_b128 v[50:53], v[2:3], off offset:6144
	s_wait_xcnt 0x0
	s_and_saveexec_b32 s1, vcc_lo
	s_cbranch_execz .LBB152_61
.LBB152_92:                             ;   in Loop: Header=BB152_45 Depth=1
	v_cmp_gt_i32_e64 s0, s31, v10
	s_wait_loadcnt 0x0
	s_delay_alu instid0(VALU_DEP_1) | instskip(SKIP_1) | instid1(VALU_DEP_1)
	v_dual_lshrrev_b32 v4, 16, v50 :: v_dual_cndmask_b32 v5, 0, v50, s0
	v_cmp_gt_i32_e64 s0, s18, v11
	v_dual_lshrrev_b32 v12, 16, v51 :: v_dual_cndmask_b32 v4, 0, v4, s0
	v_cmp_gt_i32_e64 s0, s31, v9
	s_delay_alu instid0(VALU_DEP_1) | instskip(SKIP_1) | instid1(VALU_DEP_1)
	v_cndmask_b32_e64 v13, 0, v51, s0
	v_cmp_gt_i32_e64 s0, s18, v8
	v_cndmask_b32_e64 v12, 0, v12, s0
	v_cmp_gt_i32_e64 s0, s31, v7
	s_delay_alu instid0(VALU_DEP_1) | instskip(SKIP_1) | instid1(VALU_DEP_1)
	v_dual_lshrrev_b32 v50, 16, v52 :: v_dual_cndmask_b32 v52, 0, v52, s0
	v_cmp_gt_i32_e64 s0, s18, v6
	v_dual_lshrrev_b32 v51, 16, v53 :: v_dual_cndmask_b32 v54, 0, v50, s0
	v_cmp_gt_i32_e64 s0, s31, v1
	v_perm_b32 v50, v4, v5, 0x5040100
	s_delay_alu instid0(VALU_DEP_3) | instskip(NEXT) | instid1(VALU_DEP_3)
	v_perm_b32 v52, v54, v52, 0x5040100
	v_cndmask_b32_e64 v53, 0, v53, s0
	v_cmp_gt_i32_e64 s0, s18, v0
	s_delay_alu instid0(VALU_DEP_1) | instskip(SKIP_1) | instid1(VALU_DEP_2)
	v_cndmask_b32_e64 v55, 0, v51, s0
	v_perm_b32 v51, v12, v13, 0x5040100
	v_perm_b32 v53, v55, v53, 0x5040100
	s_or_b32 exec_lo, exec_lo, s1
	global_load_b128 v[54:57], v[2:3], off offset:6656
	s_wait_xcnt 0x0
	s_and_saveexec_b32 s1, vcc_lo
	s_cbranch_execz .LBB152_62
.LBB152_93:                             ;   in Loop: Header=BB152_45 Depth=1
	v_cmp_gt_i32_e64 s0, s31, v10
	s_wait_loadcnt 0x0
	s_delay_alu instid0(VALU_DEP_1) | instskip(SKIP_1) | instid1(VALU_DEP_1)
	v_dual_lshrrev_b32 v4, 16, v54 :: v_dual_cndmask_b32 v5, 0, v54, s0
	v_cmp_gt_i32_e64 s0, s18, v11
	v_dual_lshrrev_b32 v12, 16, v55 :: v_dual_cndmask_b32 v4, 0, v4, s0
	v_cmp_gt_i32_e64 s0, s31, v9
	s_delay_alu instid0(VALU_DEP_1) | instskip(SKIP_1) | instid1(VALU_DEP_1)
	v_cndmask_b32_e64 v13, 0, v55, s0
	v_cmp_gt_i32_e64 s0, s18, v8
	v_cndmask_b32_e64 v12, 0, v12, s0
	v_cmp_gt_i32_e64 s0, s31, v7
	s_delay_alu instid0(VALU_DEP_1) | instskip(SKIP_1) | instid1(VALU_DEP_1)
	v_dual_lshrrev_b32 v54, 16, v56 :: v_dual_cndmask_b32 v56, 0, v56, s0
	v_cmp_gt_i32_e64 s0, s18, v6
	v_dual_lshrrev_b32 v55, 16, v57 :: v_dual_cndmask_b32 v58, 0, v54, s0
	v_cmp_gt_i32_e64 s0, s31, v1
	v_perm_b32 v54, v4, v5, 0x5040100
	s_delay_alu instid0(VALU_DEP_3) | instskip(NEXT) | instid1(VALU_DEP_3)
	v_perm_b32 v56, v58, v56, 0x5040100
	v_cndmask_b32_e64 v57, 0, v57, s0
	v_cmp_gt_i32_e64 s0, s18, v0
	s_delay_alu instid0(VALU_DEP_1) | instskip(SKIP_1) | instid1(VALU_DEP_2)
	v_cndmask_b32_e64 v59, 0, v55, s0
	v_perm_b32 v55, v12, v13, 0x5040100
	v_perm_b32 v57, v59, v57, 0x5040100
	s_or_b32 exec_lo, exec_lo, s1
	global_load_b128 v[58:61], v[2:3], off offset:7168
	s_wait_xcnt 0x0
	s_and_saveexec_b32 s21, vcc_lo
	s_cbranch_execz .LBB152_63
.LBB152_94:                             ;   in Loop: Header=BB152_45 Depth=1
	v_cmp_gt_i32_e64 s0, s31, v10
	v_cmp_gt_i32_e64 s1, s18, v11
	s_wait_loadcnt 0x0
	s_delay_alu instid0(VALU_DEP_2) | instskip(SKIP_1) | instid1(VALU_DEP_2)
	v_dual_lshrrev_b32 v4, 16, v58 :: v_dual_cndmask_b32 v5, 0, v58, s0
	v_cmp_gt_i32_e64 s0, s18, v8
	v_cndmask_b32_e64 v4, 0, v4, s1
	v_cmp_gt_i32_e64 s1, s31, v9
	s_delay_alu instid0(VALU_DEP_2) | instskip(NEXT) | instid1(VALU_DEP_2)
	v_perm_b32 v58, v4, v5, 0x5040100
	v_dual_lshrrev_b32 v5, 16, v59 :: v_dual_cndmask_b32 v4, 0, v59, s1
	v_cmp_gt_i32_e64 s1, s31, v7
	s_delay_alu instid0(VALU_DEP_2) | instskip(SKIP_1) | instid1(VALU_DEP_2)
	v_cndmask_b32_e64 v5, 0, v5, s0
	v_cmp_gt_i32_e64 s0, s18, v6
	v_perm_b32 v59, v5, v4, 0x5040100
	s_delay_alu instid0(VALU_DEP_4) | instskip(SKIP_1) | instid1(VALU_DEP_2)
	v_dual_cndmask_b32 v4, 0, v60, s1 :: v_dual_lshrrev_b32 v5, 16, v60
	v_cmp_gt_i32_e64 s1, s31, v1
	v_cndmask_b32_e64 v5, 0, v5, s0
	v_cmp_gt_i32_e64 s0, s18, v0
	s_delay_alu instid0(VALU_DEP_2) | instskip(NEXT) | instid1(VALU_DEP_4)
	v_perm_b32 v60, v5, v4, 0x5040100
	v_dual_cndmask_b32 v4, 0, v61, s1 :: v_dual_lshrrev_b32 v5, 16, v61
	s_delay_alu instid0(VALU_DEP_1) | instskip(NEXT) | instid1(VALU_DEP_1)
	v_cndmask_b32_e64 v5, 0, v5, s0
	v_perm_b32 v61, v5, v4, 0x5040100
	s_or_b32 exec_lo, exec_lo, s21
	global_load_b128 v[70:73], v[2:3], off offset:7680
	s_wait_xcnt 0x0
	s_and_saveexec_b32 s21, vcc_lo
	s_cbranch_execz .LBB152_64
.LBB152_95:                             ;   in Loop: Header=BB152_45 Depth=1
	v_cmp_gt_i32_e64 s0, s31, v10
	v_cmp_gt_i32_e64 s1, s18, v11
	s_wait_loadcnt 0x0
	s_delay_alu instid0(VALU_DEP_2) | instskip(SKIP_1) | instid1(VALU_DEP_2)
	v_dual_lshrrev_b32 v4, 16, v70 :: v_dual_cndmask_b32 v5, 0, v70, s0
	v_cmp_gt_i32_e64 s0, s18, v8
	v_cndmask_b32_e64 v4, 0, v4, s1
	v_cmp_gt_i32_e64 s1, s31, v9
	s_delay_alu instid0(VALU_DEP_2) | instskip(NEXT) | instid1(VALU_DEP_2)
	v_perm_b32 v70, v4, v5, 0x5040100
	v_dual_lshrrev_b32 v5, 16, v71 :: v_dual_cndmask_b32 v4, 0, v71, s1
	v_cmp_gt_i32_e64 s1, s31, v7
	s_delay_alu instid0(VALU_DEP_2) | instskip(SKIP_1) | instid1(VALU_DEP_2)
	v_cndmask_b32_e64 v5, 0, v5, s0
	v_cmp_gt_i32_e64 s0, s18, v6
	v_perm_b32 v71, v5, v4, 0x5040100
	s_delay_alu instid0(VALU_DEP_4) | instskip(SKIP_1) | instid1(VALU_DEP_2)
	v_dual_cndmask_b32 v4, 0, v72, s1 :: v_dual_lshrrev_b32 v5, 16, v72
	v_cmp_gt_i32_e64 s1, s31, v1
	v_cndmask_b32_e64 v5, 0, v5, s0
	v_cmp_gt_i32_e64 s0, s18, v0
	s_delay_alu instid0(VALU_DEP_2) | instskip(NEXT) | instid1(VALU_DEP_4)
	v_perm_b32 v72, v5, v4, 0x5040100
	v_dual_cndmask_b32 v4, 0, v73, s1 :: v_dual_lshrrev_b32 v5, 16, v73
	s_delay_alu instid0(VALU_DEP_1) | instskip(NEXT) | instid1(VALU_DEP_1)
	v_cndmask_b32_e64 v5, 0, v5, s0
	v_perm_b32 v73, v5, v4, 0x5040100
	s_or_b32 exec_lo, exec_lo, s21
	global_load_b128 v[74:77], v[2:3], off offset:8192
	s_wait_xcnt 0x0
	s_and_saveexec_b32 s21, vcc_lo
	s_cbranch_execz .LBB152_65
.LBB152_96:                             ;   in Loop: Header=BB152_45 Depth=1
	v_cmp_gt_i32_e64 s0, s31, v10
	v_cmp_gt_i32_e64 s1, s18, v11
	s_wait_loadcnt 0x0
	s_delay_alu instid0(VALU_DEP_2) | instskip(SKIP_1) | instid1(VALU_DEP_2)
	v_dual_lshrrev_b32 v4, 16, v74 :: v_dual_cndmask_b32 v5, 0, v74, s0
	v_cmp_gt_i32_e64 s0, s18, v8
	v_cndmask_b32_e64 v4, 0, v4, s1
	v_cmp_gt_i32_e64 s1, s31, v9
	s_delay_alu instid0(VALU_DEP_2) | instskip(NEXT) | instid1(VALU_DEP_2)
	v_perm_b32 v74, v4, v5, 0x5040100
	v_dual_lshrrev_b32 v5, 16, v75 :: v_dual_cndmask_b32 v4, 0, v75, s1
	v_cmp_gt_i32_e64 s1, s31, v7
	s_delay_alu instid0(VALU_DEP_2) | instskip(SKIP_1) | instid1(VALU_DEP_2)
	v_cndmask_b32_e64 v5, 0, v5, s0
	v_cmp_gt_i32_e64 s0, s18, v6
	v_perm_b32 v75, v5, v4, 0x5040100
	s_delay_alu instid0(VALU_DEP_4) | instskip(SKIP_1) | instid1(VALU_DEP_2)
	v_dual_cndmask_b32 v4, 0, v76, s1 :: v_dual_lshrrev_b32 v5, 16, v76
	v_cmp_gt_i32_e64 s1, s31, v1
	v_cndmask_b32_e64 v5, 0, v5, s0
	v_cmp_gt_i32_e64 s0, s18, v0
	s_delay_alu instid0(VALU_DEP_2) | instskip(NEXT) | instid1(VALU_DEP_4)
	v_perm_b32 v76, v5, v4, 0x5040100
	v_dual_cndmask_b32 v4, 0, v77, s1 :: v_dual_lshrrev_b32 v5, 16, v77
	s_delay_alu instid0(VALU_DEP_1) | instskip(NEXT) | instid1(VALU_DEP_1)
	v_cndmask_b32_e64 v5, 0, v5, s0
	v_perm_b32 v77, v5, v4, 0x5040100
	s_or_b32 exec_lo, exec_lo, s21
	global_load_b128 v[78:81], v[2:3], off offset:8704
	s_wait_xcnt 0x0
	s_and_saveexec_b32 s21, vcc_lo
	s_cbranch_execz .LBB152_66
.LBB152_97:                             ;   in Loop: Header=BB152_45 Depth=1
	v_cmp_gt_i32_e64 s0, s31, v10
	v_cmp_gt_i32_e64 s1, s18, v11
	s_wait_loadcnt 0x0
	s_delay_alu instid0(VALU_DEP_2) | instskip(SKIP_1) | instid1(VALU_DEP_2)
	v_dual_lshrrev_b32 v4, 16, v78 :: v_dual_cndmask_b32 v5, 0, v78, s0
	v_cmp_gt_i32_e64 s0, s18, v8
	v_cndmask_b32_e64 v4, 0, v4, s1
	v_cmp_gt_i32_e64 s1, s31, v9
	s_delay_alu instid0(VALU_DEP_2) | instskip(NEXT) | instid1(VALU_DEP_2)
	v_perm_b32 v78, v4, v5, 0x5040100
	v_dual_lshrrev_b32 v5, 16, v79 :: v_dual_cndmask_b32 v4, 0, v79, s1
	v_cmp_gt_i32_e64 s1, s31, v7
	s_delay_alu instid0(VALU_DEP_2) | instskip(SKIP_1) | instid1(VALU_DEP_2)
	v_cndmask_b32_e64 v5, 0, v5, s0
	v_cmp_gt_i32_e64 s0, s18, v6
	v_perm_b32 v79, v5, v4, 0x5040100
	s_delay_alu instid0(VALU_DEP_4) | instskip(SKIP_1) | instid1(VALU_DEP_2)
	v_dual_cndmask_b32 v4, 0, v80, s1 :: v_dual_lshrrev_b32 v5, 16, v80
	v_cmp_gt_i32_e64 s1, s31, v1
	v_cndmask_b32_e64 v5, 0, v5, s0
	v_cmp_gt_i32_e64 s0, s18, v0
	s_delay_alu instid0(VALU_DEP_2) | instskip(NEXT) | instid1(VALU_DEP_4)
	v_perm_b32 v80, v5, v4, 0x5040100
	v_dual_cndmask_b32 v4, 0, v81, s1 :: v_dual_lshrrev_b32 v5, 16, v81
	s_delay_alu instid0(VALU_DEP_1) | instskip(NEXT) | instid1(VALU_DEP_1)
	v_cndmask_b32_e64 v5, 0, v5, s0
	v_perm_b32 v81, v5, v4, 0x5040100
	s_or_b32 exec_lo, exec_lo, s21
	global_load_b128 v[82:85], v[2:3], off offset:9216
	s_wait_xcnt 0x0
	s_and_saveexec_b32 s21, vcc_lo
	s_cbranch_execz .LBB152_67
.LBB152_98:                             ;   in Loop: Header=BB152_45 Depth=1
	v_cmp_gt_i32_e64 s0, s31, v10
	v_cmp_gt_i32_e64 s1, s18, v11
	s_wait_loadcnt 0x0
	s_delay_alu instid0(VALU_DEP_2) | instskip(SKIP_1) | instid1(VALU_DEP_2)
	v_dual_lshrrev_b32 v4, 16, v82 :: v_dual_cndmask_b32 v5, 0, v82, s0
	v_cmp_gt_i32_e64 s0, s18, v8
	v_cndmask_b32_e64 v4, 0, v4, s1
	v_cmp_gt_i32_e64 s1, s31, v9
	s_delay_alu instid0(VALU_DEP_2) | instskip(NEXT) | instid1(VALU_DEP_2)
	v_perm_b32 v82, v4, v5, 0x5040100
	v_dual_lshrrev_b32 v5, 16, v83 :: v_dual_cndmask_b32 v4, 0, v83, s1
	v_cmp_gt_i32_e64 s1, s31, v7
	s_delay_alu instid0(VALU_DEP_2) | instskip(SKIP_1) | instid1(VALU_DEP_2)
	v_cndmask_b32_e64 v5, 0, v5, s0
	v_cmp_gt_i32_e64 s0, s18, v6
	v_perm_b32 v83, v5, v4, 0x5040100
	s_delay_alu instid0(VALU_DEP_4) | instskip(SKIP_1) | instid1(VALU_DEP_2)
	v_dual_cndmask_b32 v4, 0, v84, s1 :: v_dual_lshrrev_b32 v5, 16, v84
	v_cmp_gt_i32_e64 s1, s31, v1
	v_cndmask_b32_e64 v5, 0, v5, s0
	v_cmp_gt_i32_e64 s0, s18, v0
	s_delay_alu instid0(VALU_DEP_2) | instskip(NEXT) | instid1(VALU_DEP_4)
	v_perm_b32 v84, v5, v4, 0x5040100
	v_dual_cndmask_b32 v4, 0, v85, s1 :: v_dual_lshrrev_b32 v5, 16, v85
	s_delay_alu instid0(VALU_DEP_1) | instskip(NEXT) | instid1(VALU_DEP_1)
	v_cndmask_b32_e64 v5, 0, v5, s0
	v_perm_b32 v85, v5, v4, 0x5040100
	s_or_b32 exec_lo, exec_lo, s21
	global_load_b128 v[86:89], v[2:3], off offset:9728
	s_wait_xcnt 0x0
	s_and_saveexec_b32 s21, vcc_lo
	s_cbranch_execz .LBB152_68
.LBB152_99:                             ;   in Loop: Header=BB152_45 Depth=1
	v_cmp_gt_i32_e64 s0, s31, v10
	v_cmp_gt_i32_e64 s1, s18, v11
	s_wait_loadcnt 0x0
	s_delay_alu instid0(VALU_DEP_2) | instskip(SKIP_1) | instid1(VALU_DEP_2)
	v_dual_lshrrev_b32 v4, 16, v86 :: v_dual_cndmask_b32 v5, 0, v86, s0
	v_cmp_gt_i32_e64 s0, s18, v8
	v_cndmask_b32_e64 v4, 0, v4, s1
	v_cmp_gt_i32_e64 s1, s31, v9
	s_delay_alu instid0(VALU_DEP_2) | instskip(NEXT) | instid1(VALU_DEP_2)
	v_perm_b32 v86, v4, v5, 0x5040100
	v_dual_lshrrev_b32 v5, 16, v87 :: v_dual_cndmask_b32 v4, 0, v87, s1
	v_cmp_gt_i32_e64 s1, s31, v7
	s_delay_alu instid0(VALU_DEP_2) | instskip(SKIP_1) | instid1(VALU_DEP_2)
	v_cndmask_b32_e64 v5, 0, v5, s0
	v_cmp_gt_i32_e64 s0, s18, v6
	v_perm_b32 v87, v5, v4, 0x5040100
	s_delay_alu instid0(VALU_DEP_4) | instskip(SKIP_1) | instid1(VALU_DEP_2)
	v_dual_cndmask_b32 v4, 0, v88, s1 :: v_dual_lshrrev_b32 v5, 16, v88
	v_cmp_gt_i32_e64 s1, s31, v1
	v_cndmask_b32_e64 v5, 0, v5, s0
	v_cmp_gt_i32_e64 s0, s18, v0
	s_delay_alu instid0(VALU_DEP_2) | instskip(NEXT) | instid1(VALU_DEP_4)
	v_perm_b32 v88, v5, v4, 0x5040100
	v_dual_cndmask_b32 v4, 0, v89, s1 :: v_dual_lshrrev_b32 v5, 16, v89
	s_delay_alu instid0(VALU_DEP_1) | instskip(NEXT) | instid1(VALU_DEP_1)
	v_cndmask_b32_e64 v5, 0, v5, s0
	v_perm_b32 v89, v5, v4, 0x5040100
	s_or_b32 exec_lo, exec_lo, s21
	global_load_b128 v[90:93], v[2:3], off offset:10240
	s_wait_xcnt 0x0
	s_and_saveexec_b32 s21, vcc_lo
	s_cbranch_execz .LBB152_69
.LBB152_100:                            ;   in Loop: Header=BB152_45 Depth=1
	v_cmp_gt_i32_e64 s0, s31, v10
	v_cmp_gt_i32_e64 s1, s18, v11
	s_wait_loadcnt 0x0
	s_delay_alu instid0(VALU_DEP_2) | instskip(SKIP_1) | instid1(VALU_DEP_2)
	v_dual_lshrrev_b32 v4, 16, v90 :: v_dual_cndmask_b32 v5, 0, v90, s0
	v_cmp_gt_i32_e64 s0, s18, v8
	v_cndmask_b32_e64 v4, 0, v4, s1
	v_cmp_gt_i32_e64 s1, s31, v9
	s_delay_alu instid0(VALU_DEP_2) | instskip(NEXT) | instid1(VALU_DEP_2)
	v_perm_b32 v90, v4, v5, 0x5040100
	v_dual_lshrrev_b32 v5, 16, v91 :: v_dual_cndmask_b32 v4, 0, v91, s1
	v_cmp_gt_i32_e64 s1, s31, v7
	s_delay_alu instid0(VALU_DEP_2) | instskip(SKIP_1) | instid1(VALU_DEP_2)
	v_cndmask_b32_e64 v5, 0, v5, s0
	v_cmp_gt_i32_e64 s0, s18, v6
	v_perm_b32 v91, v5, v4, 0x5040100
	s_delay_alu instid0(VALU_DEP_4) | instskip(SKIP_1) | instid1(VALU_DEP_2)
	v_dual_cndmask_b32 v4, 0, v92, s1 :: v_dual_lshrrev_b32 v5, 16, v92
	v_cmp_gt_i32_e64 s1, s31, v1
	v_cndmask_b32_e64 v5, 0, v5, s0
	v_cmp_gt_i32_e64 s0, s18, v0
	s_delay_alu instid0(VALU_DEP_2) | instskip(NEXT) | instid1(VALU_DEP_4)
	v_perm_b32 v92, v5, v4, 0x5040100
	v_dual_cndmask_b32 v4, 0, v93, s1 :: v_dual_lshrrev_b32 v5, 16, v93
	s_delay_alu instid0(VALU_DEP_1) | instskip(NEXT) | instid1(VALU_DEP_1)
	v_cndmask_b32_e64 v5, 0, v5, s0
	v_perm_b32 v93, v5, v4, 0x5040100
	s_or_b32 exec_lo, exec_lo, s21
	global_load_b128 v[94:97], v[2:3], off offset:10752
	s_wait_xcnt 0x0
	s_and_saveexec_b32 s21, vcc_lo
	s_cbranch_execz .LBB152_70
.LBB152_101:                            ;   in Loop: Header=BB152_45 Depth=1
	v_cmp_gt_i32_e64 s0, s31, v10
	v_cmp_gt_i32_e64 s1, s18, v11
	s_wait_loadcnt 0x0
	s_delay_alu instid0(VALU_DEP_2) | instskip(SKIP_1) | instid1(VALU_DEP_2)
	v_dual_lshrrev_b32 v4, 16, v94 :: v_dual_cndmask_b32 v5, 0, v94, s0
	v_cmp_gt_i32_e64 s0, s18, v8
	v_cndmask_b32_e64 v4, 0, v4, s1
	v_cmp_gt_i32_e64 s1, s31, v9
	s_delay_alu instid0(VALU_DEP_2) | instskip(NEXT) | instid1(VALU_DEP_2)
	v_perm_b32 v94, v4, v5, 0x5040100
	v_dual_lshrrev_b32 v5, 16, v95 :: v_dual_cndmask_b32 v4, 0, v95, s1
	v_cmp_gt_i32_e64 s1, s31, v7
	s_delay_alu instid0(VALU_DEP_2) | instskip(SKIP_1) | instid1(VALU_DEP_2)
	v_cndmask_b32_e64 v5, 0, v5, s0
	v_cmp_gt_i32_e64 s0, s18, v6
	v_perm_b32 v95, v5, v4, 0x5040100
	s_delay_alu instid0(VALU_DEP_4) | instskip(SKIP_1) | instid1(VALU_DEP_2)
	v_dual_cndmask_b32 v4, 0, v96, s1 :: v_dual_lshrrev_b32 v5, 16, v96
	v_cmp_gt_i32_e64 s1, s31, v1
	v_cndmask_b32_e64 v5, 0, v5, s0
	v_cmp_gt_i32_e64 s0, s18, v0
	s_delay_alu instid0(VALU_DEP_2) | instskip(NEXT) | instid1(VALU_DEP_4)
	v_perm_b32 v96, v5, v4, 0x5040100
	v_dual_cndmask_b32 v4, 0, v97, s1 :: v_dual_lshrrev_b32 v5, 16, v97
	s_delay_alu instid0(VALU_DEP_1) | instskip(NEXT) | instid1(VALU_DEP_1)
	v_cndmask_b32_e64 v5, 0, v5, s0
	v_perm_b32 v97, v5, v4, 0x5040100
	s_or_b32 exec_lo, exec_lo, s21
	global_load_b128 v[102:105], v[2:3], off offset:11264
	s_wait_xcnt 0x0
	s_and_saveexec_b32 s21, vcc_lo
	s_cbranch_execz .LBB152_71
.LBB152_102:                            ;   in Loop: Header=BB152_45 Depth=1
	v_cmp_gt_i32_e64 s0, s31, v10
	v_cmp_gt_i32_e64 s1, s18, v11
	s_wait_loadcnt 0x0
	s_delay_alu instid0(VALU_DEP_2) | instskip(SKIP_1) | instid1(VALU_DEP_2)
	v_dual_lshrrev_b32 v4, 16, v102 :: v_dual_cndmask_b32 v5, 0, v102, s0
	v_cmp_gt_i32_e64 s0, s18, v8
	v_cndmask_b32_e64 v4, 0, v4, s1
	v_cmp_gt_i32_e64 s1, s31, v9
	s_delay_alu instid0(VALU_DEP_2) | instskip(NEXT) | instid1(VALU_DEP_2)
	v_perm_b32 v102, v4, v5, 0x5040100
	v_dual_lshrrev_b32 v5, 16, v103 :: v_dual_cndmask_b32 v4, 0, v103, s1
	v_cmp_gt_i32_e64 s1, s31, v7
	s_delay_alu instid0(VALU_DEP_2) | instskip(SKIP_1) | instid1(VALU_DEP_2)
	v_cndmask_b32_e64 v5, 0, v5, s0
	v_cmp_gt_i32_e64 s0, s18, v6
	v_perm_b32 v103, v5, v4, 0x5040100
	s_delay_alu instid0(VALU_DEP_4) | instskip(SKIP_1) | instid1(VALU_DEP_2)
	v_dual_cndmask_b32 v4, 0, v104, s1 :: v_dual_lshrrev_b32 v5, 16, v104
	v_cmp_gt_i32_e64 s1, s31, v1
	v_cndmask_b32_e64 v5, 0, v5, s0
	v_cmp_gt_i32_e64 s0, s18, v0
	s_delay_alu instid0(VALU_DEP_2) | instskip(NEXT) | instid1(VALU_DEP_4)
	v_perm_b32 v104, v5, v4, 0x5040100
	v_dual_cndmask_b32 v4, 0, v105, s1 :: v_dual_lshrrev_b32 v5, 16, v105
	s_delay_alu instid0(VALU_DEP_1) | instskip(NEXT) | instid1(VALU_DEP_1)
	v_cndmask_b32_e64 v5, 0, v5, s0
	v_perm_b32 v105, v5, v4, 0x5040100
	s_or_b32 exec_lo, exec_lo, s21
	global_load_b128 v[106:109], v[2:3], off offset:11776
	s_wait_xcnt 0x0
	s_and_saveexec_b32 s21, vcc_lo
	s_cbranch_execz .LBB152_72
.LBB152_103:                            ;   in Loop: Header=BB152_45 Depth=1
	v_cmp_gt_i32_e64 s0, s31, v10
	v_cmp_gt_i32_e64 s1, s18, v11
	s_wait_loadcnt 0x0
	s_delay_alu instid0(VALU_DEP_2) | instskip(SKIP_1) | instid1(VALU_DEP_2)
	v_dual_lshrrev_b32 v4, 16, v106 :: v_dual_cndmask_b32 v5, 0, v106, s0
	v_cmp_gt_i32_e64 s0, s18, v8
	v_cndmask_b32_e64 v4, 0, v4, s1
	v_cmp_gt_i32_e64 s1, s31, v9
	s_delay_alu instid0(VALU_DEP_2) | instskip(NEXT) | instid1(VALU_DEP_2)
	v_perm_b32 v106, v4, v5, 0x5040100
	v_dual_lshrrev_b32 v5, 16, v107 :: v_dual_cndmask_b32 v4, 0, v107, s1
	v_cmp_gt_i32_e64 s1, s31, v7
	s_delay_alu instid0(VALU_DEP_2) | instskip(SKIP_1) | instid1(VALU_DEP_2)
	v_cndmask_b32_e64 v5, 0, v5, s0
	v_cmp_gt_i32_e64 s0, s18, v6
	v_perm_b32 v107, v5, v4, 0x5040100
	s_delay_alu instid0(VALU_DEP_4) | instskip(SKIP_1) | instid1(VALU_DEP_2)
	v_dual_cndmask_b32 v4, 0, v108, s1 :: v_dual_lshrrev_b32 v5, 16, v108
	v_cmp_gt_i32_e64 s1, s31, v1
	v_cndmask_b32_e64 v5, 0, v5, s0
	v_cmp_gt_i32_e64 s0, s18, v0
	s_delay_alu instid0(VALU_DEP_2) | instskip(NEXT) | instid1(VALU_DEP_4)
	v_perm_b32 v108, v5, v4, 0x5040100
	v_dual_cndmask_b32 v4, 0, v109, s1 :: v_dual_lshrrev_b32 v5, 16, v109
	s_delay_alu instid0(VALU_DEP_1) | instskip(NEXT) | instid1(VALU_DEP_1)
	v_cndmask_b32_e64 v5, 0, v5, s0
	v_perm_b32 v109, v5, v4, 0x5040100
	s_or_b32 exec_lo, exec_lo, s21
	global_load_b128 v[110:113], v[2:3], off offset:12288
	s_wait_xcnt 0x0
	s_and_saveexec_b32 s21, vcc_lo
	s_cbranch_execz .LBB152_73
.LBB152_104:                            ;   in Loop: Header=BB152_45 Depth=1
	v_cmp_gt_i32_e64 s0, s31, v10
	v_cmp_gt_i32_e64 s1, s18, v11
	s_wait_loadcnt 0x0
	s_delay_alu instid0(VALU_DEP_2) | instskip(SKIP_1) | instid1(VALU_DEP_2)
	v_dual_lshrrev_b32 v4, 16, v110 :: v_dual_cndmask_b32 v5, 0, v110, s0
	v_cmp_gt_i32_e64 s0, s18, v8
	v_cndmask_b32_e64 v4, 0, v4, s1
	v_cmp_gt_i32_e64 s1, s31, v9
	s_delay_alu instid0(VALU_DEP_2) | instskip(NEXT) | instid1(VALU_DEP_2)
	v_perm_b32 v110, v4, v5, 0x5040100
	v_dual_lshrrev_b32 v5, 16, v111 :: v_dual_cndmask_b32 v4, 0, v111, s1
	v_cmp_gt_i32_e64 s1, s31, v7
	s_delay_alu instid0(VALU_DEP_2) | instskip(SKIP_1) | instid1(VALU_DEP_2)
	v_cndmask_b32_e64 v5, 0, v5, s0
	v_cmp_gt_i32_e64 s0, s18, v6
	v_perm_b32 v111, v5, v4, 0x5040100
	s_delay_alu instid0(VALU_DEP_4) | instskip(SKIP_1) | instid1(VALU_DEP_2)
	v_dual_cndmask_b32 v4, 0, v112, s1 :: v_dual_lshrrev_b32 v5, 16, v112
	v_cmp_gt_i32_e64 s1, s31, v1
	v_cndmask_b32_e64 v5, 0, v5, s0
	v_cmp_gt_i32_e64 s0, s18, v0
	s_delay_alu instid0(VALU_DEP_2) | instskip(NEXT) | instid1(VALU_DEP_4)
	v_perm_b32 v112, v5, v4, 0x5040100
	v_dual_cndmask_b32 v4, 0, v113, s1 :: v_dual_lshrrev_b32 v5, 16, v113
	s_delay_alu instid0(VALU_DEP_1) | instskip(NEXT) | instid1(VALU_DEP_1)
	v_cndmask_b32_e64 v5, 0, v5, s0
	v_perm_b32 v113, v5, v4, 0x5040100
	s_or_b32 exec_lo, exec_lo, s21
	global_load_b128 v[114:117], v[2:3], off offset:12800
	s_wait_xcnt 0x0
	s_and_saveexec_b32 s21, vcc_lo
	s_cbranch_execz .LBB152_74
.LBB152_105:                            ;   in Loop: Header=BB152_45 Depth=1
	v_cmp_gt_i32_e64 s0, s31, v10
	v_cmp_gt_i32_e64 s1, s18, v11
	s_wait_loadcnt 0x0
	s_delay_alu instid0(VALU_DEP_2) | instskip(SKIP_1) | instid1(VALU_DEP_2)
	v_dual_lshrrev_b32 v4, 16, v114 :: v_dual_cndmask_b32 v5, 0, v114, s0
	v_cmp_gt_i32_e64 s0, s18, v8
	v_cndmask_b32_e64 v4, 0, v4, s1
	v_cmp_gt_i32_e64 s1, s31, v9
	s_delay_alu instid0(VALU_DEP_2) | instskip(NEXT) | instid1(VALU_DEP_2)
	v_perm_b32 v114, v4, v5, 0x5040100
	v_dual_lshrrev_b32 v5, 16, v115 :: v_dual_cndmask_b32 v4, 0, v115, s1
	v_cmp_gt_i32_e64 s1, s31, v7
	s_delay_alu instid0(VALU_DEP_2) | instskip(SKIP_1) | instid1(VALU_DEP_2)
	v_cndmask_b32_e64 v5, 0, v5, s0
	v_cmp_gt_i32_e64 s0, s18, v6
	v_perm_b32 v115, v5, v4, 0x5040100
	s_delay_alu instid0(VALU_DEP_4) | instskip(SKIP_1) | instid1(VALU_DEP_2)
	v_dual_cndmask_b32 v4, 0, v116, s1 :: v_dual_lshrrev_b32 v5, 16, v116
	v_cmp_gt_i32_e64 s1, s31, v1
	v_cndmask_b32_e64 v5, 0, v5, s0
	v_cmp_gt_i32_e64 s0, s18, v0
	s_delay_alu instid0(VALU_DEP_2) | instskip(NEXT) | instid1(VALU_DEP_4)
	v_perm_b32 v116, v5, v4, 0x5040100
	v_dual_cndmask_b32 v4, 0, v117, s1 :: v_dual_lshrrev_b32 v5, 16, v117
	s_delay_alu instid0(VALU_DEP_1) | instskip(NEXT) | instid1(VALU_DEP_1)
	v_cndmask_b32_e64 v5, 0, v5, s0
	v_perm_b32 v117, v5, v4, 0x5040100
	s_or_b32 exec_lo, exec_lo, s21
	global_load_b128 v[118:121], v[2:3], off offset:13312
	s_wait_xcnt 0x0
	s_and_saveexec_b32 s21, vcc_lo
	s_cbranch_execz .LBB152_75
.LBB152_106:                            ;   in Loop: Header=BB152_45 Depth=1
	v_cmp_gt_i32_e64 s0, s31, v10
	v_cmp_gt_i32_e64 s1, s18, v11
	s_wait_loadcnt 0x0
	s_delay_alu instid0(VALU_DEP_2) | instskip(SKIP_1) | instid1(VALU_DEP_2)
	v_dual_lshrrev_b32 v4, 16, v118 :: v_dual_cndmask_b32 v5, 0, v118, s0
	v_cmp_gt_i32_e64 s0, s18, v8
	v_cndmask_b32_e64 v4, 0, v4, s1
	v_cmp_gt_i32_e64 s1, s31, v9
	s_delay_alu instid0(VALU_DEP_2) | instskip(NEXT) | instid1(VALU_DEP_2)
	v_perm_b32 v118, v4, v5, 0x5040100
	v_dual_lshrrev_b32 v5, 16, v119 :: v_dual_cndmask_b32 v4, 0, v119, s1
	v_cmp_gt_i32_e64 s1, s31, v7
	s_delay_alu instid0(VALU_DEP_2) | instskip(SKIP_1) | instid1(VALU_DEP_2)
	v_cndmask_b32_e64 v5, 0, v5, s0
	v_cmp_gt_i32_e64 s0, s18, v6
	v_perm_b32 v119, v5, v4, 0x5040100
	s_delay_alu instid0(VALU_DEP_4) | instskip(SKIP_1) | instid1(VALU_DEP_2)
	v_dual_cndmask_b32 v4, 0, v120, s1 :: v_dual_lshrrev_b32 v5, 16, v120
	v_cmp_gt_i32_e64 s1, s31, v1
	v_cndmask_b32_e64 v5, 0, v5, s0
	v_cmp_gt_i32_e64 s0, s18, v0
	s_delay_alu instid0(VALU_DEP_2) | instskip(NEXT) | instid1(VALU_DEP_4)
	v_perm_b32 v120, v5, v4, 0x5040100
	v_dual_cndmask_b32 v4, 0, v121, s1 :: v_dual_lshrrev_b32 v5, 16, v121
	s_delay_alu instid0(VALU_DEP_1) | instskip(NEXT) | instid1(VALU_DEP_1)
	v_cndmask_b32_e64 v5, 0, v5, s0
	v_perm_b32 v121, v5, v4, 0x5040100
	s_or_b32 exec_lo, exec_lo, s21
	global_load_b128 v[122:125], v[2:3], off offset:13824
	s_wait_xcnt 0x0
	s_and_saveexec_b32 s21, vcc_lo
	s_cbranch_execz .LBB152_76
.LBB152_107:                            ;   in Loop: Header=BB152_45 Depth=1
	v_cmp_gt_i32_e64 s0, s31, v10
	v_cmp_gt_i32_e64 s1, s18, v11
	s_wait_loadcnt 0x0
	s_delay_alu instid0(VALU_DEP_2) | instskip(SKIP_1) | instid1(VALU_DEP_2)
	v_dual_lshrrev_b32 v4, 16, v122 :: v_dual_cndmask_b32 v5, 0, v122, s0
	v_cmp_gt_i32_e64 s0, s18, v8
	v_cndmask_b32_e64 v4, 0, v4, s1
	v_cmp_gt_i32_e64 s1, s31, v9
	s_delay_alu instid0(VALU_DEP_2) | instskip(NEXT) | instid1(VALU_DEP_2)
	v_perm_b32 v122, v4, v5, 0x5040100
	v_dual_lshrrev_b32 v5, 16, v123 :: v_dual_cndmask_b32 v4, 0, v123, s1
	v_cmp_gt_i32_e64 s1, s31, v7
	s_delay_alu instid0(VALU_DEP_2) | instskip(SKIP_1) | instid1(VALU_DEP_2)
	v_cndmask_b32_e64 v5, 0, v5, s0
	v_cmp_gt_i32_e64 s0, s18, v6
	v_perm_b32 v123, v5, v4, 0x5040100
	s_delay_alu instid0(VALU_DEP_4) | instskip(SKIP_1) | instid1(VALU_DEP_2)
	v_dual_cndmask_b32 v4, 0, v124, s1 :: v_dual_lshrrev_b32 v5, 16, v124
	v_cmp_gt_i32_e64 s1, s31, v1
	v_cndmask_b32_e64 v5, 0, v5, s0
	v_cmp_gt_i32_e64 s0, s18, v0
	s_delay_alu instid0(VALU_DEP_2) | instskip(NEXT) | instid1(VALU_DEP_4)
	v_perm_b32 v124, v5, v4, 0x5040100
	v_dual_cndmask_b32 v4, 0, v125, s1 :: v_dual_lshrrev_b32 v5, 16, v125
	s_delay_alu instid0(VALU_DEP_1) | instskip(NEXT) | instid1(VALU_DEP_1)
	v_cndmask_b32_e64 v5, 0, v5, s0
	v_perm_b32 v125, v5, v4, 0x5040100
	s_or_b32 exec_lo, exec_lo, s21
	global_load_b128 v[62:65], v[2:3], off offset:14336
	s_wait_xcnt 0x0
	s_and_saveexec_b32 s21, vcc_lo
	s_cbranch_execz .LBB152_77
.LBB152_108:                            ;   in Loop: Header=BB152_45 Depth=1
	v_cmp_gt_i32_e64 s0, s31, v10
	v_cmp_gt_i32_e64 s1, s18, v11
	s_wait_loadcnt 0x0
	s_delay_alu instid0(VALU_DEP_2) | instskip(SKIP_1) | instid1(VALU_DEP_2)
	v_dual_lshrrev_b32 v4, 16, v62 :: v_dual_cndmask_b32 v5, 0, v62, s0
	v_cmp_gt_i32_e64 s0, s18, v8
	v_cndmask_b32_e64 v4, 0, v4, s1
	v_cmp_gt_i32_e64 s1, s31, v9
	s_delay_alu instid0(VALU_DEP_2) | instskip(NEXT) | instid1(VALU_DEP_2)
	v_perm_b32 v62, v4, v5, 0x5040100
	v_dual_lshrrev_b32 v5, 16, v63 :: v_dual_cndmask_b32 v4, 0, v63, s1
	v_cmp_gt_i32_e64 s1, s31, v7
	s_delay_alu instid0(VALU_DEP_2) | instskip(SKIP_1) | instid1(VALU_DEP_2)
	v_cndmask_b32_e64 v5, 0, v5, s0
	v_cmp_gt_i32_e64 s0, s18, v6
	v_perm_b32 v63, v5, v4, 0x5040100
	s_delay_alu instid0(VALU_DEP_4) | instskip(SKIP_1) | instid1(VALU_DEP_2)
	v_dual_cndmask_b32 v4, 0, v64, s1 :: v_dual_lshrrev_b32 v5, 16, v64
	v_cmp_gt_i32_e64 s1, s31, v1
	v_cndmask_b32_e64 v5, 0, v5, s0
	v_cmp_gt_i32_e64 s0, s18, v0
	s_delay_alu instid0(VALU_DEP_2) | instskip(NEXT) | instid1(VALU_DEP_4)
	v_perm_b32 v64, v5, v4, 0x5040100
	v_dual_cndmask_b32 v4, 0, v65, s1 :: v_dual_lshrrev_b32 v5, 16, v65
	s_delay_alu instid0(VALU_DEP_1) | instskip(NEXT) | instid1(VALU_DEP_1)
	v_cndmask_b32_e64 v5, 0, v5, s0
	v_perm_b32 v65, v5, v4, 0x5040100
	s_or_b32 exec_lo, exec_lo, s21
	global_load_b128 v[66:69], v[2:3], off offset:14848
	s_wait_xcnt 0x0
	s_and_saveexec_b32 s21, vcc_lo
	s_cbranch_execz .LBB152_78
.LBB152_109:                            ;   in Loop: Header=BB152_45 Depth=1
	v_cmp_gt_i32_e64 s0, s31, v10
	v_cmp_gt_i32_e64 s1, s18, v11
	s_wait_loadcnt 0x0
	s_delay_alu instid0(VALU_DEP_2) | instskip(SKIP_1) | instid1(VALU_DEP_2)
	v_dual_lshrrev_b32 v4, 16, v66 :: v_dual_cndmask_b32 v5, 0, v66, s0
	v_cmp_gt_i32_e64 s0, s18, v8
	v_cndmask_b32_e64 v4, 0, v4, s1
	v_cmp_gt_i32_e64 s1, s31, v9
	s_delay_alu instid0(VALU_DEP_2) | instskip(NEXT) | instid1(VALU_DEP_2)
	v_perm_b32 v66, v4, v5, 0x5040100
	v_dual_lshrrev_b32 v5, 16, v67 :: v_dual_cndmask_b32 v4, 0, v67, s1
	v_cmp_gt_i32_e64 s1, s31, v7
	s_delay_alu instid0(VALU_DEP_2) | instskip(SKIP_1) | instid1(VALU_DEP_2)
	v_cndmask_b32_e64 v5, 0, v5, s0
	v_cmp_gt_i32_e64 s0, s18, v6
	v_perm_b32 v67, v5, v4, 0x5040100
	s_delay_alu instid0(VALU_DEP_4) | instskip(SKIP_1) | instid1(VALU_DEP_2)
	v_dual_cndmask_b32 v4, 0, v68, s1 :: v_dual_lshrrev_b32 v5, 16, v68
	v_cmp_gt_i32_e64 s1, s31, v1
	v_cndmask_b32_e64 v5, 0, v5, s0
	v_cmp_gt_i32_e64 s0, s18, v0
	s_delay_alu instid0(VALU_DEP_2) | instskip(NEXT) | instid1(VALU_DEP_4)
	v_perm_b32 v68, v5, v4, 0x5040100
	v_dual_cndmask_b32 v4, 0, v69, s1 :: v_dual_lshrrev_b32 v5, 16, v69
	s_delay_alu instid0(VALU_DEP_1) | instskip(NEXT) | instid1(VALU_DEP_1)
	v_cndmask_b32_e64 v5, 0, v5, s0
	v_perm_b32 v69, v5, v4, 0x5040100
	s_or_b32 exec_lo, exec_lo, s21
	global_load_b128 v[2:5], v[2:3], off offset:15360
	s_wait_xcnt 0x0
	s_and_saveexec_b32 s21, vcc_lo
	s_cbranch_execnz .LBB152_79
	s_branch .LBB152_80
.LBB152_110:
	s_or_b32 exec_lo, exec_lo, s19
	s_clause 0x6
	scratch_load_b32 v70, off, off offset:872
	scratch_load_b32 v127, off, off offset:876
	;; [unrolled: 1-line block ×5, first 2 shown]
	scratch_load_b64 v[6:7], off, off offset:160
	scratch_load_b64 v[4:5], off, off offset:168
.LBB152_111:
	s_wait_xcnt 0x0
	s_or_b32 exec_lo, exec_lo, s26
	s_clause 0x3
	scratch_load_b64 v[46:47], off, off offset:120 th:TH_LOAD_LU
	scratch_load_b64 v[48:49], off, off offset:112 th:TH_LOAD_LU
	;; [unrolled: 1-line block ×4, first 2 shown]
	s_wait_loadcnt 0x4
	v_mov_b64_e32 v[26:27], v[4:5]
	s_clause 0x6
	scratch_load_b64 v[20:21], off, off offset:152 th:TH_LOAD_LU
	scratch_load_b64 v[24:25], off, off offset:144 th:TH_LOAD_LU
	;; [unrolled: 1-line block ×7, first 2 shown]
	ds_bpermute_b32 v4, v50, v26
	ds_bpermute_b32 v5, v50, v27
	;; [unrolled: 1-line block ×4, first 2 shown]
	v_mov_b64_e32 v[22:23], v[6:7]
	ds_bpermute_b32 v0, v50, v16
	ds_bpermute_b32 v1, v50, v17
	s_mov_b32 s0, exec_lo
	ds_bpermute_b32 v6, v50, v22
	ds_bpermute_b32 v7, v50, v23
	s_wait_dscnt 0x6
	v_pk_add_f32 v[4:5], v[26:27], v[4:5]
	s_wait_dscnt 0x4
	v_pk_add_f32 v[18:19], v[18:19], v[2:3]
	s_wait_dscnt 0x2
	v_pk_add_f32 v[16:17], v[16:17], v[0:1]
	s_wait_dscnt 0x0
	v_pk_add_f32 v[0:1], v[22:23], v[6:7]
	ds_bpermute_b32 v6, v71, v16
	ds_bpermute_b32 v7, v71, v17
	;; [unrolled: 1-line block ×4, first 2 shown]
	s_wait_dscnt 0x0
	v_pk_add_f32 v[22:23], v[0:1], v[22:23]
	s_wait_loadcnt 0x9
	ds_bpermute_b32 v26, v50, v48
	ds_bpermute_b32 v27, v50, v49
	s_wait_loadcnt 0x7
	ds_bpermute_b32 v30, v50, v56
	ds_bpermute_b32 v31, v50, v57
	s_wait_loadcnt 0x6
	ds_bpermute_b32 v8, v50, v20
	s_wait_loadcnt 0x5
	ds_bpermute_b32 v10, v50, v24
	ds_bpermute_b32 v11, v50, v25
	;; [unrolled: 1-line block ×3, first 2 shown]
	s_wait_loadcnt 0x4
	ds_bpermute_b32 v12, v50, v28
	ds_bpermute_b32 v13, v50, v29
	s_wait_loadcnt 0x3
	ds_bpermute_b32 v14, v50, v32
	ds_bpermute_b32 v15, v50, v33
	;; [unrolled: 3-line block ×3, first 2 shown]
	s_wait_dscnt 0xc
	v_pk_add_f32 v[48:49], v[48:49], v[26:27]
	scratch_load_b64 v[26:27], off, off offset:64 th:TH_LOAD_LU ; 8-byte Folded Reload
	s_wait_dscnt 0xa
	v_pk_add_f32 v[56:57], v[56:57], v[30:31]
	s_wait_loadcnt 0x1
	ds_bpermute_b32 v42, v50, v64
	ds_bpermute_b32 v43, v50, v65
	s_wait_dscnt 0x9
	v_pk_add_f32 v[10:11], v[24:25], v[10:11]
	ds_bpermute_b32 v24, v50, v46
	ds_bpermute_b32 v25, v50, v47
	s_wait_dscnt 0xa
	v_pk_add_f32 v[2:3], v[20:21], v[8:9]
	;; [unrolled: 4-line block ×3, first 2 shown]
	ds_bpermute_b32 v28, v50, v52
	ds_bpermute_b32 v34, v71, v2
	;; [unrolled: 1-line block ×4, first 2 shown]
	s_wait_dscnt 0xc
	v_pk_add_f32 v[14:15], v[32:33], v[14:15]
	ds_bpermute_b32 v32, v50, v60
	ds_bpermute_b32 v33, v50, v61
	s_wait_dscnt 0xc
	v_pk_add_f32 v[40:41], v[66:67], v[40:41]
	ds_bpermute_b32 v8, v71, v18
	ds_bpermute_b32 v9, v71, v19
	;; [unrolled: 1-line block ×4, first 2 shown]
	s_wait_dscnt 0xe
	v_pk_add_f32 v[42:43], v[64:65], v[42:43]
	ds_bpermute_b32 v38, v71, v12
	ds_bpermute_b32 v39, v71, v13
	s_wait_dscnt 0xe
	v_pk_add_f32 v[46:47], v[46:47], v[24:25]
	ds_bpermute_b32 v44, v71, v14
	ds_bpermute_b32 v45, v71, v15
	;; [unrolled: 1-line block ×7, first 2 shown]
	s_wait_dscnt 0xf
	v_pk_add_f32 v[52:53], v[52:53], v[28:29]
	ds_bpermute_b32 v66, v71, v40
	ds_bpermute_b32 v67, v71, v41
	s_wait_dscnt 0xf
	v_pk_add_f32 v[60:61], v[60:61], v[32:33]
	ds_bpermute_b32 v68, v71, v42
	ds_bpermute_b32 v58, v71, v52
	;; [unrolled: 1-line block ×6, first 2 shown]
	v_pk_add_f32 v[28:29], v[16:17], v[6:7]
	s_wait_dscnt 0xf
	v_pk_add_f32 v[16:17], v[12:13], v[38:39]
	s_wait_dscnt 0xd
	;; [unrolled: 2-line block ×4, first 2 shown]
	v_pk_add_f32 v[0:1], v[42:43], v[68:69]
	s_wait_loadcnt 0x0
	ds_bpermute_b32 v24, v50, v26
	ds_bpermute_b32 v25, v50, v27
	;; [unrolled: 1-line block ×3, first 2 shown]
	s_wait_dscnt 0x1
	v_pk_add_f32 v[30:31], v[26:27], v[24:25]
	v_pk_add_f32 v[24:25], v[4:5], v[20:21]
	;; [unrolled: 1-line block ×3, first 2 shown]
	scratch_load_b32 v34, off, off offset:240 ; 4-byte Folded Reload
	v_pk_add_f32 v[26:27], v[18:19], v[8:9]
	ds_bpermute_b32 v32, v71, v30
	ds_bpermute_b32 v33, v71, v31
	v_pk_add_f32 v[18:19], v[10:11], v[36:37]
	s_wait_dscnt 0x2
	v_pk_add_f32 v[12:13], v[46:47], v[50:51]
	v_pk_add_f32 v[10:11], v[48:49], v[54:55]
	v_pk_add_f32 v[8:9], v[52:53], v[58:59]
	v_and_b32_e32 v35, 0x3c3, v70
	v_pk_add_f32 v[4:5], v[60:61], v[64:65]
	v_pk_add_f32 v[2:3], v[40:41], v[66:67]
	s_wait_storecnt 0x0
	s_wait_loadcnt_dscnt 0x0
	s_barrier_signal -1
	s_barrier_wait -1
	v_and_b32_e32 v34, 28, v34
	v_cmpx_ne_u32_e32 64, v35
	s_xor_b32 s0, exec_lo, s0
	s_delay_alu instid0(SALU_CYCLE_1)
	s_or_saveexec_b32 s0, s0
	v_pk_add_f32 v[30:31], v[30:31], v[32:33]
	scratch_load_b32 v32, off, off offset:240 th:TH_LOAD_LU ; 4-byte Folded Reload
	v_add_nc_u32_e32 v33, 0x220, v34
	s_wait_loadcnt 0x0
	v_dual_lshlrev_b32 v34, 10, v127 :: v_dual_lshrrev_b32 v32, 2, v32
	s_xor_b32 exec_lo, exec_lo, s0
	s_cbranch_execz .LBB152_113
; %bb.112:
	s_delay_alu instid0(VALU_DEP_1) | instskip(NEXT) | instid1(VALU_DEP_1)
	v_add_nc_u32_e32 v35, v33, v34
	v_add_nc_u32_e32 v36, 0xfffff800, v35
	;; [unrolled: 1-line block ×9, first 2 shown]
	ds_store_b32 v36, v28
	ds_store_b32 v37, v29
	ds_store_b32 v38, v26
	ds_store_b32 v39, v27
	ds_store_b32 v40, v24
	ds_store_b32 v41, v25
	ds_store_b32 v42, v22
	ds_store_b32 v43, v23
	v_add_nc_u32_e32 v36, 0xfffff900, v35
	v_add_nc_u32_e32 v37, 0xfffff920, v35
	v_add_nc_u32_e32 v38, 0xfffff940, v35
	v_add_nc_u32_e32 v39, 0xfffff960, v35
	v_add_nc_u32_e32 v40, 0xfffff980, v35
	v_add_nc_u32_e32 v41, 0xfffff9a0, v35
	v_add_nc_u32_e32 v42, 0xfffff9c0, v35
	v_add_nc_u32_e32 v43, 0xfffff9e0, v35
	ds_store_b32 v36, v20
	ds_store_b32 v37, v21
	ds_store_b32 v38, v18
	ds_store_b32 v39, v19
	ds_store_b32 v40, v16
	ds_store_b32 v41, v17
	ds_store_b32 v42, v14
	ds_store_b32 v43, v15
	v_add_nc_u32_e32 v36, 0xfffffa00, v35
	v_add_nc_u32_e32 v37, 0xfffffa20, v35
	v_add_nc_u32_e32 v38, 0xfffffa40, v35
	v_add_nc_u32_e32 v39, 0xfffffa60, v35
	v_add_nc_u32_e32 v40, 0xfffffa80, v35
	v_add_nc_u32_e32 v41, 0xfffffaa0, v35
	v_add_nc_u32_e32 v42, 0xfffffac0, v35
	v_add_nc_u32_e32 v43, 0xfffffae0, v35
	;; [unrolled: 16-line block ×3, first 2 shown]
	ds_store_b32 v36, v4
	ds_store_b32 v37, v5
	;; [unrolled: 1-line block ×8, first 2 shown]
.LBB152_113:
	s_or_b32 exec_lo, exec_lo, s0
	s_delay_alu instid0(VALU_DEP_1)
	v_lshlrev_b32_e32 v32, 2, v32
	s_mov_b32 s1, exec_lo
	v_cmp_eq_u32_e32 vcc_lo, 0, v72
	s_wait_dscnt 0x0
	s_barrier_signal -1
	v_add3_u32 v32, 0x220, v34, v32
	s_barrier_wait -1
	v_cmpx_gt_u32_e32 64, v70
	s_cbranch_execz .LBB152_148
; %bb.114:
	s_and_saveexec_b32 s0, vcc_lo
	s_cbranch_execnz .LBB152_188
; %bb.115:
	s_or_b32 exec_lo, exec_lo, s0
	s_and_saveexec_b32 s0, vcc_lo
	s_cbranch_execnz .LBB152_189
.LBB152_116:
	s_or_b32 exec_lo, exec_lo, s0
	s_and_saveexec_b32 s0, vcc_lo
	s_cbranch_execnz .LBB152_190
.LBB152_117:
	s_or_b32 exec_lo, exec_lo, s0
	s_and_saveexec_b32 s0, vcc_lo
	s_cbranch_execnz .LBB152_191
.LBB152_118:
	s_or_b32 exec_lo, exec_lo, s0
	s_and_saveexec_b32 s0, vcc_lo
	s_cbranch_execnz .LBB152_192
.LBB152_119:
	s_or_b32 exec_lo, exec_lo, s0
	s_and_saveexec_b32 s0, vcc_lo
	s_cbranch_execnz .LBB152_193
.LBB152_120:
	s_or_b32 exec_lo, exec_lo, s0
	s_and_saveexec_b32 s0, vcc_lo
	s_cbranch_execnz .LBB152_194
.LBB152_121:
	s_or_b32 exec_lo, exec_lo, s0
	s_and_saveexec_b32 s0, vcc_lo
	s_cbranch_execnz .LBB152_195
.LBB152_122:
	s_or_b32 exec_lo, exec_lo, s0
	s_and_saveexec_b32 s0, vcc_lo
	s_cbranch_execnz .LBB152_196
.LBB152_123:
	s_or_b32 exec_lo, exec_lo, s0
	s_and_saveexec_b32 s0, vcc_lo
	s_cbranch_execnz .LBB152_197
.LBB152_124:
	s_or_b32 exec_lo, exec_lo, s0
	s_and_saveexec_b32 s0, vcc_lo
	s_cbranch_execnz .LBB152_198
.LBB152_125:
	s_or_b32 exec_lo, exec_lo, s0
	s_and_saveexec_b32 s0, vcc_lo
	s_cbranch_execnz .LBB152_199
.LBB152_126:
	s_or_b32 exec_lo, exec_lo, s0
	s_and_saveexec_b32 s0, vcc_lo
	s_cbranch_execnz .LBB152_200
.LBB152_127:
	s_or_b32 exec_lo, exec_lo, s0
	s_and_saveexec_b32 s0, vcc_lo
	s_cbranch_execnz .LBB152_201
.LBB152_128:
	s_or_b32 exec_lo, exec_lo, s0
	s_and_saveexec_b32 s0, vcc_lo
	s_cbranch_execnz .LBB152_202
.LBB152_129:
	s_or_b32 exec_lo, exec_lo, s0
	s_and_saveexec_b32 s0, vcc_lo
	s_cbranch_execnz .LBB152_203
.LBB152_130:
	s_or_b32 exec_lo, exec_lo, s0
	s_and_saveexec_b32 s0, vcc_lo
	s_cbranch_execnz .LBB152_204
.LBB152_131:
	s_or_b32 exec_lo, exec_lo, s0
	s_and_saveexec_b32 s0, vcc_lo
	s_cbranch_execnz .LBB152_205
.LBB152_132:
	s_or_b32 exec_lo, exec_lo, s0
	s_and_saveexec_b32 s0, vcc_lo
	s_cbranch_execnz .LBB152_206
.LBB152_133:
	s_or_b32 exec_lo, exec_lo, s0
	s_and_saveexec_b32 s0, vcc_lo
	s_cbranch_execnz .LBB152_207
.LBB152_134:
	s_or_b32 exec_lo, exec_lo, s0
	s_and_saveexec_b32 s0, vcc_lo
	s_cbranch_execnz .LBB152_208
.LBB152_135:
	s_or_b32 exec_lo, exec_lo, s0
	s_and_saveexec_b32 s0, vcc_lo
	s_cbranch_execnz .LBB152_209
.LBB152_136:
	s_or_b32 exec_lo, exec_lo, s0
	s_and_saveexec_b32 s0, vcc_lo
	s_cbranch_execnz .LBB152_210
.LBB152_137:
	s_or_b32 exec_lo, exec_lo, s0
	s_and_saveexec_b32 s0, vcc_lo
	s_cbranch_execnz .LBB152_211
.LBB152_138:
	s_or_b32 exec_lo, exec_lo, s0
	s_and_saveexec_b32 s0, vcc_lo
	s_cbranch_execnz .LBB152_212
.LBB152_139:
	s_or_b32 exec_lo, exec_lo, s0
	s_and_saveexec_b32 s0, vcc_lo
	s_cbranch_execnz .LBB152_213
.LBB152_140:
	s_or_b32 exec_lo, exec_lo, s0
	s_and_saveexec_b32 s0, vcc_lo
	s_cbranch_execnz .LBB152_214
.LBB152_141:
	s_or_b32 exec_lo, exec_lo, s0
	s_and_saveexec_b32 s0, vcc_lo
	s_cbranch_execnz .LBB152_215
.LBB152_142:
	s_or_b32 exec_lo, exec_lo, s0
	s_and_saveexec_b32 s0, vcc_lo
	s_cbranch_execnz .LBB152_216
.LBB152_143:
	s_or_b32 exec_lo, exec_lo, s0
	s_and_saveexec_b32 s0, vcc_lo
	s_cbranch_execnz .LBB152_217
.LBB152_144:
	s_or_b32 exec_lo, exec_lo, s0
	s_and_saveexec_b32 s0, vcc_lo
	s_cbranch_execnz .LBB152_218
.LBB152_145:
	s_or_b32 exec_lo, exec_lo, s0
	s_and_saveexec_b32 s0, vcc_lo
	s_cbranch_execz .LBB152_147
.LBB152_146:
	ds_load_b32 v34, v32 offset:992
	s_wait_dscnt 0x0
	v_add_f32_e32 v31, v31, v34
.LBB152_147:
	s_or_b32 exec_lo, exec_lo, s0
.LBB152_148:
	s_delay_alu instid0(SALU_CYCLE_1) | instskip(SKIP_4) | instid1(VALU_DEP_1)
	s_or_b32 exec_lo, exec_lo, s1
	v_and_b32_e32 v34, 0x3e3, v70
	s_mov_b32 s1, exec_lo
	s_barrier_signal -1
	s_barrier_wait -1
	v_cmpx_eq_u32_e32 32, v34
	s_cbranch_execz .LBB152_150
; %bb.149:
	ds_store_2addr_b32 v33, v28, v29 offset1:8
	ds_store_2addr_b32 v33, v26, v27 offset0:16 offset1:24
	ds_store_2addr_b32 v33, v24, v25 offset0:32 offset1:40
	;; [unrolled: 1-line block ×15, first 2 shown]
.LBB152_150:
	s_or_b32 exec_lo, exec_lo, s1
	s_wait_dscnt 0x0
	s_barrier_signal -1
	s_barrier_wait -1
	s_and_saveexec_b32 s0, s2
	s_cbranch_execz .LBB152_185
; %bb.151:
	s_and_saveexec_b32 s1, vcc_lo
	s_cbranch_execnz .LBB152_219
; %bb.152:
	s_or_b32 exec_lo, exec_lo, s1
	s_and_saveexec_b32 s1, vcc_lo
	s_cbranch_execnz .LBB152_220
.LBB152_153:
	s_or_b32 exec_lo, exec_lo, s1
	s_and_saveexec_b32 s1, vcc_lo
	s_cbranch_execnz .LBB152_221
.LBB152_154:
	s_or_b32 exec_lo, exec_lo, s1
	s_and_saveexec_b32 s1, vcc_lo
	s_cbranch_execnz .LBB152_222
.LBB152_155:
	s_or_b32 exec_lo, exec_lo, s1
	s_and_saveexec_b32 s1, vcc_lo
	s_cbranch_execnz .LBB152_223
.LBB152_156:
	s_or_b32 exec_lo, exec_lo, s1
	s_and_saveexec_b32 s1, vcc_lo
	s_cbranch_execnz .LBB152_224
.LBB152_157:
	s_or_b32 exec_lo, exec_lo, s1
	s_and_saveexec_b32 s1, vcc_lo
	s_cbranch_execnz .LBB152_225
.LBB152_158:
	s_or_b32 exec_lo, exec_lo, s1
	s_and_saveexec_b32 s1, vcc_lo
	s_cbranch_execnz .LBB152_226
.LBB152_159:
	s_or_b32 exec_lo, exec_lo, s1
	s_and_saveexec_b32 s1, vcc_lo
	s_cbranch_execnz .LBB152_227
.LBB152_160:
	s_or_b32 exec_lo, exec_lo, s1
	s_and_saveexec_b32 s1, vcc_lo
	s_cbranch_execnz .LBB152_228
.LBB152_161:
	s_or_b32 exec_lo, exec_lo, s1
	s_and_saveexec_b32 s1, vcc_lo
	s_cbranch_execnz .LBB152_229
.LBB152_162:
	s_or_b32 exec_lo, exec_lo, s1
	s_and_saveexec_b32 s1, vcc_lo
	s_cbranch_execnz .LBB152_230
.LBB152_163:
	s_or_b32 exec_lo, exec_lo, s1
	s_and_saveexec_b32 s1, vcc_lo
	s_cbranch_execnz .LBB152_231
.LBB152_164:
	s_or_b32 exec_lo, exec_lo, s1
	s_and_saveexec_b32 s1, vcc_lo
	s_cbranch_execnz .LBB152_232
.LBB152_165:
	s_or_b32 exec_lo, exec_lo, s1
	s_and_saveexec_b32 s1, vcc_lo
	s_cbranch_execnz .LBB152_233
.LBB152_166:
	s_or_b32 exec_lo, exec_lo, s1
	s_and_saveexec_b32 s1, vcc_lo
	s_cbranch_execnz .LBB152_234
.LBB152_167:
	s_or_b32 exec_lo, exec_lo, s1
	s_and_saveexec_b32 s1, vcc_lo
	s_cbranch_execnz .LBB152_235
.LBB152_168:
	s_or_b32 exec_lo, exec_lo, s1
	s_and_saveexec_b32 s1, vcc_lo
	s_cbranch_execnz .LBB152_236
.LBB152_169:
	s_or_b32 exec_lo, exec_lo, s1
	s_and_saveexec_b32 s1, vcc_lo
	s_cbranch_execnz .LBB152_237
.LBB152_170:
	s_or_b32 exec_lo, exec_lo, s1
	s_and_saveexec_b32 s1, vcc_lo
	s_cbranch_execnz .LBB152_238
.LBB152_171:
	s_or_b32 exec_lo, exec_lo, s1
	s_and_saveexec_b32 s1, vcc_lo
	s_cbranch_execnz .LBB152_239
.LBB152_172:
	s_or_b32 exec_lo, exec_lo, s1
	s_and_saveexec_b32 s1, vcc_lo
	s_cbranch_execnz .LBB152_240
.LBB152_173:
	s_or_b32 exec_lo, exec_lo, s1
	s_and_saveexec_b32 s1, vcc_lo
	s_cbranch_execnz .LBB152_241
.LBB152_174:
	s_or_b32 exec_lo, exec_lo, s1
	s_and_saveexec_b32 s1, vcc_lo
	s_cbranch_execnz .LBB152_242
.LBB152_175:
	s_or_b32 exec_lo, exec_lo, s1
	s_and_saveexec_b32 s1, vcc_lo
	s_cbranch_execnz .LBB152_243
.LBB152_176:
	s_or_b32 exec_lo, exec_lo, s1
	s_and_saveexec_b32 s1, vcc_lo
	s_cbranch_execnz .LBB152_244
.LBB152_177:
	s_or_b32 exec_lo, exec_lo, s1
	s_and_saveexec_b32 s1, vcc_lo
	s_cbranch_execnz .LBB152_245
.LBB152_178:
	s_or_b32 exec_lo, exec_lo, s1
	s_and_saveexec_b32 s1, vcc_lo
	s_cbranch_execnz .LBB152_246
.LBB152_179:
	s_or_b32 exec_lo, exec_lo, s1
	s_and_saveexec_b32 s1, vcc_lo
	s_cbranch_execnz .LBB152_247
.LBB152_180:
	s_or_b32 exec_lo, exec_lo, s1
	s_and_saveexec_b32 s1, vcc_lo
	s_cbranch_execnz .LBB152_248
.LBB152_181:
	s_or_b32 exec_lo, exec_lo, s1
	s_and_saveexec_b32 s1, vcc_lo
	s_cbranch_execnz .LBB152_249
.LBB152_182:
	s_or_b32 exec_lo, exec_lo, s1
	s_and_saveexec_b32 s1, vcc_lo
	s_cbranch_execz .LBB152_184
.LBB152_183:
	ds_load_b32 v32, v32 offset:992
	s_wait_dscnt 0x0
	v_add_f32_e32 v31, v31, v32
.LBB152_184:
	s_or_b32 exec_lo, exec_lo, s1
.LBB152_185:
	s_delay_alu instid0(SALU_CYCLE_1)
	s_or_b32 exec_lo, exec_lo, s0
	s_mov_b32 s1, 0
	s_barrier_signal -1
	s_barrier_wait -1
	s_mov_b32 s0, exec_lo
	v_cmpx_eq_u32_e32 0, v34
	s_cbranch_execz .LBB152_187
; %bb.186:
	s_mul_i32 s0, s30, s7
	s_mul_i32 s2, s7, s6
	;; [unrolled: 1-line block ×3, first 2 shown]
	s_lshr_b32 s6, ttmp7, 16
	s_lshl_b32 s4, s0, 8
	s_bfe_u32 s0, ttmp6, 0x40014
	s_ashr_i32 s5, s4, 31
	s_add_co_i32 s0, s0, 1
	s_ashr_i32 s3, s2, 31
	s_mul_i32 s0, s6, s0
	s_bfe_u32 s7, ttmp6, 0x40008
	s_lshl_b64 s[4:5], s[4:5], 1
	s_lshl_b64 s[2:3], s[2:3], 1
	s_add_co_i32 s7, s7, s0
	s_cmp_eq_u32 s28, 0
	s_wait_kmcnt 0x0
	s_add_nc_u64 s[4:5], s[14:15], s[4:5]
	s_cselect_b32 s0, s6, s7
	s_add_nc_u64 s[2:3], s[4:5], s[2:3]
	s_lshl_b32 s0, s0, 9
	v_lshrrev_b32_e32 v32, 1, v70
	s_add_nc_u64 s[0:1], s[2:3], s[0:1]
	s_delay_alu instid0(SALU_CYCLE_1)
	v_cvt_pk_bf16_f32 v28, v28, s0
	v_cvt_pk_bf16_f32 v20, v20, s0
	;; [unrolled: 1-line block ×25, first 2 shown]
	s_clause 0x7
	global_store_b16 v32, v28, s[0:1]
	global_store_b16 v32, v29, s[0:1] offset:16
	global_store_b16 v32, v26, s[0:1] offset:32
	;; [unrolled: 1-line block ×7, first 2 shown]
	v_cvt_pk_bf16_f32 v17, v17, s0
	v_cvt_pk_bf16_f32 v14, v14, s0
	;; [unrolled: 1-line block ×3, first 2 shown]
	s_clause 0x7
	global_store_b16 v32, v20, s[0:1] offset:128
	global_store_b16 v32, v21, s[0:1] offset:144
	global_store_b16 v32, v18, s[0:1] offset:160
	global_store_b16 v32, v19, s[0:1] offset:176
	global_store_b16 v32, v16, s[0:1] offset:192
	global_store_b16 v32, v17, s[0:1] offset:208
	global_store_b16 v32, v14, s[0:1] offset:224
	global_store_b16 v32, v15, s[0:1] offset:240
	v_cvt_pk_bf16_f32 v9, v9, s0
	s_clause 0x7
	global_store_b16 v32, v12, s[0:1] offset:256
	global_store_b16 v32, v13, s[0:1] offset:272
	;; [unrolled: 1-line block ×8, first 2 shown]
	v_cvt_pk_bf16_f32 v1, v1, s0
	s_wait_xcnt 0x1
	v_cvt_pk_bf16_f32 v6, v30, s0
	s_wait_xcnt 0x0
	v_cvt_pk_bf16_f32 v7, v31, s0
	s_clause 0x7
	global_store_b16 v32, v4, s[0:1] offset:384
	global_store_b16 v32, v5, s[0:1] offset:400
	;; [unrolled: 1-line block ×8, first 2 shown]
.LBB152_187:
	s_sendmsg sendmsg(MSG_DEALLOC_VGPRS)
	s_endpgm
.LBB152_188:
	ds_load_b32 v34, v32
	s_wait_dscnt 0x0
	v_add_f32_e32 v28, v28, v34
	s_or_b32 exec_lo, exec_lo, s0
	s_and_saveexec_b32 s0, vcc_lo
	s_cbranch_execz .LBB152_116
.LBB152_189:
	ds_load_b32 v34, v32 offset:32
	s_wait_dscnt 0x0
	v_add_f32_e32 v29, v29, v34
	s_or_b32 exec_lo, exec_lo, s0
	s_and_saveexec_b32 s0, vcc_lo
	s_cbranch_execz .LBB152_117
.LBB152_190:
	ds_load_b32 v34, v32 offset:64
	s_wait_dscnt 0x0
	v_add_f32_e32 v26, v26, v34
	s_or_b32 exec_lo, exec_lo, s0
	s_and_saveexec_b32 s0, vcc_lo
	s_cbranch_execz .LBB152_118
.LBB152_191:
	ds_load_b32 v34, v32 offset:96
	s_wait_dscnt 0x0
	v_add_f32_e32 v27, v27, v34
	s_or_b32 exec_lo, exec_lo, s0
	s_and_saveexec_b32 s0, vcc_lo
	s_cbranch_execz .LBB152_119
.LBB152_192:
	ds_load_b32 v34, v32 offset:128
	s_wait_dscnt 0x0
	v_add_f32_e32 v24, v24, v34
	s_or_b32 exec_lo, exec_lo, s0
	s_and_saveexec_b32 s0, vcc_lo
	s_cbranch_execz .LBB152_120
.LBB152_193:
	ds_load_b32 v34, v32 offset:160
	s_wait_dscnt 0x0
	v_add_f32_e32 v25, v25, v34
	s_or_b32 exec_lo, exec_lo, s0
	s_and_saveexec_b32 s0, vcc_lo
	s_cbranch_execz .LBB152_121
.LBB152_194:
	ds_load_b32 v34, v32 offset:192
	s_wait_dscnt 0x0
	v_add_f32_e32 v22, v22, v34
	s_or_b32 exec_lo, exec_lo, s0
	s_and_saveexec_b32 s0, vcc_lo
	s_cbranch_execz .LBB152_122
.LBB152_195:
	ds_load_b32 v34, v32 offset:224
	s_wait_dscnt 0x0
	v_add_f32_e32 v23, v23, v34
	s_or_b32 exec_lo, exec_lo, s0
	s_and_saveexec_b32 s0, vcc_lo
	s_cbranch_execz .LBB152_123
.LBB152_196:
	ds_load_b32 v34, v32 offset:256
	s_wait_dscnt 0x0
	v_add_f32_e32 v20, v20, v34
	s_or_b32 exec_lo, exec_lo, s0
	s_and_saveexec_b32 s0, vcc_lo
	s_cbranch_execz .LBB152_124
.LBB152_197:
	ds_load_b32 v34, v32 offset:288
	s_wait_dscnt 0x0
	v_add_f32_e32 v21, v21, v34
	s_or_b32 exec_lo, exec_lo, s0
	s_and_saveexec_b32 s0, vcc_lo
	s_cbranch_execz .LBB152_125
.LBB152_198:
	ds_load_b32 v34, v32 offset:320
	s_wait_dscnt 0x0
	v_add_f32_e32 v18, v18, v34
	s_or_b32 exec_lo, exec_lo, s0
	s_and_saveexec_b32 s0, vcc_lo
	s_cbranch_execz .LBB152_126
.LBB152_199:
	ds_load_b32 v34, v32 offset:352
	s_wait_dscnt 0x0
	v_add_f32_e32 v19, v19, v34
	s_or_b32 exec_lo, exec_lo, s0
	s_and_saveexec_b32 s0, vcc_lo
	s_cbranch_execz .LBB152_127
.LBB152_200:
	ds_load_b32 v34, v32 offset:384
	s_wait_dscnt 0x0
	v_add_f32_e32 v16, v16, v34
	s_or_b32 exec_lo, exec_lo, s0
	s_and_saveexec_b32 s0, vcc_lo
	s_cbranch_execz .LBB152_128
.LBB152_201:
	ds_load_b32 v34, v32 offset:416
	s_wait_dscnt 0x0
	v_add_f32_e32 v17, v17, v34
	s_or_b32 exec_lo, exec_lo, s0
	s_and_saveexec_b32 s0, vcc_lo
	s_cbranch_execz .LBB152_129
.LBB152_202:
	ds_load_b32 v34, v32 offset:448
	s_wait_dscnt 0x0
	v_add_f32_e32 v14, v14, v34
	s_or_b32 exec_lo, exec_lo, s0
	s_and_saveexec_b32 s0, vcc_lo
	s_cbranch_execz .LBB152_130
.LBB152_203:
	ds_load_b32 v34, v32 offset:480
	s_wait_dscnt 0x0
	v_add_f32_e32 v15, v15, v34
	s_or_b32 exec_lo, exec_lo, s0
	s_and_saveexec_b32 s0, vcc_lo
	s_cbranch_execz .LBB152_131
.LBB152_204:
	ds_load_b32 v34, v32 offset:512
	s_wait_dscnt 0x0
	v_add_f32_e32 v12, v12, v34
	s_or_b32 exec_lo, exec_lo, s0
	s_and_saveexec_b32 s0, vcc_lo
	s_cbranch_execz .LBB152_132
.LBB152_205:
	ds_load_b32 v34, v32 offset:544
	s_wait_dscnt 0x0
	v_add_f32_e32 v13, v13, v34
	s_or_b32 exec_lo, exec_lo, s0
	s_and_saveexec_b32 s0, vcc_lo
	s_cbranch_execz .LBB152_133
.LBB152_206:
	ds_load_b32 v34, v32 offset:576
	s_wait_dscnt 0x0
	v_add_f32_e32 v10, v10, v34
	s_or_b32 exec_lo, exec_lo, s0
	s_and_saveexec_b32 s0, vcc_lo
	s_cbranch_execz .LBB152_134
.LBB152_207:
	ds_load_b32 v34, v32 offset:608
	s_wait_dscnt 0x0
	v_add_f32_e32 v11, v11, v34
	s_or_b32 exec_lo, exec_lo, s0
	s_and_saveexec_b32 s0, vcc_lo
	s_cbranch_execz .LBB152_135
.LBB152_208:
	ds_load_b32 v34, v32 offset:640
	s_wait_dscnt 0x0
	v_add_f32_e32 v8, v8, v34
	s_or_b32 exec_lo, exec_lo, s0
	s_and_saveexec_b32 s0, vcc_lo
	s_cbranch_execz .LBB152_136
.LBB152_209:
	ds_load_b32 v34, v32 offset:672
	s_wait_dscnt 0x0
	v_add_f32_e32 v9, v9, v34
	s_or_b32 exec_lo, exec_lo, s0
	s_and_saveexec_b32 s0, vcc_lo
	s_cbranch_execz .LBB152_137
.LBB152_210:
	ds_load_b32 v34, v32 offset:704
	s_wait_dscnt 0x0
	v_add_f32_e32 v6, v6, v34
	s_or_b32 exec_lo, exec_lo, s0
	s_and_saveexec_b32 s0, vcc_lo
	s_cbranch_execz .LBB152_138
.LBB152_211:
	ds_load_b32 v34, v32 offset:736
	s_wait_dscnt 0x0
	v_add_f32_e32 v7, v7, v34
	s_or_b32 exec_lo, exec_lo, s0
	s_and_saveexec_b32 s0, vcc_lo
	s_cbranch_execz .LBB152_139
.LBB152_212:
	ds_load_b32 v34, v32 offset:768
	s_wait_dscnt 0x0
	v_add_f32_e32 v4, v4, v34
	s_or_b32 exec_lo, exec_lo, s0
	s_and_saveexec_b32 s0, vcc_lo
	s_cbranch_execz .LBB152_140
.LBB152_213:
	ds_load_b32 v34, v32 offset:800
	s_wait_dscnt 0x0
	v_add_f32_e32 v5, v5, v34
	s_or_b32 exec_lo, exec_lo, s0
	s_and_saveexec_b32 s0, vcc_lo
	s_cbranch_execz .LBB152_141
.LBB152_214:
	ds_load_b32 v34, v32 offset:832
	s_wait_dscnt 0x0
	v_add_f32_e32 v2, v2, v34
	s_or_b32 exec_lo, exec_lo, s0
	s_and_saveexec_b32 s0, vcc_lo
	s_cbranch_execz .LBB152_142
.LBB152_215:
	ds_load_b32 v34, v32 offset:864
	s_wait_dscnt 0x0
	v_add_f32_e32 v3, v3, v34
	s_or_b32 exec_lo, exec_lo, s0
	s_and_saveexec_b32 s0, vcc_lo
	s_cbranch_execz .LBB152_143
.LBB152_216:
	ds_load_b32 v34, v32 offset:896
	s_wait_dscnt 0x0
	v_add_f32_e32 v0, v0, v34
	s_or_b32 exec_lo, exec_lo, s0
	s_and_saveexec_b32 s0, vcc_lo
	s_cbranch_execz .LBB152_144
.LBB152_217:
	ds_load_b32 v34, v32 offset:928
	s_wait_dscnt 0x0
	v_add_f32_e32 v1, v1, v34
	s_or_b32 exec_lo, exec_lo, s0
	s_and_saveexec_b32 s0, vcc_lo
	s_cbranch_execz .LBB152_145
.LBB152_218:
	ds_load_b32 v34, v32 offset:960
	s_wait_dscnt 0x0
	v_add_f32_e32 v30, v30, v34
	s_or_b32 exec_lo, exec_lo, s0
	s_and_saveexec_b32 s0, vcc_lo
	s_cbranch_execnz .LBB152_146
	s_branch .LBB152_147
.LBB152_219:
	ds_load_b32 v33, v32
	s_wait_dscnt 0x0
	v_add_f32_e32 v28, v28, v33
	s_or_b32 exec_lo, exec_lo, s1
	s_and_saveexec_b32 s1, vcc_lo
	s_cbranch_execz .LBB152_153
.LBB152_220:
	ds_load_b32 v33, v32 offset:32
	s_wait_dscnt 0x0
	v_add_f32_e32 v29, v29, v33
	s_or_b32 exec_lo, exec_lo, s1
	s_and_saveexec_b32 s1, vcc_lo
	s_cbranch_execz .LBB152_154
.LBB152_221:
	ds_load_b32 v33, v32 offset:64
	s_wait_dscnt 0x0
	v_add_f32_e32 v26, v26, v33
	s_or_b32 exec_lo, exec_lo, s1
	s_and_saveexec_b32 s1, vcc_lo
	s_cbranch_execz .LBB152_155
.LBB152_222:
	ds_load_b32 v33, v32 offset:96
	s_wait_dscnt 0x0
	v_add_f32_e32 v27, v27, v33
	s_or_b32 exec_lo, exec_lo, s1
	s_and_saveexec_b32 s1, vcc_lo
	s_cbranch_execz .LBB152_156
.LBB152_223:
	ds_load_b32 v33, v32 offset:128
	s_wait_dscnt 0x0
	v_add_f32_e32 v24, v24, v33
	s_or_b32 exec_lo, exec_lo, s1
	s_and_saveexec_b32 s1, vcc_lo
	s_cbranch_execz .LBB152_157
.LBB152_224:
	ds_load_b32 v33, v32 offset:160
	s_wait_dscnt 0x0
	v_add_f32_e32 v25, v25, v33
	s_or_b32 exec_lo, exec_lo, s1
	s_and_saveexec_b32 s1, vcc_lo
	s_cbranch_execz .LBB152_158
.LBB152_225:
	ds_load_b32 v33, v32 offset:192
	s_wait_dscnt 0x0
	v_add_f32_e32 v22, v22, v33
	s_or_b32 exec_lo, exec_lo, s1
	s_and_saveexec_b32 s1, vcc_lo
	s_cbranch_execz .LBB152_159
.LBB152_226:
	ds_load_b32 v33, v32 offset:224
	s_wait_dscnt 0x0
	v_add_f32_e32 v23, v23, v33
	s_or_b32 exec_lo, exec_lo, s1
	s_and_saveexec_b32 s1, vcc_lo
	s_cbranch_execz .LBB152_160
.LBB152_227:
	ds_load_b32 v33, v32 offset:256
	s_wait_dscnt 0x0
	v_add_f32_e32 v20, v20, v33
	s_or_b32 exec_lo, exec_lo, s1
	s_and_saveexec_b32 s1, vcc_lo
	s_cbranch_execz .LBB152_161
.LBB152_228:
	ds_load_b32 v33, v32 offset:288
	s_wait_dscnt 0x0
	v_add_f32_e32 v21, v21, v33
	s_or_b32 exec_lo, exec_lo, s1
	s_and_saveexec_b32 s1, vcc_lo
	s_cbranch_execz .LBB152_162
.LBB152_229:
	ds_load_b32 v33, v32 offset:320
	s_wait_dscnt 0x0
	v_add_f32_e32 v18, v18, v33
	s_or_b32 exec_lo, exec_lo, s1
	s_and_saveexec_b32 s1, vcc_lo
	s_cbranch_execz .LBB152_163
.LBB152_230:
	ds_load_b32 v33, v32 offset:352
	s_wait_dscnt 0x0
	v_add_f32_e32 v19, v19, v33
	s_or_b32 exec_lo, exec_lo, s1
	s_and_saveexec_b32 s1, vcc_lo
	s_cbranch_execz .LBB152_164
.LBB152_231:
	ds_load_b32 v33, v32 offset:384
	s_wait_dscnt 0x0
	v_add_f32_e32 v16, v16, v33
	s_or_b32 exec_lo, exec_lo, s1
	s_and_saveexec_b32 s1, vcc_lo
	s_cbranch_execz .LBB152_165
.LBB152_232:
	ds_load_b32 v33, v32 offset:416
	s_wait_dscnt 0x0
	v_add_f32_e32 v17, v17, v33
	s_or_b32 exec_lo, exec_lo, s1
	s_and_saveexec_b32 s1, vcc_lo
	s_cbranch_execz .LBB152_166
.LBB152_233:
	ds_load_b32 v33, v32 offset:448
	s_wait_dscnt 0x0
	v_add_f32_e32 v14, v14, v33
	s_or_b32 exec_lo, exec_lo, s1
	s_and_saveexec_b32 s1, vcc_lo
	s_cbranch_execz .LBB152_167
.LBB152_234:
	ds_load_b32 v33, v32 offset:480
	s_wait_dscnt 0x0
	v_add_f32_e32 v15, v15, v33
	s_or_b32 exec_lo, exec_lo, s1
	s_and_saveexec_b32 s1, vcc_lo
	s_cbranch_execz .LBB152_168
.LBB152_235:
	ds_load_b32 v33, v32 offset:512
	s_wait_dscnt 0x0
	v_add_f32_e32 v12, v12, v33
	s_or_b32 exec_lo, exec_lo, s1
	s_and_saveexec_b32 s1, vcc_lo
	s_cbranch_execz .LBB152_169
.LBB152_236:
	ds_load_b32 v33, v32 offset:544
	s_wait_dscnt 0x0
	v_add_f32_e32 v13, v13, v33
	s_or_b32 exec_lo, exec_lo, s1
	s_and_saveexec_b32 s1, vcc_lo
	s_cbranch_execz .LBB152_170
.LBB152_237:
	ds_load_b32 v33, v32 offset:576
	s_wait_dscnt 0x0
	v_add_f32_e32 v10, v10, v33
	s_or_b32 exec_lo, exec_lo, s1
	s_and_saveexec_b32 s1, vcc_lo
	s_cbranch_execz .LBB152_171
.LBB152_238:
	ds_load_b32 v33, v32 offset:608
	s_wait_dscnt 0x0
	v_add_f32_e32 v11, v11, v33
	s_or_b32 exec_lo, exec_lo, s1
	s_and_saveexec_b32 s1, vcc_lo
	s_cbranch_execz .LBB152_172
.LBB152_239:
	ds_load_b32 v33, v32 offset:640
	s_wait_dscnt 0x0
	v_add_f32_e32 v8, v8, v33
	s_or_b32 exec_lo, exec_lo, s1
	s_and_saveexec_b32 s1, vcc_lo
	s_cbranch_execz .LBB152_173
.LBB152_240:
	ds_load_b32 v33, v32 offset:672
	s_wait_dscnt 0x0
	v_add_f32_e32 v9, v9, v33
	s_or_b32 exec_lo, exec_lo, s1
	s_and_saveexec_b32 s1, vcc_lo
	s_cbranch_execz .LBB152_174
.LBB152_241:
	ds_load_b32 v33, v32 offset:704
	s_wait_dscnt 0x0
	v_add_f32_e32 v6, v6, v33
	s_or_b32 exec_lo, exec_lo, s1
	s_and_saveexec_b32 s1, vcc_lo
	s_cbranch_execz .LBB152_175
.LBB152_242:
	ds_load_b32 v33, v32 offset:736
	s_wait_dscnt 0x0
	v_add_f32_e32 v7, v7, v33
	s_or_b32 exec_lo, exec_lo, s1
	s_and_saveexec_b32 s1, vcc_lo
	s_cbranch_execz .LBB152_176
.LBB152_243:
	ds_load_b32 v33, v32 offset:768
	s_wait_dscnt 0x0
	v_add_f32_e32 v4, v4, v33
	s_or_b32 exec_lo, exec_lo, s1
	s_and_saveexec_b32 s1, vcc_lo
	s_cbranch_execz .LBB152_177
.LBB152_244:
	ds_load_b32 v33, v32 offset:800
	s_wait_dscnt 0x0
	v_add_f32_e32 v5, v5, v33
	s_or_b32 exec_lo, exec_lo, s1
	s_and_saveexec_b32 s1, vcc_lo
	s_cbranch_execz .LBB152_178
.LBB152_245:
	ds_load_b32 v33, v32 offset:832
	s_wait_dscnt 0x0
	v_add_f32_e32 v2, v2, v33
	s_or_b32 exec_lo, exec_lo, s1
	s_and_saveexec_b32 s1, vcc_lo
	s_cbranch_execz .LBB152_179
.LBB152_246:
	ds_load_b32 v33, v32 offset:864
	s_wait_dscnt 0x0
	v_add_f32_e32 v3, v3, v33
	s_or_b32 exec_lo, exec_lo, s1
	s_and_saveexec_b32 s1, vcc_lo
	s_cbranch_execz .LBB152_180
.LBB152_247:
	ds_load_b32 v33, v32 offset:896
	s_wait_dscnt 0x0
	v_add_f32_e32 v0, v0, v33
	s_or_b32 exec_lo, exec_lo, s1
	s_and_saveexec_b32 s1, vcc_lo
	s_cbranch_execz .LBB152_181
.LBB152_248:
	ds_load_b32 v33, v32 offset:928
	s_wait_dscnt 0x0
	v_add_f32_e32 v1, v1, v33
	s_or_b32 exec_lo, exec_lo, s1
	s_and_saveexec_b32 s1, vcc_lo
	s_cbranch_execz .LBB152_182
.LBB152_249:
	ds_load_b32 v33, v32 offset:960
	s_wait_dscnt 0x0
	v_add_f32_e32 v30, v30, v33
	s_or_b32 exec_lo, exec_lo, s1
	s_and_saveexec_b32 s1, vcc_lo
	s_cbranch_execnz .LBB152_183
	s_branch .LBB152_184
	.section	.rodata,"a",@progbits
	.p2align	6, 0x0
	.amdhsa_kernel _ZN4vllm25paged_attention_v1_kernelI14__hip_bfloat16S1_Li256ELi32ELi128ELNS_18Fp8KVCacheDataTypeE0ELb1EEEvPT_PKS3_PKT0_S9_ifPKiSB_iPKfiiiSD_SD_iiiii
		.amdhsa_group_segment_fixed_size 544
		.amdhsa_private_segment_fixed_size 892
		.amdhsa_kernarg_size 384
		.amdhsa_user_sgpr_count 2
		.amdhsa_user_sgpr_dispatch_ptr 0
		.amdhsa_user_sgpr_queue_ptr 0
		.amdhsa_user_sgpr_kernarg_segment_ptr 1
		.amdhsa_user_sgpr_dispatch_id 0
		.amdhsa_user_sgpr_kernarg_preload_length 0
		.amdhsa_user_sgpr_kernarg_preload_offset 0
		.amdhsa_user_sgpr_private_segment_size 0
		.amdhsa_wavefront_size32 1
		.amdhsa_uses_dynamic_stack 0
		.amdhsa_enable_private_segment 1
		.amdhsa_system_sgpr_workgroup_id_x 1
		.amdhsa_system_sgpr_workgroup_id_y 1
		.amdhsa_system_sgpr_workgroup_id_z 1
		.amdhsa_system_sgpr_workgroup_info 0
		.amdhsa_system_vgpr_workitem_id 0
		.amdhsa_next_free_vgpr 128
		.amdhsa_next_free_sgpr 39
		.amdhsa_named_barrier_count 0
		.amdhsa_reserve_vcc 1
		.amdhsa_float_round_mode_32 0
		.amdhsa_float_round_mode_16_64 0
		.amdhsa_float_denorm_mode_32 3
		.amdhsa_float_denorm_mode_16_64 3
		.amdhsa_fp16_overflow 0
		.amdhsa_memory_ordered 1
		.amdhsa_forward_progress 1
		.amdhsa_inst_pref_size 251
		.amdhsa_round_robin_scheduling 0
		.amdhsa_exception_fp_ieee_invalid_op 0
		.amdhsa_exception_fp_denorm_src 0
		.amdhsa_exception_fp_ieee_div_zero 0
		.amdhsa_exception_fp_ieee_overflow 0
		.amdhsa_exception_fp_ieee_underflow 0
		.amdhsa_exception_fp_ieee_inexact 0
		.amdhsa_exception_int_div_zero 0
	.end_amdhsa_kernel
	.section	.text._ZN4vllm25paged_attention_v1_kernelI14__hip_bfloat16S1_Li256ELi32ELi128ELNS_18Fp8KVCacheDataTypeE0ELb1EEEvPT_PKS3_PKT0_S9_ifPKiSB_iPKfiiiSD_SD_iiiii,"axG",@progbits,_ZN4vllm25paged_attention_v1_kernelI14__hip_bfloat16S1_Li256ELi32ELi128ELNS_18Fp8KVCacheDataTypeE0ELb1EEEvPT_PKS3_PKT0_S9_ifPKiSB_iPKfiiiSD_SD_iiiii,comdat
.Lfunc_end152:
	.size	_ZN4vllm25paged_attention_v1_kernelI14__hip_bfloat16S1_Li256ELi32ELi128ELNS_18Fp8KVCacheDataTypeE0ELb1EEEvPT_PKS3_PKT0_S9_ifPKiSB_iPKfiiiSD_SD_iiiii, .Lfunc_end152-_ZN4vllm25paged_attention_v1_kernelI14__hip_bfloat16S1_Li256ELi32ELi128ELNS_18Fp8KVCacheDataTypeE0ELb1EEEvPT_PKS3_PKT0_S9_ifPKiSB_iPKfiiiSD_SD_iiiii
                                        ; -- End function
	.set _ZN4vllm25paged_attention_v1_kernelI14__hip_bfloat16S1_Li256ELi32ELi128ELNS_18Fp8KVCacheDataTypeE0ELb1EEEvPT_PKS3_PKT0_S9_ifPKiSB_iPKfiiiSD_SD_iiiii.num_vgpr, 128
	.set _ZN4vllm25paged_attention_v1_kernelI14__hip_bfloat16S1_Li256ELi32ELi128ELNS_18Fp8KVCacheDataTypeE0ELb1EEEvPT_PKS3_PKT0_S9_ifPKiSB_iPKfiiiSD_SD_iiiii.num_agpr, 0
	.set _ZN4vllm25paged_attention_v1_kernelI14__hip_bfloat16S1_Li256ELi32ELi128ELNS_18Fp8KVCacheDataTypeE0ELb1EEEvPT_PKS3_PKT0_S9_ifPKiSB_iPKfiiiSD_SD_iiiii.numbered_sgpr, 39
	.set _ZN4vllm25paged_attention_v1_kernelI14__hip_bfloat16S1_Li256ELi32ELi128ELNS_18Fp8KVCacheDataTypeE0ELb1EEEvPT_PKS3_PKT0_S9_ifPKiSB_iPKfiiiSD_SD_iiiii.num_named_barrier, 0
	.set _ZN4vllm25paged_attention_v1_kernelI14__hip_bfloat16S1_Li256ELi32ELi128ELNS_18Fp8KVCacheDataTypeE0ELb1EEEvPT_PKS3_PKT0_S9_ifPKiSB_iPKfiiiSD_SD_iiiii.private_seg_size, 892
	.set _ZN4vllm25paged_attention_v1_kernelI14__hip_bfloat16S1_Li256ELi32ELi128ELNS_18Fp8KVCacheDataTypeE0ELb1EEEvPT_PKS3_PKT0_S9_ifPKiSB_iPKfiiiSD_SD_iiiii.uses_vcc, 1
	.set _ZN4vllm25paged_attention_v1_kernelI14__hip_bfloat16S1_Li256ELi32ELi128ELNS_18Fp8KVCacheDataTypeE0ELb1EEEvPT_PKS3_PKT0_S9_ifPKiSB_iPKfiiiSD_SD_iiiii.uses_flat_scratch, 1
	.set _ZN4vllm25paged_attention_v1_kernelI14__hip_bfloat16S1_Li256ELi32ELi128ELNS_18Fp8KVCacheDataTypeE0ELb1EEEvPT_PKS3_PKT0_S9_ifPKiSB_iPKfiiiSD_SD_iiiii.has_dyn_sized_stack, 0
	.set _ZN4vllm25paged_attention_v1_kernelI14__hip_bfloat16S1_Li256ELi32ELi128ELNS_18Fp8KVCacheDataTypeE0ELb1EEEvPT_PKS3_PKT0_S9_ifPKiSB_iPKfiiiSD_SD_iiiii.has_recursion, 0
	.set _ZN4vllm25paged_attention_v1_kernelI14__hip_bfloat16S1_Li256ELi32ELi128ELNS_18Fp8KVCacheDataTypeE0ELb1EEEvPT_PKS3_PKT0_S9_ifPKiSB_iPKfiiiSD_SD_iiiii.has_indirect_call, 0
	.section	.AMDGPU.csdata,"",@progbits
; Kernel info:
; codeLenInByte = 32040
; TotalNumSgprs: 41
; NumVgprs: 128
; ScratchSize: 892
; MemoryBound: 0
; FloatMode: 240
; IeeeMode: 1
; LDSByteSize: 544 bytes/workgroup (compile time only)
; SGPRBlocks: 0
; VGPRBlocks: 7
; NumSGPRsForWavesPerEU: 41
; NumVGPRsForWavesPerEU: 128
; NamedBarCnt: 0
; Occupancy: 8
; WaveLimiterHint : 1
; COMPUTE_PGM_RSRC2:SCRATCH_EN: 1
; COMPUTE_PGM_RSRC2:USER_SGPR: 2
; COMPUTE_PGM_RSRC2:TRAP_HANDLER: 0
; COMPUTE_PGM_RSRC2:TGID_X_EN: 1
; COMPUTE_PGM_RSRC2:TGID_Y_EN: 1
; COMPUTE_PGM_RSRC2:TGID_Z_EN: 1
; COMPUTE_PGM_RSRC2:TIDIG_COMP_CNT: 0
	.section	.text._ZN4vllm25paged_attention_v1_kernelI14__hip_bfloat16S1_Li32ELi32ELi128ELNS_18Fp8KVCacheDataTypeE0ELb0EEEvPT_PKS3_PKT0_S9_ifPKiSB_iPKfiiiSD_SD_iiiii,"axG",@progbits,_ZN4vllm25paged_attention_v1_kernelI14__hip_bfloat16S1_Li32ELi32ELi128ELNS_18Fp8KVCacheDataTypeE0ELb0EEEvPT_PKS3_PKT0_S9_ifPKiSB_iPKfiiiSD_SD_iiiii,comdat
	.protected	_ZN4vllm25paged_attention_v1_kernelI14__hip_bfloat16S1_Li32ELi32ELi128ELNS_18Fp8KVCacheDataTypeE0ELb0EEEvPT_PKS3_PKT0_S9_ifPKiSB_iPKfiiiSD_SD_iiiii ; -- Begin function _ZN4vllm25paged_attention_v1_kernelI14__hip_bfloat16S1_Li32ELi32ELi128ELNS_18Fp8KVCacheDataTypeE0ELb0EEEvPT_PKS3_PKT0_S9_ifPKiSB_iPKfiiiSD_SD_iiiii
	.globl	_ZN4vllm25paged_attention_v1_kernelI14__hip_bfloat16S1_Li32ELi32ELi128ELNS_18Fp8KVCacheDataTypeE0ELb0EEEvPT_PKS3_PKT0_S9_ifPKiSB_iPKfiiiSD_SD_iiiii
	.p2align	8
	.type	_ZN4vllm25paged_attention_v1_kernelI14__hip_bfloat16S1_Li32ELi32ELi128ELNS_18Fp8KVCacheDataTypeE0ELb0EEEvPT_PKS3_PKT0_S9_ifPKiSB_iPKfiiiSD_SD_iiiii,@function
_ZN4vllm25paged_attention_v1_kernelI14__hip_bfloat16S1_Li32ELi32ELi128ELNS_18Fp8KVCacheDataTypeE0ELb0EEEvPT_PKS3_PKT0_S9_ifPKiSB_iPKfiiiSD_SD_iiiii: ; @_ZN4vllm25paged_attention_v1_kernelI14__hip_bfloat16S1_Li32ELi32ELi128ELNS_18Fp8KVCacheDataTypeE0ELb0EEEvPT_PKS3_PKT0_S9_ifPKiSB_iPKfiiiSD_SD_iiiii
; %bb.0:
	s_load_b64 s[6:7], s[0:1], 0x20
	s_bfe_u32 s3, ttmp6, 0x4000c
	s_bfe_u32 s5, ttmp6, 0x40010
	s_and_b32 s4, ttmp7, 0xffff
	s_add_co_i32 s3, s3, 1
	s_add_co_i32 s5, s5, 1
	s_and_b32 s2, ttmp6, 15
	s_bfe_u32 s8, ttmp6, 0x40004
	s_mul_i32 s3, ttmp9, s3
	s_mul_i32 s5, s4, s5
	s_getreg_b32 s18, hwreg(HW_REG_IB_STS2, 6, 4)
	s_add_co_i32 s2, s2, s3
	s_add_co_i32 s8, s8, s5
	s_cmp_eq_u32 s18, 0
	s_clause 0x1
	s_load_b32 s19, s[0:1], 0x80
	s_load_b64 s[10:11], s[0:1], 0x30
	s_cselect_b32 s20, s4, s8
	s_cselect_b32 s8, ttmp9, s2
	s_wait_kmcnt 0x0
	s_abs_i32 s2, s6
	s_delay_alu instid0(SALU_CYCLE_1) | instskip(SKIP_1) | instid1(SALU_CYCLE_2)
	s_cvt_f32_u32 s3, s2
	s_sub_co_i32 s4, 0, s2
	v_rcp_iflag_f32_e32 v1, s3
	s_abs_i32 s5, s19
	v_nop
	s_delay_alu instid0(TRANS32_DEP_1) | instskip(SKIP_1) | instid1(SALU_CYCLE_3)
	v_readfirstlane_b32 s3, v1
	s_mul_f32 s3, s3, 0x4f7ffffe
	s_cvt_u32_f32 s3, s3
	s_delay_alu instid0(SALU_CYCLE_3) | instskip(NEXT) | instid1(SALU_CYCLE_1)
	s_mul_i32 s4, s4, s3
	s_mul_hi_u32 s4, s3, s4
	s_delay_alu instid0(SALU_CYCLE_1) | instskip(SKIP_4) | instid1(SALU_CYCLE_1)
	s_add_co_i32 s3, s3, s4
	s_xor_b32 s4, s19, s6
	s_mul_hi_u32 s3, s5, s3
	s_ashr_i32 s4, s4, 31
	s_mul_i32 s6, s3, s2
	s_sub_co_i32 s5, s5, s6
	s_add_co_i32 s6, s3, 1
	s_sub_co_i32 s9, s5, s2
	s_cmp_ge_u32 s5, s2
	s_cselect_b32 s3, s6, s3
	s_cselect_b32 s5, s9, s5
	s_add_co_i32 s6, s3, 1
	s_cmp_ge_u32 s5, s2
	s_cselect_b32 s2, s6, s3
	s_mov_b32 s3, 0
	s_xor_b32 s2, s2, s4
	s_mov_b32 s13, s3
	s_sub_co_i32 s15, s2, s4
	s_load_b64 s[4:5], s[0:1], 0x40
	s_abs_i32 s14, s15
	s_mov_b32 s23, s3
	s_cvt_f32_u32 s2, s14
	s_delay_alu instid0(SALU_CYCLE_3) | instskip(SKIP_1) | instid1(TRANS32_DEP_1)
	v_rcp_iflag_f32_e32 v1, s2
	v_nop
	v_readfirstlane_b32 s2, v1
	s_mul_f32 s2, s2, 0x4f7ffffe
	s_delay_alu instid0(SALU_CYCLE_3) | instskip(SKIP_1) | instid1(SALU_CYCLE_2)
	s_cvt_u32_f32 s6, s2
	s_sub_co_i32 s2, 0, s14
	s_mul_i32 s2, s2, s6
	s_delay_alu instid0(SALU_CYCLE_1)
	s_mul_hi_u32 s9, s6, s2
	s_abs_i32 s2, s8
	s_add_co_i32 s12, s6, s9
	s_wait_kmcnt 0x0
	s_cmp_eq_u64 s[4:5], 0
	s_cbranch_scc1 .LBB153_2
; %bb.1:
	s_ashr_i32 s9, s8, 31
	s_delay_alu instid0(SALU_CYCLE_1) | instskip(NEXT) | instid1(SALU_CYCLE_1)
	s_lshl_b64 s[16:17], s[8:9], 2
	s_add_nc_u64 s[4:5], s[4:5], s[16:17]
	s_load_b32 s23, s[4:5], 0x0
.LBB153_2:
	s_load_b32 s21, s[10:11], s20 offset:0x0 scale_offset
	s_wait_xcnt 0x0
	s_load_b96 s[4:6], s[0:1], 0x48
	v_lshlrev_b32_e32 v43, 4, v0
	s_ashr_i32 s10, s8, 31
	s_ashr_i32 s11, s15, 31
	s_mul_u64 s[12:13], s[2:3], s[12:13]
	s_lshl_b32 s8, s8, 5
	s_mov_b32 s3, exec_lo
	v_cmpx_gt_u32_e32 4, v0
	s_cbranch_execz .LBB153_4
; %bb.3:
	s_load_b64 s[16:17], s[0:1], 0x8
	s_wait_kmcnt 0x0
	s_mul_i32 s24, s4, s20
	s_ashr_i32 s9, s8, 31
	s_ashr_i32 s25, s24, 31
	s_delay_alu instid0(SALU_CYCLE_1) | instskip(NEXT) | instid1(SALU_CYCLE_1)
	s_lshl_b64 s[24:25], s[24:25], 1
	s_add_nc_u64 s[16:17], s[16:17], s[24:25]
	s_lshl_b64 s[24:25], s[8:9], 1
	s_delay_alu instid0(SALU_CYCLE_1)
	s_add_nc_u64 s[16:17], s[16:17], s[24:25]
	global_load_b128 v[2:5], v0, s[16:17] scale_offset
	s_wait_loadcnt 0x0
	ds_store_b128 v43, v[2:5]
.LBB153_4:
	s_or_b32 exec_lo, exec_lo, s3
	s_wait_kmcnt 0x0
	s_add_co_i32 s3, s21, 31
	s_load_b32 s4, s[0:1], 0x38
	s_ashr_i32 s9, s3, 31
	s_xor_b32 s12, s10, s11
	s_lshr_b32 s9, s9, 27
	s_mul_i32 s10, s13, s14
	s_add_co_i32 s3, s3, s9
	s_sub_co_i32 s2, s2, s10
	s_clause 0x1
	s_load_b64 s[10:11], s[0:1], 0x28
	s_load_b32 s9, s[0:1], 0x88
	s_ashr_i32 s22, s3, 5
	s_add_co_i32 s3, s13, 1
	s_sub_co_i32 s15, s2, s14
	s_cmp_ge_u32 s2, s14
	v_dual_lshrrev_b32 v1, 5, v0 :: v_dual_bitop2_b32 v42, 31, v0 bitop3:0x40
	s_cselect_b32 s3, s3, s13
	s_cselect_b32 s2, s15, s2
	s_add_co_i32 s13, s3, 1
	s_cmp_ge_u32 s2, s14
	v_dual_mov_b32 v46, 0xff7fffff :: v_dual_lshlrev_b32 v45, 2, v42
	s_cselect_b32 s2, s13, s3
	v_lshrrev_b32_e32 v44, 3, v0
	s_xor_b32 s2, s2, s12
	s_wait_dscnt 0x0
	s_sub_co_i32 s3, s2, s12
	v_cmp_gt_i32_e64 s2, s22, v1
	s_wait_kmcnt 0x0
	s_mul_i32 s12, s4, s20
	s_mul_i32 s14, s3, s6
	s_ashr_i32 s13, s12, 31
	s_barrier_signal -1
	s_barrier_wait -1
	s_and_saveexec_b32 s6, s2
	s_cbranch_execz .LBB153_8
; %bb.5:
	s_load_b64 s[24:25], s[0:1], 0x10
	v_dual_mov_b32 v51, 0 :: v_dual_lshlrev_b32 v50, 4, v42
	s_ashr_i32 s15, s14, 31
	s_ashr_i32 s17, s5, 31
	ds_load_b128 v[2:5], v51
	ds_load_b128 v[28:31], v51 offset:16
	ds_load_b128 v[32:35], v51 offset:32
	;; [unrolled: 1-line block ×3, first 2 shown]
	s_lshl_b64 s[26:27], s[14:15], 1
	s_cmp_neq_f32 s23, 0
	v_lshl_or_b32 v47, v1, 5, v42
	v_mov_b32_e32 v46, 0xff7fffff
	s_mov_b32 s16, s5
	s_cselect_b32 vcc_lo, -1, 0
	s_mov_b32 s15, 0
	v_mov_b32_e32 v49, v1
	s_wait_kmcnt 0x0
	s_add_nc_u64 s[24:25], s[24:25], s[26:27]
	s_delay_alu instid0(SALU_CYCLE_1)
	v_add_nc_u64_e32 v[6:7], s[24:25], v[50:51]
	v_and_b32_e32 v50, 0x7c, v44
	s_lshl_b64 s[24:25], s[12:13], 2
	s_wait_dscnt 0x3
	v_and_b32_e32 v9, 0xffff0000, v2
	s_wait_dscnt 0x2
	v_dual_lshlrev_b32 v8, 16, v2 :: v_dual_lshlrev_b32 v10, 16, v28
	v_lshl_or_b32 v2, v1, 7, v45
	s_add_nc_u64 s[24:25], s[10:11], s[24:25]
	v_and_b32_e32 v11, 0xffff0000, v28
	s_wait_dscnt 0x1
	v_and_b32_e32 v13, 0xffff0000, v32
	v_dual_lshlrev_b32 v12, 16, v32 :: v_dual_lshlrev_b32 v14, 16, v3
	v_and_b32_e32 v17, 0xffff0000, v29
	v_dual_lshlrev_b32 v16, 16, v29 :: v_dual_lshlrev_b32 v20, 16, v4
	;; [unrolled: 2-line block ×3, first 2 shown]
	v_and_b32_e32 v23, 0xffff0000, v30
	v_and_b32_e32 v25, 0xffff0000, v34
	v_dual_lshlrev_b32 v24, 16, v34 :: v_dual_lshlrev_b32 v26, 16, v5
	v_and_b32_e32 v29, 0xffff0000, v31
	s_wait_dscnt 0x0
	v_dual_lshlrev_b32 v28, 16, v31 :: v_dual_lshlrev_b32 v32, 16, v38
	v_and_b32_e32 v31, 0xffff0000, v35
	v_dual_lshlrev_b32 v30, 16, v35 :: v_dual_lshlrev_b32 v36, 16, v40
	v_and_b32_e32 v33, 0xffff0000, v38
	v_and_b32_e32 v35, 0xffff0000, v39
	v_dual_lshlrev_b32 v34, 16, v39 :: v_dual_lshlrev_b32 v38, 16, v41
	v_and_b32_e32 v37, 0xffff0000, v40
	v_and_b32_e32 v39, 0xffff0000, v41
	v_add_nc_u64_e32 v[40:41], s[24:25], v[50:51]
	v_and_b32_e32 v15, 0xffff0000, v3
	v_and_b32_e32 v21, 0xffff0000, v4
	;; [unrolled: 1-line block ×3, first 2 shown]
	v_add_nc_u32_e32 v48, 0x60, v2
	s_sub_co_i32 s24, 1, s21
.LBB153_6:                              ; =>This Inner Loop Header: Depth=1
	global_load_b32 v2, v[40:41], off
	v_cmp_gt_i32_e64 s3, s21, v47
	s_wait_xcnt 0x0
	v_add_nc_u64_e32 v[40:41], 16, v[40:41]
	v_dual_add_nc_u32 v78, s24, v47 :: v_dual_add_nc_u32 v49, 4, v49
	v_add_nc_u32_e32 v47, 0x80, v47
	s_delay_alu instid0(VALU_DEP_2) | instskip(SKIP_3) | instid1(VALU_DEP_1)
	v_cmp_le_i32_e64 s4, s22, v49
	s_or_b32 s15, s4, s15
	s_wait_loadcnt 0x0
	v_ashrrev_i32_e32 v3, 31, v2
	v_mul_u64_e32 v[2:3], s[16:17], v[2:3]
	s_delay_alu instid0(VALU_DEP_1)
	v_lshl_add_u64 v[62:63], v[2:3], 1, v[6:7]
	s_clause 0x3
	global_load_b128 v[2:5], v[62:63], off
	global_load_b128 v[50:53], v[62:63], off offset:512
	global_load_b128 v[54:57], v[62:63], off offset:1024
	;; [unrolled: 1-line block ×3, first 2 shown]
	s_wait_loadcnt 0x3
	s_wait_xcnt 0x0
	v_and_b32_e32 v63, 0xffff0000, v2
	v_dual_lshlrev_b32 v62, 16, v2 :: v_dual_lshlrev_b32 v64, 16, v3
	v_and_b32_e32 v65, 0xffff0000, v3
	v_and_b32_e32 v3, 0xffff0000, v4
	v_dual_lshlrev_b32 v2, 16, v4 :: v_dual_lshlrev_b32 v66, 16, v5
	v_and_b32_e32 v67, 0xffff0000, v5
	s_wait_loadcnt 0x2
	v_and_b32_e32 v5, 0xffff0000, v50
	v_dual_lshlrev_b32 v4, 16, v50 :: v_dual_lshlrev_b32 v68, 16, v51
	v_and_b32_e32 v69, 0xffff0000, v51
	v_and_b32_e32 v51, 0xffff0000, v52
	v_dual_lshlrev_b32 v50, 16, v52 :: v_dual_lshlrev_b32 v70, 16, v53
	s_delay_alu instid0(VALU_DEP_4)
	v_pk_mul_f32 v[4:5], v[10:11], v[4:5]
	v_and_b32_e32 v71, 0xffff0000, v53
	s_wait_loadcnt 0x1
	v_and_b32_e32 v53, 0xffff0000, v54
	v_dual_lshlrev_b32 v52, 16, v54 :: v_dual_lshlrev_b32 v72, 16, v55
	v_pk_mul_f32 v[68:69], v[16:17], v[68:69]
	v_pk_fma_f32 v[4:5], v[8:9], v[62:63], v[4:5]
	v_and_b32_e32 v73, 0xffff0000, v55
	v_and_b32_e32 v55, 0xffff0000, v56
	v_dual_lshlrev_b32 v54, 16, v56 :: v_dual_lshlrev_b32 v74, 16, v57
	v_and_b32_e32 v75, 0xffff0000, v57
	s_wait_loadcnt 0x0
	v_and_b32_e32 v57, 0xffff0000, v58
	v_dual_lshlrev_b32 v56, 16, v58 :: v_dual_lshlrev_b32 v76, 16, v59
	v_pk_fma_f32 v[64:65], v[14:15], v[64:65], v[68:69]
	v_pk_fma_f32 v[4:5], v[12:13], v[52:53], v[4:5]
	v_and_b32_e32 v77, 0xffff0000, v59
	v_pk_mul_f32 v[50:51], v[22:23], v[50:51]
	v_and_b32_e32 v59, 0xffff0000, v60
	v_pk_fma_f32 v[52:53], v[18:19], v[72:73], v[64:65]
	v_pk_fma_f32 v[4:5], v[32:33], v[56:57], v[4:5]
	v_lshlrev_b32_e32 v58, 16, v60
	v_pk_fma_f32 v[2:3], v[20:21], v[2:3], v[50:51]
	v_lshlrev_b32_e32 v62, 16, v61
	v_pk_fma_f32 v[50:51], v[34:35], v[76:77], v[52:53]
	v_add_f32_e32 v52, v4, v5
	v_pk_mul_f32 v[4:5], v[28:29], v[70:71]
	v_pk_fma_f32 v[2:3], v[24:25], v[54:55], v[2:3]
	v_and_b32_e32 v63, 0xffff0000, v61
	s_delay_alu instid0(VALU_DEP_4) | instskip(NEXT) | instid1(VALU_DEP_4)
	v_add_f32_e32 v50, v52, v50
	v_pk_fma_f32 v[4:5], v[26:27], v[66:67], v[4:5]
	s_delay_alu instid0(VALU_DEP_4) | instskip(NEXT) | instid1(VALU_DEP_3)
	v_pk_fma_f32 v[2:3], v[36:37], v[58:59], v[2:3]
	v_add_f32_e32 v50, v51, v50
	s_delay_alu instid0(VALU_DEP_3) | instskip(NEXT) | instid1(VALU_DEP_2)
	v_pk_fma_f32 v[4:5], v[30:31], v[74:75], v[4:5]
	v_add_f32_e32 v2, v2, v50
	v_cvt_f32_i32_e32 v50, v78
	s_delay_alu instid0(VALU_DEP_3) | instskip(NEXT) | instid1(VALU_DEP_3)
	v_pk_fma_f32 v[4:5], v[38:39], v[62:63], v[4:5]
	v_add_f32_e32 v2, v3, v2
	s_delay_alu instid0(VALU_DEP_3) | instskip(NEXT) | instid1(VALU_DEP_1)
	v_mul_f32_e32 v3, s23, v50
	v_dual_add_f32 v2, v4, v2 :: v_dual_cndmask_b32 v3, 0, v3
	v_max_num_f32_e32 v4, v46, v46
	s_delay_alu instid0(VALU_DEP_2) | instskip(NEXT) | instid1(VALU_DEP_1)
	v_add_f32_e32 v2, v5, v2
	v_fmac_f32_e32 v3, s7, v2
	s_delay_alu instid0(VALU_DEP_1) | instskip(NEXT) | instid1(VALU_DEP_1)
	v_max_num_f32_e32 v2, v4, v3
	v_dual_cndmask_b32 v46, v46, v2, s3 :: v_dual_cndmask_b32 v3, 0, v3, s3
	ds_store_b32 v48, v3
	v_add_nc_u32_e32 v48, 0x200, v48
	s_and_not1_b32 exec_lo, exec_lo, s15
	s_cbranch_execnz .LBB153_6
; %bb.7:
	s_or_b32 exec_lo, exec_lo, s15
.LBB153_8:
	s_delay_alu instid0(SALU_CYCLE_1) | instskip(SKIP_4) | instid1(VALU_DEP_1)
	s_or_b32 exec_lo, exec_lo, s6
	v_mbcnt_lo_u32_b32 v5, -1, 0
	s_clause 0x1
	s_load_b64 s[6:7], s[0:1], 0x0
	s_load_b64 s[16:17], s[0:1], 0x18
	v_dual_max_num_f32 v6, v46, v46 :: v_dual_bitop2_b32 v2, 16, v5 bitop3:0x14
	v_xor_b32_e32 v4, 8, v5
	s_delay_alu instid0(VALU_DEP_2) | instskip(SKIP_1) | instid1(VALU_DEP_3)
	v_cmp_gt_i32_e32 vcc_lo, 32, v2
	v_cndmask_b32_e32 v2, v5, v2, vcc_lo
	v_cmp_gt_i32_e32 vcc_lo, 32, v4
	s_delay_alu instid0(VALU_DEP_2) | instskip(SKIP_3) | instid1(VALU_DEP_1)
	v_dual_lshlrev_b32 v2, 2, v2 :: v_dual_cndmask_b32 v4, v5, v4, vcc_lo
	ds_bpermute_b32 v3, v2, v46
	s_wait_dscnt 0x0
	v_dual_max_num_f32 v7, v3, v3 :: v_dual_lshlrev_b32 v3, 2, v4
	v_dual_max_num_f32 v6, v6, v7 :: v_dual_bitop2_b32 v7, 4, v5 bitop3:0x14
	ds_bpermute_b32 v4, v3, v6
	v_cmp_gt_i32_e32 vcc_lo, 32, v7
	s_wait_dscnt 0x0
	v_dual_cndmask_b32 v7, v5, v7 :: v_dual_max_num_f32 v8, v4, v4
	s_delay_alu instid0(VALU_DEP_1) | instskip(SKIP_3) | instid1(VALU_DEP_1)
	v_dual_lshlrev_b32 v4, 2, v7 :: v_dual_max_num_f32 v6, v6, v8
	ds_bpermute_b32 v7, v4, v6
	s_wait_dscnt 0x0
	v_dual_max_num_f32 v7, v7, v7 :: v_dual_bitop2_b32 v8, 2, v5 bitop3:0x14
	v_cmp_gt_i32_e32 vcc_lo, 32, v8
	s_delay_alu instid0(VALU_DEP_2) | instskip(NEXT) | instid1(VALU_DEP_1)
	v_dual_max_num_f32 v6, v6, v7 :: v_dual_cndmask_b32 v8, v5, v8, vcc_lo
	v_dual_lshlrev_b32 v34, 2, v8 :: v_dual_bitop2_b32 v8, 1, v5 bitop3:0x14
	ds_bpermute_b32 v7, v34, v6
	v_cmp_gt_i32_e32 vcc_lo, 32, v8
	v_cndmask_b32_e32 v5, v5, v8, vcc_lo
	v_cmp_eq_u32_e32 vcc_lo, 0, v42
	s_delay_alu instid0(VALU_DEP_2) | instskip(SKIP_2) | instid1(VALU_DEP_1)
	v_lshlrev_b32_e32 v35, 2, v5
	s_wait_dscnt 0x0
	v_dual_lshlrev_b32 v5, 2, v1 :: v_dual_max_num_f32 v7, v7, v7
	v_max_num_f32_e32 v6, v6, v7
	ds_bpermute_b32 v7, v35, v6
	s_wait_xcnt 0x0
	s_and_saveexec_b32 s0, vcc_lo
	s_cbranch_execz .LBB153_10
; %bb.9:
	s_wait_dscnt 0x0
	v_dual_max_num_f32 v7, v7, v7 :: v_dual_max_num_f32 v6, v6, v6
	s_delay_alu instid0(VALU_DEP_1)
	v_max_num_f32_e32 v6, v6, v7
	ds_store_b32 v5, v6 offset:64
.LBB153_10:
	s_or_b32 exec_lo, exec_lo, s0
	v_cmp_gt_u32_e64 s0, 4, v42
	v_mov_b32_e32 v6, 0xff7fffff
	s_wait_dscnt 0x0
	s_barrier_signal -1
	s_barrier_wait -1
	s_and_saveexec_b32 s1, s0
; %bb.11:
	ds_load_b32 v6, v45 offset:64
; %bb.12:
	s_or_b32 exec_lo, exec_lo, s1
	s_wait_dscnt 0x0
	ds_bpermute_b32 v7, v34, v6
	v_max_num_f32_e32 v6, v6, v6
	s_lshl_b32 s1, s22, 5
	s_delay_alu instid0(SALU_CYCLE_1) | instskip(NEXT) | instid1(SALU_CYCLE_1)
	s_min_i32 s4, s1, s21
	v_cmp_gt_i32_e64 s1, s4, v0
	s_wait_dscnt 0x0
	v_max_num_f32_e32 v7, v7, v7
	s_delay_alu instid0(VALU_DEP_1) | instskip(SKIP_3) | instid1(VALU_DEP_1)
	v_max_num_f32_e32 v6, v6, v7
	ds_bpermute_b32 v7, v35, v6
	s_wait_dscnt 0x0
	v_max_num_f32_e32 v7, v7, v7
	v_dual_max_num_f32 v7, v6, v7 :: v_dual_mov_b32 v6, 0
	ds_bpermute_b32 v7, v6, v7
	s_and_saveexec_b32 s15, s1
	s_cbranch_execz .LBB153_16
; %bb.13:
	v_lshl_add_u32 v8, v0, 2, 0x60
	v_dual_mov_b32 v6, 0 :: v_dual_mov_b32 v9, v0
	s_mov_b32 s23, 0
.LBB153_14:                             ; =>This Inner Loop Header: Depth=1
	ds_load_b32 v10, v8
	v_add_nc_u32_e32 v9, 0x80, v9
	s_delay_alu instid0(VALU_DEP_1) | instskip(SKIP_3) | instid1(VALU_DEP_1)
	v_cmp_le_i32_e64 s3, s4, v9
	s_or_b32 s23, s3, s23
	s_wait_dscnt 0x0
	v_sub_f32_e32 v10, v10, v7
	v_mul_f32_e32 v10, 0x3fb8aa3b, v10
	s_delay_alu instid0(VALU_DEP_1)
	v_exp_f32_e32 v10, v10
	ds_store_b32 v8, v10
	v_nop
	v_add_f32_e32 v6, v6, v10
	v_add_nc_u32_e32 v8, 0x200, v8
	s_and_not1_b32 exec_lo, exec_lo, s23
	s_cbranch_execnz .LBB153_14
; %bb.15:
	s_or_b32 exec_lo, exec_lo, s23
.LBB153_16:
	s_delay_alu instid0(SALU_CYCLE_1)
	s_or_b32 exec_lo, exec_lo, s15
	ds_bpermute_b32 v2, v2, v6
	s_wait_dscnt 0x0
	v_add_f32_e32 v2, v6, v2
	ds_bpermute_b32 v3, v3, v2
	s_wait_dscnt 0x0
	v_add_f32_e32 v2, v2, v3
	ds_bpermute_b32 v3, v4, v2
	s_wait_dscnt 0x0
	v_add_f32_e32 v2, v2, v3
	ds_bpermute_b32 v3, v34, v2
	s_wait_dscnt 0x0
	v_add_f32_e32 v2, v2, v3
	ds_bpermute_b32 v3, v35, v2
	s_wait_dscnt 0x0
	v_add_f32_e32 v2, v2, v3
	s_and_saveexec_b32 s3, vcc_lo
; %bb.17:
	ds_store_b32 v5, v2 offset:80
; %bb.18:
	s_or_b32 exec_lo, exec_lo, s3
	s_wait_dscnt 0x0
	s_barrier_signal -1
	s_barrier_wait -1
	s_and_saveexec_b32 s3, s0
; %bb.19:
	ds_load_b32 v2, v45 offset:80
; %bb.20:
	s_or_b32 exec_lo, exec_lo, s3
	s_wait_dscnt 0x0
	ds_bpermute_b32 v3, v34, v2
	s_wait_dscnt 0x0
	v_dual_mov_b32 v27, 0 :: v_dual_add_f32 v2, v2, v3
	ds_bpermute_b32 v3, v35, v2
	s_wait_dscnt 0x0
	v_add_f32_e32 v2, v2, v3
	ds_bpermute_b32 v2, v27, v2
	s_and_saveexec_b32 s0, s1
	s_cbranch_execz .LBB153_33
; %bb.21:
	s_wait_dscnt 0x0
	v_add_f32_e32 v2, 0x358637bd, v2
	s_mov_b32 s3, -1
	s_mov_b32 s1, exec_lo
	s_delay_alu instid0(VALU_DEP_1) | instskip(NEXT) | instid1(VALU_DEP_1)
	v_div_scale_f32 v3, null, v2, v2, 1.0
	v_rcp_f32_e32 v5, v3
	v_nop
	s_delay_alu instid0(TRANS32_DEP_1) | instskip(NEXT) | instid1(VALU_DEP_1)
	v_fma_f32 v4, -v3, v5, 1.0
	v_fmac_f32_e32 v5, v4, v5
	v_div_scale_f32 v6, vcc_lo, 1.0, v2, 1.0
	s_delay_alu instid0(VALU_DEP_1) | instskip(NEXT) | instid1(VALU_DEP_1)
	v_mul_f32_e32 v7, v6, v5
	v_fma_f32 v4, -v3, v7, v6
	s_delay_alu instid0(VALU_DEP_1) | instskip(SKIP_1) | instid1(VALU_DEP_2)
	v_fmac_f32_e32 v7, v4, v5
	v_xad_u32 v4, v0, -1, s4
	v_fma_f32 v3, -v3, v7, v6
	s_delay_alu instid0(VALU_DEP_1) | instskip(NEXT) | instid1(VALU_DEP_1)
	v_div_fmas_f32 v3, v3, v5, v7
	v_div_fixup_f32 v2, v3, v2, 1.0
	v_mov_b32_e32 v3, v0
	v_cmpx_lt_u32_e32 0x7f, v4
	s_cbranch_execz .LBB153_30
; %bb.22:
	s_delay_alu instid0(VALU_DEP_3) | instskip(NEXT) | instid1(VALU_DEP_1)
	v_dual_mov_b32 v3, v2 :: v_dual_lshrrev_b32 v4, 7, v4
	v_dual_mov_b32 v8, 0 :: v_dual_add_nc_u32 v5, -1, v4
	s_delay_alu instid0(VALU_DEP_1) | instskip(SKIP_1) | instid1(VALU_DEP_2)
	v_lshrrev_b32_e32 v6, 1, v5
	v_cmp_lt_u32_e32 vcc_lo, 13, v5
	v_add_nc_u32_e32 v5, 1, v6
	s_and_saveexec_b32 s3, vcc_lo
	s_cbranch_execz .LBB153_26
; %bb.23:
	s_delay_alu instid0(VALU_DEP_1)
	v_and_b32_e32 v6, -8, v5
	v_lshl_add_u32 v7, v0, 2, 0x60
	s_mov_b32 s15, 0
	s_mov_b32 s23, 0
.LBB153_24:                             ; =>This Inner Loop Header: Depth=1
	ds_load_2addr_stride64_b32 v[8:9], v7 offset1:2
	ds_load_2addr_stride64_b32 v[10:11], v7 offset0:4 offset1:6
	ds_load_2addr_stride64_b32 v[12:13], v7 offset0:8 offset1:10
	;; [unrolled: 1-line block ×7, first 2 shown]
	s_add_co_i32 s23, s23, 16
	v_add_nc_u32_e32 v6, -8, v6
	s_wait_dscnt 0x7
	v_pk_mul_f32 v[8:9], v[2:3], v[8:9]
	s_wait_dscnt 0x6
	v_pk_mul_f32 v[10:11], v[2:3], v[10:11]
	;; [unrolled: 2-line block ×8, first 2 shown]
	ds_store_2addr_stride64_b32 v7, v8, v9 offset1:2
	ds_store_2addr_stride64_b32 v7, v10, v11 offset0:4 offset1:6
	ds_store_2addr_stride64_b32 v7, v12, v13 offset0:8 offset1:10
	;; [unrolled: 1-line block ×7, first 2 shown]
	v_mov_b32_e32 v8, s23
	v_cmp_eq_u32_e32 vcc_lo, 0, v6
	v_add_nc_u32_e32 v7, 0x2000, v7
	s_or_b32 s15, vcc_lo, s15
	s_delay_alu instid0(SALU_CYCLE_1)
	s_and_not1_b32 exec_lo, exec_lo, s15
	s_cbranch_execnz .LBB153_24
; %bb.25:
	s_or_b32 exec_lo, exec_lo, s15
.LBB153_26:
	s_delay_alu instid0(SALU_CYCLE_1) | instskip(NEXT) | instid1(VALU_DEP_1)
	s_or_b32 exec_lo, exec_lo, s3
	v_and_b32_e32 v5, 7, v5
	s_mov_b32 s15, 0
	s_mov_b32 s3, exec_lo
	s_delay_alu instid0(VALU_DEP_1)
	v_cmpx_ne_u32_e32 0, v5
	s_cbranch_execz .LBB153_29
; %bb.27:
	v_lshlrev_b32_e32 v6, 9, v8
	v_lshlrev_b32_e32 v7, 2, v0
	s_delay_alu instid0(VALU_DEP_1)
	v_add3_u32 v6, v6, v7, 0x60
.LBB153_28:                             ; =>This Inner Loop Header: Depth=1
	ds_load_2addr_stride64_b32 v[8:9], v6 offset1:2
	v_add_nc_u32_e32 v5, -1, v5
	s_delay_alu instid0(VALU_DEP_1)
	v_cmp_eq_u32_e32 vcc_lo, 0, v5
	s_or_b32 s15, vcc_lo, s15
	s_wait_dscnt 0x0
	v_pk_mul_f32 v[8:9], v[2:3], v[8:9]
	ds_store_2addr_stride64_b32 v6, v8, v9 offset1:2
	v_add_nc_u32_e32 v6, 0x400, v6
	s_and_not1_b32 exec_lo, exec_lo, s15
	s_cbranch_execnz .LBB153_28
.LBB153_29:
	s_or_b32 exec_lo, exec_lo, s3
	v_add_nc_u32_e32 v3, 1, v4
	s_delay_alu instid0(VALU_DEP_1) | instskip(NEXT) | instid1(VALU_DEP_1)
	v_and_b32_e32 v4, 0x3fffffe, v3
	v_cmp_ne_u32_e32 vcc_lo, v3, v4
	v_lshl_add_u32 v3, v4, 7, v0
	s_or_not1_b32 s3, vcc_lo, exec_lo
.LBB153_30:
	s_or_b32 exec_lo, exec_lo, s1
	s_delay_alu instid0(SALU_CYCLE_1)
	s_and_b32 exec_lo, exec_lo, s3
	s_cbranch_execz .LBB153_33
; %bb.31:
	v_lshl_add_u32 v4, v3, 2, 0x60
	s_mov_b32 s1, 0
.LBB153_32:                             ; =>This Inner Loop Header: Depth=1
	ds_load_b32 v5, v4
	v_add_nc_u32_e32 v3, 0x80, v3
	s_delay_alu instid0(VALU_DEP_1)
	v_cmp_le_i32_e32 vcc_lo, s4, v3
	s_or_b32 s1, vcc_lo, s1
	s_wait_dscnt 0x0
	v_mul_f32_e32 v5, v2, v5
	ds_store_b32 v4, v5
	v_add_nc_u32_e32 v4, 0x200, v4
	s_and_not1_b32 exec_lo, exec_lo, s1
	s_cbranch_execnz .LBB153_32
.LBB153_33:
	s_or_b32 exec_lo, exec_lo, s0
	v_dual_mov_b32 v26, 0 :: v_dual_bitop2_b32 v36, 3, v0 bitop3:0x40
	v_dual_mov_b32 v29, 0 :: v_dual_mov_b32 v28, 0
	s_wait_dscnt 0x0
	s_barrier_signal -1
	s_barrier_wait -1
	s_and_saveexec_b32 s1, s2
	s_cbranch_execz .LBB153_45
; %bb.34:
	v_dual_mov_b32 v27, 0 :: v_dual_lshlrev_b32 v2, 3, v0
	s_ashr_i32 s15, s14, 31
	v_and_b32_e32 v26, 0x1f0, v43
	s_lshl_b64 s[14:15], s[14:15], 1
	s_delay_alu instid0(VALU_DEP_2)
	v_dual_lshlrev_b32 v3, 5, v36 :: v_dual_bitop2_b32 v2, 24, v2 bitop3:0x40
	s_wait_kmcnt 0x0
	s_add_nc_u64 s[14:15], s[16:17], s[14:15]
	s_ashr_i32 s3, s5, 31
	v_add_nc_u64_e32 v[30:31], s[14:15], v[26:27]
	v_and_b32_e32 v26, 0x7c, v44
	s_mov_b32 s2, s5
	s_lshl_b64 s[4:5], s[12:13], 2
	v_lshl_or_b32 v3, v1, 7, v3
	s_add_nc_u64 s[4:5], s[10:11], s[4:5]
	v_lshl_or_b32 v37, v1, 5, v2
	v_add_nc_u64_e32 v[32:33], s[4:5], v[26:27]
	v_dual_mov_b32 v26, v27 :: v_dual_mov_b32 v28, v27
	v_dual_mov_b32 v29, v27 :: v_dual_add_nc_u32 v38, 0x60, v3
	v_mov_b32_e32 v39, v1
	s_add_co_i32 s4, s22, -1
	s_mov_b32 s10, s21
	s_mov_b32 s5, 0
	s_branch .LBB153_36
.LBB153_35:                             ;   in Loop: Header=BB153_36 Depth=1
	s_or_b32 exec_lo, exec_lo, s0
	s_wait_dscnt 0x1
	v_cvt_pk_bf16_f32 v10, v10, v11
	v_cvt_pk_bf16_f32 v11, v12, v13
	s_wait_dscnt 0x0
	v_cvt_pk_bf16_f32 v6, v6, v7
	v_cvt_pk_bf16_f32 v8, v8, v9
	v_add_nc_u64_e32 v[32:33], 16, v[32:33]
	s_wait_loadcnt 0x1
	v_pk_mul_bf16 v7, v10, v22
	v_pk_mul_bf16 v12, v11, v23
	;; [unrolled: 1-line block ×5, first 2 shown]
	s_delay_alu instid0(VALU_DEP_4)
	v_dual_lshlrev_b32 v13, 16, v7 :: v_dual_lshlrev_b32 v22, 16, v12
	v_and_b32_e32 v7, 0xffff0000, v7
	v_and_b32_e32 v12, 0xffff0000, v12
	v_lshlrev_b32_e32 v24, 16, v9
	v_and_b32_e32 v9, 0xffff0000, v9
	v_pk_mul_bf16 v3, v11, v3
	s_delay_alu instid0(VALU_DEP_4) | instskip(SKIP_3) | instid1(VALU_DEP_3)
	v_dual_add_f32 v7, v13, v7 :: v_dual_add_f32 v12, v22, v12
	v_pk_mul_bf16 v13, v10, v14
	v_pk_mul_bf16 v14, v11, v15
	v_dual_lshlrev_b32 v15, 16, v23 :: v_dual_add_f32 v9, v24, v9
	v_dual_add_f32 v7, v12, v7 :: v_dual_lshlrev_b32 v22, 16, v13
	v_and_b32_e32 v12, 0xffff0000, v23
	v_and_b32_e32 v13, 0xffff0000, v13
	s_delay_alu instid0(VALU_DEP_3) | instskip(SKIP_2) | instid1(VALU_DEP_4)
	v_dual_add_f32 v24, v9, v7 :: v_dual_lshlrev_b32 v23, 16, v14
	v_and_b32_e32 v7, 0xffff0000, v14
	v_pk_mul_bf16 v9, v6, v16
	v_dual_add_f32 v12, v15, v12 :: v_dual_add_f32 v13, v22, v13
	s_delay_alu instid0(VALU_DEP_3) | instskip(NEXT) | instid1(VALU_DEP_3)
	v_dual_lshlrev_b32 v15, 16, v2 :: v_dual_add_f32 v7, v23, v7
	v_lshlrev_b32_e32 v14, 16, v9
	v_and_b32_e32 v9, 0xffff0000, v9
	v_and_b32_e32 v2, 0xffff0000, v2
	s_delay_alu instid0(VALU_DEP_4) | instskip(SKIP_2) | instid1(VALU_DEP_4)
	v_dual_add_f32 v13, v7, v13 :: v_dual_lshlrev_b32 v16, 16, v3
	v_and_b32_e32 v3, 0xffff0000, v3
	v_pk_mul_bf16 v17, v8, v17
	v_dual_add_f32 v14, v14, v9 :: v_dual_add_f32 v2, v15, v2
	v_pk_mul_bf16 v4, v6, v4
	s_delay_alu instid0(VALU_DEP_3) | instskip(SKIP_2) | instid1(VALU_DEP_3)
	v_dual_add_f32 v3, v16, v3 :: v_dual_lshlrev_b32 v15, 16, v17
	v_and_b32_e32 v16, 0xffff0000, v17
	v_pk_mul_bf16 v17, v8, v5
	v_dual_add_f32 v22, v3, v2 :: v_dual_lshlrev_b32 v23, 16, v4
	s_wait_loadcnt 0x0
	v_pk_mul_bf16 v2, v10, v18
	v_and_b32_e32 v10, 0xffff0000, v4
	v_pk_mul_bf16 v4, v11, v19
	v_pk_mul_bf16 v6, v6, v20
	;; [unrolled: 1-line block ×3, first 2 shown]
	v_and_b32_e32 v3, 0xffff0000, v2
	v_lshlrev_b32_e32 v5, 16, v2
	v_and_b32_e32 v2, 0xffff0000, v4
	v_lshlrev_b32_e32 v4, 16, v4
	;; [unrolled: 2-line block ×4, first 2 shown]
	v_pk_add_f32 v[2:3], v[4:5], v[2:3]
	v_dual_add_f32 v10, v23, v10 :: v_dual_lshlrev_b32 v11, 16, v17
	v_and_b32_e32 v17, 0xffff0000, v17
	s_delay_alu instid0(VALU_DEP_4) | instskip(NEXT) | instid1(VALU_DEP_4)
	v_pk_add_f32 v[4:5], v[8:9], v[6:7]
	v_dual_add_f32 v2, v2, v3 :: v_dual_add_f32 v6, v15, v16
	v_add_f32_e32 v3, v14, v13
	s_delay_alu instid0(VALU_DEP_4) | instskip(NEXT) | instid1(VALU_DEP_3)
	v_dual_add_f32 v7, v10, v22 :: v_dual_add_f32 v8, v11, v17
	v_dual_add_f32 v2, v5, v2 :: v_dual_add_nc_u32 v39, 4, v39
	s_delay_alu instid0(VALU_DEP_3) | instskip(NEXT) | instid1(VALU_DEP_3)
	v_dual_add_f32 v5, v12, v24 :: v_dual_add_f32 v3, v6, v3
	v_add_f32_e32 v6, v8, v7
	s_delay_alu instid0(VALU_DEP_3) | instskip(NEXT) | instid1(VALU_DEP_4)
	v_add_f32_e32 v2, v4, v2
	v_cmp_le_i32_e32 vcc_lo, s22, v39
	s_delay_alu instid0(VALU_DEP_4) | instskip(NEXT) | instid1(VALU_DEP_4)
	v_dual_add_f32 v26, v26, v5 :: v_dual_add_f32 v29, v29, v3
	v_add_f32_e32 v28, v28, v6
	s_delay_alu instid0(VALU_DEP_4) | instskip(SKIP_3) | instid1(SALU_CYCLE_1)
	v_add_f32_e32 v27, v27, v2
	v_add_nc_u32_e32 v37, 0x80, v37
	v_add_nc_u32_e32 v38, 0x200, v38
	s_or_b32 s5, vcc_lo, s5
	s_and_not1_b32 exec_lo, exec_lo, s5
	s_cbranch_execz .LBB153_44
.LBB153_36:                             ; =>This Inner Loop Header: Depth=1
	global_load_b32 v2, v[32:33], off
	v_cmp_eq_u32_e32 vcc_lo, s4, v39
	v_or_b32_e32 v45, 3, v37
	v_or_b32_e32 v47, 2, v37
	;; [unrolled: 1-line block ×5, first 2 shown]
	v_dual_add_nc_u32 v46, 1, v37 :: v_dual_bitop2_b32 v43, 6, v37 bitop3:0x54
	s_wait_loadcnt 0x0
	v_ashrrev_i32_e32 v3, 31, v2
	s_delay_alu instid0(VALU_DEP_1) | instskip(NEXT) | instid1(VALU_DEP_1)
	v_mul_u64_e32 v[2:3], s[2:3], v[2:3]
	v_lshl_add_u64 v[18:19], v[2:3], 1, v[30:31]
	global_load_b128 v[2:5], v[18:19], off
	ds_load_2addr_b64 v[10:13], v38 offset1:1
	ds_load_2addr_b64 v[6:9], v38 offset0:2 offset1:3
	s_wait_xcnt 0x0
	s_and_saveexec_b32 s11, vcc_lo
	s_cbranch_execnz .LBB153_40
; %bb.37:                               ;   in Loop: Header=BB153_36 Depth=1
	s_or_b32 exec_lo, exec_lo, s11
	global_load_b128 v[14:17], v[18:19], off offset:512
	s_wait_xcnt 0x0
	s_and_saveexec_b32 s11, vcc_lo
	s_cbranch_execnz .LBB153_41
.LBB153_38:                             ;   in Loop: Header=BB153_36 Depth=1
	s_or_b32 exec_lo, exec_lo, s11
	global_load_b128 v[22:25], v[18:19], off offset:1024
	s_wait_xcnt 0x0
	s_and_saveexec_b32 s11, vcc_lo
	s_cbranch_execnz .LBB153_42
.LBB153_39:                             ;   in Loop: Header=BB153_36 Depth=1
	s_or_b32 exec_lo, exec_lo, s11
	global_load_b128 v[18:21], v[18:19], off offset:1536
	s_wait_xcnt 0x0
	s_and_saveexec_b32 s0, vcc_lo
	s_cbranch_execz .LBB153_35
	s_branch .LBB153_43
.LBB153_40:                             ;   in Loop: Header=BB153_36 Depth=1
	v_cmp_gt_i32_e64 s0, s21, v37
	s_wait_loadcnt 0x0
	v_dual_lshrrev_b32 v14, 16, v2 :: v_dual_lshrrev_b32 v16, 16, v4
	s_delay_alu instid0(VALU_DEP_2) | instskip(SKIP_1) | instid1(VALU_DEP_1)
	v_cndmask_b32_e64 v2, 0, v2, s0
	v_cmp_gt_i32_e64 s0, s10, v46
	v_dual_lshrrev_b32 v15, 16, v3 :: v_dual_cndmask_b32 v14, 0, v14, s0
	v_cmp_gt_i32_e64 s0, s21, v47
	s_delay_alu instid0(VALU_DEP_2) | instskip(NEXT) | instid1(VALU_DEP_2)
	v_perm_b32 v2, v14, v2, 0x5040100
	v_cndmask_b32_e64 v3, 0, v3, s0
	v_cmp_gt_i32_e64 s0, s10, v45
	s_delay_alu instid0(VALU_DEP_1) | instskip(SKIP_1) | instid1(VALU_DEP_1)
	v_cndmask_b32_e64 v15, 0, v15, s0
	v_cmp_gt_i32_e64 s0, s21, v44
	v_cndmask_b32_e64 v4, 0, v4, s0
	v_cmp_gt_i32_e64 s0, s10, v41
	v_lshrrev_b32_e32 v17, 16, v5
	v_perm_b32 v3, v15, v3, 0x5040100
	s_delay_alu instid0(VALU_DEP_3) | instskip(SKIP_1) | instid1(VALU_DEP_2)
	v_cndmask_b32_e64 v16, 0, v16, s0
	v_cmp_gt_i32_e64 s0, s21, v43
	v_perm_b32 v4, v16, v4, 0x5040100
	s_delay_alu instid0(VALU_DEP_2) | instskip(SKIP_1) | instid1(VALU_DEP_1)
	v_cndmask_b32_e64 v5, 0, v5, s0
	v_cmp_gt_i32_e64 s0, s10, v40
	v_cndmask_b32_e64 v17, 0, v17, s0
	s_delay_alu instid0(VALU_DEP_1)
	v_perm_b32 v5, v17, v5, 0x5040100
	s_or_b32 exec_lo, exec_lo, s11
	global_load_b128 v[14:17], v[18:19], off offset:512
	s_wait_xcnt 0x0
	s_and_saveexec_b32 s11, vcc_lo
	s_cbranch_execz .LBB153_38
.LBB153_41:                             ;   in Loop: Header=BB153_36 Depth=1
	v_cmp_gt_i32_e64 s0, s21, v37
	s_wait_loadcnt 0x0
	s_delay_alu instid0(VALU_DEP_1) | instskip(SKIP_1) | instid1(VALU_DEP_1)
	v_dual_lshrrev_b32 v20, 16, v14 :: v_dual_cndmask_b32 v14, 0, v14, s0
	v_cmp_gt_i32_e64 s0, s10, v46
	v_dual_lshrrev_b32 v21, 16, v15 :: v_dual_cndmask_b32 v20, 0, v20, s0
	v_cmp_gt_i32_e64 s0, s21, v47
	s_delay_alu instid0(VALU_DEP_2) | instskip(NEXT) | instid1(VALU_DEP_2)
	v_perm_b32 v14, v20, v14, 0x5040100
	v_cndmask_b32_e64 v15, 0, v15, s0
	v_cmp_gt_i32_e64 s0, s10, v45
	s_delay_alu instid0(VALU_DEP_1) | instskip(SKIP_2) | instid1(VALU_DEP_3)
	v_cndmask_b32_e64 v21, 0, v21, s0
	v_cmp_gt_i32_e64 s0, s21, v44
	v_lshrrev_b32_e32 v22, 16, v16
	v_perm_b32 v15, v21, v15, 0x5040100
	s_delay_alu instid0(VALU_DEP_3) | instskip(SKIP_1) | instid1(VALU_DEP_1)
	v_cndmask_b32_e64 v16, 0, v16, s0
	v_cmp_gt_i32_e64 s0, s10, v41
	v_dual_lshrrev_b32 v23, 16, v17 :: v_dual_cndmask_b32 v22, 0, v22, s0
	v_cmp_gt_i32_e64 s0, s21, v43
	s_delay_alu instid0(VALU_DEP_2) | instskip(NEXT) | instid1(VALU_DEP_2)
	v_perm_b32 v16, v22, v16, 0x5040100
	v_cndmask_b32_e64 v17, 0, v17, s0
	v_cmp_gt_i32_e64 s0, s10, v40
	s_delay_alu instid0(VALU_DEP_1) | instskip(NEXT) | instid1(VALU_DEP_1)
	v_cndmask_b32_e64 v23, 0, v23, s0
	v_perm_b32 v17, v23, v17, 0x5040100
	s_or_b32 exec_lo, exec_lo, s11
	global_load_b128 v[22:25], v[18:19], off offset:1024
	s_wait_xcnt 0x0
	s_and_saveexec_b32 s11, vcc_lo
	s_cbranch_execz .LBB153_39
.LBB153_42:                             ;   in Loop: Header=BB153_36 Depth=1
	v_cmp_gt_i32_e64 s0, s21, v37
	s_wait_loadcnt 0x0
	s_delay_alu instid0(VALU_DEP_1) | instskip(SKIP_1) | instid1(VALU_DEP_1)
	v_dual_lshrrev_b32 v20, 16, v22 :: v_dual_cndmask_b32 v21, 0, v22, s0
	v_cmp_gt_i32_e64 s0, s10, v46
	v_dual_lshrrev_b32 v22, 16, v23 :: v_dual_cndmask_b32 v20, 0, v20, s0
	v_cmp_gt_i32_e64 s0, s21, v47
	s_delay_alu instid0(VALU_DEP_1) | instskip(SKIP_1) | instid1(VALU_DEP_1)
	v_cndmask_b32_e64 v23, 0, v23, s0
	v_cmp_gt_i32_e64 s0, s10, v45
	v_cndmask_b32_e64 v48, 0, v22, s0
	v_cmp_gt_i32_e64 s0, s21, v44
	v_lshrrev_b32_e32 v22, 16, v24
	s_delay_alu instid0(VALU_DEP_3) | instskip(NEXT) | instid1(VALU_DEP_3)
	v_perm_b32 v23, v48, v23, 0x5040100
	v_cndmask_b32_e64 v24, 0, v24, s0
	v_cmp_gt_i32_e64 s0, s10, v41
	s_delay_alu instid0(VALU_DEP_1) | instskip(SKIP_2) | instid1(VALU_DEP_3)
	v_dual_lshrrev_b32 v49, 16, v25 :: v_dual_cndmask_b32 v50, 0, v22, s0
	v_cmp_gt_i32_e64 s0, s21, v43
	v_perm_b32 v22, v20, v21, 0x5040100
	v_perm_b32 v24, v50, v24, 0x5040100
	s_delay_alu instid0(VALU_DEP_3) | instskip(SKIP_1) | instid1(VALU_DEP_1)
	v_cndmask_b32_e64 v25, 0, v25, s0
	v_cmp_gt_i32_e64 s0, s10, v40
	v_cndmask_b32_e64 v49, 0, v49, s0
	s_delay_alu instid0(VALU_DEP_1)
	v_perm_b32 v25, v49, v25, 0x5040100
	s_or_b32 exec_lo, exec_lo, s11
	global_load_b128 v[18:21], v[18:19], off offset:1536
	s_wait_xcnt 0x0
	s_and_saveexec_b32 s0, vcc_lo
	s_cbranch_execz .LBB153_35
.LBB153_43:                             ;   in Loop: Header=BB153_36 Depth=1
	v_cmp_gt_i32_e32 vcc_lo, s21, v37
	s_wait_loadcnt 0x0
	v_dual_lshrrev_b32 v48, 16, v18 :: v_dual_cndmask_b32 v18, 0, v18, vcc_lo
	v_cmp_gt_i32_e32 vcc_lo, s10, v46
	s_delay_alu instid0(VALU_DEP_2) | instskip(SKIP_1) | instid1(VALU_DEP_2)
	v_dual_cndmask_b32 v46, 0, v48 :: v_dual_lshrrev_b32 v49, 16, v19
	v_cmp_gt_i32_e32 vcc_lo, s21, v47
	v_perm_b32 v18, v46, v18, 0x5040100
	v_cndmask_b32_e32 v19, 0, v19, vcc_lo
	v_cmp_gt_i32_e32 vcc_lo, s10, v45
	v_cndmask_b32_e32 v45, 0, v49, vcc_lo
	v_cmp_gt_i32_e32 vcc_lo, s21, v44
	v_lshrrev_b32_e32 v47, 16, v20
	s_delay_alu instid0(VALU_DEP_3) | instskip(SKIP_2) | instid1(VALU_DEP_4)
	v_perm_b32 v19, v45, v19, 0x5040100
	v_cndmask_b32_e32 v20, 0, v20, vcc_lo
	v_cmp_gt_i32_e32 vcc_lo, s10, v41
	v_dual_cndmask_b32 v41, 0, v47 :: v_dual_lshrrev_b32 v44, 16, v21
	v_cmp_gt_i32_e32 vcc_lo, s21, v43
	s_delay_alu instid0(VALU_DEP_2) | instskip(SKIP_3) | instid1(VALU_DEP_1)
	v_perm_b32 v20, v41, v20, 0x5040100
	v_cndmask_b32_e32 v21, 0, v21, vcc_lo
	v_cmp_gt_i32_e32 vcc_lo, s10, v40
	v_cndmask_b32_e32 v40, 0, v44, vcc_lo
	v_perm_b32 v21, v40, v21, 0x5040100
	s_branch .LBB153_35
.LBB153_44:
	s_or_b32 exec_lo, exec_lo, s5
.LBB153_45:
	s_delay_alu instid0(SALU_CYCLE_1)
	s_or_b32 exec_lo, exec_lo, s1
	ds_bpermute_b32 v2, v34, v28
	ds_bpermute_b32 v3, v34, v29
	;; [unrolled: 1-line block ×4, first 2 shown]
	v_and_b32_e32 v9, 0x3c3, v0
	v_and_b32_e32 v8, 28, v42
	s_mov_b32 s0, exec_lo
	s_wait_dscnt 0x0
	s_barrier_signal -1
	s_barrier_wait -1
	v_pk_add_f32 v[2:3], v[28:29], v[2:3]
	v_pk_add_f32 v[4:5], v[26:27], v[4:5]
	ds_bpermute_b32 v10, v35, v2
	ds_bpermute_b32 v11, v35, v3
	;; [unrolled: 1-line block ×4, first 2 shown]
	s_wait_dscnt 0x2
	v_pk_add_f32 v[2:3], v[2:3], v[10:11]
	v_cmpx_ne_u32_e32 64, v9
	s_xor_b32 s0, exec_lo, s0
; %bb.46:
                                        ; implicit-def: $vgpr1
; %bb.47:
	s_delay_alu instid0(SALU_CYCLE_1)
	s_or_saveexec_b32 s0, s0
	s_wait_dscnt 0x0
	v_pk_add_f32 v[4:5], v[4:5], v[6:7]
	v_lshrrev_b32_e32 v7, 2, v42
	v_add_nc_u32_e32 v6, 0x60, v8
	s_xor_b32 exec_lo, exec_lo, s0
	s_cbranch_execz .LBB153_49
; %bb.48:
	s_delay_alu instid0(VALU_DEP_1) | instskip(NEXT) | instid1(VALU_DEP_1)
	v_lshl_add_u32 v1, v1, 7, v6
	v_add_nc_u32_e32 v8, 0xffffff00, v1
	v_add_nc_u32_e32 v9, 0xffffff20, v1
	;; [unrolled: 1-line block ×4, first 2 shown]
	ds_store_b32 v8, v2
	ds_store_b32 v9, v3
	;; [unrolled: 1-line block ×4, first 2 shown]
.LBB153_49:
	s_or_b32 exec_lo, exec_lo, s0
	v_and_b32_e32 v1, 0x3e0, v0
	v_lshlrev_b32_e32 v7, 2, v7
	s_mov_b32 s1, exec_lo
	v_cmp_eq_u32_e32 vcc_lo, 0, v36
	s_wait_dscnt 0x0
	v_lshlrev_b32_e32 v1, 2, v1
	s_barrier_signal -1
	s_barrier_wait -1
	s_delay_alu instid0(VALU_DEP_1)
	v_add3_u32 v1, 0x60, v1, v7
	v_cmpx_gt_u32_e32 64, v0
	s_cbranch_execz .LBB153_56
; %bb.50:
	s_and_saveexec_b32 s0, vcc_lo
	s_cbranch_execnz .LBB153_68
; %bb.51:
	s_or_b32 exec_lo, exec_lo, s0
	s_and_saveexec_b32 s0, vcc_lo
	s_cbranch_execnz .LBB153_69
.LBB153_52:
	s_or_b32 exec_lo, exec_lo, s0
	s_and_saveexec_b32 s0, vcc_lo
	s_cbranch_execnz .LBB153_70
.LBB153_53:
	s_or_b32 exec_lo, exec_lo, s0
	s_and_saveexec_b32 s0, vcc_lo
	s_cbranch_execz .LBB153_55
.LBB153_54:
	ds_load_b32 v7, v1 offset:96
	s_wait_dscnt 0x0
	v_add_f32_e32 v5, v5, v7
.LBB153_55:
	s_or_b32 exec_lo, exec_lo, s0
.LBB153_56:
	s_delay_alu instid0(SALU_CYCLE_1) | instskip(SKIP_4) | instid1(VALU_DEP_1)
	s_or_b32 exec_lo, exec_lo, s1
	v_and_b32_e32 v7, 0x3e3, v0
	s_mov_b32 s1, exec_lo
	s_barrier_signal -1
	s_barrier_wait -1
	v_cmpx_eq_u32_e32 32, v7
	s_cbranch_execz .LBB153_58
; %bb.57:
	ds_store_2addr_b32 v6, v2, v3 offset1:8
	ds_store_2addr_b32 v6, v4, v5 offset0:16 offset1:24
.LBB153_58:
	s_or_b32 exec_lo, exec_lo, s1
	s_delay_alu instid0(SALU_CYCLE_1)
	s_mov_b32 s1, exec_lo
	s_wait_dscnt 0x0
	s_barrier_signal -1
	s_barrier_wait -1
	v_cmpx_gt_u32_e32 32, v0
	s_cbranch_execz .LBB153_65
; %bb.59:
	s_and_saveexec_b32 s0, vcc_lo
	s_cbranch_execnz .LBB153_71
; %bb.60:
	s_or_b32 exec_lo, exec_lo, s0
	s_and_saveexec_b32 s0, vcc_lo
	s_cbranch_execnz .LBB153_72
.LBB153_61:
	s_or_b32 exec_lo, exec_lo, s0
	s_and_saveexec_b32 s0, vcc_lo
	s_cbranch_execnz .LBB153_73
.LBB153_62:
	s_or_b32 exec_lo, exec_lo, s0
	s_and_saveexec_b32 s0, vcc_lo
	s_cbranch_execz .LBB153_64
.LBB153_63:
	ds_load_b32 v1, v1 offset:96
	s_wait_dscnt 0x0
	v_add_f32_e32 v5, v5, v1
.LBB153_64:
	s_or_b32 exec_lo, exec_lo, s0
.LBB153_65:
	s_delay_alu instid0(SALU_CYCLE_1)
	s_or_b32 exec_lo, exec_lo, s1
	s_mov_b32 s1, 0
	s_barrier_signal -1
	s_barrier_wait -1
	s_mov_b32 s0, exec_lo
	v_cmpx_eq_u32_e32 0, v7
	s_cbranch_execz .LBB153_67
; %bb.66:
	s_mul_i32 s0, s20, s9
	s_mul_i32 s2, s9, s8
	;; [unrolled: 1-line block ×3, first 2 shown]
	s_lshr_b32 s8, ttmp7, 16
	s_lshl_b32 s4, s0, 5
	s_bfe_u32 s0, ttmp6, 0x40014
	s_ashr_i32 s5, s4, 31
	s_add_co_i32 s0, s0, 1
	s_ashr_i32 s3, s2, 31
	s_mul_i32 s0, s8, s0
	s_bfe_u32 s9, ttmp6, 0x40008
	s_lshl_b64 s[4:5], s[4:5], 1
	s_lshl_b64 s[2:3], s[2:3], 1
	s_add_co_i32 s9, s9, s0
	s_cmp_eq_u32 s18, 0
	s_wait_kmcnt 0x0
	s_add_nc_u64 s[4:5], s[6:7], s[4:5]
	s_cselect_b32 s0, s8, s9
	s_add_nc_u64 s[2:3], s[4:5], s[2:3]
	s_lshl_b32 s0, s0, 6
	v_lshrrev_b32_e32 v0, 1, v0
	s_add_nc_u64 s[0:1], s[2:3], s[0:1]
	s_delay_alu instid0(SALU_CYCLE_1)
	v_cvt_pk_bf16_f32 v1, v2, s0
	v_cvt_pk_bf16_f32 v2, v3, s0
	;; [unrolled: 1-line block ×4, first 2 shown]
	s_clause 0x3
	global_store_b16 v0, v1, s[0:1]
	global_store_b16 v0, v2, s[0:1] offset:16
	global_store_b16 v0, v3, s[0:1] offset:32
	;; [unrolled: 1-line block ×3, first 2 shown]
.LBB153_67:
	s_sendmsg sendmsg(MSG_DEALLOC_VGPRS)
	s_endpgm
.LBB153_68:
	ds_load_b32 v7, v1
	s_wait_dscnt 0x0
	v_add_f32_e32 v2, v2, v7
	s_or_b32 exec_lo, exec_lo, s0
	s_and_saveexec_b32 s0, vcc_lo
	s_cbranch_execz .LBB153_52
.LBB153_69:
	ds_load_b32 v7, v1 offset:32
	s_wait_dscnt 0x0
	v_add_f32_e32 v3, v3, v7
	s_or_b32 exec_lo, exec_lo, s0
	s_and_saveexec_b32 s0, vcc_lo
	s_cbranch_execz .LBB153_53
.LBB153_70:
	ds_load_b32 v7, v1 offset:64
	s_wait_dscnt 0x0
	v_add_f32_e32 v4, v4, v7
	s_or_b32 exec_lo, exec_lo, s0
	s_and_saveexec_b32 s0, vcc_lo
	s_cbranch_execnz .LBB153_54
	s_branch .LBB153_55
.LBB153_71:
	ds_load_b32 v6, v1
	s_wait_dscnt 0x0
	v_add_f32_e32 v2, v2, v6
	s_or_b32 exec_lo, exec_lo, s0
	s_and_saveexec_b32 s0, vcc_lo
	s_cbranch_execz .LBB153_61
.LBB153_72:
	ds_load_b32 v6, v1 offset:32
	s_wait_dscnt 0x0
	v_add_f32_e32 v3, v3, v6
	s_or_b32 exec_lo, exec_lo, s0
	s_and_saveexec_b32 s0, vcc_lo
	s_cbranch_execz .LBB153_62
.LBB153_73:
	ds_load_b32 v6, v1 offset:64
	s_wait_dscnt 0x0
	v_add_f32_e32 v4, v4, v6
	s_or_b32 exec_lo, exec_lo, s0
	s_and_saveexec_b32 s0, vcc_lo
	s_cbranch_execnz .LBB153_63
	s_branch .LBB153_64
	.section	.rodata,"a",@progbits
	.p2align	6, 0x0
	.amdhsa_kernel _ZN4vllm25paged_attention_v1_kernelI14__hip_bfloat16S1_Li32ELi32ELi128ELNS_18Fp8KVCacheDataTypeE0ELb0EEEvPT_PKS3_PKT0_S9_ifPKiSB_iPKfiiiSD_SD_iiiii
		.amdhsa_group_segment_fixed_size 96
		.amdhsa_private_segment_fixed_size 0
		.amdhsa_kernarg_size 384
		.amdhsa_user_sgpr_count 2
		.amdhsa_user_sgpr_dispatch_ptr 0
		.amdhsa_user_sgpr_queue_ptr 0
		.amdhsa_user_sgpr_kernarg_segment_ptr 1
		.amdhsa_user_sgpr_dispatch_id 0
		.amdhsa_user_sgpr_kernarg_preload_length 0
		.amdhsa_user_sgpr_kernarg_preload_offset 0
		.amdhsa_user_sgpr_private_segment_size 0
		.amdhsa_wavefront_size32 1
		.amdhsa_uses_dynamic_stack 0
		.amdhsa_enable_private_segment 0
		.amdhsa_system_sgpr_workgroup_id_x 1
		.amdhsa_system_sgpr_workgroup_id_y 1
		.amdhsa_system_sgpr_workgroup_id_z 1
		.amdhsa_system_sgpr_workgroup_info 0
		.amdhsa_system_vgpr_workitem_id 0
		.amdhsa_next_free_vgpr 79
		.amdhsa_next_free_sgpr 28
		.amdhsa_named_barrier_count 0
		.amdhsa_reserve_vcc 1
		.amdhsa_float_round_mode_32 0
		.amdhsa_float_round_mode_16_64 0
		.amdhsa_float_denorm_mode_32 3
		.amdhsa_float_denorm_mode_16_64 3
		.amdhsa_fp16_overflow 0
		.amdhsa_memory_ordered 1
		.amdhsa_forward_progress 1
		.amdhsa_inst_pref_size 47
		.amdhsa_round_robin_scheduling 0
		.amdhsa_exception_fp_ieee_invalid_op 0
		.amdhsa_exception_fp_denorm_src 0
		.amdhsa_exception_fp_ieee_div_zero 0
		.amdhsa_exception_fp_ieee_overflow 0
		.amdhsa_exception_fp_ieee_underflow 0
		.amdhsa_exception_fp_ieee_inexact 0
		.amdhsa_exception_int_div_zero 0
	.end_amdhsa_kernel
	.section	.text._ZN4vllm25paged_attention_v1_kernelI14__hip_bfloat16S1_Li32ELi32ELi128ELNS_18Fp8KVCacheDataTypeE0ELb0EEEvPT_PKS3_PKT0_S9_ifPKiSB_iPKfiiiSD_SD_iiiii,"axG",@progbits,_ZN4vllm25paged_attention_v1_kernelI14__hip_bfloat16S1_Li32ELi32ELi128ELNS_18Fp8KVCacheDataTypeE0ELb0EEEvPT_PKS3_PKT0_S9_ifPKiSB_iPKfiiiSD_SD_iiiii,comdat
.Lfunc_end153:
	.size	_ZN4vllm25paged_attention_v1_kernelI14__hip_bfloat16S1_Li32ELi32ELi128ELNS_18Fp8KVCacheDataTypeE0ELb0EEEvPT_PKS3_PKT0_S9_ifPKiSB_iPKfiiiSD_SD_iiiii, .Lfunc_end153-_ZN4vllm25paged_attention_v1_kernelI14__hip_bfloat16S1_Li32ELi32ELi128ELNS_18Fp8KVCacheDataTypeE0ELb0EEEvPT_PKS3_PKT0_S9_ifPKiSB_iPKfiiiSD_SD_iiiii
                                        ; -- End function
	.set _ZN4vllm25paged_attention_v1_kernelI14__hip_bfloat16S1_Li32ELi32ELi128ELNS_18Fp8KVCacheDataTypeE0ELb0EEEvPT_PKS3_PKT0_S9_ifPKiSB_iPKfiiiSD_SD_iiiii.num_vgpr, 79
	.set _ZN4vllm25paged_attention_v1_kernelI14__hip_bfloat16S1_Li32ELi32ELi128ELNS_18Fp8KVCacheDataTypeE0ELb0EEEvPT_PKS3_PKT0_S9_ifPKiSB_iPKfiiiSD_SD_iiiii.num_agpr, 0
	.set _ZN4vllm25paged_attention_v1_kernelI14__hip_bfloat16S1_Li32ELi32ELi128ELNS_18Fp8KVCacheDataTypeE0ELb0EEEvPT_PKS3_PKT0_S9_ifPKiSB_iPKfiiiSD_SD_iiiii.numbered_sgpr, 28
	.set _ZN4vllm25paged_attention_v1_kernelI14__hip_bfloat16S1_Li32ELi32ELi128ELNS_18Fp8KVCacheDataTypeE0ELb0EEEvPT_PKS3_PKT0_S9_ifPKiSB_iPKfiiiSD_SD_iiiii.num_named_barrier, 0
	.set _ZN4vllm25paged_attention_v1_kernelI14__hip_bfloat16S1_Li32ELi32ELi128ELNS_18Fp8KVCacheDataTypeE0ELb0EEEvPT_PKS3_PKT0_S9_ifPKiSB_iPKfiiiSD_SD_iiiii.private_seg_size, 0
	.set _ZN4vllm25paged_attention_v1_kernelI14__hip_bfloat16S1_Li32ELi32ELi128ELNS_18Fp8KVCacheDataTypeE0ELb0EEEvPT_PKS3_PKT0_S9_ifPKiSB_iPKfiiiSD_SD_iiiii.uses_vcc, 1
	.set _ZN4vllm25paged_attention_v1_kernelI14__hip_bfloat16S1_Li32ELi32ELi128ELNS_18Fp8KVCacheDataTypeE0ELb0EEEvPT_PKS3_PKT0_S9_ifPKiSB_iPKfiiiSD_SD_iiiii.uses_flat_scratch, 0
	.set _ZN4vllm25paged_attention_v1_kernelI14__hip_bfloat16S1_Li32ELi32ELi128ELNS_18Fp8KVCacheDataTypeE0ELb0EEEvPT_PKS3_PKT0_S9_ifPKiSB_iPKfiiiSD_SD_iiiii.has_dyn_sized_stack, 0
	.set _ZN4vllm25paged_attention_v1_kernelI14__hip_bfloat16S1_Li32ELi32ELi128ELNS_18Fp8KVCacheDataTypeE0ELb0EEEvPT_PKS3_PKT0_S9_ifPKiSB_iPKfiiiSD_SD_iiiii.has_recursion, 0
	.set _ZN4vllm25paged_attention_v1_kernelI14__hip_bfloat16S1_Li32ELi32ELi128ELNS_18Fp8KVCacheDataTypeE0ELb0EEEvPT_PKS3_PKT0_S9_ifPKiSB_iPKfiiiSD_SD_iiiii.has_indirect_call, 0
	.section	.AMDGPU.csdata,"",@progbits
; Kernel info:
; codeLenInByte = 5996
; TotalNumSgprs: 30
; NumVgprs: 79
; ScratchSize: 0
; MemoryBound: 0
; FloatMode: 240
; IeeeMode: 1
; LDSByteSize: 96 bytes/workgroup (compile time only)
; SGPRBlocks: 0
; VGPRBlocks: 4
; NumSGPRsForWavesPerEU: 30
; NumVGPRsForWavesPerEU: 79
; NamedBarCnt: 0
; Occupancy: 12
; WaveLimiterHint : 1
; COMPUTE_PGM_RSRC2:SCRATCH_EN: 0
; COMPUTE_PGM_RSRC2:USER_SGPR: 2
; COMPUTE_PGM_RSRC2:TRAP_HANDLER: 0
; COMPUTE_PGM_RSRC2:TGID_X_EN: 1
; COMPUTE_PGM_RSRC2:TGID_Y_EN: 1
; COMPUTE_PGM_RSRC2:TGID_Z_EN: 1
; COMPUTE_PGM_RSRC2:TIDIG_COMP_CNT: 0
	.section	.text._ZN4vllm25paged_attention_v1_kernelI14__hip_bfloat16S1_Li64ELi32ELi128ELNS_18Fp8KVCacheDataTypeE0ELb0EEEvPT_PKS3_PKT0_S9_ifPKiSB_iPKfiiiSD_SD_iiiii,"axG",@progbits,_ZN4vllm25paged_attention_v1_kernelI14__hip_bfloat16S1_Li64ELi32ELi128ELNS_18Fp8KVCacheDataTypeE0ELb0EEEvPT_PKS3_PKT0_S9_ifPKiSB_iPKfiiiSD_SD_iiiii,comdat
	.protected	_ZN4vllm25paged_attention_v1_kernelI14__hip_bfloat16S1_Li64ELi32ELi128ELNS_18Fp8KVCacheDataTypeE0ELb0EEEvPT_PKS3_PKT0_S9_ifPKiSB_iPKfiiiSD_SD_iiiii ; -- Begin function _ZN4vllm25paged_attention_v1_kernelI14__hip_bfloat16S1_Li64ELi32ELi128ELNS_18Fp8KVCacheDataTypeE0ELb0EEEvPT_PKS3_PKT0_S9_ifPKiSB_iPKfiiiSD_SD_iiiii
	.globl	_ZN4vllm25paged_attention_v1_kernelI14__hip_bfloat16S1_Li64ELi32ELi128ELNS_18Fp8KVCacheDataTypeE0ELb0EEEvPT_PKS3_PKT0_S9_ifPKiSB_iPKfiiiSD_SD_iiiii
	.p2align	8
	.type	_ZN4vllm25paged_attention_v1_kernelI14__hip_bfloat16S1_Li64ELi32ELi128ELNS_18Fp8KVCacheDataTypeE0ELb0EEEvPT_PKS3_PKT0_S9_ifPKiSB_iPKfiiiSD_SD_iiiii,@function
_ZN4vllm25paged_attention_v1_kernelI14__hip_bfloat16S1_Li64ELi32ELi128ELNS_18Fp8KVCacheDataTypeE0ELb0EEEvPT_PKS3_PKT0_S9_ifPKiSB_iPKfiiiSD_SD_iiiii: ; @_ZN4vllm25paged_attention_v1_kernelI14__hip_bfloat16S1_Li64ELi32ELi128ELNS_18Fp8KVCacheDataTypeE0ELb0EEEvPT_PKS3_PKT0_S9_ifPKiSB_iPKfiiiSD_SD_iiiii
; %bb.0:
	s_load_b64 s[6:7], s[0:1], 0x20
	s_bfe_u32 s3, ttmp6, 0x4000c
	s_bfe_u32 s5, ttmp6, 0x40010
	s_and_b32 s4, ttmp7, 0xffff
	s_add_co_i32 s3, s3, 1
	s_add_co_i32 s5, s5, 1
	s_and_b32 s2, ttmp6, 15
	s_bfe_u32 s8, ttmp6, 0x40004
	s_mul_i32 s3, ttmp9, s3
	s_mul_i32 s5, s4, s5
	s_getreg_b32 s18, hwreg(HW_REG_IB_STS2, 6, 4)
	s_add_co_i32 s2, s2, s3
	s_add_co_i32 s8, s8, s5
	s_cmp_eq_u32 s18, 0
	s_clause 0x1
	s_load_b32 s19, s[0:1], 0x80
	s_load_b64 s[10:11], s[0:1], 0x30
	s_cselect_b32 s20, s4, s8
	s_cselect_b32 s8, ttmp9, s2
	s_wait_kmcnt 0x0
	s_abs_i32 s2, s6
	s_delay_alu instid0(SALU_CYCLE_1) | instskip(SKIP_1) | instid1(SALU_CYCLE_2)
	s_cvt_f32_u32 s3, s2
	s_sub_co_i32 s4, 0, s2
	v_rcp_iflag_f32_e32 v1, s3
	s_abs_i32 s5, s19
	v_nop
	s_delay_alu instid0(TRANS32_DEP_1) | instskip(SKIP_1) | instid1(SALU_CYCLE_3)
	v_readfirstlane_b32 s3, v1
	s_mul_f32 s3, s3, 0x4f7ffffe
	s_cvt_u32_f32 s3, s3
	s_delay_alu instid0(SALU_CYCLE_3) | instskip(NEXT) | instid1(SALU_CYCLE_1)
	s_mul_i32 s4, s4, s3
	s_mul_hi_u32 s4, s3, s4
	s_delay_alu instid0(SALU_CYCLE_1) | instskip(SKIP_4) | instid1(SALU_CYCLE_1)
	s_add_co_i32 s3, s3, s4
	s_xor_b32 s4, s19, s6
	s_mul_hi_u32 s3, s5, s3
	s_ashr_i32 s4, s4, 31
	s_mul_i32 s6, s3, s2
	s_sub_co_i32 s5, s5, s6
	s_add_co_i32 s6, s3, 1
	s_sub_co_i32 s9, s5, s2
	s_cmp_ge_u32 s5, s2
	s_cselect_b32 s3, s6, s3
	s_cselect_b32 s5, s9, s5
	s_add_co_i32 s6, s3, 1
	s_cmp_ge_u32 s5, s2
	s_cselect_b32 s2, s6, s3
	s_mov_b32 s3, 0
	s_xor_b32 s2, s2, s4
	s_mov_b32 s13, s3
	s_sub_co_i32 s15, s2, s4
	s_load_b64 s[4:5], s[0:1], 0x40
	s_abs_i32 s14, s15
	s_mov_b32 s22, s3
	s_cvt_f32_u32 s2, s14
	s_delay_alu instid0(SALU_CYCLE_3) | instskip(SKIP_1) | instid1(TRANS32_DEP_1)
	v_rcp_iflag_f32_e32 v1, s2
	v_nop
	v_readfirstlane_b32 s2, v1
	s_mul_f32 s2, s2, 0x4f7ffffe
	s_delay_alu instid0(SALU_CYCLE_3) | instskip(SKIP_1) | instid1(SALU_CYCLE_2)
	s_cvt_u32_f32 s6, s2
	s_sub_co_i32 s2, 0, s14
	s_mul_i32 s2, s2, s6
	s_delay_alu instid0(SALU_CYCLE_1)
	s_mul_hi_u32 s9, s6, s2
	s_abs_i32 s2, s8
	s_add_co_i32 s12, s6, s9
	s_wait_kmcnt 0x0
	s_cmp_eq_u64 s[4:5], 0
	s_cbranch_scc1 .LBB154_2
; %bb.1:
	s_ashr_i32 s9, s8, 31
	s_delay_alu instid0(SALU_CYCLE_1) | instskip(NEXT) | instid1(SALU_CYCLE_1)
	s_lshl_b64 s[16:17], s[8:9], 2
	s_add_nc_u64 s[4:5], s[4:5], s[16:17]
	s_load_b32 s22, s[4:5], 0x0
.LBB154_2:
	s_load_b32 s21, s[10:11], s20 offset:0x0 scale_offset
	s_wait_xcnt 0x0
	s_load_b96 s[4:6], s[0:1], 0x48
	v_lshlrev_b32_e32 v105, 4, v0
	s_ashr_i32 s10, s8, 31
	s_ashr_i32 s11, s15, 31
	s_mul_u64 s[12:13], s[2:3], s[12:13]
	s_lshl_b32 s8, s8, 6
	s_mov_b32 s3, exec_lo
	v_cmpx_gt_u32_e32 8, v0
	s_cbranch_execz .LBB154_4
; %bb.3:
	s_load_b64 s[16:17], s[0:1], 0x8
	s_wait_kmcnt 0x0
	s_mul_i32 s24, s4, s20
	s_ashr_i32 s9, s8, 31
	s_ashr_i32 s25, s24, 31
	s_delay_alu instid0(SALU_CYCLE_1) | instskip(NEXT) | instid1(SALU_CYCLE_1)
	s_lshl_b64 s[24:25], s[24:25], 1
	s_add_nc_u64 s[16:17], s[16:17], s[24:25]
	s_lshl_b64 s[24:25], s[8:9], 1
	s_delay_alu instid0(SALU_CYCLE_1)
	s_add_nc_u64 s[16:17], s[16:17], s[24:25]
	global_load_b128 v[2:5], v0, s[16:17] scale_offset
	s_wait_loadcnt 0x0
	ds_store_b128 v105, v[2:5]
.LBB154_4:
	s_or_b32 exec_lo, exec_lo, s3
	s_wait_kmcnt 0x0
	s_add_co_i32 s3, s21, 31
	s_load_b32 s12, s[0:1], 0x38
	s_ashr_i32 s4, s3, 31
	s_mul_i32 s9, s13, s14
	s_lshr_b32 s4, s4, 27
	s_xor_b32 s15, s10, s11
	s_add_co_i32 s3, s3, s4
	s_clause 0x1
	s_load_b64 s[10:11], s[0:1], 0x28
	s_load_b32 s4, s[0:1], 0x88
	s_sub_co_i32 s2, s2, s9
	s_ashr_i32 s9, s3, 5
	s_add_co_i32 s3, s13, 1
	s_sub_co_i32 s16, s2, s14
	s_cmp_ge_u32 s2, s14
	v_dual_lshrrev_b32 v1, 5, v0 :: v_dual_bitop2_b32 v104, 31, v0 bitop3:0x40
	s_cselect_b32 s3, s3, s13
	s_cselect_b32 s2, s16, s2
	s_add_co_i32 s13, s3, 1
	s_cmp_ge_u32 s2, s14
	v_dual_mov_b32 v108, 0xff7fffff :: v_dual_lshlrev_b32 v107, 2, v104
	s_cselect_b32 s2, s13, s3
	v_lshrrev_b32_e32 v106, 3, v0
	s_xor_b32 s2, s2, s15
	s_wait_kmcnt 0x0
	s_mul_i32 s12, s12, s20
	s_sub_co_i32 s3, s2, s15
	v_cmp_gt_i32_e64 s2, s9, v1
	s_ashr_i32 s13, s12, 31
	s_mul_i32 s14, s3, s6
	s_wait_dscnt 0x0
	s_barrier_signal -1
	s_barrier_wait -1
	s_and_saveexec_b32 s6, s2
	s_cbranch_execz .LBB154_8
; %bb.5:
	v_mov_b32_e32 v19, 0
	s_load_b64 s[24:25], s[0:1], 0x10
	s_ashr_i32 s15, s14, 31
	s_ashr_i32 s17, s5, 31
	s_lshl_b64 s[26:27], s[14:15], 1
	ds_load_b128 v[20:23], v19
	ds_load_b128 v[10:13], v19 offset:16
	ds_load_b128 v[6:9], v19 offset:32
	ds_load_b128 v[2:5], v19 offset:48
	ds_load_b128 v[14:17], v19 offset:64
	ds_load_b128 v[24:27], v19 offset:80
	s_cmp_neq_f32 s22, 0
	v_lshl_or_b32 v110, v1, 5, v104
	v_dual_mov_b32 v108, 0xff7fffff :: v_dual_mov_b32 v111, v1
	s_cselect_b32 vcc_lo, -1, 0
	s_mov_b32 s16, s5
	s_mov_b32 s15, 0
	s_sub_co_i32 s23, 1, s21
	v_lshlrev_b32_e32 v18, 4, v104
	s_wait_dscnt 0x5
	v_and_b32_e32 v35, 0xffff0000, v20
	v_lshlrev_b32_e32 v34, 16, v20
	s_wait_dscnt 0x3
	v_and_b32_e32 v39, 0xffff0000, v6
	v_dual_lshlrev_b32 v38, 16, v6 :: v_dual_lshlrev_b32 v46, 16, v21
	s_wait_dscnt 0x1
	v_dual_lshlrev_b32 v42, 16, v14 :: v_dual_lshlrev_b32 v50, 16, v7
	v_and_b32_e32 v47, 0xffff0000, v21
	v_and_b32_e32 v51, 0xffff0000, v7
	v_dual_lshlrev_b32 v54, 16, v15 :: v_dual_lshlrev_b32 v58, 16, v22
	v_and_b32_e32 v59, 0xffff0000, v22
	v_dual_lshlrev_b32 v60, 16, v12 :: v_dual_lshlrev_b32 v62, 16, v23
	v_and_b32_e32 v63, 0xffff0000, v23
	ds_load_b128 v[20:23], v19 offset:96
	v_and_b32_e32 v65, 0xffff0000, v8
	v_dual_lshlrev_b32 v64, 16, v8 :: v_dual_lshlrev_b32 v66, 16, v13
	v_dual_lshlrev_b32 v68, 16, v4 :: v_dual_lshlrev_b32 v70, 16, v9
	v_and_b32_e32 v71, 0xffff0000, v9
	ds_load_b128 v[6:9], v19 offset:112
	s_wait_kmcnt 0x0
	s_add_nc_u64 s[24:25], s[24:25], s[26:27]
	v_and_b32_e32 v41, 0xffff0000, v2
	v_dual_lshlrev_b32 v40, 16, v2 :: v_dual_lshlrev_b32 v48, 16, v11
	v_lshl_or_b32 v2, v1, 7, v107
	v_and_b32_e32 v37, 0xffff0000, v10
	v_add_nc_u64_e32 v[98:99], s[24:25], v[18:19]
	v_and_b32_e32 v18, 0x7c, v106
	s_lshl_b64 s[24:25], s[12:13], 2
	s_wait_dscnt 0x2
	v_dual_lshlrev_b32 v36, 16, v10 :: v_dual_lshlrev_b32 v44, 16, v24
	s_add_nc_u64 s[24:25], s[10:11], s[24:25]
	v_and_b32_e32 v43, 0xffff0000, v14
	v_add_nc_u64_e32 v[100:101], s[24:25], v[18:19]
	v_and_b32_e32 v45, 0xffff0000, v24
	v_and_b32_e32 v49, 0xffff0000, v11
	;; [unrolled: 1-line block ×3, first 2 shown]
	v_dual_lshlrev_b32 v52, 16, v3 :: v_dual_lshlrev_b32 v56, 16, v25
	s_wait_dscnt 0x0
	v_lshlrev_b32_e32 v92, 16, v7
	v_and_b32_e32 v55, 0xffff0000, v15
	v_and_b32_e32 v57, 0xffff0000, v25
	;; [unrolled: 1-line block ×6, first 2 shown]
	v_dual_lshlrev_b32 v72, 16, v16 :: v_dual_lshlrev_b32 v74, 16, v5
	v_and_b32_e32 v75, 0xffff0000, v5
	v_and_b32_e32 v77, 0xffff0000, v26
	v_dual_lshlrev_b32 v76, 16, v26 :: v_dual_lshlrev_b32 v78, 16, v17
	v_and_b32_e32 v79, 0xffff0000, v17
	v_and_b32_e32 v81, 0xffff0000, v27
	;; [unrolled: 3-line block ×5, first 2 shown]
	v_and_b32_e32 v95, 0xffff0000, v8
	v_dual_lshlrev_b32 v94, 16, v8 :: v_dual_lshlrev_b32 v96, 16, v9
	v_and_b32_e32 v97, 0xffff0000, v9
	v_add_nc_u32_e32 v109, 0xa0, v2
.LBB154_6:                              ; =>This Inner Loop Header: Depth=1
	global_load_b32 v2, v[100:101], off
	v_add_nc_u32_e32 v4, s23, v110
	v_cmp_gt_i32_e64 s3, s21, v110
	s_wait_xcnt 0x0
	v_add_nc_u64_e32 v[100:101], 16, v[100:101]
	v_add_nc_u32_e32 v110, 0x80, v110
	v_add_nc_u32_e32 v111, 4, v111
	v_cvt_f32_i32_e32 v4, v4
	s_delay_alu instid0(VALU_DEP_1) | instskip(SKIP_1) | instid1(VALU_DEP_1)
	v_mul_f32_e32 v4, s22, v4
	s_wait_loadcnt 0x0
	v_dual_cndmask_b32 v112, 0, v4 :: v_dual_ashrrev_i32 v3, 31, v2
	s_delay_alu instid0(VALU_DEP_1) | instskip(NEXT) | instid1(VALU_DEP_1)
	v_mul_u64_e32 v[2:3], s[16:17], v[2:3]
	v_lshl_add_u64 v[2:3], v[2:3], 1, v[98:99]
	s_clause 0x7
	global_load_b128 v[30:33], v[2:3], off
	global_load_b128 v[26:29], v[2:3], off offset:512
	global_load_b128 v[22:25], v[2:3], off offset:1024
	;; [unrolled: 1-line block ×7, first 2 shown]
	s_wait_loadcnt 0x7
	v_and_b32_e32 v103, 0xffff0000, v30
	s_wait_loadcnt 0x6
	v_and_b32_e32 v115, 0xffff0000, v26
	v_lshlrev_b32_e32 v114, 16, v26
	v_dual_lshlrev_b32 v102, 16, v30 :: v_dual_lshlrev_b32 v30, 16, v27
	s_delay_alu instid0(VALU_DEP_2) | instskip(NEXT) | instid1(VALU_DEP_1)
	v_pk_mul_f32 v[114:115], v[36:37], v[114:115]
	v_pk_fma_f32 v[102:103], v[34:35], v[102:103], v[114:115]
	s_wait_loadcnt 0x5
	v_and_b32_e32 v115, 0xffff0000, v22
	v_lshlrev_b32_e32 v114, 16, v22
	s_delay_alu instid0(VALU_DEP_1) | instskip(SKIP_3) | instid1(VALU_DEP_1)
	v_pk_fma_f32 v[102:103], v[38:39], v[114:115], v[102:103]
	s_wait_loadcnt 0x4
	v_and_b32_e32 v115, 0xffff0000, v18
	v_lshlrev_b32_e32 v114, 16, v18
	v_pk_fma_f32 v[102:103], v[40:41], v[114:115], v[102:103]
	s_wait_loadcnt 0x3
	v_and_b32_e32 v115, 0xffff0000, v14
	v_lshlrev_b32_e32 v114, 16, v14
	s_delay_alu instid0(VALU_DEP_1) | instskip(SKIP_3) | instid1(VALU_DEP_1)
	v_pk_fma_f32 v[102:103], v[42:43], v[114:115], v[102:103]
	s_wait_loadcnt 0x2
	v_and_b32_e32 v115, 0xffff0000, v10
	v_lshlrev_b32_e32 v114, 16, v10
	v_pk_fma_f32 v[102:103], v[44:45], v[114:115], v[102:103]
	s_wait_loadcnt 0x1
	v_and_b32_e32 v115, 0xffff0000, v6
	v_lshlrev_b32_e32 v114, 16, v6
	s_delay_alu instid0(VALU_DEP_1) | instskip(SKIP_3) | instid1(VALU_DEP_1)
	v_pk_fma_f32 v[102:103], v[82:83], v[114:115], v[102:103]
	s_wait_loadcnt 0x0
	v_and_b32_e32 v115, 0xffff0000, v2
	v_lshlrev_b32_e32 v114, 16, v2
	v_pk_fma_f32 v[102:103], v[90:91], v[114:115], v[102:103]
	v_and_b32_e32 v115, 0xffff0000, v31
	v_lshlrev_b32_e32 v114, 16, v31
	v_and_b32_e32 v31, 0xffff0000, v27
	s_delay_alu instid0(VALU_DEP_1) | instskip(SKIP_2) | instid1(VALU_DEP_3)
	v_pk_mul_f32 v[26:27], v[48:49], v[30:31]
	v_and_b32_e32 v31, 0xffff0000, v23
	v_lshlrev_b32_e32 v30, 16, v23
	v_pk_fma_f32 v[26:27], v[46:47], v[114:115], v[26:27]
	s_delay_alu instid0(VALU_DEP_1) | instskip(SKIP_2) | instid1(VALU_DEP_1)
	v_pk_fma_f32 v[22:23], v[50:51], v[30:31], v[26:27]
	v_and_b32_e32 v27, 0xffff0000, v19
	v_lshlrev_b32_e32 v26, 16, v19
	v_pk_fma_f32 v[18:19], v[52:53], v[26:27], v[22:23]
	v_and_b32_e32 v23, 0xffff0000, v15
	v_lshlrev_b32_e32 v22, 16, v15
	s_delay_alu instid0(VALU_DEP_1) | instskip(SKIP_2) | instid1(VALU_DEP_1)
	v_pk_fma_f32 v[14:15], v[54:55], v[22:23], v[18:19]
	v_and_b32_e32 v19, 0xffff0000, v11
	v_lshlrev_b32_e32 v18, 16, v11
	v_pk_fma_f32 v[10:11], v[56:57], v[18:19], v[14:15]
	v_and_b32_e32 v15, 0xffff0000, v7
	v_lshlrev_b32_e32 v14, 16, v7
	s_delay_alu instid0(VALU_DEP_1) | instskip(SKIP_4) | instid1(VALU_DEP_2)
	v_pk_fma_f32 v[6:7], v[84:85], v[14:15], v[10:11]
	v_and_b32_e32 v11, 0xffff0000, v3
	v_dual_lshlrev_b32 v10, 16, v3 :: v_dual_lshlrev_b32 v14, 16, v29
	v_and_b32_e32 v15, 0xffff0000, v29
	s_wait_xcnt 0x0
	v_pk_fma_f32 v[2:3], v[92:93], v[10:11], v[6:7]
	v_and_b32_e32 v11, 0xffff0000, v28
	v_lshlrev_b32_e32 v10, 16, v28
	v_and_b32_e32 v7, 0xffff0000, v32
	v_lshlrev_b32_e32 v6, 16, v32
	v_pk_mul_f32 v[14:15], v[66:67], v[14:15]
	s_delay_alu instid0(VALU_DEP_4) | instskip(NEXT) | instid1(VALU_DEP_1)
	v_pk_mul_f32 v[10:11], v[60:61], v[10:11]
	v_pk_fma_f32 v[6:7], v[58:59], v[6:7], v[10:11]
	v_and_b32_e32 v11, 0xffff0000, v24
	v_lshlrev_b32_e32 v10, 16, v24
	s_delay_alu instid0(VALU_DEP_1) | instskip(SKIP_2) | instid1(VALU_DEP_1)
	v_pk_fma_f32 v[6:7], v[64:65], v[10:11], v[6:7]
	v_and_b32_e32 v11, 0xffff0000, v20
	v_lshlrev_b32_e32 v10, 16, v20
	v_pk_fma_f32 v[6:7], v[68:69], v[10:11], v[6:7]
	v_and_b32_e32 v11, 0xffff0000, v16
	v_lshlrev_b32_e32 v10, 16, v16
	s_delay_alu instid0(VALU_DEP_1) | instskip(SKIP_2) | instid1(VALU_DEP_1)
	v_pk_fma_f32 v[6:7], v[72:73], v[10:11], v[6:7]
	v_and_b32_e32 v11, 0xffff0000, v12
	v_dual_lshlrev_b32 v10, 16, v12 :: v_dual_lshlrev_b32 v12, 16, v9
	v_pk_fma_f32 v[6:7], v[76:77], v[10:11], v[6:7]
	v_and_b32_e32 v11, 0xffff0000, v8
	v_lshlrev_b32_e32 v10, 16, v8
	s_delay_alu instid0(VALU_DEP_1) | instskip(SKIP_2) | instid1(VALU_DEP_1)
	v_pk_fma_f32 v[6:7], v[86:87], v[10:11], v[6:7]
	v_and_b32_e32 v11, 0xffff0000, v4
	v_lshlrev_b32_e32 v10, 16, v4
	v_pk_fma_f32 v[6:7], v[94:95], v[10:11], v[6:7]
	v_and_b32_e32 v11, 0xffff0000, v33
	v_lshlrev_b32_e32 v10, 16, v33
	s_delay_alu instid0(VALU_DEP_1) | instskip(SKIP_2) | instid1(VALU_DEP_1)
	v_pk_fma_f32 v[10:11], v[62:63], v[10:11], v[14:15]
	v_and_b32_e32 v15, 0xffff0000, v25
	v_lshlrev_b32_e32 v14, 16, v25
	;; [unrolled: 7-line block ×3, first 2 shown]
	v_pk_fma_f32 v[10:11], v[78:79], v[14:15], v[10:11]
	v_and_b32_e32 v15, 0xffff0000, v13
	v_lshlrev_b32_e32 v14, 16, v13
	v_and_b32_e32 v13, 0xffff0000, v9
	s_delay_alu instid0(VALU_DEP_2) | instskip(NEXT) | instid1(VALU_DEP_1)
	v_pk_fma_f32 v[10:11], v[80:81], v[14:15], v[10:11]
	v_pk_fma_f32 v[8:9], v[88:89], v[12:13], v[10:11]
	v_and_b32_e32 v11, 0xffff0000, v5
	v_lshlrev_b32_e32 v10, 16, v5
	s_delay_alu instid0(VALU_DEP_1) | instskip(SKIP_1) | instid1(VALU_DEP_1)
	v_pk_fma_f32 v[4:5], v[96:97], v[10:11], v[8:9]
	v_add_f32_e32 v8, v102, v103
	v_add_f32_e32 v2, v8, v2
	s_delay_alu instid0(VALU_DEP_1) | instskip(NEXT) | instid1(VALU_DEP_1)
	v_dual_add_f32 v2, v3, v2 :: v_dual_max_num_f32 v3, v108, v108
	v_add_f32_e32 v2, v6, v2
	s_delay_alu instid0(VALU_DEP_1) | instskip(NEXT) | instid1(VALU_DEP_1)
	v_add_f32_e32 v2, v7, v2
	v_add_f32_e32 v2, v4, v2
	s_delay_alu instid0(VALU_DEP_1) | instskip(NEXT) | instid1(VALU_DEP_1)
	v_add_f32_e32 v2, v5, v2
	v_fmac_f32_e32 v112, s7, v2
	s_delay_alu instid0(VALU_DEP_1) | instskip(NEXT) | instid1(VALU_DEP_1)
	v_dual_max_num_f32 v3, v3, v112 :: v_dual_cndmask_b32 v2, 0, v112, s3
	v_cndmask_b32_e64 v108, v108, v3, s3
	v_cmp_le_i32_e64 s3, s9, v111
	ds_store_b32 v109, v2
	v_add_nc_u32_e32 v109, 0x200, v109
	s_or_b32 s15, s3, s15
	s_delay_alu instid0(SALU_CYCLE_1)
	s_and_not1_b32 exec_lo, exec_lo, s15
	s_cbranch_execnz .LBB154_6
; %bb.7:
	s_or_b32 exec_lo, exec_lo, s15
.LBB154_8:
	s_delay_alu instid0(SALU_CYCLE_1) | instskip(SKIP_4) | instid1(VALU_DEP_1)
	s_or_b32 exec_lo, exec_lo, s6
	v_mbcnt_lo_u32_b32 v5, -1, 0
	s_clause 0x1
	s_load_b64 s[6:7], s[0:1], 0x0
	s_load_b64 s[16:17], s[0:1], 0x18
	v_dual_max_num_f32 v6, v108, v108 :: v_dual_bitop2_b32 v2, 16, v5 bitop3:0x14
	v_xor_b32_e32 v4, 8, v5
	s_delay_alu instid0(VALU_DEP_2) | instskip(SKIP_1) | instid1(VALU_DEP_3)
	v_cmp_gt_i32_e32 vcc_lo, 32, v2
	v_cndmask_b32_e32 v2, v5, v2, vcc_lo
	v_cmp_gt_i32_e32 vcc_lo, 32, v4
	s_delay_alu instid0(VALU_DEP_2) | instskip(SKIP_3) | instid1(VALU_DEP_1)
	v_dual_lshlrev_b32 v2, 2, v2 :: v_dual_cndmask_b32 v4, v5, v4, vcc_lo
	ds_bpermute_b32 v3, v2, v108
	s_wait_dscnt 0x0
	v_dual_max_num_f32 v7, v3, v3 :: v_dual_lshlrev_b32 v3, 2, v4
	v_dual_max_num_f32 v6, v6, v7 :: v_dual_bitop2_b32 v7, 4, v5 bitop3:0x14
	ds_bpermute_b32 v4, v3, v6
	v_cmp_gt_i32_e32 vcc_lo, 32, v7
	s_wait_dscnt 0x0
	v_dual_cndmask_b32 v7, v5, v7 :: v_dual_max_num_f32 v8, v4, v4
	s_delay_alu instid0(VALU_DEP_1) | instskip(SKIP_3) | instid1(VALU_DEP_1)
	v_dual_lshlrev_b32 v4, 2, v7 :: v_dual_max_num_f32 v6, v6, v8
	ds_bpermute_b32 v7, v4, v6
	s_wait_dscnt 0x0
	v_dual_max_num_f32 v7, v7, v7 :: v_dual_bitop2_b32 v8, 2, v5 bitop3:0x14
	v_cmp_gt_i32_e32 vcc_lo, 32, v8
	s_delay_alu instid0(VALU_DEP_2) | instskip(NEXT) | instid1(VALU_DEP_1)
	v_dual_max_num_f32 v6, v6, v7 :: v_dual_cndmask_b32 v8, v5, v8, vcc_lo
	v_dual_lshlrev_b32 v55, 2, v8 :: v_dual_bitop2_b32 v8, 1, v5 bitop3:0x14
	ds_bpermute_b32 v7, v55, v6
	v_cmp_gt_i32_e32 vcc_lo, 32, v8
	v_cndmask_b32_e32 v5, v5, v8, vcc_lo
	v_cmp_eq_u32_e32 vcc_lo, 0, v104
	s_delay_alu instid0(VALU_DEP_2) | instskip(SKIP_2) | instid1(VALU_DEP_1)
	v_lshlrev_b32_e32 v54, 2, v5
	s_wait_dscnt 0x0
	v_dual_lshlrev_b32 v5, 2, v1 :: v_dual_max_num_f32 v7, v7, v7
	v_max_num_f32_e32 v6, v6, v7
	ds_bpermute_b32 v7, v54, v6
	s_wait_xcnt 0x0
	s_and_saveexec_b32 s0, vcc_lo
	s_cbranch_execz .LBB154_10
; %bb.9:
	s_wait_dscnt 0x0
	v_dual_max_num_f32 v7, v7, v7 :: v_dual_max_num_f32 v6, v6, v6
	s_delay_alu instid0(VALU_DEP_1)
	v_max_num_f32_e32 v6, v6, v7
	ds_store_b32 v5, v6 offset:128
.LBB154_10:
	s_or_b32 exec_lo, exec_lo, s0
	v_cmp_gt_u32_e64 s0, 4, v104
	v_mov_b32_e32 v6, 0xff7fffff
	s_wait_dscnt 0x0
	s_barrier_signal -1
	s_barrier_wait -1
	s_and_saveexec_b32 s1, s0
; %bb.11:
	ds_load_b32 v6, v107 offset:128
; %bb.12:
	s_or_b32 exec_lo, exec_lo, s1
	s_wait_dscnt 0x0
	ds_bpermute_b32 v7, v55, v6
	v_max_num_f32_e32 v6, v6, v6
	s_lshl_b32 s1, s9, 5
	s_delay_alu instid0(SALU_CYCLE_1) | instskip(NEXT) | instid1(SALU_CYCLE_1)
	s_min_i32 s15, s1, s21
	v_cmp_gt_i32_e64 s1, s15, v0
	s_wait_dscnt 0x0
	v_max_num_f32_e32 v7, v7, v7
	s_delay_alu instid0(VALU_DEP_1) | instskip(SKIP_3) | instid1(VALU_DEP_1)
	v_max_num_f32_e32 v6, v6, v7
	ds_bpermute_b32 v7, v54, v6
	s_wait_dscnt 0x0
	v_max_num_f32_e32 v7, v7, v7
	v_dual_max_num_f32 v7, v6, v7 :: v_dual_mov_b32 v6, 0
	ds_bpermute_b32 v7, v6, v7
	s_and_saveexec_b32 s22, s1
	s_cbranch_execz .LBB154_16
; %bb.13:
	v_lshl_add_u32 v8, v0, 2, 0xa0
	v_dual_mov_b32 v6, 0 :: v_dual_mov_b32 v9, v0
	s_mov_b32 s23, 0
.LBB154_14:                             ; =>This Inner Loop Header: Depth=1
	ds_load_b32 v10, v8
	v_add_nc_u32_e32 v9, 0x80, v9
	s_delay_alu instid0(VALU_DEP_1) | instskip(SKIP_3) | instid1(VALU_DEP_1)
	v_cmp_le_i32_e64 s3, s15, v9
	s_or_b32 s23, s3, s23
	s_wait_dscnt 0x0
	v_sub_f32_e32 v10, v10, v7
	v_mul_f32_e32 v10, 0x3fb8aa3b, v10
	s_delay_alu instid0(VALU_DEP_1)
	v_exp_f32_e32 v10, v10
	ds_store_b32 v8, v10
	v_nop
	v_add_f32_e32 v6, v6, v10
	v_add_nc_u32_e32 v8, 0x200, v8
	s_and_not1_b32 exec_lo, exec_lo, s23
	s_cbranch_execnz .LBB154_14
; %bb.15:
	s_or_b32 exec_lo, exec_lo, s23
.LBB154_16:
	s_delay_alu instid0(SALU_CYCLE_1)
	s_or_b32 exec_lo, exec_lo, s22
	ds_bpermute_b32 v2, v2, v6
	s_wait_dscnt 0x0
	v_add_f32_e32 v2, v6, v2
	ds_bpermute_b32 v3, v3, v2
	s_wait_dscnt 0x0
	v_add_f32_e32 v2, v2, v3
	;; [unrolled: 3-line block ×5, first 2 shown]
	s_and_saveexec_b32 s3, vcc_lo
; %bb.17:
	ds_store_b32 v5, v2 offset:144
; %bb.18:
	s_or_b32 exec_lo, exec_lo, s3
	s_wait_dscnt 0x0
	s_barrier_signal -1
	s_barrier_wait -1
	s_and_saveexec_b32 s3, s0
; %bb.19:
	ds_load_b32 v2, v107 offset:144
; %bb.20:
	s_or_b32 exec_lo, exec_lo, s3
	s_wait_dscnt 0x0
	ds_bpermute_b32 v3, v55, v2
	s_wait_dscnt 0x0
	v_dual_mov_b32 v43, 0 :: v_dual_add_f32 v2, v2, v3
	ds_bpermute_b32 v3, v54, v2
	s_wait_dscnt 0x0
	v_add_f32_e32 v2, v2, v3
	ds_bpermute_b32 v2, v43, v2
	s_and_saveexec_b32 s0, s1
	s_cbranch_execz .LBB154_33
; %bb.21:
	s_wait_dscnt 0x0
	v_add_f32_e32 v2, 0x358637bd, v2
	s_mov_b32 s3, -1
	s_mov_b32 s1, exec_lo
	s_delay_alu instid0(VALU_DEP_1) | instskip(NEXT) | instid1(VALU_DEP_1)
	v_div_scale_f32 v3, null, v2, v2, 1.0
	v_rcp_f32_e32 v5, v3
	v_nop
	s_delay_alu instid0(TRANS32_DEP_1) | instskip(NEXT) | instid1(VALU_DEP_1)
	v_fma_f32 v4, -v3, v5, 1.0
	v_fmac_f32_e32 v5, v4, v5
	v_div_scale_f32 v6, vcc_lo, 1.0, v2, 1.0
	s_delay_alu instid0(VALU_DEP_1) | instskip(NEXT) | instid1(VALU_DEP_1)
	v_mul_f32_e32 v7, v6, v5
	v_fma_f32 v4, -v3, v7, v6
	s_delay_alu instid0(VALU_DEP_1) | instskip(SKIP_1) | instid1(VALU_DEP_2)
	v_fmac_f32_e32 v7, v4, v5
	v_xad_u32 v4, v0, -1, s15
	v_fma_f32 v3, -v3, v7, v6
	s_delay_alu instid0(VALU_DEP_1) | instskip(NEXT) | instid1(VALU_DEP_1)
	v_div_fmas_f32 v3, v3, v5, v7
	v_div_fixup_f32 v2, v3, v2, 1.0
	v_mov_b32_e32 v3, v0
	v_cmpx_lt_u32_e32 0x7f, v4
	s_cbranch_execz .LBB154_30
; %bb.22:
	s_delay_alu instid0(VALU_DEP_3) | instskip(NEXT) | instid1(VALU_DEP_1)
	v_dual_mov_b32 v3, v2 :: v_dual_lshrrev_b32 v4, 7, v4
	v_dual_mov_b32 v8, 0 :: v_dual_add_nc_u32 v5, -1, v4
	s_delay_alu instid0(VALU_DEP_1) | instskip(SKIP_1) | instid1(VALU_DEP_2)
	v_lshrrev_b32_e32 v6, 1, v5
	v_cmp_lt_u32_e32 vcc_lo, 13, v5
	v_add_nc_u32_e32 v5, 1, v6
	s_and_saveexec_b32 s3, vcc_lo
	s_cbranch_execz .LBB154_26
; %bb.23:
	s_delay_alu instid0(VALU_DEP_1)
	v_and_b32_e32 v6, -8, v5
	v_lshl_add_u32 v7, v0, 2, 0xa0
	s_mov_b32 s22, 0
	s_mov_b32 s23, 0
.LBB154_24:                             ; =>This Inner Loop Header: Depth=1
	ds_load_2addr_stride64_b32 v[8:9], v7 offset1:2
	ds_load_2addr_stride64_b32 v[10:11], v7 offset0:4 offset1:6
	ds_load_2addr_stride64_b32 v[12:13], v7 offset0:8 offset1:10
	;; [unrolled: 1-line block ×7, first 2 shown]
	s_add_co_i32 s23, s23, 16
	v_add_nc_u32_e32 v6, -8, v6
	s_wait_dscnt 0x7
	v_pk_mul_f32 v[8:9], v[2:3], v[8:9]
	s_wait_dscnt 0x6
	v_pk_mul_f32 v[10:11], v[2:3], v[10:11]
	;; [unrolled: 2-line block ×8, first 2 shown]
	ds_store_2addr_stride64_b32 v7, v8, v9 offset1:2
	ds_store_2addr_stride64_b32 v7, v10, v11 offset0:4 offset1:6
	ds_store_2addr_stride64_b32 v7, v12, v13 offset0:8 offset1:10
	;; [unrolled: 1-line block ×7, first 2 shown]
	v_mov_b32_e32 v8, s23
	v_cmp_eq_u32_e32 vcc_lo, 0, v6
	v_add_nc_u32_e32 v7, 0x2000, v7
	s_or_b32 s22, vcc_lo, s22
	s_delay_alu instid0(SALU_CYCLE_1)
	s_and_not1_b32 exec_lo, exec_lo, s22
	s_cbranch_execnz .LBB154_24
; %bb.25:
	s_or_b32 exec_lo, exec_lo, s22
.LBB154_26:
	s_delay_alu instid0(SALU_CYCLE_1) | instskip(NEXT) | instid1(VALU_DEP_1)
	s_or_b32 exec_lo, exec_lo, s3
	v_and_b32_e32 v5, 7, v5
	s_mov_b32 s22, 0
	s_mov_b32 s3, exec_lo
	s_delay_alu instid0(VALU_DEP_1)
	v_cmpx_ne_u32_e32 0, v5
	s_cbranch_execz .LBB154_29
; %bb.27:
	v_lshlrev_b32_e32 v6, 9, v8
	v_lshlrev_b32_e32 v7, 2, v0
	s_delay_alu instid0(VALU_DEP_1)
	v_add3_u32 v6, v6, v7, 0xa0
.LBB154_28:                             ; =>This Inner Loop Header: Depth=1
	ds_load_2addr_stride64_b32 v[8:9], v6 offset1:2
	v_add_nc_u32_e32 v5, -1, v5
	s_delay_alu instid0(VALU_DEP_1)
	v_cmp_eq_u32_e32 vcc_lo, 0, v5
	s_or_b32 s22, vcc_lo, s22
	s_wait_dscnt 0x0
	v_pk_mul_f32 v[8:9], v[2:3], v[8:9]
	ds_store_2addr_stride64_b32 v6, v8, v9 offset1:2
	v_add_nc_u32_e32 v6, 0x400, v6
	s_and_not1_b32 exec_lo, exec_lo, s22
	s_cbranch_execnz .LBB154_28
.LBB154_29:
	s_or_b32 exec_lo, exec_lo, s3
	v_add_nc_u32_e32 v3, 1, v4
	s_delay_alu instid0(VALU_DEP_1) | instskip(NEXT) | instid1(VALU_DEP_1)
	v_and_b32_e32 v4, 0x3fffffe, v3
	v_cmp_ne_u32_e32 vcc_lo, v3, v4
	v_lshl_add_u32 v3, v4, 7, v0
	s_or_not1_b32 s3, vcc_lo, exec_lo
.LBB154_30:
	s_or_b32 exec_lo, exec_lo, s1
	s_delay_alu instid0(SALU_CYCLE_1)
	s_and_b32 exec_lo, exec_lo, s3
	s_cbranch_execz .LBB154_33
; %bb.31:
	v_lshl_add_u32 v4, v3, 2, 0xa0
	s_mov_b32 s1, 0
.LBB154_32:                             ; =>This Inner Loop Header: Depth=1
	ds_load_b32 v5, v4
	v_add_nc_u32_e32 v3, 0x80, v3
	s_delay_alu instid0(VALU_DEP_1)
	v_cmp_le_i32_e32 vcc_lo, s15, v3
	s_or_b32 s1, vcc_lo, s1
	s_wait_dscnt 0x0
	v_mul_f32_e32 v5, v2, v5
	ds_store_b32 v4, v5
	v_add_nc_u32_e32 v4, 0x200, v4
	s_and_not1_b32 exec_lo, exec_lo, s1
	s_cbranch_execnz .LBB154_32
.LBB154_33:
	s_or_b32 exec_lo, exec_lo, s0
	v_dual_mov_b32 v42, 0 :: v_dual_bitop2_b32 v56, 3, v0 bitop3:0x40
	v_dual_mov_b32 v45, 0 :: v_dual_mov_b32 v44, 0
	v_dual_mov_b32 v47, 0 :: v_dual_mov_b32 v46, 0
	;; [unrolled: 1-line block ×3, first 2 shown]
	s_wait_dscnt 0x0
	s_barrier_signal -1
	s_barrier_wait -1
	s_and_saveexec_b32 s1, s2
	s_cbranch_execz .LBB154_53
; %bb.34:
	v_dual_mov_b32 v43, 0 :: v_dual_lshlrev_b32 v2, 3, v0
	s_ashr_i32 s15, s14, 31
	v_and_b32_e32 v42, 0x1f0, v105
	s_lshl_b64 s[14:15], s[14:15], 1
	s_delay_alu instid0(VALU_DEP_2)
	v_dual_lshlrev_b32 v3, 5, v56 :: v_dual_bitop2_b32 v2, 24, v2 bitop3:0x40
	s_wait_kmcnt 0x0
	s_add_nc_u64 s[14:15], s[16:17], s[14:15]
	s_lshl_b64 s[12:13], s[12:13], 2
	v_add_nc_u64_e32 v[50:51], s[14:15], v[42:43]
	v_and_b32_e32 v42, 0x7c, v106
	v_lshl_or_b32 v3, v1, 7, v3
	s_add_nc_u64 s[10:11], s[10:11], s[12:13]
	v_lshl_or_b32 v57, v1, 5, v2
	v_mov_b32_e32 v44, v43
	v_add_nc_u64_e32 v[52:53], s[10:11], v[42:43]
	v_dual_mov_b32 v45, v43 :: v_dual_add_nc_u32 v58, 0xa0, v3
	v_dual_mov_b32 v42, v43 :: v_dual_mov_b32 v47, v43
	v_dual_mov_b32 v46, v43 :: v_dual_mov_b32 v49, v43
	;; [unrolled: 1-line block ×3, first 2 shown]
	s_ashr_i32 s3, s5, 31
	s_mov_b32 s2, s5
	s_add_co_i32 s5, s9, -1
	s_mov_b32 s11, s21
	s_mov_b32 s10, 0
	s_branch .LBB154_36
.LBB154_35:                             ;   in Loop: Header=BB154_36 Depth=1
	s_or_b32 exec_lo, exec_lo, s0
	s_wait_dscnt 0x1
	v_cvt_pk_bf16_f32 v18, v18, v19
	v_cvt_pk_bf16_f32 v19, v20, v21
	s_wait_dscnt 0x0
	v_cvt_pk_bf16_f32 v10, v10, v11
	v_cvt_pk_bf16_f32 v12, v12, v13
	v_add_nc_u64_e32 v[52:53], 16, v[52:53]
	s_wait_loadcnt 0x1
	v_pk_mul_bf16 v11, v18, v38
	v_pk_mul_bf16 v20, v19, v39
	;; [unrolled: 1-line block ×5, first 2 shown]
	s_delay_alu instid0(VALU_DEP_4)
	v_dual_lshlrev_b32 v21, 16, v11 :: v_dual_lshlrev_b32 v38, 16, v20
	v_and_b32_e32 v11, 0xffff0000, v11
	v_and_b32_e32 v20, 0xffff0000, v20
	v_lshlrev_b32_e32 v39, 16, v13
	v_and_b32_e32 v13, 0xffff0000, v13
	v_pk_mul_bf16 v36, v10, v36
	s_delay_alu instid0(VALU_DEP_4)
	v_dual_add_f32 v11, v21, v11 :: v_dual_add_f32 v20, v38, v20
	v_lshlrev_b32_e32 v38, 16, v34
	v_pk_mul_bf16 v21, v12, v41
	v_add_f32_e32 v13, v39, v13
	v_pk_mul_bf16 v37, v12, v37
	v_add_f32_e32 v11, v20, v11
	v_and_b32_e32 v20, 0xffff0000, v34
	v_dual_lshlrev_b32 v34, 16, v35 :: v_dual_lshlrev_b32 v39, 16, v21
	v_and_b32_e32 v35, 0xffff0000, v35
	v_and_b32_e32 v21, 0xffff0000, v21
	s_delay_alu instid0(VALU_DEP_4) | instskip(SKIP_1) | instid1(VALU_DEP_4)
	v_dual_add_f32 v20, v38, v20 :: v_dual_add_f32 v11, v13, v11
	v_pk_mul_bf16 v26, v18, v26
	v_dual_add_f32 v34, v34, v35 :: v_dual_lshlrev_b32 v35, 16, v36
	v_and_b32_e32 v36, 0xffff0000, v36
	v_add_f32_e32 v13, v39, v21
	v_pk_mul_bf16 v28, v10, v28
	s_delay_alu instid0(VALU_DEP_4) | instskip(NEXT) | instid1(VALU_DEP_4)
	v_dual_add_f32 v20, v34, v20 :: v_dual_lshlrev_b32 v34, 16, v37
	v_add_f32_e32 v21, v35, v36
	v_and_b32_e32 v35, 0xffff0000, v37
	v_add_f32_e32 v11, v13, v11
	v_pk_mul_bf16 v13, v19, v27
	s_delay_alu instid0(VALU_DEP_4) | instskip(NEXT) | instid1(VALU_DEP_4)
	v_dual_add_f32 v20, v21, v20 :: v_dual_lshlrev_b32 v27, 16, v26
	v_add_f32_e32 v21, v34, v35
	v_and_b32_e32 v26, 0xffff0000, v26
	s_delay_alu instid0(VALU_DEP_4) | instskip(SKIP_1) | instid1(VALU_DEP_3)
	v_dual_lshlrev_b32 v34, 16, v13 :: v_dual_add_f32 v42, v42, v11
	v_and_b32_e32 v13, 0xffff0000, v13
	v_dual_add_f32 v11, v21, v20 :: v_dual_add_f32 v20, v27, v26
	v_lshlrev_b32_e32 v21, 16, v28
	v_and_b32_e32 v26, 0xffff0000, v28
	s_delay_alu instid0(VALU_DEP_3) | instskip(SKIP_3) | instid1(VALU_DEP_4)
	v_dual_add_f32 v13, v34, v13 :: v_dual_add_f32 v45, v45, v11
	v_pk_mul_bf16 v11, v12, v29
	v_pk_mul_bf16 v24, v10, v24
	;; [unrolled: 1-line block ×3, first 2 shown]
	v_add_f32_e32 v13, v13, v20
	v_pk_mul_bf16 v20, v18, v22
	v_pk_mul_bf16 v22, v19, v23
	v_lshlrev_b32_e32 v23, 16, v11
	v_and_b32_e32 v11, 0xffff0000, v11
	s_delay_alu instid0(VALU_DEP_4) | instskip(SKIP_2) | instid1(VALU_DEP_4)
	v_dual_add_f32 v21, v21, v26 :: v_dual_lshlrev_b32 v26, 16, v20
	v_and_b32_e32 v20, 0xffff0000, v20
	v_pk_mul_bf16 v15, v19, v15
	v_dual_add_f32 v11, v23, v11 :: v_dual_lshlrev_b32 v27, 16, v22
	s_delay_alu instid0(VALU_DEP_4)
	v_add_f32_e32 v13, v21, v13
	v_and_b32_e32 v22, 0xffff0000, v22
	v_add_f32_e32 v20, v26, v20
	v_and_b32_e32 v23, 0xffff0000, v24
	v_pk_mul_bf16 v16, v10, v16
	v_add_f32_e32 v11, v11, v13
	v_dual_add_f32 v21, v27, v22 :: v_dual_lshlrev_b32 v22, 16, v24
	v_pk_mul_bf16 v24, v12, v25
	v_pk_mul_bf16 v6, v18, v6
	s_delay_alu instid0(VALU_DEP_3) | instskip(NEXT) | instid1(VALU_DEP_4)
	v_dual_add_f32 v44, v44, v11 :: v_dual_add_f32 v20, v21, v20
	v_dual_add_f32 v21, v22, v23 :: v_dual_lshlrev_b32 v22, 16, v14
	s_delay_alu instid0(VALU_DEP_4)
	v_lshlrev_b32_e32 v25, 16, v24
	v_and_b32_e32 v14, 0xffff0000, v14
	v_lshlrev_b32_e32 v23, 16, v15
	v_and_b32_e32 v15, 0xffff0000, v15
	v_and_b32_e32 v24, 0xffff0000, v24
	v_pk_mul_bf16 v11, v12, v17
	v_dual_add_f32 v14, v22, v14 :: v_dual_lshlrev_b32 v22, 16, v16
	s_delay_alu instid0(VALU_DEP_4) | instskip(SKIP_4) | instid1(VALU_DEP_4)
	v_add_f32_e32 v15, v23, v15
	v_and_b32_e32 v16, 0xffff0000, v16
	v_add_f32_e32 v13, v21, v20
	v_add_f32_e32 v20, v25, v24
	v_pk_mul_bf16 v7, v19, v7
	v_dual_add_f32 v14, v15, v14 :: v_dual_add_f32 v15, v22, v16
	s_delay_alu instid0(VALU_DEP_3) | instskip(SKIP_1) | instid1(VALU_DEP_3)
	v_dual_add_f32 v13, v20, v13 :: v_dual_lshlrev_b32 v16, 16, v6
	v_and_b32_e32 v6, 0xffff0000, v6
	v_dual_add_f32 v14, v15, v14 :: v_dual_lshlrev_b32 v17, 16, v7
	v_lshlrev_b32_e32 v15, 16, v11
	v_and_b32_e32 v11, 0xffff0000, v11
	v_and_b32_e32 v7, 0xffff0000, v7
	v_pk_mul_bf16 v8, v10, v8
	v_pk_mul_bf16 v2, v18, v2
	;; [unrolled: 1-line block ×3, first 2 shown]
	v_dual_add_f32 v11, v15, v11 :: v_dual_add_f32 v6, v16, v6
	s_delay_alu instid0(VALU_DEP_4) | instskip(SKIP_1) | instid1(VALU_DEP_4)
	v_dual_add_f32 v7, v17, v7 :: v_dual_lshlrev_b32 v15, 16, v8
	v_and_b32_e32 v8, 0xffff0000, v8
	v_dual_lshlrev_b32 v16, 16, v2 :: v_dual_lshlrev_b32 v17, 16, v3
	v_and_b32_e32 v2, 0xffff0000, v2
	v_and_b32_e32 v3, 0xffff0000, v3
	v_pk_mul_bf16 v9, v12, v9
	v_add_f32_e32 v20, v7, v6
	s_delay_alu instid0(VALU_DEP_4) | instskip(NEXT) | instid1(VALU_DEP_4)
	v_dual_add_f32 v15, v15, v8 :: v_dual_add_f32 v2, v16, v2
	v_add_f32_e32 v3, v17, v3
	v_pk_mul_bf16 v4, v10, v4
	v_lshlrev_b32_e32 v16, 16, v9
	v_pk_mul_bf16 v21, v12, v5
	s_wait_loadcnt 0x0
	v_pk_mul_bf16 v6, v10, v32
	v_add_f32_e32 v22, v3, v2
	v_pk_mul_bf16 v2, v18, v30
	v_lshlrev_b32_e32 v23, 16, v4
	v_and_b32_e32 v18, 0xffff0000, v4
	v_pk_mul_bf16 v4, v19, v31
	v_pk_mul_bf16 v8, v12, v33
	v_and_b32_e32 v3, 0xffff0000, v2
	v_lshlrev_b32_e32 v5, 16, v2
	v_and_b32_e32 v17, 0xffff0000, v9
	v_and_b32_e32 v2, 0xffff0000, v4
	v_dual_lshlrev_b32 v4, 16, v4 :: v_dual_lshlrev_b32 v9, 16, v6
	v_and_b32_e32 v7, 0xffff0000, v6
	v_and_b32_e32 v6, 0xffff0000, v8
	v_dual_lshlrev_b32 v8, 16, v8 :: v_dual_add_f32 v10, v23, v18
	s_delay_alu instid0(VALU_DEP_4) | instskip(SKIP_2) | instid1(VALU_DEP_4)
	v_pk_add_f32 v[2:3], v[4:5], v[2:3]
	v_lshlrev_b32_e32 v12, 16, v21
	v_and_b32_e32 v18, 0xffff0000, v21
	v_pk_add_f32 v[4:5], v[8:9], v[6:7]
	s_delay_alu instid0(VALU_DEP_4) | instskip(SKIP_1) | instid1(VALU_DEP_4)
	v_dual_add_f32 v6, v16, v17 :: v_dual_add_f32 v2, v2, v3
	v_dual_add_f32 v3, v15, v20 :: v_dual_add_f32 v7, v10, v22
	;; [unrolled: 1-line block ×3, first 2 shown]
	s_delay_alu instid0(VALU_DEP_3) | instskip(SKIP_1) | instid1(VALU_DEP_4)
	v_add_f32_e32 v2, v5, v2
	v_dual_add_f32 v5, v11, v14 :: v_dual_add_nc_u32 v59, 4, v59
	v_add_f32_e32 v3, v6, v3
	s_delay_alu instid0(VALU_DEP_4) | instskip(NEXT) | instid1(VALU_DEP_3)
	v_add_f32_e32 v6, v8, v7
	v_dual_add_f32 v2, v4, v2 :: v_dual_add_f32 v46, v46, v5
	s_delay_alu instid0(VALU_DEP_4) | instskip(NEXT) | instid1(VALU_DEP_3)
	v_cmp_le_i32_e32 vcc_lo, s9, v59
	v_dual_add_f32 v49, v49, v3 :: v_dual_add_f32 v48, v48, v6
	s_delay_alu instid0(VALU_DEP_3) | instskip(SKIP_3) | instid1(SALU_CYCLE_1)
	v_add_f32_e32 v43, v43, v2
	v_add_nc_u32_e32 v57, 0x80, v57
	v_add_nc_u32_e32 v58, 0x200, v58
	s_or_b32 s10, vcc_lo, s10
	s_and_not1_b32 exec_lo, exec_lo, s10
	s_cbranch_execz .LBB154_52
.LBB154_36:                             ; =>This Inner Loop Header: Depth=1
	global_load_b32 v2, v[52:53], off
	v_cmp_eq_u32_e32 vcc_lo, s5, v59
	v_or_b32_e32 v64, 3, v57
	v_or_b32_e32 v66, 2, v57
	v_or_b32_e32 v61, 5, v57
	v_or_b32_e32 v63, 4, v57
	v_or_b32_e32 v60, 7, v57
	v_dual_add_nc_u32 v65, 1, v57 :: v_dual_bitop2_b32 v62, 6, v57 bitop3:0x54
	s_wait_loadcnt 0x0
	v_ashrrev_i32_e32 v3, 31, v2
	s_delay_alu instid0(VALU_DEP_1) | instskip(NEXT) | instid1(VALU_DEP_1)
	v_mul_u64_e32 v[2:3], s[2:3], v[2:3]
	v_lshl_add_u64 v[30:31], v[2:3], 1, v[50:51]
	global_load_b128 v[2:5], v[30:31], off
	ds_load_2addr_b64 v[18:21], v58 offset1:1
	ds_load_2addr_b64 v[10:13], v58 offset0:2 offset1:3
	s_wait_xcnt 0x0
	s_and_saveexec_b32 s12, vcc_lo
	s_cbranch_execnz .LBB154_44
; %bb.37:                               ;   in Loop: Header=BB154_36 Depth=1
	s_or_b32 exec_lo, exec_lo, s12
	global_load_b128 v[6:9], v[30:31], off offset:512
	s_wait_xcnt 0x0
	s_and_saveexec_b32 s12, vcc_lo
	s_cbranch_execnz .LBB154_45
.LBB154_38:                             ;   in Loop: Header=BB154_36 Depth=1
	s_or_b32 exec_lo, exec_lo, s12
	global_load_b128 v[14:17], v[30:31], off offset:1024
	s_wait_xcnt 0x0
	s_and_saveexec_b32 s12, vcc_lo
	s_cbranch_execnz .LBB154_46
.LBB154_39:                             ;   in Loop: Header=BB154_36 Depth=1
	s_or_b32 exec_lo, exec_lo, s12
	global_load_b128 v[22:25], v[30:31], off offset:1536
	s_wait_xcnt 0x0
	s_and_saveexec_b32 s12, vcc_lo
	s_cbranch_execnz .LBB154_47
.LBB154_40:                             ;   in Loop: Header=BB154_36 Depth=1
	s_or_b32 exec_lo, exec_lo, s12
	global_load_b128 v[26:29], v[30:31], off offset:2048
	s_wait_xcnt 0x0
	s_and_saveexec_b32 s12, vcc_lo
	s_cbranch_execnz .LBB154_48
.LBB154_41:                             ;   in Loop: Header=BB154_36 Depth=1
	s_or_b32 exec_lo, exec_lo, s12
	global_load_b128 v[34:37], v[30:31], off offset:2560
	s_wait_xcnt 0x0
	s_and_saveexec_b32 s12, vcc_lo
	s_cbranch_execnz .LBB154_49
.LBB154_42:                             ;   in Loop: Header=BB154_36 Depth=1
	s_or_b32 exec_lo, exec_lo, s12
	global_load_b128 v[38:41], v[30:31], off offset:3072
	s_wait_xcnt 0x0
	s_and_saveexec_b32 s12, vcc_lo
	s_cbranch_execnz .LBB154_50
.LBB154_43:                             ;   in Loop: Header=BB154_36 Depth=1
	s_or_b32 exec_lo, exec_lo, s12
	global_load_b128 v[30:33], v[30:31], off offset:3584
	s_wait_xcnt 0x0
	s_and_saveexec_b32 s0, vcc_lo
	s_cbranch_execz .LBB154_35
	s_branch .LBB154_51
.LBB154_44:                             ;   in Loop: Header=BB154_36 Depth=1
	v_cmp_gt_i32_e64 s0, s21, v57
	s_wait_loadcnt 0x0
	v_dual_lshrrev_b32 v6, 16, v2 :: v_dual_lshrrev_b32 v8, 16, v4
	s_delay_alu instid0(VALU_DEP_2) | instskip(SKIP_1) | instid1(VALU_DEP_1)
	v_cndmask_b32_e64 v2, 0, v2, s0
	v_cmp_gt_i32_e64 s0, s11, v65
	v_dual_lshrrev_b32 v7, 16, v3 :: v_dual_cndmask_b32 v6, 0, v6, s0
	v_cmp_gt_i32_e64 s0, s21, v66
	s_delay_alu instid0(VALU_DEP_2) | instskip(NEXT) | instid1(VALU_DEP_2)
	v_perm_b32 v2, v6, v2, 0x5040100
	v_cndmask_b32_e64 v3, 0, v3, s0
	v_cmp_gt_i32_e64 s0, s11, v64
	s_delay_alu instid0(VALU_DEP_1) | instskip(SKIP_1) | instid1(VALU_DEP_1)
	v_cndmask_b32_e64 v7, 0, v7, s0
	v_cmp_gt_i32_e64 s0, s21, v63
	v_cndmask_b32_e64 v4, 0, v4, s0
	v_cmp_gt_i32_e64 s0, s11, v61
	v_lshrrev_b32_e32 v9, 16, v5
	v_perm_b32 v3, v7, v3, 0x5040100
	s_delay_alu instid0(VALU_DEP_3) | instskip(SKIP_1) | instid1(VALU_DEP_2)
	v_cndmask_b32_e64 v8, 0, v8, s0
	v_cmp_gt_i32_e64 s0, s21, v62
	v_perm_b32 v4, v8, v4, 0x5040100
	s_delay_alu instid0(VALU_DEP_2) | instskip(SKIP_1) | instid1(VALU_DEP_1)
	v_cndmask_b32_e64 v5, 0, v5, s0
	v_cmp_gt_i32_e64 s0, s11, v60
	v_cndmask_b32_e64 v9, 0, v9, s0
	s_delay_alu instid0(VALU_DEP_1)
	v_perm_b32 v5, v9, v5, 0x5040100
	s_or_b32 exec_lo, exec_lo, s12
	global_load_b128 v[6:9], v[30:31], off offset:512
	s_wait_xcnt 0x0
	s_and_saveexec_b32 s12, vcc_lo
	s_cbranch_execz .LBB154_38
.LBB154_45:                             ;   in Loop: Header=BB154_36 Depth=1
	v_cmp_gt_i32_e64 s0, s21, v57
	s_wait_loadcnt 0x0
	v_dual_lshrrev_b32 v14, 16, v6 :: v_dual_lshrrev_b32 v16, 16, v8
	s_delay_alu instid0(VALU_DEP_2) | instskip(SKIP_1) | instid1(VALU_DEP_1)
	v_cndmask_b32_e64 v6, 0, v6, s0
	v_cmp_gt_i32_e64 s0, s11, v65
	v_dual_lshrrev_b32 v15, 16, v7 :: v_dual_cndmask_b32 v14, 0, v14, s0
	v_cmp_gt_i32_e64 s0, s21, v66
	s_delay_alu instid0(VALU_DEP_2) | instskip(NEXT) | instid1(VALU_DEP_2)
	v_perm_b32 v6, v14, v6, 0x5040100
	v_cndmask_b32_e64 v7, 0, v7, s0
	v_cmp_gt_i32_e64 s0, s11, v64
	s_delay_alu instid0(VALU_DEP_1) | instskip(SKIP_1) | instid1(VALU_DEP_1)
	v_cndmask_b32_e64 v15, 0, v15, s0
	v_cmp_gt_i32_e64 s0, s21, v63
	v_cndmask_b32_e64 v8, 0, v8, s0
	v_cmp_gt_i32_e64 s0, s11, v61
	v_lshrrev_b32_e32 v17, 16, v9
	v_perm_b32 v7, v15, v7, 0x5040100
	s_delay_alu instid0(VALU_DEP_3) | instskip(SKIP_1) | instid1(VALU_DEP_2)
	v_cndmask_b32_e64 v16, 0, v16, s0
	v_cmp_gt_i32_e64 s0, s21, v62
	v_perm_b32 v8, v16, v8, 0x5040100
	s_delay_alu instid0(VALU_DEP_2) | instskip(SKIP_1) | instid1(VALU_DEP_1)
	v_cndmask_b32_e64 v9, 0, v9, s0
	v_cmp_gt_i32_e64 s0, s11, v60
	v_cndmask_b32_e64 v17, 0, v17, s0
	s_delay_alu instid0(VALU_DEP_1)
	v_perm_b32 v9, v17, v9, 0x5040100
	s_or_b32 exec_lo, exec_lo, s12
	global_load_b128 v[14:17], v[30:31], off offset:1024
	s_wait_xcnt 0x0
	s_and_saveexec_b32 s12, vcc_lo
	s_cbranch_execz .LBB154_39
.LBB154_46:                             ;   in Loop: Header=BB154_36 Depth=1
	v_cmp_gt_i32_e64 s0, s21, v57
	s_wait_loadcnt 0x0
	v_dual_lshrrev_b32 v22, 16, v14 :: v_dual_lshrrev_b32 v24, 16, v16
	s_delay_alu instid0(VALU_DEP_2) | instskip(SKIP_1) | instid1(VALU_DEP_1)
	v_cndmask_b32_e64 v14, 0, v14, s0
	v_cmp_gt_i32_e64 s0, s11, v65
	v_dual_lshrrev_b32 v23, 16, v15 :: v_dual_cndmask_b32 v22, 0, v22, s0
	v_cmp_gt_i32_e64 s0, s21, v66
	s_delay_alu instid0(VALU_DEP_2) | instskip(NEXT) | instid1(VALU_DEP_2)
	v_perm_b32 v14, v22, v14, 0x5040100
	v_cndmask_b32_e64 v15, 0, v15, s0
	v_cmp_gt_i32_e64 s0, s11, v64
	s_delay_alu instid0(VALU_DEP_1) | instskip(SKIP_1) | instid1(VALU_DEP_1)
	v_cndmask_b32_e64 v23, 0, v23, s0
	v_cmp_gt_i32_e64 s0, s21, v63
	v_cndmask_b32_e64 v16, 0, v16, s0
	v_cmp_gt_i32_e64 s0, s11, v61
	v_lshrrev_b32_e32 v25, 16, v17
	v_perm_b32 v15, v23, v15, 0x5040100
	s_delay_alu instid0(VALU_DEP_3) | instskip(SKIP_1) | instid1(VALU_DEP_2)
	v_cndmask_b32_e64 v24, 0, v24, s0
	v_cmp_gt_i32_e64 s0, s21, v62
	v_perm_b32 v16, v24, v16, 0x5040100
	s_delay_alu instid0(VALU_DEP_2) | instskip(SKIP_1) | instid1(VALU_DEP_1)
	v_cndmask_b32_e64 v17, 0, v17, s0
	v_cmp_gt_i32_e64 s0, s11, v60
	v_cndmask_b32_e64 v25, 0, v25, s0
	s_delay_alu instid0(VALU_DEP_1)
	v_perm_b32 v17, v25, v17, 0x5040100
	s_or_b32 exec_lo, exec_lo, s12
	global_load_b128 v[22:25], v[30:31], off offset:1536
	s_wait_xcnt 0x0
	s_and_saveexec_b32 s12, vcc_lo
	s_cbranch_execz .LBB154_40
.LBB154_47:                             ;   in Loop: Header=BB154_36 Depth=1
	v_cmp_gt_i32_e64 s0, s21, v57
	s_wait_loadcnt 0x0
	v_dual_lshrrev_b32 v26, 16, v22 :: v_dual_lshrrev_b32 v28, 16, v24
	s_delay_alu instid0(VALU_DEP_2) | instskip(SKIP_1) | instid1(VALU_DEP_1)
	v_cndmask_b32_e64 v22, 0, v22, s0
	v_cmp_gt_i32_e64 s0, s11, v65
	v_dual_lshrrev_b32 v27, 16, v23 :: v_dual_cndmask_b32 v26, 0, v26, s0
	v_cmp_gt_i32_e64 s0, s21, v66
	s_delay_alu instid0(VALU_DEP_2) | instskip(NEXT) | instid1(VALU_DEP_2)
	v_perm_b32 v22, v26, v22, 0x5040100
	v_cndmask_b32_e64 v23, 0, v23, s0
	v_cmp_gt_i32_e64 s0, s11, v64
	s_delay_alu instid0(VALU_DEP_1) | instskip(SKIP_1) | instid1(VALU_DEP_1)
	v_cndmask_b32_e64 v27, 0, v27, s0
	v_cmp_gt_i32_e64 s0, s21, v63
	v_cndmask_b32_e64 v24, 0, v24, s0
	v_cmp_gt_i32_e64 s0, s11, v61
	v_lshrrev_b32_e32 v29, 16, v25
	v_perm_b32 v23, v27, v23, 0x5040100
	s_delay_alu instid0(VALU_DEP_3) | instskip(SKIP_1) | instid1(VALU_DEP_2)
	v_cndmask_b32_e64 v28, 0, v28, s0
	v_cmp_gt_i32_e64 s0, s21, v62
	v_perm_b32 v24, v28, v24, 0x5040100
	s_delay_alu instid0(VALU_DEP_2) | instskip(SKIP_1) | instid1(VALU_DEP_1)
	v_cndmask_b32_e64 v25, 0, v25, s0
	v_cmp_gt_i32_e64 s0, s11, v60
	v_cndmask_b32_e64 v29, 0, v29, s0
	s_delay_alu instid0(VALU_DEP_1)
	v_perm_b32 v25, v29, v25, 0x5040100
	s_or_b32 exec_lo, exec_lo, s12
	global_load_b128 v[26:29], v[30:31], off offset:2048
	s_wait_xcnt 0x0
	s_and_saveexec_b32 s12, vcc_lo
	s_cbranch_execz .LBB154_41
.LBB154_48:                             ;   in Loop: Header=BB154_36 Depth=1
	v_cmp_gt_i32_e64 s0, s21, v57
	s_wait_loadcnt 0x0
	s_delay_alu instid0(VALU_DEP_1) | instskip(SKIP_1) | instid1(VALU_DEP_1)
	v_dual_lshrrev_b32 v32, 16, v26 :: v_dual_cndmask_b32 v26, 0, v26, s0
	v_cmp_gt_i32_e64 s0, s11, v65
	v_dual_lshrrev_b32 v33, 16, v27 :: v_dual_cndmask_b32 v32, 0, v32, s0
	v_cmp_gt_i32_e64 s0, s21, v66
	s_delay_alu instid0(VALU_DEP_2) | instskip(NEXT) | instid1(VALU_DEP_2)
	v_perm_b32 v26, v32, v26, 0x5040100
	v_cndmask_b32_e64 v27, 0, v27, s0
	v_cmp_gt_i32_e64 s0, s11, v64
	s_delay_alu instid0(VALU_DEP_1) | instskip(SKIP_2) | instid1(VALU_DEP_3)
	v_cndmask_b32_e64 v33, 0, v33, s0
	v_cmp_gt_i32_e64 s0, s21, v63
	v_lshrrev_b32_e32 v34, 16, v28
	v_perm_b32 v27, v33, v27, 0x5040100
	s_delay_alu instid0(VALU_DEP_3) | instskip(SKIP_1) | instid1(VALU_DEP_1)
	v_cndmask_b32_e64 v28, 0, v28, s0
	v_cmp_gt_i32_e64 s0, s11, v61
	v_dual_lshrrev_b32 v35, 16, v29 :: v_dual_cndmask_b32 v34, 0, v34, s0
	v_cmp_gt_i32_e64 s0, s21, v62
	s_delay_alu instid0(VALU_DEP_2) | instskip(NEXT) | instid1(VALU_DEP_2)
	v_perm_b32 v28, v34, v28, 0x5040100
	v_cndmask_b32_e64 v29, 0, v29, s0
	v_cmp_gt_i32_e64 s0, s11, v60
	s_delay_alu instid0(VALU_DEP_1) | instskip(NEXT) | instid1(VALU_DEP_1)
	v_cndmask_b32_e64 v35, 0, v35, s0
	v_perm_b32 v29, v35, v29, 0x5040100
	s_or_b32 exec_lo, exec_lo, s12
	global_load_b128 v[34:37], v[30:31], off offset:2560
	s_wait_xcnt 0x0
	s_and_saveexec_b32 s12, vcc_lo
	s_cbranch_execz .LBB154_42
.LBB154_49:                             ;   in Loop: Header=BB154_36 Depth=1
	v_cmp_gt_i32_e64 s0, s21, v57
	s_wait_loadcnt 0x0
	s_delay_alu instid0(VALU_DEP_1) | instskip(SKIP_1) | instid1(VALU_DEP_1)
	v_dual_lshrrev_b32 v32, 16, v34 :: v_dual_cndmask_b32 v33, 0, v34, s0
	v_cmp_gt_i32_e64 s0, s11, v65
	v_dual_lshrrev_b32 v34, 16, v35 :: v_dual_cndmask_b32 v32, 0, v32, s0
	v_cmp_gt_i32_e64 s0, s21, v66
	s_delay_alu instid0(VALU_DEP_1) | instskip(SKIP_1) | instid1(VALU_DEP_1)
	v_cndmask_b32_e64 v35, 0, v35, s0
	v_cmp_gt_i32_e64 s0, s11, v64
	v_cndmask_b32_e64 v38, 0, v34, s0
	v_cmp_gt_i32_e64 s0, s21, v63
	v_lshrrev_b32_e32 v34, 16, v36
	s_delay_alu instid0(VALU_DEP_3) | instskip(NEXT) | instid1(VALU_DEP_3)
	v_perm_b32 v35, v38, v35, 0x5040100
	v_cndmask_b32_e64 v36, 0, v36, s0
	v_cmp_gt_i32_e64 s0, s11, v61
	s_delay_alu instid0(VALU_DEP_1) | instskip(SKIP_2) | instid1(VALU_DEP_3)
	v_dual_lshrrev_b32 v39, 16, v37 :: v_dual_cndmask_b32 v40, 0, v34, s0
	v_cmp_gt_i32_e64 s0, s21, v62
	v_perm_b32 v34, v32, v33, 0x5040100
	v_perm_b32 v36, v40, v36, 0x5040100
	s_delay_alu instid0(VALU_DEP_3) | instskip(SKIP_1) | instid1(VALU_DEP_1)
	v_cndmask_b32_e64 v37, 0, v37, s0
	v_cmp_gt_i32_e64 s0, s11, v60
	v_cndmask_b32_e64 v39, 0, v39, s0
	s_delay_alu instid0(VALU_DEP_1)
	v_perm_b32 v37, v39, v37, 0x5040100
	s_or_b32 exec_lo, exec_lo, s12
	global_load_b128 v[38:41], v[30:31], off offset:3072
	s_wait_xcnt 0x0
	s_and_saveexec_b32 s12, vcc_lo
	s_cbranch_execz .LBB154_43
.LBB154_50:                             ;   in Loop: Header=BB154_36 Depth=1
	v_cmp_gt_i32_e64 s0, s21, v57
	s_wait_loadcnt 0x0
	s_delay_alu instid0(VALU_DEP_1) | instskip(SKIP_1) | instid1(VALU_DEP_1)
	v_dual_lshrrev_b32 v32, 16, v38 :: v_dual_cndmask_b32 v33, 0, v38, s0
	v_cmp_gt_i32_e64 s0, s11, v65
	v_dual_lshrrev_b32 v38, 16, v39 :: v_dual_cndmask_b32 v32, 0, v32, s0
	v_cmp_gt_i32_e64 s0, s21, v66
	s_delay_alu instid0(VALU_DEP_1) | instskip(SKIP_1) | instid1(VALU_DEP_1)
	v_cndmask_b32_e64 v39, 0, v39, s0
	v_cmp_gt_i32_e64 s0, s11, v64
	v_cndmask_b32_e64 v67, 0, v38, s0
	v_cmp_gt_i32_e64 s0, s21, v63
	v_lshrrev_b32_e32 v38, 16, v40
	s_delay_alu instid0(VALU_DEP_3) | instskip(NEXT) | instid1(VALU_DEP_3)
	v_perm_b32 v39, v67, v39, 0x5040100
	v_cndmask_b32_e64 v40, 0, v40, s0
	v_cmp_gt_i32_e64 s0, s11, v61
	s_delay_alu instid0(VALU_DEP_1) | instskip(SKIP_2) | instid1(VALU_DEP_3)
	v_dual_lshrrev_b32 v68, 16, v41 :: v_dual_cndmask_b32 v69, 0, v38, s0
	v_cmp_gt_i32_e64 s0, s21, v62
	v_perm_b32 v38, v32, v33, 0x5040100
	v_perm_b32 v40, v69, v40, 0x5040100
	s_delay_alu instid0(VALU_DEP_3) | instskip(SKIP_1) | instid1(VALU_DEP_1)
	v_cndmask_b32_e64 v41, 0, v41, s0
	v_cmp_gt_i32_e64 s0, s11, v60
	v_cndmask_b32_e64 v68, 0, v68, s0
	s_delay_alu instid0(VALU_DEP_1)
	v_perm_b32 v41, v68, v41, 0x5040100
	s_or_b32 exec_lo, exec_lo, s12
	global_load_b128 v[30:33], v[30:31], off offset:3584
	s_wait_xcnt 0x0
	s_and_saveexec_b32 s0, vcc_lo
	s_cbranch_execz .LBB154_35
.LBB154_51:                             ;   in Loop: Header=BB154_36 Depth=1
	v_cmp_gt_i32_e32 vcc_lo, s21, v57
	s_wait_loadcnt 0x0
	v_dual_cndmask_b32 v30, 0, v30 :: v_dual_lshrrev_b32 v67, 16, v30
	v_cmp_gt_i32_e32 vcc_lo, s11, v65
	s_delay_alu instid0(VALU_DEP_2) | instskip(SKIP_3) | instid1(VALU_DEP_2)
	v_cndmask_b32_e32 v65, 0, v67, vcc_lo
	v_cmp_gt_i32_e32 vcc_lo, s21, v66
	v_dual_cndmask_b32 v31, 0, v31 :: v_dual_lshrrev_b32 v68, 16, v31
	v_cmp_gt_i32_e32 vcc_lo, s11, v64
	v_cndmask_b32_e32 v64, 0, v68, vcc_lo
	v_cmp_gt_i32_e32 vcc_lo, s21, v63
	v_lshrrev_b32_e32 v66, 16, v32
	v_perm_b32 v30, v65, v30, 0x5040100
	s_delay_alu instid0(VALU_DEP_4) | instskip(SKIP_4) | instid1(VALU_DEP_2)
	v_perm_b32 v31, v64, v31, 0x5040100
	v_cndmask_b32_e32 v32, 0, v32, vcc_lo
	v_cmp_gt_i32_e32 vcc_lo, s11, v61
	v_dual_lshrrev_b32 v63, 16, v33 :: v_dual_cndmask_b32 v61, 0, v66, vcc_lo
	v_cmp_gt_i32_e32 vcc_lo, s21, v62
	v_perm_b32 v32, v61, v32, 0x5040100
	v_cndmask_b32_e32 v33, 0, v33, vcc_lo
	v_cmp_gt_i32_e32 vcc_lo, s11, v60
	v_cndmask_b32_e32 v60, 0, v63, vcc_lo
	s_delay_alu instid0(VALU_DEP_1)
	v_perm_b32 v33, v60, v33, 0x5040100
	s_branch .LBB154_35
.LBB154_52:
	s_or_b32 exec_lo, exec_lo, s10
.LBB154_53:
	s_delay_alu instid0(SALU_CYCLE_1)
	s_or_b32 exec_lo, exec_lo, s1
	ds_bpermute_b32 v2, v55, v48
	ds_bpermute_b32 v3, v55, v49
	;; [unrolled: 1-line block ×8, first 2 shown]
	v_and_b32_e32 v13, 0x3c3, v0
	s_mov_b32 s0, exec_lo
	v_and_b32_e32 v12, 28, v104
	s_wait_dscnt 0x0
	s_barrier_signal -1
	s_barrier_wait -1
	v_pk_add_f32 v[2:3], v[48:49], v[2:3]
	v_pk_add_f32 v[4:5], v[46:47], v[4:5]
	;; [unrolled: 1-line block ×3, first 2 shown]
	ds_bpermute_b32 v6, v54, v2
	v_pk_add_f32 v[8:9], v[42:43], v[8:9]
	ds_bpermute_b32 v7, v54, v3
	ds_bpermute_b32 v16, v54, v4
	;; [unrolled: 1-line block ×7, first 2 shown]
	s_wait_dscnt 0x6
	v_pk_add_f32 v[6:7], v[2:3], v[6:7]
	s_wait_dscnt 0x4
	v_pk_add_f32 v[4:5], v[4:5], v[16:17]
	s_wait_dscnt 0x2
	v_pk_add_f32 v[2:3], v[14:15], v[18:19]
	v_cmpx_ne_u32_e32 64, v13
	s_xor_b32 s0, exec_lo, s0
	s_delay_alu instid0(SALU_CYCLE_1)
	s_or_saveexec_b32 s0, s0
	s_wait_dscnt 0x0
	v_pk_add_f32 v[8:9], v[8:9], v[10:11]
	v_dual_lshrrev_b32 v11, 2, v104 :: v_dual_lshlrev_b32 v1, 8, v1
	v_add_nc_u32_e32 v10, 0xa0, v12
	s_xor_b32 exec_lo, exec_lo, s0
	s_cbranch_execz .LBB154_55
; %bb.54:
	s_delay_alu instid0(VALU_DEP_1) | instskip(NEXT) | instid1(VALU_DEP_1)
	v_add_nc_u32_e32 v12, v10, v1
	v_add_nc_u32_e32 v13, 0xfffffe00, v12
	;; [unrolled: 1-line block ×9, first 2 shown]
	ds_store_b32 v13, v6
	ds_store_b32 v14, v7
	;; [unrolled: 1-line block ×8, first 2 shown]
.LBB154_55:
	s_or_b32 exec_lo, exec_lo, s0
	v_lshlrev_b32_e32 v11, 2, v11
	s_mov_b32 s1, exec_lo
	v_cmp_eq_u32_e32 vcc_lo, 0, v56
	s_wait_dscnt 0x0
	s_barrier_signal -1
	v_add3_u32 v1, 0xa0, v1, v11
	s_barrier_wait -1
	v_cmpx_gt_u32_e32 64, v0
	s_cbranch_execz .LBB154_66
; %bb.56:
	s_and_saveexec_b32 s0, vcc_lo
	s_cbranch_execnz .LBB154_82
; %bb.57:
	s_or_b32 exec_lo, exec_lo, s0
	s_and_saveexec_b32 s0, vcc_lo
	s_cbranch_execnz .LBB154_83
.LBB154_58:
	s_or_b32 exec_lo, exec_lo, s0
	s_and_saveexec_b32 s0, vcc_lo
	s_cbranch_execnz .LBB154_84
.LBB154_59:
	s_or_b32 exec_lo, exec_lo, s0
	s_and_saveexec_b32 s0, vcc_lo
	s_cbranch_execnz .LBB154_85
.LBB154_60:
	s_or_b32 exec_lo, exec_lo, s0
	s_and_saveexec_b32 s0, vcc_lo
	s_cbranch_execnz .LBB154_86
.LBB154_61:
	s_or_b32 exec_lo, exec_lo, s0
	s_and_saveexec_b32 s0, vcc_lo
	s_cbranch_execnz .LBB154_87
.LBB154_62:
	s_or_b32 exec_lo, exec_lo, s0
	s_and_saveexec_b32 s0, vcc_lo
	s_cbranch_execnz .LBB154_88
.LBB154_63:
	s_or_b32 exec_lo, exec_lo, s0
	s_and_saveexec_b32 s0, vcc_lo
	s_cbranch_execz .LBB154_65
.LBB154_64:
	ds_load_b32 v11, v1 offset:224
	s_wait_dscnt 0x0
	v_add_f32_e32 v9, v9, v11
.LBB154_65:
	s_or_b32 exec_lo, exec_lo, s0
.LBB154_66:
	s_delay_alu instid0(SALU_CYCLE_1) | instskip(SKIP_4) | instid1(VALU_DEP_1)
	s_or_b32 exec_lo, exec_lo, s1
	v_and_b32_e32 v11, 0x3e3, v0
	s_mov_b32 s1, exec_lo
	s_barrier_signal -1
	s_barrier_wait -1
	v_cmpx_eq_u32_e32 32, v11
	s_cbranch_execz .LBB154_68
; %bb.67:
	ds_store_2addr_b32 v10, v6, v7 offset1:8
	ds_store_2addr_b32 v10, v4, v5 offset0:16 offset1:24
	ds_store_2addr_b32 v10, v2, v3 offset0:32 offset1:40
	;; [unrolled: 1-line block ×3, first 2 shown]
.LBB154_68:
	s_or_b32 exec_lo, exec_lo, s1
	s_delay_alu instid0(SALU_CYCLE_1)
	s_mov_b32 s1, exec_lo
	s_wait_dscnt 0x0
	s_barrier_signal -1
	s_barrier_wait -1
	v_cmpx_gt_u32_e32 32, v0
	s_cbranch_execz .LBB154_79
; %bb.69:
	s_and_saveexec_b32 s0, vcc_lo
	s_cbranch_execnz .LBB154_89
; %bb.70:
	s_or_b32 exec_lo, exec_lo, s0
	s_and_saveexec_b32 s0, vcc_lo
	s_cbranch_execnz .LBB154_90
.LBB154_71:
	s_or_b32 exec_lo, exec_lo, s0
	s_and_saveexec_b32 s0, vcc_lo
	s_cbranch_execnz .LBB154_91
.LBB154_72:
	s_or_b32 exec_lo, exec_lo, s0
	s_and_saveexec_b32 s0, vcc_lo
	s_cbranch_execnz .LBB154_92
.LBB154_73:
	s_or_b32 exec_lo, exec_lo, s0
	s_and_saveexec_b32 s0, vcc_lo
	s_cbranch_execnz .LBB154_93
.LBB154_74:
	s_or_b32 exec_lo, exec_lo, s0
	s_and_saveexec_b32 s0, vcc_lo
	s_cbranch_execnz .LBB154_94
.LBB154_75:
	s_or_b32 exec_lo, exec_lo, s0
	s_and_saveexec_b32 s0, vcc_lo
	s_cbranch_execnz .LBB154_95
.LBB154_76:
	s_or_b32 exec_lo, exec_lo, s0
	s_and_saveexec_b32 s0, vcc_lo
	s_cbranch_execz .LBB154_78
.LBB154_77:
	ds_load_b32 v1, v1 offset:224
	s_wait_dscnt 0x0
	v_add_f32_e32 v9, v9, v1
.LBB154_78:
	s_or_b32 exec_lo, exec_lo, s0
.LBB154_79:
	s_delay_alu instid0(SALU_CYCLE_1)
	s_or_b32 exec_lo, exec_lo, s1
	s_mov_b32 s1, 0
	s_barrier_signal -1
	s_barrier_wait -1
	s_mov_b32 s0, exec_lo
	v_cmpx_eq_u32_e32 0, v11
	s_cbranch_execz .LBB154_81
; %bb.80:
	s_mul_i32 s0, s20, s4
	s_mul_i32 s2, s4, s8
	;; [unrolled: 1-line block ×3, first 2 shown]
	s_lshr_b32 s8, ttmp7, 16
	s_lshl_b32 s4, s0, 6
	s_bfe_u32 s0, ttmp6, 0x40014
	s_ashr_i32 s5, s4, 31
	s_add_co_i32 s0, s0, 1
	s_ashr_i32 s3, s2, 31
	s_mul_i32 s0, s8, s0
	s_bfe_u32 s9, ttmp6, 0x40008
	s_lshl_b64 s[4:5], s[4:5], 1
	s_lshl_b64 s[2:3], s[2:3], 1
	s_add_co_i32 s9, s9, s0
	s_cmp_eq_u32 s18, 0
	s_wait_kmcnt 0x0
	s_add_nc_u64 s[4:5], s[6:7], s[4:5]
	s_cselect_b32 s0, s8, s9
	s_add_nc_u64 s[2:3], s[4:5], s[2:3]
	s_lshl_b32 s0, s0, 7
	v_lshrrev_b32_e32 v0, 1, v0
	s_add_nc_u64 s[0:1], s[2:3], s[0:1]
	s_delay_alu instid0(SALU_CYCLE_1)
	v_cvt_pk_bf16_f32 v1, v6, s0
	v_cvt_pk_bf16_f32 v6, v7, s0
	;; [unrolled: 1-line block ×8, first 2 shown]
	s_clause 0x7
	global_store_b16 v0, v1, s[0:1]
	global_store_b16 v0, v6, s[0:1] offset:16
	global_store_b16 v0, v4, s[0:1] offset:32
	;; [unrolled: 1-line block ×7, first 2 shown]
.LBB154_81:
	s_sendmsg sendmsg(MSG_DEALLOC_VGPRS)
	s_endpgm
.LBB154_82:
	ds_load_b32 v11, v1
	s_wait_dscnt 0x0
	v_add_f32_e32 v6, v6, v11
	s_or_b32 exec_lo, exec_lo, s0
	s_and_saveexec_b32 s0, vcc_lo
	s_cbranch_execz .LBB154_58
.LBB154_83:
	ds_load_b32 v11, v1 offset:32
	s_wait_dscnt 0x0
	v_add_f32_e32 v7, v7, v11
	s_or_b32 exec_lo, exec_lo, s0
	s_and_saveexec_b32 s0, vcc_lo
	s_cbranch_execz .LBB154_59
.LBB154_84:
	ds_load_b32 v11, v1 offset:64
	s_wait_dscnt 0x0
	v_add_f32_e32 v4, v4, v11
	s_or_b32 exec_lo, exec_lo, s0
	s_and_saveexec_b32 s0, vcc_lo
	s_cbranch_execz .LBB154_60
.LBB154_85:
	ds_load_b32 v11, v1 offset:96
	s_wait_dscnt 0x0
	v_add_f32_e32 v5, v5, v11
	s_or_b32 exec_lo, exec_lo, s0
	s_and_saveexec_b32 s0, vcc_lo
	s_cbranch_execz .LBB154_61
.LBB154_86:
	ds_load_b32 v11, v1 offset:128
	s_wait_dscnt 0x0
	v_add_f32_e32 v2, v2, v11
	s_or_b32 exec_lo, exec_lo, s0
	s_and_saveexec_b32 s0, vcc_lo
	s_cbranch_execz .LBB154_62
.LBB154_87:
	ds_load_b32 v11, v1 offset:160
	s_wait_dscnt 0x0
	v_add_f32_e32 v3, v3, v11
	s_or_b32 exec_lo, exec_lo, s0
	s_and_saveexec_b32 s0, vcc_lo
	s_cbranch_execz .LBB154_63
.LBB154_88:
	ds_load_b32 v11, v1 offset:192
	s_wait_dscnt 0x0
	v_add_f32_e32 v8, v8, v11
	s_or_b32 exec_lo, exec_lo, s0
	s_and_saveexec_b32 s0, vcc_lo
	s_cbranch_execnz .LBB154_64
	s_branch .LBB154_65
.LBB154_89:
	ds_load_b32 v10, v1
	s_wait_dscnt 0x0
	v_add_f32_e32 v6, v6, v10
	s_or_b32 exec_lo, exec_lo, s0
	s_and_saveexec_b32 s0, vcc_lo
	s_cbranch_execz .LBB154_71
.LBB154_90:
	ds_load_b32 v10, v1 offset:32
	s_wait_dscnt 0x0
	v_add_f32_e32 v7, v7, v10
	s_or_b32 exec_lo, exec_lo, s0
	s_and_saveexec_b32 s0, vcc_lo
	s_cbranch_execz .LBB154_72
.LBB154_91:
	ds_load_b32 v10, v1 offset:64
	s_wait_dscnt 0x0
	v_add_f32_e32 v4, v4, v10
	s_or_b32 exec_lo, exec_lo, s0
	s_and_saveexec_b32 s0, vcc_lo
	s_cbranch_execz .LBB154_73
.LBB154_92:
	ds_load_b32 v10, v1 offset:96
	s_wait_dscnt 0x0
	v_add_f32_e32 v5, v5, v10
	s_or_b32 exec_lo, exec_lo, s0
	s_and_saveexec_b32 s0, vcc_lo
	s_cbranch_execz .LBB154_74
.LBB154_93:
	ds_load_b32 v10, v1 offset:128
	s_wait_dscnt 0x0
	v_add_f32_e32 v2, v2, v10
	s_or_b32 exec_lo, exec_lo, s0
	s_and_saveexec_b32 s0, vcc_lo
	s_cbranch_execz .LBB154_75
.LBB154_94:
	ds_load_b32 v10, v1 offset:160
	s_wait_dscnt 0x0
	v_add_f32_e32 v3, v3, v10
	s_or_b32 exec_lo, exec_lo, s0
	s_and_saveexec_b32 s0, vcc_lo
	s_cbranch_execz .LBB154_76
.LBB154_95:
	ds_load_b32 v10, v1 offset:192
	s_wait_dscnt 0x0
	v_add_f32_e32 v8, v8, v10
	s_or_b32 exec_lo, exec_lo, s0
	s_and_saveexec_b32 s0, vcc_lo
	s_cbranch_execnz .LBB154_77
	s_branch .LBB154_78
	.section	.rodata,"a",@progbits
	.p2align	6, 0x0
	.amdhsa_kernel _ZN4vllm25paged_attention_v1_kernelI14__hip_bfloat16S1_Li64ELi32ELi128ELNS_18Fp8KVCacheDataTypeE0ELb0EEEvPT_PKS3_PKT0_S9_ifPKiSB_iPKfiiiSD_SD_iiiii
		.amdhsa_group_segment_fixed_size 160
		.amdhsa_private_segment_fixed_size 0
		.amdhsa_kernarg_size 384
		.amdhsa_user_sgpr_count 2
		.amdhsa_user_sgpr_dispatch_ptr 0
		.amdhsa_user_sgpr_queue_ptr 0
		.amdhsa_user_sgpr_kernarg_segment_ptr 1
		.amdhsa_user_sgpr_dispatch_id 0
		.amdhsa_user_sgpr_kernarg_preload_length 0
		.amdhsa_user_sgpr_kernarg_preload_offset 0
		.amdhsa_user_sgpr_private_segment_size 0
		.amdhsa_wavefront_size32 1
		.amdhsa_uses_dynamic_stack 0
		.amdhsa_enable_private_segment 0
		.amdhsa_system_sgpr_workgroup_id_x 1
		.amdhsa_system_sgpr_workgroup_id_y 1
		.amdhsa_system_sgpr_workgroup_id_z 1
		.amdhsa_system_sgpr_workgroup_info 0
		.amdhsa_system_vgpr_workitem_id 0
		.amdhsa_next_free_vgpr 116
		.amdhsa_next_free_sgpr 28
		.amdhsa_named_barrier_count 0
		.amdhsa_reserve_vcc 1
		.amdhsa_float_round_mode_32 0
		.amdhsa_float_round_mode_16_64 0
		.amdhsa_float_denorm_mode_32 3
		.amdhsa_float_denorm_mode_16_64 3
		.amdhsa_fp16_overflow 0
		.amdhsa_memory_ordered 1
		.amdhsa_forward_progress 1
		.amdhsa_inst_pref_size 70
		.amdhsa_round_robin_scheduling 0
		.amdhsa_exception_fp_ieee_invalid_op 0
		.amdhsa_exception_fp_denorm_src 0
		.amdhsa_exception_fp_ieee_div_zero 0
		.amdhsa_exception_fp_ieee_overflow 0
		.amdhsa_exception_fp_ieee_underflow 0
		.amdhsa_exception_fp_ieee_inexact 0
		.amdhsa_exception_int_div_zero 0
	.end_amdhsa_kernel
	.section	.text._ZN4vllm25paged_attention_v1_kernelI14__hip_bfloat16S1_Li64ELi32ELi128ELNS_18Fp8KVCacheDataTypeE0ELb0EEEvPT_PKS3_PKT0_S9_ifPKiSB_iPKfiiiSD_SD_iiiii,"axG",@progbits,_ZN4vllm25paged_attention_v1_kernelI14__hip_bfloat16S1_Li64ELi32ELi128ELNS_18Fp8KVCacheDataTypeE0ELb0EEEvPT_PKS3_PKT0_S9_ifPKiSB_iPKfiiiSD_SD_iiiii,comdat
.Lfunc_end154:
	.size	_ZN4vllm25paged_attention_v1_kernelI14__hip_bfloat16S1_Li64ELi32ELi128ELNS_18Fp8KVCacheDataTypeE0ELb0EEEvPT_PKS3_PKT0_S9_ifPKiSB_iPKfiiiSD_SD_iiiii, .Lfunc_end154-_ZN4vllm25paged_attention_v1_kernelI14__hip_bfloat16S1_Li64ELi32ELi128ELNS_18Fp8KVCacheDataTypeE0ELb0EEEvPT_PKS3_PKT0_S9_ifPKiSB_iPKfiiiSD_SD_iiiii
                                        ; -- End function
	.set _ZN4vllm25paged_attention_v1_kernelI14__hip_bfloat16S1_Li64ELi32ELi128ELNS_18Fp8KVCacheDataTypeE0ELb0EEEvPT_PKS3_PKT0_S9_ifPKiSB_iPKfiiiSD_SD_iiiii.num_vgpr, 116
	.set _ZN4vllm25paged_attention_v1_kernelI14__hip_bfloat16S1_Li64ELi32ELi128ELNS_18Fp8KVCacheDataTypeE0ELb0EEEvPT_PKS3_PKT0_S9_ifPKiSB_iPKfiiiSD_SD_iiiii.num_agpr, 0
	.set _ZN4vllm25paged_attention_v1_kernelI14__hip_bfloat16S1_Li64ELi32ELi128ELNS_18Fp8KVCacheDataTypeE0ELb0EEEvPT_PKS3_PKT0_S9_ifPKiSB_iPKfiiiSD_SD_iiiii.numbered_sgpr, 28
	.set _ZN4vllm25paged_attention_v1_kernelI14__hip_bfloat16S1_Li64ELi32ELi128ELNS_18Fp8KVCacheDataTypeE0ELb0EEEvPT_PKS3_PKT0_S9_ifPKiSB_iPKfiiiSD_SD_iiiii.num_named_barrier, 0
	.set _ZN4vllm25paged_attention_v1_kernelI14__hip_bfloat16S1_Li64ELi32ELi128ELNS_18Fp8KVCacheDataTypeE0ELb0EEEvPT_PKS3_PKT0_S9_ifPKiSB_iPKfiiiSD_SD_iiiii.private_seg_size, 0
	.set _ZN4vllm25paged_attention_v1_kernelI14__hip_bfloat16S1_Li64ELi32ELi128ELNS_18Fp8KVCacheDataTypeE0ELb0EEEvPT_PKS3_PKT0_S9_ifPKiSB_iPKfiiiSD_SD_iiiii.uses_vcc, 1
	.set _ZN4vllm25paged_attention_v1_kernelI14__hip_bfloat16S1_Li64ELi32ELi128ELNS_18Fp8KVCacheDataTypeE0ELb0EEEvPT_PKS3_PKT0_S9_ifPKiSB_iPKfiiiSD_SD_iiiii.uses_flat_scratch, 0
	.set _ZN4vllm25paged_attention_v1_kernelI14__hip_bfloat16S1_Li64ELi32ELi128ELNS_18Fp8KVCacheDataTypeE0ELb0EEEvPT_PKS3_PKT0_S9_ifPKiSB_iPKfiiiSD_SD_iiiii.has_dyn_sized_stack, 0
	.set _ZN4vllm25paged_attention_v1_kernelI14__hip_bfloat16S1_Li64ELi32ELi128ELNS_18Fp8KVCacheDataTypeE0ELb0EEEvPT_PKS3_PKT0_S9_ifPKiSB_iPKfiiiSD_SD_iiiii.has_recursion, 0
	.set _ZN4vllm25paged_attention_v1_kernelI14__hip_bfloat16S1_Li64ELi32ELi128ELNS_18Fp8KVCacheDataTypeE0ELb0EEEvPT_PKS3_PKT0_S9_ifPKiSB_iPKfiiiSD_SD_iiiii.has_indirect_call, 0
	.section	.AMDGPU.csdata,"",@progbits
; Kernel info:
; codeLenInByte = 8904
; TotalNumSgprs: 30
; NumVgprs: 116
; ScratchSize: 0
; MemoryBound: 0
; FloatMode: 240
; IeeeMode: 1
; LDSByteSize: 160 bytes/workgroup (compile time only)
; SGPRBlocks: 0
; VGPRBlocks: 7
; NumSGPRsForWavesPerEU: 30
; NumVGPRsForWavesPerEU: 116
; NamedBarCnt: 0
; Occupancy: 8
; WaveLimiterHint : 1
; COMPUTE_PGM_RSRC2:SCRATCH_EN: 0
; COMPUTE_PGM_RSRC2:USER_SGPR: 2
; COMPUTE_PGM_RSRC2:TRAP_HANDLER: 0
; COMPUTE_PGM_RSRC2:TGID_X_EN: 1
; COMPUTE_PGM_RSRC2:TGID_Y_EN: 1
; COMPUTE_PGM_RSRC2:TGID_Z_EN: 1
; COMPUTE_PGM_RSRC2:TIDIG_COMP_CNT: 0
	.section	.text._ZN4vllm25paged_attention_v1_kernelI14__hip_bfloat16S1_Li80ELi32ELi128ELNS_18Fp8KVCacheDataTypeE0ELb0EEEvPT_PKS3_PKT0_S9_ifPKiSB_iPKfiiiSD_SD_iiiii,"axG",@progbits,_ZN4vllm25paged_attention_v1_kernelI14__hip_bfloat16S1_Li80ELi32ELi128ELNS_18Fp8KVCacheDataTypeE0ELb0EEEvPT_PKS3_PKT0_S9_ifPKiSB_iPKfiiiSD_SD_iiiii,comdat
	.protected	_ZN4vllm25paged_attention_v1_kernelI14__hip_bfloat16S1_Li80ELi32ELi128ELNS_18Fp8KVCacheDataTypeE0ELb0EEEvPT_PKS3_PKT0_S9_ifPKiSB_iPKfiiiSD_SD_iiiii ; -- Begin function _ZN4vllm25paged_attention_v1_kernelI14__hip_bfloat16S1_Li80ELi32ELi128ELNS_18Fp8KVCacheDataTypeE0ELb0EEEvPT_PKS3_PKT0_S9_ifPKiSB_iPKfiiiSD_SD_iiiii
	.globl	_ZN4vllm25paged_attention_v1_kernelI14__hip_bfloat16S1_Li80ELi32ELi128ELNS_18Fp8KVCacheDataTypeE0ELb0EEEvPT_PKS3_PKT0_S9_ifPKiSB_iPKfiiiSD_SD_iiiii
	.p2align	8
	.type	_ZN4vllm25paged_attention_v1_kernelI14__hip_bfloat16S1_Li80ELi32ELi128ELNS_18Fp8KVCacheDataTypeE0ELb0EEEvPT_PKS3_PKT0_S9_ifPKiSB_iPKfiiiSD_SD_iiiii,@function
_ZN4vllm25paged_attention_v1_kernelI14__hip_bfloat16S1_Li80ELi32ELi128ELNS_18Fp8KVCacheDataTypeE0ELb0EEEvPT_PKS3_PKT0_S9_ifPKiSB_iPKfiiiSD_SD_iiiii: ; @_ZN4vllm25paged_attention_v1_kernelI14__hip_bfloat16S1_Li80ELi32ELi128ELNS_18Fp8KVCacheDataTypeE0ELb0EEEvPT_PKS3_PKT0_S9_ifPKiSB_iPKfiiiSD_SD_iiiii
; %bb.0:
	s_load_b64 s[6:7], s[0:1], 0x20
	s_bfe_u32 s3, ttmp6, 0x4000c
	s_bfe_u32 s5, ttmp6, 0x40010
	s_and_b32 s4, ttmp7, 0xffff
	s_add_co_i32 s3, s3, 1
	s_add_co_i32 s5, s5, 1
	s_and_b32 s2, ttmp6, 15
	s_bfe_u32 s8, ttmp6, 0x40004
	s_mul_i32 s3, ttmp9, s3
	s_mul_i32 s5, s4, s5
	s_getreg_b32 s18, hwreg(HW_REG_IB_STS2, 6, 4)
	s_add_co_i32 s2, s2, s3
	s_add_co_i32 s8, s8, s5
	s_cmp_eq_u32 s18, 0
	s_clause 0x1
	s_load_b32 s19, s[0:1], 0x80
	s_load_b64 s[10:11], s[0:1], 0x30
	s_cselect_b32 s20, s4, s8
	s_cselect_b32 s8, ttmp9, s2
	s_wait_kmcnt 0x0
	s_abs_i32 s2, s6
	s_delay_alu instid0(SALU_CYCLE_1) | instskip(SKIP_1) | instid1(SALU_CYCLE_2)
	s_cvt_f32_u32 s3, s2
	s_sub_co_i32 s4, 0, s2
	v_rcp_iflag_f32_e32 v1, s3
	s_abs_i32 s5, s19
	v_nop
	s_delay_alu instid0(TRANS32_DEP_1) | instskip(SKIP_1) | instid1(SALU_CYCLE_3)
	v_readfirstlane_b32 s3, v1
	s_mul_f32 s3, s3, 0x4f7ffffe
	s_cvt_u32_f32 s3, s3
	s_delay_alu instid0(SALU_CYCLE_3) | instskip(NEXT) | instid1(SALU_CYCLE_1)
	s_mul_i32 s4, s4, s3
	s_mul_hi_u32 s4, s3, s4
	s_delay_alu instid0(SALU_CYCLE_1) | instskip(SKIP_4) | instid1(SALU_CYCLE_1)
	s_add_co_i32 s3, s3, s4
	s_xor_b32 s4, s19, s6
	s_mul_hi_u32 s3, s5, s3
	s_ashr_i32 s4, s4, 31
	s_mul_i32 s6, s3, s2
	s_sub_co_i32 s5, s5, s6
	s_add_co_i32 s6, s3, 1
	s_sub_co_i32 s9, s5, s2
	s_cmp_ge_u32 s5, s2
	s_cselect_b32 s3, s6, s3
	s_cselect_b32 s5, s9, s5
	s_add_co_i32 s6, s3, 1
	s_cmp_ge_u32 s5, s2
	s_cselect_b32 s2, s6, s3
	s_mov_b32 s3, 0
	s_xor_b32 s2, s2, s4
	s_mov_b32 s13, s3
	s_sub_co_i32 s15, s2, s4
	s_load_b64 s[4:5], s[0:1], 0x40
	s_abs_i32 s14, s15
	s_mov_b32 s22, s3
	s_cvt_f32_u32 s2, s14
	s_delay_alu instid0(SALU_CYCLE_3) | instskip(SKIP_1) | instid1(TRANS32_DEP_1)
	v_rcp_iflag_f32_e32 v1, s2
	v_nop
	v_readfirstlane_b32 s2, v1
	s_mul_f32 s2, s2, 0x4f7ffffe
	s_delay_alu instid0(SALU_CYCLE_3) | instskip(SKIP_1) | instid1(SALU_CYCLE_2)
	s_cvt_u32_f32 s6, s2
	s_sub_co_i32 s2, 0, s14
	s_mul_i32 s2, s2, s6
	s_delay_alu instid0(SALU_CYCLE_1)
	s_mul_hi_u32 s9, s6, s2
	s_abs_i32 s2, s8
	s_add_co_i32 s12, s6, s9
	s_wait_kmcnt 0x0
	s_cmp_eq_u64 s[4:5], 0
	s_cbranch_scc1 .LBB155_2
; %bb.1:
	s_ashr_i32 s9, s8, 31
	s_delay_alu instid0(SALU_CYCLE_1) | instskip(NEXT) | instid1(SALU_CYCLE_1)
	s_lshl_b64 s[16:17], s[8:9], 2
	s_add_nc_u64 s[4:5], s[4:5], s[16:17]
	s_load_b32 s22, s[4:5], 0x0
.LBB155_2:
	s_load_b32 s21, s[10:11], s20 offset:0x0 scale_offset
	s_wait_xcnt 0x0
	s_load_b96 s[4:6], s[0:1], 0x48
	v_lshlrev_b32_e32 v24, 4, v0
	s_ashr_i32 s10, s8, 31
	s_ashr_i32 s11, s15, 31
	s_mul_u64 s[12:13], s[2:3], s[12:13]
	s_mulk_i32 s8, 0x50
	s_mov_b32 s3, exec_lo
	v_cmpx_gt_u32_e32 10, v0
	s_cbranch_execz .LBB155_4
; %bb.3:
	s_load_b64 s[16:17], s[0:1], 0x8
	s_wait_kmcnt 0x0
	s_mul_i32 s24, s4, s20
	s_ashr_i32 s9, s8, 31
	s_ashr_i32 s25, s24, 31
	s_delay_alu instid0(SALU_CYCLE_1) | instskip(NEXT) | instid1(SALU_CYCLE_1)
	s_lshl_b64 s[24:25], s[24:25], 1
	s_add_nc_u64 s[16:17], s[16:17], s[24:25]
	s_lshl_b64 s[24:25], s[8:9], 1
	s_delay_alu instid0(SALU_CYCLE_1)
	s_add_nc_u64 s[16:17], s[16:17], s[24:25]
	global_load_b128 v[2:5], v0, s[16:17] scale_offset
	s_wait_loadcnt 0x0
	ds_store_b128 v24, v[2:5]
.LBB155_4:
	s_or_b32 exec_lo, exec_lo, s3
	s_wait_kmcnt 0x0
	s_add_co_i32 s3, s21, 31
	s_load_b32 s12, s[0:1], 0x38
	s_ashr_i32 s4, s3, 31
	s_mul_i32 s9, s13, s14
	s_lshr_b32 s4, s4, 27
	s_xor_b32 s15, s10, s11
	s_add_co_i32 s3, s3, s4
	s_clause 0x1
	s_load_b64 s[10:11], s[0:1], 0x28
	s_load_b32 s4, s[0:1], 0x88
	s_sub_co_i32 s2, s2, s9
	s_ashr_i32 s9, s3, 5
	s_add_co_i32 s3, s13, 1
	s_sub_co_i32 s16, s2, s14
	s_cmp_ge_u32 s2, s14
	v_dual_lshrrev_b32 v126, 5, v0 :: v_dual_bitop2_b32 v127, 31, v0 bitop3:0x40
	s_cselect_b32 s3, s3, s13
	s_cselect_b32 s2, s16, s2
	s_add_co_i32 s13, s3, 1
	s_cmp_ge_u32 s2, s14
	v_dual_mov_b32 v1, 0xff7fffff :: v_dual_lshrrev_b32 v28, 3, v0
	s_cselect_b32 s2, s13, s3
	v_lshlrev_b32_e32 v29, 2, v127
	s_xor_b32 s2, s2, s15
	s_wait_kmcnt 0x0
	s_mul_i32 s12, s12, s20
	s_sub_co_i32 s3, s2, s15
	v_cmp_gt_i32_e64 s2, s9, v126
	s_ashr_i32 s13, s12, 31
	s_mul_i32 s14, s3, s6
	s_wait_dscnt 0x0
	s_barrier_signal -1
	s_barrier_wait -1
	s_and_saveexec_b32 s6, s2
	s_cbranch_execz .LBB155_8
; %bb.5:
	v_mov_b32_e32 v27, 0
	s_load_b64 s[24:25], s[0:1], 0x10
	s_ashr_i32 s15, s14, 31
	s_ashr_i32 s17, s5, 31
	s_lshl_b64 s[26:27], s[14:15], 1
	ds_load_b128 v[22:25], v27
	ds_load_b128 v[14:17], v27 offset:16
	ds_load_b128 v[10:13], v27 offset:32
	;; [unrolled: 1-line block ×5, first 2 shown]
	s_cmp_neq_f32 s22, 0
	v_lshl_or_b32 v1, v126, 7, v29
	v_lshl_or_b32 v43, v126, 5, v127
	v_mov_b32_e32 v44, v126
	s_cselect_b32 vcc_lo, -1, 0
	s_mov_b32 s16, s5
	v_add_nc_u32_e32 v42, 0xc0, v1
	v_mov_b32_e32 v1, 0xff7fffff
	s_mov_b32 s15, 0
	s_sub_co_i32 s23, 1, s21
	scratch_store_b32 off, v29, off offset:32 ; 4-byte Folded Spill
	s_wait_dscnt 0x5
	v_and_b32_e32 v31, 0xffff0000, v22
	v_dual_lshlrev_b32 v30, 16, v22 :: v_dual_lshlrev_b32 v54, 16, v23
	v_and_b32_e32 v55, 0xffff0000, v23
	s_wait_dscnt 0x1
	v_dual_lshlrev_b32 v50, 16, v18 :: v_dual_lshlrev_b32 v60, 16, v7
	scratch_store_b64 off, v[30:31], off    ; 8-byte Folded Spill
	s_wait_xcnt 0x0
	v_and_b32_e32 v31, 0xffff0000, v14
	v_lshlrev_b32_e32 v30, 16, v14
	s_wait_dscnt 0x0
	v_and_b32_e32 v53, 0xffff0000, v2
	v_dual_lshlrev_b32 v52, 16, v2 :: v_dual_lshlrev_b32 v62, 16, v19
	v_lshlrev_b32_e32 v56, 16, v15
	scratch_store_b64 off, v[30:31], off offset:8 ; 8-byte Folded Spill
	s_wait_xcnt 0x0
	v_and_b32_e32 v31, 0xffff0000, v10
	v_lshlrev_b32_e32 v30, 16, v10
	v_and_b32_e32 v59, 0xffff0000, v11
	v_lshlrev_b32_e32 v58, 16, v11
	v_and_b32_e32 v61, 0xffff0000, v7
	v_and_b32_e32 v65, 0xffff0000, v3
	scratch_store_b64 off, v[30:31], off offset:16 ; 8-byte Folded Spill
	s_wait_xcnt 0x0
	v_and_b32_e32 v31, 0xffff0000, v6
	v_dual_lshlrev_b32 v30, 16, v6 :: v_dual_lshlrev_b32 v64, 16, v3
	v_lshlrev_b32_e32 v66, 16, v24
	v_and_b32_e32 v67, 0xffff0000, v24
	v_dual_lshlrev_b32 v68, 16, v16 :: v_dual_lshlrev_b32 v70, 16, v25
	v_and_b32_e32 v71, 0xffff0000, v25
	v_and_b32_e32 v73, 0xffff0000, v12
	ds_load_b128 v[22:25], v27 offset:96
	v_dual_lshlrev_b32 v72, 16, v12 :: v_dual_lshlrev_b32 v74, 16, v17
	v_and_b32_e32 v77, 0xffff0000, v8
	v_dual_lshlrev_b32 v76, 16, v8 :: v_dual_lshlrev_b32 v78, 16, v13
	v_and_b32_e32 v79, 0xffff0000, v13
	ds_load_b128 v[10:13], v27 offset:112
	v_dual_lshlrev_b32 v80, 16, v20 :: v_dual_lshlrev_b32 v82, 16, v9
	v_and_b32_e32 v83, 0xffff0000, v9
	v_and_b32_e32 v85, 0xffff0000, v4
	v_dual_lshlrev_b32 v84, 16, v4 :: v_dual_lshlrev_b32 v86, 16, v21
	ds_load_b128 v[6:9], v27 offset:128
	v_and_b32_e32 v89, 0xffff0000, v5
	v_lshlrev_b32_e32 v88, 16, v5
	ds_load_b128 v[2:5], v27 offset:144
	v_lshlrev_b32_e32 v26, 4, v127
	s_wait_kmcnt 0x0
	s_add_nc_u64 s[24:25], s[24:25], s[26:27]
	v_and_b32_e32 v51, 0xffff0000, v18
	v_and_b32_e32 v57, 0xffff0000, v15
	;; [unrolled: 1-line block ×7, first 2 shown]
	s_wait_dscnt 0x3
	v_and_b32_e32 v91, 0xffff0000, v22
	v_lshlrev_b32_e32 v90, 16, v22
	v_and_b32_e32 v93, 0xffff0000, v23
	v_dual_lshlrev_b32 v92, 16, v23 :: v_dual_lshlrev_b32 v94, 16, v24
	v_and_b32_e32 v95, 0xffff0000, v24
	v_and_b32_e32 v97, 0xffff0000, v25
	s_wait_dscnt 0x2
	v_dual_lshlrev_b32 v96, 16, v25 :: v_dual_lshlrev_b32 v98, 16, v10
	v_and_b32_e32 v99, 0xffff0000, v10
	s_wait_dscnt 0x0
	v_lshlrev_b32_e32 v120, 16, v5
	v_add_nc_u64_e32 v[122:123], s[24:25], v[26:27]
	v_and_b32_e32 v26, 0x7c, v28
	s_lshl_b64 s[24:25], s[12:13], 2
	v_and_b32_e32 v101, 0xffff0000, v11
	s_add_nc_u64 s[24:25], s[10:11], s[24:25]
	v_dual_lshlrev_b32 v100, 16, v11 :: v_dual_lshlrev_b32 v102, 16, v12
	v_add_nc_u64_e32 v[124:125], s[24:25], v[26:27]
	v_and_b32_e32 v103, 0xffff0000, v12
	v_and_b32_e32 v105, 0xffff0000, v13
	v_dual_lshlrev_b32 v104, 16, v13 :: v_dual_lshlrev_b32 v106, 16, v6
	v_and_b32_e32 v107, 0xffff0000, v6
	v_and_b32_e32 v109, 0xffff0000, v7
	v_dual_lshlrev_b32 v108, 16, v7 :: v_dual_lshlrev_b32 v110, 16, v8
	;; [unrolled: 3-line block ×4, first 2 shown]
	v_and_b32_e32 v119, 0xffff0000, v4
	v_and_b32_e32 v121, 0xffff0000, v5
	scratch_store_b64 off, v[30:31], off offset:24 ; 8-byte Folded Spill
.LBB155_6:                              ; =>This Inner Loop Header: Depth=1
	global_load_b32 v2, v[124:125], off
	v_cmp_gt_i32_e64 s3, s21, v43
	s_wait_xcnt 0x0
	v_add_nc_u64_e32 v[124:125], 16, v[124:125]
	v_add_nc_u32_e32 v4, s23, v43
	v_add_nc_u32_e32 v43, 0x80, v43
	;; [unrolled: 1-line block ×3, first 2 shown]
	s_delay_alu instid0(VALU_DEP_3) | instskip(NEXT) | instid1(VALU_DEP_1)
	v_cvt_f32_i32_e32 v4, v4
	v_mul_f32_e32 v4, s22, v4
	s_wait_loadcnt 0x0
	s_delay_alu instid0(VALU_DEP_1) | instskip(NEXT) | instid1(VALU_DEP_1)
	v_dual_cndmask_b32 v45, 0, v4, vcc_lo :: v_dual_ashrrev_i32 v3, 31, v2
	v_mul_u64_e32 v[2:3], s[16:17], v[2:3]
	s_delay_alu instid0(VALU_DEP_1)
	v_lshl_add_u64 v[2:3], v[2:3], 1, v[122:123]
	s_clause 0x9
	global_load_b128 v[38:41], v[2:3], off
	global_load_b128 v[34:37], v[2:3], off offset:512
	global_load_b128 v[30:33], v[2:3], off offset:1024
	;; [unrolled: 1-line block ×9, first 2 shown]
	scratch_load_b64 v[48:49], off, off offset:8 ; 8-byte Folded Reload
	s_wait_loadcnt 0xa
	v_and_b32_e32 v127, 0xffff0000, v38
	s_wait_loadcnt 0x9
	v_and_b32_e32 v47, 0xffff0000, v34
	v_lshlrev_b32_e32 v46, 16, v34
	v_dual_lshlrev_b32 v126, 16, v38 :: v_dual_lshlrev_b32 v38, 16, v35
	s_wait_loadcnt 0x0
	s_delay_alu instid0(VALU_DEP_2)
	v_pk_mul_f32 v[46:47], v[48:49], v[46:47]
	scratch_load_b64 v[48:49], off, off     ; 8-byte Folded Reload
	s_wait_loadcnt 0x0
	v_pk_fma_f32 v[46:47], v[48:49], v[126:127], v[46:47]
	scratch_load_b64 v[48:49], off, off offset:16 ; 8-byte Folded Reload
	v_and_b32_e32 v127, 0xffff0000, v30
	v_lshlrev_b32_e32 v126, 16, v30
	s_wait_loadcnt 0x0
	s_delay_alu instid0(VALU_DEP_1) | instskip(SKIP_4) | instid1(VALU_DEP_1)
	v_pk_fma_f32 v[46:47], v[48:49], v[126:127], v[46:47]
	scratch_load_b64 v[48:49], off, off offset:24 ; 8-byte Folded Reload
	v_and_b32_e32 v127, 0xffff0000, v26
	v_lshlrev_b32_e32 v126, 16, v26
	s_wait_loadcnt 0x0
	v_pk_fma_f32 v[46:47], v[48:49], v[126:127], v[46:47]
	v_and_b32_e32 v127, 0xffff0000, v22
	v_lshlrev_b32_e32 v126, 16, v22
	s_delay_alu instid0(VALU_DEP_1) | instskip(SKIP_2) | instid1(VALU_DEP_1)
	v_pk_fma_f32 v[46:47], v[50:51], v[126:127], v[46:47]
	v_and_b32_e32 v127, 0xffff0000, v18
	v_lshlrev_b32_e32 v126, 16, v18
	v_pk_fma_f32 v[46:47], v[52:53], v[126:127], v[46:47]
	v_and_b32_e32 v127, 0xffff0000, v14
	v_lshlrev_b32_e32 v126, 16, v14
	s_delay_alu instid0(VALU_DEP_1) | instskip(SKIP_2) | instid1(VALU_DEP_1)
	v_pk_fma_f32 v[46:47], v[90:91], v[126:127], v[46:47]
	v_and_b32_e32 v127, 0xffff0000, v10
	v_lshlrev_b32_e32 v126, 16, v10
	;; [unrolled: 7-line block ×3, first 2 shown]
	v_pk_fma_f32 v[126:127], v[114:115], v[126:127], v[46:47]
	v_and_b32_e32 v47, 0xffff0000, v39
	v_lshlrev_b32_e32 v46, 16, v39
	v_and_b32_e32 v39, 0xffff0000, v35
	s_delay_alu instid0(VALU_DEP_1) | instskip(SKIP_2) | instid1(VALU_DEP_3)
	v_pk_mul_f32 v[34:35], v[56:57], v[38:39]
	v_and_b32_e32 v39, 0xffff0000, v31
	v_lshlrev_b32_e32 v38, 16, v31
	v_pk_fma_f32 v[34:35], v[54:55], v[46:47], v[34:35]
	s_delay_alu instid0(VALU_DEP_1) | instskip(SKIP_2) | instid1(VALU_DEP_1)
	v_pk_fma_f32 v[30:31], v[58:59], v[38:39], v[34:35]
	v_and_b32_e32 v35, 0xffff0000, v27
	v_lshlrev_b32_e32 v34, 16, v27
	v_pk_fma_f32 v[26:27], v[60:61], v[34:35], v[30:31]
	v_and_b32_e32 v31, 0xffff0000, v23
	v_lshlrev_b32_e32 v30, 16, v23
	s_delay_alu instid0(VALU_DEP_1) | instskip(SKIP_2) | instid1(VALU_DEP_1)
	v_pk_fma_f32 v[22:23], v[62:63], v[30:31], v[26:27]
	v_and_b32_e32 v27, 0xffff0000, v19
	v_lshlrev_b32_e32 v26, 16, v19
	v_pk_fma_f32 v[18:19], v[64:65], v[26:27], v[22:23]
	v_and_b32_e32 v23, 0xffff0000, v15
	v_lshlrev_b32_e32 v22, 16, v15
	;; [unrolled: 7-line block ×3, first 2 shown]
	s_delay_alu instid0(VALU_DEP_1) | instskip(SKIP_4) | instid1(VALU_DEP_2)
	v_pk_fma_f32 v[6:7], v[108:109], v[14:15], v[10:11]
	v_and_b32_e32 v11, 0xffff0000, v3
	v_dual_lshlrev_b32 v10, 16, v3 :: v_dual_lshlrev_b32 v14, 16, v37
	v_and_b32_e32 v15, 0xffff0000, v37
	s_wait_xcnt 0x4
	v_pk_fma_f32 v[2:3], v[116:117], v[10:11], v[6:7]
	v_and_b32_e32 v11, 0xffff0000, v36
	v_lshlrev_b32_e32 v10, 16, v36
	v_and_b32_e32 v7, 0xffff0000, v40
	v_lshlrev_b32_e32 v6, 16, v40
	v_pk_mul_f32 v[14:15], v[74:75], v[14:15]
	s_delay_alu instid0(VALU_DEP_4) | instskip(NEXT) | instid1(VALU_DEP_1)
	v_pk_mul_f32 v[10:11], v[68:69], v[10:11]
	v_pk_fma_f32 v[6:7], v[66:67], v[6:7], v[10:11]
	v_and_b32_e32 v11, 0xffff0000, v32
	v_lshlrev_b32_e32 v10, 16, v32
	s_delay_alu instid0(VALU_DEP_1) | instskip(SKIP_2) | instid1(VALU_DEP_1)
	v_pk_fma_f32 v[6:7], v[72:73], v[10:11], v[6:7]
	v_and_b32_e32 v11, 0xffff0000, v28
	v_lshlrev_b32_e32 v10, 16, v28
	v_pk_fma_f32 v[6:7], v[76:77], v[10:11], v[6:7]
	v_and_b32_e32 v11, 0xffff0000, v24
	v_lshlrev_b32_e32 v10, 16, v24
	s_delay_alu instid0(VALU_DEP_1) | instskip(SKIP_2) | instid1(VALU_DEP_1)
	v_pk_fma_f32 v[6:7], v[80:81], v[10:11], v[6:7]
	v_and_b32_e32 v11, 0xffff0000, v20
	v_lshlrev_b32_e32 v10, 16, v20
	v_pk_fma_f32 v[6:7], v[84:85], v[10:11], v[6:7]
	v_and_b32_e32 v11, 0xffff0000, v16
	v_lshlrev_b32_e32 v10, 16, v16
	s_delay_alu instid0(VALU_DEP_1) | instskip(SKIP_2) | instid1(VALU_DEP_1)
	v_pk_fma_f32 v[6:7], v[94:95], v[10:11], v[6:7]
	v_and_b32_e32 v11, 0xffff0000, v12
	v_dual_lshlrev_b32 v10, 16, v12 :: v_dual_lshlrev_b32 v12, 16, v9
	v_pk_fma_f32 v[6:7], v[102:103], v[10:11], v[6:7]
	v_and_b32_e32 v11, 0xffff0000, v8
	v_lshlrev_b32_e32 v10, 16, v8
	s_delay_alu instid0(VALU_DEP_1) | instskip(SKIP_2) | instid1(VALU_DEP_1)
	v_pk_fma_f32 v[6:7], v[110:111], v[10:11], v[6:7]
	v_and_b32_e32 v11, 0xffff0000, v4
	v_lshlrev_b32_e32 v10, 16, v4
	v_pk_fma_f32 v[6:7], v[118:119], v[10:11], v[6:7]
	v_and_b32_e32 v11, 0xffff0000, v41
	v_lshlrev_b32_e32 v10, 16, v41
	s_delay_alu instid0(VALU_DEP_1) | instskip(SKIP_2) | instid1(VALU_DEP_1)
	v_pk_fma_f32 v[10:11], v[70:71], v[10:11], v[14:15]
	v_and_b32_e32 v15, 0xffff0000, v33
	v_lshlrev_b32_e32 v14, 16, v33
	;; [unrolled: 7-line block ×4, first 2 shown]
	v_pk_fma_f32 v[10:11], v[96:97], v[14:15], v[10:11]
	v_and_b32_e32 v15, 0xffff0000, v13
	v_lshlrev_b32_e32 v14, 16, v13
	v_and_b32_e32 v13, 0xffff0000, v9
	s_delay_alu instid0(VALU_DEP_2) | instskip(NEXT) | instid1(VALU_DEP_1)
	v_pk_fma_f32 v[10:11], v[104:105], v[14:15], v[10:11]
	v_pk_fma_f32 v[8:9], v[112:113], v[12:13], v[10:11]
	v_and_b32_e32 v11, 0xffff0000, v5
	v_lshlrev_b32_e32 v10, 16, v5
	s_delay_alu instid0(VALU_DEP_1) | instskip(SKIP_1) | instid1(VALU_DEP_1)
	v_pk_fma_f32 v[4:5], v[120:121], v[10:11], v[8:9]
	v_add_f32_e32 v8, v126, v127
	v_add_f32_e32 v2, v8, v2
	s_delay_alu instid0(VALU_DEP_1) | instskip(NEXT) | instid1(VALU_DEP_1)
	v_dual_add_f32 v2, v3, v2 :: v_dual_max_num_f32 v3, v1, v1
	v_add_f32_e32 v2, v6, v2
	s_delay_alu instid0(VALU_DEP_1) | instskip(NEXT) | instid1(VALU_DEP_1)
	v_add_f32_e32 v2, v7, v2
	v_add_f32_e32 v2, v4, v2
	s_delay_alu instid0(VALU_DEP_1) | instskip(NEXT) | instid1(VALU_DEP_1)
	v_add_f32_e32 v2, v5, v2
	v_fmac_f32_e32 v45, s7, v2
	s_delay_alu instid0(VALU_DEP_1) | instskip(NEXT) | instid1(VALU_DEP_1)
	v_max_num_f32_e32 v3, v3, v45
	v_dual_cndmask_b32 v1, v1, v3, s3 :: v_dual_cndmask_b32 v2, 0, v45, s3
	v_cmp_le_i32_e64 s3, s9, v44
	ds_store_b32 v42, v2
	v_add_nc_u32_e32 v42, 0x200, v42
	s_or_b32 s15, s3, s15
	s_wait_xcnt 0x0
	s_and_not1_b32 exec_lo, exec_lo, s15
	s_cbranch_execnz .LBB155_6
; %bb.7:
	s_or_b32 exec_lo, exec_lo, s15
	scratch_load_b32 v29, off, off offset:32 ; 4-byte Folded Reload
	v_dual_lshrrev_b32 v126, 5, v0 :: v_dual_bitop2_b32 v127, 31, v0 bitop3:0x40
	v_dual_lshlrev_b32 v24, 4, v0 :: v_dual_lshrrev_b32 v28, 3, v0
.LBB155_8:
	s_wait_xcnt 0x0
	s_or_b32 exec_lo, exec_lo, s6
	v_mbcnt_lo_u32_b32 v4, -1, 0
	s_clause 0x1
	s_load_b64 s[6:7], s[0:1], 0x0
	s_load_b64 s[16:17], s[0:1], 0x18
	s_delay_alu instid0(VALU_DEP_1) | instskip(SKIP_1) | instid1(VALU_DEP_2)
	v_dual_max_num_f32 v6, v1, v1 :: v_dual_bitop2_b32 v2, 16, v4 bitop3:0x14
	v_xor_b32_e32 v5, 8, v4
	v_cmp_gt_i32_e32 vcc_lo, 32, v2
	v_cndmask_b32_e32 v2, v4, v2, vcc_lo
	s_delay_alu instid0(VALU_DEP_3) | instskip(NEXT) | instid1(VALU_DEP_2)
	v_cmp_gt_i32_e32 vcc_lo, 32, v5
	v_lshlrev_b32_e32 v2, 2, v2
	ds_bpermute_b32 v3, v2, v1
	v_cndmask_b32_e32 v1, v4, v5, vcc_lo
	s_wait_dscnt 0x0
	s_delay_alu instid0(VALU_DEP_1) | instskip(NEXT) | instid1(VALU_DEP_1)
	v_dual_lshlrev_b32 v1, 2, v1 :: v_dual_max_num_f32 v3, v3, v3
	v_dual_max_num_f32 v5, v6, v3 :: v_dual_bitop2_b32 v6, 4, v4 bitop3:0x14
	ds_bpermute_b32 v3, v1, v5
	v_cmp_gt_i32_e32 vcc_lo, 32, v6
	s_wait_dscnt 0x0
	v_dual_cndmask_b32 v6, v4, v6 :: v_dual_max_num_f32 v7, v3, v3
	s_delay_alu instid0(VALU_DEP_1) | instskip(SKIP_3) | instid1(VALU_DEP_1)
	v_dual_lshlrev_b32 v3, 2, v6 :: v_dual_max_num_f32 v5, v5, v7
	ds_bpermute_b32 v6, v3, v5
	s_wait_dscnt 0x0
	v_dual_max_num_f32 v6, v6, v6 :: v_dual_bitop2_b32 v7, 2, v4 bitop3:0x14
	v_cmp_gt_i32_e32 vcc_lo, 32, v7
	s_delay_alu instid0(VALU_DEP_2) | instskip(NEXT) | instid1(VALU_DEP_1)
	v_dual_max_num_f32 v5, v5, v6 :: v_dual_cndmask_b32 v7, v4, v7, vcc_lo
	v_dual_lshlrev_b32 v65, 2, v7 :: v_dual_bitop2_b32 v7, 1, v4 bitop3:0x14
	ds_bpermute_b32 v6, v65, v5
	v_cmp_gt_i32_e32 vcc_lo, 32, v7
	v_cndmask_b32_e32 v4, v4, v7, vcc_lo
	v_cmp_eq_u32_e32 vcc_lo, 0, v127
	s_delay_alu instid0(VALU_DEP_2) | instskip(SKIP_2) | instid1(VALU_DEP_1)
	v_dual_lshlrev_b32 v64, 2, v4 :: v_dual_lshlrev_b32 v4, 2, v126
	s_wait_dscnt 0x0
	v_max_num_f32_e32 v6, v6, v6
	v_max_num_f32_e32 v5, v5, v6
	ds_bpermute_b32 v6, v64, v5
	s_wait_xcnt 0x0
	s_and_saveexec_b32 s0, vcc_lo
	s_cbranch_execz .LBB155_10
; %bb.9:
	s_wait_dscnt 0x0
	v_dual_max_num_f32 v6, v6, v6 :: v_dual_max_num_f32 v5, v5, v5
	s_delay_alu instid0(VALU_DEP_1)
	v_max_num_f32_e32 v5, v5, v6
	ds_store_b32 v4, v5 offset:160
.LBB155_10:
	s_or_b32 exec_lo, exec_lo, s0
	v_cmp_gt_u32_e64 s0, 4, v127
	v_mov_b32_e32 v5, 0xff7fffff
	s_wait_storecnt 0x0
	s_wait_loadcnt_dscnt 0x0
	s_barrier_signal -1
	s_barrier_wait -1
	s_and_saveexec_b32 s1, s0
; %bb.11:
	ds_load_b32 v5, v29 offset:160
; %bb.12:
	s_or_b32 exec_lo, exec_lo, s1
	s_wait_dscnt 0x0
	ds_bpermute_b32 v6, v65, v5
	v_max_num_f32_e32 v5, v5, v5
	s_lshl_b32 s1, s9, 5
	s_delay_alu instid0(SALU_CYCLE_1) | instskip(NEXT) | instid1(SALU_CYCLE_1)
	s_min_i32 s15, s1, s21
	v_cmp_gt_i32_e64 s1, s15, v0
	s_wait_dscnt 0x0
	v_max_num_f32_e32 v6, v6, v6
	s_delay_alu instid0(VALU_DEP_1) | instskip(SKIP_3) | instid1(VALU_DEP_1)
	v_max_num_f32_e32 v5, v5, v6
	ds_bpermute_b32 v6, v64, v5
	s_wait_dscnt 0x0
	v_max_num_f32_e32 v6, v6, v6
	v_dual_max_num_f32 v6, v5, v6 :: v_dual_mov_b32 v5, 0
	ds_bpermute_b32 v6, v5, v6
	s_and_saveexec_b32 s22, s1
	s_cbranch_execz .LBB155_16
; %bb.13:
	v_lshl_add_u32 v7, v0, 2, 0xc0
	v_dual_mov_b32 v5, 0 :: v_dual_mov_b32 v8, v0
	s_mov_b32 s23, 0
.LBB155_14:                             ; =>This Inner Loop Header: Depth=1
	ds_load_b32 v9, v7
	v_add_nc_u32_e32 v8, 0x80, v8
	s_delay_alu instid0(VALU_DEP_1) | instskip(SKIP_3) | instid1(VALU_DEP_1)
	v_cmp_le_i32_e64 s3, s15, v8
	s_or_b32 s23, s3, s23
	s_wait_dscnt 0x0
	v_sub_f32_e32 v9, v9, v6
	v_mul_f32_e32 v9, 0x3fb8aa3b, v9
	s_delay_alu instid0(VALU_DEP_1)
	v_exp_f32_e32 v9, v9
	ds_store_b32 v7, v9
	v_nop
	v_add_f32_e32 v5, v5, v9
	v_add_nc_u32_e32 v7, 0x200, v7
	s_and_not1_b32 exec_lo, exec_lo, s23
	s_cbranch_execnz .LBB155_14
; %bb.15:
	s_or_b32 exec_lo, exec_lo, s23
.LBB155_16:
	s_delay_alu instid0(SALU_CYCLE_1)
	s_or_b32 exec_lo, exec_lo, s22
	ds_bpermute_b32 v2, v2, v5
	s_wait_dscnt 0x0
	v_add_f32_e32 v2, v5, v2
	ds_bpermute_b32 v1, v1, v2
	s_wait_dscnt 0x0
	v_add_f32_e32 v1, v2, v1
	;; [unrolled: 3-line block ×5, first 2 shown]
	s_and_saveexec_b32 s3, vcc_lo
; %bb.17:
	ds_store_b32 v4, v1 offset:176
; %bb.18:
	s_or_b32 exec_lo, exec_lo, s3
	s_wait_dscnt 0x0
	s_barrier_signal -1
	s_barrier_wait -1
	s_and_saveexec_b32 s3, s0
; %bb.19:
	ds_load_b32 v1, v29 offset:176
; %bb.20:
	s_or_b32 exec_lo, exec_lo, s3
	s_wait_dscnt 0x0
	ds_bpermute_b32 v2, v65, v1
	s_wait_dscnt 0x0
	v_dual_mov_b32 v51, 0 :: v_dual_add_f32 v1, v1, v2
	ds_bpermute_b32 v2, v64, v1
	s_wait_dscnt 0x0
	v_add_f32_e32 v1, v1, v2
	ds_bpermute_b32 v1, v51, v1
	s_and_saveexec_b32 s0, s1
	s_cbranch_execz .LBB155_33
; %bb.21:
	s_wait_dscnt 0x0
	v_add_f32_e32 v1, 0x358637bd, v1
	s_mov_b32 s3, -1
	s_mov_b32 s1, exec_lo
	s_delay_alu instid0(VALU_DEP_1) | instskip(NEXT) | instid1(VALU_DEP_1)
	v_div_scale_f32 v2, null, v1, v1, 1.0
	v_rcp_f32_e32 v4, v2
	v_nop
	s_delay_alu instid0(TRANS32_DEP_1) | instskip(NEXT) | instid1(VALU_DEP_1)
	v_fma_f32 v3, -v2, v4, 1.0
	v_fmac_f32_e32 v4, v3, v4
	v_div_scale_f32 v5, vcc_lo, 1.0, v1, 1.0
	s_delay_alu instid0(VALU_DEP_1) | instskip(NEXT) | instid1(VALU_DEP_1)
	v_mul_f32_e32 v6, v5, v4
	v_fma_f32 v3, -v2, v6, v5
	s_delay_alu instid0(VALU_DEP_1) | instskip(SKIP_1) | instid1(VALU_DEP_2)
	v_fmac_f32_e32 v6, v3, v4
	v_xad_u32 v3, v0, -1, s15
	v_fma_f32 v2, -v2, v6, v5
	s_delay_alu instid0(VALU_DEP_1) | instskip(NEXT) | instid1(VALU_DEP_1)
	v_div_fmas_f32 v2, v2, v4, v6
	v_div_fixup_f32 v2, v2, v1, 1.0
	v_mov_b32_e32 v1, v0
	v_cmpx_lt_u32_e32 0x7f, v3
	s_cbranch_execz .LBB155_30
; %bb.22:
	s_delay_alu instid0(VALU_DEP_3) | instskip(NEXT) | instid1(VALU_DEP_1)
	v_dual_lshrrev_b32 v1, 7, v3 :: v_dual_mov_b32 v3, v2
	v_dual_mov_b32 v7, 0 :: v_dual_add_nc_u32 v4, -1, v1
	s_delay_alu instid0(VALU_DEP_1) | instskip(SKIP_1) | instid1(VALU_DEP_2)
	v_lshrrev_b32_e32 v5, 1, v4
	v_cmp_lt_u32_e32 vcc_lo, 13, v4
	v_add_nc_u32_e32 v4, 1, v5
	s_and_saveexec_b32 s3, vcc_lo
	s_cbranch_execz .LBB155_26
; %bb.23:
	s_delay_alu instid0(VALU_DEP_1)
	v_and_b32_e32 v5, -8, v4
	v_lshl_add_u32 v6, v0, 2, 0xc0
	s_mov_b32 s22, 0
	s_mov_b32 s23, 0
.LBB155_24:                             ; =>This Inner Loop Header: Depth=1
	ds_load_2addr_stride64_b32 v[8:9], v6 offset1:2
	ds_load_2addr_stride64_b32 v[10:11], v6 offset0:4 offset1:6
	ds_load_2addr_stride64_b32 v[12:13], v6 offset0:8 offset1:10
	;; [unrolled: 1-line block ×7, first 2 shown]
	s_add_co_i32 s23, s23, 16
	s_delay_alu instid0(SALU_CYCLE_1) | instskip(NEXT) | instid1(VALU_DEP_1)
	v_dual_add_nc_u32 v5, -8, v5 :: v_dual_mov_b32 v7, s23
	v_cmp_eq_u32_e32 vcc_lo, 0, v5
	s_or_b32 s22, vcc_lo, s22
	s_wait_dscnt 0x7
	v_pk_mul_f32 v[8:9], v[2:3], v[8:9]
	s_wait_dscnt 0x6
	v_pk_mul_f32 v[10:11], v[2:3], v[10:11]
	s_wait_dscnt 0x5
	v_pk_mul_f32 v[12:13], v[2:3], v[12:13]
	s_wait_dscnt 0x4
	v_pk_mul_f32 v[14:15], v[2:3], v[14:15]
	s_wait_dscnt 0x3
	v_pk_mul_f32 v[16:17], v[2:3], v[16:17]
	s_wait_dscnt 0x2
	v_pk_mul_f32 v[18:19], v[2:3], v[18:19]
	s_wait_dscnt 0x1
	v_pk_mul_f32 v[20:21], v[2:3], v[20:21]
	s_wait_dscnt 0x0
	v_pk_mul_f32 v[22:23], v[2:3], v[22:23]
	ds_store_2addr_stride64_b32 v6, v8, v9 offset1:2
	ds_store_2addr_stride64_b32 v6, v10, v11 offset0:4 offset1:6
	ds_store_2addr_stride64_b32 v6, v12, v13 offset0:8 offset1:10
	;; [unrolled: 1-line block ×7, first 2 shown]
	v_add_nc_u32_e32 v6, 0x2000, v6
	s_and_not1_b32 exec_lo, exec_lo, s22
	s_cbranch_execnz .LBB155_24
; %bb.25:
	s_or_b32 exec_lo, exec_lo, s22
.LBB155_26:
	s_delay_alu instid0(SALU_CYCLE_1) | instskip(NEXT) | instid1(VALU_DEP_1)
	s_or_b32 exec_lo, exec_lo, s3
	v_and_b32_e32 v4, 7, v4
	s_mov_b32 s22, 0
	s_mov_b32 s3, exec_lo
	s_delay_alu instid0(VALU_DEP_1)
	v_cmpx_ne_u32_e32 0, v4
	s_cbranch_execz .LBB155_29
; %bb.27:
	v_dual_lshlrev_b32 v5, 9, v7 :: v_dual_lshlrev_b32 v6, 2, v0
	s_delay_alu instid0(VALU_DEP_1)
	v_add3_u32 v5, v5, v6, 0xc0
.LBB155_28:                             ; =>This Inner Loop Header: Depth=1
	ds_load_2addr_stride64_b32 v[6:7], v5 offset1:2
	v_add_nc_u32_e32 v4, -1, v4
	s_delay_alu instid0(VALU_DEP_1)
	v_cmp_eq_u32_e32 vcc_lo, 0, v4
	s_or_b32 s22, vcc_lo, s22
	s_wait_dscnt 0x0
	v_pk_mul_f32 v[6:7], v[2:3], v[6:7]
	ds_store_2addr_stride64_b32 v5, v6, v7 offset1:2
	v_add_nc_u32_e32 v5, 0x400, v5
	s_and_not1_b32 exec_lo, exec_lo, s22
	s_cbranch_execnz .LBB155_28
.LBB155_29:
	s_or_b32 exec_lo, exec_lo, s3
	v_add_nc_u32_e32 v1, 1, v1
	s_delay_alu instid0(VALU_DEP_1) | instskip(NEXT) | instid1(VALU_DEP_1)
	v_and_b32_e32 v3, 0x3fffffe, v1
	v_cmp_ne_u32_e32 vcc_lo, v1, v3
	v_lshl_add_u32 v1, v3, 7, v0
	s_or_not1_b32 s3, vcc_lo, exec_lo
.LBB155_30:
	s_or_b32 exec_lo, exec_lo, s1
	s_delay_alu instid0(SALU_CYCLE_1)
	s_and_b32 exec_lo, exec_lo, s3
	s_cbranch_execz .LBB155_33
; %bb.31:
	v_lshl_add_u32 v3, v1, 2, 0xc0
	s_mov_b32 s1, 0
.LBB155_32:                             ; =>This Inner Loop Header: Depth=1
	ds_load_b32 v4, v3
	s_wait_dscnt 0x0
	v_dual_mul_f32 v4, v2, v4 :: v_dual_add_nc_u32 v1, 0x80, v1
	s_delay_alu instid0(VALU_DEP_1) | instskip(SKIP_3) | instid1(SALU_CYCLE_1)
	v_cmp_le_i32_e32 vcc_lo, s15, v1
	ds_store_b32 v3, v4
	v_add_nc_u32_e32 v3, 0x200, v3
	s_or_b32 s1, vcc_lo, s1
	s_and_not1_b32 exec_lo, exec_lo, s1
	s_cbranch_execnz .LBB155_32
.LBB155_33:
	s_or_b32 exec_lo, exec_lo, s0
	v_dual_mov_b32 v50, 0 :: v_dual_bitop2_b32 v66, 3, v0 bitop3:0x40
	v_dual_mov_b32 v53, 0 :: v_dual_mov_b32 v52, 0
	v_dual_mov_b32 v55, 0 :: v_dual_mov_b32 v54, 0
	;; [unrolled: 1-line block ×4, first 2 shown]
	s_wait_dscnt 0x0
	s_barrier_signal -1
	s_barrier_wait -1
	s_and_saveexec_b32 s1, s2
	s_cbranch_execz .LBB155_57
; %bb.34:
	v_dual_lshlrev_b32 v1, 3, v0 :: v_dual_mov_b32 v51, 0
	s_ashr_i32 s15, s14, 31
	v_and_b32_e32 v50, 0x1f0, v24
	s_lshl_b64 s[14:15], s[14:15], 1
	s_delay_alu instid0(VALU_DEP_2)
	v_dual_lshlrev_b32 v2, 5, v66 :: v_dual_bitop2_b32 v1, 24, v1 bitop3:0x40
	s_wait_kmcnt 0x0
	s_add_nc_u64 s[14:15], s[16:17], s[14:15]
	s_lshl_b64 s[12:13], s[12:13], 2
	v_add_nc_u64_e32 v[60:61], s[14:15], v[50:51]
	v_and_b32_e32 v50, 0x7c, v28
	v_lshl_or_b32 v2, v126, 7, v2
	s_add_nc_u64 s[10:11], s[10:11], s[12:13]
	v_lshl_or_b32 v67, v126, 5, v1
	v_mov_b32_e32 v52, v51
	v_add_nc_u64_e32 v[62:63], s[10:11], v[50:51]
	v_dual_mov_b32 v53, v51 :: v_dual_add_nc_u32 v68, 0xc0, v2
	v_dual_mov_b32 v50, v51 :: v_dual_mov_b32 v55, v51
	v_dual_mov_b32 v54, v51 :: v_dual_mov_b32 v57, v51
	;; [unrolled: 1-line block ×4, first 2 shown]
	s_ashr_i32 s3, s5, 31
	s_mov_b32 s2, s5
	s_add_co_i32 s5, s9, -1
	s_mov_b32 s11, s21
	s_mov_b32 s10, 0
	s_branch .LBB155_36
.LBB155_35:                             ;   in Loop: Header=BB155_36 Depth=1
	s_or_b32 exec_lo, exec_lo, s0
	s_wait_dscnt 0x1
	v_cvt_pk_bf16_f32 v18, v18, v19
	v_cvt_pk_bf16_f32 v1, v20, v21
	s_wait_dscnt 0x0
	v_cvt_pk_bf16_f32 v14, v14, v15
	v_cvt_pk_bf16_f32 v15, v16, v17
	v_add_nc_u64_e32 v[62:63], 16, v[62:63]
	s_wait_loadcnt 0x1
	v_pk_mul_bf16 v19, v18, v46
	v_pk_mul_bf16 v20, v1, v47
	;; [unrolled: 1-line block ×5, first 2 shown]
	s_delay_alu instid0(VALU_DEP_4)
	v_dual_lshlrev_b32 v17, 16, v19 :: v_dual_lshlrev_b32 v21, 16, v20
	v_and_b32_e32 v19, 0xffff0000, v19
	v_and_b32_e32 v20, 0xffff0000, v20
	v_pk_mul_bf16 v44, v14, v44
	v_pk_mul_bf16 v46, v15, v49
	;; [unrolled: 1-line block ×3, first 2 shown]
	v_add_f32_e32 v17, v17, v19
	v_dual_add_f32 v19, v21, v20 :: v_dual_lshlrev_b32 v21, 16, v42
	v_lshlrev_b32_e32 v20, 16, v16
	v_and_b32_e32 v16, 0xffff0000, v16
	v_and_b32_e32 v42, 0xffff0000, v42
	s_delay_alu instid0(VALU_DEP_4) | instskip(SKIP_1) | instid1(VALU_DEP_3)
	v_dual_lshlrev_b32 v47, 16, v43 :: v_dual_add_f32 v17, v19, v17
	v_and_b32_e32 v43, 0xffff0000, v43
	v_dual_add_f32 v16, v20, v16 :: v_dual_add_f32 v19, v21, v42
	v_lshlrev_b32_e32 v21, 16, v44
	v_and_b32_e32 v42, 0xffff0000, v44
	s_delay_alu instid0(VALU_DEP_4)
	v_add_f32_e32 v20, v47, v43
	v_pk_mul_bf16 v43, v15, v45
	v_lshlrev_b32_e32 v44, 16, v46
	v_and_b32_e32 v45, 0xffff0000, v46
	v_pk_mul_bf16 v32, v14, v32
	v_dual_add_f32 v19, v20, v19 :: v_dual_add_f32 v20, v21, v42
	v_lshlrev_b32_e32 v21, 16, v43
	v_and_b32_e32 v42, 0xffff0000, v43
	v_add_f32_e32 v16, v16, v17
	v_pk_mul_bf16 v26, v18, v26
	v_add_f32_e32 v19, v20, v19
	v_pk_mul_bf16 v28, v14, v28
	;; [unrolled: 2-line block ×3, first 2 shown]
	v_pk_mul_bf16 v34, v1, v35
	v_add_f32_e32 v17, v44, v45
	v_pk_mul_bf16 v35, v14, v36
	v_pk_mul_bf16 v24, v14, v24
	;; [unrolled: 1-line block ×4, first 2 shown]
	v_dual_add_f32 v16, v17, v16 :: v_dual_add_f32 v17, v20, v19
	v_lshlrev_b32_e32 v19, 16, v21
	v_and_b32_e32 v20, 0xffff0000, v21
	v_lshlrev_b32_e32 v21, 16, v34
	v_and_b32_e32 v34, 0xffff0000, v34
	v_dual_add_f32 v50, v50, v16 :: v_dual_add_f32 v53, v53, v17
	s_delay_alu instid0(VALU_DEP_4) | instskip(SKIP_1) | instid1(VALU_DEP_4)
	v_add_f32_e32 v16, v19, v20
	v_and_b32_e32 v20, 0xffff0000, v35
	v_dual_add_f32 v17, v21, v34 :: v_dual_lshlrev_b32 v19, 16, v35
	v_pk_mul_bf16 v21, v18, v30
	v_pk_mul_bf16 v30, v15, v37
	;; [unrolled: 1-line block ×3, first 2 shown]
	s_delay_alu instid0(VALU_DEP_4) | instskip(NEXT) | instid1(VALU_DEP_4)
	v_add_f32_e32 v16, v17, v16
	v_dual_add_f32 v17, v19, v20 :: v_dual_lshlrev_b32 v19, 16, v21
	v_and_b32_e32 v20, 0xffff0000, v21
	v_dual_lshlrev_b32 v21, 16, v31 :: v_dual_lshlrev_b32 v34, 16, v30
	v_and_b32_e32 v31, 0xffff0000, v31
	v_and_b32_e32 v30, 0xffff0000, v30
	s_delay_alu instid0(VALU_DEP_4)
	v_add_f32_e32 v19, v19, v20
	v_pk_mul_bf16 v6, v18, v6
	v_pk_mul_bf16 v7, v1, v7
	v_dual_add_f32 v20, v21, v31 :: v_dual_lshlrev_b32 v21, 16, v32
	v_and_b32_e32 v31, 0xffff0000, v32
	v_pk_mul_bf16 v32, v15, v33
	s_delay_alu instid0(VALU_DEP_3) | instskip(NEXT) | instid1(VALU_DEP_3)
	v_dual_add_f32 v16, v17, v16 :: v_dual_add_f32 v19, v20, v19
	v_dual_add_f32 v17, v34, v30 :: v_dual_add_f32 v20, v21, v31
	s_delay_alu instid0(VALU_DEP_3) | instskip(SKIP_2) | instid1(VALU_DEP_4)
	v_lshlrev_b32_e32 v21, 16, v32
	v_and_b32_e32 v30, 0xffff0000, v32
	v_pk_mul_bf16 v2, v18, v2
	v_dual_add_f32 v16, v17, v16 :: v_dual_add_f32 v19, v20, v19
	v_pk_mul_bf16 v17, v1, v27
	s_delay_alu instid0(VALU_DEP_4) | instskip(NEXT) | instid1(VALU_DEP_3)
	v_add_f32_e32 v20, v21, v30
	v_dual_add_f32 v52, v52, v16 :: v_dual_lshlrev_b32 v21, 16, v26
	v_and_b32_e32 v26, 0xffff0000, v26
	s_delay_alu instid0(VALU_DEP_4) | instskip(SKIP_2) | instid1(VALU_DEP_4)
	v_lshlrev_b32_e32 v27, 16, v17
	v_and_b32_e32 v17, 0xffff0000, v17
	v_dual_add_f32 v16, v20, v19 :: v_dual_lshlrev_b32 v20, 16, v28
	v_add_f32_e32 v19, v21, v26
	v_and_b32_e32 v21, 0xffff0000, v28
	s_delay_alu instid0(VALU_DEP_4) | instskip(NEXT) | instid1(VALU_DEP_4)
	v_add_f32_e32 v17, v27, v17
	v_add_f32_e32 v55, v55, v16
	v_pk_mul_bf16 v16, v15, v29
	v_pk_mul_bf16 v3, v1, v3
	s_delay_alu instid0(VALU_DEP_4) | instskip(SKIP_4) | instid1(VALU_DEP_4)
	v_dual_add_f32 v20, v20, v21 :: v_dual_add_f32 v17, v17, v19
	v_pk_mul_bf16 v19, v18, v22
	v_pk_mul_bf16 v21, v1, v23
	v_lshlrev_b32_e32 v22, 16, v16
	v_and_b32_e32 v16, 0xffff0000, v16
	v_dual_add_f32 v17, v20, v17 :: v_dual_lshlrev_b32 v23, 16, v19
	s_delay_alu instid0(VALU_DEP_4)
	v_lshlrev_b32_e32 v26, 16, v21
	v_and_b32_e32 v19, 0xffff0000, v19
	v_and_b32_e32 v21, 0xffff0000, v21
	v_add_f32_e32 v16, v22, v16
	v_and_b32_e32 v22, 0xffff0000, v24
	v_pk_mul_bf16 v8, v14, v8
	s_delay_alu instid0(VALU_DEP_4) | instskip(SKIP_4) | instid1(VALU_DEP_4)
	v_dual_add_f32 v19, v23, v19 :: v_dual_add_f32 v20, v26, v21
	v_lshlrev_b32_e32 v21, 16, v24
	v_pk_mul_bf16 v23, v15, v25
	v_add_f32_e32 v16, v16, v17
	v_pk_mul_bf16 v9, v15, v9
	v_dual_add_f32 v19, v20, v19 :: v_dual_add_f32 v20, v21, v22
	v_dual_lshlrev_b32 v22, 16, v11 :: v_dual_lshlrev_b32 v21, 16, v10
	v_lshlrev_b32_e32 v24, 16, v23
	v_and_b32_e32 v10, 0xffff0000, v10
	v_and_b32_e32 v11, 0xffff0000, v11
	v_and_b32_e32 v23, 0xffff0000, v23
	v_pk_mul_bf16 v4, v14, v4
	s_wait_loadcnt 0x0
	v_pk_mul_bf16 v1, v1, v39
	v_dual_add_f32 v10, v21, v10 :: v_dual_add_f32 v11, v22, v11
	v_lshlrev_b32_e32 v21, 16, v12
	v_and_b32_e32 v12, 0xffff0000, v12
	v_add_f32_e32 v17, v20, v19
	s_delay_alu instid0(VALU_DEP_4) | instskip(SKIP_1) | instid1(VALU_DEP_4)
	v_dual_add_f32 v19, v24, v23 :: v_dual_add_f32 v10, v11, v10
	v_pk_mul_bf16 v20, v15, v5
	v_add_f32_e32 v11, v21, v12
	v_pk_mul_bf16 v12, v15, v13
	s_delay_alu instid0(VALU_DEP_4) | instskip(SKIP_1) | instid1(VALU_DEP_3)
	v_dual_add_f32 v54, v54, v16 :: v_dual_add_f32 v13, v19, v17
	v_dual_lshlrev_b32 v16, 16, v6 :: v_dual_lshlrev_b32 v17, 16, v7
	v_dual_add_f32 v10, v11, v10 :: v_dual_lshlrev_b32 v11, 16, v12
	v_and_b32_e32 v12, 0xffff0000, v12
	v_and_b32_e32 v6, 0xffff0000, v6
	v_and_b32_e32 v7, 0xffff0000, v7
	v_add_nc_u32_e32 v67, 0x80, v67
	v_add_nc_u32_e32 v68, 0x200, v68
	s_delay_alu instid0(VALU_DEP_4) | instskip(NEXT) | instid1(VALU_DEP_4)
	v_dual_add_f32 v11, v11, v12 :: v_dual_add_f32 v6, v16, v6
	v_dual_add_f32 v7, v17, v7 :: v_dual_lshlrev_b32 v12, 16, v8
	v_dual_lshlrev_b32 v16, 16, v2 :: v_dual_lshlrev_b32 v17, 16, v3
	v_and_b32_e32 v2, 0xffff0000, v2
	v_and_b32_e32 v3, 0xffff0000, v3
	;; [unrolled: 1-line block ×3, first 2 shown]
	v_add_f32_e32 v19, v7, v6
	v_pk_mul_bf16 v6, v14, v40
	s_delay_alu instid0(VALU_DEP_4) | instskip(NEXT) | instid1(VALU_DEP_4)
	v_dual_add_f32 v2, v16, v2 :: v_dual_add_f32 v3, v17, v3
	v_dual_lshlrev_b32 v16, 16, v9 :: v_dual_add_f32 v12, v12, v8
	v_pk_mul_bf16 v8, v15, v41
	v_and_b32_e32 v17, 0xffff0000, v9
	s_delay_alu instid0(VALU_DEP_4) | instskip(SKIP_4) | instid1(VALU_DEP_4)
	v_add_f32_e32 v21, v3, v2
	v_pk_mul_bf16 v2, v18, v38
	v_lshlrev_b32_e32 v22, 16, v4
	v_and_b32_e32 v18, 0xffff0000, v4
	v_dual_lshlrev_b32 v4, 16, v1 :: v_dual_lshlrev_b32 v9, 16, v6
	v_and_b32_e32 v3, 0xffff0000, v2
	v_lshlrev_b32_e32 v5, 16, v2
	v_and_b32_e32 v2, 0xffff0000, v1
	v_and_b32_e32 v7, 0xffff0000, v6
	;; [unrolled: 1-line block ×3, first 2 shown]
	v_dual_add_f32 v1, v22, v18 :: v_dual_lshlrev_b32 v8, 16, v8
	s_delay_alu instid0(VALU_DEP_4) | instskip(SKIP_2) | instid1(VALU_DEP_4)
	v_pk_add_f32 v[2:3], v[4:5], v[2:3]
	v_lshlrev_b32_e32 v14, 16, v20
	v_and_b32_e32 v15, 0xffff0000, v20
	v_pk_add_f32 v[4:5], v[8:9], v[6:7]
	s_delay_alu instid0(VALU_DEP_4) | instskip(SKIP_1) | instid1(VALU_DEP_4)
	v_dual_add_f32 v1, v1, v21 :: v_dual_add_f32 v2, v2, v3
	v_add_f32_e32 v3, v12, v19
	v_dual_add_f32 v6, v16, v17 :: v_dual_add_f32 v7, v14, v15
	v_add_f32_e32 v57, v57, v13
	s_delay_alu instid0(VALU_DEP_4) | instskip(NEXT) | instid1(VALU_DEP_3)
	v_add_f32_e32 v2, v5, v2
	v_dual_add_f32 v5, v11, v10 :: v_dual_add_f32 v3, v6, v3
	v_add_nc_u32_e32 v69, 4, v69
	s_delay_alu instid0(VALU_DEP_3) | instskip(NEXT) | instid1(VALU_DEP_3)
	v_dual_add_f32 v1, v7, v1 :: v_dual_add_f32 v2, v4, v2
	v_dual_add_f32 v56, v56, v5 :: v_dual_add_f32 v59, v59, v3
	s_delay_alu instid0(VALU_DEP_3) | instskip(NEXT) | instid1(VALU_DEP_3)
	v_cmp_le_i32_e32 vcc_lo, s9, v69
	v_dual_add_f32 v58, v58, v1 :: v_dual_add_f32 v51, v51, v2
	s_or_b32 s10, vcc_lo, s10
	s_delay_alu instid0(SALU_CYCLE_1)
	s_and_not1_b32 exec_lo, exec_lo, s10
	s_cbranch_execz .LBB155_56
.LBB155_36:                             ; =>This Inner Loop Header: Depth=1
	global_load_b32 v2, v[62:63], off
	v_cmp_eq_u32_e32 vcc_lo, s5, v69
	v_or_b32_e32 v73, 3, v67
	v_or_b32_e32 v75, 2, v67
	;; [unrolled: 1-line block ×5, first 2 shown]
	v_dual_add_nc_u32 v74, 1, v67 :: v_dual_bitop2_b32 v71, 6, v67 bitop3:0x54
	s_wait_loadcnt 0x0
	v_ashrrev_i32_e32 v3, 31, v2
	s_delay_alu instid0(VALU_DEP_1) | instskip(NEXT) | instid1(VALU_DEP_1)
	v_mul_u64_e32 v[2:3], s[2:3], v[2:3]
	v_lshl_add_u64 v[38:39], v[2:3], 1, v[60:61]
	global_load_b128 v[2:5], v[38:39], off
	ds_load_2addr_b64 v[18:21], v68 offset1:1
	ds_load_2addr_b64 v[14:17], v68 offset0:2 offset1:3
	s_wait_xcnt 0x0
	s_and_saveexec_b32 s12, vcc_lo
	s_cbranch_execnz .LBB155_46
; %bb.37:                               ;   in Loop: Header=BB155_36 Depth=1
	s_or_b32 exec_lo, exec_lo, s12
	global_load_b128 v[6:9], v[38:39], off offset:512
	s_wait_xcnt 0x0
	s_and_saveexec_b32 s12, vcc_lo
	s_cbranch_execnz .LBB155_47
.LBB155_38:                             ;   in Loop: Header=BB155_36 Depth=1
	s_or_b32 exec_lo, exec_lo, s12
	global_load_b128 v[10:13], v[38:39], off offset:1024
	s_wait_xcnt 0x0
	s_and_saveexec_b32 s12, vcc_lo
	s_cbranch_execnz .LBB155_48
.LBB155_39:                             ;   in Loop: Header=BB155_36 Depth=1
	s_or_b32 exec_lo, exec_lo, s12
	global_load_b128 v[22:25], v[38:39], off offset:1536
	s_wait_xcnt 0x0
	s_and_saveexec_b32 s12, vcc_lo
	s_cbranch_execnz .LBB155_49
.LBB155_40:                             ;   in Loop: Header=BB155_36 Depth=1
	s_or_b32 exec_lo, exec_lo, s12
	global_load_b128 v[26:29], v[38:39], off offset:2048
	s_wait_xcnt 0x0
	s_and_saveexec_b32 s12, vcc_lo
	s_cbranch_execnz .LBB155_50
.LBB155_41:                             ;   in Loop: Header=BB155_36 Depth=1
	s_or_b32 exec_lo, exec_lo, s12
	global_load_b128 v[30:33], v[38:39], off offset:2560
	s_wait_xcnt 0x0
	s_and_saveexec_b32 s12, vcc_lo
	s_cbranch_execnz .LBB155_51
.LBB155_42:                             ;   in Loop: Header=BB155_36 Depth=1
	s_or_b32 exec_lo, exec_lo, s12
	global_load_b128 v[34:37], v[38:39], off offset:3072
	s_wait_xcnt 0x0
	s_and_saveexec_b32 s12, vcc_lo
	s_cbranch_execnz .LBB155_52
.LBB155_43:                             ;   in Loop: Header=BB155_36 Depth=1
	s_or_b32 exec_lo, exec_lo, s12
	global_load_b128 v[42:45], v[38:39], off offset:3584
	s_wait_xcnt 0x0
	s_and_saveexec_b32 s12, vcc_lo
	s_cbranch_execnz .LBB155_53
.LBB155_44:                             ;   in Loop: Header=BB155_36 Depth=1
	s_or_b32 exec_lo, exec_lo, s12
	global_load_b128 v[46:49], v[38:39], off offset:4096
	s_wait_xcnt 0x0
	s_and_saveexec_b32 s12, vcc_lo
	s_cbranch_execnz .LBB155_54
.LBB155_45:                             ;   in Loop: Header=BB155_36 Depth=1
	s_or_b32 exec_lo, exec_lo, s12
	global_load_b128 v[38:41], v[38:39], off offset:4608
	s_wait_xcnt 0x0
	s_and_saveexec_b32 s0, vcc_lo
	s_cbranch_execz .LBB155_35
	s_branch .LBB155_55
.LBB155_46:                             ;   in Loop: Header=BB155_36 Depth=1
	v_cmp_gt_i32_e64 s0, s21, v67
	s_wait_loadcnt 0x0
	v_dual_lshrrev_b32 v6, 16, v2 :: v_dual_lshrrev_b32 v8, 16, v4
	s_delay_alu instid0(VALU_DEP_2) | instskip(SKIP_1) | instid1(VALU_DEP_1)
	v_cndmask_b32_e64 v2, 0, v2, s0
	v_cmp_gt_i32_e64 s0, s11, v74
	v_dual_lshrrev_b32 v7, 16, v3 :: v_dual_cndmask_b32 v6, 0, v6, s0
	v_cmp_gt_i32_e64 s0, s21, v75
	s_delay_alu instid0(VALU_DEP_2) | instskip(NEXT) | instid1(VALU_DEP_2)
	v_perm_b32 v2, v6, v2, 0x5040100
	v_cndmask_b32_e64 v3, 0, v3, s0
	v_cmp_gt_i32_e64 s0, s11, v73
	s_delay_alu instid0(VALU_DEP_1) | instskip(SKIP_1) | instid1(VALU_DEP_1)
	v_cndmask_b32_e64 v7, 0, v7, s0
	v_cmp_gt_i32_e64 s0, s21, v72
	v_cndmask_b32_e64 v4, 0, v4, s0
	v_cmp_gt_i32_e64 s0, s11, v70
	v_lshrrev_b32_e32 v9, 16, v5
	v_perm_b32 v3, v7, v3, 0x5040100
	s_delay_alu instid0(VALU_DEP_3) | instskip(SKIP_1) | instid1(VALU_DEP_2)
	v_cndmask_b32_e64 v8, 0, v8, s0
	v_cmp_gt_i32_e64 s0, s21, v71
	v_perm_b32 v4, v8, v4, 0x5040100
	s_delay_alu instid0(VALU_DEP_2) | instskip(SKIP_1) | instid1(VALU_DEP_1)
	v_cndmask_b32_e64 v5, 0, v5, s0
	v_cmp_gt_i32_e64 s0, s11, v1
	v_cndmask_b32_e64 v9, 0, v9, s0
	s_delay_alu instid0(VALU_DEP_1)
	v_perm_b32 v5, v9, v5, 0x5040100
	s_or_b32 exec_lo, exec_lo, s12
	global_load_b128 v[6:9], v[38:39], off offset:512
	s_wait_xcnt 0x0
	s_and_saveexec_b32 s12, vcc_lo
	s_cbranch_execz .LBB155_38
.LBB155_47:                             ;   in Loop: Header=BB155_36 Depth=1
	v_cmp_gt_i32_e64 s0, s21, v67
	s_wait_loadcnt 0x0
	v_dual_lshrrev_b32 v10, 16, v6 :: v_dual_lshrrev_b32 v12, 16, v8
	s_delay_alu instid0(VALU_DEP_2) | instskip(SKIP_1) | instid1(VALU_DEP_1)
	v_cndmask_b32_e64 v6, 0, v6, s0
	v_cmp_gt_i32_e64 s0, s11, v74
	v_dual_lshrrev_b32 v11, 16, v7 :: v_dual_cndmask_b32 v10, 0, v10, s0
	v_cmp_gt_i32_e64 s0, s21, v75
	s_delay_alu instid0(VALU_DEP_2) | instskip(NEXT) | instid1(VALU_DEP_2)
	v_perm_b32 v6, v10, v6, 0x5040100
	v_cndmask_b32_e64 v7, 0, v7, s0
	v_cmp_gt_i32_e64 s0, s11, v73
	s_delay_alu instid0(VALU_DEP_1) | instskip(SKIP_1) | instid1(VALU_DEP_1)
	v_cndmask_b32_e64 v11, 0, v11, s0
	v_cmp_gt_i32_e64 s0, s21, v72
	v_cndmask_b32_e64 v8, 0, v8, s0
	v_cmp_gt_i32_e64 s0, s11, v70
	v_lshrrev_b32_e32 v13, 16, v9
	v_perm_b32 v7, v11, v7, 0x5040100
	s_delay_alu instid0(VALU_DEP_3) | instskip(SKIP_1) | instid1(VALU_DEP_2)
	v_cndmask_b32_e64 v12, 0, v12, s0
	v_cmp_gt_i32_e64 s0, s21, v71
	v_perm_b32 v8, v12, v8, 0x5040100
	s_delay_alu instid0(VALU_DEP_2) | instskip(SKIP_1) | instid1(VALU_DEP_1)
	v_cndmask_b32_e64 v9, 0, v9, s0
	v_cmp_gt_i32_e64 s0, s11, v1
	v_cndmask_b32_e64 v13, 0, v13, s0
	s_delay_alu instid0(VALU_DEP_1)
	v_perm_b32 v9, v13, v9, 0x5040100
	s_or_b32 exec_lo, exec_lo, s12
	global_load_b128 v[10:13], v[38:39], off offset:1024
	s_wait_xcnt 0x0
	s_and_saveexec_b32 s12, vcc_lo
	s_cbranch_execz .LBB155_39
.LBB155_48:                             ;   in Loop: Header=BB155_36 Depth=1
	v_cmp_gt_i32_e64 s0, s21, v67
	s_wait_loadcnt 0x0
	v_dual_lshrrev_b32 v22, 16, v10 :: v_dual_lshrrev_b32 v24, 16, v12
	s_delay_alu instid0(VALU_DEP_2) | instskip(SKIP_1) | instid1(VALU_DEP_1)
	v_cndmask_b32_e64 v10, 0, v10, s0
	v_cmp_gt_i32_e64 s0, s11, v74
	v_dual_lshrrev_b32 v23, 16, v11 :: v_dual_cndmask_b32 v22, 0, v22, s0
	v_cmp_gt_i32_e64 s0, s21, v75
	s_delay_alu instid0(VALU_DEP_2) | instskip(NEXT) | instid1(VALU_DEP_2)
	v_perm_b32 v10, v22, v10, 0x5040100
	v_cndmask_b32_e64 v11, 0, v11, s0
	v_cmp_gt_i32_e64 s0, s11, v73
	s_delay_alu instid0(VALU_DEP_1) | instskip(SKIP_1) | instid1(VALU_DEP_1)
	v_cndmask_b32_e64 v23, 0, v23, s0
	v_cmp_gt_i32_e64 s0, s21, v72
	v_cndmask_b32_e64 v12, 0, v12, s0
	v_cmp_gt_i32_e64 s0, s11, v70
	v_lshrrev_b32_e32 v25, 16, v13
	v_perm_b32 v11, v23, v11, 0x5040100
	s_delay_alu instid0(VALU_DEP_3) | instskip(SKIP_1) | instid1(VALU_DEP_2)
	v_cndmask_b32_e64 v24, 0, v24, s0
	v_cmp_gt_i32_e64 s0, s21, v71
	v_perm_b32 v12, v24, v12, 0x5040100
	s_delay_alu instid0(VALU_DEP_2) | instskip(SKIP_1) | instid1(VALU_DEP_1)
	v_cndmask_b32_e64 v13, 0, v13, s0
	v_cmp_gt_i32_e64 s0, s11, v1
	v_cndmask_b32_e64 v25, 0, v25, s0
	s_delay_alu instid0(VALU_DEP_1)
	v_perm_b32 v13, v25, v13, 0x5040100
	s_or_b32 exec_lo, exec_lo, s12
	global_load_b128 v[22:25], v[38:39], off offset:1536
	s_wait_xcnt 0x0
	s_and_saveexec_b32 s12, vcc_lo
	s_cbranch_execz .LBB155_40
.LBB155_49:                             ;   in Loop: Header=BB155_36 Depth=1
	v_cmp_gt_i32_e64 s0, s21, v67
	s_wait_loadcnt 0x0
	v_dual_lshrrev_b32 v26, 16, v22 :: v_dual_lshrrev_b32 v28, 16, v24
	s_delay_alu instid0(VALU_DEP_2) | instskip(SKIP_1) | instid1(VALU_DEP_1)
	v_cndmask_b32_e64 v22, 0, v22, s0
	v_cmp_gt_i32_e64 s0, s11, v74
	v_dual_lshrrev_b32 v27, 16, v23 :: v_dual_cndmask_b32 v26, 0, v26, s0
	v_cmp_gt_i32_e64 s0, s21, v75
	s_delay_alu instid0(VALU_DEP_2) | instskip(NEXT) | instid1(VALU_DEP_2)
	v_perm_b32 v22, v26, v22, 0x5040100
	v_cndmask_b32_e64 v23, 0, v23, s0
	v_cmp_gt_i32_e64 s0, s11, v73
	s_delay_alu instid0(VALU_DEP_1) | instskip(SKIP_1) | instid1(VALU_DEP_1)
	v_cndmask_b32_e64 v27, 0, v27, s0
	v_cmp_gt_i32_e64 s0, s21, v72
	v_cndmask_b32_e64 v24, 0, v24, s0
	v_cmp_gt_i32_e64 s0, s11, v70
	v_lshrrev_b32_e32 v29, 16, v25
	v_perm_b32 v23, v27, v23, 0x5040100
	s_delay_alu instid0(VALU_DEP_3) | instskip(SKIP_1) | instid1(VALU_DEP_2)
	v_cndmask_b32_e64 v28, 0, v28, s0
	v_cmp_gt_i32_e64 s0, s21, v71
	v_perm_b32 v24, v28, v24, 0x5040100
	s_delay_alu instid0(VALU_DEP_2) | instskip(SKIP_1) | instid1(VALU_DEP_1)
	v_cndmask_b32_e64 v25, 0, v25, s0
	v_cmp_gt_i32_e64 s0, s11, v1
	v_cndmask_b32_e64 v29, 0, v29, s0
	s_delay_alu instid0(VALU_DEP_1)
	v_perm_b32 v25, v29, v25, 0x5040100
	s_or_b32 exec_lo, exec_lo, s12
	global_load_b128 v[26:29], v[38:39], off offset:2048
	s_wait_xcnt 0x0
	s_and_saveexec_b32 s12, vcc_lo
	s_cbranch_execz .LBB155_41
.LBB155_50:                             ;   in Loop: Header=BB155_36 Depth=1
	v_cmp_gt_i32_e64 s0, s21, v67
	s_wait_loadcnt 0x0
	v_dual_lshrrev_b32 v30, 16, v26 :: v_dual_lshrrev_b32 v32, 16, v28
	s_delay_alu instid0(VALU_DEP_2) | instskip(SKIP_1) | instid1(VALU_DEP_1)
	v_cndmask_b32_e64 v26, 0, v26, s0
	v_cmp_gt_i32_e64 s0, s11, v74
	v_dual_lshrrev_b32 v31, 16, v27 :: v_dual_cndmask_b32 v30, 0, v30, s0
	v_cmp_gt_i32_e64 s0, s21, v75
	s_delay_alu instid0(VALU_DEP_2) | instskip(NEXT) | instid1(VALU_DEP_2)
	v_perm_b32 v26, v30, v26, 0x5040100
	v_cndmask_b32_e64 v27, 0, v27, s0
	v_cmp_gt_i32_e64 s0, s11, v73
	s_delay_alu instid0(VALU_DEP_1) | instskip(SKIP_1) | instid1(VALU_DEP_1)
	v_cndmask_b32_e64 v31, 0, v31, s0
	v_cmp_gt_i32_e64 s0, s21, v72
	v_cndmask_b32_e64 v28, 0, v28, s0
	v_cmp_gt_i32_e64 s0, s11, v70
	v_lshrrev_b32_e32 v33, 16, v29
	v_perm_b32 v27, v31, v27, 0x5040100
	s_delay_alu instid0(VALU_DEP_3) | instskip(SKIP_1) | instid1(VALU_DEP_2)
	v_cndmask_b32_e64 v32, 0, v32, s0
	v_cmp_gt_i32_e64 s0, s21, v71
	v_perm_b32 v28, v32, v28, 0x5040100
	s_delay_alu instid0(VALU_DEP_2) | instskip(SKIP_1) | instid1(VALU_DEP_1)
	v_cndmask_b32_e64 v29, 0, v29, s0
	v_cmp_gt_i32_e64 s0, s11, v1
	v_cndmask_b32_e64 v33, 0, v33, s0
	s_delay_alu instid0(VALU_DEP_1)
	v_perm_b32 v29, v33, v29, 0x5040100
	s_or_b32 exec_lo, exec_lo, s12
	global_load_b128 v[30:33], v[38:39], off offset:2560
	s_wait_xcnt 0x0
	s_and_saveexec_b32 s12, vcc_lo
	s_cbranch_execz .LBB155_42
.LBB155_51:                             ;   in Loop: Header=BB155_36 Depth=1
	v_cmp_gt_i32_e64 s0, s21, v67
	s_wait_loadcnt 0x0
	v_dual_lshrrev_b32 v34, 16, v30 :: v_dual_lshrrev_b32 v36, 16, v32
	s_delay_alu instid0(VALU_DEP_2) | instskip(SKIP_1) | instid1(VALU_DEP_1)
	v_cndmask_b32_e64 v30, 0, v30, s0
	v_cmp_gt_i32_e64 s0, s11, v74
	v_dual_lshrrev_b32 v35, 16, v31 :: v_dual_cndmask_b32 v34, 0, v34, s0
	v_cmp_gt_i32_e64 s0, s21, v75
	s_delay_alu instid0(VALU_DEP_2) | instskip(NEXT) | instid1(VALU_DEP_2)
	v_perm_b32 v30, v34, v30, 0x5040100
	v_cndmask_b32_e64 v31, 0, v31, s0
	v_cmp_gt_i32_e64 s0, s11, v73
	s_delay_alu instid0(VALU_DEP_1) | instskip(SKIP_1) | instid1(VALU_DEP_1)
	v_cndmask_b32_e64 v35, 0, v35, s0
	v_cmp_gt_i32_e64 s0, s21, v72
	v_cndmask_b32_e64 v32, 0, v32, s0
	v_cmp_gt_i32_e64 s0, s11, v70
	v_lshrrev_b32_e32 v37, 16, v33
	v_perm_b32 v31, v35, v31, 0x5040100
	s_delay_alu instid0(VALU_DEP_3) | instskip(SKIP_1) | instid1(VALU_DEP_2)
	v_cndmask_b32_e64 v36, 0, v36, s0
	v_cmp_gt_i32_e64 s0, s21, v71
	v_perm_b32 v32, v36, v32, 0x5040100
	s_delay_alu instid0(VALU_DEP_2) | instskip(SKIP_1) | instid1(VALU_DEP_1)
	v_cndmask_b32_e64 v33, 0, v33, s0
	v_cmp_gt_i32_e64 s0, s11, v1
	v_cndmask_b32_e64 v37, 0, v37, s0
	s_delay_alu instid0(VALU_DEP_1)
	v_perm_b32 v33, v37, v33, 0x5040100
	s_or_b32 exec_lo, exec_lo, s12
	global_load_b128 v[34:37], v[38:39], off offset:3072
	s_wait_xcnt 0x0
	s_and_saveexec_b32 s12, vcc_lo
	s_cbranch_execz .LBB155_43
.LBB155_52:                             ;   in Loop: Header=BB155_36 Depth=1
	v_cmp_gt_i32_e64 s0, s21, v67
	s_wait_loadcnt 0x0
	s_delay_alu instid0(VALU_DEP_1) | instskip(SKIP_1) | instid1(VALU_DEP_1)
	v_dual_lshrrev_b32 v40, 16, v34 :: v_dual_cndmask_b32 v34, 0, v34, s0
	v_cmp_gt_i32_e64 s0, s11, v74
	v_dual_lshrrev_b32 v41, 16, v35 :: v_dual_cndmask_b32 v40, 0, v40, s0
	v_cmp_gt_i32_e64 s0, s21, v75
	s_delay_alu instid0(VALU_DEP_2) | instskip(NEXT) | instid1(VALU_DEP_2)
	v_perm_b32 v34, v40, v34, 0x5040100
	v_cndmask_b32_e64 v35, 0, v35, s0
	v_cmp_gt_i32_e64 s0, s11, v73
	s_delay_alu instid0(VALU_DEP_1) | instskip(SKIP_2) | instid1(VALU_DEP_3)
	v_cndmask_b32_e64 v41, 0, v41, s0
	v_cmp_gt_i32_e64 s0, s21, v72
	v_lshrrev_b32_e32 v42, 16, v36
	v_perm_b32 v35, v41, v35, 0x5040100
	s_delay_alu instid0(VALU_DEP_3) | instskip(SKIP_1) | instid1(VALU_DEP_1)
	v_cndmask_b32_e64 v36, 0, v36, s0
	v_cmp_gt_i32_e64 s0, s11, v70
	v_dual_lshrrev_b32 v43, 16, v37 :: v_dual_cndmask_b32 v42, 0, v42, s0
	v_cmp_gt_i32_e64 s0, s21, v71
	s_delay_alu instid0(VALU_DEP_2) | instskip(NEXT) | instid1(VALU_DEP_2)
	v_perm_b32 v36, v42, v36, 0x5040100
	v_cndmask_b32_e64 v37, 0, v37, s0
	v_cmp_gt_i32_e64 s0, s11, v1
	s_delay_alu instid0(VALU_DEP_1) | instskip(NEXT) | instid1(VALU_DEP_1)
	v_cndmask_b32_e64 v43, 0, v43, s0
	v_perm_b32 v37, v43, v37, 0x5040100
	s_or_b32 exec_lo, exec_lo, s12
	global_load_b128 v[42:45], v[38:39], off offset:3584
	s_wait_xcnt 0x0
	s_and_saveexec_b32 s12, vcc_lo
	s_cbranch_execz .LBB155_44
.LBB155_53:                             ;   in Loop: Header=BB155_36 Depth=1
	v_cmp_gt_i32_e64 s0, s21, v67
	s_wait_loadcnt 0x0
	s_delay_alu instid0(VALU_DEP_1) | instskip(SKIP_1) | instid1(VALU_DEP_1)
	v_dual_lshrrev_b32 v40, 16, v42 :: v_dual_cndmask_b32 v41, 0, v42, s0
	v_cmp_gt_i32_e64 s0, s11, v74
	v_dual_lshrrev_b32 v42, 16, v43 :: v_dual_cndmask_b32 v40, 0, v40, s0
	v_cmp_gt_i32_e64 s0, s21, v75
	s_delay_alu instid0(VALU_DEP_1) | instskip(SKIP_1) | instid1(VALU_DEP_1)
	v_cndmask_b32_e64 v43, 0, v43, s0
	v_cmp_gt_i32_e64 s0, s11, v73
	v_cndmask_b32_e64 v46, 0, v42, s0
	v_cmp_gt_i32_e64 s0, s21, v72
	v_lshrrev_b32_e32 v42, 16, v44
	s_delay_alu instid0(VALU_DEP_3) | instskip(NEXT) | instid1(VALU_DEP_3)
	v_perm_b32 v43, v46, v43, 0x5040100
	v_cndmask_b32_e64 v44, 0, v44, s0
	v_cmp_gt_i32_e64 s0, s11, v70
	s_delay_alu instid0(VALU_DEP_1) | instskip(SKIP_2) | instid1(VALU_DEP_3)
	v_dual_lshrrev_b32 v47, 16, v45 :: v_dual_cndmask_b32 v48, 0, v42, s0
	v_cmp_gt_i32_e64 s0, s21, v71
	v_perm_b32 v42, v40, v41, 0x5040100
	v_perm_b32 v44, v48, v44, 0x5040100
	s_delay_alu instid0(VALU_DEP_3) | instskip(SKIP_1) | instid1(VALU_DEP_1)
	v_cndmask_b32_e64 v45, 0, v45, s0
	v_cmp_gt_i32_e64 s0, s11, v1
	v_cndmask_b32_e64 v47, 0, v47, s0
	s_delay_alu instid0(VALU_DEP_1)
	v_perm_b32 v45, v47, v45, 0x5040100
	s_or_b32 exec_lo, exec_lo, s12
	global_load_b128 v[46:49], v[38:39], off offset:4096
	s_wait_xcnt 0x0
	s_and_saveexec_b32 s12, vcc_lo
	s_cbranch_execz .LBB155_45
.LBB155_54:                             ;   in Loop: Header=BB155_36 Depth=1
	v_cmp_gt_i32_e64 s0, s21, v67
	s_wait_loadcnt 0x0
	s_delay_alu instid0(VALU_DEP_1) | instskip(SKIP_1) | instid1(VALU_DEP_1)
	v_dual_lshrrev_b32 v40, 16, v46 :: v_dual_cndmask_b32 v41, 0, v46, s0
	v_cmp_gt_i32_e64 s0, s11, v74
	v_dual_lshrrev_b32 v46, 16, v47 :: v_dual_cndmask_b32 v40, 0, v40, s0
	v_cmp_gt_i32_e64 s0, s21, v75
	s_delay_alu instid0(VALU_DEP_1) | instskip(SKIP_1) | instid1(VALU_DEP_1)
	v_cndmask_b32_e64 v47, 0, v47, s0
	v_cmp_gt_i32_e64 s0, s11, v73
	v_cndmask_b32_e64 v76, 0, v46, s0
	v_cmp_gt_i32_e64 s0, s21, v72
	v_lshrrev_b32_e32 v46, 16, v48
	s_delay_alu instid0(VALU_DEP_3) | instskip(NEXT) | instid1(VALU_DEP_3)
	v_perm_b32 v47, v76, v47, 0x5040100
	v_cndmask_b32_e64 v48, 0, v48, s0
	v_cmp_gt_i32_e64 s0, s11, v70
	s_delay_alu instid0(VALU_DEP_1) | instskip(SKIP_2) | instid1(VALU_DEP_3)
	v_dual_lshrrev_b32 v77, 16, v49 :: v_dual_cndmask_b32 v78, 0, v46, s0
	v_cmp_gt_i32_e64 s0, s21, v71
	v_perm_b32 v46, v40, v41, 0x5040100
	v_perm_b32 v48, v78, v48, 0x5040100
	s_delay_alu instid0(VALU_DEP_3) | instskip(SKIP_1) | instid1(VALU_DEP_1)
	v_cndmask_b32_e64 v49, 0, v49, s0
	v_cmp_gt_i32_e64 s0, s11, v1
	v_cndmask_b32_e64 v77, 0, v77, s0
	s_delay_alu instid0(VALU_DEP_1)
	v_perm_b32 v49, v77, v49, 0x5040100
	s_or_b32 exec_lo, exec_lo, s12
	global_load_b128 v[38:41], v[38:39], off offset:4608
	s_wait_xcnt 0x0
	s_and_saveexec_b32 s0, vcc_lo
	s_cbranch_execz .LBB155_35
.LBB155_55:                             ;   in Loop: Header=BB155_36 Depth=1
	v_cmp_gt_i32_e32 vcc_lo, s21, v67
	s_wait_loadcnt 0x0
	v_dual_lshrrev_b32 v76, 16, v38 :: v_dual_cndmask_b32 v38, 0, v38, vcc_lo
	v_cmp_gt_i32_e32 vcc_lo, s11, v74
	s_delay_alu instid0(VALU_DEP_2) | instskip(SKIP_1) | instid1(VALU_DEP_2)
	v_dual_cndmask_b32 v74, 0, v76 :: v_dual_lshrrev_b32 v77, 16, v39
	v_cmp_gt_i32_e32 vcc_lo, s21, v75
	v_perm_b32 v38, v74, v38, 0x5040100
	v_cndmask_b32_e32 v39, 0, v39, vcc_lo
	v_cmp_gt_i32_e32 vcc_lo, s11, v73
	v_cndmask_b32_e32 v73, 0, v77, vcc_lo
	v_cmp_gt_i32_e32 vcc_lo, s21, v72
	v_lshrrev_b32_e32 v75, 16, v40
	s_delay_alu instid0(VALU_DEP_3) | instskip(SKIP_2) | instid1(VALU_DEP_4)
	v_perm_b32 v39, v73, v39, 0x5040100
	v_cndmask_b32_e32 v40, 0, v40, vcc_lo
	v_cmp_gt_i32_e32 vcc_lo, s11, v70
	v_dual_lshrrev_b32 v72, 16, v41 :: v_dual_cndmask_b32 v70, 0, v75, vcc_lo
	v_cmp_gt_i32_e32 vcc_lo, s21, v71
	s_delay_alu instid0(VALU_DEP_2) | instskip(SKIP_3) | instid1(VALU_DEP_1)
	v_perm_b32 v40, v70, v40, 0x5040100
	v_cndmask_b32_e32 v41, 0, v41, vcc_lo
	v_cmp_gt_i32_e32 vcc_lo, s11, v1
	v_cndmask_b32_e32 v1, 0, v72, vcc_lo
	v_perm_b32 v41, v1, v41, 0x5040100
	s_branch .LBB155_35
.LBB155_56:
	s_or_b32 exec_lo, exec_lo, s10
.LBB155_57:
	s_delay_alu instid0(SALU_CYCLE_1)
	s_or_b32 exec_lo, exec_lo, s1
	ds_bpermute_b32 v2, v65, v58
	ds_bpermute_b32 v3, v65, v59
	;; [unrolled: 1-line block ×10, first 2 shown]
	v_and_b32_e32 v1, 28, v127
	v_and_b32_e32 v24, 0x3c3, v0
	s_mov_b32 s0, exec_lo
	s_wait_dscnt 0x0
	s_barrier_signal -1
	s_barrier_wait -1
	v_pk_add_f32 v[2:3], v[58:59], v[2:3]
	v_pk_add_f32 v[4:5], v[56:57], v[4:5]
	v_pk_add_f32 v[14:15], v[54:55], v[6:7]
	ds_bpermute_b32 v6, v64, v2
	v_pk_add_f32 v[16:17], v[52:53], v[8:9]
	ds_bpermute_b32 v7, v64, v3
	v_pk_add_f32 v[10:11], v[50:51], v[10:11]
	ds_bpermute_b32 v18, v64, v4
	ds_bpermute_b32 v19, v64, v5
	;; [unrolled: 1-line block ×8, first 2 shown]
	s_wait_dscnt 0x8
	v_pk_add_f32 v[8:9], v[2:3], v[6:7]
	s_wait_dscnt 0x6
	v_pk_add_f32 v[6:7], v[4:5], v[18:19]
	;; [unrolled: 2-line block ×4, first 2 shown]
	v_cmpx_ne_u32_e32 64, v24
	s_xor_b32 s0, exec_lo, s0
	s_delay_alu instid0(SALU_CYCLE_1)
	s_or_saveexec_b32 s0, s0
	s_wait_dscnt 0x0
	v_pk_add_f32 v[10:11], v[10:11], v[12:13]
	v_lshrrev_b32_e32 v13, 2, v127
	v_add_nc_u32_e32 v12, 0xc0, v1
	v_mul_u32_u24_e32 v1, 0x140, v126
	s_xor_b32 exec_lo, exec_lo, s0
	s_cbranch_execz .LBB155_59
; %bb.58:
	s_delay_alu instid0(VALU_DEP_1) | instskip(NEXT) | instid1(VALU_DEP_1)
	v_add_nc_u32_e32 v14, v12, v1
	v_add_nc_u32_e32 v15, 0xfffffd80, v14
	;; [unrolled: 1-line block ×11, first 2 shown]
	ds_store_b32 v15, v8
	ds_store_b32 v16, v9
	;; [unrolled: 1-line block ×10, first 2 shown]
.LBB155_59:
	s_or_b32 exec_lo, exec_lo, s0
	v_lshlrev_b32_e32 v13, 2, v13
	s_mov_b32 s1, exec_lo
	v_cmp_eq_u32_e32 vcc_lo, 0, v66
	s_wait_dscnt 0x0
	s_barrier_signal -1
	v_add3_u32 v1, 0xc0, v1, v13
	s_barrier_wait -1
	v_cmpx_gt_u32_e32 64, v0
	s_cbranch_execz .LBB155_72
; %bb.60:
	s_and_saveexec_b32 s0, vcc_lo
	s_cbranch_execnz .LBB155_90
; %bb.61:
	s_or_b32 exec_lo, exec_lo, s0
	s_and_saveexec_b32 s0, vcc_lo
	s_cbranch_execnz .LBB155_91
.LBB155_62:
	s_or_b32 exec_lo, exec_lo, s0
	s_and_saveexec_b32 s0, vcc_lo
	s_cbranch_execnz .LBB155_92
.LBB155_63:
	s_or_b32 exec_lo, exec_lo, s0
	s_and_saveexec_b32 s0, vcc_lo
	s_cbranch_execnz .LBB155_93
.LBB155_64:
	s_or_b32 exec_lo, exec_lo, s0
	s_and_saveexec_b32 s0, vcc_lo
	s_cbranch_execnz .LBB155_94
.LBB155_65:
	s_or_b32 exec_lo, exec_lo, s0
	s_and_saveexec_b32 s0, vcc_lo
	s_cbranch_execnz .LBB155_95
.LBB155_66:
	s_or_b32 exec_lo, exec_lo, s0
	s_and_saveexec_b32 s0, vcc_lo
	s_cbranch_execnz .LBB155_96
.LBB155_67:
	s_or_b32 exec_lo, exec_lo, s0
	s_and_saveexec_b32 s0, vcc_lo
	s_cbranch_execnz .LBB155_97
.LBB155_68:
	s_or_b32 exec_lo, exec_lo, s0
	s_and_saveexec_b32 s0, vcc_lo
	s_cbranch_execnz .LBB155_98
.LBB155_69:
	s_or_b32 exec_lo, exec_lo, s0
	s_and_saveexec_b32 s0, vcc_lo
	s_cbranch_execz .LBB155_71
.LBB155_70:
	ds_load_b32 v13, v1 offset:288
	s_wait_dscnt 0x0
	v_add_f32_e32 v11, v11, v13
.LBB155_71:
	s_or_b32 exec_lo, exec_lo, s0
.LBB155_72:
	s_delay_alu instid0(SALU_CYCLE_1) | instskip(SKIP_4) | instid1(VALU_DEP_1)
	s_or_b32 exec_lo, exec_lo, s1
	v_and_b32_e32 v13, 0x3e3, v0
	s_mov_b32 s1, exec_lo
	s_barrier_signal -1
	s_barrier_wait -1
	v_cmpx_eq_u32_e32 32, v13
	s_cbranch_execz .LBB155_74
; %bb.73:
	ds_store_2addr_b32 v12, v8, v9 offset1:8
	ds_store_2addr_b32 v12, v6, v7 offset0:16 offset1:24
	ds_store_2addr_b32 v12, v4, v5 offset0:32 offset1:40
	;; [unrolled: 1-line block ×4, first 2 shown]
.LBB155_74:
	s_or_b32 exec_lo, exec_lo, s1
	s_delay_alu instid0(SALU_CYCLE_1)
	s_mov_b32 s1, exec_lo
	s_wait_dscnt 0x0
	s_barrier_signal -1
	s_barrier_wait -1
	v_cmpx_gt_u32_e32 32, v0
	s_cbranch_execz .LBB155_87
; %bb.75:
	s_and_saveexec_b32 s0, vcc_lo
	s_cbranch_execnz .LBB155_99
; %bb.76:
	s_or_b32 exec_lo, exec_lo, s0
	s_and_saveexec_b32 s0, vcc_lo
	s_cbranch_execnz .LBB155_100
.LBB155_77:
	s_or_b32 exec_lo, exec_lo, s0
	s_and_saveexec_b32 s0, vcc_lo
	s_cbranch_execnz .LBB155_101
.LBB155_78:
	s_or_b32 exec_lo, exec_lo, s0
	s_and_saveexec_b32 s0, vcc_lo
	s_cbranch_execnz .LBB155_102
.LBB155_79:
	s_or_b32 exec_lo, exec_lo, s0
	s_and_saveexec_b32 s0, vcc_lo
	s_cbranch_execnz .LBB155_103
.LBB155_80:
	s_or_b32 exec_lo, exec_lo, s0
	s_and_saveexec_b32 s0, vcc_lo
	s_cbranch_execnz .LBB155_104
.LBB155_81:
	s_or_b32 exec_lo, exec_lo, s0
	s_and_saveexec_b32 s0, vcc_lo
	s_cbranch_execnz .LBB155_105
.LBB155_82:
	s_or_b32 exec_lo, exec_lo, s0
	s_and_saveexec_b32 s0, vcc_lo
	s_cbranch_execnz .LBB155_106
.LBB155_83:
	s_or_b32 exec_lo, exec_lo, s0
	s_and_saveexec_b32 s0, vcc_lo
	s_cbranch_execnz .LBB155_107
.LBB155_84:
	s_or_b32 exec_lo, exec_lo, s0
	s_and_saveexec_b32 s0, vcc_lo
	s_cbranch_execz .LBB155_86
.LBB155_85:
	ds_load_b32 v1, v1 offset:288
	s_wait_dscnt 0x0
	v_add_f32_e32 v11, v11, v1
.LBB155_86:
	s_or_b32 exec_lo, exec_lo, s0
.LBB155_87:
	s_delay_alu instid0(SALU_CYCLE_1)
	s_or_b32 exec_lo, exec_lo, s1
	s_mov_b32 s1, 0
	s_barrier_signal -1
	s_barrier_wait -1
	s_mov_b32 s0, exec_lo
	v_cmpx_eq_u32_e32 0, v13
	s_cbranch_execz .LBB155_89
; %bb.88:
	s_mul_i32 s0, s20, s4
	s_mul_i32 s2, s4, s8
	;; [unrolled: 1-line block ×3, first 2 shown]
	s_lshr_b32 s8, ttmp7, 16
	s_mul_i32 s4, s0, 0x50
	s_bfe_u32 s0, ttmp6, 0x40014
	s_ashr_i32 s5, s4, 31
	s_add_co_i32 s0, s0, 1
	s_ashr_i32 s3, s2, 31
	s_mul_i32 s0, s8, s0
	s_bfe_u32 s9, ttmp6, 0x40008
	s_lshl_b64 s[4:5], s[4:5], 1
	s_lshl_b64 s[2:3], s[2:3], 1
	s_add_co_i32 s9, s9, s0
	s_cmp_eq_u32 s18, 0
	s_wait_kmcnt 0x0
	s_add_nc_u64 s[4:5], s[6:7], s[4:5]
	s_cselect_b32 s0, s8, s9
	s_add_nc_u64 s[2:3], s[4:5], s[2:3]
	s_mulk_i32 s0, 0xa0
	v_lshrrev_b32_e32 v0, 1, v0
	s_add_nc_u64 s[0:1], s[2:3], s[0:1]
	s_delay_alu instid0(SALU_CYCLE_1)
	v_cvt_pk_bf16_f32 v1, v8, s0
	v_cvt_pk_bf16_f32 v8, v9, s0
	;; [unrolled: 1-line block ×10, first 2 shown]
	s_clause 0x9
	global_store_b16 v0, v1, s[0:1]
	global_store_b16 v0, v8, s[0:1] offset:16
	global_store_b16 v0, v6, s[0:1] offset:32
	;; [unrolled: 1-line block ×9, first 2 shown]
.LBB155_89:
	s_sendmsg sendmsg(MSG_DEALLOC_VGPRS)
	s_endpgm
.LBB155_90:
	ds_load_b32 v13, v1
	s_wait_dscnt 0x0
	v_add_f32_e32 v8, v8, v13
	s_or_b32 exec_lo, exec_lo, s0
	s_and_saveexec_b32 s0, vcc_lo
	s_cbranch_execz .LBB155_62
.LBB155_91:
	ds_load_b32 v13, v1 offset:32
	s_wait_dscnt 0x0
	v_add_f32_e32 v9, v9, v13
	s_or_b32 exec_lo, exec_lo, s0
	s_and_saveexec_b32 s0, vcc_lo
	s_cbranch_execz .LBB155_63
.LBB155_92:
	ds_load_b32 v13, v1 offset:64
	s_wait_dscnt 0x0
	v_add_f32_e32 v6, v6, v13
	s_or_b32 exec_lo, exec_lo, s0
	s_and_saveexec_b32 s0, vcc_lo
	s_cbranch_execz .LBB155_64
.LBB155_93:
	ds_load_b32 v13, v1 offset:96
	s_wait_dscnt 0x0
	v_add_f32_e32 v7, v7, v13
	s_or_b32 exec_lo, exec_lo, s0
	s_and_saveexec_b32 s0, vcc_lo
	s_cbranch_execz .LBB155_65
.LBB155_94:
	ds_load_b32 v13, v1 offset:128
	s_wait_dscnt 0x0
	v_add_f32_e32 v4, v4, v13
	s_or_b32 exec_lo, exec_lo, s0
	s_and_saveexec_b32 s0, vcc_lo
	s_cbranch_execz .LBB155_66
.LBB155_95:
	ds_load_b32 v13, v1 offset:160
	s_wait_dscnt 0x0
	v_add_f32_e32 v5, v5, v13
	s_or_b32 exec_lo, exec_lo, s0
	s_and_saveexec_b32 s0, vcc_lo
	s_cbranch_execz .LBB155_67
.LBB155_96:
	ds_load_b32 v13, v1 offset:192
	s_wait_dscnt 0x0
	v_add_f32_e32 v2, v2, v13
	s_or_b32 exec_lo, exec_lo, s0
	s_and_saveexec_b32 s0, vcc_lo
	s_cbranch_execz .LBB155_68
.LBB155_97:
	ds_load_b32 v13, v1 offset:224
	s_wait_dscnt 0x0
	v_add_f32_e32 v3, v3, v13
	s_or_b32 exec_lo, exec_lo, s0
	s_and_saveexec_b32 s0, vcc_lo
	s_cbranch_execz .LBB155_69
.LBB155_98:
	ds_load_b32 v13, v1 offset:256
	s_wait_dscnt 0x0
	v_add_f32_e32 v10, v10, v13
	s_or_b32 exec_lo, exec_lo, s0
	s_and_saveexec_b32 s0, vcc_lo
	s_cbranch_execnz .LBB155_70
	s_branch .LBB155_71
.LBB155_99:
	ds_load_b32 v12, v1
	s_wait_dscnt 0x0
	v_add_f32_e32 v8, v8, v12
	s_or_b32 exec_lo, exec_lo, s0
	s_and_saveexec_b32 s0, vcc_lo
	s_cbranch_execz .LBB155_77
.LBB155_100:
	ds_load_b32 v12, v1 offset:32
	s_wait_dscnt 0x0
	v_add_f32_e32 v9, v9, v12
	s_or_b32 exec_lo, exec_lo, s0
	s_and_saveexec_b32 s0, vcc_lo
	s_cbranch_execz .LBB155_78
.LBB155_101:
	ds_load_b32 v12, v1 offset:64
	s_wait_dscnt 0x0
	v_add_f32_e32 v6, v6, v12
	s_or_b32 exec_lo, exec_lo, s0
	s_and_saveexec_b32 s0, vcc_lo
	s_cbranch_execz .LBB155_79
.LBB155_102:
	ds_load_b32 v12, v1 offset:96
	s_wait_dscnt 0x0
	v_add_f32_e32 v7, v7, v12
	s_or_b32 exec_lo, exec_lo, s0
	s_and_saveexec_b32 s0, vcc_lo
	s_cbranch_execz .LBB155_80
.LBB155_103:
	ds_load_b32 v12, v1 offset:128
	s_wait_dscnt 0x0
	v_add_f32_e32 v4, v4, v12
	s_or_b32 exec_lo, exec_lo, s0
	s_and_saveexec_b32 s0, vcc_lo
	s_cbranch_execz .LBB155_81
.LBB155_104:
	ds_load_b32 v12, v1 offset:160
	s_wait_dscnt 0x0
	v_add_f32_e32 v5, v5, v12
	s_or_b32 exec_lo, exec_lo, s0
	s_and_saveexec_b32 s0, vcc_lo
	s_cbranch_execz .LBB155_82
.LBB155_105:
	ds_load_b32 v12, v1 offset:192
	s_wait_dscnt 0x0
	v_add_f32_e32 v2, v2, v12
	s_or_b32 exec_lo, exec_lo, s0
	s_and_saveexec_b32 s0, vcc_lo
	s_cbranch_execz .LBB155_83
.LBB155_106:
	ds_load_b32 v12, v1 offset:224
	s_wait_dscnt 0x0
	v_add_f32_e32 v3, v3, v12
	s_or_b32 exec_lo, exec_lo, s0
	s_and_saveexec_b32 s0, vcc_lo
	s_cbranch_execz .LBB155_84
.LBB155_107:
	ds_load_b32 v12, v1 offset:256
	s_wait_dscnt 0x0
	v_add_f32_e32 v10, v10, v12
	s_or_b32 exec_lo, exec_lo, s0
	s_and_saveexec_b32 s0, vcc_lo
	s_cbranch_execnz .LBB155_85
	s_branch .LBB155_86
	.section	.rodata,"a",@progbits
	.p2align	6, 0x0
	.amdhsa_kernel _ZN4vllm25paged_attention_v1_kernelI14__hip_bfloat16S1_Li80ELi32ELi128ELNS_18Fp8KVCacheDataTypeE0ELb0EEEvPT_PKS3_PKT0_S9_ifPKiSB_iPKfiiiSD_SD_iiiii
		.amdhsa_group_segment_fixed_size 192
		.amdhsa_private_segment_fixed_size 40
		.amdhsa_kernarg_size 384
		.amdhsa_user_sgpr_count 2
		.amdhsa_user_sgpr_dispatch_ptr 0
		.amdhsa_user_sgpr_queue_ptr 0
		.amdhsa_user_sgpr_kernarg_segment_ptr 1
		.amdhsa_user_sgpr_dispatch_id 0
		.amdhsa_user_sgpr_kernarg_preload_length 0
		.amdhsa_user_sgpr_kernarg_preload_offset 0
		.amdhsa_user_sgpr_private_segment_size 0
		.amdhsa_wavefront_size32 1
		.amdhsa_uses_dynamic_stack 0
		.amdhsa_enable_private_segment 1
		.amdhsa_system_sgpr_workgroup_id_x 1
		.amdhsa_system_sgpr_workgroup_id_y 1
		.amdhsa_system_sgpr_workgroup_id_z 1
		.amdhsa_system_sgpr_workgroup_info 0
		.amdhsa_system_vgpr_workitem_id 0
		.amdhsa_next_free_vgpr 128
		.amdhsa_next_free_sgpr 28
		.amdhsa_named_barrier_count 0
		.amdhsa_reserve_vcc 1
		.amdhsa_float_round_mode_32 0
		.amdhsa_float_round_mode_16_64 0
		.amdhsa_float_denorm_mode_32 3
		.amdhsa_float_denorm_mode_16_64 3
		.amdhsa_fp16_overflow 0
		.amdhsa_memory_ordered 1
		.amdhsa_forward_progress 1
		.amdhsa_inst_pref_size 83
		.amdhsa_round_robin_scheduling 0
		.amdhsa_exception_fp_ieee_invalid_op 0
		.amdhsa_exception_fp_denorm_src 0
		.amdhsa_exception_fp_ieee_div_zero 0
		.amdhsa_exception_fp_ieee_overflow 0
		.amdhsa_exception_fp_ieee_underflow 0
		.amdhsa_exception_fp_ieee_inexact 0
		.amdhsa_exception_int_div_zero 0
	.end_amdhsa_kernel
	.section	.text._ZN4vllm25paged_attention_v1_kernelI14__hip_bfloat16S1_Li80ELi32ELi128ELNS_18Fp8KVCacheDataTypeE0ELb0EEEvPT_PKS3_PKT0_S9_ifPKiSB_iPKfiiiSD_SD_iiiii,"axG",@progbits,_ZN4vllm25paged_attention_v1_kernelI14__hip_bfloat16S1_Li80ELi32ELi128ELNS_18Fp8KVCacheDataTypeE0ELb0EEEvPT_PKS3_PKT0_S9_ifPKiSB_iPKfiiiSD_SD_iiiii,comdat
.Lfunc_end155:
	.size	_ZN4vllm25paged_attention_v1_kernelI14__hip_bfloat16S1_Li80ELi32ELi128ELNS_18Fp8KVCacheDataTypeE0ELb0EEEvPT_PKS3_PKT0_S9_ifPKiSB_iPKfiiiSD_SD_iiiii, .Lfunc_end155-_ZN4vllm25paged_attention_v1_kernelI14__hip_bfloat16S1_Li80ELi32ELi128ELNS_18Fp8KVCacheDataTypeE0ELb0EEEvPT_PKS3_PKT0_S9_ifPKiSB_iPKfiiiSD_SD_iiiii
                                        ; -- End function
	.set _ZN4vllm25paged_attention_v1_kernelI14__hip_bfloat16S1_Li80ELi32ELi128ELNS_18Fp8KVCacheDataTypeE0ELb0EEEvPT_PKS3_PKT0_S9_ifPKiSB_iPKfiiiSD_SD_iiiii.num_vgpr, 128
	.set _ZN4vllm25paged_attention_v1_kernelI14__hip_bfloat16S1_Li80ELi32ELi128ELNS_18Fp8KVCacheDataTypeE0ELb0EEEvPT_PKS3_PKT0_S9_ifPKiSB_iPKfiiiSD_SD_iiiii.num_agpr, 0
	.set _ZN4vllm25paged_attention_v1_kernelI14__hip_bfloat16S1_Li80ELi32ELi128ELNS_18Fp8KVCacheDataTypeE0ELb0EEEvPT_PKS3_PKT0_S9_ifPKiSB_iPKfiiiSD_SD_iiiii.numbered_sgpr, 28
	.set _ZN4vllm25paged_attention_v1_kernelI14__hip_bfloat16S1_Li80ELi32ELi128ELNS_18Fp8KVCacheDataTypeE0ELb0EEEvPT_PKS3_PKT0_S9_ifPKiSB_iPKfiiiSD_SD_iiiii.num_named_barrier, 0
	.set _ZN4vllm25paged_attention_v1_kernelI14__hip_bfloat16S1_Li80ELi32ELi128ELNS_18Fp8KVCacheDataTypeE0ELb0EEEvPT_PKS3_PKT0_S9_ifPKiSB_iPKfiiiSD_SD_iiiii.private_seg_size, 40
	.set _ZN4vllm25paged_attention_v1_kernelI14__hip_bfloat16S1_Li80ELi32ELi128ELNS_18Fp8KVCacheDataTypeE0ELb0EEEvPT_PKS3_PKT0_S9_ifPKiSB_iPKfiiiSD_SD_iiiii.uses_vcc, 1
	.set _ZN4vllm25paged_attention_v1_kernelI14__hip_bfloat16S1_Li80ELi32ELi128ELNS_18Fp8KVCacheDataTypeE0ELb0EEEvPT_PKS3_PKT0_S9_ifPKiSB_iPKfiiiSD_SD_iiiii.uses_flat_scratch, 0
	.set _ZN4vllm25paged_attention_v1_kernelI14__hip_bfloat16S1_Li80ELi32ELi128ELNS_18Fp8KVCacheDataTypeE0ELb0EEEvPT_PKS3_PKT0_S9_ifPKiSB_iPKfiiiSD_SD_iiiii.has_dyn_sized_stack, 0
	.set _ZN4vllm25paged_attention_v1_kernelI14__hip_bfloat16S1_Li80ELi32ELi128ELNS_18Fp8KVCacheDataTypeE0ELb0EEEvPT_PKS3_PKT0_S9_ifPKiSB_iPKfiiiSD_SD_iiiii.has_recursion, 0
	.set _ZN4vllm25paged_attention_v1_kernelI14__hip_bfloat16S1_Li80ELi32ELi128ELNS_18Fp8KVCacheDataTypeE0ELb0EEEvPT_PKS3_PKT0_S9_ifPKiSB_iPKfiiiSD_SD_iiiii.has_indirect_call, 0
	.section	.AMDGPU.csdata,"",@progbits
; Kernel info:
; codeLenInByte = 10508
; TotalNumSgprs: 30
; NumVgprs: 128
; ScratchSize: 40
; MemoryBound: 0
; FloatMode: 240
; IeeeMode: 1
; LDSByteSize: 192 bytes/workgroup (compile time only)
; SGPRBlocks: 0
; VGPRBlocks: 7
; NumSGPRsForWavesPerEU: 30
; NumVGPRsForWavesPerEU: 128
; NamedBarCnt: 0
; Occupancy: 8
; WaveLimiterHint : 1
; COMPUTE_PGM_RSRC2:SCRATCH_EN: 1
; COMPUTE_PGM_RSRC2:USER_SGPR: 2
; COMPUTE_PGM_RSRC2:TRAP_HANDLER: 0
; COMPUTE_PGM_RSRC2:TGID_X_EN: 1
; COMPUTE_PGM_RSRC2:TGID_Y_EN: 1
; COMPUTE_PGM_RSRC2:TGID_Z_EN: 1
; COMPUTE_PGM_RSRC2:TIDIG_COMP_CNT: 0
	.section	.text._ZN4vllm25paged_attention_v1_kernelI14__hip_bfloat16S1_Li96ELi32ELi128ELNS_18Fp8KVCacheDataTypeE0ELb0EEEvPT_PKS3_PKT0_S9_ifPKiSB_iPKfiiiSD_SD_iiiii,"axG",@progbits,_ZN4vllm25paged_attention_v1_kernelI14__hip_bfloat16S1_Li96ELi32ELi128ELNS_18Fp8KVCacheDataTypeE0ELb0EEEvPT_PKS3_PKT0_S9_ifPKiSB_iPKfiiiSD_SD_iiiii,comdat
	.protected	_ZN4vllm25paged_attention_v1_kernelI14__hip_bfloat16S1_Li96ELi32ELi128ELNS_18Fp8KVCacheDataTypeE0ELb0EEEvPT_PKS3_PKT0_S9_ifPKiSB_iPKfiiiSD_SD_iiiii ; -- Begin function _ZN4vllm25paged_attention_v1_kernelI14__hip_bfloat16S1_Li96ELi32ELi128ELNS_18Fp8KVCacheDataTypeE0ELb0EEEvPT_PKS3_PKT0_S9_ifPKiSB_iPKfiiiSD_SD_iiiii
	.globl	_ZN4vllm25paged_attention_v1_kernelI14__hip_bfloat16S1_Li96ELi32ELi128ELNS_18Fp8KVCacheDataTypeE0ELb0EEEvPT_PKS3_PKT0_S9_ifPKiSB_iPKfiiiSD_SD_iiiii
	.p2align	8
	.type	_ZN4vllm25paged_attention_v1_kernelI14__hip_bfloat16S1_Li96ELi32ELi128ELNS_18Fp8KVCacheDataTypeE0ELb0EEEvPT_PKS3_PKT0_S9_ifPKiSB_iPKfiiiSD_SD_iiiii,@function
_ZN4vllm25paged_attention_v1_kernelI14__hip_bfloat16S1_Li96ELi32ELi128ELNS_18Fp8KVCacheDataTypeE0ELb0EEEvPT_PKS3_PKT0_S9_ifPKiSB_iPKfiiiSD_SD_iiiii: ; @_ZN4vllm25paged_attention_v1_kernelI14__hip_bfloat16S1_Li96ELi32ELi128ELNS_18Fp8KVCacheDataTypeE0ELb0EEEvPT_PKS3_PKT0_S9_ifPKiSB_iPKfiiiSD_SD_iiiii
; %bb.0:
	s_load_b64 s[6:7], s[0:1], 0x20
	s_bfe_u32 s3, ttmp6, 0x4000c
	s_bfe_u32 s5, ttmp6, 0x40010
	s_and_b32 s4, ttmp7, 0xffff
	s_add_co_i32 s3, s3, 1
	s_add_co_i32 s5, s5, 1
	s_and_b32 s2, ttmp6, 15
	s_bfe_u32 s8, ttmp6, 0x40004
	s_mul_i32 s3, ttmp9, s3
	s_mul_i32 s5, s4, s5
	s_getreg_b32 s18, hwreg(HW_REG_IB_STS2, 6, 4)
	s_add_co_i32 s2, s2, s3
	s_add_co_i32 s8, s8, s5
	s_cmp_eq_u32 s18, 0
	v_mov_b32_e32 v71, v0
	s_cselect_b32 s20, s4, s8
	s_cselect_b32 s8, ttmp9, s2
	s_clause 0x1
	s_load_b32 s19, s[0:1], 0x80
	s_load_b64 s[10:11], s[0:1], 0x30
	s_wait_kmcnt 0x0
	s_abs_i32 s2, s6
	s_delay_alu instid0(SALU_CYCLE_1) | instskip(SKIP_1) | instid1(SALU_CYCLE_2)
	s_cvt_f32_u32 s3, s2
	s_sub_co_i32 s4, 0, s2
	v_rcp_iflag_f32_e32 v0, s3
	v_nop
	s_delay_alu instid0(TRANS32_DEP_1) | instskip(SKIP_2) | instid1(SALU_CYCLE_3)
	v_readfirstlane_b32 s3, v0
	s_abs_i32 s5, s19
	s_mul_f32 s3, s3, 0x4f7ffffe
	s_cvt_u32_f32 s3, s3
	s_delay_alu instid0(SALU_CYCLE_3) | instskip(NEXT) | instid1(SALU_CYCLE_1)
	s_mul_i32 s4, s4, s3
	s_mul_hi_u32 s4, s3, s4
	s_delay_alu instid0(SALU_CYCLE_1) | instskip(SKIP_4) | instid1(SALU_CYCLE_1)
	s_add_co_i32 s3, s3, s4
	s_xor_b32 s4, s19, s6
	s_mul_hi_u32 s3, s5, s3
	s_ashr_i32 s4, s4, 31
	s_mul_i32 s6, s3, s2
	s_sub_co_i32 s5, s5, s6
	s_add_co_i32 s6, s3, 1
	s_sub_co_i32 s9, s5, s2
	s_cmp_ge_u32 s5, s2
	s_cselect_b32 s3, s6, s3
	s_cselect_b32 s5, s9, s5
	s_add_co_i32 s6, s3, 1
	s_cmp_ge_u32 s5, s2
	s_cselect_b32 s2, s6, s3
	s_mov_b32 s3, 0
	s_xor_b32 s2, s2, s4
	s_mov_b32 s13, s3
	s_sub_co_i32 s15, s2, s4
	s_load_b64 s[4:5], s[0:1], 0x40
	s_abs_i32 s14, s15
	s_mov_b32 s22, s3
	s_cvt_f32_u32 s2, s14
	s_delay_alu instid0(SALU_CYCLE_3) | instskip(SKIP_1) | instid1(TRANS32_DEP_1)
	v_rcp_iflag_f32_e32 v0, s2
	v_nop
	v_readfirstlane_b32 s2, v0
	s_mul_f32 s2, s2, 0x4f7ffffe
	s_delay_alu instid0(SALU_CYCLE_3) | instskip(SKIP_1) | instid1(SALU_CYCLE_2)
	s_cvt_u32_f32 s6, s2
	s_sub_co_i32 s2, 0, s14
	s_mul_i32 s2, s2, s6
	s_delay_alu instid0(SALU_CYCLE_1)
	s_mul_hi_u32 s9, s6, s2
	s_abs_i32 s2, s8
	s_add_co_i32 s12, s6, s9
	s_wait_kmcnt 0x0
	s_cmp_eq_u64 s[4:5], 0
	s_cbranch_scc1 .LBB156_2
; %bb.1:
	s_ashr_i32 s9, s8, 31
	s_delay_alu instid0(SALU_CYCLE_1) | instskip(NEXT) | instid1(SALU_CYCLE_1)
	s_lshl_b64 s[16:17], s[8:9], 2
	s_add_nc_u64 s[4:5], s[4:5], s[16:17]
	s_load_b32 s22, s[4:5], 0x0
.LBB156_2:
	s_load_b32 s21, s[10:11], s20 offset:0x0 scale_offset
	s_wait_xcnt 0x0
	s_load_b96 s[4:6], s[0:1], 0x48
	v_lshlrev_b32_e32 v22, 4, v71
	s_ashr_i32 s10, s8, 31
	s_ashr_i32 s11, s15, 31
	s_mul_u64 s[12:13], s[2:3], s[12:13]
	s_mulk_i32 s8, 0x60
	s_mov_b32 s3, exec_lo
	v_cmpx_gt_u32_e32 12, v71
	s_cbranch_execz .LBB156_4
; %bb.3:
	s_load_b64 s[16:17], s[0:1], 0x8
	s_wait_kmcnt 0x0
	s_mul_i32 s24, s4, s20
	s_ashr_i32 s9, s8, 31
	s_ashr_i32 s25, s24, 31
	s_delay_alu instid0(SALU_CYCLE_1) | instskip(NEXT) | instid1(SALU_CYCLE_1)
	s_lshl_b64 s[24:25], s[24:25], 1
	s_add_nc_u64 s[16:17], s[16:17], s[24:25]
	s_lshl_b64 s[24:25], s[8:9], 1
	s_delay_alu instid0(SALU_CYCLE_1)
	s_add_nc_u64 s[16:17], s[16:17], s[24:25]
	global_load_b128 v[0:3], v71, s[16:17] scale_offset
	s_wait_loadcnt 0x0
	ds_store_b128 v22, v[0:3]
.LBB156_4:
	s_or_b32 exec_lo, exec_lo, s3
	s_wait_kmcnt 0x0
	s_add_co_i32 s3, s21, 31
	s_load_b32 s12, s[0:1], 0x38
	s_ashr_i32 s4, s3, 31
	s_mul_i32 s9, s13, s14
	s_lshr_b32 s4, s4, 27
	s_xor_b32 s15, s10, s11
	s_add_co_i32 s3, s3, s4
	s_clause 0x1
	s_load_b64 s[10:11], s[0:1], 0x28
	s_load_b32 s4, s[0:1], 0x88
	s_sub_co_i32 s2, s2, s9
	s_ashr_i32 s9, s3, 5
	s_add_co_i32 s3, s13, 1
	s_sub_co_i32 s16, s2, s14
	s_cmp_ge_u32 s2, s14
	v_dual_lshrrev_b32 v90, 5, v71 :: v_dual_bitop2_b32 v28, 31, v71 bitop3:0x40
	s_cselect_b32 s3, s3, s13
	s_cselect_b32 s2, s16, s2
	s_add_co_i32 s13, s3, 1
	s_cmp_ge_u32 s2, s14
	v_dual_mov_b32 v66, 0xff7fffff :: v_dual_lshrrev_b32 v29, 3, v71
	s_cselect_b32 s2, s13, s3
	v_lshlrev_b32_e32 v30, 2, v28
	s_xor_b32 s2, s2, s15
	s_wait_kmcnt 0x0
	s_mul_i32 s12, s12, s20
	s_sub_co_i32 s3, s2, s15
	v_cmp_gt_i32_e64 s2, s9, v90
	s_ashr_i32 s13, s12, 31
	s_mul_i32 s14, s3, s6
	s_wait_dscnt 0x0
	s_barrier_signal -1
	s_barrier_wait -1
	s_and_saveexec_b32 s6, s2
	s_cbranch_execz .LBB156_8
; %bb.5:
	v_mov_b32_e32 v19, 0
	s_load_b64 s[24:25], s[0:1], 0x10
	s_ashr_i32 s15, s14, 31
	s_ashr_i32 s17, s5, 31
	s_lshl_b64 s[26:27], s[14:15], 1
	ds_load_b128 v[20:23], v19
	ds_load_b128 v[24:27], v19 offset:16
	ds_load_b128 v[6:9], v19 offset:32
	;; [unrolled: 1-line block ×5, first 2 shown]
	s_cmp_neq_f32 s22, 0
	v_mov_b32_e32 v66, 0xff7fffff
	s_mov_b32 s16, s5
	s_mov_b32 s15, 0
	s_cselect_b32 vcc_lo, -1, 0
	s_sub_co_i32 s23, 1, s21
	scratch_store_b32 off, v30, off offset:144 ; 4-byte Folded Spill
	v_mov_b32_e32 v69, v90
	s_delay_alu instid0(VALU_DEP_1)
	v_lshl_or_b32 v68, v69, 5, v28
	s_wait_dscnt 0x5
	v_and_b32_e32 v1, 0xffff0000, v20
	s_wait_dscnt 0x3
	v_dual_lshlrev_b32 v0, 16, v20 :: v_dual_lshlrev_b32 v78, 16, v9
	s_wait_dscnt 0x1
	v_dual_lshlrev_b32 v82, 16, v5 :: v_dual_lshlrev_b32 v80, 16, v16
	s_wait_dscnt 0x0
	v_lshlrev_b32_e32 v84, 16, v12
	scratch_store_b64 off, v[0:1], off      ; 8-byte Folded Spill
	s_wait_xcnt 0x0
	v_and_b32_e32 v1, 0xffff0000, v21
	v_lshlrev_b32_e32 v0, 16, v21
	v_lshlrev_b32_e32 v86, 16, v17
	;; [unrolled: 1-line block ×3, first 2 shown]
	v_and_b32_e32 v79, 0xffff0000, v9
	v_and_b32_e32 v83, 0xffff0000, v5
	scratch_store_b64 off, v[0:1], off offset:8 ; 8-byte Folded Spill
	s_wait_xcnt 0x0
	v_and_b32_e32 v1, 0xffff0000, v22
	v_lshlrev_b32_e32 v0, 16, v22
	v_and_b32_e32 v81, 0xffff0000, v16
	v_and_b32_e32 v85, 0xffff0000, v12
	;; [unrolled: 1-line block ×4, first 2 shown]
	scratch_store_b64 off, v[0:1], off offset:16 ; 8-byte Folded Spill
	s_wait_xcnt 0x0
	v_and_b32_e32 v1, 0xffff0000, v23
	v_lshlrev_b32_e32 v0, 16, v23
	s_wait_kmcnt 0x0
	s_add_nc_u64 s[24:25], s[24:25], s[26:27]
	scratch_store_b64 off, v[0:1], off offset:24 ; 8-byte Folded Spill
	s_wait_xcnt 0x0
	v_and_b32_e32 v1, 0xffff0000, v24
	v_lshlrev_b32_e32 v0, 16, v24
	scratch_store_b64 off, v[0:1], off offset:32 ; 8-byte Folded Spill
	s_wait_xcnt 0x0
	v_and_b32_e32 v1, 0xffff0000, v25
	v_lshlrev_b32_e32 v0, 16, v25
	;; [unrolled: 4-line block ×4, first 2 shown]
	scratch_store_b64 off, v[0:1], off offset:56 ; 8-byte Folded Spill
	s_wait_xcnt 0x0
	v_and_b32_e32 v1, 0xffff0000, v6
	v_dual_lshlrev_b32 v0, 16, v6 :: v_dual_lshlrev_b32 v6, 16, v11
	scratch_store_b64 off, v[0:1], off offset:64 ; 8-byte Folded Spill
	s_wait_xcnt 0x0
	v_and_b32_e32 v1, 0xffff0000, v2
	v_lshlrev_b32_e32 v0, 16, v2
	scratch_store_b64 off, v[0:1], off offset:72 ; 8-byte Folded Spill
	s_wait_xcnt 0x0
	v_and_b32_e32 v1, 0xffff0000, v14
	v_lshlrev_b32_e32 v0, 16, v14
	;; [unrolled: 4-line block ×4, first 2 shown]
	v_and_b32_e32 v7, 0xffff0000, v11
	ds_load_b128 v[10:13], v19 offset:144
	s_clause 0x1
	scratch_store_b64 off, v[0:1], off offset:96
	scratch_store_b64 off, v[6:7], off offset:120
	s_wait_xcnt 0x1
	v_and_b32_e32 v1, 0xffff0000, v3
	v_lshlrev_b32_e32 v0, 16, v3
	s_wait_xcnt 0x0
	v_and_b32_e32 v7, 0xffff0000, v8
	v_lshlrev_b32_e32 v6, 16, v8
	scratch_store_b64 off, v[0:1], off offset:104 ; 8-byte Folded Spill
	s_wait_xcnt 0x0
	v_and_b32_e32 v1, 0xffff0000, v15
	v_lshlrev_b32_e32 v0, 16, v15
	scratch_store_b64 off, v[6:7], off offset:128 ; 8-byte Folded Spill
	s_wait_xcnt 0x0
	v_and_b32_e32 v7, 0xffff0000, v4
	v_lshlrev_b32_e32 v6, 16, v4
	ds_load_b128 v[14:17], v19 offset:128
	scratch_store_b64 off, v[0:1], off offset:112 ; 8-byte Folded Spill
	s_wait_xcnt 0x0
	ds_load_b128 v[0:3], v19 offset:96
	s_wait_dscnt 0x2
	v_and_b32_e32 v115, 0xffff0000, v10
	scratch_store_b64 off, v[6:7], off offset:136 ; 8-byte Folded Spill
	s_wait_xcnt 0x0
	ds_load_b128 v[6:9], v19 offset:112
	v_dual_lshlrev_b32 v114, 16, v10 :: v_dual_lshlrev_b32 v116, 16, v11
	v_and_b32_e32 v117, 0xffff0000, v11
	v_and_b32_e32 v119, 0xffff0000, v12
	v_dual_lshlrev_b32 v118, 16, v12 :: v_dual_lshlrev_b32 v120, 16, v13
	v_and_b32_e32 v121, 0xffff0000, v13
	s_wait_dscnt 0x2
	v_and_b32_e32 v107, 0xffff0000, v14
	v_dual_lshlrev_b32 v106, 16, v14 :: v_dual_lshlrev_b32 v108, 16, v15
	s_wait_dscnt 0x1
	v_and_b32_e32 v91, 0xffff0000, v0
	s_wait_dscnt 0x0
	v_dual_lshlrev_b32 v90, 16, v0 :: v_dual_lshlrev_b32 v100, 16, v7
	v_and_b32_e32 v93, 0xffff0000, v1
	v_lshlrev_b32_e32 v92, 16, v1
	v_and_b32_e32 v95, 0xffff0000, v2
	v_lshlrev_b32_e32 v94, 16, v2
	;; [unrolled: 2-line block ×4, first 2 shown]
	v_and_b32_e32 v101, 0xffff0000, v7
	ds_load_b128 v[0:3], v19 offset:160
	ds_load_b128 v[4:7], v19 offset:176
	v_lshlrev_b32_e32 v18, 4, v28
	v_and_b32_e32 v103, 0xffff0000, v8
	v_dual_lshlrev_b32 v102, 16, v8 :: v_dual_lshlrev_b32 v104, 16, v9
	v_and_b32_e32 v105, 0xffff0000, v9
	v_and_b32_e32 v109, 0xffff0000, v15
	;; [unrolled: 1-line block ×3, first 2 shown]
	v_dual_lshlrev_b32 v110, 16, v16 :: v_dual_lshlrev_b32 v112, 16, v17
	v_and_b32_e32 v113, 0xffff0000, v17
	s_wait_dscnt 0x1
	v_and_b32_e32 v127, 0xffff0000, v2
	s_wait_dscnt 0x0
	v_lshlrev_b32_e32 v46, 16, v6
	v_add_nc_u64_e32 v[50:51], s[24:25], v[18:19]
	v_and_b32_e32 v18, 0x7c, v29
	s_lshl_b64 s[24:25], s[12:13], 2
	v_dual_lshlrev_b32 v126, 16, v2 :: v_dual_lshlrev_b32 v42, 16, v3
	v_lshl_or_b32 v2, v69, 7, v30
	s_add_nc_u64 s[24:25], s[10:11], s[24:25]
	v_and_b32_e32 v123, 0xffff0000, v0
	v_add_nc_u64_e32 v[52:53], s[24:25], v[18:19]
	v_dual_lshlrev_b32 v122, 16, v0 :: v_dual_lshlrev_b32 v124, 16, v1
	v_and_b32_e32 v125, 0xffff0000, v1
	v_and_b32_e32 v43, 0xffff0000, v3
	;; [unrolled: 1-line block ×3, first 2 shown]
	v_dual_lshlrev_b32 v0, 16, v4 :: v_dual_lshlrev_b32 v44, 16, v5
	v_and_b32_e32 v45, 0xffff0000, v5
	v_and_b32_e32 v47, 0xffff0000, v6
	;; [unrolled: 1-line block ×3, first 2 shown]
	v_lshlrev_b32_e32 v48, 16, v7
	v_add_nc_u32_e32 v67, 0xe0, v2
.LBB156_6:                              ; =>This Inner Loop Header: Depth=1
	global_load_b32 v2, v[52:53], off
	v_cmp_gt_i32_e64 s3, s21, v68
	s_wait_xcnt 0x0
	v_add_nc_u64_e32 v[52:53], 16, v[52:53]
	s_wait_loadcnt 0x0
	v_dual_add_nc_u32 v69, 4, v69 :: v_dual_ashrrev_i32 v3, 31, v2
	s_delay_alu instid0(VALU_DEP_1) | instskip(NEXT) | instid1(VALU_DEP_1)
	v_mul_u64_e32 v[2:3], s[16:17], v[2:3]
	v_lshl_add_u64 v[54:55], v[2:3], 1, v[50:51]
	v_add_nc_u32_e32 v2, s23, v68
	v_add_nc_u32_e32 v68, 0x80, v68
	s_delay_alu instid0(VALU_DEP_2) | instskip(NEXT) | instid1(VALU_DEP_1)
	v_cvt_f32_i32_e32 v2, v2
	v_mul_f32_e32 v2, s22, v2
	s_delay_alu instid0(VALU_DEP_1)
	v_cndmask_b32_e32 v70, 0, v2, vcc_lo
	global_load_b128 v[2:5], v[54:55], off
	s_wait_loadcnt 0x0
	v_and_b32_e32 v73, 0xffff0000, v2
	v_lshlrev_b32_e32 v72, 16, v2
	v_and_b32_e32 v65, 0xffff0000, v3
	v_lshlrev_b32_e32 v64, 16, v3
	v_and_b32_e32 v61, 0xffff0000, v4
	v_dual_lshlrev_b32 v60, 16, v4 :: v_dual_lshlrev_b32 v56, 16, v5
	v_and_b32_e32 v57, 0xffff0000, v5
	global_load_b128 v[2:5], v[54:55], off offset:512
	s_wait_loadcnt 0x0
	v_and_b32_e32 v75, 0xffff0000, v2
	v_dual_lshlrev_b32 v74, 16, v2 :: v_dual_lshlrev_b32 v76, 16, v3
	v_and_b32_e32 v77, 0xffff0000, v3
	v_and_b32_e32 v63, 0xffff0000, v4
	v_dual_lshlrev_b32 v62, 16, v4 :: v_dual_lshlrev_b32 v58, 16, v5
	v_and_b32_e32 v59, 0xffff0000, v5
	s_clause 0x9
	global_load_b128 v[38:41], v[54:55], off offset:1024
	global_load_b128 v[34:37], v[54:55], off offset:1536
	;; [unrolled: 1-line block ×10, first 2 shown]
	scratch_load_b64 v[54:55], off, off offset:32 ; 8-byte Folded Reload
	s_wait_loadcnt 0x0
	v_pk_mul_f32 v[54:55], v[54:55], v[74:75]
	scratch_load_b64 v[74:75], off, off     ; 8-byte Folded Reload
	s_wait_loadcnt 0x0
	v_pk_fma_f32 v[54:55], v[74:75], v[72:73], v[54:55]
	scratch_load_b64 v[74:75], off, off offset:64 ; 8-byte Folded Reload
	v_and_b32_e32 v73, 0xffff0000, v38
	v_lshlrev_b32_e32 v72, 16, v38
	s_wait_loadcnt 0x0
	s_delay_alu instid0(VALU_DEP_1) | instskip(SKIP_4) | instid1(VALU_DEP_1)
	v_pk_fma_f32 v[54:55], v[74:75], v[72:73], v[54:55]
	scratch_load_b64 v[74:75], off, off offset:72 ; 8-byte Folded Reload
	v_and_b32_e32 v73, 0xffff0000, v34
	v_lshlrev_b32_e32 v72, 16, v34
	s_wait_loadcnt 0x0
	v_pk_fma_f32 v[54:55], v[74:75], v[72:73], v[54:55]
	scratch_load_b64 v[74:75], off, off offset:80 ; 8-byte Folded Reload
	v_and_b32_e32 v73, 0xffff0000, v30
	v_lshlrev_b32_e32 v72, 16, v30
	s_wait_loadcnt 0x0
	s_delay_alu instid0(VALU_DEP_1) | instskip(SKIP_4) | instid1(VALU_DEP_1)
	v_pk_fma_f32 v[54:55], v[74:75], v[72:73], v[54:55]
	scratch_load_b64 v[74:75], off, off offset:88 ; 8-byte Folded Reload
	v_and_b32_e32 v73, 0xffff0000, v26
	v_lshlrev_b32_e32 v72, 16, v26
	s_wait_loadcnt 0x0
	v_pk_fma_f32 v[54:55], v[74:75], v[72:73], v[54:55]
	v_and_b32_e32 v73, 0xffff0000, v22
	v_lshlrev_b32_e32 v72, 16, v22
	scratch_load_b64 v[74:75], off, off offset:8 ; 8-byte Folded Reload
	v_pk_fma_f32 v[54:55], v[90:91], v[72:73], v[54:55]
	v_and_b32_e32 v73, 0xffff0000, v18
	v_lshlrev_b32_e32 v72, 16, v18
	s_delay_alu instid0(VALU_DEP_1) | instskip(SKIP_2) | instid1(VALU_DEP_1)
	v_pk_fma_f32 v[54:55], v[98:99], v[72:73], v[54:55]
	v_and_b32_e32 v73, 0xffff0000, v14
	v_lshlrev_b32_e32 v72, 16, v14
	v_pk_fma_f32 v[54:55], v[106:107], v[72:73], v[54:55]
	v_and_b32_e32 v73, 0xffff0000, v10
	v_lshlrev_b32_e32 v72, 16, v10
	s_delay_alu instid0(VALU_DEP_1) | instskip(SKIP_2) | instid1(VALU_DEP_1)
	v_pk_fma_f32 v[54:55], v[114:115], v[72:73], v[54:55]
	v_and_b32_e32 v73, 0xffff0000, v6
	v_lshlrev_b32_e32 v72, 16, v6
	v_pk_fma_f32 v[54:55], v[122:123], v[72:73], v[54:55]
	v_and_b32_e32 v73, 0xffff0000, v2
	v_lshlrev_b32_e32 v72, 16, v2
	s_delay_alu instid0(VALU_DEP_1) | instskip(SKIP_3) | instid1(VALU_DEP_1)
	v_pk_fma_f32 v[54:55], v[0:1], v[72:73], v[54:55]
	scratch_load_b64 v[72:73], off, off offset:40 ; 8-byte Folded Reload
	s_wait_loadcnt 0x0
	v_pk_mul_f32 v[72:73], v[72:73], v[76:77]
	v_pk_fma_f32 v[64:65], v[74:75], v[64:65], v[72:73]
	v_and_b32_e32 v73, 0xffff0000, v39
	v_lshlrev_b32_e32 v72, 16, v39
	scratch_load_b64 v[38:39], off, off offset:96 ; 8-byte Folded Reload
	s_wait_loadcnt 0x0
	v_pk_fma_f32 v[38:39], v[38:39], v[72:73], v[64:65]
	v_and_b32_e32 v65, 0xffff0000, v35
	v_lshlrev_b32_e32 v64, 16, v35
	scratch_load_b64 v[34:35], off, off offset:104 ; 8-byte Folded Reload
	s_wait_loadcnt 0x0
	;; [unrolled: 5-line block ×4, first 2 shown]
	v_pk_fma_f32 v[26:27], v[26:27], v[34:35], v[30:31]
	v_and_b32_e32 v31, 0xffff0000, v23
	v_lshlrev_b32_e32 v30, 16, v23
	s_delay_alu instid0(VALU_DEP_1) | instskip(SKIP_2) | instid1(VALU_DEP_1)
	v_pk_fma_f32 v[22:23], v[92:93], v[30:31], v[26:27]
	v_and_b32_e32 v27, 0xffff0000, v19
	v_lshlrev_b32_e32 v26, 16, v19
	v_pk_fma_f32 v[18:19], v[100:101], v[26:27], v[22:23]
	v_and_b32_e32 v23, 0xffff0000, v15
	v_lshlrev_b32_e32 v22, 16, v15
	s_delay_alu instid0(VALU_DEP_1) | instskip(SKIP_2) | instid1(VALU_DEP_1)
	v_pk_fma_f32 v[14:15], v[108:109], v[22:23], v[18:19]
	v_and_b32_e32 v19, 0xffff0000, v11
	v_lshlrev_b32_e32 v18, 16, v11
	v_pk_fma_f32 v[10:11], v[116:117], v[18:19], v[14:15]
	v_and_b32_e32 v15, 0xffff0000, v7
	v_lshlrev_b32_e32 v14, 16, v7
	s_delay_alu instid0(VALU_DEP_1)
	v_pk_fma_f32 v[6:7], v[124:125], v[14:15], v[10:11]
	v_and_b32_e32 v11, 0xffff0000, v3
	v_lshlrev_b32_e32 v10, 16, v3
	scratch_load_b64 v[14:15], off, off offset:128 ; 8-byte Folded Reload
	v_pk_fma_f32 v[2:3], v[44:45], v[10:11], v[6:7]
	s_clause 0x1
	scratch_load_b64 v[6:7], off, off offset:48
	scratch_load_b64 v[10:11], off, off offset:16
	s_wait_loadcnt 0x1
	v_pk_mul_f32 v[6:7], v[6:7], v[62:63]
	s_wait_loadcnt 0x0
	s_delay_alu instid0(VALU_DEP_1) | instskip(SKIP_2) | instid1(VALU_DEP_1)
	v_pk_fma_f32 v[6:7], v[10:11], v[60:61], v[6:7]
	v_and_b32_e32 v11, 0xffff0000, v40
	v_lshlrev_b32_e32 v10, 16, v40
	v_pk_fma_f32 v[6:7], v[14:15], v[10:11], v[6:7]
	scratch_load_b64 v[14:15], off, off offset:136 ; 8-byte Folded Reload
	v_and_b32_e32 v11, 0xffff0000, v36
	v_lshlrev_b32_e32 v10, 16, v36
	s_wait_loadcnt 0x0
	s_delay_alu instid0(VALU_DEP_1)
	v_pk_fma_f32 v[6:7], v[14:15], v[10:11], v[6:7]
	v_and_b32_e32 v11, 0xffff0000, v32
	v_lshlrev_b32_e32 v10, 16, v32
	scratch_load_b64 v[14:15], off, off offset:24 ; 8-byte Folded Reload
	v_pk_fma_f32 v[6:7], v[80:81], v[10:11], v[6:7]
	v_and_b32_e32 v11, 0xffff0000, v28
	v_lshlrev_b32_e32 v10, 16, v28
	s_delay_alu instid0(VALU_DEP_1) | instskip(SKIP_2) | instid1(VALU_DEP_1)
	v_pk_fma_f32 v[6:7], v[84:85], v[10:11], v[6:7]
	v_and_b32_e32 v11, 0xffff0000, v24
	v_lshlrev_b32_e32 v10, 16, v24
	v_pk_fma_f32 v[6:7], v[94:95], v[10:11], v[6:7]
	v_and_b32_e32 v11, 0xffff0000, v20
	v_lshlrev_b32_e32 v10, 16, v20
	s_delay_alu instid0(VALU_DEP_1) | instskip(SKIP_2) | instid1(VALU_DEP_1)
	v_pk_fma_f32 v[6:7], v[102:103], v[10:11], v[6:7]
	v_and_b32_e32 v11, 0xffff0000, v16
	v_lshlrev_b32_e32 v10, 16, v16
	v_pk_fma_f32 v[6:7], v[110:111], v[10:11], v[6:7]
	v_and_b32_e32 v11, 0xffff0000, v12
	v_dual_lshlrev_b32 v10, 16, v12 :: v_dual_lshlrev_b32 v12, 16, v9
	s_delay_alu instid0(VALU_DEP_1) | instskip(SKIP_2) | instid1(VALU_DEP_1)
	v_pk_fma_f32 v[6:7], v[118:119], v[10:11], v[6:7]
	v_and_b32_e32 v11, 0xffff0000, v8
	v_lshlrev_b32_e32 v10, 16, v8
	v_pk_fma_f32 v[6:7], v[126:127], v[10:11], v[6:7]
	v_and_b32_e32 v11, 0xffff0000, v4
	v_lshlrev_b32_e32 v10, 16, v4
	s_delay_alu instid0(VALU_DEP_1) | instskip(SKIP_3) | instid1(VALU_DEP_1)
	v_pk_fma_f32 v[6:7], v[46:47], v[10:11], v[6:7]
	scratch_load_b64 v[10:11], off, off offset:56 ; 8-byte Folded Reload
	s_wait_loadcnt 0x0
	v_pk_mul_f32 v[10:11], v[10:11], v[58:59]
	v_pk_fma_f32 v[10:11], v[14:15], v[56:57], v[10:11]
	v_and_b32_e32 v15, 0xffff0000, v41
	v_lshlrev_b32_e32 v14, 16, v41
	s_delay_alu instid0(VALU_DEP_1) | instskip(SKIP_2) | instid1(VALU_DEP_1)
	v_pk_fma_f32 v[10:11], v[78:79], v[14:15], v[10:11]
	v_and_b32_e32 v15, 0xffff0000, v37
	v_lshlrev_b32_e32 v14, 16, v37
	v_pk_fma_f32 v[10:11], v[82:83], v[14:15], v[10:11]
	v_and_b32_e32 v15, 0xffff0000, v33
	v_lshlrev_b32_e32 v14, 16, v33
	s_delay_alu instid0(VALU_DEP_1) | instskip(SKIP_2) | instid1(VALU_DEP_1)
	v_pk_fma_f32 v[10:11], v[86:87], v[14:15], v[10:11]
	v_and_b32_e32 v15, 0xffff0000, v29
	v_lshlrev_b32_e32 v14, 16, v29
	;; [unrolled: 7-line block ×3, first 2 shown]
	v_pk_fma_f32 v[10:11], v[104:105], v[14:15], v[10:11]
	v_and_b32_e32 v15, 0xffff0000, v17
	v_lshlrev_b32_e32 v14, 16, v17
	s_delay_alu instid0(VALU_DEP_1) | instskip(SKIP_3) | instid1(VALU_DEP_2)
	v_pk_fma_f32 v[10:11], v[112:113], v[14:15], v[10:11]
	v_and_b32_e32 v15, 0xffff0000, v13
	v_lshlrev_b32_e32 v14, 16, v13
	v_and_b32_e32 v13, 0xffff0000, v9
	v_pk_fma_f32 v[10:11], v[120:121], v[14:15], v[10:11]
	s_delay_alu instid0(VALU_DEP_1) | instskip(SKIP_2) | instid1(VALU_DEP_1)
	v_pk_fma_f32 v[8:9], v[42:43], v[12:13], v[10:11]
	v_and_b32_e32 v11, 0xffff0000, v5
	v_lshlrev_b32_e32 v10, 16, v5
	v_pk_fma_f32 v[4:5], v[48:49], v[10:11], v[8:9]
	v_add_f32_e32 v8, v54, v55
	s_delay_alu instid0(VALU_DEP_1) | instskip(NEXT) | instid1(VALU_DEP_1)
	v_add_f32_e32 v2, v8, v2
	v_add_f32_e32 v2, v3, v2
	v_max_num_f32_e32 v3, v66, v66
	s_delay_alu instid0(VALU_DEP_2) | instskip(NEXT) | instid1(VALU_DEP_1)
	v_add_f32_e32 v2, v6, v2
	v_add_f32_e32 v2, v7, v2
	s_delay_alu instid0(VALU_DEP_1) | instskip(NEXT) | instid1(VALU_DEP_1)
	v_add_f32_e32 v2, v4, v2
	v_add_f32_e32 v2, v5, v2
	s_delay_alu instid0(VALU_DEP_1) | instskip(NEXT) | instid1(VALU_DEP_1)
	v_fmac_f32_e32 v70, s7, v2
	v_dual_cndmask_b32 v2, 0, v70, s3 :: v_dual_max_num_f32 v3, v3, v70
	ds_store_b32 v67, v2
	v_cndmask_b32_e64 v66, v66, v3, s3
	v_cmp_le_i32_e64 s3, s9, v69
	v_add_nc_u32_e32 v67, 0x200, v67
	s_or_b32 s15, s3, s15
	s_wait_xcnt 0x0
	s_and_not1_b32 exec_lo, exec_lo, s15
	s_cbranch_execnz .LBB156_6
; %bb.7:
	s_or_b32 exec_lo, exec_lo, s15
	scratch_load_b32 v30, off, off offset:144 ; 4-byte Folded Reload
	v_dual_lshrrev_b32 v90, 5, v71 :: v_dual_bitop2_b32 v28, 31, v71 bitop3:0x40
	v_dual_lshlrev_b32 v22, 4, v71 :: v_dual_lshrrev_b32 v29, 3, v71
.LBB156_8:
	s_wait_xcnt 0x0
	s_or_b32 exec_lo, exec_lo, s6
	v_mbcnt_lo_u32_b32 v3, -1, 0
	s_clause 0x1
	s_load_b64 s[6:7], s[0:1], 0x0
	s_load_b64 s[16:17], s[0:1], 0x18
	s_delay_alu instid0(VALU_DEP_1) | instskip(SKIP_1) | instid1(VALU_DEP_2)
	v_dual_max_num_f32 v4, v66, v66 :: v_dual_bitop2_b32 v0, 16, v3 bitop3:0x14
	v_xor_b32_e32 v2, 8, v3
	v_cmp_gt_i32_e32 vcc_lo, 32, v0
	v_cndmask_b32_e32 v0, v3, v0, vcc_lo
	s_delay_alu instid0(VALU_DEP_3) | instskip(NEXT) | instid1(VALU_DEP_2)
	v_cmp_gt_i32_e32 vcc_lo, 32, v2
	v_dual_lshlrev_b32 v0, 2, v0 :: v_dual_cndmask_b32 v2, v3, v2, vcc_lo
	ds_bpermute_b32 v1, v0, v66
	s_wait_dscnt 0x0
	v_dual_max_num_f32 v5, v1, v1 :: v_dual_lshlrev_b32 v1, 2, v2
	s_delay_alu instid0(VALU_DEP_1) | instskip(SKIP_4) | instid1(VALU_DEP_1)
	v_dual_max_num_f32 v4, v4, v5 :: v_dual_bitop2_b32 v5, 4, v3 bitop3:0x14
	ds_bpermute_b32 v2, v1, v4
	v_cmp_gt_i32_e32 vcc_lo, 32, v5
	s_wait_dscnt 0x0
	v_dual_cndmask_b32 v5, v3, v5 :: v_dual_max_num_f32 v6, v2, v2
	v_dual_lshlrev_b32 v2, 2, v5 :: v_dual_max_num_f32 v4, v4, v6
	ds_bpermute_b32 v5, v2, v4
	s_wait_dscnt 0x0
	v_dual_max_num_f32 v5, v5, v5 :: v_dual_bitop2_b32 v6, 2, v3 bitop3:0x14
	s_delay_alu instid0(VALU_DEP_1) | instskip(NEXT) | instid1(VALU_DEP_2)
	v_cmp_gt_i32_e32 vcc_lo, 32, v6
	v_dual_max_num_f32 v4, v4, v5 :: v_dual_cndmask_b32 v6, v3, v6, vcc_lo
	s_delay_alu instid0(VALU_DEP_1) | instskip(SKIP_4) | instid1(VALU_DEP_2)
	v_dual_lshlrev_b32 v75, 2, v6 :: v_dual_bitop2_b32 v6, 1, v3 bitop3:0x14
	ds_bpermute_b32 v5, v75, v4
	v_cmp_gt_i32_e32 vcc_lo, 32, v6
	v_cndmask_b32_e32 v3, v3, v6, vcc_lo
	v_cmp_eq_u32_e32 vcc_lo, 0, v28
	v_dual_lshlrev_b32 v74, 2, v3 :: v_dual_lshlrev_b32 v3, 2, v90
	s_wait_dscnt 0x0
	v_max_num_f32_e32 v5, v5, v5
	s_delay_alu instid0(VALU_DEP_1)
	v_max_num_f32_e32 v4, v4, v5
	ds_bpermute_b32 v5, v74, v4
	s_wait_xcnt 0x0
	s_and_saveexec_b32 s0, vcc_lo
	s_cbranch_execz .LBB156_10
; %bb.9:
	s_wait_dscnt 0x0
	v_dual_max_num_f32 v5, v5, v5 :: v_dual_max_num_f32 v4, v4, v4
	s_delay_alu instid0(VALU_DEP_1)
	v_max_num_f32_e32 v4, v4, v5
	ds_store_b32 v3, v4 offset:192
.LBB156_10:
	s_or_b32 exec_lo, exec_lo, s0
	v_cmp_gt_u32_e64 s0, 4, v28
	v_mov_b32_e32 v4, 0xff7fffff
	s_wait_storecnt 0x0
	s_wait_loadcnt_dscnt 0x0
	s_barrier_signal -1
	s_barrier_wait -1
	s_and_saveexec_b32 s1, s0
; %bb.11:
	ds_load_b32 v4, v30 offset:192
; %bb.12:
	s_or_b32 exec_lo, exec_lo, s1
	s_wait_dscnt 0x0
	ds_bpermute_b32 v5, v75, v4
	v_max_num_f32_e32 v4, v4, v4
	s_lshl_b32 s1, s9, 5
	s_delay_alu instid0(SALU_CYCLE_1) | instskip(NEXT) | instid1(SALU_CYCLE_1)
	s_min_i32 s15, s1, s21
	v_cmp_gt_i32_e64 s1, s15, v71
	s_wait_dscnt 0x0
	v_max_num_f32_e32 v5, v5, v5
	s_delay_alu instid0(VALU_DEP_1) | instskip(SKIP_3) | instid1(VALU_DEP_1)
	v_max_num_f32_e32 v4, v4, v5
	ds_bpermute_b32 v5, v74, v4
	s_wait_dscnt 0x0
	v_max_num_f32_e32 v5, v5, v5
	v_dual_max_num_f32 v5, v4, v5 :: v_dual_mov_b32 v4, 0
	ds_bpermute_b32 v5, v4, v5
	s_and_saveexec_b32 s22, s1
	s_cbranch_execz .LBB156_16
; %bb.13:
	v_lshl_add_u32 v6, v71, 2, 0xe0
	v_dual_mov_b32 v4, 0 :: v_dual_mov_b32 v7, v71
	s_mov_b32 s23, 0
.LBB156_14:                             ; =>This Inner Loop Header: Depth=1
	ds_load_b32 v8, v6
	v_add_nc_u32_e32 v7, 0x80, v7
	s_delay_alu instid0(VALU_DEP_1) | instskip(SKIP_3) | instid1(VALU_DEP_1)
	v_cmp_le_i32_e64 s3, s15, v7
	s_or_b32 s23, s3, s23
	s_wait_dscnt 0x0
	v_sub_f32_e32 v8, v8, v5
	v_mul_f32_e32 v8, 0x3fb8aa3b, v8
	s_delay_alu instid0(VALU_DEP_1)
	v_exp_f32_e32 v8, v8
	ds_store_b32 v6, v8
	v_nop
	v_add_f32_e32 v4, v4, v8
	v_add_nc_u32_e32 v6, 0x200, v6
	s_and_not1_b32 exec_lo, exec_lo, s23
	s_cbranch_execnz .LBB156_14
; %bb.15:
	s_or_b32 exec_lo, exec_lo, s23
.LBB156_16:
	s_delay_alu instid0(SALU_CYCLE_1)
	s_or_b32 exec_lo, exec_lo, s22
	ds_bpermute_b32 v0, v0, v4
	s_wait_dscnt 0x0
	v_add_f32_e32 v0, v4, v0
	ds_bpermute_b32 v1, v1, v0
	s_wait_dscnt 0x0
	v_add_f32_e32 v0, v0, v1
	;; [unrolled: 3-line block ×5, first 2 shown]
	s_and_saveexec_b32 s3, vcc_lo
; %bb.17:
	ds_store_b32 v3, v0 offset:208
; %bb.18:
	s_or_b32 exec_lo, exec_lo, s3
	s_wait_dscnt 0x0
	s_barrier_signal -1
	s_barrier_wait -1
	s_and_saveexec_b32 s3, s0
; %bb.19:
	ds_load_b32 v0, v30 offset:208
; %bb.20:
	s_or_b32 exec_lo, exec_lo, s3
	s_wait_dscnt 0x0
	ds_bpermute_b32 v1, v75, v0
	s_wait_dscnt 0x0
	v_dual_mov_b32 v59, 0 :: v_dual_add_f32 v0, v0, v1
	ds_bpermute_b32 v1, v74, v0
	s_wait_dscnt 0x0
	v_add_f32_e32 v0, v0, v1
	ds_bpermute_b32 v0, v59, v0
	s_and_saveexec_b32 s0, s1
	s_cbranch_execz .LBB156_33
; %bb.21:
	s_wait_dscnt 0x0
	v_add_f32_e32 v0, 0x358637bd, v0
	s_mov_b32 s3, -1
	s_mov_b32 s1, exec_lo
	s_delay_alu instid0(VALU_DEP_1) | instskip(NEXT) | instid1(VALU_DEP_1)
	v_div_scale_f32 v1, null, v0, v0, 1.0
	v_rcp_f32_e32 v3, v1
	v_nop
	s_delay_alu instid0(TRANS32_DEP_1) | instskip(NEXT) | instid1(VALU_DEP_1)
	v_fma_f32 v2, -v1, v3, 1.0
	v_fmac_f32_e32 v3, v2, v3
	v_div_scale_f32 v4, vcc_lo, 1.0, v0, 1.0
	s_delay_alu instid0(VALU_DEP_1) | instskip(NEXT) | instid1(VALU_DEP_1)
	v_mul_f32_e32 v5, v4, v3
	v_fma_f32 v2, -v1, v5, v4
	s_delay_alu instid0(VALU_DEP_1) | instskip(SKIP_1) | instid1(VALU_DEP_2)
	v_fmac_f32_e32 v5, v2, v3
	v_xad_u32 v2, v71, -1, s15
	v_fma_f32 v1, -v1, v5, v4
	s_delay_alu instid0(VALU_DEP_1) | instskip(NEXT) | instid1(VALU_DEP_1)
	v_div_fmas_f32 v1, v1, v3, v5
	v_div_fixup_f32 v0, v1, v0, 1.0
	v_mov_b32_e32 v1, v71
	v_cmpx_lt_u32_e32 0x7f, v2
	s_cbranch_execz .LBB156_30
; %bb.22:
	s_delay_alu instid0(VALU_DEP_3) | instskip(NEXT) | instid1(VALU_DEP_1)
	v_dual_mov_b32 v1, v0 :: v_dual_lshrrev_b32 v2, 7, v2
	v_dual_mov_b32 v6, 0 :: v_dual_add_nc_u32 v3, -1, v2
	s_delay_alu instid0(VALU_DEP_1) | instskip(SKIP_1) | instid1(VALU_DEP_2)
	v_lshrrev_b32_e32 v4, 1, v3
	v_cmp_lt_u32_e32 vcc_lo, 13, v3
	v_add_nc_u32_e32 v3, 1, v4
	s_and_saveexec_b32 s3, vcc_lo
	s_cbranch_execz .LBB156_26
; %bb.23:
	s_delay_alu instid0(VALU_DEP_1)
	v_and_b32_e32 v4, -8, v3
	v_lshl_add_u32 v5, v71, 2, 0xe0
	s_mov_b32 s22, 0
	s_mov_b32 s23, 0
.LBB156_24:                             ; =>This Inner Loop Header: Depth=1
	ds_load_2addr_stride64_b32 v[6:7], v5 offset1:2
	ds_load_2addr_stride64_b32 v[8:9], v5 offset0:4 offset1:6
	ds_load_2addr_stride64_b32 v[10:11], v5 offset0:8 offset1:10
	;; [unrolled: 1-line block ×7, first 2 shown]
	s_add_co_i32 s23, s23, 16
	v_add_nc_u32_e32 v4, -8, v4
	s_wait_dscnt 0x7
	v_pk_mul_f32 v[6:7], v[0:1], v[6:7]
	s_wait_dscnt 0x6
	v_pk_mul_f32 v[8:9], v[0:1], v[8:9]
	;; [unrolled: 2-line block ×8, first 2 shown]
	ds_store_2addr_stride64_b32 v5, v6, v7 offset1:2
	ds_store_2addr_stride64_b32 v5, v8, v9 offset0:4 offset1:6
	ds_store_2addr_stride64_b32 v5, v10, v11 offset0:8 offset1:10
	;; [unrolled: 1-line block ×7, first 2 shown]
	v_mov_b32_e32 v6, s23
	v_cmp_eq_u32_e32 vcc_lo, 0, v4
	v_add_nc_u32_e32 v5, 0x2000, v5
	s_or_b32 s22, vcc_lo, s22
	s_delay_alu instid0(SALU_CYCLE_1)
	s_and_not1_b32 exec_lo, exec_lo, s22
	s_cbranch_execnz .LBB156_24
; %bb.25:
	s_or_b32 exec_lo, exec_lo, s22
.LBB156_26:
	s_delay_alu instid0(SALU_CYCLE_1) | instskip(NEXT) | instid1(VALU_DEP_1)
	s_or_b32 exec_lo, exec_lo, s3
	v_and_b32_e32 v3, 7, v3
	s_mov_b32 s22, 0
	s_mov_b32 s3, exec_lo
	s_delay_alu instid0(VALU_DEP_1)
	v_cmpx_ne_u32_e32 0, v3
	s_cbranch_execz .LBB156_29
; %bb.27:
	v_dual_lshlrev_b32 v4, 9, v6 :: v_dual_lshlrev_b32 v5, 2, v71
	s_delay_alu instid0(VALU_DEP_1)
	v_add3_u32 v4, v4, v5, 0xe0
.LBB156_28:                             ; =>This Inner Loop Header: Depth=1
	ds_load_2addr_stride64_b32 v[6:7], v4 offset1:2
	v_add_nc_u32_e32 v3, -1, v3
	s_delay_alu instid0(VALU_DEP_1)
	v_cmp_eq_u32_e32 vcc_lo, 0, v3
	s_or_b32 s22, vcc_lo, s22
	s_wait_dscnt 0x0
	v_pk_mul_f32 v[6:7], v[0:1], v[6:7]
	ds_store_2addr_stride64_b32 v4, v6, v7 offset1:2
	v_add_nc_u32_e32 v4, 0x400, v4
	s_and_not1_b32 exec_lo, exec_lo, s22
	s_cbranch_execnz .LBB156_28
.LBB156_29:
	s_or_b32 exec_lo, exec_lo, s3
	v_add_nc_u32_e32 v1, 1, v2
	s_delay_alu instid0(VALU_DEP_1) | instskip(NEXT) | instid1(VALU_DEP_1)
	v_and_b32_e32 v2, 0x3fffffe, v1
	v_cmp_ne_u32_e32 vcc_lo, v1, v2
	v_lshl_add_u32 v1, v2, 7, v71
	s_or_not1_b32 s3, vcc_lo, exec_lo
.LBB156_30:
	s_or_b32 exec_lo, exec_lo, s1
	s_delay_alu instid0(SALU_CYCLE_1)
	s_and_b32 exec_lo, exec_lo, s3
	s_cbranch_execz .LBB156_33
; %bb.31:
	v_lshl_add_u32 v2, v1, 2, 0xe0
	s_mov_b32 s1, 0
.LBB156_32:                             ; =>This Inner Loop Header: Depth=1
	ds_load_b32 v3, v2
	v_add_nc_u32_e32 v1, 0x80, v1
	s_delay_alu instid0(VALU_DEP_1)
	v_cmp_le_i32_e32 vcc_lo, s15, v1
	s_or_b32 s1, vcc_lo, s1
	s_wait_dscnt 0x0
	v_mul_f32_e32 v3, v0, v3
	ds_store_b32 v2, v3
	v_add_nc_u32_e32 v2, 0x200, v2
	s_and_not1_b32 exec_lo, exec_lo, s1
	s_cbranch_execnz .LBB156_32
.LBB156_33:
	s_or_b32 exec_lo, exec_lo, s0
	v_dual_mov_b32 v58, 0 :: v_dual_bitop2_b32 v76, 3, v71 bitop3:0x40
	v_dual_mov_b32 v61, 0 :: v_dual_mov_b32 v60, 0
	v_dual_mov_b32 v63, 0 :: v_dual_mov_b32 v62, 0
	;; [unrolled: 1-line block ×5, first 2 shown]
	s_wait_dscnt 0x0
	s_barrier_signal -1
	s_barrier_wait -1
	s_and_saveexec_b32 s1, s2
	s_cbranch_execz .LBB156_61
; %bb.34:
	s_ashr_i32 s15, s14, 31
	v_dual_mov_b32 v59, 0 :: v_dual_lshlrev_b32 v0, 3, v71
	v_and_b32_e32 v58, 0x1f0, v22
	s_lshl_b64 s[14:15], s[14:15], 1
	v_lshlrev_b32_e32 v1, 5, v76
	s_wait_kmcnt 0x0
	s_add_nc_u64 s[14:15], s[16:17], s[14:15]
	v_dual_mov_b32 v91, v28 :: v_dual_mov_b32 v89, v71
	v_add_nc_u64_e32 v[70:71], s[14:15], v[58:59]
	v_and_b32_e32 v58, 0x7c, v29
	s_lshl_b64 s[12:13], s[12:13], 2
	v_dual_mov_b32 v61, v59 :: v_dual_bitop2_b32 v0, 24, v0 bitop3:0x40
	v_lshl_or_b32 v1, v90, 7, v1
	s_add_nc_u64 s[10:11], s[10:11], s[12:13]
	v_dual_mov_b32 v60, v59 :: v_dual_mov_b32 v62, v59
	v_add_nc_u64_e32 v[72:73], s[10:11], v[58:59]
	s_delay_alu instid0(VALU_DEP_3)
	v_dual_mov_b32 v63, v59 :: v_dual_add_nc_u32 v78, 0xe0, v1
	v_mov_b32_e32 v58, v59
	v_lshl_or_b32 v77, v90, 5, v0
	v_dual_mov_b32 v65, v59 :: v_dual_mov_b32 v64, v59
	v_dual_mov_b32 v67, v59 :: v_dual_mov_b32 v66, v59
	;; [unrolled: 1-line block ×3, first 2 shown]
	v_mov_b32_e32 v79, v90
	s_ashr_i32 s3, s5, 31
	s_mov_b32 s2, s5
	s_add_co_i32 s5, s9, -1
	s_mov_b32 s11, s21
	s_mov_b32 s10, 0
	s_branch .LBB156_36
.LBB156_35:                             ;   in Loop: Header=BB156_36 Depth=1
	s_or_b32 exec_lo, exec_lo, s0
	s_wait_dscnt 0x1
	v_cvt_pk_bf16_f32 v22, v22, v23
	v_cvt_pk_bf16_f32 v0, v24, v25
	s_wait_dscnt 0x0
	v_cvt_pk_bf16_f32 v1, v18, v19
	v_cvt_pk_bf16_f32 v18, v20, v21
	v_add_nc_u64_e32 v[72:73], 16, v[72:73]
	s_wait_loadcnt 0x1
	v_pk_mul_bf16 v19, v22, v54
	v_pk_mul_bf16 v23, v0, v55
	;; [unrolled: 1-line block ×5, first 2 shown]
	v_lshlrev_b32_e32 v21, 16, v19
	v_and_b32_e32 v19, 0xffff0000, v19
	v_lshlrev_b32_e32 v24, 16, v23
	v_and_b32_e32 v23, 0xffff0000, v23
	;; [unrolled: 2-line block ×3, first 2 shown]
	v_add_f32_e32 v19, v21, v19
	v_pk_mul_bf16 v40, v1, v40
	v_add_f32_e32 v21, v24, v23
	v_pk_mul_bf16 v23, v22, v50
	v_pk_mul_bf16 v24, v0, v51
	v_dual_lshlrev_b32 v50, 16, v25 :: v_dual_add_f32 v20, v54, v20
	s_delay_alu instid0(VALU_DEP_4)
	v_add_f32_e32 v19, v21, v19
	v_and_b32_e32 v21, 0xffff0000, v25
	v_lshlrev_b32_e32 v25, 16, v23
	v_and_b32_e32 v23, 0xffff0000, v23
	v_lshlrev_b32_e32 v51, 16, v24
	v_and_b32_e32 v24, 0xffff0000, v24
	v_dual_add_f32 v19, v20, v19 :: v_dual_add_f32 v20, v50, v21
	s_delay_alu instid0(VALU_DEP_4) | instskip(SKIP_1) | instid1(VALU_DEP_4)
	v_add_f32_e32 v21, v25, v23
	v_and_b32_e32 v25, 0xffff0000, v52
	v_add_f32_e32 v23, v51, v24
	s_delay_alu instid0(VALU_DEP_4) | instskip(SKIP_2) | instid1(VALU_DEP_4)
	v_dual_add_f32 v19, v20, v19 :: v_dual_lshlrev_b32 v24, 16, v52
	v_pk_mul_bf16 v50, v18, v53
	v_pk_mul_bf16 v26, v22, v26
	v_add_f32_e32 v20, v23, v21
	s_delay_alu instid0(VALU_DEP_4) | instskip(NEXT) | instid1(VALU_DEP_4)
	v_dual_add_f32 v21, v24, v25 :: v_dual_add_f32 v58, v58, v19
	v_lshlrev_b32_e32 v23, 16, v50
	v_and_b32_e32 v24, 0xffff0000, v50
	v_pk_mul_bf16 v25, v22, v46
	v_pk_mul_bf16 v19, v0, v47
	v_add_f32_e32 v20, v21, v20
	v_pk_mul_bf16 v46, v1, v48
	s_delay_alu instid0(VALU_DEP_4)
	v_dual_add_f32 v21, v23, v24 :: v_dual_lshlrev_b32 v23, 16, v25
	v_and_b32_e32 v24, 0xffff0000, v25
	v_lshlrev_b32_e32 v25, 16, v19
	v_and_b32_e32 v19, 0xffff0000, v19
	v_pk_mul_bf16 v47, v18, v49
	v_pk_mul_bf16 v14, v22, v14
	v_add_f32_e32 v23, v23, v24
	v_pk_mul_bf16 v24, v22, v38
	v_add_f32_e32 v19, v25, v19
	v_pk_mul_bf16 v25, v0, v39
	v_lshlrev_b32_e32 v38, 16, v46
	v_and_b32_e32 v39, 0xffff0000, v46
	v_lshlrev_b32_e32 v46, 16, v24
	v_and_b32_e32 v24, 0xffff0000, v24
	v_dual_add_f32 v19, v19, v23 :: v_dual_lshlrev_b32 v48, 16, v25
	v_and_b32_e32 v25, 0xffff0000, v25
	v_add_f32_e32 v23, v38, v39
	s_delay_alu instid0(VALU_DEP_4)
	v_add_f32_e32 v24, v46, v24
	v_and_b32_e32 v39, 0xffff0000, v40
	v_and_b32_e32 v46, 0xffff0000, v47
	v_dual_add_f32 v25, v48, v25 :: v_dual_lshlrev_b32 v38, 16, v40
	v_add_f32_e32 v19, v23, v19
	v_pk_mul_bf16 v40, v18, v41
	s_delay_alu instid0(VALU_DEP_3) | instskip(NEXT) | instid1(VALU_DEP_4)
	v_dual_add_f32 v24, v25, v24 :: v_dual_lshlrev_b32 v41, 16, v47
	v_add_f32_e32 v25, v38, v39
	v_pk_mul_bf16 v15, v0, v15
	s_delay_alu instid0(VALU_DEP_4)
	v_lshlrev_b32_e32 v38, 16, v40
	v_and_b32_e32 v39, 0xffff0000, v40
	v_add_f32_e32 v20, v21, v20
	v_add_f32_e32 v21, v41, v46
	v_pk_mul_bf16 v16, v1, v16
	v_pk_mul_bf16 v10, v22, v10
	;; [unrolled: 1-line block ×4, first 2 shown]
	v_add_f32_e32 v19, v21, v19
	v_dual_add_f32 v23, v25, v24 :: v_dual_add_f32 v24, v38, v39
	v_pk_mul_bf16 v25, v22, v34
	v_pk_mul_bf16 v34, v1, v36
	s_delay_alu instid0(VALU_DEP_4) | instskip(NEXT) | instid1(VALU_DEP_4)
	v_dual_add_f32 v60, v60, v19 :: v_dual_add_f32 v61, v61, v20
	v_add_f32_e32 v21, v24, v23
	v_pk_mul_bf16 v20, v0, v35
	v_lshlrev_b32_e32 v23, 16, v25
	v_and_b32_e32 v24, 0xffff0000, v25
	v_pk_mul_bf16 v12, v1, v12
	s_delay_alu instid0(VALU_DEP_4) | instskip(SKIP_1) | instid1(VALU_DEP_4)
	v_dual_add_f32 v63, v63, v21 :: v_dual_lshlrev_b32 v25, 16, v20
	v_and_b32_e32 v20, 0xffff0000, v20
	v_dual_add_f32 v19, v23, v24 :: v_dual_lshlrev_b32 v21, 16, v34
	v_and_b32_e32 v23, 0xffff0000, v34
	v_pk_mul_bf16 v24, v22, v30
	v_pk_mul_bf16 v30, v0, v31
	v_add_f32_e32 v20, v25, v20
	v_pk_mul_bf16 v25, v18, v37
	v_pk_mul_bf16 v31, v1, v32
	;; [unrolled: 1-line block ×4, first 2 shown]
	v_add_f32_e32 v19, v20, v19
	v_dual_add_f32 v20, v21, v23 :: v_dual_lshlrev_b32 v32, 16, v25
	v_lshlrev_b32_e32 v21, 16, v24
	v_and_b32_e32 v23, 0xffff0000, v24
	v_lshlrev_b32_e32 v24, 16, v30
	v_and_b32_e32 v30, 0xffff0000, v30
	v_and_b32_e32 v25, 0xffff0000, v25
	v_pk_mul_bf16 v2, v22, v2
	v_add_f32_e32 v21, v21, v23
	v_pk_mul_bf16 v3, v0, v3
	v_dual_add_f32 v23, v24, v30 :: v_dual_lshlrev_b32 v24, 16, v31
	v_and_b32_e32 v30, 0xffff0000, v31
	v_pk_mul_bf16 v31, v18, v33
	s_delay_alu instid0(VALU_DEP_3) | instskip(SKIP_1) | instid1(VALU_DEP_3)
	v_dual_add_f32 v19, v20, v19 :: v_dual_add_f32 v21, v23, v21
	v_add_f32_e32 v20, v32, v25
	v_dual_add_f32 v23, v24, v30 :: v_dual_lshlrev_b32 v24, 16, v31
	v_and_b32_e32 v25, 0xffff0000, v31
	v_pk_mul_bf16 v8, v1, v8
	s_delay_alu instid0(VALU_DEP_3) | instskip(SKIP_1) | instid1(VALU_DEP_4)
	v_dual_add_f32 v19, v20, v19 :: v_dual_add_f32 v21, v23, v21
	v_pk_mul_bf16 v20, v0, v27
	v_dual_add_f32 v23, v24, v25 :: v_dual_lshlrev_b32 v24, 16, v26
	v_and_b32_e32 v25, 0xffff0000, v26
	v_pk_mul_bf16 v27, v1, v28
	s_delay_alu instid0(VALU_DEP_4) | instskip(SKIP_2) | instid1(VALU_DEP_4)
	v_dual_lshlrev_b32 v26, 16, v20 :: v_dual_add_f32 v62, v62, v19
	v_and_b32_e32 v20, 0xffff0000, v20
	v_add_f32_e32 v19, v23, v21
	v_dual_add_f32 v21, v24, v25 :: v_dual_lshlrev_b32 v23, 16, v27
	v_and_b32_e32 v24, 0xffff0000, v27
	s_delay_alu instid0(VALU_DEP_3) | instskip(SKIP_3) | instid1(VALU_DEP_4)
	v_dual_add_f32 v20, v26, v20 :: v_dual_add_f32 v65, v65, v19
	v_pk_mul_bf16 v19, v18, v29
	v_lshlrev_b32_e32 v25, 16, v15
	v_and_b32_e32 v15, 0xffff0000, v15
	v_dual_add_f32 v20, v20, v21 :: v_dual_add_f32 v21, v23, v24
	s_delay_alu instid0(VALU_DEP_4) | instskip(SKIP_2) | instid1(VALU_DEP_4)
	v_dual_lshlrev_b32 v23, 16, v19 :: v_dual_lshlrev_b32 v24, 16, v14
	v_and_b32_e32 v14, 0xffff0000, v14
	v_and_b32_e32 v19, 0xffff0000, v19
	v_add_f32_e32 v20, v21, v20
	v_add_f32_e32 v15, v25, v15
	v_pk_mul_bf16 v9, v18, v9
	v_dual_add_f32 v14, v24, v14 :: v_dual_lshlrev_b32 v21, 16, v16
	v_and_b32_e32 v16, 0xffff0000, v16
	v_dual_add_f32 v19, v23, v19 :: v_dual_lshlrev_b32 v23, 16, v17
	s_delay_alu instid0(VALU_DEP_3) | instskip(SKIP_1) | instid1(VALU_DEP_4)
	v_add_f32_e32 v14, v15, v14
	v_and_b32_e32 v17, 0xffff0000, v17
	v_dual_add_f32 v15, v21, v16 :: v_dual_lshlrev_b32 v16, 16, v10
	v_and_b32_e32 v10, 0xffff0000, v10
	v_lshlrev_b32_e32 v21, 16, v11
	v_and_b32_e32 v11, 0xffff0000, v11
	v_add_f32_e32 v19, v19, v20
	v_add_f32_e32 v14, v15, v14
	v_dual_add_f32 v10, v16, v10 :: v_dual_lshlrev_b32 v16, 16, v12
	s_delay_alu instid0(VALU_DEP_4) | instskip(SKIP_3) | instid1(VALU_DEP_4)
	v_add_f32_e32 v11, v21, v11
	v_and_b32_e32 v12, 0xffff0000, v12
	v_add_f32_e32 v15, v23, v17
	v_pk_mul_bf16 v4, v1, v4
	v_dual_add_f32 v10, v11, v10 :: v_dual_add_nc_u32 v77, 0x80, v77
	s_delay_alu instid0(VALU_DEP_4) | instskip(SKIP_3) | instid1(VALU_DEP_4)
	v_add_f32_e32 v11, v16, v12
	v_pk_mul_bf16 v12, v18, v13
	v_add_f32_e32 v13, v15, v14
	v_dual_lshlrev_b32 v14, 16, v6 :: v_dual_add_f32 v64, v64, v19
	v_dual_add_f32 v10, v11, v10 :: v_dual_lshlrev_b32 v15, 16, v7
	s_delay_alu instid0(VALU_DEP_4) | instskip(SKIP_4) | instid1(VALU_DEP_4)
	v_lshlrev_b32_e32 v11, 16, v12
	v_and_b32_e32 v12, 0xffff0000, v12
	v_and_b32_e32 v6, 0xffff0000, v6
	;; [unrolled: 1-line block ×4, first 2 shown]
	v_dual_add_f32 v11, v11, v12 :: v_dual_add_nc_u32 v78, 0x200, v78
	s_delay_alu instid0(VALU_DEP_3)
	v_dual_add_f32 v6, v14, v6 :: v_dual_add_f32 v7, v15, v7
	v_dual_lshlrev_b32 v12, 16, v8 :: v_dual_lshlrev_b32 v14, 16, v2
	v_lshlrev_b32_e32 v15, 16, v3
	v_and_b32_e32 v2, 0xffff0000, v2
	v_and_b32_e32 v3, 0xffff0000, v3
	;; [unrolled: 1-line block ×3, first 2 shown]
	v_add_f32_e32 v16, v7, v6
	s_wait_loadcnt 0x0
	v_pk_mul_bf16 v6, v1, v44
	v_dual_add_f32 v2, v14, v2 :: v_dual_add_f32 v3, v15, v3
	v_dual_add_f32 v8, v12, v8 :: v_dual_lshlrev_b32 v12, 16, v9
	v_pk_mul_bf16 v14, v18, v5
	v_pk_mul_bf16 v18, v18, v45
	s_delay_alu instid0(VALU_DEP_4)
	v_add_f32_e32 v15, v3, v2
	v_pk_mul_bf16 v2, v22, v42
	v_lshlrev_b32_e32 v17, 16, v4
	v_pk_mul_bf16 v4, v0, v43
	v_and_b32_e32 v5, 0xffff0000, v6
	v_lshlrev_b32_e32 v7, 16, v6
	v_and_b32_e32 v1, 0xffff0000, v2
	v_lshlrev_b32_e32 v3, 16, v2
	;; [unrolled: 2-line block ×3, first 2 shown]
	v_and_b32_e32 v4, 0xffff0000, v18
	v_dual_add_f32 v17, v17, v19 :: v_dual_lshlrev_b32 v6, 16, v18
	v_and_b32_e32 v9, 0xffff0000, v9
	s_delay_alu instid0(VALU_DEP_4) | instskip(SKIP_3) | instid1(VALU_DEP_4)
	v_pk_add_f32 v[0:1], v[2:3], v[0:1]
	v_lshlrev_b32_e32 v18, 16, v14
	v_and_b32_e32 v14, 0xffff0000, v14
	v_pk_add_f32 v[2:3], v[6:7], v[4:5]
	v_dual_add_f32 v5, v17, v15 :: v_dual_add_f32 v0, v0, v1
	v_add_f32_e32 v1, v8, v16
	s_delay_alu instid0(VALU_DEP_4) | instskip(NEXT) | instid1(VALU_DEP_3)
	v_dual_add_f32 v4, v12, v9 :: v_dual_add_f32 v6, v18, v14
	v_add_f32_e32 v0, v3, v0
	s_delay_alu instid0(VALU_DEP_2) | instskip(SKIP_1) | instid1(VALU_DEP_3)
	v_dual_add_f32 v3, v11, v10 :: v_dual_add_f32 v1, v4, v1
	v_dual_add_nc_u32 v79, 4, v79 :: v_dual_add_f32 v67, v67, v13
	v_add_f32_e32 v0, v2, v0
	v_add_f32_e32 v4, v6, v5
	s_delay_alu instid0(VALU_DEP_4) | instskip(NEXT) | instid1(VALU_DEP_4)
	v_add_f32_e32 v69, v69, v1
	v_cmp_le_i32_e32 vcc_lo, s9, v79
	s_delay_alu instid0(VALU_DEP_4) | instskip(NEXT) | instid1(VALU_DEP_4)
	v_dual_add_f32 v66, v66, v3 :: v_dual_add_f32 v59, v59, v0
	v_add_f32_e32 v68, v68, v4
	s_or_b32 s10, vcc_lo, s10
	s_delay_alu instid0(SALU_CYCLE_1)
	s_and_not1_b32 exec_lo, exec_lo, s10
	s_cbranch_execz .LBB156_60
.LBB156_36:                             ; =>This Inner Loop Header: Depth=1
	global_load_b32 v0, v[72:73], off
	v_cmp_eq_u32_e32 vcc_lo, s5, v79
	v_or_b32_e32 v84, 3, v77
	v_or_b32_e32 v86, 2, v77
	;; [unrolled: 1-line block ×5, first 2 shown]
	v_dual_add_nc_u32 v85, 1, v77 :: v_dual_bitop2_b32 v82, 6, v77 bitop3:0x54
	s_wait_loadcnt 0x0
	v_ashrrev_i32_e32 v1, 31, v0
	s_delay_alu instid0(VALU_DEP_1) | instskip(NEXT) | instid1(VALU_DEP_1)
	v_mul_u64_e32 v[0:1], s[2:3], v[0:1]
	v_lshl_add_u64 v[0:1], v[0:1], 1, v[70:71]
	global_load_b128 v[2:5], v[0:1], off
	ds_load_2addr_b64 v[22:25], v78 offset1:1
	ds_load_2addr_b64 v[18:21], v78 offset0:2 offset1:3
	s_wait_xcnt 0x0
	s_and_saveexec_b32 s12, vcc_lo
	s_cbranch_execnz .LBB156_48
; %bb.37:                               ;   in Loop: Header=BB156_36 Depth=1
	s_or_b32 exec_lo, exec_lo, s12
	global_load_b128 v[6:9], v[0:1], off offset:512
	s_wait_xcnt 0x0
	s_and_saveexec_b32 s12, vcc_lo
	s_cbranch_execnz .LBB156_49
.LBB156_38:                             ;   in Loop: Header=BB156_36 Depth=1
	s_or_b32 exec_lo, exec_lo, s12
	global_load_b128 v[10:13], v[0:1], off offset:1024
	s_wait_xcnt 0x0
	s_and_saveexec_b32 s12, vcc_lo
	s_cbranch_execnz .LBB156_50
.LBB156_39:                             ;   in Loop: Header=BB156_36 Depth=1
	s_or_b32 exec_lo, exec_lo, s12
	global_load_b128 v[14:17], v[0:1], off offset:1536
	s_wait_xcnt 0x0
	s_and_saveexec_b32 s12, vcc_lo
	s_cbranch_execnz .LBB156_51
.LBB156_40:                             ;   in Loop: Header=BB156_36 Depth=1
	s_or_b32 exec_lo, exec_lo, s12
	global_load_b128 v[26:29], v[0:1], off offset:2048
	s_wait_xcnt 0x0
	s_and_saveexec_b32 s12, vcc_lo
	s_cbranch_execnz .LBB156_52
.LBB156_41:                             ;   in Loop: Header=BB156_36 Depth=1
	s_or_b32 exec_lo, exec_lo, s12
	global_load_b128 v[30:33], v[0:1], off offset:2560
	s_wait_xcnt 0x0
	s_and_saveexec_b32 s12, vcc_lo
	s_cbranch_execnz .LBB156_53
.LBB156_42:                             ;   in Loop: Header=BB156_36 Depth=1
	s_or_b32 exec_lo, exec_lo, s12
	global_load_b128 v[34:37], v[0:1], off offset:3072
	s_wait_xcnt 0x0
	s_and_saveexec_b32 s12, vcc_lo
	s_cbranch_execnz .LBB156_54
.LBB156_43:                             ;   in Loop: Header=BB156_36 Depth=1
	s_or_b32 exec_lo, exec_lo, s12
	global_load_b128 v[38:41], v[0:1], off offset:3584
	s_wait_xcnt 0x0
	s_and_saveexec_b32 s12, vcc_lo
	s_cbranch_execnz .LBB156_55
.LBB156_44:                             ;   in Loop: Header=BB156_36 Depth=1
	s_or_b32 exec_lo, exec_lo, s12
	global_load_b128 v[46:49], v[0:1], off offset:4096
	s_wait_xcnt 0x0
	s_and_saveexec_b32 s12, vcc_lo
	s_cbranch_execnz .LBB156_56
.LBB156_45:                             ;   in Loop: Header=BB156_36 Depth=1
	s_or_b32 exec_lo, exec_lo, s12
	global_load_b128 v[50:53], v[0:1], off offset:4608
	s_wait_xcnt 0x0
	s_and_saveexec_b32 s12, vcc_lo
	s_cbranch_execnz .LBB156_57
.LBB156_46:                             ;   in Loop: Header=BB156_36 Depth=1
	s_or_b32 exec_lo, exec_lo, s12
	global_load_b128 v[54:57], v[0:1], off offset:5120
	s_wait_xcnt 0x0
	s_and_saveexec_b32 s12, vcc_lo
	s_cbranch_execnz .LBB156_58
.LBB156_47:                             ;   in Loop: Header=BB156_36 Depth=1
	s_or_b32 exec_lo, exec_lo, s12
	global_load_b128 v[42:45], v[0:1], off offset:5632
	s_wait_xcnt 0x0
	s_and_saveexec_b32 s0, vcc_lo
	s_cbranch_execz .LBB156_35
	s_branch .LBB156_59
.LBB156_48:                             ;   in Loop: Header=BB156_36 Depth=1
	v_cmp_gt_i32_e64 s0, s21, v77
	s_wait_loadcnt 0x0
	v_dual_lshrrev_b32 v6, 16, v2 :: v_dual_lshrrev_b32 v8, 16, v4
	s_delay_alu instid0(VALU_DEP_2) | instskip(SKIP_1) | instid1(VALU_DEP_1)
	v_cndmask_b32_e64 v2, 0, v2, s0
	v_cmp_gt_i32_e64 s0, s11, v85
	v_dual_lshrrev_b32 v7, 16, v3 :: v_dual_cndmask_b32 v6, 0, v6, s0
	v_cmp_gt_i32_e64 s0, s21, v86
	s_delay_alu instid0(VALU_DEP_2) | instskip(NEXT) | instid1(VALU_DEP_2)
	v_perm_b32 v2, v6, v2, 0x5040100
	v_cndmask_b32_e64 v3, 0, v3, s0
	v_cmp_gt_i32_e64 s0, s11, v84
	s_delay_alu instid0(VALU_DEP_1) | instskip(SKIP_1) | instid1(VALU_DEP_1)
	v_cndmask_b32_e64 v7, 0, v7, s0
	v_cmp_gt_i32_e64 s0, s21, v83
	v_cndmask_b32_e64 v4, 0, v4, s0
	v_cmp_gt_i32_e64 s0, s11, v81
	v_lshrrev_b32_e32 v9, 16, v5
	v_perm_b32 v3, v7, v3, 0x5040100
	s_delay_alu instid0(VALU_DEP_3) | instskip(SKIP_1) | instid1(VALU_DEP_2)
	v_cndmask_b32_e64 v8, 0, v8, s0
	v_cmp_gt_i32_e64 s0, s21, v82
	v_perm_b32 v4, v8, v4, 0x5040100
	s_delay_alu instid0(VALU_DEP_2) | instskip(SKIP_1) | instid1(VALU_DEP_1)
	v_cndmask_b32_e64 v5, 0, v5, s0
	v_cmp_gt_i32_e64 s0, s11, v80
	v_cndmask_b32_e64 v9, 0, v9, s0
	s_delay_alu instid0(VALU_DEP_1)
	v_perm_b32 v5, v9, v5, 0x5040100
	s_or_b32 exec_lo, exec_lo, s12
	global_load_b128 v[6:9], v[0:1], off offset:512
	s_wait_xcnt 0x0
	s_and_saveexec_b32 s12, vcc_lo
	s_cbranch_execz .LBB156_38
.LBB156_49:                             ;   in Loop: Header=BB156_36 Depth=1
	v_cmp_gt_i32_e64 s0, s21, v77
	s_wait_loadcnt 0x0
	v_dual_lshrrev_b32 v10, 16, v6 :: v_dual_lshrrev_b32 v12, 16, v8
	s_delay_alu instid0(VALU_DEP_2) | instskip(SKIP_1) | instid1(VALU_DEP_1)
	v_cndmask_b32_e64 v6, 0, v6, s0
	v_cmp_gt_i32_e64 s0, s11, v85
	v_dual_lshrrev_b32 v11, 16, v7 :: v_dual_cndmask_b32 v10, 0, v10, s0
	v_cmp_gt_i32_e64 s0, s21, v86
	s_delay_alu instid0(VALU_DEP_2) | instskip(NEXT) | instid1(VALU_DEP_2)
	v_perm_b32 v6, v10, v6, 0x5040100
	v_cndmask_b32_e64 v7, 0, v7, s0
	v_cmp_gt_i32_e64 s0, s11, v84
	s_delay_alu instid0(VALU_DEP_1) | instskip(SKIP_1) | instid1(VALU_DEP_1)
	v_cndmask_b32_e64 v11, 0, v11, s0
	v_cmp_gt_i32_e64 s0, s21, v83
	v_cndmask_b32_e64 v8, 0, v8, s0
	v_cmp_gt_i32_e64 s0, s11, v81
	v_lshrrev_b32_e32 v13, 16, v9
	v_perm_b32 v7, v11, v7, 0x5040100
	s_delay_alu instid0(VALU_DEP_3) | instskip(SKIP_1) | instid1(VALU_DEP_2)
	v_cndmask_b32_e64 v12, 0, v12, s0
	v_cmp_gt_i32_e64 s0, s21, v82
	v_perm_b32 v8, v12, v8, 0x5040100
	s_delay_alu instid0(VALU_DEP_2) | instskip(SKIP_1) | instid1(VALU_DEP_1)
	v_cndmask_b32_e64 v9, 0, v9, s0
	v_cmp_gt_i32_e64 s0, s11, v80
	v_cndmask_b32_e64 v13, 0, v13, s0
	s_delay_alu instid0(VALU_DEP_1)
	v_perm_b32 v9, v13, v9, 0x5040100
	s_or_b32 exec_lo, exec_lo, s12
	global_load_b128 v[10:13], v[0:1], off offset:1024
	s_wait_xcnt 0x0
	s_and_saveexec_b32 s12, vcc_lo
	s_cbranch_execz .LBB156_39
.LBB156_50:                             ;   in Loop: Header=BB156_36 Depth=1
	v_cmp_gt_i32_e64 s0, s21, v77
	s_wait_loadcnt 0x0
	v_dual_lshrrev_b32 v14, 16, v10 :: v_dual_lshrrev_b32 v16, 16, v12
	s_delay_alu instid0(VALU_DEP_2) | instskip(SKIP_1) | instid1(VALU_DEP_1)
	v_cndmask_b32_e64 v10, 0, v10, s0
	v_cmp_gt_i32_e64 s0, s11, v85
	v_dual_lshrrev_b32 v15, 16, v11 :: v_dual_cndmask_b32 v14, 0, v14, s0
	v_cmp_gt_i32_e64 s0, s21, v86
	s_delay_alu instid0(VALU_DEP_2) | instskip(NEXT) | instid1(VALU_DEP_2)
	v_perm_b32 v10, v14, v10, 0x5040100
	v_cndmask_b32_e64 v11, 0, v11, s0
	v_cmp_gt_i32_e64 s0, s11, v84
	s_delay_alu instid0(VALU_DEP_1) | instskip(SKIP_1) | instid1(VALU_DEP_1)
	v_cndmask_b32_e64 v15, 0, v15, s0
	v_cmp_gt_i32_e64 s0, s21, v83
	v_cndmask_b32_e64 v12, 0, v12, s0
	v_cmp_gt_i32_e64 s0, s11, v81
	v_lshrrev_b32_e32 v17, 16, v13
	v_perm_b32 v11, v15, v11, 0x5040100
	s_delay_alu instid0(VALU_DEP_3) | instskip(SKIP_1) | instid1(VALU_DEP_2)
	v_cndmask_b32_e64 v16, 0, v16, s0
	v_cmp_gt_i32_e64 s0, s21, v82
	v_perm_b32 v12, v16, v12, 0x5040100
	s_delay_alu instid0(VALU_DEP_2) | instskip(SKIP_1) | instid1(VALU_DEP_1)
	v_cndmask_b32_e64 v13, 0, v13, s0
	v_cmp_gt_i32_e64 s0, s11, v80
	v_cndmask_b32_e64 v17, 0, v17, s0
	s_delay_alu instid0(VALU_DEP_1)
	v_perm_b32 v13, v17, v13, 0x5040100
	s_or_b32 exec_lo, exec_lo, s12
	global_load_b128 v[14:17], v[0:1], off offset:1536
	s_wait_xcnt 0x0
	s_and_saveexec_b32 s12, vcc_lo
	s_cbranch_execz .LBB156_40
.LBB156_51:                             ;   in Loop: Header=BB156_36 Depth=1
	v_cmp_gt_i32_e64 s0, s21, v77
	s_wait_loadcnt 0x0
	v_dual_lshrrev_b32 v26, 16, v14 :: v_dual_lshrrev_b32 v28, 16, v16
	s_delay_alu instid0(VALU_DEP_2) | instskip(SKIP_1) | instid1(VALU_DEP_1)
	v_cndmask_b32_e64 v14, 0, v14, s0
	v_cmp_gt_i32_e64 s0, s11, v85
	v_dual_lshrrev_b32 v27, 16, v15 :: v_dual_cndmask_b32 v26, 0, v26, s0
	v_cmp_gt_i32_e64 s0, s21, v86
	s_delay_alu instid0(VALU_DEP_2) | instskip(NEXT) | instid1(VALU_DEP_2)
	v_perm_b32 v14, v26, v14, 0x5040100
	v_cndmask_b32_e64 v15, 0, v15, s0
	v_cmp_gt_i32_e64 s0, s11, v84
	s_delay_alu instid0(VALU_DEP_1) | instskip(SKIP_1) | instid1(VALU_DEP_1)
	v_cndmask_b32_e64 v27, 0, v27, s0
	v_cmp_gt_i32_e64 s0, s21, v83
	v_cndmask_b32_e64 v16, 0, v16, s0
	v_cmp_gt_i32_e64 s0, s11, v81
	v_lshrrev_b32_e32 v29, 16, v17
	v_perm_b32 v15, v27, v15, 0x5040100
	s_delay_alu instid0(VALU_DEP_3) | instskip(SKIP_1) | instid1(VALU_DEP_2)
	v_cndmask_b32_e64 v28, 0, v28, s0
	v_cmp_gt_i32_e64 s0, s21, v82
	v_perm_b32 v16, v28, v16, 0x5040100
	s_delay_alu instid0(VALU_DEP_2) | instskip(SKIP_1) | instid1(VALU_DEP_1)
	v_cndmask_b32_e64 v17, 0, v17, s0
	v_cmp_gt_i32_e64 s0, s11, v80
	v_cndmask_b32_e64 v29, 0, v29, s0
	s_delay_alu instid0(VALU_DEP_1)
	v_perm_b32 v17, v29, v17, 0x5040100
	s_or_b32 exec_lo, exec_lo, s12
	global_load_b128 v[26:29], v[0:1], off offset:2048
	s_wait_xcnt 0x0
	s_and_saveexec_b32 s12, vcc_lo
	s_cbranch_execz .LBB156_41
.LBB156_52:                             ;   in Loop: Header=BB156_36 Depth=1
	v_cmp_gt_i32_e64 s0, s21, v77
	s_wait_loadcnt 0x0
	v_dual_lshrrev_b32 v30, 16, v26 :: v_dual_lshrrev_b32 v32, 16, v28
	s_delay_alu instid0(VALU_DEP_2) | instskip(SKIP_1) | instid1(VALU_DEP_1)
	v_cndmask_b32_e64 v26, 0, v26, s0
	v_cmp_gt_i32_e64 s0, s11, v85
	v_dual_lshrrev_b32 v31, 16, v27 :: v_dual_cndmask_b32 v30, 0, v30, s0
	v_cmp_gt_i32_e64 s0, s21, v86
	s_delay_alu instid0(VALU_DEP_2) | instskip(NEXT) | instid1(VALU_DEP_2)
	v_perm_b32 v26, v30, v26, 0x5040100
	v_cndmask_b32_e64 v27, 0, v27, s0
	v_cmp_gt_i32_e64 s0, s11, v84
	s_delay_alu instid0(VALU_DEP_1) | instskip(SKIP_1) | instid1(VALU_DEP_1)
	v_cndmask_b32_e64 v31, 0, v31, s0
	v_cmp_gt_i32_e64 s0, s21, v83
	v_cndmask_b32_e64 v28, 0, v28, s0
	v_cmp_gt_i32_e64 s0, s11, v81
	v_lshrrev_b32_e32 v33, 16, v29
	v_perm_b32 v27, v31, v27, 0x5040100
	s_delay_alu instid0(VALU_DEP_3) | instskip(SKIP_1) | instid1(VALU_DEP_2)
	v_cndmask_b32_e64 v32, 0, v32, s0
	v_cmp_gt_i32_e64 s0, s21, v82
	v_perm_b32 v28, v32, v28, 0x5040100
	s_delay_alu instid0(VALU_DEP_2) | instskip(SKIP_1) | instid1(VALU_DEP_1)
	v_cndmask_b32_e64 v29, 0, v29, s0
	v_cmp_gt_i32_e64 s0, s11, v80
	v_cndmask_b32_e64 v33, 0, v33, s0
	s_delay_alu instid0(VALU_DEP_1)
	v_perm_b32 v29, v33, v29, 0x5040100
	s_or_b32 exec_lo, exec_lo, s12
	global_load_b128 v[30:33], v[0:1], off offset:2560
	s_wait_xcnt 0x0
	s_and_saveexec_b32 s12, vcc_lo
	s_cbranch_execz .LBB156_42
.LBB156_53:                             ;   in Loop: Header=BB156_36 Depth=1
	v_cmp_gt_i32_e64 s0, s21, v77
	s_wait_loadcnt 0x0
	v_dual_lshrrev_b32 v34, 16, v30 :: v_dual_lshrrev_b32 v36, 16, v32
	s_delay_alu instid0(VALU_DEP_2) | instskip(SKIP_1) | instid1(VALU_DEP_1)
	v_cndmask_b32_e64 v30, 0, v30, s0
	v_cmp_gt_i32_e64 s0, s11, v85
	v_dual_lshrrev_b32 v35, 16, v31 :: v_dual_cndmask_b32 v34, 0, v34, s0
	v_cmp_gt_i32_e64 s0, s21, v86
	s_delay_alu instid0(VALU_DEP_2) | instskip(NEXT) | instid1(VALU_DEP_2)
	v_perm_b32 v30, v34, v30, 0x5040100
	v_cndmask_b32_e64 v31, 0, v31, s0
	v_cmp_gt_i32_e64 s0, s11, v84
	s_delay_alu instid0(VALU_DEP_1) | instskip(SKIP_1) | instid1(VALU_DEP_1)
	v_cndmask_b32_e64 v35, 0, v35, s0
	v_cmp_gt_i32_e64 s0, s21, v83
	v_cndmask_b32_e64 v32, 0, v32, s0
	v_cmp_gt_i32_e64 s0, s11, v81
	v_lshrrev_b32_e32 v37, 16, v33
	v_perm_b32 v31, v35, v31, 0x5040100
	s_delay_alu instid0(VALU_DEP_3) | instskip(SKIP_1) | instid1(VALU_DEP_2)
	v_cndmask_b32_e64 v36, 0, v36, s0
	v_cmp_gt_i32_e64 s0, s21, v82
	v_perm_b32 v32, v36, v32, 0x5040100
	s_delay_alu instid0(VALU_DEP_2) | instskip(SKIP_1) | instid1(VALU_DEP_1)
	v_cndmask_b32_e64 v33, 0, v33, s0
	v_cmp_gt_i32_e64 s0, s11, v80
	v_cndmask_b32_e64 v37, 0, v37, s0
	s_delay_alu instid0(VALU_DEP_1)
	v_perm_b32 v33, v37, v33, 0x5040100
	s_or_b32 exec_lo, exec_lo, s12
	global_load_b128 v[34:37], v[0:1], off offset:3072
	s_wait_xcnt 0x0
	s_and_saveexec_b32 s12, vcc_lo
	s_cbranch_execz .LBB156_43
.LBB156_54:                             ;   in Loop: Header=BB156_36 Depth=1
	v_cmp_gt_i32_e64 s0, s21, v77
	s_wait_loadcnt 0x0
	v_dual_lshrrev_b32 v38, 16, v34 :: v_dual_lshrrev_b32 v40, 16, v36
	s_delay_alu instid0(VALU_DEP_2) | instskip(SKIP_1) | instid1(VALU_DEP_1)
	v_cndmask_b32_e64 v34, 0, v34, s0
	v_cmp_gt_i32_e64 s0, s11, v85
	v_dual_lshrrev_b32 v39, 16, v35 :: v_dual_cndmask_b32 v38, 0, v38, s0
	v_cmp_gt_i32_e64 s0, s21, v86
	s_delay_alu instid0(VALU_DEP_2) | instskip(NEXT) | instid1(VALU_DEP_2)
	v_perm_b32 v34, v38, v34, 0x5040100
	v_cndmask_b32_e64 v35, 0, v35, s0
	v_cmp_gt_i32_e64 s0, s11, v84
	s_delay_alu instid0(VALU_DEP_1) | instskip(SKIP_1) | instid1(VALU_DEP_1)
	v_cndmask_b32_e64 v39, 0, v39, s0
	v_cmp_gt_i32_e64 s0, s21, v83
	v_cndmask_b32_e64 v36, 0, v36, s0
	v_cmp_gt_i32_e64 s0, s11, v81
	v_lshrrev_b32_e32 v41, 16, v37
	v_perm_b32 v35, v39, v35, 0x5040100
	s_delay_alu instid0(VALU_DEP_3) | instskip(SKIP_1) | instid1(VALU_DEP_2)
	v_cndmask_b32_e64 v40, 0, v40, s0
	v_cmp_gt_i32_e64 s0, s21, v82
	v_perm_b32 v36, v40, v36, 0x5040100
	s_delay_alu instid0(VALU_DEP_2) | instskip(SKIP_1) | instid1(VALU_DEP_1)
	v_cndmask_b32_e64 v37, 0, v37, s0
	v_cmp_gt_i32_e64 s0, s11, v80
	v_cndmask_b32_e64 v41, 0, v41, s0
	s_delay_alu instid0(VALU_DEP_1)
	v_perm_b32 v37, v41, v37, 0x5040100
	s_or_b32 exec_lo, exec_lo, s12
	global_load_b128 v[38:41], v[0:1], off offset:3584
	s_wait_xcnt 0x0
	s_and_saveexec_b32 s12, vcc_lo
	s_cbranch_execz .LBB156_44
.LBB156_55:                             ;   in Loop: Header=BB156_36 Depth=1
	v_cmp_gt_i32_e64 s0, s21, v77
	s_wait_loadcnt 0x0
	v_dual_lshrrev_b32 v42, 16, v38 :: v_dual_lshrrev_b32 v44, 16, v40
	s_delay_alu instid0(VALU_DEP_2) | instskip(SKIP_1) | instid1(VALU_DEP_1)
	v_cndmask_b32_e64 v38, 0, v38, s0
	v_cmp_gt_i32_e64 s0, s11, v85
	v_dual_lshrrev_b32 v43, 16, v39 :: v_dual_cndmask_b32 v42, 0, v42, s0
	v_cmp_gt_i32_e64 s0, s21, v86
	s_delay_alu instid0(VALU_DEP_2) | instskip(NEXT) | instid1(VALU_DEP_2)
	v_perm_b32 v38, v42, v38, 0x5040100
	v_cndmask_b32_e64 v39, 0, v39, s0
	v_cmp_gt_i32_e64 s0, s11, v84
	s_delay_alu instid0(VALU_DEP_1) | instskip(SKIP_1) | instid1(VALU_DEP_1)
	v_cndmask_b32_e64 v43, 0, v43, s0
	v_cmp_gt_i32_e64 s0, s21, v83
	v_cndmask_b32_e64 v40, 0, v40, s0
	v_cmp_gt_i32_e64 s0, s11, v81
	v_lshrrev_b32_e32 v45, 16, v41
	v_perm_b32 v39, v43, v39, 0x5040100
	s_delay_alu instid0(VALU_DEP_3) | instskip(SKIP_1) | instid1(VALU_DEP_2)
	v_cndmask_b32_e64 v44, 0, v44, s0
	v_cmp_gt_i32_e64 s0, s21, v82
	v_perm_b32 v40, v44, v40, 0x5040100
	s_delay_alu instid0(VALU_DEP_2) | instskip(SKIP_1) | instid1(VALU_DEP_1)
	v_cndmask_b32_e64 v41, 0, v41, s0
	v_cmp_gt_i32_e64 s0, s11, v80
	v_cndmask_b32_e64 v45, 0, v45, s0
	s_delay_alu instid0(VALU_DEP_1)
	v_perm_b32 v41, v45, v41, 0x5040100
	s_or_b32 exec_lo, exec_lo, s12
	global_load_b128 v[46:49], v[0:1], off offset:4096
	s_wait_xcnt 0x0
	s_and_saveexec_b32 s12, vcc_lo
	s_cbranch_execz .LBB156_45
.LBB156_56:                             ;   in Loop: Header=BB156_36 Depth=1
	v_cmp_gt_i32_e64 s0, s21, v77
	s_wait_loadcnt 0x0
	s_delay_alu instid0(VALU_DEP_1) | instskip(SKIP_1) | instid1(VALU_DEP_1)
	v_dual_lshrrev_b32 v42, 16, v46 :: v_dual_cndmask_b32 v43, 0, v46, s0
	v_cmp_gt_i32_e64 s0, s11, v85
	v_dual_lshrrev_b32 v44, 16, v47 :: v_dual_cndmask_b32 v42, 0, v42, s0
	v_cmp_gt_i32_e64 s0, s21, v86
	s_delay_alu instid0(VALU_DEP_1) | instskip(SKIP_1) | instid1(VALU_DEP_1)
	v_cndmask_b32_e64 v45, 0, v47, s0
	v_cmp_gt_i32_e64 s0, s11, v84
	v_cndmask_b32_e64 v44, 0, v44, s0
	v_cmp_gt_i32_e64 s0, s21, v83
	s_delay_alu instid0(VALU_DEP_1) | instskip(SKIP_1) | instid1(VALU_DEP_1)
	v_dual_lshrrev_b32 v46, 16, v48 :: v_dual_cndmask_b32 v48, 0, v48, s0
	v_cmp_gt_i32_e64 s0, s11, v81
	v_dual_lshrrev_b32 v47, 16, v49 :: v_dual_cndmask_b32 v50, 0, v46, s0
	v_cmp_gt_i32_e64 s0, s21, v82
	v_perm_b32 v46, v42, v43, 0x5040100
	s_delay_alu instid0(VALU_DEP_3) | instskip(NEXT) | instid1(VALU_DEP_3)
	v_perm_b32 v48, v50, v48, 0x5040100
	v_cndmask_b32_e64 v49, 0, v49, s0
	v_cmp_gt_i32_e64 s0, s11, v80
	s_delay_alu instid0(VALU_DEP_1) | instskip(SKIP_1) | instid1(VALU_DEP_2)
	v_cndmask_b32_e64 v51, 0, v47, s0
	v_perm_b32 v47, v44, v45, 0x5040100
	v_perm_b32 v49, v51, v49, 0x5040100
	s_or_b32 exec_lo, exec_lo, s12
	global_load_b128 v[50:53], v[0:1], off offset:4608
	s_wait_xcnt 0x0
	s_and_saveexec_b32 s12, vcc_lo
	s_cbranch_execz .LBB156_46
.LBB156_57:                             ;   in Loop: Header=BB156_36 Depth=1
	v_cmp_gt_i32_e64 s0, s21, v77
	s_wait_loadcnt 0x0
	s_delay_alu instid0(VALU_DEP_1) | instskip(SKIP_1) | instid1(VALU_DEP_1)
	v_dual_lshrrev_b32 v42, 16, v50 :: v_dual_cndmask_b32 v43, 0, v50, s0
	v_cmp_gt_i32_e64 s0, s11, v85
	v_dual_lshrrev_b32 v44, 16, v51 :: v_dual_cndmask_b32 v42, 0, v42, s0
	v_cmp_gt_i32_e64 s0, s21, v86
	s_delay_alu instid0(VALU_DEP_1) | instskip(SKIP_1) | instid1(VALU_DEP_1)
	v_cndmask_b32_e64 v45, 0, v51, s0
	v_cmp_gt_i32_e64 s0, s11, v84
	v_cndmask_b32_e64 v44, 0, v44, s0
	v_cmp_gt_i32_e64 s0, s21, v83
	s_delay_alu instid0(VALU_DEP_1) | instskip(SKIP_1) | instid1(VALU_DEP_1)
	v_dual_lshrrev_b32 v50, 16, v52 :: v_dual_cndmask_b32 v52, 0, v52, s0
	v_cmp_gt_i32_e64 s0, s11, v81
	v_dual_lshrrev_b32 v51, 16, v53 :: v_dual_cndmask_b32 v54, 0, v50, s0
	v_cmp_gt_i32_e64 s0, s21, v82
	v_perm_b32 v50, v42, v43, 0x5040100
	s_delay_alu instid0(VALU_DEP_3) | instskip(NEXT) | instid1(VALU_DEP_3)
	v_perm_b32 v52, v54, v52, 0x5040100
	v_cndmask_b32_e64 v53, 0, v53, s0
	v_cmp_gt_i32_e64 s0, s11, v80
	s_delay_alu instid0(VALU_DEP_1) | instskip(SKIP_1) | instid1(VALU_DEP_2)
	v_cndmask_b32_e64 v55, 0, v51, s0
	v_perm_b32 v51, v44, v45, 0x5040100
	v_perm_b32 v53, v55, v53, 0x5040100
	s_or_b32 exec_lo, exec_lo, s12
	global_load_b128 v[54:57], v[0:1], off offset:5120
	s_wait_xcnt 0x0
	s_and_saveexec_b32 s12, vcc_lo
	s_cbranch_execz .LBB156_47
.LBB156_58:                             ;   in Loop: Header=BB156_36 Depth=1
	v_cmp_gt_i32_e64 s0, s21, v77
	s_wait_loadcnt 0x0
	s_delay_alu instid0(VALU_DEP_1) | instskip(SKIP_1) | instid1(VALU_DEP_1)
	v_dual_lshrrev_b32 v42, 16, v54 :: v_dual_cndmask_b32 v43, 0, v54, s0
	v_cmp_gt_i32_e64 s0, s11, v85
	v_dual_lshrrev_b32 v44, 16, v55 :: v_dual_cndmask_b32 v42, 0, v42, s0
	v_cmp_gt_i32_e64 s0, s21, v86
	s_delay_alu instid0(VALU_DEP_1) | instskip(SKIP_1) | instid1(VALU_DEP_1)
	v_cndmask_b32_e64 v45, 0, v55, s0
	v_cmp_gt_i32_e64 s0, s11, v84
	v_cndmask_b32_e64 v44, 0, v44, s0
	v_cmp_gt_i32_e64 s0, s21, v83
	s_delay_alu instid0(VALU_DEP_1) | instskip(SKIP_1) | instid1(VALU_DEP_1)
	v_dual_lshrrev_b32 v54, 16, v56 :: v_dual_cndmask_b32 v56, 0, v56, s0
	v_cmp_gt_i32_e64 s0, s11, v81
	v_dual_lshrrev_b32 v55, 16, v57 :: v_dual_cndmask_b32 v87, 0, v54, s0
	v_cmp_gt_i32_e64 s0, s21, v82
	v_perm_b32 v54, v42, v43, 0x5040100
	s_delay_alu instid0(VALU_DEP_3) | instskip(NEXT) | instid1(VALU_DEP_3)
	v_perm_b32 v56, v87, v56, 0x5040100
	v_cndmask_b32_e64 v57, 0, v57, s0
	v_cmp_gt_i32_e64 s0, s11, v80
	s_delay_alu instid0(VALU_DEP_1) | instskip(SKIP_1) | instid1(VALU_DEP_2)
	v_cndmask_b32_e64 v88, 0, v55, s0
	v_perm_b32 v55, v44, v45, 0x5040100
	v_perm_b32 v57, v88, v57, 0x5040100
	s_or_b32 exec_lo, exec_lo, s12
	global_load_b128 v[42:45], v[0:1], off offset:5632
	s_wait_xcnt 0x0
	s_and_saveexec_b32 s0, vcc_lo
	s_cbranch_execz .LBB156_35
.LBB156_59:                             ;   in Loop: Header=BB156_36 Depth=1
	v_cmp_gt_i32_e32 vcc_lo, s21, v77
	s_wait_loadcnt 0x0
	v_dual_cndmask_b32 v1, 0, v42 :: v_dual_lshrrev_b32 v0, 16, v42
	v_cmp_gt_i32_e32 vcc_lo, s11, v85
	s_delay_alu instid0(VALU_DEP_2) | instskip(SKIP_3) | instid1(VALU_DEP_4)
	v_dual_lshrrev_b32 v42, 16, v43 :: v_dual_cndmask_b32 v0, 0, v0, vcc_lo
	v_cmp_gt_i32_e32 vcc_lo, s21, v86
	v_cndmask_b32_e32 v43, 0, v43, vcc_lo
	v_cmp_gt_i32_e32 vcc_lo, s11, v84
	v_cndmask_b32_e32 v84, 0, v42, vcc_lo
	v_cmp_gt_i32_e32 vcc_lo, s21, v83
	v_lshrrev_b32_e32 v42, 16, v44
	s_delay_alu instid0(VALU_DEP_3) | instskip(SKIP_2) | instid1(VALU_DEP_4)
	v_perm_b32 v43, v84, v43, 0x5040100
	v_cndmask_b32_e32 v44, 0, v44, vcc_lo
	v_cmp_gt_i32_e32 vcc_lo, s11, v81
	v_dual_lshrrev_b32 v83, 16, v45 :: v_dual_cndmask_b32 v81, 0, v42, vcc_lo
	v_cmp_gt_i32_e32 vcc_lo, s21, v82
	v_perm_b32 v42, v0, v1, 0x5040100
	s_delay_alu instid0(VALU_DEP_3) | instskip(SKIP_3) | instid1(VALU_DEP_1)
	v_perm_b32 v44, v81, v44, 0x5040100
	v_cndmask_b32_e32 v45, 0, v45, vcc_lo
	v_cmp_gt_i32_e32 vcc_lo, s11, v80
	v_cndmask_b32_e32 v80, 0, v83, vcc_lo
	v_perm_b32 v45, v80, v45, 0x5040100
	s_branch .LBB156_35
.LBB156_60:
	s_or_b32 exec_lo, exec_lo, s10
	v_dual_mov_b32 v71, v89 :: v_dual_mov_b32 v28, v91
.LBB156_61:
	s_or_b32 exec_lo, exec_lo, s1
	ds_bpermute_b32 v0, v75, v68
	ds_bpermute_b32 v1, v75, v69
	ds_bpermute_b32 v2, v75, v66
	ds_bpermute_b32 v3, v75, v67
	ds_bpermute_b32 v4, v75, v64
	ds_bpermute_b32 v5, v75, v65
	ds_bpermute_b32 v6, v75, v62
	ds_bpermute_b32 v7, v75, v63
	ds_bpermute_b32 v8, v75, v60
	ds_bpermute_b32 v9, v75, v61
	ds_bpermute_b32 v10, v75, v58
	ds_bpermute_b32 v11, v75, v59
	v_and_b32_e32 v14, 28, v28
	v_and_b32_e32 v15, 0x3c3, v71
	s_mov_b32 s0, exec_lo
	s_wait_dscnt 0x0
	s_barrier_signal -1
	s_barrier_wait -1
	v_pk_add_f32 v[0:1], v[68:69], v[0:1]
	v_pk_add_f32 v[2:3], v[66:67], v[2:3]
	;; [unrolled: 1-line block ×4, first 2 shown]
	ds_bpermute_b32 v6, v74, v0
	v_pk_add_f32 v[18:19], v[60:61], v[8:9]
	ds_bpermute_b32 v7, v74, v1
	v_pk_add_f32 v[10:11], v[58:59], v[10:11]
	ds_bpermute_b32 v20, v74, v2
	ds_bpermute_b32 v21, v74, v3
	;; [unrolled: 1-line block ×10, first 2 shown]
	s_wait_dscnt 0xa
	v_pk_add_f32 v[8:9], v[0:1], v[6:7]
	s_wait_dscnt 0x8
	v_pk_add_f32 v[6:7], v[2:3], v[20:21]
	s_wait_dscnt 0x6
	v_pk_add_f32 v[4:5], v[4:5], v[22:23]
	s_wait_dscnt 0x4
	v_pk_add_f32 v[2:3], v[16:17], v[24:25]
	s_wait_dscnt 0x2
	v_pk_add_f32 v[0:1], v[18:19], v[26:27]
	v_cmpx_ne_u32_e32 64, v15
	s_xor_b32 s0, exec_lo, s0
	s_delay_alu instid0(SALU_CYCLE_1)
	s_or_saveexec_b32 s0, s0
	s_wait_dscnt 0x0
	v_pk_add_f32 v[10:11], v[10:11], v[12:13]
	v_lshrrev_b32_e32 v12, 2, v28
	v_add_nc_u32_e32 v13, 0xe0, v14
	v_mul_u32_u24_e32 v14, 0x180, v90
	s_xor_b32 exec_lo, exec_lo, s0
	s_cbranch_execz .LBB156_63
; %bb.62:
	s_delay_alu instid0(VALU_DEP_1) | instskip(NEXT) | instid1(VALU_DEP_1)
	v_add_nc_u32_e32 v15, v13, v14
	v_add_nc_u32_e32 v16, 0xfffffd00, v15
	v_add_nc_u32_e32 v17, 0xfffffd20, v15
	v_add_nc_u32_e32 v18, 0xfffffd40, v15
	v_add_nc_u32_e32 v19, 0xfffffd60, v15
	v_add_nc_u32_e32 v20, 0xfffffd80, v15
	v_add_nc_u32_e32 v21, 0xfffffda0, v15
	v_add_nc_u32_e32 v22, 0xfffffdc0, v15
	v_add_nc_u32_e32 v23, 0xfffffde0, v15
	v_add_nc_u32_e32 v24, 0xfffffe00, v15
	v_add_nc_u32_e32 v25, 0xfffffe20, v15
	v_add_nc_u32_e32 v26, 0xfffffe40, v15
	v_add_nc_u32_e32 v15, 0xfffffe60, v15
	ds_store_b32 v16, v8
	ds_store_b32 v17, v9
	;; [unrolled: 1-line block ×12, first 2 shown]
.LBB156_63:
	s_or_b32 exec_lo, exec_lo, s0
	v_lshlrev_b32_e32 v12, 2, v12
	s_mov_b32 s1, exec_lo
	v_cmp_eq_u32_e32 vcc_lo, 0, v76
	s_wait_dscnt 0x0
	s_barrier_signal -1
	v_add3_u32 v12, 0xe0, v14, v12
	s_barrier_wait -1
	v_cmpx_gt_u32_e32 64, v71
	s_cbranch_execz .LBB156_78
; %bb.64:
	s_and_saveexec_b32 s0, vcc_lo
	s_cbranch_execnz .LBB156_98
; %bb.65:
	s_or_b32 exec_lo, exec_lo, s0
	s_and_saveexec_b32 s0, vcc_lo
	s_cbranch_execnz .LBB156_99
.LBB156_66:
	s_or_b32 exec_lo, exec_lo, s0
	s_and_saveexec_b32 s0, vcc_lo
	s_cbranch_execnz .LBB156_100
.LBB156_67:
	s_or_b32 exec_lo, exec_lo, s0
	s_and_saveexec_b32 s0, vcc_lo
	s_cbranch_execnz .LBB156_101
.LBB156_68:
	s_or_b32 exec_lo, exec_lo, s0
	s_and_saveexec_b32 s0, vcc_lo
	s_cbranch_execnz .LBB156_102
.LBB156_69:
	s_or_b32 exec_lo, exec_lo, s0
	s_and_saveexec_b32 s0, vcc_lo
	s_cbranch_execnz .LBB156_103
.LBB156_70:
	s_or_b32 exec_lo, exec_lo, s0
	s_and_saveexec_b32 s0, vcc_lo
	s_cbranch_execnz .LBB156_104
.LBB156_71:
	s_or_b32 exec_lo, exec_lo, s0
	s_and_saveexec_b32 s0, vcc_lo
	s_cbranch_execnz .LBB156_105
.LBB156_72:
	s_or_b32 exec_lo, exec_lo, s0
	s_and_saveexec_b32 s0, vcc_lo
	s_cbranch_execnz .LBB156_106
.LBB156_73:
	s_or_b32 exec_lo, exec_lo, s0
	s_and_saveexec_b32 s0, vcc_lo
	s_cbranch_execnz .LBB156_107
.LBB156_74:
	s_or_b32 exec_lo, exec_lo, s0
	s_and_saveexec_b32 s0, vcc_lo
	s_cbranch_execnz .LBB156_108
.LBB156_75:
	s_or_b32 exec_lo, exec_lo, s0
	s_and_saveexec_b32 s0, vcc_lo
	s_cbranch_execz .LBB156_77
.LBB156_76:
	ds_load_b32 v14, v12 offset:352
	s_wait_dscnt 0x0
	v_add_f32_e32 v11, v11, v14
.LBB156_77:
	s_or_b32 exec_lo, exec_lo, s0
.LBB156_78:
	s_delay_alu instid0(SALU_CYCLE_1) | instskip(SKIP_4) | instid1(VALU_DEP_1)
	s_or_b32 exec_lo, exec_lo, s1
	v_and_b32_e32 v14, 0x3e3, v71
	s_mov_b32 s1, exec_lo
	s_barrier_signal -1
	s_barrier_wait -1
	v_cmpx_eq_u32_e32 32, v14
	s_cbranch_execz .LBB156_80
; %bb.79:
	ds_store_2addr_b32 v13, v8, v9 offset1:8
	ds_store_2addr_b32 v13, v6, v7 offset0:16 offset1:24
	ds_store_2addr_b32 v13, v4, v5 offset0:32 offset1:40
	;; [unrolled: 1-line block ×5, first 2 shown]
.LBB156_80:
	s_or_b32 exec_lo, exec_lo, s1
	s_delay_alu instid0(SALU_CYCLE_1)
	s_mov_b32 s1, exec_lo
	s_wait_dscnt 0x0
	s_barrier_signal -1
	s_barrier_wait -1
	v_cmpx_gt_u32_e32 32, v71
	s_cbranch_execz .LBB156_95
; %bb.81:
	s_and_saveexec_b32 s0, vcc_lo
	s_cbranch_execnz .LBB156_109
; %bb.82:
	s_or_b32 exec_lo, exec_lo, s0
	s_and_saveexec_b32 s0, vcc_lo
	s_cbranch_execnz .LBB156_110
.LBB156_83:
	s_or_b32 exec_lo, exec_lo, s0
	s_and_saveexec_b32 s0, vcc_lo
	s_cbranch_execnz .LBB156_111
.LBB156_84:
	s_or_b32 exec_lo, exec_lo, s0
	s_and_saveexec_b32 s0, vcc_lo
	s_cbranch_execnz .LBB156_112
.LBB156_85:
	s_or_b32 exec_lo, exec_lo, s0
	s_and_saveexec_b32 s0, vcc_lo
	s_cbranch_execnz .LBB156_113
.LBB156_86:
	s_or_b32 exec_lo, exec_lo, s0
	s_and_saveexec_b32 s0, vcc_lo
	s_cbranch_execnz .LBB156_114
.LBB156_87:
	s_or_b32 exec_lo, exec_lo, s0
	s_and_saveexec_b32 s0, vcc_lo
	s_cbranch_execnz .LBB156_115
.LBB156_88:
	s_or_b32 exec_lo, exec_lo, s0
	s_and_saveexec_b32 s0, vcc_lo
	s_cbranch_execnz .LBB156_116
.LBB156_89:
	s_or_b32 exec_lo, exec_lo, s0
	s_and_saveexec_b32 s0, vcc_lo
	s_cbranch_execnz .LBB156_117
.LBB156_90:
	s_or_b32 exec_lo, exec_lo, s0
	s_and_saveexec_b32 s0, vcc_lo
	s_cbranch_execnz .LBB156_118
.LBB156_91:
	s_or_b32 exec_lo, exec_lo, s0
	s_and_saveexec_b32 s0, vcc_lo
	s_cbranch_execnz .LBB156_119
.LBB156_92:
	s_or_b32 exec_lo, exec_lo, s0
	s_and_saveexec_b32 s0, vcc_lo
	s_cbranch_execz .LBB156_94
.LBB156_93:
	ds_load_b32 v12, v12 offset:352
	s_wait_dscnt 0x0
	v_add_f32_e32 v11, v11, v12
.LBB156_94:
	s_or_b32 exec_lo, exec_lo, s0
.LBB156_95:
	s_delay_alu instid0(SALU_CYCLE_1)
	s_or_b32 exec_lo, exec_lo, s1
	s_mov_b32 s1, 0
	s_barrier_signal -1
	s_barrier_wait -1
	s_mov_b32 s0, exec_lo
	v_cmpx_eq_u32_e32 0, v14
	s_cbranch_execz .LBB156_97
; %bb.96:
	s_mul_i32 s0, s20, s4
	s_mul_i32 s2, s4, s8
	;; [unrolled: 1-line block ×3, first 2 shown]
	s_lshr_b32 s8, ttmp7, 16
	s_mul_i32 s4, s0, 0x60
	s_bfe_u32 s0, ttmp6, 0x40014
	s_ashr_i32 s5, s4, 31
	s_add_co_i32 s0, s0, 1
	s_ashr_i32 s3, s2, 31
	s_mul_i32 s0, s8, s0
	s_bfe_u32 s9, ttmp6, 0x40008
	s_lshl_b64 s[4:5], s[4:5], 1
	s_lshl_b64 s[2:3], s[2:3], 1
	s_add_co_i32 s9, s9, s0
	s_cmp_eq_u32 s18, 0
	s_wait_kmcnt 0x0
	s_add_nc_u64 s[4:5], s[6:7], s[4:5]
	s_cselect_b32 s0, s8, s9
	s_add_nc_u64 s[2:3], s[4:5], s[2:3]
	s_mulk_i32 s0, 0xc0
	v_lshrrev_b32_e32 v12, 1, v71
	s_add_nc_u64 s[0:1], s[2:3], s[0:1]
	s_delay_alu instid0(SALU_CYCLE_1)
	v_cvt_pk_bf16_f32 v8, v8, s0
	v_cvt_pk_bf16_f32 v9, v9, s0
	v_cvt_pk_bf16_f32 v6, v6, s0
	v_cvt_pk_bf16_f32 v7, v7, s0
	v_cvt_pk_bf16_f32 v4, v4, s0
	v_cvt_pk_bf16_f32 v5, v5, s0
	v_cvt_pk_bf16_f32 v2, v2, s0
	v_cvt_pk_bf16_f32 v3, v3, s0
	v_cvt_pk_bf16_f32 v0, v0, s0
	v_cvt_pk_bf16_f32 v1, v1, s0
	v_cvt_pk_bf16_f32 v10, v10, s0
	v_cvt_pk_bf16_f32 v11, v11, s0
	s_clause 0xb
	global_store_b16 v12, v8, s[0:1]
	global_store_b16 v12, v9, s[0:1] offset:16
	global_store_b16 v12, v6, s[0:1] offset:32
	;; [unrolled: 1-line block ×11, first 2 shown]
.LBB156_97:
	s_sendmsg sendmsg(MSG_DEALLOC_VGPRS)
	s_endpgm
.LBB156_98:
	ds_load_b32 v14, v12
	s_wait_dscnt 0x0
	v_add_f32_e32 v8, v8, v14
	s_or_b32 exec_lo, exec_lo, s0
	s_and_saveexec_b32 s0, vcc_lo
	s_cbranch_execz .LBB156_66
.LBB156_99:
	ds_load_b32 v14, v12 offset:32
	s_wait_dscnt 0x0
	v_add_f32_e32 v9, v9, v14
	s_or_b32 exec_lo, exec_lo, s0
	s_and_saveexec_b32 s0, vcc_lo
	s_cbranch_execz .LBB156_67
.LBB156_100:
	ds_load_b32 v14, v12 offset:64
	s_wait_dscnt 0x0
	v_add_f32_e32 v6, v6, v14
	s_or_b32 exec_lo, exec_lo, s0
	s_and_saveexec_b32 s0, vcc_lo
	s_cbranch_execz .LBB156_68
.LBB156_101:
	ds_load_b32 v14, v12 offset:96
	s_wait_dscnt 0x0
	v_add_f32_e32 v7, v7, v14
	s_or_b32 exec_lo, exec_lo, s0
	s_and_saveexec_b32 s0, vcc_lo
	s_cbranch_execz .LBB156_69
.LBB156_102:
	ds_load_b32 v14, v12 offset:128
	s_wait_dscnt 0x0
	v_add_f32_e32 v4, v4, v14
	s_or_b32 exec_lo, exec_lo, s0
	s_and_saveexec_b32 s0, vcc_lo
	s_cbranch_execz .LBB156_70
.LBB156_103:
	ds_load_b32 v14, v12 offset:160
	s_wait_dscnt 0x0
	v_add_f32_e32 v5, v5, v14
	s_or_b32 exec_lo, exec_lo, s0
	s_and_saveexec_b32 s0, vcc_lo
	s_cbranch_execz .LBB156_71
.LBB156_104:
	ds_load_b32 v14, v12 offset:192
	s_wait_dscnt 0x0
	v_add_f32_e32 v2, v2, v14
	s_or_b32 exec_lo, exec_lo, s0
	s_and_saveexec_b32 s0, vcc_lo
	s_cbranch_execz .LBB156_72
.LBB156_105:
	ds_load_b32 v14, v12 offset:224
	s_wait_dscnt 0x0
	v_add_f32_e32 v3, v3, v14
	s_or_b32 exec_lo, exec_lo, s0
	s_and_saveexec_b32 s0, vcc_lo
	s_cbranch_execz .LBB156_73
.LBB156_106:
	ds_load_b32 v14, v12 offset:256
	s_wait_dscnt 0x0
	v_add_f32_e32 v0, v0, v14
	s_or_b32 exec_lo, exec_lo, s0
	s_and_saveexec_b32 s0, vcc_lo
	s_cbranch_execz .LBB156_74
.LBB156_107:
	ds_load_b32 v14, v12 offset:288
	s_wait_dscnt 0x0
	v_add_f32_e32 v1, v1, v14
	s_or_b32 exec_lo, exec_lo, s0
	s_and_saveexec_b32 s0, vcc_lo
	s_cbranch_execz .LBB156_75
.LBB156_108:
	ds_load_b32 v14, v12 offset:320
	s_wait_dscnt 0x0
	v_add_f32_e32 v10, v10, v14
	s_or_b32 exec_lo, exec_lo, s0
	s_and_saveexec_b32 s0, vcc_lo
	s_cbranch_execnz .LBB156_76
	s_branch .LBB156_77
.LBB156_109:
	ds_load_b32 v13, v12
	s_wait_dscnt 0x0
	v_add_f32_e32 v8, v8, v13
	s_or_b32 exec_lo, exec_lo, s0
	s_and_saveexec_b32 s0, vcc_lo
	s_cbranch_execz .LBB156_83
.LBB156_110:
	ds_load_b32 v13, v12 offset:32
	s_wait_dscnt 0x0
	v_add_f32_e32 v9, v9, v13
	s_or_b32 exec_lo, exec_lo, s0
	s_and_saveexec_b32 s0, vcc_lo
	s_cbranch_execz .LBB156_84
.LBB156_111:
	ds_load_b32 v13, v12 offset:64
	s_wait_dscnt 0x0
	v_add_f32_e32 v6, v6, v13
	s_or_b32 exec_lo, exec_lo, s0
	s_and_saveexec_b32 s0, vcc_lo
	s_cbranch_execz .LBB156_85
.LBB156_112:
	ds_load_b32 v13, v12 offset:96
	s_wait_dscnt 0x0
	v_add_f32_e32 v7, v7, v13
	s_or_b32 exec_lo, exec_lo, s0
	s_and_saveexec_b32 s0, vcc_lo
	s_cbranch_execz .LBB156_86
.LBB156_113:
	ds_load_b32 v13, v12 offset:128
	s_wait_dscnt 0x0
	v_add_f32_e32 v4, v4, v13
	s_or_b32 exec_lo, exec_lo, s0
	s_and_saveexec_b32 s0, vcc_lo
	s_cbranch_execz .LBB156_87
.LBB156_114:
	ds_load_b32 v13, v12 offset:160
	s_wait_dscnt 0x0
	v_add_f32_e32 v5, v5, v13
	s_or_b32 exec_lo, exec_lo, s0
	s_and_saveexec_b32 s0, vcc_lo
	s_cbranch_execz .LBB156_88
.LBB156_115:
	ds_load_b32 v13, v12 offset:192
	s_wait_dscnt 0x0
	v_add_f32_e32 v2, v2, v13
	s_or_b32 exec_lo, exec_lo, s0
	s_and_saveexec_b32 s0, vcc_lo
	s_cbranch_execz .LBB156_89
.LBB156_116:
	ds_load_b32 v13, v12 offset:224
	s_wait_dscnt 0x0
	v_add_f32_e32 v3, v3, v13
	s_or_b32 exec_lo, exec_lo, s0
	s_and_saveexec_b32 s0, vcc_lo
	s_cbranch_execz .LBB156_90
.LBB156_117:
	ds_load_b32 v13, v12 offset:256
	s_wait_dscnt 0x0
	v_add_f32_e32 v0, v0, v13
	s_or_b32 exec_lo, exec_lo, s0
	s_and_saveexec_b32 s0, vcc_lo
	s_cbranch_execz .LBB156_91
.LBB156_118:
	ds_load_b32 v13, v12 offset:288
	s_wait_dscnt 0x0
	v_add_f32_e32 v1, v1, v13
	s_or_b32 exec_lo, exec_lo, s0
	s_and_saveexec_b32 s0, vcc_lo
	s_cbranch_execz .LBB156_92
.LBB156_119:
	ds_load_b32 v13, v12 offset:320
	s_wait_dscnt 0x0
	v_add_f32_e32 v10, v10, v13
	s_or_b32 exec_lo, exec_lo, s0
	s_and_saveexec_b32 s0, vcc_lo
	s_cbranch_execnz .LBB156_93
	s_branch .LBB156_94
	.section	.rodata,"a",@progbits
	.p2align	6, 0x0
	.amdhsa_kernel _ZN4vllm25paged_attention_v1_kernelI14__hip_bfloat16S1_Li96ELi32ELi128ELNS_18Fp8KVCacheDataTypeE0ELb0EEEvPT_PKS3_PKT0_S9_ifPKiSB_iPKfiiiSD_SD_iiiii
		.amdhsa_group_segment_fixed_size 224
		.amdhsa_private_segment_fixed_size 152
		.amdhsa_kernarg_size 384
		.amdhsa_user_sgpr_count 2
		.amdhsa_user_sgpr_dispatch_ptr 0
		.amdhsa_user_sgpr_queue_ptr 0
		.amdhsa_user_sgpr_kernarg_segment_ptr 1
		.amdhsa_user_sgpr_dispatch_id 0
		.amdhsa_user_sgpr_kernarg_preload_length 0
		.amdhsa_user_sgpr_kernarg_preload_offset 0
		.amdhsa_user_sgpr_private_segment_size 0
		.amdhsa_wavefront_size32 1
		.amdhsa_uses_dynamic_stack 0
		.amdhsa_enable_private_segment 1
		.amdhsa_system_sgpr_workgroup_id_x 1
		.amdhsa_system_sgpr_workgroup_id_y 1
		.amdhsa_system_sgpr_workgroup_id_z 1
		.amdhsa_system_sgpr_workgroup_info 0
		.amdhsa_system_vgpr_workitem_id 0
		.amdhsa_next_free_vgpr 128
		.amdhsa_next_free_sgpr 28
		.amdhsa_named_barrier_count 0
		.amdhsa_reserve_vcc 1
		.amdhsa_float_round_mode_32 0
		.amdhsa_float_round_mode_16_64 0
		.amdhsa_float_denorm_mode_32 3
		.amdhsa_float_denorm_mode_16_64 3
		.amdhsa_fp16_overflow 0
		.amdhsa_memory_ordered 1
		.amdhsa_forward_progress 1
		.amdhsa_inst_pref_size 97
		.amdhsa_round_robin_scheduling 0
		.amdhsa_exception_fp_ieee_invalid_op 0
		.amdhsa_exception_fp_denorm_src 0
		.amdhsa_exception_fp_ieee_div_zero 0
		.amdhsa_exception_fp_ieee_overflow 0
		.amdhsa_exception_fp_ieee_underflow 0
		.amdhsa_exception_fp_ieee_inexact 0
		.amdhsa_exception_int_div_zero 0
	.end_amdhsa_kernel
	.section	.text._ZN4vllm25paged_attention_v1_kernelI14__hip_bfloat16S1_Li96ELi32ELi128ELNS_18Fp8KVCacheDataTypeE0ELb0EEEvPT_PKS3_PKT0_S9_ifPKiSB_iPKfiiiSD_SD_iiiii,"axG",@progbits,_ZN4vllm25paged_attention_v1_kernelI14__hip_bfloat16S1_Li96ELi32ELi128ELNS_18Fp8KVCacheDataTypeE0ELb0EEEvPT_PKS3_PKT0_S9_ifPKiSB_iPKfiiiSD_SD_iiiii,comdat
.Lfunc_end156:
	.size	_ZN4vllm25paged_attention_v1_kernelI14__hip_bfloat16S1_Li96ELi32ELi128ELNS_18Fp8KVCacheDataTypeE0ELb0EEEvPT_PKS3_PKT0_S9_ifPKiSB_iPKfiiiSD_SD_iiiii, .Lfunc_end156-_ZN4vllm25paged_attention_v1_kernelI14__hip_bfloat16S1_Li96ELi32ELi128ELNS_18Fp8KVCacheDataTypeE0ELb0EEEvPT_PKS3_PKT0_S9_ifPKiSB_iPKfiiiSD_SD_iiiii
                                        ; -- End function
	.set _ZN4vllm25paged_attention_v1_kernelI14__hip_bfloat16S1_Li96ELi32ELi128ELNS_18Fp8KVCacheDataTypeE0ELb0EEEvPT_PKS3_PKT0_S9_ifPKiSB_iPKfiiiSD_SD_iiiii.num_vgpr, 128
	.set _ZN4vllm25paged_attention_v1_kernelI14__hip_bfloat16S1_Li96ELi32ELi128ELNS_18Fp8KVCacheDataTypeE0ELb0EEEvPT_PKS3_PKT0_S9_ifPKiSB_iPKfiiiSD_SD_iiiii.num_agpr, 0
	.set _ZN4vllm25paged_attention_v1_kernelI14__hip_bfloat16S1_Li96ELi32ELi128ELNS_18Fp8KVCacheDataTypeE0ELb0EEEvPT_PKS3_PKT0_S9_ifPKiSB_iPKfiiiSD_SD_iiiii.numbered_sgpr, 28
	.set _ZN4vllm25paged_attention_v1_kernelI14__hip_bfloat16S1_Li96ELi32ELi128ELNS_18Fp8KVCacheDataTypeE0ELb0EEEvPT_PKS3_PKT0_S9_ifPKiSB_iPKfiiiSD_SD_iiiii.num_named_barrier, 0
	.set _ZN4vllm25paged_attention_v1_kernelI14__hip_bfloat16S1_Li96ELi32ELi128ELNS_18Fp8KVCacheDataTypeE0ELb0EEEvPT_PKS3_PKT0_S9_ifPKiSB_iPKfiiiSD_SD_iiiii.private_seg_size, 152
	.set _ZN4vllm25paged_attention_v1_kernelI14__hip_bfloat16S1_Li96ELi32ELi128ELNS_18Fp8KVCacheDataTypeE0ELb0EEEvPT_PKS3_PKT0_S9_ifPKiSB_iPKfiiiSD_SD_iiiii.uses_vcc, 1
	.set _ZN4vllm25paged_attention_v1_kernelI14__hip_bfloat16S1_Li96ELi32ELi128ELNS_18Fp8KVCacheDataTypeE0ELb0EEEvPT_PKS3_PKT0_S9_ifPKiSB_iPKfiiiSD_SD_iiiii.uses_flat_scratch, 1
	.set _ZN4vllm25paged_attention_v1_kernelI14__hip_bfloat16S1_Li96ELi32ELi128ELNS_18Fp8KVCacheDataTypeE0ELb0EEEvPT_PKS3_PKT0_S9_ifPKiSB_iPKfiiiSD_SD_iiiii.has_dyn_sized_stack, 0
	.set _ZN4vllm25paged_attention_v1_kernelI14__hip_bfloat16S1_Li96ELi32ELi128ELNS_18Fp8KVCacheDataTypeE0ELb0EEEvPT_PKS3_PKT0_S9_ifPKiSB_iPKfiiiSD_SD_iiiii.has_recursion, 0
	.set _ZN4vllm25paged_attention_v1_kernelI14__hip_bfloat16S1_Li96ELi32ELi128ELNS_18Fp8KVCacheDataTypeE0ELb0EEEvPT_PKS3_PKT0_S9_ifPKiSB_iPKfiiiSD_SD_iiiii.has_indirect_call, 0
	.section	.AMDGPU.csdata,"",@progbits
; Kernel info:
; codeLenInByte = 12372
; TotalNumSgprs: 30
; NumVgprs: 128
; ScratchSize: 152
; MemoryBound: 0
; FloatMode: 240
; IeeeMode: 1
; LDSByteSize: 224 bytes/workgroup (compile time only)
; SGPRBlocks: 0
; VGPRBlocks: 7
; NumSGPRsForWavesPerEU: 30
; NumVGPRsForWavesPerEU: 128
; NamedBarCnt: 0
; Occupancy: 8
; WaveLimiterHint : 1
; COMPUTE_PGM_RSRC2:SCRATCH_EN: 1
; COMPUTE_PGM_RSRC2:USER_SGPR: 2
; COMPUTE_PGM_RSRC2:TRAP_HANDLER: 0
; COMPUTE_PGM_RSRC2:TGID_X_EN: 1
; COMPUTE_PGM_RSRC2:TGID_Y_EN: 1
; COMPUTE_PGM_RSRC2:TGID_Z_EN: 1
; COMPUTE_PGM_RSRC2:TIDIG_COMP_CNT: 0
	.section	.text._ZN4vllm25paged_attention_v1_kernelI14__hip_bfloat16S1_Li112ELi32ELi128ELNS_18Fp8KVCacheDataTypeE0ELb0EEEvPT_PKS3_PKT0_S9_ifPKiSB_iPKfiiiSD_SD_iiiii,"axG",@progbits,_ZN4vllm25paged_attention_v1_kernelI14__hip_bfloat16S1_Li112ELi32ELi128ELNS_18Fp8KVCacheDataTypeE0ELb0EEEvPT_PKS3_PKT0_S9_ifPKiSB_iPKfiiiSD_SD_iiiii,comdat
	.protected	_ZN4vllm25paged_attention_v1_kernelI14__hip_bfloat16S1_Li112ELi32ELi128ELNS_18Fp8KVCacheDataTypeE0ELb0EEEvPT_PKS3_PKT0_S9_ifPKiSB_iPKfiiiSD_SD_iiiii ; -- Begin function _ZN4vllm25paged_attention_v1_kernelI14__hip_bfloat16S1_Li112ELi32ELi128ELNS_18Fp8KVCacheDataTypeE0ELb0EEEvPT_PKS3_PKT0_S9_ifPKiSB_iPKfiiiSD_SD_iiiii
	.globl	_ZN4vllm25paged_attention_v1_kernelI14__hip_bfloat16S1_Li112ELi32ELi128ELNS_18Fp8KVCacheDataTypeE0ELb0EEEvPT_PKS3_PKT0_S9_ifPKiSB_iPKfiiiSD_SD_iiiii
	.p2align	8
	.type	_ZN4vllm25paged_attention_v1_kernelI14__hip_bfloat16S1_Li112ELi32ELi128ELNS_18Fp8KVCacheDataTypeE0ELb0EEEvPT_PKS3_PKT0_S9_ifPKiSB_iPKfiiiSD_SD_iiiii,@function
_ZN4vllm25paged_attention_v1_kernelI14__hip_bfloat16S1_Li112ELi32ELi128ELNS_18Fp8KVCacheDataTypeE0ELb0EEEvPT_PKS3_PKT0_S9_ifPKiSB_iPKfiiiSD_SD_iiiii: ; @_ZN4vllm25paged_attention_v1_kernelI14__hip_bfloat16S1_Li112ELi32ELi128ELNS_18Fp8KVCacheDataTypeE0ELb0EEEvPT_PKS3_PKT0_S9_ifPKiSB_iPKfiiiSD_SD_iiiii
; %bb.0:
	s_load_b64 s[6:7], s[0:1], 0x20
	s_bfe_u32 s3, ttmp6, 0x4000c
	s_bfe_u32 s5, ttmp6, 0x40010
	s_and_b32 s4, ttmp7, 0xffff
	s_add_co_i32 s3, s3, 1
	s_add_co_i32 s5, s5, 1
	s_and_b32 s2, ttmp6, 15
	s_bfe_u32 s8, ttmp6, 0x40004
	s_mul_i32 s3, ttmp9, s3
	s_mul_i32 s5, s4, s5
	s_getreg_b32 s18, hwreg(HW_REG_IB_STS2, 6, 4)
	s_add_co_i32 s2, s2, s3
	s_add_co_i32 s8, s8, s5
	s_cmp_eq_u32 s18, 0
	v_mov_b32_e32 v99, v0
	s_cselect_b32 s20, s4, s8
	s_cselect_b32 s8, ttmp9, s2
	s_clause 0x1
	s_load_b32 s19, s[0:1], 0x80
	s_load_b64 s[10:11], s[0:1], 0x30
	s_wait_kmcnt 0x0
	s_abs_i32 s2, s6
	s_delay_alu instid0(SALU_CYCLE_1) | instskip(SKIP_1) | instid1(SALU_CYCLE_2)
	s_cvt_f32_u32 s3, s2
	s_sub_co_i32 s4, 0, s2
	v_rcp_iflag_f32_e32 v0, s3
	v_nop
	s_delay_alu instid0(TRANS32_DEP_1) | instskip(SKIP_2) | instid1(SALU_CYCLE_3)
	v_readfirstlane_b32 s3, v0
	s_abs_i32 s5, s19
	s_mul_f32 s3, s3, 0x4f7ffffe
	s_cvt_u32_f32 s3, s3
	s_delay_alu instid0(SALU_CYCLE_3) | instskip(NEXT) | instid1(SALU_CYCLE_1)
	s_mul_i32 s4, s4, s3
	s_mul_hi_u32 s4, s3, s4
	s_delay_alu instid0(SALU_CYCLE_1) | instskip(SKIP_4) | instid1(SALU_CYCLE_1)
	s_add_co_i32 s3, s3, s4
	s_xor_b32 s4, s19, s6
	s_mul_hi_u32 s3, s5, s3
	s_ashr_i32 s4, s4, 31
	s_mul_i32 s6, s3, s2
	s_sub_co_i32 s5, s5, s6
	s_add_co_i32 s6, s3, 1
	s_sub_co_i32 s9, s5, s2
	s_cmp_ge_u32 s5, s2
	s_cselect_b32 s3, s6, s3
	s_cselect_b32 s5, s9, s5
	s_add_co_i32 s6, s3, 1
	s_cmp_ge_u32 s5, s2
	s_cselect_b32 s2, s6, s3
	s_mov_b32 s3, 0
	s_xor_b32 s2, s2, s4
	s_mov_b32 s13, s3
	s_sub_co_i32 s15, s2, s4
	s_load_b64 s[4:5], s[0:1], 0x40
	s_abs_i32 s14, s15
	s_mov_b32 s22, s3
	s_cvt_f32_u32 s2, s14
	s_delay_alu instid0(SALU_CYCLE_3) | instskip(SKIP_1) | instid1(TRANS32_DEP_1)
	v_rcp_iflag_f32_e32 v0, s2
	v_nop
	v_readfirstlane_b32 s2, v0
	s_mul_f32 s2, s2, 0x4f7ffffe
	s_delay_alu instid0(SALU_CYCLE_3) | instskip(SKIP_1) | instid1(SALU_CYCLE_2)
	s_cvt_u32_f32 s6, s2
	s_sub_co_i32 s2, 0, s14
	s_mul_i32 s2, s2, s6
	s_delay_alu instid0(SALU_CYCLE_1)
	s_mul_hi_u32 s9, s6, s2
	s_abs_i32 s2, s8
	s_add_co_i32 s12, s6, s9
	s_wait_kmcnt 0x0
	s_cmp_eq_u64 s[4:5], 0
	s_cbranch_scc1 .LBB157_2
; %bb.1:
	s_ashr_i32 s9, s8, 31
	s_delay_alu instid0(SALU_CYCLE_1) | instskip(NEXT) | instid1(SALU_CYCLE_1)
	s_lshl_b64 s[16:17], s[8:9], 2
	s_add_nc_u64 s[4:5], s[4:5], s[16:17]
	s_load_b32 s22, s[4:5], 0x0
.LBB157_2:
	s_load_b32 s21, s[10:11], s20 offset:0x0 scale_offset
	s_wait_xcnt 0x0
	s_load_b96 s[4:6], s[0:1], 0x48
	v_lshlrev_b32_e32 v22, 4, v99
	s_ashr_i32 s10, s8, 31
	s_ashr_i32 s11, s15, 31
	s_mul_u64 s[12:13], s[2:3], s[12:13]
	s_mulk_i32 s8, 0x70
	s_mov_b32 s3, exec_lo
	v_cmpx_gt_u32_e32 14, v99
	s_cbranch_execz .LBB157_4
; %bb.3:
	s_load_b64 s[16:17], s[0:1], 0x8
	s_wait_kmcnt 0x0
	s_mul_i32 s24, s4, s20
	s_ashr_i32 s9, s8, 31
	s_ashr_i32 s25, s24, 31
	s_delay_alu instid0(SALU_CYCLE_1) | instskip(NEXT) | instid1(SALU_CYCLE_1)
	s_lshl_b64 s[24:25], s[24:25], 1
	s_add_nc_u64 s[16:17], s[16:17], s[24:25]
	s_lshl_b64 s[24:25], s[8:9], 1
	s_delay_alu instid0(SALU_CYCLE_1)
	s_add_nc_u64 s[16:17], s[16:17], s[24:25]
	global_load_b128 v[0:3], v99, s[16:17] scale_offset
	s_wait_loadcnt 0x0
	ds_store_b128 v22, v[0:3]
.LBB157_4:
	s_or_b32 exec_lo, exec_lo, s3
	s_wait_kmcnt 0x0
	s_add_co_i32 s3, s21, 31
	s_load_b32 s12, s[0:1], 0x38
	s_ashr_i32 s4, s3, 31
	s_mul_i32 s9, s13, s14
	s_lshr_b32 s4, s4, 27
	s_xor_b32 s15, s10, s11
	s_add_co_i32 s3, s3, s4
	s_clause 0x1
	s_load_b64 s[10:11], s[0:1], 0x28
	s_load_b32 s4, s[0:1], 0x88
	s_sub_co_i32 s2, s2, s9
	s_ashr_i32 s9, s3, 5
	s_add_co_i32 s3, s13, 1
	s_sub_co_i32 s16, s2, s14
	s_cmp_ge_u32 s2, s14
	v_dual_lshrrev_b32 v100, 5, v99 :: v_dual_bitop2_b32 v32, 31, v99 bitop3:0x40
	s_cselect_b32 s3, s3, s13
	s_cselect_b32 s2, s16, s2
	s_add_co_i32 s13, s3, 1
	s_cmp_ge_u32 s2, s14
	v_dual_mov_b32 v88, 0xff7fffff :: v_dual_lshlrev_b32 v29, 2, v32
	s_cselect_b32 s2, s13, s3
	v_lshrrev_b32_e32 v28, 3, v99
	s_xor_b32 s2, s2, s15
	s_wait_kmcnt 0x0
	s_mul_i32 s12, s12, s20
	s_sub_co_i32 s3, s2, s15
	v_cmp_gt_i32_e64 s2, s9, v100
	s_ashr_i32 s13, s12, 31
	s_mul_i32 s14, s3, s6
	s_wait_dscnt 0x0
	s_barrier_signal -1
	s_barrier_wait -1
	s_and_saveexec_b32 s6, s2
	s_cbranch_execz .LBB157_8
; %bb.5:
	v_mov_b32_e32 v15, 0
	s_clause 0x1
	scratch_store_b32 off, v22, off offset:248
	scratch_store_b32 off, v99, off offset:240
	s_load_b64 s[24:25], s[0:1], 0x10
	s_ashr_i32 s15, s14, 31
	s_ashr_i32 s17, s5, 31
	ds_load_b128 v[16:19], v15
	ds_load_b128 v[20:23], v15 offset:16
	ds_load_b128 v[24:27], v15 offset:32
	;; [unrolled: 1-line block ×5, first 2 shown]
	s_lshl_b64 s[26:27], s[14:15], 1
	s_cmp_neq_f32 s22, 0
	v_mov_b32_e32 v88, 0xff7fffff
	s_mov_b32 s16, s5
	s_mov_b32 s15, 0
	s_cselect_b32 vcc_lo, -1, 0
	s_sub_co_i32 s23, 1, s21
	s_clause 0x2
	scratch_store_b32 off, v32, off offset:244
	scratch_store_b32 off, v28, off offset:252
	;; [unrolled: 1-line block ×3, first 2 shown]
	v_dual_mov_b32 v91, v100 :: v_dual_lshlrev_b32 v14, 4, v32
	v_mov_b32_e32 v93, v100
	s_wait_dscnt 0x5
	v_and_b32_e32 v1, 0xffff0000, v16
	v_lshlrev_b32_e32 v0, 16, v16
	s_wait_kmcnt 0x0
	s_add_nc_u64 s[24:25], s[24:25], s[26:27]
	s_wait_dscnt 0x2
	v_lshlrev_b32_e32 v16, 16, v5
	v_lshl_or_b32 v90, v91, 5, v32
	v_add_nc_u64_e32 v[66:67], s[24:25], v[14:15]
	scratch_store_b64 off, v[0:1], off      ; 8-byte Folded Spill
	s_wait_xcnt 0x0
	v_and_b32_e32 v1, 0xffff0000, v17
	v_lshlrev_b32_e32 v0, 16, v17
	v_and_b32_e32 v17, 0xffff0000, v5
	s_wait_dscnt 0x1
	v_and_b32_e32 v5, 0xffff0000, v10
	v_and_b32_e32 v14, 0x7c, v28
	s_lshl_b64 s[24:25], s[12:13], 2
	scratch_store_b64 off, v[0:1], off offset:8 ; 8-byte Folded Spill
	s_wait_xcnt 0x0
	v_and_b32_e32 v1, 0xffff0000, v18
	v_lshlrev_b32_e32 v0, 16, v18
	s_add_nc_u64 s[24:25], s[10:11], s[24:25]
	s_delay_alu instid0(SALU_CYCLE_1)
	v_add_nc_u64_e32 v[68:69], s[24:25], v[14:15]
	scratch_store_b64 off, v[0:1], off offset:16 ; 8-byte Folded Spill
	s_wait_xcnt 0x0
	v_and_b32_e32 v1, 0xffff0000, v19
	v_lshlrev_b32_e32 v0, 16, v19
	scratch_store_b64 off, v[0:1], off offset:24 ; 8-byte Folded Spill
	s_wait_xcnt 0x0
	v_and_b32_e32 v1, 0xffff0000, v20
	v_lshlrev_b32_e32 v0, 16, v20
	;; [unrolled: 4-line block ×11, first 2 shown]
	scratch_store_b64 off, v[0:1], off offset:104 ; 8-byte Folded Spill
	s_wait_xcnt 0x0
	v_and_b32_e32 v1, 0xffff0000, v4
	v_dual_lshlrev_b32 v0, 16, v4 :: v_dual_lshlrev_b32 v4, 16, v10
	s_wait_dscnt 0x0
	v_lshlrev_b32_e32 v10, 16, v9
	s_clause 0x1
	scratch_store_b64 off, v[0:1], off offset:112
	scratch_store_b64 off, v[4:5], off offset:128
	s_wait_xcnt 0x0
	v_and_b32_e32 v5, 0xffff0000, v6
	v_lshlrev_b32_e32 v4, 16, v6
	ds_load_b128 v[0:3], v15 offset:96
	scratch_store_b64 off, v[16:17], off offset:120 ; 8-byte Folded Spill
	s_wait_xcnt 0x0
	ds_load_b128 v[16:19], v15 offset:112
	scratch_store_b64 off, v[4:5], off offset:136 ; 8-byte Folded Spill
	s_wait_xcnt 0x0
	v_and_b32_e32 v5, 0xffff0000, v11
	v_lshlrev_b32_e32 v4, 16, v11
	v_and_b32_e32 v11, 0xffff0000, v9
	scratch_store_b64 off, v[4:5], off offset:144 ; 8-byte Folded Spill
	s_wait_xcnt 0x0
	v_and_b32_e32 v5, 0xffff0000, v7
	v_lshlrev_b32_e32 v4, 16, v7
	scratch_store_b64 off, v[4:5], off offset:152 ; 8-byte Folded Spill
	s_wait_xcnt 0x0
	v_and_b32_e32 v5, 0xffff0000, v12
	v_lshlrev_b32_e32 v4, 16, v12
	s_wait_dscnt 0x1
	v_and_b32_e32 v9, 0xffff0000, v0
	s_wait_dscnt 0x0
	v_and_b32_e32 v103, 0xffff0000, v18
	v_lshlrev_b32_e32 v102, 16, v18
	v_and_b32_e32 v105, 0xffff0000, v19
	scratch_store_b64 off, v[4:5], off offset:160 ; 8-byte Folded Spill
	s_wait_xcnt 0x0
	v_and_b32_e32 v5, 0xffff0000, v8
	v_lshlrev_b32_e32 v4, 16, v8
	v_dual_lshlrev_b32 v8, 16, v0 :: v_dual_lshlrev_b32 v104, 16, v19
	s_clause 0x1
	scratch_store_b64 off, v[4:5], off offset:168
	scratch_store_b64 off, v[8:9], off offset:192
	s_wait_xcnt 0x1
	v_and_b32_e32 v5, 0xffff0000, v13
	v_lshlrev_b32_e32 v4, 16, v13
	s_wait_xcnt 0x0
	v_and_b32_e32 v9, 0xffff0000, v1
	v_lshlrev_b32_e32 v8, 16, v1
	v_and_b32_e32 v1, 0xffff0000, v2
	scratch_store_b64 off, v[4:5], off offset:176 ; 8-byte Folded Spill
	s_wait_xcnt 0x0
	ds_load_b128 v[4:7], v15 offset:128
	v_lshlrev_b32_e32 v0, 16, v2
	s_clause 0x1
	scratch_store_b64 off, v[10:11], off offset:184
	scratch_store_b64 off, v[0:1], off offset:208
	s_wait_xcnt 0x0
	v_and_b32_e32 v1, 0xffff0000, v3
	v_lshlrev_b32_e32 v0, 16, v3
	scratch_store_b64 off, v[8:9], off offset:200 ; 8-byte Folded Spill
	s_wait_xcnt 0x0
	ds_load_b128 v[8:11], v15 offset:144
	s_wait_dscnt 0x1
	v_lshlrev_b32_e32 v110, 16, v6
	scratch_store_b64 off, v[0:1], off offset:216 ; 8-byte Folded Spill
	s_wait_xcnt 0x0
	v_and_b32_e32 v1, 0xffff0000, v16
	v_lshlrev_b32_e32 v0, 16, v16
	v_and_b32_e32 v107, 0xffff0000, v4
	v_lshlrev_b32_e32 v106, 16, v4
	;; [unrolled: 2-line block ×3, first 2 shown]
	v_and_b32_e32 v111, 0xffff0000, v6
	v_and_b32_e32 v113, 0xffff0000, v7
	v_lshlrev_b32_e32 v112, 16, v7
	s_wait_dscnt 0x0
	v_and_b32_e32 v115, 0xffff0000, v8
	v_lshlrev_b32_e32 v114, 16, v8
	v_and_b32_e32 v117, 0xffff0000, v9
	v_lshlrev_b32_e32 v116, 16, v9
	scratch_store_b64 off, v[0:1], off offset:224 ; 8-byte Folded Spill
	s_wait_xcnt 0x0
	v_lshlrev_b32_e32 v0, 16, v17
	v_and_b32_e32 v119, 0xffff0000, v10
	v_dual_lshlrev_b32 v118, 16, v10 :: v_dual_lshlrev_b32 v120, 16, v11
	ds_load_b128 v[4:7], v15 offset:192
	v_and_b32_e32 v121, 0xffff0000, v11
	ds_load_b128 v[8:11], v15 offset:208
	v_and_b32_e32 v1, 0xffff0000, v17
	ds_load_b128 v[16:19], v15 offset:176
	scratch_store_b64 off, v[0:1], off offset:232 ; 8-byte Folded Spill
	s_wait_xcnt 0x0
	ds_load_b128 v[0:3], v15 offset:160
	s_wait_dscnt 0x3
	v_and_b32_e32 v51, 0xffff0000, v4
	v_dual_lshlrev_b32 v50, 16, v4 :: v_dual_lshlrev_b32 v52, 16, v5
	s_wait_dscnt 0x2
	v_lshlrev_b32_e32 v62, 16, v10
	s_wait_dscnt 0x1
	v_and_b32_e32 v45, 0xffff0000, v17
	v_lshlrev_b32_e32 v44, 16, v17
	v_and_b32_e32 v47, 0xffff0000, v18
	v_dual_lshlrev_b32 v46, 16, v18 :: v_dual_lshlrev_b32 v48, 16, v19
	s_wait_dscnt 0x0
	v_and_b32_e32 v127, 0xffff0000, v2
	v_dual_lshlrev_b32 v126, 16, v2 :: v_dual_lshlrev_b32 v42, 16, v3
	v_lshl_or_b32 v2, v91, 7, v29
	v_and_b32_e32 v123, 0xffff0000, v0
	v_dual_lshlrev_b32 v122, 16, v0 :: v_dual_lshlrev_b32 v124, 16, v1
	v_and_b32_e32 v125, 0xffff0000, v1
	v_and_b32_e32 v43, 0xffff0000, v3
	v_and_b32_e32 v1, 0xffff0000, v16
	v_lshlrev_b32_e32 v0, 16, v16
	v_and_b32_e32 v49, 0xffff0000, v19
	v_and_b32_e32 v53, 0xffff0000, v5
	;; [unrolled: 1-line block ×3, first 2 shown]
	v_dual_lshlrev_b32 v54, 16, v6 :: v_dual_lshlrev_b32 v56, 16, v7
	v_and_b32_e32 v57, 0xffff0000, v7
	v_and_b32_e32 v59, 0xffff0000, v8
	v_dual_lshlrev_b32 v58, 16, v8 :: v_dual_lshlrev_b32 v60, 16, v9
	v_and_b32_e32 v61, 0xffff0000, v9
	v_and_b32_e32 v63, 0xffff0000, v10
	;; [unrolled: 1-line block ×3, first 2 shown]
	v_lshlrev_b32_e32 v64, 16, v11
	v_add_nc_u32_e32 v89, 0x100, v2
.LBB157_6:                              ; =>This Inner Loop Header: Depth=1
	global_load_b32 v2, v[68:69], off
	v_add_nc_u32_e32 v4, s23, v90
	v_cmp_gt_i32_e64 s3, s21, v90
	s_wait_xcnt 0x0
	v_add_nc_u64_e32 v[68:69], 16, v[68:69]
	v_add_nc_u32_e32 v90, 0x80, v90
	v_add_nc_u32_e32 v91, 4, v91
	v_cvt_f32_i32_e32 v4, v4
	s_delay_alu instid0(VALU_DEP_1) | instskip(SKIP_1) | instid1(VALU_DEP_1)
	v_mul_f32_e32 v4, s22, v4
	s_wait_loadcnt 0x0
	v_dual_cndmask_b32 v92, 0, v4 :: v_dual_ashrrev_i32 v3, 31, v2
	s_delay_alu instid0(VALU_DEP_1) | instskip(NEXT) | instid1(VALU_DEP_1)
	v_mul_u64_e32 v[2:3], s[16:17], v[2:3]
	v_lshl_add_u64 v[2:3], v[2:3], 1, v[66:67]
	s_clause 0x1
	global_load_b128 v[4:7], v[2:3], off
	global_load_b128 v[8:11], v[2:3], off offset:512
	scratch_load_b64 v[16:17], off, off offset:32 ; 8-byte Folded Reload
	s_wait_loadcnt 0x2
	v_and_b32_e32 v13, 0xffff0000, v4
	s_wait_loadcnt 0x1
	v_and_b32_e32 v15, 0xffff0000, v8
	v_lshlrev_b32_e32 v14, 16, v8
	v_dual_lshlrev_b32 v12, 16, v4 :: v_dual_lshlrev_b32 v4, 16, v9
	s_wait_loadcnt 0x0
	s_delay_alu instid0(VALU_DEP_2)
	v_pk_mul_f32 v[14:15], v[16:17], v[14:15]
	scratch_load_b64 v[16:17], off, off     ; 8-byte Folded Reload
	s_wait_loadcnt 0x0
	v_pk_fma_f32 v[70:71], v[16:17], v[12:13], v[14:15]
	v_and_b32_e32 v13, 0xffff0000, v5
	v_lshlrev_b32_e32 v12, 16, v5
	v_and_b32_e32 v5, 0xffff0000, v9
	scratch_load_b64 v[8:9], off, off offset:40 ; 8-byte Folded Reload
	s_wait_loadcnt 0x0
	v_pk_mul_f32 v[4:5], v[8:9], v[4:5]
	scratch_load_b64 v[8:9], off, off offset:8 ; 8-byte Folded Reload
	s_wait_loadcnt 0x0
	v_pk_fma_f32 v[84:85], v[8:9], v[12:13], v[4:5]
	scratch_load_b64 v[12:13], off, off offset:48 ; 8-byte Folded Reload
	v_and_b32_e32 v9, 0xffff0000, v10
	v_lshlrev_b32_e32 v8, 16, v10
	v_and_b32_e32 v5, 0xffff0000, v6
	v_dual_lshlrev_b32 v4, 16, v6 :: v_dual_lshlrev_b32 v6, 16, v11
	s_wait_loadcnt 0x0
	s_delay_alu instid0(VALU_DEP_3)
	v_pk_mul_f32 v[8:9], v[12:13], v[8:9]
	scratch_load_b64 v[12:13], off, off offset:16 ; 8-byte Folded Reload
	s_wait_loadcnt 0x0
	v_pk_fma_f32 v[78:79], v[12:13], v[4:5], v[8:9]
	scratch_load_b64 v[8:9], off, off offset:56 ; 8-byte Folded Reload
	v_and_b32_e32 v5, 0xffff0000, v7
	v_lshlrev_b32_e32 v4, 16, v7
	v_and_b32_e32 v7, 0xffff0000, v11
	s_wait_loadcnt 0x0
	s_delay_alu instid0(VALU_DEP_1)
	v_pk_mul_f32 v[6:7], v[8:9], v[6:7]
	scratch_load_b64 v[8:9], off, off offset:24 ; 8-byte Folded Reload
	s_wait_loadcnt 0x0
	v_pk_fma_f32 v[72:73], v[8:9], v[4:5], v[6:7]
	global_load_b128 v[4:7], v[2:3], off offset:1024
	s_wait_loadcnt 0x0
	v_and_b32_e32 v95, 0xffff0000, v4
	v_lshlrev_b32_e32 v94, 16, v4
	v_and_b32_e32 v87, 0xffff0000, v5
	v_lshlrev_b32_e32 v86, 16, v5
	v_and_b32_e32 v81, 0xffff0000, v6
	v_dual_lshlrev_b32 v80, 16, v6 :: v_dual_lshlrev_b32 v74, 16, v7
	v_and_b32_e32 v75, 0xffff0000, v7
	global_load_b128 v[4:7], v[2:3], off offset:1536
	s_wait_loadcnt 0x0
	v_and_b32_e32 v97, 0xffff0000, v4
	v_dual_lshlrev_b32 v96, 16, v4 :: v_dual_lshlrev_b32 v98, 16, v5
	v_and_b32_e32 v99, 0xffff0000, v5
	v_and_b32_e32 v83, 0xffff0000, v6
	v_dual_lshlrev_b32 v82, 16, v6 :: v_dual_lshlrev_b32 v76, 16, v7
	v_and_b32_e32 v77, 0xffff0000, v7
	s_clause 0x9
	global_load_b128 v[38:41], v[2:3], off offset:2048
	global_load_b128 v[34:37], v[2:3], off offset:2560
	;; [unrolled: 1-line block ×10, first 2 shown]
	scratch_load_b64 v[100:101], off, off offset:64 ; 8-byte Folded Reload
	s_wait_loadcnt 0x0
	v_pk_fma_f32 v[70:71], v[100:101], v[94:95], v[70:71]
	scratch_load_b64 v[94:95], off, off offset:96 ; 8-byte Folded Reload
	s_wait_loadcnt 0x0
	v_pk_fma_f32 v[70:71], v[94:95], v[96:97], v[70:71]
	scratch_load_b64 v[96:97], off, off offset:128 ; 8-byte Folded Reload
	v_and_b32_e32 v95, 0xffff0000, v38
	v_lshlrev_b32_e32 v94, 16, v38
	s_wait_loadcnt 0x0
	s_delay_alu instid0(VALU_DEP_1) | instskip(SKIP_4) | instid1(VALU_DEP_1)
	v_pk_fma_f32 v[70:71], v[96:97], v[94:95], v[70:71]
	scratch_load_b64 v[96:97], off, off offset:136 ; 8-byte Folded Reload
	v_and_b32_e32 v95, 0xffff0000, v34
	v_lshlrev_b32_e32 v94, 16, v34
	s_wait_loadcnt 0x0
	v_pk_fma_f32 v[70:71], v[96:97], v[94:95], v[70:71]
	scratch_load_b64 v[96:97], off, off offset:192 ; 8-byte Folded Reload
	v_and_b32_e32 v95, 0xffff0000, v30
	v_lshlrev_b32_e32 v94, 16, v30
	s_wait_loadcnt 0x0
	s_delay_alu instid0(VALU_DEP_1) | instskip(SKIP_4) | instid1(VALU_DEP_1)
	v_pk_fma_f32 v[70:71], v[96:97], v[94:95], v[70:71]
	scratch_load_b64 v[96:97], off, off offset:224 ; 8-byte Folded Reload
	v_and_b32_e32 v95, 0xffff0000, v26
	v_lshlrev_b32_e32 v94, 16, v26
	s_wait_loadcnt 0x0
	v_pk_fma_f32 v[70:71], v[96:97], v[94:95], v[70:71]
	v_and_b32_e32 v95, 0xffff0000, v22
	v_lshlrev_b32_e32 v94, 16, v22
	s_delay_alu instid0(VALU_DEP_1) | instskip(SKIP_2) | instid1(VALU_DEP_1)
	v_pk_fma_f32 v[70:71], v[106:107], v[94:95], v[70:71]
	v_and_b32_e32 v95, 0xffff0000, v18
	v_lshlrev_b32_e32 v94, 16, v18
	v_pk_fma_f32 v[70:71], v[114:115], v[94:95], v[70:71]
	v_and_b32_e32 v95, 0xffff0000, v14
	v_lshlrev_b32_e32 v94, 16, v14
	s_delay_alu instid0(VALU_DEP_1) | instskip(SKIP_2) | instid1(VALU_DEP_1)
	v_pk_fma_f32 v[70:71], v[122:123], v[94:95], v[70:71]
	v_and_b32_e32 v95, 0xffff0000, v10
	v_lshlrev_b32_e32 v94, 16, v10
	;; [unrolled: 7-line block ×3, first 2 shown]
	v_pk_fma_f32 v[70:71], v[58:59], v[94:95], v[70:71]
	scratch_load_b64 v[94:95], off, off offset:72 ; 8-byte Folded Reload
	s_wait_loadcnt 0x0
	v_pk_fma_f32 v[84:85], v[94:95], v[86:87], v[84:85]
	scratch_load_b64 v[86:87], off, off offset:104 ; 8-byte Folded Reload
	s_wait_loadcnt 0x0
	v_pk_fma_f32 v[84:85], v[86:87], v[98:99], v[84:85]
	v_and_b32_e32 v87, 0xffff0000, v39
	v_lshlrev_b32_e32 v86, 16, v39
	scratch_load_b64 v[38:39], off, off offset:144 ; 8-byte Folded Reload
	s_wait_loadcnt 0x0
	v_pk_fma_f32 v[38:39], v[38:39], v[86:87], v[84:85]
	v_and_b32_e32 v85, 0xffff0000, v35
	v_lshlrev_b32_e32 v84, 16, v35
	;; [unrolled: 5-line block ×5, first 2 shown]
	s_delay_alu instid0(VALU_DEP_1) | instskip(SKIP_2) | instid1(VALU_DEP_1)
	v_pk_fma_f32 v[22:23], v[108:109], v[30:31], v[26:27]
	v_and_b32_e32 v27, 0xffff0000, v19
	v_lshlrev_b32_e32 v26, 16, v19
	v_pk_fma_f32 v[18:19], v[116:117], v[26:27], v[22:23]
	v_and_b32_e32 v23, 0xffff0000, v15
	v_lshlrev_b32_e32 v22, 16, v15
	s_delay_alu instid0(VALU_DEP_1) | instskip(SKIP_2) | instid1(VALU_DEP_1)
	v_pk_fma_f32 v[14:15], v[124:125], v[22:23], v[18:19]
	v_and_b32_e32 v19, 0xffff0000, v11
	v_lshlrev_b32_e32 v18, 16, v11
	v_pk_fma_f32 v[10:11], v[44:45], v[18:19], v[14:15]
	v_and_b32_e32 v15, 0xffff0000, v7
	v_lshlrev_b32_e32 v14, 16, v7
	scratch_load_b64 v[18:19], off, off offset:176 ; 8-byte Folded Reload
	v_pk_fma_f32 v[6:7], v[52:53], v[14:15], v[10:11]
	v_and_b32_e32 v11, 0xffff0000, v3
	v_lshlrev_b32_e32 v10, 16, v3
	scratch_load_b64 v[14:15], off, off offset:160 ; 8-byte Folded Reload
	s_wait_xcnt 0xe
	v_pk_fma_f32 v[2:3], v[60:61], v[10:11], v[6:7]
	s_clause 0x1
	scratch_load_b64 v[6:7], off, off offset:80
	scratch_load_b64 v[10:11], off, off offset:112
	s_wait_loadcnt 0x1
	v_pk_fma_f32 v[6:7], v[6:7], v[80:81], v[78:79]
	s_wait_loadcnt 0x0
	s_delay_alu instid0(VALU_DEP_1) | instskip(SKIP_2) | instid1(VALU_DEP_1)
	v_pk_fma_f32 v[6:7], v[10:11], v[82:83], v[6:7]
	v_and_b32_e32 v11, 0xffff0000, v40
	v_lshlrev_b32_e32 v10, 16, v40
	v_pk_fma_f32 v[6:7], v[14:15], v[10:11], v[6:7]
	scratch_load_b64 v[14:15], off, off offset:168 ; 8-byte Folded Reload
	v_and_b32_e32 v11, 0xffff0000, v36
	v_lshlrev_b32_e32 v10, 16, v36
	s_wait_loadcnt 0x0
	s_delay_alu instid0(VALU_DEP_1) | instskip(SKIP_4) | instid1(VALU_DEP_1)
	v_pk_fma_f32 v[6:7], v[14:15], v[10:11], v[6:7]
	scratch_load_b64 v[14:15], off, off offset:208 ; 8-byte Folded Reload
	v_and_b32_e32 v11, 0xffff0000, v32
	v_lshlrev_b32_e32 v10, 16, v32
	s_wait_loadcnt 0x0
	v_pk_fma_f32 v[6:7], v[14:15], v[10:11], v[6:7]
	v_and_b32_e32 v11, 0xffff0000, v28
	v_lshlrev_b32_e32 v10, 16, v28
	scratch_load_b64 v[14:15], off, off offset:120 ; 8-byte Folded Reload
	v_pk_fma_f32 v[6:7], v[102:103], v[10:11], v[6:7]
	v_and_b32_e32 v11, 0xffff0000, v24
	v_lshlrev_b32_e32 v10, 16, v24
	s_delay_alu instid0(VALU_DEP_1) | instskip(SKIP_2) | instid1(VALU_DEP_1)
	v_pk_fma_f32 v[6:7], v[110:111], v[10:11], v[6:7]
	v_and_b32_e32 v11, 0xffff0000, v20
	v_lshlrev_b32_e32 v10, 16, v20
	v_pk_fma_f32 v[6:7], v[118:119], v[10:11], v[6:7]
	v_and_b32_e32 v11, 0xffff0000, v16
	v_lshlrev_b32_e32 v10, 16, v16
	s_delay_alu instid0(VALU_DEP_1) | instskip(SKIP_2) | instid1(VALU_DEP_1)
	v_pk_fma_f32 v[6:7], v[126:127], v[10:11], v[6:7]
	v_and_b32_e32 v11, 0xffff0000, v12
	v_dual_lshlrev_b32 v10, 16, v12 :: v_dual_lshlrev_b32 v12, 16, v9
	v_pk_fma_f32 v[6:7], v[46:47], v[10:11], v[6:7]
	v_and_b32_e32 v11, 0xffff0000, v8
	v_lshlrev_b32_e32 v10, 16, v8
	s_delay_alu instid0(VALU_DEP_1) | instskip(SKIP_2) | instid1(VALU_DEP_1)
	v_pk_fma_f32 v[6:7], v[54:55], v[10:11], v[6:7]
	v_and_b32_e32 v11, 0xffff0000, v4
	v_lshlrev_b32_e32 v10, 16, v4
	v_pk_fma_f32 v[6:7], v[62:63], v[10:11], v[6:7]
	scratch_load_b64 v[10:11], off, off offset:88 ; 8-byte Folded Reload
	s_wait_loadcnt 0x0
	v_pk_fma_f32 v[10:11], v[10:11], v[74:75], v[72:73]
	s_delay_alu instid0(VALU_DEP_1) | instskip(SKIP_2) | instid1(VALU_DEP_1)
	v_pk_fma_f32 v[10:11], v[14:15], v[76:77], v[10:11]
	v_and_b32_e32 v15, 0xffff0000, v41
	v_lshlrev_b32_e32 v14, 16, v41
	v_pk_fma_f32 v[10:11], v[18:19], v[14:15], v[10:11]
	scratch_load_b64 v[18:19], off, off offset:184 ; 8-byte Folded Reload
	v_and_b32_e32 v15, 0xffff0000, v37
	v_lshlrev_b32_e32 v14, 16, v37
	s_wait_loadcnt 0x0
	s_delay_alu instid0(VALU_DEP_1) | instskip(SKIP_4) | instid1(VALU_DEP_1)
	v_pk_fma_f32 v[10:11], v[18:19], v[14:15], v[10:11]
	scratch_load_b64 v[18:19], off, off offset:216 ; 8-byte Folded Reload
	v_and_b32_e32 v15, 0xffff0000, v33
	v_lshlrev_b32_e32 v14, 16, v33
	s_wait_loadcnt 0x0
	v_pk_fma_f32 v[10:11], v[18:19], v[14:15], v[10:11]
	v_and_b32_e32 v15, 0xffff0000, v29
	v_lshlrev_b32_e32 v14, 16, v29
	s_delay_alu instid0(VALU_DEP_1) | instskip(SKIP_2) | instid1(VALU_DEP_1)
	v_pk_fma_f32 v[10:11], v[104:105], v[14:15], v[10:11]
	v_and_b32_e32 v15, 0xffff0000, v25
	v_lshlrev_b32_e32 v14, 16, v25
	v_pk_fma_f32 v[10:11], v[112:113], v[14:15], v[10:11]
	v_and_b32_e32 v15, 0xffff0000, v21
	v_lshlrev_b32_e32 v14, 16, v21
	s_delay_alu instid0(VALU_DEP_1) | instskip(SKIP_2) | instid1(VALU_DEP_1)
	v_pk_fma_f32 v[10:11], v[120:121], v[14:15], v[10:11]
	v_and_b32_e32 v15, 0xffff0000, v17
	v_lshlrev_b32_e32 v14, 16, v17
	v_pk_fma_f32 v[10:11], v[42:43], v[14:15], v[10:11]
	v_and_b32_e32 v15, 0xffff0000, v13
	v_lshlrev_b32_e32 v14, 16, v13
	v_and_b32_e32 v13, 0xffff0000, v9
	s_delay_alu instid0(VALU_DEP_2) | instskip(NEXT) | instid1(VALU_DEP_1)
	v_pk_fma_f32 v[10:11], v[48:49], v[14:15], v[10:11]
	v_pk_fma_f32 v[8:9], v[56:57], v[12:13], v[10:11]
	v_and_b32_e32 v11, 0xffff0000, v5
	v_lshlrev_b32_e32 v10, 16, v5
	s_delay_alu instid0(VALU_DEP_1) | instskip(SKIP_1) | instid1(VALU_DEP_1)
	v_pk_fma_f32 v[4:5], v[64:65], v[10:11], v[8:9]
	v_add_f32_e32 v8, v70, v71
	v_add_f32_e32 v2, v8, v2
	s_delay_alu instid0(VALU_DEP_1) | instskip(NEXT) | instid1(VALU_DEP_1)
	v_dual_add_f32 v2, v3, v2 :: v_dual_max_num_f32 v3, v88, v88
	v_add_f32_e32 v2, v6, v2
	s_delay_alu instid0(VALU_DEP_1) | instskip(NEXT) | instid1(VALU_DEP_1)
	v_add_f32_e32 v2, v7, v2
	v_add_f32_e32 v2, v4, v2
	s_delay_alu instid0(VALU_DEP_1) | instskip(NEXT) | instid1(VALU_DEP_1)
	v_add_f32_e32 v2, v5, v2
	v_fmac_f32_e32 v92, s7, v2
	s_delay_alu instid0(VALU_DEP_1) | instskip(NEXT) | instid1(VALU_DEP_1)
	v_dual_max_num_f32 v3, v3, v92 :: v_dual_cndmask_b32 v2, 0, v92, s3
	v_cndmask_b32_e64 v88, v88, v3, s3
	v_cmp_le_i32_e64 s3, s9, v91
	ds_store_b32 v89, v2
	v_add_nc_u32_e32 v89, 0x200, v89
	s_or_b32 s15, s3, s15
	s_wait_xcnt 0x0
	s_and_not1_b32 exec_lo, exec_lo, s15
	s_cbranch_execnz .LBB157_6
; %bb.7:
	s_or_b32 exec_lo, exec_lo, s15
	s_clause 0x4
	scratch_load_b32 v99, off, off offset:240
	scratch_load_b32 v32, off, off offset:244
	;; [unrolled: 1-line block ×5, first 2 shown]
	v_mov_b32_e32 v100, v93
.LBB157_8:
	s_wait_xcnt 0x0
	s_or_b32 exec_lo, exec_lo, s6
	v_mbcnt_lo_u32_b32 v3, -1, 0
	s_clause 0x1
	s_load_b64 s[6:7], s[0:1], 0x0
	s_load_b64 s[16:17], s[0:1], 0x18
	s_delay_alu instid0(VALU_DEP_1) | instskip(SKIP_1) | instid1(VALU_DEP_2)
	v_dual_max_num_f32 v4, v88, v88 :: v_dual_bitop2_b32 v0, 16, v3 bitop3:0x14
	v_xor_b32_e32 v2, 8, v3
	v_cmp_gt_i32_e32 vcc_lo, 32, v0
	v_cndmask_b32_e32 v0, v3, v0, vcc_lo
	s_delay_alu instid0(VALU_DEP_3) | instskip(NEXT) | instid1(VALU_DEP_2)
	v_cmp_gt_i32_e32 vcc_lo, 32, v2
	v_dual_lshlrev_b32 v0, 2, v0 :: v_dual_cndmask_b32 v2, v3, v2, vcc_lo
	ds_bpermute_b32 v1, v0, v88
	s_wait_dscnt 0x0
	v_dual_max_num_f32 v5, v1, v1 :: v_dual_lshlrev_b32 v1, 2, v2
	s_delay_alu instid0(VALU_DEP_1) | instskip(SKIP_4) | instid1(VALU_DEP_1)
	v_dual_max_num_f32 v4, v4, v5 :: v_dual_bitop2_b32 v5, 4, v3 bitop3:0x14
	ds_bpermute_b32 v2, v1, v4
	v_cmp_gt_i32_e32 vcc_lo, 32, v5
	s_wait_dscnt 0x0
	v_dual_cndmask_b32 v5, v3, v5 :: v_dual_max_num_f32 v6, v2, v2
	v_dual_lshlrev_b32 v2, 2, v5 :: v_dual_max_num_f32 v4, v4, v6
	ds_bpermute_b32 v5, v2, v4
	s_wait_dscnt 0x0
	v_dual_max_num_f32 v5, v5, v5 :: v_dual_bitop2_b32 v6, 2, v3 bitop3:0x14
	s_delay_alu instid0(VALU_DEP_1) | instskip(NEXT) | instid1(VALU_DEP_2)
	v_cmp_gt_i32_e32 vcc_lo, 32, v6
	v_dual_max_num_f32 v4, v4, v5 :: v_dual_cndmask_b32 v6, v3, v6, vcc_lo
	s_delay_alu instid0(VALU_DEP_1)
	v_dual_lshlrev_b32 v85, 2, v6 :: v_dual_bitop2_b32 v6, 1, v3 bitop3:0x14
	ds_bpermute_b32 v5, v85, v4
	v_cmp_gt_i32_e32 vcc_lo, 32, v6
	v_cndmask_b32_e32 v3, v3, v6, vcc_lo
	s_wait_loadcnt 0x3
	v_cmp_eq_u32_e32 vcc_lo, 0, v32
	s_delay_alu instid0(VALU_DEP_2) | instskip(SKIP_2) | instid1(VALU_DEP_1)
	v_dual_lshlrev_b32 v84, 2, v3 :: v_dual_lshlrev_b32 v3, 2, v100
	s_wait_dscnt 0x0
	v_max_num_f32_e32 v5, v5, v5
	v_max_num_f32_e32 v4, v4, v5
	ds_bpermute_b32 v5, v84, v4
	s_wait_xcnt 0x0
	s_and_saveexec_b32 s0, vcc_lo
	s_cbranch_execz .LBB157_10
; %bb.9:
	s_wait_dscnt 0x0
	v_dual_max_num_f32 v5, v5, v5 :: v_dual_max_num_f32 v4, v4, v4
	s_delay_alu instid0(VALU_DEP_1)
	v_max_num_f32_e32 v4, v4, v5
	ds_store_b32 v3, v4 offset:224
.LBB157_10:
	s_or_b32 exec_lo, exec_lo, s0
	v_cmp_gt_u32_e64 s0, 4, v32
	v_mov_b32_e32 v4, 0xff7fffff
	s_wait_storecnt 0x0
	s_wait_loadcnt_dscnt 0x0
	s_barrier_signal -1
	s_barrier_wait -1
	s_and_saveexec_b32 s1, s0
; %bb.11:
	ds_load_b32 v4, v29 offset:224
; %bb.12:
	s_or_b32 exec_lo, exec_lo, s1
	s_wait_dscnt 0x0
	ds_bpermute_b32 v5, v85, v4
	v_max_num_f32_e32 v4, v4, v4
	s_lshl_b32 s1, s9, 5
	s_delay_alu instid0(SALU_CYCLE_1) | instskip(NEXT) | instid1(SALU_CYCLE_1)
	s_min_i32 s15, s1, s21
	v_cmp_gt_i32_e64 s1, s15, v99
	s_wait_dscnt 0x0
	v_max_num_f32_e32 v5, v5, v5
	s_delay_alu instid0(VALU_DEP_1) | instskip(SKIP_3) | instid1(VALU_DEP_1)
	v_max_num_f32_e32 v4, v4, v5
	ds_bpermute_b32 v5, v84, v4
	s_wait_dscnt 0x0
	v_max_num_f32_e32 v5, v5, v5
	v_dual_max_num_f32 v5, v4, v5 :: v_dual_mov_b32 v4, 0
	ds_bpermute_b32 v5, v4, v5
	s_and_saveexec_b32 s22, s1
	s_cbranch_execz .LBB157_16
; %bb.13:
	v_lshl_add_u32 v6, v99, 2, 0x100
	v_dual_mov_b32 v4, 0 :: v_dual_mov_b32 v7, v99
	s_mov_b32 s23, 0
.LBB157_14:                             ; =>This Inner Loop Header: Depth=1
	ds_load_b32 v8, v6
	v_add_nc_u32_e32 v7, 0x80, v7
	s_delay_alu instid0(VALU_DEP_1) | instskip(SKIP_3) | instid1(VALU_DEP_1)
	v_cmp_le_i32_e64 s3, s15, v7
	s_or_b32 s23, s3, s23
	s_wait_dscnt 0x0
	v_sub_f32_e32 v8, v8, v5
	v_mul_f32_e32 v8, 0x3fb8aa3b, v8
	s_delay_alu instid0(VALU_DEP_1)
	v_exp_f32_e32 v8, v8
	ds_store_b32 v6, v8
	v_nop
	v_add_f32_e32 v4, v4, v8
	v_add_nc_u32_e32 v6, 0x200, v6
	s_and_not1_b32 exec_lo, exec_lo, s23
	s_cbranch_execnz .LBB157_14
; %bb.15:
	s_or_b32 exec_lo, exec_lo, s23
.LBB157_16:
	s_delay_alu instid0(SALU_CYCLE_1)
	s_or_b32 exec_lo, exec_lo, s22
	ds_bpermute_b32 v0, v0, v4
	s_wait_dscnt 0x0
	v_add_f32_e32 v0, v4, v0
	ds_bpermute_b32 v1, v1, v0
	s_wait_dscnt 0x0
	v_add_f32_e32 v0, v0, v1
	;; [unrolled: 3-line block ×5, first 2 shown]
	s_and_saveexec_b32 s3, vcc_lo
; %bb.17:
	ds_store_b32 v3, v0 offset:240
; %bb.18:
	s_or_b32 exec_lo, exec_lo, s3
	s_wait_dscnt 0x0
	s_barrier_signal -1
	s_barrier_wait -1
	s_and_saveexec_b32 s3, s0
; %bb.19:
	ds_load_b32 v0, v29 offset:240
; %bb.20:
	s_or_b32 exec_lo, exec_lo, s3
	s_wait_dscnt 0x0
	ds_bpermute_b32 v1, v85, v0
	s_wait_dscnt 0x0
	v_dual_mov_b32 v67, 0 :: v_dual_add_f32 v0, v0, v1
	ds_bpermute_b32 v1, v84, v0
	s_wait_dscnt 0x0
	v_add_f32_e32 v0, v0, v1
	ds_bpermute_b32 v0, v67, v0
	s_and_saveexec_b32 s0, s1
	s_cbranch_execz .LBB157_33
; %bb.21:
	s_wait_dscnt 0x0
	v_add_f32_e32 v0, 0x358637bd, v0
	s_mov_b32 s3, -1
	s_mov_b32 s1, exec_lo
	s_delay_alu instid0(VALU_DEP_1) | instskip(NEXT) | instid1(VALU_DEP_1)
	v_div_scale_f32 v1, null, v0, v0, 1.0
	v_rcp_f32_e32 v3, v1
	v_nop
	s_delay_alu instid0(TRANS32_DEP_1) | instskip(NEXT) | instid1(VALU_DEP_1)
	v_fma_f32 v2, -v1, v3, 1.0
	v_fmac_f32_e32 v3, v2, v3
	v_div_scale_f32 v4, vcc_lo, 1.0, v0, 1.0
	s_delay_alu instid0(VALU_DEP_1) | instskip(NEXT) | instid1(VALU_DEP_1)
	v_mul_f32_e32 v5, v4, v3
	v_fma_f32 v2, -v1, v5, v4
	s_delay_alu instid0(VALU_DEP_1) | instskip(SKIP_1) | instid1(VALU_DEP_2)
	v_fmac_f32_e32 v5, v2, v3
	v_xad_u32 v2, v99, -1, s15
	v_fma_f32 v1, -v1, v5, v4
	s_delay_alu instid0(VALU_DEP_1) | instskip(NEXT) | instid1(VALU_DEP_1)
	v_div_fmas_f32 v1, v1, v3, v5
	v_div_fixup_f32 v0, v1, v0, 1.0
	v_mov_b32_e32 v1, v99
	v_cmpx_lt_u32_e32 0x7f, v2
	s_cbranch_execz .LBB157_30
; %bb.22:
	s_delay_alu instid0(VALU_DEP_3) | instskip(NEXT) | instid1(VALU_DEP_1)
	v_dual_mov_b32 v1, v0 :: v_dual_lshrrev_b32 v2, 7, v2
	v_dual_mov_b32 v6, 0 :: v_dual_add_nc_u32 v3, -1, v2
	s_delay_alu instid0(VALU_DEP_1) | instskip(SKIP_1) | instid1(VALU_DEP_2)
	v_lshrrev_b32_e32 v4, 1, v3
	v_cmp_lt_u32_e32 vcc_lo, 13, v3
	v_add_nc_u32_e32 v3, 1, v4
	s_and_saveexec_b32 s3, vcc_lo
	s_cbranch_execz .LBB157_26
; %bb.23:
	s_delay_alu instid0(VALU_DEP_1)
	v_and_b32_e32 v4, -8, v3
	v_lshl_add_u32 v5, v99, 2, 0x100
	s_mov_b32 s22, 0
	s_mov_b32 s23, 0
.LBB157_24:                             ; =>This Inner Loop Header: Depth=1
	ds_load_2addr_stride64_b32 v[6:7], v5 offset1:2
	ds_load_2addr_stride64_b32 v[8:9], v5 offset0:4 offset1:6
	ds_load_2addr_stride64_b32 v[10:11], v5 offset0:8 offset1:10
	;; [unrolled: 1-line block ×7, first 2 shown]
	s_add_co_i32 s23, s23, 16
	v_add_nc_u32_e32 v4, -8, v4
	s_wait_dscnt 0x7
	v_pk_mul_f32 v[6:7], v[0:1], v[6:7]
	s_wait_dscnt 0x6
	v_pk_mul_f32 v[8:9], v[0:1], v[8:9]
	;; [unrolled: 2-line block ×8, first 2 shown]
	ds_store_2addr_stride64_b32 v5, v6, v7 offset1:2
	ds_store_2addr_stride64_b32 v5, v8, v9 offset0:4 offset1:6
	ds_store_2addr_stride64_b32 v5, v10, v11 offset0:8 offset1:10
	;; [unrolled: 1-line block ×7, first 2 shown]
	v_mov_b32_e32 v6, s23
	v_cmp_eq_u32_e32 vcc_lo, 0, v4
	v_add_nc_u32_e32 v5, 0x2000, v5
	s_or_b32 s22, vcc_lo, s22
	s_delay_alu instid0(SALU_CYCLE_1)
	s_and_not1_b32 exec_lo, exec_lo, s22
	s_cbranch_execnz .LBB157_24
; %bb.25:
	s_or_b32 exec_lo, exec_lo, s22
.LBB157_26:
	s_delay_alu instid0(SALU_CYCLE_1) | instskip(NEXT) | instid1(VALU_DEP_1)
	s_or_b32 exec_lo, exec_lo, s3
	v_and_b32_e32 v3, 7, v3
	s_mov_b32 s22, 0
	s_mov_b32 s3, exec_lo
	s_delay_alu instid0(VALU_DEP_1)
	v_cmpx_ne_u32_e32 0, v3
	s_cbranch_execz .LBB157_29
; %bb.27:
	v_dual_lshlrev_b32 v4, 9, v6 :: v_dual_lshlrev_b32 v5, 2, v99
	s_delay_alu instid0(VALU_DEP_1)
	v_add3_u32 v4, v4, v5, 0x100
.LBB157_28:                             ; =>This Inner Loop Header: Depth=1
	ds_load_2addr_stride64_b32 v[6:7], v4 offset1:2
	v_add_nc_u32_e32 v3, -1, v3
	s_delay_alu instid0(VALU_DEP_1)
	v_cmp_eq_u32_e32 vcc_lo, 0, v3
	s_or_b32 s22, vcc_lo, s22
	s_wait_dscnt 0x0
	v_pk_mul_f32 v[6:7], v[0:1], v[6:7]
	ds_store_2addr_stride64_b32 v4, v6, v7 offset1:2
	v_add_nc_u32_e32 v4, 0x400, v4
	s_and_not1_b32 exec_lo, exec_lo, s22
	s_cbranch_execnz .LBB157_28
.LBB157_29:
	s_or_b32 exec_lo, exec_lo, s3
	v_add_nc_u32_e32 v1, 1, v2
	s_delay_alu instid0(VALU_DEP_1) | instskip(NEXT) | instid1(VALU_DEP_1)
	v_and_b32_e32 v2, 0x3fffffe, v1
	v_cmp_ne_u32_e32 vcc_lo, v1, v2
	v_lshl_add_u32 v1, v2, 7, v99
	s_or_not1_b32 s3, vcc_lo, exec_lo
.LBB157_30:
	s_or_b32 exec_lo, exec_lo, s1
	s_delay_alu instid0(SALU_CYCLE_1)
	s_and_b32 exec_lo, exec_lo, s3
	s_cbranch_execz .LBB157_33
; %bb.31:
	v_lshl_add_u32 v2, v1, 2, 0x100
	s_mov_b32 s1, 0
.LBB157_32:                             ; =>This Inner Loop Header: Depth=1
	ds_load_b32 v3, v2
	v_add_nc_u32_e32 v1, 0x80, v1
	s_delay_alu instid0(VALU_DEP_1)
	v_cmp_le_i32_e32 vcc_lo, s15, v1
	s_or_b32 s1, vcc_lo, s1
	s_wait_dscnt 0x0
	v_mul_f32_e32 v3, v0, v3
	ds_store_b32 v2, v3
	v_add_nc_u32_e32 v2, 0x200, v2
	s_and_not1_b32 exec_lo, exec_lo, s1
	s_cbranch_execnz .LBB157_32
.LBB157_33:
	s_or_b32 exec_lo, exec_lo, s0
	v_dual_mov_b32 v66, 0 :: v_dual_bitop2_b32 v86, 3, v99 bitop3:0x40
	v_dual_mov_b32 v69, 0 :: v_dual_mov_b32 v68, 0
	v_dual_mov_b32 v71, 0 :: v_dual_mov_b32 v70, 0
	;; [unrolled: 1-line block ×6, first 2 shown]
	s_wait_dscnt 0x0
	s_barrier_signal -1
	s_barrier_wait -1
	s_and_saveexec_b32 s1, s2
	s_cbranch_execz .LBB157_65
; %bb.34:
	s_ashr_i32 s15, s14, 31
	v_dual_mov_b32 v101, v32 :: v_dual_lshlrev_b32 v0, 3, v99
	v_and_b32_e32 v66, 0x1f0, v22
	v_mov_b32_e32 v67, 0
	s_lshl_b64 s[14:15], s[14:15], 1
	s_lshl_b64 s[12:13], s[12:13], 2
	s_wait_kmcnt 0x0
	s_add_nc_u64 s[14:15], s[16:17], s[14:15]
	v_dual_lshlrev_b32 v1, 5, v86 :: v_dual_bitop2_b32 v0, 24, v0 bitop3:0x40
	v_add_nc_u64_e32 v[80:81], s[14:15], v[66:67]
	v_and_b32_e32 v66, 0x7c, v28
	s_add_nc_u64 s[10:11], s[10:11], s[12:13]
	s_delay_alu instid0(VALU_DEP_3) | instskip(SKIP_1) | instid1(VALU_DEP_3)
	v_lshl_or_b32 v87, v100, 5, v0
	v_dual_mov_b32 v68, v67 :: v_dual_mov_b32 v71, v67
	v_add_nc_u64_e32 v[82:83], s[10:11], v[66:67]
	v_mov_b32_e32 v66, v67
	v_lshl_or_b32 v1, v100, 7, v1
	v_dual_mov_b32 v69, v67 :: v_dual_mov_b32 v70, v67
	v_dual_mov_b32 v73, v67 :: v_dual_mov_b32 v72, v67
	s_delay_alu instid0(VALU_DEP_3)
	v_dual_mov_b32 v75, v67 :: v_dual_add_nc_u32 v88, 0x100, v1
	v_dual_mov_b32 v74, v67 :: v_dual_mov_b32 v77, v67
	v_dual_mov_b32 v76, v67 :: v_dual_mov_b32 v79, v67
	;; [unrolled: 1-line block ×3, first 2 shown]
	s_ashr_i32 s3, s5, 31
	s_mov_b32 s2, s5
	s_add_co_i32 s5, s9, -1
	s_mov_b32 s11, s21
	s_mov_b32 s10, 0
	s_branch .LBB157_36
.LBB157_35:                             ;   in Loop: Header=BB157_36 Depth=1
	s_or_b32 exec_lo, exec_lo, s0
	s_wait_dscnt 0x1
	v_cvt_pk_bf16_f32 v22, v22, v23
	v_cvt_pk_bf16_f32 v0, v24, v25
	s_wait_dscnt 0x0
	v_cvt_pk_bf16_f32 v1, v18, v19
	v_cvt_pk_bf16_f32 v18, v20, v21
	v_add_nc_u64_e32 v[82:83], 16, v[82:83]
	s_wait_loadcnt 0x1
	v_pk_mul_bf16 v19, v22, v62
	v_pk_mul_bf16 v23, v0, v63
	;; [unrolled: 1-line block ×5, first 2 shown]
	v_lshlrev_b32_e32 v21, 16, v19
	v_and_b32_e32 v19, 0xffff0000, v19
	v_lshlrev_b32_e32 v62, 16, v20
	v_and_b32_e32 v20, 0xffff0000, v20
	;; [unrolled: 2-line block ×3, first 2 shown]
	v_add_f32_e32 v19, v21, v19
	v_pk_mul_bf16 v52, v1, v52
	v_add_f32_e32 v20, v62, v20
	v_pk_mul_bf16 v40, v1, v40
	v_add_f32_e32 v21, v24, v23
	v_pk_mul_bf16 v23, v22, v58
	v_lshlrev_b32_e32 v24, 16, v25
	v_and_b32_e32 v25, 0xffff0000, v25
	v_pk_mul_bf16 v26, v22, v26
	v_pk_mul_bf16 v14, v22, v14
	v_lshlrev_b32_e32 v58, 16, v23
	s_delay_alu instid0(VALU_DEP_4) | instskip(SKIP_3) | instid1(VALU_DEP_4)
	v_dual_add_f32 v19, v21, v19 :: v_dual_add_f32 v24, v24, v25
	v_pk_mul_bf16 v21, v0, v59
	v_and_b32_e32 v23, 0xffff0000, v23
	v_pk_mul_bf16 v25, v1, v60
	v_add_f32_e32 v19, v20, v19
	v_pk_mul_bf16 v15, v0, v15
	v_lshlrev_b32_e32 v20, 16, v21
	v_and_b32_e32 v21, 0xffff0000, v21
	v_add_f32_e32 v23, v58, v23
	v_add_f32_e32 v19, v24, v19
	v_and_b32_e32 v24, 0xffff0000, v25
	v_pk_mul_bf16 v16, v1, v16
	v_add_f32_e32 v20, v20, v21
	v_lshlrev_b32_e32 v21, 16, v25
	v_pk_mul_bf16 v25, v18, v61
	v_add_f32_e32 v66, v66, v19
	v_pk_mul_bf16 v10, v22, v10
	v_add_f32_e32 v19, v20, v23
	;; [unrolled: 2-line block ×3, first 2 shown]
	v_pk_mul_bf16 v23, v0, v55
	v_lshlrev_b32_e32 v24, 16, v25
	v_and_b32_e32 v25, 0xffff0000, v25
	v_lshlrev_b32_e32 v54, 16, v20
	v_and_b32_e32 v20, 0xffff0000, v20
	;; [unrolled: 2-line block ×3, first 2 shown]
	v_dual_add_f32 v19, v21, v19 :: v_dual_add_f32 v21, v24, v25
	s_delay_alu instid0(VALU_DEP_4) | instskip(NEXT) | instid1(VALU_DEP_3)
	v_add_f32_e32 v20, v54, v20
	v_dual_add_f32 v23, v55, v23 :: v_dual_lshlrev_b32 v24, 16, v56
	v_and_b32_e32 v25, 0xffff0000, v56
	s_delay_alu instid0(VALU_DEP_4) | instskip(SKIP_2) | instid1(VALU_DEP_4)
	v_add_f32_e32 v19, v21, v19
	v_pk_mul_bf16 v21, v18, v57
	v_pk_mul_bf16 v11, v0, v11
	v_dual_add_f32 v20, v23, v20 :: v_dual_add_f32 v24, v24, v25
	v_pk_mul_bf16 v23, v22, v50
	v_pk_mul_bf16 v25, v0, v51
	v_lshlrev_b32_e32 v50, 16, v21
	v_and_b32_e32 v21, 0xffff0000, v21
	s_delay_alu instid0(VALU_DEP_4)
	v_dual_add_f32 v20, v24, v20 :: v_dual_lshlrev_b32 v51, 16, v23
	v_and_b32_e32 v23, 0xffff0000, v23
	v_lshlrev_b32_e32 v54, 16, v25
	v_and_b32_e32 v25, 0xffff0000, v25
	v_add_f32_e32 v21, v50, v21
	v_and_b32_e32 v50, 0xffff0000, v52
	v_add_f32_e32 v23, v51, v23
	v_pk_mul_bf16 v51, v18, v53
	v_dual_add_f32 v24, v54, v25 :: v_dual_lshlrev_b32 v25, 16, v52
	v_add_f32_e32 v69, v69, v19
	v_add_f32_e32 v19, v21, v20
	v_pk_mul_bf16 v17, v18, v17
	s_delay_alu instid0(VALU_DEP_4)
	v_dual_add_f32 v20, v24, v23 :: v_dual_add_f32 v21, v25, v50
	v_lshlrev_b32_e32 v23, 16, v51
	v_and_b32_e32 v24, 0xffff0000, v51
	v_pk_mul_bf16 v25, v22, v42
	v_add_f32_e32 v68, v68, v19
	v_pk_mul_bf16 v19, v0, v43
	v_add_f32_e32 v20, v21, v20
	s_delay_alu instid0(VALU_DEP_4) | instskip(SKIP_1) | instid1(VALU_DEP_4)
	v_dual_add_f32 v21, v23, v24 :: v_dual_lshlrev_b32 v23, 16, v25
	v_and_b32_e32 v24, 0xffff0000, v25
	v_lshlrev_b32_e32 v25, 16, v19
	v_and_b32_e32 v19, 0xffff0000, v19
	v_pk_mul_bf16 v42, v1, v44
	v_pk_mul_bf16 v43, v18, v45
	v_add_f32_e32 v23, v23, v24
	v_pk_mul_bf16 v24, v22, v38
	v_add_f32_e32 v19, v25, v19
	v_pk_mul_bf16 v25, v0, v39
	v_lshlrev_b32_e32 v38, 16, v42
	v_and_b32_e32 v39, 0xffff0000, v42
	v_lshlrev_b32_e32 v42, 16, v24
	v_and_b32_e32 v24, 0xffff0000, v24
	v_dual_add_f32 v19, v19, v23 :: v_dual_lshlrev_b32 v44, 16, v25
	v_and_b32_e32 v25, 0xffff0000, v25
	v_add_f32_e32 v23, v38, v39
	s_delay_alu instid0(VALU_DEP_4)
	v_add_f32_e32 v24, v42, v24
	v_and_b32_e32 v39, 0xffff0000, v40
	v_and_b32_e32 v42, 0xffff0000, v43
	v_dual_add_f32 v25, v44, v25 :: v_dual_lshlrev_b32 v38, 16, v40
	v_add_f32_e32 v19, v23, v19
	v_pk_mul_bf16 v40, v18, v41
	s_delay_alu instid0(VALU_DEP_3) | instskip(NEXT) | instid1(VALU_DEP_4)
	v_dual_add_f32 v24, v25, v24 :: v_dual_lshlrev_b32 v41, 16, v43
	v_add_f32_e32 v25, v38, v39
	v_pk_mul_bf16 v12, v1, v12
	s_delay_alu instid0(VALU_DEP_4)
	v_lshlrev_b32_e32 v38, 16, v40
	v_and_b32_e32 v39, 0xffff0000, v40
	v_add_f32_e32 v20, v21, v20
	v_add_f32_e32 v21, v41, v42
	v_pk_mul_bf16 v6, v22, v6
	v_pk_mul_bf16 v7, v0, v7
	;; [unrolled: 1-line block ×4, first 2 shown]
	v_add_f32_e32 v19, v21, v19
	v_dual_add_f32 v23, v25, v24 :: v_dual_add_f32 v24, v38, v39
	v_pk_mul_bf16 v25, v22, v34
	v_pk_mul_bf16 v34, v1, v36
	s_delay_alu instid0(VALU_DEP_4) | instskip(NEXT) | instid1(VALU_DEP_4)
	v_dual_add_f32 v70, v70, v19 :: v_dual_add_f32 v71, v71, v20
	v_add_f32_e32 v21, v24, v23
	v_pk_mul_bf16 v20, v0, v35
	v_lshlrev_b32_e32 v23, 16, v25
	v_and_b32_e32 v24, 0xffff0000, v25
	v_pk_mul_bf16 v8, v1, v8
	s_delay_alu instid0(VALU_DEP_4) | instskip(SKIP_1) | instid1(VALU_DEP_4)
	v_dual_add_f32 v73, v73, v21 :: v_dual_lshlrev_b32 v25, 16, v20
	v_and_b32_e32 v20, 0xffff0000, v20
	v_dual_add_f32 v19, v23, v24 :: v_dual_lshlrev_b32 v21, 16, v34
	v_and_b32_e32 v23, 0xffff0000, v34
	v_pk_mul_bf16 v24, v22, v30
	v_pk_mul_bf16 v30, v0, v31
	v_add_f32_e32 v20, v25, v20
	v_pk_mul_bf16 v25, v18, v37
	v_pk_mul_bf16 v31, v1, v32
	;; [unrolled: 1-line block ×4, first 2 shown]
	v_add_f32_e32 v19, v20, v19
	v_dual_add_f32 v20, v21, v23 :: v_dual_lshlrev_b32 v32, 16, v25
	v_lshlrev_b32_e32 v21, 16, v24
	v_and_b32_e32 v23, 0xffff0000, v24
	v_lshlrev_b32_e32 v24, 16, v30
	v_and_b32_e32 v30, 0xffff0000, v30
	v_and_b32_e32 v25, 0xffff0000, v25
	v_add_nc_u32_e32 v87, 0x80, v87
	v_dual_add_f32 v21, v21, v23 :: v_dual_add_nc_u32 v88, 0x200, v88
	s_delay_alu instid0(VALU_DEP_4) | instskip(SKIP_2) | instid1(VALU_DEP_3)
	v_dual_add_f32 v23, v24, v30 :: v_dual_lshlrev_b32 v24, 16, v31
	v_and_b32_e32 v30, 0xffff0000, v31
	v_pk_mul_bf16 v31, v18, v33
	v_dual_add_f32 v19, v20, v19 :: v_dual_add_f32 v21, v23, v21
	v_add_f32_e32 v20, v32, v25
	s_delay_alu instid0(VALU_DEP_3) | instskip(SKIP_1) | instid1(VALU_DEP_3)
	v_dual_add_f32 v23, v24, v30 :: v_dual_lshlrev_b32 v24, 16, v31
	v_and_b32_e32 v25, 0xffff0000, v31
	v_dual_add_nc_u32 v89, 4, v89 :: v_dual_add_f32 v19, v20, v19
	s_delay_alu instid0(VALU_DEP_3) | instskip(SKIP_1) | instid1(VALU_DEP_4)
	v_add_f32_e32 v21, v23, v21
	v_pk_mul_bf16 v20, v0, v27
	v_dual_add_f32 v23, v24, v25 :: v_dual_lshlrev_b32 v24, 16, v26
	v_and_b32_e32 v25, 0xffff0000, v26
	v_pk_mul_bf16 v27, v1, v28
	s_delay_alu instid0(VALU_DEP_4) | instskip(SKIP_2) | instid1(VALU_DEP_4)
	v_dual_lshlrev_b32 v26, 16, v20 :: v_dual_add_f32 v72, v72, v19
	v_and_b32_e32 v20, 0xffff0000, v20
	v_add_f32_e32 v19, v23, v21
	v_dual_add_f32 v21, v24, v25 :: v_dual_lshlrev_b32 v23, 16, v27
	v_and_b32_e32 v24, 0xffff0000, v27
	s_delay_alu instid0(VALU_DEP_3) | instskip(SKIP_3) | instid1(VALU_DEP_4)
	v_dual_add_f32 v20, v26, v20 :: v_dual_add_f32 v75, v75, v19
	v_pk_mul_bf16 v19, v18, v29
	v_lshlrev_b32_e32 v25, 16, v15
	v_and_b32_e32 v15, 0xffff0000, v15
	v_dual_add_f32 v20, v20, v21 :: v_dual_add_f32 v21, v23, v24
	s_delay_alu instid0(VALU_DEP_4) | instskip(SKIP_2) | instid1(VALU_DEP_4)
	v_dual_lshlrev_b32 v23, 16, v19 :: v_dual_lshlrev_b32 v24, 16, v14
	v_and_b32_e32 v14, 0xffff0000, v14
	v_and_b32_e32 v19, 0xffff0000, v19
	v_add_f32_e32 v20, v21, v20
	v_add_f32_e32 v15, v25, v15
	v_cmp_le_i32_e32 vcc_lo, s9, v89
	v_dual_add_f32 v14, v24, v14 :: v_dual_lshlrev_b32 v21, 16, v16
	v_and_b32_e32 v16, 0xffff0000, v16
	v_dual_add_f32 v19, v23, v19 :: v_dual_lshlrev_b32 v23, 16, v17
	s_delay_alu instid0(VALU_DEP_3) | instskip(SKIP_1) | instid1(VALU_DEP_4)
	v_add_f32_e32 v14, v15, v14
	v_and_b32_e32 v17, 0xffff0000, v17
	v_dual_add_f32 v15, v21, v16 :: v_dual_lshlrev_b32 v16, 16, v10
	v_and_b32_e32 v10, 0xffff0000, v10
	v_lshlrev_b32_e32 v21, 16, v11
	v_and_b32_e32 v11, 0xffff0000, v11
	v_add_f32_e32 v19, v19, v20
	v_add_f32_e32 v14, v15, v14
	v_dual_add_f32 v10, v16, v10 :: v_dual_lshlrev_b32 v16, 16, v12
	s_delay_alu instid0(VALU_DEP_4) | instskip(SKIP_3) | instid1(VALU_DEP_2)
	v_add_f32_e32 v11, v21, v11
	v_and_b32_e32 v12, 0xffff0000, v12
	v_add_f32_e32 v15, v23, v17
	s_or_b32 s10, vcc_lo, s10
	v_dual_add_f32 v10, v11, v10 :: v_dual_add_f32 v11, v16, v12
	v_pk_mul_bf16 v12, v18, v13
	s_delay_alu instid0(VALU_DEP_3) | instskip(SKIP_1) | instid1(VALU_DEP_4)
	v_add_f32_e32 v13, v15, v14
	v_dual_lshlrev_b32 v14, 16, v6 :: v_dual_add_f32 v74, v74, v19
	v_dual_add_f32 v10, v11, v10 :: v_dual_lshlrev_b32 v15, 16, v7
	s_delay_alu instid0(VALU_DEP_4) | instskip(SKIP_4) | instid1(VALU_DEP_4)
	v_lshlrev_b32_e32 v11, 16, v12
	v_and_b32_e32 v12, 0xffff0000, v12
	v_and_b32_e32 v6, 0xffff0000, v6
	;; [unrolled: 1-line block ×4, first 2 shown]
	v_dual_add_f32 v77, v77, v13 :: v_dual_add_f32 v11, v11, v12
	s_delay_alu instid0(VALU_DEP_3)
	v_dual_add_f32 v6, v14, v6 :: v_dual_add_f32 v7, v15, v7
	v_dual_lshlrev_b32 v12, 16, v8 :: v_dual_lshlrev_b32 v14, 16, v2
	v_lshlrev_b32_e32 v15, 16, v3
	v_and_b32_e32 v2, 0xffff0000, v2
	v_and_b32_e32 v3, 0xffff0000, v3
	;; [unrolled: 1-line block ×3, first 2 shown]
	v_add_f32_e32 v16, v7, v6
	s_wait_loadcnt 0x0
	v_pk_mul_bf16 v6, v1, v48
	v_dual_add_f32 v2, v14, v2 :: v_dual_add_f32 v3, v15, v3
	v_dual_add_f32 v8, v12, v8 :: v_dual_lshlrev_b32 v12, 16, v9
	v_pk_mul_bf16 v14, v18, v5
	v_pk_mul_bf16 v18, v18, v49
	s_delay_alu instid0(VALU_DEP_4)
	v_add_f32_e32 v15, v3, v2
	v_pk_mul_bf16 v2, v22, v46
	v_lshlrev_b32_e32 v17, 16, v4
	v_pk_mul_bf16 v4, v0, v47
	v_and_b32_e32 v5, 0xffff0000, v6
	v_lshlrev_b32_e32 v7, 16, v6
	v_and_b32_e32 v1, 0xffff0000, v2
	v_lshlrev_b32_e32 v3, 16, v2
	;; [unrolled: 2-line block ×3, first 2 shown]
	v_and_b32_e32 v4, 0xffff0000, v18
	v_dual_add_f32 v17, v17, v19 :: v_dual_lshlrev_b32 v6, 16, v18
	v_and_b32_e32 v9, 0xffff0000, v9
	s_delay_alu instid0(VALU_DEP_4) | instskip(SKIP_1) | instid1(VALU_DEP_4)
	v_pk_add_f32 v[0:1], v[2:3], v[0:1]
	v_lshlrev_b32_e32 v18, 16, v14
	v_pk_add_f32 v[2:3], v[6:7], v[4:5]
	v_and_b32_e32 v14, 0xffff0000, v14
	s_delay_alu instid0(VALU_DEP_4) | instskip(SKIP_1) | instid1(VALU_DEP_3)
	v_dual_add_f32 v5, v17, v15 :: v_dual_add_f32 v0, v0, v1
	v_add_f32_e32 v1, v8, v16
	v_dual_add_f32 v4, v12, v9 :: v_dual_add_f32 v6, v18, v14
	s_delay_alu instid0(VALU_DEP_3) | instskip(NEXT) | instid1(VALU_DEP_2)
	v_add_f32_e32 v0, v3, v0
	v_dual_add_f32 v3, v11, v10 :: v_dual_add_f32 v1, v4, v1
	s_delay_alu instid0(VALU_DEP_3) | instskip(NEXT) | instid1(VALU_DEP_2)
	v_add_f32_e32 v4, v6, v5
	v_dual_add_f32 v0, v2, v0 :: v_dual_add_f32 v76, v76, v3
	s_delay_alu instid0(VALU_DEP_2) | instskip(NEXT) | instid1(VALU_DEP_2)
	v_dual_add_f32 v79, v79, v1 :: v_dual_add_f32 v78, v78, v4
	v_add_f32_e32 v67, v67, v0
	s_and_not1_b32 exec_lo, exec_lo, s10
	s_cbranch_execz .LBB157_64
.LBB157_36:                             ; =>This Inner Loop Header: Depth=1
	global_load_b32 v0, v[82:83], off
	v_cmp_eq_u32_e32 vcc_lo, s5, v89
	v_or_b32_e32 v94, 3, v87
	v_or_b32_e32 v96, 2, v87
	;; [unrolled: 1-line block ×5, first 2 shown]
	v_dual_add_nc_u32 v95, 1, v87 :: v_dual_bitop2_b32 v92, 6, v87 bitop3:0x54
	s_wait_loadcnt 0x0
	v_ashrrev_i32_e32 v1, 31, v0
	s_delay_alu instid0(VALU_DEP_1) | instskip(NEXT) | instid1(VALU_DEP_1)
	v_mul_u64_e32 v[0:1], s[2:3], v[0:1]
	v_lshl_add_u64 v[0:1], v[0:1], 1, v[80:81]
	global_load_b128 v[2:5], v[0:1], off
	ds_load_2addr_b64 v[22:25], v88 offset1:1
	ds_load_2addr_b64 v[18:21], v88 offset0:2 offset1:3
	s_wait_xcnt 0x0
	s_and_saveexec_b32 s12, vcc_lo
	s_cbranch_execnz .LBB157_50
; %bb.37:                               ;   in Loop: Header=BB157_36 Depth=1
	s_or_b32 exec_lo, exec_lo, s12
	global_load_b128 v[6:9], v[0:1], off offset:512
	s_wait_xcnt 0x0
	s_and_saveexec_b32 s12, vcc_lo
	s_cbranch_execnz .LBB157_51
.LBB157_38:                             ;   in Loop: Header=BB157_36 Depth=1
	s_or_b32 exec_lo, exec_lo, s12
	global_load_b128 v[10:13], v[0:1], off offset:1024
	s_wait_xcnt 0x0
	s_and_saveexec_b32 s12, vcc_lo
	s_cbranch_execnz .LBB157_52
.LBB157_39:                             ;   in Loop: Header=BB157_36 Depth=1
	s_or_b32 exec_lo, exec_lo, s12
	global_load_b128 v[14:17], v[0:1], off offset:1536
	s_wait_xcnt 0x0
	s_and_saveexec_b32 s12, vcc_lo
	s_cbranch_execnz .LBB157_53
.LBB157_40:                             ;   in Loop: Header=BB157_36 Depth=1
	s_or_b32 exec_lo, exec_lo, s12
	global_load_b128 v[26:29], v[0:1], off offset:2048
	s_wait_xcnt 0x0
	s_and_saveexec_b32 s12, vcc_lo
	s_cbranch_execnz .LBB157_54
.LBB157_41:                             ;   in Loop: Header=BB157_36 Depth=1
	s_or_b32 exec_lo, exec_lo, s12
	global_load_b128 v[30:33], v[0:1], off offset:2560
	s_wait_xcnt 0x0
	s_and_saveexec_b32 s12, vcc_lo
	s_cbranch_execnz .LBB157_55
.LBB157_42:                             ;   in Loop: Header=BB157_36 Depth=1
	s_or_b32 exec_lo, exec_lo, s12
	global_load_b128 v[34:37], v[0:1], off offset:3072
	s_wait_xcnt 0x0
	s_and_saveexec_b32 s12, vcc_lo
	s_cbranch_execnz .LBB157_56
.LBB157_43:                             ;   in Loop: Header=BB157_36 Depth=1
	s_or_b32 exec_lo, exec_lo, s12
	global_load_b128 v[38:41], v[0:1], off offset:3584
	s_wait_xcnt 0x0
	s_and_saveexec_b32 s12, vcc_lo
	s_cbranch_execnz .LBB157_57
.LBB157_44:                             ;   in Loop: Header=BB157_36 Depth=1
	s_or_b32 exec_lo, exec_lo, s12
	global_load_b128 v[42:45], v[0:1], off offset:4096
	s_wait_xcnt 0x0
	s_and_saveexec_b32 s12, vcc_lo
	s_cbranch_execnz .LBB157_58
.LBB157_45:                             ;   in Loop: Header=BB157_36 Depth=1
	s_or_b32 exec_lo, exec_lo, s12
	global_load_b128 v[50:53], v[0:1], off offset:4608
	s_wait_xcnt 0x0
	s_and_saveexec_b32 s12, vcc_lo
	s_cbranch_execnz .LBB157_59
.LBB157_46:                             ;   in Loop: Header=BB157_36 Depth=1
	s_or_b32 exec_lo, exec_lo, s12
	global_load_b128 v[54:57], v[0:1], off offset:5120
	s_wait_xcnt 0x0
	s_and_saveexec_b32 s12, vcc_lo
	s_cbranch_execnz .LBB157_60
.LBB157_47:                             ;   in Loop: Header=BB157_36 Depth=1
	s_or_b32 exec_lo, exec_lo, s12
	global_load_b128 v[58:61], v[0:1], off offset:5632
	s_wait_xcnt 0x0
	s_and_saveexec_b32 s12, vcc_lo
	s_cbranch_execnz .LBB157_61
.LBB157_48:                             ;   in Loop: Header=BB157_36 Depth=1
	s_or_b32 exec_lo, exec_lo, s12
	global_load_b128 v[62:65], v[0:1], off offset:6144
	s_wait_xcnt 0x0
	s_and_saveexec_b32 s12, vcc_lo
	s_cbranch_execnz .LBB157_62
.LBB157_49:                             ;   in Loop: Header=BB157_36 Depth=1
	s_or_b32 exec_lo, exec_lo, s12
	global_load_b128 v[46:49], v[0:1], off offset:6656
	s_wait_xcnt 0x0
	s_and_saveexec_b32 s0, vcc_lo
	s_cbranch_execz .LBB157_35
	s_branch .LBB157_63
.LBB157_50:                             ;   in Loop: Header=BB157_36 Depth=1
	v_cmp_gt_i32_e64 s0, s21, v87
	s_wait_loadcnt 0x0
	v_dual_lshrrev_b32 v6, 16, v2 :: v_dual_lshrrev_b32 v8, 16, v4
	s_delay_alu instid0(VALU_DEP_2) | instskip(SKIP_1) | instid1(VALU_DEP_1)
	v_cndmask_b32_e64 v2, 0, v2, s0
	v_cmp_gt_i32_e64 s0, s11, v95
	v_dual_lshrrev_b32 v7, 16, v3 :: v_dual_cndmask_b32 v6, 0, v6, s0
	v_cmp_gt_i32_e64 s0, s21, v96
	s_delay_alu instid0(VALU_DEP_2) | instskip(NEXT) | instid1(VALU_DEP_2)
	v_perm_b32 v2, v6, v2, 0x5040100
	v_cndmask_b32_e64 v3, 0, v3, s0
	v_cmp_gt_i32_e64 s0, s11, v94
	s_delay_alu instid0(VALU_DEP_1) | instskip(SKIP_1) | instid1(VALU_DEP_1)
	v_cndmask_b32_e64 v7, 0, v7, s0
	v_cmp_gt_i32_e64 s0, s21, v93
	v_cndmask_b32_e64 v4, 0, v4, s0
	v_cmp_gt_i32_e64 s0, s11, v91
	v_lshrrev_b32_e32 v9, 16, v5
	v_perm_b32 v3, v7, v3, 0x5040100
	s_delay_alu instid0(VALU_DEP_3) | instskip(SKIP_1) | instid1(VALU_DEP_2)
	v_cndmask_b32_e64 v8, 0, v8, s0
	v_cmp_gt_i32_e64 s0, s21, v92
	v_perm_b32 v4, v8, v4, 0x5040100
	s_delay_alu instid0(VALU_DEP_2) | instskip(SKIP_1) | instid1(VALU_DEP_1)
	v_cndmask_b32_e64 v5, 0, v5, s0
	v_cmp_gt_i32_e64 s0, s11, v90
	v_cndmask_b32_e64 v9, 0, v9, s0
	s_delay_alu instid0(VALU_DEP_1)
	v_perm_b32 v5, v9, v5, 0x5040100
	s_or_b32 exec_lo, exec_lo, s12
	global_load_b128 v[6:9], v[0:1], off offset:512
	s_wait_xcnt 0x0
	s_and_saveexec_b32 s12, vcc_lo
	s_cbranch_execz .LBB157_38
.LBB157_51:                             ;   in Loop: Header=BB157_36 Depth=1
	v_cmp_gt_i32_e64 s0, s21, v87
	s_wait_loadcnt 0x0
	v_dual_lshrrev_b32 v10, 16, v6 :: v_dual_lshrrev_b32 v12, 16, v8
	s_delay_alu instid0(VALU_DEP_2) | instskip(SKIP_1) | instid1(VALU_DEP_1)
	v_cndmask_b32_e64 v6, 0, v6, s0
	v_cmp_gt_i32_e64 s0, s11, v95
	v_dual_lshrrev_b32 v11, 16, v7 :: v_dual_cndmask_b32 v10, 0, v10, s0
	v_cmp_gt_i32_e64 s0, s21, v96
	s_delay_alu instid0(VALU_DEP_2) | instskip(NEXT) | instid1(VALU_DEP_2)
	v_perm_b32 v6, v10, v6, 0x5040100
	v_cndmask_b32_e64 v7, 0, v7, s0
	v_cmp_gt_i32_e64 s0, s11, v94
	s_delay_alu instid0(VALU_DEP_1) | instskip(SKIP_1) | instid1(VALU_DEP_1)
	v_cndmask_b32_e64 v11, 0, v11, s0
	v_cmp_gt_i32_e64 s0, s21, v93
	v_cndmask_b32_e64 v8, 0, v8, s0
	v_cmp_gt_i32_e64 s0, s11, v91
	v_lshrrev_b32_e32 v13, 16, v9
	v_perm_b32 v7, v11, v7, 0x5040100
	s_delay_alu instid0(VALU_DEP_3) | instskip(SKIP_1) | instid1(VALU_DEP_2)
	v_cndmask_b32_e64 v12, 0, v12, s0
	v_cmp_gt_i32_e64 s0, s21, v92
	v_perm_b32 v8, v12, v8, 0x5040100
	s_delay_alu instid0(VALU_DEP_2) | instskip(SKIP_1) | instid1(VALU_DEP_1)
	v_cndmask_b32_e64 v9, 0, v9, s0
	v_cmp_gt_i32_e64 s0, s11, v90
	v_cndmask_b32_e64 v13, 0, v13, s0
	s_delay_alu instid0(VALU_DEP_1)
	v_perm_b32 v9, v13, v9, 0x5040100
	s_or_b32 exec_lo, exec_lo, s12
	global_load_b128 v[10:13], v[0:1], off offset:1024
	s_wait_xcnt 0x0
	s_and_saveexec_b32 s12, vcc_lo
	s_cbranch_execz .LBB157_39
.LBB157_52:                             ;   in Loop: Header=BB157_36 Depth=1
	v_cmp_gt_i32_e64 s0, s21, v87
	s_wait_loadcnt 0x0
	v_dual_lshrrev_b32 v14, 16, v10 :: v_dual_lshrrev_b32 v16, 16, v12
	s_delay_alu instid0(VALU_DEP_2) | instskip(SKIP_1) | instid1(VALU_DEP_1)
	v_cndmask_b32_e64 v10, 0, v10, s0
	v_cmp_gt_i32_e64 s0, s11, v95
	v_dual_lshrrev_b32 v15, 16, v11 :: v_dual_cndmask_b32 v14, 0, v14, s0
	v_cmp_gt_i32_e64 s0, s21, v96
	s_delay_alu instid0(VALU_DEP_2) | instskip(NEXT) | instid1(VALU_DEP_2)
	v_perm_b32 v10, v14, v10, 0x5040100
	v_cndmask_b32_e64 v11, 0, v11, s0
	v_cmp_gt_i32_e64 s0, s11, v94
	s_delay_alu instid0(VALU_DEP_1) | instskip(SKIP_1) | instid1(VALU_DEP_1)
	v_cndmask_b32_e64 v15, 0, v15, s0
	v_cmp_gt_i32_e64 s0, s21, v93
	v_cndmask_b32_e64 v12, 0, v12, s0
	v_cmp_gt_i32_e64 s0, s11, v91
	v_lshrrev_b32_e32 v17, 16, v13
	v_perm_b32 v11, v15, v11, 0x5040100
	s_delay_alu instid0(VALU_DEP_3) | instskip(SKIP_1) | instid1(VALU_DEP_2)
	v_cndmask_b32_e64 v16, 0, v16, s0
	v_cmp_gt_i32_e64 s0, s21, v92
	v_perm_b32 v12, v16, v12, 0x5040100
	s_delay_alu instid0(VALU_DEP_2) | instskip(SKIP_1) | instid1(VALU_DEP_1)
	v_cndmask_b32_e64 v13, 0, v13, s0
	v_cmp_gt_i32_e64 s0, s11, v90
	v_cndmask_b32_e64 v17, 0, v17, s0
	s_delay_alu instid0(VALU_DEP_1)
	v_perm_b32 v13, v17, v13, 0x5040100
	s_or_b32 exec_lo, exec_lo, s12
	global_load_b128 v[14:17], v[0:1], off offset:1536
	s_wait_xcnt 0x0
	s_and_saveexec_b32 s12, vcc_lo
	s_cbranch_execz .LBB157_40
.LBB157_53:                             ;   in Loop: Header=BB157_36 Depth=1
	v_cmp_gt_i32_e64 s0, s21, v87
	s_wait_loadcnt 0x0
	v_dual_lshrrev_b32 v26, 16, v14 :: v_dual_lshrrev_b32 v28, 16, v16
	s_delay_alu instid0(VALU_DEP_2) | instskip(SKIP_1) | instid1(VALU_DEP_1)
	v_cndmask_b32_e64 v14, 0, v14, s0
	v_cmp_gt_i32_e64 s0, s11, v95
	v_dual_lshrrev_b32 v27, 16, v15 :: v_dual_cndmask_b32 v26, 0, v26, s0
	v_cmp_gt_i32_e64 s0, s21, v96
	s_delay_alu instid0(VALU_DEP_2) | instskip(NEXT) | instid1(VALU_DEP_2)
	v_perm_b32 v14, v26, v14, 0x5040100
	v_cndmask_b32_e64 v15, 0, v15, s0
	v_cmp_gt_i32_e64 s0, s11, v94
	s_delay_alu instid0(VALU_DEP_1) | instskip(SKIP_1) | instid1(VALU_DEP_1)
	v_cndmask_b32_e64 v27, 0, v27, s0
	v_cmp_gt_i32_e64 s0, s21, v93
	v_cndmask_b32_e64 v16, 0, v16, s0
	v_cmp_gt_i32_e64 s0, s11, v91
	v_lshrrev_b32_e32 v29, 16, v17
	v_perm_b32 v15, v27, v15, 0x5040100
	s_delay_alu instid0(VALU_DEP_3) | instskip(SKIP_1) | instid1(VALU_DEP_2)
	v_cndmask_b32_e64 v28, 0, v28, s0
	v_cmp_gt_i32_e64 s0, s21, v92
	v_perm_b32 v16, v28, v16, 0x5040100
	s_delay_alu instid0(VALU_DEP_2) | instskip(SKIP_1) | instid1(VALU_DEP_1)
	v_cndmask_b32_e64 v17, 0, v17, s0
	v_cmp_gt_i32_e64 s0, s11, v90
	v_cndmask_b32_e64 v29, 0, v29, s0
	s_delay_alu instid0(VALU_DEP_1)
	v_perm_b32 v17, v29, v17, 0x5040100
	s_or_b32 exec_lo, exec_lo, s12
	global_load_b128 v[26:29], v[0:1], off offset:2048
	s_wait_xcnt 0x0
	s_and_saveexec_b32 s12, vcc_lo
	s_cbranch_execz .LBB157_41
.LBB157_54:                             ;   in Loop: Header=BB157_36 Depth=1
	v_cmp_gt_i32_e64 s0, s21, v87
	s_wait_loadcnt 0x0
	v_dual_lshrrev_b32 v30, 16, v26 :: v_dual_lshrrev_b32 v32, 16, v28
	s_delay_alu instid0(VALU_DEP_2) | instskip(SKIP_1) | instid1(VALU_DEP_1)
	v_cndmask_b32_e64 v26, 0, v26, s0
	v_cmp_gt_i32_e64 s0, s11, v95
	v_dual_lshrrev_b32 v31, 16, v27 :: v_dual_cndmask_b32 v30, 0, v30, s0
	v_cmp_gt_i32_e64 s0, s21, v96
	s_delay_alu instid0(VALU_DEP_2) | instskip(NEXT) | instid1(VALU_DEP_2)
	v_perm_b32 v26, v30, v26, 0x5040100
	v_cndmask_b32_e64 v27, 0, v27, s0
	v_cmp_gt_i32_e64 s0, s11, v94
	s_delay_alu instid0(VALU_DEP_1) | instskip(SKIP_1) | instid1(VALU_DEP_1)
	v_cndmask_b32_e64 v31, 0, v31, s0
	v_cmp_gt_i32_e64 s0, s21, v93
	v_cndmask_b32_e64 v28, 0, v28, s0
	v_cmp_gt_i32_e64 s0, s11, v91
	v_lshrrev_b32_e32 v33, 16, v29
	v_perm_b32 v27, v31, v27, 0x5040100
	s_delay_alu instid0(VALU_DEP_3) | instskip(SKIP_1) | instid1(VALU_DEP_2)
	v_cndmask_b32_e64 v32, 0, v32, s0
	v_cmp_gt_i32_e64 s0, s21, v92
	v_perm_b32 v28, v32, v28, 0x5040100
	s_delay_alu instid0(VALU_DEP_2) | instskip(SKIP_1) | instid1(VALU_DEP_1)
	v_cndmask_b32_e64 v29, 0, v29, s0
	v_cmp_gt_i32_e64 s0, s11, v90
	v_cndmask_b32_e64 v33, 0, v33, s0
	s_delay_alu instid0(VALU_DEP_1)
	v_perm_b32 v29, v33, v29, 0x5040100
	s_or_b32 exec_lo, exec_lo, s12
	global_load_b128 v[30:33], v[0:1], off offset:2560
	s_wait_xcnt 0x0
	s_and_saveexec_b32 s12, vcc_lo
	s_cbranch_execz .LBB157_42
.LBB157_55:                             ;   in Loop: Header=BB157_36 Depth=1
	v_cmp_gt_i32_e64 s0, s21, v87
	s_wait_loadcnt 0x0
	v_dual_lshrrev_b32 v34, 16, v30 :: v_dual_lshrrev_b32 v36, 16, v32
	s_delay_alu instid0(VALU_DEP_2) | instskip(SKIP_1) | instid1(VALU_DEP_1)
	v_cndmask_b32_e64 v30, 0, v30, s0
	v_cmp_gt_i32_e64 s0, s11, v95
	v_dual_lshrrev_b32 v35, 16, v31 :: v_dual_cndmask_b32 v34, 0, v34, s0
	v_cmp_gt_i32_e64 s0, s21, v96
	s_delay_alu instid0(VALU_DEP_2) | instskip(NEXT) | instid1(VALU_DEP_2)
	v_perm_b32 v30, v34, v30, 0x5040100
	v_cndmask_b32_e64 v31, 0, v31, s0
	v_cmp_gt_i32_e64 s0, s11, v94
	s_delay_alu instid0(VALU_DEP_1) | instskip(SKIP_1) | instid1(VALU_DEP_1)
	v_cndmask_b32_e64 v35, 0, v35, s0
	v_cmp_gt_i32_e64 s0, s21, v93
	v_cndmask_b32_e64 v32, 0, v32, s0
	v_cmp_gt_i32_e64 s0, s11, v91
	v_lshrrev_b32_e32 v37, 16, v33
	v_perm_b32 v31, v35, v31, 0x5040100
	s_delay_alu instid0(VALU_DEP_3) | instskip(SKIP_1) | instid1(VALU_DEP_2)
	v_cndmask_b32_e64 v36, 0, v36, s0
	v_cmp_gt_i32_e64 s0, s21, v92
	v_perm_b32 v32, v36, v32, 0x5040100
	s_delay_alu instid0(VALU_DEP_2) | instskip(SKIP_1) | instid1(VALU_DEP_1)
	v_cndmask_b32_e64 v33, 0, v33, s0
	v_cmp_gt_i32_e64 s0, s11, v90
	v_cndmask_b32_e64 v37, 0, v37, s0
	s_delay_alu instid0(VALU_DEP_1)
	v_perm_b32 v33, v37, v33, 0x5040100
	s_or_b32 exec_lo, exec_lo, s12
	global_load_b128 v[34:37], v[0:1], off offset:3072
	s_wait_xcnt 0x0
	s_and_saveexec_b32 s12, vcc_lo
	s_cbranch_execz .LBB157_43
.LBB157_56:                             ;   in Loop: Header=BB157_36 Depth=1
	v_cmp_gt_i32_e64 s0, s21, v87
	s_wait_loadcnt 0x0
	v_dual_lshrrev_b32 v38, 16, v34 :: v_dual_lshrrev_b32 v40, 16, v36
	s_delay_alu instid0(VALU_DEP_2) | instskip(SKIP_1) | instid1(VALU_DEP_1)
	v_cndmask_b32_e64 v34, 0, v34, s0
	v_cmp_gt_i32_e64 s0, s11, v95
	v_dual_lshrrev_b32 v39, 16, v35 :: v_dual_cndmask_b32 v38, 0, v38, s0
	v_cmp_gt_i32_e64 s0, s21, v96
	s_delay_alu instid0(VALU_DEP_2) | instskip(NEXT) | instid1(VALU_DEP_2)
	v_perm_b32 v34, v38, v34, 0x5040100
	v_cndmask_b32_e64 v35, 0, v35, s0
	v_cmp_gt_i32_e64 s0, s11, v94
	s_delay_alu instid0(VALU_DEP_1) | instskip(SKIP_1) | instid1(VALU_DEP_1)
	v_cndmask_b32_e64 v39, 0, v39, s0
	v_cmp_gt_i32_e64 s0, s21, v93
	v_cndmask_b32_e64 v36, 0, v36, s0
	v_cmp_gt_i32_e64 s0, s11, v91
	v_lshrrev_b32_e32 v41, 16, v37
	v_perm_b32 v35, v39, v35, 0x5040100
	s_delay_alu instid0(VALU_DEP_3) | instskip(SKIP_1) | instid1(VALU_DEP_2)
	v_cndmask_b32_e64 v40, 0, v40, s0
	v_cmp_gt_i32_e64 s0, s21, v92
	v_perm_b32 v36, v40, v36, 0x5040100
	s_delay_alu instid0(VALU_DEP_2) | instskip(SKIP_1) | instid1(VALU_DEP_1)
	v_cndmask_b32_e64 v37, 0, v37, s0
	v_cmp_gt_i32_e64 s0, s11, v90
	v_cndmask_b32_e64 v41, 0, v41, s0
	s_delay_alu instid0(VALU_DEP_1)
	v_perm_b32 v37, v41, v37, 0x5040100
	s_or_b32 exec_lo, exec_lo, s12
	global_load_b128 v[38:41], v[0:1], off offset:3584
	s_wait_xcnt 0x0
	s_and_saveexec_b32 s12, vcc_lo
	s_cbranch_execz .LBB157_44
.LBB157_57:                             ;   in Loop: Header=BB157_36 Depth=1
	v_cmp_gt_i32_e64 s0, s21, v87
	s_wait_loadcnt 0x0
	v_dual_lshrrev_b32 v42, 16, v38 :: v_dual_lshrrev_b32 v44, 16, v40
	s_delay_alu instid0(VALU_DEP_2) | instskip(SKIP_1) | instid1(VALU_DEP_1)
	v_cndmask_b32_e64 v38, 0, v38, s0
	v_cmp_gt_i32_e64 s0, s11, v95
	v_dual_lshrrev_b32 v43, 16, v39 :: v_dual_cndmask_b32 v42, 0, v42, s0
	v_cmp_gt_i32_e64 s0, s21, v96
	s_delay_alu instid0(VALU_DEP_2) | instskip(NEXT) | instid1(VALU_DEP_2)
	v_perm_b32 v38, v42, v38, 0x5040100
	v_cndmask_b32_e64 v39, 0, v39, s0
	v_cmp_gt_i32_e64 s0, s11, v94
	s_delay_alu instid0(VALU_DEP_1) | instskip(SKIP_1) | instid1(VALU_DEP_1)
	v_cndmask_b32_e64 v43, 0, v43, s0
	v_cmp_gt_i32_e64 s0, s21, v93
	v_cndmask_b32_e64 v40, 0, v40, s0
	v_cmp_gt_i32_e64 s0, s11, v91
	v_lshrrev_b32_e32 v45, 16, v41
	v_perm_b32 v39, v43, v39, 0x5040100
	s_delay_alu instid0(VALU_DEP_3) | instskip(SKIP_1) | instid1(VALU_DEP_2)
	v_cndmask_b32_e64 v44, 0, v44, s0
	v_cmp_gt_i32_e64 s0, s21, v92
	v_perm_b32 v40, v44, v40, 0x5040100
	s_delay_alu instid0(VALU_DEP_2) | instskip(SKIP_1) | instid1(VALU_DEP_1)
	v_cndmask_b32_e64 v41, 0, v41, s0
	v_cmp_gt_i32_e64 s0, s11, v90
	v_cndmask_b32_e64 v45, 0, v45, s0
	s_delay_alu instid0(VALU_DEP_1)
	v_perm_b32 v41, v45, v41, 0x5040100
	s_or_b32 exec_lo, exec_lo, s12
	global_load_b128 v[42:45], v[0:1], off offset:4096
	s_wait_xcnt 0x0
	s_and_saveexec_b32 s12, vcc_lo
	s_cbranch_execz .LBB157_45
.LBB157_58:                             ;   in Loop: Header=BB157_36 Depth=1
	v_cmp_gt_i32_e64 s0, s21, v87
	s_wait_loadcnt 0x0
	v_dual_lshrrev_b32 v46, 16, v42 :: v_dual_lshrrev_b32 v48, 16, v44
	s_delay_alu instid0(VALU_DEP_2) | instskip(SKIP_1) | instid1(VALU_DEP_1)
	v_cndmask_b32_e64 v42, 0, v42, s0
	v_cmp_gt_i32_e64 s0, s11, v95
	v_dual_lshrrev_b32 v47, 16, v43 :: v_dual_cndmask_b32 v46, 0, v46, s0
	v_cmp_gt_i32_e64 s0, s21, v96
	s_delay_alu instid0(VALU_DEP_2) | instskip(NEXT) | instid1(VALU_DEP_2)
	v_perm_b32 v42, v46, v42, 0x5040100
	v_cndmask_b32_e64 v43, 0, v43, s0
	v_cmp_gt_i32_e64 s0, s11, v94
	s_delay_alu instid0(VALU_DEP_1) | instskip(SKIP_1) | instid1(VALU_DEP_1)
	v_cndmask_b32_e64 v47, 0, v47, s0
	v_cmp_gt_i32_e64 s0, s21, v93
	v_cndmask_b32_e64 v44, 0, v44, s0
	v_cmp_gt_i32_e64 s0, s11, v91
	v_lshrrev_b32_e32 v49, 16, v45
	v_perm_b32 v43, v47, v43, 0x5040100
	s_delay_alu instid0(VALU_DEP_3) | instskip(SKIP_1) | instid1(VALU_DEP_2)
	v_cndmask_b32_e64 v48, 0, v48, s0
	v_cmp_gt_i32_e64 s0, s21, v92
	v_perm_b32 v44, v48, v44, 0x5040100
	s_delay_alu instid0(VALU_DEP_2) | instskip(SKIP_1) | instid1(VALU_DEP_1)
	v_cndmask_b32_e64 v45, 0, v45, s0
	v_cmp_gt_i32_e64 s0, s11, v90
	v_cndmask_b32_e64 v49, 0, v49, s0
	s_delay_alu instid0(VALU_DEP_1)
	v_perm_b32 v45, v49, v45, 0x5040100
	s_or_b32 exec_lo, exec_lo, s12
	global_load_b128 v[50:53], v[0:1], off offset:4608
	s_wait_xcnt 0x0
	s_and_saveexec_b32 s12, vcc_lo
	s_cbranch_execz .LBB157_46
.LBB157_59:                             ;   in Loop: Header=BB157_36 Depth=1
	v_cmp_gt_i32_e64 s0, s21, v87
	s_wait_loadcnt 0x0
	s_delay_alu instid0(VALU_DEP_1) | instskip(SKIP_1) | instid1(VALU_DEP_1)
	v_dual_lshrrev_b32 v46, 16, v50 :: v_dual_cndmask_b32 v47, 0, v50, s0
	v_cmp_gt_i32_e64 s0, s11, v95
	v_dual_lshrrev_b32 v48, 16, v51 :: v_dual_cndmask_b32 v46, 0, v46, s0
	v_cmp_gt_i32_e64 s0, s21, v96
	s_delay_alu instid0(VALU_DEP_1) | instskip(SKIP_1) | instid1(VALU_DEP_1)
	v_cndmask_b32_e64 v49, 0, v51, s0
	v_cmp_gt_i32_e64 s0, s11, v94
	v_cndmask_b32_e64 v48, 0, v48, s0
	v_cmp_gt_i32_e64 s0, s21, v93
	s_delay_alu instid0(VALU_DEP_1) | instskip(SKIP_1) | instid1(VALU_DEP_1)
	v_dual_lshrrev_b32 v50, 16, v52 :: v_dual_cndmask_b32 v52, 0, v52, s0
	v_cmp_gt_i32_e64 s0, s11, v91
	v_dual_lshrrev_b32 v51, 16, v53 :: v_dual_cndmask_b32 v54, 0, v50, s0
	v_cmp_gt_i32_e64 s0, s21, v92
	v_perm_b32 v50, v46, v47, 0x5040100
	s_delay_alu instid0(VALU_DEP_3) | instskip(NEXT) | instid1(VALU_DEP_3)
	v_perm_b32 v52, v54, v52, 0x5040100
	v_cndmask_b32_e64 v53, 0, v53, s0
	v_cmp_gt_i32_e64 s0, s11, v90
	s_delay_alu instid0(VALU_DEP_1) | instskip(SKIP_1) | instid1(VALU_DEP_2)
	v_cndmask_b32_e64 v55, 0, v51, s0
	v_perm_b32 v51, v48, v49, 0x5040100
	v_perm_b32 v53, v55, v53, 0x5040100
	s_or_b32 exec_lo, exec_lo, s12
	global_load_b128 v[54:57], v[0:1], off offset:5120
	s_wait_xcnt 0x0
	s_and_saveexec_b32 s12, vcc_lo
	s_cbranch_execz .LBB157_47
.LBB157_60:                             ;   in Loop: Header=BB157_36 Depth=1
	v_cmp_gt_i32_e64 s0, s21, v87
	s_wait_loadcnt 0x0
	s_delay_alu instid0(VALU_DEP_1) | instskip(SKIP_1) | instid1(VALU_DEP_1)
	v_dual_lshrrev_b32 v46, 16, v54 :: v_dual_cndmask_b32 v47, 0, v54, s0
	v_cmp_gt_i32_e64 s0, s11, v95
	v_dual_lshrrev_b32 v48, 16, v55 :: v_dual_cndmask_b32 v46, 0, v46, s0
	v_cmp_gt_i32_e64 s0, s21, v96
	s_delay_alu instid0(VALU_DEP_1) | instskip(SKIP_1) | instid1(VALU_DEP_1)
	v_cndmask_b32_e64 v49, 0, v55, s0
	v_cmp_gt_i32_e64 s0, s11, v94
	v_cndmask_b32_e64 v48, 0, v48, s0
	v_cmp_gt_i32_e64 s0, s21, v93
	s_delay_alu instid0(VALU_DEP_1) | instskip(SKIP_1) | instid1(VALU_DEP_1)
	v_dual_lshrrev_b32 v54, 16, v56 :: v_dual_cndmask_b32 v56, 0, v56, s0
	v_cmp_gt_i32_e64 s0, s11, v91
	v_dual_lshrrev_b32 v55, 16, v57 :: v_dual_cndmask_b32 v58, 0, v54, s0
	v_cmp_gt_i32_e64 s0, s21, v92
	v_perm_b32 v54, v46, v47, 0x5040100
	s_delay_alu instid0(VALU_DEP_3) | instskip(NEXT) | instid1(VALU_DEP_3)
	v_perm_b32 v56, v58, v56, 0x5040100
	v_cndmask_b32_e64 v57, 0, v57, s0
	v_cmp_gt_i32_e64 s0, s11, v90
	s_delay_alu instid0(VALU_DEP_1) | instskip(SKIP_1) | instid1(VALU_DEP_2)
	v_cndmask_b32_e64 v59, 0, v55, s0
	v_perm_b32 v55, v48, v49, 0x5040100
	v_perm_b32 v57, v59, v57, 0x5040100
	s_or_b32 exec_lo, exec_lo, s12
	global_load_b128 v[58:61], v[0:1], off offset:5632
	s_wait_xcnt 0x0
	s_and_saveexec_b32 s12, vcc_lo
	s_cbranch_execz .LBB157_48
.LBB157_61:                             ;   in Loop: Header=BB157_36 Depth=1
	v_cmp_gt_i32_e64 s0, s21, v87
	s_wait_loadcnt 0x0
	s_delay_alu instid0(VALU_DEP_1) | instskip(SKIP_1) | instid1(VALU_DEP_1)
	v_dual_lshrrev_b32 v46, 16, v58 :: v_dual_cndmask_b32 v47, 0, v58, s0
	v_cmp_gt_i32_e64 s0, s11, v95
	v_dual_lshrrev_b32 v48, 16, v59 :: v_dual_cndmask_b32 v46, 0, v46, s0
	v_cmp_gt_i32_e64 s0, s21, v96
	s_delay_alu instid0(VALU_DEP_1) | instskip(SKIP_1) | instid1(VALU_DEP_1)
	v_cndmask_b32_e64 v49, 0, v59, s0
	v_cmp_gt_i32_e64 s0, s11, v94
	v_cndmask_b32_e64 v48, 0, v48, s0
	v_cmp_gt_i32_e64 s0, s21, v93
	s_delay_alu instid0(VALU_DEP_1) | instskip(SKIP_1) | instid1(VALU_DEP_1)
	v_dual_lshrrev_b32 v58, 16, v60 :: v_dual_cndmask_b32 v60, 0, v60, s0
	v_cmp_gt_i32_e64 s0, s11, v91
	v_dual_lshrrev_b32 v59, 16, v61 :: v_dual_cndmask_b32 v62, 0, v58, s0
	v_cmp_gt_i32_e64 s0, s21, v92
	v_perm_b32 v58, v46, v47, 0x5040100
	s_delay_alu instid0(VALU_DEP_3) | instskip(NEXT) | instid1(VALU_DEP_3)
	v_perm_b32 v60, v62, v60, 0x5040100
	v_cndmask_b32_e64 v61, 0, v61, s0
	v_cmp_gt_i32_e64 s0, s11, v90
	s_delay_alu instid0(VALU_DEP_1) | instskip(SKIP_1) | instid1(VALU_DEP_2)
	v_cndmask_b32_e64 v63, 0, v59, s0
	v_perm_b32 v59, v48, v49, 0x5040100
	v_perm_b32 v61, v63, v61, 0x5040100
	s_or_b32 exec_lo, exec_lo, s12
	global_load_b128 v[62:65], v[0:1], off offset:6144
	s_wait_xcnt 0x0
	s_and_saveexec_b32 s12, vcc_lo
	s_cbranch_execz .LBB157_49
.LBB157_62:                             ;   in Loop: Header=BB157_36 Depth=1
	v_cmp_gt_i32_e64 s0, s21, v87
	s_wait_loadcnt 0x0
	s_delay_alu instid0(VALU_DEP_1) | instskip(SKIP_1) | instid1(VALU_DEP_1)
	v_dual_lshrrev_b32 v46, 16, v62 :: v_dual_cndmask_b32 v47, 0, v62, s0
	v_cmp_gt_i32_e64 s0, s11, v95
	v_dual_lshrrev_b32 v48, 16, v63 :: v_dual_cndmask_b32 v46, 0, v46, s0
	v_cmp_gt_i32_e64 s0, s21, v96
	s_delay_alu instid0(VALU_DEP_1) | instskip(SKIP_1) | instid1(VALU_DEP_1)
	v_cndmask_b32_e64 v49, 0, v63, s0
	v_cmp_gt_i32_e64 s0, s11, v94
	v_cndmask_b32_e64 v48, 0, v48, s0
	v_cmp_gt_i32_e64 s0, s21, v93
	s_delay_alu instid0(VALU_DEP_1) | instskip(SKIP_1) | instid1(VALU_DEP_1)
	v_dual_lshrrev_b32 v62, 16, v64 :: v_dual_cndmask_b32 v64, 0, v64, s0
	v_cmp_gt_i32_e64 s0, s11, v91
	v_dual_lshrrev_b32 v63, 16, v65 :: v_dual_cndmask_b32 v97, 0, v62, s0
	v_cmp_gt_i32_e64 s0, s21, v92
	v_perm_b32 v62, v46, v47, 0x5040100
	s_delay_alu instid0(VALU_DEP_3) | instskip(NEXT) | instid1(VALU_DEP_3)
	v_perm_b32 v64, v97, v64, 0x5040100
	v_cndmask_b32_e64 v65, 0, v65, s0
	v_cmp_gt_i32_e64 s0, s11, v90
	s_delay_alu instid0(VALU_DEP_1) | instskip(SKIP_1) | instid1(VALU_DEP_2)
	v_cndmask_b32_e64 v98, 0, v63, s0
	v_perm_b32 v63, v48, v49, 0x5040100
	v_perm_b32 v65, v98, v65, 0x5040100
	s_or_b32 exec_lo, exec_lo, s12
	global_load_b128 v[46:49], v[0:1], off offset:6656
	s_wait_xcnt 0x0
	s_and_saveexec_b32 s0, vcc_lo
	s_cbranch_execz .LBB157_35
.LBB157_63:                             ;   in Loop: Header=BB157_36 Depth=1
	v_cmp_gt_i32_e32 vcc_lo, s21, v87
	s_wait_loadcnt 0x0
	v_dual_cndmask_b32 v1, 0, v46 :: v_dual_lshrrev_b32 v0, 16, v46
	v_cmp_gt_i32_e32 vcc_lo, s11, v95
	s_delay_alu instid0(VALU_DEP_2) | instskip(SKIP_3) | instid1(VALU_DEP_4)
	v_dual_lshrrev_b32 v46, 16, v47 :: v_dual_cndmask_b32 v0, 0, v0, vcc_lo
	v_cmp_gt_i32_e32 vcc_lo, s21, v96
	v_cndmask_b32_e32 v47, 0, v47, vcc_lo
	v_cmp_gt_i32_e32 vcc_lo, s11, v94
	v_cndmask_b32_e32 v94, 0, v46, vcc_lo
	v_cmp_gt_i32_e32 vcc_lo, s21, v93
	v_lshrrev_b32_e32 v46, 16, v48
	s_delay_alu instid0(VALU_DEP_3) | instskip(SKIP_2) | instid1(VALU_DEP_4)
	v_perm_b32 v47, v94, v47, 0x5040100
	v_cndmask_b32_e32 v48, 0, v48, vcc_lo
	v_cmp_gt_i32_e32 vcc_lo, s11, v91
	v_dual_lshrrev_b32 v93, 16, v49 :: v_dual_cndmask_b32 v91, 0, v46, vcc_lo
	v_cmp_gt_i32_e32 vcc_lo, s21, v92
	v_perm_b32 v46, v0, v1, 0x5040100
	s_delay_alu instid0(VALU_DEP_3) | instskip(SKIP_3) | instid1(VALU_DEP_1)
	v_perm_b32 v48, v91, v48, 0x5040100
	v_cndmask_b32_e32 v49, 0, v49, vcc_lo
	v_cmp_gt_i32_e32 vcc_lo, s11, v90
	v_cndmask_b32_e32 v90, 0, v93, vcc_lo
	v_perm_b32 v49, v90, v49, 0x5040100
	s_branch .LBB157_35
.LBB157_64:
	s_or_b32 exec_lo, exec_lo, s10
	v_mov_b32_e32 v32, v101
.LBB157_65:
	s_or_b32 exec_lo, exec_lo, s1
	ds_bpermute_b32 v0, v85, v78
	ds_bpermute_b32 v1, v85, v79
	;; [unrolled: 1-line block ×14, first 2 shown]
	v_and_b32_e32 v16, 28, v32
	v_and_b32_e32 v17, 0x3c3, v99
	s_mov_b32 s0, exec_lo
	s_wait_dscnt 0x0
	s_barrier_signal -1
	s_barrier_wait -1
	v_pk_add_f32 v[0:1], v[78:79], v[0:1]
	v_pk_add_f32 v[2:3], v[76:77], v[2:3]
	v_pk_add_f32 v[4:5], v[74:75], v[4:5]
	v_pk_add_f32 v[18:19], v[72:73], v[6:7]
	ds_bpermute_b32 v6, v84, v0
	v_pk_add_f32 v[20:21], v[70:71], v[8:9]
	ds_bpermute_b32 v7, v84, v1
	v_pk_add_f32 v[22:23], v[68:69], v[10:11]
	ds_bpermute_b32 v8, v84, v2
	ds_bpermute_b32 v9, v84, v3
	;; [unrolled: 1-line block ×9, first 2 shown]
	v_pk_add_f32 v[12:13], v[66:67], v[12:13]
	ds_bpermute_b32 v31, v84, v23
	ds_bpermute_b32 v14, v84, v12
	;; [unrolled: 1-line block ×3, first 2 shown]
	s_wait_dscnt 0xc
	v_pk_add_f32 v[10:11], v[0:1], v[6:7]
	s_wait_dscnt 0xa
	v_pk_add_f32 v[8:9], v[2:3], v[8:9]
	;; [unrolled: 2-line block ×6, first 2 shown]
	v_cmpx_ne_u32_e32 64, v17
	s_xor_b32 s0, exec_lo, s0
	s_delay_alu instid0(SALU_CYCLE_1)
	s_or_saveexec_b32 s0, s0
	s_wait_dscnt 0x0
	v_pk_add_f32 v[12:13], v[12:13], v[14:15]
	v_lshrrev_b32_e32 v14, 2, v32
	v_add_nc_u32_e32 v15, 0x100, v16
	v_mul_u32_u24_e32 v16, 0x1c0, v100
	s_xor_b32 exec_lo, exec_lo, s0
	s_cbranch_execz .LBB157_67
; %bb.66:
	s_delay_alu instid0(VALU_DEP_1) | instskip(NEXT) | instid1(VALU_DEP_1)
	v_add_nc_u32_e32 v17, v15, v16
	v_add_nc_u32_e32 v18, 0xfffffc80, v17
	;; [unrolled: 1-line block ×9, first 2 shown]
	ds_store_b32 v18, v10
	ds_store_b32 v19, v11
	ds_store_b32 v20, v8
	ds_store_b32 v21, v9
	ds_store_b32 v22, v6
	ds_store_b32 v23, v7
	ds_store_b32 v24, v4
	ds_store_b32 v25, v5
	v_add_nc_u32_e32 v18, 0xfffffd80, v17
	v_add_nc_u32_e32 v19, 0xfffffda0, v17
	;; [unrolled: 1-line block ×6, first 2 shown]
	ds_store_b32 v18, v2
	ds_store_b32 v19, v3
	;; [unrolled: 1-line block ×6, first 2 shown]
.LBB157_67:
	s_or_b32 exec_lo, exec_lo, s0
	v_lshlrev_b32_e32 v14, 2, v14
	s_mov_b32 s1, exec_lo
	v_cmp_eq_u32_e32 vcc_lo, 0, v86
	s_wait_dscnt 0x0
	s_barrier_signal -1
	v_add3_u32 v14, 0x100, v16, v14
	s_barrier_wait -1
	v_cmpx_gt_u32_e32 64, v99
	s_cbranch_execz .LBB157_84
; %bb.68:
	s_and_saveexec_b32 s0, vcc_lo
	s_cbranch_execnz .LBB157_106
; %bb.69:
	s_or_b32 exec_lo, exec_lo, s0
	s_and_saveexec_b32 s0, vcc_lo
	s_cbranch_execnz .LBB157_107
.LBB157_70:
	s_or_b32 exec_lo, exec_lo, s0
	s_and_saveexec_b32 s0, vcc_lo
	s_cbranch_execnz .LBB157_108
.LBB157_71:
	s_or_b32 exec_lo, exec_lo, s0
	s_and_saveexec_b32 s0, vcc_lo
	s_cbranch_execnz .LBB157_109
.LBB157_72:
	s_or_b32 exec_lo, exec_lo, s0
	s_and_saveexec_b32 s0, vcc_lo
	s_cbranch_execnz .LBB157_110
.LBB157_73:
	s_or_b32 exec_lo, exec_lo, s0
	s_and_saveexec_b32 s0, vcc_lo
	s_cbranch_execnz .LBB157_111
.LBB157_74:
	s_or_b32 exec_lo, exec_lo, s0
	s_and_saveexec_b32 s0, vcc_lo
	s_cbranch_execnz .LBB157_112
.LBB157_75:
	s_or_b32 exec_lo, exec_lo, s0
	s_and_saveexec_b32 s0, vcc_lo
	s_cbranch_execnz .LBB157_113
.LBB157_76:
	s_or_b32 exec_lo, exec_lo, s0
	s_and_saveexec_b32 s0, vcc_lo
	s_cbranch_execnz .LBB157_114
.LBB157_77:
	s_or_b32 exec_lo, exec_lo, s0
	s_and_saveexec_b32 s0, vcc_lo
	s_cbranch_execnz .LBB157_115
.LBB157_78:
	s_or_b32 exec_lo, exec_lo, s0
	s_and_saveexec_b32 s0, vcc_lo
	s_cbranch_execnz .LBB157_116
.LBB157_79:
	s_or_b32 exec_lo, exec_lo, s0
	s_and_saveexec_b32 s0, vcc_lo
	s_cbranch_execnz .LBB157_117
.LBB157_80:
	s_or_b32 exec_lo, exec_lo, s0
	s_and_saveexec_b32 s0, vcc_lo
	s_cbranch_execnz .LBB157_118
.LBB157_81:
	s_or_b32 exec_lo, exec_lo, s0
	s_and_saveexec_b32 s0, vcc_lo
	s_cbranch_execz .LBB157_83
.LBB157_82:
	ds_load_b32 v16, v14 offset:416
	s_wait_dscnt 0x0
	v_add_f32_e32 v13, v13, v16
.LBB157_83:
	s_or_b32 exec_lo, exec_lo, s0
.LBB157_84:
	s_delay_alu instid0(SALU_CYCLE_1) | instskip(SKIP_4) | instid1(VALU_DEP_1)
	s_or_b32 exec_lo, exec_lo, s1
	v_and_b32_e32 v16, 0x3e3, v99
	s_mov_b32 s1, exec_lo
	s_barrier_signal -1
	s_barrier_wait -1
	v_cmpx_eq_u32_e32 32, v16
	s_cbranch_execz .LBB157_86
; %bb.85:
	ds_store_2addr_b32 v15, v10, v11 offset1:8
	ds_store_2addr_b32 v15, v8, v9 offset0:16 offset1:24
	ds_store_2addr_b32 v15, v6, v7 offset0:32 offset1:40
	;; [unrolled: 1-line block ×6, first 2 shown]
.LBB157_86:
	s_or_b32 exec_lo, exec_lo, s1
	s_delay_alu instid0(SALU_CYCLE_1)
	s_mov_b32 s1, exec_lo
	s_wait_dscnt 0x0
	s_barrier_signal -1
	s_barrier_wait -1
	v_cmpx_gt_u32_e32 32, v99
	s_cbranch_execz .LBB157_103
; %bb.87:
	s_and_saveexec_b32 s0, vcc_lo
	s_cbranch_execnz .LBB157_119
; %bb.88:
	s_or_b32 exec_lo, exec_lo, s0
	s_and_saveexec_b32 s0, vcc_lo
	s_cbranch_execnz .LBB157_120
.LBB157_89:
	s_or_b32 exec_lo, exec_lo, s0
	s_and_saveexec_b32 s0, vcc_lo
	s_cbranch_execnz .LBB157_121
.LBB157_90:
	s_or_b32 exec_lo, exec_lo, s0
	s_and_saveexec_b32 s0, vcc_lo
	s_cbranch_execnz .LBB157_122
.LBB157_91:
	s_or_b32 exec_lo, exec_lo, s0
	s_and_saveexec_b32 s0, vcc_lo
	s_cbranch_execnz .LBB157_123
.LBB157_92:
	s_or_b32 exec_lo, exec_lo, s0
	s_and_saveexec_b32 s0, vcc_lo
	s_cbranch_execnz .LBB157_124
.LBB157_93:
	s_or_b32 exec_lo, exec_lo, s0
	s_and_saveexec_b32 s0, vcc_lo
	s_cbranch_execnz .LBB157_125
.LBB157_94:
	s_or_b32 exec_lo, exec_lo, s0
	s_and_saveexec_b32 s0, vcc_lo
	s_cbranch_execnz .LBB157_126
.LBB157_95:
	s_or_b32 exec_lo, exec_lo, s0
	s_and_saveexec_b32 s0, vcc_lo
	s_cbranch_execnz .LBB157_127
.LBB157_96:
	s_or_b32 exec_lo, exec_lo, s0
	s_and_saveexec_b32 s0, vcc_lo
	s_cbranch_execnz .LBB157_128
.LBB157_97:
	s_or_b32 exec_lo, exec_lo, s0
	s_and_saveexec_b32 s0, vcc_lo
	s_cbranch_execnz .LBB157_129
.LBB157_98:
	s_or_b32 exec_lo, exec_lo, s0
	s_and_saveexec_b32 s0, vcc_lo
	s_cbranch_execnz .LBB157_130
.LBB157_99:
	s_or_b32 exec_lo, exec_lo, s0
	s_and_saveexec_b32 s0, vcc_lo
	s_cbranch_execnz .LBB157_131
.LBB157_100:
	s_or_b32 exec_lo, exec_lo, s0
	s_and_saveexec_b32 s0, vcc_lo
	s_cbranch_execz .LBB157_102
.LBB157_101:
	ds_load_b32 v14, v14 offset:416
	s_wait_dscnt 0x0
	v_add_f32_e32 v13, v13, v14
.LBB157_102:
	s_or_b32 exec_lo, exec_lo, s0
.LBB157_103:
	s_delay_alu instid0(SALU_CYCLE_1)
	s_or_b32 exec_lo, exec_lo, s1
	s_mov_b32 s1, 0
	s_barrier_signal -1
	s_barrier_wait -1
	s_mov_b32 s0, exec_lo
	v_cmpx_eq_u32_e32 0, v16
	s_cbranch_execz .LBB157_105
; %bb.104:
	s_mul_i32 s0, s20, s4
	s_mul_i32 s2, s4, s8
	s_mul_i32 s0, s0, s19
	s_lshr_b32 s8, ttmp7, 16
	s_mul_i32 s4, s0, 0x70
	s_bfe_u32 s0, ttmp6, 0x40014
	s_ashr_i32 s5, s4, 31
	s_add_co_i32 s0, s0, 1
	s_ashr_i32 s3, s2, 31
	s_mul_i32 s0, s8, s0
	s_bfe_u32 s9, ttmp6, 0x40008
	s_lshl_b64 s[4:5], s[4:5], 1
	s_lshl_b64 s[2:3], s[2:3], 1
	s_add_co_i32 s9, s9, s0
	s_cmp_eq_u32 s18, 0
	s_wait_kmcnt 0x0
	s_add_nc_u64 s[4:5], s[6:7], s[4:5]
	s_cselect_b32 s0, s8, s9
	s_add_nc_u64 s[2:3], s[4:5], s[2:3]
	s_mulk_i32 s0, 0xe0
	v_lshrrev_b32_e32 v14, 1, v99
	s_add_nc_u64 s[0:1], s[2:3], s[0:1]
	s_delay_alu instid0(SALU_CYCLE_1)
	v_cvt_pk_bf16_f32 v10, v10, s0
	v_cvt_pk_bf16_f32 v11, v11, s0
	;; [unrolled: 1-line block ×12, first 2 shown]
	s_clause 0x7
	global_store_b16 v14, v10, s[0:1]
	global_store_b16 v14, v11, s[0:1] offset:16
	global_store_b16 v14, v8, s[0:1] offset:32
	;; [unrolled: 1-line block ×7, first 2 shown]
	s_wait_xcnt 0x1
	v_cvt_pk_bf16_f32 v4, v12, s0
	s_wait_xcnt 0x0
	v_cvt_pk_bf16_f32 v5, v13, s0
	s_clause 0x5
	global_store_b16 v14, v2, s[0:1] offset:128
	global_store_b16 v14, v3, s[0:1] offset:144
	;; [unrolled: 1-line block ×6, first 2 shown]
.LBB157_105:
	s_sendmsg sendmsg(MSG_DEALLOC_VGPRS)
	s_endpgm
.LBB157_106:
	ds_load_b32 v16, v14
	s_wait_dscnt 0x0
	v_add_f32_e32 v10, v10, v16
	s_or_b32 exec_lo, exec_lo, s0
	s_and_saveexec_b32 s0, vcc_lo
	s_cbranch_execz .LBB157_70
.LBB157_107:
	ds_load_b32 v16, v14 offset:32
	s_wait_dscnt 0x0
	v_add_f32_e32 v11, v11, v16
	s_or_b32 exec_lo, exec_lo, s0
	s_and_saveexec_b32 s0, vcc_lo
	s_cbranch_execz .LBB157_71
.LBB157_108:
	ds_load_b32 v16, v14 offset:64
	s_wait_dscnt 0x0
	v_add_f32_e32 v8, v8, v16
	s_or_b32 exec_lo, exec_lo, s0
	s_and_saveexec_b32 s0, vcc_lo
	s_cbranch_execz .LBB157_72
.LBB157_109:
	ds_load_b32 v16, v14 offset:96
	s_wait_dscnt 0x0
	v_add_f32_e32 v9, v9, v16
	s_or_b32 exec_lo, exec_lo, s0
	s_and_saveexec_b32 s0, vcc_lo
	s_cbranch_execz .LBB157_73
.LBB157_110:
	ds_load_b32 v16, v14 offset:128
	s_wait_dscnt 0x0
	v_add_f32_e32 v6, v6, v16
	s_or_b32 exec_lo, exec_lo, s0
	s_and_saveexec_b32 s0, vcc_lo
	s_cbranch_execz .LBB157_74
.LBB157_111:
	ds_load_b32 v16, v14 offset:160
	s_wait_dscnt 0x0
	v_add_f32_e32 v7, v7, v16
	s_or_b32 exec_lo, exec_lo, s0
	s_and_saveexec_b32 s0, vcc_lo
	s_cbranch_execz .LBB157_75
.LBB157_112:
	ds_load_b32 v16, v14 offset:192
	s_wait_dscnt 0x0
	v_add_f32_e32 v4, v4, v16
	s_or_b32 exec_lo, exec_lo, s0
	s_and_saveexec_b32 s0, vcc_lo
	s_cbranch_execz .LBB157_76
.LBB157_113:
	ds_load_b32 v16, v14 offset:224
	s_wait_dscnt 0x0
	v_add_f32_e32 v5, v5, v16
	s_or_b32 exec_lo, exec_lo, s0
	s_and_saveexec_b32 s0, vcc_lo
	s_cbranch_execz .LBB157_77
.LBB157_114:
	ds_load_b32 v16, v14 offset:256
	s_wait_dscnt 0x0
	v_add_f32_e32 v2, v2, v16
	s_or_b32 exec_lo, exec_lo, s0
	s_and_saveexec_b32 s0, vcc_lo
	s_cbranch_execz .LBB157_78
.LBB157_115:
	ds_load_b32 v16, v14 offset:288
	s_wait_dscnt 0x0
	v_add_f32_e32 v3, v3, v16
	s_or_b32 exec_lo, exec_lo, s0
	s_and_saveexec_b32 s0, vcc_lo
	s_cbranch_execz .LBB157_79
.LBB157_116:
	ds_load_b32 v16, v14 offset:320
	s_wait_dscnt 0x0
	v_add_f32_e32 v0, v0, v16
	s_or_b32 exec_lo, exec_lo, s0
	s_and_saveexec_b32 s0, vcc_lo
	s_cbranch_execz .LBB157_80
.LBB157_117:
	ds_load_b32 v16, v14 offset:352
	s_wait_dscnt 0x0
	v_add_f32_e32 v1, v1, v16
	s_or_b32 exec_lo, exec_lo, s0
	s_and_saveexec_b32 s0, vcc_lo
	s_cbranch_execz .LBB157_81
.LBB157_118:
	ds_load_b32 v16, v14 offset:384
	s_wait_dscnt 0x0
	v_add_f32_e32 v12, v12, v16
	s_or_b32 exec_lo, exec_lo, s0
	s_and_saveexec_b32 s0, vcc_lo
	s_cbranch_execnz .LBB157_82
	s_branch .LBB157_83
.LBB157_119:
	ds_load_b32 v15, v14
	s_wait_dscnt 0x0
	v_add_f32_e32 v10, v10, v15
	s_or_b32 exec_lo, exec_lo, s0
	s_and_saveexec_b32 s0, vcc_lo
	s_cbranch_execz .LBB157_89
.LBB157_120:
	ds_load_b32 v15, v14 offset:32
	s_wait_dscnt 0x0
	v_add_f32_e32 v11, v11, v15
	s_or_b32 exec_lo, exec_lo, s0
	s_and_saveexec_b32 s0, vcc_lo
	s_cbranch_execz .LBB157_90
.LBB157_121:
	ds_load_b32 v15, v14 offset:64
	s_wait_dscnt 0x0
	v_add_f32_e32 v8, v8, v15
	s_or_b32 exec_lo, exec_lo, s0
	s_and_saveexec_b32 s0, vcc_lo
	s_cbranch_execz .LBB157_91
.LBB157_122:
	ds_load_b32 v15, v14 offset:96
	s_wait_dscnt 0x0
	v_add_f32_e32 v9, v9, v15
	s_or_b32 exec_lo, exec_lo, s0
	s_and_saveexec_b32 s0, vcc_lo
	s_cbranch_execz .LBB157_92
.LBB157_123:
	ds_load_b32 v15, v14 offset:128
	s_wait_dscnt 0x0
	v_add_f32_e32 v6, v6, v15
	s_or_b32 exec_lo, exec_lo, s0
	s_and_saveexec_b32 s0, vcc_lo
	s_cbranch_execz .LBB157_93
.LBB157_124:
	ds_load_b32 v15, v14 offset:160
	s_wait_dscnt 0x0
	v_add_f32_e32 v7, v7, v15
	s_or_b32 exec_lo, exec_lo, s0
	s_and_saveexec_b32 s0, vcc_lo
	s_cbranch_execz .LBB157_94
.LBB157_125:
	ds_load_b32 v15, v14 offset:192
	s_wait_dscnt 0x0
	v_add_f32_e32 v4, v4, v15
	s_or_b32 exec_lo, exec_lo, s0
	s_and_saveexec_b32 s0, vcc_lo
	s_cbranch_execz .LBB157_95
.LBB157_126:
	ds_load_b32 v15, v14 offset:224
	s_wait_dscnt 0x0
	v_add_f32_e32 v5, v5, v15
	s_or_b32 exec_lo, exec_lo, s0
	s_and_saveexec_b32 s0, vcc_lo
	s_cbranch_execz .LBB157_96
.LBB157_127:
	ds_load_b32 v15, v14 offset:256
	s_wait_dscnt 0x0
	v_add_f32_e32 v2, v2, v15
	s_or_b32 exec_lo, exec_lo, s0
	s_and_saveexec_b32 s0, vcc_lo
	s_cbranch_execz .LBB157_97
.LBB157_128:
	ds_load_b32 v15, v14 offset:288
	s_wait_dscnt 0x0
	v_add_f32_e32 v3, v3, v15
	s_or_b32 exec_lo, exec_lo, s0
	s_and_saveexec_b32 s0, vcc_lo
	s_cbranch_execz .LBB157_98
.LBB157_129:
	ds_load_b32 v15, v14 offset:320
	s_wait_dscnt 0x0
	v_add_f32_e32 v0, v0, v15
	s_or_b32 exec_lo, exec_lo, s0
	s_and_saveexec_b32 s0, vcc_lo
	s_cbranch_execz .LBB157_99
.LBB157_130:
	ds_load_b32 v15, v14 offset:352
	s_wait_dscnt 0x0
	v_add_f32_e32 v1, v1, v15
	s_or_b32 exec_lo, exec_lo, s0
	s_and_saveexec_b32 s0, vcc_lo
	s_cbranch_execz .LBB157_100
.LBB157_131:
	ds_load_b32 v15, v14 offset:384
	s_wait_dscnt 0x0
	v_add_f32_e32 v12, v12, v15
	s_or_b32 exec_lo, exec_lo, s0
	s_and_saveexec_b32 s0, vcc_lo
	s_cbranch_execnz .LBB157_101
	s_branch .LBB157_102
	.section	.rodata,"a",@progbits
	.p2align	6, 0x0
	.amdhsa_kernel _ZN4vllm25paged_attention_v1_kernelI14__hip_bfloat16S1_Li112ELi32ELi128ELNS_18Fp8KVCacheDataTypeE0ELb0EEEvPT_PKS3_PKT0_S9_ifPKiSB_iPKfiiiSD_SD_iiiii
		.amdhsa_group_segment_fixed_size 256
		.amdhsa_private_segment_fixed_size 264
		.amdhsa_kernarg_size 384
		.amdhsa_user_sgpr_count 2
		.amdhsa_user_sgpr_dispatch_ptr 0
		.amdhsa_user_sgpr_queue_ptr 0
		.amdhsa_user_sgpr_kernarg_segment_ptr 1
		.amdhsa_user_sgpr_dispatch_id 0
		.amdhsa_user_sgpr_kernarg_preload_length 0
		.amdhsa_user_sgpr_kernarg_preload_offset 0
		.amdhsa_user_sgpr_private_segment_size 0
		.amdhsa_wavefront_size32 1
		.amdhsa_uses_dynamic_stack 0
		.amdhsa_enable_private_segment 1
		.amdhsa_system_sgpr_workgroup_id_x 1
		.amdhsa_system_sgpr_workgroup_id_y 1
		.amdhsa_system_sgpr_workgroup_id_z 1
		.amdhsa_system_sgpr_workgroup_info 0
		.amdhsa_system_vgpr_workitem_id 0
		.amdhsa_next_free_vgpr 128
		.amdhsa_next_free_sgpr 28
		.amdhsa_named_barrier_count 0
		.amdhsa_reserve_vcc 1
		.amdhsa_float_round_mode_32 0
		.amdhsa_float_round_mode_16_64 0
		.amdhsa_float_denorm_mode_32 3
		.amdhsa_float_denorm_mode_16_64 3
		.amdhsa_fp16_overflow 0
		.amdhsa_memory_ordered 1
		.amdhsa_forward_progress 1
		.amdhsa_inst_pref_size 112
		.amdhsa_round_robin_scheduling 0
		.amdhsa_exception_fp_ieee_invalid_op 0
		.amdhsa_exception_fp_denorm_src 0
		.amdhsa_exception_fp_ieee_div_zero 0
		.amdhsa_exception_fp_ieee_overflow 0
		.amdhsa_exception_fp_ieee_underflow 0
		.amdhsa_exception_fp_ieee_inexact 0
		.amdhsa_exception_int_div_zero 0
	.end_amdhsa_kernel
	.section	.text._ZN4vllm25paged_attention_v1_kernelI14__hip_bfloat16S1_Li112ELi32ELi128ELNS_18Fp8KVCacheDataTypeE0ELb0EEEvPT_PKS3_PKT0_S9_ifPKiSB_iPKfiiiSD_SD_iiiii,"axG",@progbits,_ZN4vllm25paged_attention_v1_kernelI14__hip_bfloat16S1_Li112ELi32ELi128ELNS_18Fp8KVCacheDataTypeE0ELb0EEEvPT_PKS3_PKT0_S9_ifPKiSB_iPKfiiiSD_SD_iiiii,comdat
.Lfunc_end157:
	.size	_ZN4vllm25paged_attention_v1_kernelI14__hip_bfloat16S1_Li112ELi32ELi128ELNS_18Fp8KVCacheDataTypeE0ELb0EEEvPT_PKS3_PKT0_S9_ifPKiSB_iPKfiiiSD_SD_iiiii, .Lfunc_end157-_ZN4vllm25paged_attention_v1_kernelI14__hip_bfloat16S1_Li112ELi32ELi128ELNS_18Fp8KVCacheDataTypeE0ELb0EEEvPT_PKS3_PKT0_S9_ifPKiSB_iPKfiiiSD_SD_iiiii
                                        ; -- End function
	.set _ZN4vllm25paged_attention_v1_kernelI14__hip_bfloat16S1_Li112ELi32ELi128ELNS_18Fp8KVCacheDataTypeE0ELb0EEEvPT_PKS3_PKT0_S9_ifPKiSB_iPKfiiiSD_SD_iiiii.num_vgpr, 128
	.set _ZN4vllm25paged_attention_v1_kernelI14__hip_bfloat16S1_Li112ELi32ELi128ELNS_18Fp8KVCacheDataTypeE0ELb0EEEvPT_PKS3_PKT0_S9_ifPKiSB_iPKfiiiSD_SD_iiiii.num_agpr, 0
	.set _ZN4vllm25paged_attention_v1_kernelI14__hip_bfloat16S1_Li112ELi32ELi128ELNS_18Fp8KVCacheDataTypeE0ELb0EEEvPT_PKS3_PKT0_S9_ifPKiSB_iPKfiiiSD_SD_iiiii.numbered_sgpr, 28
	.set _ZN4vllm25paged_attention_v1_kernelI14__hip_bfloat16S1_Li112ELi32ELi128ELNS_18Fp8KVCacheDataTypeE0ELb0EEEvPT_PKS3_PKT0_S9_ifPKiSB_iPKfiiiSD_SD_iiiii.num_named_barrier, 0
	.set _ZN4vllm25paged_attention_v1_kernelI14__hip_bfloat16S1_Li112ELi32ELi128ELNS_18Fp8KVCacheDataTypeE0ELb0EEEvPT_PKS3_PKT0_S9_ifPKiSB_iPKfiiiSD_SD_iiiii.private_seg_size, 264
	.set _ZN4vllm25paged_attention_v1_kernelI14__hip_bfloat16S1_Li112ELi32ELi128ELNS_18Fp8KVCacheDataTypeE0ELb0EEEvPT_PKS3_PKT0_S9_ifPKiSB_iPKfiiiSD_SD_iiiii.uses_vcc, 1
	.set _ZN4vllm25paged_attention_v1_kernelI14__hip_bfloat16S1_Li112ELi32ELi128ELNS_18Fp8KVCacheDataTypeE0ELb0EEEvPT_PKS3_PKT0_S9_ifPKiSB_iPKfiiiSD_SD_iiiii.uses_flat_scratch, 1
	.set _ZN4vllm25paged_attention_v1_kernelI14__hip_bfloat16S1_Li112ELi32ELi128ELNS_18Fp8KVCacheDataTypeE0ELb0EEEvPT_PKS3_PKT0_S9_ifPKiSB_iPKfiiiSD_SD_iiiii.has_dyn_sized_stack, 0
	.set _ZN4vllm25paged_attention_v1_kernelI14__hip_bfloat16S1_Li112ELi32ELi128ELNS_18Fp8KVCacheDataTypeE0ELb0EEEvPT_PKS3_PKT0_S9_ifPKiSB_iPKfiiiSD_SD_iiiii.has_recursion, 0
	.set _ZN4vllm25paged_attention_v1_kernelI14__hip_bfloat16S1_Li112ELi32ELi128ELNS_18Fp8KVCacheDataTypeE0ELb0EEEvPT_PKS3_PKT0_S9_ifPKiSB_iPKfiiiSD_SD_iiiii.has_indirect_call, 0
	.section	.AMDGPU.csdata,"",@progbits
; Kernel info:
; codeLenInByte = 14264
; TotalNumSgprs: 30
; NumVgprs: 128
; ScratchSize: 264
; MemoryBound: 0
; FloatMode: 240
; IeeeMode: 1
; LDSByteSize: 256 bytes/workgroup (compile time only)
; SGPRBlocks: 0
; VGPRBlocks: 7
; NumSGPRsForWavesPerEU: 30
; NumVGPRsForWavesPerEU: 128
; NamedBarCnt: 0
; Occupancy: 8
; WaveLimiterHint : 1
; COMPUTE_PGM_RSRC2:SCRATCH_EN: 1
; COMPUTE_PGM_RSRC2:USER_SGPR: 2
; COMPUTE_PGM_RSRC2:TRAP_HANDLER: 0
; COMPUTE_PGM_RSRC2:TGID_X_EN: 1
; COMPUTE_PGM_RSRC2:TGID_Y_EN: 1
; COMPUTE_PGM_RSRC2:TGID_Z_EN: 1
; COMPUTE_PGM_RSRC2:TIDIG_COMP_CNT: 0
	.section	.text._ZN4vllm25paged_attention_v1_kernelI14__hip_bfloat16S1_Li120ELi32ELi128ELNS_18Fp8KVCacheDataTypeE0ELb0EEEvPT_PKS3_PKT0_S9_ifPKiSB_iPKfiiiSD_SD_iiiii,"axG",@progbits,_ZN4vllm25paged_attention_v1_kernelI14__hip_bfloat16S1_Li120ELi32ELi128ELNS_18Fp8KVCacheDataTypeE0ELb0EEEvPT_PKS3_PKT0_S9_ifPKiSB_iPKfiiiSD_SD_iiiii,comdat
	.protected	_ZN4vllm25paged_attention_v1_kernelI14__hip_bfloat16S1_Li120ELi32ELi128ELNS_18Fp8KVCacheDataTypeE0ELb0EEEvPT_PKS3_PKT0_S9_ifPKiSB_iPKfiiiSD_SD_iiiii ; -- Begin function _ZN4vllm25paged_attention_v1_kernelI14__hip_bfloat16S1_Li120ELi32ELi128ELNS_18Fp8KVCacheDataTypeE0ELb0EEEvPT_PKS3_PKT0_S9_ifPKiSB_iPKfiiiSD_SD_iiiii
	.globl	_ZN4vllm25paged_attention_v1_kernelI14__hip_bfloat16S1_Li120ELi32ELi128ELNS_18Fp8KVCacheDataTypeE0ELb0EEEvPT_PKS3_PKT0_S9_ifPKiSB_iPKfiiiSD_SD_iiiii
	.p2align	8
	.type	_ZN4vllm25paged_attention_v1_kernelI14__hip_bfloat16S1_Li120ELi32ELi128ELNS_18Fp8KVCacheDataTypeE0ELb0EEEvPT_PKS3_PKT0_S9_ifPKiSB_iPKfiiiSD_SD_iiiii,@function
_ZN4vllm25paged_attention_v1_kernelI14__hip_bfloat16S1_Li120ELi32ELi128ELNS_18Fp8KVCacheDataTypeE0ELb0EEEvPT_PKS3_PKT0_S9_ifPKiSB_iPKfiiiSD_SD_iiiii: ; @_ZN4vllm25paged_attention_v1_kernelI14__hip_bfloat16S1_Li120ELi32ELi128ELNS_18Fp8KVCacheDataTypeE0ELb0EEEvPT_PKS3_PKT0_S9_ifPKiSB_iPKfiiiSD_SD_iiiii
; %bb.0:
	s_load_b64 s[6:7], s[0:1], 0x20
	s_bfe_u32 s3, ttmp6, 0x4000c
	s_bfe_u32 s5, ttmp6, 0x40010
	s_and_b32 s4, ttmp7, 0xffff
	s_add_co_i32 s3, s3, 1
	s_add_co_i32 s5, s5, 1
	s_and_b32 s2, ttmp6, 15
	s_bfe_u32 s8, ttmp6, 0x40004
	s_mul_i32 s3, ttmp9, s3
	s_mul_i32 s5, s4, s5
	s_getreg_b32 s18, hwreg(HW_REG_IB_STS2, 6, 4)
	s_add_co_i32 s2, s2, s3
	s_add_co_i32 s8, s8, s5
	s_cmp_eq_u32 s18, 0
	v_mov_b32_e32 v104, v0
	s_cselect_b32 s20, s4, s8
	s_cselect_b32 s8, ttmp9, s2
	s_clause 0x1
	s_load_b32 s19, s[0:1], 0x80
	s_load_b64 s[10:11], s[0:1], 0x30
	s_wait_kmcnt 0x0
	s_abs_i32 s2, s6
	s_delay_alu instid0(SALU_CYCLE_1) | instskip(SKIP_1) | instid1(SALU_CYCLE_2)
	s_cvt_f32_u32 s3, s2
	s_sub_co_i32 s4, 0, s2
	v_rcp_iflag_f32_e32 v0, s3
	v_nop
	s_delay_alu instid0(TRANS32_DEP_1) | instskip(SKIP_2) | instid1(SALU_CYCLE_3)
	v_readfirstlane_b32 s3, v0
	s_abs_i32 s5, s19
	s_mul_f32 s3, s3, 0x4f7ffffe
	s_cvt_u32_f32 s3, s3
	s_delay_alu instid0(SALU_CYCLE_3) | instskip(NEXT) | instid1(SALU_CYCLE_1)
	s_mul_i32 s4, s4, s3
	s_mul_hi_u32 s4, s3, s4
	s_delay_alu instid0(SALU_CYCLE_1) | instskip(SKIP_4) | instid1(SALU_CYCLE_1)
	s_add_co_i32 s3, s3, s4
	s_xor_b32 s4, s19, s6
	s_mul_hi_u32 s3, s5, s3
	s_ashr_i32 s4, s4, 31
	s_mul_i32 s6, s3, s2
	s_sub_co_i32 s5, s5, s6
	s_add_co_i32 s6, s3, 1
	s_sub_co_i32 s9, s5, s2
	s_cmp_ge_u32 s5, s2
	s_cselect_b32 s3, s6, s3
	s_cselect_b32 s5, s9, s5
	s_add_co_i32 s6, s3, 1
	s_cmp_ge_u32 s5, s2
	s_cselect_b32 s2, s6, s3
	s_mov_b32 s3, 0
	s_xor_b32 s2, s2, s4
	s_mov_b32 s13, s3
	s_sub_co_i32 s15, s2, s4
	s_load_b64 s[4:5], s[0:1], 0x40
	s_abs_i32 s14, s15
	s_mov_b32 s22, s3
	s_cvt_f32_u32 s2, s14
	s_delay_alu instid0(SALU_CYCLE_3) | instskip(SKIP_1) | instid1(TRANS32_DEP_1)
	v_rcp_iflag_f32_e32 v0, s2
	v_nop
	v_readfirstlane_b32 s2, v0
	s_mul_f32 s2, s2, 0x4f7ffffe
	s_delay_alu instid0(SALU_CYCLE_3) | instskip(SKIP_1) | instid1(SALU_CYCLE_2)
	s_cvt_u32_f32 s6, s2
	s_sub_co_i32 s2, 0, s14
	s_mul_i32 s2, s2, s6
	s_delay_alu instid0(SALU_CYCLE_1)
	s_mul_hi_u32 s9, s6, s2
	s_abs_i32 s2, s8
	s_add_co_i32 s12, s6, s9
	s_wait_kmcnt 0x0
	s_cmp_eq_u64 s[4:5], 0
	s_cbranch_scc1 .LBB158_2
; %bb.1:
	s_ashr_i32 s9, s8, 31
	s_delay_alu instid0(SALU_CYCLE_1) | instskip(NEXT) | instid1(SALU_CYCLE_1)
	s_lshl_b64 s[16:17], s[8:9], 2
	s_add_nc_u64 s[4:5], s[4:5], s[16:17]
	s_load_b32 s22, s[4:5], 0x0
.LBB158_2:
	s_load_b32 s21, s[10:11], s20 offset:0x0 scale_offset
	s_wait_xcnt 0x0
	s_load_b96 s[4:6], s[0:1], 0x48
	v_lshlrev_b32_e32 v22, 4, v104
	s_ashr_i32 s10, s8, 31
	s_ashr_i32 s11, s15, 31
	s_mul_u64 s[12:13], s[2:3], s[12:13]
	s_mulk_i32 s8, 0x78
	s_mov_b32 s3, exec_lo
	v_cmpx_gt_u32_e32 15, v104
	s_cbranch_execz .LBB158_4
; %bb.3:
	s_load_b64 s[16:17], s[0:1], 0x8
	s_wait_kmcnt 0x0
	s_mul_i32 s24, s4, s20
	s_ashr_i32 s9, s8, 31
	s_ashr_i32 s25, s24, 31
	s_delay_alu instid0(SALU_CYCLE_1) | instskip(NEXT) | instid1(SALU_CYCLE_1)
	s_lshl_b64 s[24:25], s[24:25], 1
	s_add_nc_u64 s[16:17], s[16:17], s[24:25]
	s_lshl_b64 s[24:25], s[8:9], 1
	s_delay_alu instid0(SALU_CYCLE_1)
	s_add_nc_u64 s[16:17], s[16:17], s[24:25]
	global_load_b128 v[0:3], v104, s[16:17] scale_offset
	s_wait_loadcnt 0x0
	ds_store_b128 v22, v[0:3]
.LBB158_4:
	s_or_b32 exec_lo, exec_lo, s3
	s_wait_kmcnt 0x0
	s_add_co_i32 s3, s21, 31
	s_load_b32 s12, s[0:1], 0x38
	s_ashr_i32 s4, s3, 31
	s_mul_i32 s9, s13, s14
	s_lshr_b32 s4, s4, 27
	s_xor_b32 s15, s10, s11
	s_add_co_i32 s3, s3, s4
	s_clause 0x1
	s_load_b64 s[10:11], s[0:1], 0x28
	s_load_b32 s4, s[0:1], 0x88
	s_sub_co_i32 s2, s2, s9
	s_ashr_i32 s9, s3, 5
	s_add_co_i32 s3, s13, 1
	s_sub_co_i32 s16, s2, s14
	s_cmp_ge_u32 s2, s14
	v_dual_lshrrev_b32 v105, 5, v104 :: v_dual_bitop2_b32 v106, 31, v104 bitop3:0x40
	s_cselect_b32 s3, s3, s13
	s_cselect_b32 s2, s16, s2
	s_add_co_i32 s13, s3, 1
	s_cmp_ge_u32 s2, s14
	v_dual_mov_b32 v98, 0xff7fffff :: v_dual_lshlrev_b32 v25, 2, v106
	s_cselect_b32 s2, s13, s3
	v_lshrrev_b32_e32 v24, 3, v104
	s_xor_b32 s2, s2, s15
	s_wait_kmcnt 0x0
	s_mul_i32 s12, s12, s20
	s_sub_co_i32 s3, s2, s15
	v_cmp_gt_i32_e64 s2, s9, v105
	s_ashr_i32 s13, s12, 31
	s_mul_i32 s14, s3, s6
	s_wait_dscnt 0x0
	s_barrier_signal -1
	s_barrier_wait -1
	s_and_saveexec_b32 s6, s2
	s_cbranch_execz .LBB158_8
; %bb.5:
	v_mov_b32_e32 v15, 0
	s_clause 0x1
	scratch_store_b32 off, v22, off offset:280
	scratch_store_b32 off, v104, off offset:272
	s_load_b64 s[24:25], s[0:1], 0x10
	s_ashr_i32 s15, s14, 31
	s_ashr_i32 s17, s5, 31
	ds_load_b128 v[6:9], v15
	ds_load_b128 v[16:19], v15 offset:16
	ds_load_b128 v[20:23], v15 offset:32
	;; [unrolled: 1-line block ×4, first 2 shown]
	s_lshl_b64 s[26:27], s[14:15], 1
	s_cmp_neq_f32 s22, 0
	v_lshl_or_b32 v100, v105, 5, v106
	v_dual_mov_b32 v98, 0xff7fffff :: v_dual_mov_b32 v103, v105
	s_cselect_b32 vcc_lo, -1, 0
	v_mov_b32_e32 v101, v105
	s_mov_b32 s16, s5
	s_mov_b32 s15, 0
	s_sub_co_i32 s23, 1, s21
	s_clause 0x2
	scratch_store_b32 off, v106, off offset:276
	scratch_store_b32 off, v24, off offset:284
	;; [unrolled: 1-line block ×3, first 2 shown]
	v_lshlrev_b32_e32 v14, 4, v106
	s_wait_dscnt 0x4
	v_and_b32_e32 v1, 0xffff0000, v6
	v_lshlrev_b32_e32 v0, 16, v6
	s_wait_kmcnt 0x0
	s_add_nc_u64 s[24:25], s[24:25], s[26:27]
	s_lshl_b64 s[26:27], s[12:13], 2
	v_add_nc_u64_e32 v[74:75], s[24:25], v[14:15]
	v_and_b32_e32 v14, 0x7c, v24
	scratch_store_b64 off, v[0:1], off      ; 8-byte Folded Spill
	s_wait_dscnt 0x3
	s_wait_xcnt 0x0
	v_and_b32_e32 v1, 0xffff0000, v16
	s_wait_dscnt 0x1
	v_dual_lshlrev_b32 v0, 16, v16 :: v_dual_lshlrev_b32 v16, 16, v5
	s_add_nc_u64 s[24:25], s[10:11], s[26:27]
	s_delay_alu instid0(SALU_CYCLE_1)
	v_add_nc_u64_e32 v[76:77], s[24:25], v[14:15]
	scratch_store_b64 off, v[0:1], off offset:8 ; 8-byte Folded Spill
	s_wait_xcnt 0x0
	v_and_b32_e32 v1, 0xffff0000, v7
	v_lshlrev_b32_e32 v0, 16, v7
	scratch_store_b64 off, v[0:1], off offset:16 ; 8-byte Folded Spill
	s_wait_xcnt 0x0
	v_and_b32_e32 v1, 0xffff0000, v17
	v_lshlrev_b32_e32 v0, 16, v17
	v_and_b32_e32 v17, 0xffff0000, v5
	s_wait_dscnt 0x0
	v_and_b32_e32 v5, 0xffff0000, v10
	scratch_store_b64 off, v[0:1], off offset:24 ; 8-byte Folded Spill
	s_wait_xcnt 0x0
	v_and_b32_e32 v1, 0xffff0000, v8
	v_lshlrev_b32_e32 v0, 16, v8
	scratch_store_b64 off, v[0:1], off offset:32 ; 8-byte Folded Spill
	s_wait_xcnt 0x0
	v_and_b32_e32 v1, 0xffff0000, v18
	v_lshlrev_b32_e32 v0, 16, v18
	;; [unrolled: 4-line block ×3, first 2 shown]
	ds_load_b128 v[6:9], v15 offset:80
	scratch_store_b64 off, v[0:1], off offset:48 ; 8-byte Folded Spill
	s_wait_xcnt 0x0
	v_and_b32_e32 v1, 0xffff0000, v19
	v_lshlrev_b32_e32 v0, 16, v19
	scratch_store_b64 off, v[0:1], off offset:56 ; 8-byte Folded Spill
	s_wait_xcnt 0x0
	v_and_b32_e32 v1, 0xffff0000, v20
	v_lshlrev_b32_e32 v0, 16, v20
	;; [unrolled: 4-line block ×7, first 2 shown]
	scratch_store_b64 off, v[0:1], off offset:104 ; 8-byte Folded Spill
	s_wait_xcnt 0x0
	v_and_b32_e32 v1, 0xffff0000, v4
	v_dual_lshlrev_b32 v0, 16, v4 :: v_dual_lshlrev_b32 v4, 16, v10
	s_clause 0x1
	scratch_store_b64 off, v[0:1], off offset:112
	scratch_store_b64 off, v[4:5], off offset:128
	s_wait_xcnt 0x0
	v_and_b32_e32 v5, 0xffff0000, v11
	v_lshlrev_b32_e32 v4, 16, v11
	ds_load_b128 v[0:3], v15 offset:96
	scratch_store_b64 off, v[16:17], off offset:120 ; 8-byte Folded Spill
	s_wait_dscnt 0x1
	v_and_b32_e32 v11, 0xffff0000, v9
	v_lshlrev_b32_e32 v10, 16, v9
	scratch_store_b64 off, v[4:5], off offset:136 ; 8-byte Folded Spill
	s_wait_xcnt 0x0
	v_and_b32_e32 v5, 0xffff0000, v12
	v_lshlrev_b32_e32 v4, 16, v12
	ds_load_b128 v[16:19], v15 offset:112
	s_clause 0x1
	scratch_store_b64 off, v[10:11], off offset:184
	scratch_store_b64 off, v[4:5], off offset:144
	s_wait_xcnt 0x0
	v_and_b32_e32 v5, 0xffff0000, v13
	v_lshlrev_b32_e32 v4, 16, v13
	scratch_store_b64 off, v[4:5], off offset:152 ; 8-byte Folded Spill
	s_wait_xcnt 0x0
	v_and_b32_e32 v5, 0xffff0000, v6
	v_lshlrev_b32_e32 v4, 16, v6
	s_wait_dscnt 0x1
	v_and_b32_e32 v9, 0xffff0000, v0
	scratch_store_b64 off, v[4:5], off offset:160 ; 8-byte Folded Spill
	s_wait_xcnt 0x0
	v_and_b32_e32 v5, 0xffff0000, v7
	v_lshlrev_b32_e32 v4, 16, v7
	scratch_store_b64 off, v[4:5], off offset:168 ; 8-byte Folded Spill
	s_wait_xcnt 0x0
	v_and_b32_e32 v5, 0xffff0000, v8
	v_lshlrev_b32_e32 v4, 16, v8
	v_dual_lshlrev_b32 v8, 16, v0 :: v_dual_lshlrev_b32 v0, 16, v2
	scratch_store_b64 off, v[4:5], off offset:176 ; 8-byte Folded Spill
	s_wait_xcnt 0x0
	ds_load_b128 v[4:7], v15 offset:128
	s_wait_dscnt 0x1
	v_and_b32_e32 v13, 0xffff0000, v19
	v_lshlrev_b32_e32 v12, 16, v19
	scratch_store_b64 off, v[8:9], off offset:192 ; 8-byte Folded Spill
	s_wait_xcnt 0x0
	v_and_b32_e32 v9, 0xffff0000, v1
	v_lshlrev_b32_e32 v8, 16, v1
	v_and_b32_e32 v1, 0xffff0000, v2
	s_clause 0x1
	scratch_store_b64 off, v[12:13], off offset:248
	scratch_store_b64 off, v[8:9], off offset:200
	s_wait_xcnt 0x0
	ds_load_b128 v[8:11], v15 offset:144
	s_wait_dscnt 0x1
	v_and_b32_e32 v13, 0xffff0000, v4
	v_lshlrev_b32_e32 v12, 16, v4
	scratch_store_b64 off, v[0:1], off offset:208 ; 8-byte Folded Spill
	s_wait_xcnt 0x0
	v_and_b32_e32 v1, 0xffff0000, v3
	v_lshlrev_b32_e32 v0, 16, v3
	v_lshlrev_b32_e32 v112, 16, v7
	scratch_store_b64 off, v[12:13], off offset:256 ; 8-byte Folded Spill
	s_wait_xcnt 0x0
	v_and_b32_e32 v13, 0xffff0000, v5
	v_lshlrev_b32_e32 v12, 16, v5
	scratch_store_b64 off, v[0:1], off offset:216 ; 8-byte Folded Spill
	s_wait_xcnt 0x0
	v_and_b32_e32 v1, 0xffff0000, v16
	v_lshlrev_b32_e32 v0, 16, v16
	v_and_b32_e32 v111, 0xffff0000, v6
	v_lshlrev_b32_e32 v110, 16, v6
	v_and_b32_e32 v113, 0xffff0000, v7
	ds_load_b128 v[4:7], v15 offset:192
	scratch_store_b64 off, v[0:1], off offset:224 ; 8-byte Folded Spill
	s_wait_xcnt 0x0
	v_and_b32_e32 v1, 0xffff0000, v17
	v_lshlrev_b32_e32 v0, 16, v17
	s_clause 0x1
	scratch_store_b64 off, v[12:13], off offset:264
	scratch_store_b64 off, v[0:1], off offset:232
	s_wait_xcnt 0x0
	v_and_b32_e32 v1, 0xffff0000, v18
	v_lshlrev_b32_e32 v0, 16, v18
	ds_load_b128 v[16:19], v15 offset:176
	scratch_store_b64 off, v[0:1], off offset:240 ; 8-byte Folded Spill
	s_wait_xcnt 0x0
	ds_load_b128 v[0:3], v15 offset:160
	s_wait_dscnt 0x3
	v_and_b32_e32 v115, 0xffff0000, v8
	v_lshlrev_b32_e32 v114, 16, v8
	v_and_b32_e32 v117, 0xffff0000, v9
	v_lshlrev_b32_e32 v116, 16, v9
	;; [unrolled: 2-line block ×4, first 2 shown]
	ds_load_b128 v[8:11], v15 offset:208
	s_wait_dscnt 0x3
	v_and_b32_e32 v51, 0xffff0000, v4
	v_lshlrev_b32_e32 v50, 16, v4
	v_and_b32_e32 v53, 0xffff0000, v5
	v_dual_lshlrev_b32 v52, 16, v5 :: v_dual_lshlrev_b32 v54, 16, v6
	s_wait_dscnt 0x2
	v_lshlrev_b32_e32 v48, 16, v19
	v_and_b32_e32 v45, 0xffff0000, v17
	v_dual_lshlrev_b32 v44, 16, v17 :: v_dual_lshlrev_b32 v46, 16, v18
	v_and_b32_e32 v47, 0xffff0000, v18
	s_wait_dscnt 0x1
	v_dual_lshlrev_b32 v124, 16, v1 :: v_dual_lshlrev_b32 v126, 16, v2
	v_and_b32_e32 v127, 0xffff0000, v2
	v_and_b32_e32 v43, 0xffff0000, v3
	v_lshlrev_b32_e32 v42, 16, v3
	ds_load_b128 v[2:5], v15 offset:224
	v_and_b32_e32 v123, 0xffff0000, v0
	v_lshlrev_b32_e32 v122, 16, v0
	v_and_b32_e32 v125, 0xffff0000, v1
	s_wait_dscnt 0x1
	v_lshlrev_b32_e32 v64, 16, v11
	v_and_b32_e32 v1, 0xffff0000, v16
	v_lshlrev_b32_e32 v0, 16, v16
	v_and_b32_e32 v49, 0xffff0000, v19
	v_and_b32_e32 v55, 0xffff0000, v6
	;; [unrolled: 1-line block ×3, first 2 shown]
	v_dual_lshlrev_b32 v56, 16, v7 :: v_dual_lshlrev_b32 v58, 16, v8
	v_and_b32_e32 v59, 0xffff0000, v8
	v_and_b32_e32 v61, 0xffff0000, v9
	v_dual_lshlrev_b32 v60, 16, v9 :: v_dual_lshlrev_b32 v62, 16, v10
	v_and_b32_e32 v63, 0xffff0000, v10
	v_and_b32_e32 v65, 0xffff0000, v11
	s_wait_dscnt 0x0
	v_lshlrev_b32_e32 v72, 16, v5
	v_and_b32_e32 v67, 0xffff0000, v2
	v_lshlrev_b32_e32 v66, 16, v2
	v_lshl_or_b32 v2, v105, 7, v25
	v_and_b32_e32 v69, 0xffff0000, v3
	v_dual_lshlrev_b32 v68, 16, v3 :: v_dual_lshlrev_b32 v70, 16, v4
	v_and_b32_e32 v71, 0xffff0000, v4
	v_and_b32_e32 v73, 0xffff0000, v5
	v_add_nc_u32_e32 v99, 0x110, v2
.LBB158_6:                              ; =>This Inner Loop Header: Depth=1
	global_load_b32 v2, v[76:77], off
	v_cmp_gt_i32_e64 s3, s21, v100
	s_wait_xcnt 0x0
	v_add_nc_u64_e32 v[76:77], 16, v[76:77]
	s_wait_loadcnt 0x0
	v_dual_add_nc_u32 v101, 4, v101 :: v_dual_ashrrev_i32 v3, 31, v2
	s_delay_alu instid0(VALU_DEP_1) | instskip(NEXT) | instid1(VALU_DEP_1)
	v_mul_u64_e32 v[2:3], s[16:17], v[2:3]
	v_lshl_add_u64 v[78:79], v[2:3], 1, v[74:75]
	v_add_nc_u32_e32 v2, s23, v100
	v_add_nc_u32_e32 v100, 0x80, v100
	s_delay_alu instid0(VALU_DEP_2) | instskip(NEXT) | instid1(VALU_DEP_1)
	v_cvt_f32_i32_e32 v2, v2
	v_mul_f32_e32 v2, s22, v2
	s_delay_alu instid0(VALU_DEP_1)
	v_cndmask_b32_e32 v102, 0, v2, vcc_lo
	s_clause 0x2
	global_load_b128 v[10:13], v[78:79], off
	global_load_b128 v[6:9], v[78:79], off offset:512
	global_load_b128 v[2:5], v[78:79], off offset:1024
	scratch_load_b64 v[18:19], off, off offset:8 ; 8-byte Folded Reload
	s_wait_loadcnt 0x3
	v_and_b32_e32 v15, 0xffff0000, v10
	s_wait_loadcnt 0x2
	v_and_b32_e32 v17, 0xffff0000, v6
	v_lshlrev_b32_e32 v16, 16, v6
	v_dual_lshlrev_b32 v14, 16, v10 :: v_dual_lshlrev_b32 v10, 16, v7
	s_wait_loadcnt 0x0
	s_delay_alu instid0(VALU_DEP_2)
	v_pk_mul_f32 v[16:17], v[18:19], v[16:17]
	scratch_load_b64 v[18:19], off, off     ; 8-byte Folded Reload
	s_wait_loadcnt 0x0
	v_pk_fma_f32 v[14:15], v[18:19], v[14:15], v[16:17]
	scratch_load_b64 v[18:19], off, off offset:64 ; 8-byte Folded Reload
	v_and_b32_e32 v17, 0xffff0000, v2
	v_lshlrev_b32_e32 v16, 16, v2
	s_wait_loadcnt 0x0
	s_delay_alu instid0(VALU_DEP_1)
	v_pk_fma_f32 v[94:95], v[18:19], v[16:17], v[14:15]
	v_and_b32_e32 v15, 0xffff0000, v11
	v_lshlrev_b32_e32 v14, 16, v11
	v_and_b32_e32 v11, 0xffff0000, v7
	scratch_load_b64 v[6:7], off, off offset:24 ; 8-byte Folded Reload
	s_wait_loadcnt 0x0
	v_pk_mul_f32 v[6:7], v[6:7], v[10:11]
	scratch_load_b64 v[10:11], off, off offset:16 ; 8-byte Folded Reload
	s_wait_loadcnt 0x0
	v_pk_fma_f32 v[6:7], v[10:11], v[14:15], v[6:7]
	v_and_b32_e32 v11, 0xffff0000, v3
	v_lshlrev_b32_e32 v10, 16, v3
	scratch_load_b64 v[2:3], off, off offset:72 ; 8-byte Folded Reload
	s_wait_loadcnt 0x0
	v_pk_fma_f32 v[88:89], v[2:3], v[10:11], v[6:7]
	scratch_load_b64 v[10:11], off, off offset:40 ; 8-byte Folded Reload
	v_and_b32_e32 v7, 0xffff0000, v8
	v_lshlrev_b32_e32 v6, 16, v8
	v_and_b32_e32 v3, 0xffff0000, v12
	v_lshlrev_b32_e32 v2, 16, v12
	s_wait_loadcnt 0x0
	s_delay_alu instid0(VALU_DEP_3)
	v_pk_mul_f32 v[6:7], v[10:11], v[6:7]
	scratch_load_b64 v[10:11], off, off offset:32 ; 8-byte Folded Reload
	s_wait_loadcnt 0x0
	v_pk_fma_f32 v[2:3], v[10:11], v[2:3], v[6:7]
	scratch_load_b64 v[10:11], off, off offset:80 ; 8-byte Folded Reload
	v_and_b32_e32 v7, 0xffff0000, v4
	v_lshlrev_b32_e32 v6, 16, v4
	s_wait_loadcnt 0x0
	s_delay_alu instid0(VALU_DEP_1)
	v_pk_fma_f32 v[86:87], v[10:11], v[6:7], v[2:3]
	v_and_b32_e32 v7, 0xffff0000, v9
	v_lshlrev_b32_e32 v6, 16, v9
	scratch_load_b64 v[8:9], off, off offset:56 ; 8-byte Folded Reload
	v_and_b32_e32 v3, 0xffff0000, v13
	v_lshlrev_b32_e32 v2, 16, v13
	s_wait_loadcnt 0x0
	v_pk_mul_f32 v[6:7], v[8:9], v[6:7]
	scratch_load_b64 v[8:9], off, off offset:48 ; 8-byte Folded Reload
	s_wait_loadcnt 0x0
	v_pk_fma_f32 v[2:3], v[8:9], v[2:3], v[6:7]
	v_and_b32_e32 v7, 0xffff0000, v5
	v_lshlrev_b32_e32 v6, 16, v5
	scratch_load_b64 v[4:5], off, off offset:88 ; 8-byte Folded Reload
	s_wait_loadcnt 0x0
	v_pk_fma_f32 v[80:81], v[4:5], v[6:7], v[2:3]
	global_load_b128 v[2:5], v[78:79], off offset:1536
	s_wait_loadcnt 0x0
	v_and_b32_e32 v105, 0xffff0000, v2
	v_lshlrev_b32_e32 v104, 16, v2
	v_and_b32_e32 v97, 0xffff0000, v3
	v_lshlrev_b32_e32 v96, 16, v3
	v_and_b32_e32 v91, 0xffff0000, v4
	v_dual_lshlrev_b32 v90, 16, v4 :: v_dual_lshlrev_b32 v82, 16, v5
	v_and_b32_e32 v83, 0xffff0000, v5
	global_load_b128 v[2:5], v[78:79], off offset:2048
	s_wait_loadcnt 0x0
	v_and_b32_e32 v107, 0xffff0000, v2
	v_dual_lshlrev_b32 v106, 16, v2 :: v_dual_lshlrev_b32 v108, 16, v3
	v_and_b32_e32 v109, 0xffff0000, v3
	v_and_b32_e32 v93, 0xffff0000, v4
	v_dual_lshlrev_b32 v92, 16, v4 :: v_dual_lshlrev_b32 v84, 16, v5
	v_and_b32_e32 v85, 0xffff0000, v5
	s_clause 0x9
	global_load_b128 v[38:41], v[78:79], off offset:2560
	global_load_b128 v[34:37], v[78:79], off offset:3072
	;; [unrolled: 1-line block ×10, first 2 shown]
	scratch_load_b64 v[78:79], off, off offset:96 ; 8-byte Folded Reload
	s_wait_loadcnt 0x0
	v_pk_fma_f32 v[78:79], v[78:79], v[104:105], v[94:95]
	s_clause 0x1
	scratch_load_b64 v[94:95], off, off offset:128
	scratch_load_b64 v[104:105], off, off offset:160
	s_wait_loadcnt 0x1
	v_pk_fma_f32 v[78:79], v[94:95], v[106:107], v[78:79]
	v_and_b32_e32 v95, 0xffff0000, v38
	v_lshlrev_b32_e32 v94, 16, v38
	s_wait_loadcnt 0x0
	s_delay_alu instid0(VALU_DEP_1) | instskip(SKIP_4) | instid1(VALU_DEP_1)
	v_pk_fma_f32 v[78:79], v[104:105], v[94:95], v[78:79]
	scratch_load_b64 v[104:105], off, off offset:192 ; 8-byte Folded Reload
	v_and_b32_e32 v95, 0xffff0000, v34
	v_lshlrev_b32_e32 v94, 16, v34
	s_wait_loadcnt 0x0
	v_pk_fma_f32 v[78:79], v[104:105], v[94:95], v[78:79]
	scratch_load_b64 v[104:105], off, off offset:224 ; 8-byte Folded Reload
	v_and_b32_e32 v95, 0xffff0000, v30
	v_lshlrev_b32_e32 v94, 16, v30
	s_wait_loadcnt 0x0
	s_delay_alu instid0(VALU_DEP_1) | instskip(SKIP_4) | instid1(VALU_DEP_1)
	v_pk_fma_f32 v[78:79], v[104:105], v[94:95], v[78:79]
	scratch_load_b64 v[104:105], off, off offset:256 ; 8-byte Folded Reload
	v_and_b32_e32 v95, 0xffff0000, v26
	v_lshlrev_b32_e32 v94, 16, v26
	s_wait_loadcnt 0x0
	v_pk_fma_f32 v[78:79], v[104:105], v[94:95], v[78:79]
	v_and_b32_e32 v95, 0xffff0000, v22
	v_lshlrev_b32_e32 v94, 16, v22
	s_delay_alu instid0(VALU_DEP_1) | instskip(SKIP_2) | instid1(VALU_DEP_1)
	v_pk_fma_f32 v[78:79], v[114:115], v[94:95], v[78:79]
	v_and_b32_e32 v95, 0xffff0000, v18
	v_lshlrev_b32_e32 v94, 16, v18
	v_pk_fma_f32 v[78:79], v[122:123], v[94:95], v[78:79]
	v_and_b32_e32 v95, 0xffff0000, v14
	v_lshlrev_b32_e32 v94, 16, v14
	s_delay_alu instid0(VALU_DEP_1) | instskip(SKIP_2) | instid1(VALU_DEP_1)
	v_pk_fma_f32 v[78:79], v[0:1], v[94:95], v[78:79]
	v_and_b32_e32 v95, 0xffff0000, v10
	v_lshlrev_b32_e32 v94, 16, v10
	;; [unrolled: 7-line block ×3, first 2 shown]
	v_pk_fma_f32 v[78:79], v[66:67], v[94:95], v[78:79]
	scratch_load_b64 v[94:95], off, off offset:104 ; 8-byte Folded Reload
	s_wait_loadcnt 0x0
	v_pk_fma_f32 v[88:89], v[94:95], v[96:97], v[88:89]
	scratch_load_b64 v[94:95], off, off offset:136 ; 8-byte Folded Reload
	s_wait_loadcnt 0x0
	v_pk_fma_f32 v[88:89], v[94:95], v[108:109], v[88:89]
	v_and_b32_e32 v95, 0xffff0000, v39
	v_lshlrev_b32_e32 v94, 16, v39
	scratch_load_b64 v[38:39], off, off offset:168 ; 8-byte Folded Reload
	s_wait_loadcnt 0x0
	v_pk_fma_f32 v[38:39], v[38:39], v[94:95], v[88:89]
	v_and_b32_e32 v89, 0xffff0000, v35
	v_lshlrev_b32_e32 v88, 16, v35
	;; [unrolled: 5-line block ×5, first 2 shown]
	s_delay_alu instid0(VALU_DEP_1) | instskip(SKIP_2) | instid1(VALU_DEP_1)
	v_pk_fma_f32 v[22:23], v[116:117], v[30:31], v[26:27]
	v_and_b32_e32 v27, 0xffff0000, v19
	v_lshlrev_b32_e32 v26, 16, v19
	v_pk_fma_f32 v[18:19], v[124:125], v[26:27], v[22:23]
	v_and_b32_e32 v23, 0xffff0000, v15
	v_lshlrev_b32_e32 v22, 16, v15
	s_delay_alu instid0(VALU_DEP_1) | instskip(SKIP_2) | instid1(VALU_DEP_1)
	v_pk_fma_f32 v[14:15], v[44:45], v[22:23], v[18:19]
	v_and_b32_e32 v19, 0xffff0000, v11
	v_lshlrev_b32_e32 v18, 16, v11
	v_pk_fma_f32 v[10:11], v[52:53], v[18:19], v[14:15]
	v_and_b32_e32 v15, 0xffff0000, v7
	v_lshlrev_b32_e32 v14, 16, v7
	scratch_load_b64 v[18:19], off, off offset:184 ; 8-byte Folded Reload
	v_pk_fma_f32 v[6:7], v[60:61], v[14:15], v[10:11]
	v_and_b32_e32 v11, 0xffff0000, v3
	v_lshlrev_b32_e32 v10, 16, v3
	scratch_load_b64 v[14:15], off, off offset:176 ; 8-byte Folded Reload
	v_pk_fma_f32 v[2:3], v[68:69], v[10:11], v[6:7]
	s_clause 0x1
	scratch_load_b64 v[6:7], off, off offset:112
	scratch_load_b64 v[10:11], off, off offset:144
	s_wait_loadcnt 0x1
	v_pk_fma_f32 v[6:7], v[6:7], v[90:91], v[86:87]
	s_wait_loadcnt 0x0
	s_delay_alu instid0(VALU_DEP_1) | instskip(SKIP_2) | instid1(VALU_DEP_1)
	v_pk_fma_f32 v[6:7], v[10:11], v[92:93], v[6:7]
	v_and_b32_e32 v11, 0xffff0000, v40
	v_lshlrev_b32_e32 v10, 16, v40
	v_pk_fma_f32 v[6:7], v[14:15], v[10:11], v[6:7]
	scratch_load_b64 v[14:15], off, off offset:208 ; 8-byte Folded Reload
	v_and_b32_e32 v11, 0xffff0000, v36
	v_lshlrev_b32_e32 v10, 16, v36
	s_wait_loadcnt 0x0
	s_delay_alu instid0(VALU_DEP_1) | instskip(SKIP_4) | instid1(VALU_DEP_1)
	v_pk_fma_f32 v[6:7], v[14:15], v[10:11], v[6:7]
	scratch_load_b64 v[14:15], off, off offset:240 ; 8-byte Folded Reload
	v_and_b32_e32 v11, 0xffff0000, v32
	v_lshlrev_b32_e32 v10, 16, v32
	s_wait_loadcnt 0x0
	v_pk_fma_f32 v[6:7], v[14:15], v[10:11], v[6:7]
	v_and_b32_e32 v11, 0xffff0000, v28
	v_lshlrev_b32_e32 v10, 16, v28
	scratch_load_b64 v[14:15], off, off offset:152 ; 8-byte Folded Reload
	v_pk_fma_f32 v[6:7], v[110:111], v[10:11], v[6:7]
	v_and_b32_e32 v11, 0xffff0000, v24
	v_lshlrev_b32_e32 v10, 16, v24
	s_delay_alu instid0(VALU_DEP_1) | instskip(SKIP_2) | instid1(VALU_DEP_1)
	v_pk_fma_f32 v[6:7], v[118:119], v[10:11], v[6:7]
	v_and_b32_e32 v11, 0xffff0000, v20
	v_lshlrev_b32_e32 v10, 16, v20
	v_pk_fma_f32 v[6:7], v[126:127], v[10:11], v[6:7]
	v_and_b32_e32 v11, 0xffff0000, v16
	v_lshlrev_b32_e32 v10, 16, v16
	s_delay_alu instid0(VALU_DEP_1) | instskip(SKIP_2) | instid1(VALU_DEP_1)
	v_pk_fma_f32 v[6:7], v[46:47], v[10:11], v[6:7]
	v_and_b32_e32 v11, 0xffff0000, v12
	v_dual_lshlrev_b32 v10, 16, v12 :: v_dual_lshlrev_b32 v12, 16, v9
	v_pk_fma_f32 v[6:7], v[54:55], v[10:11], v[6:7]
	v_and_b32_e32 v11, 0xffff0000, v8
	v_lshlrev_b32_e32 v10, 16, v8
	s_delay_alu instid0(VALU_DEP_1) | instskip(SKIP_2) | instid1(VALU_DEP_1)
	v_pk_fma_f32 v[6:7], v[62:63], v[10:11], v[6:7]
	v_and_b32_e32 v11, 0xffff0000, v4
	v_lshlrev_b32_e32 v10, 16, v4
	v_pk_fma_f32 v[6:7], v[70:71], v[10:11], v[6:7]
	scratch_load_b64 v[10:11], off, off offset:120 ; 8-byte Folded Reload
	s_wait_loadcnt 0x0
	v_pk_fma_f32 v[10:11], v[10:11], v[82:83], v[80:81]
	s_delay_alu instid0(VALU_DEP_1) | instskip(SKIP_2) | instid1(VALU_DEP_1)
	v_pk_fma_f32 v[10:11], v[14:15], v[84:85], v[10:11]
	v_and_b32_e32 v15, 0xffff0000, v41
	v_lshlrev_b32_e32 v14, 16, v41
	v_pk_fma_f32 v[10:11], v[18:19], v[14:15], v[10:11]
	scratch_load_b64 v[18:19], off, off offset:216 ; 8-byte Folded Reload
	v_and_b32_e32 v15, 0xffff0000, v37
	v_lshlrev_b32_e32 v14, 16, v37
	s_wait_loadcnt 0x0
	s_delay_alu instid0(VALU_DEP_1) | instskip(SKIP_4) | instid1(VALU_DEP_1)
	v_pk_fma_f32 v[10:11], v[18:19], v[14:15], v[10:11]
	scratch_load_b64 v[18:19], off, off offset:248 ; 8-byte Folded Reload
	v_and_b32_e32 v15, 0xffff0000, v33
	v_lshlrev_b32_e32 v14, 16, v33
	s_wait_loadcnt 0x0
	v_pk_fma_f32 v[10:11], v[18:19], v[14:15], v[10:11]
	v_and_b32_e32 v15, 0xffff0000, v29
	v_lshlrev_b32_e32 v14, 16, v29
	s_delay_alu instid0(VALU_DEP_1) | instskip(SKIP_2) | instid1(VALU_DEP_1)
	v_pk_fma_f32 v[10:11], v[112:113], v[14:15], v[10:11]
	v_and_b32_e32 v15, 0xffff0000, v25
	v_lshlrev_b32_e32 v14, 16, v25
	v_pk_fma_f32 v[10:11], v[120:121], v[14:15], v[10:11]
	v_and_b32_e32 v15, 0xffff0000, v21
	v_lshlrev_b32_e32 v14, 16, v21
	s_delay_alu instid0(VALU_DEP_1) | instskip(SKIP_2) | instid1(VALU_DEP_1)
	v_pk_fma_f32 v[10:11], v[42:43], v[14:15], v[10:11]
	v_and_b32_e32 v15, 0xffff0000, v17
	v_lshlrev_b32_e32 v14, 16, v17
	v_pk_fma_f32 v[10:11], v[48:49], v[14:15], v[10:11]
	v_and_b32_e32 v15, 0xffff0000, v13
	v_lshlrev_b32_e32 v14, 16, v13
	v_and_b32_e32 v13, 0xffff0000, v9
	s_delay_alu instid0(VALU_DEP_2) | instskip(NEXT) | instid1(VALU_DEP_1)
	v_pk_fma_f32 v[10:11], v[56:57], v[14:15], v[10:11]
	v_pk_fma_f32 v[8:9], v[64:65], v[12:13], v[10:11]
	v_and_b32_e32 v11, 0xffff0000, v5
	v_lshlrev_b32_e32 v10, 16, v5
	s_delay_alu instid0(VALU_DEP_1) | instskip(SKIP_1) | instid1(VALU_DEP_1)
	v_pk_fma_f32 v[4:5], v[72:73], v[10:11], v[8:9]
	v_add_f32_e32 v8, v78, v79
	v_add_f32_e32 v2, v8, v2
	s_delay_alu instid0(VALU_DEP_1) | instskip(NEXT) | instid1(VALU_DEP_1)
	v_add_f32_e32 v2, v3, v2
	v_add_f32_e32 v2, v6, v2
	s_delay_alu instid0(VALU_DEP_1) | instskip(NEXT) | instid1(VALU_DEP_1)
	;; [unrolled: 3-line block ×3, first 2 shown]
	v_add_f32_e32 v2, v5, v2
	v_fmac_f32_e32 v102, s7, v2
	s_delay_alu instid0(VALU_DEP_1) | instskip(SKIP_2) | instid1(VALU_DEP_1)
	v_cndmask_b32_e64 v2, 0, v102, s3
	ds_store_b32 v99, v2
	v_dual_max_num_f32 v2, v98, v98 :: v_dual_add_nc_u32 v99, 0x200, v99
	v_max_num_f32_e32 v2, v2, v102
	s_delay_alu instid0(VALU_DEP_1)
	v_cndmask_b32_e64 v98, v98, v2, s3
	v_cmp_le_i32_e64 s3, s9, v101
	s_or_b32 s15, s3, s15
	s_wait_xcnt 0x0
	s_and_not1_b32 exec_lo, exec_lo, s15
	s_cbranch_execnz .LBB158_6
; %bb.7:
	s_or_b32 exec_lo, exec_lo, s15
	s_clause 0x4
	scratch_load_b32 v104, off, off offset:272
	scratch_load_b32 v106, off, off offset:276
	;; [unrolled: 1-line block ×5, first 2 shown]
	v_mov_b32_e32 v105, v103
.LBB158_8:
	s_wait_xcnt 0x0
	s_or_b32 exec_lo, exec_lo, s6
	v_mbcnt_lo_u32_b32 v3, -1, 0
	s_clause 0x1
	s_load_b64 s[6:7], s[0:1], 0x0
	s_load_b64 s[16:17], s[0:1], 0x18
	s_delay_alu instid0(VALU_DEP_1) | instskip(SKIP_1) | instid1(VALU_DEP_2)
	v_dual_max_num_f32 v4, v98, v98 :: v_dual_bitop2_b32 v0, 16, v3 bitop3:0x14
	v_xor_b32_e32 v2, 8, v3
	v_cmp_gt_i32_e32 vcc_lo, 32, v0
	v_cndmask_b32_e32 v0, v3, v0, vcc_lo
	s_delay_alu instid0(VALU_DEP_3) | instskip(NEXT) | instid1(VALU_DEP_2)
	v_cmp_gt_i32_e32 vcc_lo, 32, v2
	v_dual_lshlrev_b32 v0, 2, v0 :: v_dual_cndmask_b32 v2, v3, v2, vcc_lo
	ds_bpermute_b32 v1, v0, v98
	s_wait_dscnt 0x0
	v_dual_max_num_f32 v5, v1, v1 :: v_dual_lshlrev_b32 v1, 2, v2
	s_delay_alu instid0(VALU_DEP_1) | instskip(SKIP_4) | instid1(VALU_DEP_1)
	v_dual_max_num_f32 v4, v4, v5 :: v_dual_bitop2_b32 v5, 4, v3 bitop3:0x14
	ds_bpermute_b32 v2, v1, v4
	v_cmp_gt_i32_e32 vcc_lo, 32, v5
	s_wait_dscnt 0x0
	v_dual_cndmask_b32 v5, v3, v5 :: v_dual_max_num_f32 v6, v2, v2
	v_dual_lshlrev_b32 v2, 2, v5 :: v_dual_max_num_f32 v4, v4, v6
	ds_bpermute_b32 v5, v2, v4
	s_wait_dscnt 0x0
	v_dual_max_num_f32 v5, v5, v5 :: v_dual_bitop2_b32 v6, 2, v3 bitop3:0x14
	s_delay_alu instid0(VALU_DEP_1) | instskip(NEXT) | instid1(VALU_DEP_2)
	v_cmp_gt_i32_e32 vcc_lo, 32, v6
	v_dual_max_num_f32 v4, v4, v5 :: v_dual_cndmask_b32 v6, v3, v6, vcc_lo
	s_delay_alu instid0(VALU_DEP_1)
	v_dual_lshlrev_b32 v91, 2, v6 :: v_dual_bitop2_b32 v6, 1, v3 bitop3:0x14
	ds_bpermute_b32 v5, v91, v4
	v_cmp_gt_i32_e32 vcc_lo, 32, v6
	v_cndmask_b32_e32 v3, v3, v6, vcc_lo
	s_wait_loadcnt 0x3
	v_cmp_eq_u32_e32 vcc_lo, 0, v106
	s_delay_alu instid0(VALU_DEP_2) | instskip(SKIP_2) | instid1(VALU_DEP_1)
	v_dual_lshlrev_b32 v90, 2, v3 :: v_dual_lshlrev_b32 v3, 2, v105
	s_wait_dscnt 0x0
	v_max_num_f32_e32 v5, v5, v5
	v_max_num_f32_e32 v4, v4, v5
	ds_bpermute_b32 v5, v90, v4
	s_wait_xcnt 0x0
	s_and_saveexec_b32 s0, vcc_lo
	s_cbranch_execz .LBB158_10
; %bb.9:
	s_wait_dscnt 0x0
	v_dual_max_num_f32 v5, v5, v5 :: v_dual_max_num_f32 v4, v4, v4
	s_delay_alu instid0(VALU_DEP_1)
	v_max_num_f32_e32 v4, v4, v5
	ds_store_b32 v3, v4 offset:240
.LBB158_10:
	s_or_b32 exec_lo, exec_lo, s0
	v_cmp_gt_u32_e64 s0, 4, v106
	v_mov_b32_e32 v4, 0xff7fffff
	s_wait_storecnt 0x0
	s_wait_loadcnt_dscnt 0x0
	s_barrier_signal -1
	s_barrier_wait -1
	s_and_saveexec_b32 s1, s0
; %bb.11:
	ds_load_b32 v4, v25 offset:240
; %bb.12:
	s_or_b32 exec_lo, exec_lo, s1
	s_wait_dscnt 0x0
	ds_bpermute_b32 v5, v91, v4
	v_max_num_f32_e32 v4, v4, v4
	s_lshl_b32 s1, s9, 5
	s_delay_alu instid0(SALU_CYCLE_1) | instskip(NEXT) | instid1(SALU_CYCLE_1)
	s_min_i32 s15, s1, s21
	v_cmp_gt_i32_e64 s1, s15, v104
	s_wait_dscnt 0x0
	v_max_num_f32_e32 v5, v5, v5
	s_delay_alu instid0(VALU_DEP_1) | instskip(SKIP_3) | instid1(VALU_DEP_1)
	v_max_num_f32_e32 v4, v4, v5
	ds_bpermute_b32 v5, v90, v4
	s_wait_dscnt 0x0
	v_max_num_f32_e32 v5, v5, v5
	v_dual_max_num_f32 v5, v4, v5 :: v_dual_mov_b32 v4, 0
	ds_bpermute_b32 v5, v4, v5
	s_and_saveexec_b32 s22, s1
	s_cbranch_execz .LBB158_16
; %bb.13:
	v_lshl_add_u32 v6, v104, 2, 0x110
	v_dual_mov_b32 v4, 0 :: v_dual_mov_b32 v7, v104
	s_mov_b32 s23, 0
.LBB158_14:                             ; =>This Inner Loop Header: Depth=1
	ds_load_b32 v8, v6
	v_add_nc_u32_e32 v7, 0x80, v7
	s_delay_alu instid0(VALU_DEP_1) | instskip(SKIP_3) | instid1(VALU_DEP_1)
	v_cmp_le_i32_e64 s3, s15, v7
	s_or_b32 s23, s3, s23
	s_wait_dscnt 0x0
	v_sub_f32_e32 v8, v8, v5
	v_mul_f32_e32 v8, 0x3fb8aa3b, v8
	s_delay_alu instid0(VALU_DEP_1)
	v_exp_f32_e32 v8, v8
	ds_store_b32 v6, v8
	v_nop
	v_add_f32_e32 v4, v4, v8
	v_add_nc_u32_e32 v6, 0x200, v6
	s_and_not1_b32 exec_lo, exec_lo, s23
	s_cbranch_execnz .LBB158_14
; %bb.15:
	s_or_b32 exec_lo, exec_lo, s23
.LBB158_16:
	s_delay_alu instid0(SALU_CYCLE_1)
	s_or_b32 exec_lo, exec_lo, s22
	ds_bpermute_b32 v0, v0, v4
	s_wait_dscnt 0x0
	v_add_f32_e32 v0, v4, v0
	ds_bpermute_b32 v1, v1, v0
	s_wait_dscnt 0x0
	v_add_f32_e32 v0, v0, v1
	;; [unrolled: 3-line block ×5, first 2 shown]
	s_and_saveexec_b32 s3, vcc_lo
; %bb.17:
	ds_store_b32 v3, v0 offset:256
; %bb.18:
	s_or_b32 exec_lo, exec_lo, s3
	s_wait_dscnt 0x0
	s_barrier_signal -1
	s_barrier_wait -1
	s_and_saveexec_b32 s3, s0
; %bb.19:
	ds_load_b32 v0, v25 offset:256
; %bb.20:
	s_or_b32 exec_lo, exec_lo, s3
	s_wait_dscnt 0x0
	ds_bpermute_b32 v1, v91, v0
	s_wait_dscnt 0x0
	v_dual_mov_b32 v71, 0 :: v_dual_add_f32 v0, v0, v1
	ds_bpermute_b32 v1, v90, v0
	s_wait_dscnt 0x0
	v_add_f32_e32 v0, v0, v1
	ds_bpermute_b32 v0, v71, v0
	s_and_saveexec_b32 s0, s1
	s_cbranch_execz .LBB158_33
; %bb.21:
	s_wait_dscnt 0x0
	v_add_f32_e32 v0, 0x358637bd, v0
	s_mov_b32 s3, -1
	s_mov_b32 s1, exec_lo
	s_delay_alu instid0(VALU_DEP_1) | instskip(NEXT) | instid1(VALU_DEP_1)
	v_div_scale_f32 v1, null, v0, v0, 1.0
	v_rcp_f32_e32 v3, v1
	v_nop
	s_delay_alu instid0(TRANS32_DEP_1) | instskip(NEXT) | instid1(VALU_DEP_1)
	v_fma_f32 v2, -v1, v3, 1.0
	v_fmac_f32_e32 v3, v2, v3
	v_div_scale_f32 v4, vcc_lo, 1.0, v0, 1.0
	s_delay_alu instid0(VALU_DEP_1) | instskip(NEXT) | instid1(VALU_DEP_1)
	v_mul_f32_e32 v5, v4, v3
	v_fma_f32 v2, -v1, v5, v4
	s_delay_alu instid0(VALU_DEP_1) | instskip(SKIP_1) | instid1(VALU_DEP_2)
	v_fmac_f32_e32 v5, v2, v3
	v_xad_u32 v2, v104, -1, s15
	v_fma_f32 v1, -v1, v5, v4
	s_delay_alu instid0(VALU_DEP_1) | instskip(NEXT) | instid1(VALU_DEP_1)
	v_div_fmas_f32 v1, v1, v3, v5
	v_div_fixup_f32 v0, v1, v0, 1.0
	v_mov_b32_e32 v1, v104
	v_cmpx_lt_u32_e32 0x7f, v2
	s_cbranch_execz .LBB158_30
; %bb.22:
	s_delay_alu instid0(VALU_DEP_3) | instskip(NEXT) | instid1(VALU_DEP_1)
	v_dual_mov_b32 v1, v0 :: v_dual_lshrrev_b32 v2, 7, v2
	v_dual_mov_b32 v6, 0 :: v_dual_add_nc_u32 v3, -1, v2
	s_delay_alu instid0(VALU_DEP_1) | instskip(SKIP_1) | instid1(VALU_DEP_2)
	v_lshrrev_b32_e32 v4, 1, v3
	v_cmp_lt_u32_e32 vcc_lo, 13, v3
	v_add_nc_u32_e32 v3, 1, v4
	s_and_saveexec_b32 s3, vcc_lo
	s_cbranch_execz .LBB158_26
; %bb.23:
	s_delay_alu instid0(VALU_DEP_1)
	v_and_b32_e32 v4, -8, v3
	v_lshl_add_u32 v5, v104, 2, 0x110
	s_mov_b32 s22, 0
	s_mov_b32 s23, 0
.LBB158_24:                             ; =>This Inner Loop Header: Depth=1
	ds_load_2addr_stride64_b32 v[6:7], v5 offset1:2
	ds_load_2addr_stride64_b32 v[8:9], v5 offset0:4 offset1:6
	ds_load_2addr_stride64_b32 v[10:11], v5 offset0:8 offset1:10
	;; [unrolled: 1-line block ×7, first 2 shown]
	s_add_co_i32 s23, s23, 16
	v_add_nc_u32_e32 v4, -8, v4
	s_wait_dscnt 0x7
	v_pk_mul_f32 v[6:7], v[0:1], v[6:7]
	s_wait_dscnt 0x6
	v_pk_mul_f32 v[8:9], v[0:1], v[8:9]
	;; [unrolled: 2-line block ×8, first 2 shown]
	ds_store_2addr_stride64_b32 v5, v6, v7 offset1:2
	ds_store_2addr_stride64_b32 v5, v8, v9 offset0:4 offset1:6
	ds_store_2addr_stride64_b32 v5, v10, v11 offset0:8 offset1:10
	;; [unrolled: 1-line block ×7, first 2 shown]
	v_mov_b32_e32 v6, s23
	v_cmp_eq_u32_e32 vcc_lo, 0, v4
	v_add_nc_u32_e32 v5, 0x2000, v5
	s_or_b32 s22, vcc_lo, s22
	s_delay_alu instid0(SALU_CYCLE_1)
	s_and_not1_b32 exec_lo, exec_lo, s22
	s_cbranch_execnz .LBB158_24
; %bb.25:
	s_or_b32 exec_lo, exec_lo, s22
.LBB158_26:
	s_delay_alu instid0(SALU_CYCLE_1) | instskip(NEXT) | instid1(VALU_DEP_1)
	s_or_b32 exec_lo, exec_lo, s3
	v_and_b32_e32 v3, 7, v3
	s_mov_b32 s22, 0
	s_mov_b32 s3, exec_lo
	s_delay_alu instid0(VALU_DEP_1)
	v_cmpx_ne_u32_e32 0, v3
	s_cbranch_execz .LBB158_29
; %bb.27:
	v_dual_lshlrev_b32 v4, 9, v6 :: v_dual_lshlrev_b32 v5, 2, v104
	s_delay_alu instid0(VALU_DEP_1)
	v_add3_u32 v4, v4, v5, 0x110
.LBB158_28:                             ; =>This Inner Loop Header: Depth=1
	ds_load_2addr_stride64_b32 v[6:7], v4 offset1:2
	v_add_nc_u32_e32 v3, -1, v3
	s_delay_alu instid0(VALU_DEP_1)
	v_cmp_eq_u32_e32 vcc_lo, 0, v3
	s_or_b32 s22, vcc_lo, s22
	s_wait_dscnt 0x0
	v_pk_mul_f32 v[6:7], v[0:1], v[6:7]
	ds_store_2addr_stride64_b32 v4, v6, v7 offset1:2
	v_add_nc_u32_e32 v4, 0x400, v4
	s_and_not1_b32 exec_lo, exec_lo, s22
	s_cbranch_execnz .LBB158_28
.LBB158_29:
	s_or_b32 exec_lo, exec_lo, s3
	v_add_nc_u32_e32 v1, 1, v2
	s_delay_alu instid0(VALU_DEP_1) | instskip(NEXT) | instid1(VALU_DEP_1)
	v_and_b32_e32 v2, 0x3fffffe, v1
	v_cmp_ne_u32_e32 vcc_lo, v1, v2
	v_lshl_add_u32 v1, v2, 7, v104
	s_or_not1_b32 s3, vcc_lo, exec_lo
.LBB158_30:
	s_or_b32 exec_lo, exec_lo, s1
	s_delay_alu instid0(SALU_CYCLE_1)
	s_and_b32 exec_lo, exec_lo, s3
	s_cbranch_execz .LBB158_33
; %bb.31:
	v_lshl_add_u32 v2, v1, 2, 0x110
	s_mov_b32 s1, 0
.LBB158_32:                             ; =>This Inner Loop Header: Depth=1
	ds_load_b32 v3, v2
	v_add_nc_u32_e32 v1, 0x80, v1
	s_delay_alu instid0(VALU_DEP_1)
	v_cmp_le_i32_e32 vcc_lo, s15, v1
	s_or_b32 s1, vcc_lo, s1
	s_wait_dscnt 0x0
	v_mul_f32_e32 v3, v0, v3
	ds_store_b32 v2, v3
	v_add_nc_u32_e32 v2, 0x200, v2
	s_and_not1_b32 exec_lo, exec_lo, s1
	s_cbranch_execnz .LBB158_32
.LBB158_33:
	s_or_b32 exec_lo, exec_lo, s0
	v_dual_mov_b32 v70, 0 :: v_dual_bitop2_b32 v92, 3, v104 bitop3:0x40
	v_dual_mov_b32 v75, 0 :: v_dual_mov_b32 v74, 0
	v_dual_mov_b32 v77, 0 :: v_dual_mov_b32 v76, 0
	;; [unrolled: 1-line block ×6, first 2 shown]
	v_mov_b32_e32 v73, 0
	s_wait_dscnt 0x0
	s_barrier_signal -1
	s_barrier_wait -1
	s_and_saveexec_b32 s1, s2
	s_cbranch_execz .LBB158_67
; %bb.34:
	s_ashr_i32 s15, s14, 31
	v_dual_mov_b32 v73, 0 :: v_dual_lshlrev_b32 v0, 3, v104
	v_and_b32_e32 v72, 0x1f0, v22
	s_lshl_b64 s[14:15], s[14:15], 1
	v_lshlrev_b32_e32 v1, 5, v92
	s_wait_kmcnt 0x0
	s_add_nc_u64 s[14:15], s[16:17], s[14:15]
	s_lshl_b64 s[12:13], s[12:13], 2
	v_add_nc_u64_e32 v[86:87], s[14:15], v[72:73]
	v_and_b32_e32 v72, 0x7c, v24
	v_dual_mov_b32 v71, v73 :: v_dual_bitop2_b32 v0, 24, v0 bitop3:0x40
	v_mov_b32_e32 v70, v73
	v_lshl_or_b32 v1, v105, 7, v1
	s_add_nc_u64 s[10:11], s[10:11], s[12:13]
	s_delay_alu instid0(VALU_DEP_3) | instskip(SKIP_1) | instid1(VALU_DEP_3)
	v_lshl_or_b32 v93, v105, 5, v0
	v_add_nc_u64_e32 v[88:89], s[10:11], v[72:73]
	v_dual_mov_b32 v75, v73 :: v_dual_add_nc_u32 v94, 0x110, v1
	v_dual_mov_b32 v74, v73 :: v_dual_mov_b32 v77, v73
	v_dual_mov_b32 v76, v73 :: v_dual_mov_b32 v79, v73
	;; [unrolled: 1-line block ×6, first 2 shown]
	s_ashr_i32 s3, s5, 31
	s_mov_b32 s2, s5
	s_add_co_i32 s5, s9, -1
	s_mov_b32 s11, s21
	s_mov_b32 s10, 0
	s_branch .LBB158_36
.LBB158_35:                             ;   in Loop: Header=BB158_36 Depth=1
	s_or_b32 exec_lo, exec_lo, s0
	s_wait_dscnt 0x1
	v_cvt_pk_bf16_f32 v26, v26, v27
	v_cvt_pk_bf16_f32 v0, v28, v29
	s_wait_dscnt 0x0
	v_cvt_pk_bf16_f32 v1, v22, v23
	v_cvt_pk_bf16_f32 v22, v24, v25
	v_add_nc_u64_e32 v[88:89], 16, v[88:89]
	s_wait_loadcnt 0x1
	v_pk_mul_bf16 v23, v26, v66
	v_pk_mul_bf16 v27, v0, v67
	;; [unrolled: 1-line block ×5, first 2 shown]
	v_lshlrev_b32_e32 v25, 16, v23
	v_and_b32_e32 v23, 0xffff0000, v23
	v_lshlrev_b32_e32 v28, 16, v27
	v_and_b32_e32 v27, 0xffff0000, v27
	;; [unrolled: 2-line block ×3, first 2 shown]
	v_add_f32_e32 v23, v25, v23
	v_pk_mul_bf16 v56, v1, v56
	v_add_f32_e32 v25, v28, v27
	v_pk_mul_bf16 v27, v22, v69
	v_pk_mul_bf16 v28, v0, v63
	v_dual_add_f32 v24, v62, v24 :: v_dual_lshlrev_b32 v63, 16, v29
	s_delay_alu instid0(VALU_DEP_4) | instskip(SKIP_1) | instid1(VALU_DEP_4)
	v_add_f32_e32 v23, v25, v23
	v_and_b32_e32 v25, 0xffff0000, v29
	v_lshlrev_b32_e32 v29, 16, v28
	v_and_b32_e32 v28, 0xffff0000, v28
	v_pk_mul_bf16 v62, v1, v64
	v_lshlrev_b32_e32 v64, 16, v27
	v_and_b32_e32 v27, 0xffff0000, v27
	s_delay_alu instid0(VALU_DEP_4) | instskip(NEXT) | instid1(VALU_DEP_4)
	v_dual_add_f32 v25, v63, v25 :: v_dual_add_f32 v28, v29, v28
	v_dual_lshlrev_b32 v29, 16, v62 :: v_dual_add_f32 v23, v24, v23
	v_and_b32_e32 v62, 0xffff0000, v62
	v_pk_mul_bf16 v63, v22, v65
	v_add_f32_e32 v24, v64, v27
	v_add_f32_e32 v25, v28, v25
	v_pk_mul_bf16 v48, v1, v48
	s_delay_alu instid0(VALU_DEP_4) | instskip(SKIP_3) | instid1(VALU_DEP_4)
	v_dual_add_f32 v27, v29, v62 :: v_dual_lshlrev_b32 v28, 16, v63
	v_and_b32_e32 v29, 0xffff0000, v63
	v_add_f32_e32 v23, v24, v23
	v_pk_mul_bf16 v24, v0, v59
	v_add_f32_e32 v25, v27, v25
	v_pk_mul_bf16 v59, v1, v60
	v_dual_add_f32 v27, v28, v29 :: v_dual_lshlrev_b32 v28, 16, v58
	v_and_b32_e32 v29, 0xffff0000, v58
	v_dual_add_f32 v71, v71, v23 :: v_dual_lshlrev_b32 v58, 16, v24
	v_and_b32_e32 v24, 0xffff0000, v24
	s_delay_alu instid0(VALU_DEP_4) | instskip(NEXT) | instid1(VALU_DEP_4)
	v_add_f32_e32 v23, v27, v25
	v_dual_add_f32 v25, v28, v29 :: v_dual_lshlrev_b32 v27, 16, v59
	v_and_b32_e32 v28, 0xffff0000, v59
	s_delay_alu instid0(VALU_DEP_4) | instskip(NEXT) | instid1(VALU_DEP_4)
	v_add_f32_e32 v24, v58, v24
	v_add_f32_e32 v70, v70, v23
	v_pk_mul_bf16 v23, v22, v61
	v_pk_mul_bf16 v40, v1, v40
	s_delay_alu instid0(VALU_DEP_4) | instskip(SKIP_4) | instid1(VALU_DEP_4)
	v_dual_add_f32 v27, v27, v28 :: v_dual_add_f32 v24, v24, v25
	v_pk_mul_bf16 v25, v26, v54
	v_pk_mul_bf16 v28, v0, v55
	v_lshlrev_b32_e32 v29, 16, v23
	v_and_b32_e32 v23, 0xffff0000, v23
	v_dual_add_f32 v24, v27, v24 :: v_dual_lshlrev_b32 v54, 16, v25
	s_delay_alu instid0(VALU_DEP_4)
	v_lshlrev_b32_e32 v55, 16, v28
	v_and_b32_e32 v25, 0xffff0000, v25
	v_and_b32_e32 v28, 0xffff0000, v28
	v_add_f32_e32 v23, v29, v23
	v_and_b32_e32 v29, 0xffff0000, v56
	v_pk_mul_bf16 v18, v26, v18
	s_delay_alu instid0(VALU_DEP_4)
	v_dual_add_f32 v25, v54, v25 :: v_dual_add_f32 v27, v55, v28
	v_lshlrev_b32_e32 v28, 16, v56
	v_pk_mul_bf16 v19, v0, v19
	v_pk_mul_bf16 v20, v1, v20
	;; [unrolled: 1-line block ×3, first 2 shown]
	v_add_f32_e32 v25, v27, v25
	v_dual_add_f32 v23, v23, v24 :: v_dual_add_f32 v28, v28, v29
	v_pk_mul_bf16 v24, v22, v57
	v_pk_mul_bf16 v27, v26, v46
	;; [unrolled: 1-line block ×5, first 2 shown]
	s_delay_alu instid0(VALU_DEP_4) | instskip(SKIP_4) | instid1(VALU_DEP_4)
	v_dual_lshlrev_b32 v46, 16, v24 :: v_dual_lshlrev_b32 v47, 16, v27
	v_and_b32_e32 v24, 0xffff0000, v24
	v_and_b32_e32 v27, 0xffff0000, v27
	v_lshlrev_b32_e32 v54, 16, v29
	v_and_b32_e32 v29, 0xffff0000, v29
	v_dual_add_f32 v25, v28, v25 :: v_dual_add_f32 v24, v46, v24
	s_delay_alu instid0(VALU_DEP_4) | instskip(SKIP_1) | instid1(VALU_DEP_4)
	v_add_f32_e32 v27, v47, v27
	v_and_b32_e32 v46, 0xffff0000, v48
	v_dual_add_f32 v28, v54, v29 :: v_dual_lshlrev_b32 v29, 16, v48
	v_pk_mul_bf16 v47, v22, v49
	v_dual_add_f32 v75, v75, v23 :: v_dual_add_f32 v23, v24, v25
	s_delay_alu instid0(VALU_DEP_3) | instskip(NEXT) | instid1(VALU_DEP_3)
	v_dual_add_f32 v24, v28, v27 :: v_dual_add_f32 v25, v29, v46
	v_lshlrev_b32_e32 v27, 16, v47
	v_and_b32_e32 v28, 0xffff0000, v47
	v_pk_mul_bf16 v29, v26, v42
	v_add_f32_e32 v74, v74, v23
	v_pk_mul_bf16 v23, v0, v43
	v_add_f32_e32 v24, v25, v24
	s_delay_alu instid0(VALU_DEP_4) | instskip(SKIP_1) | instid1(VALU_DEP_4)
	v_dual_add_f32 v25, v27, v28 :: v_dual_lshlrev_b32 v27, 16, v29
	v_and_b32_e32 v28, 0xffff0000, v29
	v_lshlrev_b32_e32 v29, 16, v23
	v_and_b32_e32 v23, 0xffff0000, v23
	v_pk_mul_bf16 v42, v1, v44
	v_pk_mul_bf16 v43, v22, v45
	v_add_f32_e32 v27, v27, v28
	v_pk_mul_bf16 v28, v26, v38
	v_add_f32_e32 v23, v29, v23
	v_pk_mul_bf16 v29, v0, v39
	v_lshlrev_b32_e32 v38, 16, v42
	v_and_b32_e32 v39, 0xffff0000, v42
	v_lshlrev_b32_e32 v42, 16, v28
	v_and_b32_e32 v28, 0xffff0000, v28
	v_dual_add_f32 v23, v23, v27 :: v_dual_lshlrev_b32 v44, 16, v29
	v_and_b32_e32 v29, 0xffff0000, v29
	v_add_f32_e32 v27, v38, v39
	s_delay_alu instid0(VALU_DEP_4)
	v_add_f32_e32 v28, v42, v28
	v_and_b32_e32 v39, 0xffff0000, v40
	v_and_b32_e32 v42, 0xffff0000, v43
	v_dual_add_f32 v29, v44, v29 :: v_dual_lshlrev_b32 v38, 16, v40
	v_add_f32_e32 v23, v27, v23
	v_pk_mul_bf16 v40, v22, v41
	s_delay_alu instid0(VALU_DEP_3) | instskip(NEXT) | instid1(VALU_DEP_4)
	v_dual_add_f32 v28, v29, v28 :: v_dual_lshlrev_b32 v41, 16, v43
	v_add_f32_e32 v29, v38, v39
	v_pk_mul_bf16 v16, v1, v16
	s_delay_alu instid0(VALU_DEP_4)
	v_lshlrev_b32_e32 v38, 16, v40
	v_and_b32_e32 v39, 0xffff0000, v40
	v_add_f32_e32 v24, v25, v24
	v_add_f32_e32 v25, v41, v42
	v_pk_mul_bf16 v10, v26, v10
	v_pk_mul_bf16 v17, v22, v17
	;; [unrolled: 1-line block ×4, first 2 shown]
	v_add_f32_e32 v23, v25, v23
	v_dual_add_f32 v27, v29, v28 :: v_dual_add_f32 v28, v38, v39
	v_pk_mul_bf16 v29, v26, v34
	v_pk_mul_bf16 v34, v1, v36
	s_delay_alu instid0(VALU_DEP_4) | instskip(NEXT) | instid1(VALU_DEP_4)
	v_dual_add_f32 v76, v76, v23 :: v_dual_add_f32 v77, v77, v24
	v_add_f32_e32 v25, v28, v27
	v_pk_mul_bf16 v24, v0, v35
	v_lshlrev_b32_e32 v27, 16, v29
	v_and_b32_e32 v28, 0xffff0000, v29
	v_pk_mul_bf16 v6, v26, v6
	s_delay_alu instid0(VALU_DEP_4) | instskip(SKIP_1) | instid1(VALU_DEP_4)
	v_dual_add_f32 v79, v79, v25 :: v_dual_lshlrev_b32 v29, 16, v24
	v_and_b32_e32 v24, 0xffff0000, v24
	v_dual_add_f32 v23, v27, v28 :: v_dual_lshlrev_b32 v25, 16, v34
	v_and_b32_e32 v27, 0xffff0000, v34
	v_pk_mul_bf16 v28, v26, v30
	v_pk_mul_bf16 v30, v0, v31
	v_add_f32_e32 v24, v29, v24
	v_pk_mul_bf16 v29, v22, v37
	v_pk_mul_bf16 v31, v1, v32
	;; [unrolled: 1-line block ×4, first 2 shown]
	v_add_f32_e32 v23, v24, v23
	v_dual_add_f32 v24, v25, v27 :: v_dual_lshlrev_b32 v32, 16, v29
	v_lshlrev_b32_e32 v25, 16, v28
	v_and_b32_e32 v27, 0xffff0000, v28
	v_lshlrev_b32_e32 v28, 16, v30
	v_and_b32_e32 v30, 0xffff0000, v30
	v_and_b32_e32 v29, 0xffff0000, v29
	v_pk_mul_bf16 v3, v0, v3
	v_add_f32_e32 v25, v25, v27
	v_pk_mul_bf16 v8, v1, v8
	v_dual_add_f32 v27, v28, v30 :: v_dual_lshlrev_b32 v28, 16, v31
	v_and_b32_e32 v30, 0xffff0000, v31
	v_pk_mul_bf16 v31, v22, v33
	s_delay_alu instid0(VALU_DEP_3) | instskip(SKIP_1) | instid1(VALU_DEP_3)
	v_dual_add_f32 v23, v24, v23 :: v_dual_add_f32 v25, v27, v25
	v_add_f32_e32 v24, v32, v29
	v_dual_add_f32 v27, v28, v30 :: v_dual_lshlrev_b32 v28, 16, v31
	v_and_b32_e32 v29, 0xffff0000, v31
	v_pk_mul_bf16 v9, v22, v9
	s_delay_alu instid0(VALU_DEP_3) | instskip(NEXT) | instid1(VALU_DEP_3)
	v_dual_add_f32 v23, v24, v23 :: v_dual_add_f32 v24, v27, v25
	v_dual_lshlrev_b32 v27, 16, v18 :: v_dual_add_f32 v25, v28, v29
	v_and_b32_e32 v18, 0xffff0000, v18
	v_lshlrev_b32_e32 v28, 16, v19
	v_and_b32_e32 v19, 0xffff0000, v19
	s_delay_alu instid0(VALU_DEP_4) | instskip(NEXT) | instid1(VALU_DEP_4)
	v_dual_add_f32 v78, v78, v23 :: v_dual_add_f32 v23, v25, v24
	v_dual_add_f32 v18, v27, v18 :: v_dual_lshlrev_b32 v24, 16, v20
	s_delay_alu instid0(VALU_DEP_3) | instskip(SKIP_1) | instid1(VALU_DEP_4)
	v_add_f32_e32 v19, v28, v19
	v_and_b32_e32 v20, 0xffff0000, v20
	v_dual_add_f32 v81, v81, v23 :: v_dual_lshlrev_b32 v23, 16, v14
	v_and_b32_e32 v14, 0xffff0000, v14
	s_delay_alu instid0(VALU_DEP_3)
	v_dual_add_f32 v18, v19, v18 :: v_dual_add_f32 v19, v24, v20
	v_lshlrev_b32_e32 v20, 16, v21
	v_and_b32_e32 v21, 0xffff0000, v21
	v_lshlrev_b32_e32 v24, 16, v15
	v_and_b32_e32 v15, 0xffff0000, v15
	v_add_f32_e32 v18, v19, v18
	s_delay_alu instid0(VALU_DEP_4) | instskip(NEXT) | instid1(VALU_DEP_3)
	v_dual_add_f32 v14, v23, v14 :: v_dual_add_f32 v19, v20, v21
	v_dual_lshlrev_b32 v21, 16, v17 :: v_dual_add_f32 v15, v24, v15
	v_lshlrev_b32_e32 v20, 16, v16
	v_and_b32_e32 v16, 0xffff0000, v16
	v_and_b32_e32 v17, 0xffff0000, v17
	v_add_f32_e32 v18, v19, v18
	v_add_f32_e32 v14, v15, v14
	v_pk_mul_bf16 v4, v1, v4
	v_dual_add_f32 v15, v20, v16 :: v_dual_lshlrev_b32 v16, 16, v10
	v_and_b32_e32 v10, 0xffff0000, v10
	v_lshlrev_b32_e32 v20, 16, v11
	v_and_b32_e32 v11, 0xffff0000, v11
	s_delay_alu instid0(VALU_DEP_4) | instskip(NEXT) | instid1(VALU_DEP_4)
	v_dual_add_f32 v14, v15, v14 :: v_dual_add_f32 v15, v21, v17
	v_dual_add_f32 v10, v16, v10 :: v_dual_lshlrev_b32 v16, 16, v12
	s_delay_alu instid0(VALU_DEP_3)
	v_add_f32_e32 v11, v20, v11
	v_and_b32_e32 v12, 0xffff0000, v12
	s_wait_loadcnt 0x0
	v_pk_mul_bf16 v19, v22, v53
	v_add_nc_u32_e32 v93, 0x80, v93
	v_add_nc_u32_e32 v94, 0x200, v94
	v_dual_add_f32 v10, v11, v10 :: v_dual_add_f32 v11, v16, v12
	v_pk_mul_bf16 v12, v22, v13
	v_dual_add_f32 v13, v15, v14 :: v_dual_lshlrev_b32 v15, 16, v7
	v_and_b32_e32 v7, 0xffff0000, v7
	v_lshlrev_b32_e32 v14, 16, v6
	v_and_b32_e32 v6, 0xffff0000, v6
	v_add_f32_e32 v80, v80, v18
	v_dual_add_f32 v10, v11, v10 :: v_dual_lshlrev_b32 v11, 16, v12
	v_and_b32_e32 v12, 0xffff0000, v12
	s_delay_alu instid0(VALU_DEP_4)
	v_dual_add_f32 v7, v15, v7 :: v_dual_add_f32 v6, v14, v6
	v_dual_lshlrev_b32 v14, 16, v2 :: v_dual_lshlrev_b32 v15, 16, v3
	v_and_b32_e32 v2, 0xffff0000, v2
	v_and_b32_e32 v3, 0xffff0000, v3
	v_add_f32_e32 v11, v11, v12
	v_lshlrev_b32_e32 v12, 16, v8
	v_and_b32_e32 v8, 0xffff0000, v8
	s_delay_alu instid0(VALU_DEP_4) | instskip(SKIP_2) | instid1(VALU_DEP_4)
	v_dual_add_f32 v2, v14, v2 :: v_dual_add_f32 v3, v15, v3
	v_add_f32_e32 v16, v7, v6
	v_and_b32_e32 v18, 0xffff0000, v4
	v_dual_add_f32 v8, v12, v8 :: v_dual_lshlrev_b32 v12, 16, v9
	s_delay_alu instid0(VALU_DEP_4)
	v_add_f32_e32 v15, v3, v2
	v_pk_mul_bf16 v2, v26, v50
	v_lshlrev_b32_e32 v17, 16, v4
	v_pk_mul_bf16 v4, v0, v51
	v_pk_mul_bf16 v6, v1, v52
	;; [unrolled: 1-line block ×3, first 2 shown]
	v_and_b32_e32 v1, 0xffff0000, v2
	v_lshlrev_b32_e32 v3, 16, v2
	v_and_b32_e32 v0, 0xffff0000, v4
	v_dual_lshlrev_b32 v2, 16, v4 :: v_dual_lshlrev_b32 v7, 16, v6
	v_and_b32_e32 v5, 0xffff0000, v6
	v_and_b32_e32 v4, 0xffff0000, v19
	v_dual_add_f32 v17, v17, v18 :: v_dual_lshlrev_b32 v6, 16, v19
	s_delay_alu instid0(VALU_DEP_4)
	v_pk_add_f32 v[0:1], v[2:3], v[0:1]
	v_and_b32_e32 v9, 0xffff0000, v9
	v_lshlrev_b32_e32 v18, 16, v14
	v_and_b32_e32 v14, 0xffff0000, v14
	v_pk_add_f32 v[2:3], v[6:7], v[4:5]
	v_add_f32_e32 v0, v0, v1
	v_dual_add_f32 v1, v8, v16 :: v_dual_add_f32 v5, v17, v15
	s_delay_alu instid0(VALU_DEP_4) | instskip(NEXT) | instid1(VALU_DEP_3)
	v_dual_add_f32 v4, v12, v9 :: v_dual_add_f32 v6, v18, v14
	v_add_f32_e32 v0, v3, v0
	s_delay_alu instid0(VALU_DEP_2) | instskip(NEXT) | instid1(VALU_DEP_3)
	v_dual_add_f32 v3, v11, v10 :: v_dual_add_f32 v1, v4, v1
	v_dual_add_f32 v4, v6, v5 :: v_dual_add_nc_u32 v72, 4, v72
	s_delay_alu instid0(VALU_DEP_2) | instskip(NEXT) | instid1(VALU_DEP_3)
	v_dual_add_f32 v82, v82, v3 :: v_dual_add_f32 v83, v83, v13
	v_dual_add_f32 v0, v2, v0 :: v_dual_add_f32 v85, v85, v1
	s_delay_alu instid0(VALU_DEP_3) | instskip(NEXT) | instid1(VALU_DEP_4)
	v_add_f32_e32 v84, v84, v4
	v_cmp_le_i32_e32 vcc_lo, s9, v72
	s_delay_alu instid0(VALU_DEP_3) | instskip(SKIP_1) | instid1(SALU_CYCLE_1)
	v_add_f32_e32 v73, v73, v0
	s_or_b32 s10, vcc_lo, s10
	s_and_not1_b32 exec_lo, exec_lo, s10
	s_cbranch_execz .LBB158_66
.LBB158_36:                             ; =>This Inner Loop Header: Depth=1
	global_load_b32 v0, v[88:89], off
	v_cmp_eq_u32_e32 vcc_lo, s5, v72
	v_or_b32_e32 v99, 3, v93
	v_or_b32_e32 v101, 2, v93
	;; [unrolled: 1-line block ×5, first 2 shown]
	v_dual_add_nc_u32 v100, 1, v93 :: v_dual_bitop2_b32 v97, 6, v93 bitop3:0x54
	s_wait_loadcnt 0x0
	v_ashrrev_i32_e32 v1, 31, v0
	s_delay_alu instid0(VALU_DEP_1) | instskip(NEXT) | instid1(VALU_DEP_1)
	v_mul_u64_e32 v[0:1], s[2:3], v[0:1]
	v_lshl_add_u64 v[0:1], v[0:1], 1, v[86:87]
	global_load_b128 v[2:5], v[0:1], off
	ds_load_2addr_b64 v[26:29], v94 offset1:1
	ds_load_2addr_b64 v[22:25], v94 offset0:2 offset1:3
	s_wait_xcnt 0x0
	s_and_saveexec_b32 s12, vcc_lo
	s_cbranch_execnz .LBB158_51
; %bb.37:                               ;   in Loop: Header=BB158_36 Depth=1
	s_or_b32 exec_lo, exec_lo, s12
	global_load_b128 v[6:9], v[0:1], off offset:512
	s_wait_xcnt 0x0
	s_and_saveexec_b32 s12, vcc_lo
	s_cbranch_execnz .LBB158_52
.LBB158_38:                             ;   in Loop: Header=BB158_36 Depth=1
	s_or_b32 exec_lo, exec_lo, s12
	global_load_b128 v[10:13], v[0:1], off offset:1024
	s_wait_xcnt 0x0
	s_and_saveexec_b32 s12, vcc_lo
	s_cbranch_execnz .LBB158_53
.LBB158_39:                             ;   in Loop: Header=BB158_36 Depth=1
	s_or_b32 exec_lo, exec_lo, s12
	global_load_b128 v[14:17], v[0:1], off offset:1536
	s_wait_xcnt 0x0
	s_and_saveexec_b32 s12, vcc_lo
	s_cbranch_execnz .LBB158_54
.LBB158_40:                             ;   in Loop: Header=BB158_36 Depth=1
	s_or_b32 exec_lo, exec_lo, s12
	global_load_b128 v[18:21], v[0:1], off offset:2048
	s_wait_xcnt 0x0
	s_and_saveexec_b32 s12, vcc_lo
	s_cbranch_execnz .LBB158_55
.LBB158_41:                             ;   in Loop: Header=BB158_36 Depth=1
	s_or_b32 exec_lo, exec_lo, s12
	global_load_b128 v[30:33], v[0:1], off offset:2560
	s_wait_xcnt 0x0
	s_and_saveexec_b32 s12, vcc_lo
	s_cbranch_execnz .LBB158_56
.LBB158_42:                             ;   in Loop: Header=BB158_36 Depth=1
	s_or_b32 exec_lo, exec_lo, s12
	global_load_b128 v[34:37], v[0:1], off offset:3072
	s_wait_xcnt 0x0
	s_and_saveexec_b32 s12, vcc_lo
	s_cbranch_execnz .LBB158_57
.LBB158_43:                             ;   in Loop: Header=BB158_36 Depth=1
	s_or_b32 exec_lo, exec_lo, s12
	global_load_b128 v[38:41], v[0:1], off offset:3584
	s_wait_xcnt 0x0
	s_and_saveexec_b32 s12, vcc_lo
	s_cbranch_execnz .LBB158_58
.LBB158_44:                             ;   in Loop: Header=BB158_36 Depth=1
	s_or_b32 exec_lo, exec_lo, s12
	global_load_b128 v[42:45], v[0:1], off offset:4096
	s_wait_xcnt 0x0
	s_and_saveexec_b32 s12, vcc_lo
	s_cbranch_execnz .LBB158_59
.LBB158_45:                             ;   in Loop: Header=BB158_36 Depth=1
	s_or_b32 exec_lo, exec_lo, s12
	global_load_b128 v[46:49], v[0:1], off offset:4608
	s_wait_xcnt 0x0
	s_and_saveexec_b32 s12, vcc_lo
	s_cbranch_execnz .LBB158_60
.LBB158_46:                             ;   in Loop: Header=BB158_36 Depth=1
	s_or_b32 exec_lo, exec_lo, s12
	global_load_b128 v[54:57], v[0:1], off offset:5120
	s_wait_xcnt 0x0
	s_and_saveexec_b32 s12, vcc_lo
	s_cbranch_execnz .LBB158_61
.LBB158_47:                             ;   in Loop: Header=BB158_36 Depth=1
	s_or_b32 exec_lo, exec_lo, s12
	global_load_b128 v[58:61], v[0:1], off offset:5632
	s_wait_xcnt 0x0
	s_and_saveexec_b32 s12, vcc_lo
	s_cbranch_execnz .LBB158_62
.LBB158_48:                             ;   in Loop: Header=BB158_36 Depth=1
	s_or_b32 exec_lo, exec_lo, s12
	global_load_b128 v[62:65], v[0:1], off offset:6144
	s_wait_xcnt 0x0
	s_and_saveexec_b32 s12, vcc_lo
	s_cbranch_execnz .LBB158_63
.LBB158_49:                             ;   in Loop: Header=BB158_36 Depth=1
	s_or_b32 exec_lo, exec_lo, s12
	global_load_b128 v[66:69], v[0:1], off offset:6656
	s_wait_xcnt 0x0
	s_and_saveexec_b32 s12, vcc_lo
	s_cbranch_execnz .LBB158_64
.LBB158_50:                             ;   in Loop: Header=BB158_36 Depth=1
	s_or_b32 exec_lo, exec_lo, s12
	global_load_b128 v[50:53], v[0:1], off offset:7168
	s_wait_xcnt 0x0
	s_and_saveexec_b32 s0, vcc_lo
	s_cbranch_execz .LBB158_35
	s_branch .LBB158_65
.LBB158_51:                             ;   in Loop: Header=BB158_36 Depth=1
	v_cmp_gt_i32_e64 s0, s21, v93
	s_wait_loadcnt 0x0
	v_dual_lshrrev_b32 v6, 16, v2 :: v_dual_lshrrev_b32 v8, 16, v4
	s_delay_alu instid0(VALU_DEP_2) | instskip(SKIP_1) | instid1(VALU_DEP_1)
	v_cndmask_b32_e64 v2, 0, v2, s0
	v_cmp_gt_i32_e64 s0, s11, v100
	v_dual_lshrrev_b32 v7, 16, v3 :: v_dual_cndmask_b32 v6, 0, v6, s0
	v_cmp_gt_i32_e64 s0, s21, v101
	s_delay_alu instid0(VALU_DEP_2) | instskip(NEXT) | instid1(VALU_DEP_2)
	v_perm_b32 v2, v6, v2, 0x5040100
	v_cndmask_b32_e64 v3, 0, v3, s0
	v_cmp_gt_i32_e64 s0, s11, v99
	s_delay_alu instid0(VALU_DEP_1) | instskip(SKIP_1) | instid1(VALU_DEP_1)
	v_cndmask_b32_e64 v7, 0, v7, s0
	v_cmp_gt_i32_e64 s0, s21, v98
	v_cndmask_b32_e64 v4, 0, v4, s0
	v_cmp_gt_i32_e64 s0, s11, v96
	v_lshrrev_b32_e32 v9, 16, v5
	v_perm_b32 v3, v7, v3, 0x5040100
	s_delay_alu instid0(VALU_DEP_3) | instskip(SKIP_1) | instid1(VALU_DEP_2)
	v_cndmask_b32_e64 v8, 0, v8, s0
	v_cmp_gt_i32_e64 s0, s21, v97
	v_perm_b32 v4, v8, v4, 0x5040100
	s_delay_alu instid0(VALU_DEP_2) | instskip(SKIP_1) | instid1(VALU_DEP_1)
	v_cndmask_b32_e64 v5, 0, v5, s0
	v_cmp_gt_i32_e64 s0, s11, v95
	v_cndmask_b32_e64 v9, 0, v9, s0
	s_delay_alu instid0(VALU_DEP_1)
	v_perm_b32 v5, v9, v5, 0x5040100
	s_or_b32 exec_lo, exec_lo, s12
	global_load_b128 v[6:9], v[0:1], off offset:512
	s_wait_xcnt 0x0
	s_and_saveexec_b32 s12, vcc_lo
	s_cbranch_execz .LBB158_38
.LBB158_52:                             ;   in Loop: Header=BB158_36 Depth=1
	v_cmp_gt_i32_e64 s0, s21, v93
	s_wait_loadcnt 0x0
	v_dual_lshrrev_b32 v10, 16, v6 :: v_dual_lshrrev_b32 v12, 16, v8
	s_delay_alu instid0(VALU_DEP_2) | instskip(SKIP_1) | instid1(VALU_DEP_1)
	v_cndmask_b32_e64 v6, 0, v6, s0
	v_cmp_gt_i32_e64 s0, s11, v100
	v_dual_lshrrev_b32 v11, 16, v7 :: v_dual_cndmask_b32 v10, 0, v10, s0
	v_cmp_gt_i32_e64 s0, s21, v101
	s_delay_alu instid0(VALU_DEP_2) | instskip(NEXT) | instid1(VALU_DEP_2)
	v_perm_b32 v6, v10, v6, 0x5040100
	v_cndmask_b32_e64 v7, 0, v7, s0
	v_cmp_gt_i32_e64 s0, s11, v99
	s_delay_alu instid0(VALU_DEP_1) | instskip(SKIP_1) | instid1(VALU_DEP_1)
	v_cndmask_b32_e64 v11, 0, v11, s0
	v_cmp_gt_i32_e64 s0, s21, v98
	v_cndmask_b32_e64 v8, 0, v8, s0
	v_cmp_gt_i32_e64 s0, s11, v96
	v_lshrrev_b32_e32 v13, 16, v9
	v_perm_b32 v7, v11, v7, 0x5040100
	s_delay_alu instid0(VALU_DEP_3) | instskip(SKIP_1) | instid1(VALU_DEP_2)
	v_cndmask_b32_e64 v12, 0, v12, s0
	v_cmp_gt_i32_e64 s0, s21, v97
	v_perm_b32 v8, v12, v8, 0x5040100
	s_delay_alu instid0(VALU_DEP_2) | instskip(SKIP_1) | instid1(VALU_DEP_1)
	v_cndmask_b32_e64 v9, 0, v9, s0
	v_cmp_gt_i32_e64 s0, s11, v95
	v_cndmask_b32_e64 v13, 0, v13, s0
	s_delay_alu instid0(VALU_DEP_1)
	v_perm_b32 v9, v13, v9, 0x5040100
	s_or_b32 exec_lo, exec_lo, s12
	global_load_b128 v[10:13], v[0:1], off offset:1024
	s_wait_xcnt 0x0
	s_and_saveexec_b32 s12, vcc_lo
	s_cbranch_execz .LBB158_39
.LBB158_53:                             ;   in Loop: Header=BB158_36 Depth=1
	v_cmp_gt_i32_e64 s0, s21, v93
	s_wait_loadcnt 0x0
	v_dual_lshrrev_b32 v14, 16, v10 :: v_dual_lshrrev_b32 v16, 16, v12
	s_delay_alu instid0(VALU_DEP_2) | instskip(SKIP_1) | instid1(VALU_DEP_1)
	v_cndmask_b32_e64 v10, 0, v10, s0
	v_cmp_gt_i32_e64 s0, s11, v100
	v_dual_lshrrev_b32 v15, 16, v11 :: v_dual_cndmask_b32 v14, 0, v14, s0
	v_cmp_gt_i32_e64 s0, s21, v101
	s_delay_alu instid0(VALU_DEP_2) | instskip(NEXT) | instid1(VALU_DEP_2)
	v_perm_b32 v10, v14, v10, 0x5040100
	v_cndmask_b32_e64 v11, 0, v11, s0
	v_cmp_gt_i32_e64 s0, s11, v99
	s_delay_alu instid0(VALU_DEP_1) | instskip(SKIP_1) | instid1(VALU_DEP_1)
	v_cndmask_b32_e64 v15, 0, v15, s0
	v_cmp_gt_i32_e64 s0, s21, v98
	v_cndmask_b32_e64 v12, 0, v12, s0
	v_cmp_gt_i32_e64 s0, s11, v96
	v_lshrrev_b32_e32 v17, 16, v13
	v_perm_b32 v11, v15, v11, 0x5040100
	s_delay_alu instid0(VALU_DEP_3) | instskip(SKIP_1) | instid1(VALU_DEP_2)
	v_cndmask_b32_e64 v16, 0, v16, s0
	v_cmp_gt_i32_e64 s0, s21, v97
	v_perm_b32 v12, v16, v12, 0x5040100
	s_delay_alu instid0(VALU_DEP_2) | instskip(SKIP_1) | instid1(VALU_DEP_1)
	v_cndmask_b32_e64 v13, 0, v13, s0
	v_cmp_gt_i32_e64 s0, s11, v95
	v_cndmask_b32_e64 v17, 0, v17, s0
	s_delay_alu instid0(VALU_DEP_1)
	v_perm_b32 v13, v17, v13, 0x5040100
	s_or_b32 exec_lo, exec_lo, s12
	global_load_b128 v[14:17], v[0:1], off offset:1536
	s_wait_xcnt 0x0
	s_and_saveexec_b32 s12, vcc_lo
	s_cbranch_execz .LBB158_40
.LBB158_54:                             ;   in Loop: Header=BB158_36 Depth=1
	v_cmp_gt_i32_e64 s0, s21, v93
	s_wait_loadcnt 0x0
	v_dual_lshrrev_b32 v18, 16, v14 :: v_dual_lshrrev_b32 v20, 16, v16
	s_delay_alu instid0(VALU_DEP_2) | instskip(SKIP_1) | instid1(VALU_DEP_1)
	v_cndmask_b32_e64 v14, 0, v14, s0
	v_cmp_gt_i32_e64 s0, s11, v100
	v_dual_lshrrev_b32 v19, 16, v15 :: v_dual_cndmask_b32 v18, 0, v18, s0
	v_cmp_gt_i32_e64 s0, s21, v101
	s_delay_alu instid0(VALU_DEP_2) | instskip(NEXT) | instid1(VALU_DEP_2)
	v_perm_b32 v14, v18, v14, 0x5040100
	v_cndmask_b32_e64 v15, 0, v15, s0
	v_cmp_gt_i32_e64 s0, s11, v99
	s_delay_alu instid0(VALU_DEP_1) | instskip(SKIP_1) | instid1(VALU_DEP_1)
	v_cndmask_b32_e64 v19, 0, v19, s0
	v_cmp_gt_i32_e64 s0, s21, v98
	v_cndmask_b32_e64 v16, 0, v16, s0
	v_cmp_gt_i32_e64 s0, s11, v96
	v_lshrrev_b32_e32 v21, 16, v17
	v_perm_b32 v15, v19, v15, 0x5040100
	s_delay_alu instid0(VALU_DEP_3) | instskip(SKIP_1) | instid1(VALU_DEP_2)
	v_cndmask_b32_e64 v20, 0, v20, s0
	v_cmp_gt_i32_e64 s0, s21, v97
	v_perm_b32 v16, v20, v16, 0x5040100
	s_delay_alu instid0(VALU_DEP_2) | instskip(SKIP_1) | instid1(VALU_DEP_1)
	v_cndmask_b32_e64 v17, 0, v17, s0
	v_cmp_gt_i32_e64 s0, s11, v95
	v_cndmask_b32_e64 v21, 0, v21, s0
	s_delay_alu instid0(VALU_DEP_1)
	v_perm_b32 v17, v21, v17, 0x5040100
	s_or_b32 exec_lo, exec_lo, s12
	global_load_b128 v[18:21], v[0:1], off offset:2048
	s_wait_xcnt 0x0
	s_and_saveexec_b32 s12, vcc_lo
	s_cbranch_execz .LBB158_41
.LBB158_55:                             ;   in Loop: Header=BB158_36 Depth=1
	v_cmp_gt_i32_e64 s0, s21, v93
	s_wait_loadcnt 0x0
	v_dual_lshrrev_b32 v30, 16, v18 :: v_dual_lshrrev_b32 v32, 16, v20
	s_delay_alu instid0(VALU_DEP_2) | instskip(SKIP_1) | instid1(VALU_DEP_1)
	v_cndmask_b32_e64 v18, 0, v18, s0
	v_cmp_gt_i32_e64 s0, s11, v100
	v_dual_lshrrev_b32 v31, 16, v19 :: v_dual_cndmask_b32 v30, 0, v30, s0
	v_cmp_gt_i32_e64 s0, s21, v101
	s_delay_alu instid0(VALU_DEP_2) | instskip(NEXT) | instid1(VALU_DEP_2)
	v_perm_b32 v18, v30, v18, 0x5040100
	v_cndmask_b32_e64 v19, 0, v19, s0
	v_cmp_gt_i32_e64 s0, s11, v99
	s_delay_alu instid0(VALU_DEP_1) | instskip(SKIP_1) | instid1(VALU_DEP_1)
	v_cndmask_b32_e64 v31, 0, v31, s0
	v_cmp_gt_i32_e64 s0, s21, v98
	v_cndmask_b32_e64 v20, 0, v20, s0
	v_cmp_gt_i32_e64 s0, s11, v96
	v_lshrrev_b32_e32 v33, 16, v21
	v_perm_b32 v19, v31, v19, 0x5040100
	s_delay_alu instid0(VALU_DEP_3) | instskip(SKIP_1) | instid1(VALU_DEP_2)
	v_cndmask_b32_e64 v32, 0, v32, s0
	v_cmp_gt_i32_e64 s0, s21, v97
	v_perm_b32 v20, v32, v20, 0x5040100
	s_delay_alu instid0(VALU_DEP_2) | instskip(SKIP_1) | instid1(VALU_DEP_1)
	v_cndmask_b32_e64 v21, 0, v21, s0
	v_cmp_gt_i32_e64 s0, s11, v95
	v_cndmask_b32_e64 v33, 0, v33, s0
	s_delay_alu instid0(VALU_DEP_1)
	v_perm_b32 v21, v33, v21, 0x5040100
	s_or_b32 exec_lo, exec_lo, s12
	global_load_b128 v[30:33], v[0:1], off offset:2560
	s_wait_xcnt 0x0
	s_and_saveexec_b32 s12, vcc_lo
	s_cbranch_execz .LBB158_42
.LBB158_56:                             ;   in Loop: Header=BB158_36 Depth=1
	v_cmp_gt_i32_e64 s0, s21, v93
	s_wait_loadcnt 0x0
	v_dual_lshrrev_b32 v34, 16, v30 :: v_dual_lshrrev_b32 v36, 16, v32
	s_delay_alu instid0(VALU_DEP_2) | instskip(SKIP_1) | instid1(VALU_DEP_1)
	v_cndmask_b32_e64 v30, 0, v30, s0
	v_cmp_gt_i32_e64 s0, s11, v100
	v_dual_lshrrev_b32 v35, 16, v31 :: v_dual_cndmask_b32 v34, 0, v34, s0
	v_cmp_gt_i32_e64 s0, s21, v101
	s_delay_alu instid0(VALU_DEP_2) | instskip(NEXT) | instid1(VALU_DEP_2)
	v_perm_b32 v30, v34, v30, 0x5040100
	v_cndmask_b32_e64 v31, 0, v31, s0
	v_cmp_gt_i32_e64 s0, s11, v99
	s_delay_alu instid0(VALU_DEP_1) | instskip(SKIP_1) | instid1(VALU_DEP_1)
	v_cndmask_b32_e64 v35, 0, v35, s0
	v_cmp_gt_i32_e64 s0, s21, v98
	v_cndmask_b32_e64 v32, 0, v32, s0
	v_cmp_gt_i32_e64 s0, s11, v96
	v_lshrrev_b32_e32 v37, 16, v33
	v_perm_b32 v31, v35, v31, 0x5040100
	s_delay_alu instid0(VALU_DEP_3) | instskip(SKIP_1) | instid1(VALU_DEP_2)
	v_cndmask_b32_e64 v36, 0, v36, s0
	v_cmp_gt_i32_e64 s0, s21, v97
	v_perm_b32 v32, v36, v32, 0x5040100
	s_delay_alu instid0(VALU_DEP_2) | instskip(SKIP_1) | instid1(VALU_DEP_1)
	v_cndmask_b32_e64 v33, 0, v33, s0
	v_cmp_gt_i32_e64 s0, s11, v95
	v_cndmask_b32_e64 v37, 0, v37, s0
	s_delay_alu instid0(VALU_DEP_1)
	v_perm_b32 v33, v37, v33, 0x5040100
	s_or_b32 exec_lo, exec_lo, s12
	global_load_b128 v[34:37], v[0:1], off offset:3072
	s_wait_xcnt 0x0
	s_and_saveexec_b32 s12, vcc_lo
	s_cbranch_execz .LBB158_43
.LBB158_57:                             ;   in Loop: Header=BB158_36 Depth=1
	v_cmp_gt_i32_e64 s0, s21, v93
	s_wait_loadcnt 0x0
	v_dual_lshrrev_b32 v38, 16, v34 :: v_dual_lshrrev_b32 v40, 16, v36
	s_delay_alu instid0(VALU_DEP_2) | instskip(SKIP_1) | instid1(VALU_DEP_1)
	v_cndmask_b32_e64 v34, 0, v34, s0
	v_cmp_gt_i32_e64 s0, s11, v100
	v_dual_lshrrev_b32 v39, 16, v35 :: v_dual_cndmask_b32 v38, 0, v38, s0
	v_cmp_gt_i32_e64 s0, s21, v101
	s_delay_alu instid0(VALU_DEP_2) | instskip(NEXT) | instid1(VALU_DEP_2)
	v_perm_b32 v34, v38, v34, 0x5040100
	v_cndmask_b32_e64 v35, 0, v35, s0
	v_cmp_gt_i32_e64 s0, s11, v99
	s_delay_alu instid0(VALU_DEP_1) | instskip(SKIP_1) | instid1(VALU_DEP_1)
	v_cndmask_b32_e64 v39, 0, v39, s0
	v_cmp_gt_i32_e64 s0, s21, v98
	v_cndmask_b32_e64 v36, 0, v36, s0
	v_cmp_gt_i32_e64 s0, s11, v96
	v_lshrrev_b32_e32 v41, 16, v37
	v_perm_b32 v35, v39, v35, 0x5040100
	s_delay_alu instid0(VALU_DEP_3) | instskip(SKIP_1) | instid1(VALU_DEP_2)
	v_cndmask_b32_e64 v40, 0, v40, s0
	v_cmp_gt_i32_e64 s0, s21, v97
	v_perm_b32 v36, v40, v36, 0x5040100
	s_delay_alu instid0(VALU_DEP_2) | instskip(SKIP_1) | instid1(VALU_DEP_1)
	v_cndmask_b32_e64 v37, 0, v37, s0
	v_cmp_gt_i32_e64 s0, s11, v95
	v_cndmask_b32_e64 v41, 0, v41, s0
	s_delay_alu instid0(VALU_DEP_1)
	v_perm_b32 v37, v41, v37, 0x5040100
	s_or_b32 exec_lo, exec_lo, s12
	global_load_b128 v[38:41], v[0:1], off offset:3584
	s_wait_xcnt 0x0
	s_and_saveexec_b32 s12, vcc_lo
	s_cbranch_execz .LBB158_44
.LBB158_58:                             ;   in Loop: Header=BB158_36 Depth=1
	v_cmp_gt_i32_e64 s0, s21, v93
	s_wait_loadcnt 0x0
	v_dual_lshrrev_b32 v42, 16, v38 :: v_dual_lshrrev_b32 v44, 16, v40
	s_delay_alu instid0(VALU_DEP_2) | instskip(SKIP_1) | instid1(VALU_DEP_1)
	v_cndmask_b32_e64 v38, 0, v38, s0
	v_cmp_gt_i32_e64 s0, s11, v100
	v_dual_lshrrev_b32 v43, 16, v39 :: v_dual_cndmask_b32 v42, 0, v42, s0
	v_cmp_gt_i32_e64 s0, s21, v101
	s_delay_alu instid0(VALU_DEP_2) | instskip(NEXT) | instid1(VALU_DEP_2)
	v_perm_b32 v38, v42, v38, 0x5040100
	v_cndmask_b32_e64 v39, 0, v39, s0
	v_cmp_gt_i32_e64 s0, s11, v99
	s_delay_alu instid0(VALU_DEP_1) | instskip(SKIP_1) | instid1(VALU_DEP_1)
	v_cndmask_b32_e64 v43, 0, v43, s0
	v_cmp_gt_i32_e64 s0, s21, v98
	v_cndmask_b32_e64 v40, 0, v40, s0
	v_cmp_gt_i32_e64 s0, s11, v96
	v_lshrrev_b32_e32 v45, 16, v41
	v_perm_b32 v39, v43, v39, 0x5040100
	s_delay_alu instid0(VALU_DEP_3) | instskip(SKIP_1) | instid1(VALU_DEP_2)
	v_cndmask_b32_e64 v44, 0, v44, s0
	v_cmp_gt_i32_e64 s0, s21, v97
	v_perm_b32 v40, v44, v40, 0x5040100
	s_delay_alu instid0(VALU_DEP_2) | instskip(SKIP_1) | instid1(VALU_DEP_1)
	v_cndmask_b32_e64 v41, 0, v41, s0
	v_cmp_gt_i32_e64 s0, s11, v95
	v_cndmask_b32_e64 v45, 0, v45, s0
	s_delay_alu instid0(VALU_DEP_1)
	v_perm_b32 v41, v45, v41, 0x5040100
	s_or_b32 exec_lo, exec_lo, s12
	global_load_b128 v[42:45], v[0:1], off offset:4096
	s_wait_xcnt 0x0
	s_and_saveexec_b32 s12, vcc_lo
	s_cbranch_execz .LBB158_45
.LBB158_59:                             ;   in Loop: Header=BB158_36 Depth=1
	v_cmp_gt_i32_e64 s0, s21, v93
	s_wait_loadcnt 0x0
	v_dual_lshrrev_b32 v46, 16, v42 :: v_dual_lshrrev_b32 v48, 16, v44
	s_delay_alu instid0(VALU_DEP_2) | instskip(SKIP_1) | instid1(VALU_DEP_1)
	v_cndmask_b32_e64 v42, 0, v42, s0
	v_cmp_gt_i32_e64 s0, s11, v100
	v_dual_lshrrev_b32 v47, 16, v43 :: v_dual_cndmask_b32 v46, 0, v46, s0
	v_cmp_gt_i32_e64 s0, s21, v101
	s_delay_alu instid0(VALU_DEP_2) | instskip(NEXT) | instid1(VALU_DEP_2)
	v_perm_b32 v42, v46, v42, 0x5040100
	v_cndmask_b32_e64 v43, 0, v43, s0
	v_cmp_gt_i32_e64 s0, s11, v99
	s_delay_alu instid0(VALU_DEP_1) | instskip(SKIP_1) | instid1(VALU_DEP_1)
	v_cndmask_b32_e64 v47, 0, v47, s0
	v_cmp_gt_i32_e64 s0, s21, v98
	v_cndmask_b32_e64 v44, 0, v44, s0
	v_cmp_gt_i32_e64 s0, s11, v96
	v_lshrrev_b32_e32 v49, 16, v45
	v_perm_b32 v43, v47, v43, 0x5040100
	s_delay_alu instid0(VALU_DEP_3) | instskip(SKIP_1) | instid1(VALU_DEP_2)
	v_cndmask_b32_e64 v48, 0, v48, s0
	v_cmp_gt_i32_e64 s0, s21, v97
	v_perm_b32 v44, v48, v44, 0x5040100
	s_delay_alu instid0(VALU_DEP_2) | instskip(SKIP_1) | instid1(VALU_DEP_1)
	v_cndmask_b32_e64 v45, 0, v45, s0
	v_cmp_gt_i32_e64 s0, s11, v95
	v_cndmask_b32_e64 v49, 0, v49, s0
	s_delay_alu instid0(VALU_DEP_1)
	v_perm_b32 v45, v49, v45, 0x5040100
	s_or_b32 exec_lo, exec_lo, s12
	global_load_b128 v[46:49], v[0:1], off offset:4608
	s_wait_xcnt 0x0
	s_and_saveexec_b32 s12, vcc_lo
	s_cbranch_execz .LBB158_46
.LBB158_60:                             ;   in Loop: Header=BB158_36 Depth=1
	v_cmp_gt_i32_e64 s0, s21, v93
	s_wait_loadcnt 0x0
	v_dual_lshrrev_b32 v50, 16, v46 :: v_dual_lshrrev_b32 v52, 16, v48
	s_delay_alu instid0(VALU_DEP_2) | instskip(SKIP_1) | instid1(VALU_DEP_1)
	v_cndmask_b32_e64 v46, 0, v46, s0
	v_cmp_gt_i32_e64 s0, s11, v100
	v_dual_lshrrev_b32 v51, 16, v47 :: v_dual_cndmask_b32 v50, 0, v50, s0
	v_cmp_gt_i32_e64 s0, s21, v101
	s_delay_alu instid0(VALU_DEP_2) | instskip(NEXT) | instid1(VALU_DEP_2)
	v_perm_b32 v46, v50, v46, 0x5040100
	v_cndmask_b32_e64 v47, 0, v47, s0
	v_cmp_gt_i32_e64 s0, s11, v99
	s_delay_alu instid0(VALU_DEP_1) | instskip(SKIP_1) | instid1(VALU_DEP_1)
	v_cndmask_b32_e64 v51, 0, v51, s0
	v_cmp_gt_i32_e64 s0, s21, v98
	v_cndmask_b32_e64 v48, 0, v48, s0
	v_cmp_gt_i32_e64 s0, s11, v96
	v_lshrrev_b32_e32 v53, 16, v49
	v_perm_b32 v47, v51, v47, 0x5040100
	s_delay_alu instid0(VALU_DEP_3) | instskip(SKIP_1) | instid1(VALU_DEP_2)
	v_cndmask_b32_e64 v52, 0, v52, s0
	v_cmp_gt_i32_e64 s0, s21, v97
	v_perm_b32 v48, v52, v48, 0x5040100
	s_delay_alu instid0(VALU_DEP_2) | instskip(SKIP_1) | instid1(VALU_DEP_1)
	v_cndmask_b32_e64 v49, 0, v49, s0
	v_cmp_gt_i32_e64 s0, s11, v95
	v_cndmask_b32_e64 v53, 0, v53, s0
	s_delay_alu instid0(VALU_DEP_1)
	v_perm_b32 v49, v53, v49, 0x5040100
	s_or_b32 exec_lo, exec_lo, s12
	global_load_b128 v[54:57], v[0:1], off offset:5120
	s_wait_xcnt 0x0
	s_and_saveexec_b32 s12, vcc_lo
	s_cbranch_execz .LBB158_47
.LBB158_61:                             ;   in Loop: Header=BB158_36 Depth=1
	v_cmp_gt_i32_e64 s0, s21, v93
	s_wait_loadcnt 0x0
	s_delay_alu instid0(VALU_DEP_1) | instskip(SKIP_1) | instid1(VALU_DEP_1)
	v_dual_lshrrev_b32 v50, 16, v54 :: v_dual_cndmask_b32 v51, 0, v54, s0
	v_cmp_gt_i32_e64 s0, s11, v100
	v_dual_lshrrev_b32 v52, 16, v55 :: v_dual_cndmask_b32 v50, 0, v50, s0
	v_cmp_gt_i32_e64 s0, s21, v101
	s_delay_alu instid0(VALU_DEP_1) | instskip(SKIP_1) | instid1(VALU_DEP_1)
	v_cndmask_b32_e64 v53, 0, v55, s0
	v_cmp_gt_i32_e64 s0, s11, v99
	v_cndmask_b32_e64 v52, 0, v52, s0
	v_cmp_gt_i32_e64 s0, s21, v98
	s_delay_alu instid0(VALU_DEP_1) | instskip(SKIP_1) | instid1(VALU_DEP_1)
	v_dual_lshrrev_b32 v54, 16, v56 :: v_dual_cndmask_b32 v56, 0, v56, s0
	v_cmp_gt_i32_e64 s0, s11, v96
	v_dual_lshrrev_b32 v55, 16, v57 :: v_dual_cndmask_b32 v58, 0, v54, s0
	v_cmp_gt_i32_e64 s0, s21, v97
	v_perm_b32 v54, v50, v51, 0x5040100
	s_delay_alu instid0(VALU_DEP_3) | instskip(NEXT) | instid1(VALU_DEP_3)
	v_perm_b32 v56, v58, v56, 0x5040100
	v_cndmask_b32_e64 v57, 0, v57, s0
	v_cmp_gt_i32_e64 s0, s11, v95
	s_delay_alu instid0(VALU_DEP_1) | instskip(SKIP_1) | instid1(VALU_DEP_2)
	v_cndmask_b32_e64 v59, 0, v55, s0
	v_perm_b32 v55, v52, v53, 0x5040100
	v_perm_b32 v57, v59, v57, 0x5040100
	s_or_b32 exec_lo, exec_lo, s12
	global_load_b128 v[58:61], v[0:1], off offset:5632
	s_wait_xcnt 0x0
	s_and_saveexec_b32 s12, vcc_lo
	s_cbranch_execz .LBB158_48
.LBB158_62:                             ;   in Loop: Header=BB158_36 Depth=1
	v_cmp_gt_i32_e64 s0, s21, v93
	s_wait_loadcnt 0x0
	s_delay_alu instid0(VALU_DEP_1) | instskip(SKIP_1) | instid1(VALU_DEP_1)
	v_dual_lshrrev_b32 v50, 16, v58 :: v_dual_cndmask_b32 v51, 0, v58, s0
	v_cmp_gt_i32_e64 s0, s11, v100
	v_dual_lshrrev_b32 v52, 16, v59 :: v_dual_cndmask_b32 v50, 0, v50, s0
	v_cmp_gt_i32_e64 s0, s21, v101
	s_delay_alu instid0(VALU_DEP_1) | instskip(SKIP_1) | instid1(VALU_DEP_1)
	v_cndmask_b32_e64 v53, 0, v59, s0
	v_cmp_gt_i32_e64 s0, s11, v99
	v_cndmask_b32_e64 v52, 0, v52, s0
	v_cmp_gt_i32_e64 s0, s21, v98
	s_delay_alu instid0(VALU_DEP_1) | instskip(SKIP_1) | instid1(VALU_DEP_1)
	v_dual_lshrrev_b32 v58, 16, v60 :: v_dual_cndmask_b32 v60, 0, v60, s0
	v_cmp_gt_i32_e64 s0, s11, v96
	v_dual_lshrrev_b32 v59, 16, v61 :: v_dual_cndmask_b32 v62, 0, v58, s0
	v_cmp_gt_i32_e64 s0, s21, v97
	v_perm_b32 v58, v50, v51, 0x5040100
	s_delay_alu instid0(VALU_DEP_3) | instskip(NEXT) | instid1(VALU_DEP_3)
	v_perm_b32 v60, v62, v60, 0x5040100
	v_cndmask_b32_e64 v61, 0, v61, s0
	v_cmp_gt_i32_e64 s0, s11, v95
	s_delay_alu instid0(VALU_DEP_1) | instskip(SKIP_1) | instid1(VALU_DEP_2)
	v_cndmask_b32_e64 v63, 0, v59, s0
	v_perm_b32 v59, v52, v53, 0x5040100
	v_perm_b32 v61, v63, v61, 0x5040100
	s_or_b32 exec_lo, exec_lo, s12
	global_load_b128 v[62:65], v[0:1], off offset:6144
	s_wait_xcnt 0x0
	s_and_saveexec_b32 s12, vcc_lo
	s_cbranch_execz .LBB158_49
.LBB158_63:                             ;   in Loop: Header=BB158_36 Depth=1
	v_cmp_gt_i32_e64 s0, s21, v93
	s_wait_loadcnt 0x0
	s_delay_alu instid0(VALU_DEP_1) | instskip(SKIP_1) | instid1(VALU_DEP_1)
	v_dual_lshrrev_b32 v50, 16, v62 :: v_dual_cndmask_b32 v51, 0, v62, s0
	v_cmp_gt_i32_e64 s0, s11, v100
	v_dual_lshrrev_b32 v52, 16, v63 :: v_dual_cndmask_b32 v50, 0, v50, s0
	v_cmp_gt_i32_e64 s0, s21, v101
	s_delay_alu instid0(VALU_DEP_1) | instskip(SKIP_1) | instid1(VALU_DEP_1)
	v_cndmask_b32_e64 v53, 0, v63, s0
	v_cmp_gt_i32_e64 s0, s11, v99
	v_cndmask_b32_e64 v52, 0, v52, s0
	v_cmp_gt_i32_e64 s0, s21, v98
	s_delay_alu instid0(VALU_DEP_1) | instskip(SKIP_1) | instid1(VALU_DEP_1)
	v_dual_lshrrev_b32 v62, 16, v64 :: v_dual_cndmask_b32 v64, 0, v64, s0
	v_cmp_gt_i32_e64 s0, s11, v96
	v_dual_lshrrev_b32 v63, 16, v65 :: v_dual_cndmask_b32 v66, 0, v62, s0
	v_cmp_gt_i32_e64 s0, s21, v97
	v_perm_b32 v62, v50, v51, 0x5040100
	s_delay_alu instid0(VALU_DEP_3) | instskip(NEXT) | instid1(VALU_DEP_3)
	v_perm_b32 v64, v66, v64, 0x5040100
	v_cndmask_b32_e64 v65, 0, v65, s0
	v_cmp_gt_i32_e64 s0, s11, v95
	s_delay_alu instid0(VALU_DEP_1) | instskip(SKIP_1) | instid1(VALU_DEP_2)
	v_cndmask_b32_e64 v67, 0, v63, s0
	v_perm_b32 v63, v52, v53, 0x5040100
	v_perm_b32 v65, v67, v65, 0x5040100
	s_or_b32 exec_lo, exec_lo, s12
	global_load_b128 v[66:69], v[0:1], off offset:6656
	s_wait_xcnt 0x0
	s_and_saveexec_b32 s12, vcc_lo
	s_cbranch_execz .LBB158_50
.LBB158_64:                             ;   in Loop: Header=BB158_36 Depth=1
	v_cmp_gt_i32_e64 s0, s21, v93
	s_wait_loadcnt 0x0
	s_delay_alu instid0(VALU_DEP_1) | instskip(SKIP_1) | instid1(VALU_DEP_1)
	v_dual_lshrrev_b32 v50, 16, v66 :: v_dual_cndmask_b32 v51, 0, v66, s0
	v_cmp_gt_i32_e64 s0, s11, v100
	v_dual_lshrrev_b32 v52, 16, v67 :: v_dual_cndmask_b32 v50, 0, v50, s0
	v_cmp_gt_i32_e64 s0, s21, v101
	s_delay_alu instid0(VALU_DEP_1) | instskip(SKIP_1) | instid1(VALU_DEP_1)
	v_cndmask_b32_e64 v53, 0, v67, s0
	v_cmp_gt_i32_e64 s0, s11, v99
	v_cndmask_b32_e64 v52, 0, v52, s0
	v_cmp_gt_i32_e64 s0, s21, v98
	s_delay_alu instid0(VALU_DEP_1) | instskip(SKIP_1) | instid1(VALU_DEP_1)
	v_dual_lshrrev_b32 v66, 16, v68 :: v_dual_cndmask_b32 v68, 0, v68, s0
	v_cmp_gt_i32_e64 s0, s11, v96
	v_dual_lshrrev_b32 v67, 16, v69 :: v_dual_cndmask_b32 v102, 0, v66, s0
	v_cmp_gt_i32_e64 s0, s21, v97
	v_perm_b32 v66, v50, v51, 0x5040100
	s_delay_alu instid0(VALU_DEP_3) | instskip(NEXT) | instid1(VALU_DEP_3)
	v_perm_b32 v68, v102, v68, 0x5040100
	v_cndmask_b32_e64 v69, 0, v69, s0
	v_cmp_gt_i32_e64 s0, s11, v95
	s_delay_alu instid0(VALU_DEP_1) | instskip(SKIP_1) | instid1(VALU_DEP_2)
	v_cndmask_b32_e64 v103, 0, v67, s0
	v_perm_b32 v67, v52, v53, 0x5040100
	v_perm_b32 v69, v103, v69, 0x5040100
	s_or_b32 exec_lo, exec_lo, s12
	global_load_b128 v[50:53], v[0:1], off offset:7168
	s_wait_xcnt 0x0
	s_and_saveexec_b32 s0, vcc_lo
	s_cbranch_execz .LBB158_35
.LBB158_65:                             ;   in Loop: Header=BB158_36 Depth=1
	v_cmp_gt_i32_e32 vcc_lo, s21, v93
	s_wait_loadcnt 0x0
	v_dual_cndmask_b32 v1, 0, v50 :: v_dual_lshrrev_b32 v0, 16, v50
	v_cmp_gt_i32_e32 vcc_lo, s11, v100
	s_delay_alu instid0(VALU_DEP_2) | instskip(SKIP_3) | instid1(VALU_DEP_4)
	v_dual_lshrrev_b32 v50, 16, v51 :: v_dual_cndmask_b32 v0, 0, v0, vcc_lo
	v_cmp_gt_i32_e32 vcc_lo, s21, v101
	v_cndmask_b32_e32 v51, 0, v51, vcc_lo
	v_cmp_gt_i32_e32 vcc_lo, s11, v99
	v_cndmask_b32_e32 v99, 0, v50, vcc_lo
	v_cmp_gt_i32_e32 vcc_lo, s21, v98
	v_lshrrev_b32_e32 v50, 16, v52
	s_delay_alu instid0(VALU_DEP_3) | instskip(SKIP_2) | instid1(VALU_DEP_4)
	v_perm_b32 v51, v99, v51, 0x5040100
	v_cndmask_b32_e32 v52, 0, v52, vcc_lo
	v_cmp_gt_i32_e32 vcc_lo, s11, v96
	v_dual_lshrrev_b32 v98, 16, v53 :: v_dual_cndmask_b32 v96, 0, v50, vcc_lo
	v_cmp_gt_i32_e32 vcc_lo, s21, v97
	v_perm_b32 v50, v0, v1, 0x5040100
	s_delay_alu instid0(VALU_DEP_3) | instskip(SKIP_3) | instid1(VALU_DEP_1)
	v_perm_b32 v52, v96, v52, 0x5040100
	v_cndmask_b32_e32 v53, 0, v53, vcc_lo
	v_cmp_gt_i32_e32 vcc_lo, s11, v95
	v_cndmask_b32_e32 v95, 0, v98, vcc_lo
	v_perm_b32 v53, v95, v53, 0x5040100
	s_branch .LBB158_35
.LBB158_66:
	s_or_b32 exec_lo, exec_lo, s10
.LBB158_67:
	s_delay_alu instid0(SALU_CYCLE_1)
	s_or_b32 exec_lo, exec_lo, s1
	ds_bpermute_b32 v0, v91, v84
	ds_bpermute_b32 v1, v91, v85
	;; [unrolled: 1-line block ×15, first 2 shown]
	v_and_b32_e32 v34, 0x3c3, v104
	s_mov_b32 s0, exec_lo
	s_wait_dscnt 0x0
	s_barrier_signal -1
	s_barrier_wait -1
	v_pk_add_f32 v[0:1], v[84:85], v[0:1]
	v_pk_add_f32 v[2:3], v[82:83], v[2:3]
	;; [unrolled: 1-line block ×4, first 2 shown]
	ds_bpermute_b32 v18, v90, v2
	v_pk_add_f32 v[16:17], v[76:77], v[8:9]
	ds_bpermute_b32 v8, v90, v0
	v_pk_add_f32 v[24:25], v[74:75], v[10:11]
	;; [unrolled: 2-line block ×3, first 2 shown]
	ds_bpermute_b32 v19, v90, v3
	ds_bpermute_b32 v20, v90, v4
	ds_bpermute_b32 v21, v90, v5
	ds_bpermute_b32 v22, v90, v6
	ds_bpermute_b32 v23, v90, v7
	ds_bpermute_b32 v28, v90, v16
	ds_bpermute_b32 v29, v90, v17
	ds_bpermute_b32 v30, v90, v24
	ds_bpermute_b32 v31, v90, v25
	ds_bpermute_b32 v32, v90, v26
	ds_bpermute_b32 v33, v90, v27
	v_add_f32_e32 v14, v73, v14
	ds_bpermute_b32 v15, v90, v14
	s_wait_dscnt 0xc
	v_pk_add_f32 v[12:13], v[0:1], v[8:9]
	s_wait_dscnt 0xb
	v_pk_add_f32 v[10:11], v[2:3], v[18:19]
	;; [unrolled: 2-line block ×5, first 2 shown]
	v_and_b32_e32 v16, 28, v106
	s_wait_dscnt 0x3
	v_pk_add_f32 v[2:3], v[24:25], v[30:31]
	s_wait_dscnt 0x1
	v_pk_add_f32 v[0:1], v[26:27], v[32:33]
	v_cmpx_ne_u32_e32 64, v34
	s_xor_b32 s0, exec_lo, s0
	s_delay_alu instid0(SALU_CYCLE_1)
	s_or_saveexec_b32 s0, s0
	s_wait_dscnt 0x0
	v_dual_add_f32 v14, v14, v15 :: v_dual_lshrrev_b32 v15, 2, v106
	v_add_nc_u32_e32 v16, 0x110, v16
	v_mul_u32_u24_e32 v17, 0x1e0, v105
	s_xor_b32 exec_lo, exec_lo, s0
	s_cbranch_execz .LBB158_69
; %bb.68:
	s_delay_alu instid0(VALU_DEP_1) | instskip(NEXT) | instid1(VALU_DEP_1)
	v_add_nc_u32_e32 v18, v16, v17
	v_add_nc_u32_e32 v19, 0xfffffc40, v18
	;; [unrolled: 1-line block ×9, first 2 shown]
	ds_store_b32 v19, v12
	ds_store_b32 v20, v13
	;; [unrolled: 1-line block ×8, first 2 shown]
	v_add_nc_u32_e32 v19, 0xfffffd40, v18
	v_add_nc_u32_e32 v20, 0xfffffd60, v18
	;; [unrolled: 1-line block ×7, first 2 shown]
	ds_store_b32 v19, v4
	ds_store_b32 v20, v5
	;; [unrolled: 1-line block ×7, first 2 shown]
.LBB158_69:
	s_or_b32 exec_lo, exec_lo, s0
	v_lshlrev_b32_e32 v15, 2, v15
	s_mov_b32 s1, exec_lo
	v_cmp_eq_u32_e32 vcc_lo, 0, v92
	s_wait_dscnt 0x0
	s_barrier_signal -1
	v_add3_u32 v15, 0x110, v17, v15
	s_barrier_wait -1
	v_cmpx_gt_u32_e32 64, v104
	s_cbranch_execz .LBB158_87
; %bb.70:
	s_and_saveexec_b32 s0, vcc_lo
	s_cbranch_execnz .LBB158_110
; %bb.71:
	s_or_b32 exec_lo, exec_lo, s0
	s_and_saveexec_b32 s0, vcc_lo
	s_cbranch_execnz .LBB158_111
.LBB158_72:
	s_or_b32 exec_lo, exec_lo, s0
	s_and_saveexec_b32 s0, vcc_lo
	s_cbranch_execnz .LBB158_112
.LBB158_73:
	s_or_b32 exec_lo, exec_lo, s0
	s_and_saveexec_b32 s0, vcc_lo
	s_cbranch_execnz .LBB158_113
.LBB158_74:
	s_or_b32 exec_lo, exec_lo, s0
	s_and_saveexec_b32 s0, vcc_lo
	s_cbranch_execnz .LBB158_114
.LBB158_75:
	s_or_b32 exec_lo, exec_lo, s0
	s_and_saveexec_b32 s0, vcc_lo
	s_cbranch_execnz .LBB158_115
.LBB158_76:
	s_or_b32 exec_lo, exec_lo, s0
	s_and_saveexec_b32 s0, vcc_lo
	s_cbranch_execnz .LBB158_116
.LBB158_77:
	s_or_b32 exec_lo, exec_lo, s0
	s_and_saveexec_b32 s0, vcc_lo
	s_cbranch_execnz .LBB158_117
.LBB158_78:
	s_or_b32 exec_lo, exec_lo, s0
	s_and_saveexec_b32 s0, vcc_lo
	s_cbranch_execnz .LBB158_118
.LBB158_79:
	s_or_b32 exec_lo, exec_lo, s0
	s_and_saveexec_b32 s0, vcc_lo
	s_cbranch_execnz .LBB158_119
.LBB158_80:
	s_or_b32 exec_lo, exec_lo, s0
	s_and_saveexec_b32 s0, vcc_lo
	s_cbranch_execnz .LBB158_120
.LBB158_81:
	s_or_b32 exec_lo, exec_lo, s0
	s_and_saveexec_b32 s0, vcc_lo
	s_cbranch_execnz .LBB158_121
.LBB158_82:
	s_or_b32 exec_lo, exec_lo, s0
	s_and_saveexec_b32 s0, vcc_lo
	s_cbranch_execnz .LBB158_122
.LBB158_83:
	s_or_b32 exec_lo, exec_lo, s0
	s_and_saveexec_b32 s0, vcc_lo
	s_cbranch_execnz .LBB158_123
.LBB158_84:
	s_or_b32 exec_lo, exec_lo, s0
	s_and_saveexec_b32 s0, vcc_lo
	s_cbranch_execz .LBB158_86
.LBB158_85:
	ds_load_b32 v17, v15 offset:448
	s_wait_dscnt 0x0
	v_add_f32_e32 v14, v14, v17
.LBB158_86:
	s_or_b32 exec_lo, exec_lo, s0
.LBB158_87:
	s_delay_alu instid0(SALU_CYCLE_1) | instskip(SKIP_4) | instid1(VALU_DEP_1)
	s_or_b32 exec_lo, exec_lo, s1
	v_and_b32_e32 v17, 0x3e3, v104
	s_mov_b32 s1, exec_lo
	s_barrier_signal -1
	s_barrier_wait -1
	v_cmpx_eq_u32_e32 32, v17
	s_cbranch_execz .LBB158_89
; %bb.88:
	ds_store_2addr_b32 v16, v12, v13 offset1:8
	ds_store_2addr_b32 v16, v10, v11 offset0:16 offset1:24
	ds_store_2addr_b32 v16, v8, v9 offset0:32 offset1:40
	ds_store_2addr_b32 v16, v6, v7 offset0:48 offset1:56
	ds_store_2addr_b32 v16, v4, v5 offset0:64 offset1:72
	ds_store_2addr_b32 v16, v2, v3 offset0:80 offset1:88
	ds_store_2addr_b32 v16, v0, v1 offset0:96 offset1:104
	ds_store_b32 v16, v14 offset:448
.LBB158_89:
	s_or_b32 exec_lo, exec_lo, s1
	s_delay_alu instid0(SALU_CYCLE_1)
	s_mov_b32 s1, exec_lo
	s_wait_dscnt 0x0
	s_barrier_signal -1
	s_barrier_wait -1
	v_cmpx_gt_u32_e32 32, v104
	s_cbranch_execz .LBB158_107
; %bb.90:
	s_and_saveexec_b32 s0, vcc_lo
	s_cbranch_execnz .LBB158_124
; %bb.91:
	s_or_b32 exec_lo, exec_lo, s0
	s_and_saveexec_b32 s0, vcc_lo
	s_cbranch_execnz .LBB158_125
.LBB158_92:
	s_or_b32 exec_lo, exec_lo, s0
	s_and_saveexec_b32 s0, vcc_lo
	s_cbranch_execnz .LBB158_126
.LBB158_93:
	s_or_b32 exec_lo, exec_lo, s0
	s_and_saveexec_b32 s0, vcc_lo
	s_cbranch_execnz .LBB158_127
.LBB158_94:
	s_or_b32 exec_lo, exec_lo, s0
	s_and_saveexec_b32 s0, vcc_lo
	s_cbranch_execnz .LBB158_128
.LBB158_95:
	s_or_b32 exec_lo, exec_lo, s0
	s_and_saveexec_b32 s0, vcc_lo
	s_cbranch_execnz .LBB158_129
.LBB158_96:
	s_or_b32 exec_lo, exec_lo, s0
	s_and_saveexec_b32 s0, vcc_lo
	s_cbranch_execnz .LBB158_130
.LBB158_97:
	s_or_b32 exec_lo, exec_lo, s0
	s_and_saveexec_b32 s0, vcc_lo
	s_cbranch_execnz .LBB158_131
.LBB158_98:
	s_or_b32 exec_lo, exec_lo, s0
	s_and_saveexec_b32 s0, vcc_lo
	s_cbranch_execnz .LBB158_132
.LBB158_99:
	s_or_b32 exec_lo, exec_lo, s0
	s_and_saveexec_b32 s0, vcc_lo
	s_cbranch_execnz .LBB158_133
.LBB158_100:
	s_or_b32 exec_lo, exec_lo, s0
	s_and_saveexec_b32 s0, vcc_lo
	s_cbranch_execnz .LBB158_134
.LBB158_101:
	s_or_b32 exec_lo, exec_lo, s0
	s_and_saveexec_b32 s0, vcc_lo
	s_cbranch_execnz .LBB158_135
.LBB158_102:
	s_or_b32 exec_lo, exec_lo, s0
	s_and_saveexec_b32 s0, vcc_lo
	s_cbranch_execnz .LBB158_136
.LBB158_103:
	s_or_b32 exec_lo, exec_lo, s0
	s_and_saveexec_b32 s0, vcc_lo
	s_cbranch_execnz .LBB158_137
.LBB158_104:
	s_or_b32 exec_lo, exec_lo, s0
	s_and_saveexec_b32 s0, vcc_lo
	s_cbranch_execz .LBB158_106
.LBB158_105:
	ds_load_b32 v15, v15 offset:448
	s_wait_dscnt 0x0
	v_add_f32_e32 v14, v14, v15
.LBB158_106:
	s_or_b32 exec_lo, exec_lo, s0
.LBB158_107:
	s_delay_alu instid0(SALU_CYCLE_1)
	s_or_b32 exec_lo, exec_lo, s1
	s_mov_b32 s1, 0
	s_barrier_signal -1
	s_barrier_wait -1
	s_mov_b32 s0, exec_lo
	v_cmpx_eq_u32_e32 0, v17
	s_cbranch_execz .LBB158_109
; %bb.108:
	s_mul_i32 s0, s20, s4
	s_mul_i32 s2, s4, s8
	;; [unrolled: 1-line block ×3, first 2 shown]
	s_lshr_b32 s8, ttmp7, 16
	s_mul_i32 s4, s0, 0x78
	s_bfe_u32 s0, ttmp6, 0x40014
	s_ashr_i32 s5, s4, 31
	s_add_co_i32 s0, s0, 1
	s_ashr_i32 s3, s2, 31
	s_mul_i32 s0, s8, s0
	s_bfe_u32 s9, ttmp6, 0x40008
	s_lshl_b64 s[4:5], s[4:5], 1
	s_lshl_b64 s[2:3], s[2:3], 1
	s_add_co_i32 s9, s9, s0
	s_cmp_eq_u32 s18, 0
	s_wait_kmcnt 0x0
	s_add_nc_u64 s[4:5], s[6:7], s[4:5]
	s_cselect_b32 s0, s8, s9
	s_add_nc_u64 s[2:3], s[4:5], s[2:3]
	s_mulk_i32 s0, 0xf0
	v_lshrrev_b32_e32 v15, 1, v104
	s_add_nc_u64 s[0:1], s[2:3], s[0:1]
	s_delay_alu instid0(SALU_CYCLE_1)
	v_cvt_pk_bf16_f32 v12, v12, s0
	v_cvt_pk_bf16_f32 v4, v4, s0
	;; [unrolled: 1-line block ×13, first 2 shown]
	s_clause 0x7
	global_store_b16 v15, v12, s[0:1]
	global_store_b16 v15, v13, s[0:1] offset:16
	global_store_b16 v15, v10, s[0:1] offset:32
	;; [unrolled: 1-line block ×7, first 2 shown]
	v_cvt_pk_bf16_f32 v1, v1, s0
	s_wait_xcnt 0x1
	v_cvt_pk_bf16_f32 v6, v14, s0
	s_clause 0x6
	global_store_b16 v15, v4, s[0:1] offset:128
	global_store_b16 v15, v5, s[0:1] offset:144
	;; [unrolled: 1-line block ×7, first 2 shown]
.LBB158_109:
	s_sendmsg sendmsg(MSG_DEALLOC_VGPRS)
	s_endpgm
.LBB158_110:
	ds_load_b32 v17, v15
	s_wait_dscnt 0x0
	v_add_f32_e32 v12, v12, v17
	s_or_b32 exec_lo, exec_lo, s0
	s_and_saveexec_b32 s0, vcc_lo
	s_cbranch_execz .LBB158_72
.LBB158_111:
	ds_load_b32 v17, v15 offset:32
	s_wait_dscnt 0x0
	v_add_f32_e32 v13, v13, v17
	s_or_b32 exec_lo, exec_lo, s0
	s_and_saveexec_b32 s0, vcc_lo
	s_cbranch_execz .LBB158_73
.LBB158_112:
	ds_load_b32 v17, v15 offset:64
	s_wait_dscnt 0x0
	v_add_f32_e32 v10, v10, v17
	s_or_b32 exec_lo, exec_lo, s0
	s_and_saveexec_b32 s0, vcc_lo
	s_cbranch_execz .LBB158_74
.LBB158_113:
	ds_load_b32 v17, v15 offset:96
	s_wait_dscnt 0x0
	v_add_f32_e32 v11, v11, v17
	s_or_b32 exec_lo, exec_lo, s0
	s_and_saveexec_b32 s0, vcc_lo
	s_cbranch_execz .LBB158_75
.LBB158_114:
	ds_load_b32 v17, v15 offset:128
	s_wait_dscnt 0x0
	v_add_f32_e32 v8, v8, v17
	s_or_b32 exec_lo, exec_lo, s0
	s_and_saveexec_b32 s0, vcc_lo
	s_cbranch_execz .LBB158_76
.LBB158_115:
	ds_load_b32 v17, v15 offset:160
	s_wait_dscnt 0x0
	v_add_f32_e32 v9, v9, v17
	s_or_b32 exec_lo, exec_lo, s0
	s_and_saveexec_b32 s0, vcc_lo
	s_cbranch_execz .LBB158_77
.LBB158_116:
	ds_load_b32 v17, v15 offset:192
	s_wait_dscnt 0x0
	v_add_f32_e32 v6, v6, v17
	s_or_b32 exec_lo, exec_lo, s0
	s_and_saveexec_b32 s0, vcc_lo
	s_cbranch_execz .LBB158_78
.LBB158_117:
	ds_load_b32 v17, v15 offset:224
	s_wait_dscnt 0x0
	v_add_f32_e32 v7, v7, v17
	s_or_b32 exec_lo, exec_lo, s0
	s_and_saveexec_b32 s0, vcc_lo
	s_cbranch_execz .LBB158_79
.LBB158_118:
	ds_load_b32 v17, v15 offset:256
	s_wait_dscnt 0x0
	v_add_f32_e32 v4, v4, v17
	s_or_b32 exec_lo, exec_lo, s0
	s_and_saveexec_b32 s0, vcc_lo
	s_cbranch_execz .LBB158_80
.LBB158_119:
	ds_load_b32 v17, v15 offset:288
	s_wait_dscnt 0x0
	v_add_f32_e32 v5, v5, v17
	s_or_b32 exec_lo, exec_lo, s0
	s_and_saveexec_b32 s0, vcc_lo
	s_cbranch_execz .LBB158_81
.LBB158_120:
	ds_load_b32 v17, v15 offset:320
	s_wait_dscnt 0x0
	v_add_f32_e32 v2, v2, v17
	s_or_b32 exec_lo, exec_lo, s0
	s_and_saveexec_b32 s0, vcc_lo
	s_cbranch_execz .LBB158_82
.LBB158_121:
	ds_load_b32 v17, v15 offset:352
	s_wait_dscnt 0x0
	v_add_f32_e32 v3, v3, v17
	s_or_b32 exec_lo, exec_lo, s0
	s_and_saveexec_b32 s0, vcc_lo
	s_cbranch_execz .LBB158_83
.LBB158_122:
	ds_load_b32 v17, v15 offset:384
	s_wait_dscnt 0x0
	v_add_f32_e32 v0, v0, v17
	s_or_b32 exec_lo, exec_lo, s0
	s_and_saveexec_b32 s0, vcc_lo
	s_cbranch_execz .LBB158_84
.LBB158_123:
	ds_load_b32 v17, v15 offset:416
	s_wait_dscnt 0x0
	v_add_f32_e32 v1, v1, v17
	s_or_b32 exec_lo, exec_lo, s0
	s_and_saveexec_b32 s0, vcc_lo
	s_cbranch_execnz .LBB158_85
	s_branch .LBB158_86
.LBB158_124:
	ds_load_b32 v16, v15
	s_wait_dscnt 0x0
	v_add_f32_e32 v12, v12, v16
	s_or_b32 exec_lo, exec_lo, s0
	s_and_saveexec_b32 s0, vcc_lo
	s_cbranch_execz .LBB158_92
.LBB158_125:
	ds_load_b32 v16, v15 offset:32
	s_wait_dscnt 0x0
	v_add_f32_e32 v13, v13, v16
	s_or_b32 exec_lo, exec_lo, s0
	s_and_saveexec_b32 s0, vcc_lo
	s_cbranch_execz .LBB158_93
.LBB158_126:
	ds_load_b32 v16, v15 offset:64
	s_wait_dscnt 0x0
	v_add_f32_e32 v10, v10, v16
	s_or_b32 exec_lo, exec_lo, s0
	s_and_saveexec_b32 s0, vcc_lo
	s_cbranch_execz .LBB158_94
.LBB158_127:
	ds_load_b32 v16, v15 offset:96
	s_wait_dscnt 0x0
	v_add_f32_e32 v11, v11, v16
	s_or_b32 exec_lo, exec_lo, s0
	s_and_saveexec_b32 s0, vcc_lo
	s_cbranch_execz .LBB158_95
.LBB158_128:
	ds_load_b32 v16, v15 offset:128
	s_wait_dscnt 0x0
	v_add_f32_e32 v8, v8, v16
	s_or_b32 exec_lo, exec_lo, s0
	s_and_saveexec_b32 s0, vcc_lo
	s_cbranch_execz .LBB158_96
.LBB158_129:
	ds_load_b32 v16, v15 offset:160
	s_wait_dscnt 0x0
	v_add_f32_e32 v9, v9, v16
	s_or_b32 exec_lo, exec_lo, s0
	s_and_saveexec_b32 s0, vcc_lo
	s_cbranch_execz .LBB158_97
.LBB158_130:
	ds_load_b32 v16, v15 offset:192
	s_wait_dscnt 0x0
	v_add_f32_e32 v6, v6, v16
	s_or_b32 exec_lo, exec_lo, s0
	s_and_saveexec_b32 s0, vcc_lo
	s_cbranch_execz .LBB158_98
.LBB158_131:
	ds_load_b32 v16, v15 offset:224
	s_wait_dscnt 0x0
	v_add_f32_e32 v7, v7, v16
	s_or_b32 exec_lo, exec_lo, s0
	s_and_saveexec_b32 s0, vcc_lo
	s_cbranch_execz .LBB158_99
.LBB158_132:
	ds_load_b32 v16, v15 offset:256
	s_wait_dscnt 0x0
	v_add_f32_e32 v4, v4, v16
	s_or_b32 exec_lo, exec_lo, s0
	s_and_saveexec_b32 s0, vcc_lo
	s_cbranch_execz .LBB158_100
.LBB158_133:
	ds_load_b32 v16, v15 offset:288
	s_wait_dscnt 0x0
	v_add_f32_e32 v5, v5, v16
	s_or_b32 exec_lo, exec_lo, s0
	s_and_saveexec_b32 s0, vcc_lo
	s_cbranch_execz .LBB158_101
.LBB158_134:
	ds_load_b32 v16, v15 offset:320
	s_wait_dscnt 0x0
	v_add_f32_e32 v2, v2, v16
	s_or_b32 exec_lo, exec_lo, s0
	s_and_saveexec_b32 s0, vcc_lo
	s_cbranch_execz .LBB158_102
.LBB158_135:
	ds_load_b32 v16, v15 offset:352
	s_wait_dscnt 0x0
	v_add_f32_e32 v3, v3, v16
	s_or_b32 exec_lo, exec_lo, s0
	s_and_saveexec_b32 s0, vcc_lo
	s_cbranch_execz .LBB158_103
.LBB158_136:
	ds_load_b32 v16, v15 offset:384
	s_wait_dscnt 0x0
	v_add_f32_e32 v0, v0, v16
	s_or_b32 exec_lo, exec_lo, s0
	s_and_saveexec_b32 s0, vcc_lo
	s_cbranch_execz .LBB158_104
.LBB158_137:
	ds_load_b32 v16, v15 offset:416
	s_wait_dscnt 0x0
	v_add_f32_e32 v1, v1, v16
	s_or_b32 exec_lo, exec_lo, s0
	s_and_saveexec_b32 s0, vcc_lo
	s_cbranch_execnz .LBB158_105
	s_branch .LBB158_106
	.section	.rodata,"a",@progbits
	.p2align	6, 0x0
	.amdhsa_kernel _ZN4vllm25paged_attention_v1_kernelI14__hip_bfloat16S1_Li120ELi32ELi128ELNS_18Fp8KVCacheDataTypeE0ELb0EEEvPT_PKS3_PKT0_S9_ifPKiSB_iPKfiiiSD_SD_iiiii
		.amdhsa_group_segment_fixed_size 272
		.amdhsa_private_segment_fixed_size 296
		.amdhsa_kernarg_size 384
		.amdhsa_user_sgpr_count 2
		.amdhsa_user_sgpr_dispatch_ptr 0
		.amdhsa_user_sgpr_queue_ptr 0
		.amdhsa_user_sgpr_kernarg_segment_ptr 1
		.amdhsa_user_sgpr_dispatch_id 0
		.amdhsa_user_sgpr_kernarg_preload_length 0
		.amdhsa_user_sgpr_kernarg_preload_offset 0
		.amdhsa_user_sgpr_private_segment_size 0
		.amdhsa_wavefront_size32 1
		.amdhsa_uses_dynamic_stack 0
		.amdhsa_enable_private_segment 1
		.amdhsa_system_sgpr_workgroup_id_x 1
		.amdhsa_system_sgpr_workgroup_id_y 1
		.amdhsa_system_sgpr_workgroup_id_z 1
		.amdhsa_system_sgpr_workgroup_info 0
		.amdhsa_system_vgpr_workitem_id 0
		.amdhsa_next_free_vgpr 128
		.amdhsa_next_free_sgpr 28
		.amdhsa_named_barrier_count 0
		.amdhsa_reserve_vcc 1
		.amdhsa_float_round_mode_32 0
		.amdhsa_float_round_mode_16_64 0
		.amdhsa_float_denorm_mode_32 3
		.amdhsa_float_denorm_mode_16_64 3
		.amdhsa_fp16_overflow 0
		.amdhsa_memory_ordered 1
		.amdhsa_forward_progress 1
		.amdhsa_inst_pref_size 119
		.amdhsa_round_robin_scheduling 0
		.amdhsa_exception_fp_ieee_invalid_op 0
		.amdhsa_exception_fp_denorm_src 0
		.amdhsa_exception_fp_ieee_div_zero 0
		.amdhsa_exception_fp_ieee_overflow 0
		.amdhsa_exception_fp_ieee_underflow 0
		.amdhsa_exception_fp_ieee_inexact 0
		.amdhsa_exception_int_div_zero 0
	.end_amdhsa_kernel
	.section	.text._ZN4vllm25paged_attention_v1_kernelI14__hip_bfloat16S1_Li120ELi32ELi128ELNS_18Fp8KVCacheDataTypeE0ELb0EEEvPT_PKS3_PKT0_S9_ifPKiSB_iPKfiiiSD_SD_iiiii,"axG",@progbits,_ZN4vllm25paged_attention_v1_kernelI14__hip_bfloat16S1_Li120ELi32ELi128ELNS_18Fp8KVCacheDataTypeE0ELb0EEEvPT_PKS3_PKT0_S9_ifPKiSB_iPKfiiiSD_SD_iiiii,comdat
.Lfunc_end158:
	.size	_ZN4vllm25paged_attention_v1_kernelI14__hip_bfloat16S1_Li120ELi32ELi128ELNS_18Fp8KVCacheDataTypeE0ELb0EEEvPT_PKS3_PKT0_S9_ifPKiSB_iPKfiiiSD_SD_iiiii, .Lfunc_end158-_ZN4vllm25paged_attention_v1_kernelI14__hip_bfloat16S1_Li120ELi32ELi128ELNS_18Fp8KVCacheDataTypeE0ELb0EEEvPT_PKS3_PKT0_S9_ifPKiSB_iPKfiiiSD_SD_iiiii
                                        ; -- End function
	.set _ZN4vllm25paged_attention_v1_kernelI14__hip_bfloat16S1_Li120ELi32ELi128ELNS_18Fp8KVCacheDataTypeE0ELb0EEEvPT_PKS3_PKT0_S9_ifPKiSB_iPKfiiiSD_SD_iiiii.num_vgpr, 128
	.set _ZN4vllm25paged_attention_v1_kernelI14__hip_bfloat16S1_Li120ELi32ELi128ELNS_18Fp8KVCacheDataTypeE0ELb0EEEvPT_PKS3_PKT0_S9_ifPKiSB_iPKfiiiSD_SD_iiiii.num_agpr, 0
	.set _ZN4vllm25paged_attention_v1_kernelI14__hip_bfloat16S1_Li120ELi32ELi128ELNS_18Fp8KVCacheDataTypeE0ELb0EEEvPT_PKS3_PKT0_S9_ifPKiSB_iPKfiiiSD_SD_iiiii.numbered_sgpr, 28
	.set _ZN4vllm25paged_attention_v1_kernelI14__hip_bfloat16S1_Li120ELi32ELi128ELNS_18Fp8KVCacheDataTypeE0ELb0EEEvPT_PKS3_PKT0_S9_ifPKiSB_iPKfiiiSD_SD_iiiii.num_named_barrier, 0
	.set _ZN4vllm25paged_attention_v1_kernelI14__hip_bfloat16S1_Li120ELi32ELi128ELNS_18Fp8KVCacheDataTypeE0ELb0EEEvPT_PKS3_PKT0_S9_ifPKiSB_iPKfiiiSD_SD_iiiii.private_seg_size, 296
	.set _ZN4vllm25paged_attention_v1_kernelI14__hip_bfloat16S1_Li120ELi32ELi128ELNS_18Fp8KVCacheDataTypeE0ELb0EEEvPT_PKS3_PKT0_S9_ifPKiSB_iPKfiiiSD_SD_iiiii.uses_vcc, 1
	.set _ZN4vllm25paged_attention_v1_kernelI14__hip_bfloat16S1_Li120ELi32ELi128ELNS_18Fp8KVCacheDataTypeE0ELb0EEEvPT_PKS3_PKT0_S9_ifPKiSB_iPKfiiiSD_SD_iiiii.uses_flat_scratch, 1
	.set _ZN4vllm25paged_attention_v1_kernelI14__hip_bfloat16S1_Li120ELi32ELi128ELNS_18Fp8KVCacheDataTypeE0ELb0EEEvPT_PKS3_PKT0_S9_ifPKiSB_iPKfiiiSD_SD_iiiii.has_dyn_sized_stack, 0
	.set _ZN4vllm25paged_attention_v1_kernelI14__hip_bfloat16S1_Li120ELi32ELi128ELNS_18Fp8KVCacheDataTypeE0ELb0EEEvPT_PKS3_PKT0_S9_ifPKiSB_iPKfiiiSD_SD_iiiii.has_recursion, 0
	.set _ZN4vllm25paged_attention_v1_kernelI14__hip_bfloat16S1_Li120ELi32ELi128ELNS_18Fp8KVCacheDataTypeE0ELb0EEEvPT_PKS3_PKT0_S9_ifPKiSB_iPKfiiiSD_SD_iiiii.has_indirect_call, 0
	.section	.AMDGPU.csdata,"",@progbits
; Kernel info:
; codeLenInByte = 15136
; TotalNumSgprs: 30
; NumVgprs: 128
; ScratchSize: 296
; MemoryBound: 0
; FloatMode: 240
; IeeeMode: 1
; LDSByteSize: 272 bytes/workgroup (compile time only)
; SGPRBlocks: 0
; VGPRBlocks: 7
; NumSGPRsForWavesPerEU: 30
; NumVGPRsForWavesPerEU: 128
; NamedBarCnt: 0
; Occupancy: 8
; WaveLimiterHint : 1
; COMPUTE_PGM_RSRC2:SCRATCH_EN: 1
; COMPUTE_PGM_RSRC2:USER_SGPR: 2
; COMPUTE_PGM_RSRC2:TRAP_HANDLER: 0
; COMPUTE_PGM_RSRC2:TGID_X_EN: 1
; COMPUTE_PGM_RSRC2:TGID_Y_EN: 1
; COMPUTE_PGM_RSRC2:TGID_Z_EN: 1
; COMPUTE_PGM_RSRC2:TIDIG_COMP_CNT: 0
	.section	.text._ZN4vllm25paged_attention_v1_kernelI14__hip_bfloat16S1_Li128ELi32ELi128ELNS_18Fp8KVCacheDataTypeE0ELb0EEEvPT_PKS3_PKT0_S9_ifPKiSB_iPKfiiiSD_SD_iiiii,"axG",@progbits,_ZN4vllm25paged_attention_v1_kernelI14__hip_bfloat16S1_Li128ELi32ELi128ELNS_18Fp8KVCacheDataTypeE0ELb0EEEvPT_PKS3_PKT0_S9_ifPKiSB_iPKfiiiSD_SD_iiiii,comdat
	.protected	_ZN4vllm25paged_attention_v1_kernelI14__hip_bfloat16S1_Li128ELi32ELi128ELNS_18Fp8KVCacheDataTypeE0ELb0EEEvPT_PKS3_PKT0_S9_ifPKiSB_iPKfiiiSD_SD_iiiii ; -- Begin function _ZN4vllm25paged_attention_v1_kernelI14__hip_bfloat16S1_Li128ELi32ELi128ELNS_18Fp8KVCacheDataTypeE0ELb0EEEvPT_PKS3_PKT0_S9_ifPKiSB_iPKfiiiSD_SD_iiiii
	.globl	_ZN4vllm25paged_attention_v1_kernelI14__hip_bfloat16S1_Li128ELi32ELi128ELNS_18Fp8KVCacheDataTypeE0ELb0EEEvPT_PKS3_PKT0_S9_ifPKiSB_iPKfiiiSD_SD_iiiii
	.p2align	8
	.type	_ZN4vllm25paged_attention_v1_kernelI14__hip_bfloat16S1_Li128ELi32ELi128ELNS_18Fp8KVCacheDataTypeE0ELb0EEEvPT_PKS3_PKT0_S9_ifPKiSB_iPKfiiiSD_SD_iiiii,@function
_ZN4vllm25paged_attention_v1_kernelI14__hip_bfloat16S1_Li128ELi32ELi128ELNS_18Fp8KVCacheDataTypeE0ELb0EEEvPT_PKS3_PKT0_S9_ifPKiSB_iPKfiiiSD_SD_iiiii: ; @_ZN4vllm25paged_attention_v1_kernelI14__hip_bfloat16S1_Li128ELi32ELi128ELNS_18Fp8KVCacheDataTypeE0ELb0EEEvPT_PKS3_PKT0_S9_ifPKiSB_iPKfiiiSD_SD_iiiii
; %bb.0:
	s_load_b64 s[6:7], s[0:1], 0x20
	s_bfe_u32 s3, ttmp6, 0x4000c
	s_bfe_u32 s5, ttmp6, 0x40010
	s_and_b32 s4, ttmp7, 0xffff
	s_add_co_i32 s3, s3, 1
	s_add_co_i32 s5, s5, 1
	s_and_b32 s2, ttmp6, 15
	s_bfe_u32 s8, ttmp6, 0x40004
	s_mul_i32 s3, ttmp9, s3
	s_mul_i32 s5, s4, s5
	s_getreg_b32 s18, hwreg(HW_REG_IB_STS2, 6, 4)
	s_add_co_i32 s2, s2, s3
	s_add_co_i32 s8, s8, s5
	s_cmp_eq_u32 s18, 0
	v_mov_b32_e32 v111, v0
	s_cselect_b32 s20, s4, s8
	s_cselect_b32 s8, ttmp9, s2
	s_clause 0x1
	s_load_b32 s19, s[0:1], 0x80
	s_load_b64 s[10:11], s[0:1], 0x30
	s_wait_kmcnt 0x0
	s_abs_i32 s2, s6
	s_delay_alu instid0(SALU_CYCLE_1) | instskip(SKIP_1) | instid1(SALU_CYCLE_2)
	s_cvt_f32_u32 s3, s2
	s_sub_co_i32 s4, 0, s2
	v_rcp_iflag_f32_e32 v0, s3
	v_nop
	s_delay_alu instid0(TRANS32_DEP_1) | instskip(SKIP_2) | instid1(SALU_CYCLE_3)
	v_readfirstlane_b32 s3, v0
	s_abs_i32 s5, s19
	s_mul_f32 s3, s3, 0x4f7ffffe
	s_cvt_u32_f32 s3, s3
	s_delay_alu instid0(SALU_CYCLE_3) | instskip(NEXT) | instid1(SALU_CYCLE_1)
	s_mul_i32 s4, s4, s3
	s_mul_hi_u32 s4, s3, s4
	s_delay_alu instid0(SALU_CYCLE_1) | instskip(SKIP_4) | instid1(SALU_CYCLE_1)
	s_add_co_i32 s3, s3, s4
	s_xor_b32 s4, s19, s6
	s_mul_hi_u32 s3, s5, s3
	s_ashr_i32 s4, s4, 31
	s_mul_i32 s6, s3, s2
	s_sub_co_i32 s5, s5, s6
	s_add_co_i32 s6, s3, 1
	s_sub_co_i32 s9, s5, s2
	s_cmp_ge_u32 s5, s2
	s_cselect_b32 s3, s6, s3
	s_cselect_b32 s5, s9, s5
	s_add_co_i32 s6, s3, 1
	s_cmp_ge_u32 s5, s2
	s_cselect_b32 s2, s6, s3
	s_mov_b32 s3, 0
	s_xor_b32 s2, s2, s4
	s_mov_b32 s13, s3
	s_sub_co_i32 s15, s2, s4
	s_load_b64 s[4:5], s[0:1], 0x40
	s_abs_i32 s14, s15
	s_mov_b32 s22, s3
	s_cvt_f32_u32 s2, s14
	s_delay_alu instid0(SALU_CYCLE_3) | instskip(SKIP_1) | instid1(TRANS32_DEP_1)
	v_rcp_iflag_f32_e32 v0, s2
	v_nop
	v_readfirstlane_b32 s2, v0
	s_mul_f32 s2, s2, 0x4f7ffffe
	s_delay_alu instid0(SALU_CYCLE_3) | instskip(SKIP_1) | instid1(SALU_CYCLE_2)
	s_cvt_u32_f32 s6, s2
	s_sub_co_i32 s2, 0, s14
	s_mul_i32 s2, s2, s6
	s_delay_alu instid0(SALU_CYCLE_1)
	s_mul_hi_u32 s9, s6, s2
	s_abs_i32 s2, s8
	s_add_co_i32 s12, s6, s9
	s_wait_kmcnt 0x0
	s_cmp_eq_u64 s[4:5], 0
	s_cbranch_scc1 .LBB159_2
; %bb.1:
	s_ashr_i32 s9, s8, 31
	s_delay_alu instid0(SALU_CYCLE_1) | instskip(NEXT) | instid1(SALU_CYCLE_1)
	s_lshl_b64 s[16:17], s[8:9], 2
	s_add_nc_u64 s[4:5], s[4:5], s[16:17]
	s_load_b32 s22, s[4:5], 0x0
.LBB159_2:
	s_load_b32 s21, s[10:11], s20 offset:0x0 scale_offset
	s_wait_xcnt 0x0
	s_load_b96 s[4:6], s[0:1], 0x48
	v_lshlrev_b32_e32 v22, 4, v111
	s_ashr_i32 s10, s8, 31
	s_ashr_i32 s11, s15, 31
	s_mul_u64 s[12:13], s[2:3], s[12:13]
	s_lshl_b32 s8, s8, 7
	s_mov_b32 s3, exec_lo
	v_cmpx_gt_u32_e32 16, v111
	s_cbranch_execz .LBB159_4
; %bb.3:
	s_load_b64 s[16:17], s[0:1], 0x8
	s_wait_kmcnt 0x0
	s_mul_i32 s24, s4, s20
	s_ashr_i32 s9, s8, 31
	s_ashr_i32 s25, s24, 31
	s_delay_alu instid0(SALU_CYCLE_1) | instskip(NEXT) | instid1(SALU_CYCLE_1)
	s_lshl_b64 s[24:25], s[24:25], 1
	s_add_nc_u64 s[16:17], s[16:17], s[24:25]
	s_lshl_b64 s[24:25], s[8:9], 1
	s_delay_alu instid0(SALU_CYCLE_1)
	s_add_nc_u64 s[16:17], s[16:17], s[24:25]
	global_load_b128 v[0:3], v111, s[16:17] scale_offset
	s_wait_loadcnt 0x0
	ds_store_b128 v22, v[0:3]
.LBB159_4:
	s_or_b32 exec_lo, exec_lo, s3
	s_wait_kmcnt 0x0
	s_add_co_i32 s3, s21, 31
	s_load_b32 s12, s[0:1], 0x38
	s_ashr_i32 s4, s3, 31
	s_mul_i32 s9, s13, s14
	s_lshr_b32 s4, s4, 27
	s_xor_b32 s15, s10, s11
	s_add_co_i32 s3, s3, s4
	s_clause 0x1
	s_load_b64 s[10:11], s[0:1], 0x28
	s_load_b32 s4, s[0:1], 0x88
	s_sub_co_i32 s2, s2, s9
	s_ashr_i32 s9, s3, 5
	s_add_co_i32 s3, s13, 1
	s_sub_co_i32 s16, s2, s14
	s_cmp_ge_u32 s2, s14
	v_dual_lshrrev_b32 v109, 5, v111 :: v_dual_bitop2_b32 v110, 31, v111 bitop3:0x40
	s_cselect_b32 s3, s3, s13
	s_cselect_b32 s2, s16, s2
	s_add_co_i32 s13, s3, 1
	s_cmp_ge_u32 s2, s14
	v_dual_mov_b32 v106, 0xff7fffff :: v_dual_lshlrev_b32 v25, 2, v110
	s_cselect_b32 s2, s13, s3
	v_lshrrev_b32_e32 v24, 3, v111
	s_xor_b32 s2, s2, s15
	s_wait_kmcnt 0x0
	s_mul_i32 s12, s12, s20
	s_sub_co_i32 s3, s2, s15
	v_cmp_gt_i32_e64 s2, s9, v109
	s_ashr_i32 s13, s12, 31
	s_mul_i32 s14, s3, s6
	s_wait_dscnt 0x0
	s_barrier_signal -1
	s_barrier_wait -1
	s_and_saveexec_b32 s6, s2
	s_cbranch_execz .LBB159_8
; %bb.5:
	v_mov_b32_e32 v15, 0
	s_load_b64 s[24:25], s[0:1], 0x10
	s_ashr_i32 s15, s14, 31
	s_ashr_i32 s17, s5, 31
	s_lshl_b64 s[26:27], s[14:15], 1
	ds_load_b128 v[0:3], v15
	ds_load_b128 v[10:13], v15 offset:16
	ds_load_b128 v[16:19], v15 offset:32
	;; [unrolled: 1-line block ×4, first 2 shown]
	s_cmp_neq_f32 s22, 0
	v_lshl_or_b32 v108, v109, 5, v110
	v_mov_b32_e32 v106, 0xff7fffff
	s_mov_b32 s16, s5
	s_cselect_b32 vcc_lo, -1, 0
	s_mov_b32 s15, 0
	s_sub_co_i32 s23, 1, s21
	v_lshlrev_b32_e32 v14, 4, v110
	s_wait_dscnt 0x4
	v_and_b32_e32 v5, 0xffff0000, v0
	s_wait_dscnt 0x3
	v_dual_lshlrev_b32 v4, 16, v0 :: v_dual_lshlrev_b32 v0, 16, v11
	s_wait_kmcnt 0x0
	s_add_nc_u64 s[24:25], s[24:25], s[26:27]
	s_lshl_b64 s[26:27], s[12:13], 2
	v_add_nc_u64_e32 v[82:83], s[24:25], v[14:15]
	scratch_store_b64 off, v[4:5], off      ; 8-byte Folded Spill
	s_wait_xcnt 0x0
	v_and_b32_e32 v5, 0xffff0000, v10
	v_lshlrev_b32_e32 v4, 16, v10
	v_and_b32_e32 v14, 0x7c, v24
	s_add_nc_u64 s[24:25], s[10:11], s[26:27]
	scratch_store_b64 off, v[4:5], off offset:8 ; 8-byte Folded Spill
	s_wait_dscnt 0x2
	s_wait_xcnt 0x0
	v_and_b32_e32 v5, 0xffff0000, v16
	v_lshlrev_b32_e32 v4, 16, v16
	v_add_nc_u64_e32 v[84:85], s[24:25], v[14:15]
	scratch_store_b64 off, v[4:5], off offset:16 ; 8-byte Folded Spill
	s_wait_xcnt 0x0
	v_and_b32_e32 v5, 0xffff0000, v1
	v_lshlrev_b32_e32 v4, 16, v1
	v_and_b32_e32 v1, 0xffff0000, v11
	s_clause 0x1
	scratch_store_b64 off, v[4:5], off offset:24
	scratch_store_b64 off, v[0:1], off offset:32
	s_wait_xcnt 0x0
	v_and_b32_e32 v1, 0xffff0000, v17
	v_lshlrev_b32_e32 v0, 16, v17
	scratch_store_b64 off, v[0:1], off offset:40 ; 8-byte Folded Spill
	s_wait_xcnt 0x0
	v_and_b32_e32 v1, 0xffff0000, v2
	v_lshlrev_b32_e32 v0, 16, v2
	scratch_store_b64 off, v[0:1], off offset:48 ; 8-byte Folded Spill
	s_wait_xcnt 0x0
	v_and_b32_e32 v1, 0xffff0000, v12
	v_lshlrev_b32_e32 v0, 16, v12
	scratch_store_b64 off, v[0:1], off offset:56 ; 8-byte Folded Spill
	s_wait_xcnt 0x0
	v_and_b32_e32 v1, 0xffff0000, v18
	v_lshlrev_b32_e32 v0, 16, v18
	scratch_store_b64 off, v[0:1], off offset:64 ; 8-byte Folded Spill
	s_wait_xcnt 0x0
	v_and_b32_e32 v1, 0xffff0000, v3
	v_lshlrev_b32_e32 v0, 16, v3
	ds_load_b128 v[2:5], v15 offset:80
	scratch_store_b64 off, v[0:1], off offset:72 ; 8-byte Folded Spill
	s_wait_xcnt 0x0
	v_and_b32_e32 v1, 0xffff0000, v13
	v_lshlrev_b32_e32 v0, 16, v13
	ds_load_b128 v[10:13], v15 offset:96
	s_wait_dscnt 0x1
	v_and_b32_e32 v17, 0xffff0000, v5
	v_lshlrev_b32_e32 v16, 16, v5
	scratch_store_b64 off, v[0:1], off offset:80 ; 8-byte Folded Spill
	s_wait_xcnt 0x0
	v_and_b32_e32 v1, 0xffff0000, v19
	v_lshlrev_b32_e32 v0, 16, v19
	s_wait_dscnt 0x0
	v_and_b32_e32 v5, 0xffff0000, v10
	scratch_store_b64 off, v[0:1], off offset:88 ; 8-byte Folded Spill
	s_wait_xcnt 0x0
	v_and_b32_e32 v1, 0xffff0000, v6
	v_lshlrev_b32_e32 v0, 16, v6
	scratch_store_b64 off, v[0:1], off offset:96 ; 8-byte Folded Spill
	s_wait_xcnt 0x0
	v_and_b32_e32 v1, 0xffff0000, v7
	v_lshlrev_b32_e32 v0, 16, v7
	;; [unrolled: 4-line block ×4, first 2 shown]
	ds_load_b128 v[6:9], v15 offset:112
	scratch_store_b64 off, v[0:1], off offset:120 ; 8-byte Folded Spill
	s_wait_xcnt 0x0
	v_and_b32_e32 v1, 0xffff0000, v20
	v_lshlrev_b32_e32 v0, 16, v20
	scratch_store_b64 off, v[0:1], off offset:128 ; 8-byte Folded Spill
	s_wait_xcnt 0x0
	v_and_b32_e32 v1, 0xffff0000, v21
	v_lshlrev_b32_e32 v0, 16, v21
	;; [unrolled: 4-line block ×4, first 2 shown]
	ds_load_b128 v[20:23], v15 offset:192
	scratch_store_b64 off, v[0:1], off offset:152 ; 8-byte Folded Spill
	s_wait_xcnt 0x0
	v_and_b32_e32 v1, 0xffff0000, v2
	v_lshlrev_b32_e32 v0, 16, v2
	scratch_store_b64 off, v[0:1], off offset:160 ; 8-byte Folded Spill
	s_wait_xcnt 0x0
	v_and_b32_e32 v1, 0xffff0000, v3
	v_lshlrev_b32_e32 v0, 16, v3
	scratch_store_b64 off, v[0:1], off offset:168 ; 8-byte Folded Spill
	s_wait_xcnt 0x0
	v_and_b32_e32 v1, 0xffff0000, v4
	v_dual_lshlrev_b32 v0, 16, v4 :: v_dual_lshlrev_b32 v4, 16, v10
	s_wait_dscnt 0x0
	v_and_b32_e32 v51, 0xffff0000, v20
	v_dual_lshlrev_b32 v50, 16, v20 :: v_dual_lshlrev_b32 v54, 16, v22
	s_clause 0x1
	scratch_store_b64 off, v[0:1], off offset:176
	scratch_store_b64 off, v[4:5], off offset:192
	s_wait_xcnt 0x0
	v_and_b32_e32 v5, 0xffff0000, v11
	v_lshlrev_b32_e32 v4, 16, v11
	ds_load_b128 v[0:3], v15 offset:128
	scratch_store_b64 off, v[16:17], off offset:184 ; 8-byte Folded Spill
	v_and_b32_e32 v11, 0xffff0000, v9
	v_lshlrev_b32_e32 v10, 16, v9
	scratch_store_b64 off, v[4:5], off offset:200 ; 8-byte Folded Spill
	s_wait_xcnt 0x0
	v_and_b32_e32 v5, 0xffff0000, v12
	v_lshlrev_b32_e32 v4, 16, v12
	ds_load_b128 v[16:19], v15 offset:144
	scratch_store_b64 off, v[10:11], off offset:248 ; 8-byte Folded Spill
	v_and_b32_e32 v53, 0xffff0000, v21
	v_lshlrev_b32_e32 v52, 16, v21
	scratch_store_b64 off, v[4:5], off offset:208 ; 8-byte Folded Spill
	s_wait_xcnt 0x0
	v_and_b32_e32 v5, 0xffff0000, v13
	v_lshlrev_b32_e32 v4, 16, v13
	v_and_b32_e32 v55, 0xffff0000, v22
	v_and_b32_e32 v57, 0xffff0000, v23
	scratch_store_b64 off, v[4:5], off offset:216 ; 8-byte Folded Spill
	s_wait_xcnt 0x0
	v_and_b32_e32 v5, 0xffff0000, v6
	v_lshlrev_b32_e32 v4, 16, v6
	s_wait_dscnt 0x1
	v_and_b32_e32 v9, 0xffff0000, v0
	scratch_store_b64 off, v[4:5], off offset:224 ; 8-byte Folded Spill
	s_wait_xcnt 0x0
	v_and_b32_e32 v5, 0xffff0000, v7
	v_lshlrev_b32_e32 v4, 16, v7
	scratch_store_b64 off, v[4:5], off offset:232 ; 8-byte Folded Spill
	s_wait_xcnt 0x0
	v_and_b32_e32 v5, 0xffff0000, v8
	v_lshlrev_b32_e32 v4, 16, v8
	v_dual_lshlrev_b32 v8, 16, v0 :: v_dual_lshlrev_b32 v0, 16, v2
	s_clause 0x1
	scratch_store_b64 off, v[4:5], off offset:240
	scratch_store_b64 off, v[8:9], off offset:256
	s_wait_xcnt 0x1
	ds_load_b128 v[4:7], v15 offset:160
	s_wait_xcnt 0x0
	v_and_b32_e32 v9, 0xffff0000, v1
	v_lshlrev_b32_e32 v8, 16, v1
	v_and_b32_e32 v1, 0xffff0000, v2
	s_wait_dscnt 0x1
	v_and_b32_e32 v119, 0xffff0000, v18
	v_lshlrev_b32_e32 v118, 16, v18
	v_and_b32_e32 v121, 0xffff0000, v19
	s_clause 0x1
	scratch_store_b64 off, v[8:9], off offset:264
	scratch_store_b64 off, v[0:1], off offset:272
	s_wait_xcnt 0x1
	ds_load_b128 v[8:11], v15 offset:176
	s_wait_xcnt 0x0
	v_and_b32_e32 v1, 0xffff0000, v3
	v_lshlrev_b32_e32 v0, 16, v3
	v_lshlrev_b32_e32 v120, 16, v19
	s_wait_dscnt 0x1
	v_and_b32_e32 v123, 0xffff0000, v4
	v_lshlrev_b32_e32 v122, 16, v4
	v_and_b32_e32 v125, 0xffff0000, v5
	v_lshlrev_b32_e32 v124, 16, v5
	ds_load_b128 v[2:5], v15 offset:208
	v_and_b32_e32 v127, 0xffff0000, v6
	v_lshlrev_b32_e32 v126, 16, v6
	v_and_b32_e32 v43, 0xffff0000, v7
	s_wait_dscnt 0x1
	v_dual_lshlrev_b32 v42, 16, v7 :: v_dual_lshlrev_b32 v44, 16, v9
	scratch_store_b64 off, v[0:1], off offset:280 ; 8-byte Folded Spill
	s_wait_xcnt 0x0
	v_and_b32_e32 v1, 0xffff0000, v16
	v_dual_lshlrev_b32 v0, 16, v16 :: v_dual_lshlrev_b32 v46, 16, v10
	v_lshlrev_b32_e32 v48, 16, v11
	v_and_b32_e32 v45, 0xffff0000, v9
	v_lshlrev_b32_e32 v56, 16, v23
	scratch_store_b64 off, v[0:1], off offset:288 ; 8-byte Folded Spill
	s_wait_xcnt 0x0
	v_and_b32_e32 v1, 0xffff0000, v17
	v_lshlrev_b32_e32 v0, 16, v17
	v_and_b32_e32 v47, 0xffff0000, v10
	v_and_b32_e32 v49, 0xffff0000, v11
	scratch_store_b64 off, v[0:1], off offset:296 ; 8-byte Folded Spill
	s_wait_xcnt 0x0
	v_and_b32_e32 v1, 0xffff0000, v8
	v_lshlrev_b32_e32 v0, 16, v8
	s_wait_dscnt 0x0
	v_and_b32_e32 v59, 0xffff0000, v2
	v_lshlrev_b32_e32 v58, 16, v2
	v_and_b32_e32 v61, 0xffff0000, v3
	v_dual_lshlrev_b32 v60, 16, v3 :: v_dual_lshlrev_b32 v62, 16, v4
	v_and_b32_e32 v63, 0xffff0000, v4
	v_and_b32_e32 v65, 0xffff0000, v5
	v_lshlrev_b32_e32 v64, 16, v5
	ds_load_b128 v[2:5], v15 offset:224
	ds_load_b128 v[6:9], v15 offset:240
	scratch_store_b32 off, v25, off offset:304 ; 4-byte Folded Spill
	s_wait_dscnt 0x1
	v_and_b32_e32 v67, 0xffff0000, v2
	s_wait_dscnt 0x0
	v_dual_lshlrev_b32 v80, 16, v9 :: v_dual_lshlrev_b32 v66, 16, v2
	v_lshl_or_b32 v2, v109, 7, v25
	v_and_b32_e32 v69, 0xffff0000, v3
	v_dual_lshlrev_b32 v68, 16, v3 :: v_dual_lshlrev_b32 v70, 16, v4
	v_and_b32_e32 v71, 0xffff0000, v4
	v_and_b32_e32 v73, 0xffff0000, v5
	v_dual_lshlrev_b32 v72, 16, v5 :: v_dual_lshlrev_b32 v74, 16, v6
	v_and_b32_e32 v75, 0xffff0000, v6
	;; [unrolled: 3-line block ×3, first 2 shown]
	v_and_b32_e32 v81, 0xffff0000, v9
	v_add_nc_u32_e32 v107, 0x120, v2
.LBB159_6:                              ; =>This Inner Loop Header: Depth=1
	global_load_b32 v2, v[84:85], off
	v_cmp_gt_i32_e64 s3, s21, v108
	s_wait_xcnt 0x0
	v_add_nc_u64_e32 v[84:85], 16, v[84:85]
	s_wait_loadcnt 0x0
	v_dual_add_nc_u32 v109, 4, v109 :: v_dual_ashrrev_i32 v3, 31, v2
	s_delay_alu instid0(VALU_DEP_1) | instskip(NEXT) | instid1(VALU_DEP_1)
	v_mul_u64_e32 v[2:3], s[16:17], v[2:3]
	v_lshl_add_u64 v[86:87], v[2:3], 1, v[82:83]
	v_add_nc_u32_e32 v2, s23, v108
	v_add_nc_u32_e32 v108, 0x80, v108
	s_delay_alu instid0(VALU_DEP_2) | instskip(NEXT) | instid1(VALU_DEP_1)
	v_cvt_f32_i32_e32 v2, v2
	v_mul_f32_e32 v2, s22, v2
	s_delay_alu instid0(VALU_DEP_1)
	v_cndmask_b32_e32 v110, 0, v2, vcc_lo
	s_clause 0x3
	global_load_b128 v[14:17], v[86:87], off
	global_load_b128 v[10:13], v[86:87], off offset:512
	global_load_b128 v[6:9], v[86:87], off offset:1024
	;; [unrolled: 1-line block ×3, first 2 shown]
	scratch_load_b64 v[22:23], off, off offset:8 ; 8-byte Folded Reload
	s_wait_loadcnt 0x4
	v_and_b32_e32 v19, 0xffff0000, v14
	s_wait_loadcnt 0x3
	v_and_b32_e32 v21, 0xffff0000, v10
	v_lshlrev_b32_e32 v20, 16, v10
	v_dual_lshlrev_b32 v18, 16, v14 :: v_dual_lshlrev_b32 v14, 16, v11
	s_wait_loadcnt 0x0
	s_delay_alu instid0(VALU_DEP_2)
	v_pk_mul_f32 v[20:21], v[22:23], v[20:21]
	scratch_load_b64 v[22:23], off, off     ; 8-byte Folded Reload
	s_wait_loadcnt 0x0
	v_pk_fma_f32 v[18:19], v[22:23], v[18:19], v[20:21]
	scratch_load_b64 v[22:23], off, off offset:16 ; 8-byte Folded Reload
	v_and_b32_e32 v21, 0xffff0000, v6
	v_lshlrev_b32_e32 v20, 16, v6
	s_wait_loadcnt 0x0
	s_delay_alu instid0(VALU_DEP_1) | instskip(SKIP_4) | instid1(VALU_DEP_1)
	v_pk_fma_f32 v[18:19], v[22:23], v[20:21], v[18:19]
	scratch_load_b64 v[22:23], off, off offset:96 ; 8-byte Folded Reload
	v_and_b32_e32 v21, 0xffff0000, v2
	v_lshlrev_b32_e32 v20, 16, v2
	s_wait_loadcnt 0x0
	v_pk_fma_f32 v[98:99], v[22:23], v[20:21], v[18:19]
	v_and_b32_e32 v19, 0xffff0000, v15
	v_lshlrev_b32_e32 v18, 16, v15
	v_and_b32_e32 v15, 0xffff0000, v11
	scratch_load_b64 v[10:11], off, off offset:32 ; 8-byte Folded Reload
	s_wait_loadcnt 0x0
	v_pk_mul_f32 v[10:11], v[10:11], v[14:15]
	scratch_load_b64 v[14:15], off, off offset:24 ; 8-byte Folded Reload
	s_wait_loadcnt 0x0
	v_pk_fma_f32 v[10:11], v[14:15], v[18:19], v[10:11]
	v_and_b32_e32 v15, 0xffff0000, v7
	v_lshlrev_b32_e32 v14, 16, v7
	scratch_load_b64 v[6:7], off, off offset:40 ; 8-byte Folded Reload
	s_wait_loadcnt 0x0
	v_pk_fma_f32 v[6:7], v[6:7], v[14:15], v[10:11]
	v_and_b32_e32 v11, 0xffff0000, v3
	v_lshlrev_b32_e32 v10, 16, v3
	scratch_load_b64 v[2:3], off, off offset:104 ; 8-byte Folded Reload
	s_wait_loadcnt 0x0
	v_pk_fma_f32 v[96:97], v[2:3], v[10:11], v[6:7]
	scratch_load_b64 v[10:11], off, off offset:56 ; 8-byte Folded Reload
	v_and_b32_e32 v7, 0xffff0000, v12
	v_lshlrev_b32_e32 v6, 16, v12
	v_and_b32_e32 v3, 0xffff0000, v16
	v_lshlrev_b32_e32 v2, 16, v16
	s_wait_loadcnt 0x0
	s_delay_alu instid0(VALU_DEP_3)
	v_pk_mul_f32 v[6:7], v[10:11], v[6:7]
	scratch_load_b64 v[10:11], off, off offset:48 ; 8-byte Folded Reload
	s_wait_loadcnt 0x0
	v_pk_fma_f32 v[2:3], v[10:11], v[2:3], v[6:7]
	scratch_load_b64 v[10:11], off, off offset:64 ; 8-byte Folded Reload
	v_and_b32_e32 v7, 0xffff0000, v8
	v_lshlrev_b32_e32 v6, 16, v8
	s_wait_loadcnt 0x0
	s_delay_alu instid0(VALU_DEP_1) | instskip(SKIP_4) | instid1(VALU_DEP_1)
	v_pk_fma_f32 v[2:3], v[10:11], v[6:7], v[2:3]
	scratch_load_b64 v[10:11], off, off offset:112 ; 8-byte Folded Reload
	v_and_b32_e32 v7, 0xffff0000, v4
	v_lshlrev_b32_e32 v6, 16, v4
	s_wait_loadcnt 0x0
	v_pk_fma_f32 v[92:93], v[10:11], v[6:7], v[2:3]
	scratch_load_b64 v[10:11], off, off offset:80 ; 8-byte Folded Reload
	v_and_b32_e32 v7, 0xffff0000, v13
	v_lshlrev_b32_e32 v6, 16, v13
	v_and_b32_e32 v3, 0xffff0000, v17
	v_lshlrev_b32_e32 v2, 16, v17
	s_wait_loadcnt 0x0
	s_delay_alu instid0(VALU_DEP_3)
	v_pk_mul_f32 v[6:7], v[10:11], v[6:7]
	scratch_load_b64 v[10:11], off, off offset:72 ; 8-byte Folded Reload
	s_wait_loadcnt 0x0
	v_pk_fma_f32 v[2:3], v[10:11], v[2:3], v[6:7]
	v_and_b32_e32 v7, 0xffff0000, v9
	v_lshlrev_b32_e32 v6, 16, v9
	scratch_load_b64 v[8:9], off, off offset:88 ; 8-byte Folded Reload
	s_wait_loadcnt 0x0
	v_pk_fma_f32 v[2:3], v[8:9], v[6:7], v[2:3]
	v_and_b32_e32 v7, 0xffff0000, v5
	v_lshlrev_b32_e32 v6, 16, v5
	scratch_load_b64 v[4:5], off, off offset:120 ; 8-byte Folded Reload
	s_wait_loadcnt 0x0
	v_pk_fma_f32 v[88:89], v[4:5], v[6:7], v[2:3]
	global_load_b128 v[2:5], v[86:87], off offset:2048
	s_wait_loadcnt 0x0
	v_and_b32_e32 v113, 0xffff0000, v2
	v_lshlrev_b32_e32 v112, 16, v2
	v_and_b32_e32 v105, 0xffff0000, v3
	v_lshlrev_b32_e32 v104, 16, v3
	;; [unrolled: 2-line block ×4, first 2 shown]
	global_load_b128 v[2:5], v[86:87], off offset:2560
	s_wait_loadcnt 0x0
	v_and_b32_e32 v115, 0xffff0000, v2
	v_dual_lshlrev_b32 v114, 16, v2 :: v_dual_lshlrev_b32 v116, 16, v3
	v_and_b32_e32 v117, 0xffff0000, v3
	v_and_b32_e32 v103, 0xffff0000, v4
	v_dual_lshlrev_b32 v102, 16, v4 :: v_dual_lshlrev_b32 v94, 16, v5
	v_and_b32_e32 v95, 0xffff0000, v5
	s_clause 0x9
	global_load_b128 v[38:41], v[86:87], off offset:3072
	global_load_b128 v[34:37], v[86:87], off offset:3584
	;; [unrolled: 1-line block ×10, first 2 shown]
	scratch_load_b64 v[86:87], off, off offset:128 ; 8-byte Folded Reload
	s_wait_loadcnt 0x0
	v_pk_fma_f32 v[86:87], v[86:87], v[112:113], v[98:99]
	s_clause 0x1
	scratch_load_b64 v[98:99], off, off offset:160
	scratch_load_b64 v[112:113], off, off offset:192
	s_wait_loadcnt 0x1
	v_pk_fma_f32 v[86:87], v[98:99], v[114:115], v[86:87]
	v_and_b32_e32 v99, 0xffff0000, v38
	v_lshlrev_b32_e32 v98, 16, v38
	s_wait_loadcnt 0x0
	s_delay_alu instid0(VALU_DEP_1) | instskip(SKIP_4) | instid1(VALU_DEP_1)
	v_pk_fma_f32 v[86:87], v[112:113], v[98:99], v[86:87]
	scratch_load_b64 v[112:113], off, off offset:224 ; 8-byte Folded Reload
	v_and_b32_e32 v99, 0xffff0000, v34
	v_lshlrev_b32_e32 v98, 16, v34
	s_wait_loadcnt 0x0
	v_pk_fma_f32 v[86:87], v[112:113], v[98:99], v[86:87]
	scratch_load_b64 v[112:113], off, off offset:256 ; 8-byte Folded Reload
	v_and_b32_e32 v99, 0xffff0000, v30
	v_lshlrev_b32_e32 v98, 16, v30
	s_wait_loadcnt 0x0
	s_delay_alu instid0(VALU_DEP_1) | instskip(SKIP_4) | instid1(VALU_DEP_1)
	v_pk_fma_f32 v[86:87], v[112:113], v[98:99], v[86:87]
	scratch_load_b64 v[112:113], off, off offset:288 ; 8-byte Folded Reload
	v_and_b32_e32 v99, 0xffff0000, v26
	v_lshlrev_b32_e32 v98, 16, v26
	s_wait_loadcnt 0x0
	v_pk_fma_f32 v[86:87], v[112:113], v[98:99], v[86:87]
	v_and_b32_e32 v99, 0xffff0000, v22
	v_lshlrev_b32_e32 v98, 16, v22
	s_delay_alu instid0(VALU_DEP_1) | instskip(SKIP_2) | instid1(VALU_DEP_1)
	v_pk_fma_f32 v[86:87], v[122:123], v[98:99], v[86:87]
	v_and_b32_e32 v99, 0xffff0000, v18
	v_lshlrev_b32_e32 v98, 16, v18
	v_pk_fma_f32 v[86:87], v[0:1], v[98:99], v[86:87]
	v_and_b32_e32 v99, 0xffff0000, v14
	v_lshlrev_b32_e32 v98, 16, v14
	s_delay_alu instid0(VALU_DEP_1) | instskip(SKIP_2) | instid1(VALU_DEP_1)
	v_pk_fma_f32 v[86:87], v[50:51], v[98:99], v[86:87]
	v_and_b32_e32 v99, 0xffff0000, v10
	v_lshlrev_b32_e32 v98, 16, v10
	;; [unrolled: 7-line block ×3, first 2 shown]
	v_pk_fma_f32 v[86:87], v[74:75], v[98:99], v[86:87]
	scratch_load_b64 v[98:99], off, off offset:136 ; 8-byte Folded Reload
	s_wait_loadcnt 0x0
	v_pk_fma_f32 v[96:97], v[98:99], v[104:105], v[96:97]
	scratch_load_b64 v[98:99], off, off offset:168 ; 8-byte Folded Reload
	s_wait_loadcnt 0x0
	v_pk_fma_f32 v[96:97], v[98:99], v[116:117], v[96:97]
	v_and_b32_e32 v99, 0xffff0000, v39
	v_lshlrev_b32_e32 v98, 16, v39
	scratch_load_b64 v[38:39], off, off offset:200 ; 8-byte Folded Reload
	s_wait_loadcnt 0x0
	v_pk_fma_f32 v[38:39], v[38:39], v[98:99], v[96:97]
	v_and_b32_e32 v97, 0xffff0000, v35
	v_lshlrev_b32_e32 v96, 16, v35
	;; [unrolled: 5-line block ×5, first 2 shown]
	s_delay_alu instid0(VALU_DEP_1) | instskip(SKIP_2) | instid1(VALU_DEP_1)
	v_pk_fma_f32 v[22:23], v[124:125], v[30:31], v[26:27]
	v_and_b32_e32 v27, 0xffff0000, v19
	v_lshlrev_b32_e32 v26, 16, v19
	v_pk_fma_f32 v[18:19], v[44:45], v[26:27], v[22:23]
	v_and_b32_e32 v23, 0xffff0000, v15
	v_lshlrev_b32_e32 v22, 16, v15
	s_delay_alu instid0(VALU_DEP_1) | instskip(SKIP_2) | instid1(VALU_DEP_1)
	v_pk_fma_f32 v[14:15], v[52:53], v[22:23], v[18:19]
	v_and_b32_e32 v19, 0xffff0000, v11
	v_lshlrev_b32_e32 v18, 16, v11
	v_pk_fma_f32 v[10:11], v[60:61], v[18:19], v[14:15]
	v_and_b32_e32 v15, 0xffff0000, v7
	v_lshlrev_b32_e32 v14, 16, v7
	scratch_load_b64 v[18:19], off, off offset:216 ; 8-byte Folded Reload
	v_pk_fma_f32 v[6:7], v[68:69], v[14:15], v[10:11]
	v_and_b32_e32 v11, 0xffff0000, v3
	v_lshlrev_b32_e32 v10, 16, v3
	scratch_load_b64 v[14:15], off, off offset:208 ; 8-byte Folded Reload
	v_pk_fma_f32 v[2:3], v[76:77], v[10:11], v[6:7]
	s_clause 0x1
	scratch_load_b64 v[6:7], off, off offset:144
	scratch_load_b64 v[10:11], off, off offset:176
	s_wait_loadcnt 0x1
	v_pk_fma_f32 v[6:7], v[6:7], v[100:101], v[92:93]
	s_wait_loadcnt 0x0
	s_delay_alu instid0(VALU_DEP_1) | instskip(SKIP_2) | instid1(VALU_DEP_1)
	v_pk_fma_f32 v[6:7], v[10:11], v[102:103], v[6:7]
	v_and_b32_e32 v11, 0xffff0000, v40
	v_lshlrev_b32_e32 v10, 16, v40
	v_pk_fma_f32 v[6:7], v[14:15], v[10:11], v[6:7]
	scratch_load_b64 v[14:15], off, off offset:240 ; 8-byte Folded Reload
	v_and_b32_e32 v11, 0xffff0000, v36
	v_lshlrev_b32_e32 v10, 16, v36
	s_wait_loadcnt 0x0
	s_delay_alu instid0(VALU_DEP_1) | instskip(SKIP_4) | instid1(VALU_DEP_1)
	v_pk_fma_f32 v[6:7], v[14:15], v[10:11], v[6:7]
	scratch_load_b64 v[14:15], off, off offset:272 ; 8-byte Folded Reload
	v_and_b32_e32 v11, 0xffff0000, v32
	v_lshlrev_b32_e32 v10, 16, v32
	s_wait_loadcnt 0x0
	v_pk_fma_f32 v[6:7], v[14:15], v[10:11], v[6:7]
	v_and_b32_e32 v11, 0xffff0000, v28
	v_lshlrev_b32_e32 v10, 16, v28
	scratch_load_b64 v[14:15], off, off offset:184 ; 8-byte Folded Reload
	v_pk_fma_f32 v[6:7], v[118:119], v[10:11], v[6:7]
	v_and_b32_e32 v11, 0xffff0000, v24
	v_lshlrev_b32_e32 v10, 16, v24
	s_delay_alu instid0(VALU_DEP_1) | instskip(SKIP_2) | instid1(VALU_DEP_1)
	v_pk_fma_f32 v[6:7], v[126:127], v[10:11], v[6:7]
	v_and_b32_e32 v11, 0xffff0000, v20
	v_lshlrev_b32_e32 v10, 16, v20
	v_pk_fma_f32 v[6:7], v[46:47], v[10:11], v[6:7]
	v_and_b32_e32 v11, 0xffff0000, v16
	v_lshlrev_b32_e32 v10, 16, v16
	s_delay_alu instid0(VALU_DEP_1) | instskip(SKIP_2) | instid1(VALU_DEP_1)
	v_pk_fma_f32 v[6:7], v[54:55], v[10:11], v[6:7]
	v_and_b32_e32 v11, 0xffff0000, v12
	v_dual_lshlrev_b32 v10, 16, v12 :: v_dual_lshlrev_b32 v12, 16, v9
	v_pk_fma_f32 v[6:7], v[62:63], v[10:11], v[6:7]
	v_and_b32_e32 v11, 0xffff0000, v8
	v_lshlrev_b32_e32 v10, 16, v8
	s_delay_alu instid0(VALU_DEP_1) | instskip(SKIP_2) | instid1(VALU_DEP_1)
	v_pk_fma_f32 v[6:7], v[70:71], v[10:11], v[6:7]
	v_and_b32_e32 v11, 0xffff0000, v4
	v_lshlrev_b32_e32 v10, 16, v4
	v_pk_fma_f32 v[6:7], v[78:79], v[10:11], v[6:7]
	scratch_load_b64 v[10:11], off, off offset:152 ; 8-byte Folded Reload
	s_wait_loadcnt 0x0
	v_pk_fma_f32 v[10:11], v[10:11], v[90:91], v[88:89]
	s_delay_alu instid0(VALU_DEP_1) | instskip(SKIP_2) | instid1(VALU_DEP_1)
	v_pk_fma_f32 v[10:11], v[14:15], v[94:95], v[10:11]
	v_and_b32_e32 v15, 0xffff0000, v41
	v_lshlrev_b32_e32 v14, 16, v41
	v_pk_fma_f32 v[10:11], v[18:19], v[14:15], v[10:11]
	scratch_load_b64 v[18:19], off, off offset:248 ; 8-byte Folded Reload
	v_and_b32_e32 v15, 0xffff0000, v37
	v_lshlrev_b32_e32 v14, 16, v37
	s_wait_loadcnt 0x0
	s_delay_alu instid0(VALU_DEP_1) | instskip(SKIP_4) | instid1(VALU_DEP_1)
	v_pk_fma_f32 v[10:11], v[18:19], v[14:15], v[10:11]
	scratch_load_b64 v[18:19], off, off offset:280 ; 8-byte Folded Reload
	v_and_b32_e32 v15, 0xffff0000, v33
	v_lshlrev_b32_e32 v14, 16, v33
	s_wait_loadcnt 0x0
	v_pk_fma_f32 v[10:11], v[18:19], v[14:15], v[10:11]
	v_and_b32_e32 v15, 0xffff0000, v29
	v_lshlrev_b32_e32 v14, 16, v29
	s_delay_alu instid0(VALU_DEP_1) | instskip(SKIP_2) | instid1(VALU_DEP_1)
	v_pk_fma_f32 v[10:11], v[120:121], v[14:15], v[10:11]
	v_and_b32_e32 v15, 0xffff0000, v25
	v_lshlrev_b32_e32 v14, 16, v25
	v_pk_fma_f32 v[10:11], v[42:43], v[14:15], v[10:11]
	v_and_b32_e32 v15, 0xffff0000, v21
	v_lshlrev_b32_e32 v14, 16, v21
	s_delay_alu instid0(VALU_DEP_1) | instskip(SKIP_2) | instid1(VALU_DEP_1)
	v_pk_fma_f32 v[10:11], v[48:49], v[14:15], v[10:11]
	v_and_b32_e32 v15, 0xffff0000, v17
	v_lshlrev_b32_e32 v14, 16, v17
	v_pk_fma_f32 v[10:11], v[56:57], v[14:15], v[10:11]
	v_and_b32_e32 v15, 0xffff0000, v13
	v_lshlrev_b32_e32 v14, 16, v13
	v_and_b32_e32 v13, 0xffff0000, v9
	s_delay_alu instid0(VALU_DEP_2) | instskip(NEXT) | instid1(VALU_DEP_1)
	v_pk_fma_f32 v[10:11], v[64:65], v[14:15], v[10:11]
	v_pk_fma_f32 v[8:9], v[72:73], v[12:13], v[10:11]
	v_and_b32_e32 v11, 0xffff0000, v5
	v_lshlrev_b32_e32 v10, 16, v5
	s_delay_alu instid0(VALU_DEP_1) | instskip(SKIP_1) | instid1(VALU_DEP_1)
	v_pk_fma_f32 v[4:5], v[80:81], v[10:11], v[8:9]
	v_add_f32_e32 v8, v86, v87
	v_add_f32_e32 v2, v8, v2
	s_delay_alu instid0(VALU_DEP_1) | instskip(NEXT) | instid1(VALU_DEP_1)
	v_add_f32_e32 v2, v3, v2
	v_add_f32_e32 v2, v6, v2
	s_delay_alu instid0(VALU_DEP_1) | instskip(NEXT) | instid1(VALU_DEP_1)
	;; [unrolled: 3-line block ×3, first 2 shown]
	v_add_f32_e32 v2, v5, v2
	v_fmac_f32_e32 v110, s7, v2
	s_delay_alu instid0(VALU_DEP_1) | instskip(SKIP_2) | instid1(VALU_DEP_1)
	v_cndmask_b32_e64 v2, 0, v110, s3
	ds_store_b32 v107, v2
	v_dual_max_num_f32 v2, v106, v106 :: v_dual_add_nc_u32 v107, 0x200, v107
	v_max_num_f32_e32 v2, v2, v110
	s_delay_alu instid0(VALU_DEP_1)
	v_cndmask_b32_e64 v106, v106, v2, s3
	v_cmp_le_i32_e64 s3, s9, v109
	s_or_b32 s15, s3, s15
	s_wait_xcnt 0x0
	s_and_not1_b32 exec_lo, exec_lo, s15
	s_cbranch_execnz .LBB159_6
; %bb.7:
	s_or_b32 exec_lo, exec_lo, s15
	scratch_load_b32 v25, off, off offset:304 ; 4-byte Folded Reload
	v_dual_lshrrev_b32 v109, 5, v111 :: v_dual_bitop2_b32 v110, 31, v111 bitop3:0x40
	v_dual_lshlrev_b32 v22, 4, v111 :: v_dual_lshrrev_b32 v24, 3, v111
.LBB159_8:
	s_wait_xcnt 0x0
	s_or_b32 exec_lo, exec_lo, s6
	v_mbcnt_lo_u32_b32 v3, -1, 0
	s_clause 0x1
	s_load_b64 s[6:7], s[0:1], 0x0
	s_load_b64 s[16:17], s[0:1], 0x18
	s_delay_alu instid0(VALU_DEP_1) | instskip(SKIP_1) | instid1(VALU_DEP_2)
	v_dual_max_num_f32 v4, v106, v106 :: v_dual_bitop2_b32 v0, 16, v3 bitop3:0x14
	v_xor_b32_e32 v2, 8, v3
	v_cmp_gt_i32_e32 vcc_lo, 32, v0
	v_cndmask_b32_e32 v0, v3, v0, vcc_lo
	s_delay_alu instid0(VALU_DEP_3) | instskip(NEXT) | instid1(VALU_DEP_2)
	v_cmp_gt_i32_e32 vcc_lo, 32, v2
	v_dual_lshlrev_b32 v0, 2, v0 :: v_dual_cndmask_b32 v2, v3, v2, vcc_lo
	ds_bpermute_b32 v1, v0, v106
	s_wait_dscnt 0x0
	v_dual_max_num_f32 v5, v1, v1 :: v_dual_lshlrev_b32 v1, 2, v2
	s_delay_alu instid0(VALU_DEP_1) | instskip(SKIP_4) | instid1(VALU_DEP_1)
	v_dual_max_num_f32 v4, v4, v5 :: v_dual_bitop2_b32 v5, 4, v3 bitop3:0x14
	ds_bpermute_b32 v2, v1, v4
	v_cmp_gt_i32_e32 vcc_lo, 32, v5
	s_wait_dscnt 0x0
	v_dual_cndmask_b32 v5, v3, v5 :: v_dual_max_num_f32 v6, v2, v2
	v_dual_lshlrev_b32 v2, 2, v5 :: v_dual_max_num_f32 v4, v4, v6
	ds_bpermute_b32 v5, v2, v4
	s_wait_dscnt 0x0
	v_dual_max_num_f32 v5, v5, v5 :: v_dual_bitop2_b32 v6, 2, v3 bitop3:0x14
	s_delay_alu instid0(VALU_DEP_1) | instskip(NEXT) | instid1(VALU_DEP_2)
	v_cmp_gt_i32_e32 vcc_lo, 32, v6
	v_dual_max_num_f32 v4, v4, v5 :: v_dual_cndmask_b32 v6, v3, v6, vcc_lo
	s_delay_alu instid0(VALU_DEP_1) | instskip(SKIP_4) | instid1(VALU_DEP_2)
	v_dual_lshlrev_b32 v95, 2, v6 :: v_dual_bitop2_b32 v6, 1, v3 bitop3:0x14
	ds_bpermute_b32 v5, v95, v4
	v_cmp_gt_i32_e32 vcc_lo, 32, v6
	v_cndmask_b32_e32 v3, v3, v6, vcc_lo
	v_cmp_eq_u32_e32 vcc_lo, 0, v110
	v_dual_lshlrev_b32 v94, 2, v3 :: v_dual_lshlrev_b32 v3, 2, v109
	s_wait_dscnt 0x0
	v_max_num_f32_e32 v5, v5, v5
	s_delay_alu instid0(VALU_DEP_1)
	v_max_num_f32_e32 v4, v4, v5
	ds_bpermute_b32 v5, v94, v4
	s_wait_xcnt 0x0
	s_and_saveexec_b32 s0, vcc_lo
	s_cbranch_execz .LBB159_10
; %bb.9:
	s_wait_dscnt 0x0
	v_dual_max_num_f32 v5, v5, v5 :: v_dual_max_num_f32 v4, v4, v4
	s_delay_alu instid0(VALU_DEP_1)
	v_max_num_f32_e32 v4, v4, v5
	ds_store_b32 v3, v4 offset:256
.LBB159_10:
	s_or_b32 exec_lo, exec_lo, s0
	v_cmp_gt_u32_e64 s0, 4, v110
	v_mov_b32_e32 v4, 0xff7fffff
	s_wait_storecnt 0x0
	s_wait_loadcnt_dscnt 0x0
	s_barrier_signal -1
	s_barrier_wait -1
	s_and_saveexec_b32 s1, s0
; %bb.11:
	ds_load_b32 v4, v25 offset:256
; %bb.12:
	s_or_b32 exec_lo, exec_lo, s1
	s_wait_dscnt 0x0
	ds_bpermute_b32 v5, v95, v4
	v_max_num_f32_e32 v4, v4, v4
	s_lshl_b32 s1, s9, 5
	s_delay_alu instid0(SALU_CYCLE_1) | instskip(NEXT) | instid1(SALU_CYCLE_1)
	s_min_i32 s15, s1, s21
	v_cmp_gt_i32_e64 s1, s15, v111
	s_wait_dscnt 0x0
	v_max_num_f32_e32 v5, v5, v5
	s_delay_alu instid0(VALU_DEP_1) | instskip(SKIP_3) | instid1(VALU_DEP_1)
	v_max_num_f32_e32 v4, v4, v5
	ds_bpermute_b32 v5, v94, v4
	s_wait_dscnt 0x0
	v_max_num_f32_e32 v5, v5, v5
	v_dual_max_num_f32 v5, v4, v5 :: v_dual_mov_b32 v4, 0
	ds_bpermute_b32 v5, v4, v5
	s_and_saveexec_b32 s22, s1
	s_cbranch_execz .LBB159_16
; %bb.13:
	v_lshl_add_u32 v6, v111, 2, 0x120
	v_dual_mov_b32 v4, 0 :: v_dual_mov_b32 v7, v111
	s_mov_b32 s23, 0
.LBB159_14:                             ; =>This Inner Loop Header: Depth=1
	ds_load_b32 v8, v6
	v_add_nc_u32_e32 v7, 0x80, v7
	s_delay_alu instid0(VALU_DEP_1) | instskip(SKIP_3) | instid1(VALU_DEP_1)
	v_cmp_le_i32_e64 s3, s15, v7
	s_or_b32 s23, s3, s23
	s_wait_dscnt 0x0
	v_sub_f32_e32 v8, v8, v5
	v_mul_f32_e32 v8, 0x3fb8aa3b, v8
	s_delay_alu instid0(VALU_DEP_1)
	v_exp_f32_e32 v8, v8
	ds_store_b32 v6, v8
	v_nop
	v_add_f32_e32 v4, v4, v8
	v_add_nc_u32_e32 v6, 0x200, v6
	s_and_not1_b32 exec_lo, exec_lo, s23
	s_cbranch_execnz .LBB159_14
; %bb.15:
	s_or_b32 exec_lo, exec_lo, s23
.LBB159_16:
	s_delay_alu instid0(SALU_CYCLE_1)
	s_or_b32 exec_lo, exec_lo, s22
	ds_bpermute_b32 v0, v0, v4
	s_wait_dscnt 0x0
	v_add_f32_e32 v0, v4, v0
	ds_bpermute_b32 v1, v1, v0
	s_wait_dscnt 0x0
	v_add_f32_e32 v0, v0, v1
	;; [unrolled: 3-line block ×5, first 2 shown]
	s_and_saveexec_b32 s3, vcc_lo
; %bb.17:
	ds_store_b32 v3, v0 offset:272
; %bb.18:
	s_or_b32 exec_lo, exec_lo, s3
	s_wait_dscnt 0x0
	s_barrier_signal -1
	s_barrier_wait -1
	s_and_saveexec_b32 s3, s0
; %bb.19:
	ds_load_b32 v0, v25 offset:272
; %bb.20:
	s_or_b32 exec_lo, exec_lo, s3
	s_wait_dscnt 0x0
	ds_bpermute_b32 v1, v95, v0
	s_wait_dscnt 0x0
	v_dual_mov_b32 v75, 0 :: v_dual_add_f32 v0, v0, v1
	ds_bpermute_b32 v1, v94, v0
	s_wait_dscnt 0x0
	v_add_f32_e32 v0, v0, v1
	ds_bpermute_b32 v0, v75, v0
	s_and_saveexec_b32 s0, s1
	s_cbranch_execz .LBB159_33
; %bb.21:
	s_wait_dscnt 0x0
	v_add_f32_e32 v0, 0x358637bd, v0
	s_mov_b32 s3, -1
	s_mov_b32 s1, exec_lo
	s_delay_alu instid0(VALU_DEP_1) | instskip(NEXT) | instid1(VALU_DEP_1)
	v_div_scale_f32 v1, null, v0, v0, 1.0
	v_rcp_f32_e32 v3, v1
	v_nop
	s_delay_alu instid0(TRANS32_DEP_1) | instskip(NEXT) | instid1(VALU_DEP_1)
	v_fma_f32 v2, -v1, v3, 1.0
	v_fmac_f32_e32 v3, v2, v3
	v_div_scale_f32 v4, vcc_lo, 1.0, v0, 1.0
	s_delay_alu instid0(VALU_DEP_1) | instskip(NEXT) | instid1(VALU_DEP_1)
	v_mul_f32_e32 v5, v4, v3
	v_fma_f32 v2, -v1, v5, v4
	s_delay_alu instid0(VALU_DEP_1) | instskip(SKIP_1) | instid1(VALU_DEP_2)
	v_fmac_f32_e32 v5, v2, v3
	v_xad_u32 v2, v111, -1, s15
	v_fma_f32 v1, -v1, v5, v4
	s_delay_alu instid0(VALU_DEP_1) | instskip(NEXT) | instid1(VALU_DEP_1)
	v_div_fmas_f32 v1, v1, v3, v5
	v_div_fixup_f32 v0, v1, v0, 1.0
	v_mov_b32_e32 v1, v111
	v_cmpx_lt_u32_e32 0x7f, v2
	s_cbranch_execz .LBB159_30
; %bb.22:
	s_delay_alu instid0(VALU_DEP_3) | instskip(NEXT) | instid1(VALU_DEP_1)
	v_dual_mov_b32 v1, v0 :: v_dual_lshrrev_b32 v2, 7, v2
	v_dual_mov_b32 v6, 0 :: v_dual_add_nc_u32 v3, -1, v2
	s_delay_alu instid0(VALU_DEP_1) | instskip(SKIP_1) | instid1(VALU_DEP_2)
	v_lshrrev_b32_e32 v4, 1, v3
	v_cmp_lt_u32_e32 vcc_lo, 13, v3
	v_add_nc_u32_e32 v3, 1, v4
	s_and_saveexec_b32 s3, vcc_lo
	s_cbranch_execz .LBB159_26
; %bb.23:
	s_delay_alu instid0(VALU_DEP_1)
	v_and_b32_e32 v4, -8, v3
	v_lshl_add_u32 v5, v111, 2, 0x120
	s_mov_b32 s22, 0
	s_mov_b32 s23, 0
.LBB159_24:                             ; =>This Inner Loop Header: Depth=1
	ds_load_2addr_stride64_b32 v[6:7], v5 offset1:2
	ds_load_2addr_stride64_b32 v[8:9], v5 offset0:4 offset1:6
	ds_load_2addr_stride64_b32 v[10:11], v5 offset0:8 offset1:10
	;; [unrolled: 1-line block ×7, first 2 shown]
	s_add_co_i32 s23, s23, 16
	v_add_nc_u32_e32 v4, -8, v4
	s_wait_dscnt 0x7
	v_pk_mul_f32 v[6:7], v[0:1], v[6:7]
	s_wait_dscnt 0x6
	v_pk_mul_f32 v[8:9], v[0:1], v[8:9]
	;; [unrolled: 2-line block ×8, first 2 shown]
	ds_store_2addr_stride64_b32 v5, v6, v7 offset1:2
	ds_store_2addr_stride64_b32 v5, v8, v9 offset0:4 offset1:6
	ds_store_2addr_stride64_b32 v5, v10, v11 offset0:8 offset1:10
	;; [unrolled: 1-line block ×7, first 2 shown]
	v_mov_b32_e32 v6, s23
	v_cmp_eq_u32_e32 vcc_lo, 0, v4
	v_add_nc_u32_e32 v5, 0x2000, v5
	s_or_b32 s22, vcc_lo, s22
	s_delay_alu instid0(SALU_CYCLE_1)
	s_and_not1_b32 exec_lo, exec_lo, s22
	s_cbranch_execnz .LBB159_24
; %bb.25:
	s_or_b32 exec_lo, exec_lo, s22
.LBB159_26:
	s_delay_alu instid0(SALU_CYCLE_1) | instskip(NEXT) | instid1(VALU_DEP_1)
	s_or_b32 exec_lo, exec_lo, s3
	v_and_b32_e32 v3, 7, v3
	s_mov_b32 s22, 0
	s_mov_b32 s3, exec_lo
	s_delay_alu instid0(VALU_DEP_1)
	v_cmpx_ne_u32_e32 0, v3
	s_cbranch_execz .LBB159_29
; %bb.27:
	v_dual_lshlrev_b32 v4, 9, v6 :: v_dual_lshlrev_b32 v5, 2, v111
	s_delay_alu instid0(VALU_DEP_1)
	v_add3_u32 v4, v4, v5, 0x120
.LBB159_28:                             ; =>This Inner Loop Header: Depth=1
	ds_load_2addr_stride64_b32 v[6:7], v4 offset1:2
	v_add_nc_u32_e32 v3, -1, v3
	s_delay_alu instid0(VALU_DEP_1)
	v_cmp_eq_u32_e32 vcc_lo, 0, v3
	s_or_b32 s22, vcc_lo, s22
	s_wait_dscnt 0x0
	v_pk_mul_f32 v[6:7], v[0:1], v[6:7]
	ds_store_2addr_stride64_b32 v4, v6, v7 offset1:2
	v_add_nc_u32_e32 v4, 0x400, v4
	s_and_not1_b32 exec_lo, exec_lo, s22
	s_cbranch_execnz .LBB159_28
.LBB159_29:
	s_or_b32 exec_lo, exec_lo, s3
	v_add_nc_u32_e32 v1, 1, v2
	s_delay_alu instid0(VALU_DEP_1) | instskip(NEXT) | instid1(VALU_DEP_1)
	v_and_b32_e32 v2, 0x3fffffe, v1
	v_cmp_ne_u32_e32 vcc_lo, v1, v2
	v_lshl_add_u32 v1, v2, 7, v111
	s_or_not1_b32 s3, vcc_lo, exec_lo
.LBB159_30:
	s_or_b32 exec_lo, exec_lo, s1
	s_delay_alu instid0(SALU_CYCLE_1)
	s_and_b32 exec_lo, exec_lo, s3
	s_cbranch_execz .LBB159_33
; %bb.31:
	v_lshl_add_u32 v2, v1, 2, 0x120
	s_mov_b32 s1, 0
.LBB159_32:                             ; =>This Inner Loop Header: Depth=1
	ds_load_b32 v3, v2
	v_add_nc_u32_e32 v1, 0x80, v1
	s_delay_alu instid0(VALU_DEP_1)
	v_cmp_le_i32_e32 vcc_lo, s15, v1
	s_or_b32 s1, vcc_lo, s1
	s_wait_dscnt 0x0
	v_mul_f32_e32 v3, v0, v3
	ds_store_b32 v2, v3
	v_add_nc_u32_e32 v2, 0x200, v2
	s_and_not1_b32 exec_lo, exec_lo, s1
	s_cbranch_execnz .LBB159_32
.LBB159_33:
	s_or_b32 exec_lo, exec_lo, s0
	v_dual_mov_b32 v74, 0 :: v_dual_bitop2_b32 v96, 3, v111 bitop3:0x40
	v_dual_mov_b32 v77, 0 :: v_dual_mov_b32 v76, 0
	v_dual_mov_b32 v79, 0 :: v_dual_mov_b32 v78, 0
	;; [unrolled: 1-line block ×7, first 2 shown]
	s_wait_dscnt 0x0
	s_barrier_signal -1
	s_barrier_wait -1
	s_and_saveexec_b32 s1, s2
	s_cbranch_execz .LBB159_69
; %bb.34:
	s_ashr_i32 s15, s14, 31
	v_dual_mov_b32 v75, 0 :: v_dual_lshlrev_b32 v0, 3, v111
	v_and_b32_e32 v74, 0x1f0, v22
	s_lshl_b64 s[14:15], s[14:15], 1
	v_lshlrev_b32_e32 v1, 5, v96
	s_wait_kmcnt 0x0
	s_add_nc_u64 s[14:15], s[16:17], s[14:15]
	s_lshl_b64 s[12:13], s[12:13], 2
	v_add_nc_u64_e32 v[90:91], s[14:15], v[74:75]
	v_and_b32_e32 v74, 0x7c, v24
	v_dual_mov_b32 v77, v75 :: v_dual_bitop2_b32 v0, 24, v0 bitop3:0x40
	v_lshl_or_b32 v1, v109, 7, v1
	s_add_nc_u64 s[10:11], s[10:11], s[12:13]
	v_dual_mov_b32 v76, v75 :: v_dual_mov_b32 v78, v75
	v_add_nc_u64_e32 v[92:93], s[10:11], v[74:75]
	s_delay_alu instid0(VALU_DEP_3)
	v_dual_mov_b32 v79, v75 :: v_dual_add_nc_u32 v98, 0x120, v1
	v_mov_b32_e32 v74, v75
	v_lshl_or_b32 v97, v109, 5, v0
	v_dual_mov_b32 v81, v75 :: v_dual_mov_b32 v80, v75
	v_dual_mov_b32 v83, v75 :: v_dual_mov_b32 v82, v75
	;; [unrolled: 1-line block ×5, first 2 shown]
	v_mov_b32_e32 v99, v109
	s_ashr_i32 s3, s5, 31
	s_mov_b32 s2, s5
	s_add_co_i32 s5, s9, -1
	s_mov_b32 s11, s21
	s_mov_b32 s10, 0
	s_branch .LBB159_36
.LBB159_35:                             ;   in Loop: Header=BB159_36 Depth=1
	s_or_b32 exec_lo, exec_lo, s0
	s_wait_dscnt 0x1
	v_cvt_pk_bf16_f32 v26, v26, v27
	v_cvt_pk_bf16_f32 v0, v28, v29
	s_wait_dscnt 0x0
	v_cvt_pk_bf16_f32 v1, v22, v23
	v_cvt_pk_bf16_f32 v22, v24, v25
	v_add_nc_u64_e32 v[92:93], 16, v[92:93]
	s_wait_loadcnt 0x1
	v_pk_mul_bf16 v23, v26, v70
	v_pk_mul_bf16 v27, v0, v71
	v_pk_mul_bf16 v24, v1, v72
	v_pk_mul_bf16 v29, v22, v73
	v_pk_mul_bf16 v58, v26, v58
	v_lshlrev_b32_e32 v25, 16, v23
	v_and_b32_e32 v23, 0xffff0000, v23
	v_lshlrev_b32_e32 v70, 16, v24
	v_and_b32_e32 v24, 0xffff0000, v24
	;; [unrolled: 2-line block ×3, first 2 shown]
	v_add_f32_e32 v23, v25, v23
	v_pk_mul_bf16 v52, v1, v52
	v_add_f32_e32 v24, v70, v24
	v_pk_mul_bf16 v48, v1, v48
	v_dual_add_f32 v25, v28, v27 :: v_dual_lshlrev_b32 v28, 16, v29
	v_and_b32_e32 v29, 0xffff0000, v29
	v_pk_mul_bf16 v27, v26, v66
	v_pk_mul_bf16 v66, v1, v68
	s_delay_alu instid0(VALU_DEP_4) | instskip(SKIP_1) | instid1(VALU_DEP_4)
	v_add_f32_e32 v23, v25, v23
	v_pk_mul_bf16 v25, v0, v67
	v_dual_add_f32 v28, v28, v29 :: v_dual_lshlrev_b32 v67, 16, v27
	v_pk_mul_bf16 v29, v26, v62
	s_delay_alu instid0(VALU_DEP_4)
	v_add_f32_e32 v23, v24, v23
	v_and_b32_e32 v24, 0xffff0000, v27
	v_lshlrev_b32_e32 v27, 16, v25
	v_and_b32_e32 v25, 0xffff0000, v25
	v_pk_mul_bf16 v62, v0, v63
	v_dual_add_f32 v23, v28, v23 :: v_dual_lshlrev_b32 v28, 16, v66
	v_add_f32_e32 v24, v67, v24
	s_delay_alu instid0(VALU_DEP_4) | instskip(SKIP_1) | instid1(VALU_DEP_4)
	v_add_f32_e32 v25, v27, v25
	v_and_b32_e32 v27, 0xffff0000, v66
	v_add_f32_e32 v74, v74, v23
	v_pk_mul_bf16 v23, v22, v69
	v_pk_mul_bf16 v63, v1, v64
	s_delay_alu instid0(VALU_DEP_4) | instskip(NEXT) | instid1(VALU_DEP_3)
	v_dual_add_f32 v24, v25, v24 :: v_dual_add_f32 v25, v28, v27
	v_dual_lshlrev_b32 v27, 16, v29 :: v_dual_lshlrev_b32 v64, 16, v23
	v_and_b32_e32 v28, 0xffff0000, v29
	v_lshlrev_b32_e32 v29, 16, v62
	v_and_b32_e32 v62, 0xffff0000, v62
	v_and_b32_e32 v23, 0xffff0000, v23
	v_add_f32_e32 v24, v25, v24
	v_add_f32_e32 v27, v27, v28
	v_pk_mul_bf16 v40, v1, v40
	v_dual_add_f32 v28, v29, v62 :: v_dual_lshlrev_b32 v29, 16, v63
	v_and_b32_e32 v62, 0xffff0000, v63
	v_pk_mul_bf16 v63, v22, v65
	v_add_f32_e32 v23, v64, v23
	s_delay_alu instid0(VALU_DEP_4)
	v_add_f32_e32 v25, v28, v27
	v_pk_mul_bf16 v18, v26, v18
	v_add_f32_e32 v27, v29, v62
	v_and_b32_e32 v29, 0xffff0000, v63
	v_dual_add_f32 v23, v23, v24 :: v_dual_lshlrev_b32 v28, 16, v63
	v_pk_mul_bf16 v24, v0, v59
	s_delay_alu instid0(VALU_DEP_4) | instskip(SKIP_1) | instid1(VALU_DEP_4)
	v_add_f32_e32 v25, v27, v25
	v_pk_mul_bf16 v59, v1, v60
	v_dual_add_f32 v77, v77, v23 :: v_dual_add_f32 v27, v28, v29
	v_lshlrev_b32_e32 v28, 16, v58
	v_and_b32_e32 v29, 0xffff0000, v58
	v_lshlrev_b32_e32 v58, 16, v24
	v_and_b32_e32 v24, 0xffff0000, v24
	v_dual_add_f32 v23, v27, v25 :: v_dual_lshlrev_b32 v27, 16, v59
	s_delay_alu instid0(VALU_DEP_4) | instskip(SKIP_1) | instid1(VALU_DEP_3)
	v_add_f32_e32 v25, v28, v29
	v_and_b32_e32 v28, 0xffff0000, v59
	v_dual_add_f32 v24, v58, v24 :: v_dual_add_f32 v76, v76, v23
	v_pk_mul_bf16 v23, v22, v61
	v_pk_mul_bf16 v19, v0, v19
	s_delay_alu instid0(VALU_DEP_3) | instskip(SKIP_4) | instid1(VALU_DEP_4)
	v_dual_add_f32 v27, v27, v28 :: v_dual_add_f32 v24, v24, v25
	v_pk_mul_bf16 v25, v26, v50
	v_pk_mul_bf16 v28, v0, v51
	v_lshlrev_b32_e32 v29, 16, v23
	v_and_b32_e32 v23, 0xffff0000, v23
	v_dual_add_f32 v24, v27, v24 :: v_dual_lshlrev_b32 v50, 16, v25
	s_delay_alu instid0(VALU_DEP_4)
	v_lshlrev_b32_e32 v51, 16, v28
	v_and_b32_e32 v25, 0xffff0000, v25
	v_and_b32_e32 v28, 0xffff0000, v28
	v_add_f32_e32 v23, v29, v23
	v_and_b32_e32 v29, 0xffff0000, v52
	v_pk_mul_bf16 v20, v1, v20
	s_delay_alu instid0(VALU_DEP_4)
	v_dual_add_f32 v25, v50, v25 :: v_dual_add_f32 v27, v51, v28
	v_lshlrev_b32_e32 v28, 16, v52
	v_pk_mul_bf16 v21, v22, v21
	v_pk_mul_bf16 v14, v26, v14
	v_pk_mul_bf16 v15, v0, v15
	v_add_f32_e32 v25, v27, v25
	v_dual_add_f32 v23, v23, v24 :: v_dual_add_f32 v28, v28, v29
	v_pk_mul_bf16 v24, v22, v53
	v_pk_mul_bf16 v27, v26, v46
	;; [unrolled: 1-line block ×5, first 2 shown]
	s_delay_alu instid0(VALU_DEP_4) | instskip(SKIP_4) | instid1(VALU_DEP_4)
	v_dual_lshlrev_b32 v46, 16, v24 :: v_dual_lshlrev_b32 v47, 16, v27
	v_and_b32_e32 v24, 0xffff0000, v24
	v_and_b32_e32 v27, 0xffff0000, v27
	v_lshlrev_b32_e32 v50, 16, v29
	v_and_b32_e32 v29, 0xffff0000, v29
	v_dual_add_f32 v25, v28, v25 :: v_dual_add_f32 v24, v46, v24
	s_delay_alu instid0(VALU_DEP_4) | instskip(SKIP_1) | instid1(VALU_DEP_4)
	v_add_f32_e32 v27, v47, v27
	v_and_b32_e32 v46, 0xffff0000, v48
	v_dual_add_f32 v28, v50, v29 :: v_dual_lshlrev_b32 v29, 16, v48
	v_pk_mul_bf16 v47, v22, v49
	v_dual_add_f32 v79, v79, v23 :: v_dual_add_f32 v23, v24, v25
	s_delay_alu instid0(VALU_DEP_3) | instskip(NEXT) | instid1(VALU_DEP_3)
	v_dual_add_f32 v24, v28, v27 :: v_dual_add_f32 v25, v29, v46
	v_lshlrev_b32_e32 v27, 16, v47
	v_and_b32_e32 v28, 0xffff0000, v47
	v_pk_mul_bf16 v29, v26, v42
	v_add_f32_e32 v78, v78, v23
	v_pk_mul_bf16 v23, v0, v43
	v_add_f32_e32 v24, v25, v24
	s_delay_alu instid0(VALU_DEP_4) | instskip(SKIP_1) | instid1(VALU_DEP_4)
	v_dual_add_f32 v25, v27, v28 :: v_dual_lshlrev_b32 v27, 16, v29
	v_and_b32_e32 v28, 0xffff0000, v29
	v_lshlrev_b32_e32 v29, 16, v23
	v_and_b32_e32 v23, 0xffff0000, v23
	v_pk_mul_bf16 v42, v1, v44
	v_pk_mul_bf16 v43, v22, v45
	v_add_f32_e32 v27, v27, v28
	v_pk_mul_bf16 v28, v26, v38
	v_add_f32_e32 v23, v29, v23
	v_pk_mul_bf16 v29, v0, v39
	v_lshlrev_b32_e32 v38, 16, v42
	v_and_b32_e32 v39, 0xffff0000, v42
	v_lshlrev_b32_e32 v42, 16, v28
	v_and_b32_e32 v28, 0xffff0000, v28
	v_dual_add_f32 v23, v23, v27 :: v_dual_lshlrev_b32 v44, 16, v29
	v_and_b32_e32 v29, 0xffff0000, v29
	v_add_f32_e32 v27, v38, v39
	s_delay_alu instid0(VALU_DEP_4)
	v_add_f32_e32 v28, v42, v28
	v_and_b32_e32 v39, 0xffff0000, v40
	v_and_b32_e32 v42, 0xffff0000, v43
	v_dual_add_f32 v29, v44, v29 :: v_dual_lshlrev_b32 v38, 16, v40
	v_add_f32_e32 v23, v27, v23
	v_pk_mul_bf16 v40, v22, v41
	s_delay_alu instid0(VALU_DEP_3) | instskip(NEXT) | instid1(VALU_DEP_4)
	v_dual_add_f32 v28, v29, v28 :: v_dual_lshlrev_b32 v41, 16, v43
	v_add_f32_e32 v29, v38, v39
	v_pk_mul_bf16 v17, v22, v17
	s_delay_alu instid0(VALU_DEP_4)
	v_lshlrev_b32_e32 v38, 16, v40
	v_and_b32_e32 v39, 0xffff0000, v40
	v_add_f32_e32 v24, v25, v24
	v_add_f32_e32 v25, v41, v42
	v_pk_mul_bf16 v11, v0, v11
	v_pk_mul_bf16 v12, v1, v12
	;; [unrolled: 1-line block ×4, first 2 shown]
	v_add_f32_e32 v23, v25, v23
	v_dual_add_f32 v27, v29, v28 :: v_dual_add_f32 v28, v38, v39
	v_pk_mul_bf16 v29, v26, v34
	v_pk_mul_bf16 v34, v1, v36
	s_delay_alu instid0(VALU_DEP_4) | instskip(NEXT) | instid1(VALU_DEP_4)
	v_dual_add_f32 v80, v80, v23 :: v_dual_add_f32 v81, v81, v24
	v_add_f32_e32 v25, v28, v27
	v_pk_mul_bf16 v24, v0, v35
	v_lshlrev_b32_e32 v27, 16, v29
	v_and_b32_e32 v28, 0xffff0000, v29
	v_pk_mul_bf16 v2, v26, v2
	s_delay_alu instid0(VALU_DEP_4) | instskip(SKIP_1) | instid1(VALU_DEP_4)
	v_dual_add_f32 v83, v83, v25 :: v_dual_lshlrev_b32 v29, 16, v24
	v_and_b32_e32 v24, 0xffff0000, v24
	v_dual_add_f32 v23, v27, v28 :: v_dual_lshlrev_b32 v25, 16, v34
	v_and_b32_e32 v27, 0xffff0000, v34
	v_pk_mul_bf16 v28, v26, v30
	v_pk_mul_bf16 v30, v0, v31
	v_add_f32_e32 v24, v29, v24
	v_pk_mul_bf16 v29, v22, v37
	v_pk_mul_bf16 v31, v1, v32
	;; [unrolled: 1-line block ×4, first 2 shown]
	v_add_f32_e32 v23, v24, v23
	v_dual_add_f32 v24, v25, v27 :: v_dual_lshlrev_b32 v32, 16, v29
	v_lshlrev_b32_e32 v25, 16, v28
	v_and_b32_e32 v27, 0xffff0000, v28
	v_lshlrev_b32_e32 v28, 16, v30
	v_and_b32_e32 v30, 0xffff0000, v30
	v_and_b32_e32 v29, 0xffff0000, v29
	v_pk_mul_bf16 v9, v22, v9
	v_add_f32_e32 v25, v25, v27
	v_pk_mul_bf16 v4, v1, v4
	v_dual_add_f32 v27, v28, v30 :: v_dual_lshlrev_b32 v28, 16, v31
	v_and_b32_e32 v30, 0xffff0000, v31
	v_pk_mul_bf16 v31, v22, v33
	s_delay_alu instid0(VALU_DEP_3) | instskip(SKIP_1) | instid1(VALU_DEP_3)
	v_dual_add_f32 v23, v24, v23 :: v_dual_add_f32 v25, v27, v25
	v_add_f32_e32 v24, v32, v29
	v_dual_add_f32 v27, v28, v30 :: v_dual_lshlrev_b32 v28, 16, v31
	v_and_b32_e32 v29, 0xffff0000, v31
	v_add_nc_u32_e32 v97, 0x80, v97
	s_delay_alu instid0(VALU_DEP_3) | instskip(NEXT) | instid1(VALU_DEP_3)
	v_dual_add_f32 v23, v24, v23 :: v_dual_add_f32 v24, v27, v25
	v_dual_lshlrev_b32 v27, 16, v18 :: v_dual_add_f32 v25, v28, v29
	v_and_b32_e32 v18, 0xffff0000, v18
	v_lshlrev_b32_e32 v28, 16, v19
	v_and_b32_e32 v19, 0xffff0000, v19
	s_delay_alu instid0(VALU_DEP_4) | instskip(NEXT) | instid1(VALU_DEP_4)
	v_dual_add_f32 v82, v82, v23 :: v_dual_add_f32 v23, v25, v24
	v_dual_add_f32 v18, v27, v18 :: v_dual_lshlrev_b32 v24, 16, v20
	s_delay_alu instid0(VALU_DEP_3) | instskip(SKIP_1) | instid1(VALU_DEP_4)
	v_add_f32_e32 v19, v28, v19
	v_and_b32_e32 v20, 0xffff0000, v20
	v_dual_add_f32 v85, v85, v23 :: v_dual_lshlrev_b32 v23, 16, v14
	v_and_b32_e32 v14, 0xffff0000, v14
	s_delay_alu instid0(VALU_DEP_3)
	v_dual_add_f32 v18, v19, v18 :: v_dual_add_f32 v19, v24, v20
	v_lshlrev_b32_e32 v20, 16, v21
	v_and_b32_e32 v21, 0xffff0000, v21
	v_lshlrev_b32_e32 v24, 16, v15
	v_and_b32_e32 v15, 0xffff0000, v15
	v_add_f32_e32 v18, v19, v18
	s_delay_alu instid0(VALU_DEP_4) | instskip(NEXT) | instid1(VALU_DEP_3)
	v_dual_add_f32 v14, v23, v14 :: v_dual_add_f32 v19, v20, v21
	v_dual_lshlrev_b32 v21, 16, v17 :: v_dual_add_f32 v15, v24, v15
	v_lshlrev_b32_e32 v20, 16, v16
	v_and_b32_e32 v16, 0xffff0000, v16
	v_and_b32_e32 v17, 0xffff0000, v17
	v_add_f32_e32 v18, v19, v18
	v_add_f32_e32 v14, v15, v14
	s_wait_loadcnt 0x0
	v_pk_mul_bf16 v19, v22, v57
	v_dual_add_f32 v15, v20, v16 :: v_dual_lshlrev_b32 v16, 16, v10
	v_and_b32_e32 v10, 0xffff0000, v10
	v_lshlrev_b32_e32 v20, 16, v11
	v_and_b32_e32 v11, 0xffff0000, v11
	s_delay_alu instid0(VALU_DEP_4) | instskip(NEXT) | instid1(VALU_DEP_4)
	v_dual_add_f32 v14, v15, v14 :: v_dual_add_f32 v15, v21, v17
	v_dual_add_f32 v10, v16, v10 :: v_dual_lshlrev_b32 v16, 16, v12
	s_delay_alu instid0(VALU_DEP_3) | instskip(SKIP_2) | instid1(VALU_DEP_2)
	v_add_f32_e32 v11, v20, v11
	v_and_b32_e32 v12, 0xffff0000, v12
	v_add_nc_u32_e32 v98, 0x200, v98
	v_dual_add_f32 v10, v11, v10 :: v_dual_add_f32 v11, v16, v12
	v_pk_mul_bf16 v12, v22, v13
	v_dual_add_f32 v13, v15, v14 :: v_dual_lshlrev_b32 v15, 16, v7
	v_and_b32_e32 v7, 0xffff0000, v7
	v_lshlrev_b32_e32 v14, 16, v6
	v_and_b32_e32 v6, 0xffff0000, v6
	v_add_f32_e32 v84, v84, v18
	v_dual_add_f32 v10, v11, v10 :: v_dual_lshlrev_b32 v11, 16, v12
	v_and_b32_e32 v12, 0xffff0000, v12
	s_delay_alu instid0(VALU_DEP_4)
	v_dual_add_f32 v7, v15, v7 :: v_dual_add_f32 v6, v14, v6
	v_dual_lshlrev_b32 v14, 16, v2 :: v_dual_lshlrev_b32 v15, 16, v3
	v_and_b32_e32 v2, 0xffff0000, v2
	v_and_b32_e32 v3, 0xffff0000, v3
	v_add_f32_e32 v11, v11, v12
	v_lshlrev_b32_e32 v12, 16, v8
	v_and_b32_e32 v8, 0xffff0000, v8
	s_delay_alu instid0(VALU_DEP_4) | instskip(SKIP_2) | instid1(VALU_DEP_4)
	v_dual_add_f32 v2, v14, v2 :: v_dual_add_f32 v3, v15, v3
	v_add_f32_e32 v16, v7, v6
	v_and_b32_e32 v18, 0xffff0000, v4
	v_dual_add_f32 v8, v12, v8 :: v_dual_lshlrev_b32 v12, 16, v9
	s_delay_alu instid0(VALU_DEP_4)
	v_add_f32_e32 v15, v3, v2
	v_pk_mul_bf16 v2, v26, v54
	v_lshlrev_b32_e32 v17, 16, v4
	v_pk_mul_bf16 v4, v0, v55
	v_pk_mul_bf16 v6, v1, v56
	;; [unrolled: 1-line block ×3, first 2 shown]
	v_and_b32_e32 v1, 0xffff0000, v2
	v_lshlrev_b32_e32 v3, 16, v2
	v_and_b32_e32 v0, 0xffff0000, v4
	v_dual_lshlrev_b32 v2, 16, v4 :: v_dual_lshlrev_b32 v7, 16, v6
	v_and_b32_e32 v5, 0xffff0000, v6
	v_and_b32_e32 v4, 0xffff0000, v19
	v_dual_add_f32 v17, v17, v18 :: v_dual_lshlrev_b32 v6, 16, v19
	s_delay_alu instid0(VALU_DEP_4)
	v_pk_add_f32 v[0:1], v[2:3], v[0:1]
	v_and_b32_e32 v9, 0xffff0000, v9
	v_lshlrev_b32_e32 v18, 16, v14
	v_and_b32_e32 v14, 0xffff0000, v14
	v_pk_add_f32 v[2:3], v[6:7], v[4:5]
	v_add_f32_e32 v0, v0, v1
	v_dual_add_f32 v1, v8, v16 :: v_dual_add_f32 v5, v17, v15
	s_delay_alu instid0(VALU_DEP_4) | instskip(NEXT) | instid1(VALU_DEP_3)
	v_dual_add_f32 v4, v12, v9 :: v_dual_add_f32 v6, v18, v14
	v_add_f32_e32 v0, v3, v0
	s_delay_alu instid0(VALU_DEP_2) | instskip(SKIP_1) | instid1(VALU_DEP_3)
	v_dual_add_f32 v3, v11, v10 :: v_dual_add_f32 v1, v4, v1
	v_dual_add_nc_u32 v99, 4, v99 :: v_dual_add_f32 v87, v87, v13
	v_add_f32_e32 v0, v2, v0
	v_add_f32_e32 v4, v6, v5
	s_delay_alu instid0(VALU_DEP_4) | instskip(NEXT) | instid1(VALU_DEP_4)
	v_add_f32_e32 v89, v89, v1
	v_cmp_le_i32_e32 vcc_lo, s9, v99
	s_delay_alu instid0(VALU_DEP_4) | instskip(NEXT) | instid1(VALU_DEP_4)
	v_dual_add_f32 v86, v86, v3 :: v_dual_add_f32 v75, v75, v0
	v_add_f32_e32 v88, v88, v4
	s_or_b32 s10, vcc_lo, s10
	s_delay_alu instid0(SALU_CYCLE_1)
	s_and_not1_b32 exec_lo, exec_lo, s10
	s_cbranch_execz .LBB159_68
.LBB159_36:                             ; =>This Inner Loop Header: Depth=1
	global_load_b32 v0, v[92:93], off
	v_cmp_eq_u32_e32 vcc_lo, s5, v99
	v_or_b32_e32 v104, 3, v97
	v_or_b32_e32 v106, 2, v97
	;; [unrolled: 1-line block ×5, first 2 shown]
	v_dual_add_nc_u32 v105, 1, v97 :: v_dual_bitop2_b32 v102, 6, v97 bitop3:0x54
	s_wait_loadcnt 0x0
	v_ashrrev_i32_e32 v1, 31, v0
	s_delay_alu instid0(VALU_DEP_1) | instskip(NEXT) | instid1(VALU_DEP_1)
	v_mul_u64_e32 v[0:1], s[2:3], v[0:1]
	v_lshl_add_u64 v[0:1], v[0:1], 1, v[90:91]
	global_load_b128 v[2:5], v[0:1], off
	ds_load_2addr_b64 v[26:29], v98 offset1:1
	ds_load_2addr_b64 v[22:25], v98 offset0:2 offset1:3
	s_wait_xcnt 0x0
	s_and_saveexec_b32 s12, vcc_lo
	s_cbranch_execnz .LBB159_52
; %bb.37:                               ;   in Loop: Header=BB159_36 Depth=1
	s_or_b32 exec_lo, exec_lo, s12
	global_load_b128 v[6:9], v[0:1], off offset:512
	s_wait_xcnt 0x0
	s_and_saveexec_b32 s12, vcc_lo
	s_cbranch_execnz .LBB159_53
.LBB159_38:                             ;   in Loop: Header=BB159_36 Depth=1
	s_or_b32 exec_lo, exec_lo, s12
	global_load_b128 v[10:13], v[0:1], off offset:1024
	s_wait_xcnt 0x0
	s_and_saveexec_b32 s12, vcc_lo
	s_cbranch_execnz .LBB159_54
.LBB159_39:                             ;   in Loop: Header=BB159_36 Depth=1
	s_or_b32 exec_lo, exec_lo, s12
	global_load_b128 v[14:17], v[0:1], off offset:1536
	s_wait_xcnt 0x0
	s_and_saveexec_b32 s12, vcc_lo
	s_cbranch_execnz .LBB159_55
.LBB159_40:                             ;   in Loop: Header=BB159_36 Depth=1
	s_or_b32 exec_lo, exec_lo, s12
	global_load_b128 v[18:21], v[0:1], off offset:2048
	s_wait_xcnt 0x0
	s_and_saveexec_b32 s12, vcc_lo
	s_cbranch_execnz .LBB159_56
.LBB159_41:                             ;   in Loop: Header=BB159_36 Depth=1
	s_or_b32 exec_lo, exec_lo, s12
	global_load_b128 v[30:33], v[0:1], off offset:2560
	s_wait_xcnt 0x0
	s_and_saveexec_b32 s12, vcc_lo
	s_cbranch_execnz .LBB159_57
.LBB159_42:                             ;   in Loop: Header=BB159_36 Depth=1
	s_or_b32 exec_lo, exec_lo, s12
	global_load_b128 v[34:37], v[0:1], off offset:3072
	s_wait_xcnt 0x0
	s_and_saveexec_b32 s12, vcc_lo
	s_cbranch_execnz .LBB159_58
.LBB159_43:                             ;   in Loop: Header=BB159_36 Depth=1
	s_or_b32 exec_lo, exec_lo, s12
	global_load_b128 v[38:41], v[0:1], off offset:3584
	s_wait_xcnt 0x0
	s_and_saveexec_b32 s12, vcc_lo
	s_cbranch_execnz .LBB159_59
.LBB159_44:                             ;   in Loop: Header=BB159_36 Depth=1
	s_or_b32 exec_lo, exec_lo, s12
	global_load_b128 v[42:45], v[0:1], off offset:4096
	s_wait_xcnt 0x0
	s_and_saveexec_b32 s12, vcc_lo
	s_cbranch_execnz .LBB159_60
.LBB159_45:                             ;   in Loop: Header=BB159_36 Depth=1
	s_or_b32 exec_lo, exec_lo, s12
	global_load_b128 v[46:49], v[0:1], off offset:4608
	s_wait_xcnt 0x0
	s_and_saveexec_b32 s12, vcc_lo
	s_cbranch_execnz .LBB159_61
.LBB159_46:                             ;   in Loop: Header=BB159_36 Depth=1
	s_or_b32 exec_lo, exec_lo, s12
	global_load_b128 v[50:53], v[0:1], off offset:5120
	s_wait_xcnt 0x0
	s_and_saveexec_b32 s12, vcc_lo
	s_cbranch_execnz .LBB159_62
.LBB159_47:                             ;   in Loop: Header=BB159_36 Depth=1
	s_or_b32 exec_lo, exec_lo, s12
	global_load_b128 v[58:61], v[0:1], off offset:5632
	s_wait_xcnt 0x0
	s_and_saveexec_b32 s12, vcc_lo
	s_cbranch_execnz .LBB159_63
.LBB159_48:                             ;   in Loop: Header=BB159_36 Depth=1
	s_or_b32 exec_lo, exec_lo, s12
	global_load_b128 v[62:65], v[0:1], off offset:6144
	s_wait_xcnt 0x0
	s_and_saveexec_b32 s12, vcc_lo
	s_cbranch_execnz .LBB159_64
.LBB159_49:                             ;   in Loop: Header=BB159_36 Depth=1
	s_or_b32 exec_lo, exec_lo, s12
	global_load_b128 v[66:69], v[0:1], off offset:6656
	s_wait_xcnt 0x0
	s_and_saveexec_b32 s12, vcc_lo
	s_cbranch_execnz .LBB159_65
.LBB159_50:                             ;   in Loop: Header=BB159_36 Depth=1
	s_or_b32 exec_lo, exec_lo, s12
	global_load_b128 v[70:73], v[0:1], off offset:7168
	s_wait_xcnt 0x0
	s_and_saveexec_b32 s12, vcc_lo
	s_cbranch_execnz .LBB159_66
.LBB159_51:                             ;   in Loop: Header=BB159_36 Depth=1
	s_or_b32 exec_lo, exec_lo, s12
	global_load_b128 v[54:57], v[0:1], off offset:7680
	s_wait_xcnt 0x0
	s_and_saveexec_b32 s0, vcc_lo
	s_cbranch_execz .LBB159_35
	s_branch .LBB159_67
.LBB159_52:                             ;   in Loop: Header=BB159_36 Depth=1
	v_cmp_gt_i32_e64 s0, s21, v97
	s_wait_loadcnt 0x0
	v_dual_lshrrev_b32 v6, 16, v2 :: v_dual_lshrrev_b32 v8, 16, v4
	s_delay_alu instid0(VALU_DEP_2) | instskip(SKIP_1) | instid1(VALU_DEP_1)
	v_cndmask_b32_e64 v2, 0, v2, s0
	v_cmp_gt_i32_e64 s0, s11, v105
	v_dual_lshrrev_b32 v7, 16, v3 :: v_dual_cndmask_b32 v6, 0, v6, s0
	v_cmp_gt_i32_e64 s0, s21, v106
	s_delay_alu instid0(VALU_DEP_2) | instskip(NEXT) | instid1(VALU_DEP_2)
	v_perm_b32 v2, v6, v2, 0x5040100
	v_cndmask_b32_e64 v3, 0, v3, s0
	v_cmp_gt_i32_e64 s0, s11, v104
	s_delay_alu instid0(VALU_DEP_1) | instskip(SKIP_1) | instid1(VALU_DEP_1)
	v_cndmask_b32_e64 v7, 0, v7, s0
	v_cmp_gt_i32_e64 s0, s21, v103
	v_cndmask_b32_e64 v4, 0, v4, s0
	v_cmp_gt_i32_e64 s0, s11, v101
	v_lshrrev_b32_e32 v9, 16, v5
	v_perm_b32 v3, v7, v3, 0x5040100
	s_delay_alu instid0(VALU_DEP_3) | instskip(SKIP_1) | instid1(VALU_DEP_2)
	v_cndmask_b32_e64 v8, 0, v8, s0
	v_cmp_gt_i32_e64 s0, s21, v102
	v_perm_b32 v4, v8, v4, 0x5040100
	s_delay_alu instid0(VALU_DEP_2) | instskip(SKIP_1) | instid1(VALU_DEP_1)
	v_cndmask_b32_e64 v5, 0, v5, s0
	v_cmp_gt_i32_e64 s0, s11, v100
	v_cndmask_b32_e64 v9, 0, v9, s0
	s_delay_alu instid0(VALU_DEP_1)
	v_perm_b32 v5, v9, v5, 0x5040100
	s_or_b32 exec_lo, exec_lo, s12
	global_load_b128 v[6:9], v[0:1], off offset:512
	s_wait_xcnt 0x0
	s_and_saveexec_b32 s12, vcc_lo
	s_cbranch_execz .LBB159_38
.LBB159_53:                             ;   in Loop: Header=BB159_36 Depth=1
	v_cmp_gt_i32_e64 s0, s21, v97
	s_wait_loadcnt 0x0
	v_dual_lshrrev_b32 v10, 16, v6 :: v_dual_lshrrev_b32 v12, 16, v8
	s_delay_alu instid0(VALU_DEP_2) | instskip(SKIP_1) | instid1(VALU_DEP_1)
	v_cndmask_b32_e64 v6, 0, v6, s0
	v_cmp_gt_i32_e64 s0, s11, v105
	v_dual_lshrrev_b32 v11, 16, v7 :: v_dual_cndmask_b32 v10, 0, v10, s0
	v_cmp_gt_i32_e64 s0, s21, v106
	s_delay_alu instid0(VALU_DEP_2) | instskip(NEXT) | instid1(VALU_DEP_2)
	v_perm_b32 v6, v10, v6, 0x5040100
	v_cndmask_b32_e64 v7, 0, v7, s0
	v_cmp_gt_i32_e64 s0, s11, v104
	s_delay_alu instid0(VALU_DEP_1) | instskip(SKIP_1) | instid1(VALU_DEP_1)
	v_cndmask_b32_e64 v11, 0, v11, s0
	v_cmp_gt_i32_e64 s0, s21, v103
	v_cndmask_b32_e64 v8, 0, v8, s0
	v_cmp_gt_i32_e64 s0, s11, v101
	v_lshrrev_b32_e32 v13, 16, v9
	v_perm_b32 v7, v11, v7, 0x5040100
	s_delay_alu instid0(VALU_DEP_3) | instskip(SKIP_1) | instid1(VALU_DEP_2)
	v_cndmask_b32_e64 v12, 0, v12, s0
	v_cmp_gt_i32_e64 s0, s21, v102
	v_perm_b32 v8, v12, v8, 0x5040100
	s_delay_alu instid0(VALU_DEP_2) | instskip(SKIP_1) | instid1(VALU_DEP_1)
	v_cndmask_b32_e64 v9, 0, v9, s0
	v_cmp_gt_i32_e64 s0, s11, v100
	v_cndmask_b32_e64 v13, 0, v13, s0
	s_delay_alu instid0(VALU_DEP_1)
	v_perm_b32 v9, v13, v9, 0x5040100
	s_or_b32 exec_lo, exec_lo, s12
	global_load_b128 v[10:13], v[0:1], off offset:1024
	s_wait_xcnt 0x0
	s_and_saveexec_b32 s12, vcc_lo
	s_cbranch_execz .LBB159_39
.LBB159_54:                             ;   in Loop: Header=BB159_36 Depth=1
	v_cmp_gt_i32_e64 s0, s21, v97
	s_wait_loadcnt 0x0
	v_dual_lshrrev_b32 v14, 16, v10 :: v_dual_lshrrev_b32 v16, 16, v12
	s_delay_alu instid0(VALU_DEP_2) | instskip(SKIP_1) | instid1(VALU_DEP_1)
	v_cndmask_b32_e64 v10, 0, v10, s0
	v_cmp_gt_i32_e64 s0, s11, v105
	v_dual_lshrrev_b32 v15, 16, v11 :: v_dual_cndmask_b32 v14, 0, v14, s0
	v_cmp_gt_i32_e64 s0, s21, v106
	s_delay_alu instid0(VALU_DEP_2) | instskip(NEXT) | instid1(VALU_DEP_2)
	v_perm_b32 v10, v14, v10, 0x5040100
	v_cndmask_b32_e64 v11, 0, v11, s0
	v_cmp_gt_i32_e64 s0, s11, v104
	s_delay_alu instid0(VALU_DEP_1) | instskip(SKIP_1) | instid1(VALU_DEP_1)
	v_cndmask_b32_e64 v15, 0, v15, s0
	v_cmp_gt_i32_e64 s0, s21, v103
	v_cndmask_b32_e64 v12, 0, v12, s0
	v_cmp_gt_i32_e64 s0, s11, v101
	v_lshrrev_b32_e32 v17, 16, v13
	v_perm_b32 v11, v15, v11, 0x5040100
	s_delay_alu instid0(VALU_DEP_3) | instskip(SKIP_1) | instid1(VALU_DEP_2)
	v_cndmask_b32_e64 v16, 0, v16, s0
	v_cmp_gt_i32_e64 s0, s21, v102
	v_perm_b32 v12, v16, v12, 0x5040100
	s_delay_alu instid0(VALU_DEP_2) | instskip(SKIP_1) | instid1(VALU_DEP_1)
	v_cndmask_b32_e64 v13, 0, v13, s0
	v_cmp_gt_i32_e64 s0, s11, v100
	v_cndmask_b32_e64 v17, 0, v17, s0
	s_delay_alu instid0(VALU_DEP_1)
	v_perm_b32 v13, v17, v13, 0x5040100
	s_or_b32 exec_lo, exec_lo, s12
	global_load_b128 v[14:17], v[0:1], off offset:1536
	s_wait_xcnt 0x0
	s_and_saveexec_b32 s12, vcc_lo
	s_cbranch_execz .LBB159_40
.LBB159_55:                             ;   in Loop: Header=BB159_36 Depth=1
	v_cmp_gt_i32_e64 s0, s21, v97
	s_wait_loadcnt 0x0
	v_dual_lshrrev_b32 v18, 16, v14 :: v_dual_lshrrev_b32 v20, 16, v16
	s_delay_alu instid0(VALU_DEP_2) | instskip(SKIP_1) | instid1(VALU_DEP_1)
	v_cndmask_b32_e64 v14, 0, v14, s0
	v_cmp_gt_i32_e64 s0, s11, v105
	v_dual_lshrrev_b32 v19, 16, v15 :: v_dual_cndmask_b32 v18, 0, v18, s0
	v_cmp_gt_i32_e64 s0, s21, v106
	s_delay_alu instid0(VALU_DEP_2) | instskip(NEXT) | instid1(VALU_DEP_2)
	v_perm_b32 v14, v18, v14, 0x5040100
	v_cndmask_b32_e64 v15, 0, v15, s0
	v_cmp_gt_i32_e64 s0, s11, v104
	s_delay_alu instid0(VALU_DEP_1) | instskip(SKIP_1) | instid1(VALU_DEP_1)
	v_cndmask_b32_e64 v19, 0, v19, s0
	v_cmp_gt_i32_e64 s0, s21, v103
	v_cndmask_b32_e64 v16, 0, v16, s0
	v_cmp_gt_i32_e64 s0, s11, v101
	v_lshrrev_b32_e32 v21, 16, v17
	v_perm_b32 v15, v19, v15, 0x5040100
	s_delay_alu instid0(VALU_DEP_3) | instskip(SKIP_1) | instid1(VALU_DEP_2)
	v_cndmask_b32_e64 v20, 0, v20, s0
	v_cmp_gt_i32_e64 s0, s21, v102
	v_perm_b32 v16, v20, v16, 0x5040100
	s_delay_alu instid0(VALU_DEP_2) | instskip(SKIP_1) | instid1(VALU_DEP_1)
	v_cndmask_b32_e64 v17, 0, v17, s0
	v_cmp_gt_i32_e64 s0, s11, v100
	v_cndmask_b32_e64 v21, 0, v21, s0
	s_delay_alu instid0(VALU_DEP_1)
	v_perm_b32 v17, v21, v17, 0x5040100
	s_or_b32 exec_lo, exec_lo, s12
	global_load_b128 v[18:21], v[0:1], off offset:2048
	s_wait_xcnt 0x0
	s_and_saveexec_b32 s12, vcc_lo
	s_cbranch_execz .LBB159_41
.LBB159_56:                             ;   in Loop: Header=BB159_36 Depth=1
	v_cmp_gt_i32_e64 s0, s21, v97
	s_wait_loadcnt 0x0
	v_dual_lshrrev_b32 v30, 16, v18 :: v_dual_lshrrev_b32 v32, 16, v20
	s_delay_alu instid0(VALU_DEP_2) | instskip(SKIP_1) | instid1(VALU_DEP_1)
	v_cndmask_b32_e64 v18, 0, v18, s0
	v_cmp_gt_i32_e64 s0, s11, v105
	v_dual_lshrrev_b32 v31, 16, v19 :: v_dual_cndmask_b32 v30, 0, v30, s0
	v_cmp_gt_i32_e64 s0, s21, v106
	s_delay_alu instid0(VALU_DEP_2) | instskip(NEXT) | instid1(VALU_DEP_2)
	v_perm_b32 v18, v30, v18, 0x5040100
	v_cndmask_b32_e64 v19, 0, v19, s0
	v_cmp_gt_i32_e64 s0, s11, v104
	s_delay_alu instid0(VALU_DEP_1) | instskip(SKIP_1) | instid1(VALU_DEP_1)
	v_cndmask_b32_e64 v31, 0, v31, s0
	v_cmp_gt_i32_e64 s0, s21, v103
	v_cndmask_b32_e64 v20, 0, v20, s0
	v_cmp_gt_i32_e64 s0, s11, v101
	v_lshrrev_b32_e32 v33, 16, v21
	v_perm_b32 v19, v31, v19, 0x5040100
	s_delay_alu instid0(VALU_DEP_3) | instskip(SKIP_1) | instid1(VALU_DEP_2)
	v_cndmask_b32_e64 v32, 0, v32, s0
	v_cmp_gt_i32_e64 s0, s21, v102
	v_perm_b32 v20, v32, v20, 0x5040100
	s_delay_alu instid0(VALU_DEP_2) | instskip(SKIP_1) | instid1(VALU_DEP_1)
	v_cndmask_b32_e64 v21, 0, v21, s0
	v_cmp_gt_i32_e64 s0, s11, v100
	v_cndmask_b32_e64 v33, 0, v33, s0
	s_delay_alu instid0(VALU_DEP_1)
	v_perm_b32 v21, v33, v21, 0x5040100
	s_or_b32 exec_lo, exec_lo, s12
	global_load_b128 v[30:33], v[0:1], off offset:2560
	s_wait_xcnt 0x0
	s_and_saveexec_b32 s12, vcc_lo
	s_cbranch_execz .LBB159_42
.LBB159_57:                             ;   in Loop: Header=BB159_36 Depth=1
	v_cmp_gt_i32_e64 s0, s21, v97
	s_wait_loadcnt 0x0
	v_dual_lshrrev_b32 v34, 16, v30 :: v_dual_lshrrev_b32 v36, 16, v32
	s_delay_alu instid0(VALU_DEP_2) | instskip(SKIP_1) | instid1(VALU_DEP_1)
	v_cndmask_b32_e64 v30, 0, v30, s0
	v_cmp_gt_i32_e64 s0, s11, v105
	v_dual_lshrrev_b32 v35, 16, v31 :: v_dual_cndmask_b32 v34, 0, v34, s0
	v_cmp_gt_i32_e64 s0, s21, v106
	s_delay_alu instid0(VALU_DEP_2) | instskip(NEXT) | instid1(VALU_DEP_2)
	v_perm_b32 v30, v34, v30, 0x5040100
	v_cndmask_b32_e64 v31, 0, v31, s0
	v_cmp_gt_i32_e64 s0, s11, v104
	s_delay_alu instid0(VALU_DEP_1) | instskip(SKIP_1) | instid1(VALU_DEP_1)
	v_cndmask_b32_e64 v35, 0, v35, s0
	v_cmp_gt_i32_e64 s0, s21, v103
	v_cndmask_b32_e64 v32, 0, v32, s0
	v_cmp_gt_i32_e64 s0, s11, v101
	v_lshrrev_b32_e32 v37, 16, v33
	v_perm_b32 v31, v35, v31, 0x5040100
	s_delay_alu instid0(VALU_DEP_3) | instskip(SKIP_1) | instid1(VALU_DEP_2)
	v_cndmask_b32_e64 v36, 0, v36, s0
	v_cmp_gt_i32_e64 s0, s21, v102
	v_perm_b32 v32, v36, v32, 0x5040100
	s_delay_alu instid0(VALU_DEP_2) | instskip(SKIP_1) | instid1(VALU_DEP_1)
	v_cndmask_b32_e64 v33, 0, v33, s0
	v_cmp_gt_i32_e64 s0, s11, v100
	v_cndmask_b32_e64 v37, 0, v37, s0
	s_delay_alu instid0(VALU_DEP_1)
	v_perm_b32 v33, v37, v33, 0x5040100
	s_or_b32 exec_lo, exec_lo, s12
	global_load_b128 v[34:37], v[0:1], off offset:3072
	s_wait_xcnt 0x0
	s_and_saveexec_b32 s12, vcc_lo
	s_cbranch_execz .LBB159_43
.LBB159_58:                             ;   in Loop: Header=BB159_36 Depth=1
	v_cmp_gt_i32_e64 s0, s21, v97
	s_wait_loadcnt 0x0
	v_dual_lshrrev_b32 v38, 16, v34 :: v_dual_lshrrev_b32 v40, 16, v36
	s_delay_alu instid0(VALU_DEP_2) | instskip(SKIP_1) | instid1(VALU_DEP_1)
	v_cndmask_b32_e64 v34, 0, v34, s0
	v_cmp_gt_i32_e64 s0, s11, v105
	v_dual_lshrrev_b32 v39, 16, v35 :: v_dual_cndmask_b32 v38, 0, v38, s0
	v_cmp_gt_i32_e64 s0, s21, v106
	s_delay_alu instid0(VALU_DEP_2) | instskip(NEXT) | instid1(VALU_DEP_2)
	v_perm_b32 v34, v38, v34, 0x5040100
	v_cndmask_b32_e64 v35, 0, v35, s0
	v_cmp_gt_i32_e64 s0, s11, v104
	s_delay_alu instid0(VALU_DEP_1) | instskip(SKIP_1) | instid1(VALU_DEP_1)
	v_cndmask_b32_e64 v39, 0, v39, s0
	v_cmp_gt_i32_e64 s0, s21, v103
	v_cndmask_b32_e64 v36, 0, v36, s0
	v_cmp_gt_i32_e64 s0, s11, v101
	v_lshrrev_b32_e32 v41, 16, v37
	v_perm_b32 v35, v39, v35, 0x5040100
	s_delay_alu instid0(VALU_DEP_3) | instskip(SKIP_1) | instid1(VALU_DEP_2)
	v_cndmask_b32_e64 v40, 0, v40, s0
	v_cmp_gt_i32_e64 s0, s21, v102
	v_perm_b32 v36, v40, v36, 0x5040100
	s_delay_alu instid0(VALU_DEP_2) | instskip(SKIP_1) | instid1(VALU_DEP_1)
	v_cndmask_b32_e64 v37, 0, v37, s0
	v_cmp_gt_i32_e64 s0, s11, v100
	v_cndmask_b32_e64 v41, 0, v41, s0
	s_delay_alu instid0(VALU_DEP_1)
	v_perm_b32 v37, v41, v37, 0x5040100
	s_or_b32 exec_lo, exec_lo, s12
	global_load_b128 v[38:41], v[0:1], off offset:3584
	s_wait_xcnt 0x0
	s_and_saveexec_b32 s12, vcc_lo
	s_cbranch_execz .LBB159_44
.LBB159_59:                             ;   in Loop: Header=BB159_36 Depth=1
	v_cmp_gt_i32_e64 s0, s21, v97
	s_wait_loadcnt 0x0
	v_dual_lshrrev_b32 v42, 16, v38 :: v_dual_lshrrev_b32 v44, 16, v40
	s_delay_alu instid0(VALU_DEP_2) | instskip(SKIP_1) | instid1(VALU_DEP_1)
	v_cndmask_b32_e64 v38, 0, v38, s0
	v_cmp_gt_i32_e64 s0, s11, v105
	v_dual_lshrrev_b32 v43, 16, v39 :: v_dual_cndmask_b32 v42, 0, v42, s0
	v_cmp_gt_i32_e64 s0, s21, v106
	s_delay_alu instid0(VALU_DEP_2) | instskip(NEXT) | instid1(VALU_DEP_2)
	v_perm_b32 v38, v42, v38, 0x5040100
	v_cndmask_b32_e64 v39, 0, v39, s0
	v_cmp_gt_i32_e64 s0, s11, v104
	s_delay_alu instid0(VALU_DEP_1) | instskip(SKIP_1) | instid1(VALU_DEP_1)
	v_cndmask_b32_e64 v43, 0, v43, s0
	v_cmp_gt_i32_e64 s0, s21, v103
	v_cndmask_b32_e64 v40, 0, v40, s0
	v_cmp_gt_i32_e64 s0, s11, v101
	v_lshrrev_b32_e32 v45, 16, v41
	v_perm_b32 v39, v43, v39, 0x5040100
	s_delay_alu instid0(VALU_DEP_3) | instskip(SKIP_1) | instid1(VALU_DEP_2)
	v_cndmask_b32_e64 v44, 0, v44, s0
	v_cmp_gt_i32_e64 s0, s21, v102
	v_perm_b32 v40, v44, v40, 0x5040100
	s_delay_alu instid0(VALU_DEP_2) | instskip(SKIP_1) | instid1(VALU_DEP_1)
	v_cndmask_b32_e64 v41, 0, v41, s0
	v_cmp_gt_i32_e64 s0, s11, v100
	v_cndmask_b32_e64 v45, 0, v45, s0
	s_delay_alu instid0(VALU_DEP_1)
	v_perm_b32 v41, v45, v41, 0x5040100
	s_or_b32 exec_lo, exec_lo, s12
	global_load_b128 v[42:45], v[0:1], off offset:4096
	s_wait_xcnt 0x0
	s_and_saveexec_b32 s12, vcc_lo
	s_cbranch_execz .LBB159_45
.LBB159_60:                             ;   in Loop: Header=BB159_36 Depth=1
	v_cmp_gt_i32_e64 s0, s21, v97
	s_wait_loadcnt 0x0
	v_dual_lshrrev_b32 v46, 16, v42 :: v_dual_lshrrev_b32 v48, 16, v44
	s_delay_alu instid0(VALU_DEP_2) | instskip(SKIP_1) | instid1(VALU_DEP_1)
	v_cndmask_b32_e64 v42, 0, v42, s0
	v_cmp_gt_i32_e64 s0, s11, v105
	v_dual_lshrrev_b32 v47, 16, v43 :: v_dual_cndmask_b32 v46, 0, v46, s0
	v_cmp_gt_i32_e64 s0, s21, v106
	s_delay_alu instid0(VALU_DEP_2) | instskip(NEXT) | instid1(VALU_DEP_2)
	v_perm_b32 v42, v46, v42, 0x5040100
	v_cndmask_b32_e64 v43, 0, v43, s0
	v_cmp_gt_i32_e64 s0, s11, v104
	s_delay_alu instid0(VALU_DEP_1) | instskip(SKIP_1) | instid1(VALU_DEP_1)
	v_cndmask_b32_e64 v47, 0, v47, s0
	v_cmp_gt_i32_e64 s0, s21, v103
	v_cndmask_b32_e64 v44, 0, v44, s0
	v_cmp_gt_i32_e64 s0, s11, v101
	v_lshrrev_b32_e32 v49, 16, v45
	v_perm_b32 v43, v47, v43, 0x5040100
	s_delay_alu instid0(VALU_DEP_3) | instskip(SKIP_1) | instid1(VALU_DEP_2)
	v_cndmask_b32_e64 v48, 0, v48, s0
	v_cmp_gt_i32_e64 s0, s21, v102
	v_perm_b32 v44, v48, v44, 0x5040100
	s_delay_alu instid0(VALU_DEP_2) | instskip(SKIP_1) | instid1(VALU_DEP_1)
	v_cndmask_b32_e64 v45, 0, v45, s0
	v_cmp_gt_i32_e64 s0, s11, v100
	v_cndmask_b32_e64 v49, 0, v49, s0
	s_delay_alu instid0(VALU_DEP_1)
	v_perm_b32 v45, v49, v45, 0x5040100
	s_or_b32 exec_lo, exec_lo, s12
	global_load_b128 v[46:49], v[0:1], off offset:4608
	s_wait_xcnt 0x0
	s_and_saveexec_b32 s12, vcc_lo
	s_cbranch_execz .LBB159_46
.LBB159_61:                             ;   in Loop: Header=BB159_36 Depth=1
	v_cmp_gt_i32_e64 s0, s21, v97
	s_wait_loadcnt 0x0
	v_dual_lshrrev_b32 v50, 16, v46 :: v_dual_lshrrev_b32 v52, 16, v48
	s_delay_alu instid0(VALU_DEP_2) | instskip(SKIP_1) | instid1(VALU_DEP_1)
	v_cndmask_b32_e64 v46, 0, v46, s0
	v_cmp_gt_i32_e64 s0, s11, v105
	v_dual_lshrrev_b32 v51, 16, v47 :: v_dual_cndmask_b32 v50, 0, v50, s0
	v_cmp_gt_i32_e64 s0, s21, v106
	s_delay_alu instid0(VALU_DEP_2) | instskip(NEXT) | instid1(VALU_DEP_2)
	v_perm_b32 v46, v50, v46, 0x5040100
	v_cndmask_b32_e64 v47, 0, v47, s0
	v_cmp_gt_i32_e64 s0, s11, v104
	s_delay_alu instid0(VALU_DEP_1) | instskip(SKIP_1) | instid1(VALU_DEP_1)
	v_cndmask_b32_e64 v51, 0, v51, s0
	v_cmp_gt_i32_e64 s0, s21, v103
	v_cndmask_b32_e64 v48, 0, v48, s0
	v_cmp_gt_i32_e64 s0, s11, v101
	v_lshrrev_b32_e32 v53, 16, v49
	v_perm_b32 v47, v51, v47, 0x5040100
	s_delay_alu instid0(VALU_DEP_3) | instskip(SKIP_1) | instid1(VALU_DEP_2)
	v_cndmask_b32_e64 v52, 0, v52, s0
	v_cmp_gt_i32_e64 s0, s21, v102
	v_perm_b32 v48, v52, v48, 0x5040100
	s_delay_alu instid0(VALU_DEP_2) | instskip(SKIP_1) | instid1(VALU_DEP_1)
	v_cndmask_b32_e64 v49, 0, v49, s0
	v_cmp_gt_i32_e64 s0, s11, v100
	v_cndmask_b32_e64 v53, 0, v53, s0
	s_delay_alu instid0(VALU_DEP_1)
	v_perm_b32 v49, v53, v49, 0x5040100
	s_or_b32 exec_lo, exec_lo, s12
	global_load_b128 v[50:53], v[0:1], off offset:5120
	s_wait_xcnt 0x0
	s_and_saveexec_b32 s12, vcc_lo
	s_cbranch_execz .LBB159_47
.LBB159_62:                             ;   in Loop: Header=BB159_36 Depth=1
	v_cmp_gt_i32_e64 s0, s21, v97
	s_wait_loadcnt 0x0
	v_dual_lshrrev_b32 v54, 16, v50 :: v_dual_lshrrev_b32 v56, 16, v52
	s_delay_alu instid0(VALU_DEP_2) | instskip(SKIP_1) | instid1(VALU_DEP_1)
	v_cndmask_b32_e64 v50, 0, v50, s0
	v_cmp_gt_i32_e64 s0, s11, v105
	v_dual_lshrrev_b32 v55, 16, v51 :: v_dual_cndmask_b32 v54, 0, v54, s0
	v_cmp_gt_i32_e64 s0, s21, v106
	s_delay_alu instid0(VALU_DEP_2) | instskip(NEXT) | instid1(VALU_DEP_2)
	v_perm_b32 v50, v54, v50, 0x5040100
	v_cndmask_b32_e64 v51, 0, v51, s0
	v_cmp_gt_i32_e64 s0, s11, v104
	s_delay_alu instid0(VALU_DEP_1) | instskip(SKIP_1) | instid1(VALU_DEP_1)
	v_cndmask_b32_e64 v55, 0, v55, s0
	v_cmp_gt_i32_e64 s0, s21, v103
	v_cndmask_b32_e64 v52, 0, v52, s0
	v_cmp_gt_i32_e64 s0, s11, v101
	v_lshrrev_b32_e32 v57, 16, v53
	v_perm_b32 v51, v55, v51, 0x5040100
	s_delay_alu instid0(VALU_DEP_3) | instskip(SKIP_1) | instid1(VALU_DEP_2)
	v_cndmask_b32_e64 v56, 0, v56, s0
	v_cmp_gt_i32_e64 s0, s21, v102
	v_perm_b32 v52, v56, v52, 0x5040100
	s_delay_alu instid0(VALU_DEP_2) | instskip(SKIP_1) | instid1(VALU_DEP_1)
	v_cndmask_b32_e64 v53, 0, v53, s0
	v_cmp_gt_i32_e64 s0, s11, v100
	v_cndmask_b32_e64 v57, 0, v57, s0
	s_delay_alu instid0(VALU_DEP_1)
	v_perm_b32 v53, v57, v53, 0x5040100
	s_or_b32 exec_lo, exec_lo, s12
	global_load_b128 v[58:61], v[0:1], off offset:5632
	s_wait_xcnt 0x0
	s_and_saveexec_b32 s12, vcc_lo
	s_cbranch_execz .LBB159_48
.LBB159_63:                             ;   in Loop: Header=BB159_36 Depth=1
	v_cmp_gt_i32_e64 s0, s21, v97
	s_wait_loadcnt 0x0
	s_delay_alu instid0(VALU_DEP_1) | instskip(SKIP_1) | instid1(VALU_DEP_1)
	v_dual_lshrrev_b32 v54, 16, v58 :: v_dual_cndmask_b32 v55, 0, v58, s0
	v_cmp_gt_i32_e64 s0, s11, v105
	v_dual_lshrrev_b32 v56, 16, v59 :: v_dual_cndmask_b32 v54, 0, v54, s0
	v_cmp_gt_i32_e64 s0, s21, v106
	s_delay_alu instid0(VALU_DEP_1) | instskip(SKIP_1) | instid1(VALU_DEP_1)
	v_cndmask_b32_e64 v57, 0, v59, s0
	v_cmp_gt_i32_e64 s0, s11, v104
	v_cndmask_b32_e64 v56, 0, v56, s0
	v_cmp_gt_i32_e64 s0, s21, v103
	s_delay_alu instid0(VALU_DEP_1) | instskip(SKIP_1) | instid1(VALU_DEP_1)
	v_dual_lshrrev_b32 v58, 16, v60 :: v_dual_cndmask_b32 v60, 0, v60, s0
	v_cmp_gt_i32_e64 s0, s11, v101
	v_dual_lshrrev_b32 v59, 16, v61 :: v_dual_cndmask_b32 v62, 0, v58, s0
	v_cmp_gt_i32_e64 s0, s21, v102
	v_perm_b32 v58, v54, v55, 0x5040100
	s_delay_alu instid0(VALU_DEP_3) | instskip(NEXT) | instid1(VALU_DEP_3)
	v_perm_b32 v60, v62, v60, 0x5040100
	v_cndmask_b32_e64 v61, 0, v61, s0
	v_cmp_gt_i32_e64 s0, s11, v100
	s_delay_alu instid0(VALU_DEP_1) | instskip(SKIP_1) | instid1(VALU_DEP_2)
	v_cndmask_b32_e64 v63, 0, v59, s0
	v_perm_b32 v59, v56, v57, 0x5040100
	v_perm_b32 v61, v63, v61, 0x5040100
	s_or_b32 exec_lo, exec_lo, s12
	global_load_b128 v[62:65], v[0:1], off offset:6144
	s_wait_xcnt 0x0
	s_and_saveexec_b32 s12, vcc_lo
	s_cbranch_execz .LBB159_49
.LBB159_64:                             ;   in Loop: Header=BB159_36 Depth=1
	v_cmp_gt_i32_e64 s0, s21, v97
	s_wait_loadcnt 0x0
	s_delay_alu instid0(VALU_DEP_1) | instskip(SKIP_1) | instid1(VALU_DEP_1)
	v_dual_lshrrev_b32 v54, 16, v62 :: v_dual_cndmask_b32 v55, 0, v62, s0
	v_cmp_gt_i32_e64 s0, s11, v105
	v_dual_lshrrev_b32 v56, 16, v63 :: v_dual_cndmask_b32 v54, 0, v54, s0
	v_cmp_gt_i32_e64 s0, s21, v106
	s_delay_alu instid0(VALU_DEP_1) | instskip(SKIP_1) | instid1(VALU_DEP_1)
	v_cndmask_b32_e64 v57, 0, v63, s0
	v_cmp_gt_i32_e64 s0, s11, v104
	v_cndmask_b32_e64 v56, 0, v56, s0
	v_cmp_gt_i32_e64 s0, s21, v103
	s_delay_alu instid0(VALU_DEP_1) | instskip(SKIP_1) | instid1(VALU_DEP_1)
	v_dual_lshrrev_b32 v62, 16, v64 :: v_dual_cndmask_b32 v64, 0, v64, s0
	v_cmp_gt_i32_e64 s0, s11, v101
	v_dual_lshrrev_b32 v63, 16, v65 :: v_dual_cndmask_b32 v66, 0, v62, s0
	v_cmp_gt_i32_e64 s0, s21, v102
	v_perm_b32 v62, v54, v55, 0x5040100
	s_delay_alu instid0(VALU_DEP_3) | instskip(NEXT) | instid1(VALU_DEP_3)
	v_perm_b32 v64, v66, v64, 0x5040100
	v_cndmask_b32_e64 v65, 0, v65, s0
	v_cmp_gt_i32_e64 s0, s11, v100
	s_delay_alu instid0(VALU_DEP_1) | instskip(SKIP_1) | instid1(VALU_DEP_2)
	v_cndmask_b32_e64 v67, 0, v63, s0
	v_perm_b32 v63, v56, v57, 0x5040100
	v_perm_b32 v65, v67, v65, 0x5040100
	s_or_b32 exec_lo, exec_lo, s12
	global_load_b128 v[66:69], v[0:1], off offset:6656
	s_wait_xcnt 0x0
	s_and_saveexec_b32 s12, vcc_lo
	s_cbranch_execz .LBB159_50
.LBB159_65:                             ;   in Loop: Header=BB159_36 Depth=1
	v_cmp_gt_i32_e64 s0, s21, v97
	s_wait_loadcnt 0x0
	s_delay_alu instid0(VALU_DEP_1) | instskip(SKIP_1) | instid1(VALU_DEP_1)
	v_dual_lshrrev_b32 v54, 16, v66 :: v_dual_cndmask_b32 v55, 0, v66, s0
	v_cmp_gt_i32_e64 s0, s11, v105
	v_dual_lshrrev_b32 v56, 16, v67 :: v_dual_cndmask_b32 v54, 0, v54, s0
	v_cmp_gt_i32_e64 s0, s21, v106
	s_delay_alu instid0(VALU_DEP_1) | instskip(SKIP_1) | instid1(VALU_DEP_1)
	v_cndmask_b32_e64 v57, 0, v67, s0
	v_cmp_gt_i32_e64 s0, s11, v104
	v_cndmask_b32_e64 v56, 0, v56, s0
	v_cmp_gt_i32_e64 s0, s21, v103
	s_delay_alu instid0(VALU_DEP_1) | instskip(SKIP_1) | instid1(VALU_DEP_1)
	v_dual_lshrrev_b32 v66, 16, v68 :: v_dual_cndmask_b32 v68, 0, v68, s0
	v_cmp_gt_i32_e64 s0, s11, v101
	v_dual_lshrrev_b32 v67, 16, v69 :: v_dual_cndmask_b32 v70, 0, v66, s0
	v_cmp_gt_i32_e64 s0, s21, v102
	v_perm_b32 v66, v54, v55, 0x5040100
	s_delay_alu instid0(VALU_DEP_3) | instskip(NEXT) | instid1(VALU_DEP_3)
	v_perm_b32 v68, v70, v68, 0x5040100
	v_cndmask_b32_e64 v69, 0, v69, s0
	v_cmp_gt_i32_e64 s0, s11, v100
	s_delay_alu instid0(VALU_DEP_1) | instskip(SKIP_1) | instid1(VALU_DEP_2)
	v_cndmask_b32_e64 v71, 0, v67, s0
	v_perm_b32 v67, v56, v57, 0x5040100
	v_perm_b32 v69, v71, v69, 0x5040100
	s_or_b32 exec_lo, exec_lo, s12
	global_load_b128 v[70:73], v[0:1], off offset:7168
	s_wait_xcnt 0x0
	s_and_saveexec_b32 s12, vcc_lo
	s_cbranch_execz .LBB159_51
.LBB159_66:                             ;   in Loop: Header=BB159_36 Depth=1
	v_cmp_gt_i32_e64 s0, s21, v97
	s_wait_loadcnt 0x0
	s_delay_alu instid0(VALU_DEP_1) | instskip(SKIP_1) | instid1(VALU_DEP_1)
	v_dual_lshrrev_b32 v54, 16, v70 :: v_dual_cndmask_b32 v55, 0, v70, s0
	v_cmp_gt_i32_e64 s0, s11, v105
	v_dual_lshrrev_b32 v56, 16, v71 :: v_dual_cndmask_b32 v54, 0, v54, s0
	v_cmp_gt_i32_e64 s0, s21, v106
	s_delay_alu instid0(VALU_DEP_1) | instskip(SKIP_1) | instid1(VALU_DEP_1)
	v_cndmask_b32_e64 v57, 0, v71, s0
	v_cmp_gt_i32_e64 s0, s11, v104
	v_cndmask_b32_e64 v56, 0, v56, s0
	v_cmp_gt_i32_e64 s0, s21, v103
	s_delay_alu instid0(VALU_DEP_1) | instskip(SKIP_1) | instid1(VALU_DEP_1)
	v_dual_lshrrev_b32 v70, 16, v72 :: v_dual_cndmask_b32 v72, 0, v72, s0
	v_cmp_gt_i32_e64 s0, s11, v101
	v_dual_lshrrev_b32 v71, 16, v73 :: v_dual_cndmask_b32 v107, 0, v70, s0
	v_cmp_gt_i32_e64 s0, s21, v102
	v_perm_b32 v70, v54, v55, 0x5040100
	s_delay_alu instid0(VALU_DEP_3) | instskip(NEXT) | instid1(VALU_DEP_3)
	v_perm_b32 v72, v107, v72, 0x5040100
	v_cndmask_b32_e64 v73, 0, v73, s0
	v_cmp_gt_i32_e64 s0, s11, v100
	s_delay_alu instid0(VALU_DEP_1) | instskip(SKIP_1) | instid1(VALU_DEP_2)
	v_cndmask_b32_e64 v108, 0, v71, s0
	v_perm_b32 v71, v56, v57, 0x5040100
	v_perm_b32 v73, v108, v73, 0x5040100
	s_or_b32 exec_lo, exec_lo, s12
	global_load_b128 v[54:57], v[0:1], off offset:7680
	s_wait_xcnt 0x0
	s_and_saveexec_b32 s0, vcc_lo
	s_cbranch_execz .LBB159_35
.LBB159_67:                             ;   in Loop: Header=BB159_36 Depth=1
	v_cmp_gt_i32_e32 vcc_lo, s21, v97
	s_wait_loadcnt 0x0
	v_dual_cndmask_b32 v1, 0, v54 :: v_dual_lshrrev_b32 v0, 16, v54
	v_cmp_gt_i32_e32 vcc_lo, s11, v105
	s_delay_alu instid0(VALU_DEP_2) | instskip(SKIP_3) | instid1(VALU_DEP_4)
	v_dual_lshrrev_b32 v54, 16, v55 :: v_dual_cndmask_b32 v0, 0, v0, vcc_lo
	v_cmp_gt_i32_e32 vcc_lo, s21, v106
	v_cndmask_b32_e32 v55, 0, v55, vcc_lo
	v_cmp_gt_i32_e32 vcc_lo, s11, v104
	v_cndmask_b32_e32 v104, 0, v54, vcc_lo
	v_cmp_gt_i32_e32 vcc_lo, s21, v103
	v_lshrrev_b32_e32 v54, 16, v56
	s_delay_alu instid0(VALU_DEP_3) | instskip(SKIP_2) | instid1(VALU_DEP_4)
	v_perm_b32 v55, v104, v55, 0x5040100
	v_cndmask_b32_e32 v56, 0, v56, vcc_lo
	v_cmp_gt_i32_e32 vcc_lo, s11, v101
	v_dual_lshrrev_b32 v103, 16, v57 :: v_dual_cndmask_b32 v101, 0, v54, vcc_lo
	v_cmp_gt_i32_e32 vcc_lo, s21, v102
	v_perm_b32 v54, v0, v1, 0x5040100
	s_delay_alu instid0(VALU_DEP_3) | instskip(SKIP_3) | instid1(VALU_DEP_1)
	v_perm_b32 v56, v101, v56, 0x5040100
	v_cndmask_b32_e32 v57, 0, v57, vcc_lo
	v_cmp_gt_i32_e32 vcc_lo, s11, v100
	v_cndmask_b32_e32 v100, 0, v103, vcc_lo
	v_perm_b32 v57, v100, v57, 0x5040100
	s_branch .LBB159_35
.LBB159_68:
	s_or_b32 exec_lo, exec_lo, s10
.LBB159_69:
	s_delay_alu instid0(SALU_CYCLE_1)
	s_or_b32 exec_lo, exec_lo, s1
	ds_bpermute_b32 v0, v95, v88
	ds_bpermute_b32 v1, v95, v89
	;; [unrolled: 1-line block ×16, first 2 shown]
	v_and_b32_e32 v38, 0x3c3, v111
	s_mov_b32 s0, exec_lo
	s_wait_dscnt 0x0
	s_barrier_signal -1
	s_barrier_wait -1
	v_pk_add_f32 v[0:1], v[88:89], v[0:1]
	v_pk_add_f32 v[2:3], v[86:87], v[2:3]
	;; [unrolled: 1-line block ×3, first 2 shown]
	ds_bpermute_b32 v18, v94, v0
	v_pk_add_f32 v[6:7], v[82:83], v[6:7]
	ds_bpermute_b32 v19, v94, v1
	v_pk_add_f32 v[24:25], v[80:81], v[8:9]
	;; [unrolled: 2-line block ×4, first 2 shown]
	ds_bpermute_b32 v22, v94, v4
	ds_bpermute_b32 v23, v94, v5
	;; [unrolled: 1-line block ×10, first 2 shown]
	v_pk_add_f32 v[14:15], v[74:75], v[14:15]
	s_wait_dscnt 0xc
	v_pk_add_f32 v[12:13], v[0:1], v[18:19]
	ds_bpermute_b32 v16, v94, v14
	ds_bpermute_b32 v17, v94, v15
	v_and_b32_e32 v18, 28, v110
	s_wait_dscnt 0xc
	v_pk_add_f32 v[10:11], v[2:3], v[20:21]
	s_wait_dscnt 0xa
	v_pk_add_f32 v[8:9], v[4:5], v[22:23]
	;; [unrolled: 2-line block ×6, first 2 shown]
	v_cmpx_ne_u32_e32 64, v38
	s_xor_b32 s0, exec_lo, s0
	s_delay_alu instid0(SALU_CYCLE_1)
	s_or_saveexec_b32 s0, s0
	s_wait_dscnt 0x0
	v_pk_add_f32 v[14:15], v[14:15], v[16:17]
	v_lshrrev_b32_e32 v16, 2, v110
	v_add_nc_u32_e32 v17, 0x120, v18
	v_lshlrev_b32_e32 v18, 9, v109
	s_xor_b32 exec_lo, exec_lo, s0
	s_cbranch_execz .LBB159_71
; %bb.70:
	s_delay_alu instid0(VALU_DEP_1) | instskip(NEXT) | instid1(VALU_DEP_1)
	v_add_nc_u32_e32 v19, v17, v18
	v_add_nc_u32_e32 v20, 0xfffffc00, v19
	;; [unrolled: 1-line block ×9, first 2 shown]
	ds_store_b32 v20, v12
	ds_store_b32 v21, v13
	ds_store_b32 v22, v10
	ds_store_b32 v23, v11
	ds_store_b32 v24, v8
	ds_store_b32 v25, v9
	ds_store_b32 v26, v6
	ds_store_b32 v27, v7
	v_add_nc_u32_e32 v20, 0xfffffd00, v19
	v_add_nc_u32_e32 v21, 0xfffffd20, v19
	;; [unrolled: 1-line block ×8, first 2 shown]
	ds_store_b32 v20, v4
	ds_store_b32 v21, v5
	;; [unrolled: 1-line block ×8, first 2 shown]
.LBB159_71:
	s_or_b32 exec_lo, exec_lo, s0
	v_lshlrev_b32_e32 v16, 2, v16
	s_mov_b32 s1, exec_lo
	v_cmp_eq_u32_e32 vcc_lo, 0, v96
	s_wait_dscnt 0x0
	s_barrier_signal -1
	v_add3_u32 v16, 0x120, v18, v16
	s_barrier_wait -1
	v_cmpx_gt_u32_e32 64, v111
	s_cbranch_execz .LBB159_90
; %bb.72:
	s_and_saveexec_b32 s0, vcc_lo
	s_cbranch_execnz .LBB159_114
; %bb.73:
	s_or_b32 exec_lo, exec_lo, s0
	s_and_saveexec_b32 s0, vcc_lo
	s_cbranch_execnz .LBB159_115
.LBB159_74:
	s_or_b32 exec_lo, exec_lo, s0
	s_and_saveexec_b32 s0, vcc_lo
	s_cbranch_execnz .LBB159_116
.LBB159_75:
	s_or_b32 exec_lo, exec_lo, s0
	s_and_saveexec_b32 s0, vcc_lo
	s_cbranch_execnz .LBB159_117
.LBB159_76:
	s_or_b32 exec_lo, exec_lo, s0
	s_and_saveexec_b32 s0, vcc_lo
	s_cbranch_execnz .LBB159_118
.LBB159_77:
	s_or_b32 exec_lo, exec_lo, s0
	s_and_saveexec_b32 s0, vcc_lo
	s_cbranch_execnz .LBB159_119
.LBB159_78:
	s_or_b32 exec_lo, exec_lo, s0
	s_and_saveexec_b32 s0, vcc_lo
	s_cbranch_execnz .LBB159_120
.LBB159_79:
	s_or_b32 exec_lo, exec_lo, s0
	s_and_saveexec_b32 s0, vcc_lo
	s_cbranch_execnz .LBB159_121
.LBB159_80:
	s_or_b32 exec_lo, exec_lo, s0
	s_and_saveexec_b32 s0, vcc_lo
	s_cbranch_execnz .LBB159_122
.LBB159_81:
	s_or_b32 exec_lo, exec_lo, s0
	s_and_saveexec_b32 s0, vcc_lo
	s_cbranch_execnz .LBB159_123
.LBB159_82:
	s_or_b32 exec_lo, exec_lo, s0
	s_and_saveexec_b32 s0, vcc_lo
	s_cbranch_execnz .LBB159_124
.LBB159_83:
	s_or_b32 exec_lo, exec_lo, s0
	s_and_saveexec_b32 s0, vcc_lo
	s_cbranch_execnz .LBB159_125
.LBB159_84:
	s_or_b32 exec_lo, exec_lo, s0
	s_and_saveexec_b32 s0, vcc_lo
	s_cbranch_execnz .LBB159_126
.LBB159_85:
	s_or_b32 exec_lo, exec_lo, s0
	s_and_saveexec_b32 s0, vcc_lo
	s_cbranch_execnz .LBB159_127
.LBB159_86:
	s_or_b32 exec_lo, exec_lo, s0
	s_and_saveexec_b32 s0, vcc_lo
	s_cbranch_execnz .LBB159_128
.LBB159_87:
	s_or_b32 exec_lo, exec_lo, s0
	s_and_saveexec_b32 s0, vcc_lo
	s_cbranch_execz .LBB159_89
.LBB159_88:
	ds_load_b32 v18, v16 offset:480
	s_wait_dscnt 0x0
	v_add_f32_e32 v15, v15, v18
.LBB159_89:
	s_or_b32 exec_lo, exec_lo, s0
.LBB159_90:
	s_delay_alu instid0(SALU_CYCLE_1) | instskip(SKIP_4) | instid1(VALU_DEP_1)
	s_or_b32 exec_lo, exec_lo, s1
	v_and_b32_e32 v18, 0x3e3, v111
	s_mov_b32 s1, exec_lo
	s_barrier_signal -1
	s_barrier_wait -1
	v_cmpx_eq_u32_e32 32, v18
	s_cbranch_execz .LBB159_92
; %bb.91:
	ds_store_2addr_b32 v17, v12, v13 offset1:8
	ds_store_2addr_b32 v17, v10, v11 offset0:16 offset1:24
	ds_store_2addr_b32 v17, v8, v9 offset0:32 offset1:40
	;; [unrolled: 1-line block ×7, first 2 shown]
.LBB159_92:
	s_or_b32 exec_lo, exec_lo, s1
	s_delay_alu instid0(SALU_CYCLE_1)
	s_mov_b32 s1, exec_lo
	s_wait_dscnt 0x0
	s_barrier_signal -1
	s_barrier_wait -1
	v_cmpx_gt_u32_e32 32, v111
	s_cbranch_execz .LBB159_111
; %bb.93:
	s_and_saveexec_b32 s0, vcc_lo
	s_cbranch_execnz .LBB159_129
; %bb.94:
	s_or_b32 exec_lo, exec_lo, s0
	s_and_saveexec_b32 s0, vcc_lo
	s_cbranch_execnz .LBB159_130
.LBB159_95:
	s_or_b32 exec_lo, exec_lo, s0
	s_and_saveexec_b32 s0, vcc_lo
	s_cbranch_execnz .LBB159_131
.LBB159_96:
	s_or_b32 exec_lo, exec_lo, s0
	s_and_saveexec_b32 s0, vcc_lo
	s_cbranch_execnz .LBB159_132
.LBB159_97:
	s_or_b32 exec_lo, exec_lo, s0
	s_and_saveexec_b32 s0, vcc_lo
	s_cbranch_execnz .LBB159_133
.LBB159_98:
	s_or_b32 exec_lo, exec_lo, s0
	s_and_saveexec_b32 s0, vcc_lo
	s_cbranch_execnz .LBB159_134
.LBB159_99:
	s_or_b32 exec_lo, exec_lo, s0
	s_and_saveexec_b32 s0, vcc_lo
	s_cbranch_execnz .LBB159_135
.LBB159_100:
	s_or_b32 exec_lo, exec_lo, s0
	s_and_saveexec_b32 s0, vcc_lo
	s_cbranch_execnz .LBB159_136
.LBB159_101:
	s_or_b32 exec_lo, exec_lo, s0
	s_and_saveexec_b32 s0, vcc_lo
	s_cbranch_execnz .LBB159_137
.LBB159_102:
	s_or_b32 exec_lo, exec_lo, s0
	s_and_saveexec_b32 s0, vcc_lo
	s_cbranch_execnz .LBB159_138
.LBB159_103:
	s_or_b32 exec_lo, exec_lo, s0
	s_and_saveexec_b32 s0, vcc_lo
	s_cbranch_execnz .LBB159_139
.LBB159_104:
	s_or_b32 exec_lo, exec_lo, s0
	s_and_saveexec_b32 s0, vcc_lo
	s_cbranch_execnz .LBB159_140
.LBB159_105:
	s_or_b32 exec_lo, exec_lo, s0
	s_and_saveexec_b32 s0, vcc_lo
	s_cbranch_execnz .LBB159_141
.LBB159_106:
	s_or_b32 exec_lo, exec_lo, s0
	s_and_saveexec_b32 s0, vcc_lo
	s_cbranch_execnz .LBB159_142
.LBB159_107:
	s_or_b32 exec_lo, exec_lo, s0
	s_and_saveexec_b32 s0, vcc_lo
	s_cbranch_execnz .LBB159_143
.LBB159_108:
	s_or_b32 exec_lo, exec_lo, s0
	s_and_saveexec_b32 s0, vcc_lo
	s_cbranch_execz .LBB159_110
.LBB159_109:
	ds_load_b32 v16, v16 offset:480
	s_wait_dscnt 0x0
	v_add_f32_e32 v15, v15, v16
.LBB159_110:
	s_or_b32 exec_lo, exec_lo, s0
.LBB159_111:
	s_delay_alu instid0(SALU_CYCLE_1)
	s_or_b32 exec_lo, exec_lo, s1
	s_mov_b32 s1, 0
	s_barrier_signal -1
	s_barrier_wait -1
	s_mov_b32 s0, exec_lo
	v_cmpx_eq_u32_e32 0, v18
	s_cbranch_execz .LBB159_113
; %bb.112:
	s_mul_i32 s0, s20, s4
	s_mul_i32 s2, s4, s8
	;; [unrolled: 1-line block ×3, first 2 shown]
	s_lshr_b32 s8, ttmp7, 16
	s_lshl_b32 s4, s0, 7
	s_bfe_u32 s0, ttmp6, 0x40014
	s_ashr_i32 s5, s4, 31
	s_add_co_i32 s0, s0, 1
	s_ashr_i32 s3, s2, 31
	s_mul_i32 s0, s8, s0
	s_bfe_u32 s9, ttmp6, 0x40008
	s_lshl_b64 s[4:5], s[4:5], 1
	s_lshl_b64 s[2:3], s[2:3], 1
	s_add_co_i32 s9, s9, s0
	s_cmp_eq_u32 s18, 0
	s_wait_kmcnt 0x0
	s_add_nc_u64 s[4:5], s[6:7], s[4:5]
	s_cselect_b32 s0, s8, s9
	s_add_nc_u64 s[2:3], s[4:5], s[2:3]
	s_lshl_b32 s0, s0, 8
	v_lshrrev_b32_e32 v16, 1, v111
	s_add_nc_u64 s[0:1], s[2:3], s[0:1]
	s_delay_alu instid0(SALU_CYCLE_1)
	v_cvt_pk_bf16_f32 v12, v12, s0
	v_cvt_pk_bf16_f32 v4, v4, s0
	;; [unrolled: 1-line block ×13, first 2 shown]
	s_clause 0x7
	global_store_b16 v16, v12, s[0:1]
	global_store_b16 v16, v13, s[0:1] offset:16
	global_store_b16 v16, v10, s[0:1] offset:32
	;; [unrolled: 1-line block ×7, first 2 shown]
	v_cvt_pk_bf16_f32 v1, v1, s0
	s_wait_xcnt 0x1
	v_cvt_pk_bf16_f32 v6, v14, s0
	s_wait_xcnt 0x0
	v_cvt_pk_bf16_f32 v7, v15, s0
	s_clause 0x7
	global_store_b16 v16, v4, s[0:1] offset:128
	global_store_b16 v16, v5, s[0:1] offset:144
	;; [unrolled: 1-line block ×8, first 2 shown]
.LBB159_113:
	s_sendmsg sendmsg(MSG_DEALLOC_VGPRS)
	s_endpgm
.LBB159_114:
	ds_load_b32 v18, v16
	s_wait_dscnt 0x0
	v_add_f32_e32 v12, v12, v18
	s_or_b32 exec_lo, exec_lo, s0
	s_and_saveexec_b32 s0, vcc_lo
	s_cbranch_execz .LBB159_74
.LBB159_115:
	ds_load_b32 v18, v16 offset:32
	s_wait_dscnt 0x0
	v_add_f32_e32 v13, v13, v18
	s_or_b32 exec_lo, exec_lo, s0
	s_and_saveexec_b32 s0, vcc_lo
	s_cbranch_execz .LBB159_75
.LBB159_116:
	ds_load_b32 v18, v16 offset:64
	s_wait_dscnt 0x0
	v_add_f32_e32 v10, v10, v18
	s_or_b32 exec_lo, exec_lo, s0
	s_and_saveexec_b32 s0, vcc_lo
	s_cbranch_execz .LBB159_76
.LBB159_117:
	ds_load_b32 v18, v16 offset:96
	s_wait_dscnt 0x0
	v_add_f32_e32 v11, v11, v18
	s_or_b32 exec_lo, exec_lo, s0
	s_and_saveexec_b32 s0, vcc_lo
	s_cbranch_execz .LBB159_77
.LBB159_118:
	ds_load_b32 v18, v16 offset:128
	s_wait_dscnt 0x0
	v_add_f32_e32 v8, v8, v18
	s_or_b32 exec_lo, exec_lo, s0
	s_and_saveexec_b32 s0, vcc_lo
	s_cbranch_execz .LBB159_78
.LBB159_119:
	ds_load_b32 v18, v16 offset:160
	s_wait_dscnt 0x0
	v_add_f32_e32 v9, v9, v18
	s_or_b32 exec_lo, exec_lo, s0
	s_and_saveexec_b32 s0, vcc_lo
	s_cbranch_execz .LBB159_79
.LBB159_120:
	ds_load_b32 v18, v16 offset:192
	s_wait_dscnt 0x0
	v_add_f32_e32 v6, v6, v18
	s_or_b32 exec_lo, exec_lo, s0
	s_and_saveexec_b32 s0, vcc_lo
	s_cbranch_execz .LBB159_80
.LBB159_121:
	ds_load_b32 v18, v16 offset:224
	s_wait_dscnt 0x0
	v_add_f32_e32 v7, v7, v18
	s_or_b32 exec_lo, exec_lo, s0
	s_and_saveexec_b32 s0, vcc_lo
	s_cbranch_execz .LBB159_81
.LBB159_122:
	ds_load_b32 v18, v16 offset:256
	s_wait_dscnt 0x0
	v_add_f32_e32 v4, v4, v18
	s_or_b32 exec_lo, exec_lo, s0
	s_and_saveexec_b32 s0, vcc_lo
	s_cbranch_execz .LBB159_82
.LBB159_123:
	ds_load_b32 v18, v16 offset:288
	s_wait_dscnt 0x0
	v_add_f32_e32 v5, v5, v18
	s_or_b32 exec_lo, exec_lo, s0
	s_and_saveexec_b32 s0, vcc_lo
	s_cbranch_execz .LBB159_83
.LBB159_124:
	ds_load_b32 v18, v16 offset:320
	s_wait_dscnt 0x0
	v_add_f32_e32 v2, v2, v18
	s_or_b32 exec_lo, exec_lo, s0
	s_and_saveexec_b32 s0, vcc_lo
	s_cbranch_execz .LBB159_84
.LBB159_125:
	ds_load_b32 v18, v16 offset:352
	s_wait_dscnt 0x0
	v_add_f32_e32 v3, v3, v18
	s_or_b32 exec_lo, exec_lo, s0
	s_and_saveexec_b32 s0, vcc_lo
	s_cbranch_execz .LBB159_85
.LBB159_126:
	ds_load_b32 v18, v16 offset:384
	s_wait_dscnt 0x0
	v_add_f32_e32 v0, v0, v18
	s_or_b32 exec_lo, exec_lo, s0
	s_and_saveexec_b32 s0, vcc_lo
	s_cbranch_execz .LBB159_86
.LBB159_127:
	ds_load_b32 v18, v16 offset:416
	s_wait_dscnt 0x0
	v_add_f32_e32 v1, v1, v18
	s_or_b32 exec_lo, exec_lo, s0
	s_and_saveexec_b32 s0, vcc_lo
	s_cbranch_execz .LBB159_87
.LBB159_128:
	ds_load_b32 v18, v16 offset:448
	s_wait_dscnt 0x0
	v_add_f32_e32 v14, v14, v18
	s_or_b32 exec_lo, exec_lo, s0
	s_and_saveexec_b32 s0, vcc_lo
	s_cbranch_execnz .LBB159_88
	s_branch .LBB159_89
.LBB159_129:
	ds_load_b32 v17, v16
	s_wait_dscnt 0x0
	v_add_f32_e32 v12, v12, v17
	s_or_b32 exec_lo, exec_lo, s0
	s_and_saveexec_b32 s0, vcc_lo
	s_cbranch_execz .LBB159_95
.LBB159_130:
	ds_load_b32 v17, v16 offset:32
	s_wait_dscnt 0x0
	v_add_f32_e32 v13, v13, v17
	s_or_b32 exec_lo, exec_lo, s0
	s_and_saveexec_b32 s0, vcc_lo
	s_cbranch_execz .LBB159_96
.LBB159_131:
	ds_load_b32 v17, v16 offset:64
	s_wait_dscnt 0x0
	v_add_f32_e32 v10, v10, v17
	s_or_b32 exec_lo, exec_lo, s0
	s_and_saveexec_b32 s0, vcc_lo
	s_cbranch_execz .LBB159_97
.LBB159_132:
	ds_load_b32 v17, v16 offset:96
	s_wait_dscnt 0x0
	v_add_f32_e32 v11, v11, v17
	s_or_b32 exec_lo, exec_lo, s0
	s_and_saveexec_b32 s0, vcc_lo
	s_cbranch_execz .LBB159_98
.LBB159_133:
	ds_load_b32 v17, v16 offset:128
	s_wait_dscnt 0x0
	v_add_f32_e32 v8, v8, v17
	s_or_b32 exec_lo, exec_lo, s0
	s_and_saveexec_b32 s0, vcc_lo
	s_cbranch_execz .LBB159_99
.LBB159_134:
	ds_load_b32 v17, v16 offset:160
	s_wait_dscnt 0x0
	v_add_f32_e32 v9, v9, v17
	s_or_b32 exec_lo, exec_lo, s0
	s_and_saveexec_b32 s0, vcc_lo
	s_cbranch_execz .LBB159_100
.LBB159_135:
	ds_load_b32 v17, v16 offset:192
	s_wait_dscnt 0x0
	v_add_f32_e32 v6, v6, v17
	s_or_b32 exec_lo, exec_lo, s0
	s_and_saveexec_b32 s0, vcc_lo
	s_cbranch_execz .LBB159_101
.LBB159_136:
	ds_load_b32 v17, v16 offset:224
	s_wait_dscnt 0x0
	v_add_f32_e32 v7, v7, v17
	s_or_b32 exec_lo, exec_lo, s0
	s_and_saveexec_b32 s0, vcc_lo
	s_cbranch_execz .LBB159_102
.LBB159_137:
	ds_load_b32 v17, v16 offset:256
	s_wait_dscnt 0x0
	v_add_f32_e32 v4, v4, v17
	s_or_b32 exec_lo, exec_lo, s0
	s_and_saveexec_b32 s0, vcc_lo
	s_cbranch_execz .LBB159_103
.LBB159_138:
	ds_load_b32 v17, v16 offset:288
	s_wait_dscnt 0x0
	v_add_f32_e32 v5, v5, v17
	s_or_b32 exec_lo, exec_lo, s0
	s_and_saveexec_b32 s0, vcc_lo
	s_cbranch_execz .LBB159_104
.LBB159_139:
	ds_load_b32 v17, v16 offset:320
	s_wait_dscnt 0x0
	v_add_f32_e32 v2, v2, v17
	s_or_b32 exec_lo, exec_lo, s0
	s_and_saveexec_b32 s0, vcc_lo
	s_cbranch_execz .LBB159_105
.LBB159_140:
	ds_load_b32 v17, v16 offset:352
	s_wait_dscnt 0x0
	v_add_f32_e32 v3, v3, v17
	s_or_b32 exec_lo, exec_lo, s0
	s_and_saveexec_b32 s0, vcc_lo
	s_cbranch_execz .LBB159_106
.LBB159_141:
	ds_load_b32 v17, v16 offset:384
	s_wait_dscnt 0x0
	v_add_f32_e32 v0, v0, v17
	s_or_b32 exec_lo, exec_lo, s0
	s_and_saveexec_b32 s0, vcc_lo
	s_cbranch_execz .LBB159_107
.LBB159_142:
	ds_load_b32 v17, v16 offset:416
	s_wait_dscnt 0x0
	v_add_f32_e32 v1, v1, v17
	s_or_b32 exec_lo, exec_lo, s0
	s_and_saveexec_b32 s0, vcc_lo
	s_cbranch_execz .LBB159_108
.LBB159_143:
	ds_load_b32 v17, v16 offset:448
	s_wait_dscnt 0x0
	v_add_f32_e32 v14, v14, v17
	s_or_b32 exec_lo, exec_lo, s0
	s_and_saveexec_b32 s0, vcc_lo
	s_cbranch_execnz .LBB159_109
	s_branch .LBB159_110
	.section	.rodata,"a",@progbits
	.p2align	6, 0x0
	.amdhsa_kernel _ZN4vllm25paged_attention_v1_kernelI14__hip_bfloat16S1_Li128ELi32ELi128ELNS_18Fp8KVCacheDataTypeE0ELb0EEEvPT_PKS3_PKT0_S9_ifPKiSB_iPKfiiiSD_SD_iiiii
		.amdhsa_group_segment_fixed_size 288
		.amdhsa_private_segment_fixed_size 312
		.amdhsa_kernarg_size 384
		.amdhsa_user_sgpr_count 2
		.amdhsa_user_sgpr_dispatch_ptr 0
		.amdhsa_user_sgpr_queue_ptr 0
		.amdhsa_user_sgpr_kernarg_segment_ptr 1
		.amdhsa_user_sgpr_dispatch_id 0
		.amdhsa_user_sgpr_kernarg_preload_length 0
		.amdhsa_user_sgpr_kernarg_preload_offset 0
		.amdhsa_user_sgpr_private_segment_size 0
		.amdhsa_wavefront_size32 1
		.amdhsa_uses_dynamic_stack 0
		.amdhsa_enable_private_segment 1
		.amdhsa_system_sgpr_workgroup_id_x 1
		.amdhsa_system_sgpr_workgroup_id_y 1
		.amdhsa_system_sgpr_workgroup_id_z 1
		.amdhsa_system_sgpr_workgroup_info 0
		.amdhsa_system_vgpr_workitem_id 0
		.amdhsa_next_free_vgpr 128
		.amdhsa_next_free_sgpr 28
		.amdhsa_named_barrier_count 0
		.amdhsa_reserve_vcc 1
		.amdhsa_float_round_mode_32 0
		.amdhsa_float_round_mode_16_64 0
		.amdhsa_float_denorm_mode_32 3
		.amdhsa_float_denorm_mode_16_64 3
		.amdhsa_fp16_overflow 0
		.amdhsa_memory_ordered 1
		.amdhsa_forward_progress 1
		.amdhsa_inst_pref_size 124
		.amdhsa_round_robin_scheduling 0
		.amdhsa_exception_fp_ieee_invalid_op 0
		.amdhsa_exception_fp_denorm_src 0
		.amdhsa_exception_fp_ieee_div_zero 0
		.amdhsa_exception_fp_ieee_overflow 0
		.amdhsa_exception_fp_ieee_underflow 0
		.amdhsa_exception_fp_ieee_inexact 0
		.amdhsa_exception_int_div_zero 0
	.end_amdhsa_kernel
	.section	.text._ZN4vllm25paged_attention_v1_kernelI14__hip_bfloat16S1_Li128ELi32ELi128ELNS_18Fp8KVCacheDataTypeE0ELb0EEEvPT_PKS3_PKT0_S9_ifPKiSB_iPKfiiiSD_SD_iiiii,"axG",@progbits,_ZN4vllm25paged_attention_v1_kernelI14__hip_bfloat16S1_Li128ELi32ELi128ELNS_18Fp8KVCacheDataTypeE0ELb0EEEvPT_PKS3_PKT0_S9_ifPKiSB_iPKfiiiSD_SD_iiiii,comdat
.Lfunc_end159:
	.size	_ZN4vllm25paged_attention_v1_kernelI14__hip_bfloat16S1_Li128ELi32ELi128ELNS_18Fp8KVCacheDataTypeE0ELb0EEEvPT_PKS3_PKT0_S9_ifPKiSB_iPKfiiiSD_SD_iiiii, .Lfunc_end159-_ZN4vllm25paged_attention_v1_kernelI14__hip_bfloat16S1_Li128ELi32ELi128ELNS_18Fp8KVCacheDataTypeE0ELb0EEEvPT_PKS3_PKT0_S9_ifPKiSB_iPKfiiiSD_SD_iiiii
                                        ; -- End function
	.set _ZN4vllm25paged_attention_v1_kernelI14__hip_bfloat16S1_Li128ELi32ELi128ELNS_18Fp8KVCacheDataTypeE0ELb0EEEvPT_PKS3_PKT0_S9_ifPKiSB_iPKfiiiSD_SD_iiiii.num_vgpr, 128
	.set _ZN4vllm25paged_attention_v1_kernelI14__hip_bfloat16S1_Li128ELi32ELi128ELNS_18Fp8KVCacheDataTypeE0ELb0EEEvPT_PKS3_PKT0_S9_ifPKiSB_iPKfiiiSD_SD_iiiii.num_agpr, 0
	.set _ZN4vllm25paged_attention_v1_kernelI14__hip_bfloat16S1_Li128ELi32ELi128ELNS_18Fp8KVCacheDataTypeE0ELb0EEEvPT_PKS3_PKT0_S9_ifPKiSB_iPKfiiiSD_SD_iiiii.numbered_sgpr, 28
	.set _ZN4vllm25paged_attention_v1_kernelI14__hip_bfloat16S1_Li128ELi32ELi128ELNS_18Fp8KVCacheDataTypeE0ELb0EEEvPT_PKS3_PKT0_S9_ifPKiSB_iPKfiiiSD_SD_iiiii.num_named_barrier, 0
	.set _ZN4vllm25paged_attention_v1_kernelI14__hip_bfloat16S1_Li128ELi32ELi128ELNS_18Fp8KVCacheDataTypeE0ELb0EEEvPT_PKS3_PKT0_S9_ifPKiSB_iPKfiiiSD_SD_iiiii.private_seg_size, 312
	.set _ZN4vllm25paged_attention_v1_kernelI14__hip_bfloat16S1_Li128ELi32ELi128ELNS_18Fp8KVCacheDataTypeE0ELb0EEEvPT_PKS3_PKT0_S9_ifPKiSB_iPKfiiiSD_SD_iiiii.uses_vcc, 1
	.set _ZN4vllm25paged_attention_v1_kernelI14__hip_bfloat16S1_Li128ELi32ELi128ELNS_18Fp8KVCacheDataTypeE0ELb0EEEvPT_PKS3_PKT0_S9_ifPKiSB_iPKfiiiSD_SD_iiiii.uses_flat_scratch, 1
	.set _ZN4vllm25paged_attention_v1_kernelI14__hip_bfloat16S1_Li128ELi32ELi128ELNS_18Fp8KVCacheDataTypeE0ELb0EEEvPT_PKS3_PKT0_S9_ifPKiSB_iPKfiiiSD_SD_iiiii.has_dyn_sized_stack, 0
	.set _ZN4vllm25paged_attention_v1_kernelI14__hip_bfloat16S1_Li128ELi32ELi128ELNS_18Fp8KVCacheDataTypeE0ELb0EEEvPT_PKS3_PKT0_S9_ifPKiSB_iPKfiiiSD_SD_iiiii.has_recursion, 0
	.set _ZN4vllm25paged_attention_v1_kernelI14__hip_bfloat16S1_Li128ELi32ELi128ELNS_18Fp8KVCacheDataTypeE0ELb0EEEvPT_PKS3_PKT0_S9_ifPKiSB_iPKfiiiSD_SD_iiiii.has_indirect_call, 0
	.section	.AMDGPU.csdata,"",@progbits
; Kernel info:
; codeLenInByte = 15868
; TotalNumSgprs: 30
; NumVgprs: 128
; ScratchSize: 312
; MemoryBound: 0
; FloatMode: 240
; IeeeMode: 1
; LDSByteSize: 288 bytes/workgroup (compile time only)
; SGPRBlocks: 0
; VGPRBlocks: 7
; NumSGPRsForWavesPerEU: 30
; NumVGPRsForWavesPerEU: 128
; NamedBarCnt: 0
; Occupancy: 8
; WaveLimiterHint : 1
; COMPUTE_PGM_RSRC2:SCRATCH_EN: 1
; COMPUTE_PGM_RSRC2:USER_SGPR: 2
; COMPUTE_PGM_RSRC2:TRAP_HANDLER: 0
; COMPUTE_PGM_RSRC2:TGID_X_EN: 1
; COMPUTE_PGM_RSRC2:TGID_Y_EN: 1
; COMPUTE_PGM_RSRC2:TGID_Z_EN: 1
; COMPUTE_PGM_RSRC2:TIDIG_COMP_CNT: 0
	.section	.text._ZN4vllm25paged_attention_v1_kernelI14__hip_bfloat16S1_Li192ELi32ELi128ELNS_18Fp8KVCacheDataTypeE0ELb0EEEvPT_PKS3_PKT0_S9_ifPKiSB_iPKfiiiSD_SD_iiiii,"axG",@progbits,_ZN4vllm25paged_attention_v1_kernelI14__hip_bfloat16S1_Li192ELi32ELi128ELNS_18Fp8KVCacheDataTypeE0ELb0EEEvPT_PKS3_PKT0_S9_ifPKiSB_iPKfiiiSD_SD_iiiii,comdat
	.protected	_ZN4vllm25paged_attention_v1_kernelI14__hip_bfloat16S1_Li192ELi32ELi128ELNS_18Fp8KVCacheDataTypeE0ELb0EEEvPT_PKS3_PKT0_S9_ifPKiSB_iPKfiiiSD_SD_iiiii ; -- Begin function _ZN4vllm25paged_attention_v1_kernelI14__hip_bfloat16S1_Li192ELi32ELi128ELNS_18Fp8KVCacheDataTypeE0ELb0EEEvPT_PKS3_PKT0_S9_ifPKiSB_iPKfiiiSD_SD_iiiii
	.globl	_ZN4vllm25paged_attention_v1_kernelI14__hip_bfloat16S1_Li192ELi32ELi128ELNS_18Fp8KVCacheDataTypeE0ELb0EEEvPT_PKS3_PKT0_S9_ifPKiSB_iPKfiiiSD_SD_iiiii
	.p2align	8
	.type	_ZN4vllm25paged_attention_v1_kernelI14__hip_bfloat16S1_Li192ELi32ELi128ELNS_18Fp8KVCacheDataTypeE0ELb0EEEvPT_PKS3_PKT0_S9_ifPKiSB_iPKfiiiSD_SD_iiiii,@function
_ZN4vllm25paged_attention_v1_kernelI14__hip_bfloat16S1_Li192ELi32ELi128ELNS_18Fp8KVCacheDataTypeE0ELb0EEEvPT_PKS3_PKT0_S9_ifPKiSB_iPKfiiiSD_SD_iiiii: ; @_ZN4vllm25paged_attention_v1_kernelI14__hip_bfloat16S1_Li192ELi32ELi128ELNS_18Fp8KVCacheDataTypeE0ELb0EEEvPT_PKS3_PKT0_S9_ifPKiSB_iPKfiiiSD_SD_iiiii
; %bb.0:
	s_load_b64 s[6:7], s[0:1], 0x20
	s_bfe_u32 s3, ttmp6, 0x4000c
	s_bfe_u32 s5, ttmp6, 0x40010
	s_and_b32 s4, ttmp7, 0xffff
	s_add_co_i32 s3, s3, 1
	s_add_co_i32 s5, s5, 1
	s_and_b32 s2, ttmp6, 15
	s_bfe_u32 s8, ttmp6, 0x40004
	s_mul_i32 s3, ttmp9, s3
	s_mul_i32 s5, s4, s5
	s_getreg_b32 s18, hwreg(HW_REG_IB_STS2, 6, 4)
	s_add_co_i32 s2, s2, s3
	s_add_co_i32 s8, s8, s5
	s_cmp_eq_u32 s18, 0
	v_mov_b32_e32 v22, v0
	s_cselect_b32 s20, s4, s8
	s_cselect_b32 s8, ttmp9, s2
	s_clause 0x1
	s_load_b32 s19, s[0:1], 0x80
	s_load_b64 s[10:11], s[0:1], 0x30
	s_wait_kmcnt 0x0
	s_abs_i32 s2, s6
	s_delay_alu instid0(SALU_CYCLE_1) | instskip(SKIP_1) | instid1(SALU_CYCLE_2)
	s_cvt_f32_u32 s3, s2
	s_sub_co_i32 s4, 0, s2
	v_rcp_iflag_f32_e32 v0, s3
	v_nop
	s_delay_alu instid0(TRANS32_DEP_1) | instskip(SKIP_2) | instid1(SALU_CYCLE_3)
	v_readfirstlane_b32 s3, v0
	s_abs_i32 s5, s19
	s_mul_f32 s3, s3, 0x4f7ffffe
	s_cvt_u32_f32 s3, s3
	s_delay_alu instid0(SALU_CYCLE_3) | instskip(NEXT) | instid1(SALU_CYCLE_1)
	s_mul_i32 s4, s4, s3
	s_mul_hi_u32 s4, s3, s4
	s_delay_alu instid0(SALU_CYCLE_1) | instskip(SKIP_4) | instid1(SALU_CYCLE_1)
	s_add_co_i32 s3, s3, s4
	s_xor_b32 s4, s19, s6
	s_mul_hi_u32 s3, s5, s3
	s_ashr_i32 s4, s4, 31
	s_mul_i32 s6, s3, s2
	s_sub_co_i32 s5, s5, s6
	s_add_co_i32 s6, s3, 1
	s_sub_co_i32 s9, s5, s2
	s_cmp_ge_u32 s5, s2
	s_cselect_b32 s3, s6, s3
	s_cselect_b32 s5, s9, s5
	s_add_co_i32 s6, s3, 1
	s_cmp_ge_u32 s5, s2
	s_cselect_b32 s2, s6, s3
	s_mov_b32 s3, 0
	s_xor_b32 s2, s2, s4
	s_mov_b32 s13, s3
	s_sub_co_i32 s15, s2, s4
	s_load_b64 s[4:5], s[0:1], 0x40
	s_abs_i32 s14, s15
	s_mov_b32 s22, s3
	s_cvt_f32_u32 s2, s14
	s_delay_alu instid0(SALU_CYCLE_3) | instskip(SKIP_1) | instid1(TRANS32_DEP_1)
	v_rcp_iflag_f32_e32 v0, s2
	v_nop
	v_readfirstlane_b32 s2, v0
	s_mul_f32 s2, s2, 0x4f7ffffe
	s_delay_alu instid0(SALU_CYCLE_3) | instskip(SKIP_1) | instid1(SALU_CYCLE_2)
	s_cvt_u32_f32 s6, s2
	s_sub_co_i32 s2, 0, s14
	s_mul_i32 s2, s2, s6
	s_delay_alu instid0(SALU_CYCLE_1)
	s_mul_hi_u32 s9, s6, s2
	s_abs_i32 s2, s8
	s_add_co_i32 s12, s6, s9
	s_wait_kmcnt 0x0
	s_cmp_eq_u64 s[4:5], 0
	s_cbranch_scc1 .LBB160_2
; %bb.1:
	s_ashr_i32 s9, s8, 31
	s_delay_alu instid0(SALU_CYCLE_1) | instskip(NEXT) | instid1(SALU_CYCLE_1)
	s_lshl_b64 s[16:17], s[8:9], 2
	s_add_nc_u64 s[4:5], s[4:5], s[16:17]
	s_load_b32 s22, s[4:5], 0x0
.LBB160_2:
	s_load_b32 s21, s[10:11], s20 offset:0x0 scale_offset
	s_wait_xcnt 0x0
	s_load_b96 s[4:6], s[0:1], 0x48
	v_lshlrev_b32_e32 v23, 4, v22
	s_ashr_i32 s10, s8, 31
	s_ashr_i32 s11, s15, 31
	s_mul_u64 s[12:13], s[2:3], s[12:13]
	s_mulk_i32 s8, 0xc0
	s_mov_b32 s3, exec_lo
	v_cmpx_gt_u32_e32 24, v22
	s_cbranch_execz .LBB160_4
; %bb.3:
	s_load_b64 s[16:17], s[0:1], 0x8
	s_wait_kmcnt 0x0
	s_mul_i32 s24, s4, s20
	s_ashr_i32 s9, s8, 31
	s_ashr_i32 s25, s24, 31
	s_delay_alu instid0(SALU_CYCLE_1) | instskip(NEXT) | instid1(SALU_CYCLE_1)
	s_lshl_b64 s[24:25], s[24:25], 1
	s_add_nc_u64 s[16:17], s[16:17], s[24:25]
	s_lshl_b64 s[24:25], s[8:9], 1
	s_delay_alu instid0(SALU_CYCLE_1)
	s_add_nc_u64 s[16:17], s[16:17], s[24:25]
	global_load_b128 v[0:3], v22, s[16:17] scale_offset
	s_wait_loadcnt 0x0
	ds_store_b128 v23, v[0:3]
.LBB160_4:
	s_or_b32 exec_lo, exec_lo, s3
	s_wait_kmcnt 0x0
	s_add_co_i32 s3, s21, 31
	s_load_b32 s12, s[0:1], 0x38
	s_ashr_i32 s4, s3, 31
	s_mul_i32 s9, s13, s14
	s_lshr_b32 s4, s4, 27
	s_xor_b32 s15, s10, s11
	s_add_co_i32 s3, s3, s4
	s_clause 0x1
	s_load_b64 s[10:11], s[0:1], 0x28
	s_load_b32 s4, s[0:1], 0x88
	s_sub_co_i32 s2, s2, s9
	s_ashr_i32 s9, s3, 5
	s_add_co_i32 s3, s13, 1
	s_sub_co_i32 s16, s2, s14
	s_cmp_ge_u32 s2, s14
	v_dual_lshrrev_b32 v0, 5, v22 :: v_dual_bitop2_b32 v1, 31, v22 bitop3:0x40
	s_cselect_b32 s3, s3, s13
	s_cselect_b32 s2, s16, s2
	s_add_co_i32 s13, s3, 1
	s_cmp_ge_u32 s2, s14
	v_dual_mov_b32 v56, 0xff7fffff :: v_dual_lshlrev_b32 v29, 2, v1
	s_cselect_b32 s2, s13, s3
	v_lshrrev_b32_e32 v28, 3, v22
	s_xor_b32 s2, s2, s15
	s_wait_kmcnt 0x0
	s_mul_i32 s12, s12, s20
	s_sub_co_i32 s3, s2, s15
	v_cmp_gt_i32_e64 s2, s9, v0
	s_ashr_i32 s13, s12, 31
	s_mul_i32 s14, s3, s6
	s_wait_dscnt 0x0
	s_barrier_signal -1
	s_clause 0x1
	scratch_store_b32 off, v0, off offset:580
	scratch_store_b32 off, v1, off offset:576
	s_barrier_wait -1
	s_wait_storecnt 0x0
	s_wait_xcnt 0x0
	s_mov_b32 s6, exec_lo
	s_delay_alu instid0(SALU_CYCLE_1)
	s_and_b32 s3, s6, s2
	scratch_store_b32 off, v22, off offset:584 ; 4-byte Folded Spill
	s_wait_xcnt 0x0
	s_mov_b32 exec_lo, s3
	s_cbranch_execz .LBB160_8
; %bb.5:
	v_mov_b32_e32 v15, 0
	scratch_store_b32 off, v23, off offset:588 ; 4-byte Folded Spill
	s_load_b64 s[24:25], s[0:1], 0x10
	s_ashr_i32 s15, s14, 31
	s_ashr_i32 s17, s5, 31
	ds_load_b128 v[16:19], v15
	ds_load_b128 v[20:23], v15 offset:16
	ds_load_b128 v[24:27], v15 offset:32
	;; [unrolled: 1-line block ×5, first 2 shown]
	s_lshl_b64 s[26:27], s[14:15], 1
	s_cmp_neq_f32 s22, 0
	v_mov_b32_e32 v56, 0xff7fffff
	s_mov_b32 s16, s5
	s_mov_b32 s15, 0
	s_cselect_b32 vcc_lo, -1, 0
	s_sub_co_i32 s23, 1, s21
	v_mov_b32_e32 v83, v29
	s_wait_dscnt 0x5
	v_and_b32_e32 v1, 0xffff0000, v16
	v_lshlrev_b32_e32 v0, 16, v16
	s_wait_kmcnt 0x0
	s_add_nc_u64 s[24:25], s[24:25], s[26:27]
	s_lshl_b64 s[26:27], s[12:13], 2
	scratch_store_b64 off, v[0:1], off      ; 8-byte Folded Spill
	s_wait_xcnt 0x0
	v_and_b32_e32 v1, 0xffff0000, v17
	v_lshlrev_b32_e32 v0, 16, v17
	scratch_store_b64 off, v[0:1], off offset:8 ; 8-byte Folded Spill
	s_wait_xcnt 0x0
	v_and_b32_e32 v1, 0xffff0000, v18
	v_lshlrev_b32_e32 v0, 16, v18
	scratch_store_b64 off, v[0:1], off offset:16 ; 8-byte Folded Spill
	s_wait_xcnt 0x0
	v_and_b32_e32 v1, 0xffff0000, v19
	v_lshlrev_b32_e32 v0, 16, v19
	ds_load_b128 v[16:19], v15 offset:96
	scratch_store_b64 off, v[0:1], off offset:24 ; 8-byte Folded Spill
	s_wait_dscnt 0x5
	s_wait_xcnt 0x0
	v_and_b32_e32 v1, 0xffff0000, v20
	v_lshlrev_b32_e32 v0, 16, v20
	scratch_store_b64 off, v[0:1], off offset:32 ; 8-byte Folded Spill
	s_wait_xcnt 0x0
	v_and_b32_e32 v1, 0xffff0000, v21
	v_lshlrev_b32_e32 v0, 16, v21
	scratch_store_b64 off, v[0:1], off offset:40 ; 8-byte Folded Spill
	;; [unrolled: 4-line block ×3, first 2 shown]
	s_wait_xcnt 0x0
	v_and_b32_e32 v1, 0xffff0000, v23
	v_lshlrev_b32_e32 v0, 16, v23
	ds_load_b128 v[20:23], v15 offset:112
	scratch_store_b64 off, v[0:1], off offset:72 ; 8-byte Folded Spill
	s_wait_dscnt 0x5
	s_wait_xcnt 0x0
	v_and_b32_e32 v1, 0xffff0000, v24
	v_lshlrev_b32_e32 v0, 16, v24
	scratch_store_b64 off, v[0:1], off offset:80 ; 8-byte Folded Spill
	s_wait_xcnt 0x0
	v_and_b32_e32 v1, 0xffff0000, v25
	v_lshlrev_b32_e32 v0, 16, v25
	scratch_store_b64 off, v[0:1], off offset:88 ; 8-byte Folded Spill
	;; [unrolled: 4-line block ×4, first 2 shown]
	s_wait_dscnt 0x4
	s_wait_xcnt 0x0
	v_and_b32_e32 v1, 0xffff0000, v2
	v_lshlrev_b32_e32 v0, 16, v2
	scratch_store_b64 off, v[0:1], off offset:112 ; 8-byte Folded Spill
	s_wait_dscnt 0x3
	s_wait_xcnt 0x0
	v_and_b32_e32 v1, 0xffff0000, v10
	v_lshlrev_b32_e32 v0, 16, v10
	scratch_store_b64 off, v[0:1], off offset:120 ; 8-byte Folded Spill
	;; [unrolled: 5-line block ×3, first 2 shown]
	s_wait_xcnt 0x0
	v_and_b32_e32 v1, 0xffff0000, v3
	v_lshlrev_b32_e32 v0, 16, v3
	scratch_store_b64 off, v[0:1], off offset:136 ; 8-byte Folded Spill
	s_wait_xcnt 0x0
	v_and_b32_e32 v1, 0xffff0000, v11
	v_lshlrev_b32_e32 v0, 16, v11
	scratch_store_b64 off, v[0:1], off offset:144 ; 8-byte Folded Spill
	;; [unrolled: 4-line block ×5, first 2 shown]
	s_wait_xcnt 0x0
	v_and_b32_e32 v1, 0xffff0000, v5
	v_lshlrev_b32_e32 v0, 16, v5
	ds_load_b128 v[2:5], v15 offset:144
	scratch_store_b64 off, v[0:1], off offset:176 ; 8-byte Folded Spill
	s_wait_xcnt 0x0
	v_and_b32_e32 v1, 0xffff0000, v8
	v_lshlrev_b32_e32 v0, 16, v8
	scratch_store_b64 off, v[0:1], off offset:184 ; 8-byte Folded Spill
	s_wait_xcnt 0x0
	v_and_b32_e32 v1, 0xffff0000, v13
	v_lshlrev_b32_e32 v0, 16, v13
	ds_load_b128 v[10:13], v15 offset:128
	scratch_store_b64 off, v[0:1], off offset:192 ; 8-byte Folded Spill
	s_wait_xcnt 0x0
	v_and_b32_e32 v1, 0xffff0000, v9
	v_lshlrev_b32_e32 v0, 16, v9
	ds_load_b128 v[6:9], v15 offset:160
	scratch_store_b64 off, v[0:1], off offset:200 ; 8-byte Folded Spill
	s_wait_dscnt 0x4
	s_wait_xcnt 0x0
	v_and_b32_e32 v1, 0xffff0000, v16
	v_lshlrev_b32_e32 v0, 16, v16
	scratch_store_b64 off, v[0:1], off offset:208 ; 8-byte Folded Spill
	s_wait_xcnt 0x0
	v_and_b32_e32 v1, 0xffff0000, v17
	v_lshlrev_b32_e32 v0, 16, v17
	scratch_store_b64 off, v[0:1], off offset:216 ; 8-byte Folded Spill
	;; [unrolled: 4-line block ×3, first 2 shown]
	s_wait_xcnt 0x0
	v_and_b32_e32 v1, 0xffff0000, v19
	v_lshlrev_b32_e32 v0, 16, v19
	ds_load_b128 v[16:19], v15 offset:176
	scratch_store_b64 off, v[0:1], off offset:232 ; 8-byte Folded Spill
	s_wait_dscnt 0x4
	s_wait_xcnt 0x0
	v_and_b32_e32 v1, 0xffff0000, v20
	v_lshlrev_b32_e32 v0, 16, v20
	scratch_store_b64 off, v[0:1], off offset:240 ; 8-byte Folded Spill
	s_wait_xcnt 0x0
	v_and_b32_e32 v1, 0xffff0000, v21
	v_lshlrev_b32_e32 v0, 16, v21
	scratch_store_b64 off, v[0:1], off offset:248 ; 8-byte Folded Spill
	;; [unrolled: 4-line block ×4, first 2 shown]
	s_wait_dscnt 0x2
	s_wait_xcnt 0x0
	v_and_b32_e32 v1, 0xffff0000, v10
	v_dual_lshlrev_b32 v0, 16, v10 :: v_dual_lshlrev_b32 v10, 16, v5
	scratch_store_b64 off, v[0:1], off offset:272 ; 8-byte Folded Spill
	s_wait_xcnt 0x0
	v_and_b32_e32 v1, 0xffff0000, v11
	v_lshlrev_b32_e32 v0, 16, v11
	v_and_b32_e32 v11, 0xffff0000, v5
	s_wait_dscnt 0x1
	v_and_b32_e32 v5, 0xffff0000, v6
	s_clause 0x1
	scratch_store_b64 off, v[0:1], off offset:280
	scratch_store_b64 off, v[10:11], off offset:328
	s_wait_xcnt 0x1
	v_and_b32_e32 v1, 0xffff0000, v12
	v_lshlrev_b32_e32 v0, 16, v12
	s_wait_xcnt 0x0
	v_and_b32_e32 v11, 0xffff0000, v8
	v_lshlrev_b32_e32 v10, 16, v8
	s_wait_dscnt 0x0
	v_lshlrev_b32_e32 v8, 16, v16
	scratch_store_b64 off, v[0:1], off offset:288 ; 8-byte Folded Spill
	s_wait_xcnt 0x0
	v_and_b32_e32 v1, 0xffff0000, v13
	v_lshlrev_b32_e32 v0, 16, v13
	scratch_store_b64 off, v[10:11], off offset:352 ; 8-byte Folded Spill
	s_wait_xcnt 0x0
	v_and_b32_e32 v11, 0xffff0000, v9
	v_lshlrev_b32_e32 v10, 16, v9
	v_and_b32_e32 v9, 0xffff0000, v16
	scratch_store_b64 off, v[0:1], off offset:296 ; 8-byte Folded Spill
	s_wait_xcnt 0x0
	v_and_b32_e32 v1, 0xffff0000, v2
	v_lshlrev_b32_e32 v0, 16, v2
	scratch_store_b64 off, v[8:9], off offset:368 ; 8-byte Folded Spill
	s_wait_xcnt 0x0
	v_and_b32_e32 v9, 0xffff0000, v17
	v_lshlrev_b32_e32 v8, 16, v17
	;; [unrolled: 4-line block ×4, first 2 shown]
	scratch_store_b64 off, v[0:1], off offset:312 ; 8-byte Folded Spill
	s_wait_xcnt 0x0
	v_and_b32_e32 v1, 0xffff0000, v4
	v_dual_lshlrev_b32 v0, 16, v4 :: v_dual_lshlrev_b32 v4, 16, v6
	scratch_store_b64 off, v[8:9], off offset:384 ; 8-byte Folded Spill
	s_wait_xcnt 0x0
	v_and_b32_e32 v9, 0xffff0000, v19
	v_lshlrev_b32_e32 v8, 16, v19
	s_clause 0x1
	scratch_store_b64 off, v[0:1], off offset:320
	scratch_store_b64 off, v[4:5], off offset:336
	s_wait_xcnt 0x1
	ds_load_b128 v[0:3], v15 offset:192
	s_wait_xcnt 0x0
	v_and_b32_e32 v5, 0xffff0000, v7
	v_lshlrev_b32_e32 v4, 16, v7
	s_clause 0x1
	scratch_store_b64 off, v[8:9], off offset:392
	scratch_store_b64 off, v[4:5], off offset:344
	s_wait_xcnt 0x0
	ds_load_b128 v[4:7], v15 offset:208
	s_wait_dscnt 0x1
	v_and_b32_e32 v9, 0xffff0000, v0
	v_dual_lshlrev_b32 v8, 16, v0 :: v_dual_lshlrev_b32 v0, 16, v2
	s_clause 0x1
	scratch_store_b64 off, v[10:11], off offset:360
	scratch_store_b64 off, v[8:9], off offset:400
	s_wait_xcnt 0x0
	v_and_b32_e32 v9, 0xffff0000, v1
	v_lshlrev_b32_e32 v8, 16, v1
	v_and_b32_e32 v1, 0xffff0000, v2
	s_clause 0x1
	scratch_store_b64 off, v[8:9], off offset:408
	scratch_store_b64 off, v[0:1], off offset:416
	s_wait_xcnt 0x0
	v_and_b32_e32 v1, 0xffff0000, v3
	v_lshlrev_b32_e32 v0, 16, v3
	scratch_store_b64 off, v[0:1], off offset:424 ; 8-byte Folded Spill
	s_wait_dscnt 0x0
	s_wait_xcnt 0x0
	v_and_b32_e32 v1, 0xffff0000, v4
	v_lshlrev_b32_e32 v0, 16, v4
	scratch_store_b64 off, v[0:1], off offset:432 ; 8-byte Folded Spill
	s_wait_xcnt 0x0
	v_and_b32_e32 v1, 0xffff0000, v5
	v_lshlrev_b32_e32 v0, 16, v5
	scratch_store_b64 off, v[0:1], off offset:440 ; 8-byte Folded Spill
	;; [unrolled: 4-line block ×4, first 2 shown]
	ds_load_b128 v[6:9], v15 offset:224
	ds_load_b128 v[2:5], v15 offset:240
	s_wait_dscnt 0x1
	s_wait_xcnt 0x0
	v_and_b32_e32 v1, 0xffff0000, v6
	v_lshlrev_b32_e32 v0, 16, v6
	scratch_store_b64 off, v[0:1], off offset:464 ; 8-byte Folded Spill
	s_wait_xcnt 0x0
	v_and_b32_e32 v1, 0xffff0000, v7
	v_lshlrev_b32_e32 v0, 16, v7
	scratch_store_b64 off, v[0:1], off offset:472 ; 8-byte Folded Spill
	;; [unrolled: 4-line block ×4, first 2 shown]
	s_wait_dscnt 0x0
	s_wait_xcnt 0x0
	v_and_b32_e32 v1, 0xffff0000, v2
	v_lshlrev_b32_e32 v0, 16, v2
	scratch_store_b64 off, v[0:1], off offset:496 ; 8-byte Folded Spill
	s_wait_xcnt 0x0
	v_and_b32_e32 v1, 0xffff0000, v3
	v_lshlrev_b32_e32 v0, 16, v3
	scratch_store_b64 off, v[0:1], off offset:504 ; 8-byte Folded Spill
	s_wait_xcnt 0x0
	v_and_b32_e32 v1, 0xffff0000, v4
	v_lshlrev_b32_e32 v0, 16, v4
	scratch_store_b64 off, v[0:1], off offset:512 ; 8-byte Folded Spill
	s_wait_xcnt 0x0
	v_and_b32_e32 v1, 0xffff0000, v5
	v_lshlrev_b32_e32 v0, 16, v5
	scratch_store_b64 off, v[0:1], off offset:520 ; 8-byte Folded Spill
	s_wait_xcnt 0x0
	ds_load_b128 v[0:3], v15 offset:256
	ds_load_b128 v[4:7], v15 offset:272
	s_wait_dscnt 0x1
	v_and_b32_e32 v9, 0xffff0000, v0
	v_dual_lshlrev_b32 v8, 16, v0 :: v_dual_lshlrev_b32 v0, 16, v2
	s_wait_dscnt 0x0
	v_and_b32_e32 v91, 0xffff0000, v5
	v_lshlrev_b32_e32 v90, 16, v5
	v_and_b32_e32 v93, 0xffff0000, v6
	scratch_store_b64 off, v[8:9], off offset:528 ; 8-byte Folded Spill
	s_wait_xcnt 0x0
	v_and_b32_e32 v9, 0xffff0000, v1
	v_lshlrev_b32_e32 v8, 16, v1
	v_and_b32_e32 v1, 0xffff0000, v2
	v_lshlrev_b32_e32 v92, 16, v6
	;; [unrolled: 2-line block ×3, first 2 shown]
	s_clause 0x1
	scratch_store_b64 off, v[8:9], off offset:536
	scratch_store_b64 off, v[0:1], off offset:544
	s_wait_xcnt 0x0
	v_and_b32_e32 v1, 0xffff0000, v3
	v_lshlrev_b32_e32 v0, 16, v3
	scratch_store_b64 off, v[0:1], off offset:552 ; 8-byte Folded Spill
	s_wait_xcnt 0x0
	v_and_b32_e32 v1, 0xffff0000, v4
	v_lshlrev_b32_e32 v0, 16, v4
	scratch_store_b64 off, v[0:1], off offset:560 ; 8-byte Folded Spill
	s_wait_xcnt 0x0
	ds_load_b128 v[0:3], v15 offset:288
	ds_load_b128 v[4:7], v15 offset:304
	s_wait_dscnt 0x1
	v_and_b32_e32 v97, 0xffff0000, v0
	v_lshlrev_b32_e32 v96, 16, v0
	v_and_b32_e32 v99, 0xffff0000, v1
	v_lshlrev_b32_e32 v98, 16, v1
	;; [unrolled: 2-line block ×4, first 2 shown]
	s_wait_dscnt 0x0
	v_and_b32_e32 v105, 0xffff0000, v4
	v_lshlrev_b32_e32 v104, 16, v4
	v_and_b32_e32 v107, 0xffff0000, v5
	v_lshlrev_b32_e32 v106, 16, v5
	v_and_b32_e32 v109, 0xffff0000, v6
	v_lshlrev_b32_e32 v108, 16, v6
	v_and_b32_e32 v111, 0xffff0000, v7
	v_lshlrev_b32_e32 v110, 16, v7
	ds_load_b128 v[0:3], v15 offset:320
	ds_load_b128 v[4:7], v15 offset:336
	s_wait_dscnt 0x1
	v_and_b32_e32 v117, 0xffff0000, v2
	v_lshlrev_b32_e32 v116, 16, v2
	v_and_b32_e32 v119, 0xffff0000, v3
	v_lshlrev_b32_e32 v118, 16, v3
	s_wait_dscnt 0x0
	v_and_b32_e32 v121, 0xffff0000, v4
	v_lshlrev_b32_e32 v120, 16, v4
	v_and_b32_e32 v123, 0xffff0000, v5
	v_lshlrev_b32_e32 v122, 16, v5
	;; [unrolled: 2-line block ×4, first 2 shown]
	ds_load_b128 v[2:5], v15 offset:352
	ds_load_b128 v[6:9], v15 offset:368
	v_and_b32_e32 v113, 0xffff0000, v0
	v_lshlrev_b32_e32 v112, 16, v0
	v_and_b32_e32 v115, 0xffff0000, v1
	v_lshlrev_b32_e32 v114, 16, v1
	s_wait_dscnt 0x1
	v_and_b32_e32 v43, 0xffff0000, v3
	v_lshlrev_b32_e32 v42, 16, v3
	scratch_load_b32 v3, off, off offset:576 ; 4-byte Folded Reload
	v_and_b32_e32 v45, 0xffff0000, v4
	v_lshlrev_b32_e32 v44, 16, v4
	v_and_b32_e32 v47, 0xffff0000, v5
	v_lshlrev_b32_e32 v46, 16, v5
	;; [unrolled: 2-line block ×3, first 2 shown]
	s_wait_dscnt 0x0
	v_and_b32_e32 v49, 0xffff0000, v6
	v_lshlrev_b32_e32 v48, 16, v6
	v_and_b32_e32 v51, 0xffff0000, v7
	v_lshlrev_b32_e32 v50, 16, v7
	;; [unrolled: 2-line block ×3, first 2 shown]
	v_and_b32_e32 v55, 0xffff0000, v9
	s_wait_loadcnt 0x0
	v_dual_lshlrev_b32 v54, 16, v9 :: v_dual_lshlrev_b32 v14, 4, v3
	s_delay_alu instid0(VALU_DEP_1)
	v_add_nc_u64_e32 v[4:5], s[24:25], v[14:15]
	s_clause 0x2
	scratch_store_b64 off, v[4:5], off offset:568
	scratch_store_b32 off, v28, off offset:592
	scratch_load_b32 v81, off, off offset:580
	v_and_b32_e32 v14, 0x7c, v28
	s_add_nc_u64 s[24:25], s[10:11], s[26:27]
	s_delay_alu instid0(VALU_DEP_1) | instid1(SALU_CYCLE_1)
	v_add_nc_u64_e32 v[58:59], s[24:25], v[14:15]
	s_wait_loadcnt 0x0
	v_lshl_or_b32 v2, v81, 7, v29
	v_lshl_or_b32 v80, v81, 5, v3
	s_delay_alu instid0(VALU_DEP_2)
	v_add_nc_u32_e32 v57, 0x1a0, v2
.LBB160_6:                              ; =>This Inner Loop Header: Depth=1
	global_load_b32 v2, v[58:59], off
	s_clause 0x1
	scratch_load_b64 v[4:5], off, off offset:568
	scratch_load_b64 v[8:9], off, off offset:32
	v_cmp_gt_i32_e64 s3, s21, v80
	s_wait_xcnt 0x2
	v_add_nc_u64_e32 v[58:59], 16, v[58:59]
	s_wait_loadcnt 0x2
	v_dual_add_nc_u32 v81, 4, v81 :: v_dual_ashrrev_i32 v3, 31, v2
	s_delay_alu instid0(VALU_DEP_1) | instskip(SKIP_1) | instid1(VALU_DEP_1)
	v_mul_u64_e32 v[2:3], s[16:17], v[2:3]
	s_wait_loadcnt 0x1
	v_lshl_add_u64 v[60:61], v[2:3], 1, v[4:5]
	v_add_nc_u32_e32 v2, s23, v80
	v_add_nc_u32_e32 v80, 0x80, v80
	s_delay_alu instid0(VALU_DEP_2) | instskip(NEXT) | instid1(VALU_DEP_1)
	v_cvt_f32_i32_e32 v2, v2
	v_mul_f32_e32 v2, s22, v2
	s_delay_alu instid0(VALU_DEP_1)
	v_cndmask_b32_e32 v82, 0, v2, vcc_lo
	global_load_b128 v[2:5], v[60:61], off
	s_wait_loadcnt 0x0
	v_and_b32_e32 v63, 0xffff0000, v2
	v_lshlrev_b32_e32 v62, 16, v2
	v_and_b32_e32 v67, 0xffff0000, v3
	v_lshlrev_b32_e32 v66, 16, v3
	v_and_b32_e32 v65, 0xffff0000, v4
	v_dual_lshlrev_b32 v64, 16, v4 :: v_dual_lshlrev_b32 v38, 16, v5
	v_and_b32_e32 v39, 0xffff0000, v5
	global_load_b128 v[2:5], v[60:61], off offset:512
	s_wait_loadcnt 0x0
	v_and_b32_e32 v7, 0xffff0000, v2
	v_lshlrev_b32_e32 v6, 16, v2
	s_delay_alu instid0(VALU_DEP_1)
	v_pk_mul_f32 v[76:77], v[8:9], v[6:7]
	v_and_b32_e32 v7, 0xffff0000, v3
	v_lshlrev_b32_e32 v6, 16, v3
	scratch_load_b64 v[2:3], off, off offset:40 ; 8-byte Folded Reload
	s_wait_loadcnt 0x0
	v_pk_mul_f32 v[74:75], v[2:3], v[6:7]
	scratch_load_b64 v[6:7], off, off offset:56 ; 8-byte Folded Reload
	v_and_b32_e32 v3, 0xffff0000, v4
	v_lshlrev_b32_e32 v2, 16, v4
	s_wait_loadcnt 0x0
	s_delay_alu instid0(VALU_DEP_1)
	v_pk_mul_f32 v[70:71], v[6:7], v[2:3]
	v_and_b32_e32 v3, 0xffff0000, v5
	v_lshlrev_b32_e32 v2, 16, v5
	scratch_load_b64 v[4:5], off, off offset:72 ; 8-byte Folded Reload
	s_wait_loadcnt 0x0
	v_pk_mul_f32 v[40:41], v[4:5], v[2:3]
	global_load_b128 v[2:5], v[60:61], off offset:1024
	s_wait_loadcnt 0x0
	v_and_b32_e32 v79, 0xffff0000, v2
	v_dual_lshlrev_b32 v78, 16, v2 :: v_dual_lshlrev_b32 v84, 16, v3
	v_and_b32_e32 v85, 0xffff0000, v3
	v_and_b32_e32 v73, 0xffff0000, v4
	v_dual_lshlrev_b32 v72, 16, v4 :: v_dual_lshlrev_b32 v68, 16, v5
	v_and_b32_e32 v69, 0xffff0000, v5
	s_clause 0x8
	global_load_b128 v[34:37], v[60:61], off offset:1536
	global_load_b128 v[30:33], v[60:61], off offset:2048
	;; [unrolled: 1-line block ×9, first 2 shown]
	scratch_load_b64 v[86:87], off, off     ; 8-byte Folded Reload
	s_wait_loadcnt 0x0
	v_pk_fma_f32 v[62:63], v[86:87], v[62:63], v[76:77]
	scratch_load_b64 v[76:77], off, off offset:80 ; 8-byte Folded Reload
	s_wait_loadcnt 0x0
	v_pk_fma_f32 v[62:63], v[76:77], v[78:79], v[62:63]
	scratch_load_b64 v[78:79], off, off offset:112 ; 8-byte Folded Reload
	v_and_b32_e32 v77, 0xffff0000, v34
	v_lshlrev_b32_e32 v76, 16, v34
	s_wait_loadcnt 0x0
	s_delay_alu instid0(VALU_DEP_1) | instskip(SKIP_4) | instid1(VALU_DEP_1)
	v_pk_fma_f32 v[62:63], v[78:79], v[76:77], v[62:63]
	scratch_load_b64 v[78:79], off, off offset:120 ; 8-byte Folded Reload
	v_and_b32_e32 v77, 0xffff0000, v30
	v_lshlrev_b32_e32 v76, 16, v30
	s_wait_loadcnt 0x0
	v_pk_fma_f32 v[62:63], v[78:79], v[76:77], v[62:63]
	scratch_load_b64 v[78:79], off, off offset:128 ; 8-byte Folded Reload
	v_and_b32_e32 v77, 0xffff0000, v26
	v_lshlrev_b32_e32 v76, 16, v26
	s_wait_loadcnt 0x0
	s_delay_alu instid0(VALU_DEP_1) | instskip(SKIP_4) | instid1(VALU_DEP_1)
	v_pk_fma_f32 v[62:63], v[78:79], v[76:77], v[62:63]
	scratch_load_b64 v[78:79], off, off offset:208 ; 8-byte Folded Reload
	v_and_b32_e32 v77, 0xffff0000, v22
	v_lshlrev_b32_e32 v76, 16, v22
	;; [unrolled: 11-line block ×4, first 2 shown]
	s_wait_loadcnt 0x0
	v_pk_fma_f32 v[62:63], v[78:79], v[76:77], v[62:63]
	scratch_load_b64 v[78:79], off, off offset:368 ; 8-byte Folded Reload
	v_and_b32_e32 v77, 0xffff0000, v2
	v_lshlrev_b32_e32 v76, 16, v2
	s_wait_loadcnt 0x0
	s_delay_alu instid0(VALU_DEP_1)
	v_pk_fma_f32 v[62:63], v[78:79], v[76:77], v[62:63]
	scratch_load_b64 v[76:77], off, off offset:8 ; 8-byte Folded Reload
	s_wait_loadcnt 0x0
	v_pk_fma_f32 v[66:67], v[76:77], v[66:67], v[74:75]
	scratch_load_b64 v[74:75], off, off offset:88 ; 8-byte Folded Reload
	s_wait_loadcnt 0x0
	v_pk_fma_f32 v[66:67], v[74:75], v[84:85], v[66:67]
	v_and_b32_e32 v75, 0xffff0000, v35
	v_lshlrev_b32_e32 v74, 16, v35
	scratch_load_b64 v[34:35], off, off offset:136 ; 8-byte Folded Reload
	s_wait_loadcnt 0x0
	v_pk_fma_f32 v[34:35], v[34:35], v[74:75], v[66:67]
	v_and_b32_e32 v67, 0xffff0000, v31
	v_lshlrev_b32_e32 v66, 16, v31
	;; [unrolled: 5-line block ×9, first 2 shown]
	scratch_load_b64 v[2:3], off, off offset:376 ; 8-byte Folded Reload
	s_wait_loadcnt 0x0
	v_pk_fma_f32 v[66:67], v[2:3], v[10:11], v[6:7]
	s_clause 0x2
	scratch_load_b64 v[2:3], off, off offset:16
	scratch_load_b64 v[6:7], off, off offset:96
	;; [unrolled: 1-line block ×3, first 2 shown]
	s_wait_loadcnt 0x2
	v_pk_fma_f32 v[2:3], v[2:3], v[64:65], v[70:71]
	s_wait_loadcnt 0x1
	s_delay_alu instid0(VALU_DEP_1) | instskip(SKIP_3) | instid1(VALU_DEP_1)
	v_pk_fma_f32 v[2:3], v[6:7], v[72:73], v[2:3]
	v_and_b32_e32 v7, 0xffff0000, v36
	v_lshlrev_b32_e32 v6, 16, v36
	s_wait_loadcnt 0x0
	v_pk_fma_f32 v[2:3], v[10:11], v[6:7], v[2:3]
	scratch_load_b64 v[10:11], off, off offset:168 ; 8-byte Folded Reload
	v_and_b32_e32 v7, 0xffff0000, v32
	v_lshlrev_b32_e32 v6, 16, v32
	s_wait_loadcnt 0x0
	s_delay_alu instid0(VALU_DEP_1) | instskip(SKIP_4) | instid1(VALU_DEP_1)
	v_pk_fma_f32 v[2:3], v[10:11], v[6:7], v[2:3]
	scratch_load_b64 v[10:11], off, off offset:184 ; 8-byte Folded Reload
	v_and_b32_e32 v7, 0xffff0000, v28
	v_lshlrev_b32_e32 v6, 16, v28
	s_wait_loadcnt 0x0
	v_pk_fma_f32 v[2:3], v[10:11], v[6:7], v[2:3]
	scratch_load_b64 v[10:11], off, off offset:224 ; 8-byte Folded Reload
	v_and_b32_e32 v7, 0xffff0000, v24
	v_lshlrev_b32_e32 v6, 16, v24
	s_wait_loadcnt 0x0
	s_delay_alu instid0(VALU_DEP_1) | instskip(SKIP_4) | instid1(VALU_DEP_1)
	v_pk_fma_f32 v[2:3], v[10:11], v[6:7], v[2:3]
	scratch_load_b64 v[10:11], off, off offset:256 ; 8-byte Folded Reload
	;; [unrolled: 11-line block ×4, first 2 shown]
	v_and_b32_e32 v7, 0xffff0000, v4
	v_lshlrev_b32_e32 v6, 16, v4
	s_wait_loadcnt 0x0
	v_pk_fma_f32 v[64:65], v[10:11], v[6:7], v[2:3]
	s_clause 0x2
	scratch_load_b64 v[2:3], off, off offset:24
	scratch_load_b64 v[6:7], off, off offset:104
	;; [unrolled: 1-line block ×3, first 2 shown]
	s_wait_loadcnt 0x2
	v_pk_fma_f32 v[2:3], v[2:3], v[38:39], v[40:41]
	s_wait_loadcnt 0x1
	s_delay_alu instid0(VALU_DEP_1) | instskip(SKIP_3) | instid1(VALU_DEP_1)
	v_pk_fma_f32 v[2:3], v[6:7], v[68:69], v[2:3]
	v_and_b32_e32 v7, 0xffff0000, v37
	v_lshlrev_b32_e32 v6, 16, v37
	s_wait_loadcnt 0x0
	v_pk_fma_f32 v[2:3], v[10:11], v[6:7], v[2:3]
	scratch_load_b64 v[10:11], off, off offset:192 ; 8-byte Folded Reload
	v_and_b32_e32 v7, 0xffff0000, v33
	v_lshlrev_b32_e32 v6, 16, v33
	s_wait_loadcnt 0x0
	s_delay_alu instid0(VALU_DEP_1) | instskip(SKIP_4) | instid1(VALU_DEP_1)
	v_pk_fma_f32 v[2:3], v[10:11], v[6:7], v[2:3]
	scratch_load_b64 v[10:11], off, off offset:200 ; 8-byte Folded Reload
	v_and_b32_e32 v7, 0xffff0000, v29
	v_lshlrev_b32_e32 v6, 16, v29
	s_wait_loadcnt 0x0
	v_pk_fma_f32 v[2:3], v[10:11], v[6:7], v[2:3]
	scratch_load_b64 v[10:11], off, off offset:232 ; 8-byte Folded Reload
	v_and_b32_e32 v7, 0xffff0000, v25
	v_lshlrev_b32_e32 v6, 16, v25
	s_wait_loadcnt 0x0
	s_delay_alu instid0(VALU_DEP_1) | instskip(SKIP_4) | instid1(VALU_DEP_1)
	v_pk_fma_f32 v[2:3], v[10:11], v[6:7], v[2:3]
	scratch_load_b64 v[10:11], off, off offset:264 ; 8-byte Folded Reload
	;; [unrolled: 11-line block ×3, first 2 shown]
	v_and_b32_e32 v7, 0xffff0000, v13
	v_lshlrev_b32_e32 v6, 16, v13
	s_wait_loadcnt 0x0
	v_pk_fma_f32 v[2:3], v[10:11], v[6:7], v[2:3]
	v_and_b32_e32 v7, 0xffff0000, v9
	v_lshlrev_b32_e32 v6, 16, v9
	scratch_load_b64 v[8:9], off, off offset:360 ; 8-byte Folded Reload
	s_wait_loadcnt 0x0
	v_pk_fma_f32 v[2:3], v[8:9], v[6:7], v[2:3]
	v_and_b32_e32 v7, 0xffff0000, v5
	v_lshlrev_b32_e32 v6, 16, v5
	scratch_load_b64 v[4:5], off, off offset:392 ; 8-byte Folded Reload
	s_wait_loadcnt 0x0
	v_pk_fma_f32 v[68:69], v[4:5], v[6:7], v[2:3]
	global_load_b128 v[2:5], v[60:61], off offset:6144
	s_wait_loadcnt 0x0
	v_and_b32_e32 v85, 0xffff0000, v2
	v_lshlrev_b32_e32 v84, 16, v2
	v_and_b32_e32 v79, 0xffff0000, v3
	v_lshlrev_b32_e32 v78, 16, v3
	;; [unrolled: 2-line block ×4, first 2 shown]
	global_load_b128 v[2:5], v[60:61], off offset:6656
	s_wait_loadcnt 0x0
	v_and_b32_e32 v87, 0xffff0000, v2
	v_lshlrev_b32_e32 v86, 16, v2
	v_and_b32_e32 v89, 0xffff0000, v3
	v_lshlrev_b32_e32 v88, 16, v3
	;; [unrolled: 2-line block ×4, first 2 shown]
	s_clause 0x9
	global_load_b128 v[38:41], v[60:61], off offset:7168
	global_load_b128 v[34:37], v[60:61], off offset:7680
	;; [unrolled: 1-line block ×10, first 2 shown]
	scratch_load_b64 v[60:61], off, off offset:400 ; 8-byte Folded Reload
	s_wait_loadcnt 0x0
	v_pk_fma_f32 v[60:61], v[60:61], v[84:85], v[62:63]
	s_clause 0x1
	scratch_load_b64 v[62:63], off, off offset:432
	scratch_load_b64 v[84:85], off, off offset:464
	s_wait_loadcnt 0x1
	v_pk_fma_f32 v[60:61], v[62:63], v[86:87], v[60:61]
	v_and_b32_e32 v63, 0xffff0000, v38
	v_lshlrev_b32_e32 v62, 16, v38
	s_wait_loadcnt 0x0
	s_delay_alu instid0(VALU_DEP_1) | instskip(SKIP_4) | instid1(VALU_DEP_1)
	v_pk_fma_f32 v[60:61], v[84:85], v[62:63], v[60:61]
	scratch_load_b64 v[84:85], off, off offset:496 ; 8-byte Folded Reload
	v_and_b32_e32 v63, 0xffff0000, v34
	v_lshlrev_b32_e32 v62, 16, v34
	s_wait_loadcnt 0x0
	v_pk_fma_f32 v[60:61], v[84:85], v[62:63], v[60:61]
	scratch_load_b64 v[84:85], off, off offset:528 ; 8-byte Folded Reload
	v_and_b32_e32 v63, 0xffff0000, v30
	v_lshlrev_b32_e32 v62, 16, v30
	s_wait_loadcnt 0x0
	s_delay_alu instid0(VALU_DEP_1) | instskip(SKIP_4) | instid1(VALU_DEP_1)
	v_pk_fma_f32 v[60:61], v[84:85], v[62:63], v[60:61]
	scratch_load_b64 v[84:85], off, off offset:560 ; 8-byte Folded Reload
	v_and_b32_e32 v63, 0xffff0000, v26
	v_lshlrev_b32_e32 v62, 16, v26
	s_wait_loadcnt 0x0
	v_pk_fma_f32 v[60:61], v[84:85], v[62:63], v[60:61]
	v_and_b32_e32 v63, 0xffff0000, v22
	v_lshlrev_b32_e32 v62, 16, v22
	s_delay_alu instid0(VALU_DEP_1) | instskip(SKIP_2) | instid1(VALU_DEP_1)
	v_pk_fma_f32 v[60:61], v[96:97], v[62:63], v[60:61]
	v_and_b32_e32 v63, 0xffff0000, v18
	v_lshlrev_b32_e32 v62, 16, v18
	v_pk_fma_f32 v[60:61], v[104:105], v[62:63], v[60:61]
	v_and_b32_e32 v63, 0xffff0000, v14
	v_lshlrev_b32_e32 v62, 16, v14
	s_delay_alu instid0(VALU_DEP_1) | instskip(SKIP_2) | instid1(VALU_DEP_1)
	v_pk_fma_f32 v[60:61], v[112:113], v[62:63], v[60:61]
	v_and_b32_e32 v63, 0xffff0000, v10
	v_lshlrev_b32_e32 v62, 16, v10
	;; [unrolled: 7-line block ×3, first 2 shown]
	v_pk_fma_f32 v[60:61], v[48:49], v[62:63], v[60:61]
	scratch_load_b64 v[62:63], off, off offset:408 ; 8-byte Folded Reload
	s_wait_loadcnt 0x0
	v_pk_fma_f32 v[62:63], v[62:63], v[78:79], v[66:67]
	scratch_load_b64 v[66:67], off, off offset:440 ; 8-byte Folded Reload
	s_wait_loadcnt 0x0
	v_pk_fma_f32 v[62:63], v[66:67], v[88:89], v[62:63]
	v_and_b32_e32 v67, 0xffff0000, v39
	v_lshlrev_b32_e32 v66, 16, v39
	scratch_load_b64 v[38:39], off, off offset:472 ; 8-byte Folded Reload
	s_wait_loadcnt 0x0
	v_pk_fma_f32 v[38:39], v[38:39], v[66:67], v[62:63]
	v_and_b32_e32 v63, 0xffff0000, v35
	v_lshlrev_b32_e32 v62, 16, v35
	;; [unrolled: 5-line block ×4, first 2 shown]
	s_delay_alu instid0(VALU_DEP_1) | instskip(SKIP_2) | instid1(VALU_DEP_1)
	v_pk_fma_f32 v[26:27], v[90:91], v[34:35], v[30:31]
	v_and_b32_e32 v31, 0xffff0000, v23
	v_lshlrev_b32_e32 v30, 16, v23
	v_pk_fma_f32 v[22:23], v[98:99], v[30:31], v[26:27]
	v_and_b32_e32 v27, 0xffff0000, v19
	v_lshlrev_b32_e32 v26, 16, v19
	s_delay_alu instid0(VALU_DEP_1) | instskip(SKIP_2) | instid1(VALU_DEP_1)
	v_pk_fma_f32 v[18:19], v[106:107], v[26:27], v[22:23]
	v_and_b32_e32 v23, 0xffff0000, v15
	v_lshlrev_b32_e32 v22, 16, v15
	v_pk_fma_f32 v[14:15], v[114:115], v[22:23], v[18:19]
	v_and_b32_e32 v19, 0xffff0000, v11
	v_lshlrev_b32_e32 v18, 16, v11
	s_delay_alu instid0(VALU_DEP_1)
	v_pk_fma_f32 v[10:11], v[122:123], v[18:19], v[14:15]
	v_and_b32_e32 v15, 0xffff0000, v7
	v_lshlrev_b32_e32 v14, 16, v7
	scratch_load_b64 v[18:19], off, off offset:488 ; 8-byte Folded Reload
	v_pk_fma_f32 v[6:7], v[42:43], v[14:15], v[10:11]
	v_and_b32_e32 v11, 0xffff0000, v3
	v_lshlrev_b32_e32 v10, 16, v3
	scratch_load_b64 v[14:15], off, off offset:480 ; 8-byte Folded Reload
	v_pk_fma_f32 v[2:3], v[50:51], v[10:11], v[6:7]
	s_clause 0x1
	scratch_load_b64 v[6:7], off, off offset:416
	scratch_load_b64 v[10:11], off, off offset:448
	s_wait_loadcnt 0x1
	v_pk_fma_f32 v[6:7], v[6:7], v[74:75], v[64:65]
	s_wait_loadcnt 0x0
	s_delay_alu instid0(VALU_DEP_1) | instskip(SKIP_2) | instid1(VALU_DEP_1)
	v_pk_fma_f32 v[6:7], v[10:11], v[76:77], v[6:7]
	v_and_b32_e32 v11, 0xffff0000, v40
	v_lshlrev_b32_e32 v10, 16, v40
	v_pk_fma_f32 v[6:7], v[14:15], v[10:11], v[6:7]
	scratch_load_b64 v[14:15], off, off offset:512 ; 8-byte Folded Reload
	v_and_b32_e32 v11, 0xffff0000, v36
	v_lshlrev_b32_e32 v10, 16, v36
	s_wait_loadcnt 0x0
	s_delay_alu instid0(VALU_DEP_1) | instskip(SKIP_4) | instid1(VALU_DEP_1)
	v_pk_fma_f32 v[6:7], v[14:15], v[10:11], v[6:7]
	scratch_load_b64 v[14:15], off, off offset:544 ; 8-byte Folded Reload
	v_and_b32_e32 v11, 0xffff0000, v32
	v_lshlrev_b32_e32 v10, 16, v32
	s_wait_loadcnt 0x0
	v_pk_fma_f32 v[6:7], v[14:15], v[10:11], v[6:7]
	v_and_b32_e32 v11, 0xffff0000, v28
	v_lshlrev_b32_e32 v10, 16, v28
	scratch_load_b64 v[14:15], off, off offset:456 ; 8-byte Folded Reload
	v_pk_fma_f32 v[6:7], v[92:93], v[10:11], v[6:7]
	v_and_b32_e32 v11, 0xffff0000, v24
	v_lshlrev_b32_e32 v10, 16, v24
	s_delay_alu instid0(VALU_DEP_1) | instskip(SKIP_2) | instid1(VALU_DEP_1)
	v_pk_fma_f32 v[6:7], v[100:101], v[10:11], v[6:7]
	v_and_b32_e32 v11, 0xffff0000, v20
	v_lshlrev_b32_e32 v10, 16, v20
	v_pk_fma_f32 v[6:7], v[108:109], v[10:11], v[6:7]
	v_and_b32_e32 v11, 0xffff0000, v16
	v_lshlrev_b32_e32 v10, 16, v16
	s_delay_alu instid0(VALU_DEP_1) | instskip(SKIP_2) | instid1(VALU_DEP_1)
	v_pk_fma_f32 v[6:7], v[116:117], v[10:11], v[6:7]
	v_and_b32_e32 v11, 0xffff0000, v12
	v_dual_lshlrev_b32 v10, 16, v12 :: v_dual_lshlrev_b32 v12, 16, v9
	v_pk_fma_f32 v[6:7], v[124:125], v[10:11], v[6:7]
	v_and_b32_e32 v11, 0xffff0000, v8
	v_lshlrev_b32_e32 v10, 16, v8
	s_delay_alu instid0(VALU_DEP_1) | instskip(SKIP_2) | instid1(VALU_DEP_1)
	v_pk_fma_f32 v[6:7], v[44:45], v[10:11], v[6:7]
	v_and_b32_e32 v11, 0xffff0000, v4
	v_lshlrev_b32_e32 v10, 16, v4
	v_pk_fma_f32 v[6:7], v[52:53], v[10:11], v[6:7]
	scratch_load_b64 v[10:11], off, off offset:424 ; 8-byte Folded Reload
	s_wait_loadcnt 0x0
	v_pk_fma_f32 v[10:11], v[10:11], v[70:71], v[68:69]
	s_delay_alu instid0(VALU_DEP_1) | instskip(SKIP_2) | instid1(VALU_DEP_1)
	v_pk_fma_f32 v[10:11], v[14:15], v[72:73], v[10:11]
	v_and_b32_e32 v15, 0xffff0000, v41
	v_lshlrev_b32_e32 v14, 16, v41
	v_pk_fma_f32 v[10:11], v[18:19], v[14:15], v[10:11]
	scratch_load_b64 v[18:19], off, off offset:520 ; 8-byte Folded Reload
	v_and_b32_e32 v15, 0xffff0000, v37
	v_lshlrev_b32_e32 v14, 16, v37
	s_wait_loadcnt 0x0
	s_delay_alu instid0(VALU_DEP_1) | instskip(SKIP_4) | instid1(VALU_DEP_1)
	v_pk_fma_f32 v[10:11], v[18:19], v[14:15], v[10:11]
	scratch_load_b64 v[18:19], off, off offset:552 ; 8-byte Folded Reload
	v_and_b32_e32 v15, 0xffff0000, v33
	v_lshlrev_b32_e32 v14, 16, v33
	s_wait_loadcnt 0x0
	v_pk_fma_f32 v[10:11], v[18:19], v[14:15], v[10:11]
	v_and_b32_e32 v15, 0xffff0000, v29
	v_lshlrev_b32_e32 v14, 16, v29
	s_delay_alu instid0(VALU_DEP_1) | instskip(SKIP_2) | instid1(VALU_DEP_1)
	v_pk_fma_f32 v[10:11], v[94:95], v[14:15], v[10:11]
	v_and_b32_e32 v15, 0xffff0000, v25
	v_lshlrev_b32_e32 v14, 16, v25
	v_pk_fma_f32 v[10:11], v[102:103], v[14:15], v[10:11]
	v_and_b32_e32 v15, 0xffff0000, v21
	v_lshlrev_b32_e32 v14, 16, v21
	s_delay_alu instid0(VALU_DEP_1) | instskip(SKIP_2) | instid1(VALU_DEP_1)
	v_pk_fma_f32 v[10:11], v[110:111], v[14:15], v[10:11]
	v_and_b32_e32 v15, 0xffff0000, v17
	v_lshlrev_b32_e32 v14, 16, v17
	v_pk_fma_f32 v[10:11], v[118:119], v[14:15], v[10:11]
	v_and_b32_e32 v15, 0xffff0000, v13
	v_lshlrev_b32_e32 v14, 16, v13
	v_and_b32_e32 v13, 0xffff0000, v9
	s_delay_alu instid0(VALU_DEP_2) | instskip(NEXT) | instid1(VALU_DEP_1)
	v_pk_fma_f32 v[10:11], v[126:127], v[14:15], v[10:11]
	v_pk_fma_f32 v[8:9], v[46:47], v[12:13], v[10:11]
	v_and_b32_e32 v11, 0xffff0000, v5
	v_lshlrev_b32_e32 v10, 16, v5
	s_delay_alu instid0(VALU_DEP_1) | instskip(SKIP_1) | instid1(VALU_DEP_1)
	v_pk_fma_f32 v[4:5], v[54:55], v[10:11], v[8:9]
	v_add_f32_e32 v8, v60, v61
	v_add_f32_e32 v2, v8, v2
	s_delay_alu instid0(VALU_DEP_1) | instskip(NEXT) | instid1(VALU_DEP_1)
	v_add_f32_e32 v2, v3, v2
	v_add_f32_e32 v2, v6, v2
	s_delay_alu instid0(VALU_DEP_1) | instskip(NEXT) | instid1(VALU_DEP_1)
	;; [unrolled: 3-line block ×3, first 2 shown]
	v_add_f32_e32 v2, v5, v2
	v_fmac_f32_e32 v82, s7, v2
	s_delay_alu instid0(VALU_DEP_1) | instskip(SKIP_2) | instid1(VALU_DEP_1)
	v_cndmask_b32_e64 v2, 0, v82, s3
	ds_store_b32 v57, v2
	v_dual_max_num_f32 v2, v56, v56 :: v_dual_add_nc_u32 v57, 0x200, v57
	v_max_num_f32_e32 v2, v2, v82
	s_delay_alu instid0(VALU_DEP_1)
	v_cndmask_b32_e64 v56, v56, v2, s3
	v_cmp_le_i32_e64 s3, s9, v81
	s_or_b32 s15, s3, s15
	s_wait_xcnt 0x0
	s_and_not1_b32 exec_lo, exec_lo, s15
	s_cbranch_execnz .LBB160_6
; %bb.7:
	s_or_b32 exec_lo, exec_lo, s15
	s_clause 0x2
	scratch_load_b32 v22, off, off offset:584
	scratch_load_b32 v23, off, off offset:588
	;; [unrolled: 1-line block ×3, first 2 shown]
	v_mov_b32_e32 v29, v83
.LBB160_8:
	s_wait_xcnt 0x0
	s_or_b32 exec_lo, exec_lo, s6
	v_mbcnt_lo_u32_b32 v3, -1, 0
	s_clause 0x1
	s_load_b64 s[6:7], s[0:1], 0x0
	s_load_b64 s[16:17], s[0:1], 0x18
	s_delay_alu instid0(VALU_DEP_1) | instskip(SKIP_1) | instid1(VALU_DEP_2)
	v_dual_max_num_f32 v4, v56, v56 :: v_dual_bitop2_b32 v0, 16, v3 bitop3:0x14
	v_xor_b32_e32 v2, 8, v3
	v_cmp_gt_i32_e32 vcc_lo, 32, v0
	v_cndmask_b32_e32 v0, v3, v0, vcc_lo
	s_delay_alu instid0(VALU_DEP_3) | instskip(NEXT) | instid1(VALU_DEP_2)
	v_cmp_gt_i32_e32 vcc_lo, 32, v2
	v_dual_lshlrev_b32 v0, 2, v0 :: v_dual_cndmask_b32 v2, v3, v2, vcc_lo
	ds_bpermute_b32 v1, v0, v56
	s_wait_dscnt 0x0
	v_dual_max_num_f32 v5, v1, v1 :: v_dual_lshlrev_b32 v1, 2, v2
	s_delay_alu instid0(VALU_DEP_1) | instskip(SKIP_4) | instid1(VALU_DEP_1)
	v_dual_max_num_f32 v4, v4, v5 :: v_dual_bitop2_b32 v5, 4, v3 bitop3:0x14
	ds_bpermute_b32 v2, v1, v4
	v_cmp_gt_i32_e32 vcc_lo, 32, v5
	s_wait_dscnt 0x0
	v_dual_cndmask_b32 v5, v3, v5 :: v_dual_max_num_f32 v6, v2, v2
	v_dual_lshlrev_b32 v2, 2, v5 :: v_dual_max_num_f32 v4, v4, v6
	ds_bpermute_b32 v5, v2, v4
	s_wait_dscnt 0x0
	v_dual_max_num_f32 v5, v5, v5 :: v_dual_bitop2_b32 v6, 2, v3 bitop3:0x14
	s_delay_alu instid0(VALU_DEP_1) | instskip(NEXT) | instid1(VALU_DEP_2)
	v_cmp_gt_i32_e32 vcc_lo, 32, v6
	v_dual_max_num_f32 v4, v4, v5 :: v_dual_cndmask_b32 v6, v3, v6, vcc_lo
	s_delay_alu instid0(VALU_DEP_1) | instskip(SKIP_3) | instid1(VALU_DEP_1)
	v_dual_lshlrev_b32 v10, 2, v6 :: v_dual_bitop2_b32 v6, 1, v3 bitop3:0x14
	ds_bpermute_b32 v5, v10, v4
	v_cmp_gt_i32_e32 vcc_lo, 32, v6
	v_cndmask_b32_e32 v3, v3, v6, vcc_lo
	v_lshlrev_b32_e32 v9, 2, v3
	scratch_load_b32 v3, off, off offset:576 ; 4-byte Folded Reload
	s_wait_dscnt 0x0
	v_max_num_f32_e32 v5, v5, v5
	s_delay_alu instid0(VALU_DEP_1)
	v_max_num_f32_e32 v4, v4, v5
	ds_bpermute_b32 v5, v9, v4
	s_wait_loadcnt 0x0
	v_cmp_eq_u32_e32 vcc_lo, 0, v3
	scratch_load_b32 v3, off, off offset:580 ; 4-byte Folded Reload
	s_wait_loadcnt 0x0
	v_lshlrev_b32_e32 v3, 2, v3
	s_wait_xcnt 0x0
	s_and_saveexec_b32 s0, vcc_lo
	s_cbranch_execz .LBB160_10
; %bb.9:
	s_wait_dscnt 0x0
	v_dual_max_num_f32 v5, v5, v5 :: v_dual_max_num_f32 v4, v4, v4
	s_delay_alu instid0(VALU_DEP_1)
	v_max_num_f32_e32 v4, v4, v5
	ds_store_b32 v3, v4 offset:384
.LBB160_10:
	s_or_b32 exec_lo, exec_lo, s0
	scratch_load_b32 v4, off, off offset:576 ; 4-byte Folded Reload
	s_wait_storecnt 0x0
	s_wait_loadcnt_dscnt 0x0
	s_barrier_signal -1
	s_barrier_wait -1
	v_cmp_gt_u32_e64 s0, 4, v4
	v_mov_b32_e32 v4, 0xff7fffff
	s_and_saveexec_b32 s1, s0
; %bb.11:
	ds_load_b32 v4, v29 offset:384
; %bb.12:
	s_or_b32 exec_lo, exec_lo, s1
	s_wait_dscnt 0x0
	ds_bpermute_b32 v5, v10, v4
	v_max_num_f32_e32 v4, v4, v4
	s_lshl_b32 s1, s9, 5
	s_delay_alu instid0(SALU_CYCLE_1) | instskip(NEXT) | instid1(SALU_CYCLE_1)
	s_min_i32 s15, s1, s21
	v_cmp_gt_i32_e64 s1, s15, v22
	s_wait_dscnt 0x0
	v_max_num_f32_e32 v5, v5, v5
	s_delay_alu instid0(VALU_DEP_1) | instskip(SKIP_3) | instid1(VALU_DEP_1)
	v_max_num_f32_e32 v4, v4, v5
	ds_bpermute_b32 v5, v9, v4
	s_wait_dscnt 0x0
	v_max_num_f32_e32 v5, v5, v5
	v_dual_max_num_f32 v5, v4, v5 :: v_dual_mov_b32 v4, 0
	ds_bpermute_b32 v5, v4, v5
	s_and_saveexec_b32 s22, s1
	s_cbranch_execz .LBB160_16
; %bb.13:
	v_lshl_add_u32 v6, v22, 2, 0x1a0
	v_dual_mov_b32 v4, 0 :: v_dual_mov_b32 v7, v22
	s_mov_b32 s23, 0
.LBB160_14:                             ; =>This Inner Loop Header: Depth=1
	ds_load_b32 v8, v6
	v_add_nc_u32_e32 v7, 0x80, v7
	s_delay_alu instid0(VALU_DEP_1) | instskip(SKIP_3) | instid1(VALU_DEP_1)
	v_cmp_le_i32_e64 s3, s15, v7
	s_or_b32 s23, s3, s23
	s_wait_dscnt 0x0
	v_sub_f32_e32 v8, v8, v5
	v_mul_f32_e32 v8, 0x3fb8aa3b, v8
	s_delay_alu instid0(VALU_DEP_1)
	v_exp_f32_e32 v8, v8
	ds_store_b32 v6, v8
	v_nop
	v_add_f32_e32 v4, v4, v8
	v_add_nc_u32_e32 v6, 0x200, v6
	s_and_not1_b32 exec_lo, exec_lo, s23
	s_cbranch_execnz .LBB160_14
; %bb.15:
	s_or_b32 exec_lo, exec_lo, s23
.LBB160_16:
	s_delay_alu instid0(SALU_CYCLE_1)
	s_or_b32 exec_lo, exec_lo, s22
	ds_bpermute_b32 v0, v0, v4
	s_wait_dscnt 0x0
	v_add_f32_e32 v0, v4, v0
	ds_bpermute_b32 v1, v1, v0
	s_wait_dscnt 0x0
	v_add_f32_e32 v0, v0, v1
	;; [unrolled: 3-line block ×5, first 2 shown]
	s_and_saveexec_b32 s3, vcc_lo
; %bb.17:
	ds_store_b32 v3, v0 offset:400
; %bb.18:
	s_or_b32 exec_lo, exec_lo, s3
	s_wait_dscnt 0x0
	s_barrier_signal -1
	s_barrier_wait -1
	s_and_saveexec_b32 s3, s0
; %bb.19:
	ds_load_b32 v0, v29 offset:400
; %bb.20:
	s_or_b32 exec_lo, exec_lo, s3
	s_wait_dscnt 0x0
	ds_bpermute_b32 v1, v10, v0
	s_clause 0x1
	scratch_store_b32 off, v10, off offset:96
	scratch_store_b32 off, v9, off offset:88
	s_wait_dscnt 0x0
	v_dual_mov_b32 v109, 0 :: v_dual_add_f32 v0, v0, v1
	ds_bpermute_b32 v1, v9, v0
	s_wait_dscnt 0x0
	v_add_f32_e32 v0, v0, v1
	ds_bpermute_b32 v0, v109, v0
	s_wait_xcnt 0x0
	s_and_saveexec_b32 s0, s1
	s_cbranch_execz .LBB160_33
; %bb.21:
	s_wait_dscnt 0x0
	v_add_f32_e32 v0, 0x358637bd, v0
	s_mov_b32 s3, -1
	s_mov_b32 s1, exec_lo
	s_delay_alu instid0(VALU_DEP_1) | instskip(NEXT) | instid1(VALU_DEP_1)
	v_div_scale_f32 v1, null, v0, v0, 1.0
	v_rcp_f32_e32 v3, v1
	v_nop
	s_delay_alu instid0(TRANS32_DEP_1) | instskip(NEXT) | instid1(VALU_DEP_1)
	v_fma_f32 v2, -v1, v3, 1.0
	v_fmac_f32_e32 v3, v2, v3
	v_div_scale_f32 v4, vcc_lo, 1.0, v0, 1.0
	s_delay_alu instid0(VALU_DEP_1) | instskip(NEXT) | instid1(VALU_DEP_1)
	v_mul_f32_e32 v5, v4, v3
	v_fma_f32 v2, -v1, v5, v4
	s_delay_alu instid0(VALU_DEP_1) | instskip(SKIP_1) | instid1(VALU_DEP_2)
	v_fmac_f32_e32 v5, v2, v3
	v_xad_u32 v2, v22, -1, s15
	v_fma_f32 v1, -v1, v5, v4
	s_delay_alu instid0(VALU_DEP_1) | instskip(NEXT) | instid1(VALU_DEP_1)
	v_div_fmas_f32 v1, v1, v3, v5
	v_div_fixup_f32 v0, v1, v0, 1.0
	v_mov_b32_e32 v1, v22
	v_cmpx_lt_u32_e32 0x7f, v2
	s_cbranch_execz .LBB160_30
; %bb.22:
	s_delay_alu instid0(VALU_DEP_3) | instskip(NEXT) | instid1(VALU_DEP_1)
	v_dual_mov_b32 v1, v0 :: v_dual_lshrrev_b32 v2, 7, v2
	v_dual_mov_b32 v6, 0 :: v_dual_add_nc_u32 v3, -1, v2
	s_delay_alu instid0(VALU_DEP_1) | instskip(SKIP_1) | instid1(VALU_DEP_2)
	v_lshrrev_b32_e32 v4, 1, v3
	v_cmp_lt_u32_e32 vcc_lo, 13, v3
	v_add_nc_u32_e32 v3, 1, v4
	s_and_saveexec_b32 s3, vcc_lo
	s_cbranch_execz .LBB160_26
; %bb.23:
	s_delay_alu instid0(VALU_DEP_1)
	v_and_b32_e32 v4, -8, v3
	v_lshl_add_u32 v5, v22, 2, 0x1a0
	s_mov_b32 s22, 0
	s_mov_b32 s23, 0
.LBB160_24:                             ; =>This Inner Loop Header: Depth=1
	ds_load_2addr_stride64_b32 v[6:7], v5 offset1:2
	ds_load_2addr_stride64_b32 v[8:9], v5 offset0:4 offset1:6
	ds_load_2addr_stride64_b32 v[10:11], v5 offset0:8 offset1:10
	;; [unrolled: 1-line block ×7, first 2 shown]
	s_add_co_i32 s23, s23, 16
	v_add_nc_u32_e32 v4, -8, v4
	s_wait_dscnt 0x7
	v_pk_mul_f32 v[6:7], v[0:1], v[6:7]
	s_wait_dscnt 0x6
	v_pk_mul_f32 v[8:9], v[0:1], v[8:9]
	;; [unrolled: 2-line block ×8, first 2 shown]
	ds_store_2addr_stride64_b32 v5, v6, v7 offset1:2
	ds_store_2addr_stride64_b32 v5, v8, v9 offset0:4 offset1:6
	ds_store_2addr_stride64_b32 v5, v10, v11 offset0:8 offset1:10
	;; [unrolled: 1-line block ×7, first 2 shown]
	v_mov_b32_e32 v6, s23
	v_cmp_eq_u32_e32 vcc_lo, 0, v4
	v_add_nc_u32_e32 v5, 0x2000, v5
	s_or_b32 s22, vcc_lo, s22
	s_delay_alu instid0(SALU_CYCLE_1)
	s_and_not1_b32 exec_lo, exec_lo, s22
	s_cbranch_execnz .LBB160_24
; %bb.25:
	s_or_b32 exec_lo, exec_lo, s22
.LBB160_26:
	s_delay_alu instid0(SALU_CYCLE_1) | instskip(NEXT) | instid1(VALU_DEP_1)
	s_or_b32 exec_lo, exec_lo, s3
	v_and_b32_e32 v3, 7, v3
	s_mov_b32 s22, 0
	s_mov_b32 s3, exec_lo
	s_delay_alu instid0(VALU_DEP_1)
	v_cmpx_ne_u32_e32 0, v3
	s_cbranch_execz .LBB160_29
; %bb.27:
	v_lshlrev_b32_e32 v4, 9, v6
	v_lshlrev_b32_e32 v5, 2, v22
	s_delay_alu instid0(VALU_DEP_1)
	v_add3_u32 v4, v4, v5, 0x1a0
.LBB160_28:                             ; =>This Inner Loop Header: Depth=1
	ds_load_2addr_stride64_b32 v[6:7], v4 offset1:2
	v_add_nc_u32_e32 v3, -1, v3
	s_delay_alu instid0(VALU_DEP_1)
	v_cmp_eq_u32_e32 vcc_lo, 0, v3
	s_or_b32 s22, vcc_lo, s22
	s_wait_dscnt 0x0
	v_pk_mul_f32 v[6:7], v[0:1], v[6:7]
	ds_store_2addr_stride64_b32 v4, v6, v7 offset1:2
	v_add_nc_u32_e32 v4, 0x400, v4
	s_and_not1_b32 exec_lo, exec_lo, s22
	s_cbranch_execnz .LBB160_28
.LBB160_29:
	s_or_b32 exec_lo, exec_lo, s3
	v_add_nc_u32_e32 v1, 1, v2
	s_delay_alu instid0(VALU_DEP_1) | instskip(NEXT) | instid1(VALU_DEP_1)
	v_and_b32_e32 v2, 0x3fffffe, v1
	v_cmp_ne_u32_e32 vcc_lo, v1, v2
	v_lshl_add_u32 v1, v2, 7, v22
	s_or_not1_b32 s3, vcc_lo, exec_lo
.LBB160_30:
	s_or_b32 exec_lo, exec_lo, s1
	s_delay_alu instid0(SALU_CYCLE_1)
	s_and_b32 exec_lo, exec_lo, s3
	s_cbranch_execz .LBB160_33
; %bb.31:
	v_lshl_add_u32 v2, v1, 2, 0x1a0
	s_mov_b32 s1, 0
.LBB160_32:                             ; =>This Inner Loop Header: Depth=1
	ds_load_b32 v3, v2
	v_add_nc_u32_e32 v1, 0x80, v1
	s_delay_alu instid0(VALU_DEP_1)
	v_cmp_le_i32_e32 vcc_lo, s15, v1
	s_or_b32 s1, vcc_lo, s1
	s_wait_dscnt 0x0
	v_mul_f32_e32 v3, v0, v3
	ds_store_b32 v2, v3
	v_add_nc_u32_e32 v2, 0x200, v2
	s_and_not1_b32 exec_lo, exec_lo, s1
	s_cbranch_execnz .LBB160_32
.LBB160_33:
	s_or_b32 exec_lo, exec_lo, s0
	s_wait_dscnt 0x0
	v_dual_mov_b32 v108, 0 :: v_dual_bitop2_b32 v0, 3, v22 bitop3:0x40
	v_dual_mov_b32 v113, 0 :: v_dual_mov_b32 v112, 0
	v_dual_mov_b32 v115, 0 :: v_dual_mov_b32 v114, 0
	;; [unrolled: 1-line block ×11, first 2 shown]
	scratch_store_b32 off, v0, off offset:80 ; 4-byte Folded Spill
	s_wait_storecnt 0x0
	s_barrier_signal -1
	s_barrier_wait -1
	s_wait_xcnt 0x0
	s_and_saveexec_b32 s22, s2
	s_cbranch_execz .LBB160_85
; %bb.34:
	s_ashr_i32 s15, s14, 31
	v_and_b32_e32 v108, 0x1f0, v23
	v_mov_b32_e32 v109, 0
	s_lshl_b64 s[0:1], s[14:15], 1
	s_clause 0x1
	scratch_load_b32 v0, off, off offset:584
	scratch_load_b32 v1, off, off offset:80
	s_wait_kmcnt 0x0
	s_add_nc_u64 s[0:1], s[16:17], s[0:1]
	s_ashr_i32 s15, s5, 31
	v_add_nc_u64_e32 v[2:3], s[0:1], v[108:109]
	v_and_b32_e32 v108, 0x7c, v28
	s_lshl_b64 s[0:1], s[12:13], 2
	s_mov_b32 s14, s5
	s_add_nc_u64 s[0:1], s[10:11], s[0:1]
	s_add_co_i32 s5, s9, -1
	s_mov_b32 s11, s21
	s_clause 0x1
	scratch_store_b64 off, v[2:3], off offset:72
	scratch_load_b32 v2, off, off offset:580
	s_mov_b32 s10, 0
	s_wait_loadcnt 0x1
	v_dual_lshlrev_b32 v0, 3, v0 :: v_dual_lshlrev_b32 v1, 5, v1
	s_delay_alu instid0(VALU_DEP_1)
	v_dual_mov_b32 v7, v109 :: v_dual_bitop2_b32 v0, 24, v0 bitop3:0x40
	v_mov_b32_e32 v6, v109
	v_add_nc_u64_e32 v[4:5], s[0:1], v[108:109]
	v_dual_mov_b32 v113, v109 :: v_dual_mov_b32 v112, v109
	v_dual_mov_b32 v115, v109 :: v_dual_mov_b32 v114, v109
	s_wait_loadcnt 0x0
	v_lshl_or_b32 v1, v2, 7, v1
	v_lshl_or_b32 v0, v2, 5, v0
	v_mov_b32_e32 v108, v109
	s_clause 0x1
	scratch_store_b64 off, v[6:7], off
	scratch_store_b64 off, v[6:7], off offset:8
	v_dual_mov_b32 v117, v109 :: v_dual_mov_b32 v116, v109
	v_add_nc_u32_e32 v1, 0x1a0, v1
	v_dual_mov_b32 v119, v109 :: v_dual_mov_b32 v118, v109
	v_dual_mov_b32 v121, v109 :: v_dual_mov_b32 v120, v109
	;; [unrolled: 1-line block ×6, first 2 shown]
	s_wait_xcnt 0x0
	v_mov_b32_e32 v6, v2
	s_branch .LBB160_36
.LBB160_35:                             ;   in Loop: Header=BB160_36 Depth=1
	s_or_b32 exec_lo, exec_lo, s12
	s_clause 0x1
	scratch_load_b128 v[42:45], off, off offset:56 th:TH_LOAD_LU
	scratch_load_b128 v[108:111], off, off offset:40 th:TH_LOAD_LU
	v_add_nc_u32_e32 v0, 0x80, v0
	s_wait_loadcnt 0x1
	v_cvt_pk_bf16_f32 v42, v42, v43
	v_cvt_pk_bf16_f32 v1, v44, v45
	s_wait_loadcnt 0x0
	v_cvt_pk_bf16_f32 v40, v108, v109
	v_cvt_pk_bf16_f32 v41, v110, v111
	v_mov_b64_e32 v[108:109], v[38:39]
	v_pk_mul_bf16 v43, v42, v102
	v_pk_mul_bf16 v44, v1, v103
	v_pk_mul_bf16 v45, v40, v104
	v_pk_mul_bf16 v99, v1, v99
	v_pk_mul_bf16 v102, v41, v105
	v_lshlrev_b32_e32 v103, 16, v43
	v_and_b32_e32 v43, 0xffff0000, v43
	v_pk_mul_bf16 v98, v42, v98
	v_pk_mul_bf16 v100, v40, v100
	;; [unrolled: 1-line block ×4, first 2 shown]
	v_dual_add_f32 v43, v103, v43 :: v_dual_lshlrev_b32 v103, 16, v44
	v_and_b32_e32 v44, 0xffff0000, v44
	v_pk_mul_bf16 v95, v1, v95
	v_pk_mul_bf16 v96, v40, v96
	;; [unrolled: 1-line block ×4, first 2 shown]
	v_add_f32_e32 v44, v103, v44
	v_pk_mul_bf16 v84, v40, v84
	v_pk_mul_bf16 v79, v1, v79
	;; [unrolled: 1-line block ×4, first 2 shown]
	v_dual_add_f32 v43, v44, v43 :: v_dual_lshlrev_b32 v44, 16, v45
	v_and_b32_e32 v45, 0xffff0000, v45
	v_pk_mul_bf16 v75, v1, v75
	v_pk_mul_bf16 v76, v40, v76
	;; [unrolled: 1-line block ×4, first 2 shown]
	v_add_f32_e32 v44, v44, v45
	v_and_b32_e32 v45, 0xffff0000, v98
	v_pk_mul_bf16 v72, v40, v72
	v_pk_mul_bf16 v66, v42, v66
	;; [unrolled: 1-line block ×3, first 2 shown]
	v_dual_add_f32 v43, v44, v43 :: v_dual_lshlrev_b32 v44, 16, v98
	v_and_b32_e32 v98, 0xffff0000, v99
	v_pk_mul_bf16 v68, v40, v68
	v_pk_mul_bf16 v73, v41, v73
	;; [unrolled: 1-line block ×3, first 2 shown]
	v_dual_add_f32 v44, v44, v45 :: v_dual_lshlrev_b32 v45, 16, v99
	v_and_b32_e32 v99, 0xffff0000, v102
	v_pk_mul_bf16 v62, v42, v62
	v_pk_mul_bf16 v64, v40, v64
	;; [unrolled: 1-line block ×3, first 2 shown]
	v_add_f32_e32 v45, v45, v98
	v_lshlrev_b32_e32 v98, 16, v102
	v_pk_mul_bf16 v59, v1, v59
	v_pk_mul_bf16 v60, v40, v60
	;; [unrolled: 1-line block ×4, first 2 shown]
	v_add_f32_e32 v98, v98, v99
	v_and_b32_e32 v99, 0xffff0000, v100
	v_add_f32_e32 v44, v45, v44
	v_lshlrev_b32_e32 v45, 16, v100
	v_pk_mul_bf16 v56, v40, v56
	v_add_f32_e32 v43, v98, v43
	v_and_b32_e32 v98, 0xffff0000, v101
	v_pk_mul_bf16 v51, v1, v51
	v_add_f32_e32 v45, v45, v99
	v_pk_mul_bf16 v52, v40, v52
	v_add_f32_e32 v108, v108, v43
	v_pk_mul_bf16 v46, v42, v46
	v_pk_mul_bf16 v47, v1, v47
	v_dual_add_f32 v44, v45, v44 :: v_dual_lshlrev_b32 v45, 16, v101
	v_pk_mul_bf16 v48, v40, v48
	v_pk_mul_bf16 v49, v41, v49
	;; [unrolled: 1-line block ×4, first 2 shown]
	v_add_f32_e32 v45, v45, v98
	v_lshlrev_b32_e32 v98, 16, v94
	v_and_b32_e32 v94, 0xffff0000, v94
	v_pk_mul_bf16 v36, v40, v36
	v_pk_mul_bf16 v30, v42, v30
	;; [unrolled: 1-line block ×4, first 2 shown]
	v_dual_add_f32 v94, v98, v94 :: v_dual_lshlrev_b32 v98, 16, v95
	v_and_b32_e32 v95, 0xffff0000, v95
	v_pk_mul_bf16 v37, v41, v37
	v_pk_mul_bf16 v33, v41, v33
	;; [unrolled: 1-line block ×4, first 2 shown]
	v_dual_add_f32 v95, v98, v95 :: v_dual_add_f32 v43, v45, v44
	v_pk_mul_bf16 v45, v42, v90
	v_pk_mul_bf16 v90, v1, v91
	;; [unrolled: 1-line block ×3, first 2 shown]
	s_delay_alu instid0(VALU_DEP_4)
	v_add_f32_e32 v44, v95, v94
	v_pk_mul_bf16 v92, v41, v93
	v_dual_lshlrev_b32 v93, 16, v96 :: v_dual_lshlrev_b32 v95, 16, v45
	v_and_b32_e32 v94, 0xffff0000, v96
	v_and_b32_e32 v45, 0xffff0000, v45
	v_lshlrev_b32_e32 v96, 16, v90
	v_and_b32_e32 v90, 0xffff0000, v90
	v_pk_mul_bf16 v28, v40, v28
	s_delay_alu instid0(VALU_DEP_4)
	v_dual_add_f32 v93, v93, v94 :: v_dual_add_f32 v45, v95, v45
	v_lshlrev_b32_e32 v94, 16, v97
	v_and_b32_e32 v97, 0xffff0000, v97
	v_dual_add_f32 v90, v96, v90 :: v_dual_lshlrev_b32 v95, 16, v91
	v_and_b32_e32 v91, 0xffff0000, v91
	v_add_f32_e32 v113, v113, v43
	s_delay_alu instid0(VALU_DEP_3) | instskip(NEXT) | instid1(VALU_DEP_3)
	v_dual_add_f32 v43, v93, v44 :: v_dual_add_f32 v45, v90, v45
	v_dual_add_f32 v44, v94, v97 :: v_dual_add_f32 v90, v95, v91
	v_lshlrev_b32_e32 v91, 16, v92
	v_and_b32_e32 v92, 0xffff0000, v92
	v_pk_mul_bf16 v22, v42, v22
	s_delay_alu instid0(VALU_DEP_4) | instskip(SKIP_1) | instid1(VALU_DEP_4)
	v_dual_add_f32 v43, v44, v43 :: v_dual_add_f32 v45, v90, v45
	v_pk_mul_bf16 v44, v1, v83
	v_dual_add_f32 v83, v91, v92 :: v_dual_lshlrev_b32 v90, 16, v82
	v_and_b32_e32 v82, 0xffff0000, v82
	s_delay_alu instid0(VALU_DEP_3) | instskip(SKIP_1) | instid1(VALU_DEP_3)
	v_dual_add_f32 v112, v112, v43 :: v_dual_lshlrev_b32 v91, 16, v44
	v_and_b32_e32 v44, 0xffff0000, v44
	v_dual_add_f32 v43, v83, v45 :: v_dual_add_f32 v45, v90, v82
	v_lshlrev_b32_e32 v82, 16, v84
	v_and_b32_e32 v83, 0xffff0000, v84
	v_lshlrev_b32_e32 v84, 16, v79
	s_delay_alu instid0(VALU_DEP_4)
	v_add_f32_e32 v115, v115, v43
	v_add_f32_e32 v44, v91, v44
	v_pk_mul_bf16 v43, v41, v85
	v_and_b32_e32 v79, 0xffff0000, v79
	v_pk_mul_bf16 v23, v1, v23
	v_pk_mul_bf16 v29, v41, v29
	v_add_f32_e32 v44, v44, v45
	v_pk_mul_bf16 v45, v42, v78
	v_add_f32_e32 v78, v82, v83
	v_lshlrev_b32_e32 v82, 16, v43
	v_and_b32_e32 v43, 0xffff0000, v43
	v_pk_mul_bf16 v24, v40, v24
	v_lshlrev_b32_e32 v83, 16, v45
	v_and_b32_e32 v45, 0xffff0000, v45
	v_add_f32_e32 v44, v78, v44
	v_add_f32_e32 v43, v82, v43
	v_pk_mul_bf16 v25, v41, v25
	v_pk_mul_bf16 v18, v42, v18
	v_dual_add_f32 v45, v83, v45 :: v_dual_add_f32 v78, v84, v79
	v_lshlrev_b32_e32 v79, 16, v80
	v_and_b32_e32 v80, 0xffff0000, v80
	v_add_f32_e32 v43, v43, v44
	v_pk_mul_bf16 v44, v41, v81
	v_add_f32_e32 v45, v78, v45
	v_pk_mul_bf16 v19, v1, v19
	v_dual_add_f32 v78, v79, v80 :: v_dual_lshlrev_b32 v80, 16, v74
	s_delay_alu instid0(VALU_DEP_4) | instskip(SKIP_2) | instid1(VALU_DEP_4)
	v_lshlrev_b32_e32 v79, 16, v44
	v_and_b32_e32 v44, 0xffff0000, v44
	v_and_b32_e32 v74, 0xffff0000, v74
	v_dual_lshlrev_b32 v81, 16, v75 :: v_dual_add_f32 v45, v78, v45
	v_and_b32_e32 v75, 0xffff0000, v75
	s_delay_alu instid0(VALU_DEP_3) | instskip(SKIP_2) | instid1(VALU_DEP_4)
	v_dual_add_f32 v44, v79, v44 :: v_dual_add_f32 v74, v80, v74
	v_lshlrev_b32_e32 v78, 16, v76
	v_and_b32_e32 v76, 0xffff0000, v76
	v_add_f32_e32 v75, v81, v75
	s_delay_alu instid0(VALU_DEP_4) | instskip(SKIP_1) | instid1(VALU_DEP_3)
	v_dual_add_f32 v114, v114, v43 :: v_dual_add_f32 v43, v44, v45
	v_pk_mul_bf16 v20, v40, v20
	v_dual_add_f32 v45, v78, v76 :: v_dual_add_f32 v44, v75, v74
	v_lshlrev_b32_e32 v74, 16, v77
	v_and_b32_e32 v75, 0xffff0000, v77
	scratch_load_b64 v[76:77], off, off th:TH_LOAD_LU ; 8-byte Folded Reload
	v_pk_mul_bf16 v21, v41, v21
	v_pk_mul_bf16 v14, v42, v14
	;; [unrolled: 1-line block ×15, first 2 shown]
	s_wait_loadcnt 0x0
	v_add_f32_e32 v77, v77, v43
	v_pk_mul_bf16 v43, v1, v71
	v_dual_add_f32 v44, v45, v44 :: v_dual_add_f32 v45, v74, v75
	v_lshlrev_b32_e32 v71, 16, v70
	v_and_b32_e32 v70, 0xffff0000, v70
	s_delay_alu instid0(VALU_DEP_4) | instskip(SKIP_1) | instid1(VALU_DEP_3)
	v_lshlrev_b32_e32 v74, 16, v43
	v_and_b32_e32 v43, 0xffff0000, v43
	v_dual_add_f32 v70, v71, v70 :: v_dual_lshlrev_b32 v71, 16, v72
	s_delay_alu instid0(VALU_DEP_2) | instskip(SKIP_3) | instid1(VALU_DEP_4)
	v_add_f32_e32 v43, v74, v43
	v_and_b32_e32 v72, 0xffff0000, v72
	v_lshlrev_b32_e32 v74, 16, v66
	v_and_b32_e32 v66, 0xffff0000, v66
	v_dual_lshlrev_b32 v75, 16, v67 :: v_dual_add_f32 v43, v43, v70
	v_and_b32_e32 v67, 0xffff0000, v67
	s_delay_alu instid0(VALU_DEP_3) | instskip(SKIP_2) | instid1(VALU_DEP_4)
	v_dual_add_f32 v70, v71, v72 :: v_dual_add_f32 v66, v74, v66
	v_lshlrev_b32_e32 v71, 16, v68
	v_and_b32_e32 v68, 0xffff0000, v68
	v_dual_add_f32 v67, v75, v67 :: v_dual_lshlrev_b32 v72, 16, v73
	v_and_b32_e32 v73, 0xffff0000, v73
	v_dual_add_f32 v44, v45, v44 :: v_dual_add_f32 v43, v70, v43
	s_delay_alu instid0(VALU_DEP_3) | instskip(SKIP_2) | instid1(VALU_DEP_2)
	v_add_f32_e32 v66, v67, v66
	v_dual_add_f32 v67, v71, v68 :: v_dual_lshlrev_b32 v68, 16, v69
	v_and_b32_e32 v69, 0xffff0000, v69
	v_dual_add_f32 v45, v72, v73 :: v_dual_add_f32 v66, v67, v66
	s_delay_alu instid0(VALU_DEP_1)
	v_dual_add_f32 v67, v68, v69 :: v_dual_add_f32 v43, v45, v43
	scratch_load_b64 v[68:69], off, off offset:8 th:TH_LOAD_LU ; 8-byte Folded Reload
	v_add_f32_e32 v76, v76, v44
	v_pk_mul_bf16 v44, v1, v63
	v_add_f32_e32 v45, v67, v66
	v_lshlrev_b32_e32 v63, 16, v62
	v_and_b32_e32 v62, 0xffff0000, v62
	s_delay_alu instid0(VALU_DEP_4) | instskip(SKIP_2) | instid1(VALU_DEP_1)
	v_lshlrev_b32_e32 v66, 16, v44
	v_and_b32_e32 v44, 0xffff0000, v44
	s_wait_loadcnt 0x0
	v_dual_add_f32 v44, v66, v44 :: v_dual_add_f32 v69, v69, v43
	v_dual_add_f32 v68, v68, v45 :: v_dual_add_f32 v43, v63, v62
	v_lshlrev_b32_e32 v45, 16, v64
	v_and_b32_e32 v62, 0xffff0000, v64
	v_pk_mul_bf16 v63, v41, v65
	s_clause 0x1
	scratch_store_b64 off, v[76:77], off
	scratch_store_b64 off, v[68:69], off offset:8
	v_dual_add_f32 v43, v44, v43 :: v_dual_add_f32 v44, v45, v62
	v_dual_lshlrev_b32 v62, 16, v59 :: v_dual_lshlrev_b32 v45, 16, v58
	v_lshlrev_b32_e32 v64, 16, v63
	v_and_b32_e32 v58, 0xffff0000, v58
	v_and_b32_e32 v59, 0xffff0000, v59
	;; [unrolled: 1-line block ×3, first 2 shown]
	s_delay_alu instid0(VALU_DEP_3) | instskip(NEXT) | instid1(VALU_DEP_3)
	v_dual_add_f32 v43, v44, v43 :: v_dual_add_f32 v45, v45, v58
	v_dual_add_f32 v58, v62, v59 :: v_dual_lshlrev_b32 v59, 16, v60
	v_and_b32_e32 v60, 0xffff0000, v60
	s_delay_alu instid0(VALU_DEP_2) | instskip(NEXT) | instid1(VALU_DEP_2)
	v_dual_add_f32 v44, v64, v63 :: v_dual_add_f32 v45, v58, v45
	v_dual_add_f32 v58, v59, v60 :: v_dual_lshlrev_b32 v59, 16, v61
	v_and_b32_e32 v60, 0xffff0000, v61
	s_delay_alu instid0(VALU_DEP_3) | instskip(SKIP_1) | instid1(VALU_DEP_4)
	v_add_f32_e32 v43, v44, v43
	v_pk_mul_bf16 v44, v1, v55
	v_dual_add_f32 v45, v58, v45 :: v_dual_lshlrev_b32 v58, 16, v54
	s_delay_alu instid0(VALU_DEP_4) | instskip(SKIP_1) | instid1(VALU_DEP_4)
	v_add_f32_e32 v55, v59, v60
	v_and_b32_e32 v54, 0xffff0000, v54
	v_dual_lshlrev_b32 v59, 16, v44 :: v_dual_add_f32 v117, v117, v43
	v_and_b32_e32 v44, 0xffff0000, v44
	s_delay_alu instid0(VALU_DEP_3) | instskip(SKIP_2) | instid1(VALU_DEP_3)
	v_dual_add_f32 v43, v55, v45 :: v_dual_add_f32 v45, v58, v54
	v_and_b32_e32 v55, 0xffff0000, v56
	v_pk_mul_bf16 v1, v1, v87
	v_dual_add_f32 v44, v59, v44 :: v_dual_add_f32 v116, v116, v43
	v_lshlrev_b32_e32 v54, 16, v56
	v_pk_mul_bf16 v43, v41, v57
	s_delay_alu instid0(VALU_DEP_3) | instskip(SKIP_1) | instid1(VALU_DEP_1)
	v_add_f32_e32 v44, v44, v45
	v_pk_mul_bf16 v45, v42, v50
	v_dual_add_f32 v50, v54, v55 :: v_dual_lshlrev_b32 v55, 16, v45
	s_delay_alu instid0(VALU_DEP_1) | instskip(SKIP_4) | instid1(VALU_DEP_3)
	v_dual_lshlrev_b32 v54, 16, v43 :: v_dual_add_f32 v44, v50, v44
	v_and_b32_e32 v43, 0xffff0000, v43
	v_and_b32_e32 v45, 0xffff0000, v45
	v_lshlrev_b32_e32 v56, 16, v51
	v_and_b32_e32 v51, 0xffff0000, v51
	v_dual_add_f32 v43, v54, v43 :: v_dual_add_f32 v45, v55, v45
	s_delay_alu instid0(VALU_DEP_2) | instskip(SKIP_1) | instid1(VALU_DEP_3)
	v_dual_add_f32 v50, v56, v51 :: v_dual_lshlrev_b32 v51, 16, v52
	v_and_b32_e32 v52, 0xffff0000, v52
	v_add_f32_e32 v43, v43, v44
	v_pk_mul_bf16 v44, v41, v53
	s_delay_alu instid0(VALU_DEP_3) | instskip(NEXT) | instid1(VALU_DEP_2)
	v_dual_add_f32 v45, v50, v45 :: v_dual_add_f32 v50, v51, v52
	v_dual_lshlrev_b32 v52, 16, v46 :: v_dual_lshlrev_b32 v51, 16, v44
	v_and_b32_e32 v44, 0xffff0000, v44
	v_and_b32_e32 v46, 0xffff0000, v46
	s_delay_alu instid0(VALU_DEP_4) | instskip(SKIP_1) | instid1(VALU_DEP_3)
	v_dual_lshlrev_b32 v53, 16, v47 :: v_dual_add_f32 v45, v50, v45
	v_and_b32_e32 v47, 0xffff0000, v47
	v_dual_add_f32 v44, v51, v44 :: v_dual_add_f32 v46, v52, v46
	v_lshlrev_b32_e32 v50, 16, v48
	v_and_b32_e32 v48, 0xffff0000, v48
	s_delay_alu instid0(VALU_DEP_4) | instskip(NEXT) | instid1(VALU_DEP_4)
	v_add_f32_e32 v47, v53, v47
	v_dual_add_f32 v119, v119, v43 :: v_dual_add_f32 v43, v44, v45
	s_delay_alu instid0(VALU_DEP_2) | instskip(NEXT) | instid1(VALU_DEP_2)
	v_dual_add_f32 v45, v50, v48 :: v_dual_add_f32 v44, v47, v46
	v_dual_lshlrev_b32 v46, 16, v49 :: v_dual_add_f32 v118, v118, v43
	v_and_b32_e32 v47, 0xffff0000, v49
	s_delay_alu instid0(VALU_DEP_3) | instskip(SKIP_1) | instid1(VALU_DEP_3)
	v_dual_add_f32 v43, v45, v44 :: v_dual_lshlrev_b32 v45, 16, v34
	v_and_b32_e32 v34, 0xffff0000, v34
	v_add_f32_e32 v44, v46, v47
	v_lshlrev_b32_e32 v46, 16, v35
	v_and_b32_e32 v35, 0xffff0000, v35
	s_delay_alu instid0(VALU_DEP_4) | instskip(SKIP_1) | instid1(VALU_DEP_3)
	v_dual_add_f32 v34, v45, v34 :: v_dual_lshlrev_b32 v45, 16, v36
	v_and_b32_e32 v36, 0xffff0000, v36
	v_dual_add_f32 v35, v46, v35 :: v_dual_lshlrev_b32 v46, 16, v30
	v_and_b32_e32 v30, 0xffff0000, v30
	v_lshlrev_b32_e32 v47, 16, v31
	v_and_b32_e32 v31, 0xffff0000, v31
	s_delay_alu instid0(VALU_DEP_4) | instskip(NEXT) | instid1(VALU_DEP_4)
	v_dual_add_f32 v34, v35, v34 :: v_dual_add_f32 v35, v45, v36
	v_dual_add_f32 v30, v46, v30 :: v_dual_lshlrev_b32 v36, 16, v32
	s_delay_alu instid0(VALU_DEP_3) | instskip(SKIP_4) | instid1(VALU_DEP_4)
	v_add_f32_e32 v31, v47, v31
	v_and_b32_e32 v32, 0xffff0000, v32
	v_lshlrev_b32_e32 v45, 16, v37
	v_and_b32_e32 v37, 0xffff0000, v37
	v_add_f32_e32 v34, v35, v34
	v_dual_add_f32 v30, v31, v30 :: v_dual_add_f32 v31, v36, v32
	v_lshlrev_b32_e32 v32, 16, v33
	v_and_b32_e32 v33, 0xffff0000, v33
	v_dual_add_f32 v36, v44, v43 :: v_dual_add_f32 v35, v45, v37
	s_delay_alu instid0(VALU_DEP_2) | instskip(NEXT) | instid1(VALU_DEP_2)
	v_dual_add_f32 v30, v31, v30 :: v_dual_add_f32 v31, v32, v33
	v_dual_add_f32 v121, v121, v36 :: v_dual_add_f32 v32, v35, v34
	v_lshlrev_b32_e32 v33, 16, v27
	v_and_b32_e32 v27, 0xffff0000, v27
	s_delay_alu instid0(VALU_DEP_4) | instskip(SKIP_2) | instid1(VALU_DEP_4)
	v_add_f32_e32 v30, v31, v30
	v_lshlrev_b32_e32 v31, 16, v26
	v_and_b32_e32 v26, 0xffff0000, v26
	v_dual_add_f32 v120, v120, v32 :: v_dual_add_f32 v27, v33, v27
	s_delay_alu instid0(VALU_DEP_4) | instskip(SKIP_1) | instid1(VALU_DEP_4)
	v_dual_add_f32 v123, v123, v30 :: v_dual_lshlrev_b32 v30, 16, v28
	v_and_b32_e32 v28, 0xffff0000, v28
	v_dual_add_f32 v26, v31, v26 :: v_dual_lshlrev_b32 v31, 16, v29
	v_and_b32_e32 v29, 0xffff0000, v29
	s_delay_alu instid0(VALU_DEP_2)
	v_dual_add_f32 v26, v27, v26 :: v_dual_add_f32 v27, v30, v28
	v_lshlrev_b32_e32 v28, 16, v22
	v_and_b32_e32 v22, 0xffff0000, v22
	v_lshlrev_b32_e32 v30, 16, v23
	v_and_b32_e32 v23, 0xffff0000, v23
	v_add_f32_e32 v26, v27, v26
	s_delay_alu instid0(VALU_DEP_4) | instskip(NEXT) | instid1(VALU_DEP_3)
	v_dual_add_f32 v22, v28, v22 :: v_dual_lshlrev_b32 v28, 16, v24
	v_add_f32_e32 v23, v30, v23
	v_and_b32_e32 v24, 0xffff0000, v24
	v_add_f32_e32 v27, v31, v29
	s_delay_alu instid0(VALU_DEP_2) | instskip(SKIP_2) | instid1(VALU_DEP_4)
	v_dual_add_f32 v22, v23, v22 :: v_dual_add_f32 v23, v28, v24
	v_lshlrev_b32_e32 v24, 16, v25
	v_and_b32_e32 v25, 0xffff0000, v25
	v_add_f32_e32 v26, v27, v26
	s_delay_alu instid0(VALU_DEP_2)
	v_dual_add_f32 v22, v23, v22 :: v_dual_add_f32 v23, v24, v25
	v_lshlrev_b32_e32 v25, 16, v19
	v_and_b32_e32 v19, 0xffff0000, v19
	v_lshlrev_b32_e32 v24, 16, v18
	v_and_b32_e32 v18, 0xffff0000, v18
	v_add_f32_e32 v122, v122, v26
	s_delay_alu instid0(VALU_DEP_4) | instskip(NEXT) | instid1(VALU_DEP_3)
	v_dual_add_f32 v22, v23, v22 :: v_dual_add_f32 v19, v25, v19
	v_dual_add_f32 v18, v24, v18 :: v_dual_lshlrev_b32 v23, 16, v20
	v_and_b32_e32 v20, 0xffff0000, v20
	s_delay_alu instid0(VALU_DEP_2) | instskip(NEXT) | instid1(VALU_DEP_2)
	v_add_f32_e32 v18, v19, v18
	v_dual_add_f32 v19, v23, v20 :: v_dual_add_f32 v125, v125, v22
	v_dual_lshlrev_b32 v23, 16, v15 :: v_dual_lshlrev_b32 v20, 16, v21
	v_and_b32_e32 v21, 0xffff0000, v21
	v_and_b32_e32 v15, 0xffff0000, v15
	v_lshlrev_b32_e32 v22, 16, v14
	v_and_b32_e32 v14, 0xffff0000, v14
	s_delay_alu instid0(VALU_DEP_4) | instskip(NEXT) | instid1(VALU_DEP_4)
	v_dual_add_f32 v18, v19, v18 :: v_dual_add_f32 v19, v20, v21
	v_dual_add_f32 v15, v23, v15 :: v_dual_lshlrev_b32 v20, 16, v16
	v_and_b32_e32 v16, 0xffff0000, v16
	s_delay_alu instid0(VALU_DEP_4) | instskip(SKIP_2) | instid1(VALU_DEP_3)
	v_dual_add_f32 v14, v22, v14 :: v_dual_lshlrev_b32 v21, 16, v17
	v_and_b32_e32 v17, 0xffff0000, v17
	v_add_f32_e32 v18, v19, v18
	v_dual_add_f32 v14, v15, v14 :: v_dual_add_f32 v15, v20, v16
	v_lshlrev_b32_e32 v16, 16, v10
	v_and_b32_e32 v10, 0xffff0000, v10
	v_lshlrev_b32_e32 v20, 16, v11
	v_and_b32_e32 v11, 0xffff0000, v11
	v_dual_add_f32 v14, v15, v14 :: v_dual_add_f32 v15, v21, v17
	s_delay_alu instid0(VALU_DEP_4) | instskip(NEXT) | instid1(VALU_DEP_3)
	v_dual_add_f32 v10, v16, v10 :: v_dual_lshlrev_b32 v16, 16, v12
	v_add_f32_e32 v11, v20, v11
	v_and_b32_e32 v12, 0xffff0000, v12
	v_pk_mul_bf16 v17, v41, v5
	v_and_b32_e32 v20, 0xffff0000, v4
	s_delay_alu instid0(VALU_DEP_3)
	v_dual_add_f32 v10, v11, v10 :: v_dual_add_f32 v11, v16, v12
	v_pk_mul_bf16 v12, v41, v13
	v_dual_add_f32 v13, v15, v14 :: v_dual_lshlrev_b32 v15, 16, v7
	v_and_b32_e32 v7, 0xffff0000, v7
	v_lshlrev_b32_e32 v14, 16, v6
	v_and_b32_e32 v6, 0xffff0000, v6
	v_add_f32_e32 v124, v124, v18
	v_add_f32_e32 v10, v11, v10
	v_add_f32_e32 v7, v15, v7
	s_delay_alu instid0(VALU_DEP_4)
	v_dual_add_f32 v6, v14, v6 :: v_dual_lshlrev_b32 v15, 16, v3
	v_lshlrev_b32_e32 v14, 16, v2
	v_and_b32_e32 v2, 0xffff0000, v2
	v_and_b32_e32 v3, 0xffff0000, v3
	v_lshlrev_b32_e32 v11, 16, v12
	v_and_b32_e32 v12, 0xffff0000, v12
	s_delay_alu instid0(VALU_DEP_4) | instskip(NEXT) | instid1(VALU_DEP_4)
	v_dual_add_f32 v127, v127, v13 :: v_dual_add_f32 v2, v14, v2
	v_dual_add_f32 v3, v15, v3 :: v_dual_lshlrev_b32 v14, 16, v9
	s_delay_alu instid0(VALU_DEP_3) | instskip(SKIP_2) | instid1(VALU_DEP_4)
	v_add_f32_e32 v11, v11, v12
	v_lshlrev_b32_e32 v12, 16, v8
	v_and_b32_e32 v8, 0xffff0000, v8
	v_add_f32_e32 v18, v3, v2
	v_pk_mul_bf16 v2, v42, v86
	v_dual_add_f32 v16, v7, v6 :: v_dual_lshlrev_b32 v19, 16, v4
	s_delay_alu instid0(VALU_DEP_4)
	v_add_f32_e32 v12, v12, v8
	v_pk_mul_bf16 v6, v40, v88
	v_pk_mul_bf16 v8, v41, v89
	v_and_b32_e32 v3, 0xffff0000, v2
	v_lshlrev_b32_e32 v5, 16, v2
	v_and_b32_e32 v2, 0xffff0000, v1
	v_lshlrev_b32_e32 v4, 16, v1
	v_and_b32_e32 v15, 0xffff0000, v9
	v_and_b32_e32 v7, 0xffff0000, v6
	v_lshlrev_b32_e32 v9, 16, v6
	v_and_b32_e32 v6, 0xffff0000, v8
	v_lshlrev_b32_e32 v8, 16, v8
	v_pk_add_f32 v[2:3], v[4:5], v[2:3]
	v_dual_add_f32 v1, v19, v20 :: v_dual_lshlrev_b32 v19, 16, v17
	v_and_b32_e32 v17, 0xffff0000, v17
	s_delay_alu instid0(VALU_DEP_4) | instskip(NEXT) | instid1(VALU_DEP_4)
	v_pk_add_f32 v[4:5], v[8:9], v[6:7]
	v_dual_add_f32 v2, v2, v3 :: v_dual_add_f32 v3, v12, v16
	s_delay_alu instid0(VALU_DEP_4) | instskip(NEXT) | instid1(VALU_DEP_2)
	v_dual_add_f32 v6, v14, v15 :: v_dual_add_f32 v1, v1, v18
	v_dual_add_f32 v7, v19, v17 :: v_dual_add_f32 v2, v5, v2
	s_delay_alu instid0(VALU_DEP_2)
	v_dual_add_f32 v5, v11, v10 :: v_dual_add_f32 v3, v6, v3
	scratch_load_b32 v6, off, off offset:32 th:TH_LOAD_LU ; 4-byte Folded Reload
	v_dual_add_f32 v1, v7, v1 :: v_dual_add_f32 v2, v4, v2
	v_add_f32_e32 v126, v126, v5
	scratch_load_b64 v[4:5], off, off offset:24 th:TH_LOAD_LU ; 8-byte Folded Reload
	v_dual_add_f32 v107, v107, v3 :: v_dual_add_f32 v106, v106, v1
	scratch_load_b32 v1, off, off offset:16 th:TH_LOAD_LU ; 4-byte Folded Reload
	v_add_f32_e32 v109, v109, v2
	s_wait_loadcnt 0x2
	v_add_nc_u32_e32 v6, 4, v6
	s_wait_loadcnt 0x1
	v_add_nc_u64_e32 v[4:5], 16, v[4:5]
	s_delay_alu instid0(VALU_DEP_2)
	v_cmp_le_i32_e32 vcc_lo, s9, v6
	s_wait_loadcnt 0x0
	v_add_nc_u32_e32 v1, 0x200, v1
	s_or_b32 s10, vcc_lo, s10
	s_wait_xcnt 0x0
	s_and_not1_b32 exec_lo, exec_lo, s10
	s_cbranch_execz .LBB160_84
.LBB160_36:                             ; =>This Inner Loop Header: Depth=1
	global_load_b32 v2, v[4:5], off
	s_clause 0x1
	scratch_store_b64 off, v[4:5], off offset:24
	scratch_load_b64 v[4:5], off, off offset:72
	ds_load_2addr_b64 v[8:11], v1 offset1:1
	v_cmp_eq_u32_e32 vcc_lo, s5, v6
	v_or_b32_e32 v41, 3, v0
	v_or_b32_e32 v45, 5, v0
	;; [unrolled: 1-line block ×4, first 2 shown]
	v_dual_add_nc_u32 v42, 1, v0 :: v_dual_bitop2_b32 v44, 6, v0 bitop3:0x54
	s_wait_loadcnt 0x1
	v_ashrrev_i32_e32 v3, 31, v2
	s_delay_alu instid0(VALU_DEP_1) | instskip(SKIP_1) | instid1(VALU_DEP_1)
	v_mul_u64_e32 v[2:3], s[14:15], v[2:3]
	s_wait_loadcnt 0x0
	v_lshl_add_u64 v[86:87], v[2:3], 1, v[4:5]
	global_load_b128 v[2:5], v[86:87], off
	s_wait_dscnt 0x0
	s_clause 0x1
	scratch_store_b128 off, v[8:11], off offset:56
	scratch_store_b32 off, v1, off offset:16
	s_wait_xcnt 0x1
	ds_load_2addr_b64 v[8:11], v1 offset0:2 offset1:3
	s_wait_xcnt 0x0
	v_or_b32_e32 v1, 2, v0
	s_wait_dscnt 0x0
	s_clause 0x1
	scratch_store_b128 off, v[8:11], off offset:40
	scratch_store_b32 off, v6, off offset:32
	s_wait_xcnt 0x0
	s_and_saveexec_b32 s1, vcc_lo
	s_cbranch_execnz .LBB160_62
; %bb.37:                               ;   in Loop: Header=BB160_36 Depth=1
	s_or_b32 exec_lo, exec_lo, s1
	global_load_b128 v[6:9], v[86:87], off offset:512
	s_wait_xcnt 0x0
	s_and_saveexec_b32 s1, vcc_lo
	s_cbranch_execnz .LBB160_63
.LBB160_38:                             ;   in Loop: Header=BB160_36 Depth=1
	s_or_b32 exec_lo, exec_lo, s1
	global_load_b128 v[10:13], v[86:87], off offset:1024
	s_wait_xcnt 0x0
	s_and_saveexec_b32 s1, vcc_lo
	s_cbranch_execnz .LBB160_64
.LBB160_39:                             ;   in Loop: Header=BB160_36 Depth=1
	s_or_b32 exec_lo, exec_lo, s1
	global_load_b128 v[14:17], v[86:87], off offset:1536
	s_wait_xcnt 0x0
	s_and_saveexec_b32 s1, vcc_lo
	s_cbranch_execnz .LBB160_65
.LBB160_40:                             ;   in Loop: Header=BB160_36 Depth=1
	s_or_b32 exec_lo, exec_lo, s1
	global_load_b128 v[18:21], v[86:87], off offset:2048
	s_wait_xcnt 0x0
	s_and_saveexec_b32 s1, vcc_lo
	s_cbranch_execnz .LBB160_66
.LBB160_41:                             ;   in Loop: Header=BB160_36 Depth=1
	s_or_b32 exec_lo, exec_lo, s1
	global_load_b128 v[22:25], v[86:87], off offset:2560
	s_wait_xcnt 0x0
	s_and_saveexec_b32 s1, vcc_lo
	s_cbranch_execnz .LBB160_67
.LBB160_42:                             ;   in Loop: Header=BB160_36 Depth=1
	s_or_b32 exec_lo, exec_lo, s1
	global_load_b128 v[26:29], v[86:87], off offset:3072
	s_wait_xcnt 0x0
	s_and_saveexec_b32 s1, vcc_lo
	s_cbranch_execnz .LBB160_68
.LBB160_43:                             ;   in Loop: Header=BB160_36 Depth=1
	s_or_b32 exec_lo, exec_lo, s1
	global_load_b128 v[30:33], v[86:87], off offset:3584
	s_wait_xcnt 0x0
	s_and_saveexec_b32 s1, vcc_lo
	s_cbranch_execnz .LBB160_69
.LBB160_44:                             ;   in Loop: Header=BB160_36 Depth=1
	s_or_b32 exec_lo, exec_lo, s1
	global_load_b128 v[34:37], v[86:87], off offset:4096
	s_wait_xcnt 0x0
	s_and_saveexec_b32 s1, vcc_lo
	s_cbranch_execnz .LBB160_70
.LBB160_45:                             ;   in Loop: Header=BB160_36 Depth=1
	s_or_b32 exec_lo, exec_lo, s1
	global_load_b128 v[46:49], v[86:87], off offset:4608
	s_wait_xcnt 0x0
	s_and_saveexec_b32 s1, vcc_lo
	s_cbranch_execnz .LBB160_71
.LBB160_46:                             ;   in Loop: Header=BB160_36 Depth=1
	s_or_b32 exec_lo, exec_lo, s1
	global_load_b128 v[50:53], v[86:87], off offset:5120
	s_wait_xcnt 0x0
	s_and_saveexec_b32 s1, vcc_lo
	s_cbranch_execnz .LBB160_72
.LBB160_47:                             ;   in Loop: Header=BB160_36 Depth=1
	s_or_b32 exec_lo, exec_lo, s1
	global_load_b128 v[54:57], v[86:87], off offset:5632
	s_wait_xcnt 0x0
	s_and_saveexec_b32 s1, vcc_lo
	s_cbranch_execnz .LBB160_73
.LBB160_48:                             ;   in Loop: Header=BB160_36 Depth=1
	s_or_b32 exec_lo, exec_lo, s1
	global_load_b128 v[58:61], v[86:87], off offset:6144
	s_wait_xcnt 0x0
	s_and_saveexec_b32 s1, vcc_lo
	s_cbranch_execnz .LBB160_74
.LBB160_49:                             ;   in Loop: Header=BB160_36 Depth=1
	s_or_b32 exec_lo, exec_lo, s1
	global_load_b128 v[62:65], v[86:87], off offset:6656
	s_wait_xcnt 0x0
	s_and_saveexec_b32 s1, vcc_lo
	s_cbranch_execnz .LBB160_75
.LBB160_50:                             ;   in Loop: Header=BB160_36 Depth=1
	s_or_b32 exec_lo, exec_lo, s1
	global_load_b128 v[66:69], v[86:87], off offset:7168
	s_wait_xcnt 0x0
	s_and_saveexec_b32 s1, vcc_lo
	s_cbranch_execnz .LBB160_76
.LBB160_51:                             ;   in Loop: Header=BB160_36 Depth=1
	s_or_b32 exec_lo, exec_lo, s1
	global_load_b128 v[70:73], v[86:87], off offset:7680
	s_wait_xcnt 0x0
	s_and_saveexec_b32 s1, vcc_lo
	s_cbranch_execnz .LBB160_77
.LBB160_52:                             ;   in Loop: Header=BB160_36 Depth=1
	s_or_b32 exec_lo, exec_lo, s1
	global_load_b128 v[74:77], v[86:87], off offset:8192
	s_wait_xcnt 0x0
	s_and_saveexec_b32 s1, vcc_lo
	s_cbranch_execnz .LBB160_78
.LBB160_53:                             ;   in Loop: Header=BB160_36 Depth=1
	s_or_b32 exec_lo, exec_lo, s1
	global_load_b128 v[78:81], v[86:87], off offset:8704
	s_wait_xcnt 0x0
	s_and_saveexec_b32 s2, vcc_lo
	s_cbranch_execnz .LBB160_79
.LBB160_54:                             ;   in Loop: Header=BB160_36 Depth=1
	s_or_b32 exec_lo, exec_lo, s2
	global_load_b128 v[82:85], v[86:87], off offset:9216
	s_wait_xcnt 0x0
	s_and_saveexec_b32 s2, vcc_lo
	s_cbranch_execnz .LBB160_80
.LBB160_55:                             ;   in Loop: Header=BB160_36 Depth=1
	s_or_b32 exec_lo, exec_lo, s2
	global_load_b128 v[90:93], v[86:87], off offset:9728
	s_wait_xcnt 0x0
	s_and_saveexec_b32 s2, vcc_lo
	s_cbranch_execnz .LBB160_81
.LBB160_56:                             ;   in Loop: Header=BB160_36 Depth=1
	s_or_b32 exec_lo, exec_lo, s2
	global_load_b128 v[94:97], v[86:87], off offset:10240
	s_wait_xcnt 0x0
	s_and_saveexec_b32 s2, vcc_lo
	s_cbranch_execnz .LBB160_82
.LBB160_57:                             ;   in Loop: Header=BB160_36 Depth=1
	s_or_b32 exec_lo, exec_lo, s2
	global_load_b128 v[98:101], v[86:87], off offset:10752
	s_wait_xcnt 0x0
	s_and_saveexec_b32 s2, vcc_lo
	s_cbranch_execnz .LBB160_83
.LBB160_58:                             ;   in Loop: Header=BB160_36 Depth=1
	s_or_b32 exec_lo, exec_lo, s2
	global_load_b128 v[102:105], v[86:87], off offset:11264
	s_wait_xcnt 0x0
	s_and_saveexec_b32 s2, vcc_lo
	s_cbranch_execz .LBB160_60
.LBB160_59:                             ;   in Loop: Header=BB160_36 Depth=1
	v_cmp_gt_i32_e64 s0, s21, v0
	v_cmp_gt_i32_e64 s1, s11, v42
	s_wait_loadcnt 0x0
	s_delay_alu instid0(VALU_DEP_2) | instskip(SKIP_1) | instid1(VALU_DEP_2)
	v_dual_lshrrev_b32 v88, 16, v102 :: v_dual_cndmask_b32 v89, 0, v102, s0
	v_cmp_gt_i32_e64 s0, s11, v41
	v_cndmask_b32_e64 v88, 0, v88, s1
	v_cmp_gt_i32_e64 s1, s21, v1
	s_delay_alu instid0(VALU_DEP_2) | instskip(NEXT) | instid1(VALU_DEP_2)
	v_perm_b32 v102, v88, v89, 0x5040100
	v_dual_lshrrev_b32 v89, 16, v103 :: v_dual_cndmask_b32 v88, 0, v103, s1
	v_cmp_gt_i32_e64 s1, s21, v40
	s_delay_alu instid0(VALU_DEP_2) | instskip(SKIP_1) | instid1(VALU_DEP_2)
	v_cndmask_b32_e64 v89, 0, v89, s0
	v_cmp_gt_i32_e64 s0, s11, v45
	v_perm_b32 v103, v89, v88, 0x5040100
	s_delay_alu instid0(VALU_DEP_4) | instskip(SKIP_1) | instid1(VALU_DEP_2)
	v_dual_cndmask_b32 v88, 0, v104, s1 :: v_dual_lshrrev_b32 v89, 16, v104
	v_cmp_gt_i32_e64 s1, s21, v44
	v_cndmask_b32_e64 v89, 0, v89, s0
	v_cmp_gt_i32_e64 s0, s11, v43
	s_delay_alu instid0(VALU_DEP_2) | instskip(NEXT) | instid1(VALU_DEP_4)
	v_perm_b32 v104, v89, v88, 0x5040100
	v_dual_cndmask_b32 v88, 0, v105, s1 :: v_dual_lshrrev_b32 v89, 16, v105
	s_delay_alu instid0(VALU_DEP_1) | instskip(NEXT) | instid1(VALU_DEP_1)
	v_cndmask_b32_e64 v89, 0, v89, s0
	v_perm_b32 v105, v89, v88, 0x5040100
.LBB160_60:                             ;   in Loop: Header=BB160_36 Depth=1
	s_or_b32 exec_lo, exec_lo, s2
	global_load_b128 v[86:89], v[86:87], off offset:11776
	v_mov_b64_e32 v[38:39], v[108:109]
	s_wait_xcnt 0x0
	s_and_saveexec_b32 s12, vcc_lo
	s_cbranch_execz .LBB160_35
; %bb.61:                               ;   in Loop: Header=BB160_36 Depth=1
	v_cmp_gt_i32_e32 vcc_lo, s11, v42
	v_cmp_gt_i32_e64 s0, s21, v0
	v_cmp_gt_i32_e64 s1, s21, v1
	s_wait_loadcnt 0x0
	v_lshrrev_b32_e32 v42, 16, v86
	v_cmp_gt_i32_e64 s2, s11, v43
	v_cmp_gt_i32_e64 s3, s21, v44
	s_delay_alu instid0(VALU_DEP_3)
	v_cndmask_b32_e32 v1, 0, v42, vcc_lo
	v_cndmask_b32_e64 v42, 0, v86, s0
	v_cmp_gt_i32_e32 vcc_lo, s11, v41
	v_dual_cndmask_b32 v41, 0, v87, s1 :: v_dual_lshrrev_b32 v86, 16, v87
	v_cmp_gt_i32_e64 s0, s11, v45
	v_cmp_gt_i32_e64 s1, s21, v40
	v_dual_lshrrev_b32 v40, 16, v88 :: v_dual_lshrrev_b32 v43, 16, v89
	s_delay_alu instid0(VALU_DEP_4) | instskip(NEXT) | instid1(VALU_DEP_3)
	v_dual_cndmask_b32 v44, 0, v86, vcc_lo :: v_dual_cndmask_b32 v89, 0, v89, s3
	v_cndmask_b32_e64 v45, 0, v88, s1
	s_delay_alu instid0(VALU_DEP_3) | instskip(SKIP_1) | instid1(VALU_DEP_4)
	v_dual_cndmask_b32 v40, 0, v40, s0 :: v_dual_cndmask_b32 v43, 0, v43, s2
	v_perm_b32 v86, v1, v42, 0x5040100
	v_perm_b32 v87, v44, v41, 0x5040100
	s_delay_alu instid0(VALU_DEP_3) | instskip(NEXT) | instid1(VALU_DEP_4)
	v_perm_b32 v88, v40, v45, 0x5040100
	v_perm_b32 v89, v43, v89, 0x5040100
	s_branch .LBB160_35
.LBB160_62:                             ;   in Loop: Header=BB160_36 Depth=1
	v_cmp_gt_i32_e64 s0, s21, v0
	s_wait_loadcnt 0x0
	v_dual_lshrrev_b32 v6, 16, v2 :: v_dual_lshrrev_b32 v8, 16, v4
	s_delay_alu instid0(VALU_DEP_2) | instskip(SKIP_1) | instid1(VALU_DEP_1)
	v_cndmask_b32_e64 v2, 0, v2, s0
	v_cmp_gt_i32_e64 s0, s11, v42
	v_dual_lshrrev_b32 v7, 16, v3 :: v_dual_cndmask_b32 v6, 0, v6, s0
	v_cmp_gt_i32_e64 s0, s21, v1
	s_delay_alu instid0(VALU_DEP_2) | instskip(NEXT) | instid1(VALU_DEP_2)
	v_perm_b32 v2, v6, v2, 0x5040100
	v_cndmask_b32_e64 v3, 0, v3, s0
	v_cmp_gt_i32_e64 s0, s11, v41
	s_delay_alu instid0(VALU_DEP_1) | instskip(SKIP_1) | instid1(VALU_DEP_1)
	v_cndmask_b32_e64 v7, 0, v7, s0
	v_cmp_gt_i32_e64 s0, s21, v40
	v_cndmask_b32_e64 v4, 0, v4, s0
	v_cmp_gt_i32_e64 s0, s11, v45
	v_lshrrev_b32_e32 v9, 16, v5
	v_perm_b32 v3, v7, v3, 0x5040100
	s_delay_alu instid0(VALU_DEP_3) | instskip(SKIP_1) | instid1(VALU_DEP_2)
	v_cndmask_b32_e64 v8, 0, v8, s0
	v_cmp_gt_i32_e64 s0, s21, v44
	v_perm_b32 v4, v8, v4, 0x5040100
	s_delay_alu instid0(VALU_DEP_2) | instskip(SKIP_1) | instid1(VALU_DEP_1)
	v_cndmask_b32_e64 v5, 0, v5, s0
	v_cmp_gt_i32_e64 s0, s11, v43
	v_cndmask_b32_e64 v9, 0, v9, s0
	s_delay_alu instid0(VALU_DEP_1)
	v_perm_b32 v5, v9, v5, 0x5040100
	s_or_b32 exec_lo, exec_lo, s1
	global_load_b128 v[6:9], v[86:87], off offset:512
	s_wait_xcnt 0x0
	s_and_saveexec_b32 s1, vcc_lo
	s_cbranch_execz .LBB160_38
.LBB160_63:                             ;   in Loop: Header=BB160_36 Depth=1
	v_cmp_gt_i32_e64 s0, s21, v0
	s_wait_loadcnt 0x0
	v_dual_lshrrev_b32 v10, 16, v6 :: v_dual_lshrrev_b32 v12, 16, v8
	s_delay_alu instid0(VALU_DEP_2) | instskip(SKIP_1) | instid1(VALU_DEP_1)
	v_cndmask_b32_e64 v6, 0, v6, s0
	v_cmp_gt_i32_e64 s0, s11, v42
	v_dual_lshrrev_b32 v11, 16, v7 :: v_dual_cndmask_b32 v10, 0, v10, s0
	v_cmp_gt_i32_e64 s0, s21, v1
	s_delay_alu instid0(VALU_DEP_2) | instskip(NEXT) | instid1(VALU_DEP_2)
	v_perm_b32 v6, v10, v6, 0x5040100
	v_cndmask_b32_e64 v7, 0, v7, s0
	v_cmp_gt_i32_e64 s0, s11, v41
	s_delay_alu instid0(VALU_DEP_1) | instskip(SKIP_1) | instid1(VALU_DEP_1)
	v_cndmask_b32_e64 v11, 0, v11, s0
	v_cmp_gt_i32_e64 s0, s21, v40
	v_cndmask_b32_e64 v8, 0, v8, s0
	v_cmp_gt_i32_e64 s0, s11, v45
	v_lshrrev_b32_e32 v13, 16, v9
	v_perm_b32 v7, v11, v7, 0x5040100
	s_delay_alu instid0(VALU_DEP_3) | instskip(SKIP_1) | instid1(VALU_DEP_2)
	v_cndmask_b32_e64 v12, 0, v12, s0
	v_cmp_gt_i32_e64 s0, s21, v44
	v_perm_b32 v8, v12, v8, 0x5040100
	s_delay_alu instid0(VALU_DEP_2) | instskip(SKIP_1) | instid1(VALU_DEP_1)
	v_cndmask_b32_e64 v9, 0, v9, s0
	v_cmp_gt_i32_e64 s0, s11, v43
	v_cndmask_b32_e64 v13, 0, v13, s0
	s_delay_alu instid0(VALU_DEP_1)
	v_perm_b32 v9, v13, v9, 0x5040100
	s_or_b32 exec_lo, exec_lo, s1
	global_load_b128 v[10:13], v[86:87], off offset:1024
	s_wait_xcnt 0x0
	s_and_saveexec_b32 s1, vcc_lo
	s_cbranch_execz .LBB160_39
.LBB160_64:                             ;   in Loop: Header=BB160_36 Depth=1
	v_cmp_gt_i32_e64 s0, s21, v0
	s_wait_loadcnt 0x0
	v_dual_lshrrev_b32 v14, 16, v10 :: v_dual_lshrrev_b32 v16, 16, v12
	s_delay_alu instid0(VALU_DEP_2) | instskip(SKIP_1) | instid1(VALU_DEP_1)
	v_cndmask_b32_e64 v10, 0, v10, s0
	v_cmp_gt_i32_e64 s0, s11, v42
	v_dual_lshrrev_b32 v15, 16, v11 :: v_dual_cndmask_b32 v14, 0, v14, s0
	v_cmp_gt_i32_e64 s0, s21, v1
	s_delay_alu instid0(VALU_DEP_2) | instskip(NEXT) | instid1(VALU_DEP_2)
	v_perm_b32 v10, v14, v10, 0x5040100
	v_cndmask_b32_e64 v11, 0, v11, s0
	v_cmp_gt_i32_e64 s0, s11, v41
	s_delay_alu instid0(VALU_DEP_1) | instskip(SKIP_1) | instid1(VALU_DEP_1)
	v_cndmask_b32_e64 v15, 0, v15, s0
	v_cmp_gt_i32_e64 s0, s21, v40
	v_cndmask_b32_e64 v12, 0, v12, s0
	v_cmp_gt_i32_e64 s0, s11, v45
	v_lshrrev_b32_e32 v17, 16, v13
	v_perm_b32 v11, v15, v11, 0x5040100
	s_delay_alu instid0(VALU_DEP_3) | instskip(SKIP_1) | instid1(VALU_DEP_2)
	v_cndmask_b32_e64 v16, 0, v16, s0
	v_cmp_gt_i32_e64 s0, s21, v44
	v_perm_b32 v12, v16, v12, 0x5040100
	s_delay_alu instid0(VALU_DEP_2) | instskip(SKIP_1) | instid1(VALU_DEP_1)
	v_cndmask_b32_e64 v13, 0, v13, s0
	v_cmp_gt_i32_e64 s0, s11, v43
	v_cndmask_b32_e64 v17, 0, v17, s0
	s_delay_alu instid0(VALU_DEP_1)
	v_perm_b32 v13, v17, v13, 0x5040100
	s_or_b32 exec_lo, exec_lo, s1
	global_load_b128 v[14:17], v[86:87], off offset:1536
	s_wait_xcnt 0x0
	s_and_saveexec_b32 s1, vcc_lo
	s_cbranch_execz .LBB160_40
.LBB160_65:                             ;   in Loop: Header=BB160_36 Depth=1
	v_cmp_gt_i32_e64 s0, s21, v0
	s_wait_loadcnt 0x0
	v_dual_lshrrev_b32 v18, 16, v14 :: v_dual_lshrrev_b32 v20, 16, v16
	s_delay_alu instid0(VALU_DEP_2) | instskip(SKIP_1) | instid1(VALU_DEP_1)
	v_cndmask_b32_e64 v14, 0, v14, s0
	v_cmp_gt_i32_e64 s0, s11, v42
	v_dual_lshrrev_b32 v19, 16, v15 :: v_dual_cndmask_b32 v18, 0, v18, s0
	v_cmp_gt_i32_e64 s0, s21, v1
	s_delay_alu instid0(VALU_DEP_2) | instskip(NEXT) | instid1(VALU_DEP_2)
	v_perm_b32 v14, v18, v14, 0x5040100
	v_cndmask_b32_e64 v15, 0, v15, s0
	v_cmp_gt_i32_e64 s0, s11, v41
	s_delay_alu instid0(VALU_DEP_1) | instskip(SKIP_1) | instid1(VALU_DEP_1)
	v_cndmask_b32_e64 v19, 0, v19, s0
	v_cmp_gt_i32_e64 s0, s21, v40
	v_cndmask_b32_e64 v16, 0, v16, s0
	v_cmp_gt_i32_e64 s0, s11, v45
	v_lshrrev_b32_e32 v21, 16, v17
	v_perm_b32 v15, v19, v15, 0x5040100
	s_delay_alu instid0(VALU_DEP_3) | instskip(SKIP_1) | instid1(VALU_DEP_2)
	v_cndmask_b32_e64 v20, 0, v20, s0
	v_cmp_gt_i32_e64 s0, s21, v44
	v_perm_b32 v16, v20, v16, 0x5040100
	s_delay_alu instid0(VALU_DEP_2) | instskip(SKIP_1) | instid1(VALU_DEP_1)
	v_cndmask_b32_e64 v17, 0, v17, s0
	v_cmp_gt_i32_e64 s0, s11, v43
	v_cndmask_b32_e64 v21, 0, v21, s0
	s_delay_alu instid0(VALU_DEP_1)
	v_perm_b32 v17, v21, v17, 0x5040100
	s_or_b32 exec_lo, exec_lo, s1
	global_load_b128 v[18:21], v[86:87], off offset:2048
	s_wait_xcnt 0x0
	s_and_saveexec_b32 s1, vcc_lo
	s_cbranch_execz .LBB160_41
.LBB160_66:                             ;   in Loop: Header=BB160_36 Depth=1
	v_cmp_gt_i32_e64 s0, s21, v0
	s_wait_loadcnt 0x0
	v_dual_lshrrev_b32 v22, 16, v18 :: v_dual_lshrrev_b32 v24, 16, v20
	s_delay_alu instid0(VALU_DEP_2) | instskip(SKIP_1) | instid1(VALU_DEP_1)
	v_cndmask_b32_e64 v18, 0, v18, s0
	v_cmp_gt_i32_e64 s0, s11, v42
	v_dual_lshrrev_b32 v23, 16, v19 :: v_dual_cndmask_b32 v22, 0, v22, s0
	v_cmp_gt_i32_e64 s0, s21, v1
	s_delay_alu instid0(VALU_DEP_2) | instskip(NEXT) | instid1(VALU_DEP_2)
	v_perm_b32 v18, v22, v18, 0x5040100
	v_cndmask_b32_e64 v19, 0, v19, s0
	v_cmp_gt_i32_e64 s0, s11, v41
	s_delay_alu instid0(VALU_DEP_1) | instskip(SKIP_1) | instid1(VALU_DEP_1)
	v_cndmask_b32_e64 v23, 0, v23, s0
	v_cmp_gt_i32_e64 s0, s21, v40
	v_cndmask_b32_e64 v20, 0, v20, s0
	v_cmp_gt_i32_e64 s0, s11, v45
	v_lshrrev_b32_e32 v25, 16, v21
	v_perm_b32 v19, v23, v19, 0x5040100
	s_delay_alu instid0(VALU_DEP_3) | instskip(SKIP_1) | instid1(VALU_DEP_2)
	v_cndmask_b32_e64 v24, 0, v24, s0
	v_cmp_gt_i32_e64 s0, s21, v44
	v_perm_b32 v20, v24, v20, 0x5040100
	s_delay_alu instid0(VALU_DEP_2) | instskip(SKIP_1) | instid1(VALU_DEP_1)
	v_cndmask_b32_e64 v21, 0, v21, s0
	v_cmp_gt_i32_e64 s0, s11, v43
	v_cndmask_b32_e64 v25, 0, v25, s0
	s_delay_alu instid0(VALU_DEP_1)
	v_perm_b32 v21, v25, v21, 0x5040100
	s_or_b32 exec_lo, exec_lo, s1
	global_load_b128 v[22:25], v[86:87], off offset:2560
	s_wait_xcnt 0x0
	s_and_saveexec_b32 s1, vcc_lo
	s_cbranch_execz .LBB160_42
.LBB160_67:                             ;   in Loop: Header=BB160_36 Depth=1
	v_cmp_gt_i32_e64 s0, s21, v0
	s_wait_loadcnt 0x0
	v_dual_lshrrev_b32 v26, 16, v22 :: v_dual_lshrrev_b32 v28, 16, v24
	s_delay_alu instid0(VALU_DEP_2) | instskip(SKIP_1) | instid1(VALU_DEP_1)
	v_cndmask_b32_e64 v22, 0, v22, s0
	v_cmp_gt_i32_e64 s0, s11, v42
	v_dual_lshrrev_b32 v27, 16, v23 :: v_dual_cndmask_b32 v26, 0, v26, s0
	v_cmp_gt_i32_e64 s0, s21, v1
	s_delay_alu instid0(VALU_DEP_2) | instskip(NEXT) | instid1(VALU_DEP_2)
	v_perm_b32 v22, v26, v22, 0x5040100
	v_cndmask_b32_e64 v23, 0, v23, s0
	v_cmp_gt_i32_e64 s0, s11, v41
	s_delay_alu instid0(VALU_DEP_1) | instskip(SKIP_1) | instid1(VALU_DEP_1)
	v_cndmask_b32_e64 v27, 0, v27, s0
	v_cmp_gt_i32_e64 s0, s21, v40
	v_cndmask_b32_e64 v24, 0, v24, s0
	v_cmp_gt_i32_e64 s0, s11, v45
	v_lshrrev_b32_e32 v29, 16, v25
	v_perm_b32 v23, v27, v23, 0x5040100
	s_delay_alu instid0(VALU_DEP_3) | instskip(SKIP_1) | instid1(VALU_DEP_2)
	v_cndmask_b32_e64 v28, 0, v28, s0
	v_cmp_gt_i32_e64 s0, s21, v44
	v_perm_b32 v24, v28, v24, 0x5040100
	s_delay_alu instid0(VALU_DEP_2) | instskip(SKIP_1) | instid1(VALU_DEP_1)
	v_cndmask_b32_e64 v25, 0, v25, s0
	v_cmp_gt_i32_e64 s0, s11, v43
	v_cndmask_b32_e64 v29, 0, v29, s0
	s_delay_alu instid0(VALU_DEP_1)
	v_perm_b32 v25, v29, v25, 0x5040100
	s_or_b32 exec_lo, exec_lo, s1
	global_load_b128 v[26:29], v[86:87], off offset:3072
	s_wait_xcnt 0x0
	s_and_saveexec_b32 s1, vcc_lo
	s_cbranch_execz .LBB160_43
.LBB160_68:                             ;   in Loop: Header=BB160_36 Depth=1
	v_cmp_gt_i32_e64 s0, s21, v0
	s_wait_loadcnt 0x0
	v_dual_lshrrev_b32 v30, 16, v26 :: v_dual_lshrrev_b32 v32, 16, v28
	s_delay_alu instid0(VALU_DEP_2) | instskip(SKIP_1) | instid1(VALU_DEP_1)
	v_cndmask_b32_e64 v26, 0, v26, s0
	v_cmp_gt_i32_e64 s0, s11, v42
	v_dual_lshrrev_b32 v31, 16, v27 :: v_dual_cndmask_b32 v30, 0, v30, s0
	v_cmp_gt_i32_e64 s0, s21, v1
	s_delay_alu instid0(VALU_DEP_2) | instskip(NEXT) | instid1(VALU_DEP_2)
	v_perm_b32 v26, v30, v26, 0x5040100
	v_cndmask_b32_e64 v27, 0, v27, s0
	v_cmp_gt_i32_e64 s0, s11, v41
	s_delay_alu instid0(VALU_DEP_1) | instskip(SKIP_1) | instid1(VALU_DEP_1)
	v_cndmask_b32_e64 v31, 0, v31, s0
	v_cmp_gt_i32_e64 s0, s21, v40
	v_cndmask_b32_e64 v28, 0, v28, s0
	v_cmp_gt_i32_e64 s0, s11, v45
	v_lshrrev_b32_e32 v33, 16, v29
	v_perm_b32 v27, v31, v27, 0x5040100
	s_delay_alu instid0(VALU_DEP_3) | instskip(SKIP_1) | instid1(VALU_DEP_2)
	v_cndmask_b32_e64 v32, 0, v32, s0
	v_cmp_gt_i32_e64 s0, s21, v44
	v_perm_b32 v28, v32, v28, 0x5040100
	s_delay_alu instid0(VALU_DEP_2) | instskip(SKIP_1) | instid1(VALU_DEP_1)
	v_cndmask_b32_e64 v29, 0, v29, s0
	v_cmp_gt_i32_e64 s0, s11, v43
	v_cndmask_b32_e64 v33, 0, v33, s0
	s_delay_alu instid0(VALU_DEP_1)
	v_perm_b32 v29, v33, v29, 0x5040100
	s_or_b32 exec_lo, exec_lo, s1
	global_load_b128 v[30:33], v[86:87], off offset:3584
	s_wait_xcnt 0x0
	s_and_saveexec_b32 s1, vcc_lo
	s_cbranch_execz .LBB160_44
.LBB160_69:                             ;   in Loop: Header=BB160_36 Depth=1
	v_cmp_gt_i32_e64 s0, s21, v0
	s_wait_loadcnt 0x0
	v_dual_lshrrev_b32 v34, 16, v30 :: v_dual_lshrrev_b32 v36, 16, v32
	s_delay_alu instid0(VALU_DEP_2) | instskip(SKIP_1) | instid1(VALU_DEP_1)
	v_cndmask_b32_e64 v30, 0, v30, s0
	v_cmp_gt_i32_e64 s0, s11, v42
	v_dual_lshrrev_b32 v35, 16, v31 :: v_dual_cndmask_b32 v34, 0, v34, s0
	v_cmp_gt_i32_e64 s0, s21, v1
	s_delay_alu instid0(VALU_DEP_2) | instskip(NEXT) | instid1(VALU_DEP_2)
	v_perm_b32 v30, v34, v30, 0x5040100
	v_cndmask_b32_e64 v31, 0, v31, s0
	v_cmp_gt_i32_e64 s0, s11, v41
	s_delay_alu instid0(VALU_DEP_1) | instskip(SKIP_1) | instid1(VALU_DEP_1)
	v_cndmask_b32_e64 v35, 0, v35, s0
	v_cmp_gt_i32_e64 s0, s21, v40
	v_cndmask_b32_e64 v32, 0, v32, s0
	v_cmp_gt_i32_e64 s0, s11, v45
	v_lshrrev_b32_e32 v37, 16, v33
	v_perm_b32 v31, v35, v31, 0x5040100
	s_delay_alu instid0(VALU_DEP_3) | instskip(SKIP_1) | instid1(VALU_DEP_2)
	v_cndmask_b32_e64 v36, 0, v36, s0
	v_cmp_gt_i32_e64 s0, s21, v44
	v_perm_b32 v32, v36, v32, 0x5040100
	s_delay_alu instid0(VALU_DEP_2) | instskip(SKIP_1) | instid1(VALU_DEP_1)
	v_cndmask_b32_e64 v33, 0, v33, s0
	v_cmp_gt_i32_e64 s0, s11, v43
	v_cndmask_b32_e64 v37, 0, v37, s0
	s_delay_alu instid0(VALU_DEP_1)
	v_perm_b32 v33, v37, v33, 0x5040100
	s_or_b32 exec_lo, exec_lo, s1
	global_load_b128 v[34:37], v[86:87], off offset:4096
	s_wait_xcnt 0x0
	s_and_saveexec_b32 s1, vcc_lo
	s_cbranch_execz .LBB160_45
.LBB160_70:                             ;   in Loop: Header=BB160_36 Depth=1
	v_cmp_gt_i32_e64 s0, s21, v0
	s_wait_loadcnt 0x0
	v_dual_lshrrev_b32 v46, 16, v34 :: v_dual_lshrrev_b32 v48, 16, v36
	s_delay_alu instid0(VALU_DEP_2) | instskip(SKIP_1) | instid1(VALU_DEP_1)
	v_cndmask_b32_e64 v34, 0, v34, s0
	v_cmp_gt_i32_e64 s0, s11, v42
	v_dual_lshrrev_b32 v47, 16, v35 :: v_dual_cndmask_b32 v46, 0, v46, s0
	v_cmp_gt_i32_e64 s0, s21, v1
	s_delay_alu instid0(VALU_DEP_2) | instskip(NEXT) | instid1(VALU_DEP_2)
	v_perm_b32 v34, v46, v34, 0x5040100
	v_cndmask_b32_e64 v35, 0, v35, s0
	v_cmp_gt_i32_e64 s0, s11, v41
	s_delay_alu instid0(VALU_DEP_1) | instskip(SKIP_1) | instid1(VALU_DEP_1)
	v_cndmask_b32_e64 v47, 0, v47, s0
	v_cmp_gt_i32_e64 s0, s21, v40
	v_cndmask_b32_e64 v36, 0, v36, s0
	v_cmp_gt_i32_e64 s0, s11, v45
	v_lshrrev_b32_e32 v49, 16, v37
	v_perm_b32 v35, v47, v35, 0x5040100
	s_delay_alu instid0(VALU_DEP_3) | instskip(SKIP_1) | instid1(VALU_DEP_2)
	v_cndmask_b32_e64 v48, 0, v48, s0
	v_cmp_gt_i32_e64 s0, s21, v44
	v_perm_b32 v36, v48, v36, 0x5040100
	s_delay_alu instid0(VALU_DEP_2) | instskip(SKIP_1) | instid1(VALU_DEP_1)
	v_cndmask_b32_e64 v37, 0, v37, s0
	v_cmp_gt_i32_e64 s0, s11, v43
	v_cndmask_b32_e64 v49, 0, v49, s0
	s_delay_alu instid0(VALU_DEP_1)
	v_perm_b32 v37, v49, v37, 0x5040100
	s_or_b32 exec_lo, exec_lo, s1
	global_load_b128 v[46:49], v[86:87], off offset:4608
	s_wait_xcnt 0x0
	s_and_saveexec_b32 s1, vcc_lo
	s_cbranch_execz .LBB160_46
.LBB160_71:                             ;   in Loop: Header=BB160_36 Depth=1
	v_cmp_gt_i32_e64 s0, s21, v0
	s_wait_loadcnt 0x0
	v_dual_lshrrev_b32 v50, 16, v46 :: v_dual_lshrrev_b32 v52, 16, v48
	s_delay_alu instid0(VALU_DEP_2) | instskip(SKIP_1) | instid1(VALU_DEP_1)
	v_cndmask_b32_e64 v46, 0, v46, s0
	v_cmp_gt_i32_e64 s0, s11, v42
	v_dual_lshrrev_b32 v51, 16, v47 :: v_dual_cndmask_b32 v50, 0, v50, s0
	v_cmp_gt_i32_e64 s0, s21, v1
	s_delay_alu instid0(VALU_DEP_2) | instskip(NEXT) | instid1(VALU_DEP_2)
	v_perm_b32 v46, v50, v46, 0x5040100
	v_cndmask_b32_e64 v47, 0, v47, s0
	v_cmp_gt_i32_e64 s0, s11, v41
	s_delay_alu instid0(VALU_DEP_1) | instskip(SKIP_1) | instid1(VALU_DEP_1)
	v_cndmask_b32_e64 v51, 0, v51, s0
	v_cmp_gt_i32_e64 s0, s21, v40
	v_cndmask_b32_e64 v48, 0, v48, s0
	v_cmp_gt_i32_e64 s0, s11, v45
	v_lshrrev_b32_e32 v53, 16, v49
	v_perm_b32 v47, v51, v47, 0x5040100
	s_delay_alu instid0(VALU_DEP_3) | instskip(SKIP_1) | instid1(VALU_DEP_2)
	v_cndmask_b32_e64 v52, 0, v52, s0
	v_cmp_gt_i32_e64 s0, s21, v44
	v_perm_b32 v48, v52, v48, 0x5040100
	s_delay_alu instid0(VALU_DEP_2) | instskip(SKIP_1) | instid1(VALU_DEP_1)
	v_cndmask_b32_e64 v49, 0, v49, s0
	v_cmp_gt_i32_e64 s0, s11, v43
	v_cndmask_b32_e64 v53, 0, v53, s0
	s_delay_alu instid0(VALU_DEP_1)
	v_perm_b32 v49, v53, v49, 0x5040100
	s_or_b32 exec_lo, exec_lo, s1
	global_load_b128 v[50:53], v[86:87], off offset:5120
	s_wait_xcnt 0x0
	s_and_saveexec_b32 s1, vcc_lo
	s_cbranch_execz .LBB160_47
.LBB160_72:                             ;   in Loop: Header=BB160_36 Depth=1
	v_cmp_gt_i32_e64 s0, s21, v0
	s_wait_loadcnt 0x0
	v_dual_lshrrev_b32 v54, 16, v50 :: v_dual_lshrrev_b32 v56, 16, v52
	s_delay_alu instid0(VALU_DEP_2) | instskip(SKIP_1) | instid1(VALU_DEP_1)
	v_cndmask_b32_e64 v50, 0, v50, s0
	v_cmp_gt_i32_e64 s0, s11, v42
	v_dual_lshrrev_b32 v55, 16, v51 :: v_dual_cndmask_b32 v54, 0, v54, s0
	v_cmp_gt_i32_e64 s0, s21, v1
	s_delay_alu instid0(VALU_DEP_2) | instskip(NEXT) | instid1(VALU_DEP_2)
	v_perm_b32 v50, v54, v50, 0x5040100
	v_cndmask_b32_e64 v51, 0, v51, s0
	v_cmp_gt_i32_e64 s0, s11, v41
	s_delay_alu instid0(VALU_DEP_1) | instskip(SKIP_1) | instid1(VALU_DEP_1)
	v_cndmask_b32_e64 v55, 0, v55, s0
	v_cmp_gt_i32_e64 s0, s21, v40
	v_cndmask_b32_e64 v52, 0, v52, s0
	v_cmp_gt_i32_e64 s0, s11, v45
	v_lshrrev_b32_e32 v57, 16, v53
	v_perm_b32 v51, v55, v51, 0x5040100
	s_delay_alu instid0(VALU_DEP_3) | instskip(SKIP_1) | instid1(VALU_DEP_2)
	v_cndmask_b32_e64 v56, 0, v56, s0
	v_cmp_gt_i32_e64 s0, s21, v44
	v_perm_b32 v52, v56, v52, 0x5040100
	s_delay_alu instid0(VALU_DEP_2) | instskip(SKIP_1) | instid1(VALU_DEP_1)
	v_cndmask_b32_e64 v53, 0, v53, s0
	v_cmp_gt_i32_e64 s0, s11, v43
	v_cndmask_b32_e64 v57, 0, v57, s0
	s_delay_alu instid0(VALU_DEP_1)
	v_perm_b32 v53, v57, v53, 0x5040100
	s_or_b32 exec_lo, exec_lo, s1
	global_load_b128 v[54:57], v[86:87], off offset:5632
	s_wait_xcnt 0x0
	s_and_saveexec_b32 s1, vcc_lo
	s_cbranch_execz .LBB160_48
.LBB160_73:                             ;   in Loop: Header=BB160_36 Depth=1
	v_cmp_gt_i32_e64 s0, s21, v0
	s_wait_loadcnt 0x0
	v_dual_lshrrev_b32 v58, 16, v54 :: v_dual_lshrrev_b32 v60, 16, v56
	s_delay_alu instid0(VALU_DEP_2) | instskip(SKIP_1) | instid1(VALU_DEP_1)
	v_cndmask_b32_e64 v54, 0, v54, s0
	v_cmp_gt_i32_e64 s0, s11, v42
	v_dual_lshrrev_b32 v59, 16, v55 :: v_dual_cndmask_b32 v58, 0, v58, s0
	v_cmp_gt_i32_e64 s0, s21, v1
	s_delay_alu instid0(VALU_DEP_2) | instskip(NEXT) | instid1(VALU_DEP_2)
	v_perm_b32 v54, v58, v54, 0x5040100
	v_cndmask_b32_e64 v55, 0, v55, s0
	v_cmp_gt_i32_e64 s0, s11, v41
	s_delay_alu instid0(VALU_DEP_1) | instskip(SKIP_1) | instid1(VALU_DEP_1)
	v_cndmask_b32_e64 v59, 0, v59, s0
	v_cmp_gt_i32_e64 s0, s21, v40
	v_cndmask_b32_e64 v56, 0, v56, s0
	v_cmp_gt_i32_e64 s0, s11, v45
	v_lshrrev_b32_e32 v61, 16, v57
	v_perm_b32 v55, v59, v55, 0x5040100
	s_delay_alu instid0(VALU_DEP_3) | instskip(SKIP_1) | instid1(VALU_DEP_2)
	v_cndmask_b32_e64 v60, 0, v60, s0
	v_cmp_gt_i32_e64 s0, s21, v44
	v_perm_b32 v56, v60, v56, 0x5040100
	s_delay_alu instid0(VALU_DEP_2) | instskip(SKIP_1) | instid1(VALU_DEP_1)
	v_cndmask_b32_e64 v57, 0, v57, s0
	v_cmp_gt_i32_e64 s0, s11, v43
	v_cndmask_b32_e64 v61, 0, v61, s0
	s_delay_alu instid0(VALU_DEP_1)
	v_perm_b32 v57, v61, v57, 0x5040100
	s_or_b32 exec_lo, exec_lo, s1
	global_load_b128 v[58:61], v[86:87], off offset:6144
	s_wait_xcnt 0x0
	s_and_saveexec_b32 s1, vcc_lo
	s_cbranch_execz .LBB160_49
.LBB160_74:                             ;   in Loop: Header=BB160_36 Depth=1
	v_cmp_gt_i32_e64 s0, s21, v0
	s_wait_loadcnt 0x0
	v_dual_lshrrev_b32 v62, 16, v58 :: v_dual_lshrrev_b32 v64, 16, v60
	s_delay_alu instid0(VALU_DEP_2) | instskip(SKIP_1) | instid1(VALU_DEP_1)
	v_cndmask_b32_e64 v58, 0, v58, s0
	v_cmp_gt_i32_e64 s0, s11, v42
	v_dual_lshrrev_b32 v63, 16, v59 :: v_dual_cndmask_b32 v62, 0, v62, s0
	v_cmp_gt_i32_e64 s0, s21, v1
	s_delay_alu instid0(VALU_DEP_2) | instskip(NEXT) | instid1(VALU_DEP_2)
	v_perm_b32 v58, v62, v58, 0x5040100
	v_cndmask_b32_e64 v59, 0, v59, s0
	v_cmp_gt_i32_e64 s0, s11, v41
	s_delay_alu instid0(VALU_DEP_1) | instskip(SKIP_1) | instid1(VALU_DEP_1)
	v_cndmask_b32_e64 v63, 0, v63, s0
	v_cmp_gt_i32_e64 s0, s21, v40
	v_cndmask_b32_e64 v60, 0, v60, s0
	v_cmp_gt_i32_e64 s0, s11, v45
	v_lshrrev_b32_e32 v65, 16, v61
	v_perm_b32 v59, v63, v59, 0x5040100
	s_delay_alu instid0(VALU_DEP_3) | instskip(SKIP_1) | instid1(VALU_DEP_2)
	v_cndmask_b32_e64 v64, 0, v64, s0
	v_cmp_gt_i32_e64 s0, s21, v44
	v_perm_b32 v60, v64, v60, 0x5040100
	s_delay_alu instid0(VALU_DEP_2) | instskip(SKIP_1) | instid1(VALU_DEP_1)
	v_cndmask_b32_e64 v61, 0, v61, s0
	v_cmp_gt_i32_e64 s0, s11, v43
	v_cndmask_b32_e64 v65, 0, v65, s0
	s_delay_alu instid0(VALU_DEP_1)
	v_perm_b32 v61, v65, v61, 0x5040100
	s_or_b32 exec_lo, exec_lo, s1
	global_load_b128 v[62:65], v[86:87], off offset:6656
	s_wait_xcnt 0x0
	s_and_saveexec_b32 s1, vcc_lo
	s_cbranch_execz .LBB160_50
.LBB160_75:                             ;   in Loop: Header=BB160_36 Depth=1
	v_cmp_gt_i32_e64 s0, s21, v0
	s_wait_loadcnt 0x0
	v_dual_lshrrev_b32 v66, 16, v62 :: v_dual_lshrrev_b32 v68, 16, v64
	s_delay_alu instid0(VALU_DEP_2) | instskip(SKIP_1) | instid1(VALU_DEP_1)
	v_cndmask_b32_e64 v62, 0, v62, s0
	v_cmp_gt_i32_e64 s0, s11, v42
	v_dual_lshrrev_b32 v67, 16, v63 :: v_dual_cndmask_b32 v66, 0, v66, s0
	v_cmp_gt_i32_e64 s0, s21, v1
	s_delay_alu instid0(VALU_DEP_2) | instskip(NEXT) | instid1(VALU_DEP_2)
	v_perm_b32 v62, v66, v62, 0x5040100
	v_cndmask_b32_e64 v63, 0, v63, s0
	v_cmp_gt_i32_e64 s0, s11, v41
	s_delay_alu instid0(VALU_DEP_1) | instskip(SKIP_1) | instid1(VALU_DEP_1)
	v_cndmask_b32_e64 v67, 0, v67, s0
	v_cmp_gt_i32_e64 s0, s21, v40
	v_cndmask_b32_e64 v64, 0, v64, s0
	v_cmp_gt_i32_e64 s0, s11, v45
	v_lshrrev_b32_e32 v69, 16, v65
	v_perm_b32 v63, v67, v63, 0x5040100
	s_delay_alu instid0(VALU_DEP_3) | instskip(SKIP_1) | instid1(VALU_DEP_2)
	v_cndmask_b32_e64 v68, 0, v68, s0
	v_cmp_gt_i32_e64 s0, s21, v44
	v_perm_b32 v64, v68, v64, 0x5040100
	s_delay_alu instid0(VALU_DEP_2) | instskip(SKIP_1) | instid1(VALU_DEP_1)
	v_cndmask_b32_e64 v65, 0, v65, s0
	v_cmp_gt_i32_e64 s0, s11, v43
	v_cndmask_b32_e64 v69, 0, v69, s0
	s_delay_alu instid0(VALU_DEP_1)
	v_perm_b32 v65, v69, v65, 0x5040100
	s_or_b32 exec_lo, exec_lo, s1
	global_load_b128 v[66:69], v[86:87], off offset:7168
	s_wait_xcnt 0x0
	s_and_saveexec_b32 s1, vcc_lo
	s_cbranch_execz .LBB160_51
.LBB160_76:                             ;   in Loop: Header=BB160_36 Depth=1
	v_cmp_gt_i32_e64 s0, s21, v0
	s_wait_loadcnt 0x0
	v_dual_lshrrev_b32 v70, 16, v66 :: v_dual_lshrrev_b32 v72, 16, v68
	s_delay_alu instid0(VALU_DEP_2) | instskip(SKIP_1) | instid1(VALU_DEP_1)
	v_cndmask_b32_e64 v66, 0, v66, s0
	v_cmp_gt_i32_e64 s0, s11, v42
	v_dual_lshrrev_b32 v71, 16, v67 :: v_dual_cndmask_b32 v70, 0, v70, s0
	v_cmp_gt_i32_e64 s0, s21, v1
	s_delay_alu instid0(VALU_DEP_2) | instskip(NEXT) | instid1(VALU_DEP_2)
	v_perm_b32 v66, v70, v66, 0x5040100
	v_cndmask_b32_e64 v67, 0, v67, s0
	v_cmp_gt_i32_e64 s0, s11, v41
	s_delay_alu instid0(VALU_DEP_1) | instskip(SKIP_1) | instid1(VALU_DEP_1)
	v_cndmask_b32_e64 v71, 0, v71, s0
	v_cmp_gt_i32_e64 s0, s21, v40
	v_cndmask_b32_e64 v68, 0, v68, s0
	v_cmp_gt_i32_e64 s0, s11, v45
	v_lshrrev_b32_e32 v73, 16, v69
	v_perm_b32 v67, v71, v67, 0x5040100
	s_delay_alu instid0(VALU_DEP_3) | instskip(SKIP_1) | instid1(VALU_DEP_2)
	v_cndmask_b32_e64 v72, 0, v72, s0
	v_cmp_gt_i32_e64 s0, s21, v44
	v_perm_b32 v68, v72, v68, 0x5040100
	s_delay_alu instid0(VALU_DEP_2) | instskip(SKIP_1) | instid1(VALU_DEP_1)
	v_cndmask_b32_e64 v69, 0, v69, s0
	v_cmp_gt_i32_e64 s0, s11, v43
	v_cndmask_b32_e64 v73, 0, v73, s0
	s_delay_alu instid0(VALU_DEP_1)
	v_perm_b32 v69, v73, v69, 0x5040100
	s_or_b32 exec_lo, exec_lo, s1
	global_load_b128 v[70:73], v[86:87], off offset:7680
	s_wait_xcnt 0x0
	s_and_saveexec_b32 s1, vcc_lo
	s_cbranch_execz .LBB160_52
.LBB160_77:                             ;   in Loop: Header=BB160_36 Depth=1
	v_cmp_gt_i32_e64 s0, s21, v0
	s_wait_loadcnt 0x0
	v_dual_lshrrev_b32 v74, 16, v70 :: v_dual_lshrrev_b32 v76, 16, v72
	s_delay_alu instid0(VALU_DEP_2) | instskip(SKIP_1) | instid1(VALU_DEP_1)
	v_cndmask_b32_e64 v70, 0, v70, s0
	v_cmp_gt_i32_e64 s0, s11, v42
	v_dual_lshrrev_b32 v75, 16, v71 :: v_dual_cndmask_b32 v74, 0, v74, s0
	v_cmp_gt_i32_e64 s0, s21, v1
	s_delay_alu instid0(VALU_DEP_2) | instskip(NEXT) | instid1(VALU_DEP_2)
	v_perm_b32 v70, v74, v70, 0x5040100
	v_cndmask_b32_e64 v71, 0, v71, s0
	v_cmp_gt_i32_e64 s0, s11, v41
	s_delay_alu instid0(VALU_DEP_1) | instskip(SKIP_1) | instid1(VALU_DEP_1)
	v_cndmask_b32_e64 v75, 0, v75, s0
	v_cmp_gt_i32_e64 s0, s21, v40
	v_cndmask_b32_e64 v72, 0, v72, s0
	v_cmp_gt_i32_e64 s0, s11, v45
	v_lshrrev_b32_e32 v77, 16, v73
	v_perm_b32 v71, v75, v71, 0x5040100
	s_delay_alu instid0(VALU_DEP_3) | instskip(SKIP_1) | instid1(VALU_DEP_2)
	v_cndmask_b32_e64 v76, 0, v76, s0
	v_cmp_gt_i32_e64 s0, s21, v44
	v_perm_b32 v72, v76, v72, 0x5040100
	s_delay_alu instid0(VALU_DEP_2) | instskip(SKIP_1) | instid1(VALU_DEP_1)
	v_cndmask_b32_e64 v73, 0, v73, s0
	v_cmp_gt_i32_e64 s0, s11, v43
	v_cndmask_b32_e64 v77, 0, v77, s0
	s_delay_alu instid0(VALU_DEP_1)
	v_perm_b32 v73, v77, v73, 0x5040100
	s_or_b32 exec_lo, exec_lo, s1
	global_load_b128 v[74:77], v[86:87], off offset:8192
	s_wait_xcnt 0x0
	s_and_saveexec_b32 s1, vcc_lo
	s_cbranch_execz .LBB160_53
.LBB160_78:                             ;   in Loop: Header=BB160_36 Depth=1
	v_cmp_gt_i32_e64 s0, s21, v0
	s_wait_loadcnt 0x0
	v_dual_lshrrev_b32 v78, 16, v74 :: v_dual_lshrrev_b32 v80, 16, v76
	s_delay_alu instid0(VALU_DEP_2) | instskip(SKIP_1) | instid1(VALU_DEP_1)
	v_cndmask_b32_e64 v74, 0, v74, s0
	v_cmp_gt_i32_e64 s0, s11, v42
	v_dual_lshrrev_b32 v79, 16, v75 :: v_dual_cndmask_b32 v78, 0, v78, s0
	v_cmp_gt_i32_e64 s0, s21, v1
	s_delay_alu instid0(VALU_DEP_2) | instskip(NEXT) | instid1(VALU_DEP_2)
	v_perm_b32 v74, v78, v74, 0x5040100
	v_cndmask_b32_e64 v75, 0, v75, s0
	v_cmp_gt_i32_e64 s0, s11, v41
	s_delay_alu instid0(VALU_DEP_1) | instskip(SKIP_1) | instid1(VALU_DEP_1)
	v_cndmask_b32_e64 v79, 0, v79, s0
	v_cmp_gt_i32_e64 s0, s21, v40
	v_cndmask_b32_e64 v76, 0, v76, s0
	v_cmp_gt_i32_e64 s0, s11, v45
	v_lshrrev_b32_e32 v81, 16, v77
	v_perm_b32 v75, v79, v75, 0x5040100
	s_delay_alu instid0(VALU_DEP_3) | instskip(SKIP_1) | instid1(VALU_DEP_2)
	v_cndmask_b32_e64 v80, 0, v80, s0
	v_cmp_gt_i32_e64 s0, s21, v44
	v_perm_b32 v76, v80, v76, 0x5040100
	s_delay_alu instid0(VALU_DEP_2) | instskip(SKIP_1) | instid1(VALU_DEP_1)
	v_cndmask_b32_e64 v77, 0, v77, s0
	v_cmp_gt_i32_e64 s0, s11, v43
	v_cndmask_b32_e64 v81, 0, v81, s0
	s_delay_alu instid0(VALU_DEP_1)
	v_perm_b32 v77, v81, v77, 0x5040100
	s_or_b32 exec_lo, exec_lo, s1
	global_load_b128 v[78:81], v[86:87], off offset:8704
	s_wait_xcnt 0x0
	s_and_saveexec_b32 s2, vcc_lo
	s_cbranch_execz .LBB160_54
.LBB160_79:                             ;   in Loop: Header=BB160_36 Depth=1
	v_cmp_gt_i32_e64 s0, s21, v0
	v_cmp_gt_i32_e64 s1, s11, v42
	s_wait_loadcnt 0x0
	s_delay_alu instid0(VALU_DEP_2) | instskip(SKIP_1) | instid1(VALU_DEP_2)
	v_dual_lshrrev_b32 v82, 16, v78 :: v_dual_cndmask_b32 v78, 0, v78, s0
	v_cmp_gt_i32_e64 s0, s11, v41
	v_cndmask_b32_e64 v82, 0, v82, s1
	v_cmp_gt_i32_e64 s1, s21, v1
	s_delay_alu instid0(VALU_DEP_2) | instskip(NEXT) | instid1(VALU_DEP_2)
	v_perm_b32 v78, v82, v78, 0x5040100
	v_dual_cndmask_b32 v82, 0, v79, s1 :: v_dual_lshrrev_b32 v79, 16, v79
	v_cmp_gt_i32_e64 s1, s21, v40
	s_delay_alu instid0(VALU_DEP_2) | instskip(SKIP_1) | instid1(VALU_DEP_2)
	v_cndmask_b32_e64 v79, 0, v79, s0
	v_cmp_gt_i32_e64 s0, s11, v45
	v_perm_b32 v79, v79, v82, 0x5040100
	s_delay_alu instid0(VALU_DEP_4) | instskip(SKIP_1) | instid1(VALU_DEP_2)
	v_dual_cndmask_b32 v82, 0, v80, s1 :: v_dual_lshrrev_b32 v80, 16, v80
	v_cmp_gt_i32_e64 s1, s21, v44
	v_cndmask_b32_e64 v80, 0, v80, s0
	v_cmp_gt_i32_e64 s0, s11, v43
	s_delay_alu instid0(VALU_DEP_2) | instskip(NEXT) | instid1(VALU_DEP_4)
	v_perm_b32 v80, v80, v82, 0x5040100
	v_dual_cndmask_b32 v82, 0, v81, s1 :: v_dual_lshrrev_b32 v81, 16, v81
	s_delay_alu instid0(VALU_DEP_1) | instskip(NEXT) | instid1(VALU_DEP_1)
	v_cndmask_b32_e64 v81, 0, v81, s0
	v_perm_b32 v81, v81, v82, 0x5040100
	s_or_b32 exec_lo, exec_lo, s2
	global_load_b128 v[82:85], v[86:87], off offset:9216
	s_wait_xcnt 0x0
	s_and_saveexec_b32 s2, vcc_lo
	s_cbranch_execz .LBB160_55
.LBB160_80:                             ;   in Loop: Header=BB160_36 Depth=1
	v_cmp_gt_i32_e64 s0, s21, v0
	v_cmp_gt_i32_e64 s1, s11, v42
	s_wait_loadcnt 0x0
	s_delay_alu instid0(VALU_DEP_2) | instskip(SKIP_1) | instid1(VALU_DEP_2)
	v_dual_lshrrev_b32 v88, 16, v82 :: v_dual_cndmask_b32 v82, 0, v82, s0
	v_cmp_gt_i32_e64 s0, s11, v41
	v_cndmask_b32_e64 v88, 0, v88, s1
	v_cmp_gt_i32_e64 s1, s21, v1
	s_delay_alu instid0(VALU_DEP_2) | instskip(NEXT) | instid1(VALU_DEP_2)
	v_perm_b32 v82, v88, v82, 0x5040100
	v_dual_cndmask_b32 v88, 0, v83, s1 :: v_dual_lshrrev_b32 v83, 16, v83
	v_cmp_gt_i32_e64 s1, s21, v40
	s_delay_alu instid0(VALU_DEP_2) | instskip(SKIP_1) | instid1(VALU_DEP_2)
	v_cndmask_b32_e64 v83, 0, v83, s0
	v_cmp_gt_i32_e64 s0, s11, v45
	v_perm_b32 v83, v83, v88, 0x5040100
	s_delay_alu instid0(VALU_DEP_4) | instskip(SKIP_1) | instid1(VALU_DEP_2)
	v_dual_cndmask_b32 v88, 0, v84, s1 :: v_dual_lshrrev_b32 v84, 16, v84
	v_cmp_gt_i32_e64 s1, s21, v44
	v_cndmask_b32_e64 v84, 0, v84, s0
	v_cmp_gt_i32_e64 s0, s11, v43
	s_delay_alu instid0(VALU_DEP_2) | instskip(NEXT) | instid1(VALU_DEP_4)
	v_perm_b32 v84, v84, v88, 0x5040100
	v_dual_cndmask_b32 v88, 0, v85, s1 :: v_dual_lshrrev_b32 v85, 16, v85
	s_delay_alu instid0(VALU_DEP_1) | instskip(NEXT) | instid1(VALU_DEP_1)
	v_cndmask_b32_e64 v85, 0, v85, s0
	v_perm_b32 v85, v85, v88, 0x5040100
	s_or_b32 exec_lo, exec_lo, s2
	global_load_b128 v[90:93], v[86:87], off offset:9728
	s_wait_xcnt 0x0
	s_and_saveexec_b32 s2, vcc_lo
	s_cbranch_execz .LBB160_56
.LBB160_81:                             ;   in Loop: Header=BB160_36 Depth=1
	v_cmp_gt_i32_e64 s0, s21, v0
	v_cmp_gt_i32_e64 s1, s11, v42
	s_wait_loadcnt 0x0
	s_delay_alu instid0(VALU_DEP_2) | instskip(SKIP_1) | instid1(VALU_DEP_2)
	v_dual_lshrrev_b32 v88, 16, v90 :: v_dual_cndmask_b32 v89, 0, v90, s0
	v_cmp_gt_i32_e64 s0, s11, v41
	v_cndmask_b32_e64 v88, 0, v88, s1
	v_cmp_gt_i32_e64 s1, s21, v1
	s_delay_alu instid0(VALU_DEP_2) | instskip(NEXT) | instid1(VALU_DEP_2)
	v_perm_b32 v90, v88, v89, 0x5040100
	v_dual_lshrrev_b32 v89, 16, v91 :: v_dual_cndmask_b32 v88, 0, v91, s1
	v_cmp_gt_i32_e64 s1, s21, v40
	s_delay_alu instid0(VALU_DEP_2) | instskip(SKIP_1) | instid1(VALU_DEP_2)
	v_cndmask_b32_e64 v89, 0, v89, s0
	v_cmp_gt_i32_e64 s0, s11, v45
	v_perm_b32 v91, v89, v88, 0x5040100
	s_delay_alu instid0(VALU_DEP_4) | instskip(SKIP_1) | instid1(VALU_DEP_2)
	v_dual_cndmask_b32 v88, 0, v92, s1 :: v_dual_lshrrev_b32 v89, 16, v92
	v_cmp_gt_i32_e64 s1, s21, v44
	v_cndmask_b32_e64 v89, 0, v89, s0
	v_cmp_gt_i32_e64 s0, s11, v43
	s_delay_alu instid0(VALU_DEP_2) | instskip(NEXT) | instid1(VALU_DEP_4)
	v_perm_b32 v92, v89, v88, 0x5040100
	v_dual_cndmask_b32 v88, 0, v93, s1 :: v_dual_lshrrev_b32 v89, 16, v93
	s_delay_alu instid0(VALU_DEP_1) | instskip(NEXT) | instid1(VALU_DEP_1)
	v_cndmask_b32_e64 v89, 0, v89, s0
	v_perm_b32 v93, v89, v88, 0x5040100
	s_or_b32 exec_lo, exec_lo, s2
	global_load_b128 v[94:97], v[86:87], off offset:10240
	s_wait_xcnt 0x0
	s_and_saveexec_b32 s2, vcc_lo
	s_cbranch_execz .LBB160_57
.LBB160_82:                             ;   in Loop: Header=BB160_36 Depth=1
	v_cmp_gt_i32_e64 s0, s21, v0
	v_cmp_gt_i32_e64 s1, s11, v42
	s_wait_loadcnt 0x0
	s_delay_alu instid0(VALU_DEP_2) | instskip(SKIP_1) | instid1(VALU_DEP_2)
	v_dual_lshrrev_b32 v88, 16, v94 :: v_dual_cndmask_b32 v89, 0, v94, s0
	v_cmp_gt_i32_e64 s0, s11, v41
	v_cndmask_b32_e64 v88, 0, v88, s1
	v_cmp_gt_i32_e64 s1, s21, v1
	s_delay_alu instid0(VALU_DEP_2) | instskip(NEXT) | instid1(VALU_DEP_2)
	v_perm_b32 v94, v88, v89, 0x5040100
	v_dual_lshrrev_b32 v89, 16, v95 :: v_dual_cndmask_b32 v88, 0, v95, s1
	v_cmp_gt_i32_e64 s1, s21, v40
	s_delay_alu instid0(VALU_DEP_2) | instskip(SKIP_1) | instid1(VALU_DEP_2)
	v_cndmask_b32_e64 v89, 0, v89, s0
	v_cmp_gt_i32_e64 s0, s11, v45
	v_perm_b32 v95, v89, v88, 0x5040100
	s_delay_alu instid0(VALU_DEP_4) | instskip(SKIP_1) | instid1(VALU_DEP_2)
	v_dual_cndmask_b32 v88, 0, v96, s1 :: v_dual_lshrrev_b32 v89, 16, v96
	v_cmp_gt_i32_e64 s1, s21, v44
	v_cndmask_b32_e64 v89, 0, v89, s0
	v_cmp_gt_i32_e64 s0, s11, v43
	s_delay_alu instid0(VALU_DEP_2) | instskip(NEXT) | instid1(VALU_DEP_4)
	v_perm_b32 v96, v89, v88, 0x5040100
	v_dual_cndmask_b32 v88, 0, v97, s1 :: v_dual_lshrrev_b32 v89, 16, v97
	s_delay_alu instid0(VALU_DEP_1) | instskip(NEXT) | instid1(VALU_DEP_1)
	v_cndmask_b32_e64 v89, 0, v89, s0
	v_perm_b32 v97, v89, v88, 0x5040100
	s_or_b32 exec_lo, exec_lo, s2
	global_load_b128 v[98:101], v[86:87], off offset:10752
	s_wait_xcnt 0x0
	s_and_saveexec_b32 s2, vcc_lo
	s_cbranch_execz .LBB160_58
.LBB160_83:                             ;   in Loop: Header=BB160_36 Depth=1
	v_cmp_gt_i32_e64 s0, s21, v0
	v_cmp_gt_i32_e64 s1, s11, v42
	s_wait_loadcnt 0x0
	s_delay_alu instid0(VALU_DEP_2) | instskip(SKIP_1) | instid1(VALU_DEP_2)
	v_dual_lshrrev_b32 v88, 16, v98 :: v_dual_cndmask_b32 v89, 0, v98, s0
	v_cmp_gt_i32_e64 s0, s11, v41
	v_cndmask_b32_e64 v88, 0, v88, s1
	v_cmp_gt_i32_e64 s1, s21, v1
	s_delay_alu instid0(VALU_DEP_2) | instskip(NEXT) | instid1(VALU_DEP_2)
	v_perm_b32 v98, v88, v89, 0x5040100
	v_dual_lshrrev_b32 v89, 16, v99 :: v_dual_cndmask_b32 v88, 0, v99, s1
	v_cmp_gt_i32_e64 s1, s21, v40
	s_delay_alu instid0(VALU_DEP_2) | instskip(SKIP_1) | instid1(VALU_DEP_2)
	v_cndmask_b32_e64 v89, 0, v89, s0
	v_cmp_gt_i32_e64 s0, s11, v45
	v_perm_b32 v99, v89, v88, 0x5040100
	s_delay_alu instid0(VALU_DEP_4) | instskip(SKIP_1) | instid1(VALU_DEP_2)
	v_dual_cndmask_b32 v88, 0, v100, s1 :: v_dual_lshrrev_b32 v89, 16, v100
	v_cmp_gt_i32_e64 s1, s21, v44
	v_cndmask_b32_e64 v89, 0, v89, s0
	v_cmp_gt_i32_e64 s0, s11, v43
	s_delay_alu instid0(VALU_DEP_2) | instskip(NEXT) | instid1(VALU_DEP_4)
	v_perm_b32 v100, v89, v88, 0x5040100
	v_dual_cndmask_b32 v88, 0, v101, s1 :: v_dual_lshrrev_b32 v89, 16, v101
	s_delay_alu instid0(VALU_DEP_1) | instskip(NEXT) | instid1(VALU_DEP_1)
	v_cndmask_b32_e64 v89, 0, v89, s0
	v_perm_b32 v101, v89, v88, 0x5040100
	s_or_b32 exec_lo, exec_lo, s2
	global_load_b128 v[102:105], v[86:87], off offset:11264
	s_wait_xcnt 0x0
	s_and_saveexec_b32 s2, vcc_lo
	s_cbranch_execnz .LBB160_59
	s_branch .LBB160_60
.LBB160_84:
	s_or_b32 exec_lo, exec_lo, s10
	s_clause 0x1
	scratch_load_b64 v[44:45], off, off
	scratch_load_b64 v[40:41], off, off offset:8
.LBB160_85:
	s_wait_xcnt 0x0
	s_or_b32 exec_lo, exec_lo, s22
	s_clause 0x1
	scratch_load_b32 v25, off, off offset:96 th:TH_LOAD_LU
	scratch_load_b32 v58, off, off offset:88 th:TH_LOAD_LU
	s_mov_b32 s0, exec_lo
	s_wait_loadcnt 0x1
	ds_bpermute_b32 v0, v25, v106
	ds_bpermute_b32 v1, v25, v107
	;; [unrolled: 1-line block ×21, first 2 shown]
	s_wait_dscnt 0x13
	v_pk_add_f32 v[0:1], v[106:107], v[0:1]
	ds_bpermute_b32 v23, v25, v113
	s_wait_dscnt 0x12
	v_pk_add_f32 v[2:3], v[126:127], v[2:3]
	ds_bpermute_b32 v24, v25, v108
	s_wait_dscnt 0x11
	v_pk_add_f32 v[10:11], v[118:119], v[10:11]
	s_wait_loadcnt 0x0
	ds_bpermute_b32 v18, v58, v0
	ds_bpermute_b32 v19, v58, v1
	;; [unrolled: 1-line block ×6, first 2 shown]
	s_wait_dscnt 0x15
	v_pk_add_f32 v[48:49], v[114:115], v[20:21]
	ds_bpermute_b32 v25, v25, v109
	s_wait_dscnt 0x14
	v_pk_add_f32 v[4:5], v[124:125], v[4:5]
	s_wait_dscnt 0x12
	v_pk_add_f32 v[6:7], v[122:123], v[6:7]
	;; [unrolled: 2-line block ×6, first 2 shown]
	ds_bpermute_b32 v28, v58, v4
	ds_bpermute_b32 v29, v58, v5
	s_wait_dscnt 0xa
	v_pk_add_f32 v[50:51], v[112:113], v[22:23]
	ds_bpermute_b32 v30, v58, v6
	ds_bpermute_b32 v31, v58, v7
	ds_bpermute_b32 v32, v58, v8
	ds_bpermute_b32 v33, v58, v9
	s_wait_dscnt 0xb
	v_pk_add_f32 v[20:21], v[0:1], v[18:19]
	ds_bpermute_b32 v42, v58, v34
	s_wait_dscnt 0xa
	v_pk_add_f32 v[18:19], v[2:3], v[26:27]
	scratch_load_b32 v26, off, off offset:576 ; 4-byte Folded Reload
	s_wait_dscnt 0x8
	v_pk_add_f32 v[10:11], v[10:11], v[36:37]
	scratch_load_b32 v36, off, off offset:584 ; 4-byte Folded Reload
	ds_bpermute_b32 v43, v58, v35
	ds_bpermute_b32 v46, v58, v40
	;; [unrolled: 1-line block ×9, first 2 shown]
	s_wait_dscnt 0x10
	v_pk_add_f32 v[22:23], v[108:109], v[24:25]
	s_wait_dscnt 0xe
	v_pk_add_f32 v[16:17], v[4:5], v[28:29]
	;; [unrolled: 2-line block ×3, first 2 shown]
	s_wait_storecnt 0x0
	s_wait_loadcnt_dscnt 0x0
	v_pk_add_f32 v[12:13], v[8:9], v[32:33]
	ds_bpermute_b32 v24, v58, v22
	ds_bpermute_b32 v25, v58, v23
	s_barrier_signal -1
	s_barrier_wait -1
	s_wait_dscnt 0x0
	v_pk_add_f32 v[8:9], v[34:35], v[42:43]
	v_pk_add_f32 v[6:7], v[40:41], v[46:47]
	v_pk_add_f32 v[4:5], v[44:45], v[52:53]
	v_pk_add_f32 v[2:3], v[48:49], v[54:55]
	v_pk_add_f32 v[0:1], v[50:51], v[56:57]
	v_and_b32_e32 v26, 28, v26
	v_and_b32_e32 v27, 0x3c3, v36
	s_delay_alu instid0(VALU_DEP_1) | instskip(SKIP_1) | instid1(SALU_CYCLE_1)
	v_cmpx_ne_u32_e32 64, v27
	s_xor_b32 s0, exec_lo, s0
	s_or_saveexec_b32 s0, s0
	v_pk_add_f32 v[22:23], v[22:23], v[24:25]
	scratch_load_b32 v24, off, off offset:576 th:TH_LOAD_LU ; 4-byte Folded Reload
	v_add_nc_u32_e32 v25, 0x1a0, v26
	scratch_load_b32 v26, off, off offset:580 th:TH_LOAD_LU ; 4-byte Folded Reload
	s_wait_loadcnt 0x1
	v_lshrrev_b32_e32 v24, 2, v24
	s_wait_loadcnt 0x0
	v_mul_u32_u24_e32 v26, 0x300, v26
	s_xor_b32 exec_lo, exec_lo, s0
	s_cbranch_execz .LBB160_87
; %bb.86:
	s_delay_alu instid0(VALU_DEP_1) | instskip(NEXT) | instid1(VALU_DEP_1)
	v_add_nc_u32_e32 v27, v25, v26
	v_add_nc_u32_e32 v28, 0xfffffa00, v27
	;; [unrolled: 1-line block ×9, first 2 shown]
	ds_store_b32 v28, v20
	ds_store_b32 v29, v21
	;; [unrolled: 1-line block ×8, first 2 shown]
	v_add_nc_u32_e32 v28, 0xfffffb00, v27
	v_add_nc_u32_e32 v29, 0xfffffb20, v27
	;; [unrolled: 1-line block ×8, first 2 shown]
	ds_store_b32 v28, v12
	ds_store_b32 v29, v13
	;; [unrolled: 1-line block ×8, first 2 shown]
	v_add_nc_u32_e32 v28, 0xfffffc00, v27
	v_add_nc_u32_e32 v29, 0xfffffc20, v27
	;; [unrolled: 1-line block ×8, first 2 shown]
	ds_store_b32 v28, v4
	ds_store_b32 v29, v5
	;; [unrolled: 1-line block ×8, first 2 shown]
.LBB160_87:
	s_or_b32 exec_lo, exec_lo, s0
	scratch_load_b32 v27, off, off offset:80 th:TH_LOAD_LU ; 4-byte Folded Reload
	v_lshlrev_b32_e32 v24, 2, v24
	s_mov_b32 s1, exec_lo
	s_wait_loadcnt_dscnt 0x0
	s_barrier_signal -1
	s_barrier_wait -1
	v_add3_u32 v24, 0x1a0, v26, v24
	v_cmp_eq_u32_e32 vcc_lo, 0, v27
	v_cmpx_gt_u32_e32 64, v36
	s_cbranch_execz .LBB160_114
; %bb.88:
	s_and_saveexec_b32 s0, vcc_lo
	s_cbranch_execnz .LBB160_146
; %bb.89:
	s_or_b32 exec_lo, exec_lo, s0
	s_and_saveexec_b32 s0, vcc_lo
	s_cbranch_execnz .LBB160_147
.LBB160_90:
	s_or_b32 exec_lo, exec_lo, s0
	s_and_saveexec_b32 s0, vcc_lo
	s_cbranch_execnz .LBB160_148
.LBB160_91:
	s_or_b32 exec_lo, exec_lo, s0
	s_and_saveexec_b32 s0, vcc_lo
	s_cbranch_execnz .LBB160_149
.LBB160_92:
	s_or_b32 exec_lo, exec_lo, s0
	s_and_saveexec_b32 s0, vcc_lo
	s_cbranch_execnz .LBB160_150
.LBB160_93:
	s_or_b32 exec_lo, exec_lo, s0
	s_and_saveexec_b32 s0, vcc_lo
	s_cbranch_execnz .LBB160_151
.LBB160_94:
	s_or_b32 exec_lo, exec_lo, s0
	s_and_saveexec_b32 s0, vcc_lo
	s_cbranch_execnz .LBB160_152
.LBB160_95:
	s_or_b32 exec_lo, exec_lo, s0
	s_and_saveexec_b32 s0, vcc_lo
	s_cbranch_execnz .LBB160_153
.LBB160_96:
	s_or_b32 exec_lo, exec_lo, s0
	s_and_saveexec_b32 s0, vcc_lo
	s_cbranch_execnz .LBB160_154
.LBB160_97:
	s_or_b32 exec_lo, exec_lo, s0
	s_and_saveexec_b32 s0, vcc_lo
	s_cbranch_execnz .LBB160_155
.LBB160_98:
	s_or_b32 exec_lo, exec_lo, s0
	s_and_saveexec_b32 s0, vcc_lo
	s_cbranch_execnz .LBB160_156
.LBB160_99:
	s_or_b32 exec_lo, exec_lo, s0
	s_and_saveexec_b32 s0, vcc_lo
	s_cbranch_execnz .LBB160_157
.LBB160_100:
	s_or_b32 exec_lo, exec_lo, s0
	s_and_saveexec_b32 s0, vcc_lo
	s_cbranch_execnz .LBB160_158
.LBB160_101:
	s_or_b32 exec_lo, exec_lo, s0
	s_and_saveexec_b32 s0, vcc_lo
	s_cbranch_execnz .LBB160_159
.LBB160_102:
	s_or_b32 exec_lo, exec_lo, s0
	s_and_saveexec_b32 s0, vcc_lo
	s_cbranch_execnz .LBB160_160
.LBB160_103:
	s_or_b32 exec_lo, exec_lo, s0
	s_and_saveexec_b32 s0, vcc_lo
	s_cbranch_execnz .LBB160_161
.LBB160_104:
	s_or_b32 exec_lo, exec_lo, s0
	s_and_saveexec_b32 s0, vcc_lo
	s_cbranch_execnz .LBB160_162
.LBB160_105:
	s_or_b32 exec_lo, exec_lo, s0
	s_and_saveexec_b32 s0, vcc_lo
	s_cbranch_execnz .LBB160_163
.LBB160_106:
	s_or_b32 exec_lo, exec_lo, s0
	s_and_saveexec_b32 s0, vcc_lo
	s_cbranch_execnz .LBB160_164
.LBB160_107:
	s_or_b32 exec_lo, exec_lo, s0
	s_and_saveexec_b32 s0, vcc_lo
	s_cbranch_execnz .LBB160_165
.LBB160_108:
	s_or_b32 exec_lo, exec_lo, s0
	s_and_saveexec_b32 s0, vcc_lo
	s_cbranch_execnz .LBB160_166
.LBB160_109:
	s_or_b32 exec_lo, exec_lo, s0
	s_and_saveexec_b32 s0, vcc_lo
	s_cbranch_execnz .LBB160_167
.LBB160_110:
	s_or_b32 exec_lo, exec_lo, s0
	s_and_saveexec_b32 s0, vcc_lo
	s_cbranch_execnz .LBB160_168
.LBB160_111:
	s_or_b32 exec_lo, exec_lo, s0
	s_and_saveexec_b32 s0, vcc_lo
	s_cbranch_execz .LBB160_113
.LBB160_112:
	ds_load_b32 v26, v24 offset:736
	s_wait_dscnt 0x0
	v_add_f32_e32 v23, v23, v26
.LBB160_113:
	s_or_b32 exec_lo, exec_lo, s0
.LBB160_114:
	s_delay_alu instid0(SALU_CYCLE_1) | instskip(SKIP_4) | instid1(VALU_DEP_1)
	s_or_b32 exec_lo, exec_lo, s1
	v_and_b32_e32 v26, 0x3e3, v36
	s_mov_b32 s1, exec_lo
	s_barrier_signal -1
	s_barrier_wait -1
	v_cmpx_eq_u32_e32 32, v26
	s_cbranch_execz .LBB160_116
; %bb.115:
	ds_store_2addr_b32 v25, v20, v21 offset1:8
	ds_store_2addr_b32 v25, v18, v19 offset0:16 offset1:24
	ds_store_2addr_b32 v25, v16, v17 offset0:32 offset1:40
	;; [unrolled: 1-line block ×11, first 2 shown]
.LBB160_116:
	s_or_b32 exec_lo, exec_lo, s1
	s_delay_alu instid0(SALU_CYCLE_1)
	s_mov_b32 s1, exec_lo
	s_wait_dscnt 0x0
	s_barrier_signal -1
	s_barrier_wait -1
	v_cmpx_gt_u32_e32 32, v36
	s_cbranch_execz .LBB160_143
; %bb.117:
	s_and_saveexec_b32 s0, vcc_lo
	s_cbranch_execnz .LBB160_169
; %bb.118:
	s_or_b32 exec_lo, exec_lo, s0
	s_and_saveexec_b32 s0, vcc_lo
	s_cbranch_execnz .LBB160_170
.LBB160_119:
	s_or_b32 exec_lo, exec_lo, s0
	s_and_saveexec_b32 s0, vcc_lo
	s_cbranch_execnz .LBB160_171
.LBB160_120:
	s_or_b32 exec_lo, exec_lo, s0
	s_and_saveexec_b32 s0, vcc_lo
	s_cbranch_execnz .LBB160_172
.LBB160_121:
	s_or_b32 exec_lo, exec_lo, s0
	s_and_saveexec_b32 s0, vcc_lo
	s_cbranch_execnz .LBB160_173
.LBB160_122:
	s_or_b32 exec_lo, exec_lo, s0
	s_and_saveexec_b32 s0, vcc_lo
	s_cbranch_execnz .LBB160_174
.LBB160_123:
	s_or_b32 exec_lo, exec_lo, s0
	s_and_saveexec_b32 s0, vcc_lo
	s_cbranch_execnz .LBB160_175
.LBB160_124:
	s_or_b32 exec_lo, exec_lo, s0
	s_and_saveexec_b32 s0, vcc_lo
	s_cbranch_execnz .LBB160_176
.LBB160_125:
	s_or_b32 exec_lo, exec_lo, s0
	s_and_saveexec_b32 s0, vcc_lo
	s_cbranch_execnz .LBB160_177
.LBB160_126:
	s_or_b32 exec_lo, exec_lo, s0
	s_and_saveexec_b32 s0, vcc_lo
	s_cbranch_execnz .LBB160_178
.LBB160_127:
	s_or_b32 exec_lo, exec_lo, s0
	s_and_saveexec_b32 s0, vcc_lo
	s_cbranch_execnz .LBB160_179
.LBB160_128:
	s_or_b32 exec_lo, exec_lo, s0
	s_and_saveexec_b32 s0, vcc_lo
	s_cbranch_execnz .LBB160_180
.LBB160_129:
	s_or_b32 exec_lo, exec_lo, s0
	s_and_saveexec_b32 s0, vcc_lo
	s_cbranch_execnz .LBB160_181
.LBB160_130:
	s_or_b32 exec_lo, exec_lo, s0
	s_and_saveexec_b32 s0, vcc_lo
	s_cbranch_execnz .LBB160_182
.LBB160_131:
	s_or_b32 exec_lo, exec_lo, s0
	s_and_saveexec_b32 s0, vcc_lo
	s_cbranch_execnz .LBB160_183
.LBB160_132:
	s_or_b32 exec_lo, exec_lo, s0
	s_and_saveexec_b32 s0, vcc_lo
	s_cbranch_execnz .LBB160_184
.LBB160_133:
	s_or_b32 exec_lo, exec_lo, s0
	s_and_saveexec_b32 s0, vcc_lo
	s_cbranch_execnz .LBB160_185
.LBB160_134:
	s_or_b32 exec_lo, exec_lo, s0
	s_and_saveexec_b32 s0, vcc_lo
	s_cbranch_execnz .LBB160_186
.LBB160_135:
	s_or_b32 exec_lo, exec_lo, s0
	s_and_saveexec_b32 s0, vcc_lo
	s_cbranch_execnz .LBB160_187
.LBB160_136:
	s_or_b32 exec_lo, exec_lo, s0
	s_and_saveexec_b32 s0, vcc_lo
	s_cbranch_execnz .LBB160_188
.LBB160_137:
	s_or_b32 exec_lo, exec_lo, s0
	s_and_saveexec_b32 s0, vcc_lo
	s_cbranch_execnz .LBB160_189
.LBB160_138:
	s_or_b32 exec_lo, exec_lo, s0
	s_and_saveexec_b32 s0, vcc_lo
	s_cbranch_execnz .LBB160_190
.LBB160_139:
	s_or_b32 exec_lo, exec_lo, s0
	s_and_saveexec_b32 s0, vcc_lo
	s_cbranch_execnz .LBB160_191
.LBB160_140:
	s_or_b32 exec_lo, exec_lo, s0
	s_and_saveexec_b32 s0, vcc_lo
	s_cbranch_execz .LBB160_142
.LBB160_141:
	ds_load_b32 v24, v24 offset:736
	s_wait_dscnt 0x0
	v_add_f32_e32 v23, v23, v24
.LBB160_142:
	s_or_b32 exec_lo, exec_lo, s0
.LBB160_143:
	s_delay_alu instid0(SALU_CYCLE_1)
	s_or_b32 exec_lo, exec_lo, s1
	s_mov_b32 s1, 0
	s_barrier_signal -1
	s_barrier_wait -1
	s_mov_b32 s0, exec_lo
	v_cmpx_eq_u32_e32 0, v26
	s_cbranch_execz .LBB160_145
; %bb.144:
	s_mul_i32 s0, s20, s4
	s_mul_i32 s2, s4, s8
	;; [unrolled: 1-line block ×3, first 2 shown]
	s_lshr_b32 s8, ttmp7, 16
	s_mul_i32 s4, s0, 0xc0
	s_bfe_u32 s0, ttmp6, 0x40014
	s_ashr_i32 s5, s4, 31
	s_add_co_i32 s0, s0, 1
	s_ashr_i32 s3, s2, 31
	s_mul_i32 s0, s8, s0
	s_bfe_u32 s9, ttmp6, 0x40008
	s_lshl_b64 s[4:5], s[4:5], 1
	s_lshl_b64 s[2:3], s[2:3], 1
	s_add_co_i32 s9, s9, s0
	s_cmp_eq_u32 s18, 0
	s_wait_kmcnt 0x0
	s_add_nc_u64 s[4:5], s[6:7], s[4:5]
	s_cselect_b32 s0, s8, s9
	s_add_nc_u64 s[2:3], s[4:5], s[2:3]
	s_mulk_i32 s0, 0x180
	v_lshrrev_b32_e32 v24, 1, v36
	s_add_nc_u64 s[0:1], s[2:3], s[0:1]
	s_delay_alu instid0(SALU_CYCLE_1)
	v_cvt_pk_bf16_f32 v20, v20, s0
	v_cvt_pk_bf16_f32 v12, v12, s0
	;; [unrolled: 1-line block ×20, first 2 shown]
	s_clause 0x7
	global_store_b16 v24, v20, s[0:1]
	global_store_b16 v24, v21, s[0:1] offset:16
	global_store_b16 v24, v18, s[0:1] offset:32
	;; [unrolled: 1-line block ×7, first 2 shown]
	v_cvt_pk_bf16_f32 v9, v9, s0
	s_clause 0x7
	global_store_b16 v24, v12, s[0:1] offset:128
	global_store_b16 v24, v13, s[0:1] offset:144
	;; [unrolled: 1-line block ×8, first 2 shown]
	v_cvt_pk_bf16_f32 v1, v1, s0
	s_wait_xcnt 0x1
	v_cvt_pk_bf16_f32 v6, v22, s0
	s_wait_xcnt 0x0
	v_cvt_pk_bf16_f32 v7, v23, s0
	s_clause 0x7
	global_store_b16 v24, v4, s[0:1] offset:256
	global_store_b16 v24, v5, s[0:1] offset:272
	;; [unrolled: 1-line block ×8, first 2 shown]
.LBB160_145:
	s_sendmsg sendmsg(MSG_DEALLOC_VGPRS)
	s_endpgm
.LBB160_146:
	ds_load_b32 v26, v24
	s_wait_dscnt 0x0
	v_add_f32_e32 v20, v20, v26
	s_or_b32 exec_lo, exec_lo, s0
	s_and_saveexec_b32 s0, vcc_lo
	s_cbranch_execz .LBB160_90
.LBB160_147:
	ds_load_b32 v26, v24 offset:32
	s_wait_dscnt 0x0
	v_add_f32_e32 v21, v21, v26
	s_or_b32 exec_lo, exec_lo, s0
	s_and_saveexec_b32 s0, vcc_lo
	s_cbranch_execz .LBB160_91
.LBB160_148:
	ds_load_b32 v26, v24 offset:64
	s_wait_dscnt 0x0
	v_add_f32_e32 v18, v18, v26
	s_or_b32 exec_lo, exec_lo, s0
	s_and_saveexec_b32 s0, vcc_lo
	s_cbranch_execz .LBB160_92
.LBB160_149:
	ds_load_b32 v26, v24 offset:96
	s_wait_dscnt 0x0
	v_add_f32_e32 v19, v19, v26
	s_or_b32 exec_lo, exec_lo, s0
	s_and_saveexec_b32 s0, vcc_lo
	s_cbranch_execz .LBB160_93
.LBB160_150:
	ds_load_b32 v26, v24 offset:128
	s_wait_dscnt 0x0
	v_add_f32_e32 v16, v16, v26
	s_or_b32 exec_lo, exec_lo, s0
	s_and_saveexec_b32 s0, vcc_lo
	s_cbranch_execz .LBB160_94
.LBB160_151:
	ds_load_b32 v26, v24 offset:160
	s_wait_dscnt 0x0
	v_add_f32_e32 v17, v17, v26
	s_or_b32 exec_lo, exec_lo, s0
	s_and_saveexec_b32 s0, vcc_lo
	s_cbranch_execz .LBB160_95
.LBB160_152:
	ds_load_b32 v26, v24 offset:192
	s_wait_dscnt 0x0
	v_add_f32_e32 v14, v14, v26
	s_or_b32 exec_lo, exec_lo, s0
	s_and_saveexec_b32 s0, vcc_lo
	s_cbranch_execz .LBB160_96
.LBB160_153:
	ds_load_b32 v26, v24 offset:224
	s_wait_dscnt 0x0
	v_add_f32_e32 v15, v15, v26
	s_or_b32 exec_lo, exec_lo, s0
	s_and_saveexec_b32 s0, vcc_lo
	s_cbranch_execz .LBB160_97
.LBB160_154:
	ds_load_b32 v26, v24 offset:256
	s_wait_dscnt 0x0
	v_add_f32_e32 v12, v12, v26
	s_or_b32 exec_lo, exec_lo, s0
	s_and_saveexec_b32 s0, vcc_lo
	s_cbranch_execz .LBB160_98
.LBB160_155:
	ds_load_b32 v26, v24 offset:288
	s_wait_dscnt 0x0
	v_add_f32_e32 v13, v13, v26
	s_or_b32 exec_lo, exec_lo, s0
	s_and_saveexec_b32 s0, vcc_lo
	s_cbranch_execz .LBB160_99
.LBB160_156:
	ds_load_b32 v26, v24 offset:320
	s_wait_dscnt 0x0
	v_add_f32_e32 v10, v10, v26
	s_or_b32 exec_lo, exec_lo, s0
	s_and_saveexec_b32 s0, vcc_lo
	s_cbranch_execz .LBB160_100
.LBB160_157:
	ds_load_b32 v26, v24 offset:352
	s_wait_dscnt 0x0
	v_add_f32_e32 v11, v11, v26
	s_or_b32 exec_lo, exec_lo, s0
	s_and_saveexec_b32 s0, vcc_lo
	s_cbranch_execz .LBB160_101
.LBB160_158:
	ds_load_b32 v26, v24 offset:384
	s_wait_dscnt 0x0
	v_add_f32_e32 v8, v8, v26
	s_or_b32 exec_lo, exec_lo, s0
	s_and_saveexec_b32 s0, vcc_lo
	s_cbranch_execz .LBB160_102
.LBB160_159:
	ds_load_b32 v26, v24 offset:416
	s_wait_dscnt 0x0
	v_add_f32_e32 v9, v9, v26
	s_or_b32 exec_lo, exec_lo, s0
	s_and_saveexec_b32 s0, vcc_lo
	s_cbranch_execz .LBB160_103
.LBB160_160:
	ds_load_b32 v26, v24 offset:448
	s_wait_dscnt 0x0
	v_add_f32_e32 v6, v6, v26
	s_or_b32 exec_lo, exec_lo, s0
	s_and_saveexec_b32 s0, vcc_lo
	s_cbranch_execz .LBB160_104
.LBB160_161:
	ds_load_b32 v26, v24 offset:480
	s_wait_dscnt 0x0
	v_add_f32_e32 v7, v7, v26
	s_or_b32 exec_lo, exec_lo, s0
	s_and_saveexec_b32 s0, vcc_lo
	s_cbranch_execz .LBB160_105
.LBB160_162:
	ds_load_b32 v26, v24 offset:512
	s_wait_dscnt 0x0
	v_add_f32_e32 v4, v4, v26
	s_or_b32 exec_lo, exec_lo, s0
	s_and_saveexec_b32 s0, vcc_lo
	s_cbranch_execz .LBB160_106
.LBB160_163:
	ds_load_b32 v26, v24 offset:544
	s_wait_dscnt 0x0
	v_add_f32_e32 v5, v5, v26
	s_or_b32 exec_lo, exec_lo, s0
	s_and_saveexec_b32 s0, vcc_lo
	s_cbranch_execz .LBB160_107
.LBB160_164:
	ds_load_b32 v26, v24 offset:576
	s_wait_dscnt 0x0
	v_add_f32_e32 v2, v2, v26
	s_or_b32 exec_lo, exec_lo, s0
	s_and_saveexec_b32 s0, vcc_lo
	s_cbranch_execz .LBB160_108
.LBB160_165:
	ds_load_b32 v26, v24 offset:608
	s_wait_dscnt 0x0
	v_add_f32_e32 v3, v3, v26
	s_or_b32 exec_lo, exec_lo, s0
	s_and_saveexec_b32 s0, vcc_lo
	s_cbranch_execz .LBB160_109
.LBB160_166:
	ds_load_b32 v26, v24 offset:640
	s_wait_dscnt 0x0
	v_add_f32_e32 v0, v0, v26
	s_or_b32 exec_lo, exec_lo, s0
	s_and_saveexec_b32 s0, vcc_lo
	s_cbranch_execz .LBB160_110
.LBB160_167:
	ds_load_b32 v26, v24 offset:672
	s_wait_dscnt 0x0
	v_add_f32_e32 v1, v1, v26
	s_or_b32 exec_lo, exec_lo, s0
	s_and_saveexec_b32 s0, vcc_lo
	s_cbranch_execz .LBB160_111
.LBB160_168:
	ds_load_b32 v26, v24 offset:704
	s_wait_dscnt 0x0
	v_add_f32_e32 v22, v22, v26
	s_or_b32 exec_lo, exec_lo, s0
	s_and_saveexec_b32 s0, vcc_lo
	s_cbranch_execnz .LBB160_112
	s_branch .LBB160_113
.LBB160_169:
	ds_load_b32 v25, v24
	s_wait_dscnt 0x0
	v_add_f32_e32 v20, v20, v25
	s_or_b32 exec_lo, exec_lo, s0
	s_and_saveexec_b32 s0, vcc_lo
	s_cbranch_execz .LBB160_119
.LBB160_170:
	ds_load_b32 v25, v24 offset:32
	s_wait_dscnt 0x0
	v_add_f32_e32 v21, v21, v25
	s_or_b32 exec_lo, exec_lo, s0
	s_and_saveexec_b32 s0, vcc_lo
	s_cbranch_execz .LBB160_120
.LBB160_171:
	ds_load_b32 v25, v24 offset:64
	s_wait_dscnt 0x0
	v_add_f32_e32 v18, v18, v25
	s_or_b32 exec_lo, exec_lo, s0
	s_and_saveexec_b32 s0, vcc_lo
	s_cbranch_execz .LBB160_121
.LBB160_172:
	ds_load_b32 v25, v24 offset:96
	s_wait_dscnt 0x0
	v_add_f32_e32 v19, v19, v25
	s_or_b32 exec_lo, exec_lo, s0
	s_and_saveexec_b32 s0, vcc_lo
	s_cbranch_execz .LBB160_122
.LBB160_173:
	ds_load_b32 v25, v24 offset:128
	s_wait_dscnt 0x0
	v_add_f32_e32 v16, v16, v25
	s_or_b32 exec_lo, exec_lo, s0
	s_and_saveexec_b32 s0, vcc_lo
	s_cbranch_execz .LBB160_123
.LBB160_174:
	ds_load_b32 v25, v24 offset:160
	s_wait_dscnt 0x0
	v_add_f32_e32 v17, v17, v25
	s_or_b32 exec_lo, exec_lo, s0
	s_and_saveexec_b32 s0, vcc_lo
	s_cbranch_execz .LBB160_124
.LBB160_175:
	ds_load_b32 v25, v24 offset:192
	s_wait_dscnt 0x0
	v_add_f32_e32 v14, v14, v25
	s_or_b32 exec_lo, exec_lo, s0
	s_and_saveexec_b32 s0, vcc_lo
	s_cbranch_execz .LBB160_125
.LBB160_176:
	ds_load_b32 v25, v24 offset:224
	s_wait_dscnt 0x0
	v_add_f32_e32 v15, v15, v25
	s_or_b32 exec_lo, exec_lo, s0
	s_and_saveexec_b32 s0, vcc_lo
	s_cbranch_execz .LBB160_126
.LBB160_177:
	ds_load_b32 v25, v24 offset:256
	s_wait_dscnt 0x0
	v_add_f32_e32 v12, v12, v25
	s_or_b32 exec_lo, exec_lo, s0
	s_and_saveexec_b32 s0, vcc_lo
	s_cbranch_execz .LBB160_127
.LBB160_178:
	ds_load_b32 v25, v24 offset:288
	s_wait_dscnt 0x0
	v_add_f32_e32 v13, v13, v25
	s_or_b32 exec_lo, exec_lo, s0
	s_and_saveexec_b32 s0, vcc_lo
	s_cbranch_execz .LBB160_128
.LBB160_179:
	ds_load_b32 v25, v24 offset:320
	s_wait_dscnt 0x0
	v_add_f32_e32 v10, v10, v25
	s_or_b32 exec_lo, exec_lo, s0
	s_and_saveexec_b32 s0, vcc_lo
	s_cbranch_execz .LBB160_129
.LBB160_180:
	ds_load_b32 v25, v24 offset:352
	s_wait_dscnt 0x0
	v_add_f32_e32 v11, v11, v25
	s_or_b32 exec_lo, exec_lo, s0
	s_and_saveexec_b32 s0, vcc_lo
	s_cbranch_execz .LBB160_130
.LBB160_181:
	ds_load_b32 v25, v24 offset:384
	s_wait_dscnt 0x0
	v_add_f32_e32 v8, v8, v25
	s_or_b32 exec_lo, exec_lo, s0
	s_and_saveexec_b32 s0, vcc_lo
	s_cbranch_execz .LBB160_131
.LBB160_182:
	ds_load_b32 v25, v24 offset:416
	s_wait_dscnt 0x0
	v_add_f32_e32 v9, v9, v25
	s_or_b32 exec_lo, exec_lo, s0
	s_and_saveexec_b32 s0, vcc_lo
	s_cbranch_execz .LBB160_132
.LBB160_183:
	ds_load_b32 v25, v24 offset:448
	s_wait_dscnt 0x0
	v_add_f32_e32 v6, v6, v25
	s_or_b32 exec_lo, exec_lo, s0
	s_and_saveexec_b32 s0, vcc_lo
	s_cbranch_execz .LBB160_133
.LBB160_184:
	ds_load_b32 v25, v24 offset:480
	s_wait_dscnt 0x0
	v_add_f32_e32 v7, v7, v25
	s_or_b32 exec_lo, exec_lo, s0
	s_and_saveexec_b32 s0, vcc_lo
	s_cbranch_execz .LBB160_134
.LBB160_185:
	ds_load_b32 v25, v24 offset:512
	s_wait_dscnt 0x0
	v_add_f32_e32 v4, v4, v25
	s_or_b32 exec_lo, exec_lo, s0
	s_and_saveexec_b32 s0, vcc_lo
	s_cbranch_execz .LBB160_135
.LBB160_186:
	ds_load_b32 v25, v24 offset:544
	s_wait_dscnt 0x0
	v_add_f32_e32 v5, v5, v25
	s_or_b32 exec_lo, exec_lo, s0
	s_and_saveexec_b32 s0, vcc_lo
	s_cbranch_execz .LBB160_136
.LBB160_187:
	ds_load_b32 v25, v24 offset:576
	s_wait_dscnt 0x0
	v_add_f32_e32 v2, v2, v25
	s_or_b32 exec_lo, exec_lo, s0
	s_and_saveexec_b32 s0, vcc_lo
	s_cbranch_execz .LBB160_137
.LBB160_188:
	ds_load_b32 v25, v24 offset:608
	s_wait_dscnt 0x0
	v_add_f32_e32 v3, v3, v25
	s_or_b32 exec_lo, exec_lo, s0
	s_and_saveexec_b32 s0, vcc_lo
	s_cbranch_execz .LBB160_138
.LBB160_189:
	ds_load_b32 v25, v24 offset:640
	s_wait_dscnt 0x0
	v_add_f32_e32 v0, v0, v25
	s_or_b32 exec_lo, exec_lo, s0
	s_and_saveexec_b32 s0, vcc_lo
	s_cbranch_execz .LBB160_139
.LBB160_190:
	ds_load_b32 v25, v24 offset:672
	s_wait_dscnt 0x0
	v_add_f32_e32 v1, v1, v25
	s_or_b32 exec_lo, exec_lo, s0
	s_and_saveexec_b32 s0, vcc_lo
	s_cbranch_execz .LBB160_140
.LBB160_191:
	ds_load_b32 v25, v24 offset:704
	s_wait_dscnt 0x0
	v_add_f32_e32 v22, v22, v25
	s_or_b32 exec_lo, exec_lo, s0
	s_and_saveexec_b32 s0, vcc_lo
	s_cbranch_execnz .LBB160_141
	s_branch .LBB160_142
	.section	.rodata,"a",@progbits
	.p2align	6, 0x0
	.amdhsa_kernel _ZN4vllm25paged_attention_v1_kernelI14__hip_bfloat16S1_Li192ELi32ELi128ELNS_18Fp8KVCacheDataTypeE0ELb0EEEvPT_PKS3_PKT0_S9_ifPKiSB_iPKfiiiSD_SD_iiiii
		.amdhsa_group_segment_fixed_size 416
		.amdhsa_private_segment_fixed_size 600
		.amdhsa_kernarg_size 384
		.amdhsa_user_sgpr_count 2
		.amdhsa_user_sgpr_dispatch_ptr 0
		.amdhsa_user_sgpr_queue_ptr 0
		.amdhsa_user_sgpr_kernarg_segment_ptr 1
		.amdhsa_user_sgpr_dispatch_id 0
		.amdhsa_user_sgpr_kernarg_preload_length 0
		.amdhsa_user_sgpr_kernarg_preload_offset 0
		.amdhsa_user_sgpr_private_segment_size 0
		.amdhsa_wavefront_size32 1
		.amdhsa_uses_dynamic_stack 0
		.amdhsa_enable_private_segment 1
		.amdhsa_system_sgpr_workgroup_id_x 1
		.amdhsa_system_sgpr_workgroup_id_y 1
		.amdhsa_system_sgpr_workgroup_id_z 1
		.amdhsa_system_sgpr_workgroup_info 0
		.amdhsa_system_vgpr_workitem_id 0
		.amdhsa_next_free_vgpr 128
		.amdhsa_next_free_sgpr 28
		.amdhsa_named_barrier_count 0
		.amdhsa_reserve_vcc 1
		.amdhsa_float_round_mode_32 0
		.amdhsa_float_round_mode_16_64 0
		.amdhsa_float_denorm_mode_32 3
		.amdhsa_float_denorm_mode_16_64 3
		.amdhsa_fp16_overflow 0
		.amdhsa_memory_ordered 1
		.amdhsa_forward_progress 1
		.amdhsa_inst_pref_size 183
		.amdhsa_round_robin_scheduling 0
		.amdhsa_exception_fp_ieee_invalid_op 0
		.amdhsa_exception_fp_denorm_src 0
		.amdhsa_exception_fp_ieee_div_zero 0
		.amdhsa_exception_fp_ieee_overflow 0
		.amdhsa_exception_fp_ieee_underflow 0
		.amdhsa_exception_fp_ieee_inexact 0
		.amdhsa_exception_int_div_zero 0
	.end_amdhsa_kernel
	.section	.text._ZN4vllm25paged_attention_v1_kernelI14__hip_bfloat16S1_Li192ELi32ELi128ELNS_18Fp8KVCacheDataTypeE0ELb0EEEvPT_PKS3_PKT0_S9_ifPKiSB_iPKfiiiSD_SD_iiiii,"axG",@progbits,_ZN4vllm25paged_attention_v1_kernelI14__hip_bfloat16S1_Li192ELi32ELi128ELNS_18Fp8KVCacheDataTypeE0ELb0EEEvPT_PKS3_PKT0_S9_ifPKiSB_iPKfiiiSD_SD_iiiii,comdat
.Lfunc_end160:
	.size	_ZN4vllm25paged_attention_v1_kernelI14__hip_bfloat16S1_Li192ELi32ELi128ELNS_18Fp8KVCacheDataTypeE0ELb0EEEvPT_PKS3_PKT0_S9_ifPKiSB_iPKfiiiSD_SD_iiiii, .Lfunc_end160-_ZN4vllm25paged_attention_v1_kernelI14__hip_bfloat16S1_Li192ELi32ELi128ELNS_18Fp8KVCacheDataTypeE0ELb0EEEvPT_PKS3_PKT0_S9_ifPKiSB_iPKfiiiSD_SD_iiiii
                                        ; -- End function
	.set _ZN4vllm25paged_attention_v1_kernelI14__hip_bfloat16S1_Li192ELi32ELi128ELNS_18Fp8KVCacheDataTypeE0ELb0EEEvPT_PKS3_PKT0_S9_ifPKiSB_iPKfiiiSD_SD_iiiii.num_vgpr, 128
	.set _ZN4vllm25paged_attention_v1_kernelI14__hip_bfloat16S1_Li192ELi32ELi128ELNS_18Fp8KVCacheDataTypeE0ELb0EEEvPT_PKS3_PKT0_S9_ifPKiSB_iPKfiiiSD_SD_iiiii.num_agpr, 0
	.set _ZN4vllm25paged_attention_v1_kernelI14__hip_bfloat16S1_Li192ELi32ELi128ELNS_18Fp8KVCacheDataTypeE0ELb0EEEvPT_PKS3_PKT0_S9_ifPKiSB_iPKfiiiSD_SD_iiiii.numbered_sgpr, 28
	.set _ZN4vllm25paged_attention_v1_kernelI14__hip_bfloat16S1_Li192ELi32ELi128ELNS_18Fp8KVCacheDataTypeE0ELb0EEEvPT_PKS3_PKT0_S9_ifPKiSB_iPKfiiiSD_SD_iiiii.num_named_barrier, 0
	.set _ZN4vllm25paged_attention_v1_kernelI14__hip_bfloat16S1_Li192ELi32ELi128ELNS_18Fp8KVCacheDataTypeE0ELb0EEEvPT_PKS3_PKT0_S9_ifPKiSB_iPKfiiiSD_SD_iiiii.private_seg_size, 600
	.set _ZN4vllm25paged_attention_v1_kernelI14__hip_bfloat16S1_Li192ELi32ELi128ELNS_18Fp8KVCacheDataTypeE0ELb0EEEvPT_PKS3_PKT0_S9_ifPKiSB_iPKfiiiSD_SD_iiiii.uses_vcc, 1
	.set _ZN4vllm25paged_attention_v1_kernelI14__hip_bfloat16S1_Li192ELi32ELi128ELNS_18Fp8KVCacheDataTypeE0ELb0EEEvPT_PKS3_PKT0_S9_ifPKiSB_iPKfiiiSD_SD_iiiii.uses_flat_scratch, 1
	.set _ZN4vllm25paged_attention_v1_kernelI14__hip_bfloat16S1_Li192ELi32ELi128ELNS_18Fp8KVCacheDataTypeE0ELb0EEEvPT_PKS3_PKT0_S9_ifPKiSB_iPKfiiiSD_SD_iiiii.has_dyn_sized_stack, 0
	.set _ZN4vllm25paged_attention_v1_kernelI14__hip_bfloat16S1_Li192ELi32ELi128ELNS_18Fp8KVCacheDataTypeE0ELb0EEEvPT_PKS3_PKT0_S9_ifPKiSB_iPKfiiiSD_SD_iiiii.has_recursion, 0
	.set _ZN4vllm25paged_attention_v1_kernelI14__hip_bfloat16S1_Li192ELi32ELi128ELNS_18Fp8KVCacheDataTypeE0ELb0EEEvPT_PKS3_PKT0_S9_ifPKiSB_iPKfiiiSD_SD_iiiii.has_indirect_call, 0
	.section	.AMDGPU.csdata,"",@progbits
; Kernel info:
; codeLenInByte = 23380
; TotalNumSgprs: 30
; NumVgprs: 128
; ScratchSize: 600
; MemoryBound: 0
; FloatMode: 240
; IeeeMode: 1
; LDSByteSize: 416 bytes/workgroup (compile time only)
; SGPRBlocks: 0
; VGPRBlocks: 7
; NumSGPRsForWavesPerEU: 30
; NumVGPRsForWavesPerEU: 128
; NamedBarCnt: 0
; Occupancy: 8
; WaveLimiterHint : 1
; COMPUTE_PGM_RSRC2:SCRATCH_EN: 1
; COMPUTE_PGM_RSRC2:USER_SGPR: 2
; COMPUTE_PGM_RSRC2:TRAP_HANDLER: 0
; COMPUTE_PGM_RSRC2:TGID_X_EN: 1
; COMPUTE_PGM_RSRC2:TGID_Y_EN: 1
; COMPUTE_PGM_RSRC2:TGID_Z_EN: 1
; COMPUTE_PGM_RSRC2:TIDIG_COMP_CNT: 0
	.section	.text._ZN4vllm25paged_attention_v1_kernelI14__hip_bfloat16S1_Li256ELi32ELi128ELNS_18Fp8KVCacheDataTypeE0ELb0EEEvPT_PKS3_PKT0_S9_ifPKiSB_iPKfiiiSD_SD_iiiii,"axG",@progbits,_ZN4vllm25paged_attention_v1_kernelI14__hip_bfloat16S1_Li256ELi32ELi128ELNS_18Fp8KVCacheDataTypeE0ELb0EEEvPT_PKS3_PKT0_S9_ifPKiSB_iPKfiiiSD_SD_iiiii,comdat
	.protected	_ZN4vllm25paged_attention_v1_kernelI14__hip_bfloat16S1_Li256ELi32ELi128ELNS_18Fp8KVCacheDataTypeE0ELb0EEEvPT_PKS3_PKT0_S9_ifPKiSB_iPKfiiiSD_SD_iiiii ; -- Begin function _ZN4vllm25paged_attention_v1_kernelI14__hip_bfloat16S1_Li256ELi32ELi128ELNS_18Fp8KVCacheDataTypeE0ELb0EEEvPT_PKS3_PKT0_S9_ifPKiSB_iPKfiiiSD_SD_iiiii
	.globl	_ZN4vllm25paged_attention_v1_kernelI14__hip_bfloat16S1_Li256ELi32ELi128ELNS_18Fp8KVCacheDataTypeE0ELb0EEEvPT_PKS3_PKT0_S9_ifPKiSB_iPKfiiiSD_SD_iiiii
	.p2align	8
	.type	_ZN4vllm25paged_attention_v1_kernelI14__hip_bfloat16S1_Li256ELi32ELi128ELNS_18Fp8KVCacheDataTypeE0ELb0EEEvPT_PKS3_PKT0_S9_ifPKiSB_iPKfiiiSD_SD_iiiii,@function
_ZN4vllm25paged_attention_v1_kernelI14__hip_bfloat16S1_Li256ELi32ELi128ELNS_18Fp8KVCacheDataTypeE0ELb0EEEvPT_PKS3_PKT0_S9_ifPKiSB_iPKfiiiSD_SD_iiiii: ; @_ZN4vllm25paged_attention_v1_kernelI14__hip_bfloat16S1_Li256ELi32ELi128ELNS_18Fp8KVCacheDataTypeE0ELb0EEEvPT_PKS3_PKT0_S9_ifPKiSB_iPKfiiiSD_SD_iiiii
; %bb.0:
	s_load_b64 s[6:7], s[0:1], 0x20
	s_bfe_u32 s3, ttmp6, 0x4000c
	s_bfe_u32 s5, ttmp6, 0x40010
	s_and_b32 s4, ttmp7, 0xffff
	s_add_co_i32 s3, s3, 1
	s_add_co_i32 s5, s5, 1
	s_and_b32 s2, ttmp6, 15
	s_bfe_u32 s8, ttmp6, 0x40004
	s_mul_i32 s3, ttmp9, s3
	s_mul_i32 s5, s4, s5
	s_getreg_b32 s20, hwreg(HW_REG_IB_STS2, 6, 4)
	s_add_co_i32 s9, s2, s3
	s_add_co_i32 s8, s8, s5
	s_cmp_eq_u32 s20, 0
	s_clause 0x1
	s_load_b32 s21, s[0:1], 0x80
	s_load_b64 s[2:3], s[0:1], 0x30
	s_cselect_b32 s22, s4, s8
	s_cselect_b32 s8, ttmp9, s9
	s_wait_kmcnt 0x0
	s_abs_i32 s4, s6
	s_delay_alu instid0(SALU_CYCLE_1) | instskip(SKIP_1) | instid1(SALU_CYCLE_2)
	s_cvt_f32_u32 s5, s4
	s_sub_co_i32 s9, 0, s4
	v_rcp_iflag_f32_e32 v1, s5
	s_abs_i32 s10, s21
	v_nop
	s_delay_alu instid0(TRANS32_DEP_1) | instskip(SKIP_1) | instid1(SALU_CYCLE_1)
	v_readfirstlane_b32 s5, v1
	s_xor_b32 s6, s21, s6
	s_ashr_i32 s6, s6, 31
	s_mul_f32 s5, s5, 0x4f7ffffe
	s_delay_alu instid0(SALU_CYCLE_3) | instskip(NEXT) | instid1(SALU_CYCLE_3)
	s_cvt_u32_f32 s5, s5
	s_mul_i32 s9, s9, s5
	s_delay_alu instid0(SALU_CYCLE_1) | instskip(NEXT) | instid1(SALU_CYCLE_1)
	s_mul_hi_u32 s9, s5, s9
	s_add_co_i32 s5, s5, s9
	s_delay_alu instid0(SALU_CYCLE_1) | instskip(NEXT) | instid1(SALU_CYCLE_1)
	s_mul_hi_u32 s5, s10, s5
	s_mul_i32 s9, s5, s4
	s_delay_alu instid0(SALU_CYCLE_1)
	s_sub_co_i32 s9, s10, s9
	s_add_co_i32 s10, s5, 1
	s_sub_co_i32 s11, s9, s4
	s_cmp_ge_u32 s9, s4
	s_cselect_b32 s5, s10, s5
	s_cselect_b32 s9, s11, s9
	s_add_co_i32 s10, s5, 1
	s_cmp_ge_u32 s9, s4
	s_mov_b32 s11, 0
	s_cselect_b32 s4, s10, s5
	s_abs_i32 s10, s8
	s_xor_b32 s4, s4, s6
	s_mov_b32 s13, s11
	s_sub_co_i32 s14, s4, s6
	s_mov_b32 s18, s11
	s_abs_i32 s16, s14
	s_delay_alu instid0(SALU_CYCLE_1) | instskip(SKIP_1) | instid1(SALU_CYCLE_2)
	s_cvt_f32_u32 s4, s16
	s_sub_co_i32 s9, 0, s16
	v_rcp_iflag_f32_e32 v1, s4
	s_load_b64 s[4:5], s[0:1], 0x40
	v_nop
	s_delay_alu instid0(TRANS32_DEP_1) | instskip(SKIP_1) | instid1(SALU_CYCLE_3)
	v_readfirstlane_b32 s6, v1
	s_mul_f32 s6, s6, 0x4f7ffffe
	s_cvt_u32_f32 s6, s6
	s_delay_alu instid0(SALU_CYCLE_3) | instskip(NEXT) | instid1(SALU_CYCLE_1)
	s_mul_i32 s9, s9, s6
	s_mul_hi_u32 s9, s6, s9
	s_delay_alu instid0(SALU_CYCLE_1)
	s_add_co_i32 s12, s6, s9
	s_wait_kmcnt 0x0
	s_cmp_eq_u64 s[4:5], 0
	s_cbranch_scc1 .LBB161_2
; %bb.1:
	s_ashr_i32 s9, s8, 31
	s_delay_alu instid0(SALU_CYCLE_1) | instskip(NEXT) | instid1(SALU_CYCLE_1)
	s_lshl_b64 s[18:19], s[8:9], 2
	s_add_nc_u64 s[4:5], s[4:5], s[18:19]
	s_load_b32 s18, s[4:5], 0x0
.LBB161_2:
	s_load_b32 s23, s[2:3], s22 offset:0x0 scale_offset
	s_wait_xcnt 0x0
	s_load_b96 s[4:6], s[0:1], 0x48
	v_cmp_gt_u32_e64 s2, 32, v0
	s_ashr_i32 s3, s8, 31
	s_ashr_i32 s14, s14, 31
	s_mul_u64 s[12:13], s[10:11], s[12:13]
	s_lshl_b32 s8, s8, 8
	s_mov_b32 s11, exec_lo
	s_delay_alu instid0(SALU_CYCLE_1)
	s_and_b32 s9, s11, s2
	scratch_store_b32 off, v0, off offset:856 ; 4-byte Folded Spill
	s_wait_xcnt 0x0
	s_mov_b32 exec_lo, s9
	s_cbranch_execz .LBB161_4
; %bb.3:
	scratch_load_b32 v0, off, off offset:856 ; 4-byte Folded Reload
	s_load_b64 s[24:25], s[0:1], 0x8
	s_wait_kmcnt 0x0
	s_mul_i32 s26, s4, s22
	s_ashr_i32 s9, s8, 31
	s_ashr_i32 s27, s26, 31
	s_delay_alu instid0(SALU_CYCLE_1) | instskip(NEXT) | instid1(SALU_CYCLE_1)
	s_lshl_b64 s[26:27], s[26:27], 1
	s_add_nc_u64 s[24:25], s[24:25], s[26:27]
	s_lshl_b64 s[26:27], s[8:9], 1
	s_delay_alu instid0(SALU_CYCLE_1)
	s_add_nc_u64 s[24:25], s[24:25], s[26:27]
	s_wait_loadcnt 0x0
	global_load_b128 v[0:3], v0, s[24:25] scale_offset
	scratch_load_b32 v4, off, off offset:856 ; 4-byte Folded Reload
	s_wait_loadcnt 0x0
	v_lshlrev_b32_e32 v4, 4, v4
	ds_store_b128 v4, v[0:3]
	scratch_load_b32 v0, off, off offset:856 ; 4-byte Folded Reload
.LBB161_4:
	s_wait_xcnt 0x0
	s_or_b32 exec_lo, exec_lo, s11
	s_wait_kmcnt 0x0
	s_add_co_i32 s4, s23, 31
	s_load_b32 s11, s[0:1], 0x38
	s_ashr_i32 s9, s4, 31
	s_mul_i32 s12, s13, s16
	s_lshr_b32 s9, s9, 27
	s_xor_b32 s3, s3, s14
	s_add_co_i32 s4, s4, s9
	s_clause 0x1
	s_load_b64 s[14:15], s[0:1], 0x28
	s_load_b32 s9, s[0:1], 0x88
	s_sub_co_i32 s10, s10, s12
	s_ashr_i32 s24, s4, 5
	s_add_co_i32 s4, s13, 1
	s_sub_co_i32 s12, s10, s16
	s_cmp_ge_u32 s10, s16
	s_wait_loadcnt 0x0
	v_dual_lshrrev_b32 v1, 5, v0 :: v_dual_bitop2_b32 v2, 31, v0 bitop3:0x40
	s_cselect_b32 s4, s4, s13
	s_cselect_b32 s10, s12, s10
	s_add_co_i32 s12, s4, 1
	s_cmp_ge_u32 s10, s16
	v_mov_b32_e32 v54, 0xff7fffff
	s_cselect_b32 s4, s12, s4
	v_dual_lshlrev_b32 v28, 2, v2 :: v_dual_lshrrev_b32 v30, 3, v0
	s_xor_b32 s4, s4, s3
	s_wait_kmcnt 0x0
	s_mul_i32 s16, s11, s22
	s_sub_co_i32 s4, s4, s3
	v_cmp_gt_i32_e64 s3, s24, v1
	s_ashr_i32 s17, s16, 31
	s_mul_i32 s12, s4, s6
	s_wait_storecnt_dscnt 0x0
	s_barrier_signal -1
	s_clause 0x1
	scratch_store_b32 off, v1, off offset:864
	scratch_store_b32 off, v2, off offset:860
	s_barrier_wait -1
	s_wait_storecnt 0x0
	s_wait_xcnt 0x0
	s_and_saveexec_b32 s6, s3
	s_cbranch_execz .LBB161_8
; %bb.5:
	v_mov_b32_e32 v23, 0
	s_load_b64 s[26:27], s[0:1], 0x10
	s_ashr_i32 s13, s12, 31
	s_ashr_i32 s11, s5, 31
	s_lshl_b64 s[28:29], s[12:13], 1
	ds_load_b128 v[24:27], v23
	ds_load_b128 v[18:21], v23 offset:16
	ds_load_b128 v[10:13], v23 offset:32
	;; [unrolled: 1-line block ×5, first 2 shown]
	s_cmp_neq_f32 s18, 0
	v_mov_b32_e32 v54, 0xff7fffff
	s_mov_b32 s10, s5
	s_mov_b32 s13, 0
	s_cselect_b32 vcc_lo, -1, 0
	s_sub_co_i32 s19, 1, s23
	v_mov_b32_e32 v59, v28
	s_wait_dscnt 0x5
	v_and_b32_e32 v1, 0xffff0000, v24
	v_lshlrev_b32_e32 v0, 16, v24
	s_wait_kmcnt 0x0
	s_add_nc_u64 s[26:27], s[26:27], s[28:29]
	s_lshl_b64 s[28:29], s[16:17], 2
	s_delay_alu instid0(SALU_CYCLE_1)
	s_add_nc_u64 s[28:29], s[14:15], s[28:29]
	scratch_store_b64 off, v[0:1], off      ; 8-byte Folded Spill
	s_wait_dscnt 0x4
	s_wait_xcnt 0x0
	v_and_b32_e32 v1, 0xffff0000, v18
	v_lshlrev_b32_e32 v0, 16, v18
	scratch_store_b64 off, v[0:1], off offset:16 ; 8-byte Folded Spill
	s_wait_dscnt 0x3
	s_wait_xcnt 0x0
	v_and_b32_e32 v1, 0xffff0000, v10
	v_lshlrev_b32_e32 v0, 16, v10
	scratch_store_b64 off, v[0:1], off offset:32 ; 8-byte Folded Spill
	;; [unrolled: 5-line block ×5, first 2 shown]
	s_wait_xcnt 0x0
	v_and_b32_e32 v1, 0xffff0000, v25
	v_lshlrev_b32_e32 v0, 16, v25
	scratch_store_b64 off, v[0:1], off offset:72 ; 8-byte Folded Spill
	s_wait_xcnt 0x0
	v_and_b32_e32 v1, 0xffff0000, v19
	v_lshlrev_b32_e32 v0, 16, v19
	scratch_store_b64 off, v[0:1], off offset:80 ; 8-byte Folded Spill
	;; [unrolled: 4-line block ×8, first 2 shown]
	s_wait_xcnt 0x0
	v_and_b32_e32 v1, 0xffff0000, v27
	v_lshlrev_b32_e32 v0, 16, v27
	ds_load_b128 v[24:27], v23 offset:96
	scratch_store_b64 off, v[0:1], off offset:136 ; 8-byte Folded Spill
	s_wait_xcnt 0x0
	v_and_b32_e32 v1, 0xffff0000, v12
	v_lshlrev_b32_e32 v0, 16, v12
	scratch_store_b64 off, v[0:1], off offset:144 ; 8-byte Folded Spill
	s_wait_xcnt 0x0
	v_and_b32_e32 v1, 0xffff0000, v21
	v_lshlrev_b32_e32 v0, 16, v21
	scratch_store_b64 off, v[0:1], off offset:152 ; 8-byte Folded Spill
	s_wait_xcnt 0x0
	v_and_b32_e32 v1, 0xffff0000, v8
	v_lshlrev_b32_e32 v0, 16, v8
	scratch_store_b64 off, v[0:1], off offset:160 ; 8-byte Folded Spill
	s_wait_xcnt 0x0
	v_and_b32_e32 v1, 0xffff0000, v13
	v_lshlrev_b32_e32 v0, 16, v13
	ds_load_b128 v[10:13], v23 offset:112
	scratch_store_b64 off, v[0:1], off offset:168 ; 8-byte Folded Spill
	s_wait_xcnt 0x0
	v_and_b32_e32 v1, 0xffff0000, v16
	v_lshlrev_b32_e32 v0, 16, v16
	scratch_store_b64 off, v[0:1], off offset:176 ; 8-byte Folded Spill
	s_wait_xcnt 0x0
	v_and_b32_e32 v1, 0xffff0000, v9
	v_lshlrev_b32_e32 v0, 16, v9
	ds_load_b128 v[6:9], v23 offset:160
	scratch_store_b64 off, v[0:1], off offset:184 ; 8-byte Folded Spill
	s_wait_xcnt 0x0
	v_and_b32_e32 v1, 0xffff0000, v4
	v_lshlrev_b32_e32 v0, 16, v4
	scratch_store_b64 off, v[0:1], off offset:192 ; 8-byte Folded Spill
	s_wait_xcnt 0x0
	v_and_b32_e32 v1, 0xffff0000, v17
	v_lshlrev_b32_e32 v0, 16, v17
	ds_load_b128 v[14:17], v23 offset:128
	scratch_store_b64 off, v[0:1], off offset:200 ; 8-byte Folded Spill
	s_wait_xcnt 0x0
	v_and_b32_e32 v1, 0xffff0000, v5
	v_lshlrev_b32_e32 v0, 16, v5
	ds_load_b128 v[2:5], v23 offset:144
	scratch_store_b64 off, v[0:1], off offset:216 ; 8-byte Folded Spill
	s_wait_dscnt 0x4
	s_wait_xcnt 0x0
	v_and_b32_e32 v1, 0xffff0000, v24
	v_lshlrev_b32_e32 v0, 16, v24
	scratch_store_b64 off, v[0:1], off offset:232 ; 8-byte Folded Spill
	s_wait_xcnt 0x0
	v_and_b32_e32 v1, 0xffff0000, v25
	v_lshlrev_b32_e32 v0, 16, v25
	scratch_store_b64 off, v[0:1], off offset:240 ; 8-byte Folded Spill
	;; [unrolled: 4-line block ×4, first 2 shown]
	s_wait_dscnt 0x3
	s_wait_xcnt 0x0
	v_and_b32_e32 v1, 0xffff0000, v10
	v_lshlrev_b32_e32 v0, 16, v10
	scratch_store_b64 off, v[0:1], off offset:264 ; 8-byte Folded Spill
	s_wait_xcnt 0x0
	v_and_b32_e32 v1, 0xffff0000, v11
	v_lshlrev_b32_e32 v0, 16, v11
	scratch_store_b64 off, v[0:1], off offset:272 ; 8-byte Folded Spill
	;; [unrolled: 4-line block ×3, first 2 shown]
	s_wait_xcnt 0x0
	v_and_b32_e32 v1, 0xffff0000, v13
	v_lshlrev_b32_e32 v0, 16, v13
	ds_load_b128 v[10:13], v23 offset:176
	scratch_store_b64 off, v[0:1], off offset:288 ; 8-byte Folded Spill
	s_wait_dscnt 0x2
	s_wait_xcnt 0x0
	v_and_b32_e32 v1, 0xffff0000, v14
	s_wait_dscnt 0x1
	v_dual_lshlrev_b32 v0, 16, v14 :: v_dual_lshlrev_b32 v14, 16, v5
	scratch_store_b64 off, v[0:1], off offset:296 ; 8-byte Folded Spill
	s_wait_xcnt 0x0
	v_and_b32_e32 v1, 0xffff0000, v15
	v_lshlrev_b32_e32 v0, 16, v15
	v_and_b32_e32 v15, 0xffff0000, v5
	v_and_b32_e32 v5, 0xffff0000, v6
	s_clause 0x1
	scratch_store_b64 off, v[0:1], off offset:304
	scratch_store_b64 off, v[14:15], off offset:352
	s_wait_xcnt 0x1
	v_and_b32_e32 v1, 0xffff0000, v16
	v_lshlrev_b32_e32 v0, 16, v16
	s_wait_xcnt 0x0
	v_and_b32_e32 v15, 0xffff0000, v8
	s_wait_dscnt 0x0
	v_dual_lshlrev_b32 v14, 16, v8 :: v_dual_lshlrev_b32 v8, 16, v10
	scratch_store_b64 off, v[0:1], off offset:312 ; 8-byte Folded Spill
	s_wait_xcnt 0x0
	v_and_b32_e32 v1, 0xffff0000, v17
	v_lshlrev_b32_e32 v0, 16, v17
	scratch_store_b64 off, v[14:15], off offset:376 ; 8-byte Folded Spill
	s_wait_xcnt 0x0
	v_and_b32_e32 v15, 0xffff0000, v9
	v_lshlrev_b32_e32 v14, 16, v9
	v_and_b32_e32 v9, 0xffff0000, v10
	scratch_store_b64 off, v[0:1], off offset:320 ; 8-byte Folded Spill
	s_wait_xcnt 0x0
	v_and_b32_e32 v1, 0xffff0000, v2
	v_lshlrev_b32_e32 v0, 16, v2
	scratch_store_b64 off, v[8:9], off offset:392 ; 8-byte Folded Spill
	s_wait_xcnt 0x0
	v_and_b32_e32 v9, 0xffff0000, v11
	v_lshlrev_b32_e32 v8, 16, v11
	scratch_store_b64 off, v[0:1], off offset:328 ; 8-byte Folded Spill
	s_wait_xcnt 0x0
	v_and_b32_e32 v1, 0xffff0000, v3
	v_lshlrev_b32_e32 v0, 16, v3
	scratch_store_b64 off, v[8:9], off offset:400 ; 8-byte Folded Spill
	s_wait_xcnt 0x0
	v_and_b32_e32 v9, 0xffff0000, v12
	v_lshlrev_b32_e32 v8, 16, v12
	scratch_store_b64 off, v[0:1], off offset:336 ; 8-byte Folded Spill
	s_wait_xcnt 0x0
	v_and_b32_e32 v1, 0xffff0000, v4
	v_dual_lshlrev_b32 v0, 16, v4 :: v_dual_lshlrev_b32 v4, 16, v6
	scratch_store_b64 off, v[8:9], off offset:408 ; 8-byte Folded Spill
	s_wait_xcnt 0x0
	v_and_b32_e32 v9, 0xffff0000, v13
	v_lshlrev_b32_e32 v8, 16, v13
	s_clause 0x1
	scratch_store_b64 off, v[0:1], off offset:344
	scratch_store_b64 off, v[4:5], off offset:360
	s_wait_xcnt 0x1
	ds_load_b128 v[0:3], v23 offset:192
	s_wait_xcnt 0x0
	v_and_b32_e32 v5, 0xffff0000, v7
	v_lshlrev_b32_e32 v4, 16, v7
	s_clause 0x1
	scratch_store_b64 off, v[8:9], off offset:416
	scratch_store_b64 off, v[4:5], off offset:368
	s_wait_xcnt 0x0
	ds_load_b128 v[4:7], v23 offset:208
	s_wait_dscnt 0x1
	v_and_b32_e32 v9, 0xffff0000, v0
	v_dual_lshlrev_b32 v8, 16, v0 :: v_dual_lshlrev_b32 v0, 16, v2
	s_clause 0x1
	scratch_store_b64 off, v[14:15], off offset:384
	scratch_store_b64 off, v[8:9], off offset:424
	s_wait_xcnt 0x0
	v_and_b32_e32 v9, 0xffff0000, v1
	v_lshlrev_b32_e32 v8, 16, v1
	v_and_b32_e32 v1, 0xffff0000, v2
	s_clause 0x1
	scratch_store_b64 off, v[8:9], off offset:432
	scratch_store_b64 off, v[0:1], off offset:440
	s_wait_xcnt 0x0
	v_and_b32_e32 v1, 0xffff0000, v3
	v_lshlrev_b32_e32 v0, 16, v3
	scratch_store_b64 off, v[0:1], off offset:448 ; 8-byte Folded Spill
	s_wait_dscnt 0x0
	s_wait_xcnt 0x0
	v_and_b32_e32 v1, 0xffff0000, v4
	v_lshlrev_b32_e32 v0, 16, v4
	scratch_store_b64 off, v[0:1], off offset:456 ; 8-byte Folded Spill
	s_wait_xcnt 0x0
	v_and_b32_e32 v1, 0xffff0000, v5
	v_lshlrev_b32_e32 v0, 16, v5
	scratch_store_b64 off, v[0:1], off offset:464 ; 8-byte Folded Spill
	s_wait_xcnt 0x0
	v_and_b32_e32 v1, 0xffff0000, v6
	v_lshlrev_b32_e32 v0, 16, v6
	scratch_store_b64 off, v[0:1], off offset:472 ; 8-byte Folded Spill
	s_wait_xcnt 0x0
	v_and_b32_e32 v1, 0xffff0000, v7
	v_lshlrev_b32_e32 v0, 16, v7
	scratch_store_b64 off, v[0:1], off offset:480 ; 8-byte Folded Spill
	s_wait_xcnt 0x0
	ds_load_b128 v[0:3], v23 offset:224
	ds_load_b128 v[4:7], v23 offset:240
	s_wait_dscnt 0x1
	v_and_b32_e32 v9, 0xffff0000, v0
	v_dual_lshlrev_b32 v8, 16, v0 :: v_dual_lshlrev_b32 v0, 16, v2
	scratch_store_b64 off, v[8:9], off offset:488 ; 8-byte Folded Spill
	s_wait_xcnt 0x0
	v_and_b32_e32 v9, 0xffff0000, v1
	v_lshlrev_b32_e32 v8, 16, v1
	v_and_b32_e32 v1, 0xffff0000, v2
	s_clause 0x1
	scratch_store_b64 off, v[8:9], off offset:496
	scratch_store_b64 off, v[0:1], off offset:504
	s_wait_xcnt 0x0
	v_and_b32_e32 v1, 0xffff0000, v3
	v_lshlrev_b32_e32 v0, 16, v3
	scratch_store_b64 off, v[0:1], off offset:512 ; 8-byte Folded Spill
	s_wait_dscnt 0x0
	s_wait_xcnt 0x0
	v_and_b32_e32 v1, 0xffff0000, v4
	v_lshlrev_b32_e32 v0, 16, v4
	scratch_store_b64 off, v[0:1], off offset:520 ; 8-byte Folded Spill
	s_wait_xcnt 0x0
	v_and_b32_e32 v1, 0xffff0000, v5
	v_lshlrev_b32_e32 v0, 16, v5
	scratch_store_b64 off, v[0:1], off offset:528 ; 8-byte Folded Spill
	s_wait_xcnt 0x0
	v_and_b32_e32 v1, 0xffff0000, v6
	v_lshlrev_b32_e32 v0, 16, v6
	scratch_store_b64 off, v[0:1], off offset:536 ; 8-byte Folded Spill
	s_wait_xcnt 0x0
	v_and_b32_e32 v1, 0xffff0000, v7
	v_lshlrev_b32_e32 v0, 16, v7
	scratch_store_b64 off, v[0:1], off offset:544 ; 8-byte Folded Spill
	s_wait_xcnt 0x0
	ds_load_b128 v[0:3], v23 offset:256
	ds_load_b128 v[4:7], v23 offset:272
	s_wait_dscnt 0x1
	v_and_b32_e32 v9, 0xffff0000, v0
	v_dual_lshlrev_b32 v8, 16, v0 :: v_dual_lshlrev_b32 v0, 16, v2
	scratch_store_b64 off, v[8:9], off offset:552 ; 8-byte Folded Spill
	;; [unrolled: 35-line block ×4, first 2 shown]
	s_wait_xcnt 0x0
	v_and_b32_e32 v9, 0xffff0000, v1
	v_lshlrev_b32_e32 v8, 16, v1
	v_and_b32_e32 v1, 0xffff0000, v2
	s_clause 0x1
	scratch_store_b64 off, v[8:9], off offset:688
	scratch_store_b64 off, v[0:1], off offset:696
	s_wait_xcnt 0x0
	v_and_b32_e32 v1, 0xffff0000, v3
	v_lshlrev_b32_e32 v0, 16, v3
	scratch_store_b64 off, v[0:1], off offset:704 ; 8-byte Folded Spill
	s_wait_dscnt 0x0
	s_wait_xcnt 0x0
	v_and_b32_e32 v1, 0xffff0000, v4
	v_lshlrev_b32_e32 v0, 16, v4
	scratch_store_b64 off, v[0:1], off offset:712 ; 8-byte Folded Spill
	s_wait_xcnt 0x0
	v_and_b32_e32 v1, 0xffff0000, v5
	v_lshlrev_b32_e32 v0, 16, v5
	scratch_store_b64 off, v[0:1], off offset:720 ; 8-byte Folded Spill
	s_wait_xcnt 0x0
	v_and_b32_e32 v1, 0xffff0000, v6
	v_lshlrev_b32_e32 v0, 16, v6
	scratch_store_b64 off, v[0:1], off offset:728 ; 8-byte Folded Spill
	s_wait_xcnt 0x0
	v_and_b32_e32 v1, 0xffff0000, v7
	v_lshlrev_b32_e32 v0, 16, v7
	scratch_store_b64 off, v[0:1], off offset:736 ; 8-byte Folded Spill
	ds_load_b128 v[6:9], v23 offset:352
	ds_load_b128 v[2:5], v23 offset:368
	s_wait_dscnt 0x1
	s_wait_xcnt 0x0
	v_and_b32_e32 v1, 0xffff0000, v6
	v_lshlrev_b32_e32 v0, 16, v6
	scratch_store_b64 off, v[0:1], off offset:744 ; 8-byte Folded Spill
	s_wait_xcnt 0x0
	v_and_b32_e32 v1, 0xffff0000, v7
	v_lshlrev_b32_e32 v0, 16, v7
	scratch_store_b64 off, v[0:1], off offset:752 ; 8-byte Folded Spill
	;; [unrolled: 4-line block ×4, first 2 shown]
	s_wait_dscnt 0x0
	s_wait_xcnt 0x0
	v_and_b32_e32 v1, 0xffff0000, v2
	v_lshlrev_b32_e32 v0, 16, v2
	scratch_store_b64 off, v[0:1], off offset:776 ; 8-byte Folded Spill
	s_wait_xcnt 0x0
	v_and_b32_e32 v1, 0xffff0000, v3
	v_lshlrev_b32_e32 v0, 16, v3
	scratch_store_b64 off, v[0:1], off offset:784 ; 8-byte Folded Spill
	;; [unrolled: 4-line block ×4, first 2 shown]
	s_wait_xcnt 0x0
	ds_load_b128 v[0:3], v23 offset:384
	ds_load_b128 v[4:7], v23 offset:400
	s_wait_dscnt 0x1
	v_and_b32_e32 v9, 0xffff0000, v0
	v_dual_lshlrev_b32 v8, 16, v0 :: v_dual_lshlrev_b32 v0, 16, v2
	s_wait_dscnt 0x0
	v_and_b32_e32 v67, 0xffff0000, v5
	v_lshlrev_b32_e32 v66, 16, v5
	v_and_b32_e32 v69, 0xffff0000, v6
	scratch_store_b64 off, v[8:9], off offset:808 ; 8-byte Folded Spill
	s_wait_xcnt 0x0
	v_and_b32_e32 v9, 0xffff0000, v1
	v_lshlrev_b32_e32 v8, 16, v1
	v_and_b32_e32 v1, 0xffff0000, v2
	v_lshlrev_b32_e32 v68, 16, v6
	;; [unrolled: 2-line block ×3, first 2 shown]
	s_clause 0x1
	scratch_store_b64 off, v[8:9], off offset:816
	scratch_store_b64 off, v[0:1], off offset:824
	s_wait_xcnt 0x0
	v_and_b32_e32 v1, 0xffff0000, v3
	v_lshlrev_b32_e32 v0, 16, v3
	scratch_store_b64 off, v[0:1], off offset:832 ; 8-byte Folded Spill
	s_wait_xcnt 0x0
	v_and_b32_e32 v1, 0xffff0000, v4
	v_lshlrev_b32_e32 v0, 16, v4
	scratch_store_b64 off, v[0:1], off offset:840 ; 8-byte Folded Spill
	s_wait_xcnt 0x0
	ds_load_b128 v[0:3], v23 offset:416
	ds_load_b128 v[4:7], v23 offset:432
	s_wait_dscnt 0x1
	v_and_b32_e32 v73, 0xffff0000, v0
	v_lshlrev_b32_e32 v72, 16, v0
	v_and_b32_e32 v75, 0xffff0000, v1
	v_lshlrev_b32_e32 v74, 16, v1
	v_and_b32_e32 v77, 0xffff0000, v2
	v_lshlrev_b32_e32 v76, 16, v2
	v_and_b32_e32 v79, 0xffff0000, v3
	v_lshlrev_b32_e32 v78, 16, v3
	s_wait_dscnt 0x0
	v_and_b32_e32 v81, 0xffff0000, v4
	v_lshlrev_b32_e32 v80, 16, v4
	v_and_b32_e32 v83, 0xffff0000, v5
	v_lshlrev_b32_e32 v82, 16, v5
	v_and_b32_e32 v85, 0xffff0000, v6
	v_lshlrev_b32_e32 v84, 16, v6
	v_and_b32_e32 v87, 0xffff0000, v7
	v_lshlrev_b32_e32 v86, 16, v7
	ds_load_b128 v[0:3], v23 offset:448
	ds_load_b128 v[4:7], v23 offset:464
	s_wait_dscnt 0x1
	v_and_b32_e32 v89, 0xffff0000, v0
	v_lshlrev_b32_e32 v88, 16, v0
	v_and_b32_e32 v91, 0xffff0000, v1
	v_lshlrev_b32_e32 v90, 16, v1
	;; [unrolled: 2-line block ×4, first 2 shown]
	s_wait_dscnt 0x0
	v_and_b32_e32 v97, 0xffff0000, v4
	v_lshlrev_b32_e32 v96, 16, v4
	v_and_b32_e32 v99, 0xffff0000, v5
	v_lshlrev_b32_e32 v98, 16, v5
	;; [unrolled: 2-line block ×4, first 2 shown]
	ds_load_b128 v[0:3], v23 offset:480
	ds_load_b128 v[4:7], v23 offset:496
	s_wait_dscnt 0x1
	v_and_b32_e32 v107, 0xffff0000, v1
	v_lshlrev_b32_e32 v106, 16, v1
	scratch_load_b32 v1, off, off offset:860 ; 4-byte Folded Reload
	v_and_b32_e32 v109, 0xffff0000, v2
	v_lshlrev_b32_e32 v108, 16, v2
	v_and_b32_e32 v111, 0xffff0000, v3
	v_lshlrev_b32_e32 v110, 16, v3
	;; [unrolled: 2-line block ×3, first 2 shown]
	s_wait_dscnt 0x0
	v_and_b32_e32 v113, 0xffff0000, v4
	v_lshlrev_b32_e32 v112, 16, v4
	v_and_b32_e32 v115, 0xffff0000, v5
	v_lshlrev_b32_e32 v114, 16, v5
	;; [unrolled: 2-line block ×3, first 2 shown]
	v_and_b32_e32 v119, 0xffff0000, v7
	s_wait_loadcnt 0x0
	v_dual_lshlrev_b32 v118, 16, v7 :: v_dual_lshlrev_b32 v22, 4, v1
	s_delay_alu instid0(VALU_DEP_1)
	v_add_nc_u64_e32 v[2:3], s[26:27], v[22:23]
	s_clause 0x2
	scratch_store_b64 off, v[2:3], off offset:848
	scratch_store_b32 off, v30, off offset:868
	scratch_load_b32 v57, off, off offset:864
	v_and_b32_e32 v22, 0x7c, v30
	s_delay_alu instid0(VALU_DEP_1) | instskip(SKIP_3) | instid1(VALU_DEP_2)
	v_add_nc_u64_e32 v[122:123], s[28:29], v[22:23]
	s_wait_loadcnt 0x0
	v_lshl_or_b32 v0, v57, 7, v28
	v_lshl_or_b32 v56, v57, 5, v1
	v_add_nc_u32_e32 v55, 0x220, v0
.LBB161_6:                              ; =>This Inner Loop Header: Depth=1
	global_load_b32 v0, v[122:123], off
	scratch_load_b64 v[2:3], off, off offset:848 ; 8-byte Folded Reload
	v_cmp_gt_i32_e64 s4, s23, v56
	s_wait_xcnt 0x1
	v_add_nc_u64_e32 v[122:123], 16, v[122:123]
	s_wait_loadcnt 0x1
	v_dual_add_nc_u32 v57, 4, v57 :: v_dual_ashrrev_i32 v1, 31, v0
	s_delay_alu instid0(VALU_DEP_1) | instskip(SKIP_1) | instid1(VALU_DEP_1)
	v_mul_u64_e32 v[0:1], s[10:11], v[0:1]
	s_wait_loadcnt 0x0
	v_lshl_add_u64 v[124:125], v[0:1], 1, v[2:3]
	s_clause 0x8
	global_load_b128 v[34:37], v[124:125], off
	global_load_b128 v[30:33], v[124:125], off offset:512
	global_load_b128 v[26:29], v[124:125], off offset:1024
	global_load_b128 v[22:25], v[124:125], off offset:1536
	global_load_b128 v[18:21], v[124:125], off offset:2048
	global_load_b128 v[14:17], v[124:125], off offset:2560
	global_load_b128 v[10:13], v[124:125], off offset:3072
	global_load_b128 v[6:9], v[124:125], off offset:3584
	global_load_b128 v[2:5], v[124:125], off offset:4096
	scratch_load_b64 v[40:41], off, off offset:16 ; 8-byte Folded Reload
	v_add_nc_u32_e32 v0, s19, v56
	v_add_nc_u32_e32 v56, 0x80, v56
	s_wait_loadcnt 0x9
	v_and_b32_e32 v1, 0xffff0000, v34
	s_wait_loadcnt 0x8
	v_and_b32_e32 v39, 0xffff0000, v30
	v_lshlrev_b32_e32 v38, 16, v30
	v_cvt_f32_i32_e32 v0, v0
	s_delay_alu instid0(VALU_DEP_1) | instskip(SKIP_1) | instid1(VALU_DEP_3)
	v_mul_f32_e32 v0, s18, v0
	s_wait_loadcnt 0x0
	v_pk_mul_f32 v[38:39], v[40:41], v[38:39]
	scratch_load_b64 v[40:41], off, off     ; 8-byte Folded Reload
	v_dual_cndmask_b32 v58, 0, v0, vcc_lo :: v_dual_lshlrev_b32 v0, 16, v34
	v_lshlrev_b32_e32 v34, 16, v31
	s_wait_loadcnt 0x0
	s_delay_alu instid0(VALU_DEP_2) | instskip(SKIP_4) | instid1(VALU_DEP_1)
	v_pk_fma_f32 v[0:1], v[40:41], v[0:1], v[38:39]
	scratch_load_b64 v[40:41], off, off offset:32 ; 8-byte Folded Reload
	v_and_b32_e32 v39, 0xffff0000, v26
	v_lshlrev_b32_e32 v38, 16, v26
	s_wait_loadcnt 0x0
	v_pk_fma_f32 v[0:1], v[40:41], v[38:39], v[0:1]
	scratch_load_b64 v[40:41], off, off offset:48 ; 8-byte Folded Reload
	v_and_b32_e32 v39, 0xffff0000, v22
	v_lshlrev_b32_e32 v38, 16, v22
	s_wait_loadcnt 0x0
	s_delay_alu instid0(VALU_DEP_1) | instskip(SKIP_4) | instid1(VALU_DEP_1)
	v_pk_fma_f32 v[0:1], v[40:41], v[38:39], v[0:1]
	scratch_load_b64 v[40:41], off, off offset:56 ; 8-byte Folded Reload
	v_and_b32_e32 v39, 0xffff0000, v18
	v_lshlrev_b32_e32 v38, 16, v18
	s_wait_loadcnt 0x0
	v_pk_fma_f32 v[0:1], v[40:41], v[38:39], v[0:1]
	scratch_load_b64 v[40:41], off, off offset:64 ; 8-byte Folded Reload
	v_and_b32_e32 v39, 0xffff0000, v14
	v_lshlrev_b32_e32 v38, 16, v14
	s_wait_loadcnt 0x0
	s_delay_alu instid0(VALU_DEP_1) | instskip(SKIP_4) | instid1(VALU_DEP_1)
	;; [unrolled: 11-line block ×3, first 2 shown]
	v_pk_fma_f32 v[0:1], v[40:41], v[38:39], v[0:1]
	scratch_load_b64 v[40:41], off, off offset:296 ; 8-byte Folded Reload
	v_and_b32_e32 v39, 0xffff0000, v2
	v_lshlrev_b32_e32 v38, 16, v2
	s_wait_loadcnt 0x0
	v_pk_fma_f32 v[38:39], v[40:41], v[38:39], v[0:1]
	v_and_b32_e32 v1, 0xffff0000, v35
	v_lshlrev_b32_e32 v0, 16, v35
	v_and_b32_e32 v35, 0xffff0000, v31
	scratch_load_b64 v[30:31], off, off offset:80 ; 8-byte Folded Reload
	s_wait_loadcnt 0x0
	v_pk_mul_f32 v[30:31], v[30:31], v[34:35]
	scratch_load_b64 v[34:35], off, off offset:72 ; 8-byte Folded Reload
	s_wait_loadcnt 0x0
	v_pk_fma_f32 v[0:1], v[34:35], v[0:1], v[30:31]
	v_and_b32_e32 v31, 0xffff0000, v27
	v_lshlrev_b32_e32 v30, 16, v27
	scratch_load_b64 v[26:27], off, off offset:88 ; 8-byte Folded Reload
	s_wait_loadcnt 0x0
	v_pk_fma_f32 v[0:1], v[26:27], v[30:31], v[0:1]
	v_and_b32_e32 v27, 0xffff0000, v23
	v_lshlrev_b32_e32 v26, 16, v23
	;; [unrolled: 5-line block ×7, first 2 shown]
	s_clause 0x1
	scratch_load_b64 v[2:3], off, off offset:304
	scratch_load_b64 v[10:11], off, off offset:152
	s_wait_loadcnt 0x1
	v_pk_fma_f32 v[40:41], v[2:3], v[6:7], v[0:1]
	scratch_load_b64 v[6:7], off, off offset:128 ; 8-byte Folded Reload
	v_and_b32_e32 v3, 0xffff0000, v32
	v_lshlrev_b32_e32 v2, 16, v32
	v_and_b32_e32 v1, 0xffff0000, v36
	v_lshlrev_b32_e32 v0, 16, v36
	s_wait_loadcnt 0x0
	s_delay_alu instid0(VALU_DEP_3)
	v_pk_mul_f32 v[2:3], v[6:7], v[2:3]
	scratch_load_b64 v[6:7], off, off offset:120 ; 8-byte Folded Reload
	s_wait_loadcnt 0x0
	v_pk_fma_f32 v[0:1], v[6:7], v[0:1], v[2:3]
	scratch_load_b64 v[6:7], off, off offset:144 ; 8-byte Folded Reload
	v_and_b32_e32 v3, 0xffff0000, v28
	v_lshlrev_b32_e32 v2, 16, v28
	s_wait_loadcnt 0x0
	s_delay_alu instid0(VALU_DEP_1) | instskip(SKIP_4) | instid1(VALU_DEP_1)
	v_pk_fma_f32 v[0:1], v[6:7], v[2:3], v[0:1]
	scratch_load_b64 v[6:7], off, off offset:160 ; 8-byte Folded Reload
	v_and_b32_e32 v3, 0xffff0000, v24
	v_lshlrev_b32_e32 v2, 16, v24
	s_wait_loadcnt 0x0
	v_pk_fma_f32 v[0:1], v[6:7], v[2:3], v[0:1]
	scratch_load_b64 v[6:7], off, off offset:176 ; 8-byte Folded Reload
	v_and_b32_e32 v3, 0xffff0000, v20
	v_lshlrev_b32_e32 v2, 16, v20
	s_wait_loadcnt 0x0
	s_delay_alu instid0(VALU_DEP_1) | instskip(SKIP_4) | instid1(VALU_DEP_1)
	v_pk_fma_f32 v[0:1], v[6:7], v[2:3], v[0:1]
	scratch_load_b64 v[6:7], off, off offset:192 ; 8-byte Folded Reload
	v_and_b32_e32 v3, 0xffff0000, v16
	v_lshlrev_b32_e32 v2, 16, v16
	;; [unrolled: 11-line block ×3, first 2 shown]
	s_wait_loadcnt 0x0
	v_pk_fma_f32 v[0:1], v[6:7], v[2:3], v[0:1]
	scratch_load_b64 v[6:7], off, off offset:312 ; 8-byte Folded Reload
	v_and_b32_e32 v3, 0xffff0000, v4
	v_lshlrev_b32_e32 v2, 16, v4
	s_wait_loadcnt 0x0
	s_delay_alu instid0(VALU_DEP_1) | instskip(SKIP_4) | instid1(VALU_DEP_3)
	v_pk_fma_f32 v[0:1], v[6:7], v[2:3], v[0:1]
	v_and_b32_e32 v7, 0xffff0000, v33
	v_lshlrev_b32_e32 v6, 16, v33
	v_and_b32_e32 v3, 0xffff0000, v37
	v_lshlrev_b32_e32 v2, 16, v37
	v_pk_mul_f32 v[6:7], v[10:11], v[6:7]
	scratch_load_b64 v[10:11], off, off offset:136 ; 8-byte Folded Reload
	s_wait_loadcnt 0x0
	v_pk_fma_f32 v[2:3], v[10:11], v[2:3], v[6:7]
	scratch_load_b64 v[10:11], off, off offset:168 ; 8-byte Folded Reload
	v_and_b32_e32 v7, 0xffff0000, v29
	v_lshlrev_b32_e32 v6, 16, v29
	s_wait_loadcnt 0x0
	s_delay_alu instid0(VALU_DEP_1) | instskip(SKIP_4) | instid1(VALU_DEP_1)
	v_pk_fma_f32 v[2:3], v[10:11], v[6:7], v[2:3]
	scratch_load_b64 v[10:11], off, off offset:184 ; 8-byte Folded Reload
	v_and_b32_e32 v7, 0xffff0000, v25
	v_lshlrev_b32_e32 v6, 16, v25
	s_wait_loadcnt 0x0
	v_pk_fma_f32 v[2:3], v[10:11], v[6:7], v[2:3]
	scratch_load_b64 v[10:11], off, off offset:200 ; 8-byte Folded Reload
	v_and_b32_e32 v7, 0xffff0000, v21
	v_lshlrev_b32_e32 v6, 16, v21
	s_wait_loadcnt 0x0
	s_delay_alu instid0(VALU_DEP_1) | instskip(SKIP_4) | instid1(VALU_DEP_1)
	v_pk_fma_f32 v[2:3], v[10:11], v[6:7], v[2:3]
	scratch_load_b64 v[10:11], off, off offset:216 ; 8-byte Folded Reload
	v_and_b32_e32 v7, 0xffff0000, v17
	v_lshlrev_b32_e32 v6, 16, v17
	s_wait_loadcnt 0x0
	v_pk_fma_f32 v[2:3], v[10:11], v[6:7], v[2:3]
	scratch_load_b64 v[10:11], off, off offset:256 ; 8-byte Folded Reload
	v_and_b32_e32 v7, 0xffff0000, v13
	v_lshlrev_b32_e32 v6, 16, v13
	s_wait_loadcnt 0x0
	s_delay_alu instid0(VALU_DEP_1)
	v_pk_fma_f32 v[2:3], v[10:11], v[6:7], v[2:3]
	v_and_b32_e32 v7, 0xffff0000, v9
	v_lshlrev_b32_e32 v6, 16, v9
	scratch_load_b64 v[8:9], off, off offset:288 ; 8-byte Folded Reload
	s_wait_loadcnt 0x0
	v_pk_fma_f32 v[2:3], v[8:9], v[6:7], v[2:3]
	v_and_b32_e32 v7, 0xffff0000, v5
	v_lshlrev_b32_e32 v6, 16, v5
	scratch_load_b64 v[4:5], off, off offset:320 ; 8-byte Folded Reload
	s_wait_loadcnt 0x0
	v_pk_fma_f32 v[44:45], v[4:5], v[6:7], v[2:3]
	global_load_b128 v[2:5], v[124:125], off offset:4608
	s_wait_loadcnt 0x0
	v_and_b32_e32 v53, 0xffff0000, v2
	v_lshlrev_b32_e32 v52, 16, v2
	v_and_b32_e32 v43, 0xffff0000, v3
	v_lshlrev_b32_e32 v42, 16, v3
	v_and_b32_e32 v49, 0xffff0000, v4
	v_dual_lshlrev_b32 v48, 16, v4 :: v_dual_lshlrev_b32 v120, 16, v5
	v_and_b32_e32 v121, 0xffff0000, v5
	global_load_b128 v[2:5], v[124:125], off offset:5120
	s_wait_loadcnt 0x0
	v_and_b32_e32 v127, 0xffff0000, v2
	v_dual_lshlrev_b32 v126, 16, v2 :: v_dual_lshlrev_b32 v60, 16, v3
	v_and_b32_e32 v61, 0xffff0000, v3
	v_and_b32_e32 v51, 0xffff0000, v4
	v_dual_lshlrev_b32 v50, 16, v4 :: v_dual_lshlrev_b32 v46, 16, v5
	v_and_b32_e32 v47, 0xffff0000, v5
	s_clause 0x8
	global_load_b128 v[34:37], v[124:125], off offset:5632
	global_load_b128 v[30:33], v[124:125], off offset:6144
	;; [unrolled: 1-line block ×9, first 2 shown]
	scratch_load_b64 v[62:63], off, off offset:328 ; 8-byte Folded Reload
	s_wait_loadcnt 0x0
	v_pk_fma_f32 v[38:39], v[62:63], v[52:53], v[38:39]
	s_clause 0x1
	scratch_load_b64 v[52:53], off, off offset:360
	scratch_load_b64 v[62:63], off, off offset:392
	s_wait_loadcnt 0x1
	v_pk_fma_f32 v[38:39], v[52:53], v[126:127], v[38:39]
	v_and_b32_e32 v53, 0xffff0000, v34
	v_lshlrev_b32_e32 v52, 16, v34
	s_wait_loadcnt 0x0
	s_delay_alu instid0(VALU_DEP_1) | instskip(SKIP_4) | instid1(VALU_DEP_1)
	v_pk_fma_f32 v[38:39], v[62:63], v[52:53], v[38:39]
	scratch_load_b64 v[62:63], off, off offset:424 ; 8-byte Folded Reload
	v_and_b32_e32 v53, 0xffff0000, v30
	v_lshlrev_b32_e32 v52, 16, v30
	s_wait_loadcnt 0x0
	v_pk_fma_f32 v[38:39], v[62:63], v[52:53], v[38:39]
	scratch_load_b64 v[62:63], off, off offset:456 ; 8-byte Folded Reload
	v_and_b32_e32 v53, 0xffff0000, v26
	v_lshlrev_b32_e32 v52, 16, v26
	s_wait_loadcnt 0x0
	s_delay_alu instid0(VALU_DEP_1) | instskip(SKIP_4) | instid1(VALU_DEP_1)
	v_pk_fma_f32 v[38:39], v[62:63], v[52:53], v[38:39]
	scratch_load_b64 v[62:63], off, off offset:488 ; 8-byte Folded Reload
	v_and_b32_e32 v53, 0xffff0000, v22
	v_lshlrev_b32_e32 v52, 16, v22
	s_wait_loadcnt 0x0
	v_pk_fma_f32 v[38:39], v[62:63], v[52:53], v[38:39]
	scratch_load_b64 v[62:63], off, off offset:520 ; 8-byte Folded Reload
	;; [unrolled: 11-line block ×4, first 2 shown]
	v_and_b32_e32 v53, 0xffff0000, v2
	v_lshlrev_b32_e32 v52, 16, v2
	s_wait_loadcnt 0x0
	s_delay_alu instid0(VALU_DEP_1)
	v_pk_fma_f32 v[126:127], v[62:63], v[52:53], v[38:39]
	scratch_load_b64 v[38:39], off, off offset:336 ; 8-byte Folded Reload
	s_wait_loadcnt 0x0
	v_pk_fma_f32 v[38:39], v[38:39], v[42:43], v[40:41]
	scratch_load_b64 v[40:41], off, off offset:368 ; 8-byte Folded Reload
	s_wait_loadcnt 0x0
	v_pk_fma_f32 v[38:39], v[40:41], v[60:61], v[38:39]
	v_and_b32_e32 v41, 0xffff0000, v35
	v_lshlrev_b32_e32 v40, 16, v35
	scratch_load_b64 v[34:35], off, off offset:400 ; 8-byte Folded Reload
	s_wait_loadcnt 0x0
	v_pk_fma_f32 v[34:35], v[34:35], v[40:41], v[38:39]
	v_and_b32_e32 v39, 0xffff0000, v31
	v_lshlrev_b32_e32 v38, 16, v31
	scratch_load_b64 v[30:31], off, off offset:432 ; 8-byte Folded Reload
	s_wait_loadcnt 0x0
	v_pk_fma_f32 v[30:31], v[30:31], v[38:39], v[34:35]
	v_and_b32_e32 v35, 0xffff0000, v27
	v_lshlrev_b32_e32 v34, 16, v27
	scratch_load_b64 v[26:27], off, off offset:464 ; 8-byte Folded Reload
	s_wait_loadcnt 0x0
	v_pk_fma_f32 v[26:27], v[26:27], v[34:35], v[30:31]
	v_and_b32_e32 v31, 0xffff0000, v23
	v_lshlrev_b32_e32 v30, 16, v23
	scratch_load_b64 v[22:23], off, off offset:496 ; 8-byte Folded Reload
	s_wait_loadcnt 0x0
	v_pk_fma_f32 v[22:23], v[22:23], v[30:31], v[26:27]
	v_and_b32_e32 v27, 0xffff0000, v19
	v_lshlrev_b32_e32 v26, 16, v19
	scratch_load_b64 v[18:19], off, off offset:528 ; 8-byte Folded Reload
	s_wait_loadcnt 0x0
	v_pk_fma_f32 v[18:19], v[18:19], v[26:27], v[22:23]
	v_and_b32_e32 v23, 0xffff0000, v15
	v_lshlrev_b32_e32 v22, 16, v15
	scratch_load_b64 v[14:15], off, off offset:560 ; 8-byte Folded Reload
	s_wait_loadcnt 0x0
	v_pk_fma_f32 v[14:15], v[14:15], v[22:23], v[18:19]
	v_and_b32_e32 v19, 0xffff0000, v11
	v_lshlrev_b32_e32 v18, 16, v11
	scratch_load_b64 v[10:11], off, off offset:592 ; 8-byte Folded Reload
	s_wait_loadcnt 0x0
	v_pk_fma_f32 v[10:11], v[10:11], v[18:19], v[14:15]
	v_and_b32_e32 v15, 0xffff0000, v7
	v_lshlrev_b32_e32 v14, 16, v7
	scratch_load_b64 v[6:7], off, off offset:624 ; 8-byte Folded Reload
	s_wait_loadcnt 0x0
	v_pk_fma_f32 v[6:7], v[6:7], v[14:15], v[10:11]
	v_and_b32_e32 v11, 0xffff0000, v3
	v_lshlrev_b32_e32 v10, 16, v3
	scratch_load_b64 v[2:3], off, off offset:656 ; 8-byte Folded Reload
	s_wait_loadcnt 0x0
	v_pk_fma_f32 v[42:43], v[2:3], v[10:11], v[6:7]
	s_clause 0x2
	scratch_load_b64 v[2:3], off, off offset:344
	scratch_load_b64 v[6:7], off, off offset:408
	;; [unrolled: 1-line block ×3, first 2 shown]
	s_wait_loadcnt 0x2
	v_pk_fma_f32 v[0:1], v[2:3], v[48:49], v[0:1]
	scratch_load_b64 v[2:3], off, off offset:376 ; 8-byte Folded Reload
	s_wait_loadcnt 0x0
	v_pk_fma_f32 v[0:1], v[2:3], v[50:51], v[0:1]
	v_and_b32_e32 v3, 0xffff0000, v36
	v_lshlrev_b32_e32 v2, 16, v36
	s_delay_alu instid0(VALU_DEP_1) | instskip(SKIP_4) | instid1(VALU_DEP_1)
	v_pk_fma_f32 v[0:1], v[6:7], v[2:3], v[0:1]
	scratch_load_b64 v[6:7], off, off offset:440 ; 8-byte Folded Reload
	v_and_b32_e32 v3, 0xffff0000, v32
	v_lshlrev_b32_e32 v2, 16, v32
	s_wait_loadcnt 0x0
	v_pk_fma_f32 v[0:1], v[6:7], v[2:3], v[0:1]
	scratch_load_b64 v[6:7], off, off offset:472 ; 8-byte Folded Reload
	v_and_b32_e32 v3, 0xffff0000, v28
	v_lshlrev_b32_e32 v2, 16, v28
	s_wait_loadcnt 0x0
	s_delay_alu instid0(VALU_DEP_1) | instskip(SKIP_4) | instid1(VALU_DEP_1)
	v_pk_fma_f32 v[0:1], v[6:7], v[2:3], v[0:1]
	scratch_load_b64 v[6:7], off, off offset:504 ; 8-byte Folded Reload
	v_and_b32_e32 v3, 0xffff0000, v24
	v_lshlrev_b32_e32 v2, 16, v24
	s_wait_loadcnt 0x0
	v_pk_fma_f32 v[0:1], v[6:7], v[2:3], v[0:1]
	scratch_load_b64 v[6:7], off, off offset:536 ; 8-byte Folded Reload
	v_and_b32_e32 v3, 0xffff0000, v20
	v_lshlrev_b32_e32 v2, 16, v20
	s_wait_loadcnt 0x0
	;; [unrolled: 11-line block ×4, first 2 shown]
	s_delay_alu instid0(VALU_DEP_1)
	v_pk_fma_f32 v[0:1], v[6:7], v[2:3], v[0:1]
	s_clause 0x1
	scratch_load_b64 v[2:3], off, off offset:352
	scratch_load_b64 v[6:7], off, off offset:384
	s_wait_loadcnt 0x1
	v_pk_fma_f32 v[2:3], v[2:3], v[120:121], v[44:45]
	s_wait_loadcnt 0x0
	s_delay_alu instid0(VALU_DEP_1) | instskip(SKIP_2) | instid1(VALU_DEP_1)
	v_pk_fma_f32 v[2:3], v[6:7], v[46:47], v[2:3]
	v_and_b32_e32 v7, 0xffff0000, v37
	v_lshlrev_b32_e32 v6, 16, v37
	v_pk_fma_f32 v[2:3], v[10:11], v[6:7], v[2:3]
	scratch_load_b64 v[10:11], off, off offset:448 ; 8-byte Folded Reload
	v_and_b32_e32 v7, 0xffff0000, v33
	v_lshlrev_b32_e32 v6, 16, v33
	s_wait_loadcnt 0x0
	s_delay_alu instid0(VALU_DEP_1) | instskip(SKIP_4) | instid1(VALU_DEP_1)
	v_pk_fma_f32 v[2:3], v[10:11], v[6:7], v[2:3]
	scratch_load_b64 v[10:11], off, off offset:480 ; 8-byte Folded Reload
	v_and_b32_e32 v7, 0xffff0000, v29
	v_lshlrev_b32_e32 v6, 16, v29
	s_wait_loadcnt 0x0
	v_pk_fma_f32 v[2:3], v[10:11], v[6:7], v[2:3]
	scratch_load_b64 v[10:11], off, off offset:512 ; 8-byte Folded Reload
	v_and_b32_e32 v7, 0xffff0000, v25
	v_lshlrev_b32_e32 v6, 16, v25
	s_wait_loadcnt 0x0
	s_delay_alu instid0(VALU_DEP_1) | instskip(SKIP_4) | instid1(VALU_DEP_1)
	v_pk_fma_f32 v[2:3], v[10:11], v[6:7], v[2:3]
	scratch_load_b64 v[10:11], off, off offset:544 ; 8-byte Folded Reload
	v_and_b32_e32 v7, 0xffff0000, v21
	v_lshlrev_b32_e32 v6, 16, v21
	s_wait_loadcnt 0x0
	;; [unrolled: 11-line block ×3, first 2 shown]
	v_pk_fma_f32 v[2:3], v[10:11], v[6:7], v[2:3]
	v_and_b32_e32 v7, 0xffff0000, v9
	v_lshlrev_b32_e32 v6, 16, v9
	scratch_load_b64 v[8:9], off, off offset:640 ; 8-byte Folded Reload
	s_wait_loadcnt 0x0
	v_pk_fma_f32 v[2:3], v[8:9], v[6:7], v[2:3]
	v_and_b32_e32 v7, 0xffff0000, v5
	v_lshlrev_b32_e32 v6, 16, v5
	scratch_load_b64 v[4:5], off, off offset:672 ; 8-byte Folded Reload
	s_wait_loadcnt 0x0
	v_pk_fma_f32 v[44:45], v[4:5], v[6:7], v[2:3]
	global_load_b128 v[2:5], v[124:125], off offset:10240
	s_wait_loadcnt 0x0
	v_and_b32_e32 v61, 0xffff0000, v2
	v_dual_lshlrev_b32 v60, 16, v2 :: v_dual_lshlrev_b32 v52, 16, v3
	v_and_b32_e32 v53, 0xffff0000, v3
	v_and_b32_e32 v49, 0xffff0000, v4
	v_dual_lshlrev_b32 v48, 16, v4 :: v_dual_lshlrev_b32 v120, 16, v5
	v_and_b32_e32 v121, 0xffff0000, v5
	global_load_b128 v[2:5], v[124:125], off offset:10752
	s_wait_loadcnt 0x0
	v_and_b32_e32 v63, 0xffff0000, v2
	v_dual_lshlrev_b32 v62, 16, v2 :: v_dual_lshlrev_b32 v64, 16, v3
	v_and_b32_e32 v65, 0xffff0000, v3
	v_and_b32_e32 v51, 0xffff0000, v4
	v_dual_lshlrev_b32 v50, 16, v4 :: v_dual_lshlrev_b32 v46, 16, v5
	v_and_b32_e32 v47, 0xffff0000, v5
	s_clause 0x9
	global_load_b128 v[38:41], v[124:125], off offset:11264
	global_load_b128 v[34:37], v[124:125], off offset:11776
	;; [unrolled: 1-line block ×10, first 2 shown]
	scratch_load_b64 v[124:125], off, off offset:680 ; 8-byte Folded Reload
	s_wait_loadcnt 0x0
	v_pk_fma_f32 v[60:61], v[124:125], v[60:61], v[126:127]
	scratch_load_b64 v[124:125], off, off offset:712 ; 8-byte Folded Reload
	s_wait_loadcnt 0x0
	v_pk_fma_f32 v[60:61], v[124:125], v[62:63], v[60:61]
	scratch_load_b64 v[124:125], off, off offset:744 ; 8-byte Folded Reload
	v_and_b32_e32 v63, 0xffff0000, v38
	v_lshlrev_b32_e32 v62, 16, v38
	s_wait_loadcnt 0x0
	s_delay_alu instid0(VALU_DEP_1) | instskip(SKIP_4) | instid1(VALU_DEP_1)
	v_pk_fma_f32 v[60:61], v[124:125], v[62:63], v[60:61]
	scratch_load_b64 v[124:125], off, off offset:776 ; 8-byte Folded Reload
	v_and_b32_e32 v63, 0xffff0000, v34
	v_lshlrev_b32_e32 v62, 16, v34
	s_wait_loadcnt 0x0
	v_pk_fma_f32 v[60:61], v[124:125], v[62:63], v[60:61]
	scratch_load_b64 v[124:125], off, off offset:808 ; 8-byte Folded Reload
	v_and_b32_e32 v63, 0xffff0000, v30
	v_lshlrev_b32_e32 v62, 16, v30
	s_wait_loadcnt 0x0
	s_delay_alu instid0(VALU_DEP_1) | instskip(SKIP_4) | instid1(VALU_DEP_1)
	v_pk_fma_f32 v[60:61], v[124:125], v[62:63], v[60:61]
	scratch_load_b64 v[124:125], off, off offset:840 ; 8-byte Folded Reload
	v_and_b32_e32 v63, 0xffff0000, v26
	v_lshlrev_b32_e32 v62, 16, v26
	s_wait_loadcnt 0x0
	v_pk_fma_f32 v[60:61], v[62:63], v[124:125], v[60:61]
	v_and_b32_e32 v63, 0xffff0000, v22
	v_lshlrev_b32_e32 v62, 16, v22
	s_delay_alu instid0(VALU_DEP_1) | instskip(SKIP_2) | instid1(VALU_DEP_1)
	v_pk_fma_f32 v[60:61], v[62:63], v[72:73], v[60:61]
	v_and_b32_e32 v63, 0xffff0000, v18
	v_lshlrev_b32_e32 v62, 16, v18
	v_pk_fma_f32 v[60:61], v[62:63], v[80:81], v[60:61]
	v_and_b32_e32 v63, 0xffff0000, v14
	v_lshlrev_b32_e32 v62, 16, v14
	s_delay_alu instid0(VALU_DEP_1) | instskip(SKIP_2) | instid1(VALU_DEP_1)
	v_pk_fma_f32 v[60:61], v[62:63], v[88:89], v[60:61]
	v_and_b32_e32 v63, 0xffff0000, v10
	v_lshlrev_b32_e32 v62, 16, v10
	;; [unrolled: 7-line block ×3, first 2 shown]
	v_pk_fma_f32 v[124:125], v[62:63], v[112:113], v[60:61]
	scratch_load_b64 v[60:61], off, off offset:688 ; 8-byte Folded Reload
	s_wait_loadcnt 0x0
	v_pk_fma_f32 v[42:43], v[60:61], v[52:53], v[42:43]
	scratch_load_b64 v[52:53], off, off offset:720 ; 8-byte Folded Reload
	s_wait_loadcnt 0x0
	v_pk_fma_f32 v[42:43], v[52:53], v[64:65], v[42:43]
	v_and_b32_e32 v53, 0xffff0000, v39
	v_lshlrev_b32_e32 v52, 16, v39
	scratch_load_b64 v[38:39], off, off offset:752 ; 8-byte Folded Reload
	s_wait_loadcnt 0x0
	v_pk_fma_f32 v[38:39], v[38:39], v[52:53], v[42:43]
	v_and_b32_e32 v43, 0xffff0000, v35
	v_lshlrev_b32_e32 v42, 16, v35
	;; [unrolled: 5-line block ×4, first 2 shown]
	s_delay_alu instid0(VALU_DEP_1) | instskip(SKIP_2) | instid1(VALU_DEP_1)
	v_pk_fma_f32 v[26:27], v[34:35], v[66:67], v[30:31]
	v_and_b32_e32 v31, 0xffff0000, v23
	v_lshlrev_b32_e32 v30, 16, v23
	v_pk_fma_f32 v[22:23], v[30:31], v[74:75], v[26:27]
	v_and_b32_e32 v27, 0xffff0000, v19
	v_lshlrev_b32_e32 v26, 16, v19
	s_delay_alu instid0(VALU_DEP_1) | instskip(SKIP_2) | instid1(VALU_DEP_1)
	v_pk_fma_f32 v[18:19], v[26:27], v[82:83], v[22:23]
	v_and_b32_e32 v23, 0xffff0000, v15
	v_lshlrev_b32_e32 v22, 16, v15
	v_pk_fma_f32 v[14:15], v[22:23], v[90:91], v[18:19]
	v_and_b32_e32 v19, 0xffff0000, v11
	v_lshlrev_b32_e32 v18, 16, v11
	;; [unrolled: 7-line block ×3, first 2 shown]
	scratch_load_b64 v[14:15], off, off offset:768 ; 8-byte Folded Reload
	v_pk_fma_f32 v[2:3], v[10:11], v[114:115], v[6:7]
	s_clause 0x1
	scratch_load_b64 v[6:7], off, off offset:696
	scratch_load_b64 v[10:11], off, off offset:760
	s_wait_loadcnt 0x1
	v_pk_fma_f32 v[0:1], v[6:7], v[48:49], v[0:1]
	scratch_load_b64 v[6:7], off, off offset:728 ; 8-byte Folded Reload
	s_wait_loadcnt 0x0
	v_pk_fma_f32 v[0:1], v[6:7], v[50:51], v[0:1]
	v_and_b32_e32 v7, 0xffff0000, v40
	v_lshlrev_b32_e32 v6, 16, v40
	s_delay_alu instid0(VALU_DEP_1) | instskip(SKIP_4) | instid1(VALU_DEP_1)
	v_pk_fma_f32 v[0:1], v[10:11], v[6:7], v[0:1]
	scratch_load_b64 v[10:11], off, off offset:792 ; 8-byte Folded Reload
	v_and_b32_e32 v7, 0xffff0000, v36
	v_lshlrev_b32_e32 v6, 16, v36
	s_wait_loadcnt 0x0
	v_pk_fma_f32 v[0:1], v[10:11], v[6:7], v[0:1]
	scratch_load_b64 v[10:11], off, off offset:824 ; 8-byte Folded Reload
	v_and_b32_e32 v7, 0xffff0000, v32
	v_lshlrev_b32_e32 v6, 16, v32
	s_wait_loadcnt 0x0
	s_delay_alu instid0(VALU_DEP_1)
	v_pk_fma_f32 v[0:1], v[10:11], v[6:7], v[0:1]
	v_and_b32_e32 v7, 0xffff0000, v28
	v_lshlrev_b32_e32 v6, 16, v28
	scratch_load_b64 v[10:11], off, off offset:736 ; 8-byte Folded Reload
	v_pk_fma_f32 v[0:1], v[6:7], v[68:69], v[0:1]
	v_and_b32_e32 v7, 0xffff0000, v24
	v_lshlrev_b32_e32 v6, 16, v24
	s_delay_alu instid0(VALU_DEP_1) | instskip(SKIP_2) | instid1(VALU_DEP_1)
	v_pk_fma_f32 v[0:1], v[6:7], v[76:77], v[0:1]
	v_and_b32_e32 v7, 0xffff0000, v20
	v_lshlrev_b32_e32 v6, 16, v20
	v_pk_fma_f32 v[0:1], v[6:7], v[84:85], v[0:1]
	v_and_b32_e32 v7, 0xffff0000, v16
	v_lshlrev_b32_e32 v6, 16, v16
	s_delay_alu instid0(VALU_DEP_1) | instskip(SKIP_2) | instid1(VALU_DEP_1)
	v_pk_fma_f32 v[0:1], v[6:7], v[92:93], v[0:1]
	v_and_b32_e32 v7, 0xffff0000, v12
	v_lshlrev_b32_e32 v6, 16, v12
	v_pk_fma_f32 v[0:1], v[6:7], v[100:101], v[0:1]
	v_and_b32_e32 v7, 0xffff0000, v8
	v_dual_lshlrev_b32 v6, 16, v8 :: v_dual_lshlrev_b32 v8, 16, v5
	s_delay_alu instid0(VALU_DEP_1) | instskip(SKIP_2) | instid1(VALU_DEP_1)
	v_pk_fma_f32 v[0:1], v[6:7], v[108:109], v[0:1]
	v_and_b32_e32 v7, 0xffff0000, v4
	v_dual_lshlrev_b32 v6, 16, v4 :: v_dual_add_f32 v4, v124, v125
	v_pk_fma_f32 v[6:7], v[6:7], v[116:117], v[0:1]
	scratch_load_b64 v[0:1], off, off offset:704 ; 8-byte Folded Reload
	s_wait_loadcnt 0x0
	v_pk_fma_f32 v[0:1], v[0:1], v[120:121], v[44:45]
	s_delay_alu instid0(VALU_DEP_1) | instskip(SKIP_2) | instid1(VALU_DEP_1)
	v_pk_fma_f32 v[0:1], v[10:11], v[46:47], v[0:1]
	v_and_b32_e32 v11, 0xffff0000, v41
	v_lshlrev_b32_e32 v10, 16, v41
	v_pk_fma_f32 v[0:1], v[14:15], v[10:11], v[0:1]
	scratch_load_b64 v[14:15], off, off offset:800 ; 8-byte Folded Reload
	v_and_b32_e32 v11, 0xffff0000, v37
	v_lshlrev_b32_e32 v10, 16, v37
	s_wait_loadcnt 0x0
	s_delay_alu instid0(VALU_DEP_1) | instskip(SKIP_4) | instid1(VALU_DEP_1)
	v_pk_fma_f32 v[0:1], v[14:15], v[10:11], v[0:1]
	scratch_load_b64 v[14:15], off, off offset:832 ; 8-byte Folded Reload
	v_and_b32_e32 v11, 0xffff0000, v33
	v_lshlrev_b32_e32 v10, 16, v33
	s_wait_loadcnt 0x0
	v_pk_fma_f32 v[0:1], v[14:15], v[10:11], v[0:1]
	v_and_b32_e32 v11, 0xffff0000, v29
	v_lshlrev_b32_e32 v10, 16, v29
	s_delay_alu instid0(VALU_DEP_1) | instskip(SKIP_2) | instid1(VALU_DEP_1)
	v_pk_fma_f32 v[0:1], v[10:11], v[70:71], v[0:1]
	v_and_b32_e32 v11, 0xffff0000, v25
	v_lshlrev_b32_e32 v10, 16, v25
	v_pk_fma_f32 v[0:1], v[10:11], v[78:79], v[0:1]
	v_and_b32_e32 v11, 0xffff0000, v21
	v_lshlrev_b32_e32 v10, 16, v21
	s_delay_alu instid0(VALU_DEP_1) | instskip(SKIP_2) | instid1(VALU_DEP_1)
	v_pk_fma_f32 v[0:1], v[10:11], v[86:87], v[0:1]
	v_and_b32_e32 v11, 0xffff0000, v17
	v_lshlrev_b32_e32 v10, 16, v17
	v_pk_fma_f32 v[0:1], v[10:11], v[94:95], v[0:1]
	v_and_b32_e32 v11, 0xffff0000, v13
	v_lshlrev_b32_e32 v10, 16, v13
	s_delay_alu instid0(VALU_DEP_1) | instskip(SKIP_3) | instid1(VALU_DEP_2)
	v_pk_fma_f32 v[0:1], v[10:11], v[102:103], v[0:1]
	v_and_b32_e32 v11, 0xffff0000, v9
	v_lshlrev_b32_e32 v10, 16, v9
	v_and_b32_e32 v9, 0xffff0000, v5
	v_pk_fma_f32 v[0:1], v[10:11], v[110:111], v[0:1]
	s_delay_alu instid0(VALU_DEP_1) | instskip(SKIP_1) | instid1(VALU_DEP_1)
	v_pk_fma_f32 v[0:1], v[8:9], v[118:119], v[0:1]
	v_add_f32_e32 v2, v4, v2
	v_add_f32_e32 v2, v3, v2
	s_delay_alu instid0(VALU_DEP_1) | instskip(NEXT) | instid1(VALU_DEP_1)
	v_add_f32_e32 v2, v6, v2
	v_add_f32_e32 v2, v7, v2
	s_delay_alu instid0(VALU_DEP_1) | instskip(NEXT) | instid1(VALU_DEP_1)
	;; [unrolled: 3-line block ×3, first 2 shown]
	v_fmac_f32_e32 v58, s7, v0
	v_cndmask_b32_e64 v0, 0, v58, s4
	ds_store_b32 v55, v0
	v_dual_max_num_f32 v0, v54, v54 :: v_dual_add_nc_u32 v55, 0x200, v55
	s_delay_alu instid0(VALU_DEP_1) | instskip(NEXT) | instid1(VALU_DEP_1)
	v_max_num_f32_e32 v0, v0, v58
	v_cndmask_b32_e64 v54, v54, v0, s4
	v_cmp_le_i32_e64 s4, s24, v57
	s_or_b32 s13, s4, s13
	s_wait_xcnt 0x0
	s_and_not1_b32 exec_lo, exec_lo, s13
	s_cbranch_execnz .LBB161_6
; %bb.7:
	s_or_b32 exec_lo, exec_lo, s13
	scratch_load_b32 v30, off, off offset:868 ; 4-byte Folded Reload
	v_mov_b32_e32 v28, v59
.LBB161_8:
	s_wait_xcnt 0x0
	s_or_b32 exec_lo, exec_lo, s6
	v_mbcnt_lo_u32_b32 v3, -1, 0
	s_clause 0x1
	s_load_b64 s[6:7], s[0:1], 0x0
	s_load_b64 s[18:19], s[0:1], 0x18
	s_delay_alu instid0(VALU_DEP_1) | instskip(SKIP_1) | instid1(VALU_DEP_2)
	v_dual_max_num_f32 v4, v54, v54 :: v_dual_bitop2_b32 v0, 16, v3 bitop3:0x14
	v_xor_b32_e32 v2, 8, v3
	v_cmp_gt_i32_e32 vcc_lo, 32, v0
	v_cndmask_b32_e32 v0, v3, v0, vcc_lo
	s_delay_alu instid0(VALU_DEP_3) | instskip(NEXT) | instid1(VALU_DEP_2)
	v_cmp_gt_i32_e32 vcc_lo, 32, v2
	v_dual_lshlrev_b32 v0, 2, v0 :: v_dual_cndmask_b32 v2, v3, v2, vcc_lo
	ds_bpermute_b32 v1, v0, v54
	s_wait_dscnt 0x0
	v_dual_max_num_f32 v5, v1, v1 :: v_dual_lshlrev_b32 v1, 2, v2
	s_delay_alu instid0(VALU_DEP_1) | instskip(SKIP_4) | instid1(VALU_DEP_1)
	v_dual_max_num_f32 v4, v4, v5 :: v_dual_bitop2_b32 v5, 4, v3 bitop3:0x14
	ds_bpermute_b32 v2, v1, v4
	v_cmp_gt_i32_e32 vcc_lo, 32, v5
	s_wait_dscnt 0x0
	v_dual_cndmask_b32 v5, v3, v5 :: v_dual_max_num_f32 v6, v2, v2
	v_dual_lshlrev_b32 v2, 2, v5 :: v_dual_max_num_f32 v4, v4, v6
	ds_bpermute_b32 v5, v2, v4
	s_wait_dscnt 0x0
	v_dual_max_num_f32 v5, v5, v5 :: v_dual_bitop2_b32 v6, 2, v3 bitop3:0x14
	s_delay_alu instid0(VALU_DEP_1) | instskip(NEXT) | instid1(VALU_DEP_2)
	v_cmp_gt_i32_e32 vcc_lo, 32, v6
	v_dual_max_num_f32 v4, v4, v5 :: v_dual_cndmask_b32 v6, v3, v6, vcc_lo
	s_delay_alu instid0(VALU_DEP_1)
	v_lshlrev_b32_e32 v6, 2, v6
	ds_bpermute_b32 v5, v6, v4
	s_wait_dscnt 0x0
	v_max_num_f32_e32 v5, v5, v5
	scratch_store_b32 off, v6, off offset:256 ; 4-byte Folded Spill
	s_wait_xcnt 0x0
	v_dual_max_num_f32 v4, v4, v5 :: v_dual_bitop2_b32 v6, 1, v3 bitop3:0x14
	s_delay_alu instid0(VALU_DEP_1) | instskip(SKIP_1) | instid1(VALU_DEP_1)
	v_cmp_gt_i32_e32 vcc_lo, 32, v6
	v_cndmask_b32_e32 v3, v3, v6, vcc_lo
	v_lshlrev_b32_e32 v3, 2, v3
	scratch_store_b32 off, v3, off offset:248 ; 4-byte Folded Spill
	ds_bpermute_b32 v5, v3, v4
	scratch_load_b32 v3, off, off offset:860 ; 4-byte Folded Reload
	s_wait_loadcnt 0x0
	v_cmp_eq_u32_e32 vcc_lo, 0, v3
	scratch_load_b32 v3, off, off offset:864 ; 4-byte Folded Reload
	s_wait_loadcnt 0x0
	v_lshlrev_b32_e32 v3, 2, v3
	s_wait_xcnt 0x0
	s_and_saveexec_b32 s0, vcc_lo
	s_cbranch_execz .LBB161_10
; %bb.9:
	s_wait_dscnt 0x0
	v_dual_max_num_f32 v5, v5, v5 :: v_dual_max_num_f32 v4, v4, v4
	s_delay_alu instid0(VALU_DEP_1)
	v_max_num_f32_e32 v4, v4, v5
	ds_store_b32 v3, v4 offset:512
.LBB161_10:
	s_or_b32 exec_lo, exec_lo, s0
	scratch_load_b32 v4, off, off offset:860 ; 4-byte Folded Reload
	s_wait_storecnt 0x0
	s_wait_loadcnt_dscnt 0x0
	s_barrier_signal -1
	s_barrier_wait -1
	v_cmp_gt_u32_e64 s0, 4, v4
	v_mov_b32_e32 v4, 0xff7fffff
	s_and_saveexec_b32 s1, s0
; %bb.11:
	ds_load_b32 v4, v28 offset:512
; %bb.12:
	s_or_b32 exec_lo, exec_lo, s1
	scratch_load_b32 v5, off, off offset:256 ; 4-byte Folded Reload
	s_lshl_b32 s1, s24, 5
	scratch_load_b32 v6, off, off offset:856 ; 4-byte Folded Reload
	s_min_i32 s10, s1, s23
	s_wait_loadcnt_dscnt 0x100
	ds_bpermute_b32 v5, v5, v4
	v_max_num_f32_e32 v4, v4, v4
	s_wait_loadcnt 0x0
	v_cmp_gt_i32_e64 s1, s10, v6
	s_wait_dscnt 0x0
	v_max_num_f32_e32 v5, v5, v5
	s_delay_alu instid0(VALU_DEP_1)
	v_max_num_f32_e32 v4, v4, v5
	scratch_load_b32 v5, off, off offset:248 ; 4-byte Folded Reload
	s_wait_loadcnt 0x0
	ds_bpermute_b32 v5, v5, v4
	s_wait_dscnt 0x0
	v_max_num_f32_e32 v5, v5, v5
	s_delay_alu instid0(VALU_DEP_1)
	v_dual_max_num_f32 v5, v4, v5 :: v_dual_mov_b32 v4, 0
	ds_bpermute_b32 v5, v4, v5
	s_and_saveexec_b32 s11, s1
	s_cbranch_execz .LBB161_16
; %bb.13:
	scratch_load_b32 v7, off, off offset:856 ; 4-byte Folded Reload
	v_mov_b32_e32 v4, 0
	s_mov_b32 s13, 0
	s_wait_loadcnt 0x0
	v_lshl_add_u32 v6, v7, 2, 0x220
.LBB161_14:                             ; =>This Inner Loop Header: Depth=1
	ds_load_b32 v8, v6
	v_add_nc_u32_e32 v7, 0x80, v7
	s_delay_alu instid0(VALU_DEP_1) | instskip(SKIP_3) | instid1(VALU_DEP_1)
	v_cmp_le_i32_e64 s4, s10, v7
	s_or_b32 s13, s4, s13
	s_wait_dscnt 0x0
	v_sub_f32_e32 v8, v8, v5
	v_mul_f32_e32 v8, 0x3fb8aa3b, v8
	s_delay_alu instid0(VALU_DEP_1)
	v_exp_f32_e32 v8, v8
	ds_store_b32 v6, v8
	v_nop
	v_add_f32_e32 v4, v4, v8
	v_add_nc_u32_e32 v6, 0x200, v6
	s_and_not1_b32 exec_lo, exec_lo, s13
	s_cbranch_execnz .LBB161_14
; %bb.15:
	s_or_b32 exec_lo, exec_lo, s13
.LBB161_16:
	s_delay_alu instid0(SALU_CYCLE_1)
	s_or_b32 exec_lo, exec_lo, s11
	ds_bpermute_b32 v0, v0, v4
	s_wait_dscnt 0x0
	v_add_f32_e32 v0, v4, v0
	ds_bpermute_b32 v1, v1, v0
	s_wait_dscnt 0x0
	v_add_f32_e32 v0, v0, v1
	;; [unrolled: 3-line block ×3, first 2 shown]
	scratch_load_b32 v1, off, off offset:256 ; 4-byte Folded Reload
	s_wait_loadcnt 0x0
	ds_bpermute_b32 v1, v1, v0
	s_wait_dscnt 0x0
	v_add_f32_e32 v0, v0, v1
	scratch_load_b32 v1, off, off offset:248 ; 4-byte Folded Reload
	s_wait_loadcnt 0x0
	ds_bpermute_b32 v1, v1, v0
	s_wait_dscnt 0x0
	v_add_f32_e32 v0, v0, v1
	s_and_saveexec_b32 s4, vcc_lo
; %bb.17:
	ds_store_b32 v3, v0 offset:528
; %bb.18:
	s_or_b32 exec_lo, exec_lo, s4
	s_wait_dscnt 0x0
	s_barrier_signal -1
	s_barrier_wait -1
	s_and_saveexec_b32 s4, s0
; %bb.19:
	ds_load_b32 v0, v28 offset:528
; %bb.20:
	s_or_b32 exec_lo, exec_lo, s4
	scratch_load_b32 v1, off, off offset:256 ; 4-byte Folded Reload
	v_mov_b32_e32 v3, 0
	s_wait_loadcnt_dscnt 0x0
	ds_bpermute_b32 v1, v1, v0
	s_wait_dscnt 0x0
	v_add_f32_e32 v0, v0, v1
	scratch_load_b32 v1, off, off offset:248 ; 4-byte Folded Reload
	s_wait_loadcnt 0x0
	ds_bpermute_b32 v1, v1, v0
	s_wait_dscnt 0x0
	v_dual_add_f32 v0, v0, v1 :: v_dual_mov_b32 v1, 0
	scratch_store_b64 off, v[0:1], off offset:48 ; 8-byte Folded Spill
	s_wait_xcnt 0x0
	ds_bpermute_b32 v0, v3, v0
	s_and_saveexec_b32 s0, s1
	s_cbranch_execz .LBB161_33
; %bb.21:
	s_wait_dscnt 0x0
	v_add_f32_e32 v0, 0x358637bd, v0
	s_mov_b32 s4, -1
	s_mov_b32 s1, exec_lo
	s_delay_alu instid0(VALU_DEP_1) | instskip(NEXT) | instid1(VALU_DEP_1)
	v_div_scale_f32 v1, null, v0, v0, 1.0
	v_rcp_f32_e32 v3, v1
	v_nop
	s_delay_alu instid0(TRANS32_DEP_1) | instskip(NEXT) | instid1(VALU_DEP_1)
	v_fma_f32 v2, -v1, v3, 1.0
	v_fmac_f32_e32 v3, v2, v3
	v_div_scale_f32 v4, vcc_lo, 1.0, v0, 1.0
	s_delay_alu instid0(VALU_DEP_1) | instskip(NEXT) | instid1(VALU_DEP_1)
	v_mul_f32_e32 v5, v4, v3
	v_fma_f32 v2, -v1, v5, v4
	s_delay_alu instid0(VALU_DEP_1) | instskip(NEXT) | instid1(VALU_DEP_1)
	v_fmac_f32_e32 v5, v2, v3
	v_fma_f32 v1, -v1, v5, v4
	scratch_load_b32 v4, off, off offset:856 ; 4-byte Folded Reload
	v_div_fmas_f32 v1, v1, v3, v5
	s_delay_alu instid0(VALU_DEP_1) | instskip(SKIP_4) | instid1(VALU_DEP_2)
	v_div_fixup_f32 v0, v1, v0, 1.0
	s_wait_loadcnt 0x0
	v_xad_u32 v2, v4, -1, s10
	v_mov_b32_e32 v1, v4
	s_wait_xcnt 0x0
	v_cmpx_lt_u32_e32 0x7f, v2
	s_cbranch_execz .LBB161_30
; %bb.22:
	v_dual_mov_b32 v1, v0 :: v_dual_lshrrev_b32 v2, 7, v2
	s_delay_alu instid0(VALU_DEP_1) | instskip(NEXT) | instid1(VALU_DEP_1)
	v_dual_mov_b32 v6, 0 :: v_dual_add_nc_u32 v3, -1, v2
	v_lshrrev_b32_e32 v4, 1, v3
	v_cmp_lt_u32_e32 vcc_lo, 13, v3
	s_delay_alu instid0(VALU_DEP_2)
	v_add_nc_u32_e32 v3, 1, v4
	s_and_saveexec_b32 s4, vcc_lo
	s_cbranch_execz .LBB161_26
; %bb.23:
	scratch_load_b32 v5, off, off offset:856 ; 4-byte Folded Reload
	v_and_b32_e32 v4, -8, v3
	s_mov_b32 s11, 0
	s_mov_b32 s13, 0
	s_wait_loadcnt 0x0
	v_lshl_add_u32 v5, v5, 2, 0x220
.LBB161_24:                             ; =>This Inner Loop Header: Depth=1
	ds_load_2addr_stride64_b32 v[6:7], v5 offset1:2
	ds_load_2addr_stride64_b32 v[8:9], v5 offset0:4 offset1:6
	ds_load_2addr_stride64_b32 v[10:11], v5 offset0:8 offset1:10
	;; [unrolled: 1-line block ×7, first 2 shown]
	s_add_co_i32 s13, s13, 16
	v_add_nc_u32_e32 v4, -8, v4
	s_wait_dscnt 0x7
	v_pk_mul_f32 v[6:7], v[0:1], v[6:7]
	s_wait_dscnt 0x6
	v_pk_mul_f32 v[8:9], v[0:1], v[8:9]
	;; [unrolled: 2-line block ×8, first 2 shown]
	ds_store_2addr_stride64_b32 v5, v6, v7 offset1:2
	ds_store_2addr_stride64_b32 v5, v8, v9 offset0:4 offset1:6
	ds_store_2addr_stride64_b32 v5, v10, v11 offset0:8 offset1:10
	;; [unrolled: 1-line block ×7, first 2 shown]
	v_mov_b32_e32 v6, s13
	v_cmp_eq_u32_e32 vcc_lo, 0, v4
	v_add_nc_u32_e32 v5, 0x2000, v5
	s_or_b32 s11, vcc_lo, s11
	s_wait_xcnt 0x0
	s_and_not1_b32 exec_lo, exec_lo, s11
	s_cbranch_execnz .LBB161_24
; %bb.25:
	s_or_b32 exec_lo, exec_lo, s11
.LBB161_26:
	s_delay_alu instid0(SALU_CYCLE_1) | instskip(NEXT) | instid1(VALU_DEP_1)
	s_or_b32 exec_lo, exec_lo, s4
	v_and_b32_e32 v3, 7, v3
	s_mov_b32 s11, 0
	s_mov_b32 s4, exec_lo
	s_delay_alu instid0(VALU_DEP_1)
	v_cmpx_ne_u32_e32 0, v3
	s_cbranch_execz .LBB161_29
; %bb.27:
	scratch_load_b32 v5, off, off offset:856 ; 4-byte Folded Reload
	s_wait_loadcnt 0x0
	v_dual_lshlrev_b32 v4, 9, v6 :: v_dual_lshlrev_b32 v5, 2, v5
	s_delay_alu instid0(VALU_DEP_1)
	v_add3_u32 v4, v4, v5, 0x220
.LBB161_28:                             ; =>This Inner Loop Header: Depth=1
	ds_load_2addr_stride64_b32 v[6:7], v4 offset1:2
	v_add_nc_u32_e32 v3, -1, v3
	s_delay_alu instid0(VALU_DEP_1)
	v_cmp_eq_u32_e32 vcc_lo, 0, v3
	s_or_b32 s11, vcc_lo, s11
	s_wait_dscnt 0x0
	v_pk_mul_f32 v[6:7], v[0:1], v[6:7]
	ds_store_2addr_stride64_b32 v4, v6, v7 offset1:2
	v_add_nc_u32_e32 v4, 0x400, v4
	s_wait_xcnt 0x0
	s_and_not1_b32 exec_lo, exec_lo, s11
	s_cbranch_execnz .LBB161_28
.LBB161_29:
	s_or_b32 exec_lo, exec_lo, s4
	v_add_nc_u32_e32 v1, 1, v2
	s_delay_alu instid0(VALU_DEP_1) | instskip(NEXT) | instid1(VALU_DEP_1)
	v_and_b32_e32 v2, 0x3fffffe, v1
	v_cmp_ne_u32_e32 vcc_lo, v1, v2
	scratch_load_b32 v1, off, off offset:856 ; 4-byte Folded Reload
	s_or_not1_b32 s4, vcc_lo, exec_lo
	s_wait_loadcnt 0x0
	v_lshl_add_u32 v1, v2, 7, v1
.LBB161_30:
	s_wait_xcnt 0x0
	s_or_b32 exec_lo, exec_lo, s1
	s_delay_alu instid0(SALU_CYCLE_1)
	s_and_b32 exec_lo, exec_lo, s4
	s_cbranch_execz .LBB161_33
; %bb.31:
	v_lshl_add_u32 v2, v1, 2, 0x220
	s_mov_b32 s1, 0
.LBB161_32:                             ; =>This Inner Loop Header: Depth=1
	ds_load_b32 v3, v2
	v_add_nc_u32_e32 v1, 0x80, v1
	s_delay_alu instid0(VALU_DEP_1)
	v_cmp_le_i32_e32 vcc_lo, s10, v1
	s_or_b32 s1, vcc_lo, s1
	s_wait_dscnt 0x0
	v_mul_f32_e32 v3, v0, v3
	ds_store_b32 v2, v3
	v_add_nc_u32_e32 v2, 0x200, v2
	s_and_not1_b32 exec_lo, exec_lo, s1
	s_cbranch_execnz .LBB161_32
.LBB161_33:
	s_or_b32 exec_lo, exec_lo, s0
	s_wait_dscnt 0x0
	s_clause 0x1
	scratch_load_b32 v0, off, off offset:856
	scratch_load_b64 v[2:3], off, off offset:48
	v_dual_mov_b32 v65, 0 :: v_dual_mov_b32 v64, 0
	v_dual_mov_b32 v67, 0 :: v_dual_mov_b32 v66, 0
	;; [unrolled: 1-line block ×15, first 2 shown]
	s_wait_loadcnt 0x0
	v_dual_mov_b32 v2, 0 :: v_dual_bitop2_b32 v1, 3, v0 bitop3:0x40
	s_clause 0x1
	scratch_store_b64 off, v[2:3], off offset:48
	scratch_store_b32 off, v1, off offset:264
	s_wait_storecnt 0x0
	s_barrier_signal -1
	s_barrier_wait -1
	s_wait_xcnt 0x0
	s_and_saveexec_b32 s25, s3
	s_cbranch_execz .LBB161_101
; %bb.34:
	s_clause 0x1
	scratch_load_b32 v2, off, off offset:264
	scratch_load_b32 v5, off, off offset:864
	v_lshlrev_b32_e32 v0, 3, v0
	s_ashr_i32 s13, s12, 31
	v_and_b32_e32 v6, 0x7c, v30
	s_lshl_b64 s[0:1], s[12:13], 1
	s_ashr_i32 s11, s5, 31
	s_wait_kmcnt 0x0
	s_add_nc_u64 s[12:13], s[18:19], s[0:1]
	s_lshl_b64 s[0:1], s[16:17], 2
	s_mov_b32 s10, s5
	s_add_nc_u64 s[0:1], s[14:15], s[0:1]
	s_add_co_i32 s5, s24, -1
	s_mov_b32 s15, s23
	s_mov_b32 s14, 0
	v_mov_b32_e32 v7, 0
	s_delay_alu instid0(VALU_DEP_1)
	v_add_nc_u64_e32 v[8:9], s[0:1], v[6:7]
	v_dual_mov_b32 v19, v7 :: v_dual_mov_b32 v18, v7
	v_dual_mov_b32 v17, v7 :: v_dual_mov_b32 v16, v7
	s_wait_loadcnt 0x1
	v_dual_lshlrev_b32 v3, 5, v2 :: v_dual_bitop2_b32 v1, 24, v0 bitop3:0x40
	v_and_b32_e32 v2, 0xf8, v0
	v_or_b32_e32 v4, 0x1f00, v0
	s_wait_loadcnt 0x0
	s_delay_alu instid0(VALU_DEP_3) | instskip(SKIP_1) | instid1(VALU_DEP_3)
	v_lshl_or_b32 v3, v5, 7, v3
	v_lshl_or_b32 v0, v5, 5, v1
	v_dual_lshlrev_b32 v2, 1, v2 :: v_dual_lshlrev_b32 v6, 1, v4
	s_delay_alu instid0(VALU_DEP_3)
	v_dual_mov_b32 v4, v5 :: v_dual_add_nc_u32 v1, 0x220, v3
	v_mov_b32_e32 v3, v7
	scratch_store_b64 off, v[2:3], off offset:240 ; 8-byte Folded Spill
	s_wait_xcnt 0x0
	v_mov_b32_e32 v2, v7
	s_clause 0xe
	scratch_store_b64 off, v[2:3], off offset:48
	scratch_store_b64 off, v[2:3], off offset:56
	;; [unrolled: 1-line block ×15, first 2 shown]
	s_branch .LBB161_36
.LBB161_35:                             ;   in Loop: Header=BB161_36 Depth=1
	s_or_b32 exec_lo, exec_lo, s16
	scratch_load_b128 v[6:9], off, off offset:216 th:TH_LOAD_LU ; 16-byte Folded Reload
	v_add_nc_u32_e32 v0, 0x80, v0
	s_wait_loadcnt 0x0
	v_cvt_pk_bf16_f32 v1, v8, v9
	scratch_load_b128 v[8:11], off, off offset:200 th:TH_LOAD_LU ; 16-byte Folded Reload
	v_cvt_pk_bf16_f32 v6, v6, v7
	v_pk_mul_bf16 v63, v1, v63
	v_pk_mul_bf16 v119, v1, v119
	s_delay_alu instid0(VALU_DEP_3)
	v_pk_mul_bf16 v7, v6, v2
	v_pk_mul_bf16 v62, v6, v62
	;; [unrolled: 1-line block ×19, first 2 shown]
	s_wait_loadcnt 0x0
	v_cvt_pk_bf16_f32 v126, v8, v9
	v_cvt_pk_bf16_f32 v127, v10, v11
	v_pk_mul_bf16 v8, v1, v3
	v_pk_mul_bf16 v9, v1, v67
	;; [unrolled: 1-line block ×8, first 2 shown]
	v_lshlrev_b32_e32 v123, 16, v7
	v_and_b32_e32 v7, 0xffff0000, v7
	v_pk_mul_bf16 v64, v126, v64
	v_pk_mul_bf16 v3, v127, v69
	;; [unrolled: 1-line block ×4, first 2 shown]
	v_dual_add_f32 v7, v123, v7 :: v_dual_lshlrev_b32 v123, 16, v8
	v_and_b32_e32 v8, 0xffff0000, v8
	scratch_load_b128 v[10:13], off, off offset:32 th:TH_LOAD_LU ; 16-byte Folded Reload
	v_pk_mul_bf16 v122, v127, v125
	v_pk_mul_bf16 v120, v126, v120
	;; [unrolled: 1-line block ×3, first 2 shown]
	v_add_f32_e32 v8, v123, v8
	v_pk_mul_bf16 v121, v127, v121
	v_pk_mul_bf16 v112, v126, v112
	v_pk_mul_bf16 v117, v127, v117
	v_pk_mul_bf16 v113, v127, v113
	v_dual_add_f32 v7, v8, v7 :: v_dual_lshlrev_b32 v8, 16, v4
	v_and_b32_e32 v4, 0xffff0000, v4
	v_pk_mul_bf16 v108, v126, v108
	v_pk_mul_bf16 v104, v126, v104
	;; [unrolled: 1-line block ×4, first 2 shown]
	v_add_f32_e32 v4, v8, v4
	v_and_b32_e32 v8, 0xffff0000, v9
	v_pk_mul_bf16 v105, v127, v105
	v_pk_mul_bf16 v92, v126, v92
	;; [unrolled: 1-line block ×3, first 2 shown]
	v_dual_add_f32 v4, v4, v7 :: v_dual_lshlrev_b32 v7, 16, v5
	v_and_b32_e32 v5, 0xffff0000, v5
	v_pk_mul_bf16 v93, v127, v93
	v_pk_mul_bf16 v88, v126, v88
	;; [unrolled: 1-line block ×4, first 2 shown]
	v_add_f32_e32 v5, v7, v5
	v_lshlrev_b32_e32 v7, 16, v9
	v_and_b32_e32 v9, 0xffff0000, v62
	v_pk_mul_bf16 v85, v127, v85
	v_pk_mul_bf16 v60, v126, v60
	;; [unrolled: 1-line block ×3, first 2 shown]
	v_dual_add_f32 v7, v7, v8 :: v_dual_lshlrev_b32 v8, 16, v2
	v_and_b32_e32 v2, 0xffff0000, v2
	v_pk_mul_bf16 v32, v126, v32
	s_delay_alu instid0(VALU_DEP_2) | instskip(SKIP_2) | instid1(VALU_DEP_3)
	v_dual_add_f32 v2, v8, v2 :: v_dual_add_f32 v5, v7, v5
	v_lshlrev_b32_e32 v7, 16, v66
	v_and_b32_e32 v8, 0xffff0000, v66
	v_add_f32_e32 v2, v2, v4
	s_delay_alu instid0(VALU_DEP_2) | instskip(SKIP_1) | instid1(VALU_DEP_2)
	v_dual_add_f32 v7, v7, v8 :: v_dual_lshlrev_b32 v8, 16, v62
	v_and_b32_e32 v62, 0xffff0000, v63
	v_dual_add_f32 v8, v8, v9 :: v_dual_lshlrev_b32 v9, 16, v63
	v_and_b32_e32 v63, 0xffff0000, v115
	s_delay_alu instid0(VALU_DEP_2) | instskip(SKIP_2) | instid1(VALU_DEP_3)
	v_dual_add_f32 v9, v9, v62 :: v_dual_add_f32 v4, v7, v5
	v_lshlrev_b32_e32 v7, 16, v64
	v_and_b32_e32 v62, 0xffff0000, v65
	v_add_f32_e32 v5, v9, v8
	v_and_b32_e32 v8, 0xffff0000, v64
	v_and_b32_e32 v9, 0xffff0000, v68
	s_delay_alu instid0(VALU_DEP_2) | instskip(SKIP_1) | instid1(VALU_DEP_1)
	v_dual_add_f32 v7, v7, v8 :: v_dual_lshlrev_b32 v8, 16, v3
	v_and_b32_e32 v3, 0xffff0000, v3
	v_dual_add_f32 v3, v8, v3 :: v_dual_add_f32 v5, v7, v5
	v_lshlrev_b32_e32 v7, 16, v67
	v_and_b32_e32 v8, 0xffff0000, v67
	scratch_load_b64 v[66:67], off, off offset:48 th:TH_LOAD_LU ; 8-byte Folded Reload
	v_add_f32_e32 v7, v7, v8
	v_lshlrev_b32_e32 v8, 16, v68
	s_delay_alu instid0(VALU_DEP_1)
	v_add_f32_e32 v8, v8, v9
	v_lshlrev_b32_e32 v9, 16, v65
	scratch_load_b64 v[64:65], off, off offset:56 th:TH_LOAD_LU ; 8-byte Folded Reload
	v_dual_add_f32 v7, v8, v7 :: v_dual_add_f32 v9, v9, v62
	v_lshlrev_b32_e32 v8, 16, v69
	v_and_b32_e32 v62, 0xffff0000, v69
	scratch_load_b64 v[68:69], off, off offset:96 th:TH_LOAD_LU ; 8-byte Folded Reload
	s_wait_loadcnt 0x3
	v_pk_mul_bf16 v11, v1, v11
	v_pk_mul_bf16 v12, v126, v12
	s_wait_loadcnt 0x2
	v_add_f32_e32 v66, v66, v2
	v_dual_add_f32 v8, v8, v62 :: v_dual_add_f32 v2, v3, v4
	v_dual_add_f32 v3, v9, v5 :: v_dual_lshlrev_b32 v5, 16, v118
	v_and_b32_e32 v9, 0xffff0000, v122
	s_delay_alu instid0(VALU_DEP_3) | instskip(SKIP_3) | instid1(VALU_DEP_3)
	v_add_f32_e32 v4, v8, v7
	v_and_b32_e32 v7, 0xffff0000, v118
	v_and_b32_e32 v8, 0xffff0000, v119
	;; [unrolled: 1-line block ×3, first 2 shown]
	v_add_f32_e32 v5, v5, v7
	s_wait_loadcnt 0x1
	v_dual_lshlrev_b32 v7, 16, v119 :: v_dual_add_f32 v65, v65, v2
	s_delay_alu instid0(VALU_DEP_1) | instskip(NEXT) | instid1(VALU_DEP_1)
	v_dual_add_f32 v7, v7, v8 :: v_dual_lshlrev_b32 v8, 16, v122
	v_add_f32_e32 v5, v7, v5
	s_delay_alu instid0(VALU_DEP_2) | instskip(SKIP_1) | instid1(VALU_DEP_1)
	v_dual_add_f32 v8, v8, v9 :: v_dual_lshlrev_b32 v7, 16, v120
	v_and_b32_e32 v9, 0xffff0000, v120
	v_dual_add_f32 v7, v7, v9 :: v_dual_lshlrev_b32 v9, 16, v114
	s_delay_alu instid0(VALU_DEP_1) | instskip(NEXT) | instid1(VALU_DEP_2)
	v_dual_add_f32 v64, v64, v3 :: v_dual_add_f32 v3, v7, v5
	v_dual_add_f32 v9, v9, v62 :: v_dual_lshlrev_b32 v62, 16, v115
	v_lshlrev_b32_e32 v5, 16, v116
	v_and_b32_e32 v7, 0xffff0000, v116
	scratch_store_b64 off, v[64:65], off offset:56 ; 8-byte Folded Spill
	s_wait_xcnt 0x0
	v_and_b32_e32 v64, 0xffff0000, v107
	v_dual_add_f32 v62, v62, v63 :: v_dual_add_f32 v2, v8, v4
	v_and_b32_e32 v8, 0xffff0000, v110
	v_dual_add_f32 v5, v5, v7 :: v_dual_lshlrev_b32 v7, 16, v110
	s_delay_alu instid0(VALU_DEP_3) | instskip(SKIP_4) | instid1(VALU_DEP_1)
	v_add_f32_e32 v4, v62, v9
	v_and_b32_e32 v9, 0xffff0000, v111
	v_and_b32_e32 v62, 0xffff0000, v121
	;; [unrolled: 1-line block ×3, first 2 shown]
	v_dual_add_f32 v7, v7, v8 :: v_dual_lshlrev_b32 v8, 16, v111
	v_add_f32_e32 v8, v8, v9
	v_lshlrev_b32_e32 v9, 16, v121
	s_delay_alu instid0(VALU_DEP_1) | instskip(NEXT) | instid1(VALU_DEP_3)
	v_add_f32_e32 v9, v9, v62
	v_dual_add_f32 v4, v5, v4 :: v_dual_add_f32 v5, v8, v7
	v_lshlrev_b32_e32 v7, 16, v112
	v_and_b32_e32 v8, 0xffff0000, v112
	v_and_b32_e32 v62, 0xffff0000, v117
	s_delay_alu instid0(VALU_DEP_2) | instskip(NEXT) | instid1(VALU_DEP_1)
	v_dual_add_f32 v7, v7, v8 :: v_dual_lshlrev_b32 v8, 16, v117
	v_add_f32_e32 v8, v8, v62
	v_and_b32_e32 v62, 0xffff0000, v113
	s_delay_alu instid0(VALU_DEP_3) | instskip(SKIP_1) | instid1(VALU_DEP_1)
	v_add_f32_e32 v5, v7, v5
	v_lshlrev_b32_e32 v7, 16, v113
	v_add_f32_e32 v7, v7, v62
	v_lshlrev_b32_e32 v62, 16, v106
	s_delay_alu instid0(VALU_DEP_1) | instskip(SKIP_1) | instid1(VALU_DEP_1)
	v_add_f32_e32 v62, v62, v63
	v_lshlrev_b32_e32 v63, 16, v107
	v_add_f32_e32 v63, v63, v64
	scratch_load_b64 v[64:65], off, off offset:64 th:TH_LOAD_LU ; 8-byte Folded Reload
	s_wait_loadcnt 0x0
	v_add_f32_e32 v65, v65, v2
	v_dual_add_f32 v2, v9, v3 :: v_dual_add_f32 v3, v8, v4
	v_dual_add_f32 v4, v7, v5 :: v_dual_lshlrev_b32 v7, 16, v108
	v_and_b32_e32 v8, 0xffff0000, v108
	v_and_b32_e32 v9, 0xffff0000, v102
	s_delay_alu instid0(VALU_DEP_2) | instskip(SKIP_3) | instid1(VALU_DEP_3)
	v_dual_add_f32 v64, v64, v2 :: v_dual_add_f32 v7, v7, v8
	v_lshlrev_b32_e32 v8, 16, v102
	v_add_f32_e32 v5, v63, v62
	v_and_b32_e32 v62, 0xffff0000, v103
	v_dual_add_f32 v8, v8, v9 :: v_dual_lshlrev_b32 v9, 16, v103
	s_delay_alu instid0(VALU_DEP_3) | instskip(SKIP_2) | instid1(VALU_DEP_4)
	v_add_f32_e32 v2, v7, v5
	v_and_b32_e32 v5, 0xffff0000, v104
	v_and_b32_e32 v7, 0xffff0000, v94
	v_add_f32_e32 v9, v9, v62
	scratch_load_b64 v[62:63], off, off offset:72 th:TH_LOAD_LU ; 8-byte Folded Reload
	s_wait_loadcnt 0x0
	v_add_f32_e32 v62, v62, v4
	v_dual_add_f32 v63, v63, v3 :: v_dual_lshlrev_b32 v4, 16, v104
	v_add_f32_e32 v3, v9, v8
	v_and_b32_e32 v8, 0xffff0000, v95
	v_and_b32_e32 v9, 0xffff0000, v109
	s_delay_alu instid0(VALU_DEP_4)
	v_dual_add_f32 v4, v4, v5 :: v_dual_lshlrev_b32 v5, 16, v94
	s_clause 0x1
	scratch_store_b64 off, v[64:65], off offset:64
	scratch_store_b64 off, v[62:63], off offset:72
	s_wait_xcnt 0x0
	v_and_b32_e32 v62, 0xffff0000, v91
	v_and_b32_e32 v63, 0xffff0000, v105
	v_add_f32_e32 v5, v5, v7
	v_lshlrev_b32_e32 v7, 16, v95
	v_and_b32_e32 v64, 0xffff0000, v86
	v_and_b32_e32 v65, 0xffff0000, v87
	s_delay_alu instid0(VALU_DEP_3) | instskip(NEXT) | instid1(VALU_DEP_1)
	v_dual_add_f32 v7, v7, v8 :: v_dual_lshlrev_b32 v8, 16, v109
	v_dual_add_f32 v3, v4, v3 :: v_dual_add_f32 v4, v7, v5
	s_delay_alu instid0(VALU_DEP_2) | instskip(SKIP_2) | instid1(VALU_DEP_3)
	v_dual_add_f32 v8, v8, v9 :: v_dual_lshlrev_b32 v5, 16, v96
	v_and_b32_e32 v7, 0xffff0000, v96
	v_and_b32_e32 v9, 0xffff0000, v90
	v_dual_add_f32 v2, v8, v2 :: v_dual_lshlrev_b32 v8, 16, v88
	s_delay_alu instid0(VALU_DEP_3) | instskip(NEXT) | instid1(VALU_DEP_1)
	v_dual_add_f32 v5, v5, v7 :: v_dual_lshlrev_b32 v7, 16, v90
	v_dual_add_f32 v4, v5, v4 :: v_dual_add_f32 v7, v7, v9
	v_lshlrev_b32_e32 v9, 16, v91
	s_delay_alu instid0(VALU_DEP_1) | instskip(NEXT) | instid1(VALU_DEP_1)
	v_dual_add_f32 v9, v9, v62 :: v_dual_lshlrev_b32 v62, 16, v105
	v_dual_add_f32 v5, v9, v7 :: v_dual_lshlrev_b32 v7, 16, v92
	s_delay_alu instid0(VALU_DEP_2) | instskip(SKIP_2) | instid1(VALU_DEP_2)
	v_add_f32_e32 v62, v62, v63
	v_and_b32_e32 v9, 0xffff0000, v92
	v_and_b32_e32 v63, 0xffff0000, v97
	v_dual_add_f32 v3, v62, v3 :: v_dual_add_f32 v7, v7, v9
	v_lshlrev_b32_e32 v9, 16, v97
	s_delay_alu instid0(VALU_DEP_1) | instskip(SKIP_2) | instid1(VALU_DEP_1)
	v_dual_add_f32 v9, v9, v63 :: v_dual_add_f32 v5, v7, v5
	v_lshlrev_b32_e32 v7, 16, v93
	v_and_b32_e32 v63, 0xffff0000, v93
	v_dual_add_f32 v7, v7, v63 :: v_dual_lshlrev_b32 v63, 16, v86
	s_delay_alu instid0(VALU_DEP_4) | instskip(SKIP_1) | instid1(VALU_DEP_3)
	v_add_f32_e32 v4, v9, v4
	v_and_b32_e32 v9, 0xffff0000, v88
	v_add_f32_e32 v5, v7, v5
	s_delay_alu instid0(VALU_DEP_4) | instskip(NEXT) | instid1(VALU_DEP_1)
	v_dual_add_f32 v63, v63, v64 :: v_dual_lshlrev_b32 v64, 16, v87
	v_add_f32_e32 v64, v64, v65
	s_delay_alu instid0(VALU_DEP_1)
	v_add_f32_e32 v7, v64, v63
	scratch_load_b64 v[62:63], off, off offset:80 th:TH_LOAD_LU ; 8-byte Folded Reload
	v_add_f32_e32 v8, v8, v9
	v_pk_mul_bf16 v9, v126, v80
	v_pk_mul_bf16 v64, v126, v76
	s_wait_loadcnt 0x0
	v_dual_add_f32 v63, v63, v2 :: v_dual_add_f32 v62, v62, v3
	scratch_load_b64 v[2:3], off, off offset:88 th:TH_LOAD_LU ; 8-byte Folded Reload
	s_wait_loadcnt 0x0
	v_add_f32_e32 v3, v3, v4
	v_and_b32_e32 v4, 0xffff0000, v89
	v_add_f32_e32 v2, v2, v5
	scratch_store_b64 off, v[62:63], off offset:80 ; 8-byte Folded Spill
	v_and_b32_e32 v5, 0xffff0000, v82
	scratch_store_b64 off, v[2:3], off offset:88 ; 8-byte Folded Spill
	s_wait_xcnt 0x0
	v_dual_add_f32 v2, v8, v7 :: v_dual_lshlrev_b32 v3, 16, v89
	v_and_b32_e32 v7, 0xffff0000, v83
	v_and_b32_e32 v8, 0xffff0000, v84
	s_delay_alu instid0(VALU_DEP_3) | instskip(NEXT) | instid1(VALU_DEP_1)
	v_dual_add_f32 v3, v3, v4 :: v_dual_lshlrev_b32 v4, 16, v82
	v_dual_add_f32 v2, v3, v2 :: v_dual_add_f32 v4, v4, v5
	s_delay_alu instid0(VALU_DEP_1) | instskip(SKIP_1) | instid1(VALU_DEP_2)
	v_dual_lshlrev_b32 v5, 16, v83 :: v_dual_add_f32 v69, v69, v2
	v_pk_mul_bf16 v2, v1, v79
	v_dual_add_f32 v5, v5, v7 :: v_dual_lshlrev_b32 v7, 16, v84
	s_delay_alu instid0(VALU_DEP_1) | instskip(NEXT) | instid1(VALU_DEP_2)
	v_dual_add_f32 v3, v5, v4 :: v_dual_lshlrev_b32 v5, 16, v85
	v_add_f32_e32 v4, v7, v8
	v_and_b32_e32 v7, 0xffff0000, v85
	v_pk_mul_bf16 v8, v6, v78
	s_delay_alu instid0(VALU_DEP_3) | instskip(NEXT) | instid1(VALU_DEP_2)
	v_add_f32_e32 v3, v4, v3
	v_dual_add_f32 v4, v5, v7 :: v_dual_lshlrev_b32 v5, 16, v8
	v_and_b32_e32 v7, 0xffff0000, v8
	v_lshlrev_b32_e32 v8, 16, v2
	v_and_b32_e32 v2, 0xffff0000, v2
	s_delay_alu instid0(VALU_DEP_1) | instskip(SKIP_3) | instid1(VALU_DEP_4)
	v_dual_add_f32 v5, v5, v7 :: v_dual_add_f32 v7, v8, v2
	v_dual_lshlrev_b32 v8, 16, v9 :: v_dual_add_f32 v2, v4, v3
	v_and_b32_e32 v9, 0xffff0000, v9
	v_pk_mul_bf16 v3, v127, v81
	v_add_f32_e32 v4, v7, v5
	v_pk_mul_bf16 v5, v6, v74
	v_add_f32_e32 v68, v68, v2
	v_add_f32_e32 v7, v8, v9
	v_pk_mul_bf16 v8, v1, v75
	v_lshlrev_b32_e32 v9, 16, v3
	v_and_b32_e32 v3, 0xffff0000, v3
	s_delay_alu instid0(VALU_DEP_3)
	v_dual_lshlrev_b32 v63, 16, v8 :: v_dual_lshlrev_b32 v62, 16, v5
	v_add_f32_e32 v4, v7, v4
	v_and_b32_e32 v5, 0xffff0000, v5
	v_and_b32_e32 v8, 0xffff0000, v8
	v_add_f32_e32 v3, v9, v3
	v_and_b32_e32 v9, 0xffff0000, v64
	s_delay_alu instid0(VALU_DEP_3)
	v_dual_add_f32 v5, v62, v5 :: v_dual_add_f32 v7, v63, v8
	v_lshlrev_b32_e32 v8, 16, v64
	scratch_load_b64 v[64:65], off, off offset:104 th:TH_LOAD_LU ; 8-byte Folded Reload
	v_pk_mul_bf16 v62, v127, v77
	v_add_f32_e32 v2, v3, v4
	v_add_f32_e32 v3, v7, v5
	;; [unrolled: 1-line block ×3, first 2 shown]
	v_pk_mul_bf16 v8, v6, v70
	v_lshlrev_b32_e32 v5, 16, v62
	v_and_b32_e32 v7, 0xffff0000, v62
	v_pk_mul_bf16 v9, v126, v72
	v_add_f32_e32 v3, v4, v3
	v_pk_mul_bf16 v62, v127, v73
	s_wait_loadcnt 0x0
	v_add_f32_e32 v65, v65, v2
	v_pk_mul_bf16 v2, v1, v71
	v_dual_add_f32 v4, v5, v7 :: v_dual_lshlrev_b32 v5, 16, v8
	v_and_b32_e32 v7, 0xffff0000, v8
	s_delay_alu instid0(VALU_DEP_3) | instskip(SKIP_1) | instid1(VALU_DEP_3)
	v_lshlrev_b32_e32 v8, 16, v2
	v_and_b32_e32 v2, 0xffff0000, v2
	v_add_f32_e32 v5, v5, v7
	v_pk_mul_bf16 v7, v6, v58
	s_delay_alu instid0(VALU_DEP_3) | instskip(SKIP_2) | instid1(VALU_DEP_4)
	v_dual_lshlrev_b32 v58, 16, v9 :: v_dual_add_f32 v2, v8, v2
	v_pk_mul_bf16 v8, v1, v59
	v_and_b32_e32 v9, 0xffff0000, v9
	v_lshlrev_b32_e32 v59, 16, v7
	v_and_b32_e32 v7, 0xffff0000, v7
	s_delay_alu instid0(VALU_DEP_4) | instskip(SKIP_1) | instid1(VALU_DEP_3)
	v_dual_add_f32 v2, v2, v5 :: v_dual_lshlrev_b32 v63, 16, v8
	v_and_b32_e32 v8, 0xffff0000, v8
	v_dual_add_f32 v5, v58, v9 :: v_dual_add_f32 v7, v59, v7
	v_and_b32_e32 v58, 0xffff0000, v60
	v_pk_mul_bf16 v59, v127, v61
	s_delay_alu instid0(VALU_DEP_4) | instskip(SKIP_3) | instid1(VALU_DEP_3)
	v_add_f32_e32 v8, v63, v8
	v_dual_lshlrev_b32 v9, 16, v60 :: v_dual_lshlrev_b32 v60, 16, v62
	v_and_b32_e32 v61, 0xffff0000, v62
	v_dual_add_f32 v3, v4, v3 :: v_dual_add_f32 v2, v5, v2
	v_dual_add_f32 v7, v8, v7 :: v_dual_add_f32 v8, v9, v58
	v_lshlrev_b32_e32 v9, 16, v59
	v_and_b32_e32 v58, 0xffff0000, v59
	v_add_f32_e32 v4, v60, v61
	s_delay_alu instid0(VALU_DEP_4) | instskip(SKIP_1) | instid1(VALU_DEP_4)
	v_add_f32_e32 v5, v8, v7
	v_pk_mul_bf16 v8, v6, v54
	v_dual_add_f32 v7, v9, v58 :: v_dual_add_f32 v64, v64, v3
	v_pk_mul_bf16 v3, v1, v55
	scratch_load_b64 v[54:55], off, off offset:112 th:TH_LOAD_LU ; 8-byte Folded Reload
	v_add_f32_e32 v2, v4, v2
	v_pk_mul_bf16 v9, v126, v56
	s_wait_loadcnt 0x0
	s_delay_alu instid0(VALU_DEP_2) | instskip(SKIP_4) | instid1(VALU_DEP_4)
	v_add_f32_e32 v55, v55, v2
	v_dual_add_f32 v4, v7, v5 :: v_dual_lshlrev_b32 v5, 16, v8
	v_and_b32_e32 v7, 0xffff0000, v8
	v_lshlrev_b32_e32 v8, 16, v3
	v_and_b32_e32 v3, 0xffff0000, v3
	v_dual_add_f32 v54, v54, v4 :: v_dual_lshlrev_b32 v4, 16, v9
	s_delay_alu instid0(VALU_DEP_4)
	v_add_f32_e32 v2, v5, v7
	v_and_b32_e32 v5, 0xffff0000, v9
	v_pk_mul_bf16 v7, v6, v50
	v_pk_mul_bf16 v9, v1, v51
	v_add_f32_e32 v3, v8, v3
	v_pk_mul_bf16 v8, v127, v57
	v_pk_mul_bf16 v50, v126, v52
	s_clause 0x1
	scratch_store_b64 off, v[64:65], off offset:104
	scratch_store_b64 off, v[54:55], off offset:112
	v_dual_add_f32 v2, v3, v2 :: v_dual_add_f32 v3, v4, v5
	v_dual_lshlrev_b32 v4, 16, v7 :: v_dual_lshlrev_b32 v51, 16, v8
	v_and_b32_e32 v5, 0xffff0000, v7
	v_lshlrev_b32_e32 v7, 16, v9
	v_and_b32_e32 v9, 0xffff0000, v9
	v_and_b32_e32 v8, 0xffff0000, v8
	s_delay_alu instid0(VALU_DEP_4) | instskip(NEXT) | instid1(VALU_DEP_3)
	v_add_f32_e32 v4, v4, v5
	v_dual_add_f32 v5, v7, v9 :: v_dual_lshlrev_b32 v7, 16, v50
	v_and_b32_e32 v9, 0xffff0000, v50
	v_pk_mul_bf16 v50, v127, v53
	s_delay_alu instid0(VALU_DEP_3) | instskip(NEXT) | instid1(VALU_DEP_2)
	v_dual_add_f32 v2, v3, v2 :: v_dual_add_f32 v4, v5, v4
	v_dual_add_f32 v5, v7, v9 :: v_dual_lshlrev_b32 v7, 16, v50
	v_pk_mul_bf16 v9, v6, v46
	v_add_f32_e32 v3, v51, v8
	v_and_b32_e32 v8, 0xffff0000, v50
	scratch_load_b64 v[50:51], off, off offset:120 th:TH_LOAD_LU ; 8-byte Folded Reload
	v_add_f32_e32 v4, v5, v4
	v_pk_mul_bf16 v46, v126, v48
	v_dual_add_f32 v5, v7, v8 :: v_dual_lshlrev_b32 v7, 16, v9
	v_add_f32_e32 v2, v3, v2
	v_pk_mul_bf16 v3, v1, v47
	v_and_b32_e32 v8, 0xffff0000, v9
	s_delay_alu instid0(VALU_DEP_2) | instskip(SKIP_2) | instid1(VALU_DEP_1)
	v_lshlrev_b32_e32 v9, 16, v3
	v_and_b32_e32 v3, 0xffff0000, v3
	s_wait_loadcnt 0x0
	v_dual_add_f32 v3, v9, v3 :: v_dual_add_f32 v51, v51, v2
	v_dual_add_f32 v2, v5, v4 :: v_dual_lshlrev_b32 v5, 16, v46
	v_add_f32_e32 v4, v7, v8
	v_and_b32_e32 v7, 0xffff0000, v46
	s_delay_alu instid0(VALU_DEP_3) | instskip(SKIP_1) | instid1(VALU_DEP_4)
	v_add_f32_e32 v50, v50, v2
	v_pk_mul_bf16 v2, v127, v49
	v_add_f32_e32 v3, v3, v4
	v_pk_mul_bf16 v4, v6, v42
	;; [unrolled: 2-line block ×3, first 2 shown]
	v_lshlrev_b32_e32 v8, 16, v2
	v_and_b32_e32 v2, 0xffff0000, v2
	v_lshlrev_b32_e32 v9, 16, v4
	v_and_b32_e32 v4, 0xffff0000, v4
	;; [unrolled: 2-line block ×3, first 2 shown]
	v_pk_mul_bf16 v43, v126, v44
	v_dual_add_f32 v3, v5, v3 :: v_dual_add_f32 v2, v8, v2
	s_delay_alu instid0(VALU_DEP_3) | instskip(NEXT) | instid1(VALU_DEP_3)
	v_dual_add_f32 v4, v9, v4 :: v_dual_add_f32 v5, v42, v7
	v_lshlrev_b32_e32 v7, 16, v43
	v_and_b32_e32 v8, 0xffff0000, v43
	s_delay_alu instid0(VALU_DEP_3) | instskip(NEXT) | instid1(VALU_DEP_2)
	v_dual_add_f32 v4, v5, v4 :: v_dual_add_f32 v2, v2, v3
	v_add_f32_e32 v7, v7, v8
	v_pk_mul_bf16 v3, v127, v45
	v_pk_mul_bf16 v5, v6, v38
	v_pk_mul_bf16 v8, v1, v39
	s_delay_alu instid0(VALU_DEP_2) | instskip(SKIP_2) | instid1(VALU_DEP_4)
	v_dual_lshlrev_b32 v9, 16, v3 :: v_dual_lshlrev_b32 v38, 16, v5
	v_and_b32_e32 v3, 0xffff0000, v3
	v_and_b32_e32 v5, 0xffff0000, v5
	v_lshlrev_b32_e32 v39, 16, v8
	v_and_b32_e32 v8, 0xffff0000, v8
	s_delay_alu instid0(VALU_DEP_4) | instskip(NEXT) | instid1(VALU_DEP_4)
	v_dual_add_f32 v4, v7, v4 :: v_dual_add_f32 v3, v9, v3
	v_add_f32_e32 v5, v38, v5
	v_and_b32_e32 v9, 0xffff0000, v40
	s_delay_alu instid0(VALU_DEP_4)
	v_add_f32_e32 v7, v39, v8
	v_lshlrev_b32_e32 v8, 16, v40
	v_pk_mul_bf16 v38, v127, v41
	scratch_load_b64 v[40:41], off, off offset:128 th:TH_LOAD_LU ; 8-byte Folded Reload
	s_wait_loadcnt 0x0
	v_dual_add_f32 v41, v41, v2 :: v_dual_add_f32 v2, v3, v4
	v_add_f32_e32 v3, v7, v5
	v_dual_add_f32 v4, v8, v9 :: v_dual_lshlrev_b32 v5, 16, v38
	v_and_b32_e32 v7, 0xffff0000, v38
	v_pk_mul_bf16 v8, v6, v34
	v_add_f32_e32 v40, v40, v2
	v_pk_mul_bf16 v2, v1, v35
	v_add_f32_e32 v3, v4, v3
	s_delay_alu instid0(VALU_DEP_4) | instskip(SKIP_1) | instid1(VALU_DEP_4)
	v_dual_add_f32 v4, v5, v7 :: v_dual_lshlrev_b32 v5, 16, v8
	v_and_b32_e32 v7, 0xffff0000, v8
	v_lshlrev_b32_e32 v8, 16, v2
	v_and_b32_e32 v2, 0xffff0000, v2
	v_pk_mul_bf16 v9, v126, v36
	v_pk_mul_bf16 v34, v127, v37
	v_add_f32_e32 v5, v5, v7
	v_pk_mul_bf16 v7, v6, v30
	v_add_f32_e32 v2, v8, v2
	v_pk_mul_bf16 v8, v1, v31
	v_lshlrev_b32_e32 v30, 16, v9
	v_and_b32_e32 v9, 0xffff0000, v9
	v_lshlrev_b32_e32 v31, 16, v7
	v_and_b32_e32 v7, 0xffff0000, v7
	v_dual_add_f32 v2, v2, v5 :: v_dual_lshlrev_b32 v35, 16, v8
	v_and_b32_e32 v8, 0xffff0000, v8
	s_delay_alu instid0(VALU_DEP_3) | instskip(SKIP_2) | instid1(VALU_DEP_4)
	v_dual_add_f32 v5, v30, v9 :: v_dual_add_f32 v7, v31, v7
	v_and_b32_e32 v30, 0xffff0000, v32
	v_pk_mul_bf16 v31, v127, v33
	v_add_f32_e32 v8, v35, v8
	v_dual_lshlrev_b32 v9, 16, v32 :: v_dual_lshlrev_b32 v32, 16, v34
	v_and_b32_e32 v33, 0xffff0000, v34
	v_dual_add_f32 v3, v4, v3 :: v_dual_add_f32 v2, v5, v2
	s_delay_alu instid0(VALU_DEP_3)
	v_dual_add_f32 v7, v8, v7 :: v_dual_add_f32 v8, v9, v30
	v_lshlrev_b32_e32 v9, 16, v31
	v_and_b32_e32 v30, 0xffff0000, v31
	v_add_f32_e32 v4, v32, v33
	scratch_store_b64 off, v[50:51], off offset:120 ; 8-byte Folded Spill
	v_add_f32_e32 v5, v8, v7
	v_pk_mul_bf16 v8, v6, v26
	v_add_f32_e32 v7, v9, v30
	scratch_load_b64 v[30:31], off, off offset:136 th:TH_LOAD_LU ; 8-byte Folded Reload
	v_add_f32_e32 v2, v4, v2
	v_pk_mul_bf16 v9, v126, v28
	s_wait_loadcnt 0x0
	v_add_f32_e32 v31, v31, v3
	v_pk_mul_bf16 v3, v1, v27
	scratch_load_b64 v[26:27], off, off offset:144 th:TH_LOAD_LU ; 8-byte Folded Reload
	v_dual_add_f32 v30, v30, v2 :: v_dual_add_f32 v4, v7, v5
	v_lshlrev_b32_e32 v5, 16, v8
	v_and_b32_e32 v7, 0xffff0000, v8
	v_lshlrev_b32_e32 v8, 16, v3
	v_and_b32_e32 v3, 0xffff0000, v3
	scratch_store_b64 off, v[40:41], off offset:128 ; 8-byte Folded Spill
	v_add_f32_e32 v2, v5, v7
	v_and_b32_e32 v5, 0xffff0000, v9
	v_pk_mul_bf16 v7, v6, v22
	v_pk_mul_bf16 v22, v126, v24
	s_wait_loadcnt 0x0
	v_dual_add_f32 v27, v27, v4 :: v_dual_lshlrev_b32 v4, 16, v9
	v_pk_mul_bf16 v9, v1, v23
	v_add_f32_e32 v3, v8, v3
	v_pk_mul_bf16 v8, v127, v29
	s_delay_alu instid0(VALU_DEP_2) | instskip(NEXT) | instid1(VALU_DEP_2)
	v_dual_add_f32 v2, v3, v2 :: v_dual_add_f32 v3, v4, v5
	v_dual_lshlrev_b32 v4, 16, v7 :: v_dual_lshlrev_b32 v23, 16, v8
	v_and_b32_e32 v5, 0xffff0000, v7
	v_lshlrev_b32_e32 v7, 16, v9
	v_and_b32_e32 v9, 0xffff0000, v9
	v_and_b32_e32 v8, 0xffff0000, v8
	s_delay_alu instid0(VALU_DEP_4) | instskip(NEXT) | instid1(VALU_DEP_3)
	v_add_f32_e32 v4, v4, v5
	v_dual_add_f32 v5, v7, v9 :: v_dual_lshlrev_b32 v7, 16, v22
	v_and_b32_e32 v9, 0xffff0000, v22
	v_pk_mul_bf16 v22, v127, v25
	s_delay_alu instid0(VALU_DEP_3) | instskip(NEXT) | instid1(VALU_DEP_2)
	v_dual_add_f32 v2, v3, v2 :: v_dual_add_f32 v4, v5, v4
	v_dual_add_f32 v5, v7, v9 :: v_dual_lshlrev_b32 v7, 16, v22
	v_pk_mul_bf16 v9, v6, v18
	v_add_f32_e32 v3, v23, v8
	v_and_b32_e32 v8, 0xffff0000, v22
	s_delay_alu instid0(VALU_DEP_4) | instskip(SKIP_1) | instid1(VALU_DEP_3)
	v_add_f32_e32 v4, v5, v4
	v_pk_mul_bf16 v18, v126, v20
	v_dual_add_f32 v5, v7, v8 :: v_dual_lshlrev_b32 v7, 16, v9
	v_add_f32_e32 v2, v3, v2
	v_pk_mul_bf16 v3, v1, v19
	v_and_b32_e32 v8, 0xffff0000, v9
	s_delay_alu instid0(VALU_DEP_2) | instskip(SKIP_1) | instid1(VALU_DEP_1)
	v_lshlrev_b32_e32 v9, 16, v3
	v_and_b32_e32 v3, 0xffff0000, v3
	v_dual_add_f32 v3, v9, v3 :: v_dual_add_f32 v26, v26, v2
	v_dual_add_f32 v2, v5, v4 :: v_dual_lshlrev_b32 v5, 16, v18
	v_add_f32_e32 v4, v7, v8
	v_and_b32_e32 v7, 0xffff0000, v18
	s_clause 0x2
	scratch_load_b64 v[18:19], off, off offset:152 th:TH_LOAD_LU
	scratch_store_b64 off, v[30:31], off offset:136
	scratch_store_b64 off, v[26:27], off offset:144
	v_add_f32_e32 v5, v5, v7
	v_pk_mul_bf16 v7, v1, v15
	v_pk_mul_bf16 v15, v126, v16
	s_wait_loadcnt 0x0
	v_add_f32_e32 v19, v19, v2
	v_pk_mul_bf16 v2, v127, v21
	v_add_f32_e32 v3, v3, v4
	v_pk_mul_bf16 v4, v6, v14
	v_lshlrev_b32_e32 v14, 16, v7
	v_and_b32_e32 v7, 0xffff0000, v7
	v_lshlrev_b32_e32 v8, 16, v2
	v_and_b32_e32 v2, 0xffff0000, v2
	;; [unrolled: 2-line block ×3, first 2 shown]
	v_add_f32_e32 v3, v5, v3
	s_delay_alu instid0(VALU_DEP_4) | instskip(SKIP_1) | instid1(VALU_DEP_4)
	v_dual_add_f32 v5, v14, v7 :: v_dual_add_f32 v2, v8, v2
	v_and_b32_e32 v8, 0xffff0000, v15
	v_dual_add_f32 v4, v9, v4 :: v_dual_lshlrev_b32 v7, 16, v15
	v_pk_mul_bf16 v9, v6, v10
	v_pk_mul_bf16 v10, v127, v17
	s_delay_alu instid0(VALU_DEP_3) | instskip(NEXT) | instid1(VALU_DEP_3)
	v_dual_add_f32 v2, v2, v3 :: v_dual_add_f32 v4, v5, v4
	v_dual_add_f32 v5, v7, v8 :: v_dual_lshlrev_b32 v7, 16, v9
	v_and_b32_e32 v8, 0xffff0000, v9
	s_delay_alu instid0(VALU_DEP_4) | instskip(SKIP_2) | instid1(VALU_DEP_4)
	v_dual_lshlrev_b32 v9, 16, v11 :: v_dual_lshlrev_b32 v14, 16, v10
	v_and_b32_e32 v11, 0xffff0000, v11
	v_and_b32_e32 v10, 0xffff0000, v10
	v_add_f32_e32 v7, v7, v8
	v_dual_add_f32 v3, v5, v4 :: v_dual_add_f32 v18, v18, v2
	s_delay_alu instid0(VALU_DEP_4) | instskip(SKIP_3) | instid1(VALU_DEP_4)
	v_dual_add_f32 v8, v9, v11 :: v_dual_lshlrev_b32 v9, 16, v12
	v_and_b32_e32 v11, 0xffff0000, v12
	v_add_f32_e32 v4, v14, v10
	v_pk_mul_bf16 v2, v127, v13
	v_add_f32_e32 v5, v8, v7
	s_clause 0x2
	scratch_load_b128 v[12:15], off, off offset:16 th:TH_LOAD_LU
	scratch_store_b64 off, v[18:19], off offset:152
	scratch_load_b128 v[16:19], off, off th:TH_LOAD_LU
	v_add_f32_e32 v7, v9, v11
	s_delay_alu instid0(VALU_DEP_1)
	v_dual_add_f32 v10, v4, v3 :: v_dual_add_f32 v11, v7, v5
	v_lshlrev_b32_e32 v5, 16, v2
	v_and_b32_e32 v2, 0xffff0000, v2
	s_wait_loadcnt 0x1
	v_pk_mul_bf16 v3, v6, v12
	v_pk_mul_bf16 v4, v1, v13
	s_delay_alu instid0(VALU_DEP_1)
	v_dual_lshlrev_b32 v7, 16, v3 :: v_dual_lshlrev_b32 v8, 16, v4
	v_and_b32_e32 v3, 0xffff0000, v3
	v_and_b32_e32 v4, 0xffff0000, v4
	v_add_f32_e32 v12, v5, v2
	v_pk_mul_bf16 v2, v126, v14
	s_wait_loadcnt 0x0
	v_pk_mul_bf16 v5, v6, v16
	v_add_f32_e32 v3, v7, v3
	v_pk_mul_bf16 v7, v1, v17
	v_dual_add_f32 v4, v8, v4 :: v_dual_lshlrev_b32 v8, 16, v2
	v_and_b32_e32 v2, 0xffff0000, v2
	s_delay_alu instid0(VALU_DEP_3) | instskip(SKIP_4) | instid1(VALU_DEP_4)
	v_dual_lshlrev_b32 v9, 16, v5 :: v_dual_lshlrev_b32 v13, 16, v7
	v_and_b32_e32 v5, 0xffff0000, v5
	v_and_b32_e32 v7, 0xffff0000, v7
	v_pk_mul_bf16 v14, v127, v15
	v_add_f32_e32 v15, v4, v3
	v_dual_add_f32 v16, v8, v2 :: v_dual_add_f32 v2, v9, v5
	s_delay_alu instid0(VALU_DEP_4)
	v_add_f32_e32 v3, v13, v7
	v_pk_mul_bf16 v4, v126, v18
	v_pk_mul_bf16 v1, v1, v99
	v_lshlrev_b32_e32 v13, 16, v14
	v_pk_mul_bf16 v17, v127, v19
	v_add_f32_e32 v18, v3, v2
	v_pk_mul_bf16 v2, v6, v98
	v_lshlrev_b32_e32 v19, 16, v4
	v_and_b32_e32 v20, 0xffff0000, v4
	v_pk_mul_bf16 v6, v126, v100
	v_pk_mul_bf16 v8, v127, v101
	v_and_b32_e32 v3, 0xffff0000, v2
	v_lshlrev_b32_e32 v5, 16, v2
	v_and_b32_e32 v2, 0xffff0000, v1
	v_dual_lshlrev_b32 v4, 16, v1 :: v_dual_lshlrev_b32 v9, 16, v6
	v_and_b32_e32 v7, 0xffff0000, v6
	v_and_b32_e32 v6, 0xffff0000, v8
	v_lshlrev_b32_e32 v8, 16, v8
	s_delay_alu instid0(VALU_DEP_4) | instskip(SKIP_2) | instid1(VALU_DEP_4)
	v_pk_add_f32 v[2:3], v[4:5], v[2:3]
	v_dual_add_f32 v1, v19, v20 :: v_dual_lshlrev_b32 v19, 16, v17
	v_and_b32_e32 v17, 0xffff0000, v17
	v_pk_add_f32 v[4:5], v[8:9], v[6:7]
	s_delay_alu instid0(VALU_DEP_3) | instskip(SKIP_1) | instid1(VALU_DEP_4)
	v_dual_add_f32 v2, v2, v3 :: v_dual_add_f32 v1, v1, v18
	v_and_b32_e32 v14, 0xffff0000, v14
	v_add_f32_e32 v7, v19, v17
	s_clause 0x1
	scratch_load_b64 v[18:19], off, off offset:160 th:TH_LOAD_LU
	scratch_load_b64 v[8:9], off, off offset:184 th:TH_LOAD_LU
	v_dual_add_f32 v3, v16, v15 :: v_dual_add_f32 v6, v13, v14
	scratch_load_b64 v[16:17], off, off offset:168 th:TH_LOAD_LU ; 8-byte Folded Reload
	v_dual_add_f32 v2, v5, v2 :: v_dual_add_f32 v5, v12, v11
	v_dual_add_f32 v1, v7, v1 :: v_dual_add_f32 v3, v6, v3
	s_delay_alu instid0(VALU_DEP_2)
	v_add_f32_e32 v2, v4, v2
	scratch_load_b32 v4, off, off offset:192 th:TH_LOAD_LU ; 4-byte Folded Reload
	v_add_f32_e32 v67, v67, v2
	s_clause 0x1
	scratch_store_b64 off, v[68:69], off offset:96
	scratch_store_b64 off, v[66:67], off offset:48
	s_wait_loadcnt 0x3
	v_dual_add_f32 v19, v19, v10 :: v_dual_add_f32 v18, v18, v5
	s_wait_loadcnt 0x2
	v_add_nc_u64_e32 v[8:9], 16, v[8:9]
	s_wait_loadcnt 0x1
	v_dual_add_f32 v17, v17, v3 :: v_dual_add_f32 v16, v16, v1
	scratch_load_b32 v1, off, off offset:176 th:TH_LOAD_LU ; 4-byte Folded Reload
	s_wait_loadcnt 0x1
	v_add_nc_u32_e32 v4, 4, v4
	s_delay_alu instid0(VALU_DEP_1)
	v_cmp_le_i32_e32 vcc_lo, s24, v4
	s_or_b32 s14, vcc_lo, s14
	s_wait_loadcnt 0x0
	v_add_nc_u32_e32 v1, 0x200, v1
	s_wait_xcnt 0x0
	s_and_not1_b32 exec_lo, exec_lo, s14
	s_cbranch_execz .LBB161_100
.LBB161_36:                             ; =>This Inner Loop Header: Depth=1
	s_clause 0x2
	scratch_store_b64 off, v[16:17], off offset:168
	scratch_store_b64 off, v[18:19], off offset:160
	;; [unrolled: 1-line block ×3, first 2 shown]
	global_load_b32 v2, v[8:9], off
	v_cmp_eq_u32_e32 vcc_lo, s5, v4
	v_or_b32_e32 v126, 3, v0
	s_wait_xcnt 0x2
	v_or_b32_e32 v18, 5, v0
	v_or_b32_e32 v19, 4, v0
	;; [unrolled: 1-line block ×3, first 2 shown]
	v_dual_add_nc_u32 v127, 1, v0 :: v_dual_bitop2_b32 v13, 6, v0 bitop3:0x54
	s_wait_loadcnt 0x0
	v_ashrrev_i32_e32 v3, 31, v2
	s_delay_alu instid0(VALU_DEP_1) | instskip(NEXT) | instid1(VALU_DEP_1)
	v_mul_u64_e32 v[2:3], s[10:11], v[2:3]
	v_lshl_add_u64 v[98:99], v[2:3], 1, s[12:13]
	scratch_load_b64 v[2:3], off, off offset:240 ; 8-byte Folded Reload
	s_wait_loadcnt 0x0
	v_add_nc_u64_e32 v[2:3], v[98:99], v[2:3]
	global_load_b128 v[6:9], v[2:3], off
	s_wait_loadcnt 0x0
	scratch_store_b128 off, v[6:9], off     ; 16-byte Folded Spill
	s_wait_xcnt 0x0
	ds_load_2addr_b64 v[6:9], v1 offset1:1
	s_wait_dscnt 0x0
	s_clause 0x1
	scratch_store_b128 off, v[6:9], off offset:216
	scratch_store_b32 off, v1, off offset:176
	s_wait_xcnt 0x1
	ds_load_2addr_b64 v[6:9], v1 offset0:2 offset1:3
	s_wait_xcnt 0x0
	v_or_b32_e32 v1, 2, v0
	s_wait_dscnt 0x0
	s_clause 0x1
	scratch_store_b128 off, v[6:9], off offset:200
	scratch_store_b32 off, v4, off offset:192
	s_wait_xcnt 0x0
	s_and_saveexec_b32 s1, vcc_lo
	s_cbranch_execz .LBB161_38
; %bb.37:                               ;   in Loop: Header=BB161_36 Depth=1
	scratch_load_b128 v[8:11], off, off th:TH_LOAD_LU ; 16-byte Folded Reload
	v_cmp_gt_i32_e64 s0, s23, v0
	s_wait_loadcnt 0x0
	s_delay_alu instid0(VALU_DEP_1) | instskip(SKIP_1) | instid1(VALU_DEP_1)
	v_dual_lshrrev_b32 v4, 16, v8 :: v_dual_cndmask_b32 v5, 0, v8, s0
	v_cmp_gt_i32_e64 s0, s15, v127
	v_dual_lshrrev_b32 v6, 16, v9 :: v_dual_cndmask_b32 v4, 0, v4, s0
	v_cmp_gt_i32_e64 s0, s23, v1
	s_delay_alu instid0(VALU_DEP_2) | instskip(NEXT) | instid1(VALU_DEP_2)
	v_perm_b32 v4, v4, v5, 0x5040100
	v_cndmask_b32_e64 v7, 0, v9, s0
	v_cmp_gt_i32_e64 s0, s15, v126
	s_delay_alu instid0(VALU_DEP_1) | instskip(SKIP_2) | instid1(VALU_DEP_3)
	v_cndmask_b32_e64 v6, 0, v6, s0
	v_cmp_gt_i32_e64 s0, s23, v19
	v_lshrrev_b32_e32 v8, 16, v10
	v_perm_b32 v5, v6, v7, 0x5040100
	s_delay_alu instid0(VALU_DEP_3) | instskip(SKIP_1) | instid1(VALU_DEP_1)
	v_cndmask_b32_e64 v9, 0, v10, s0
	v_cmp_gt_i32_e64 s0, s15, v18
	v_dual_lshrrev_b32 v10, 16, v11 :: v_dual_cndmask_b32 v8, 0, v8, s0
	v_cmp_gt_i32_e64 s0, s23, v13
	s_delay_alu instid0(VALU_DEP_2) | instskip(NEXT) | instid1(VALU_DEP_2)
	v_perm_b32 v6, v8, v9, 0x5040100
	v_cndmask_b32_e64 v11, 0, v11, s0
	v_cmp_gt_i32_e64 s0, s15, v12
	s_delay_alu instid0(VALU_DEP_1) | instskip(NEXT) | instid1(VALU_DEP_1)
	v_cndmask_b32_e64 v10, 0, v10, s0
	v_perm_b32 v7, v10, v11, 0x5040100
	scratch_store_b128 off, v[4:7], off     ; 16-byte Folded Spill
.LBB161_38:                             ;   in Loop: Header=BB161_36 Depth=1
	s_wait_xcnt 0x0
	s_or_b32 exec_lo, exec_lo, s1
	global_load_b128 v[4:7], v[2:3], off offset:512
	s_wait_loadcnt 0x0
	scratch_store_b128 off, v[4:7], off offset:16 ; 16-byte Folded Spill
	s_wait_xcnt 0x0
	s_and_saveexec_b32 s1, vcc_lo
	s_cbranch_execz .LBB161_40
; %bb.39:                               ;   in Loop: Header=BB161_36 Depth=1
	scratch_load_b128 v[8:11], off, off offset:16 th:TH_LOAD_LU ; 16-byte Folded Reload
	v_cmp_gt_i32_e64 s0, s23, v0
	s_wait_loadcnt 0x0
	s_delay_alu instid0(VALU_DEP_1) | instskip(SKIP_1) | instid1(VALU_DEP_1)
	v_dual_lshrrev_b32 v4, 16, v8 :: v_dual_cndmask_b32 v5, 0, v8, s0
	v_cmp_gt_i32_e64 s0, s15, v127
	v_dual_lshrrev_b32 v6, 16, v9 :: v_dual_cndmask_b32 v4, 0, v4, s0
	v_cmp_gt_i32_e64 s0, s23, v1
	s_delay_alu instid0(VALU_DEP_2) | instskip(NEXT) | instid1(VALU_DEP_2)
	v_perm_b32 v4, v4, v5, 0x5040100
	v_cndmask_b32_e64 v7, 0, v9, s0
	v_cmp_gt_i32_e64 s0, s15, v126
	s_delay_alu instid0(VALU_DEP_1) | instskip(SKIP_2) | instid1(VALU_DEP_3)
	v_cndmask_b32_e64 v6, 0, v6, s0
	v_cmp_gt_i32_e64 s0, s23, v19
	v_lshrrev_b32_e32 v8, 16, v10
	v_perm_b32 v5, v6, v7, 0x5040100
	s_delay_alu instid0(VALU_DEP_3) | instskip(SKIP_1) | instid1(VALU_DEP_1)
	v_cndmask_b32_e64 v9, 0, v10, s0
	v_cmp_gt_i32_e64 s0, s15, v18
	v_dual_lshrrev_b32 v10, 16, v11 :: v_dual_cndmask_b32 v8, 0, v8, s0
	v_cmp_gt_i32_e64 s0, s23, v13
	s_delay_alu instid0(VALU_DEP_2) | instskip(NEXT) | instid1(VALU_DEP_2)
	v_perm_b32 v6, v8, v9, 0x5040100
	v_cndmask_b32_e64 v11, 0, v11, s0
	v_cmp_gt_i32_e64 s0, s15, v12
	s_delay_alu instid0(VALU_DEP_1) | instskip(NEXT) | instid1(VALU_DEP_1)
	v_cndmask_b32_e64 v10, 0, v10, s0
	v_perm_b32 v7, v10, v11, 0x5040100
	scratch_store_b128 off, v[4:7], off offset:16 ; 16-byte Folded Spill
.LBB161_40:                             ;   in Loop: Header=BB161_36 Depth=1
	s_wait_xcnt 0x0
	s_or_b32 exec_lo, exec_lo, s1
	global_load_b128 v[4:7], v[2:3], off offset:1024
	s_wait_loadcnt 0x0
	scratch_store_b128 off, v[4:7], off offset:32 ; 16-byte Folded Spill
	s_wait_xcnt 0x0
	s_and_saveexec_b32 s1, vcc_lo
	s_cbranch_execz .LBB161_42
; %bb.41:                               ;   in Loop: Header=BB161_36 Depth=1
	scratch_load_b128 v[8:11], off, off offset:32 th:TH_LOAD_LU ; 16-byte Folded Reload
	v_cmp_gt_i32_e64 s0, s23, v0
	s_wait_loadcnt 0x0
	s_delay_alu instid0(VALU_DEP_1) | instskip(SKIP_1) | instid1(VALU_DEP_1)
	v_dual_lshrrev_b32 v4, 16, v8 :: v_dual_cndmask_b32 v5, 0, v8, s0
	v_cmp_gt_i32_e64 s0, s15, v127
	v_dual_lshrrev_b32 v6, 16, v9 :: v_dual_cndmask_b32 v4, 0, v4, s0
	v_cmp_gt_i32_e64 s0, s23, v1
	s_delay_alu instid0(VALU_DEP_2) | instskip(NEXT) | instid1(VALU_DEP_2)
	v_perm_b32 v4, v4, v5, 0x5040100
	v_cndmask_b32_e64 v7, 0, v9, s0
	v_cmp_gt_i32_e64 s0, s15, v126
	s_delay_alu instid0(VALU_DEP_1) | instskip(SKIP_2) | instid1(VALU_DEP_3)
	v_cndmask_b32_e64 v6, 0, v6, s0
	v_cmp_gt_i32_e64 s0, s23, v19
	v_lshrrev_b32_e32 v8, 16, v10
	v_perm_b32 v5, v6, v7, 0x5040100
	s_delay_alu instid0(VALU_DEP_3) | instskip(SKIP_1) | instid1(VALU_DEP_1)
	v_cndmask_b32_e64 v9, 0, v10, s0
	v_cmp_gt_i32_e64 s0, s15, v18
	v_dual_lshrrev_b32 v10, 16, v11 :: v_dual_cndmask_b32 v8, 0, v8, s0
	v_cmp_gt_i32_e64 s0, s23, v13
	v_mov_b32_e32 v15, v13
	s_delay_alu instid0(VALU_DEP_3) | instskip(NEXT) | instid1(VALU_DEP_3)
	v_perm_b32 v6, v8, v9, 0x5040100
	v_cndmask_b32_e64 v13, 0, v11, s0
	v_cmp_gt_i32_e64 s0, s15, v12
	s_delay_alu instid0(VALU_DEP_1) | instskip(NEXT) | instid1(VALU_DEP_1)
	v_cndmask_b32_e64 v14, 0, v10, s0
	v_perm_b32 v7, v14, v13, 0x5040100
	v_mov_b32_e32 v13, v15
	scratch_store_b128 off, v[4:7], off offset:32 ; 16-byte Folded Spill
.LBB161_42:                             ;   in Loop: Header=BB161_36 Depth=1
	s_wait_xcnt 0x0
	s_or_b32 exec_lo, exec_lo, s1
	global_load_b128 v[14:17], v[2:3], off offset:1536
	s_wait_xcnt 0x0
	s_mov_b32 s1, exec_lo
	v_dual_mov_b32 v10, v18 :: v_dual_mov_b32 v11, v19
	s_and_b32 s0, s1, vcc_lo
	s_delay_alu instid0(SALU_CYCLE_1)
	s_mov_b32 exec_lo, s0
	s_cbranch_execnz .LBB161_73
; %bb.43:                               ;   in Loop: Header=BB161_36 Depth=1
	s_or_b32 exec_lo, exec_lo, s1
	global_load_b128 v[18:21], v[2:3], off offset:2048
	s_wait_xcnt 0x0
	s_and_saveexec_b32 s1, vcc_lo
	s_cbranch_execnz .LBB161_74
.LBB161_44:                             ;   in Loop: Header=BB161_36 Depth=1
	s_or_b32 exec_lo, exec_lo, s1
	global_load_b128 v[22:25], v[2:3], off offset:2560
	s_wait_xcnt 0x0
	s_and_saveexec_b32 s1, vcc_lo
	s_cbranch_execnz .LBB161_75
.LBB161_45:                             ;   in Loop: Header=BB161_36 Depth=1
	s_or_b32 exec_lo, exec_lo, s1
	global_load_b128 v[26:29], v[2:3], off offset:3072
	s_wait_xcnt 0x0
	s_and_saveexec_b32 s1, vcc_lo
	s_cbranch_execnz .LBB161_76
.LBB161_46:                             ;   in Loop: Header=BB161_36 Depth=1
	s_or_b32 exec_lo, exec_lo, s1
	global_load_b128 v[30:33], v[2:3], off offset:3584
	s_wait_xcnt 0x0
	s_and_saveexec_b32 s1, vcc_lo
	s_cbranch_execnz .LBB161_77
.LBB161_47:                             ;   in Loop: Header=BB161_36 Depth=1
	s_or_b32 exec_lo, exec_lo, s1
	global_load_b128 v[34:37], v[2:3], off offset:4096
	s_wait_xcnt 0x0
	s_and_saveexec_b32 s1, vcc_lo
	s_cbranch_execnz .LBB161_78
.LBB161_48:                             ;   in Loop: Header=BB161_36 Depth=1
	s_or_b32 exec_lo, exec_lo, s1
	global_load_b128 v[38:41], v[2:3], off offset:4608
	s_wait_xcnt 0x0
	s_and_saveexec_b32 s1, vcc_lo
	s_cbranch_execnz .LBB161_79
.LBB161_49:                             ;   in Loop: Header=BB161_36 Depth=1
	s_or_b32 exec_lo, exec_lo, s1
	global_load_b128 v[42:45], v[2:3], off offset:5120
	s_wait_xcnt 0x0
	s_and_saveexec_b32 s1, vcc_lo
	s_cbranch_execnz .LBB161_80
.LBB161_50:                             ;   in Loop: Header=BB161_36 Depth=1
	s_or_b32 exec_lo, exec_lo, s1
	global_load_b128 v[46:49], v[2:3], off offset:5632
	s_wait_xcnt 0x0
	s_and_saveexec_b32 s1, vcc_lo
	s_cbranch_execnz .LBB161_81
.LBB161_51:                             ;   in Loop: Header=BB161_36 Depth=1
	s_or_b32 exec_lo, exec_lo, s1
	global_load_b128 v[50:53], v[2:3], off offset:6144
	s_wait_xcnt 0x0
	s_and_saveexec_b32 s1, vcc_lo
	s_cbranch_execnz .LBB161_82
.LBB161_52:                             ;   in Loop: Header=BB161_36 Depth=1
	s_or_b32 exec_lo, exec_lo, s1
	global_load_b128 v[54:57], v[2:3], off offset:6656
	s_wait_xcnt 0x0
	s_and_saveexec_b32 s1, vcc_lo
	s_cbranch_execnz .LBB161_83
.LBB161_53:                             ;   in Loop: Header=BB161_36 Depth=1
	s_or_b32 exec_lo, exec_lo, s1
	global_load_b128 v[58:61], v[2:3], off offset:7168
	s_wait_xcnt 0x0
	s_and_saveexec_b32 s3, vcc_lo
	s_cbranch_execnz .LBB161_84
.LBB161_54:                             ;   in Loop: Header=BB161_36 Depth=1
	s_or_b32 exec_lo, exec_lo, s3
	global_load_b128 v[70:73], v[2:3], off offset:7680
	s_wait_xcnt 0x0
	s_and_saveexec_b32 s3, vcc_lo
	s_cbranch_execnz .LBB161_85
.LBB161_55:                             ;   in Loop: Header=BB161_36 Depth=1
	s_or_b32 exec_lo, exec_lo, s3
	global_load_b128 v[74:77], v[2:3], off offset:8192
	s_wait_xcnt 0x0
	s_and_saveexec_b32 s3, vcc_lo
	s_cbranch_execnz .LBB161_86
.LBB161_56:                             ;   in Loop: Header=BB161_36 Depth=1
	s_or_b32 exec_lo, exec_lo, s3
	global_load_b128 v[78:81], v[2:3], off offset:8704
	s_wait_xcnt 0x0
	s_and_saveexec_b32 s3, vcc_lo
	s_cbranch_execnz .LBB161_87
.LBB161_57:                             ;   in Loop: Header=BB161_36 Depth=1
	s_or_b32 exec_lo, exec_lo, s3
	global_load_b128 v[82:85], v[2:3], off offset:9216
	s_wait_xcnt 0x0
	s_and_saveexec_b32 s3, vcc_lo
	s_cbranch_execnz .LBB161_88
.LBB161_58:                             ;   in Loop: Header=BB161_36 Depth=1
	s_or_b32 exec_lo, exec_lo, s3
	global_load_b128 v[86:89], v[2:3], off offset:9728
	s_wait_xcnt 0x0
	s_and_saveexec_b32 s3, vcc_lo
	s_cbranch_execnz .LBB161_89
.LBB161_59:                             ;   in Loop: Header=BB161_36 Depth=1
	s_or_b32 exec_lo, exec_lo, s3
	global_load_b128 v[90:93], v[2:3], off offset:10240
	s_wait_xcnt 0x0
	s_and_saveexec_b32 s3, vcc_lo
	s_cbranch_execnz .LBB161_90
.LBB161_60:                             ;   in Loop: Header=BB161_36 Depth=1
	s_or_b32 exec_lo, exec_lo, s3
	global_load_b128 v[94:97], v[2:3], off offset:10752
	s_wait_xcnt 0x0
	s_and_saveexec_b32 s3, vcc_lo
	s_cbranch_execnz .LBB161_91
.LBB161_61:                             ;   in Loop: Header=BB161_36 Depth=1
	s_or_b32 exec_lo, exec_lo, s3
	global_load_b128 v[102:105], v[2:3], off offset:11264
	s_wait_xcnt 0x0
	s_and_saveexec_b32 s3, vcc_lo
	s_cbranch_execnz .LBB161_92
.LBB161_62:                             ;   in Loop: Header=BB161_36 Depth=1
	s_or_b32 exec_lo, exec_lo, s3
	global_load_b128 v[106:109], v[2:3], off offset:11776
	s_wait_xcnt 0x0
	s_and_saveexec_b32 s3, vcc_lo
	s_cbranch_execnz .LBB161_93
.LBB161_63:                             ;   in Loop: Header=BB161_36 Depth=1
	s_or_b32 exec_lo, exec_lo, s3
	global_load_b128 v[110:113], v[2:3], off offset:12288
	s_wait_xcnt 0x0
	s_and_saveexec_b32 s3, vcc_lo
	s_cbranch_execnz .LBB161_94
.LBB161_64:                             ;   in Loop: Header=BB161_36 Depth=1
	s_or_b32 exec_lo, exec_lo, s3
	global_load_b128 v[114:117], v[2:3], off offset:12800
	s_wait_xcnt 0x0
	s_and_saveexec_b32 s3, vcc_lo
	s_cbranch_execnz .LBB161_95
.LBB161_65:                             ;   in Loop: Header=BB161_36 Depth=1
	s_or_b32 exec_lo, exec_lo, s3
	global_load_b128 v[118:121], v[2:3], off offset:13312
	s_wait_xcnt 0x0
	s_and_saveexec_b32 s3, vcc_lo
	s_cbranch_execnz .LBB161_96
.LBB161_66:                             ;   in Loop: Header=BB161_36 Depth=1
	s_or_b32 exec_lo, exec_lo, s3
	global_load_b128 v[122:125], v[2:3], off offset:13824
	s_wait_xcnt 0x0
	s_and_saveexec_b32 s3, vcc_lo
	s_cbranch_execnz .LBB161_97
.LBB161_67:                             ;   in Loop: Header=BB161_36 Depth=1
	s_or_b32 exec_lo, exec_lo, s3
	global_load_b128 v[62:65], v[2:3], off offset:14336
	s_wait_xcnt 0x0
	s_and_saveexec_b32 s3, vcc_lo
	s_cbranch_execnz .LBB161_98
.LBB161_68:                             ;   in Loop: Header=BB161_36 Depth=1
	s_or_b32 exec_lo, exec_lo, s3
	global_load_b128 v[66:69], v[2:3], off offset:14848
	s_wait_xcnt 0x0
	s_and_saveexec_b32 s3, vcc_lo
	s_cbranch_execnz .LBB161_99
.LBB161_69:                             ;   in Loop: Header=BB161_36 Depth=1
	s_or_b32 exec_lo, exec_lo, s3
	global_load_b128 v[2:5], v[2:3], off offset:15360
	s_wait_xcnt 0x0
	s_and_saveexec_b32 s3, vcc_lo
	s_cbranch_execz .LBB161_71
.LBB161_70:                             ;   in Loop: Header=BB161_36 Depth=1
	v_cmp_gt_i32_e64 s0, s23, v0
	v_cmp_gt_i32_e64 s1, s15, v127
	s_wait_loadcnt 0x0
	s_delay_alu instid0(VALU_DEP_2) | instskip(SKIP_1) | instid1(VALU_DEP_2)
	v_dual_lshrrev_b32 v6, 16, v2 :: v_dual_cndmask_b32 v2, 0, v2, s0
	v_cmp_gt_i32_e64 s0, s15, v126
	v_cndmask_b32_e64 v6, 0, v6, s1
	v_cmp_gt_i32_e64 s1, s23, v1
	s_delay_alu instid0(VALU_DEP_2) | instskip(NEXT) | instid1(VALU_DEP_2)
	v_perm_b32 v2, v6, v2, 0x5040100
	v_dual_cndmask_b32 v6, 0, v3, s1 :: v_dual_lshrrev_b32 v3, 16, v3
	v_cmp_gt_i32_e64 s1, s23, v11
	s_delay_alu instid0(VALU_DEP_2) | instskip(SKIP_1) | instid1(VALU_DEP_2)
	v_cndmask_b32_e64 v3, 0, v3, s0
	v_cmp_gt_i32_e64 s0, s15, v10
	v_perm_b32 v3, v3, v6, 0x5040100
	s_delay_alu instid0(VALU_DEP_4) | instskip(SKIP_1) | instid1(VALU_DEP_2)
	v_dual_cndmask_b32 v6, 0, v4, s1 :: v_dual_lshrrev_b32 v4, 16, v4
	v_cmp_gt_i32_e64 s1, s23, v13
	v_cndmask_b32_e64 v4, 0, v4, s0
	v_cmp_gt_i32_e64 s0, s15, v12
	s_delay_alu instid0(VALU_DEP_2) | instskip(NEXT) | instid1(VALU_DEP_4)
	v_perm_b32 v4, v4, v6, 0x5040100
	v_dual_cndmask_b32 v6, 0, v5, s1 :: v_dual_lshrrev_b32 v5, 16, v5
	s_delay_alu instid0(VALU_DEP_1) | instskip(NEXT) | instid1(VALU_DEP_1)
	v_cndmask_b32_e64 v5, 0, v5, s0
	v_perm_b32 v5, v5, v6, 0x5040100
.LBB161_71:                             ;   in Loop: Header=BB161_36 Depth=1
	s_or_b32 exec_lo, exec_lo, s3
	scratch_load_b64 v[6:7], off, off offset:232 ; 8-byte Folded Reload
	s_wait_loadcnt 0x0
	v_add_nc_u64_e32 v[6:7], v[98:99], v[6:7]
	global_load_b128 v[98:101], v[6:7], off
	s_wait_xcnt 0x0
	s_and_saveexec_b32 s16, vcc_lo
	s_cbranch_execz .LBB161_35
; %bb.72:                               ;   in Loop: Header=BB161_36 Depth=1
	v_cmp_gt_i32_e32 vcc_lo, s15, v127
	v_cmp_gt_i32_e64 s0, s23, v0
	v_cmp_gt_i32_e64 s1, s23, v1
	s_wait_loadcnt 0x0
	v_lshrrev_b32_e32 v6, 16, v98
	v_cmp_gt_i32_e64 s3, s15, v12
	v_dual_lshrrev_b32 v8, 16, v99 :: v_dual_lshrrev_b32 v9, 16, v100
	s_delay_alu instid0(VALU_DEP_3)
	v_dual_cndmask_b32 v7, 0, v99, s1 :: v_dual_cndmask_b32 v1, 0, v6, vcc_lo
	v_cndmask_b32_e64 v6, 0, v98, s0
	v_cmp_gt_i32_e32 vcc_lo, s15, v126
	v_cmp_gt_i32_e64 s0, s15, v10
	v_cmp_gt_i32_e64 s1, s23, v11
	v_cmp_gt_i32_e64 s4, s23, v13
	v_dual_lshrrev_b32 v98, 16, v101 :: v_dual_cndmask_b32 v8, 0, v8, vcc_lo
	s_delay_alu instid0(VALU_DEP_3) | instskip(NEXT) | instid1(VALU_DEP_2)
	v_dual_cndmask_b32 v9, 0, v9, s0 :: v_dual_cndmask_b32 v100, 0, v100, s1
	v_dual_cndmask_b32 v101, 0, v101, s4 :: v_dual_cndmask_b32 v126, 0, v98, s3
	v_perm_b32 v98, v1, v6, 0x5040100
	s_delay_alu instid0(VALU_DEP_4) | instskip(NEXT) | instid1(VALU_DEP_4)
	v_perm_b32 v99, v8, v7, 0x5040100
	v_perm_b32 v100, v9, v100, 0x5040100
	s_delay_alu instid0(VALU_DEP_4)
	v_perm_b32 v101, v126, v101, 0x5040100
	s_branch .LBB161_35
.LBB161_73:                             ;   in Loop: Header=BB161_36 Depth=1
	v_cmp_gt_i32_e64 s0, s23, v0
	s_wait_loadcnt 0x0
	s_delay_alu instid0(VALU_DEP_1) | instskip(SKIP_1) | instid1(VALU_DEP_1)
	v_dual_lshrrev_b32 v4, 16, v14 :: v_dual_cndmask_b32 v5, 0, v14, s0
	v_cmp_gt_i32_e64 s0, s15, v127
	v_dual_lshrrev_b32 v6, 16, v15 :: v_dual_cndmask_b32 v4, 0, v4, s0
	v_cmp_gt_i32_e64 s0, s23, v1
	s_delay_alu instid0(VALU_DEP_1) | instskip(SKIP_1) | instid1(VALU_DEP_1)
	v_cndmask_b32_e64 v7, 0, v15, s0
	v_cmp_gt_i32_e64 s0, s15, v126
	v_cndmask_b32_e64 v6, 0, v6, s0
	v_cmp_gt_i32_e64 s0, s23, v11
	v_lshrrev_b32_e32 v8, 16, v16
	s_delay_alu instid0(VALU_DEP_3) | instskip(NEXT) | instid1(VALU_DEP_3)
	v_perm_b32 v15, v6, v7, 0x5040100
	v_cndmask_b32_e64 v9, 0, v16, s0
	v_cmp_gt_i32_e64 s0, s15, v10
	s_delay_alu instid0(VALU_DEP_1) | instskip(SKIP_1) | instid1(VALU_DEP_2)
	v_dual_lshrrev_b32 v14, 16, v17 :: v_dual_cndmask_b32 v8, 0, v8, s0
	v_cmp_gt_i32_e64 s0, s23, v13
	v_perm_b32 v16, v8, v9, 0x5040100
	s_delay_alu instid0(VALU_DEP_2) | instskip(SKIP_1) | instid1(VALU_DEP_1)
	v_cndmask_b32_e64 v17, 0, v17, s0
	v_cmp_gt_i32_e64 s0, s15, v12
	v_cndmask_b32_e64 v18, 0, v14, s0
	v_perm_b32 v14, v4, v5, 0x5040100
	s_delay_alu instid0(VALU_DEP_2)
	v_perm_b32 v17, v18, v17, 0x5040100
	s_or_b32 exec_lo, exec_lo, s1
	global_load_b128 v[18:21], v[2:3], off offset:2048
	s_wait_xcnt 0x0
	s_and_saveexec_b32 s1, vcc_lo
	s_cbranch_execz .LBB161_44
.LBB161_74:                             ;   in Loop: Header=BB161_36 Depth=1
	v_cmp_gt_i32_e64 s0, s23, v0
	s_wait_loadcnt 0x0
	s_delay_alu instid0(VALU_DEP_1) | instskip(SKIP_1) | instid1(VALU_DEP_1)
	v_dual_lshrrev_b32 v4, 16, v18 :: v_dual_cndmask_b32 v5, 0, v18, s0
	v_cmp_gt_i32_e64 s0, s15, v127
	v_dual_lshrrev_b32 v6, 16, v19 :: v_dual_cndmask_b32 v4, 0, v4, s0
	v_cmp_gt_i32_e64 s0, s23, v1
	s_delay_alu instid0(VALU_DEP_1) | instskip(SKIP_1) | instid1(VALU_DEP_1)
	v_cndmask_b32_e64 v7, 0, v19, s0
	v_cmp_gt_i32_e64 s0, s15, v126
	v_cndmask_b32_e64 v6, 0, v6, s0
	v_cmp_gt_i32_e64 s0, s23, v11
	v_lshrrev_b32_e32 v8, 16, v20
	s_delay_alu instid0(VALU_DEP_3) | instskip(NEXT) | instid1(VALU_DEP_3)
	v_perm_b32 v19, v6, v7, 0x5040100
	v_cndmask_b32_e64 v9, 0, v20, s0
	v_cmp_gt_i32_e64 s0, s15, v10
	s_delay_alu instid0(VALU_DEP_1) | instskip(SKIP_1) | instid1(VALU_DEP_2)
	v_dual_lshrrev_b32 v18, 16, v21 :: v_dual_cndmask_b32 v8, 0, v8, s0
	v_cmp_gt_i32_e64 s0, s23, v13
	v_perm_b32 v20, v8, v9, 0x5040100
	s_delay_alu instid0(VALU_DEP_2) | instskip(SKIP_1) | instid1(VALU_DEP_1)
	v_cndmask_b32_e64 v21, 0, v21, s0
	v_cmp_gt_i32_e64 s0, s15, v12
	v_cndmask_b32_e64 v22, 0, v18, s0
	v_perm_b32 v18, v4, v5, 0x5040100
	s_delay_alu instid0(VALU_DEP_2)
	v_perm_b32 v21, v22, v21, 0x5040100
	s_or_b32 exec_lo, exec_lo, s1
	global_load_b128 v[22:25], v[2:3], off offset:2560
	s_wait_xcnt 0x0
	s_and_saveexec_b32 s1, vcc_lo
	s_cbranch_execz .LBB161_45
.LBB161_75:                             ;   in Loop: Header=BB161_36 Depth=1
	v_cmp_gt_i32_e64 s0, s23, v0
	s_wait_loadcnt 0x0
	s_delay_alu instid0(VALU_DEP_1) | instskip(SKIP_1) | instid1(VALU_DEP_1)
	v_dual_lshrrev_b32 v4, 16, v22 :: v_dual_cndmask_b32 v5, 0, v22, s0
	v_cmp_gt_i32_e64 s0, s15, v127
	v_dual_lshrrev_b32 v6, 16, v23 :: v_dual_cndmask_b32 v4, 0, v4, s0
	v_cmp_gt_i32_e64 s0, s23, v1
	s_delay_alu instid0(VALU_DEP_1) | instskip(SKIP_1) | instid1(VALU_DEP_1)
	v_cndmask_b32_e64 v7, 0, v23, s0
	v_cmp_gt_i32_e64 s0, s15, v126
	v_cndmask_b32_e64 v6, 0, v6, s0
	v_cmp_gt_i32_e64 s0, s23, v11
	v_lshrrev_b32_e32 v8, 16, v24
	s_delay_alu instid0(VALU_DEP_3) | instskip(NEXT) | instid1(VALU_DEP_3)
	v_perm_b32 v23, v6, v7, 0x5040100
	v_cndmask_b32_e64 v9, 0, v24, s0
	v_cmp_gt_i32_e64 s0, s15, v10
	s_delay_alu instid0(VALU_DEP_1) | instskip(SKIP_1) | instid1(VALU_DEP_2)
	v_dual_lshrrev_b32 v22, 16, v25 :: v_dual_cndmask_b32 v8, 0, v8, s0
	v_cmp_gt_i32_e64 s0, s23, v13
	v_perm_b32 v24, v8, v9, 0x5040100
	s_delay_alu instid0(VALU_DEP_2) | instskip(SKIP_1) | instid1(VALU_DEP_1)
	v_cndmask_b32_e64 v25, 0, v25, s0
	v_cmp_gt_i32_e64 s0, s15, v12
	v_cndmask_b32_e64 v26, 0, v22, s0
	v_perm_b32 v22, v4, v5, 0x5040100
	s_delay_alu instid0(VALU_DEP_2)
	v_perm_b32 v25, v26, v25, 0x5040100
	s_or_b32 exec_lo, exec_lo, s1
	global_load_b128 v[26:29], v[2:3], off offset:3072
	s_wait_xcnt 0x0
	s_and_saveexec_b32 s1, vcc_lo
	s_cbranch_execz .LBB161_46
.LBB161_76:                             ;   in Loop: Header=BB161_36 Depth=1
	v_cmp_gt_i32_e64 s0, s23, v0
	s_wait_loadcnt 0x0
	s_delay_alu instid0(VALU_DEP_1) | instskip(SKIP_1) | instid1(VALU_DEP_1)
	v_dual_lshrrev_b32 v4, 16, v26 :: v_dual_cndmask_b32 v5, 0, v26, s0
	v_cmp_gt_i32_e64 s0, s15, v127
	v_dual_lshrrev_b32 v6, 16, v27 :: v_dual_cndmask_b32 v4, 0, v4, s0
	v_cmp_gt_i32_e64 s0, s23, v1
	s_delay_alu instid0(VALU_DEP_1) | instskip(SKIP_1) | instid1(VALU_DEP_1)
	v_cndmask_b32_e64 v7, 0, v27, s0
	v_cmp_gt_i32_e64 s0, s15, v126
	v_cndmask_b32_e64 v6, 0, v6, s0
	v_cmp_gt_i32_e64 s0, s23, v11
	v_lshrrev_b32_e32 v8, 16, v28
	s_delay_alu instid0(VALU_DEP_3) | instskip(NEXT) | instid1(VALU_DEP_3)
	v_perm_b32 v27, v6, v7, 0x5040100
	v_cndmask_b32_e64 v9, 0, v28, s0
	v_cmp_gt_i32_e64 s0, s15, v10
	s_delay_alu instid0(VALU_DEP_1) | instskip(SKIP_1) | instid1(VALU_DEP_2)
	v_dual_lshrrev_b32 v26, 16, v29 :: v_dual_cndmask_b32 v8, 0, v8, s0
	v_cmp_gt_i32_e64 s0, s23, v13
	v_perm_b32 v28, v8, v9, 0x5040100
	s_delay_alu instid0(VALU_DEP_2) | instskip(SKIP_1) | instid1(VALU_DEP_1)
	v_cndmask_b32_e64 v29, 0, v29, s0
	v_cmp_gt_i32_e64 s0, s15, v12
	v_cndmask_b32_e64 v30, 0, v26, s0
	v_perm_b32 v26, v4, v5, 0x5040100
	s_delay_alu instid0(VALU_DEP_2)
	v_perm_b32 v29, v30, v29, 0x5040100
	s_or_b32 exec_lo, exec_lo, s1
	global_load_b128 v[30:33], v[2:3], off offset:3584
	s_wait_xcnt 0x0
	s_and_saveexec_b32 s1, vcc_lo
	s_cbranch_execz .LBB161_47
.LBB161_77:                             ;   in Loop: Header=BB161_36 Depth=1
	v_cmp_gt_i32_e64 s0, s23, v0
	s_wait_loadcnt 0x0
	s_delay_alu instid0(VALU_DEP_1) | instskip(SKIP_1) | instid1(VALU_DEP_1)
	v_dual_lshrrev_b32 v4, 16, v30 :: v_dual_cndmask_b32 v5, 0, v30, s0
	v_cmp_gt_i32_e64 s0, s15, v127
	v_dual_lshrrev_b32 v6, 16, v31 :: v_dual_cndmask_b32 v4, 0, v4, s0
	v_cmp_gt_i32_e64 s0, s23, v1
	s_delay_alu instid0(VALU_DEP_1) | instskip(SKIP_1) | instid1(VALU_DEP_1)
	v_cndmask_b32_e64 v7, 0, v31, s0
	v_cmp_gt_i32_e64 s0, s15, v126
	v_cndmask_b32_e64 v6, 0, v6, s0
	v_cmp_gt_i32_e64 s0, s23, v11
	v_lshrrev_b32_e32 v8, 16, v32
	s_delay_alu instid0(VALU_DEP_3) | instskip(NEXT) | instid1(VALU_DEP_3)
	v_perm_b32 v31, v6, v7, 0x5040100
	v_cndmask_b32_e64 v9, 0, v32, s0
	v_cmp_gt_i32_e64 s0, s15, v10
	s_delay_alu instid0(VALU_DEP_1) | instskip(SKIP_1) | instid1(VALU_DEP_2)
	v_dual_lshrrev_b32 v30, 16, v33 :: v_dual_cndmask_b32 v8, 0, v8, s0
	v_cmp_gt_i32_e64 s0, s23, v13
	v_perm_b32 v32, v8, v9, 0x5040100
	s_delay_alu instid0(VALU_DEP_2) | instskip(SKIP_1) | instid1(VALU_DEP_1)
	v_cndmask_b32_e64 v33, 0, v33, s0
	v_cmp_gt_i32_e64 s0, s15, v12
	v_cndmask_b32_e64 v34, 0, v30, s0
	v_perm_b32 v30, v4, v5, 0x5040100
	s_delay_alu instid0(VALU_DEP_2)
	v_perm_b32 v33, v34, v33, 0x5040100
	s_or_b32 exec_lo, exec_lo, s1
	global_load_b128 v[34:37], v[2:3], off offset:4096
	s_wait_xcnt 0x0
	s_and_saveexec_b32 s1, vcc_lo
	s_cbranch_execz .LBB161_48
.LBB161_78:                             ;   in Loop: Header=BB161_36 Depth=1
	v_cmp_gt_i32_e64 s0, s23, v0
	s_wait_loadcnt 0x0
	s_delay_alu instid0(VALU_DEP_1) | instskip(SKIP_1) | instid1(VALU_DEP_1)
	v_dual_lshrrev_b32 v4, 16, v34 :: v_dual_cndmask_b32 v5, 0, v34, s0
	v_cmp_gt_i32_e64 s0, s15, v127
	v_dual_lshrrev_b32 v6, 16, v35 :: v_dual_cndmask_b32 v4, 0, v4, s0
	v_cmp_gt_i32_e64 s0, s23, v1
	s_delay_alu instid0(VALU_DEP_1) | instskip(SKIP_1) | instid1(VALU_DEP_1)
	v_cndmask_b32_e64 v7, 0, v35, s0
	v_cmp_gt_i32_e64 s0, s15, v126
	v_cndmask_b32_e64 v6, 0, v6, s0
	v_cmp_gt_i32_e64 s0, s23, v11
	v_lshrrev_b32_e32 v8, 16, v36
	s_delay_alu instid0(VALU_DEP_3) | instskip(NEXT) | instid1(VALU_DEP_3)
	v_perm_b32 v35, v6, v7, 0x5040100
	v_cndmask_b32_e64 v9, 0, v36, s0
	v_cmp_gt_i32_e64 s0, s15, v10
	s_delay_alu instid0(VALU_DEP_1) | instskip(SKIP_1) | instid1(VALU_DEP_2)
	v_dual_lshrrev_b32 v34, 16, v37 :: v_dual_cndmask_b32 v8, 0, v8, s0
	v_cmp_gt_i32_e64 s0, s23, v13
	v_perm_b32 v36, v8, v9, 0x5040100
	s_delay_alu instid0(VALU_DEP_2) | instskip(SKIP_1) | instid1(VALU_DEP_1)
	v_cndmask_b32_e64 v37, 0, v37, s0
	v_cmp_gt_i32_e64 s0, s15, v12
	v_cndmask_b32_e64 v38, 0, v34, s0
	v_perm_b32 v34, v4, v5, 0x5040100
	s_delay_alu instid0(VALU_DEP_2)
	v_perm_b32 v37, v38, v37, 0x5040100
	s_or_b32 exec_lo, exec_lo, s1
	global_load_b128 v[38:41], v[2:3], off offset:4608
	s_wait_xcnt 0x0
	s_and_saveexec_b32 s1, vcc_lo
	s_cbranch_execz .LBB161_49
.LBB161_79:                             ;   in Loop: Header=BB161_36 Depth=1
	v_cmp_gt_i32_e64 s0, s23, v0
	s_wait_loadcnt 0x0
	s_delay_alu instid0(VALU_DEP_1) | instskip(SKIP_1) | instid1(VALU_DEP_1)
	v_dual_lshrrev_b32 v4, 16, v38 :: v_dual_cndmask_b32 v5, 0, v38, s0
	v_cmp_gt_i32_e64 s0, s15, v127
	v_dual_lshrrev_b32 v6, 16, v39 :: v_dual_cndmask_b32 v4, 0, v4, s0
	v_cmp_gt_i32_e64 s0, s23, v1
	s_delay_alu instid0(VALU_DEP_1) | instskip(SKIP_1) | instid1(VALU_DEP_1)
	v_cndmask_b32_e64 v7, 0, v39, s0
	v_cmp_gt_i32_e64 s0, s15, v126
	v_cndmask_b32_e64 v6, 0, v6, s0
	v_cmp_gt_i32_e64 s0, s23, v11
	v_lshrrev_b32_e32 v8, 16, v40
	s_delay_alu instid0(VALU_DEP_3) | instskip(NEXT) | instid1(VALU_DEP_3)
	v_perm_b32 v39, v6, v7, 0x5040100
	v_cndmask_b32_e64 v9, 0, v40, s0
	v_cmp_gt_i32_e64 s0, s15, v10
	s_delay_alu instid0(VALU_DEP_1) | instskip(SKIP_1) | instid1(VALU_DEP_2)
	v_dual_lshrrev_b32 v38, 16, v41 :: v_dual_cndmask_b32 v8, 0, v8, s0
	v_cmp_gt_i32_e64 s0, s23, v13
	v_perm_b32 v40, v8, v9, 0x5040100
	s_delay_alu instid0(VALU_DEP_2) | instskip(SKIP_1) | instid1(VALU_DEP_1)
	v_cndmask_b32_e64 v41, 0, v41, s0
	v_cmp_gt_i32_e64 s0, s15, v12
	v_cndmask_b32_e64 v42, 0, v38, s0
	v_perm_b32 v38, v4, v5, 0x5040100
	s_delay_alu instid0(VALU_DEP_2)
	v_perm_b32 v41, v42, v41, 0x5040100
	s_or_b32 exec_lo, exec_lo, s1
	global_load_b128 v[42:45], v[2:3], off offset:5120
	s_wait_xcnt 0x0
	s_and_saveexec_b32 s1, vcc_lo
	s_cbranch_execz .LBB161_50
.LBB161_80:                             ;   in Loop: Header=BB161_36 Depth=1
	v_cmp_gt_i32_e64 s0, s23, v0
	s_wait_loadcnt 0x0
	s_delay_alu instid0(VALU_DEP_1) | instskip(SKIP_1) | instid1(VALU_DEP_1)
	v_dual_lshrrev_b32 v4, 16, v42 :: v_dual_cndmask_b32 v5, 0, v42, s0
	v_cmp_gt_i32_e64 s0, s15, v127
	v_dual_lshrrev_b32 v6, 16, v43 :: v_dual_cndmask_b32 v4, 0, v4, s0
	v_cmp_gt_i32_e64 s0, s23, v1
	s_delay_alu instid0(VALU_DEP_1) | instskip(SKIP_1) | instid1(VALU_DEP_1)
	v_cndmask_b32_e64 v7, 0, v43, s0
	v_cmp_gt_i32_e64 s0, s15, v126
	v_cndmask_b32_e64 v6, 0, v6, s0
	v_cmp_gt_i32_e64 s0, s23, v11
	v_lshrrev_b32_e32 v8, 16, v44
	s_delay_alu instid0(VALU_DEP_3) | instskip(NEXT) | instid1(VALU_DEP_3)
	v_perm_b32 v43, v6, v7, 0x5040100
	v_cndmask_b32_e64 v9, 0, v44, s0
	v_cmp_gt_i32_e64 s0, s15, v10
	s_delay_alu instid0(VALU_DEP_1) | instskip(SKIP_1) | instid1(VALU_DEP_2)
	v_dual_lshrrev_b32 v42, 16, v45 :: v_dual_cndmask_b32 v8, 0, v8, s0
	v_cmp_gt_i32_e64 s0, s23, v13
	v_perm_b32 v44, v8, v9, 0x5040100
	s_delay_alu instid0(VALU_DEP_2) | instskip(SKIP_1) | instid1(VALU_DEP_1)
	v_cndmask_b32_e64 v45, 0, v45, s0
	v_cmp_gt_i32_e64 s0, s15, v12
	v_cndmask_b32_e64 v46, 0, v42, s0
	v_perm_b32 v42, v4, v5, 0x5040100
	s_delay_alu instid0(VALU_DEP_2)
	v_perm_b32 v45, v46, v45, 0x5040100
	s_or_b32 exec_lo, exec_lo, s1
	global_load_b128 v[46:49], v[2:3], off offset:5632
	s_wait_xcnt 0x0
	s_and_saveexec_b32 s1, vcc_lo
	s_cbranch_execz .LBB161_51
.LBB161_81:                             ;   in Loop: Header=BB161_36 Depth=1
	v_cmp_gt_i32_e64 s0, s23, v0
	s_wait_loadcnt 0x0
	s_delay_alu instid0(VALU_DEP_1) | instskip(SKIP_1) | instid1(VALU_DEP_1)
	v_dual_lshrrev_b32 v4, 16, v46 :: v_dual_cndmask_b32 v5, 0, v46, s0
	v_cmp_gt_i32_e64 s0, s15, v127
	v_dual_lshrrev_b32 v6, 16, v47 :: v_dual_cndmask_b32 v4, 0, v4, s0
	v_cmp_gt_i32_e64 s0, s23, v1
	s_delay_alu instid0(VALU_DEP_1) | instskip(SKIP_1) | instid1(VALU_DEP_1)
	v_cndmask_b32_e64 v7, 0, v47, s0
	v_cmp_gt_i32_e64 s0, s15, v126
	v_cndmask_b32_e64 v6, 0, v6, s0
	v_cmp_gt_i32_e64 s0, s23, v11
	v_lshrrev_b32_e32 v8, 16, v48
	s_delay_alu instid0(VALU_DEP_3) | instskip(NEXT) | instid1(VALU_DEP_3)
	v_perm_b32 v47, v6, v7, 0x5040100
	v_cndmask_b32_e64 v9, 0, v48, s0
	v_cmp_gt_i32_e64 s0, s15, v10
	s_delay_alu instid0(VALU_DEP_1) | instskip(SKIP_1) | instid1(VALU_DEP_2)
	v_dual_lshrrev_b32 v46, 16, v49 :: v_dual_cndmask_b32 v8, 0, v8, s0
	v_cmp_gt_i32_e64 s0, s23, v13
	v_perm_b32 v48, v8, v9, 0x5040100
	s_delay_alu instid0(VALU_DEP_2) | instskip(SKIP_1) | instid1(VALU_DEP_1)
	v_cndmask_b32_e64 v49, 0, v49, s0
	v_cmp_gt_i32_e64 s0, s15, v12
	v_cndmask_b32_e64 v50, 0, v46, s0
	v_perm_b32 v46, v4, v5, 0x5040100
	s_delay_alu instid0(VALU_DEP_2)
	v_perm_b32 v49, v50, v49, 0x5040100
	s_or_b32 exec_lo, exec_lo, s1
	global_load_b128 v[50:53], v[2:3], off offset:6144
	s_wait_xcnt 0x0
	s_and_saveexec_b32 s1, vcc_lo
	s_cbranch_execz .LBB161_52
.LBB161_82:                             ;   in Loop: Header=BB161_36 Depth=1
	v_cmp_gt_i32_e64 s0, s23, v0
	s_wait_loadcnt 0x0
	s_delay_alu instid0(VALU_DEP_1) | instskip(SKIP_1) | instid1(VALU_DEP_1)
	v_dual_lshrrev_b32 v4, 16, v50 :: v_dual_cndmask_b32 v5, 0, v50, s0
	v_cmp_gt_i32_e64 s0, s15, v127
	v_dual_lshrrev_b32 v6, 16, v51 :: v_dual_cndmask_b32 v4, 0, v4, s0
	v_cmp_gt_i32_e64 s0, s23, v1
	s_delay_alu instid0(VALU_DEP_1) | instskip(SKIP_1) | instid1(VALU_DEP_1)
	v_cndmask_b32_e64 v7, 0, v51, s0
	v_cmp_gt_i32_e64 s0, s15, v126
	v_cndmask_b32_e64 v6, 0, v6, s0
	v_cmp_gt_i32_e64 s0, s23, v11
	v_lshrrev_b32_e32 v8, 16, v52
	s_delay_alu instid0(VALU_DEP_3) | instskip(NEXT) | instid1(VALU_DEP_3)
	v_perm_b32 v51, v6, v7, 0x5040100
	v_cndmask_b32_e64 v9, 0, v52, s0
	v_cmp_gt_i32_e64 s0, s15, v10
	s_delay_alu instid0(VALU_DEP_1) | instskip(SKIP_1) | instid1(VALU_DEP_2)
	v_dual_lshrrev_b32 v50, 16, v53 :: v_dual_cndmask_b32 v8, 0, v8, s0
	v_cmp_gt_i32_e64 s0, s23, v13
	v_perm_b32 v52, v8, v9, 0x5040100
	s_delay_alu instid0(VALU_DEP_2) | instskip(SKIP_1) | instid1(VALU_DEP_1)
	v_cndmask_b32_e64 v53, 0, v53, s0
	v_cmp_gt_i32_e64 s0, s15, v12
	v_cndmask_b32_e64 v54, 0, v50, s0
	v_perm_b32 v50, v4, v5, 0x5040100
	s_delay_alu instid0(VALU_DEP_2)
	v_perm_b32 v53, v54, v53, 0x5040100
	s_or_b32 exec_lo, exec_lo, s1
	global_load_b128 v[54:57], v[2:3], off offset:6656
	s_wait_xcnt 0x0
	s_and_saveexec_b32 s1, vcc_lo
	s_cbranch_execz .LBB161_53
.LBB161_83:                             ;   in Loop: Header=BB161_36 Depth=1
	v_cmp_gt_i32_e64 s0, s23, v0
	s_wait_loadcnt 0x0
	s_delay_alu instid0(VALU_DEP_1) | instskip(SKIP_1) | instid1(VALU_DEP_1)
	v_dual_lshrrev_b32 v4, 16, v54 :: v_dual_cndmask_b32 v5, 0, v54, s0
	v_cmp_gt_i32_e64 s0, s15, v127
	v_dual_lshrrev_b32 v6, 16, v55 :: v_dual_cndmask_b32 v4, 0, v4, s0
	v_cmp_gt_i32_e64 s0, s23, v1
	s_delay_alu instid0(VALU_DEP_1) | instskip(SKIP_1) | instid1(VALU_DEP_1)
	v_cndmask_b32_e64 v7, 0, v55, s0
	v_cmp_gt_i32_e64 s0, s15, v126
	v_cndmask_b32_e64 v6, 0, v6, s0
	v_cmp_gt_i32_e64 s0, s23, v11
	v_lshrrev_b32_e32 v8, 16, v56
	s_delay_alu instid0(VALU_DEP_3) | instskip(NEXT) | instid1(VALU_DEP_3)
	v_perm_b32 v55, v6, v7, 0x5040100
	v_cndmask_b32_e64 v9, 0, v56, s0
	v_cmp_gt_i32_e64 s0, s15, v10
	s_delay_alu instid0(VALU_DEP_1) | instskip(SKIP_1) | instid1(VALU_DEP_2)
	v_dual_lshrrev_b32 v54, 16, v57 :: v_dual_cndmask_b32 v8, 0, v8, s0
	v_cmp_gt_i32_e64 s0, s23, v13
	v_perm_b32 v56, v8, v9, 0x5040100
	s_delay_alu instid0(VALU_DEP_2) | instskip(SKIP_1) | instid1(VALU_DEP_1)
	v_cndmask_b32_e64 v57, 0, v57, s0
	v_cmp_gt_i32_e64 s0, s15, v12
	v_cndmask_b32_e64 v58, 0, v54, s0
	v_perm_b32 v54, v4, v5, 0x5040100
	s_delay_alu instid0(VALU_DEP_2)
	v_perm_b32 v57, v58, v57, 0x5040100
	s_or_b32 exec_lo, exec_lo, s1
	global_load_b128 v[58:61], v[2:3], off offset:7168
	s_wait_xcnt 0x0
	s_and_saveexec_b32 s3, vcc_lo
	s_cbranch_execz .LBB161_54
.LBB161_84:                             ;   in Loop: Header=BB161_36 Depth=1
	v_cmp_gt_i32_e64 s0, s23, v0
	v_cmp_gt_i32_e64 s1, s15, v127
	s_wait_loadcnt 0x0
	s_delay_alu instid0(VALU_DEP_2) | instskip(SKIP_1) | instid1(VALU_DEP_2)
	v_dual_lshrrev_b32 v4, 16, v58 :: v_dual_cndmask_b32 v5, 0, v58, s0
	v_cmp_gt_i32_e64 s0, s15, v126
	v_cndmask_b32_e64 v4, 0, v4, s1
	v_cmp_gt_i32_e64 s1, s23, v1
	s_delay_alu instid0(VALU_DEP_2) | instskip(NEXT) | instid1(VALU_DEP_2)
	v_perm_b32 v58, v4, v5, 0x5040100
	v_dual_lshrrev_b32 v5, 16, v59 :: v_dual_cndmask_b32 v4, 0, v59, s1
	v_cmp_gt_i32_e64 s1, s23, v11
	s_delay_alu instid0(VALU_DEP_2) | instskip(SKIP_1) | instid1(VALU_DEP_2)
	v_cndmask_b32_e64 v5, 0, v5, s0
	v_cmp_gt_i32_e64 s0, s15, v10
	v_perm_b32 v59, v5, v4, 0x5040100
	s_delay_alu instid0(VALU_DEP_4) | instskip(SKIP_1) | instid1(VALU_DEP_2)
	v_dual_cndmask_b32 v4, 0, v60, s1 :: v_dual_lshrrev_b32 v5, 16, v60
	v_cmp_gt_i32_e64 s1, s23, v13
	v_cndmask_b32_e64 v5, 0, v5, s0
	v_cmp_gt_i32_e64 s0, s15, v12
	s_delay_alu instid0(VALU_DEP_2) | instskip(NEXT) | instid1(VALU_DEP_4)
	v_perm_b32 v60, v5, v4, 0x5040100
	v_dual_cndmask_b32 v4, 0, v61, s1 :: v_dual_lshrrev_b32 v5, 16, v61
	s_delay_alu instid0(VALU_DEP_1) | instskip(NEXT) | instid1(VALU_DEP_1)
	v_cndmask_b32_e64 v5, 0, v5, s0
	v_perm_b32 v61, v5, v4, 0x5040100
	s_or_b32 exec_lo, exec_lo, s3
	global_load_b128 v[70:73], v[2:3], off offset:7680
	s_wait_xcnt 0x0
	s_and_saveexec_b32 s3, vcc_lo
	s_cbranch_execz .LBB161_55
.LBB161_85:                             ;   in Loop: Header=BB161_36 Depth=1
	v_cmp_gt_i32_e64 s0, s23, v0
	v_cmp_gt_i32_e64 s1, s15, v127
	s_wait_loadcnt 0x0
	s_delay_alu instid0(VALU_DEP_2) | instskip(SKIP_1) | instid1(VALU_DEP_2)
	v_dual_lshrrev_b32 v4, 16, v70 :: v_dual_cndmask_b32 v5, 0, v70, s0
	v_cmp_gt_i32_e64 s0, s15, v126
	v_cndmask_b32_e64 v4, 0, v4, s1
	v_cmp_gt_i32_e64 s1, s23, v1
	s_delay_alu instid0(VALU_DEP_2) | instskip(NEXT) | instid1(VALU_DEP_2)
	v_perm_b32 v70, v4, v5, 0x5040100
	v_dual_lshrrev_b32 v5, 16, v71 :: v_dual_cndmask_b32 v4, 0, v71, s1
	v_cmp_gt_i32_e64 s1, s23, v11
	s_delay_alu instid0(VALU_DEP_2) | instskip(SKIP_1) | instid1(VALU_DEP_2)
	v_cndmask_b32_e64 v5, 0, v5, s0
	v_cmp_gt_i32_e64 s0, s15, v10
	v_perm_b32 v71, v5, v4, 0x5040100
	s_delay_alu instid0(VALU_DEP_4) | instskip(SKIP_1) | instid1(VALU_DEP_2)
	v_dual_cndmask_b32 v4, 0, v72, s1 :: v_dual_lshrrev_b32 v5, 16, v72
	v_cmp_gt_i32_e64 s1, s23, v13
	v_cndmask_b32_e64 v5, 0, v5, s0
	v_cmp_gt_i32_e64 s0, s15, v12
	s_delay_alu instid0(VALU_DEP_2) | instskip(NEXT) | instid1(VALU_DEP_4)
	v_perm_b32 v72, v5, v4, 0x5040100
	v_dual_cndmask_b32 v4, 0, v73, s1 :: v_dual_lshrrev_b32 v5, 16, v73
	s_delay_alu instid0(VALU_DEP_1) | instskip(NEXT) | instid1(VALU_DEP_1)
	v_cndmask_b32_e64 v5, 0, v5, s0
	v_perm_b32 v73, v5, v4, 0x5040100
	s_or_b32 exec_lo, exec_lo, s3
	global_load_b128 v[74:77], v[2:3], off offset:8192
	s_wait_xcnt 0x0
	s_and_saveexec_b32 s3, vcc_lo
	s_cbranch_execz .LBB161_56
.LBB161_86:                             ;   in Loop: Header=BB161_36 Depth=1
	v_cmp_gt_i32_e64 s0, s23, v0
	v_cmp_gt_i32_e64 s1, s15, v127
	s_wait_loadcnt 0x0
	s_delay_alu instid0(VALU_DEP_2) | instskip(SKIP_1) | instid1(VALU_DEP_2)
	v_dual_lshrrev_b32 v4, 16, v74 :: v_dual_cndmask_b32 v5, 0, v74, s0
	v_cmp_gt_i32_e64 s0, s15, v126
	v_cndmask_b32_e64 v4, 0, v4, s1
	v_cmp_gt_i32_e64 s1, s23, v1
	s_delay_alu instid0(VALU_DEP_2) | instskip(NEXT) | instid1(VALU_DEP_2)
	v_perm_b32 v74, v4, v5, 0x5040100
	v_dual_lshrrev_b32 v5, 16, v75 :: v_dual_cndmask_b32 v4, 0, v75, s1
	v_cmp_gt_i32_e64 s1, s23, v11
	s_delay_alu instid0(VALU_DEP_2) | instskip(SKIP_1) | instid1(VALU_DEP_2)
	v_cndmask_b32_e64 v5, 0, v5, s0
	v_cmp_gt_i32_e64 s0, s15, v10
	v_perm_b32 v75, v5, v4, 0x5040100
	s_delay_alu instid0(VALU_DEP_4) | instskip(SKIP_1) | instid1(VALU_DEP_2)
	v_dual_cndmask_b32 v4, 0, v76, s1 :: v_dual_lshrrev_b32 v5, 16, v76
	v_cmp_gt_i32_e64 s1, s23, v13
	v_cndmask_b32_e64 v5, 0, v5, s0
	v_cmp_gt_i32_e64 s0, s15, v12
	s_delay_alu instid0(VALU_DEP_2) | instskip(NEXT) | instid1(VALU_DEP_4)
	v_perm_b32 v76, v5, v4, 0x5040100
	v_dual_cndmask_b32 v4, 0, v77, s1 :: v_dual_lshrrev_b32 v5, 16, v77
	s_delay_alu instid0(VALU_DEP_1) | instskip(NEXT) | instid1(VALU_DEP_1)
	v_cndmask_b32_e64 v5, 0, v5, s0
	v_perm_b32 v77, v5, v4, 0x5040100
	s_or_b32 exec_lo, exec_lo, s3
	global_load_b128 v[78:81], v[2:3], off offset:8704
	s_wait_xcnt 0x0
	s_and_saveexec_b32 s3, vcc_lo
	s_cbranch_execz .LBB161_57
.LBB161_87:                             ;   in Loop: Header=BB161_36 Depth=1
	v_cmp_gt_i32_e64 s0, s23, v0
	v_cmp_gt_i32_e64 s1, s15, v127
	s_wait_loadcnt 0x0
	s_delay_alu instid0(VALU_DEP_2) | instskip(SKIP_1) | instid1(VALU_DEP_2)
	v_dual_lshrrev_b32 v4, 16, v78 :: v_dual_cndmask_b32 v5, 0, v78, s0
	v_cmp_gt_i32_e64 s0, s15, v126
	v_cndmask_b32_e64 v4, 0, v4, s1
	v_cmp_gt_i32_e64 s1, s23, v1
	s_delay_alu instid0(VALU_DEP_2) | instskip(NEXT) | instid1(VALU_DEP_2)
	v_perm_b32 v78, v4, v5, 0x5040100
	v_dual_lshrrev_b32 v5, 16, v79 :: v_dual_cndmask_b32 v4, 0, v79, s1
	v_cmp_gt_i32_e64 s1, s23, v11
	s_delay_alu instid0(VALU_DEP_2) | instskip(SKIP_1) | instid1(VALU_DEP_2)
	v_cndmask_b32_e64 v5, 0, v5, s0
	v_cmp_gt_i32_e64 s0, s15, v10
	v_perm_b32 v79, v5, v4, 0x5040100
	s_delay_alu instid0(VALU_DEP_4) | instskip(SKIP_1) | instid1(VALU_DEP_2)
	v_dual_cndmask_b32 v4, 0, v80, s1 :: v_dual_lshrrev_b32 v5, 16, v80
	v_cmp_gt_i32_e64 s1, s23, v13
	v_cndmask_b32_e64 v5, 0, v5, s0
	v_cmp_gt_i32_e64 s0, s15, v12
	s_delay_alu instid0(VALU_DEP_2) | instskip(NEXT) | instid1(VALU_DEP_4)
	v_perm_b32 v80, v5, v4, 0x5040100
	v_dual_cndmask_b32 v4, 0, v81, s1 :: v_dual_lshrrev_b32 v5, 16, v81
	s_delay_alu instid0(VALU_DEP_1) | instskip(NEXT) | instid1(VALU_DEP_1)
	v_cndmask_b32_e64 v5, 0, v5, s0
	v_perm_b32 v81, v5, v4, 0x5040100
	s_or_b32 exec_lo, exec_lo, s3
	global_load_b128 v[82:85], v[2:3], off offset:9216
	s_wait_xcnt 0x0
	s_and_saveexec_b32 s3, vcc_lo
	s_cbranch_execz .LBB161_58
.LBB161_88:                             ;   in Loop: Header=BB161_36 Depth=1
	v_cmp_gt_i32_e64 s0, s23, v0
	v_cmp_gt_i32_e64 s1, s15, v127
	s_wait_loadcnt 0x0
	s_delay_alu instid0(VALU_DEP_2) | instskip(SKIP_1) | instid1(VALU_DEP_2)
	v_dual_lshrrev_b32 v4, 16, v82 :: v_dual_cndmask_b32 v5, 0, v82, s0
	v_cmp_gt_i32_e64 s0, s15, v126
	v_cndmask_b32_e64 v4, 0, v4, s1
	v_cmp_gt_i32_e64 s1, s23, v1
	s_delay_alu instid0(VALU_DEP_2) | instskip(NEXT) | instid1(VALU_DEP_2)
	v_perm_b32 v82, v4, v5, 0x5040100
	v_dual_lshrrev_b32 v5, 16, v83 :: v_dual_cndmask_b32 v4, 0, v83, s1
	v_cmp_gt_i32_e64 s1, s23, v11
	s_delay_alu instid0(VALU_DEP_2) | instskip(SKIP_1) | instid1(VALU_DEP_2)
	v_cndmask_b32_e64 v5, 0, v5, s0
	v_cmp_gt_i32_e64 s0, s15, v10
	v_perm_b32 v83, v5, v4, 0x5040100
	s_delay_alu instid0(VALU_DEP_4) | instskip(SKIP_1) | instid1(VALU_DEP_2)
	v_dual_cndmask_b32 v4, 0, v84, s1 :: v_dual_lshrrev_b32 v5, 16, v84
	v_cmp_gt_i32_e64 s1, s23, v13
	v_cndmask_b32_e64 v5, 0, v5, s0
	v_cmp_gt_i32_e64 s0, s15, v12
	s_delay_alu instid0(VALU_DEP_2) | instskip(NEXT) | instid1(VALU_DEP_4)
	v_perm_b32 v84, v5, v4, 0x5040100
	v_dual_cndmask_b32 v4, 0, v85, s1 :: v_dual_lshrrev_b32 v5, 16, v85
	s_delay_alu instid0(VALU_DEP_1) | instskip(NEXT) | instid1(VALU_DEP_1)
	v_cndmask_b32_e64 v5, 0, v5, s0
	v_perm_b32 v85, v5, v4, 0x5040100
	s_or_b32 exec_lo, exec_lo, s3
	global_load_b128 v[86:89], v[2:3], off offset:9728
	s_wait_xcnt 0x0
	s_and_saveexec_b32 s3, vcc_lo
	s_cbranch_execz .LBB161_59
.LBB161_89:                             ;   in Loop: Header=BB161_36 Depth=1
	v_cmp_gt_i32_e64 s0, s23, v0
	v_cmp_gt_i32_e64 s1, s15, v127
	s_wait_loadcnt 0x0
	s_delay_alu instid0(VALU_DEP_2) | instskip(SKIP_1) | instid1(VALU_DEP_2)
	v_dual_lshrrev_b32 v4, 16, v86 :: v_dual_cndmask_b32 v5, 0, v86, s0
	v_cmp_gt_i32_e64 s0, s15, v126
	v_cndmask_b32_e64 v4, 0, v4, s1
	v_cmp_gt_i32_e64 s1, s23, v1
	s_delay_alu instid0(VALU_DEP_2) | instskip(NEXT) | instid1(VALU_DEP_2)
	v_perm_b32 v86, v4, v5, 0x5040100
	v_dual_lshrrev_b32 v5, 16, v87 :: v_dual_cndmask_b32 v4, 0, v87, s1
	v_cmp_gt_i32_e64 s1, s23, v11
	s_delay_alu instid0(VALU_DEP_2) | instskip(SKIP_1) | instid1(VALU_DEP_2)
	v_cndmask_b32_e64 v5, 0, v5, s0
	v_cmp_gt_i32_e64 s0, s15, v10
	v_perm_b32 v87, v5, v4, 0x5040100
	s_delay_alu instid0(VALU_DEP_4) | instskip(SKIP_1) | instid1(VALU_DEP_2)
	v_dual_cndmask_b32 v4, 0, v88, s1 :: v_dual_lshrrev_b32 v5, 16, v88
	v_cmp_gt_i32_e64 s1, s23, v13
	v_cndmask_b32_e64 v5, 0, v5, s0
	v_cmp_gt_i32_e64 s0, s15, v12
	s_delay_alu instid0(VALU_DEP_2) | instskip(NEXT) | instid1(VALU_DEP_4)
	v_perm_b32 v88, v5, v4, 0x5040100
	v_dual_cndmask_b32 v4, 0, v89, s1 :: v_dual_lshrrev_b32 v5, 16, v89
	s_delay_alu instid0(VALU_DEP_1) | instskip(NEXT) | instid1(VALU_DEP_1)
	v_cndmask_b32_e64 v5, 0, v5, s0
	v_perm_b32 v89, v5, v4, 0x5040100
	s_or_b32 exec_lo, exec_lo, s3
	global_load_b128 v[90:93], v[2:3], off offset:10240
	s_wait_xcnt 0x0
	s_and_saveexec_b32 s3, vcc_lo
	s_cbranch_execz .LBB161_60
.LBB161_90:                             ;   in Loop: Header=BB161_36 Depth=1
	v_cmp_gt_i32_e64 s0, s23, v0
	v_cmp_gt_i32_e64 s1, s15, v127
	s_wait_loadcnt 0x0
	s_delay_alu instid0(VALU_DEP_2) | instskip(SKIP_1) | instid1(VALU_DEP_2)
	v_dual_lshrrev_b32 v4, 16, v90 :: v_dual_cndmask_b32 v5, 0, v90, s0
	v_cmp_gt_i32_e64 s0, s15, v126
	v_cndmask_b32_e64 v4, 0, v4, s1
	v_cmp_gt_i32_e64 s1, s23, v1
	s_delay_alu instid0(VALU_DEP_2) | instskip(NEXT) | instid1(VALU_DEP_2)
	v_perm_b32 v90, v4, v5, 0x5040100
	v_dual_lshrrev_b32 v5, 16, v91 :: v_dual_cndmask_b32 v4, 0, v91, s1
	v_cmp_gt_i32_e64 s1, s23, v11
	s_delay_alu instid0(VALU_DEP_2) | instskip(SKIP_1) | instid1(VALU_DEP_2)
	v_cndmask_b32_e64 v5, 0, v5, s0
	v_cmp_gt_i32_e64 s0, s15, v10
	v_perm_b32 v91, v5, v4, 0x5040100
	s_delay_alu instid0(VALU_DEP_4) | instskip(SKIP_1) | instid1(VALU_DEP_2)
	v_dual_cndmask_b32 v4, 0, v92, s1 :: v_dual_lshrrev_b32 v5, 16, v92
	v_cmp_gt_i32_e64 s1, s23, v13
	v_cndmask_b32_e64 v5, 0, v5, s0
	v_cmp_gt_i32_e64 s0, s15, v12
	s_delay_alu instid0(VALU_DEP_2) | instskip(NEXT) | instid1(VALU_DEP_4)
	v_perm_b32 v92, v5, v4, 0x5040100
	v_dual_cndmask_b32 v4, 0, v93, s1 :: v_dual_lshrrev_b32 v5, 16, v93
	s_delay_alu instid0(VALU_DEP_1) | instskip(NEXT) | instid1(VALU_DEP_1)
	v_cndmask_b32_e64 v5, 0, v5, s0
	v_perm_b32 v93, v5, v4, 0x5040100
	s_or_b32 exec_lo, exec_lo, s3
	global_load_b128 v[94:97], v[2:3], off offset:10752
	s_wait_xcnt 0x0
	s_and_saveexec_b32 s3, vcc_lo
	s_cbranch_execz .LBB161_61
.LBB161_91:                             ;   in Loop: Header=BB161_36 Depth=1
	v_cmp_gt_i32_e64 s0, s23, v0
	v_cmp_gt_i32_e64 s1, s15, v127
	s_wait_loadcnt 0x0
	s_delay_alu instid0(VALU_DEP_2) | instskip(SKIP_1) | instid1(VALU_DEP_2)
	v_dual_lshrrev_b32 v4, 16, v94 :: v_dual_cndmask_b32 v5, 0, v94, s0
	v_cmp_gt_i32_e64 s0, s15, v126
	v_cndmask_b32_e64 v4, 0, v4, s1
	v_cmp_gt_i32_e64 s1, s23, v1
	s_delay_alu instid0(VALU_DEP_2) | instskip(NEXT) | instid1(VALU_DEP_2)
	v_perm_b32 v94, v4, v5, 0x5040100
	v_dual_lshrrev_b32 v5, 16, v95 :: v_dual_cndmask_b32 v4, 0, v95, s1
	v_cmp_gt_i32_e64 s1, s23, v11
	s_delay_alu instid0(VALU_DEP_2) | instskip(SKIP_1) | instid1(VALU_DEP_2)
	v_cndmask_b32_e64 v5, 0, v5, s0
	v_cmp_gt_i32_e64 s0, s15, v10
	v_perm_b32 v95, v5, v4, 0x5040100
	s_delay_alu instid0(VALU_DEP_4) | instskip(SKIP_1) | instid1(VALU_DEP_2)
	v_dual_cndmask_b32 v4, 0, v96, s1 :: v_dual_lshrrev_b32 v5, 16, v96
	v_cmp_gt_i32_e64 s1, s23, v13
	v_cndmask_b32_e64 v5, 0, v5, s0
	v_cmp_gt_i32_e64 s0, s15, v12
	s_delay_alu instid0(VALU_DEP_2) | instskip(NEXT) | instid1(VALU_DEP_4)
	v_perm_b32 v96, v5, v4, 0x5040100
	v_dual_cndmask_b32 v4, 0, v97, s1 :: v_dual_lshrrev_b32 v5, 16, v97
	s_delay_alu instid0(VALU_DEP_1) | instskip(NEXT) | instid1(VALU_DEP_1)
	v_cndmask_b32_e64 v5, 0, v5, s0
	v_perm_b32 v97, v5, v4, 0x5040100
	s_or_b32 exec_lo, exec_lo, s3
	global_load_b128 v[102:105], v[2:3], off offset:11264
	s_wait_xcnt 0x0
	s_and_saveexec_b32 s3, vcc_lo
	s_cbranch_execz .LBB161_62
.LBB161_92:                             ;   in Loop: Header=BB161_36 Depth=1
	v_cmp_gt_i32_e64 s0, s23, v0
	v_cmp_gt_i32_e64 s1, s15, v127
	s_wait_loadcnt 0x0
	s_delay_alu instid0(VALU_DEP_2) | instskip(SKIP_1) | instid1(VALU_DEP_2)
	v_dual_lshrrev_b32 v4, 16, v102 :: v_dual_cndmask_b32 v5, 0, v102, s0
	v_cmp_gt_i32_e64 s0, s15, v126
	v_cndmask_b32_e64 v4, 0, v4, s1
	v_cmp_gt_i32_e64 s1, s23, v1
	s_delay_alu instid0(VALU_DEP_2) | instskip(NEXT) | instid1(VALU_DEP_2)
	v_perm_b32 v102, v4, v5, 0x5040100
	v_dual_lshrrev_b32 v5, 16, v103 :: v_dual_cndmask_b32 v4, 0, v103, s1
	v_cmp_gt_i32_e64 s1, s23, v11
	s_delay_alu instid0(VALU_DEP_2) | instskip(SKIP_1) | instid1(VALU_DEP_2)
	v_cndmask_b32_e64 v5, 0, v5, s0
	v_cmp_gt_i32_e64 s0, s15, v10
	v_perm_b32 v103, v5, v4, 0x5040100
	s_delay_alu instid0(VALU_DEP_4) | instskip(SKIP_1) | instid1(VALU_DEP_2)
	v_dual_cndmask_b32 v4, 0, v104, s1 :: v_dual_lshrrev_b32 v5, 16, v104
	v_cmp_gt_i32_e64 s1, s23, v13
	v_cndmask_b32_e64 v5, 0, v5, s0
	v_cmp_gt_i32_e64 s0, s15, v12
	s_delay_alu instid0(VALU_DEP_2) | instskip(NEXT) | instid1(VALU_DEP_4)
	v_perm_b32 v104, v5, v4, 0x5040100
	v_dual_cndmask_b32 v4, 0, v105, s1 :: v_dual_lshrrev_b32 v5, 16, v105
	s_delay_alu instid0(VALU_DEP_1) | instskip(NEXT) | instid1(VALU_DEP_1)
	v_cndmask_b32_e64 v5, 0, v5, s0
	v_perm_b32 v105, v5, v4, 0x5040100
	s_or_b32 exec_lo, exec_lo, s3
	global_load_b128 v[106:109], v[2:3], off offset:11776
	s_wait_xcnt 0x0
	s_and_saveexec_b32 s3, vcc_lo
	s_cbranch_execz .LBB161_63
.LBB161_93:                             ;   in Loop: Header=BB161_36 Depth=1
	v_cmp_gt_i32_e64 s0, s23, v0
	v_cmp_gt_i32_e64 s1, s15, v127
	s_wait_loadcnt 0x0
	s_delay_alu instid0(VALU_DEP_2) | instskip(SKIP_1) | instid1(VALU_DEP_2)
	v_dual_lshrrev_b32 v4, 16, v106 :: v_dual_cndmask_b32 v5, 0, v106, s0
	v_cmp_gt_i32_e64 s0, s15, v126
	v_cndmask_b32_e64 v4, 0, v4, s1
	v_cmp_gt_i32_e64 s1, s23, v1
	s_delay_alu instid0(VALU_DEP_2) | instskip(NEXT) | instid1(VALU_DEP_2)
	v_perm_b32 v106, v4, v5, 0x5040100
	v_dual_lshrrev_b32 v5, 16, v107 :: v_dual_cndmask_b32 v4, 0, v107, s1
	v_cmp_gt_i32_e64 s1, s23, v11
	s_delay_alu instid0(VALU_DEP_2) | instskip(SKIP_1) | instid1(VALU_DEP_2)
	v_cndmask_b32_e64 v5, 0, v5, s0
	v_cmp_gt_i32_e64 s0, s15, v10
	v_perm_b32 v107, v5, v4, 0x5040100
	s_delay_alu instid0(VALU_DEP_4) | instskip(SKIP_1) | instid1(VALU_DEP_2)
	v_dual_cndmask_b32 v4, 0, v108, s1 :: v_dual_lshrrev_b32 v5, 16, v108
	v_cmp_gt_i32_e64 s1, s23, v13
	v_cndmask_b32_e64 v5, 0, v5, s0
	v_cmp_gt_i32_e64 s0, s15, v12
	s_delay_alu instid0(VALU_DEP_2) | instskip(NEXT) | instid1(VALU_DEP_4)
	v_perm_b32 v108, v5, v4, 0x5040100
	v_dual_cndmask_b32 v4, 0, v109, s1 :: v_dual_lshrrev_b32 v5, 16, v109
	s_delay_alu instid0(VALU_DEP_1) | instskip(NEXT) | instid1(VALU_DEP_1)
	v_cndmask_b32_e64 v5, 0, v5, s0
	v_perm_b32 v109, v5, v4, 0x5040100
	s_or_b32 exec_lo, exec_lo, s3
	global_load_b128 v[110:113], v[2:3], off offset:12288
	s_wait_xcnt 0x0
	s_and_saveexec_b32 s3, vcc_lo
	s_cbranch_execz .LBB161_64
.LBB161_94:                             ;   in Loop: Header=BB161_36 Depth=1
	v_cmp_gt_i32_e64 s0, s23, v0
	v_cmp_gt_i32_e64 s1, s15, v127
	s_wait_loadcnt 0x0
	s_delay_alu instid0(VALU_DEP_2) | instskip(SKIP_1) | instid1(VALU_DEP_2)
	v_dual_lshrrev_b32 v4, 16, v110 :: v_dual_cndmask_b32 v5, 0, v110, s0
	v_cmp_gt_i32_e64 s0, s15, v126
	v_cndmask_b32_e64 v4, 0, v4, s1
	v_cmp_gt_i32_e64 s1, s23, v1
	s_delay_alu instid0(VALU_DEP_2) | instskip(NEXT) | instid1(VALU_DEP_2)
	v_perm_b32 v110, v4, v5, 0x5040100
	v_dual_lshrrev_b32 v5, 16, v111 :: v_dual_cndmask_b32 v4, 0, v111, s1
	v_cmp_gt_i32_e64 s1, s23, v11
	s_delay_alu instid0(VALU_DEP_2) | instskip(SKIP_1) | instid1(VALU_DEP_2)
	v_cndmask_b32_e64 v5, 0, v5, s0
	v_cmp_gt_i32_e64 s0, s15, v10
	v_perm_b32 v111, v5, v4, 0x5040100
	s_delay_alu instid0(VALU_DEP_4) | instskip(SKIP_1) | instid1(VALU_DEP_2)
	v_dual_cndmask_b32 v4, 0, v112, s1 :: v_dual_lshrrev_b32 v5, 16, v112
	v_cmp_gt_i32_e64 s1, s23, v13
	v_cndmask_b32_e64 v5, 0, v5, s0
	v_cmp_gt_i32_e64 s0, s15, v12
	s_delay_alu instid0(VALU_DEP_2) | instskip(NEXT) | instid1(VALU_DEP_4)
	v_perm_b32 v112, v5, v4, 0x5040100
	v_dual_cndmask_b32 v4, 0, v113, s1 :: v_dual_lshrrev_b32 v5, 16, v113
	s_delay_alu instid0(VALU_DEP_1) | instskip(NEXT) | instid1(VALU_DEP_1)
	v_cndmask_b32_e64 v5, 0, v5, s0
	v_perm_b32 v113, v5, v4, 0x5040100
	s_or_b32 exec_lo, exec_lo, s3
	global_load_b128 v[114:117], v[2:3], off offset:12800
	s_wait_xcnt 0x0
	s_and_saveexec_b32 s3, vcc_lo
	s_cbranch_execz .LBB161_65
.LBB161_95:                             ;   in Loop: Header=BB161_36 Depth=1
	v_cmp_gt_i32_e64 s0, s23, v0
	v_cmp_gt_i32_e64 s1, s15, v127
	s_wait_loadcnt 0x0
	s_delay_alu instid0(VALU_DEP_2) | instskip(SKIP_1) | instid1(VALU_DEP_2)
	v_dual_lshrrev_b32 v4, 16, v114 :: v_dual_cndmask_b32 v5, 0, v114, s0
	v_cmp_gt_i32_e64 s0, s15, v126
	v_cndmask_b32_e64 v4, 0, v4, s1
	v_cmp_gt_i32_e64 s1, s23, v1
	s_delay_alu instid0(VALU_DEP_2) | instskip(NEXT) | instid1(VALU_DEP_2)
	v_perm_b32 v114, v4, v5, 0x5040100
	v_dual_lshrrev_b32 v5, 16, v115 :: v_dual_cndmask_b32 v4, 0, v115, s1
	v_cmp_gt_i32_e64 s1, s23, v11
	s_delay_alu instid0(VALU_DEP_2) | instskip(SKIP_1) | instid1(VALU_DEP_2)
	v_cndmask_b32_e64 v5, 0, v5, s0
	v_cmp_gt_i32_e64 s0, s15, v10
	v_perm_b32 v115, v5, v4, 0x5040100
	s_delay_alu instid0(VALU_DEP_4) | instskip(SKIP_1) | instid1(VALU_DEP_2)
	v_dual_cndmask_b32 v4, 0, v116, s1 :: v_dual_lshrrev_b32 v5, 16, v116
	v_cmp_gt_i32_e64 s1, s23, v13
	v_cndmask_b32_e64 v5, 0, v5, s0
	v_cmp_gt_i32_e64 s0, s15, v12
	s_delay_alu instid0(VALU_DEP_2) | instskip(NEXT) | instid1(VALU_DEP_4)
	v_perm_b32 v116, v5, v4, 0x5040100
	v_dual_cndmask_b32 v4, 0, v117, s1 :: v_dual_lshrrev_b32 v5, 16, v117
	s_delay_alu instid0(VALU_DEP_1) | instskip(NEXT) | instid1(VALU_DEP_1)
	v_cndmask_b32_e64 v5, 0, v5, s0
	v_perm_b32 v117, v5, v4, 0x5040100
	s_or_b32 exec_lo, exec_lo, s3
	global_load_b128 v[118:121], v[2:3], off offset:13312
	s_wait_xcnt 0x0
	s_and_saveexec_b32 s3, vcc_lo
	s_cbranch_execz .LBB161_66
.LBB161_96:                             ;   in Loop: Header=BB161_36 Depth=1
	v_cmp_gt_i32_e64 s0, s23, v0
	v_cmp_gt_i32_e64 s1, s15, v127
	s_wait_loadcnt 0x0
	s_delay_alu instid0(VALU_DEP_2) | instskip(SKIP_1) | instid1(VALU_DEP_2)
	v_dual_lshrrev_b32 v4, 16, v118 :: v_dual_cndmask_b32 v5, 0, v118, s0
	v_cmp_gt_i32_e64 s0, s15, v126
	v_cndmask_b32_e64 v4, 0, v4, s1
	v_cmp_gt_i32_e64 s1, s23, v1
	s_delay_alu instid0(VALU_DEP_2) | instskip(NEXT) | instid1(VALU_DEP_2)
	v_perm_b32 v118, v4, v5, 0x5040100
	v_dual_lshrrev_b32 v5, 16, v119 :: v_dual_cndmask_b32 v4, 0, v119, s1
	v_cmp_gt_i32_e64 s1, s23, v11
	s_delay_alu instid0(VALU_DEP_2) | instskip(SKIP_1) | instid1(VALU_DEP_2)
	v_cndmask_b32_e64 v5, 0, v5, s0
	v_cmp_gt_i32_e64 s0, s15, v10
	v_perm_b32 v119, v5, v4, 0x5040100
	s_delay_alu instid0(VALU_DEP_4) | instskip(SKIP_1) | instid1(VALU_DEP_2)
	v_dual_cndmask_b32 v4, 0, v120, s1 :: v_dual_lshrrev_b32 v5, 16, v120
	v_cmp_gt_i32_e64 s1, s23, v13
	v_cndmask_b32_e64 v5, 0, v5, s0
	v_cmp_gt_i32_e64 s0, s15, v12
	s_delay_alu instid0(VALU_DEP_2) | instskip(NEXT) | instid1(VALU_DEP_4)
	v_perm_b32 v120, v5, v4, 0x5040100
	v_dual_cndmask_b32 v4, 0, v121, s1 :: v_dual_lshrrev_b32 v5, 16, v121
	s_delay_alu instid0(VALU_DEP_1) | instskip(NEXT) | instid1(VALU_DEP_1)
	v_cndmask_b32_e64 v5, 0, v5, s0
	v_perm_b32 v121, v5, v4, 0x5040100
	s_or_b32 exec_lo, exec_lo, s3
	global_load_b128 v[122:125], v[2:3], off offset:13824
	s_wait_xcnt 0x0
	s_and_saveexec_b32 s3, vcc_lo
	s_cbranch_execz .LBB161_67
.LBB161_97:                             ;   in Loop: Header=BB161_36 Depth=1
	v_cmp_gt_i32_e64 s0, s23, v0
	v_cmp_gt_i32_e64 s1, s15, v127
	s_wait_loadcnt 0x0
	s_delay_alu instid0(VALU_DEP_2) | instskip(SKIP_1) | instid1(VALU_DEP_2)
	v_dual_lshrrev_b32 v4, 16, v122 :: v_dual_cndmask_b32 v5, 0, v122, s0
	v_cmp_gt_i32_e64 s0, s15, v126
	v_cndmask_b32_e64 v4, 0, v4, s1
	v_cmp_gt_i32_e64 s1, s23, v1
	s_delay_alu instid0(VALU_DEP_2) | instskip(NEXT) | instid1(VALU_DEP_2)
	v_perm_b32 v122, v4, v5, 0x5040100
	v_dual_lshrrev_b32 v5, 16, v123 :: v_dual_cndmask_b32 v4, 0, v123, s1
	v_cmp_gt_i32_e64 s1, s23, v11
	s_delay_alu instid0(VALU_DEP_2) | instskip(SKIP_1) | instid1(VALU_DEP_2)
	v_cndmask_b32_e64 v5, 0, v5, s0
	v_cmp_gt_i32_e64 s0, s15, v10
	v_perm_b32 v123, v5, v4, 0x5040100
	s_delay_alu instid0(VALU_DEP_4) | instskip(SKIP_1) | instid1(VALU_DEP_2)
	v_dual_cndmask_b32 v4, 0, v124, s1 :: v_dual_lshrrev_b32 v5, 16, v124
	v_cmp_gt_i32_e64 s1, s23, v13
	v_cndmask_b32_e64 v5, 0, v5, s0
	v_cmp_gt_i32_e64 s0, s15, v12
	s_delay_alu instid0(VALU_DEP_2) | instskip(NEXT) | instid1(VALU_DEP_4)
	v_perm_b32 v124, v5, v4, 0x5040100
	v_dual_cndmask_b32 v4, 0, v125, s1 :: v_dual_lshrrev_b32 v5, 16, v125
	s_delay_alu instid0(VALU_DEP_1) | instskip(NEXT) | instid1(VALU_DEP_1)
	v_cndmask_b32_e64 v5, 0, v5, s0
	v_perm_b32 v125, v5, v4, 0x5040100
	s_or_b32 exec_lo, exec_lo, s3
	global_load_b128 v[62:65], v[2:3], off offset:14336
	s_wait_xcnt 0x0
	s_and_saveexec_b32 s3, vcc_lo
	s_cbranch_execz .LBB161_68
.LBB161_98:                             ;   in Loop: Header=BB161_36 Depth=1
	v_cmp_gt_i32_e64 s0, s23, v0
	v_cmp_gt_i32_e64 s1, s15, v127
	s_wait_loadcnt 0x0
	s_delay_alu instid0(VALU_DEP_2) | instskip(SKIP_1) | instid1(VALU_DEP_2)
	v_dual_lshrrev_b32 v4, 16, v62 :: v_dual_cndmask_b32 v5, 0, v62, s0
	v_cmp_gt_i32_e64 s0, s15, v126
	v_cndmask_b32_e64 v4, 0, v4, s1
	v_cmp_gt_i32_e64 s1, s23, v1
	s_delay_alu instid0(VALU_DEP_2) | instskip(NEXT) | instid1(VALU_DEP_2)
	v_perm_b32 v62, v4, v5, 0x5040100
	v_dual_lshrrev_b32 v5, 16, v63 :: v_dual_cndmask_b32 v4, 0, v63, s1
	v_cmp_gt_i32_e64 s1, s23, v11
	s_delay_alu instid0(VALU_DEP_2) | instskip(SKIP_1) | instid1(VALU_DEP_2)
	v_cndmask_b32_e64 v5, 0, v5, s0
	v_cmp_gt_i32_e64 s0, s15, v10
	v_perm_b32 v63, v5, v4, 0x5040100
	s_delay_alu instid0(VALU_DEP_4) | instskip(SKIP_1) | instid1(VALU_DEP_2)
	v_dual_cndmask_b32 v4, 0, v64, s1 :: v_dual_lshrrev_b32 v5, 16, v64
	v_cmp_gt_i32_e64 s1, s23, v13
	v_cndmask_b32_e64 v5, 0, v5, s0
	v_cmp_gt_i32_e64 s0, s15, v12
	s_delay_alu instid0(VALU_DEP_2) | instskip(NEXT) | instid1(VALU_DEP_4)
	v_perm_b32 v64, v5, v4, 0x5040100
	v_dual_cndmask_b32 v4, 0, v65, s1 :: v_dual_lshrrev_b32 v5, 16, v65
	s_delay_alu instid0(VALU_DEP_1) | instskip(NEXT) | instid1(VALU_DEP_1)
	v_cndmask_b32_e64 v5, 0, v5, s0
	v_perm_b32 v65, v5, v4, 0x5040100
	s_or_b32 exec_lo, exec_lo, s3
	global_load_b128 v[66:69], v[2:3], off offset:14848
	s_wait_xcnt 0x0
	s_and_saveexec_b32 s3, vcc_lo
	s_cbranch_execz .LBB161_69
.LBB161_99:                             ;   in Loop: Header=BB161_36 Depth=1
	v_cmp_gt_i32_e64 s0, s23, v0
	v_cmp_gt_i32_e64 s1, s15, v127
	s_wait_loadcnt 0x0
	s_delay_alu instid0(VALU_DEP_2) | instskip(SKIP_1) | instid1(VALU_DEP_2)
	v_dual_lshrrev_b32 v4, 16, v66 :: v_dual_cndmask_b32 v5, 0, v66, s0
	v_cmp_gt_i32_e64 s0, s15, v126
	v_cndmask_b32_e64 v4, 0, v4, s1
	v_cmp_gt_i32_e64 s1, s23, v1
	s_delay_alu instid0(VALU_DEP_2) | instskip(NEXT) | instid1(VALU_DEP_2)
	v_perm_b32 v66, v4, v5, 0x5040100
	v_dual_lshrrev_b32 v5, 16, v67 :: v_dual_cndmask_b32 v4, 0, v67, s1
	v_cmp_gt_i32_e64 s1, s23, v11
	s_delay_alu instid0(VALU_DEP_2) | instskip(SKIP_1) | instid1(VALU_DEP_2)
	v_cndmask_b32_e64 v5, 0, v5, s0
	v_cmp_gt_i32_e64 s0, s15, v10
	v_perm_b32 v67, v5, v4, 0x5040100
	s_delay_alu instid0(VALU_DEP_4) | instskip(SKIP_1) | instid1(VALU_DEP_2)
	v_dual_cndmask_b32 v4, 0, v68, s1 :: v_dual_lshrrev_b32 v5, 16, v68
	v_cmp_gt_i32_e64 s1, s23, v13
	v_cndmask_b32_e64 v5, 0, v5, s0
	v_cmp_gt_i32_e64 s0, s15, v12
	s_delay_alu instid0(VALU_DEP_2) | instskip(NEXT) | instid1(VALU_DEP_4)
	v_perm_b32 v68, v5, v4, 0x5040100
	v_dual_cndmask_b32 v4, 0, v69, s1 :: v_dual_lshrrev_b32 v5, 16, v69
	s_delay_alu instid0(VALU_DEP_1) | instskip(NEXT) | instid1(VALU_DEP_1)
	v_cndmask_b32_e64 v5, 0, v5, s0
	v_perm_b32 v69, v5, v4, 0x5040100
	s_or_b32 exec_lo, exec_lo, s3
	global_load_b128 v[2:5], v[2:3], off offset:15360
	s_wait_xcnt 0x0
	s_and_saveexec_b32 s3, vcc_lo
	s_cbranch_execnz .LBB161_70
	s_branch .LBB161_71
.LBB161_100:
	s_or_b32 exec_lo, exec_lo, s14
	s_clause 0xc
	scratch_load_b64 v[64:65], off, off offset:56
	scratch_load_b64 v[66:67], off, off offset:64
	;; [unrolled: 1-line block ×13, first 2 shown]
.LBB161_101:
	s_wait_xcnt 0x0
	s_or_b32 exec_lo, exec_lo, s25
	s_clause 0x1
	scratch_load_b32 v50, off, off offset:256 th:TH_LOAD_LU
	scratch_load_b32 v70, off, off offset:248 th:TH_LOAD_LU
	s_mov_b32 s0, exec_lo
	s_wait_loadcnt 0x1
	ds_bpermute_b32 v4, v50, v26
	ds_bpermute_b32 v5, v50, v27
	;; [unrolled: 1-line block ×21, first 2 shown]
	s_wait_dscnt 0x13
	v_pk_add_f32 v[4:5], v[26:27], v[4:5]
	ds_bpermute_b32 v26, v50, v48
	ds_bpermute_b32 v27, v50, v49
	s_wait_dscnt 0x13
	v_pk_add_f32 v[10:11], v[24:25], v[10:11]
	ds_bpermute_b32 v24, v50, v46
	ds_bpermute_b32 v25, v50, v47
	s_wait_dscnt 0x13
	v_pk_add_f32 v[16:17], v[16:17], v[0:1]
	s_wait_dscnt 0x11
	v_pk_add_f32 v[18:19], v[18:19], v[2:3]
	s_wait_dscnt 0xf
	v_pk_add_f32 v[0:1], v[22:23], v[6:7]
	ds_bpermute_b32 v43, v50, v65
	s_wait_dscnt 0xe
	v_pk_add_f32 v[2:3], v[20:21], v[8:9]
	s_wait_dscnt 0xc
	v_pk_add_f32 v[56:57], v[56:57], v[30:31]
	;; [unrolled: 2-line block ×3, first 2 shown]
	ds_bpermute_b32 v28, v50, v52
	ds_bpermute_b32 v29, v50, v53
	s_wait_dscnt 0xa
	v_pk_add_f32 v[14:15], v[32:33], v[14:15]
	ds_bpermute_b32 v32, v50, v60
	ds_bpermute_b32 v33, v50, v61
	s_wait_dscnt 0xa
	v_pk_add_f32 v[40:41], v[66:67], v[40:41]
	s_wait_dscnt 0x7
	v_pk_add_f32 v[48:49], v[48:49], v[26:27]
	scratch_load_b64 v[26:27], off, off offset:48 th:TH_LOAD_LU ; 8-byte Folded Reload
	s_wait_loadcnt 0x1
	ds_bpermute_b32 v20, v70, v4
	ds_bpermute_b32 v21, v70, v5
	;; [unrolled: 1-line block ×6, first 2 shown]
	s_wait_dscnt 0xb
	v_pk_add_f32 v[46:47], v[46:47], v[24:25]
	s_wait_dscnt 0xa
	v_pk_add_f32 v[42:43], v[64:65], v[42:43]
	ds_bpermute_b32 v6, v70, v16
	ds_bpermute_b32 v7, v70, v17
	;; [unrolled: 1-line block ×4, first 2 shown]
	s_wait_dscnt 0xc
	v_pk_add_f32 v[52:53], v[52:53], v[28:29]
	ds_bpermute_b32 v36, v70, v10
	ds_bpermute_b32 v37, v70, v11
	s_wait_dscnt 0xc
	v_pk_add_f32 v[60:61], v[60:61], v[32:33]
	ds_bpermute_b32 v38, v70, v12
	ds_bpermute_b32 v39, v70, v13
	ds_bpermute_b32 v44, v70, v14
	ds_bpermute_b32 v45, v70, v15
	ds_bpermute_b32 v51, v70, v47
	ds_bpermute_b32 v54, v70, v48
	ds_bpermute_b32 v55, v70, v49
	s_wait_dscnt 0xf
	v_pk_add_f32 v[22:23], v[0:1], v[22:23]
	scratch_load_b32 v0, off, off offset:856 ; 4-byte Folded Reload
	ds_bpermute_b32 v58, v70, v52
	ds_bpermute_b32 v59, v70, v53
	;; [unrolled: 1-line block ×10, first 2 shown]
	s_wait_dscnt 0x15
	v_pk_add_f32 v[28:29], v[16:17], v[6:7]
	s_wait_dscnt 0xf
	v_pk_add_f32 v[16:17], v[12:13], v[38:39]
	;; [unrolled: 2-line block ×4, first 2 shown]
	s_wait_loadcnt 0x1
	ds_bpermute_b32 v24, v50, v26
	ds_bpermute_b32 v25, v50, v27
	;; [unrolled: 1-line block ×3, first 2 shown]
	s_wait_dscnt 0x1
	v_pk_add_f32 v[30:31], v[26:27], v[24:25]
	v_pk_add_f32 v[24:25], v[4:5], v[20:21]
	;; [unrolled: 1-line block ×3, first 2 shown]
	scratch_load_b32 v34, off, off offset:860 ; 4-byte Folded Reload
	v_pk_add_f32 v[26:27], v[18:19], v[8:9]
	ds_bpermute_b32 v32, v70, v30
	ds_bpermute_b32 v33, v70, v31
	v_pk_add_f32 v[18:19], v[10:11], v[36:37]
	s_wait_dscnt 0x2
	v_pk_add_f32 v[12:13], v[46:47], v[50:51]
	v_pk_add_f32 v[10:11], v[48:49], v[54:55]
	;; [unrolled: 1-line block ×3, first 2 shown]
	s_wait_loadcnt 0x1
	v_and_b32_e32 v35, 0x3c3, v0
	v_pk_add_f32 v[4:5], v[60:61], v[64:65]
	v_pk_add_f32 v[2:3], v[40:41], v[66:67]
	;; [unrolled: 1-line block ×3, first 2 shown]
	s_wait_storecnt 0x0
	s_wait_loadcnt_dscnt 0x0
	s_barrier_signal -1
	s_barrier_wait -1
	v_and_b32_e32 v34, 28, v34
	v_cmpx_ne_u32_e32 64, v35
	s_xor_b32 s0, exec_lo, s0
	s_delay_alu instid0(SALU_CYCLE_1)
	s_or_saveexec_b32 s0, s0
	v_pk_add_f32 v[30:31], v[30:31], v[32:33]
	scratch_load_b32 v32, off, off offset:860 th:TH_LOAD_LU ; 4-byte Folded Reload
	v_add_nc_u32_e32 v33, 0x220, v34
	scratch_load_b32 v34, off, off offset:864 th:TH_LOAD_LU ; 4-byte Folded Reload
	s_wait_loadcnt 0x0
	v_dual_lshrrev_b32 v32, 2, v32 :: v_dual_lshlrev_b32 v34, 10, v34
	s_xor_b32 exec_lo, exec_lo, s0
	s_cbranch_execz .LBB161_103
; %bb.102:
	s_delay_alu instid0(VALU_DEP_1) | instskip(NEXT) | instid1(VALU_DEP_1)
	v_add_nc_u32_e32 v35, v33, v34
	v_add_nc_u32_e32 v36, 0xfffff800, v35
	;; [unrolled: 1-line block ×9, first 2 shown]
	ds_store_b32 v36, v28
	ds_store_b32 v37, v29
	ds_store_b32 v38, v26
	ds_store_b32 v39, v27
	ds_store_b32 v40, v24
	ds_store_b32 v41, v25
	ds_store_b32 v42, v22
	ds_store_b32 v43, v23
	v_add_nc_u32_e32 v36, 0xfffff900, v35
	v_add_nc_u32_e32 v37, 0xfffff920, v35
	v_add_nc_u32_e32 v38, 0xfffff940, v35
	v_add_nc_u32_e32 v39, 0xfffff960, v35
	v_add_nc_u32_e32 v40, 0xfffff980, v35
	v_add_nc_u32_e32 v41, 0xfffff9a0, v35
	v_add_nc_u32_e32 v42, 0xfffff9c0, v35
	v_add_nc_u32_e32 v43, 0xfffff9e0, v35
	ds_store_b32 v36, v20
	ds_store_b32 v37, v21
	ds_store_b32 v38, v18
	ds_store_b32 v39, v19
	ds_store_b32 v40, v16
	ds_store_b32 v41, v17
	ds_store_b32 v42, v14
	ds_store_b32 v43, v15
	v_add_nc_u32_e32 v36, 0xfffffa00, v35
	v_add_nc_u32_e32 v37, 0xfffffa20, v35
	v_add_nc_u32_e32 v38, 0xfffffa40, v35
	v_add_nc_u32_e32 v39, 0xfffffa60, v35
	v_add_nc_u32_e32 v40, 0xfffffa80, v35
	v_add_nc_u32_e32 v41, 0xfffffaa0, v35
	v_add_nc_u32_e32 v42, 0xfffffac0, v35
	v_add_nc_u32_e32 v43, 0xfffffae0, v35
	ds_store_b32 v36, v12
	ds_store_b32 v37, v13
	ds_store_b32 v38, v10
	ds_store_b32 v39, v11
	ds_store_b32 v40, v8
	ds_store_b32 v41, v9
	ds_store_b32 v42, v6
	ds_store_b32 v43, v7
	v_add_nc_u32_e32 v36, 0xfffffb00, v35
	v_add_nc_u32_e32 v37, 0xfffffb20, v35
	v_add_nc_u32_e32 v38, 0xfffffb40, v35
	v_add_nc_u32_e32 v39, 0xfffffb60, v35
	v_add_nc_u32_e32 v40, 0xfffffb80, v35
	v_add_nc_u32_e32 v41, 0xfffffba0, v35
	v_add_nc_u32_e32 v42, 0xfffffbc0, v35
	v_add_nc_u32_e32 v35, 0xfffffbe0, v35
	ds_store_b32 v36, v4
	ds_store_b32 v37, v5
	;; [unrolled: 1-line block ×8, first 2 shown]
.LBB161_103:
	s_or_b32 exec_lo, exec_lo, s0
	s_delay_alu instid0(VALU_DEP_1)
	v_lshlrev_b32_e32 v32, 2, v32
	scratch_load_b32 v35, off, off offset:264 th:TH_LOAD_LU ; 4-byte Folded Reload
	s_mov_b32 s1, exec_lo
	v_add3_u32 v32, 0x220, v34, v32
	scratch_load_b32 v34, off, off offset:856 ; 4-byte Folded Reload
	s_wait_loadcnt_dscnt 0x0
	s_barrier_signal -1
	s_barrier_wait -1
	v_cmp_eq_u32_e32 vcc_lo, 0, v35
	v_cmpx_gt_u32_e32 64, v34
	s_cbranch_execz .LBB161_138
; %bb.104:
	s_and_saveexec_b32 s0, vcc_lo
	s_cbranch_execnz .LBB161_178
; %bb.105:
	s_or_b32 exec_lo, exec_lo, s0
	s_and_saveexec_b32 s0, vcc_lo
	s_cbranch_execnz .LBB161_179
.LBB161_106:
	s_or_b32 exec_lo, exec_lo, s0
	s_and_saveexec_b32 s0, vcc_lo
	s_cbranch_execnz .LBB161_180
.LBB161_107:
	s_or_b32 exec_lo, exec_lo, s0
	s_and_saveexec_b32 s0, vcc_lo
	s_cbranch_execnz .LBB161_181
.LBB161_108:
	s_or_b32 exec_lo, exec_lo, s0
	s_and_saveexec_b32 s0, vcc_lo
	s_cbranch_execnz .LBB161_182
.LBB161_109:
	s_or_b32 exec_lo, exec_lo, s0
	s_and_saveexec_b32 s0, vcc_lo
	s_cbranch_execnz .LBB161_183
.LBB161_110:
	s_or_b32 exec_lo, exec_lo, s0
	s_and_saveexec_b32 s0, vcc_lo
	s_cbranch_execnz .LBB161_184
.LBB161_111:
	s_or_b32 exec_lo, exec_lo, s0
	s_and_saveexec_b32 s0, vcc_lo
	s_cbranch_execnz .LBB161_185
.LBB161_112:
	s_or_b32 exec_lo, exec_lo, s0
	s_and_saveexec_b32 s0, vcc_lo
	s_cbranch_execnz .LBB161_186
.LBB161_113:
	s_or_b32 exec_lo, exec_lo, s0
	s_and_saveexec_b32 s0, vcc_lo
	s_cbranch_execnz .LBB161_187
.LBB161_114:
	s_or_b32 exec_lo, exec_lo, s0
	s_and_saveexec_b32 s0, vcc_lo
	s_cbranch_execnz .LBB161_188
.LBB161_115:
	s_or_b32 exec_lo, exec_lo, s0
	s_and_saveexec_b32 s0, vcc_lo
	s_cbranch_execnz .LBB161_189
.LBB161_116:
	s_or_b32 exec_lo, exec_lo, s0
	s_and_saveexec_b32 s0, vcc_lo
	s_cbranch_execnz .LBB161_190
.LBB161_117:
	s_or_b32 exec_lo, exec_lo, s0
	s_and_saveexec_b32 s0, vcc_lo
	s_cbranch_execnz .LBB161_191
.LBB161_118:
	s_or_b32 exec_lo, exec_lo, s0
	s_and_saveexec_b32 s0, vcc_lo
	s_cbranch_execnz .LBB161_192
.LBB161_119:
	s_or_b32 exec_lo, exec_lo, s0
	s_and_saveexec_b32 s0, vcc_lo
	s_cbranch_execnz .LBB161_193
.LBB161_120:
	s_or_b32 exec_lo, exec_lo, s0
	s_and_saveexec_b32 s0, vcc_lo
	s_cbranch_execnz .LBB161_194
.LBB161_121:
	s_or_b32 exec_lo, exec_lo, s0
	s_and_saveexec_b32 s0, vcc_lo
	s_cbranch_execnz .LBB161_195
.LBB161_122:
	s_or_b32 exec_lo, exec_lo, s0
	s_and_saveexec_b32 s0, vcc_lo
	s_cbranch_execnz .LBB161_196
.LBB161_123:
	s_or_b32 exec_lo, exec_lo, s0
	s_and_saveexec_b32 s0, vcc_lo
	s_cbranch_execnz .LBB161_197
.LBB161_124:
	s_or_b32 exec_lo, exec_lo, s0
	s_and_saveexec_b32 s0, vcc_lo
	s_cbranch_execnz .LBB161_198
.LBB161_125:
	s_or_b32 exec_lo, exec_lo, s0
	s_and_saveexec_b32 s0, vcc_lo
	s_cbranch_execnz .LBB161_199
.LBB161_126:
	s_or_b32 exec_lo, exec_lo, s0
	s_and_saveexec_b32 s0, vcc_lo
	s_cbranch_execnz .LBB161_200
.LBB161_127:
	s_or_b32 exec_lo, exec_lo, s0
	s_and_saveexec_b32 s0, vcc_lo
	s_cbranch_execnz .LBB161_201
.LBB161_128:
	s_or_b32 exec_lo, exec_lo, s0
	s_and_saveexec_b32 s0, vcc_lo
	s_cbranch_execnz .LBB161_202
.LBB161_129:
	s_or_b32 exec_lo, exec_lo, s0
	s_and_saveexec_b32 s0, vcc_lo
	s_cbranch_execnz .LBB161_203
.LBB161_130:
	s_or_b32 exec_lo, exec_lo, s0
	s_and_saveexec_b32 s0, vcc_lo
	s_cbranch_execnz .LBB161_204
.LBB161_131:
	s_or_b32 exec_lo, exec_lo, s0
	s_and_saveexec_b32 s0, vcc_lo
	s_cbranch_execnz .LBB161_205
.LBB161_132:
	s_or_b32 exec_lo, exec_lo, s0
	s_and_saveexec_b32 s0, vcc_lo
	s_cbranch_execnz .LBB161_206
.LBB161_133:
	s_or_b32 exec_lo, exec_lo, s0
	s_and_saveexec_b32 s0, vcc_lo
	s_cbranch_execnz .LBB161_207
.LBB161_134:
	s_or_b32 exec_lo, exec_lo, s0
	s_and_saveexec_b32 s0, vcc_lo
	s_cbranch_execnz .LBB161_208
.LBB161_135:
	s_or_b32 exec_lo, exec_lo, s0
	s_and_saveexec_b32 s0, vcc_lo
	s_cbranch_execz .LBB161_137
.LBB161_136:
	ds_load_b32 v34, v32 offset:992
	s_wait_dscnt 0x0
	v_add_f32_e32 v31, v31, v34
.LBB161_137:
	s_or_b32 exec_lo, exec_lo, s0
.LBB161_138:
	s_delay_alu instid0(SALU_CYCLE_1)
	s_or_b32 exec_lo, exec_lo, s1
	scratch_load_b32 v34, off, off offset:856 ; 4-byte Folded Reload
	s_mov_b32 s1, exec_lo
	s_wait_loadcnt 0x0
	s_barrier_signal -1
	s_barrier_wait -1
	v_and_b32_e32 v34, 0x3e3, v34
	s_wait_xcnt 0x0
	s_delay_alu instid0(VALU_DEP_1)
	v_cmpx_eq_u32_e32 32, v34
	s_cbranch_execz .LBB161_140
; %bb.139:
	ds_store_2addr_b32 v33, v28, v29 offset1:8
	ds_store_2addr_b32 v33, v26, v27 offset0:16 offset1:24
	ds_store_2addr_b32 v33, v24, v25 offset0:32 offset1:40
	;; [unrolled: 1-line block ×15, first 2 shown]
.LBB161_140:
	s_or_b32 exec_lo, exec_lo, s1
	s_wait_dscnt 0x0
	s_barrier_signal -1
	s_barrier_wait -1
	s_and_saveexec_b32 s0, s2
	s_cbranch_execz .LBB161_175
; %bb.141:
	s_and_saveexec_b32 s1, vcc_lo
	s_cbranch_execnz .LBB161_209
; %bb.142:
	s_or_b32 exec_lo, exec_lo, s1
	s_and_saveexec_b32 s1, vcc_lo
	s_cbranch_execnz .LBB161_210
.LBB161_143:
	s_or_b32 exec_lo, exec_lo, s1
	s_and_saveexec_b32 s1, vcc_lo
	s_cbranch_execnz .LBB161_211
.LBB161_144:
	s_or_b32 exec_lo, exec_lo, s1
	s_and_saveexec_b32 s1, vcc_lo
	s_cbranch_execnz .LBB161_212
.LBB161_145:
	s_or_b32 exec_lo, exec_lo, s1
	s_and_saveexec_b32 s1, vcc_lo
	s_cbranch_execnz .LBB161_213
.LBB161_146:
	s_or_b32 exec_lo, exec_lo, s1
	s_and_saveexec_b32 s1, vcc_lo
	s_cbranch_execnz .LBB161_214
.LBB161_147:
	s_or_b32 exec_lo, exec_lo, s1
	s_and_saveexec_b32 s1, vcc_lo
	s_cbranch_execnz .LBB161_215
.LBB161_148:
	s_or_b32 exec_lo, exec_lo, s1
	s_and_saveexec_b32 s1, vcc_lo
	s_cbranch_execnz .LBB161_216
.LBB161_149:
	s_or_b32 exec_lo, exec_lo, s1
	s_and_saveexec_b32 s1, vcc_lo
	s_cbranch_execnz .LBB161_217
.LBB161_150:
	s_or_b32 exec_lo, exec_lo, s1
	s_and_saveexec_b32 s1, vcc_lo
	s_cbranch_execnz .LBB161_218
.LBB161_151:
	s_or_b32 exec_lo, exec_lo, s1
	s_and_saveexec_b32 s1, vcc_lo
	s_cbranch_execnz .LBB161_219
.LBB161_152:
	s_or_b32 exec_lo, exec_lo, s1
	s_and_saveexec_b32 s1, vcc_lo
	s_cbranch_execnz .LBB161_220
.LBB161_153:
	s_or_b32 exec_lo, exec_lo, s1
	s_and_saveexec_b32 s1, vcc_lo
	s_cbranch_execnz .LBB161_221
.LBB161_154:
	s_or_b32 exec_lo, exec_lo, s1
	s_and_saveexec_b32 s1, vcc_lo
	s_cbranch_execnz .LBB161_222
.LBB161_155:
	s_or_b32 exec_lo, exec_lo, s1
	s_and_saveexec_b32 s1, vcc_lo
	s_cbranch_execnz .LBB161_223
.LBB161_156:
	s_or_b32 exec_lo, exec_lo, s1
	s_and_saveexec_b32 s1, vcc_lo
	s_cbranch_execnz .LBB161_224
.LBB161_157:
	s_or_b32 exec_lo, exec_lo, s1
	s_and_saveexec_b32 s1, vcc_lo
	s_cbranch_execnz .LBB161_225
.LBB161_158:
	s_or_b32 exec_lo, exec_lo, s1
	s_and_saveexec_b32 s1, vcc_lo
	s_cbranch_execnz .LBB161_226
.LBB161_159:
	s_or_b32 exec_lo, exec_lo, s1
	s_and_saveexec_b32 s1, vcc_lo
	s_cbranch_execnz .LBB161_227
.LBB161_160:
	s_or_b32 exec_lo, exec_lo, s1
	s_and_saveexec_b32 s1, vcc_lo
	s_cbranch_execnz .LBB161_228
.LBB161_161:
	s_or_b32 exec_lo, exec_lo, s1
	s_and_saveexec_b32 s1, vcc_lo
	s_cbranch_execnz .LBB161_229
.LBB161_162:
	s_or_b32 exec_lo, exec_lo, s1
	s_and_saveexec_b32 s1, vcc_lo
	s_cbranch_execnz .LBB161_230
.LBB161_163:
	s_or_b32 exec_lo, exec_lo, s1
	s_and_saveexec_b32 s1, vcc_lo
	s_cbranch_execnz .LBB161_231
.LBB161_164:
	s_or_b32 exec_lo, exec_lo, s1
	s_and_saveexec_b32 s1, vcc_lo
	s_cbranch_execnz .LBB161_232
.LBB161_165:
	s_or_b32 exec_lo, exec_lo, s1
	s_and_saveexec_b32 s1, vcc_lo
	s_cbranch_execnz .LBB161_233
.LBB161_166:
	s_or_b32 exec_lo, exec_lo, s1
	s_and_saveexec_b32 s1, vcc_lo
	s_cbranch_execnz .LBB161_234
.LBB161_167:
	s_or_b32 exec_lo, exec_lo, s1
	s_and_saveexec_b32 s1, vcc_lo
	s_cbranch_execnz .LBB161_235
.LBB161_168:
	s_or_b32 exec_lo, exec_lo, s1
	s_and_saveexec_b32 s1, vcc_lo
	s_cbranch_execnz .LBB161_236
.LBB161_169:
	s_or_b32 exec_lo, exec_lo, s1
	s_and_saveexec_b32 s1, vcc_lo
	s_cbranch_execnz .LBB161_237
.LBB161_170:
	s_or_b32 exec_lo, exec_lo, s1
	s_and_saveexec_b32 s1, vcc_lo
	s_cbranch_execnz .LBB161_238
.LBB161_171:
	s_or_b32 exec_lo, exec_lo, s1
	s_and_saveexec_b32 s1, vcc_lo
	s_cbranch_execnz .LBB161_239
.LBB161_172:
	s_or_b32 exec_lo, exec_lo, s1
	s_and_saveexec_b32 s1, vcc_lo
	s_cbranch_execz .LBB161_174
.LBB161_173:
	ds_load_b32 v32, v32 offset:992
	s_wait_dscnt 0x0
	v_add_f32_e32 v31, v31, v32
.LBB161_174:
	s_or_b32 exec_lo, exec_lo, s1
.LBB161_175:
	s_delay_alu instid0(SALU_CYCLE_1)
	s_or_b32 exec_lo, exec_lo, s0
	s_mov_b32 s1, 0
	s_barrier_signal -1
	s_barrier_wait -1
	s_mov_b32 s0, exec_lo
	v_cmpx_eq_u32_e32 0, v34
	s_cbranch_execz .LBB161_177
; %bb.176:
	scratch_load_b32 v32, off, off offset:856 th:TH_LOAD_LU ; 4-byte Folded Reload
	s_mul_i32 s0, s22, s9
	s_mul_i32 s2, s9, s8
	;; [unrolled: 1-line block ×3, first 2 shown]
	s_lshr_b32 s8, ttmp7, 16
	s_lshl_b32 s4, s0, 8
	s_bfe_u32 s0, ttmp6, 0x40014
	s_ashr_i32 s5, s4, 31
	s_add_co_i32 s0, s0, 1
	s_ashr_i32 s3, s2, 31
	s_mul_i32 s0, s8, s0
	s_bfe_u32 s9, ttmp6, 0x40008
	s_lshl_b64 s[4:5], s[4:5], 1
	s_lshl_b64 s[2:3], s[2:3], 1
	s_add_co_i32 s9, s9, s0
	s_cmp_eq_u32 s20, 0
	s_wait_kmcnt 0x0
	s_add_nc_u64 s[4:5], s[6:7], s[4:5]
	s_cselect_b32 s0, s8, s9
	s_add_nc_u64 s[2:3], s[4:5], s[2:3]
	s_lshl_b32 s0, s0, 9
	s_delay_alu instid0(SALU_CYCLE_1) | instskip(NEXT) | instid1(SALU_CYCLE_1)
	s_add_nc_u64 s[0:1], s[2:3], s[0:1]
	v_cvt_pk_bf16_f32 v28, v28, s0
	v_cvt_pk_bf16_f32 v20, v20, s0
	v_cvt_pk_bf16_f32 v12, v12, s0
	v_cvt_pk_bf16_f32 v4, v4, s0
	v_cvt_pk_bf16_f32 v29, v29, s0
	v_cvt_pk_bf16_f32 v21, v21, s0
	v_cvt_pk_bf16_f32 v13, v13, s0
	v_cvt_pk_bf16_f32 v5, v5, s0
	v_cvt_pk_bf16_f32 v26, v26, s0
	v_cvt_pk_bf16_f32 v18, v18, s0
	v_cvt_pk_bf16_f32 v10, v10, s0
	v_cvt_pk_bf16_f32 v2, v2, s0
	v_cvt_pk_bf16_f32 v27, v27, s0
	v_cvt_pk_bf16_f32 v19, v19, s0
	v_cvt_pk_bf16_f32 v11, v11, s0
	v_cvt_pk_bf16_f32 v3, v3, s0
	v_cvt_pk_bf16_f32 v24, v24, s0
	v_cvt_pk_bf16_f32 v16, v16, s0
	v_cvt_pk_bf16_f32 v8, v8, s0
	v_cvt_pk_bf16_f32 v6, v6, s0
	v_cvt_pk_bf16_f32 v7, v7, s0
	v_cvt_pk_bf16_f32 v0, v0, s0
	v_cvt_pk_bf16_f32 v25, v25, s0
	v_cvt_pk_bf16_f32 v22, v22, s0
	v_cvt_pk_bf16_f32 v23, v23, s0
	v_cvt_pk_bf16_f32 v17, v17, s0
	v_cvt_pk_bf16_f32 v14, v14, s0
	v_cvt_pk_bf16_f32 v15, v15, s0
	v_cvt_pk_bf16_f32 v9, v9, s0
	v_cvt_pk_bf16_f32 v1, v1, s0
	s_wait_loadcnt 0x0
	v_lshrrev_b32_e32 v32, 1, v32
	s_clause 0x17
	global_store_b16 v32, v28, s[0:1]
	global_store_b16 v32, v29, s[0:1] offset:16
	global_store_b16 v32, v26, s[0:1] offset:32
	;; [unrolled: 1-line block ×23, first 2 shown]
	s_wait_xcnt 0x1
	v_cvt_pk_bf16_f32 v6, v30, s0
	s_wait_xcnt 0x0
	v_cvt_pk_bf16_f32 v7, v31, s0
	s_clause 0x7
	global_store_b16 v32, v4, s[0:1] offset:384
	global_store_b16 v32, v5, s[0:1] offset:400
	;; [unrolled: 1-line block ×8, first 2 shown]
.LBB161_177:
	s_sendmsg sendmsg(MSG_DEALLOC_VGPRS)
	s_endpgm
.LBB161_178:
	ds_load_b32 v34, v32
	s_wait_dscnt 0x0
	v_add_f32_e32 v28, v28, v34
	s_or_b32 exec_lo, exec_lo, s0
	s_and_saveexec_b32 s0, vcc_lo
	s_cbranch_execz .LBB161_106
.LBB161_179:
	ds_load_b32 v34, v32 offset:32
	s_wait_dscnt 0x0
	v_add_f32_e32 v29, v29, v34
	s_or_b32 exec_lo, exec_lo, s0
	s_and_saveexec_b32 s0, vcc_lo
	s_cbranch_execz .LBB161_107
.LBB161_180:
	ds_load_b32 v34, v32 offset:64
	s_wait_dscnt 0x0
	v_add_f32_e32 v26, v26, v34
	s_or_b32 exec_lo, exec_lo, s0
	s_and_saveexec_b32 s0, vcc_lo
	s_cbranch_execz .LBB161_108
.LBB161_181:
	ds_load_b32 v34, v32 offset:96
	s_wait_dscnt 0x0
	v_add_f32_e32 v27, v27, v34
	s_or_b32 exec_lo, exec_lo, s0
	s_and_saveexec_b32 s0, vcc_lo
	s_cbranch_execz .LBB161_109
.LBB161_182:
	ds_load_b32 v34, v32 offset:128
	s_wait_dscnt 0x0
	v_add_f32_e32 v24, v24, v34
	s_or_b32 exec_lo, exec_lo, s0
	s_and_saveexec_b32 s0, vcc_lo
	s_cbranch_execz .LBB161_110
.LBB161_183:
	ds_load_b32 v34, v32 offset:160
	s_wait_dscnt 0x0
	v_add_f32_e32 v25, v25, v34
	s_or_b32 exec_lo, exec_lo, s0
	s_and_saveexec_b32 s0, vcc_lo
	s_cbranch_execz .LBB161_111
.LBB161_184:
	ds_load_b32 v34, v32 offset:192
	s_wait_dscnt 0x0
	v_add_f32_e32 v22, v22, v34
	s_or_b32 exec_lo, exec_lo, s0
	s_and_saveexec_b32 s0, vcc_lo
	s_cbranch_execz .LBB161_112
.LBB161_185:
	ds_load_b32 v34, v32 offset:224
	s_wait_dscnt 0x0
	v_add_f32_e32 v23, v23, v34
	s_or_b32 exec_lo, exec_lo, s0
	s_and_saveexec_b32 s0, vcc_lo
	s_cbranch_execz .LBB161_113
.LBB161_186:
	ds_load_b32 v34, v32 offset:256
	s_wait_dscnt 0x0
	v_add_f32_e32 v20, v20, v34
	s_or_b32 exec_lo, exec_lo, s0
	s_and_saveexec_b32 s0, vcc_lo
	s_cbranch_execz .LBB161_114
.LBB161_187:
	ds_load_b32 v34, v32 offset:288
	s_wait_dscnt 0x0
	v_add_f32_e32 v21, v21, v34
	s_or_b32 exec_lo, exec_lo, s0
	s_and_saveexec_b32 s0, vcc_lo
	s_cbranch_execz .LBB161_115
.LBB161_188:
	ds_load_b32 v34, v32 offset:320
	s_wait_dscnt 0x0
	v_add_f32_e32 v18, v18, v34
	s_or_b32 exec_lo, exec_lo, s0
	s_and_saveexec_b32 s0, vcc_lo
	s_cbranch_execz .LBB161_116
.LBB161_189:
	ds_load_b32 v34, v32 offset:352
	s_wait_dscnt 0x0
	v_add_f32_e32 v19, v19, v34
	s_or_b32 exec_lo, exec_lo, s0
	s_and_saveexec_b32 s0, vcc_lo
	s_cbranch_execz .LBB161_117
.LBB161_190:
	ds_load_b32 v34, v32 offset:384
	s_wait_dscnt 0x0
	v_add_f32_e32 v16, v16, v34
	s_or_b32 exec_lo, exec_lo, s0
	s_and_saveexec_b32 s0, vcc_lo
	s_cbranch_execz .LBB161_118
.LBB161_191:
	ds_load_b32 v34, v32 offset:416
	s_wait_dscnt 0x0
	v_add_f32_e32 v17, v17, v34
	s_or_b32 exec_lo, exec_lo, s0
	s_and_saveexec_b32 s0, vcc_lo
	s_cbranch_execz .LBB161_119
.LBB161_192:
	ds_load_b32 v34, v32 offset:448
	s_wait_dscnt 0x0
	v_add_f32_e32 v14, v14, v34
	s_or_b32 exec_lo, exec_lo, s0
	s_and_saveexec_b32 s0, vcc_lo
	s_cbranch_execz .LBB161_120
.LBB161_193:
	ds_load_b32 v34, v32 offset:480
	s_wait_dscnt 0x0
	v_add_f32_e32 v15, v15, v34
	s_or_b32 exec_lo, exec_lo, s0
	s_and_saveexec_b32 s0, vcc_lo
	s_cbranch_execz .LBB161_121
.LBB161_194:
	ds_load_b32 v34, v32 offset:512
	s_wait_dscnt 0x0
	v_add_f32_e32 v12, v12, v34
	s_or_b32 exec_lo, exec_lo, s0
	s_and_saveexec_b32 s0, vcc_lo
	s_cbranch_execz .LBB161_122
.LBB161_195:
	ds_load_b32 v34, v32 offset:544
	s_wait_dscnt 0x0
	v_add_f32_e32 v13, v13, v34
	s_or_b32 exec_lo, exec_lo, s0
	s_and_saveexec_b32 s0, vcc_lo
	s_cbranch_execz .LBB161_123
.LBB161_196:
	ds_load_b32 v34, v32 offset:576
	s_wait_dscnt 0x0
	v_add_f32_e32 v10, v10, v34
	s_or_b32 exec_lo, exec_lo, s0
	s_and_saveexec_b32 s0, vcc_lo
	s_cbranch_execz .LBB161_124
.LBB161_197:
	ds_load_b32 v34, v32 offset:608
	s_wait_dscnt 0x0
	v_add_f32_e32 v11, v11, v34
	s_or_b32 exec_lo, exec_lo, s0
	s_and_saveexec_b32 s0, vcc_lo
	s_cbranch_execz .LBB161_125
.LBB161_198:
	ds_load_b32 v34, v32 offset:640
	s_wait_dscnt 0x0
	v_add_f32_e32 v8, v8, v34
	s_or_b32 exec_lo, exec_lo, s0
	s_and_saveexec_b32 s0, vcc_lo
	s_cbranch_execz .LBB161_126
.LBB161_199:
	ds_load_b32 v34, v32 offset:672
	s_wait_dscnt 0x0
	v_add_f32_e32 v9, v9, v34
	s_or_b32 exec_lo, exec_lo, s0
	s_and_saveexec_b32 s0, vcc_lo
	s_cbranch_execz .LBB161_127
.LBB161_200:
	ds_load_b32 v34, v32 offset:704
	s_wait_dscnt 0x0
	v_add_f32_e32 v6, v6, v34
	s_or_b32 exec_lo, exec_lo, s0
	s_and_saveexec_b32 s0, vcc_lo
	s_cbranch_execz .LBB161_128
.LBB161_201:
	ds_load_b32 v34, v32 offset:736
	s_wait_dscnt 0x0
	v_add_f32_e32 v7, v7, v34
	s_or_b32 exec_lo, exec_lo, s0
	s_and_saveexec_b32 s0, vcc_lo
	s_cbranch_execz .LBB161_129
.LBB161_202:
	ds_load_b32 v34, v32 offset:768
	s_wait_dscnt 0x0
	v_add_f32_e32 v4, v4, v34
	s_or_b32 exec_lo, exec_lo, s0
	s_and_saveexec_b32 s0, vcc_lo
	s_cbranch_execz .LBB161_130
.LBB161_203:
	ds_load_b32 v34, v32 offset:800
	s_wait_dscnt 0x0
	v_add_f32_e32 v5, v5, v34
	s_or_b32 exec_lo, exec_lo, s0
	s_and_saveexec_b32 s0, vcc_lo
	s_cbranch_execz .LBB161_131
.LBB161_204:
	ds_load_b32 v34, v32 offset:832
	s_wait_dscnt 0x0
	v_add_f32_e32 v2, v2, v34
	s_or_b32 exec_lo, exec_lo, s0
	s_and_saveexec_b32 s0, vcc_lo
	s_cbranch_execz .LBB161_132
.LBB161_205:
	ds_load_b32 v34, v32 offset:864
	s_wait_dscnt 0x0
	v_add_f32_e32 v3, v3, v34
	s_or_b32 exec_lo, exec_lo, s0
	s_and_saveexec_b32 s0, vcc_lo
	s_cbranch_execz .LBB161_133
.LBB161_206:
	ds_load_b32 v34, v32 offset:896
	s_wait_dscnt 0x0
	v_add_f32_e32 v0, v0, v34
	s_or_b32 exec_lo, exec_lo, s0
	s_and_saveexec_b32 s0, vcc_lo
	s_cbranch_execz .LBB161_134
.LBB161_207:
	ds_load_b32 v34, v32 offset:928
	s_wait_dscnt 0x0
	v_add_f32_e32 v1, v1, v34
	s_or_b32 exec_lo, exec_lo, s0
	s_and_saveexec_b32 s0, vcc_lo
	s_cbranch_execz .LBB161_135
.LBB161_208:
	ds_load_b32 v34, v32 offset:960
	s_wait_dscnt 0x0
	v_add_f32_e32 v30, v30, v34
	s_or_b32 exec_lo, exec_lo, s0
	s_and_saveexec_b32 s0, vcc_lo
	s_cbranch_execnz .LBB161_136
	s_branch .LBB161_137
.LBB161_209:
	ds_load_b32 v33, v32
	s_wait_dscnt 0x0
	v_add_f32_e32 v28, v28, v33
	s_or_b32 exec_lo, exec_lo, s1
	s_and_saveexec_b32 s1, vcc_lo
	s_cbranch_execz .LBB161_143
.LBB161_210:
	ds_load_b32 v33, v32 offset:32
	s_wait_dscnt 0x0
	v_add_f32_e32 v29, v29, v33
	s_or_b32 exec_lo, exec_lo, s1
	s_and_saveexec_b32 s1, vcc_lo
	s_cbranch_execz .LBB161_144
.LBB161_211:
	ds_load_b32 v33, v32 offset:64
	s_wait_dscnt 0x0
	v_add_f32_e32 v26, v26, v33
	s_or_b32 exec_lo, exec_lo, s1
	s_and_saveexec_b32 s1, vcc_lo
	s_cbranch_execz .LBB161_145
.LBB161_212:
	ds_load_b32 v33, v32 offset:96
	s_wait_dscnt 0x0
	v_add_f32_e32 v27, v27, v33
	s_or_b32 exec_lo, exec_lo, s1
	s_and_saveexec_b32 s1, vcc_lo
	s_cbranch_execz .LBB161_146
.LBB161_213:
	ds_load_b32 v33, v32 offset:128
	s_wait_dscnt 0x0
	v_add_f32_e32 v24, v24, v33
	s_or_b32 exec_lo, exec_lo, s1
	s_and_saveexec_b32 s1, vcc_lo
	s_cbranch_execz .LBB161_147
.LBB161_214:
	ds_load_b32 v33, v32 offset:160
	s_wait_dscnt 0x0
	v_add_f32_e32 v25, v25, v33
	s_or_b32 exec_lo, exec_lo, s1
	s_and_saveexec_b32 s1, vcc_lo
	s_cbranch_execz .LBB161_148
.LBB161_215:
	ds_load_b32 v33, v32 offset:192
	s_wait_dscnt 0x0
	v_add_f32_e32 v22, v22, v33
	s_or_b32 exec_lo, exec_lo, s1
	s_and_saveexec_b32 s1, vcc_lo
	s_cbranch_execz .LBB161_149
.LBB161_216:
	ds_load_b32 v33, v32 offset:224
	s_wait_dscnt 0x0
	v_add_f32_e32 v23, v23, v33
	s_or_b32 exec_lo, exec_lo, s1
	s_and_saveexec_b32 s1, vcc_lo
	s_cbranch_execz .LBB161_150
.LBB161_217:
	ds_load_b32 v33, v32 offset:256
	s_wait_dscnt 0x0
	v_add_f32_e32 v20, v20, v33
	s_or_b32 exec_lo, exec_lo, s1
	s_and_saveexec_b32 s1, vcc_lo
	s_cbranch_execz .LBB161_151
.LBB161_218:
	ds_load_b32 v33, v32 offset:288
	s_wait_dscnt 0x0
	v_add_f32_e32 v21, v21, v33
	s_or_b32 exec_lo, exec_lo, s1
	s_and_saveexec_b32 s1, vcc_lo
	s_cbranch_execz .LBB161_152
.LBB161_219:
	ds_load_b32 v33, v32 offset:320
	s_wait_dscnt 0x0
	v_add_f32_e32 v18, v18, v33
	s_or_b32 exec_lo, exec_lo, s1
	s_and_saveexec_b32 s1, vcc_lo
	s_cbranch_execz .LBB161_153
.LBB161_220:
	ds_load_b32 v33, v32 offset:352
	s_wait_dscnt 0x0
	v_add_f32_e32 v19, v19, v33
	s_or_b32 exec_lo, exec_lo, s1
	s_and_saveexec_b32 s1, vcc_lo
	s_cbranch_execz .LBB161_154
.LBB161_221:
	ds_load_b32 v33, v32 offset:384
	s_wait_dscnt 0x0
	v_add_f32_e32 v16, v16, v33
	s_or_b32 exec_lo, exec_lo, s1
	s_and_saveexec_b32 s1, vcc_lo
	s_cbranch_execz .LBB161_155
.LBB161_222:
	ds_load_b32 v33, v32 offset:416
	s_wait_dscnt 0x0
	v_add_f32_e32 v17, v17, v33
	s_or_b32 exec_lo, exec_lo, s1
	s_and_saveexec_b32 s1, vcc_lo
	s_cbranch_execz .LBB161_156
.LBB161_223:
	ds_load_b32 v33, v32 offset:448
	s_wait_dscnt 0x0
	v_add_f32_e32 v14, v14, v33
	s_or_b32 exec_lo, exec_lo, s1
	s_and_saveexec_b32 s1, vcc_lo
	s_cbranch_execz .LBB161_157
.LBB161_224:
	ds_load_b32 v33, v32 offset:480
	s_wait_dscnt 0x0
	v_add_f32_e32 v15, v15, v33
	s_or_b32 exec_lo, exec_lo, s1
	s_and_saveexec_b32 s1, vcc_lo
	s_cbranch_execz .LBB161_158
.LBB161_225:
	ds_load_b32 v33, v32 offset:512
	s_wait_dscnt 0x0
	v_add_f32_e32 v12, v12, v33
	s_or_b32 exec_lo, exec_lo, s1
	s_and_saveexec_b32 s1, vcc_lo
	s_cbranch_execz .LBB161_159
.LBB161_226:
	ds_load_b32 v33, v32 offset:544
	s_wait_dscnt 0x0
	v_add_f32_e32 v13, v13, v33
	s_or_b32 exec_lo, exec_lo, s1
	s_and_saveexec_b32 s1, vcc_lo
	s_cbranch_execz .LBB161_160
.LBB161_227:
	ds_load_b32 v33, v32 offset:576
	s_wait_dscnt 0x0
	v_add_f32_e32 v10, v10, v33
	s_or_b32 exec_lo, exec_lo, s1
	s_and_saveexec_b32 s1, vcc_lo
	s_cbranch_execz .LBB161_161
.LBB161_228:
	ds_load_b32 v33, v32 offset:608
	s_wait_dscnt 0x0
	v_add_f32_e32 v11, v11, v33
	s_or_b32 exec_lo, exec_lo, s1
	s_and_saveexec_b32 s1, vcc_lo
	s_cbranch_execz .LBB161_162
.LBB161_229:
	ds_load_b32 v33, v32 offset:640
	s_wait_dscnt 0x0
	v_add_f32_e32 v8, v8, v33
	s_or_b32 exec_lo, exec_lo, s1
	s_and_saveexec_b32 s1, vcc_lo
	s_cbranch_execz .LBB161_163
.LBB161_230:
	ds_load_b32 v33, v32 offset:672
	s_wait_dscnt 0x0
	v_add_f32_e32 v9, v9, v33
	s_or_b32 exec_lo, exec_lo, s1
	s_and_saveexec_b32 s1, vcc_lo
	s_cbranch_execz .LBB161_164
.LBB161_231:
	ds_load_b32 v33, v32 offset:704
	s_wait_dscnt 0x0
	v_add_f32_e32 v6, v6, v33
	s_or_b32 exec_lo, exec_lo, s1
	s_and_saveexec_b32 s1, vcc_lo
	s_cbranch_execz .LBB161_165
.LBB161_232:
	ds_load_b32 v33, v32 offset:736
	s_wait_dscnt 0x0
	v_add_f32_e32 v7, v7, v33
	s_or_b32 exec_lo, exec_lo, s1
	s_and_saveexec_b32 s1, vcc_lo
	s_cbranch_execz .LBB161_166
.LBB161_233:
	ds_load_b32 v33, v32 offset:768
	s_wait_dscnt 0x0
	v_add_f32_e32 v4, v4, v33
	s_or_b32 exec_lo, exec_lo, s1
	s_and_saveexec_b32 s1, vcc_lo
	s_cbranch_execz .LBB161_167
.LBB161_234:
	ds_load_b32 v33, v32 offset:800
	s_wait_dscnt 0x0
	v_add_f32_e32 v5, v5, v33
	s_or_b32 exec_lo, exec_lo, s1
	s_and_saveexec_b32 s1, vcc_lo
	s_cbranch_execz .LBB161_168
.LBB161_235:
	ds_load_b32 v33, v32 offset:832
	s_wait_dscnt 0x0
	v_add_f32_e32 v2, v2, v33
	s_or_b32 exec_lo, exec_lo, s1
	s_and_saveexec_b32 s1, vcc_lo
	s_cbranch_execz .LBB161_169
.LBB161_236:
	ds_load_b32 v33, v32 offset:864
	s_wait_dscnt 0x0
	v_add_f32_e32 v3, v3, v33
	s_or_b32 exec_lo, exec_lo, s1
	s_and_saveexec_b32 s1, vcc_lo
	s_cbranch_execz .LBB161_170
.LBB161_237:
	ds_load_b32 v33, v32 offset:896
	s_wait_dscnt 0x0
	v_add_f32_e32 v0, v0, v33
	s_or_b32 exec_lo, exec_lo, s1
	s_and_saveexec_b32 s1, vcc_lo
	s_cbranch_execz .LBB161_171
.LBB161_238:
	ds_load_b32 v33, v32 offset:928
	s_wait_dscnt 0x0
	v_add_f32_e32 v1, v1, v33
	s_or_b32 exec_lo, exec_lo, s1
	s_and_saveexec_b32 s1, vcc_lo
	s_cbranch_execz .LBB161_172
.LBB161_239:
	ds_load_b32 v33, v32 offset:960
	s_wait_dscnt 0x0
	v_add_f32_e32 v30, v30, v33
	s_or_b32 exec_lo, exec_lo, s1
	s_and_saveexec_b32 s1, vcc_lo
	s_cbranch_execnz .LBB161_173
	s_branch .LBB161_174
	.section	.rodata,"a",@progbits
	.p2align	6, 0x0
	.amdhsa_kernel _ZN4vllm25paged_attention_v1_kernelI14__hip_bfloat16S1_Li256ELi32ELi128ELNS_18Fp8KVCacheDataTypeE0ELb0EEEvPT_PKS3_PKT0_S9_ifPKiSB_iPKfiiiSD_SD_iiiii
		.amdhsa_group_segment_fixed_size 544
		.amdhsa_private_segment_fixed_size 876
		.amdhsa_kernarg_size 384
		.amdhsa_user_sgpr_count 2
		.amdhsa_user_sgpr_dispatch_ptr 0
		.amdhsa_user_sgpr_queue_ptr 0
		.amdhsa_user_sgpr_kernarg_segment_ptr 1
		.amdhsa_user_sgpr_dispatch_id 0
		.amdhsa_user_sgpr_kernarg_preload_length 0
		.amdhsa_user_sgpr_kernarg_preload_offset 0
		.amdhsa_user_sgpr_private_segment_size 0
		.amdhsa_wavefront_size32 1
		.amdhsa_uses_dynamic_stack 0
		.amdhsa_enable_private_segment 1
		.amdhsa_system_sgpr_workgroup_id_x 1
		.amdhsa_system_sgpr_workgroup_id_y 1
		.amdhsa_system_sgpr_workgroup_id_z 1
		.amdhsa_system_sgpr_workgroup_info 0
		.amdhsa_system_vgpr_workitem_id 0
		.amdhsa_next_free_vgpr 128
		.amdhsa_next_free_sgpr 30
		.amdhsa_named_barrier_count 0
		.amdhsa_reserve_vcc 1
		.amdhsa_float_round_mode_32 0
		.amdhsa_float_round_mode_16_64 0
		.amdhsa_float_denorm_mode_32 3
		.amdhsa_float_denorm_mode_16_64 3
		.amdhsa_fp16_overflow 0
		.amdhsa_memory_ordered 1
		.amdhsa_forward_progress 1
		.amdhsa_inst_pref_size 244
		.amdhsa_round_robin_scheduling 0
		.amdhsa_exception_fp_ieee_invalid_op 0
		.amdhsa_exception_fp_denorm_src 0
		.amdhsa_exception_fp_ieee_div_zero 0
		.amdhsa_exception_fp_ieee_overflow 0
		.amdhsa_exception_fp_ieee_underflow 0
		.amdhsa_exception_fp_ieee_inexact 0
		.amdhsa_exception_int_div_zero 0
	.end_amdhsa_kernel
	.section	.text._ZN4vllm25paged_attention_v1_kernelI14__hip_bfloat16S1_Li256ELi32ELi128ELNS_18Fp8KVCacheDataTypeE0ELb0EEEvPT_PKS3_PKT0_S9_ifPKiSB_iPKfiiiSD_SD_iiiii,"axG",@progbits,_ZN4vllm25paged_attention_v1_kernelI14__hip_bfloat16S1_Li256ELi32ELi128ELNS_18Fp8KVCacheDataTypeE0ELb0EEEvPT_PKS3_PKT0_S9_ifPKiSB_iPKfiiiSD_SD_iiiii,comdat
.Lfunc_end161:
	.size	_ZN4vllm25paged_attention_v1_kernelI14__hip_bfloat16S1_Li256ELi32ELi128ELNS_18Fp8KVCacheDataTypeE0ELb0EEEvPT_PKS3_PKT0_S9_ifPKiSB_iPKfiiiSD_SD_iiiii, .Lfunc_end161-_ZN4vllm25paged_attention_v1_kernelI14__hip_bfloat16S1_Li256ELi32ELi128ELNS_18Fp8KVCacheDataTypeE0ELb0EEEvPT_PKS3_PKT0_S9_ifPKiSB_iPKfiiiSD_SD_iiiii
                                        ; -- End function
	.set _ZN4vllm25paged_attention_v1_kernelI14__hip_bfloat16S1_Li256ELi32ELi128ELNS_18Fp8KVCacheDataTypeE0ELb0EEEvPT_PKS3_PKT0_S9_ifPKiSB_iPKfiiiSD_SD_iiiii.num_vgpr, 128
	.set _ZN4vllm25paged_attention_v1_kernelI14__hip_bfloat16S1_Li256ELi32ELi128ELNS_18Fp8KVCacheDataTypeE0ELb0EEEvPT_PKS3_PKT0_S9_ifPKiSB_iPKfiiiSD_SD_iiiii.num_agpr, 0
	.set _ZN4vllm25paged_attention_v1_kernelI14__hip_bfloat16S1_Li256ELi32ELi128ELNS_18Fp8KVCacheDataTypeE0ELb0EEEvPT_PKS3_PKT0_S9_ifPKiSB_iPKfiiiSD_SD_iiiii.numbered_sgpr, 30
	.set _ZN4vllm25paged_attention_v1_kernelI14__hip_bfloat16S1_Li256ELi32ELi128ELNS_18Fp8KVCacheDataTypeE0ELb0EEEvPT_PKS3_PKT0_S9_ifPKiSB_iPKfiiiSD_SD_iiiii.num_named_barrier, 0
	.set _ZN4vllm25paged_attention_v1_kernelI14__hip_bfloat16S1_Li256ELi32ELi128ELNS_18Fp8KVCacheDataTypeE0ELb0EEEvPT_PKS3_PKT0_S9_ifPKiSB_iPKfiiiSD_SD_iiiii.private_seg_size, 876
	.set _ZN4vllm25paged_attention_v1_kernelI14__hip_bfloat16S1_Li256ELi32ELi128ELNS_18Fp8KVCacheDataTypeE0ELb0EEEvPT_PKS3_PKT0_S9_ifPKiSB_iPKfiiiSD_SD_iiiii.uses_vcc, 1
	.set _ZN4vllm25paged_attention_v1_kernelI14__hip_bfloat16S1_Li256ELi32ELi128ELNS_18Fp8KVCacheDataTypeE0ELb0EEEvPT_PKS3_PKT0_S9_ifPKiSB_iPKfiiiSD_SD_iiiii.uses_flat_scratch, 1
	.set _ZN4vllm25paged_attention_v1_kernelI14__hip_bfloat16S1_Li256ELi32ELi128ELNS_18Fp8KVCacheDataTypeE0ELb0EEEvPT_PKS3_PKT0_S9_ifPKiSB_iPKfiiiSD_SD_iiiii.has_dyn_sized_stack, 0
	.set _ZN4vllm25paged_attention_v1_kernelI14__hip_bfloat16S1_Li256ELi32ELi128ELNS_18Fp8KVCacheDataTypeE0ELb0EEEvPT_PKS3_PKT0_S9_ifPKiSB_iPKfiiiSD_SD_iiiii.has_recursion, 0
	.set _ZN4vllm25paged_attention_v1_kernelI14__hip_bfloat16S1_Li256ELi32ELi128ELNS_18Fp8KVCacheDataTypeE0ELb0EEEvPT_PKS3_PKT0_S9_ifPKiSB_iPKfiiiSD_SD_iiiii.has_indirect_call, 0
	.section	.AMDGPU.csdata,"",@progbits
; Kernel info:
; codeLenInByte = 31204
; TotalNumSgprs: 32
; NumVgprs: 128
; ScratchSize: 876
; MemoryBound: 0
; FloatMode: 240
; IeeeMode: 1
; LDSByteSize: 544 bytes/workgroup (compile time only)
; SGPRBlocks: 0
; VGPRBlocks: 7
; NumSGPRsForWavesPerEU: 32
; NumVGPRsForWavesPerEU: 128
; NamedBarCnt: 0
; Occupancy: 8
; WaveLimiterHint : 1
; COMPUTE_PGM_RSRC2:SCRATCH_EN: 1
; COMPUTE_PGM_RSRC2:USER_SGPR: 2
; COMPUTE_PGM_RSRC2:TRAP_HANDLER: 0
; COMPUTE_PGM_RSRC2:TGID_X_EN: 1
; COMPUTE_PGM_RSRC2:TGID_Y_EN: 1
; COMPUTE_PGM_RSRC2:TGID_Z_EN: 1
; COMPUTE_PGM_RSRC2:TIDIG_COMP_CNT: 0
	.section	.text._ZN4vllm25paged_attention_v1_kernelIfhLi32ELi8ELi128ELNS_18Fp8KVCacheDataTypeE1ELb1EEEvPT_PKS2_PKT0_S8_ifPKiSA_iPKfiiiSC_SC_iiiii,"axG",@progbits,_ZN4vllm25paged_attention_v1_kernelIfhLi32ELi8ELi128ELNS_18Fp8KVCacheDataTypeE1ELb1EEEvPT_PKS2_PKT0_S8_ifPKiSA_iPKfiiiSC_SC_iiiii,comdat
	.protected	_ZN4vllm25paged_attention_v1_kernelIfhLi32ELi8ELi128ELNS_18Fp8KVCacheDataTypeE1ELb1EEEvPT_PKS2_PKT0_S8_ifPKiSA_iPKfiiiSC_SC_iiiii ; -- Begin function _ZN4vllm25paged_attention_v1_kernelIfhLi32ELi8ELi128ELNS_18Fp8KVCacheDataTypeE1ELb1EEEvPT_PKS2_PKT0_S8_ifPKiSA_iPKfiiiSC_SC_iiiii
	.globl	_ZN4vllm25paged_attention_v1_kernelIfhLi32ELi8ELi128ELNS_18Fp8KVCacheDataTypeE1ELb1EEEvPT_PKS2_PKT0_S8_ifPKiSA_iPKfiiiSC_SC_iiiii
	.p2align	8
	.type	_ZN4vllm25paged_attention_v1_kernelIfhLi32ELi8ELi128ELNS_18Fp8KVCacheDataTypeE1ELb1EEEvPT_PKS2_PKT0_S8_ifPKiSA_iPKfiiiSC_SC_iiiii,@function
_ZN4vllm25paged_attention_v1_kernelIfhLi32ELi8ELi128ELNS_18Fp8KVCacheDataTypeE1ELb1EEEvPT_PKS2_PKT0_S8_ifPKiSA_iPKfiiiSC_SC_iiiii: ; @_ZN4vllm25paged_attention_v1_kernelIfhLi32ELi8ELi128ELNS_18Fp8KVCacheDataTypeE1ELb1EEEvPT_PKS2_PKT0_S8_ifPKiSA_iPKfiiiSC_SC_iiiii
; %bb.0:
	s_load_b64 s[6:7], s[0:1], 0x20
	s_bfe_u32 s3, ttmp6, 0x4000c
	s_bfe_u32 s5, ttmp6, 0x40010
	s_and_b32 s4, ttmp7, 0xffff
	s_add_co_i32 s3, s3, 1
	s_add_co_i32 s5, s5, 1
	s_and_b32 s2, ttmp6, 15
	s_bfe_u32 s8, ttmp6, 0x40004
	s_mul_i32 s3, ttmp9, s3
	s_mul_i32 s5, s4, s5
	s_getreg_b32 s30, hwreg(HW_REG_IB_STS2, 6, 4)
	s_add_co_i32 s9, s2, s3
	s_add_co_i32 s8, s8, s5
	s_cmp_eq_u32 s30, 0
	s_clause 0x1
	s_load_b32 s31, s[0:1], 0x80
	s_load_b64 s[2:3], s[0:1], 0x30
	s_cselect_b32 s33, s4, s8
	s_cselect_b32 s4, ttmp9, s9
	s_wait_kmcnt 0x0
	s_abs_i32 s5, s6
	s_delay_alu instid0(SALU_CYCLE_1) | instskip(SKIP_1) | instid1(SALU_CYCLE_2)
	s_cvt_f32_u32 s8, s5
	s_sub_co_i32 s9, 0, s5
	v_rcp_iflag_f32_e32 v1, s8
	s_abs_i32 s10, s31
	v_nop
	s_delay_alu instid0(TRANS32_DEP_1) | instskip(SKIP_1) | instid1(SALU_CYCLE_3)
	v_readfirstlane_b32 s8, v1
	s_mul_f32 s8, s8, 0x4f7ffffe
	s_cvt_u32_f32 s8, s8
	s_delay_alu instid0(SALU_CYCLE_3) | instskip(NEXT) | instid1(SALU_CYCLE_1)
	s_mul_i32 s9, s9, s8
	s_mul_hi_u32 s9, s8, s9
	s_delay_alu instid0(SALU_CYCLE_1) | instskip(SKIP_4) | instid1(SALU_CYCLE_1)
	s_add_co_i32 s8, s8, s9
	s_xor_b32 s9, s31, s6
	s_mul_hi_u32 s8, s10, s8
	s_ashr_i32 s9, s9, 31
	s_mul_i32 s11, s8, s5
	s_sub_co_i32 s10, s10, s11
	s_add_co_i32 s11, s8, 1
	s_sub_co_i32 s12, s10, s5
	s_cmp_ge_u32 s10, s5
	s_cselect_b32 s8, s11, s8
	s_cselect_b32 s10, s12, s10
	s_add_co_i32 s11, s8, 1
	s_cmp_ge_u32 s10, s5
	s_load_b64 s[12:13], s[0:1], 0x40
	s_cselect_b32 s5, s11, s8
	s_delay_alu instid0(SALU_CYCLE_1) | instskip(NEXT) | instid1(SALU_CYCLE_1)
	s_xor_b32 s5, s5, s9
	s_sub_co_i32 s14, s5, s9
	s_mov_b32 s9, 0
	s_abs_i32 s19, s14
	s_mov_b32 s11, s9
	s_cvt_f32_u32 s5, s19
	s_sub_co_i32 s8, 0, s19
	s_mov_b32 s37, s9
	s_delay_alu instid0(SALU_CYCLE_1) | instskip(SKIP_1) | instid1(TRANS32_DEP_1)
	v_rcp_iflag_f32_e32 v1, s5
	v_nop
	v_readfirstlane_b32 s5, v1
	s_mul_f32 s5, s5, 0x4f7ffffe
	s_delay_alu instid0(SALU_CYCLE_3) | instskip(NEXT) | instid1(SALU_CYCLE_3)
	s_cvt_u32_f32 s5, s5
	s_mul_i32 s8, s8, s5
	s_delay_alu instid0(SALU_CYCLE_1)
	s_mul_hi_u32 s10, s5, s8
	s_abs_i32 s8, s4
	s_add_co_i32 s10, s5, s10
	s_wait_kmcnt 0x0
	s_cmp_eq_u64 s[12:13], 0
	s_cbranch_scc1 .LBB162_2
; %bb.1:
	s_ashr_i32 s5, s4, 31
	s_delay_alu instid0(SALU_CYCLE_1) | instskip(NEXT) | instid1(SALU_CYCLE_1)
	s_lshl_b64 s[16:17], s[4:5], 2
	s_add_nc_u64 s[12:13], s[12:13], s[16:17]
	s_load_b32 s37, s[12:13], 0x0
.LBB162_2:
	s_load_b32 s34, s[2:3], s33 offset:0x0 scale_offset
	s_load_b96 s[16:18], s[0:1], 0x48
	v_and_b32_e32 v2, 3, v0
	s_wait_xcnt 0x0
	v_cmp_gt_u32_e64 s2, 32, v0
	s_ashr_i32 s3, s4, 31
	s_ashr_i32 s5, s14, 31
	s_mul_u64 s[10:11], s[8:9], s[10:11]
	s_lshl_b32 s20, s4, 5
	s_and_saveexec_b32 s9, s2
	s_cbranch_execz .LBB162_4
; %bb.3:
	s_load_b64 s[12:13], s[0:1], 0x8
	s_wait_kmcnt 0x0
	s_mul_i32 s14, s16, s33
	s_ashr_i32 s21, s20, 31
	s_ashr_i32 s15, s14, 31
	v_and_b32_e32 v3, 0x3fc, v0
	s_lshl_b64 s[14:15], s[14:15], 2
	s_delay_alu instid0(VALU_DEP_1) | instskip(SKIP_2) | instid1(SALU_CYCLE_1)
	v_lshl_add_u32 v3, v2, 5, v3
	s_add_nc_u64 s[12:13], s[12:13], s[14:15]
	s_lshl_b64 s[14:15], s[20:21], 2
	s_add_nc_u64 s[12:13], s[12:13], s[14:15]
	global_load_b32 v1, v0, s[12:13] scale_offset
	s_wait_loadcnt 0x0
	ds_store_b32 v3, v1
.LBB162_4:
	s_or_b32 exec_lo, exec_lo, s9
	s_load_b128 s[12:15], s[0:1], 0x68
	s_mul_i32 s9, s11, s19
	s_xor_b32 s5, s3, s5
	s_sub_co_i32 s3, s8, s9
	s_add_co_i32 s8, s11, 1
	s_sub_co_i32 s9, s3, s19
	s_cmp_ge_u32 s3, s19
	s_wait_dscnt 0x0
	s_cselect_b32 s8, s8, s11
	s_cselect_b32 s3, s9, s3
	s_add_co_i32 s9, s8, 1
	s_cmp_ge_u32 s3, s19
	s_load_b32 s3, s[0:1], 0x78
	s_cselect_b32 s8, s9, s8
	s_wait_kmcnt 0x0
	s_add_co_i32 s10, s34, -1
	s_xor_b32 s8, s8, s5
	s_mov_b32 s11, -1
	s_sub_co_i32 s5, s8, s5
	s_barrier_signal -1
	s_barrier_wait -1
	s_abs_i32 s16, s15
	s_delay_alu instid0(SALU_CYCLE_1) | instskip(NEXT) | instid1(SALU_CYCLE_3)
	s_cvt_f32_u32 s9, s16
	v_rcp_iflag_f32_e32 v1, s9
	v_nop
	s_delay_alu instid0(TRANS32_DEP_1) | instskip(SKIP_1) | instid1(SALU_CYCLE_3)
	v_readfirstlane_b32 s9, v1
	s_mul_f32 s8, s9, 0x4f7ffffe
	s_cvt_u32_f32 s19, s8
	s_sub_co_i32 s8, 0, s16
	s_delay_alu instid0(SALU_CYCLE_2)
	s_mul_i32 s9, s8, s19
	s_abs_i32 s8, s10
	s_mul_hi_u32 s21, s19, s9
	s_mov_b32 s9, 0
	s_add_co_i32 s22, s19, s21
	s_cmp_lt_i32 s3, 0
	s_mov_b32 s23, s9
                                        ; implicit-def: $sgpr21
	s_cbranch_scc0 .LBB162_6
; %bb.5:
	s_mul_i32 s6, s12, s6
	s_mov_b32 s11, s9
	s_add_co_i32 s6, s5, s6
	s_delay_alu instid0(SALU_CYCLE_1) | instskip(NEXT) | instid1(SALU_CYCLE_1)
	s_mul_i32 s6, s6, s3
	s_sub_co_i32 s21, 1, s6
.LBB162_6:
	s_ashr_i32 s6, s10, 31
	s_ashr_i32 s15, s15, 31
	s_and_not1_b32 vcc_lo, exec_lo, s11
	s_mul_u64 s[28:29], s[8:9], s[22:23]
	s_cbranch_vccnz .LBB162_8
; %bb.7:
	s_mul_i32 s9, s31, s12
	s_delay_alu instid0(SALU_CYCLE_1) | instskip(NEXT) | instid1(SALU_CYCLE_1)
	s_add_co_i32 s4, s9, s4
	s_mul_i32 s3, s4, s3
	s_delay_alu instid0(SALU_CYCLE_1)
	s_add_co_i32 s21, s3, 1
.LBB162_8:
	s_clause 0x1
	s_load_b32 s3, s[0:1], 0x38
	s_load_b64 s[24:25], s[0:1], 0x28
	s_xor_b32 s4, s6, s15
	s_mul_i32 s6, s29, s16
	s_add_co_i32 s19, s29, 1
	s_sub_co_i32 s6, s8, s6
	s_clause 0x1
	s_load_b32 s12, s[0:1], 0x88
	s_load_b128 s[8:11], s[0:1], 0x58
	v_dual_lshrrev_b32 v1, 5, v0 :: v_dual_lshrrev_b32 v11, 3, v0
	v_mov_b32_e32 v25, 0xff7fffff
	v_mbcnt_lo_u32_b32 v22, -1, 0
	s_mul_i32 s18, s5, s18
	s_delay_alu instid0(VALU_DEP_3)
	v_lshlrev_b32_e32 v10, 3, v1
	s_wait_kmcnt 0x0
	s_mul_i32 s26, s3, s33
	s_sub_co_i32 s3, s6, s16
	s_ashr_i32 s27, s26, 31
	s_cmp_ge_u32 s6, s16
	s_cselect_b32 s19, s19, s29
	s_cselect_b32 s3, s3, s6
	s_add_co_i32 s6, s19, 1
	s_cmp_ge_u32 s3, s16
	s_cselect_b32 s3, s6, s19
	s_add_co_i32 s6, s34, 7
	s_delay_alu instid0(SALU_CYCLE_1) | instskip(NEXT) | instid1(SALU_CYCLE_1)
	s_ashr_i32 s19, s6, 31
	s_lshr_b32 s19, s19, 29
	s_delay_alu instid0(SALU_CYCLE_1) | instskip(NEXT) | instid1(SALU_CYCLE_1)
	s_add_co_i32 s6, s6, s19
	s_ashr_i32 s35, s6, 3
	s_xor_b32 s6, s3, s4
	v_cmp_gt_i32_e64 s3, s35, v1
	s_sub_co_i32 s36, s6, s4
	s_and_saveexec_b32 s38, s3
	s_cbranch_execz .LBB162_84
; %bb.9:
	s_sub_co_i32 s39, s36, s13
	s_ashr_i32 s19, s18, 31
	s_cmp_neq_f32 s37, 0
	s_load_b64 s[42:43], s[0:1], 0x10
	v_bfe_u32 v23, v0, 2, 3
	v_dual_mov_b32 v13, 0 :: v_dual_lshlrev_b32 v24, 5, v2
	s_cselect_b32 vcc_lo, -1, 0
	s_abs_i32 s40, s14
	s_delay_alu instid0(VALU_DEP_2) | instskip(SKIP_3) | instid1(SALU_CYCLE_1)
	v_dual_lshlrev_b32 v14, 3, v1 :: v_dual_lshlrev_b32 v12, 4, v23
	s_cvt_f32_u32 s5, s40
	v_dual_mov_b32 v3, v13 :: v_dual_lshlrev_b32 v5, 2, v23
	s_lshl_b64 s[44:45], s[26:27], 2
	v_rcp_iflag_f32_e32 v4, s5
	v_subrev_nc_u32_e32 v6, s34, v23
	s_sub_co_i32 s6, 0, s40
	v_lshl_or_b32 v7, v1, 5, v5
	v_cmp_eq_u32_e64 s4, 0, v2
	v_dual_mov_b32 v28, 0xff7fffff :: v_dual_mov_b32 v29, v1
	s_delay_alu instid0(TRANS32_DEP_1)
	v_readfirstlane_b32 s5, v4
	s_wait_kmcnt 0x0
	s_add_nc_u64 s[42:43], s[42:43], s[18:19]
	v_dual_mov_b32 v25, 0xff7fffff :: v_dual_add_nc_u32 v26, 1, v6
	v_add_nc_u64_e32 v[4:5], s[42:43], v[12:13]
	s_mul_f32 s5, s5, 0x4f7ffffe
	v_and_b32_e32 v12, 0x7c, v11
	s_add_nc_u64 s[42:43], s[24:25], s[44:45]
	v_add_nc_u32_e32 v27, 0xa0, v7
	s_cvt_u32_f32 s5, s5
	s_mov_b32 s29, 0
	v_add_nc_u64_e32 v[16:17], s[42:43], v[12:13]
	v_add_nc_u64_e32 v[18:19], v[4:5], v[2:3]
	s_mul_i32 s6, s6, s5
	s_mov_b32 s19, s17
	s_mul_hi_u32 s6, s5, s6
	s_mov_b32 s41, s29
	s_add_co_i32 s28, s5, s6
	s_branch .LBB162_12
.LBB162_10:                             ;   in Loop: Header=BB162_12 Depth=1
	s_or_b32 exec_lo, exec_lo, s42
.LBB162_11:                             ;   in Loop: Header=BB162_12 Depth=1
	s_delay_alu instid0(SALU_CYCLE_1) | instskip(SKIP_3) | instid1(VALU_DEP_3)
	s_or_b32 exec_lo, exec_lo, s6
	v_dual_add_nc_u32 v29, 4, v29 :: v_dual_add_nc_u32 v14, 32, v14
	v_add_nc_u64_e32 v[16:17], 16, v[16:17]
	v_add_nc_u32_e32 v27, 0x80, v27
	v_cmp_le_i32_e64 s5, s35, v29
	s_or_b32 s41, s5, s41
	s_delay_alu instid0(SALU_CYCLE_1)
	s_and_not1_b32 exec_lo, exec_lo, s41
	s_cbranch_execz .LBB162_83
.LBB162_12:                             ; =>This Inner Loop Header: Depth=1
	v_mov_b32_e32 v15, v13
	s_wait_dscnt 0x0
	s_delay_alu instid0(VALU_DEP_1) | instskip(NEXT) | instid1(VALU_DEP_1)
	v_mul_u64_e32 v[2:3], s[22:23], v[14:15]
	v_mul_lo_u32 v2, v3, s16
	s_delay_alu instid0(VALU_DEP_1) | instskip(NEXT) | instid1(VALU_DEP_1)
	v_sub_nc_u32_e32 v2, v14, v2
	v_subrev_nc_u32_e32 v5, s16, v2
	v_cmp_le_u32_e64 s5, s16, v2
	s_delay_alu instid0(VALU_DEP_1) | instskip(NEXT) | instid1(VALU_DEP_1)
	v_dual_add_nc_u32 v4, 1, v3 :: v_dual_cndmask_b32 v2, v2, v5, s5
	v_cndmask_b32_e64 v3, v3, v4, s5
	s_delay_alu instid0(VALU_DEP_2) | instskip(NEXT) | instid1(VALU_DEP_2)
	v_cmp_le_u32_e64 s5, s16, v2
	v_add_nc_u32_e32 v4, 1, v3
	s_delay_alu instid0(VALU_DEP_1) | instskip(NEXT) | instid1(VALU_DEP_1)
	v_cndmask_b32_e64 v2, v3, v4, s5
	v_xor_b32_e32 v2, s15, v2
	s_delay_alu instid0(VALU_DEP_1) | instskip(NEXT) | instid1(VALU_DEP_1)
	v_subrev_nc_u32_e32 v4, s15, v2
	v_add_nc_u32_e32 v5, s21, v4
	v_cmp_ge_i32_e64 s6, s39, v4
	s_delay_alu instid0(VALU_DEP_2) | instskip(NEXT) | instid1(VALU_DEP_1)
	v_sub_nc_u32_e32 v2, 0, v5
	v_dual_ashrrev_i32 v5, 31, v5 :: v_dual_max_i32 v12, v5, v2
	s_delay_alu instid0(VALU_DEP_1) | instskip(NEXT) | instid1(VALU_DEP_1)
	v_mul_u64_e32 v[2:3], s[28:29], v[12:13]
	v_mul_lo_u32 v2, v3, s40
	s_delay_alu instid0(VALU_DEP_1) | instskip(NEXT) | instid1(VALU_DEP_1)
	v_sub_nc_u32_e32 v2, v12, v2
	v_subrev_nc_u32_e32 v3, s40, v2
	v_cmp_le_u32_e64 s5, s40, v2
	s_delay_alu instid0(VALU_DEP_1) | instskip(NEXT) | instid1(VALU_DEP_1)
	v_cndmask_b32_e64 v2, v2, v3, s5
	v_subrev_nc_u32_e32 v3, s40, v2
	v_cmp_le_u32_e64 s5, s40, v2
	s_delay_alu instid0(VALU_DEP_1) | instskip(NEXT) | instid1(VALU_DEP_1)
	v_cndmask_b32_e64 v2, v2, v3, s5
	v_xor_b32_e32 v2, v2, v5
	s_delay_alu instid0(VALU_DEP_1) | instskip(NEXT) | instid1(VALU_DEP_1)
	v_sub_nc_u32_e32 v2, v2, v5
	v_cmp_ne_u32_e64 s5, 0, v2
	s_and_b32 s5, s5, s6
	s_delay_alu instid0(SALU_CYCLE_1) | instskip(NEXT) | instid1(SALU_CYCLE_1)
	s_and_saveexec_b32 s6, s5
	s_xor_b32 s5, exec_lo, s6
	s_cbranch_execz .LBB162_16
; %bb.13:                               ;   in Loop: Header=BB162_12 Depth=1
	s_and_saveexec_b32 s6, s4
; %bb.14:                               ;   in Loop: Header=BB162_12 Depth=1
	ds_store_b32 v27, v28
; %bb.15:                               ;   in Loop: Header=BB162_12 Depth=1
	s_or_b32 exec_lo, exec_lo, s6
.LBB162_16:                             ;   in Loop: Header=BB162_12 Depth=1
	s_and_not1_saveexec_b32 s6, s5
	s_cbranch_execz .LBB162_11
; %bb.17:                               ;   in Loop: Header=BB162_12 Depth=1
	global_load_b32 v2, v[16:17], off
	v_dual_mov_b32 v15, 0 :: v_dual_mov_b32 v30, 0
	s_mov_b32 s43, exec_lo
	s_wait_loadcnt 0x0
	v_mad_nc_i64_i32 v[20:21], v2, s19, v[18:19]
	global_load_u8 v31, v[20:21], off
	ds_load_b128 v[6:9], v24
	ds_load_b128 v[2:5], v24 offset:16
	s_load_b32 s42, s[8:9], 0x0
	s_wait_loadcnt 0x0
	v_cmpx_ne_u16_e32 0, v31
	s_cbranch_execz .LBB162_25
; %bb.18:                               ;   in Loop: Header=BB162_12 Depth=1
	v_bfrev_b32_e32 v30, 1
	s_mov_b32 s44, exec_lo
	v_cmpx_ne_u16_e32 0x80, v31
	s_cbranch_execz .LBB162_24
; %bb.19:                               ;   in Loop: Header=BB162_12 Depth=1
	v_and_b32_e32 v12, 0xffff, v31
	v_mov_b32_e32 v30, 0x7f800001
	s_mov_b32 s45, exec_lo
	s_delay_alu instid0(VALU_DEP_2) | instskip(NEXT) | instid1(VALU_DEP_1)
	v_and_b32_e32 v32, 0x7f, v12
	v_cmpx_ne_u32_e32 0x7f, v32
	s_cbranch_execz .LBB162_23
; %bb.20:                               ;   in Loop: Header=BB162_12 Depth=1
	v_and_b32_e32 v12, 7, v12
	v_lshrrev_b32_e32 v30, 3, v32
	s_mov_b32 s46, exec_lo
	v_cmpx_gt_u32_e32 8, v32
; %bb.21:                               ;   in Loop: Header=BB162_12 Depth=1
	s_delay_alu instid0(VALU_DEP_3) | instskip(NEXT) | instid1(VALU_DEP_1)
	v_clz_i32_u32_e32 v30, v12
	v_min_u32_e32 v30, 32, v30
	s_delay_alu instid0(VALU_DEP_1) | instskip(NEXT) | instid1(VALU_DEP_1)
	v_subrev_nc_u32_e32 v32, 28, v30
	v_lshlrev_b64_e32 v[32:33], v32, v[12:13]
	s_delay_alu instid0(VALU_DEP_1)
	v_dual_sub_nc_u32 v30, 29, v30 :: v_dual_bitop2_b32 v12, 7, v32 bitop3:0x40
; %bb.22:                               ;   in Loop: Header=BB162_12 Depth=1
	s_or_b32 exec_lo, exec_lo, s46
	s_delay_alu instid0(VALU_DEP_1) | instskip(NEXT) | instid1(VALU_DEP_2)
	v_dual_lshlrev_b32 v31, 24, v31 :: v_dual_lshlrev_b32 v12, 20, v12
	v_lshl_add_u32 v30, v30, 23, 0x3c000000
	s_delay_alu instid0(VALU_DEP_2) | instskip(NEXT) | instid1(VALU_DEP_1)
	v_and_b32_e32 v31, 0x80000000, v31
	v_or3_b32 v30, v12, v31, v30
.LBB162_23:                             ;   in Loop: Header=BB162_12 Depth=1
	s_or_b32 exec_lo, exec_lo, s45
.LBB162_24:                             ;   in Loop: Header=BB162_12 Depth=1
	s_delay_alu instid0(SALU_CYCLE_1)
	s_or_b32 exec_lo, exec_lo, s44
.LBB162_25:                             ;   in Loop: Header=BB162_12 Depth=1
	s_delay_alu instid0(SALU_CYCLE_1)
	s_or_b32 exec_lo, exec_lo, s43
	global_load_u8 v31, v[20:21], off offset:4
	s_mov_b32 s43, exec_lo
	s_wait_loadcnt 0x0
	v_cmpx_ne_u16_e32 0, v31
	s_cbranch_execz .LBB162_33
; %bb.26:                               ;   in Loop: Header=BB162_12 Depth=1
	v_bfrev_b32_e32 v15, 1
	s_mov_b32 s44, exec_lo
	v_cmpx_ne_u16_e32 0x80, v31
	s_cbranch_execz .LBB162_32
; %bb.27:                               ;   in Loop: Header=BB162_12 Depth=1
	v_and_b32_e32 v12, 0xffff, v31
	v_mov_b32_e32 v15, 0x7f800001
	s_mov_b32 s45, exec_lo
	s_delay_alu instid0(VALU_DEP_2) | instskip(NEXT) | instid1(VALU_DEP_1)
	v_and_b32_e32 v32, 0x7f, v12
	v_cmpx_ne_u32_e32 0x7f, v32
	s_cbranch_execz .LBB162_31
; %bb.28:                               ;   in Loop: Header=BB162_12 Depth=1
	v_and_b32_e32 v12, 7, v12
	v_lshrrev_b32_e32 v15, 3, v32
	s_mov_b32 s46, exec_lo
	v_cmpx_gt_u32_e32 8, v32
; %bb.29:                               ;   in Loop: Header=BB162_12 Depth=1
	s_delay_alu instid0(VALU_DEP_3) | instskip(NEXT) | instid1(VALU_DEP_1)
	v_clz_i32_u32_e32 v15, v12
	v_min_u32_e32 v15, 32, v15
	s_delay_alu instid0(VALU_DEP_1) | instskip(NEXT) | instid1(VALU_DEP_1)
	v_subrev_nc_u32_e32 v32, 28, v15
	v_lshlrev_b64_e32 v[32:33], v32, v[12:13]
	s_delay_alu instid0(VALU_DEP_1)
	v_dual_sub_nc_u32 v15, 29, v15 :: v_dual_bitop2_b32 v12, 7, v32 bitop3:0x40
; %bb.30:                               ;   in Loop: Header=BB162_12 Depth=1
	s_or_b32 exec_lo, exec_lo, s46
	s_delay_alu instid0(VALU_DEP_1) | instskip(NEXT) | instid1(VALU_DEP_2)
	v_dual_lshlrev_b32 v31, 24, v31 :: v_dual_lshlrev_b32 v12, 20, v12
	v_lshl_add_u32 v15, v15, 23, 0x3c000000
	s_delay_alu instid0(VALU_DEP_2) | instskip(NEXT) | instid1(VALU_DEP_1)
	v_and_b32_e32 v31, 0x80000000, v31
	v_or3_b32 v15, v12, v31, v15
.LBB162_31:                             ;   in Loop: Header=BB162_12 Depth=1
	s_or_b32 exec_lo, exec_lo, s45
.LBB162_32:                             ;   in Loop: Header=BB162_12 Depth=1
	s_delay_alu instid0(SALU_CYCLE_1)
	s_or_b32 exec_lo, exec_lo, s44
.LBB162_33:                             ;   in Loop: Header=BB162_12 Depth=1
	s_delay_alu instid0(SALU_CYCLE_1)
	s_or_b32 exec_lo, exec_lo, s43
	global_load_u8 v33, v[20:21], off offset:8
	v_dual_mov_b32 v31, 0 :: v_dual_mov_b32 v32, 0
	s_mov_b32 s43, exec_lo
	s_wait_loadcnt 0x0
	v_cmpx_ne_u16_e32 0, v33
	s_cbranch_execz .LBB162_41
; %bb.34:                               ;   in Loop: Header=BB162_12 Depth=1
	v_bfrev_b32_e32 v32, 1
	s_mov_b32 s44, exec_lo
	v_cmpx_ne_u16_e32 0x80, v33
	s_cbranch_execz .LBB162_40
; %bb.35:                               ;   in Loop: Header=BB162_12 Depth=1
	v_and_b32_e32 v12, 0xffff, v33
	v_mov_b32_e32 v32, 0x7f800001
	s_mov_b32 s45, exec_lo
	s_delay_alu instid0(VALU_DEP_2) | instskip(NEXT) | instid1(VALU_DEP_1)
	v_and_b32_e32 v34, 0x7f, v12
	v_cmpx_ne_u32_e32 0x7f, v34
	s_cbranch_execz .LBB162_39
; %bb.36:                               ;   in Loop: Header=BB162_12 Depth=1
	v_dual_lshrrev_b32 v32, 3, v34 :: v_dual_bitop2_b32 v12, 7, v12 bitop3:0x40
	s_mov_b32 s46, exec_lo
	v_cmpx_gt_u32_e32 8, v34
; %bb.37:                               ;   in Loop: Header=BB162_12 Depth=1
	s_delay_alu instid0(VALU_DEP_2) | instskip(NEXT) | instid1(VALU_DEP_1)
	v_clz_i32_u32_e32 v32, v12
	v_min_u32_e32 v32, 32, v32
	s_delay_alu instid0(VALU_DEP_1) | instskip(NEXT) | instid1(VALU_DEP_1)
	v_subrev_nc_u32_e32 v34, 28, v32
	v_lshlrev_b64_e32 v[34:35], v34, v[12:13]
	s_delay_alu instid0(VALU_DEP_1)
	v_dual_sub_nc_u32 v32, 29, v32 :: v_dual_bitop2_b32 v12, 7, v34 bitop3:0x40
; %bb.38:                               ;   in Loop: Header=BB162_12 Depth=1
	s_or_b32 exec_lo, exec_lo, s46
	s_delay_alu instid0(VALU_DEP_1) | instskip(NEXT) | instid1(VALU_DEP_2)
	v_dual_lshlrev_b32 v33, 24, v33 :: v_dual_lshlrev_b32 v12, 20, v12
	v_lshl_add_u32 v32, v32, 23, 0x3c000000
	s_delay_alu instid0(VALU_DEP_2) | instskip(NEXT) | instid1(VALU_DEP_1)
	v_and_b32_e32 v33, 0x80000000, v33
	v_or3_b32 v32, v12, v33, v32
.LBB162_39:                             ;   in Loop: Header=BB162_12 Depth=1
	s_or_b32 exec_lo, exec_lo, s45
.LBB162_40:                             ;   in Loop: Header=BB162_12 Depth=1
	s_delay_alu instid0(SALU_CYCLE_1)
	s_or_b32 exec_lo, exec_lo, s44
.LBB162_41:                             ;   in Loop: Header=BB162_12 Depth=1
	s_delay_alu instid0(SALU_CYCLE_1)
	s_or_b32 exec_lo, exec_lo, s43
	global_load_u8 v33, v[20:21], off offset:12
	s_mov_b32 s43, exec_lo
	s_wait_loadcnt 0x0
	v_cmpx_ne_u16_e32 0, v33
	s_cbranch_execz .LBB162_49
; %bb.42:                               ;   in Loop: Header=BB162_12 Depth=1
	v_bfrev_b32_e32 v31, 1
	s_mov_b32 s44, exec_lo
	v_cmpx_ne_u16_e32 0x80, v33
	s_cbranch_execz .LBB162_48
; %bb.43:                               ;   in Loop: Header=BB162_12 Depth=1
	v_and_b32_e32 v12, 0xffff, v33
	v_mov_b32_e32 v31, 0x7f800001
	s_mov_b32 s45, exec_lo
	s_delay_alu instid0(VALU_DEP_2) | instskip(NEXT) | instid1(VALU_DEP_1)
	v_and_b32_e32 v34, 0x7f, v12
	v_cmpx_ne_u32_e32 0x7f, v34
	s_cbranch_execz .LBB162_47
; %bb.44:                               ;   in Loop: Header=BB162_12 Depth=1
	v_dual_lshrrev_b32 v31, 3, v34 :: v_dual_bitop2_b32 v12, 7, v12 bitop3:0x40
	s_mov_b32 s46, exec_lo
	v_cmpx_gt_u32_e32 8, v34
; %bb.45:                               ;   in Loop: Header=BB162_12 Depth=1
	s_delay_alu instid0(VALU_DEP_2) | instskip(NEXT) | instid1(VALU_DEP_1)
	v_clz_i32_u32_e32 v31, v12
	v_min_u32_e32 v31, 32, v31
	s_delay_alu instid0(VALU_DEP_1) | instskip(NEXT) | instid1(VALU_DEP_1)
	v_subrev_nc_u32_e32 v34, 28, v31
	v_lshlrev_b64_e32 v[34:35], v34, v[12:13]
	s_delay_alu instid0(VALU_DEP_1)
	v_dual_sub_nc_u32 v31, 29, v31 :: v_dual_bitop2_b32 v12, 7, v34 bitop3:0x40
; %bb.46:                               ;   in Loop: Header=BB162_12 Depth=1
	s_or_b32 exec_lo, exec_lo, s46
	s_delay_alu instid0(VALU_DEP_1) | instskip(NEXT) | instid1(VALU_DEP_2)
	v_dual_lshlrev_b32 v33, 24, v33 :: v_dual_lshlrev_b32 v12, 20, v12
	v_lshl_add_u32 v31, v31, 23, 0x3c000000
	s_delay_alu instid0(VALU_DEP_2) | instskip(NEXT) | instid1(VALU_DEP_1)
	v_and_b32_e32 v33, 0x80000000, v33
	v_or3_b32 v31, v12, v33, v31
.LBB162_47:                             ;   in Loop: Header=BB162_12 Depth=1
	s_or_b32 exec_lo, exec_lo, s45
.LBB162_48:                             ;   in Loop: Header=BB162_12 Depth=1
	s_delay_alu instid0(SALU_CYCLE_1)
	s_or_b32 exec_lo, exec_lo, s44
.LBB162_49:                             ;   in Loop: Header=BB162_12 Depth=1
	s_delay_alu instid0(SALU_CYCLE_1)
	s_or_b32 exec_lo, exec_lo, s43
	global_load_u8 v35, v[20:21], off offset:128
	v_dual_mov_b32 v33, 0 :: v_dual_mov_b32 v34, 0
	s_mov_b32 s43, exec_lo
	s_wait_loadcnt 0x0
	v_cmpx_ne_u16_e32 0, v35
	s_cbranch_execz .LBB162_57
; %bb.50:                               ;   in Loop: Header=BB162_12 Depth=1
	v_bfrev_b32_e32 v34, 1
	s_mov_b32 s44, exec_lo
	v_cmpx_ne_u16_e32 0x80, v35
	s_cbranch_execz .LBB162_56
; %bb.51:                               ;   in Loop: Header=BB162_12 Depth=1
	v_and_b32_e32 v12, 0xffff, v35
	v_mov_b32_e32 v34, 0x7f800001
	s_mov_b32 s45, exec_lo
	s_delay_alu instid0(VALU_DEP_2) | instskip(NEXT) | instid1(VALU_DEP_1)
	v_and_b32_e32 v36, 0x7f, v12
	v_cmpx_ne_u32_e32 0x7f, v36
	s_cbranch_execz .LBB162_55
; %bb.52:                               ;   in Loop: Header=BB162_12 Depth=1
	v_and_b32_e32 v12, 7, v12
	v_lshrrev_b32_e32 v34, 3, v36
	s_mov_b32 s46, exec_lo
	v_cmpx_gt_u32_e32 8, v36
; %bb.53:                               ;   in Loop: Header=BB162_12 Depth=1
	s_delay_alu instid0(VALU_DEP_3) | instskip(NEXT) | instid1(VALU_DEP_1)
	v_clz_i32_u32_e32 v34, v12
	v_min_u32_e32 v34, 32, v34
	s_delay_alu instid0(VALU_DEP_1) | instskip(NEXT) | instid1(VALU_DEP_1)
	v_subrev_nc_u32_e32 v36, 28, v34
	v_lshlrev_b64_e32 v[36:37], v36, v[12:13]
	s_delay_alu instid0(VALU_DEP_1)
	v_dual_sub_nc_u32 v34, 29, v34 :: v_dual_bitop2_b32 v12, 7, v36 bitop3:0x40
; %bb.54:                               ;   in Loop: Header=BB162_12 Depth=1
	s_or_b32 exec_lo, exec_lo, s46
	s_delay_alu instid0(VALU_DEP_1) | instskip(NEXT) | instid1(VALU_DEP_2)
	v_dual_lshlrev_b32 v35, 24, v35 :: v_dual_lshlrev_b32 v12, 20, v12
	v_lshl_add_u32 v34, v34, 23, 0x3c000000
	s_delay_alu instid0(VALU_DEP_2) | instskip(NEXT) | instid1(VALU_DEP_1)
	v_and_b32_e32 v35, 0x80000000, v35
	v_or3_b32 v34, v12, v35, v34
.LBB162_55:                             ;   in Loop: Header=BB162_12 Depth=1
	s_or_b32 exec_lo, exec_lo, s45
.LBB162_56:                             ;   in Loop: Header=BB162_12 Depth=1
	s_delay_alu instid0(SALU_CYCLE_1)
	s_or_b32 exec_lo, exec_lo, s44
.LBB162_57:                             ;   in Loop: Header=BB162_12 Depth=1
	s_delay_alu instid0(SALU_CYCLE_1)
	s_or_b32 exec_lo, exec_lo, s43
	global_load_u8 v35, v[20:21], off offset:132
	s_mov_b32 s43, exec_lo
	s_wait_loadcnt 0x0
	v_cmpx_ne_u16_e32 0, v35
	s_cbranch_execz .LBB162_65
; %bb.58:                               ;   in Loop: Header=BB162_12 Depth=1
	v_bfrev_b32_e32 v33, 1
	s_mov_b32 s44, exec_lo
	v_cmpx_ne_u16_e32 0x80, v35
	s_cbranch_execz .LBB162_64
; %bb.59:                               ;   in Loop: Header=BB162_12 Depth=1
	v_and_b32_e32 v12, 0xffff, v35
	v_mov_b32_e32 v33, 0x7f800001
	s_mov_b32 s45, exec_lo
	s_delay_alu instid0(VALU_DEP_2) | instskip(NEXT) | instid1(VALU_DEP_1)
	v_and_b32_e32 v36, 0x7f, v12
	v_cmpx_ne_u32_e32 0x7f, v36
	s_cbranch_execz .LBB162_63
; %bb.60:                               ;   in Loop: Header=BB162_12 Depth=1
	v_and_b32_e32 v12, 7, v12
	v_lshrrev_b32_e32 v33, 3, v36
	s_mov_b32 s46, exec_lo
	v_cmpx_gt_u32_e32 8, v36
; %bb.61:                               ;   in Loop: Header=BB162_12 Depth=1
	s_delay_alu instid0(VALU_DEP_3) | instskip(NEXT) | instid1(VALU_DEP_1)
	v_clz_i32_u32_e32 v33, v12
	v_min_u32_e32 v33, 32, v33
	s_delay_alu instid0(VALU_DEP_1) | instskip(NEXT) | instid1(VALU_DEP_1)
	v_subrev_nc_u32_e32 v36, 28, v33
	v_lshlrev_b64_e32 v[36:37], v36, v[12:13]
	s_delay_alu instid0(VALU_DEP_1)
	v_dual_sub_nc_u32 v33, 29, v33 :: v_dual_bitop2_b32 v12, 7, v36 bitop3:0x40
; %bb.62:                               ;   in Loop: Header=BB162_12 Depth=1
	s_or_b32 exec_lo, exec_lo, s46
	s_delay_alu instid0(VALU_DEP_1) | instskip(NEXT) | instid1(VALU_DEP_2)
	v_dual_lshlrev_b32 v35, 24, v35 :: v_dual_lshlrev_b32 v12, 20, v12
	v_lshl_add_u32 v33, v33, 23, 0x3c000000
	s_delay_alu instid0(VALU_DEP_2) | instskip(NEXT) | instid1(VALU_DEP_1)
	v_and_b32_e32 v35, 0x80000000, v35
	v_or3_b32 v33, v12, v35, v33
.LBB162_63:                             ;   in Loop: Header=BB162_12 Depth=1
	s_or_b32 exec_lo, exec_lo, s45
.LBB162_64:                             ;   in Loop: Header=BB162_12 Depth=1
	s_delay_alu instid0(SALU_CYCLE_1)
	s_or_b32 exec_lo, exec_lo, s44
.LBB162_65:                             ;   in Loop: Header=BB162_12 Depth=1
	s_delay_alu instid0(SALU_CYCLE_1)
	s_or_b32 exec_lo, exec_lo, s43
	global_load_u8 v37, v[20:21], off offset:136
	v_dual_mov_b32 v35, 0 :: v_dual_mov_b32 v36, 0
	s_mov_b32 s43, exec_lo
	s_wait_loadcnt 0x0
	v_cmpx_ne_u16_e32 0, v37
	s_cbranch_execz .LBB162_73
; %bb.66:                               ;   in Loop: Header=BB162_12 Depth=1
	v_bfrev_b32_e32 v36, 1
	s_mov_b32 s44, exec_lo
	v_cmpx_ne_u16_e32 0x80, v37
	s_cbranch_execz .LBB162_72
; %bb.67:                               ;   in Loop: Header=BB162_12 Depth=1
	v_and_b32_e32 v12, 0xffff, v37
	v_mov_b32_e32 v36, 0x7f800001
	s_mov_b32 s45, exec_lo
	s_delay_alu instid0(VALU_DEP_2) | instskip(NEXT) | instid1(VALU_DEP_1)
	v_and_b32_e32 v38, 0x7f, v12
	v_cmpx_ne_u32_e32 0x7f, v38
	s_cbranch_execz .LBB162_71
; %bb.68:                               ;   in Loop: Header=BB162_12 Depth=1
	v_dual_lshrrev_b32 v36, 3, v38 :: v_dual_bitop2_b32 v12, 7, v12 bitop3:0x40
	s_mov_b32 s46, exec_lo
	v_cmpx_gt_u32_e32 8, v38
; %bb.69:                               ;   in Loop: Header=BB162_12 Depth=1
	s_delay_alu instid0(VALU_DEP_2) | instskip(NEXT) | instid1(VALU_DEP_1)
	v_clz_i32_u32_e32 v36, v12
	v_min_u32_e32 v36, 32, v36
	s_delay_alu instid0(VALU_DEP_1) | instskip(NEXT) | instid1(VALU_DEP_1)
	v_subrev_nc_u32_e32 v38, 28, v36
	v_lshlrev_b64_e32 v[38:39], v38, v[12:13]
	s_delay_alu instid0(VALU_DEP_1)
	v_dual_sub_nc_u32 v36, 29, v36 :: v_dual_bitop2_b32 v12, 7, v38 bitop3:0x40
; %bb.70:                               ;   in Loop: Header=BB162_12 Depth=1
	s_or_b32 exec_lo, exec_lo, s46
	s_delay_alu instid0(VALU_DEP_1) | instskip(NEXT) | instid1(VALU_DEP_2)
	v_dual_lshlrev_b32 v37, 24, v37 :: v_dual_lshlrev_b32 v12, 20, v12
	v_lshl_add_u32 v36, v36, 23, 0x3c000000
	s_delay_alu instid0(VALU_DEP_2) | instskip(NEXT) | instid1(VALU_DEP_1)
	v_and_b32_e32 v37, 0x80000000, v37
	v_or3_b32 v36, v12, v37, v36
.LBB162_71:                             ;   in Loop: Header=BB162_12 Depth=1
	s_or_b32 exec_lo, exec_lo, s45
.LBB162_72:                             ;   in Loop: Header=BB162_12 Depth=1
	s_delay_alu instid0(SALU_CYCLE_1)
	s_or_b32 exec_lo, exec_lo, s44
.LBB162_73:                             ;   in Loop: Header=BB162_12 Depth=1
	s_delay_alu instid0(SALU_CYCLE_1)
	s_or_b32 exec_lo, exec_lo, s43
	global_load_u8 v20, v[20:21], off offset:140
	s_mov_b32 s43, exec_lo
	s_wait_loadcnt 0x0
	v_cmpx_ne_u16_e32 0, v20
	s_cbranch_execz .LBB162_81
; %bb.74:                               ;   in Loop: Header=BB162_12 Depth=1
	v_bfrev_b32_e32 v35, 1
	s_mov_b32 s44, exec_lo
	v_cmpx_ne_u16_e32 0x80, v20
	s_cbranch_execz .LBB162_80
; %bb.75:                               ;   in Loop: Header=BB162_12 Depth=1
	v_and_b32_e32 v12, 0xffff, v20
	v_mov_b32_e32 v35, 0x7f800001
	s_mov_b32 s45, exec_lo
	s_delay_alu instid0(VALU_DEP_2) | instskip(NEXT) | instid1(VALU_DEP_1)
	v_and_b32_e32 v37, 0x7f, v12
	v_cmpx_ne_u32_e32 0x7f, v37
	s_cbranch_execz .LBB162_79
; %bb.76:                               ;   in Loop: Header=BB162_12 Depth=1
	v_dual_lshrrev_b32 v21, 3, v37 :: v_dual_bitop2_b32 v12, 7, v12 bitop3:0x40
	s_mov_b32 s46, exec_lo
	v_cmpx_gt_u32_e32 8, v37
; %bb.77:                               ;   in Loop: Header=BB162_12 Depth=1
	s_delay_alu instid0(VALU_DEP_2) | instskip(NEXT) | instid1(VALU_DEP_1)
	v_clz_i32_u32_e32 v21, v12
	v_min_u32_e32 v21, 32, v21
	s_delay_alu instid0(VALU_DEP_1) | instskip(NEXT) | instid1(VALU_DEP_1)
	v_subrev_nc_u32_e32 v35, 28, v21
	v_lshlrev_b64_e32 v[38:39], v35, v[12:13]
	s_delay_alu instid0(VALU_DEP_1)
	v_dual_sub_nc_u32 v21, 29, v21 :: v_dual_bitop2_b32 v12, 7, v38 bitop3:0x40
; %bb.78:                               ;   in Loop: Header=BB162_12 Depth=1
	s_or_b32 exec_lo, exec_lo, s46
	v_lshlrev_b32_e32 v20, 24, v20
	s_delay_alu instid0(VALU_DEP_2) | instskip(NEXT) | instid1(VALU_DEP_3)
	v_lshlrev_b32_e32 v12, 20, v12
	v_lshl_add_u32 v21, v21, 23, 0x3c000000
	s_delay_alu instid0(VALU_DEP_3) | instskip(NEXT) | instid1(VALU_DEP_1)
	v_and_b32_e32 v20, 0x80000000, v20
	v_or3_b32 v35, v12, v20, v21
.LBB162_79:                             ;   in Loop: Header=BB162_12 Depth=1
	s_or_b32 exec_lo, exec_lo, s45
.LBB162_80:                             ;   in Loop: Header=BB162_12 Depth=1
	s_delay_alu instid0(SALU_CYCLE_1)
	s_or_b32 exec_lo, exec_lo, s44
.LBB162_81:                             ;   in Loop: Header=BB162_12 Depth=1
	s_delay_alu instid0(SALU_CYCLE_1) | instskip(SKIP_3) | instid1(VALU_DEP_1)
	s_or_b32 exec_lo, exec_lo, s43
	s_wait_kmcnt 0x0
	v_dual_mul_f32 v12, s42, v15 :: v_dual_mul_f32 v15, s42, v30
	s_wait_dscnt 0x1
	v_mul_f32_e32 v7, v7, v12
	s_delay_alu instid0(VALU_DEP_1) | instskip(NEXT) | instid1(VALU_DEP_1)
	v_dual_mul_f32 v12, s42, v32 :: v_dual_fmac_f32 v7, v6, v15
	v_dual_mul_f32 v6, s42, v31 :: v_dual_fmac_f32 v7, v8, v12
	v_mul_f32_e32 v8, s42, v34
	s_delay_alu instid0(VALU_DEP_2) | instskip(SKIP_1) | instid1(VALU_DEP_1)
	v_dual_fmac_f32 v7, v9, v6 :: v_dual_mul_f32 v6, s42, v33
	s_wait_dscnt 0x0
	v_dual_fmac_f32 v7, v2, v8 :: v_dual_bitop2_b32 v2, 2, v22 bitop3:0x14
	s_delay_alu instid0(VALU_DEP_1) | instskip(NEXT) | instid1(VALU_DEP_2)
	v_dual_mul_f32 v8, s42, v36 :: v_dual_fmac_f32 v7, v3, v6
	v_cmp_gt_i32_e64 s5, 32, v2
	s_delay_alu instid0(VALU_DEP_1) | instskip(NEXT) | instid1(VALU_DEP_1)
	v_dual_mul_f32 v3, s42, v35 :: v_dual_cndmask_b32 v2, v22, v2, s5
	v_dual_fmac_f32 v7, v4, v8 :: v_dual_lshlrev_b32 v2, 2, v2
	s_delay_alu instid0(VALU_DEP_1) | instskip(SKIP_3) | instid1(VALU_DEP_1)
	v_dual_fmac_f32 v7, v5, v3 :: v_dual_bitop2_b32 v3, 1, v22 bitop3:0x14
	ds_bpermute_b32 v2, v2, v7
	v_cmp_gt_i32_e64 s5, 32, v3
	s_wait_dscnt 0x0
	v_dual_cndmask_b32 v3, v22, v3, s5 :: v_dual_add_f32 v2, v7, v2
	s_delay_alu instid0(VALU_DEP_1)
	v_lshlrev_b32_e32 v3, 2, v3
	ds_bpermute_b32 v3, v3, v2
	s_and_saveexec_b32 s42, s4
	s_cbranch_execz .LBB162_10
; %bb.82:                               ;   in Loop: Header=BB162_12 Depth=1
	v_add_nc_u32_e32 v4, v26, v14
	s_wait_dscnt 0x0
	v_add_f32_e32 v2, v2, v3
	s_delay_alu instid0(VALU_DEP_2) | instskip(NEXT) | instid1(VALU_DEP_1)
	v_cvt_f32_i32_e32 v4, v4
	v_mul_f32_e32 v4, s37, v4
	s_delay_alu instid0(VALU_DEP_1) | instskip(NEXT) | instid1(VALU_DEP_1)
	v_dual_cndmask_b32 v3, 0, v4 :: v_dual_max_num_f32 v4, v25, v25
	v_fmac_f32_e32 v3, s7, v2
	v_add_nc_u32_e32 v2, v23, v14
	s_delay_alu instid0(VALU_DEP_1) | instskip(NEXT) | instid1(VALU_DEP_3)
	v_cmp_gt_i32_e64 s5, s34, v2
	v_max_num_f32_e32 v4, v4, v3
	s_delay_alu instid0(VALU_DEP_1)
	v_dual_cndmask_b32 v25, v25, v4, s5 :: v_dual_cndmask_b32 v2, 0, v3, s5
	ds_store_b32 v27, v2
	s_branch .LBB162_10
.LBB162_83:
	s_or_b32 exec_lo, exec_lo, s41
.LBB162_84:
	s_delay_alu instid0(SALU_CYCLE_1)
	s_or_b32 exec_lo, exec_lo, s38
	v_dual_max_num_f32 v5, v25, v25 :: v_dual_bitop2_b32 v2, 16, v22 bitop3:0x14
	v_xor_b32_e32 v4, 8, v22
	s_clause 0x1
	s_load_b64 s[6:7], s[0:1], 0x0
	s_load_b64 s[8:9], s[0:1], 0x18
	v_and_b32_e32 v28, 31, v0
	v_cmp_gt_i32_e32 vcc_lo, 32, v2
	v_cndmask_b32_e32 v2, v22, v2, vcc_lo
	v_cmp_gt_i32_e32 vcc_lo, 32, v4
	s_delay_alu instid0(VALU_DEP_2) | instskip(SKIP_4) | instid1(VALU_DEP_1)
	v_dual_cndmask_b32 v4, v22, v4, vcc_lo :: v_dual_lshlrev_b32 v2, 2, v2
	s_wait_dscnt 0x0
	ds_bpermute_b32 v3, v2, v25
	s_wait_dscnt 0x0
	v_dual_max_num_f32 v6, v3, v3 :: v_dual_lshlrev_b32 v3, 2, v4
	v_max_num_f32_e32 v4, v5, v6
	ds_bpermute_b32 v5, v3, v4
	s_wait_dscnt 0x0
	v_dual_max_num_f32 v5, v5, v5 :: v_dual_bitop2_b32 v6, 4, v22 bitop3:0x14
	s_delay_alu instid0(VALU_DEP_1) | instskip(NEXT) | instid1(VALU_DEP_2)
	v_max_num_f32_e32 v5, v4, v5
	v_cmp_gt_i32_e32 vcc_lo, 32, v6
	v_dual_lshlrev_b32 v4, 2, v1 :: v_dual_cndmask_b32 v6, v22, v6, vcc_lo
	v_cmp_eq_u32_e32 vcc_lo, 0, v28
	s_delay_alu instid0(VALU_DEP_2)
	v_lshlrev_b32_e32 v6, 2, v6
	ds_bpermute_b32 v7, v6, v5
	s_wait_xcnt 0x0
	s_and_saveexec_b32 s0, vcc_lo
	s_cbranch_execz .LBB162_86
; %bb.85:
	s_wait_dscnt 0x0
	v_dual_max_num_f32 v7, v7, v7 :: v_dual_max_num_f32 v5, v5, v5
	s_delay_alu instid0(VALU_DEP_1)
	v_max_num_f32_e32 v5, v5, v7
	ds_store_b32 v4, v5 offset:128
.LBB162_86:
	s_or_b32 exec_lo, exec_lo, s0
	v_cmp_gt_u32_e64 s0, 4, v28
	v_dual_mov_b32 v8, 0xff7fffff :: v_dual_lshlrev_b32 v5, 2, v28
	s_wait_dscnt 0x0
	s_barrier_signal -1
	s_barrier_wait -1
	s_and_saveexec_b32 s1, s0
; %bb.87:
	ds_load_b32 v8, v5 offset:128
; %bb.88:
	s_or_b32 exec_lo, exec_lo, s1
	v_xor_b32_e32 v7, 2, v22
	v_xor_b32_e32 v12, 1, v22
	s_delay_alu instid0(VALU_DEP_2) | instskip(NEXT) | instid1(VALU_DEP_1)
	v_cmp_gt_i32_e64 s1, 32, v7
	v_cndmask_b32_e64 v7, v22, v7, s1
	s_delay_alu instid0(VALU_DEP_3) | instskip(NEXT) | instid1(VALU_DEP_1)
	v_cmp_gt_i32_e64 s1, 32, v12
	v_dual_lshlrev_b32 v7, 2, v7 :: v_dual_cndmask_b32 v12, v22, v12, s1
	s_lshl_b32 s1, s35, 3
	s_delay_alu instid0(SALU_CYCLE_1)
	s_min_i32 s5, s1, s34
	s_wait_dscnt 0x0
	ds_bpermute_b32 v9, v7, v8
	v_max_num_f32_e32 v8, v8, v8
	v_cmp_gt_i32_e64 s1, s5, v0
	s_wait_dscnt 0x0
	v_dual_lshlrev_b32 v29, 2, v12 :: v_dual_max_num_f32 v9, v9, v9
	s_delay_alu instid0(VALU_DEP_1) | instskip(SKIP_3) | instid1(VALU_DEP_1)
	v_max_num_f32_e32 v8, v8, v9
	ds_bpermute_b32 v9, v29, v8
	s_wait_dscnt 0x0
	v_max_num_f32_e32 v9, v9, v9
	v_dual_max_num_f32 v9, v8, v9 :: v_dual_mov_b32 v8, 0
	ds_bpermute_b32 v9, v8, v9
	s_and_saveexec_b32 s19, s1
	s_cbranch_execz .LBB162_92
; %bb.89:
	v_lshl_add_u32 v12, v0, 2, 0xa0
	v_dual_mov_b32 v8, 0 :: v_dual_mov_b32 v13, v0
	s_mov_b32 s28, 0
.LBB162_90:                             ; =>This Inner Loop Header: Depth=1
	ds_load_b32 v14, v12
	s_wait_dscnt 0x0
	v_sub_f32_e32 v14, v14, v9
	s_delay_alu instid0(VALU_DEP_1) | instskip(NEXT) | instid1(VALU_DEP_1)
	v_mul_f32_e32 v14, 0x3fb8aa3b, v14
	v_exp_f32_e32 v14, v14
	v_nop
	s_delay_alu instid0(TRANS32_DEP_1) | instskip(NEXT) | instid1(VALU_DEP_1)
	v_dual_add_f32 v8, v8, v14 :: v_dual_add_nc_u32 v13, 0x80, v13
	v_cmp_le_i32_e64 s4, s5, v13
	ds_store_b32 v12, v14
	v_add_nc_u32_e32 v12, 0x200, v12
	s_or_b32 s28, s4, s28
	s_delay_alu instid0(SALU_CYCLE_1)
	s_and_not1_b32 exec_lo, exec_lo, s28
	s_cbranch_execnz .LBB162_90
; %bb.91:
	s_or_b32 exec_lo, exec_lo, s28
.LBB162_92:
	s_delay_alu instid0(SALU_CYCLE_1)
	s_or_b32 exec_lo, exec_lo, s19
	ds_bpermute_b32 v2, v2, v8
	s_wait_dscnt 0x0
	v_add_f32_e32 v2, v8, v2
	ds_bpermute_b32 v3, v3, v2
	s_wait_dscnt 0x0
	v_add_f32_e32 v2, v2, v3
	;; [unrolled: 3-line block ×5, first 2 shown]
	s_and_saveexec_b32 s4, vcc_lo
; %bb.93:
	ds_store_b32 v4, v2 offset:144
; %bb.94:
	s_or_b32 exec_lo, exec_lo, s4
	s_wait_dscnt 0x0
	s_barrier_signal -1
	s_barrier_wait -1
	s_and_saveexec_b32 s4, s0
; %bb.95:
	ds_load_b32 v2, v5 offset:144
; %bb.96:
	s_or_b32 exec_lo, exec_lo, s4
	s_wait_dscnt 0x0
	ds_bpermute_b32 v3, v7, v2
	s_wait_dscnt 0x0
	v_dual_mov_b32 v7, 0 :: v_dual_add_f32 v2, v2, v3
	ds_bpermute_b32 v3, v29, v2
	s_wait_dscnt 0x0
	v_add_f32_e32 v2, v2, v3
	ds_bpermute_b32 v2, v7, v2
	s_and_saveexec_b32 s0, s1
	s_cbranch_execz .LBB162_109
; %bb.97:
	s_wait_dscnt 0x0
	v_add_f32_e32 v2, 0x358637bd, v2
	s_mov_b32 s4, -1
	s_mov_b32 s1, exec_lo
	s_delay_alu instid0(VALU_DEP_1) | instskip(NEXT) | instid1(VALU_DEP_1)
	v_div_scale_f32 v3, null, v2, v2, 1.0
	v_rcp_f32_e32 v5, v3
	v_nop
	s_delay_alu instid0(TRANS32_DEP_1) | instskip(NEXT) | instid1(VALU_DEP_1)
	v_fma_f32 v4, -v3, v5, 1.0
	v_fmac_f32_e32 v5, v4, v5
	v_div_scale_f32 v6, vcc_lo, 1.0, v2, 1.0
	s_delay_alu instid0(VALU_DEP_1) | instskip(NEXT) | instid1(VALU_DEP_1)
	v_mul_f32_e32 v8, v6, v5
	v_fma_f32 v4, -v3, v8, v6
	s_delay_alu instid0(VALU_DEP_1) | instskip(SKIP_1) | instid1(VALU_DEP_2)
	v_fmac_f32_e32 v8, v4, v5
	v_xad_u32 v4, v0, -1, s5
	v_fma_f32 v3, -v3, v8, v6
	s_delay_alu instid0(VALU_DEP_1) | instskip(NEXT) | instid1(VALU_DEP_1)
	v_div_fmas_f32 v3, v3, v5, v8
	v_div_fixup_f32 v2, v3, v2, 1.0
	v_mov_b32_e32 v3, v0
	v_cmpx_lt_u32_e32 0x7f, v4
	s_cbranch_execz .LBB162_106
; %bb.98:
	s_delay_alu instid0(VALU_DEP_3) | instskip(NEXT) | instid1(VALU_DEP_1)
	v_dual_mov_b32 v3, v2 :: v_dual_lshrrev_b32 v4, 7, v4
	v_dual_mov_b32 v9, 0 :: v_dual_add_nc_u32 v5, -1, v4
	s_delay_alu instid0(VALU_DEP_1) | instskip(SKIP_1) | instid1(VALU_DEP_2)
	v_lshrrev_b32_e32 v6, 1, v5
	v_cmp_lt_u32_e32 vcc_lo, 13, v5
	v_add_nc_u32_e32 v5, 1, v6
	s_and_saveexec_b32 s4, vcc_lo
	s_cbranch_execz .LBB162_102
; %bb.99:
	s_delay_alu instid0(VALU_DEP_1)
	v_and_b32_e32 v6, -8, v5
	v_lshl_add_u32 v8, v0, 2, 0xa0
	s_mov_b32 s19, 0
	s_mov_b32 s28, 0
.LBB162_100:                            ; =>This Inner Loop Header: Depth=1
	ds_load_2addr_stride64_b32 v[12:13], v8 offset1:2
	ds_load_2addr_stride64_b32 v[14:15], v8 offset0:4 offset1:6
	ds_load_2addr_stride64_b32 v[16:17], v8 offset0:8 offset1:10
	;; [unrolled: 1-line block ×7, first 2 shown]
	s_add_co_i32 s28, s28, 16
	s_delay_alu instid0(SALU_CYCLE_1) | instskip(NEXT) | instid1(VALU_DEP_1)
	v_dual_mov_b32 v9, s28 :: v_dual_add_nc_u32 v6, -8, v6
	v_cmp_eq_u32_e32 vcc_lo, 0, v6
	s_or_b32 s19, vcc_lo, s19
	s_wait_dscnt 0x7
	v_pk_mul_f32 v[12:13], v[2:3], v[12:13]
	s_wait_dscnt 0x6
	v_pk_mul_f32 v[14:15], v[2:3], v[14:15]
	;; [unrolled: 2-line block ×8, first 2 shown]
	ds_store_2addr_stride64_b32 v8, v12, v13 offset1:2
	ds_store_2addr_stride64_b32 v8, v14, v15 offset0:4 offset1:6
	ds_store_2addr_stride64_b32 v8, v16, v17 offset0:8 offset1:10
	;; [unrolled: 1-line block ×7, first 2 shown]
	v_add_nc_u32_e32 v8, 0x2000, v8
	s_and_not1_b32 exec_lo, exec_lo, s19
	s_cbranch_execnz .LBB162_100
; %bb.101:
	s_or_b32 exec_lo, exec_lo, s19
.LBB162_102:
	s_delay_alu instid0(SALU_CYCLE_1) | instskip(NEXT) | instid1(VALU_DEP_1)
	s_or_b32 exec_lo, exec_lo, s4
	v_and_b32_e32 v5, 7, v5
	s_mov_b32 s19, 0
	s_mov_b32 s4, exec_lo
	s_delay_alu instid0(VALU_DEP_1)
	v_cmpx_ne_u32_e32 0, v5
	s_cbranch_execz .LBB162_105
; %bb.103:
	v_dual_lshlrev_b32 v6, 9, v9 :: v_dual_lshlrev_b32 v8, 2, v0
	s_delay_alu instid0(VALU_DEP_1)
	v_add3_u32 v6, v6, v8, 0xa0
.LBB162_104:                            ; =>This Inner Loop Header: Depth=1
	ds_load_2addr_stride64_b32 v[8:9], v6 offset1:2
	v_add_nc_u32_e32 v5, -1, v5
	s_delay_alu instid0(VALU_DEP_1)
	v_cmp_eq_u32_e32 vcc_lo, 0, v5
	s_or_b32 s19, vcc_lo, s19
	s_wait_dscnt 0x0
	v_pk_mul_f32 v[8:9], v[2:3], v[8:9]
	ds_store_2addr_stride64_b32 v6, v8, v9 offset1:2
	v_add_nc_u32_e32 v6, 0x400, v6
	s_and_not1_b32 exec_lo, exec_lo, s19
	s_cbranch_execnz .LBB162_104
.LBB162_105:
	s_or_b32 exec_lo, exec_lo, s4
	v_add_nc_u32_e32 v3, 1, v4
	s_delay_alu instid0(VALU_DEP_1) | instskip(NEXT) | instid1(VALU_DEP_1)
	v_and_b32_e32 v4, 0x3fffffe, v3
	v_cmp_ne_u32_e32 vcc_lo, v3, v4
	v_lshl_add_u32 v3, v4, 7, v0
	s_or_not1_b32 s4, vcc_lo, exec_lo
.LBB162_106:
	s_or_b32 exec_lo, exec_lo, s1
	s_delay_alu instid0(SALU_CYCLE_1)
	s_and_b32 exec_lo, exec_lo, s4
	s_cbranch_execz .LBB162_109
; %bb.107:
	v_lshl_add_u32 v4, v3, 2, 0xa0
	s_mov_b32 s1, 0
.LBB162_108:                            ; =>This Inner Loop Header: Depth=1
	ds_load_b32 v5, v4
	v_add_nc_u32_e32 v3, 0x80, v3
	s_delay_alu instid0(VALU_DEP_1)
	v_cmp_le_i32_e32 vcc_lo, s5, v3
	s_or_b32 s1, vcc_lo, s1
	s_wait_dscnt 0x0
	v_mul_f32_e32 v5, v2, v5
	ds_store_b32 v4, v5
	v_add_nc_u32_e32 v4, 0x200, v4
	s_and_not1_b32 exec_lo, exec_lo, s1
	s_cbranch_execnz .LBB162_108
.LBB162_109:
	s_or_b32 exec_lo, exec_lo, s0
	v_dual_mov_b32 v6, 0 :: v_dual_bitop2_b32 v30, 1, v0 bitop3:0x40
	s_wait_dscnt 0x0
	s_barrier_signal -1
	s_barrier_wait -1
	s_and_saveexec_b32 s1, s3
	s_cbranch_execz .LBB162_183
; %bb.110:
	s_abs_i32 s3, s14
	v_dual_mov_b32 v9, 0 :: v_dual_lshlrev_b32 v2, 2, v0
	s_cvt_f32_u32 s0, s3
	s_ashr_i32 s19, s18, 31
	v_dual_mov_b32 v31, v1 :: v_dual_lshlrev_b32 v4, 4, v30
	s_delay_alu instid0(SALU_CYCLE_1)
	v_rcp_iflag_f32_e32 v3, s0
	v_and_b32_e32 v8, 0x7c, v2
	s_wait_kmcnt 0x0
	s_add_nc_u64 s[8:9], s[8:9], s[18:19]
	s_lshl_b64 s[26:27], s[26:27], 2
	s_sub_co_i32 s4, 0, s3
	v_dual_mov_b32 v6, 0 :: v_dual_bitop2_b32 v32, 4, v2 bitop3:0x40
	v_readfirstlane_b32 s0, v3
	v_add_nc_u64_e32 v[12:13], s[8:9], v[8:9]
	v_and_b32_e32 v8, 0x7c, v11
	v_lshl_or_b32 v3, v1, 5, v4
	s_add_nc_u64 s[8:9], s[24:25], s[26:27]
	s_mul_f32 s0, s0, 0x4f7ffffe
	v_mov_b32_e32 v7, 0
	v_add_nc_u64_e32 v[14:15], s[8:9], v[8:9]
	v_add_nc_u32_e32 v33, 0xa0, v3
	s_cvt_u32_f32 s0, s0
	s_mov_b32 s5, 0
	s_sub_co_i32 s13, s36, s13
	s_mov_b32 s14, s17
	s_mul_i32 s4, s4, s0
	s_add_co_i32 s17, s35, -1
	s_mul_hi_u32 s4, s0, s4
	s_mov_b32 s18, s34
	s_add_co_i32 s4, s0, s4
	s_mov_b32 s19, s5
	s_branch .LBB162_113
.LBB162_111:                            ;   in Loop: Header=BB162_113 Depth=1
	s_or_b32 exec_lo, exec_lo, s0
	s_wait_dscnt 0x0
	v_pk_mul_f32 v[20:21], v[2:3], v[20:21]
	v_mul_f32_e32 v8, v2, v18
	v_pk_mul_f32 v[22:23], v[4:5], v[22:23]
	s_delay_alu instid0(VALU_DEP_2) | instskip(NEXT) | instid1(VALU_DEP_1)
	v_dual_add_f32 v2, v21, v20 :: v_dual_fmac_f32 v8, v3, v19
	v_dual_add_f32 v2, v22, v2 :: v_dual_fmac_f32 v8, v4, v16
	s_delay_alu instid0(VALU_DEP_1) | instskip(NEXT) | instid1(VALU_DEP_1)
	v_dual_add_f32 v2, v23, v2 :: v_dual_fmac_f32 v8, v5, v17
	v_dual_add_f32 v7, v7, v2 :: v_dual_add_f32 v6, v6, v8
.LBB162_112:                            ;   in Loop: Header=BB162_113 Depth=1
	s_or_b32 exec_lo, exec_lo, s24
	v_dual_add_nc_u32 v31, 4, v31 :: v_dual_add_nc_u32 v10, 32, v10
	v_add_nc_u64_e32 v[14:15], 16, v[14:15]
	v_add_nc_u32_e32 v33, 0x80, v33
	s_delay_alu instid0(VALU_DEP_3) | instskip(SKIP_1) | instid1(SALU_CYCLE_1)
	v_cmp_le_i32_e32 vcc_lo, s35, v31
	s_or_b32 s19, vcc_lo, s19
	s_and_not1_b32 exec_lo, exec_lo, s19
	s_cbranch_execz .LBB162_182
.LBB162_113:                            ; =>This Inner Loop Header: Depth=1
	v_mov_b32_e32 v11, v9
	s_delay_alu instid0(VALU_DEP_1) | instskip(NEXT) | instid1(VALU_DEP_1)
	v_mul_u64_e32 v[2:3], s[22:23], v[10:11]
	v_mul_lo_u32 v2, v3, s16
	s_delay_alu instid0(VALU_DEP_1) | instskip(NEXT) | instid1(VALU_DEP_1)
	v_sub_nc_u32_e32 v2, v10, v2
	v_subrev_nc_u32_e32 v5, s16, v2
	v_cmp_le_u32_e32 vcc_lo, s16, v2
	s_delay_alu instid0(VALU_DEP_2) | instskip(NEXT) | instid1(VALU_DEP_1)
	v_dual_add_nc_u32 v4, 1, v3 :: v_dual_cndmask_b32 v2, v2, v5, vcc_lo
	v_cndmask_b32_e32 v3, v3, v4, vcc_lo
	s_delay_alu instid0(VALU_DEP_2) | instskip(NEXT) | instid1(VALU_DEP_2)
	v_cmp_le_u32_e32 vcc_lo, s16, v2
	v_add_nc_u32_e32 v4, 1, v3
	s_delay_alu instid0(VALU_DEP_1) | instskip(NEXT) | instid1(VALU_DEP_1)
	v_cndmask_b32_e32 v2, v3, v4, vcc_lo
	v_xor_b32_e32 v2, s15, v2
	s_delay_alu instid0(VALU_DEP_1) | instskip(NEXT) | instid1(VALU_DEP_1)
	v_subrev_nc_u32_e32 v4, s15, v2
	v_add_nc_u32_e32 v5, s21, v4
	v_cmp_lt_i32_e64 s0, s13, v4
	s_delay_alu instid0(VALU_DEP_2) | instskip(NEXT) | instid1(VALU_DEP_1)
	v_sub_nc_u32_e32 v2, 0, v5
	v_dual_ashrrev_i32 v5, 31, v5 :: v_dual_max_i32 v8, v5, v2
	s_delay_alu instid0(VALU_DEP_1) | instskip(NEXT) | instid1(VALU_DEP_1)
	v_mul_u64_e32 v[2:3], s[4:5], v[8:9]
	v_mul_lo_u32 v2, v3, s3
	s_delay_alu instid0(VALU_DEP_1) | instskip(NEXT) | instid1(VALU_DEP_1)
	v_sub_nc_u32_e32 v2, v8, v2
	v_subrev_nc_u32_e32 v3, s3, v2
	v_cmp_le_u32_e32 vcc_lo, s3, v2
	s_delay_alu instid0(VALU_DEP_2) | instskip(NEXT) | instid1(VALU_DEP_1)
	v_cndmask_b32_e32 v2, v2, v3, vcc_lo
	v_subrev_nc_u32_e32 v3, s3, v2
	v_cmp_le_u32_e32 vcc_lo, s3, v2
	s_delay_alu instid0(VALU_DEP_2) | instskip(NEXT) | instid1(VALU_DEP_1)
	v_cndmask_b32_e32 v2, v2, v3, vcc_lo
	v_xor_b32_e32 v2, v2, v5
	s_delay_alu instid0(VALU_DEP_1) | instskip(NEXT) | instid1(VALU_DEP_1)
	v_sub_nc_u32_e32 v2, v2, v5
	v_cmp_eq_u32_e32 vcc_lo, 0, v2
	s_or_b32 s0, vcc_lo, s0
	s_delay_alu instid0(SALU_CYCLE_1)
	s_and_saveexec_b32 s24, s0
	s_cbranch_execz .LBB162_112
; %bb.114:                              ;   in Loop: Header=BB162_113 Depth=1
	global_load_b32 v2, v[14:15], off
	s_load_b32 s8, s[10:11], 0x0
	v_mov_b64_e32 v[16:17], 0
	v_mov_b64_e32 v[18:19], 0
	s_mov_b32 s0, exec_lo
	s_wait_loadcnt 0x0
	v_mad_nc_i64_i32 v[20:21], v2, s14, v[12:13]
	ds_load_b128 v[2:5], v33
	global_load_b32 v11, v[20:21], off
	s_wait_loadcnt 0x0
	v_and_b32_e32 v8, 0xff, v11
	s_delay_alu instid0(VALU_DEP_1)
	v_cmpx_ne_u16_e32 0, v8
	s_cbranch_execz .LBB162_122
; %bb.115:                              ;   in Loop: Header=BB162_113 Depth=1
	v_mov_b64_e32 v[18:19], 0x80000000
	s_mov_b32 s9, exec_lo
	v_cmpx_ne_u16_e32 0x80, v8
	s_cbranch_execz .LBB162_121
; %bb.116:                              ;   in Loop: Header=BB162_113 Depth=1
	v_mov_b64_e32 v[18:19], 0x7f800001
	v_and_b32_e32 v22, 0x7f, v11
	s_mov_b32 s25, exec_lo
	s_delay_alu instid0(VALU_DEP_1)
	v_cmpx_ne_u32_e32 0x7f, v22
	s_cbranch_execz .LBB162_120
; %bb.117:                              ;   in Loop: Header=BB162_113 Depth=1
	v_dual_lshrrev_b32 v18, 3, v22 :: v_dual_bitop2_b32 v8, 7, v11 bitop3:0x40
	s_mov_b32 s26, exec_lo
	v_cmpx_gt_u32_e32 8, v22
; %bb.118:                              ;   in Loop: Header=BB162_113 Depth=1
	s_delay_alu instid0(VALU_DEP_2) | instskip(NEXT) | instid1(VALU_DEP_1)
	v_clz_i32_u32_e32 v18, v8
	v_min_u32_e32 v18, 32, v18
	s_delay_alu instid0(VALU_DEP_1) | instskip(SKIP_1) | instid1(VALU_DEP_2)
	v_subrev_nc_u32_e32 v19, 28, v18
	v_sub_nc_u32_e32 v18, 29, v18
	v_lshlrev_b64_e32 v[22:23], v19, v[8:9]
	s_delay_alu instid0(VALU_DEP_1)
	v_and_b32_e32 v8, 7, v22
; %bb.119:                              ;   in Loop: Header=BB162_113 Depth=1
	s_or_b32 exec_lo, exec_lo, s26
	s_delay_alu instid0(VALU_DEP_1) | instskip(SKIP_1) | instid1(VALU_DEP_2)
	v_dual_lshlrev_b32 v19, 24, v11 :: v_dual_lshlrev_b32 v8, 20, v8
	v_lshl_add_u32 v18, v18, 23, 0x3c000000
	v_and_b32_e32 v19, 0x80000000, v19
	s_delay_alu instid0(VALU_DEP_1) | instskip(NEXT) | instid1(VALU_DEP_1)
	v_or3_b32 v8, v8, v19, v18
	v_mov_b64_e32 v[18:19], v[8:9]
.LBB162_120:                            ;   in Loop: Header=BB162_113 Depth=1
	s_or_b32 exec_lo, exec_lo, s25
.LBB162_121:                            ;   in Loop: Header=BB162_113 Depth=1
	s_delay_alu instid0(SALU_CYCLE_1)
	s_or_b32 exec_lo, exec_lo, s9
.LBB162_122:                            ;   in Loop: Header=BB162_113 Depth=1
	s_delay_alu instid0(SALU_CYCLE_1) | instskip(SKIP_2) | instid1(VALU_DEP_1)
	s_or_b32 exec_lo, exec_lo, s0
	v_lshrrev_b16 v8, 8, v11
	s_mov_b32 s0, exec_lo
	v_cmpx_ne_u16_e32 0, v8
	s_cbranch_execz .LBB162_130
; %bb.123:                              ;   in Loop: Header=BB162_113 Depth=1
	v_mov_b64_e32 v[16:17], 0x8000000000000000
	s_mov_b32 s9, exec_lo
	v_cmpx_ne_u16_e32 0x80, v8
	s_cbranch_execz .LBB162_129
; %bb.124:                              ;   in Loop: Header=BB162_113 Depth=1
	v_and_b32_e32 v8, 0xffff, v8
	v_mov_b64_e32 v[16:17], 0x7f80000100000000
	s_mov_b32 s25, exec_lo
	s_delay_alu instid0(VALU_DEP_2) | instskip(NEXT) | instid1(VALU_DEP_1)
	v_and_b32_e32 v22, 0x7f, v8
	v_cmpx_ne_u32_e32 0x7f, v22
	s_cbranch_execz .LBB162_128
; %bb.125:                              ;   in Loop: Header=BB162_113 Depth=1
	v_dual_lshrrev_b32 v16, 3, v22 :: v_dual_bitop2_b32 v8, 7, v8 bitop3:0x40
	s_mov_b32 s26, exec_lo
	v_cmpx_gt_u32_e32 8, v22
; %bb.126:                              ;   in Loop: Header=BB162_113 Depth=1
	s_delay_alu instid0(VALU_DEP_2) | instskip(NEXT) | instid1(VALU_DEP_1)
	v_clz_i32_u32_e32 v16, v8
	v_min_u32_e32 v16, 32, v16
	s_delay_alu instid0(VALU_DEP_1) | instskip(NEXT) | instid1(VALU_DEP_1)
	v_subrev_nc_u32_e32 v17, 28, v16
	v_lshlrev_b64_e32 v[22:23], v17, v[8:9]
	s_delay_alu instid0(VALU_DEP_1)
	v_dual_sub_nc_u32 v16, 29, v16 :: v_dual_bitop2_b32 v8, 7, v22 bitop3:0x40
; %bb.127:                              ;   in Loop: Header=BB162_113 Depth=1
	s_or_b32 exec_lo, exec_lo, s26
	s_delay_alu instid0(VALU_DEP_1) | instskip(NEXT) | instid1(VALU_DEP_2)
	v_dual_lshlrev_b32 v17, 16, v11 :: v_dual_lshlrev_b32 v8, 20, v8
	v_lshl_add_u32 v16, v16, 23, 0x3c000000
	s_delay_alu instid0(VALU_DEP_2) | instskip(NEXT) | instid1(VALU_DEP_1)
	v_and_b32_e32 v17, 0x80000000, v17
	v_or3_b32 v17, v8, v17, v16
	v_mov_b32_e32 v16, v9
.LBB162_128:                            ;   in Loop: Header=BB162_113 Depth=1
	s_or_b32 exec_lo, exec_lo, s25
.LBB162_129:                            ;   in Loop: Header=BB162_113 Depth=1
	s_delay_alu instid0(SALU_CYCLE_1)
	s_or_b32 exec_lo, exec_lo, s9
.LBB162_130:                            ;   in Loop: Header=BB162_113 Depth=1
	s_delay_alu instid0(SALU_CYCLE_1) | instskip(SKIP_4) | instid1(VALU_DEP_3)
	s_or_b32 exec_lo, exec_lo, s0
	v_lshrrev_b32_e32 v26, 16, v11
	v_mov_b64_e32 v[22:23], 0
	v_mov_b64_e32 v[24:25], 0
	s_mov_b32 s0, exec_lo
	v_and_b32_e32 v8, 0xff, v26
	s_delay_alu instid0(VALU_DEP_1)
	v_cmpx_ne_u16_e32 0, v8
	s_cbranch_execz .LBB162_138
; %bb.131:                              ;   in Loop: Header=BB162_113 Depth=1
	v_mov_b64_e32 v[24:25], 0x80000000
	s_mov_b32 s9, exec_lo
	v_cmpx_ne_u16_e32 0x80, v8
	s_cbranch_execz .LBB162_137
; %bb.132:                              ;   in Loop: Header=BB162_113 Depth=1
	v_mov_b64_e32 v[24:25], 0x7f800001
	v_bfe_u32 v27, v11, 16, 7
	s_mov_b32 s25, exec_lo
	s_delay_alu instid0(VALU_DEP_1)
	v_cmpx_ne_u32_e32 0x7f, v27
	s_cbranch_execz .LBB162_136
; %bb.133:                              ;   in Loop: Header=BB162_113 Depth=1
	v_dual_lshrrev_b32 v24, 3, v27 :: v_dual_bitop2_b32 v8, 7, v26 bitop3:0x40
	s_mov_b32 s26, exec_lo
	v_cmpx_gt_u32_e32 8, v27
; %bb.134:                              ;   in Loop: Header=BB162_113 Depth=1
	s_delay_alu instid0(VALU_DEP_2) | instskip(NEXT) | instid1(VALU_DEP_1)
	v_clz_i32_u32_e32 v24, v8
	v_min_u32_e32 v24, 32, v24
	s_delay_alu instid0(VALU_DEP_1) | instskip(NEXT) | instid1(VALU_DEP_1)
	v_subrev_nc_u32_e32 v25, 28, v24
	v_lshlrev_b64_e32 v[34:35], v25, v[8:9]
	s_delay_alu instid0(VALU_DEP_1)
	v_dual_sub_nc_u32 v24, 29, v24 :: v_dual_bitop2_b32 v8, 7, v34 bitop3:0x40
; %bb.135:                              ;   in Loop: Header=BB162_113 Depth=1
	s_or_b32 exec_lo, exec_lo, s26
	s_delay_alu instid0(VALU_DEP_1) | instskip(NEXT) | instid1(VALU_DEP_2)
	v_dual_lshlrev_b32 v25, 24, v26 :: v_dual_lshlrev_b32 v8, 20, v8
	v_lshl_add_u32 v24, v24, 23, 0x3c000000
	s_delay_alu instid0(VALU_DEP_2) | instskip(NEXT) | instid1(VALU_DEP_1)
	v_and_b32_e32 v25, 0x80000000, v25
	v_or3_b32 v8, v8, v25, v24
	s_delay_alu instid0(VALU_DEP_1)
	v_mov_b64_e32 v[24:25], v[8:9]
.LBB162_136:                            ;   in Loop: Header=BB162_113 Depth=1
	s_or_b32 exec_lo, exec_lo, s25
.LBB162_137:                            ;   in Loop: Header=BB162_113 Depth=1
	s_delay_alu instid0(SALU_CYCLE_1)
	s_or_b32 exec_lo, exec_lo, s9
.LBB162_138:                            ;   in Loop: Header=BB162_113 Depth=1
	s_delay_alu instid0(SALU_CYCLE_1) | instskip(NEXT) | instid1(SALU_CYCLE_1)
	s_or_b32 exec_lo, exec_lo, s0
	s_mov_b32 s0, exec_lo
	v_cmpx_lt_u32_e32 0xffffff, v11
	s_cbranch_execz .LBB162_146
; %bb.139:                              ;   in Loop: Header=BB162_113 Depth=1
	v_mov_b64_e32 v[22:23], 0x8000000000000000
	v_lshrrev_b32_e32 v26, 24, v11
	s_mov_b32 s9, exec_lo
	s_delay_alu instid0(VALU_DEP_1)
	v_cmpx_ne_u32_e32 0x80, v26
	s_cbranch_execz .LBB162_145
; %bb.140:                              ;   in Loop: Header=BB162_113 Depth=1
	v_mov_b64_e32 v[22:23], 0x7f80000100000000
	v_bfe_u32 v27, v11, 24, 7
	s_mov_b32 s25, exec_lo
	s_delay_alu instid0(VALU_DEP_1)
	v_cmpx_ne_u32_e32 0x7f, v27
	s_cbranch_execz .LBB162_144
; %bb.141:                              ;   in Loop: Header=BB162_113 Depth=1
	v_dual_lshrrev_b32 v11, 3, v27 :: v_dual_bitop2_b32 v8, 7, v26 bitop3:0x40
	s_mov_b32 s26, exec_lo
	v_cmpx_gt_u32_e32 8, v27
; %bb.142:                              ;   in Loop: Header=BB162_113 Depth=1
	s_delay_alu instid0(VALU_DEP_2) | instskip(NEXT) | instid1(VALU_DEP_1)
	v_clz_i32_u32_e32 v11, v8
	v_min_u32_e32 v11, 32, v11
	s_delay_alu instid0(VALU_DEP_1) | instskip(NEXT) | instid1(VALU_DEP_1)
	v_subrev_nc_u32_e32 v22, 28, v11
	v_lshlrev_b64_e32 v[22:23], v22, v[8:9]
	s_delay_alu instid0(VALU_DEP_1)
	v_dual_sub_nc_u32 v11, 29, v11 :: v_dual_bitop2_b32 v8, 7, v22 bitop3:0x40
; %bb.143:                              ;   in Loop: Header=BB162_113 Depth=1
	s_or_b32 exec_lo, exec_lo, s26
	s_delay_alu instid0(VALU_DEP_1) | instskip(NEXT) | instid1(VALU_DEP_2)
	v_dual_lshlrev_b32 v22, 24, v26 :: v_dual_lshlrev_b32 v8, 20, v8
	v_lshl_add_u32 v11, v11, 23, 0x3c000000
	s_delay_alu instid0(VALU_DEP_2) | instskip(NEXT) | instid1(VALU_DEP_1)
	v_and_b32_e32 v22, 0x80000000, v22
	v_or3_b32 v23, v8, v22, v11
	v_mov_b32_e32 v22, v9
.LBB162_144:                            ;   in Loop: Header=BB162_113 Depth=1
	s_or_b32 exec_lo, exec_lo, s25
.LBB162_145:                            ;   in Loop: Header=BB162_113 Depth=1
	s_delay_alu instid0(SALU_CYCLE_1)
	s_or_b32 exec_lo, exec_lo, s9
.LBB162_146:                            ;   in Loop: Header=BB162_113 Depth=1
	s_delay_alu instid0(SALU_CYCLE_1)
	s_or_b32 exec_lo, exec_lo, s0
	v_dual_add_nc_u32 v11, v32, v10 :: v_dual_bitop2_b32 v17, v17, v19 bitop3:0x54
	v_or_b32_e32 v16, v16, v18
	v_or_b32_e32 v23, v23, v25
	v_or_b32_e32 v22, v22, v24
	v_cmp_eq_u32_e32 vcc_lo, s17, v31
	v_add_nc_u32_e32 v34, 1, v11
	s_wait_kmcnt 0x0
	v_pk_mul_f32 v[18:19], s[8:9], v[16:17] op_sel_hi:[0,1]
	v_pk_mul_f32 v[16:17], s[8:9], v[22:23] op_sel_hi:[0,1]
	s_and_saveexec_b32 s9, vcc_lo
	s_cbranch_execz .LBB162_148
; %bb.147:                              ;   in Loop: Header=BB162_113 Depth=1
	v_cmp_gt_i32_e64 s0, s34, v11
	s_delay_alu instid0(VALU_DEP_1) | instskip(SKIP_1) | instid1(VALU_DEP_1)
	v_dual_add_nc_u32 v8, 2, v11 :: v_dual_cndmask_b32 v18, 0, v18, s0
	v_cmp_gt_i32_e64 s0, s34, v34
	v_cndmask_b32_e64 v19, 0, v19, s0
	s_delay_alu instid0(VALU_DEP_3) | instskip(NEXT) | instid1(VALU_DEP_1)
	v_cmp_gt_i32_e64 s0, s34, v8
	v_dual_add_nc_u32 v22, 3, v11 :: v_dual_cndmask_b32 v16, 0, v16, s0
	s_delay_alu instid0(VALU_DEP_1) | instskip(NEXT) | instid1(VALU_DEP_1)
	v_cmp_gt_i32_e64 s0, s34, v22
	v_cndmask_b32_e64 v17, 0, v17, s0
.LBB162_148:                            ;   in Loop: Header=BB162_113 Depth=1
	s_or_b32 exec_lo, exec_lo, s9
	global_load_b32 v35, v[20:21], off offset:128
	s_wait_xcnt 0x0
	v_mov_b64_e32 v[20:21], 0
	v_mov_b64_e32 v[22:23], 0
	s_mov_b32 s9, exec_lo
	s_wait_loadcnt 0x0
	v_and_b32_e32 v8, 0xff, v35
	s_delay_alu instid0(VALU_DEP_1)
	v_cmpx_ne_u16_e32 0, v8
	s_cbranch_execz .LBB162_156
; %bb.149:                              ;   in Loop: Header=BB162_113 Depth=1
	v_mov_b64_e32 v[22:23], 0x80000000
	s_mov_b32 s25, exec_lo
	v_cmpx_ne_u16_e32 0x80, v8
	s_cbranch_execz .LBB162_155
; %bb.150:                              ;   in Loop: Header=BB162_113 Depth=1
	v_mov_b64_e32 v[22:23], 0x7f800001
	v_and_b32_e32 v24, 0x7f, v35
	s_mov_b32 s26, exec_lo
	s_delay_alu instid0(VALU_DEP_1)
	v_cmpx_ne_u32_e32 0x7f, v24
	s_cbranch_execz .LBB162_154
; %bb.151:                              ;   in Loop: Header=BB162_113 Depth=1
	v_dual_lshrrev_b32 v22, 3, v24 :: v_dual_bitop2_b32 v8, 7, v35 bitop3:0x40
	s_mov_b32 s27, exec_lo
	v_cmpx_gt_u32_e32 8, v24
; %bb.152:                              ;   in Loop: Header=BB162_113 Depth=1
	s_delay_alu instid0(VALU_DEP_2) | instskip(NEXT) | instid1(VALU_DEP_1)
	v_clz_i32_u32_e32 v22, v8
	v_min_u32_e32 v22, 32, v22
	s_delay_alu instid0(VALU_DEP_1) | instskip(NEXT) | instid1(VALU_DEP_1)
	v_subrev_nc_u32_e32 v23, 28, v22
	v_lshlrev_b64_e32 v[24:25], v23, v[8:9]
	s_delay_alu instid0(VALU_DEP_1)
	v_dual_sub_nc_u32 v22, 29, v22 :: v_dual_bitop2_b32 v8, 7, v24 bitop3:0x40
; %bb.153:                              ;   in Loop: Header=BB162_113 Depth=1
	s_or_b32 exec_lo, exec_lo, s27
	s_delay_alu instid0(VALU_DEP_1) | instskip(NEXT) | instid1(VALU_DEP_2)
	v_dual_lshlrev_b32 v23, 24, v35 :: v_dual_lshlrev_b32 v8, 20, v8
	v_lshl_add_u32 v22, v22, 23, 0x3c000000
	s_delay_alu instid0(VALU_DEP_2) | instskip(NEXT) | instid1(VALU_DEP_1)
	v_and_b32_e32 v23, 0x80000000, v23
	v_or3_b32 v8, v8, v23, v22
	s_delay_alu instid0(VALU_DEP_1)
	v_mov_b64_e32 v[22:23], v[8:9]
.LBB162_154:                            ;   in Loop: Header=BB162_113 Depth=1
	s_or_b32 exec_lo, exec_lo, s26
.LBB162_155:                            ;   in Loop: Header=BB162_113 Depth=1
	s_delay_alu instid0(SALU_CYCLE_1)
	s_or_b32 exec_lo, exec_lo, s25
.LBB162_156:                            ;   in Loop: Header=BB162_113 Depth=1
	s_delay_alu instid0(SALU_CYCLE_1) | instskip(SKIP_2) | instid1(VALU_DEP_1)
	s_or_b32 exec_lo, exec_lo, s9
	v_lshrrev_b16 v8, 8, v35
	s_mov_b32 s9, exec_lo
	v_cmpx_ne_u16_e32 0, v8
	s_cbranch_execz .LBB162_164
; %bb.157:                              ;   in Loop: Header=BB162_113 Depth=1
	v_mov_b64_e32 v[20:21], 0x8000000000000000
	s_mov_b32 s25, exec_lo
	v_cmpx_ne_u16_e32 0x80, v8
	s_cbranch_execz .LBB162_163
; %bb.158:                              ;   in Loop: Header=BB162_113 Depth=1
	v_and_b32_e32 v8, 0xffff, v8
	v_mov_b64_e32 v[20:21], 0x7f80000100000000
	s_mov_b32 s26, exec_lo
	s_delay_alu instid0(VALU_DEP_2) | instskip(NEXT) | instid1(VALU_DEP_1)
	v_and_b32_e32 v24, 0x7f, v8
	v_cmpx_ne_u32_e32 0x7f, v24
	s_cbranch_execz .LBB162_162
; %bb.159:                              ;   in Loop: Header=BB162_113 Depth=1
	v_and_b32_e32 v8, 7, v8
	v_lshrrev_b32_e32 v20, 3, v24
	s_mov_b32 s27, exec_lo
	v_cmpx_gt_u32_e32 8, v24
; %bb.160:                              ;   in Loop: Header=BB162_113 Depth=1
	s_delay_alu instid0(VALU_DEP_3) | instskip(NEXT) | instid1(VALU_DEP_1)
	v_clz_i32_u32_e32 v20, v8
	v_min_u32_e32 v20, 32, v20
	s_delay_alu instid0(VALU_DEP_1) | instskip(SKIP_1) | instid1(VALU_DEP_2)
	v_subrev_nc_u32_e32 v21, 28, v20
	v_sub_nc_u32_e32 v20, 29, v20
	v_lshlrev_b64_e32 v[24:25], v21, v[8:9]
	s_delay_alu instid0(VALU_DEP_1)
	v_and_b32_e32 v8, 7, v24
; %bb.161:                              ;   in Loop: Header=BB162_113 Depth=1
	s_or_b32 exec_lo, exec_lo, s27
	s_delay_alu instid0(VALU_DEP_1) | instskip(SKIP_1) | instid1(VALU_DEP_2)
	v_dual_lshlrev_b32 v21, 16, v35 :: v_dual_lshlrev_b32 v8, 20, v8
	v_lshl_add_u32 v20, v20, 23, 0x3c000000
	v_and_b32_e32 v21, 0x80000000, v21
	s_delay_alu instid0(VALU_DEP_1)
	v_or3_b32 v21, v8, v21, v20
	v_mov_b32_e32 v20, v9
.LBB162_162:                            ;   in Loop: Header=BB162_113 Depth=1
	s_or_b32 exec_lo, exec_lo, s26
.LBB162_163:                            ;   in Loop: Header=BB162_113 Depth=1
	s_delay_alu instid0(SALU_CYCLE_1)
	s_or_b32 exec_lo, exec_lo, s25
.LBB162_164:                            ;   in Loop: Header=BB162_113 Depth=1
	s_delay_alu instid0(SALU_CYCLE_1) | instskip(SKIP_4) | instid1(VALU_DEP_3)
	s_or_b32 exec_lo, exec_lo, s9
	v_lshrrev_b32_e32 v36, 16, v35
	v_mov_b64_e32 v[24:25], 0
	v_mov_b64_e32 v[26:27], 0
	s_mov_b32 s9, exec_lo
	v_and_b32_e32 v8, 0xff, v36
	s_delay_alu instid0(VALU_DEP_1)
	v_cmpx_ne_u16_e32 0, v8
	s_cbranch_execz .LBB162_172
; %bb.165:                              ;   in Loop: Header=BB162_113 Depth=1
	v_mov_b64_e32 v[26:27], 0x80000000
	s_mov_b32 s25, exec_lo
	v_cmpx_ne_u16_e32 0x80, v8
	s_cbranch_execz .LBB162_171
; %bb.166:                              ;   in Loop: Header=BB162_113 Depth=1
	v_mov_b64_e32 v[26:27], 0x7f800001
	v_bfe_u32 v37, v35, 16, 7
	s_mov_b32 s26, exec_lo
	s_delay_alu instid0(VALU_DEP_1)
	v_cmpx_ne_u32_e32 0x7f, v37
	s_cbranch_execz .LBB162_170
; %bb.167:                              ;   in Loop: Header=BB162_113 Depth=1
	v_dual_lshrrev_b32 v26, 3, v37 :: v_dual_bitop2_b32 v8, 7, v36 bitop3:0x40
	s_mov_b32 s27, exec_lo
	v_cmpx_gt_u32_e32 8, v37
; %bb.168:                              ;   in Loop: Header=BB162_113 Depth=1
	s_delay_alu instid0(VALU_DEP_2) | instskip(NEXT) | instid1(VALU_DEP_1)
	v_clz_i32_u32_e32 v26, v8
	v_min_u32_e32 v26, 32, v26
	s_delay_alu instid0(VALU_DEP_1) | instskip(SKIP_1) | instid1(VALU_DEP_2)
	v_subrev_nc_u32_e32 v27, 28, v26
	v_sub_nc_u32_e32 v26, 29, v26
	v_lshlrev_b64_e32 v[38:39], v27, v[8:9]
	s_delay_alu instid0(VALU_DEP_1)
	v_and_b32_e32 v8, 7, v38
; %bb.169:                              ;   in Loop: Header=BB162_113 Depth=1
	s_or_b32 exec_lo, exec_lo, s27
	v_lshlrev_b32_e32 v27, 24, v36
	s_delay_alu instid0(VALU_DEP_2) | instskip(SKIP_1) | instid1(VALU_DEP_3)
	v_lshlrev_b32_e32 v8, 20, v8
	v_lshl_add_u32 v26, v26, 23, 0x3c000000
	v_and_b32_e32 v27, 0x80000000, v27
	s_delay_alu instid0(VALU_DEP_1) | instskip(NEXT) | instid1(VALU_DEP_1)
	v_or3_b32 v8, v8, v27, v26
	v_mov_b64_e32 v[26:27], v[8:9]
.LBB162_170:                            ;   in Loop: Header=BB162_113 Depth=1
	s_or_b32 exec_lo, exec_lo, s26
.LBB162_171:                            ;   in Loop: Header=BB162_113 Depth=1
	s_delay_alu instid0(SALU_CYCLE_1)
	s_or_b32 exec_lo, exec_lo, s25
.LBB162_172:                            ;   in Loop: Header=BB162_113 Depth=1
	s_delay_alu instid0(SALU_CYCLE_1) | instskip(NEXT) | instid1(SALU_CYCLE_1)
	s_or_b32 exec_lo, exec_lo, s9
	s_mov_b32 s9, exec_lo
	v_cmpx_lt_u32_e32 0xffffff, v35
	s_cbranch_execz .LBB162_180
; %bb.173:                              ;   in Loop: Header=BB162_113 Depth=1
	v_mov_b64_e32 v[24:25], 0x8000000000000000
	v_lshrrev_b32_e32 v36, 24, v35
	s_mov_b32 s25, exec_lo
	s_delay_alu instid0(VALU_DEP_1)
	v_cmpx_ne_u32_e32 0x80, v36
	s_cbranch_execz .LBB162_179
; %bb.174:                              ;   in Loop: Header=BB162_113 Depth=1
	v_mov_b64_e32 v[24:25], 0x7f80000100000000
	v_bfe_u32 v35, v35, 24, 7
	s_mov_b32 s26, exec_lo
	s_delay_alu instid0(VALU_DEP_1)
	v_cmpx_ne_u32_e32 0x7f, v35
	s_cbranch_execz .LBB162_178
; %bb.175:                              ;   in Loop: Header=BB162_113 Depth=1
	v_dual_lshrrev_b32 v24, 3, v35 :: v_dual_bitop2_b32 v8, 7, v36 bitop3:0x40
	s_mov_b32 s27, exec_lo
	v_cmpx_gt_u32_e32 8, v35
; %bb.176:                              ;   in Loop: Header=BB162_113 Depth=1
	s_delay_alu instid0(VALU_DEP_2) | instskip(NEXT) | instid1(VALU_DEP_1)
	v_clz_i32_u32_e32 v24, v8
	v_min_u32_e32 v24, 32, v24
	s_delay_alu instid0(VALU_DEP_1) | instskip(NEXT) | instid1(VALU_DEP_1)
	v_subrev_nc_u32_e32 v25, 28, v24
	v_lshlrev_b64_e32 v[38:39], v25, v[8:9]
	s_delay_alu instid0(VALU_DEP_1)
	v_dual_sub_nc_u32 v24, 29, v24 :: v_dual_bitop2_b32 v8, 7, v38 bitop3:0x40
; %bb.177:                              ;   in Loop: Header=BB162_113 Depth=1
	s_or_b32 exec_lo, exec_lo, s27
	v_lshlrev_b32_e32 v25, 24, v36
	s_delay_alu instid0(VALU_DEP_2) | instskip(NEXT) | instid1(VALU_DEP_3)
	v_lshlrev_b32_e32 v8, 20, v8
	v_lshl_add_u32 v24, v24, 23, 0x3c000000
	s_delay_alu instid0(VALU_DEP_3) | instskip(NEXT) | instid1(VALU_DEP_1)
	v_and_b32_e32 v25, 0x80000000, v25
	v_or3_b32 v25, v8, v25, v24
	v_mov_b32_e32 v24, v9
.LBB162_178:                            ;   in Loop: Header=BB162_113 Depth=1
	s_or_b32 exec_lo, exec_lo, s26
.LBB162_179:                            ;   in Loop: Header=BB162_113 Depth=1
	s_delay_alu instid0(SALU_CYCLE_1)
	s_or_b32 exec_lo, exec_lo, s25
.LBB162_180:                            ;   in Loop: Header=BB162_113 Depth=1
	s_delay_alu instid0(SALU_CYCLE_1)
	s_or_b32 exec_lo, exec_lo, s9
	s_mov_b32 s9, s8
	v_or_b32_e32 v21, v21, v23
	v_or_b32_e32 v20, v20, v22
	v_mov_b64_e32 v[22:23], s[8:9]
	v_or_b32_e32 v25, v25, v27
	v_or_b32_e32 v24, v24, v26
	s_delay_alu instid0(VALU_DEP_3) | instskip(NEXT) | instid1(VALU_DEP_2)
	v_pk_mul_f32 v[20:21], v[22:23], v[20:21]
	v_pk_mul_f32 v[22:23], v[22:23], v[24:25]
	s_and_saveexec_b32 s0, vcc_lo
	s_cbranch_execz .LBB162_111
; %bb.181:                              ;   in Loop: Header=BB162_113 Depth=1
	v_cmp_gt_i32_e32 vcc_lo, s18, v34
	v_dual_cndmask_b32 v21, 0, v21, vcc_lo :: v_dual_bitop2_b32 v8, 3, v11 bitop3:0x54
	v_cmp_gt_i32_e32 vcc_lo, s34, v11
	v_dual_cndmask_b32 v20, 0, v20, vcc_lo :: v_dual_bitop2_b32 v24, 2, v11 bitop3:0x54
	s_delay_alu instid0(VALU_DEP_3) | instskip(SKIP_1) | instid1(VALU_DEP_3)
	v_cmp_gt_i32_e32 vcc_lo, s18, v8
	v_cndmask_b32_e32 v23, 0, v23, vcc_lo
	v_cmp_gt_i32_e32 vcc_lo, s34, v24
	v_cndmask_b32_e32 v22, 0, v22, vcc_lo
	s_branch .LBB162_111
.LBB162_182:
	s_or_b32 exec_lo, exec_lo, s19
.LBB162_183:
	s_delay_alu instid0(SALU_CYCLE_1)
	s_or_b32 exec_lo, exec_lo, s1
	ds_bpermute_b32 v2, v29, v6
	ds_bpermute_b32 v3, v29, v7
	v_lshrrev_b32_e32 v5, 1, v28
	v_and_b32_e32 v8, 0x3c1, v0
	s_mov_b32 s0, exec_lo
	s_wait_dscnt 0x0
	s_barrier_signal -1
	v_lshl_add_u32 v4, v5, 2, 0xa0
	s_barrier_wait -1
	v_pk_add_f32 v[2:3], v[6:7], v[2:3]
	v_cmpx_eq_u32_e32 64, v8
	s_cbranch_execz .LBB162_185
; %bb.184:
	v_lshl_add_u32 v1, v1, 7, v4
	s_delay_alu instid0(VALU_DEP_1)
	v_add_nc_u32_e32 v6, 0xffffff00, v1
	v_add_nc_u32_e32 v1, 0xffffff40, v1
	ds_store_b32 v6, v2
	ds_store_b32 v1, v3
.LBB162_185:
	s_or_b32 exec_lo, exec_lo, s0
	v_and_b32_e32 v1, 0x3e0, v0
	v_lshlrev_b32_e32 v5, 2, v5
	s_mov_b32 s1, exec_lo
	v_cmp_eq_u32_e32 vcc_lo, 0, v30
	s_wait_dscnt 0x0
	v_lshlrev_b32_e32 v1, 2, v1
	s_barrier_signal -1
	s_barrier_wait -1
	s_delay_alu instid0(VALU_DEP_1)
	v_add3_u32 v1, 0xa0, v1, v5
	v_cmpx_gt_u32_e32 64, v0
	s_cbranch_execz .LBB162_191
; %bb.186:
	s_and_saveexec_b32 s0, vcc_lo
	s_cbranch_execz .LBB162_188
; %bb.187:
	ds_load_b32 v5, v1
	s_wait_dscnt 0x0
	v_add_f32_e32 v2, v2, v5
.LBB162_188:
	s_or_b32 exec_lo, exec_lo, s0
	s_and_saveexec_b32 s0, vcc_lo
	s_cbranch_execz .LBB162_190
; %bb.189:
	ds_load_b32 v5, v1 offset:64
	s_wait_dscnt 0x0
	v_add_f32_e32 v3, v3, v5
.LBB162_190:
	s_or_b32 exec_lo, exec_lo, s0
.LBB162_191:
	s_delay_alu instid0(SALU_CYCLE_1) | instskip(SKIP_4) | instid1(VALU_DEP_1)
	s_or_b32 exec_lo, exec_lo, s1
	v_and_b32_e32 v5, 0x3e1, v0
	s_mov_b32 s1, exec_lo
	s_barrier_signal -1
	s_barrier_wait -1
	v_cmpx_eq_u32_e32 32, v5
; %bb.192:
	ds_store_2addr_b32 v4, v2, v3 offset1:16
; %bb.193:
	s_or_b32 exec_lo, exec_lo, s1
	s_wait_dscnt 0x0
	s_barrier_signal -1
	s_barrier_wait -1
	s_and_saveexec_b32 s0, s2
	s_cbranch_execz .LBB162_199
; %bb.194:
	s_and_saveexec_b32 s1, vcc_lo
	s_cbranch_execz .LBB162_196
; %bb.195:
	ds_load_b32 v4, v1
	s_wait_dscnt 0x0
	v_add_f32_e32 v2, v2, v4
.LBB162_196:
	s_or_b32 exec_lo, exec_lo, s1
	s_and_saveexec_b32 s1, vcc_lo
	s_cbranch_execz .LBB162_198
; %bb.197:
	ds_load_b32 v1, v1 offset:64
	s_wait_dscnt 0x0
	v_add_f32_e32 v3, v3, v1
.LBB162_198:
	s_or_b32 exec_lo, exec_lo, s1
.LBB162_199:
	s_delay_alu instid0(SALU_CYCLE_1)
	s_or_b32 exec_lo, exec_lo, s0
	s_mov_b32 s1, 0
	s_barrier_signal -1
	s_barrier_wait -1
	s_mov_b32 s0, exec_lo
	v_cmpx_eq_u32_e32 0, v5
	s_cbranch_execz .LBB162_201
; %bb.200:
	s_mul_i32 s0, s33, s12
	s_mul_i32 s2, s12, s20
	;; [unrolled: 1-line block ×3, first 2 shown]
	s_wait_kmcnt 0x0
	s_lshr_b32 s8, ttmp7, 16
	s_lshl_b32 s4, s0, 5
	s_bfe_u32 s0, ttmp6, 0x40014
	s_ashr_i32 s5, s4, 31
	s_add_co_i32 s0, s0, 1
	s_lshl_b64 s[4:5], s[4:5], 2
	s_ashr_i32 s3, s2, 31
	s_add_nc_u64 s[4:5], s[6:7], s[4:5]
	s_mul_i32 s0, s8, s0
	s_bfe_u32 s6, ttmp6, 0x40008
	s_lshl_b64 s[2:3], s[2:3], 2
	s_add_co_i32 s6, s6, s0
	s_cmp_eq_u32 s30, 0
	v_lshlrev_b32_e32 v0, 1, v0
	s_cselect_b32 s0, s8, s6
	s_add_nc_u64 s[2:3], s[4:5], s[2:3]
	s_lshl_b32 s0, s0, 7
	s_delay_alu instid0(SALU_CYCLE_1)
	s_add_nc_u64 s[0:1], s[2:3], s[0:1]
	s_clause 0x1
	global_store_b32 v0, v2, s[0:1]
	global_store_b32 v0, v3, s[0:1] offset:64
.LBB162_201:
	s_endpgm
	.section	.rodata,"a",@progbits
	.p2align	6, 0x0
	.amdhsa_kernel _ZN4vllm25paged_attention_v1_kernelIfhLi32ELi8ELi128ELNS_18Fp8KVCacheDataTypeE1ELb1EEEvPT_PKS2_PKT0_S8_ifPKiSA_iPKfiiiSC_SC_iiiii
		.amdhsa_group_segment_fixed_size 160
		.amdhsa_private_segment_fixed_size 0
		.amdhsa_kernarg_size 384
		.amdhsa_user_sgpr_count 2
		.amdhsa_user_sgpr_dispatch_ptr 0
		.amdhsa_user_sgpr_queue_ptr 0
		.amdhsa_user_sgpr_kernarg_segment_ptr 1
		.amdhsa_user_sgpr_dispatch_id 0
		.amdhsa_user_sgpr_kernarg_preload_length 0
		.amdhsa_user_sgpr_kernarg_preload_offset 0
		.amdhsa_user_sgpr_private_segment_size 0
		.amdhsa_wavefront_size32 1
		.amdhsa_uses_dynamic_stack 0
		.amdhsa_enable_private_segment 0
		.amdhsa_system_sgpr_workgroup_id_x 1
		.amdhsa_system_sgpr_workgroup_id_y 1
		.amdhsa_system_sgpr_workgroup_id_z 1
		.amdhsa_system_sgpr_workgroup_info 0
		.amdhsa_system_vgpr_workitem_id 0
		.amdhsa_next_free_vgpr 40
		.amdhsa_next_free_sgpr 47
		.amdhsa_named_barrier_count 0
		.amdhsa_reserve_vcc 1
		.amdhsa_float_round_mode_32 0
		.amdhsa_float_round_mode_16_64 0
		.amdhsa_float_denorm_mode_32 3
		.amdhsa_float_denorm_mode_16_64 3
		.amdhsa_fp16_overflow 0
		.amdhsa_memory_ordered 1
		.amdhsa_forward_progress 1
		.amdhsa_inst_pref_size 65
		.amdhsa_round_robin_scheduling 0
		.amdhsa_exception_fp_ieee_invalid_op 0
		.amdhsa_exception_fp_denorm_src 0
		.amdhsa_exception_fp_ieee_div_zero 0
		.amdhsa_exception_fp_ieee_overflow 0
		.amdhsa_exception_fp_ieee_underflow 0
		.amdhsa_exception_fp_ieee_inexact 0
		.amdhsa_exception_int_div_zero 0
	.end_amdhsa_kernel
	.section	.text._ZN4vllm25paged_attention_v1_kernelIfhLi32ELi8ELi128ELNS_18Fp8KVCacheDataTypeE1ELb1EEEvPT_PKS2_PKT0_S8_ifPKiSA_iPKfiiiSC_SC_iiiii,"axG",@progbits,_ZN4vllm25paged_attention_v1_kernelIfhLi32ELi8ELi128ELNS_18Fp8KVCacheDataTypeE1ELb1EEEvPT_PKS2_PKT0_S8_ifPKiSA_iPKfiiiSC_SC_iiiii,comdat
.Lfunc_end162:
	.size	_ZN4vllm25paged_attention_v1_kernelIfhLi32ELi8ELi128ELNS_18Fp8KVCacheDataTypeE1ELb1EEEvPT_PKS2_PKT0_S8_ifPKiSA_iPKfiiiSC_SC_iiiii, .Lfunc_end162-_ZN4vllm25paged_attention_v1_kernelIfhLi32ELi8ELi128ELNS_18Fp8KVCacheDataTypeE1ELb1EEEvPT_PKS2_PKT0_S8_ifPKiSA_iPKfiiiSC_SC_iiiii
                                        ; -- End function
	.set _ZN4vllm25paged_attention_v1_kernelIfhLi32ELi8ELi128ELNS_18Fp8KVCacheDataTypeE1ELb1EEEvPT_PKS2_PKT0_S8_ifPKiSA_iPKfiiiSC_SC_iiiii.num_vgpr, 40
	.set _ZN4vllm25paged_attention_v1_kernelIfhLi32ELi8ELi128ELNS_18Fp8KVCacheDataTypeE1ELb1EEEvPT_PKS2_PKT0_S8_ifPKiSA_iPKfiiiSC_SC_iiiii.num_agpr, 0
	.set _ZN4vllm25paged_attention_v1_kernelIfhLi32ELi8ELi128ELNS_18Fp8KVCacheDataTypeE1ELb1EEEvPT_PKS2_PKT0_S8_ifPKiSA_iPKfiiiSC_SC_iiiii.numbered_sgpr, 47
	.set _ZN4vllm25paged_attention_v1_kernelIfhLi32ELi8ELi128ELNS_18Fp8KVCacheDataTypeE1ELb1EEEvPT_PKS2_PKT0_S8_ifPKiSA_iPKfiiiSC_SC_iiiii.num_named_barrier, 0
	.set _ZN4vllm25paged_attention_v1_kernelIfhLi32ELi8ELi128ELNS_18Fp8KVCacheDataTypeE1ELb1EEEvPT_PKS2_PKT0_S8_ifPKiSA_iPKfiiiSC_SC_iiiii.private_seg_size, 0
	.set _ZN4vllm25paged_attention_v1_kernelIfhLi32ELi8ELi128ELNS_18Fp8KVCacheDataTypeE1ELb1EEEvPT_PKS2_PKT0_S8_ifPKiSA_iPKfiiiSC_SC_iiiii.uses_vcc, 1
	.set _ZN4vllm25paged_attention_v1_kernelIfhLi32ELi8ELi128ELNS_18Fp8KVCacheDataTypeE1ELb1EEEvPT_PKS2_PKT0_S8_ifPKiSA_iPKfiiiSC_SC_iiiii.uses_flat_scratch, 0
	.set _ZN4vllm25paged_attention_v1_kernelIfhLi32ELi8ELi128ELNS_18Fp8KVCacheDataTypeE1ELb1EEEvPT_PKS2_PKT0_S8_ifPKiSA_iPKfiiiSC_SC_iiiii.has_dyn_sized_stack, 0
	.set _ZN4vllm25paged_attention_v1_kernelIfhLi32ELi8ELi128ELNS_18Fp8KVCacheDataTypeE1ELb1EEEvPT_PKS2_PKT0_S8_ifPKiSA_iPKfiiiSC_SC_iiiii.has_recursion, 0
	.set _ZN4vllm25paged_attention_v1_kernelIfhLi32ELi8ELi128ELNS_18Fp8KVCacheDataTypeE1ELb1EEEvPT_PKS2_PKT0_S8_ifPKiSA_iPKfiiiSC_SC_iiiii.has_indirect_call, 0
	.section	.AMDGPU.csdata,"",@progbits
; Kernel info:
; codeLenInByte = 8308
; TotalNumSgprs: 49
; NumVgprs: 40
; ScratchSize: 0
; MemoryBound: 0
; FloatMode: 240
; IeeeMode: 1
; LDSByteSize: 160 bytes/workgroup (compile time only)
; SGPRBlocks: 0
; VGPRBlocks: 2
; NumSGPRsForWavesPerEU: 49
; NumVGPRsForWavesPerEU: 40
; NamedBarCnt: 0
; Occupancy: 16
; WaveLimiterHint : 1
; COMPUTE_PGM_RSRC2:SCRATCH_EN: 0
; COMPUTE_PGM_RSRC2:USER_SGPR: 2
; COMPUTE_PGM_RSRC2:TRAP_HANDLER: 0
; COMPUTE_PGM_RSRC2:TGID_X_EN: 1
; COMPUTE_PGM_RSRC2:TGID_Y_EN: 1
; COMPUTE_PGM_RSRC2:TGID_Z_EN: 1
; COMPUTE_PGM_RSRC2:TIDIG_COMP_CNT: 0
	.section	.text._ZN4vllm25paged_attention_v1_kernelIfhLi64ELi8ELi128ELNS_18Fp8KVCacheDataTypeE1ELb1EEEvPT_PKS2_PKT0_S8_ifPKiSA_iPKfiiiSC_SC_iiiii,"axG",@progbits,_ZN4vllm25paged_attention_v1_kernelIfhLi64ELi8ELi128ELNS_18Fp8KVCacheDataTypeE1ELb1EEEvPT_PKS2_PKT0_S8_ifPKiSA_iPKfiiiSC_SC_iiiii,comdat
	.protected	_ZN4vllm25paged_attention_v1_kernelIfhLi64ELi8ELi128ELNS_18Fp8KVCacheDataTypeE1ELb1EEEvPT_PKS2_PKT0_S8_ifPKiSA_iPKfiiiSC_SC_iiiii ; -- Begin function _ZN4vllm25paged_attention_v1_kernelIfhLi64ELi8ELi128ELNS_18Fp8KVCacheDataTypeE1ELb1EEEvPT_PKS2_PKT0_S8_ifPKiSA_iPKfiiiSC_SC_iiiii
	.globl	_ZN4vllm25paged_attention_v1_kernelIfhLi64ELi8ELi128ELNS_18Fp8KVCacheDataTypeE1ELb1EEEvPT_PKS2_PKT0_S8_ifPKiSA_iPKfiiiSC_SC_iiiii
	.p2align	8
	.type	_ZN4vllm25paged_attention_v1_kernelIfhLi64ELi8ELi128ELNS_18Fp8KVCacheDataTypeE1ELb1EEEvPT_PKS2_PKT0_S8_ifPKiSA_iPKfiiiSC_SC_iiiii,@function
_ZN4vllm25paged_attention_v1_kernelIfhLi64ELi8ELi128ELNS_18Fp8KVCacheDataTypeE1ELb1EEEvPT_PKS2_PKT0_S8_ifPKiSA_iPKfiiiSC_SC_iiiii: ; @_ZN4vllm25paged_attention_v1_kernelIfhLi64ELi8ELi128ELNS_18Fp8KVCacheDataTypeE1ELb1EEEvPT_PKS2_PKT0_S8_ifPKiSA_iPKfiiiSC_SC_iiiii
; %bb.0:
	s_load_b64 s[6:7], s[0:1], 0x20
	s_bfe_u32 s3, ttmp6, 0x4000c
	s_bfe_u32 s5, ttmp6, 0x40010
	s_and_b32 s4, ttmp7, 0xffff
	s_add_co_i32 s3, s3, 1
	s_add_co_i32 s5, s5, 1
	s_and_b32 s2, ttmp6, 15
	s_bfe_u32 s8, ttmp6, 0x40004
	s_mul_i32 s3, ttmp9, s3
	s_mul_i32 s5, s4, s5
	s_getreg_b32 s30, hwreg(HW_REG_IB_STS2, 6, 4)
	s_add_co_i32 s9, s2, s3
	s_add_co_i32 s8, s8, s5
	s_cmp_eq_u32 s30, 0
	s_clause 0x1
	s_load_b32 s31, s[0:1], 0x80
	s_load_b64 s[2:3], s[0:1], 0x30
	s_cselect_b32 s33, s4, s8
	s_cselect_b32 s4, ttmp9, s9
	s_wait_kmcnt 0x0
	s_abs_i32 s5, s6
	s_delay_alu instid0(SALU_CYCLE_1) | instskip(SKIP_1) | instid1(SALU_CYCLE_2)
	s_cvt_f32_u32 s8, s5
	s_sub_co_i32 s9, 0, s5
	v_rcp_iflag_f32_e32 v1, s8
	s_abs_i32 s10, s31
	v_nop
	s_delay_alu instid0(TRANS32_DEP_1) | instskip(SKIP_1) | instid1(SALU_CYCLE_3)
	v_readfirstlane_b32 s8, v1
	s_mul_f32 s8, s8, 0x4f7ffffe
	s_cvt_u32_f32 s8, s8
	s_delay_alu instid0(SALU_CYCLE_3) | instskip(NEXT) | instid1(SALU_CYCLE_1)
	s_mul_i32 s9, s9, s8
	s_mul_hi_u32 s9, s8, s9
	s_delay_alu instid0(SALU_CYCLE_1) | instskip(SKIP_4) | instid1(SALU_CYCLE_1)
	s_add_co_i32 s8, s8, s9
	s_xor_b32 s9, s31, s6
	s_mul_hi_u32 s8, s10, s8
	s_ashr_i32 s9, s9, 31
	s_mul_i32 s11, s8, s5
	s_sub_co_i32 s10, s10, s11
	s_add_co_i32 s11, s8, 1
	s_sub_co_i32 s12, s10, s5
	s_cmp_ge_u32 s10, s5
	s_cselect_b32 s8, s11, s8
	s_cselect_b32 s10, s12, s10
	s_add_co_i32 s11, s8, 1
	s_cmp_ge_u32 s10, s5
	s_load_b64 s[12:13], s[0:1], 0x40
	s_cselect_b32 s5, s11, s8
	s_delay_alu instid0(SALU_CYCLE_1) | instskip(NEXT) | instid1(SALU_CYCLE_1)
	s_xor_b32 s5, s5, s9
	s_sub_co_i32 s14, s5, s9
	s_mov_b32 s9, 0
	s_abs_i32 s19, s14
	s_mov_b32 s11, s9
	s_cvt_f32_u32 s5, s19
	s_sub_co_i32 s8, 0, s19
	s_mov_b32 s37, s9
	s_delay_alu instid0(SALU_CYCLE_1) | instskip(SKIP_1) | instid1(TRANS32_DEP_1)
	v_rcp_iflag_f32_e32 v1, s5
	v_nop
	v_readfirstlane_b32 s5, v1
	s_mul_f32 s5, s5, 0x4f7ffffe
	s_delay_alu instid0(SALU_CYCLE_3) | instskip(NEXT) | instid1(SALU_CYCLE_3)
	s_cvt_u32_f32 s5, s5
	s_mul_i32 s8, s8, s5
	s_delay_alu instid0(SALU_CYCLE_1)
	s_mul_hi_u32 s10, s5, s8
	s_abs_i32 s8, s4
	s_add_co_i32 s10, s5, s10
	s_wait_kmcnt 0x0
	s_cmp_eq_u64 s[12:13], 0
	s_cbranch_scc1 .LBB163_2
; %bb.1:
	s_ashr_i32 s5, s4, 31
	s_delay_alu instid0(SALU_CYCLE_1) | instskip(NEXT) | instid1(SALU_CYCLE_1)
	s_lshl_b64 s[16:17], s[4:5], 2
	s_add_nc_u64 s[12:13], s[12:13], s[16:17]
	s_load_b32 s37, s[12:13], 0x0
.LBB163_2:
	s_load_b32 s34, s[2:3], s33 offset:0x0 scale_offset
	s_load_b96 s[16:18], s[0:1], 0x48
	v_and_b32_e32 v2, 3, v0
	s_wait_xcnt 0x0
	v_cmp_gt_u32_e64 s2, 64, v0
	s_ashr_i32 s3, s4, 31
	s_ashr_i32 s5, s14, 31
	s_mul_u64 s[10:11], s[8:9], s[10:11]
	s_lshl_b32 s20, s4, 6
	s_and_saveexec_b32 s9, s2
	s_cbranch_execz .LBB163_4
; %bb.3:
	s_load_b64 s[12:13], s[0:1], 0x8
	s_wait_kmcnt 0x0
	s_mul_i32 s14, s16, s33
	s_ashr_i32 s21, s20, 31
	s_ashr_i32 s15, s14, 31
	v_and_b32_e32 v3, 0x3fc, v0
	s_lshl_b64 s[14:15], s[14:15], 2
	s_delay_alu instid0(VALU_DEP_1) | instskip(SKIP_2) | instid1(SALU_CYCLE_1)
	v_lshl_add_u32 v3, v2, 6, v3
	s_add_nc_u64 s[12:13], s[12:13], s[14:15]
	s_lshl_b64 s[14:15], s[20:21], 2
	s_add_nc_u64 s[12:13], s[12:13], s[14:15]
	global_load_b32 v1, v0, s[12:13] scale_offset
	s_wait_loadcnt 0x0
	ds_store_b32 v3, v1
.LBB163_4:
	s_or_b32 exec_lo, exec_lo, s9
	s_load_b128 s[12:15], s[0:1], 0x68
	s_mul_i32 s9, s11, s19
	s_xor_b32 s5, s3, s5
	s_sub_co_i32 s3, s8, s9
	s_add_co_i32 s8, s11, 1
	s_sub_co_i32 s9, s3, s19
	s_cmp_ge_u32 s3, s19
	s_wait_dscnt 0x0
	s_cselect_b32 s8, s8, s11
	s_cselect_b32 s3, s9, s3
	s_add_co_i32 s9, s8, 1
	s_cmp_ge_u32 s3, s19
	s_load_b32 s3, s[0:1], 0x78
	s_cselect_b32 s8, s9, s8
	s_wait_kmcnt 0x0
	s_add_co_i32 s10, s34, -1
	s_xor_b32 s8, s8, s5
	s_mov_b32 s11, -1
	s_sub_co_i32 s5, s8, s5
	s_barrier_signal -1
	s_barrier_wait -1
	s_abs_i32 s16, s15
	s_delay_alu instid0(SALU_CYCLE_1) | instskip(NEXT) | instid1(SALU_CYCLE_3)
	s_cvt_f32_u32 s9, s16
	v_rcp_iflag_f32_e32 v1, s9
	v_nop
	s_delay_alu instid0(TRANS32_DEP_1) | instskip(SKIP_1) | instid1(SALU_CYCLE_3)
	v_readfirstlane_b32 s9, v1
	s_mul_f32 s8, s9, 0x4f7ffffe
	s_cvt_u32_f32 s19, s8
	s_sub_co_i32 s8, 0, s16
	s_delay_alu instid0(SALU_CYCLE_2)
	s_mul_i32 s9, s8, s19
	s_abs_i32 s8, s10
	s_mul_hi_u32 s21, s19, s9
	s_mov_b32 s9, 0
	s_add_co_i32 s22, s19, s21
	s_cmp_lt_i32 s3, 0
	s_mov_b32 s23, s9
                                        ; implicit-def: $sgpr21
	s_cbranch_scc0 .LBB163_6
; %bb.5:
	s_mul_i32 s6, s12, s6
	s_mov_b32 s11, s9
	s_add_co_i32 s6, s5, s6
	s_delay_alu instid0(SALU_CYCLE_1) | instskip(NEXT) | instid1(SALU_CYCLE_1)
	s_mul_i32 s6, s6, s3
	s_sub_co_i32 s21, 1, s6
.LBB163_6:
	s_ashr_i32 s6, s10, 31
	s_ashr_i32 s15, s15, 31
	s_and_not1_b32 vcc_lo, exec_lo, s11
	s_mul_u64 s[28:29], s[8:9], s[22:23]
	s_cbranch_vccnz .LBB163_8
; %bb.7:
	s_mul_i32 s9, s31, s12
	s_delay_alu instid0(SALU_CYCLE_1) | instskip(NEXT) | instid1(SALU_CYCLE_1)
	s_add_co_i32 s4, s9, s4
	s_mul_i32 s3, s4, s3
	s_delay_alu instid0(SALU_CYCLE_1)
	s_add_co_i32 s21, s3, 1
.LBB163_8:
	s_clause 0x1
	s_load_b32 s3, s[0:1], 0x38
	s_load_b64 s[24:25], s[0:1], 0x28
	s_xor_b32 s4, s6, s15
	s_mul_i32 s6, s29, s16
	s_add_co_i32 s19, s29, 1
	s_sub_co_i32 s6, s8, s6
	s_clause 0x1
	s_load_b32 s12, s[0:1], 0x88
	s_load_b128 s[8:11], s[0:1], 0x58
	v_dual_lshrrev_b32 v1, 5, v0 :: v_dual_lshrrev_b32 v19, 3, v0
	v_mov_b32_e32 v33, 0xff7fffff
	v_mbcnt_lo_u32_b32 v30, -1, 0
	s_mul_i32 s18, s5, s18
	s_delay_alu instid0(VALU_DEP_3)
	v_lshlrev_b32_e32 v18, 3, v1
	s_wait_kmcnt 0x0
	s_mul_i32 s26, s3, s33
	s_sub_co_i32 s3, s6, s16
	s_ashr_i32 s27, s26, 31
	s_cmp_ge_u32 s6, s16
	s_cselect_b32 s19, s19, s29
	s_cselect_b32 s3, s3, s6
	s_add_co_i32 s6, s19, 1
	s_cmp_ge_u32 s3, s16
	s_cselect_b32 s3, s6, s19
	s_add_co_i32 s6, s34, 7
	s_delay_alu instid0(SALU_CYCLE_1) | instskip(NEXT) | instid1(SALU_CYCLE_1)
	s_ashr_i32 s19, s6, 31
	s_lshr_b32 s19, s19, 29
	s_delay_alu instid0(SALU_CYCLE_1) | instskip(NEXT) | instid1(SALU_CYCLE_1)
	s_add_co_i32 s6, s6, s19
	s_ashr_i32 s35, s6, 3
	s_xor_b32 s6, s3, s4
	v_cmp_gt_i32_e64 s3, s35, v1
	s_sub_co_i32 s36, s6, s4
	s_and_saveexec_b32 s38, s3
	s_cbranch_execz .LBB163_148
; %bb.9:
	s_sub_co_i32 s39, s36, s13
	s_ashr_i32 s19, s18, 31
	s_cmp_neq_f32 s37, 0
	s_load_b64 s[42:43], s[0:1], 0x10
	v_bfe_u32 v31, v0, 2, 3
	v_dual_mov_b32 v21, 0 :: v_dual_lshlrev_b32 v32, 6, v2
	s_cselect_b32 vcc_lo, -1, 0
	s_abs_i32 s40, s14
	s_delay_alu instid0(VALU_DEP_2) | instskip(SKIP_3) | instid1(SALU_CYCLE_1)
	v_dual_lshlrev_b32 v22, 3, v1 :: v_dual_lshlrev_b32 v20, 4, v31
	s_cvt_f32_u32 s5, s40
	v_dual_mov_b32 v3, v21 :: v_dual_lshlrev_b32 v5, 2, v31
	s_lshl_b64 s[44:45], s[26:27], 2
	v_rcp_iflag_f32_e32 v4, s5
	v_subrev_nc_u32_e32 v6, s34, v31
	s_sub_co_i32 s6, 0, s40
	v_lshl_or_b32 v7, v1, 5, v5
	v_cmp_eq_u32_e64 s4, 0, v2
	v_dual_mov_b32 v36, 0xff7fffff :: v_dual_mov_b32 v37, v1
	s_delay_alu instid0(TRANS32_DEP_1)
	v_readfirstlane_b32 s5, v4
	s_wait_kmcnt 0x0
	s_add_nc_u64 s[42:43], s[42:43], s[18:19]
	v_dual_mov_b32 v33, 0xff7fffff :: v_dual_add_nc_u32 v34, 1, v6
	v_add_nc_u64_e32 v[4:5], s[42:43], v[20:21]
	s_mul_f32 s5, s5, 0x4f7ffffe
	v_and_b32_e32 v20, 0x7c, v19
	s_add_nc_u64 s[42:43], s[24:25], s[44:45]
	v_add_nc_u32_e32 v35, 0x120, v7
	s_cvt_u32_f32 s5, s5
	s_mov_b32 s29, 0
	v_add_nc_u64_e32 v[24:25], s[42:43], v[20:21]
	v_add_nc_u64_e32 v[26:27], v[4:5], v[2:3]
	s_mul_i32 s6, s6, s5
	s_mov_b32 s19, s17
	s_mul_hi_u32 s6, s5, s6
	s_mov_b32 s41, s29
	s_add_co_i32 s28, s5, s6
	s_branch .LBB163_12
.LBB163_10:                             ;   in Loop: Header=BB163_12 Depth=1
	s_or_b32 exec_lo, exec_lo, s42
.LBB163_11:                             ;   in Loop: Header=BB163_12 Depth=1
	s_delay_alu instid0(SALU_CYCLE_1) | instskip(SKIP_3) | instid1(VALU_DEP_3)
	s_or_b32 exec_lo, exec_lo, s6
	v_dual_add_nc_u32 v37, 4, v37 :: v_dual_add_nc_u32 v22, 32, v22
	v_add_nc_u64_e32 v[24:25], 16, v[24:25]
	v_add_nc_u32_e32 v35, 0x80, v35
	v_cmp_le_i32_e64 s5, s35, v37
	s_or_b32 s41, s5, s41
	s_delay_alu instid0(SALU_CYCLE_1)
	s_and_not1_b32 exec_lo, exec_lo, s41
	s_cbranch_execz .LBB163_147
.LBB163_12:                             ; =>This Inner Loop Header: Depth=1
	v_mov_b32_e32 v23, v21
	s_wait_dscnt 0x0
	s_delay_alu instid0(VALU_DEP_1) | instskip(NEXT) | instid1(VALU_DEP_1)
	v_mul_u64_e32 v[2:3], s[22:23], v[22:23]
	v_mul_lo_u32 v2, v3, s16
	s_delay_alu instid0(VALU_DEP_1) | instskip(NEXT) | instid1(VALU_DEP_1)
	v_sub_nc_u32_e32 v2, v22, v2
	v_subrev_nc_u32_e32 v5, s16, v2
	v_cmp_le_u32_e64 s5, s16, v2
	s_delay_alu instid0(VALU_DEP_1) | instskip(NEXT) | instid1(VALU_DEP_1)
	v_dual_add_nc_u32 v4, 1, v3 :: v_dual_cndmask_b32 v2, v2, v5, s5
	v_cndmask_b32_e64 v3, v3, v4, s5
	s_delay_alu instid0(VALU_DEP_2) | instskip(NEXT) | instid1(VALU_DEP_2)
	v_cmp_le_u32_e64 s5, s16, v2
	v_add_nc_u32_e32 v4, 1, v3
	s_delay_alu instid0(VALU_DEP_1) | instskip(NEXT) | instid1(VALU_DEP_1)
	v_cndmask_b32_e64 v2, v3, v4, s5
	v_xor_b32_e32 v2, s15, v2
	s_delay_alu instid0(VALU_DEP_1) | instskip(NEXT) | instid1(VALU_DEP_1)
	v_subrev_nc_u32_e32 v4, s15, v2
	v_add_nc_u32_e32 v5, s21, v4
	v_cmp_ge_i32_e64 s6, s39, v4
	s_delay_alu instid0(VALU_DEP_2) | instskip(NEXT) | instid1(VALU_DEP_1)
	v_sub_nc_u32_e32 v2, 0, v5
	v_dual_ashrrev_i32 v5, 31, v5 :: v_dual_max_i32 v20, v5, v2
	s_delay_alu instid0(VALU_DEP_1) | instskip(NEXT) | instid1(VALU_DEP_1)
	v_mul_u64_e32 v[2:3], s[28:29], v[20:21]
	v_mul_lo_u32 v2, v3, s40
	s_delay_alu instid0(VALU_DEP_1) | instskip(NEXT) | instid1(VALU_DEP_1)
	v_sub_nc_u32_e32 v2, v20, v2
	v_subrev_nc_u32_e32 v3, s40, v2
	v_cmp_le_u32_e64 s5, s40, v2
	s_delay_alu instid0(VALU_DEP_1) | instskip(NEXT) | instid1(VALU_DEP_1)
	v_cndmask_b32_e64 v2, v2, v3, s5
	v_subrev_nc_u32_e32 v3, s40, v2
	v_cmp_le_u32_e64 s5, s40, v2
	s_delay_alu instid0(VALU_DEP_1) | instskip(NEXT) | instid1(VALU_DEP_1)
	v_cndmask_b32_e64 v2, v2, v3, s5
	v_xor_b32_e32 v2, v2, v5
	s_delay_alu instid0(VALU_DEP_1) | instskip(NEXT) | instid1(VALU_DEP_1)
	v_sub_nc_u32_e32 v2, v2, v5
	v_cmp_ne_u32_e64 s5, 0, v2
	s_and_b32 s5, s5, s6
	s_delay_alu instid0(SALU_CYCLE_1) | instskip(NEXT) | instid1(SALU_CYCLE_1)
	s_and_saveexec_b32 s6, s5
	s_xor_b32 s5, exec_lo, s6
	s_cbranch_execz .LBB163_16
; %bb.13:                               ;   in Loop: Header=BB163_12 Depth=1
	s_and_saveexec_b32 s6, s4
; %bb.14:                               ;   in Loop: Header=BB163_12 Depth=1
	ds_store_b32 v35, v36
; %bb.15:                               ;   in Loop: Header=BB163_12 Depth=1
	s_or_b32 exec_lo, exec_lo, s6
.LBB163_16:                             ;   in Loop: Header=BB163_12 Depth=1
	s_and_not1_saveexec_b32 s6, s5
	s_cbranch_execz .LBB163_11
; %bb.17:                               ;   in Loop: Header=BB163_12 Depth=1
	global_load_b32 v2, v[24:25], off
	v_dual_mov_b32 v23, 0 :: v_dual_mov_b32 v38, 0
	s_mov_b32 s43, exec_lo
	s_wait_loadcnt 0x0
	v_mad_nc_i64_i32 v[28:29], v2, s19, v[26:27]
	global_load_u8 v39, v[28:29], off
	ds_load_b128 v[14:17], v32
	ds_load_b128 v[10:13], v32 offset:16
	ds_load_b128 v[6:9], v32 offset:32
	;; [unrolled: 1-line block ×3, first 2 shown]
	s_load_b32 s42, s[8:9], 0x0
	s_wait_loadcnt 0x0
	v_cmpx_ne_u16_e32 0, v39
	s_cbranch_execz .LBB163_25
; %bb.18:                               ;   in Loop: Header=BB163_12 Depth=1
	v_bfrev_b32_e32 v38, 1
	s_mov_b32 s44, exec_lo
	v_cmpx_ne_u16_e32 0x80, v39
	s_cbranch_execz .LBB163_24
; %bb.19:                               ;   in Loop: Header=BB163_12 Depth=1
	v_and_b32_e32 v20, 0xffff, v39
	v_mov_b32_e32 v38, 0x7f800001
	s_mov_b32 s45, exec_lo
	s_delay_alu instid0(VALU_DEP_2) | instskip(NEXT) | instid1(VALU_DEP_1)
	v_and_b32_e32 v40, 0x7f, v20
	v_cmpx_ne_u32_e32 0x7f, v40
	s_cbranch_execz .LBB163_23
; %bb.20:                               ;   in Loop: Header=BB163_12 Depth=1
	v_and_b32_e32 v20, 7, v20
	v_lshrrev_b32_e32 v38, 3, v40
	s_mov_b32 s46, exec_lo
	v_cmpx_gt_u32_e32 8, v40
; %bb.21:                               ;   in Loop: Header=BB163_12 Depth=1
	s_delay_alu instid0(VALU_DEP_3) | instskip(NEXT) | instid1(VALU_DEP_1)
	v_clz_i32_u32_e32 v38, v20
	v_min_u32_e32 v38, 32, v38
	s_delay_alu instid0(VALU_DEP_1) | instskip(NEXT) | instid1(VALU_DEP_1)
	v_subrev_nc_u32_e32 v40, 28, v38
	v_lshlrev_b64_e32 v[40:41], v40, v[20:21]
	s_delay_alu instid0(VALU_DEP_1)
	v_dual_sub_nc_u32 v38, 29, v38 :: v_dual_bitop2_b32 v20, 7, v40 bitop3:0x40
; %bb.22:                               ;   in Loop: Header=BB163_12 Depth=1
	s_or_b32 exec_lo, exec_lo, s46
	s_delay_alu instid0(VALU_DEP_1) | instskip(NEXT) | instid1(VALU_DEP_2)
	v_dual_lshlrev_b32 v39, 24, v39 :: v_dual_lshlrev_b32 v20, 20, v20
	v_lshl_add_u32 v38, v38, 23, 0x3c000000
	s_delay_alu instid0(VALU_DEP_2) | instskip(NEXT) | instid1(VALU_DEP_1)
	v_and_b32_e32 v39, 0x80000000, v39
	v_or3_b32 v38, v20, v39, v38
.LBB163_23:                             ;   in Loop: Header=BB163_12 Depth=1
	s_or_b32 exec_lo, exec_lo, s45
.LBB163_24:                             ;   in Loop: Header=BB163_12 Depth=1
	s_delay_alu instid0(SALU_CYCLE_1)
	s_or_b32 exec_lo, exec_lo, s44
.LBB163_25:                             ;   in Loop: Header=BB163_12 Depth=1
	s_delay_alu instid0(SALU_CYCLE_1)
	s_or_b32 exec_lo, exec_lo, s43
	global_load_u8 v39, v[28:29], off offset:4
	s_mov_b32 s43, exec_lo
	s_wait_loadcnt 0x0
	v_cmpx_ne_u16_e32 0, v39
	s_cbranch_execz .LBB163_33
; %bb.26:                               ;   in Loop: Header=BB163_12 Depth=1
	v_bfrev_b32_e32 v23, 1
	s_mov_b32 s44, exec_lo
	v_cmpx_ne_u16_e32 0x80, v39
	s_cbranch_execz .LBB163_32
; %bb.27:                               ;   in Loop: Header=BB163_12 Depth=1
	v_and_b32_e32 v20, 0xffff, v39
	v_mov_b32_e32 v23, 0x7f800001
	s_mov_b32 s45, exec_lo
	s_delay_alu instid0(VALU_DEP_2) | instskip(NEXT) | instid1(VALU_DEP_1)
	v_and_b32_e32 v40, 0x7f, v20
	v_cmpx_ne_u32_e32 0x7f, v40
	s_cbranch_execz .LBB163_31
; %bb.28:                               ;   in Loop: Header=BB163_12 Depth=1
	v_and_b32_e32 v20, 7, v20
	v_lshrrev_b32_e32 v23, 3, v40
	s_mov_b32 s46, exec_lo
	v_cmpx_gt_u32_e32 8, v40
; %bb.29:                               ;   in Loop: Header=BB163_12 Depth=1
	s_delay_alu instid0(VALU_DEP_3) | instskip(NEXT) | instid1(VALU_DEP_1)
	v_clz_i32_u32_e32 v23, v20
	v_min_u32_e32 v23, 32, v23
	s_delay_alu instid0(VALU_DEP_1) | instskip(NEXT) | instid1(VALU_DEP_1)
	v_subrev_nc_u32_e32 v40, 28, v23
	v_lshlrev_b64_e32 v[40:41], v40, v[20:21]
	s_delay_alu instid0(VALU_DEP_1)
	v_dual_sub_nc_u32 v23, 29, v23 :: v_dual_bitop2_b32 v20, 7, v40 bitop3:0x40
; %bb.30:                               ;   in Loop: Header=BB163_12 Depth=1
	s_or_b32 exec_lo, exec_lo, s46
	s_delay_alu instid0(VALU_DEP_1) | instskip(NEXT) | instid1(VALU_DEP_2)
	v_dual_lshlrev_b32 v39, 24, v39 :: v_dual_lshlrev_b32 v20, 20, v20
	v_lshl_add_u32 v23, v23, 23, 0x3c000000
	s_delay_alu instid0(VALU_DEP_2) | instskip(NEXT) | instid1(VALU_DEP_1)
	v_and_b32_e32 v39, 0x80000000, v39
	v_or3_b32 v23, v20, v39, v23
.LBB163_31:                             ;   in Loop: Header=BB163_12 Depth=1
	s_or_b32 exec_lo, exec_lo, s45
.LBB163_32:                             ;   in Loop: Header=BB163_12 Depth=1
	s_delay_alu instid0(SALU_CYCLE_1)
	s_or_b32 exec_lo, exec_lo, s44
.LBB163_33:                             ;   in Loop: Header=BB163_12 Depth=1
	s_delay_alu instid0(SALU_CYCLE_1)
	s_or_b32 exec_lo, exec_lo, s43
	global_load_u8 v41, v[28:29], off offset:8
	v_dual_mov_b32 v39, 0 :: v_dual_mov_b32 v40, 0
	s_mov_b32 s43, exec_lo
	s_wait_loadcnt 0x0
	v_cmpx_ne_u16_e32 0, v41
	s_cbranch_execz .LBB163_41
; %bb.34:                               ;   in Loop: Header=BB163_12 Depth=1
	v_bfrev_b32_e32 v40, 1
	s_mov_b32 s44, exec_lo
	v_cmpx_ne_u16_e32 0x80, v41
	s_cbranch_execz .LBB163_40
; %bb.35:                               ;   in Loop: Header=BB163_12 Depth=1
	v_and_b32_e32 v20, 0xffff, v41
	v_mov_b32_e32 v40, 0x7f800001
	s_mov_b32 s45, exec_lo
	s_delay_alu instid0(VALU_DEP_2) | instskip(NEXT) | instid1(VALU_DEP_1)
	v_and_b32_e32 v42, 0x7f, v20
	v_cmpx_ne_u32_e32 0x7f, v42
	s_cbranch_execz .LBB163_39
; %bb.36:                               ;   in Loop: Header=BB163_12 Depth=1
	v_dual_lshrrev_b32 v40, 3, v42 :: v_dual_bitop2_b32 v20, 7, v20 bitop3:0x40
	s_mov_b32 s46, exec_lo
	v_cmpx_gt_u32_e32 8, v42
; %bb.37:                               ;   in Loop: Header=BB163_12 Depth=1
	s_delay_alu instid0(VALU_DEP_2) | instskip(NEXT) | instid1(VALU_DEP_1)
	v_clz_i32_u32_e32 v40, v20
	v_min_u32_e32 v40, 32, v40
	s_delay_alu instid0(VALU_DEP_1) | instskip(NEXT) | instid1(VALU_DEP_1)
	v_subrev_nc_u32_e32 v42, 28, v40
	v_lshlrev_b64_e32 v[42:43], v42, v[20:21]
	s_delay_alu instid0(VALU_DEP_1)
	v_dual_sub_nc_u32 v40, 29, v40 :: v_dual_bitop2_b32 v20, 7, v42 bitop3:0x40
; %bb.38:                               ;   in Loop: Header=BB163_12 Depth=1
	s_or_b32 exec_lo, exec_lo, s46
	s_delay_alu instid0(VALU_DEP_1) | instskip(NEXT) | instid1(VALU_DEP_2)
	v_dual_lshlrev_b32 v41, 24, v41 :: v_dual_lshlrev_b32 v20, 20, v20
	v_lshl_add_u32 v40, v40, 23, 0x3c000000
	s_delay_alu instid0(VALU_DEP_2) | instskip(NEXT) | instid1(VALU_DEP_1)
	v_and_b32_e32 v41, 0x80000000, v41
	v_or3_b32 v40, v20, v41, v40
.LBB163_39:                             ;   in Loop: Header=BB163_12 Depth=1
	s_or_b32 exec_lo, exec_lo, s45
.LBB163_40:                             ;   in Loop: Header=BB163_12 Depth=1
	s_delay_alu instid0(SALU_CYCLE_1)
	s_or_b32 exec_lo, exec_lo, s44
.LBB163_41:                             ;   in Loop: Header=BB163_12 Depth=1
	s_delay_alu instid0(SALU_CYCLE_1)
	s_or_b32 exec_lo, exec_lo, s43
	global_load_u8 v41, v[28:29], off offset:12
	s_mov_b32 s43, exec_lo
	s_wait_loadcnt 0x0
	v_cmpx_ne_u16_e32 0, v41
	s_cbranch_execz .LBB163_49
; %bb.42:                               ;   in Loop: Header=BB163_12 Depth=1
	v_bfrev_b32_e32 v39, 1
	s_mov_b32 s44, exec_lo
	v_cmpx_ne_u16_e32 0x80, v41
	s_cbranch_execz .LBB163_48
; %bb.43:                               ;   in Loop: Header=BB163_12 Depth=1
	v_and_b32_e32 v20, 0xffff, v41
	v_mov_b32_e32 v39, 0x7f800001
	s_mov_b32 s45, exec_lo
	s_delay_alu instid0(VALU_DEP_2) | instskip(NEXT) | instid1(VALU_DEP_1)
	v_and_b32_e32 v42, 0x7f, v20
	v_cmpx_ne_u32_e32 0x7f, v42
	s_cbranch_execz .LBB163_47
; %bb.44:                               ;   in Loop: Header=BB163_12 Depth=1
	v_dual_lshrrev_b32 v39, 3, v42 :: v_dual_bitop2_b32 v20, 7, v20 bitop3:0x40
	s_mov_b32 s46, exec_lo
	v_cmpx_gt_u32_e32 8, v42
; %bb.45:                               ;   in Loop: Header=BB163_12 Depth=1
	s_delay_alu instid0(VALU_DEP_2) | instskip(NEXT) | instid1(VALU_DEP_1)
	v_clz_i32_u32_e32 v39, v20
	v_min_u32_e32 v39, 32, v39
	s_delay_alu instid0(VALU_DEP_1) | instskip(NEXT) | instid1(VALU_DEP_1)
	v_subrev_nc_u32_e32 v42, 28, v39
	v_lshlrev_b64_e32 v[42:43], v42, v[20:21]
	s_delay_alu instid0(VALU_DEP_1)
	v_dual_sub_nc_u32 v39, 29, v39 :: v_dual_bitop2_b32 v20, 7, v42 bitop3:0x40
; %bb.46:                               ;   in Loop: Header=BB163_12 Depth=1
	s_or_b32 exec_lo, exec_lo, s46
	s_delay_alu instid0(VALU_DEP_1) | instskip(NEXT) | instid1(VALU_DEP_2)
	v_dual_lshlrev_b32 v41, 24, v41 :: v_dual_lshlrev_b32 v20, 20, v20
	v_lshl_add_u32 v39, v39, 23, 0x3c000000
	s_delay_alu instid0(VALU_DEP_2) | instskip(NEXT) | instid1(VALU_DEP_1)
	v_and_b32_e32 v41, 0x80000000, v41
	v_or3_b32 v39, v20, v41, v39
.LBB163_47:                             ;   in Loop: Header=BB163_12 Depth=1
	s_or_b32 exec_lo, exec_lo, s45
.LBB163_48:                             ;   in Loop: Header=BB163_12 Depth=1
	s_delay_alu instid0(SALU_CYCLE_1)
	s_or_b32 exec_lo, exec_lo, s44
.LBB163_49:                             ;   in Loop: Header=BB163_12 Depth=1
	s_delay_alu instid0(SALU_CYCLE_1)
	s_or_b32 exec_lo, exec_lo, s43
	global_load_u8 v43, v[28:29], off offset:128
	v_dual_mov_b32 v41, 0 :: v_dual_mov_b32 v42, 0
	s_mov_b32 s43, exec_lo
	s_wait_loadcnt 0x0
	v_cmpx_ne_u16_e32 0, v43
	s_cbranch_execz .LBB163_57
; %bb.50:                               ;   in Loop: Header=BB163_12 Depth=1
	v_bfrev_b32_e32 v42, 1
	s_mov_b32 s44, exec_lo
	v_cmpx_ne_u16_e32 0x80, v43
	s_cbranch_execz .LBB163_56
; %bb.51:                               ;   in Loop: Header=BB163_12 Depth=1
	v_and_b32_e32 v20, 0xffff, v43
	v_mov_b32_e32 v42, 0x7f800001
	s_mov_b32 s45, exec_lo
	s_delay_alu instid0(VALU_DEP_2) | instskip(NEXT) | instid1(VALU_DEP_1)
	v_and_b32_e32 v44, 0x7f, v20
	v_cmpx_ne_u32_e32 0x7f, v44
	s_cbranch_execz .LBB163_55
; %bb.52:                               ;   in Loop: Header=BB163_12 Depth=1
	v_and_b32_e32 v20, 7, v20
	v_lshrrev_b32_e32 v42, 3, v44
	s_mov_b32 s46, exec_lo
	v_cmpx_gt_u32_e32 8, v44
; %bb.53:                               ;   in Loop: Header=BB163_12 Depth=1
	s_delay_alu instid0(VALU_DEP_3) | instskip(NEXT) | instid1(VALU_DEP_1)
	v_clz_i32_u32_e32 v42, v20
	v_min_u32_e32 v42, 32, v42
	s_delay_alu instid0(VALU_DEP_1) | instskip(NEXT) | instid1(VALU_DEP_1)
	v_subrev_nc_u32_e32 v44, 28, v42
	v_lshlrev_b64_e32 v[44:45], v44, v[20:21]
	s_delay_alu instid0(VALU_DEP_1)
	v_dual_sub_nc_u32 v42, 29, v42 :: v_dual_bitop2_b32 v20, 7, v44 bitop3:0x40
; %bb.54:                               ;   in Loop: Header=BB163_12 Depth=1
	s_or_b32 exec_lo, exec_lo, s46
	s_delay_alu instid0(VALU_DEP_1) | instskip(NEXT) | instid1(VALU_DEP_2)
	v_dual_lshlrev_b32 v43, 24, v43 :: v_dual_lshlrev_b32 v20, 20, v20
	v_lshl_add_u32 v42, v42, 23, 0x3c000000
	s_delay_alu instid0(VALU_DEP_2) | instskip(NEXT) | instid1(VALU_DEP_1)
	v_and_b32_e32 v43, 0x80000000, v43
	v_or3_b32 v42, v20, v43, v42
.LBB163_55:                             ;   in Loop: Header=BB163_12 Depth=1
	s_or_b32 exec_lo, exec_lo, s45
.LBB163_56:                             ;   in Loop: Header=BB163_12 Depth=1
	s_delay_alu instid0(SALU_CYCLE_1)
	s_or_b32 exec_lo, exec_lo, s44
.LBB163_57:                             ;   in Loop: Header=BB163_12 Depth=1
	s_delay_alu instid0(SALU_CYCLE_1)
	s_or_b32 exec_lo, exec_lo, s43
	global_load_u8 v43, v[28:29], off offset:132
	s_mov_b32 s43, exec_lo
	s_wait_loadcnt 0x0
	v_cmpx_ne_u16_e32 0, v43
	s_cbranch_execz .LBB163_65
; %bb.58:                               ;   in Loop: Header=BB163_12 Depth=1
	v_bfrev_b32_e32 v41, 1
	s_mov_b32 s44, exec_lo
	v_cmpx_ne_u16_e32 0x80, v43
	s_cbranch_execz .LBB163_64
; %bb.59:                               ;   in Loop: Header=BB163_12 Depth=1
	v_and_b32_e32 v20, 0xffff, v43
	v_mov_b32_e32 v41, 0x7f800001
	s_mov_b32 s45, exec_lo
	s_delay_alu instid0(VALU_DEP_2) | instskip(NEXT) | instid1(VALU_DEP_1)
	v_and_b32_e32 v44, 0x7f, v20
	v_cmpx_ne_u32_e32 0x7f, v44
	s_cbranch_execz .LBB163_63
; %bb.60:                               ;   in Loop: Header=BB163_12 Depth=1
	v_and_b32_e32 v20, 7, v20
	v_lshrrev_b32_e32 v41, 3, v44
	s_mov_b32 s46, exec_lo
	v_cmpx_gt_u32_e32 8, v44
; %bb.61:                               ;   in Loop: Header=BB163_12 Depth=1
	s_delay_alu instid0(VALU_DEP_3) | instskip(NEXT) | instid1(VALU_DEP_1)
	v_clz_i32_u32_e32 v41, v20
	v_min_u32_e32 v41, 32, v41
	s_delay_alu instid0(VALU_DEP_1) | instskip(NEXT) | instid1(VALU_DEP_1)
	v_subrev_nc_u32_e32 v44, 28, v41
	v_lshlrev_b64_e32 v[44:45], v44, v[20:21]
	s_delay_alu instid0(VALU_DEP_1)
	v_dual_sub_nc_u32 v41, 29, v41 :: v_dual_bitop2_b32 v20, 7, v44 bitop3:0x40
; %bb.62:                               ;   in Loop: Header=BB163_12 Depth=1
	s_or_b32 exec_lo, exec_lo, s46
	s_delay_alu instid0(VALU_DEP_1) | instskip(NEXT) | instid1(VALU_DEP_2)
	v_dual_lshlrev_b32 v43, 24, v43 :: v_dual_lshlrev_b32 v20, 20, v20
	v_lshl_add_u32 v41, v41, 23, 0x3c000000
	s_delay_alu instid0(VALU_DEP_2) | instskip(NEXT) | instid1(VALU_DEP_1)
	v_and_b32_e32 v43, 0x80000000, v43
	v_or3_b32 v41, v20, v43, v41
.LBB163_63:                             ;   in Loop: Header=BB163_12 Depth=1
	s_or_b32 exec_lo, exec_lo, s45
.LBB163_64:                             ;   in Loop: Header=BB163_12 Depth=1
	s_delay_alu instid0(SALU_CYCLE_1)
	s_or_b32 exec_lo, exec_lo, s44
.LBB163_65:                             ;   in Loop: Header=BB163_12 Depth=1
	s_delay_alu instid0(SALU_CYCLE_1)
	s_or_b32 exec_lo, exec_lo, s43
	global_load_u8 v45, v[28:29], off offset:136
	v_dual_mov_b32 v43, 0 :: v_dual_mov_b32 v44, 0
	s_mov_b32 s43, exec_lo
	s_wait_loadcnt 0x0
	v_cmpx_ne_u16_e32 0, v45
	s_cbranch_execz .LBB163_73
; %bb.66:                               ;   in Loop: Header=BB163_12 Depth=1
	v_bfrev_b32_e32 v44, 1
	s_mov_b32 s44, exec_lo
	v_cmpx_ne_u16_e32 0x80, v45
	s_cbranch_execz .LBB163_72
; %bb.67:                               ;   in Loop: Header=BB163_12 Depth=1
	v_and_b32_e32 v20, 0xffff, v45
	v_mov_b32_e32 v44, 0x7f800001
	s_mov_b32 s45, exec_lo
	s_delay_alu instid0(VALU_DEP_2) | instskip(NEXT) | instid1(VALU_DEP_1)
	v_and_b32_e32 v46, 0x7f, v20
	v_cmpx_ne_u32_e32 0x7f, v46
	s_cbranch_execz .LBB163_71
; %bb.68:                               ;   in Loop: Header=BB163_12 Depth=1
	v_dual_lshrrev_b32 v44, 3, v46 :: v_dual_bitop2_b32 v20, 7, v20 bitop3:0x40
	s_mov_b32 s46, exec_lo
	v_cmpx_gt_u32_e32 8, v46
; %bb.69:                               ;   in Loop: Header=BB163_12 Depth=1
	s_delay_alu instid0(VALU_DEP_2) | instskip(NEXT) | instid1(VALU_DEP_1)
	v_clz_i32_u32_e32 v44, v20
	v_min_u32_e32 v44, 32, v44
	s_delay_alu instid0(VALU_DEP_1) | instskip(NEXT) | instid1(VALU_DEP_1)
	v_subrev_nc_u32_e32 v46, 28, v44
	v_lshlrev_b64_e32 v[46:47], v46, v[20:21]
	s_delay_alu instid0(VALU_DEP_1)
	v_dual_sub_nc_u32 v44, 29, v44 :: v_dual_bitop2_b32 v20, 7, v46 bitop3:0x40
; %bb.70:                               ;   in Loop: Header=BB163_12 Depth=1
	s_or_b32 exec_lo, exec_lo, s46
	s_delay_alu instid0(VALU_DEP_1) | instskip(NEXT) | instid1(VALU_DEP_2)
	v_dual_lshlrev_b32 v45, 24, v45 :: v_dual_lshlrev_b32 v20, 20, v20
	v_lshl_add_u32 v44, v44, 23, 0x3c000000
	s_delay_alu instid0(VALU_DEP_2) | instskip(NEXT) | instid1(VALU_DEP_1)
	v_and_b32_e32 v45, 0x80000000, v45
	v_or3_b32 v44, v20, v45, v44
.LBB163_71:                             ;   in Loop: Header=BB163_12 Depth=1
	s_or_b32 exec_lo, exec_lo, s45
.LBB163_72:                             ;   in Loop: Header=BB163_12 Depth=1
	s_delay_alu instid0(SALU_CYCLE_1)
	s_or_b32 exec_lo, exec_lo, s44
.LBB163_73:                             ;   in Loop: Header=BB163_12 Depth=1
	s_delay_alu instid0(SALU_CYCLE_1)
	s_or_b32 exec_lo, exec_lo, s43
	global_load_u8 v45, v[28:29], off offset:140
	s_mov_b32 s43, exec_lo
	s_wait_loadcnt 0x0
	v_cmpx_ne_u16_e32 0, v45
	s_cbranch_execz .LBB163_81
; %bb.74:                               ;   in Loop: Header=BB163_12 Depth=1
	v_bfrev_b32_e32 v43, 1
	s_mov_b32 s44, exec_lo
	v_cmpx_ne_u16_e32 0x80, v45
	s_cbranch_execz .LBB163_80
; %bb.75:                               ;   in Loop: Header=BB163_12 Depth=1
	v_and_b32_e32 v20, 0xffff, v45
	v_mov_b32_e32 v43, 0x7f800001
	s_mov_b32 s45, exec_lo
	s_delay_alu instid0(VALU_DEP_2) | instskip(NEXT) | instid1(VALU_DEP_1)
	v_and_b32_e32 v46, 0x7f, v20
	v_cmpx_ne_u32_e32 0x7f, v46
	s_cbranch_execz .LBB163_79
; %bb.76:                               ;   in Loop: Header=BB163_12 Depth=1
	v_dual_lshrrev_b32 v43, 3, v46 :: v_dual_bitop2_b32 v20, 7, v20 bitop3:0x40
	s_mov_b32 s46, exec_lo
	v_cmpx_gt_u32_e32 8, v46
; %bb.77:                               ;   in Loop: Header=BB163_12 Depth=1
	s_delay_alu instid0(VALU_DEP_2) | instskip(NEXT) | instid1(VALU_DEP_1)
	v_clz_i32_u32_e32 v43, v20
	v_min_u32_e32 v43, 32, v43
	s_delay_alu instid0(VALU_DEP_1) | instskip(NEXT) | instid1(VALU_DEP_1)
	v_subrev_nc_u32_e32 v46, 28, v43
	v_lshlrev_b64_e32 v[46:47], v46, v[20:21]
	s_delay_alu instid0(VALU_DEP_1)
	v_dual_sub_nc_u32 v43, 29, v43 :: v_dual_bitop2_b32 v20, 7, v46 bitop3:0x40
; %bb.78:                               ;   in Loop: Header=BB163_12 Depth=1
	s_or_b32 exec_lo, exec_lo, s46
	s_delay_alu instid0(VALU_DEP_1) | instskip(NEXT) | instid1(VALU_DEP_2)
	v_dual_lshlrev_b32 v45, 24, v45 :: v_dual_lshlrev_b32 v20, 20, v20
	v_lshl_add_u32 v43, v43, 23, 0x3c000000
	s_delay_alu instid0(VALU_DEP_2) | instskip(NEXT) | instid1(VALU_DEP_1)
	v_and_b32_e32 v45, 0x80000000, v45
	v_or3_b32 v43, v20, v45, v43
.LBB163_79:                             ;   in Loop: Header=BB163_12 Depth=1
	s_or_b32 exec_lo, exec_lo, s45
.LBB163_80:                             ;   in Loop: Header=BB163_12 Depth=1
	s_delay_alu instid0(SALU_CYCLE_1)
	s_or_b32 exec_lo, exec_lo, s44
.LBB163_81:                             ;   in Loop: Header=BB163_12 Depth=1
	s_delay_alu instid0(SALU_CYCLE_1)
	s_or_b32 exec_lo, exec_lo, s43
	global_load_u8 v47, v[28:29], off offset:256
	v_dual_mov_b32 v45, 0 :: v_dual_mov_b32 v46, 0
	s_mov_b32 s43, exec_lo
	s_wait_loadcnt 0x0
	v_cmpx_ne_u16_e32 0, v47
	s_cbranch_execz .LBB163_89
; %bb.82:                               ;   in Loop: Header=BB163_12 Depth=1
	v_bfrev_b32_e32 v46, 1
	s_mov_b32 s44, exec_lo
	v_cmpx_ne_u16_e32 0x80, v47
	s_cbranch_execz .LBB163_88
; %bb.83:                               ;   in Loop: Header=BB163_12 Depth=1
	v_and_b32_e32 v20, 0xffff, v47
	v_mov_b32_e32 v46, 0x7f800001
	s_mov_b32 s45, exec_lo
	s_delay_alu instid0(VALU_DEP_2) | instskip(NEXT) | instid1(VALU_DEP_1)
	v_and_b32_e32 v48, 0x7f, v20
	v_cmpx_ne_u32_e32 0x7f, v48
	s_cbranch_execz .LBB163_87
; %bb.84:                               ;   in Loop: Header=BB163_12 Depth=1
	v_and_b32_e32 v20, 7, v20
	v_lshrrev_b32_e32 v46, 3, v48
	s_mov_b32 s46, exec_lo
	v_cmpx_gt_u32_e32 8, v48
; %bb.85:                               ;   in Loop: Header=BB163_12 Depth=1
	s_delay_alu instid0(VALU_DEP_3) | instskip(NEXT) | instid1(VALU_DEP_1)
	v_clz_i32_u32_e32 v46, v20
	v_min_u32_e32 v46, 32, v46
	s_delay_alu instid0(VALU_DEP_1) | instskip(NEXT) | instid1(VALU_DEP_1)
	v_subrev_nc_u32_e32 v48, 28, v46
	v_lshlrev_b64_e32 v[48:49], v48, v[20:21]
	s_delay_alu instid0(VALU_DEP_1)
	v_dual_sub_nc_u32 v46, 29, v46 :: v_dual_bitop2_b32 v20, 7, v48 bitop3:0x40
; %bb.86:                               ;   in Loop: Header=BB163_12 Depth=1
	s_or_b32 exec_lo, exec_lo, s46
	s_delay_alu instid0(VALU_DEP_1) | instskip(NEXT) | instid1(VALU_DEP_2)
	v_dual_lshlrev_b32 v47, 24, v47 :: v_dual_lshlrev_b32 v20, 20, v20
	v_lshl_add_u32 v46, v46, 23, 0x3c000000
	s_delay_alu instid0(VALU_DEP_2) | instskip(NEXT) | instid1(VALU_DEP_1)
	v_and_b32_e32 v47, 0x80000000, v47
	v_or3_b32 v46, v20, v47, v46
.LBB163_87:                             ;   in Loop: Header=BB163_12 Depth=1
	s_or_b32 exec_lo, exec_lo, s45
.LBB163_88:                             ;   in Loop: Header=BB163_12 Depth=1
	s_delay_alu instid0(SALU_CYCLE_1)
	s_or_b32 exec_lo, exec_lo, s44
.LBB163_89:                             ;   in Loop: Header=BB163_12 Depth=1
	s_delay_alu instid0(SALU_CYCLE_1)
	s_or_b32 exec_lo, exec_lo, s43
	global_load_u8 v47, v[28:29], off offset:260
	s_mov_b32 s43, exec_lo
	s_wait_loadcnt 0x0
	v_cmpx_ne_u16_e32 0, v47
	s_cbranch_execz .LBB163_97
; %bb.90:                               ;   in Loop: Header=BB163_12 Depth=1
	v_bfrev_b32_e32 v45, 1
	s_mov_b32 s44, exec_lo
	v_cmpx_ne_u16_e32 0x80, v47
	s_cbranch_execz .LBB163_96
; %bb.91:                               ;   in Loop: Header=BB163_12 Depth=1
	v_and_b32_e32 v20, 0xffff, v47
	v_mov_b32_e32 v45, 0x7f800001
	s_mov_b32 s45, exec_lo
	s_delay_alu instid0(VALU_DEP_2) | instskip(NEXT) | instid1(VALU_DEP_1)
	v_and_b32_e32 v48, 0x7f, v20
	v_cmpx_ne_u32_e32 0x7f, v48
	s_cbranch_execz .LBB163_95
; %bb.92:                               ;   in Loop: Header=BB163_12 Depth=1
	v_and_b32_e32 v20, 7, v20
	v_lshrrev_b32_e32 v45, 3, v48
	s_mov_b32 s46, exec_lo
	v_cmpx_gt_u32_e32 8, v48
; %bb.93:                               ;   in Loop: Header=BB163_12 Depth=1
	s_delay_alu instid0(VALU_DEP_3) | instskip(NEXT) | instid1(VALU_DEP_1)
	v_clz_i32_u32_e32 v45, v20
	v_min_u32_e32 v45, 32, v45
	s_delay_alu instid0(VALU_DEP_1) | instskip(NEXT) | instid1(VALU_DEP_1)
	v_subrev_nc_u32_e32 v48, 28, v45
	v_lshlrev_b64_e32 v[48:49], v48, v[20:21]
	s_delay_alu instid0(VALU_DEP_1)
	v_dual_sub_nc_u32 v45, 29, v45 :: v_dual_bitop2_b32 v20, 7, v48 bitop3:0x40
; %bb.94:                               ;   in Loop: Header=BB163_12 Depth=1
	s_or_b32 exec_lo, exec_lo, s46
	s_delay_alu instid0(VALU_DEP_1) | instskip(NEXT) | instid1(VALU_DEP_2)
	v_dual_lshlrev_b32 v47, 24, v47 :: v_dual_lshlrev_b32 v20, 20, v20
	v_lshl_add_u32 v45, v45, 23, 0x3c000000
	s_delay_alu instid0(VALU_DEP_2) | instskip(NEXT) | instid1(VALU_DEP_1)
	v_and_b32_e32 v47, 0x80000000, v47
	v_or3_b32 v45, v20, v47, v45
.LBB163_95:                             ;   in Loop: Header=BB163_12 Depth=1
	s_or_b32 exec_lo, exec_lo, s45
.LBB163_96:                             ;   in Loop: Header=BB163_12 Depth=1
	s_delay_alu instid0(SALU_CYCLE_1)
	s_or_b32 exec_lo, exec_lo, s44
.LBB163_97:                             ;   in Loop: Header=BB163_12 Depth=1
	s_delay_alu instid0(SALU_CYCLE_1)
	s_or_b32 exec_lo, exec_lo, s43
	global_load_u8 v49, v[28:29], off offset:264
	v_dual_mov_b32 v47, 0 :: v_dual_mov_b32 v48, 0
	s_mov_b32 s43, exec_lo
	s_wait_loadcnt 0x0
	v_cmpx_ne_u16_e32 0, v49
	s_cbranch_execz .LBB163_105
; %bb.98:                               ;   in Loop: Header=BB163_12 Depth=1
	v_bfrev_b32_e32 v48, 1
	s_mov_b32 s44, exec_lo
	v_cmpx_ne_u16_e32 0x80, v49
	s_cbranch_execz .LBB163_104
; %bb.99:                               ;   in Loop: Header=BB163_12 Depth=1
	v_and_b32_e32 v20, 0xffff, v49
	v_mov_b32_e32 v48, 0x7f800001
	s_mov_b32 s45, exec_lo
	s_delay_alu instid0(VALU_DEP_2) | instskip(NEXT) | instid1(VALU_DEP_1)
	v_and_b32_e32 v50, 0x7f, v20
	v_cmpx_ne_u32_e32 0x7f, v50
	s_cbranch_execz .LBB163_103
; %bb.100:                              ;   in Loop: Header=BB163_12 Depth=1
	v_dual_lshrrev_b32 v48, 3, v50 :: v_dual_bitop2_b32 v20, 7, v20 bitop3:0x40
	s_mov_b32 s46, exec_lo
	v_cmpx_gt_u32_e32 8, v50
; %bb.101:                              ;   in Loop: Header=BB163_12 Depth=1
	s_delay_alu instid0(VALU_DEP_2) | instskip(NEXT) | instid1(VALU_DEP_1)
	v_clz_i32_u32_e32 v48, v20
	v_min_u32_e32 v48, 32, v48
	s_delay_alu instid0(VALU_DEP_1) | instskip(NEXT) | instid1(VALU_DEP_1)
	v_subrev_nc_u32_e32 v50, 28, v48
	v_lshlrev_b64_e32 v[50:51], v50, v[20:21]
	s_delay_alu instid0(VALU_DEP_1)
	v_dual_sub_nc_u32 v48, 29, v48 :: v_dual_bitop2_b32 v20, 7, v50 bitop3:0x40
; %bb.102:                              ;   in Loop: Header=BB163_12 Depth=1
	s_or_b32 exec_lo, exec_lo, s46
	s_delay_alu instid0(VALU_DEP_1) | instskip(NEXT) | instid1(VALU_DEP_2)
	v_dual_lshlrev_b32 v49, 24, v49 :: v_dual_lshlrev_b32 v20, 20, v20
	v_lshl_add_u32 v48, v48, 23, 0x3c000000
	s_delay_alu instid0(VALU_DEP_2) | instskip(NEXT) | instid1(VALU_DEP_1)
	v_and_b32_e32 v49, 0x80000000, v49
	v_or3_b32 v48, v20, v49, v48
.LBB163_103:                            ;   in Loop: Header=BB163_12 Depth=1
	s_or_b32 exec_lo, exec_lo, s45
.LBB163_104:                            ;   in Loop: Header=BB163_12 Depth=1
	s_delay_alu instid0(SALU_CYCLE_1)
	s_or_b32 exec_lo, exec_lo, s44
.LBB163_105:                            ;   in Loop: Header=BB163_12 Depth=1
	s_delay_alu instid0(SALU_CYCLE_1)
	s_or_b32 exec_lo, exec_lo, s43
	global_load_u8 v49, v[28:29], off offset:268
	s_mov_b32 s43, exec_lo
	s_wait_loadcnt 0x0
	v_cmpx_ne_u16_e32 0, v49
	s_cbranch_execz .LBB163_113
; %bb.106:                              ;   in Loop: Header=BB163_12 Depth=1
	v_bfrev_b32_e32 v47, 1
	s_mov_b32 s44, exec_lo
	v_cmpx_ne_u16_e32 0x80, v49
	s_cbranch_execz .LBB163_112
; %bb.107:                              ;   in Loop: Header=BB163_12 Depth=1
	v_and_b32_e32 v20, 0xffff, v49
	v_mov_b32_e32 v47, 0x7f800001
	s_mov_b32 s45, exec_lo
	s_delay_alu instid0(VALU_DEP_2) | instskip(NEXT) | instid1(VALU_DEP_1)
	v_and_b32_e32 v50, 0x7f, v20
	v_cmpx_ne_u32_e32 0x7f, v50
	s_cbranch_execz .LBB163_111
; %bb.108:                              ;   in Loop: Header=BB163_12 Depth=1
	v_dual_lshrrev_b32 v47, 3, v50 :: v_dual_bitop2_b32 v20, 7, v20 bitop3:0x40
	s_mov_b32 s46, exec_lo
	v_cmpx_gt_u32_e32 8, v50
; %bb.109:                              ;   in Loop: Header=BB163_12 Depth=1
	s_delay_alu instid0(VALU_DEP_2) | instskip(NEXT) | instid1(VALU_DEP_1)
	v_clz_i32_u32_e32 v47, v20
	v_min_u32_e32 v47, 32, v47
	s_delay_alu instid0(VALU_DEP_1) | instskip(NEXT) | instid1(VALU_DEP_1)
	v_subrev_nc_u32_e32 v50, 28, v47
	v_lshlrev_b64_e32 v[50:51], v50, v[20:21]
	s_delay_alu instid0(VALU_DEP_1)
	v_dual_sub_nc_u32 v47, 29, v47 :: v_dual_bitop2_b32 v20, 7, v50 bitop3:0x40
; %bb.110:                              ;   in Loop: Header=BB163_12 Depth=1
	s_or_b32 exec_lo, exec_lo, s46
	s_delay_alu instid0(VALU_DEP_1) | instskip(NEXT) | instid1(VALU_DEP_2)
	v_dual_lshlrev_b32 v49, 24, v49 :: v_dual_lshlrev_b32 v20, 20, v20
	v_lshl_add_u32 v47, v47, 23, 0x3c000000
	s_delay_alu instid0(VALU_DEP_2) | instskip(NEXT) | instid1(VALU_DEP_1)
	v_and_b32_e32 v49, 0x80000000, v49
	v_or3_b32 v47, v20, v49, v47
.LBB163_111:                            ;   in Loop: Header=BB163_12 Depth=1
	s_or_b32 exec_lo, exec_lo, s45
.LBB163_112:                            ;   in Loop: Header=BB163_12 Depth=1
	s_delay_alu instid0(SALU_CYCLE_1)
	s_or_b32 exec_lo, exec_lo, s44
.LBB163_113:                            ;   in Loop: Header=BB163_12 Depth=1
	s_delay_alu instid0(SALU_CYCLE_1)
	s_or_b32 exec_lo, exec_lo, s43
	global_load_u8 v51, v[28:29], off offset:384
	v_dual_mov_b32 v49, 0 :: v_dual_mov_b32 v50, 0
	s_mov_b32 s43, exec_lo
	s_wait_loadcnt 0x0
	v_cmpx_ne_u16_e32 0, v51
	s_cbranch_execz .LBB163_121
; %bb.114:                              ;   in Loop: Header=BB163_12 Depth=1
	v_bfrev_b32_e32 v50, 1
	s_mov_b32 s44, exec_lo
	v_cmpx_ne_u16_e32 0x80, v51
	s_cbranch_execz .LBB163_120
; %bb.115:                              ;   in Loop: Header=BB163_12 Depth=1
	v_and_b32_e32 v20, 0xffff, v51
	v_mov_b32_e32 v50, 0x7f800001
	s_mov_b32 s45, exec_lo
	s_delay_alu instid0(VALU_DEP_2) | instskip(NEXT) | instid1(VALU_DEP_1)
	v_and_b32_e32 v52, 0x7f, v20
	v_cmpx_ne_u32_e32 0x7f, v52
	s_cbranch_execz .LBB163_119
; %bb.116:                              ;   in Loop: Header=BB163_12 Depth=1
	v_and_b32_e32 v20, 7, v20
	v_lshrrev_b32_e32 v50, 3, v52
	s_mov_b32 s46, exec_lo
	v_cmpx_gt_u32_e32 8, v52
; %bb.117:                              ;   in Loop: Header=BB163_12 Depth=1
	s_delay_alu instid0(VALU_DEP_3) | instskip(NEXT) | instid1(VALU_DEP_1)
	v_clz_i32_u32_e32 v50, v20
	v_min_u32_e32 v50, 32, v50
	s_delay_alu instid0(VALU_DEP_1) | instskip(NEXT) | instid1(VALU_DEP_1)
	v_subrev_nc_u32_e32 v52, 28, v50
	v_lshlrev_b64_e32 v[52:53], v52, v[20:21]
	s_delay_alu instid0(VALU_DEP_1)
	v_dual_sub_nc_u32 v50, 29, v50 :: v_dual_bitop2_b32 v20, 7, v52 bitop3:0x40
; %bb.118:                              ;   in Loop: Header=BB163_12 Depth=1
	s_or_b32 exec_lo, exec_lo, s46
	s_delay_alu instid0(VALU_DEP_1) | instskip(NEXT) | instid1(VALU_DEP_2)
	v_dual_lshlrev_b32 v51, 24, v51 :: v_dual_lshlrev_b32 v20, 20, v20
	v_lshl_add_u32 v50, v50, 23, 0x3c000000
	s_delay_alu instid0(VALU_DEP_2) | instskip(NEXT) | instid1(VALU_DEP_1)
	v_and_b32_e32 v51, 0x80000000, v51
	v_or3_b32 v50, v20, v51, v50
.LBB163_119:                            ;   in Loop: Header=BB163_12 Depth=1
	s_or_b32 exec_lo, exec_lo, s45
.LBB163_120:                            ;   in Loop: Header=BB163_12 Depth=1
	s_delay_alu instid0(SALU_CYCLE_1)
	s_or_b32 exec_lo, exec_lo, s44
.LBB163_121:                            ;   in Loop: Header=BB163_12 Depth=1
	s_delay_alu instid0(SALU_CYCLE_1)
	s_or_b32 exec_lo, exec_lo, s43
	global_load_u8 v51, v[28:29], off offset:388
	s_mov_b32 s43, exec_lo
	s_wait_loadcnt 0x0
	v_cmpx_ne_u16_e32 0, v51
	s_cbranch_execz .LBB163_129
; %bb.122:                              ;   in Loop: Header=BB163_12 Depth=1
	v_bfrev_b32_e32 v49, 1
	s_mov_b32 s44, exec_lo
	v_cmpx_ne_u16_e32 0x80, v51
	s_cbranch_execz .LBB163_128
; %bb.123:                              ;   in Loop: Header=BB163_12 Depth=1
	v_and_b32_e32 v20, 0xffff, v51
	v_mov_b32_e32 v49, 0x7f800001
	s_mov_b32 s45, exec_lo
	s_delay_alu instid0(VALU_DEP_2) | instskip(NEXT) | instid1(VALU_DEP_1)
	v_and_b32_e32 v52, 0x7f, v20
	v_cmpx_ne_u32_e32 0x7f, v52
	s_cbranch_execz .LBB163_127
; %bb.124:                              ;   in Loop: Header=BB163_12 Depth=1
	v_and_b32_e32 v20, 7, v20
	v_lshrrev_b32_e32 v49, 3, v52
	s_mov_b32 s46, exec_lo
	v_cmpx_gt_u32_e32 8, v52
; %bb.125:                              ;   in Loop: Header=BB163_12 Depth=1
	s_delay_alu instid0(VALU_DEP_3) | instskip(NEXT) | instid1(VALU_DEP_1)
	v_clz_i32_u32_e32 v49, v20
	v_min_u32_e32 v49, 32, v49
	s_delay_alu instid0(VALU_DEP_1) | instskip(NEXT) | instid1(VALU_DEP_1)
	v_subrev_nc_u32_e32 v52, 28, v49
	v_lshlrev_b64_e32 v[52:53], v52, v[20:21]
	s_delay_alu instid0(VALU_DEP_1)
	v_dual_sub_nc_u32 v49, 29, v49 :: v_dual_bitop2_b32 v20, 7, v52 bitop3:0x40
; %bb.126:                              ;   in Loop: Header=BB163_12 Depth=1
	s_or_b32 exec_lo, exec_lo, s46
	s_delay_alu instid0(VALU_DEP_1) | instskip(NEXT) | instid1(VALU_DEP_2)
	v_dual_lshlrev_b32 v51, 24, v51 :: v_dual_lshlrev_b32 v20, 20, v20
	v_lshl_add_u32 v49, v49, 23, 0x3c000000
	s_delay_alu instid0(VALU_DEP_2) | instskip(NEXT) | instid1(VALU_DEP_1)
	v_and_b32_e32 v51, 0x80000000, v51
	v_or3_b32 v49, v20, v51, v49
.LBB163_127:                            ;   in Loop: Header=BB163_12 Depth=1
	s_or_b32 exec_lo, exec_lo, s45
.LBB163_128:                            ;   in Loop: Header=BB163_12 Depth=1
	s_delay_alu instid0(SALU_CYCLE_1)
	s_or_b32 exec_lo, exec_lo, s44
.LBB163_129:                            ;   in Loop: Header=BB163_12 Depth=1
	s_delay_alu instid0(SALU_CYCLE_1)
	s_or_b32 exec_lo, exec_lo, s43
	global_load_u8 v53, v[28:29], off offset:392
	v_dual_mov_b32 v51, 0 :: v_dual_mov_b32 v52, 0
	s_mov_b32 s43, exec_lo
	s_wait_loadcnt 0x0
	v_cmpx_ne_u16_e32 0, v53
	s_cbranch_execz .LBB163_137
; %bb.130:                              ;   in Loop: Header=BB163_12 Depth=1
	v_bfrev_b32_e32 v52, 1
	s_mov_b32 s44, exec_lo
	v_cmpx_ne_u16_e32 0x80, v53
	s_cbranch_execz .LBB163_136
; %bb.131:                              ;   in Loop: Header=BB163_12 Depth=1
	v_and_b32_e32 v20, 0xffff, v53
	v_mov_b32_e32 v52, 0x7f800001
	s_mov_b32 s45, exec_lo
	s_delay_alu instid0(VALU_DEP_2) | instskip(NEXT) | instid1(VALU_DEP_1)
	v_and_b32_e32 v54, 0x7f, v20
	v_cmpx_ne_u32_e32 0x7f, v54
	s_cbranch_execz .LBB163_135
; %bb.132:                              ;   in Loop: Header=BB163_12 Depth=1
	v_dual_lshrrev_b32 v52, 3, v54 :: v_dual_bitop2_b32 v20, 7, v20 bitop3:0x40
	s_mov_b32 s46, exec_lo
	v_cmpx_gt_u32_e32 8, v54
; %bb.133:                              ;   in Loop: Header=BB163_12 Depth=1
	s_delay_alu instid0(VALU_DEP_2) | instskip(NEXT) | instid1(VALU_DEP_1)
	v_clz_i32_u32_e32 v52, v20
	v_min_u32_e32 v52, 32, v52
	s_delay_alu instid0(VALU_DEP_1) | instskip(NEXT) | instid1(VALU_DEP_1)
	v_subrev_nc_u32_e32 v54, 28, v52
	v_lshlrev_b64_e32 v[54:55], v54, v[20:21]
	s_delay_alu instid0(VALU_DEP_1)
	v_dual_sub_nc_u32 v52, 29, v52 :: v_dual_bitop2_b32 v20, 7, v54 bitop3:0x40
; %bb.134:                              ;   in Loop: Header=BB163_12 Depth=1
	s_or_b32 exec_lo, exec_lo, s46
	s_delay_alu instid0(VALU_DEP_1) | instskip(NEXT) | instid1(VALU_DEP_2)
	v_dual_lshlrev_b32 v53, 24, v53 :: v_dual_lshlrev_b32 v20, 20, v20
	v_lshl_add_u32 v52, v52, 23, 0x3c000000
	s_delay_alu instid0(VALU_DEP_2) | instskip(NEXT) | instid1(VALU_DEP_1)
	v_and_b32_e32 v53, 0x80000000, v53
	v_or3_b32 v52, v20, v53, v52
.LBB163_135:                            ;   in Loop: Header=BB163_12 Depth=1
	s_or_b32 exec_lo, exec_lo, s45
.LBB163_136:                            ;   in Loop: Header=BB163_12 Depth=1
	s_delay_alu instid0(SALU_CYCLE_1)
	s_or_b32 exec_lo, exec_lo, s44
.LBB163_137:                            ;   in Loop: Header=BB163_12 Depth=1
	s_delay_alu instid0(SALU_CYCLE_1)
	s_or_b32 exec_lo, exec_lo, s43
	global_load_u8 v28, v[28:29], off offset:396
	s_mov_b32 s43, exec_lo
	s_wait_loadcnt 0x0
	v_cmpx_ne_u16_e32 0, v28
	s_cbranch_execz .LBB163_145
; %bb.138:                              ;   in Loop: Header=BB163_12 Depth=1
	v_bfrev_b32_e32 v51, 1
	s_mov_b32 s44, exec_lo
	v_cmpx_ne_u16_e32 0x80, v28
	s_cbranch_execz .LBB163_144
; %bb.139:                              ;   in Loop: Header=BB163_12 Depth=1
	v_and_b32_e32 v20, 0xffff, v28
	v_mov_b32_e32 v51, 0x7f800001
	s_mov_b32 s45, exec_lo
	s_delay_alu instid0(VALU_DEP_2) | instskip(NEXT) | instid1(VALU_DEP_1)
	v_and_b32_e32 v53, 0x7f, v20
	v_cmpx_ne_u32_e32 0x7f, v53
	s_cbranch_execz .LBB163_143
; %bb.140:                              ;   in Loop: Header=BB163_12 Depth=1
	v_dual_lshrrev_b32 v29, 3, v53 :: v_dual_bitop2_b32 v20, 7, v20 bitop3:0x40
	s_mov_b32 s46, exec_lo
	v_cmpx_gt_u32_e32 8, v53
; %bb.141:                              ;   in Loop: Header=BB163_12 Depth=1
	s_delay_alu instid0(VALU_DEP_2) | instskip(NEXT) | instid1(VALU_DEP_1)
	v_clz_i32_u32_e32 v29, v20
	v_min_u32_e32 v29, 32, v29
	s_delay_alu instid0(VALU_DEP_1) | instskip(NEXT) | instid1(VALU_DEP_1)
	v_subrev_nc_u32_e32 v51, 28, v29
	v_lshlrev_b64_e32 v[54:55], v51, v[20:21]
	s_delay_alu instid0(VALU_DEP_1)
	v_dual_sub_nc_u32 v29, 29, v29 :: v_dual_bitop2_b32 v20, 7, v54 bitop3:0x40
; %bb.142:                              ;   in Loop: Header=BB163_12 Depth=1
	s_or_b32 exec_lo, exec_lo, s46
	v_lshlrev_b32_e32 v28, 24, v28
	s_delay_alu instid0(VALU_DEP_2) | instskip(NEXT) | instid1(VALU_DEP_3)
	v_lshlrev_b32_e32 v20, 20, v20
	v_lshl_add_u32 v29, v29, 23, 0x3c000000
	s_delay_alu instid0(VALU_DEP_3) | instskip(NEXT) | instid1(VALU_DEP_1)
	v_and_b32_e32 v28, 0x80000000, v28
	v_or3_b32 v51, v20, v28, v29
.LBB163_143:                            ;   in Loop: Header=BB163_12 Depth=1
	s_or_b32 exec_lo, exec_lo, s45
.LBB163_144:                            ;   in Loop: Header=BB163_12 Depth=1
	s_delay_alu instid0(SALU_CYCLE_1)
	s_or_b32 exec_lo, exec_lo, s44
.LBB163_145:                            ;   in Loop: Header=BB163_12 Depth=1
	s_delay_alu instid0(SALU_CYCLE_1) | instskip(SKIP_3) | instid1(VALU_DEP_1)
	s_or_b32 exec_lo, exec_lo, s43
	s_wait_kmcnt 0x0
	v_dual_mul_f32 v20, s42, v23 :: v_dual_mul_f32 v23, s42, v38
	s_wait_dscnt 0x3
	v_mul_f32_e32 v15, v15, v20
	s_delay_alu instid0(VALU_DEP_1) | instskip(NEXT) | instid1(VALU_DEP_1)
	v_dual_mul_f32 v20, s42, v40 :: v_dual_fmac_f32 v15, v14, v23
	v_dual_mul_f32 v14, s42, v39 :: v_dual_fmac_f32 v15, v16, v20
	v_mul_f32_e32 v16, s42, v42
	s_delay_alu instid0(VALU_DEP_2) | instskip(SKIP_1) | instid1(VALU_DEP_1)
	v_dual_fmac_f32 v15, v17, v14 :: v_dual_mul_f32 v14, s42, v41
	s_wait_dscnt 0x2
	v_fmac_f32_e32 v15, v10, v16
	s_delay_alu instid0(VALU_DEP_1) | instskip(NEXT) | instid1(VALU_DEP_1)
	v_dual_mul_f32 v10, s42, v44 :: v_dual_fmac_f32 v15, v11, v14
	v_dual_mul_f32 v11, s42, v43 :: v_dual_fmac_f32 v15, v12, v10
	s_delay_alu instid0(VALU_DEP_1) | instskip(SKIP_1) | instid1(VALU_DEP_1)
	v_dual_mul_f32 v10, s42, v46 :: v_dual_fmac_f32 v15, v13, v11
	s_wait_dscnt 0x1
	v_dual_mul_f32 v11, s42, v45 :: v_dual_fmac_f32 v15, v6, v10
	s_delay_alu instid0(VALU_DEP_1) | instskip(NEXT) | instid1(VALU_DEP_1)
	v_dual_mul_f32 v6, s42, v48 :: v_dual_fmac_f32 v15, v7, v11
	v_dual_mul_f32 v7, s42, v47 :: v_dual_fmac_f32 v15, v8, v6
	s_delay_alu instid0(VALU_DEP_1) | instskip(SKIP_1) | instid1(VALU_DEP_1)
	v_dual_mul_f32 v6, s42, v50 :: v_dual_fmac_f32 v15, v9, v7
	s_wait_dscnt 0x0
	v_dual_mul_f32 v7, s42, v49 :: v_dual_fmac_f32 v15, v2, v6
	v_dual_mul_f32 v6, s42, v52 :: v_dual_bitop2_b32 v2, 2, v30 bitop3:0x14
	s_delay_alu instid0(VALU_DEP_2) | instskip(SKIP_1) | instid1(VALU_DEP_3)
	v_fmac_f32_e32 v15, v3, v7
	v_mul_f32_e32 v3, s42, v51
	v_cmp_gt_i32_e64 s5, 32, v2
	s_delay_alu instid0(VALU_DEP_3) | instskip(NEXT) | instid1(VALU_DEP_1)
	v_fmac_f32_e32 v15, v4, v6
	v_dual_cndmask_b32 v2, v30, v2, s5 :: v_dual_fmac_f32 v15, v5, v3
	v_xor_b32_e32 v3, 1, v30
	s_delay_alu instid0(VALU_DEP_2) | instskip(NEXT) | instid1(VALU_DEP_2)
	v_lshlrev_b32_e32 v2, 2, v2
	v_cmp_gt_i32_e64 s5, 32, v3
	ds_bpermute_b32 v2, v2, v15
	v_cndmask_b32_e64 v3, v30, v3, s5
	s_wait_dscnt 0x0
	s_delay_alu instid0(VALU_DEP_1)
	v_dual_add_f32 v2, v15, v2 :: v_dual_lshlrev_b32 v3, 2, v3
	ds_bpermute_b32 v3, v3, v2
	s_and_saveexec_b32 s42, s4
	s_cbranch_execz .LBB163_10
; %bb.146:                              ;   in Loop: Header=BB163_12 Depth=1
	v_add_nc_u32_e32 v4, v34, v22
	s_wait_dscnt 0x0
	v_add_f32_e32 v2, v2, v3
	s_delay_alu instid0(VALU_DEP_2) | instskip(NEXT) | instid1(VALU_DEP_1)
	v_cvt_f32_i32_e32 v4, v4
	v_mul_f32_e32 v4, s37, v4
	s_delay_alu instid0(VALU_DEP_1) | instskip(NEXT) | instid1(VALU_DEP_1)
	v_dual_cndmask_b32 v3, 0, v4 :: v_dual_max_num_f32 v4, v33, v33
	v_fmac_f32_e32 v3, s7, v2
	v_add_nc_u32_e32 v2, v31, v22
	s_delay_alu instid0(VALU_DEP_1) | instskip(NEXT) | instid1(VALU_DEP_3)
	v_cmp_gt_i32_e64 s5, s34, v2
	v_max_num_f32_e32 v4, v4, v3
	s_delay_alu instid0(VALU_DEP_1)
	v_dual_cndmask_b32 v33, v33, v4, s5 :: v_dual_cndmask_b32 v2, 0, v3, s5
	ds_store_b32 v35, v2
	s_branch .LBB163_10
.LBB163_147:
	s_or_b32 exec_lo, exec_lo, s41
.LBB163_148:
	s_delay_alu instid0(SALU_CYCLE_1)
	s_or_b32 exec_lo, exec_lo, s38
	v_dual_max_num_f32 v5, v33, v33 :: v_dual_bitop2_b32 v2, 16, v30 bitop3:0x14
	v_xor_b32_e32 v4, 8, v30
	s_clause 0x1
	s_load_b64 s[6:7], s[0:1], 0x0
	s_load_b64 s[8:9], s[0:1], 0x18
	v_and_b32_e32 v38, 31, v0
	v_cmp_gt_i32_e32 vcc_lo, 32, v2
	v_cndmask_b32_e32 v2, v30, v2, vcc_lo
	v_cmp_gt_i32_e32 vcc_lo, 32, v4
	s_delay_alu instid0(VALU_DEP_2) | instskip(SKIP_4) | instid1(VALU_DEP_1)
	v_dual_cndmask_b32 v4, v30, v4, vcc_lo :: v_dual_lshlrev_b32 v2, 2, v2
	s_wait_dscnt 0x0
	ds_bpermute_b32 v3, v2, v33
	s_wait_dscnt 0x0
	v_dual_max_num_f32 v6, v3, v3 :: v_dual_lshlrev_b32 v3, 2, v4
	v_max_num_f32_e32 v4, v5, v6
	ds_bpermute_b32 v5, v3, v4
	s_wait_dscnt 0x0
	v_dual_max_num_f32 v5, v5, v5 :: v_dual_bitop2_b32 v6, 4, v30 bitop3:0x14
	s_delay_alu instid0(VALU_DEP_1) | instskip(NEXT) | instid1(VALU_DEP_2)
	v_max_num_f32_e32 v5, v4, v5
	v_cmp_gt_i32_e32 vcc_lo, 32, v6
	v_dual_lshlrev_b32 v4, 2, v1 :: v_dual_cndmask_b32 v6, v30, v6, vcc_lo
	v_cmp_eq_u32_e32 vcc_lo, 0, v38
	s_delay_alu instid0(VALU_DEP_2)
	v_lshlrev_b32_e32 v6, 2, v6
	ds_bpermute_b32 v7, v6, v5
	s_wait_xcnt 0x0
	s_and_saveexec_b32 s0, vcc_lo
	s_cbranch_execz .LBB163_150
; %bb.149:
	s_wait_dscnt 0x0
	v_dual_max_num_f32 v7, v7, v7 :: v_dual_max_num_f32 v5, v5, v5
	s_delay_alu instid0(VALU_DEP_1)
	v_max_num_f32_e32 v5, v5, v7
	ds_store_b32 v4, v5 offset:256
.LBB163_150:
	s_or_b32 exec_lo, exec_lo, s0
	v_cmp_gt_u32_e64 s0, 4, v38
	v_dual_mov_b32 v8, 0xff7fffff :: v_dual_lshlrev_b32 v5, 2, v38
	s_wait_dscnt 0x0
	s_barrier_signal -1
	s_barrier_wait -1
	s_and_saveexec_b32 s1, s0
; %bb.151:
	ds_load_b32 v8, v5 offset:256
; %bb.152:
	s_or_b32 exec_lo, exec_lo, s1
	v_xor_b32_e32 v7, 2, v30
	v_xor_b32_e32 v10, 1, v30
	s_delay_alu instid0(VALU_DEP_2) | instskip(NEXT) | instid1(VALU_DEP_1)
	v_cmp_gt_i32_e64 s1, 32, v7
	v_cndmask_b32_e64 v7, v30, v7, s1
	s_delay_alu instid0(VALU_DEP_3) | instskip(NEXT) | instid1(VALU_DEP_1)
	v_cmp_gt_i32_e64 s1, 32, v10
	v_dual_lshlrev_b32 v7, 2, v7 :: v_dual_cndmask_b32 v10, v30, v10, s1
	s_lshl_b32 s1, s35, 3
	s_delay_alu instid0(SALU_CYCLE_1)
	s_min_i32 s5, s1, s34
	s_wait_dscnt 0x0
	ds_bpermute_b32 v9, v7, v8
	v_max_num_f32_e32 v8, v8, v8
	v_cmp_gt_i32_e64 s1, s5, v0
	s_wait_dscnt 0x0
	v_dual_lshlrev_b32 v39, 2, v10 :: v_dual_max_num_f32 v9, v9, v9
	s_delay_alu instid0(VALU_DEP_1) | instskip(SKIP_3) | instid1(VALU_DEP_1)
	v_max_num_f32_e32 v8, v8, v9
	ds_bpermute_b32 v9, v39, v8
	s_wait_dscnt 0x0
	v_max_num_f32_e32 v9, v9, v9
	v_dual_max_num_f32 v9, v8, v9 :: v_dual_mov_b32 v8, 0
	ds_bpermute_b32 v9, v8, v9
	s_and_saveexec_b32 s19, s1
	s_cbranch_execz .LBB163_156
; %bb.153:
	v_lshl_add_u32 v10, v0, 2, 0x120
	v_dual_mov_b32 v8, 0 :: v_dual_mov_b32 v11, v0
	s_mov_b32 s28, 0
.LBB163_154:                            ; =>This Inner Loop Header: Depth=1
	ds_load_b32 v12, v10
	v_add_nc_u32_e32 v11, 0x80, v11
	s_delay_alu instid0(VALU_DEP_1) | instskip(SKIP_3) | instid1(VALU_DEP_1)
	v_cmp_le_i32_e64 s4, s5, v11
	s_or_b32 s28, s4, s28
	s_wait_dscnt 0x0
	v_sub_f32_e32 v12, v12, v9
	v_mul_f32_e32 v12, 0x3fb8aa3b, v12
	s_delay_alu instid0(VALU_DEP_1)
	v_exp_f32_e32 v12, v12
	ds_store_b32 v10, v12
	v_nop
	v_add_f32_e32 v8, v8, v12
	v_add_nc_u32_e32 v10, 0x200, v10
	s_and_not1_b32 exec_lo, exec_lo, s28
	s_cbranch_execnz .LBB163_154
; %bb.155:
	s_or_b32 exec_lo, exec_lo, s28
.LBB163_156:
	s_delay_alu instid0(SALU_CYCLE_1)
	s_or_b32 exec_lo, exec_lo, s19
	ds_bpermute_b32 v2, v2, v8
	s_wait_dscnt 0x0
	v_add_f32_e32 v2, v8, v2
	ds_bpermute_b32 v3, v3, v2
	s_wait_dscnt 0x0
	v_add_f32_e32 v2, v2, v3
	;; [unrolled: 3-line block ×5, first 2 shown]
	s_and_saveexec_b32 s4, vcc_lo
; %bb.157:
	ds_store_b32 v4, v2 offset:272
; %bb.158:
	s_or_b32 exec_lo, exec_lo, s4
	s_wait_dscnt 0x0
	s_barrier_signal -1
	s_barrier_wait -1
	s_and_saveexec_b32 s4, s0
; %bb.159:
	ds_load_b32 v2, v5 offset:272
; %bb.160:
	s_or_b32 exec_lo, exec_lo, s4
	s_wait_dscnt 0x0
	ds_bpermute_b32 v3, v7, v2
	s_wait_dscnt 0x0
	v_dual_mov_b32 v7, 0 :: v_dual_add_f32 v2, v2, v3
	ds_bpermute_b32 v3, v39, v2
	s_wait_dscnt 0x0
	v_add_f32_e32 v2, v2, v3
	ds_bpermute_b32 v2, v7, v2
	s_and_saveexec_b32 s0, s1
	s_cbranch_execz .LBB163_173
; %bb.161:
	s_wait_dscnt 0x0
	v_add_f32_e32 v2, 0x358637bd, v2
	s_mov_b32 s4, -1
	s_mov_b32 s1, exec_lo
	s_delay_alu instid0(VALU_DEP_1) | instskip(NEXT) | instid1(VALU_DEP_1)
	v_div_scale_f32 v3, null, v2, v2, 1.0
	v_rcp_f32_e32 v5, v3
	v_nop
	s_delay_alu instid0(TRANS32_DEP_1) | instskip(NEXT) | instid1(VALU_DEP_1)
	v_fma_f32 v4, -v3, v5, 1.0
	v_fmac_f32_e32 v5, v4, v5
	v_div_scale_f32 v6, vcc_lo, 1.0, v2, 1.0
	s_delay_alu instid0(VALU_DEP_1) | instskip(NEXT) | instid1(VALU_DEP_1)
	v_mul_f32_e32 v8, v6, v5
	v_fma_f32 v4, -v3, v8, v6
	s_delay_alu instid0(VALU_DEP_1) | instskip(SKIP_1) | instid1(VALU_DEP_2)
	v_fmac_f32_e32 v8, v4, v5
	v_xad_u32 v4, v0, -1, s5
	v_fma_f32 v3, -v3, v8, v6
	s_delay_alu instid0(VALU_DEP_1) | instskip(NEXT) | instid1(VALU_DEP_1)
	v_div_fmas_f32 v3, v3, v5, v8
	v_div_fixup_f32 v2, v3, v2, 1.0
	v_mov_b32_e32 v3, v0
	v_cmpx_lt_u32_e32 0x7f, v4
	s_cbranch_execz .LBB163_170
; %bb.162:
	s_delay_alu instid0(VALU_DEP_3) | instskip(NEXT) | instid1(VALU_DEP_1)
	v_dual_mov_b32 v3, v2 :: v_dual_lshrrev_b32 v4, 7, v4
	v_dual_mov_b32 v9, 0 :: v_dual_add_nc_u32 v5, -1, v4
	s_delay_alu instid0(VALU_DEP_1) | instskip(SKIP_1) | instid1(VALU_DEP_2)
	v_lshrrev_b32_e32 v6, 1, v5
	v_cmp_lt_u32_e32 vcc_lo, 13, v5
	v_add_nc_u32_e32 v5, 1, v6
	s_and_saveexec_b32 s4, vcc_lo
	s_cbranch_execz .LBB163_166
; %bb.163:
	s_delay_alu instid0(VALU_DEP_1)
	v_and_b32_e32 v6, -8, v5
	v_lshl_add_u32 v8, v0, 2, 0x120
	s_mov_b32 s19, 0
	s_mov_b32 s28, 0
.LBB163_164:                            ; =>This Inner Loop Header: Depth=1
	ds_load_2addr_stride64_b32 v[10:11], v8 offset1:2
	ds_load_2addr_stride64_b32 v[12:13], v8 offset0:4 offset1:6
	ds_load_2addr_stride64_b32 v[14:15], v8 offset0:8 offset1:10
	;; [unrolled: 1-line block ×7, first 2 shown]
	s_add_co_i32 s28, s28, 16
	s_delay_alu instid0(SALU_CYCLE_1) | instskip(NEXT) | instid1(VALU_DEP_1)
	v_dual_mov_b32 v9, s28 :: v_dual_add_nc_u32 v6, -8, v6
	v_cmp_eq_u32_e32 vcc_lo, 0, v6
	s_or_b32 s19, vcc_lo, s19
	s_wait_dscnt 0x7
	v_pk_mul_f32 v[10:11], v[2:3], v[10:11]
	s_wait_dscnt 0x6
	v_pk_mul_f32 v[12:13], v[2:3], v[12:13]
	;; [unrolled: 2-line block ×8, first 2 shown]
	ds_store_2addr_stride64_b32 v8, v10, v11 offset1:2
	ds_store_2addr_stride64_b32 v8, v12, v13 offset0:4 offset1:6
	ds_store_2addr_stride64_b32 v8, v14, v15 offset0:8 offset1:10
	;; [unrolled: 1-line block ×7, first 2 shown]
	v_add_nc_u32_e32 v8, 0x2000, v8
	s_and_not1_b32 exec_lo, exec_lo, s19
	s_cbranch_execnz .LBB163_164
; %bb.165:
	s_or_b32 exec_lo, exec_lo, s19
.LBB163_166:
	s_delay_alu instid0(SALU_CYCLE_1) | instskip(NEXT) | instid1(VALU_DEP_1)
	s_or_b32 exec_lo, exec_lo, s4
	v_and_b32_e32 v5, 7, v5
	s_mov_b32 s19, 0
	s_mov_b32 s4, exec_lo
	s_delay_alu instid0(VALU_DEP_1)
	v_cmpx_ne_u32_e32 0, v5
	s_cbranch_execz .LBB163_169
; %bb.167:
	v_dual_lshlrev_b32 v6, 9, v9 :: v_dual_lshlrev_b32 v8, 2, v0
	s_delay_alu instid0(VALU_DEP_1)
	v_add3_u32 v6, v6, v8, 0x120
.LBB163_168:                            ; =>This Inner Loop Header: Depth=1
	ds_load_2addr_stride64_b32 v[8:9], v6 offset1:2
	v_add_nc_u32_e32 v5, -1, v5
	s_delay_alu instid0(VALU_DEP_1)
	v_cmp_eq_u32_e32 vcc_lo, 0, v5
	s_or_b32 s19, vcc_lo, s19
	s_wait_dscnt 0x0
	v_pk_mul_f32 v[8:9], v[2:3], v[8:9]
	ds_store_2addr_stride64_b32 v6, v8, v9 offset1:2
	v_add_nc_u32_e32 v6, 0x400, v6
	s_and_not1_b32 exec_lo, exec_lo, s19
	s_cbranch_execnz .LBB163_168
.LBB163_169:
	s_or_b32 exec_lo, exec_lo, s4
	v_add_nc_u32_e32 v3, 1, v4
	s_delay_alu instid0(VALU_DEP_1) | instskip(NEXT) | instid1(VALU_DEP_1)
	v_and_b32_e32 v4, 0x3fffffe, v3
	v_cmp_ne_u32_e32 vcc_lo, v3, v4
	v_lshl_add_u32 v3, v4, 7, v0
	s_or_not1_b32 s4, vcc_lo, exec_lo
.LBB163_170:
	s_or_b32 exec_lo, exec_lo, s1
	s_delay_alu instid0(SALU_CYCLE_1)
	s_and_b32 exec_lo, exec_lo, s4
	s_cbranch_execz .LBB163_173
; %bb.171:
	v_lshl_add_u32 v4, v3, 2, 0x120
	s_mov_b32 s1, 0
.LBB163_172:                            ; =>This Inner Loop Header: Depth=1
	ds_load_b32 v5, v4
	v_add_nc_u32_e32 v3, 0x80, v3
	s_delay_alu instid0(VALU_DEP_1)
	v_cmp_le_i32_e32 vcc_lo, s5, v3
	s_or_b32 s1, vcc_lo, s1
	s_wait_dscnt 0x0
	v_mul_f32_e32 v5, v2, v5
	ds_store_b32 v4, v5
	v_add_nc_u32_e32 v4, 0x200, v4
	s_and_not1_b32 exec_lo, exec_lo, s1
	s_cbranch_execnz .LBB163_172
.LBB163_173:
	s_or_b32 exec_lo, exec_lo, s0
	v_dual_mov_b32 v6, 0 :: v_dual_bitop2_b32 v40, 1, v0 bitop3:0x40
	v_dual_mov_b32 v9, 0 :: v_dual_mov_b32 v8, 0
	s_wait_dscnt 0x0
	s_barrier_signal -1
	s_barrier_wait -1
	s_and_saveexec_b32 s1, s3
	s_cbranch_execz .LBB163_315
; %bb.174:
	s_abs_i32 s3, s14
	v_dual_mov_b32 v11, 0 :: v_dual_lshlrev_b32 v2, 2, v0
	s_cvt_f32_u32 s0, s3
	s_ashr_i32 s19, s18, 31
	v_dual_mov_b32 v41, v1 :: v_dual_lshlrev_b32 v4, 4, v40
	s_delay_alu instid0(SALU_CYCLE_1)
	v_rcp_iflag_f32_e32 v3, s0
	v_and_b32_e32 v10, 0x7c, v2
	s_wait_kmcnt 0x0
	s_add_nc_u64 s[8:9], s[8:9], s[18:19]
	s_lshl_b64 s[26:27], s[26:27], 2
	s_sub_co_i32 s4, 0, s3
	v_dual_mov_b32 v8, 0 :: v_dual_bitop2_b32 v42, 4, v2 bitop3:0x40
	v_readfirstlane_b32 s0, v3
	v_add_nc_u64_e32 v[12:13], s[8:9], v[10:11]
	v_and_b32_e32 v10, 0x7c, v19
	v_lshl_or_b32 v3, v1, 5, v4
	s_add_nc_u64 s[8:9], s[24:25], s[26:27]
	s_mul_f32 s0, s0, 0x4f7ffffe
	v_dual_mov_b32 v9, 0 :: v_dual_mov_b32 v7, 0
	v_add_nc_u64_e32 v[14:15], s[8:9], v[10:11]
	s_delay_alu instid0(SALU_CYCLE_1) | instskip(SKIP_2) | instid1(SALU_CYCLE_1)
	s_cvt_u32_f32 s0, s0
	v_dual_mov_b32 v6, 0 :: v_dual_add_nc_u32 v43, 0x120, v3
	s_mov_b32 s5, 0
	s_mul_i32 s4, s4, s0
	s_sub_co_i32 s13, s36, s13
	s_mul_hi_u32 s4, s0, s4
	s_mov_b32 s14, s17
	s_add_co_i32 s17, s35, -1
	s_mov_b32 s18, s34
	s_add_co_i32 s4, s0, s4
	s_mov_b32 s19, s5
	s_branch .LBB163_177
.LBB163_175:                            ;   in Loop: Header=BB163_177 Depth=1
	s_or_b32 exec_lo, exec_lo, s0
	s_wait_dscnt 0x0
	v_dual_mul_f32 v10, v2, v30 :: v_dual_mul_f32 v20, v2, v20
	v_mul_f32_e32 v19, v2, v26
	v_pk_mul_f32 v[22:23], v[2:3], v[22:23]
	v_pk_mul_f32 v[32:33], v[4:5], v[32:33]
	s_delay_alu instid0(VALU_DEP_4) | instskip(NEXT) | instid1(VALU_DEP_4)
	v_dual_fmac_f32 v10, v3, v31 :: v_dual_fmac_f32 v20, v3, v21
	v_fmac_f32_e32 v19, v3, v27
	s_delay_alu instid0(VALU_DEP_2) | instskip(NEXT) | instid1(VALU_DEP_1)
	v_dual_add_f32 v2, v23, v22 :: v_dual_fmac_f32 v10, v4, v28
	v_dual_fmac_f32 v19, v4, v24 :: v_dual_fmac_f32 v10, v5, v29
	s_delay_alu instid0(VALU_DEP_1) | instskip(NEXT) | instid1(VALU_DEP_3)
	v_dual_fmac_f32 v20, v4, v16 :: v_dual_fmac_f32 v19, v5, v25
	v_add_f32_e32 v2, v32, v2
	s_delay_alu instid0(VALU_DEP_2) | instskip(NEXT) | instid1(VALU_DEP_3)
	v_dual_add_f32 v6, v6, v10 :: v_dual_fmac_f32 v20, v5, v17
	v_add_f32_e32 v9, v9, v19
	s_delay_alu instid0(VALU_DEP_2) | instskip(NEXT) | instid1(VALU_DEP_1)
	v_dual_add_f32 v2, v33, v2 :: v_dual_add_f32 v8, v8, v20
	v_add_f32_e32 v7, v7, v2
.LBB163_176:                            ;   in Loop: Header=BB163_177 Depth=1
	s_or_b32 exec_lo, exec_lo, s24
	v_dual_add_nc_u32 v41, 4, v41 :: v_dual_add_nc_u32 v18, 32, v18
	v_add_nc_u64_e32 v[14:15], 16, v[14:15]
	v_add_nc_u32_e32 v43, 0x80, v43
	s_delay_alu instid0(VALU_DEP_3) | instskip(SKIP_1) | instid1(SALU_CYCLE_1)
	v_cmp_le_i32_e32 vcc_lo, s35, v41
	s_or_b32 s19, vcc_lo, s19
	s_and_not1_b32 exec_lo, exec_lo, s19
	s_cbranch_execz .LBB163_314
.LBB163_177:                            ; =>This Inner Loop Header: Depth=1
	v_mov_b32_e32 v19, v11
	s_delay_alu instid0(VALU_DEP_1) | instskip(NEXT) | instid1(VALU_DEP_1)
	v_mul_u64_e32 v[2:3], s[22:23], v[18:19]
	v_mul_lo_u32 v2, v3, s16
	s_delay_alu instid0(VALU_DEP_1) | instskip(NEXT) | instid1(VALU_DEP_1)
	v_sub_nc_u32_e32 v2, v18, v2
	v_subrev_nc_u32_e32 v5, s16, v2
	v_cmp_le_u32_e32 vcc_lo, s16, v2
	s_delay_alu instid0(VALU_DEP_2) | instskip(NEXT) | instid1(VALU_DEP_1)
	v_dual_add_nc_u32 v4, 1, v3 :: v_dual_cndmask_b32 v2, v2, v5, vcc_lo
	v_cndmask_b32_e32 v3, v3, v4, vcc_lo
	s_delay_alu instid0(VALU_DEP_2) | instskip(NEXT) | instid1(VALU_DEP_2)
	v_cmp_le_u32_e32 vcc_lo, s16, v2
	v_add_nc_u32_e32 v4, 1, v3
	s_delay_alu instid0(VALU_DEP_1) | instskip(NEXT) | instid1(VALU_DEP_1)
	v_cndmask_b32_e32 v2, v3, v4, vcc_lo
	v_xor_b32_e32 v2, s15, v2
	s_delay_alu instid0(VALU_DEP_1) | instskip(NEXT) | instid1(VALU_DEP_1)
	v_subrev_nc_u32_e32 v4, s15, v2
	v_add_nc_u32_e32 v5, s21, v4
	v_cmp_lt_i32_e64 s0, s13, v4
	s_delay_alu instid0(VALU_DEP_2) | instskip(NEXT) | instid1(VALU_DEP_1)
	v_sub_nc_u32_e32 v2, 0, v5
	v_dual_ashrrev_i32 v5, 31, v5 :: v_dual_max_i32 v10, v5, v2
	s_delay_alu instid0(VALU_DEP_1) | instskip(NEXT) | instid1(VALU_DEP_1)
	v_mul_u64_e32 v[2:3], s[4:5], v[10:11]
	v_mul_lo_u32 v2, v3, s3
	s_delay_alu instid0(VALU_DEP_1) | instskip(NEXT) | instid1(VALU_DEP_1)
	v_sub_nc_u32_e32 v2, v10, v2
	v_subrev_nc_u32_e32 v3, s3, v2
	v_cmp_le_u32_e32 vcc_lo, s3, v2
	s_delay_alu instid0(VALU_DEP_2) | instskip(NEXT) | instid1(VALU_DEP_1)
	v_cndmask_b32_e32 v2, v2, v3, vcc_lo
	v_subrev_nc_u32_e32 v3, s3, v2
	v_cmp_le_u32_e32 vcc_lo, s3, v2
	s_delay_alu instid0(VALU_DEP_2) | instskip(NEXT) | instid1(VALU_DEP_1)
	v_cndmask_b32_e32 v2, v2, v3, vcc_lo
	v_xor_b32_e32 v2, v2, v5
	s_delay_alu instid0(VALU_DEP_1) | instskip(NEXT) | instid1(VALU_DEP_1)
	v_sub_nc_u32_e32 v2, v2, v5
	v_cmp_eq_u32_e32 vcc_lo, 0, v2
	s_or_b32 s0, vcc_lo, s0
	s_delay_alu instid0(SALU_CYCLE_1)
	s_and_saveexec_b32 s24, s0
	s_cbranch_execz .LBB163_176
; %bb.178:                              ;   in Loop: Header=BB163_177 Depth=1
	global_load_b32 v2, v[14:15], off
	s_load_b32 s8, s[10:11], 0x0
	v_mov_b64_e32 v[16:17], 0
	v_mov_b64_e32 v[20:21], 0
	s_mov_b32 s0, exec_lo
	s_wait_loadcnt 0x0
	v_mad_nc_i64_i32 v[22:23], v2, s14, v[12:13]
	ds_load_b128 v[2:5], v43
	global_load_b32 v19, v[22:23], off
	s_wait_loadcnt 0x0
	v_and_b32_e32 v10, 0xff, v19
	s_delay_alu instid0(VALU_DEP_1)
	v_cmpx_ne_u16_e32 0, v10
	s_cbranch_execz .LBB163_186
; %bb.179:                              ;   in Loop: Header=BB163_177 Depth=1
	v_mov_b64_e32 v[20:21], 0x80000000
	s_mov_b32 s9, exec_lo
	v_cmpx_ne_u16_e32 0x80, v10
	s_cbranch_execz .LBB163_185
; %bb.180:                              ;   in Loop: Header=BB163_177 Depth=1
	v_mov_b64_e32 v[20:21], 0x7f800001
	v_and_b32_e32 v24, 0x7f, v19
	s_mov_b32 s25, exec_lo
	s_delay_alu instid0(VALU_DEP_1)
	v_cmpx_ne_u32_e32 0x7f, v24
	s_cbranch_execz .LBB163_184
; %bb.181:                              ;   in Loop: Header=BB163_177 Depth=1
	v_dual_lshrrev_b32 v20, 3, v24 :: v_dual_bitop2_b32 v10, 7, v19 bitop3:0x40
	s_mov_b32 s26, exec_lo
	v_cmpx_gt_u32_e32 8, v24
; %bb.182:                              ;   in Loop: Header=BB163_177 Depth=1
	s_delay_alu instid0(VALU_DEP_2) | instskip(NEXT) | instid1(VALU_DEP_1)
	v_clz_i32_u32_e32 v20, v10
	v_min_u32_e32 v20, 32, v20
	s_delay_alu instid0(VALU_DEP_1) | instskip(SKIP_1) | instid1(VALU_DEP_2)
	v_subrev_nc_u32_e32 v21, 28, v20
	v_sub_nc_u32_e32 v20, 29, v20
	v_lshlrev_b64_e32 v[24:25], v21, v[10:11]
	s_delay_alu instid0(VALU_DEP_1)
	v_and_b32_e32 v10, 7, v24
; %bb.183:                              ;   in Loop: Header=BB163_177 Depth=1
	s_or_b32 exec_lo, exec_lo, s26
	s_delay_alu instid0(VALU_DEP_1) | instskip(SKIP_1) | instid1(VALU_DEP_2)
	v_dual_lshlrev_b32 v21, 24, v19 :: v_dual_lshlrev_b32 v10, 20, v10
	v_lshl_add_u32 v20, v20, 23, 0x3c000000
	v_and_b32_e32 v21, 0x80000000, v21
	s_delay_alu instid0(VALU_DEP_1) | instskip(NEXT) | instid1(VALU_DEP_1)
	v_or3_b32 v10, v10, v21, v20
	v_mov_b64_e32 v[20:21], v[10:11]
.LBB163_184:                            ;   in Loop: Header=BB163_177 Depth=1
	s_or_b32 exec_lo, exec_lo, s25
.LBB163_185:                            ;   in Loop: Header=BB163_177 Depth=1
	s_delay_alu instid0(SALU_CYCLE_1)
	s_or_b32 exec_lo, exec_lo, s9
.LBB163_186:                            ;   in Loop: Header=BB163_177 Depth=1
	s_delay_alu instid0(SALU_CYCLE_1) | instskip(SKIP_2) | instid1(VALU_DEP_1)
	s_or_b32 exec_lo, exec_lo, s0
	v_lshrrev_b16 v10, 8, v19
	s_mov_b32 s0, exec_lo
	v_cmpx_ne_u16_e32 0, v10
	s_cbranch_execz .LBB163_194
; %bb.187:                              ;   in Loop: Header=BB163_177 Depth=1
	v_mov_b64_e32 v[16:17], 0x8000000000000000
	s_mov_b32 s9, exec_lo
	v_cmpx_ne_u16_e32 0x80, v10
	s_cbranch_execz .LBB163_193
; %bb.188:                              ;   in Loop: Header=BB163_177 Depth=1
	v_and_b32_e32 v10, 0xffff, v10
	v_mov_b64_e32 v[16:17], 0x7f80000100000000
	s_mov_b32 s25, exec_lo
	s_delay_alu instid0(VALU_DEP_2) | instskip(NEXT) | instid1(VALU_DEP_1)
	v_and_b32_e32 v24, 0x7f, v10
	v_cmpx_ne_u32_e32 0x7f, v24
	s_cbranch_execz .LBB163_192
; %bb.189:                              ;   in Loop: Header=BB163_177 Depth=1
	v_dual_lshrrev_b32 v16, 3, v24 :: v_dual_bitop2_b32 v10, 7, v10 bitop3:0x40
	s_mov_b32 s26, exec_lo
	v_cmpx_gt_u32_e32 8, v24
; %bb.190:                              ;   in Loop: Header=BB163_177 Depth=1
	s_delay_alu instid0(VALU_DEP_2) | instskip(NEXT) | instid1(VALU_DEP_1)
	v_clz_i32_u32_e32 v16, v10
	v_min_u32_e32 v16, 32, v16
	s_delay_alu instid0(VALU_DEP_1) | instskip(SKIP_1) | instid1(VALU_DEP_2)
	v_subrev_nc_u32_e32 v17, 28, v16
	v_sub_nc_u32_e32 v16, 29, v16
	v_lshlrev_b64_e32 v[24:25], v17, v[10:11]
	s_delay_alu instid0(VALU_DEP_1)
	v_and_b32_e32 v10, 7, v24
; %bb.191:                              ;   in Loop: Header=BB163_177 Depth=1
	s_or_b32 exec_lo, exec_lo, s26
	s_delay_alu instid0(VALU_DEP_1) | instskip(SKIP_1) | instid1(VALU_DEP_2)
	v_dual_lshlrev_b32 v17, 16, v19 :: v_dual_lshlrev_b32 v10, 20, v10
	v_lshl_add_u32 v16, v16, 23, 0x3c000000
	v_and_b32_e32 v17, 0x80000000, v17
	s_delay_alu instid0(VALU_DEP_1)
	v_or3_b32 v17, v10, v17, v16
	v_mov_b32_e32 v16, v11
.LBB163_192:                            ;   in Loop: Header=BB163_177 Depth=1
	s_or_b32 exec_lo, exec_lo, s25
.LBB163_193:                            ;   in Loop: Header=BB163_177 Depth=1
	s_delay_alu instid0(SALU_CYCLE_1)
	s_or_b32 exec_lo, exec_lo, s9
.LBB163_194:                            ;   in Loop: Header=BB163_177 Depth=1
	s_delay_alu instid0(SALU_CYCLE_1) | instskip(SKIP_4) | instid1(VALU_DEP_3)
	s_or_b32 exec_lo, exec_lo, s0
	v_lshrrev_b32_e32 v28, 16, v19
	v_mov_b64_e32 v[24:25], 0
	v_mov_b64_e32 v[26:27], 0
	s_mov_b32 s0, exec_lo
	v_and_b32_e32 v10, 0xff, v28
	s_delay_alu instid0(VALU_DEP_1)
	v_cmpx_ne_u16_e32 0, v10
	s_cbranch_execz .LBB163_202
; %bb.195:                              ;   in Loop: Header=BB163_177 Depth=1
	v_mov_b64_e32 v[26:27], 0x80000000
	s_mov_b32 s9, exec_lo
	v_cmpx_ne_u16_e32 0x80, v10
	s_cbranch_execz .LBB163_201
; %bb.196:                              ;   in Loop: Header=BB163_177 Depth=1
	v_mov_b64_e32 v[26:27], 0x7f800001
	v_bfe_u32 v29, v19, 16, 7
	s_mov_b32 s25, exec_lo
	s_delay_alu instid0(VALU_DEP_1)
	v_cmpx_ne_u32_e32 0x7f, v29
	s_cbranch_execz .LBB163_200
; %bb.197:                              ;   in Loop: Header=BB163_177 Depth=1
	v_dual_lshrrev_b32 v26, 3, v29 :: v_dual_bitop2_b32 v10, 7, v28 bitop3:0x40
	s_mov_b32 s26, exec_lo
	v_cmpx_gt_u32_e32 8, v29
; %bb.198:                              ;   in Loop: Header=BB163_177 Depth=1
	s_delay_alu instid0(VALU_DEP_2) | instskip(NEXT) | instid1(VALU_DEP_1)
	v_clz_i32_u32_e32 v26, v10
	v_min_u32_e32 v26, 32, v26
	s_delay_alu instid0(VALU_DEP_1) | instskip(SKIP_1) | instid1(VALU_DEP_2)
	v_subrev_nc_u32_e32 v27, 28, v26
	v_sub_nc_u32_e32 v26, 29, v26
	v_lshlrev_b64_e32 v[30:31], v27, v[10:11]
	s_delay_alu instid0(VALU_DEP_1)
	v_and_b32_e32 v10, 7, v30
; %bb.199:                              ;   in Loop: Header=BB163_177 Depth=1
	s_or_b32 exec_lo, exec_lo, s26
	s_delay_alu instid0(VALU_DEP_1) | instskip(SKIP_1) | instid1(VALU_DEP_2)
	v_dual_lshlrev_b32 v27, 24, v28 :: v_dual_lshlrev_b32 v10, 20, v10
	v_lshl_add_u32 v26, v26, 23, 0x3c000000
	v_and_b32_e32 v27, 0x80000000, v27
	s_delay_alu instid0(VALU_DEP_1) | instskip(NEXT) | instid1(VALU_DEP_1)
	v_or3_b32 v10, v10, v27, v26
	v_mov_b64_e32 v[26:27], v[10:11]
.LBB163_200:                            ;   in Loop: Header=BB163_177 Depth=1
	s_or_b32 exec_lo, exec_lo, s25
.LBB163_201:                            ;   in Loop: Header=BB163_177 Depth=1
	s_delay_alu instid0(SALU_CYCLE_1)
	s_or_b32 exec_lo, exec_lo, s9
.LBB163_202:                            ;   in Loop: Header=BB163_177 Depth=1
	s_delay_alu instid0(SALU_CYCLE_1) | instskip(NEXT) | instid1(SALU_CYCLE_1)
	s_or_b32 exec_lo, exec_lo, s0
	s_mov_b32 s0, exec_lo
	v_cmpx_lt_u32_e32 0xffffff, v19
	s_cbranch_execz .LBB163_210
; %bb.203:                              ;   in Loop: Header=BB163_177 Depth=1
	v_mov_b64_e32 v[24:25], 0x8000000000000000
	v_lshrrev_b32_e32 v28, 24, v19
	s_mov_b32 s9, exec_lo
	s_delay_alu instid0(VALU_DEP_1)
	v_cmpx_ne_u32_e32 0x80, v28
	s_cbranch_execz .LBB163_209
; %bb.204:                              ;   in Loop: Header=BB163_177 Depth=1
	v_mov_b64_e32 v[24:25], 0x7f80000100000000
	v_bfe_u32 v29, v19, 24, 7
	s_mov_b32 s25, exec_lo
	s_delay_alu instid0(VALU_DEP_1)
	v_cmpx_ne_u32_e32 0x7f, v29
	s_cbranch_execz .LBB163_208
; %bb.205:                              ;   in Loop: Header=BB163_177 Depth=1
	v_dual_lshrrev_b32 v19, 3, v29 :: v_dual_bitop2_b32 v10, 7, v28 bitop3:0x40
	s_mov_b32 s26, exec_lo
	v_cmpx_gt_u32_e32 8, v29
; %bb.206:                              ;   in Loop: Header=BB163_177 Depth=1
	s_delay_alu instid0(VALU_DEP_2) | instskip(NEXT) | instid1(VALU_DEP_1)
	v_clz_i32_u32_e32 v19, v10
	v_min_u32_e32 v19, 32, v19
	s_delay_alu instid0(VALU_DEP_1) | instskip(NEXT) | instid1(VALU_DEP_1)
	v_subrev_nc_u32_e32 v24, 28, v19
	v_lshlrev_b64_e32 v[24:25], v24, v[10:11]
	s_delay_alu instid0(VALU_DEP_1)
	v_dual_sub_nc_u32 v19, 29, v19 :: v_dual_bitop2_b32 v10, 7, v24 bitop3:0x40
; %bb.207:                              ;   in Loop: Header=BB163_177 Depth=1
	s_or_b32 exec_lo, exec_lo, s26
	s_delay_alu instid0(VALU_DEP_1) | instskip(NEXT) | instid1(VALU_DEP_2)
	v_dual_lshlrev_b32 v24, 24, v28 :: v_dual_lshlrev_b32 v10, 20, v10
	v_lshl_add_u32 v19, v19, 23, 0x3c000000
	s_delay_alu instid0(VALU_DEP_2) | instskip(NEXT) | instid1(VALU_DEP_1)
	v_and_b32_e32 v24, 0x80000000, v24
	v_or3_b32 v25, v10, v24, v19
	v_mov_b32_e32 v24, v11
.LBB163_208:                            ;   in Loop: Header=BB163_177 Depth=1
	s_or_b32 exec_lo, exec_lo, s25
.LBB163_209:                            ;   in Loop: Header=BB163_177 Depth=1
	s_delay_alu instid0(SALU_CYCLE_1)
	s_or_b32 exec_lo, exec_lo, s9
.LBB163_210:                            ;   in Loop: Header=BB163_177 Depth=1
	s_delay_alu instid0(SALU_CYCLE_1)
	s_or_b32 exec_lo, exec_lo, s0
	v_dual_add_nc_u32 v19, v42, v18 :: v_dual_bitop2_b32 v17, v17, v21 bitop3:0x54
	v_or_b32_e32 v16, v16, v20
	v_or_b32_e32 v25, v25, v27
	;; [unrolled: 1-line block ×3, first 2 shown]
	v_cmp_eq_u32_e32 vcc_lo, s17, v41
	v_add_nc_u32_e32 v44, 1, v19
	s_wait_kmcnt 0x0
	v_pk_mul_f32 v[20:21], s[8:9], v[16:17] op_sel_hi:[0,1]
	v_add_nc_u32_e32 v37, 2, v19
	v_pk_mul_f32 v[16:17], s[8:9], v[24:25] op_sel_hi:[0,1]
	v_add_nc_u32_e32 v36, 3, v19
	s_and_saveexec_b32 s9, vcc_lo
	s_cbranch_execz .LBB163_212
; %bb.211:                              ;   in Loop: Header=BB163_177 Depth=1
	v_cmp_gt_i32_e64 s0, s34, v19
	s_delay_alu instid0(VALU_DEP_1) | instskip(SKIP_1) | instid1(VALU_DEP_1)
	v_cndmask_b32_e64 v20, 0, v20, s0
	v_cmp_gt_i32_e64 s0, s34, v44
	v_cndmask_b32_e64 v21, 0, v21, s0
	v_cmp_gt_i32_e64 s0, s34, v37
	s_delay_alu instid0(VALU_DEP_1) | instskip(SKIP_1) | instid1(VALU_DEP_1)
	v_cndmask_b32_e64 v16, 0, v16, s0
	v_cmp_gt_i32_e64 s0, s34, v36
	v_cndmask_b32_e64 v17, 0, v17, s0
.LBB163_212:                            ;   in Loop: Header=BB163_177 Depth=1
	s_or_b32 exec_lo, exec_lo, s9
	global_load_b32 v32, v[22:23], off offset:128
	v_mov_b64_e32 v[24:25], 0
	v_mov_b64_e32 v[26:27], 0
	s_mov_b32 s9, exec_lo
	s_wait_loadcnt 0x0
	v_and_b32_e32 v10, 0xff, v32
	s_delay_alu instid0(VALU_DEP_1)
	v_cmpx_ne_u16_e32 0, v10
	s_cbranch_execz .LBB163_220
; %bb.213:                              ;   in Loop: Header=BB163_177 Depth=1
	v_mov_b64_e32 v[26:27], 0x80000000
	s_mov_b32 s25, exec_lo
	v_cmpx_ne_u16_e32 0x80, v10
	s_cbranch_execz .LBB163_219
; %bb.214:                              ;   in Loop: Header=BB163_177 Depth=1
	v_mov_b64_e32 v[26:27], 0x7f800001
	v_and_b32_e32 v28, 0x7f, v32
	s_mov_b32 s26, exec_lo
	s_delay_alu instid0(VALU_DEP_1)
	v_cmpx_ne_u32_e32 0x7f, v28
	s_cbranch_execz .LBB163_218
; %bb.215:                              ;   in Loop: Header=BB163_177 Depth=1
	v_and_b32_e32 v10, 7, v32
	v_lshrrev_b32_e32 v26, 3, v28
	s_mov_b32 s27, exec_lo
	v_cmpx_gt_u32_e32 8, v28
; %bb.216:                              ;   in Loop: Header=BB163_177 Depth=1
	s_delay_alu instid0(VALU_DEP_3) | instskip(NEXT) | instid1(VALU_DEP_1)
	v_clz_i32_u32_e32 v26, v10
	v_min_u32_e32 v26, 32, v26
	s_delay_alu instid0(VALU_DEP_1) | instskip(NEXT) | instid1(VALU_DEP_1)
	v_subrev_nc_u32_e32 v27, 28, v26
	v_lshlrev_b64_e32 v[28:29], v27, v[10:11]
	s_delay_alu instid0(VALU_DEP_1)
	v_dual_sub_nc_u32 v26, 29, v26 :: v_dual_bitop2_b32 v10, 7, v28 bitop3:0x40
; %bb.217:                              ;   in Loop: Header=BB163_177 Depth=1
	s_or_b32 exec_lo, exec_lo, s27
	s_delay_alu instid0(VALU_DEP_1) | instskip(NEXT) | instid1(VALU_DEP_2)
	v_dual_lshlrev_b32 v27, 24, v32 :: v_dual_lshlrev_b32 v10, 20, v10
	v_lshl_add_u32 v26, v26, 23, 0x3c000000
	s_delay_alu instid0(VALU_DEP_2) | instskip(NEXT) | instid1(VALU_DEP_1)
	v_and_b32_e32 v27, 0x80000000, v27
	v_or3_b32 v10, v10, v27, v26
	s_delay_alu instid0(VALU_DEP_1)
	v_mov_b64_e32 v[26:27], v[10:11]
.LBB163_218:                            ;   in Loop: Header=BB163_177 Depth=1
	s_or_b32 exec_lo, exec_lo, s26
.LBB163_219:                            ;   in Loop: Header=BB163_177 Depth=1
	s_delay_alu instid0(SALU_CYCLE_1)
	s_or_b32 exec_lo, exec_lo, s25
.LBB163_220:                            ;   in Loop: Header=BB163_177 Depth=1
	s_delay_alu instid0(SALU_CYCLE_1) | instskip(SKIP_2) | instid1(VALU_DEP_1)
	s_or_b32 exec_lo, exec_lo, s9
	v_lshrrev_b16 v10, 8, v32
	s_mov_b32 s9, exec_lo
	v_cmpx_ne_u16_e32 0, v10
	s_cbranch_execz .LBB163_228
; %bb.221:                              ;   in Loop: Header=BB163_177 Depth=1
	v_mov_b64_e32 v[24:25], 0x8000000000000000
	s_mov_b32 s25, exec_lo
	v_cmpx_ne_u16_e32 0x80, v10
	s_cbranch_execz .LBB163_227
; %bb.222:                              ;   in Loop: Header=BB163_177 Depth=1
	v_and_b32_e32 v10, 0xffff, v10
	v_mov_b64_e32 v[24:25], 0x7f80000100000000
	s_mov_b32 s26, exec_lo
	s_delay_alu instid0(VALU_DEP_2) | instskip(NEXT) | instid1(VALU_DEP_1)
	v_and_b32_e32 v28, 0x7f, v10
	v_cmpx_ne_u32_e32 0x7f, v28
	s_cbranch_execz .LBB163_226
; %bb.223:                              ;   in Loop: Header=BB163_177 Depth=1
	v_dual_lshrrev_b32 v24, 3, v28 :: v_dual_bitop2_b32 v10, 7, v10 bitop3:0x40
	s_mov_b32 s27, exec_lo
	v_cmpx_gt_u32_e32 8, v28
; %bb.224:                              ;   in Loop: Header=BB163_177 Depth=1
	s_delay_alu instid0(VALU_DEP_2) | instskip(NEXT) | instid1(VALU_DEP_1)
	v_clz_i32_u32_e32 v24, v10
	v_min_u32_e32 v24, 32, v24
	s_delay_alu instid0(VALU_DEP_1) | instskip(SKIP_1) | instid1(VALU_DEP_2)
	v_subrev_nc_u32_e32 v25, 28, v24
	v_sub_nc_u32_e32 v24, 29, v24
	v_lshlrev_b64_e32 v[28:29], v25, v[10:11]
	s_delay_alu instid0(VALU_DEP_1)
	v_and_b32_e32 v10, 7, v28
; %bb.225:                              ;   in Loop: Header=BB163_177 Depth=1
	s_or_b32 exec_lo, exec_lo, s27
	s_delay_alu instid0(VALU_DEP_1) | instskip(SKIP_1) | instid1(VALU_DEP_2)
	v_dual_lshlrev_b32 v25, 16, v32 :: v_dual_lshlrev_b32 v10, 20, v10
	v_lshl_add_u32 v24, v24, 23, 0x3c000000
	v_and_b32_e32 v25, 0x80000000, v25
	s_delay_alu instid0(VALU_DEP_1)
	v_or3_b32 v25, v10, v25, v24
	v_mov_b32_e32 v24, v11
.LBB163_226:                            ;   in Loop: Header=BB163_177 Depth=1
	s_or_b32 exec_lo, exec_lo, s26
.LBB163_227:                            ;   in Loop: Header=BB163_177 Depth=1
	s_delay_alu instid0(SALU_CYCLE_1)
	s_or_b32 exec_lo, exec_lo, s25
.LBB163_228:                            ;   in Loop: Header=BB163_177 Depth=1
	s_delay_alu instid0(SALU_CYCLE_1) | instskip(SKIP_4) | instid1(VALU_DEP_3)
	s_or_b32 exec_lo, exec_lo, s9
	v_lshrrev_b32_e32 v33, 16, v32
	v_mov_b64_e32 v[28:29], 0
	v_mov_b64_e32 v[30:31], 0
	s_mov_b32 s9, exec_lo
	v_and_b32_e32 v10, 0xff, v33
	s_delay_alu instid0(VALU_DEP_1)
	v_cmpx_ne_u16_e32 0, v10
	s_cbranch_execz .LBB163_236
; %bb.229:                              ;   in Loop: Header=BB163_177 Depth=1
	v_mov_b64_e32 v[30:31], 0x80000000
	s_mov_b32 s25, exec_lo
	v_cmpx_ne_u16_e32 0x80, v10
	s_cbranch_execz .LBB163_235
; %bb.230:                              ;   in Loop: Header=BB163_177 Depth=1
	v_mov_b64_e32 v[30:31], 0x7f800001
	v_bfe_u32 v34, v32, 16, 7
	s_mov_b32 s26, exec_lo
	s_delay_alu instid0(VALU_DEP_1)
	v_cmpx_ne_u32_e32 0x7f, v34
	s_cbranch_execz .LBB163_234
; %bb.231:                              ;   in Loop: Header=BB163_177 Depth=1
	v_dual_lshrrev_b32 v30, 3, v34 :: v_dual_bitop2_b32 v10, 7, v33 bitop3:0x40
	s_mov_b32 s27, exec_lo
	v_cmpx_gt_u32_e32 8, v34
; %bb.232:                              ;   in Loop: Header=BB163_177 Depth=1
	s_delay_alu instid0(VALU_DEP_2) | instskip(NEXT) | instid1(VALU_DEP_1)
	v_clz_i32_u32_e32 v30, v10
	v_min_u32_e32 v30, 32, v30
	s_delay_alu instid0(VALU_DEP_1) | instskip(SKIP_1) | instid1(VALU_DEP_2)
	v_subrev_nc_u32_e32 v31, 28, v30
	v_sub_nc_u32_e32 v30, 29, v30
	v_lshlrev_b64_e32 v[34:35], v31, v[10:11]
	s_delay_alu instid0(VALU_DEP_1)
	v_and_b32_e32 v10, 7, v34
; %bb.233:                              ;   in Loop: Header=BB163_177 Depth=1
	s_or_b32 exec_lo, exec_lo, s27
	s_delay_alu instid0(VALU_DEP_1) | instskip(SKIP_1) | instid1(VALU_DEP_2)
	v_dual_lshlrev_b32 v31, 24, v33 :: v_dual_lshlrev_b32 v10, 20, v10
	v_lshl_add_u32 v30, v30, 23, 0x3c000000
	v_and_b32_e32 v31, 0x80000000, v31
	s_delay_alu instid0(VALU_DEP_1) | instskip(NEXT) | instid1(VALU_DEP_1)
	v_or3_b32 v10, v10, v31, v30
	v_mov_b64_e32 v[30:31], v[10:11]
.LBB163_234:                            ;   in Loop: Header=BB163_177 Depth=1
	s_or_b32 exec_lo, exec_lo, s26
.LBB163_235:                            ;   in Loop: Header=BB163_177 Depth=1
	s_delay_alu instid0(SALU_CYCLE_1)
	s_or_b32 exec_lo, exec_lo, s25
.LBB163_236:                            ;   in Loop: Header=BB163_177 Depth=1
	s_delay_alu instid0(SALU_CYCLE_1) | instskip(NEXT) | instid1(SALU_CYCLE_1)
	s_or_b32 exec_lo, exec_lo, s9
	s_mov_b32 s9, exec_lo
	v_cmpx_lt_u32_e32 0xffffff, v32
	s_cbranch_execz .LBB163_244
; %bb.237:                              ;   in Loop: Header=BB163_177 Depth=1
	v_mov_b64_e32 v[28:29], 0x8000000000000000
	v_lshrrev_b32_e32 v33, 24, v32
	s_mov_b32 s25, exec_lo
	s_delay_alu instid0(VALU_DEP_1)
	v_cmpx_ne_u32_e32 0x80, v33
	s_cbranch_execz .LBB163_243
; %bb.238:                              ;   in Loop: Header=BB163_177 Depth=1
	v_mov_b64_e32 v[28:29], 0x7f80000100000000
	v_bfe_u32 v32, v32, 24, 7
	s_mov_b32 s26, exec_lo
	s_delay_alu instid0(VALU_DEP_1)
	v_cmpx_ne_u32_e32 0x7f, v32
	s_cbranch_execz .LBB163_242
; %bb.239:                              ;   in Loop: Header=BB163_177 Depth=1
	v_dual_lshrrev_b32 v28, 3, v32 :: v_dual_bitop2_b32 v10, 7, v33 bitop3:0x40
	s_mov_b32 s27, exec_lo
	v_cmpx_gt_u32_e32 8, v32
; %bb.240:                              ;   in Loop: Header=BB163_177 Depth=1
	s_delay_alu instid0(VALU_DEP_2) | instskip(NEXT) | instid1(VALU_DEP_1)
	v_clz_i32_u32_e32 v28, v10
	v_min_u32_e32 v28, 32, v28
	s_delay_alu instid0(VALU_DEP_1) | instskip(NEXT) | instid1(VALU_DEP_1)
	v_subrev_nc_u32_e32 v29, 28, v28
	v_lshlrev_b64_e32 v[34:35], v29, v[10:11]
	s_delay_alu instid0(VALU_DEP_1)
	v_dual_sub_nc_u32 v28, 29, v28 :: v_dual_bitop2_b32 v10, 7, v34 bitop3:0x40
; %bb.241:                              ;   in Loop: Header=BB163_177 Depth=1
	s_or_b32 exec_lo, exec_lo, s27
	s_delay_alu instid0(VALU_DEP_1) | instskip(NEXT) | instid1(VALU_DEP_2)
	v_dual_lshlrev_b32 v29, 24, v33 :: v_dual_lshlrev_b32 v10, 20, v10
	v_lshl_add_u32 v28, v28, 23, 0x3c000000
	s_delay_alu instid0(VALU_DEP_2) | instskip(NEXT) | instid1(VALU_DEP_1)
	v_and_b32_e32 v29, 0x80000000, v29
	v_or3_b32 v29, v10, v29, v28
	v_mov_b32_e32 v28, v11
.LBB163_242:                            ;   in Loop: Header=BB163_177 Depth=1
	s_or_b32 exec_lo, exec_lo, s26
.LBB163_243:                            ;   in Loop: Header=BB163_177 Depth=1
	s_delay_alu instid0(SALU_CYCLE_1)
	s_or_b32 exec_lo, exec_lo, s25
.LBB163_244:                            ;   in Loop: Header=BB163_177 Depth=1
	s_delay_alu instid0(SALU_CYCLE_1)
	s_or_b32 exec_lo, exec_lo, s9
	s_mov_b32 s9, s8
	v_or_b32_e32 v25, v25, v27
	v_mov_b64_e32 v[32:33], s[8:9]
	v_or_b32_e32 v24, v24, v26
	v_or_b32_e32 v29, v29, v31
	;; [unrolled: 1-line block ×3, first 2 shown]
	s_delay_alu instid0(VALU_DEP_3) | instskip(NEXT) | instid1(VALU_DEP_2)
	v_pk_mul_f32 v[26:27], v[32:33], v[24:25]
	v_pk_mul_f32 v[24:25], v[32:33], v[28:29]
	s_and_saveexec_b32 s25, vcc_lo
	s_cbranch_execz .LBB163_246
; %bb.245:                              ;   in Loop: Header=BB163_177 Depth=1
	v_cmp_gt_i32_e64 s0, s34, v19
	s_delay_alu instid0(VALU_DEP_1) | instskip(SKIP_1) | instid1(VALU_DEP_1)
	v_cndmask_b32_e64 v26, 0, v26, s0
	v_cmp_gt_i32_e64 s0, s34, v44
	v_cndmask_b32_e64 v27, 0, v27, s0
	v_cmp_gt_i32_e64 s0, s34, v37
	s_delay_alu instid0(VALU_DEP_1) | instskip(SKIP_1) | instid1(VALU_DEP_1)
	v_cndmask_b32_e64 v24, 0, v24, s0
	v_cmp_gt_i32_e64 s0, s34, v36
	v_cndmask_b32_e64 v25, 0, v25, s0
.LBB163_246:                            ;   in Loop: Header=BB163_177 Depth=1
	s_or_b32 exec_lo, exec_lo, s25
	global_load_b32 v45, v[22:23], off offset:256
	v_mov_b64_e32 v[28:29], 0
	v_mov_b64_e32 v[30:31], 0
	s_mov_b32 s25, exec_lo
	s_wait_loadcnt 0x0
	v_and_b32_e32 v10, 0xff, v45
	s_delay_alu instid0(VALU_DEP_1)
	v_cmpx_ne_u16_e32 0, v10
	s_cbranch_execz .LBB163_254
; %bb.247:                              ;   in Loop: Header=BB163_177 Depth=1
	v_mov_b64_e32 v[30:31], 0x80000000
	s_mov_b32 s26, exec_lo
	v_cmpx_ne_u16_e32 0x80, v10
	s_cbranch_execz .LBB163_253
; %bb.248:                              ;   in Loop: Header=BB163_177 Depth=1
	v_mov_b64_e32 v[30:31], 0x7f800001
	v_and_b32_e32 v32, 0x7f, v45
	s_mov_b32 s27, exec_lo
	s_delay_alu instid0(VALU_DEP_1)
	v_cmpx_ne_u32_e32 0x7f, v32
	s_cbranch_execz .LBB163_252
; %bb.249:                              ;   in Loop: Header=BB163_177 Depth=1
	v_dual_lshrrev_b32 v30, 3, v32 :: v_dual_bitop2_b32 v10, 7, v45 bitop3:0x40
	s_mov_b32 s28, exec_lo
	v_cmpx_gt_u32_e32 8, v32
; %bb.250:                              ;   in Loop: Header=BB163_177 Depth=1
	s_delay_alu instid0(VALU_DEP_2) | instskip(NEXT) | instid1(VALU_DEP_1)
	v_clz_i32_u32_e32 v30, v10
	v_min_u32_e32 v30, 32, v30
	s_delay_alu instid0(VALU_DEP_1) | instskip(NEXT) | instid1(VALU_DEP_1)
	v_subrev_nc_u32_e32 v31, 28, v30
	v_lshlrev_b64_e32 v[32:33], v31, v[10:11]
	s_delay_alu instid0(VALU_DEP_1)
	v_dual_sub_nc_u32 v30, 29, v30 :: v_dual_bitop2_b32 v10, 7, v32 bitop3:0x40
; %bb.251:                              ;   in Loop: Header=BB163_177 Depth=1
	s_or_b32 exec_lo, exec_lo, s28
	s_delay_alu instid0(VALU_DEP_1) | instskip(NEXT) | instid1(VALU_DEP_2)
	v_dual_lshlrev_b32 v31, 24, v45 :: v_dual_lshlrev_b32 v10, 20, v10
	v_lshl_add_u32 v30, v30, 23, 0x3c000000
	s_delay_alu instid0(VALU_DEP_2) | instskip(NEXT) | instid1(VALU_DEP_1)
	v_and_b32_e32 v31, 0x80000000, v31
	v_or3_b32 v10, v10, v31, v30
	s_delay_alu instid0(VALU_DEP_1)
	v_mov_b64_e32 v[30:31], v[10:11]
.LBB163_252:                            ;   in Loop: Header=BB163_177 Depth=1
	s_or_b32 exec_lo, exec_lo, s27
.LBB163_253:                            ;   in Loop: Header=BB163_177 Depth=1
	s_delay_alu instid0(SALU_CYCLE_1)
	s_or_b32 exec_lo, exec_lo, s26
.LBB163_254:                            ;   in Loop: Header=BB163_177 Depth=1
	s_delay_alu instid0(SALU_CYCLE_1) | instskip(SKIP_2) | instid1(VALU_DEP_1)
	s_or_b32 exec_lo, exec_lo, s25
	v_lshrrev_b16 v10, 8, v45
	s_mov_b32 s25, exec_lo
	v_cmpx_ne_u16_e32 0, v10
	s_cbranch_execz .LBB163_262
; %bb.255:                              ;   in Loop: Header=BB163_177 Depth=1
	v_mov_b64_e32 v[28:29], 0x8000000000000000
	s_mov_b32 s26, exec_lo
	v_cmpx_ne_u16_e32 0x80, v10
	s_cbranch_execz .LBB163_261
; %bb.256:                              ;   in Loop: Header=BB163_177 Depth=1
	v_and_b32_e32 v10, 0xffff, v10
	v_mov_b64_e32 v[28:29], 0x7f80000100000000
	s_mov_b32 s27, exec_lo
	s_delay_alu instid0(VALU_DEP_2) | instskip(NEXT) | instid1(VALU_DEP_1)
	v_and_b32_e32 v32, 0x7f, v10
	v_cmpx_ne_u32_e32 0x7f, v32
	s_cbranch_execz .LBB163_260
; %bb.257:                              ;   in Loop: Header=BB163_177 Depth=1
	v_dual_lshrrev_b32 v28, 3, v32 :: v_dual_bitop2_b32 v10, 7, v10 bitop3:0x40
	s_mov_b32 s28, exec_lo
	v_cmpx_gt_u32_e32 8, v32
; %bb.258:                              ;   in Loop: Header=BB163_177 Depth=1
	s_delay_alu instid0(VALU_DEP_2) | instskip(NEXT) | instid1(VALU_DEP_1)
	v_clz_i32_u32_e32 v28, v10
	v_min_u32_e32 v28, 32, v28
	s_delay_alu instid0(VALU_DEP_1) | instskip(SKIP_1) | instid1(VALU_DEP_2)
	v_subrev_nc_u32_e32 v29, 28, v28
	v_sub_nc_u32_e32 v28, 29, v28
	v_lshlrev_b64_e32 v[32:33], v29, v[10:11]
	s_delay_alu instid0(VALU_DEP_1)
	v_and_b32_e32 v10, 7, v32
; %bb.259:                              ;   in Loop: Header=BB163_177 Depth=1
	s_or_b32 exec_lo, exec_lo, s28
	s_delay_alu instid0(VALU_DEP_1) | instskip(SKIP_1) | instid1(VALU_DEP_2)
	v_dual_lshlrev_b32 v29, 16, v45 :: v_dual_lshlrev_b32 v10, 20, v10
	v_lshl_add_u32 v28, v28, 23, 0x3c000000
	v_and_b32_e32 v29, 0x80000000, v29
	s_delay_alu instid0(VALU_DEP_1)
	v_or3_b32 v29, v10, v29, v28
	v_mov_b32_e32 v28, v11
.LBB163_260:                            ;   in Loop: Header=BB163_177 Depth=1
	s_or_b32 exec_lo, exec_lo, s27
.LBB163_261:                            ;   in Loop: Header=BB163_177 Depth=1
	s_delay_alu instid0(SALU_CYCLE_1)
	s_or_b32 exec_lo, exec_lo, s26
.LBB163_262:                            ;   in Loop: Header=BB163_177 Depth=1
	s_delay_alu instid0(SALU_CYCLE_1) | instskip(SKIP_4) | instid1(VALU_DEP_3)
	s_or_b32 exec_lo, exec_lo, s25
	v_lshrrev_b32_e32 v46, 16, v45
	v_mov_b64_e32 v[32:33], 0
	v_mov_b64_e32 v[34:35], 0
	s_mov_b32 s25, exec_lo
	v_and_b32_e32 v10, 0xff, v46
	s_delay_alu instid0(VALU_DEP_1)
	v_cmpx_ne_u16_e32 0, v10
	s_cbranch_execz .LBB163_270
; %bb.263:                              ;   in Loop: Header=BB163_177 Depth=1
	v_mov_b64_e32 v[34:35], 0x80000000
	s_mov_b32 s26, exec_lo
	v_cmpx_ne_u16_e32 0x80, v10
	s_cbranch_execz .LBB163_269
; %bb.264:                              ;   in Loop: Header=BB163_177 Depth=1
	v_mov_b64_e32 v[34:35], 0x7f800001
	v_bfe_u32 v47, v45, 16, 7
	s_mov_b32 s27, exec_lo
	s_delay_alu instid0(VALU_DEP_1)
	v_cmpx_ne_u32_e32 0x7f, v47
	s_cbranch_execz .LBB163_268
; %bb.265:                              ;   in Loop: Header=BB163_177 Depth=1
	v_dual_lshrrev_b32 v34, 3, v47 :: v_dual_bitop2_b32 v10, 7, v46 bitop3:0x40
	s_mov_b32 s28, exec_lo
	v_cmpx_gt_u32_e32 8, v47
; %bb.266:                              ;   in Loop: Header=BB163_177 Depth=1
	s_delay_alu instid0(VALU_DEP_2) | instskip(NEXT) | instid1(VALU_DEP_1)
	v_clz_i32_u32_e32 v34, v10
	v_min_u32_e32 v34, 32, v34
	s_delay_alu instid0(VALU_DEP_1) | instskip(NEXT) | instid1(VALU_DEP_1)
	v_subrev_nc_u32_e32 v35, 28, v34
	v_lshlrev_b64_e32 v[48:49], v35, v[10:11]
	s_delay_alu instid0(VALU_DEP_1)
	v_dual_sub_nc_u32 v34, 29, v34 :: v_dual_bitop2_b32 v10, 7, v48 bitop3:0x40
; %bb.267:                              ;   in Loop: Header=BB163_177 Depth=1
	s_or_b32 exec_lo, exec_lo, s28
	v_lshlrev_b32_e32 v35, 24, v46
	s_delay_alu instid0(VALU_DEP_2) | instskip(NEXT) | instid1(VALU_DEP_3)
	v_lshlrev_b32_e32 v10, 20, v10
	v_lshl_add_u32 v34, v34, 23, 0x3c000000
	s_delay_alu instid0(VALU_DEP_3) | instskip(NEXT) | instid1(VALU_DEP_1)
	v_and_b32_e32 v35, 0x80000000, v35
	v_or3_b32 v10, v10, v35, v34
	s_delay_alu instid0(VALU_DEP_1)
	v_mov_b64_e32 v[34:35], v[10:11]
.LBB163_268:                            ;   in Loop: Header=BB163_177 Depth=1
	s_or_b32 exec_lo, exec_lo, s27
.LBB163_269:                            ;   in Loop: Header=BB163_177 Depth=1
	s_delay_alu instid0(SALU_CYCLE_1)
	s_or_b32 exec_lo, exec_lo, s26
.LBB163_270:                            ;   in Loop: Header=BB163_177 Depth=1
	s_delay_alu instid0(SALU_CYCLE_1) | instskip(NEXT) | instid1(SALU_CYCLE_1)
	s_or_b32 exec_lo, exec_lo, s25
	s_mov_b32 s25, exec_lo
	v_cmpx_lt_u32_e32 0xffffff, v45
	s_cbranch_execz .LBB163_278
; %bb.271:                              ;   in Loop: Header=BB163_177 Depth=1
	v_mov_b64_e32 v[32:33], 0x8000000000000000
	v_lshrrev_b32_e32 v46, 24, v45
	s_mov_b32 s26, exec_lo
	s_delay_alu instid0(VALU_DEP_1)
	v_cmpx_ne_u32_e32 0x80, v46
	s_cbranch_execz .LBB163_277
; %bb.272:                              ;   in Loop: Header=BB163_177 Depth=1
	v_mov_b64_e32 v[32:33], 0x7f80000100000000
	v_bfe_u32 v45, v45, 24, 7
	s_mov_b32 s27, exec_lo
	s_delay_alu instid0(VALU_DEP_1)
	v_cmpx_ne_u32_e32 0x7f, v45
	s_cbranch_execz .LBB163_276
; %bb.273:                              ;   in Loop: Header=BB163_177 Depth=1
	v_dual_lshrrev_b32 v32, 3, v45 :: v_dual_bitop2_b32 v10, 7, v46 bitop3:0x40
	s_mov_b32 s28, exec_lo
	v_cmpx_gt_u32_e32 8, v45
; %bb.274:                              ;   in Loop: Header=BB163_177 Depth=1
	s_delay_alu instid0(VALU_DEP_2) | instskip(NEXT) | instid1(VALU_DEP_1)
	v_clz_i32_u32_e32 v32, v10
	v_min_u32_e32 v32, 32, v32
	s_delay_alu instid0(VALU_DEP_1) | instskip(SKIP_1) | instid1(VALU_DEP_2)
	v_subrev_nc_u32_e32 v33, 28, v32
	v_sub_nc_u32_e32 v32, 29, v32
	v_lshlrev_b64_e32 v[48:49], v33, v[10:11]
	s_delay_alu instid0(VALU_DEP_1)
	v_and_b32_e32 v10, 7, v48
; %bb.275:                              ;   in Loop: Header=BB163_177 Depth=1
	s_or_b32 exec_lo, exec_lo, s28
	v_lshlrev_b32_e32 v33, 24, v46
	s_delay_alu instid0(VALU_DEP_2) | instskip(SKIP_1) | instid1(VALU_DEP_3)
	v_lshlrev_b32_e32 v10, 20, v10
	v_lshl_add_u32 v32, v32, 23, 0x3c000000
	v_and_b32_e32 v33, 0x80000000, v33
	s_delay_alu instid0(VALU_DEP_1)
	v_or3_b32 v33, v10, v33, v32
	v_mov_b32_e32 v32, v11
.LBB163_276:                            ;   in Loop: Header=BB163_177 Depth=1
	s_or_b32 exec_lo, exec_lo, s27
.LBB163_277:                            ;   in Loop: Header=BB163_177 Depth=1
	s_delay_alu instid0(SALU_CYCLE_1)
	s_or_b32 exec_lo, exec_lo, s26
.LBB163_278:                            ;   in Loop: Header=BB163_177 Depth=1
	s_delay_alu instid0(SALU_CYCLE_1)
	s_or_b32 exec_lo, exec_lo, s25
	v_mov_b64_e32 v[46:47], s[8:9]
	v_or_b32_e32 v29, v29, v31
	v_or_b32_e32 v28, v28, v30
	;; [unrolled: 1-line block ×4, first 2 shown]
	s_delay_alu instid0(VALU_DEP_3) | instskip(NEXT) | instid1(VALU_DEP_2)
	v_pk_mul_f32 v[30:31], v[46:47], v[28:29]
	v_pk_mul_f32 v[28:29], v[46:47], v[32:33]
	s_and_saveexec_b32 s25, vcc_lo
	s_cbranch_execz .LBB163_280
; %bb.279:                              ;   in Loop: Header=BB163_177 Depth=1
	v_cmp_gt_i32_e64 s0, s34, v19
	s_delay_alu instid0(VALU_DEP_1) | instskip(SKIP_1) | instid1(VALU_DEP_1)
	v_cndmask_b32_e64 v30, 0, v30, s0
	v_cmp_gt_i32_e64 s0, s34, v44
	v_cndmask_b32_e64 v31, 0, v31, s0
	v_cmp_gt_i32_e64 s0, s34, v37
	s_delay_alu instid0(VALU_DEP_1) | instskip(SKIP_1) | instid1(VALU_DEP_1)
	v_cndmask_b32_e64 v28, 0, v28, s0
	v_cmp_gt_i32_e64 s0, s34, v36
	v_cndmask_b32_e64 v29, 0, v29, s0
.LBB163_280:                            ;   in Loop: Header=BB163_177 Depth=1
	s_or_b32 exec_lo, exec_lo, s25
	global_load_b32 v45, v[22:23], off offset:384
	s_wait_xcnt 0x0
	v_mov_b64_e32 v[22:23], 0
	v_mov_b64_e32 v[32:33], 0
	s_mov_b32 s25, exec_lo
	s_wait_loadcnt 0x0
	v_and_b32_e32 v10, 0xff, v45
	s_delay_alu instid0(VALU_DEP_1)
	v_cmpx_ne_u16_e32 0, v10
	s_cbranch_execz .LBB163_288
; %bb.281:                              ;   in Loop: Header=BB163_177 Depth=1
	v_mov_b64_e32 v[32:33], 0x80000000
	s_mov_b32 s26, exec_lo
	v_cmpx_ne_u16_e32 0x80, v10
	s_cbranch_execz .LBB163_287
; %bb.282:                              ;   in Loop: Header=BB163_177 Depth=1
	v_mov_b64_e32 v[32:33], 0x7f800001
	v_and_b32_e32 v34, 0x7f, v45
	s_mov_b32 s27, exec_lo
	s_delay_alu instid0(VALU_DEP_1)
	v_cmpx_ne_u32_e32 0x7f, v34
	s_cbranch_execz .LBB163_286
; %bb.283:                              ;   in Loop: Header=BB163_177 Depth=1
	v_dual_lshrrev_b32 v32, 3, v34 :: v_dual_bitop2_b32 v10, 7, v45 bitop3:0x40
	s_mov_b32 s28, exec_lo
	v_cmpx_gt_u32_e32 8, v34
; %bb.284:                              ;   in Loop: Header=BB163_177 Depth=1
	s_delay_alu instid0(VALU_DEP_2) | instskip(NEXT) | instid1(VALU_DEP_1)
	v_clz_i32_u32_e32 v32, v10
	v_min_u32_e32 v32, 32, v32
	s_delay_alu instid0(VALU_DEP_1) | instskip(NEXT) | instid1(VALU_DEP_1)
	v_subrev_nc_u32_e32 v33, 28, v32
	v_lshlrev_b64_e32 v[34:35], v33, v[10:11]
	s_delay_alu instid0(VALU_DEP_1)
	v_dual_sub_nc_u32 v32, 29, v32 :: v_dual_bitop2_b32 v10, 7, v34 bitop3:0x40
; %bb.285:                              ;   in Loop: Header=BB163_177 Depth=1
	s_or_b32 exec_lo, exec_lo, s28
	s_delay_alu instid0(VALU_DEP_1) | instskip(NEXT) | instid1(VALU_DEP_2)
	v_dual_lshlrev_b32 v33, 24, v45 :: v_dual_lshlrev_b32 v10, 20, v10
	v_lshl_add_u32 v32, v32, 23, 0x3c000000
	s_delay_alu instid0(VALU_DEP_2) | instskip(NEXT) | instid1(VALU_DEP_1)
	v_and_b32_e32 v33, 0x80000000, v33
	v_or3_b32 v10, v10, v33, v32
	s_delay_alu instid0(VALU_DEP_1)
	v_mov_b64_e32 v[32:33], v[10:11]
.LBB163_286:                            ;   in Loop: Header=BB163_177 Depth=1
	s_or_b32 exec_lo, exec_lo, s27
.LBB163_287:                            ;   in Loop: Header=BB163_177 Depth=1
	s_delay_alu instid0(SALU_CYCLE_1)
	s_or_b32 exec_lo, exec_lo, s26
.LBB163_288:                            ;   in Loop: Header=BB163_177 Depth=1
	s_delay_alu instid0(SALU_CYCLE_1) | instskip(SKIP_2) | instid1(VALU_DEP_1)
	s_or_b32 exec_lo, exec_lo, s25
	v_lshrrev_b16 v10, 8, v45
	s_mov_b32 s25, exec_lo
	v_cmpx_ne_u16_e32 0, v10
	s_cbranch_execz .LBB163_296
; %bb.289:                              ;   in Loop: Header=BB163_177 Depth=1
	v_mov_b64_e32 v[22:23], 0x8000000000000000
	s_mov_b32 s26, exec_lo
	v_cmpx_ne_u16_e32 0x80, v10
	s_cbranch_execz .LBB163_295
; %bb.290:                              ;   in Loop: Header=BB163_177 Depth=1
	v_and_b32_e32 v10, 0xffff, v10
	v_mov_b64_e32 v[22:23], 0x7f80000100000000
	s_mov_b32 s27, exec_lo
	s_delay_alu instid0(VALU_DEP_2) | instskip(NEXT) | instid1(VALU_DEP_1)
	v_and_b32_e32 v34, 0x7f, v10
	v_cmpx_ne_u32_e32 0x7f, v34
	s_cbranch_execz .LBB163_294
; %bb.291:                              ;   in Loop: Header=BB163_177 Depth=1
	v_and_b32_e32 v10, 7, v10
	v_lshrrev_b32_e32 v22, 3, v34
	s_mov_b32 s28, exec_lo
	v_cmpx_gt_u32_e32 8, v34
; %bb.292:                              ;   in Loop: Header=BB163_177 Depth=1
	s_delay_alu instid0(VALU_DEP_3) | instskip(NEXT) | instid1(VALU_DEP_1)
	v_clz_i32_u32_e32 v22, v10
	v_min_u32_e32 v22, 32, v22
	s_delay_alu instid0(VALU_DEP_1) | instskip(SKIP_1) | instid1(VALU_DEP_2)
	v_subrev_nc_u32_e32 v23, 28, v22
	v_sub_nc_u32_e32 v22, 29, v22
	v_lshlrev_b64_e32 v[34:35], v23, v[10:11]
	s_delay_alu instid0(VALU_DEP_1)
	v_and_b32_e32 v10, 7, v34
; %bb.293:                              ;   in Loop: Header=BB163_177 Depth=1
	s_or_b32 exec_lo, exec_lo, s28
	s_delay_alu instid0(VALU_DEP_1) | instskip(SKIP_1) | instid1(VALU_DEP_2)
	v_dual_lshlrev_b32 v23, 16, v45 :: v_dual_lshlrev_b32 v10, 20, v10
	v_lshl_add_u32 v22, v22, 23, 0x3c000000
	v_and_b32_e32 v23, 0x80000000, v23
	s_delay_alu instid0(VALU_DEP_1)
	v_or3_b32 v23, v10, v23, v22
	v_mov_b32_e32 v22, v11
.LBB163_294:                            ;   in Loop: Header=BB163_177 Depth=1
	s_or_b32 exec_lo, exec_lo, s27
.LBB163_295:                            ;   in Loop: Header=BB163_177 Depth=1
	s_delay_alu instid0(SALU_CYCLE_1)
	s_or_b32 exec_lo, exec_lo, s26
.LBB163_296:                            ;   in Loop: Header=BB163_177 Depth=1
	s_delay_alu instid0(SALU_CYCLE_1) | instskip(SKIP_4) | instid1(VALU_DEP_3)
	s_or_b32 exec_lo, exec_lo, s25
	v_lshrrev_b32_e32 v46, 16, v45
	v_mov_b64_e32 v[34:35], 0
	v_mov_b64_e32 v[36:37], 0
	s_mov_b32 s25, exec_lo
	v_and_b32_e32 v10, 0xff, v46
	s_delay_alu instid0(VALU_DEP_1)
	v_cmpx_ne_u16_e32 0, v10
	s_cbranch_execz .LBB163_304
; %bb.297:                              ;   in Loop: Header=BB163_177 Depth=1
	v_mov_b64_e32 v[36:37], 0x80000000
	s_mov_b32 s26, exec_lo
	v_cmpx_ne_u16_e32 0x80, v10
	s_cbranch_execz .LBB163_303
; %bb.298:                              ;   in Loop: Header=BB163_177 Depth=1
	v_mov_b64_e32 v[36:37], 0x7f800001
	v_bfe_u32 v47, v45, 16, 7
	s_mov_b32 s27, exec_lo
	s_delay_alu instid0(VALU_DEP_1)
	v_cmpx_ne_u32_e32 0x7f, v47
	s_cbranch_execz .LBB163_302
; %bb.299:                              ;   in Loop: Header=BB163_177 Depth=1
	v_dual_lshrrev_b32 v36, 3, v47 :: v_dual_bitop2_b32 v10, 7, v46 bitop3:0x40
	s_mov_b32 s28, exec_lo
	v_cmpx_gt_u32_e32 8, v47
; %bb.300:                              ;   in Loop: Header=BB163_177 Depth=1
	s_delay_alu instid0(VALU_DEP_2) | instskip(NEXT) | instid1(VALU_DEP_1)
	v_clz_i32_u32_e32 v36, v10
	v_min_u32_e32 v36, 32, v36
	s_delay_alu instid0(VALU_DEP_1) | instskip(SKIP_1) | instid1(VALU_DEP_2)
	v_subrev_nc_u32_e32 v37, 28, v36
	v_sub_nc_u32_e32 v36, 29, v36
	v_lshlrev_b64_e32 v[48:49], v37, v[10:11]
	s_delay_alu instid0(VALU_DEP_1)
	v_and_b32_e32 v10, 7, v48
; %bb.301:                              ;   in Loop: Header=BB163_177 Depth=1
	s_or_b32 exec_lo, exec_lo, s28
	v_lshlrev_b32_e32 v37, 24, v46
	s_delay_alu instid0(VALU_DEP_2) | instskip(SKIP_1) | instid1(VALU_DEP_3)
	v_lshlrev_b32_e32 v10, 20, v10
	v_lshl_add_u32 v36, v36, 23, 0x3c000000
	v_and_b32_e32 v37, 0x80000000, v37
	s_delay_alu instid0(VALU_DEP_1) | instskip(NEXT) | instid1(VALU_DEP_1)
	v_or3_b32 v10, v10, v37, v36
	v_mov_b64_e32 v[36:37], v[10:11]
.LBB163_302:                            ;   in Loop: Header=BB163_177 Depth=1
	s_or_b32 exec_lo, exec_lo, s27
.LBB163_303:                            ;   in Loop: Header=BB163_177 Depth=1
	s_delay_alu instid0(SALU_CYCLE_1)
	s_or_b32 exec_lo, exec_lo, s26
.LBB163_304:                            ;   in Loop: Header=BB163_177 Depth=1
	s_delay_alu instid0(SALU_CYCLE_1) | instskip(NEXT) | instid1(SALU_CYCLE_1)
	s_or_b32 exec_lo, exec_lo, s25
	s_mov_b32 s25, exec_lo
	v_cmpx_lt_u32_e32 0xffffff, v45
	s_cbranch_execz .LBB163_312
; %bb.305:                              ;   in Loop: Header=BB163_177 Depth=1
	v_mov_b64_e32 v[34:35], 0x8000000000000000
	v_lshrrev_b32_e32 v46, 24, v45
	s_mov_b32 s26, exec_lo
	s_delay_alu instid0(VALU_DEP_1)
	v_cmpx_ne_u32_e32 0x80, v46
	s_cbranch_execz .LBB163_311
; %bb.306:                              ;   in Loop: Header=BB163_177 Depth=1
	v_mov_b64_e32 v[34:35], 0x7f80000100000000
	v_bfe_u32 v45, v45, 24, 7
	s_mov_b32 s27, exec_lo
	s_delay_alu instid0(VALU_DEP_1)
	v_cmpx_ne_u32_e32 0x7f, v45
	s_cbranch_execz .LBB163_310
; %bb.307:                              ;   in Loop: Header=BB163_177 Depth=1
	v_dual_lshrrev_b32 v34, 3, v45 :: v_dual_bitop2_b32 v10, 7, v46 bitop3:0x40
	s_mov_b32 s28, exec_lo
	v_cmpx_gt_u32_e32 8, v45
; %bb.308:                              ;   in Loop: Header=BB163_177 Depth=1
	s_delay_alu instid0(VALU_DEP_2) | instskip(NEXT) | instid1(VALU_DEP_1)
	v_clz_i32_u32_e32 v34, v10
	v_min_u32_e32 v34, 32, v34
	s_delay_alu instid0(VALU_DEP_1) | instskip(NEXT) | instid1(VALU_DEP_1)
	v_subrev_nc_u32_e32 v35, 28, v34
	v_lshlrev_b64_e32 v[48:49], v35, v[10:11]
	s_delay_alu instid0(VALU_DEP_1)
	v_dual_sub_nc_u32 v34, 29, v34 :: v_dual_bitop2_b32 v10, 7, v48 bitop3:0x40
; %bb.309:                              ;   in Loop: Header=BB163_177 Depth=1
	s_or_b32 exec_lo, exec_lo, s28
	v_lshlrev_b32_e32 v35, 24, v46
	s_delay_alu instid0(VALU_DEP_2) | instskip(NEXT) | instid1(VALU_DEP_3)
	v_lshlrev_b32_e32 v10, 20, v10
	v_lshl_add_u32 v34, v34, 23, 0x3c000000
	s_delay_alu instid0(VALU_DEP_3) | instskip(NEXT) | instid1(VALU_DEP_1)
	v_and_b32_e32 v35, 0x80000000, v35
	v_or3_b32 v35, v10, v35, v34
	v_mov_b32_e32 v34, v11
.LBB163_310:                            ;   in Loop: Header=BB163_177 Depth=1
	s_or_b32 exec_lo, exec_lo, s27
.LBB163_311:                            ;   in Loop: Header=BB163_177 Depth=1
	s_delay_alu instid0(SALU_CYCLE_1)
	s_or_b32 exec_lo, exec_lo, s26
.LBB163_312:                            ;   in Loop: Header=BB163_177 Depth=1
	s_delay_alu instid0(SALU_CYCLE_1)
	s_or_b32 exec_lo, exec_lo, s25
	v_or_b32_e32 v23, v23, v33
	v_or_b32_e32 v22, v22, v32
	v_mov_b64_e32 v[32:33], s[8:9]
	v_or_b32_e32 v35, v35, v37
	v_or_b32_e32 v34, v34, v36
	s_delay_alu instid0(VALU_DEP_3) | instskip(NEXT) | instid1(VALU_DEP_2)
	v_pk_mul_f32 v[22:23], v[32:33], v[22:23]
	v_pk_mul_f32 v[32:33], v[32:33], v[34:35]
	s_and_saveexec_b32 s0, vcc_lo
	s_cbranch_execz .LBB163_175
; %bb.313:                              ;   in Loop: Header=BB163_177 Depth=1
	v_cmp_gt_i32_e32 vcc_lo, s18, v44
	v_or_b32_e32 v34, 2, v19
	v_cndmask_b32_e32 v23, 0, v23, vcc_lo
	v_cmp_gt_i32_e32 vcc_lo, s34, v19
	v_dual_cndmask_b32 v22, 0, v22, vcc_lo :: v_dual_bitop2_b32 v10, 3, v19 bitop3:0x54
	s_delay_alu instid0(VALU_DEP_1)
	v_cmp_gt_i32_e32 vcc_lo, s18, v10
	v_cndmask_b32_e32 v33, 0, v33, vcc_lo
	v_cmp_gt_i32_e32 vcc_lo, s34, v34
	v_cndmask_b32_e32 v32, 0, v32, vcc_lo
	s_branch .LBB163_175
.LBB163_314:
	s_or_b32 exec_lo, exec_lo, s19
.LBB163_315:
	s_delay_alu instid0(SALU_CYCLE_1)
	s_or_b32 exec_lo, exec_lo, s1
	ds_bpermute_b32 v2, v39, v8
	ds_bpermute_b32 v3, v39, v9
	;; [unrolled: 1-line block ×4, first 2 shown]
	v_and_b32_e32 v11, 0x3c1, v0
	v_lshrrev_b32_e32 v10, 1, v38
	s_mov_b32 s0, exec_lo
	s_wait_dscnt 0x0
	s_barrier_signal -1
	s_barrier_wait -1
	v_pk_add_f32 v[2:3], v[8:9], v[2:3]
	v_cmpx_ne_u32_e32 64, v11
	s_xor_b32 s0, exec_lo, s0
	s_delay_alu instid0(SALU_CYCLE_1)
	s_or_saveexec_b32 s0, s0
	v_pk_add_f32 v[4:5], v[6:7], v[4:5]
	v_lshl_add_u32 v6, v10, 2, 0x120
	v_lshlrev_b32_e32 v1, 8, v1
	s_xor_b32 exec_lo, exec_lo, s0
	s_cbranch_execz .LBB163_317
; %bb.316:
	s_delay_alu instid0(VALU_DEP_1) | instskip(NEXT) | instid1(VALU_DEP_1)
	v_add_nc_u32_e32 v7, v6, v1
	v_add_nc_u32_e32 v8, 0xfffffe00, v7
	;; [unrolled: 1-line block ×5, first 2 shown]
	ds_store_b32 v8, v2
	ds_store_b32 v9, v3
	;; [unrolled: 1-line block ×4, first 2 shown]
.LBB163_317:
	s_or_b32 exec_lo, exec_lo, s0
	v_lshlrev_b32_e32 v7, 2, v10
	v_cmp_eq_u32_e32 vcc_lo, 0, v40
	s_wait_dscnt 0x0
	s_barrier_signal -1
	s_barrier_wait -1
	v_add3_u32 v1, 0x120, v1, v7
	s_and_saveexec_b32 s0, s2
	s_cbranch_execz .LBB163_324
; %bb.318:
	s_and_saveexec_b32 s1, vcc_lo
	s_cbranch_execnz .LBB163_336
; %bb.319:
	s_or_b32 exec_lo, exec_lo, s1
	s_and_saveexec_b32 s1, vcc_lo
	s_cbranch_execnz .LBB163_337
.LBB163_320:
	s_or_b32 exec_lo, exec_lo, s1
	s_and_saveexec_b32 s1, vcc_lo
	s_cbranch_execnz .LBB163_338
.LBB163_321:
	s_or_b32 exec_lo, exec_lo, s1
	s_and_saveexec_b32 s1, vcc_lo
	s_cbranch_execz .LBB163_323
.LBB163_322:
	ds_load_b32 v7, v1 offset:192
	s_wait_dscnt 0x0
	v_add_f32_e32 v5, v5, v7
.LBB163_323:
	s_or_b32 exec_lo, exec_lo, s1
.LBB163_324:
	s_delay_alu instid0(SALU_CYCLE_1) | instskip(SKIP_4) | instid1(VALU_DEP_1)
	s_or_b32 exec_lo, exec_lo, s0
	v_and_b32_e32 v7, 0x3e1, v0
	s_mov_b32 s1, exec_lo
	s_barrier_signal -1
	s_barrier_wait -1
	v_cmpx_eq_u32_e32 32, v7
	s_cbranch_execz .LBB163_326
; %bb.325:
	ds_store_2addr_b32 v6, v2, v3 offset1:16
	ds_store_2addr_b32 v6, v4, v5 offset0:32 offset1:48
.LBB163_326:
	s_or_b32 exec_lo, exec_lo, s1
	s_delay_alu instid0(SALU_CYCLE_1)
	s_mov_b32 s1, exec_lo
	s_wait_dscnt 0x0
	s_barrier_signal -1
	s_barrier_wait -1
	v_cmpx_gt_u32_e32 32, v0
	s_cbranch_execz .LBB163_333
; %bb.327:
	s_and_saveexec_b32 s0, vcc_lo
	s_cbranch_execnz .LBB163_339
; %bb.328:
	s_or_b32 exec_lo, exec_lo, s0
	s_and_saveexec_b32 s0, vcc_lo
	s_cbranch_execnz .LBB163_340
.LBB163_329:
	s_or_b32 exec_lo, exec_lo, s0
	s_and_saveexec_b32 s0, vcc_lo
	s_cbranch_execnz .LBB163_341
.LBB163_330:
	s_or_b32 exec_lo, exec_lo, s0
	s_and_saveexec_b32 s0, vcc_lo
	s_cbranch_execz .LBB163_332
.LBB163_331:
	ds_load_b32 v1, v1 offset:192
	s_wait_dscnt 0x0
	v_add_f32_e32 v5, v5, v1
.LBB163_332:
	s_or_b32 exec_lo, exec_lo, s0
.LBB163_333:
	s_delay_alu instid0(SALU_CYCLE_1)
	s_or_b32 exec_lo, exec_lo, s1
	s_mov_b32 s1, 0
	s_barrier_signal -1
	s_barrier_wait -1
	s_mov_b32 s0, exec_lo
	v_cmpx_eq_u32_e32 0, v7
	s_cbranch_execz .LBB163_335
; %bb.334:
	s_mul_i32 s0, s33, s12
	s_mul_i32 s2, s12, s20
	;; [unrolled: 1-line block ×3, first 2 shown]
	s_wait_kmcnt 0x0
	s_lshr_b32 s8, ttmp7, 16
	s_lshl_b32 s4, s0, 6
	s_bfe_u32 s0, ttmp6, 0x40014
	s_ashr_i32 s5, s4, 31
	s_add_co_i32 s0, s0, 1
	s_lshl_b64 s[4:5], s[4:5], 2
	s_ashr_i32 s3, s2, 31
	s_add_nc_u64 s[4:5], s[6:7], s[4:5]
	s_mul_i32 s0, s8, s0
	s_bfe_u32 s6, ttmp6, 0x40008
	s_lshl_b64 s[2:3], s[2:3], 2
	s_add_co_i32 s6, s6, s0
	s_cmp_eq_u32 s30, 0
	v_lshlrev_b32_e32 v0, 1, v0
	s_cselect_b32 s0, s8, s6
	s_add_nc_u64 s[2:3], s[4:5], s[2:3]
	s_lshl_b32 s0, s0, 8
	s_delay_alu instid0(SALU_CYCLE_1)
	s_add_nc_u64 s[0:1], s[2:3], s[0:1]
	s_clause 0x3
	global_store_b32 v0, v2, s[0:1]
	global_store_b32 v0, v3, s[0:1] offset:64
	global_store_b32 v0, v4, s[0:1] offset:128
	;; [unrolled: 1-line block ×3, first 2 shown]
.LBB163_335:
	s_endpgm
.LBB163_336:
	ds_load_b32 v7, v1
	s_wait_dscnt 0x0
	v_add_f32_e32 v2, v2, v7
	s_or_b32 exec_lo, exec_lo, s1
	s_and_saveexec_b32 s1, vcc_lo
	s_cbranch_execz .LBB163_320
.LBB163_337:
	ds_load_b32 v7, v1 offset:64
	s_wait_dscnt 0x0
	v_add_f32_e32 v3, v3, v7
	s_or_b32 exec_lo, exec_lo, s1
	s_and_saveexec_b32 s1, vcc_lo
	s_cbranch_execz .LBB163_321
.LBB163_338:
	ds_load_b32 v7, v1 offset:128
	s_wait_dscnt 0x0
	v_add_f32_e32 v4, v4, v7
	s_or_b32 exec_lo, exec_lo, s1
	s_and_saveexec_b32 s1, vcc_lo
	s_cbranch_execnz .LBB163_322
	s_branch .LBB163_323
.LBB163_339:
	ds_load_b32 v6, v1
	s_wait_dscnt 0x0
	v_add_f32_e32 v2, v2, v6
	s_or_b32 exec_lo, exec_lo, s0
	s_and_saveexec_b32 s0, vcc_lo
	s_cbranch_execz .LBB163_329
.LBB163_340:
	ds_load_b32 v6, v1 offset:64
	s_wait_dscnt 0x0
	v_add_f32_e32 v3, v3, v6
	s_or_b32 exec_lo, exec_lo, s0
	s_and_saveexec_b32 s0, vcc_lo
	s_cbranch_execz .LBB163_330
.LBB163_341:
	ds_load_b32 v6, v1 offset:128
	s_wait_dscnt 0x0
	v_add_f32_e32 v4, v4, v6
	s_or_b32 exec_lo, exec_lo, s0
	s_and_saveexec_b32 s0, vcc_lo
	s_cbranch_execnz .LBB163_331
	s_branch .LBB163_332
	.section	.rodata,"a",@progbits
	.p2align	6, 0x0
	.amdhsa_kernel _ZN4vllm25paged_attention_v1_kernelIfhLi64ELi8ELi128ELNS_18Fp8KVCacheDataTypeE1ELb1EEEvPT_PKS2_PKT0_S8_ifPKiSA_iPKfiiiSC_SC_iiiii
		.amdhsa_group_segment_fixed_size 288
		.amdhsa_private_segment_fixed_size 0
		.amdhsa_kernarg_size 384
		.amdhsa_user_sgpr_count 2
		.amdhsa_user_sgpr_dispatch_ptr 0
		.amdhsa_user_sgpr_queue_ptr 0
		.amdhsa_user_sgpr_kernarg_segment_ptr 1
		.amdhsa_user_sgpr_dispatch_id 0
		.amdhsa_user_sgpr_kernarg_preload_length 0
		.amdhsa_user_sgpr_kernarg_preload_offset 0
		.amdhsa_user_sgpr_private_segment_size 0
		.amdhsa_wavefront_size32 1
		.amdhsa_uses_dynamic_stack 0
		.amdhsa_enable_private_segment 0
		.amdhsa_system_sgpr_workgroup_id_x 1
		.amdhsa_system_sgpr_workgroup_id_y 1
		.amdhsa_system_sgpr_workgroup_id_z 1
		.amdhsa_system_sgpr_workgroup_info 0
		.amdhsa_system_vgpr_workitem_id 0
		.amdhsa_next_free_vgpr 56
		.amdhsa_next_free_sgpr 47
		.amdhsa_named_barrier_count 0
		.amdhsa_reserve_vcc 1
		.amdhsa_float_round_mode_32 0
		.amdhsa_float_round_mode_16_64 0
		.amdhsa_float_denorm_mode_32 3
		.amdhsa_float_denorm_mode_16_64 3
		.amdhsa_fp16_overflow 0
		.amdhsa_memory_ordered 1
		.amdhsa_forward_progress 1
		.amdhsa_inst_pref_size 100
		.amdhsa_round_robin_scheduling 0
		.amdhsa_exception_fp_ieee_invalid_op 0
		.amdhsa_exception_fp_denorm_src 0
		.amdhsa_exception_fp_ieee_div_zero 0
		.amdhsa_exception_fp_ieee_overflow 0
		.amdhsa_exception_fp_ieee_underflow 0
		.amdhsa_exception_fp_ieee_inexact 0
		.amdhsa_exception_int_div_zero 0
	.end_amdhsa_kernel
	.section	.text._ZN4vllm25paged_attention_v1_kernelIfhLi64ELi8ELi128ELNS_18Fp8KVCacheDataTypeE1ELb1EEEvPT_PKS2_PKT0_S8_ifPKiSA_iPKfiiiSC_SC_iiiii,"axG",@progbits,_ZN4vllm25paged_attention_v1_kernelIfhLi64ELi8ELi128ELNS_18Fp8KVCacheDataTypeE1ELb1EEEvPT_PKS2_PKT0_S8_ifPKiSA_iPKfiiiSC_SC_iiiii,comdat
.Lfunc_end163:
	.size	_ZN4vllm25paged_attention_v1_kernelIfhLi64ELi8ELi128ELNS_18Fp8KVCacheDataTypeE1ELb1EEEvPT_PKS2_PKT0_S8_ifPKiSA_iPKfiiiSC_SC_iiiii, .Lfunc_end163-_ZN4vllm25paged_attention_v1_kernelIfhLi64ELi8ELi128ELNS_18Fp8KVCacheDataTypeE1ELb1EEEvPT_PKS2_PKT0_S8_ifPKiSA_iPKfiiiSC_SC_iiiii
                                        ; -- End function
	.set _ZN4vllm25paged_attention_v1_kernelIfhLi64ELi8ELi128ELNS_18Fp8KVCacheDataTypeE1ELb1EEEvPT_PKS2_PKT0_S8_ifPKiSA_iPKfiiiSC_SC_iiiii.num_vgpr, 56
	.set _ZN4vllm25paged_attention_v1_kernelIfhLi64ELi8ELi128ELNS_18Fp8KVCacheDataTypeE1ELb1EEEvPT_PKS2_PKT0_S8_ifPKiSA_iPKfiiiSC_SC_iiiii.num_agpr, 0
	.set _ZN4vllm25paged_attention_v1_kernelIfhLi64ELi8ELi128ELNS_18Fp8KVCacheDataTypeE1ELb1EEEvPT_PKS2_PKT0_S8_ifPKiSA_iPKfiiiSC_SC_iiiii.numbered_sgpr, 47
	.set _ZN4vllm25paged_attention_v1_kernelIfhLi64ELi8ELi128ELNS_18Fp8KVCacheDataTypeE1ELb1EEEvPT_PKS2_PKT0_S8_ifPKiSA_iPKfiiiSC_SC_iiiii.num_named_barrier, 0
	.set _ZN4vllm25paged_attention_v1_kernelIfhLi64ELi8ELi128ELNS_18Fp8KVCacheDataTypeE1ELb1EEEvPT_PKS2_PKT0_S8_ifPKiSA_iPKfiiiSC_SC_iiiii.private_seg_size, 0
	.set _ZN4vllm25paged_attention_v1_kernelIfhLi64ELi8ELi128ELNS_18Fp8KVCacheDataTypeE1ELb1EEEvPT_PKS2_PKT0_S8_ifPKiSA_iPKfiiiSC_SC_iiiii.uses_vcc, 1
	.set _ZN4vllm25paged_attention_v1_kernelIfhLi64ELi8ELi128ELNS_18Fp8KVCacheDataTypeE1ELb1EEEvPT_PKS2_PKT0_S8_ifPKiSA_iPKfiiiSC_SC_iiiii.uses_flat_scratch, 0
	.set _ZN4vllm25paged_attention_v1_kernelIfhLi64ELi8ELi128ELNS_18Fp8KVCacheDataTypeE1ELb1EEEvPT_PKS2_PKT0_S8_ifPKiSA_iPKfiiiSC_SC_iiiii.has_dyn_sized_stack, 0
	.set _ZN4vllm25paged_attention_v1_kernelIfhLi64ELi8ELi128ELNS_18Fp8KVCacheDataTypeE1ELb1EEEvPT_PKS2_PKT0_S8_ifPKiSA_iPKfiiiSC_SC_iiiii.has_recursion, 0
	.set _ZN4vllm25paged_attention_v1_kernelIfhLi64ELi8ELi128ELNS_18Fp8KVCacheDataTypeE1ELb1EEEvPT_PKS2_PKT0_S8_ifPKiSA_iPKfiiiSC_SC_iiiii.has_indirect_call, 0
	.section	.AMDGPU.csdata,"",@progbits
; Kernel info:
; codeLenInByte = 12684
; TotalNumSgprs: 49
; NumVgprs: 56
; ScratchSize: 0
; MemoryBound: 0
; FloatMode: 240
; IeeeMode: 1
; LDSByteSize: 288 bytes/workgroup (compile time only)
; SGPRBlocks: 0
; VGPRBlocks: 3
; NumSGPRsForWavesPerEU: 49
; NumVGPRsForWavesPerEU: 56
; NamedBarCnt: 0
; Occupancy: 16
; WaveLimiterHint : 1
; COMPUTE_PGM_RSRC2:SCRATCH_EN: 0
; COMPUTE_PGM_RSRC2:USER_SGPR: 2
; COMPUTE_PGM_RSRC2:TRAP_HANDLER: 0
; COMPUTE_PGM_RSRC2:TGID_X_EN: 1
; COMPUTE_PGM_RSRC2:TGID_Y_EN: 1
; COMPUTE_PGM_RSRC2:TGID_Z_EN: 1
; COMPUTE_PGM_RSRC2:TIDIG_COMP_CNT: 0
	.section	.text._ZN4vllm25paged_attention_v1_kernelIfhLi80ELi8ELi128ELNS_18Fp8KVCacheDataTypeE1ELb1EEEvPT_PKS2_PKT0_S8_ifPKiSA_iPKfiiiSC_SC_iiiii,"axG",@progbits,_ZN4vllm25paged_attention_v1_kernelIfhLi80ELi8ELi128ELNS_18Fp8KVCacheDataTypeE1ELb1EEEvPT_PKS2_PKT0_S8_ifPKiSA_iPKfiiiSC_SC_iiiii,comdat
	.protected	_ZN4vllm25paged_attention_v1_kernelIfhLi80ELi8ELi128ELNS_18Fp8KVCacheDataTypeE1ELb1EEEvPT_PKS2_PKT0_S8_ifPKiSA_iPKfiiiSC_SC_iiiii ; -- Begin function _ZN4vllm25paged_attention_v1_kernelIfhLi80ELi8ELi128ELNS_18Fp8KVCacheDataTypeE1ELb1EEEvPT_PKS2_PKT0_S8_ifPKiSA_iPKfiiiSC_SC_iiiii
	.globl	_ZN4vllm25paged_attention_v1_kernelIfhLi80ELi8ELi128ELNS_18Fp8KVCacheDataTypeE1ELb1EEEvPT_PKS2_PKT0_S8_ifPKiSA_iPKfiiiSC_SC_iiiii
	.p2align	8
	.type	_ZN4vllm25paged_attention_v1_kernelIfhLi80ELi8ELi128ELNS_18Fp8KVCacheDataTypeE1ELb1EEEvPT_PKS2_PKT0_S8_ifPKiSA_iPKfiiiSC_SC_iiiii,@function
_ZN4vllm25paged_attention_v1_kernelIfhLi80ELi8ELi128ELNS_18Fp8KVCacheDataTypeE1ELb1EEEvPT_PKS2_PKT0_S8_ifPKiSA_iPKfiiiSC_SC_iiiii: ; @_ZN4vllm25paged_attention_v1_kernelIfhLi80ELi8ELi128ELNS_18Fp8KVCacheDataTypeE1ELb1EEEvPT_PKS2_PKT0_S8_ifPKiSA_iPKfiiiSC_SC_iiiii
; %bb.0:
	s_load_b64 s[26:27], s[0:1], 0x20
	s_bfe_u32 s3, ttmp6, 0x4000c
	s_bfe_u32 s4, ttmp6, 0x40010
	s_and_b32 s6, ttmp7, 0xffff
	s_add_co_i32 s3, s3, 1
	s_add_co_i32 s4, s4, 1
	s_and_b32 s2, ttmp6, 15
	s_bfe_u32 s5, ttmp6, 0x40004
	s_mul_i32 s3, ttmp9, s3
	s_mul_i32 s4, s6, s4
	s_getreg_b32 s30, hwreg(HW_REG_IB_STS2, 6, 4)
	s_add_co_i32 s2, s2, s3
	s_add_co_i32 s3, s5, s4
	s_cmp_eq_u32 s30, 0
	s_clause 0x1
	s_load_b32 s31, s[0:1], 0x80
	s_load_b64 s[4:5], s[0:1], 0x30
	s_cselect_b32 s33, s6, s3
	s_cselect_b32 s2, ttmp9, s2
	s_wait_kmcnt 0x0
	s_abs_i32 s3, s26
	s_delay_alu instid0(SALU_CYCLE_1) | instskip(SKIP_1) | instid1(SALU_CYCLE_2)
	s_cvt_f32_u32 s6, s3
	s_sub_co_i32 s7, 0, s3
	v_rcp_iflag_f32_e32 v1, s6
	s_abs_i32 s8, s31
	v_nop
	s_delay_alu instid0(TRANS32_DEP_1) | instskip(SKIP_1) | instid1(SALU_CYCLE_3)
	v_readfirstlane_b32 s6, v1
	s_mul_f32 s6, s6, 0x4f7ffffe
	s_cvt_u32_f32 s6, s6
	s_delay_alu instid0(SALU_CYCLE_3) | instskip(NEXT) | instid1(SALU_CYCLE_1)
	s_mul_i32 s7, s7, s6
	s_mul_hi_u32 s7, s6, s7
	s_delay_alu instid0(SALU_CYCLE_1) | instskip(SKIP_4) | instid1(SALU_CYCLE_1)
	s_add_co_i32 s6, s6, s7
	s_xor_b32 s7, s31, s26
	s_mul_hi_u32 s6, s8, s6
	s_ashr_i32 s7, s7, 31
	s_mul_i32 s9, s6, s3
	s_sub_co_i32 s8, s8, s9
	s_add_co_i32 s9, s6, 1
	s_sub_co_i32 s10, s8, s3
	s_cmp_ge_u32 s8, s3
	s_cselect_b32 s6, s9, s6
	s_cselect_b32 s8, s10, s8
	s_add_co_i32 s9, s6, 1
	s_cmp_ge_u32 s8, s3
	s_load_b64 s[10:11], s[0:1], 0x40
	s_cselect_b32 s3, s9, s6
	s_mov_b32 s9, 0
	s_xor_b32 s3, s3, s7
	s_abs_i32 s8, s2
	s_sub_co_i32 s12, s3, s7
	s_mov_b32 s7, s9
	s_abs_i32 s19, s12
	s_mov_b32 s36, s9
	s_cvt_f32_u32 s3, s19
	s_sub_co_i32 s6, 0, s19
	s_delay_alu instid0(SALU_CYCLE_2) | instskip(SKIP_1) | instid1(TRANS32_DEP_1)
	v_rcp_iflag_f32_e32 v1, s3
	v_nop
	v_readfirstlane_b32 s3, v1
	s_mul_f32 s3, s3, 0x4f7ffffe
	s_delay_alu instid0(SALU_CYCLE_3) | instskip(NEXT) | instid1(SALU_CYCLE_3)
	s_cvt_u32_f32 s3, s3
	s_mul_i32 s6, s6, s3
	s_delay_alu instid0(SALU_CYCLE_1) | instskip(NEXT) | instid1(SALU_CYCLE_1)
	s_mul_hi_u32 s6, s3, s6
	s_add_co_i32 s6, s3, s6
	s_wait_kmcnt 0x0
	s_cmp_eq_u64 s[10:11], 0
	s_cbranch_scc1 .LBB164_2
; %bb.1:
	s_ashr_i32 s3, s2, 31
	s_delay_alu instid0(SALU_CYCLE_1) | instskip(NEXT) | instid1(SALU_CYCLE_1)
	s_lshl_b64 s[14:15], s[2:3], 2
	s_add_nc_u64 s[10:11], s[10:11], s[14:15]
	s_load_b32 s36, s[10:11], 0x0
.LBB164_2:
	s_load_b32 s34, s[4:5], s33 offset:0x0 scale_offset
	s_load_b96 s[16:18], s[0:1], 0x48
	v_and_b32_e32 v2, 3, v0
	s_wait_xcnt 0x0
	s_mul_u64 s[4:5], s[8:9], s[6:7]
	s_ashr_i32 s3, s2, 31
	s_ashr_i32 s10, s12, 31
	s_mul_i32 s6, s2, 0x50
	s_mov_b32 s4, exec_lo
	v_cmpx_gt_u32_e32 0x50, v0
	s_cbranch_execz .LBB164_4
; %bb.3:
	s_load_b64 s[12:13], s[0:1], 0x8
	s_wait_kmcnt 0x0
	s_mul_i32 s14, s16, s33
	s_ashr_i32 s7, s6, 31
	s_ashr_i32 s15, s14, 31
	v_and_b32_e32 v3, 0x3fc, v0
	s_lshl_b64 s[14:15], s[14:15], 2
	s_delay_alu instid0(VALU_DEP_1) | instskip(SKIP_2) | instid1(SALU_CYCLE_1)
	v_mad_u32_u24 v3, 0x50, v2, v3
	s_add_nc_u64 s[12:13], s[12:13], s[14:15]
	s_lshl_b64 s[14:15], s[6:7], 2
	s_add_nc_u64 s[12:13], s[12:13], s[14:15]
	global_load_b32 v1, v0, s[12:13] scale_offset
	s_wait_loadcnt 0x0
	ds_store_b32 v3, v1
.LBB164_4:
	s_or_b32 exec_lo, exec_lo, s4
	s_load_b128 s[12:15], s[0:1], 0x68
	s_mul_i32 s4, s5, s19
	s_xor_b32 s3, s3, s10
	s_sub_co_i32 s4, s8, s4
	s_add_co_i32 s7, s5, 1
	s_sub_co_i32 s8, s4, s19
	s_cmp_ge_u32 s4, s19
	s_mov_b32 s9, -1
	s_cselect_b32 s5, s7, s5
	s_cselect_b32 s4, s8, s4
	s_add_co_i32 s8, s5, 1
	s_cmp_ge_u32 s4, s19
	s_load_b32 s7, s[0:1], 0x78
	s_cselect_b32 s4, s8, s5
	s_wait_kmcnt 0x0
	s_add_co_i32 s8, s34, -1
	s_xor_b32 s4, s4, s3
	s_wait_dscnt 0x0
	s_sub_co_i32 s3, s4, s3
	s_barrier_signal -1
	s_barrier_wait -1
	s_abs_i32 s16, s15
	s_delay_alu instid0(SALU_CYCLE_1) | instskip(NEXT) | instid1(SALU_CYCLE_3)
	s_cvt_f32_u32 s5, s16
                                        ; implicit-def: $sgpr35
	v_rcp_iflag_f32_e32 v1, s5
	v_nop
	s_delay_alu instid0(TRANS32_DEP_1) | instskip(SKIP_1) | instid1(SALU_CYCLE_3)
	v_readfirstlane_b32 s5, v1
	s_mul_f32 s4, s5, 0x4f7ffffe
	s_cvt_u32_f32 s10, s4
	s_sub_co_i32 s4, 0, s16
	s_delay_alu instid0(SALU_CYCLE_2)
	s_mul_i32 s5, s4, s10
	s_abs_i32 s4, s8
	s_mul_hi_u32 s11, s10, s5
	s_mov_b32 s5, 0
	s_add_co_i32 s20, s10, s11
	s_cmp_lt_i32 s7, 0
	s_mov_b32 s21, s5
	s_cbranch_scc0 .LBB164_6
; %bb.5:
	s_mul_i32 s9, s12, s26
	s_delay_alu instid0(SALU_CYCLE_1) | instskip(NEXT) | instid1(SALU_CYCLE_1)
	s_add_co_i32 s9, s3, s9
	s_mul_i32 s9, s9, s7
	s_delay_alu instid0(SALU_CYCLE_1)
	s_sub_co_i32 s35, 1, s9
	s_mov_b32 s9, s5
.LBB164_6:
	s_ashr_i32 s8, s8, 31
	s_ashr_i32 s15, s15, 31
	s_and_not1_b32 vcc_lo, exec_lo, s9
	s_mul_u64 s[28:29], s[4:5], s[20:21]
	s_cbranch_vccnz .LBB164_8
; %bb.7:
	s_mul_i32 s5, s31, s12
	s_delay_alu instid0(SALU_CYCLE_1) | instskip(NEXT) | instid1(SALU_CYCLE_1)
	s_add_co_i32 s2, s5, s2
	s_mul_i32 s2, s2, s7
	s_delay_alu instid0(SALU_CYCLE_1)
	s_add_co_i32 s35, s2, 1
.LBB164_8:
	s_clause 0x1
	s_load_b32 s2, s[0:1], 0x38
	s_load_b64 s[22:23], s[0:1], 0x28
	s_mul_i32 s7, s29, s16
	s_xor_b32 s5, s8, s15
	s_sub_co_i32 s4, s4, s7
	s_add_co_i32 s12, s29, 1
	s_clause 0x1
	s_load_b32 s7, s[0:1], 0x88
	s_load_b128 s[8:11], s[0:1], 0x58
	v_dual_lshrrev_b32 v1, 5, v0 :: v_dual_lshrrev_b32 v23, 3, v0
	v_mov_b32_e32 v37, 0xff7fffff
	v_mbcnt_lo_u32_b32 v34, -1, 0
	s_mul_i32 s18, s3, s18
	s_delay_alu instid0(VALU_DEP_3)
	v_lshlrev_b32_e32 v22, 3, v1
	s_wait_kmcnt 0x0
	s_mul_i32 s24, s2, s33
	s_sub_co_i32 s2, s4, s16
	s_ashr_i32 s25, s24, 31
	s_cmp_ge_u32 s4, s16
	s_cselect_b32 s12, s12, s29
	s_cselect_b32 s2, s2, s4
	s_add_co_i32 s4, s12, 1
	s_cmp_ge_u32 s2, s16
	s_cselect_b32 s2, s4, s12
	s_add_co_i32 s4, s34, 7
	s_delay_alu instid0(SALU_CYCLE_1) | instskip(NEXT) | instid1(SALU_CYCLE_1)
	s_ashr_i32 s12, s4, 31
	s_lshr_b32 s12, s12, 29
	s_delay_alu instid0(SALU_CYCLE_1) | instskip(NEXT) | instid1(SALU_CYCLE_1)
	s_add_co_i32 s4, s4, s12
	s_ashr_i32 s12, s4, 3
	s_xor_b32 s4, s2, s5
	v_cmp_gt_i32_e64 s2, s12, v1
	s_sub_co_i32 s26, s4, s5
	s_and_saveexec_b32 s37, s2
	s_cbranch_execz .LBB164_180
; %bb.9:
	s_sub_co_i32 s38, s26, s13
	s_ashr_i32 s19, s18, 31
	s_cmp_neq_f32 s36, 0
	s_load_b64 s[4:5], s[0:1], 0x10
	v_bfe_u32 v35, v0, 2, 3
	v_dual_mov_b32 v25, 0 :: v_dual_lshlrev_b32 v26, 3, v1
	s_cselect_b32 vcc_lo, -1, 0
	s_abs_i32 s39, s14
	s_delay_alu instid0(VALU_DEP_1)
	v_dual_mov_b32 v3, v25 :: v_dual_lshlrev_b32 v24, 4, v35
	s_cvt_f32_u32 s28, s39
	v_subrev_nc_u32_e32 v6, s34, v35
	v_lshlrev_b32_e32 v5, 2, v35
	s_lshl_b64 s[40:41], s[24:25], 2
	v_rcp_iflag_f32_e32 v4, s28
	s_sub_co_i32 s42, 0, s39
	v_add_nc_u32_e32 v38, 1, v6
	v_lshl_or_b32 v7, v1, 5, v5
	v_cmp_eq_u32_e64 s3, 0, v2
	v_mul_u32_u24_e32 v36, 0x50, v2
	v_mov_b32_e32 v37, 0xff7fffff
	v_readfirstlane_b32 s28, v4
	s_wait_kmcnt 0x0
	s_add_nc_u64 s[4:5], s[4:5], s[18:19]
	v_dual_mov_b32 v40, v1 :: v_dual_add_nc_u32 v39, 0x160, v7
	v_add_nc_u64_e32 v[4:5], s[4:5], v[24:25]
	s_mul_f32 s19, s28, 0x4f7ffffe
	v_and_b32_e32 v24, 0x7c, v23
	s_add_nc_u64 s[4:5], s[22:23], s[40:41]
	s_mov_b32 s29, 0
	s_cvt_u32_f32 s28, s19
	s_mov_b32 s19, s17
	v_add_nc_u64_e32 v[28:29], s[4:5], v[24:25]
	v_add_nc_u64_e32 v[30:31], v[4:5], v[2:3]
	s_mul_i32 s42, s42, s28
	s_mov_b32 s40, s29
	s_mul_hi_u32 s4, s28, s42
	s_delay_alu instid0(SALU_CYCLE_1)
	s_add_co_i32 s28, s28, s4
	s_branch .LBB164_12
.LBB164_10:                             ;   in Loop: Header=BB164_12 Depth=1
	s_or_b32 exec_lo, exec_lo, s41
.LBB164_11:                             ;   in Loop: Header=BB164_12 Depth=1
	s_delay_alu instid0(SALU_CYCLE_1) | instskip(SKIP_3) | instid1(VALU_DEP_3)
	s_or_b32 exec_lo, exec_lo, s5
	v_dual_add_nc_u32 v40, 4, v40 :: v_dual_add_nc_u32 v26, 32, v26
	v_add_nc_u64_e32 v[28:29], 16, v[28:29]
	v_add_nc_u32_e32 v39, 0x80, v39
	v_cmp_le_i32_e64 s4, s12, v40
	s_or_b32 s40, s4, s40
	s_delay_alu instid0(SALU_CYCLE_1)
	s_and_not1_b32 exec_lo, exec_lo, s40
	s_cbranch_execz .LBB164_179
.LBB164_12:                             ; =>This Inner Loop Header: Depth=1
	v_mov_b32_e32 v27, v25
	s_wait_dscnt 0x0
	s_delay_alu instid0(VALU_DEP_1) | instskip(NEXT) | instid1(VALU_DEP_1)
	v_mul_u64_e32 v[2:3], s[20:21], v[26:27]
	v_mul_lo_u32 v2, v3, s16
	s_delay_alu instid0(VALU_DEP_1) | instskip(NEXT) | instid1(VALU_DEP_1)
	v_sub_nc_u32_e32 v2, v26, v2
	v_subrev_nc_u32_e32 v5, s16, v2
	v_cmp_le_u32_e64 s4, s16, v2
	s_delay_alu instid0(VALU_DEP_1) | instskip(NEXT) | instid1(VALU_DEP_1)
	v_dual_add_nc_u32 v4, 1, v3 :: v_dual_cndmask_b32 v2, v2, v5, s4
	v_cndmask_b32_e64 v3, v3, v4, s4
	s_delay_alu instid0(VALU_DEP_2) | instskip(NEXT) | instid1(VALU_DEP_2)
	v_cmp_le_u32_e64 s4, s16, v2
	v_add_nc_u32_e32 v4, 1, v3
	s_delay_alu instid0(VALU_DEP_1) | instskip(NEXT) | instid1(VALU_DEP_1)
	v_cndmask_b32_e64 v2, v3, v4, s4
	v_xor_b32_e32 v2, s15, v2
	s_delay_alu instid0(VALU_DEP_1) | instskip(NEXT) | instid1(VALU_DEP_1)
	v_subrev_nc_u32_e32 v4, s15, v2
	v_add_nc_u32_e32 v5, s35, v4
	v_cmp_ge_i32_e64 s5, s38, v4
	s_delay_alu instid0(VALU_DEP_2) | instskip(NEXT) | instid1(VALU_DEP_1)
	v_sub_nc_u32_e32 v2, 0, v5
	v_dual_ashrrev_i32 v5, 31, v5 :: v_dual_max_i32 v24, v5, v2
	s_delay_alu instid0(VALU_DEP_1) | instskip(NEXT) | instid1(VALU_DEP_1)
	v_mul_u64_e32 v[2:3], s[28:29], v[24:25]
	v_mul_lo_u32 v2, v3, s39
	s_delay_alu instid0(VALU_DEP_1) | instskip(NEXT) | instid1(VALU_DEP_1)
	v_sub_nc_u32_e32 v2, v24, v2
	v_subrev_nc_u32_e32 v3, s39, v2
	v_cmp_le_u32_e64 s4, s39, v2
	s_delay_alu instid0(VALU_DEP_1) | instskip(NEXT) | instid1(VALU_DEP_1)
	v_cndmask_b32_e64 v2, v2, v3, s4
	v_subrev_nc_u32_e32 v3, s39, v2
	v_cmp_le_u32_e64 s4, s39, v2
	s_delay_alu instid0(VALU_DEP_1) | instskip(NEXT) | instid1(VALU_DEP_1)
	v_cndmask_b32_e64 v2, v2, v3, s4
	v_xor_b32_e32 v2, v2, v5
	s_delay_alu instid0(VALU_DEP_1) | instskip(NEXT) | instid1(VALU_DEP_1)
	v_sub_nc_u32_e32 v2, v2, v5
	v_cmp_ne_u32_e64 s4, 0, v2
	s_and_b32 s4, s4, s5
	s_delay_alu instid0(SALU_CYCLE_1) | instskip(NEXT) | instid1(SALU_CYCLE_1)
	s_and_saveexec_b32 s5, s4
	s_xor_b32 s4, exec_lo, s5
	s_cbranch_execz .LBB164_16
; %bb.13:                               ;   in Loop: Header=BB164_12 Depth=1
	s_and_saveexec_b32 s5, s3
; %bb.14:                               ;   in Loop: Header=BB164_12 Depth=1
	v_mov_b32_e32 v2, 0xff7fffff
	ds_store_b32 v39, v2
; %bb.15:                               ;   in Loop: Header=BB164_12 Depth=1
	s_or_b32 exec_lo, exec_lo, s5
.LBB164_16:                             ;   in Loop: Header=BB164_12 Depth=1
	s_and_not1_saveexec_b32 s5, s4
	s_cbranch_execz .LBB164_11
; %bb.17:                               ;   in Loop: Header=BB164_12 Depth=1
	global_load_b32 v2, v[28:29], off
	v_dual_mov_b32 v27, 0 :: v_dual_mov_b32 v41, 0
	s_mov_b32 s42, exec_lo
	s_wait_loadcnt 0x0
	v_mad_nc_i64_i32 v[32:33], v2, s19, v[30:31]
	global_load_u8 v42, v[32:33], off
	ds_load_b128 v[18:21], v36
	ds_load_b128 v[14:17], v36 offset:16
	ds_load_b128 v[10:13], v36 offset:32
	;; [unrolled: 1-line block ×4, first 2 shown]
	s_load_b32 s41, s[8:9], 0x0
	s_wait_loadcnt 0x0
	v_cmpx_ne_u16_e32 0, v42
	s_cbranch_execz .LBB164_25
; %bb.18:                               ;   in Loop: Header=BB164_12 Depth=1
	v_bfrev_b32_e32 v41, 1
	s_mov_b32 s43, exec_lo
	v_cmpx_ne_u16_e32 0x80, v42
	s_cbranch_execz .LBB164_24
; %bb.19:                               ;   in Loop: Header=BB164_12 Depth=1
	v_and_b32_e32 v24, 0xffff, v42
	v_mov_b32_e32 v41, 0x7f800001
	s_mov_b32 s44, exec_lo
	s_delay_alu instid0(VALU_DEP_2) | instskip(NEXT) | instid1(VALU_DEP_1)
	v_and_b32_e32 v43, 0x7f, v24
	v_cmpx_ne_u32_e32 0x7f, v43
	s_cbranch_execz .LBB164_23
; %bb.20:                               ;   in Loop: Header=BB164_12 Depth=1
	v_dual_lshrrev_b32 v41, 3, v43 :: v_dual_bitop2_b32 v24, 7, v24 bitop3:0x40
	s_mov_b32 s45, exec_lo
	v_cmpx_gt_u32_e32 8, v43
; %bb.21:                               ;   in Loop: Header=BB164_12 Depth=1
	s_delay_alu instid0(VALU_DEP_2) | instskip(NEXT) | instid1(VALU_DEP_1)
	v_clz_i32_u32_e32 v41, v24
	v_min_u32_e32 v41, 32, v41
	s_delay_alu instid0(VALU_DEP_1) | instskip(NEXT) | instid1(VALU_DEP_1)
	v_subrev_nc_u32_e32 v43, 28, v41
	v_lshlrev_b64_e32 v[44:45], v43, v[24:25]
	s_delay_alu instid0(VALU_DEP_1)
	v_dual_sub_nc_u32 v41, 29, v41 :: v_dual_bitop2_b32 v24, 7, v44 bitop3:0x40
; %bb.22:                               ;   in Loop: Header=BB164_12 Depth=1
	s_or_b32 exec_lo, exec_lo, s45
	s_delay_alu instid0(VALU_DEP_1) | instskip(NEXT) | instid1(VALU_DEP_2)
	v_dual_lshlrev_b32 v42, 24, v42 :: v_dual_lshlrev_b32 v24, 20, v24
	v_lshl_add_u32 v41, v41, 23, 0x3c000000
	s_delay_alu instid0(VALU_DEP_2) | instskip(NEXT) | instid1(VALU_DEP_1)
	v_and_b32_e32 v42, 0x80000000, v42
	v_or3_b32 v41, v24, v42, v41
.LBB164_23:                             ;   in Loop: Header=BB164_12 Depth=1
	s_or_b32 exec_lo, exec_lo, s44
.LBB164_24:                             ;   in Loop: Header=BB164_12 Depth=1
	s_delay_alu instid0(SALU_CYCLE_1)
	s_or_b32 exec_lo, exec_lo, s43
.LBB164_25:                             ;   in Loop: Header=BB164_12 Depth=1
	s_delay_alu instid0(SALU_CYCLE_1)
	s_or_b32 exec_lo, exec_lo, s42
	global_load_u8 v42, v[32:33], off offset:4
	s_mov_b32 s42, exec_lo
	s_wait_loadcnt 0x0
	v_cmpx_ne_u16_e32 0, v42
	s_cbranch_execz .LBB164_33
; %bb.26:                               ;   in Loop: Header=BB164_12 Depth=1
	v_bfrev_b32_e32 v27, 1
	s_mov_b32 s43, exec_lo
	v_cmpx_ne_u16_e32 0x80, v42
	s_cbranch_execz .LBB164_32
; %bb.27:                               ;   in Loop: Header=BB164_12 Depth=1
	v_and_b32_e32 v24, 0xffff, v42
	v_mov_b32_e32 v27, 0x7f800001
	s_mov_b32 s44, exec_lo
	s_delay_alu instid0(VALU_DEP_2) | instskip(NEXT) | instid1(VALU_DEP_1)
	v_and_b32_e32 v43, 0x7f, v24
	v_cmpx_ne_u32_e32 0x7f, v43
	s_cbranch_execz .LBB164_31
; %bb.28:                               ;   in Loop: Header=BB164_12 Depth=1
	v_dual_lshrrev_b32 v27, 3, v43 :: v_dual_bitop2_b32 v24, 7, v24 bitop3:0x40
	s_mov_b32 s45, exec_lo
	v_cmpx_gt_u32_e32 8, v43
; %bb.29:                               ;   in Loop: Header=BB164_12 Depth=1
	s_delay_alu instid0(VALU_DEP_2) | instskip(NEXT) | instid1(VALU_DEP_1)
	v_clz_i32_u32_e32 v27, v24
	v_min_u32_e32 v27, 32, v27
	s_delay_alu instid0(VALU_DEP_1) | instskip(NEXT) | instid1(VALU_DEP_1)
	v_subrev_nc_u32_e32 v43, 28, v27
	v_lshlrev_b64_e32 v[44:45], v43, v[24:25]
	s_delay_alu instid0(VALU_DEP_1)
	v_dual_sub_nc_u32 v27, 29, v27 :: v_dual_bitop2_b32 v24, 7, v44 bitop3:0x40
; %bb.30:                               ;   in Loop: Header=BB164_12 Depth=1
	s_or_b32 exec_lo, exec_lo, s45
	s_delay_alu instid0(VALU_DEP_1) | instskip(NEXT) | instid1(VALU_DEP_2)
	v_dual_lshlrev_b32 v42, 24, v42 :: v_dual_lshlrev_b32 v24, 20, v24
	v_lshl_add_u32 v27, v27, 23, 0x3c000000
	s_delay_alu instid0(VALU_DEP_2) | instskip(NEXT) | instid1(VALU_DEP_1)
	v_and_b32_e32 v42, 0x80000000, v42
	v_or3_b32 v27, v24, v42, v27
.LBB164_31:                             ;   in Loop: Header=BB164_12 Depth=1
	s_or_b32 exec_lo, exec_lo, s44
.LBB164_32:                             ;   in Loop: Header=BB164_12 Depth=1
	s_delay_alu instid0(SALU_CYCLE_1)
	s_or_b32 exec_lo, exec_lo, s43
.LBB164_33:                             ;   in Loop: Header=BB164_12 Depth=1
	s_delay_alu instid0(SALU_CYCLE_1)
	s_or_b32 exec_lo, exec_lo, s42
	global_load_u8 v44, v[32:33], off offset:8
	v_dual_mov_b32 v42, 0 :: v_dual_mov_b32 v43, 0
	s_mov_b32 s42, exec_lo
	s_wait_loadcnt 0x0
	v_cmpx_ne_u16_e32 0, v44
	s_cbranch_execz .LBB164_41
; %bb.34:                               ;   in Loop: Header=BB164_12 Depth=1
	v_bfrev_b32_e32 v43, 1
	s_mov_b32 s43, exec_lo
	v_cmpx_ne_u16_e32 0x80, v44
	s_cbranch_execz .LBB164_40
; %bb.35:                               ;   in Loop: Header=BB164_12 Depth=1
	v_and_b32_e32 v24, 0xffff, v44
	v_mov_b32_e32 v43, 0x7f800001
	s_mov_b32 s44, exec_lo
	s_delay_alu instid0(VALU_DEP_2) | instskip(NEXT) | instid1(VALU_DEP_1)
	v_and_b32_e32 v45, 0x7f, v24
	v_cmpx_ne_u32_e32 0x7f, v45
	s_cbranch_execz .LBB164_39
; %bb.36:                               ;   in Loop: Header=BB164_12 Depth=1
	v_dual_lshrrev_b32 v43, 3, v45 :: v_dual_bitop2_b32 v24, 7, v24 bitop3:0x40
	s_mov_b32 s45, exec_lo
	v_cmpx_gt_u32_e32 8, v45
; %bb.37:                               ;   in Loop: Header=BB164_12 Depth=1
	s_delay_alu instid0(VALU_DEP_2) | instskip(NEXT) | instid1(VALU_DEP_1)
	v_clz_i32_u32_e32 v43, v24
	v_min_u32_e32 v43, 32, v43
	s_delay_alu instid0(VALU_DEP_1) | instskip(NEXT) | instid1(VALU_DEP_1)
	v_subrev_nc_u32_e32 v45, 28, v43
	v_lshlrev_b64_e32 v[46:47], v45, v[24:25]
	s_delay_alu instid0(VALU_DEP_1)
	v_dual_sub_nc_u32 v43, 29, v43 :: v_dual_bitop2_b32 v24, 7, v46 bitop3:0x40
; %bb.38:                               ;   in Loop: Header=BB164_12 Depth=1
	s_or_b32 exec_lo, exec_lo, s45
	v_lshlrev_b32_e32 v44, 24, v44
	s_delay_alu instid0(VALU_DEP_2) | instskip(NEXT) | instid1(VALU_DEP_3)
	v_lshlrev_b32_e32 v24, 20, v24
	v_lshl_add_u32 v43, v43, 23, 0x3c000000
	s_delay_alu instid0(VALU_DEP_3) | instskip(NEXT) | instid1(VALU_DEP_1)
	v_and_b32_e32 v44, 0x80000000, v44
	v_or3_b32 v43, v24, v44, v43
.LBB164_39:                             ;   in Loop: Header=BB164_12 Depth=1
	s_or_b32 exec_lo, exec_lo, s44
.LBB164_40:                             ;   in Loop: Header=BB164_12 Depth=1
	s_delay_alu instid0(SALU_CYCLE_1)
	s_or_b32 exec_lo, exec_lo, s43
.LBB164_41:                             ;   in Loop: Header=BB164_12 Depth=1
	s_delay_alu instid0(SALU_CYCLE_1)
	s_or_b32 exec_lo, exec_lo, s42
	global_load_u8 v44, v[32:33], off offset:12
	s_mov_b32 s42, exec_lo
	s_wait_loadcnt 0x0
	v_cmpx_ne_u16_e32 0, v44
	s_cbranch_execz .LBB164_49
; %bb.42:                               ;   in Loop: Header=BB164_12 Depth=1
	v_bfrev_b32_e32 v42, 1
	s_mov_b32 s43, exec_lo
	v_cmpx_ne_u16_e32 0x80, v44
	s_cbranch_execz .LBB164_48
; %bb.43:                               ;   in Loop: Header=BB164_12 Depth=1
	v_and_b32_e32 v24, 0xffff, v44
	v_mov_b32_e32 v42, 0x7f800001
	s_mov_b32 s44, exec_lo
	s_delay_alu instid0(VALU_DEP_2) | instskip(NEXT) | instid1(VALU_DEP_1)
	v_and_b32_e32 v45, 0x7f, v24
	v_cmpx_ne_u32_e32 0x7f, v45
	s_cbranch_execz .LBB164_47
; %bb.44:                               ;   in Loop: Header=BB164_12 Depth=1
	v_dual_lshrrev_b32 v42, 3, v45 :: v_dual_bitop2_b32 v24, 7, v24 bitop3:0x40
	s_mov_b32 s45, exec_lo
	v_cmpx_gt_u32_e32 8, v45
; %bb.45:                               ;   in Loop: Header=BB164_12 Depth=1
	s_delay_alu instid0(VALU_DEP_2) | instskip(NEXT) | instid1(VALU_DEP_1)
	v_clz_i32_u32_e32 v42, v24
	v_min_u32_e32 v42, 32, v42
	s_delay_alu instid0(VALU_DEP_1) | instskip(SKIP_1) | instid1(VALU_DEP_2)
	v_subrev_nc_u32_e32 v45, 28, v42
	v_sub_nc_u32_e32 v42, 29, v42
	v_lshlrev_b64_e32 v[46:47], v45, v[24:25]
	s_delay_alu instid0(VALU_DEP_1)
	v_and_b32_e32 v24, 7, v46
; %bb.46:                               ;   in Loop: Header=BB164_12 Depth=1
	s_or_b32 exec_lo, exec_lo, s45
	v_lshlrev_b32_e32 v44, 24, v44
	s_delay_alu instid0(VALU_DEP_2) | instskip(SKIP_1) | instid1(VALU_DEP_3)
	v_lshlrev_b32_e32 v24, 20, v24
	v_lshl_add_u32 v42, v42, 23, 0x3c000000
	v_and_b32_e32 v44, 0x80000000, v44
	s_delay_alu instid0(VALU_DEP_1)
	v_or3_b32 v42, v24, v44, v42
.LBB164_47:                             ;   in Loop: Header=BB164_12 Depth=1
	s_or_b32 exec_lo, exec_lo, s44
.LBB164_48:                             ;   in Loop: Header=BB164_12 Depth=1
	s_delay_alu instid0(SALU_CYCLE_1)
	s_or_b32 exec_lo, exec_lo, s43
.LBB164_49:                             ;   in Loop: Header=BB164_12 Depth=1
	s_delay_alu instid0(SALU_CYCLE_1)
	s_or_b32 exec_lo, exec_lo, s42
	global_load_u8 v46, v[32:33], off offset:128
	v_dual_mov_b32 v44, 0 :: v_dual_mov_b32 v45, 0
	s_mov_b32 s42, exec_lo
	s_wait_loadcnt 0x0
	v_cmpx_ne_u16_e32 0, v46
	s_cbranch_execz .LBB164_57
; %bb.50:                               ;   in Loop: Header=BB164_12 Depth=1
	v_bfrev_b32_e32 v45, 1
	s_mov_b32 s43, exec_lo
	v_cmpx_ne_u16_e32 0x80, v46
	s_cbranch_execz .LBB164_56
; %bb.51:                               ;   in Loop: Header=BB164_12 Depth=1
	v_and_b32_e32 v24, 0xffff, v46
	v_mov_b32_e32 v45, 0x7f800001
	s_mov_b32 s44, exec_lo
	s_delay_alu instid0(VALU_DEP_2) | instskip(NEXT) | instid1(VALU_DEP_1)
	v_and_b32_e32 v47, 0x7f, v24
	v_cmpx_ne_u32_e32 0x7f, v47
	s_cbranch_execz .LBB164_55
; %bb.52:                               ;   in Loop: Header=BB164_12 Depth=1
	v_dual_lshrrev_b32 v45, 3, v47 :: v_dual_bitop2_b32 v24, 7, v24 bitop3:0x40
	s_mov_b32 s45, exec_lo
	v_cmpx_gt_u32_e32 8, v47
; %bb.53:                               ;   in Loop: Header=BB164_12 Depth=1
	s_delay_alu instid0(VALU_DEP_2) | instskip(NEXT) | instid1(VALU_DEP_1)
	v_clz_i32_u32_e32 v45, v24
	v_min_u32_e32 v45, 32, v45
	s_delay_alu instid0(VALU_DEP_1) | instskip(NEXT) | instid1(VALU_DEP_1)
	v_subrev_nc_u32_e32 v47, 28, v45
	v_lshlrev_b64_e32 v[48:49], v47, v[24:25]
	s_delay_alu instid0(VALU_DEP_1)
	v_dual_sub_nc_u32 v45, 29, v45 :: v_dual_bitop2_b32 v24, 7, v48 bitop3:0x40
; %bb.54:                               ;   in Loop: Header=BB164_12 Depth=1
	s_or_b32 exec_lo, exec_lo, s45
	s_delay_alu instid0(VALU_DEP_1) | instskip(NEXT) | instid1(VALU_DEP_2)
	v_dual_lshlrev_b32 v46, 24, v46 :: v_dual_lshlrev_b32 v24, 20, v24
	v_lshl_add_u32 v45, v45, 23, 0x3c000000
	s_delay_alu instid0(VALU_DEP_2) | instskip(NEXT) | instid1(VALU_DEP_1)
	v_and_b32_e32 v46, 0x80000000, v46
	v_or3_b32 v45, v24, v46, v45
.LBB164_55:                             ;   in Loop: Header=BB164_12 Depth=1
	s_or_b32 exec_lo, exec_lo, s44
.LBB164_56:                             ;   in Loop: Header=BB164_12 Depth=1
	s_delay_alu instid0(SALU_CYCLE_1)
	s_or_b32 exec_lo, exec_lo, s43
.LBB164_57:                             ;   in Loop: Header=BB164_12 Depth=1
	s_delay_alu instid0(SALU_CYCLE_1)
	s_or_b32 exec_lo, exec_lo, s42
	global_load_u8 v46, v[32:33], off offset:132
	s_mov_b32 s42, exec_lo
	s_wait_loadcnt 0x0
	v_cmpx_ne_u16_e32 0, v46
	s_cbranch_execz .LBB164_65
; %bb.58:                               ;   in Loop: Header=BB164_12 Depth=1
	v_bfrev_b32_e32 v44, 1
	s_mov_b32 s43, exec_lo
	v_cmpx_ne_u16_e32 0x80, v46
	s_cbranch_execz .LBB164_64
; %bb.59:                               ;   in Loop: Header=BB164_12 Depth=1
	v_and_b32_e32 v24, 0xffff, v46
	v_mov_b32_e32 v44, 0x7f800001
	s_mov_b32 s44, exec_lo
	s_delay_alu instid0(VALU_DEP_2) | instskip(NEXT) | instid1(VALU_DEP_1)
	v_and_b32_e32 v47, 0x7f, v24
	v_cmpx_ne_u32_e32 0x7f, v47
	s_cbranch_execz .LBB164_63
; %bb.60:                               ;   in Loop: Header=BB164_12 Depth=1
	v_dual_lshrrev_b32 v44, 3, v47 :: v_dual_bitop2_b32 v24, 7, v24 bitop3:0x40
	s_mov_b32 s45, exec_lo
	v_cmpx_gt_u32_e32 8, v47
; %bb.61:                               ;   in Loop: Header=BB164_12 Depth=1
	s_delay_alu instid0(VALU_DEP_2) | instskip(NEXT) | instid1(VALU_DEP_1)
	v_clz_i32_u32_e32 v44, v24
	v_min_u32_e32 v44, 32, v44
	s_delay_alu instid0(VALU_DEP_1) | instskip(SKIP_1) | instid1(VALU_DEP_2)
	v_subrev_nc_u32_e32 v47, 28, v44
	v_sub_nc_u32_e32 v44, 29, v44
	v_lshlrev_b64_e32 v[48:49], v47, v[24:25]
	s_delay_alu instid0(VALU_DEP_1)
	v_and_b32_e32 v24, 7, v48
; %bb.62:                               ;   in Loop: Header=BB164_12 Depth=1
	s_or_b32 exec_lo, exec_lo, s45
	s_delay_alu instid0(VALU_DEP_1) | instskip(SKIP_1) | instid1(VALU_DEP_2)
	v_dual_lshlrev_b32 v46, 24, v46 :: v_dual_lshlrev_b32 v24, 20, v24
	v_lshl_add_u32 v44, v44, 23, 0x3c000000
	v_and_b32_e32 v46, 0x80000000, v46
	s_delay_alu instid0(VALU_DEP_1)
	v_or3_b32 v44, v24, v46, v44
.LBB164_63:                             ;   in Loop: Header=BB164_12 Depth=1
	s_or_b32 exec_lo, exec_lo, s44
.LBB164_64:                             ;   in Loop: Header=BB164_12 Depth=1
	s_delay_alu instid0(SALU_CYCLE_1)
	s_or_b32 exec_lo, exec_lo, s43
.LBB164_65:                             ;   in Loop: Header=BB164_12 Depth=1
	s_delay_alu instid0(SALU_CYCLE_1)
	s_or_b32 exec_lo, exec_lo, s42
	global_load_u8 v48, v[32:33], off offset:136
	v_dual_mov_b32 v46, 0 :: v_dual_mov_b32 v47, 0
	s_mov_b32 s42, exec_lo
	s_wait_loadcnt 0x0
	v_cmpx_ne_u16_e32 0, v48
	s_cbranch_execz .LBB164_73
; %bb.66:                               ;   in Loop: Header=BB164_12 Depth=1
	v_bfrev_b32_e32 v47, 1
	s_mov_b32 s43, exec_lo
	v_cmpx_ne_u16_e32 0x80, v48
	s_cbranch_execz .LBB164_72
; %bb.67:                               ;   in Loop: Header=BB164_12 Depth=1
	v_and_b32_e32 v24, 0xffff, v48
	v_mov_b32_e32 v47, 0x7f800001
	s_mov_b32 s44, exec_lo
	s_delay_alu instid0(VALU_DEP_2) | instskip(NEXT) | instid1(VALU_DEP_1)
	v_and_b32_e32 v49, 0x7f, v24
	v_cmpx_ne_u32_e32 0x7f, v49
	s_cbranch_execz .LBB164_71
; %bb.68:                               ;   in Loop: Header=BB164_12 Depth=1
	v_dual_lshrrev_b32 v47, 3, v49 :: v_dual_bitop2_b32 v24, 7, v24 bitop3:0x40
	s_mov_b32 s45, exec_lo
	v_cmpx_gt_u32_e32 8, v49
; %bb.69:                               ;   in Loop: Header=BB164_12 Depth=1
	s_delay_alu instid0(VALU_DEP_2) | instskip(NEXT) | instid1(VALU_DEP_1)
	v_clz_i32_u32_e32 v47, v24
	v_min_u32_e32 v47, 32, v47
	s_delay_alu instid0(VALU_DEP_1) | instskip(NEXT) | instid1(VALU_DEP_1)
	v_subrev_nc_u32_e32 v49, 28, v47
	v_lshlrev_b64_e32 v[50:51], v49, v[24:25]
	s_delay_alu instid0(VALU_DEP_1)
	v_dual_sub_nc_u32 v47, 29, v47 :: v_dual_bitop2_b32 v24, 7, v50 bitop3:0x40
; %bb.70:                               ;   in Loop: Header=BB164_12 Depth=1
	s_or_b32 exec_lo, exec_lo, s45
	v_lshlrev_b32_e32 v48, 24, v48
	s_delay_alu instid0(VALU_DEP_2) | instskip(NEXT) | instid1(VALU_DEP_3)
	v_lshlrev_b32_e32 v24, 20, v24
	v_lshl_add_u32 v47, v47, 23, 0x3c000000
	s_delay_alu instid0(VALU_DEP_3) | instskip(NEXT) | instid1(VALU_DEP_1)
	v_and_b32_e32 v48, 0x80000000, v48
	v_or3_b32 v47, v24, v48, v47
.LBB164_71:                             ;   in Loop: Header=BB164_12 Depth=1
	s_or_b32 exec_lo, exec_lo, s44
.LBB164_72:                             ;   in Loop: Header=BB164_12 Depth=1
	s_delay_alu instid0(SALU_CYCLE_1)
	s_or_b32 exec_lo, exec_lo, s43
.LBB164_73:                             ;   in Loop: Header=BB164_12 Depth=1
	s_delay_alu instid0(SALU_CYCLE_1)
	s_or_b32 exec_lo, exec_lo, s42
	global_load_u8 v48, v[32:33], off offset:140
	s_mov_b32 s42, exec_lo
	s_wait_loadcnt 0x0
	v_cmpx_ne_u16_e32 0, v48
	s_cbranch_execz .LBB164_81
; %bb.74:                               ;   in Loop: Header=BB164_12 Depth=1
	v_bfrev_b32_e32 v46, 1
	s_mov_b32 s43, exec_lo
	v_cmpx_ne_u16_e32 0x80, v48
	s_cbranch_execz .LBB164_80
; %bb.75:                               ;   in Loop: Header=BB164_12 Depth=1
	v_and_b32_e32 v24, 0xffff, v48
	v_mov_b32_e32 v46, 0x7f800001
	s_mov_b32 s44, exec_lo
	s_delay_alu instid0(VALU_DEP_2) | instskip(NEXT) | instid1(VALU_DEP_1)
	v_and_b32_e32 v49, 0x7f, v24
	v_cmpx_ne_u32_e32 0x7f, v49
	s_cbranch_execz .LBB164_79
; %bb.76:                               ;   in Loop: Header=BB164_12 Depth=1
	v_dual_lshrrev_b32 v46, 3, v49 :: v_dual_bitop2_b32 v24, 7, v24 bitop3:0x40
	s_mov_b32 s45, exec_lo
	v_cmpx_gt_u32_e32 8, v49
; %bb.77:                               ;   in Loop: Header=BB164_12 Depth=1
	s_delay_alu instid0(VALU_DEP_2) | instskip(NEXT) | instid1(VALU_DEP_1)
	v_clz_i32_u32_e32 v46, v24
	v_min_u32_e32 v46, 32, v46
	s_delay_alu instid0(VALU_DEP_1) | instskip(SKIP_1) | instid1(VALU_DEP_2)
	v_subrev_nc_u32_e32 v49, 28, v46
	v_sub_nc_u32_e32 v46, 29, v46
	v_lshlrev_b64_e32 v[50:51], v49, v[24:25]
	s_delay_alu instid0(VALU_DEP_1)
	v_and_b32_e32 v24, 7, v50
; %bb.78:                               ;   in Loop: Header=BB164_12 Depth=1
	s_or_b32 exec_lo, exec_lo, s45
	v_lshlrev_b32_e32 v48, 24, v48
	s_delay_alu instid0(VALU_DEP_2) | instskip(SKIP_1) | instid1(VALU_DEP_3)
	v_lshlrev_b32_e32 v24, 20, v24
	v_lshl_add_u32 v46, v46, 23, 0x3c000000
	v_and_b32_e32 v48, 0x80000000, v48
	s_delay_alu instid0(VALU_DEP_1)
	v_or3_b32 v46, v24, v48, v46
.LBB164_79:                             ;   in Loop: Header=BB164_12 Depth=1
	s_or_b32 exec_lo, exec_lo, s44
.LBB164_80:                             ;   in Loop: Header=BB164_12 Depth=1
	s_delay_alu instid0(SALU_CYCLE_1)
	s_or_b32 exec_lo, exec_lo, s43
.LBB164_81:                             ;   in Loop: Header=BB164_12 Depth=1
	s_delay_alu instid0(SALU_CYCLE_1)
	s_or_b32 exec_lo, exec_lo, s42
	global_load_u8 v50, v[32:33], off offset:256
	v_dual_mov_b32 v48, 0 :: v_dual_mov_b32 v49, 0
	s_mov_b32 s42, exec_lo
	s_wait_loadcnt 0x0
	v_cmpx_ne_u16_e32 0, v50
	s_cbranch_execz .LBB164_89
; %bb.82:                               ;   in Loop: Header=BB164_12 Depth=1
	v_bfrev_b32_e32 v49, 1
	s_mov_b32 s43, exec_lo
	v_cmpx_ne_u16_e32 0x80, v50
	s_cbranch_execz .LBB164_88
; %bb.83:                               ;   in Loop: Header=BB164_12 Depth=1
	v_and_b32_e32 v24, 0xffff, v50
	v_mov_b32_e32 v49, 0x7f800001
	s_mov_b32 s44, exec_lo
	s_delay_alu instid0(VALU_DEP_2) | instskip(NEXT) | instid1(VALU_DEP_1)
	v_and_b32_e32 v51, 0x7f, v24
	v_cmpx_ne_u32_e32 0x7f, v51
	s_cbranch_execz .LBB164_87
; %bb.84:                               ;   in Loop: Header=BB164_12 Depth=1
	v_dual_lshrrev_b32 v49, 3, v51 :: v_dual_bitop2_b32 v24, 7, v24 bitop3:0x40
	s_mov_b32 s45, exec_lo
	v_cmpx_gt_u32_e32 8, v51
; %bb.85:                               ;   in Loop: Header=BB164_12 Depth=1
	s_delay_alu instid0(VALU_DEP_2) | instskip(NEXT) | instid1(VALU_DEP_1)
	v_clz_i32_u32_e32 v49, v24
	v_min_u32_e32 v49, 32, v49
	s_delay_alu instid0(VALU_DEP_1) | instskip(NEXT) | instid1(VALU_DEP_1)
	v_subrev_nc_u32_e32 v51, 28, v49
	v_lshlrev_b64_e32 v[52:53], v51, v[24:25]
	s_delay_alu instid0(VALU_DEP_1)
	v_dual_sub_nc_u32 v49, 29, v49 :: v_dual_bitop2_b32 v24, 7, v52 bitop3:0x40
; %bb.86:                               ;   in Loop: Header=BB164_12 Depth=1
	s_or_b32 exec_lo, exec_lo, s45
	s_delay_alu instid0(VALU_DEP_1) | instskip(NEXT) | instid1(VALU_DEP_2)
	v_dual_lshlrev_b32 v50, 24, v50 :: v_dual_lshlrev_b32 v24, 20, v24
	v_lshl_add_u32 v49, v49, 23, 0x3c000000
	s_delay_alu instid0(VALU_DEP_2) | instskip(NEXT) | instid1(VALU_DEP_1)
	v_and_b32_e32 v50, 0x80000000, v50
	v_or3_b32 v49, v24, v50, v49
.LBB164_87:                             ;   in Loop: Header=BB164_12 Depth=1
	s_or_b32 exec_lo, exec_lo, s44
.LBB164_88:                             ;   in Loop: Header=BB164_12 Depth=1
	s_delay_alu instid0(SALU_CYCLE_1)
	s_or_b32 exec_lo, exec_lo, s43
.LBB164_89:                             ;   in Loop: Header=BB164_12 Depth=1
	s_delay_alu instid0(SALU_CYCLE_1)
	s_or_b32 exec_lo, exec_lo, s42
	global_load_u8 v50, v[32:33], off offset:260
	s_mov_b32 s42, exec_lo
	s_wait_loadcnt 0x0
	v_cmpx_ne_u16_e32 0, v50
	s_cbranch_execz .LBB164_97
; %bb.90:                               ;   in Loop: Header=BB164_12 Depth=1
	v_bfrev_b32_e32 v48, 1
	s_mov_b32 s43, exec_lo
	v_cmpx_ne_u16_e32 0x80, v50
	s_cbranch_execz .LBB164_96
; %bb.91:                               ;   in Loop: Header=BB164_12 Depth=1
	v_and_b32_e32 v24, 0xffff, v50
	v_mov_b32_e32 v48, 0x7f800001
	s_mov_b32 s44, exec_lo
	s_delay_alu instid0(VALU_DEP_2) | instskip(NEXT) | instid1(VALU_DEP_1)
	v_and_b32_e32 v51, 0x7f, v24
	v_cmpx_ne_u32_e32 0x7f, v51
	s_cbranch_execz .LBB164_95
; %bb.92:                               ;   in Loop: Header=BB164_12 Depth=1
	v_dual_lshrrev_b32 v48, 3, v51 :: v_dual_bitop2_b32 v24, 7, v24 bitop3:0x40
	s_mov_b32 s45, exec_lo
	v_cmpx_gt_u32_e32 8, v51
; %bb.93:                               ;   in Loop: Header=BB164_12 Depth=1
	s_delay_alu instid0(VALU_DEP_2) | instskip(NEXT) | instid1(VALU_DEP_1)
	v_clz_i32_u32_e32 v48, v24
	v_min_u32_e32 v48, 32, v48
	s_delay_alu instid0(VALU_DEP_1) | instskip(SKIP_1) | instid1(VALU_DEP_2)
	v_subrev_nc_u32_e32 v51, 28, v48
	v_sub_nc_u32_e32 v48, 29, v48
	v_lshlrev_b64_e32 v[52:53], v51, v[24:25]
	s_delay_alu instid0(VALU_DEP_1)
	v_and_b32_e32 v24, 7, v52
; %bb.94:                               ;   in Loop: Header=BB164_12 Depth=1
	s_or_b32 exec_lo, exec_lo, s45
	s_delay_alu instid0(VALU_DEP_1) | instskip(SKIP_1) | instid1(VALU_DEP_2)
	v_dual_lshlrev_b32 v50, 24, v50 :: v_dual_lshlrev_b32 v24, 20, v24
	v_lshl_add_u32 v48, v48, 23, 0x3c000000
	v_and_b32_e32 v50, 0x80000000, v50
	s_delay_alu instid0(VALU_DEP_1)
	v_or3_b32 v48, v24, v50, v48
.LBB164_95:                             ;   in Loop: Header=BB164_12 Depth=1
	s_or_b32 exec_lo, exec_lo, s44
.LBB164_96:                             ;   in Loop: Header=BB164_12 Depth=1
	s_delay_alu instid0(SALU_CYCLE_1)
	s_or_b32 exec_lo, exec_lo, s43
.LBB164_97:                             ;   in Loop: Header=BB164_12 Depth=1
	s_delay_alu instid0(SALU_CYCLE_1)
	s_or_b32 exec_lo, exec_lo, s42
	global_load_u8 v52, v[32:33], off offset:264
	v_dual_mov_b32 v50, 0 :: v_dual_mov_b32 v51, 0
	s_mov_b32 s42, exec_lo
	s_wait_loadcnt 0x0
	v_cmpx_ne_u16_e32 0, v52
	s_cbranch_execz .LBB164_105
; %bb.98:                               ;   in Loop: Header=BB164_12 Depth=1
	v_bfrev_b32_e32 v51, 1
	s_mov_b32 s43, exec_lo
	v_cmpx_ne_u16_e32 0x80, v52
	s_cbranch_execz .LBB164_104
; %bb.99:                               ;   in Loop: Header=BB164_12 Depth=1
	v_and_b32_e32 v24, 0xffff, v52
	v_mov_b32_e32 v51, 0x7f800001
	s_mov_b32 s44, exec_lo
	s_delay_alu instid0(VALU_DEP_2) | instskip(NEXT) | instid1(VALU_DEP_1)
	v_and_b32_e32 v53, 0x7f, v24
	v_cmpx_ne_u32_e32 0x7f, v53
	s_cbranch_execz .LBB164_103
; %bb.100:                              ;   in Loop: Header=BB164_12 Depth=1
	v_dual_lshrrev_b32 v51, 3, v53 :: v_dual_bitop2_b32 v24, 7, v24 bitop3:0x40
	s_mov_b32 s45, exec_lo
	v_cmpx_gt_u32_e32 8, v53
; %bb.101:                              ;   in Loop: Header=BB164_12 Depth=1
	s_delay_alu instid0(VALU_DEP_2) | instskip(NEXT) | instid1(VALU_DEP_1)
	v_clz_i32_u32_e32 v51, v24
	v_min_u32_e32 v51, 32, v51
	s_delay_alu instid0(VALU_DEP_1) | instskip(NEXT) | instid1(VALU_DEP_1)
	v_subrev_nc_u32_e32 v53, 28, v51
	v_lshlrev_b64_e32 v[54:55], v53, v[24:25]
	s_delay_alu instid0(VALU_DEP_1)
	v_dual_sub_nc_u32 v51, 29, v51 :: v_dual_bitop2_b32 v24, 7, v54 bitop3:0x40
; %bb.102:                              ;   in Loop: Header=BB164_12 Depth=1
	s_or_b32 exec_lo, exec_lo, s45
	v_lshlrev_b32_e32 v52, 24, v52
	s_delay_alu instid0(VALU_DEP_2) | instskip(NEXT) | instid1(VALU_DEP_3)
	v_lshlrev_b32_e32 v24, 20, v24
	v_lshl_add_u32 v51, v51, 23, 0x3c000000
	s_delay_alu instid0(VALU_DEP_3) | instskip(NEXT) | instid1(VALU_DEP_1)
	v_and_b32_e32 v52, 0x80000000, v52
	v_or3_b32 v51, v24, v52, v51
.LBB164_103:                            ;   in Loop: Header=BB164_12 Depth=1
	s_or_b32 exec_lo, exec_lo, s44
.LBB164_104:                            ;   in Loop: Header=BB164_12 Depth=1
	s_delay_alu instid0(SALU_CYCLE_1)
	s_or_b32 exec_lo, exec_lo, s43
.LBB164_105:                            ;   in Loop: Header=BB164_12 Depth=1
	s_delay_alu instid0(SALU_CYCLE_1)
	s_or_b32 exec_lo, exec_lo, s42
	global_load_u8 v52, v[32:33], off offset:268
	s_mov_b32 s42, exec_lo
	s_wait_loadcnt 0x0
	v_cmpx_ne_u16_e32 0, v52
	s_cbranch_execz .LBB164_113
; %bb.106:                              ;   in Loop: Header=BB164_12 Depth=1
	v_bfrev_b32_e32 v50, 1
	s_mov_b32 s43, exec_lo
	v_cmpx_ne_u16_e32 0x80, v52
	s_cbranch_execz .LBB164_112
; %bb.107:                              ;   in Loop: Header=BB164_12 Depth=1
	v_and_b32_e32 v24, 0xffff, v52
	v_mov_b32_e32 v50, 0x7f800001
	s_mov_b32 s44, exec_lo
	s_delay_alu instid0(VALU_DEP_2) | instskip(NEXT) | instid1(VALU_DEP_1)
	v_and_b32_e32 v53, 0x7f, v24
	v_cmpx_ne_u32_e32 0x7f, v53
	s_cbranch_execz .LBB164_111
; %bb.108:                              ;   in Loop: Header=BB164_12 Depth=1
	v_dual_lshrrev_b32 v50, 3, v53 :: v_dual_bitop2_b32 v24, 7, v24 bitop3:0x40
	s_mov_b32 s45, exec_lo
	v_cmpx_gt_u32_e32 8, v53
; %bb.109:                              ;   in Loop: Header=BB164_12 Depth=1
	s_delay_alu instid0(VALU_DEP_2) | instskip(NEXT) | instid1(VALU_DEP_1)
	v_clz_i32_u32_e32 v50, v24
	v_min_u32_e32 v50, 32, v50
	s_delay_alu instid0(VALU_DEP_1) | instskip(SKIP_1) | instid1(VALU_DEP_2)
	v_subrev_nc_u32_e32 v53, 28, v50
	v_sub_nc_u32_e32 v50, 29, v50
	v_lshlrev_b64_e32 v[54:55], v53, v[24:25]
	s_delay_alu instid0(VALU_DEP_1)
	v_and_b32_e32 v24, 7, v54
; %bb.110:                              ;   in Loop: Header=BB164_12 Depth=1
	s_or_b32 exec_lo, exec_lo, s45
	v_lshlrev_b32_e32 v52, 24, v52
	s_delay_alu instid0(VALU_DEP_2) | instskip(SKIP_1) | instid1(VALU_DEP_3)
	v_lshlrev_b32_e32 v24, 20, v24
	v_lshl_add_u32 v50, v50, 23, 0x3c000000
	v_and_b32_e32 v52, 0x80000000, v52
	s_delay_alu instid0(VALU_DEP_1)
	v_or3_b32 v50, v24, v52, v50
.LBB164_111:                            ;   in Loop: Header=BB164_12 Depth=1
	s_or_b32 exec_lo, exec_lo, s44
.LBB164_112:                            ;   in Loop: Header=BB164_12 Depth=1
	s_delay_alu instid0(SALU_CYCLE_1)
	s_or_b32 exec_lo, exec_lo, s43
.LBB164_113:                            ;   in Loop: Header=BB164_12 Depth=1
	s_delay_alu instid0(SALU_CYCLE_1)
	s_or_b32 exec_lo, exec_lo, s42
	global_load_u8 v54, v[32:33], off offset:384
	v_dual_mov_b32 v52, 0 :: v_dual_mov_b32 v53, 0
	s_mov_b32 s42, exec_lo
	s_wait_loadcnt 0x0
	v_cmpx_ne_u16_e32 0, v54
	s_cbranch_execz .LBB164_121
; %bb.114:                              ;   in Loop: Header=BB164_12 Depth=1
	v_bfrev_b32_e32 v53, 1
	s_mov_b32 s43, exec_lo
	v_cmpx_ne_u16_e32 0x80, v54
	s_cbranch_execz .LBB164_120
; %bb.115:                              ;   in Loop: Header=BB164_12 Depth=1
	v_and_b32_e32 v24, 0xffff, v54
	v_mov_b32_e32 v53, 0x7f800001
	s_mov_b32 s44, exec_lo
	s_delay_alu instid0(VALU_DEP_2) | instskip(NEXT) | instid1(VALU_DEP_1)
	v_and_b32_e32 v55, 0x7f, v24
	v_cmpx_ne_u32_e32 0x7f, v55
	s_cbranch_execz .LBB164_119
; %bb.116:                              ;   in Loop: Header=BB164_12 Depth=1
	v_dual_lshrrev_b32 v53, 3, v55 :: v_dual_bitop2_b32 v24, 7, v24 bitop3:0x40
	s_mov_b32 s45, exec_lo
	v_cmpx_gt_u32_e32 8, v55
; %bb.117:                              ;   in Loop: Header=BB164_12 Depth=1
	s_delay_alu instid0(VALU_DEP_2) | instskip(NEXT) | instid1(VALU_DEP_1)
	v_clz_i32_u32_e32 v53, v24
	v_min_u32_e32 v53, 32, v53
	s_delay_alu instid0(VALU_DEP_1) | instskip(NEXT) | instid1(VALU_DEP_1)
	v_subrev_nc_u32_e32 v55, 28, v53
	v_lshlrev_b64_e32 v[56:57], v55, v[24:25]
	s_delay_alu instid0(VALU_DEP_1)
	v_dual_sub_nc_u32 v53, 29, v53 :: v_dual_bitop2_b32 v24, 7, v56 bitop3:0x40
; %bb.118:                              ;   in Loop: Header=BB164_12 Depth=1
	s_or_b32 exec_lo, exec_lo, s45
	s_delay_alu instid0(VALU_DEP_1) | instskip(NEXT) | instid1(VALU_DEP_2)
	v_dual_lshlrev_b32 v54, 24, v54 :: v_dual_lshlrev_b32 v24, 20, v24
	v_lshl_add_u32 v53, v53, 23, 0x3c000000
	s_delay_alu instid0(VALU_DEP_2) | instskip(NEXT) | instid1(VALU_DEP_1)
	v_and_b32_e32 v54, 0x80000000, v54
	v_or3_b32 v53, v24, v54, v53
.LBB164_119:                            ;   in Loop: Header=BB164_12 Depth=1
	s_or_b32 exec_lo, exec_lo, s44
.LBB164_120:                            ;   in Loop: Header=BB164_12 Depth=1
	s_delay_alu instid0(SALU_CYCLE_1)
	s_or_b32 exec_lo, exec_lo, s43
.LBB164_121:                            ;   in Loop: Header=BB164_12 Depth=1
	s_delay_alu instid0(SALU_CYCLE_1)
	s_or_b32 exec_lo, exec_lo, s42
	global_load_u8 v54, v[32:33], off offset:388
	s_mov_b32 s42, exec_lo
	s_wait_loadcnt 0x0
	v_cmpx_ne_u16_e32 0, v54
	s_cbranch_execz .LBB164_129
; %bb.122:                              ;   in Loop: Header=BB164_12 Depth=1
	v_bfrev_b32_e32 v52, 1
	s_mov_b32 s43, exec_lo
	v_cmpx_ne_u16_e32 0x80, v54
	s_cbranch_execz .LBB164_128
; %bb.123:                              ;   in Loop: Header=BB164_12 Depth=1
	v_and_b32_e32 v24, 0xffff, v54
	v_mov_b32_e32 v52, 0x7f800001
	s_mov_b32 s44, exec_lo
	s_delay_alu instid0(VALU_DEP_2) | instskip(NEXT) | instid1(VALU_DEP_1)
	v_and_b32_e32 v55, 0x7f, v24
	v_cmpx_ne_u32_e32 0x7f, v55
	s_cbranch_execz .LBB164_127
; %bb.124:                              ;   in Loop: Header=BB164_12 Depth=1
	v_dual_lshrrev_b32 v52, 3, v55 :: v_dual_bitop2_b32 v24, 7, v24 bitop3:0x40
	s_mov_b32 s45, exec_lo
	v_cmpx_gt_u32_e32 8, v55
; %bb.125:                              ;   in Loop: Header=BB164_12 Depth=1
	s_delay_alu instid0(VALU_DEP_2) | instskip(NEXT) | instid1(VALU_DEP_1)
	v_clz_i32_u32_e32 v52, v24
	v_min_u32_e32 v52, 32, v52
	s_delay_alu instid0(VALU_DEP_1) | instskip(SKIP_1) | instid1(VALU_DEP_2)
	v_subrev_nc_u32_e32 v55, 28, v52
	v_sub_nc_u32_e32 v52, 29, v52
	v_lshlrev_b64_e32 v[56:57], v55, v[24:25]
	s_delay_alu instid0(VALU_DEP_1)
	v_and_b32_e32 v24, 7, v56
; %bb.126:                              ;   in Loop: Header=BB164_12 Depth=1
	s_or_b32 exec_lo, exec_lo, s45
	s_delay_alu instid0(VALU_DEP_1) | instskip(SKIP_1) | instid1(VALU_DEP_2)
	v_dual_lshlrev_b32 v54, 24, v54 :: v_dual_lshlrev_b32 v24, 20, v24
	v_lshl_add_u32 v52, v52, 23, 0x3c000000
	v_and_b32_e32 v54, 0x80000000, v54
	s_delay_alu instid0(VALU_DEP_1)
	v_or3_b32 v52, v24, v54, v52
.LBB164_127:                            ;   in Loop: Header=BB164_12 Depth=1
	s_or_b32 exec_lo, exec_lo, s44
.LBB164_128:                            ;   in Loop: Header=BB164_12 Depth=1
	s_delay_alu instid0(SALU_CYCLE_1)
	s_or_b32 exec_lo, exec_lo, s43
.LBB164_129:                            ;   in Loop: Header=BB164_12 Depth=1
	s_delay_alu instid0(SALU_CYCLE_1)
	s_or_b32 exec_lo, exec_lo, s42
	global_load_u8 v56, v[32:33], off offset:392
	v_dual_mov_b32 v54, 0 :: v_dual_mov_b32 v55, 0
	s_mov_b32 s42, exec_lo
	s_wait_loadcnt 0x0
	v_cmpx_ne_u16_e32 0, v56
	s_cbranch_execz .LBB164_137
; %bb.130:                              ;   in Loop: Header=BB164_12 Depth=1
	v_bfrev_b32_e32 v55, 1
	s_mov_b32 s43, exec_lo
	v_cmpx_ne_u16_e32 0x80, v56
	s_cbranch_execz .LBB164_136
; %bb.131:                              ;   in Loop: Header=BB164_12 Depth=1
	v_and_b32_e32 v24, 0xffff, v56
	v_mov_b32_e32 v55, 0x7f800001
	s_mov_b32 s44, exec_lo
	s_delay_alu instid0(VALU_DEP_2) | instskip(NEXT) | instid1(VALU_DEP_1)
	v_and_b32_e32 v57, 0x7f, v24
	v_cmpx_ne_u32_e32 0x7f, v57
	s_cbranch_execz .LBB164_135
; %bb.132:                              ;   in Loop: Header=BB164_12 Depth=1
	v_dual_lshrrev_b32 v55, 3, v57 :: v_dual_bitop2_b32 v24, 7, v24 bitop3:0x40
	s_mov_b32 s45, exec_lo
	v_cmpx_gt_u32_e32 8, v57
; %bb.133:                              ;   in Loop: Header=BB164_12 Depth=1
	s_delay_alu instid0(VALU_DEP_2) | instskip(NEXT) | instid1(VALU_DEP_1)
	v_clz_i32_u32_e32 v55, v24
	v_min_u32_e32 v55, 32, v55
	s_delay_alu instid0(VALU_DEP_1) | instskip(NEXT) | instid1(VALU_DEP_1)
	v_subrev_nc_u32_e32 v57, 28, v55
	v_lshlrev_b64_e32 v[58:59], v57, v[24:25]
	s_delay_alu instid0(VALU_DEP_1)
	v_dual_sub_nc_u32 v55, 29, v55 :: v_dual_bitop2_b32 v24, 7, v58 bitop3:0x40
; %bb.134:                              ;   in Loop: Header=BB164_12 Depth=1
	s_or_b32 exec_lo, exec_lo, s45
	v_lshlrev_b32_e32 v56, 24, v56
	s_delay_alu instid0(VALU_DEP_2) | instskip(NEXT) | instid1(VALU_DEP_3)
	v_lshlrev_b32_e32 v24, 20, v24
	v_lshl_add_u32 v55, v55, 23, 0x3c000000
	s_delay_alu instid0(VALU_DEP_3) | instskip(NEXT) | instid1(VALU_DEP_1)
	v_and_b32_e32 v56, 0x80000000, v56
	v_or3_b32 v55, v24, v56, v55
.LBB164_135:                            ;   in Loop: Header=BB164_12 Depth=1
	s_or_b32 exec_lo, exec_lo, s44
.LBB164_136:                            ;   in Loop: Header=BB164_12 Depth=1
	s_delay_alu instid0(SALU_CYCLE_1)
	s_or_b32 exec_lo, exec_lo, s43
.LBB164_137:                            ;   in Loop: Header=BB164_12 Depth=1
	s_delay_alu instid0(SALU_CYCLE_1)
	s_or_b32 exec_lo, exec_lo, s42
	global_load_u8 v56, v[32:33], off offset:396
	s_mov_b32 s42, exec_lo
	s_wait_loadcnt 0x0
	v_cmpx_ne_u16_e32 0, v56
	s_cbranch_execz .LBB164_145
; %bb.138:                              ;   in Loop: Header=BB164_12 Depth=1
	v_bfrev_b32_e32 v54, 1
	s_mov_b32 s43, exec_lo
	v_cmpx_ne_u16_e32 0x80, v56
	s_cbranch_execz .LBB164_144
; %bb.139:                              ;   in Loop: Header=BB164_12 Depth=1
	v_and_b32_e32 v24, 0xffff, v56
	v_mov_b32_e32 v54, 0x7f800001
	s_mov_b32 s44, exec_lo
	s_delay_alu instid0(VALU_DEP_2) | instskip(NEXT) | instid1(VALU_DEP_1)
	v_and_b32_e32 v57, 0x7f, v24
	v_cmpx_ne_u32_e32 0x7f, v57
	s_cbranch_execz .LBB164_143
; %bb.140:                              ;   in Loop: Header=BB164_12 Depth=1
	v_dual_lshrrev_b32 v54, 3, v57 :: v_dual_bitop2_b32 v24, 7, v24 bitop3:0x40
	s_mov_b32 s45, exec_lo
	v_cmpx_gt_u32_e32 8, v57
; %bb.141:                              ;   in Loop: Header=BB164_12 Depth=1
	s_delay_alu instid0(VALU_DEP_2) | instskip(NEXT) | instid1(VALU_DEP_1)
	v_clz_i32_u32_e32 v54, v24
	v_min_u32_e32 v54, 32, v54
	s_delay_alu instid0(VALU_DEP_1) | instskip(SKIP_1) | instid1(VALU_DEP_2)
	v_subrev_nc_u32_e32 v57, 28, v54
	v_sub_nc_u32_e32 v54, 29, v54
	v_lshlrev_b64_e32 v[58:59], v57, v[24:25]
	s_delay_alu instid0(VALU_DEP_1)
	v_and_b32_e32 v24, 7, v58
; %bb.142:                              ;   in Loop: Header=BB164_12 Depth=1
	s_or_b32 exec_lo, exec_lo, s45
	v_lshlrev_b32_e32 v56, 24, v56
	s_delay_alu instid0(VALU_DEP_2) | instskip(SKIP_1) | instid1(VALU_DEP_3)
	v_lshlrev_b32_e32 v24, 20, v24
	v_lshl_add_u32 v54, v54, 23, 0x3c000000
	v_and_b32_e32 v56, 0x80000000, v56
	s_delay_alu instid0(VALU_DEP_1)
	v_or3_b32 v54, v24, v56, v54
.LBB164_143:                            ;   in Loop: Header=BB164_12 Depth=1
	s_or_b32 exec_lo, exec_lo, s44
.LBB164_144:                            ;   in Loop: Header=BB164_12 Depth=1
	s_delay_alu instid0(SALU_CYCLE_1)
	s_or_b32 exec_lo, exec_lo, s43
.LBB164_145:                            ;   in Loop: Header=BB164_12 Depth=1
	s_delay_alu instid0(SALU_CYCLE_1)
	s_or_b32 exec_lo, exec_lo, s42
	global_load_u8 v58, v[32:33], off offset:512
	v_dual_mov_b32 v56, 0 :: v_dual_mov_b32 v57, 0
	s_mov_b32 s42, exec_lo
	s_wait_loadcnt 0x0
	v_cmpx_ne_u16_e32 0, v58
	s_cbranch_execz .LBB164_153
; %bb.146:                              ;   in Loop: Header=BB164_12 Depth=1
	v_bfrev_b32_e32 v57, 1
	s_mov_b32 s43, exec_lo
	v_cmpx_ne_u16_e32 0x80, v58
	s_cbranch_execz .LBB164_152
; %bb.147:                              ;   in Loop: Header=BB164_12 Depth=1
	v_and_b32_e32 v24, 0xffff, v58
	v_mov_b32_e32 v57, 0x7f800001
	s_mov_b32 s44, exec_lo
	s_delay_alu instid0(VALU_DEP_2) | instskip(NEXT) | instid1(VALU_DEP_1)
	v_and_b32_e32 v59, 0x7f, v24
	v_cmpx_ne_u32_e32 0x7f, v59
	s_cbranch_execz .LBB164_151
; %bb.148:                              ;   in Loop: Header=BB164_12 Depth=1
	v_dual_lshrrev_b32 v57, 3, v59 :: v_dual_bitop2_b32 v24, 7, v24 bitop3:0x40
	s_mov_b32 s45, exec_lo
	v_cmpx_gt_u32_e32 8, v59
; %bb.149:                              ;   in Loop: Header=BB164_12 Depth=1
	s_delay_alu instid0(VALU_DEP_2) | instskip(NEXT) | instid1(VALU_DEP_1)
	v_clz_i32_u32_e32 v57, v24
	v_min_u32_e32 v57, 32, v57
	s_delay_alu instid0(VALU_DEP_1) | instskip(NEXT) | instid1(VALU_DEP_1)
	v_subrev_nc_u32_e32 v59, 28, v57
	v_lshlrev_b64_e32 v[60:61], v59, v[24:25]
	s_delay_alu instid0(VALU_DEP_1)
	v_dual_sub_nc_u32 v57, 29, v57 :: v_dual_bitop2_b32 v24, 7, v60 bitop3:0x40
; %bb.150:                              ;   in Loop: Header=BB164_12 Depth=1
	s_or_b32 exec_lo, exec_lo, s45
	s_delay_alu instid0(VALU_DEP_1) | instskip(NEXT) | instid1(VALU_DEP_2)
	v_dual_lshlrev_b32 v58, 24, v58 :: v_dual_lshlrev_b32 v24, 20, v24
	v_lshl_add_u32 v57, v57, 23, 0x3c000000
	s_delay_alu instid0(VALU_DEP_2) | instskip(NEXT) | instid1(VALU_DEP_1)
	v_and_b32_e32 v58, 0x80000000, v58
	v_or3_b32 v57, v24, v58, v57
.LBB164_151:                            ;   in Loop: Header=BB164_12 Depth=1
	s_or_b32 exec_lo, exec_lo, s44
.LBB164_152:                            ;   in Loop: Header=BB164_12 Depth=1
	s_delay_alu instid0(SALU_CYCLE_1)
	s_or_b32 exec_lo, exec_lo, s43
.LBB164_153:                            ;   in Loop: Header=BB164_12 Depth=1
	s_delay_alu instid0(SALU_CYCLE_1)
	s_or_b32 exec_lo, exec_lo, s42
	global_load_u8 v58, v[32:33], off offset:516
	s_mov_b32 s42, exec_lo
	s_wait_loadcnt 0x0
	v_cmpx_ne_u16_e32 0, v58
	s_cbranch_execz .LBB164_161
; %bb.154:                              ;   in Loop: Header=BB164_12 Depth=1
	v_bfrev_b32_e32 v56, 1
	s_mov_b32 s43, exec_lo
	v_cmpx_ne_u16_e32 0x80, v58
	s_cbranch_execz .LBB164_160
; %bb.155:                              ;   in Loop: Header=BB164_12 Depth=1
	v_and_b32_e32 v24, 0xffff, v58
	v_mov_b32_e32 v56, 0x7f800001
	s_mov_b32 s44, exec_lo
	s_delay_alu instid0(VALU_DEP_2) | instskip(NEXT) | instid1(VALU_DEP_1)
	v_and_b32_e32 v59, 0x7f, v24
	v_cmpx_ne_u32_e32 0x7f, v59
	s_cbranch_execz .LBB164_159
; %bb.156:                              ;   in Loop: Header=BB164_12 Depth=1
	v_dual_lshrrev_b32 v56, 3, v59 :: v_dual_bitop2_b32 v24, 7, v24 bitop3:0x40
	s_mov_b32 s45, exec_lo
	v_cmpx_gt_u32_e32 8, v59
; %bb.157:                              ;   in Loop: Header=BB164_12 Depth=1
	s_delay_alu instid0(VALU_DEP_2) | instskip(NEXT) | instid1(VALU_DEP_1)
	v_clz_i32_u32_e32 v56, v24
	v_min_u32_e32 v56, 32, v56
	s_delay_alu instid0(VALU_DEP_1) | instskip(SKIP_1) | instid1(VALU_DEP_2)
	v_subrev_nc_u32_e32 v59, 28, v56
	v_sub_nc_u32_e32 v56, 29, v56
	v_lshlrev_b64_e32 v[60:61], v59, v[24:25]
	s_delay_alu instid0(VALU_DEP_1)
	v_and_b32_e32 v24, 7, v60
; %bb.158:                              ;   in Loop: Header=BB164_12 Depth=1
	s_or_b32 exec_lo, exec_lo, s45
	s_delay_alu instid0(VALU_DEP_1) | instskip(SKIP_1) | instid1(VALU_DEP_2)
	v_dual_lshlrev_b32 v58, 24, v58 :: v_dual_lshlrev_b32 v24, 20, v24
	v_lshl_add_u32 v56, v56, 23, 0x3c000000
	v_and_b32_e32 v58, 0x80000000, v58
	s_delay_alu instid0(VALU_DEP_1)
	v_or3_b32 v56, v24, v58, v56
.LBB164_159:                            ;   in Loop: Header=BB164_12 Depth=1
	s_or_b32 exec_lo, exec_lo, s44
.LBB164_160:                            ;   in Loop: Header=BB164_12 Depth=1
	s_delay_alu instid0(SALU_CYCLE_1)
	s_or_b32 exec_lo, exec_lo, s43
.LBB164_161:                            ;   in Loop: Header=BB164_12 Depth=1
	s_delay_alu instid0(SALU_CYCLE_1)
	s_or_b32 exec_lo, exec_lo, s42
	global_load_u8 v60, v[32:33], off offset:520
	v_dual_mov_b32 v58, 0 :: v_dual_mov_b32 v59, 0
	s_mov_b32 s42, exec_lo
	s_wait_loadcnt 0x0
	v_cmpx_ne_u16_e32 0, v60
	s_cbranch_execz .LBB164_169
; %bb.162:                              ;   in Loop: Header=BB164_12 Depth=1
	v_bfrev_b32_e32 v59, 1
	s_mov_b32 s43, exec_lo
	v_cmpx_ne_u16_e32 0x80, v60
	s_cbranch_execz .LBB164_168
; %bb.163:                              ;   in Loop: Header=BB164_12 Depth=1
	v_and_b32_e32 v24, 0xffff, v60
	v_mov_b32_e32 v59, 0x7f800001
	s_mov_b32 s44, exec_lo
	s_delay_alu instid0(VALU_DEP_2) | instskip(NEXT) | instid1(VALU_DEP_1)
	v_and_b32_e32 v61, 0x7f, v24
	v_cmpx_ne_u32_e32 0x7f, v61
	s_cbranch_execz .LBB164_167
; %bb.164:                              ;   in Loop: Header=BB164_12 Depth=1
	v_dual_lshrrev_b32 v59, 3, v61 :: v_dual_bitop2_b32 v24, 7, v24 bitop3:0x40
	s_mov_b32 s45, exec_lo
	v_cmpx_gt_u32_e32 8, v61
; %bb.165:                              ;   in Loop: Header=BB164_12 Depth=1
	s_delay_alu instid0(VALU_DEP_2) | instskip(NEXT) | instid1(VALU_DEP_1)
	v_clz_i32_u32_e32 v59, v24
	v_min_u32_e32 v59, 32, v59
	s_delay_alu instid0(VALU_DEP_1) | instskip(NEXT) | instid1(VALU_DEP_1)
	v_subrev_nc_u32_e32 v61, 28, v59
	v_lshlrev_b64_e32 v[62:63], v61, v[24:25]
	s_delay_alu instid0(VALU_DEP_1)
	v_dual_sub_nc_u32 v59, 29, v59 :: v_dual_bitop2_b32 v24, 7, v62 bitop3:0x40
; %bb.166:                              ;   in Loop: Header=BB164_12 Depth=1
	s_or_b32 exec_lo, exec_lo, s45
	v_lshlrev_b32_e32 v60, 24, v60
	s_delay_alu instid0(VALU_DEP_2) | instskip(NEXT) | instid1(VALU_DEP_3)
	v_lshlrev_b32_e32 v24, 20, v24
	v_lshl_add_u32 v59, v59, 23, 0x3c000000
	s_delay_alu instid0(VALU_DEP_3) | instskip(NEXT) | instid1(VALU_DEP_1)
	v_and_b32_e32 v60, 0x80000000, v60
	v_or3_b32 v59, v24, v60, v59
.LBB164_167:                            ;   in Loop: Header=BB164_12 Depth=1
	s_or_b32 exec_lo, exec_lo, s44
.LBB164_168:                            ;   in Loop: Header=BB164_12 Depth=1
	s_delay_alu instid0(SALU_CYCLE_1)
	s_or_b32 exec_lo, exec_lo, s43
.LBB164_169:                            ;   in Loop: Header=BB164_12 Depth=1
	s_delay_alu instid0(SALU_CYCLE_1)
	s_or_b32 exec_lo, exec_lo, s42
	global_load_u8 v32, v[32:33], off offset:524
	s_mov_b32 s42, exec_lo
	s_wait_loadcnt 0x0
	v_cmpx_ne_u16_e32 0, v32
	s_cbranch_execz .LBB164_177
; %bb.170:                              ;   in Loop: Header=BB164_12 Depth=1
	v_bfrev_b32_e32 v58, 1
	s_mov_b32 s43, exec_lo
	v_cmpx_ne_u16_e32 0x80, v32
	s_cbranch_execz .LBB164_176
; %bb.171:                              ;   in Loop: Header=BB164_12 Depth=1
	v_and_b32_e32 v24, 0xffff, v32
	v_mov_b32_e32 v58, 0x7f800001
	s_mov_b32 s44, exec_lo
	s_delay_alu instid0(VALU_DEP_2) | instskip(NEXT) | instid1(VALU_DEP_1)
	v_and_b32_e32 v60, 0x7f, v24
	v_cmpx_ne_u32_e32 0x7f, v60
	s_cbranch_execz .LBB164_175
; %bb.172:                              ;   in Loop: Header=BB164_12 Depth=1
	v_and_b32_e32 v24, 7, v24
	v_lshrrev_b32_e32 v33, 3, v60
	s_mov_b32 s45, exec_lo
	v_cmpx_gt_u32_e32 8, v60
; %bb.173:                              ;   in Loop: Header=BB164_12 Depth=1
	s_delay_alu instid0(VALU_DEP_3) | instskip(NEXT) | instid1(VALU_DEP_1)
	v_clz_i32_u32_e32 v33, v24
	v_min_u32_e32 v33, 32, v33
	s_delay_alu instid0(VALU_DEP_1) | instskip(NEXT) | instid1(VALU_DEP_1)
	v_subrev_nc_u32_e32 v58, 28, v33
	v_lshlrev_b64_e32 v[60:61], v58, v[24:25]
	s_delay_alu instid0(VALU_DEP_1)
	v_dual_sub_nc_u32 v33, 29, v33 :: v_dual_bitop2_b32 v24, 7, v60 bitop3:0x40
; %bb.174:                              ;   in Loop: Header=BB164_12 Depth=1
	s_or_b32 exec_lo, exec_lo, s45
	v_lshlrev_b32_e32 v32, 24, v32
	s_delay_alu instid0(VALU_DEP_2) | instskip(NEXT) | instid1(VALU_DEP_3)
	v_lshlrev_b32_e32 v24, 20, v24
	v_lshl_add_u32 v33, v33, 23, 0x3c000000
	s_delay_alu instid0(VALU_DEP_3) | instskip(NEXT) | instid1(VALU_DEP_1)
	v_and_b32_e32 v32, 0x80000000, v32
	v_or3_b32 v58, v24, v32, v33
.LBB164_175:                            ;   in Loop: Header=BB164_12 Depth=1
	s_or_b32 exec_lo, exec_lo, s44
.LBB164_176:                            ;   in Loop: Header=BB164_12 Depth=1
	s_delay_alu instid0(SALU_CYCLE_1)
	s_or_b32 exec_lo, exec_lo, s43
.LBB164_177:                            ;   in Loop: Header=BB164_12 Depth=1
	s_delay_alu instid0(SALU_CYCLE_1) | instskip(SKIP_3) | instid1(VALU_DEP_1)
	s_or_b32 exec_lo, exec_lo, s42
	s_wait_kmcnt 0x0
	v_dual_mul_f32 v24, s41, v27 :: v_dual_mul_f32 v27, s41, v41
	s_wait_dscnt 0x4
	v_dual_mul_f32 v19, v19, v24 :: v_dual_mul_f32 v24, s41, v43
	s_delay_alu instid0(VALU_DEP_1) | instskip(NEXT) | instid1(VALU_DEP_1)
	v_dual_fmac_f32 v19, v18, v27 :: v_dual_mul_f32 v18, s41, v42
	v_dual_fmac_f32 v19, v20, v24 :: v_dual_mul_f32 v20, s41, v45
	s_delay_alu instid0(VALU_DEP_1) | instskip(SKIP_1) | instid1(VALU_DEP_1)
	v_dual_fmac_f32 v19, v21, v18 :: v_dual_mul_f32 v18, s41, v44
	s_wait_dscnt 0x3
	v_dual_fmac_f32 v19, v14, v20 :: v_dual_mul_f32 v14, s41, v47
	s_delay_alu instid0(VALU_DEP_1) | instskip(SKIP_1) | instid1(VALU_DEP_2)
	v_fmac_f32_e32 v19, v15, v18
	v_mul_f32_e32 v15, s41, v46
	v_dual_fmac_f32 v19, v16, v14 :: v_dual_mul_f32 v14, s41, v49
	s_delay_alu instid0(VALU_DEP_1) | instskip(SKIP_1) | instid1(VALU_DEP_1)
	v_dual_fmac_f32 v19, v17, v15 :: v_dual_mul_f32 v15, s41, v48
	s_wait_dscnt 0x2
	v_dual_fmac_f32 v19, v10, v14 :: v_dual_mul_f32 v10, s41, v51
	s_delay_alu instid0(VALU_DEP_1) | instskip(NEXT) | instid1(VALU_DEP_1)
	v_dual_fmac_f32 v19, v11, v15 :: v_dual_mul_f32 v11, s41, v50
	v_dual_fmac_f32 v19, v12, v10 :: v_dual_mul_f32 v10, s41, v53
	s_delay_alu instid0(VALU_DEP_1) | instskip(SKIP_1) | instid1(VALU_DEP_1)
	v_dual_fmac_f32 v19, v13, v11 :: v_dual_mul_f32 v11, s41, v52
	s_wait_dscnt 0x1
	v_dual_fmac_f32 v19, v6, v10 :: v_dual_mul_f32 v6, s41, v55
	s_delay_alu instid0(VALU_DEP_1) | instskip(NEXT) | instid1(VALU_DEP_1)
	v_dual_fmac_f32 v19, v7, v11 :: v_dual_mul_f32 v7, s41, v54
	v_dual_fmac_f32 v19, v8, v6 :: v_dual_mul_f32 v6, s41, v57
	s_delay_alu instid0(VALU_DEP_1) | instskip(SKIP_1) | instid1(VALU_DEP_1)
	v_dual_fmac_f32 v19, v9, v7 :: v_dual_mul_f32 v7, s41, v56
	s_wait_dscnt 0x0
	v_fmac_f32_e32 v19, v2, v6
	v_dual_mul_f32 v6, s41, v59 :: v_dual_bitop2_b32 v2, 2, v34 bitop3:0x14
	s_delay_alu instid0(VALU_DEP_1) | instskip(NEXT) | instid1(VALU_DEP_3)
	v_cmp_gt_i32_e64 s4, 32, v2
	v_dual_fmac_f32 v19, v3, v7 :: v_dual_mul_f32 v3, s41, v58
	s_delay_alu instid0(VALU_DEP_2) | instskip(NEXT) | instid1(VALU_DEP_2)
	v_cndmask_b32_e64 v2, v34, v2, s4
	v_fmac_f32_e32 v19, v4, v6
	s_delay_alu instid0(VALU_DEP_1) | instskip(SKIP_3) | instid1(VALU_DEP_1)
	v_dual_fmac_f32 v19, v5, v3 :: v_dual_lshlrev_b32 v2, 2, v2
	v_xor_b32_e32 v3, 1, v34
	ds_bpermute_b32 v2, v2, v19
	v_cmp_gt_i32_e64 s4, 32, v3
	v_cndmask_b32_e64 v3, v34, v3, s4
	s_wait_dscnt 0x0
	s_delay_alu instid0(VALU_DEP_1)
	v_dual_add_f32 v2, v19, v2 :: v_dual_lshlrev_b32 v3, 2, v3
	ds_bpermute_b32 v3, v3, v2
	s_and_saveexec_b32 s41, s3
	s_cbranch_execz .LBB164_10
; %bb.178:                              ;   in Loop: Header=BB164_12 Depth=1
	v_add_nc_u32_e32 v4, v38, v26
	s_wait_dscnt 0x0
	v_add_f32_e32 v2, v2, v3
	s_delay_alu instid0(VALU_DEP_2) | instskip(NEXT) | instid1(VALU_DEP_1)
	v_cvt_f32_i32_e32 v4, v4
	v_mul_f32_e32 v4, s36, v4
	s_delay_alu instid0(VALU_DEP_1) | instskip(NEXT) | instid1(VALU_DEP_1)
	v_dual_cndmask_b32 v3, 0, v4 :: v_dual_max_num_f32 v4, v37, v37
	v_fmac_f32_e32 v3, s27, v2
	v_add_nc_u32_e32 v2, v35, v26
	s_delay_alu instid0(VALU_DEP_1) | instskip(NEXT) | instid1(VALU_DEP_3)
	v_cmp_gt_i32_e64 s4, s34, v2
	v_max_num_f32_e32 v4, v4, v3
	s_delay_alu instid0(VALU_DEP_1)
	v_dual_cndmask_b32 v37, v37, v4, s4 :: v_dual_cndmask_b32 v2, 0, v3, s4
	ds_store_b32 v39, v2
	s_branch .LBB164_10
.LBB164_179:
	s_or_b32 exec_lo, exec_lo, s40
.LBB164_180:
	s_delay_alu instid0(SALU_CYCLE_1)
	s_or_b32 exec_lo, exec_lo, s37
	v_dual_max_num_f32 v5, v37, v37 :: v_dual_bitop2_b32 v2, 16, v34 bitop3:0x14
	v_xor_b32_e32 v4, 8, v34
	s_clause 0x1
	s_load_b64 s[4:5], s[0:1], 0x0
	s_load_b64 s[8:9], s[0:1], 0x18
	v_and_b32_e32 v42, 31, v0
	v_cmp_gt_i32_e32 vcc_lo, 32, v2
	v_cndmask_b32_e32 v2, v34, v2, vcc_lo
	v_cmp_gt_i32_e32 vcc_lo, 32, v4
	s_delay_alu instid0(VALU_DEP_2) | instskip(SKIP_4) | instid1(VALU_DEP_1)
	v_dual_cndmask_b32 v4, v34, v4, vcc_lo :: v_dual_lshlrev_b32 v2, 2, v2
	s_wait_dscnt 0x0
	ds_bpermute_b32 v3, v2, v37
	s_wait_dscnt 0x0
	v_dual_max_num_f32 v6, v3, v3 :: v_dual_lshlrev_b32 v3, 2, v4
	v_max_num_f32_e32 v4, v5, v6
	ds_bpermute_b32 v5, v3, v4
	s_wait_dscnt 0x0
	v_dual_max_num_f32 v5, v5, v5 :: v_dual_bitop2_b32 v6, 4, v34 bitop3:0x14
	s_delay_alu instid0(VALU_DEP_1) | instskip(NEXT) | instid1(VALU_DEP_2)
	v_max_num_f32_e32 v5, v4, v5
	v_cmp_gt_i32_e32 vcc_lo, 32, v6
	v_dual_lshlrev_b32 v4, 2, v1 :: v_dual_cndmask_b32 v6, v34, v6, vcc_lo
	v_cmp_eq_u32_e32 vcc_lo, 0, v42
	s_delay_alu instid0(VALU_DEP_2)
	v_lshlrev_b32_e32 v6, 2, v6
	ds_bpermute_b32 v7, v6, v5
	s_wait_xcnt 0x0
	s_and_saveexec_b32 s0, vcc_lo
	s_cbranch_execz .LBB164_182
; %bb.181:
	s_wait_dscnt 0x0
	v_dual_max_num_f32 v7, v7, v7 :: v_dual_max_num_f32 v5, v5, v5
	s_delay_alu instid0(VALU_DEP_1)
	v_max_num_f32_e32 v5, v5, v7
	ds_store_b32 v4, v5 offset:320
.LBB164_182:
	s_or_b32 exec_lo, exec_lo, s0
	v_cmp_gt_u32_e64 s0, 4, v42
	v_dual_mov_b32 v8, 0xff7fffff :: v_dual_lshlrev_b32 v5, 2, v42
	s_wait_dscnt 0x0
	s_barrier_signal -1
	s_barrier_wait -1
	s_and_saveexec_b32 s1, s0
; %bb.183:
	ds_load_b32 v8, v5 offset:320
; %bb.184:
	s_or_b32 exec_lo, exec_lo, s1
	v_xor_b32_e32 v7, 2, v34
	v_xor_b32_e32 v10, 1, v34
	s_delay_alu instid0(VALU_DEP_2) | instskip(NEXT) | instid1(VALU_DEP_1)
	v_cmp_gt_i32_e64 s1, 32, v7
	v_cndmask_b32_e64 v7, v34, v7, s1
	s_delay_alu instid0(VALU_DEP_3) | instskip(NEXT) | instid1(VALU_DEP_1)
	v_cmp_gt_i32_e64 s1, 32, v10
	v_dual_lshlrev_b32 v7, 2, v7 :: v_dual_cndmask_b32 v10, v34, v10, s1
	s_lshl_b32 s1, s12, 3
	s_delay_alu instid0(SALU_CYCLE_1)
	s_min_i32 s19, s1, s34
	s_wait_dscnt 0x0
	ds_bpermute_b32 v9, v7, v8
	v_max_num_f32_e32 v8, v8, v8
	v_cmp_gt_i32_e64 s1, s19, v0
	s_wait_dscnt 0x0
	v_dual_lshlrev_b32 v43, 2, v10 :: v_dual_max_num_f32 v9, v9, v9
	s_delay_alu instid0(VALU_DEP_1) | instskip(SKIP_3) | instid1(VALU_DEP_1)
	v_max_num_f32_e32 v8, v8, v9
	ds_bpermute_b32 v9, v43, v8
	s_wait_dscnt 0x0
	v_max_num_f32_e32 v9, v9, v9
	v_dual_max_num_f32 v9, v8, v9 :: v_dual_mov_b32 v8, 0
	ds_bpermute_b32 v9, v8, v9
	s_and_saveexec_b32 s27, s1
	s_cbranch_execz .LBB164_188
; %bb.185:
	v_lshl_add_u32 v10, v0, 2, 0x160
	v_dual_mov_b32 v8, 0 :: v_dual_mov_b32 v11, v0
	s_mov_b32 s28, 0
.LBB164_186:                            ; =>This Inner Loop Header: Depth=1
	ds_load_b32 v12, v10
	v_add_nc_u32_e32 v11, 0x80, v11
	s_delay_alu instid0(VALU_DEP_1) | instskip(SKIP_3) | instid1(VALU_DEP_1)
	v_cmp_le_i32_e64 s3, s19, v11
	s_or_b32 s28, s3, s28
	s_wait_dscnt 0x0
	v_sub_f32_e32 v12, v12, v9
	v_mul_f32_e32 v12, 0x3fb8aa3b, v12
	s_delay_alu instid0(VALU_DEP_1)
	v_exp_f32_e32 v12, v12
	ds_store_b32 v10, v12
	v_nop
	v_add_f32_e32 v8, v8, v12
	v_add_nc_u32_e32 v10, 0x200, v10
	s_and_not1_b32 exec_lo, exec_lo, s28
	s_cbranch_execnz .LBB164_186
; %bb.187:
	s_or_b32 exec_lo, exec_lo, s28
.LBB164_188:
	s_delay_alu instid0(SALU_CYCLE_1)
	s_or_b32 exec_lo, exec_lo, s27
	ds_bpermute_b32 v2, v2, v8
	s_wait_dscnt 0x0
	v_add_f32_e32 v2, v8, v2
	ds_bpermute_b32 v3, v3, v2
	s_wait_dscnt 0x0
	v_add_f32_e32 v2, v2, v3
	;; [unrolled: 3-line block ×5, first 2 shown]
	s_and_saveexec_b32 s3, vcc_lo
; %bb.189:
	ds_store_b32 v4, v2 offset:336
; %bb.190:
	s_or_b32 exec_lo, exec_lo, s3
	s_wait_dscnt 0x0
	s_barrier_signal -1
	s_barrier_wait -1
	s_and_saveexec_b32 s3, s0
; %bb.191:
	ds_load_b32 v2, v5 offset:336
; %bb.192:
	s_or_b32 exec_lo, exec_lo, s3
	s_wait_dscnt 0x0
	ds_bpermute_b32 v3, v7, v2
	s_wait_dscnt 0x0
	v_dual_mov_b32 v7, 0 :: v_dual_add_f32 v2, v2, v3
	ds_bpermute_b32 v3, v43, v2
	s_wait_dscnt 0x0
	v_add_f32_e32 v2, v2, v3
	ds_bpermute_b32 v2, v7, v2
	s_and_saveexec_b32 s0, s1
	s_cbranch_execz .LBB164_205
; %bb.193:
	s_wait_dscnt 0x0
	v_add_f32_e32 v2, 0x358637bd, v2
	s_mov_b32 s3, -1
	s_mov_b32 s1, exec_lo
	s_delay_alu instid0(VALU_DEP_1) | instskip(NEXT) | instid1(VALU_DEP_1)
	v_div_scale_f32 v3, null, v2, v2, 1.0
	v_rcp_f32_e32 v5, v3
	v_nop
	s_delay_alu instid0(TRANS32_DEP_1) | instskip(NEXT) | instid1(VALU_DEP_1)
	v_fma_f32 v4, -v3, v5, 1.0
	v_fmac_f32_e32 v5, v4, v5
	v_div_scale_f32 v6, vcc_lo, 1.0, v2, 1.0
	s_delay_alu instid0(VALU_DEP_1) | instskip(NEXT) | instid1(VALU_DEP_1)
	v_mul_f32_e32 v8, v6, v5
	v_fma_f32 v4, -v3, v8, v6
	s_delay_alu instid0(VALU_DEP_1) | instskip(SKIP_1) | instid1(VALU_DEP_2)
	v_fmac_f32_e32 v8, v4, v5
	v_xad_u32 v4, v0, -1, s19
	v_fma_f32 v3, -v3, v8, v6
	s_delay_alu instid0(VALU_DEP_1) | instskip(NEXT) | instid1(VALU_DEP_1)
	v_div_fmas_f32 v3, v3, v5, v8
	v_div_fixup_f32 v2, v3, v2, 1.0
	v_mov_b32_e32 v3, v0
	v_cmpx_lt_u32_e32 0x7f, v4
	s_cbranch_execz .LBB164_202
; %bb.194:
	s_delay_alu instid0(VALU_DEP_3) | instskip(NEXT) | instid1(VALU_DEP_1)
	v_dual_mov_b32 v3, v2 :: v_dual_lshrrev_b32 v4, 7, v4
	v_dual_mov_b32 v9, 0 :: v_dual_add_nc_u32 v5, -1, v4
	s_delay_alu instid0(VALU_DEP_1) | instskip(SKIP_1) | instid1(VALU_DEP_2)
	v_lshrrev_b32_e32 v6, 1, v5
	v_cmp_lt_u32_e32 vcc_lo, 13, v5
	v_add_nc_u32_e32 v5, 1, v6
	s_and_saveexec_b32 s3, vcc_lo
	s_cbranch_execz .LBB164_198
; %bb.195:
	s_delay_alu instid0(VALU_DEP_1)
	v_and_b32_e32 v6, -8, v5
	v_lshl_add_u32 v8, v0, 2, 0x160
	s_mov_b32 s27, 0
	s_mov_b32 s28, 0
.LBB164_196:                            ; =>This Inner Loop Header: Depth=1
	ds_load_2addr_stride64_b32 v[10:11], v8 offset1:2
	ds_load_2addr_stride64_b32 v[12:13], v8 offset0:4 offset1:6
	ds_load_2addr_stride64_b32 v[14:15], v8 offset0:8 offset1:10
	;; [unrolled: 1-line block ×7, first 2 shown]
	s_add_co_i32 s28, s28, 16
	s_delay_alu instid0(SALU_CYCLE_1) | instskip(NEXT) | instid1(VALU_DEP_1)
	v_dual_mov_b32 v9, s28 :: v_dual_add_nc_u32 v6, -8, v6
	v_cmp_eq_u32_e32 vcc_lo, 0, v6
	s_or_b32 s27, vcc_lo, s27
	s_wait_dscnt 0x7
	v_pk_mul_f32 v[10:11], v[2:3], v[10:11]
	s_wait_dscnt 0x6
	v_pk_mul_f32 v[12:13], v[2:3], v[12:13]
	;; [unrolled: 2-line block ×8, first 2 shown]
	ds_store_2addr_stride64_b32 v8, v10, v11 offset1:2
	ds_store_2addr_stride64_b32 v8, v12, v13 offset0:4 offset1:6
	ds_store_2addr_stride64_b32 v8, v14, v15 offset0:8 offset1:10
	;; [unrolled: 1-line block ×7, first 2 shown]
	v_add_nc_u32_e32 v8, 0x2000, v8
	s_and_not1_b32 exec_lo, exec_lo, s27
	s_cbranch_execnz .LBB164_196
; %bb.197:
	s_or_b32 exec_lo, exec_lo, s27
.LBB164_198:
	s_delay_alu instid0(SALU_CYCLE_1) | instskip(NEXT) | instid1(VALU_DEP_1)
	s_or_b32 exec_lo, exec_lo, s3
	v_and_b32_e32 v5, 7, v5
	s_mov_b32 s27, 0
	s_mov_b32 s3, exec_lo
	s_delay_alu instid0(VALU_DEP_1)
	v_cmpx_ne_u32_e32 0, v5
	s_cbranch_execz .LBB164_201
; %bb.199:
	v_dual_lshlrev_b32 v6, 9, v9 :: v_dual_lshlrev_b32 v8, 2, v0
	s_delay_alu instid0(VALU_DEP_1)
	v_add3_u32 v6, v6, v8, 0x160
.LBB164_200:                            ; =>This Inner Loop Header: Depth=1
	ds_load_2addr_stride64_b32 v[8:9], v6 offset1:2
	v_add_nc_u32_e32 v5, -1, v5
	s_delay_alu instid0(VALU_DEP_1)
	v_cmp_eq_u32_e32 vcc_lo, 0, v5
	s_or_b32 s27, vcc_lo, s27
	s_wait_dscnt 0x0
	v_pk_mul_f32 v[8:9], v[2:3], v[8:9]
	ds_store_2addr_stride64_b32 v6, v8, v9 offset1:2
	v_add_nc_u32_e32 v6, 0x400, v6
	s_and_not1_b32 exec_lo, exec_lo, s27
	s_cbranch_execnz .LBB164_200
.LBB164_201:
	s_or_b32 exec_lo, exec_lo, s3
	v_add_nc_u32_e32 v3, 1, v4
	s_delay_alu instid0(VALU_DEP_1) | instskip(NEXT) | instid1(VALU_DEP_1)
	v_and_b32_e32 v4, 0x3fffffe, v3
	v_cmp_ne_u32_e32 vcc_lo, v3, v4
	v_lshl_add_u32 v3, v4, 7, v0
	s_or_not1_b32 s3, vcc_lo, exec_lo
.LBB164_202:
	s_or_b32 exec_lo, exec_lo, s1
	s_delay_alu instid0(SALU_CYCLE_1)
	s_and_b32 exec_lo, exec_lo, s3
	s_cbranch_execz .LBB164_205
; %bb.203:
	v_lshl_add_u32 v4, v3, 2, 0x160
	s_mov_b32 s1, 0
.LBB164_204:                            ; =>This Inner Loop Header: Depth=1
	ds_load_b32 v5, v4
	v_add_nc_u32_e32 v3, 0x80, v3
	s_delay_alu instid0(VALU_DEP_1)
	v_cmp_le_i32_e32 vcc_lo, s19, v3
	s_or_b32 s1, vcc_lo, s1
	s_wait_dscnt 0x0
	v_mul_f32_e32 v5, v2, v5
	ds_store_b32 v4, v5
	v_add_nc_u32_e32 v4, 0x200, v4
	s_and_not1_b32 exec_lo, exec_lo, s1
	s_cbranch_execnz .LBB164_204
.LBB164_205:
	s_or_b32 exec_lo, exec_lo, s0
	v_dual_mov_b32 v6, 0 :: v_dual_bitop2_b32 v44, 1, v0 bitop3:0x40
	v_dual_mov_b32 v9, 0 :: v_dual_mov_b32 v8, 0
	v_mov_b32_e32 v45, 0
	s_wait_dscnt 0x0
	s_barrier_signal -1
	s_barrier_wait -1
	s_and_saveexec_b32 s1, s2
	s_cbranch_execz .LBB164_381
; %bb.206:
	s_abs_i32 s14, s14
	v_dual_mov_b32 v11, 0 :: v_dual_lshlrev_b32 v2, 2, v0
	s_cvt_f32_u32 s0, s14
	s_ashr_i32 s19, s18, 31
	v_dual_mov_b32 v45, 0 :: v_dual_lshlrev_b32 v4, 4, v44
	s_delay_alu instid0(SALU_CYCLE_1)
	v_rcp_iflag_f32_e32 v3, s0
	v_and_b32_e32 v10, 0x7c, v2
	s_wait_kmcnt 0x0
	s_add_nc_u64 s[8:9], s[8:9], s[18:19]
	s_lshl_b64 s[24:25], s[24:25], 2
	s_sub_co_i32 s2, 0, s14
	v_dual_mov_b32 v46, v1 :: v_dual_bitop2_b32 v47, 4, v2 bitop3:0x40
	v_readfirstlane_b32 s0, v3
	v_add_nc_u64_e32 v[12:13], s[8:9], v[10:11]
	v_and_b32_e32 v10, 0x7c, v23
	v_lshl_or_b32 v3, v1, 5, v4
	s_add_nc_u64 s[8:9], s[22:23], s[24:25]
	s_mul_f32 s0, s0, 0x4f7ffffe
	v_dual_mov_b32 v8, 0 :: v_dual_mov_b32 v6, 0
	v_add_nc_u64_e32 v[14:15], s[8:9], v[10:11]
	s_delay_alu instid0(SALU_CYCLE_1) | instskip(SKIP_2) | instid1(SALU_CYCLE_1)
	s_cvt_u32_f32 s0, s0
	v_dual_mov_b32 v9, 0 :: v_dual_add_nc_u32 v48, 0x160, v3
	v_mov_b32_e32 v7, 0
	s_mul_i32 s2, s2, s0
	s_mov_b32 s3, 0
	s_mul_hi_u32 s2, s0, s2
	s_sub_co_i32 s13, s26, s13
	s_add_co_i32 s26, s12, -1
	s_mov_b32 s18, s34
	s_add_co_i32 s2, s0, s2
	s_mov_b32 s19, s3
	s_branch .LBB164_209
.LBB164_207:                            ;   in Loop: Header=BB164_209 Depth=1
	s_or_b32 exec_lo, exec_lo, s0
	s_wait_dscnt 0x0
	v_mul_f32_e32 v23, v2, v30
	v_mul_f32_e32 v10, v2, v34
	;; [unrolled: 1-line block ×4, first 2 shown]
	v_pk_mul_f32 v[36:37], v[2:3], v[36:37]
	v_fmac_f32_e32 v23, v3, v31
	v_fmac_f32_e32 v10, v3, v35
	;; [unrolled: 1-line block ×4, first 2 shown]
	v_pk_mul_f32 v[2:3], v[4:5], v[20:21]
	v_add_f32_e32 v19, v37, v36
	s_delay_alu instid0(VALU_DEP_1) | instskip(NEXT) | instid1(VALU_DEP_1)
	v_dual_fmac_f32 v10, v4, v32 :: v_dual_add_f32 v2, v2, v19
	v_dual_fmac_f32 v23, v4, v28 :: v_dual_fmac_f32 v10, v5, v33
	v_fmac_f32_e32 v26, v4, v24
	s_delay_alu instid0(VALU_DEP_3) | instskip(NEXT) | instid1(VALU_DEP_3)
	v_dual_fmac_f32 v18, v4, v16 :: v_dual_add_f32 v2, v3, v2
	v_dual_fmac_f32 v23, v5, v29 :: v_dual_add_f32 v7, v7, v10
	s_delay_alu instid0(VALU_DEP_3) | instskip(NEXT) | instid1(VALU_DEP_3)
	v_fmac_f32_e32 v26, v5, v25
	v_fmac_f32_e32 v18, v5, v17
	s_delay_alu instid0(VALU_DEP_3) | instskip(NEXT) | instid1(VALU_DEP_3)
	v_dual_add_f32 v45, v45, v2 :: v_dual_add_f32 v6, v6, v23
	v_add_f32_e32 v9, v9, v26
	s_delay_alu instid0(VALU_DEP_3)
	v_add_f32_e32 v8, v8, v18
.LBB164_208:                            ;   in Loop: Header=BB164_209 Depth=1
	s_or_b32 exec_lo, exec_lo, s22
	v_add_nc_u32_e32 v46, 4, v46
	v_add_nc_u64_e32 v[14:15], 16, v[14:15]
	v_add_nc_u32_e32 v22, 32, v22
	v_add_nc_u32_e32 v48, 0x80, v48
	s_delay_alu instid0(VALU_DEP_4) | instskip(SKIP_1) | instid1(SALU_CYCLE_1)
	v_cmp_le_i32_e32 vcc_lo, s12, v46
	s_or_b32 s19, vcc_lo, s19
	s_and_not1_b32 exec_lo, exec_lo, s19
	s_cbranch_execz .LBB164_380
.LBB164_209:                            ; =>This Inner Loop Header: Depth=1
	v_mov_b32_e32 v23, v11
	s_delay_alu instid0(VALU_DEP_1) | instskip(NEXT) | instid1(VALU_DEP_1)
	v_mul_u64_e32 v[2:3], s[20:21], v[22:23]
	v_mul_lo_u32 v2, v3, s16
	s_delay_alu instid0(VALU_DEP_1) | instskip(NEXT) | instid1(VALU_DEP_1)
	v_sub_nc_u32_e32 v2, v22, v2
	v_subrev_nc_u32_e32 v5, s16, v2
	v_cmp_le_u32_e32 vcc_lo, s16, v2
	s_delay_alu instid0(VALU_DEP_2) | instskip(NEXT) | instid1(VALU_DEP_1)
	v_dual_add_nc_u32 v4, 1, v3 :: v_dual_cndmask_b32 v2, v2, v5, vcc_lo
	v_cndmask_b32_e32 v3, v3, v4, vcc_lo
	s_delay_alu instid0(VALU_DEP_2) | instskip(NEXT) | instid1(VALU_DEP_2)
	v_cmp_le_u32_e32 vcc_lo, s16, v2
	v_add_nc_u32_e32 v4, 1, v3
	s_delay_alu instid0(VALU_DEP_1) | instskip(NEXT) | instid1(VALU_DEP_1)
	v_cndmask_b32_e32 v2, v3, v4, vcc_lo
	v_xor_b32_e32 v2, s15, v2
	s_delay_alu instid0(VALU_DEP_1) | instskip(NEXT) | instid1(VALU_DEP_1)
	v_subrev_nc_u32_e32 v4, s15, v2
	v_add_nc_u32_e32 v5, s35, v4
	v_cmp_lt_i32_e64 s0, s13, v4
	s_delay_alu instid0(VALU_DEP_2) | instskip(NEXT) | instid1(VALU_DEP_1)
	v_sub_nc_u32_e32 v2, 0, v5
	v_dual_ashrrev_i32 v5, 31, v5 :: v_dual_max_i32 v10, v5, v2
	s_delay_alu instid0(VALU_DEP_1) | instskip(NEXT) | instid1(VALU_DEP_1)
	v_mul_u64_e32 v[2:3], s[2:3], v[10:11]
	v_mul_lo_u32 v2, v3, s14
	s_delay_alu instid0(VALU_DEP_1) | instskip(NEXT) | instid1(VALU_DEP_1)
	v_sub_nc_u32_e32 v2, v10, v2
	v_subrev_nc_u32_e32 v3, s14, v2
	v_cmp_le_u32_e32 vcc_lo, s14, v2
	s_delay_alu instid0(VALU_DEP_2) | instskip(NEXT) | instid1(VALU_DEP_1)
	v_cndmask_b32_e32 v2, v2, v3, vcc_lo
	v_subrev_nc_u32_e32 v3, s14, v2
	v_cmp_le_u32_e32 vcc_lo, s14, v2
	s_delay_alu instid0(VALU_DEP_2) | instskip(NEXT) | instid1(VALU_DEP_1)
	v_cndmask_b32_e32 v2, v2, v3, vcc_lo
	v_xor_b32_e32 v2, v2, v5
	s_delay_alu instid0(VALU_DEP_1) | instskip(NEXT) | instid1(VALU_DEP_1)
	v_sub_nc_u32_e32 v2, v2, v5
	v_cmp_eq_u32_e32 vcc_lo, 0, v2
	s_or_b32 s0, vcc_lo, s0
	s_delay_alu instid0(SALU_CYCLE_1)
	s_and_saveexec_b32 s22, s0
	s_cbranch_execz .LBB164_208
; %bb.210:                              ;   in Loop: Header=BB164_209 Depth=1
	global_load_b32 v2, v[14:15], off
	s_load_b32 s8, s[10:11], 0x0
	v_mov_b64_e32 v[16:17], 0
	v_mov_b64_e32 v[18:19], 0
	s_mov_b32 s0, exec_lo
	s_wait_loadcnt 0x0
	v_mad_nc_i64_i32 v[20:21], v2, s17, v[12:13]
	ds_load_b128 v[2:5], v48
	global_load_b32 v23, v[20:21], off
	s_wait_loadcnt 0x0
	v_and_b32_e32 v10, 0xff, v23
	s_delay_alu instid0(VALU_DEP_1)
	v_cmpx_ne_u16_e32 0, v10
	s_cbranch_execz .LBB164_218
; %bb.211:                              ;   in Loop: Header=BB164_209 Depth=1
	v_mov_b64_e32 v[18:19], 0x80000000
	s_mov_b32 s9, exec_lo
	v_cmpx_ne_u16_e32 0x80, v10
	s_cbranch_execz .LBB164_217
; %bb.212:                              ;   in Loop: Header=BB164_209 Depth=1
	v_mov_b64_e32 v[18:19], 0x7f800001
	v_and_b32_e32 v24, 0x7f, v23
	s_mov_b32 s23, exec_lo
	s_delay_alu instid0(VALU_DEP_1)
	v_cmpx_ne_u32_e32 0x7f, v24
	s_cbranch_execz .LBB164_216
; %bb.213:                              ;   in Loop: Header=BB164_209 Depth=1
	v_dual_lshrrev_b32 v18, 3, v24 :: v_dual_bitop2_b32 v10, 7, v23 bitop3:0x40
	s_mov_b32 s24, exec_lo
	v_cmpx_gt_u32_e32 8, v24
; %bb.214:                              ;   in Loop: Header=BB164_209 Depth=1
	s_delay_alu instid0(VALU_DEP_2) | instskip(NEXT) | instid1(VALU_DEP_1)
	v_clz_i32_u32_e32 v18, v10
	v_min_u32_e32 v18, 32, v18
	s_delay_alu instid0(VALU_DEP_1) | instskip(NEXT) | instid1(VALU_DEP_1)
	v_subrev_nc_u32_e32 v19, 28, v18
	v_lshlrev_b64_e32 v[24:25], v19, v[10:11]
	s_delay_alu instid0(VALU_DEP_1)
	v_dual_sub_nc_u32 v18, 29, v18 :: v_dual_bitop2_b32 v10, 7, v24 bitop3:0x40
; %bb.215:                              ;   in Loop: Header=BB164_209 Depth=1
	s_or_b32 exec_lo, exec_lo, s24
	s_delay_alu instid0(VALU_DEP_1) | instskip(NEXT) | instid1(VALU_DEP_2)
	v_dual_lshlrev_b32 v19, 24, v23 :: v_dual_lshlrev_b32 v10, 20, v10
	v_lshl_add_u32 v18, v18, 23, 0x3c000000
	s_delay_alu instid0(VALU_DEP_2) | instskip(NEXT) | instid1(VALU_DEP_1)
	v_and_b32_e32 v19, 0x80000000, v19
	v_or3_b32 v10, v10, v19, v18
	s_delay_alu instid0(VALU_DEP_1)
	v_mov_b64_e32 v[18:19], v[10:11]
.LBB164_216:                            ;   in Loop: Header=BB164_209 Depth=1
	s_or_b32 exec_lo, exec_lo, s23
.LBB164_217:                            ;   in Loop: Header=BB164_209 Depth=1
	s_delay_alu instid0(SALU_CYCLE_1)
	s_or_b32 exec_lo, exec_lo, s9
.LBB164_218:                            ;   in Loop: Header=BB164_209 Depth=1
	s_delay_alu instid0(SALU_CYCLE_1) | instskip(SKIP_2) | instid1(VALU_DEP_1)
	s_or_b32 exec_lo, exec_lo, s0
	v_lshrrev_b16 v10, 8, v23
	s_mov_b32 s0, exec_lo
	v_cmpx_ne_u16_e32 0, v10
	s_cbranch_execz .LBB164_226
; %bb.219:                              ;   in Loop: Header=BB164_209 Depth=1
	v_mov_b64_e32 v[16:17], 0x8000000000000000
	s_mov_b32 s9, exec_lo
	v_cmpx_ne_u16_e32 0x80, v10
	s_cbranch_execz .LBB164_225
; %bb.220:                              ;   in Loop: Header=BB164_209 Depth=1
	v_and_b32_e32 v10, 0xffff, v10
	v_mov_b64_e32 v[16:17], 0x7f80000100000000
	s_mov_b32 s23, exec_lo
	s_delay_alu instid0(VALU_DEP_2) | instskip(NEXT) | instid1(VALU_DEP_1)
	v_and_b32_e32 v24, 0x7f, v10
	v_cmpx_ne_u32_e32 0x7f, v24
	s_cbranch_execz .LBB164_224
; %bb.221:                              ;   in Loop: Header=BB164_209 Depth=1
	v_dual_lshrrev_b32 v16, 3, v24 :: v_dual_bitop2_b32 v10, 7, v10 bitop3:0x40
	s_mov_b32 s24, exec_lo
	v_cmpx_gt_u32_e32 8, v24
; %bb.222:                              ;   in Loop: Header=BB164_209 Depth=1
	s_delay_alu instid0(VALU_DEP_2) | instskip(NEXT) | instid1(VALU_DEP_1)
	v_clz_i32_u32_e32 v16, v10
	v_min_u32_e32 v16, 32, v16
	s_delay_alu instid0(VALU_DEP_1) | instskip(SKIP_1) | instid1(VALU_DEP_2)
	v_subrev_nc_u32_e32 v17, 28, v16
	v_sub_nc_u32_e32 v16, 29, v16
	v_lshlrev_b64_e32 v[24:25], v17, v[10:11]
	s_delay_alu instid0(VALU_DEP_1)
	v_and_b32_e32 v10, 7, v24
; %bb.223:                              ;   in Loop: Header=BB164_209 Depth=1
	s_or_b32 exec_lo, exec_lo, s24
	s_delay_alu instid0(VALU_DEP_1) | instskip(SKIP_1) | instid1(VALU_DEP_2)
	v_dual_lshlrev_b32 v17, 16, v23 :: v_dual_lshlrev_b32 v10, 20, v10
	v_lshl_add_u32 v16, v16, 23, 0x3c000000
	v_and_b32_e32 v17, 0x80000000, v17
	s_delay_alu instid0(VALU_DEP_1)
	v_or3_b32 v17, v10, v17, v16
	v_mov_b32_e32 v16, v11
.LBB164_224:                            ;   in Loop: Header=BB164_209 Depth=1
	s_or_b32 exec_lo, exec_lo, s23
.LBB164_225:                            ;   in Loop: Header=BB164_209 Depth=1
	s_delay_alu instid0(SALU_CYCLE_1)
	s_or_b32 exec_lo, exec_lo, s9
.LBB164_226:                            ;   in Loop: Header=BB164_209 Depth=1
	s_delay_alu instid0(SALU_CYCLE_1) | instskip(SKIP_4) | instid1(VALU_DEP_3)
	s_or_b32 exec_lo, exec_lo, s0
	v_lshrrev_b32_e32 v28, 16, v23
	v_mov_b64_e32 v[24:25], 0
	v_mov_b64_e32 v[26:27], 0
	s_mov_b32 s0, exec_lo
	v_and_b32_e32 v10, 0xff, v28
	s_delay_alu instid0(VALU_DEP_1)
	v_cmpx_ne_u16_e32 0, v10
	s_cbranch_execz .LBB164_234
; %bb.227:                              ;   in Loop: Header=BB164_209 Depth=1
	v_mov_b64_e32 v[26:27], 0x80000000
	s_mov_b32 s9, exec_lo
	v_cmpx_ne_u16_e32 0x80, v10
	s_cbranch_execz .LBB164_233
; %bb.228:                              ;   in Loop: Header=BB164_209 Depth=1
	v_mov_b64_e32 v[26:27], 0x7f800001
	v_bfe_u32 v29, v23, 16, 7
	s_mov_b32 s23, exec_lo
	s_delay_alu instid0(VALU_DEP_1)
	v_cmpx_ne_u32_e32 0x7f, v29
	s_cbranch_execz .LBB164_232
; %bb.229:                              ;   in Loop: Header=BB164_209 Depth=1
	v_dual_lshrrev_b32 v26, 3, v29 :: v_dual_bitop2_b32 v10, 7, v28 bitop3:0x40
	s_mov_b32 s24, exec_lo
	v_cmpx_gt_u32_e32 8, v29
; %bb.230:                              ;   in Loop: Header=BB164_209 Depth=1
	s_delay_alu instid0(VALU_DEP_2) | instskip(NEXT) | instid1(VALU_DEP_1)
	v_clz_i32_u32_e32 v26, v10
	v_min_u32_e32 v26, 32, v26
	s_delay_alu instid0(VALU_DEP_1) | instskip(SKIP_1) | instid1(VALU_DEP_2)
	v_subrev_nc_u32_e32 v27, 28, v26
	v_sub_nc_u32_e32 v26, 29, v26
	v_lshlrev_b64_e32 v[30:31], v27, v[10:11]
	s_delay_alu instid0(VALU_DEP_1)
	v_and_b32_e32 v10, 7, v30
; %bb.231:                              ;   in Loop: Header=BB164_209 Depth=1
	s_or_b32 exec_lo, exec_lo, s24
	s_delay_alu instid0(VALU_DEP_1) | instskip(SKIP_1) | instid1(VALU_DEP_2)
	v_dual_lshlrev_b32 v27, 24, v28 :: v_dual_lshlrev_b32 v10, 20, v10
	v_lshl_add_u32 v26, v26, 23, 0x3c000000
	v_and_b32_e32 v27, 0x80000000, v27
	s_delay_alu instid0(VALU_DEP_1) | instskip(NEXT) | instid1(VALU_DEP_1)
	v_or3_b32 v10, v10, v27, v26
	v_mov_b64_e32 v[26:27], v[10:11]
.LBB164_232:                            ;   in Loop: Header=BB164_209 Depth=1
	s_or_b32 exec_lo, exec_lo, s23
.LBB164_233:                            ;   in Loop: Header=BB164_209 Depth=1
	s_delay_alu instid0(SALU_CYCLE_1)
	s_or_b32 exec_lo, exec_lo, s9
.LBB164_234:                            ;   in Loop: Header=BB164_209 Depth=1
	s_delay_alu instid0(SALU_CYCLE_1) | instskip(NEXT) | instid1(SALU_CYCLE_1)
	s_or_b32 exec_lo, exec_lo, s0
	s_mov_b32 s0, exec_lo
	v_cmpx_lt_u32_e32 0xffffff, v23
	s_cbranch_execz .LBB164_242
; %bb.235:                              ;   in Loop: Header=BB164_209 Depth=1
	v_mov_b64_e32 v[24:25], 0x8000000000000000
	v_lshrrev_b32_e32 v28, 24, v23
	s_mov_b32 s9, exec_lo
	s_delay_alu instid0(VALU_DEP_1)
	v_cmpx_ne_u32_e32 0x80, v28
	s_cbranch_execz .LBB164_241
; %bb.236:                              ;   in Loop: Header=BB164_209 Depth=1
	v_mov_b64_e32 v[24:25], 0x7f80000100000000
	v_bfe_u32 v29, v23, 24, 7
	s_mov_b32 s23, exec_lo
	s_delay_alu instid0(VALU_DEP_1)
	v_cmpx_ne_u32_e32 0x7f, v29
	s_cbranch_execz .LBB164_240
; %bb.237:                              ;   in Loop: Header=BB164_209 Depth=1
	v_dual_lshrrev_b32 v23, 3, v29 :: v_dual_bitop2_b32 v10, 7, v28 bitop3:0x40
	s_mov_b32 s24, exec_lo
	v_cmpx_gt_u32_e32 8, v29
; %bb.238:                              ;   in Loop: Header=BB164_209 Depth=1
	s_delay_alu instid0(VALU_DEP_2) | instskip(NEXT) | instid1(VALU_DEP_1)
	v_clz_i32_u32_e32 v23, v10
	v_min_u32_e32 v23, 32, v23
	s_delay_alu instid0(VALU_DEP_1) | instskip(NEXT) | instid1(VALU_DEP_1)
	v_subrev_nc_u32_e32 v24, 28, v23
	v_lshlrev_b64_e32 v[24:25], v24, v[10:11]
	s_delay_alu instid0(VALU_DEP_1)
	v_dual_sub_nc_u32 v23, 29, v23 :: v_dual_bitop2_b32 v10, 7, v24 bitop3:0x40
; %bb.239:                              ;   in Loop: Header=BB164_209 Depth=1
	s_or_b32 exec_lo, exec_lo, s24
	s_delay_alu instid0(VALU_DEP_1) | instskip(NEXT) | instid1(VALU_DEP_2)
	v_dual_lshlrev_b32 v24, 24, v28 :: v_dual_lshlrev_b32 v10, 20, v10
	v_lshl_add_u32 v23, v23, 23, 0x3c000000
	s_delay_alu instid0(VALU_DEP_2) | instskip(NEXT) | instid1(VALU_DEP_1)
	v_and_b32_e32 v24, 0x80000000, v24
	v_or3_b32 v25, v10, v24, v23
	v_mov_b32_e32 v24, v11
.LBB164_240:                            ;   in Loop: Header=BB164_209 Depth=1
	s_or_b32 exec_lo, exec_lo, s23
.LBB164_241:                            ;   in Loop: Header=BB164_209 Depth=1
	s_delay_alu instid0(SALU_CYCLE_1)
	s_or_b32 exec_lo, exec_lo, s9
.LBB164_242:                            ;   in Loop: Header=BB164_209 Depth=1
	s_delay_alu instid0(SALU_CYCLE_1)
	s_or_b32 exec_lo, exec_lo, s0
	v_dual_add_nc_u32 v23, v47, v22 :: v_dual_bitop2_b32 v17, v17, v19 bitop3:0x54
	v_or_b32_e32 v16, v16, v18
	v_or_b32_e32 v25, v25, v27
	;; [unrolled: 1-line block ×3, first 2 shown]
	v_cmp_eq_u32_e32 vcc_lo, s26, v46
	v_add_nc_u32_e32 v49, 1, v23
	s_wait_kmcnt 0x0
	v_pk_mul_f32 v[18:19], s[8:9], v[16:17] op_sel_hi:[0,1]
	v_add_nc_u32_e32 v41, 2, v23
	v_pk_mul_f32 v[16:17], s[8:9], v[24:25] op_sel_hi:[0,1]
	v_add_nc_u32_e32 v40, 3, v23
	s_and_saveexec_b32 s9, vcc_lo
	s_cbranch_execz .LBB164_244
; %bb.243:                              ;   in Loop: Header=BB164_209 Depth=1
	v_cmp_gt_i32_e64 s0, s34, v23
	s_delay_alu instid0(VALU_DEP_1) | instskip(SKIP_1) | instid1(VALU_DEP_1)
	v_cndmask_b32_e64 v18, 0, v18, s0
	v_cmp_gt_i32_e64 s0, s34, v49
	v_cndmask_b32_e64 v19, 0, v19, s0
	v_cmp_gt_i32_e64 s0, s34, v41
	s_delay_alu instid0(VALU_DEP_1) | instskip(SKIP_1) | instid1(VALU_DEP_1)
	v_cndmask_b32_e64 v16, 0, v16, s0
	v_cmp_gt_i32_e64 s0, s34, v40
	v_cndmask_b32_e64 v17, 0, v17, s0
.LBB164_244:                            ;   in Loop: Header=BB164_209 Depth=1
	s_or_b32 exec_lo, exec_lo, s9
	global_load_b32 v32, v[20:21], off offset:128
	v_mov_b64_e32 v[24:25], 0
	v_mov_b64_e32 v[26:27], 0
	s_mov_b32 s9, exec_lo
	s_wait_loadcnt 0x0
	v_and_b32_e32 v10, 0xff, v32
	s_delay_alu instid0(VALU_DEP_1)
	v_cmpx_ne_u16_e32 0, v10
	s_cbranch_execz .LBB164_252
; %bb.245:                              ;   in Loop: Header=BB164_209 Depth=1
	v_mov_b64_e32 v[26:27], 0x80000000
	s_mov_b32 s23, exec_lo
	v_cmpx_ne_u16_e32 0x80, v10
	s_cbranch_execz .LBB164_251
; %bb.246:                              ;   in Loop: Header=BB164_209 Depth=1
	v_mov_b64_e32 v[26:27], 0x7f800001
	v_and_b32_e32 v28, 0x7f, v32
	s_mov_b32 s24, exec_lo
	s_delay_alu instid0(VALU_DEP_1)
	v_cmpx_ne_u32_e32 0x7f, v28
	s_cbranch_execz .LBB164_250
; %bb.247:                              ;   in Loop: Header=BB164_209 Depth=1
	v_and_b32_e32 v10, 7, v32
	v_lshrrev_b32_e32 v26, 3, v28
	s_mov_b32 s25, exec_lo
	v_cmpx_gt_u32_e32 8, v28
; %bb.248:                              ;   in Loop: Header=BB164_209 Depth=1
	s_delay_alu instid0(VALU_DEP_3) | instskip(NEXT) | instid1(VALU_DEP_1)
	v_clz_i32_u32_e32 v26, v10
	v_min_u32_e32 v26, 32, v26
	s_delay_alu instid0(VALU_DEP_1) | instskip(NEXT) | instid1(VALU_DEP_1)
	v_subrev_nc_u32_e32 v27, 28, v26
	v_lshlrev_b64_e32 v[28:29], v27, v[10:11]
	s_delay_alu instid0(VALU_DEP_1)
	v_dual_sub_nc_u32 v26, 29, v26 :: v_dual_bitop2_b32 v10, 7, v28 bitop3:0x40
; %bb.249:                              ;   in Loop: Header=BB164_209 Depth=1
	s_or_b32 exec_lo, exec_lo, s25
	s_delay_alu instid0(VALU_DEP_1) | instskip(NEXT) | instid1(VALU_DEP_2)
	v_dual_lshlrev_b32 v27, 24, v32 :: v_dual_lshlrev_b32 v10, 20, v10
	v_lshl_add_u32 v26, v26, 23, 0x3c000000
	s_delay_alu instid0(VALU_DEP_2) | instskip(NEXT) | instid1(VALU_DEP_1)
	v_and_b32_e32 v27, 0x80000000, v27
	v_or3_b32 v10, v10, v27, v26
	s_delay_alu instid0(VALU_DEP_1)
	v_mov_b64_e32 v[26:27], v[10:11]
.LBB164_250:                            ;   in Loop: Header=BB164_209 Depth=1
	s_or_b32 exec_lo, exec_lo, s24
.LBB164_251:                            ;   in Loop: Header=BB164_209 Depth=1
	s_delay_alu instid0(SALU_CYCLE_1)
	s_or_b32 exec_lo, exec_lo, s23
.LBB164_252:                            ;   in Loop: Header=BB164_209 Depth=1
	s_delay_alu instid0(SALU_CYCLE_1) | instskip(SKIP_2) | instid1(VALU_DEP_1)
	s_or_b32 exec_lo, exec_lo, s9
	v_lshrrev_b16 v10, 8, v32
	s_mov_b32 s9, exec_lo
	v_cmpx_ne_u16_e32 0, v10
	s_cbranch_execz .LBB164_260
; %bb.253:                              ;   in Loop: Header=BB164_209 Depth=1
	v_mov_b64_e32 v[24:25], 0x8000000000000000
	s_mov_b32 s23, exec_lo
	v_cmpx_ne_u16_e32 0x80, v10
	s_cbranch_execz .LBB164_259
; %bb.254:                              ;   in Loop: Header=BB164_209 Depth=1
	v_and_b32_e32 v10, 0xffff, v10
	v_mov_b64_e32 v[24:25], 0x7f80000100000000
	s_mov_b32 s24, exec_lo
	s_delay_alu instid0(VALU_DEP_2) | instskip(NEXT) | instid1(VALU_DEP_1)
	v_and_b32_e32 v28, 0x7f, v10
	v_cmpx_ne_u32_e32 0x7f, v28
	s_cbranch_execz .LBB164_258
; %bb.255:                              ;   in Loop: Header=BB164_209 Depth=1
	v_dual_lshrrev_b32 v24, 3, v28 :: v_dual_bitop2_b32 v10, 7, v10 bitop3:0x40
	s_mov_b32 s25, exec_lo
	v_cmpx_gt_u32_e32 8, v28
; %bb.256:                              ;   in Loop: Header=BB164_209 Depth=1
	s_delay_alu instid0(VALU_DEP_2) | instskip(NEXT) | instid1(VALU_DEP_1)
	v_clz_i32_u32_e32 v24, v10
	v_min_u32_e32 v24, 32, v24
	s_delay_alu instid0(VALU_DEP_1) | instskip(SKIP_1) | instid1(VALU_DEP_2)
	v_subrev_nc_u32_e32 v25, 28, v24
	v_sub_nc_u32_e32 v24, 29, v24
	v_lshlrev_b64_e32 v[28:29], v25, v[10:11]
	s_delay_alu instid0(VALU_DEP_1)
	v_and_b32_e32 v10, 7, v28
; %bb.257:                              ;   in Loop: Header=BB164_209 Depth=1
	s_or_b32 exec_lo, exec_lo, s25
	s_delay_alu instid0(VALU_DEP_1) | instskip(SKIP_1) | instid1(VALU_DEP_2)
	v_dual_lshlrev_b32 v25, 16, v32 :: v_dual_lshlrev_b32 v10, 20, v10
	v_lshl_add_u32 v24, v24, 23, 0x3c000000
	v_and_b32_e32 v25, 0x80000000, v25
	s_delay_alu instid0(VALU_DEP_1)
	v_or3_b32 v25, v10, v25, v24
	v_mov_b32_e32 v24, v11
.LBB164_258:                            ;   in Loop: Header=BB164_209 Depth=1
	s_or_b32 exec_lo, exec_lo, s24
.LBB164_259:                            ;   in Loop: Header=BB164_209 Depth=1
	s_delay_alu instid0(SALU_CYCLE_1)
	s_or_b32 exec_lo, exec_lo, s23
.LBB164_260:                            ;   in Loop: Header=BB164_209 Depth=1
	s_delay_alu instid0(SALU_CYCLE_1) | instskip(SKIP_4) | instid1(VALU_DEP_3)
	s_or_b32 exec_lo, exec_lo, s9
	v_lshrrev_b32_e32 v33, 16, v32
	v_mov_b64_e32 v[28:29], 0
	v_mov_b64_e32 v[30:31], 0
	s_mov_b32 s9, exec_lo
	v_and_b32_e32 v10, 0xff, v33
	s_delay_alu instid0(VALU_DEP_1)
	v_cmpx_ne_u16_e32 0, v10
	s_cbranch_execz .LBB164_268
; %bb.261:                              ;   in Loop: Header=BB164_209 Depth=1
	v_mov_b64_e32 v[30:31], 0x80000000
	s_mov_b32 s23, exec_lo
	v_cmpx_ne_u16_e32 0x80, v10
	s_cbranch_execz .LBB164_267
; %bb.262:                              ;   in Loop: Header=BB164_209 Depth=1
	v_mov_b64_e32 v[30:31], 0x7f800001
	v_bfe_u32 v34, v32, 16, 7
	s_mov_b32 s24, exec_lo
	s_delay_alu instid0(VALU_DEP_1)
	v_cmpx_ne_u32_e32 0x7f, v34
	s_cbranch_execz .LBB164_266
; %bb.263:                              ;   in Loop: Header=BB164_209 Depth=1
	v_dual_lshrrev_b32 v30, 3, v34 :: v_dual_bitop2_b32 v10, 7, v33 bitop3:0x40
	s_mov_b32 s25, exec_lo
	v_cmpx_gt_u32_e32 8, v34
; %bb.264:                              ;   in Loop: Header=BB164_209 Depth=1
	s_delay_alu instid0(VALU_DEP_2) | instskip(NEXT) | instid1(VALU_DEP_1)
	v_clz_i32_u32_e32 v30, v10
	v_min_u32_e32 v30, 32, v30
	s_delay_alu instid0(VALU_DEP_1) | instskip(SKIP_1) | instid1(VALU_DEP_2)
	v_subrev_nc_u32_e32 v31, 28, v30
	v_sub_nc_u32_e32 v30, 29, v30
	v_lshlrev_b64_e32 v[34:35], v31, v[10:11]
	s_delay_alu instid0(VALU_DEP_1)
	v_and_b32_e32 v10, 7, v34
; %bb.265:                              ;   in Loop: Header=BB164_209 Depth=1
	s_or_b32 exec_lo, exec_lo, s25
	s_delay_alu instid0(VALU_DEP_1) | instskip(SKIP_1) | instid1(VALU_DEP_2)
	v_dual_lshlrev_b32 v31, 24, v33 :: v_dual_lshlrev_b32 v10, 20, v10
	v_lshl_add_u32 v30, v30, 23, 0x3c000000
	v_and_b32_e32 v31, 0x80000000, v31
	s_delay_alu instid0(VALU_DEP_1) | instskip(NEXT) | instid1(VALU_DEP_1)
	v_or3_b32 v10, v10, v31, v30
	v_mov_b64_e32 v[30:31], v[10:11]
.LBB164_266:                            ;   in Loop: Header=BB164_209 Depth=1
	s_or_b32 exec_lo, exec_lo, s24
.LBB164_267:                            ;   in Loop: Header=BB164_209 Depth=1
	s_delay_alu instid0(SALU_CYCLE_1)
	s_or_b32 exec_lo, exec_lo, s23
.LBB164_268:                            ;   in Loop: Header=BB164_209 Depth=1
	s_delay_alu instid0(SALU_CYCLE_1) | instskip(NEXT) | instid1(SALU_CYCLE_1)
	s_or_b32 exec_lo, exec_lo, s9
	s_mov_b32 s9, exec_lo
	v_cmpx_lt_u32_e32 0xffffff, v32
	s_cbranch_execz .LBB164_276
; %bb.269:                              ;   in Loop: Header=BB164_209 Depth=1
	v_mov_b64_e32 v[28:29], 0x8000000000000000
	v_lshrrev_b32_e32 v33, 24, v32
	s_mov_b32 s23, exec_lo
	s_delay_alu instid0(VALU_DEP_1)
	v_cmpx_ne_u32_e32 0x80, v33
	s_cbranch_execz .LBB164_275
; %bb.270:                              ;   in Loop: Header=BB164_209 Depth=1
	v_mov_b64_e32 v[28:29], 0x7f80000100000000
	v_bfe_u32 v32, v32, 24, 7
	s_mov_b32 s24, exec_lo
	s_delay_alu instid0(VALU_DEP_1)
	v_cmpx_ne_u32_e32 0x7f, v32
	s_cbranch_execz .LBB164_274
; %bb.271:                              ;   in Loop: Header=BB164_209 Depth=1
	v_dual_lshrrev_b32 v28, 3, v32 :: v_dual_bitop2_b32 v10, 7, v33 bitop3:0x40
	s_mov_b32 s25, exec_lo
	v_cmpx_gt_u32_e32 8, v32
; %bb.272:                              ;   in Loop: Header=BB164_209 Depth=1
	s_delay_alu instid0(VALU_DEP_2) | instskip(NEXT) | instid1(VALU_DEP_1)
	v_clz_i32_u32_e32 v28, v10
	v_min_u32_e32 v28, 32, v28
	s_delay_alu instid0(VALU_DEP_1) | instskip(NEXT) | instid1(VALU_DEP_1)
	v_subrev_nc_u32_e32 v29, 28, v28
	v_lshlrev_b64_e32 v[34:35], v29, v[10:11]
	s_delay_alu instid0(VALU_DEP_1)
	v_dual_sub_nc_u32 v28, 29, v28 :: v_dual_bitop2_b32 v10, 7, v34 bitop3:0x40
; %bb.273:                              ;   in Loop: Header=BB164_209 Depth=1
	s_or_b32 exec_lo, exec_lo, s25
	s_delay_alu instid0(VALU_DEP_1) | instskip(NEXT) | instid1(VALU_DEP_2)
	v_dual_lshlrev_b32 v29, 24, v33 :: v_dual_lshlrev_b32 v10, 20, v10
	v_lshl_add_u32 v28, v28, 23, 0x3c000000
	s_delay_alu instid0(VALU_DEP_2) | instskip(NEXT) | instid1(VALU_DEP_1)
	v_and_b32_e32 v29, 0x80000000, v29
	v_or3_b32 v29, v10, v29, v28
	v_mov_b32_e32 v28, v11
.LBB164_274:                            ;   in Loop: Header=BB164_209 Depth=1
	s_or_b32 exec_lo, exec_lo, s24
.LBB164_275:                            ;   in Loop: Header=BB164_209 Depth=1
	s_delay_alu instid0(SALU_CYCLE_1)
	s_or_b32 exec_lo, exec_lo, s23
.LBB164_276:                            ;   in Loop: Header=BB164_209 Depth=1
	s_delay_alu instid0(SALU_CYCLE_1)
	s_or_b32 exec_lo, exec_lo, s9
	s_mov_b32 s9, s8
	v_or_b32_e32 v25, v25, v27
	v_mov_b64_e32 v[32:33], s[8:9]
	v_or_b32_e32 v24, v24, v26
	v_or_b32_e32 v29, v29, v31
	;; [unrolled: 1-line block ×3, first 2 shown]
	s_delay_alu instid0(VALU_DEP_3) | instskip(NEXT) | instid1(VALU_DEP_2)
	v_pk_mul_f32 v[26:27], v[32:33], v[24:25]
	v_pk_mul_f32 v[24:25], v[32:33], v[28:29]
	s_and_saveexec_b32 s23, vcc_lo
	s_cbranch_execz .LBB164_278
; %bb.277:                              ;   in Loop: Header=BB164_209 Depth=1
	v_cmp_gt_i32_e64 s0, s34, v23
	s_delay_alu instid0(VALU_DEP_1) | instskip(SKIP_1) | instid1(VALU_DEP_1)
	v_cndmask_b32_e64 v26, 0, v26, s0
	v_cmp_gt_i32_e64 s0, s34, v49
	v_cndmask_b32_e64 v27, 0, v27, s0
	v_cmp_gt_i32_e64 s0, s34, v41
	s_delay_alu instid0(VALU_DEP_1) | instskip(SKIP_1) | instid1(VALU_DEP_1)
	v_cndmask_b32_e64 v24, 0, v24, s0
	v_cmp_gt_i32_e64 s0, s34, v40
	v_cndmask_b32_e64 v25, 0, v25, s0
.LBB164_278:                            ;   in Loop: Header=BB164_209 Depth=1
	s_or_b32 exec_lo, exec_lo, s23
	global_load_b32 v36, v[20:21], off offset:256
	v_mov_b64_e32 v[28:29], 0
	v_mov_b64_e32 v[30:31], 0
	s_mov_b32 s23, exec_lo
	s_wait_loadcnt 0x0
	v_and_b32_e32 v10, 0xff, v36
	s_delay_alu instid0(VALU_DEP_1)
	v_cmpx_ne_u16_e32 0, v10
	s_cbranch_execz .LBB164_286
; %bb.279:                              ;   in Loop: Header=BB164_209 Depth=1
	v_mov_b64_e32 v[30:31], 0x80000000
	s_mov_b32 s24, exec_lo
	v_cmpx_ne_u16_e32 0x80, v10
	s_cbranch_execz .LBB164_285
; %bb.280:                              ;   in Loop: Header=BB164_209 Depth=1
	v_mov_b64_e32 v[30:31], 0x7f800001
	v_and_b32_e32 v32, 0x7f, v36
	s_mov_b32 s25, exec_lo
	s_delay_alu instid0(VALU_DEP_1)
	v_cmpx_ne_u32_e32 0x7f, v32
	s_cbranch_execz .LBB164_284
; %bb.281:                              ;   in Loop: Header=BB164_209 Depth=1
	v_and_b32_e32 v10, 7, v36
	v_lshrrev_b32_e32 v30, 3, v32
	s_mov_b32 s27, exec_lo
	v_cmpx_gt_u32_e32 8, v32
; %bb.282:                              ;   in Loop: Header=BB164_209 Depth=1
	s_delay_alu instid0(VALU_DEP_3) | instskip(NEXT) | instid1(VALU_DEP_1)
	v_clz_i32_u32_e32 v30, v10
	v_min_u32_e32 v30, 32, v30
	s_delay_alu instid0(VALU_DEP_1) | instskip(NEXT) | instid1(VALU_DEP_1)
	v_subrev_nc_u32_e32 v31, 28, v30
	v_lshlrev_b64_e32 v[32:33], v31, v[10:11]
	s_delay_alu instid0(VALU_DEP_1)
	v_dual_sub_nc_u32 v30, 29, v30 :: v_dual_bitop2_b32 v10, 7, v32 bitop3:0x40
; %bb.283:                              ;   in Loop: Header=BB164_209 Depth=1
	s_or_b32 exec_lo, exec_lo, s27
	s_delay_alu instid0(VALU_DEP_1) | instskip(NEXT) | instid1(VALU_DEP_2)
	v_dual_lshlrev_b32 v31, 24, v36 :: v_dual_lshlrev_b32 v10, 20, v10
	v_lshl_add_u32 v30, v30, 23, 0x3c000000
	s_delay_alu instid0(VALU_DEP_2) | instskip(NEXT) | instid1(VALU_DEP_1)
	v_and_b32_e32 v31, 0x80000000, v31
	v_or3_b32 v10, v10, v31, v30
	s_delay_alu instid0(VALU_DEP_1)
	v_mov_b64_e32 v[30:31], v[10:11]
.LBB164_284:                            ;   in Loop: Header=BB164_209 Depth=1
	s_or_b32 exec_lo, exec_lo, s25
.LBB164_285:                            ;   in Loop: Header=BB164_209 Depth=1
	s_delay_alu instid0(SALU_CYCLE_1)
	s_or_b32 exec_lo, exec_lo, s24
.LBB164_286:                            ;   in Loop: Header=BB164_209 Depth=1
	s_delay_alu instid0(SALU_CYCLE_1) | instskip(SKIP_2) | instid1(VALU_DEP_1)
	s_or_b32 exec_lo, exec_lo, s23
	v_lshrrev_b16 v10, 8, v36
	s_mov_b32 s23, exec_lo
	v_cmpx_ne_u16_e32 0, v10
	s_cbranch_execz .LBB164_294
; %bb.287:                              ;   in Loop: Header=BB164_209 Depth=1
	v_mov_b64_e32 v[28:29], 0x8000000000000000
	s_mov_b32 s24, exec_lo
	v_cmpx_ne_u16_e32 0x80, v10
	s_cbranch_execz .LBB164_293
; %bb.288:                              ;   in Loop: Header=BB164_209 Depth=1
	v_and_b32_e32 v10, 0xffff, v10
	v_mov_b64_e32 v[28:29], 0x7f80000100000000
	s_mov_b32 s25, exec_lo
	s_delay_alu instid0(VALU_DEP_2) | instskip(NEXT) | instid1(VALU_DEP_1)
	v_and_b32_e32 v32, 0x7f, v10
	v_cmpx_ne_u32_e32 0x7f, v32
	s_cbranch_execz .LBB164_292
; %bb.289:                              ;   in Loop: Header=BB164_209 Depth=1
	v_dual_lshrrev_b32 v28, 3, v32 :: v_dual_bitop2_b32 v10, 7, v10 bitop3:0x40
	s_mov_b32 s27, exec_lo
	v_cmpx_gt_u32_e32 8, v32
; %bb.290:                              ;   in Loop: Header=BB164_209 Depth=1
	s_delay_alu instid0(VALU_DEP_2) | instskip(NEXT) | instid1(VALU_DEP_1)
	v_clz_i32_u32_e32 v28, v10
	v_min_u32_e32 v28, 32, v28
	s_delay_alu instid0(VALU_DEP_1) | instskip(SKIP_1) | instid1(VALU_DEP_2)
	v_subrev_nc_u32_e32 v29, 28, v28
	v_sub_nc_u32_e32 v28, 29, v28
	v_lshlrev_b64_e32 v[32:33], v29, v[10:11]
	s_delay_alu instid0(VALU_DEP_1)
	v_and_b32_e32 v10, 7, v32
; %bb.291:                              ;   in Loop: Header=BB164_209 Depth=1
	s_or_b32 exec_lo, exec_lo, s27
	s_delay_alu instid0(VALU_DEP_1) | instskip(SKIP_1) | instid1(VALU_DEP_2)
	v_dual_lshlrev_b32 v29, 16, v36 :: v_dual_lshlrev_b32 v10, 20, v10
	v_lshl_add_u32 v28, v28, 23, 0x3c000000
	v_and_b32_e32 v29, 0x80000000, v29
	s_delay_alu instid0(VALU_DEP_1)
	v_or3_b32 v29, v10, v29, v28
	v_mov_b32_e32 v28, v11
.LBB164_292:                            ;   in Loop: Header=BB164_209 Depth=1
	s_or_b32 exec_lo, exec_lo, s25
.LBB164_293:                            ;   in Loop: Header=BB164_209 Depth=1
	s_delay_alu instid0(SALU_CYCLE_1)
	s_or_b32 exec_lo, exec_lo, s24
.LBB164_294:                            ;   in Loop: Header=BB164_209 Depth=1
	s_delay_alu instid0(SALU_CYCLE_1) | instskip(SKIP_4) | instid1(VALU_DEP_3)
	s_or_b32 exec_lo, exec_lo, s23
	v_lshrrev_b32_e32 v37, 16, v36
	v_mov_b64_e32 v[32:33], 0
	v_mov_b64_e32 v[34:35], 0
	s_mov_b32 s23, exec_lo
	v_and_b32_e32 v10, 0xff, v37
	s_delay_alu instid0(VALU_DEP_1)
	v_cmpx_ne_u16_e32 0, v10
	s_cbranch_execz .LBB164_302
; %bb.295:                              ;   in Loop: Header=BB164_209 Depth=1
	v_mov_b64_e32 v[34:35], 0x80000000
	s_mov_b32 s24, exec_lo
	v_cmpx_ne_u16_e32 0x80, v10
	s_cbranch_execz .LBB164_301
; %bb.296:                              ;   in Loop: Header=BB164_209 Depth=1
	v_mov_b64_e32 v[34:35], 0x7f800001
	v_bfe_u32 v38, v36, 16, 7
	s_mov_b32 s25, exec_lo
	s_delay_alu instid0(VALU_DEP_1)
	v_cmpx_ne_u32_e32 0x7f, v38
	s_cbranch_execz .LBB164_300
; %bb.297:                              ;   in Loop: Header=BB164_209 Depth=1
	v_dual_lshrrev_b32 v34, 3, v38 :: v_dual_bitop2_b32 v10, 7, v37 bitop3:0x40
	s_mov_b32 s27, exec_lo
	v_cmpx_gt_u32_e32 8, v38
; %bb.298:                              ;   in Loop: Header=BB164_209 Depth=1
	s_delay_alu instid0(VALU_DEP_2) | instskip(NEXT) | instid1(VALU_DEP_1)
	v_clz_i32_u32_e32 v34, v10
	v_min_u32_e32 v34, 32, v34
	s_delay_alu instid0(VALU_DEP_1) | instskip(SKIP_1) | instid1(VALU_DEP_2)
	v_subrev_nc_u32_e32 v35, 28, v34
	v_sub_nc_u32_e32 v34, 29, v34
	v_lshlrev_b64_e32 v[38:39], v35, v[10:11]
	s_delay_alu instid0(VALU_DEP_1)
	v_and_b32_e32 v10, 7, v38
; %bb.299:                              ;   in Loop: Header=BB164_209 Depth=1
	s_or_b32 exec_lo, exec_lo, s27
	s_delay_alu instid0(VALU_DEP_1) | instskip(SKIP_1) | instid1(VALU_DEP_2)
	v_dual_lshlrev_b32 v35, 24, v37 :: v_dual_lshlrev_b32 v10, 20, v10
	v_lshl_add_u32 v34, v34, 23, 0x3c000000
	v_and_b32_e32 v35, 0x80000000, v35
	s_delay_alu instid0(VALU_DEP_1) | instskip(NEXT) | instid1(VALU_DEP_1)
	v_or3_b32 v10, v10, v35, v34
	v_mov_b64_e32 v[34:35], v[10:11]
.LBB164_300:                            ;   in Loop: Header=BB164_209 Depth=1
	s_or_b32 exec_lo, exec_lo, s25
.LBB164_301:                            ;   in Loop: Header=BB164_209 Depth=1
	s_delay_alu instid0(SALU_CYCLE_1)
	s_or_b32 exec_lo, exec_lo, s24
.LBB164_302:                            ;   in Loop: Header=BB164_209 Depth=1
	s_delay_alu instid0(SALU_CYCLE_1) | instskip(NEXT) | instid1(SALU_CYCLE_1)
	s_or_b32 exec_lo, exec_lo, s23
	s_mov_b32 s23, exec_lo
	v_cmpx_lt_u32_e32 0xffffff, v36
	s_cbranch_execz .LBB164_310
; %bb.303:                              ;   in Loop: Header=BB164_209 Depth=1
	v_mov_b64_e32 v[32:33], 0x8000000000000000
	v_lshrrev_b32_e32 v37, 24, v36
	s_mov_b32 s24, exec_lo
	s_delay_alu instid0(VALU_DEP_1)
	v_cmpx_ne_u32_e32 0x80, v37
	s_cbranch_execz .LBB164_309
; %bb.304:                              ;   in Loop: Header=BB164_209 Depth=1
	v_mov_b64_e32 v[32:33], 0x7f80000100000000
	v_bfe_u32 v36, v36, 24, 7
	s_mov_b32 s25, exec_lo
	s_delay_alu instid0(VALU_DEP_1)
	v_cmpx_ne_u32_e32 0x7f, v36
	s_cbranch_execz .LBB164_308
; %bb.305:                              ;   in Loop: Header=BB164_209 Depth=1
	v_dual_lshrrev_b32 v32, 3, v36 :: v_dual_bitop2_b32 v10, 7, v37 bitop3:0x40
	s_mov_b32 s27, exec_lo
	v_cmpx_gt_u32_e32 8, v36
; %bb.306:                              ;   in Loop: Header=BB164_209 Depth=1
	s_delay_alu instid0(VALU_DEP_2) | instskip(NEXT) | instid1(VALU_DEP_1)
	v_clz_i32_u32_e32 v32, v10
	v_min_u32_e32 v32, 32, v32
	s_delay_alu instid0(VALU_DEP_1) | instskip(NEXT) | instid1(VALU_DEP_1)
	v_subrev_nc_u32_e32 v33, 28, v32
	v_lshlrev_b64_e32 v[38:39], v33, v[10:11]
	s_delay_alu instid0(VALU_DEP_1)
	v_dual_sub_nc_u32 v32, 29, v32 :: v_dual_bitop2_b32 v10, 7, v38 bitop3:0x40
; %bb.307:                              ;   in Loop: Header=BB164_209 Depth=1
	s_or_b32 exec_lo, exec_lo, s27
	s_delay_alu instid0(VALU_DEP_1) | instskip(NEXT) | instid1(VALU_DEP_2)
	v_dual_lshlrev_b32 v33, 24, v37 :: v_dual_lshlrev_b32 v10, 20, v10
	v_lshl_add_u32 v32, v32, 23, 0x3c000000
	s_delay_alu instid0(VALU_DEP_2) | instskip(NEXT) | instid1(VALU_DEP_1)
	v_and_b32_e32 v33, 0x80000000, v33
	v_or3_b32 v33, v10, v33, v32
	v_mov_b32_e32 v32, v11
.LBB164_308:                            ;   in Loop: Header=BB164_209 Depth=1
	s_or_b32 exec_lo, exec_lo, s25
.LBB164_309:                            ;   in Loop: Header=BB164_209 Depth=1
	s_delay_alu instid0(SALU_CYCLE_1)
	s_or_b32 exec_lo, exec_lo, s24
.LBB164_310:                            ;   in Loop: Header=BB164_209 Depth=1
	s_delay_alu instid0(SALU_CYCLE_1)
	s_or_b32 exec_lo, exec_lo, s23
	v_mov_b64_e32 v[36:37], s[8:9]
	v_or_b32_e32 v29, v29, v31
	v_or_b32_e32 v28, v28, v30
	;; [unrolled: 1-line block ×4, first 2 shown]
	s_delay_alu instid0(VALU_DEP_3) | instskip(NEXT) | instid1(VALU_DEP_2)
	v_pk_mul_f32 v[30:31], v[36:37], v[28:29]
	v_pk_mul_f32 v[28:29], v[36:37], v[32:33]
	s_and_saveexec_b32 s23, vcc_lo
	s_cbranch_execz .LBB164_312
; %bb.311:                              ;   in Loop: Header=BB164_209 Depth=1
	v_cmp_gt_i32_e64 s0, s34, v23
	s_delay_alu instid0(VALU_DEP_1) | instskip(SKIP_1) | instid1(VALU_DEP_1)
	v_cndmask_b32_e64 v30, 0, v30, s0
	v_cmp_gt_i32_e64 s0, s34, v49
	v_cndmask_b32_e64 v31, 0, v31, s0
	v_cmp_gt_i32_e64 s0, s34, v41
	s_delay_alu instid0(VALU_DEP_1) | instskip(SKIP_1) | instid1(VALU_DEP_1)
	v_cndmask_b32_e64 v28, 0, v28, s0
	v_cmp_gt_i32_e64 s0, s34, v40
	v_cndmask_b32_e64 v29, 0, v29, s0
.LBB164_312:                            ;   in Loop: Header=BB164_209 Depth=1
	s_or_b32 exec_lo, exec_lo, s23
	global_load_b32 v50, v[20:21], off offset:384
	v_mov_b64_e32 v[32:33], 0
	v_mov_b64_e32 v[34:35], 0
	s_mov_b32 s23, exec_lo
	s_wait_loadcnt 0x0
	v_and_b32_e32 v10, 0xff, v50
	s_delay_alu instid0(VALU_DEP_1)
	v_cmpx_ne_u16_e32 0, v10
	s_cbranch_execz .LBB164_320
; %bb.313:                              ;   in Loop: Header=BB164_209 Depth=1
	v_mov_b64_e32 v[34:35], 0x80000000
	s_mov_b32 s24, exec_lo
	v_cmpx_ne_u16_e32 0x80, v10
	s_cbranch_execz .LBB164_319
; %bb.314:                              ;   in Loop: Header=BB164_209 Depth=1
	v_mov_b64_e32 v[34:35], 0x7f800001
	v_and_b32_e32 v36, 0x7f, v50
	s_mov_b32 s25, exec_lo
	s_delay_alu instid0(VALU_DEP_1)
	v_cmpx_ne_u32_e32 0x7f, v36
	s_cbranch_execz .LBB164_318
; %bb.315:                              ;   in Loop: Header=BB164_209 Depth=1
	v_dual_lshrrev_b32 v34, 3, v36 :: v_dual_bitop2_b32 v10, 7, v50 bitop3:0x40
	s_mov_b32 s27, exec_lo
	v_cmpx_gt_u32_e32 8, v36
; %bb.316:                              ;   in Loop: Header=BB164_209 Depth=1
	s_delay_alu instid0(VALU_DEP_2) | instskip(NEXT) | instid1(VALU_DEP_1)
	v_clz_i32_u32_e32 v34, v10
	v_min_u32_e32 v34, 32, v34
	s_delay_alu instid0(VALU_DEP_1) | instskip(NEXT) | instid1(VALU_DEP_1)
	v_subrev_nc_u32_e32 v35, 28, v34
	v_lshlrev_b64_e32 v[36:37], v35, v[10:11]
	s_delay_alu instid0(VALU_DEP_1)
	v_dual_sub_nc_u32 v34, 29, v34 :: v_dual_bitop2_b32 v10, 7, v36 bitop3:0x40
; %bb.317:                              ;   in Loop: Header=BB164_209 Depth=1
	s_or_b32 exec_lo, exec_lo, s27
	v_lshlrev_b32_e32 v35, 24, v50
	s_delay_alu instid0(VALU_DEP_2) | instskip(NEXT) | instid1(VALU_DEP_3)
	v_lshlrev_b32_e32 v10, 20, v10
	v_lshl_add_u32 v34, v34, 23, 0x3c000000
	s_delay_alu instid0(VALU_DEP_3) | instskip(NEXT) | instid1(VALU_DEP_1)
	v_and_b32_e32 v35, 0x80000000, v35
	v_or3_b32 v10, v10, v35, v34
	s_delay_alu instid0(VALU_DEP_1)
	v_mov_b64_e32 v[34:35], v[10:11]
.LBB164_318:                            ;   in Loop: Header=BB164_209 Depth=1
	s_or_b32 exec_lo, exec_lo, s25
.LBB164_319:                            ;   in Loop: Header=BB164_209 Depth=1
	s_delay_alu instid0(SALU_CYCLE_1)
	s_or_b32 exec_lo, exec_lo, s24
.LBB164_320:                            ;   in Loop: Header=BB164_209 Depth=1
	s_delay_alu instid0(SALU_CYCLE_1) | instskip(SKIP_2) | instid1(VALU_DEP_1)
	s_or_b32 exec_lo, exec_lo, s23
	v_lshrrev_b16 v10, 8, v50
	s_mov_b32 s23, exec_lo
	v_cmpx_ne_u16_e32 0, v10
	s_cbranch_execz .LBB164_328
; %bb.321:                              ;   in Loop: Header=BB164_209 Depth=1
	v_mov_b64_e32 v[32:33], 0x8000000000000000
	s_mov_b32 s24, exec_lo
	v_cmpx_ne_u16_e32 0x80, v10
	s_cbranch_execz .LBB164_327
; %bb.322:                              ;   in Loop: Header=BB164_209 Depth=1
	v_and_b32_e32 v10, 0xffff, v10
	v_mov_b64_e32 v[32:33], 0x7f80000100000000
	s_mov_b32 s25, exec_lo
	s_delay_alu instid0(VALU_DEP_2) | instskip(NEXT) | instid1(VALU_DEP_1)
	v_and_b32_e32 v36, 0x7f, v10
	v_cmpx_ne_u32_e32 0x7f, v36
	s_cbranch_execz .LBB164_326
; %bb.323:                              ;   in Loop: Header=BB164_209 Depth=1
	v_dual_lshrrev_b32 v32, 3, v36 :: v_dual_bitop2_b32 v10, 7, v10 bitop3:0x40
	s_mov_b32 s27, exec_lo
	v_cmpx_gt_u32_e32 8, v36
; %bb.324:                              ;   in Loop: Header=BB164_209 Depth=1
	s_delay_alu instid0(VALU_DEP_2) | instskip(NEXT) | instid1(VALU_DEP_1)
	v_clz_i32_u32_e32 v32, v10
	v_min_u32_e32 v32, 32, v32
	s_delay_alu instid0(VALU_DEP_1) | instskip(SKIP_1) | instid1(VALU_DEP_2)
	v_subrev_nc_u32_e32 v33, 28, v32
	v_sub_nc_u32_e32 v32, 29, v32
	v_lshlrev_b64_e32 v[36:37], v33, v[10:11]
	s_delay_alu instid0(VALU_DEP_1)
	v_and_b32_e32 v10, 7, v36
; %bb.325:                              ;   in Loop: Header=BB164_209 Depth=1
	s_or_b32 exec_lo, exec_lo, s27
	v_lshlrev_b32_e32 v33, 16, v50
	s_delay_alu instid0(VALU_DEP_2) | instskip(SKIP_1) | instid1(VALU_DEP_3)
	v_lshlrev_b32_e32 v10, 20, v10
	v_lshl_add_u32 v32, v32, 23, 0x3c000000
	v_and_b32_e32 v33, 0x80000000, v33
	s_delay_alu instid0(VALU_DEP_1)
	v_or3_b32 v33, v10, v33, v32
	v_mov_b32_e32 v32, v11
.LBB164_326:                            ;   in Loop: Header=BB164_209 Depth=1
	s_or_b32 exec_lo, exec_lo, s25
.LBB164_327:                            ;   in Loop: Header=BB164_209 Depth=1
	s_delay_alu instid0(SALU_CYCLE_1)
	s_or_b32 exec_lo, exec_lo, s24
.LBB164_328:                            ;   in Loop: Header=BB164_209 Depth=1
	s_delay_alu instid0(SALU_CYCLE_1) | instskip(SKIP_4) | instid1(VALU_DEP_3)
	s_or_b32 exec_lo, exec_lo, s23
	v_lshrrev_b32_e32 v51, 16, v50
	v_mov_b64_e32 v[36:37], 0
	v_mov_b64_e32 v[38:39], 0
	s_mov_b32 s23, exec_lo
	v_and_b32_e32 v10, 0xff, v51
	s_delay_alu instid0(VALU_DEP_1)
	v_cmpx_ne_u16_e32 0, v10
	s_cbranch_execz .LBB164_336
; %bb.329:                              ;   in Loop: Header=BB164_209 Depth=1
	v_mov_b64_e32 v[38:39], 0x80000000
	s_mov_b32 s24, exec_lo
	v_cmpx_ne_u16_e32 0x80, v10
	s_cbranch_execz .LBB164_335
; %bb.330:                              ;   in Loop: Header=BB164_209 Depth=1
	v_mov_b64_e32 v[38:39], 0x7f800001
	v_bfe_u32 v52, v50, 16, 7
	s_mov_b32 s25, exec_lo
	s_delay_alu instid0(VALU_DEP_1)
	v_cmpx_ne_u32_e32 0x7f, v52
	s_cbranch_execz .LBB164_334
; %bb.331:                              ;   in Loop: Header=BB164_209 Depth=1
	v_dual_lshrrev_b32 v38, 3, v52 :: v_dual_bitop2_b32 v10, 7, v51 bitop3:0x40
	s_mov_b32 s27, exec_lo
	v_cmpx_gt_u32_e32 8, v52
; %bb.332:                              ;   in Loop: Header=BB164_209 Depth=1
	s_delay_alu instid0(VALU_DEP_2) | instskip(NEXT) | instid1(VALU_DEP_1)
	v_clz_i32_u32_e32 v38, v10
	v_min_u32_e32 v38, 32, v38
	s_delay_alu instid0(VALU_DEP_1) | instskip(NEXT) | instid1(VALU_DEP_1)
	v_subrev_nc_u32_e32 v39, 28, v38
	v_lshlrev_b64_e32 v[52:53], v39, v[10:11]
	s_delay_alu instid0(VALU_DEP_1)
	v_dual_sub_nc_u32 v38, 29, v38 :: v_dual_bitop2_b32 v10, 7, v52 bitop3:0x40
; %bb.333:                              ;   in Loop: Header=BB164_209 Depth=1
	s_or_b32 exec_lo, exec_lo, s27
	s_delay_alu instid0(VALU_DEP_1) | instskip(NEXT) | instid1(VALU_DEP_2)
	v_dual_lshlrev_b32 v39, 24, v51 :: v_dual_lshlrev_b32 v10, 20, v10
	v_lshl_add_u32 v38, v38, 23, 0x3c000000
	s_delay_alu instid0(VALU_DEP_2) | instskip(NEXT) | instid1(VALU_DEP_1)
	v_and_b32_e32 v39, 0x80000000, v39
	v_or3_b32 v10, v10, v39, v38
	s_delay_alu instid0(VALU_DEP_1)
	v_mov_b64_e32 v[38:39], v[10:11]
.LBB164_334:                            ;   in Loop: Header=BB164_209 Depth=1
	s_or_b32 exec_lo, exec_lo, s25
.LBB164_335:                            ;   in Loop: Header=BB164_209 Depth=1
	s_delay_alu instid0(SALU_CYCLE_1)
	s_or_b32 exec_lo, exec_lo, s24
.LBB164_336:                            ;   in Loop: Header=BB164_209 Depth=1
	s_delay_alu instid0(SALU_CYCLE_1) | instskip(NEXT) | instid1(SALU_CYCLE_1)
	s_or_b32 exec_lo, exec_lo, s23
	s_mov_b32 s23, exec_lo
	v_cmpx_lt_u32_e32 0xffffff, v50
	s_cbranch_execz .LBB164_344
; %bb.337:                              ;   in Loop: Header=BB164_209 Depth=1
	v_mov_b64_e32 v[36:37], 0x8000000000000000
	v_lshrrev_b32_e32 v51, 24, v50
	s_mov_b32 s24, exec_lo
	s_delay_alu instid0(VALU_DEP_1)
	v_cmpx_ne_u32_e32 0x80, v51
	s_cbranch_execz .LBB164_343
; %bb.338:                              ;   in Loop: Header=BB164_209 Depth=1
	v_mov_b64_e32 v[36:37], 0x7f80000100000000
	v_bfe_u32 v50, v50, 24, 7
	s_mov_b32 s25, exec_lo
	s_delay_alu instid0(VALU_DEP_1)
	v_cmpx_ne_u32_e32 0x7f, v50
	s_cbranch_execz .LBB164_342
; %bb.339:                              ;   in Loop: Header=BB164_209 Depth=1
	v_dual_lshrrev_b32 v36, 3, v50 :: v_dual_bitop2_b32 v10, 7, v51 bitop3:0x40
	s_mov_b32 s27, exec_lo
	v_cmpx_gt_u32_e32 8, v50
; %bb.340:                              ;   in Loop: Header=BB164_209 Depth=1
	s_delay_alu instid0(VALU_DEP_2) | instskip(NEXT) | instid1(VALU_DEP_1)
	v_clz_i32_u32_e32 v36, v10
	v_min_u32_e32 v36, 32, v36
	s_delay_alu instid0(VALU_DEP_1) | instskip(SKIP_1) | instid1(VALU_DEP_2)
	v_subrev_nc_u32_e32 v37, 28, v36
	v_sub_nc_u32_e32 v36, 29, v36
	v_lshlrev_b64_e32 v[52:53], v37, v[10:11]
	s_delay_alu instid0(VALU_DEP_1)
	v_and_b32_e32 v10, 7, v52
; %bb.341:                              ;   in Loop: Header=BB164_209 Depth=1
	s_or_b32 exec_lo, exec_lo, s27
	s_delay_alu instid0(VALU_DEP_1) | instskip(SKIP_1) | instid1(VALU_DEP_2)
	v_dual_lshlrev_b32 v37, 24, v51 :: v_dual_lshlrev_b32 v10, 20, v10
	v_lshl_add_u32 v36, v36, 23, 0x3c000000
	v_and_b32_e32 v37, 0x80000000, v37
	s_delay_alu instid0(VALU_DEP_1)
	v_or3_b32 v37, v10, v37, v36
	v_mov_b32_e32 v36, v11
.LBB164_342:                            ;   in Loop: Header=BB164_209 Depth=1
	s_or_b32 exec_lo, exec_lo, s25
.LBB164_343:                            ;   in Loop: Header=BB164_209 Depth=1
	s_delay_alu instid0(SALU_CYCLE_1)
	s_or_b32 exec_lo, exec_lo, s24
.LBB164_344:                            ;   in Loop: Header=BB164_209 Depth=1
	s_delay_alu instid0(SALU_CYCLE_1)
	s_or_b32 exec_lo, exec_lo, s23
	v_mov_b64_e32 v[50:51], s[8:9]
	v_or_b32_e32 v33, v33, v35
	v_or_b32_e32 v32, v32, v34
	;; [unrolled: 1-line block ×4, first 2 shown]
	s_delay_alu instid0(VALU_DEP_3) | instskip(NEXT) | instid1(VALU_DEP_2)
	v_pk_mul_f32 v[34:35], v[50:51], v[32:33]
	v_pk_mul_f32 v[32:33], v[50:51], v[36:37]
	s_and_saveexec_b32 s23, vcc_lo
	s_cbranch_execz .LBB164_346
; %bb.345:                              ;   in Loop: Header=BB164_209 Depth=1
	v_cmp_gt_i32_e64 s0, s34, v23
	s_delay_alu instid0(VALU_DEP_1) | instskip(SKIP_1) | instid1(VALU_DEP_1)
	v_cndmask_b32_e64 v34, 0, v34, s0
	v_cmp_gt_i32_e64 s0, s34, v49
	v_cndmask_b32_e64 v35, 0, v35, s0
	v_cmp_gt_i32_e64 s0, s34, v41
	s_delay_alu instid0(VALU_DEP_1) | instskip(SKIP_1) | instid1(VALU_DEP_1)
	v_cndmask_b32_e64 v32, 0, v32, s0
	v_cmp_gt_i32_e64 s0, s34, v40
	v_cndmask_b32_e64 v33, 0, v33, s0
.LBB164_346:                            ;   in Loop: Header=BB164_209 Depth=1
	s_or_b32 exec_lo, exec_lo, s23
	global_load_b32 v50, v[20:21], off offset:512
	s_wait_xcnt 0x0
	v_mov_b64_e32 v[20:21], 0
	v_mov_b64_e32 v[36:37], 0
	s_mov_b32 s23, exec_lo
	s_wait_loadcnt 0x0
	v_and_b32_e32 v10, 0xff, v50
	s_delay_alu instid0(VALU_DEP_1)
	v_cmpx_ne_u16_e32 0, v10
	s_cbranch_execz .LBB164_354
; %bb.347:                              ;   in Loop: Header=BB164_209 Depth=1
	v_mov_b64_e32 v[36:37], 0x80000000
	s_mov_b32 s24, exec_lo
	v_cmpx_ne_u16_e32 0x80, v10
	s_cbranch_execz .LBB164_353
; %bb.348:                              ;   in Loop: Header=BB164_209 Depth=1
	v_mov_b64_e32 v[36:37], 0x7f800001
	v_and_b32_e32 v38, 0x7f, v50
	s_mov_b32 s25, exec_lo
	s_delay_alu instid0(VALU_DEP_1)
	v_cmpx_ne_u32_e32 0x7f, v38
	s_cbranch_execz .LBB164_352
; %bb.349:                              ;   in Loop: Header=BB164_209 Depth=1
	v_and_b32_e32 v10, 7, v50
	v_lshrrev_b32_e32 v36, 3, v38
	s_mov_b32 s27, exec_lo
	v_cmpx_gt_u32_e32 8, v38
; %bb.350:                              ;   in Loop: Header=BB164_209 Depth=1
	s_delay_alu instid0(VALU_DEP_3) | instskip(NEXT) | instid1(VALU_DEP_1)
	v_clz_i32_u32_e32 v36, v10
	v_min_u32_e32 v36, 32, v36
	s_delay_alu instid0(VALU_DEP_1) | instskip(NEXT) | instid1(VALU_DEP_1)
	v_subrev_nc_u32_e32 v37, 28, v36
	v_lshlrev_b64_e32 v[38:39], v37, v[10:11]
	s_delay_alu instid0(VALU_DEP_1)
	v_dual_sub_nc_u32 v36, 29, v36 :: v_dual_bitop2_b32 v10, 7, v38 bitop3:0x40
; %bb.351:                              ;   in Loop: Header=BB164_209 Depth=1
	s_or_b32 exec_lo, exec_lo, s27
	v_lshlrev_b32_e32 v37, 24, v50
	s_delay_alu instid0(VALU_DEP_2) | instskip(NEXT) | instid1(VALU_DEP_3)
	v_lshlrev_b32_e32 v10, 20, v10
	v_lshl_add_u32 v36, v36, 23, 0x3c000000
	s_delay_alu instid0(VALU_DEP_3) | instskip(NEXT) | instid1(VALU_DEP_1)
	v_and_b32_e32 v37, 0x80000000, v37
	v_or3_b32 v10, v10, v37, v36
	s_delay_alu instid0(VALU_DEP_1)
	v_mov_b64_e32 v[36:37], v[10:11]
.LBB164_352:                            ;   in Loop: Header=BB164_209 Depth=1
	s_or_b32 exec_lo, exec_lo, s25
.LBB164_353:                            ;   in Loop: Header=BB164_209 Depth=1
	s_delay_alu instid0(SALU_CYCLE_1)
	s_or_b32 exec_lo, exec_lo, s24
.LBB164_354:                            ;   in Loop: Header=BB164_209 Depth=1
	s_delay_alu instid0(SALU_CYCLE_1) | instskip(SKIP_2) | instid1(VALU_DEP_1)
	s_or_b32 exec_lo, exec_lo, s23
	v_lshrrev_b16 v10, 8, v50
	s_mov_b32 s23, exec_lo
	v_cmpx_ne_u16_e32 0, v10
	s_cbranch_execz .LBB164_362
; %bb.355:                              ;   in Loop: Header=BB164_209 Depth=1
	v_mov_b64_e32 v[20:21], 0x8000000000000000
	s_mov_b32 s24, exec_lo
	v_cmpx_ne_u16_e32 0x80, v10
	s_cbranch_execz .LBB164_361
; %bb.356:                              ;   in Loop: Header=BB164_209 Depth=1
	v_and_b32_e32 v10, 0xffff, v10
	v_mov_b64_e32 v[20:21], 0x7f80000100000000
	s_mov_b32 s25, exec_lo
	s_delay_alu instid0(VALU_DEP_2) | instskip(NEXT) | instid1(VALU_DEP_1)
	v_and_b32_e32 v38, 0x7f, v10
	v_cmpx_ne_u32_e32 0x7f, v38
	s_cbranch_execz .LBB164_360
; %bb.357:                              ;   in Loop: Header=BB164_209 Depth=1
	v_and_b32_e32 v10, 7, v10
	v_lshrrev_b32_e32 v20, 3, v38
	s_mov_b32 s27, exec_lo
	v_cmpx_gt_u32_e32 8, v38
; %bb.358:                              ;   in Loop: Header=BB164_209 Depth=1
	s_delay_alu instid0(VALU_DEP_3) | instskip(NEXT) | instid1(VALU_DEP_1)
	v_clz_i32_u32_e32 v20, v10
	v_min_u32_e32 v20, 32, v20
	s_delay_alu instid0(VALU_DEP_1) | instskip(NEXT) | instid1(VALU_DEP_1)
	v_subrev_nc_u32_e32 v21, 28, v20
	v_lshlrev_b64_e32 v[38:39], v21, v[10:11]
	s_delay_alu instid0(VALU_DEP_1)
	v_dual_sub_nc_u32 v20, 29, v20 :: v_dual_bitop2_b32 v10, 7, v38 bitop3:0x40
; %bb.359:                              ;   in Loop: Header=BB164_209 Depth=1
	s_or_b32 exec_lo, exec_lo, s27
	v_lshlrev_b32_e32 v21, 16, v50
	s_delay_alu instid0(VALU_DEP_2) | instskip(NEXT) | instid1(VALU_DEP_3)
	v_lshlrev_b32_e32 v10, 20, v10
	v_lshl_add_u32 v20, v20, 23, 0x3c000000
	s_delay_alu instid0(VALU_DEP_3) | instskip(NEXT) | instid1(VALU_DEP_1)
	v_and_b32_e32 v21, 0x80000000, v21
	v_or3_b32 v21, v10, v21, v20
	v_mov_b32_e32 v20, v11
.LBB164_360:                            ;   in Loop: Header=BB164_209 Depth=1
	s_or_b32 exec_lo, exec_lo, s25
.LBB164_361:                            ;   in Loop: Header=BB164_209 Depth=1
	s_delay_alu instid0(SALU_CYCLE_1)
	s_or_b32 exec_lo, exec_lo, s24
.LBB164_362:                            ;   in Loop: Header=BB164_209 Depth=1
	s_delay_alu instid0(SALU_CYCLE_1) | instskip(SKIP_4) | instid1(VALU_DEP_3)
	s_or_b32 exec_lo, exec_lo, s23
	v_lshrrev_b32_e32 v51, 16, v50
	v_mov_b64_e32 v[38:39], 0
	v_mov_b64_e32 v[40:41], 0
	s_mov_b32 s23, exec_lo
	v_and_b32_e32 v10, 0xff, v51
	s_delay_alu instid0(VALU_DEP_1)
	v_cmpx_ne_u16_e32 0, v10
	s_cbranch_execz .LBB164_370
; %bb.363:                              ;   in Loop: Header=BB164_209 Depth=1
	v_mov_b64_e32 v[40:41], 0x80000000
	s_mov_b32 s24, exec_lo
	v_cmpx_ne_u16_e32 0x80, v10
	s_cbranch_execz .LBB164_369
; %bb.364:                              ;   in Loop: Header=BB164_209 Depth=1
	v_mov_b64_e32 v[40:41], 0x7f800001
	v_bfe_u32 v52, v50, 16, 7
	s_mov_b32 s25, exec_lo
	s_delay_alu instid0(VALU_DEP_1)
	v_cmpx_ne_u32_e32 0x7f, v52
	s_cbranch_execz .LBB164_368
; %bb.365:                              ;   in Loop: Header=BB164_209 Depth=1
	v_dual_lshrrev_b32 v40, 3, v52 :: v_dual_bitop2_b32 v10, 7, v51 bitop3:0x40
	s_mov_b32 s27, exec_lo
	v_cmpx_gt_u32_e32 8, v52
; %bb.366:                              ;   in Loop: Header=BB164_209 Depth=1
	s_delay_alu instid0(VALU_DEP_2) | instskip(NEXT) | instid1(VALU_DEP_1)
	v_clz_i32_u32_e32 v40, v10
	v_min_u32_e32 v40, 32, v40
	s_delay_alu instid0(VALU_DEP_1) | instskip(SKIP_1) | instid1(VALU_DEP_2)
	v_subrev_nc_u32_e32 v41, 28, v40
	v_sub_nc_u32_e32 v40, 29, v40
	v_lshlrev_b64_e32 v[52:53], v41, v[10:11]
	s_delay_alu instid0(VALU_DEP_1)
	v_and_b32_e32 v10, 7, v52
; %bb.367:                              ;   in Loop: Header=BB164_209 Depth=1
	s_or_b32 exec_lo, exec_lo, s27
	s_delay_alu instid0(VALU_DEP_1) | instskip(SKIP_1) | instid1(VALU_DEP_2)
	v_dual_lshlrev_b32 v41, 24, v51 :: v_dual_lshlrev_b32 v10, 20, v10
	v_lshl_add_u32 v40, v40, 23, 0x3c000000
	v_and_b32_e32 v41, 0x80000000, v41
	s_delay_alu instid0(VALU_DEP_1) | instskip(NEXT) | instid1(VALU_DEP_1)
	v_or3_b32 v10, v10, v41, v40
	v_mov_b64_e32 v[40:41], v[10:11]
.LBB164_368:                            ;   in Loop: Header=BB164_209 Depth=1
	s_or_b32 exec_lo, exec_lo, s25
.LBB164_369:                            ;   in Loop: Header=BB164_209 Depth=1
	s_delay_alu instid0(SALU_CYCLE_1)
	s_or_b32 exec_lo, exec_lo, s24
.LBB164_370:                            ;   in Loop: Header=BB164_209 Depth=1
	s_delay_alu instid0(SALU_CYCLE_1) | instskip(NEXT) | instid1(SALU_CYCLE_1)
	s_or_b32 exec_lo, exec_lo, s23
	s_mov_b32 s23, exec_lo
	v_cmpx_lt_u32_e32 0xffffff, v50
	s_cbranch_execz .LBB164_378
; %bb.371:                              ;   in Loop: Header=BB164_209 Depth=1
	v_mov_b64_e32 v[38:39], 0x8000000000000000
	v_lshrrev_b32_e32 v51, 24, v50
	s_mov_b32 s24, exec_lo
	s_delay_alu instid0(VALU_DEP_1)
	v_cmpx_ne_u32_e32 0x80, v51
	s_cbranch_execz .LBB164_377
; %bb.372:                              ;   in Loop: Header=BB164_209 Depth=1
	v_mov_b64_e32 v[38:39], 0x7f80000100000000
	v_bfe_u32 v50, v50, 24, 7
	s_mov_b32 s25, exec_lo
	s_delay_alu instid0(VALU_DEP_1)
	v_cmpx_ne_u32_e32 0x7f, v50
	s_cbranch_execz .LBB164_376
; %bb.373:                              ;   in Loop: Header=BB164_209 Depth=1
	v_dual_lshrrev_b32 v38, 3, v50 :: v_dual_bitop2_b32 v10, 7, v51 bitop3:0x40
	s_mov_b32 s27, exec_lo
	v_cmpx_gt_u32_e32 8, v50
; %bb.374:                              ;   in Loop: Header=BB164_209 Depth=1
	s_delay_alu instid0(VALU_DEP_2) | instskip(NEXT) | instid1(VALU_DEP_1)
	v_clz_i32_u32_e32 v38, v10
	v_min_u32_e32 v38, 32, v38
	s_delay_alu instid0(VALU_DEP_1) | instskip(NEXT) | instid1(VALU_DEP_1)
	v_subrev_nc_u32_e32 v39, 28, v38
	v_lshlrev_b64_e32 v[52:53], v39, v[10:11]
	s_delay_alu instid0(VALU_DEP_1)
	v_dual_sub_nc_u32 v38, 29, v38 :: v_dual_bitop2_b32 v10, 7, v52 bitop3:0x40
; %bb.375:                              ;   in Loop: Header=BB164_209 Depth=1
	s_or_b32 exec_lo, exec_lo, s27
	s_delay_alu instid0(VALU_DEP_1) | instskip(NEXT) | instid1(VALU_DEP_2)
	v_dual_lshlrev_b32 v39, 24, v51 :: v_dual_lshlrev_b32 v10, 20, v10
	v_lshl_add_u32 v38, v38, 23, 0x3c000000
	s_delay_alu instid0(VALU_DEP_2) | instskip(NEXT) | instid1(VALU_DEP_1)
	v_and_b32_e32 v39, 0x80000000, v39
	v_or3_b32 v39, v10, v39, v38
	v_mov_b32_e32 v38, v11
.LBB164_376:                            ;   in Loop: Header=BB164_209 Depth=1
	s_or_b32 exec_lo, exec_lo, s25
.LBB164_377:                            ;   in Loop: Header=BB164_209 Depth=1
	s_delay_alu instid0(SALU_CYCLE_1)
	s_or_b32 exec_lo, exec_lo, s24
.LBB164_378:                            ;   in Loop: Header=BB164_209 Depth=1
	s_delay_alu instid0(SALU_CYCLE_1)
	s_or_b32 exec_lo, exec_lo, s23
	v_mov_b64_e32 v[50:51], s[8:9]
	v_or_b32_e32 v21, v21, v37
	v_or_b32_e32 v20, v20, v36
	;; [unrolled: 1-line block ×4, first 2 shown]
	s_delay_alu instid0(VALU_DEP_3) | instskip(NEXT) | instid1(VALU_DEP_2)
	v_pk_mul_f32 v[36:37], v[50:51], v[20:21]
	v_pk_mul_f32 v[20:21], v[50:51], v[38:39]
	s_and_saveexec_b32 s0, vcc_lo
	s_cbranch_execz .LBB164_207
; %bb.379:                              ;   in Loop: Header=BB164_209 Depth=1
	v_cmp_gt_i32_e32 vcc_lo, s18, v49
	v_dual_cndmask_b32 v37, 0, v37, vcc_lo :: v_dual_bitop2_b32 v10, 3, v23 bitop3:0x54
	v_cmp_gt_i32_e32 vcc_lo, s34, v23
	v_dual_cndmask_b32 v36, 0, v36, vcc_lo :: v_dual_bitop2_b32 v38, 2, v23 bitop3:0x54
	s_delay_alu instid0(VALU_DEP_3) | instskip(SKIP_1) | instid1(VALU_DEP_3)
	v_cmp_gt_i32_e32 vcc_lo, s18, v10
	v_cndmask_b32_e32 v21, 0, v21, vcc_lo
	v_cmp_gt_i32_e32 vcc_lo, s34, v38
	v_cndmask_b32_e32 v20, 0, v20, vcc_lo
	s_branch .LBB164_207
.LBB164_380:
	s_or_b32 exec_lo, exec_lo, s19
.LBB164_381:
	s_delay_alu instid0(SALU_CYCLE_1)
	s_or_b32 exec_lo, exec_lo, s1
	ds_bpermute_b32 v2, v43, v8
	ds_bpermute_b32 v3, v43, v9
	;; [unrolled: 1-line block ×4, first 2 shown]
	v_and_b32_e32 v14, 0x3c1, v0
	v_lshrrev_b32_e32 v10, 1, v42
	s_mov_b32 s0, exec_lo
	ds_bpermute_b32 v11, v43, v45
	s_wait_dscnt 0x0
	s_barrier_signal -1
	s_barrier_wait -1
	v_pk_add_f32 v[4:5], v[8:9], v[2:3]
	v_pk_add_f32 v[2:3], v[6:7], v[12:13]
	v_cmpx_ne_u32_e32 64, v14
	s_xor_b32 s0, exec_lo, s0
	s_delay_alu instid0(SALU_CYCLE_1)
	s_or_saveexec_b32 s0, s0
	v_add_f32_e32 v6, v45, v11
	v_lshl_add_u32 v7, v10, 2, 0x160
	v_mul_u32_u24_e32 v1, 0x140, v1
	s_xor_b32 exec_lo, exec_lo, s0
	s_cbranch_execz .LBB164_383
; %bb.382:
	s_delay_alu instid0(VALU_DEP_1) | instskip(NEXT) | instid1(VALU_DEP_1)
	v_add_nc_u32_e32 v8, v7, v1
	v_add_nc_u32_e32 v9, 0xfffffd80, v8
	;; [unrolled: 1-line block ×6, first 2 shown]
	ds_store_b32 v9, v4
	ds_store_b32 v11, v5
	;; [unrolled: 1-line block ×5, first 2 shown]
.LBB164_383:
	s_or_b32 exec_lo, exec_lo, s0
	v_lshlrev_b32_e32 v8, 2, v10
	s_mov_b32 s1, exec_lo
	v_cmp_eq_u32_e32 vcc_lo, 0, v44
	s_wait_dscnt 0x0
	s_barrier_signal -1
	v_add3_u32 v1, 0x160, v1, v8
	s_barrier_wait -1
	v_cmpx_gt_u32_e32 64, v0
	s_cbranch_execz .LBB164_391
; %bb.384:
	s_and_saveexec_b32 s0, vcc_lo
	s_cbranch_execnz .LBB164_404
; %bb.385:
	s_or_b32 exec_lo, exec_lo, s0
	s_and_saveexec_b32 s0, vcc_lo
	s_cbranch_execnz .LBB164_405
.LBB164_386:
	s_or_b32 exec_lo, exec_lo, s0
	s_and_saveexec_b32 s0, vcc_lo
	s_cbranch_execnz .LBB164_406
.LBB164_387:
	s_or_b32 exec_lo, exec_lo, s0
	s_and_saveexec_b32 s0, vcc_lo
	s_cbranch_execnz .LBB164_407
.LBB164_388:
	s_or_b32 exec_lo, exec_lo, s0
	s_and_saveexec_b32 s0, vcc_lo
	s_cbranch_execz .LBB164_390
.LBB164_389:
	ds_load_b32 v8, v1 offset:256
	s_wait_dscnt 0x0
	v_add_f32_e32 v6, v6, v8
.LBB164_390:
	s_or_b32 exec_lo, exec_lo, s0
.LBB164_391:
	s_delay_alu instid0(SALU_CYCLE_1) | instskip(SKIP_4) | instid1(VALU_DEP_1)
	s_or_b32 exec_lo, exec_lo, s1
	v_and_b32_e32 v8, 0x3e1, v0
	s_mov_b32 s1, exec_lo
	s_barrier_signal -1
	s_barrier_wait -1
	v_cmpx_eq_u32_e32 32, v8
	s_cbranch_execz .LBB164_393
; %bb.392:
	ds_store_2addr_b32 v7, v4, v5 offset1:16
	ds_store_2addr_b32 v7, v2, v3 offset0:32 offset1:48
	ds_store_b32 v7, v6 offset:256
.LBB164_393:
	s_or_b32 exec_lo, exec_lo, s1
	s_delay_alu instid0(SALU_CYCLE_1)
	s_mov_b32 s1, exec_lo
	s_wait_dscnt 0x0
	s_barrier_signal -1
	s_barrier_wait -1
	v_cmpx_gt_u32_e32 32, v0
	s_cbranch_execz .LBB164_401
; %bb.394:
	s_and_saveexec_b32 s0, vcc_lo
	s_cbranch_execnz .LBB164_408
; %bb.395:
	s_or_b32 exec_lo, exec_lo, s0
	s_and_saveexec_b32 s0, vcc_lo
	s_cbranch_execnz .LBB164_409
.LBB164_396:
	s_or_b32 exec_lo, exec_lo, s0
	s_and_saveexec_b32 s0, vcc_lo
	s_cbranch_execnz .LBB164_410
.LBB164_397:
	s_or_b32 exec_lo, exec_lo, s0
	s_and_saveexec_b32 s0, vcc_lo
	s_cbranch_execnz .LBB164_411
.LBB164_398:
	s_or_b32 exec_lo, exec_lo, s0
	s_and_saveexec_b32 s0, vcc_lo
	s_cbranch_execz .LBB164_400
.LBB164_399:
	ds_load_b32 v1, v1 offset:256
	s_wait_dscnt 0x0
	v_add_f32_e32 v6, v6, v1
.LBB164_400:
	s_or_b32 exec_lo, exec_lo, s0
.LBB164_401:
	s_delay_alu instid0(SALU_CYCLE_1)
	s_or_b32 exec_lo, exec_lo, s1
	s_mov_b32 s1, 0
	s_barrier_signal -1
	s_barrier_wait -1
	s_mov_b32 s0, exec_lo
	v_cmpx_eq_u32_e32 0, v8
	s_cbranch_execz .LBB164_403
; %bb.402:
	s_mul_i32 s0, s33, s7
	s_mul_i32 s2, s7, s6
	;; [unrolled: 1-line block ×3, first 2 shown]
	s_wait_kmcnt 0x0
	s_lshr_b32 s8, ttmp7, 16
	s_mul_i32 s6, s0, 0x50
	s_bfe_u32 s0, ttmp6, 0x40014
	s_ashr_i32 s7, s6, 31
	s_add_co_i32 s0, s0, 1
	s_lshl_b64 s[6:7], s[6:7], 2
	s_ashr_i32 s3, s2, 31
	s_add_nc_u64 s[4:5], s[4:5], s[6:7]
	s_mul_i32 s0, s8, s0
	s_bfe_u32 s6, ttmp6, 0x40008
	s_lshl_b64 s[2:3], s[2:3], 2
	s_add_co_i32 s6, s6, s0
	s_cmp_eq_u32 s30, 0
	v_lshlrev_b32_e32 v0, 1, v0
	s_cselect_b32 s0, s8, s6
	s_add_nc_u64 s[2:3], s[4:5], s[2:3]
	s_mulk_i32 s0, 0x140
	s_delay_alu instid0(SALU_CYCLE_1)
	s_add_nc_u64 s[0:1], s[2:3], s[0:1]
	s_clause 0x4
	global_store_b32 v0, v4, s[0:1]
	global_store_b32 v0, v5, s[0:1] offset:64
	global_store_b32 v0, v2, s[0:1] offset:128
	;; [unrolled: 1-line block ×4, first 2 shown]
.LBB164_403:
	s_endpgm
.LBB164_404:
	ds_load_b32 v8, v1
	s_wait_dscnt 0x0
	v_add_f32_e32 v4, v4, v8
	s_or_b32 exec_lo, exec_lo, s0
	s_and_saveexec_b32 s0, vcc_lo
	s_cbranch_execz .LBB164_386
.LBB164_405:
	ds_load_b32 v8, v1 offset:64
	s_wait_dscnt 0x0
	v_add_f32_e32 v5, v5, v8
	s_or_b32 exec_lo, exec_lo, s0
	s_and_saveexec_b32 s0, vcc_lo
	s_cbranch_execz .LBB164_387
.LBB164_406:
	ds_load_b32 v8, v1 offset:128
	s_wait_dscnt 0x0
	v_add_f32_e32 v2, v2, v8
	s_or_b32 exec_lo, exec_lo, s0
	s_and_saveexec_b32 s0, vcc_lo
	s_cbranch_execz .LBB164_388
.LBB164_407:
	ds_load_b32 v8, v1 offset:192
	s_wait_dscnt 0x0
	v_add_f32_e32 v3, v3, v8
	s_or_b32 exec_lo, exec_lo, s0
	s_and_saveexec_b32 s0, vcc_lo
	s_cbranch_execnz .LBB164_389
	s_branch .LBB164_390
.LBB164_408:
	ds_load_b32 v7, v1
	s_wait_dscnt 0x0
	v_add_f32_e32 v4, v4, v7
	s_or_b32 exec_lo, exec_lo, s0
	s_and_saveexec_b32 s0, vcc_lo
	s_cbranch_execz .LBB164_396
.LBB164_409:
	ds_load_b32 v7, v1 offset:64
	s_wait_dscnt 0x0
	v_add_f32_e32 v5, v5, v7
	s_or_b32 exec_lo, exec_lo, s0
	s_and_saveexec_b32 s0, vcc_lo
	s_cbranch_execz .LBB164_397
.LBB164_410:
	ds_load_b32 v7, v1 offset:128
	s_wait_dscnt 0x0
	v_add_f32_e32 v2, v2, v7
	s_or_b32 exec_lo, exec_lo, s0
	s_and_saveexec_b32 s0, vcc_lo
	s_cbranch_execz .LBB164_398
.LBB164_411:
	ds_load_b32 v7, v1 offset:192
	s_wait_dscnt 0x0
	v_add_f32_e32 v3, v3, v7
	s_or_b32 exec_lo, exec_lo, s0
	s_and_saveexec_b32 s0, vcc_lo
	s_cbranch_execnz .LBB164_399
	s_branch .LBB164_400
	.section	.rodata,"a",@progbits
	.p2align	6, 0x0
	.amdhsa_kernel _ZN4vllm25paged_attention_v1_kernelIfhLi80ELi8ELi128ELNS_18Fp8KVCacheDataTypeE1ELb1EEEvPT_PKS2_PKT0_S8_ifPKiSA_iPKfiiiSC_SC_iiiii
		.amdhsa_group_segment_fixed_size 352
		.amdhsa_private_segment_fixed_size 0
		.amdhsa_kernarg_size 384
		.amdhsa_user_sgpr_count 2
		.amdhsa_user_sgpr_dispatch_ptr 0
		.amdhsa_user_sgpr_queue_ptr 0
		.amdhsa_user_sgpr_kernarg_segment_ptr 1
		.amdhsa_user_sgpr_dispatch_id 0
		.amdhsa_user_sgpr_kernarg_preload_length 0
		.amdhsa_user_sgpr_kernarg_preload_offset 0
		.amdhsa_user_sgpr_private_segment_size 0
		.amdhsa_wavefront_size32 1
		.amdhsa_uses_dynamic_stack 0
		.amdhsa_enable_private_segment 0
		.amdhsa_system_sgpr_workgroup_id_x 1
		.amdhsa_system_sgpr_workgroup_id_y 1
		.amdhsa_system_sgpr_workgroup_id_z 1
		.amdhsa_system_sgpr_workgroup_info 0
		.amdhsa_system_vgpr_workitem_id 0
		.amdhsa_next_free_vgpr 64
		.amdhsa_next_free_sgpr 46
		.amdhsa_named_barrier_count 0
		.amdhsa_reserve_vcc 1
		.amdhsa_float_round_mode_32 0
		.amdhsa_float_round_mode_16_64 0
		.amdhsa_float_denorm_mode_32 3
		.amdhsa_float_denorm_mode_16_64 3
		.amdhsa_fp16_overflow 0
		.amdhsa_memory_ordered 1
		.amdhsa_forward_progress 1
		.amdhsa_inst_pref_size 116
		.amdhsa_round_robin_scheduling 0
		.amdhsa_exception_fp_ieee_invalid_op 0
		.amdhsa_exception_fp_denorm_src 0
		.amdhsa_exception_fp_ieee_div_zero 0
		.amdhsa_exception_fp_ieee_overflow 0
		.amdhsa_exception_fp_ieee_underflow 0
		.amdhsa_exception_fp_ieee_inexact 0
		.amdhsa_exception_int_div_zero 0
	.end_amdhsa_kernel
	.section	.text._ZN4vllm25paged_attention_v1_kernelIfhLi80ELi8ELi128ELNS_18Fp8KVCacheDataTypeE1ELb1EEEvPT_PKS2_PKT0_S8_ifPKiSA_iPKfiiiSC_SC_iiiii,"axG",@progbits,_ZN4vllm25paged_attention_v1_kernelIfhLi80ELi8ELi128ELNS_18Fp8KVCacheDataTypeE1ELb1EEEvPT_PKS2_PKT0_S8_ifPKiSA_iPKfiiiSC_SC_iiiii,comdat
.Lfunc_end164:
	.size	_ZN4vllm25paged_attention_v1_kernelIfhLi80ELi8ELi128ELNS_18Fp8KVCacheDataTypeE1ELb1EEEvPT_PKS2_PKT0_S8_ifPKiSA_iPKfiiiSC_SC_iiiii, .Lfunc_end164-_ZN4vllm25paged_attention_v1_kernelIfhLi80ELi8ELi128ELNS_18Fp8KVCacheDataTypeE1ELb1EEEvPT_PKS2_PKT0_S8_ifPKiSA_iPKfiiiSC_SC_iiiii
                                        ; -- End function
	.set _ZN4vllm25paged_attention_v1_kernelIfhLi80ELi8ELi128ELNS_18Fp8KVCacheDataTypeE1ELb1EEEvPT_PKS2_PKT0_S8_ifPKiSA_iPKfiiiSC_SC_iiiii.num_vgpr, 64
	.set _ZN4vllm25paged_attention_v1_kernelIfhLi80ELi8ELi128ELNS_18Fp8KVCacheDataTypeE1ELb1EEEvPT_PKS2_PKT0_S8_ifPKiSA_iPKfiiiSC_SC_iiiii.num_agpr, 0
	.set _ZN4vllm25paged_attention_v1_kernelIfhLi80ELi8ELi128ELNS_18Fp8KVCacheDataTypeE1ELb1EEEvPT_PKS2_PKT0_S8_ifPKiSA_iPKfiiiSC_SC_iiiii.numbered_sgpr, 46
	.set _ZN4vllm25paged_attention_v1_kernelIfhLi80ELi8ELi128ELNS_18Fp8KVCacheDataTypeE1ELb1EEEvPT_PKS2_PKT0_S8_ifPKiSA_iPKfiiiSC_SC_iiiii.num_named_barrier, 0
	.set _ZN4vllm25paged_attention_v1_kernelIfhLi80ELi8ELi128ELNS_18Fp8KVCacheDataTypeE1ELb1EEEvPT_PKS2_PKT0_S8_ifPKiSA_iPKfiiiSC_SC_iiiii.private_seg_size, 0
	.set _ZN4vllm25paged_attention_v1_kernelIfhLi80ELi8ELi128ELNS_18Fp8KVCacheDataTypeE1ELb1EEEvPT_PKS2_PKT0_S8_ifPKiSA_iPKfiiiSC_SC_iiiii.uses_vcc, 1
	.set _ZN4vllm25paged_attention_v1_kernelIfhLi80ELi8ELi128ELNS_18Fp8KVCacheDataTypeE1ELb1EEEvPT_PKS2_PKT0_S8_ifPKiSA_iPKfiiiSC_SC_iiiii.uses_flat_scratch, 0
	.set _ZN4vllm25paged_attention_v1_kernelIfhLi80ELi8ELi128ELNS_18Fp8KVCacheDataTypeE1ELb1EEEvPT_PKS2_PKT0_S8_ifPKiSA_iPKfiiiSC_SC_iiiii.has_dyn_sized_stack, 0
	.set _ZN4vllm25paged_attention_v1_kernelIfhLi80ELi8ELi128ELNS_18Fp8KVCacheDataTypeE1ELb1EEEvPT_PKS2_PKT0_S8_ifPKiSA_iPKfiiiSC_SC_iiiii.has_recursion, 0
	.set _ZN4vllm25paged_attention_v1_kernelIfhLi80ELi8ELi128ELNS_18Fp8KVCacheDataTypeE1ELb1EEEvPT_PKS2_PKT0_S8_ifPKiSA_iPKfiiiSC_SC_iiiii.has_indirect_call, 0
	.section	.AMDGPU.csdata,"",@progbits
; Kernel info:
; codeLenInByte = 14840
; TotalNumSgprs: 48
; NumVgprs: 64
; ScratchSize: 0
; MemoryBound: 0
; FloatMode: 240
; IeeeMode: 1
; LDSByteSize: 352 bytes/workgroup (compile time only)
; SGPRBlocks: 0
; VGPRBlocks: 3
; NumSGPRsForWavesPerEU: 48
; NumVGPRsForWavesPerEU: 64
; NamedBarCnt: 0
; Occupancy: 16
; WaveLimiterHint : 1
; COMPUTE_PGM_RSRC2:SCRATCH_EN: 0
; COMPUTE_PGM_RSRC2:USER_SGPR: 2
; COMPUTE_PGM_RSRC2:TRAP_HANDLER: 0
; COMPUTE_PGM_RSRC2:TGID_X_EN: 1
; COMPUTE_PGM_RSRC2:TGID_Y_EN: 1
; COMPUTE_PGM_RSRC2:TGID_Z_EN: 1
; COMPUTE_PGM_RSRC2:TIDIG_COMP_CNT: 0
	.section	.text._ZN4vllm25paged_attention_v1_kernelIfhLi96ELi8ELi128ELNS_18Fp8KVCacheDataTypeE1ELb1EEEvPT_PKS2_PKT0_S8_ifPKiSA_iPKfiiiSC_SC_iiiii,"axG",@progbits,_ZN4vllm25paged_attention_v1_kernelIfhLi96ELi8ELi128ELNS_18Fp8KVCacheDataTypeE1ELb1EEEvPT_PKS2_PKT0_S8_ifPKiSA_iPKfiiiSC_SC_iiiii,comdat
	.protected	_ZN4vllm25paged_attention_v1_kernelIfhLi96ELi8ELi128ELNS_18Fp8KVCacheDataTypeE1ELb1EEEvPT_PKS2_PKT0_S8_ifPKiSA_iPKfiiiSC_SC_iiiii ; -- Begin function _ZN4vllm25paged_attention_v1_kernelIfhLi96ELi8ELi128ELNS_18Fp8KVCacheDataTypeE1ELb1EEEvPT_PKS2_PKT0_S8_ifPKiSA_iPKfiiiSC_SC_iiiii
	.globl	_ZN4vllm25paged_attention_v1_kernelIfhLi96ELi8ELi128ELNS_18Fp8KVCacheDataTypeE1ELb1EEEvPT_PKS2_PKT0_S8_ifPKiSA_iPKfiiiSC_SC_iiiii
	.p2align	8
	.type	_ZN4vllm25paged_attention_v1_kernelIfhLi96ELi8ELi128ELNS_18Fp8KVCacheDataTypeE1ELb1EEEvPT_PKS2_PKT0_S8_ifPKiSA_iPKfiiiSC_SC_iiiii,@function
_ZN4vllm25paged_attention_v1_kernelIfhLi96ELi8ELi128ELNS_18Fp8KVCacheDataTypeE1ELb1EEEvPT_PKS2_PKT0_S8_ifPKiSA_iPKfiiiSC_SC_iiiii: ; @_ZN4vllm25paged_attention_v1_kernelIfhLi96ELi8ELi128ELNS_18Fp8KVCacheDataTypeE1ELb1EEEvPT_PKS2_PKT0_S8_ifPKiSA_iPKfiiiSC_SC_iiiii
; %bb.0:
	s_load_b64 s[26:27], s[0:1], 0x20
	s_bfe_u32 s3, ttmp6, 0x4000c
	s_bfe_u32 s4, ttmp6, 0x40010
	s_and_b32 s6, ttmp7, 0xffff
	s_add_co_i32 s3, s3, 1
	s_add_co_i32 s4, s4, 1
	s_and_b32 s2, ttmp6, 15
	s_bfe_u32 s5, ttmp6, 0x40004
	s_mul_i32 s3, ttmp9, s3
	s_mul_i32 s4, s6, s4
	s_getreg_b32 s30, hwreg(HW_REG_IB_STS2, 6, 4)
	s_add_co_i32 s2, s2, s3
	s_add_co_i32 s3, s5, s4
	s_cmp_eq_u32 s30, 0
	s_clause 0x1
	s_load_b32 s31, s[0:1], 0x80
	s_load_b64 s[4:5], s[0:1], 0x30
	s_cselect_b32 s33, s6, s3
	s_cselect_b32 s2, ttmp9, s2
	s_wait_kmcnt 0x0
	s_abs_i32 s3, s26
	s_delay_alu instid0(SALU_CYCLE_1) | instskip(SKIP_1) | instid1(SALU_CYCLE_2)
	s_cvt_f32_u32 s6, s3
	s_sub_co_i32 s7, 0, s3
	v_rcp_iflag_f32_e32 v1, s6
	s_abs_i32 s8, s31
	v_nop
	s_delay_alu instid0(TRANS32_DEP_1) | instskip(SKIP_1) | instid1(SALU_CYCLE_3)
	v_readfirstlane_b32 s6, v1
	s_mul_f32 s6, s6, 0x4f7ffffe
	s_cvt_u32_f32 s6, s6
	s_delay_alu instid0(SALU_CYCLE_3) | instskip(NEXT) | instid1(SALU_CYCLE_1)
	s_mul_i32 s7, s7, s6
	s_mul_hi_u32 s7, s6, s7
	s_delay_alu instid0(SALU_CYCLE_1) | instskip(SKIP_4) | instid1(SALU_CYCLE_1)
	s_add_co_i32 s6, s6, s7
	s_xor_b32 s7, s31, s26
	s_mul_hi_u32 s6, s8, s6
	s_ashr_i32 s7, s7, 31
	s_mul_i32 s9, s6, s3
	s_sub_co_i32 s8, s8, s9
	s_add_co_i32 s9, s6, 1
	s_sub_co_i32 s10, s8, s3
	s_cmp_ge_u32 s8, s3
	s_cselect_b32 s6, s9, s6
	s_cselect_b32 s8, s10, s8
	s_add_co_i32 s9, s6, 1
	s_cmp_ge_u32 s8, s3
	s_load_b64 s[10:11], s[0:1], 0x40
	s_cselect_b32 s3, s9, s6
	s_mov_b32 s9, 0
	s_xor_b32 s3, s3, s7
	s_abs_i32 s8, s2
	s_sub_co_i32 s12, s3, s7
	s_mov_b32 s7, s9
	s_abs_i32 s19, s12
	s_mov_b32 s36, s9
	s_cvt_f32_u32 s3, s19
	s_sub_co_i32 s6, 0, s19
	s_delay_alu instid0(SALU_CYCLE_2) | instskip(SKIP_1) | instid1(TRANS32_DEP_1)
	v_rcp_iflag_f32_e32 v1, s3
	v_nop
	v_readfirstlane_b32 s3, v1
	s_mul_f32 s3, s3, 0x4f7ffffe
	s_delay_alu instid0(SALU_CYCLE_3) | instskip(NEXT) | instid1(SALU_CYCLE_3)
	s_cvt_u32_f32 s3, s3
	s_mul_i32 s6, s6, s3
	s_delay_alu instid0(SALU_CYCLE_1) | instskip(NEXT) | instid1(SALU_CYCLE_1)
	s_mul_hi_u32 s6, s3, s6
	s_add_co_i32 s6, s3, s6
	s_wait_kmcnt 0x0
	s_cmp_eq_u64 s[10:11], 0
	s_cbranch_scc1 .LBB165_2
; %bb.1:
	s_ashr_i32 s3, s2, 31
	s_delay_alu instid0(SALU_CYCLE_1) | instskip(NEXT) | instid1(SALU_CYCLE_1)
	s_lshl_b64 s[14:15], s[2:3], 2
	s_add_nc_u64 s[10:11], s[10:11], s[14:15]
	s_load_b32 s36, s[10:11], 0x0
.LBB165_2:
	s_load_b32 s34, s[4:5], s33 offset:0x0 scale_offset
	s_load_b96 s[16:18], s[0:1], 0x48
	v_and_b32_e32 v2, 3, v0
	s_wait_xcnt 0x0
	s_mul_u64 s[4:5], s[8:9], s[6:7]
	s_ashr_i32 s3, s2, 31
	s_ashr_i32 s10, s12, 31
	s_mul_i32 s6, s2, 0x60
	s_mov_b32 s4, exec_lo
	v_cmpx_gt_u32_e32 0x60, v0
	s_cbranch_execz .LBB165_4
; %bb.3:
	s_load_b64 s[12:13], s[0:1], 0x8
	s_wait_kmcnt 0x0
	s_mul_i32 s14, s16, s33
	s_ashr_i32 s7, s6, 31
	s_ashr_i32 s15, s14, 31
	v_and_b32_e32 v3, 0x3fc, v0
	s_lshl_b64 s[14:15], s[14:15], 2
	s_delay_alu instid0(VALU_DEP_1) | instskip(SKIP_2) | instid1(SALU_CYCLE_1)
	v_mad_u32_u24 v3, 0x60, v2, v3
	s_add_nc_u64 s[12:13], s[12:13], s[14:15]
	s_lshl_b64 s[14:15], s[6:7], 2
	s_add_nc_u64 s[12:13], s[12:13], s[14:15]
	global_load_b32 v1, v0, s[12:13] scale_offset
	s_wait_loadcnt 0x0
	ds_store_b32 v3, v1
.LBB165_4:
	s_or_b32 exec_lo, exec_lo, s4
	s_load_b128 s[12:15], s[0:1], 0x68
	s_mul_i32 s4, s5, s19
	s_xor_b32 s3, s3, s10
	s_sub_co_i32 s4, s8, s4
	s_add_co_i32 s7, s5, 1
	s_sub_co_i32 s8, s4, s19
	s_cmp_ge_u32 s4, s19
	s_mov_b32 s9, -1
	s_cselect_b32 s5, s7, s5
	s_cselect_b32 s4, s8, s4
	s_add_co_i32 s8, s5, 1
	s_cmp_ge_u32 s4, s19
	s_load_b32 s7, s[0:1], 0x78
	s_cselect_b32 s4, s8, s5
	s_wait_kmcnt 0x0
	s_add_co_i32 s8, s34, -1
	s_xor_b32 s4, s4, s3
	s_wait_dscnt 0x0
	s_sub_co_i32 s3, s4, s3
	s_barrier_signal -1
	s_barrier_wait -1
	s_abs_i32 s16, s15
	s_delay_alu instid0(SALU_CYCLE_1) | instskip(NEXT) | instid1(SALU_CYCLE_3)
	s_cvt_f32_u32 s5, s16
                                        ; implicit-def: $sgpr35
	v_rcp_iflag_f32_e32 v1, s5
	v_nop
	s_delay_alu instid0(TRANS32_DEP_1) | instskip(SKIP_1) | instid1(SALU_CYCLE_3)
	v_readfirstlane_b32 s5, v1
	s_mul_f32 s4, s5, 0x4f7ffffe
	s_cvt_u32_f32 s10, s4
	s_sub_co_i32 s4, 0, s16
	s_delay_alu instid0(SALU_CYCLE_2)
	s_mul_i32 s5, s4, s10
	s_abs_i32 s4, s8
	s_mul_hi_u32 s11, s10, s5
	s_mov_b32 s5, 0
	s_add_co_i32 s20, s10, s11
	s_cmp_lt_i32 s7, 0
	s_mov_b32 s21, s5
	s_cbranch_scc0 .LBB165_6
; %bb.5:
	s_mul_i32 s9, s12, s26
	s_delay_alu instid0(SALU_CYCLE_1) | instskip(NEXT) | instid1(SALU_CYCLE_1)
	s_add_co_i32 s9, s3, s9
	s_mul_i32 s9, s9, s7
	s_delay_alu instid0(SALU_CYCLE_1)
	s_sub_co_i32 s35, 1, s9
	s_mov_b32 s9, s5
.LBB165_6:
	s_ashr_i32 s8, s8, 31
	s_ashr_i32 s15, s15, 31
	s_and_not1_b32 vcc_lo, exec_lo, s9
	s_mul_u64 s[28:29], s[4:5], s[20:21]
	s_cbranch_vccnz .LBB165_8
; %bb.7:
	s_mul_i32 s5, s31, s12
	s_delay_alu instid0(SALU_CYCLE_1) | instskip(NEXT) | instid1(SALU_CYCLE_1)
	s_add_co_i32 s2, s5, s2
	s_mul_i32 s2, s2, s7
	s_delay_alu instid0(SALU_CYCLE_1)
	s_add_co_i32 s35, s2, 1
.LBB165_8:
	s_clause 0x1
	s_load_b32 s2, s[0:1], 0x38
	s_load_b64 s[22:23], s[0:1], 0x28
	s_mul_i32 s7, s29, s16
	s_xor_b32 s5, s8, s15
	s_sub_co_i32 s4, s4, s7
	s_add_co_i32 s12, s29, 1
	s_clause 0x1
	s_load_b32 s7, s[0:1], 0x88
	s_load_b128 s[8:11], s[0:1], 0x58
	v_dual_lshrrev_b32 v1, 5, v0 :: v_dual_lshrrev_b32 v27, 3, v0
	v_mov_b32_e32 v41, 0xff7fffff
	v_mbcnt_lo_u32_b32 v38, -1, 0
	s_mul_i32 s18, s3, s18
	s_delay_alu instid0(VALU_DEP_3)
	v_lshlrev_b32_e32 v26, 3, v1
	s_wait_kmcnt 0x0
	s_mul_i32 s24, s2, s33
	s_sub_co_i32 s2, s4, s16
	s_ashr_i32 s25, s24, 31
	s_cmp_ge_u32 s4, s16
	s_cselect_b32 s12, s12, s29
	s_cselect_b32 s2, s2, s4
	s_add_co_i32 s4, s12, 1
	s_cmp_ge_u32 s2, s16
	s_cselect_b32 s2, s4, s12
	s_add_co_i32 s4, s34, 7
	s_delay_alu instid0(SALU_CYCLE_1) | instskip(NEXT) | instid1(SALU_CYCLE_1)
	s_ashr_i32 s12, s4, 31
	s_lshr_b32 s12, s12, 29
	s_delay_alu instid0(SALU_CYCLE_1) | instskip(NEXT) | instid1(SALU_CYCLE_1)
	s_add_co_i32 s4, s4, s12
	s_ashr_i32 s12, s4, 3
	s_xor_b32 s4, s2, s5
	v_cmp_gt_i32_e64 s2, s12, v1
	s_sub_co_i32 s26, s4, s5
	s_and_saveexec_b32 s37, s2
	s_cbranch_execz .LBB165_212
; %bb.9:
	s_sub_co_i32 s38, s26, s13
	s_ashr_i32 s19, s18, 31
	s_cmp_neq_f32 s36, 0
	s_load_b64 s[4:5], s[0:1], 0x10
	v_bfe_u32 v39, v0, 2, 3
	v_dual_mov_b32 v29, 0 :: v_dual_lshlrev_b32 v30, 3, v1
	s_cselect_b32 vcc_lo, -1, 0
	s_abs_i32 s39, s14
	s_delay_alu instid0(VALU_DEP_1)
	v_dual_mov_b32 v3, v29 :: v_dual_lshlrev_b32 v28, 4, v39
	s_cvt_f32_u32 s28, s39
	v_subrev_nc_u32_e32 v6, s34, v39
	v_lshlrev_b32_e32 v5, 2, v39
	s_lshl_b64 s[40:41], s[24:25], 2
	v_rcp_iflag_f32_e32 v4, s28
	s_sub_co_i32 s42, 0, s39
	v_add_nc_u32_e32 v42, 1, v6
	v_lshl_or_b32 v7, v1, 5, v5
	v_cmp_eq_u32_e64 s3, 0, v2
	v_mul_u32_u24_e32 v40, 0x60, v2
	v_dual_mov_b32 v44, 0xff7fffff :: v_dual_mov_b32 v41, 0xff7fffff
	v_readfirstlane_b32 s28, v4
	s_wait_kmcnt 0x0
	s_add_nc_u64 s[4:5], s[4:5], s[18:19]
	v_add_nc_u32_e32 v43, 0x1a0, v7
	v_add_nc_u64_e32 v[4:5], s[4:5], v[28:29]
	v_and_b32_e32 v28, 0x7c, v27
	s_mul_f32 s19, s28, 0x4f7ffffe
	s_add_nc_u64 s[4:5], s[22:23], s[40:41]
	v_mov_b32_e32 v45, v1
	s_mov_b32 s29, 0
	s_cvt_u32_f32 s28, s19
	v_add_nc_u64_e32 v[32:33], s[4:5], v[28:29]
	v_add_nc_u64_e32 v[34:35], v[4:5], v[2:3]
	s_mov_b32 s19, s17
	s_mul_i32 s42, s42, s28
	s_mov_b32 s40, s29
	s_mul_hi_u32 s4, s28, s42
	s_delay_alu instid0(SALU_CYCLE_1)
	s_add_co_i32 s28, s28, s4
	s_branch .LBB165_12
.LBB165_10:                             ;   in Loop: Header=BB165_12 Depth=1
	s_or_b32 exec_lo, exec_lo, s41
.LBB165_11:                             ;   in Loop: Header=BB165_12 Depth=1
	s_delay_alu instid0(SALU_CYCLE_1) | instskip(SKIP_3) | instid1(VALU_DEP_3)
	s_or_b32 exec_lo, exec_lo, s5
	v_dual_add_nc_u32 v45, 4, v45 :: v_dual_add_nc_u32 v30, 32, v30
	v_add_nc_u64_e32 v[32:33], 16, v[32:33]
	v_add_nc_u32_e32 v43, 0x80, v43
	v_cmp_le_i32_e64 s4, s12, v45
	s_or_b32 s40, s4, s40
	s_delay_alu instid0(SALU_CYCLE_1)
	s_and_not1_b32 exec_lo, exec_lo, s40
	s_cbranch_execz .LBB165_211
.LBB165_12:                             ; =>This Inner Loop Header: Depth=1
	v_mov_b32_e32 v31, v29
	s_wait_dscnt 0x0
	s_delay_alu instid0(VALU_DEP_1) | instskip(NEXT) | instid1(VALU_DEP_1)
	v_mul_u64_e32 v[2:3], s[20:21], v[30:31]
	v_mul_lo_u32 v2, v3, s16
	s_delay_alu instid0(VALU_DEP_1) | instskip(NEXT) | instid1(VALU_DEP_1)
	v_sub_nc_u32_e32 v2, v30, v2
	v_subrev_nc_u32_e32 v5, s16, v2
	v_cmp_le_u32_e64 s4, s16, v2
	s_delay_alu instid0(VALU_DEP_1) | instskip(NEXT) | instid1(VALU_DEP_1)
	v_dual_add_nc_u32 v4, 1, v3 :: v_dual_cndmask_b32 v2, v2, v5, s4
	v_cndmask_b32_e64 v3, v3, v4, s4
	s_delay_alu instid0(VALU_DEP_2) | instskip(NEXT) | instid1(VALU_DEP_2)
	v_cmp_le_u32_e64 s4, s16, v2
	v_add_nc_u32_e32 v4, 1, v3
	s_delay_alu instid0(VALU_DEP_1) | instskip(NEXT) | instid1(VALU_DEP_1)
	v_cndmask_b32_e64 v2, v3, v4, s4
	v_xor_b32_e32 v2, s15, v2
	s_delay_alu instid0(VALU_DEP_1) | instskip(NEXT) | instid1(VALU_DEP_1)
	v_subrev_nc_u32_e32 v4, s15, v2
	v_add_nc_u32_e32 v5, s35, v4
	v_cmp_ge_i32_e64 s5, s38, v4
	s_delay_alu instid0(VALU_DEP_2) | instskip(NEXT) | instid1(VALU_DEP_1)
	v_sub_nc_u32_e32 v2, 0, v5
	v_dual_ashrrev_i32 v5, 31, v5 :: v_dual_max_i32 v28, v5, v2
	s_delay_alu instid0(VALU_DEP_1) | instskip(NEXT) | instid1(VALU_DEP_1)
	v_mul_u64_e32 v[2:3], s[28:29], v[28:29]
	v_mul_lo_u32 v2, v3, s39
	s_delay_alu instid0(VALU_DEP_1) | instskip(NEXT) | instid1(VALU_DEP_1)
	v_sub_nc_u32_e32 v2, v28, v2
	v_subrev_nc_u32_e32 v3, s39, v2
	v_cmp_le_u32_e64 s4, s39, v2
	s_delay_alu instid0(VALU_DEP_1) | instskip(NEXT) | instid1(VALU_DEP_1)
	v_cndmask_b32_e64 v2, v2, v3, s4
	v_subrev_nc_u32_e32 v3, s39, v2
	v_cmp_le_u32_e64 s4, s39, v2
	s_delay_alu instid0(VALU_DEP_1) | instskip(NEXT) | instid1(VALU_DEP_1)
	v_cndmask_b32_e64 v2, v2, v3, s4
	v_xor_b32_e32 v2, v2, v5
	s_delay_alu instid0(VALU_DEP_1) | instskip(NEXT) | instid1(VALU_DEP_1)
	v_sub_nc_u32_e32 v2, v2, v5
	v_cmp_ne_u32_e64 s4, 0, v2
	s_and_b32 s4, s4, s5
	s_delay_alu instid0(SALU_CYCLE_1) | instskip(NEXT) | instid1(SALU_CYCLE_1)
	s_and_saveexec_b32 s5, s4
	s_xor_b32 s4, exec_lo, s5
	s_cbranch_execz .LBB165_16
; %bb.13:                               ;   in Loop: Header=BB165_12 Depth=1
	s_and_saveexec_b32 s5, s3
; %bb.14:                               ;   in Loop: Header=BB165_12 Depth=1
	ds_store_b32 v43, v44
; %bb.15:                               ;   in Loop: Header=BB165_12 Depth=1
	s_or_b32 exec_lo, exec_lo, s5
.LBB165_16:                             ;   in Loop: Header=BB165_12 Depth=1
	s_and_not1_saveexec_b32 s5, s4
	s_cbranch_execz .LBB165_11
; %bb.17:                               ;   in Loop: Header=BB165_12 Depth=1
	global_load_b32 v2, v[32:33], off
	v_dual_mov_b32 v31, 0 :: v_dual_mov_b32 v46, 0
	s_mov_b32 s42, exec_lo
	s_wait_loadcnt 0x0
	v_mad_nc_i64_i32 v[36:37], v2, s19, v[34:35]
	global_load_u8 v47, v[36:37], off
	ds_load_b128 v[22:25], v40
	ds_load_b128 v[18:21], v40 offset:16
	ds_load_b128 v[14:17], v40 offset:32
	;; [unrolled: 1-line block ×5, first 2 shown]
	s_load_b32 s41, s[8:9], 0x0
	s_wait_loadcnt 0x0
	v_cmpx_ne_u16_e32 0, v47
	s_cbranch_execz .LBB165_25
; %bb.18:                               ;   in Loop: Header=BB165_12 Depth=1
	v_bfrev_b32_e32 v46, 1
	s_mov_b32 s43, exec_lo
	v_cmpx_ne_u16_e32 0x80, v47
	s_cbranch_execz .LBB165_24
; %bb.19:                               ;   in Loop: Header=BB165_12 Depth=1
	v_and_b32_e32 v28, 0xffff, v47
	v_mov_b32_e32 v46, 0x7f800001
	s_mov_b32 s44, exec_lo
	s_delay_alu instid0(VALU_DEP_2) | instskip(NEXT) | instid1(VALU_DEP_1)
	v_and_b32_e32 v48, 0x7f, v28
	v_cmpx_ne_u32_e32 0x7f, v48
	s_cbranch_execz .LBB165_23
; %bb.20:                               ;   in Loop: Header=BB165_12 Depth=1
	v_and_b32_e32 v28, 7, v28
	v_lshrrev_b32_e32 v46, 3, v48
	s_mov_b32 s45, exec_lo
	v_cmpx_gt_u32_e32 8, v48
; %bb.21:                               ;   in Loop: Header=BB165_12 Depth=1
	s_delay_alu instid0(VALU_DEP_3) | instskip(NEXT) | instid1(VALU_DEP_1)
	v_clz_i32_u32_e32 v46, v28
	v_min_u32_e32 v46, 32, v46
	s_delay_alu instid0(VALU_DEP_1) | instskip(NEXT) | instid1(VALU_DEP_1)
	v_subrev_nc_u32_e32 v48, 28, v46
	v_lshlrev_b64_e32 v[48:49], v48, v[28:29]
	s_delay_alu instid0(VALU_DEP_1)
	v_dual_sub_nc_u32 v46, 29, v46 :: v_dual_bitop2_b32 v28, 7, v48 bitop3:0x40
; %bb.22:                               ;   in Loop: Header=BB165_12 Depth=1
	s_or_b32 exec_lo, exec_lo, s45
	s_delay_alu instid0(VALU_DEP_1) | instskip(NEXT) | instid1(VALU_DEP_2)
	v_dual_lshlrev_b32 v47, 24, v47 :: v_dual_lshlrev_b32 v28, 20, v28
	v_lshl_add_u32 v46, v46, 23, 0x3c000000
	s_delay_alu instid0(VALU_DEP_2) | instskip(NEXT) | instid1(VALU_DEP_1)
	v_and_b32_e32 v47, 0x80000000, v47
	v_or3_b32 v46, v28, v47, v46
.LBB165_23:                             ;   in Loop: Header=BB165_12 Depth=1
	s_or_b32 exec_lo, exec_lo, s44
.LBB165_24:                             ;   in Loop: Header=BB165_12 Depth=1
	s_delay_alu instid0(SALU_CYCLE_1)
	s_or_b32 exec_lo, exec_lo, s43
.LBB165_25:                             ;   in Loop: Header=BB165_12 Depth=1
	s_delay_alu instid0(SALU_CYCLE_1)
	s_or_b32 exec_lo, exec_lo, s42
	global_load_u8 v47, v[36:37], off offset:4
	s_mov_b32 s42, exec_lo
	s_wait_loadcnt 0x0
	v_cmpx_ne_u16_e32 0, v47
	s_cbranch_execz .LBB165_33
; %bb.26:                               ;   in Loop: Header=BB165_12 Depth=1
	v_bfrev_b32_e32 v31, 1
	s_mov_b32 s43, exec_lo
	v_cmpx_ne_u16_e32 0x80, v47
	s_cbranch_execz .LBB165_32
; %bb.27:                               ;   in Loop: Header=BB165_12 Depth=1
	v_and_b32_e32 v28, 0xffff, v47
	v_mov_b32_e32 v31, 0x7f800001
	s_mov_b32 s44, exec_lo
	s_delay_alu instid0(VALU_DEP_2) | instskip(NEXT) | instid1(VALU_DEP_1)
	v_and_b32_e32 v48, 0x7f, v28
	v_cmpx_ne_u32_e32 0x7f, v48
	s_cbranch_execz .LBB165_31
; %bb.28:                               ;   in Loop: Header=BB165_12 Depth=1
	v_and_b32_e32 v28, 7, v28
	v_lshrrev_b32_e32 v31, 3, v48
	s_mov_b32 s45, exec_lo
	v_cmpx_gt_u32_e32 8, v48
; %bb.29:                               ;   in Loop: Header=BB165_12 Depth=1
	s_delay_alu instid0(VALU_DEP_3) | instskip(NEXT) | instid1(VALU_DEP_1)
	v_clz_i32_u32_e32 v31, v28
	v_min_u32_e32 v31, 32, v31
	s_delay_alu instid0(VALU_DEP_1) | instskip(NEXT) | instid1(VALU_DEP_1)
	v_subrev_nc_u32_e32 v48, 28, v31
	v_lshlrev_b64_e32 v[48:49], v48, v[28:29]
	s_delay_alu instid0(VALU_DEP_1)
	v_dual_sub_nc_u32 v31, 29, v31 :: v_dual_bitop2_b32 v28, 7, v48 bitop3:0x40
; %bb.30:                               ;   in Loop: Header=BB165_12 Depth=1
	s_or_b32 exec_lo, exec_lo, s45
	s_delay_alu instid0(VALU_DEP_1) | instskip(NEXT) | instid1(VALU_DEP_2)
	v_dual_lshlrev_b32 v47, 24, v47 :: v_dual_lshlrev_b32 v28, 20, v28
	v_lshl_add_u32 v31, v31, 23, 0x3c000000
	s_delay_alu instid0(VALU_DEP_2) | instskip(NEXT) | instid1(VALU_DEP_1)
	v_and_b32_e32 v47, 0x80000000, v47
	v_or3_b32 v31, v28, v47, v31
.LBB165_31:                             ;   in Loop: Header=BB165_12 Depth=1
	s_or_b32 exec_lo, exec_lo, s44
.LBB165_32:                             ;   in Loop: Header=BB165_12 Depth=1
	s_delay_alu instid0(SALU_CYCLE_1)
	s_or_b32 exec_lo, exec_lo, s43
.LBB165_33:                             ;   in Loop: Header=BB165_12 Depth=1
	s_delay_alu instid0(SALU_CYCLE_1)
	s_or_b32 exec_lo, exec_lo, s42
	global_load_u8 v49, v[36:37], off offset:8
	v_dual_mov_b32 v47, 0 :: v_dual_mov_b32 v48, 0
	s_mov_b32 s42, exec_lo
	s_wait_loadcnt 0x0
	v_cmpx_ne_u16_e32 0, v49
	s_cbranch_execz .LBB165_41
; %bb.34:                               ;   in Loop: Header=BB165_12 Depth=1
	v_bfrev_b32_e32 v48, 1
	s_mov_b32 s43, exec_lo
	v_cmpx_ne_u16_e32 0x80, v49
	s_cbranch_execz .LBB165_40
; %bb.35:                               ;   in Loop: Header=BB165_12 Depth=1
	v_and_b32_e32 v28, 0xffff, v49
	v_mov_b32_e32 v48, 0x7f800001
	s_mov_b32 s44, exec_lo
	s_delay_alu instid0(VALU_DEP_2) | instskip(NEXT) | instid1(VALU_DEP_1)
	v_and_b32_e32 v50, 0x7f, v28
	v_cmpx_ne_u32_e32 0x7f, v50
	s_cbranch_execz .LBB165_39
; %bb.36:                               ;   in Loop: Header=BB165_12 Depth=1
	v_dual_lshrrev_b32 v48, 3, v50 :: v_dual_bitop2_b32 v28, 7, v28 bitop3:0x40
	s_mov_b32 s45, exec_lo
	v_cmpx_gt_u32_e32 8, v50
; %bb.37:                               ;   in Loop: Header=BB165_12 Depth=1
	s_delay_alu instid0(VALU_DEP_2) | instskip(NEXT) | instid1(VALU_DEP_1)
	v_clz_i32_u32_e32 v48, v28
	v_min_u32_e32 v48, 32, v48
	s_delay_alu instid0(VALU_DEP_1) | instskip(NEXT) | instid1(VALU_DEP_1)
	v_subrev_nc_u32_e32 v50, 28, v48
	v_lshlrev_b64_e32 v[50:51], v50, v[28:29]
	s_delay_alu instid0(VALU_DEP_1)
	v_dual_sub_nc_u32 v48, 29, v48 :: v_dual_bitop2_b32 v28, 7, v50 bitop3:0x40
; %bb.38:                               ;   in Loop: Header=BB165_12 Depth=1
	s_or_b32 exec_lo, exec_lo, s45
	s_delay_alu instid0(VALU_DEP_1) | instskip(NEXT) | instid1(VALU_DEP_2)
	v_dual_lshlrev_b32 v49, 24, v49 :: v_dual_lshlrev_b32 v28, 20, v28
	v_lshl_add_u32 v48, v48, 23, 0x3c000000
	s_delay_alu instid0(VALU_DEP_2) | instskip(NEXT) | instid1(VALU_DEP_1)
	v_and_b32_e32 v49, 0x80000000, v49
	v_or3_b32 v48, v28, v49, v48
.LBB165_39:                             ;   in Loop: Header=BB165_12 Depth=1
	s_or_b32 exec_lo, exec_lo, s44
.LBB165_40:                             ;   in Loop: Header=BB165_12 Depth=1
	s_delay_alu instid0(SALU_CYCLE_1)
	s_or_b32 exec_lo, exec_lo, s43
.LBB165_41:                             ;   in Loop: Header=BB165_12 Depth=1
	s_delay_alu instid0(SALU_CYCLE_1)
	s_or_b32 exec_lo, exec_lo, s42
	global_load_u8 v49, v[36:37], off offset:12
	s_mov_b32 s42, exec_lo
	s_wait_loadcnt 0x0
	v_cmpx_ne_u16_e32 0, v49
	s_cbranch_execz .LBB165_49
; %bb.42:                               ;   in Loop: Header=BB165_12 Depth=1
	v_bfrev_b32_e32 v47, 1
	s_mov_b32 s43, exec_lo
	v_cmpx_ne_u16_e32 0x80, v49
	s_cbranch_execz .LBB165_48
; %bb.43:                               ;   in Loop: Header=BB165_12 Depth=1
	v_and_b32_e32 v28, 0xffff, v49
	v_mov_b32_e32 v47, 0x7f800001
	s_mov_b32 s44, exec_lo
	s_delay_alu instid0(VALU_DEP_2) | instskip(NEXT) | instid1(VALU_DEP_1)
	v_and_b32_e32 v50, 0x7f, v28
	v_cmpx_ne_u32_e32 0x7f, v50
	s_cbranch_execz .LBB165_47
; %bb.44:                               ;   in Loop: Header=BB165_12 Depth=1
	v_dual_lshrrev_b32 v47, 3, v50 :: v_dual_bitop2_b32 v28, 7, v28 bitop3:0x40
	s_mov_b32 s45, exec_lo
	v_cmpx_gt_u32_e32 8, v50
; %bb.45:                               ;   in Loop: Header=BB165_12 Depth=1
	s_delay_alu instid0(VALU_DEP_2) | instskip(NEXT) | instid1(VALU_DEP_1)
	v_clz_i32_u32_e32 v47, v28
	v_min_u32_e32 v47, 32, v47
	s_delay_alu instid0(VALU_DEP_1) | instskip(NEXT) | instid1(VALU_DEP_1)
	v_subrev_nc_u32_e32 v50, 28, v47
	v_lshlrev_b64_e32 v[50:51], v50, v[28:29]
	s_delay_alu instid0(VALU_DEP_1)
	v_dual_sub_nc_u32 v47, 29, v47 :: v_dual_bitop2_b32 v28, 7, v50 bitop3:0x40
; %bb.46:                               ;   in Loop: Header=BB165_12 Depth=1
	s_or_b32 exec_lo, exec_lo, s45
	s_delay_alu instid0(VALU_DEP_1) | instskip(NEXT) | instid1(VALU_DEP_2)
	v_dual_lshlrev_b32 v49, 24, v49 :: v_dual_lshlrev_b32 v28, 20, v28
	v_lshl_add_u32 v47, v47, 23, 0x3c000000
	s_delay_alu instid0(VALU_DEP_2) | instskip(NEXT) | instid1(VALU_DEP_1)
	v_and_b32_e32 v49, 0x80000000, v49
	v_or3_b32 v47, v28, v49, v47
.LBB165_47:                             ;   in Loop: Header=BB165_12 Depth=1
	s_or_b32 exec_lo, exec_lo, s44
.LBB165_48:                             ;   in Loop: Header=BB165_12 Depth=1
	s_delay_alu instid0(SALU_CYCLE_1)
	s_or_b32 exec_lo, exec_lo, s43
.LBB165_49:                             ;   in Loop: Header=BB165_12 Depth=1
	s_delay_alu instid0(SALU_CYCLE_1)
	s_or_b32 exec_lo, exec_lo, s42
	global_load_u8 v51, v[36:37], off offset:128
	v_dual_mov_b32 v49, 0 :: v_dual_mov_b32 v50, 0
	s_mov_b32 s42, exec_lo
	s_wait_loadcnt 0x0
	v_cmpx_ne_u16_e32 0, v51
	s_cbranch_execz .LBB165_57
; %bb.50:                               ;   in Loop: Header=BB165_12 Depth=1
	v_bfrev_b32_e32 v50, 1
	s_mov_b32 s43, exec_lo
	v_cmpx_ne_u16_e32 0x80, v51
	s_cbranch_execz .LBB165_56
; %bb.51:                               ;   in Loop: Header=BB165_12 Depth=1
	v_and_b32_e32 v28, 0xffff, v51
	v_mov_b32_e32 v50, 0x7f800001
	s_mov_b32 s44, exec_lo
	s_delay_alu instid0(VALU_DEP_2) | instskip(NEXT) | instid1(VALU_DEP_1)
	v_and_b32_e32 v52, 0x7f, v28
	v_cmpx_ne_u32_e32 0x7f, v52
	s_cbranch_execz .LBB165_55
; %bb.52:                               ;   in Loop: Header=BB165_12 Depth=1
	v_and_b32_e32 v28, 7, v28
	v_lshrrev_b32_e32 v50, 3, v52
	s_mov_b32 s45, exec_lo
	v_cmpx_gt_u32_e32 8, v52
; %bb.53:                               ;   in Loop: Header=BB165_12 Depth=1
	s_delay_alu instid0(VALU_DEP_3) | instskip(NEXT) | instid1(VALU_DEP_1)
	v_clz_i32_u32_e32 v50, v28
	v_min_u32_e32 v50, 32, v50
	s_delay_alu instid0(VALU_DEP_1) | instskip(NEXT) | instid1(VALU_DEP_1)
	v_subrev_nc_u32_e32 v52, 28, v50
	v_lshlrev_b64_e32 v[52:53], v52, v[28:29]
	s_delay_alu instid0(VALU_DEP_1)
	v_dual_sub_nc_u32 v50, 29, v50 :: v_dual_bitop2_b32 v28, 7, v52 bitop3:0x40
; %bb.54:                               ;   in Loop: Header=BB165_12 Depth=1
	s_or_b32 exec_lo, exec_lo, s45
	s_delay_alu instid0(VALU_DEP_1) | instskip(NEXT) | instid1(VALU_DEP_2)
	v_dual_lshlrev_b32 v51, 24, v51 :: v_dual_lshlrev_b32 v28, 20, v28
	v_lshl_add_u32 v50, v50, 23, 0x3c000000
	s_delay_alu instid0(VALU_DEP_2) | instskip(NEXT) | instid1(VALU_DEP_1)
	v_and_b32_e32 v51, 0x80000000, v51
	v_or3_b32 v50, v28, v51, v50
.LBB165_55:                             ;   in Loop: Header=BB165_12 Depth=1
	s_or_b32 exec_lo, exec_lo, s44
.LBB165_56:                             ;   in Loop: Header=BB165_12 Depth=1
	s_delay_alu instid0(SALU_CYCLE_1)
	s_or_b32 exec_lo, exec_lo, s43
.LBB165_57:                             ;   in Loop: Header=BB165_12 Depth=1
	s_delay_alu instid0(SALU_CYCLE_1)
	s_or_b32 exec_lo, exec_lo, s42
	global_load_u8 v51, v[36:37], off offset:132
	s_mov_b32 s42, exec_lo
	s_wait_loadcnt 0x0
	v_cmpx_ne_u16_e32 0, v51
	s_cbranch_execz .LBB165_65
; %bb.58:                               ;   in Loop: Header=BB165_12 Depth=1
	v_bfrev_b32_e32 v49, 1
	s_mov_b32 s43, exec_lo
	v_cmpx_ne_u16_e32 0x80, v51
	s_cbranch_execz .LBB165_64
; %bb.59:                               ;   in Loop: Header=BB165_12 Depth=1
	v_and_b32_e32 v28, 0xffff, v51
	v_mov_b32_e32 v49, 0x7f800001
	s_mov_b32 s44, exec_lo
	s_delay_alu instid0(VALU_DEP_2) | instskip(NEXT) | instid1(VALU_DEP_1)
	v_and_b32_e32 v52, 0x7f, v28
	v_cmpx_ne_u32_e32 0x7f, v52
	s_cbranch_execz .LBB165_63
; %bb.60:                               ;   in Loop: Header=BB165_12 Depth=1
	v_and_b32_e32 v28, 7, v28
	v_lshrrev_b32_e32 v49, 3, v52
	s_mov_b32 s45, exec_lo
	v_cmpx_gt_u32_e32 8, v52
; %bb.61:                               ;   in Loop: Header=BB165_12 Depth=1
	s_delay_alu instid0(VALU_DEP_3) | instskip(NEXT) | instid1(VALU_DEP_1)
	v_clz_i32_u32_e32 v49, v28
	v_min_u32_e32 v49, 32, v49
	s_delay_alu instid0(VALU_DEP_1) | instskip(NEXT) | instid1(VALU_DEP_1)
	v_subrev_nc_u32_e32 v52, 28, v49
	v_lshlrev_b64_e32 v[52:53], v52, v[28:29]
	s_delay_alu instid0(VALU_DEP_1)
	v_dual_sub_nc_u32 v49, 29, v49 :: v_dual_bitop2_b32 v28, 7, v52 bitop3:0x40
; %bb.62:                               ;   in Loop: Header=BB165_12 Depth=1
	s_or_b32 exec_lo, exec_lo, s45
	s_delay_alu instid0(VALU_DEP_1) | instskip(NEXT) | instid1(VALU_DEP_2)
	v_dual_lshlrev_b32 v51, 24, v51 :: v_dual_lshlrev_b32 v28, 20, v28
	v_lshl_add_u32 v49, v49, 23, 0x3c000000
	s_delay_alu instid0(VALU_DEP_2) | instskip(NEXT) | instid1(VALU_DEP_1)
	v_and_b32_e32 v51, 0x80000000, v51
	v_or3_b32 v49, v28, v51, v49
.LBB165_63:                             ;   in Loop: Header=BB165_12 Depth=1
	s_or_b32 exec_lo, exec_lo, s44
.LBB165_64:                             ;   in Loop: Header=BB165_12 Depth=1
	s_delay_alu instid0(SALU_CYCLE_1)
	s_or_b32 exec_lo, exec_lo, s43
.LBB165_65:                             ;   in Loop: Header=BB165_12 Depth=1
	s_delay_alu instid0(SALU_CYCLE_1)
	s_or_b32 exec_lo, exec_lo, s42
	global_load_u8 v53, v[36:37], off offset:136
	v_dual_mov_b32 v51, 0 :: v_dual_mov_b32 v52, 0
	s_mov_b32 s42, exec_lo
	s_wait_loadcnt 0x0
	v_cmpx_ne_u16_e32 0, v53
	s_cbranch_execz .LBB165_73
; %bb.66:                               ;   in Loop: Header=BB165_12 Depth=1
	v_bfrev_b32_e32 v52, 1
	s_mov_b32 s43, exec_lo
	v_cmpx_ne_u16_e32 0x80, v53
	s_cbranch_execz .LBB165_72
; %bb.67:                               ;   in Loop: Header=BB165_12 Depth=1
	v_and_b32_e32 v28, 0xffff, v53
	v_mov_b32_e32 v52, 0x7f800001
	s_mov_b32 s44, exec_lo
	s_delay_alu instid0(VALU_DEP_2) | instskip(NEXT) | instid1(VALU_DEP_1)
	v_and_b32_e32 v54, 0x7f, v28
	v_cmpx_ne_u32_e32 0x7f, v54
	s_cbranch_execz .LBB165_71
; %bb.68:                               ;   in Loop: Header=BB165_12 Depth=1
	v_dual_lshrrev_b32 v52, 3, v54 :: v_dual_bitop2_b32 v28, 7, v28 bitop3:0x40
	s_mov_b32 s45, exec_lo
	v_cmpx_gt_u32_e32 8, v54
; %bb.69:                               ;   in Loop: Header=BB165_12 Depth=1
	s_delay_alu instid0(VALU_DEP_2) | instskip(NEXT) | instid1(VALU_DEP_1)
	v_clz_i32_u32_e32 v52, v28
	v_min_u32_e32 v52, 32, v52
	s_delay_alu instid0(VALU_DEP_1) | instskip(NEXT) | instid1(VALU_DEP_1)
	v_subrev_nc_u32_e32 v54, 28, v52
	v_lshlrev_b64_e32 v[54:55], v54, v[28:29]
	s_delay_alu instid0(VALU_DEP_1)
	v_dual_sub_nc_u32 v52, 29, v52 :: v_dual_bitop2_b32 v28, 7, v54 bitop3:0x40
; %bb.70:                               ;   in Loop: Header=BB165_12 Depth=1
	s_or_b32 exec_lo, exec_lo, s45
	s_delay_alu instid0(VALU_DEP_1) | instskip(NEXT) | instid1(VALU_DEP_2)
	v_dual_lshlrev_b32 v53, 24, v53 :: v_dual_lshlrev_b32 v28, 20, v28
	v_lshl_add_u32 v52, v52, 23, 0x3c000000
	s_delay_alu instid0(VALU_DEP_2) | instskip(NEXT) | instid1(VALU_DEP_1)
	v_and_b32_e32 v53, 0x80000000, v53
	v_or3_b32 v52, v28, v53, v52
.LBB165_71:                             ;   in Loop: Header=BB165_12 Depth=1
	s_or_b32 exec_lo, exec_lo, s44
.LBB165_72:                             ;   in Loop: Header=BB165_12 Depth=1
	s_delay_alu instid0(SALU_CYCLE_1)
	s_or_b32 exec_lo, exec_lo, s43
.LBB165_73:                             ;   in Loop: Header=BB165_12 Depth=1
	s_delay_alu instid0(SALU_CYCLE_1)
	s_or_b32 exec_lo, exec_lo, s42
	global_load_u8 v53, v[36:37], off offset:140
	s_mov_b32 s42, exec_lo
	s_wait_loadcnt 0x0
	v_cmpx_ne_u16_e32 0, v53
	s_cbranch_execz .LBB165_81
; %bb.74:                               ;   in Loop: Header=BB165_12 Depth=1
	v_bfrev_b32_e32 v51, 1
	s_mov_b32 s43, exec_lo
	v_cmpx_ne_u16_e32 0x80, v53
	s_cbranch_execz .LBB165_80
; %bb.75:                               ;   in Loop: Header=BB165_12 Depth=1
	v_and_b32_e32 v28, 0xffff, v53
	v_mov_b32_e32 v51, 0x7f800001
	s_mov_b32 s44, exec_lo
	s_delay_alu instid0(VALU_DEP_2) | instskip(NEXT) | instid1(VALU_DEP_1)
	v_and_b32_e32 v54, 0x7f, v28
	v_cmpx_ne_u32_e32 0x7f, v54
	s_cbranch_execz .LBB165_79
; %bb.76:                               ;   in Loop: Header=BB165_12 Depth=1
	v_dual_lshrrev_b32 v51, 3, v54 :: v_dual_bitop2_b32 v28, 7, v28 bitop3:0x40
	s_mov_b32 s45, exec_lo
	v_cmpx_gt_u32_e32 8, v54
; %bb.77:                               ;   in Loop: Header=BB165_12 Depth=1
	s_delay_alu instid0(VALU_DEP_2) | instskip(NEXT) | instid1(VALU_DEP_1)
	v_clz_i32_u32_e32 v51, v28
	v_min_u32_e32 v51, 32, v51
	s_delay_alu instid0(VALU_DEP_1) | instskip(NEXT) | instid1(VALU_DEP_1)
	v_subrev_nc_u32_e32 v54, 28, v51
	v_lshlrev_b64_e32 v[54:55], v54, v[28:29]
	s_delay_alu instid0(VALU_DEP_1)
	v_dual_sub_nc_u32 v51, 29, v51 :: v_dual_bitop2_b32 v28, 7, v54 bitop3:0x40
; %bb.78:                               ;   in Loop: Header=BB165_12 Depth=1
	s_or_b32 exec_lo, exec_lo, s45
	s_delay_alu instid0(VALU_DEP_1) | instskip(NEXT) | instid1(VALU_DEP_2)
	v_dual_lshlrev_b32 v53, 24, v53 :: v_dual_lshlrev_b32 v28, 20, v28
	v_lshl_add_u32 v51, v51, 23, 0x3c000000
	s_delay_alu instid0(VALU_DEP_2) | instskip(NEXT) | instid1(VALU_DEP_1)
	v_and_b32_e32 v53, 0x80000000, v53
	v_or3_b32 v51, v28, v53, v51
.LBB165_79:                             ;   in Loop: Header=BB165_12 Depth=1
	s_or_b32 exec_lo, exec_lo, s44
.LBB165_80:                             ;   in Loop: Header=BB165_12 Depth=1
	s_delay_alu instid0(SALU_CYCLE_1)
	s_or_b32 exec_lo, exec_lo, s43
.LBB165_81:                             ;   in Loop: Header=BB165_12 Depth=1
	s_delay_alu instid0(SALU_CYCLE_1)
	s_or_b32 exec_lo, exec_lo, s42
	global_load_u8 v55, v[36:37], off offset:256
	v_dual_mov_b32 v53, 0 :: v_dual_mov_b32 v54, 0
	s_mov_b32 s42, exec_lo
	s_wait_loadcnt 0x0
	v_cmpx_ne_u16_e32 0, v55
	s_cbranch_execz .LBB165_89
; %bb.82:                               ;   in Loop: Header=BB165_12 Depth=1
	v_bfrev_b32_e32 v54, 1
	s_mov_b32 s43, exec_lo
	v_cmpx_ne_u16_e32 0x80, v55
	s_cbranch_execz .LBB165_88
; %bb.83:                               ;   in Loop: Header=BB165_12 Depth=1
	v_and_b32_e32 v28, 0xffff, v55
	v_mov_b32_e32 v54, 0x7f800001
	s_mov_b32 s44, exec_lo
	s_delay_alu instid0(VALU_DEP_2) | instskip(NEXT) | instid1(VALU_DEP_1)
	v_and_b32_e32 v56, 0x7f, v28
	v_cmpx_ne_u32_e32 0x7f, v56
	s_cbranch_execz .LBB165_87
; %bb.84:                               ;   in Loop: Header=BB165_12 Depth=1
	v_and_b32_e32 v28, 7, v28
	v_lshrrev_b32_e32 v54, 3, v56
	s_mov_b32 s45, exec_lo
	v_cmpx_gt_u32_e32 8, v56
; %bb.85:                               ;   in Loop: Header=BB165_12 Depth=1
	s_delay_alu instid0(VALU_DEP_3) | instskip(NEXT) | instid1(VALU_DEP_1)
	v_clz_i32_u32_e32 v54, v28
	v_min_u32_e32 v54, 32, v54
	s_delay_alu instid0(VALU_DEP_1) | instskip(NEXT) | instid1(VALU_DEP_1)
	v_subrev_nc_u32_e32 v56, 28, v54
	v_lshlrev_b64_e32 v[56:57], v56, v[28:29]
	s_delay_alu instid0(VALU_DEP_1)
	v_dual_sub_nc_u32 v54, 29, v54 :: v_dual_bitop2_b32 v28, 7, v56 bitop3:0x40
; %bb.86:                               ;   in Loop: Header=BB165_12 Depth=1
	s_or_b32 exec_lo, exec_lo, s45
	s_delay_alu instid0(VALU_DEP_1) | instskip(NEXT) | instid1(VALU_DEP_2)
	v_dual_lshlrev_b32 v55, 24, v55 :: v_dual_lshlrev_b32 v28, 20, v28
	v_lshl_add_u32 v54, v54, 23, 0x3c000000
	s_delay_alu instid0(VALU_DEP_2) | instskip(NEXT) | instid1(VALU_DEP_1)
	v_and_b32_e32 v55, 0x80000000, v55
	v_or3_b32 v54, v28, v55, v54
.LBB165_87:                             ;   in Loop: Header=BB165_12 Depth=1
	s_or_b32 exec_lo, exec_lo, s44
.LBB165_88:                             ;   in Loop: Header=BB165_12 Depth=1
	s_delay_alu instid0(SALU_CYCLE_1)
	s_or_b32 exec_lo, exec_lo, s43
.LBB165_89:                             ;   in Loop: Header=BB165_12 Depth=1
	s_delay_alu instid0(SALU_CYCLE_1)
	s_or_b32 exec_lo, exec_lo, s42
	global_load_u8 v55, v[36:37], off offset:260
	s_mov_b32 s42, exec_lo
	s_wait_loadcnt 0x0
	v_cmpx_ne_u16_e32 0, v55
	s_cbranch_execz .LBB165_97
; %bb.90:                               ;   in Loop: Header=BB165_12 Depth=1
	v_bfrev_b32_e32 v53, 1
	s_mov_b32 s43, exec_lo
	v_cmpx_ne_u16_e32 0x80, v55
	s_cbranch_execz .LBB165_96
; %bb.91:                               ;   in Loop: Header=BB165_12 Depth=1
	v_and_b32_e32 v28, 0xffff, v55
	v_mov_b32_e32 v53, 0x7f800001
	s_mov_b32 s44, exec_lo
	s_delay_alu instid0(VALU_DEP_2) | instskip(NEXT) | instid1(VALU_DEP_1)
	v_and_b32_e32 v56, 0x7f, v28
	v_cmpx_ne_u32_e32 0x7f, v56
	s_cbranch_execz .LBB165_95
; %bb.92:                               ;   in Loop: Header=BB165_12 Depth=1
	v_and_b32_e32 v28, 7, v28
	v_lshrrev_b32_e32 v53, 3, v56
	s_mov_b32 s45, exec_lo
	v_cmpx_gt_u32_e32 8, v56
; %bb.93:                               ;   in Loop: Header=BB165_12 Depth=1
	s_delay_alu instid0(VALU_DEP_3) | instskip(NEXT) | instid1(VALU_DEP_1)
	v_clz_i32_u32_e32 v53, v28
	v_min_u32_e32 v53, 32, v53
	s_delay_alu instid0(VALU_DEP_1) | instskip(NEXT) | instid1(VALU_DEP_1)
	v_subrev_nc_u32_e32 v56, 28, v53
	v_lshlrev_b64_e32 v[56:57], v56, v[28:29]
	s_delay_alu instid0(VALU_DEP_1)
	v_dual_sub_nc_u32 v53, 29, v53 :: v_dual_bitop2_b32 v28, 7, v56 bitop3:0x40
; %bb.94:                               ;   in Loop: Header=BB165_12 Depth=1
	s_or_b32 exec_lo, exec_lo, s45
	s_delay_alu instid0(VALU_DEP_1) | instskip(NEXT) | instid1(VALU_DEP_2)
	v_dual_lshlrev_b32 v55, 24, v55 :: v_dual_lshlrev_b32 v28, 20, v28
	v_lshl_add_u32 v53, v53, 23, 0x3c000000
	s_delay_alu instid0(VALU_DEP_2) | instskip(NEXT) | instid1(VALU_DEP_1)
	v_and_b32_e32 v55, 0x80000000, v55
	v_or3_b32 v53, v28, v55, v53
.LBB165_95:                             ;   in Loop: Header=BB165_12 Depth=1
	s_or_b32 exec_lo, exec_lo, s44
.LBB165_96:                             ;   in Loop: Header=BB165_12 Depth=1
	s_delay_alu instid0(SALU_CYCLE_1)
	s_or_b32 exec_lo, exec_lo, s43
.LBB165_97:                             ;   in Loop: Header=BB165_12 Depth=1
	s_delay_alu instid0(SALU_CYCLE_1)
	s_or_b32 exec_lo, exec_lo, s42
	global_load_u8 v57, v[36:37], off offset:264
	v_dual_mov_b32 v55, 0 :: v_dual_mov_b32 v56, 0
	s_mov_b32 s42, exec_lo
	s_wait_loadcnt 0x0
	v_cmpx_ne_u16_e32 0, v57
	s_cbranch_execz .LBB165_105
; %bb.98:                               ;   in Loop: Header=BB165_12 Depth=1
	v_bfrev_b32_e32 v56, 1
	s_mov_b32 s43, exec_lo
	v_cmpx_ne_u16_e32 0x80, v57
	s_cbranch_execz .LBB165_104
; %bb.99:                               ;   in Loop: Header=BB165_12 Depth=1
	v_and_b32_e32 v28, 0xffff, v57
	v_mov_b32_e32 v56, 0x7f800001
	s_mov_b32 s44, exec_lo
	s_delay_alu instid0(VALU_DEP_2) | instskip(NEXT) | instid1(VALU_DEP_1)
	v_and_b32_e32 v58, 0x7f, v28
	v_cmpx_ne_u32_e32 0x7f, v58
	s_cbranch_execz .LBB165_103
; %bb.100:                              ;   in Loop: Header=BB165_12 Depth=1
	v_dual_lshrrev_b32 v56, 3, v58 :: v_dual_bitop2_b32 v28, 7, v28 bitop3:0x40
	s_mov_b32 s45, exec_lo
	v_cmpx_gt_u32_e32 8, v58
; %bb.101:                              ;   in Loop: Header=BB165_12 Depth=1
	s_delay_alu instid0(VALU_DEP_2) | instskip(NEXT) | instid1(VALU_DEP_1)
	v_clz_i32_u32_e32 v56, v28
	v_min_u32_e32 v56, 32, v56
	s_delay_alu instid0(VALU_DEP_1) | instskip(NEXT) | instid1(VALU_DEP_1)
	v_subrev_nc_u32_e32 v58, 28, v56
	v_lshlrev_b64_e32 v[58:59], v58, v[28:29]
	s_delay_alu instid0(VALU_DEP_1)
	v_dual_sub_nc_u32 v56, 29, v56 :: v_dual_bitop2_b32 v28, 7, v58 bitop3:0x40
; %bb.102:                              ;   in Loop: Header=BB165_12 Depth=1
	s_or_b32 exec_lo, exec_lo, s45
	s_delay_alu instid0(VALU_DEP_1) | instskip(NEXT) | instid1(VALU_DEP_2)
	v_dual_lshlrev_b32 v57, 24, v57 :: v_dual_lshlrev_b32 v28, 20, v28
	v_lshl_add_u32 v56, v56, 23, 0x3c000000
	s_delay_alu instid0(VALU_DEP_2) | instskip(NEXT) | instid1(VALU_DEP_1)
	v_and_b32_e32 v57, 0x80000000, v57
	v_or3_b32 v56, v28, v57, v56
.LBB165_103:                            ;   in Loop: Header=BB165_12 Depth=1
	s_or_b32 exec_lo, exec_lo, s44
.LBB165_104:                            ;   in Loop: Header=BB165_12 Depth=1
	s_delay_alu instid0(SALU_CYCLE_1)
	s_or_b32 exec_lo, exec_lo, s43
.LBB165_105:                            ;   in Loop: Header=BB165_12 Depth=1
	s_delay_alu instid0(SALU_CYCLE_1)
	s_or_b32 exec_lo, exec_lo, s42
	global_load_u8 v57, v[36:37], off offset:268
	s_mov_b32 s42, exec_lo
	s_wait_loadcnt 0x0
	v_cmpx_ne_u16_e32 0, v57
	s_cbranch_execz .LBB165_113
; %bb.106:                              ;   in Loop: Header=BB165_12 Depth=1
	v_bfrev_b32_e32 v55, 1
	s_mov_b32 s43, exec_lo
	v_cmpx_ne_u16_e32 0x80, v57
	s_cbranch_execz .LBB165_112
; %bb.107:                              ;   in Loop: Header=BB165_12 Depth=1
	v_and_b32_e32 v28, 0xffff, v57
	v_mov_b32_e32 v55, 0x7f800001
	s_mov_b32 s44, exec_lo
	s_delay_alu instid0(VALU_DEP_2) | instskip(NEXT) | instid1(VALU_DEP_1)
	v_and_b32_e32 v58, 0x7f, v28
	v_cmpx_ne_u32_e32 0x7f, v58
	s_cbranch_execz .LBB165_111
; %bb.108:                              ;   in Loop: Header=BB165_12 Depth=1
	v_dual_lshrrev_b32 v55, 3, v58 :: v_dual_bitop2_b32 v28, 7, v28 bitop3:0x40
	s_mov_b32 s45, exec_lo
	v_cmpx_gt_u32_e32 8, v58
; %bb.109:                              ;   in Loop: Header=BB165_12 Depth=1
	s_delay_alu instid0(VALU_DEP_2) | instskip(NEXT) | instid1(VALU_DEP_1)
	v_clz_i32_u32_e32 v55, v28
	v_min_u32_e32 v55, 32, v55
	s_delay_alu instid0(VALU_DEP_1) | instskip(NEXT) | instid1(VALU_DEP_1)
	v_subrev_nc_u32_e32 v58, 28, v55
	v_lshlrev_b64_e32 v[58:59], v58, v[28:29]
	s_delay_alu instid0(VALU_DEP_1)
	v_dual_sub_nc_u32 v55, 29, v55 :: v_dual_bitop2_b32 v28, 7, v58 bitop3:0x40
; %bb.110:                              ;   in Loop: Header=BB165_12 Depth=1
	s_or_b32 exec_lo, exec_lo, s45
	s_delay_alu instid0(VALU_DEP_1) | instskip(NEXT) | instid1(VALU_DEP_2)
	v_dual_lshlrev_b32 v57, 24, v57 :: v_dual_lshlrev_b32 v28, 20, v28
	v_lshl_add_u32 v55, v55, 23, 0x3c000000
	s_delay_alu instid0(VALU_DEP_2) | instskip(NEXT) | instid1(VALU_DEP_1)
	v_and_b32_e32 v57, 0x80000000, v57
	v_or3_b32 v55, v28, v57, v55
.LBB165_111:                            ;   in Loop: Header=BB165_12 Depth=1
	s_or_b32 exec_lo, exec_lo, s44
.LBB165_112:                            ;   in Loop: Header=BB165_12 Depth=1
	s_delay_alu instid0(SALU_CYCLE_1)
	s_or_b32 exec_lo, exec_lo, s43
.LBB165_113:                            ;   in Loop: Header=BB165_12 Depth=1
	s_delay_alu instid0(SALU_CYCLE_1)
	s_or_b32 exec_lo, exec_lo, s42
	global_load_u8 v59, v[36:37], off offset:384
	v_dual_mov_b32 v57, 0 :: v_dual_mov_b32 v58, 0
	s_mov_b32 s42, exec_lo
	s_wait_loadcnt 0x0
	v_cmpx_ne_u16_e32 0, v59
	s_cbranch_execz .LBB165_121
; %bb.114:                              ;   in Loop: Header=BB165_12 Depth=1
	v_bfrev_b32_e32 v58, 1
	s_mov_b32 s43, exec_lo
	v_cmpx_ne_u16_e32 0x80, v59
	s_cbranch_execz .LBB165_120
; %bb.115:                              ;   in Loop: Header=BB165_12 Depth=1
	v_and_b32_e32 v28, 0xffff, v59
	v_mov_b32_e32 v58, 0x7f800001
	s_mov_b32 s44, exec_lo
	s_delay_alu instid0(VALU_DEP_2) | instskip(NEXT) | instid1(VALU_DEP_1)
	v_and_b32_e32 v60, 0x7f, v28
	v_cmpx_ne_u32_e32 0x7f, v60
	s_cbranch_execz .LBB165_119
; %bb.116:                              ;   in Loop: Header=BB165_12 Depth=1
	v_and_b32_e32 v28, 7, v28
	v_lshrrev_b32_e32 v58, 3, v60
	s_mov_b32 s45, exec_lo
	v_cmpx_gt_u32_e32 8, v60
; %bb.117:                              ;   in Loop: Header=BB165_12 Depth=1
	s_delay_alu instid0(VALU_DEP_3) | instskip(NEXT) | instid1(VALU_DEP_1)
	v_clz_i32_u32_e32 v58, v28
	v_min_u32_e32 v58, 32, v58
	s_delay_alu instid0(VALU_DEP_1) | instskip(NEXT) | instid1(VALU_DEP_1)
	v_subrev_nc_u32_e32 v60, 28, v58
	v_lshlrev_b64_e32 v[60:61], v60, v[28:29]
	s_delay_alu instid0(VALU_DEP_1)
	v_dual_sub_nc_u32 v58, 29, v58 :: v_dual_bitop2_b32 v28, 7, v60 bitop3:0x40
; %bb.118:                              ;   in Loop: Header=BB165_12 Depth=1
	s_or_b32 exec_lo, exec_lo, s45
	s_delay_alu instid0(VALU_DEP_1) | instskip(NEXT) | instid1(VALU_DEP_2)
	v_dual_lshlrev_b32 v59, 24, v59 :: v_dual_lshlrev_b32 v28, 20, v28
	v_lshl_add_u32 v58, v58, 23, 0x3c000000
	s_delay_alu instid0(VALU_DEP_2) | instskip(NEXT) | instid1(VALU_DEP_1)
	v_and_b32_e32 v59, 0x80000000, v59
	v_or3_b32 v58, v28, v59, v58
.LBB165_119:                            ;   in Loop: Header=BB165_12 Depth=1
	s_or_b32 exec_lo, exec_lo, s44
.LBB165_120:                            ;   in Loop: Header=BB165_12 Depth=1
	s_delay_alu instid0(SALU_CYCLE_1)
	s_or_b32 exec_lo, exec_lo, s43
.LBB165_121:                            ;   in Loop: Header=BB165_12 Depth=1
	s_delay_alu instid0(SALU_CYCLE_1)
	s_or_b32 exec_lo, exec_lo, s42
	global_load_u8 v59, v[36:37], off offset:388
	s_mov_b32 s42, exec_lo
	s_wait_loadcnt 0x0
	v_cmpx_ne_u16_e32 0, v59
	s_cbranch_execz .LBB165_129
; %bb.122:                              ;   in Loop: Header=BB165_12 Depth=1
	v_bfrev_b32_e32 v57, 1
	s_mov_b32 s43, exec_lo
	v_cmpx_ne_u16_e32 0x80, v59
	s_cbranch_execz .LBB165_128
; %bb.123:                              ;   in Loop: Header=BB165_12 Depth=1
	v_and_b32_e32 v28, 0xffff, v59
	v_mov_b32_e32 v57, 0x7f800001
	s_mov_b32 s44, exec_lo
	s_delay_alu instid0(VALU_DEP_2) | instskip(NEXT) | instid1(VALU_DEP_1)
	v_and_b32_e32 v60, 0x7f, v28
	v_cmpx_ne_u32_e32 0x7f, v60
	s_cbranch_execz .LBB165_127
; %bb.124:                              ;   in Loop: Header=BB165_12 Depth=1
	v_and_b32_e32 v28, 7, v28
	v_lshrrev_b32_e32 v57, 3, v60
	s_mov_b32 s45, exec_lo
	v_cmpx_gt_u32_e32 8, v60
; %bb.125:                              ;   in Loop: Header=BB165_12 Depth=1
	s_delay_alu instid0(VALU_DEP_3) | instskip(NEXT) | instid1(VALU_DEP_1)
	v_clz_i32_u32_e32 v57, v28
	v_min_u32_e32 v57, 32, v57
	s_delay_alu instid0(VALU_DEP_1) | instskip(NEXT) | instid1(VALU_DEP_1)
	v_subrev_nc_u32_e32 v60, 28, v57
	v_lshlrev_b64_e32 v[60:61], v60, v[28:29]
	s_delay_alu instid0(VALU_DEP_1)
	v_dual_sub_nc_u32 v57, 29, v57 :: v_dual_bitop2_b32 v28, 7, v60 bitop3:0x40
; %bb.126:                              ;   in Loop: Header=BB165_12 Depth=1
	s_or_b32 exec_lo, exec_lo, s45
	s_delay_alu instid0(VALU_DEP_1) | instskip(NEXT) | instid1(VALU_DEP_2)
	v_dual_lshlrev_b32 v59, 24, v59 :: v_dual_lshlrev_b32 v28, 20, v28
	v_lshl_add_u32 v57, v57, 23, 0x3c000000
	s_delay_alu instid0(VALU_DEP_2) | instskip(NEXT) | instid1(VALU_DEP_1)
	v_and_b32_e32 v59, 0x80000000, v59
	v_or3_b32 v57, v28, v59, v57
.LBB165_127:                            ;   in Loop: Header=BB165_12 Depth=1
	s_or_b32 exec_lo, exec_lo, s44
.LBB165_128:                            ;   in Loop: Header=BB165_12 Depth=1
	s_delay_alu instid0(SALU_CYCLE_1)
	s_or_b32 exec_lo, exec_lo, s43
.LBB165_129:                            ;   in Loop: Header=BB165_12 Depth=1
	s_delay_alu instid0(SALU_CYCLE_1)
	s_or_b32 exec_lo, exec_lo, s42
	global_load_u8 v61, v[36:37], off offset:392
	v_dual_mov_b32 v59, 0 :: v_dual_mov_b32 v60, 0
	s_mov_b32 s42, exec_lo
	s_wait_loadcnt 0x0
	v_cmpx_ne_u16_e32 0, v61
	s_cbranch_execz .LBB165_137
; %bb.130:                              ;   in Loop: Header=BB165_12 Depth=1
	v_bfrev_b32_e32 v60, 1
	s_mov_b32 s43, exec_lo
	v_cmpx_ne_u16_e32 0x80, v61
	s_cbranch_execz .LBB165_136
; %bb.131:                              ;   in Loop: Header=BB165_12 Depth=1
	v_and_b32_e32 v28, 0xffff, v61
	v_mov_b32_e32 v60, 0x7f800001
	s_mov_b32 s44, exec_lo
	s_delay_alu instid0(VALU_DEP_2) | instskip(NEXT) | instid1(VALU_DEP_1)
	v_and_b32_e32 v62, 0x7f, v28
	v_cmpx_ne_u32_e32 0x7f, v62
	s_cbranch_execz .LBB165_135
; %bb.132:                              ;   in Loop: Header=BB165_12 Depth=1
	v_dual_lshrrev_b32 v60, 3, v62 :: v_dual_bitop2_b32 v28, 7, v28 bitop3:0x40
	s_mov_b32 s45, exec_lo
	v_cmpx_gt_u32_e32 8, v62
; %bb.133:                              ;   in Loop: Header=BB165_12 Depth=1
	s_delay_alu instid0(VALU_DEP_2) | instskip(NEXT) | instid1(VALU_DEP_1)
	v_clz_i32_u32_e32 v60, v28
	v_min_u32_e32 v60, 32, v60
	s_delay_alu instid0(VALU_DEP_1) | instskip(NEXT) | instid1(VALU_DEP_1)
	v_subrev_nc_u32_e32 v62, 28, v60
	v_lshlrev_b64_e32 v[62:63], v62, v[28:29]
	s_delay_alu instid0(VALU_DEP_1)
	v_dual_sub_nc_u32 v60, 29, v60 :: v_dual_bitop2_b32 v28, 7, v62 bitop3:0x40
; %bb.134:                              ;   in Loop: Header=BB165_12 Depth=1
	s_or_b32 exec_lo, exec_lo, s45
	s_delay_alu instid0(VALU_DEP_1) | instskip(NEXT) | instid1(VALU_DEP_2)
	v_dual_lshlrev_b32 v61, 24, v61 :: v_dual_lshlrev_b32 v28, 20, v28
	v_lshl_add_u32 v60, v60, 23, 0x3c000000
	s_delay_alu instid0(VALU_DEP_2) | instskip(NEXT) | instid1(VALU_DEP_1)
	v_and_b32_e32 v61, 0x80000000, v61
	v_or3_b32 v60, v28, v61, v60
.LBB165_135:                            ;   in Loop: Header=BB165_12 Depth=1
	s_or_b32 exec_lo, exec_lo, s44
.LBB165_136:                            ;   in Loop: Header=BB165_12 Depth=1
	s_delay_alu instid0(SALU_CYCLE_1)
	s_or_b32 exec_lo, exec_lo, s43
.LBB165_137:                            ;   in Loop: Header=BB165_12 Depth=1
	s_delay_alu instid0(SALU_CYCLE_1)
	s_or_b32 exec_lo, exec_lo, s42
	global_load_u8 v61, v[36:37], off offset:396
	s_mov_b32 s42, exec_lo
	s_wait_loadcnt 0x0
	v_cmpx_ne_u16_e32 0, v61
	s_cbranch_execz .LBB165_145
; %bb.138:                              ;   in Loop: Header=BB165_12 Depth=1
	v_bfrev_b32_e32 v59, 1
	s_mov_b32 s43, exec_lo
	v_cmpx_ne_u16_e32 0x80, v61
	s_cbranch_execz .LBB165_144
; %bb.139:                              ;   in Loop: Header=BB165_12 Depth=1
	v_and_b32_e32 v28, 0xffff, v61
	v_mov_b32_e32 v59, 0x7f800001
	s_mov_b32 s44, exec_lo
	s_delay_alu instid0(VALU_DEP_2) | instskip(NEXT) | instid1(VALU_DEP_1)
	v_and_b32_e32 v62, 0x7f, v28
	v_cmpx_ne_u32_e32 0x7f, v62
	s_cbranch_execz .LBB165_143
; %bb.140:                              ;   in Loop: Header=BB165_12 Depth=1
	v_dual_lshrrev_b32 v59, 3, v62 :: v_dual_bitop2_b32 v28, 7, v28 bitop3:0x40
	s_mov_b32 s45, exec_lo
	v_cmpx_gt_u32_e32 8, v62
; %bb.141:                              ;   in Loop: Header=BB165_12 Depth=1
	s_delay_alu instid0(VALU_DEP_2) | instskip(NEXT) | instid1(VALU_DEP_1)
	v_clz_i32_u32_e32 v59, v28
	v_min_u32_e32 v59, 32, v59
	s_delay_alu instid0(VALU_DEP_1) | instskip(NEXT) | instid1(VALU_DEP_1)
	v_subrev_nc_u32_e32 v62, 28, v59
	v_lshlrev_b64_e32 v[62:63], v62, v[28:29]
	s_delay_alu instid0(VALU_DEP_1)
	v_dual_sub_nc_u32 v59, 29, v59 :: v_dual_bitop2_b32 v28, 7, v62 bitop3:0x40
; %bb.142:                              ;   in Loop: Header=BB165_12 Depth=1
	s_or_b32 exec_lo, exec_lo, s45
	s_delay_alu instid0(VALU_DEP_1) | instskip(NEXT) | instid1(VALU_DEP_2)
	v_dual_lshlrev_b32 v61, 24, v61 :: v_dual_lshlrev_b32 v28, 20, v28
	v_lshl_add_u32 v59, v59, 23, 0x3c000000
	s_delay_alu instid0(VALU_DEP_2) | instskip(NEXT) | instid1(VALU_DEP_1)
	v_and_b32_e32 v61, 0x80000000, v61
	v_or3_b32 v59, v28, v61, v59
.LBB165_143:                            ;   in Loop: Header=BB165_12 Depth=1
	s_or_b32 exec_lo, exec_lo, s44
.LBB165_144:                            ;   in Loop: Header=BB165_12 Depth=1
	s_delay_alu instid0(SALU_CYCLE_1)
	s_or_b32 exec_lo, exec_lo, s43
.LBB165_145:                            ;   in Loop: Header=BB165_12 Depth=1
	s_delay_alu instid0(SALU_CYCLE_1)
	s_or_b32 exec_lo, exec_lo, s42
	global_load_u8 v63, v[36:37], off offset:512
	v_dual_mov_b32 v61, 0 :: v_dual_mov_b32 v62, 0
	s_mov_b32 s42, exec_lo
	s_wait_loadcnt 0x0
	v_cmpx_ne_u16_e32 0, v63
	s_cbranch_execz .LBB165_153
; %bb.146:                              ;   in Loop: Header=BB165_12 Depth=1
	v_bfrev_b32_e32 v62, 1
	s_mov_b32 s43, exec_lo
	v_cmpx_ne_u16_e32 0x80, v63
	s_cbranch_execz .LBB165_152
; %bb.147:                              ;   in Loop: Header=BB165_12 Depth=1
	v_and_b32_e32 v28, 0xffff, v63
	v_mov_b32_e32 v62, 0x7f800001
	s_mov_b32 s44, exec_lo
	s_delay_alu instid0(VALU_DEP_2) | instskip(NEXT) | instid1(VALU_DEP_1)
	v_and_b32_e32 v64, 0x7f, v28
	v_cmpx_ne_u32_e32 0x7f, v64
	s_cbranch_execz .LBB165_151
; %bb.148:                              ;   in Loop: Header=BB165_12 Depth=1
	v_and_b32_e32 v28, 7, v28
	v_lshrrev_b32_e32 v62, 3, v64
	s_mov_b32 s45, exec_lo
	v_cmpx_gt_u32_e32 8, v64
; %bb.149:                              ;   in Loop: Header=BB165_12 Depth=1
	s_delay_alu instid0(VALU_DEP_3) | instskip(NEXT) | instid1(VALU_DEP_1)
	v_clz_i32_u32_e32 v62, v28
	v_min_u32_e32 v62, 32, v62
	s_delay_alu instid0(VALU_DEP_1) | instskip(NEXT) | instid1(VALU_DEP_1)
	v_subrev_nc_u32_e32 v64, 28, v62
	v_lshlrev_b64_e32 v[64:65], v64, v[28:29]
	s_delay_alu instid0(VALU_DEP_1)
	v_dual_sub_nc_u32 v62, 29, v62 :: v_dual_bitop2_b32 v28, 7, v64 bitop3:0x40
; %bb.150:                              ;   in Loop: Header=BB165_12 Depth=1
	s_or_b32 exec_lo, exec_lo, s45
	s_delay_alu instid0(VALU_DEP_1) | instskip(NEXT) | instid1(VALU_DEP_2)
	v_dual_lshlrev_b32 v63, 24, v63 :: v_dual_lshlrev_b32 v28, 20, v28
	v_lshl_add_u32 v62, v62, 23, 0x3c000000
	s_delay_alu instid0(VALU_DEP_2) | instskip(NEXT) | instid1(VALU_DEP_1)
	v_and_b32_e32 v63, 0x80000000, v63
	v_or3_b32 v62, v28, v63, v62
.LBB165_151:                            ;   in Loop: Header=BB165_12 Depth=1
	s_or_b32 exec_lo, exec_lo, s44
.LBB165_152:                            ;   in Loop: Header=BB165_12 Depth=1
	s_delay_alu instid0(SALU_CYCLE_1)
	s_or_b32 exec_lo, exec_lo, s43
.LBB165_153:                            ;   in Loop: Header=BB165_12 Depth=1
	s_delay_alu instid0(SALU_CYCLE_1)
	s_or_b32 exec_lo, exec_lo, s42
	global_load_u8 v63, v[36:37], off offset:516
	s_mov_b32 s42, exec_lo
	s_wait_loadcnt 0x0
	v_cmpx_ne_u16_e32 0, v63
	s_cbranch_execz .LBB165_161
; %bb.154:                              ;   in Loop: Header=BB165_12 Depth=1
	v_bfrev_b32_e32 v61, 1
	s_mov_b32 s43, exec_lo
	v_cmpx_ne_u16_e32 0x80, v63
	s_cbranch_execz .LBB165_160
; %bb.155:                              ;   in Loop: Header=BB165_12 Depth=1
	v_and_b32_e32 v28, 0xffff, v63
	v_mov_b32_e32 v61, 0x7f800001
	s_mov_b32 s44, exec_lo
	s_delay_alu instid0(VALU_DEP_2) | instskip(NEXT) | instid1(VALU_DEP_1)
	v_and_b32_e32 v64, 0x7f, v28
	v_cmpx_ne_u32_e32 0x7f, v64
	s_cbranch_execz .LBB165_159
; %bb.156:                              ;   in Loop: Header=BB165_12 Depth=1
	v_and_b32_e32 v28, 7, v28
	v_lshrrev_b32_e32 v61, 3, v64
	s_mov_b32 s45, exec_lo
	v_cmpx_gt_u32_e32 8, v64
; %bb.157:                              ;   in Loop: Header=BB165_12 Depth=1
	s_delay_alu instid0(VALU_DEP_3) | instskip(NEXT) | instid1(VALU_DEP_1)
	v_clz_i32_u32_e32 v61, v28
	v_min_u32_e32 v61, 32, v61
	s_delay_alu instid0(VALU_DEP_1) | instskip(NEXT) | instid1(VALU_DEP_1)
	v_subrev_nc_u32_e32 v64, 28, v61
	v_lshlrev_b64_e32 v[64:65], v64, v[28:29]
	s_delay_alu instid0(VALU_DEP_1)
	v_dual_sub_nc_u32 v61, 29, v61 :: v_dual_bitop2_b32 v28, 7, v64 bitop3:0x40
; %bb.158:                              ;   in Loop: Header=BB165_12 Depth=1
	s_or_b32 exec_lo, exec_lo, s45
	s_delay_alu instid0(VALU_DEP_1) | instskip(NEXT) | instid1(VALU_DEP_2)
	v_dual_lshlrev_b32 v63, 24, v63 :: v_dual_lshlrev_b32 v28, 20, v28
	v_lshl_add_u32 v61, v61, 23, 0x3c000000
	s_delay_alu instid0(VALU_DEP_2) | instskip(NEXT) | instid1(VALU_DEP_1)
	v_and_b32_e32 v63, 0x80000000, v63
	v_or3_b32 v61, v28, v63, v61
.LBB165_159:                            ;   in Loop: Header=BB165_12 Depth=1
	s_or_b32 exec_lo, exec_lo, s44
.LBB165_160:                            ;   in Loop: Header=BB165_12 Depth=1
	s_delay_alu instid0(SALU_CYCLE_1)
	s_or_b32 exec_lo, exec_lo, s43
.LBB165_161:                            ;   in Loop: Header=BB165_12 Depth=1
	s_delay_alu instid0(SALU_CYCLE_1)
	s_or_b32 exec_lo, exec_lo, s42
	global_load_u8 v65, v[36:37], off offset:520
	v_dual_mov_b32 v63, 0 :: v_dual_mov_b32 v64, 0
	s_mov_b32 s42, exec_lo
	s_wait_loadcnt 0x0
	v_cmpx_ne_u16_e32 0, v65
	s_cbranch_execz .LBB165_169
; %bb.162:                              ;   in Loop: Header=BB165_12 Depth=1
	v_bfrev_b32_e32 v64, 1
	s_mov_b32 s43, exec_lo
	v_cmpx_ne_u16_e32 0x80, v65
	s_cbranch_execz .LBB165_168
; %bb.163:                              ;   in Loop: Header=BB165_12 Depth=1
	v_and_b32_e32 v28, 0xffff, v65
	v_mov_b32_e32 v64, 0x7f800001
	s_mov_b32 s44, exec_lo
	s_delay_alu instid0(VALU_DEP_2) | instskip(NEXT) | instid1(VALU_DEP_1)
	v_and_b32_e32 v66, 0x7f, v28
	v_cmpx_ne_u32_e32 0x7f, v66
	s_cbranch_execz .LBB165_167
; %bb.164:                              ;   in Loop: Header=BB165_12 Depth=1
	v_dual_lshrrev_b32 v64, 3, v66 :: v_dual_bitop2_b32 v28, 7, v28 bitop3:0x40
	s_mov_b32 s45, exec_lo
	v_cmpx_gt_u32_e32 8, v66
; %bb.165:                              ;   in Loop: Header=BB165_12 Depth=1
	s_delay_alu instid0(VALU_DEP_2) | instskip(NEXT) | instid1(VALU_DEP_1)
	v_clz_i32_u32_e32 v64, v28
	v_min_u32_e32 v64, 32, v64
	s_delay_alu instid0(VALU_DEP_1) | instskip(NEXT) | instid1(VALU_DEP_1)
	v_subrev_nc_u32_e32 v66, 28, v64
	v_lshlrev_b64_e32 v[66:67], v66, v[28:29]
	s_delay_alu instid0(VALU_DEP_1)
	v_dual_sub_nc_u32 v64, 29, v64 :: v_dual_bitop2_b32 v28, 7, v66 bitop3:0x40
; %bb.166:                              ;   in Loop: Header=BB165_12 Depth=1
	s_or_b32 exec_lo, exec_lo, s45
	s_delay_alu instid0(VALU_DEP_1) | instskip(NEXT) | instid1(VALU_DEP_2)
	v_dual_lshlrev_b32 v65, 24, v65 :: v_dual_lshlrev_b32 v28, 20, v28
	v_lshl_add_u32 v64, v64, 23, 0x3c000000
	s_delay_alu instid0(VALU_DEP_2) | instskip(NEXT) | instid1(VALU_DEP_1)
	v_and_b32_e32 v65, 0x80000000, v65
	v_or3_b32 v64, v28, v65, v64
.LBB165_167:                            ;   in Loop: Header=BB165_12 Depth=1
	s_or_b32 exec_lo, exec_lo, s44
.LBB165_168:                            ;   in Loop: Header=BB165_12 Depth=1
	s_delay_alu instid0(SALU_CYCLE_1)
	s_or_b32 exec_lo, exec_lo, s43
.LBB165_169:                            ;   in Loop: Header=BB165_12 Depth=1
	s_delay_alu instid0(SALU_CYCLE_1)
	s_or_b32 exec_lo, exec_lo, s42
	global_load_u8 v65, v[36:37], off offset:524
	s_mov_b32 s42, exec_lo
	s_wait_loadcnt 0x0
	v_cmpx_ne_u16_e32 0, v65
	s_cbranch_execz .LBB165_177
; %bb.170:                              ;   in Loop: Header=BB165_12 Depth=1
	v_bfrev_b32_e32 v63, 1
	s_mov_b32 s43, exec_lo
	v_cmpx_ne_u16_e32 0x80, v65
	s_cbranch_execz .LBB165_176
; %bb.171:                              ;   in Loop: Header=BB165_12 Depth=1
	v_and_b32_e32 v28, 0xffff, v65
	v_mov_b32_e32 v63, 0x7f800001
	s_mov_b32 s44, exec_lo
	s_delay_alu instid0(VALU_DEP_2) | instskip(NEXT) | instid1(VALU_DEP_1)
	v_and_b32_e32 v66, 0x7f, v28
	v_cmpx_ne_u32_e32 0x7f, v66
	s_cbranch_execz .LBB165_175
; %bb.172:                              ;   in Loop: Header=BB165_12 Depth=1
	v_dual_lshrrev_b32 v63, 3, v66 :: v_dual_bitop2_b32 v28, 7, v28 bitop3:0x40
	s_mov_b32 s45, exec_lo
	v_cmpx_gt_u32_e32 8, v66
; %bb.173:                              ;   in Loop: Header=BB165_12 Depth=1
	s_delay_alu instid0(VALU_DEP_2) | instskip(NEXT) | instid1(VALU_DEP_1)
	v_clz_i32_u32_e32 v63, v28
	v_min_u32_e32 v63, 32, v63
	s_delay_alu instid0(VALU_DEP_1) | instskip(NEXT) | instid1(VALU_DEP_1)
	v_subrev_nc_u32_e32 v66, 28, v63
	v_lshlrev_b64_e32 v[66:67], v66, v[28:29]
	s_delay_alu instid0(VALU_DEP_1)
	v_dual_sub_nc_u32 v63, 29, v63 :: v_dual_bitop2_b32 v28, 7, v66 bitop3:0x40
; %bb.174:                              ;   in Loop: Header=BB165_12 Depth=1
	s_or_b32 exec_lo, exec_lo, s45
	s_delay_alu instid0(VALU_DEP_1) | instskip(NEXT) | instid1(VALU_DEP_2)
	v_dual_lshlrev_b32 v65, 24, v65 :: v_dual_lshlrev_b32 v28, 20, v28
	v_lshl_add_u32 v63, v63, 23, 0x3c000000
	s_delay_alu instid0(VALU_DEP_2) | instskip(NEXT) | instid1(VALU_DEP_1)
	v_and_b32_e32 v65, 0x80000000, v65
	v_or3_b32 v63, v28, v65, v63
.LBB165_175:                            ;   in Loop: Header=BB165_12 Depth=1
	s_or_b32 exec_lo, exec_lo, s44
.LBB165_176:                            ;   in Loop: Header=BB165_12 Depth=1
	s_delay_alu instid0(SALU_CYCLE_1)
	s_or_b32 exec_lo, exec_lo, s43
.LBB165_177:                            ;   in Loop: Header=BB165_12 Depth=1
	s_delay_alu instid0(SALU_CYCLE_1)
	s_or_b32 exec_lo, exec_lo, s42
	global_load_u8 v67, v[36:37], off offset:640
	v_dual_mov_b32 v65, 0 :: v_dual_mov_b32 v66, 0
	s_mov_b32 s42, exec_lo
	s_wait_loadcnt 0x0
	v_cmpx_ne_u16_e32 0, v67
	s_cbranch_execz .LBB165_185
; %bb.178:                              ;   in Loop: Header=BB165_12 Depth=1
	v_bfrev_b32_e32 v66, 1
	s_mov_b32 s43, exec_lo
	v_cmpx_ne_u16_e32 0x80, v67
	s_cbranch_execz .LBB165_184
; %bb.179:                              ;   in Loop: Header=BB165_12 Depth=1
	v_and_b32_e32 v28, 0xffff, v67
	v_mov_b32_e32 v66, 0x7f800001
	s_mov_b32 s44, exec_lo
	s_delay_alu instid0(VALU_DEP_2) | instskip(NEXT) | instid1(VALU_DEP_1)
	v_and_b32_e32 v68, 0x7f, v28
	v_cmpx_ne_u32_e32 0x7f, v68
	s_cbranch_execz .LBB165_183
; %bb.180:                              ;   in Loop: Header=BB165_12 Depth=1
	v_and_b32_e32 v28, 7, v28
	v_lshrrev_b32_e32 v66, 3, v68
	s_mov_b32 s45, exec_lo
	v_cmpx_gt_u32_e32 8, v68
; %bb.181:                              ;   in Loop: Header=BB165_12 Depth=1
	s_delay_alu instid0(VALU_DEP_3) | instskip(NEXT) | instid1(VALU_DEP_1)
	v_clz_i32_u32_e32 v66, v28
	v_min_u32_e32 v66, 32, v66
	s_delay_alu instid0(VALU_DEP_1) | instskip(NEXT) | instid1(VALU_DEP_1)
	v_subrev_nc_u32_e32 v68, 28, v66
	v_lshlrev_b64_e32 v[68:69], v68, v[28:29]
	s_delay_alu instid0(VALU_DEP_1)
	v_dual_sub_nc_u32 v66, 29, v66 :: v_dual_bitop2_b32 v28, 7, v68 bitop3:0x40
; %bb.182:                              ;   in Loop: Header=BB165_12 Depth=1
	s_or_b32 exec_lo, exec_lo, s45
	s_delay_alu instid0(VALU_DEP_1) | instskip(NEXT) | instid1(VALU_DEP_2)
	v_dual_lshlrev_b32 v67, 24, v67 :: v_dual_lshlrev_b32 v28, 20, v28
	v_lshl_add_u32 v66, v66, 23, 0x3c000000
	s_delay_alu instid0(VALU_DEP_2) | instskip(NEXT) | instid1(VALU_DEP_1)
	v_and_b32_e32 v67, 0x80000000, v67
	v_or3_b32 v66, v28, v67, v66
.LBB165_183:                            ;   in Loop: Header=BB165_12 Depth=1
	s_or_b32 exec_lo, exec_lo, s44
.LBB165_184:                            ;   in Loop: Header=BB165_12 Depth=1
	s_delay_alu instid0(SALU_CYCLE_1)
	s_or_b32 exec_lo, exec_lo, s43
.LBB165_185:                            ;   in Loop: Header=BB165_12 Depth=1
	s_delay_alu instid0(SALU_CYCLE_1)
	s_or_b32 exec_lo, exec_lo, s42
	global_load_u8 v67, v[36:37], off offset:644
	s_mov_b32 s42, exec_lo
	s_wait_loadcnt 0x0
	v_cmpx_ne_u16_e32 0, v67
	s_cbranch_execz .LBB165_193
; %bb.186:                              ;   in Loop: Header=BB165_12 Depth=1
	v_bfrev_b32_e32 v65, 1
	s_mov_b32 s43, exec_lo
	v_cmpx_ne_u16_e32 0x80, v67
	s_cbranch_execz .LBB165_192
; %bb.187:                              ;   in Loop: Header=BB165_12 Depth=1
	v_and_b32_e32 v28, 0xffff, v67
	v_mov_b32_e32 v65, 0x7f800001
	s_mov_b32 s44, exec_lo
	s_delay_alu instid0(VALU_DEP_2) | instskip(NEXT) | instid1(VALU_DEP_1)
	v_and_b32_e32 v68, 0x7f, v28
	v_cmpx_ne_u32_e32 0x7f, v68
	s_cbranch_execz .LBB165_191
; %bb.188:                              ;   in Loop: Header=BB165_12 Depth=1
	v_and_b32_e32 v28, 7, v28
	v_lshrrev_b32_e32 v65, 3, v68
	s_mov_b32 s45, exec_lo
	v_cmpx_gt_u32_e32 8, v68
; %bb.189:                              ;   in Loop: Header=BB165_12 Depth=1
	s_delay_alu instid0(VALU_DEP_3) | instskip(NEXT) | instid1(VALU_DEP_1)
	v_clz_i32_u32_e32 v65, v28
	v_min_u32_e32 v65, 32, v65
	s_delay_alu instid0(VALU_DEP_1) | instskip(NEXT) | instid1(VALU_DEP_1)
	v_subrev_nc_u32_e32 v68, 28, v65
	v_lshlrev_b64_e32 v[68:69], v68, v[28:29]
	s_delay_alu instid0(VALU_DEP_1)
	v_dual_sub_nc_u32 v65, 29, v65 :: v_dual_bitop2_b32 v28, 7, v68 bitop3:0x40
; %bb.190:                              ;   in Loop: Header=BB165_12 Depth=1
	s_or_b32 exec_lo, exec_lo, s45
	s_delay_alu instid0(VALU_DEP_1) | instskip(NEXT) | instid1(VALU_DEP_2)
	v_dual_lshlrev_b32 v67, 24, v67 :: v_dual_lshlrev_b32 v28, 20, v28
	v_lshl_add_u32 v65, v65, 23, 0x3c000000
	s_delay_alu instid0(VALU_DEP_2) | instskip(NEXT) | instid1(VALU_DEP_1)
	v_and_b32_e32 v67, 0x80000000, v67
	v_or3_b32 v65, v28, v67, v65
.LBB165_191:                            ;   in Loop: Header=BB165_12 Depth=1
	s_or_b32 exec_lo, exec_lo, s44
.LBB165_192:                            ;   in Loop: Header=BB165_12 Depth=1
	s_delay_alu instid0(SALU_CYCLE_1)
	s_or_b32 exec_lo, exec_lo, s43
.LBB165_193:                            ;   in Loop: Header=BB165_12 Depth=1
	s_delay_alu instid0(SALU_CYCLE_1)
	s_or_b32 exec_lo, exec_lo, s42
	global_load_u8 v69, v[36:37], off offset:648
	v_dual_mov_b32 v67, 0 :: v_dual_mov_b32 v68, 0
	s_mov_b32 s42, exec_lo
	s_wait_loadcnt 0x0
	v_cmpx_ne_u16_e32 0, v69
	s_cbranch_execz .LBB165_201
; %bb.194:                              ;   in Loop: Header=BB165_12 Depth=1
	v_bfrev_b32_e32 v68, 1
	s_mov_b32 s43, exec_lo
	v_cmpx_ne_u16_e32 0x80, v69
	s_cbranch_execz .LBB165_200
; %bb.195:                              ;   in Loop: Header=BB165_12 Depth=1
	v_and_b32_e32 v28, 0xffff, v69
	v_mov_b32_e32 v68, 0x7f800001
	s_mov_b32 s44, exec_lo
	s_delay_alu instid0(VALU_DEP_2) | instskip(NEXT) | instid1(VALU_DEP_1)
	v_and_b32_e32 v70, 0x7f, v28
	v_cmpx_ne_u32_e32 0x7f, v70
	s_cbranch_execz .LBB165_199
; %bb.196:                              ;   in Loop: Header=BB165_12 Depth=1
	v_dual_lshrrev_b32 v68, 3, v70 :: v_dual_bitop2_b32 v28, 7, v28 bitop3:0x40
	s_mov_b32 s45, exec_lo
	v_cmpx_gt_u32_e32 8, v70
; %bb.197:                              ;   in Loop: Header=BB165_12 Depth=1
	s_delay_alu instid0(VALU_DEP_2) | instskip(NEXT) | instid1(VALU_DEP_1)
	v_clz_i32_u32_e32 v68, v28
	v_min_u32_e32 v68, 32, v68
	s_delay_alu instid0(VALU_DEP_1) | instskip(NEXT) | instid1(VALU_DEP_1)
	v_subrev_nc_u32_e32 v70, 28, v68
	v_lshlrev_b64_e32 v[70:71], v70, v[28:29]
	s_delay_alu instid0(VALU_DEP_1)
	v_dual_sub_nc_u32 v68, 29, v68 :: v_dual_bitop2_b32 v28, 7, v70 bitop3:0x40
; %bb.198:                              ;   in Loop: Header=BB165_12 Depth=1
	s_or_b32 exec_lo, exec_lo, s45
	s_delay_alu instid0(VALU_DEP_1) | instskip(NEXT) | instid1(VALU_DEP_2)
	v_dual_lshlrev_b32 v69, 24, v69 :: v_dual_lshlrev_b32 v28, 20, v28
	v_lshl_add_u32 v68, v68, 23, 0x3c000000
	s_delay_alu instid0(VALU_DEP_2) | instskip(NEXT) | instid1(VALU_DEP_1)
	v_and_b32_e32 v69, 0x80000000, v69
	v_or3_b32 v68, v28, v69, v68
.LBB165_199:                            ;   in Loop: Header=BB165_12 Depth=1
	s_or_b32 exec_lo, exec_lo, s44
.LBB165_200:                            ;   in Loop: Header=BB165_12 Depth=1
	s_delay_alu instid0(SALU_CYCLE_1)
	s_or_b32 exec_lo, exec_lo, s43
.LBB165_201:                            ;   in Loop: Header=BB165_12 Depth=1
	s_delay_alu instid0(SALU_CYCLE_1)
	s_or_b32 exec_lo, exec_lo, s42
	global_load_u8 v36, v[36:37], off offset:652
	s_mov_b32 s42, exec_lo
	s_wait_loadcnt 0x0
	v_cmpx_ne_u16_e32 0, v36
	s_cbranch_execz .LBB165_209
; %bb.202:                              ;   in Loop: Header=BB165_12 Depth=1
	v_bfrev_b32_e32 v67, 1
	s_mov_b32 s43, exec_lo
	v_cmpx_ne_u16_e32 0x80, v36
	s_cbranch_execz .LBB165_208
; %bb.203:                              ;   in Loop: Header=BB165_12 Depth=1
	v_and_b32_e32 v28, 0xffff, v36
	v_mov_b32_e32 v67, 0x7f800001
	s_mov_b32 s44, exec_lo
	s_delay_alu instid0(VALU_DEP_2) | instskip(NEXT) | instid1(VALU_DEP_1)
	v_and_b32_e32 v69, 0x7f, v28
	v_cmpx_ne_u32_e32 0x7f, v69
	s_cbranch_execz .LBB165_207
; %bb.204:                              ;   in Loop: Header=BB165_12 Depth=1
	v_dual_lshrrev_b32 v37, 3, v69 :: v_dual_bitop2_b32 v28, 7, v28 bitop3:0x40
	s_mov_b32 s45, exec_lo
	v_cmpx_gt_u32_e32 8, v69
; %bb.205:                              ;   in Loop: Header=BB165_12 Depth=1
	s_delay_alu instid0(VALU_DEP_2) | instskip(NEXT) | instid1(VALU_DEP_1)
	v_clz_i32_u32_e32 v37, v28
	v_min_u32_e32 v37, 32, v37
	s_delay_alu instid0(VALU_DEP_1) | instskip(NEXT) | instid1(VALU_DEP_1)
	v_subrev_nc_u32_e32 v67, 28, v37
	v_lshlrev_b64_e32 v[70:71], v67, v[28:29]
	s_delay_alu instid0(VALU_DEP_1)
	v_dual_sub_nc_u32 v37, 29, v37 :: v_dual_bitop2_b32 v28, 7, v70 bitop3:0x40
; %bb.206:                              ;   in Loop: Header=BB165_12 Depth=1
	s_or_b32 exec_lo, exec_lo, s45
	v_lshlrev_b32_e32 v36, 24, v36
	s_delay_alu instid0(VALU_DEP_2) | instskip(NEXT) | instid1(VALU_DEP_3)
	v_lshlrev_b32_e32 v28, 20, v28
	v_lshl_add_u32 v37, v37, 23, 0x3c000000
	s_delay_alu instid0(VALU_DEP_3) | instskip(NEXT) | instid1(VALU_DEP_1)
	v_and_b32_e32 v36, 0x80000000, v36
	v_or3_b32 v67, v28, v36, v37
.LBB165_207:                            ;   in Loop: Header=BB165_12 Depth=1
	s_or_b32 exec_lo, exec_lo, s44
.LBB165_208:                            ;   in Loop: Header=BB165_12 Depth=1
	s_delay_alu instid0(SALU_CYCLE_1)
	s_or_b32 exec_lo, exec_lo, s43
.LBB165_209:                            ;   in Loop: Header=BB165_12 Depth=1
	s_delay_alu instid0(SALU_CYCLE_1) | instskip(SKIP_3) | instid1(VALU_DEP_1)
	s_or_b32 exec_lo, exec_lo, s42
	s_wait_kmcnt 0x0
	v_dual_mul_f32 v28, s41, v31 :: v_dual_mul_f32 v31, s41, v46
	s_wait_dscnt 0x5
	v_mul_f32_e32 v23, v23, v28
	s_delay_alu instid0(VALU_DEP_1) | instskip(NEXT) | instid1(VALU_DEP_1)
	v_dual_mul_f32 v28, s41, v48 :: v_dual_fmac_f32 v23, v22, v31
	v_dual_mul_f32 v22, s41, v47 :: v_dual_fmac_f32 v23, v24, v28
	v_mul_f32_e32 v24, s41, v50
	s_delay_alu instid0(VALU_DEP_2) | instskip(SKIP_1) | instid1(VALU_DEP_1)
	v_dual_fmac_f32 v23, v25, v22 :: v_dual_mul_f32 v22, s41, v49
	s_wait_dscnt 0x4
	v_fmac_f32_e32 v23, v18, v24
	s_delay_alu instid0(VALU_DEP_1) | instskip(NEXT) | instid1(VALU_DEP_1)
	v_dual_mul_f32 v18, s41, v52 :: v_dual_fmac_f32 v23, v19, v22
	v_dual_mul_f32 v19, s41, v51 :: v_dual_fmac_f32 v23, v20, v18
	s_delay_alu instid0(VALU_DEP_1) | instskip(SKIP_1) | instid1(VALU_DEP_1)
	v_dual_mul_f32 v18, s41, v54 :: v_dual_fmac_f32 v23, v21, v19
	s_wait_dscnt 0x3
	v_dual_mul_f32 v19, s41, v53 :: v_dual_fmac_f32 v23, v14, v18
	s_delay_alu instid0(VALU_DEP_1) | instskip(NEXT) | instid1(VALU_DEP_1)
	v_dual_mul_f32 v14, s41, v56 :: v_dual_fmac_f32 v23, v15, v19
	v_dual_mul_f32 v15, s41, v55 :: v_dual_fmac_f32 v23, v16, v14
	s_delay_alu instid0(VALU_DEP_1) | instskip(SKIP_1) | instid1(VALU_DEP_1)
	v_dual_mul_f32 v14, s41, v58 :: v_dual_fmac_f32 v23, v17, v15
	s_wait_dscnt 0x2
	v_dual_mul_f32 v15, s41, v57 :: v_dual_fmac_f32 v23, v10, v14
	;; [unrolled: 7-line block ×4, first 2 shown]
	v_dual_mul_f32 v6, s41, v68 :: v_dual_bitop2_b32 v2, 2, v38 bitop3:0x14
	s_delay_alu instid0(VALU_DEP_2) | instskip(SKIP_1) | instid1(VALU_DEP_3)
	v_fmac_f32_e32 v23, v3, v7
	v_mul_f32_e32 v3, s41, v67
	v_cmp_gt_i32_e64 s4, 32, v2
	s_delay_alu instid0(VALU_DEP_3) | instskip(NEXT) | instid1(VALU_DEP_1)
	v_fmac_f32_e32 v23, v4, v6
	v_dual_cndmask_b32 v2, v38, v2, s4 :: v_dual_fmac_f32 v23, v5, v3
	v_xor_b32_e32 v3, 1, v38
	s_delay_alu instid0(VALU_DEP_2) | instskip(NEXT) | instid1(VALU_DEP_2)
	v_lshlrev_b32_e32 v2, 2, v2
	v_cmp_gt_i32_e64 s4, 32, v3
	ds_bpermute_b32 v2, v2, v23
	v_cndmask_b32_e64 v3, v38, v3, s4
	s_wait_dscnt 0x0
	s_delay_alu instid0(VALU_DEP_1)
	v_dual_add_f32 v2, v23, v2 :: v_dual_lshlrev_b32 v3, 2, v3
	ds_bpermute_b32 v3, v3, v2
	s_and_saveexec_b32 s41, s3
	s_cbranch_execz .LBB165_10
; %bb.210:                              ;   in Loop: Header=BB165_12 Depth=1
	v_add_nc_u32_e32 v4, v42, v30
	s_wait_dscnt 0x0
	v_add_f32_e32 v2, v2, v3
	s_delay_alu instid0(VALU_DEP_2) | instskip(NEXT) | instid1(VALU_DEP_1)
	v_cvt_f32_i32_e32 v4, v4
	v_mul_f32_e32 v4, s36, v4
	s_delay_alu instid0(VALU_DEP_1) | instskip(NEXT) | instid1(VALU_DEP_1)
	v_dual_cndmask_b32 v3, 0, v4 :: v_dual_max_num_f32 v4, v41, v41
	v_fmac_f32_e32 v3, s27, v2
	v_add_nc_u32_e32 v2, v39, v30
	s_delay_alu instid0(VALU_DEP_1) | instskip(NEXT) | instid1(VALU_DEP_3)
	v_cmp_gt_i32_e64 s4, s34, v2
	v_max_num_f32_e32 v4, v4, v3
	s_delay_alu instid0(VALU_DEP_1)
	v_dual_cndmask_b32 v41, v41, v4, s4 :: v_dual_cndmask_b32 v2, 0, v3, s4
	ds_store_b32 v43, v2
	s_branch .LBB165_10
.LBB165_211:
	s_or_b32 exec_lo, exec_lo, s40
.LBB165_212:
	s_delay_alu instid0(SALU_CYCLE_1)
	s_or_b32 exec_lo, exec_lo, s37
	v_dual_max_num_f32 v5, v41, v41 :: v_dual_bitop2_b32 v2, 16, v38 bitop3:0x14
	v_xor_b32_e32 v4, 8, v38
	s_clause 0x1
	s_load_b64 s[4:5], s[0:1], 0x0
	s_load_b64 s[8:9], s[0:1], 0x18
	v_and_b32_e32 v48, 31, v0
	v_cmp_gt_i32_e32 vcc_lo, 32, v2
	v_cndmask_b32_e32 v2, v38, v2, vcc_lo
	v_cmp_gt_i32_e32 vcc_lo, 32, v4
	s_delay_alu instid0(VALU_DEP_2) | instskip(SKIP_4) | instid1(VALU_DEP_1)
	v_dual_cndmask_b32 v4, v38, v4, vcc_lo :: v_dual_lshlrev_b32 v2, 2, v2
	s_wait_dscnt 0x0
	ds_bpermute_b32 v3, v2, v41
	s_wait_dscnt 0x0
	v_dual_max_num_f32 v6, v3, v3 :: v_dual_lshlrev_b32 v3, 2, v4
	v_max_num_f32_e32 v4, v5, v6
	ds_bpermute_b32 v5, v3, v4
	s_wait_dscnt 0x0
	v_dual_max_num_f32 v5, v5, v5 :: v_dual_bitop2_b32 v6, 4, v38 bitop3:0x14
	s_delay_alu instid0(VALU_DEP_1) | instskip(NEXT) | instid1(VALU_DEP_2)
	v_max_num_f32_e32 v5, v4, v5
	v_cmp_gt_i32_e32 vcc_lo, 32, v6
	v_dual_lshlrev_b32 v4, 2, v1 :: v_dual_cndmask_b32 v6, v38, v6, vcc_lo
	v_cmp_eq_u32_e32 vcc_lo, 0, v48
	s_delay_alu instid0(VALU_DEP_2)
	v_lshlrev_b32_e32 v6, 2, v6
	ds_bpermute_b32 v7, v6, v5
	s_wait_xcnt 0x0
	s_and_saveexec_b32 s0, vcc_lo
	s_cbranch_execz .LBB165_214
; %bb.213:
	s_wait_dscnt 0x0
	v_dual_max_num_f32 v7, v7, v7 :: v_dual_max_num_f32 v5, v5, v5
	s_delay_alu instid0(VALU_DEP_1)
	v_max_num_f32_e32 v5, v5, v7
	ds_store_b32 v4, v5 offset:384
.LBB165_214:
	s_or_b32 exec_lo, exec_lo, s0
	v_cmp_gt_u32_e64 s0, 4, v48
	v_dual_mov_b32 v8, 0xff7fffff :: v_dual_lshlrev_b32 v5, 2, v48
	s_wait_dscnt 0x0
	s_barrier_signal -1
	s_barrier_wait -1
	s_and_saveexec_b32 s1, s0
; %bb.215:
	ds_load_b32 v8, v5 offset:384
; %bb.216:
	s_or_b32 exec_lo, exec_lo, s1
	v_xor_b32_e32 v7, 2, v38
	v_xor_b32_e32 v10, 1, v38
	s_delay_alu instid0(VALU_DEP_2) | instskip(NEXT) | instid1(VALU_DEP_1)
	v_cmp_gt_i32_e64 s1, 32, v7
	v_cndmask_b32_e64 v7, v38, v7, s1
	s_delay_alu instid0(VALU_DEP_3) | instskip(NEXT) | instid1(VALU_DEP_1)
	v_cmp_gt_i32_e64 s1, 32, v10
	v_dual_lshlrev_b32 v7, 2, v7 :: v_dual_cndmask_b32 v10, v38, v10, s1
	s_lshl_b32 s1, s12, 3
	s_delay_alu instid0(SALU_CYCLE_1)
	s_min_i32 s19, s1, s34
	s_wait_dscnt 0x0
	ds_bpermute_b32 v9, v7, v8
	v_max_num_f32_e32 v8, v8, v8
	v_cmp_gt_i32_e64 s1, s19, v0
	s_wait_dscnt 0x0
	v_dual_lshlrev_b32 v49, 2, v10 :: v_dual_max_num_f32 v9, v9, v9
	s_delay_alu instid0(VALU_DEP_1) | instskip(SKIP_3) | instid1(VALU_DEP_1)
	v_max_num_f32_e32 v8, v8, v9
	ds_bpermute_b32 v9, v49, v8
	s_wait_dscnt 0x0
	v_max_num_f32_e32 v9, v9, v9
	v_dual_max_num_f32 v9, v8, v9 :: v_dual_mov_b32 v8, 0
	ds_bpermute_b32 v9, v8, v9
	s_and_saveexec_b32 s27, s1
	s_cbranch_execz .LBB165_220
; %bb.217:
	v_lshl_add_u32 v10, v0, 2, 0x1a0
	v_dual_mov_b32 v8, 0 :: v_dual_mov_b32 v11, v0
	s_mov_b32 s28, 0
.LBB165_218:                            ; =>This Inner Loop Header: Depth=1
	ds_load_b32 v12, v10
	v_add_nc_u32_e32 v11, 0x80, v11
	s_delay_alu instid0(VALU_DEP_1) | instskip(SKIP_3) | instid1(VALU_DEP_1)
	v_cmp_le_i32_e64 s3, s19, v11
	s_or_b32 s28, s3, s28
	s_wait_dscnt 0x0
	v_sub_f32_e32 v12, v12, v9
	v_mul_f32_e32 v12, 0x3fb8aa3b, v12
	s_delay_alu instid0(VALU_DEP_1)
	v_exp_f32_e32 v12, v12
	ds_store_b32 v10, v12
	v_nop
	v_add_f32_e32 v8, v8, v12
	v_add_nc_u32_e32 v10, 0x200, v10
	s_and_not1_b32 exec_lo, exec_lo, s28
	s_cbranch_execnz .LBB165_218
; %bb.219:
	s_or_b32 exec_lo, exec_lo, s28
.LBB165_220:
	s_delay_alu instid0(SALU_CYCLE_1)
	s_or_b32 exec_lo, exec_lo, s27
	ds_bpermute_b32 v2, v2, v8
	s_wait_dscnt 0x0
	v_add_f32_e32 v2, v8, v2
	ds_bpermute_b32 v3, v3, v2
	s_wait_dscnt 0x0
	v_add_f32_e32 v2, v2, v3
	;; [unrolled: 3-line block ×5, first 2 shown]
	s_and_saveexec_b32 s3, vcc_lo
; %bb.221:
	ds_store_b32 v4, v2 offset:400
; %bb.222:
	s_or_b32 exec_lo, exec_lo, s3
	s_wait_dscnt 0x0
	s_barrier_signal -1
	s_barrier_wait -1
	s_and_saveexec_b32 s3, s0
; %bb.223:
	ds_load_b32 v2, v5 offset:400
; %bb.224:
	s_or_b32 exec_lo, exec_lo, s3
	s_wait_dscnt 0x0
	ds_bpermute_b32 v3, v7, v2
	s_wait_dscnt 0x0
	v_dual_mov_b32 v7, 0 :: v_dual_add_f32 v2, v2, v3
	ds_bpermute_b32 v3, v49, v2
	s_wait_dscnt 0x0
	v_add_f32_e32 v2, v2, v3
	ds_bpermute_b32 v2, v7, v2
	s_and_saveexec_b32 s0, s1
	s_cbranch_execz .LBB165_237
; %bb.225:
	s_wait_dscnt 0x0
	v_add_f32_e32 v2, 0x358637bd, v2
	s_mov_b32 s3, -1
	s_mov_b32 s1, exec_lo
	s_delay_alu instid0(VALU_DEP_1) | instskip(NEXT) | instid1(VALU_DEP_1)
	v_div_scale_f32 v3, null, v2, v2, 1.0
	v_rcp_f32_e32 v5, v3
	v_nop
	s_delay_alu instid0(TRANS32_DEP_1) | instskip(NEXT) | instid1(VALU_DEP_1)
	v_fma_f32 v4, -v3, v5, 1.0
	v_fmac_f32_e32 v5, v4, v5
	v_div_scale_f32 v6, vcc_lo, 1.0, v2, 1.0
	s_delay_alu instid0(VALU_DEP_1) | instskip(NEXT) | instid1(VALU_DEP_1)
	v_mul_f32_e32 v8, v6, v5
	v_fma_f32 v4, -v3, v8, v6
	s_delay_alu instid0(VALU_DEP_1) | instskip(SKIP_1) | instid1(VALU_DEP_2)
	v_fmac_f32_e32 v8, v4, v5
	v_xad_u32 v4, v0, -1, s19
	v_fma_f32 v3, -v3, v8, v6
	s_delay_alu instid0(VALU_DEP_1) | instskip(NEXT) | instid1(VALU_DEP_1)
	v_div_fmas_f32 v3, v3, v5, v8
	v_div_fixup_f32 v2, v3, v2, 1.0
	v_mov_b32_e32 v3, v0
	v_cmpx_lt_u32_e32 0x7f, v4
	s_cbranch_execz .LBB165_234
; %bb.226:
	s_delay_alu instid0(VALU_DEP_3) | instskip(NEXT) | instid1(VALU_DEP_1)
	v_dual_mov_b32 v3, v2 :: v_dual_lshrrev_b32 v4, 7, v4
	v_dual_mov_b32 v9, 0 :: v_dual_add_nc_u32 v5, -1, v4
	s_delay_alu instid0(VALU_DEP_1) | instskip(SKIP_1) | instid1(VALU_DEP_2)
	v_lshrrev_b32_e32 v6, 1, v5
	v_cmp_lt_u32_e32 vcc_lo, 13, v5
	v_add_nc_u32_e32 v5, 1, v6
	s_and_saveexec_b32 s3, vcc_lo
	s_cbranch_execz .LBB165_230
; %bb.227:
	s_delay_alu instid0(VALU_DEP_1)
	v_and_b32_e32 v6, -8, v5
	v_lshl_add_u32 v8, v0, 2, 0x1a0
	s_mov_b32 s27, 0
	s_mov_b32 s28, 0
.LBB165_228:                            ; =>This Inner Loop Header: Depth=1
	ds_load_2addr_stride64_b32 v[10:11], v8 offset1:2
	ds_load_2addr_stride64_b32 v[12:13], v8 offset0:4 offset1:6
	ds_load_2addr_stride64_b32 v[14:15], v8 offset0:8 offset1:10
	;; [unrolled: 1-line block ×7, first 2 shown]
	s_add_co_i32 s28, s28, 16
	s_delay_alu instid0(SALU_CYCLE_1) | instskip(NEXT) | instid1(VALU_DEP_1)
	v_dual_mov_b32 v9, s28 :: v_dual_add_nc_u32 v6, -8, v6
	v_cmp_eq_u32_e32 vcc_lo, 0, v6
	s_or_b32 s27, vcc_lo, s27
	s_wait_dscnt 0x7
	v_pk_mul_f32 v[10:11], v[2:3], v[10:11]
	s_wait_dscnt 0x6
	v_pk_mul_f32 v[12:13], v[2:3], v[12:13]
	;; [unrolled: 2-line block ×8, first 2 shown]
	ds_store_2addr_stride64_b32 v8, v10, v11 offset1:2
	ds_store_2addr_stride64_b32 v8, v12, v13 offset0:4 offset1:6
	ds_store_2addr_stride64_b32 v8, v14, v15 offset0:8 offset1:10
	;; [unrolled: 1-line block ×7, first 2 shown]
	v_add_nc_u32_e32 v8, 0x2000, v8
	s_and_not1_b32 exec_lo, exec_lo, s27
	s_cbranch_execnz .LBB165_228
; %bb.229:
	s_or_b32 exec_lo, exec_lo, s27
.LBB165_230:
	s_delay_alu instid0(SALU_CYCLE_1) | instskip(NEXT) | instid1(VALU_DEP_1)
	s_or_b32 exec_lo, exec_lo, s3
	v_and_b32_e32 v5, 7, v5
	s_mov_b32 s27, 0
	s_mov_b32 s3, exec_lo
	s_delay_alu instid0(VALU_DEP_1)
	v_cmpx_ne_u32_e32 0, v5
	s_cbranch_execz .LBB165_233
; %bb.231:
	v_dual_lshlrev_b32 v6, 9, v9 :: v_dual_lshlrev_b32 v8, 2, v0
	s_delay_alu instid0(VALU_DEP_1)
	v_add3_u32 v6, v6, v8, 0x1a0
.LBB165_232:                            ; =>This Inner Loop Header: Depth=1
	ds_load_2addr_stride64_b32 v[8:9], v6 offset1:2
	v_add_nc_u32_e32 v5, -1, v5
	s_delay_alu instid0(VALU_DEP_1)
	v_cmp_eq_u32_e32 vcc_lo, 0, v5
	s_or_b32 s27, vcc_lo, s27
	s_wait_dscnt 0x0
	v_pk_mul_f32 v[8:9], v[2:3], v[8:9]
	ds_store_2addr_stride64_b32 v6, v8, v9 offset1:2
	v_add_nc_u32_e32 v6, 0x400, v6
	s_and_not1_b32 exec_lo, exec_lo, s27
	s_cbranch_execnz .LBB165_232
.LBB165_233:
	s_or_b32 exec_lo, exec_lo, s3
	v_add_nc_u32_e32 v3, 1, v4
	s_delay_alu instid0(VALU_DEP_1) | instskip(NEXT) | instid1(VALU_DEP_1)
	v_and_b32_e32 v4, 0x3fffffe, v3
	v_cmp_ne_u32_e32 vcc_lo, v3, v4
	v_lshl_add_u32 v3, v4, 7, v0
	s_or_not1_b32 s3, vcc_lo, exec_lo
.LBB165_234:
	s_or_b32 exec_lo, exec_lo, s1
	s_delay_alu instid0(SALU_CYCLE_1)
	s_and_b32 exec_lo, exec_lo, s3
	s_cbranch_execz .LBB165_237
; %bb.235:
	v_lshl_add_u32 v4, v3, 2, 0x1a0
	s_mov_b32 s1, 0
.LBB165_236:                            ; =>This Inner Loop Header: Depth=1
	ds_load_b32 v5, v4
	v_add_nc_u32_e32 v3, 0x80, v3
	s_delay_alu instid0(VALU_DEP_1)
	v_cmp_le_i32_e32 vcc_lo, s19, v3
	s_or_b32 s1, vcc_lo, s1
	s_wait_dscnt 0x0
	v_mul_f32_e32 v5, v2, v5
	ds_store_b32 v4, v5
	v_add_nc_u32_e32 v4, 0x200, v4
	s_and_not1_b32 exec_lo, exec_lo, s1
	s_cbranch_execnz .LBB165_236
.LBB165_237:
	s_or_b32 exec_lo, exec_lo, s0
	v_dual_mov_b32 v6, 0 :: v_dual_bitop2_b32 v50, 1, v0 bitop3:0x40
	v_dual_mov_b32 v11, 0 :: v_dual_mov_b32 v10, 0
	v_dual_mov_b32 v9, 0 :: v_dual_mov_b32 v8, 0
	s_wait_dscnt 0x0
	s_barrier_signal -1
	s_barrier_wait -1
	s_and_saveexec_b32 s1, s2
	s_cbranch_execz .LBB165_447
; %bb.238:
	s_abs_i32 s14, s14
	v_dual_mov_b32 v13, 0 :: v_dual_lshlrev_b32 v2, 2, v0
	s_cvt_f32_u32 s0, s14
	s_ashr_i32 s19, s18, 31
	v_dual_mov_b32 v51, v1 :: v_dual_lshlrev_b32 v4, 4, v50
	s_delay_alu instid0(SALU_CYCLE_1)
	v_rcp_iflag_f32_e32 v3, s0
	v_and_b32_e32 v12, 0x7c, v2
	s_wait_kmcnt 0x0
	s_add_nc_u64 s[8:9], s[8:9], s[18:19]
	s_lshl_b64 s[24:25], s[24:25], 2
	s_sub_co_i32 s2, 0, s14
	v_dual_mov_b32 v8, 0 :: v_dual_bitop2_b32 v52, 4, v2 bitop3:0x40
	v_readfirstlane_b32 s0, v3
	v_add_nc_u64_e32 v[14:15], s[8:9], v[12:13]
	v_and_b32_e32 v12, 0x7c, v27
	v_lshl_or_b32 v3, v1, 5, v4
	s_add_nc_u64 s[8:9], s[22:23], s[24:25]
	s_mul_f32 s0, s0, 0x4f7ffffe
	v_dual_mov_b32 v9, 0 :: v_dual_mov_b32 v11, 0
	v_add_nc_u64_e32 v[16:17], s[8:9], v[12:13]
	s_delay_alu instid0(SALU_CYCLE_1) | instskip(SKIP_2) | instid1(SALU_CYCLE_1)
	s_cvt_u32_f32 s0, s0
	v_dual_mov_b32 v10, 0 :: v_dual_add_nc_u32 v53, 0x1a0, v3
	v_dual_mov_b32 v6, 0 :: v_dual_mov_b32 v7, 0
	s_mul_i32 s2, s2, s0
	s_mov_b32 s3, 0
	s_mul_hi_u32 s2, s0, s2
	s_sub_co_i32 s13, s26, s13
	s_add_co_i32 s26, s12, -1
	s_mov_b32 s18, s34
	s_add_co_i32 s2, s0, s2
	s_mov_b32 s19, s3
	s_branch .LBB165_241
.LBB165_239:                            ;   in Loop: Header=BB165_241 Depth=1
	s_or_b32 exec_lo, exec_lo, s0
	s_wait_dscnt 0x0
	v_mul_f32_e32 v27, v2, v36
	v_mul_f32_e32 v12, v2, v40
	v_pk_mul_f32 v[22:23], v[2:3], v[22:23]
	s_delay_alu instid0(VALU_DEP_3) | instskip(NEXT) | instid1(VALU_DEP_3)
	v_fmac_f32_e32 v27, v3, v37
	v_dual_fmac_f32 v12, v3, v41 :: v_dual_mul_f32 v32, v2, v32
	v_pk_mul_f32 v[40:41], v[4:5], v[42:43]
	s_delay_alu instid0(VALU_DEP_3) | instskip(NEXT) | instid1(VALU_DEP_3)
	v_fmac_f32_e32 v27, v4, v34
	v_dual_fmac_f32 v12, v4, v38 :: v_dual_mul_f32 v28, v2, v28
	s_delay_alu instid0(VALU_DEP_4) | instskip(NEXT) | instid1(VALU_DEP_2)
	v_dual_fmac_f32 v32, v3, v33 :: v_dual_mul_f32 v20, v2, v20
	v_dual_add_f32 v2, v23, v22 :: v_dual_fmac_f32 v12, v5, v39
	s_delay_alu instid0(VALU_DEP_3) | instskip(NEXT) | instid1(VALU_DEP_3)
	v_fmac_f32_e32 v28, v3, v29
	v_fmac_f32_e32 v32, v4, v30
	s_delay_alu instid0(VALU_DEP_4) | instskip(NEXT) | instid1(VALU_DEP_4)
	v_dual_fmac_f32 v20, v3, v21 :: v_dual_fmac_f32 v27, v5, v35
	v_add_f32_e32 v6, v6, v12
	s_delay_alu instid0(VALU_DEP_4) | instskip(NEXT) | instid1(VALU_DEP_4)
	v_fmac_f32_e32 v28, v4, v24
	v_dual_add_f32 v2, v40, v2 :: v_dual_fmac_f32 v32, v5, v31
	s_delay_alu instid0(VALU_DEP_4) | instskip(NEXT) | instid1(VALU_DEP_3)
	v_dual_fmac_f32 v20, v4, v18 :: v_dual_add_f32 v11, v11, v27
	v_fmac_f32_e32 v28, v5, v25
	s_delay_alu instid0(VALU_DEP_3) | instskip(NEXT) | instid1(VALU_DEP_3)
	v_dual_add_f32 v2, v41, v2 :: v_dual_add_f32 v10, v10, v32
	v_fmac_f32_e32 v20, v5, v19
	s_delay_alu instid0(VALU_DEP_2) | instskip(NEXT) | instid1(VALU_DEP_2)
	v_dual_add_f32 v9, v9, v28 :: v_dual_add_f32 v7, v7, v2
	v_add_f32_e32 v8, v8, v20
.LBB165_240:                            ;   in Loop: Header=BB165_241 Depth=1
	s_or_b32 exec_lo, exec_lo, s22
	v_dual_add_nc_u32 v51, 4, v51 :: v_dual_add_nc_u32 v26, 32, v26
	v_add_nc_u64_e32 v[16:17], 16, v[16:17]
	v_add_nc_u32_e32 v53, 0x80, v53
	s_delay_alu instid0(VALU_DEP_3) | instskip(SKIP_1) | instid1(SALU_CYCLE_1)
	v_cmp_le_i32_e32 vcc_lo, s12, v51
	s_or_b32 s19, vcc_lo, s19
	s_and_not1_b32 exec_lo, exec_lo, s19
	s_cbranch_execz .LBB165_446
.LBB165_241:                            ; =>This Inner Loop Header: Depth=1
	v_mov_b32_e32 v27, v13
	s_delay_alu instid0(VALU_DEP_1) | instskip(NEXT) | instid1(VALU_DEP_1)
	v_mul_u64_e32 v[2:3], s[20:21], v[26:27]
	v_mul_lo_u32 v2, v3, s16
	s_delay_alu instid0(VALU_DEP_1) | instskip(NEXT) | instid1(VALU_DEP_1)
	v_sub_nc_u32_e32 v2, v26, v2
	v_subrev_nc_u32_e32 v5, s16, v2
	v_cmp_le_u32_e32 vcc_lo, s16, v2
	s_delay_alu instid0(VALU_DEP_2) | instskip(NEXT) | instid1(VALU_DEP_1)
	v_dual_add_nc_u32 v4, 1, v3 :: v_dual_cndmask_b32 v2, v2, v5, vcc_lo
	v_cndmask_b32_e32 v3, v3, v4, vcc_lo
	s_delay_alu instid0(VALU_DEP_2) | instskip(NEXT) | instid1(VALU_DEP_2)
	v_cmp_le_u32_e32 vcc_lo, s16, v2
	v_add_nc_u32_e32 v4, 1, v3
	s_delay_alu instid0(VALU_DEP_1) | instskip(NEXT) | instid1(VALU_DEP_1)
	v_cndmask_b32_e32 v2, v3, v4, vcc_lo
	v_xor_b32_e32 v2, s15, v2
	s_delay_alu instid0(VALU_DEP_1) | instskip(NEXT) | instid1(VALU_DEP_1)
	v_subrev_nc_u32_e32 v4, s15, v2
	v_add_nc_u32_e32 v5, s35, v4
	v_cmp_lt_i32_e64 s0, s13, v4
	s_delay_alu instid0(VALU_DEP_2) | instskip(NEXT) | instid1(VALU_DEP_1)
	v_sub_nc_u32_e32 v2, 0, v5
	v_dual_ashrrev_i32 v5, 31, v5 :: v_dual_max_i32 v12, v5, v2
	s_delay_alu instid0(VALU_DEP_1) | instskip(NEXT) | instid1(VALU_DEP_1)
	v_mul_u64_e32 v[2:3], s[2:3], v[12:13]
	v_mul_lo_u32 v2, v3, s14
	s_delay_alu instid0(VALU_DEP_1) | instskip(NEXT) | instid1(VALU_DEP_1)
	v_sub_nc_u32_e32 v2, v12, v2
	v_subrev_nc_u32_e32 v3, s14, v2
	v_cmp_le_u32_e32 vcc_lo, s14, v2
	s_delay_alu instid0(VALU_DEP_2) | instskip(NEXT) | instid1(VALU_DEP_1)
	v_cndmask_b32_e32 v2, v2, v3, vcc_lo
	v_subrev_nc_u32_e32 v3, s14, v2
	v_cmp_le_u32_e32 vcc_lo, s14, v2
	s_delay_alu instid0(VALU_DEP_2) | instskip(NEXT) | instid1(VALU_DEP_1)
	v_cndmask_b32_e32 v2, v2, v3, vcc_lo
	v_xor_b32_e32 v2, v2, v5
	s_delay_alu instid0(VALU_DEP_1) | instskip(NEXT) | instid1(VALU_DEP_1)
	v_sub_nc_u32_e32 v2, v2, v5
	v_cmp_eq_u32_e32 vcc_lo, 0, v2
	s_or_b32 s0, vcc_lo, s0
	s_delay_alu instid0(SALU_CYCLE_1)
	s_and_saveexec_b32 s22, s0
	s_cbranch_execz .LBB165_240
; %bb.242:                              ;   in Loop: Header=BB165_241 Depth=1
	global_load_b32 v2, v[16:17], off
	s_load_b32 s8, s[10:11], 0x0
	v_mov_b64_e32 v[18:19], 0
	v_mov_b64_e32 v[20:21], 0
	s_mov_b32 s0, exec_lo
	s_wait_loadcnt 0x0
	v_mad_nc_i64_i32 v[22:23], v2, s17, v[14:15]
	ds_load_b128 v[2:5], v53
	global_load_b32 v27, v[22:23], off
	s_wait_loadcnt 0x0
	v_and_b32_e32 v12, 0xff, v27
	s_delay_alu instid0(VALU_DEP_1)
	v_cmpx_ne_u16_e32 0, v12
	s_cbranch_execz .LBB165_250
; %bb.243:                              ;   in Loop: Header=BB165_241 Depth=1
	v_mov_b64_e32 v[20:21], 0x80000000
	s_mov_b32 s9, exec_lo
	v_cmpx_ne_u16_e32 0x80, v12
	s_cbranch_execz .LBB165_249
; %bb.244:                              ;   in Loop: Header=BB165_241 Depth=1
	v_mov_b64_e32 v[20:21], 0x7f800001
	v_and_b32_e32 v24, 0x7f, v27
	s_mov_b32 s23, exec_lo
	s_delay_alu instid0(VALU_DEP_1)
	v_cmpx_ne_u32_e32 0x7f, v24
	s_cbranch_execz .LBB165_248
; %bb.245:                              ;   in Loop: Header=BB165_241 Depth=1
	v_dual_lshrrev_b32 v20, 3, v24 :: v_dual_bitop2_b32 v12, 7, v27 bitop3:0x40
	s_mov_b32 s24, exec_lo
	v_cmpx_gt_u32_e32 8, v24
; %bb.246:                              ;   in Loop: Header=BB165_241 Depth=1
	s_delay_alu instid0(VALU_DEP_2) | instskip(NEXT) | instid1(VALU_DEP_1)
	v_clz_i32_u32_e32 v20, v12
	v_min_u32_e32 v20, 32, v20
	s_delay_alu instid0(VALU_DEP_1) | instskip(SKIP_1) | instid1(VALU_DEP_2)
	v_subrev_nc_u32_e32 v21, 28, v20
	v_sub_nc_u32_e32 v20, 29, v20
	v_lshlrev_b64_e32 v[24:25], v21, v[12:13]
	s_delay_alu instid0(VALU_DEP_1)
	v_and_b32_e32 v12, 7, v24
; %bb.247:                              ;   in Loop: Header=BB165_241 Depth=1
	s_or_b32 exec_lo, exec_lo, s24
	s_delay_alu instid0(VALU_DEP_1) | instskip(SKIP_1) | instid1(VALU_DEP_2)
	v_dual_lshlrev_b32 v21, 24, v27 :: v_dual_lshlrev_b32 v12, 20, v12
	v_lshl_add_u32 v20, v20, 23, 0x3c000000
	v_and_b32_e32 v21, 0x80000000, v21
	s_delay_alu instid0(VALU_DEP_1) | instskip(NEXT) | instid1(VALU_DEP_1)
	v_or3_b32 v12, v12, v21, v20
	v_mov_b64_e32 v[20:21], v[12:13]
.LBB165_248:                            ;   in Loop: Header=BB165_241 Depth=1
	s_or_b32 exec_lo, exec_lo, s23
.LBB165_249:                            ;   in Loop: Header=BB165_241 Depth=1
	s_delay_alu instid0(SALU_CYCLE_1)
	s_or_b32 exec_lo, exec_lo, s9
.LBB165_250:                            ;   in Loop: Header=BB165_241 Depth=1
	s_delay_alu instid0(SALU_CYCLE_1) | instskip(SKIP_2) | instid1(VALU_DEP_1)
	s_or_b32 exec_lo, exec_lo, s0
	v_lshrrev_b16 v12, 8, v27
	s_mov_b32 s0, exec_lo
	v_cmpx_ne_u16_e32 0, v12
	s_cbranch_execz .LBB165_258
; %bb.251:                              ;   in Loop: Header=BB165_241 Depth=1
	v_mov_b64_e32 v[18:19], 0x8000000000000000
	s_mov_b32 s9, exec_lo
	v_cmpx_ne_u16_e32 0x80, v12
	s_cbranch_execz .LBB165_257
; %bb.252:                              ;   in Loop: Header=BB165_241 Depth=1
	v_and_b32_e32 v12, 0xffff, v12
	v_mov_b64_e32 v[18:19], 0x7f80000100000000
	s_mov_b32 s23, exec_lo
	s_delay_alu instid0(VALU_DEP_2) | instskip(NEXT) | instid1(VALU_DEP_1)
	v_and_b32_e32 v24, 0x7f, v12
	v_cmpx_ne_u32_e32 0x7f, v24
	s_cbranch_execz .LBB165_256
; %bb.253:                              ;   in Loop: Header=BB165_241 Depth=1
	v_and_b32_e32 v12, 7, v12
	v_lshrrev_b32_e32 v18, 3, v24
	s_mov_b32 s24, exec_lo
	v_cmpx_gt_u32_e32 8, v24
; %bb.254:                              ;   in Loop: Header=BB165_241 Depth=1
	s_delay_alu instid0(VALU_DEP_3) | instskip(NEXT) | instid1(VALU_DEP_1)
	v_clz_i32_u32_e32 v18, v12
	v_min_u32_e32 v18, 32, v18
	s_delay_alu instid0(VALU_DEP_1) | instskip(NEXT) | instid1(VALU_DEP_1)
	v_subrev_nc_u32_e32 v19, 28, v18
	v_lshlrev_b64_e32 v[24:25], v19, v[12:13]
	s_delay_alu instid0(VALU_DEP_1)
	v_dual_sub_nc_u32 v18, 29, v18 :: v_dual_bitop2_b32 v12, 7, v24 bitop3:0x40
; %bb.255:                              ;   in Loop: Header=BB165_241 Depth=1
	s_or_b32 exec_lo, exec_lo, s24
	s_delay_alu instid0(VALU_DEP_1) | instskip(NEXT) | instid1(VALU_DEP_2)
	v_dual_lshlrev_b32 v19, 16, v27 :: v_dual_lshlrev_b32 v12, 20, v12
	v_lshl_add_u32 v18, v18, 23, 0x3c000000
	s_delay_alu instid0(VALU_DEP_2) | instskip(NEXT) | instid1(VALU_DEP_1)
	v_and_b32_e32 v19, 0x80000000, v19
	v_or3_b32 v19, v12, v19, v18
	v_mov_b32_e32 v18, v13
.LBB165_256:                            ;   in Loop: Header=BB165_241 Depth=1
	s_or_b32 exec_lo, exec_lo, s23
.LBB165_257:                            ;   in Loop: Header=BB165_241 Depth=1
	s_delay_alu instid0(SALU_CYCLE_1)
	s_or_b32 exec_lo, exec_lo, s9
.LBB165_258:                            ;   in Loop: Header=BB165_241 Depth=1
	s_delay_alu instid0(SALU_CYCLE_1) | instskip(SKIP_4) | instid1(VALU_DEP_3)
	s_or_b32 exec_lo, exec_lo, s0
	v_lshrrev_b32_e32 v30, 16, v27
	v_mov_b64_e32 v[24:25], 0
	v_mov_b64_e32 v[28:29], 0
	s_mov_b32 s0, exec_lo
	v_and_b32_e32 v12, 0xff, v30
	s_delay_alu instid0(VALU_DEP_1)
	v_cmpx_ne_u16_e32 0, v12
	s_cbranch_execz .LBB165_266
; %bb.259:                              ;   in Loop: Header=BB165_241 Depth=1
	v_mov_b64_e32 v[28:29], 0x80000000
	s_mov_b32 s9, exec_lo
	v_cmpx_ne_u16_e32 0x80, v12
	s_cbranch_execz .LBB165_265
; %bb.260:                              ;   in Loop: Header=BB165_241 Depth=1
	v_mov_b64_e32 v[28:29], 0x7f800001
	v_bfe_u32 v31, v27, 16, 7
	s_mov_b32 s23, exec_lo
	s_delay_alu instid0(VALU_DEP_1)
	v_cmpx_ne_u32_e32 0x7f, v31
	s_cbranch_execz .LBB165_264
; %bb.261:                              ;   in Loop: Header=BB165_241 Depth=1
	v_dual_lshrrev_b32 v28, 3, v31 :: v_dual_bitop2_b32 v12, 7, v30 bitop3:0x40
	s_mov_b32 s24, exec_lo
	v_cmpx_gt_u32_e32 8, v31
; %bb.262:                              ;   in Loop: Header=BB165_241 Depth=1
	s_delay_alu instid0(VALU_DEP_2) | instskip(NEXT) | instid1(VALU_DEP_1)
	v_clz_i32_u32_e32 v28, v12
	v_min_u32_e32 v28, 32, v28
	s_delay_alu instid0(VALU_DEP_1) | instskip(SKIP_1) | instid1(VALU_DEP_2)
	v_subrev_nc_u32_e32 v29, 28, v28
	v_sub_nc_u32_e32 v28, 29, v28
	v_lshlrev_b64_e32 v[32:33], v29, v[12:13]
	s_delay_alu instid0(VALU_DEP_1)
	v_and_b32_e32 v12, 7, v32
; %bb.263:                              ;   in Loop: Header=BB165_241 Depth=1
	s_or_b32 exec_lo, exec_lo, s24
	s_delay_alu instid0(VALU_DEP_1) | instskip(SKIP_1) | instid1(VALU_DEP_2)
	v_dual_lshlrev_b32 v29, 24, v30 :: v_dual_lshlrev_b32 v12, 20, v12
	v_lshl_add_u32 v28, v28, 23, 0x3c000000
	v_and_b32_e32 v29, 0x80000000, v29
	s_delay_alu instid0(VALU_DEP_1) | instskip(NEXT) | instid1(VALU_DEP_1)
	v_or3_b32 v12, v12, v29, v28
	v_mov_b64_e32 v[28:29], v[12:13]
.LBB165_264:                            ;   in Loop: Header=BB165_241 Depth=1
	s_or_b32 exec_lo, exec_lo, s23
.LBB165_265:                            ;   in Loop: Header=BB165_241 Depth=1
	s_delay_alu instid0(SALU_CYCLE_1)
	s_or_b32 exec_lo, exec_lo, s9
.LBB165_266:                            ;   in Loop: Header=BB165_241 Depth=1
	s_delay_alu instid0(SALU_CYCLE_1) | instskip(NEXT) | instid1(SALU_CYCLE_1)
	s_or_b32 exec_lo, exec_lo, s0
	s_mov_b32 s0, exec_lo
	v_cmpx_lt_u32_e32 0xffffff, v27
	s_cbranch_execz .LBB165_274
; %bb.267:                              ;   in Loop: Header=BB165_241 Depth=1
	v_mov_b64_e32 v[24:25], 0x8000000000000000
	v_lshrrev_b32_e32 v30, 24, v27
	s_mov_b32 s9, exec_lo
	s_delay_alu instid0(VALU_DEP_1)
	v_cmpx_ne_u32_e32 0x80, v30
	s_cbranch_execz .LBB165_273
; %bb.268:                              ;   in Loop: Header=BB165_241 Depth=1
	v_mov_b64_e32 v[24:25], 0x7f80000100000000
	v_bfe_u32 v27, v27, 24, 7
	s_mov_b32 s23, exec_lo
	s_delay_alu instid0(VALU_DEP_1)
	v_cmpx_ne_u32_e32 0x7f, v27
	s_cbranch_execz .LBB165_272
; %bb.269:                              ;   in Loop: Header=BB165_241 Depth=1
	v_dual_lshrrev_b32 v24, 3, v27 :: v_dual_bitop2_b32 v12, 7, v30 bitop3:0x40
	s_mov_b32 s24, exec_lo
	v_cmpx_gt_u32_e32 8, v27
; %bb.270:                              ;   in Loop: Header=BB165_241 Depth=1
	s_delay_alu instid0(VALU_DEP_2) | instskip(NEXT) | instid1(VALU_DEP_1)
	v_clz_i32_u32_e32 v24, v12
	v_min_u32_e32 v24, 32, v24
	s_delay_alu instid0(VALU_DEP_1) | instskip(SKIP_1) | instid1(VALU_DEP_2)
	v_subrev_nc_u32_e32 v25, 28, v24
	v_sub_nc_u32_e32 v24, 29, v24
	v_lshlrev_b64_e32 v[32:33], v25, v[12:13]
	s_delay_alu instid0(VALU_DEP_1)
	v_and_b32_e32 v12, 7, v32
; %bb.271:                              ;   in Loop: Header=BB165_241 Depth=1
	s_or_b32 exec_lo, exec_lo, s24
	s_delay_alu instid0(VALU_DEP_1) | instskip(SKIP_1) | instid1(VALU_DEP_2)
	v_dual_lshlrev_b32 v25, 24, v30 :: v_dual_lshlrev_b32 v12, 20, v12
	v_lshl_add_u32 v24, v24, 23, 0x3c000000
	v_and_b32_e32 v25, 0x80000000, v25
	s_delay_alu instid0(VALU_DEP_1)
	v_or3_b32 v25, v12, v25, v24
	v_mov_b32_e32 v24, v13
.LBB165_272:                            ;   in Loop: Header=BB165_241 Depth=1
	s_or_b32 exec_lo, exec_lo, s23
.LBB165_273:                            ;   in Loop: Header=BB165_241 Depth=1
	s_delay_alu instid0(SALU_CYCLE_1)
	s_or_b32 exec_lo, exec_lo, s9
.LBB165_274:                            ;   in Loop: Header=BB165_241 Depth=1
	s_delay_alu instid0(SALU_CYCLE_1)
	s_or_b32 exec_lo, exec_lo, s0
	v_dual_add_nc_u32 v27, v52, v26 :: v_dual_bitop2_b32 v19, v19, v21 bitop3:0x54
	v_or_b32_e32 v18, v18, v20
	v_or_b32_e32 v25, v25, v29
	;; [unrolled: 1-line block ×3, first 2 shown]
	v_cmp_eq_u32_e32 vcc_lo, s26, v51
	v_add_nc_u32_e32 v54, 1, v27
	s_wait_kmcnt 0x0
	v_pk_mul_f32 v[20:21], s[8:9], v[18:19] op_sel_hi:[0,1]
	v_dual_add_nc_u32 v47, 2, v27 :: v_dual_add_nc_u32 v46, 3, v27
	v_pk_mul_f32 v[18:19], s[8:9], v[24:25] op_sel_hi:[0,1]
	s_and_saveexec_b32 s9, vcc_lo
	s_cbranch_execz .LBB165_276
; %bb.275:                              ;   in Loop: Header=BB165_241 Depth=1
	v_cmp_gt_i32_e64 s0, s34, v27
	s_delay_alu instid0(VALU_DEP_1) | instskip(SKIP_1) | instid1(VALU_DEP_1)
	v_cndmask_b32_e64 v20, 0, v20, s0
	v_cmp_gt_i32_e64 s0, s34, v54
	v_cndmask_b32_e64 v21, 0, v21, s0
	v_cmp_gt_i32_e64 s0, s34, v47
	s_delay_alu instid0(VALU_DEP_1) | instskip(SKIP_1) | instid1(VALU_DEP_1)
	v_cndmask_b32_e64 v18, 0, v18, s0
	v_cmp_gt_i32_e64 s0, s34, v46
	v_cndmask_b32_e64 v19, 0, v19, s0
.LBB165_276:                            ;   in Loop: Header=BB165_241 Depth=1
	s_or_b32 exec_lo, exec_lo, s9
	global_load_b32 v34, v[22:23], off offset:128
	v_mov_b64_e32 v[24:25], 0
	v_mov_b64_e32 v[28:29], 0
	s_mov_b32 s9, exec_lo
	s_wait_loadcnt 0x0
	v_and_b32_e32 v12, 0xff, v34
	s_delay_alu instid0(VALU_DEP_1)
	v_cmpx_ne_u16_e32 0, v12
	s_cbranch_execz .LBB165_284
; %bb.277:                              ;   in Loop: Header=BB165_241 Depth=1
	v_mov_b64_e32 v[28:29], 0x80000000
	s_mov_b32 s23, exec_lo
	v_cmpx_ne_u16_e32 0x80, v12
	s_cbranch_execz .LBB165_283
; %bb.278:                              ;   in Loop: Header=BB165_241 Depth=1
	v_mov_b64_e32 v[28:29], 0x7f800001
	v_and_b32_e32 v30, 0x7f, v34
	s_mov_b32 s24, exec_lo
	s_delay_alu instid0(VALU_DEP_1)
	v_cmpx_ne_u32_e32 0x7f, v30
	s_cbranch_execz .LBB165_282
; %bb.279:                              ;   in Loop: Header=BB165_241 Depth=1
	v_and_b32_e32 v12, 7, v34
	v_lshrrev_b32_e32 v28, 3, v30
	s_mov_b32 s25, exec_lo
	v_cmpx_gt_u32_e32 8, v30
; %bb.280:                              ;   in Loop: Header=BB165_241 Depth=1
	s_delay_alu instid0(VALU_DEP_3) | instskip(NEXT) | instid1(VALU_DEP_1)
	v_clz_i32_u32_e32 v28, v12
	v_min_u32_e32 v28, 32, v28
	s_delay_alu instid0(VALU_DEP_1) | instskip(NEXT) | instid1(VALU_DEP_1)
	v_subrev_nc_u32_e32 v29, 28, v28
	v_lshlrev_b64_e32 v[30:31], v29, v[12:13]
	s_delay_alu instid0(VALU_DEP_1)
	v_dual_sub_nc_u32 v28, 29, v28 :: v_dual_bitop2_b32 v12, 7, v30 bitop3:0x40
; %bb.281:                              ;   in Loop: Header=BB165_241 Depth=1
	s_or_b32 exec_lo, exec_lo, s25
	s_delay_alu instid0(VALU_DEP_1) | instskip(NEXT) | instid1(VALU_DEP_2)
	v_dual_lshlrev_b32 v29, 24, v34 :: v_dual_lshlrev_b32 v12, 20, v12
	v_lshl_add_u32 v28, v28, 23, 0x3c000000
	s_delay_alu instid0(VALU_DEP_2) | instskip(NEXT) | instid1(VALU_DEP_1)
	v_and_b32_e32 v29, 0x80000000, v29
	v_or3_b32 v12, v12, v29, v28
	s_delay_alu instid0(VALU_DEP_1)
	v_mov_b64_e32 v[28:29], v[12:13]
.LBB165_282:                            ;   in Loop: Header=BB165_241 Depth=1
	s_or_b32 exec_lo, exec_lo, s24
.LBB165_283:                            ;   in Loop: Header=BB165_241 Depth=1
	s_delay_alu instid0(SALU_CYCLE_1)
	s_or_b32 exec_lo, exec_lo, s23
.LBB165_284:                            ;   in Loop: Header=BB165_241 Depth=1
	s_delay_alu instid0(SALU_CYCLE_1) | instskip(SKIP_2) | instid1(VALU_DEP_1)
	s_or_b32 exec_lo, exec_lo, s9
	v_lshrrev_b16 v12, 8, v34
	s_mov_b32 s9, exec_lo
	v_cmpx_ne_u16_e32 0, v12
	s_cbranch_execz .LBB165_292
; %bb.285:                              ;   in Loop: Header=BB165_241 Depth=1
	v_mov_b64_e32 v[24:25], 0x8000000000000000
	s_mov_b32 s23, exec_lo
	v_cmpx_ne_u16_e32 0x80, v12
	s_cbranch_execz .LBB165_291
; %bb.286:                              ;   in Loop: Header=BB165_241 Depth=1
	v_and_b32_e32 v12, 0xffff, v12
	v_mov_b64_e32 v[24:25], 0x7f80000100000000
	s_mov_b32 s24, exec_lo
	s_delay_alu instid0(VALU_DEP_2) | instskip(NEXT) | instid1(VALU_DEP_1)
	v_and_b32_e32 v30, 0x7f, v12
	v_cmpx_ne_u32_e32 0x7f, v30
	s_cbranch_execz .LBB165_290
; %bb.287:                              ;   in Loop: Header=BB165_241 Depth=1
	v_dual_lshrrev_b32 v24, 3, v30 :: v_dual_bitop2_b32 v12, 7, v12 bitop3:0x40
	s_mov_b32 s25, exec_lo
	v_cmpx_gt_u32_e32 8, v30
; %bb.288:                              ;   in Loop: Header=BB165_241 Depth=1
	s_delay_alu instid0(VALU_DEP_2) | instskip(NEXT) | instid1(VALU_DEP_1)
	v_clz_i32_u32_e32 v24, v12
	v_min_u32_e32 v24, 32, v24
	s_delay_alu instid0(VALU_DEP_1) | instskip(NEXT) | instid1(VALU_DEP_1)
	v_subrev_nc_u32_e32 v25, 28, v24
	v_lshlrev_b64_e32 v[30:31], v25, v[12:13]
	s_delay_alu instid0(VALU_DEP_1)
	v_dual_sub_nc_u32 v24, 29, v24 :: v_dual_bitop2_b32 v12, 7, v30 bitop3:0x40
; %bb.289:                              ;   in Loop: Header=BB165_241 Depth=1
	s_or_b32 exec_lo, exec_lo, s25
	s_delay_alu instid0(VALU_DEP_1) | instskip(NEXT) | instid1(VALU_DEP_2)
	v_dual_lshlrev_b32 v25, 16, v34 :: v_dual_lshlrev_b32 v12, 20, v12
	v_lshl_add_u32 v24, v24, 23, 0x3c000000
	s_delay_alu instid0(VALU_DEP_2) | instskip(NEXT) | instid1(VALU_DEP_1)
	v_and_b32_e32 v25, 0x80000000, v25
	v_or3_b32 v25, v12, v25, v24
	v_mov_b32_e32 v24, v13
.LBB165_290:                            ;   in Loop: Header=BB165_241 Depth=1
	s_or_b32 exec_lo, exec_lo, s24
.LBB165_291:                            ;   in Loop: Header=BB165_241 Depth=1
	s_delay_alu instid0(SALU_CYCLE_1)
	s_or_b32 exec_lo, exec_lo, s23
.LBB165_292:                            ;   in Loop: Header=BB165_241 Depth=1
	s_delay_alu instid0(SALU_CYCLE_1) | instskip(SKIP_4) | instid1(VALU_DEP_3)
	s_or_b32 exec_lo, exec_lo, s9
	v_lshrrev_b32_e32 v35, 16, v34
	v_mov_b64_e32 v[30:31], 0
	v_mov_b64_e32 v[32:33], 0
	s_mov_b32 s9, exec_lo
	v_and_b32_e32 v12, 0xff, v35
	s_delay_alu instid0(VALU_DEP_1)
	v_cmpx_ne_u16_e32 0, v12
	s_cbranch_execz .LBB165_300
; %bb.293:                              ;   in Loop: Header=BB165_241 Depth=1
	v_mov_b64_e32 v[32:33], 0x80000000
	s_mov_b32 s23, exec_lo
	v_cmpx_ne_u16_e32 0x80, v12
	s_cbranch_execz .LBB165_299
; %bb.294:                              ;   in Loop: Header=BB165_241 Depth=1
	v_mov_b64_e32 v[32:33], 0x7f800001
	v_bfe_u32 v36, v34, 16, 7
	s_mov_b32 s24, exec_lo
	s_delay_alu instid0(VALU_DEP_1)
	v_cmpx_ne_u32_e32 0x7f, v36
	s_cbranch_execz .LBB165_298
; %bb.295:                              ;   in Loop: Header=BB165_241 Depth=1
	v_dual_lshrrev_b32 v32, 3, v36 :: v_dual_bitop2_b32 v12, 7, v35 bitop3:0x40
	s_mov_b32 s25, exec_lo
	v_cmpx_gt_u32_e32 8, v36
; %bb.296:                              ;   in Loop: Header=BB165_241 Depth=1
	s_delay_alu instid0(VALU_DEP_2) | instskip(NEXT) | instid1(VALU_DEP_1)
	v_clz_i32_u32_e32 v32, v12
	v_min_u32_e32 v32, 32, v32
	s_delay_alu instid0(VALU_DEP_1) | instskip(SKIP_1) | instid1(VALU_DEP_2)
	v_subrev_nc_u32_e32 v33, 28, v32
	v_sub_nc_u32_e32 v32, 29, v32
	v_lshlrev_b64_e32 v[36:37], v33, v[12:13]
	s_delay_alu instid0(VALU_DEP_1)
	v_and_b32_e32 v12, 7, v36
; %bb.297:                              ;   in Loop: Header=BB165_241 Depth=1
	s_or_b32 exec_lo, exec_lo, s25
	s_delay_alu instid0(VALU_DEP_1) | instskip(SKIP_1) | instid1(VALU_DEP_2)
	v_dual_lshlrev_b32 v33, 24, v35 :: v_dual_lshlrev_b32 v12, 20, v12
	v_lshl_add_u32 v32, v32, 23, 0x3c000000
	v_and_b32_e32 v33, 0x80000000, v33
	s_delay_alu instid0(VALU_DEP_1) | instskip(NEXT) | instid1(VALU_DEP_1)
	v_or3_b32 v12, v12, v33, v32
	v_mov_b64_e32 v[32:33], v[12:13]
.LBB165_298:                            ;   in Loop: Header=BB165_241 Depth=1
	s_or_b32 exec_lo, exec_lo, s24
.LBB165_299:                            ;   in Loop: Header=BB165_241 Depth=1
	s_delay_alu instid0(SALU_CYCLE_1)
	s_or_b32 exec_lo, exec_lo, s23
.LBB165_300:                            ;   in Loop: Header=BB165_241 Depth=1
	s_delay_alu instid0(SALU_CYCLE_1) | instskip(NEXT) | instid1(SALU_CYCLE_1)
	s_or_b32 exec_lo, exec_lo, s9
	s_mov_b32 s9, exec_lo
	v_cmpx_lt_u32_e32 0xffffff, v34
	s_cbranch_execz .LBB165_308
; %bb.301:                              ;   in Loop: Header=BB165_241 Depth=1
	v_mov_b64_e32 v[30:31], 0x8000000000000000
	v_lshrrev_b32_e32 v35, 24, v34
	s_mov_b32 s23, exec_lo
	s_delay_alu instid0(VALU_DEP_1)
	v_cmpx_ne_u32_e32 0x80, v35
	s_cbranch_execz .LBB165_307
; %bb.302:                              ;   in Loop: Header=BB165_241 Depth=1
	v_mov_b64_e32 v[30:31], 0x7f80000100000000
	v_bfe_u32 v34, v34, 24, 7
	s_mov_b32 s24, exec_lo
	s_delay_alu instid0(VALU_DEP_1)
	v_cmpx_ne_u32_e32 0x7f, v34
	s_cbranch_execz .LBB165_306
; %bb.303:                              ;   in Loop: Header=BB165_241 Depth=1
	v_dual_lshrrev_b32 v30, 3, v34 :: v_dual_bitop2_b32 v12, 7, v35 bitop3:0x40
	s_mov_b32 s25, exec_lo
	v_cmpx_gt_u32_e32 8, v34
; %bb.304:                              ;   in Loop: Header=BB165_241 Depth=1
	s_delay_alu instid0(VALU_DEP_2) | instskip(NEXT) | instid1(VALU_DEP_1)
	v_clz_i32_u32_e32 v30, v12
	v_min_u32_e32 v30, 32, v30
	s_delay_alu instid0(VALU_DEP_1) | instskip(NEXT) | instid1(VALU_DEP_1)
	v_subrev_nc_u32_e32 v31, 28, v30
	v_lshlrev_b64_e32 v[36:37], v31, v[12:13]
	s_delay_alu instid0(VALU_DEP_1)
	v_dual_sub_nc_u32 v30, 29, v30 :: v_dual_bitop2_b32 v12, 7, v36 bitop3:0x40
; %bb.305:                              ;   in Loop: Header=BB165_241 Depth=1
	s_or_b32 exec_lo, exec_lo, s25
	s_delay_alu instid0(VALU_DEP_1) | instskip(NEXT) | instid1(VALU_DEP_2)
	v_dual_lshlrev_b32 v31, 24, v35 :: v_dual_lshlrev_b32 v12, 20, v12
	v_lshl_add_u32 v30, v30, 23, 0x3c000000
	s_delay_alu instid0(VALU_DEP_2) | instskip(NEXT) | instid1(VALU_DEP_1)
	v_and_b32_e32 v31, 0x80000000, v31
	v_or3_b32 v31, v12, v31, v30
	v_mov_b32_e32 v30, v13
.LBB165_306:                            ;   in Loop: Header=BB165_241 Depth=1
	s_or_b32 exec_lo, exec_lo, s24
.LBB165_307:                            ;   in Loop: Header=BB165_241 Depth=1
	s_delay_alu instid0(SALU_CYCLE_1)
	s_or_b32 exec_lo, exec_lo, s23
.LBB165_308:                            ;   in Loop: Header=BB165_241 Depth=1
	s_delay_alu instid0(SALU_CYCLE_1)
	s_or_b32 exec_lo, exec_lo, s9
	s_mov_b32 s9, s8
	v_or_b32_e32 v25, v25, v29
	v_mov_b64_e32 v[34:35], s[8:9]
	v_or_b32_e32 v24, v24, v28
	v_or_b32_e32 v31, v31, v33
	;; [unrolled: 1-line block ×3, first 2 shown]
	s_delay_alu instid0(VALU_DEP_3) | instskip(NEXT) | instid1(VALU_DEP_2)
	v_pk_mul_f32 v[28:29], v[34:35], v[24:25]
	v_pk_mul_f32 v[24:25], v[34:35], v[30:31]
	s_and_saveexec_b32 s23, vcc_lo
	s_cbranch_execz .LBB165_310
; %bb.309:                              ;   in Loop: Header=BB165_241 Depth=1
	v_cmp_gt_i32_e64 s0, s34, v27
	s_delay_alu instid0(VALU_DEP_1) | instskip(SKIP_1) | instid1(VALU_DEP_1)
	v_cndmask_b32_e64 v28, 0, v28, s0
	v_cmp_gt_i32_e64 s0, s34, v54
	v_cndmask_b32_e64 v29, 0, v29, s0
	v_cmp_gt_i32_e64 s0, s34, v47
	s_delay_alu instid0(VALU_DEP_1) | instskip(SKIP_1) | instid1(VALU_DEP_1)
	v_cndmask_b32_e64 v24, 0, v24, s0
	v_cmp_gt_i32_e64 s0, s34, v46
	v_cndmask_b32_e64 v25, 0, v25, s0
.LBB165_310:                            ;   in Loop: Header=BB165_241 Depth=1
	s_or_b32 exec_lo, exec_lo, s23
	global_load_b32 v38, v[22:23], off offset:256
	v_mov_b64_e32 v[30:31], 0
	v_mov_b64_e32 v[32:33], 0
	s_mov_b32 s23, exec_lo
	s_wait_loadcnt 0x0
	v_and_b32_e32 v12, 0xff, v38
	s_delay_alu instid0(VALU_DEP_1)
	v_cmpx_ne_u16_e32 0, v12
	s_cbranch_execz .LBB165_318
; %bb.311:                              ;   in Loop: Header=BB165_241 Depth=1
	v_mov_b64_e32 v[32:33], 0x80000000
	s_mov_b32 s24, exec_lo
	v_cmpx_ne_u16_e32 0x80, v12
	s_cbranch_execz .LBB165_317
; %bb.312:                              ;   in Loop: Header=BB165_241 Depth=1
	v_mov_b64_e32 v[32:33], 0x7f800001
	v_and_b32_e32 v34, 0x7f, v38
	s_mov_b32 s25, exec_lo
	s_delay_alu instid0(VALU_DEP_1)
	v_cmpx_ne_u32_e32 0x7f, v34
	s_cbranch_execz .LBB165_316
; %bb.313:                              ;   in Loop: Header=BB165_241 Depth=1
	v_and_b32_e32 v12, 7, v38
	v_lshrrev_b32_e32 v32, 3, v34
	s_mov_b32 s27, exec_lo
	v_cmpx_gt_u32_e32 8, v34
; %bb.314:                              ;   in Loop: Header=BB165_241 Depth=1
	s_delay_alu instid0(VALU_DEP_3) | instskip(NEXT) | instid1(VALU_DEP_1)
	v_clz_i32_u32_e32 v32, v12
	v_min_u32_e32 v32, 32, v32
	s_delay_alu instid0(VALU_DEP_1) | instskip(NEXT) | instid1(VALU_DEP_1)
	v_subrev_nc_u32_e32 v33, 28, v32
	v_lshlrev_b64_e32 v[34:35], v33, v[12:13]
	s_delay_alu instid0(VALU_DEP_1)
	v_dual_sub_nc_u32 v32, 29, v32 :: v_dual_bitop2_b32 v12, 7, v34 bitop3:0x40
; %bb.315:                              ;   in Loop: Header=BB165_241 Depth=1
	s_or_b32 exec_lo, exec_lo, s27
	s_delay_alu instid0(VALU_DEP_1) | instskip(NEXT) | instid1(VALU_DEP_2)
	v_dual_lshlrev_b32 v33, 24, v38 :: v_dual_lshlrev_b32 v12, 20, v12
	v_lshl_add_u32 v32, v32, 23, 0x3c000000
	s_delay_alu instid0(VALU_DEP_2) | instskip(NEXT) | instid1(VALU_DEP_1)
	v_and_b32_e32 v33, 0x80000000, v33
	v_or3_b32 v12, v12, v33, v32
	s_delay_alu instid0(VALU_DEP_1)
	v_mov_b64_e32 v[32:33], v[12:13]
.LBB165_316:                            ;   in Loop: Header=BB165_241 Depth=1
	s_or_b32 exec_lo, exec_lo, s25
.LBB165_317:                            ;   in Loop: Header=BB165_241 Depth=1
	s_delay_alu instid0(SALU_CYCLE_1)
	s_or_b32 exec_lo, exec_lo, s24
.LBB165_318:                            ;   in Loop: Header=BB165_241 Depth=1
	s_delay_alu instid0(SALU_CYCLE_1) | instskip(SKIP_2) | instid1(VALU_DEP_1)
	s_or_b32 exec_lo, exec_lo, s23
	v_lshrrev_b16 v12, 8, v38
	s_mov_b32 s23, exec_lo
	v_cmpx_ne_u16_e32 0, v12
	s_cbranch_execz .LBB165_326
; %bb.319:                              ;   in Loop: Header=BB165_241 Depth=1
	v_mov_b64_e32 v[30:31], 0x8000000000000000
	s_mov_b32 s24, exec_lo
	v_cmpx_ne_u16_e32 0x80, v12
	s_cbranch_execz .LBB165_325
; %bb.320:                              ;   in Loop: Header=BB165_241 Depth=1
	v_and_b32_e32 v12, 0xffff, v12
	v_mov_b64_e32 v[30:31], 0x7f80000100000000
	s_mov_b32 s25, exec_lo
	s_delay_alu instid0(VALU_DEP_2) | instskip(NEXT) | instid1(VALU_DEP_1)
	v_and_b32_e32 v34, 0x7f, v12
	v_cmpx_ne_u32_e32 0x7f, v34
	s_cbranch_execz .LBB165_324
; %bb.321:                              ;   in Loop: Header=BB165_241 Depth=1
	v_dual_lshrrev_b32 v30, 3, v34 :: v_dual_bitop2_b32 v12, 7, v12 bitop3:0x40
	s_mov_b32 s27, exec_lo
	v_cmpx_gt_u32_e32 8, v34
; %bb.322:                              ;   in Loop: Header=BB165_241 Depth=1
	s_delay_alu instid0(VALU_DEP_2) | instskip(NEXT) | instid1(VALU_DEP_1)
	v_clz_i32_u32_e32 v30, v12
	v_min_u32_e32 v30, 32, v30
	s_delay_alu instid0(VALU_DEP_1) | instskip(SKIP_1) | instid1(VALU_DEP_2)
	v_subrev_nc_u32_e32 v31, 28, v30
	v_sub_nc_u32_e32 v30, 29, v30
	v_lshlrev_b64_e32 v[34:35], v31, v[12:13]
	s_delay_alu instid0(VALU_DEP_1)
	v_and_b32_e32 v12, 7, v34
; %bb.323:                              ;   in Loop: Header=BB165_241 Depth=1
	s_or_b32 exec_lo, exec_lo, s27
	s_delay_alu instid0(VALU_DEP_1) | instskip(SKIP_1) | instid1(VALU_DEP_2)
	v_dual_lshlrev_b32 v31, 16, v38 :: v_dual_lshlrev_b32 v12, 20, v12
	v_lshl_add_u32 v30, v30, 23, 0x3c000000
	v_and_b32_e32 v31, 0x80000000, v31
	s_delay_alu instid0(VALU_DEP_1)
	v_or3_b32 v31, v12, v31, v30
	v_mov_b32_e32 v30, v13
.LBB165_324:                            ;   in Loop: Header=BB165_241 Depth=1
	s_or_b32 exec_lo, exec_lo, s25
.LBB165_325:                            ;   in Loop: Header=BB165_241 Depth=1
	s_delay_alu instid0(SALU_CYCLE_1)
	s_or_b32 exec_lo, exec_lo, s24
.LBB165_326:                            ;   in Loop: Header=BB165_241 Depth=1
	s_delay_alu instid0(SALU_CYCLE_1) | instskip(SKIP_4) | instid1(VALU_DEP_3)
	s_or_b32 exec_lo, exec_lo, s23
	v_lshrrev_b32_e32 v39, 16, v38
	v_mov_b64_e32 v[34:35], 0
	v_mov_b64_e32 v[36:37], 0
	s_mov_b32 s23, exec_lo
	v_and_b32_e32 v12, 0xff, v39
	s_delay_alu instid0(VALU_DEP_1)
	v_cmpx_ne_u16_e32 0, v12
	s_cbranch_execz .LBB165_334
; %bb.327:                              ;   in Loop: Header=BB165_241 Depth=1
	v_mov_b64_e32 v[36:37], 0x80000000
	s_mov_b32 s24, exec_lo
	v_cmpx_ne_u16_e32 0x80, v12
	s_cbranch_execz .LBB165_333
; %bb.328:                              ;   in Loop: Header=BB165_241 Depth=1
	v_mov_b64_e32 v[36:37], 0x7f800001
	v_bfe_u32 v40, v38, 16, 7
	s_mov_b32 s25, exec_lo
	s_delay_alu instid0(VALU_DEP_1)
	v_cmpx_ne_u32_e32 0x7f, v40
	s_cbranch_execz .LBB165_332
; %bb.329:                              ;   in Loop: Header=BB165_241 Depth=1
	v_dual_lshrrev_b32 v36, 3, v40 :: v_dual_bitop2_b32 v12, 7, v39 bitop3:0x40
	s_mov_b32 s27, exec_lo
	v_cmpx_gt_u32_e32 8, v40
; %bb.330:                              ;   in Loop: Header=BB165_241 Depth=1
	s_delay_alu instid0(VALU_DEP_2) | instskip(NEXT) | instid1(VALU_DEP_1)
	v_clz_i32_u32_e32 v36, v12
	v_min_u32_e32 v36, 32, v36
	s_delay_alu instid0(VALU_DEP_1) | instskip(SKIP_1) | instid1(VALU_DEP_2)
	v_subrev_nc_u32_e32 v37, 28, v36
	v_sub_nc_u32_e32 v36, 29, v36
	v_lshlrev_b64_e32 v[40:41], v37, v[12:13]
	s_delay_alu instid0(VALU_DEP_1)
	v_and_b32_e32 v12, 7, v40
; %bb.331:                              ;   in Loop: Header=BB165_241 Depth=1
	s_or_b32 exec_lo, exec_lo, s27
	s_delay_alu instid0(VALU_DEP_1) | instskip(SKIP_1) | instid1(VALU_DEP_2)
	v_dual_lshlrev_b32 v37, 24, v39 :: v_dual_lshlrev_b32 v12, 20, v12
	v_lshl_add_u32 v36, v36, 23, 0x3c000000
	v_and_b32_e32 v37, 0x80000000, v37
	s_delay_alu instid0(VALU_DEP_1) | instskip(NEXT) | instid1(VALU_DEP_1)
	v_or3_b32 v12, v12, v37, v36
	v_mov_b64_e32 v[36:37], v[12:13]
.LBB165_332:                            ;   in Loop: Header=BB165_241 Depth=1
	s_or_b32 exec_lo, exec_lo, s25
.LBB165_333:                            ;   in Loop: Header=BB165_241 Depth=1
	s_delay_alu instid0(SALU_CYCLE_1)
	s_or_b32 exec_lo, exec_lo, s24
.LBB165_334:                            ;   in Loop: Header=BB165_241 Depth=1
	s_delay_alu instid0(SALU_CYCLE_1) | instskip(NEXT) | instid1(SALU_CYCLE_1)
	s_or_b32 exec_lo, exec_lo, s23
	s_mov_b32 s23, exec_lo
	v_cmpx_lt_u32_e32 0xffffff, v38
	s_cbranch_execz .LBB165_342
; %bb.335:                              ;   in Loop: Header=BB165_241 Depth=1
	v_mov_b64_e32 v[34:35], 0x8000000000000000
	v_lshrrev_b32_e32 v39, 24, v38
	s_mov_b32 s24, exec_lo
	s_delay_alu instid0(VALU_DEP_1)
	v_cmpx_ne_u32_e32 0x80, v39
	s_cbranch_execz .LBB165_341
; %bb.336:                              ;   in Loop: Header=BB165_241 Depth=1
	v_mov_b64_e32 v[34:35], 0x7f80000100000000
	v_bfe_u32 v38, v38, 24, 7
	s_mov_b32 s25, exec_lo
	s_delay_alu instid0(VALU_DEP_1)
	v_cmpx_ne_u32_e32 0x7f, v38
	s_cbranch_execz .LBB165_340
; %bb.337:                              ;   in Loop: Header=BB165_241 Depth=1
	v_dual_lshrrev_b32 v34, 3, v38 :: v_dual_bitop2_b32 v12, 7, v39 bitop3:0x40
	s_mov_b32 s27, exec_lo
	v_cmpx_gt_u32_e32 8, v38
; %bb.338:                              ;   in Loop: Header=BB165_241 Depth=1
	s_delay_alu instid0(VALU_DEP_2) | instskip(NEXT) | instid1(VALU_DEP_1)
	v_clz_i32_u32_e32 v34, v12
	v_min_u32_e32 v34, 32, v34
	s_delay_alu instid0(VALU_DEP_1) | instskip(NEXT) | instid1(VALU_DEP_1)
	v_subrev_nc_u32_e32 v35, 28, v34
	v_lshlrev_b64_e32 v[40:41], v35, v[12:13]
	s_delay_alu instid0(VALU_DEP_1)
	v_dual_sub_nc_u32 v34, 29, v34 :: v_dual_bitop2_b32 v12, 7, v40 bitop3:0x40
; %bb.339:                              ;   in Loop: Header=BB165_241 Depth=1
	s_or_b32 exec_lo, exec_lo, s27
	s_delay_alu instid0(VALU_DEP_1) | instskip(NEXT) | instid1(VALU_DEP_2)
	v_dual_lshlrev_b32 v35, 24, v39 :: v_dual_lshlrev_b32 v12, 20, v12
	v_lshl_add_u32 v34, v34, 23, 0x3c000000
	s_delay_alu instid0(VALU_DEP_2) | instskip(NEXT) | instid1(VALU_DEP_1)
	v_and_b32_e32 v35, 0x80000000, v35
	v_or3_b32 v35, v12, v35, v34
	v_mov_b32_e32 v34, v13
.LBB165_340:                            ;   in Loop: Header=BB165_241 Depth=1
	s_or_b32 exec_lo, exec_lo, s25
.LBB165_341:                            ;   in Loop: Header=BB165_241 Depth=1
	s_delay_alu instid0(SALU_CYCLE_1)
	s_or_b32 exec_lo, exec_lo, s24
.LBB165_342:                            ;   in Loop: Header=BB165_241 Depth=1
	s_delay_alu instid0(SALU_CYCLE_1)
	s_or_b32 exec_lo, exec_lo, s23
	v_mov_b64_e32 v[38:39], s[8:9]
	v_or_b32_e32 v31, v31, v33
	v_or_b32_e32 v30, v30, v32
	;; [unrolled: 1-line block ×4, first 2 shown]
	s_delay_alu instid0(VALU_DEP_3) | instskip(NEXT) | instid1(VALU_DEP_2)
	v_pk_mul_f32 v[32:33], v[38:39], v[30:31]
	v_pk_mul_f32 v[30:31], v[38:39], v[34:35]
	s_and_saveexec_b32 s23, vcc_lo
	s_cbranch_execz .LBB165_344
; %bb.343:                              ;   in Loop: Header=BB165_241 Depth=1
	v_cmp_gt_i32_e64 s0, s34, v27
	s_delay_alu instid0(VALU_DEP_1) | instskip(SKIP_1) | instid1(VALU_DEP_1)
	v_cndmask_b32_e64 v32, 0, v32, s0
	v_cmp_gt_i32_e64 s0, s34, v54
	v_cndmask_b32_e64 v33, 0, v33, s0
	v_cmp_gt_i32_e64 s0, s34, v47
	s_delay_alu instid0(VALU_DEP_1) | instskip(SKIP_1) | instid1(VALU_DEP_1)
	v_cndmask_b32_e64 v30, 0, v30, s0
	v_cmp_gt_i32_e64 s0, s34, v46
	v_cndmask_b32_e64 v31, 0, v31, s0
.LBB165_344:                            ;   in Loop: Header=BB165_241 Depth=1
	s_or_b32 exec_lo, exec_lo, s23
	global_load_b32 v42, v[22:23], off offset:384
	v_mov_b64_e32 v[34:35], 0
	v_mov_b64_e32 v[36:37], 0
	s_mov_b32 s23, exec_lo
	s_wait_loadcnt 0x0
	v_and_b32_e32 v12, 0xff, v42
	s_delay_alu instid0(VALU_DEP_1)
	v_cmpx_ne_u16_e32 0, v12
	s_cbranch_execz .LBB165_352
; %bb.345:                              ;   in Loop: Header=BB165_241 Depth=1
	v_mov_b64_e32 v[36:37], 0x80000000
	s_mov_b32 s24, exec_lo
	v_cmpx_ne_u16_e32 0x80, v12
	s_cbranch_execz .LBB165_351
; %bb.346:                              ;   in Loop: Header=BB165_241 Depth=1
	v_mov_b64_e32 v[36:37], 0x7f800001
	v_and_b32_e32 v38, 0x7f, v42
	s_mov_b32 s25, exec_lo
	s_delay_alu instid0(VALU_DEP_1)
	v_cmpx_ne_u32_e32 0x7f, v38
	s_cbranch_execz .LBB165_350
; %bb.347:                              ;   in Loop: Header=BB165_241 Depth=1
	v_and_b32_e32 v12, 7, v42
	v_lshrrev_b32_e32 v36, 3, v38
	s_mov_b32 s27, exec_lo
	v_cmpx_gt_u32_e32 8, v38
; %bb.348:                              ;   in Loop: Header=BB165_241 Depth=1
	s_delay_alu instid0(VALU_DEP_3) | instskip(NEXT) | instid1(VALU_DEP_1)
	v_clz_i32_u32_e32 v36, v12
	v_min_u32_e32 v36, 32, v36
	s_delay_alu instid0(VALU_DEP_1) | instskip(NEXT) | instid1(VALU_DEP_1)
	v_subrev_nc_u32_e32 v37, 28, v36
	v_lshlrev_b64_e32 v[38:39], v37, v[12:13]
	s_delay_alu instid0(VALU_DEP_1)
	v_dual_sub_nc_u32 v36, 29, v36 :: v_dual_bitop2_b32 v12, 7, v38 bitop3:0x40
; %bb.349:                              ;   in Loop: Header=BB165_241 Depth=1
	s_or_b32 exec_lo, exec_lo, s27
	s_delay_alu instid0(VALU_DEP_1) | instskip(NEXT) | instid1(VALU_DEP_2)
	v_dual_lshlrev_b32 v37, 24, v42 :: v_dual_lshlrev_b32 v12, 20, v12
	v_lshl_add_u32 v36, v36, 23, 0x3c000000
	s_delay_alu instid0(VALU_DEP_2) | instskip(NEXT) | instid1(VALU_DEP_1)
	v_and_b32_e32 v37, 0x80000000, v37
	v_or3_b32 v12, v12, v37, v36
	s_delay_alu instid0(VALU_DEP_1)
	v_mov_b64_e32 v[36:37], v[12:13]
.LBB165_350:                            ;   in Loop: Header=BB165_241 Depth=1
	s_or_b32 exec_lo, exec_lo, s25
.LBB165_351:                            ;   in Loop: Header=BB165_241 Depth=1
	s_delay_alu instid0(SALU_CYCLE_1)
	s_or_b32 exec_lo, exec_lo, s24
.LBB165_352:                            ;   in Loop: Header=BB165_241 Depth=1
	s_delay_alu instid0(SALU_CYCLE_1) | instskip(SKIP_2) | instid1(VALU_DEP_1)
	s_or_b32 exec_lo, exec_lo, s23
	v_lshrrev_b16 v12, 8, v42
	s_mov_b32 s23, exec_lo
	v_cmpx_ne_u16_e32 0, v12
	s_cbranch_execz .LBB165_360
; %bb.353:                              ;   in Loop: Header=BB165_241 Depth=1
	v_mov_b64_e32 v[34:35], 0x8000000000000000
	s_mov_b32 s24, exec_lo
	v_cmpx_ne_u16_e32 0x80, v12
	s_cbranch_execz .LBB165_359
; %bb.354:                              ;   in Loop: Header=BB165_241 Depth=1
	v_and_b32_e32 v12, 0xffff, v12
	v_mov_b64_e32 v[34:35], 0x7f80000100000000
	s_mov_b32 s25, exec_lo
	s_delay_alu instid0(VALU_DEP_2) | instskip(NEXT) | instid1(VALU_DEP_1)
	v_and_b32_e32 v38, 0x7f, v12
	v_cmpx_ne_u32_e32 0x7f, v38
	s_cbranch_execz .LBB165_358
; %bb.355:                              ;   in Loop: Header=BB165_241 Depth=1
	v_dual_lshrrev_b32 v34, 3, v38 :: v_dual_bitop2_b32 v12, 7, v12 bitop3:0x40
	s_mov_b32 s27, exec_lo
	v_cmpx_gt_u32_e32 8, v38
; %bb.356:                              ;   in Loop: Header=BB165_241 Depth=1
	s_delay_alu instid0(VALU_DEP_2) | instskip(NEXT) | instid1(VALU_DEP_1)
	v_clz_i32_u32_e32 v34, v12
	v_min_u32_e32 v34, 32, v34
	s_delay_alu instid0(VALU_DEP_1) | instskip(SKIP_1) | instid1(VALU_DEP_2)
	v_subrev_nc_u32_e32 v35, 28, v34
	v_sub_nc_u32_e32 v34, 29, v34
	v_lshlrev_b64_e32 v[38:39], v35, v[12:13]
	s_delay_alu instid0(VALU_DEP_1)
	v_and_b32_e32 v12, 7, v38
; %bb.357:                              ;   in Loop: Header=BB165_241 Depth=1
	s_or_b32 exec_lo, exec_lo, s27
	s_delay_alu instid0(VALU_DEP_1) | instskip(SKIP_1) | instid1(VALU_DEP_2)
	v_dual_lshlrev_b32 v35, 16, v42 :: v_dual_lshlrev_b32 v12, 20, v12
	v_lshl_add_u32 v34, v34, 23, 0x3c000000
	v_and_b32_e32 v35, 0x80000000, v35
	s_delay_alu instid0(VALU_DEP_1)
	v_or3_b32 v35, v12, v35, v34
	v_mov_b32_e32 v34, v13
.LBB165_358:                            ;   in Loop: Header=BB165_241 Depth=1
	s_or_b32 exec_lo, exec_lo, s25
.LBB165_359:                            ;   in Loop: Header=BB165_241 Depth=1
	s_delay_alu instid0(SALU_CYCLE_1)
	s_or_b32 exec_lo, exec_lo, s24
.LBB165_360:                            ;   in Loop: Header=BB165_241 Depth=1
	s_delay_alu instid0(SALU_CYCLE_1) | instskip(SKIP_4) | instid1(VALU_DEP_3)
	s_or_b32 exec_lo, exec_lo, s23
	v_lshrrev_b32_e32 v43, 16, v42
	v_mov_b64_e32 v[38:39], 0
	v_mov_b64_e32 v[40:41], 0
	s_mov_b32 s23, exec_lo
	v_and_b32_e32 v12, 0xff, v43
	s_delay_alu instid0(VALU_DEP_1)
	v_cmpx_ne_u16_e32 0, v12
	s_cbranch_execz .LBB165_368
; %bb.361:                              ;   in Loop: Header=BB165_241 Depth=1
	v_mov_b64_e32 v[40:41], 0x80000000
	s_mov_b32 s24, exec_lo
	v_cmpx_ne_u16_e32 0x80, v12
	s_cbranch_execz .LBB165_367
; %bb.362:                              ;   in Loop: Header=BB165_241 Depth=1
	v_mov_b64_e32 v[40:41], 0x7f800001
	v_bfe_u32 v44, v42, 16, 7
	s_mov_b32 s25, exec_lo
	s_delay_alu instid0(VALU_DEP_1)
	v_cmpx_ne_u32_e32 0x7f, v44
	s_cbranch_execz .LBB165_366
; %bb.363:                              ;   in Loop: Header=BB165_241 Depth=1
	v_dual_lshrrev_b32 v40, 3, v44 :: v_dual_bitop2_b32 v12, 7, v43 bitop3:0x40
	s_mov_b32 s27, exec_lo
	v_cmpx_gt_u32_e32 8, v44
; %bb.364:                              ;   in Loop: Header=BB165_241 Depth=1
	s_delay_alu instid0(VALU_DEP_2) | instskip(NEXT) | instid1(VALU_DEP_1)
	v_clz_i32_u32_e32 v40, v12
	v_min_u32_e32 v40, 32, v40
	s_delay_alu instid0(VALU_DEP_1) | instskip(SKIP_1) | instid1(VALU_DEP_2)
	v_subrev_nc_u32_e32 v41, 28, v40
	v_sub_nc_u32_e32 v40, 29, v40
	v_lshlrev_b64_e32 v[44:45], v41, v[12:13]
	s_delay_alu instid0(VALU_DEP_1)
	v_and_b32_e32 v12, 7, v44
; %bb.365:                              ;   in Loop: Header=BB165_241 Depth=1
	s_or_b32 exec_lo, exec_lo, s27
	s_delay_alu instid0(VALU_DEP_1) | instskip(SKIP_1) | instid1(VALU_DEP_2)
	v_dual_lshlrev_b32 v41, 24, v43 :: v_dual_lshlrev_b32 v12, 20, v12
	v_lshl_add_u32 v40, v40, 23, 0x3c000000
	v_and_b32_e32 v41, 0x80000000, v41
	s_delay_alu instid0(VALU_DEP_1) | instskip(NEXT) | instid1(VALU_DEP_1)
	v_or3_b32 v12, v12, v41, v40
	v_mov_b64_e32 v[40:41], v[12:13]
.LBB165_366:                            ;   in Loop: Header=BB165_241 Depth=1
	s_or_b32 exec_lo, exec_lo, s25
.LBB165_367:                            ;   in Loop: Header=BB165_241 Depth=1
	s_delay_alu instid0(SALU_CYCLE_1)
	s_or_b32 exec_lo, exec_lo, s24
.LBB165_368:                            ;   in Loop: Header=BB165_241 Depth=1
	s_delay_alu instid0(SALU_CYCLE_1) | instskip(NEXT) | instid1(SALU_CYCLE_1)
	s_or_b32 exec_lo, exec_lo, s23
	s_mov_b32 s23, exec_lo
	v_cmpx_lt_u32_e32 0xffffff, v42
	s_cbranch_execz .LBB165_376
; %bb.369:                              ;   in Loop: Header=BB165_241 Depth=1
	v_mov_b64_e32 v[38:39], 0x8000000000000000
	v_lshrrev_b32_e32 v43, 24, v42
	s_mov_b32 s24, exec_lo
	s_delay_alu instid0(VALU_DEP_1)
	v_cmpx_ne_u32_e32 0x80, v43
	s_cbranch_execz .LBB165_375
; %bb.370:                              ;   in Loop: Header=BB165_241 Depth=1
	v_mov_b64_e32 v[38:39], 0x7f80000100000000
	v_bfe_u32 v42, v42, 24, 7
	s_mov_b32 s25, exec_lo
	s_delay_alu instid0(VALU_DEP_1)
	v_cmpx_ne_u32_e32 0x7f, v42
	s_cbranch_execz .LBB165_374
; %bb.371:                              ;   in Loop: Header=BB165_241 Depth=1
	v_dual_lshrrev_b32 v38, 3, v42 :: v_dual_bitop2_b32 v12, 7, v43 bitop3:0x40
	s_mov_b32 s27, exec_lo
	v_cmpx_gt_u32_e32 8, v42
; %bb.372:                              ;   in Loop: Header=BB165_241 Depth=1
	s_delay_alu instid0(VALU_DEP_2) | instskip(NEXT) | instid1(VALU_DEP_1)
	v_clz_i32_u32_e32 v38, v12
	v_min_u32_e32 v38, 32, v38
	s_delay_alu instid0(VALU_DEP_1) | instskip(NEXT) | instid1(VALU_DEP_1)
	v_subrev_nc_u32_e32 v39, 28, v38
	v_lshlrev_b64_e32 v[44:45], v39, v[12:13]
	s_delay_alu instid0(VALU_DEP_1)
	v_dual_sub_nc_u32 v38, 29, v38 :: v_dual_bitop2_b32 v12, 7, v44 bitop3:0x40
; %bb.373:                              ;   in Loop: Header=BB165_241 Depth=1
	s_or_b32 exec_lo, exec_lo, s27
	s_delay_alu instid0(VALU_DEP_1) | instskip(NEXT) | instid1(VALU_DEP_2)
	v_dual_lshlrev_b32 v39, 24, v43 :: v_dual_lshlrev_b32 v12, 20, v12
	v_lshl_add_u32 v38, v38, 23, 0x3c000000
	s_delay_alu instid0(VALU_DEP_2) | instskip(NEXT) | instid1(VALU_DEP_1)
	v_and_b32_e32 v39, 0x80000000, v39
	v_or3_b32 v39, v12, v39, v38
	v_mov_b32_e32 v38, v13
.LBB165_374:                            ;   in Loop: Header=BB165_241 Depth=1
	s_or_b32 exec_lo, exec_lo, s25
.LBB165_375:                            ;   in Loop: Header=BB165_241 Depth=1
	s_delay_alu instid0(SALU_CYCLE_1)
	s_or_b32 exec_lo, exec_lo, s24
.LBB165_376:                            ;   in Loop: Header=BB165_241 Depth=1
	s_delay_alu instid0(SALU_CYCLE_1)
	s_or_b32 exec_lo, exec_lo, s23
	v_mov_b64_e32 v[42:43], s[8:9]
	v_or_b32_e32 v35, v35, v37
	v_or_b32_e32 v34, v34, v36
	;; [unrolled: 1-line block ×4, first 2 shown]
	s_delay_alu instid0(VALU_DEP_3) | instskip(NEXT) | instid1(VALU_DEP_2)
	v_pk_mul_f32 v[36:37], v[42:43], v[34:35]
	v_pk_mul_f32 v[34:35], v[42:43], v[38:39]
	s_and_saveexec_b32 s23, vcc_lo
	s_cbranch_execz .LBB165_378
; %bb.377:                              ;   in Loop: Header=BB165_241 Depth=1
	v_cmp_gt_i32_e64 s0, s34, v27
	s_delay_alu instid0(VALU_DEP_1) | instskip(SKIP_1) | instid1(VALU_DEP_1)
	v_cndmask_b32_e64 v36, 0, v36, s0
	v_cmp_gt_i32_e64 s0, s34, v54
	v_cndmask_b32_e64 v37, 0, v37, s0
	v_cmp_gt_i32_e64 s0, s34, v47
	s_delay_alu instid0(VALU_DEP_1) | instskip(SKIP_1) | instid1(VALU_DEP_1)
	v_cndmask_b32_e64 v34, 0, v34, s0
	v_cmp_gt_i32_e64 s0, s34, v46
	v_cndmask_b32_e64 v35, 0, v35, s0
.LBB165_378:                            ;   in Loop: Header=BB165_241 Depth=1
	s_or_b32 exec_lo, exec_lo, s23
	global_load_b32 v55, v[22:23], off offset:512
	v_mov_b64_e32 v[38:39], 0
	v_mov_b64_e32 v[40:41], 0
	s_mov_b32 s23, exec_lo
	s_wait_loadcnt 0x0
	v_and_b32_e32 v12, 0xff, v55
	s_delay_alu instid0(VALU_DEP_1)
	v_cmpx_ne_u16_e32 0, v12
	s_cbranch_execz .LBB165_386
; %bb.379:                              ;   in Loop: Header=BB165_241 Depth=1
	v_mov_b64_e32 v[40:41], 0x80000000
	s_mov_b32 s24, exec_lo
	v_cmpx_ne_u16_e32 0x80, v12
	s_cbranch_execz .LBB165_385
; %bb.380:                              ;   in Loop: Header=BB165_241 Depth=1
	v_mov_b64_e32 v[40:41], 0x7f800001
	v_and_b32_e32 v42, 0x7f, v55
	s_mov_b32 s25, exec_lo
	s_delay_alu instid0(VALU_DEP_1)
	v_cmpx_ne_u32_e32 0x7f, v42
	s_cbranch_execz .LBB165_384
; %bb.381:                              ;   in Loop: Header=BB165_241 Depth=1
	v_dual_lshrrev_b32 v40, 3, v42 :: v_dual_bitop2_b32 v12, 7, v55 bitop3:0x40
	s_mov_b32 s27, exec_lo
	v_cmpx_gt_u32_e32 8, v42
; %bb.382:                              ;   in Loop: Header=BB165_241 Depth=1
	s_delay_alu instid0(VALU_DEP_2) | instskip(NEXT) | instid1(VALU_DEP_1)
	v_clz_i32_u32_e32 v40, v12
	v_min_u32_e32 v40, 32, v40
	s_delay_alu instid0(VALU_DEP_1) | instskip(NEXT) | instid1(VALU_DEP_1)
	v_subrev_nc_u32_e32 v41, 28, v40
	v_lshlrev_b64_e32 v[42:43], v41, v[12:13]
	s_delay_alu instid0(VALU_DEP_1)
	v_dual_sub_nc_u32 v40, 29, v40 :: v_dual_bitop2_b32 v12, 7, v42 bitop3:0x40
; %bb.383:                              ;   in Loop: Header=BB165_241 Depth=1
	s_or_b32 exec_lo, exec_lo, s27
	s_delay_alu instid0(VALU_DEP_1) | instskip(NEXT) | instid1(VALU_DEP_2)
	v_dual_lshlrev_b32 v41, 24, v55 :: v_dual_lshlrev_b32 v12, 20, v12
	v_lshl_add_u32 v40, v40, 23, 0x3c000000
	s_delay_alu instid0(VALU_DEP_2) | instskip(NEXT) | instid1(VALU_DEP_1)
	v_and_b32_e32 v41, 0x80000000, v41
	v_or3_b32 v12, v12, v41, v40
	s_delay_alu instid0(VALU_DEP_1)
	v_mov_b64_e32 v[40:41], v[12:13]
.LBB165_384:                            ;   in Loop: Header=BB165_241 Depth=1
	s_or_b32 exec_lo, exec_lo, s25
.LBB165_385:                            ;   in Loop: Header=BB165_241 Depth=1
	s_delay_alu instid0(SALU_CYCLE_1)
	s_or_b32 exec_lo, exec_lo, s24
.LBB165_386:                            ;   in Loop: Header=BB165_241 Depth=1
	s_delay_alu instid0(SALU_CYCLE_1) | instskip(SKIP_2) | instid1(VALU_DEP_1)
	s_or_b32 exec_lo, exec_lo, s23
	v_lshrrev_b16 v12, 8, v55
	s_mov_b32 s23, exec_lo
	v_cmpx_ne_u16_e32 0, v12
	s_cbranch_execz .LBB165_394
; %bb.387:                              ;   in Loop: Header=BB165_241 Depth=1
	v_mov_b64_e32 v[38:39], 0x8000000000000000
	s_mov_b32 s24, exec_lo
	v_cmpx_ne_u16_e32 0x80, v12
	s_cbranch_execz .LBB165_393
; %bb.388:                              ;   in Loop: Header=BB165_241 Depth=1
	v_and_b32_e32 v12, 0xffff, v12
	v_mov_b64_e32 v[38:39], 0x7f80000100000000
	s_mov_b32 s25, exec_lo
	s_delay_alu instid0(VALU_DEP_2) | instskip(NEXT) | instid1(VALU_DEP_1)
	v_and_b32_e32 v42, 0x7f, v12
	v_cmpx_ne_u32_e32 0x7f, v42
	s_cbranch_execz .LBB165_392
; %bb.389:                              ;   in Loop: Header=BB165_241 Depth=1
	v_dual_lshrrev_b32 v38, 3, v42 :: v_dual_bitop2_b32 v12, 7, v12 bitop3:0x40
	s_mov_b32 s27, exec_lo
	v_cmpx_gt_u32_e32 8, v42
; %bb.390:                              ;   in Loop: Header=BB165_241 Depth=1
	s_delay_alu instid0(VALU_DEP_2) | instskip(NEXT) | instid1(VALU_DEP_1)
	v_clz_i32_u32_e32 v38, v12
	v_min_u32_e32 v38, 32, v38
	s_delay_alu instid0(VALU_DEP_1) | instskip(SKIP_1) | instid1(VALU_DEP_2)
	v_subrev_nc_u32_e32 v39, 28, v38
	v_sub_nc_u32_e32 v38, 29, v38
	v_lshlrev_b64_e32 v[42:43], v39, v[12:13]
	s_delay_alu instid0(VALU_DEP_1)
	v_and_b32_e32 v12, 7, v42
; %bb.391:                              ;   in Loop: Header=BB165_241 Depth=1
	s_or_b32 exec_lo, exec_lo, s27
	s_delay_alu instid0(VALU_DEP_1) | instskip(SKIP_1) | instid1(VALU_DEP_2)
	v_dual_lshlrev_b32 v39, 16, v55 :: v_dual_lshlrev_b32 v12, 20, v12
	v_lshl_add_u32 v38, v38, 23, 0x3c000000
	v_and_b32_e32 v39, 0x80000000, v39
	s_delay_alu instid0(VALU_DEP_1)
	v_or3_b32 v39, v12, v39, v38
	v_mov_b32_e32 v38, v13
.LBB165_392:                            ;   in Loop: Header=BB165_241 Depth=1
	s_or_b32 exec_lo, exec_lo, s25
.LBB165_393:                            ;   in Loop: Header=BB165_241 Depth=1
	s_delay_alu instid0(SALU_CYCLE_1)
	s_or_b32 exec_lo, exec_lo, s24
.LBB165_394:                            ;   in Loop: Header=BB165_241 Depth=1
	s_delay_alu instid0(SALU_CYCLE_1) | instskip(SKIP_4) | instid1(VALU_DEP_3)
	s_or_b32 exec_lo, exec_lo, s23
	v_lshrrev_b32_e32 v56, 16, v55
	v_mov_b64_e32 v[42:43], 0
	v_mov_b64_e32 v[44:45], 0
	s_mov_b32 s23, exec_lo
	v_and_b32_e32 v12, 0xff, v56
	s_delay_alu instid0(VALU_DEP_1)
	v_cmpx_ne_u16_e32 0, v12
	s_cbranch_execz .LBB165_402
; %bb.395:                              ;   in Loop: Header=BB165_241 Depth=1
	v_mov_b64_e32 v[44:45], 0x80000000
	s_mov_b32 s24, exec_lo
	v_cmpx_ne_u16_e32 0x80, v12
	s_cbranch_execz .LBB165_401
; %bb.396:                              ;   in Loop: Header=BB165_241 Depth=1
	v_mov_b64_e32 v[44:45], 0x7f800001
	v_bfe_u32 v57, v55, 16, 7
	s_mov_b32 s25, exec_lo
	s_delay_alu instid0(VALU_DEP_1)
	v_cmpx_ne_u32_e32 0x7f, v57
	s_cbranch_execz .LBB165_400
; %bb.397:                              ;   in Loop: Header=BB165_241 Depth=1
	v_dual_lshrrev_b32 v44, 3, v57 :: v_dual_bitop2_b32 v12, 7, v56 bitop3:0x40
	s_mov_b32 s27, exec_lo
	v_cmpx_gt_u32_e32 8, v57
; %bb.398:                              ;   in Loop: Header=BB165_241 Depth=1
	s_delay_alu instid0(VALU_DEP_2) | instskip(NEXT) | instid1(VALU_DEP_1)
	v_clz_i32_u32_e32 v44, v12
	v_min_u32_e32 v44, 32, v44
	s_delay_alu instid0(VALU_DEP_1) | instskip(NEXT) | instid1(VALU_DEP_1)
	v_subrev_nc_u32_e32 v45, 28, v44
	v_lshlrev_b64_e32 v[58:59], v45, v[12:13]
	s_delay_alu instid0(VALU_DEP_1)
	v_dual_sub_nc_u32 v44, 29, v44 :: v_dual_bitop2_b32 v12, 7, v58 bitop3:0x40
; %bb.399:                              ;   in Loop: Header=BB165_241 Depth=1
	s_or_b32 exec_lo, exec_lo, s27
	v_lshlrev_b32_e32 v45, 24, v56
	s_delay_alu instid0(VALU_DEP_2) | instskip(NEXT) | instid1(VALU_DEP_3)
	v_lshlrev_b32_e32 v12, 20, v12
	v_lshl_add_u32 v44, v44, 23, 0x3c000000
	s_delay_alu instid0(VALU_DEP_3) | instskip(NEXT) | instid1(VALU_DEP_1)
	v_and_b32_e32 v45, 0x80000000, v45
	v_or3_b32 v12, v12, v45, v44
	s_delay_alu instid0(VALU_DEP_1)
	v_mov_b64_e32 v[44:45], v[12:13]
.LBB165_400:                            ;   in Loop: Header=BB165_241 Depth=1
	s_or_b32 exec_lo, exec_lo, s25
.LBB165_401:                            ;   in Loop: Header=BB165_241 Depth=1
	s_delay_alu instid0(SALU_CYCLE_1)
	s_or_b32 exec_lo, exec_lo, s24
.LBB165_402:                            ;   in Loop: Header=BB165_241 Depth=1
	s_delay_alu instid0(SALU_CYCLE_1) | instskip(NEXT) | instid1(SALU_CYCLE_1)
	s_or_b32 exec_lo, exec_lo, s23
	s_mov_b32 s23, exec_lo
	v_cmpx_lt_u32_e32 0xffffff, v55
	s_cbranch_execz .LBB165_410
; %bb.403:                              ;   in Loop: Header=BB165_241 Depth=1
	v_mov_b64_e32 v[42:43], 0x8000000000000000
	v_lshrrev_b32_e32 v56, 24, v55
	s_mov_b32 s24, exec_lo
	s_delay_alu instid0(VALU_DEP_1)
	v_cmpx_ne_u32_e32 0x80, v56
	s_cbranch_execz .LBB165_409
; %bb.404:                              ;   in Loop: Header=BB165_241 Depth=1
	v_mov_b64_e32 v[42:43], 0x7f80000100000000
	v_bfe_u32 v55, v55, 24, 7
	s_mov_b32 s25, exec_lo
	s_delay_alu instid0(VALU_DEP_1)
	v_cmpx_ne_u32_e32 0x7f, v55
	s_cbranch_execz .LBB165_408
; %bb.405:                              ;   in Loop: Header=BB165_241 Depth=1
	v_dual_lshrrev_b32 v42, 3, v55 :: v_dual_bitop2_b32 v12, 7, v56 bitop3:0x40
	s_mov_b32 s27, exec_lo
	v_cmpx_gt_u32_e32 8, v55
; %bb.406:                              ;   in Loop: Header=BB165_241 Depth=1
	s_delay_alu instid0(VALU_DEP_2) | instskip(NEXT) | instid1(VALU_DEP_1)
	v_clz_i32_u32_e32 v42, v12
	v_min_u32_e32 v42, 32, v42
	s_delay_alu instid0(VALU_DEP_1) | instskip(SKIP_1) | instid1(VALU_DEP_2)
	v_subrev_nc_u32_e32 v43, 28, v42
	v_sub_nc_u32_e32 v42, 29, v42
	v_lshlrev_b64_e32 v[58:59], v43, v[12:13]
	s_delay_alu instid0(VALU_DEP_1)
	v_and_b32_e32 v12, 7, v58
; %bb.407:                              ;   in Loop: Header=BB165_241 Depth=1
	s_or_b32 exec_lo, exec_lo, s27
	v_lshlrev_b32_e32 v43, 24, v56
	s_delay_alu instid0(VALU_DEP_2) | instskip(SKIP_1) | instid1(VALU_DEP_3)
	v_lshlrev_b32_e32 v12, 20, v12
	v_lshl_add_u32 v42, v42, 23, 0x3c000000
	v_and_b32_e32 v43, 0x80000000, v43
	s_delay_alu instid0(VALU_DEP_1)
	v_or3_b32 v43, v12, v43, v42
	v_mov_b32_e32 v42, v13
.LBB165_408:                            ;   in Loop: Header=BB165_241 Depth=1
	s_or_b32 exec_lo, exec_lo, s25
.LBB165_409:                            ;   in Loop: Header=BB165_241 Depth=1
	s_delay_alu instid0(SALU_CYCLE_1)
	s_or_b32 exec_lo, exec_lo, s24
.LBB165_410:                            ;   in Loop: Header=BB165_241 Depth=1
	s_delay_alu instid0(SALU_CYCLE_1)
	s_or_b32 exec_lo, exec_lo, s23
	v_mov_b64_e32 v[56:57], s[8:9]
	v_or_b32_e32 v39, v39, v41
	v_or_b32_e32 v38, v38, v40
	;; [unrolled: 1-line block ×4, first 2 shown]
	s_delay_alu instid0(VALU_DEP_3) | instskip(NEXT) | instid1(VALU_DEP_2)
	v_pk_mul_f32 v[40:41], v[56:57], v[38:39]
	v_pk_mul_f32 v[38:39], v[56:57], v[42:43]
	s_and_saveexec_b32 s23, vcc_lo
	s_cbranch_execz .LBB165_412
; %bb.411:                              ;   in Loop: Header=BB165_241 Depth=1
	v_cmp_gt_i32_e64 s0, s34, v27
	s_delay_alu instid0(VALU_DEP_1) | instskip(SKIP_1) | instid1(VALU_DEP_1)
	v_cndmask_b32_e64 v40, 0, v40, s0
	v_cmp_gt_i32_e64 s0, s34, v54
	v_cndmask_b32_e64 v41, 0, v41, s0
	v_cmp_gt_i32_e64 s0, s34, v47
	s_delay_alu instid0(VALU_DEP_1) | instskip(SKIP_1) | instid1(VALU_DEP_1)
	v_cndmask_b32_e64 v38, 0, v38, s0
	v_cmp_gt_i32_e64 s0, s34, v46
	v_cndmask_b32_e64 v39, 0, v39, s0
.LBB165_412:                            ;   in Loop: Header=BB165_241 Depth=1
	s_or_b32 exec_lo, exec_lo, s23
	global_load_b32 v55, v[22:23], off offset:640
	s_wait_xcnt 0x0
	v_mov_b64_e32 v[22:23], 0
	v_mov_b64_e32 v[42:43], 0
	s_mov_b32 s23, exec_lo
	s_wait_loadcnt 0x0
	v_and_b32_e32 v12, 0xff, v55
	s_delay_alu instid0(VALU_DEP_1)
	v_cmpx_ne_u16_e32 0, v12
	s_cbranch_execz .LBB165_420
; %bb.413:                              ;   in Loop: Header=BB165_241 Depth=1
	v_mov_b64_e32 v[42:43], 0x80000000
	s_mov_b32 s24, exec_lo
	v_cmpx_ne_u16_e32 0x80, v12
	s_cbranch_execz .LBB165_419
; %bb.414:                              ;   in Loop: Header=BB165_241 Depth=1
	v_mov_b64_e32 v[42:43], 0x7f800001
	v_and_b32_e32 v44, 0x7f, v55
	s_mov_b32 s25, exec_lo
	s_delay_alu instid0(VALU_DEP_1)
	v_cmpx_ne_u32_e32 0x7f, v44
	s_cbranch_execz .LBB165_418
; %bb.415:                              ;   in Loop: Header=BB165_241 Depth=1
	v_dual_lshrrev_b32 v42, 3, v44 :: v_dual_bitop2_b32 v12, 7, v55 bitop3:0x40
	s_mov_b32 s27, exec_lo
	v_cmpx_gt_u32_e32 8, v44
; %bb.416:                              ;   in Loop: Header=BB165_241 Depth=1
	s_delay_alu instid0(VALU_DEP_2) | instskip(NEXT) | instid1(VALU_DEP_1)
	v_clz_i32_u32_e32 v42, v12
	v_min_u32_e32 v42, 32, v42
	s_delay_alu instid0(VALU_DEP_1) | instskip(NEXT) | instid1(VALU_DEP_1)
	v_subrev_nc_u32_e32 v43, 28, v42
	v_lshlrev_b64_e32 v[44:45], v43, v[12:13]
	s_delay_alu instid0(VALU_DEP_1)
	v_dual_sub_nc_u32 v42, 29, v42 :: v_dual_bitop2_b32 v12, 7, v44 bitop3:0x40
; %bb.417:                              ;   in Loop: Header=BB165_241 Depth=1
	s_or_b32 exec_lo, exec_lo, s27
	s_delay_alu instid0(VALU_DEP_1) | instskip(NEXT) | instid1(VALU_DEP_2)
	v_dual_lshlrev_b32 v43, 24, v55 :: v_dual_lshlrev_b32 v12, 20, v12
	v_lshl_add_u32 v42, v42, 23, 0x3c000000
	s_delay_alu instid0(VALU_DEP_2) | instskip(NEXT) | instid1(VALU_DEP_1)
	v_and_b32_e32 v43, 0x80000000, v43
	v_or3_b32 v12, v12, v43, v42
	s_delay_alu instid0(VALU_DEP_1)
	v_mov_b64_e32 v[42:43], v[12:13]
.LBB165_418:                            ;   in Loop: Header=BB165_241 Depth=1
	s_or_b32 exec_lo, exec_lo, s25
.LBB165_419:                            ;   in Loop: Header=BB165_241 Depth=1
	s_delay_alu instid0(SALU_CYCLE_1)
	s_or_b32 exec_lo, exec_lo, s24
.LBB165_420:                            ;   in Loop: Header=BB165_241 Depth=1
	s_delay_alu instid0(SALU_CYCLE_1) | instskip(SKIP_2) | instid1(VALU_DEP_1)
	s_or_b32 exec_lo, exec_lo, s23
	v_lshrrev_b16 v12, 8, v55
	s_mov_b32 s23, exec_lo
	v_cmpx_ne_u16_e32 0, v12
	s_cbranch_execz .LBB165_428
; %bb.421:                              ;   in Loop: Header=BB165_241 Depth=1
	v_mov_b64_e32 v[22:23], 0x8000000000000000
	s_mov_b32 s24, exec_lo
	v_cmpx_ne_u16_e32 0x80, v12
	s_cbranch_execz .LBB165_427
; %bb.422:                              ;   in Loop: Header=BB165_241 Depth=1
	v_and_b32_e32 v12, 0xffff, v12
	v_mov_b64_e32 v[22:23], 0x7f80000100000000
	s_mov_b32 s25, exec_lo
	s_delay_alu instid0(VALU_DEP_2) | instskip(NEXT) | instid1(VALU_DEP_1)
	v_and_b32_e32 v44, 0x7f, v12
	v_cmpx_ne_u32_e32 0x7f, v44
	s_cbranch_execz .LBB165_426
; %bb.423:                              ;   in Loop: Header=BB165_241 Depth=1
	v_and_b32_e32 v12, 7, v12
	v_lshrrev_b32_e32 v22, 3, v44
	s_mov_b32 s27, exec_lo
	v_cmpx_gt_u32_e32 8, v44
; %bb.424:                              ;   in Loop: Header=BB165_241 Depth=1
	s_delay_alu instid0(VALU_DEP_3) | instskip(NEXT) | instid1(VALU_DEP_1)
	v_clz_i32_u32_e32 v22, v12
	v_min_u32_e32 v22, 32, v22
	s_delay_alu instid0(VALU_DEP_1) | instskip(NEXT) | instid1(VALU_DEP_1)
	v_subrev_nc_u32_e32 v23, 28, v22
	v_lshlrev_b64_e32 v[44:45], v23, v[12:13]
	s_delay_alu instid0(VALU_DEP_1)
	v_dual_sub_nc_u32 v22, 29, v22 :: v_dual_bitop2_b32 v12, 7, v44 bitop3:0x40
; %bb.425:                              ;   in Loop: Header=BB165_241 Depth=1
	s_or_b32 exec_lo, exec_lo, s27
	s_delay_alu instid0(VALU_DEP_1) | instskip(NEXT) | instid1(VALU_DEP_2)
	v_dual_lshlrev_b32 v23, 16, v55 :: v_dual_lshlrev_b32 v12, 20, v12
	v_lshl_add_u32 v22, v22, 23, 0x3c000000
	s_delay_alu instid0(VALU_DEP_2) | instskip(NEXT) | instid1(VALU_DEP_1)
	v_and_b32_e32 v23, 0x80000000, v23
	v_or3_b32 v23, v12, v23, v22
	v_mov_b32_e32 v22, v13
.LBB165_426:                            ;   in Loop: Header=BB165_241 Depth=1
	s_or_b32 exec_lo, exec_lo, s25
.LBB165_427:                            ;   in Loop: Header=BB165_241 Depth=1
	s_delay_alu instid0(SALU_CYCLE_1)
	s_or_b32 exec_lo, exec_lo, s24
.LBB165_428:                            ;   in Loop: Header=BB165_241 Depth=1
	s_delay_alu instid0(SALU_CYCLE_1) | instskip(SKIP_4) | instid1(VALU_DEP_3)
	s_or_b32 exec_lo, exec_lo, s23
	v_lshrrev_b32_e32 v56, 16, v55
	v_mov_b64_e32 v[44:45], 0
	v_mov_b64_e32 v[46:47], 0
	s_mov_b32 s23, exec_lo
	v_and_b32_e32 v12, 0xff, v56
	s_delay_alu instid0(VALU_DEP_1)
	v_cmpx_ne_u16_e32 0, v12
	s_cbranch_execz .LBB165_436
; %bb.429:                              ;   in Loop: Header=BB165_241 Depth=1
	v_mov_b64_e32 v[46:47], 0x80000000
	s_mov_b32 s24, exec_lo
	v_cmpx_ne_u16_e32 0x80, v12
	s_cbranch_execz .LBB165_435
; %bb.430:                              ;   in Loop: Header=BB165_241 Depth=1
	v_mov_b64_e32 v[46:47], 0x7f800001
	v_bfe_u32 v57, v55, 16, 7
	s_mov_b32 s25, exec_lo
	s_delay_alu instid0(VALU_DEP_1)
	v_cmpx_ne_u32_e32 0x7f, v57
	s_cbranch_execz .LBB165_434
; %bb.431:                              ;   in Loop: Header=BB165_241 Depth=1
	v_dual_lshrrev_b32 v46, 3, v57 :: v_dual_bitop2_b32 v12, 7, v56 bitop3:0x40
	s_mov_b32 s27, exec_lo
	v_cmpx_gt_u32_e32 8, v57
; %bb.432:                              ;   in Loop: Header=BB165_241 Depth=1
	s_delay_alu instid0(VALU_DEP_2) | instskip(NEXT) | instid1(VALU_DEP_1)
	v_clz_i32_u32_e32 v46, v12
	v_min_u32_e32 v46, 32, v46
	s_delay_alu instid0(VALU_DEP_1) | instskip(SKIP_1) | instid1(VALU_DEP_2)
	v_subrev_nc_u32_e32 v47, 28, v46
	v_sub_nc_u32_e32 v46, 29, v46
	v_lshlrev_b64_e32 v[58:59], v47, v[12:13]
	s_delay_alu instid0(VALU_DEP_1)
	v_and_b32_e32 v12, 7, v58
; %bb.433:                              ;   in Loop: Header=BB165_241 Depth=1
	s_or_b32 exec_lo, exec_lo, s27
	v_lshlrev_b32_e32 v47, 24, v56
	s_delay_alu instid0(VALU_DEP_2) | instskip(SKIP_1) | instid1(VALU_DEP_3)
	v_lshlrev_b32_e32 v12, 20, v12
	v_lshl_add_u32 v46, v46, 23, 0x3c000000
	v_and_b32_e32 v47, 0x80000000, v47
	s_delay_alu instid0(VALU_DEP_1) | instskip(NEXT) | instid1(VALU_DEP_1)
	v_or3_b32 v12, v12, v47, v46
	v_mov_b64_e32 v[46:47], v[12:13]
.LBB165_434:                            ;   in Loop: Header=BB165_241 Depth=1
	s_or_b32 exec_lo, exec_lo, s25
.LBB165_435:                            ;   in Loop: Header=BB165_241 Depth=1
	s_delay_alu instid0(SALU_CYCLE_1)
	s_or_b32 exec_lo, exec_lo, s24
.LBB165_436:                            ;   in Loop: Header=BB165_241 Depth=1
	s_delay_alu instid0(SALU_CYCLE_1) | instskip(NEXT) | instid1(SALU_CYCLE_1)
	s_or_b32 exec_lo, exec_lo, s23
	s_mov_b32 s23, exec_lo
	v_cmpx_lt_u32_e32 0xffffff, v55
	s_cbranch_execz .LBB165_444
; %bb.437:                              ;   in Loop: Header=BB165_241 Depth=1
	v_mov_b64_e32 v[44:45], 0x8000000000000000
	v_lshrrev_b32_e32 v56, 24, v55
	s_mov_b32 s24, exec_lo
	s_delay_alu instid0(VALU_DEP_1)
	v_cmpx_ne_u32_e32 0x80, v56
	s_cbranch_execz .LBB165_443
; %bb.438:                              ;   in Loop: Header=BB165_241 Depth=1
	v_mov_b64_e32 v[44:45], 0x7f80000100000000
	v_bfe_u32 v55, v55, 24, 7
	s_mov_b32 s25, exec_lo
	s_delay_alu instid0(VALU_DEP_1)
	v_cmpx_ne_u32_e32 0x7f, v55
	s_cbranch_execz .LBB165_442
; %bb.439:                              ;   in Loop: Header=BB165_241 Depth=1
	v_dual_lshrrev_b32 v44, 3, v55 :: v_dual_bitop2_b32 v12, 7, v56 bitop3:0x40
	s_mov_b32 s27, exec_lo
	v_cmpx_gt_u32_e32 8, v55
; %bb.440:                              ;   in Loop: Header=BB165_241 Depth=1
	s_delay_alu instid0(VALU_DEP_2) | instskip(NEXT) | instid1(VALU_DEP_1)
	v_clz_i32_u32_e32 v44, v12
	v_min_u32_e32 v44, 32, v44
	s_delay_alu instid0(VALU_DEP_1) | instskip(NEXT) | instid1(VALU_DEP_1)
	v_subrev_nc_u32_e32 v45, 28, v44
	v_lshlrev_b64_e32 v[58:59], v45, v[12:13]
	s_delay_alu instid0(VALU_DEP_1)
	v_dual_sub_nc_u32 v44, 29, v44 :: v_dual_bitop2_b32 v12, 7, v58 bitop3:0x40
; %bb.441:                              ;   in Loop: Header=BB165_241 Depth=1
	s_or_b32 exec_lo, exec_lo, s27
	v_lshlrev_b32_e32 v45, 24, v56
	s_delay_alu instid0(VALU_DEP_2) | instskip(NEXT) | instid1(VALU_DEP_3)
	v_lshlrev_b32_e32 v12, 20, v12
	v_lshl_add_u32 v44, v44, 23, 0x3c000000
	s_delay_alu instid0(VALU_DEP_3) | instskip(NEXT) | instid1(VALU_DEP_1)
	v_and_b32_e32 v45, 0x80000000, v45
	v_or3_b32 v45, v12, v45, v44
	v_mov_b32_e32 v44, v13
.LBB165_442:                            ;   in Loop: Header=BB165_241 Depth=1
	s_or_b32 exec_lo, exec_lo, s25
.LBB165_443:                            ;   in Loop: Header=BB165_241 Depth=1
	s_delay_alu instid0(SALU_CYCLE_1)
	s_or_b32 exec_lo, exec_lo, s24
.LBB165_444:                            ;   in Loop: Header=BB165_241 Depth=1
	s_delay_alu instid0(SALU_CYCLE_1)
	s_or_b32 exec_lo, exec_lo, s23
	v_or_b32_e32 v23, v23, v43
	v_or_b32_e32 v22, v22, v42
	v_mov_b64_e32 v[42:43], s[8:9]
	v_or_b32_e32 v45, v45, v47
	v_or_b32_e32 v44, v44, v46
	s_delay_alu instid0(VALU_DEP_3) | instskip(NEXT) | instid1(VALU_DEP_2)
	v_pk_mul_f32 v[22:23], v[42:43], v[22:23]
	v_pk_mul_f32 v[42:43], v[42:43], v[44:45]
	s_and_saveexec_b32 s0, vcc_lo
	s_cbranch_execz .LBB165_239
; %bb.445:                              ;   in Loop: Header=BB165_241 Depth=1
	v_cmp_gt_i32_e32 vcc_lo, s18, v54
	v_or_b32_e32 v44, 2, v27
	v_cndmask_b32_e32 v23, 0, v23, vcc_lo
	v_cmp_gt_i32_e32 vcc_lo, s34, v27
	v_dual_cndmask_b32 v22, 0, v22, vcc_lo :: v_dual_bitop2_b32 v12, 3, v27 bitop3:0x54
	s_delay_alu instid0(VALU_DEP_1)
	v_cmp_gt_i32_e32 vcc_lo, s18, v12
	v_cndmask_b32_e32 v43, 0, v43, vcc_lo
	v_cmp_gt_i32_e32 vcc_lo, s34, v44
	v_cndmask_b32_e32 v42, 0, v42, vcc_lo
	s_branch .LBB165_239
.LBB165_446:
	s_or_b32 exec_lo, exec_lo, s19
.LBB165_447:
	s_delay_alu instid0(SALU_CYCLE_1)
	s_or_b32 exec_lo, exec_lo, s1
	ds_bpermute_b32 v2, v49, v8
	ds_bpermute_b32 v3, v49, v9
	ds_bpermute_b32 v16, v49, v10
	ds_bpermute_b32 v17, v49, v11
	v_and_b32_e32 v15, 0x3c1, v0
	v_lshrrev_b32_e32 v14, 1, v48
	s_mov_b32 s0, exec_lo
	ds_bpermute_b32 v12, v49, v6
	ds_bpermute_b32 v13, v49, v7
	s_wait_dscnt 0x0
	s_barrier_signal -1
	s_barrier_wait -1
	v_pk_add_f32 v[4:5], v[8:9], v[2:3]
	v_pk_add_f32 v[2:3], v[10:11], v[16:17]
	v_cmpx_ne_u32_e32 64, v15
	s_xor_b32 s0, exec_lo, s0
	s_delay_alu instid0(SALU_CYCLE_1)
	s_or_saveexec_b32 s0, s0
	v_pk_add_f32 v[6:7], v[6:7], v[12:13]
	v_lshl_add_u32 v8, v14, 2, 0x1a0
	v_mul_u32_u24_e32 v1, 0x180, v1
	s_xor_b32 exec_lo, exec_lo, s0
	s_cbranch_execz .LBB165_449
; %bb.448:
	s_delay_alu instid0(VALU_DEP_1) | instskip(NEXT) | instid1(VALU_DEP_1)
	v_add_nc_u32_e32 v9, v8, v1
	v_add_nc_u32_e32 v10, 0xfffffd00, v9
	;; [unrolled: 1-line block ×7, first 2 shown]
	ds_store_b32 v10, v4
	ds_store_b32 v11, v5
	;; [unrolled: 1-line block ×6, first 2 shown]
.LBB165_449:
	s_or_b32 exec_lo, exec_lo, s0
	v_lshlrev_b32_e32 v9, 2, v14
	s_mov_b32 s1, exec_lo
	v_cmp_eq_u32_e32 vcc_lo, 0, v50
	s_wait_dscnt 0x0
	s_barrier_signal -1
	v_add3_u32 v1, 0x1a0, v1, v9
	s_barrier_wait -1
	v_cmpx_gt_u32_e32 64, v0
	s_cbranch_execz .LBB165_458
; %bb.450:
	s_and_saveexec_b32 s0, vcc_lo
	s_cbranch_execnz .LBB165_472
; %bb.451:
	s_or_b32 exec_lo, exec_lo, s0
	s_and_saveexec_b32 s0, vcc_lo
	s_cbranch_execnz .LBB165_473
.LBB165_452:
	s_or_b32 exec_lo, exec_lo, s0
	s_and_saveexec_b32 s0, vcc_lo
	s_cbranch_execnz .LBB165_474
.LBB165_453:
	s_or_b32 exec_lo, exec_lo, s0
	s_and_saveexec_b32 s0, vcc_lo
	s_cbranch_execnz .LBB165_475
.LBB165_454:
	s_or_b32 exec_lo, exec_lo, s0
	s_and_saveexec_b32 s0, vcc_lo
	s_cbranch_execnz .LBB165_476
.LBB165_455:
	s_or_b32 exec_lo, exec_lo, s0
	s_and_saveexec_b32 s0, vcc_lo
	s_cbranch_execz .LBB165_457
.LBB165_456:
	ds_load_b32 v9, v1 offset:320
	s_wait_dscnt 0x0
	v_add_f32_e32 v7, v7, v9
.LBB165_457:
	s_or_b32 exec_lo, exec_lo, s0
.LBB165_458:
	s_delay_alu instid0(SALU_CYCLE_1) | instskip(SKIP_4) | instid1(VALU_DEP_1)
	s_or_b32 exec_lo, exec_lo, s1
	v_and_b32_e32 v9, 0x3e1, v0
	s_mov_b32 s1, exec_lo
	s_barrier_signal -1
	s_barrier_wait -1
	v_cmpx_eq_u32_e32 32, v9
	s_cbranch_execz .LBB165_460
; %bb.459:
	ds_store_2addr_b32 v8, v4, v5 offset1:16
	ds_store_2addr_b32 v8, v2, v3 offset0:32 offset1:48
	ds_store_2addr_b32 v8, v6, v7 offset0:64 offset1:80
.LBB165_460:
	s_or_b32 exec_lo, exec_lo, s1
	s_delay_alu instid0(SALU_CYCLE_1)
	s_mov_b32 s1, exec_lo
	s_wait_dscnt 0x0
	s_barrier_signal -1
	s_barrier_wait -1
	v_cmpx_gt_u32_e32 32, v0
	s_cbranch_execz .LBB165_469
; %bb.461:
	s_and_saveexec_b32 s0, vcc_lo
	s_cbranch_execnz .LBB165_477
; %bb.462:
	s_or_b32 exec_lo, exec_lo, s0
	s_and_saveexec_b32 s0, vcc_lo
	s_cbranch_execnz .LBB165_478
.LBB165_463:
	s_or_b32 exec_lo, exec_lo, s0
	s_and_saveexec_b32 s0, vcc_lo
	s_cbranch_execnz .LBB165_479
.LBB165_464:
	s_or_b32 exec_lo, exec_lo, s0
	s_and_saveexec_b32 s0, vcc_lo
	s_cbranch_execnz .LBB165_480
.LBB165_465:
	s_or_b32 exec_lo, exec_lo, s0
	s_and_saveexec_b32 s0, vcc_lo
	s_cbranch_execnz .LBB165_481
.LBB165_466:
	s_or_b32 exec_lo, exec_lo, s0
	s_and_saveexec_b32 s0, vcc_lo
	s_cbranch_execz .LBB165_468
.LBB165_467:
	ds_load_b32 v1, v1 offset:320
	s_wait_dscnt 0x0
	v_add_f32_e32 v7, v7, v1
.LBB165_468:
	s_or_b32 exec_lo, exec_lo, s0
.LBB165_469:
	s_delay_alu instid0(SALU_CYCLE_1)
	s_or_b32 exec_lo, exec_lo, s1
	s_mov_b32 s1, 0
	s_barrier_signal -1
	s_barrier_wait -1
	s_mov_b32 s0, exec_lo
	v_cmpx_eq_u32_e32 0, v9
	s_cbranch_execz .LBB165_471
; %bb.470:
	s_mul_i32 s0, s33, s7
	s_mul_i32 s2, s7, s6
	;; [unrolled: 1-line block ×3, first 2 shown]
	s_wait_kmcnt 0x0
	s_lshr_b32 s8, ttmp7, 16
	s_mul_i32 s6, s0, 0x60
	s_bfe_u32 s0, ttmp6, 0x40014
	s_ashr_i32 s7, s6, 31
	s_add_co_i32 s0, s0, 1
	s_lshl_b64 s[6:7], s[6:7], 2
	s_ashr_i32 s3, s2, 31
	s_add_nc_u64 s[4:5], s[4:5], s[6:7]
	s_mul_i32 s0, s8, s0
	s_bfe_u32 s6, ttmp6, 0x40008
	s_lshl_b64 s[2:3], s[2:3], 2
	s_add_co_i32 s6, s6, s0
	s_cmp_eq_u32 s30, 0
	v_lshlrev_b32_e32 v0, 1, v0
	s_cselect_b32 s0, s8, s6
	s_add_nc_u64 s[2:3], s[4:5], s[2:3]
	s_mulk_i32 s0, 0x180
	s_delay_alu instid0(SALU_CYCLE_1)
	s_add_nc_u64 s[0:1], s[2:3], s[0:1]
	s_clause 0x5
	global_store_b32 v0, v4, s[0:1]
	global_store_b32 v0, v5, s[0:1] offset:64
	global_store_b32 v0, v2, s[0:1] offset:128
	;; [unrolled: 1-line block ×5, first 2 shown]
.LBB165_471:
	s_sendmsg sendmsg(MSG_DEALLOC_VGPRS)
	s_endpgm
.LBB165_472:
	ds_load_b32 v9, v1
	s_wait_dscnt 0x0
	v_add_f32_e32 v4, v4, v9
	s_or_b32 exec_lo, exec_lo, s0
	s_and_saveexec_b32 s0, vcc_lo
	s_cbranch_execz .LBB165_452
.LBB165_473:
	ds_load_b32 v9, v1 offset:64
	s_wait_dscnt 0x0
	v_add_f32_e32 v5, v5, v9
	s_or_b32 exec_lo, exec_lo, s0
	s_and_saveexec_b32 s0, vcc_lo
	s_cbranch_execz .LBB165_453
.LBB165_474:
	ds_load_b32 v9, v1 offset:128
	s_wait_dscnt 0x0
	v_add_f32_e32 v2, v2, v9
	s_or_b32 exec_lo, exec_lo, s0
	s_and_saveexec_b32 s0, vcc_lo
	s_cbranch_execz .LBB165_454
.LBB165_475:
	ds_load_b32 v9, v1 offset:192
	s_wait_dscnt 0x0
	v_add_f32_e32 v3, v3, v9
	s_or_b32 exec_lo, exec_lo, s0
	s_and_saveexec_b32 s0, vcc_lo
	s_cbranch_execz .LBB165_455
.LBB165_476:
	ds_load_b32 v9, v1 offset:256
	s_wait_dscnt 0x0
	v_add_f32_e32 v6, v6, v9
	s_or_b32 exec_lo, exec_lo, s0
	s_and_saveexec_b32 s0, vcc_lo
	s_cbranch_execnz .LBB165_456
	s_branch .LBB165_457
.LBB165_477:
	ds_load_b32 v8, v1
	s_wait_dscnt 0x0
	v_add_f32_e32 v4, v4, v8
	s_or_b32 exec_lo, exec_lo, s0
	s_and_saveexec_b32 s0, vcc_lo
	s_cbranch_execz .LBB165_463
.LBB165_478:
	ds_load_b32 v8, v1 offset:64
	s_wait_dscnt 0x0
	v_add_f32_e32 v5, v5, v8
	s_or_b32 exec_lo, exec_lo, s0
	s_and_saveexec_b32 s0, vcc_lo
	s_cbranch_execz .LBB165_464
.LBB165_479:
	ds_load_b32 v8, v1 offset:128
	s_wait_dscnt 0x0
	v_add_f32_e32 v2, v2, v8
	s_or_b32 exec_lo, exec_lo, s0
	s_and_saveexec_b32 s0, vcc_lo
	s_cbranch_execz .LBB165_465
.LBB165_480:
	ds_load_b32 v8, v1 offset:192
	s_wait_dscnt 0x0
	v_add_f32_e32 v3, v3, v8
	s_or_b32 exec_lo, exec_lo, s0
	s_and_saveexec_b32 s0, vcc_lo
	s_cbranch_execz .LBB165_466
.LBB165_481:
	ds_load_b32 v8, v1 offset:256
	s_wait_dscnt 0x0
	v_add_f32_e32 v6, v6, v8
	s_or_b32 exec_lo, exec_lo, s0
	s_and_saveexec_b32 s0, vcc_lo
	s_cbranch_execnz .LBB165_467
	s_branch .LBB165_468
	.section	.rodata,"a",@progbits
	.p2align	6, 0x0
	.amdhsa_kernel _ZN4vllm25paged_attention_v1_kernelIfhLi96ELi8ELi128ELNS_18Fp8KVCacheDataTypeE1ELb1EEEvPT_PKS2_PKT0_S8_ifPKiSA_iPKfiiiSC_SC_iiiii
		.amdhsa_group_segment_fixed_size 416
		.amdhsa_private_segment_fixed_size 0
		.amdhsa_kernarg_size 384
		.amdhsa_user_sgpr_count 2
		.amdhsa_user_sgpr_dispatch_ptr 0
		.amdhsa_user_sgpr_queue_ptr 0
		.amdhsa_user_sgpr_kernarg_segment_ptr 1
		.amdhsa_user_sgpr_dispatch_id 0
		.amdhsa_user_sgpr_kernarg_preload_length 0
		.amdhsa_user_sgpr_kernarg_preload_offset 0
		.amdhsa_user_sgpr_private_segment_size 0
		.amdhsa_wavefront_size32 1
		.amdhsa_uses_dynamic_stack 0
		.amdhsa_enable_private_segment 0
		.amdhsa_system_sgpr_workgroup_id_x 1
		.amdhsa_system_sgpr_workgroup_id_y 1
		.amdhsa_system_sgpr_workgroup_id_z 1
		.amdhsa_system_sgpr_workgroup_info 0
		.amdhsa_system_vgpr_workitem_id 0
		.amdhsa_next_free_vgpr 72
		.amdhsa_next_free_sgpr 46
		.amdhsa_named_barrier_count 0
		.amdhsa_reserve_vcc 1
		.amdhsa_float_round_mode_32 0
		.amdhsa_float_round_mode_16_64 0
		.amdhsa_float_denorm_mode_32 3
		.amdhsa_float_denorm_mode_16_64 3
		.amdhsa_fp16_overflow 0
		.amdhsa_memory_ordered 1
		.amdhsa_forward_progress 1
		.amdhsa_inst_pref_size 134
		.amdhsa_round_robin_scheduling 0
		.amdhsa_exception_fp_ieee_invalid_op 0
		.amdhsa_exception_fp_denorm_src 0
		.amdhsa_exception_fp_ieee_div_zero 0
		.amdhsa_exception_fp_ieee_overflow 0
		.amdhsa_exception_fp_ieee_underflow 0
		.amdhsa_exception_fp_ieee_inexact 0
		.amdhsa_exception_int_div_zero 0
	.end_amdhsa_kernel
	.section	.text._ZN4vllm25paged_attention_v1_kernelIfhLi96ELi8ELi128ELNS_18Fp8KVCacheDataTypeE1ELb1EEEvPT_PKS2_PKT0_S8_ifPKiSA_iPKfiiiSC_SC_iiiii,"axG",@progbits,_ZN4vllm25paged_attention_v1_kernelIfhLi96ELi8ELi128ELNS_18Fp8KVCacheDataTypeE1ELb1EEEvPT_PKS2_PKT0_S8_ifPKiSA_iPKfiiiSC_SC_iiiii,comdat
.Lfunc_end165:
	.size	_ZN4vllm25paged_attention_v1_kernelIfhLi96ELi8ELi128ELNS_18Fp8KVCacheDataTypeE1ELb1EEEvPT_PKS2_PKT0_S8_ifPKiSA_iPKfiiiSC_SC_iiiii, .Lfunc_end165-_ZN4vllm25paged_attention_v1_kernelIfhLi96ELi8ELi128ELNS_18Fp8KVCacheDataTypeE1ELb1EEEvPT_PKS2_PKT0_S8_ifPKiSA_iPKfiiiSC_SC_iiiii
                                        ; -- End function
	.set _ZN4vllm25paged_attention_v1_kernelIfhLi96ELi8ELi128ELNS_18Fp8KVCacheDataTypeE1ELb1EEEvPT_PKS2_PKT0_S8_ifPKiSA_iPKfiiiSC_SC_iiiii.num_vgpr, 72
	.set _ZN4vllm25paged_attention_v1_kernelIfhLi96ELi8ELi128ELNS_18Fp8KVCacheDataTypeE1ELb1EEEvPT_PKS2_PKT0_S8_ifPKiSA_iPKfiiiSC_SC_iiiii.num_agpr, 0
	.set _ZN4vllm25paged_attention_v1_kernelIfhLi96ELi8ELi128ELNS_18Fp8KVCacheDataTypeE1ELb1EEEvPT_PKS2_PKT0_S8_ifPKiSA_iPKfiiiSC_SC_iiiii.numbered_sgpr, 46
	.set _ZN4vllm25paged_attention_v1_kernelIfhLi96ELi8ELi128ELNS_18Fp8KVCacheDataTypeE1ELb1EEEvPT_PKS2_PKT0_S8_ifPKiSA_iPKfiiiSC_SC_iiiii.num_named_barrier, 0
	.set _ZN4vllm25paged_attention_v1_kernelIfhLi96ELi8ELi128ELNS_18Fp8KVCacheDataTypeE1ELb1EEEvPT_PKS2_PKT0_S8_ifPKiSA_iPKfiiiSC_SC_iiiii.private_seg_size, 0
	.set _ZN4vllm25paged_attention_v1_kernelIfhLi96ELi8ELi128ELNS_18Fp8KVCacheDataTypeE1ELb1EEEvPT_PKS2_PKT0_S8_ifPKiSA_iPKfiiiSC_SC_iiiii.uses_vcc, 1
	.set _ZN4vllm25paged_attention_v1_kernelIfhLi96ELi8ELi128ELNS_18Fp8KVCacheDataTypeE1ELb1EEEvPT_PKS2_PKT0_S8_ifPKiSA_iPKfiiiSC_SC_iiiii.uses_flat_scratch, 0
	.set _ZN4vllm25paged_attention_v1_kernelIfhLi96ELi8ELi128ELNS_18Fp8KVCacheDataTypeE1ELb1EEEvPT_PKS2_PKT0_S8_ifPKiSA_iPKfiiiSC_SC_iiiii.has_dyn_sized_stack, 0
	.set _ZN4vllm25paged_attention_v1_kernelIfhLi96ELi8ELi128ELNS_18Fp8KVCacheDataTypeE1ELb1EEEvPT_PKS2_PKT0_S8_ifPKiSA_iPKfiiiSC_SC_iiiii.has_recursion, 0
	.set _ZN4vllm25paged_attention_v1_kernelIfhLi96ELi8ELi128ELNS_18Fp8KVCacheDataTypeE1ELb1EEEvPT_PKS2_PKT0_S8_ifPKiSA_iPKfiiiSC_SC_iiiii.has_indirect_call, 0
	.section	.AMDGPU.csdata,"",@progbits
; Kernel info:
; codeLenInByte = 17064
; TotalNumSgprs: 48
; NumVgprs: 72
; ScratchSize: 0
; MemoryBound: 0
; FloatMode: 240
; IeeeMode: 1
; LDSByteSize: 416 bytes/workgroup (compile time only)
; SGPRBlocks: 0
; VGPRBlocks: 4
; NumSGPRsForWavesPerEU: 48
; NumVGPRsForWavesPerEU: 72
; NamedBarCnt: 0
; Occupancy: 12
; WaveLimiterHint : 1
; COMPUTE_PGM_RSRC2:SCRATCH_EN: 0
; COMPUTE_PGM_RSRC2:USER_SGPR: 2
; COMPUTE_PGM_RSRC2:TRAP_HANDLER: 0
; COMPUTE_PGM_RSRC2:TGID_X_EN: 1
; COMPUTE_PGM_RSRC2:TGID_Y_EN: 1
; COMPUTE_PGM_RSRC2:TGID_Z_EN: 1
; COMPUTE_PGM_RSRC2:TIDIG_COMP_CNT: 0
	.section	.text._ZN4vllm25paged_attention_v1_kernelIfhLi112ELi8ELi128ELNS_18Fp8KVCacheDataTypeE1ELb1EEEvPT_PKS2_PKT0_S8_ifPKiSA_iPKfiiiSC_SC_iiiii,"axG",@progbits,_ZN4vllm25paged_attention_v1_kernelIfhLi112ELi8ELi128ELNS_18Fp8KVCacheDataTypeE1ELb1EEEvPT_PKS2_PKT0_S8_ifPKiSA_iPKfiiiSC_SC_iiiii,comdat
	.protected	_ZN4vllm25paged_attention_v1_kernelIfhLi112ELi8ELi128ELNS_18Fp8KVCacheDataTypeE1ELb1EEEvPT_PKS2_PKT0_S8_ifPKiSA_iPKfiiiSC_SC_iiiii ; -- Begin function _ZN4vllm25paged_attention_v1_kernelIfhLi112ELi8ELi128ELNS_18Fp8KVCacheDataTypeE1ELb1EEEvPT_PKS2_PKT0_S8_ifPKiSA_iPKfiiiSC_SC_iiiii
	.globl	_ZN4vllm25paged_attention_v1_kernelIfhLi112ELi8ELi128ELNS_18Fp8KVCacheDataTypeE1ELb1EEEvPT_PKS2_PKT0_S8_ifPKiSA_iPKfiiiSC_SC_iiiii
	.p2align	8
	.type	_ZN4vllm25paged_attention_v1_kernelIfhLi112ELi8ELi128ELNS_18Fp8KVCacheDataTypeE1ELb1EEEvPT_PKS2_PKT0_S8_ifPKiSA_iPKfiiiSC_SC_iiiii,@function
_ZN4vllm25paged_attention_v1_kernelIfhLi112ELi8ELi128ELNS_18Fp8KVCacheDataTypeE1ELb1EEEvPT_PKS2_PKT0_S8_ifPKiSA_iPKfiiiSC_SC_iiiii: ; @_ZN4vllm25paged_attention_v1_kernelIfhLi112ELi8ELi128ELNS_18Fp8KVCacheDataTypeE1ELb1EEEvPT_PKS2_PKT0_S8_ifPKiSA_iPKfiiiSC_SC_iiiii
; %bb.0:
	s_load_b64 s[26:27], s[0:1], 0x20
	s_bfe_u32 s3, ttmp6, 0x4000c
	s_bfe_u32 s4, ttmp6, 0x40010
	s_and_b32 s6, ttmp7, 0xffff
	s_add_co_i32 s3, s3, 1
	s_add_co_i32 s4, s4, 1
	s_and_b32 s2, ttmp6, 15
	s_bfe_u32 s5, ttmp6, 0x40004
	s_mul_i32 s3, ttmp9, s3
	s_mul_i32 s4, s6, s4
	s_getreg_b32 s30, hwreg(HW_REG_IB_STS2, 6, 4)
	s_add_co_i32 s2, s2, s3
	s_add_co_i32 s3, s5, s4
	s_cmp_eq_u32 s30, 0
	s_clause 0x1
	s_load_b32 s31, s[0:1], 0x80
	s_load_b64 s[4:5], s[0:1], 0x30
	s_cselect_b32 s33, s6, s3
	s_cselect_b32 s2, ttmp9, s2
	s_wait_kmcnt 0x0
	s_abs_i32 s3, s26
	s_delay_alu instid0(SALU_CYCLE_1) | instskip(SKIP_1) | instid1(SALU_CYCLE_2)
	s_cvt_f32_u32 s6, s3
	s_sub_co_i32 s7, 0, s3
	v_rcp_iflag_f32_e32 v1, s6
	s_abs_i32 s8, s31
	v_nop
	s_delay_alu instid0(TRANS32_DEP_1) | instskip(SKIP_1) | instid1(SALU_CYCLE_3)
	v_readfirstlane_b32 s6, v1
	s_mul_f32 s6, s6, 0x4f7ffffe
	s_cvt_u32_f32 s6, s6
	s_delay_alu instid0(SALU_CYCLE_3) | instskip(NEXT) | instid1(SALU_CYCLE_1)
	s_mul_i32 s7, s7, s6
	s_mul_hi_u32 s7, s6, s7
	s_delay_alu instid0(SALU_CYCLE_1) | instskip(SKIP_4) | instid1(SALU_CYCLE_1)
	s_add_co_i32 s6, s6, s7
	s_xor_b32 s7, s31, s26
	s_mul_hi_u32 s6, s8, s6
	s_ashr_i32 s7, s7, 31
	s_mul_i32 s9, s6, s3
	s_sub_co_i32 s8, s8, s9
	s_add_co_i32 s9, s6, 1
	s_sub_co_i32 s10, s8, s3
	s_cmp_ge_u32 s8, s3
	s_cselect_b32 s6, s9, s6
	s_cselect_b32 s8, s10, s8
	s_add_co_i32 s9, s6, 1
	s_cmp_ge_u32 s8, s3
	s_load_b64 s[10:11], s[0:1], 0x40
	s_cselect_b32 s3, s9, s6
	s_mov_b32 s9, 0
	s_xor_b32 s3, s3, s7
	s_abs_i32 s8, s2
	s_sub_co_i32 s12, s3, s7
	s_mov_b32 s7, s9
	s_abs_i32 s19, s12
	s_mov_b32 s36, s9
	s_cvt_f32_u32 s3, s19
	s_sub_co_i32 s6, 0, s19
	s_delay_alu instid0(SALU_CYCLE_2) | instskip(SKIP_1) | instid1(TRANS32_DEP_1)
	v_rcp_iflag_f32_e32 v1, s3
	v_nop
	v_readfirstlane_b32 s3, v1
	s_mul_f32 s3, s3, 0x4f7ffffe
	s_delay_alu instid0(SALU_CYCLE_3) | instskip(NEXT) | instid1(SALU_CYCLE_3)
	s_cvt_u32_f32 s3, s3
	s_mul_i32 s6, s6, s3
	s_delay_alu instid0(SALU_CYCLE_1) | instskip(NEXT) | instid1(SALU_CYCLE_1)
	s_mul_hi_u32 s6, s3, s6
	s_add_co_i32 s6, s3, s6
	s_wait_kmcnt 0x0
	s_cmp_eq_u64 s[10:11], 0
	s_cbranch_scc1 .LBB166_2
; %bb.1:
	s_ashr_i32 s3, s2, 31
	s_delay_alu instid0(SALU_CYCLE_1) | instskip(NEXT) | instid1(SALU_CYCLE_1)
	s_lshl_b64 s[14:15], s[2:3], 2
	s_add_nc_u64 s[10:11], s[10:11], s[14:15]
	s_load_b32 s36, s[10:11], 0x0
.LBB166_2:
	s_load_b32 s34, s[4:5], s33 offset:0x0 scale_offset
	s_load_b96 s[16:18], s[0:1], 0x48
	v_and_b32_e32 v2, 3, v0
	s_wait_xcnt 0x0
	s_mul_u64 s[4:5], s[8:9], s[6:7]
	s_ashr_i32 s3, s2, 31
	s_ashr_i32 s10, s12, 31
	s_mul_i32 s6, s2, 0x70
	s_mov_b32 s4, exec_lo
	v_cmpx_gt_u32_e32 0x70, v0
	s_cbranch_execz .LBB166_4
; %bb.3:
	s_load_b64 s[12:13], s[0:1], 0x8
	s_wait_kmcnt 0x0
	s_mul_i32 s14, s16, s33
	s_ashr_i32 s7, s6, 31
	s_ashr_i32 s15, s14, 31
	v_and_b32_e32 v3, 0x3fc, v0
	s_lshl_b64 s[14:15], s[14:15], 2
	s_delay_alu instid0(VALU_DEP_1) | instskip(SKIP_2) | instid1(SALU_CYCLE_1)
	v_mad_u32_u24 v3, 0x70, v2, v3
	s_add_nc_u64 s[12:13], s[12:13], s[14:15]
	s_lshl_b64 s[14:15], s[6:7], 2
	s_add_nc_u64 s[12:13], s[12:13], s[14:15]
	global_load_b32 v1, v0, s[12:13] scale_offset
	s_wait_loadcnt 0x0
	ds_store_b32 v3, v1
.LBB166_4:
	s_or_b32 exec_lo, exec_lo, s4
	s_load_b128 s[12:15], s[0:1], 0x68
	s_mul_i32 s4, s5, s19
	s_xor_b32 s3, s3, s10
	s_sub_co_i32 s4, s8, s4
	s_add_co_i32 s7, s5, 1
	s_sub_co_i32 s8, s4, s19
	s_cmp_ge_u32 s4, s19
	s_mov_b32 s9, -1
	s_cselect_b32 s5, s7, s5
	s_cselect_b32 s4, s8, s4
	s_add_co_i32 s8, s5, 1
	s_cmp_ge_u32 s4, s19
	s_load_b32 s7, s[0:1], 0x78
	s_cselect_b32 s4, s8, s5
	s_wait_kmcnt 0x0
	s_add_co_i32 s8, s34, -1
	s_xor_b32 s4, s4, s3
	s_wait_dscnt 0x0
	s_sub_co_i32 s3, s4, s3
	s_barrier_signal -1
	s_barrier_wait -1
	s_abs_i32 s16, s15
	s_delay_alu instid0(SALU_CYCLE_1) | instskip(NEXT) | instid1(SALU_CYCLE_3)
	s_cvt_f32_u32 s5, s16
                                        ; implicit-def: $sgpr35
	v_rcp_iflag_f32_e32 v1, s5
	v_nop
	s_delay_alu instid0(TRANS32_DEP_1) | instskip(SKIP_1) | instid1(SALU_CYCLE_3)
	v_readfirstlane_b32 s5, v1
	s_mul_f32 s4, s5, 0x4f7ffffe
	s_cvt_u32_f32 s10, s4
	s_sub_co_i32 s4, 0, s16
	s_delay_alu instid0(SALU_CYCLE_2)
	s_mul_i32 s5, s4, s10
	s_abs_i32 s4, s8
	s_mul_hi_u32 s11, s10, s5
	s_mov_b32 s5, 0
	s_add_co_i32 s20, s10, s11
	s_cmp_lt_i32 s7, 0
	s_mov_b32 s21, s5
	s_cbranch_scc0 .LBB166_6
; %bb.5:
	s_mul_i32 s9, s12, s26
	s_delay_alu instid0(SALU_CYCLE_1) | instskip(NEXT) | instid1(SALU_CYCLE_1)
	s_add_co_i32 s9, s3, s9
	s_mul_i32 s9, s9, s7
	s_delay_alu instid0(SALU_CYCLE_1)
	s_sub_co_i32 s35, 1, s9
	s_mov_b32 s9, s5
.LBB166_6:
	s_ashr_i32 s8, s8, 31
	s_ashr_i32 s15, s15, 31
	s_and_not1_b32 vcc_lo, exec_lo, s9
	s_mul_u64 s[28:29], s[4:5], s[20:21]
	s_cbranch_vccnz .LBB166_8
; %bb.7:
	s_mul_i32 s5, s31, s12
	s_delay_alu instid0(SALU_CYCLE_1) | instskip(NEXT) | instid1(SALU_CYCLE_1)
	s_add_co_i32 s2, s5, s2
	s_mul_i32 s2, s2, s7
	s_delay_alu instid0(SALU_CYCLE_1)
	s_add_co_i32 s35, s2, 1
.LBB166_8:
	s_clause 0x1
	s_load_b32 s2, s[0:1], 0x38
	s_load_b64 s[22:23], s[0:1], 0x28
	s_mul_i32 s7, s29, s16
	s_xor_b32 s5, s8, s15
	s_sub_co_i32 s4, s4, s7
	s_add_co_i32 s12, s29, 1
	s_clause 0x1
	s_load_b32 s7, s[0:1], 0x88
	s_load_b128 s[8:11], s[0:1], 0x58
	v_dual_lshrrev_b32 v1, 5, v0 :: v_dual_lshrrev_b32 v31, 3, v0
	v_mov_b32_e32 v45, 0xff7fffff
	v_mbcnt_lo_u32_b32 v42, -1, 0
	s_mul_i32 s18, s3, s18
	s_delay_alu instid0(VALU_DEP_3)
	v_lshlrev_b32_e32 v30, 3, v1
	s_wait_kmcnt 0x0
	s_mul_i32 s24, s2, s33
	s_sub_co_i32 s2, s4, s16
	s_ashr_i32 s25, s24, 31
	s_cmp_ge_u32 s4, s16
	s_cselect_b32 s12, s12, s29
	s_cselect_b32 s2, s2, s4
	s_add_co_i32 s4, s12, 1
	s_cmp_ge_u32 s2, s16
	s_cselect_b32 s2, s4, s12
	s_add_co_i32 s4, s34, 7
	s_delay_alu instid0(SALU_CYCLE_1) | instskip(NEXT) | instid1(SALU_CYCLE_1)
	s_ashr_i32 s12, s4, 31
	s_lshr_b32 s12, s12, 29
	s_delay_alu instid0(SALU_CYCLE_1) | instskip(NEXT) | instid1(SALU_CYCLE_1)
	s_add_co_i32 s4, s4, s12
	s_ashr_i32 s12, s4, 3
	s_xor_b32 s4, s2, s5
	v_cmp_gt_i32_e64 s2, s12, v1
	s_sub_co_i32 s26, s4, s5
	s_and_saveexec_b32 s37, s2
	s_cbranch_execz .LBB166_244
; %bb.9:
	s_sub_co_i32 s38, s26, s13
	s_ashr_i32 s19, s18, 31
	s_cmp_neq_f32 s36, 0
	s_load_b64 s[4:5], s[0:1], 0x10
	v_bfe_u32 v43, v0, 2, 3
	v_dual_mov_b32 v33, 0 :: v_dual_lshlrev_b32 v34, 3, v1
	s_cselect_b32 vcc_lo, -1, 0
	s_abs_i32 s39, s14
	s_delay_alu instid0(VALU_DEP_1)
	v_dual_mov_b32 v3, v33 :: v_dual_lshlrev_b32 v32, 4, v43
	s_cvt_f32_u32 s28, s39
	v_subrev_nc_u32_e32 v6, s34, v43
	v_lshlrev_b32_e32 v5, 2, v43
	s_lshl_b64 s[40:41], s[24:25], 2
	v_rcp_iflag_f32_e32 v4, s28
	s_sub_co_i32 s42, 0, s39
	v_add_nc_u32_e32 v46, 1, v6
	v_lshl_or_b32 v7, v1, 5, v5
	v_cmp_eq_u32_e64 s3, 0, v2
	v_mul_u32_u24_e32 v44, 0x70, v2
	v_mov_b32_e32 v45, 0xff7fffff
	v_readfirstlane_b32 s28, v4
	s_wait_kmcnt 0x0
	s_add_nc_u64 s[4:5], s[4:5], s[18:19]
	v_dual_mov_b32 v48, v1 :: v_dual_add_nc_u32 v47, 0x1e0, v7
	v_add_nc_u64_e32 v[4:5], s[4:5], v[32:33]
	s_mul_f32 s19, s28, 0x4f7ffffe
	v_and_b32_e32 v32, 0x7c, v31
	s_add_nc_u64 s[4:5], s[22:23], s[40:41]
	s_mov_b32 s29, 0
	s_cvt_u32_f32 s28, s19
	s_mov_b32 s19, s17
	v_add_nc_u64_e32 v[36:37], s[4:5], v[32:33]
	v_add_nc_u64_e32 v[38:39], v[4:5], v[2:3]
	s_mul_i32 s42, s42, s28
	s_mov_b32 s40, s29
	s_mul_hi_u32 s4, s28, s42
	s_delay_alu instid0(SALU_CYCLE_1)
	s_add_co_i32 s28, s28, s4
	s_branch .LBB166_12
.LBB166_10:                             ;   in Loop: Header=BB166_12 Depth=1
	s_or_b32 exec_lo, exec_lo, s41
.LBB166_11:                             ;   in Loop: Header=BB166_12 Depth=1
	s_delay_alu instid0(SALU_CYCLE_1) | instskip(SKIP_3) | instid1(VALU_DEP_3)
	s_or_b32 exec_lo, exec_lo, s5
	v_dual_add_nc_u32 v48, 4, v48 :: v_dual_add_nc_u32 v34, 32, v34
	v_add_nc_u64_e32 v[36:37], 16, v[36:37]
	v_add_nc_u32_e32 v47, 0x80, v47
	v_cmp_le_i32_e64 s4, s12, v48
	s_or_b32 s40, s4, s40
	s_delay_alu instid0(SALU_CYCLE_1)
	s_and_not1_b32 exec_lo, exec_lo, s40
	s_cbranch_execz .LBB166_243
.LBB166_12:                             ; =>This Inner Loop Header: Depth=1
	v_mov_b32_e32 v35, v33
	s_wait_dscnt 0x0
	s_delay_alu instid0(VALU_DEP_1) | instskip(NEXT) | instid1(VALU_DEP_1)
	v_mul_u64_e32 v[2:3], s[20:21], v[34:35]
	v_mul_lo_u32 v2, v3, s16
	s_delay_alu instid0(VALU_DEP_1) | instskip(NEXT) | instid1(VALU_DEP_1)
	v_sub_nc_u32_e32 v2, v34, v2
	v_subrev_nc_u32_e32 v5, s16, v2
	v_cmp_le_u32_e64 s4, s16, v2
	s_delay_alu instid0(VALU_DEP_1) | instskip(NEXT) | instid1(VALU_DEP_1)
	v_dual_add_nc_u32 v4, 1, v3 :: v_dual_cndmask_b32 v2, v2, v5, s4
	v_cndmask_b32_e64 v3, v3, v4, s4
	s_delay_alu instid0(VALU_DEP_2) | instskip(NEXT) | instid1(VALU_DEP_2)
	v_cmp_le_u32_e64 s4, s16, v2
	v_add_nc_u32_e32 v4, 1, v3
	s_delay_alu instid0(VALU_DEP_1) | instskip(NEXT) | instid1(VALU_DEP_1)
	v_cndmask_b32_e64 v2, v3, v4, s4
	v_xor_b32_e32 v2, s15, v2
	s_delay_alu instid0(VALU_DEP_1) | instskip(NEXT) | instid1(VALU_DEP_1)
	v_subrev_nc_u32_e32 v4, s15, v2
	v_add_nc_u32_e32 v5, s35, v4
	v_cmp_ge_i32_e64 s5, s38, v4
	s_delay_alu instid0(VALU_DEP_2) | instskip(NEXT) | instid1(VALU_DEP_1)
	v_sub_nc_u32_e32 v2, 0, v5
	v_dual_ashrrev_i32 v5, 31, v5 :: v_dual_max_i32 v32, v5, v2
	s_delay_alu instid0(VALU_DEP_1) | instskip(NEXT) | instid1(VALU_DEP_1)
	v_mul_u64_e32 v[2:3], s[28:29], v[32:33]
	v_mul_lo_u32 v2, v3, s39
	s_delay_alu instid0(VALU_DEP_1) | instskip(NEXT) | instid1(VALU_DEP_1)
	v_sub_nc_u32_e32 v2, v32, v2
	v_subrev_nc_u32_e32 v3, s39, v2
	v_cmp_le_u32_e64 s4, s39, v2
	s_delay_alu instid0(VALU_DEP_1) | instskip(NEXT) | instid1(VALU_DEP_1)
	v_cndmask_b32_e64 v2, v2, v3, s4
	v_subrev_nc_u32_e32 v3, s39, v2
	v_cmp_le_u32_e64 s4, s39, v2
	s_delay_alu instid0(VALU_DEP_1) | instskip(NEXT) | instid1(VALU_DEP_1)
	v_cndmask_b32_e64 v2, v2, v3, s4
	v_xor_b32_e32 v2, v2, v5
	s_delay_alu instid0(VALU_DEP_1) | instskip(NEXT) | instid1(VALU_DEP_1)
	v_sub_nc_u32_e32 v2, v2, v5
	v_cmp_ne_u32_e64 s4, 0, v2
	s_and_b32 s4, s4, s5
	s_delay_alu instid0(SALU_CYCLE_1) | instskip(NEXT) | instid1(SALU_CYCLE_1)
	s_and_saveexec_b32 s5, s4
	s_xor_b32 s4, exec_lo, s5
	s_cbranch_execz .LBB166_16
; %bb.13:                               ;   in Loop: Header=BB166_12 Depth=1
	s_and_saveexec_b32 s5, s3
; %bb.14:                               ;   in Loop: Header=BB166_12 Depth=1
	v_mov_b32_e32 v2, 0xff7fffff
	ds_store_b32 v47, v2
; %bb.15:                               ;   in Loop: Header=BB166_12 Depth=1
	s_or_b32 exec_lo, exec_lo, s5
.LBB166_16:                             ;   in Loop: Header=BB166_12 Depth=1
	s_and_not1_saveexec_b32 s5, s4
	s_cbranch_execz .LBB166_11
; %bb.17:                               ;   in Loop: Header=BB166_12 Depth=1
	global_load_b32 v2, v[36:37], off
	v_dual_mov_b32 v35, 0 :: v_dual_mov_b32 v49, 0
	s_mov_b32 s42, exec_lo
	s_wait_loadcnt 0x0
	v_mad_nc_i64_i32 v[40:41], v2, s19, v[38:39]
	global_load_u8 v50, v[40:41], off
	ds_load_b128 v[26:29], v44
	ds_load_b128 v[22:25], v44 offset:16
	ds_load_b128 v[18:21], v44 offset:32
	;; [unrolled: 1-line block ×6, first 2 shown]
	s_load_b32 s41, s[8:9], 0x0
	s_wait_loadcnt 0x0
	v_cmpx_ne_u16_e32 0, v50
	s_cbranch_execz .LBB166_25
; %bb.18:                               ;   in Loop: Header=BB166_12 Depth=1
	v_bfrev_b32_e32 v49, 1
	s_mov_b32 s43, exec_lo
	v_cmpx_ne_u16_e32 0x80, v50
	s_cbranch_execz .LBB166_24
; %bb.19:                               ;   in Loop: Header=BB166_12 Depth=1
	v_and_b32_e32 v32, 0xffff, v50
	v_mov_b32_e32 v49, 0x7f800001
	s_mov_b32 s44, exec_lo
	s_delay_alu instid0(VALU_DEP_2) | instskip(NEXT) | instid1(VALU_DEP_1)
	v_and_b32_e32 v51, 0x7f, v32
	v_cmpx_ne_u32_e32 0x7f, v51
	s_cbranch_execz .LBB166_23
; %bb.20:                               ;   in Loop: Header=BB166_12 Depth=1
	v_dual_lshrrev_b32 v49, 3, v51 :: v_dual_bitop2_b32 v32, 7, v32 bitop3:0x40
	s_mov_b32 s45, exec_lo
	v_cmpx_gt_u32_e32 8, v51
; %bb.21:                               ;   in Loop: Header=BB166_12 Depth=1
	s_delay_alu instid0(VALU_DEP_2) | instskip(NEXT) | instid1(VALU_DEP_1)
	v_clz_i32_u32_e32 v49, v32
	v_min_u32_e32 v49, 32, v49
	s_delay_alu instid0(VALU_DEP_1) | instskip(NEXT) | instid1(VALU_DEP_1)
	v_subrev_nc_u32_e32 v51, 28, v49
	v_lshlrev_b64_e32 v[52:53], v51, v[32:33]
	s_delay_alu instid0(VALU_DEP_1)
	v_dual_sub_nc_u32 v49, 29, v49 :: v_dual_bitop2_b32 v32, 7, v52 bitop3:0x40
; %bb.22:                               ;   in Loop: Header=BB166_12 Depth=1
	s_or_b32 exec_lo, exec_lo, s45
	s_delay_alu instid0(VALU_DEP_1) | instskip(NEXT) | instid1(VALU_DEP_2)
	v_dual_lshlrev_b32 v50, 24, v50 :: v_dual_lshlrev_b32 v32, 20, v32
	v_lshl_add_u32 v49, v49, 23, 0x3c000000
	s_delay_alu instid0(VALU_DEP_2) | instskip(NEXT) | instid1(VALU_DEP_1)
	v_and_b32_e32 v50, 0x80000000, v50
	v_or3_b32 v49, v32, v50, v49
.LBB166_23:                             ;   in Loop: Header=BB166_12 Depth=1
	s_or_b32 exec_lo, exec_lo, s44
.LBB166_24:                             ;   in Loop: Header=BB166_12 Depth=1
	s_delay_alu instid0(SALU_CYCLE_1)
	s_or_b32 exec_lo, exec_lo, s43
.LBB166_25:                             ;   in Loop: Header=BB166_12 Depth=1
	s_delay_alu instid0(SALU_CYCLE_1)
	s_or_b32 exec_lo, exec_lo, s42
	global_load_u8 v50, v[40:41], off offset:4
	s_mov_b32 s42, exec_lo
	s_wait_loadcnt 0x0
	v_cmpx_ne_u16_e32 0, v50
	s_cbranch_execz .LBB166_33
; %bb.26:                               ;   in Loop: Header=BB166_12 Depth=1
	v_bfrev_b32_e32 v35, 1
	s_mov_b32 s43, exec_lo
	v_cmpx_ne_u16_e32 0x80, v50
	s_cbranch_execz .LBB166_32
; %bb.27:                               ;   in Loop: Header=BB166_12 Depth=1
	v_and_b32_e32 v32, 0xffff, v50
	v_mov_b32_e32 v35, 0x7f800001
	s_mov_b32 s44, exec_lo
	s_delay_alu instid0(VALU_DEP_2) | instskip(NEXT) | instid1(VALU_DEP_1)
	v_and_b32_e32 v51, 0x7f, v32
	v_cmpx_ne_u32_e32 0x7f, v51
	s_cbranch_execz .LBB166_31
; %bb.28:                               ;   in Loop: Header=BB166_12 Depth=1
	v_dual_lshrrev_b32 v35, 3, v51 :: v_dual_bitop2_b32 v32, 7, v32 bitop3:0x40
	s_mov_b32 s45, exec_lo
	v_cmpx_gt_u32_e32 8, v51
; %bb.29:                               ;   in Loop: Header=BB166_12 Depth=1
	s_delay_alu instid0(VALU_DEP_2) | instskip(NEXT) | instid1(VALU_DEP_1)
	v_clz_i32_u32_e32 v35, v32
	v_min_u32_e32 v35, 32, v35
	s_delay_alu instid0(VALU_DEP_1) | instskip(NEXT) | instid1(VALU_DEP_1)
	v_subrev_nc_u32_e32 v51, 28, v35
	v_lshlrev_b64_e32 v[52:53], v51, v[32:33]
	s_delay_alu instid0(VALU_DEP_1)
	v_dual_sub_nc_u32 v35, 29, v35 :: v_dual_bitop2_b32 v32, 7, v52 bitop3:0x40
; %bb.30:                               ;   in Loop: Header=BB166_12 Depth=1
	s_or_b32 exec_lo, exec_lo, s45
	s_delay_alu instid0(VALU_DEP_1) | instskip(NEXT) | instid1(VALU_DEP_2)
	v_dual_lshlrev_b32 v50, 24, v50 :: v_dual_lshlrev_b32 v32, 20, v32
	v_lshl_add_u32 v35, v35, 23, 0x3c000000
	s_delay_alu instid0(VALU_DEP_2) | instskip(NEXT) | instid1(VALU_DEP_1)
	v_and_b32_e32 v50, 0x80000000, v50
	v_or3_b32 v35, v32, v50, v35
.LBB166_31:                             ;   in Loop: Header=BB166_12 Depth=1
	s_or_b32 exec_lo, exec_lo, s44
.LBB166_32:                             ;   in Loop: Header=BB166_12 Depth=1
	s_delay_alu instid0(SALU_CYCLE_1)
	s_or_b32 exec_lo, exec_lo, s43
.LBB166_33:                             ;   in Loop: Header=BB166_12 Depth=1
	s_delay_alu instid0(SALU_CYCLE_1)
	s_or_b32 exec_lo, exec_lo, s42
	global_load_u8 v52, v[40:41], off offset:8
	v_dual_mov_b32 v50, 0 :: v_dual_mov_b32 v51, 0
	s_mov_b32 s42, exec_lo
	s_wait_loadcnt 0x0
	v_cmpx_ne_u16_e32 0, v52
	s_cbranch_execz .LBB166_41
; %bb.34:                               ;   in Loop: Header=BB166_12 Depth=1
	v_bfrev_b32_e32 v51, 1
	s_mov_b32 s43, exec_lo
	v_cmpx_ne_u16_e32 0x80, v52
	s_cbranch_execz .LBB166_40
; %bb.35:                               ;   in Loop: Header=BB166_12 Depth=1
	v_and_b32_e32 v32, 0xffff, v52
	v_mov_b32_e32 v51, 0x7f800001
	s_mov_b32 s44, exec_lo
	s_delay_alu instid0(VALU_DEP_2) | instskip(NEXT) | instid1(VALU_DEP_1)
	v_and_b32_e32 v53, 0x7f, v32
	v_cmpx_ne_u32_e32 0x7f, v53
	s_cbranch_execz .LBB166_39
; %bb.36:                               ;   in Loop: Header=BB166_12 Depth=1
	v_dual_lshrrev_b32 v51, 3, v53 :: v_dual_bitop2_b32 v32, 7, v32 bitop3:0x40
	s_mov_b32 s45, exec_lo
	v_cmpx_gt_u32_e32 8, v53
; %bb.37:                               ;   in Loop: Header=BB166_12 Depth=1
	s_delay_alu instid0(VALU_DEP_2) | instskip(NEXT) | instid1(VALU_DEP_1)
	v_clz_i32_u32_e32 v51, v32
	v_min_u32_e32 v51, 32, v51
	s_delay_alu instid0(VALU_DEP_1) | instskip(NEXT) | instid1(VALU_DEP_1)
	v_subrev_nc_u32_e32 v53, 28, v51
	v_lshlrev_b64_e32 v[54:55], v53, v[32:33]
	s_delay_alu instid0(VALU_DEP_1)
	v_dual_sub_nc_u32 v51, 29, v51 :: v_dual_bitop2_b32 v32, 7, v54 bitop3:0x40
; %bb.38:                               ;   in Loop: Header=BB166_12 Depth=1
	s_or_b32 exec_lo, exec_lo, s45
	v_lshlrev_b32_e32 v52, 24, v52
	s_delay_alu instid0(VALU_DEP_2) | instskip(NEXT) | instid1(VALU_DEP_3)
	v_lshlrev_b32_e32 v32, 20, v32
	v_lshl_add_u32 v51, v51, 23, 0x3c000000
	s_delay_alu instid0(VALU_DEP_3) | instskip(NEXT) | instid1(VALU_DEP_1)
	v_and_b32_e32 v52, 0x80000000, v52
	v_or3_b32 v51, v32, v52, v51
.LBB166_39:                             ;   in Loop: Header=BB166_12 Depth=1
	s_or_b32 exec_lo, exec_lo, s44
.LBB166_40:                             ;   in Loop: Header=BB166_12 Depth=1
	s_delay_alu instid0(SALU_CYCLE_1)
	s_or_b32 exec_lo, exec_lo, s43
.LBB166_41:                             ;   in Loop: Header=BB166_12 Depth=1
	s_delay_alu instid0(SALU_CYCLE_1)
	s_or_b32 exec_lo, exec_lo, s42
	global_load_u8 v52, v[40:41], off offset:12
	s_mov_b32 s42, exec_lo
	s_wait_loadcnt 0x0
	v_cmpx_ne_u16_e32 0, v52
	s_cbranch_execz .LBB166_49
; %bb.42:                               ;   in Loop: Header=BB166_12 Depth=1
	v_bfrev_b32_e32 v50, 1
	s_mov_b32 s43, exec_lo
	v_cmpx_ne_u16_e32 0x80, v52
	s_cbranch_execz .LBB166_48
; %bb.43:                               ;   in Loop: Header=BB166_12 Depth=1
	v_and_b32_e32 v32, 0xffff, v52
	v_mov_b32_e32 v50, 0x7f800001
	s_mov_b32 s44, exec_lo
	s_delay_alu instid0(VALU_DEP_2) | instskip(NEXT) | instid1(VALU_DEP_1)
	v_and_b32_e32 v53, 0x7f, v32
	v_cmpx_ne_u32_e32 0x7f, v53
	s_cbranch_execz .LBB166_47
; %bb.44:                               ;   in Loop: Header=BB166_12 Depth=1
	v_dual_lshrrev_b32 v50, 3, v53 :: v_dual_bitop2_b32 v32, 7, v32 bitop3:0x40
	s_mov_b32 s45, exec_lo
	v_cmpx_gt_u32_e32 8, v53
; %bb.45:                               ;   in Loop: Header=BB166_12 Depth=1
	s_delay_alu instid0(VALU_DEP_2) | instskip(NEXT) | instid1(VALU_DEP_1)
	v_clz_i32_u32_e32 v50, v32
	v_min_u32_e32 v50, 32, v50
	s_delay_alu instid0(VALU_DEP_1) | instskip(SKIP_1) | instid1(VALU_DEP_2)
	v_subrev_nc_u32_e32 v53, 28, v50
	v_sub_nc_u32_e32 v50, 29, v50
	v_lshlrev_b64_e32 v[54:55], v53, v[32:33]
	s_delay_alu instid0(VALU_DEP_1)
	v_and_b32_e32 v32, 7, v54
; %bb.46:                               ;   in Loop: Header=BB166_12 Depth=1
	s_or_b32 exec_lo, exec_lo, s45
	v_lshlrev_b32_e32 v52, 24, v52
	s_delay_alu instid0(VALU_DEP_2) | instskip(SKIP_1) | instid1(VALU_DEP_3)
	v_lshlrev_b32_e32 v32, 20, v32
	v_lshl_add_u32 v50, v50, 23, 0x3c000000
	v_and_b32_e32 v52, 0x80000000, v52
	s_delay_alu instid0(VALU_DEP_1)
	v_or3_b32 v50, v32, v52, v50
.LBB166_47:                             ;   in Loop: Header=BB166_12 Depth=1
	s_or_b32 exec_lo, exec_lo, s44
.LBB166_48:                             ;   in Loop: Header=BB166_12 Depth=1
	s_delay_alu instid0(SALU_CYCLE_1)
	s_or_b32 exec_lo, exec_lo, s43
.LBB166_49:                             ;   in Loop: Header=BB166_12 Depth=1
	s_delay_alu instid0(SALU_CYCLE_1)
	s_or_b32 exec_lo, exec_lo, s42
	global_load_u8 v54, v[40:41], off offset:128
	v_dual_mov_b32 v52, 0 :: v_dual_mov_b32 v53, 0
	s_mov_b32 s42, exec_lo
	s_wait_loadcnt 0x0
	v_cmpx_ne_u16_e32 0, v54
	s_cbranch_execz .LBB166_57
; %bb.50:                               ;   in Loop: Header=BB166_12 Depth=1
	v_bfrev_b32_e32 v53, 1
	s_mov_b32 s43, exec_lo
	v_cmpx_ne_u16_e32 0x80, v54
	s_cbranch_execz .LBB166_56
; %bb.51:                               ;   in Loop: Header=BB166_12 Depth=1
	v_and_b32_e32 v32, 0xffff, v54
	v_mov_b32_e32 v53, 0x7f800001
	s_mov_b32 s44, exec_lo
	s_delay_alu instid0(VALU_DEP_2) | instskip(NEXT) | instid1(VALU_DEP_1)
	v_and_b32_e32 v55, 0x7f, v32
	v_cmpx_ne_u32_e32 0x7f, v55
	s_cbranch_execz .LBB166_55
; %bb.52:                               ;   in Loop: Header=BB166_12 Depth=1
	v_dual_lshrrev_b32 v53, 3, v55 :: v_dual_bitop2_b32 v32, 7, v32 bitop3:0x40
	s_mov_b32 s45, exec_lo
	v_cmpx_gt_u32_e32 8, v55
; %bb.53:                               ;   in Loop: Header=BB166_12 Depth=1
	s_delay_alu instid0(VALU_DEP_2) | instskip(NEXT) | instid1(VALU_DEP_1)
	v_clz_i32_u32_e32 v53, v32
	v_min_u32_e32 v53, 32, v53
	s_delay_alu instid0(VALU_DEP_1) | instskip(NEXT) | instid1(VALU_DEP_1)
	v_subrev_nc_u32_e32 v55, 28, v53
	v_lshlrev_b64_e32 v[56:57], v55, v[32:33]
	s_delay_alu instid0(VALU_DEP_1)
	v_dual_sub_nc_u32 v53, 29, v53 :: v_dual_bitop2_b32 v32, 7, v56 bitop3:0x40
; %bb.54:                               ;   in Loop: Header=BB166_12 Depth=1
	s_or_b32 exec_lo, exec_lo, s45
	s_delay_alu instid0(VALU_DEP_1) | instskip(NEXT) | instid1(VALU_DEP_2)
	v_dual_lshlrev_b32 v54, 24, v54 :: v_dual_lshlrev_b32 v32, 20, v32
	v_lshl_add_u32 v53, v53, 23, 0x3c000000
	s_delay_alu instid0(VALU_DEP_2) | instskip(NEXT) | instid1(VALU_DEP_1)
	v_and_b32_e32 v54, 0x80000000, v54
	v_or3_b32 v53, v32, v54, v53
.LBB166_55:                             ;   in Loop: Header=BB166_12 Depth=1
	s_or_b32 exec_lo, exec_lo, s44
.LBB166_56:                             ;   in Loop: Header=BB166_12 Depth=1
	s_delay_alu instid0(SALU_CYCLE_1)
	s_or_b32 exec_lo, exec_lo, s43
.LBB166_57:                             ;   in Loop: Header=BB166_12 Depth=1
	s_delay_alu instid0(SALU_CYCLE_1)
	s_or_b32 exec_lo, exec_lo, s42
	global_load_u8 v54, v[40:41], off offset:132
	s_mov_b32 s42, exec_lo
	s_wait_loadcnt 0x0
	v_cmpx_ne_u16_e32 0, v54
	s_cbranch_execz .LBB166_65
; %bb.58:                               ;   in Loop: Header=BB166_12 Depth=1
	v_bfrev_b32_e32 v52, 1
	s_mov_b32 s43, exec_lo
	v_cmpx_ne_u16_e32 0x80, v54
	s_cbranch_execz .LBB166_64
; %bb.59:                               ;   in Loop: Header=BB166_12 Depth=1
	v_and_b32_e32 v32, 0xffff, v54
	v_mov_b32_e32 v52, 0x7f800001
	s_mov_b32 s44, exec_lo
	s_delay_alu instid0(VALU_DEP_2) | instskip(NEXT) | instid1(VALU_DEP_1)
	v_and_b32_e32 v55, 0x7f, v32
	v_cmpx_ne_u32_e32 0x7f, v55
	s_cbranch_execz .LBB166_63
; %bb.60:                               ;   in Loop: Header=BB166_12 Depth=1
	v_dual_lshrrev_b32 v52, 3, v55 :: v_dual_bitop2_b32 v32, 7, v32 bitop3:0x40
	s_mov_b32 s45, exec_lo
	v_cmpx_gt_u32_e32 8, v55
; %bb.61:                               ;   in Loop: Header=BB166_12 Depth=1
	s_delay_alu instid0(VALU_DEP_2) | instskip(NEXT) | instid1(VALU_DEP_1)
	v_clz_i32_u32_e32 v52, v32
	v_min_u32_e32 v52, 32, v52
	s_delay_alu instid0(VALU_DEP_1) | instskip(SKIP_1) | instid1(VALU_DEP_2)
	v_subrev_nc_u32_e32 v55, 28, v52
	v_sub_nc_u32_e32 v52, 29, v52
	v_lshlrev_b64_e32 v[56:57], v55, v[32:33]
	s_delay_alu instid0(VALU_DEP_1)
	v_and_b32_e32 v32, 7, v56
; %bb.62:                               ;   in Loop: Header=BB166_12 Depth=1
	s_or_b32 exec_lo, exec_lo, s45
	s_delay_alu instid0(VALU_DEP_1) | instskip(SKIP_1) | instid1(VALU_DEP_2)
	v_dual_lshlrev_b32 v54, 24, v54 :: v_dual_lshlrev_b32 v32, 20, v32
	v_lshl_add_u32 v52, v52, 23, 0x3c000000
	v_and_b32_e32 v54, 0x80000000, v54
	s_delay_alu instid0(VALU_DEP_1)
	v_or3_b32 v52, v32, v54, v52
.LBB166_63:                             ;   in Loop: Header=BB166_12 Depth=1
	s_or_b32 exec_lo, exec_lo, s44
.LBB166_64:                             ;   in Loop: Header=BB166_12 Depth=1
	s_delay_alu instid0(SALU_CYCLE_1)
	s_or_b32 exec_lo, exec_lo, s43
.LBB166_65:                             ;   in Loop: Header=BB166_12 Depth=1
	s_delay_alu instid0(SALU_CYCLE_1)
	s_or_b32 exec_lo, exec_lo, s42
	global_load_u8 v56, v[40:41], off offset:136
	v_dual_mov_b32 v54, 0 :: v_dual_mov_b32 v55, 0
	s_mov_b32 s42, exec_lo
	s_wait_loadcnt 0x0
	v_cmpx_ne_u16_e32 0, v56
	s_cbranch_execz .LBB166_73
; %bb.66:                               ;   in Loop: Header=BB166_12 Depth=1
	v_bfrev_b32_e32 v55, 1
	s_mov_b32 s43, exec_lo
	v_cmpx_ne_u16_e32 0x80, v56
	s_cbranch_execz .LBB166_72
; %bb.67:                               ;   in Loop: Header=BB166_12 Depth=1
	v_and_b32_e32 v32, 0xffff, v56
	v_mov_b32_e32 v55, 0x7f800001
	s_mov_b32 s44, exec_lo
	s_delay_alu instid0(VALU_DEP_2) | instskip(NEXT) | instid1(VALU_DEP_1)
	v_and_b32_e32 v57, 0x7f, v32
	v_cmpx_ne_u32_e32 0x7f, v57
	s_cbranch_execz .LBB166_71
; %bb.68:                               ;   in Loop: Header=BB166_12 Depth=1
	v_dual_lshrrev_b32 v55, 3, v57 :: v_dual_bitop2_b32 v32, 7, v32 bitop3:0x40
	s_mov_b32 s45, exec_lo
	v_cmpx_gt_u32_e32 8, v57
; %bb.69:                               ;   in Loop: Header=BB166_12 Depth=1
	s_delay_alu instid0(VALU_DEP_2) | instskip(NEXT) | instid1(VALU_DEP_1)
	v_clz_i32_u32_e32 v55, v32
	v_min_u32_e32 v55, 32, v55
	s_delay_alu instid0(VALU_DEP_1) | instskip(NEXT) | instid1(VALU_DEP_1)
	v_subrev_nc_u32_e32 v57, 28, v55
	v_lshlrev_b64_e32 v[58:59], v57, v[32:33]
	s_delay_alu instid0(VALU_DEP_1)
	v_dual_sub_nc_u32 v55, 29, v55 :: v_dual_bitop2_b32 v32, 7, v58 bitop3:0x40
; %bb.70:                               ;   in Loop: Header=BB166_12 Depth=1
	s_or_b32 exec_lo, exec_lo, s45
	v_lshlrev_b32_e32 v56, 24, v56
	s_delay_alu instid0(VALU_DEP_2) | instskip(NEXT) | instid1(VALU_DEP_3)
	v_lshlrev_b32_e32 v32, 20, v32
	v_lshl_add_u32 v55, v55, 23, 0x3c000000
	s_delay_alu instid0(VALU_DEP_3) | instskip(NEXT) | instid1(VALU_DEP_1)
	v_and_b32_e32 v56, 0x80000000, v56
	v_or3_b32 v55, v32, v56, v55
.LBB166_71:                             ;   in Loop: Header=BB166_12 Depth=1
	s_or_b32 exec_lo, exec_lo, s44
.LBB166_72:                             ;   in Loop: Header=BB166_12 Depth=1
	s_delay_alu instid0(SALU_CYCLE_1)
	s_or_b32 exec_lo, exec_lo, s43
.LBB166_73:                             ;   in Loop: Header=BB166_12 Depth=1
	s_delay_alu instid0(SALU_CYCLE_1)
	s_or_b32 exec_lo, exec_lo, s42
	global_load_u8 v56, v[40:41], off offset:140
	s_mov_b32 s42, exec_lo
	s_wait_loadcnt 0x0
	v_cmpx_ne_u16_e32 0, v56
	s_cbranch_execz .LBB166_81
; %bb.74:                               ;   in Loop: Header=BB166_12 Depth=1
	v_bfrev_b32_e32 v54, 1
	s_mov_b32 s43, exec_lo
	v_cmpx_ne_u16_e32 0x80, v56
	s_cbranch_execz .LBB166_80
; %bb.75:                               ;   in Loop: Header=BB166_12 Depth=1
	v_and_b32_e32 v32, 0xffff, v56
	v_mov_b32_e32 v54, 0x7f800001
	s_mov_b32 s44, exec_lo
	s_delay_alu instid0(VALU_DEP_2) | instskip(NEXT) | instid1(VALU_DEP_1)
	v_and_b32_e32 v57, 0x7f, v32
	v_cmpx_ne_u32_e32 0x7f, v57
	s_cbranch_execz .LBB166_79
; %bb.76:                               ;   in Loop: Header=BB166_12 Depth=1
	v_dual_lshrrev_b32 v54, 3, v57 :: v_dual_bitop2_b32 v32, 7, v32 bitop3:0x40
	s_mov_b32 s45, exec_lo
	v_cmpx_gt_u32_e32 8, v57
; %bb.77:                               ;   in Loop: Header=BB166_12 Depth=1
	s_delay_alu instid0(VALU_DEP_2) | instskip(NEXT) | instid1(VALU_DEP_1)
	v_clz_i32_u32_e32 v54, v32
	v_min_u32_e32 v54, 32, v54
	s_delay_alu instid0(VALU_DEP_1) | instskip(SKIP_1) | instid1(VALU_DEP_2)
	v_subrev_nc_u32_e32 v57, 28, v54
	v_sub_nc_u32_e32 v54, 29, v54
	v_lshlrev_b64_e32 v[58:59], v57, v[32:33]
	s_delay_alu instid0(VALU_DEP_1)
	v_and_b32_e32 v32, 7, v58
; %bb.78:                               ;   in Loop: Header=BB166_12 Depth=1
	s_or_b32 exec_lo, exec_lo, s45
	v_lshlrev_b32_e32 v56, 24, v56
	s_delay_alu instid0(VALU_DEP_2) | instskip(SKIP_1) | instid1(VALU_DEP_3)
	v_lshlrev_b32_e32 v32, 20, v32
	v_lshl_add_u32 v54, v54, 23, 0x3c000000
	v_and_b32_e32 v56, 0x80000000, v56
	s_delay_alu instid0(VALU_DEP_1)
	v_or3_b32 v54, v32, v56, v54
.LBB166_79:                             ;   in Loop: Header=BB166_12 Depth=1
	s_or_b32 exec_lo, exec_lo, s44
.LBB166_80:                             ;   in Loop: Header=BB166_12 Depth=1
	s_delay_alu instid0(SALU_CYCLE_1)
	s_or_b32 exec_lo, exec_lo, s43
.LBB166_81:                             ;   in Loop: Header=BB166_12 Depth=1
	s_delay_alu instid0(SALU_CYCLE_1)
	s_or_b32 exec_lo, exec_lo, s42
	global_load_u8 v58, v[40:41], off offset:256
	v_dual_mov_b32 v56, 0 :: v_dual_mov_b32 v57, 0
	s_mov_b32 s42, exec_lo
	s_wait_loadcnt 0x0
	v_cmpx_ne_u16_e32 0, v58
	s_cbranch_execz .LBB166_89
; %bb.82:                               ;   in Loop: Header=BB166_12 Depth=1
	v_bfrev_b32_e32 v57, 1
	s_mov_b32 s43, exec_lo
	v_cmpx_ne_u16_e32 0x80, v58
	s_cbranch_execz .LBB166_88
; %bb.83:                               ;   in Loop: Header=BB166_12 Depth=1
	v_and_b32_e32 v32, 0xffff, v58
	v_mov_b32_e32 v57, 0x7f800001
	s_mov_b32 s44, exec_lo
	s_delay_alu instid0(VALU_DEP_2) | instskip(NEXT) | instid1(VALU_DEP_1)
	v_and_b32_e32 v59, 0x7f, v32
	v_cmpx_ne_u32_e32 0x7f, v59
	s_cbranch_execz .LBB166_87
; %bb.84:                               ;   in Loop: Header=BB166_12 Depth=1
	v_dual_lshrrev_b32 v57, 3, v59 :: v_dual_bitop2_b32 v32, 7, v32 bitop3:0x40
	s_mov_b32 s45, exec_lo
	v_cmpx_gt_u32_e32 8, v59
; %bb.85:                               ;   in Loop: Header=BB166_12 Depth=1
	s_delay_alu instid0(VALU_DEP_2) | instskip(NEXT) | instid1(VALU_DEP_1)
	v_clz_i32_u32_e32 v57, v32
	v_min_u32_e32 v57, 32, v57
	s_delay_alu instid0(VALU_DEP_1) | instskip(NEXT) | instid1(VALU_DEP_1)
	v_subrev_nc_u32_e32 v59, 28, v57
	v_lshlrev_b64_e32 v[60:61], v59, v[32:33]
	s_delay_alu instid0(VALU_DEP_1)
	v_dual_sub_nc_u32 v57, 29, v57 :: v_dual_bitop2_b32 v32, 7, v60 bitop3:0x40
; %bb.86:                               ;   in Loop: Header=BB166_12 Depth=1
	s_or_b32 exec_lo, exec_lo, s45
	s_delay_alu instid0(VALU_DEP_1) | instskip(NEXT) | instid1(VALU_DEP_2)
	v_dual_lshlrev_b32 v58, 24, v58 :: v_dual_lshlrev_b32 v32, 20, v32
	v_lshl_add_u32 v57, v57, 23, 0x3c000000
	s_delay_alu instid0(VALU_DEP_2) | instskip(NEXT) | instid1(VALU_DEP_1)
	v_and_b32_e32 v58, 0x80000000, v58
	v_or3_b32 v57, v32, v58, v57
.LBB166_87:                             ;   in Loop: Header=BB166_12 Depth=1
	s_or_b32 exec_lo, exec_lo, s44
.LBB166_88:                             ;   in Loop: Header=BB166_12 Depth=1
	s_delay_alu instid0(SALU_CYCLE_1)
	s_or_b32 exec_lo, exec_lo, s43
.LBB166_89:                             ;   in Loop: Header=BB166_12 Depth=1
	s_delay_alu instid0(SALU_CYCLE_1)
	s_or_b32 exec_lo, exec_lo, s42
	global_load_u8 v58, v[40:41], off offset:260
	s_mov_b32 s42, exec_lo
	s_wait_loadcnt 0x0
	v_cmpx_ne_u16_e32 0, v58
	s_cbranch_execz .LBB166_97
; %bb.90:                               ;   in Loop: Header=BB166_12 Depth=1
	v_bfrev_b32_e32 v56, 1
	s_mov_b32 s43, exec_lo
	v_cmpx_ne_u16_e32 0x80, v58
	s_cbranch_execz .LBB166_96
; %bb.91:                               ;   in Loop: Header=BB166_12 Depth=1
	v_and_b32_e32 v32, 0xffff, v58
	v_mov_b32_e32 v56, 0x7f800001
	s_mov_b32 s44, exec_lo
	s_delay_alu instid0(VALU_DEP_2) | instskip(NEXT) | instid1(VALU_DEP_1)
	v_and_b32_e32 v59, 0x7f, v32
	v_cmpx_ne_u32_e32 0x7f, v59
	s_cbranch_execz .LBB166_95
; %bb.92:                               ;   in Loop: Header=BB166_12 Depth=1
	v_dual_lshrrev_b32 v56, 3, v59 :: v_dual_bitop2_b32 v32, 7, v32 bitop3:0x40
	s_mov_b32 s45, exec_lo
	v_cmpx_gt_u32_e32 8, v59
; %bb.93:                               ;   in Loop: Header=BB166_12 Depth=1
	s_delay_alu instid0(VALU_DEP_2) | instskip(NEXT) | instid1(VALU_DEP_1)
	v_clz_i32_u32_e32 v56, v32
	v_min_u32_e32 v56, 32, v56
	s_delay_alu instid0(VALU_DEP_1) | instskip(SKIP_1) | instid1(VALU_DEP_2)
	v_subrev_nc_u32_e32 v59, 28, v56
	v_sub_nc_u32_e32 v56, 29, v56
	v_lshlrev_b64_e32 v[60:61], v59, v[32:33]
	s_delay_alu instid0(VALU_DEP_1)
	v_and_b32_e32 v32, 7, v60
; %bb.94:                               ;   in Loop: Header=BB166_12 Depth=1
	s_or_b32 exec_lo, exec_lo, s45
	s_delay_alu instid0(VALU_DEP_1) | instskip(SKIP_1) | instid1(VALU_DEP_2)
	v_dual_lshlrev_b32 v58, 24, v58 :: v_dual_lshlrev_b32 v32, 20, v32
	v_lshl_add_u32 v56, v56, 23, 0x3c000000
	v_and_b32_e32 v58, 0x80000000, v58
	s_delay_alu instid0(VALU_DEP_1)
	v_or3_b32 v56, v32, v58, v56
.LBB166_95:                             ;   in Loop: Header=BB166_12 Depth=1
	s_or_b32 exec_lo, exec_lo, s44
.LBB166_96:                             ;   in Loop: Header=BB166_12 Depth=1
	s_delay_alu instid0(SALU_CYCLE_1)
	s_or_b32 exec_lo, exec_lo, s43
.LBB166_97:                             ;   in Loop: Header=BB166_12 Depth=1
	s_delay_alu instid0(SALU_CYCLE_1)
	s_or_b32 exec_lo, exec_lo, s42
	global_load_u8 v60, v[40:41], off offset:264
	v_dual_mov_b32 v58, 0 :: v_dual_mov_b32 v59, 0
	s_mov_b32 s42, exec_lo
	s_wait_loadcnt 0x0
	v_cmpx_ne_u16_e32 0, v60
	s_cbranch_execz .LBB166_105
; %bb.98:                               ;   in Loop: Header=BB166_12 Depth=1
	v_bfrev_b32_e32 v59, 1
	s_mov_b32 s43, exec_lo
	v_cmpx_ne_u16_e32 0x80, v60
	s_cbranch_execz .LBB166_104
; %bb.99:                               ;   in Loop: Header=BB166_12 Depth=1
	v_and_b32_e32 v32, 0xffff, v60
	v_mov_b32_e32 v59, 0x7f800001
	s_mov_b32 s44, exec_lo
	s_delay_alu instid0(VALU_DEP_2) | instskip(NEXT) | instid1(VALU_DEP_1)
	v_and_b32_e32 v61, 0x7f, v32
	v_cmpx_ne_u32_e32 0x7f, v61
	s_cbranch_execz .LBB166_103
; %bb.100:                              ;   in Loop: Header=BB166_12 Depth=1
	v_dual_lshrrev_b32 v59, 3, v61 :: v_dual_bitop2_b32 v32, 7, v32 bitop3:0x40
	s_mov_b32 s45, exec_lo
	v_cmpx_gt_u32_e32 8, v61
; %bb.101:                              ;   in Loop: Header=BB166_12 Depth=1
	s_delay_alu instid0(VALU_DEP_2) | instskip(NEXT) | instid1(VALU_DEP_1)
	v_clz_i32_u32_e32 v59, v32
	v_min_u32_e32 v59, 32, v59
	s_delay_alu instid0(VALU_DEP_1) | instskip(NEXT) | instid1(VALU_DEP_1)
	v_subrev_nc_u32_e32 v61, 28, v59
	v_lshlrev_b64_e32 v[62:63], v61, v[32:33]
	s_delay_alu instid0(VALU_DEP_1)
	v_dual_sub_nc_u32 v59, 29, v59 :: v_dual_bitop2_b32 v32, 7, v62 bitop3:0x40
; %bb.102:                              ;   in Loop: Header=BB166_12 Depth=1
	s_or_b32 exec_lo, exec_lo, s45
	v_lshlrev_b32_e32 v60, 24, v60
	s_delay_alu instid0(VALU_DEP_2) | instskip(NEXT) | instid1(VALU_DEP_3)
	v_lshlrev_b32_e32 v32, 20, v32
	v_lshl_add_u32 v59, v59, 23, 0x3c000000
	s_delay_alu instid0(VALU_DEP_3) | instskip(NEXT) | instid1(VALU_DEP_1)
	v_and_b32_e32 v60, 0x80000000, v60
	v_or3_b32 v59, v32, v60, v59
.LBB166_103:                            ;   in Loop: Header=BB166_12 Depth=1
	s_or_b32 exec_lo, exec_lo, s44
.LBB166_104:                            ;   in Loop: Header=BB166_12 Depth=1
	s_delay_alu instid0(SALU_CYCLE_1)
	s_or_b32 exec_lo, exec_lo, s43
.LBB166_105:                            ;   in Loop: Header=BB166_12 Depth=1
	s_delay_alu instid0(SALU_CYCLE_1)
	s_or_b32 exec_lo, exec_lo, s42
	global_load_u8 v60, v[40:41], off offset:268
	s_mov_b32 s42, exec_lo
	s_wait_loadcnt 0x0
	v_cmpx_ne_u16_e32 0, v60
	s_cbranch_execz .LBB166_113
; %bb.106:                              ;   in Loop: Header=BB166_12 Depth=1
	v_bfrev_b32_e32 v58, 1
	s_mov_b32 s43, exec_lo
	v_cmpx_ne_u16_e32 0x80, v60
	s_cbranch_execz .LBB166_112
; %bb.107:                              ;   in Loop: Header=BB166_12 Depth=1
	v_and_b32_e32 v32, 0xffff, v60
	v_mov_b32_e32 v58, 0x7f800001
	s_mov_b32 s44, exec_lo
	s_delay_alu instid0(VALU_DEP_2) | instskip(NEXT) | instid1(VALU_DEP_1)
	v_and_b32_e32 v61, 0x7f, v32
	v_cmpx_ne_u32_e32 0x7f, v61
	s_cbranch_execz .LBB166_111
; %bb.108:                              ;   in Loop: Header=BB166_12 Depth=1
	v_dual_lshrrev_b32 v58, 3, v61 :: v_dual_bitop2_b32 v32, 7, v32 bitop3:0x40
	s_mov_b32 s45, exec_lo
	v_cmpx_gt_u32_e32 8, v61
; %bb.109:                              ;   in Loop: Header=BB166_12 Depth=1
	s_delay_alu instid0(VALU_DEP_2) | instskip(NEXT) | instid1(VALU_DEP_1)
	v_clz_i32_u32_e32 v58, v32
	v_min_u32_e32 v58, 32, v58
	s_delay_alu instid0(VALU_DEP_1) | instskip(SKIP_1) | instid1(VALU_DEP_2)
	v_subrev_nc_u32_e32 v61, 28, v58
	v_sub_nc_u32_e32 v58, 29, v58
	v_lshlrev_b64_e32 v[62:63], v61, v[32:33]
	s_delay_alu instid0(VALU_DEP_1)
	v_and_b32_e32 v32, 7, v62
; %bb.110:                              ;   in Loop: Header=BB166_12 Depth=1
	s_or_b32 exec_lo, exec_lo, s45
	v_lshlrev_b32_e32 v60, 24, v60
	s_delay_alu instid0(VALU_DEP_2) | instskip(SKIP_1) | instid1(VALU_DEP_3)
	v_lshlrev_b32_e32 v32, 20, v32
	v_lshl_add_u32 v58, v58, 23, 0x3c000000
	v_and_b32_e32 v60, 0x80000000, v60
	s_delay_alu instid0(VALU_DEP_1)
	v_or3_b32 v58, v32, v60, v58
.LBB166_111:                            ;   in Loop: Header=BB166_12 Depth=1
	s_or_b32 exec_lo, exec_lo, s44
.LBB166_112:                            ;   in Loop: Header=BB166_12 Depth=1
	s_delay_alu instid0(SALU_CYCLE_1)
	s_or_b32 exec_lo, exec_lo, s43
.LBB166_113:                            ;   in Loop: Header=BB166_12 Depth=1
	s_delay_alu instid0(SALU_CYCLE_1)
	s_or_b32 exec_lo, exec_lo, s42
	global_load_u8 v62, v[40:41], off offset:384
	v_dual_mov_b32 v60, 0 :: v_dual_mov_b32 v61, 0
	s_mov_b32 s42, exec_lo
	s_wait_loadcnt 0x0
	v_cmpx_ne_u16_e32 0, v62
	s_cbranch_execz .LBB166_121
; %bb.114:                              ;   in Loop: Header=BB166_12 Depth=1
	v_bfrev_b32_e32 v61, 1
	s_mov_b32 s43, exec_lo
	v_cmpx_ne_u16_e32 0x80, v62
	s_cbranch_execz .LBB166_120
; %bb.115:                              ;   in Loop: Header=BB166_12 Depth=1
	v_and_b32_e32 v32, 0xffff, v62
	v_mov_b32_e32 v61, 0x7f800001
	s_mov_b32 s44, exec_lo
	s_delay_alu instid0(VALU_DEP_2) | instskip(NEXT) | instid1(VALU_DEP_1)
	v_and_b32_e32 v63, 0x7f, v32
	v_cmpx_ne_u32_e32 0x7f, v63
	s_cbranch_execz .LBB166_119
; %bb.116:                              ;   in Loop: Header=BB166_12 Depth=1
	v_dual_lshrrev_b32 v61, 3, v63 :: v_dual_bitop2_b32 v32, 7, v32 bitop3:0x40
	s_mov_b32 s45, exec_lo
	v_cmpx_gt_u32_e32 8, v63
; %bb.117:                              ;   in Loop: Header=BB166_12 Depth=1
	s_delay_alu instid0(VALU_DEP_2) | instskip(NEXT) | instid1(VALU_DEP_1)
	v_clz_i32_u32_e32 v61, v32
	v_min_u32_e32 v61, 32, v61
	s_delay_alu instid0(VALU_DEP_1) | instskip(NEXT) | instid1(VALU_DEP_1)
	v_subrev_nc_u32_e32 v63, 28, v61
	v_lshlrev_b64_e32 v[64:65], v63, v[32:33]
	s_delay_alu instid0(VALU_DEP_1)
	v_dual_sub_nc_u32 v61, 29, v61 :: v_dual_bitop2_b32 v32, 7, v64 bitop3:0x40
; %bb.118:                              ;   in Loop: Header=BB166_12 Depth=1
	s_or_b32 exec_lo, exec_lo, s45
	s_delay_alu instid0(VALU_DEP_1) | instskip(NEXT) | instid1(VALU_DEP_2)
	v_dual_lshlrev_b32 v62, 24, v62 :: v_dual_lshlrev_b32 v32, 20, v32
	v_lshl_add_u32 v61, v61, 23, 0x3c000000
	s_delay_alu instid0(VALU_DEP_2) | instskip(NEXT) | instid1(VALU_DEP_1)
	v_and_b32_e32 v62, 0x80000000, v62
	v_or3_b32 v61, v32, v62, v61
.LBB166_119:                            ;   in Loop: Header=BB166_12 Depth=1
	s_or_b32 exec_lo, exec_lo, s44
.LBB166_120:                            ;   in Loop: Header=BB166_12 Depth=1
	s_delay_alu instid0(SALU_CYCLE_1)
	s_or_b32 exec_lo, exec_lo, s43
.LBB166_121:                            ;   in Loop: Header=BB166_12 Depth=1
	s_delay_alu instid0(SALU_CYCLE_1)
	s_or_b32 exec_lo, exec_lo, s42
	global_load_u8 v62, v[40:41], off offset:388
	s_mov_b32 s42, exec_lo
	s_wait_loadcnt 0x0
	v_cmpx_ne_u16_e32 0, v62
	s_cbranch_execz .LBB166_129
; %bb.122:                              ;   in Loop: Header=BB166_12 Depth=1
	v_bfrev_b32_e32 v60, 1
	s_mov_b32 s43, exec_lo
	v_cmpx_ne_u16_e32 0x80, v62
	s_cbranch_execz .LBB166_128
; %bb.123:                              ;   in Loop: Header=BB166_12 Depth=1
	v_and_b32_e32 v32, 0xffff, v62
	v_mov_b32_e32 v60, 0x7f800001
	s_mov_b32 s44, exec_lo
	s_delay_alu instid0(VALU_DEP_2) | instskip(NEXT) | instid1(VALU_DEP_1)
	v_and_b32_e32 v63, 0x7f, v32
	v_cmpx_ne_u32_e32 0x7f, v63
	s_cbranch_execz .LBB166_127
; %bb.124:                              ;   in Loop: Header=BB166_12 Depth=1
	v_dual_lshrrev_b32 v60, 3, v63 :: v_dual_bitop2_b32 v32, 7, v32 bitop3:0x40
	s_mov_b32 s45, exec_lo
	v_cmpx_gt_u32_e32 8, v63
; %bb.125:                              ;   in Loop: Header=BB166_12 Depth=1
	s_delay_alu instid0(VALU_DEP_2) | instskip(NEXT) | instid1(VALU_DEP_1)
	v_clz_i32_u32_e32 v60, v32
	v_min_u32_e32 v60, 32, v60
	s_delay_alu instid0(VALU_DEP_1) | instskip(SKIP_1) | instid1(VALU_DEP_2)
	v_subrev_nc_u32_e32 v63, 28, v60
	v_sub_nc_u32_e32 v60, 29, v60
	v_lshlrev_b64_e32 v[64:65], v63, v[32:33]
	s_delay_alu instid0(VALU_DEP_1)
	v_and_b32_e32 v32, 7, v64
; %bb.126:                              ;   in Loop: Header=BB166_12 Depth=1
	s_or_b32 exec_lo, exec_lo, s45
	s_delay_alu instid0(VALU_DEP_1) | instskip(SKIP_1) | instid1(VALU_DEP_2)
	v_dual_lshlrev_b32 v62, 24, v62 :: v_dual_lshlrev_b32 v32, 20, v32
	v_lshl_add_u32 v60, v60, 23, 0x3c000000
	v_and_b32_e32 v62, 0x80000000, v62
	s_delay_alu instid0(VALU_DEP_1)
	v_or3_b32 v60, v32, v62, v60
.LBB166_127:                            ;   in Loop: Header=BB166_12 Depth=1
	s_or_b32 exec_lo, exec_lo, s44
.LBB166_128:                            ;   in Loop: Header=BB166_12 Depth=1
	s_delay_alu instid0(SALU_CYCLE_1)
	s_or_b32 exec_lo, exec_lo, s43
.LBB166_129:                            ;   in Loop: Header=BB166_12 Depth=1
	s_delay_alu instid0(SALU_CYCLE_1)
	s_or_b32 exec_lo, exec_lo, s42
	global_load_u8 v64, v[40:41], off offset:392
	v_dual_mov_b32 v62, 0 :: v_dual_mov_b32 v63, 0
	s_mov_b32 s42, exec_lo
	s_wait_loadcnt 0x0
	v_cmpx_ne_u16_e32 0, v64
	s_cbranch_execz .LBB166_137
; %bb.130:                              ;   in Loop: Header=BB166_12 Depth=1
	v_bfrev_b32_e32 v63, 1
	s_mov_b32 s43, exec_lo
	v_cmpx_ne_u16_e32 0x80, v64
	s_cbranch_execz .LBB166_136
; %bb.131:                              ;   in Loop: Header=BB166_12 Depth=1
	v_and_b32_e32 v32, 0xffff, v64
	v_mov_b32_e32 v63, 0x7f800001
	s_mov_b32 s44, exec_lo
	s_delay_alu instid0(VALU_DEP_2) | instskip(NEXT) | instid1(VALU_DEP_1)
	v_and_b32_e32 v65, 0x7f, v32
	v_cmpx_ne_u32_e32 0x7f, v65
	s_cbranch_execz .LBB166_135
; %bb.132:                              ;   in Loop: Header=BB166_12 Depth=1
	v_dual_lshrrev_b32 v63, 3, v65 :: v_dual_bitop2_b32 v32, 7, v32 bitop3:0x40
	s_mov_b32 s45, exec_lo
	v_cmpx_gt_u32_e32 8, v65
; %bb.133:                              ;   in Loop: Header=BB166_12 Depth=1
	s_delay_alu instid0(VALU_DEP_2) | instskip(NEXT) | instid1(VALU_DEP_1)
	v_clz_i32_u32_e32 v63, v32
	v_min_u32_e32 v63, 32, v63
	s_delay_alu instid0(VALU_DEP_1) | instskip(NEXT) | instid1(VALU_DEP_1)
	v_subrev_nc_u32_e32 v65, 28, v63
	v_lshlrev_b64_e32 v[66:67], v65, v[32:33]
	s_delay_alu instid0(VALU_DEP_1)
	v_dual_sub_nc_u32 v63, 29, v63 :: v_dual_bitop2_b32 v32, 7, v66 bitop3:0x40
; %bb.134:                              ;   in Loop: Header=BB166_12 Depth=1
	s_or_b32 exec_lo, exec_lo, s45
	v_lshlrev_b32_e32 v64, 24, v64
	s_delay_alu instid0(VALU_DEP_2) | instskip(NEXT) | instid1(VALU_DEP_3)
	v_lshlrev_b32_e32 v32, 20, v32
	v_lshl_add_u32 v63, v63, 23, 0x3c000000
	s_delay_alu instid0(VALU_DEP_3) | instskip(NEXT) | instid1(VALU_DEP_1)
	v_and_b32_e32 v64, 0x80000000, v64
	v_or3_b32 v63, v32, v64, v63
.LBB166_135:                            ;   in Loop: Header=BB166_12 Depth=1
	s_or_b32 exec_lo, exec_lo, s44
.LBB166_136:                            ;   in Loop: Header=BB166_12 Depth=1
	s_delay_alu instid0(SALU_CYCLE_1)
	s_or_b32 exec_lo, exec_lo, s43
.LBB166_137:                            ;   in Loop: Header=BB166_12 Depth=1
	s_delay_alu instid0(SALU_CYCLE_1)
	s_or_b32 exec_lo, exec_lo, s42
	global_load_u8 v64, v[40:41], off offset:396
	s_mov_b32 s42, exec_lo
	s_wait_loadcnt 0x0
	v_cmpx_ne_u16_e32 0, v64
	s_cbranch_execz .LBB166_145
; %bb.138:                              ;   in Loop: Header=BB166_12 Depth=1
	v_bfrev_b32_e32 v62, 1
	s_mov_b32 s43, exec_lo
	v_cmpx_ne_u16_e32 0x80, v64
	s_cbranch_execz .LBB166_144
; %bb.139:                              ;   in Loop: Header=BB166_12 Depth=1
	v_and_b32_e32 v32, 0xffff, v64
	v_mov_b32_e32 v62, 0x7f800001
	s_mov_b32 s44, exec_lo
	s_delay_alu instid0(VALU_DEP_2) | instskip(NEXT) | instid1(VALU_DEP_1)
	v_and_b32_e32 v65, 0x7f, v32
	v_cmpx_ne_u32_e32 0x7f, v65
	s_cbranch_execz .LBB166_143
; %bb.140:                              ;   in Loop: Header=BB166_12 Depth=1
	v_dual_lshrrev_b32 v62, 3, v65 :: v_dual_bitop2_b32 v32, 7, v32 bitop3:0x40
	s_mov_b32 s45, exec_lo
	v_cmpx_gt_u32_e32 8, v65
; %bb.141:                              ;   in Loop: Header=BB166_12 Depth=1
	s_delay_alu instid0(VALU_DEP_2) | instskip(NEXT) | instid1(VALU_DEP_1)
	v_clz_i32_u32_e32 v62, v32
	v_min_u32_e32 v62, 32, v62
	s_delay_alu instid0(VALU_DEP_1) | instskip(SKIP_1) | instid1(VALU_DEP_2)
	v_subrev_nc_u32_e32 v65, 28, v62
	v_sub_nc_u32_e32 v62, 29, v62
	v_lshlrev_b64_e32 v[66:67], v65, v[32:33]
	s_delay_alu instid0(VALU_DEP_1)
	v_and_b32_e32 v32, 7, v66
; %bb.142:                              ;   in Loop: Header=BB166_12 Depth=1
	s_or_b32 exec_lo, exec_lo, s45
	v_lshlrev_b32_e32 v64, 24, v64
	s_delay_alu instid0(VALU_DEP_2) | instskip(SKIP_1) | instid1(VALU_DEP_3)
	v_lshlrev_b32_e32 v32, 20, v32
	v_lshl_add_u32 v62, v62, 23, 0x3c000000
	v_and_b32_e32 v64, 0x80000000, v64
	s_delay_alu instid0(VALU_DEP_1)
	v_or3_b32 v62, v32, v64, v62
.LBB166_143:                            ;   in Loop: Header=BB166_12 Depth=1
	s_or_b32 exec_lo, exec_lo, s44
.LBB166_144:                            ;   in Loop: Header=BB166_12 Depth=1
	s_delay_alu instid0(SALU_CYCLE_1)
	s_or_b32 exec_lo, exec_lo, s43
.LBB166_145:                            ;   in Loop: Header=BB166_12 Depth=1
	s_delay_alu instid0(SALU_CYCLE_1)
	s_or_b32 exec_lo, exec_lo, s42
	global_load_u8 v66, v[40:41], off offset:512
	v_dual_mov_b32 v64, 0 :: v_dual_mov_b32 v65, 0
	s_mov_b32 s42, exec_lo
	s_wait_loadcnt 0x0
	v_cmpx_ne_u16_e32 0, v66
	s_cbranch_execz .LBB166_153
; %bb.146:                              ;   in Loop: Header=BB166_12 Depth=1
	v_bfrev_b32_e32 v65, 1
	s_mov_b32 s43, exec_lo
	v_cmpx_ne_u16_e32 0x80, v66
	s_cbranch_execz .LBB166_152
; %bb.147:                              ;   in Loop: Header=BB166_12 Depth=1
	v_and_b32_e32 v32, 0xffff, v66
	v_mov_b32_e32 v65, 0x7f800001
	s_mov_b32 s44, exec_lo
	s_delay_alu instid0(VALU_DEP_2) | instskip(NEXT) | instid1(VALU_DEP_1)
	v_and_b32_e32 v67, 0x7f, v32
	v_cmpx_ne_u32_e32 0x7f, v67
	s_cbranch_execz .LBB166_151
; %bb.148:                              ;   in Loop: Header=BB166_12 Depth=1
	v_dual_lshrrev_b32 v65, 3, v67 :: v_dual_bitop2_b32 v32, 7, v32 bitop3:0x40
	s_mov_b32 s45, exec_lo
	v_cmpx_gt_u32_e32 8, v67
; %bb.149:                              ;   in Loop: Header=BB166_12 Depth=1
	s_delay_alu instid0(VALU_DEP_2) | instskip(NEXT) | instid1(VALU_DEP_1)
	v_clz_i32_u32_e32 v65, v32
	v_min_u32_e32 v65, 32, v65
	s_delay_alu instid0(VALU_DEP_1) | instskip(NEXT) | instid1(VALU_DEP_1)
	v_subrev_nc_u32_e32 v67, 28, v65
	v_lshlrev_b64_e32 v[68:69], v67, v[32:33]
	s_delay_alu instid0(VALU_DEP_1)
	v_dual_sub_nc_u32 v65, 29, v65 :: v_dual_bitop2_b32 v32, 7, v68 bitop3:0x40
; %bb.150:                              ;   in Loop: Header=BB166_12 Depth=1
	s_or_b32 exec_lo, exec_lo, s45
	s_delay_alu instid0(VALU_DEP_1) | instskip(NEXT) | instid1(VALU_DEP_2)
	v_dual_lshlrev_b32 v66, 24, v66 :: v_dual_lshlrev_b32 v32, 20, v32
	v_lshl_add_u32 v65, v65, 23, 0x3c000000
	s_delay_alu instid0(VALU_DEP_2) | instskip(NEXT) | instid1(VALU_DEP_1)
	v_and_b32_e32 v66, 0x80000000, v66
	v_or3_b32 v65, v32, v66, v65
.LBB166_151:                            ;   in Loop: Header=BB166_12 Depth=1
	s_or_b32 exec_lo, exec_lo, s44
.LBB166_152:                            ;   in Loop: Header=BB166_12 Depth=1
	s_delay_alu instid0(SALU_CYCLE_1)
	s_or_b32 exec_lo, exec_lo, s43
.LBB166_153:                            ;   in Loop: Header=BB166_12 Depth=1
	s_delay_alu instid0(SALU_CYCLE_1)
	s_or_b32 exec_lo, exec_lo, s42
	global_load_u8 v66, v[40:41], off offset:516
	s_mov_b32 s42, exec_lo
	s_wait_loadcnt 0x0
	v_cmpx_ne_u16_e32 0, v66
	s_cbranch_execz .LBB166_161
; %bb.154:                              ;   in Loop: Header=BB166_12 Depth=1
	v_bfrev_b32_e32 v64, 1
	s_mov_b32 s43, exec_lo
	v_cmpx_ne_u16_e32 0x80, v66
	s_cbranch_execz .LBB166_160
; %bb.155:                              ;   in Loop: Header=BB166_12 Depth=1
	v_and_b32_e32 v32, 0xffff, v66
	v_mov_b32_e32 v64, 0x7f800001
	s_mov_b32 s44, exec_lo
	s_delay_alu instid0(VALU_DEP_2) | instskip(NEXT) | instid1(VALU_DEP_1)
	v_and_b32_e32 v67, 0x7f, v32
	v_cmpx_ne_u32_e32 0x7f, v67
	s_cbranch_execz .LBB166_159
; %bb.156:                              ;   in Loop: Header=BB166_12 Depth=1
	v_dual_lshrrev_b32 v64, 3, v67 :: v_dual_bitop2_b32 v32, 7, v32 bitop3:0x40
	s_mov_b32 s45, exec_lo
	v_cmpx_gt_u32_e32 8, v67
; %bb.157:                              ;   in Loop: Header=BB166_12 Depth=1
	s_delay_alu instid0(VALU_DEP_2) | instskip(NEXT) | instid1(VALU_DEP_1)
	v_clz_i32_u32_e32 v64, v32
	v_min_u32_e32 v64, 32, v64
	s_delay_alu instid0(VALU_DEP_1) | instskip(SKIP_1) | instid1(VALU_DEP_2)
	v_subrev_nc_u32_e32 v67, 28, v64
	v_sub_nc_u32_e32 v64, 29, v64
	v_lshlrev_b64_e32 v[68:69], v67, v[32:33]
	s_delay_alu instid0(VALU_DEP_1)
	v_and_b32_e32 v32, 7, v68
; %bb.158:                              ;   in Loop: Header=BB166_12 Depth=1
	s_or_b32 exec_lo, exec_lo, s45
	s_delay_alu instid0(VALU_DEP_1) | instskip(SKIP_1) | instid1(VALU_DEP_2)
	v_dual_lshlrev_b32 v66, 24, v66 :: v_dual_lshlrev_b32 v32, 20, v32
	v_lshl_add_u32 v64, v64, 23, 0x3c000000
	v_and_b32_e32 v66, 0x80000000, v66
	s_delay_alu instid0(VALU_DEP_1)
	v_or3_b32 v64, v32, v66, v64
.LBB166_159:                            ;   in Loop: Header=BB166_12 Depth=1
	s_or_b32 exec_lo, exec_lo, s44
.LBB166_160:                            ;   in Loop: Header=BB166_12 Depth=1
	s_delay_alu instid0(SALU_CYCLE_1)
	s_or_b32 exec_lo, exec_lo, s43
.LBB166_161:                            ;   in Loop: Header=BB166_12 Depth=1
	s_delay_alu instid0(SALU_CYCLE_1)
	s_or_b32 exec_lo, exec_lo, s42
	global_load_u8 v68, v[40:41], off offset:520
	v_dual_mov_b32 v66, 0 :: v_dual_mov_b32 v67, 0
	s_mov_b32 s42, exec_lo
	s_wait_loadcnt 0x0
	v_cmpx_ne_u16_e32 0, v68
	s_cbranch_execz .LBB166_169
; %bb.162:                              ;   in Loop: Header=BB166_12 Depth=1
	v_bfrev_b32_e32 v67, 1
	s_mov_b32 s43, exec_lo
	v_cmpx_ne_u16_e32 0x80, v68
	s_cbranch_execz .LBB166_168
; %bb.163:                              ;   in Loop: Header=BB166_12 Depth=1
	v_and_b32_e32 v32, 0xffff, v68
	v_mov_b32_e32 v67, 0x7f800001
	s_mov_b32 s44, exec_lo
	s_delay_alu instid0(VALU_DEP_2) | instskip(NEXT) | instid1(VALU_DEP_1)
	v_and_b32_e32 v69, 0x7f, v32
	v_cmpx_ne_u32_e32 0x7f, v69
	s_cbranch_execz .LBB166_167
; %bb.164:                              ;   in Loop: Header=BB166_12 Depth=1
	v_dual_lshrrev_b32 v67, 3, v69 :: v_dual_bitop2_b32 v32, 7, v32 bitop3:0x40
	s_mov_b32 s45, exec_lo
	v_cmpx_gt_u32_e32 8, v69
; %bb.165:                              ;   in Loop: Header=BB166_12 Depth=1
	s_delay_alu instid0(VALU_DEP_2) | instskip(NEXT) | instid1(VALU_DEP_1)
	v_clz_i32_u32_e32 v67, v32
	v_min_u32_e32 v67, 32, v67
	s_delay_alu instid0(VALU_DEP_1) | instskip(NEXT) | instid1(VALU_DEP_1)
	v_subrev_nc_u32_e32 v69, 28, v67
	v_lshlrev_b64_e32 v[70:71], v69, v[32:33]
	s_delay_alu instid0(VALU_DEP_1)
	v_dual_sub_nc_u32 v67, 29, v67 :: v_dual_bitop2_b32 v32, 7, v70 bitop3:0x40
; %bb.166:                              ;   in Loop: Header=BB166_12 Depth=1
	s_or_b32 exec_lo, exec_lo, s45
	v_lshlrev_b32_e32 v68, 24, v68
	s_delay_alu instid0(VALU_DEP_2) | instskip(NEXT) | instid1(VALU_DEP_3)
	v_lshlrev_b32_e32 v32, 20, v32
	v_lshl_add_u32 v67, v67, 23, 0x3c000000
	s_delay_alu instid0(VALU_DEP_3) | instskip(NEXT) | instid1(VALU_DEP_1)
	v_and_b32_e32 v68, 0x80000000, v68
	v_or3_b32 v67, v32, v68, v67
.LBB166_167:                            ;   in Loop: Header=BB166_12 Depth=1
	s_or_b32 exec_lo, exec_lo, s44
.LBB166_168:                            ;   in Loop: Header=BB166_12 Depth=1
	s_delay_alu instid0(SALU_CYCLE_1)
	s_or_b32 exec_lo, exec_lo, s43
.LBB166_169:                            ;   in Loop: Header=BB166_12 Depth=1
	s_delay_alu instid0(SALU_CYCLE_1)
	s_or_b32 exec_lo, exec_lo, s42
	global_load_u8 v68, v[40:41], off offset:524
	s_mov_b32 s42, exec_lo
	s_wait_loadcnt 0x0
	v_cmpx_ne_u16_e32 0, v68
	s_cbranch_execz .LBB166_177
; %bb.170:                              ;   in Loop: Header=BB166_12 Depth=1
	v_bfrev_b32_e32 v66, 1
	s_mov_b32 s43, exec_lo
	v_cmpx_ne_u16_e32 0x80, v68
	s_cbranch_execz .LBB166_176
; %bb.171:                              ;   in Loop: Header=BB166_12 Depth=1
	v_and_b32_e32 v32, 0xffff, v68
	v_mov_b32_e32 v66, 0x7f800001
	s_mov_b32 s44, exec_lo
	s_delay_alu instid0(VALU_DEP_2) | instskip(NEXT) | instid1(VALU_DEP_1)
	v_and_b32_e32 v69, 0x7f, v32
	v_cmpx_ne_u32_e32 0x7f, v69
	s_cbranch_execz .LBB166_175
; %bb.172:                              ;   in Loop: Header=BB166_12 Depth=1
	v_dual_lshrrev_b32 v66, 3, v69 :: v_dual_bitop2_b32 v32, 7, v32 bitop3:0x40
	s_mov_b32 s45, exec_lo
	v_cmpx_gt_u32_e32 8, v69
; %bb.173:                              ;   in Loop: Header=BB166_12 Depth=1
	s_delay_alu instid0(VALU_DEP_2) | instskip(NEXT) | instid1(VALU_DEP_1)
	v_clz_i32_u32_e32 v66, v32
	v_min_u32_e32 v66, 32, v66
	s_delay_alu instid0(VALU_DEP_1) | instskip(SKIP_1) | instid1(VALU_DEP_2)
	v_subrev_nc_u32_e32 v69, 28, v66
	v_sub_nc_u32_e32 v66, 29, v66
	v_lshlrev_b64_e32 v[70:71], v69, v[32:33]
	s_delay_alu instid0(VALU_DEP_1)
	v_and_b32_e32 v32, 7, v70
; %bb.174:                              ;   in Loop: Header=BB166_12 Depth=1
	s_or_b32 exec_lo, exec_lo, s45
	v_lshlrev_b32_e32 v68, 24, v68
	s_delay_alu instid0(VALU_DEP_2) | instskip(SKIP_1) | instid1(VALU_DEP_3)
	v_lshlrev_b32_e32 v32, 20, v32
	v_lshl_add_u32 v66, v66, 23, 0x3c000000
	v_and_b32_e32 v68, 0x80000000, v68
	s_delay_alu instid0(VALU_DEP_1)
	v_or3_b32 v66, v32, v68, v66
.LBB166_175:                            ;   in Loop: Header=BB166_12 Depth=1
	s_or_b32 exec_lo, exec_lo, s44
.LBB166_176:                            ;   in Loop: Header=BB166_12 Depth=1
	s_delay_alu instid0(SALU_CYCLE_1)
	s_or_b32 exec_lo, exec_lo, s43
.LBB166_177:                            ;   in Loop: Header=BB166_12 Depth=1
	s_delay_alu instid0(SALU_CYCLE_1)
	s_or_b32 exec_lo, exec_lo, s42
	global_load_u8 v70, v[40:41], off offset:640
	v_dual_mov_b32 v68, 0 :: v_dual_mov_b32 v69, 0
	s_mov_b32 s42, exec_lo
	s_wait_loadcnt 0x0
	v_cmpx_ne_u16_e32 0, v70
	s_cbranch_execz .LBB166_185
; %bb.178:                              ;   in Loop: Header=BB166_12 Depth=1
	v_bfrev_b32_e32 v69, 1
	s_mov_b32 s43, exec_lo
	v_cmpx_ne_u16_e32 0x80, v70
	s_cbranch_execz .LBB166_184
; %bb.179:                              ;   in Loop: Header=BB166_12 Depth=1
	v_and_b32_e32 v32, 0xffff, v70
	v_mov_b32_e32 v69, 0x7f800001
	s_mov_b32 s44, exec_lo
	s_delay_alu instid0(VALU_DEP_2) | instskip(NEXT) | instid1(VALU_DEP_1)
	v_and_b32_e32 v71, 0x7f, v32
	v_cmpx_ne_u32_e32 0x7f, v71
	s_cbranch_execz .LBB166_183
; %bb.180:                              ;   in Loop: Header=BB166_12 Depth=1
	v_dual_lshrrev_b32 v69, 3, v71 :: v_dual_bitop2_b32 v32, 7, v32 bitop3:0x40
	s_mov_b32 s45, exec_lo
	v_cmpx_gt_u32_e32 8, v71
; %bb.181:                              ;   in Loop: Header=BB166_12 Depth=1
	s_delay_alu instid0(VALU_DEP_2) | instskip(NEXT) | instid1(VALU_DEP_1)
	v_clz_i32_u32_e32 v69, v32
	v_min_u32_e32 v69, 32, v69
	s_delay_alu instid0(VALU_DEP_1) | instskip(NEXT) | instid1(VALU_DEP_1)
	v_subrev_nc_u32_e32 v71, 28, v69
	v_lshlrev_b64_e32 v[72:73], v71, v[32:33]
	s_delay_alu instid0(VALU_DEP_1)
	v_dual_sub_nc_u32 v69, 29, v69 :: v_dual_bitop2_b32 v32, 7, v72 bitop3:0x40
; %bb.182:                              ;   in Loop: Header=BB166_12 Depth=1
	s_or_b32 exec_lo, exec_lo, s45
	s_delay_alu instid0(VALU_DEP_1) | instskip(NEXT) | instid1(VALU_DEP_2)
	v_dual_lshlrev_b32 v70, 24, v70 :: v_dual_lshlrev_b32 v32, 20, v32
	v_lshl_add_u32 v69, v69, 23, 0x3c000000
	s_delay_alu instid0(VALU_DEP_2) | instskip(NEXT) | instid1(VALU_DEP_1)
	v_and_b32_e32 v70, 0x80000000, v70
	v_or3_b32 v69, v32, v70, v69
.LBB166_183:                            ;   in Loop: Header=BB166_12 Depth=1
	s_or_b32 exec_lo, exec_lo, s44
.LBB166_184:                            ;   in Loop: Header=BB166_12 Depth=1
	s_delay_alu instid0(SALU_CYCLE_1)
	s_or_b32 exec_lo, exec_lo, s43
.LBB166_185:                            ;   in Loop: Header=BB166_12 Depth=1
	s_delay_alu instid0(SALU_CYCLE_1)
	s_or_b32 exec_lo, exec_lo, s42
	global_load_u8 v70, v[40:41], off offset:644
	s_mov_b32 s42, exec_lo
	s_wait_loadcnt 0x0
	v_cmpx_ne_u16_e32 0, v70
	s_cbranch_execz .LBB166_193
; %bb.186:                              ;   in Loop: Header=BB166_12 Depth=1
	v_bfrev_b32_e32 v68, 1
	s_mov_b32 s43, exec_lo
	v_cmpx_ne_u16_e32 0x80, v70
	s_cbranch_execz .LBB166_192
; %bb.187:                              ;   in Loop: Header=BB166_12 Depth=1
	v_and_b32_e32 v32, 0xffff, v70
	v_mov_b32_e32 v68, 0x7f800001
	s_mov_b32 s44, exec_lo
	s_delay_alu instid0(VALU_DEP_2) | instskip(NEXT) | instid1(VALU_DEP_1)
	v_and_b32_e32 v71, 0x7f, v32
	v_cmpx_ne_u32_e32 0x7f, v71
	s_cbranch_execz .LBB166_191
; %bb.188:                              ;   in Loop: Header=BB166_12 Depth=1
	v_dual_lshrrev_b32 v68, 3, v71 :: v_dual_bitop2_b32 v32, 7, v32 bitop3:0x40
	s_mov_b32 s45, exec_lo
	v_cmpx_gt_u32_e32 8, v71
; %bb.189:                              ;   in Loop: Header=BB166_12 Depth=1
	s_delay_alu instid0(VALU_DEP_2) | instskip(NEXT) | instid1(VALU_DEP_1)
	v_clz_i32_u32_e32 v68, v32
	v_min_u32_e32 v68, 32, v68
	s_delay_alu instid0(VALU_DEP_1) | instskip(SKIP_1) | instid1(VALU_DEP_2)
	v_subrev_nc_u32_e32 v71, 28, v68
	v_sub_nc_u32_e32 v68, 29, v68
	v_lshlrev_b64_e32 v[72:73], v71, v[32:33]
	s_delay_alu instid0(VALU_DEP_1)
	v_and_b32_e32 v32, 7, v72
; %bb.190:                              ;   in Loop: Header=BB166_12 Depth=1
	s_or_b32 exec_lo, exec_lo, s45
	s_delay_alu instid0(VALU_DEP_1) | instskip(SKIP_1) | instid1(VALU_DEP_2)
	v_dual_lshlrev_b32 v70, 24, v70 :: v_dual_lshlrev_b32 v32, 20, v32
	v_lshl_add_u32 v68, v68, 23, 0x3c000000
	v_and_b32_e32 v70, 0x80000000, v70
	s_delay_alu instid0(VALU_DEP_1)
	v_or3_b32 v68, v32, v70, v68
.LBB166_191:                            ;   in Loop: Header=BB166_12 Depth=1
	s_or_b32 exec_lo, exec_lo, s44
.LBB166_192:                            ;   in Loop: Header=BB166_12 Depth=1
	s_delay_alu instid0(SALU_CYCLE_1)
	s_or_b32 exec_lo, exec_lo, s43
.LBB166_193:                            ;   in Loop: Header=BB166_12 Depth=1
	s_delay_alu instid0(SALU_CYCLE_1)
	s_or_b32 exec_lo, exec_lo, s42
	global_load_u8 v72, v[40:41], off offset:648
	v_dual_mov_b32 v70, 0 :: v_dual_mov_b32 v71, 0
	s_mov_b32 s42, exec_lo
	s_wait_loadcnt 0x0
	v_cmpx_ne_u16_e32 0, v72
	s_cbranch_execz .LBB166_201
; %bb.194:                              ;   in Loop: Header=BB166_12 Depth=1
	v_bfrev_b32_e32 v71, 1
	s_mov_b32 s43, exec_lo
	v_cmpx_ne_u16_e32 0x80, v72
	s_cbranch_execz .LBB166_200
; %bb.195:                              ;   in Loop: Header=BB166_12 Depth=1
	v_and_b32_e32 v32, 0xffff, v72
	v_mov_b32_e32 v71, 0x7f800001
	s_mov_b32 s44, exec_lo
	s_delay_alu instid0(VALU_DEP_2) | instskip(NEXT) | instid1(VALU_DEP_1)
	v_and_b32_e32 v73, 0x7f, v32
	v_cmpx_ne_u32_e32 0x7f, v73
	s_cbranch_execz .LBB166_199
; %bb.196:                              ;   in Loop: Header=BB166_12 Depth=1
	v_dual_lshrrev_b32 v71, 3, v73 :: v_dual_bitop2_b32 v32, 7, v32 bitop3:0x40
	s_mov_b32 s45, exec_lo
	v_cmpx_gt_u32_e32 8, v73
; %bb.197:                              ;   in Loop: Header=BB166_12 Depth=1
	s_delay_alu instid0(VALU_DEP_2) | instskip(NEXT) | instid1(VALU_DEP_1)
	v_clz_i32_u32_e32 v71, v32
	v_min_u32_e32 v71, 32, v71
	s_delay_alu instid0(VALU_DEP_1) | instskip(NEXT) | instid1(VALU_DEP_1)
	v_subrev_nc_u32_e32 v73, 28, v71
	v_lshlrev_b64_e32 v[74:75], v73, v[32:33]
	s_delay_alu instid0(VALU_DEP_1)
	v_dual_sub_nc_u32 v71, 29, v71 :: v_dual_bitop2_b32 v32, 7, v74 bitop3:0x40
; %bb.198:                              ;   in Loop: Header=BB166_12 Depth=1
	s_or_b32 exec_lo, exec_lo, s45
	v_lshlrev_b32_e32 v72, 24, v72
	s_delay_alu instid0(VALU_DEP_2) | instskip(NEXT) | instid1(VALU_DEP_3)
	v_lshlrev_b32_e32 v32, 20, v32
	v_lshl_add_u32 v71, v71, 23, 0x3c000000
	s_delay_alu instid0(VALU_DEP_3) | instskip(NEXT) | instid1(VALU_DEP_1)
	v_and_b32_e32 v72, 0x80000000, v72
	v_or3_b32 v71, v32, v72, v71
.LBB166_199:                            ;   in Loop: Header=BB166_12 Depth=1
	s_or_b32 exec_lo, exec_lo, s44
.LBB166_200:                            ;   in Loop: Header=BB166_12 Depth=1
	s_delay_alu instid0(SALU_CYCLE_1)
	s_or_b32 exec_lo, exec_lo, s43
.LBB166_201:                            ;   in Loop: Header=BB166_12 Depth=1
	s_delay_alu instid0(SALU_CYCLE_1)
	s_or_b32 exec_lo, exec_lo, s42
	global_load_u8 v72, v[40:41], off offset:652
	s_mov_b32 s42, exec_lo
	s_wait_loadcnt 0x0
	v_cmpx_ne_u16_e32 0, v72
	s_cbranch_execz .LBB166_209
; %bb.202:                              ;   in Loop: Header=BB166_12 Depth=1
	v_bfrev_b32_e32 v70, 1
	s_mov_b32 s43, exec_lo
	v_cmpx_ne_u16_e32 0x80, v72
	s_cbranch_execz .LBB166_208
; %bb.203:                              ;   in Loop: Header=BB166_12 Depth=1
	v_and_b32_e32 v32, 0xffff, v72
	v_mov_b32_e32 v70, 0x7f800001
	s_mov_b32 s44, exec_lo
	s_delay_alu instid0(VALU_DEP_2) | instskip(NEXT) | instid1(VALU_DEP_1)
	v_and_b32_e32 v73, 0x7f, v32
	v_cmpx_ne_u32_e32 0x7f, v73
	s_cbranch_execz .LBB166_207
; %bb.204:                              ;   in Loop: Header=BB166_12 Depth=1
	v_dual_lshrrev_b32 v70, 3, v73 :: v_dual_bitop2_b32 v32, 7, v32 bitop3:0x40
	s_mov_b32 s45, exec_lo
	v_cmpx_gt_u32_e32 8, v73
; %bb.205:                              ;   in Loop: Header=BB166_12 Depth=1
	s_delay_alu instid0(VALU_DEP_2) | instskip(NEXT) | instid1(VALU_DEP_1)
	v_clz_i32_u32_e32 v70, v32
	v_min_u32_e32 v70, 32, v70
	s_delay_alu instid0(VALU_DEP_1) | instskip(SKIP_1) | instid1(VALU_DEP_2)
	v_subrev_nc_u32_e32 v73, 28, v70
	v_sub_nc_u32_e32 v70, 29, v70
	v_lshlrev_b64_e32 v[74:75], v73, v[32:33]
	s_delay_alu instid0(VALU_DEP_1)
	v_and_b32_e32 v32, 7, v74
; %bb.206:                              ;   in Loop: Header=BB166_12 Depth=1
	s_or_b32 exec_lo, exec_lo, s45
	v_lshlrev_b32_e32 v72, 24, v72
	s_delay_alu instid0(VALU_DEP_2) | instskip(SKIP_1) | instid1(VALU_DEP_3)
	v_lshlrev_b32_e32 v32, 20, v32
	v_lshl_add_u32 v70, v70, 23, 0x3c000000
	v_and_b32_e32 v72, 0x80000000, v72
	s_delay_alu instid0(VALU_DEP_1)
	v_or3_b32 v70, v32, v72, v70
.LBB166_207:                            ;   in Loop: Header=BB166_12 Depth=1
	s_or_b32 exec_lo, exec_lo, s44
.LBB166_208:                            ;   in Loop: Header=BB166_12 Depth=1
	s_delay_alu instid0(SALU_CYCLE_1)
	s_or_b32 exec_lo, exec_lo, s43
.LBB166_209:                            ;   in Loop: Header=BB166_12 Depth=1
	s_delay_alu instid0(SALU_CYCLE_1)
	s_or_b32 exec_lo, exec_lo, s42
	global_load_u8 v74, v[40:41], off offset:768
	v_dual_mov_b32 v72, 0 :: v_dual_mov_b32 v73, 0
	s_mov_b32 s42, exec_lo
	s_wait_loadcnt 0x0
	v_cmpx_ne_u16_e32 0, v74
	s_cbranch_execz .LBB166_217
; %bb.210:                              ;   in Loop: Header=BB166_12 Depth=1
	v_bfrev_b32_e32 v73, 1
	s_mov_b32 s43, exec_lo
	v_cmpx_ne_u16_e32 0x80, v74
	s_cbranch_execz .LBB166_216
; %bb.211:                              ;   in Loop: Header=BB166_12 Depth=1
	v_and_b32_e32 v32, 0xffff, v74
	v_mov_b32_e32 v73, 0x7f800001
	s_mov_b32 s44, exec_lo
	s_delay_alu instid0(VALU_DEP_2) | instskip(NEXT) | instid1(VALU_DEP_1)
	v_and_b32_e32 v75, 0x7f, v32
	v_cmpx_ne_u32_e32 0x7f, v75
	s_cbranch_execz .LBB166_215
; %bb.212:                              ;   in Loop: Header=BB166_12 Depth=1
	v_dual_lshrrev_b32 v73, 3, v75 :: v_dual_bitop2_b32 v32, 7, v32 bitop3:0x40
	s_mov_b32 s45, exec_lo
	v_cmpx_gt_u32_e32 8, v75
; %bb.213:                              ;   in Loop: Header=BB166_12 Depth=1
	s_delay_alu instid0(VALU_DEP_2) | instskip(NEXT) | instid1(VALU_DEP_1)
	v_clz_i32_u32_e32 v73, v32
	v_min_u32_e32 v73, 32, v73
	s_delay_alu instid0(VALU_DEP_1) | instskip(NEXT) | instid1(VALU_DEP_1)
	v_subrev_nc_u32_e32 v75, 28, v73
	v_lshlrev_b64_e32 v[76:77], v75, v[32:33]
	s_delay_alu instid0(VALU_DEP_1)
	v_dual_sub_nc_u32 v73, 29, v73 :: v_dual_bitop2_b32 v32, 7, v76 bitop3:0x40
; %bb.214:                              ;   in Loop: Header=BB166_12 Depth=1
	s_or_b32 exec_lo, exec_lo, s45
	s_delay_alu instid0(VALU_DEP_1) | instskip(NEXT) | instid1(VALU_DEP_2)
	v_dual_lshlrev_b32 v74, 24, v74 :: v_dual_lshlrev_b32 v32, 20, v32
	v_lshl_add_u32 v73, v73, 23, 0x3c000000
	s_delay_alu instid0(VALU_DEP_2) | instskip(NEXT) | instid1(VALU_DEP_1)
	v_and_b32_e32 v74, 0x80000000, v74
	v_or3_b32 v73, v32, v74, v73
.LBB166_215:                            ;   in Loop: Header=BB166_12 Depth=1
	s_or_b32 exec_lo, exec_lo, s44
.LBB166_216:                            ;   in Loop: Header=BB166_12 Depth=1
	s_delay_alu instid0(SALU_CYCLE_1)
	s_or_b32 exec_lo, exec_lo, s43
.LBB166_217:                            ;   in Loop: Header=BB166_12 Depth=1
	s_delay_alu instid0(SALU_CYCLE_1)
	s_or_b32 exec_lo, exec_lo, s42
	global_load_u8 v74, v[40:41], off offset:772
	s_mov_b32 s42, exec_lo
	s_wait_loadcnt 0x0
	v_cmpx_ne_u16_e32 0, v74
	s_cbranch_execz .LBB166_225
; %bb.218:                              ;   in Loop: Header=BB166_12 Depth=1
	v_bfrev_b32_e32 v72, 1
	s_mov_b32 s43, exec_lo
	v_cmpx_ne_u16_e32 0x80, v74
	s_cbranch_execz .LBB166_224
; %bb.219:                              ;   in Loop: Header=BB166_12 Depth=1
	v_and_b32_e32 v32, 0xffff, v74
	v_mov_b32_e32 v72, 0x7f800001
	s_mov_b32 s44, exec_lo
	s_delay_alu instid0(VALU_DEP_2) | instskip(NEXT) | instid1(VALU_DEP_1)
	v_and_b32_e32 v75, 0x7f, v32
	v_cmpx_ne_u32_e32 0x7f, v75
	s_cbranch_execz .LBB166_223
; %bb.220:                              ;   in Loop: Header=BB166_12 Depth=1
	v_dual_lshrrev_b32 v72, 3, v75 :: v_dual_bitop2_b32 v32, 7, v32 bitop3:0x40
	s_mov_b32 s45, exec_lo
	v_cmpx_gt_u32_e32 8, v75
; %bb.221:                              ;   in Loop: Header=BB166_12 Depth=1
	s_delay_alu instid0(VALU_DEP_2) | instskip(NEXT) | instid1(VALU_DEP_1)
	v_clz_i32_u32_e32 v72, v32
	v_min_u32_e32 v72, 32, v72
	s_delay_alu instid0(VALU_DEP_1) | instskip(SKIP_1) | instid1(VALU_DEP_2)
	v_subrev_nc_u32_e32 v75, 28, v72
	v_sub_nc_u32_e32 v72, 29, v72
	v_lshlrev_b64_e32 v[76:77], v75, v[32:33]
	s_delay_alu instid0(VALU_DEP_1)
	v_and_b32_e32 v32, 7, v76
; %bb.222:                              ;   in Loop: Header=BB166_12 Depth=1
	s_or_b32 exec_lo, exec_lo, s45
	s_delay_alu instid0(VALU_DEP_1) | instskip(SKIP_1) | instid1(VALU_DEP_2)
	v_dual_lshlrev_b32 v74, 24, v74 :: v_dual_lshlrev_b32 v32, 20, v32
	v_lshl_add_u32 v72, v72, 23, 0x3c000000
	v_and_b32_e32 v74, 0x80000000, v74
	s_delay_alu instid0(VALU_DEP_1)
	v_or3_b32 v72, v32, v74, v72
.LBB166_223:                            ;   in Loop: Header=BB166_12 Depth=1
	s_or_b32 exec_lo, exec_lo, s44
.LBB166_224:                            ;   in Loop: Header=BB166_12 Depth=1
	s_delay_alu instid0(SALU_CYCLE_1)
	s_or_b32 exec_lo, exec_lo, s43
.LBB166_225:                            ;   in Loop: Header=BB166_12 Depth=1
	s_delay_alu instid0(SALU_CYCLE_1)
	s_or_b32 exec_lo, exec_lo, s42
	global_load_u8 v76, v[40:41], off offset:776
	v_dual_mov_b32 v74, 0 :: v_dual_mov_b32 v75, 0
	s_mov_b32 s42, exec_lo
	s_wait_loadcnt 0x0
	v_cmpx_ne_u16_e32 0, v76
	s_cbranch_execz .LBB166_233
; %bb.226:                              ;   in Loop: Header=BB166_12 Depth=1
	v_bfrev_b32_e32 v75, 1
	s_mov_b32 s43, exec_lo
	v_cmpx_ne_u16_e32 0x80, v76
	s_cbranch_execz .LBB166_232
; %bb.227:                              ;   in Loop: Header=BB166_12 Depth=1
	v_and_b32_e32 v32, 0xffff, v76
	v_mov_b32_e32 v75, 0x7f800001
	s_mov_b32 s44, exec_lo
	s_delay_alu instid0(VALU_DEP_2) | instskip(NEXT) | instid1(VALU_DEP_1)
	v_and_b32_e32 v77, 0x7f, v32
	v_cmpx_ne_u32_e32 0x7f, v77
	s_cbranch_execz .LBB166_231
; %bb.228:                              ;   in Loop: Header=BB166_12 Depth=1
	v_dual_lshrrev_b32 v75, 3, v77 :: v_dual_bitop2_b32 v32, 7, v32 bitop3:0x40
	s_mov_b32 s45, exec_lo
	v_cmpx_gt_u32_e32 8, v77
; %bb.229:                              ;   in Loop: Header=BB166_12 Depth=1
	s_delay_alu instid0(VALU_DEP_2) | instskip(NEXT) | instid1(VALU_DEP_1)
	v_clz_i32_u32_e32 v75, v32
	v_min_u32_e32 v75, 32, v75
	s_delay_alu instid0(VALU_DEP_1) | instskip(NEXT) | instid1(VALU_DEP_1)
	v_subrev_nc_u32_e32 v77, 28, v75
	v_lshlrev_b64_e32 v[78:79], v77, v[32:33]
	s_delay_alu instid0(VALU_DEP_1)
	v_dual_sub_nc_u32 v75, 29, v75 :: v_dual_bitop2_b32 v32, 7, v78 bitop3:0x40
; %bb.230:                              ;   in Loop: Header=BB166_12 Depth=1
	s_or_b32 exec_lo, exec_lo, s45
	v_lshlrev_b32_e32 v76, 24, v76
	s_delay_alu instid0(VALU_DEP_2) | instskip(NEXT) | instid1(VALU_DEP_3)
	v_lshlrev_b32_e32 v32, 20, v32
	v_lshl_add_u32 v75, v75, 23, 0x3c000000
	s_delay_alu instid0(VALU_DEP_3) | instskip(NEXT) | instid1(VALU_DEP_1)
	v_and_b32_e32 v76, 0x80000000, v76
	v_or3_b32 v75, v32, v76, v75
.LBB166_231:                            ;   in Loop: Header=BB166_12 Depth=1
	s_or_b32 exec_lo, exec_lo, s44
.LBB166_232:                            ;   in Loop: Header=BB166_12 Depth=1
	s_delay_alu instid0(SALU_CYCLE_1)
	s_or_b32 exec_lo, exec_lo, s43
.LBB166_233:                            ;   in Loop: Header=BB166_12 Depth=1
	s_delay_alu instid0(SALU_CYCLE_1)
	s_or_b32 exec_lo, exec_lo, s42
	global_load_u8 v40, v[40:41], off offset:780
	s_mov_b32 s42, exec_lo
	s_wait_loadcnt 0x0
	v_cmpx_ne_u16_e32 0, v40
	s_cbranch_execz .LBB166_241
; %bb.234:                              ;   in Loop: Header=BB166_12 Depth=1
	v_bfrev_b32_e32 v74, 1
	s_mov_b32 s43, exec_lo
	v_cmpx_ne_u16_e32 0x80, v40
	s_cbranch_execz .LBB166_240
; %bb.235:                              ;   in Loop: Header=BB166_12 Depth=1
	v_and_b32_e32 v32, 0xffff, v40
	v_mov_b32_e32 v74, 0x7f800001
	s_mov_b32 s44, exec_lo
	s_delay_alu instid0(VALU_DEP_2) | instskip(NEXT) | instid1(VALU_DEP_1)
	v_and_b32_e32 v76, 0x7f, v32
	v_cmpx_ne_u32_e32 0x7f, v76
	s_cbranch_execz .LBB166_239
; %bb.236:                              ;   in Loop: Header=BB166_12 Depth=1
	v_and_b32_e32 v32, 7, v32
	v_lshrrev_b32_e32 v41, 3, v76
	s_mov_b32 s45, exec_lo
	v_cmpx_gt_u32_e32 8, v76
; %bb.237:                              ;   in Loop: Header=BB166_12 Depth=1
	s_delay_alu instid0(VALU_DEP_3) | instskip(NEXT) | instid1(VALU_DEP_1)
	v_clz_i32_u32_e32 v41, v32
	v_min_u32_e32 v41, 32, v41
	s_delay_alu instid0(VALU_DEP_1) | instskip(NEXT) | instid1(VALU_DEP_1)
	v_subrev_nc_u32_e32 v74, 28, v41
	v_lshlrev_b64_e32 v[76:77], v74, v[32:33]
	s_delay_alu instid0(VALU_DEP_1)
	v_dual_sub_nc_u32 v41, 29, v41 :: v_dual_bitop2_b32 v32, 7, v76 bitop3:0x40
; %bb.238:                              ;   in Loop: Header=BB166_12 Depth=1
	s_or_b32 exec_lo, exec_lo, s45
	v_lshlrev_b32_e32 v40, 24, v40
	s_delay_alu instid0(VALU_DEP_2) | instskip(NEXT) | instid1(VALU_DEP_3)
	v_lshlrev_b32_e32 v32, 20, v32
	v_lshl_add_u32 v41, v41, 23, 0x3c000000
	s_delay_alu instid0(VALU_DEP_3) | instskip(NEXT) | instid1(VALU_DEP_1)
	v_and_b32_e32 v40, 0x80000000, v40
	v_or3_b32 v74, v32, v40, v41
.LBB166_239:                            ;   in Loop: Header=BB166_12 Depth=1
	s_or_b32 exec_lo, exec_lo, s44
.LBB166_240:                            ;   in Loop: Header=BB166_12 Depth=1
	s_delay_alu instid0(SALU_CYCLE_1)
	s_or_b32 exec_lo, exec_lo, s43
.LBB166_241:                            ;   in Loop: Header=BB166_12 Depth=1
	s_delay_alu instid0(SALU_CYCLE_1) | instskip(SKIP_3) | instid1(VALU_DEP_1)
	s_or_b32 exec_lo, exec_lo, s42
	s_wait_kmcnt 0x0
	v_dual_mul_f32 v32, s41, v35 :: v_dual_mul_f32 v35, s41, v49
	s_wait_dscnt 0x6
	v_dual_mul_f32 v27, v27, v32 :: v_dual_mul_f32 v32, s41, v51
	s_delay_alu instid0(VALU_DEP_1) | instskip(NEXT) | instid1(VALU_DEP_1)
	v_dual_fmac_f32 v27, v26, v35 :: v_dual_mul_f32 v26, s41, v50
	v_dual_fmac_f32 v27, v28, v32 :: v_dual_mul_f32 v28, s41, v53
	s_delay_alu instid0(VALU_DEP_1) | instskip(SKIP_1) | instid1(VALU_DEP_1)
	v_dual_fmac_f32 v27, v29, v26 :: v_dual_mul_f32 v26, s41, v52
	s_wait_dscnt 0x5
	v_dual_fmac_f32 v27, v22, v28 :: v_dual_mul_f32 v22, s41, v55
	s_delay_alu instid0(VALU_DEP_1) | instskip(SKIP_1) | instid1(VALU_DEP_2)
	v_fmac_f32_e32 v27, v23, v26
	v_mul_f32_e32 v23, s41, v54
	v_dual_fmac_f32 v27, v24, v22 :: v_dual_mul_f32 v22, s41, v57
	s_delay_alu instid0(VALU_DEP_1) | instskip(SKIP_1) | instid1(VALU_DEP_1)
	v_dual_fmac_f32 v27, v25, v23 :: v_dual_mul_f32 v23, s41, v56
	s_wait_dscnt 0x4
	v_dual_fmac_f32 v27, v18, v22 :: v_dual_mul_f32 v18, s41, v59
	s_delay_alu instid0(VALU_DEP_1) | instskip(NEXT) | instid1(VALU_DEP_1)
	v_dual_fmac_f32 v27, v19, v23 :: v_dual_mul_f32 v19, s41, v58
	v_dual_fmac_f32 v27, v20, v18 :: v_dual_mul_f32 v18, s41, v61
	s_delay_alu instid0(VALU_DEP_1) | instskip(SKIP_1) | instid1(VALU_DEP_1)
	v_dual_fmac_f32 v27, v21, v19 :: v_dual_mul_f32 v19, s41, v60
	s_wait_dscnt 0x3
	v_dual_fmac_f32 v27, v14, v18 :: v_dual_mul_f32 v14, s41, v63
	s_delay_alu instid0(VALU_DEP_1) | instskip(NEXT) | instid1(VALU_DEP_1)
	v_dual_fmac_f32 v27, v15, v19 :: v_dual_mul_f32 v15, s41, v62
	;; [unrolled: 7-line block ×4, first 2 shown]
	v_dual_fmac_f32 v27, v8, v6 :: v_dual_mul_f32 v6, s41, v73
	s_delay_alu instid0(VALU_DEP_1) | instskip(SKIP_1) | instid1(VALU_DEP_1)
	v_dual_fmac_f32 v27, v9, v7 :: v_dual_mul_f32 v7, s41, v72
	s_wait_dscnt 0x0
	v_fmac_f32_e32 v27, v2, v6
	v_dual_mul_f32 v6, s41, v75 :: v_dual_bitop2_b32 v2, 2, v42 bitop3:0x14
	s_delay_alu instid0(VALU_DEP_1) | instskip(NEXT) | instid1(VALU_DEP_3)
	v_cmp_gt_i32_e64 s4, 32, v2
	v_dual_fmac_f32 v27, v3, v7 :: v_dual_mul_f32 v3, s41, v74
	s_delay_alu instid0(VALU_DEP_2) | instskip(NEXT) | instid1(VALU_DEP_2)
	v_cndmask_b32_e64 v2, v42, v2, s4
	v_fmac_f32_e32 v27, v4, v6
	s_delay_alu instid0(VALU_DEP_1) | instskip(SKIP_3) | instid1(VALU_DEP_1)
	v_dual_fmac_f32 v27, v5, v3 :: v_dual_lshlrev_b32 v2, 2, v2
	v_xor_b32_e32 v3, 1, v42
	ds_bpermute_b32 v2, v2, v27
	v_cmp_gt_i32_e64 s4, 32, v3
	v_cndmask_b32_e64 v3, v42, v3, s4
	s_wait_dscnt 0x0
	s_delay_alu instid0(VALU_DEP_1)
	v_dual_add_f32 v2, v27, v2 :: v_dual_lshlrev_b32 v3, 2, v3
	ds_bpermute_b32 v3, v3, v2
	s_and_saveexec_b32 s41, s3
	s_cbranch_execz .LBB166_10
; %bb.242:                              ;   in Loop: Header=BB166_12 Depth=1
	v_add_nc_u32_e32 v4, v46, v34
	s_wait_dscnt 0x0
	v_add_f32_e32 v2, v2, v3
	s_delay_alu instid0(VALU_DEP_2) | instskip(NEXT) | instid1(VALU_DEP_1)
	v_cvt_f32_i32_e32 v4, v4
	v_mul_f32_e32 v4, s36, v4
	s_delay_alu instid0(VALU_DEP_1) | instskip(NEXT) | instid1(VALU_DEP_1)
	v_dual_cndmask_b32 v3, 0, v4 :: v_dual_max_num_f32 v4, v45, v45
	v_fmac_f32_e32 v3, s27, v2
	v_add_nc_u32_e32 v2, v43, v34
	s_delay_alu instid0(VALU_DEP_1) | instskip(NEXT) | instid1(VALU_DEP_3)
	v_cmp_gt_i32_e64 s4, s34, v2
	v_max_num_f32_e32 v4, v4, v3
	s_delay_alu instid0(VALU_DEP_1)
	v_dual_cndmask_b32 v45, v45, v4, s4 :: v_dual_cndmask_b32 v2, 0, v3, s4
	ds_store_b32 v47, v2
	s_branch .LBB166_10
.LBB166_243:
	s_or_b32 exec_lo, exec_lo, s40
.LBB166_244:
	s_delay_alu instid0(SALU_CYCLE_1)
	s_or_b32 exec_lo, exec_lo, s37
	v_dual_max_num_f32 v5, v45, v45 :: v_dual_bitop2_b32 v2, 16, v42 bitop3:0x14
	v_xor_b32_e32 v4, 8, v42
	s_clause 0x1
	s_load_b64 s[4:5], s[0:1], 0x0
	s_load_b64 s[8:9], s[0:1], 0x18
	v_and_b32_e32 v52, 31, v0
	v_cmp_gt_i32_e32 vcc_lo, 32, v2
	v_cndmask_b32_e32 v2, v42, v2, vcc_lo
	v_cmp_gt_i32_e32 vcc_lo, 32, v4
	s_delay_alu instid0(VALU_DEP_2) | instskip(SKIP_4) | instid1(VALU_DEP_1)
	v_dual_cndmask_b32 v4, v42, v4, vcc_lo :: v_dual_lshlrev_b32 v2, 2, v2
	s_wait_dscnt 0x0
	ds_bpermute_b32 v3, v2, v45
	s_wait_dscnt 0x0
	v_dual_max_num_f32 v6, v3, v3 :: v_dual_lshlrev_b32 v3, 2, v4
	v_max_num_f32_e32 v4, v5, v6
	ds_bpermute_b32 v5, v3, v4
	s_wait_dscnt 0x0
	v_dual_max_num_f32 v5, v5, v5 :: v_dual_bitop2_b32 v6, 4, v42 bitop3:0x14
	s_delay_alu instid0(VALU_DEP_1) | instskip(NEXT) | instid1(VALU_DEP_2)
	v_max_num_f32_e32 v5, v4, v5
	v_cmp_gt_i32_e32 vcc_lo, 32, v6
	v_dual_lshlrev_b32 v4, 2, v1 :: v_dual_cndmask_b32 v6, v42, v6, vcc_lo
	v_cmp_eq_u32_e32 vcc_lo, 0, v52
	s_delay_alu instid0(VALU_DEP_2)
	v_lshlrev_b32_e32 v6, 2, v6
	ds_bpermute_b32 v7, v6, v5
	s_wait_xcnt 0x0
	s_and_saveexec_b32 s0, vcc_lo
	s_cbranch_execz .LBB166_246
; %bb.245:
	s_wait_dscnt 0x0
	v_dual_max_num_f32 v7, v7, v7 :: v_dual_max_num_f32 v5, v5, v5
	s_delay_alu instid0(VALU_DEP_1)
	v_max_num_f32_e32 v5, v5, v7
	ds_store_b32 v4, v5 offset:448
.LBB166_246:
	s_or_b32 exec_lo, exec_lo, s0
	v_cmp_gt_u32_e64 s0, 4, v52
	v_dual_mov_b32 v8, 0xff7fffff :: v_dual_lshlrev_b32 v5, 2, v52
	s_wait_dscnt 0x0
	s_barrier_signal -1
	s_barrier_wait -1
	s_and_saveexec_b32 s1, s0
; %bb.247:
	ds_load_b32 v8, v5 offset:448
; %bb.248:
	s_or_b32 exec_lo, exec_lo, s1
	v_xor_b32_e32 v7, 2, v42
	v_xor_b32_e32 v10, 1, v42
	s_delay_alu instid0(VALU_DEP_2) | instskip(NEXT) | instid1(VALU_DEP_1)
	v_cmp_gt_i32_e64 s1, 32, v7
	v_cndmask_b32_e64 v7, v42, v7, s1
	s_delay_alu instid0(VALU_DEP_3) | instskip(NEXT) | instid1(VALU_DEP_1)
	v_cmp_gt_i32_e64 s1, 32, v10
	v_dual_lshlrev_b32 v7, 2, v7 :: v_dual_cndmask_b32 v10, v42, v10, s1
	s_lshl_b32 s1, s12, 3
	s_delay_alu instid0(SALU_CYCLE_1)
	s_min_i32 s19, s1, s34
	s_wait_dscnt 0x0
	ds_bpermute_b32 v9, v7, v8
	v_max_num_f32_e32 v8, v8, v8
	v_cmp_gt_i32_e64 s1, s19, v0
	s_wait_dscnt 0x0
	v_dual_lshlrev_b32 v53, 2, v10 :: v_dual_max_num_f32 v9, v9, v9
	s_delay_alu instid0(VALU_DEP_1) | instskip(SKIP_3) | instid1(VALU_DEP_1)
	v_max_num_f32_e32 v8, v8, v9
	ds_bpermute_b32 v9, v53, v8
	s_wait_dscnt 0x0
	v_max_num_f32_e32 v9, v9, v9
	v_dual_max_num_f32 v9, v8, v9 :: v_dual_mov_b32 v8, 0
	ds_bpermute_b32 v9, v8, v9
	s_and_saveexec_b32 s27, s1
	s_cbranch_execz .LBB166_252
; %bb.249:
	v_lshl_add_u32 v10, v0, 2, 0x1e0
	v_dual_mov_b32 v8, 0 :: v_dual_mov_b32 v11, v0
	s_mov_b32 s28, 0
.LBB166_250:                            ; =>This Inner Loop Header: Depth=1
	ds_load_b32 v12, v10
	v_add_nc_u32_e32 v11, 0x80, v11
	s_delay_alu instid0(VALU_DEP_1) | instskip(SKIP_3) | instid1(VALU_DEP_1)
	v_cmp_le_i32_e64 s3, s19, v11
	s_or_b32 s28, s3, s28
	s_wait_dscnt 0x0
	v_sub_f32_e32 v12, v12, v9
	v_mul_f32_e32 v12, 0x3fb8aa3b, v12
	s_delay_alu instid0(VALU_DEP_1)
	v_exp_f32_e32 v12, v12
	ds_store_b32 v10, v12
	v_nop
	v_add_f32_e32 v8, v8, v12
	v_add_nc_u32_e32 v10, 0x200, v10
	s_and_not1_b32 exec_lo, exec_lo, s28
	s_cbranch_execnz .LBB166_250
; %bb.251:
	s_or_b32 exec_lo, exec_lo, s28
.LBB166_252:
	s_delay_alu instid0(SALU_CYCLE_1)
	s_or_b32 exec_lo, exec_lo, s27
	ds_bpermute_b32 v2, v2, v8
	s_wait_dscnt 0x0
	v_add_f32_e32 v2, v8, v2
	ds_bpermute_b32 v3, v3, v2
	s_wait_dscnt 0x0
	v_add_f32_e32 v2, v2, v3
	;; [unrolled: 3-line block ×5, first 2 shown]
	s_and_saveexec_b32 s3, vcc_lo
; %bb.253:
	ds_store_b32 v4, v2 offset:464
; %bb.254:
	s_or_b32 exec_lo, exec_lo, s3
	s_wait_dscnt 0x0
	s_barrier_signal -1
	s_barrier_wait -1
	s_and_saveexec_b32 s3, s0
; %bb.255:
	ds_load_b32 v2, v5 offset:464
; %bb.256:
	s_or_b32 exec_lo, exec_lo, s3
	s_wait_dscnt 0x0
	ds_bpermute_b32 v3, v7, v2
	s_wait_dscnt 0x0
	v_dual_mov_b32 v7, 0 :: v_dual_add_f32 v2, v2, v3
	ds_bpermute_b32 v3, v53, v2
	s_wait_dscnt 0x0
	v_add_f32_e32 v2, v2, v3
	ds_bpermute_b32 v2, v7, v2
	s_and_saveexec_b32 s0, s1
	s_cbranch_execz .LBB166_269
; %bb.257:
	s_wait_dscnt 0x0
	v_add_f32_e32 v2, 0x358637bd, v2
	s_mov_b32 s3, -1
	s_mov_b32 s1, exec_lo
	s_delay_alu instid0(VALU_DEP_1) | instskip(NEXT) | instid1(VALU_DEP_1)
	v_div_scale_f32 v3, null, v2, v2, 1.0
	v_rcp_f32_e32 v5, v3
	v_nop
	s_delay_alu instid0(TRANS32_DEP_1) | instskip(NEXT) | instid1(VALU_DEP_1)
	v_fma_f32 v4, -v3, v5, 1.0
	v_fmac_f32_e32 v5, v4, v5
	v_div_scale_f32 v6, vcc_lo, 1.0, v2, 1.0
	s_delay_alu instid0(VALU_DEP_1) | instskip(NEXT) | instid1(VALU_DEP_1)
	v_mul_f32_e32 v8, v6, v5
	v_fma_f32 v4, -v3, v8, v6
	s_delay_alu instid0(VALU_DEP_1) | instskip(SKIP_1) | instid1(VALU_DEP_2)
	v_fmac_f32_e32 v8, v4, v5
	v_xad_u32 v4, v0, -1, s19
	v_fma_f32 v3, -v3, v8, v6
	s_delay_alu instid0(VALU_DEP_1) | instskip(NEXT) | instid1(VALU_DEP_1)
	v_div_fmas_f32 v3, v3, v5, v8
	v_div_fixup_f32 v2, v3, v2, 1.0
	v_mov_b32_e32 v3, v0
	v_cmpx_lt_u32_e32 0x7f, v4
	s_cbranch_execz .LBB166_266
; %bb.258:
	s_delay_alu instid0(VALU_DEP_3) | instskip(NEXT) | instid1(VALU_DEP_1)
	v_dual_mov_b32 v3, v2 :: v_dual_lshrrev_b32 v4, 7, v4
	v_dual_mov_b32 v9, 0 :: v_dual_add_nc_u32 v5, -1, v4
	s_delay_alu instid0(VALU_DEP_1) | instskip(SKIP_1) | instid1(VALU_DEP_2)
	v_lshrrev_b32_e32 v6, 1, v5
	v_cmp_lt_u32_e32 vcc_lo, 13, v5
	v_add_nc_u32_e32 v5, 1, v6
	s_and_saveexec_b32 s3, vcc_lo
	s_cbranch_execz .LBB166_262
; %bb.259:
	s_delay_alu instid0(VALU_DEP_1)
	v_and_b32_e32 v6, -8, v5
	v_lshl_add_u32 v8, v0, 2, 0x1e0
	s_mov_b32 s27, 0
	s_mov_b32 s28, 0
.LBB166_260:                            ; =>This Inner Loop Header: Depth=1
	ds_load_2addr_stride64_b32 v[10:11], v8 offset1:2
	ds_load_2addr_stride64_b32 v[12:13], v8 offset0:4 offset1:6
	ds_load_2addr_stride64_b32 v[14:15], v8 offset0:8 offset1:10
	;; [unrolled: 1-line block ×7, first 2 shown]
	s_add_co_i32 s28, s28, 16
	s_delay_alu instid0(SALU_CYCLE_1) | instskip(NEXT) | instid1(VALU_DEP_1)
	v_dual_mov_b32 v9, s28 :: v_dual_add_nc_u32 v6, -8, v6
	v_cmp_eq_u32_e32 vcc_lo, 0, v6
	s_or_b32 s27, vcc_lo, s27
	s_wait_dscnt 0x7
	v_pk_mul_f32 v[10:11], v[2:3], v[10:11]
	s_wait_dscnt 0x6
	v_pk_mul_f32 v[12:13], v[2:3], v[12:13]
	;; [unrolled: 2-line block ×8, first 2 shown]
	ds_store_2addr_stride64_b32 v8, v10, v11 offset1:2
	ds_store_2addr_stride64_b32 v8, v12, v13 offset0:4 offset1:6
	ds_store_2addr_stride64_b32 v8, v14, v15 offset0:8 offset1:10
	;; [unrolled: 1-line block ×7, first 2 shown]
	v_add_nc_u32_e32 v8, 0x2000, v8
	s_and_not1_b32 exec_lo, exec_lo, s27
	s_cbranch_execnz .LBB166_260
; %bb.261:
	s_or_b32 exec_lo, exec_lo, s27
.LBB166_262:
	s_delay_alu instid0(SALU_CYCLE_1) | instskip(NEXT) | instid1(VALU_DEP_1)
	s_or_b32 exec_lo, exec_lo, s3
	v_and_b32_e32 v5, 7, v5
	s_mov_b32 s27, 0
	s_mov_b32 s3, exec_lo
	s_delay_alu instid0(VALU_DEP_1)
	v_cmpx_ne_u32_e32 0, v5
	s_cbranch_execz .LBB166_265
; %bb.263:
	v_dual_lshlrev_b32 v6, 9, v9 :: v_dual_lshlrev_b32 v8, 2, v0
	s_delay_alu instid0(VALU_DEP_1)
	v_add3_u32 v6, v6, v8, 0x1e0
.LBB166_264:                            ; =>This Inner Loop Header: Depth=1
	ds_load_2addr_stride64_b32 v[8:9], v6 offset1:2
	v_add_nc_u32_e32 v5, -1, v5
	s_delay_alu instid0(VALU_DEP_1)
	v_cmp_eq_u32_e32 vcc_lo, 0, v5
	s_or_b32 s27, vcc_lo, s27
	s_wait_dscnt 0x0
	v_pk_mul_f32 v[8:9], v[2:3], v[8:9]
	ds_store_2addr_stride64_b32 v6, v8, v9 offset1:2
	v_add_nc_u32_e32 v6, 0x400, v6
	s_and_not1_b32 exec_lo, exec_lo, s27
	s_cbranch_execnz .LBB166_264
.LBB166_265:
	s_or_b32 exec_lo, exec_lo, s3
	v_add_nc_u32_e32 v3, 1, v4
	s_delay_alu instid0(VALU_DEP_1) | instskip(NEXT) | instid1(VALU_DEP_1)
	v_and_b32_e32 v4, 0x3fffffe, v3
	v_cmp_ne_u32_e32 vcc_lo, v3, v4
	v_lshl_add_u32 v3, v4, 7, v0
	s_or_not1_b32 s3, vcc_lo, exec_lo
.LBB166_266:
	s_or_b32 exec_lo, exec_lo, s1
	s_delay_alu instid0(SALU_CYCLE_1)
	s_and_b32 exec_lo, exec_lo, s3
	s_cbranch_execz .LBB166_269
; %bb.267:
	v_lshl_add_u32 v4, v3, 2, 0x1e0
	s_mov_b32 s1, 0
.LBB166_268:                            ; =>This Inner Loop Header: Depth=1
	ds_load_b32 v5, v4
	v_add_nc_u32_e32 v3, 0x80, v3
	s_delay_alu instid0(VALU_DEP_1)
	v_cmp_le_i32_e32 vcc_lo, s19, v3
	s_or_b32 s1, vcc_lo, s1
	s_wait_dscnt 0x0
	v_mul_f32_e32 v5, v2, v5
	ds_store_b32 v4, v5
	v_add_nc_u32_e32 v4, 0x200, v4
	s_and_not1_b32 exec_lo, exec_lo, s1
	s_cbranch_execnz .LBB166_268
.LBB166_269:
	s_or_b32 exec_lo, exec_lo, s0
	v_dual_mov_b32 v6, 0 :: v_dual_bitop2_b32 v54, 1, v0 bitop3:0x40
	v_dual_mov_b32 v9, 0 :: v_dual_mov_b32 v8, 0
	v_dual_mov_b32 v11, 0 :: v_dual_mov_b32 v10, 0
	v_mov_b32_e32 v55, 0
	s_wait_dscnt 0x0
	s_barrier_signal -1
	s_barrier_wait -1
	s_and_saveexec_b32 s1, s2
	s_cbranch_execz .LBB166_513
; %bb.270:
	s_abs_i32 s14, s14
	v_dual_mov_b32 v13, 0 :: v_dual_lshlrev_b32 v2, 2, v0
	s_cvt_f32_u32 s0, s14
	s_ashr_i32 s19, s18, 31
	v_dual_mov_b32 v55, 0 :: v_dual_lshlrev_b32 v4, 4, v54
	s_delay_alu instid0(SALU_CYCLE_1)
	v_rcp_iflag_f32_e32 v3, s0
	v_and_b32_e32 v12, 0x7c, v2
	s_wait_kmcnt 0x0
	s_add_nc_u64 s[8:9], s[8:9], s[18:19]
	s_lshl_b64 s[24:25], s[24:25], 2
	s_sub_co_i32 s2, 0, s14
	v_dual_mov_b32 v56, v1 :: v_dual_bitop2_b32 v57, 4, v2 bitop3:0x40
	v_readfirstlane_b32 s0, v3
	v_add_nc_u64_e32 v[14:15], s[8:9], v[12:13]
	v_and_b32_e32 v12, 0x7c, v31
	v_lshl_or_b32 v3, v1, 5, v4
	s_add_nc_u64 s[8:9], s[22:23], s[24:25]
	s_mul_f32 s0, s0, 0x4f7ffffe
	v_dual_mov_b32 v10, 0 :: v_dual_mov_b32 v8, 0
	v_add_nc_u64_e32 v[16:17], s[8:9], v[12:13]
	s_delay_alu instid0(SALU_CYCLE_1) | instskip(SKIP_2) | instid1(SALU_CYCLE_1)
	s_cvt_u32_f32 s0, s0
	v_dual_mov_b32 v11, 0 :: v_dual_add_nc_u32 v58, 0x1e0, v3
	v_dual_mov_b32 v9, 0 :: v_dual_mov_b32 v6, 0
	s_mul_i32 s2, s2, s0
	v_mov_b32_e32 v7, 0
	s_mov_b32 s3, 0
	s_mul_hi_u32 s2, s0, s2
	s_sub_co_i32 s13, s26, s13
	s_add_co_i32 s26, s12, -1
	s_mov_b32 s18, s34
	s_add_co_i32 s2, s0, s2
	s_mov_b32 s19, s3
	s_branch .LBB166_273
.LBB166_271:                            ;   in Loop: Header=BB166_273 Depth=1
	s_or_b32 exec_lo, exec_lo, s0
	s_wait_dscnt 0x0
	v_mul_f32_e32 v31, v2, v40
	v_mul_f32_e32 v12, v2, v44
	v_dual_mul_f32 v36, v2, v36 :: v_dual_mul_f32 v26, v2, v26
	v_pk_mul_f32 v[22:23], v[4:5], v[22:23]
	s_delay_alu instid0(VALU_DEP_4) | instskip(NEXT) | instid1(VALU_DEP_4)
	v_fmac_f32_e32 v31, v3, v41
	v_dual_fmac_f32 v12, v3, v45 :: v_dual_mul_f32 v32, v2, v32
	v_mul_f32_e32 v20, v2, v20
	v_pk_mul_f32 v[40:41], v[2:3], v[46:47]
	s_delay_alu instid0(VALU_DEP_4) | instskip(NEXT) | instid1(VALU_DEP_4)
	v_fmac_f32_e32 v31, v4, v38
	v_fmac_f32_e32 v12, v4, v42
	;; [unrolled: 1-line block ×3, first 2 shown]
	v_dual_fmac_f32 v32, v3, v33 :: v_dual_fmac_f32 v26, v3, v27
	v_dual_fmac_f32 v20, v3, v21 :: v_dual_add_f32 v2, v41, v40
	s_delay_alu instid0(VALU_DEP_4) | instskip(NEXT) | instid1(VALU_DEP_3)
	v_fmac_f32_e32 v12, v5, v43
	v_dual_fmac_f32 v31, v5, v39 :: v_dual_fmac_f32 v32, v4, v28
	s_delay_alu instid0(VALU_DEP_4) | instskip(NEXT) | instid1(VALU_DEP_3)
	v_dual_fmac_f32 v26, v4, v24 :: v_dual_fmac_f32 v36, v4, v34
	v_dual_add_f32 v2, v22, v2 :: v_dual_add_f32 v7, v7, v12
	s_delay_alu instid0(VALU_DEP_2) | instskip(NEXT) | instid1(VALU_DEP_2)
	v_dual_add_f32 v6, v6, v31 :: v_dual_fmac_f32 v26, v5, v25
	v_dual_fmac_f32 v36, v5, v35 :: v_dual_add_f32 v2, v23, v2
	v_fmac_f32_e32 v20, v4, v18
	s_delay_alu instid0(VALU_DEP_3) | instskip(NEXT) | instid1(VALU_DEP_3)
	v_dual_fmac_f32 v32, v5, v29 :: v_dual_add_f32 v11, v11, v26
	v_dual_add_f32 v9, v9, v36 :: v_dual_add_f32 v55, v55, v2
	s_delay_alu instid0(VALU_DEP_2) | instskip(NEXT) | instid1(VALU_DEP_1)
	v_dual_fmac_f32 v20, v5, v19 :: v_dual_add_f32 v8, v8, v32
	v_add_f32_e32 v10, v10, v20
.LBB166_272:                            ;   in Loop: Header=BB166_273 Depth=1
	s_or_b32 exec_lo, exec_lo, s22
	v_dual_add_nc_u32 v56, 4, v56 :: v_dual_add_nc_u32 v30, 32, v30
	v_add_nc_u64_e32 v[16:17], 16, v[16:17]
	v_add_nc_u32_e32 v58, 0x80, v58
	s_delay_alu instid0(VALU_DEP_3) | instskip(SKIP_1) | instid1(SALU_CYCLE_1)
	v_cmp_le_i32_e32 vcc_lo, s12, v56
	s_or_b32 s19, vcc_lo, s19
	s_and_not1_b32 exec_lo, exec_lo, s19
	s_cbranch_execz .LBB166_512
.LBB166_273:                            ; =>This Inner Loop Header: Depth=1
	v_mov_b32_e32 v31, v13
	s_delay_alu instid0(VALU_DEP_1) | instskip(NEXT) | instid1(VALU_DEP_1)
	v_mul_u64_e32 v[2:3], s[20:21], v[30:31]
	v_mul_lo_u32 v2, v3, s16
	s_delay_alu instid0(VALU_DEP_1) | instskip(NEXT) | instid1(VALU_DEP_1)
	v_sub_nc_u32_e32 v2, v30, v2
	v_subrev_nc_u32_e32 v5, s16, v2
	v_cmp_le_u32_e32 vcc_lo, s16, v2
	s_delay_alu instid0(VALU_DEP_2) | instskip(NEXT) | instid1(VALU_DEP_1)
	v_dual_add_nc_u32 v4, 1, v3 :: v_dual_cndmask_b32 v2, v2, v5, vcc_lo
	v_cndmask_b32_e32 v3, v3, v4, vcc_lo
	s_delay_alu instid0(VALU_DEP_2) | instskip(NEXT) | instid1(VALU_DEP_2)
	v_cmp_le_u32_e32 vcc_lo, s16, v2
	v_add_nc_u32_e32 v4, 1, v3
	s_delay_alu instid0(VALU_DEP_1) | instskip(NEXT) | instid1(VALU_DEP_1)
	v_cndmask_b32_e32 v2, v3, v4, vcc_lo
	v_xor_b32_e32 v2, s15, v2
	s_delay_alu instid0(VALU_DEP_1) | instskip(NEXT) | instid1(VALU_DEP_1)
	v_subrev_nc_u32_e32 v4, s15, v2
	v_add_nc_u32_e32 v5, s35, v4
	v_cmp_lt_i32_e64 s0, s13, v4
	s_delay_alu instid0(VALU_DEP_2) | instskip(NEXT) | instid1(VALU_DEP_1)
	v_sub_nc_u32_e32 v2, 0, v5
	v_dual_ashrrev_i32 v5, 31, v5 :: v_dual_max_i32 v12, v5, v2
	s_delay_alu instid0(VALU_DEP_1) | instskip(NEXT) | instid1(VALU_DEP_1)
	v_mul_u64_e32 v[2:3], s[2:3], v[12:13]
	v_mul_lo_u32 v2, v3, s14
	s_delay_alu instid0(VALU_DEP_1) | instskip(NEXT) | instid1(VALU_DEP_1)
	v_sub_nc_u32_e32 v2, v12, v2
	v_subrev_nc_u32_e32 v3, s14, v2
	v_cmp_le_u32_e32 vcc_lo, s14, v2
	s_delay_alu instid0(VALU_DEP_2) | instskip(NEXT) | instid1(VALU_DEP_1)
	v_cndmask_b32_e32 v2, v2, v3, vcc_lo
	v_subrev_nc_u32_e32 v3, s14, v2
	v_cmp_le_u32_e32 vcc_lo, s14, v2
	s_delay_alu instid0(VALU_DEP_2) | instskip(NEXT) | instid1(VALU_DEP_1)
	v_cndmask_b32_e32 v2, v2, v3, vcc_lo
	v_xor_b32_e32 v2, v2, v5
	s_delay_alu instid0(VALU_DEP_1) | instskip(NEXT) | instid1(VALU_DEP_1)
	v_sub_nc_u32_e32 v2, v2, v5
	v_cmp_eq_u32_e32 vcc_lo, 0, v2
	s_or_b32 s0, vcc_lo, s0
	s_delay_alu instid0(SALU_CYCLE_1)
	s_and_saveexec_b32 s22, s0
	s_cbranch_execz .LBB166_272
; %bb.274:                              ;   in Loop: Header=BB166_273 Depth=1
	global_load_b32 v2, v[16:17], off
	s_load_b32 s8, s[10:11], 0x0
	v_mov_b64_e32 v[18:19], 0
	v_mov_b64_e32 v[20:21], 0
	s_mov_b32 s0, exec_lo
	s_wait_loadcnt 0x0
	v_mad_nc_i64_i32 v[22:23], v2, s17, v[14:15]
	ds_load_b128 v[2:5], v58
	global_load_b32 v28, v[22:23], off
	s_wait_loadcnt 0x0
	v_and_b32_e32 v12, 0xff, v28
	s_delay_alu instid0(VALU_DEP_1)
	v_cmpx_ne_u16_e32 0, v12
	s_cbranch_execz .LBB166_282
; %bb.275:                              ;   in Loop: Header=BB166_273 Depth=1
	v_mov_b64_e32 v[20:21], 0x80000000
	s_mov_b32 s9, exec_lo
	v_cmpx_ne_u16_e32 0x80, v12
	s_cbranch_execz .LBB166_281
; %bb.276:                              ;   in Loop: Header=BB166_273 Depth=1
	v_mov_b64_e32 v[20:21], 0x7f800001
	v_and_b32_e32 v24, 0x7f, v28
	s_mov_b32 s23, exec_lo
	s_delay_alu instid0(VALU_DEP_1)
	v_cmpx_ne_u32_e32 0x7f, v24
	s_cbranch_execz .LBB166_280
; %bb.277:                              ;   in Loop: Header=BB166_273 Depth=1
	v_and_b32_e32 v12, 7, v28
	v_lshrrev_b32_e32 v20, 3, v24
	s_mov_b32 s24, exec_lo
	v_cmpx_gt_u32_e32 8, v24
; %bb.278:                              ;   in Loop: Header=BB166_273 Depth=1
	s_delay_alu instid0(VALU_DEP_3) | instskip(NEXT) | instid1(VALU_DEP_1)
	v_clz_i32_u32_e32 v20, v12
	v_min_u32_e32 v20, 32, v20
	s_delay_alu instid0(VALU_DEP_1) | instskip(SKIP_1) | instid1(VALU_DEP_2)
	v_subrev_nc_u32_e32 v21, 28, v20
	v_sub_nc_u32_e32 v20, 29, v20
	v_lshlrev_b64_e32 v[24:25], v21, v[12:13]
	s_delay_alu instid0(VALU_DEP_1)
	v_and_b32_e32 v12, 7, v24
; %bb.279:                              ;   in Loop: Header=BB166_273 Depth=1
	s_or_b32 exec_lo, exec_lo, s24
	v_lshlrev_b32_e32 v21, 24, v28
	s_delay_alu instid0(VALU_DEP_2) | instskip(SKIP_1) | instid1(VALU_DEP_3)
	v_lshlrev_b32_e32 v12, 20, v12
	v_lshl_add_u32 v20, v20, 23, 0x3c000000
	v_and_b32_e32 v21, 0x80000000, v21
	s_delay_alu instid0(VALU_DEP_1) | instskip(NEXT) | instid1(VALU_DEP_1)
	v_or3_b32 v12, v12, v21, v20
	v_mov_b64_e32 v[20:21], v[12:13]
.LBB166_280:                            ;   in Loop: Header=BB166_273 Depth=1
	s_or_b32 exec_lo, exec_lo, s23
.LBB166_281:                            ;   in Loop: Header=BB166_273 Depth=1
	s_delay_alu instid0(SALU_CYCLE_1)
	s_or_b32 exec_lo, exec_lo, s9
.LBB166_282:                            ;   in Loop: Header=BB166_273 Depth=1
	s_delay_alu instid0(SALU_CYCLE_1) | instskip(SKIP_2) | instid1(VALU_DEP_1)
	s_or_b32 exec_lo, exec_lo, s0
	v_lshrrev_b16 v12, 8, v28
	s_mov_b32 s0, exec_lo
	v_cmpx_ne_u16_e32 0, v12
	s_cbranch_execz .LBB166_290
; %bb.283:                              ;   in Loop: Header=BB166_273 Depth=1
	v_mov_b64_e32 v[18:19], 0x8000000000000000
	s_mov_b32 s9, exec_lo
	v_cmpx_ne_u16_e32 0x80, v12
	s_cbranch_execz .LBB166_289
; %bb.284:                              ;   in Loop: Header=BB166_273 Depth=1
	v_and_b32_e32 v12, 0xffff, v12
	v_mov_b64_e32 v[18:19], 0x7f80000100000000
	s_mov_b32 s23, exec_lo
	s_delay_alu instid0(VALU_DEP_2) | instskip(NEXT) | instid1(VALU_DEP_1)
	v_and_b32_e32 v24, 0x7f, v12
	v_cmpx_ne_u32_e32 0x7f, v24
	s_cbranch_execz .LBB166_288
; %bb.285:                              ;   in Loop: Header=BB166_273 Depth=1
	v_and_b32_e32 v12, 7, v12
	v_lshrrev_b32_e32 v18, 3, v24
	s_mov_b32 s24, exec_lo
	v_cmpx_gt_u32_e32 8, v24
; %bb.286:                              ;   in Loop: Header=BB166_273 Depth=1
	s_delay_alu instid0(VALU_DEP_3) | instskip(NEXT) | instid1(VALU_DEP_1)
	v_clz_i32_u32_e32 v18, v12
	v_min_u32_e32 v18, 32, v18
	s_delay_alu instid0(VALU_DEP_1) | instskip(NEXT) | instid1(VALU_DEP_1)
	v_subrev_nc_u32_e32 v19, 28, v18
	v_lshlrev_b64_e32 v[24:25], v19, v[12:13]
	s_delay_alu instid0(VALU_DEP_1)
	v_dual_sub_nc_u32 v18, 29, v18 :: v_dual_bitop2_b32 v12, 7, v24 bitop3:0x40
; %bb.287:                              ;   in Loop: Header=BB166_273 Depth=1
	s_or_b32 exec_lo, exec_lo, s24
	v_lshlrev_b32_e32 v19, 16, v28
	s_delay_alu instid0(VALU_DEP_2) | instskip(NEXT) | instid1(VALU_DEP_3)
	v_lshlrev_b32_e32 v12, 20, v12
	v_lshl_add_u32 v18, v18, 23, 0x3c000000
	s_delay_alu instid0(VALU_DEP_3) | instskip(NEXT) | instid1(VALU_DEP_1)
	v_and_b32_e32 v19, 0x80000000, v19
	v_or3_b32 v19, v12, v19, v18
	v_mov_b32_e32 v18, v13
.LBB166_288:                            ;   in Loop: Header=BB166_273 Depth=1
	s_or_b32 exec_lo, exec_lo, s23
.LBB166_289:                            ;   in Loop: Header=BB166_273 Depth=1
	s_delay_alu instid0(SALU_CYCLE_1)
	s_or_b32 exec_lo, exec_lo, s9
.LBB166_290:                            ;   in Loop: Header=BB166_273 Depth=1
	s_delay_alu instid0(SALU_CYCLE_1) | instskip(SKIP_4) | instid1(VALU_DEP_3)
	s_or_b32 exec_lo, exec_lo, s0
	v_lshrrev_b32_e32 v29, 16, v28
	v_mov_b64_e32 v[24:25], 0
	v_mov_b64_e32 v[26:27], 0
	s_mov_b32 s0, exec_lo
	v_and_b32_e32 v12, 0xff, v29
	s_delay_alu instid0(VALU_DEP_1)
	v_cmpx_ne_u16_e32 0, v12
	s_cbranch_execz .LBB166_298
; %bb.291:                              ;   in Loop: Header=BB166_273 Depth=1
	v_mov_b64_e32 v[26:27], 0x80000000
	s_mov_b32 s9, exec_lo
	v_cmpx_ne_u16_e32 0x80, v12
	s_cbranch_execz .LBB166_297
; %bb.292:                              ;   in Loop: Header=BB166_273 Depth=1
	v_mov_b64_e32 v[26:27], 0x7f800001
	v_bfe_u32 v31, v28, 16, 7
	s_mov_b32 s23, exec_lo
	s_delay_alu instid0(VALU_DEP_1)
	v_cmpx_ne_u32_e32 0x7f, v31
	s_cbranch_execz .LBB166_296
; %bb.293:                              ;   in Loop: Header=BB166_273 Depth=1
	v_dual_lshrrev_b32 v26, 3, v31 :: v_dual_bitop2_b32 v12, 7, v29 bitop3:0x40
	s_mov_b32 s24, exec_lo
	v_cmpx_gt_u32_e32 8, v31
; %bb.294:                              ;   in Loop: Header=BB166_273 Depth=1
	s_delay_alu instid0(VALU_DEP_2) | instskip(NEXT) | instid1(VALU_DEP_1)
	v_clz_i32_u32_e32 v26, v12
	v_min_u32_e32 v26, 32, v26
	s_delay_alu instid0(VALU_DEP_1) | instskip(NEXT) | instid1(VALU_DEP_1)
	v_subrev_nc_u32_e32 v27, 28, v26
	v_lshlrev_b64_e32 v[32:33], v27, v[12:13]
	s_delay_alu instid0(VALU_DEP_1)
	v_dual_sub_nc_u32 v26, 29, v26 :: v_dual_bitop2_b32 v12, 7, v32 bitop3:0x40
; %bb.295:                              ;   in Loop: Header=BB166_273 Depth=1
	s_or_b32 exec_lo, exec_lo, s24
	s_delay_alu instid0(VALU_DEP_1) | instskip(NEXT) | instid1(VALU_DEP_2)
	v_dual_lshlrev_b32 v27, 24, v29 :: v_dual_lshlrev_b32 v12, 20, v12
	v_lshl_add_u32 v26, v26, 23, 0x3c000000
	s_delay_alu instid0(VALU_DEP_2) | instskip(NEXT) | instid1(VALU_DEP_1)
	v_and_b32_e32 v27, 0x80000000, v27
	v_or3_b32 v12, v12, v27, v26
	s_delay_alu instid0(VALU_DEP_1)
	v_mov_b64_e32 v[26:27], v[12:13]
.LBB166_296:                            ;   in Loop: Header=BB166_273 Depth=1
	s_or_b32 exec_lo, exec_lo, s23
.LBB166_297:                            ;   in Loop: Header=BB166_273 Depth=1
	s_delay_alu instid0(SALU_CYCLE_1)
	s_or_b32 exec_lo, exec_lo, s9
.LBB166_298:                            ;   in Loop: Header=BB166_273 Depth=1
	s_delay_alu instid0(SALU_CYCLE_1) | instskip(NEXT) | instid1(SALU_CYCLE_1)
	s_or_b32 exec_lo, exec_lo, s0
	s_mov_b32 s0, exec_lo
	v_cmpx_lt_u32_e32 0xffffff, v28
	s_cbranch_execz .LBB166_306
; %bb.299:                              ;   in Loop: Header=BB166_273 Depth=1
	v_mov_b64_e32 v[24:25], 0x8000000000000000
	v_lshrrev_b32_e32 v29, 24, v28
	s_mov_b32 s9, exec_lo
	s_delay_alu instid0(VALU_DEP_1)
	v_cmpx_ne_u32_e32 0x80, v29
	s_cbranch_execz .LBB166_305
; %bb.300:                              ;   in Loop: Header=BB166_273 Depth=1
	v_mov_b64_e32 v[24:25], 0x7f80000100000000
	v_bfe_u32 v28, v28, 24, 7
	s_mov_b32 s23, exec_lo
	s_delay_alu instid0(VALU_DEP_1)
	v_cmpx_ne_u32_e32 0x7f, v28
	s_cbranch_execz .LBB166_304
; %bb.301:                              ;   in Loop: Header=BB166_273 Depth=1
	v_dual_lshrrev_b32 v24, 3, v28 :: v_dual_bitop2_b32 v12, 7, v29 bitop3:0x40
	s_mov_b32 s24, exec_lo
	v_cmpx_gt_u32_e32 8, v28
; %bb.302:                              ;   in Loop: Header=BB166_273 Depth=1
	s_delay_alu instid0(VALU_DEP_2) | instskip(NEXT) | instid1(VALU_DEP_1)
	v_clz_i32_u32_e32 v24, v12
	v_min_u32_e32 v24, 32, v24
	s_delay_alu instid0(VALU_DEP_1) | instskip(SKIP_1) | instid1(VALU_DEP_2)
	v_subrev_nc_u32_e32 v25, 28, v24
	v_sub_nc_u32_e32 v24, 29, v24
	v_lshlrev_b64_e32 v[32:33], v25, v[12:13]
	s_delay_alu instid0(VALU_DEP_1)
	v_and_b32_e32 v12, 7, v32
; %bb.303:                              ;   in Loop: Header=BB166_273 Depth=1
	s_or_b32 exec_lo, exec_lo, s24
	s_delay_alu instid0(VALU_DEP_1) | instskip(SKIP_1) | instid1(VALU_DEP_2)
	v_dual_lshlrev_b32 v25, 24, v29 :: v_dual_lshlrev_b32 v12, 20, v12
	v_lshl_add_u32 v24, v24, 23, 0x3c000000
	v_and_b32_e32 v25, 0x80000000, v25
	s_delay_alu instid0(VALU_DEP_1)
	v_or3_b32 v25, v12, v25, v24
	v_mov_b32_e32 v24, v13
.LBB166_304:                            ;   in Loop: Header=BB166_273 Depth=1
	s_or_b32 exec_lo, exec_lo, s23
.LBB166_305:                            ;   in Loop: Header=BB166_273 Depth=1
	s_delay_alu instid0(SALU_CYCLE_1)
	s_or_b32 exec_lo, exec_lo, s9
.LBB166_306:                            ;   in Loop: Header=BB166_273 Depth=1
	s_delay_alu instid0(SALU_CYCLE_1)
	s_or_b32 exec_lo, exec_lo, s0
	v_dual_add_nc_u32 v31, v57, v30 :: v_dual_bitop2_b32 v19, v19, v21 bitop3:0x54
	v_or_b32_e32 v18, v18, v20
	v_or_b32_e32 v25, v25, v27
	;; [unrolled: 1-line block ×3, first 2 shown]
	v_cmp_eq_u32_e32 vcc_lo, s26, v56
	v_add_nc_u32_e32 v59, 1, v31
	s_wait_kmcnt 0x0
	v_pk_mul_f32 v[20:21], s[8:9], v[18:19] op_sel_hi:[0,1]
	v_add_nc_u32_e32 v51, 2, v31
	v_pk_mul_f32 v[18:19], s[8:9], v[24:25] op_sel_hi:[0,1]
	v_add_nc_u32_e32 v50, 3, v31
	s_and_saveexec_b32 s9, vcc_lo
	s_cbranch_execz .LBB166_308
; %bb.307:                              ;   in Loop: Header=BB166_273 Depth=1
	v_cmp_gt_i32_e64 s0, s34, v31
	s_delay_alu instid0(VALU_DEP_1) | instskip(SKIP_1) | instid1(VALU_DEP_1)
	v_cndmask_b32_e64 v20, 0, v20, s0
	v_cmp_gt_i32_e64 s0, s34, v59
	v_cndmask_b32_e64 v21, 0, v21, s0
	v_cmp_gt_i32_e64 s0, s34, v51
	s_delay_alu instid0(VALU_DEP_1) | instskip(SKIP_1) | instid1(VALU_DEP_1)
	v_cndmask_b32_e64 v18, 0, v18, s0
	v_cmp_gt_i32_e64 s0, s34, v50
	v_cndmask_b32_e64 v19, 0, v19, s0
.LBB166_308:                            ;   in Loop: Header=BB166_273 Depth=1
	s_or_b32 exec_lo, exec_lo, s9
	global_load_b32 v34, v[22:23], off offset:128
	v_mov_b64_e32 v[24:25], 0
	v_mov_b64_e32 v[26:27], 0
	s_mov_b32 s9, exec_lo
	s_wait_loadcnt 0x0
	v_and_b32_e32 v12, 0xff, v34
	s_delay_alu instid0(VALU_DEP_1)
	v_cmpx_ne_u16_e32 0, v12
	s_cbranch_execz .LBB166_316
; %bb.309:                              ;   in Loop: Header=BB166_273 Depth=1
	v_mov_b64_e32 v[26:27], 0x80000000
	s_mov_b32 s23, exec_lo
	v_cmpx_ne_u16_e32 0x80, v12
	s_cbranch_execz .LBB166_315
; %bb.310:                              ;   in Loop: Header=BB166_273 Depth=1
	v_mov_b64_e32 v[26:27], 0x7f800001
	v_and_b32_e32 v28, 0x7f, v34
	s_mov_b32 s24, exec_lo
	s_delay_alu instid0(VALU_DEP_1)
	v_cmpx_ne_u32_e32 0x7f, v28
	s_cbranch_execz .LBB166_314
; %bb.311:                              ;   in Loop: Header=BB166_273 Depth=1
	v_dual_lshrrev_b32 v26, 3, v28 :: v_dual_bitop2_b32 v12, 7, v34 bitop3:0x40
	s_mov_b32 s25, exec_lo
	v_cmpx_gt_u32_e32 8, v28
; %bb.312:                              ;   in Loop: Header=BB166_273 Depth=1
	s_delay_alu instid0(VALU_DEP_2) | instskip(NEXT) | instid1(VALU_DEP_1)
	v_clz_i32_u32_e32 v26, v12
	v_min_u32_e32 v26, 32, v26
	s_delay_alu instid0(VALU_DEP_1) | instskip(NEXT) | instid1(VALU_DEP_1)
	v_subrev_nc_u32_e32 v27, 28, v26
	v_lshlrev_b64_e32 v[28:29], v27, v[12:13]
	s_delay_alu instid0(VALU_DEP_1)
	v_dual_sub_nc_u32 v26, 29, v26 :: v_dual_bitop2_b32 v12, 7, v28 bitop3:0x40
; %bb.313:                              ;   in Loop: Header=BB166_273 Depth=1
	s_or_b32 exec_lo, exec_lo, s25
	s_delay_alu instid0(VALU_DEP_1) | instskip(NEXT) | instid1(VALU_DEP_2)
	v_dual_lshlrev_b32 v27, 24, v34 :: v_dual_lshlrev_b32 v12, 20, v12
	v_lshl_add_u32 v26, v26, 23, 0x3c000000
	s_delay_alu instid0(VALU_DEP_2) | instskip(NEXT) | instid1(VALU_DEP_1)
	v_and_b32_e32 v27, 0x80000000, v27
	v_or3_b32 v12, v12, v27, v26
	s_delay_alu instid0(VALU_DEP_1)
	v_mov_b64_e32 v[26:27], v[12:13]
.LBB166_314:                            ;   in Loop: Header=BB166_273 Depth=1
	s_or_b32 exec_lo, exec_lo, s24
.LBB166_315:                            ;   in Loop: Header=BB166_273 Depth=1
	s_delay_alu instid0(SALU_CYCLE_1)
	s_or_b32 exec_lo, exec_lo, s23
.LBB166_316:                            ;   in Loop: Header=BB166_273 Depth=1
	s_delay_alu instid0(SALU_CYCLE_1) | instskip(SKIP_2) | instid1(VALU_DEP_1)
	s_or_b32 exec_lo, exec_lo, s9
	v_lshrrev_b16 v12, 8, v34
	s_mov_b32 s9, exec_lo
	v_cmpx_ne_u16_e32 0, v12
	s_cbranch_execz .LBB166_324
; %bb.317:                              ;   in Loop: Header=BB166_273 Depth=1
	v_mov_b64_e32 v[24:25], 0x8000000000000000
	s_mov_b32 s23, exec_lo
	v_cmpx_ne_u16_e32 0x80, v12
	s_cbranch_execz .LBB166_323
; %bb.318:                              ;   in Loop: Header=BB166_273 Depth=1
	v_and_b32_e32 v12, 0xffff, v12
	v_mov_b64_e32 v[24:25], 0x7f80000100000000
	s_mov_b32 s24, exec_lo
	s_delay_alu instid0(VALU_DEP_2) | instskip(NEXT) | instid1(VALU_DEP_1)
	v_and_b32_e32 v28, 0x7f, v12
	v_cmpx_ne_u32_e32 0x7f, v28
	s_cbranch_execz .LBB166_322
; %bb.319:                              ;   in Loop: Header=BB166_273 Depth=1
	v_and_b32_e32 v12, 7, v12
	v_lshrrev_b32_e32 v24, 3, v28
	s_mov_b32 s25, exec_lo
	v_cmpx_gt_u32_e32 8, v28
; %bb.320:                              ;   in Loop: Header=BB166_273 Depth=1
	s_delay_alu instid0(VALU_DEP_3) | instskip(NEXT) | instid1(VALU_DEP_1)
	v_clz_i32_u32_e32 v24, v12
	v_min_u32_e32 v24, 32, v24
	s_delay_alu instid0(VALU_DEP_1) | instskip(SKIP_1) | instid1(VALU_DEP_2)
	v_subrev_nc_u32_e32 v25, 28, v24
	v_sub_nc_u32_e32 v24, 29, v24
	v_lshlrev_b64_e32 v[28:29], v25, v[12:13]
	s_delay_alu instid0(VALU_DEP_1)
	v_and_b32_e32 v12, 7, v28
; %bb.321:                              ;   in Loop: Header=BB166_273 Depth=1
	s_or_b32 exec_lo, exec_lo, s25
	s_delay_alu instid0(VALU_DEP_1) | instskip(SKIP_1) | instid1(VALU_DEP_2)
	v_dual_lshlrev_b32 v25, 16, v34 :: v_dual_lshlrev_b32 v12, 20, v12
	v_lshl_add_u32 v24, v24, 23, 0x3c000000
	v_and_b32_e32 v25, 0x80000000, v25
	s_delay_alu instid0(VALU_DEP_1)
	v_or3_b32 v25, v12, v25, v24
	v_mov_b32_e32 v24, v13
.LBB166_322:                            ;   in Loop: Header=BB166_273 Depth=1
	s_or_b32 exec_lo, exec_lo, s24
.LBB166_323:                            ;   in Loop: Header=BB166_273 Depth=1
	s_delay_alu instid0(SALU_CYCLE_1)
	s_or_b32 exec_lo, exec_lo, s23
.LBB166_324:                            ;   in Loop: Header=BB166_273 Depth=1
	s_delay_alu instid0(SALU_CYCLE_1) | instskip(SKIP_4) | instid1(VALU_DEP_3)
	s_or_b32 exec_lo, exec_lo, s9
	v_lshrrev_b32_e32 v35, 16, v34
	v_mov_b64_e32 v[28:29], 0
	v_mov_b64_e32 v[32:33], 0
	s_mov_b32 s9, exec_lo
	v_and_b32_e32 v12, 0xff, v35
	s_delay_alu instid0(VALU_DEP_1)
	v_cmpx_ne_u16_e32 0, v12
	s_cbranch_execz .LBB166_332
; %bb.325:                              ;   in Loop: Header=BB166_273 Depth=1
	v_mov_b64_e32 v[32:33], 0x80000000
	s_mov_b32 s23, exec_lo
	v_cmpx_ne_u16_e32 0x80, v12
	s_cbranch_execz .LBB166_331
; %bb.326:                              ;   in Loop: Header=BB166_273 Depth=1
	v_mov_b64_e32 v[32:33], 0x7f800001
	v_bfe_u32 v36, v34, 16, 7
	s_mov_b32 s24, exec_lo
	s_delay_alu instid0(VALU_DEP_1)
	v_cmpx_ne_u32_e32 0x7f, v36
	s_cbranch_execz .LBB166_330
; %bb.327:                              ;   in Loop: Header=BB166_273 Depth=1
	v_dual_lshrrev_b32 v32, 3, v36 :: v_dual_bitop2_b32 v12, 7, v35 bitop3:0x40
	s_mov_b32 s25, exec_lo
	v_cmpx_gt_u32_e32 8, v36
; %bb.328:                              ;   in Loop: Header=BB166_273 Depth=1
	s_delay_alu instid0(VALU_DEP_2) | instskip(NEXT) | instid1(VALU_DEP_1)
	v_clz_i32_u32_e32 v32, v12
	v_min_u32_e32 v32, 32, v32
	s_delay_alu instid0(VALU_DEP_1) | instskip(SKIP_1) | instid1(VALU_DEP_2)
	v_subrev_nc_u32_e32 v33, 28, v32
	v_sub_nc_u32_e32 v32, 29, v32
	v_lshlrev_b64_e32 v[36:37], v33, v[12:13]
	s_delay_alu instid0(VALU_DEP_1)
	v_and_b32_e32 v12, 7, v36
; %bb.329:                              ;   in Loop: Header=BB166_273 Depth=1
	s_or_b32 exec_lo, exec_lo, s25
	s_delay_alu instid0(VALU_DEP_1) | instskip(SKIP_1) | instid1(VALU_DEP_2)
	v_dual_lshlrev_b32 v33, 24, v35 :: v_dual_lshlrev_b32 v12, 20, v12
	v_lshl_add_u32 v32, v32, 23, 0x3c000000
	v_and_b32_e32 v33, 0x80000000, v33
	s_delay_alu instid0(VALU_DEP_1) | instskip(NEXT) | instid1(VALU_DEP_1)
	v_or3_b32 v12, v12, v33, v32
	v_mov_b64_e32 v[32:33], v[12:13]
.LBB166_330:                            ;   in Loop: Header=BB166_273 Depth=1
	s_or_b32 exec_lo, exec_lo, s24
.LBB166_331:                            ;   in Loop: Header=BB166_273 Depth=1
	s_delay_alu instid0(SALU_CYCLE_1)
	s_or_b32 exec_lo, exec_lo, s23
.LBB166_332:                            ;   in Loop: Header=BB166_273 Depth=1
	s_delay_alu instid0(SALU_CYCLE_1) | instskip(NEXT) | instid1(SALU_CYCLE_1)
	s_or_b32 exec_lo, exec_lo, s9
	s_mov_b32 s9, exec_lo
	v_cmpx_lt_u32_e32 0xffffff, v34
	s_cbranch_execz .LBB166_340
; %bb.333:                              ;   in Loop: Header=BB166_273 Depth=1
	v_mov_b64_e32 v[28:29], 0x8000000000000000
	v_lshrrev_b32_e32 v35, 24, v34
	s_mov_b32 s23, exec_lo
	s_delay_alu instid0(VALU_DEP_1)
	v_cmpx_ne_u32_e32 0x80, v35
	s_cbranch_execz .LBB166_339
; %bb.334:                              ;   in Loop: Header=BB166_273 Depth=1
	v_mov_b64_e32 v[28:29], 0x7f80000100000000
	v_bfe_u32 v34, v34, 24, 7
	s_mov_b32 s24, exec_lo
	s_delay_alu instid0(VALU_DEP_1)
	v_cmpx_ne_u32_e32 0x7f, v34
	s_cbranch_execz .LBB166_338
; %bb.335:                              ;   in Loop: Header=BB166_273 Depth=1
	v_dual_lshrrev_b32 v28, 3, v34 :: v_dual_bitop2_b32 v12, 7, v35 bitop3:0x40
	s_mov_b32 s25, exec_lo
	v_cmpx_gt_u32_e32 8, v34
; %bb.336:                              ;   in Loop: Header=BB166_273 Depth=1
	s_delay_alu instid0(VALU_DEP_2) | instskip(NEXT) | instid1(VALU_DEP_1)
	v_clz_i32_u32_e32 v28, v12
	v_min_u32_e32 v28, 32, v28
	s_delay_alu instid0(VALU_DEP_1) | instskip(SKIP_1) | instid1(VALU_DEP_2)
	v_subrev_nc_u32_e32 v29, 28, v28
	v_sub_nc_u32_e32 v28, 29, v28
	v_lshlrev_b64_e32 v[36:37], v29, v[12:13]
	s_delay_alu instid0(VALU_DEP_1)
	v_and_b32_e32 v12, 7, v36
; %bb.337:                              ;   in Loop: Header=BB166_273 Depth=1
	s_or_b32 exec_lo, exec_lo, s25
	s_delay_alu instid0(VALU_DEP_1) | instskip(SKIP_1) | instid1(VALU_DEP_2)
	v_dual_lshlrev_b32 v29, 24, v35 :: v_dual_lshlrev_b32 v12, 20, v12
	v_lshl_add_u32 v28, v28, 23, 0x3c000000
	v_and_b32_e32 v29, 0x80000000, v29
	s_delay_alu instid0(VALU_DEP_1)
	v_or3_b32 v29, v12, v29, v28
	v_mov_b32_e32 v28, v13
.LBB166_338:                            ;   in Loop: Header=BB166_273 Depth=1
	s_or_b32 exec_lo, exec_lo, s24
.LBB166_339:                            ;   in Loop: Header=BB166_273 Depth=1
	s_delay_alu instid0(SALU_CYCLE_1)
	s_or_b32 exec_lo, exec_lo, s23
.LBB166_340:                            ;   in Loop: Header=BB166_273 Depth=1
	s_delay_alu instid0(SALU_CYCLE_1)
	s_or_b32 exec_lo, exec_lo, s9
	s_mov_b32 s9, s8
	v_or_b32_e32 v25, v25, v27
	v_mov_b64_e32 v[34:35], s[8:9]
	v_or_b32_e32 v24, v24, v26
	v_or_b32_e32 v29, v29, v33
	;; [unrolled: 1-line block ×3, first 2 shown]
	s_delay_alu instid0(VALU_DEP_3) | instskip(NEXT) | instid1(VALU_DEP_2)
	v_pk_mul_f32 v[26:27], v[34:35], v[24:25]
	v_pk_mul_f32 v[24:25], v[34:35], v[28:29]
	s_and_saveexec_b32 s23, vcc_lo
	s_cbranch_execz .LBB166_342
; %bb.341:                              ;   in Loop: Header=BB166_273 Depth=1
	v_cmp_gt_i32_e64 s0, s34, v31
	s_delay_alu instid0(VALU_DEP_1) | instskip(SKIP_1) | instid1(VALU_DEP_1)
	v_cndmask_b32_e64 v26, 0, v26, s0
	v_cmp_gt_i32_e64 s0, s34, v59
	v_cndmask_b32_e64 v27, 0, v27, s0
	v_cmp_gt_i32_e64 s0, s34, v51
	s_delay_alu instid0(VALU_DEP_1) | instskip(SKIP_1) | instid1(VALU_DEP_1)
	v_cndmask_b32_e64 v24, 0, v24, s0
	v_cmp_gt_i32_e64 s0, s34, v50
	v_cndmask_b32_e64 v25, 0, v25, s0
.LBB166_342:                            ;   in Loop: Header=BB166_273 Depth=1
	s_or_b32 exec_lo, exec_lo, s23
	global_load_b32 v38, v[22:23], off offset:256
	v_mov_b64_e32 v[28:29], 0
	v_mov_b64_e32 v[32:33], 0
	s_mov_b32 s23, exec_lo
	s_wait_loadcnt 0x0
	v_and_b32_e32 v12, 0xff, v38
	s_delay_alu instid0(VALU_DEP_1)
	v_cmpx_ne_u16_e32 0, v12
	s_cbranch_execz .LBB166_350
; %bb.343:                              ;   in Loop: Header=BB166_273 Depth=1
	v_mov_b64_e32 v[32:33], 0x80000000
	s_mov_b32 s24, exec_lo
	v_cmpx_ne_u16_e32 0x80, v12
	s_cbranch_execz .LBB166_349
; %bb.344:                              ;   in Loop: Header=BB166_273 Depth=1
	v_mov_b64_e32 v[32:33], 0x7f800001
	v_and_b32_e32 v34, 0x7f, v38
	s_mov_b32 s25, exec_lo
	s_delay_alu instid0(VALU_DEP_1)
	v_cmpx_ne_u32_e32 0x7f, v34
	s_cbranch_execz .LBB166_348
; %bb.345:                              ;   in Loop: Header=BB166_273 Depth=1
	v_and_b32_e32 v12, 7, v38
	v_lshrrev_b32_e32 v32, 3, v34
	s_mov_b32 s27, exec_lo
	v_cmpx_gt_u32_e32 8, v34
; %bb.346:                              ;   in Loop: Header=BB166_273 Depth=1
	s_delay_alu instid0(VALU_DEP_3) | instskip(NEXT) | instid1(VALU_DEP_1)
	v_clz_i32_u32_e32 v32, v12
	v_min_u32_e32 v32, 32, v32
	s_delay_alu instid0(VALU_DEP_1) | instskip(NEXT) | instid1(VALU_DEP_1)
	v_subrev_nc_u32_e32 v33, 28, v32
	v_lshlrev_b64_e32 v[34:35], v33, v[12:13]
	s_delay_alu instid0(VALU_DEP_1)
	v_dual_sub_nc_u32 v32, 29, v32 :: v_dual_bitop2_b32 v12, 7, v34 bitop3:0x40
; %bb.347:                              ;   in Loop: Header=BB166_273 Depth=1
	s_or_b32 exec_lo, exec_lo, s27
	s_delay_alu instid0(VALU_DEP_1) | instskip(NEXT) | instid1(VALU_DEP_2)
	v_dual_lshlrev_b32 v33, 24, v38 :: v_dual_lshlrev_b32 v12, 20, v12
	v_lshl_add_u32 v32, v32, 23, 0x3c000000
	s_delay_alu instid0(VALU_DEP_2) | instskip(NEXT) | instid1(VALU_DEP_1)
	v_and_b32_e32 v33, 0x80000000, v33
	v_or3_b32 v12, v12, v33, v32
	s_delay_alu instid0(VALU_DEP_1)
	v_mov_b64_e32 v[32:33], v[12:13]
.LBB166_348:                            ;   in Loop: Header=BB166_273 Depth=1
	s_or_b32 exec_lo, exec_lo, s25
.LBB166_349:                            ;   in Loop: Header=BB166_273 Depth=1
	s_delay_alu instid0(SALU_CYCLE_1)
	s_or_b32 exec_lo, exec_lo, s24
.LBB166_350:                            ;   in Loop: Header=BB166_273 Depth=1
	s_delay_alu instid0(SALU_CYCLE_1) | instskip(SKIP_2) | instid1(VALU_DEP_1)
	s_or_b32 exec_lo, exec_lo, s23
	v_lshrrev_b16 v12, 8, v38
	s_mov_b32 s23, exec_lo
	v_cmpx_ne_u16_e32 0, v12
	s_cbranch_execz .LBB166_358
; %bb.351:                              ;   in Loop: Header=BB166_273 Depth=1
	v_mov_b64_e32 v[28:29], 0x8000000000000000
	s_mov_b32 s24, exec_lo
	v_cmpx_ne_u16_e32 0x80, v12
	s_cbranch_execz .LBB166_357
; %bb.352:                              ;   in Loop: Header=BB166_273 Depth=1
	v_and_b32_e32 v12, 0xffff, v12
	v_mov_b64_e32 v[28:29], 0x7f80000100000000
	s_mov_b32 s25, exec_lo
	s_delay_alu instid0(VALU_DEP_2) | instskip(NEXT) | instid1(VALU_DEP_1)
	v_and_b32_e32 v34, 0x7f, v12
	v_cmpx_ne_u32_e32 0x7f, v34
	s_cbranch_execz .LBB166_356
; %bb.353:                              ;   in Loop: Header=BB166_273 Depth=1
	v_dual_lshrrev_b32 v28, 3, v34 :: v_dual_bitop2_b32 v12, 7, v12 bitop3:0x40
	s_mov_b32 s27, exec_lo
	v_cmpx_gt_u32_e32 8, v34
; %bb.354:                              ;   in Loop: Header=BB166_273 Depth=1
	s_delay_alu instid0(VALU_DEP_2) | instskip(NEXT) | instid1(VALU_DEP_1)
	v_clz_i32_u32_e32 v28, v12
	v_min_u32_e32 v28, 32, v28
	s_delay_alu instid0(VALU_DEP_1) | instskip(NEXT) | instid1(VALU_DEP_1)
	v_subrev_nc_u32_e32 v29, 28, v28
	v_lshlrev_b64_e32 v[34:35], v29, v[12:13]
	s_delay_alu instid0(VALU_DEP_1)
	v_dual_sub_nc_u32 v28, 29, v28 :: v_dual_bitop2_b32 v12, 7, v34 bitop3:0x40
; %bb.355:                              ;   in Loop: Header=BB166_273 Depth=1
	s_or_b32 exec_lo, exec_lo, s27
	s_delay_alu instid0(VALU_DEP_1) | instskip(NEXT) | instid1(VALU_DEP_2)
	v_dual_lshlrev_b32 v29, 16, v38 :: v_dual_lshlrev_b32 v12, 20, v12
	v_lshl_add_u32 v28, v28, 23, 0x3c000000
	s_delay_alu instid0(VALU_DEP_2) | instskip(NEXT) | instid1(VALU_DEP_1)
	v_and_b32_e32 v29, 0x80000000, v29
	v_or3_b32 v29, v12, v29, v28
	v_mov_b32_e32 v28, v13
.LBB166_356:                            ;   in Loop: Header=BB166_273 Depth=1
	s_or_b32 exec_lo, exec_lo, s25
.LBB166_357:                            ;   in Loop: Header=BB166_273 Depth=1
	s_delay_alu instid0(SALU_CYCLE_1)
	s_or_b32 exec_lo, exec_lo, s24
.LBB166_358:                            ;   in Loop: Header=BB166_273 Depth=1
	s_delay_alu instid0(SALU_CYCLE_1) | instskip(SKIP_4) | instid1(VALU_DEP_3)
	s_or_b32 exec_lo, exec_lo, s23
	v_lshrrev_b32_e32 v39, 16, v38
	v_mov_b64_e32 v[34:35], 0
	v_mov_b64_e32 v[36:37], 0
	s_mov_b32 s23, exec_lo
	v_and_b32_e32 v12, 0xff, v39
	s_delay_alu instid0(VALU_DEP_1)
	v_cmpx_ne_u16_e32 0, v12
	s_cbranch_execz .LBB166_366
; %bb.359:                              ;   in Loop: Header=BB166_273 Depth=1
	v_mov_b64_e32 v[36:37], 0x80000000
	s_mov_b32 s24, exec_lo
	v_cmpx_ne_u16_e32 0x80, v12
	s_cbranch_execz .LBB166_365
; %bb.360:                              ;   in Loop: Header=BB166_273 Depth=1
	v_mov_b64_e32 v[36:37], 0x7f800001
	v_bfe_u32 v40, v38, 16, 7
	s_mov_b32 s25, exec_lo
	s_delay_alu instid0(VALU_DEP_1)
	v_cmpx_ne_u32_e32 0x7f, v40
	s_cbranch_execz .LBB166_364
; %bb.361:                              ;   in Loop: Header=BB166_273 Depth=1
	v_dual_lshrrev_b32 v36, 3, v40 :: v_dual_bitop2_b32 v12, 7, v39 bitop3:0x40
	s_mov_b32 s27, exec_lo
	v_cmpx_gt_u32_e32 8, v40
; %bb.362:                              ;   in Loop: Header=BB166_273 Depth=1
	s_delay_alu instid0(VALU_DEP_2) | instskip(NEXT) | instid1(VALU_DEP_1)
	v_clz_i32_u32_e32 v36, v12
	v_min_u32_e32 v36, 32, v36
	s_delay_alu instid0(VALU_DEP_1) | instskip(SKIP_1) | instid1(VALU_DEP_2)
	v_subrev_nc_u32_e32 v37, 28, v36
	v_sub_nc_u32_e32 v36, 29, v36
	v_lshlrev_b64_e32 v[40:41], v37, v[12:13]
	s_delay_alu instid0(VALU_DEP_1)
	v_and_b32_e32 v12, 7, v40
; %bb.363:                              ;   in Loop: Header=BB166_273 Depth=1
	s_or_b32 exec_lo, exec_lo, s27
	s_delay_alu instid0(VALU_DEP_1) | instskip(SKIP_1) | instid1(VALU_DEP_2)
	v_dual_lshlrev_b32 v37, 24, v39 :: v_dual_lshlrev_b32 v12, 20, v12
	v_lshl_add_u32 v36, v36, 23, 0x3c000000
	v_and_b32_e32 v37, 0x80000000, v37
	s_delay_alu instid0(VALU_DEP_1) | instskip(NEXT) | instid1(VALU_DEP_1)
	v_or3_b32 v12, v12, v37, v36
	v_mov_b64_e32 v[36:37], v[12:13]
.LBB166_364:                            ;   in Loop: Header=BB166_273 Depth=1
	s_or_b32 exec_lo, exec_lo, s25
.LBB166_365:                            ;   in Loop: Header=BB166_273 Depth=1
	s_delay_alu instid0(SALU_CYCLE_1)
	s_or_b32 exec_lo, exec_lo, s24
.LBB166_366:                            ;   in Loop: Header=BB166_273 Depth=1
	s_delay_alu instid0(SALU_CYCLE_1) | instskip(NEXT) | instid1(SALU_CYCLE_1)
	s_or_b32 exec_lo, exec_lo, s23
	s_mov_b32 s23, exec_lo
	v_cmpx_lt_u32_e32 0xffffff, v38
	s_cbranch_execz .LBB166_374
; %bb.367:                              ;   in Loop: Header=BB166_273 Depth=1
	v_mov_b64_e32 v[34:35], 0x8000000000000000
	v_lshrrev_b32_e32 v39, 24, v38
	s_mov_b32 s24, exec_lo
	s_delay_alu instid0(VALU_DEP_1)
	v_cmpx_ne_u32_e32 0x80, v39
	s_cbranch_execz .LBB166_373
; %bb.368:                              ;   in Loop: Header=BB166_273 Depth=1
	v_mov_b64_e32 v[34:35], 0x7f80000100000000
	v_bfe_u32 v38, v38, 24, 7
	s_mov_b32 s25, exec_lo
	s_delay_alu instid0(VALU_DEP_1)
	v_cmpx_ne_u32_e32 0x7f, v38
	s_cbranch_execz .LBB166_372
; %bb.369:                              ;   in Loop: Header=BB166_273 Depth=1
	v_dual_lshrrev_b32 v34, 3, v38 :: v_dual_bitop2_b32 v12, 7, v39 bitop3:0x40
	s_mov_b32 s27, exec_lo
	v_cmpx_gt_u32_e32 8, v38
; %bb.370:                              ;   in Loop: Header=BB166_273 Depth=1
	s_delay_alu instid0(VALU_DEP_2) | instskip(NEXT) | instid1(VALU_DEP_1)
	v_clz_i32_u32_e32 v34, v12
	v_min_u32_e32 v34, 32, v34
	s_delay_alu instid0(VALU_DEP_1) | instskip(NEXT) | instid1(VALU_DEP_1)
	v_subrev_nc_u32_e32 v35, 28, v34
	v_lshlrev_b64_e32 v[40:41], v35, v[12:13]
	s_delay_alu instid0(VALU_DEP_1)
	v_dual_sub_nc_u32 v34, 29, v34 :: v_dual_bitop2_b32 v12, 7, v40 bitop3:0x40
; %bb.371:                              ;   in Loop: Header=BB166_273 Depth=1
	s_or_b32 exec_lo, exec_lo, s27
	s_delay_alu instid0(VALU_DEP_1) | instskip(NEXT) | instid1(VALU_DEP_2)
	v_dual_lshlrev_b32 v35, 24, v39 :: v_dual_lshlrev_b32 v12, 20, v12
	v_lshl_add_u32 v34, v34, 23, 0x3c000000
	s_delay_alu instid0(VALU_DEP_2) | instskip(NEXT) | instid1(VALU_DEP_1)
	v_and_b32_e32 v35, 0x80000000, v35
	v_or3_b32 v35, v12, v35, v34
	v_mov_b32_e32 v34, v13
.LBB166_372:                            ;   in Loop: Header=BB166_273 Depth=1
	s_or_b32 exec_lo, exec_lo, s25
.LBB166_373:                            ;   in Loop: Header=BB166_273 Depth=1
	s_delay_alu instid0(SALU_CYCLE_1)
	s_or_b32 exec_lo, exec_lo, s24
.LBB166_374:                            ;   in Loop: Header=BB166_273 Depth=1
	s_delay_alu instid0(SALU_CYCLE_1)
	s_or_b32 exec_lo, exec_lo, s23
	v_mov_b64_e32 v[38:39], s[8:9]
	v_or_b32_e32 v29, v29, v33
	v_or_b32_e32 v28, v28, v32
	;; [unrolled: 1-line block ×4, first 2 shown]
	s_delay_alu instid0(VALU_DEP_3) | instskip(NEXT) | instid1(VALU_DEP_2)
	v_pk_mul_f32 v[32:33], v[38:39], v[28:29]
	v_pk_mul_f32 v[28:29], v[38:39], v[34:35]
	s_and_saveexec_b32 s23, vcc_lo
	s_cbranch_execz .LBB166_376
; %bb.375:                              ;   in Loop: Header=BB166_273 Depth=1
	v_cmp_gt_i32_e64 s0, s34, v31
	s_delay_alu instid0(VALU_DEP_1) | instskip(SKIP_1) | instid1(VALU_DEP_1)
	v_cndmask_b32_e64 v32, 0, v32, s0
	v_cmp_gt_i32_e64 s0, s34, v59
	v_cndmask_b32_e64 v33, 0, v33, s0
	v_cmp_gt_i32_e64 s0, s34, v51
	s_delay_alu instid0(VALU_DEP_1) | instskip(SKIP_1) | instid1(VALU_DEP_1)
	v_cndmask_b32_e64 v28, 0, v28, s0
	v_cmp_gt_i32_e64 s0, s34, v50
	v_cndmask_b32_e64 v29, 0, v29, s0
.LBB166_376:                            ;   in Loop: Header=BB166_273 Depth=1
	s_or_b32 exec_lo, exec_lo, s23
	global_load_b32 v42, v[22:23], off offset:384
	v_mov_b64_e32 v[34:35], 0
	v_mov_b64_e32 v[36:37], 0
	s_mov_b32 s23, exec_lo
	s_wait_loadcnt 0x0
	v_and_b32_e32 v12, 0xff, v42
	s_delay_alu instid0(VALU_DEP_1)
	v_cmpx_ne_u16_e32 0, v12
	s_cbranch_execz .LBB166_384
; %bb.377:                              ;   in Loop: Header=BB166_273 Depth=1
	v_mov_b64_e32 v[36:37], 0x80000000
	s_mov_b32 s24, exec_lo
	v_cmpx_ne_u16_e32 0x80, v12
	s_cbranch_execz .LBB166_383
; %bb.378:                              ;   in Loop: Header=BB166_273 Depth=1
	v_mov_b64_e32 v[36:37], 0x7f800001
	v_and_b32_e32 v38, 0x7f, v42
	s_mov_b32 s25, exec_lo
	s_delay_alu instid0(VALU_DEP_1)
	v_cmpx_ne_u32_e32 0x7f, v38
	s_cbranch_execz .LBB166_382
; %bb.379:                              ;   in Loop: Header=BB166_273 Depth=1
	v_and_b32_e32 v12, 7, v42
	v_lshrrev_b32_e32 v36, 3, v38
	s_mov_b32 s27, exec_lo
	v_cmpx_gt_u32_e32 8, v38
; %bb.380:                              ;   in Loop: Header=BB166_273 Depth=1
	s_delay_alu instid0(VALU_DEP_3) | instskip(NEXT) | instid1(VALU_DEP_1)
	v_clz_i32_u32_e32 v36, v12
	v_min_u32_e32 v36, 32, v36
	s_delay_alu instid0(VALU_DEP_1) | instskip(NEXT) | instid1(VALU_DEP_1)
	v_subrev_nc_u32_e32 v37, 28, v36
	v_lshlrev_b64_e32 v[38:39], v37, v[12:13]
	s_delay_alu instid0(VALU_DEP_1)
	v_dual_sub_nc_u32 v36, 29, v36 :: v_dual_bitop2_b32 v12, 7, v38 bitop3:0x40
; %bb.381:                              ;   in Loop: Header=BB166_273 Depth=1
	s_or_b32 exec_lo, exec_lo, s27
	s_delay_alu instid0(VALU_DEP_1) | instskip(NEXT) | instid1(VALU_DEP_2)
	v_dual_lshlrev_b32 v37, 24, v42 :: v_dual_lshlrev_b32 v12, 20, v12
	v_lshl_add_u32 v36, v36, 23, 0x3c000000
	s_delay_alu instid0(VALU_DEP_2) | instskip(NEXT) | instid1(VALU_DEP_1)
	v_and_b32_e32 v37, 0x80000000, v37
	v_or3_b32 v12, v12, v37, v36
	s_delay_alu instid0(VALU_DEP_1)
	v_mov_b64_e32 v[36:37], v[12:13]
.LBB166_382:                            ;   in Loop: Header=BB166_273 Depth=1
	s_or_b32 exec_lo, exec_lo, s25
.LBB166_383:                            ;   in Loop: Header=BB166_273 Depth=1
	s_delay_alu instid0(SALU_CYCLE_1)
	s_or_b32 exec_lo, exec_lo, s24
.LBB166_384:                            ;   in Loop: Header=BB166_273 Depth=1
	s_delay_alu instid0(SALU_CYCLE_1) | instskip(SKIP_2) | instid1(VALU_DEP_1)
	s_or_b32 exec_lo, exec_lo, s23
	v_lshrrev_b16 v12, 8, v42
	s_mov_b32 s23, exec_lo
	v_cmpx_ne_u16_e32 0, v12
	s_cbranch_execz .LBB166_392
; %bb.385:                              ;   in Loop: Header=BB166_273 Depth=1
	v_mov_b64_e32 v[34:35], 0x8000000000000000
	s_mov_b32 s24, exec_lo
	v_cmpx_ne_u16_e32 0x80, v12
	s_cbranch_execz .LBB166_391
; %bb.386:                              ;   in Loop: Header=BB166_273 Depth=1
	v_and_b32_e32 v12, 0xffff, v12
	v_mov_b64_e32 v[34:35], 0x7f80000100000000
	s_mov_b32 s25, exec_lo
	s_delay_alu instid0(VALU_DEP_2) | instskip(NEXT) | instid1(VALU_DEP_1)
	v_and_b32_e32 v38, 0x7f, v12
	v_cmpx_ne_u32_e32 0x7f, v38
	s_cbranch_execz .LBB166_390
; %bb.387:                              ;   in Loop: Header=BB166_273 Depth=1
	v_dual_lshrrev_b32 v34, 3, v38 :: v_dual_bitop2_b32 v12, 7, v12 bitop3:0x40
	s_mov_b32 s27, exec_lo
	v_cmpx_gt_u32_e32 8, v38
; %bb.388:                              ;   in Loop: Header=BB166_273 Depth=1
	s_delay_alu instid0(VALU_DEP_2) | instskip(NEXT) | instid1(VALU_DEP_1)
	v_clz_i32_u32_e32 v34, v12
	v_min_u32_e32 v34, 32, v34
	s_delay_alu instid0(VALU_DEP_1) | instskip(SKIP_1) | instid1(VALU_DEP_2)
	v_subrev_nc_u32_e32 v35, 28, v34
	v_sub_nc_u32_e32 v34, 29, v34
	v_lshlrev_b64_e32 v[38:39], v35, v[12:13]
	s_delay_alu instid0(VALU_DEP_1)
	v_and_b32_e32 v12, 7, v38
; %bb.389:                              ;   in Loop: Header=BB166_273 Depth=1
	s_or_b32 exec_lo, exec_lo, s27
	s_delay_alu instid0(VALU_DEP_1) | instskip(SKIP_1) | instid1(VALU_DEP_2)
	v_dual_lshlrev_b32 v35, 16, v42 :: v_dual_lshlrev_b32 v12, 20, v12
	v_lshl_add_u32 v34, v34, 23, 0x3c000000
	v_and_b32_e32 v35, 0x80000000, v35
	s_delay_alu instid0(VALU_DEP_1)
	v_or3_b32 v35, v12, v35, v34
	v_mov_b32_e32 v34, v13
.LBB166_390:                            ;   in Loop: Header=BB166_273 Depth=1
	s_or_b32 exec_lo, exec_lo, s25
.LBB166_391:                            ;   in Loop: Header=BB166_273 Depth=1
	s_delay_alu instid0(SALU_CYCLE_1)
	s_or_b32 exec_lo, exec_lo, s24
.LBB166_392:                            ;   in Loop: Header=BB166_273 Depth=1
	s_delay_alu instid0(SALU_CYCLE_1) | instskip(SKIP_4) | instid1(VALU_DEP_3)
	s_or_b32 exec_lo, exec_lo, s23
	v_lshrrev_b32_e32 v43, 16, v42
	v_mov_b64_e32 v[38:39], 0
	v_mov_b64_e32 v[40:41], 0
	s_mov_b32 s23, exec_lo
	v_and_b32_e32 v12, 0xff, v43
	s_delay_alu instid0(VALU_DEP_1)
	v_cmpx_ne_u16_e32 0, v12
	s_cbranch_execz .LBB166_400
; %bb.393:                              ;   in Loop: Header=BB166_273 Depth=1
	v_mov_b64_e32 v[40:41], 0x80000000
	s_mov_b32 s24, exec_lo
	v_cmpx_ne_u16_e32 0x80, v12
	s_cbranch_execz .LBB166_399
; %bb.394:                              ;   in Loop: Header=BB166_273 Depth=1
	v_mov_b64_e32 v[40:41], 0x7f800001
	v_bfe_u32 v44, v42, 16, 7
	s_mov_b32 s25, exec_lo
	s_delay_alu instid0(VALU_DEP_1)
	v_cmpx_ne_u32_e32 0x7f, v44
	s_cbranch_execz .LBB166_398
; %bb.395:                              ;   in Loop: Header=BB166_273 Depth=1
	v_dual_lshrrev_b32 v40, 3, v44 :: v_dual_bitop2_b32 v12, 7, v43 bitop3:0x40
	s_mov_b32 s27, exec_lo
	v_cmpx_gt_u32_e32 8, v44
; %bb.396:                              ;   in Loop: Header=BB166_273 Depth=1
	s_delay_alu instid0(VALU_DEP_2) | instskip(NEXT) | instid1(VALU_DEP_1)
	v_clz_i32_u32_e32 v40, v12
	v_min_u32_e32 v40, 32, v40
	s_delay_alu instid0(VALU_DEP_1) | instskip(SKIP_1) | instid1(VALU_DEP_2)
	v_subrev_nc_u32_e32 v41, 28, v40
	v_sub_nc_u32_e32 v40, 29, v40
	v_lshlrev_b64_e32 v[44:45], v41, v[12:13]
	s_delay_alu instid0(VALU_DEP_1)
	v_and_b32_e32 v12, 7, v44
; %bb.397:                              ;   in Loop: Header=BB166_273 Depth=1
	s_or_b32 exec_lo, exec_lo, s27
	s_delay_alu instid0(VALU_DEP_1) | instskip(SKIP_1) | instid1(VALU_DEP_2)
	v_dual_lshlrev_b32 v41, 24, v43 :: v_dual_lshlrev_b32 v12, 20, v12
	v_lshl_add_u32 v40, v40, 23, 0x3c000000
	v_and_b32_e32 v41, 0x80000000, v41
	s_delay_alu instid0(VALU_DEP_1) | instskip(NEXT) | instid1(VALU_DEP_1)
	v_or3_b32 v12, v12, v41, v40
	v_mov_b64_e32 v[40:41], v[12:13]
.LBB166_398:                            ;   in Loop: Header=BB166_273 Depth=1
	s_or_b32 exec_lo, exec_lo, s25
.LBB166_399:                            ;   in Loop: Header=BB166_273 Depth=1
	s_delay_alu instid0(SALU_CYCLE_1)
	s_or_b32 exec_lo, exec_lo, s24
.LBB166_400:                            ;   in Loop: Header=BB166_273 Depth=1
	s_delay_alu instid0(SALU_CYCLE_1) | instskip(NEXT) | instid1(SALU_CYCLE_1)
	s_or_b32 exec_lo, exec_lo, s23
	s_mov_b32 s23, exec_lo
	v_cmpx_lt_u32_e32 0xffffff, v42
	s_cbranch_execz .LBB166_408
; %bb.401:                              ;   in Loop: Header=BB166_273 Depth=1
	v_mov_b64_e32 v[38:39], 0x8000000000000000
	v_lshrrev_b32_e32 v43, 24, v42
	s_mov_b32 s24, exec_lo
	s_delay_alu instid0(VALU_DEP_1)
	v_cmpx_ne_u32_e32 0x80, v43
	s_cbranch_execz .LBB166_407
; %bb.402:                              ;   in Loop: Header=BB166_273 Depth=1
	v_mov_b64_e32 v[38:39], 0x7f80000100000000
	v_bfe_u32 v42, v42, 24, 7
	s_mov_b32 s25, exec_lo
	s_delay_alu instid0(VALU_DEP_1)
	v_cmpx_ne_u32_e32 0x7f, v42
	s_cbranch_execz .LBB166_406
; %bb.403:                              ;   in Loop: Header=BB166_273 Depth=1
	v_dual_lshrrev_b32 v38, 3, v42 :: v_dual_bitop2_b32 v12, 7, v43 bitop3:0x40
	s_mov_b32 s27, exec_lo
	v_cmpx_gt_u32_e32 8, v42
; %bb.404:                              ;   in Loop: Header=BB166_273 Depth=1
	s_delay_alu instid0(VALU_DEP_2) | instskip(NEXT) | instid1(VALU_DEP_1)
	v_clz_i32_u32_e32 v38, v12
	v_min_u32_e32 v38, 32, v38
	s_delay_alu instid0(VALU_DEP_1) | instskip(NEXT) | instid1(VALU_DEP_1)
	v_subrev_nc_u32_e32 v39, 28, v38
	v_lshlrev_b64_e32 v[44:45], v39, v[12:13]
	s_delay_alu instid0(VALU_DEP_1)
	v_dual_sub_nc_u32 v38, 29, v38 :: v_dual_bitop2_b32 v12, 7, v44 bitop3:0x40
; %bb.405:                              ;   in Loop: Header=BB166_273 Depth=1
	s_or_b32 exec_lo, exec_lo, s27
	s_delay_alu instid0(VALU_DEP_1) | instskip(NEXT) | instid1(VALU_DEP_2)
	v_dual_lshlrev_b32 v39, 24, v43 :: v_dual_lshlrev_b32 v12, 20, v12
	v_lshl_add_u32 v38, v38, 23, 0x3c000000
	s_delay_alu instid0(VALU_DEP_2) | instskip(NEXT) | instid1(VALU_DEP_1)
	v_and_b32_e32 v39, 0x80000000, v39
	v_or3_b32 v39, v12, v39, v38
	v_mov_b32_e32 v38, v13
.LBB166_406:                            ;   in Loop: Header=BB166_273 Depth=1
	s_or_b32 exec_lo, exec_lo, s25
.LBB166_407:                            ;   in Loop: Header=BB166_273 Depth=1
	s_delay_alu instid0(SALU_CYCLE_1)
	s_or_b32 exec_lo, exec_lo, s24
.LBB166_408:                            ;   in Loop: Header=BB166_273 Depth=1
	s_delay_alu instid0(SALU_CYCLE_1)
	s_or_b32 exec_lo, exec_lo, s23
	v_mov_b64_e32 v[42:43], s[8:9]
	v_or_b32_e32 v35, v35, v37
	v_or_b32_e32 v34, v34, v36
	;; [unrolled: 1-line block ×4, first 2 shown]
	s_delay_alu instid0(VALU_DEP_3) | instskip(NEXT) | instid1(VALU_DEP_2)
	v_pk_mul_f32 v[36:37], v[42:43], v[34:35]
	v_pk_mul_f32 v[34:35], v[42:43], v[38:39]
	s_and_saveexec_b32 s23, vcc_lo
	s_cbranch_execz .LBB166_410
; %bb.409:                              ;   in Loop: Header=BB166_273 Depth=1
	v_cmp_gt_i32_e64 s0, s34, v31
	s_delay_alu instid0(VALU_DEP_1) | instskip(SKIP_1) | instid1(VALU_DEP_1)
	v_cndmask_b32_e64 v36, 0, v36, s0
	v_cmp_gt_i32_e64 s0, s34, v59
	v_cndmask_b32_e64 v37, 0, v37, s0
	v_cmp_gt_i32_e64 s0, s34, v51
	s_delay_alu instid0(VALU_DEP_1) | instskip(SKIP_1) | instid1(VALU_DEP_1)
	v_cndmask_b32_e64 v34, 0, v34, s0
	v_cmp_gt_i32_e64 s0, s34, v50
	v_cndmask_b32_e64 v35, 0, v35, s0
.LBB166_410:                            ;   in Loop: Header=BB166_273 Depth=1
	s_or_b32 exec_lo, exec_lo, s23
	global_load_b32 v46, v[22:23], off offset:512
	v_mov_b64_e32 v[38:39], 0
	v_mov_b64_e32 v[40:41], 0
	s_mov_b32 s23, exec_lo
	s_wait_loadcnt 0x0
	v_and_b32_e32 v12, 0xff, v46
	s_delay_alu instid0(VALU_DEP_1)
	v_cmpx_ne_u16_e32 0, v12
	s_cbranch_execz .LBB166_418
; %bb.411:                              ;   in Loop: Header=BB166_273 Depth=1
	v_mov_b64_e32 v[40:41], 0x80000000
	s_mov_b32 s24, exec_lo
	v_cmpx_ne_u16_e32 0x80, v12
	s_cbranch_execz .LBB166_417
; %bb.412:                              ;   in Loop: Header=BB166_273 Depth=1
	v_mov_b64_e32 v[40:41], 0x7f800001
	v_and_b32_e32 v42, 0x7f, v46
	s_mov_b32 s25, exec_lo
	s_delay_alu instid0(VALU_DEP_1)
	v_cmpx_ne_u32_e32 0x7f, v42
	s_cbranch_execz .LBB166_416
; %bb.413:                              ;   in Loop: Header=BB166_273 Depth=1
	v_and_b32_e32 v12, 7, v46
	v_lshrrev_b32_e32 v40, 3, v42
	s_mov_b32 s27, exec_lo
	v_cmpx_gt_u32_e32 8, v42
; %bb.414:                              ;   in Loop: Header=BB166_273 Depth=1
	s_delay_alu instid0(VALU_DEP_3) | instskip(NEXT) | instid1(VALU_DEP_1)
	v_clz_i32_u32_e32 v40, v12
	v_min_u32_e32 v40, 32, v40
	s_delay_alu instid0(VALU_DEP_1) | instskip(NEXT) | instid1(VALU_DEP_1)
	v_subrev_nc_u32_e32 v41, 28, v40
	v_lshlrev_b64_e32 v[42:43], v41, v[12:13]
	s_delay_alu instid0(VALU_DEP_1)
	v_dual_sub_nc_u32 v40, 29, v40 :: v_dual_bitop2_b32 v12, 7, v42 bitop3:0x40
; %bb.415:                              ;   in Loop: Header=BB166_273 Depth=1
	s_or_b32 exec_lo, exec_lo, s27
	s_delay_alu instid0(VALU_DEP_1) | instskip(NEXT) | instid1(VALU_DEP_2)
	v_dual_lshlrev_b32 v41, 24, v46 :: v_dual_lshlrev_b32 v12, 20, v12
	v_lshl_add_u32 v40, v40, 23, 0x3c000000
	s_delay_alu instid0(VALU_DEP_2) | instskip(NEXT) | instid1(VALU_DEP_1)
	v_and_b32_e32 v41, 0x80000000, v41
	v_or3_b32 v12, v12, v41, v40
	s_delay_alu instid0(VALU_DEP_1)
	v_mov_b64_e32 v[40:41], v[12:13]
.LBB166_416:                            ;   in Loop: Header=BB166_273 Depth=1
	s_or_b32 exec_lo, exec_lo, s25
.LBB166_417:                            ;   in Loop: Header=BB166_273 Depth=1
	s_delay_alu instid0(SALU_CYCLE_1)
	s_or_b32 exec_lo, exec_lo, s24
.LBB166_418:                            ;   in Loop: Header=BB166_273 Depth=1
	s_delay_alu instid0(SALU_CYCLE_1) | instskip(SKIP_2) | instid1(VALU_DEP_1)
	s_or_b32 exec_lo, exec_lo, s23
	v_lshrrev_b16 v12, 8, v46
	s_mov_b32 s23, exec_lo
	v_cmpx_ne_u16_e32 0, v12
	s_cbranch_execz .LBB166_426
; %bb.419:                              ;   in Loop: Header=BB166_273 Depth=1
	v_mov_b64_e32 v[38:39], 0x8000000000000000
	s_mov_b32 s24, exec_lo
	v_cmpx_ne_u16_e32 0x80, v12
	s_cbranch_execz .LBB166_425
; %bb.420:                              ;   in Loop: Header=BB166_273 Depth=1
	v_and_b32_e32 v12, 0xffff, v12
	v_mov_b64_e32 v[38:39], 0x7f80000100000000
	s_mov_b32 s25, exec_lo
	s_delay_alu instid0(VALU_DEP_2) | instskip(NEXT) | instid1(VALU_DEP_1)
	v_and_b32_e32 v42, 0x7f, v12
	v_cmpx_ne_u32_e32 0x7f, v42
	s_cbranch_execz .LBB166_424
; %bb.421:                              ;   in Loop: Header=BB166_273 Depth=1
	v_dual_lshrrev_b32 v38, 3, v42 :: v_dual_bitop2_b32 v12, 7, v12 bitop3:0x40
	s_mov_b32 s27, exec_lo
	v_cmpx_gt_u32_e32 8, v42
; %bb.422:                              ;   in Loop: Header=BB166_273 Depth=1
	s_delay_alu instid0(VALU_DEP_2) | instskip(NEXT) | instid1(VALU_DEP_1)
	v_clz_i32_u32_e32 v38, v12
	v_min_u32_e32 v38, 32, v38
	s_delay_alu instid0(VALU_DEP_1) | instskip(SKIP_1) | instid1(VALU_DEP_2)
	v_subrev_nc_u32_e32 v39, 28, v38
	v_sub_nc_u32_e32 v38, 29, v38
	v_lshlrev_b64_e32 v[42:43], v39, v[12:13]
	s_delay_alu instid0(VALU_DEP_1)
	v_and_b32_e32 v12, 7, v42
; %bb.423:                              ;   in Loop: Header=BB166_273 Depth=1
	s_or_b32 exec_lo, exec_lo, s27
	s_delay_alu instid0(VALU_DEP_1) | instskip(SKIP_1) | instid1(VALU_DEP_2)
	v_dual_lshlrev_b32 v39, 16, v46 :: v_dual_lshlrev_b32 v12, 20, v12
	v_lshl_add_u32 v38, v38, 23, 0x3c000000
	v_and_b32_e32 v39, 0x80000000, v39
	s_delay_alu instid0(VALU_DEP_1)
	v_or3_b32 v39, v12, v39, v38
	v_mov_b32_e32 v38, v13
.LBB166_424:                            ;   in Loop: Header=BB166_273 Depth=1
	s_or_b32 exec_lo, exec_lo, s25
.LBB166_425:                            ;   in Loop: Header=BB166_273 Depth=1
	s_delay_alu instid0(SALU_CYCLE_1)
	s_or_b32 exec_lo, exec_lo, s24
.LBB166_426:                            ;   in Loop: Header=BB166_273 Depth=1
	s_delay_alu instid0(SALU_CYCLE_1) | instskip(SKIP_4) | instid1(VALU_DEP_3)
	s_or_b32 exec_lo, exec_lo, s23
	v_lshrrev_b32_e32 v47, 16, v46
	v_mov_b64_e32 v[42:43], 0
	v_mov_b64_e32 v[44:45], 0
	s_mov_b32 s23, exec_lo
	v_and_b32_e32 v12, 0xff, v47
	s_delay_alu instid0(VALU_DEP_1)
	v_cmpx_ne_u16_e32 0, v12
	s_cbranch_execz .LBB166_434
; %bb.427:                              ;   in Loop: Header=BB166_273 Depth=1
	v_mov_b64_e32 v[44:45], 0x80000000
	s_mov_b32 s24, exec_lo
	v_cmpx_ne_u16_e32 0x80, v12
	s_cbranch_execz .LBB166_433
; %bb.428:                              ;   in Loop: Header=BB166_273 Depth=1
	v_mov_b64_e32 v[44:45], 0x7f800001
	v_bfe_u32 v48, v46, 16, 7
	s_mov_b32 s25, exec_lo
	s_delay_alu instid0(VALU_DEP_1)
	v_cmpx_ne_u32_e32 0x7f, v48
	s_cbranch_execz .LBB166_432
; %bb.429:                              ;   in Loop: Header=BB166_273 Depth=1
	v_dual_lshrrev_b32 v44, 3, v48 :: v_dual_bitop2_b32 v12, 7, v47 bitop3:0x40
	s_mov_b32 s27, exec_lo
	v_cmpx_gt_u32_e32 8, v48
; %bb.430:                              ;   in Loop: Header=BB166_273 Depth=1
	s_delay_alu instid0(VALU_DEP_2) | instskip(NEXT) | instid1(VALU_DEP_1)
	v_clz_i32_u32_e32 v44, v12
	v_min_u32_e32 v44, 32, v44
	s_delay_alu instid0(VALU_DEP_1) | instskip(SKIP_1) | instid1(VALU_DEP_2)
	v_subrev_nc_u32_e32 v45, 28, v44
	v_sub_nc_u32_e32 v44, 29, v44
	v_lshlrev_b64_e32 v[48:49], v45, v[12:13]
	s_delay_alu instid0(VALU_DEP_1)
	v_and_b32_e32 v12, 7, v48
; %bb.431:                              ;   in Loop: Header=BB166_273 Depth=1
	s_or_b32 exec_lo, exec_lo, s27
	s_delay_alu instid0(VALU_DEP_1) | instskip(SKIP_1) | instid1(VALU_DEP_2)
	v_dual_lshlrev_b32 v45, 24, v47 :: v_dual_lshlrev_b32 v12, 20, v12
	v_lshl_add_u32 v44, v44, 23, 0x3c000000
	v_and_b32_e32 v45, 0x80000000, v45
	s_delay_alu instid0(VALU_DEP_1) | instskip(NEXT) | instid1(VALU_DEP_1)
	v_or3_b32 v12, v12, v45, v44
	v_mov_b64_e32 v[44:45], v[12:13]
.LBB166_432:                            ;   in Loop: Header=BB166_273 Depth=1
	s_or_b32 exec_lo, exec_lo, s25
.LBB166_433:                            ;   in Loop: Header=BB166_273 Depth=1
	s_delay_alu instid0(SALU_CYCLE_1)
	s_or_b32 exec_lo, exec_lo, s24
.LBB166_434:                            ;   in Loop: Header=BB166_273 Depth=1
	s_delay_alu instid0(SALU_CYCLE_1) | instskip(NEXT) | instid1(SALU_CYCLE_1)
	s_or_b32 exec_lo, exec_lo, s23
	s_mov_b32 s23, exec_lo
	v_cmpx_lt_u32_e32 0xffffff, v46
	s_cbranch_execz .LBB166_442
; %bb.435:                              ;   in Loop: Header=BB166_273 Depth=1
	v_mov_b64_e32 v[42:43], 0x8000000000000000
	v_lshrrev_b32_e32 v47, 24, v46
	s_mov_b32 s24, exec_lo
	s_delay_alu instid0(VALU_DEP_1)
	v_cmpx_ne_u32_e32 0x80, v47
	s_cbranch_execz .LBB166_441
; %bb.436:                              ;   in Loop: Header=BB166_273 Depth=1
	v_mov_b64_e32 v[42:43], 0x7f80000100000000
	v_bfe_u32 v46, v46, 24, 7
	s_mov_b32 s25, exec_lo
	s_delay_alu instid0(VALU_DEP_1)
	v_cmpx_ne_u32_e32 0x7f, v46
	s_cbranch_execz .LBB166_440
; %bb.437:                              ;   in Loop: Header=BB166_273 Depth=1
	v_dual_lshrrev_b32 v42, 3, v46 :: v_dual_bitop2_b32 v12, 7, v47 bitop3:0x40
	s_mov_b32 s27, exec_lo
	v_cmpx_gt_u32_e32 8, v46
; %bb.438:                              ;   in Loop: Header=BB166_273 Depth=1
	s_delay_alu instid0(VALU_DEP_2) | instskip(NEXT) | instid1(VALU_DEP_1)
	v_clz_i32_u32_e32 v42, v12
	v_min_u32_e32 v42, 32, v42
	s_delay_alu instid0(VALU_DEP_1) | instskip(NEXT) | instid1(VALU_DEP_1)
	v_subrev_nc_u32_e32 v43, 28, v42
	v_lshlrev_b64_e32 v[48:49], v43, v[12:13]
	s_delay_alu instid0(VALU_DEP_1)
	v_dual_sub_nc_u32 v42, 29, v42 :: v_dual_bitop2_b32 v12, 7, v48 bitop3:0x40
; %bb.439:                              ;   in Loop: Header=BB166_273 Depth=1
	s_or_b32 exec_lo, exec_lo, s27
	s_delay_alu instid0(VALU_DEP_1) | instskip(NEXT) | instid1(VALU_DEP_2)
	v_dual_lshlrev_b32 v43, 24, v47 :: v_dual_lshlrev_b32 v12, 20, v12
	v_lshl_add_u32 v42, v42, 23, 0x3c000000
	s_delay_alu instid0(VALU_DEP_2) | instskip(NEXT) | instid1(VALU_DEP_1)
	v_and_b32_e32 v43, 0x80000000, v43
	v_or3_b32 v43, v12, v43, v42
	v_mov_b32_e32 v42, v13
.LBB166_440:                            ;   in Loop: Header=BB166_273 Depth=1
	s_or_b32 exec_lo, exec_lo, s25
.LBB166_441:                            ;   in Loop: Header=BB166_273 Depth=1
	s_delay_alu instid0(SALU_CYCLE_1)
	s_or_b32 exec_lo, exec_lo, s24
.LBB166_442:                            ;   in Loop: Header=BB166_273 Depth=1
	s_delay_alu instid0(SALU_CYCLE_1)
	s_or_b32 exec_lo, exec_lo, s23
	v_mov_b64_e32 v[46:47], s[8:9]
	v_or_b32_e32 v39, v39, v41
	v_or_b32_e32 v38, v38, v40
	;; [unrolled: 1-line block ×4, first 2 shown]
	s_delay_alu instid0(VALU_DEP_3) | instskip(NEXT) | instid1(VALU_DEP_2)
	v_pk_mul_f32 v[40:41], v[46:47], v[38:39]
	v_pk_mul_f32 v[38:39], v[46:47], v[42:43]
	s_and_saveexec_b32 s23, vcc_lo
	s_cbranch_execz .LBB166_444
; %bb.443:                              ;   in Loop: Header=BB166_273 Depth=1
	v_cmp_gt_i32_e64 s0, s34, v31
	s_delay_alu instid0(VALU_DEP_1) | instskip(SKIP_1) | instid1(VALU_DEP_1)
	v_cndmask_b32_e64 v40, 0, v40, s0
	v_cmp_gt_i32_e64 s0, s34, v59
	v_cndmask_b32_e64 v41, 0, v41, s0
	v_cmp_gt_i32_e64 s0, s34, v51
	s_delay_alu instid0(VALU_DEP_1) | instskip(SKIP_1) | instid1(VALU_DEP_1)
	v_cndmask_b32_e64 v38, 0, v38, s0
	v_cmp_gt_i32_e64 s0, s34, v50
	v_cndmask_b32_e64 v39, 0, v39, s0
.LBB166_444:                            ;   in Loop: Header=BB166_273 Depth=1
	s_or_b32 exec_lo, exec_lo, s23
	global_load_b32 v60, v[22:23], off offset:640
	v_mov_b64_e32 v[42:43], 0
	v_mov_b64_e32 v[44:45], 0
	s_mov_b32 s23, exec_lo
	s_wait_loadcnt 0x0
	v_and_b32_e32 v12, 0xff, v60
	s_delay_alu instid0(VALU_DEP_1)
	v_cmpx_ne_u16_e32 0, v12
	s_cbranch_execz .LBB166_452
; %bb.445:                              ;   in Loop: Header=BB166_273 Depth=1
	v_mov_b64_e32 v[44:45], 0x80000000
	s_mov_b32 s24, exec_lo
	v_cmpx_ne_u16_e32 0x80, v12
	s_cbranch_execz .LBB166_451
; %bb.446:                              ;   in Loop: Header=BB166_273 Depth=1
	v_mov_b64_e32 v[44:45], 0x7f800001
	v_and_b32_e32 v46, 0x7f, v60
	s_mov_b32 s25, exec_lo
	s_delay_alu instid0(VALU_DEP_1)
	v_cmpx_ne_u32_e32 0x7f, v46
	s_cbranch_execz .LBB166_450
; %bb.447:                              ;   in Loop: Header=BB166_273 Depth=1
	v_dual_lshrrev_b32 v44, 3, v46 :: v_dual_bitop2_b32 v12, 7, v60 bitop3:0x40
	s_mov_b32 s27, exec_lo
	v_cmpx_gt_u32_e32 8, v46
; %bb.448:                              ;   in Loop: Header=BB166_273 Depth=1
	s_delay_alu instid0(VALU_DEP_2) | instskip(NEXT) | instid1(VALU_DEP_1)
	v_clz_i32_u32_e32 v44, v12
	v_min_u32_e32 v44, 32, v44
	s_delay_alu instid0(VALU_DEP_1) | instskip(NEXT) | instid1(VALU_DEP_1)
	v_subrev_nc_u32_e32 v45, 28, v44
	v_lshlrev_b64_e32 v[46:47], v45, v[12:13]
	s_delay_alu instid0(VALU_DEP_1)
	v_dual_sub_nc_u32 v44, 29, v44 :: v_dual_bitop2_b32 v12, 7, v46 bitop3:0x40
; %bb.449:                              ;   in Loop: Header=BB166_273 Depth=1
	s_or_b32 exec_lo, exec_lo, s27
	v_lshlrev_b32_e32 v45, 24, v60
	s_delay_alu instid0(VALU_DEP_2) | instskip(NEXT) | instid1(VALU_DEP_3)
	v_lshlrev_b32_e32 v12, 20, v12
	v_lshl_add_u32 v44, v44, 23, 0x3c000000
	s_delay_alu instid0(VALU_DEP_3) | instskip(NEXT) | instid1(VALU_DEP_1)
	v_and_b32_e32 v45, 0x80000000, v45
	v_or3_b32 v12, v12, v45, v44
	s_delay_alu instid0(VALU_DEP_1)
	v_mov_b64_e32 v[44:45], v[12:13]
.LBB166_450:                            ;   in Loop: Header=BB166_273 Depth=1
	s_or_b32 exec_lo, exec_lo, s25
.LBB166_451:                            ;   in Loop: Header=BB166_273 Depth=1
	s_delay_alu instid0(SALU_CYCLE_1)
	s_or_b32 exec_lo, exec_lo, s24
.LBB166_452:                            ;   in Loop: Header=BB166_273 Depth=1
	s_delay_alu instid0(SALU_CYCLE_1) | instskip(SKIP_2) | instid1(VALU_DEP_1)
	s_or_b32 exec_lo, exec_lo, s23
	v_lshrrev_b16 v12, 8, v60
	s_mov_b32 s23, exec_lo
	v_cmpx_ne_u16_e32 0, v12
	s_cbranch_execz .LBB166_460
; %bb.453:                              ;   in Loop: Header=BB166_273 Depth=1
	v_mov_b64_e32 v[42:43], 0x8000000000000000
	s_mov_b32 s24, exec_lo
	v_cmpx_ne_u16_e32 0x80, v12
	s_cbranch_execz .LBB166_459
; %bb.454:                              ;   in Loop: Header=BB166_273 Depth=1
	v_and_b32_e32 v12, 0xffff, v12
	v_mov_b64_e32 v[42:43], 0x7f80000100000000
	s_mov_b32 s25, exec_lo
	s_delay_alu instid0(VALU_DEP_2) | instskip(NEXT) | instid1(VALU_DEP_1)
	v_and_b32_e32 v46, 0x7f, v12
	v_cmpx_ne_u32_e32 0x7f, v46
	s_cbranch_execz .LBB166_458
; %bb.455:                              ;   in Loop: Header=BB166_273 Depth=1
	v_dual_lshrrev_b32 v42, 3, v46 :: v_dual_bitop2_b32 v12, 7, v12 bitop3:0x40
	s_mov_b32 s27, exec_lo
	v_cmpx_gt_u32_e32 8, v46
; %bb.456:                              ;   in Loop: Header=BB166_273 Depth=1
	s_delay_alu instid0(VALU_DEP_2) | instskip(NEXT) | instid1(VALU_DEP_1)
	v_clz_i32_u32_e32 v42, v12
	v_min_u32_e32 v42, 32, v42
	s_delay_alu instid0(VALU_DEP_1) | instskip(SKIP_1) | instid1(VALU_DEP_2)
	v_subrev_nc_u32_e32 v43, 28, v42
	v_sub_nc_u32_e32 v42, 29, v42
	v_lshlrev_b64_e32 v[46:47], v43, v[12:13]
	s_delay_alu instid0(VALU_DEP_1)
	v_and_b32_e32 v12, 7, v46
; %bb.457:                              ;   in Loop: Header=BB166_273 Depth=1
	s_or_b32 exec_lo, exec_lo, s27
	v_lshlrev_b32_e32 v43, 16, v60
	s_delay_alu instid0(VALU_DEP_2) | instskip(SKIP_1) | instid1(VALU_DEP_3)
	v_lshlrev_b32_e32 v12, 20, v12
	v_lshl_add_u32 v42, v42, 23, 0x3c000000
	v_and_b32_e32 v43, 0x80000000, v43
	s_delay_alu instid0(VALU_DEP_1)
	v_or3_b32 v43, v12, v43, v42
	v_mov_b32_e32 v42, v13
.LBB166_458:                            ;   in Loop: Header=BB166_273 Depth=1
	s_or_b32 exec_lo, exec_lo, s25
.LBB166_459:                            ;   in Loop: Header=BB166_273 Depth=1
	s_delay_alu instid0(SALU_CYCLE_1)
	s_or_b32 exec_lo, exec_lo, s24
.LBB166_460:                            ;   in Loop: Header=BB166_273 Depth=1
	s_delay_alu instid0(SALU_CYCLE_1) | instskip(SKIP_4) | instid1(VALU_DEP_3)
	s_or_b32 exec_lo, exec_lo, s23
	v_lshrrev_b32_e32 v61, 16, v60
	v_mov_b64_e32 v[46:47], 0
	v_mov_b64_e32 v[48:49], 0
	s_mov_b32 s23, exec_lo
	v_and_b32_e32 v12, 0xff, v61
	s_delay_alu instid0(VALU_DEP_1)
	v_cmpx_ne_u16_e32 0, v12
	s_cbranch_execz .LBB166_468
; %bb.461:                              ;   in Loop: Header=BB166_273 Depth=1
	v_mov_b64_e32 v[48:49], 0x80000000
	s_mov_b32 s24, exec_lo
	v_cmpx_ne_u16_e32 0x80, v12
	s_cbranch_execz .LBB166_467
; %bb.462:                              ;   in Loop: Header=BB166_273 Depth=1
	v_mov_b64_e32 v[48:49], 0x7f800001
	v_bfe_u32 v62, v60, 16, 7
	s_mov_b32 s25, exec_lo
	s_delay_alu instid0(VALU_DEP_1)
	v_cmpx_ne_u32_e32 0x7f, v62
	s_cbranch_execz .LBB166_466
; %bb.463:                              ;   in Loop: Header=BB166_273 Depth=1
	v_dual_lshrrev_b32 v48, 3, v62 :: v_dual_bitop2_b32 v12, 7, v61 bitop3:0x40
	s_mov_b32 s27, exec_lo
	v_cmpx_gt_u32_e32 8, v62
; %bb.464:                              ;   in Loop: Header=BB166_273 Depth=1
	s_delay_alu instid0(VALU_DEP_2) | instskip(NEXT) | instid1(VALU_DEP_1)
	v_clz_i32_u32_e32 v48, v12
	v_min_u32_e32 v48, 32, v48
	s_delay_alu instid0(VALU_DEP_1) | instskip(NEXT) | instid1(VALU_DEP_1)
	v_subrev_nc_u32_e32 v49, 28, v48
	v_lshlrev_b64_e32 v[62:63], v49, v[12:13]
	s_delay_alu instid0(VALU_DEP_1)
	v_dual_sub_nc_u32 v48, 29, v48 :: v_dual_bitop2_b32 v12, 7, v62 bitop3:0x40
; %bb.465:                              ;   in Loop: Header=BB166_273 Depth=1
	s_or_b32 exec_lo, exec_lo, s27
	s_delay_alu instid0(VALU_DEP_1) | instskip(NEXT) | instid1(VALU_DEP_2)
	v_dual_lshlrev_b32 v49, 24, v61 :: v_dual_lshlrev_b32 v12, 20, v12
	v_lshl_add_u32 v48, v48, 23, 0x3c000000
	s_delay_alu instid0(VALU_DEP_2) | instskip(NEXT) | instid1(VALU_DEP_1)
	v_and_b32_e32 v49, 0x80000000, v49
	v_or3_b32 v12, v12, v49, v48
	s_delay_alu instid0(VALU_DEP_1)
	v_mov_b64_e32 v[48:49], v[12:13]
.LBB166_466:                            ;   in Loop: Header=BB166_273 Depth=1
	s_or_b32 exec_lo, exec_lo, s25
.LBB166_467:                            ;   in Loop: Header=BB166_273 Depth=1
	s_delay_alu instid0(SALU_CYCLE_1)
	s_or_b32 exec_lo, exec_lo, s24
.LBB166_468:                            ;   in Loop: Header=BB166_273 Depth=1
	s_delay_alu instid0(SALU_CYCLE_1) | instskip(NEXT) | instid1(SALU_CYCLE_1)
	s_or_b32 exec_lo, exec_lo, s23
	s_mov_b32 s23, exec_lo
	v_cmpx_lt_u32_e32 0xffffff, v60
	s_cbranch_execz .LBB166_476
; %bb.469:                              ;   in Loop: Header=BB166_273 Depth=1
	v_mov_b64_e32 v[46:47], 0x8000000000000000
	v_lshrrev_b32_e32 v61, 24, v60
	s_mov_b32 s24, exec_lo
	s_delay_alu instid0(VALU_DEP_1)
	v_cmpx_ne_u32_e32 0x80, v61
	s_cbranch_execz .LBB166_475
; %bb.470:                              ;   in Loop: Header=BB166_273 Depth=1
	v_mov_b64_e32 v[46:47], 0x7f80000100000000
	v_bfe_u32 v60, v60, 24, 7
	s_mov_b32 s25, exec_lo
	s_delay_alu instid0(VALU_DEP_1)
	v_cmpx_ne_u32_e32 0x7f, v60
	s_cbranch_execz .LBB166_474
; %bb.471:                              ;   in Loop: Header=BB166_273 Depth=1
	v_dual_lshrrev_b32 v46, 3, v60 :: v_dual_bitop2_b32 v12, 7, v61 bitop3:0x40
	s_mov_b32 s27, exec_lo
	v_cmpx_gt_u32_e32 8, v60
; %bb.472:                              ;   in Loop: Header=BB166_273 Depth=1
	s_delay_alu instid0(VALU_DEP_2) | instskip(NEXT) | instid1(VALU_DEP_1)
	v_clz_i32_u32_e32 v46, v12
	v_min_u32_e32 v46, 32, v46
	s_delay_alu instid0(VALU_DEP_1) | instskip(SKIP_1) | instid1(VALU_DEP_2)
	v_subrev_nc_u32_e32 v47, 28, v46
	v_sub_nc_u32_e32 v46, 29, v46
	v_lshlrev_b64_e32 v[62:63], v47, v[12:13]
	s_delay_alu instid0(VALU_DEP_1)
	v_and_b32_e32 v12, 7, v62
; %bb.473:                              ;   in Loop: Header=BB166_273 Depth=1
	s_or_b32 exec_lo, exec_lo, s27
	s_delay_alu instid0(VALU_DEP_1) | instskip(SKIP_1) | instid1(VALU_DEP_2)
	v_dual_lshlrev_b32 v47, 24, v61 :: v_dual_lshlrev_b32 v12, 20, v12
	v_lshl_add_u32 v46, v46, 23, 0x3c000000
	v_and_b32_e32 v47, 0x80000000, v47
	s_delay_alu instid0(VALU_DEP_1)
	v_or3_b32 v47, v12, v47, v46
	v_mov_b32_e32 v46, v13
.LBB166_474:                            ;   in Loop: Header=BB166_273 Depth=1
	s_or_b32 exec_lo, exec_lo, s25
.LBB166_475:                            ;   in Loop: Header=BB166_273 Depth=1
	s_delay_alu instid0(SALU_CYCLE_1)
	s_or_b32 exec_lo, exec_lo, s24
.LBB166_476:                            ;   in Loop: Header=BB166_273 Depth=1
	s_delay_alu instid0(SALU_CYCLE_1)
	s_or_b32 exec_lo, exec_lo, s23
	v_mov_b64_e32 v[60:61], s[8:9]
	v_or_b32_e32 v43, v43, v45
	v_or_b32_e32 v42, v42, v44
	;; [unrolled: 1-line block ×4, first 2 shown]
	s_delay_alu instid0(VALU_DEP_3) | instskip(NEXT) | instid1(VALU_DEP_2)
	v_pk_mul_f32 v[44:45], v[60:61], v[42:43]
	v_pk_mul_f32 v[42:43], v[60:61], v[46:47]
	s_and_saveexec_b32 s23, vcc_lo
	s_cbranch_execz .LBB166_478
; %bb.477:                              ;   in Loop: Header=BB166_273 Depth=1
	v_cmp_gt_i32_e64 s0, s34, v31
	s_delay_alu instid0(VALU_DEP_1) | instskip(SKIP_1) | instid1(VALU_DEP_1)
	v_cndmask_b32_e64 v44, 0, v44, s0
	v_cmp_gt_i32_e64 s0, s34, v59
	v_cndmask_b32_e64 v45, 0, v45, s0
	v_cmp_gt_i32_e64 s0, s34, v51
	s_delay_alu instid0(VALU_DEP_1) | instskip(SKIP_1) | instid1(VALU_DEP_1)
	v_cndmask_b32_e64 v42, 0, v42, s0
	v_cmp_gt_i32_e64 s0, s34, v50
	v_cndmask_b32_e64 v43, 0, v43, s0
.LBB166_478:                            ;   in Loop: Header=BB166_273 Depth=1
	s_or_b32 exec_lo, exec_lo, s23
	global_load_b32 v60, v[22:23], off offset:768
	s_wait_xcnt 0x0
	v_mov_b64_e32 v[22:23], 0
	v_mov_b64_e32 v[46:47], 0
	s_mov_b32 s23, exec_lo
	s_wait_loadcnt 0x0
	v_and_b32_e32 v12, 0xff, v60
	s_delay_alu instid0(VALU_DEP_1)
	v_cmpx_ne_u16_e32 0, v12
	s_cbranch_execz .LBB166_486
; %bb.479:                              ;   in Loop: Header=BB166_273 Depth=1
	v_mov_b64_e32 v[46:47], 0x80000000
	s_mov_b32 s24, exec_lo
	v_cmpx_ne_u16_e32 0x80, v12
	s_cbranch_execz .LBB166_485
; %bb.480:                              ;   in Loop: Header=BB166_273 Depth=1
	v_mov_b64_e32 v[46:47], 0x7f800001
	v_and_b32_e32 v48, 0x7f, v60
	s_mov_b32 s25, exec_lo
	s_delay_alu instid0(VALU_DEP_1)
	v_cmpx_ne_u32_e32 0x7f, v48
	s_cbranch_execz .LBB166_484
; %bb.481:                              ;   in Loop: Header=BB166_273 Depth=1
	v_and_b32_e32 v12, 7, v60
	v_lshrrev_b32_e32 v46, 3, v48
	s_mov_b32 s27, exec_lo
	v_cmpx_gt_u32_e32 8, v48
; %bb.482:                              ;   in Loop: Header=BB166_273 Depth=1
	s_delay_alu instid0(VALU_DEP_3) | instskip(NEXT) | instid1(VALU_DEP_1)
	v_clz_i32_u32_e32 v46, v12
	v_min_u32_e32 v46, 32, v46
	s_delay_alu instid0(VALU_DEP_1) | instskip(NEXT) | instid1(VALU_DEP_1)
	v_subrev_nc_u32_e32 v47, 28, v46
	v_lshlrev_b64_e32 v[48:49], v47, v[12:13]
	s_delay_alu instid0(VALU_DEP_1)
	v_dual_sub_nc_u32 v46, 29, v46 :: v_dual_bitop2_b32 v12, 7, v48 bitop3:0x40
; %bb.483:                              ;   in Loop: Header=BB166_273 Depth=1
	s_or_b32 exec_lo, exec_lo, s27
	v_lshlrev_b32_e32 v47, 24, v60
	s_delay_alu instid0(VALU_DEP_2) | instskip(NEXT) | instid1(VALU_DEP_3)
	v_lshlrev_b32_e32 v12, 20, v12
	v_lshl_add_u32 v46, v46, 23, 0x3c000000
	s_delay_alu instid0(VALU_DEP_3) | instskip(NEXT) | instid1(VALU_DEP_1)
	v_and_b32_e32 v47, 0x80000000, v47
	v_or3_b32 v12, v12, v47, v46
	s_delay_alu instid0(VALU_DEP_1)
	v_mov_b64_e32 v[46:47], v[12:13]
.LBB166_484:                            ;   in Loop: Header=BB166_273 Depth=1
	s_or_b32 exec_lo, exec_lo, s25
.LBB166_485:                            ;   in Loop: Header=BB166_273 Depth=1
	s_delay_alu instid0(SALU_CYCLE_1)
	s_or_b32 exec_lo, exec_lo, s24
.LBB166_486:                            ;   in Loop: Header=BB166_273 Depth=1
	s_delay_alu instid0(SALU_CYCLE_1) | instskip(SKIP_2) | instid1(VALU_DEP_1)
	s_or_b32 exec_lo, exec_lo, s23
	v_lshrrev_b16 v12, 8, v60
	s_mov_b32 s23, exec_lo
	v_cmpx_ne_u16_e32 0, v12
	s_cbranch_execz .LBB166_494
; %bb.487:                              ;   in Loop: Header=BB166_273 Depth=1
	v_mov_b64_e32 v[22:23], 0x8000000000000000
	s_mov_b32 s24, exec_lo
	v_cmpx_ne_u16_e32 0x80, v12
	s_cbranch_execz .LBB166_493
; %bb.488:                              ;   in Loop: Header=BB166_273 Depth=1
	v_and_b32_e32 v12, 0xffff, v12
	v_mov_b64_e32 v[22:23], 0x7f80000100000000
	s_mov_b32 s25, exec_lo
	s_delay_alu instid0(VALU_DEP_2) | instskip(NEXT) | instid1(VALU_DEP_1)
	v_and_b32_e32 v48, 0x7f, v12
	v_cmpx_ne_u32_e32 0x7f, v48
	s_cbranch_execz .LBB166_492
; %bb.489:                              ;   in Loop: Header=BB166_273 Depth=1
	v_and_b32_e32 v12, 7, v12
	v_lshrrev_b32_e32 v22, 3, v48
	s_mov_b32 s27, exec_lo
	v_cmpx_gt_u32_e32 8, v48
; %bb.490:                              ;   in Loop: Header=BB166_273 Depth=1
	s_delay_alu instid0(VALU_DEP_3) | instskip(NEXT) | instid1(VALU_DEP_1)
	v_clz_i32_u32_e32 v22, v12
	v_min_u32_e32 v22, 32, v22
	s_delay_alu instid0(VALU_DEP_1) | instskip(NEXT) | instid1(VALU_DEP_1)
	v_subrev_nc_u32_e32 v23, 28, v22
	v_lshlrev_b64_e32 v[48:49], v23, v[12:13]
	s_delay_alu instid0(VALU_DEP_1)
	v_dual_sub_nc_u32 v22, 29, v22 :: v_dual_bitop2_b32 v12, 7, v48 bitop3:0x40
; %bb.491:                              ;   in Loop: Header=BB166_273 Depth=1
	s_or_b32 exec_lo, exec_lo, s27
	v_lshlrev_b32_e32 v23, 16, v60
	s_delay_alu instid0(VALU_DEP_2) | instskip(NEXT) | instid1(VALU_DEP_3)
	v_lshlrev_b32_e32 v12, 20, v12
	v_lshl_add_u32 v22, v22, 23, 0x3c000000
	s_delay_alu instid0(VALU_DEP_3) | instskip(NEXT) | instid1(VALU_DEP_1)
	v_and_b32_e32 v23, 0x80000000, v23
	v_or3_b32 v23, v12, v23, v22
	v_mov_b32_e32 v22, v13
.LBB166_492:                            ;   in Loop: Header=BB166_273 Depth=1
	s_or_b32 exec_lo, exec_lo, s25
.LBB166_493:                            ;   in Loop: Header=BB166_273 Depth=1
	s_delay_alu instid0(SALU_CYCLE_1)
	s_or_b32 exec_lo, exec_lo, s24
.LBB166_494:                            ;   in Loop: Header=BB166_273 Depth=1
	s_delay_alu instid0(SALU_CYCLE_1) | instskip(SKIP_4) | instid1(VALU_DEP_3)
	s_or_b32 exec_lo, exec_lo, s23
	v_lshrrev_b32_e32 v61, 16, v60
	v_mov_b64_e32 v[48:49], 0
	v_mov_b64_e32 v[50:51], 0
	s_mov_b32 s23, exec_lo
	v_and_b32_e32 v12, 0xff, v61
	s_delay_alu instid0(VALU_DEP_1)
	v_cmpx_ne_u16_e32 0, v12
	s_cbranch_execz .LBB166_502
; %bb.495:                              ;   in Loop: Header=BB166_273 Depth=1
	v_mov_b64_e32 v[50:51], 0x80000000
	s_mov_b32 s24, exec_lo
	v_cmpx_ne_u16_e32 0x80, v12
	s_cbranch_execz .LBB166_501
; %bb.496:                              ;   in Loop: Header=BB166_273 Depth=1
	v_mov_b64_e32 v[50:51], 0x7f800001
	v_bfe_u32 v62, v60, 16, 7
	s_mov_b32 s25, exec_lo
	s_delay_alu instid0(VALU_DEP_1)
	v_cmpx_ne_u32_e32 0x7f, v62
	s_cbranch_execz .LBB166_500
; %bb.497:                              ;   in Loop: Header=BB166_273 Depth=1
	v_dual_lshrrev_b32 v50, 3, v62 :: v_dual_bitop2_b32 v12, 7, v61 bitop3:0x40
	s_mov_b32 s27, exec_lo
	v_cmpx_gt_u32_e32 8, v62
; %bb.498:                              ;   in Loop: Header=BB166_273 Depth=1
	s_delay_alu instid0(VALU_DEP_2) | instskip(NEXT) | instid1(VALU_DEP_1)
	v_clz_i32_u32_e32 v50, v12
	v_min_u32_e32 v50, 32, v50
	s_delay_alu instid0(VALU_DEP_1) | instskip(SKIP_1) | instid1(VALU_DEP_2)
	v_subrev_nc_u32_e32 v51, 28, v50
	v_sub_nc_u32_e32 v50, 29, v50
	v_lshlrev_b64_e32 v[62:63], v51, v[12:13]
	s_delay_alu instid0(VALU_DEP_1)
	v_and_b32_e32 v12, 7, v62
; %bb.499:                              ;   in Loop: Header=BB166_273 Depth=1
	s_or_b32 exec_lo, exec_lo, s27
	s_delay_alu instid0(VALU_DEP_1) | instskip(SKIP_1) | instid1(VALU_DEP_2)
	v_dual_lshlrev_b32 v51, 24, v61 :: v_dual_lshlrev_b32 v12, 20, v12
	v_lshl_add_u32 v50, v50, 23, 0x3c000000
	v_and_b32_e32 v51, 0x80000000, v51
	s_delay_alu instid0(VALU_DEP_1) | instskip(NEXT) | instid1(VALU_DEP_1)
	v_or3_b32 v12, v12, v51, v50
	v_mov_b64_e32 v[50:51], v[12:13]
.LBB166_500:                            ;   in Loop: Header=BB166_273 Depth=1
	s_or_b32 exec_lo, exec_lo, s25
.LBB166_501:                            ;   in Loop: Header=BB166_273 Depth=1
	s_delay_alu instid0(SALU_CYCLE_1)
	s_or_b32 exec_lo, exec_lo, s24
.LBB166_502:                            ;   in Loop: Header=BB166_273 Depth=1
	s_delay_alu instid0(SALU_CYCLE_1) | instskip(NEXT) | instid1(SALU_CYCLE_1)
	s_or_b32 exec_lo, exec_lo, s23
	s_mov_b32 s23, exec_lo
	v_cmpx_lt_u32_e32 0xffffff, v60
	s_cbranch_execz .LBB166_510
; %bb.503:                              ;   in Loop: Header=BB166_273 Depth=1
	v_mov_b64_e32 v[48:49], 0x8000000000000000
	v_lshrrev_b32_e32 v61, 24, v60
	s_mov_b32 s24, exec_lo
	s_delay_alu instid0(VALU_DEP_1)
	v_cmpx_ne_u32_e32 0x80, v61
	s_cbranch_execz .LBB166_509
; %bb.504:                              ;   in Loop: Header=BB166_273 Depth=1
	v_mov_b64_e32 v[48:49], 0x7f80000100000000
	v_bfe_u32 v60, v60, 24, 7
	s_mov_b32 s25, exec_lo
	s_delay_alu instid0(VALU_DEP_1)
	v_cmpx_ne_u32_e32 0x7f, v60
	s_cbranch_execz .LBB166_508
; %bb.505:                              ;   in Loop: Header=BB166_273 Depth=1
	v_dual_lshrrev_b32 v48, 3, v60 :: v_dual_bitop2_b32 v12, 7, v61 bitop3:0x40
	s_mov_b32 s27, exec_lo
	v_cmpx_gt_u32_e32 8, v60
; %bb.506:                              ;   in Loop: Header=BB166_273 Depth=1
	s_delay_alu instid0(VALU_DEP_2) | instskip(NEXT) | instid1(VALU_DEP_1)
	v_clz_i32_u32_e32 v48, v12
	v_min_u32_e32 v48, 32, v48
	s_delay_alu instid0(VALU_DEP_1) | instskip(NEXT) | instid1(VALU_DEP_1)
	v_subrev_nc_u32_e32 v49, 28, v48
	v_lshlrev_b64_e32 v[62:63], v49, v[12:13]
	s_delay_alu instid0(VALU_DEP_1)
	v_dual_sub_nc_u32 v48, 29, v48 :: v_dual_bitop2_b32 v12, 7, v62 bitop3:0x40
; %bb.507:                              ;   in Loop: Header=BB166_273 Depth=1
	s_or_b32 exec_lo, exec_lo, s27
	s_delay_alu instid0(VALU_DEP_1) | instskip(NEXT) | instid1(VALU_DEP_2)
	v_dual_lshlrev_b32 v49, 24, v61 :: v_dual_lshlrev_b32 v12, 20, v12
	v_lshl_add_u32 v48, v48, 23, 0x3c000000
	s_delay_alu instid0(VALU_DEP_2) | instskip(NEXT) | instid1(VALU_DEP_1)
	v_and_b32_e32 v49, 0x80000000, v49
	v_or3_b32 v49, v12, v49, v48
	v_mov_b32_e32 v48, v13
.LBB166_508:                            ;   in Loop: Header=BB166_273 Depth=1
	s_or_b32 exec_lo, exec_lo, s25
.LBB166_509:                            ;   in Loop: Header=BB166_273 Depth=1
	s_delay_alu instid0(SALU_CYCLE_1)
	s_or_b32 exec_lo, exec_lo, s24
.LBB166_510:                            ;   in Loop: Header=BB166_273 Depth=1
	s_delay_alu instid0(SALU_CYCLE_1)
	s_or_b32 exec_lo, exec_lo, s23
	v_mov_b64_e32 v[60:61], s[8:9]
	v_or_b32_e32 v23, v23, v47
	v_or_b32_e32 v22, v22, v46
	;; [unrolled: 1-line block ×4, first 2 shown]
	s_delay_alu instid0(VALU_DEP_3) | instskip(NEXT) | instid1(VALU_DEP_2)
	v_pk_mul_f32 v[46:47], v[60:61], v[22:23]
	v_pk_mul_f32 v[22:23], v[60:61], v[48:49]
	s_and_saveexec_b32 s0, vcc_lo
	s_cbranch_execz .LBB166_271
; %bb.511:                              ;   in Loop: Header=BB166_273 Depth=1
	v_cmp_gt_i32_e32 vcc_lo, s18, v59
	v_or_b32_e32 v48, 2, v31
	v_cndmask_b32_e32 v47, 0, v47, vcc_lo
	v_cmp_gt_i32_e32 vcc_lo, s34, v31
	v_dual_cndmask_b32 v46, 0, v46, vcc_lo :: v_dual_bitop2_b32 v12, 3, v31 bitop3:0x54
	s_delay_alu instid0(VALU_DEP_1)
	v_cmp_gt_i32_e32 vcc_lo, s18, v12
	v_cndmask_b32_e32 v23, 0, v23, vcc_lo
	v_cmp_gt_i32_e32 vcc_lo, s34, v48
	v_cndmask_b32_e32 v22, 0, v22, vcc_lo
	s_branch .LBB166_271
.LBB166_512:
	s_or_b32 exec_lo, exec_lo, s19
.LBB166_513:
	s_delay_alu instid0(SALU_CYCLE_1)
	s_or_b32 exec_lo, exec_lo, s1
	ds_bpermute_b32 v2, v53, v10
	ds_bpermute_b32 v3, v53, v11
	ds_bpermute_b32 v4, v53, v8
	ds_bpermute_b32 v5, v53, v9
	ds_bpermute_b32 v14, v53, v6
	ds_bpermute_b32 v15, v53, v7
	v_and_b32_e32 v16, 0x3c1, v0
	v_lshrrev_b32_e32 v12, 1, v52
	s_mov_b32 s0, exec_lo
	ds_bpermute_b32 v13, v53, v55
	s_wait_dscnt 0x0
	s_barrier_signal -1
	s_barrier_wait -1
	v_pk_add_f32 v[10:11], v[10:11], v[2:3]
	v_pk_add_f32 v[4:5], v[8:9], v[4:5]
	;; [unrolled: 1-line block ×3, first 2 shown]
	v_cmpx_ne_u32_e32 64, v16
	s_xor_b32 s0, exec_lo, s0
	s_delay_alu instid0(SALU_CYCLE_1)
	s_or_saveexec_b32 s0, s0
	v_add_f32_e32 v6, v55, v13
	v_lshl_add_u32 v7, v12, 2, 0x1e0
	v_mul_u32_u24_e32 v1, 0x1c0, v1
	s_xor_b32 exec_lo, exec_lo, s0
	s_cbranch_execz .LBB166_515
; %bb.514:
	s_delay_alu instid0(VALU_DEP_1) | instskip(NEXT) | instid1(VALU_DEP_1)
	v_add_nc_u32_e32 v8, v7, v1
	v_add_nc_u32_e32 v9, 0xfffffc80, v8
	;; [unrolled: 1-line block ×8, first 2 shown]
	ds_store_b32 v9, v10
	ds_store_b32 v13, v11
	;; [unrolled: 1-line block ×7, first 2 shown]
.LBB166_515:
	s_or_b32 exec_lo, exec_lo, s0
	v_lshlrev_b32_e32 v8, 2, v12
	s_mov_b32 s1, exec_lo
	v_cmp_eq_u32_e32 vcc_lo, 0, v54
	s_wait_dscnt 0x0
	s_barrier_signal -1
	v_add3_u32 v1, 0x1e0, v1, v8
	s_barrier_wait -1
	v_cmpx_gt_u32_e32 64, v0
	s_cbranch_execz .LBB166_525
; %bb.516:
	s_and_saveexec_b32 s0, vcc_lo
	s_cbranch_execnz .LBB166_540
; %bb.517:
	s_or_b32 exec_lo, exec_lo, s0
	s_and_saveexec_b32 s0, vcc_lo
	s_cbranch_execnz .LBB166_541
.LBB166_518:
	s_or_b32 exec_lo, exec_lo, s0
	s_and_saveexec_b32 s0, vcc_lo
	s_cbranch_execnz .LBB166_542
.LBB166_519:
	s_or_b32 exec_lo, exec_lo, s0
	s_and_saveexec_b32 s0, vcc_lo
	s_cbranch_execnz .LBB166_543
.LBB166_520:
	s_or_b32 exec_lo, exec_lo, s0
	s_and_saveexec_b32 s0, vcc_lo
	s_cbranch_execnz .LBB166_544
.LBB166_521:
	s_or_b32 exec_lo, exec_lo, s0
	s_and_saveexec_b32 s0, vcc_lo
	s_cbranch_execnz .LBB166_545
.LBB166_522:
	s_or_b32 exec_lo, exec_lo, s0
	s_and_saveexec_b32 s0, vcc_lo
	s_cbranch_execz .LBB166_524
.LBB166_523:
	ds_load_b32 v8, v1 offset:384
	s_wait_dscnt 0x0
	v_add_f32_e32 v6, v6, v8
.LBB166_524:
	s_or_b32 exec_lo, exec_lo, s0
.LBB166_525:
	s_delay_alu instid0(SALU_CYCLE_1) | instskip(SKIP_4) | instid1(VALU_DEP_1)
	s_or_b32 exec_lo, exec_lo, s1
	v_and_b32_e32 v8, 0x3e1, v0
	s_mov_b32 s1, exec_lo
	s_barrier_signal -1
	s_barrier_wait -1
	v_cmpx_eq_u32_e32 32, v8
	s_cbranch_execz .LBB166_527
; %bb.526:
	ds_store_2addr_b32 v7, v10, v11 offset1:16
	ds_store_2addr_b32 v7, v4, v5 offset0:32 offset1:48
	ds_store_2addr_b32 v7, v2, v3 offset0:64 offset1:80
	ds_store_b32 v7, v6 offset:384
.LBB166_527:
	s_or_b32 exec_lo, exec_lo, s1
	s_delay_alu instid0(SALU_CYCLE_1)
	s_mov_b32 s1, exec_lo
	s_wait_dscnt 0x0
	s_barrier_signal -1
	s_barrier_wait -1
	v_cmpx_gt_u32_e32 32, v0
	s_cbranch_execz .LBB166_537
; %bb.528:
	s_and_saveexec_b32 s0, vcc_lo
	s_cbranch_execnz .LBB166_546
; %bb.529:
	s_or_b32 exec_lo, exec_lo, s0
	s_and_saveexec_b32 s0, vcc_lo
	s_cbranch_execnz .LBB166_547
.LBB166_530:
	s_or_b32 exec_lo, exec_lo, s0
	s_and_saveexec_b32 s0, vcc_lo
	s_cbranch_execnz .LBB166_548
.LBB166_531:
	s_or_b32 exec_lo, exec_lo, s0
	s_and_saveexec_b32 s0, vcc_lo
	s_cbranch_execnz .LBB166_549
.LBB166_532:
	s_or_b32 exec_lo, exec_lo, s0
	s_and_saveexec_b32 s0, vcc_lo
	s_cbranch_execnz .LBB166_550
.LBB166_533:
	s_or_b32 exec_lo, exec_lo, s0
	s_and_saveexec_b32 s0, vcc_lo
	s_cbranch_execnz .LBB166_551
.LBB166_534:
	s_or_b32 exec_lo, exec_lo, s0
	s_and_saveexec_b32 s0, vcc_lo
	s_cbranch_execz .LBB166_536
.LBB166_535:
	ds_load_b32 v1, v1 offset:384
	s_wait_dscnt 0x0
	v_add_f32_e32 v6, v6, v1
.LBB166_536:
	s_or_b32 exec_lo, exec_lo, s0
.LBB166_537:
	s_delay_alu instid0(SALU_CYCLE_1)
	s_or_b32 exec_lo, exec_lo, s1
	s_mov_b32 s1, 0
	s_barrier_signal -1
	s_barrier_wait -1
	s_mov_b32 s0, exec_lo
	v_cmpx_eq_u32_e32 0, v8
	s_cbranch_execz .LBB166_539
; %bb.538:
	s_mul_i32 s0, s33, s7
	s_mul_i32 s2, s7, s6
	;; [unrolled: 1-line block ×3, first 2 shown]
	s_wait_kmcnt 0x0
	s_lshr_b32 s8, ttmp7, 16
	s_mul_i32 s6, s0, 0x70
	s_bfe_u32 s0, ttmp6, 0x40014
	s_ashr_i32 s7, s6, 31
	s_add_co_i32 s0, s0, 1
	s_lshl_b64 s[6:7], s[6:7], 2
	s_ashr_i32 s3, s2, 31
	s_add_nc_u64 s[4:5], s[4:5], s[6:7]
	s_mul_i32 s0, s8, s0
	s_bfe_u32 s6, ttmp6, 0x40008
	s_lshl_b64 s[2:3], s[2:3], 2
	s_add_co_i32 s6, s6, s0
	s_cmp_eq_u32 s30, 0
	v_lshlrev_b32_e32 v0, 1, v0
	s_cselect_b32 s0, s8, s6
	s_add_nc_u64 s[2:3], s[4:5], s[2:3]
	s_mulk_i32 s0, 0x1c0
	s_delay_alu instid0(SALU_CYCLE_1)
	s_add_nc_u64 s[0:1], s[2:3], s[0:1]
	s_clause 0x6
	global_store_b32 v0, v10, s[0:1]
	global_store_b32 v0, v11, s[0:1] offset:64
	global_store_b32 v0, v4, s[0:1] offset:128
	;; [unrolled: 1-line block ×6, first 2 shown]
.LBB166_539:
	s_sendmsg sendmsg(MSG_DEALLOC_VGPRS)
	s_endpgm
.LBB166_540:
	ds_load_b32 v8, v1
	s_wait_dscnt 0x0
	v_add_f32_e32 v10, v10, v8
	s_or_b32 exec_lo, exec_lo, s0
	s_and_saveexec_b32 s0, vcc_lo
	s_cbranch_execz .LBB166_518
.LBB166_541:
	ds_load_b32 v8, v1 offset:64
	s_wait_dscnt 0x0
	v_add_f32_e32 v11, v11, v8
	s_or_b32 exec_lo, exec_lo, s0
	s_and_saveexec_b32 s0, vcc_lo
	s_cbranch_execz .LBB166_519
.LBB166_542:
	ds_load_b32 v8, v1 offset:128
	s_wait_dscnt 0x0
	v_add_f32_e32 v4, v4, v8
	s_or_b32 exec_lo, exec_lo, s0
	s_and_saveexec_b32 s0, vcc_lo
	s_cbranch_execz .LBB166_520
.LBB166_543:
	ds_load_b32 v8, v1 offset:192
	s_wait_dscnt 0x0
	v_add_f32_e32 v5, v5, v8
	s_or_b32 exec_lo, exec_lo, s0
	s_and_saveexec_b32 s0, vcc_lo
	s_cbranch_execz .LBB166_521
.LBB166_544:
	ds_load_b32 v8, v1 offset:256
	s_wait_dscnt 0x0
	v_add_f32_e32 v2, v2, v8
	s_or_b32 exec_lo, exec_lo, s0
	s_and_saveexec_b32 s0, vcc_lo
	s_cbranch_execz .LBB166_522
.LBB166_545:
	ds_load_b32 v8, v1 offset:320
	s_wait_dscnt 0x0
	v_add_f32_e32 v3, v3, v8
	s_or_b32 exec_lo, exec_lo, s0
	s_and_saveexec_b32 s0, vcc_lo
	s_cbranch_execnz .LBB166_523
	s_branch .LBB166_524
.LBB166_546:
	ds_load_b32 v7, v1
	s_wait_dscnt 0x0
	v_add_f32_e32 v10, v10, v7
	s_or_b32 exec_lo, exec_lo, s0
	s_and_saveexec_b32 s0, vcc_lo
	s_cbranch_execz .LBB166_530
.LBB166_547:
	ds_load_b32 v7, v1 offset:64
	s_wait_dscnt 0x0
	v_add_f32_e32 v11, v11, v7
	s_or_b32 exec_lo, exec_lo, s0
	s_and_saveexec_b32 s0, vcc_lo
	s_cbranch_execz .LBB166_531
.LBB166_548:
	ds_load_b32 v7, v1 offset:128
	s_wait_dscnt 0x0
	v_add_f32_e32 v4, v4, v7
	s_or_b32 exec_lo, exec_lo, s0
	s_and_saveexec_b32 s0, vcc_lo
	s_cbranch_execz .LBB166_532
.LBB166_549:
	ds_load_b32 v7, v1 offset:192
	s_wait_dscnt 0x0
	v_add_f32_e32 v5, v5, v7
	s_or_b32 exec_lo, exec_lo, s0
	s_and_saveexec_b32 s0, vcc_lo
	s_cbranch_execz .LBB166_533
.LBB166_550:
	ds_load_b32 v7, v1 offset:256
	s_wait_dscnt 0x0
	v_add_f32_e32 v2, v2, v7
	s_or_b32 exec_lo, exec_lo, s0
	s_and_saveexec_b32 s0, vcc_lo
	s_cbranch_execz .LBB166_534
.LBB166_551:
	ds_load_b32 v7, v1 offset:320
	s_wait_dscnt 0x0
	v_add_f32_e32 v3, v3, v7
	s_or_b32 exec_lo, exec_lo, s0
	s_and_saveexec_b32 s0, vcc_lo
	s_cbranch_execnz .LBB166_535
	s_branch .LBB166_536
	.section	.rodata,"a",@progbits
	.p2align	6, 0x0
	.amdhsa_kernel _ZN4vllm25paged_attention_v1_kernelIfhLi112ELi8ELi128ELNS_18Fp8KVCacheDataTypeE1ELb1EEEvPT_PKS2_PKT0_S8_ifPKiSA_iPKfiiiSC_SC_iiiii
		.amdhsa_group_segment_fixed_size 480
		.amdhsa_private_segment_fixed_size 0
		.amdhsa_kernarg_size 384
		.amdhsa_user_sgpr_count 2
		.amdhsa_user_sgpr_dispatch_ptr 0
		.amdhsa_user_sgpr_queue_ptr 0
		.amdhsa_user_sgpr_kernarg_segment_ptr 1
		.amdhsa_user_sgpr_dispatch_id 0
		.amdhsa_user_sgpr_kernarg_preload_length 0
		.amdhsa_user_sgpr_kernarg_preload_offset 0
		.amdhsa_user_sgpr_private_segment_size 0
		.amdhsa_wavefront_size32 1
		.amdhsa_uses_dynamic_stack 0
		.amdhsa_enable_private_segment 0
		.amdhsa_system_sgpr_workgroup_id_x 1
		.amdhsa_system_sgpr_workgroup_id_y 1
		.amdhsa_system_sgpr_workgroup_id_z 1
		.amdhsa_system_sgpr_workgroup_info 0
		.amdhsa_system_vgpr_workitem_id 0
		.amdhsa_next_free_vgpr 80
		.amdhsa_next_free_sgpr 46
		.amdhsa_named_barrier_count 0
		.amdhsa_reserve_vcc 1
		.amdhsa_float_round_mode_32 0
		.amdhsa_float_round_mode_16_64 0
		.amdhsa_float_denorm_mode_32 3
		.amdhsa_float_denorm_mode_16_64 3
		.amdhsa_fp16_overflow 0
		.amdhsa_memory_ordered 1
		.amdhsa_forward_progress 1
		.amdhsa_inst_pref_size 150
		.amdhsa_round_robin_scheduling 0
		.amdhsa_exception_fp_ieee_invalid_op 0
		.amdhsa_exception_fp_denorm_src 0
		.amdhsa_exception_fp_ieee_div_zero 0
		.amdhsa_exception_fp_ieee_overflow 0
		.amdhsa_exception_fp_ieee_underflow 0
		.amdhsa_exception_fp_ieee_inexact 0
		.amdhsa_exception_int_div_zero 0
	.end_amdhsa_kernel
	.section	.text._ZN4vllm25paged_attention_v1_kernelIfhLi112ELi8ELi128ELNS_18Fp8KVCacheDataTypeE1ELb1EEEvPT_PKS2_PKT0_S8_ifPKiSA_iPKfiiiSC_SC_iiiii,"axG",@progbits,_ZN4vllm25paged_attention_v1_kernelIfhLi112ELi8ELi128ELNS_18Fp8KVCacheDataTypeE1ELb1EEEvPT_PKS2_PKT0_S8_ifPKiSA_iPKfiiiSC_SC_iiiii,comdat
.Lfunc_end166:
	.size	_ZN4vllm25paged_attention_v1_kernelIfhLi112ELi8ELi128ELNS_18Fp8KVCacheDataTypeE1ELb1EEEvPT_PKS2_PKT0_S8_ifPKiSA_iPKfiiiSC_SC_iiiii, .Lfunc_end166-_ZN4vllm25paged_attention_v1_kernelIfhLi112ELi8ELi128ELNS_18Fp8KVCacheDataTypeE1ELb1EEEvPT_PKS2_PKT0_S8_ifPKiSA_iPKfiiiSC_SC_iiiii
                                        ; -- End function
	.set _ZN4vllm25paged_attention_v1_kernelIfhLi112ELi8ELi128ELNS_18Fp8KVCacheDataTypeE1ELb1EEEvPT_PKS2_PKT0_S8_ifPKiSA_iPKfiiiSC_SC_iiiii.num_vgpr, 80
	.set _ZN4vllm25paged_attention_v1_kernelIfhLi112ELi8ELi128ELNS_18Fp8KVCacheDataTypeE1ELb1EEEvPT_PKS2_PKT0_S8_ifPKiSA_iPKfiiiSC_SC_iiiii.num_agpr, 0
	.set _ZN4vllm25paged_attention_v1_kernelIfhLi112ELi8ELi128ELNS_18Fp8KVCacheDataTypeE1ELb1EEEvPT_PKS2_PKT0_S8_ifPKiSA_iPKfiiiSC_SC_iiiii.numbered_sgpr, 46
	.set _ZN4vllm25paged_attention_v1_kernelIfhLi112ELi8ELi128ELNS_18Fp8KVCacheDataTypeE1ELb1EEEvPT_PKS2_PKT0_S8_ifPKiSA_iPKfiiiSC_SC_iiiii.num_named_barrier, 0
	.set _ZN4vllm25paged_attention_v1_kernelIfhLi112ELi8ELi128ELNS_18Fp8KVCacheDataTypeE1ELb1EEEvPT_PKS2_PKT0_S8_ifPKiSA_iPKfiiiSC_SC_iiiii.private_seg_size, 0
	.set _ZN4vllm25paged_attention_v1_kernelIfhLi112ELi8ELi128ELNS_18Fp8KVCacheDataTypeE1ELb1EEEvPT_PKS2_PKT0_S8_ifPKiSA_iPKfiiiSC_SC_iiiii.uses_vcc, 1
	.set _ZN4vllm25paged_attention_v1_kernelIfhLi112ELi8ELi128ELNS_18Fp8KVCacheDataTypeE1ELb1EEEvPT_PKS2_PKT0_S8_ifPKiSA_iPKfiiiSC_SC_iiiii.uses_flat_scratch, 0
	.set _ZN4vllm25paged_attention_v1_kernelIfhLi112ELi8ELi128ELNS_18Fp8KVCacheDataTypeE1ELb1EEEvPT_PKS2_PKT0_S8_ifPKiSA_iPKfiiiSC_SC_iiiii.has_dyn_sized_stack, 0
	.set _ZN4vllm25paged_attention_v1_kernelIfhLi112ELi8ELi128ELNS_18Fp8KVCacheDataTypeE1ELb1EEEvPT_PKS2_PKT0_S8_ifPKiSA_iPKfiiiSC_SC_iiiii.has_recursion, 0
	.set _ZN4vllm25paged_attention_v1_kernelIfhLi112ELi8ELi128ELNS_18Fp8KVCacheDataTypeE1ELb1EEEvPT_PKS2_PKT0_S8_ifPKiSA_iPKfiiiSC_SC_iiiii.has_indirect_call, 0
	.section	.AMDGPU.csdata,"",@progbits
; Kernel info:
; codeLenInByte = 19180
; TotalNumSgprs: 48
; NumVgprs: 80
; ScratchSize: 0
; MemoryBound: 0
; FloatMode: 240
; IeeeMode: 1
; LDSByteSize: 480 bytes/workgroup (compile time only)
; SGPRBlocks: 0
; VGPRBlocks: 4
; NumSGPRsForWavesPerEU: 48
; NumVGPRsForWavesPerEU: 80
; NamedBarCnt: 0
; Occupancy: 12
; WaveLimiterHint : 1
; COMPUTE_PGM_RSRC2:SCRATCH_EN: 0
; COMPUTE_PGM_RSRC2:USER_SGPR: 2
; COMPUTE_PGM_RSRC2:TRAP_HANDLER: 0
; COMPUTE_PGM_RSRC2:TGID_X_EN: 1
; COMPUTE_PGM_RSRC2:TGID_Y_EN: 1
; COMPUTE_PGM_RSRC2:TGID_Z_EN: 1
; COMPUTE_PGM_RSRC2:TIDIG_COMP_CNT: 0
	.section	.text._ZN4vllm25paged_attention_v1_kernelIfhLi120ELi8ELi128ELNS_18Fp8KVCacheDataTypeE1ELb1EEEvPT_PKS2_PKT0_S8_ifPKiSA_iPKfiiiSC_SC_iiiii,"axG",@progbits,_ZN4vllm25paged_attention_v1_kernelIfhLi120ELi8ELi128ELNS_18Fp8KVCacheDataTypeE1ELb1EEEvPT_PKS2_PKT0_S8_ifPKiSA_iPKfiiiSC_SC_iiiii,comdat
	.protected	_ZN4vllm25paged_attention_v1_kernelIfhLi120ELi8ELi128ELNS_18Fp8KVCacheDataTypeE1ELb1EEEvPT_PKS2_PKT0_S8_ifPKiSA_iPKfiiiSC_SC_iiiii ; -- Begin function _ZN4vllm25paged_attention_v1_kernelIfhLi120ELi8ELi128ELNS_18Fp8KVCacheDataTypeE1ELb1EEEvPT_PKS2_PKT0_S8_ifPKiSA_iPKfiiiSC_SC_iiiii
	.globl	_ZN4vllm25paged_attention_v1_kernelIfhLi120ELi8ELi128ELNS_18Fp8KVCacheDataTypeE1ELb1EEEvPT_PKS2_PKT0_S8_ifPKiSA_iPKfiiiSC_SC_iiiii
	.p2align	8
	.type	_ZN4vllm25paged_attention_v1_kernelIfhLi120ELi8ELi128ELNS_18Fp8KVCacheDataTypeE1ELb1EEEvPT_PKS2_PKT0_S8_ifPKiSA_iPKfiiiSC_SC_iiiii,@function
_ZN4vllm25paged_attention_v1_kernelIfhLi120ELi8ELi128ELNS_18Fp8KVCacheDataTypeE1ELb1EEEvPT_PKS2_PKT0_S8_ifPKiSA_iPKfiiiSC_SC_iiiii: ; @_ZN4vllm25paged_attention_v1_kernelIfhLi120ELi8ELi128ELNS_18Fp8KVCacheDataTypeE1ELb1EEEvPT_PKS2_PKT0_S8_ifPKiSA_iPKfiiiSC_SC_iiiii
; %bb.0:
	s_load_b64 s[26:27], s[0:1], 0x20
	s_bfe_u32 s3, ttmp6, 0x4000c
	s_bfe_u32 s4, ttmp6, 0x40010
	s_and_b32 s6, ttmp7, 0xffff
	s_add_co_i32 s3, s3, 1
	s_add_co_i32 s4, s4, 1
	s_and_b32 s2, ttmp6, 15
	s_bfe_u32 s5, ttmp6, 0x40004
	s_mul_i32 s3, ttmp9, s3
	s_mul_i32 s4, s6, s4
	s_getreg_b32 s30, hwreg(HW_REG_IB_STS2, 6, 4)
	s_add_co_i32 s2, s2, s3
	s_add_co_i32 s3, s5, s4
	s_cmp_eq_u32 s30, 0
	s_clause 0x1
	s_load_b32 s31, s[0:1], 0x80
	s_load_b64 s[4:5], s[0:1], 0x30
	s_cselect_b32 s33, s6, s3
	s_cselect_b32 s2, ttmp9, s2
	s_wait_kmcnt 0x0
	s_abs_i32 s3, s26
	s_delay_alu instid0(SALU_CYCLE_1) | instskip(SKIP_1) | instid1(SALU_CYCLE_2)
	s_cvt_f32_u32 s6, s3
	s_sub_co_i32 s7, 0, s3
	v_rcp_iflag_f32_e32 v1, s6
	s_abs_i32 s8, s31
	v_nop
	s_delay_alu instid0(TRANS32_DEP_1) | instskip(SKIP_1) | instid1(SALU_CYCLE_3)
	v_readfirstlane_b32 s6, v1
	s_mul_f32 s6, s6, 0x4f7ffffe
	s_cvt_u32_f32 s6, s6
	s_delay_alu instid0(SALU_CYCLE_3) | instskip(NEXT) | instid1(SALU_CYCLE_1)
	s_mul_i32 s7, s7, s6
	s_mul_hi_u32 s7, s6, s7
	s_delay_alu instid0(SALU_CYCLE_1) | instskip(SKIP_4) | instid1(SALU_CYCLE_1)
	s_add_co_i32 s6, s6, s7
	s_xor_b32 s7, s31, s26
	s_mul_hi_u32 s6, s8, s6
	s_ashr_i32 s7, s7, 31
	s_mul_i32 s9, s6, s3
	s_sub_co_i32 s8, s8, s9
	s_add_co_i32 s9, s6, 1
	s_sub_co_i32 s10, s8, s3
	s_cmp_ge_u32 s8, s3
	s_cselect_b32 s6, s9, s6
	s_cselect_b32 s8, s10, s8
	s_add_co_i32 s9, s6, 1
	s_cmp_ge_u32 s8, s3
	s_load_b64 s[10:11], s[0:1], 0x40
	s_cselect_b32 s3, s9, s6
	s_mov_b32 s9, 0
	s_xor_b32 s3, s3, s7
	s_abs_i32 s8, s2
	s_sub_co_i32 s12, s3, s7
	s_mov_b32 s7, s9
	s_abs_i32 s19, s12
	s_mov_b32 s36, s9
	s_cvt_f32_u32 s3, s19
	s_sub_co_i32 s6, 0, s19
	s_delay_alu instid0(SALU_CYCLE_2) | instskip(SKIP_1) | instid1(TRANS32_DEP_1)
	v_rcp_iflag_f32_e32 v1, s3
	v_nop
	v_readfirstlane_b32 s3, v1
	s_mul_f32 s3, s3, 0x4f7ffffe
	s_delay_alu instid0(SALU_CYCLE_3) | instskip(NEXT) | instid1(SALU_CYCLE_3)
	s_cvt_u32_f32 s3, s3
	s_mul_i32 s6, s6, s3
	s_delay_alu instid0(SALU_CYCLE_1) | instskip(NEXT) | instid1(SALU_CYCLE_1)
	s_mul_hi_u32 s6, s3, s6
	s_add_co_i32 s6, s3, s6
	s_wait_kmcnt 0x0
	s_cmp_eq_u64 s[10:11], 0
	s_cbranch_scc1 .LBB167_2
; %bb.1:
	s_ashr_i32 s3, s2, 31
	s_delay_alu instid0(SALU_CYCLE_1) | instskip(NEXT) | instid1(SALU_CYCLE_1)
	s_lshl_b64 s[14:15], s[2:3], 2
	s_add_nc_u64 s[10:11], s[10:11], s[14:15]
	s_load_b32 s36, s[10:11], 0x0
.LBB167_2:
	s_load_b32 s34, s[4:5], s33 offset:0x0 scale_offset
	s_load_b96 s[16:18], s[0:1], 0x48
	v_and_b32_e32 v2, 3, v0
	s_wait_xcnt 0x0
	s_mul_u64 s[4:5], s[8:9], s[6:7]
	s_ashr_i32 s3, s2, 31
	s_ashr_i32 s10, s12, 31
	s_mul_i32 s6, s2, 0x78
	s_mov_b32 s4, exec_lo
	v_cmpx_gt_u32_e32 0x78, v0
	s_cbranch_execz .LBB167_4
; %bb.3:
	s_load_b64 s[12:13], s[0:1], 0x8
	s_wait_kmcnt 0x0
	s_mul_i32 s14, s16, s33
	s_ashr_i32 s7, s6, 31
	s_ashr_i32 s15, s14, 31
	v_and_b32_e32 v3, 0x3fc, v0
	s_lshl_b64 s[14:15], s[14:15], 2
	s_delay_alu instid0(VALU_DEP_1) | instskip(SKIP_2) | instid1(SALU_CYCLE_1)
	v_mad_u32_u24 v3, 0x78, v2, v3
	s_add_nc_u64 s[12:13], s[12:13], s[14:15]
	s_lshl_b64 s[14:15], s[6:7], 2
	s_add_nc_u64 s[12:13], s[12:13], s[14:15]
	global_load_b32 v1, v0, s[12:13] scale_offset
	s_wait_loadcnt 0x0
	ds_store_b32 v3, v1
.LBB167_4:
	s_or_b32 exec_lo, exec_lo, s4
	s_load_b128 s[12:15], s[0:1], 0x68
	s_mul_i32 s4, s5, s19
	s_xor_b32 s3, s3, s10
	s_sub_co_i32 s4, s8, s4
	s_add_co_i32 s7, s5, 1
	s_sub_co_i32 s8, s4, s19
	s_cmp_ge_u32 s4, s19
	s_mov_b32 s9, -1
	s_cselect_b32 s5, s7, s5
	s_cselect_b32 s4, s8, s4
	s_add_co_i32 s8, s5, 1
	s_cmp_ge_u32 s4, s19
	s_load_b32 s7, s[0:1], 0x78
	s_cselect_b32 s4, s8, s5
	s_wait_kmcnt 0x0
	s_add_co_i32 s8, s34, -1
	s_xor_b32 s4, s4, s3
	s_wait_dscnt 0x0
	s_sub_co_i32 s3, s4, s3
	s_barrier_signal -1
	s_barrier_wait -1
	s_abs_i32 s16, s15
	s_delay_alu instid0(SALU_CYCLE_1) | instskip(NEXT) | instid1(SALU_CYCLE_3)
	s_cvt_f32_u32 s5, s16
                                        ; implicit-def: $sgpr35
	v_rcp_iflag_f32_e32 v1, s5
	v_nop
	s_delay_alu instid0(TRANS32_DEP_1) | instskip(SKIP_1) | instid1(SALU_CYCLE_3)
	v_readfirstlane_b32 s5, v1
	s_mul_f32 s4, s5, 0x4f7ffffe
	s_cvt_u32_f32 s10, s4
	s_sub_co_i32 s4, 0, s16
	s_delay_alu instid0(SALU_CYCLE_2)
	s_mul_i32 s5, s4, s10
	s_abs_i32 s4, s8
	s_mul_hi_u32 s11, s10, s5
	s_mov_b32 s5, 0
	s_add_co_i32 s20, s10, s11
	s_cmp_lt_i32 s7, 0
	s_mov_b32 s21, s5
	s_cbranch_scc0 .LBB167_6
; %bb.5:
	s_mul_i32 s9, s12, s26
	s_delay_alu instid0(SALU_CYCLE_1) | instskip(NEXT) | instid1(SALU_CYCLE_1)
	s_add_co_i32 s9, s3, s9
	s_mul_i32 s9, s9, s7
	s_delay_alu instid0(SALU_CYCLE_1)
	s_sub_co_i32 s35, 1, s9
	s_mov_b32 s9, s5
.LBB167_6:
	s_ashr_i32 s8, s8, 31
	s_ashr_i32 s15, s15, 31
	s_and_not1_b32 vcc_lo, exec_lo, s9
	s_mul_u64 s[28:29], s[4:5], s[20:21]
	s_cbranch_vccnz .LBB167_8
; %bb.7:
	s_mul_i32 s5, s31, s12
	s_delay_alu instid0(SALU_CYCLE_1) | instskip(NEXT) | instid1(SALU_CYCLE_1)
	s_add_co_i32 s2, s5, s2
	s_mul_i32 s2, s2, s7
	s_delay_alu instid0(SALU_CYCLE_1)
	s_add_co_i32 s35, s2, 1
.LBB167_8:
	s_clause 0x1
	s_load_b32 s2, s[0:1], 0x38
	s_load_b64 s[22:23], s[0:1], 0x28
	s_mul_i32 s7, s29, s16
	s_xor_b32 s5, s8, s15
	s_sub_co_i32 s4, s4, s7
	s_add_co_i32 s12, s29, 1
	s_clause 0x1
	s_load_b32 s7, s[0:1], 0x88
	s_load_b128 s[8:11], s[0:1], 0x58
	v_dual_lshrrev_b32 v1, 5, v0 :: v_dual_lshrrev_b32 v31, 3, v0
	v_mov_b32_e32 v47, 0xff7fffff
	v_mbcnt_lo_u32_b32 v44, -1, 0
	s_mul_i32 s18, s3, s18
	s_delay_alu instid0(VALU_DEP_3)
	v_lshlrev_b32_e32 v30, 3, v1
	s_mov_b32 s37, exec_lo
	s_wait_kmcnt 0x0
	s_mul_i32 s24, s2, s33
	s_sub_co_i32 s2, s4, s16
	s_ashr_i32 s25, s24, 31
	s_cmp_ge_u32 s4, s16
	s_cselect_b32 s12, s12, s29
	s_cselect_b32 s2, s2, s4
	s_add_co_i32 s4, s12, 1
	s_cmp_ge_u32 s2, s16
	s_cselect_b32 s2, s4, s12
	s_add_co_i32 s4, s34, 7
	s_delay_alu instid0(SALU_CYCLE_1) | instskip(NEXT) | instid1(SALU_CYCLE_1)
	s_ashr_i32 s12, s4, 31
	s_lshr_b32 s12, s12, 29
	s_delay_alu instid0(SALU_CYCLE_1) | instskip(NEXT) | instid1(SALU_CYCLE_1)
	s_add_co_i32 s4, s4, s12
	s_ashr_i32 s26, s4, 3
	s_xor_b32 s4, s2, s5
	v_cmp_le_i32_e64 s2, s26, v1
	s_sub_co_i32 s12, s4, s5
	v_cmpx_gt_i32_e64 s26, v1
	s_cbranch_execz .LBB167_260
; %bb.9:
	s_sub_co_i32 s38, s12, s13
	s_ashr_i32 s19, s18, 31
	s_cmp_neq_f32 s36, 0
	s_load_b64 s[4:5], s[0:1], 0x10
	v_bfe_u32 v45, v0, 2, 3
	v_dual_mov_b32 v33, 0 :: v_dual_lshlrev_b32 v34, 3, v1
	s_cselect_b32 vcc_lo, -1, 0
	s_abs_i32 s39, s14
	s_delay_alu instid0(VALU_DEP_1)
	v_dual_mov_b32 v3, v33 :: v_dual_lshlrev_b32 v32, 4, v45
	s_cvt_f32_u32 s28, s39
	v_subrev_nc_u32_e32 v6, s34, v45
	v_lshlrev_b32_e32 v5, 2, v45
	s_lshl_b64 s[40:41], s[24:25], 2
	v_rcp_iflag_f32_e32 v4, s28
	s_sub_co_i32 s42, 0, s39
	v_add_nc_u32_e32 v48, 1, v6
	v_lshl_or_b32 v7, v1, 5, v5
	v_cmp_eq_u32_e64 s3, 0, v2
	v_mul_u32_u24_e32 v46, 0x78, v2
	v_dual_mov_b32 v50, 0xff7fffff :: v_dual_mov_b32 v47, 0xff7fffff
	v_readfirstlane_b32 s28, v4
	s_wait_kmcnt 0x0
	s_add_nc_u64 s[4:5], s[4:5], s[18:19]
	v_add_nc_u32_e32 v49, 0x200, v7
	v_add_nc_u64_e32 v[4:5], s[4:5], v[32:33]
	v_and_b32_e32 v32, 0x7c, v31
	s_mul_f32 s19, s28, 0x4f7ffffe
	s_add_nc_u64 s[4:5], s[22:23], s[40:41]
	v_mov_b32_e32 v51, v1
	s_mov_b32 s29, 0
	s_cvt_u32_f32 s28, s19
	v_add_nc_u64_e32 v[36:37], s[4:5], v[32:33]
	v_add_nc_u64_e32 v[38:39], v[4:5], v[2:3]
	s_mov_b32 s19, s17
	s_mul_i32 s42, s42, s28
	s_mov_b32 s40, s29
	s_mul_hi_u32 s4, s28, s42
	s_delay_alu instid0(SALU_CYCLE_1)
	s_add_co_i32 s28, s28, s4
	s_branch .LBB167_12
.LBB167_10:                             ;   in Loop: Header=BB167_12 Depth=1
	s_or_b32 exec_lo, exec_lo, s41
.LBB167_11:                             ;   in Loop: Header=BB167_12 Depth=1
	s_delay_alu instid0(SALU_CYCLE_1) | instskip(SKIP_3) | instid1(VALU_DEP_3)
	s_or_b32 exec_lo, exec_lo, s5
	v_dual_add_nc_u32 v51, 4, v51 :: v_dual_add_nc_u32 v34, 32, v34
	v_add_nc_u64_e32 v[36:37], 16, v[36:37]
	v_add_nc_u32_e32 v49, 0x80, v49
	v_cmp_le_i32_e64 s4, s26, v51
	s_or_b32 s40, s4, s40
	s_delay_alu instid0(SALU_CYCLE_1)
	s_and_not1_b32 exec_lo, exec_lo, s40
	s_cbranch_execz .LBB167_259
.LBB167_12:                             ; =>This Inner Loop Header: Depth=1
	v_mov_b32_e32 v35, v33
	s_wait_dscnt 0x0
	s_delay_alu instid0(VALU_DEP_1) | instskip(NEXT) | instid1(VALU_DEP_1)
	v_mul_u64_e32 v[2:3], s[20:21], v[34:35]
	v_mul_lo_u32 v2, v3, s16
	s_delay_alu instid0(VALU_DEP_1) | instskip(NEXT) | instid1(VALU_DEP_1)
	v_sub_nc_u32_e32 v2, v34, v2
	v_subrev_nc_u32_e32 v5, s16, v2
	v_cmp_le_u32_e64 s4, s16, v2
	s_delay_alu instid0(VALU_DEP_1) | instskip(NEXT) | instid1(VALU_DEP_1)
	v_dual_add_nc_u32 v4, 1, v3 :: v_dual_cndmask_b32 v2, v2, v5, s4
	v_cndmask_b32_e64 v3, v3, v4, s4
	s_delay_alu instid0(VALU_DEP_2) | instskip(NEXT) | instid1(VALU_DEP_2)
	v_cmp_le_u32_e64 s4, s16, v2
	v_add_nc_u32_e32 v4, 1, v3
	s_delay_alu instid0(VALU_DEP_1) | instskip(NEXT) | instid1(VALU_DEP_1)
	v_cndmask_b32_e64 v2, v3, v4, s4
	v_xor_b32_e32 v2, s15, v2
	s_delay_alu instid0(VALU_DEP_1) | instskip(NEXT) | instid1(VALU_DEP_1)
	v_subrev_nc_u32_e32 v4, s15, v2
	v_add_nc_u32_e32 v5, s35, v4
	v_cmp_ge_i32_e64 s5, s38, v4
	s_delay_alu instid0(VALU_DEP_2) | instskip(NEXT) | instid1(VALU_DEP_1)
	v_sub_nc_u32_e32 v2, 0, v5
	v_dual_ashrrev_i32 v5, 31, v5 :: v_dual_max_i32 v32, v5, v2
	s_delay_alu instid0(VALU_DEP_1) | instskip(NEXT) | instid1(VALU_DEP_1)
	v_mul_u64_e32 v[2:3], s[28:29], v[32:33]
	v_mul_lo_u32 v2, v3, s39
	s_delay_alu instid0(VALU_DEP_1) | instskip(NEXT) | instid1(VALU_DEP_1)
	v_sub_nc_u32_e32 v2, v32, v2
	v_subrev_nc_u32_e32 v3, s39, v2
	v_cmp_le_u32_e64 s4, s39, v2
	s_delay_alu instid0(VALU_DEP_1) | instskip(NEXT) | instid1(VALU_DEP_1)
	v_cndmask_b32_e64 v2, v2, v3, s4
	v_subrev_nc_u32_e32 v3, s39, v2
	v_cmp_le_u32_e64 s4, s39, v2
	s_delay_alu instid0(VALU_DEP_1) | instskip(NEXT) | instid1(VALU_DEP_1)
	v_cndmask_b32_e64 v2, v2, v3, s4
	v_xor_b32_e32 v2, v2, v5
	s_delay_alu instid0(VALU_DEP_1) | instskip(NEXT) | instid1(VALU_DEP_1)
	v_sub_nc_u32_e32 v2, v2, v5
	v_cmp_ne_u32_e64 s4, 0, v2
	s_and_b32 s4, s4, s5
	s_delay_alu instid0(SALU_CYCLE_1) | instskip(NEXT) | instid1(SALU_CYCLE_1)
	s_and_saveexec_b32 s5, s4
	s_xor_b32 s4, exec_lo, s5
	s_cbranch_execz .LBB167_16
; %bb.13:                               ;   in Loop: Header=BB167_12 Depth=1
	s_and_saveexec_b32 s5, s3
; %bb.14:                               ;   in Loop: Header=BB167_12 Depth=1
	ds_store_b32 v49, v50
; %bb.15:                               ;   in Loop: Header=BB167_12 Depth=1
	s_or_b32 exec_lo, exec_lo, s5
.LBB167_16:                             ;   in Loop: Header=BB167_12 Depth=1
	s_and_not1_saveexec_b32 s5, s4
	s_cbranch_execz .LBB167_11
; %bb.17:                               ;   in Loop: Header=BB167_12 Depth=1
	global_load_b32 v2, v[36:37], off
	v_dual_mov_b32 v35, 0 :: v_dual_mov_b32 v52, 0
	s_mov_b32 s42, exec_lo
	s_wait_loadcnt 0x0
	v_mad_nc_i64_i32 v[42:43], v2, s19, v[38:39]
	global_load_u8 v53, v[42:43], off
	ds_load_2addr_b64 v[26:29], v46 offset1:1
	ds_load_2addr_b64 v[22:25], v46 offset0:2 offset1:3
	ds_load_2addr_b64 v[18:21], v46 offset0:4 offset1:5
	;; [unrolled: 1-line block ×6, first 2 shown]
	ds_load_b64 v[40:41], v46 offset:112
	s_load_b32 s41, s[8:9], 0x0
	s_wait_loadcnt 0x0
	v_cmpx_ne_u16_e32 0, v53
	s_cbranch_execz .LBB167_25
; %bb.18:                               ;   in Loop: Header=BB167_12 Depth=1
	v_bfrev_b32_e32 v52, 1
	s_mov_b32 s43, exec_lo
	v_cmpx_ne_u16_e32 0x80, v53
	s_cbranch_execz .LBB167_24
; %bb.19:                               ;   in Loop: Header=BB167_12 Depth=1
	v_and_b32_e32 v32, 0xffff, v53
	v_mov_b32_e32 v52, 0x7f800001
	s_mov_b32 s44, exec_lo
	s_delay_alu instid0(VALU_DEP_2) | instskip(NEXT) | instid1(VALU_DEP_1)
	v_and_b32_e32 v54, 0x7f, v32
	v_cmpx_ne_u32_e32 0x7f, v54
	s_cbranch_execz .LBB167_23
; %bb.20:                               ;   in Loop: Header=BB167_12 Depth=1
	v_dual_lshrrev_b32 v52, 3, v54 :: v_dual_bitop2_b32 v32, 7, v32 bitop3:0x40
	s_mov_b32 s45, exec_lo
	v_cmpx_gt_u32_e32 8, v54
; %bb.21:                               ;   in Loop: Header=BB167_12 Depth=1
	s_delay_alu instid0(VALU_DEP_2) | instskip(NEXT) | instid1(VALU_DEP_1)
	v_clz_i32_u32_e32 v52, v32
	v_min_u32_e32 v52, 32, v52
	s_delay_alu instid0(VALU_DEP_1) | instskip(NEXT) | instid1(VALU_DEP_1)
	v_subrev_nc_u32_e32 v54, 28, v52
	v_lshlrev_b64_e32 v[54:55], v54, v[32:33]
	s_delay_alu instid0(VALU_DEP_1)
	v_dual_sub_nc_u32 v52, 29, v52 :: v_dual_bitop2_b32 v32, 7, v54 bitop3:0x40
; %bb.22:                               ;   in Loop: Header=BB167_12 Depth=1
	s_or_b32 exec_lo, exec_lo, s45
	s_delay_alu instid0(VALU_DEP_1) | instskip(NEXT) | instid1(VALU_DEP_2)
	v_dual_lshlrev_b32 v53, 24, v53 :: v_dual_lshlrev_b32 v32, 20, v32
	v_lshl_add_u32 v52, v52, 23, 0x3c000000
	s_delay_alu instid0(VALU_DEP_2) | instskip(NEXT) | instid1(VALU_DEP_1)
	v_and_b32_e32 v53, 0x80000000, v53
	v_or3_b32 v52, v32, v53, v52
.LBB167_23:                             ;   in Loop: Header=BB167_12 Depth=1
	s_or_b32 exec_lo, exec_lo, s44
.LBB167_24:                             ;   in Loop: Header=BB167_12 Depth=1
	s_delay_alu instid0(SALU_CYCLE_1)
	s_or_b32 exec_lo, exec_lo, s43
.LBB167_25:                             ;   in Loop: Header=BB167_12 Depth=1
	s_delay_alu instid0(SALU_CYCLE_1)
	s_or_b32 exec_lo, exec_lo, s42
	global_load_u8 v53, v[42:43], off offset:4
	s_mov_b32 s42, exec_lo
	s_wait_loadcnt 0x0
	v_cmpx_ne_u16_e32 0, v53
	s_cbranch_execz .LBB167_33
; %bb.26:                               ;   in Loop: Header=BB167_12 Depth=1
	v_bfrev_b32_e32 v35, 1
	s_mov_b32 s43, exec_lo
	v_cmpx_ne_u16_e32 0x80, v53
	s_cbranch_execz .LBB167_32
; %bb.27:                               ;   in Loop: Header=BB167_12 Depth=1
	v_and_b32_e32 v32, 0xffff, v53
	v_mov_b32_e32 v35, 0x7f800001
	s_mov_b32 s44, exec_lo
	s_delay_alu instid0(VALU_DEP_2) | instskip(NEXT) | instid1(VALU_DEP_1)
	v_and_b32_e32 v54, 0x7f, v32
	v_cmpx_ne_u32_e32 0x7f, v54
	s_cbranch_execz .LBB167_31
; %bb.28:                               ;   in Loop: Header=BB167_12 Depth=1
	v_dual_lshrrev_b32 v35, 3, v54 :: v_dual_bitop2_b32 v32, 7, v32 bitop3:0x40
	s_mov_b32 s45, exec_lo
	v_cmpx_gt_u32_e32 8, v54
; %bb.29:                               ;   in Loop: Header=BB167_12 Depth=1
	s_delay_alu instid0(VALU_DEP_2) | instskip(NEXT) | instid1(VALU_DEP_1)
	v_clz_i32_u32_e32 v35, v32
	v_min_u32_e32 v35, 32, v35
	s_delay_alu instid0(VALU_DEP_1) | instskip(NEXT) | instid1(VALU_DEP_1)
	v_subrev_nc_u32_e32 v54, 28, v35
	v_lshlrev_b64_e32 v[54:55], v54, v[32:33]
	s_delay_alu instid0(VALU_DEP_1)
	v_dual_sub_nc_u32 v35, 29, v35 :: v_dual_bitop2_b32 v32, 7, v54 bitop3:0x40
; %bb.30:                               ;   in Loop: Header=BB167_12 Depth=1
	s_or_b32 exec_lo, exec_lo, s45
	s_delay_alu instid0(VALU_DEP_1) | instskip(NEXT) | instid1(VALU_DEP_2)
	v_dual_lshlrev_b32 v53, 24, v53 :: v_dual_lshlrev_b32 v32, 20, v32
	v_lshl_add_u32 v35, v35, 23, 0x3c000000
	s_delay_alu instid0(VALU_DEP_2) | instskip(NEXT) | instid1(VALU_DEP_1)
	v_and_b32_e32 v53, 0x80000000, v53
	v_or3_b32 v35, v32, v53, v35
.LBB167_31:                             ;   in Loop: Header=BB167_12 Depth=1
	s_or_b32 exec_lo, exec_lo, s44
.LBB167_32:                             ;   in Loop: Header=BB167_12 Depth=1
	s_delay_alu instid0(SALU_CYCLE_1)
	s_or_b32 exec_lo, exec_lo, s43
.LBB167_33:                             ;   in Loop: Header=BB167_12 Depth=1
	s_delay_alu instid0(SALU_CYCLE_1)
	s_or_b32 exec_lo, exec_lo, s42
	global_load_u8 v55, v[42:43], off offset:8
	v_dual_mov_b32 v53, 0 :: v_dual_mov_b32 v54, 0
	s_mov_b32 s42, exec_lo
	s_wait_loadcnt 0x0
	v_cmpx_ne_u16_e32 0, v55
	s_cbranch_execz .LBB167_41
; %bb.34:                               ;   in Loop: Header=BB167_12 Depth=1
	v_bfrev_b32_e32 v54, 1
	s_mov_b32 s43, exec_lo
	v_cmpx_ne_u16_e32 0x80, v55
	s_cbranch_execz .LBB167_40
; %bb.35:                               ;   in Loop: Header=BB167_12 Depth=1
	v_and_b32_e32 v32, 0xffff, v55
	v_mov_b32_e32 v54, 0x7f800001
	s_mov_b32 s44, exec_lo
	s_delay_alu instid0(VALU_DEP_2) | instskip(NEXT) | instid1(VALU_DEP_1)
	v_and_b32_e32 v56, 0x7f, v32
	v_cmpx_ne_u32_e32 0x7f, v56
	s_cbranch_execz .LBB167_39
; %bb.36:                               ;   in Loop: Header=BB167_12 Depth=1
	v_and_b32_e32 v32, 7, v32
	v_lshrrev_b32_e32 v54, 3, v56
	s_mov_b32 s45, exec_lo
	v_cmpx_gt_u32_e32 8, v56
; %bb.37:                               ;   in Loop: Header=BB167_12 Depth=1
	s_delay_alu instid0(VALU_DEP_3) | instskip(NEXT) | instid1(VALU_DEP_1)
	v_clz_i32_u32_e32 v54, v32
	v_min_u32_e32 v54, 32, v54
	s_delay_alu instid0(VALU_DEP_1) | instskip(NEXT) | instid1(VALU_DEP_1)
	v_subrev_nc_u32_e32 v56, 28, v54
	v_lshlrev_b64_e32 v[56:57], v56, v[32:33]
	s_delay_alu instid0(VALU_DEP_1)
	v_dual_sub_nc_u32 v54, 29, v54 :: v_dual_bitop2_b32 v32, 7, v56 bitop3:0x40
; %bb.38:                               ;   in Loop: Header=BB167_12 Depth=1
	s_or_b32 exec_lo, exec_lo, s45
	s_delay_alu instid0(VALU_DEP_1) | instskip(NEXT) | instid1(VALU_DEP_2)
	v_dual_lshlrev_b32 v55, 24, v55 :: v_dual_lshlrev_b32 v32, 20, v32
	v_lshl_add_u32 v54, v54, 23, 0x3c000000
	s_delay_alu instid0(VALU_DEP_2) | instskip(NEXT) | instid1(VALU_DEP_1)
	v_and_b32_e32 v55, 0x80000000, v55
	v_or3_b32 v54, v32, v55, v54
.LBB167_39:                             ;   in Loop: Header=BB167_12 Depth=1
	s_or_b32 exec_lo, exec_lo, s44
.LBB167_40:                             ;   in Loop: Header=BB167_12 Depth=1
	s_delay_alu instid0(SALU_CYCLE_1)
	s_or_b32 exec_lo, exec_lo, s43
.LBB167_41:                             ;   in Loop: Header=BB167_12 Depth=1
	s_delay_alu instid0(SALU_CYCLE_1)
	s_or_b32 exec_lo, exec_lo, s42
	global_load_u8 v55, v[42:43], off offset:12
	s_mov_b32 s42, exec_lo
	s_wait_loadcnt 0x0
	v_cmpx_ne_u16_e32 0, v55
	s_cbranch_execz .LBB167_49
; %bb.42:                               ;   in Loop: Header=BB167_12 Depth=1
	v_bfrev_b32_e32 v53, 1
	s_mov_b32 s43, exec_lo
	v_cmpx_ne_u16_e32 0x80, v55
	s_cbranch_execz .LBB167_48
; %bb.43:                               ;   in Loop: Header=BB167_12 Depth=1
	v_and_b32_e32 v32, 0xffff, v55
	v_mov_b32_e32 v53, 0x7f800001
	s_mov_b32 s44, exec_lo
	s_delay_alu instid0(VALU_DEP_2) | instskip(NEXT) | instid1(VALU_DEP_1)
	v_and_b32_e32 v56, 0x7f, v32
	v_cmpx_ne_u32_e32 0x7f, v56
	s_cbranch_execz .LBB167_47
; %bb.44:                               ;   in Loop: Header=BB167_12 Depth=1
	v_and_b32_e32 v32, 7, v32
	v_lshrrev_b32_e32 v53, 3, v56
	s_mov_b32 s45, exec_lo
	v_cmpx_gt_u32_e32 8, v56
; %bb.45:                               ;   in Loop: Header=BB167_12 Depth=1
	s_delay_alu instid0(VALU_DEP_3) | instskip(NEXT) | instid1(VALU_DEP_1)
	v_clz_i32_u32_e32 v53, v32
	v_min_u32_e32 v53, 32, v53
	s_delay_alu instid0(VALU_DEP_1) | instskip(NEXT) | instid1(VALU_DEP_1)
	v_subrev_nc_u32_e32 v56, 28, v53
	v_lshlrev_b64_e32 v[56:57], v56, v[32:33]
	s_delay_alu instid0(VALU_DEP_1)
	v_dual_sub_nc_u32 v53, 29, v53 :: v_dual_bitop2_b32 v32, 7, v56 bitop3:0x40
; %bb.46:                               ;   in Loop: Header=BB167_12 Depth=1
	s_or_b32 exec_lo, exec_lo, s45
	s_delay_alu instid0(VALU_DEP_1) | instskip(NEXT) | instid1(VALU_DEP_2)
	v_dual_lshlrev_b32 v55, 24, v55 :: v_dual_lshlrev_b32 v32, 20, v32
	v_lshl_add_u32 v53, v53, 23, 0x3c000000
	s_delay_alu instid0(VALU_DEP_2) | instskip(NEXT) | instid1(VALU_DEP_1)
	v_and_b32_e32 v55, 0x80000000, v55
	v_or3_b32 v53, v32, v55, v53
.LBB167_47:                             ;   in Loop: Header=BB167_12 Depth=1
	s_or_b32 exec_lo, exec_lo, s44
.LBB167_48:                             ;   in Loop: Header=BB167_12 Depth=1
	s_delay_alu instid0(SALU_CYCLE_1)
	s_or_b32 exec_lo, exec_lo, s43
.LBB167_49:                             ;   in Loop: Header=BB167_12 Depth=1
	s_delay_alu instid0(SALU_CYCLE_1)
	s_or_b32 exec_lo, exec_lo, s42
	global_load_u8 v57, v[42:43], off offset:128
	v_dual_mov_b32 v55, 0 :: v_dual_mov_b32 v56, 0
	s_mov_b32 s42, exec_lo
	s_wait_loadcnt 0x0
	v_cmpx_ne_u16_e32 0, v57
	s_cbranch_execz .LBB167_57
; %bb.50:                               ;   in Loop: Header=BB167_12 Depth=1
	v_bfrev_b32_e32 v56, 1
	s_mov_b32 s43, exec_lo
	v_cmpx_ne_u16_e32 0x80, v57
	s_cbranch_execz .LBB167_56
; %bb.51:                               ;   in Loop: Header=BB167_12 Depth=1
	v_and_b32_e32 v32, 0xffff, v57
	v_mov_b32_e32 v56, 0x7f800001
	s_mov_b32 s44, exec_lo
	s_delay_alu instid0(VALU_DEP_2) | instskip(NEXT) | instid1(VALU_DEP_1)
	v_and_b32_e32 v58, 0x7f, v32
	v_cmpx_ne_u32_e32 0x7f, v58
	s_cbranch_execz .LBB167_55
; %bb.52:                               ;   in Loop: Header=BB167_12 Depth=1
	v_dual_lshrrev_b32 v56, 3, v58 :: v_dual_bitop2_b32 v32, 7, v32 bitop3:0x40
	s_mov_b32 s45, exec_lo
	v_cmpx_gt_u32_e32 8, v58
; %bb.53:                               ;   in Loop: Header=BB167_12 Depth=1
	s_delay_alu instid0(VALU_DEP_2) | instskip(NEXT) | instid1(VALU_DEP_1)
	v_clz_i32_u32_e32 v56, v32
	v_min_u32_e32 v56, 32, v56
	s_delay_alu instid0(VALU_DEP_1) | instskip(NEXT) | instid1(VALU_DEP_1)
	v_subrev_nc_u32_e32 v58, 28, v56
	v_lshlrev_b64_e32 v[58:59], v58, v[32:33]
	s_delay_alu instid0(VALU_DEP_1)
	v_dual_sub_nc_u32 v56, 29, v56 :: v_dual_bitop2_b32 v32, 7, v58 bitop3:0x40
; %bb.54:                               ;   in Loop: Header=BB167_12 Depth=1
	s_or_b32 exec_lo, exec_lo, s45
	s_delay_alu instid0(VALU_DEP_1) | instskip(NEXT) | instid1(VALU_DEP_2)
	v_dual_lshlrev_b32 v57, 24, v57 :: v_dual_lshlrev_b32 v32, 20, v32
	v_lshl_add_u32 v56, v56, 23, 0x3c000000
	s_delay_alu instid0(VALU_DEP_2) | instskip(NEXT) | instid1(VALU_DEP_1)
	v_and_b32_e32 v57, 0x80000000, v57
	v_or3_b32 v56, v32, v57, v56
.LBB167_55:                             ;   in Loop: Header=BB167_12 Depth=1
	s_or_b32 exec_lo, exec_lo, s44
.LBB167_56:                             ;   in Loop: Header=BB167_12 Depth=1
	s_delay_alu instid0(SALU_CYCLE_1)
	s_or_b32 exec_lo, exec_lo, s43
.LBB167_57:                             ;   in Loop: Header=BB167_12 Depth=1
	s_delay_alu instid0(SALU_CYCLE_1)
	s_or_b32 exec_lo, exec_lo, s42
	global_load_u8 v57, v[42:43], off offset:132
	s_mov_b32 s42, exec_lo
	s_wait_loadcnt 0x0
	v_cmpx_ne_u16_e32 0, v57
	s_cbranch_execz .LBB167_65
; %bb.58:                               ;   in Loop: Header=BB167_12 Depth=1
	v_bfrev_b32_e32 v55, 1
	s_mov_b32 s43, exec_lo
	v_cmpx_ne_u16_e32 0x80, v57
	s_cbranch_execz .LBB167_64
; %bb.59:                               ;   in Loop: Header=BB167_12 Depth=1
	v_and_b32_e32 v32, 0xffff, v57
	v_mov_b32_e32 v55, 0x7f800001
	s_mov_b32 s44, exec_lo
	s_delay_alu instid0(VALU_DEP_2) | instskip(NEXT) | instid1(VALU_DEP_1)
	v_and_b32_e32 v58, 0x7f, v32
	v_cmpx_ne_u32_e32 0x7f, v58
	s_cbranch_execz .LBB167_63
; %bb.60:                               ;   in Loop: Header=BB167_12 Depth=1
	v_dual_lshrrev_b32 v55, 3, v58 :: v_dual_bitop2_b32 v32, 7, v32 bitop3:0x40
	s_mov_b32 s45, exec_lo
	v_cmpx_gt_u32_e32 8, v58
; %bb.61:                               ;   in Loop: Header=BB167_12 Depth=1
	s_delay_alu instid0(VALU_DEP_2) | instskip(NEXT) | instid1(VALU_DEP_1)
	v_clz_i32_u32_e32 v55, v32
	v_min_u32_e32 v55, 32, v55
	s_delay_alu instid0(VALU_DEP_1) | instskip(NEXT) | instid1(VALU_DEP_1)
	v_subrev_nc_u32_e32 v58, 28, v55
	v_lshlrev_b64_e32 v[58:59], v58, v[32:33]
	s_delay_alu instid0(VALU_DEP_1)
	v_dual_sub_nc_u32 v55, 29, v55 :: v_dual_bitop2_b32 v32, 7, v58 bitop3:0x40
; %bb.62:                               ;   in Loop: Header=BB167_12 Depth=1
	s_or_b32 exec_lo, exec_lo, s45
	s_delay_alu instid0(VALU_DEP_1) | instskip(NEXT) | instid1(VALU_DEP_2)
	v_dual_lshlrev_b32 v57, 24, v57 :: v_dual_lshlrev_b32 v32, 20, v32
	v_lshl_add_u32 v55, v55, 23, 0x3c000000
	s_delay_alu instid0(VALU_DEP_2) | instskip(NEXT) | instid1(VALU_DEP_1)
	v_and_b32_e32 v57, 0x80000000, v57
	v_or3_b32 v55, v32, v57, v55
.LBB167_63:                             ;   in Loop: Header=BB167_12 Depth=1
	s_or_b32 exec_lo, exec_lo, s44
.LBB167_64:                             ;   in Loop: Header=BB167_12 Depth=1
	s_delay_alu instid0(SALU_CYCLE_1)
	s_or_b32 exec_lo, exec_lo, s43
.LBB167_65:                             ;   in Loop: Header=BB167_12 Depth=1
	s_delay_alu instid0(SALU_CYCLE_1)
	s_or_b32 exec_lo, exec_lo, s42
	global_load_u8 v59, v[42:43], off offset:136
	v_dual_mov_b32 v57, 0 :: v_dual_mov_b32 v58, 0
	s_mov_b32 s42, exec_lo
	s_wait_loadcnt 0x0
	v_cmpx_ne_u16_e32 0, v59
	s_cbranch_execz .LBB167_73
; %bb.66:                               ;   in Loop: Header=BB167_12 Depth=1
	v_bfrev_b32_e32 v58, 1
	s_mov_b32 s43, exec_lo
	v_cmpx_ne_u16_e32 0x80, v59
	s_cbranch_execz .LBB167_72
; %bb.67:                               ;   in Loop: Header=BB167_12 Depth=1
	v_and_b32_e32 v32, 0xffff, v59
	v_mov_b32_e32 v58, 0x7f800001
	s_mov_b32 s44, exec_lo
	s_delay_alu instid0(VALU_DEP_2) | instskip(NEXT) | instid1(VALU_DEP_1)
	v_and_b32_e32 v60, 0x7f, v32
	v_cmpx_ne_u32_e32 0x7f, v60
	s_cbranch_execz .LBB167_71
; %bb.68:                               ;   in Loop: Header=BB167_12 Depth=1
	v_and_b32_e32 v32, 7, v32
	v_lshrrev_b32_e32 v58, 3, v60
	s_mov_b32 s45, exec_lo
	v_cmpx_gt_u32_e32 8, v60
; %bb.69:                               ;   in Loop: Header=BB167_12 Depth=1
	s_delay_alu instid0(VALU_DEP_3) | instskip(NEXT) | instid1(VALU_DEP_1)
	v_clz_i32_u32_e32 v58, v32
	v_min_u32_e32 v58, 32, v58
	s_delay_alu instid0(VALU_DEP_1) | instskip(NEXT) | instid1(VALU_DEP_1)
	v_subrev_nc_u32_e32 v60, 28, v58
	v_lshlrev_b64_e32 v[60:61], v60, v[32:33]
	s_delay_alu instid0(VALU_DEP_1)
	v_dual_sub_nc_u32 v58, 29, v58 :: v_dual_bitop2_b32 v32, 7, v60 bitop3:0x40
; %bb.70:                               ;   in Loop: Header=BB167_12 Depth=1
	s_or_b32 exec_lo, exec_lo, s45
	s_delay_alu instid0(VALU_DEP_1) | instskip(NEXT) | instid1(VALU_DEP_2)
	v_dual_lshlrev_b32 v59, 24, v59 :: v_dual_lshlrev_b32 v32, 20, v32
	v_lshl_add_u32 v58, v58, 23, 0x3c000000
	s_delay_alu instid0(VALU_DEP_2) | instskip(NEXT) | instid1(VALU_DEP_1)
	v_and_b32_e32 v59, 0x80000000, v59
	v_or3_b32 v58, v32, v59, v58
.LBB167_71:                             ;   in Loop: Header=BB167_12 Depth=1
	s_or_b32 exec_lo, exec_lo, s44
.LBB167_72:                             ;   in Loop: Header=BB167_12 Depth=1
	s_delay_alu instid0(SALU_CYCLE_1)
	s_or_b32 exec_lo, exec_lo, s43
.LBB167_73:                             ;   in Loop: Header=BB167_12 Depth=1
	s_delay_alu instid0(SALU_CYCLE_1)
	s_or_b32 exec_lo, exec_lo, s42
	global_load_u8 v59, v[42:43], off offset:140
	s_mov_b32 s42, exec_lo
	s_wait_loadcnt 0x0
	v_cmpx_ne_u16_e32 0, v59
	s_cbranch_execz .LBB167_81
; %bb.74:                               ;   in Loop: Header=BB167_12 Depth=1
	v_bfrev_b32_e32 v57, 1
	s_mov_b32 s43, exec_lo
	v_cmpx_ne_u16_e32 0x80, v59
	s_cbranch_execz .LBB167_80
; %bb.75:                               ;   in Loop: Header=BB167_12 Depth=1
	v_and_b32_e32 v32, 0xffff, v59
	v_mov_b32_e32 v57, 0x7f800001
	s_mov_b32 s44, exec_lo
	s_delay_alu instid0(VALU_DEP_2) | instskip(NEXT) | instid1(VALU_DEP_1)
	v_and_b32_e32 v60, 0x7f, v32
	v_cmpx_ne_u32_e32 0x7f, v60
	s_cbranch_execz .LBB167_79
; %bb.76:                               ;   in Loop: Header=BB167_12 Depth=1
	v_and_b32_e32 v32, 7, v32
	v_lshrrev_b32_e32 v57, 3, v60
	s_mov_b32 s45, exec_lo
	v_cmpx_gt_u32_e32 8, v60
; %bb.77:                               ;   in Loop: Header=BB167_12 Depth=1
	s_delay_alu instid0(VALU_DEP_3) | instskip(NEXT) | instid1(VALU_DEP_1)
	v_clz_i32_u32_e32 v57, v32
	v_min_u32_e32 v57, 32, v57
	s_delay_alu instid0(VALU_DEP_1) | instskip(NEXT) | instid1(VALU_DEP_1)
	v_subrev_nc_u32_e32 v60, 28, v57
	v_lshlrev_b64_e32 v[60:61], v60, v[32:33]
	s_delay_alu instid0(VALU_DEP_1)
	v_dual_sub_nc_u32 v57, 29, v57 :: v_dual_bitop2_b32 v32, 7, v60 bitop3:0x40
; %bb.78:                               ;   in Loop: Header=BB167_12 Depth=1
	s_or_b32 exec_lo, exec_lo, s45
	s_delay_alu instid0(VALU_DEP_1) | instskip(NEXT) | instid1(VALU_DEP_2)
	v_dual_lshlrev_b32 v59, 24, v59 :: v_dual_lshlrev_b32 v32, 20, v32
	v_lshl_add_u32 v57, v57, 23, 0x3c000000
	s_delay_alu instid0(VALU_DEP_2) | instskip(NEXT) | instid1(VALU_DEP_1)
	v_and_b32_e32 v59, 0x80000000, v59
	v_or3_b32 v57, v32, v59, v57
.LBB167_79:                             ;   in Loop: Header=BB167_12 Depth=1
	s_or_b32 exec_lo, exec_lo, s44
.LBB167_80:                             ;   in Loop: Header=BB167_12 Depth=1
	s_delay_alu instid0(SALU_CYCLE_1)
	s_or_b32 exec_lo, exec_lo, s43
.LBB167_81:                             ;   in Loop: Header=BB167_12 Depth=1
	s_delay_alu instid0(SALU_CYCLE_1)
	s_or_b32 exec_lo, exec_lo, s42
	global_load_u8 v61, v[42:43], off offset:256
	v_dual_mov_b32 v59, 0 :: v_dual_mov_b32 v60, 0
	s_mov_b32 s42, exec_lo
	s_wait_loadcnt 0x0
	v_cmpx_ne_u16_e32 0, v61
	s_cbranch_execz .LBB167_89
; %bb.82:                               ;   in Loop: Header=BB167_12 Depth=1
	v_bfrev_b32_e32 v60, 1
	s_mov_b32 s43, exec_lo
	v_cmpx_ne_u16_e32 0x80, v61
	s_cbranch_execz .LBB167_88
; %bb.83:                               ;   in Loop: Header=BB167_12 Depth=1
	v_and_b32_e32 v32, 0xffff, v61
	v_mov_b32_e32 v60, 0x7f800001
	s_mov_b32 s44, exec_lo
	s_delay_alu instid0(VALU_DEP_2) | instskip(NEXT) | instid1(VALU_DEP_1)
	v_and_b32_e32 v62, 0x7f, v32
	v_cmpx_ne_u32_e32 0x7f, v62
	s_cbranch_execz .LBB167_87
; %bb.84:                               ;   in Loop: Header=BB167_12 Depth=1
	v_dual_lshrrev_b32 v60, 3, v62 :: v_dual_bitop2_b32 v32, 7, v32 bitop3:0x40
	s_mov_b32 s45, exec_lo
	v_cmpx_gt_u32_e32 8, v62
; %bb.85:                               ;   in Loop: Header=BB167_12 Depth=1
	s_delay_alu instid0(VALU_DEP_2) | instskip(NEXT) | instid1(VALU_DEP_1)
	v_clz_i32_u32_e32 v60, v32
	v_min_u32_e32 v60, 32, v60
	s_delay_alu instid0(VALU_DEP_1) | instskip(NEXT) | instid1(VALU_DEP_1)
	v_subrev_nc_u32_e32 v62, 28, v60
	v_lshlrev_b64_e32 v[62:63], v62, v[32:33]
	s_delay_alu instid0(VALU_DEP_1)
	v_dual_sub_nc_u32 v60, 29, v60 :: v_dual_bitop2_b32 v32, 7, v62 bitop3:0x40
; %bb.86:                               ;   in Loop: Header=BB167_12 Depth=1
	s_or_b32 exec_lo, exec_lo, s45
	s_delay_alu instid0(VALU_DEP_1) | instskip(NEXT) | instid1(VALU_DEP_2)
	v_dual_lshlrev_b32 v61, 24, v61 :: v_dual_lshlrev_b32 v32, 20, v32
	v_lshl_add_u32 v60, v60, 23, 0x3c000000
	s_delay_alu instid0(VALU_DEP_2) | instskip(NEXT) | instid1(VALU_DEP_1)
	v_and_b32_e32 v61, 0x80000000, v61
	v_or3_b32 v60, v32, v61, v60
.LBB167_87:                             ;   in Loop: Header=BB167_12 Depth=1
	s_or_b32 exec_lo, exec_lo, s44
.LBB167_88:                             ;   in Loop: Header=BB167_12 Depth=1
	s_delay_alu instid0(SALU_CYCLE_1)
	s_or_b32 exec_lo, exec_lo, s43
.LBB167_89:                             ;   in Loop: Header=BB167_12 Depth=1
	s_delay_alu instid0(SALU_CYCLE_1)
	s_or_b32 exec_lo, exec_lo, s42
	global_load_u8 v61, v[42:43], off offset:260
	s_mov_b32 s42, exec_lo
	s_wait_loadcnt 0x0
	v_cmpx_ne_u16_e32 0, v61
	s_cbranch_execz .LBB167_97
; %bb.90:                               ;   in Loop: Header=BB167_12 Depth=1
	v_bfrev_b32_e32 v59, 1
	s_mov_b32 s43, exec_lo
	v_cmpx_ne_u16_e32 0x80, v61
	s_cbranch_execz .LBB167_96
; %bb.91:                               ;   in Loop: Header=BB167_12 Depth=1
	v_and_b32_e32 v32, 0xffff, v61
	v_mov_b32_e32 v59, 0x7f800001
	s_mov_b32 s44, exec_lo
	s_delay_alu instid0(VALU_DEP_2) | instskip(NEXT) | instid1(VALU_DEP_1)
	v_and_b32_e32 v62, 0x7f, v32
	v_cmpx_ne_u32_e32 0x7f, v62
	s_cbranch_execz .LBB167_95
; %bb.92:                               ;   in Loop: Header=BB167_12 Depth=1
	v_dual_lshrrev_b32 v59, 3, v62 :: v_dual_bitop2_b32 v32, 7, v32 bitop3:0x40
	s_mov_b32 s45, exec_lo
	v_cmpx_gt_u32_e32 8, v62
; %bb.93:                               ;   in Loop: Header=BB167_12 Depth=1
	s_delay_alu instid0(VALU_DEP_2) | instskip(NEXT) | instid1(VALU_DEP_1)
	v_clz_i32_u32_e32 v59, v32
	v_min_u32_e32 v59, 32, v59
	s_delay_alu instid0(VALU_DEP_1) | instskip(NEXT) | instid1(VALU_DEP_1)
	v_subrev_nc_u32_e32 v62, 28, v59
	v_lshlrev_b64_e32 v[62:63], v62, v[32:33]
	s_delay_alu instid0(VALU_DEP_1)
	v_dual_sub_nc_u32 v59, 29, v59 :: v_dual_bitop2_b32 v32, 7, v62 bitop3:0x40
; %bb.94:                               ;   in Loop: Header=BB167_12 Depth=1
	s_or_b32 exec_lo, exec_lo, s45
	s_delay_alu instid0(VALU_DEP_1) | instskip(NEXT) | instid1(VALU_DEP_2)
	v_dual_lshlrev_b32 v61, 24, v61 :: v_dual_lshlrev_b32 v32, 20, v32
	v_lshl_add_u32 v59, v59, 23, 0x3c000000
	s_delay_alu instid0(VALU_DEP_2) | instskip(NEXT) | instid1(VALU_DEP_1)
	v_and_b32_e32 v61, 0x80000000, v61
	v_or3_b32 v59, v32, v61, v59
.LBB167_95:                             ;   in Loop: Header=BB167_12 Depth=1
	s_or_b32 exec_lo, exec_lo, s44
.LBB167_96:                             ;   in Loop: Header=BB167_12 Depth=1
	s_delay_alu instid0(SALU_CYCLE_1)
	s_or_b32 exec_lo, exec_lo, s43
.LBB167_97:                             ;   in Loop: Header=BB167_12 Depth=1
	s_delay_alu instid0(SALU_CYCLE_1)
	s_or_b32 exec_lo, exec_lo, s42
	global_load_u8 v63, v[42:43], off offset:264
	v_dual_mov_b32 v61, 0 :: v_dual_mov_b32 v62, 0
	s_mov_b32 s42, exec_lo
	s_wait_loadcnt 0x0
	v_cmpx_ne_u16_e32 0, v63
	s_cbranch_execz .LBB167_105
; %bb.98:                               ;   in Loop: Header=BB167_12 Depth=1
	v_bfrev_b32_e32 v62, 1
	s_mov_b32 s43, exec_lo
	v_cmpx_ne_u16_e32 0x80, v63
	s_cbranch_execz .LBB167_104
; %bb.99:                               ;   in Loop: Header=BB167_12 Depth=1
	v_and_b32_e32 v32, 0xffff, v63
	v_mov_b32_e32 v62, 0x7f800001
	s_mov_b32 s44, exec_lo
	s_delay_alu instid0(VALU_DEP_2) | instskip(NEXT) | instid1(VALU_DEP_1)
	v_and_b32_e32 v64, 0x7f, v32
	v_cmpx_ne_u32_e32 0x7f, v64
	s_cbranch_execz .LBB167_103
; %bb.100:                              ;   in Loop: Header=BB167_12 Depth=1
	v_and_b32_e32 v32, 7, v32
	v_lshrrev_b32_e32 v62, 3, v64
	s_mov_b32 s45, exec_lo
	v_cmpx_gt_u32_e32 8, v64
; %bb.101:                              ;   in Loop: Header=BB167_12 Depth=1
	s_delay_alu instid0(VALU_DEP_3) | instskip(NEXT) | instid1(VALU_DEP_1)
	v_clz_i32_u32_e32 v62, v32
	v_min_u32_e32 v62, 32, v62
	s_delay_alu instid0(VALU_DEP_1) | instskip(NEXT) | instid1(VALU_DEP_1)
	v_subrev_nc_u32_e32 v64, 28, v62
	v_lshlrev_b64_e32 v[64:65], v64, v[32:33]
	s_delay_alu instid0(VALU_DEP_1)
	v_dual_sub_nc_u32 v62, 29, v62 :: v_dual_bitop2_b32 v32, 7, v64 bitop3:0x40
; %bb.102:                              ;   in Loop: Header=BB167_12 Depth=1
	s_or_b32 exec_lo, exec_lo, s45
	s_delay_alu instid0(VALU_DEP_1) | instskip(NEXT) | instid1(VALU_DEP_2)
	v_dual_lshlrev_b32 v63, 24, v63 :: v_dual_lshlrev_b32 v32, 20, v32
	v_lshl_add_u32 v62, v62, 23, 0x3c000000
	s_delay_alu instid0(VALU_DEP_2) | instskip(NEXT) | instid1(VALU_DEP_1)
	v_and_b32_e32 v63, 0x80000000, v63
	v_or3_b32 v62, v32, v63, v62
.LBB167_103:                            ;   in Loop: Header=BB167_12 Depth=1
	s_or_b32 exec_lo, exec_lo, s44
.LBB167_104:                            ;   in Loop: Header=BB167_12 Depth=1
	s_delay_alu instid0(SALU_CYCLE_1)
	s_or_b32 exec_lo, exec_lo, s43
.LBB167_105:                            ;   in Loop: Header=BB167_12 Depth=1
	s_delay_alu instid0(SALU_CYCLE_1)
	s_or_b32 exec_lo, exec_lo, s42
	global_load_u8 v63, v[42:43], off offset:268
	s_mov_b32 s42, exec_lo
	s_wait_loadcnt 0x0
	v_cmpx_ne_u16_e32 0, v63
	s_cbranch_execz .LBB167_113
; %bb.106:                              ;   in Loop: Header=BB167_12 Depth=1
	v_bfrev_b32_e32 v61, 1
	s_mov_b32 s43, exec_lo
	v_cmpx_ne_u16_e32 0x80, v63
	s_cbranch_execz .LBB167_112
; %bb.107:                              ;   in Loop: Header=BB167_12 Depth=1
	v_and_b32_e32 v32, 0xffff, v63
	v_mov_b32_e32 v61, 0x7f800001
	s_mov_b32 s44, exec_lo
	s_delay_alu instid0(VALU_DEP_2) | instskip(NEXT) | instid1(VALU_DEP_1)
	v_and_b32_e32 v64, 0x7f, v32
	v_cmpx_ne_u32_e32 0x7f, v64
	s_cbranch_execz .LBB167_111
; %bb.108:                              ;   in Loop: Header=BB167_12 Depth=1
	v_and_b32_e32 v32, 7, v32
	v_lshrrev_b32_e32 v61, 3, v64
	s_mov_b32 s45, exec_lo
	v_cmpx_gt_u32_e32 8, v64
; %bb.109:                              ;   in Loop: Header=BB167_12 Depth=1
	s_delay_alu instid0(VALU_DEP_3) | instskip(NEXT) | instid1(VALU_DEP_1)
	v_clz_i32_u32_e32 v61, v32
	v_min_u32_e32 v61, 32, v61
	s_delay_alu instid0(VALU_DEP_1) | instskip(NEXT) | instid1(VALU_DEP_1)
	v_subrev_nc_u32_e32 v64, 28, v61
	v_lshlrev_b64_e32 v[64:65], v64, v[32:33]
	s_delay_alu instid0(VALU_DEP_1)
	v_dual_sub_nc_u32 v61, 29, v61 :: v_dual_bitop2_b32 v32, 7, v64 bitop3:0x40
; %bb.110:                              ;   in Loop: Header=BB167_12 Depth=1
	s_or_b32 exec_lo, exec_lo, s45
	s_delay_alu instid0(VALU_DEP_1) | instskip(NEXT) | instid1(VALU_DEP_2)
	v_dual_lshlrev_b32 v63, 24, v63 :: v_dual_lshlrev_b32 v32, 20, v32
	v_lshl_add_u32 v61, v61, 23, 0x3c000000
	s_delay_alu instid0(VALU_DEP_2) | instskip(NEXT) | instid1(VALU_DEP_1)
	v_and_b32_e32 v63, 0x80000000, v63
	v_or3_b32 v61, v32, v63, v61
.LBB167_111:                            ;   in Loop: Header=BB167_12 Depth=1
	s_or_b32 exec_lo, exec_lo, s44
.LBB167_112:                            ;   in Loop: Header=BB167_12 Depth=1
	s_delay_alu instid0(SALU_CYCLE_1)
	s_or_b32 exec_lo, exec_lo, s43
.LBB167_113:                            ;   in Loop: Header=BB167_12 Depth=1
	s_delay_alu instid0(SALU_CYCLE_1)
	s_or_b32 exec_lo, exec_lo, s42
	global_load_u8 v65, v[42:43], off offset:384
	v_dual_mov_b32 v63, 0 :: v_dual_mov_b32 v64, 0
	s_mov_b32 s42, exec_lo
	s_wait_loadcnt 0x0
	v_cmpx_ne_u16_e32 0, v65
	s_cbranch_execz .LBB167_121
; %bb.114:                              ;   in Loop: Header=BB167_12 Depth=1
	v_bfrev_b32_e32 v64, 1
	s_mov_b32 s43, exec_lo
	v_cmpx_ne_u16_e32 0x80, v65
	s_cbranch_execz .LBB167_120
; %bb.115:                              ;   in Loop: Header=BB167_12 Depth=1
	v_and_b32_e32 v32, 0xffff, v65
	v_mov_b32_e32 v64, 0x7f800001
	s_mov_b32 s44, exec_lo
	s_delay_alu instid0(VALU_DEP_2) | instskip(NEXT) | instid1(VALU_DEP_1)
	v_and_b32_e32 v66, 0x7f, v32
	v_cmpx_ne_u32_e32 0x7f, v66
	s_cbranch_execz .LBB167_119
; %bb.116:                              ;   in Loop: Header=BB167_12 Depth=1
	v_dual_lshrrev_b32 v64, 3, v66 :: v_dual_bitop2_b32 v32, 7, v32 bitop3:0x40
	s_mov_b32 s45, exec_lo
	v_cmpx_gt_u32_e32 8, v66
; %bb.117:                              ;   in Loop: Header=BB167_12 Depth=1
	s_delay_alu instid0(VALU_DEP_2) | instskip(NEXT) | instid1(VALU_DEP_1)
	v_clz_i32_u32_e32 v64, v32
	v_min_u32_e32 v64, 32, v64
	s_delay_alu instid0(VALU_DEP_1) | instskip(NEXT) | instid1(VALU_DEP_1)
	v_subrev_nc_u32_e32 v66, 28, v64
	v_lshlrev_b64_e32 v[66:67], v66, v[32:33]
	s_delay_alu instid0(VALU_DEP_1)
	v_dual_sub_nc_u32 v64, 29, v64 :: v_dual_bitop2_b32 v32, 7, v66 bitop3:0x40
; %bb.118:                              ;   in Loop: Header=BB167_12 Depth=1
	s_or_b32 exec_lo, exec_lo, s45
	s_delay_alu instid0(VALU_DEP_1) | instskip(NEXT) | instid1(VALU_DEP_2)
	v_dual_lshlrev_b32 v65, 24, v65 :: v_dual_lshlrev_b32 v32, 20, v32
	v_lshl_add_u32 v64, v64, 23, 0x3c000000
	s_delay_alu instid0(VALU_DEP_2) | instskip(NEXT) | instid1(VALU_DEP_1)
	v_and_b32_e32 v65, 0x80000000, v65
	v_or3_b32 v64, v32, v65, v64
.LBB167_119:                            ;   in Loop: Header=BB167_12 Depth=1
	s_or_b32 exec_lo, exec_lo, s44
.LBB167_120:                            ;   in Loop: Header=BB167_12 Depth=1
	s_delay_alu instid0(SALU_CYCLE_1)
	s_or_b32 exec_lo, exec_lo, s43
.LBB167_121:                            ;   in Loop: Header=BB167_12 Depth=1
	s_delay_alu instid0(SALU_CYCLE_1)
	s_or_b32 exec_lo, exec_lo, s42
	global_load_u8 v65, v[42:43], off offset:388
	s_mov_b32 s42, exec_lo
	s_wait_loadcnt 0x0
	v_cmpx_ne_u16_e32 0, v65
	s_cbranch_execz .LBB167_129
; %bb.122:                              ;   in Loop: Header=BB167_12 Depth=1
	v_bfrev_b32_e32 v63, 1
	s_mov_b32 s43, exec_lo
	v_cmpx_ne_u16_e32 0x80, v65
	s_cbranch_execz .LBB167_128
; %bb.123:                              ;   in Loop: Header=BB167_12 Depth=1
	v_and_b32_e32 v32, 0xffff, v65
	v_mov_b32_e32 v63, 0x7f800001
	s_mov_b32 s44, exec_lo
	s_delay_alu instid0(VALU_DEP_2) | instskip(NEXT) | instid1(VALU_DEP_1)
	v_and_b32_e32 v66, 0x7f, v32
	v_cmpx_ne_u32_e32 0x7f, v66
	s_cbranch_execz .LBB167_127
; %bb.124:                              ;   in Loop: Header=BB167_12 Depth=1
	v_dual_lshrrev_b32 v63, 3, v66 :: v_dual_bitop2_b32 v32, 7, v32 bitop3:0x40
	s_mov_b32 s45, exec_lo
	v_cmpx_gt_u32_e32 8, v66
; %bb.125:                              ;   in Loop: Header=BB167_12 Depth=1
	s_delay_alu instid0(VALU_DEP_2) | instskip(NEXT) | instid1(VALU_DEP_1)
	v_clz_i32_u32_e32 v63, v32
	v_min_u32_e32 v63, 32, v63
	s_delay_alu instid0(VALU_DEP_1) | instskip(NEXT) | instid1(VALU_DEP_1)
	v_subrev_nc_u32_e32 v66, 28, v63
	v_lshlrev_b64_e32 v[66:67], v66, v[32:33]
	s_delay_alu instid0(VALU_DEP_1)
	v_dual_sub_nc_u32 v63, 29, v63 :: v_dual_bitop2_b32 v32, 7, v66 bitop3:0x40
; %bb.126:                              ;   in Loop: Header=BB167_12 Depth=1
	s_or_b32 exec_lo, exec_lo, s45
	s_delay_alu instid0(VALU_DEP_1) | instskip(NEXT) | instid1(VALU_DEP_2)
	v_dual_lshlrev_b32 v65, 24, v65 :: v_dual_lshlrev_b32 v32, 20, v32
	v_lshl_add_u32 v63, v63, 23, 0x3c000000
	s_delay_alu instid0(VALU_DEP_2) | instskip(NEXT) | instid1(VALU_DEP_1)
	v_and_b32_e32 v65, 0x80000000, v65
	v_or3_b32 v63, v32, v65, v63
.LBB167_127:                            ;   in Loop: Header=BB167_12 Depth=1
	s_or_b32 exec_lo, exec_lo, s44
.LBB167_128:                            ;   in Loop: Header=BB167_12 Depth=1
	s_delay_alu instid0(SALU_CYCLE_1)
	s_or_b32 exec_lo, exec_lo, s43
.LBB167_129:                            ;   in Loop: Header=BB167_12 Depth=1
	s_delay_alu instid0(SALU_CYCLE_1)
	s_or_b32 exec_lo, exec_lo, s42
	global_load_u8 v67, v[42:43], off offset:392
	v_dual_mov_b32 v65, 0 :: v_dual_mov_b32 v66, 0
	s_mov_b32 s42, exec_lo
	s_wait_loadcnt 0x0
	v_cmpx_ne_u16_e32 0, v67
	s_cbranch_execz .LBB167_137
; %bb.130:                              ;   in Loop: Header=BB167_12 Depth=1
	v_bfrev_b32_e32 v66, 1
	s_mov_b32 s43, exec_lo
	v_cmpx_ne_u16_e32 0x80, v67
	s_cbranch_execz .LBB167_136
; %bb.131:                              ;   in Loop: Header=BB167_12 Depth=1
	v_and_b32_e32 v32, 0xffff, v67
	v_mov_b32_e32 v66, 0x7f800001
	s_mov_b32 s44, exec_lo
	s_delay_alu instid0(VALU_DEP_2) | instskip(NEXT) | instid1(VALU_DEP_1)
	v_and_b32_e32 v68, 0x7f, v32
	v_cmpx_ne_u32_e32 0x7f, v68
	s_cbranch_execz .LBB167_135
; %bb.132:                              ;   in Loop: Header=BB167_12 Depth=1
	v_and_b32_e32 v32, 7, v32
	v_lshrrev_b32_e32 v66, 3, v68
	s_mov_b32 s45, exec_lo
	v_cmpx_gt_u32_e32 8, v68
; %bb.133:                              ;   in Loop: Header=BB167_12 Depth=1
	s_delay_alu instid0(VALU_DEP_3) | instskip(NEXT) | instid1(VALU_DEP_1)
	v_clz_i32_u32_e32 v66, v32
	v_min_u32_e32 v66, 32, v66
	s_delay_alu instid0(VALU_DEP_1) | instskip(NEXT) | instid1(VALU_DEP_1)
	v_subrev_nc_u32_e32 v68, 28, v66
	v_lshlrev_b64_e32 v[68:69], v68, v[32:33]
	s_delay_alu instid0(VALU_DEP_1)
	v_dual_sub_nc_u32 v66, 29, v66 :: v_dual_bitop2_b32 v32, 7, v68 bitop3:0x40
; %bb.134:                              ;   in Loop: Header=BB167_12 Depth=1
	s_or_b32 exec_lo, exec_lo, s45
	s_delay_alu instid0(VALU_DEP_1) | instskip(NEXT) | instid1(VALU_DEP_2)
	v_dual_lshlrev_b32 v67, 24, v67 :: v_dual_lshlrev_b32 v32, 20, v32
	v_lshl_add_u32 v66, v66, 23, 0x3c000000
	s_delay_alu instid0(VALU_DEP_2) | instskip(NEXT) | instid1(VALU_DEP_1)
	v_and_b32_e32 v67, 0x80000000, v67
	v_or3_b32 v66, v32, v67, v66
.LBB167_135:                            ;   in Loop: Header=BB167_12 Depth=1
	s_or_b32 exec_lo, exec_lo, s44
.LBB167_136:                            ;   in Loop: Header=BB167_12 Depth=1
	s_delay_alu instid0(SALU_CYCLE_1)
	s_or_b32 exec_lo, exec_lo, s43
.LBB167_137:                            ;   in Loop: Header=BB167_12 Depth=1
	s_delay_alu instid0(SALU_CYCLE_1)
	s_or_b32 exec_lo, exec_lo, s42
	global_load_u8 v67, v[42:43], off offset:396
	s_mov_b32 s42, exec_lo
	s_wait_loadcnt 0x0
	v_cmpx_ne_u16_e32 0, v67
	s_cbranch_execz .LBB167_145
; %bb.138:                              ;   in Loop: Header=BB167_12 Depth=1
	v_bfrev_b32_e32 v65, 1
	s_mov_b32 s43, exec_lo
	v_cmpx_ne_u16_e32 0x80, v67
	s_cbranch_execz .LBB167_144
; %bb.139:                              ;   in Loop: Header=BB167_12 Depth=1
	v_and_b32_e32 v32, 0xffff, v67
	v_mov_b32_e32 v65, 0x7f800001
	s_mov_b32 s44, exec_lo
	s_delay_alu instid0(VALU_DEP_2) | instskip(NEXT) | instid1(VALU_DEP_1)
	v_and_b32_e32 v68, 0x7f, v32
	v_cmpx_ne_u32_e32 0x7f, v68
	s_cbranch_execz .LBB167_143
; %bb.140:                              ;   in Loop: Header=BB167_12 Depth=1
	v_and_b32_e32 v32, 7, v32
	v_lshrrev_b32_e32 v65, 3, v68
	s_mov_b32 s45, exec_lo
	v_cmpx_gt_u32_e32 8, v68
; %bb.141:                              ;   in Loop: Header=BB167_12 Depth=1
	s_delay_alu instid0(VALU_DEP_3) | instskip(NEXT) | instid1(VALU_DEP_1)
	v_clz_i32_u32_e32 v65, v32
	v_min_u32_e32 v65, 32, v65
	s_delay_alu instid0(VALU_DEP_1) | instskip(NEXT) | instid1(VALU_DEP_1)
	v_subrev_nc_u32_e32 v68, 28, v65
	v_lshlrev_b64_e32 v[68:69], v68, v[32:33]
	s_delay_alu instid0(VALU_DEP_1)
	v_dual_sub_nc_u32 v65, 29, v65 :: v_dual_bitop2_b32 v32, 7, v68 bitop3:0x40
; %bb.142:                              ;   in Loop: Header=BB167_12 Depth=1
	s_or_b32 exec_lo, exec_lo, s45
	s_delay_alu instid0(VALU_DEP_1) | instskip(NEXT) | instid1(VALU_DEP_2)
	v_dual_lshlrev_b32 v67, 24, v67 :: v_dual_lshlrev_b32 v32, 20, v32
	v_lshl_add_u32 v65, v65, 23, 0x3c000000
	s_delay_alu instid0(VALU_DEP_2) | instskip(NEXT) | instid1(VALU_DEP_1)
	v_and_b32_e32 v67, 0x80000000, v67
	v_or3_b32 v65, v32, v67, v65
.LBB167_143:                            ;   in Loop: Header=BB167_12 Depth=1
	s_or_b32 exec_lo, exec_lo, s44
.LBB167_144:                            ;   in Loop: Header=BB167_12 Depth=1
	s_delay_alu instid0(SALU_CYCLE_1)
	s_or_b32 exec_lo, exec_lo, s43
.LBB167_145:                            ;   in Loop: Header=BB167_12 Depth=1
	s_delay_alu instid0(SALU_CYCLE_1)
	s_or_b32 exec_lo, exec_lo, s42
	global_load_u8 v69, v[42:43], off offset:512
	v_dual_mov_b32 v67, 0 :: v_dual_mov_b32 v68, 0
	s_mov_b32 s42, exec_lo
	s_wait_loadcnt 0x0
	v_cmpx_ne_u16_e32 0, v69
	s_cbranch_execz .LBB167_153
; %bb.146:                              ;   in Loop: Header=BB167_12 Depth=1
	v_bfrev_b32_e32 v68, 1
	s_mov_b32 s43, exec_lo
	v_cmpx_ne_u16_e32 0x80, v69
	s_cbranch_execz .LBB167_152
; %bb.147:                              ;   in Loop: Header=BB167_12 Depth=1
	v_and_b32_e32 v32, 0xffff, v69
	v_mov_b32_e32 v68, 0x7f800001
	s_mov_b32 s44, exec_lo
	s_delay_alu instid0(VALU_DEP_2) | instskip(NEXT) | instid1(VALU_DEP_1)
	v_and_b32_e32 v70, 0x7f, v32
	v_cmpx_ne_u32_e32 0x7f, v70
	s_cbranch_execz .LBB167_151
; %bb.148:                              ;   in Loop: Header=BB167_12 Depth=1
	v_dual_lshrrev_b32 v68, 3, v70 :: v_dual_bitop2_b32 v32, 7, v32 bitop3:0x40
	s_mov_b32 s45, exec_lo
	v_cmpx_gt_u32_e32 8, v70
; %bb.149:                              ;   in Loop: Header=BB167_12 Depth=1
	s_delay_alu instid0(VALU_DEP_2) | instskip(NEXT) | instid1(VALU_DEP_1)
	v_clz_i32_u32_e32 v68, v32
	v_min_u32_e32 v68, 32, v68
	s_delay_alu instid0(VALU_DEP_1) | instskip(NEXT) | instid1(VALU_DEP_1)
	v_subrev_nc_u32_e32 v70, 28, v68
	v_lshlrev_b64_e32 v[70:71], v70, v[32:33]
	s_delay_alu instid0(VALU_DEP_1)
	v_dual_sub_nc_u32 v68, 29, v68 :: v_dual_bitop2_b32 v32, 7, v70 bitop3:0x40
; %bb.150:                              ;   in Loop: Header=BB167_12 Depth=1
	s_or_b32 exec_lo, exec_lo, s45
	s_delay_alu instid0(VALU_DEP_1) | instskip(NEXT) | instid1(VALU_DEP_2)
	v_dual_lshlrev_b32 v69, 24, v69 :: v_dual_lshlrev_b32 v32, 20, v32
	v_lshl_add_u32 v68, v68, 23, 0x3c000000
	s_delay_alu instid0(VALU_DEP_2) | instskip(NEXT) | instid1(VALU_DEP_1)
	v_and_b32_e32 v69, 0x80000000, v69
	v_or3_b32 v68, v32, v69, v68
.LBB167_151:                            ;   in Loop: Header=BB167_12 Depth=1
	s_or_b32 exec_lo, exec_lo, s44
.LBB167_152:                            ;   in Loop: Header=BB167_12 Depth=1
	s_delay_alu instid0(SALU_CYCLE_1)
	s_or_b32 exec_lo, exec_lo, s43
.LBB167_153:                            ;   in Loop: Header=BB167_12 Depth=1
	s_delay_alu instid0(SALU_CYCLE_1)
	s_or_b32 exec_lo, exec_lo, s42
	global_load_u8 v69, v[42:43], off offset:516
	s_mov_b32 s42, exec_lo
	s_wait_loadcnt 0x0
	v_cmpx_ne_u16_e32 0, v69
	s_cbranch_execz .LBB167_161
; %bb.154:                              ;   in Loop: Header=BB167_12 Depth=1
	v_bfrev_b32_e32 v67, 1
	s_mov_b32 s43, exec_lo
	v_cmpx_ne_u16_e32 0x80, v69
	s_cbranch_execz .LBB167_160
; %bb.155:                              ;   in Loop: Header=BB167_12 Depth=1
	v_and_b32_e32 v32, 0xffff, v69
	v_mov_b32_e32 v67, 0x7f800001
	s_mov_b32 s44, exec_lo
	s_delay_alu instid0(VALU_DEP_2) | instskip(NEXT) | instid1(VALU_DEP_1)
	v_and_b32_e32 v70, 0x7f, v32
	v_cmpx_ne_u32_e32 0x7f, v70
	s_cbranch_execz .LBB167_159
; %bb.156:                              ;   in Loop: Header=BB167_12 Depth=1
	v_dual_lshrrev_b32 v67, 3, v70 :: v_dual_bitop2_b32 v32, 7, v32 bitop3:0x40
	s_mov_b32 s45, exec_lo
	v_cmpx_gt_u32_e32 8, v70
; %bb.157:                              ;   in Loop: Header=BB167_12 Depth=1
	s_delay_alu instid0(VALU_DEP_2) | instskip(NEXT) | instid1(VALU_DEP_1)
	v_clz_i32_u32_e32 v67, v32
	v_min_u32_e32 v67, 32, v67
	s_delay_alu instid0(VALU_DEP_1) | instskip(NEXT) | instid1(VALU_DEP_1)
	v_subrev_nc_u32_e32 v70, 28, v67
	v_lshlrev_b64_e32 v[70:71], v70, v[32:33]
	s_delay_alu instid0(VALU_DEP_1)
	v_dual_sub_nc_u32 v67, 29, v67 :: v_dual_bitop2_b32 v32, 7, v70 bitop3:0x40
; %bb.158:                              ;   in Loop: Header=BB167_12 Depth=1
	s_or_b32 exec_lo, exec_lo, s45
	s_delay_alu instid0(VALU_DEP_1) | instskip(NEXT) | instid1(VALU_DEP_2)
	v_dual_lshlrev_b32 v69, 24, v69 :: v_dual_lshlrev_b32 v32, 20, v32
	v_lshl_add_u32 v67, v67, 23, 0x3c000000
	s_delay_alu instid0(VALU_DEP_2) | instskip(NEXT) | instid1(VALU_DEP_1)
	v_and_b32_e32 v69, 0x80000000, v69
	v_or3_b32 v67, v32, v69, v67
.LBB167_159:                            ;   in Loop: Header=BB167_12 Depth=1
	s_or_b32 exec_lo, exec_lo, s44
.LBB167_160:                            ;   in Loop: Header=BB167_12 Depth=1
	s_delay_alu instid0(SALU_CYCLE_1)
	s_or_b32 exec_lo, exec_lo, s43
.LBB167_161:                            ;   in Loop: Header=BB167_12 Depth=1
	s_delay_alu instid0(SALU_CYCLE_1)
	s_or_b32 exec_lo, exec_lo, s42
	global_load_u8 v71, v[42:43], off offset:520
	v_dual_mov_b32 v69, 0 :: v_dual_mov_b32 v70, 0
	s_mov_b32 s42, exec_lo
	s_wait_loadcnt 0x0
	v_cmpx_ne_u16_e32 0, v71
	s_cbranch_execz .LBB167_169
; %bb.162:                              ;   in Loop: Header=BB167_12 Depth=1
	v_bfrev_b32_e32 v70, 1
	s_mov_b32 s43, exec_lo
	v_cmpx_ne_u16_e32 0x80, v71
	s_cbranch_execz .LBB167_168
; %bb.163:                              ;   in Loop: Header=BB167_12 Depth=1
	v_and_b32_e32 v32, 0xffff, v71
	v_mov_b32_e32 v70, 0x7f800001
	s_mov_b32 s44, exec_lo
	s_delay_alu instid0(VALU_DEP_2) | instskip(NEXT) | instid1(VALU_DEP_1)
	v_and_b32_e32 v72, 0x7f, v32
	v_cmpx_ne_u32_e32 0x7f, v72
	s_cbranch_execz .LBB167_167
; %bb.164:                              ;   in Loop: Header=BB167_12 Depth=1
	v_and_b32_e32 v32, 7, v32
	v_lshrrev_b32_e32 v70, 3, v72
	s_mov_b32 s45, exec_lo
	v_cmpx_gt_u32_e32 8, v72
; %bb.165:                              ;   in Loop: Header=BB167_12 Depth=1
	s_delay_alu instid0(VALU_DEP_3) | instskip(NEXT) | instid1(VALU_DEP_1)
	v_clz_i32_u32_e32 v70, v32
	v_min_u32_e32 v70, 32, v70
	s_delay_alu instid0(VALU_DEP_1) | instskip(NEXT) | instid1(VALU_DEP_1)
	v_subrev_nc_u32_e32 v72, 28, v70
	v_lshlrev_b64_e32 v[72:73], v72, v[32:33]
	s_delay_alu instid0(VALU_DEP_1)
	v_dual_sub_nc_u32 v70, 29, v70 :: v_dual_bitop2_b32 v32, 7, v72 bitop3:0x40
; %bb.166:                              ;   in Loop: Header=BB167_12 Depth=1
	s_or_b32 exec_lo, exec_lo, s45
	s_delay_alu instid0(VALU_DEP_1) | instskip(NEXT) | instid1(VALU_DEP_2)
	v_dual_lshlrev_b32 v71, 24, v71 :: v_dual_lshlrev_b32 v32, 20, v32
	v_lshl_add_u32 v70, v70, 23, 0x3c000000
	s_delay_alu instid0(VALU_DEP_2) | instskip(NEXT) | instid1(VALU_DEP_1)
	v_and_b32_e32 v71, 0x80000000, v71
	v_or3_b32 v70, v32, v71, v70
.LBB167_167:                            ;   in Loop: Header=BB167_12 Depth=1
	s_or_b32 exec_lo, exec_lo, s44
.LBB167_168:                            ;   in Loop: Header=BB167_12 Depth=1
	s_delay_alu instid0(SALU_CYCLE_1)
	s_or_b32 exec_lo, exec_lo, s43
.LBB167_169:                            ;   in Loop: Header=BB167_12 Depth=1
	s_delay_alu instid0(SALU_CYCLE_1)
	s_or_b32 exec_lo, exec_lo, s42
	global_load_u8 v71, v[42:43], off offset:524
	s_mov_b32 s42, exec_lo
	s_wait_loadcnt 0x0
	v_cmpx_ne_u16_e32 0, v71
	s_cbranch_execz .LBB167_177
; %bb.170:                              ;   in Loop: Header=BB167_12 Depth=1
	v_bfrev_b32_e32 v69, 1
	s_mov_b32 s43, exec_lo
	v_cmpx_ne_u16_e32 0x80, v71
	s_cbranch_execz .LBB167_176
; %bb.171:                              ;   in Loop: Header=BB167_12 Depth=1
	v_and_b32_e32 v32, 0xffff, v71
	v_mov_b32_e32 v69, 0x7f800001
	s_mov_b32 s44, exec_lo
	s_delay_alu instid0(VALU_DEP_2) | instskip(NEXT) | instid1(VALU_DEP_1)
	v_and_b32_e32 v72, 0x7f, v32
	v_cmpx_ne_u32_e32 0x7f, v72
	s_cbranch_execz .LBB167_175
; %bb.172:                              ;   in Loop: Header=BB167_12 Depth=1
	v_and_b32_e32 v32, 7, v32
	v_lshrrev_b32_e32 v69, 3, v72
	s_mov_b32 s45, exec_lo
	v_cmpx_gt_u32_e32 8, v72
; %bb.173:                              ;   in Loop: Header=BB167_12 Depth=1
	s_delay_alu instid0(VALU_DEP_3) | instskip(NEXT) | instid1(VALU_DEP_1)
	v_clz_i32_u32_e32 v69, v32
	v_min_u32_e32 v69, 32, v69
	s_delay_alu instid0(VALU_DEP_1) | instskip(NEXT) | instid1(VALU_DEP_1)
	v_subrev_nc_u32_e32 v72, 28, v69
	v_lshlrev_b64_e32 v[72:73], v72, v[32:33]
	s_delay_alu instid0(VALU_DEP_1)
	v_dual_sub_nc_u32 v69, 29, v69 :: v_dual_bitop2_b32 v32, 7, v72 bitop3:0x40
; %bb.174:                              ;   in Loop: Header=BB167_12 Depth=1
	s_or_b32 exec_lo, exec_lo, s45
	s_delay_alu instid0(VALU_DEP_1) | instskip(NEXT) | instid1(VALU_DEP_2)
	v_dual_lshlrev_b32 v71, 24, v71 :: v_dual_lshlrev_b32 v32, 20, v32
	v_lshl_add_u32 v69, v69, 23, 0x3c000000
	s_delay_alu instid0(VALU_DEP_2) | instskip(NEXT) | instid1(VALU_DEP_1)
	v_and_b32_e32 v71, 0x80000000, v71
	v_or3_b32 v69, v32, v71, v69
.LBB167_175:                            ;   in Loop: Header=BB167_12 Depth=1
	s_or_b32 exec_lo, exec_lo, s44
.LBB167_176:                            ;   in Loop: Header=BB167_12 Depth=1
	s_delay_alu instid0(SALU_CYCLE_1)
	s_or_b32 exec_lo, exec_lo, s43
.LBB167_177:                            ;   in Loop: Header=BB167_12 Depth=1
	s_delay_alu instid0(SALU_CYCLE_1)
	s_or_b32 exec_lo, exec_lo, s42
	global_load_u8 v73, v[42:43], off offset:640
	v_dual_mov_b32 v71, 0 :: v_dual_mov_b32 v72, 0
	s_mov_b32 s42, exec_lo
	s_wait_loadcnt 0x0
	v_cmpx_ne_u16_e32 0, v73
	s_cbranch_execz .LBB167_185
; %bb.178:                              ;   in Loop: Header=BB167_12 Depth=1
	v_bfrev_b32_e32 v72, 1
	s_mov_b32 s43, exec_lo
	v_cmpx_ne_u16_e32 0x80, v73
	s_cbranch_execz .LBB167_184
; %bb.179:                              ;   in Loop: Header=BB167_12 Depth=1
	v_and_b32_e32 v32, 0xffff, v73
	v_mov_b32_e32 v72, 0x7f800001
	s_mov_b32 s44, exec_lo
	s_delay_alu instid0(VALU_DEP_2) | instskip(NEXT) | instid1(VALU_DEP_1)
	v_and_b32_e32 v74, 0x7f, v32
	v_cmpx_ne_u32_e32 0x7f, v74
	s_cbranch_execz .LBB167_183
; %bb.180:                              ;   in Loop: Header=BB167_12 Depth=1
	v_dual_lshrrev_b32 v72, 3, v74 :: v_dual_bitop2_b32 v32, 7, v32 bitop3:0x40
	s_mov_b32 s45, exec_lo
	v_cmpx_gt_u32_e32 8, v74
; %bb.181:                              ;   in Loop: Header=BB167_12 Depth=1
	s_delay_alu instid0(VALU_DEP_2) | instskip(NEXT) | instid1(VALU_DEP_1)
	v_clz_i32_u32_e32 v72, v32
	v_min_u32_e32 v72, 32, v72
	s_delay_alu instid0(VALU_DEP_1) | instskip(NEXT) | instid1(VALU_DEP_1)
	v_subrev_nc_u32_e32 v74, 28, v72
	v_lshlrev_b64_e32 v[74:75], v74, v[32:33]
	s_delay_alu instid0(VALU_DEP_1)
	v_dual_sub_nc_u32 v72, 29, v72 :: v_dual_bitop2_b32 v32, 7, v74 bitop3:0x40
; %bb.182:                              ;   in Loop: Header=BB167_12 Depth=1
	s_or_b32 exec_lo, exec_lo, s45
	s_delay_alu instid0(VALU_DEP_1) | instskip(NEXT) | instid1(VALU_DEP_2)
	v_dual_lshlrev_b32 v73, 24, v73 :: v_dual_lshlrev_b32 v32, 20, v32
	v_lshl_add_u32 v72, v72, 23, 0x3c000000
	s_delay_alu instid0(VALU_DEP_2) | instskip(NEXT) | instid1(VALU_DEP_1)
	v_and_b32_e32 v73, 0x80000000, v73
	v_or3_b32 v72, v32, v73, v72
.LBB167_183:                            ;   in Loop: Header=BB167_12 Depth=1
	s_or_b32 exec_lo, exec_lo, s44
.LBB167_184:                            ;   in Loop: Header=BB167_12 Depth=1
	s_delay_alu instid0(SALU_CYCLE_1)
	s_or_b32 exec_lo, exec_lo, s43
.LBB167_185:                            ;   in Loop: Header=BB167_12 Depth=1
	s_delay_alu instid0(SALU_CYCLE_1)
	s_or_b32 exec_lo, exec_lo, s42
	global_load_u8 v73, v[42:43], off offset:644
	s_mov_b32 s42, exec_lo
	s_wait_loadcnt 0x0
	v_cmpx_ne_u16_e32 0, v73
	s_cbranch_execz .LBB167_193
; %bb.186:                              ;   in Loop: Header=BB167_12 Depth=1
	v_bfrev_b32_e32 v71, 1
	s_mov_b32 s43, exec_lo
	v_cmpx_ne_u16_e32 0x80, v73
	s_cbranch_execz .LBB167_192
; %bb.187:                              ;   in Loop: Header=BB167_12 Depth=1
	v_and_b32_e32 v32, 0xffff, v73
	v_mov_b32_e32 v71, 0x7f800001
	s_mov_b32 s44, exec_lo
	s_delay_alu instid0(VALU_DEP_2) | instskip(NEXT) | instid1(VALU_DEP_1)
	v_and_b32_e32 v74, 0x7f, v32
	v_cmpx_ne_u32_e32 0x7f, v74
	s_cbranch_execz .LBB167_191
; %bb.188:                              ;   in Loop: Header=BB167_12 Depth=1
	v_dual_lshrrev_b32 v71, 3, v74 :: v_dual_bitop2_b32 v32, 7, v32 bitop3:0x40
	s_mov_b32 s45, exec_lo
	v_cmpx_gt_u32_e32 8, v74
; %bb.189:                              ;   in Loop: Header=BB167_12 Depth=1
	s_delay_alu instid0(VALU_DEP_2) | instskip(NEXT) | instid1(VALU_DEP_1)
	v_clz_i32_u32_e32 v71, v32
	v_min_u32_e32 v71, 32, v71
	s_delay_alu instid0(VALU_DEP_1) | instskip(NEXT) | instid1(VALU_DEP_1)
	v_subrev_nc_u32_e32 v74, 28, v71
	v_lshlrev_b64_e32 v[74:75], v74, v[32:33]
	s_delay_alu instid0(VALU_DEP_1)
	v_dual_sub_nc_u32 v71, 29, v71 :: v_dual_bitop2_b32 v32, 7, v74 bitop3:0x40
; %bb.190:                              ;   in Loop: Header=BB167_12 Depth=1
	s_or_b32 exec_lo, exec_lo, s45
	s_delay_alu instid0(VALU_DEP_1) | instskip(NEXT) | instid1(VALU_DEP_2)
	v_dual_lshlrev_b32 v73, 24, v73 :: v_dual_lshlrev_b32 v32, 20, v32
	v_lshl_add_u32 v71, v71, 23, 0x3c000000
	s_delay_alu instid0(VALU_DEP_2) | instskip(NEXT) | instid1(VALU_DEP_1)
	v_and_b32_e32 v73, 0x80000000, v73
	v_or3_b32 v71, v32, v73, v71
.LBB167_191:                            ;   in Loop: Header=BB167_12 Depth=1
	s_or_b32 exec_lo, exec_lo, s44
.LBB167_192:                            ;   in Loop: Header=BB167_12 Depth=1
	s_delay_alu instid0(SALU_CYCLE_1)
	s_or_b32 exec_lo, exec_lo, s43
.LBB167_193:                            ;   in Loop: Header=BB167_12 Depth=1
	s_delay_alu instid0(SALU_CYCLE_1)
	s_or_b32 exec_lo, exec_lo, s42
	global_load_u8 v75, v[42:43], off offset:648
	v_dual_mov_b32 v73, 0 :: v_dual_mov_b32 v74, 0
	s_mov_b32 s42, exec_lo
	s_wait_loadcnt 0x0
	v_cmpx_ne_u16_e32 0, v75
	s_cbranch_execz .LBB167_201
; %bb.194:                              ;   in Loop: Header=BB167_12 Depth=1
	v_bfrev_b32_e32 v74, 1
	s_mov_b32 s43, exec_lo
	v_cmpx_ne_u16_e32 0x80, v75
	s_cbranch_execz .LBB167_200
; %bb.195:                              ;   in Loop: Header=BB167_12 Depth=1
	v_and_b32_e32 v32, 0xffff, v75
	v_mov_b32_e32 v74, 0x7f800001
	s_mov_b32 s44, exec_lo
	s_delay_alu instid0(VALU_DEP_2) | instskip(NEXT) | instid1(VALU_DEP_1)
	v_and_b32_e32 v76, 0x7f, v32
	v_cmpx_ne_u32_e32 0x7f, v76
	s_cbranch_execz .LBB167_199
; %bb.196:                              ;   in Loop: Header=BB167_12 Depth=1
	v_and_b32_e32 v32, 7, v32
	v_lshrrev_b32_e32 v74, 3, v76
	s_mov_b32 s45, exec_lo
	v_cmpx_gt_u32_e32 8, v76
; %bb.197:                              ;   in Loop: Header=BB167_12 Depth=1
	s_delay_alu instid0(VALU_DEP_3) | instskip(NEXT) | instid1(VALU_DEP_1)
	v_clz_i32_u32_e32 v74, v32
	v_min_u32_e32 v74, 32, v74
	s_delay_alu instid0(VALU_DEP_1) | instskip(NEXT) | instid1(VALU_DEP_1)
	v_subrev_nc_u32_e32 v76, 28, v74
	v_lshlrev_b64_e32 v[76:77], v76, v[32:33]
	s_delay_alu instid0(VALU_DEP_1)
	v_dual_sub_nc_u32 v74, 29, v74 :: v_dual_bitop2_b32 v32, 7, v76 bitop3:0x40
; %bb.198:                              ;   in Loop: Header=BB167_12 Depth=1
	s_or_b32 exec_lo, exec_lo, s45
	s_delay_alu instid0(VALU_DEP_1) | instskip(NEXT) | instid1(VALU_DEP_2)
	v_dual_lshlrev_b32 v75, 24, v75 :: v_dual_lshlrev_b32 v32, 20, v32
	v_lshl_add_u32 v74, v74, 23, 0x3c000000
	s_delay_alu instid0(VALU_DEP_2) | instskip(NEXT) | instid1(VALU_DEP_1)
	v_and_b32_e32 v75, 0x80000000, v75
	v_or3_b32 v74, v32, v75, v74
.LBB167_199:                            ;   in Loop: Header=BB167_12 Depth=1
	s_or_b32 exec_lo, exec_lo, s44
.LBB167_200:                            ;   in Loop: Header=BB167_12 Depth=1
	s_delay_alu instid0(SALU_CYCLE_1)
	s_or_b32 exec_lo, exec_lo, s43
.LBB167_201:                            ;   in Loop: Header=BB167_12 Depth=1
	s_delay_alu instid0(SALU_CYCLE_1)
	s_or_b32 exec_lo, exec_lo, s42
	global_load_u8 v75, v[42:43], off offset:652
	s_mov_b32 s42, exec_lo
	s_wait_loadcnt 0x0
	v_cmpx_ne_u16_e32 0, v75
	s_cbranch_execz .LBB167_209
; %bb.202:                              ;   in Loop: Header=BB167_12 Depth=1
	v_bfrev_b32_e32 v73, 1
	s_mov_b32 s43, exec_lo
	v_cmpx_ne_u16_e32 0x80, v75
	s_cbranch_execz .LBB167_208
; %bb.203:                              ;   in Loop: Header=BB167_12 Depth=1
	v_and_b32_e32 v32, 0xffff, v75
	v_mov_b32_e32 v73, 0x7f800001
	s_mov_b32 s44, exec_lo
	s_delay_alu instid0(VALU_DEP_2) | instskip(NEXT) | instid1(VALU_DEP_1)
	v_and_b32_e32 v76, 0x7f, v32
	v_cmpx_ne_u32_e32 0x7f, v76
	s_cbranch_execz .LBB167_207
; %bb.204:                              ;   in Loop: Header=BB167_12 Depth=1
	v_and_b32_e32 v32, 7, v32
	v_lshrrev_b32_e32 v73, 3, v76
	s_mov_b32 s45, exec_lo
	v_cmpx_gt_u32_e32 8, v76
; %bb.205:                              ;   in Loop: Header=BB167_12 Depth=1
	s_delay_alu instid0(VALU_DEP_3) | instskip(NEXT) | instid1(VALU_DEP_1)
	v_clz_i32_u32_e32 v73, v32
	v_min_u32_e32 v73, 32, v73
	s_delay_alu instid0(VALU_DEP_1) | instskip(NEXT) | instid1(VALU_DEP_1)
	v_subrev_nc_u32_e32 v76, 28, v73
	v_lshlrev_b64_e32 v[76:77], v76, v[32:33]
	s_delay_alu instid0(VALU_DEP_1)
	v_dual_sub_nc_u32 v73, 29, v73 :: v_dual_bitop2_b32 v32, 7, v76 bitop3:0x40
; %bb.206:                              ;   in Loop: Header=BB167_12 Depth=1
	s_or_b32 exec_lo, exec_lo, s45
	s_delay_alu instid0(VALU_DEP_1) | instskip(NEXT) | instid1(VALU_DEP_2)
	v_dual_lshlrev_b32 v75, 24, v75 :: v_dual_lshlrev_b32 v32, 20, v32
	v_lshl_add_u32 v73, v73, 23, 0x3c000000
	s_delay_alu instid0(VALU_DEP_2) | instskip(NEXT) | instid1(VALU_DEP_1)
	v_and_b32_e32 v75, 0x80000000, v75
	v_or3_b32 v73, v32, v75, v73
.LBB167_207:                            ;   in Loop: Header=BB167_12 Depth=1
	s_or_b32 exec_lo, exec_lo, s44
.LBB167_208:                            ;   in Loop: Header=BB167_12 Depth=1
	s_delay_alu instid0(SALU_CYCLE_1)
	s_or_b32 exec_lo, exec_lo, s43
.LBB167_209:                            ;   in Loop: Header=BB167_12 Depth=1
	s_delay_alu instid0(SALU_CYCLE_1)
	s_or_b32 exec_lo, exec_lo, s42
	global_load_u8 v77, v[42:43], off offset:768
	v_dual_mov_b32 v75, 0 :: v_dual_mov_b32 v76, 0
	s_mov_b32 s42, exec_lo
	s_wait_loadcnt 0x0
	v_cmpx_ne_u16_e32 0, v77
	s_cbranch_execz .LBB167_217
; %bb.210:                              ;   in Loop: Header=BB167_12 Depth=1
	v_bfrev_b32_e32 v76, 1
	s_mov_b32 s43, exec_lo
	v_cmpx_ne_u16_e32 0x80, v77
	s_cbranch_execz .LBB167_216
; %bb.211:                              ;   in Loop: Header=BB167_12 Depth=1
	v_and_b32_e32 v32, 0xffff, v77
	v_mov_b32_e32 v76, 0x7f800001
	s_mov_b32 s44, exec_lo
	s_delay_alu instid0(VALU_DEP_2) | instskip(NEXT) | instid1(VALU_DEP_1)
	v_and_b32_e32 v78, 0x7f, v32
	v_cmpx_ne_u32_e32 0x7f, v78
	s_cbranch_execz .LBB167_215
; %bb.212:                              ;   in Loop: Header=BB167_12 Depth=1
	v_dual_lshrrev_b32 v76, 3, v78 :: v_dual_bitop2_b32 v32, 7, v32 bitop3:0x40
	s_mov_b32 s45, exec_lo
	v_cmpx_gt_u32_e32 8, v78
; %bb.213:                              ;   in Loop: Header=BB167_12 Depth=1
	s_delay_alu instid0(VALU_DEP_2) | instskip(NEXT) | instid1(VALU_DEP_1)
	v_clz_i32_u32_e32 v76, v32
	v_min_u32_e32 v76, 32, v76
	s_delay_alu instid0(VALU_DEP_1) | instskip(NEXT) | instid1(VALU_DEP_1)
	v_subrev_nc_u32_e32 v78, 28, v76
	v_lshlrev_b64_e32 v[78:79], v78, v[32:33]
	s_delay_alu instid0(VALU_DEP_1)
	v_dual_sub_nc_u32 v76, 29, v76 :: v_dual_bitop2_b32 v32, 7, v78 bitop3:0x40
; %bb.214:                              ;   in Loop: Header=BB167_12 Depth=1
	s_or_b32 exec_lo, exec_lo, s45
	s_delay_alu instid0(VALU_DEP_1) | instskip(NEXT) | instid1(VALU_DEP_2)
	v_dual_lshlrev_b32 v77, 24, v77 :: v_dual_lshlrev_b32 v32, 20, v32
	v_lshl_add_u32 v76, v76, 23, 0x3c000000
	s_delay_alu instid0(VALU_DEP_2) | instskip(NEXT) | instid1(VALU_DEP_1)
	v_and_b32_e32 v77, 0x80000000, v77
	v_or3_b32 v76, v32, v77, v76
.LBB167_215:                            ;   in Loop: Header=BB167_12 Depth=1
	s_or_b32 exec_lo, exec_lo, s44
.LBB167_216:                            ;   in Loop: Header=BB167_12 Depth=1
	s_delay_alu instid0(SALU_CYCLE_1)
	s_or_b32 exec_lo, exec_lo, s43
.LBB167_217:                            ;   in Loop: Header=BB167_12 Depth=1
	s_delay_alu instid0(SALU_CYCLE_1)
	s_or_b32 exec_lo, exec_lo, s42
	global_load_u8 v77, v[42:43], off offset:772
	s_mov_b32 s42, exec_lo
	s_wait_loadcnt 0x0
	v_cmpx_ne_u16_e32 0, v77
	s_cbranch_execz .LBB167_225
; %bb.218:                              ;   in Loop: Header=BB167_12 Depth=1
	v_bfrev_b32_e32 v75, 1
	s_mov_b32 s43, exec_lo
	v_cmpx_ne_u16_e32 0x80, v77
	s_cbranch_execz .LBB167_224
; %bb.219:                              ;   in Loop: Header=BB167_12 Depth=1
	v_and_b32_e32 v32, 0xffff, v77
	v_mov_b32_e32 v75, 0x7f800001
	s_mov_b32 s44, exec_lo
	s_delay_alu instid0(VALU_DEP_2) | instskip(NEXT) | instid1(VALU_DEP_1)
	v_and_b32_e32 v78, 0x7f, v32
	v_cmpx_ne_u32_e32 0x7f, v78
	s_cbranch_execz .LBB167_223
; %bb.220:                              ;   in Loop: Header=BB167_12 Depth=1
	v_dual_lshrrev_b32 v75, 3, v78 :: v_dual_bitop2_b32 v32, 7, v32 bitop3:0x40
	s_mov_b32 s45, exec_lo
	v_cmpx_gt_u32_e32 8, v78
; %bb.221:                              ;   in Loop: Header=BB167_12 Depth=1
	s_delay_alu instid0(VALU_DEP_2) | instskip(NEXT) | instid1(VALU_DEP_1)
	v_clz_i32_u32_e32 v75, v32
	v_min_u32_e32 v75, 32, v75
	s_delay_alu instid0(VALU_DEP_1) | instskip(NEXT) | instid1(VALU_DEP_1)
	v_subrev_nc_u32_e32 v78, 28, v75
	v_lshlrev_b64_e32 v[78:79], v78, v[32:33]
	s_delay_alu instid0(VALU_DEP_1)
	v_dual_sub_nc_u32 v75, 29, v75 :: v_dual_bitop2_b32 v32, 7, v78 bitop3:0x40
; %bb.222:                              ;   in Loop: Header=BB167_12 Depth=1
	s_or_b32 exec_lo, exec_lo, s45
	s_delay_alu instid0(VALU_DEP_1) | instskip(NEXT) | instid1(VALU_DEP_2)
	v_dual_lshlrev_b32 v77, 24, v77 :: v_dual_lshlrev_b32 v32, 20, v32
	v_lshl_add_u32 v75, v75, 23, 0x3c000000
	s_delay_alu instid0(VALU_DEP_2) | instskip(NEXT) | instid1(VALU_DEP_1)
	v_and_b32_e32 v77, 0x80000000, v77
	v_or3_b32 v75, v32, v77, v75
.LBB167_223:                            ;   in Loop: Header=BB167_12 Depth=1
	s_or_b32 exec_lo, exec_lo, s44
.LBB167_224:                            ;   in Loop: Header=BB167_12 Depth=1
	s_delay_alu instid0(SALU_CYCLE_1)
	s_or_b32 exec_lo, exec_lo, s43
.LBB167_225:                            ;   in Loop: Header=BB167_12 Depth=1
	s_delay_alu instid0(SALU_CYCLE_1)
	s_or_b32 exec_lo, exec_lo, s42
	global_load_u8 v79, v[42:43], off offset:776
	v_dual_mov_b32 v77, 0 :: v_dual_mov_b32 v78, 0
	s_mov_b32 s42, exec_lo
	s_wait_loadcnt 0x0
	v_cmpx_ne_u16_e32 0, v79
	s_cbranch_execz .LBB167_233
; %bb.226:                              ;   in Loop: Header=BB167_12 Depth=1
	v_bfrev_b32_e32 v78, 1
	s_mov_b32 s43, exec_lo
	v_cmpx_ne_u16_e32 0x80, v79
	s_cbranch_execz .LBB167_232
; %bb.227:                              ;   in Loop: Header=BB167_12 Depth=1
	v_and_b32_e32 v32, 0xffff, v79
	v_mov_b32_e32 v78, 0x7f800001
	s_mov_b32 s44, exec_lo
	s_delay_alu instid0(VALU_DEP_2) | instskip(NEXT) | instid1(VALU_DEP_1)
	v_and_b32_e32 v80, 0x7f, v32
	v_cmpx_ne_u32_e32 0x7f, v80
	s_cbranch_execz .LBB167_231
; %bb.228:                              ;   in Loop: Header=BB167_12 Depth=1
	v_and_b32_e32 v32, 7, v32
	v_lshrrev_b32_e32 v78, 3, v80
	s_mov_b32 s45, exec_lo
	v_cmpx_gt_u32_e32 8, v80
; %bb.229:                              ;   in Loop: Header=BB167_12 Depth=1
	s_delay_alu instid0(VALU_DEP_3) | instskip(NEXT) | instid1(VALU_DEP_1)
	v_clz_i32_u32_e32 v78, v32
	v_min_u32_e32 v78, 32, v78
	s_delay_alu instid0(VALU_DEP_1) | instskip(NEXT) | instid1(VALU_DEP_1)
	v_subrev_nc_u32_e32 v80, 28, v78
	v_lshlrev_b64_e32 v[80:81], v80, v[32:33]
	s_delay_alu instid0(VALU_DEP_1)
	v_dual_sub_nc_u32 v78, 29, v78 :: v_dual_bitop2_b32 v32, 7, v80 bitop3:0x40
; %bb.230:                              ;   in Loop: Header=BB167_12 Depth=1
	s_or_b32 exec_lo, exec_lo, s45
	s_delay_alu instid0(VALU_DEP_1) | instskip(NEXT) | instid1(VALU_DEP_2)
	v_dual_lshlrev_b32 v79, 24, v79 :: v_dual_lshlrev_b32 v32, 20, v32
	v_lshl_add_u32 v78, v78, 23, 0x3c000000
	s_delay_alu instid0(VALU_DEP_2) | instskip(NEXT) | instid1(VALU_DEP_1)
	v_and_b32_e32 v79, 0x80000000, v79
	v_or3_b32 v78, v32, v79, v78
.LBB167_231:                            ;   in Loop: Header=BB167_12 Depth=1
	s_or_b32 exec_lo, exec_lo, s44
.LBB167_232:                            ;   in Loop: Header=BB167_12 Depth=1
	s_delay_alu instid0(SALU_CYCLE_1)
	s_or_b32 exec_lo, exec_lo, s43
.LBB167_233:                            ;   in Loop: Header=BB167_12 Depth=1
	s_delay_alu instid0(SALU_CYCLE_1)
	s_or_b32 exec_lo, exec_lo, s42
	global_load_u8 v79, v[42:43], off offset:780
	s_mov_b32 s42, exec_lo
	s_wait_loadcnt 0x0
	v_cmpx_ne_u16_e32 0, v79
	s_cbranch_execz .LBB167_241
; %bb.234:                              ;   in Loop: Header=BB167_12 Depth=1
	v_bfrev_b32_e32 v77, 1
	s_mov_b32 s43, exec_lo
	v_cmpx_ne_u16_e32 0x80, v79
	s_cbranch_execz .LBB167_240
; %bb.235:                              ;   in Loop: Header=BB167_12 Depth=1
	v_and_b32_e32 v32, 0xffff, v79
	v_mov_b32_e32 v77, 0x7f800001
	s_mov_b32 s44, exec_lo
	s_delay_alu instid0(VALU_DEP_2) | instskip(NEXT) | instid1(VALU_DEP_1)
	v_and_b32_e32 v80, 0x7f, v32
	v_cmpx_ne_u32_e32 0x7f, v80
	s_cbranch_execz .LBB167_239
; %bb.236:                              ;   in Loop: Header=BB167_12 Depth=1
	v_and_b32_e32 v32, 7, v32
	v_lshrrev_b32_e32 v77, 3, v80
	s_mov_b32 s45, exec_lo
	v_cmpx_gt_u32_e32 8, v80
; %bb.237:                              ;   in Loop: Header=BB167_12 Depth=1
	s_delay_alu instid0(VALU_DEP_3) | instskip(NEXT) | instid1(VALU_DEP_1)
	v_clz_i32_u32_e32 v77, v32
	v_min_u32_e32 v77, 32, v77
	s_delay_alu instid0(VALU_DEP_1) | instskip(NEXT) | instid1(VALU_DEP_1)
	v_subrev_nc_u32_e32 v80, 28, v77
	v_lshlrev_b64_e32 v[80:81], v80, v[32:33]
	s_delay_alu instid0(VALU_DEP_1)
	v_dual_sub_nc_u32 v77, 29, v77 :: v_dual_bitop2_b32 v32, 7, v80 bitop3:0x40
; %bb.238:                              ;   in Loop: Header=BB167_12 Depth=1
	s_or_b32 exec_lo, exec_lo, s45
	s_delay_alu instid0(VALU_DEP_1) | instskip(NEXT) | instid1(VALU_DEP_2)
	v_dual_lshlrev_b32 v79, 24, v79 :: v_dual_lshlrev_b32 v32, 20, v32
	v_lshl_add_u32 v77, v77, 23, 0x3c000000
	s_delay_alu instid0(VALU_DEP_2) | instskip(NEXT) | instid1(VALU_DEP_1)
	v_and_b32_e32 v79, 0x80000000, v79
	v_or3_b32 v77, v32, v79, v77
.LBB167_239:                            ;   in Loop: Header=BB167_12 Depth=1
	s_or_b32 exec_lo, exec_lo, s44
.LBB167_240:                            ;   in Loop: Header=BB167_12 Depth=1
	s_delay_alu instid0(SALU_CYCLE_1)
	s_or_b32 exec_lo, exec_lo, s43
.LBB167_241:                            ;   in Loop: Header=BB167_12 Depth=1
	s_delay_alu instid0(SALU_CYCLE_1)
	s_or_b32 exec_lo, exec_lo, s42
	global_load_u8 v81, v[42:43], off offset:896
	v_dual_mov_b32 v79, 0 :: v_dual_mov_b32 v80, 0
	s_mov_b32 s42, exec_lo
	s_wait_loadcnt 0x0
	v_cmpx_ne_u16_e32 0, v81
	s_cbranch_execz .LBB167_249
; %bb.242:                              ;   in Loop: Header=BB167_12 Depth=1
	v_bfrev_b32_e32 v80, 1
	s_mov_b32 s43, exec_lo
	v_cmpx_ne_u16_e32 0x80, v81
	s_cbranch_execz .LBB167_248
; %bb.243:                              ;   in Loop: Header=BB167_12 Depth=1
	v_and_b32_e32 v32, 0xffff, v81
	v_mov_b32_e32 v80, 0x7f800001
	s_mov_b32 s44, exec_lo
	s_delay_alu instid0(VALU_DEP_2) | instskip(NEXT) | instid1(VALU_DEP_1)
	v_and_b32_e32 v82, 0x7f, v32
	v_cmpx_ne_u32_e32 0x7f, v82
	s_cbranch_execz .LBB167_247
; %bb.244:                              ;   in Loop: Header=BB167_12 Depth=1
	v_dual_lshrrev_b32 v80, 3, v82 :: v_dual_bitop2_b32 v32, 7, v32 bitop3:0x40
	s_mov_b32 s45, exec_lo
	v_cmpx_gt_u32_e32 8, v82
; %bb.245:                              ;   in Loop: Header=BB167_12 Depth=1
	s_delay_alu instid0(VALU_DEP_2) | instskip(NEXT) | instid1(VALU_DEP_1)
	v_clz_i32_u32_e32 v80, v32
	v_min_u32_e32 v80, 32, v80
	s_delay_alu instid0(VALU_DEP_1) | instskip(NEXT) | instid1(VALU_DEP_1)
	v_subrev_nc_u32_e32 v82, 28, v80
	v_lshlrev_b64_e32 v[82:83], v82, v[32:33]
	s_delay_alu instid0(VALU_DEP_1)
	v_dual_sub_nc_u32 v80, 29, v80 :: v_dual_bitop2_b32 v32, 7, v82 bitop3:0x40
; %bb.246:                              ;   in Loop: Header=BB167_12 Depth=1
	s_or_b32 exec_lo, exec_lo, s45
	s_delay_alu instid0(VALU_DEP_1) | instskip(NEXT) | instid1(VALU_DEP_2)
	v_dual_lshlrev_b32 v81, 24, v81 :: v_dual_lshlrev_b32 v32, 20, v32
	v_lshl_add_u32 v80, v80, 23, 0x3c000000
	s_delay_alu instid0(VALU_DEP_2) | instskip(NEXT) | instid1(VALU_DEP_1)
	v_and_b32_e32 v81, 0x80000000, v81
	v_or3_b32 v80, v32, v81, v80
.LBB167_247:                            ;   in Loop: Header=BB167_12 Depth=1
	s_or_b32 exec_lo, exec_lo, s44
.LBB167_248:                            ;   in Loop: Header=BB167_12 Depth=1
	s_delay_alu instid0(SALU_CYCLE_1)
	s_or_b32 exec_lo, exec_lo, s43
.LBB167_249:                            ;   in Loop: Header=BB167_12 Depth=1
	s_delay_alu instid0(SALU_CYCLE_1)
	s_or_b32 exec_lo, exec_lo, s42
	global_load_u8 v42, v[42:43], off offset:900
	s_mov_b32 s42, exec_lo
	s_wait_loadcnt 0x0
	v_cmpx_ne_u16_e32 0, v42
	s_cbranch_execz .LBB167_257
; %bb.250:                              ;   in Loop: Header=BB167_12 Depth=1
	v_bfrev_b32_e32 v79, 1
	s_mov_b32 s43, exec_lo
	v_cmpx_ne_u16_e32 0x80, v42
	s_cbranch_execz .LBB167_256
; %bb.251:                              ;   in Loop: Header=BB167_12 Depth=1
	v_and_b32_e32 v32, 0xffff, v42
	v_mov_b32_e32 v79, 0x7f800001
	s_mov_b32 s44, exec_lo
	s_delay_alu instid0(VALU_DEP_2) | instskip(NEXT) | instid1(VALU_DEP_1)
	v_and_b32_e32 v81, 0x7f, v32
	v_cmpx_ne_u32_e32 0x7f, v81
	s_cbranch_execz .LBB167_255
; %bb.252:                              ;   in Loop: Header=BB167_12 Depth=1
	v_dual_lshrrev_b32 v43, 3, v81 :: v_dual_bitop2_b32 v32, 7, v32 bitop3:0x40
	s_mov_b32 s45, exec_lo
	v_cmpx_gt_u32_e32 8, v81
; %bb.253:                              ;   in Loop: Header=BB167_12 Depth=1
	s_delay_alu instid0(VALU_DEP_2) | instskip(NEXT) | instid1(VALU_DEP_1)
	v_clz_i32_u32_e32 v43, v32
	v_min_u32_e32 v43, 32, v43
	s_delay_alu instid0(VALU_DEP_1) | instskip(NEXT) | instid1(VALU_DEP_1)
	v_subrev_nc_u32_e32 v79, 28, v43
	v_lshlrev_b64_e32 v[82:83], v79, v[32:33]
	s_delay_alu instid0(VALU_DEP_1)
	v_dual_sub_nc_u32 v43, 29, v43 :: v_dual_bitop2_b32 v32, 7, v82 bitop3:0x40
; %bb.254:                              ;   in Loop: Header=BB167_12 Depth=1
	s_or_b32 exec_lo, exec_lo, s45
	s_delay_alu instid0(VALU_DEP_1) | instskip(NEXT) | instid1(VALU_DEP_2)
	v_dual_lshlrev_b32 v42, 24, v42 :: v_dual_lshlrev_b32 v32, 20, v32
	v_lshl_add_u32 v43, v43, 23, 0x3c000000
	s_delay_alu instid0(VALU_DEP_2) | instskip(NEXT) | instid1(VALU_DEP_1)
	v_and_b32_e32 v42, 0x80000000, v42
	v_or3_b32 v79, v32, v42, v43
.LBB167_255:                            ;   in Loop: Header=BB167_12 Depth=1
	s_or_b32 exec_lo, exec_lo, s44
.LBB167_256:                            ;   in Loop: Header=BB167_12 Depth=1
	s_delay_alu instid0(SALU_CYCLE_1)
	s_or_b32 exec_lo, exec_lo, s43
.LBB167_257:                            ;   in Loop: Header=BB167_12 Depth=1
	s_delay_alu instid0(SALU_CYCLE_1) | instskip(SKIP_3) | instid1(VALU_DEP_1)
	s_or_b32 exec_lo, exec_lo, s42
	s_wait_kmcnt 0x0
	v_dual_mul_f32 v32, s41, v35 :: v_dual_mul_f32 v35, s41, v52
	s_wait_dscnt 0x7
	v_dual_mul_f32 v27, v27, v32 :: v_dual_mul_f32 v32, s41, v54
	s_delay_alu instid0(VALU_DEP_1) | instskip(NEXT) | instid1(VALU_DEP_1)
	v_dual_fmac_f32 v27, v26, v35 :: v_dual_mul_f32 v26, s41, v53
	v_fmac_f32_e32 v27, v28, v32
	s_delay_alu instid0(VALU_DEP_1) | instskip(SKIP_1) | instid1(VALU_DEP_1)
	v_dual_mul_f32 v28, s41, v56 :: v_dual_fmac_f32 v27, v29, v26
	s_wait_dscnt 0x6
	v_dual_mul_f32 v26, s41, v55 :: v_dual_fmac_f32 v27, v22, v28
	v_mul_f32_e32 v22, s41, v58
	s_delay_alu instid0(VALU_DEP_2) | instskip(NEXT) | instid1(VALU_DEP_1)
	v_dual_fmac_f32 v27, v23, v26 :: v_dual_mul_f32 v23, s41, v57
	v_dual_fmac_f32 v27, v24, v22 :: v_dual_mul_f32 v22, s41, v60
	s_delay_alu instid0(VALU_DEP_1) | instskip(SKIP_1) | instid1(VALU_DEP_1)
	v_fmac_f32_e32 v27, v25, v23
	s_wait_dscnt 0x5
	v_dual_mul_f32 v23, s41, v59 :: v_dual_fmac_f32 v27, v18, v22
	s_delay_alu instid0(VALU_DEP_1) | instskip(NEXT) | instid1(VALU_DEP_1)
	v_dual_mul_f32 v18, s41, v62 :: v_dual_fmac_f32 v27, v19, v23
	v_dual_mul_f32 v19, s41, v61 :: v_dual_fmac_f32 v27, v20, v18
	s_delay_alu instid0(VALU_DEP_1) | instskip(SKIP_1) | instid1(VALU_DEP_1)
	v_dual_mul_f32 v18, s41, v64 :: v_dual_fmac_f32 v27, v21, v19
	s_wait_dscnt 0x4
	v_dual_mul_f32 v19, s41, v63 :: v_dual_fmac_f32 v27, v14, v18
	s_delay_alu instid0(VALU_DEP_1) | instskip(NEXT) | instid1(VALU_DEP_1)
	v_dual_mul_f32 v14, s41, v66 :: v_dual_fmac_f32 v27, v15, v19
	v_dual_mul_f32 v15, s41, v65 :: v_dual_fmac_f32 v27, v16, v14
	s_delay_alu instid0(VALU_DEP_1) | instskip(SKIP_1) | instid1(VALU_DEP_1)
	v_dual_mul_f32 v14, s41, v68 :: v_dual_fmac_f32 v27, v17, v15
	;; [unrolled: 7-line block ×4, first 2 shown]
	s_wait_dscnt 0x1
	v_dual_mul_f32 v7, s41, v75 :: v_dual_fmac_f32 v27, v2, v6
	s_delay_alu instid0(VALU_DEP_1) | instskip(NEXT) | instid1(VALU_DEP_1)
	v_dual_mul_f32 v2, s41, v78 :: v_dual_fmac_f32 v27, v3, v7
	v_dual_mul_f32 v3, s41, v77 :: v_dual_fmac_f32 v27, v4, v2
	v_xor_b32_e32 v2, 2, v44
	s_delay_alu instid0(VALU_DEP_2) | instskip(NEXT) | instid1(VALU_DEP_2)
	v_dual_mul_f32 v4, s41, v80 :: v_dual_fmac_f32 v27, v5, v3
	v_cmp_gt_i32_e64 s4, 32, v2
	s_delay_alu instid0(VALU_DEP_1) | instskip(SKIP_1) | instid1(VALU_DEP_1)
	v_dual_mul_f32 v3, s41, v79 :: v_dual_cndmask_b32 v2, v44, v2, s4
	s_wait_dscnt 0x0
	v_dual_fmac_f32 v27, v40, v4 :: v_dual_lshlrev_b32 v2, 2, v2
	s_delay_alu instid0(VALU_DEP_1) | instskip(SKIP_3) | instid1(VALU_DEP_1)
	v_dual_fmac_f32 v27, v41, v3 :: v_dual_bitop2_b32 v3, 1, v44 bitop3:0x14
	ds_bpermute_b32 v2, v2, v27
	v_cmp_gt_i32_e64 s4, 32, v3
	s_wait_dscnt 0x0
	v_dual_cndmask_b32 v3, v44, v3, s4 :: v_dual_add_f32 v2, v27, v2
	s_delay_alu instid0(VALU_DEP_1)
	v_lshlrev_b32_e32 v3, 2, v3
	ds_bpermute_b32 v3, v3, v2
	s_and_saveexec_b32 s41, s3
	s_cbranch_execz .LBB167_10
; %bb.258:                              ;   in Loop: Header=BB167_12 Depth=1
	s_wait_dscnt 0x0
	v_dual_add_nc_u32 v4, v48, v34 :: v_dual_add_f32 v2, v2, v3
	s_delay_alu instid0(VALU_DEP_1) | instskip(NEXT) | instid1(VALU_DEP_1)
	v_cvt_f32_i32_e32 v4, v4
	v_mul_f32_e32 v4, s36, v4
	s_delay_alu instid0(VALU_DEP_1) | instskip(NEXT) | instid1(VALU_DEP_1)
	v_dual_cndmask_b32 v3, 0, v4 :: v_dual_max_num_f32 v4, v47, v47
	v_fmac_f32_e32 v3, s27, v2
	s_delay_alu instid0(VALU_DEP_1) | instskip(NEXT) | instid1(VALU_DEP_1)
	v_dual_add_nc_u32 v2, v45, v34 :: v_dual_max_num_f32 v4, v4, v3
	v_cmp_gt_i32_e64 s4, s34, v2
	s_delay_alu instid0(VALU_DEP_1)
	v_dual_cndmask_b32 v2, 0, v3, s4 :: v_dual_cndmask_b32 v47, v47, v4, s4
	ds_store_b32 v49, v2
	s_branch .LBB167_10
.LBB167_259:
	s_or_b32 exec_lo, exec_lo, s40
.LBB167_260:
	s_delay_alu instid0(SALU_CYCLE_1)
	s_or_b32 exec_lo, exec_lo, s37
	v_dual_max_num_f32 v5, v47, v47 :: v_dual_bitop2_b32 v2, 16, v44 bitop3:0x14
	s_clause 0x1
	s_load_b64 s[4:5], s[0:1], 0x0
	s_load_b64 s[8:9], s[0:1], 0x18
	v_xor_b32_e32 v4, 8, v44
	v_cmp_gt_i32_e32 vcc_lo, 32, v2
	v_cndmask_b32_e32 v2, v44, v2, vcc_lo
	s_delay_alu instid0(VALU_DEP_3) | instskip(NEXT) | instid1(VALU_DEP_2)
	v_cmp_gt_i32_e32 vcc_lo, 32, v4
	v_dual_lshlrev_b32 v2, 2, v2 :: v_dual_cndmask_b32 v4, v44, v4, vcc_lo
	s_wait_dscnt 0x0
	ds_bpermute_b32 v3, v2, v47
	s_wait_dscnt 0x0
	v_dual_max_num_f32 v6, v3, v3 :: v_dual_lshlrev_b32 v3, 2, v4
	s_delay_alu instid0(VALU_DEP_1) | instskip(SKIP_4) | instid1(VALU_DEP_1)
	v_dual_max_num_f32 v4, v5, v6 :: v_dual_bitop2_b32 v6, 4, v44 bitop3:0x14
	ds_bpermute_b32 v5, v3, v4
	v_cmp_gt_i32_e32 vcc_lo, 32, v6
	v_cndmask_b32_e32 v7, v44, v6, vcc_lo
	s_wait_dscnt 0x0
	v_dual_lshlrev_b32 v7, 2, v7 :: v_dual_max_num_f32 v5, v5, v5
	s_delay_alu instid0(VALU_DEP_1)
	v_dual_max_num_f32 v6, v4, v5 :: v_dual_bitop2_b32 v4, 31, v0 bitop3:0x40
	v_lshlrev_b32_e32 v5, 2, v1
	ds_bpermute_b32 v8, v7, v6
	v_cmp_eq_u32_e32 vcc_lo, 0, v4
	s_wait_xcnt 0x0
	s_and_saveexec_b32 s0, vcc_lo
	s_cbranch_execz .LBB167_262
; %bb.261:
	s_wait_dscnt 0x0
	v_dual_max_num_f32 v8, v8, v8 :: v_dual_max_num_f32 v6, v6, v6
	s_delay_alu instid0(VALU_DEP_1)
	v_max_num_f32_e32 v6, v6, v8
	ds_store_b32 v5, v6 offset:480
.LBB167_262:
	s_or_b32 exec_lo, exec_lo, s0
	v_cmp_gt_u32_e64 s0, 4, v4
	v_dual_mov_b32 v9, 0xff7fffff :: v_dual_lshlrev_b32 v6, 2, v4
	s_wait_dscnt 0x0
	s_barrier_signal -1
	s_barrier_wait -1
	s_and_saveexec_b32 s1, s0
; %bb.263:
	ds_load_b32 v9, v6 offset:480
; %bb.264:
	s_or_b32 exec_lo, exec_lo, s1
	v_xor_b32_e32 v8, 2, v44
	v_xor_b32_e32 v11, 1, v44
	s_delay_alu instid0(VALU_DEP_2) | instskip(NEXT) | instid1(VALU_DEP_1)
	v_cmp_gt_i32_e64 s1, 32, v8
	v_cndmask_b32_e64 v8, v44, v8, s1
	s_delay_alu instid0(VALU_DEP_3) | instskip(NEXT) | instid1(VALU_DEP_1)
	v_cmp_gt_i32_e64 s1, 32, v11
	v_dual_cndmask_b32 v11, v44, v11, s1 :: v_dual_lshlrev_b32 v8, 2, v8
	s_lshl_b32 s1, s26, 3
	s_delay_alu instid0(SALU_CYCLE_1) | instskip(NEXT) | instid1(VALU_DEP_1)
	s_min_i32 s19, s1, s34
	v_lshlrev_b32_e32 v61, 2, v11
	s_wait_dscnt 0x0
	ds_bpermute_b32 v10, v8, v9
	v_max_num_f32_e32 v9, v9, v9
	v_cmp_gt_i32_e64 s1, s19, v0
	s_wait_dscnt 0x0
	v_max_num_f32_e32 v10, v10, v10
	s_delay_alu instid0(VALU_DEP_1) | instskip(SKIP_3) | instid1(VALU_DEP_1)
	v_max_num_f32_e32 v9, v9, v10
	ds_bpermute_b32 v10, v61, v9
	s_wait_dscnt 0x0
	v_max_num_f32_e32 v10, v10, v10
	v_dual_max_num_f32 v10, v9, v10 :: v_dual_mov_b32 v9, 0
	ds_bpermute_b32 v10, v9, v10
	s_and_saveexec_b32 s27, s1
	s_cbranch_execz .LBB167_268
; %bb.265:
	v_lshl_add_u32 v11, v0, 2, 0x200
	v_dual_mov_b32 v9, 0 :: v_dual_mov_b32 v12, v0
	s_mov_b32 s28, 0
.LBB167_266:                            ; =>This Inner Loop Header: Depth=1
	ds_load_b32 v13, v11
	v_add_nc_u32_e32 v12, 0x80, v12
	s_delay_alu instid0(VALU_DEP_1) | instskip(SKIP_3) | instid1(VALU_DEP_1)
	v_cmp_le_i32_e64 s3, s19, v12
	s_or_b32 s28, s3, s28
	s_wait_dscnt 0x0
	v_sub_f32_e32 v13, v13, v10
	v_mul_f32_e32 v13, 0x3fb8aa3b, v13
	s_delay_alu instid0(VALU_DEP_1)
	v_exp_f32_e32 v13, v13
	ds_store_b32 v11, v13
	v_nop
	v_add_f32_e32 v9, v9, v13
	v_add_nc_u32_e32 v11, 0x200, v11
	s_and_not1_b32 exec_lo, exec_lo, s28
	s_cbranch_execnz .LBB167_266
; %bb.267:
	s_or_b32 exec_lo, exec_lo, s28
.LBB167_268:
	s_delay_alu instid0(SALU_CYCLE_1)
	s_or_b32 exec_lo, exec_lo, s27
	ds_bpermute_b32 v2, v2, v9
	s_wait_dscnt 0x0
	v_add_f32_e32 v2, v9, v2
	ds_bpermute_b32 v3, v3, v2
	s_wait_dscnt 0x0
	v_add_f32_e32 v2, v2, v3
	;; [unrolled: 3-line block ×5, first 2 shown]
	s_and_saveexec_b32 s3, vcc_lo
; %bb.269:
	ds_store_b32 v5, v2 offset:496
; %bb.270:
	s_or_b32 exec_lo, exec_lo, s3
	s_wait_dscnt 0x0
	s_barrier_signal -1
	s_barrier_wait -1
	s_and_saveexec_b32 s3, s0
; %bb.271:
	ds_load_b32 v2, v6 offset:496
; %bb.272:
	s_or_b32 exec_lo, exec_lo, s3
	s_wait_dscnt 0x0
	ds_bpermute_b32 v3, v8, v2
	s_wait_dscnt 0x0
	v_add_f32_e32 v2, v2, v3
	ds_bpermute_b32 v3, v61, v2
	s_wait_dscnt 0x0
	v_dual_add_f32 v2, v2, v3 :: v_dual_mov_b32 v3, 0
	ds_bpermute_b32 v2, v3, v2
	s_and_saveexec_b32 s0, s1
	s_cbranch_execz .LBB167_285
; %bb.273:
	s_wait_dscnt 0x0
	v_add_f32_e32 v2, 0x358637bd, v2
	s_mov_b32 s3, -1
	s_mov_b32 s1, exec_lo
	s_delay_alu instid0(VALU_DEP_1) | instskip(SKIP_1) | instid1(VALU_DEP_2)
	v_div_scale_f32 v3, null, v2, v2, 1.0
	v_div_scale_f32 v7, vcc_lo, 1.0, v2, 1.0
	v_rcp_f32_e32 v6, v3
	v_nop
	s_delay_alu instid0(TRANS32_DEP_1) | instskip(NEXT) | instid1(VALU_DEP_1)
	v_fma_f32 v5, -v3, v6, 1.0
	v_fmac_f32_e32 v6, v5, v6
	s_delay_alu instid0(VALU_DEP_1) | instskip(NEXT) | instid1(VALU_DEP_1)
	v_mul_f32_e32 v8, v7, v6
	v_fma_f32 v5, -v3, v8, v7
	s_delay_alu instid0(VALU_DEP_1) | instskip(SKIP_1) | instid1(VALU_DEP_2)
	v_fmac_f32_e32 v8, v5, v6
	v_xad_u32 v5, v0, -1, s19
	v_fma_f32 v3, -v3, v8, v7
	s_delay_alu instid0(VALU_DEP_1) | instskip(NEXT) | instid1(VALU_DEP_1)
	v_div_fmas_f32 v3, v3, v6, v8
	v_div_fixup_f32 v2, v3, v2, 1.0
	v_mov_b32_e32 v3, v0
	v_cmpx_lt_u32_e32 0x7f, v5
	s_cbranch_execz .LBB167_282
; %bb.274:
	s_delay_alu instid0(VALU_DEP_3) | instskip(NEXT) | instid1(VALU_DEP_1)
	v_dual_lshrrev_b32 v5, 7, v5 :: v_dual_mov_b32 v3, v2
	v_dual_mov_b32 v9, 0 :: v_dual_add_nc_u32 v6, -1, v5
	s_delay_alu instid0(VALU_DEP_1) | instskip(SKIP_1) | instid1(VALU_DEP_2)
	v_lshrrev_b32_e32 v7, 1, v6
	v_cmp_lt_u32_e32 vcc_lo, 13, v6
	v_add_nc_u32_e32 v6, 1, v7
	s_and_saveexec_b32 s3, vcc_lo
	s_cbranch_execz .LBB167_278
; %bb.275:
	s_delay_alu instid0(VALU_DEP_1)
	v_and_b32_e32 v7, -8, v6
	v_lshl_add_u32 v8, v0, 2, 0x200
	s_mov_b32 s27, 0
	s_mov_b32 s28, 0
.LBB167_276:                            ; =>This Inner Loop Header: Depth=1
	ds_load_2addr_stride64_b32 v[10:11], v8 offset1:2
	ds_load_2addr_stride64_b32 v[12:13], v8 offset0:4 offset1:6
	ds_load_2addr_stride64_b32 v[14:15], v8 offset0:8 offset1:10
	;; [unrolled: 1-line block ×7, first 2 shown]
	s_add_co_i32 s28, s28, 16
	s_delay_alu instid0(SALU_CYCLE_1) | instskip(NEXT) | instid1(VALU_DEP_1)
	v_dual_add_nc_u32 v7, -8, v7 :: v_dual_mov_b32 v9, s28
	v_cmp_eq_u32_e32 vcc_lo, 0, v7
	s_or_b32 s27, vcc_lo, s27
	s_wait_dscnt 0x7
	v_pk_mul_f32 v[10:11], v[2:3], v[10:11]
	s_wait_dscnt 0x6
	v_pk_mul_f32 v[12:13], v[2:3], v[12:13]
	;; [unrolled: 2-line block ×8, first 2 shown]
	ds_store_2addr_stride64_b32 v8, v10, v11 offset1:2
	ds_store_2addr_stride64_b32 v8, v12, v13 offset0:4 offset1:6
	ds_store_2addr_stride64_b32 v8, v14, v15 offset0:8 offset1:10
	;; [unrolled: 1-line block ×7, first 2 shown]
	v_add_nc_u32_e32 v8, 0x2000, v8
	s_and_not1_b32 exec_lo, exec_lo, s27
	s_cbranch_execnz .LBB167_276
; %bb.277:
	s_or_b32 exec_lo, exec_lo, s27
.LBB167_278:
	s_delay_alu instid0(SALU_CYCLE_1) | instskip(NEXT) | instid1(VALU_DEP_1)
	s_or_b32 exec_lo, exec_lo, s3
	v_and_b32_e32 v6, 7, v6
	s_mov_b32 s27, 0
	s_mov_b32 s3, exec_lo
	s_delay_alu instid0(VALU_DEP_1)
	v_cmpx_ne_u32_e32 0, v6
	s_cbranch_execz .LBB167_281
; %bb.279:
	v_dual_lshlrev_b32 v7, 9, v9 :: v_dual_lshlrev_b32 v8, 2, v0
	s_delay_alu instid0(VALU_DEP_1)
	v_add3_u32 v7, v7, v8, 0x200
.LBB167_280:                            ; =>This Inner Loop Header: Depth=1
	ds_load_2addr_stride64_b32 v[8:9], v7 offset1:2
	v_add_nc_u32_e32 v6, -1, v6
	s_delay_alu instid0(VALU_DEP_1)
	v_cmp_eq_u32_e32 vcc_lo, 0, v6
	s_or_b32 s27, vcc_lo, s27
	s_wait_dscnt 0x0
	v_pk_mul_f32 v[8:9], v[2:3], v[8:9]
	ds_store_2addr_stride64_b32 v7, v8, v9 offset1:2
	v_add_nc_u32_e32 v7, 0x400, v7
	s_and_not1_b32 exec_lo, exec_lo, s27
	s_cbranch_execnz .LBB167_280
.LBB167_281:
	s_or_b32 exec_lo, exec_lo, s3
	v_add_nc_u32_e32 v3, 1, v5
	s_delay_alu instid0(VALU_DEP_1) | instskip(NEXT) | instid1(VALU_DEP_1)
	v_and_b32_e32 v5, 0x3fffffe, v3
	v_cmp_ne_u32_e32 vcc_lo, v3, v5
	v_lshl_add_u32 v3, v5, 7, v0
	s_or_not1_b32 s3, vcc_lo, exec_lo
.LBB167_282:
	s_or_b32 exec_lo, exec_lo, s1
	s_delay_alu instid0(SALU_CYCLE_1)
	s_and_b32 exec_lo, exec_lo, s3
	s_cbranch_execz .LBB167_285
; %bb.283:
	v_lshl_add_u32 v5, v3, 2, 0x200
	s_mov_b32 s1, 0
.LBB167_284:                            ; =>This Inner Loop Header: Depth=1
	ds_load_b32 v6, v5
	s_wait_dscnt 0x0
	v_dual_mul_f32 v6, v2, v6 :: v_dual_add_nc_u32 v3, 0x80, v3
	s_delay_alu instid0(VALU_DEP_1) | instskip(SKIP_3) | instid1(SALU_CYCLE_1)
	v_cmp_le_i32_e32 vcc_lo, s19, v3
	ds_store_b32 v5, v6
	v_add_nc_u32_e32 v5, 0x200, v5
	s_or_b32 s1, vcc_lo, s1
	s_and_not1_b32 exec_lo, exec_lo, s1
	s_cbranch_execnz .LBB167_284
.LBB167_285:
	s_or_b32 exec_lo, exec_lo, s0
	v_lshrrev_b32_e32 v60, 1, v4
	s_wait_dscnt 0x0
	s_barrier_signal -1
	s_barrier_wait -1
	s_and_saveexec_b32 s0, s2
	s_delay_alu instid0(SALU_CYCLE_1)
	s_xor_b32 s0, exec_lo, s0
; %bb.286:
	v_lshrrev_b32_e32 v60, 1, v4
                                        ; implicit-def: $vgpr30
                                        ; implicit-def: $vgpr31
; %bb.287:
	s_or_saveexec_b32 s27, s0
	v_dual_mov_b32 v7, 0 :: v_dual_bitop2_b32 v62, 1, v0 bitop3:0x40
	v_dual_mov_b32 v6, 0 :: v_dual_mov_b32 v9, 0
	v_dual_mov_b32 v8, 0 :: v_dual_mov_b32 v11, 0
	;; [unrolled: 1-line block ×3, first 2 shown]
	v_mov_b32_e32 v12, 0
	s_xor_b32 exec_lo, exec_lo, s27
	s_cbranch_execz .LBB167_567
; %bb.288:
	s_abs_i32 s14, s14
	v_dual_mov_b32 v15, 0 :: v_dual_lshlrev_b32 v2, 2, v0
	s_cvt_f32_u32 s0, s14
	v_and_b32_e32 v14, 0x7c, v31
	v_or_b32_e32 v4, 0x70, v60
	s_delay_alu instid0(VALU_DEP_3)
	v_dual_mov_b32 v19, v15 :: v_dual_bitop2_b32 v63, 4, v2 bitop3:0x40
	v_rcp_iflag_f32_e32 v3, s0
	s_lshl_b64 s[0:1], s[24:25], 2
	s_sub_co_i32 s28, s12, s13
	s_add_nc_u64 s[0:1], s[22:23], s[0:1]
	s_sub_co_i32 s12, 0, s14
	v_mov_b32_e32 v17, v15
	v_add_nc_u64_e32 v[20:21], s[0:1], v[14:15]
	v_readfirstlane_b32 s2, v3
	v_lshlrev_b32_e32 v3, 4, v62
	v_lshl_or_b32 v16, v60, 3, v63
	v_lshl_or_b32 v18, v4, 3, v63
	v_dual_mov_b32 v12, 0 :: v_dual_mov_b32 v13, 0
	s_mul_f32 s2, s2, 0x4f7ffffe
	v_lshl_or_b32 v2, v1, 5, v3
	v_dual_mov_b32 v65, v1 :: v_dual_mov_b32 v10, 0
	v_mov_b32_e32 v11, 0
	s_cvt_u32_f32 s2, s2
	s_delay_alu instid0(VALU_DEP_3) | instskip(SKIP_1) | instid1(SALU_CYCLE_1)
	v_add_nc_u32_e32 v64, 0x200, v2
	v_dual_mov_b32 v8, 0 :: v_dual_mov_b32 v9, 0
	s_mul_i32 s12, s12, s2
	v_dual_mov_b32 v6, 0 :: v_dual_mov_b32 v7, 0
	s_ashr_i32 s19, s18, 31
	s_mov_b32 s3, 0
	s_mul_hi_u32 s12, s2, s12
	s_add_co_i32 s29, s26, -1
	s_wait_kmcnt 0x0
	s_add_nc_u64 s[8:9], s[8:9], s[18:19]
	s_mov_b32 s18, s34
	s_add_co_i32 s2, s2, s12
	s_mov_b32 s19, s3
	v_cmp_gt_u32_e32 vcc_lo, 0x78, v4
	s_branch .LBB167_292
.LBB167_289:                            ;   in Loop: Header=BB167_292 Depth=1
	s_or_b32 exec_lo, exec_lo, s1
	s_wait_dscnt 0x0
	v_pk_mul_f32 v[26:27], v[2:3], v[26:27]
	v_pk_mul_f32 v[54:55], v[4:5], v[54:55]
	s_delay_alu instid0(VALU_DEP_2) | instskip(NEXT) | instid1(VALU_DEP_1)
	v_add_f32_e32 v14, v27, v26
	v_add_f32_e32 v14, v54, v14
	s_delay_alu instid0(VALU_DEP_1) | instskip(NEXT) | instid1(VALU_DEP_1)
	v_add_f32_e32 v14, v55, v14
	v_add_f32_e32 v7, v7, v14
.LBB167_290:                            ;   in Loop: Header=BB167_292 Depth=1
	s_or_b32 exec_lo, exec_lo, s23
	s_wait_dscnt 0x0
	v_dual_mul_f32 v14, v2, v52 :: v_dual_mul_f32 v26, v2, v50
	v_mul_f32_e32 v27, v2, v46
	v_mul_f32_e32 v31, v2, v42
	v_dual_mul_f32 v38, v2, v38 :: v_dual_mul_f32 v32, v2, v32
	s_delay_alu instid0(VALU_DEP_4) | instskip(SKIP_1) | instid1(VALU_DEP_3)
	v_fmac_f32_e32 v14, v3, v53
	v_dual_fmac_f32 v26, v3, v51 :: v_dual_mul_f32 v2, v2, v24
	v_dual_fmac_f32 v38, v3, v39 :: v_dual_fmac_f32 v32, v3, v33
	s_delay_alu instid0(VALU_DEP_3) | instskip(NEXT) | instid1(VALU_DEP_3)
	v_fmac_f32_e32 v14, v4, v34
	v_dual_fmac_f32 v26, v4, v48 :: v_dual_fmac_f32 v27, v3, v47
	v_fmac_f32_e32 v31, v3, v43
	s_delay_alu instid0(VALU_DEP_3) | instskip(NEXT) | instid1(VALU_DEP_3)
	v_fmac_f32_e32 v14, v5, v35
	v_dual_fmac_f32 v26, v5, v49 :: v_dual_fmac_f32 v27, v4, v44
	s_delay_alu instid0(VALU_DEP_3) | instskip(NEXT) | instid1(VALU_DEP_3)
	v_dual_fmac_f32 v2, v3, v25 :: v_dual_fmac_f32 v31, v4, v40
	v_add_f32_e32 v6, v6, v14
	s_delay_alu instid0(VALU_DEP_3) | instskip(NEXT) | instid1(VALU_DEP_4)
	v_dual_add_f32 v9, v9, v26 :: v_dual_fmac_f32 v38, v4, v36
	v_dual_fmac_f32 v27, v5, v45 :: v_dual_fmac_f32 v32, v4, v28
	s_delay_alu instid0(VALU_DEP_4) | instskip(NEXT) | instid1(VALU_DEP_2)
	v_dual_fmac_f32 v2, v4, v22 :: v_dual_fmac_f32 v31, v5, v41
	v_dual_fmac_f32 v38, v5, v37 :: v_dual_add_f32 v8, v8, v27
	s_delay_alu instid0(VALU_DEP_2) | instskip(NEXT) | instid1(VALU_DEP_2)
	v_dual_fmac_f32 v2, v5, v23 :: v_dual_fmac_f32 v32, v5, v29
	v_dual_add_f32 v11, v11, v31 :: v_dual_add_f32 v10, v10, v38
	s_delay_alu instid0(VALU_DEP_2)
	v_dual_add_f32 v12, v12, v2 :: v_dual_add_f32 v13, v13, v32
.LBB167_291:                            ;   in Loop: Header=BB167_292 Depth=1
	s_or_b32 exec_lo, exec_lo, s22
	v_dual_add_nc_u32 v65, 4, v65 :: v_dual_add_nc_u32 v30, 32, v30
	v_add_nc_u64_e32 v[20:21], 16, v[20:21]
	v_add_nc_u32_e32 v64, 0x80, v64
	s_delay_alu instid0(VALU_DEP_3) | instskip(SKIP_1) | instid1(SALU_CYCLE_1)
	v_cmp_le_i32_e64 s0, s26, v65
	s_or_b32 s19, s0, s19
	s_and_not1_b32 exec_lo, exec_lo, s19
	s_cbranch_execz .LBB167_566
.LBB167_292:                            ; =>This Inner Loop Header: Depth=1
	v_mov_b32_e32 v31, v15
	s_delay_alu instid0(VALU_DEP_1) | instskip(NEXT) | instid1(VALU_DEP_1)
	v_mul_u64_e32 v[2:3], s[20:21], v[30:31]
	v_mul_lo_u32 v2, v3, s16
	s_delay_alu instid0(VALU_DEP_1) | instskip(NEXT) | instid1(VALU_DEP_1)
	v_sub_nc_u32_e32 v2, v30, v2
	v_subrev_nc_u32_e32 v5, s16, v2
	v_cmp_le_u32_e64 s0, s16, v2
	s_delay_alu instid0(VALU_DEP_1) | instskip(NEXT) | instid1(VALU_DEP_1)
	v_dual_add_nc_u32 v4, 1, v3 :: v_dual_cndmask_b32 v2, v2, v5, s0
	v_cndmask_b32_e64 v3, v3, v4, s0
	s_delay_alu instid0(VALU_DEP_2) | instskip(NEXT) | instid1(VALU_DEP_2)
	v_cmp_le_u32_e64 s0, s16, v2
	v_add_nc_u32_e32 v4, 1, v3
	s_delay_alu instid0(VALU_DEP_1) | instskip(NEXT) | instid1(VALU_DEP_1)
	v_cndmask_b32_e64 v2, v3, v4, s0
	v_xor_b32_e32 v2, s15, v2
	s_delay_alu instid0(VALU_DEP_1) | instskip(NEXT) | instid1(VALU_DEP_1)
	v_subrev_nc_u32_e32 v4, s15, v2
	v_add_nc_u32_e32 v5, s35, v4
	v_cmp_lt_i32_e64 s1, s28, v4
	s_delay_alu instid0(VALU_DEP_2) | instskip(NEXT) | instid1(VALU_DEP_1)
	v_sub_nc_u32_e32 v2, 0, v5
	v_dual_ashrrev_i32 v5, 31, v5 :: v_dual_max_i32 v14, v5, v2
	s_delay_alu instid0(VALU_DEP_1) | instskip(NEXT) | instid1(VALU_DEP_1)
	v_mul_u64_e32 v[2:3], s[2:3], v[14:15]
	v_mul_lo_u32 v2, v3, s14
	s_delay_alu instid0(VALU_DEP_1) | instskip(NEXT) | instid1(VALU_DEP_1)
	v_sub_nc_u32_e32 v2, v14, v2
	v_subrev_nc_u32_e32 v3, s14, v2
	v_cmp_le_u32_e64 s0, s14, v2
	s_delay_alu instid0(VALU_DEP_1) | instskip(NEXT) | instid1(VALU_DEP_1)
	v_cndmask_b32_e64 v2, v2, v3, s0
	v_subrev_nc_u32_e32 v3, s14, v2
	v_cmp_le_u32_e64 s0, s14, v2
	s_delay_alu instid0(VALU_DEP_1) | instskip(NEXT) | instid1(VALU_DEP_1)
	v_cndmask_b32_e64 v2, v2, v3, s0
	v_xor_b32_e32 v2, v2, v5
	s_delay_alu instid0(VALU_DEP_1) | instskip(NEXT) | instid1(VALU_DEP_1)
	v_sub_nc_u32_e32 v2, v2, v5
	v_cmp_eq_u32_e64 s0, 0, v2
	s_or_b32 s0, s0, s1
	s_delay_alu instid0(SALU_CYCLE_1)
	s_and_saveexec_b32 s22, s0
	s_cbranch_execz .LBB167_291
; %bb.293:                              ;   in Loop: Header=BB167_292 Depth=1
	global_load_b32 v2, v[20:21], off
	s_load_b32 s12, s[10:11], 0x0
	v_mov_b64_e32 v[22:23], 0
	v_mov_b64_e32 v[24:25], 0
	s_mov_b32 s1, exec_lo
	s_wait_loadcnt 0x0
	v_mad_nc_i64_i32 v[26:27], v2, s17, s[8:9]
	ds_load_b128 v[2:5], v64
	v_add_nc_u64_e32 v[34:35], v[26:27], v[16:17]
	global_load_b32 v31, v[34:35], off
	s_wait_loadcnt 0x0
	v_and_b32_e32 v14, 0xff, v31
	s_delay_alu instid0(VALU_DEP_1)
	v_cmpx_ne_u16_e32 0, v14
	s_cbranch_execz .LBB167_301
; %bb.294:                              ;   in Loop: Header=BB167_292 Depth=1
	v_mov_b64_e32 v[24:25], 0x80000000
	s_mov_b32 s13, exec_lo
	v_cmpx_ne_u16_e32 0x80, v14
	s_cbranch_execz .LBB167_300
; %bb.295:                              ;   in Loop: Header=BB167_292 Depth=1
	v_mov_b64_e32 v[24:25], 0x7f800001
	v_and_b32_e32 v28, 0x7f, v31
	s_mov_b32 s23, exec_lo
	s_delay_alu instid0(VALU_DEP_1)
	v_cmpx_ne_u32_e32 0x7f, v28
	s_cbranch_execz .LBB167_299
; %bb.296:                              ;   in Loop: Header=BB167_292 Depth=1
	v_dual_lshrrev_b32 v24, 3, v28 :: v_dual_bitop2_b32 v14, 7, v31 bitop3:0x40
	s_mov_b32 s24, exec_lo
	v_cmpx_gt_u32_e32 8, v28
; %bb.297:                              ;   in Loop: Header=BB167_292 Depth=1
	s_delay_alu instid0(VALU_DEP_2) | instskip(NEXT) | instid1(VALU_DEP_1)
	v_clz_i32_u32_e32 v24, v14
	v_min_u32_e32 v24, 32, v24
	s_delay_alu instid0(VALU_DEP_1) | instskip(SKIP_1) | instid1(VALU_DEP_2)
	v_subrev_nc_u32_e32 v25, 28, v24
	v_sub_nc_u32_e32 v24, 29, v24
	v_lshlrev_b64_e32 v[28:29], v25, v[14:15]
	s_delay_alu instid0(VALU_DEP_1)
	v_and_b32_e32 v14, 7, v28
; %bb.298:                              ;   in Loop: Header=BB167_292 Depth=1
	s_or_b32 exec_lo, exec_lo, s24
	s_delay_alu instid0(VALU_DEP_1) | instskip(SKIP_1) | instid1(VALU_DEP_2)
	v_dual_lshlrev_b32 v25, 24, v31 :: v_dual_lshlrev_b32 v14, 20, v14
	v_lshl_add_u32 v24, v24, 23, 0x3c000000
	v_and_b32_e32 v25, 0x80000000, v25
	s_delay_alu instid0(VALU_DEP_1) | instskip(NEXT) | instid1(VALU_DEP_1)
	v_or3_b32 v14, v14, v25, v24
	v_mov_b64_e32 v[24:25], v[14:15]
.LBB167_299:                            ;   in Loop: Header=BB167_292 Depth=1
	s_or_b32 exec_lo, exec_lo, s23
.LBB167_300:                            ;   in Loop: Header=BB167_292 Depth=1
	s_delay_alu instid0(SALU_CYCLE_1)
	s_or_b32 exec_lo, exec_lo, s13
.LBB167_301:                            ;   in Loop: Header=BB167_292 Depth=1
	s_delay_alu instid0(SALU_CYCLE_1) | instskip(SKIP_2) | instid1(VALU_DEP_1)
	s_or_b32 exec_lo, exec_lo, s1
	v_lshrrev_b16 v14, 8, v31
	s_mov_b32 s1, exec_lo
	v_cmpx_ne_u16_e32 0, v14
	s_cbranch_execz .LBB167_309
; %bb.302:                              ;   in Loop: Header=BB167_292 Depth=1
	v_mov_b64_e32 v[22:23], 0x8000000000000000
	s_mov_b32 s13, exec_lo
	v_cmpx_ne_u16_e32 0x80, v14
	s_cbranch_execz .LBB167_308
; %bb.303:                              ;   in Loop: Header=BB167_292 Depth=1
	v_and_b32_e32 v14, 0xffff, v14
	v_mov_b64_e32 v[22:23], 0x7f80000100000000
	s_mov_b32 s23, exec_lo
	s_delay_alu instid0(VALU_DEP_2) | instskip(NEXT) | instid1(VALU_DEP_1)
	v_and_b32_e32 v28, 0x7f, v14
	v_cmpx_ne_u32_e32 0x7f, v28
	s_cbranch_execz .LBB167_307
; %bb.304:                              ;   in Loop: Header=BB167_292 Depth=1
	v_dual_lshrrev_b32 v22, 3, v28 :: v_dual_bitop2_b32 v14, 7, v14 bitop3:0x40
	s_mov_b32 s24, exec_lo
	v_cmpx_gt_u32_e32 8, v28
; %bb.305:                              ;   in Loop: Header=BB167_292 Depth=1
	s_delay_alu instid0(VALU_DEP_2) | instskip(NEXT) | instid1(VALU_DEP_1)
	v_clz_i32_u32_e32 v22, v14
	v_min_u32_e32 v22, 32, v22
	s_delay_alu instid0(VALU_DEP_1) | instskip(NEXT) | instid1(VALU_DEP_1)
	v_subrev_nc_u32_e32 v23, 28, v22
	v_lshlrev_b64_e32 v[28:29], v23, v[14:15]
	s_delay_alu instid0(VALU_DEP_1)
	v_dual_sub_nc_u32 v22, 29, v22 :: v_dual_bitop2_b32 v14, 7, v28 bitop3:0x40
; %bb.306:                              ;   in Loop: Header=BB167_292 Depth=1
	s_or_b32 exec_lo, exec_lo, s24
	s_delay_alu instid0(VALU_DEP_1) | instskip(NEXT) | instid1(VALU_DEP_2)
	v_dual_lshlrev_b32 v23, 16, v31 :: v_dual_lshlrev_b32 v14, 20, v14
	v_lshl_add_u32 v22, v22, 23, 0x3c000000
	s_delay_alu instid0(VALU_DEP_2) | instskip(NEXT) | instid1(VALU_DEP_1)
	v_and_b32_e32 v23, 0x80000000, v23
	v_or3_b32 v23, v14, v23, v22
	v_mov_b32_e32 v22, v15
.LBB167_307:                            ;   in Loop: Header=BB167_292 Depth=1
	s_or_b32 exec_lo, exec_lo, s23
.LBB167_308:                            ;   in Loop: Header=BB167_292 Depth=1
	s_delay_alu instid0(SALU_CYCLE_1)
	s_or_b32 exec_lo, exec_lo, s13
.LBB167_309:                            ;   in Loop: Header=BB167_292 Depth=1
	s_delay_alu instid0(SALU_CYCLE_1) | instskip(SKIP_4) | instid1(VALU_DEP_3)
	s_or_b32 exec_lo, exec_lo, s1
	v_lshrrev_b32_e32 v36, 16, v31
	v_mov_b64_e32 v[28:29], 0
	v_mov_b64_e32 v[32:33], 0
	s_mov_b32 s1, exec_lo
	v_and_b32_e32 v14, 0xff, v36
	s_delay_alu instid0(VALU_DEP_1)
	v_cmpx_ne_u16_e32 0, v14
	s_cbranch_execz .LBB167_317
; %bb.310:                              ;   in Loop: Header=BB167_292 Depth=1
	v_mov_b64_e32 v[32:33], 0x80000000
	s_mov_b32 s13, exec_lo
	v_cmpx_ne_u16_e32 0x80, v14
	s_cbranch_execz .LBB167_316
; %bb.311:                              ;   in Loop: Header=BB167_292 Depth=1
	v_mov_b64_e32 v[32:33], 0x7f800001
	v_bfe_u32 v37, v31, 16, 7
	s_mov_b32 s23, exec_lo
	s_delay_alu instid0(VALU_DEP_1)
	v_cmpx_ne_u32_e32 0x7f, v37
	s_cbranch_execz .LBB167_315
; %bb.312:                              ;   in Loop: Header=BB167_292 Depth=1
	v_dual_lshrrev_b32 v32, 3, v37 :: v_dual_bitop2_b32 v14, 7, v36 bitop3:0x40
	s_mov_b32 s24, exec_lo
	v_cmpx_gt_u32_e32 8, v37
; %bb.313:                              ;   in Loop: Header=BB167_292 Depth=1
	s_delay_alu instid0(VALU_DEP_2) | instskip(NEXT) | instid1(VALU_DEP_1)
	v_clz_i32_u32_e32 v32, v14
	v_min_u32_e32 v32, 32, v32
	s_delay_alu instid0(VALU_DEP_1) | instskip(NEXT) | instid1(VALU_DEP_1)
	v_subrev_nc_u32_e32 v33, 28, v32
	v_lshlrev_b64_e32 v[38:39], v33, v[14:15]
	s_delay_alu instid0(VALU_DEP_1)
	v_dual_sub_nc_u32 v32, 29, v32 :: v_dual_bitop2_b32 v14, 7, v38 bitop3:0x40
; %bb.314:                              ;   in Loop: Header=BB167_292 Depth=1
	s_or_b32 exec_lo, exec_lo, s24
	s_delay_alu instid0(VALU_DEP_1) | instskip(NEXT) | instid1(VALU_DEP_2)
	v_dual_lshlrev_b32 v33, 24, v36 :: v_dual_lshlrev_b32 v14, 20, v14
	v_lshl_add_u32 v32, v32, 23, 0x3c000000
	s_delay_alu instid0(VALU_DEP_2) | instskip(NEXT) | instid1(VALU_DEP_1)
	v_and_b32_e32 v33, 0x80000000, v33
	v_or3_b32 v14, v14, v33, v32
	s_delay_alu instid0(VALU_DEP_1)
	v_mov_b64_e32 v[32:33], v[14:15]
.LBB167_315:                            ;   in Loop: Header=BB167_292 Depth=1
	s_or_b32 exec_lo, exec_lo, s23
.LBB167_316:                            ;   in Loop: Header=BB167_292 Depth=1
	s_delay_alu instid0(SALU_CYCLE_1)
	s_or_b32 exec_lo, exec_lo, s13
.LBB167_317:                            ;   in Loop: Header=BB167_292 Depth=1
	s_delay_alu instid0(SALU_CYCLE_1) | instskip(NEXT) | instid1(SALU_CYCLE_1)
	s_or_b32 exec_lo, exec_lo, s1
	s_mov_b32 s1, exec_lo
	v_cmpx_lt_u32_e32 0xffffff, v31
	s_cbranch_execz .LBB167_325
; %bb.318:                              ;   in Loop: Header=BB167_292 Depth=1
	v_mov_b64_e32 v[28:29], 0x8000000000000000
	v_lshrrev_b32_e32 v36, 24, v31
	s_mov_b32 s13, exec_lo
	s_delay_alu instid0(VALU_DEP_1)
	v_cmpx_ne_u32_e32 0x80, v36
	s_cbranch_execz .LBB167_324
; %bb.319:                              ;   in Loop: Header=BB167_292 Depth=1
	v_mov_b64_e32 v[28:29], 0x7f80000100000000
	v_bfe_u32 v31, v31, 24, 7
	s_mov_b32 s23, exec_lo
	s_delay_alu instid0(VALU_DEP_1)
	v_cmpx_ne_u32_e32 0x7f, v31
	s_cbranch_execz .LBB167_323
; %bb.320:                              ;   in Loop: Header=BB167_292 Depth=1
	v_dual_lshrrev_b32 v28, 3, v31 :: v_dual_bitop2_b32 v14, 7, v36 bitop3:0x40
	s_mov_b32 s24, exec_lo
	v_cmpx_gt_u32_e32 8, v31
; %bb.321:                              ;   in Loop: Header=BB167_292 Depth=1
	s_delay_alu instid0(VALU_DEP_2) | instskip(NEXT) | instid1(VALU_DEP_1)
	v_clz_i32_u32_e32 v28, v14
	v_min_u32_e32 v28, 32, v28
	s_delay_alu instid0(VALU_DEP_1) | instskip(NEXT) | instid1(VALU_DEP_1)
	v_subrev_nc_u32_e32 v29, 28, v28
	v_lshlrev_b64_e32 v[38:39], v29, v[14:15]
	s_delay_alu instid0(VALU_DEP_1)
	v_dual_sub_nc_u32 v28, 29, v28 :: v_dual_bitop2_b32 v14, 7, v38 bitop3:0x40
; %bb.322:                              ;   in Loop: Header=BB167_292 Depth=1
	s_or_b32 exec_lo, exec_lo, s24
	s_delay_alu instid0(VALU_DEP_1) | instskip(NEXT) | instid1(VALU_DEP_2)
	v_dual_lshlrev_b32 v29, 24, v36 :: v_dual_lshlrev_b32 v14, 20, v14
	v_lshl_add_u32 v28, v28, 23, 0x3c000000
	s_delay_alu instid0(VALU_DEP_2) | instskip(NEXT) | instid1(VALU_DEP_1)
	v_and_b32_e32 v29, 0x80000000, v29
	v_or3_b32 v29, v14, v29, v28
	v_mov_b32_e32 v28, v15
.LBB167_323:                            ;   in Loop: Header=BB167_292 Depth=1
	s_or_b32 exec_lo, exec_lo, s23
.LBB167_324:                            ;   in Loop: Header=BB167_292 Depth=1
	s_delay_alu instid0(SALU_CYCLE_1)
	s_or_b32 exec_lo, exec_lo, s13
.LBB167_325:                            ;   in Loop: Header=BB167_292 Depth=1
	s_delay_alu instid0(SALU_CYCLE_1)
	s_or_b32 exec_lo, exec_lo, s1
	v_dual_add_nc_u32 v31, v63, v30 :: v_dual_bitop2_b32 v22, v22, v24 bitop3:0x54
	v_or_b32_e32 v23, v23, v25
	v_or_b32_e32 v29, v29, v33
	;; [unrolled: 1-line block ×3, first 2 shown]
	v_cmp_eq_u32_e64 s0, s29, v65
	v_add_nc_u32_e32 v59, 2, v31
	s_wait_kmcnt 0x0
	v_pk_mul_f32 v[24:25], s[12:13], v[22:23] op_sel_hi:[0,1]
	v_add_nc_u32_e32 v58, 3, v31
	v_pk_mul_f32 v[22:23], s[12:13], v[28:29] op_sel_hi:[0,1]
	s_and_saveexec_b32 s13, s0
	s_cbranch_execz .LBB167_327
; %bb.326:                              ;   in Loop: Header=BB167_292 Depth=1
	v_cmp_gt_i32_e64 s1, s34, v31
	s_delay_alu instid0(VALU_DEP_1) | instskip(NEXT) | instid1(VALU_DEP_1)
	v_dual_add_nc_u32 v14, 1, v31 :: v_dual_cndmask_b32 v24, 0, v24, s1
	v_cmp_gt_i32_e64 s1, s34, v14
	s_delay_alu instid0(VALU_DEP_1) | instskip(SKIP_1) | instid1(VALU_DEP_1)
	v_cndmask_b32_e64 v25, 0, v25, s1
	v_cmp_gt_i32_e64 s1, s34, v59
	v_cndmask_b32_e64 v22, 0, v22, s1
	v_cmp_gt_i32_e64 s1, s34, v58
	s_delay_alu instid0(VALU_DEP_1)
	v_cndmask_b32_e64 v23, 0, v23, s1
.LBB167_327:                            ;   in Loop: Header=BB167_292 Depth=1
	s_or_b32 exec_lo, exec_lo, s13
	global_load_b32 v40, v[34:35], off offset:128
	v_mov_b64_e32 v[28:29], 0
	v_mov_b64_e32 v[32:33], 0
	s_mov_b32 s13, exec_lo
	s_wait_loadcnt 0x0
	v_and_b32_e32 v14, 0xff, v40
	s_delay_alu instid0(VALU_DEP_1)
	v_cmpx_ne_u16_e32 0, v14
	s_cbranch_execz .LBB167_335
; %bb.328:                              ;   in Loop: Header=BB167_292 Depth=1
	v_mov_b64_e32 v[32:33], 0x80000000
	s_mov_b32 s23, exec_lo
	v_cmpx_ne_u16_e32 0x80, v14
	s_cbranch_execz .LBB167_334
; %bb.329:                              ;   in Loop: Header=BB167_292 Depth=1
	v_mov_b64_e32 v[32:33], 0x7f800001
	v_and_b32_e32 v36, 0x7f, v40
	s_mov_b32 s24, exec_lo
	s_delay_alu instid0(VALU_DEP_1)
	v_cmpx_ne_u32_e32 0x7f, v36
	s_cbranch_execz .LBB167_333
; %bb.330:                              ;   in Loop: Header=BB167_292 Depth=1
	v_and_b32_e32 v14, 7, v40
	v_lshrrev_b32_e32 v32, 3, v36
	s_mov_b32 s25, exec_lo
	v_cmpx_gt_u32_e32 8, v36
; %bb.331:                              ;   in Loop: Header=BB167_292 Depth=1
	s_delay_alu instid0(VALU_DEP_3) | instskip(NEXT) | instid1(VALU_DEP_1)
	v_clz_i32_u32_e32 v32, v14
	v_min_u32_e32 v32, 32, v32
	s_delay_alu instid0(VALU_DEP_1) | instskip(SKIP_1) | instid1(VALU_DEP_2)
	v_subrev_nc_u32_e32 v33, 28, v32
	v_sub_nc_u32_e32 v32, 29, v32
	v_lshlrev_b64_e32 v[36:37], v33, v[14:15]
	s_delay_alu instid0(VALU_DEP_1)
	v_and_b32_e32 v14, 7, v36
; %bb.332:                              ;   in Loop: Header=BB167_292 Depth=1
	s_or_b32 exec_lo, exec_lo, s25
	s_delay_alu instid0(VALU_DEP_1) | instskip(SKIP_1) | instid1(VALU_DEP_2)
	v_dual_lshlrev_b32 v33, 24, v40 :: v_dual_lshlrev_b32 v14, 20, v14
	v_lshl_add_u32 v32, v32, 23, 0x3c000000
	v_and_b32_e32 v33, 0x80000000, v33
	s_delay_alu instid0(VALU_DEP_1) | instskip(NEXT) | instid1(VALU_DEP_1)
	v_or3_b32 v14, v14, v33, v32
	v_mov_b64_e32 v[32:33], v[14:15]
.LBB167_333:                            ;   in Loop: Header=BB167_292 Depth=1
	s_or_b32 exec_lo, exec_lo, s24
.LBB167_334:                            ;   in Loop: Header=BB167_292 Depth=1
	s_delay_alu instid0(SALU_CYCLE_1)
	s_or_b32 exec_lo, exec_lo, s23
.LBB167_335:                            ;   in Loop: Header=BB167_292 Depth=1
	s_delay_alu instid0(SALU_CYCLE_1) | instskip(SKIP_2) | instid1(VALU_DEP_1)
	s_or_b32 exec_lo, exec_lo, s13
	v_lshrrev_b16 v14, 8, v40
	s_mov_b32 s13, exec_lo
	v_cmpx_ne_u16_e32 0, v14
	s_cbranch_execz .LBB167_343
; %bb.336:                              ;   in Loop: Header=BB167_292 Depth=1
	v_mov_b64_e32 v[28:29], 0x8000000000000000
	s_mov_b32 s23, exec_lo
	v_cmpx_ne_u16_e32 0x80, v14
	s_cbranch_execz .LBB167_342
; %bb.337:                              ;   in Loop: Header=BB167_292 Depth=1
	v_and_b32_e32 v14, 0xffff, v14
	v_mov_b64_e32 v[28:29], 0x7f80000100000000
	s_mov_b32 s24, exec_lo
	s_delay_alu instid0(VALU_DEP_2) | instskip(NEXT) | instid1(VALU_DEP_1)
	v_and_b32_e32 v36, 0x7f, v14
	v_cmpx_ne_u32_e32 0x7f, v36
	s_cbranch_execz .LBB167_341
; %bb.338:                              ;   in Loop: Header=BB167_292 Depth=1
	v_dual_lshrrev_b32 v28, 3, v36 :: v_dual_bitop2_b32 v14, 7, v14 bitop3:0x40
	s_mov_b32 s25, exec_lo
	v_cmpx_gt_u32_e32 8, v36
; %bb.339:                              ;   in Loop: Header=BB167_292 Depth=1
	s_delay_alu instid0(VALU_DEP_2) | instskip(NEXT) | instid1(VALU_DEP_1)
	v_clz_i32_u32_e32 v28, v14
	v_min_u32_e32 v28, 32, v28
	s_delay_alu instid0(VALU_DEP_1) | instskip(SKIP_1) | instid1(VALU_DEP_2)
	v_subrev_nc_u32_e32 v29, 28, v28
	v_sub_nc_u32_e32 v28, 29, v28
	v_lshlrev_b64_e32 v[36:37], v29, v[14:15]
	s_delay_alu instid0(VALU_DEP_1)
	v_and_b32_e32 v14, 7, v36
; %bb.340:                              ;   in Loop: Header=BB167_292 Depth=1
	s_or_b32 exec_lo, exec_lo, s25
	s_delay_alu instid0(VALU_DEP_1) | instskip(SKIP_1) | instid1(VALU_DEP_2)
	v_dual_lshlrev_b32 v29, 16, v40 :: v_dual_lshlrev_b32 v14, 20, v14
	v_lshl_add_u32 v28, v28, 23, 0x3c000000
	v_and_b32_e32 v29, 0x80000000, v29
	s_delay_alu instid0(VALU_DEP_1)
	v_or3_b32 v29, v14, v29, v28
	v_mov_b32_e32 v28, v15
.LBB167_341:                            ;   in Loop: Header=BB167_292 Depth=1
	s_or_b32 exec_lo, exec_lo, s24
.LBB167_342:                            ;   in Loop: Header=BB167_292 Depth=1
	s_delay_alu instid0(SALU_CYCLE_1)
	s_or_b32 exec_lo, exec_lo, s23
.LBB167_343:                            ;   in Loop: Header=BB167_292 Depth=1
	s_delay_alu instid0(SALU_CYCLE_1) | instskip(SKIP_4) | instid1(VALU_DEP_3)
	s_or_b32 exec_lo, exec_lo, s13
	v_lshrrev_b32_e32 v41, 16, v40
	v_mov_b64_e32 v[36:37], 0
	v_mov_b64_e32 v[38:39], 0
	s_mov_b32 s13, exec_lo
	v_and_b32_e32 v14, 0xff, v41
	s_delay_alu instid0(VALU_DEP_1)
	v_cmpx_ne_u16_e32 0, v14
	s_cbranch_execz .LBB167_351
; %bb.344:                              ;   in Loop: Header=BB167_292 Depth=1
	v_mov_b64_e32 v[38:39], 0x80000000
	s_mov_b32 s23, exec_lo
	v_cmpx_ne_u16_e32 0x80, v14
	s_cbranch_execz .LBB167_350
; %bb.345:                              ;   in Loop: Header=BB167_292 Depth=1
	v_mov_b64_e32 v[38:39], 0x7f800001
	v_bfe_u32 v42, v40, 16, 7
	s_mov_b32 s24, exec_lo
	s_delay_alu instid0(VALU_DEP_1)
	v_cmpx_ne_u32_e32 0x7f, v42
	s_cbranch_execz .LBB167_349
; %bb.346:                              ;   in Loop: Header=BB167_292 Depth=1
	v_dual_lshrrev_b32 v38, 3, v42 :: v_dual_bitop2_b32 v14, 7, v41 bitop3:0x40
	s_mov_b32 s25, exec_lo
	v_cmpx_gt_u32_e32 8, v42
; %bb.347:                              ;   in Loop: Header=BB167_292 Depth=1
	s_delay_alu instid0(VALU_DEP_2) | instskip(NEXT) | instid1(VALU_DEP_1)
	v_clz_i32_u32_e32 v38, v14
	v_min_u32_e32 v38, 32, v38
	s_delay_alu instid0(VALU_DEP_1) | instskip(SKIP_1) | instid1(VALU_DEP_2)
	v_subrev_nc_u32_e32 v39, 28, v38
	v_sub_nc_u32_e32 v38, 29, v38
	v_lshlrev_b64_e32 v[42:43], v39, v[14:15]
	s_delay_alu instid0(VALU_DEP_1)
	v_and_b32_e32 v14, 7, v42
; %bb.348:                              ;   in Loop: Header=BB167_292 Depth=1
	s_or_b32 exec_lo, exec_lo, s25
	s_delay_alu instid0(VALU_DEP_1) | instskip(SKIP_1) | instid1(VALU_DEP_2)
	v_dual_lshlrev_b32 v39, 24, v41 :: v_dual_lshlrev_b32 v14, 20, v14
	v_lshl_add_u32 v38, v38, 23, 0x3c000000
	v_and_b32_e32 v39, 0x80000000, v39
	s_delay_alu instid0(VALU_DEP_1) | instskip(NEXT) | instid1(VALU_DEP_1)
	v_or3_b32 v14, v14, v39, v38
	v_mov_b64_e32 v[38:39], v[14:15]
.LBB167_349:                            ;   in Loop: Header=BB167_292 Depth=1
	s_or_b32 exec_lo, exec_lo, s24
.LBB167_350:                            ;   in Loop: Header=BB167_292 Depth=1
	s_delay_alu instid0(SALU_CYCLE_1)
	s_or_b32 exec_lo, exec_lo, s23
.LBB167_351:                            ;   in Loop: Header=BB167_292 Depth=1
	s_delay_alu instid0(SALU_CYCLE_1) | instskip(NEXT) | instid1(SALU_CYCLE_1)
	s_or_b32 exec_lo, exec_lo, s13
	s_mov_b32 s13, exec_lo
	v_cmpx_lt_u32_e32 0xffffff, v40
	s_cbranch_execz .LBB167_359
; %bb.352:                              ;   in Loop: Header=BB167_292 Depth=1
	v_mov_b64_e32 v[36:37], 0x8000000000000000
	v_lshrrev_b32_e32 v41, 24, v40
	s_mov_b32 s23, exec_lo
	s_delay_alu instid0(VALU_DEP_1)
	v_cmpx_ne_u32_e32 0x80, v41
	s_cbranch_execz .LBB167_358
; %bb.353:                              ;   in Loop: Header=BB167_292 Depth=1
	v_mov_b64_e32 v[36:37], 0x7f80000100000000
	v_bfe_u32 v40, v40, 24, 7
	s_mov_b32 s24, exec_lo
	s_delay_alu instid0(VALU_DEP_1)
	v_cmpx_ne_u32_e32 0x7f, v40
	s_cbranch_execz .LBB167_357
; %bb.354:                              ;   in Loop: Header=BB167_292 Depth=1
	v_dual_lshrrev_b32 v36, 3, v40 :: v_dual_bitop2_b32 v14, 7, v41 bitop3:0x40
	s_mov_b32 s25, exec_lo
	v_cmpx_gt_u32_e32 8, v40
; %bb.355:                              ;   in Loop: Header=BB167_292 Depth=1
	s_delay_alu instid0(VALU_DEP_2) | instskip(NEXT) | instid1(VALU_DEP_1)
	v_clz_i32_u32_e32 v36, v14
	v_min_u32_e32 v36, 32, v36
	s_delay_alu instid0(VALU_DEP_1) | instskip(NEXT) | instid1(VALU_DEP_1)
	v_subrev_nc_u32_e32 v37, 28, v36
	v_lshlrev_b64_e32 v[42:43], v37, v[14:15]
	s_delay_alu instid0(VALU_DEP_1)
	v_dual_sub_nc_u32 v36, 29, v36 :: v_dual_bitop2_b32 v14, 7, v42 bitop3:0x40
; %bb.356:                              ;   in Loop: Header=BB167_292 Depth=1
	s_or_b32 exec_lo, exec_lo, s25
	s_delay_alu instid0(VALU_DEP_1) | instskip(NEXT) | instid1(VALU_DEP_2)
	v_dual_lshlrev_b32 v37, 24, v41 :: v_dual_lshlrev_b32 v14, 20, v14
	v_lshl_add_u32 v36, v36, 23, 0x3c000000
	s_delay_alu instid0(VALU_DEP_2) | instskip(NEXT) | instid1(VALU_DEP_1)
	v_and_b32_e32 v37, 0x80000000, v37
	v_or3_b32 v37, v14, v37, v36
	v_mov_b32_e32 v36, v15
.LBB167_357:                            ;   in Loop: Header=BB167_292 Depth=1
	s_or_b32 exec_lo, exec_lo, s24
.LBB167_358:                            ;   in Loop: Header=BB167_292 Depth=1
	s_delay_alu instid0(SALU_CYCLE_1)
	s_or_b32 exec_lo, exec_lo, s23
.LBB167_359:                            ;   in Loop: Header=BB167_292 Depth=1
	s_delay_alu instid0(SALU_CYCLE_1)
	s_or_b32 exec_lo, exec_lo, s13
	s_mov_b32 s13, s12
	v_or_b32_e32 v29, v29, v33
	v_mov_b64_e32 v[40:41], s[12:13]
	v_or_b32_e32 v28, v28, v32
	v_or_b32_e32 v37, v37, v39
	;; [unrolled: 1-line block ×3, first 2 shown]
	s_delay_alu instid0(VALU_DEP_3) | instskip(NEXT) | instid1(VALU_DEP_2)
	v_pk_mul_f32 v[32:33], v[40:41], v[28:29]
	v_pk_mul_f32 v[28:29], v[40:41], v[36:37]
	s_and_saveexec_b32 s23, s0
	s_cbranch_execz .LBB167_361
; %bb.360:                              ;   in Loop: Header=BB167_292 Depth=1
	v_cmp_gt_i32_e64 s1, s34, v31
	s_delay_alu instid0(VALU_DEP_1) | instskip(NEXT) | instid1(VALU_DEP_1)
	v_dual_add_nc_u32 v14, 1, v31 :: v_dual_cndmask_b32 v32, 0, v32, s1
	v_cmp_gt_i32_e64 s1, s34, v14
	s_delay_alu instid0(VALU_DEP_1) | instskip(SKIP_1) | instid1(VALU_DEP_1)
	v_cndmask_b32_e64 v33, 0, v33, s1
	v_cmp_gt_i32_e64 s1, s34, v59
	v_cndmask_b32_e64 v28, 0, v28, s1
	v_cmp_gt_i32_e64 s1, s34, v58
	s_delay_alu instid0(VALU_DEP_1)
	v_cndmask_b32_e64 v29, 0, v29, s1
.LBB167_361:                            ;   in Loop: Header=BB167_292 Depth=1
	s_or_b32 exec_lo, exec_lo, s23
	global_load_b32 v44, v[34:35], off offset:256
	v_mov_b64_e32 v[36:37], 0
	v_mov_b64_e32 v[38:39], 0
	s_mov_b32 s23, exec_lo
	s_wait_loadcnt 0x0
	v_and_b32_e32 v14, 0xff, v44
	s_delay_alu instid0(VALU_DEP_1)
	v_cmpx_ne_u16_e32 0, v14
	s_cbranch_execz .LBB167_369
; %bb.362:                              ;   in Loop: Header=BB167_292 Depth=1
	v_mov_b64_e32 v[38:39], 0x80000000
	s_mov_b32 s24, exec_lo
	v_cmpx_ne_u16_e32 0x80, v14
	s_cbranch_execz .LBB167_368
; %bb.363:                              ;   in Loop: Header=BB167_292 Depth=1
	v_mov_b64_e32 v[38:39], 0x7f800001
	v_and_b32_e32 v40, 0x7f, v44
	s_mov_b32 s25, exec_lo
	s_delay_alu instid0(VALU_DEP_1)
	v_cmpx_ne_u32_e32 0x7f, v40
	s_cbranch_execz .LBB167_367
; %bb.364:                              ;   in Loop: Header=BB167_292 Depth=1
	v_and_b32_e32 v14, 7, v44
	v_lshrrev_b32_e32 v38, 3, v40
	s_mov_b32 s36, exec_lo
	v_cmpx_gt_u32_e32 8, v40
; %bb.365:                              ;   in Loop: Header=BB167_292 Depth=1
	s_delay_alu instid0(VALU_DEP_3) | instskip(NEXT) | instid1(VALU_DEP_1)
	v_clz_i32_u32_e32 v38, v14
	v_min_u32_e32 v38, 32, v38
	s_delay_alu instid0(VALU_DEP_1) | instskip(NEXT) | instid1(VALU_DEP_1)
	v_subrev_nc_u32_e32 v39, 28, v38
	v_lshlrev_b64_e32 v[40:41], v39, v[14:15]
	s_delay_alu instid0(VALU_DEP_1)
	v_dual_sub_nc_u32 v38, 29, v38 :: v_dual_bitop2_b32 v14, 7, v40 bitop3:0x40
; %bb.366:                              ;   in Loop: Header=BB167_292 Depth=1
	s_or_b32 exec_lo, exec_lo, s36
	s_delay_alu instid0(VALU_DEP_1) | instskip(NEXT) | instid1(VALU_DEP_2)
	v_dual_lshlrev_b32 v39, 24, v44 :: v_dual_lshlrev_b32 v14, 20, v14
	v_lshl_add_u32 v38, v38, 23, 0x3c000000
	s_delay_alu instid0(VALU_DEP_2) | instskip(NEXT) | instid1(VALU_DEP_1)
	v_and_b32_e32 v39, 0x80000000, v39
	v_or3_b32 v14, v14, v39, v38
	s_delay_alu instid0(VALU_DEP_1)
	v_mov_b64_e32 v[38:39], v[14:15]
.LBB167_367:                            ;   in Loop: Header=BB167_292 Depth=1
	s_or_b32 exec_lo, exec_lo, s25
.LBB167_368:                            ;   in Loop: Header=BB167_292 Depth=1
	s_delay_alu instid0(SALU_CYCLE_1)
	s_or_b32 exec_lo, exec_lo, s24
.LBB167_369:                            ;   in Loop: Header=BB167_292 Depth=1
	s_delay_alu instid0(SALU_CYCLE_1) | instskip(SKIP_2) | instid1(VALU_DEP_1)
	s_or_b32 exec_lo, exec_lo, s23
	v_lshrrev_b16 v14, 8, v44
	s_mov_b32 s23, exec_lo
	v_cmpx_ne_u16_e32 0, v14
	s_cbranch_execz .LBB167_377
; %bb.370:                              ;   in Loop: Header=BB167_292 Depth=1
	v_mov_b64_e32 v[36:37], 0x8000000000000000
	s_mov_b32 s24, exec_lo
	v_cmpx_ne_u16_e32 0x80, v14
	s_cbranch_execz .LBB167_376
; %bb.371:                              ;   in Loop: Header=BB167_292 Depth=1
	v_and_b32_e32 v14, 0xffff, v14
	v_mov_b64_e32 v[36:37], 0x7f80000100000000
	s_mov_b32 s25, exec_lo
	s_delay_alu instid0(VALU_DEP_2) | instskip(NEXT) | instid1(VALU_DEP_1)
	v_and_b32_e32 v40, 0x7f, v14
	v_cmpx_ne_u32_e32 0x7f, v40
	s_cbranch_execz .LBB167_375
; %bb.372:                              ;   in Loop: Header=BB167_292 Depth=1
	v_dual_lshrrev_b32 v36, 3, v40 :: v_dual_bitop2_b32 v14, 7, v14 bitop3:0x40
	s_mov_b32 s36, exec_lo
	v_cmpx_gt_u32_e32 8, v40
; %bb.373:                              ;   in Loop: Header=BB167_292 Depth=1
	s_delay_alu instid0(VALU_DEP_2) | instskip(NEXT) | instid1(VALU_DEP_1)
	v_clz_i32_u32_e32 v36, v14
	v_min_u32_e32 v36, 32, v36
	s_delay_alu instid0(VALU_DEP_1) | instskip(SKIP_1) | instid1(VALU_DEP_2)
	v_subrev_nc_u32_e32 v37, 28, v36
	v_sub_nc_u32_e32 v36, 29, v36
	v_lshlrev_b64_e32 v[40:41], v37, v[14:15]
	s_delay_alu instid0(VALU_DEP_1)
	v_and_b32_e32 v14, 7, v40
; %bb.374:                              ;   in Loop: Header=BB167_292 Depth=1
	s_or_b32 exec_lo, exec_lo, s36
	s_delay_alu instid0(VALU_DEP_1) | instskip(SKIP_1) | instid1(VALU_DEP_2)
	v_dual_lshlrev_b32 v37, 16, v44 :: v_dual_lshlrev_b32 v14, 20, v14
	v_lshl_add_u32 v36, v36, 23, 0x3c000000
	v_and_b32_e32 v37, 0x80000000, v37
	s_delay_alu instid0(VALU_DEP_1)
	v_or3_b32 v37, v14, v37, v36
	v_mov_b32_e32 v36, v15
.LBB167_375:                            ;   in Loop: Header=BB167_292 Depth=1
	s_or_b32 exec_lo, exec_lo, s25
.LBB167_376:                            ;   in Loop: Header=BB167_292 Depth=1
	s_delay_alu instid0(SALU_CYCLE_1)
	s_or_b32 exec_lo, exec_lo, s24
.LBB167_377:                            ;   in Loop: Header=BB167_292 Depth=1
	s_delay_alu instid0(SALU_CYCLE_1) | instskip(SKIP_4) | instid1(VALU_DEP_3)
	s_or_b32 exec_lo, exec_lo, s23
	v_lshrrev_b32_e32 v45, 16, v44
	v_mov_b64_e32 v[40:41], 0
	v_mov_b64_e32 v[42:43], 0
	s_mov_b32 s23, exec_lo
	v_and_b32_e32 v14, 0xff, v45
	s_delay_alu instid0(VALU_DEP_1)
	v_cmpx_ne_u16_e32 0, v14
	s_cbranch_execz .LBB167_385
; %bb.378:                              ;   in Loop: Header=BB167_292 Depth=1
	v_mov_b64_e32 v[42:43], 0x80000000
	s_mov_b32 s24, exec_lo
	v_cmpx_ne_u16_e32 0x80, v14
	s_cbranch_execz .LBB167_384
; %bb.379:                              ;   in Loop: Header=BB167_292 Depth=1
	v_mov_b64_e32 v[42:43], 0x7f800001
	v_bfe_u32 v46, v44, 16, 7
	s_mov_b32 s25, exec_lo
	s_delay_alu instid0(VALU_DEP_1)
	v_cmpx_ne_u32_e32 0x7f, v46
	s_cbranch_execz .LBB167_383
; %bb.380:                              ;   in Loop: Header=BB167_292 Depth=1
	v_dual_lshrrev_b32 v42, 3, v46 :: v_dual_bitop2_b32 v14, 7, v45 bitop3:0x40
	s_mov_b32 s36, exec_lo
	v_cmpx_gt_u32_e32 8, v46
; %bb.381:                              ;   in Loop: Header=BB167_292 Depth=1
	s_delay_alu instid0(VALU_DEP_2) | instskip(NEXT) | instid1(VALU_DEP_1)
	v_clz_i32_u32_e32 v42, v14
	v_min_u32_e32 v42, 32, v42
	s_delay_alu instid0(VALU_DEP_1) | instskip(SKIP_1) | instid1(VALU_DEP_2)
	v_subrev_nc_u32_e32 v43, 28, v42
	v_sub_nc_u32_e32 v42, 29, v42
	v_lshlrev_b64_e32 v[46:47], v43, v[14:15]
	s_delay_alu instid0(VALU_DEP_1)
	v_and_b32_e32 v14, 7, v46
; %bb.382:                              ;   in Loop: Header=BB167_292 Depth=1
	s_or_b32 exec_lo, exec_lo, s36
	s_delay_alu instid0(VALU_DEP_1) | instskip(SKIP_1) | instid1(VALU_DEP_2)
	v_dual_lshlrev_b32 v43, 24, v45 :: v_dual_lshlrev_b32 v14, 20, v14
	v_lshl_add_u32 v42, v42, 23, 0x3c000000
	v_and_b32_e32 v43, 0x80000000, v43
	s_delay_alu instid0(VALU_DEP_1) | instskip(NEXT) | instid1(VALU_DEP_1)
	v_or3_b32 v14, v14, v43, v42
	v_mov_b64_e32 v[42:43], v[14:15]
.LBB167_383:                            ;   in Loop: Header=BB167_292 Depth=1
	s_or_b32 exec_lo, exec_lo, s25
.LBB167_384:                            ;   in Loop: Header=BB167_292 Depth=1
	s_delay_alu instid0(SALU_CYCLE_1)
	s_or_b32 exec_lo, exec_lo, s24
.LBB167_385:                            ;   in Loop: Header=BB167_292 Depth=1
	s_delay_alu instid0(SALU_CYCLE_1) | instskip(NEXT) | instid1(SALU_CYCLE_1)
	s_or_b32 exec_lo, exec_lo, s23
	s_mov_b32 s23, exec_lo
	v_cmpx_lt_u32_e32 0xffffff, v44
	s_cbranch_execz .LBB167_393
; %bb.386:                              ;   in Loop: Header=BB167_292 Depth=1
	v_mov_b64_e32 v[40:41], 0x8000000000000000
	v_lshrrev_b32_e32 v45, 24, v44
	s_mov_b32 s24, exec_lo
	s_delay_alu instid0(VALU_DEP_1)
	v_cmpx_ne_u32_e32 0x80, v45
	s_cbranch_execz .LBB167_392
; %bb.387:                              ;   in Loop: Header=BB167_292 Depth=1
	v_mov_b64_e32 v[40:41], 0x7f80000100000000
	v_bfe_u32 v44, v44, 24, 7
	s_mov_b32 s25, exec_lo
	s_delay_alu instid0(VALU_DEP_1)
	v_cmpx_ne_u32_e32 0x7f, v44
	s_cbranch_execz .LBB167_391
; %bb.388:                              ;   in Loop: Header=BB167_292 Depth=1
	v_dual_lshrrev_b32 v40, 3, v44 :: v_dual_bitop2_b32 v14, 7, v45 bitop3:0x40
	s_mov_b32 s36, exec_lo
	v_cmpx_gt_u32_e32 8, v44
; %bb.389:                              ;   in Loop: Header=BB167_292 Depth=1
	s_delay_alu instid0(VALU_DEP_2) | instskip(NEXT) | instid1(VALU_DEP_1)
	v_clz_i32_u32_e32 v40, v14
	v_min_u32_e32 v40, 32, v40
	s_delay_alu instid0(VALU_DEP_1) | instskip(NEXT) | instid1(VALU_DEP_1)
	v_subrev_nc_u32_e32 v41, 28, v40
	v_lshlrev_b64_e32 v[46:47], v41, v[14:15]
	s_delay_alu instid0(VALU_DEP_1)
	v_dual_sub_nc_u32 v40, 29, v40 :: v_dual_bitop2_b32 v14, 7, v46 bitop3:0x40
; %bb.390:                              ;   in Loop: Header=BB167_292 Depth=1
	s_or_b32 exec_lo, exec_lo, s36
	s_delay_alu instid0(VALU_DEP_1) | instskip(NEXT) | instid1(VALU_DEP_2)
	v_dual_lshlrev_b32 v41, 24, v45 :: v_dual_lshlrev_b32 v14, 20, v14
	v_lshl_add_u32 v40, v40, 23, 0x3c000000
	s_delay_alu instid0(VALU_DEP_2) | instskip(NEXT) | instid1(VALU_DEP_1)
	v_and_b32_e32 v41, 0x80000000, v41
	v_or3_b32 v41, v14, v41, v40
	v_mov_b32_e32 v40, v15
.LBB167_391:                            ;   in Loop: Header=BB167_292 Depth=1
	s_or_b32 exec_lo, exec_lo, s25
.LBB167_392:                            ;   in Loop: Header=BB167_292 Depth=1
	s_delay_alu instid0(SALU_CYCLE_1)
	s_or_b32 exec_lo, exec_lo, s24
.LBB167_393:                            ;   in Loop: Header=BB167_292 Depth=1
	s_delay_alu instid0(SALU_CYCLE_1)
	s_or_b32 exec_lo, exec_lo, s23
	v_mov_b64_e32 v[44:45], s[12:13]
	v_or_b32_e32 v37, v37, v39
	v_or_b32_e32 v36, v36, v38
	;; [unrolled: 1-line block ×4, first 2 shown]
	s_delay_alu instid0(VALU_DEP_3) | instskip(NEXT) | instid1(VALU_DEP_2)
	v_pk_mul_f32 v[38:39], v[44:45], v[36:37]
	v_pk_mul_f32 v[36:37], v[44:45], v[40:41]
	s_and_saveexec_b32 s23, s0
	s_cbranch_execz .LBB167_395
; %bb.394:                              ;   in Loop: Header=BB167_292 Depth=1
	v_cmp_gt_i32_e64 s1, s34, v31
	s_delay_alu instid0(VALU_DEP_1) | instskip(NEXT) | instid1(VALU_DEP_1)
	v_dual_add_nc_u32 v14, 1, v31 :: v_dual_cndmask_b32 v38, 0, v38, s1
	v_cmp_gt_i32_e64 s1, s34, v14
	s_delay_alu instid0(VALU_DEP_1) | instskip(SKIP_1) | instid1(VALU_DEP_1)
	v_cndmask_b32_e64 v39, 0, v39, s1
	v_cmp_gt_i32_e64 s1, s34, v59
	v_cndmask_b32_e64 v36, 0, v36, s1
	v_cmp_gt_i32_e64 s1, s34, v58
	s_delay_alu instid0(VALU_DEP_1)
	v_cndmask_b32_e64 v37, 0, v37, s1
.LBB167_395:                            ;   in Loop: Header=BB167_292 Depth=1
	s_or_b32 exec_lo, exec_lo, s23
	global_load_b32 v48, v[34:35], off offset:384
	v_mov_b64_e32 v[40:41], 0
	v_mov_b64_e32 v[42:43], 0
	s_mov_b32 s23, exec_lo
	s_wait_loadcnt 0x0
	v_and_b32_e32 v14, 0xff, v48
	s_delay_alu instid0(VALU_DEP_1)
	v_cmpx_ne_u16_e32 0, v14
	s_cbranch_execz .LBB167_403
; %bb.396:                              ;   in Loop: Header=BB167_292 Depth=1
	v_mov_b64_e32 v[42:43], 0x80000000
	s_mov_b32 s24, exec_lo
	v_cmpx_ne_u16_e32 0x80, v14
	s_cbranch_execz .LBB167_402
; %bb.397:                              ;   in Loop: Header=BB167_292 Depth=1
	v_mov_b64_e32 v[42:43], 0x7f800001
	v_and_b32_e32 v44, 0x7f, v48
	s_mov_b32 s25, exec_lo
	s_delay_alu instid0(VALU_DEP_1)
	v_cmpx_ne_u32_e32 0x7f, v44
	s_cbranch_execz .LBB167_401
; %bb.398:                              ;   in Loop: Header=BB167_292 Depth=1
	v_and_b32_e32 v14, 7, v48
	v_lshrrev_b32_e32 v42, 3, v44
	s_mov_b32 s36, exec_lo
	v_cmpx_gt_u32_e32 8, v44
; %bb.399:                              ;   in Loop: Header=BB167_292 Depth=1
	s_delay_alu instid0(VALU_DEP_3) | instskip(NEXT) | instid1(VALU_DEP_1)
	v_clz_i32_u32_e32 v42, v14
	v_min_u32_e32 v42, 32, v42
	s_delay_alu instid0(VALU_DEP_1) | instskip(NEXT) | instid1(VALU_DEP_1)
	v_subrev_nc_u32_e32 v43, 28, v42
	v_lshlrev_b64_e32 v[44:45], v43, v[14:15]
	s_delay_alu instid0(VALU_DEP_1)
	v_dual_sub_nc_u32 v42, 29, v42 :: v_dual_bitop2_b32 v14, 7, v44 bitop3:0x40
; %bb.400:                              ;   in Loop: Header=BB167_292 Depth=1
	s_or_b32 exec_lo, exec_lo, s36
	s_delay_alu instid0(VALU_DEP_1) | instskip(NEXT) | instid1(VALU_DEP_2)
	v_dual_lshlrev_b32 v43, 24, v48 :: v_dual_lshlrev_b32 v14, 20, v14
	v_lshl_add_u32 v42, v42, 23, 0x3c000000
	s_delay_alu instid0(VALU_DEP_2) | instskip(NEXT) | instid1(VALU_DEP_1)
	v_and_b32_e32 v43, 0x80000000, v43
	v_or3_b32 v14, v14, v43, v42
	s_delay_alu instid0(VALU_DEP_1)
	v_mov_b64_e32 v[42:43], v[14:15]
.LBB167_401:                            ;   in Loop: Header=BB167_292 Depth=1
	s_or_b32 exec_lo, exec_lo, s25
.LBB167_402:                            ;   in Loop: Header=BB167_292 Depth=1
	s_delay_alu instid0(SALU_CYCLE_1)
	s_or_b32 exec_lo, exec_lo, s24
.LBB167_403:                            ;   in Loop: Header=BB167_292 Depth=1
	s_delay_alu instid0(SALU_CYCLE_1) | instskip(SKIP_2) | instid1(VALU_DEP_1)
	s_or_b32 exec_lo, exec_lo, s23
	v_lshrrev_b16 v14, 8, v48
	s_mov_b32 s23, exec_lo
	v_cmpx_ne_u16_e32 0, v14
	s_cbranch_execz .LBB167_411
; %bb.404:                              ;   in Loop: Header=BB167_292 Depth=1
	v_mov_b64_e32 v[40:41], 0x8000000000000000
	s_mov_b32 s24, exec_lo
	v_cmpx_ne_u16_e32 0x80, v14
	s_cbranch_execz .LBB167_410
; %bb.405:                              ;   in Loop: Header=BB167_292 Depth=1
	v_and_b32_e32 v14, 0xffff, v14
	v_mov_b64_e32 v[40:41], 0x7f80000100000000
	s_mov_b32 s25, exec_lo
	s_delay_alu instid0(VALU_DEP_2) | instskip(NEXT) | instid1(VALU_DEP_1)
	v_and_b32_e32 v44, 0x7f, v14
	v_cmpx_ne_u32_e32 0x7f, v44
	s_cbranch_execz .LBB167_409
; %bb.406:                              ;   in Loop: Header=BB167_292 Depth=1
	v_dual_lshrrev_b32 v40, 3, v44 :: v_dual_bitop2_b32 v14, 7, v14 bitop3:0x40
	s_mov_b32 s36, exec_lo
	v_cmpx_gt_u32_e32 8, v44
; %bb.407:                              ;   in Loop: Header=BB167_292 Depth=1
	s_delay_alu instid0(VALU_DEP_2) | instskip(NEXT) | instid1(VALU_DEP_1)
	v_clz_i32_u32_e32 v40, v14
	v_min_u32_e32 v40, 32, v40
	s_delay_alu instid0(VALU_DEP_1) | instskip(SKIP_1) | instid1(VALU_DEP_2)
	v_subrev_nc_u32_e32 v41, 28, v40
	v_sub_nc_u32_e32 v40, 29, v40
	v_lshlrev_b64_e32 v[44:45], v41, v[14:15]
	s_delay_alu instid0(VALU_DEP_1)
	v_and_b32_e32 v14, 7, v44
; %bb.408:                              ;   in Loop: Header=BB167_292 Depth=1
	s_or_b32 exec_lo, exec_lo, s36
	s_delay_alu instid0(VALU_DEP_1) | instskip(SKIP_1) | instid1(VALU_DEP_2)
	v_dual_lshlrev_b32 v41, 16, v48 :: v_dual_lshlrev_b32 v14, 20, v14
	v_lshl_add_u32 v40, v40, 23, 0x3c000000
	v_and_b32_e32 v41, 0x80000000, v41
	s_delay_alu instid0(VALU_DEP_1)
	v_or3_b32 v41, v14, v41, v40
	v_mov_b32_e32 v40, v15
.LBB167_409:                            ;   in Loop: Header=BB167_292 Depth=1
	s_or_b32 exec_lo, exec_lo, s25
.LBB167_410:                            ;   in Loop: Header=BB167_292 Depth=1
	s_delay_alu instid0(SALU_CYCLE_1)
	s_or_b32 exec_lo, exec_lo, s24
.LBB167_411:                            ;   in Loop: Header=BB167_292 Depth=1
	s_delay_alu instid0(SALU_CYCLE_1) | instskip(SKIP_4) | instid1(VALU_DEP_3)
	s_or_b32 exec_lo, exec_lo, s23
	v_lshrrev_b32_e32 v49, 16, v48
	v_mov_b64_e32 v[44:45], 0
	v_mov_b64_e32 v[46:47], 0
	s_mov_b32 s23, exec_lo
	v_and_b32_e32 v14, 0xff, v49
	s_delay_alu instid0(VALU_DEP_1)
	v_cmpx_ne_u16_e32 0, v14
	s_cbranch_execz .LBB167_419
; %bb.412:                              ;   in Loop: Header=BB167_292 Depth=1
	v_mov_b64_e32 v[46:47], 0x80000000
	s_mov_b32 s24, exec_lo
	v_cmpx_ne_u16_e32 0x80, v14
	s_cbranch_execz .LBB167_418
; %bb.413:                              ;   in Loop: Header=BB167_292 Depth=1
	v_mov_b64_e32 v[46:47], 0x7f800001
	v_bfe_u32 v50, v48, 16, 7
	s_mov_b32 s25, exec_lo
	s_delay_alu instid0(VALU_DEP_1)
	v_cmpx_ne_u32_e32 0x7f, v50
	s_cbranch_execz .LBB167_417
; %bb.414:                              ;   in Loop: Header=BB167_292 Depth=1
	v_dual_lshrrev_b32 v46, 3, v50 :: v_dual_bitop2_b32 v14, 7, v49 bitop3:0x40
	s_mov_b32 s36, exec_lo
	v_cmpx_gt_u32_e32 8, v50
; %bb.415:                              ;   in Loop: Header=BB167_292 Depth=1
	s_delay_alu instid0(VALU_DEP_2) | instskip(NEXT) | instid1(VALU_DEP_1)
	v_clz_i32_u32_e32 v46, v14
	v_min_u32_e32 v46, 32, v46
	s_delay_alu instid0(VALU_DEP_1) | instskip(SKIP_1) | instid1(VALU_DEP_2)
	v_subrev_nc_u32_e32 v47, 28, v46
	v_sub_nc_u32_e32 v46, 29, v46
	v_lshlrev_b64_e32 v[50:51], v47, v[14:15]
	s_delay_alu instid0(VALU_DEP_1)
	v_and_b32_e32 v14, 7, v50
; %bb.416:                              ;   in Loop: Header=BB167_292 Depth=1
	s_or_b32 exec_lo, exec_lo, s36
	s_delay_alu instid0(VALU_DEP_1) | instskip(SKIP_1) | instid1(VALU_DEP_2)
	v_dual_lshlrev_b32 v47, 24, v49 :: v_dual_lshlrev_b32 v14, 20, v14
	v_lshl_add_u32 v46, v46, 23, 0x3c000000
	v_and_b32_e32 v47, 0x80000000, v47
	s_delay_alu instid0(VALU_DEP_1) | instskip(NEXT) | instid1(VALU_DEP_1)
	v_or3_b32 v14, v14, v47, v46
	v_mov_b64_e32 v[46:47], v[14:15]
.LBB167_417:                            ;   in Loop: Header=BB167_292 Depth=1
	s_or_b32 exec_lo, exec_lo, s25
.LBB167_418:                            ;   in Loop: Header=BB167_292 Depth=1
	s_delay_alu instid0(SALU_CYCLE_1)
	s_or_b32 exec_lo, exec_lo, s24
.LBB167_419:                            ;   in Loop: Header=BB167_292 Depth=1
	s_delay_alu instid0(SALU_CYCLE_1) | instskip(NEXT) | instid1(SALU_CYCLE_1)
	s_or_b32 exec_lo, exec_lo, s23
	s_mov_b32 s23, exec_lo
	v_cmpx_lt_u32_e32 0xffffff, v48
	s_cbranch_execz .LBB167_427
; %bb.420:                              ;   in Loop: Header=BB167_292 Depth=1
	v_mov_b64_e32 v[44:45], 0x8000000000000000
	v_lshrrev_b32_e32 v49, 24, v48
	s_mov_b32 s24, exec_lo
	s_delay_alu instid0(VALU_DEP_1)
	v_cmpx_ne_u32_e32 0x80, v49
	s_cbranch_execz .LBB167_426
; %bb.421:                              ;   in Loop: Header=BB167_292 Depth=1
	v_mov_b64_e32 v[44:45], 0x7f80000100000000
	v_bfe_u32 v48, v48, 24, 7
	s_mov_b32 s25, exec_lo
	s_delay_alu instid0(VALU_DEP_1)
	v_cmpx_ne_u32_e32 0x7f, v48
	s_cbranch_execz .LBB167_425
; %bb.422:                              ;   in Loop: Header=BB167_292 Depth=1
	v_dual_lshrrev_b32 v44, 3, v48 :: v_dual_bitop2_b32 v14, 7, v49 bitop3:0x40
	s_mov_b32 s36, exec_lo
	v_cmpx_gt_u32_e32 8, v48
; %bb.423:                              ;   in Loop: Header=BB167_292 Depth=1
	s_delay_alu instid0(VALU_DEP_2) | instskip(NEXT) | instid1(VALU_DEP_1)
	v_clz_i32_u32_e32 v44, v14
	v_min_u32_e32 v44, 32, v44
	s_delay_alu instid0(VALU_DEP_1) | instskip(NEXT) | instid1(VALU_DEP_1)
	v_subrev_nc_u32_e32 v45, 28, v44
	v_lshlrev_b64_e32 v[50:51], v45, v[14:15]
	s_delay_alu instid0(VALU_DEP_1)
	v_dual_sub_nc_u32 v44, 29, v44 :: v_dual_bitop2_b32 v14, 7, v50 bitop3:0x40
; %bb.424:                              ;   in Loop: Header=BB167_292 Depth=1
	s_or_b32 exec_lo, exec_lo, s36
	s_delay_alu instid0(VALU_DEP_1) | instskip(NEXT) | instid1(VALU_DEP_2)
	v_dual_lshlrev_b32 v45, 24, v49 :: v_dual_lshlrev_b32 v14, 20, v14
	v_lshl_add_u32 v44, v44, 23, 0x3c000000
	s_delay_alu instid0(VALU_DEP_2) | instskip(NEXT) | instid1(VALU_DEP_1)
	v_and_b32_e32 v45, 0x80000000, v45
	v_or3_b32 v45, v14, v45, v44
	v_mov_b32_e32 v44, v15
.LBB167_425:                            ;   in Loop: Header=BB167_292 Depth=1
	s_or_b32 exec_lo, exec_lo, s25
.LBB167_426:                            ;   in Loop: Header=BB167_292 Depth=1
	s_delay_alu instid0(SALU_CYCLE_1)
	s_or_b32 exec_lo, exec_lo, s24
.LBB167_427:                            ;   in Loop: Header=BB167_292 Depth=1
	s_delay_alu instid0(SALU_CYCLE_1)
	s_or_b32 exec_lo, exec_lo, s23
	v_mov_b64_e32 v[48:49], s[12:13]
	v_or_b32_e32 v41, v41, v43
	v_or_b32_e32 v40, v40, v42
	;; [unrolled: 1-line block ×4, first 2 shown]
	s_delay_alu instid0(VALU_DEP_3) | instskip(NEXT) | instid1(VALU_DEP_2)
	v_pk_mul_f32 v[42:43], v[48:49], v[40:41]
	v_pk_mul_f32 v[40:41], v[48:49], v[44:45]
	s_and_saveexec_b32 s23, s0
	s_cbranch_execz .LBB167_429
; %bb.428:                              ;   in Loop: Header=BB167_292 Depth=1
	v_cmp_gt_i32_e64 s1, s34, v31
	s_delay_alu instid0(VALU_DEP_1) | instskip(NEXT) | instid1(VALU_DEP_1)
	v_dual_add_nc_u32 v14, 1, v31 :: v_dual_cndmask_b32 v42, 0, v42, s1
	v_cmp_gt_i32_e64 s1, s34, v14
	s_delay_alu instid0(VALU_DEP_1) | instskip(SKIP_1) | instid1(VALU_DEP_1)
	v_cndmask_b32_e64 v43, 0, v43, s1
	v_cmp_gt_i32_e64 s1, s34, v59
	v_cndmask_b32_e64 v40, 0, v40, s1
	v_cmp_gt_i32_e64 s1, s34, v58
	s_delay_alu instid0(VALU_DEP_1)
	v_cndmask_b32_e64 v41, 0, v41, s1
.LBB167_429:                            ;   in Loop: Header=BB167_292 Depth=1
	s_or_b32 exec_lo, exec_lo, s23
	global_load_b32 v52, v[34:35], off offset:512
	v_mov_b64_e32 v[44:45], 0
	v_mov_b64_e32 v[46:47], 0
	s_mov_b32 s23, exec_lo
	s_wait_loadcnt 0x0
	v_and_b32_e32 v14, 0xff, v52
	s_delay_alu instid0(VALU_DEP_1)
	v_cmpx_ne_u16_e32 0, v14
	s_cbranch_execz .LBB167_437
; %bb.430:                              ;   in Loop: Header=BB167_292 Depth=1
	v_mov_b64_e32 v[46:47], 0x80000000
	s_mov_b32 s24, exec_lo
	v_cmpx_ne_u16_e32 0x80, v14
	s_cbranch_execz .LBB167_436
; %bb.431:                              ;   in Loop: Header=BB167_292 Depth=1
	v_mov_b64_e32 v[46:47], 0x7f800001
	v_and_b32_e32 v48, 0x7f, v52
	s_mov_b32 s25, exec_lo
	s_delay_alu instid0(VALU_DEP_1)
	v_cmpx_ne_u32_e32 0x7f, v48
	s_cbranch_execz .LBB167_435
; %bb.432:                              ;   in Loop: Header=BB167_292 Depth=1
	v_and_b32_e32 v14, 7, v52
	v_lshrrev_b32_e32 v46, 3, v48
	s_mov_b32 s36, exec_lo
	v_cmpx_gt_u32_e32 8, v48
; %bb.433:                              ;   in Loop: Header=BB167_292 Depth=1
	s_delay_alu instid0(VALU_DEP_3) | instskip(NEXT) | instid1(VALU_DEP_1)
	v_clz_i32_u32_e32 v46, v14
	v_min_u32_e32 v46, 32, v46
	s_delay_alu instid0(VALU_DEP_1) | instskip(NEXT) | instid1(VALU_DEP_1)
	v_subrev_nc_u32_e32 v47, 28, v46
	v_lshlrev_b64_e32 v[48:49], v47, v[14:15]
	s_delay_alu instid0(VALU_DEP_1)
	v_dual_sub_nc_u32 v46, 29, v46 :: v_dual_bitop2_b32 v14, 7, v48 bitop3:0x40
; %bb.434:                              ;   in Loop: Header=BB167_292 Depth=1
	s_or_b32 exec_lo, exec_lo, s36
	s_delay_alu instid0(VALU_DEP_1) | instskip(NEXT) | instid1(VALU_DEP_2)
	v_dual_lshlrev_b32 v47, 24, v52 :: v_dual_lshlrev_b32 v14, 20, v14
	v_lshl_add_u32 v46, v46, 23, 0x3c000000
	s_delay_alu instid0(VALU_DEP_2) | instskip(NEXT) | instid1(VALU_DEP_1)
	v_and_b32_e32 v47, 0x80000000, v47
	v_or3_b32 v14, v14, v47, v46
	s_delay_alu instid0(VALU_DEP_1)
	v_mov_b64_e32 v[46:47], v[14:15]
.LBB167_435:                            ;   in Loop: Header=BB167_292 Depth=1
	s_or_b32 exec_lo, exec_lo, s25
.LBB167_436:                            ;   in Loop: Header=BB167_292 Depth=1
	s_delay_alu instid0(SALU_CYCLE_1)
	s_or_b32 exec_lo, exec_lo, s24
.LBB167_437:                            ;   in Loop: Header=BB167_292 Depth=1
	s_delay_alu instid0(SALU_CYCLE_1) | instskip(SKIP_2) | instid1(VALU_DEP_1)
	s_or_b32 exec_lo, exec_lo, s23
	v_lshrrev_b16 v14, 8, v52
	s_mov_b32 s23, exec_lo
	v_cmpx_ne_u16_e32 0, v14
	s_cbranch_execz .LBB167_445
; %bb.438:                              ;   in Loop: Header=BB167_292 Depth=1
	v_mov_b64_e32 v[44:45], 0x8000000000000000
	s_mov_b32 s24, exec_lo
	v_cmpx_ne_u16_e32 0x80, v14
	s_cbranch_execz .LBB167_444
; %bb.439:                              ;   in Loop: Header=BB167_292 Depth=1
	v_and_b32_e32 v14, 0xffff, v14
	v_mov_b64_e32 v[44:45], 0x7f80000100000000
	s_mov_b32 s25, exec_lo
	s_delay_alu instid0(VALU_DEP_2) | instskip(NEXT) | instid1(VALU_DEP_1)
	v_and_b32_e32 v48, 0x7f, v14
	v_cmpx_ne_u32_e32 0x7f, v48
	s_cbranch_execz .LBB167_443
; %bb.440:                              ;   in Loop: Header=BB167_292 Depth=1
	v_dual_lshrrev_b32 v44, 3, v48 :: v_dual_bitop2_b32 v14, 7, v14 bitop3:0x40
	s_mov_b32 s36, exec_lo
	v_cmpx_gt_u32_e32 8, v48
; %bb.441:                              ;   in Loop: Header=BB167_292 Depth=1
	s_delay_alu instid0(VALU_DEP_2) | instskip(NEXT) | instid1(VALU_DEP_1)
	v_clz_i32_u32_e32 v44, v14
	v_min_u32_e32 v44, 32, v44
	s_delay_alu instid0(VALU_DEP_1) | instskip(SKIP_1) | instid1(VALU_DEP_2)
	v_subrev_nc_u32_e32 v45, 28, v44
	v_sub_nc_u32_e32 v44, 29, v44
	v_lshlrev_b64_e32 v[48:49], v45, v[14:15]
	s_delay_alu instid0(VALU_DEP_1)
	v_and_b32_e32 v14, 7, v48
; %bb.442:                              ;   in Loop: Header=BB167_292 Depth=1
	s_or_b32 exec_lo, exec_lo, s36
	s_delay_alu instid0(VALU_DEP_1) | instskip(SKIP_1) | instid1(VALU_DEP_2)
	v_dual_lshlrev_b32 v45, 16, v52 :: v_dual_lshlrev_b32 v14, 20, v14
	v_lshl_add_u32 v44, v44, 23, 0x3c000000
	v_and_b32_e32 v45, 0x80000000, v45
	s_delay_alu instid0(VALU_DEP_1)
	v_or3_b32 v45, v14, v45, v44
	v_mov_b32_e32 v44, v15
.LBB167_443:                            ;   in Loop: Header=BB167_292 Depth=1
	s_or_b32 exec_lo, exec_lo, s25
.LBB167_444:                            ;   in Loop: Header=BB167_292 Depth=1
	s_delay_alu instid0(SALU_CYCLE_1)
	s_or_b32 exec_lo, exec_lo, s24
.LBB167_445:                            ;   in Loop: Header=BB167_292 Depth=1
	s_delay_alu instid0(SALU_CYCLE_1) | instskip(SKIP_4) | instid1(VALU_DEP_3)
	s_or_b32 exec_lo, exec_lo, s23
	v_lshrrev_b32_e32 v53, 16, v52
	v_mov_b64_e32 v[48:49], 0
	v_mov_b64_e32 v[50:51], 0
	s_mov_b32 s23, exec_lo
	v_and_b32_e32 v14, 0xff, v53
	s_delay_alu instid0(VALU_DEP_1)
	v_cmpx_ne_u16_e32 0, v14
	s_cbranch_execz .LBB167_453
; %bb.446:                              ;   in Loop: Header=BB167_292 Depth=1
	v_mov_b64_e32 v[50:51], 0x80000000
	s_mov_b32 s24, exec_lo
	v_cmpx_ne_u16_e32 0x80, v14
	s_cbranch_execz .LBB167_452
; %bb.447:                              ;   in Loop: Header=BB167_292 Depth=1
	v_mov_b64_e32 v[50:51], 0x7f800001
	v_bfe_u32 v54, v52, 16, 7
	s_mov_b32 s25, exec_lo
	s_delay_alu instid0(VALU_DEP_1)
	v_cmpx_ne_u32_e32 0x7f, v54
	s_cbranch_execz .LBB167_451
; %bb.448:                              ;   in Loop: Header=BB167_292 Depth=1
	v_dual_lshrrev_b32 v50, 3, v54 :: v_dual_bitop2_b32 v14, 7, v53 bitop3:0x40
	s_mov_b32 s36, exec_lo
	v_cmpx_gt_u32_e32 8, v54
; %bb.449:                              ;   in Loop: Header=BB167_292 Depth=1
	s_delay_alu instid0(VALU_DEP_2) | instskip(NEXT) | instid1(VALU_DEP_1)
	v_clz_i32_u32_e32 v50, v14
	v_min_u32_e32 v50, 32, v50
	s_delay_alu instid0(VALU_DEP_1) | instskip(SKIP_1) | instid1(VALU_DEP_2)
	v_subrev_nc_u32_e32 v51, 28, v50
	v_sub_nc_u32_e32 v50, 29, v50
	v_lshlrev_b64_e32 v[54:55], v51, v[14:15]
	s_delay_alu instid0(VALU_DEP_1)
	v_and_b32_e32 v14, 7, v54
; %bb.450:                              ;   in Loop: Header=BB167_292 Depth=1
	s_or_b32 exec_lo, exec_lo, s36
	s_delay_alu instid0(VALU_DEP_1) | instskip(SKIP_1) | instid1(VALU_DEP_2)
	v_dual_lshlrev_b32 v51, 24, v53 :: v_dual_lshlrev_b32 v14, 20, v14
	v_lshl_add_u32 v50, v50, 23, 0x3c000000
	v_and_b32_e32 v51, 0x80000000, v51
	s_delay_alu instid0(VALU_DEP_1) | instskip(NEXT) | instid1(VALU_DEP_1)
	v_or3_b32 v14, v14, v51, v50
	v_mov_b64_e32 v[50:51], v[14:15]
.LBB167_451:                            ;   in Loop: Header=BB167_292 Depth=1
	s_or_b32 exec_lo, exec_lo, s25
.LBB167_452:                            ;   in Loop: Header=BB167_292 Depth=1
	s_delay_alu instid0(SALU_CYCLE_1)
	s_or_b32 exec_lo, exec_lo, s24
.LBB167_453:                            ;   in Loop: Header=BB167_292 Depth=1
	s_delay_alu instid0(SALU_CYCLE_1) | instskip(NEXT) | instid1(SALU_CYCLE_1)
	s_or_b32 exec_lo, exec_lo, s23
	s_mov_b32 s23, exec_lo
	v_cmpx_lt_u32_e32 0xffffff, v52
	s_cbranch_execz .LBB167_461
; %bb.454:                              ;   in Loop: Header=BB167_292 Depth=1
	v_mov_b64_e32 v[48:49], 0x8000000000000000
	v_lshrrev_b32_e32 v53, 24, v52
	s_mov_b32 s24, exec_lo
	s_delay_alu instid0(VALU_DEP_1)
	v_cmpx_ne_u32_e32 0x80, v53
	s_cbranch_execz .LBB167_460
; %bb.455:                              ;   in Loop: Header=BB167_292 Depth=1
	v_mov_b64_e32 v[48:49], 0x7f80000100000000
	v_bfe_u32 v52, v52, 24, 7
	s_mov_b32 s25, exec_lo
	s_delay_alu instid0(VALU_DEP_1)
	v_cmpx_ne_u32_e32 0x7f, v52
	s_cbranch_execz .LBB167_459
; %bb.456:                              ;   in Loop: Header=BB167_292 Depth=1
	v_dual_lshrrev_b32 v48, 3, v52 :: v_dual_bitop2_b32 v14, 7, v53 bitop3:0x40
	s_mov_b32 s36, exec_lo
	v_cmpx_gt_u32_e32 8, v52
; %bb.457:                              ;   in Loop: Header=BB167_292 Depth=1
	s_delay_alu instid0(VALU_DEP_2) | instskip(NEXT) | instid1(VALU_DEP_1)
	v_clz_i32_u32_e32 v48, v14
	v_min_u32_e32 v48, 32, v48
	s_delay_alu instid0(VALU_DEP_1) | instskip(NEXT) | instid1(VALU_DEP_1)
	v_subrev_nc_u32_e32 v49, 28, v48
	v_lshlrev_b64_e32 v[54:55], v49, v[14:15]
	s_delay_alu instid0(VALU_DEP_1)
	v_dual_sub_nc_u32 v48, 29, v48 :: v_dual_bitop2_b32 v14, 7, v54 bitop3:0x40
; %bb.458:                              ;   in Loop: Header=BB167_292 Depth=1
	s_or_b32 exec_lo, exec_lo, s36
	s_delay_alu instid0(VALU_DEP_1) | instskip(NEXT) | instid1(VALU_DEP_2)
	v_dual_lshlrev_b32 v49, 24, v53 :: v_dual_lshlrev_b32 v14, 20, v14
	v_lshl_add_u32 v48, v48, 23, 0x3c000000
	s_delay_alu instid0(VALU_DEP_2) | instskip(NEXT) | instid1(VALU_DEP_1)
	v_and_b32_e32 v49, 0x80000000, v49
	v_or3_b32 v49, v14, v49, v48
	v_mov_b32_e32 v48, v15
.LBB167_459:                            ;   in Loop: Header=BB167_292 Depth=1
	s_or_b32 exec_lo, exec_lo, s25
.LBB167_460:                            ;   in Loop: Header=BB167_292 Depth=1
	s_delay_alu instid0(SALU_CYCLE_1)
	s_or_b32 exec_lo, exec_lo, s24
.LBB167_461:                            ;   in Loop: Header=BB167_292 Depth=1
	s_delay_alu instid0(SALU_CYCLE_1)
	s_or_b32 exec_lo, exec_lo, s23
	v_mov_b64_e32 v[52:53], s[12:13]
	v_or_b32_e32 v45, v45, v47
	v_or_b32_e32 v44, v44, v46
	;; [unrolled: 1-line block ×4, first 2 shown]
	s_delay_alu instid0(VALU_DEP_3) | instskip(NEXT) | instid1(VALU_DEP_2)
	v_pk_mul_f32 v[46:47], v[52:53], v[44:45]
	v_pk_mul_f32 v[44:45], v[52:53], v[48:49]
	s_and_saveexec_b32 s23, s0
	s_cbranch_execz .LBB167_463
; %bb.462:                              ;   in Loop: Header=BB167_292 Depth=1
	v_cmp_gt_i32_e64 s1, s34, v31
	s_delay_alu instid0(VALU_DEP_1) | instskip(NEXT) | instid1(VALU_DEP_1)
	v_dual_add_nc_u32 v14, 1, v31 :: v_dual_cndmask_b32 v46, 0, v46, s1
	v_cmp_gt_i32_e64 s1, s34, v14
	s_delay_alu instid0(VALU_DEP_1) | instskip(SKIP_1) | instid1(VALU_DEP_1)
	v_cndmask_b32_e64 v47, 0, v47, s1
	v_cmp_gt_i32_e64 s1, s34, v59
	v_cndmask_b32_e64 v44, 0, v44, s1
	v_cmp_gt_i32_e64 s1, s34, v58
	s_delay_alu instid0(VALU_DEP_1)
	v_cndmask_b32_e64 v45, 0, v45, s1
.LBB167_463:                            ;   in Loop: Header=BB167_292 Depth=1
	s_or_b32 exec_lo, exec_lo, s23
	global_load_b32 v56, v[34:35], off offset:640
	v_mov_b64_e32 v[48:49], 0
	v_mov_b64_e32 v[50:51], 0
	s_mov_b32 s23, exec_lo
	s_wait_loadcnt 0x0
	v_and_b32_e32 v14, 0xff, v56
	s_delay_alu instid0(VALU_DEP_1)
	v_cmpx_ne_u16_e32 0, v14
	s_cbranch_execz .LBB167_471
; %bb.464:                              ;   in Loop: Header=BB167_292 Depth=1
	v_mov_b64_e32 v[50:51], 0x80000000
	s_mov_b32 s24, exec_lo
	v_cmpx_ne_u16_e32 0x80, v14
	s_cbranch_execz .LBB167_470
; %bb.465:                              ;   in Loop: Header=BB167_292 Depth=1
	v_mov_b64_e32 v[50:51], 0x7f800001
	v_and_b32_e32 v52, 0x7f, v56
	s_mov_b32 s25, exec_lo
	s_delay_alu instid0(VALU_DEP_1)
	v_cmpx_ne_u32_e32 0x7f, v52
	s_cbranch_execz .LBB167_469
; %bb.466:                              ;   in Loop: Header=BB167_292 Depth=1
	v_and_b32_e32 v14, 7, v56
	v_lshrrev_b32_e32 v50, 3, v52
	s_mov_b32 s36, exec_lo
	v_cmpx_gt_u32_e32 8, v52
; %bb.467:                              ;   in Loop: Header=BB167_292 Depth=1
	s_delay_alu instid0(VALU_DEP_3) | instskip(NEXT) | instid1(VALU_DEP_1)
	v_clz_i32_u32_e32 v50, v14
	v_min_u32_e32 v50, 32, v50
	s_delay_alu instid0(VALU_DEP_1) | instskip(NEXT) | instid1(VALU_DEP_1)
	v_subrev_nc_u32_e32 v51, 28, v50
	v_lshlrev_b64_e32 v[52:53], v51, v[14:15]
	s_delay_alu instid0(VALU_DEP_1)
	v_dual_sub_nc_u32 v50, 29, v50 :: v_dual_bitop2_b32 v14, 7, v52 bitop3:0x40
; %bb.468:                              ;   in Loop: Header=BB167_292 Depth=1
	s_or_b32 exec_lo, exec_lo, s36
	s_delay_alu instid0(VALU_DEP_1) | instskip(NEXT) | instid1(VALU_DEP_2)
	v_dual_lshlrev_b32 v51, 24, v56 :: v_dual_lshlrev_b32 v14, 20, v14
	v_lshl_add_u32 v50, v50, 23, 0x3c000000
	s_delay_alu instid0(VALU_DEP_2) | instskip(NEXT) | instid1(VALU_DEP_1)
	v_and_b32_e32 v51, 0x80000000, v51
	v_or3_b32 v14, v14, v51, v50
	s_delay_alu instid0(VALU_DEP_1)
	v_mov_b64_e32 v[50:51], v[14:15]
.LBB167_469:                            ;   in Loop: Header=BB167_292 Depth=1
	s_or_b32 exec_lo, exec_lo, s25
.LBB167_470:                            ;   in Loop: Header=BB167_292 Depth=1
	s_delay_alu instid0(SALU_CYCLE_1)
	s_or_b32 exec_lo, exec_lo, s24
.LBB167_471:                            ;   in Loop: Header=BB167_292 Depth=1
	s_delay_alu instid0(SALU_CYCLE_1) | instskip(SKIP_2) | instid1(VALU_DEP_1)
	s_or_b32 exec_lo, exec_lo, s23
	v_lshrrev_b16 v14, 8, v56
	s_mov_b32 s23, exec_lo
	v_cmpx_ne_u16_e32 0, v14
	s_cbranch_execz .LBB167_479
; %bb.472:                              ;   in Loop: Header=BB167_292 Depth=1
	v_mov_b64_e32 v[48:49], 0x8000000000000000
	s_mov_b32 s24, exec_lo
	v_cmpx_ne_u16_e32 0x80, v14
	s_cbranch_execz .LBB167_478
; %bb.473:                              ;   in Loop: Header=BB167_292 Depth=1
	v_and_b32_e32 v14, 0xffff, v14
	v_mov_b64_e32 v[48:49], 0x7f80000100000000
	s_mov_b32 s25, exec_lo
	s_delay_alu instid0(VALU_DEP_2) | instskip(NEXT) | instid1(VALU_DEP_1)
	v_and_b32_e32 v52, 0x7f, v14
	v_cmpx_ne_u32_e32 0x7f, v52
	s_cbranch_execz .LBB167_477
; %bb.474:                              ;   in Loop: Header=BB167_292 Depth=1
	v_dual_lshrrev_b32 v48, 3, v52 :: v_dual_bitop2_b32 v14, 7, v14 bitop3:0x40
	s_mov_b32 s36, exec_lo
	v_cmpx_gt_u32_e32 8, v52
; %bb.475:                              ;   in Loop: Header=BB167_292 Depth=1
	s_delay_alu instid0(VALU_DEP_2) | instskip(NEXT) | instid1(VALU_DEP_1)
	v_clz_i32_u32_e32 v48, v14
	v_min_u32_e32 v48, 32, v48
	s_delay_alu instid0(VALU_DEP_1) | instskip(SKIP_1) | instid1(VALU_DEP_2)
	v_subrev_nc_u32_e32 v49, 28, v48
	v_sub_nc_u32_e32 v48, 29, v48
	v_lshlrev_b64_e32 v[52:53], v49, v[14:15]
	s_delay_alu instid0(VALU_DEP_1)
	v_and_b32_e32 v14, 7, v52
; %bb.476:                              ;   in Loop: Header=BB167_292 Depth=1
	s_or_b32 exec_lo, exec_lo, s36
	s_delay_alu instid0(VALU_DEP_1) | instskip(SKIP_1) | instid1(VALU_DEP_2)
	v_dual_lshlrev_b32 v49, 16, v56 :: v_dual_lshlrev_b32 v14, 20, v14
	v_lshl_add_u32 v48, v48, 23, 0x3c000000
	v_and_b32_e32 v49, 0x80000000, v49
	s_delay_alu instid0(VALU_DEP_1)
	v_or3_b32 v49, v14, v49, v48
	v_mov_b32_e32 v48, v15
.LBB167_477:                            ;   in Loop: Header=BB167_292 Depth=1
	s_or_b32 exec_lo, exec_lo, s25
.LBB167_478:                            ;   in Loop: Header=BB167_292 Depth=1
	s_delay_alu instid0(SALU_CYCLE_1)
	s_or_b32 exec_lo, exec_lo, s24
.LBB167_479:                            ;   in Loop: Header=BB167_292 Depth=1
	s_delay_alu instid0(SALU_CYCLE_1) | instskip(SKIP_4) | instid1(VALU_DEP_3)
	s_or_b32 exec_lo, exec_lo, s23
	v_lshrrev_b32_e32 v57, 16, v56
	v_mov_b64_e32 v[52:53], 0
	v_mov_b64_e32 v[54:55], 0
	s_mov_b32 s23, exec_lo
	v_and_b32_e32 v14, 0xff, v57
	s_delay_alu instid0(VALU_DEP_1)
	v_cmpx_ne_u16_e32 0, v14
	s_cbranch_execz .LBB167_487
; %bb.480:                              ;   in Loop: Header=BB167_292 Depth=1
	v_mov_b64_e32 v[54:55], 0x80000000
	s_mov_b32 s24, exec_lo
	v_cmpx_ne_u16_e32 0x80, v14
	s_cbranch_execz .LBB167_486
; %bb.481:                              ;   in Loop: Header=BB167_292 Depth=1
	v_mov_b64_e32 v[54:55], 0x7f800001
	v_bfe_u32 v66, v56, 16, 7
	s_mov_b32 s25, exec_lo
	s_delay_alu instid0(VALU_DEP_1)
	v_cmpx_ne_u32_e32 0x7f, v66
	s_cbranch_execz .LBB167_485
; %bb.482:                              ;   in Loop: Header=BB167_292 Depth=1
	v_dual_lshrrev_b32 v54, 3, v66 :: v_dual_bitop2_b32 v14, 7, v57 bitop3:0x40
	s_mov_b32 s36, exec_lo
	v_cmpx_gt_u32_e32 8, v66
; %bb.483:                              ;   in Loop: Header=BB167_292 Depth=1
	s_delay_alu instid0(VALU_DEP_2) | instskip(NEXT) | instid1(VALU_DEP_1)
	v_clz_i32_u32_e32 v54, v14
	v_min_u32_e32 v54, 32, v54
	s_delay_alu instid0(VALU_DEP_1) | instskip(SKIP_1) | instid1(VALU_DEP_2)
	v_subrev_nc_u32_e32 v55, 28, v54
	v_sub_nc_u32_e32 v54, 29, v54
	v_lshlrev_b64_e32 v[66:67], v55, v[14:15]
	s_delay_alu instid0(VALU_DEP_1)
	v_and_b32_e32 v14, 7, v66
; %bb.484:                              ;   in Loop: Header=BB167_292 Depth=1
	s_or_b32 exec_lo, exec_lo, s36
	s_delay_alu instid0(VALU_DEP_1) | instskip(SKIP_1) | instid1(VALU_DEP_2)
	v_dual_lshlrev_b32 v55, 24, v57 :: v_dual_lshlrev_b32 v14, 20, v14
	v_lshl_add_u32 v54, v54, 23, 0x3c000000
	v_and_b32_e32 v55, 0x80000000, v55
	s_delay_alu instid0(VALU_DEP_1) | instskip(NEXT) | instid1(VALU_DEP_1)
	v_or3_b32 v14, v14, v55, v54
	v_mov_b64_e32 v[54:55], v[14:15]
.LBB167_485:                            ;   in Loop: Header=BB167_292 Depth=1
	s_or_b32 exec_lo, exec_lo, s25
.LBB167_486:                            ;   in Loop: Header=BB167_292 Depth=1
	s_delay_alu instid0(SALU_CYCLE_1)
	s_or_b32 exec_lo, exec_lo, s24
.LBB167_487:                            ;   in Loop: Header=BB167_292 Depth=1
	s_delay_alu instid0(SALU_CYCLE_1) | instskip(NEXT) | instid1(SALU_CYCLE_1)
	s_or_b32 exec_lo, exec_lo, s23
	s_mov_b32 s23, exec_lo
	v_cmpx_lt_u32_e32 0xffffff, v56
	s_cbranch_execz .LBB167_495
; %bb.488:                              ;   in Loop: Header=BB167_292 Depth=1
	v_mov_b64_e32 v[52:53], 0x8000000000000000
	v_lshrrev_b32_e32 v57, 24, v56
	s_mov_b32 s24, exec_lo
	s_delay_alu instid0(VALU_DEP_1)
	v_cmpx_ne_u32_e32 0x80, v57
	s_cbranch_execz .LBB167_494
; %bb.489:                              ;   in Loop: Header=BB167_292 Depth=1
	v_mov_b64_e32 v[52:53], 0x7f80000100000000
	v_bfe_u32 v56, v56, 24, 7
	s_mov_b32 s25, exec_lo
	s_delay_alu instid0(VALU_DEP_1)
	v_cmpx_ne_u32_e32 0x7f, v56
	s_cbranch_execz .LBB167_493
; %bb.490:                              ;   in Loop: Header=BB167_292 Depth=1
	v_dual_lshrrev_b32 v52, 3, v56 :: v_dual_bitop2_b32 v14, 7, v57 bitop3:0x40
	s_mov_b32 s36, exec_lo
	v_cmpx_gt_u32_e32 8, v56
; %bb.491:                              ;   in Loop: Header=BB167_292 Depth=1
	s_delay_alu instid0(VALU_DEP_2) | instskip(NEXT) | instid1(VALU_DEP_1)
	v_clz_i32_u32_e32 v52, v14
	v_min_u32_e32 v52, 32, v52
	s_delay_alu instid0(VALU_DEP_1) | instskip(NEXT) | instid1(VALU_DEP_1)
	v_subrev_nc_u32_e32 v53, 28, v52
	v_lshlrev_b64_e32 v[66:67], v53, v[14:15]
	s_delay_alu instid0(VALU_DEP_1)
	v_dual_sub_nc_u32 v52, 29, v52 :: v_dual_bitop2_b32 v14, 7, v66 bitop3:0x40
; %bb.492:                              ;   in Loop: Header=BB167_292 Depth=1
	s_or_b32 exec_lo, exec_lo, s36
	s_delay_alu instid0(VALU_DEP_1) | instskip(NEXT) | instid1(VALU_DEP_2)
	v_dual_lshlrev_b32 v53, 24, v57 :: v_dual_lshlrev_b32 v14, 20, v14
	v_lshl_add_u32 v52, v52, 23, 0x3c000000
	s_delay_alu instid0(VALU_DEP_2) | instskip(NEXT) | instid1(VALU_DEP_1)
	v_and_b32_e32 v53, 0x80000000, v53
	v_or3_b32 v53, v14, v53, v52
	v_mov_b32_e32 v52, v15
.LBB167_493:                            ;   in Loop: Header=BB167_292 Depth=1
	s_or_b32 exec_lo, exec_lo, s25
.LBB167_494:                            ;   in Loop: Header=BB167_292 Depth=1
	s_delay_alu instid0(SALU_CYCLE_1)
	s_or_b32 exec_lo, exec_lo, s24
.LBB167_495:                            ;   in Loop: Header=BB167_292 Depth=1
	s_delay_alu instid0(SALU_CYCLE_1)
	s_or_b32 exec_lo, exec_lo, s23
	v_mov_b64_e32 v[56:57], s[12:13]
	v_or_b32_e32 v49, v49, v51
	v_or_b32_e32 v48, v48, v50
	;; [unrolled: 1-line block ×4, first 2 shown]
	s_delay_alu instid0(VALU_DEP_3) | instskip(NEXT) | instid1(VALU_DEP_2)
	v_pk_mul_f32 v[50:51], v[56:57], v[48:49]
	v_pk_mul_f32 v[48:49], v[56:57], v[52:53]
	s_and_saveexec_b32 s23, s0
	s_cbranch_execz .LBB167_497
; %bb.496:                              ;   in Loop: Header=BB167_292 Depth=1
	v_cmp_gt_i32_e64 s1, s34, v31
	s_delay_alu instid0(VALU_DEP_1) | instskip(NEXT) | instid1(VALU_DEP_1)
	v_dual_add_nc_u32 v14, 1, v31 :: v_dual_cndmask_b32 v50, 0, v50, s1
	v_cmp_gt_i32_e64 s1, s34, v14
	s_delay_alu instid0(VALU_DEP_1) | instskip(SKIP_1) | instid1(VALU_DEP_1)
	v_cndmask_b32_e64 v51, 0, v51, s1
	v_cmp_gt_i32_e64 s1, s34, v59
	v_cndmask_b32_e64 v48, 0, v48, s1
	v_cmp_gt_i32_e64 s1, s34, v58
	s_delay_alu instid0(VALU_DEP_1)
	v_cndmask_b32_e64 v49, 0, v49, s1
.LBB167_497:                            ;   in Loop: Header=BB167_292 Depth=1
	s_or_b32 exec_lo, exec_lo, s23
	global_load_b32 v66, v[34:35], off offset:768
	s_wait_xcnt 0x0
	v_mov_b64_e32 v[34:35], 0
	v_mov_b64_e32 v[52:53], 0
	s_mov_b32 s23, exec_lo
	s_wait_loadcnt 0x0
	v_and_b32_e32 v14, 0xff, v66
	s_delay_alu instid0(VALU_DEP_1)
	v_cmpx_ne_u16_e32 0, v14
	s_cbranch_execz .LBB167_505
; %bb.498:                              ;   in Loop: Header=BB167_292 Depth=1
	v_mov_b64_e32 v[52:53], 0x80000000
	s_mov_b32 s24, exec_lo
	v_cmpx_ne_u16_e32 0x80, v14
	s_cbranch_execz .LBB167_504
; %bb.499:                              ;   in Loop: Header=BB167_292 Depth=1
	v_mov_b64_e32 v[52:53], 0x7f800001
	v_and_b32_e32 v54, 0x7f, v66
	s_mov_b32 s25, exec_lo
	s_delay_alu instid0(VALU_DEP_1)
	v_cmpx_ne_u32_e32 0x7f, v54
	s_cbranch_execz .LBB167_503
; %bb.500:                              ;   in Loop: Header=BB167_292 Depth=1
	v_and_b32_e32 v14, 7, v66
	v_lshrrev_b32_e32 v52, 3, v54
	s_mov_b32 s36, exec_lo
	v_cmpx_gt_u32_e32 8, v54
; %bb.501:                              ;   in Loop: Header=BB167_292 Depth=1
	s_delay_alu instid0(VALU_DEP_3) | instskip(NEXT) | instid1(VALU_DEP_1)
	v_clz_i32_u32_e32 v52, v14
	v_min_u32_e32 v52, 32, v52
	s_delay_alu instid0(VALU_DEP_1) | instskip(NEXT) | instid1(VALU_DEP_1)
	v_subrev_nc_u32_e32 v53, 28, v52
	v_lshlrev_b64_e32 v[54:55], v53, v[14:15]
	s_delay_alu instid0(VALU_DEP_1)
	v_dual_sub_nc_u32 v52, 29, v52 :: v_dual_bitop2_b32 v14, 7, v54 bitop3:0x40
; %bb.502:                              ;   in Loop: Header=BB167_292 Depth=1
	s_or_b32 exec_lo, exec_lo, s36
	v_lshlrev_b32_e32 v53, 24, v66
	s_delay_alu instid0(VALU_DEP_2) | instskip(NEXT) | instid1(VALU_DEP_3)
	v_lshlrev_b32_e32 v14, 20, v14
	v_lshl_add_u32 v52, v52, 23, 0x3c000000
	s_delay_alu instid0(VALU_DEP_3) | instskip(NEXT) | instid1(VALU_DEP_1)
	v_and_b32_e32 v53, 0x80000000, v53
	v_or3_b32 v14, v14, v53, v52
	s_delay_alu instid0(VALU_DEP_1)
	v_mov_b64_e32 v[52:53], v[14:15]
.LBB167_503:                            ;   in Loop: Header=BB167_292 Depth=1
	s_or_b32 exec_lo, exec_lo, s25
.LBB167_504:                            ;   in Loop: Header=BB167_292 Depth=1
	s_delay_alu instid0(SALU_CYCLE_1)
	s_or_b32 exec_lo, exec_lo, s24
.LBB167_505:                            ;   in Loop: Header=BB167_292 Depth=1
	s_delay_alu instid0(SALU_CYCLE_1) | instskip(SKIP_2) | instid1(VALU_DEP_1)
	s_or_b32 exec_lo, exec_lo, s23
	v_lshrrev_b16 v14, 8, v66
	s_mov_b32 s23, exec_lo
	v_cmpx_ne_u16_e32 0, v14
	s_cbranch_execz .LBB167_513
; %bb.506:                              ;   in Loop: Header=BB167_292 Depth=1
	v_mov_b64_e32 v[34:35], 0x8000000000000000
	s_mov_b32 s24, exec_lo
	v_cmpx_ne_u16_e32 0x80, v14
	s_cbranch_execz .LBB167_512
; %bb.507:                              ;   in Loop: Header=BB167_292 Depth=1
	v_and_b32_e32 v14, 0xffff, v14
	v_mov_b64_e32 v[34:35], 0x7f80000100000000
	s_mov_b32 s25, exec_lo
	s_delay_alu instid0(VALU_DEP_2) | instskip(NEXT) | instid1(VALU_DEP_1)
	v_and_b32_e32 v54, 0x7f, v14
	v_cmpx_ne_u32_e32 0x7f, v54
	s_cbranch_execz .LBB167_511
; %bb.508:                              ;   in Loop: Header=BB167_292 Depth=1
	v_and_b32_e32 v14, 7, v14
	v_lshrrev_b32_e32 v34, 3, v54
	s_mov_b32 s36, exec_lo
	v_cmpx_gt_u32_e32 8, v54
; %bb.509:                              ;   in Loop: Header=BB167_292 Depth=1
	s_delay_alu instid0(VALU_DEP_3) | instskip(NEXT) | instid1(VALU_DEP_1)
	v_clz_i32_u32_e32 v34, v14
	v_min_u32_e32 v34, 32, v34
	s_delay_alu instid0(VALU_DEP_1) | instskip(SKIP_1) | instid1(VALU_DEP_2)
	v_subrev_nc_u32_e32 v35, 28, v34
	v_sub_nc_u32_e32 v34, 29, v34
	v_lshlrev_b64_e32 v[54:55], v35, v[14:15]
	s_delay_alu instid0(VALU_DEP_1)
	v_and_b32_e32 v14, 7, v54
; %bb.510:                              ;   in Loop: Header=BB167_292 Depth=1
	s_or_b32 exec_lo, exec_lo, s36
	v_lshlrev_b32_e32 v35, 16, v66
	s_delay_alu instid0(VALU_DEP_2) | instskip(SKIP_1) | instid1(VALU_DEP_3)
	v_lshlrev_b32_e32 v14, 20, v14
	v_lshl_add_u32 v34, v34, 23, 0x3c000000
	v_and_b32_e32 v35, 0x80000000, v35
	s_delay_alu instid0(VALU_DEP_1)
	v_or3_b32 v35, v14, v35, v34
	v_mov_b32_e32 v34, v15
.LBB167_511:                            ;   in Loop: Header=BB167_292 Depth=1
	s_or_b32 exec_lo, exec_lo, s25
.LBB167_512:                            ;   in Loop: Header=BB167_292 Depth=1
	s_delay_alu instid0(SALU_CYCLE_1)
	s_or_b32 exec_lo, exec_lo, s24
.LBB167_513:                            ;   in Loop: Header=BB167_292 Depth=1
	s_delay_alu instid0(SALU_CYCLE_1) | instskip(SKIP_4) | instid1(VALU_DEP_3)
	s_or_b32 exec_lo, exec_lo, s23
	v_lshrrev_b32_e32 v67, 16, v66
	v_mov_b64_e32 v[54:55], 0
	v_mov_b64_e32 v[56:57], 0
	s_mov_b32 s23, exec_lo
	v_and_b32_e32 v14, 0xff, v67
	s_delay_alu instid0(VALU_DEP_1)
	v_cmpx_ne_u16_e32 0, v14
	s_cbranch_execz .LBB167_521
; %bb.514:                              ;   in Loop: Header=BB167_292 Depth=1
	v_mov_b64_e32 v[56:57], 0x80000000
	s_mov_b32 s24, exec_lo
	v_cmpx_ne_u16_e32 0x80, v14
	s_cbranch_execz .LBB167_520
; %bb.515:                              ;   in Loop: Header=BB167_292 Depth=1
	v_mov_b64_e32 v[56:57], 0x7f800001
	v_bfe_u32 v68, v66, 16, 7
	s_mov_b32 s25, exec_lo
	s_delay_alu instid0(VALU_DEP_1)
	v_cmpx_ne_u32_e32 0x7f, v68
	s_cbranch_execz .LBB167_519
; %bb.516:                              ;   in Loop: Header=BB167_292 Depth=1
	v_dual_lshrrev_b32 v56, 3, v68 :: v_dual_bitop2_b32 v14, 7, v67 bitop3:0x40
	s_mov_b32 s36, exec_lo
	v_cmpx_gt_u32_e32 8, v68
; %bb.517:                              ;   in Loop: Header=BB167_292 Depth=1
	s_delay_alu instid0(VALU_DEP_2) | instskip(NEXT) | instid1(VALU_DEP_1)
	v_clz_i32_u32_e32 v56, v14
	v_min_u32_e32 v56, 32, v56
	s_delay_alu instid0(VALU_DEP_1) | instskip(SKIP_1) | instid1(VALU_DEP_2)
	v_subrev_nc_u32_e32 v57, 28, v56
	v_sub_nc_u32_e32 v56, 29, v56
	v_lshlrev_b64_e32 v[68:69], v57, v[14:15]
	s_delay_alu instid0(VALU_DEP_1)
	v_and_b32_e32 v14, 7, v68
; %bb.518:                              ;   in Loop: Header=BB167_292 Depth=1
	s_or_b32 exec_lo, exec_lo, s36
	s_delay_alu instid0(VALU_DEP_1) | instskip(SKIP_1) | instid1(VALU_DEP_2)
	v_dual_lshlrev_b32 v57, 24, v67 :: v_dual_lshlrev_b32 v14, 20, v14
	v_lshl_add_u32 v56, v56, 23, 0x3c000000
	v_and_b32_e32 v57, 0x80000000, v57
	s_delay_alu instid0(VALU_DEP_1) | instskip(NEXT) | instid1(VALU_DEP_1)
	v_or3_b32 v14, v14, v57, v56
	v_mov_b64_e32 v[56:57], v[14:15]
.LBB167_519:                            ;   in Loop: Header=BB167_292 Depth=1
	s_or_b32 exec_lo, exec_lo, s25
.LBB167_520:                            ;   in Loop: Header=BB167_292 Depth=1
	s_delay_alu instid0(SALU_CYCLE_1)
	s_or_b32 exec_lo, exec_lo, s24
.LBB167_521:                            ;   in Loop: Header=BB167_292 Depth=1
	s_delay_alu instid0(SALU_CYCLE_1) | instskip(NEXT) | instid1(SALU_CYCLE_1)
	s_or_b32 exec_lo, exec_lo, s23
	s_mov_b32 s23, exec_lo
	v_cmpx_lt_u32_e32 0xffffff, v66
	s_cbranch_execz .LBB167_529
; %bb.522:                              ;   in Loop: Header=BB167_292 Depth=1
	v_mov_b64_e32 v[54:55], 0x8000000000000000
	v_lshrrev_b32_e32 v67, 24, v66
	s_mov_b32 s24, exec_lo
	s_delay_alu instid0(VALU_DEP_1)
	v_cmpx_ne_u32_e32 0x80, v67
	s_cbranch_execz .LBB167_528
; %bb.523:                              ;   in Loop: Header=BB167_292 Depth=1
	v_mov_b64_e32 v[54:55], 0x7f80000100000000
	v_bfe_u32 v66, v66, 24, 7
	s_mov_b32 s25, exec_lo
	s_delay_alu instid0(VALU_DEP_1)
	v_cmpx_ne_u32_e32 0x7f, v66
	s_cbranch_execz .LBB167_527
; %bb.524:                              ;   in Loop: Header=BB167_292 Depth=1
	v_dual_lshrrev_b32 v54, 3, v66 :: v_dual_bitop2_b32 v14, 7, v67 bitop3:0x40
	s_mov_b32 s36, exec_lo
	v_cmpx_gt_u32_e32 8, v66
; %bb.525:                              ;   in Loop: Header=BB167_292 Depth=1
	s_delay_alu instid0(VALU_DEP_2) | instskip(NEXT) | instid1(VALU_DEP_1)
	v_clz_i32_u32_e32 v54, v14
	v_min_u32_e32 v54, 32, v54
	s_delay_alu instid0(VALU_DEP_1) | instskip(NEXT) | instid1(VALU_DEP_1)
	v_subrev_nc_u32_e32 v55, 28, v54
	v_lshlrev_b64_e32 v[68:69], v55, v[14:15]
	s_delay_alu instid0(VALU_DEP_1)
	v_dual_sub_nc_u32 v54, 29, v54 :: v_dual_bitop2_b32 v14, 7, v68 bitop3:0x40
; %bb.526:                              ;   in Loop: Header=BB167_292 Depth=1
	s_or_b32 exec_lo, exec_lo, s36
	s_delay_alu instid0(VALU_DEP_1) | instskip(NEXT) | instid1(VALU_DEP_2)
	v_dual_lshlrev_b32 v55, 24, v67 :: v_dual_lshlrev_b32 v14, 20, v14
	v_lshl_add_u32 v54, v54, 23, 0x3c000000
	s_delay_alu instid0(VALU_DEP_2) | instskip(NEXT) | instid1(VALU_DEP_1)
	v_and_b32_e32 v55, 0x80000000, v55
	v_or3_b32 v55, v14, v55, v54
	v_mov_b32_e32 v54, v15
.LBB167_527:                            ;   in Loop: Header=BB167_292 Depth=1
	s_or_b32 exec_lo, exec_lo, s25
.LBB167_528:                            ;   in Loop: Header=BB167_292 Depth=1
	s_delay_alu instid0(SALU_CYCLE_1)
	s_or_b32 exec_lo, exec_lo, s24
.LBB167_529:                            ;   in Loop: Header=BB167_292 Depth=1
	s_delay_alu instid0(SALU_CYCLE_1)
	s_or_b32 exec_lo, exec_lo, s23
	v_mov_b64_e32 v[66:67], s[12:13]
	v_or_b32_e32 v35, v35, v53
	v_or_b32_e32 v34, v34, v52
	;; [unrolled: 1-line block ×4, first 2 shown]
	s_delay_alu instid0(VALU_DEP_3) | instskip(NEXT) | instid1(VALU_DEP_2)
	v_pk_mul_f32 v[52:53], v[66:67], v[34:35]
	v_pk_mul_f32 v[34:35], v[66:67], v[54:55]
	s_and_saveexec_b32 s23, s0
	s_cbranch_execz .LBB167_531
; %bb.530:                              ;   in Loop: Header=BB167_292 Depth=1
	v_cmp_gt_i32_e64 s1, s34, v31
	s_delay_alu instid0(VALU_DEP_1) | instskip(NEXT) | instid1(VALU_DEP_1)
	v_dual_add_nc_u32 v14, 1, v31 :: v_dual_cndmask_b32 v52, 0, v52, s1
	v_cmp_gt_i32_e64 s1, s34, v14
	s_delay_alu instid0(VALU_DEP_1) | instskip(SKIP_1) | instid1(VALU_DEP_1)
	v_cndmask_b32_e64 v53, 0, v53, s1
	v_cmp_gt_i32_e64 s1, s34, v59
	v_cndmask_b32_e64 v34, 0, v34, s1
	v_cmp_gt_i32_e64 s1, s34, v58
	s_delay_alu instid0(VALU_DEP_1)
	v_cndmask_b32_e64 v35, 0, v35, s1
.LBB167_531:                            ;   in Loop: Header=BB167_292 Depth=1
	s_or_b32 exec_lo, exec_lo, s23
	s_and_saveexec_b32 s23, vcc_lo
	s_cbranch_execz .LBB167_290
; %bb.532:                              ;   in Loop: Header=BB167_292 Depth=1
	v_add_nc_u64_e32 v[26:27], v[26:27], v[18:19]
	v_mov_b64_e32 v[54:55], 0
	s_mov_b32 s24, exec_lo
	global_load_b32 v66, v[26:27], off
	s_wait_xcnt 0x0
	v_mov_b64_e32 v[26:27], 0
	s_wait_loadcnt 0x0
	v_and_b32_e32 v14, 0xff, v66
	s_delay_alu instid0(VALU_DEP_1)
	v_cmpx_ne_u16_e32 0, v14
	s_cbranch_execz .LBB167_540
; %bb.533:                              ;   in Loop: Header=BB167_292 Depth=1
	v_mov_b64_e32 v[54:55], 0x80000000
	s_mov_b32 s25, exec_lo
	v_cmpx_ne_u16_e32 0x80, v14
	s_cbranch_execz .LBB167_539
; %bb.534:                              ;   in Loop: Header=BB167_292 Depth=1
	v_mov_b64_e32 v[54:55], 0x7f800001
	v_and_b32_e32 v56, 0x7f, v66
	s_mov_b32 s36, exec_lo
	s_delay_alu instid0(VALU_DEP_1)
	v_cmpx_ne_u32_e32 0x7f, v56
	s_cbranch_execz .LBB167_538
; %bb.535:                              ;   in Loop: Header=BB167_292 Depth=1
	v_dual_lshrrev_b32 v54, 3, v56 :: v_dual_bitop2_b32 v14, 7, v66 bitop3:0x40
	s_mov_b32 s37, exec_lo
	v_cmpx_gt_u32_e32 8, v56
; %bb.536:                              ;   in Loop: Header=BB167_292 Depth=1
	s_delay_alu instid0(VALU_DEP_2) | instskip(NEXT) | instid1(VALU_DEP_1)
	v_clz_i32_u32_e32 v54, v14
	v_min_u32_e32 v54, 32, v54
	s_delay_alu instid0(VALU_DEP_1) | instskip(NEXT) | instid1(VALU_DEP_1)
	v_subrev_nc_u32_e32 v55, 28, v54
	v_lshlrev_b64_e32 v[56:57], v55, v[14:15]
	s_delay_alu instid0(VALU_DEP_1)
	v_dual_sub_nc_u32 v54, 29, v54 :: v_dual_bitop2_b32 v14, 7, v56 bitop3:0x40
; %bb.537:                              ;   in Loop: Header=BB167_292 Depth=1
	s_or_b32 exec_lo, exec_lo, s37
	v_lshlrev_b32_e32 v55, 24, v66
	s_delay_alu instid0(VALU_DEP_2) | instskip(NEXT) | instid1(VALU_DEP_3)
	v_lshlrev_b32_e32 v14, 20, v14
	v_lshl_add_u32 v54, v54, 23, 0x3c000000
	s_delay_alu instid0(VALU_DEP_3) | instskip(NEXT) | instid1(VALU_DEP_1)
	v_and_b32_e32 v55, 0x80000000, v55
	v_or3_b32 v14, v14, v55, v54
	s_delay_alu instid0(VALU_DEP_1)
	v_mov_b64_e32 v[54:55], v[14:15]
.LBB167_538:                            ;   in Loop: Header=BB167_292 Depth=1
	s_or_b32 exec_lo, exec_lo, s36
.LBB167_539:                            ;   in Loop: Header=BB167_292 Depth=1
	s_delay_alu instid0(SALU_CYCLE_1)
	s_or_b32 exec_lo, exec_lo, s25
.LBB167_540:                            ;   in Loop: Header=BB167_292 Depth=1
	s_delay_alu instid0(SALU_CYCLE_1) | instskip(SKIP_2) | instid1(VALU_DEP_1)
	s_or_b32 exec_lo, exec_lo, s24
	v_lshrrev_b16 v14, 8, v66
	s_mov_b32 s24, exec_lo
	v_cmpx_ne_u16_e32 0, v14
	s_cbranch_execz .LBB167_548
; %bb.541:                              ;   in Loop: Header=BB167_292 Depth=1
	v_mov_b64_e32 v[26:27], 0x8000000000000000
	s_mov_b32 s25, exec_lo
	v_cmpx_ne_u16_e32 0x80, v14
	s_cbranch_execz .LBB167_547
; %bb.542:                              ;   in Loop: Header=BB167_292 Depth=1
	v_and_b32_e32 v14, 0xffff, v14
	v_mov_b64_e32 v[26:27], 0x7f80000100000000
	s_mov_b32 s36, exec_lo
	s_delay_alu instid0(VALU_DEP_2) | instskip(NEXT) | instid1(VALU_DEP_1)
	v_and_b32_e32 v56, 0x7f, v14
	v_cmpx_ne_u32_e32 0x7f, v56
	s_cbranch_execz .LBB167_546
; %bb.543:                              ;   in Loop: Header=BB167_292 Depth=1
	v_dual_lshrrev_b32 v26, 3, v56 :: v_dual_bitop2_b32 v14, 7, v14 bitop3:0x40
	s_mov_b32 s37, exec_lo
	v_cmpx_gt_u32_e32 8, v56
; %bb.544:                              ;   in Loop: Header=BB167_292 Depth=1
	s_delay_alu instid0(VALU_DEP_2) | instskip(NEXT) | instid1(VALU_DEP_1)
	v_clz_i32_u32_e32 v26, v14
	v_min_u32_e32 v26, 32, v26
	s_delay_alu instid0(VALU_DEP_1) | instskip(NEXT) | instid1(VALU_DEP_1)
	v_subrev_nc_u32_e32 v27, 28, v26
	v_lshlrev_b64_e32 v[56:57], v27, v[14:15]
	s_delay_alu instid0(VALU_DEP_1)
	v_dual_sub_nc_u32 v26, 29, v26 :: v_dual_bitop2_b32 v14, 7, v56 bitop3:0x40
; %bb.545:                              ;   in Loop: Header=BB167_292 Depth=1
	s_or_b32 exec_lo, exec_lo, s37
	v_lshlrev_b32_e32 v27, 16, v66
	s_delay_alu instid0(VALU_DEP_2) | instskip(NEXT) | instid1(VALU_DEP_3)
	v_lshlrev_b32_e32 v14, 20, v14
	v_lshl_add_u32 v26, v26, 23, 0x3c000000
	s_delay_alu instid0(VALU_DEP_3) | instskip(NEXT) | instid1(VALU_DEP_1)
	v_and_b32_e32 v27, 0x80000000, v27
	v_or3_b32 v27, v14, v27, v26
	v_mov_b32_e32 v26, v15
.LBB167_546:                            ;   in Loop: Header=BB167_292 Depth=1
	s_or_b32 exec_lo, exec_lo, s36
.LBB167_547:                            ;   in Loop: Header=BB167_292 Depth=1
	s_delay_alu instid0(SALU_CYCLE_1)
	s_or_b32 exec_lo, exec_lo, s25
.LBB167_548:                            ;   in Loop: Header=BB167_292 Depth=1
	s_delay_alu instid0(SALU_CYCLE_1) | instskip(SKIP_4) | instid1(VALU_DEP_3)
	s_or_b32 exec_lo, exec_lo, s24
	v_lshrrev_b32_e32 v67, 16, v66
	v_mov_b64_e32 v[56:57], 0
	v_mov_b64_e32 v[58:59], 0
	s_mov_b32 s24, exec_lo
	v_and_b32_e32 v14, 0xff, v67
	s_delay_alu instid0(VALU_DEP_1)
	v_cmpx_ne_u16_e32 0, v14
	s_cbranch_execz .LBB167_556
; %bb.549:                              ;   in Loop: Header=BB167_292 Depth=1
	v_mov_b64_e32 v[58:59], 0x80000000
	s_mov_b32 s25, exec_lo
	v_cmpx_ne_u16_e32 0x80, v14
	s_cbranch_execz .LBB167_555
; %bb.550:                              ;   in Loop: Header=BB167_292 Depth=1
	v_mov_b64_e32 v[58:59], 0x7f800001
	v_bfe_u32 v68, v66, 16, 7
	s_mov_b32 s36, exec_lo
	s_delay_alu instid0(VALU_DEP_1)
	v_cmpx_ne_u32_e32 0x7f, v68
	s_cbranch_execz .LBB167_554
; %bb.551:                              ;   in Loop: Header=BB167_292 Depth=1
	v_dual_lshrrev_b32 v58, 3, v68 :: v_dual_bitop2_b32 v14, 7, v67 bitop3:0x40
	s_mov_b32 s37, exec_lo
	v_cmpx_gt_u32_e32 8, v68
; %bb.552:                              ;   in Loop: Header=BB167_292 Depth=1
	s_delay_alu instid0(VALU_DEP_2) | instskip(NEXT) | instid1(VALU_DEP_1)
	v_clz_i32_u32_e32 v58, v14
	v_min_u32_e32 v58, 32, v58
	s_delay_alu instid0(VALU_DEP_1) | instskip(NEXT) | instid1(VALU_DEP_1)
	v_subrev_nc_u32_e32 v59, 28, v58
	v_lshlrev_b64_e32 v[68:69], v59, v[14:15]
	s_delay_alu instid0(VALU_DEP_1)
	v_dual_sub_nc_u32 v58, 29, v58 :: v_dual_bitop2_b32 v14, 7, v68 bitop3:0x40
; %bb.553:                              ;   in Loop: Header=BB167_292 Depth=1
	s_or_b32 exec_lo, exec_lo, s37
	s_delay_alu instid0(VALU_DEP_1) | instskip(NEXT) | instid1(VALU_DEP_2)
	v_dual_lshlrev_b32 v59, 24, v67 :: v_dual_lshlrev_b32 v14, 20, v14
	v_lshl_add_u32 v58, v58, 23, 0x3c000000
	s_delay_alu instid0(VALU_DEP_2) | instskip(NEXT) | instid1(VALU_DEP_1)
	v_and_b32_e32 v59, 0x80000000, v59
	v_or3_b32 v14, v14, v59, v58
	s_delay_alu instid0(VALU_DEP_1)
	v_mov_b64_e32 v[58:59], v[14:15]
.LBB167_554:                            ;   in Loop: Header=BB167_292 Depth=1
	s_or_b32 exec_lo, exec_lo, s36
.LBB167_555:                            ;   in Loop: Header=BB167_292 Depth=1
	s_delay_alu instid0(SALU_CYCLE_1)
	s_or_b32 exec_lo, exec_lo, s25
.LBB167_556:                            ;   in Loop: Header=BB167_292 Depth=1
	s_delay_alu instid0(SALU_CYCLE_1) | instskip(NEXT) | instid1(SALU_CYCLE_1)
	s_or_b32 exec_lo, exec_lo, s24
	s_mov_b32 s24, exec_lo
	v_cmpx_lt_u32_e32 0xffffff, v66
	s_cbranch_execz .LBB167_564
; %bb.557:                              ;   in Loop: Header=BB167_292 Depth=1
	v_mov_b64_e32 v[56:57], 0x8000000000000000
	v_lshrrev_b32_e32 v67, 24, v66
	s_mov_b32 s25, exec_lo
	s_delay_alu instid0(VALU_DEP_1)
	v_cmpx_ne_u32_e32 0x80, v67
	s_cbranch_execz .LBB167_563
; %bb.558:                              ;   in Loop: Header=BB167_292 Depth=1
	v_mov_b64_e32 v[56:57], 0x7f80000100000000
	v_bfe_u32 v66, v66, 24, 7
	s_mov_b32 s36, exec_lo
	s_delay_alu instid0(VALU_DEP_1)
	v_cmpx_ne_u32_e32 0x7f, v66
	s_cbranch_execz .LBB167_562
; %bb.559:                              ;   in Loop: Header=BB167_292 Depth=1
	v_dual_lshrrev_b32 v56, 3, v66 :: v_dual_bitop2_b32 v14, 7, v67 bitop3:0x40
	s_mov_b32 s37, exec_lo
	v_cmpx_gt_u32_e32 8, v66
; %bb.560:                              ;   in Loop: Header=BB167_292 Depth=1
	s_delay_alu instid0(VALU_DEP_2) | instskip(NEXT) | instid1(VALU_DEP_1)
	v_clz_i32_u32_e32 v56, v14
	v_min_u32_e32 v56, 32, v56
	s_delay_alu instid0(VALU_DEP_1) | instskip(SKIP_1) | instid1(VALU_DEP_2)
	v_subrev_nc_u32_e32 v57, 28, v56
	v_sub_nc_u32_e32 v56, 29, v56
	v_lshlrev_b64_e32 v[68:69], v57, v[14:15]
	s_delay_alu instid0(VALU_DEP_1)
	v_and_b32_e32 v14, 7, v68
; %bb.561:                              ;   in Loop: Header=BB167_292 Depth=1
	s_or_b32 exec_lo, exec_lo, s37
	s_delay_alu instid0(VALU_DEP_1) | instskip(SKIP_1) | instid1(VALU_DEP_2)
	v_dual_lshlrev_b32 v57, 24, v67 :: v_dual_lshlrev_b32 v14, 20, v14
	v_lshl_add_u32 v56, v56, 23, 0x3c000000
	v_and_b32_e32 v57, 0x80000000, v57
	s_delay_alu instid0(VALU_DEP_1)
	v_or3_b32 v57, v14, v57, v56
	v_mov_b32_e32 v56, v15
.LBB167_562:                            ;   in Loop: Header=BB167_292 Depth=1
	s_or_b32 exec_lo, exec_lo, s36
.LBB167_563:                            ;   in Loop: Header=BB167_292 Depth=1
	s_delay_alu instid0(SALU_CYCLE_1)
	s_or_b32 exec_lo, exec_lo, s25
.LBB167_564:                            ;   in Loop: Header=BB167_292 Depth=1
	s_delay_alu instid0(SALU_CYCLE_1)
	s_or_b32 exec_lo, exec_lo, s24
	v_or_b32_e32 v27, v27, v55
	v_or_b32_e32 v26, v26, v54
	v_mov_b64_e32 v[54:55], s[12:13]
	v_or_b32_e32 v57, v57, v59
	v_or_b32_e32 v56, v56, v58
	s_delay_alu instid0(VALU_DEP_3) | instskip(NEXT) | instid1(VALU_DEP_2)
	v_pk_mul_f32 v[26:27], v[54:55], v[26:27]
	v_pk_mul_f32 v[54:55], v[54:55], v[56:57]
	s_and_saveexec_b32 s1, s0
	s_cbranch_execz .LBB167_289
; %bb.565:                              ;   in Loop: Header=BB167_292 Depth=1
	v_dual_add_nc_u32 v14, 1, v31 :: v_dual_bitop2_b32 v56, 3, v31 bitop3:0x54
	s_delay_alu instid0(VALU_DEP_1) | instskip(NEXT) | instid1(VALU_DEP_1)
	v_cmp_gt_i32_e64 s0, s18, v14
	v_cndmask_b32_e64 v27, 0, v27, s0
	v_cmp_gt_i32_e64 s0, s34, v31
	s_delay_alu instid0(VALU_DEP_1) | instskip(SKIP_1) | instid1(VALU_DEP_1)
	v_dual_cndmask_b32 v26, 0, v26, s0 :: v_dual_bitop2_b32 v57, 2, v31 bitop3:0x54
	v_cmp_gt_i32_e64 s0, s18, v56
	v_cndmask_b32_e64 v55, 0, v55, s0
	s_delay_alu instid0(VALU_DEP_3) | instskip(NEXT) | instid1(VALU_DEP_1)
	v_cmp_gt_i32_e64 s0, s34, v57
	v_cndmask_b32_e64 v54, 0, v54, s0
	s_branch .LBB167_289
.LBB167_566:
	s_or_b32 exec_lo, exec_lo, s19
.LBB167_567:
	s_delay_alu instid0(SALU_CYCLE_1)
	s_or_b32 exec_lo, exec_lo, s27
	ds_bpermute_b32 v2, v61, v12
	ds_bpermute_b32 v3, v61, v13
	;; [unrolled: 1-line block ×8, first 2 shown]
	s_movk_i32 s0, 0x1e0
	v_and_b32_e32 v18, 0x3c0, v0
	v_mad_u32_u24 v1, v1, s0, 0x200
	s_mov_b32 s1, exec_lo
	v_cmp_eq_u32_e32 vcc_lo, 0, v62
	s_wait_dscnt 0x0
	s_barrier_signal -1
	s_barrier_wait -1
	v_pk_add_f32 v[12:13], v[12:13], v[2:3]
	v_pk_add_f32 v[10:11], v[10:11], v[4:5]
	;; [unrolled: 1-line block ×4, first 2 shown]
	v_cmpx_eq_u32_e32 64, v18
	s_cbranch_execz .LBB167_572
; %bb.568:
	v_add_nc_u32_e32 v6, 0xfffffc40, v1
	s_and_saveexec_b32 s0, vcc_lo
	s_cbranch_execz .LBB167_570
; %bb.569:
	s_delay_alu instid0(VALU_DEP_1)
	v_lshl_add_u32 v7, v60, 2, v6
	ds_store_2addr_b32 v7, v12, v13 offset1:16
	ds_store_2addr_b32 v7, v10, v11 offset0:32 offset1:48
	ds_store_2addr_b32 v7, v4, v5 offset0:64 offset1:80
	ds_store_b32 v7, v2 offset:384
.LBB167_570:
	s_or_b32 exec_lo, exec_lo, s0
	v_or_b32_e32 v7, 0x70, v60
	s_delay_alu instid0(VALU_DEP_1) | instskip(SKIP_1) | instid1(SALU_CYCLE_1)
	v_cmp_gt_u32_e64 s0, 0x78, v7
	s_and_b32 s0, vcc_lo, s0
	s_and_b32 exec_lo, exec_lo, s0
; %bb.571:
	v_lshl_add_u32 v6, v7, 2, v6
	ds_store_b32 v6, v3
.LBB167_572:
	s_or_b32 exec_lo, exec_lo, s1
	s_delay_alu instid0(SALU_CYCLE_1)
	s_mov_b32 s1, exec_lo
	s_wait_dscnt 0x0
	s_barrier_signal -1
	s_barrier_wait -1
	v_cmpx_gt_u32_e32 64, v0
	s_cbranch_execz .LBB167_584
; %bb.573:
	s_and_saveexec_b32 s0, vcc_lo
	s_cbranch_execnz .LBB167_607
; %bb.574:
	s_or_b32 exec_lo, exec_lo, s0
	s_and_saveexec_b32 s0, vcc_lo
	s_cbranch_execnz .LBB167_608
.LBB167_575:
	s_or_b32 exec_lo, exec_lo, s0
	s_and_saveexec_b32 s0, vcc_lo
	s_cbranch_execnz .LBB167_609
.LBB167_576:
	s_or_b32 exec_lo, exec_lo, s0
	s_and_saveexec_b32 s0, vcc_lo
	s_cbranch_execnz .LBB167_610
.LBB167_577:
	s_or_b32 exec_lo, exec_lo, s0
	s_and_saveexec_b32 s0, vcc_lo
	s_cbranch_execnz .LBB167_611
.LBB167_578:
	s_or_b32 exec_lo, exec_lo, s0
	s_and_saveexec_b32 s0, vcc_lo
	s_cbranch_execnz .LBB167_612
.LBB167_579:
	s_or_b32 exec_lo, exec_lo, s0
	s_and_saveexec_b32 s0, vcc_lo
	s_cbranch_execz .LBB167_581
.LBB167_580:
	v_lshl_add_u32 v6, v60, 2, v1
	ds_load_b32 v6, v6 offset:384
	s_wait_dscnt 0x0
	v_add_f32_e32 v2, v2, v6
.LBB167_581:
	s_or_b32 exec_lo, exec_lo, s0
	v_or_b32_e32 v6, 0x70, v60
	s_delay_alu instid0(VALU_DEP_1) | instskip(SKIP_1) | instid1(SALU_CYCLE_1)
	v_cmp_gt_u32_e64 s0, 0x78, v6
	s_and_b32 s2, vcc_lo, s0
	s_and_saveexec_b32 s0, s2
	s_cbranch_execz .LBB167_583
; %bb.582:
	v_lshl_add_u32 v6, v60, 2, v1
	ds_load_b32 v6, v6 offset:448
	s_wait_dscnt 0x0
	v_add_f32_e32 v3, v3, v6
.LBB167_583:
	s_or_b32 exec_lo, exec_lo, s0
.LBB167_584:
	s_delay_alu instid0(SALU_CYCLE_1) | instskip(SKIP_4) | instid1(VALU_DEP_1)
	s_or_b32 exec_lo, exec_lo, s1
	v_and_b32_e32 v6, 0x3e0, v0
	s_mov_b32 s1, exec_lo
	s_barrier_signal -1
	s_barrier_wait -1
	v_cmpx_eq_u32_e32 32, v6
	s_cbranch_execz .LBB167_589
; %bb.585:
	v_lshl_add_u32 v6, v60, 2, 0x200
	s_and_saveexec_b32 s0, vcc_lo
	s_cbranch_execz .LBB167_587
; %bb.586:
	ds_store_2addr_b32 v6, v12, v13 offset1:16
	ds_store_2addr_b32 v6, v10, v11 offset0:32 offset1:48
	ds_store_2addr_b32 v6, v4, v5 offset0:64 offset1:80
	ds_store_b32 v6, v2 offset:384
.LBB167_587:
	s_or_b32 exec_lo, exec_lo, s0
	v_or_b32_e32 v7, 0x70, v60
	s_delay_alu instid0(VALU_DEP_1) | instskip(SKIP_1) | instid1(SALU_CYCLE_1)
	v_cmp_gt_u32_e64 s0, 0x78, v7
	s_and_b32 s0, vcc_lo, s0
	s_and_b32 exec_lo, exec_lo, s0
; %bb.588:
	ds_store_b32 v6, v3 offset:448
.LBB167_589:
	s_or_b32 exec_lo, exec_lo, s1
	v_cmp_gt_u32_e64 s0, 32, v0
	s_wait_dscnt 0x0
	s_barrier_signal -1
	s_barrier_wait -1
	s_and_saveexec_b32 s2, s0
	s_cbranch_execz .LBB167_601
; %bb.590:
	v_lshl_add_u32 v1, v60, 2, v1
	s_and_saveexec_b32 s1, vcc_lo
	s_cbranch_execnz .LBB167_613
; %bb.591:
	s_or_b32 exec_lo, exec_lo, s1
	s_and_saveexec_b32 s1, vcc_lo
	s_cbranch_execnz .LBB167_614
.LBB167_592:
	s_or_b32 exec_lo, exec_lo, s1
	s_and_saveexec_b32 s1, vcc_lo
	s_cbranch_execnz .LBB167_615
.LBB167_593:
	s_or_b32 exec_lo, exec_lo, s1
	s_and_saveexec_b32 s1, vcc_lo
	s_cbranch_execnz .LBB167_616
.LBB167_594:
	s_or_b32 exec_lo, exec_lo, s1
	s_and_saveexec_b32 s1, vcc_lo
	s_cbranch_execnz .LBB167_617
.LBB167_595:
	s_or_b32 exec_lo, exec_lo, s1
	s_and_saveexec_b32 s1, vcc_lo
	s_cbranch_execnz .LBB167_618
.LBB167_596:
	s_or_b32 exec_lo, exec_lo, s1
	s_and_saveexec_b32 s1, vcc_lo
	s_cbranch_execz .LBB167_598
.LBB167_597:
	ds_load_b32 v6, v1 offset:384
	s_wait_dscnt 0x0
	v_add_f32_e32 v2, v2, v6
.LBB167_598:
	s_or_b32 exec_lo, exec_lo, s1
	v_or_b32_e32 v6, 0x70, v60
	s_delay_alu instid0(VALU_DEP_1) | instskip(SKIP_1) | instid1(SALU_CYCLE_1)
	v_cmp_gt_u32_e64 s1, 0x78, v6
	s_and_b32 s3, vcc_lo, s1
	s_and_saveexec_b32 s1, s3
	s_cbranch_execz .LBB167_600
; %bb.599:
	ds_load_b32 v1, v1 offset:448
	s_wait_dscnt 0x0
	v_add_f32_e32 v3, v3, v1
.LBB167_600:
	s_or_b32 exec_lo, exec_lo, s1
.LBB167_601:
	s_delay_alu instid0(SALU_CYCLE_1)
	s_or_b32 exec_lo, exec_lo, s2
	s_barrier_signal -1
	s_barrier_wait -1
	s_and_saveexec_b32 s1, s0
	s_cbranch_execz .LBB167_606
; %bb.602:
	s_mul_i32 s1, s33, s7
	s_mul_i32 s0, s7, s6
	;; [unrolled: 1-line block ×3, first 2 shown]
	s_bfe_u32 s7, ttmp6, 0x40014
	s_mul_i32 s2, s1, 0x78
	s_lshr_b32 s6, ttmp7, 16
	s_ashr_i32 s3, s2, 31
	s_add_co_i32 s7, s7, 1
	s_lshl_b64 s[2:3], s[2:3], 2
	s_ashr_i32 s1, s0, 31
	s_wait_kmcnt 0x0
	s_add_nc_u64 s[2:3], s[4:5], s[2:3]
	s_mul_i32 s4, s6, s7
	s_bfe_u32 s5, ttmp6, 0x40008
	s_lshl_b64 s[0:1], s[0:1], 2
	s_add_co_i32 s5, s5, s4
	s_cmp_eq_u32 s30, 0
	s_add_nc_u64 s[0:1], s[2:3], s[0:1]
	s_cselect_b32 s2, s6, s5
	v_lshrrev_b32_e32 v0, 1, v0
	s_mov_b32 s3, 0
	s_mulk_i32 s2, 0x1e0
	s_delay_alu instid0(SALU_CYCLE_1)
	s_add_nc_u64 s[2:3], s[0:1], s[2:3]
	s_and_saveexec_b32 s0, vcc_lo
	s_cbranch_execz .LBB167_604
; %bb.603:
	s_clause 0x6
	global_store_b32 v0, v12, s[2:3] scale_offset
	global_store_b32 v0, v13, s[2:3] offset:64 scale_offset
	global_store_b32 v0, v10, s[2:3] offset:128 scale_offset
	;; [unrolled: 1-line block ×6, first 2 shown]
.LBB167_604:
	s_wait_xcnt 0x0
	s_or_b32 exec_lo, exec_lo, s0
	v_or_b32_e32 v1, 0x70, v0
	s_delay_alu instid0(VALU_DEP_1) | instskip(SKIP_1) | instid1(SALU_CYCLE_1)
	v_cmp_gt_u32_e64 s0, 0x78, v1
	s_and_b32 s0, vcc_lo, s0
	s_and_b32 exec_lo, exec_lo, s0
	s_cbranch_execz .LBB167_606
; %bb.605:
	global_store_b32 v0, v3, s[2:3] offset:448 scale_offset
.LBB167_606:
	s_sendmsg sendmsg(MSG_DEALLOC_VGPRS)
	s_endpgm
.LBB167_607:
	v_lshl_add_u32 v6, v60, 2, v1
	ds_load_b32 v6, v6
	s_wait_dscnt 0x0
	v_add_f32_e32 v12, v12, v6
	s_or_b32 exec_lo, exec_lo, s0
	s_and_saveexec_b32 s0, vcc_lo
	s_cbranch_execz .LBB167_575
.LBB167_608:
	v_lshl_add_u32 v6, v60, 2, v1
	ds_load_b32 v6, v6 offset:64
	s_wait_dscnt 0x0
	v_add_f32_e32 v13, v13, v6
	s_or_b32 exec_lo, exec_lo, s0
	s_and_saveexec_b32 s0, vcc_lo
	s_cbranch_execz .LBB167_576
.LBB167_609:
	v_lshl_add_u32 v6, v60, 2, v1
	ds_load_b32 v6, v6 offset:128
	s_wait_dscnt 0x0
	v_add_f32_e32 v10, v10, v6
	s_or_b32 exec_lo, exec_lo, s0
	s_and_saveexec_b32 s0, vcc_lo
	s_cbranch_execz .LBB167_577
.LBB167_610:
	v_lshl_add_u32 v6, v60, 2, v1
	ds_load_b32 v6, v6 offset:192
	s_wait_dscnt 0x0
	v_add_f32_e32 v11, v11, v6
	s_or_b32 exec_lo, exec_lo, s0
	s_and_saveexec_b32 s0, vcc_lo
	s_cbranch_execz .LBB167_578
.LBB167_611:
	v_lshl_add_u32 v6, v60, 2, v1
	ds_load_b32 v6, v6 offset:256
	s_wait_dscnt 0x0
	v_add_f32_e32 v4, v4, v6
	s_or_b32 exec_lo, exec_lo, s0
	s_and_saveexec_b32 s0, vcc_lo
	s_cbranch_execz .LBB167_579
.LBB167_612:
	v_lshl_add_u32 v6, v60, 2, v1
	ds_load_b32 v6, v6 offset:320
	s_wait_dscnt 0x0
	v_add_f32_e32 v5, v5, v6
	s_or_b32 exec_lo, exec_lo, s0
	s_and_saveexec_b32 s0, vcc_lo
	s_cbranch_execnz .LBB167_580
	s_branch .LBB167_581
.LBB167_613:
	ds_load_b32 v6, v1
	s_wait_dscnt 0x0
	v_add_f32_e32 v12, v12, v6
	s_or_b32 exec_lo, exec_lo, s1
	s_and_saveexec_b32 s1, vcc_lo
	s_cbranch_execz .LBB167_592
.LBB167_614:
	ds_load_b32 v6, v1 offset:64
	s_wait_dscnt 0x0
	v_add_f32_e32 v13, v13, v6
	s_or_b32 exec_lo, exec_lo, s1
	s_and_saveexec_b32 s1, vcc_lo
	s_cbranch_execz .LBB167_593
.LBB167_615:
	ds_load_b32 v6, v1 offset:128
	s_wait_dscnt 0x0
	v_add_f32_e32 v10, v10, v6
	s_or_b32 exec_lo, exec_lo, s1
	s_and_saveexec_b32 s1, vcc_lo
	s_cbranch_execz .LBB167_594
.LBB167_616:
	ds_load_b32 v6, v1 offset:192
	s_wait_dscnt 0x0
	v_add_f32_e32 v11, v11, v6
	s_or_b32 exec_lo, exec_lo, s1
	s_and_saveexec_b32 s1, vcc_lo
	s_cbranch_execz .LBB167_595
.LBB167_617:
	ds_load_b32 v6, v1 offset:256
	s_wait_dscnt 0x0
	v_add_f32_e32 v4, v4, v6
	s_or_b32 exec_lo, exec_lo, s1
	s_and_saveexec_b32 s1, vcc_lo
	s_cbranch_execz .LBB167_596
.LBB167_618:
	ds_load_b32 v6, v1 offset:320
	s_wait_dscnt 0x0
	v_add_f32_e32 v5, v5, v6
	s_or_b32 exec_lo, exec_lo, s1
	s_and_saveexec_b32 s1, vcc_lo
	s_cbranch_execnz .LBB167_597
	s_branch .LBB167_598
	.section	.rodata,"a",@progbits
	.p2align	6, 0x0
	.amdhsa_kernel _ZN4vllm25paged_attention_v1_kernelIfhLi120ELi8ELi128ELNS_18Fp8KVCacheDataTypeE1ELb1EEEvPT_PKS2_PKT0_S8_ifPKiSA_iPKfiiiSC_SC_iiiii
		.amdhsa_group_segment_fixed_size 512
		.amdhsa_private_segment_fixed_size 0
		.amdhsa_kernarg_size 384
		.amdhsa_user_sgpr_count 2
		.amdhsa_user_sgpr_dispatch_ptr 0
		.amdhsa_user_sgpr_queue_ptr 0
		.amdhsa_user_sgpr_kernarg_segment_ptr 1
		.amdhsa_user_sgpr_dispatch_id 0
		.amdhsa_user_sgpr_kernarg_preload_length 0
		.amdhsa_user_sgpr_kernarg_preload_offset 0
		.amdhsa_user_sgpr_private_segment_size 0
		.amdhsa_wavefront_size32 1
		.amdhsa_uses_dynamic_stack 0
		.amdhsa_enable_private_segment 0
		.amdhsa_system_sgpr_workgroup_id_x 1
		.amdhsa_system_sgpr_workgroup_id_y 1
		.amdhsa_system_sgpr_workgroup_id_z 1
		.amdhsa_system_sgpr_workgroup_info 0
		.amdhsa_system_vgpr_workitem_id 0
		.amdhsa_next_free_vgpr 84
		.amdhsa_next_free_sgpr 46
		.amdhsa_named_barrier_count 0
		.amdhsa_reserve_vcc 1
		.amdhsa_float_round_mode_32 0
		.amdhsa_float_round_mode_16_64 0
		.amdhsa_float_denorm_mode_32 3
		.amdhsa_float_denorm_mode_16_64 3
		.amdhsa_fp16_overflow 0
		.amdhsa_memory_ordered 1
		.amdhsa_forward_progress 1
		.amdhsa_inst_pref_size 167
		.amdhsa_round_robin_scheduling 0
		.amdhsa_exception_fp_ieee_invalid_op 0
		.amdhsa_exception_fp_denorm_src 0
		.amdhsa_exception_fp_ieee_div_zero 0
		.amdhsa_exception_fp_ieee_overflow 0
		.amdhsa_exception_fp_ieee_underflow 0
		.amdhsa_exception_fp_ieee_inexact 0
		.amdhsa_exception_int_div_zero 0
	.end_amdhsa_kernel
	.section	.text._ZN4vllm25paged_attention_v1_kernelIfhLi120ELi8ELi128ELNS_18Fp8KVCacheDataTypeE1ELb1EEEvPT_PKS2_PKT0_S8_ifPKiSA_iPKfiiiSC_SC_iiiii,"axG",@progbits,_ZN4vllm25paged_attention_v1_kernelIfhLi120ELi8ELi128ELNS_18Fp8KVCacheDataTypeE1ELb1EEEvPT_PKS2_PKT0_S8_ifPKiSA_iPKfiiiSC_SC_iiiii,comdat
.Lfunc_end167:
	.size	_ZN4vllm25paged_attention_v1_kernelIfhLi120ELi8ELi128ELNS_18Fp8KVCacheDataTypeE1ELb1EEEvPT_PKS2_PKT0_S8_ifPKiSA_iPKfiiiSC_SC_iiiii, .Lfunc_end167-_ZN4vllm25paged_attention_v1_kernelIfhLi120ELi8ELi128ELNS_18Fp8KVCacheDataTypeE1ELb1EEEvPT_PKS2_PKT0_S8_ifPKiSA_iPKfiiiSC_SC_iiiii
                                        ; -- End function
	.set _ZN4vllm25paged_attention_v1_kernelIfhLi120ELi8ELi128ELNS_18Fp8KVCacheDataTypeE1ELb1EEEvPT_PKS2_PKT0_S8_ifPKiSA_iPKfiiiSC_SC_iiiii.num_vgpr, 84
	.set _ZN4vllm25paged_attention_v1_kernelIfhLi120ELi8ELi128ELNS_18Fp8KVCacheDataTypeE1ELb1EEEvPT_PKS2_PKT0_S8_ifPKiSA_iPKfiiiSC_SC_iiiii.num_agpr, 0
	.set _ZN4vllm25paged_attention_v1_kernelIfhLi120ELi8ELi128ELNS_18Fp8KVCacheDataTypeE1ELb1EEEvPT_PKS2_PKT0_S8_ifPKiSA_iPKfiiiSC_SC_iiiii.numbered_sgpr, 46
	.set _ZN4vllm25paged_attention_v1_kernelIfhLi120ELi8ELi128ELNS_18Fp8KVCacheDataTypeE1ELb1EEEvPT_PKS2_PKT0_S8_ifPKiSA_iPKfiiiSC_SC_iiiii.num_named_barrier, 0
	.set _ZN4vllm25paged_attention_v1_kernelIfhLi120ELi8ELi128ELNS_18Fp8KVCacheDataTypeE1ELb1EEEvPT_PKS2_PKT0_S8_ifPKiSA_iPKfiiiSC_SC_iiiii.private_seg_size, 0
	.set _ZN4vllm25paged_attention_v1_kernelIfhLi120ELi8ELi128ELNS_18Fp8KVCacheDataTypeE1ELb1EEEvPT_PKS2_PKT0_S8_ifPKiSA_iPKfiiiSC_SC_iiiii.uses_vcc, 1
	.set _ZN4vllm25paged_attention_v1_kernelIfhLi120ELi8ELi128ELNS_18Fp8KVCacheDataTypeE1ELb1EEEvPT_PKS2_PKT0_S8_ifPKiSA_iPKfiiiSC_SC_iiiii.uses_flat_scratch, 0
	.set _ZN4vllm25paged_attention_v1_kernelIfhLi120ELi8ELi128ELNS_18Fp8KVCacheDataTypeE1ELb1EEEvPT_PKS2_PKT0_S8_ifPKiSA_iPKfiiiSC_SC_iiiii.has_dyn_sized_stack, 0
	.set _ZN4vllm25paged_attention_v1_kernelIfhLi120ELi8ELi128ELNS_18Fp8KVCacheDataTypeE1ELb1EEEvPT_PKS2_PKT0_S8_ifPKiSA_iPKfiiiSC_SC_iiiii.has_recursion, 0
	.set _ZN4vllm25paged_attention_v1_kernelIfhLi120ELi8ELi128ELNS_18Fp8KVCacheDataTypeE1ELb1EEEvPT_PKS2_PKT0_S8_ifPKiSA_iPKfiiiSC_SC_iiiii.has_indirect_call, 0
	.section	.AMDGPU.csdata,"",@progbits
; Kernel info:
; codeLenInByte = 21324
; TotalNumSgprs: 48
; NumVgprs: 84
; ScratchSize: 0
; MemoryBound: 0
; FloatMode: 240
; IeeeMode: 1
; LDSByteSize: 512 bytes/workgroup (compile time only)
; SGPRBlocks: 0
; VGPRBlocks: 5
; NumSGPRsForWavesPerEU: 48
; NumVGPRsForWavesPerEU: 84
; NamedBarCnt: 0
; Occupancy: 10
; WaveLimiterHint : 1
; COMPUTE_PGM_RSRC2:SCRATCH_EN: 0
; COMPUTE_PGM_RSRC2:USER_SGPR: 2
; COMPUTE_PGM_RSRC2:TRAP_HANDLER: 0
; COMPUTE_PGM_RSRC2:TGID_X_EN: 1
; COMPUTE_PGM_RSRC2:TGID_Y_EN: 1
; COMPUTE_PGM_RSRC2:TGID_Z_EN: 1
; COMPUTE_PGM_RSRC2:TIDIG_COMP_CNT: 0
	.section	.text._ZN4vllm25paged_attention_v1_kernelIfhLi128ELi8ELi128ELNS_18Fp8KVCacheDataTypeE1ELb1EEEvPT_PKS2_PKT0_S8_ifPKiSA_iPKfiiiSC_SC_iiiii,"axG",@progbits,_ZN4vllm25paged_attention_v1_kernelIfhLi128ELi8ELi128ELNS_18Fp8KVCacheDataTypeE1ELb1EEEvPT_PKS2_PKT0_S8_ifPKiSA_iPKfiiiSC_SC_iiiii,comdat
	.protected	_ZN4vllm25paged_attention_v1_kernelIfhLi128ELi8ELi128ELNS_18Fp8KVCacheDataTypeE1ELb1EEEvPT_PKS2_PKT0_S8_ifPKiSA_iPKfiiiSC_SC_iiiii ; -- Begin function _ZN4vllm25paged_attention_v1_kernelIfhLi128ELi8ELi128ELNS_18Fp8KVCacheDataTypeE1ELb1EEEvPT_PKS2_PKT0_S8_ifPKiSA_iPKfiiiSC_SC_iiiii
	.globl	_ZN4vllm25paged_attention_v1_kernelIfhLi128ELi8ELi128ELNS_18Fp8KVCacheDataTypeE1ELb1EEEvPT_PKS2_PKT0_S8_ifPKiSA_iPKfiiiSC_SC_iiiii
	.p2align	8
	.type	_ZN4vllm25paged_attention_v1_kernelIfhLi128ELi8ELi128ELNS_18Fp8KVCacheDataTypeE1ELb1EEEvPT_PKS2_PKT0_S8_ifPKiSA_iPKfiiiSC_SC_iiiii,@function
_ZN4vllm25paged_attention_v1_kernelIfhLi128ELi8ELi128ELNS_18Fp8KVCacheDataTypeE1ELb1EEEvPT_PKS2_PKT0_S8_ifPKiSA_iPKfiiiSC_SC_iiiii: ; @_ZN4vllm25paged_attention_v1_kernelIfhLi128ELi8ELi128ELNS_18Fp8KVCacheDataTypeE1ELb1EEEvPT_PKS2_PKT0_S8_ifPKiSA_iPKfiiiSC_SC_iiiii
; %bb.0:
	s_load_b64 s[26:27], s[0:1], 0x20
	s_bfe_u32 s3, ttmp6, 0x4000c
	s_bfe_u32 s4, ttmp6, 0x40010
	s_and_b32 s6, ttmp7, 0xffff
	s_add_co_i32 s3, s3, 1
	s_add_co_i32 s4, s4, 1
	s_and_b32 s2, ttmp6, 15
	s_bfe_u32 s5, ttmp6, 0x40004
	s_mul_i32 s3, ttmp9, s3
	s_mul_i32 s4, s6, s4
	s_getreg_b32 s30, hwreg(HW_REG_IB_STS2, 6, 4)
	s_add_co_i32 s2, s2, s3
	s_add_co_i32 s3, s5, s4
	s_cmp_eq_u32 s30, 0
	s_clause 0x1
	s_load_b32 s31, s[0:1], 0x80
	s_load_b64 s[4:5], s[0:1], 0x30
	s_cselect_b32 s33, s6, s3
	s_cselect_b32 s2, ttmp9, s2
	s_wait_kmcnt 0x0
	s_abs_i32 s3, s26
	s_delay_alu instid0(SALU_CYCLE_1) | instskip(SKIP_1) | instid1(SALU_CYCLE_2)
	s_cvt_f32_u32 s6, s3
	s_sub_co_i32 s7, 0, s3
	v_rcp_iflag_f32_e32 v1, s6
	s_abs_i32 s8, s31
	v_nop
	s_delay_alu instid0(TRANS32_DEP_1) | instskip(SKIP_1) | instid1(SALU_CYCLE_3)
	v_readfirstlane_b32 s6, v1
	s_mul_f32 s6, s6, 0x4f7ffffe
	s_cvt_u32_f32 s6, s6
	s_delay_alu instid0(SALU_CYCLE_3) | instskip(NEXT) | instid1(SALU_CYCLE_1)
	s_mul_i32 s7, s7, s6
	s_mul_hi_u32 s7, s6, s7
	s_delay_alu instid0(SALU_CYCLE_1) | instskip(SKIP_4) | instid1(SALU_CYCLE_1)
	s_add_co_i32 s6, s6, s7
	s_xor_b32 s7, s31, s26
	s_mul_hi_u32 s6, s8, s6
	s_ashr_i32 s7, s7, 31
	s_mul_i32 s9, s6, s3
	s_sub_co_i32 s8, s8, s9
	s_add_co_i32 s9, s6, 1
	s_sub_co_i32 s10, s8, s3
	s_cmp_ge_u32 s8, s3
	s_cselect_b32 s6, s9, s6
	s_cselect_b32 s8, s10, s8
	s_add_co_i32 s9, s6, 1
	s_cmp_ge_u32 s8, s3
	s_load_b64 s[10:11], s[0:1], 0x40
	s_cselect_b32 s3, s9, s6
	s_mov_b32 s9, 0
	s_xor_b32 s3, s3, s7
	s_abs_i32 s8, s2
	s_sub_co_i32 s12, s3, s7
	s_mov_b32 s7, s9
	s_abs_i32 s19, s12
	s_mov_b32 s36, s9
	s_cvt_f32_u32 s3, s19
	s_sub_co_i32 s6, 0, s19
	s_delay_alu instid0(SALU_CYCLE_2) | instskip(SKIP_1) | instid1(TRANS32_DEP_1)
	v_rcp_iflag_f32_e32 v1, s3
	v_nop
	v_readfirstlane_b32 s3, v1
	s_mul_f32 s3, s3, 0x4f7ffffe
	s_delay_alu instid0(SALU_CYCLE_3) | instskip(NEXT) | instid1(SALU_CYCLE_3)
	s_cvt_u32_f32 s3, s3
	s_mul_i32 s6, s6, s3
	s_delay_alu instid0(SALU_CYCLE_1) | instskip(NEXT) | instid1(SALU_CYCLE_1)
	s_mul_hi_u32 s6, s3, s6
	s_add_co_i32 s6, s3, s6
	s_wait_kmcnt 0x0
	s_cmp_eq_u64 s[10:11], 0
	s_cbranch_scc1 .LBB168_2
; %bb.1:
	s_ashr_i32 s3, s2, 31
	s_delay_alu instid0(SALU_CYCLE_1) | instskip(NEXT) | instid1(SALU_CYCLE_1)
	s_lshl_b64 s[14:15], s[2:3], 2
	s_add_nc_u64 s[10:11], s[10:11], s[14:15]
	s_load_b32 s36, s[10:11], 0x0
.LBB168_2:
	s_load_b32 s34, s[4:5], s33 offset:0x0 scale_offset
	s_load_b96 s[16:18], s[0:1], 0x48
	v_and_b32_e32 v2, 3, v0
	s_wait_xcnt 0x0
	s_mul_u64 s[4:5], s[8:9], s[6:7]
	s_ashr_i32 s3, s2, 31
	s_ashr_i32 s10, s12, 31
	s_lshl_b32 s6, s2, 7
	s_mov_b32 s4, exec_lo
	v_cmpx_gt_u32_e32 0x80, v0
	s_cbranch_execz .LBB168_4
; %bb.3:
	s_load_b64 s[12:13], s[0:1], 0x8
	s_wait_kmcnt 0x0
	s_mul_i32 s14, s16, s33
	s_ashr_i32 s7, s6, 31
	s_ashr_i32 s15, s14, 31
	v_and_b32_e32 v3, 0x3fc, v0
	s_lshl_b64 s[14:15], s[14:15], 2
	s_delay_alu instid0(VALU_DEP_1) | instskip(SKIP_2) | instid1(SALU_CYCLE_1)
	v_lshl_add_u32 v3, v2, 7, v3
	s_add_nc_u64 s[12:13], s[12:13], s[14:15]
	s_lshl_b64 s[14:15], s[6:7], 2
	s_add_nc_u64 s[12:13], s[12:13], s[14:15]
	global_load_b32 v1, v0, s[12:13] scale_offset
	s_wait_loadcnt 0x0
	ds_store_b32 v3, v1
.LBB168_4:
	s_or_b32 exec_lo, exec_lo, s4
	s_load_b128 s[12:15], s[0:1], 0x68
	s_mul_i32 s4, s5, s19
	s_xor_b32 s3, s3, s10
	s_sub_co_i32 s4, s8, s4
	s_add_co_i32 s7, s5, 1
	s_sub_co_i32 s8, s4, s19
	s_cmp_ge_u32 s4, s19
	s_mov_b32 s9, -1
	s_cselect_b32 s5, s7, s5
	s_cselect_b32 s4, s8, s4
	s_add_co_i32 s8, s5, 1
	s_cmp_ge_u32 s4, s19
	s_load_b32 s7, s[0:1], 0x78
	s_cselect_b32 s4, s8, s5
	s_wait_kmcnt 0x0
	s_add_co_i32 s8, s34, -1
	s_xor_b32 s4, s4, s3
	s_wait_dscnt 0x0
	s_sub_co_i32 s3, s4, s3
	s_barrier_signal -1
	s_barrier_wait -1
	s_abs_i32 s16, s15
	s_delay_alu instid0(SALU_CYCLE_1) | instskip(NEXT) | instid1(SALU_CYCLE_3)
	s_cvt_f32_u32 s5, s16
                                        ; implicit-def: $sgpr35
	v_rcp_iflag_f32_e32 v1, s5
	v_nop
	s_delay_alu instid0(TRANS32_DEP_1) | instskip(SKIP_1) | instid1(SALU_CYCLE_3)
	v_readfirstlane_b32 s5, v1
	s_mul_f32 s4, s5, 0x4f7ffffe
	s_cvt_u32_f32 s10, s4
	s_sub_co_i32 s4, 0, s16
	s_delay_alu instid0(SALU_CYCLE_2)
	s_mul_i32 s5, s4, s10
	s_abs_i32 s4, s8
	s_mul_hi_u32 s11, s10, s5
	s_mov_b32 s5, 0
	s_add_co_i32 s20, s10, s11
	s_cmp_lt_i32 s7, 0
	s_mov_b32 s21, s5
	s_cbranch_scc0 .LBB168_6
; %bb.5:
	s_mul_i32 s9, s12, s26
	s_delay_alu instid0(SALU_CYCLE_1) | instskip(NEXT) | instid1(SALU_CYCLE_1)
	s_add_co_i32 s9, s3, s9
	s_mul_i32 s9, s9, s7
	s_delay_alu instid0(SALU_CYCLE_1)
	s_sub_co_i32 s35, 1, s9
	s_mov_b32 s9, s5
.LBB168_6:
	s_ashr_i32 s8, s8, 31
	s_ashr_i32 s15, s15, 31
	s_and_not1_b32 vcc_lo, exec_lo, s9
	s_mul_u64 s[28:29], s[4:5], s[20:21]
	s_cbranch_vccnz .LBB168_8
; %bb.7:
	s_mul_i32 s5, s31, s12
	s_delay_alu instid0(SALU_CYCLE_1) | instskip(NEXT) | instid1(SALU_CYCLE_1)
	s_add_co_i32 s2, s5, s2
	s_mul_i32 s2, s2, s7
	s_delay_alu instid0(SALU_CYCLE_1)
	s_add_co_i32 s35, s2, 1
.LBB168_8:
	s_clause 0x1
	s_load_b32 s2, s[0:1], 0x38
	s_load_b64 s[22:23], s[0:1], 0x28
	s_mul_i32 s7, s29, s16
	s_xor_b32 s5, s8, s15
	s_sub_co_i32 s4, s4, s7
	s_add_co_i32 s12, s29, 1
	s_clause 0x1
	s_load_b32 s7, s[0:1], 0x88
	s_load_b128 s[8:11], s[0:1], 0x58
	v_dual_lshrrev_b32 v1, 5, v0 :: v_dual_lshrrev_b32 v35, 3, v0
	v_mov_b32_e32 v49, 0xff7fffff
	v_mbcnt_lo_u32_b32 v46, -1, 0
	s_mul_i32 s18, s3, s18
	s_delay_alu instid0(VALU_DEP_3)
	v_lshlrev_b32_e32 v34, 3, v1
	s_wait_kmcnt 0x0
	s_mul_i32 s24, s2, s33
	s_sub_co_i32 s2, s4, s16
	s_ashr_i32 s25, s24, 31
	s_cmp_ge_u32 s4, s16
	s_cselect_b32 s12, s12, s29
	s_cselect_b32 s2, s2, s4
	s_add_co_i32 s4, s12, 1
	s_cmp_ge_u32 s2, s16
	s_cselect_b32 s2, s4, s12
	s_add_co_i32 s4, s34, 7
	s_delay_alu instid0(SALU_CYCLE_1) | instskip(NEXT) | instid1(SALU_CYCLE_1)
	s_ashr_i32 s12, s4, 31
	s_lshr_b32 s12, s12, 29
	s_delay_alu instid0(SALU_CYCLE_1) | instskip(NEXT) | instid1(SALU_CYCLE_1)
	s_add_co_i32 s4, s4, s12
	s_ashr_i32 s12, s4, 3
	s_xor_b32 s4, s2, s5
	v_cmp_gt_i32_e64 s2, s12, v1
	s_sub_co_i32 s26, s4, s5
	s_and_saveexec_b32 s37, s2
	s_cbranch_execz .LBB168_276
; %bb.9:
	s_sub_co_i32 s38, s26, s13
	s_ashr_i32 s19, s18, 31
	s_cmp_neq_f32 s36, 0
	s_load_b64 s[4:5], s[0:1], 0x10
	v_bfe_u32 v47, v0, 2, 3
	v_dual_mov_b32 v37, 0 :: v_dual_lshlrev_b32 v48, 7, v2
	s_cselect_b32 vcc_lo, -1, 0
	s_abs_i32 s39, s14
	s_delay_alu instid0(VALU_DEP_2) | instskip(SKIP_3) | instid1(SALU_CYCLE_1)
	v_dual_lshlrev_b32 v38, 3, v1 :: v_dual_lshlrev_b32 v36, 4, v47
	s_cvt_f32_u32 s28, s39
	v_dual_mov_b32 v3, v37 :: v_dual_lshlrev_b32 v5, 2, v47
	s_lshl_b64 s[40:41], s[24:25], 2
	v_rcp_iflag_f32_e32 v4, s28
	v_subrev_nc_u32_e32 v6, s34, v47
	s_sub_co_i32 s42, 0, s39
	v_lshl_or_b32 v7, v1, 5, v5
	v_cmp_eq_u32_e64 s3, 0, v2
	v_dual_mov_b32 v52, 0xff7fffff :: v_dual_mov_b32 v53, v1
	s_delay_alu instid0(TRANS32_DEP_1)
	v_readfirstlane_b32 s28, v4
	s_wait_kmcnt 0x0
	s_add_nc_u64 s[4:5], s[4:5], s[18:19]
	v_dual_mov_b32 v49, 0xff7fffff :: v_dual_add_nc_u32 v50, 1, v6
	v_add_nc_u64_e32 v[4:5], s[4:5], v[36:37]
	s_mul_f32 s19, s28, 0x4f7ffffe
	v_and_b32_e32 v36, 0x7c, v35
	s_add_nc_u64 s[4:5], s[22:23], s[40:41]
	v_add_nc_u32_e32 v51, 0x220, v7
	s_cvt_u32_f32 s28, s19
	s_mov_b32 s29, 0
	v_add_nc_u64_e32 v[40:41], s[4:5], v[36:37]
	v_add_nc_u64_e32 v[42:43], v[4:5], v[2:3]
	s_mul_i32 s42, s42, s28
	s_mov_b32 s19, s17
	s_mul_hi_u32 s4, s28, s42
	s_mov_b32 s40, s29
	s_add_co_i32 s28, s28, s4
	s_branch .LBB168_12
.LBB168_10:                             ;   in Loop: Header=BB168_12 Depth=1
	s_or_b32 exec_lo, exec_lo, s41
.LBB168_11:                             ;   in Loop: Header=BB168_12 Depth=1
	s_delay_alu instid0(SALU_CYCLE_1) | instskip(SKIP_3) | instid1(VALU_DEP_3)
	s_or_b32 exec_lo, exec_lo, s5
	v_dual_add_nc_u32 v53, 4, v53 :: v_dual_add_nc_u32 v38, 32, v38
	v_add_nc_u64_e32 v[40:41], 16, v[40:41]
	v_add_nc_u32_e32 v51, 0x80, v51
	v_cmp_le_i32_e64 s4, s12, v53
	s_or_b32 s40, s4, s40
	s_delay_alu instid0(SALU_CYCLE_1)
	s_and_not1_b32 exec_lo, exec_lo, s40
	s_cbranch_execz .LBB168_275
.LBB168_12:                             ; =>This Inner Loop Header: Depth=1
	v_mov_b32_e32 v39, v37
	s_wait_dscnt 0x0
	s_delay_alu instid0(VALU_DEP_1) | instskip(NEXT) | instid1(VALU_DEP_1)
	v_mul_u64_e32 v[2:3], s[20:21], v[38:39]
	v_mul_lo_u32 v2, v3, s16
	s_delay_alu instid0(VALU_DEP_1) | instskip(NEXT) | instid1(VALU_DEP_1)
	v_sub_nc_u32_e32 v2, v38, v2
	v_subrev_nc_u32_e32 v5, s16, v2
	v_cmp_le_u32_e64 s4, s16, v2
	s_delay_alu instid0(VALU_DEP_1) | instskip(NEXT) | instid1(VALU_DEP_1)
	v_dual_add_nc_u32 v4, 1, v3 :: v_dual_cndmask_b32 v2, v2, v5, s4
	v_cndmask_b32_e64 v3, v3, v4, s4
	s_delay_alu instid0(VALU_DEP_2) | instskip(NEXT) | instid1(VALU_DEP_2)
	v_cmp_le_u32_e64 s4, s16, v2
	v_add_nc_u32_e32 v4, 1, v3
	s_delay_alu instid0(VALU_DEP_1) | instskip(NEXT) | instid1(VALU_DEP_1)
	v_cndmask_b32_e64 v2, v3, v4, s4
	v_xor_b32_e32 v2, s15, v2
	s_delay_alu instid0(VALU_DEP_1) | instskip(NEXT) | instid1(VALU_DEP_1)
	v_subrev_nc_u32_e32 v4, s15, v2
	v_add_nc_u32_e32 v5, s35, v4
	v_cmp_ge_i32_e64 s5, s38, v4
	s_delay_alu instid0(VALU_DEP_2) | instskip(NEXT) | instid1(VALU_DEP_1)
	v_sub_nc_u32_e32 v2, 0, v5
	v_dual_ashrrev_i32 v5, 31, v5 :: v_dual_max_i32 v36, v5, v2
	s_delay_alu instid0(VALU_DEP_1) | instskip(NEXT) | instid1(VALU_DEP_1)
	v_mul_u64_e32 v[2:3], s[28:29], v[36:37]
	v_mul_lo_u32 v2, v3, s39
	s_delay_alu instid0(VALU_DEP_1) | instskip(NEXT) | instid1(VALU_DEP_1)
	v_sub_nc_u32_e32 v2, v36, v2
	v_subrev_nc_u32_e32 v3, s39, v2
	v_cmp_le_u32_e64 s4, s39, v2
	s_delay_alu instid0(VALU_DEP_1) | instskip(NEXT) | instid1(VALU_DEP_1)
	v_cndmask_b32_e64 v2, v2, v3, s4
	v_subrev_nc_u32_e32 v3, s39, v2
	v_cmp_le_u32_e64 s4, s39, v2
	s_delay_alu instid0(VALU_DEP_1) | instskip(NEXT) | instid1(VALU_DEP_1)
	v_cndmask_b32_e64 v2, v2, v3, s4
	v_xor_b32_e32 v2, v2, v5
	s_delay_alu instid0(VALU_DEP_1) | instskip(NEXT) | instid1(VALU_DEP_1)
	v_sub_nc_u32_e32 v2, v2, v5
	v_cmp_ne_u32_e64 s4, 0, v2
	s_and_b32 s4, s4, s5
	s_delay_alu instid0(SALU_CYCLE_1) | instskip(NEXT) | instid1(SALU_CYCLE_1)
	s_and_saveexec_b32 s5, s4
	s_xor_b32 s4, exec_lo, s5
	s_cbranch_execz .LBB168_16
; %bb.13:                               ;   in Loop: Header=BB168_12 Depth=1
	s_and_saveexec_b32 s5, s3
; %bb.14:                               ;   in Loop: Header=BB168_12 Depth=1
	ds_store_b32 v51, v52
; %bb.15:                               ;   in Loop: Header=BB168_12 Depth=1
	s_or_b32 exec_lo, exec_lo, s5
.LBB168_16:                             ;   in Loop: Header=BB168_12 Depth=1
	s_and_not1_saveexec_b32 s5, s4
	s_cbranch_execz .LBB168_11
; %bb.17:                               ;   in Loop: Header=BB168_12 Depth=1
	global_load_b32 v2, v[40:41], off
	v_dual_mov_b32 v39, 0 :: v_dual_mov_b32 v54, 0
	s_mov_b32 s42, exec_lo
	s_wait_loadcnt 0x0
	v_mad_nc_i64_i32 v[44:45], v2, s19, v[42:43]
	global_load_u8 v55, v[44:45], off
	ds_load_b128 v[30:33], v48
	ds_load_b128 v[26:29], v48 offset:16
	ds_load_b128 v[22:25], v48 offset:32
	;; [unrolled: 1-line block ×7, first 2 shown]
	s_load_b32 s41, s[8:9], 0x0
	s_wait_loadcnt 0x0
	v_cmpx_ne_u16_e32 0, v55
	s_cbranch_execz .LBB168_25
; %bb.18:                               ;   in Loop: Header=BB168_12 Depth=1
	v_bfrev_b32_e32 v54, 1
	s_mov_b32 s43, exec_lo
	v_cmpx_ne_u16_e32 0x80, v55
	s_cbranch_execz .LBB168_24
; %bb.19:                               ;   in Loop: Header=BB168_12 Depth=1
	v_and_b32_e32 v36, 0xffff, v55
	v_mov_b32_e32 v54, 0x7f800001
	s_mov_b32 s44, exec_lo
	s_delay_alu instid0(VALU_DEP_2) | instskip(NEXT) | instid1(VALU_DEP_1)
	v_and_b32_e32 v56, 0x7f, v36
	v_cmpx_ne_u32_e32 0x7f, v56
	s_cbranch_execz .LBB168_23
; %bb.20:                               ;   in Loop: Header=BB168_12 Depth=1
	v_and_b32_e32 v36, 7, v36
	v_lshrrev_b32_e32 v54, 3, v56
	s_mov_b32 s45, exec_lo
	v_cmpx_gt_u32_e32 8, v56
; %bb.21:                               ;   in Loop: Header=BB168_12 Depth=1
	s_delay_alu instid0(VALU_DEP_3) | instskip(NEXT) | instid1(VALU_DEP_1)
	v_clz_i32_u32_e32 v54, v36
	v_min_u32_e32 v54, 32, v54
	s_delay_alu instid0(VALU_DEP_1) | instskip(NEXT) | instid1(VALU_DEP_1)
	v_subrev_nc_u32_e32 v56, 28, v54
	v_lshlrev_b64_e32 v[56:57], v56, v[36:37]
	s_delay_alu instid0(VALU_DEP_1)
	v_dual_sub_nc_u32 v54, 29, v54 :: v_dual_bitop2_b32 v36, 7, v56 bitop3:0x40
; %bb.22:                               ;   in Loop: Header=BB168_12 Depth=1
	s_or_b32 exec_lo, exec_lo, s45
	s_delay_alu instid0(VALU_DEP_1) | instskip(NEXT) | instid1(VALU_DEP_2)
	v_dual_lshlrev_b32 v55, 24, v55 :: v_dual_lshlrev_b32 v36, 20, v36
	v_lshl_add_u32 v54, v54, 23, 0x3c000000
	s_delay_alu instid0(VALU_DEP_2) | instskip(NEXT) | instid1(VALU_DEP_1)
	v_and_b32_e32 v55, 0x80000000, v55
	v_or3_b32 v54, v36, v55, v54
.LBB168_23:                             ;   in Loop: Header=BB168_12 Depth=1
	s_or_b32 exec_lo, exec_lo, s44
.LBB168_24:                             ;   in Loop: Header=BB168_12 Depth=1
	s_delay_alu instid0(SALU_CYCLE_1)
	s_or_b32 exec_lo, exec_lo, s43
.LBB168_25:                             ;   in Loop: Header=BB168_12 Depth=1
	s_delay_alu instid0(SALU_CYCLE_1)
	s_or_b32 exec_lo, exec_lo, s42
	global_load_u8 v55, v[44:45], off offset:4
	s_mov_b32 s42, exec_lo
	s_wait_loadcnt 0x0
	v_cmpx_ne_u16_e32 0, v55
	s_cbranch_execz .LBB168_33
; %bb.26:                               ;   in Loop: Header=BB168_12 Depth=1
	v_bfrev_b32_e32 v39, 1
	s_mov_b32 s43, exec_lo
	v_cmpx_ne_u16_e32 0x80, v55
	s_cbranch_execz .LBB168_32
; %bb.27:                               ;   in Loop: Header=BB168_12 Depth=1
	v_and_b32_e32 v36, 0xffff, v55
	v_mov_b32_e32 v39, 0x7f800001
	s_mov_b32 s44, exec_lo
	s_delay_alu instid0(VALU_DEP_2) | instskip(NEXT) | instid1(VALU_DEP_1)
	v_and_b32_e32 v56, 0x7f, v36
	v_cmpx_ne_u32_e32 0x7f, v56
	s_cbranch_execz .LBB168_31
; %bb.28:                               ;   in Loop: Header=BB168_12 Depth=1
	v_and_b32_e32 v36, 7, v36
	v_lshrrev_b32_e32 v39, 3, v56
	s_mov_b32 s45, exec_lo
	v_cmpx_gt_u32_e32 8, v56
; %bb.29:                               ;   in Loop: Header=BB168_12 Depth=1
	s_delay_alu instid0(VALU_DEP_3) | instskip(NEXT) | instid1(VALU_DEP_1)
	v_clz_i32_u32_e32 v39, v36
	v_min_u32_e32 v39, 32, v39
	s_delay_alu instid0(VALU_DEP_1) | instskip(NEXT) | instid1(VALU_DEP_1)
	v_subrev_nc_u32_e32 v56, 28, v39
	v_lshlrev_b64_e32 v[56:57], v56, v[36:37]
	s_delay_alu instid0(VALU_DEP_1)
	v_dual_sub_nc_u32 v39, 29, v39 :: v_dual_bitop2_b32 v36, 7, v56 bitop3:0x40
; %bb.30:                               ;   in Loop: Header=BB168_12 Depth=1
	s_or_b32 exec_lo, exec_lo, s45
	s_delay_alu instid0(VALU_DEP_1) | instskip(NEXT) | instid1(VALU_DEP_2)
	v_dual_lshlrev_b32 v55, 24, v55 :: v_dual_lshlrev_b32 v36, 20, v36
	v_lshl_add_u32 v39, v39, 23, 0x3c000000
	s_delay_alu instid0(VALU_DEP_2) | instskip(NEXT) | instid1(VALU_DEP_1)
	v_and_b32_e32 v55, 0x80000000, v55
	v_or3_b32 v39, v36, v55, v39
.LBB168_31:                             ;   in Loop: Header=BB168_12 Depth=1
	s_or_b32 exec_lo, exec_lo, s44
.LBB168_32:                             ;   in Loop: Header=BB168_12 Depth=1
	s_delay_alu instid0(SALU_CYCLE_1)
	s_or_b32 exec_lo, exec_lo, s43
.LBB168_33:                             ;   in Loop: Header=BB168_12 Depth=1
	s_delay_alu instid0(SALU_CYCLE_1)
	s_or_b32 exec_lo, exec_lo, s42
	global_load_u8 v57, v[44:45], off offset:8
	v_dual_mov_b32 v55, 0 :: v_dual_mov_b32 v56, 0
	s_mov_b32 s42, exec_lo
	s_wait_loadcnt 0x0
	v_cmpx_ne_u16_e32 0, v57
	s_cbranch_execz .LBB168_41
; %bb.34:                               ;   in Loop: Header=BB168_12 Depth=1
	v_bfrev_b32_e32 v56, 1
	s_mov_b32 s43, exec_lo
	v_cmpx_ne_u16_e32 0x80, v57
	s_cbranch_execz .LBB168_40
; %bb.35:                               ;   in Loop: Header=BB168_12 Depth=1
	v_and_b32_e32 v36, 0xffff, v57
	v_mov_b32_e32 v56, 0x7f800001
	s_mov_b32 s44, exec_lo
	s_delay_alu instid0(VALU_DEP_2) | instskip(NEXT) | instid1(VALU_DEP_1)
	v_and_b32_e32 v58, 0x7f, v36
	v_cmpx_ne_u32_e32 0x7f, v58
	s_cbranch_execz .LBB168_39
; %bb.36:                               ;   in Loop: Header=BB168_12 Depth=1
	v_dual_lshrrev_b32 v56, 3, v58 :: v_dual_bitop2_b32 v36, 7, v36 bitop3:0x40
	s_mov_b32 s45, exec_lo
	v_cmpx_gt_u32_e32 8, v58
; %bb.37:                               ;   in Loop: Header=BB168_12 Depth=1
	s_delay_alu instid0(VALU_DEP_2) | instskip(NEXT) | instid1(VALU_DEP_1)
	v_clz_i32_u32_e32 v56, v36
	v_min_u32_e32 v56, 32, v56
	s_delay_alu instid0(VALU_DEP_1) | instskip(NEXT) | instid1(VALU_DEP_1)
	v_subrev_nc_u32_e32 v58, 28, v56
	v_lshlrev_b64_e32 v[58:59], v58, v[36:37]
	s_delay_alu instid0(VALU_DEP_1)
	v_dual_sub_nc_u32 v56, 29, v56 :: v_dual_bitop2_b32 v36, 7, v58 bitop3:0x40
; %bb.38:                               ;   in Loop: Header=BB168_12 Depth=1
	s_or_b32 exec_lo, exec_lo, s45
	s_delay_alu instid0(VALU_DEP_1) | instskip(NEXT) | instid1(VALU_DEP_2)
	v_dual_lshlrev_b32 v57, 24, v57 :: v_dual_lshlrev_b32 v36, 20, v36
	v_lshl_add_u32 v56, v56, 23, 0x3c000000
	s_delay_alu instid0(VALU_DEP_2) | instskip(NEXT) | instid1(VALU_DEP_1)
	v_and_b32_e32 v57, 0x80000000, v57
	v_or3_b32 v56, v36, v57, v56
.LBB168_39:                             ;   in Loop: Header=BB168_12 Depth=1
	s_or_b32 exec_lo, exec_lo, s44
.LBB168_40:                             ;   in Loop: Header=BB168_12 Depth=1
	s_delay_alu instid0(SALU_CYCLE_1)
	s_or_b32 exec_lo, exec_lo, s43
.LBB168_41:                             ;   in Loop: Header=BB168_12 Depth=1
	s_delay_alu instid0(SALU_CYCLE_1)
	s_or_b32 exec_lo, exec_lo, s42
	global_load_u8 v57, v[44:45], off offset:12
	s_mov_b32 s42, exec_lo
	s_wait_loadcnt 0x0
	v_cmpx_ne_u16_e32 0, v57
	s_cbranch_execz .LBB168_49
; %bb.42:                               ;   in Loop: Header=BB168_12 Depth=1
	v_bfrev_b32_e32 v55, 1
	s_mov_b32 s43, exec_lo
	v_cmpx_ne_u16_e32 0x80, v57
	s_cbranch_execz .LBB168_48
; %bb.43:                               ;   in Loop: Header=BB168_12 Depth=1
	v_and_b32_e32 v36, 0xffff, v57
	v_mov_b32_e32 v55, 0x7f800001
	s_mov_b32 s44, exec_lo
	s_delay_alu instid0(VALU_DEP_2) | instskip(NEXT) | instid1(VALU_DEP_1)
	v_and_b32_e32 v58, 0x7f, v36
	v_cmpx_ne_u32_e32 0x7f, v58
	s_cbranch_execz .LBB168_47
; %bb.44:                               ;   in Loop: Header=BB168_12 Depth=1
	v_dual_lshrrev_b32 v55, 3, v58 :: v_dual_bitop2_b32 v36, 7, v36 bitop3:0x40
	s_mov_b32 s45, exec_lo
	v_cmpx_gt_u32_e32 8, v58
; %bb.45:                               ;   in Loop: Header=BB168_12 Depth=1
	s_delay_alu instid0(VALU_DEP_2) | instskip(NEXT) | instid1(VALU_DEP_1)
	v_clz_i32_u32_e32 v55, v36
	v_min_u32_e32 v55, 32, v55
	s_delay_alu instid0(VALU_DEP_1) | instskip(NEXT) | instid1(VALU_DEP_1)
	v_subrev_nc_u32_e32 v58, 28, v55
	v_lshlrev_b64_e32 v[58:59], v58, v[36:37]
	s_delay_alu instid0(VALU_DEP_1)
	v_dual_sub_nc_u32 v55, 29, v55 :: v_dual_bitop2_b32 v36, 7, v58 bitop3:0x40
; %bb.46:                               ;   in Loop: Header=BB168_12 Depth=1
	s_or_b32 exec_lo, exec_lo, s45
	s_delay_alu instid0(VALU_DEP_1) | instskip(NEXT) | instid1(VALU_DEP_2)
	v_dual_lshlrev_b32 v57, 24, v57 :: v_dual_lshlrev_b32 v36, 20, v36
	v_lshl_add_u32 v55, v55, 23, 0x3c000000
	s_delay_alu instid0(VALU_DEP_2) | instskip(NEXT) | instid1(VALU_DEP_1)
	v_and_b32_e32 v57, 0x80000000, v57
	v_or3_b32 v55, v36, v57, v55
.LBB168_47:                             ;   in Loop: Header=BB168_12 Depth=1
	s_or_b32 exec_lo, exec_lo, s44
.LBB168_48:                             ;   in Loop: Header=BB168_12 Depth=1
	s_delay_alu instid0(SALU_CYCLE_1)
	s_or_b32 exec_lo, exec_lo, s43
.LBB168_49:                             ;   in Loop: Header=BB168_12 Depth=1
	s_delay_alu instid0(SALU_CYCLE_1)
	s_or_b32 exec_lo, exec_lo, s42
	global_load_u8 v59, v[44:45], off offset:128
	v_dual_mov_b32 v57, 0 :: v_dual_mov_b32 v58, 0
	s_mov_b32 s42, exec_lo
	s_wait_loadcnt 0x0
	v_cmpx_ne_u16_e32 0, v59
	s_cbranch_execz .LBB168_57
; %bb.50:                               ;   in Loop: Header=BB168_12 Depth=1
	v_bfrev_b32_e32 v58, 1
	s_mov_b32 s43, exec_lo
	v_cmpx_ne_u16_e32 0x80, v59
	s_cbranch_execz .LBB168_56
; %bb.51:                               ;   in Loop: Header=BB168_12 Depth=1
	v_and_b32_e32 v36, 0xffff, v59
	v_mov_b32_e32 v58, 0x7f800001
	s_mov_b32 s44, exec_lo
	s_delay_alu instid0(VALU_DEP_2) | instskip(NEXT) | instid1(VALU_DEP_1)
	v_and_b32_e32 v60, 0x7f, v36
	v_cmpx_ne_u32_e32 0x7f, v60
	s_cbranch_execz .LBB168_55
; %bb.52:                               ;   in Loop: Header=BB168_12 Depth=1
	v_and_b32_e32 v36, 7, v36
	v_lshrrev_b32_e32 v58, 3, v60
	s_mov_b32 s45, exec_lo
	v_cmpx_gt_u32_e32 8, v60
; %bb.53:                               ;   in Loop: Header=BB168_12 Depth=1
	s_delay_alu instid0(VALU_DEP_3) | instskip(NEXT) | instid1(VALU_DEP_1)
	v_clz_i32_u32_e32 v58, v36
	v_min_u32_e32 v58, 32, v58
	s_delay_alu instid0(VALU_DEP_1) | instskip(NEXT) | instid1(VALU_DEP_1)
	v_subrev_nc_u32_e32 v60, 28, v58
	v_lshlrev_b64_e32 v[60:61], v60, v[36:37]
	s_delay_alu instid0(VALU_DEP_1)
	v_dual_sub_nc_u32 v58, 29, v58 :: v_dual_bitop2_b32 v36, 7, v60 bitop3:0x40
; %bb.54:                               ;   in Loop: Header=BB168_12 Depth=1
	s_or_b32 exec_lo, exec_lo, s45
	s_delay_alu instid0(VALU_DEP_1) | instskip(NEXT) | instid1(VALU_DEP_2)
	v_dual_lshlrev_b32 v59, 24, v59 :: v_dual_lshlrev_b32 v36, 20, v36
	v_lshl_add_u32 v58, v58, 23, 0x3c000000
	s_delay_alu instid0(VALU_DEP_2) | instskip(NEXT) | instid1(VALU_DEP_1)
	v_and_b32_e32 v59, 0x80000000, v59
	v_or3_b32 v58, v36, v59, v58
.LBB168_55:                             ;   in Loop: Header=BB168_12 Depth=1
	s_or_b32 exec_lo, exec_lo, s44
.LBB168_56:                             ;   in Loop: Header=BB168_12 Depth=1
	s_delay_alu instid0(SALU_CYCLE_1)
	s_or_b32 exec_lo, exec_lo, s43
.LBB168_57:                             ;   in Loop: Header=BB168_12 Depth=1
	s_delay_alu instid0(SALU_CYCLE_1)
	s_or_b32 exec_lo, exec_lo, s42
	global_load_u8 v59, v[44:45], off offset:132
	s_mov_b32 s42, exec_lo
	s_wait_loadcnt 0x0
	v_cmpx_ne_u16_e32 0, v59
	s_cbranch_execz .LBB168_65
; %bb.58:                               ;   in Loop: Header=BB168_12 Depth=1
	v_bfrev_b32_e32 v57, 1
	s_mov_b32 s43, exec_lo
	v_cmpx_ne_u16_e32 0x80, v59
	s_cbranch_execz .LBB168_64
; %bb.59:                               ;   in Loop: Header=BB168_12 Depth=1
	v_and_b32_e32 v36, 0xffff, v59
	v_mov_b32_e32 v57, 0x7f800001
	s_mov_b32 s44, exec_lo
	s_delay_alu instid0(VALU_DEP_2) | instskip(NEXT) | instid1(VALU_DEP_1)
	v_and_b32_e32 v60, 0x7f, v36
	v_cmpx_ne_u32_e32 0x7f, v60
	s_cbranch_execz .LBB168_63
; %bb.60:                               ;   in Loop: Header=BB168_12 Depth=1
	v_and_b32_e32 v36, 7, v36
	v_lshrrev_b32_e32 v57, 3, v60
	s_mov_b32 s45, exec_lo
	v_cmpx_gt_u32_e32 8, v60
; %bb.61:                               ;   in Loop: Header=BB168_12 Depth=1
	s_delay_alu instid0(VALU_DEP_3) | instskip(NEXT) | instid1(VALU_DEP_1)
	v_clz_i32_u32_e32 v57, v36
	v_min_u32_e32 v57, 32, v57
	s_delay_alu instid0(VALU_DEP_1) | instskip(NEXT) | instid1(VALU_DEP_1)
	v_subrev_nc_u32_e32 v60, 28, v57
	v_lshlrev_b64_e32 v[60:61], v60, v[36:37]
	s_delay_alu instid0(VALU_DEP_1)
	v_dual_sub_nc_u32 v57, 29, v57 :: v_dual_bitop2_b32 v36, 7, v60 bitop3:0x40
; %bb.62:                               ;   in Loop: Header=BB168_12 Depth=1
	s_or_b32 exec_lo, exec_lo, s45
	s_delay_alu instid0(VALU_DEP_1) | instskip(NEXT) | instid1(VALU_DEP_2)
	v_dual_lshlrev_b32 v59, 24, v59 :: v_dual_lshlrev_b32 v36, 20, v36
	v_lshl_add_u32 v57, v57, 23, 0x3c000000
	s_delay_alu instid0(VALU_DEP_2) | instskip(NEXT) | instid1(VALU_DEP_1)
	v_and_b32_e32 v59, 0x80000000, v59
	v_or3_b32 v57, v36, v59, v57
.LBB168_63:                             ;   in Loop: Header=BB168_12 Depth=1
	s_or_b32 exec_lo, exec_lo, s44
.LBB168_64:                             ;   in Loop: Header=BB168_12 Depth=1
	s_delay_alu instid0(SALU_CYCLE_1)
	s_or_b32 exec_lo, exec_lo, s43
.LBB168_65:                             ;   in Loop: Header=BB168_12 Depth=1
	s_delay_alu instid0(SALU_CYCLE_1)
	s_or_b32 exec_lo, exec_lo, s42
	global_load_u8 v61, v[44:45], off offset:136
	v_dual_mov_b32 v59, 0 :: v_dual_mov_b32 v60, 0
	s_mov_b32 s42, exec_lo
	s_wait_loadcnt 0x0
	v_cmpx_ne_u16_e32 0, v61
	s_cbranch_execz .LBB168_73
; %bb.66:                               ;   in Loop: Header=BB168_12 Depth=1
	v_bfrev_b32_e32 v60, 1
	s_mov_b32 s43, exec_lo
	v_cmpx_ne_u16_e32 0x80, v61
	s_cbranch_execz .LBB168_72
; %bb.67:                               ;   in Loop: Header=BB168_12 Depth=1
	v_and_b32_e32 v36, 0xffff, v61
	v_mov_b32_e32 v60, 0x7f800001
	s_mov_b32 s44, exec_lo
	s_delay_alu instid0(VALU_DEP_2) | instskip(NEXT) | instid1(VALU_DEP_1)
	v_and_b32_e32 v62, 0x7f, v36
	v_cmpx_ne_u32_e32 0x7f, v62
	s_cbranch_execz .LBB168_71
; %bb.68:                               ;   in Loop: Header=BB168_12 Depth=1
	v_dual_lshrrev_b32 v60, 3, v62 :: v_dual_bitop2_b32 v36, 7, v36 bitop3:0x40
	s_mov_b32 s45, exec_lo
	v_cmpx_gt_u32_e32 8, v62
; %bb.69:                               ;   in Loop: Header=BB168_12 Depth=1
	s_delay_alu instid0(VALU_DEP_2) | instskip(NEXT) | instid1(VALU_DEP_1)
	v_clz_i32_u32_e32 v60, v36
	v_min_u32_e32 v60, 32, v60
	s_delay_alu instid0(VALU_DEP_1) | instskip(NEXT) | instid1(VALU_DEP_1)
	v_subrev_nc_u32_e32 v62, 28, v60
	v_lshlrev_b64_e32 v[62:63], v62, v[36:37]
	s_delay_alu instid0(VALU_DEP_1)
	v_dual_sub_nc_u32 v60, 29, v60 :: v_dual_bitop2_b32 v36, 7, v62 bitop3:0x40
; %bb.70:                               ;   in Loop: Header=BB168_12 Depth=1
	s_or_b32 exec_lo, exec_lo, s45
	s_delay_alu instid0(VALU_DEP_1) | instskip(NEXT) | instid1(VALU_DEP_2)
	v_dual_lshlrev_b32 v61, 24, v61 :: v_dual_lshlrev_b32 v36, 20, v36
	v_lshl_add_u32 v60, v60, 23, 0x3c000000
	s_delay_alu instid0(VALU_DEP_2) | instskip(NEXT) | instid1(VALU_DEP_1)
	v_and_b32_e32 v61, 0x80000000, v61
	v_or3_b32 v60, v36, v61, v60
.LBB168_71:                             ;   in Loop: Header=BB168_12 Depth=1
	s_or_b32 exec_lo, exec_lo, s44
.LBB168_72:                             ;   in Loop: Header=BB168_12 Depth=1
	s_delay_alu instid0(SALU_CYCLE_1)
	s_or_b32 exec_lo, exec_lo, s43
.LBB168_73:                             ;   in Loop: Header=BB168_12 Depth=1
	s_delay_alu instid0(SALU_CYCLE_1)
	s_or_b32 exec_lo, exec_lo, s42
	global_load_u8 v61, v[44:45], off offset:140
	s_mov_b32 s42, exec_lo
	s_wait_loadcnt 0x0
	v_cmpx_ne_u16_e32 0, v61
	s_cbranch_execz .LBB168_81
; %bb.74:                               ;   in Loop: Header=BB168_12 Depth=1
	v_bfrev_b32_e32 v59, 1
	s_mov_b32 s43, exec_lo
	v_cmpx_ne_u16_e32 0x80, v61
	s_cbranch_execz .LBB168_80
; %bb.75:                               ;   in Loop: Header=BB168_12 Depth=1
	v_and_b32_e32 v36, 0xffff, v61
	v_mov_b32_e32 v59, 0x7f800001
	s_mov_b32 s44, exec_lo
	s_delay_alu instid0(VALU_DEP_2) | instskip(NEXT) | instid1(VALU_DEP_1)
	v_and_b32_e32 v62, 0x7f, v36
	v_cmpx_ne_u32_e32 0x7f, v62
	s_cbranch_execz .LBB168_79
; %bb.76:                               ;   in Loop: Header=BB168_12 Depth=1
	v_dual_lshrrev_b32 v59, 3, v62 :: v_dual_bitop2_b32 v36, 7, v36 bitop3:0x40
	s_mov_b32 s45, exec_lo
	v_cmpx_gt_u32_e32 8, v62
; %bb.77:                               ;   in Loop: Header=BB168_12 Depth=1
	s_delay_alu instid0(VALU_DEP_2) | instskip(NEXT) | instid1(VALU_DEP_1)
	v_clz_i32_u32_e32 v59, v36
	v_min_u32_e32 v59, 32, v59
	s_delay_alu instid0(VALU_DEP_1) | instskip(NEXT) | instid1(VALU_DEP_1)
	v_subrev_nc_u32_e32 v62, 28, v59
	v_lshlrev_b64_e32 v[62:63], v62, v[36:37]
	s_delay_alu instid0(VALU_DEP_1)
	v_dual_sub_nc_u32 v59, 29, v59 :: v_dual_bitop2_b32 v36, 7, v62 bitop3:0x40
; %bb.78:                               ;   in Loop: Header=BB168_12 Depth=1
	s_or_b32 exec_lo, exec_lo, s45
	s_delay_alu instid0(VALU_DEP_1) | instskip(NEXT) | instid1(VALU_DEP_2)
	v_dual_lshlrev_b32 v61, 24, v61 :: v_dual_lshlrev_b32 v36, 20, v36
	v_lshl_add_u32 v59, v59, 23, 0x3c000000
	s_delay_alu instid0(VALU_DEP_2) | instskip(NEXT) | instid1(VALU_DEP_1)
	v_and_b32_e32 v61, 0x80000000, v61
	v_or3_b32 v59, v36, v61, v59
.LBB168_79:                             ;   in Loop: Header=BB168_12 Depth=1
	s_or_b32 exec_lo, exec_lo, s44
.LBB168_80:                             ;   in Loop: Header=BB168_12 Depth=1
	s_delay_alu instid0(SALU_CYCLE_1)
	s_or_b32 exec_lo, exec_lo, s43
.LBB168_81:                             ;   in Loop: Header=BB168_12 Depth=1
	s_delay_alu instid0(SALU_CYCLE_1)
	s_or_b32 exec_lo, exec_lo, s42
	global_load_u8 v63, v[44:45], off offset:256
	v_dual_mov_b32 v61, 0 :: v_dual_mov_b32 v62, 0
	s_mov_b32 s42, exec_lo
	s_wait_loadcnt 0x0
	v_cmpx_ne_u16_e32 0, v63
	s_cbranch_execz .LBB168_89
; %bb.82:                               ;   in Loop: Header=BB168_12 Depth=1
	v_bfrev_b32_e32 v62, 1
	s_mov_b32 s43, exec_lo
	v_cmpx_ne_u16_e32 0x80, v63
	s_cbranch_execz .LBB168_88
; %bb.83:                               ;   in Loop: Header=BB168_12 Depth=1
	v_and_b32_e32 v36, 0xffff, v63
	v_mov_b32_e32 v62, 0x7f800001
	s_mov_b32 s44, exec_lo
	s_delay_alu instid0(VALU_DEP_2) | instskip(NEXT) | instid1(VALU_DEP_1)
	v_and_b32_e32 v64, 0x7f, v36
	v_cmpx_ne_u32_e32 0x7f, v64
	s_cbranch_execz .LBB168_87
; %bb.84:                               ;   in Loop: Header=BB168_12 Depth=1
	v_and_b32_e32 v36, 7, v36
	v_lshrrev_b32_e32 v62, 3, v64
	s_mov_b32 s45, exec_lo
	v_cmpx_gt_u32_e32 8, v64
; %bb.85:                               ;   in Loop: Header=BB168_12 Depth=1
	s_delay_alu instid0(VALU_DEP_3) | instskip(NEXT) | instid1(VALU_DEP_1)
	v_clz_i32_u32_e32 v62, v36
	v_min_u32_e32 v62, 32, v62
	s_delay_alu instid0(VALU_DEP_1) | instskip(NEXT) | instid1(VALU_DEP_1)
	v_subrev_nc_u32_e32 v64, 28, v62
	v_lshlrev_b64_e32 v[64:65], v64, v[36:37]
	s_delay_alu instid0(VALU_DEP_1)
	v_dual_sub_nc_u32 v62, 29, v62 :: v_dual_bitop2_b32 v36, 7, v64 bitop3:0x40
; %bb.86:                               ;   in Loop: Header=BB168_12 Depth=1
	s_or_b32 exec_lo, exec_lo, s45
	s_delay_alu instid0(VALU_DEP_1) | instskip(NEXT) | instid1(VALU_DEP_2)
	v_dual_lshlrev_b32 v63, 24, v63 :: v_dual_lshlrev_b32 v36, 20, v36
	v_lshl_add_u32 v62, v62, 23, 0x3c000000
	s_delay_alu instid0(VALU_DEP_2) | instskip(NEXT) | instid1(VALU_DEP_1)
	v_and_b32_e32 v63, 0x80000000, v63
	v_or3_b32 v62, v36, v63, v62
.LBB168_87:                             ;   in Loop: Header=BB168_12 Depth=1
	s_or_b32 exec_lo, exec_lo, s44
.LBB168_88:                             ;   in Loop: Header=BB168_12 Depth=1
	s_delay_alu instid0(SALU_CYCLE_1)
	s_or_b32 exec_lo, exec_lo, s43
.LBB168_89:                             ;   in Loop: Header=BB168_12 Depth=1
	s_delay_alu instid0(SALU_CYCLE_1)
	s_or_b32 exec_lo, exec_lo, s42
	global_load_u8 v63, v[44:45], off offset:260
	s_mov_b32 s42, exec_lo
	s_wait_loadcnt 0x0
	v_cmpx_ne_u16_e32 0, v63
	s_cbranch_execz .LBB168_97
; %bb.90:                               ;   in Loop: Header=BB168_12 Depth=1
	v_bfrev_b32_e32 v61, 1
	s_mov_b32 s43, exec_lo
	v_cmpx_ne_u16_e32 0x80, v63
	s_cbranch_execz .LBB168_96
; %bb.91:                               ;   in Loop: Header=BB168_12 Depth=1
	v_and_b32_e32 v36, 0xffff, v63
	v_mov_b32_e32 v61, 0x7f800001
	s_mov_b32 s44, exec_lo
	s_delay_alu instid0(VALU_DEP_2) | instskip(NEXT) | instid1(VALU_DEP_1)
	v_and_b32_e32 v64, 0x7f, v36
	v_cmpx_ne_u32_e32 0x7f, v64
	s_cbranch_execz .LBB168_95
; %bb.92:                               ;   in Loop: Header=BB168_12 Depth=1
	v_and_b32_e32 v36, 7, v36
	v_lshrrev_b32_e32 v61, 3, v64
	s_mov_b32 s45, exec_lo
	v_cmpx_gt_u32_e32 8, v64
; %bb.93:                               ;   in Loop: Header=BB168_12 Depth=1
	s_delay_alu instid0(VALU_DEP_3) | instskip(NEXT) | instid1(VALU_DEP_1)
	v_clz_i32_u32_e32 v61, v36
	v_min_u32_e32 v61, 32, v61
	s_delay_alu instid0(VALU_DEP_1) | instskip(NEXT) | instid1(VALU_DEP_1)
	v_subrev_nc_u32_e32 v64, 28, v61
	v_lshlrev_b64_e32 v[64:65], v64, v[36:37]
	s_delay_alu instid0(VALU_DEP_1)
	v_dual_sub_nc_u32 v61, 29, v61 :: v_dual_bitop2_b32 v36, 7, v64 bitop3:0x40
; %bb.94:                               ;   in Loop: Header=BB168_12 Depth=1
	s_or_b32 exec_lo, exec_lo, s45
	s_delay_alu instid0(VALU_DEP_1) | instskip(NEXT) | instid1(VALU_DEP_2)
	v_dual_lshlrev_b32 v63, 24, v63 :: v_dual_lshlrev_b32 v36, 20, v36
	v_lshl_add_u32 v61, v61, 23, 0x3c000000
	s_delay_alu instid0(VALU_DEP_2) | instskip(NEXT) | instid1(VALU_DEP_1)
	v_and_b32_e32 v63, 0x80000000, v63
	v_or3_b32 v61, v36, v63, v61
.LBB168_95:                             ;   in Loop: Header=BB168_12 Depth=1
	s_or_b32 exec_lo, exec_lo, s44
.LBB168_96:                             ;   in Loop: Header=BB168_12 Depth=1
	s_delay_alu instid0(SALU_CYCLE_1)
	s_or_b32 exec_lo, exec_lo, s43
.LBB168_97:                             ;   in Loop: Header=BB168_12 Depth=1
	s_delay_alu instid0(SALU_CYCLE_1)
	s_or_b32 exec_lo, exec_lo, s42
	global_load_u8 v65, v[44:45], off offset:264
	v_dual_mov_b32 v63, 0 :: v_dual_mov_b32 v64, 0
	s_mov_b32 s42, exec_lo
	s_wait_loadcnt 0x0
	v_cmpx_ne_u16_e32 0, v65
	s_cbranch_execz .LBB168_105
; %bb.98:                               ;   in Loop: Header=BB168_12 Depth=1
	v_bfrev_b32_e32 v64, 1
	s_mov_b32 s43, exec_lo
	v_cmpx_ne_u16_e32 0x80, v65
	s_cbranch_execz .LBB168_104
; %bb.99:                               ;   in Loop: Header=BB168_12 Depth=1
	v_and_b32_e32 v36, 0xffff, v65
	v_mov_b32_e32 v64, 0x7f800001
	s_mov_b32 s44, exec_lo
	s_delay_alu instid0(VALU_DEP_2) | instskip(NEXT) | instid1(VALU_DEP_1)
	v_and_b32_e32 v66, 0x7f, v36
	v_cmpx_ne_u32_e32 0x7f, v66
	s_cbranch_execz .LBB168_103
; %bb.100:                              ;   in Loop: Header=BB168_12 Depth=1
	v_dual_lshrrev_b32 v64, 3, v66 :: v_dual_bitop2_b32 v36, 7, v36 bitop3:0x40
	s_mov_b32 s45, exec_lo
	v_cmpx_gt_u32_e32 8, v66
; %bb.101:                              ;   in Loop: Header=BB168_12 Depth=1
	s_delay_alu instid0(VALU_DEP_2) | instskip(NEXT) | instid1(VALU_DEP_1)
	v_clz_i32_u32_e32 v64, v36
	v_min_u32_e32 v64, 32, v64
	s_delay_alu instid0(VALU_DEP_1) | instskip(NEXT) | instid1(VALU_DEP_1)
	v_subrev_nc_u32_e32 v66, 28, v64
	v_lshlrev_b64_e32 v[66:67], v66, v[36:37]
	s_delay_alu instid0(VALU_DEP_1)
	v_dual_sub_nc_u32 v64, 29, v64 :: v_dual_bitop2_b32 v36, 7, v66 bitop3:0x40
; %bb.102:                              ;   in Loop: Header=BB168_12 Depth=1
	s_or_b32 exec_lo, exec_lo, s45
	s_delay_alu instid0(VALU_DEP_1) | instskip(NEXT) | instid1(VALU_DEP_2)
	v_dual_lshlrev_b32 v65, 24, v65 :: v_dual_lshlrev_b32 v36, 20, v36
	v_lshl_add_u32 v64, v64, 23, 0x3c000000
	s_delay_alu instid0(VALU_DEP_2) | instskip(NEXT) | instid1(VALU_DEP_1)
	v_and_b32_e32 v65, 0x80000000, v65
	v_or3_b32 v64, v36, v65, v64
.LBB168_103:                            ;   in Loop: Header=BB168_12 Depth=1
	s_or_b32 exec_lo, exec_lo, s44
.LBB168_104:                            ;   in Loop: Header=BB168_12 Depth=1
	s_delay_alu instid0(SALU_CYCLE_1)
	s_or_b32 exec_lo, exec_lo, s43
.LBB168_105:                            ;   in Loop: Header=BB168_12 Depth=1
	s_delay_alu instid0(SALU_CYCLE_1)
	s_or_b32 exec_lo, exec_lo, s42
	global_load_u8 v65, v[44:45], off offset:268
	s_mov_b32 s42, exec_lo
	s_wait_loadcnt 0x0
	v_cmpx_ne_u16_e32 0, v65
	s_cbranch_execz .LBB168_113
; %bb.106:                              ;   in Loop: Header=BB168_12 Depth=1
	v_bfrev_b32_e32 v63, 1
	s_mov_b32 s43, exec_lo
	v_cmpx_ne_u16_e32 0x80, v65
	s_cbranch_execz .LBB168_112
; %bb.107:                              ;   in Loop: Header=BB168_12 Depth=1
	v_and_b32_e32 v36, 0xffff, v65
	v_mov_b32_e32 v63, 0x7f800001
	s_mov_b32 s44, exec_lo
	s_delay_alu instid0(VALU_DEP_2) | instskip(NEXT) | instid1(VALU_DEP_1)
	v_and_b32_e32 v66, 0x7f, v36
	v_cmpx_ne_u32_e32 0x7f, v66
	s_cbranch_execz .LBB168_111
; %bb.108:                              ;   in Loop: Header=BB168_12 Depth=1
	v_dual_lshrrev_b32 v63, 3, v66 :: v_dual_bitop2_b32 v36, 7, v36 bitop3:0x40
	s_mov_b32 s45, exec_lo
	v_cmpx_gt_u32_e32 8, v66
; %bb.109:                              ;   in Loop: Header=BB168_12 Depth=1
	s_delay_alu instid0(VALU_DEP_2) | instskip(NEXT) | instid1(VALU_DEP_1)
	v_clz_i32_u32_e32 v63, v36
	v_min_u32_e32 v63, 32, v63
	s_delay_alu instid0(VALU_DEP_1) | instskip(NEXT) | instid1(VALU_DEP_1)
	v_subrev_nc_u32_e32 v66, 28, v63
	v_lshlrev_b64_e32 v[66:67], v66, v[36:37]
	s_delay_alu instid0(VALU_DEP_1)
	v_dual_sub_nc_u32 v63, 29, v63 :: v_dual_bitop2_b32 v36, 7, v66 bitop3:0x40
; %bb.110:                              ;   in Loop: Header=BB168_12 Depth=1
	s_or_b32 exec_lo, exec_lo, s45
	s_delay_alu instid0(VALU_DEP_1) | instskip(NEXT) | instid1(VALU_DEP_2)
	v_dual_lshlrev_b32 v65, 24, v65 :: v_dual_lshlrev_b32 v36, 20, v36
	v_lshl_add_u32 v63, v63, 23, 0x3c000000
	s_delay_alu instid0(VALU_DEP_2) | instskip(NEXT) | instid1(VALU_DEP_1)
	v_and_b32_e32 v65, 0x80000000, v65
	v_or3_b32 v63, v36, v65, v63
.LBB168_111:                            ;   in Loop: Header=BB168_12 Depth=1
	s_or_b32 exec_lo, exec_lo, s44
.LBB168_112:                            ;   in Loop: Header=BB168_12 Depth=1
	s_delay_alu instid0(SALU_CYCLE_1)
	s_or_b32 exec_lo, exec_lo, s43
.LBB168_113:                            ;   in Loop: Header=BB168_12 Depth=1
	s_delay_alu instid0(SALU_CYCLE_1)
	s_or_b32 exec_lo, exec_lo, s42
	global_load_u8 v67, v[44:45], off offset:384
	v_dual_mov_b32 v65, 0 :: v_dual_mov_b32 v66, 0
	s_mov_b32 s42, exec_lo
	s_wait_loadcnt 0x0
	v_cmpx_ne_u16_e32 0, v67
	s_cbranch_execz .LBB168_121
; %bb.114:                              ;   in Loop: Header=BB168_12 Depth=1
	v_bfrev_b32_e32 v66, 1
	s_mov_b32 s43, exec_lo
	v_cmpx_ne_u16_e32 0x80, v67
	s_cbranch_execz .LBB168_120
; %bb.115:                              ;   in Loop: Header=BB168_12 Depth=1
	v_and_b32_e32 v36, 0xffff, v67
	v_mov_b32_e32 v66, 0x7f800001
	s_mov_b32 s44, exec_lo
	s_delay_alu instid0(VALU_DEP_2) | instskip(NEXT) | instid1(VALU_DEP_1)
	v_and_b32_e32 v68, 0x7f, v36
	v_cmpx_ne_u32_e32 0x7f, v68
	s_cbranch_execz .LBB168_119
; %bb.116:                              ;   in Loop: Header=BB168_12 Depth=1
	v_and_b32_e32 v36, 7, v36
	v_lshrrev_b32_e32 v66, 3, v68
	s_mov_b32 s45, exec_lo
	v_cmpx_gt_u32_e32 8, v68
; %bb.117:                              ;   in Loop: Header=BB168_12 Depth=1
	s_delay_alu instid0(VALU_DEP_3) | instskip(NEXT) | instid1(VALU_DEP_1)
	v_clz_i32_u32_e32 v66, v36
	v_min_u32_e32 v66, 32, v66
	s_delay_alu instid0(VALU_DEP_1) | instskip(NEXT) | instid1(VALU_DEP_1)
	v_subrev_nc_u32_e32 v68, 28, v66
	v_lshlrev_b64_e32 v[68:69], v68, v[36:37]
	s_delay_alu instid0(VALU_DEP_1)
	v_dual_sub_nc_u32 v66, 29, v66 :: v_dual_bitop2_b32 v36, 7, v68 bitop3:0x40
; %bb.118:                              ;   in Loop: Header=BB168_12 Depth=1
	s_or_b32 exec_lo, exec_lo, s45
	s_delay_alu instid0(VALU_DEP_1) | instskip(NEXT) | instid1(VALU_DEP_2)
	v_dual_lshlrev_b32 v67, 24, v67 :: v_dual_lshlrev_b32 v36, 20, v36
	v_lshl_add_u32 v66, v66, 23, 0x3c000000
	s_delay_alu instid0(VALU_DEP_2) | instskip(NEXT) | instid1(VALU_DEP_1)
	v_and_b32_e32 v67, 0x80000000, v67
	v_or3_b32 v66, v36, v67, v66
.LBB168_119:                            ;   in Loop: Header=BB168_12 Depth=1
	s_or_b32 exec_lo, exec_lo, s44
.LBB168_120:                            ;   in Loop: Header=BB168_12 Depth=1
	s_delay_alu instid0(SALU_CYCLE_1)
	s_or_b32 exec_lo, exec_lo, s43
.LBB168_121:                            ;   in Loop: Header=BB168_12 Depth=1
	s_delay_alu instid0(SALU_CYCLE_1)
	s_or_b32 exec_lo, exec_lo, s42
	global_load_u8 v67, v[44:45], off offset:388
	s_mov_b32 s42, exec_lo
	s_wait_loadcnt 0x0
	v_cmpx_ne_u16_e32 0, v67
	s_cbranch_execz .LBB168_129
; %bb.122:                              ;   in Loop: Header=BB168_12 Depth=1
	v_bfrev_b32_e32 v65, 1
	s_mov_b32 s43, exec_lo
	v_cmpx_ne_u16_e32 0x80, v67
	s_cbranch_execz .LBB168_128
; %bb.123:                              ;   in Loop: Header=BB168_12 Depth=1
	v_and_b32_e32 v36, 0xffff, v67
	v_mov_b32_e32 v65, 0x7f800001
	s_mov_b32 s44, exec_lo
	s_delay_alu instid0(VALU_DEP_2) | instskip(NEXT) | instid1(VALU_DEP_1)
	v_and_b32_e32 v68, 0x7f, v36
	v_cmpx_ne_u32_e32 0x7f, v68
	s_cbranch_execz .LBB168_127
; %bb.124:                              ;   in Loop: Header=BB168_12 Depth=1
	v_and_b32_e32 v36, 7, v36
	v_lshrrev_b32_e32 v65, 3, v68
	s_mov_b32 s45, exec_lo
	v_cmpx_gt_u32_e32 8, v68
; %bb.125:                              ;   in Loop: Header=BB168_12 Depth=1
	s_delay_alu instid0(VALU_DEP_3) | instskip(NEXT) | instid1(VALU_DEP_1)
	v_clz_i32_u32_e32 v65, v36
	v_min_u32_e32 v65, 32, v65
	s_delay_alu instid0(VALU_DEP_1) | instskip(NEXT) | instid1(VALU_DEP_1)
	v_subrev_nc_u32_e32 v68, 28, v65
	v_lshlrev_b64_e32 v[68:69], v68, v[36:37]
	s_delay_alu instid0(VALU_DEP_1)
	v_dual_sub_nc_u32 v65, 29, v65 :: v_dual_bitop2_b32 v36, 7, v68 bitop3:0x40
; %bb.126:                              ;   in Loop: Header=BB168_12 Depth=1
	s_or_b32 exec_lo, exec_lo, s45
	s_delay_alu instid0(VALU_DEP_1) | instskip(NEXT) | instid1(VALU_DEP_2)
	v_dual_lshlrev_b32 v67, 24, v67 :: v_dual_lshlrev_b32 v36, 20, v36
	v_lshl_add_u32 v65, v65, 23, 0x3c000000
	s_delay_alu instid0(VALU_DEP_2) | instskip(NEXT) | instid1(VALU_DEP_1)
	v_and_b32_e32 v67, 0x80000000, v67
	v_or3_b32 v65, v36, v67, v65
.LBB168_127:                            ;   in Loop: Header=BB168_12 Depth=1
	s_or_b32 exec_lo, exec_lo, s44
.LBB168_128:                            ;   in Loop: Header=BB168_12 Depth=1
	s_delay_alu instid0(SALU_CYCLE_1)
	s_or_b32 exec_lo, exec_lo, s43
.LBB168_129:                            ;   in Loop: Header=BB168_12 Depth=1
	s_delay_alu instid0(SALU_CYCLE_1)
	s_or_b32 exec_lo, exec_lo, s42
	global_load_u8 v69, v[44:45], off offset:392
	v_dual_mov_b32 v67, 0 :: v_dual_mov_b32 v68, 0
	s_mov_b32 s42, exec_lo
	s_wait_loadcnt 0x0
	v_cmpx_ne_u16_e32 0, v69
	s_cbranch_execz .LBB168_137
; %bb.130:                              ;   in Loop: Header=BB168_12 Depth=1
	v_bfrev_b32_e32 v68, 1
	s_mov_b32 s43, exec_lo
	v_cmpx_ne_u16_e32 0x80, v69
	s_cbranch_execz .LBB168_136
; %bb.131:                              ;   in Loop: Header=BB168_12 Depth=1
	v_and_b32_e32 v36, 0xffff, v69
	v_mov_b32_e32 v68, 0x7f800001
	s_mov_b32 s44, exec_lo
	s_delay_alu instid0(VALU_DEP_2) | instskip(NEXT) | instid1(VALU_DEP_1)
	v_and_b32_e32 v70, 0x7f, v36
	v_cmpx_ne_u32_e32 0x7f, v70
	s_cbranch_execz .LBB168_135
; %bb.132:                              ;   in Loop: Header=BB168_12 Depth=1
	v_dual_lshrrev_b32 v68, 3, v70 :: v_dual_bitop2_b32 v36, 7, v36 bitop3:0x40
	s_mov_b32 s45, exec_lo
	v_cmpx_gt_u32_e32 8, v70
; %bb.133:                              ;   in Loop: Header=BB168_12 Depth=1
	s_delay_alu instid0(VALU_DEP_2) | instskip(NEXT) | instid1(VALU_DEP_1)
	v_clz_i32_u32_e32 v68, v36
	v_min_u32_e32 v68, 32, v68
	s_delay_alu instid0(VALU_DEP_1) | instskip(NEXT) | instid1(VALU_DEP_1)
	v_subrev_nc_u32_e32 v70, 28, v68
	v_lshlrev_b64_e32 v[70:71], v70, v[36:37]
	s_delay_alu instid0(VALU_DEP_1)
	v_dual_sub_nc_u32 v68, 29, v68 :: v_dual_bitop2_b32 v36, 7, v70 bitop3:0x40
; %bb.134:                              ;   in Loop: Header=BB168_12 Depth=1
	s_or_b32 exec_lo, exec_lo, s45
	s_delay_alu instid0(VALU_DEP_1) | instskip(NEXT) | instid1(VALU_DEP_2)
	v_dual_lshlrev_b32 v69, 24, v69 :: v_dual_lshlrev_b32 v36, 20, v36
	v_lshl_add_u32 v68, v68, 23, 0x3c000000
	s_delay_alu instid0(VALU_DEP_2) | instskip(NEXT) | instid1(VALU_DEP_1)
	v_and_b32_e32 v69, 0x80000000, v69
	v_or3_b32 v68, v36, v69, v68
.LBB168_135:                            ;   in Loop: Header=BB168_12 Depth=1
	s_or_b32 exec_lo, exec_lo, s44
.LBB168_136:                            ;   in Loop: Header=BB168_12 Depth=1
	s_delay_alu instid0(SALU_CYCLE_1)
	s_or_b32 exec_lo, exec_lo, s43
.LBB168_137:                            ;   in Loop: Header=BB168_12 Depth=1
	s_delay_alu instid0(SALU_CYCLE_1)
	s_or_b32 exec_lo, exec_lo, s42
	global_load_u8 v69, v[44:45], off offset:396
	s_mov_b32 s42, exec_lo
	s_wait_loadcnt 0x0
	v_cmpx_ne_u16_e32 0, v69
	s_cbranch_execz .LBB168_145
; %bb.138:                              ;   in Loop: Header=BB168_12 Depth=1
	v_bfrev_b32_e32 v67, 1
	s_mov_b32 s43, exec_lo
	v_cmpx_ne_u16_e32 0x80, v69
	s_cbranch_execz .LBB168_144
; %bb.139:                              ;   in Loop: Header=BB168_12 Depth=1
	v_and_b32_e32 v36, 0xffff, v69
	v_mov_b32_e32 v67, 0x7f800001
	s_mov_b32 s44, exec_lo
	s_delay_alu instid0(VALU_DEP_2) | instskip(NEXT) | instid1(VALU_DEP_1)
	v_and_b32_e32 v70, 0x7f, v36
	v_cmpx_ne_u32_e32 0x7f, v70
	s_cbranch_execz .LBB168_143
; %bb.140:                              ;   in Loop: Header=BB168_12 Depth=1
	v_dual_lshrrev_b32 v67, 3, v70 :: v_dual_bitop2_b32 v36, 7, v36 bitop3:0x40
	s_mov_b32 s45, exec_lo
	v_cmpx_gt_u32_e32 8, v70
; %bb.141:                              ;   in Loop: Header=BB168_12 Depth=1
	s_delay_alu instid0(VALU_DEP_2) | instskip(NEXT) | instid1(VALU_DEP_1)
	v_clz_i32_u32_e32 v67, v36
	v_min_u32_e32 v67, 32, v67
	s_delay_alu instid0(VALU_DEP_1) | instskip(NEXT) | instid1(VALU_DEP_1)
	v_subrev_nc_u32_e32 v70, 28, v67
	v_lshlrev_b64_e32 v[70:71], v70, v[36:37]
	s_delay_alu instid0(VALU_DEP_1)
	v_dual_sub_nc_u32 v67, 29, v67 :: v_dual_bitop2_b32 v36, 7, v70 bitop3:0x40
; %bb.142:                              ;   in Loop: Header=BB168_12 Depth=1
	s_or_b32 exec_lo, exec_lo, s45
	s_delay_alu instid0(VALU_DEP_1) | instskip(NEXT) | instid1(VALU_DEP_2)
	v_dual_lshlrev_b32 v69, 24, v69 :: v_dual_lshlrev_b32 v36, 20, v36
	v_lshl_add_u32 v67, v67, 23, 0x3c000000
	s_delay_alu instid0(VALU_DEP_2) | instskip(NEXT) | instid1(VALU_DEP_1)
	v_and_b32_e32 v69, 0x80000000, v69
	v_or3_b32 v67, v36, v69, v67
.LBB168_143:                            ;   in Loop: Header=BB168_12 Depth=1
	s_or_b32 exec_lo, exec_lo, s44
.LBB168_144:                            ;   in Loop: Header=BB168_12 Depth=1
	s_delay_alu instid0(SALU_CYCLE_1)
	s_or_b32 exec_lo, exec_lo, s43
.LBB168_145:                            ;   in Loop: Header=BB168_12 Depth=1
	s_delay_alu instid0(SALU_CYCLE_1)
	s_or_b32 exec_lo, exec_lo, s42
	global_load_u8 v71, v[44:45], off offset:512
	v_dual_mov_b32 v69, 0 :: v_dual_mov_b32 v70, 0
	s_mov_b32 s42, exec_lo
	s_wait_loadcnt 0x0
	v_cmpx_ne_u16_e32 0, v71
	s_cbranch_execz .LBB168_153
; %bb.146:                              ;   in Loop: Header=BB168_12 Depth=1
	v_bfrev_b32_e32 v70, 1
	s_mov_b32 s43, exec_lo
	v_cmpx_ne_u16_e32 0x80, v71
	s_cbranch_execz .LBB168_152
; %bb.147:                              ;   in Loop: Header=BB168_12 Depth=1
	v_and_b32_e32 v36, 0xffff, v71
	v_mov_b32_e32 v70, 0x7f800001
	s_mov_b32 s44, exec_lo
	s_delay_alu instid0(VALU_DEP_2) | instskip(NEXT) | instid1(VALU_DEP_1)
	v_and_b32_e32 v72, 0x7f, v36
	v_cmpx_ne_u32_e32 0x7f, v72
	s_cbranch_execz .LBB168_151
; %bb.148:                              ;   in Loop: Header=BB168_12 Depth=1
	v_and_b32_e32 v36, 7, v36
	v_lshrrev_b32_e32 v70, 3, v72
	s_mov_b32 s45, exec_lo
	v_cmpx_gt_u32_e32 8, v72
; %bb.149:                              ;   in Loop: Header=BB168_12 Depth=1
	s_delay_alu instid0(VALU_DEP_3) | instskip(NEXT) | instid1(VALU_DEP_1)
	v_clz_i32_u32_e32 v70, v36
	v_min_u32_e32 v70, 32, v70
	s_delay_alu instid0(VALU_DEP_1) | instskip(NEXT) | instid1(VALU_DEP_1)
	v_subrev_nc_u32_e32 v72, 28, v70
	v_lshlrev_b64_e32 v[72:73], v72, v[36:37]
	s_delay_alu instid0(VALU_DEP_1)
	v_dual_sub_nc_u32 v70, 29, v70 :: v_dual_bitop2_b32 v36, 7, v72 bitop3:0x40
; %bb.150:                              ;   in Loop: Header=BB168_12 Depth=1
	s_or_b32 exec_lo, exec_lo, s45
	s_delay_alu instid0(VALU_DEP_1) | instskip(NEXT) | instid1(VALU_DEP_2)
	v_dual_lshlrev_b32 v71, 24, v71 :: v_dual_lshlrev_b32 v36, 20, v36
	v_lshl_add_u32 v70, v70, 23, 0x3c000000
	s_delay_alu instid0(VALU_DEP_2) | instskip(NEXT) | instid1(VALU_DEP_1)
	v_and_b32_e32 v71, 0x80000000, v71
	v_or3_b32 v70, v36, v71, v70
.LBB168_151:                            ;   in Loop: Header=BB168_12 Depth=1
	s_or_b32 exec_lo, exec_lo, s44
.LBB168_152:                            ;   in Loop: Header=BB168_12 Depth=1
	s_delay_alu instid0(SALU_CYCLE_1)
	s_or_b32 exec_lo, exec_lo, s43
.LBB168_153:                            ;   in Loop: Header=BB168_12 Depth=1
	s_delay_alu instid0(SALU_CYCLE_1)
	s_or_b32 exec_lo, exec_lo, s42
	global_load_u8 v71, v[44:45], off offset:516
	s_mov_b32 s42, exec_lo
	s_wait_loadcnt 0x0
	v_cmpx_ne_u16_e32 0, v71
	s_cbranch_execz .LBB168_161
; %bb.154:                              ;   in Loop: Header=BB168_12 Depth=1
	v_bfrev_b32_e32 v69, 1
	s_mov_b32 s43, exec_lo
	v_cmpx_ne_u16_e32 0x80, v71
	s_cbranch_execz .LBB168_160
; %bb.155:                              ;   in Loop: Header=BB168_12 Depth=1
	v_and_b32_e32 v36, 0xffff, v71
	v_mov_b32_e32 v69, 0x7f800001
	s_mov_b32 s44, exec_lo
	s_delay_alu instid0(VALU_DEP_2) | instskip(NEXT) | instid1(VALU_DEP_1)
	v_and_b32_e32 v72, 0x7f, v36
	v_cmpx_ne_u32_e32 0x7f, v72
	s_cbranch_execz .LBB168_159
; %bb.156:                              ;   in Loop: Header=BB168_12 Depth=1
	v_and_b32_e32 v36, 7, v36
	v_lshrrev_b32_e32 v69, 3, v72
	s_mov_b32 s45, exec_lo
	v_cmpx_gt_u32_e32 8, v72
; %bb.157:                              ;   in Loop: Header=BB168_12 Depth=1
	s_delay_alu instid0(VALU_DEP_3) | instskip(NEXT) | instid1(VALU_DEP_1)
	v_clz_i32_u32_e32 v69, v36
	v_min_u32_e32 v69, 32, v69
	s_delay_alu instid0(VALU_DEP_1) | instskip(NEXT) | instid1(VALU_DEP_1)
	v_subrev_nc_u32_e32 v72, 28, v69
	v_lshlrev_b64_e32 v[72:73], v72, v[36:37]
	s_delay_alu instid0(VALU_DEP_1)
	v_dual_sub_nc_u32 v69, 29, v69 :: v_dual_bitop2_b32 v36, 7, v72 bitop3:0x40
; %bb.158:                              ;   in Loop: Header=BB168_12 Depth=1
	s_or_b32 exec_lo, exec_lo, s45
	s_delay_alu instid0(VALU_DEP_1) | instskip(NEXT) | instid1(VALU_DEP_2)
	v_dual_lshlrev_b32 v71, 24, v71 :: v_dual_lshlrev_b32 v36, 20, v36
	v_lshl_add_u32 v69, v69, 23, 0x3c000000
	s_delay_alu instid0(VALU_DEP_2) | instskip(NEXT) | instid1(VALU_DEP_1)
	v_and_b32_e32 v71, 0x80000000, v71
	v_or3_b32 v69, v36, v71, v69
.LBB168_159:                            ;   in Loop: Header=BB168_12 Depth=1
	s_or_b32 exec_lo, exec_lo, s44
.LBB168_160:                            ;   in Loop: Header=BB168_12 Depth=1
	s_delay_alu instid0(SALU_CYCLE_1)
	s_or_b32 exec_lo, exec_lo, s43
.LBB168_161:                            ;   in Loop: Header=BB168_12 Depth=1
	s_delay_alu instid0(SALU_CYCLE_1)
	s_or_b32 exec_lo, exec_lo, s42
	global_load_u8 v73, v[44:45], off offset:520
	v_dual_mov_b32 v71, 0 :: v_dual_mov_b32 v72, 0
	s_mov_b32 s42, exec_lo
	s_wait_loadcnt 0x0
	v_cmpx_ne_u16_e32 0, v73
	s_cbranch_execz .LBB168_169
; %bb.162:                              ;   in Loop: Header=BB168_12 Depth=1
	v_bfrev_b32_e32 v72, 1
	s_mov_b32 s43, exec_lo
	v_cmpx_ne_u16_e32 0x80, v73
	s_cbranch_execz .LBB168_168
; %bb.163:                              ;   in Loop: Header=BB168_12 Depth=1
	v_and_b32_e32 v36, 0xffff, v73
	v_mov_b32_e32 v72, 0x7f800001
	s_mov_b32 s44, exec_lo
	s_delay_alu instid0(VALU_DEP_2) | instskip(NEXT) | instid1(VALU_DEP_1)
	v_and_b32_e32 v74, 0x7f, v36
	v_cmpx_ne_u32_e32 0x7f, v74
	s_cbranch_execz .LBB168_167
; %bb.164:                              ;   in Loop: Header=BB168_12 Depth=1
	v_dual_lshrrev_b32 v72, 3, v74 :: v_dual_bitop2_b32 v36, 7, v36 bitop3:0x40
	s_mov_b32 s45, exec_lo
	v_cmpx_gt_u32_e32 8, v74
; %bb.165:                              ;   in Loop: Header=BB168_12 Depth=1
	s_delay_alu instid0(VALU_DEP_2) | instskip(NEXT) | instid1(VALU_DEP_1)
	v_clz_i32_u32_e32 v72, v36
	v_min_u32_e32 v72, 32, v72
	s_delay_alu instid0(VALU_DEP_1) | instskip(NEXT) | instid1(VALU_DEP_1)
	v_subrev_nc_u32_e32 v74, 28, v72
	v_lshlrev_b64_e32 v[74:75], v74, v[36:37]
	s_delay_alu instid0(VALU_DEP_1)
	v_dual_sub_nc_u32 v72, 29, v72 :: v_dual_bitop2_b32 v36, 7, v74 bitop3:0x40
; %bb.166:                              ;   in Loop: Header=BB168_12 Depth=1
	s_or_b32 exec_lo, exec_lo, s45
	s_delay_alu instid0(VALU_DEP_1) | instskip(NEXT) | instid1(VALU_DEP_2)
	v_dual_lshlrev_b32 v73, 24, v73 :: v_dual_lshlrev_b32 v36, 20, v36
	v_lshl_add_u32 v72, v72, 23, 0x3c000000
	s_delay_alu instid0(VALU_DEP_2) | instskip(NEXT) | instid1(VALU_DEP_1)
	v_and_b32_e32 v73, 0x80000000, v73
	v_or3_b32 v72, v36, v73, v72
.LBB168_167:                            ;   in Loop: Header=BB168_12 Depth=1
	s_or_b32 exec_lo, exec_lo, s44
.LBB168_168:                            ;   in Loop: Header=BB168_12 Depth=1
	s_delay_alu instid0(SALU_CYCLE_1)
	s_or_b32 exec_lo, exec_lo, s43
.LBB168_169:                            ;   in Loop: Header=BB168_12 Depth=1
	s_delay_alu instid0(SALU_CYCLE_1)
	s_or_b32 exec_lo, exec_lo, s42
	global_load_u8 v73, v[44:45], off offset:524
	s_mov_b32 s42, exec_lo
	s_wait_loadcnt 0x0
	v_cmpx_ne_u16_e32 0, v73
	s_cbranch_execz .LBB168_177
; %bb.170:                              ;   in Loop: Header=BB168_12 Depth=1
	v_bfrev_b32_e32 v71, 1
	s_mov_b32 s43, exec_lo
	v_cmpx_ne_u16_e32 0x80, v73
	s_cbranch_execz .LBB168_176
; %bb.171:                              ;   in Loop: Header=BB168_12 Depth=1
	v_and_b32_e32 v36, 0xffff, v73
	v_mov_b32_e32 v71, 0x7f800001
	s_mov_b32 s44, exec_lo
	s_delay_alu instid0(VALU_DEP_2) | instskip(NEXT) | instid1(VALU_DEP_1)
	v_and_b32_e32 v74, 0x7f, v36
	v_cmpx_ne_u32_e32 0x7f, v74
	s_cbranch_execz .LBB168_175
; %bb.172:                              ;   in Loop: Header=BB168_12 Depth=1
	v_dual_lshrrev_b32 v71, 3, v74 :: v_dual_bitop2_b32 v36, 7, v36 bitop3:0x40
	s_mov_b32 s45, exec_lo
	v_cmpx_gt_u32_e32 8, v74
; %bb.173:                              ;   in Loop: Header=BB168_12 Depth=1
	s_delay_alu instid0(VALU_DEP_2) | instskip(NEXT) | instid1(VALU_DEP_1)
	v_clz_i32_u32_e32 v71, v36
	v_min_u32_e32 v71, 32, v71
	s_delay_alu instid0(VALU_DEP_1) | instskip(NEXT) | instid1(VALU_DEP_1)
	v_subrev_nc_u32_e32 v74, 28, v71
	v_lshlrev_b64_e32 v[74:75], v74, v[36:37]
	s_delay_alu instid0(VALU_DEP_1)
	v_dual_sub_nc_u32 v71, 29, v71 :: v_dual_bitop2_b32 v36, 7, v74 bitop3:0x40
; %bb.174:                              ;   in Loop: Header=BB168_12 Depth=1
	s_or_b32 exec_lo, exec_lo, s45
	s_delay_alu instid0(VALU_DEP_1) | instskip(NEXT) | instid1(VALU_DEP_2)
	v_dual_lshlrev_b32 v73, 24, v73 :: v_dual_lshlrev_b32 v36, 20, v36
	v_lshl_add_u32 v71, v71, 23, 0x3c000000
	s_delay_alu instid0(VALU_DEP_2) | instskip(NEXT) | instid1(VALU_DEP_1)
	v_and_b32_e32 v73, 0x80000000, v73
	v_or3_b32 v71, v36, v73, v71
.LBB168_175:                            ;   in Loop: Header=BB168_12 Depth=1
	s_or_b32 exec_lo, exec_lo, s44
.LBB168_176:                            ;   in Loop: Header=BB168_12 Depth=1
	s_delay_alu instid0(SALU_CYCLE_1)
	s_or_b32 exec_lo, exec_lo, s43
.LBB168_177:                            ;   in Loop: Header=BB168_12 Depth=1
	s_delay_alu instid0(SALU_CYCLE_1)
	s_or_b32 exec_lo, exec_lo, s42
	global_load_u8 v75, v[44:45], off offset:640
	v_dual_mov_b32 v73, 0 :: v_dual_mov_b32 v74, 0
	s_mov_b32 s42, exec_lo
	s_wait_loadcnt 0x0
	v_cmpx_ne_u16_e32 0, v75
	s_cbranch_execz .LBB168_185
; %bb.178:                              ;   in Loop: Header=BB168_12 Depth=1
	v_bfrev_b32_e32 v74, 1
	s_mov_b32 s43, exec_lo
	v_cmpx_ne_u16_e32 0x80, v75
	s_cbranch_execz .LBB168_184
; %bb.179:                              ;   in Loop: Header=BB168_12 Depth=1
	v_and_b32_e32 v36, 0xffff, v75
	v_mov_b32_e32 v74, 0x7f800001
	s_mov_b32 s44, exec_lo
	s_delay_alu instid0(VALU_DEP_2) | instskip(NEXT) | instid1(VALU_DEP_1)
	v_and_b32_e32 v76, 0x7f, v36
	v_cmpx_ne_u32_e32 0x7f, v76
	s_cbranch_execz .LBB168_183
; %bb.180:                              ;   in Loop: Header=BB168_12 Depth=1
	v_and_b32_e32 v36, 7, v36
	v_lshrrev_b32_e32 v74, 3, v76
	s_mov_b32 s45, exec_lo
	v_cmpx_gt_u32_e32 8, v76
; %bb.181:                              ;   in Loop: Header=BB168_12 Depth=1
	s_delay_alu instid0(VALU_DEP_3) | instskip(NEXT) | instid1(VALU_DEP_1)
	v_clz_i32_u32_e32 v74, v36
	v_min_u32_e32 v74, 32, v74
	s_delay_alu instid0(VALU_DEP_1) | instskip(NEXT) | instid1(VALU_DEP_1)
	v_subrev_nc_u32_e32 v76, 28, v74
	v_lshlrev_b64_e32 v[76:77], v76, v[36:37]
	s_delay_alu instid0(VALU_DEP_1)
	v_dual_sub_nc_u32 v74, 29, v74 :: v_dual_bitop2_b32 v36, 7, v76 bitop3:0x40
; %bb.182:                              ;   in Loop: Header=BB168_12 Depth=1
	s_or_b32 exec_lo, exec_lo, s45
	s_delay_alu instid0(VALU_DEP_1) | instskip(NEXT) | instid1(VALU_DEP_2)
	v_dual_lshlrev_b32 v75, 24, v75 :: v_dual_lshlrev_b32 v36, 20, v36
	v_lshl_add_u32 v74, v74, 23, 0x3c000000
	s_delay_alu instid0(VALU_DEP_2) | instskip(NEXT) | instid1(VALU_DEP_1)
	v_and_b32_e32 v75, 0x80000000, v75
	v_or3_b32 v74, v36, v75, v74
.LBB168_183:                            ;   in Loop: Header=BB168_12 Depth=1
	s_or_b32 exec_lo, exec_lo, s44
.LBB168_184:                            ;   in Loop: Header=BB168_12 Depth=1
	s_delay_alu instid0(SALU_CYCLE_1)
	s_or_b32 exec_lo, exec_lo, s43
.LBB168_185:                            ;   in Loop: Header=BB168_12 Depth=1
	s_delay_alu instid0(SALU_CYCLE_1)
	s_or_b32 exec_lo, exec_lo, s42
	global_load_u8 v75, v[44:45], off offset:644
	s_mov_b32 s42, exec_lo
	s_wait_loadcnt 0x0
	v_cmpx_ne_u16_e32 0, v75
	s_cbranch_execz .LBB168_193
; %bb.186:                              ;   in Loop: Header=BB168_12 Depth=1
	v_bfrev_b32_e32 v73, 1
	s_mov_b32 s43, exec_lo
	v_cmpx_ne_u16_e32 0x80, v75
	s_cbranch_execz .LBB168_192
; %bb.187:                              ;   in Loop: Header=BB168_12 Depth=1
	v_and_b32_e32 v36, 0xffff, v75
	v_mov_b32_e32 v73, 0x7f800001
	s_mov_b32 s44, exec_lo
	s_delay_alu instid0(VALU_DEP_2) | instskip(NEXT) | instid1(VALU_DEP_1)
	v_and_b32_e32 v76, 0x7f, v36
	v_cmpx_ne_u32_e32 0x7f, v76
	s_cbranch_execz .LBB168_191
; %bb.188:                              ;   in Loop: Header=BB168_12 Depth=1
	v_and_b32_e32 v36, 7, v36
	v_lshrrev_b32_e32 v73, 3, v76
	s_mov_b32 s45, exec_lo
	v_cmpx_gt_u32_e32 8, v76
; %bb.189:                              ;   in Loop: Header=BB168_12 Depth=1
	s_delay_alu instid0(VALU_DEP_3) | instskip(NEXT) | instid1(VALU_DEP_1)
	v_clz_i32_u32_e32 v73, v36
	v_min_u32_e32 v73, 32, v73
	s_delay_alu instid0(VALU_DEP_1) | instskip(NEXT) | instid1(VALU_DEP_1)
	v_subrev_nc_u32_e32 v76, 28, v73
	v_lshlrev_b64_e32 v[76:77], v76, v[36:37]
	s_delay_alu instid0(VALU_DEP_1)
	v_dual_sub_nc_u32 v73, 29, v73 :: v_dual_bitop2_b32 v36, 7, v76 bitop3:0x40
; %bb.190:                              ;   in Loop: Header=BB168_12 Depth=1
	s_or_b32 exec_lo, exec_lo, s45
	s_delay_alu instid0(VALU_DEP_1) | instskip(NEXT) | instid1(VALU_DEP_2)
	v_dual_lshlrev_b32 v75, 24, v75 :: v_dual_lshlrev_b32 v36, 20, v36
	v_lshl_add_u32 v73, v73, 23, 0x3c000000
	s_delay_alu instid0(VALU_DEP_2) | instskip(NEXT) | instid1(VALU_DEP_1)
	v_and_b32_e32 v75, 0x80000000, v75
	v_or3_b32 v73, v36, v75, v73
.LBB168_191:                            ;   in Loop: Header=BB168_12 Depth=1
	s_or_b32 exec_lo, exec_lo, s44
.LBB168_192:                            ;   in Loop: Header=BB168_12 Depth=1
	s_delay_alu instid0(SALU_CYCLE_1)
	s_or_b32 exec_lo, exec_lo, s43
.LBB168_193:                            ;   in Loop: Header=BB168_12 Depth=1
	s_delay_alu instid0(SALU_CYCLE_1)
	s_or_b32 exec_lo, exec_lo, s42
	global_load_u8 v77, v[44:45], off offset:648
	v_dual_mov_b32 v75, 0 :: v_dual_mov_b32 v76, 0
	s_mov_b32 s42, exec_lo
	s_wait_loadcnt 0x0
	v_cmpx_ne_u16_e32 0, v77
	s_cbranch_execz .LBB168_201
; %bb.194:                              ;   in Loop: Header=BB168_12 Depth=1
	v_bfrev_b32_e32 v76, 1
	s_mov_b32 s43, exec_lo
	v_cmpx_ne_u16_e32 0x80, v77
	s_cbranch_execz .LBB168_200
; %bb.195:                              ;   in Loop: Header=BB168_12 Depth=1
	v_and_b32_e32 v36, 0xffff, v77
	v_mov_b32_e32 v76, 0x7f800001
	s_mov_b32 s44, exec_lo
	s_delay_alu instid0(VALU_DEP_2) | instskip(NEXT) | instid1(VALU_DEP_1)
	v_and_b32_e32 v78, 0x7f, v36
	v_cmpx_ne_u32_e32 0x7f, v78
	s_cbranch_execz .LBB168_199
; %bb.196:                              ;   in Loop: Header=BB168_12 Depth=1
	v_dual_lshrrev_b32 v76, 3, v78 :: v_dual_bitop2_b32 v36, 7, v36 bitop3:0x40
	s_mov_b32 s45, exec_lo
	v_cmpx_gt_u32_e32 8, v78
; %bb.197:                              ;   in Loop: Header=BB168_12 Depth=1
	s_delay_alu instid0(VALU_DEP_2) | instskip(NEXT) | instid1(VALU_DEP_1)
	v_clz_i32_u32_e32 v76, v36
	v_min_u32_e32 v76, 32, v76
	s_delay_alu instid0(VALU_DEP_1) | instskip(NEXT) | instid1(VALU_DEP_1)
	v_subrev_nc_u32_e32 v78, 28, v76
	v_lshlrev_b64_e32 v[78:79], v78, v[36:37]
	s_delay_alu instid0(VALU_DEP_1)
	v_dual_sub_nc_u32 v76, 29, v76 :: v_dual_bitop2_b32 v36, 7, v78 bitop3:0x40
; %bb.198:                              ;   in Loop: Header=BB168_12 Depth=1
	s_or_b32 exec_lo, exec_lo, s45
	s_delay_alu instid0(VALU_DEP_1) | instskip(NEXT) | instid1(VALU_DEP_2)
	v_dual_lshlrev_b32 v77, 24, v77 :: v_dual_lshlrev_b32 v36, 20, v36
	v_lshl_add_u32 v76, v76, 23, 0x3c000000
	s_delay_alu instid0(VALU_DEP_2) | instskip(NEXT) | instid1(VALU_DEP_1)
	v_and_b32_e32 v77, 0x80000000, v77
	v_or3_b32 v76, v36, v77, v76
.LBB168_199:                            ;   in Loop: Header=BB168_12 Depth=1
	s_or_b32 exec_lo, exec_lo, s44
.LBB168_200:                            ;   in Loop: Header=BB168_12 Depth=1
	s_delay_alu instid0(SALU_CYCLE_1)
	s_or_b32 exec_lo, exec_lo, s43
.LBB168_201:                            ;   in Loop: Header=BB168_12 Depth=1
	s_delay_alu instid0(SALU_CYCLE_1)
	s_or_b32 exec_lo, exec_lo, s42
	global_load_u8 v77, v[44:45], off offset:652
	s_mov_b32 s42, exec_lo
	s_wait_loadcnt 0x0
	v_cmpx_ne_u16_e32 0, v77
	s_cbranch_execz .LBB168_209
; %bb.202:                              ;   in Loop: Header=BB168_12 Depth=1
	v_bfrev_b32_e32 v75, 1
	s_mov_b32 s43, exec_lo
	v_cmpx_ne_u16_e32 0x80, v77
	s_cbranch_execz .LBB168_208
; %bb.203:                              ;   in Loop: Header=BB168_12 Depth=1
	v_and_b32_e32 v36, 0xffff, v77
	v_mov_b32_e32 v75, 0x7f800001
	s_mov_b32 s44, exec_lo
	s_delay_alu instid0(VALU_DEP_2) | instskip(NEXT) | instid1(VALU_DEP_1)
	v_and_b32_e32 v78, 0x7f, v36
	v_cmpx_ne_u32_e32 0x7f, v78
	s_cbranch_execz .LBB168_207
; %bb.204:                              ;   in Loop: Header=BB168_12 Depth=1
	v_dual_lshrrev_b32 v75, 3, v78 :: v_dual_bitop2_b32 v36, 7, v36 bitop3:0x40
	s_mov_b32 s45, exec_lo
	v_cmpx_gt_u32_e32 8, v78
; %bb.205:                              ;   in Loop: Header=BB168_12 Depth=1
	s_delay_alu instid0(VALU_DEP_2) | instskip(NEXT) | instid1(VALU_DEP_1)
	v_clz_i32_u32_e32 v75, v36
	v_min_u32_e32 v75, 32, v75
	s_delay_alu instid0(VALU_DEP_1) | instskip(NEXT) | instid1(VALU_DEP_1)
	v_subrev_nc_u32_e32 v78, 28, v75
	v_lshlrev_b64_e32 v[78:79], v78, v[36:37]
	s_delay_alu instid0(VALU_DEP_1)
	v_dual_sub_nc_u32 v75, 29, v75 :: v_dual_bitop2_b32 v36, 7, v78 bitop3:0x40
; %bb.206:                              ;   in Loop: Header=BB168_12 Depth=1
	s_or_b32 exec_lo, exec_lo, s45
	s_delay_alu instid0(VALU_DEP_1) | instskip(NEXT) | instid1(VALU_DEP_2)
	v_dual_lshlrev_b32 v77, 24, v77 :: v_dual_lshlrev_b32 v36, 20, v36
	v_lshl_add_u32 v75, v75, 23, 0x3c000000
	s_delay_alu instid0(VALU_DEP_2) | instskip(NEXT) | instid1(VALU_DEP_1)
	v_and_b32_e32 v77, 0x80000000, v77
	v_or3_b32 v75, v36, v77, v75
.LBB168_207:                            ;   in Loop: Header=BB168_12 Depth=1
	s_or_b32 exec_lo, exec_lo, s44
.LBB168_208:                            ;   in Loop: Header=BB168_12 Depth=1
	s_delay_alu instid0(SALU_CYCLE_1)
	s_or_b32 exec_lo, exec_lo, s43
.LBB168_209:                            ;   in Loop: Header=BB168_12 Depth=1
	s_delay_alu instid0(SALU_CYCLE_1)
	s_or_b32 exec_lo, exec_lo, s42
	global_load_u8 v79, v[44:45], off offset:768
	v_dual_mov_b32 v77, 0 :: v_dual_mov_b32 v78, 0
	s_mov_b32 s42, exec_lo
	s_wait_loadcnt 0x0
	v_cmpx_ne_u16_e32 0, v79
	s_cbranch_execz .LBB168_217
; %bb.210:                              ;   in Loop: Header=BB168_12 Depth=1
	v_bfrev_b32_e32 v78, 1
	s_mov_b32 s43, exec_lo
	v_cmpx_ne_u16_e32 0x80, v79
	s_cbranch_execz .LBB168_216
; %bb.211:                              ;   in Loop: Header=BB168_12 Depth=1
	v_and_b32_e32 v36, 0xffff, v79
	v_mov_b32_e32 v78, 0x7f800001
	s_mov_b32 s44, exec_lo
	s_delay_alu instid0(VALU_DEP_2) | instskip(NEXT) | instid1(VALU_DEP_1)
	v_and_b32_e32 v80, 0x7f, v36
	v_cmpx_ne_u32_e32 0x7f, v80
	s_cbranch_execz .LBB168_215
; %bb.212:                              ;   in Loop: Header=BB168_12 Depth=1
	v_and_b32_e32 v36, 7, v36
	v_lshrrev_b32_e32 v78, 3, v80
	s_mov_b32 s45, exec_lo
	v_cmpx_gt_u32_e32 8, v80
; %bb.213:                              ;   in Loop: Header=BB168_12 Depth=1
	s_delay_alu instid0(VALU_DEP_3) | instskip(NEXT) | instid1(VALU_DEP_1)
	v_clz_i32_u32_e32 v78, v36
	v_min_u32_e32 v78, 32, v78
	s_delay_alu instid0(VALU_DEP_1) | instskip(NEXT) | instid1(VALU_DEP_1)
	v_subrev_nc_u32_e32 v80, 28, v78
	v_lshlrev_b64_e32 v[80:81], v80, v[36:37]
	s_delay_alu instid0(VALU_DEP_1)
	v_dual_sub_nc_u32 v78, 29, v78 :: v_dual_bitop2_b32 v36, 7, v80 bitop3:0x40
; %bb.214:                              ;   in Loop: Header=BB168_12 Depth=1
	s_or_b32 exec_lo, exec_lo, s45
	s_delay_alu instid0(VALU_DEP_1) | instskip(NEXT) | instid1(VALU_DEP_2)
	v_dual_lshlrev_b32 v79, 24, v79 :: v_dual_lshlrev_b32 v36, 20, v36
	v_lshl_add_u32 v78, v78, 23, 0x3c000000
	s_delay_alu instid0(VALU_DEP_2) | instskip(NEXT) | instid1(VALU_DEP_1)
	v_and_b32_e32 v79, 0x80000000, v79
	v_or3_b32 v78, v36, v79, v78
.LBB168_215:                            ;   in Loop: Header=BB168_12 Depth=1
	s_or_b32 exec_lo, exec_lo, s44
.LBB168_216:                            ;   in Loop: Header=BB168_12 Depth=1
	s_delay_alu instid0(SALU_CYCLE_1)
	s_or_b32 exec_lo, exec_lo, s43
.LBB168_217:                            ;   in Loop: Header=BB168_12 Depth=1
	s_delay_alu instid0(SALU_CYCLE_1)
	s_or_b32 exec_lo, exec_lo, s42
	global_load_u8 v79, v[44:45], off offset:772
	s_mov_b32 s42, exec_lo
	s_wait_loadcnt 0x0
	v_cmpx_ne_u16_e32 0, v79
	s_cbranch_execz .LBB168_225
; %bb.218:                              ;   in Loop: Header=BB168_12 Depth=1
	v_bfrev_b32_e32 v77, 1
	s_mov_b32 s43, exec_lo
	v_cmpx_ne_u16_e32 0x80, v79
	s_cbranch_execz .LBB168_224
; %bb.219:                              ;   in Loop: Header=BB168_12 Depth=1
	v_and_b32_e32 v36, 0xffff, v79
	v_mov_b32_e32 v77, 0x7f800001
	s_mov_b32 s44, exec_lo
	s_delay_alu instid0(VALU_DEP_2) | instskip(NEXT) | instid1(VALU_DEP_1)
	v_and_b32_e32 v80, 0x7f, v36
	v_cmpx_ne_u32_e32 0x7f, v80
	s_cbranch_execz .LBB168_223
; %bb.220:                              ;   in Loop: Header=BB168_12 Depth=1
	v_and_b32_e32 v36, 7, v36
	v_lshrrev_b32_e32 v77, 3, v80
	s_mov_b32 s45, exec_lo
	v_cmpx_gt_u32_e32 8, v80
; %bb.221:                              ;   in Loop: Header=BB168_12 Depth=1
	s_delay_alu instid0(VALU_DEP_3) | instskip(NEXT) | instid1(VALU_DEP_1)
	v_clz_i32_u32_e32 v77, v36
	v_min_u32_e32 v77, 32, v77
	s_delay_alu instid0(VALU_DEP_1) | instskip(NEXT) | instid1(VALU_DEP_1)
	v_subrev_nc_u32_e32 v80, 28, v77
	v_lshlrev_b64_e32 v[80:81], v80, v[36:37]
	s_delay_alu instid0(VALU_DEP_1)
	v_dual_sub_nc_u32 v77, 29, v77 :: v_dual_bitop2_b32 v36, 7, v80 bitop3:0x40
; %bb.222:                              ;   in Loop: Header=BB168_12 Depth=1
	s_or_b32 exec_lo, exec_lo, s45
	s_delay_alu instid0(VALU_DEP_1) | instskip(NEXT) | instid1(VALU_DEP_2)
	v_dual_lshlrev_b32 v79, 24, v79 :: v_dual_lshlrev_b32 v36, 20, v36
	v_lshl_add_u32 v77, v77, 23, 0x3c000000
	s_delay_alu instid0(VALU_DEP_2) | instskip(NEXT) | instid1(VALU_DEP_1)
	v_and_b32_e32 v79, 0x80000000, v79
	v_or3_b32 v77, v36, v79, v77
.LBB168_223:                            ;   in Loop: Header=BB168_12 Depth=1
	s_or_b32 exec_lo, exec_lo, s44
.LBB168_224:                            ;   in Loop: Header=BB168_12 Depth=1
	s_delay_alu instid0(SALU_CYCLE_1)
	s_or_b32 exec_lo, exec_lo, s43
.LBB168_225:                            ;   in Loop: Header=BB168_12 Depth=1
	s_delay_alu instid0(SALU_CYCLE_1)
	s_or_b32 exec_lo, exec_lo, s42
	global_load_u8 v81, v[44:45], off offset:776
	v_dual_mov_b32 v79, 0 :: v_dual_mov_b32 v80, 0
	s_mov_b32 s42, exec_lo
	s_wait_loadcnt 0x0
	v_cmpx_ne_u16_e32 0, v81
	s_cbranch_execz .LBB168_233
; %bb.226:                              ;   in Loop: Header=BB168_12 Depth=1
	v_bfrev_b32_e32 v80, 1
	s_mov_b32 s43, exec_lo
	v_cmpx_ne_u16_e32 0x80, v81
	s_cbranch_execz .LBB168_232
; %bb.227:                              ;   in Loop: Header=BB168_12 Depth=1
	v_and_b32_e32 v36, 0xffff, v81
	v_mov_b32_e32 v80, 0x7f800001
	s_mov_b32 s44, exec_lo
	s_delay_alu instid0(VALU_DEP_2) | instskip(NEXT) | instid1(VALU_DEP_1)
	v_and_b32_e32 v82, 0x7f, v36
	v_cmpx_ne_u32_e32 0x7f, v82
	s_cbranch_execz .LBB168_231
; %bb.228:                              ;   in Loop: Header=BB168_12 Depth=1
	v_dual_lshrrev_b32 v80, 3, v82 :: v_dual_bitop2_b32 v36, 7, v36 bitop3:0x40
	s_mov_b32 s45, exec_lo
	v_cmpx_gt_u32_e32 8, v82
; %bb.229:                              ;   in Loop: Header=BB168_12 Depth=1
	s_delay_alu instid0(VALU_DEP_2) | instskip(NEXT) | instid1(VALU_DEP_1)
	v_clz_i32_u32_e32 v80, v36
	v_min_u32_e32 v80, 32, v80
	s_delay_alu instid0(VALU_DEP_1) | instskip(NEXT) | instid1(VALU_DEP_1)
	v_subrev_nc_u32_e32 v82, 28, v80
	v_lshlrev_b64_e32 v[82:83], v82, v[36:37]
	s_delay_alu instid0(VALU_DEP_1)
	v_dual_sub_nc_u32 v80, 29, v80 :: v_dual_bitop2_b32 v36, 7, v82 bitop3:0x40
; %bb.230:                              ;   in Loop: Header=BB168_12 Depth=1
	s_or_b32 exec_lo, exec_lo, s45
	s_delay_alu instid0(VALU_DEP_1) | instskip(NEXT) | instid1(VALU_DEP_2)
	v_dual_lshlrev_b32 v81, 24, v81 :: v_dual_lshlrev_b32 v36, 20, v36
	v_lshl_add_u32 v80, v80, 23, 0x3c000000
	s_delay_alu instid0(VALU_DEP_2) | instskip(NEXT) | instid1(VALU_DEP_1)
	v_and_b32_e32 v81, 0x80000000, v81
	v_or3_b32 v80, v36, v81, v80
.LBB168_231:                            ;   in Loop: Header=BB168_12 Depth=1
	s_or_b32 exec_lo, exec_lo, s44
.LBB168_232:                            ;   in Loop: Header=BB168_12 Depth=1
	s_delay_alu instid0(SALU_CYCLE_1)
	s_or_b32 exec_lo, exec_lo, s43
.LBB168_233:                            ;   in Loop: Header=BB168_12 Depth=1
	s_delay_alu instid0(SALU_CYCLE_1)
	s_or_b32 exec_lo, exec_lo, s42
	global_load_u8 v81, v[44:45], off offset:780
	s_mov_b32 s42, exec_lo
	s_wait_loadcnt 0x0
	v_cmpx_ne_u16_e32 0, v81
	s_cbranch_execz .LBB168_241
; %bb.234:                              ;   in Loop: Header=BB168_12 Depth=1
	v_bfrev_b32_e32 v79, 1
	s_mov_b32 s43, exec_lo
	v_cmpx_ne_u16_e32 0x80, v81
	s_cbranch_execz .LBB168_240
; %bb.235:                              ;   in Loop: Header=BB168_12 Depth=1
	v_and_b32_e32 v36, 0xffff, v81
	v_mov_b32_e32 v79, 0x7f800001
	s_mov_b32 s44, exec_lo
	s_delay_alu instid0(VALU_DEP_2) | instskip(NEXT) | instid1(VALU_DEP_1)
	v_and_b32_e32 v82, 0x7f, v36
	v_cmpx_ne_u32_e32 0x7f, v82
	s_cbranch_execz .LBB168_239
; %bb.236:                              ;   in Loop: Header=BB168_12 Depth=1
	v_dual_lshrrev_b32 v79, 3, v82 :: v_dual_bitop2_b32 v36, 7, v36 bitop3:0x40
	s_mov_b32 s45, exec_lo
	v_cmpx_gt_u32_e32 8, v82
; %bb.237:                              ;   in Loop: Header=BB168_12 Depth=1
	s_delay_alu instid0(VALU_DEP_2) | instskip(NEXT) | instid1(VALU_DEP_1)
	v_clz_i32_u32_e32 v79, v36
	v_min_u32_e32 v79, 32, v79
	s_delay_alu instid0(VALU_DEP_1) | instskip(NEXT) | instid1(VALU_DEP_1)
	v_subrev_nc_u32_e32 v82, 28, v79
	v_lshlrev_b64_e32 v[82:83], v82, v[36:37]
	s_delay_alu instid0(VALU_DEP_1)
	v_dual_sub_nc_u32 v79, 29, v79 :: v_dual_bitop2_b32 v36, 7, v82 bitop3:0x40
; %bb.238:                              ;   in Loop: Header=BB168_12 Depth=1
	s_or_b32 exec_lo, exec_lo, s45
	s_delay_alu instid0(VALU_DEP_1) | instskip(NEXT) | instid1(VALU_DEP_2)
	v_dual_lshlrev_b32 v81, 24, v81 :: v_dual_lshlrev_b32 v36, 20, v36
	v_lshl_add_u32 v79, v79, 23, 0x3c000000
	s_delay_alu instid0(VALU_DEP_2) | instskip(NEXT) | instid1(VALU_DEP_1)
	v_and_b32_e32 v81, 0x80000000, v81
	v_or3_b32 v79, v36, v81, v79
.LBB168_239:                            ;   in Loop: Header=BB168_12 Depth=1
	s_or_b32 exec_lo, exec_lo, s44
.LBB168_240:                            ;   in Loop: Header=BB168_12 Depth=1
	s_delay_alu instid0(SALU_CYCLE_1)
	s_or_b32 exec_lo, exec_lo, s43
.LBB168_241:                            ;   in Loop: Header=BB168_12 Depth=1
	s_delay_alu instid0(SALU_CYCLE_1)
	s_or_b32 exec_lo, exec_lo, s42
	global_load_u8 v83, v[44:45], off offset:896
	v_dual_mov_b32 v81, 0 :: v_dual_mov_b32 v82, 0
	s_mov_b32 s42, exec_lo
	s_wait_loadcnt 0x0
	v_cmpx_ne_u16_e32 0, v83
	s_cbranch_execz .LBB168_249
; %bb.242:                              ;   in Loop: Header=BB168_12 Depth=1
	v_bfrev_b32_e32 v82, 1
	s_mov_b32 s43, exec_lo
	v_cmpx_ne_u16_e32 0x80, v83
	s_cbranch_execz .LBB168_248
; %bb.243:                              ;   in Loop: Header=BB168_12 Depth=1
	v_and_b32_e32 v36, 0xffff, v83
	v_mov_b32_e32 v82, 0x7f800001
	s_mov_b32 s44, exec_lo
	s_delay_alu instid0(VALU_DEP_2) | instskip(NEXT) | instid1(VALU_DEP_1)
	v_and_b32_e32 v84, 0x7f, v36
	v_cmpx_ne_u32_e32 0x7f, v84
	s_cbranch_execz .LBB168_247
; %bb.244:                              ;   in Loop: Header=BB168_12 Depth=1
	v_and_b32_e32 v36, 7, v36
	v_lshrrev_b32_e32 v82, 3, v84
	s_mov_b32 s45, exec_lo
	v_cmpx_gt_u32_e32 8, v84
; %bb.245:                              ;   in Loop: Header=BB168_12 Depth=1
	s_delay_alu instid0(VALU_DEP_3) | instskip(NEXT) | instid1(VALU_DEP_1)
	v_clz_i32_u32_e32 v82, v36
	v_min_u32_e32 v82, 32, v82
	s_delay_alu instid0(VALU_DEP_1) | instskip(NEXT) | instid1(VALU_DEP_1)
	v_subrev_nc_u32_e32 v84, 28, v82
	v_lshlrev_b64_e32 v[84:85], v84, v[36:37]
	s_delay_alu instid0(VALU_DEP_1)
	v_dual_sub_nc_u32 v82, 29, v82 :: v_dual_bitop2_b32 v36, 7, v84 bitop3:0x40
; %bb.246:                              ;   in Loop: Header=BB168_12 Depth=1
	s_or_b32 exec_lo, exec_lo, s45
	s_delay_alu instid0(VALU_DEP_1) | instskip(NEXT) | instid1(VALU_DEP_2)
	v_dual_lshlrev_b32 v83, 24, v83 :: v_dual_lshlrev_b32 v36, 20, v36
	v_lshl_add_u32 v82, v82, 23, 0x3c000000
	s_delay_alu instid0(VALU_DEP_2) | instskip(NEXT) | instid1(VALU_DEP_1)
	v_and_b32_e32 v83, 0x80000000, v83
	v_or3_b32 v82, v36, v83, v82
.LBB168_247:                            ;   in Loop: Header=BB168_12 Depth=1
	s_or_b32 exec_lo, exec_lo, s44
.LBB168_248:                            ;   in Loop: Header=BB168_12 Depth=1
	s_delay_alu instid0(SALU_CYCLE_1)
	s_or_b32 exec_lo, exec_lo, s43
.LBB168_249:                            ;   in Loop: Header=BB168_12 Depth=1
	s_delay_alu instid0(SALU_CYCLE_1)
	s_or_b32 exec_lo, exec_lo, s42
	global_load_u8 v83, v[44:45], off offset:900
	s_mov_b32 s42, exec_lo
	s_wait_loadcnt 0x0
	v_cmpx_ne_u16_e32 0, v83
	s_cbranch_execz .LBB168_257
; %bb.250:                              ;   in Loop: Header=BB168_12 Depth=1
	v_bfrev_b32_e32 v81, 1
	s_mov_b32 s43, exec_lo
	v_cmpx_ne_u16_e32 0x80, v83
	s_cbranch_execz .LBB168_256
; %bb.251:                              ;   in Loop: Header=BB168_12 Depth=1
	v_and_b32_e32 v36, 0xffff, v83
	v_mov_b32_e32 v81, 0x7f800001
	s_mov_b32 s44, exec_lo
	s_delay_alu instid0(VALU_DEP_2) | instskip(NEXT) | instid1(VALU_DEP_1)
	v_and_b32_e32 v84, 0x7f, v36
	v_cmpx_ne_u32_e32 0x7f, v84
	s_cbranch_execz .LBB168_255
; %bb.252:                              ;   in Loop: Header=BB168_12 Depth=1
	v_and_b32_e32 v36, 7, v36
	v_lshrrev_b32_e32 v81, 3, v84
	s_mov_b32 s45, exec_lo
	v_cmpx_gt_u32_e32 8, v84
; %bb.253:                              ;   in Loop: Header=BB168_12 Depth=1
	s_delay_alu instid0(VALU_DEP_3) | instskip(NEXT) | instid1(VALU_DEP_1)
	v_clz_i32_u32_e32 v81, v36
	v_min_u32_e32 v81, 32, v81
	s_delay_alu instid0(VALU_DEP_1) | instskip(NEXT) | instid1(VALU_DEP_1)
	v_subrev_nc_u32_e32 v84, 28, v81
	v_lshlrev_b64_e32 v[84:85], v84, v[36:37]
	s_delay_alu instid0(VALU_DEP_1)
	v_dual_sub_nc_u32 v81, 29, v81 :: v_dual_bitop2_b32 v36, 7, v84 bitop3:0x40
; %bb.254:                              ;   in Loop: Header=BB168_12 Depth=1
	s_or_b32 exec_lo, exec_lo, s45
	s_delay_alu instid0(VALU_DEP_1) | instskip(NEXT) | instid1(VALU_DEP_2)
	v_dual_lshlrev_b32 v83, 24, v83 :: v_dual_lshlrev_b32 v36, 20, v36
	v_lshl_add_u32 v81, v81, 23, 0x3c000000
	s_delay_alu instid0(VALU_DEP_2) | instskip(NEXT) | instid1(VALU_DEP_1)
	v_and_b32_e32 v83, 0x80000000, v83
	v_or3_b32 v81, v36, v83, v81
.LBB168_255:                            ;   in Loop: Header=BB168_12 Depth=1
	s_or_b32 exec_lo, exec_lo, s44
.LBB168_256:                            ;   in Loop: Header=BB168_12 Depth=1
	s_delay_alu instid0(SALU_CYCLE_1)
	s_or_b32 exec_lo, exec_lo, s43
.LBB168_257:                            ;   in Loop: Header=BB168_12 Depth=1
	s_delay_alu instid0(SALU_CYCLE_1)
	s_or_b32 exec_lo, exec_lo, s42
	global_load_u8 v85, v[44:45], off offset:904
	v_dual_mov_b32 v83, 0 :: v_dual_mov_b32 v84, 0
	s_mov_b32 s42, exec_lo
	s_wait_loadcnt 0x0
	v_cmpx_ne_u16_e32 0, v85
	s_cbranch_execz .LBB168_265
; %bb.258:                              ;   in Loop: Header=BB168_12 Depth=1
	v_bfrev_b32_e32 v84, 1
	s_mov_b32 s43, exec_lo
	v_cmpx_ne_u16_e32 0x80, v85
	s_cbranch_execz .LBB168_264
; %bb.259:                              ;   in Loop: Header=BB168_12 Depth=1
	v_and_b32_e32 v36, 0xffff, v85
	v_mov_b32_e32 v84, 0x7f800001
	s_mov_b32 s44, exec_lo
	s_delay_alu instid0(VALU_DEP_2) | instskip(NEXT) | instid1(VALU_DEP_1)
	v_and_b32_e32 v86, 0x7f, v36
	v_cmpx_ne_u32_e32 0x7f, v86
	s_cbranch_execz .LBB168_263
; %bb.260:                              ;   in Loop: Header=BB168_12 Depth=1
	v_dual_lshrrev_b32 v84, 3, v86 :: v_dual_bitop2_b32 v36, 7, v36 bitop3:0x40
	s_mov_b32 s45, exec_lo
	v_cmpx_gt_u32_e32 8, v86
; %bb.261:                              ;   in Loop: Header=BB168_12 Depth=1
	s_delay_alu instid0(VALU_DEP_2) | instskip(NEXT) | instid1(VALU_DEP_1)
	v_clz_i32_u32_e32 v84, v36
	v_min_u32_e32 v84, 32, v84
	s_delay_alu instid0(VALU_DEP_1) | instskip(NEXT) | instid1(VALU_DEP_1)
	v_subrev_nc_u32_e32 v86, 28, v84
	v_lshlrev_b64_e32 v[86:87], v86, v[36:37]
	s_delay_alu instid0(VALU_DEP_1)
	v_dual_sub_nc_u32 v84, 29, v84 :: v_dual_bitop2_b32 v36, 7, v86 bitop3:0x40
; %bb.262:                              ;   in Loop: Header=BB168_12 Depth=1
	s_or_b32 exec_lo, exec_lo, s45
	s_delay_alu instid0(VALU_DEP_1) | instskip(NEXT) | instid1(VALU_DEP_2)
	v_dual_lshlrev_b32 v85, 24, v85 :: v_dual_lshlrev_b32 v36, 20, v36
	v_lshl_add_u32 v84, v84, 23, 0x3c000000
	s_delay_alu instid0(VALU_DEP_2) | instskip(NEXT) | instid1(VALU_DEP_1)
	v_and_b32_e32 v85, 0x80000000, v85
	v_or3_b32 v84, v36, v85, v84
.LBB168_263:                            ;   in Loop: Header=BB168_12 Depth=1
	s_or_b32 exec_lo, exec_lo, s44
.LBB168_264:                            ;   in Loop: Header=BB168_12 Depth=1
	s_delay_alu instid0(SALU_CYCLE_1)
	s_or_b32 exec_lo, exec_lo, s43
.LBB168_265:                            ;   in Loop: Header=BB168_12 Depth=1
	s_delay_alu instid0(SALU_CYCLE_1)
	s_or_b32 exec_lo, exec_lo, s42
	global_load_u8 v44, v[44:45], off offset:908
	s_mov_b32 s42, exec_lo
	s_wait_loadcnt 0x0
	v_cmpx_ne_u16_e32 0, v44
	s_cbranch_execz .LBB168_273
; %bb.266:                              ;   in Loop: Header=BB168_12 Depth=1
	v_bfrev_b32_e32 v83, 1
	s_mov_b32 s43, exec_lo
	v_cmpx_ne_u16_e32 0x80, v44
	s_cbranch_execz .LBB168_272
; %bb.267:                              ;   in Loop: Header=BB168_12 Depth=1
	v_and_b32_e32 v36, 0xffff, v44
	v_mov_b32_e32 v83, 0x7f800001
	s_mov_b32 s44, exec_lo
	s_delay_alu instid0(VALU_DEP_2) | instskip(NEXT) | instid1(VALU_DEP_1)
	v_and_b32_e32 v85, 0x7f, v36
	v_cmpx_ne_u32_e32 0x7f, v85
	s_cbranch_execz .LBB168_271
; %bb.268:                              ;   in Loop: Header=BB168_12 Depth=1
	v_dual_lshrrev_b32 v45, 3, v85 :: v_dual_bitop2_b32 v36, 7, v36 bitop3:0x40
	s_mov_b32 s45, exec_lo
	v_cmpx_gt_u32_e32 8, v85
; %bb.269:                              ;   in Loop: Header=BB168_12 Depth=1
	s_delay_alu instid0(VALU_DEP_2) | instskip(NEXT) | instid1(VALU_DEP_1)
	v_clz_i32_u32_e32 v45, v36
	v_min_u32_e32 v45, 32, v45
	s_delay_alu instid0(VALU_DEP_1) | instskip(NEXT) | instid1(VALU_DEP_1)
	v_subrev_nc_u32_e32 v83, 28, v45
	v_lshlrev_b64_e32 v[86:87], v83, v[36:37]
	s_delay_alu instid0(VALU_DEP_1)
	v_dual_sub_nc_u32 v45, 29, v45 :: v_dual_bitop2_b32 v36, 7, v86 bitop3:0x40
; %bb.270:                              ;   in Loop: Header=BB168_12 Depth=1
	s_or_b32 exec_lo, exec_lo, s45
	v_lshlrev_b32_e32 v44, 24, v44
	s_delay_alu instid0(VALU_DEP_2) | instskip(NEXT) | instid1(VALU_DEP_3)
	v_lshlrev_b32_e32 v36, 20, v36
	v_lshl_add_u32 v45, v45, 23, 0x3c000000
	s_delay_alu instid0(VALU_DEP_3) | instskip(NEXT) | instid1(VALU_DEP_1)
	v_and_b32_e32 v44, 0x80000000, v44
	v_or3_b32 v83, v36, v44, v45
.LBB168_271:                            ;   in Loop: Header=BB168_12 Depth=1
	s_or_b32 exec_lo, exec_lo, s44
.LBB168_272:                            ;   in Loop: Header=BB168_12 Depth=1
	s_delay_alu instid0(SALU_CYCLE_1)
	s_or_b32 exec_lo, exec_lo, s43
.LBB168_273:                            ;   in Loop: Header=BB168_12 Depth=1
	s_delay_alu instid0(SALU_CYCLE_1) | instskip(SKIP_3) | instid1(VALU_DEP_1)
	s_or_b32 exec_lo, exec_lo, s42
	s_wait_kmcnt 0x0
	v_dual_mul_f32 v36, s41, v39 :: v_dual_mul_f32 v39, s41, v54
	s_wait_dscnt 0x7
	v_mul_f32_e32 v31, v31, v36
	s_delay_alu instid0(VALU_DEP_1) | instskip(NEXT) | instid1(VALU_DEP_1)
	v_dual_mul_f32 v36, s41, v56 :: v_dual_fmac_f32 v31, v30, v39
	v_dual_mul_f32 v30, s41, v55 :: v_dual_fmac_f32 v31, v32, v36
	v_mul_f32_e32 v32, s41, v58
	s_delay_alu instid0(VALU_DEP_2) | instskip(SKIP_1) | instid1(VALU_DEP_1)
	v_dual_fmac_f32 v31, v33, v30 :: v_dual_mul_f32 v30, s41, v57
	s_wait_dscnt 0x6
	v_fmac_f32_e32 v31, v26, v32
	s_delay_alu instid0(VALU_DEP_1) | instskip(NEXT) | instid1(VALU_DEP_1)
	v_dual_mul_f32 v26, s41, v60 :: v_dual_fmac_f32 v31, v27, v30
	v_dual_mul_f32 v27, s41, v59 :: v_dual_fmac_f32 v31, v28, v26
	s_delay_alu instid0(VALU_DEP_1) | instskip(SKIP_1) | instid1(VALU_DEP_1)
	v_dual_mul_f32 v26, s41, v62 :: v_dual_fmac_f32 v31, v29, v27
	s_wait_dscnt 0x5
	v_dual_mul_f32 v27, s41, v61 :: v_dual_fmac_f32 v31, v22, v26
	s_delay_alu instid0(VALU_DEP_1) | instskip(NEXT) | instid1(VALU_DEP_1)
	v_dual_mul_f32 v22, s41, v64 :: v_dual_fmac_f32 v31, v23, v27
	v_dual_mul_f32 v23, s41, v63 :: v_dual_fmac_f32 v31, v24, v22
	s_delay_alu instid0(VALU_DEP_1) | instskip(SKIP_1) | instid1(VALU_DEP_1)
	v_dual_mul_f32 v22, s41, v66 :: v_dual_fmac_f32 v31, v25, v23
	s_wait_dscnt 0x4
	v_dual_mul_f32 v23, s41, v65 :: v_dual_fmac_f32 v31, v18, v22
	s_delay_alu instid0(VALU_DEP_1) | instskip(NEXT) | instid1(VALU_DEP_1)
	v_dual_mul_f32 v18, s41, v68 :: v_dual_fmac_f32 v31, v19, v23
	v_dual_mul_f32 v19, s41, v67 :: v_dual_fmac_f32 v31, v20, v18
	s_delay_alu instid0(VALU_DEP_1) | instskip(SKIP_1) | instid1(VALU_DEP_1)
	v_dual_mul_f32 v18, s41, v70 :: v_dual_fmac_f32 v31, v21, v19
	s_wait_dscnt 0x3
	v_dual_mul_f32 v19, s41, v69 :: v_dual_fmac_f32 v31, v14, v18
	s_delay_alu instid0(VALU_DEP_1) | instskip(NEXT) | instid1(VALU_DEP_1)
	v_dual_mul_f32 v14, s41, v72 :: v_dual_fmac_f32 v31, v15, v19
	v_dual_mul_f32 v15, s41, v71 :: v_dual_fmac_f32 v31, v16, v14
	s_delay_alu instid0(VALU_DEP_1) | instskip(SKIP_1) | instid1(VALU_DEP_1)
	v_dual_mul_f32 v14, s41, v74 :: v_dual_fmac_f32 v31, v17, v15
	s_wait_dscnt 0x2
	v_dual_mul_f32 v15, s41, v73 :: v_dual_fmac_f32 v31, v10, v14
	s_delay_alu instid0(VALU_DEP_1) | instskip(NEXT) | instid1(VALU_DEP_1)
	v_dual_mul_f32 v10, s41, v76 :: v_dual_fmac_f32 v31, v11, v15
	v_dual_mul_f32 v11, s41, v75 :: v_dual_fmac_f32 v31, v12, v10
	s_delay_alu instid0(VALU_DEP_1) | instskip(SKIP_1) | instid1(VALU_DEP_1)
	v_dual_mul_f32 v10, s41, v78 :: v_dual_fmac_f32 v31, v13, v11
	s_wait_dscnt 0x1
	v_dual_mul_f32 v11, s41, v77 :: v_dual_fmac_f32 v31, v6, v10
	s_delay_alu instid0(VALU_DEP_1) | instskip(NEXT) | instid1(VALU_DEP_1)
	v_dual_mul_f32 v6, s41, v80 :: v_dual_fmac_f32 v31, v7, v11
	v_dual_mul_f32 v7, s41, v79 :: v_dual_fmac_f32 v31, v8, v6
	s_delay_alu instid0(VALU_DEP_1) | instskip(SKIP_1) | instid1(VALU_DEP_1)
	v_dual_mul_f32 v6, s41, v82 :: v_dual_fmac_f32 v31, v9, v7
	s_wait_dscnt 0x0
	v_dual_mul_f32 v7, s41, v81 :: v_dual_fmac_f32 v31, v2, v6
	v_dual_mul_f32 v6, s41, v84 :: v_dual_bitop2_b32 v2, 2, v46 bitop3:0x14
	s_delay_alu instid0(VALU_DEP_2) | instskip(SKIP_1) | instid1(VALU_DEP_3)
	v_fmac_f32_e32 v31, v3, v7
	v_mul_f32_e32 v3, s41, v83
	v_cmp_gt_i32_e64 s4, 32, v2
	s_delay_alu instid0(VALU_DEP_3) | instskip(NEXT) | instid1(VALU_DEP_1)
	v_fmac_f32_e32 v31, v4, v6
	v_dual_cndmask_b32 v2, v46, v2, s4 :: v_dual_fmac_f32 v31, v5, v3
	v_xor_b32_e32 v3, 1, v46
	s_delay_alu instid0(VALU_DEP_2) | instskip(NEXT) | instid1(VALU_DEP_2)
	v_lshlrev_b32_e32 v2, 2, v2
	v_cmp_gt_i32_e64 s4, 32, v3
	ds_bpermute_b32 v2, v2, v31
	v_cndmask_b32_e64 v3, v46, v3, s4
	s_wait_dscnt 0x0
	s_delay_alu instid0(VALU_DEP_1)
	v_dual_add_f32 v2, v31, v2 :: v_dual_lshlrev_b32 v3, 2, v3
	ds_bpermute_b32 v3, v3, v2
	s_and_saveexec_b32 s41, s3
	s_cbranch_execz .LBB168_10
; %bb.274:                              ;   in Loop: Header=BB168_12 Depth=1
	v_add_nc_u32_e32 v4, v50, v38
	s_wait_dscnt 0x0
	v_add_f32_e32 v2, v2, v3
	s_delay_alu instid0(VALU_DEP_2) | instskip(NEXT) | instid1(VALU_DEP_1)
	v_cvt_f32_i32_e32 v4, v4
	v_mul_f32_e32 v4, s36, v4
	s_delay_alu instid0(VALU_DEP_1) | instskip(NEXT) | instid1(VALU_DEP_1)
	v_dual_cndmask_b32 v3, 0, v4 :: v_dual_max_num_f32 v4, v49, v49
	v_fmac_f32_e32 v3, s27, v2
	v_add_nc_u32_e32 v2, v47, v38
	s_delay_alu instid0(VALU_DEP_1) | instskip(NEXT) | instid1(VALU_DEP_3)
	v_cmp_gt_i32_e64 s4, s34, v2
	v_max_num_f32_e32 v4, v4, v3
	s_delay_alu instid0(VALU_DEP_1)
	v_dual_cndmask_b32 v49, v49, v4, s4 :: v_dual_cndmask_b32 v2, 0, v3, s4
	ds_store_b32 v51, v2
	s_branch .LBB168_10
.LBB168_275:
	s_or_b32 exec_lo, exec_lo, s40
.LBB168_276:
	s_delay_alu instid0(SALU_CYCLE_1)
	s_or_b32 exec_lo, exec_lo, s37
	v_dual_max_num_f32 v5, v49, v49 :: v_dual_bitop2_b32 v2, 16, v46 bitop3:0x14
	v_xor_b32_e32 v4, 8, v46
	s_clause 0x1
	s_load_b64 s[4:5], s[0:1], 0x0
	s_load_b64 s[8:9], s[0:1], 0x18
	v_and_b32_e32 v58, 31, v0
	v_cmp_gt_i32_e32 vcc_lo, 32, v2
	v_cndmask_b32_e32 v2, v46, v2, vcc_lo
	v_cmp_gt_i32_e32 vcc_lo, 32, v4
	s_delay_alu instid0(VALU_DEP_2) | instskip(SKIP_4) | instid1(VALU_DEP_1)
	v_dual_cndmask_b32 v4, v46, v4, vcc_lo :: v_dual_lshlrev_b32 v2, 2, v2
	s_wait_dscnt 0x0
	ds_bpermute_b32 v3, v2, v49
	s_wait_dscnt 0x0
	v_dual_max_num_f32 v6, v3, v3 :: v_dual_lshlrev_b32 v3, 2, v4
	v_max_num_f32_e32 v4, v5, v6
	ds_bpermute_b32 v5, v3, v4
	s_wait_dscnt 0x0
	v_dual_max_num_f32 v5, v5, v5 :: v_dual_bitop2_b32 v6, 4, v46 bitop3:0x14
	s_delay_alu instid0(VALU_DEP_1) | instskip(NEXT) | instid1(VALU_DEP_2)
	v_max_num_f32_e32 v5, v4, v5
	v_cmp_gt_i32_e32 vcc_lo, 32, v6
	v_dual_lshlrev_b32 v4, 2, v1 :: v_dual_cndmask_b32 v6, v46, v6, vcc_lo
	v_cmp_eq_u32_e32 vcc_lo, 0, v58
	s_delay_alu instid0(VALU_DEP_2)
	v_lshlrev_b32_e32 v6, 2, v6
	ds_bpermute_b32 v7, v6, v5
	s_wait_xcnt 0x0
	s_and_saveexec_b32 s0, vcc_lo
	s_cbranch_execz .LBB168_278
; %bb.277:
	s_wait_dscnt 0x0
	v_dual_max_num_f32 v7, v7, v7 :: v_dual_max_num_f32 v5, v5, v5
	s_delay_alu instid0(VALU_DEP_1)
	v_max_num_f32_e32 v5, v5, v7
	ds_store_b32 v4, v5 offset:512
.LBB168_278:
	s_or_b32 exec_lo, exec_lo, s0
	v_cmp_gt_u32_e64 s0, 4, v58
	v_dual_mov_b32 v8, 0xff7fffff :: v_dual_lshlrev_b32 v5, 2, v58
	s_wait_dscnt 0x0
	s_barrier_signal -1
	s_barrier_wait -1
	s_and_saveexec_b32 s1, s0
; %bb.279:
	ds_load_b32 v8, v5 offset:512
; %bb.280:
	s_or_b32 exec_lo, exec_lo, s1
	v_xor_b32_e32 v7, 2, v46
	v_xor_b32_e32 v10, 1, v46
	s_delay_alu instid0(VALU_DEP_2) | instskip(NEXT) | instid1(VALU_DEP_1)
	v_cmp_gt_i32_e64 s1, 32, v7
	v_cndmask_b32_e64 v7, v46, v7, s1
	s_delay_alu instid0(VALU_DEP_3) | instskip(NEXT) | instid1(VALU_DEP_1)
	v_cmp_gt_i32_e64 s1, 32, v10
	v_dual_lshlrev_b32 v7, 2, v7 :: v_dual_cndmask_b32 v10, v46, v10, s1
	s_lshl_b32 s1, s12, 3
	s_delay_alu instid0(SALU_CYCLE_1)
	s_min_i32 s19, s1, s34
	s_wait_dscnt 0x0
	ds_bpermute_b32 v9, v7, v8
	v_max_num_f32_e32 v8, v8, v8
	v_cmp_gt_i32_e64 s1, s19, v0
	s_wait_dscnt 0x0
	v_dual_lshlrev_b32 v59, 2, v10 :: v_dual_max_num_f32 v9, v9, v9
	s_delay_alu instid0(VALU_DEP_1) | instskip(SKIP_3) | instid1(VALU_DEP_1)
	v_max_num_f32_e32 v8, v8, v9
	ds_bpermute_b32 v9, v59, v8
	s_wait_dscnt 0x0
	v_max_num_f32_e32 v9, v9, v9
	v_dual_max_num_f32 v9, v8, v9 :: v_dual_mov_b32 v8, 0
	ds_bpermute_b32 v9, v8, v9
	s_and_saveexec_b32 s27, s1
	s_cbranch_execz .LBB168_284
; %bb.281:
	v_lshl_add_u32 v10, v0, 2, 0x220
	v_dual_mov_b32 v8, 0 :: v_dual_mov_b32 v11, v0
	s_mov_b32 s28, 0
.LBB168_282:                            ; =>This Inner Loop Header: Depth=1
	ds_load_b32 v12, v10
	v_add_nc_u32_e32 v11, 0x80, v11
	s_delay_alu instid0(VALU_DEP_1) | instskip(SKIP_3) | instid1(VALU_DEP_1)
	v_cmp_le_i32_e64 s3, s19, v11
	s_or_b32 s28, s3, s28
	s_wait_dscnt 0x0
	v_sub_f32_e32 v12, v12, v9
	v_mul_f32_e32 v12, 0x3fb8aa3b, v12
	s_delay_alu instid0(VALU_DEP_1)
	v_exp_f32_e32 v12, v12
	ds_store_b32 v10, v12
	v_nop
	v_add_f32_e32 v8, v8, v12
	v_add_nc_u32_e32 v10, 0x200, v10
	s_and_not1_b32 exec_lo, exec_lo, s28
	s_cbranch_execnz .LBB168_282
; %bb.283:
	s_or_b32 exec_lo, exec_lo, s28
.LBB168_284:
	s_delay_alu instid0(SALU_CYCLE_1)
	s_or_b32 exec_lo, exec_lo, s27
	ds_bpermute_b32 v2, v2, v8
	s_wait_dscnt 0x0
	v_add_f32_e32 v2, v8, v2
	ds_bpermute_b32 v3, v3, v2
	s_wait_dscnt 0x0
	v_add_f32_e32 v2, v2, v3
	;; [unrolled: 3-line block ×5, first 2 shown]
	s_and_saveexec_b32 s3, vcc_lo
; %bb.285:
	ds_store_b32 v4, v2 offset:528
; %bb.286:
	s_or_b32 exec_lo, exec_lo, s3
	s_wait_dscnt 0x0
	s_barrier_signal -1
	s_barrier_wait -1
	s_and_saveexec_b32 s3, s0
; %bb.287:
	ds_load_b32 v2, v5 offset:528
; %bb.288:
	s_or_b32 exec_lo, exec_lo, s3
	s_wait_dscnt 0x0
	ds_bpermute_b32 v3, v7, v2
	s_wait_dscnt 0x0
	v_dual_mov_b32 v7, 0 :: v_dual_add_f32 v2, v2, v3
	ds_bpermute_b32 v3, v59, v2
	s_wait_dscnt 0x0
	v_add_f32_e32 v2, v2, v3
	ds_bpermute_b32 v2, v7, v2
	s_and_saveexec_b32 s0, s1
	s_cbranch_execz .LBB168_301
; %bb.289:
	s_wait_dscnt 0x0
	v_add_f32_e32 v2, 0x358637bd, v2
	s_mov_b32 s3, -1
	s_mov_b32 s1, exec_lo
	s_delay_alu instid0(VALU_DEP_1) | instskip(NEXT) | instid1(VALU_DEP_1)
	v_div_scale_f32 v3, null, v2, v2, 1.0
	v_rcp_f32_e32 v5, v3
	v_nop
	s_delay_alu instid0(TRANS32_DEP_1) | instskip(NEXT) | instid1(VALU_DEP_1)
	v_fma_f32 v4, -v3, v5, 1.0
	v_fmac_f32_e32 v5, v4, v5
	v_div_scale_f32 v6, vcc_lo, 1.0, v2, 1.0
	s_delay_alu instid0(VALU_DEP_1) | instskip(NEXT) | instid1(VALU_DEP_1)
	v_mul_f32_e32 v8, v6, v5
	v_fma_f32 v4, -v3, v8, v6
	s_delay_alu instid0(VALU_DEP_1) | instskip(SKIP_1) | instid1(VALU_DEP_2)
	v_fmac_f32_e32 v8, v4, v5
	v_xad_u32 v4, v0, -1, s19
	v_fma_f32 v3, -v3, v8, v6
	s_delay_alu instid0(VALU_DEP_1) | instskip(NEXT) | instid1(VALU_DEP_1)
	v_div_fmas_f32 v3, v3, v5, v8
	v_div_fixup_f32 v2, v3, v2, 1.0
	v_mov_b32_e32 v3, v0
	v_cmpx_lt_u32_e32 0x7f, v4
	s_cbranch_execz .LBB168_298
; %bb.290:
	s_delay_alu instid0(VALU_DEP_3) | instskip(NEXT) | instid1(VALU_DEP_1)
	v_dual_mov_b32 v3, v2 :: v_dual_lshrrev_b32 v4, 7, v4
	v_dual_mov_b32 v9, 0 :: v_dual_add_nc_u32 v5, -1, v4
	s_delay_alu instid0(VALU_DEP_1) | instskip(SKIP_1) | instid1(VALU_DEP_2)
	v_lshrrev_b32_e32 v6, 1, v5
	v_cmp_lt_u32_e32 vcc_lo, 13, v5
	v_add_nc_u32_e32 v5, 1, v6
	s_and_saveexec_b32 s3, vcc_lo
	s_cbranch_execz .LBB168_294
; %bb.291:
	s_delay_alu instid0(VALU_DEP_1)
	v_and_b32_e32 v6, -8, v5
	v_lshl_add_u32 v8, v0, 2, 0x220
	s_mov_b32 s27, 0
	s_mov_b32 s28, 0
.LBB168_292:                            ; =>This Inner Loop Header: Depth=1
	ds_load_2addr_stride64_b32 v[10:11], v8 offset1:2
	ds_load_2addr_stride64_b32 v[12:13], v8 offset0:4 offset1:6
	ds_load_2addr_stride64_b32 v[14:15], v8 offset0:8 offset1:10
	ds_load_2addr_stride64_b32 v[16:17], v8 offset0:12 offset1:14
	ds_load_2addr_stride64_b32 v[18:19], v8 offset0:16 offset1:18
	ds_load_2addr_stride64_b32 v[20:21], v8 offset0:20 offset1:22
	ds_load_2addr_stride64_b32 v[22:23], v8 offset0:24 offset1:26
	ds_load_2addr_stride64_b32 v[24:25], v8 offset0:28 offset1:30
	s_add_co_i32 s28, s28, 16
	s_delay_alu instid0(SALU_CYCLE_1) | instskip(NEXT) | instid1(VALU_DEP_1)
	v_dual_mov_b32 v9, s28 :: v_dual_add_nc_u32 v6, -8, v6
	v_cmp_eq_u32_e32 vcc_lo, 0, v6
	s_or_b32 s27, vcc_lo, s27
	s_wait_dscnt 0x7
	v_pk_mul_f32 v[10:11], v[2:3], v[10:11]
	s_wait_dscnt 0x6
	v_pk_mul_f32 v[12:13], v[2:3], v[12:13]
	;; [unrolled: 2-line block ×8, first 2 shown]
	ds_store_2addr_stride64_b32 v8, v10, v11 offset1:2
	ds_store_2addr_stride64_b32 v8, v12, v13 offset0:4 offset1:6
	ds_store_2addr_stride64_b32 v8, v14, v15 offset0:8 offset1:10
	;; [unrolled: 1-line block ×7, first 2 shown]
	v_add_nc_u32_e32 v8, 0x2000, v8
	s_and_not1_b32 exec_lo, exec_lo, s27
	s_cbranch_execnz .LBB168_292
; %bb.293:
	s_or_b32 exec_lo, exec_lo, s27
.LBB168_294:
	s_delay_alu instid0(SALU_CYCLE_1) | instskip(NEXT) | instid1(VALU_DEP_1)
	s_or_b32 exec_lo, exec_lo, s3
	v_and_b32_e32 v5, 7, v5
	s_mov_b32 s27, 0
	s_mov_b32 s3, exec_lo
	s_delay_alu instid0(VALU_DEP_1)
	v_cmpx_ne_u32_e32 0, v5
	s_cbranch_execz .LBB168_297
; %bb.295:
	v_dual_lshlrev_b32 v6, 9, v9 :: v_dual_lshlrev_b32 v8, 2, v0
	s_delay_alu instid0(VALU_DEP_1)
	v_add3_u32 v6, v6, v8, 0x220
.LBB168_296:                            ; =>This Inner Loop Header: Depth=1
	ds_load_2addr_stride64_b32 v[8:9], v6 offset1:2
	v_add_nc_u32_e32 v5, -1, v5
	s_delay_alu instid0(VALU_DEP_1)
	v_cmp_eq_u32_e32 vcc_lo, 0, v5
	s_or_b32 s27, vcc_lo, s27
	s_wait_dscnt 0x0
	v_pk_mul_f32 v[8:9], v[2:3], v[8:9]
	ds_store_2addr_stride64_b32 v6, v8, v9 offset1:2
	v_add_nc_u32_e32 v6, 0x400, v6
	s_and_not1_b32 exec_lo, exec_lo, s27
	s_cbranch_execnz .LBB168_296
.LBB168_297:
	s_or_b32 exec_lo, exec_lo, s3
	v_add_nc_u32_e32 v3, 1, v4
	s_delay_alu instid0(VALU_DEP_1) | instskip(NEXT) | instid1(VALU_DEP_1)
	v_and_b32_e32 v4, 0x3fffffe, v3
	v_cmp_ne_u32_e32 vcc_lo, v3, v4
	v_lshl_add_u32 v3, v4, 7, v0
	s_or_not1_b32 s3, vcc_lo, exec_lo
.LBB168_298:
	s_or_b32 exec_lo, exec_lo, s1
	s_delay_alu instid0(SALU_CYCLE_1)
	s_and_b32 exec_lo, exec_lo, s3
	s_cbranch_execz .LBB168_301
; %bb.299:
	v_lshl_add_u32 v4, v3, 2, 0x220
	s_mov_b32 s1, 0
.LBB168_300:                            ; =>This Inner Loop Header: Depth=1
	ds_load_b32 v5, v4
	v_add_nc_u32_e32 v3, 0x80, v3
	s_delay_alu instid0(VALU_DEP_1)
	v_cmp_le_i32_e32 vcc_lo, s19, v3
	s_or_b32 s1, vcc_lo, s1
	s_wait_dscnt 0x0
	v_mul_f32_e32 v5, v2, v5
	ds_store_b32 v4, v5
	v_add_nc_u32_e32 v4, 0x200, v4
	s_and_not1_b32 exec_lo, exec_lo, s1
	s_cbranch_execnz .LBB168_300
.LBB168_301:
	s_or_b32 exec_lo, exec_lo, s0
	v_dual_mov_b32 v6, 0 :: v_dual_bitop2_b32 v60, 1, v0 bitop3:0x40
	v_dual_mov_b32 v11, 0 :: v_dual_mov_b32 v10, 0
	v_dual_mov_b32 v13, 0 :: v_dual_mov_b32 v12, 0
	;; [unrolled: 1-line block ×3, first 2 shown]
	s_wait_dscnt 0x0
	s_barrier_signal -1
	s_barrier_wait -1
	s_and_saveexec_b32 s1, s2
	s_cbranch_execz .LBB168_579
; %bb.302:
	s_abs_i32 s14, s14
	v_dual_mov_b32 v15, 0 :: v_dual_lshlrev_b32 v2, 2, v0
	s_cvt_f32_u32 s0, s14
	s_ashr_i32 s19, s18, 31
	v_dual_mov_b32 v61, v1 :: v_dual_lshlrev_b32 v4, 4, v60
	s_delay_alu instid0(SALU_CYCLE_1)
	v_rcp_iflag_f32_e32 v3, s0
	v_and_b32_e32 v14, 0x7c, v2
	s_wait_kmcnt 0x0
	s_add_nc_u64 s[8:9], s[8:9], s[18:19]
	s_lshl_b64 s[24:25], s[24:25], 2
	s_sub_co_i32 s2, 0, s14
	v_dual_mov_b32 v8, 0 :: v_dual_bitop2_b32 v62, 4, v2 bitop3:0x40
	v_readfirstlane_b32 s0, v3
	v_add_nc_u64_e32 v[16:17], s[8:9], v[14:15]
	v_and_b32_e32 v14, 0x7c, v35
	v_lshl_or_b32 v3, v1, 5, v4
	s_add_nc_u64 s[8:9], s[22:23], s[24:25]
	s_mul_f32 s0, s0, 0x4f7ffffe
	v_dual_mov_b32 v9, 0 :: v_dual_mov_b32 v13, 0
	v_add_nc_u64_e32 v[18:19], s[8:9], v[14:15]
	s_delay_alu instid0(SALU_CYCLE_1) | instskip(SKIP_2) | instid1(SALU_CYCLE_1)
	s_cvt_u32_f32 s0, s0
	v_dual_mov_b32 v12, 0 :: v_dual_add_nc_u32 v63, 0x220, v3
	v_dual_mov_b32 v10, 0 :: v_dual_mov_b32 v11, 0
	s_mul_i32 s2, s2, s0
	v_dual_mov_b32 v6, 0 :: v_dual_mov_b32 v7, 0
	s_mov_b32 s3, 0
	s_mul_hi_u32 s2, s0, s2
	s_sub_co_i32 s13, s26, s13
	s_add_co_i32 s26, s12, -1
	s_mov_b32 s18, s34
	s_add_co_i32 s2, s0, s2
	s_mov_b32 s19, s3
	s_branch .LBB168_305
.LBB168_303:                            ;   in Loop: Header=BB168_305 Depth=1
	s_or_b32 exec_lo, exec_lo, s0
	s_wait_dscnt 0x0
	v_mul_f32_e32 v35, v2, v46
	v_mul_f32_e32 v14, v2, v50
	v_dual_mul_f32 v42, v2, v42 :: v_dual_mul_f32 v32, v2, v32
	s_delay_alu instid0(VALU_DEP_3) | instskip(NEXT) | instid1(VALU_DEP_3)
	v_dual_mul_f32 v38, v2, v38 :: v_dual_fmac_f32 v35, v3, v47
	v_fmac_f32_e32 v14, v3, v51
	s_delay_alu instid0(VALU_DEP_3) | instskip(NEXT) | instid1(VALU_DEP_2)
	v_dual_fmac_f32 v42, v3, v43 :: v_dual_mul_f32 v22, v2, v22
	v_dual_fmac_f32 v32, v3, v33 :: v_dual_fmac_f32 v14, v4, v48
	s_delay_alu instid0(VALU_DEP_2) | instskip(NEXT) | instid1(VALU_DEP_2)
	v_dual_fmac_f32 v35, v4, v44 :: v_dual_fmac_f32 v22, v3, v23
	v_dual_fmac_f32 v32, v4, v30 :: v_dual_fmac_f32 v14, v5, v49
	s_delay_alu instid0(VALU_DEP_2) | instskip(SKIP_1) | instid1(VALU_DEP_2)
	v_dual_fmac_f32 v42, v4, v40 :: v_dual_fmac_f32 v35, v5, v45
	v_dual_mul_f32 v28, v2, v28 :: v_dual_fmac_f32 v38, v3, v39
	v_dual_add_f32 v6, v6, v14 :: v_dual_fmac_f32 v42, v5, v41
	v_pk_mul_f32 v[40:41], v[2:3], v[52:53]
	s_delay_alu instid0(VALU_DEP_3) | instskip(SKIP_3) | instid1(VALU_DEP_4)
	v_fmac_f32_e32 v28, v3, v29
	v_pk_mul_f32 v[2:3], v[4:5], v[24:25]
	v_fmac_f32_e32 v38, v4, v36
	v_fmac_f32_e32 v22, v4, v20
	v_dual_add_f32 v14, v41, v40 :: v_dual_fmac_f32 v28, v4, v26
	s_delay_alu instid0(VALU_DEP_3) | instskip(NEXT) | instid1(VALU_DEP_2)
	v_dual_fmac_f32 v32, v5, v31 :: v_dual_fmac_f32 v38, v5, v37
	v_dual_fmac_f32 v22, v5, v21 :: v_dual_add_f32 v2, v2, v14
	s_delay_alu instid0(VALU_DEP_3) | instskip(SKIP_1) | instid1(VALU_DEP_4)
	v_fmac_f32_e32 v28, v5, v27
	v_dual_add_f32 v11, v11, v35 :: v_dual_add_f32 v10, v10, v42
	v_dual_add_f32 v13, v13, v38 :: v_dual_add_f32 v12, v12, v32
	s_delay_alu instid0(VALU_DEP_3) | instskip(SKIP_1) | instid1(VALU_DEP_2)
	v_dual_add_f32 v2, v3, v2 :: v_dual_add_f32 v9, v9, v28
	v_add_f32_e32 v8, v8, v22
	v_add_f32_e32 v7, v7, v2
.LBB168_304:                            ;   in Loop: Header=BB168_305 Depth=1
	s_or_b32 exec_lo, exec_lo, s22
	v_dual_add_nc_u32 v61, 4, v61 :: v_dual_add_nc_u32 v34, 32, v34
	v_add_nc_u64_e32 v[18:19], 16, v[18:19]
	v_add_nc_u32_e32 v63, 0x80, v63
	s_delay_alu instid0(VALU_DEP_3) | instskip(SKIP_1) | instid1(SALU_CYCLE_1)
	v_cmp_le_i32_e32 vcc_lo, s12, v61
	s_or_b32 s19, vcc_lo, s19
	s_and_not1_b32 exec_lo, exec_lo, s19
	s_cbranch_execz .LBB168_578
.LBB168_305:                            ; =>This Inner Loop Header: Depth=1
	v_mov_b32_e32 v35, v15
	s_delay_alu instid0(VALU_DEP_1) | instskip(NEXT) | instid1(VALU_DEP_1)
	v_mul_u64_e32 v[2:3], s[20:21], v[34:35]
	v_mul_lo_u32 v2, v3, s16
	s_delay_alu instid0(VALU_DEP_1) | instskip(NEXT) | instid1(VALU_DEP_1)
	v_sub_nc_u32_e32 v2, v34, v2
	v_subrev_nc_u32_e32 v5, s16, v2
	v_cmp_le_u32_e32 vcc_lo, s16, v2
	s_delay_alu instid0(VALU_DEP_2) | instskip(NEXT) | instid1(VALU_DEP_1)
	v_dual_add_nc_u32 v4, 1, v3 :: v_dual_cndmask_b32 v2, v2, v5, vcc_lo
	v_cndmask_b32_e32 v3, v3, v4, vcc_lo
	s_delay_alu instid0(VALU_DEP_2) | instskip(NEXT) | instid1(VALU_DEP_2)
	v_cmp_le_u32_e32 vcc_lo, s16, v2
	v_add_nc_u32_e32 v4, 1, v3
	s_delay_alu instid0(VALU_DEP_1) | instskip(NEXT) | instid1(VALU_DEP_1)
	v_cndmask_b32_e32 v2, v3, v4, vcc_lo
	v_xor_b32_e32 v2, s15, v2
	s_delay_alu instid0(VALU_DEP_1) | instskip(NEXT) | instid1(VALU_DEP_1)
	v_subrev_nc_u32_e32 v4, s15, v2
	v_add_nc_u32_e32 v5, s35, v4
	v_cmp_lt_i32_e64 s0, s13, v4
	s_delay_alu instid0(VALU_DEP_2) | instskip(NEXT) | instid1(VALU_DEP_1)
	v_sub_nc_u32_e32 v2, 0, v5
	v_dual_ashrrev_i32 v5, 31, v5 :: v_dual_max_i32 v14, v5, v2
	s_delay_alu instid0(VALU_DEP_1) | instskip(NEXT) | instid1(VALU_DEP_1)
	v_mul_u64_e32 v[2:3], s[2:3], v[14:15]
	v_mul_lo_u32 v2, v3, s14
	s_delay_alu instid0(VALU_DEP_1) | instskip(NEXT) | instid1(VALU_DEP_1)
	v_sub_nc_u32_e32 v2, v14, v2
	v_subrev_nc_u32_e32 v3, s14, v2
	v_cmp_le_u32_e32 vcc_lo, s14, v2
	s_delay_alu instid0(VALU_DEP_2) | instskip(NEXT) | instid1(VALU_DEP_1)
	v_cndmask_b32_e32 v2, v2, v3, vcc_lo
	v_subrev_nc_u32_e32 v3, s14, v2
	v_cmp_le_u32_e32 vcc_lo, s14, v2
	s_delay_alu instid0(VALU_DEP_2) | instskip(NEXT) | instid1(VALU_DEP_1)
	v_cndmask_b32_e32 v2, v2, v3, vcc_lo
	v_xor_b32_e32 v2, v2, v5
	s_delay_alu instid0(VALU_DEP_1) | instskip(NEXT) | instid1(VALU_DEP_1)
	v_sub_nc_u32_e32 v2, v2, v5
	v_cmp_eq_u32_e32 vcc_lo, 0, v2
	s_or_b32 s0, vcc_lo, s0
	s_delay_alu instid0(SALU_CYCLE_1)
	s_and_saveexec_b32 s22, s0
	s_cbranch_execz .LBB168_304
; %bb.306:                              ;   in Loop: Header=BB168_305 Depth=1
	global_load_b32 v2, v[18:19], off
	s_load_b32 s8, s[10:11], 0x0
	v_mov_b64_e32 v[20:21], 0
	v_mov_b64_e32 v[22:23], 0
	s_mov_b32 s0, exec_lo
	s_wait_loadcnt 0x0
	v_mad_nc_i64_i32 v[24:25], v2, s17, v[16:17]
	ds_load_b128 v[2:5], v63
	global_load_b32 v30, v[24:25], off
	s_wait_loadcnt 0x0
	v_and_b32_e32 v14, 0xff, v30
	s_delay_alu instid0(VALU_DEP_1)
	v_cmpx_ne_u16_e32 0, v14
	s_cbranch_execz .LBB168_314
; %bb.307:                              ;   in Loop: Header=BB168_305 Depth=1
	v_mov_b64_e32 v[22:23], 0x80000000
	s_mov_b32 s9, exec_lo
	v_cmpx_ne_u16_e32 0x80, v14
	s_cbranch_execz .LBB168_313
; %bb.308:                              ;   in Loop: Header=BB168_305 Depth=1
	v_mov_b64_e32 v[22:23], 0x7f800001
	v_and_b32_e32 v26, 0x7f, v30
	s_mov_b32 s23, exec_lo
	s_delay_alu instid0(VALU_DEP_1)
	v_cmpx_ne_u32_e32 0x7f, v26
	s_cbranch_execz .LBB168_312
; %bb.309:                              ;   in Loop: Header=BB168_305 Depth=1
	v_and_b32_e32 v14, 7, v30
	v_lshrrev_b32_e32 v22, 3, v26
	s_mov_b32 s24, exec_lo
	v_cmpx_gt_u32_e32 8, v26
; %bb.310:                              ;   in Loop: Header=BB168_305 Depth=1
	s_delay_alu instid0(VALU_DEP_3) | instskip(NEXT) | instid1(VALU_DEP_1)
	v_clz_i32_u32_e32 v22, v14
	v_min_u32_e32 v22, 32, v22
	s_delay_alu instid0(VALU_DEP_1) | instskip(SKIP_1) | instid1(VALU_DEP_2)
	v_subrev_nc_u32_e32 v23, 28, v22
	v_sub_nc_u32_e32 v22, 29, v22
	v_lshlrev_b64_e32 v[26:27], v23, v[14:15]
	s_delay_alu instid0(VALU_DEP_1)
	v_and_b32_e32 v14, 7, v26
; %bb.311:                              ;   in Loop: Header=BB168_305 Depth=1
	s_or_b32 exec_lo, exec_lo, s24
	v_lshlrev_b32_e32 v23, 24, v30
	s_delay_alu instid0(VALU_DEP_2) | instskip(SKIP_1) | instid1(VALU_DEP_3)
	v_lshlrev_b32_e32 v14, 20, v14
	v_lshl_add_u32 v22, v22, 23, 0x3c000000
	v_and_b32_e32 v23, 0x80000000, v23
	s_delay_alu instid0(VALU_DEP_1) | instskip(NEXT) | instid1(VALU_DEP_1)
	v_or3_b32 v14, v14, v23, v22
	v_mov_b64_e32 v[22:23], v[14:15]
.LBB168_312:                            ;   in Loop: Header=BB168_305 Depth=1
	s_or_b32 exec_lo, exec_lo, s23
.LBB168_313:                            ;   in Loop: Header=BB168_305 Depth=1
	s_delay_alu instid0(SALU_CYCLE_1)
	s_or_b32 exec_lo, exec_lo, s9
.LBB168_314:                            ;   in Loop: Header=BB168_305 Depth=1
	s_delay_alu instid0(SALU_CYCLE_1) | instskip(SKIP_2) | instid1(VALU_DEP_1)
	s_or_b32 exec_lo, exec_lo, s0
	v_lshrrev_b16 v14, 8, v30
	s_mov_b32 s0, exec_lo
	v_cmpx_ne_u16_e32 0, v14
	s_cbranch_execz .LBB168_322
; %bb.315:                              ;   in Loop: Header=BB168_305 Depth=1
	v_mov_b64_e32 v[20:21], 0x8000000000000000
	s_mov_b32 s9, exec_lo
	v_cmpx_ne_u16_e32 0x80, v14
	s_cbranch_execz .LBB168_321
; %bb.316:                              ;   in Loop: Header=BB168_305 Depth=1
	v_and_b32_e32 v14, 0xffff, v14
	v_mov_b64_e32 v[20:21], 0x7f80000100000000
	s_mov_b32 s23, exec_lo
	s_delay_alu instid0(VALU_DEP_2) | instskip(NEXT) | instid1(VALU_DEP_1)
	v_and_b32_e32 v26, 0x7f, v14
	v_cmpx_ne_u32_e32 0x7f, v26
	s_cbranch_execz .LBB168_320
; %bb.317:                              ;   in Loop: Header=BB168_305 Depth=1
	v_and_b32_e32 v14, 7, v14
	v_lshrrev_b32_e32 v20, 3, v26
	s_mov_b32 s24, exec_lo
	v_cmpx_gt_u32_e32 8, v26
; %bb.318:                              ;   in Loop: Header=BB168_305 Depth=1
	s_delay_alu instid0(VALU_DEP_3) | instskip(NEXT) | instid1(VALU_DEP_1)
	v_clz_i32_u32_e32 v20, v14
	v_min_u32_e32 v20, 32, v20
	s_delay_alu instid0(VALU_DEP_1) | instskip(NEXT) | instid1(VALU_DEP_1)
	v_subrev_nc_u32_e32 v21, 28, v20
	v_lshlrev_b64_e32 v[26:27], v21, v[14:15]
	s_delay_alu instid0(VALU_DEP_1)
	v_dual_sub_nc_u32 v20, 29, v20 :: v_dual_bitop2_b32 v14, 7, v26 bitop3:0x40
; %bb.319:                              ;   in Loop: Header=BB168_305 Depth=1
	s_or_b32 exec_lo, exec_lo, s24
	v_lshlrev_b32_e32 v21, 16, v30
	s_delay_alu instid0(VALU_DEP_2) | instskip(NEXT) | instid1(VALU_DEP_3)
	v_lshlrev_b32_e32 v14, 20, v14
	v_lshl_add_u32 v20, v20, 23, 0x3c000000
	s_delay_alu instid0(VALU_DEP_3) | instskip(NEXT) | instid1(VALU_DEP_1)
	v_and_b32_e32 v21, 0x80000000, v21
	v_or3_b32 v21, v14, v21, v20
	v_mov_b32_e32 v20, v15
.LBB168_320:                            ;   in Loop: Header=BB168_305 Depth=1
	s_or_b32 exec_lo, exec_lo, s23
.LBB168_321:                            ;   in Loop: Header=BB168_305 Depth=1
	s_delay_alu instid0(SALU_CYCLE_1)
	s_or_b32 exec_lo, exec_lo, s9
.LBB168_322:                            ;   in Loop: Header=BB168_305 Depth=1
	s_delay_alu instid0(SALU_CYCLE_1) | instskip(SKIP_4) | instid1(VALU_DEP_3)
	s_or_b32 exec_lo, exec_lo, s0
	v_lshrrev_b32_e32 v31, 16, v30
	v_mov_b64_e32 v[26:27], 0
	v_mov_b64_e32 v[28:29], 0
	s_mov_b32 s0, exec_lo
	v_and_b32_e32 v14, 0xff, v31
	s_delay_alu instid0(VALU_DEP_1)
	v_cmpx_ne_u16_e32 0, v14
	s_cbranch_execz .LBB168_330
; %bb.323:                              ;   in Loop: Header=BB168_305 Depth=1
	v_mov_b64_e32 v[28:29], 0x80000000
	s_mov_b32 s9, exec_lo
	v_cmpx_ne_u16_e32 0x80, v14
	s_cbranch_execz .LBB168_329
; %bb.324:                              ;   in Loop: Header=BB168_305 Depth=1
	v_mov_b64_e32 v[28:29], 0x7f800001
	v_bfe_u32 v32, v30, 16, 7
	s_mov_b32 s23, exec_lo
	s_delay_alu instid0(VALU_DEP_1)
	v_cmpx_ne_u32_e32 0x7f, v32
	s_cbranch_execz .LBB168_328
; %bb.325:                              ;   in Loop: Header=BB168_305 Depth=1
	v_dual_lshrrev_b32 v28, 3, v32 :: v_dual_bitop2_b32 v14, 7, v31 bitop3:0x40
	s_mov_b32 s24, exec_lo
	v_cmpx_gt_u32_e32 8, v32
; %bb.326:                              ;   in Loop: Header=BB168_305 Depth=1
	s_delay_alu instid0(VALU_DEP_2) | instskip(NEXT) | instid1(VALU_DEP_1)
	v_clz_i32_u32_e32 v28, v14
	v_min_u32_e32 v28, 32, v28
	s_delay_alu instid0(VALU_DEP_1) | instskip(SKIP_1) | instid1(VALU_DEP_2)
	v_subrev_nc_u32_e32 v29, 28, v28
	v_sub_nc_u32_e32 v28, 29, v28
	v_lshlrev_b64_e32 v[32:33], v29, v[14:15]
	s_delay_alu instid0(VALU_DEP_1)
	v_and_b32_e32 v14, 7, v32
; %bb.327:                              ;   in Loop: Header=BB168_305 Depth=1
	s_or_b32 exec_lo, exec_lo, s24
	s_delay_alu instid0(VALU_DEP_1) | instskip(SKIP_1) | instid1(VALU_DEP_2)
	v_dual_lshlrev_b32 v29, 24, v31 :: v_dual_lshlrev_b32 v14, 20, v14
	v_lshl_add_u32 v28, v28, 23, 0x3c000000
	v_and_b32_e32 v29, 0x80000000, v29
	s_delay_alu instid0(VALU_DEP_1) | instskip(NEXT) | instid1(VALU_DEP_1)
	v_or3_b32 v14, v14, v29, v28
	v_mov_b64_e32 v[28:29], v[14:15]
.LBB168_328:                            ;   in Loop: Header=BB168_305 Depth=1
	s_or_b32 exec_lo, exec_lo, s23
.LBB168_329:                            ;   in Loop: Header=BB168_305 Depth=1
	s_delay_alu instid0(SALU_CYCLE_1)
	s_or_b32 exec_lo, exec_lo, s9
.LBB168_330:                            ;   in Loop: Header=BB168_305 Depth=1
	s_delay_alu instid0(SALU_CYCLE_1) | instskip(NEXT) | instid1(SALU_CYCLE_1)
	s_or_b32 exec_lo, exec_lo, s0
	s_mov_b32 s0, exec_lo
	v_cmpx_lt_u32_e32 0xffffff, v30
	s_cbranch_execz .LBB168_338
; %bb.331:                              ;   in Loop: Header=BB168_305 Depth=1
	v_mov_b64_e32 v[26:27], 0x8000000000000000
	v_lshrrev_b32_e32 v31, 24, v30
	s_mov_b32 s9, exec_lo
	s_delay_alu instid0(VALU_DEP_1)
	v_cmpx_ne_u32_e32 0x80, v31
	s_cbranch_execz .LBB168_337
; %bb.332:                              ;   in Loop: Header=BB168_305 Depth=1
	v_mov_b64_e32 v[26:27], 0x7f80000100000000
	v_bfe_u32 v30, v30, 24, 7
	s_mov_b32 s23, exec_lo
	s_delay_alu instid0(VALU_DEP_1)
	v_cmpx_ne_u32_e32 0x7f, v30
	s_cbranch_execz .LBB168_336
; %bb.333:                              ;   in Loop: Header=BB168_305 Depth=1
	v_dual_lshrrev_b32 v26, 3, v30 :: v_dual_bitop2_b32 v14, 7, v31 bitop3:0x40
	s_mov_b32 s24, exec_lo
	v_cmpx_gt_u32_e32 8, v30
; %bb.334:                              ;   in Loop: Header=BB168_305 Depth=1
	s_delay_alu instid0(VALU_DEP_2) | instskip(NEXT) | instid1(VALU_DEP_1)
	v_clz_i32_u32_e32 v26, v14
	v_min_u32_e32 v26, 32, v26
	s_delay_alu instid0(VALU_DEP_1) | instskip(NEXT) | instid1(VALU_DEP_1)
	v_subrev_nc_u32_e32 v27, 28, v26
	v_lshlrev_b64_e32 v[32:33], v27, v[14:15]
	s_delay_alu instid0(VALU_DEP_1)
	v_dual_sub_nc_u32 v26, 29, v26 :: v_dual_bitop2_b32 v14, 7, v32 bitop3:0x40
; %bb.335:                              ;   in Loop: Header=BB168_305 Depth=1
	s_or_b32 exec_lo, exec_lo, s24
	s_delay_alu instid0(VALU_DEP_1) | instskip(NEXT) | instid1(VALU_DEP_2)
	v_dual_lshlrev_b32 v27, 24, v31 :: v_dual_lshlrev_b32 v14, 20, v14
	v_lshl_add_u32 v26, v26, 23, 0x3c000000
	s_delay_alu instid0(VALU_DEP_2) | instskip(NEXT) | instid1(VALU_DEP_1)
	v_and_b32_e32 v27, 0x80000000, v27
	v_or3_b32 v27, v14, v27, v26
	v_mov_b32_e32 v26, v15
.LBB168_336:                            ;   in Loop: Header=BB168_305 Depth=1
	s_or_b32 exec_lo, exec_lo, s23
.LBB168_337:                            ;   in Loop: Header=BB168_305 Depth=1
	s_delay_alu instid0(SALU_CYCLE_1)
	s_or_b32 exec_lo, exec_lo, s9
.LBB168_338:                            ;   in Loop: Header=BB168_305 Depth=1
	s_delay_alu instid0(SALU_CYCLE_1)
	s_or_b32 exec_lo, exec_lo, s0
	v_dual_add_nc_u32 v35, v62, v34 :: v_dual_bitop2_b32 v21, v21, v23 bitop3:0x54
	v_or_b32_e32 v20, v20, v22
	v_or_b32_e32 v27, v27, v29
	;; [unrolled: 1-line block ×3, first 2 shown]
	v_cmp_eq_u32_e32 vcc_lo, s26, v61
	v_add_nc_u32_e32 v64, 1, v35
	s_wait_kmcnt 0x0
	v_pk_mul_f32 v[22:23], s[8:9], v[20:21] op_sel_hi:[0,1]
	v_dual_add_nc_u32 v57, 2, v35 :: v_dual_add_nc_u32 v56, 3, v35
	v_pk_mul_f32 v[20:21], s[8:9], v[26:27] op_sel_hi:[0,1]
	s_and_saveexec_b32 s9, vcc_lo
	s_cbranch_execz .LBB168_340
; %bb.339:                              ;   in Loop: Header=BB168_305 Depth=1
	v_cmp_gt_i32_e64 s0, s34, v35
	s_delay_alu instid0(VALU_DEP_1) | instskip(SKIP_1) | instid1(VALU_DEP_1)
	v_cndmask_b32_e64 v22, 0, v22, s0
	v_cmp_gt_i32_e64 s0, s34, v64
	v_cndmask_b32_e64 v23, 0, v23, s0
	v_cmp_gt_i32_e64 s0, s34, v57
	s_delay_alu instid0(VALU_DEP_1) | instskip(SKIP_1) | instid1(VALU_DEP_1)
	v_cndmask_b32_e64 v20, 0, v20, s0
	v_cmp_gt_i32_e64 s0, s34, v56
	v_cndmask_b32_e64 v21, 0, v21, s0
.LBB168_340:                            ;   in Loop: Header=BB168_305 Depth=1
	s_or_b32 exec_lo, exec_lo, s9
	global_load_b32 v36, v[24:25], off offset:128
	v_mov_b64_e32 v[26:27], 0
	v_mov_b64_e32 v[28:29], 0
	s_mov_b32 s9, exec_lo
	s_wait_loadcnt 0x0
	v_and_b32_e32 v14, 0xff, v36
	s_delay_alu instid0(VALU_DEP_1)
	v_cmpx_ne_u16_e32 0, v14
	s_cbranch_execz .LBB168_348
; %bb.341:                              ;   in Loop: Header=BB168_305 Depth=1
	v_mov_b64_e32 v[28:29], 0x80000000
	s_mov_b32 s23, exec_lo
	v_cmpx_ne_u16_e32 0x80, v14
	s_cbranch_execz .LBB168_347
; %bb.342:                              ;   in Loop: Header=BB168_305 Depth=1
	v_mov_b64_e32 v[28:29], 0x7f800001
	v_and_b32_e32 v30, 0x7f, v36
	s_mov_b32 s24, exec_lo
	s_delay_alu instid0(VALU_DEP_1)
	v_cmpx_ne_u32_e32 0x7f, v30
	s_cbranch_execz .LBB168_346
; %bb.343:                              ;   in Loop: Header=BB168_305 Depth=1
	v_dual_lshrrev_b32 v28, 3, v30 :: v_dual_bitop2_b32 v14, 7, v36 bitop3:0x40
	s_mov_b32 s25, exec_lo
	v_cmpx_gt_u32_e32 8, v30
; %bb.344:                              ;   in Loop: Header=BB168_305 Depth=1
	s_delay_alu instid0(VALU_DEP_2) | instskip(NEXT) | instid1(VALU_DEP_1)
	v_clz_i32_u32_e32 v28, v14
	v_min_u32_e32 v28, 32, v28
	s_delay_alu instid0(VALU_DEP_1) | instskip(NEXT) | instid1(VALU_DEP_1)
	v_subrev_nc_u32_e32 v29, 28, v28
	v_lshlrev_b64_e32 v[30:31], v29, v[14:15]
	s_delay_alu instid0(VALU_DEP_1)
	v_dual_sub_nc_u32 v28, 29, v28 :: v_dual_bitop2_b32 v14, 7, v30 bitop3:0x40
; %bb.345:                              ;   in Loop: Header=BB168_305 Depth=1
	s_or_b32 exec_lo, exec_lo, s25
	s_delay_alu instid0(VALU_DEP_1) | instskip(NEXT) | instid1(VALU_DEP_2)
	v_dual_lshlrev_b32 v29, 24, v36 :: v_dual_lshlrev_b32 v14, 20, v14
	v_lshl_add_u32 v28, v28, 23, 0x3c000000
	s_delay_alu instid0(VALU_DEP_2) | instskip(NEXT) | instid1(VALU_DEP_1)
	v_and_b32_e32 v29, 0x80000000, v29
	v_or3_b32 v14, v14, v29, v28
	s_delay_alu instid0(VALU_DEP_1)
	v_mov_b64_e32 v[28:29], v[14:15]
.LBB168_346:                            ;   in Loop: Header=BB168_305 Depth=1
	s_or_b32 exec_lo, exec_lo, s24
.LBB168_347:                            ;   in Loop: Header=BB168_305 Depth=1
	s_delay_alu instid0(SALU_CYCLE_1)
	s_or_b32 exec_lo, exec_lo, s23
.LBB168_348:                            ;   in Loop: Header=BB168_305 Depth=1
	s_delay_alu instid0(SALU_CYCLE_1) | instskip(SKIP_2) | instid1(VALU_DEP_1)
	s_or_b32 exec_lo, exec_lo, s9
	v_lshrrev_b16 v14, 8, v36
	s_mov_b32 s9, exec_lo
	v_cmpx_ne_u16_e32 0, v14
	s_cbranch_execz .LBB168_356
; %bb.349:                              ;   in Loop: Header=BB168_305 Depth=1
	v_mov_b64_e32 v[26:27], 0x8000000000000000
	s_mov_b32 s23, exec_lo
	v_cmpx_ne_u16_e32 0x80, v14
	s_cbranch_execz .LBB168_355
; %bb.350:                              ;   in Loop: Header=BB168_305 Depth=1
	v_and_b32_e32 v14, 0xffff, v14
	v_mov_b64_e32 v[26:27], 0x7f80000100000000
	s_mov_b32 s24, exec_lo
	s_delay_alu instid0(VALU_DEP_2) | instskip(NEXT) | instid1(VALU_DEP_1)
	v_and_b32_e32 v30, 0x7f, v14
	v_cmpx_ne_u32_e32 0x7f, v30
	s_cbranch_execz .LBB168_354
; %bb.351:                              ;   in Loop: Header=BB168_305 Depth=1
	v_and_b32_e32 v14, 7, v14
	v_lshrrev_b32_e32 v26, 3, v30
	s_mov_b32 s25, exec_lo
	v_cmpx_gt_u32_e32 8, v30
; %bb.352:                              ;   in Loop: Header=BB168_305 Depth=1
	s_delay_alu instid0(VALU_DEP_3) | instskip(NEXT) | instid1(VALU_DEP_1)
	v_clz_i32_u32_e32 v26, v14
	v_min_u32_e32 v26, 32, v26
	s_delay_alu instid0(VALU_DEP_1) | instskip(SKIP_1) | instid1(VALU_DEP_2)
	v_subrev_nc_u32_e32 v27, 28, v26
	v_sub_nc_u32_e32 v26, 29, v26
	v_lshlrev_b64_e32 v[30:31], v27, v[14:15]
	s_delay_alu instid0(VALU_DEP_1)
	v_and_b32_e32 v14, 7, v30
; %bb.353:                              ;   in Loop: Header=BB168_305 Depth=1
	s_or_b32 exec_lo, exec_lo, s25
	s_delay_alu instid0(VALU_DEP_1) | instskip(SKIP_1) | instid1(VALU_DEP_2)
	v_dual_lshlrev_b32 v27, 16, v36 :: v_dual_lshlrev_b32 v14, 20, v14
	v_lshl_add_u32 v26, v26, 23, 0x3c000000
	v_and_b32_e32 v27, 0x80000000, v27
	s_delay_alu instid0(VALU_DEP_1)
	v_or3_b32 v27, v14, v27, v26
	v_mov_b32_e32 v26, v15
.LBB168_354:                            ;   in Loop: Header=BB168_305 Depth=1
	s_or_b32 exec_lo, exec_lo, s24
.LBB168_355:                            ;   in Loop: Header=BB168_305 Depth=1
	s_delay_alu instid0(SALU_CYCLE_1)
	s_or_b32 exec_lo, exec_lo, s23
.LBB168_356:                            ;   in Loop: Header=BB168_305 Depth=1
	s_delay_alu instid0(SALU_CYCLE_1) | instskip(SKIP_4) | instid1(VALU_DEP_3)
	s_or_b32 exec_lo, exec_lo, s9
	v_lshrrev_b32_e32 v37, 16, v36
	v_mov_b64_e32 v[30:31], 0
	v_mov_b64_e32 v[32:33], 0
	s_mov_b32 s9, exec_lo
	v_and_b32_e32 v14, 0xff, v37
	s_delay_alu instid0(VALU_DEP_1)
	v_cmpx_ne_u16_e32 0, v14
	s_cbranch_execz .LBB168_364
; %bb.357:                              ;   in Loop: Header=BB168_305 Depth=1
	v_mov_b64_e32 v[32:33], 0x80000000
	s_mov_b32 s23, exec_lo
	v_cmpx_ne_u16_e32 0x80, v14
	s_cbranch_execz .LBB168_363
; %bb.358:                              ;   in Loop: Header=BB168_305 Depth=1
	v_mov_b64_e32 v[32:33], 0x7f800001
	v_bfe_u32 v38, v36, 16, 7
	s_mov_b32 s24, exec_lo
	s_delay_alu instid0(VALU_DEP_1)
	v_cmpx_ne_u32_e32 0x7f, v38
	s_cbranch_execz .LBB168_362
; %bb.359:                              ;   in Loop: Header=BB168_305 Depth=1
	v_dual_lshrrev_b32 v32, 3, v38 :: v_dual_bitop2_b32 v14, 7, v37 bitop3:0x40
	s_mov_b32 s25, exec_lo
	v_cmpx_gt_u32_e32 8, v38
; %bb.360:                              ;   in Loop: Header=BB168_305 Depth=1
	s_delay_alu instid0(VALU_DEP_2) | instskip(NEXT) | instid1(VALU_DEP_1)
	v_clz_i32_u32_e32 v32, v14
	v_min_u32_e32 v32, 32, v32
	s_delay_alu instid0(VALU_DEP_1) | instskip(NEXT) | instid1(VALU_DEP_1)
	v_subrev_nc_u32_e32 v33, 28, v32
	v_lshlrev_b64_e32 v[38:39], v33, v[14:15]
	s_delay_alu instid0(VALU_DEP_1)
	v_dual_sub_nc_u32 v32, 29, v32 :: v_dual_bitop2_b32 v14, 7, v38 bitop3:0x40
; %bb.361:                              ;   in Loop: Header=BB168_305 Depth=1
	s_or_b32 exec_lo, exec_lo, s25
	s_delay_alu instid0(VALU_DEP_1) | instskip(NEXT) | instid1(VALU_DEP_2)
	v_dual_lshlrev_b32 v33, 24, v37 :: v_dual_lshlrev_b32 v14, 20, v14
	v_lshl_add_u32 v32, v32, 23, 0x3c000000
	s_delay_alu instid0(VALU_DEP_2) | instskip(NEXT) | instid1(VALU_DEP_1)
	v_and_b32_e32 v33, 0x80000000, v33
	v_or3_b32 v14, v14, v33, v32
	s_delay_alu instid0(VALU_DEP_1)
	v_mov_b64_e32 v[32:33], v[14:15]
.LBB168_362:                            ;   in Loop: Header=BB168_305 Depth=1
	s_or_b32 exec_lo, exec_lo, s24
.LBB168_363:                            ;   in Loop: Header=BB168_305 Depth=1
	s_delay_alu instid0(SALU_CYCLE_1)
	s_or_b32 exec_lo, exec_lo, s23
.LBB168_364:                            ;   in Loop: Header=BB168_305 Depth=1
	s_delay_alu instid0(SALU_CYCLE_1) | instskip(NEXT) | instid1(SALU_CYCLE_1)
	s_or_b32 exec_lo, exec_lo, s9
	s_mov_b32 s9, exec_lo
	v_cmpx_lt_u32_e32 0xffffff, v36
	s_cbranch_execz .LBB168_372
; %bb.365:                              ;   in Loop: Header=BB168_305 Depth=1
	v_mov_b64_e32 v[30:31], 0x8000000000000000
	v_lshrrev_b32_e32 v37, 24, v36
	s_mov_b32 s23, exec_lo
	s_delay_alu instid0(VALU_DEP_1)
	v_cmpx_ne_u32_e32 0x80, v37
	s_cbranch_execz .LBB168_371
; %bb.366:                              ;   in Loop: Header=BB168_305 Depth=1
	v_mov_b64_e32 v[30:31], 0x7f80000100000000
	v_bfe_u32 v36, v36, 24, 7
	s_mov_b32 s24, exec_lo
	s_delay_alu instid0(VALU_DEP_1)
	v_cmpx_ne_u32_e32 0x7f, v36
	s_cbranch_execz .LBB168_370
; %bb.367:                              ;   in Loop: Header=BB168_305 Depth=1
	v_dual_lshrrev_b32 v30, 3, v36 :: v_dual_bitop2_b32 v14, 7, v37 bitop3:0x40
	s_mov_b32 s25, exec_lo
	v_cmpx_gt_u32_e32 8, v36
; %bb.368:                              ;   in Loop: Header=BB168_305 Depth=1
	s_delay_alu instid0(VALU_DEP_2) | instskip(NEXT) | instid1(VALU_DEP_1)
	v_clz_i32_u32_e32 v30, v14
	v_min_u32_e32 v30, 32, v30
	s_delay_alu instid0(VALU_DEP_1) | instskip(SKIP_1) | instid1(VALU_DEP_2)
	v_subrev_nc_u32_e32 v31, 28, v30
	v_sub_nc_u32_e32 v30, 29, v30
	v_lshlrev_b64_e32 v[38:39], v31, v[14:15]
	s_delay_alu instid0(VALU_DEP_1)
	v_and_b32_e32 v14, 7, v38
; %bb.369:                              ;   in Loop: Header=BB168_305 Depth=1
	s_or_b32 exec_lo, exec_lo, s25
	s_delay_alu instid0(VALU_DEP_1) | instskip(SKIP_1) | instid1(VALU_DEP_2)
	v_dual_lshlrev_b32 v31, 24, v37 :: v_dual_lshlrev_b32 v14, 20, v14
	v_lshl_add_u32 v30, v30, 23, 0x3c000000
	v_and_b32_e32 v31, 0x80000000, v31
	s_delay_alu instid0(VALU_DEP_1)
	v_or3_b32 v31, v14, v31, v30
	v_mov_b32_e32 v30, v15
.LBB168_370:                            ;   in Loop: Header=BB168_305 Depth=1
	s_or_b32 exec_lo, exec_lo, s24
.LBB168_371:                            ;   in Loop: Header=BB168_305 Depth=1
	s_delay_alu instid0(SALU_CYCLE_1)
	s_or_b32 exec_lo, exec_lo, s23
.LBB168_372:                            ;   in Loop: Header=BB168_305 Depth=1
	s_delay_alu instid0(SALU_CYCLE_1)
	s_or_b32 exec_lo, exec_lo, s9
	s_mov_b32 s9, s8
	v_or_b32_e32 v27, v27, v29
	v_mov_b64_e32 v[36:37], s[8:9]
	v_or_b32_e32 v26, v26, v28
	v_or_b32_e32 v31, v31, v33
	;; [unrolled: 1-line block ×3, first 2 shown]
	s_delay_alu instid0(VALU_DEP_3) | instskip(NEXT) | instid1(VALU_DEP_2)
	v_pk_mul_f32 v[28:29], v[36:37], v[26:27]
	v_pk_mul_f32 v[26:27], v[36:37], v[30:31]
	s_and_saveexec_b32 s23, vcc_lo
	s_cbranch_execz .LBB168_374
; %bb.373:                              ;   in Loop: Header=BB168_305 Depth=1
	v_cmp_gt_i32_e64 s0, s34, v35
	s_delay_alu instid0(VALU_DEP_1) | instskip(SKIP_1) | instid1(VALU_DEP_1)
	v_cndmask_b32_e64 v28, 0, v28, s0
	v_cmp_gt_i32_e64 s0, s34, v64
	v_cndmask_b32_e64 v29, 0, v29, s0
	v_cmp_gt_i32_e64 s0, s34, v57
	s_delay_alu instid0(VALU_DEP_1) | instskip(SKIP_1) | instid1(VALU_DEP_1)
	v_cndmask_b32_e64 v26, 0, v26, s0
	v_cmp_gt_i32_e64 s0, s34, v56
	v_cndmask_b32_e64 v27, 0, v27, s0
.LBB168_374:                            ;   in Loop: Header=BB168_305 Depth=1
	s_or_b32 exec_lo, exec_lo, s23
	global_load_b32 v40, v[24:25], off offset:256
	v_mov_b64_e32 v[30:31], 0
	v_mov_b64_e32 v[32:33], 0
	s_mov_b32 s23, exec_lo
	s_wait_loadcnt 0x0
	v_and_b32_e32 v14, 0xff, v40
	s_delay_alu instid0(VALU_DEP_1)
	v_cmpx_ne_u16_e32 0, v14
	s_cbranch_execz .LBB168_382
; %bb.375:                              ;   in Loop: Header=BB168_305 Depth=1
	v_mov_b64_e32 v[32:33], 0x80000000
	s_mov_b32 s24, exec_lo
	v_cmpx_ne_u16_e32 0x80, v14
	s_cbranch_execz .LBB168_381
; %bb.376:                              ;   in Loop: Header=BB168_305 Depth=1
	v_mov_b64_e32 v[32:33], 0x7f800001
	v_and_b32_e32 v36, 0x7f, v40
	s_mov_b32 s25, exec_lo
	s_delay_alu instid0(VALU_DEP_1)
	v_cmpx_ne_u32_e32 0x7f, v36
	s_cbranch_execz .LBB168_380
; %bb.377:                              ;   in Loop: Header=BB168_305 Depth=1
	v_and_b32_e32 v14, 7, v40
	v_lshrrev_b32_e32 v32, 3, v36
	s_mov_b32 s27, exec_lo
	v_cmpx_gt_u32_e32 8, v36
; %bb.378:                              ;   in Loop: Header=BB168_305 Depth=1
	s_delay_alu instid0(VALU_DEP_3) | instskip(NEXT) | instid1(VALU_DEP_1)
	v_clz_i32_u32_e32 v32, v14
	v_min_u32_e32 v32, 32, v32
	s_delay_alu instid0(VALU_DEP_1) | instskip(SKIP_1) | instid1(VALU_DEP_2)
	v_subrev_nc_u32_e32 v33, 28, v32
	v_sub_nc_u32_e32 v32, 29, v32
	v_lshlrev_b64_e32 v[36:37], v33, v[14:15]
	s_delay_alu instid0(VALU_DEP_1)
	v_and_b32_e32 v14, 7, v36
; %bb.379:                              ;   in Loop: Header=BB168_305 Depth=1
	s_or_b32 exec_lo, exec_lo, s27
	s_delay_alu instid0(VALU_DEP_1) | instskip(SKIP_1) | instid1(VALU_DEP_2)
	v_dual_lshlrev_b32 v33, 24, v40 :: v_dual_lshlrev_b32 v14, 20, v14
	v_lshl_add_u32 v32, v32, 23, 0x3c000000
	v_and_b32_e32 v33, 0x80000000, v33
	s_delay_alu instid0(VALU_DEP_1) | instskip(NEXT) | instid1(VALU_DEP_1)
	v_or3_b32 v14, v14, v33, v32
	v_mov_b64_e32 v[32:33], v[14:15]
.LBB168_380:                            ;   in Loop: Header=BB168_305 Depth=1
	s_or_b32 exec_lo, exec_lo, s25
.LBB168_381:                            ;   in Loop: Header=BB168_305 Depth=1
	s_delay_alu instid0(SALU_CYCLE_1)
	s_or_b32 exec_lo, exec_lo, s24
.LBB168_382:                            ;   in Loop: Header=BB168_305 Depth=1
	s_delay_alu instid0(SALU_CYCLE_1) | instskip(SKIP_2) | instid1(VALU_DEP_1)
	s_or_b32 exec_lo, exec_lo, s23
	v_lshrrev_b16 v14, 8, v40
	s_mov_b32 s23, exec_lo
	v_cmpx_ne_u16_e32 0, v14
	s_cbranch_execz .LBB168_390
; %bb.383:                              ;   in Loop: Header=BB168_305 Depth=1
	v_mov_b64_e32 v[30:31], 0x8000000000000000
	s_mov_b32 s24, exec_lo
	v_cmpx_ne_u16_e32 0x80, v14
	s_cbranch_execz .LBB168_389
; %bb.384:                              ;   in Loop: Header=BB168_305 Depth=1
	v_and_b32_e32 v14, 0xffff, v14
	v_mov_b64_e32 v[30:31], 0x7f80000100000000
	s_mov_b32 s25, exec_lo
	s_delay_alu instid0(VALU_DEP_2) | instskip(NEXT) | instid1(VALU_DEP_1)
	v_and_b32_e32 v36, 0x7f, v14
	v_cmpx_ne_u32_e32 0x7f, v36
	s_cbranch_execz .LBB168_388
; %bb.385:                              ;   in Loop: Header=BB168_305 Depth=1
	v_dual_lshrrev_b32 v30, 3, v36 :: v_dual_bitop2_b32 v14, 7, v14 bitop3:0x40
	s_mov_b32 s27, exec_lo
	v_cmpx_gt_u32_e32 8, v36
; %bb.386:                              ;   in Loop: Header=BB168_305 Depth=1
	s_delay_alu instid0(VALU_DEP_2) | instskip(NEXT) | instid1(VALU_DEP_1)
	v_clz_i32_u32_e32 v30, v14
	v_min_u32_e32 v30, 32, v30
	s_delay_alu instid0(VALU_DEP_1) | instskip(NEXT) | instid1(VALU_DEP_1)
	v_subrev_nc_u32_e32 v31, 28, v30
	v_lshlrev_b64_e32 v[36:37], v31, v[14:15]
	s_delay_alu instid0(VALU_DEP_1)
	v_dual_sub_nc_u32 v30, 29, v30 :: v_dual_bitop2_b32 v14, 7, v36 bitop3:0x40
; %bb.387:                              ;   in Loop: Header=BB168_305 Depth=1
	s_or_b32 exec_lo, exec_lo, s27
	s_delay_alu instid0(VALU_DEP_1) | instskip(NEXT) | instid1(VALU_DEP_2)
	v_dual_lshlrev_b32 v31, 16, v40 :: v_dual_lshlrev_b32 v14, 20, v14
	v_lshl_add_u32 v30, v30, 23, 0x3c000000
	s_delay_alu instid0(VALU_DEP_2) | instskip(NEXT) | instid1(VALU_DEP_1)
	v_and_b32_e32 v31, 0x80000000, v31
	v_or3_b32 v31, v14, v31, v30
	v_mov_b32_e32 v30, v15
.LBB168_388:                            ;   in Loop: Header=BB168_305 Depth=1
	s_or_b32 exec_lo, exec_lo, s25
.LBB168_389:                            ;   in Loop: Header=BB168_305 Depth=1
	s_delay_alu instid0(SALU_CYCLE_1)
	s_or_b32 exec_lo, exec_lo, s24
.LBB168_390:                            ;   in Loop: Header=BB168_305 Depth=1
	s_delay_alu instid0(SALU_CYCLE_1) | instskip(SKIP_4) | instid1(VALU_DEP_3)
	s_or_b32 exec_lo, exec_lo, s23
	v_lshrrev_b32_e32 v41, 16, v40
	v_mov_b64_e32 v[36:37], 0
	v_mov_b64_e32 v[38:39], 0
	s_mov_b32 s23, exec_lo
	v_and_b32_e32 v14, 0xff, v41
	s_delay_alu instid0(VALU_DEP_1)
	v_cmpx_ne_u16_e32 0, v14
	s_cbranch_execz .LBB168_398
; %bb.391:                              ;   in Loop: Header=BB168_305 Depth=1
	v_mov_b64_e32 v[38:39], 0x80000000
	s_mov_b32 s24, exec_lo
	v_cmpx_ne_u16_e32 0x80, v14
	s_cbranch_execz .LBB168_397
; %bb.392:                              ;   in Loop: Header=BB168_305 Depth=1
	v_mov_b64_e32 v[38:39], 0x7f800001
	v_bfe_u32 v42, v40, 16, 7
	s_mov_b32 s25, exec_lo
	s_delay_alu instid0(VALU_DEP_1)
	v_cmpx_ne_u32_e32 0x7f, v42
	s_cbranch_execz .LBB168_396
; %bb.393:                              ;   in Loop: Header=BB168_305 Depth=1
	v_dual_lshrrev_b32 v38, 3, v42 :: v_dual_bitop2_b32 v14, 7, v41 bitop3:0x40
	s_mov_b32 s27, exec_lo
	v_cmpx_gt_u32_e32 8, v42
; %bb.394:                              ;   in Loop: Header=BB168_305 Depth=1
	s_delay_alu instid0(VALU_DEP_2) | instskip(NEXT) | instid1(VALU_DEP_1)
	v_clz_i32_u32_e32 v38, v14
	v_min_u32_e32 v38, 32, v38
	s_delay_alu instid0(VALU_DEP_1) | instskip(SKIP_1) | instid1(VALU_DEP_2)
	v_subrev_nc_u32_e32 v39, 28, v38
	v_sub_nc_u32_e32 v38, 29, v38
	v_lshlrev_b64_e32 v[42:43], v39, v[14:15]
	s_delay_alu instid0(VALU_DEP_1)
	v_and_b32_e32 v14, 7, v42
; %bb.395:                              ;   in Loop: Header=BB168_305 Depth=1
	s_or_b32 exec_lo, exec_lo, s27
	s_delay_alu instid0(VALU_DEP_1) | instskip(SKIP_1) | instid1(VALU_DEP_2)
	v_dual_lshlrev_b32 v39, 24, v41 :: v_dual_lshlrev_b32 v14, 20, v14
	v_lshl_add_u32 v38, v38, 23, 0x3c000000
	v_and_b32_e32 v39, 0x80000000, v39
	s_delay_alu instid0(VALU_DEP_1) | instskip(NEXT) | instid1(VALU_DEP_1)
	v_or3_b32 v14, v14, v39, v38
	v_mov_b64_e32 v[38:39], v[14:15]
.LBB168_396:                            ;   in Loop: Header=BB168_305 Depth=1
	s_or_b32 exec_lo, exec_lo, s25
.LBB168_397:                            ;   in Loop: Header=BB168_305 Depth=1
	s_delay_alu instid0(SALU_CYCLE_1)
	s_or_b32 exec_lo, exec_lo, s24
.LBB168_398:                            ;   in Loop: Header=BB168_305 Depth=1
	s_delay_alu instid0(SALU_CYCLE_1) | instskip(NEXT) | instid1(SALU_CYCLE_1)
	s_or_b32 exec_lo, exec_lo, s23
	s_mov_b32 s23, exec_lo
	v_cmpx_lt_u32_e32 0xffffff, v40
	s_cbranch_execz .LBB168_406
; %bb.399:                              ;   in Loop: Header=BB168_305 Depth=1
	v_mov_b64_e32 v[36:37], 0x8000000000000000
	v_lshrrev_b32_e32 v41, 24, v40
	s_mov_b32 s24, exec_lo
	s_delay_alu instid0(VALU_DEP_1)
	v_cmpx_ne_u32_e32 0x80, v41
	s_cbranch_execz .LBB168_405
; %bb.400:                              ;   in Loop: Header=BB168_305 Depth=1
	v_mov_b64_e32 v[36:37], 0x7f80000100000000
	v_bfe_u32 v40, v40, 24, 7
	s_mov_b32 s25, exec_lo
	s_delay_alu instid0(VALU_DEP_1)
	v_cmpx_ne_u32_e32 0x7f, v40
	s_cbranch_execz .LBB168_404
; %bb.401:                              ;   in Loop: Header=BB168_305 Depth=1
	v_dual_lshrrev_b32 v36, 3, v40 :: v_dual_bitop2_b32 v14, 7, v41 bitop3:0x40
	s_mov_b32 s27, exec_lo
	v_cmpx_gt_u32_e32 8, v40
; %bb.402:                              ;   in Loop: Header=BB168_305 Depth=1
	s_delay_alu instid0(VALU_DEP_2) | instskip(NEXT) | instid1(VALU_DEP_1)
	v_clz_i32_u32_e32 v36, v14
	v_min_u32_e32 v36, 32, v36
	s_delay_alu instid0(VALU_DEP_1) | instskip(NEXT) | instid1(VALU_DEP_1)
	v_subrev_nc_u32_e32 v37, 28, v36
	v_lshlrev_b64_e32 v[42:43], v37, v[14:15]
	s_delay_alu instid0(VALU_DEP_1)
	v_dual_sub_nc_u32 v36, 29, v36 :: v_dual_bitop2_b32 v14, 7, v42 bitop3:0x40
; %bb.403:                              ;   in Loop: Header=BB168_305 Depth=1
	s_or_b32 exec_lo, exec_lo, s27
	s_delay_alu instid0(VALU_DEP_1) | instskip(NEXT) | instid1(VALU_DEP_2)
	v_dual_lshlrev_b32 v37, 24, v41 :: v_dual_lshlrev_b32 v14, 20, v14
	v_lshl_add_u32 v36, v36, 23, 0x3c000000
	s_delay_alu instid0(VALU_DEP_2) | instskip(NEXT) | instid1(VALU_DEP_1)
	v_and_b32_e32 v37, 0x80000000, v37
	v_or3_b32 v37, v14, v37, v36
	v_mov_b32_e32 v36, v15
.LBB168_404:                            ;   in Loop: Header=BB168_305 Depth=1
	s_or_b32 exec_lo, exec_lo, s25
.LBB168_405:                            ;   in Loop: Header=BB168_305 Depth=1
	s_delay_alu instid0(SALU_CYCLE_1)
	s_or_b32 exec_lo, exec_lo, s24
.LBB168_406:                            ;   in Loop: Header=BB168_305 Depth=1
	s_delay_alu instid0(SALU_CYCLE_1)
	s_or_b32 exec_lo, exec_lo, s23
	v_mov_b64_e32 v[40:41], s[8:9]
	v_or_b32_e32 v31, v31, v33
	v_or_b32_e32 v30, v30, v32
	;; [unrolled: 1-line block ×4, first 2 shown]
	s_delay_alu instid0(VALU_DEP_3) | instskip(NEXT) | instid1(VALU_DEP_2)
	v_pk_mul_f32 v[32:33], v[40:41], v[30:31]
	v_pk_mul_f32 v[30:31], v[40:41], v[36:37]
	s_and_saveexec_b32 s23, vcc_lo
	s_cbranch_execz .LBB168_408
; %bb.407:                              ;   in Loop: Header=BB168_305 Depth=1
	v_cmp_gt_i32_e64 s0, s34, v35
	s_delay_alu instid0(VALU_DEP_1) | instskip(SKIP_1) | instid1(VALU_DEP_1)
	v_cndmask_b32_e64 v32, 0, v32, s0
	v_cmp_gt_i32_e64 s0, s34, v64
	v_cndmask_b32_e64 v33, 0, v33, s0
	v_cmp_gt_i32_e64 s0, s34, v57
	s_delay_alu instid0(VALU_DEP_1) | instskip(SKIP_1) | instid1(VALU_DEP_1)
	v_cndmask_b32_e64 v30, 0, v30, s0
	v_cmp_gt_i32_e64 s0, s34, v56
	v_cndmask_b32_e64 v31, 0, v31, s0
.LBB168_408:                            ;   in Loop: Header=BB168_305 Depth=1
	s_or_b32 exec_lo, exec_lo, s23
	global_load_b32 v44, v[24:25], off offset:384
	v_mov_b64_e32 v[36:37], 0
	v_mov_b64_e32 v[38:39], 0
	s_mov_b32 s23, exec_lo
	s_wait_loadcnt 0x0
	v_and_b32_e32 v14, 0xff, v44
	s_delay_alu instid0(VALU_DEP_1)
	v_cmpx_ne_u16_e32 0, v14
	s_cbranch_execz .LBB168_416
; %bb.409:                              ;   in Loop: Header=BB168_305 Depth=1
	v_mov_b64_e32 v[38:39], 0x80000000
	s_mov_b32 s24, exec_lo
	v_cmpx_ne_u16_e32 0x80, v14
	s_cbranch_execz .LBB168_415
; %bb.410:                              ;   in Loop: Header=BB168_305 Depth=1
	v_mov_b64_e32 v[38:39], 0x7f800001
	v_and_b32_e32 v40, 0x7f, v44
	s_mov_b32 s25, exec_lo
	s_delay_alu instid0(VALU_DEP_1)
	v_cmpx_ne_u32_e32 0x7f, v40
	s_cbranch_execz .LBB168_414
; %bb.411:                              ;   in Loop: Header=BB168_305 Depth=1
	v_and_b32_e32 v14, 7, v44
	v_lshrrev_b32_e32 v38, 3, v40
	s_mov_b32 s27, exec_lo
	v_cmpx_gt_u32_e32 8, v40
; %bb.412:                              ;   in Loop: Header=BB168_305 Depth=1
	s_delay_alu instid0(VALU_DEP_3) | instskip(NEXT) | instid1(VALU_DEP_1)
	v_clz_i32_u32_e32 v38, v14
	v_min_u32_e32 v38, 32, v38
	s_delay_alu instid0(VALU_DEP_1) | instskip(NEXT) | instid1(VALU_DEP_1)
	v_subrev_nc_u32_e32 v39, 28, v38
	v_lshlrev_b64_e32 v[40:41], v39, v[14:15]
	s_delay_alu instid0(VALU_DEP_1)
	v_dual_sub_nc_u32 v38, 29, v38 :: v_dual_bitop2_b32 v14, 7, v40 bitop3:0x40
; %bb.413:                              ;   in Loop: Header=BB168_305 Depth=1
	s_or_b32 exec_lo, exec_lo, s27
	s_delay_alu instid0(VALU_DEP_1) | instskip(NEXT) | instid1(VALU_DEP_2)
	v_dual_lshlrev_b32 v39, 24, v44 :: v_dual_lshlrev_b32 v14, 20, v14
	v_lshl_add_u32 v38, v38, 23, 0x3c000000
	s_delay_alu instid0(VALU_DEP_2) | instskip(NEXT) | instid1(VALU_DEP_1)
	v_and_b32_e32 v39, 0x80000000, v39
	v_or3_b32 v14, v14, v39, v38
	s_delay_alu instid0(VALU_DEP_1)
	v_mov_b64_e32 v[38:39], v[14:15]
.LBB168_414:                            ;   in Loop: Header=BB168_305 Depth=1
	s_or_b32 exec_lo, exec_lo, s25
.LBB168_415:                            ;   in Loop: Header=BB168_305 Depth=1
	s_delay_alu instid0(SALU_CYCLE_1)
	s_or_b32 exec_lo, exec_lo, s24
.LBB168_416:                            ;   in Loop: Header=BB168_305 Depth=1
	s_delay_alu instid0(SALU_CYCLE_1) | instskip(SKIP_2) | instid1(VALU_DEP_1)
	s_or_b32 exec_lo, exec_lo, s23
	v_lshrrev_b16 v14, 8, v44
	s_mov_b32 s23, exec_lo
	v_cmpx_ne_u16_e32 0, v14
	s_cbranch_execz .LBB168_424
; %bb.417:                              ;   in Loop: Header=BB168_305 Depth=1
	v_mov_b64_e32 v[36:37], 0x8000000000000000
	s_mov_b32 s24, exec_lo
	v_cmpx_ne_u16_e32 0x80, v14
	s_cbranch_execz .LBB168_423
; %bb.418:                              ;   in Loop: Header=BB168_305 Depth=1
	v_and_b32_e32 v14, 0xffff, v14
	v_mov_b64_e32 v[36:37], 0x7f80000100000000
	s_mov_b32 s25, exec_lo
	s_delay_alu instid0(VALU_DEP_2) | instskip(NEXT) | instid1(VALU_DEP_1)
	v_and_b32_e32 v40, 0x7f, v14
	v_cmpx_ne_u32_e32 0x7f, v40
	s_cbranch_execz .LBB168_422
; %bb.419:                              ;   in Loop: Header=BB168_305 Depth=1
	v_dual_lshrrev_b32 v36, 3, v40 :: v_dual_bitop2_b32 v14, 7, v14 bitop3:0x40
	s_mov_b32 s27, exec_lo
	v_cmpx_gt_u32_e32 8, v40
; %bb.420:                              ;   in Loop: Header=BB168_305 Depth=1
	s_delay_alu instid0(VALU_DEP_2) | instskip(NEXT) | instid1(VALU_DEP_1)
	v_clz_i32_u32_e32 v36, v14
	v_min_u32_e32 v36, 32, v36
	s_delay_alu instid0(VALU_DEP_1) | instskip(SKIP_1) | instid1(VALU_DEP_2)
	v_subrev_nc_u32_e32 v37, 28, v36
	v_sub_nc_u32_e32 v36, 29, v36
	v_lshlrev_b64_e32 v[40:41], v37, v[14:15]
	s_delay_alu instid0(VALU_DEP_1)
	v_and_b32_e32 v14, 7, v40
; %bb.421:                              ;   in Loop: Header=BB168_305 Depth=1
	s_or_b32 exec_lo, exec_lo, s27
	s_delay_alu instid0(VALU_DEP_1) | instskip(SKIP_1) | instid1(VALU_DEP_2)
	v_dual_lshlrev_b32 v37, 16, v44 :: v_dual_lshlrev_b32 v14, 20, v14
	v_lshl_add_u32 v36, v36, 23, 0x3c000000
	v_and_b32_e32 v37, 0x80000000, v37
	s_delay_alu instid0(VALU_DEP_1)
	v_or3_b32 v37, v14, v37, v36
	v_mov_b32_e32 v36, v15
.LBB168_422:                            ;   in Loop: Header=BB168_305 Depth=1
	s_or_b32 exec_lo, exec_lo, s25
.LBB168_423:                            ;   in Loop: Header=BB168_305 Depth=1
	s_delay_alu instid0(SALU_CYCLE_1)
	s_or_b32 exec_lo, exec_lo, s24
.LBB168_424:                            ;   in Loop: Header=BB168_305 Depth=1
	s_delay_alu instid0(SALU_CYCLE_1) | instskip(SKIP_4) | instid1(VALU_DEP_3)
	s_or_b32 exec_lo, exec_lo, s23
	v_lshrrev_b32_e32 v45, 16, v44
	v_mov_b64_e32 v[40:41], 0
	v_mov_b64_e32 v[42:43], 0
	s_mov_b32 s23, exec_lo
	v_and_b32_e32 v14, 0xff, v45
	s_delay_alu instid0(VALU_DEP_1)
	v_cmpx_ne_u16_e32 0, v14
	s_cbranch_execz .LBB168_432
; %bb.425:                              ;   in Loop: Header=BB168_305 Depth=1
	v_mov_b64_e32 v[42:43], 0x80000000
	s_mov_b32 s24, exec_lo
	v_cmpx_ne_u16_e32 0x80, v14
	s_cbranch_execz .LBB168_431
; %bb.426:                              ;   in Loop: Header=BB168_305 Depth=1
	v_mov_b64_e32 v[42:43], 0x7f800001
	v_bfe_u32 v46, v44, 16, 7
	s_mov_b32 s25, exec_lo
	s_delay_alu instid0(VALU_DEP_1)
	v_cmpx_ne_u32_e32 0x7f, v46
	s_cbranch_execz .LBB168_430
; %bb.427:                              ;   in Loop: Header=BB168_305 Depth=1
	v_dual_lshrrev_b32 v42, 3, v46 :: v_dual_bitop2_b32 v14, 7, v45 bitop3:0x40
	s_mov_b32 s27, exec_lo
	v_cmpx_gt_u32_e32 8, v46
; %bb.428:                              ;   in Loop: Header=BB168_305 Depth=1
	s_delay_alu instid0(VALU_DEP_2) | instskip(NEXT) | instid1(VALU_DEP_1)
	v_clz_i32_u32_e32 v42, v14
	v_min_u32_e32 v42, 32, v42
	s_delay_alu instid0(VALU_DEP_1) | instskip(SKIP_1) | instid1(VALU_DEP_2)
	v_subrev_nc_u32_e32 v43, 28, v42
	v_sub_nc_u32_e32 v42, 29, v42
	v_lshlrev_b64_e32 v[46:47], v43, v[14:15]
	s_delay_alu instid0(VALU_DEP_1)
	v_and_b32_e32 v14, 7, v46
; %bb.429:                              ;   in Loop: Header=BB168_305 Depth=1
	s_or_b32 exec_lo, exec_lo, s27
	s_delay_alu instid0(VALU_DEP_1) | instskip(SKIP_1) | instid1(VALU_DEP_2)
	v_dual_lshlrev_b32 v43, 24, v45 :: v_dual_lshlrev_b32 v14, 20, v14
	v_lshl_add_u32 v42, v42, 23, 0x3c000000
	v_and_b32_e32 v43, 0x80000000, v43
	s_delay_alu instid0(VALU_DEP_1) | instskip(NEXT) | instid1(VALU_DEP_1)
	v_or3_b32 v14, v14, v43, v42
	v_mov_b64_e32 v[42:43], v[14:15]
.LBB168_430:                            ;   in Loop: Header=BB168_305 Depth=1
	s_or_b32 exec_lo, exec_lo, s25
.LBB168_431:                            ;   in Loop: Header=BB168_305 Depth=1
	s_delay_alu instid0(SALU_CYCLE_1)
	s_or_b32 exec_lo, exec_lo, s24
.LBB168_432:                            ;   in Loop: Header=BB168_305 Depth=1
	s_delay_alu instid0(SALU_CYCLE_1) | instskip(NEXT) | instid1(SALU_CYCLE_1)
	s_or_b32 exec_lo, exec_lo, s23
	s_mov_b32 s23, exec_lo
	v_cmpx_lt_u32_e32 0xffffff, v44
	s_cbranch_execz .LBB168_440
; %bb.433:                              ;   in Loop: Header=BB168_305 Depth=1
	v_mov_b64_e32 v[40:41], 0x8000000000000000
	v_lshrrev_b32_e32 v45, 24, v44
	s_mov_b32 s24, exec_lo
	s_delay_alu instid0(VALU_DEP_1)
	v_cmpx_ne_u32_e32 0x80, v45
	s_cbranch_execz .LBB168_439
; %bb.434:                              ;   in Loop: Header=BB168_305 Depth=1
	v_mov_b64_e32 v[40:41], 0x7f80000100000000
	v_bfe_u32 v44, v44, 24, 7
	s_mov_b32 s25, exec_lo
	s_delay_alu instid0(VALU_DEP_1)
	v_cmpx_ne_u32_e32 0x7f, v44
	s_cbranch_execz .LBB168_438
; %bb.435:                              ;   in Loop: Header=BB168_305 Depth=1
	v_dual_lshrrev_b32 v40, 3, v44 :: v_dual_bitop2_b32 v14, 7, v45 bitop3:0x40
	s_mov_b32 s27, exec_lo
	v_cmpx_gt_u32_e32 8, v44
; %bb.436:                              ;   in Loop: Header=BB168_305 Depth=1
	s_delay_alu instid0(VALU_DEP_2) | instskip(NEXT) | instid1(VALU_DEP_1)
	v_clz_i32_u32_e32 v40, v14
	v_min_u32_e32 v40, 32, v40
	s_delay_alu instid0(VALU_DEP_1) | instskip(NEXT) | instid1(VALU_DEP_1)
	v_subrev_nc_u32_e32 v41, 28, v40
	v_lshlrev_b64_e32 v[46:47], v41, v[14:15]
	s_delay_alu instid0(VALU_DEP_1)
	v_dual_sub_nc_u32 v40, 29, v40 :: v_dual_bitop2_b32 v14, 7, v46 bitop3:0x40
; %bb.437:                              ;   in Loop: Header=BB168_305 Depth=1
	s_or_b32 exec_lo, exec_lo, s27
	s_delay_alu instid0(VALU_DEP_1) | instskip(NEXT) | instid1(VALU_DEP_2)
	v_dual_lshlrev_b32 v41, 24, v45 :: v_dual_lshlrev_b32 v14, 20, v14
	v_lshl_add_u32 v40, v40, 23, 0x3c000000
	s_delay_alu instid0(VALU_DEP_2) | instskip(NEXT) | instid1(VALU_DEP_1)
	v_and_b32_e32 v41, 0x80000000, v41
	v_or3_b32 v41, v14, v41, v40
	v_mov_b32_e32 v40, v15
.LBB168_438:                            ;   in Loop: Header=BB168_305 Depth=1
	s_or_b32 exec_lo, exec_lo, s25
.LBB168_439:                            ;   in Loop: Header=BB168_305 Depth=1
	s_delay_alu instid0(SALU_CYCLE_1)
	s_or_b32 exec_lo, exec_lo, s24
.LBB168_440:                            ;   in Loop: Header=BB168_305 Depth=1
	s_delay_alu instid0(SALU_CYCLE_1)
	s_or_b32 exec_lo, exec_lo, s23
	v_mov_b64_e32 v[44:45], s[8:9]
	v_or_b32_e32 v37, v37, v39
	v_or_b32_e32 v36, v36, v38
	;; [unrolled: 1-line block ×4, first 2 shown]
	s_delay_alu instid0(VALU_DEP_3) | instskip(NEXT) | instid1(VALU_DEP_2)
	v_pk_mul_f32 v[38:39], v[44:45], v[36:37]
	v_pk_mul_f32 v[36:37], v[44:45], v[40:41]
	s_and_saveexec_b32 s23, vcc_lo
	s_cbranch_execz .LBB168_442
; %bb.441:                              ;   in Loop: Header=BB168_305 Depth=1
	v_cmp_gt_i32_e64 s0, s34, v35
	s_delay_alu instid0(VALU_DEP_1) | instskip(SKIP_1) | instid1(VALU_DEP_1)
	v_cndmask_b32_e64 v38, 0, v38, s0
	v_cmp_gt_i32_e64 s0, s34, v64
	v_cndmask_b32_e64 v39, 0, v39, s0
	v_cmp_gt_i32_e64 s0, s34, v57
	s_delay_alu instid0(VALU_DEP_1) | instskip(SKIP_1) | instid1(VALU_DEP_1)
	v_cndmask_b32_e64 v36, 0, v36, s0
	v_cmp_gt_i32_e64 s0, s34, v56
	v_cndmask_b32_e64 v37, 0, v37, s0
.LBB168_442:                            ;   in Loop: Header=BB168_305 Depth=1
	s_or_b32 exec_lo, exec_lo, s23
	global_load_b32 v48, v[24:25], off offset:512
	v_mov_b64_e32 v[40:41], 0
	v_mov_b64_e32 v[42:43], 0
	s_mov_b32 s23, exec_lo
	s_wait_loadcnt 0x0
	v_and_b32_e32 v14, 0xff, v48
	s_delay_alu instid0(VALU_DEP_1)
	v_cmpx_ne_u16_e32 0, v14
	s_cbranch_execz .LBB168_450
; %bb.443:                              ;   in Loop: Header=BB168_305 Depth=1
	v_mov_b64_e32 v[42:43], 0x80000000
	s_mov_b32 s24, exec_lo
	v_cmpx_ne_u16_e32 0x80, v14
	s_cbranch_execz .LBB168_449
; %bb.444:                              ;   in Loop: Header=BB168_305 Depth=1
	v_mov_b64_e32 v[42:43], 0x7f800001
	v_and_b32_e32 v44, 0x7f, v48
	s_mov_b32 s25, exec_lo
	s_delay_alu instid0(VALU_DEP_1)
	v_cmpx_ne_u32_e32 0x7f, v44
	s_cbranch_execz .LBB168_448
; %bb.445:                              ;   in Loop: Header=BB168_305 Depth=1
	v_and_b32_e32 v14, 7, v48
	v_lshrrev_b32_e32 v42, 3, v44
	s_mov_b32 s27, exec_lo
	v_cmpx_gt_u32_e32 8, v44
; %bb.446:                              ;   in Loop: Header=BB168_305 Depth=1
	s_delay_alu instid0(VALU_DEP_3) | instskip(NEXT) | instid1(VALU_DEP_1)
	v_clz_i32_u32_e32 v42, v14
	v_min_u32_e32 v42, 32, v42
	s_delay_alu instid0(VALU_DEP_1) | instskip(NEXT) | instid1(VALU_DEP_1)
	v_subrev_nc_u32_e32 v43, 28, v42
	v_lshlrev_b64_e32 v[44:45], v43, v[14:15]
	s_delay_alu instid0(VALU_DEP_1)
	v_dual_sub_nc_u32 v42, 29, v42 :: v_dual_bitop2_b32 v14, 7, v44 bitop3:0x40
; %bb.447:                              ;   in Loop: Header=BB168_305 Depth=1
	s_or_b32 exec_lo, exec_lo, s27
	s_delay_alu instid0(VALU_DEP_1) | instskip(NEXT) | instid1(VALU_DEP_2)
	v_dual_lshlrev_b32 v43, 24, v48 :: v_dual_lshlrev_b32 v14, 20, v14
	v_lshl_add_u32 v42, v42, 23, 0x3c000000
	s_delay_alu instid0(VALU_DEP_2) | instskip(NEXT) | instid1(VALU_DEP_1)
	v_and_b32_e32 v43, 0x80000000, v43
	v_or3_b32 v14, v14, v43, v42
	s_delay_alu instid0(VALU_DEP_1)
	v_mov_b64_e32 v[42:43], v[14:15]
.LBB168_448:                            ;   in Loop: Header=BB168_305 Depth=1
	s_or_b32 exec_lo, exec_lo, s25
.LBB168_449:                            ;   in Loop: Header=BB168_305 Depth=1
	s_delay_alu instid0(SALU_CYCLE_1)
	s_or_b32 exec_lo, exec_lo, s24
.LBB168_450:                            ;   in Loop: Header=BB168_305 Depth=1
	s_delay_alu instid0(SALU_CYCLE_1) | instskip(SKIP_2) | instid1(VALU_DEP_1)
	s_or_b32 exec_lo, exec_lo, s23
	v_lshrrev_b16 v14, 8, v48
	s_mov_b32 s23, exec_lo
	v_cmpx_ne_u16_e32 0, v14
	s_cbranch_execz .LBB168_458
; %bb.451:                              ;   in Loop: Header=BB168_305 Depth=1
	v_mov_b64_e32 v[40:41], 0x8000000000000000
	s_mov_b32 s24, exec_lo
	v_cmpx_ne_u16_e32 0x80, v14
	s_cbranch_execz .LBB168_457
; %bb.452:                              ;   in Loop: Header=BB168_305 Depth=1
	v_and_b32_e32 v14, 0xffff, v14
	v_mov_b64_e32 v[40:41], 0x7f80000100000000
	s_mov_b32 s25, exec_lo
	s_delay_alu instid0(VALU_DEP_2) | instskip(NEXT) | instid1(VALU_DEP_1)
	v_and_b32_e32 v44, 0x7f, v14
	v_cmpx_ne_u32_e32 0x7f, v44
	s_cbranch_execz .LBB168_456
; %bb.453:                              ;   in Loop: Header=BB168_305 Depth=1
	v_dual_lshrrev_b32 v40, 3, v44 :: v_dual_bitop2_b32 v14, 7, v14 bitop3:0x40
	s_mov_b32 s27, exec_lo
	v_cmpx_gt_u32_e32 8, v44
; %bb.454:                              ;   in Loop: Header=BB168_305 Depth=1
	s_delay_alu instid0(VALU_DEP_2) | instskip(NEXT) | instid1(VALU_DEP_1)
	v_clz_i32_u32_e32 v40, v14
	v_min_u32_e32 v40, 32, v40
	s_delay_alu instid0(VALU_DEP_1) | instskip(SKIP_1) | instid1(VALU_DEP_2)
	v_subrev_nc_u32_e32 v41, 28, v40
	v_sub_nc_u32_e32 v40, 29, v40
	v_lshlrev_b64_e32 v[44:45], v41, v[14:15]
	s_delay_alu instid0(VALU_DEP_1)
	v_and_b32_e32 v14, 7, v44
; %bb.455:                              ;   in Loop: Header=BB168_305 Depth=1
	s_or_b32 exec_lo, exec_lo, s27
	s_delay_alu instid0(VALU_DEP_1) | instskip(SKIP_1) | instid1(VALU_DEP_2)
	v_dual_lshlrev_b32 v41, 16, v48 :: v_dual_lshlrev_b32 v14, 20, v14
	v_lshl_add_u32 v40, v40, 23, 0x3c000000
	v_and_b32_e32 v41, 0x80000000, v41
	s_delay_alu instid0(VALU_DEP_1)
	v_or3_b32 v41, v14, v41, v40
	v_mov_b32_e32 v40, v15
.LBB168_456:                            ;   in Loop: Header=BB168_305 Depth=1
	s_or_b32 exec_lo, exec_lo, s25
.LBB168_457:                            ;   in Loop: Header=BB168_305 Depth=1
	s_delay_alu instid0(SALU_CYCLE_1)
	s_or_b32 exec_lo, exec_lo, s24
.LBB168_458:                            ;   in Loop: Header=BB168_305 Depth=1
	s_delay_alu instid0(SALU_CYCLE_1) | instskip(SKIP_4) | instid1(VALU_DEP_3)
	s_or_b32 exec_lo, exec_lo, s23
	v_lshrrev_b32_e32 v49, 16, v48
	v_mov_b64_e32 v[44:45], 0
	v_mov_b64_e32 v[46:47], 0
	s_mov_b32 s23, exec_lo
	v_and_b32_e32 v14, 0xff, v49
	s_delay_alu instid0(VALU_DEP_1)
	v_cmpx_ne_u16_e32 0, v14
	s_cbranch_execz .LBB168_466
; %bb.459:                              ;   in Loop: Header=BB168_305 Depth=1
	v_mov_b64_e32 v[46:47], 0x80000000
	s_mov_b32 s24, exec_lo
	v_cmpx_ne_u16_e32 0x80, v14
	s_cbranch_execz .LBB168_465
; %bb.460:                              ;   in Loop: Header=BB168_305 Depth=1
	v_mov_b64_e32 v[46:47], 0x7f800001
	v_bfe_u32 v50, v48, 16, 7
	s_mov_b32 s25, exec_lo
	s_delay_alu instid0(VALU_DEP_1)
	v_cmpx_ne_u32_e32 0x7f, v50
	s_cbranch_execz .LBB168_464
; %bb.461:                              ;   in Loop: Header=BB168_305 Depth=1
	v_dual_lshrrev_b32 v46, 3, v50 :: v_dual_bitop2_b32 v14, 7, v49 bitop3:0x40
	s_mov_b32 s27, exec_lo
	v_cmpx_gt_u32_e32 8, v50
; %bb.462:                              ;   in Loop: Header=BB168_305 Depth=1
	s_delay_alu instid0(VALU_DEP_2) | instskip(NEXT) | instid1(VALU_DEP_1)
	v_clz_i32_u32_e32 v46, v14
	v_min_u32_e32 v46, 32, v46
	s_delay_alu instid0(VALU_DEP_1) | instskip(SKIP_1) | instid1(VALU_DEP_2)
	v_subrev_nc_u32_e32 v47, 28, v46
	v_sub_nc_u32_e32 v46, 29, v46
	v_lshlrev_b64_e32 v[50:51], v47, v[14:15]
	s_delay_alu instid0(VALU_DEP_1)
	v_and_b32_e32 v14, 7, v50
; %bb.463:                              ;   in Loop: Header=BB168_305 Depth=1
	s_or_b32 exec_lo, exec_lo, s27
	s_delay_alu instid0(VALU_DEP_1) | instskip(SKIP_1) | instid1(VALU_DEP_2)
	v_dual_lshlrev_b32 v47, 24, v49 :: v_dual_lshlrev_b32 v14, 20, v14
	v_lshl_add_u32 v46, v46, 23, 0x3c000000
	v_and_b32_e32 v47, 0x80000000, v47
	s_delay_alu instid0(VALU_DEP_1) | instskip(NEXT) | instid1(VALU_DEP_1)
	v_or3_b32 v14, v14, v47, v46
	v_mov_b64_e32 v[46:47], v[14:15]
.LBB168_464:                            ;   in Loop: Header=BB168_305 Depth=1
	s_or_b32 exec_lo, exec_lo, s25
.LBB168_465:                            ;   in Loop: Header=BB168_305 Depth=1
	s_delay_alu instid0(SALU_CYCLE_1)
	s_or_b32 exec_lo, exec_lo, s24
.LBB168_466:                            ;   in Loop: Header=BB168_305 Depth=1
	s_delay_alu instid0(SALU_CYCLE_1) | instskip(NEXT) | instid1(SALU_CYCLE_1)
	s_or_b32 exec_lo, exec_lo, s23
	s_mov_b32 s23, exec_lo
	v_cmpx_lt_u32_e32 0xffffff, v48
	s_cbranch_execz .LBB168_474
; %bb.467:                              ;   in Loop: Header=BB168_305 Depth=1
	v_mov_b64_e32 v[44:45], 0x8000000000000000
	v_lshrrev_b32_e32 v49, 24, v48
	s_mov_b32 s24, exec_lo
	s_delay_alu instid0(VALU_DEP_1)
	v_cmpx_ne_u32_e32 0x80, v49
	s_cbranch_execz .LBB168_473
; %bb.468:                              ;   in Loop: Header=BB168_305 Depth=1
	v_mov_b64_e32 v[44:45], 0x7f80000100000000
	v_bfe_u32 v48, v48, 24, 7
	s_mov_b32 s25, exec_lo
	s_delay_alu instid0(VALU_DEP_1)
	v_cmpx_ne_u32_e32 0x7f, v48
	s_cbranch_execz .LBB168_472
; %bb.469:                              ;   in Loop: Header=BB168_305 Depth=1
	v_dual_lshrrev_b32 v44, 3, v48 :: v_dual_bitop2_b32 v14, 7, v49 bitop3:0x40
	s_mov_b32 s27, exec_lo
	v_cmpx_gt_u32_e32 8, v48
; %bb.470:                              ;   in Loop: Header=BB168_305 Depth=1
	s_delay_alu instid0(VALU_DEP_2) | instskip(NEXT) | instid1(VALU_DEP_1)
	v_clz_i32_u32_e32 v44, v14
	v_min_u32_e32 v44, 32, v44
	s_delay_alu instid0(VALU_DEP_1) | instskip(NEXT) | instid1(VALU_DEP_1)
	v_subrev_nc_u32_e32 v45, 28, v44
	v_lshlrev_b64_e32 v[50:51], v45, v[14:15]
	s_delay_alu instid0(VALU_DEP_1)
	v_dual_sub_nc_u32 v44, 29, v44 :: v_dual_bitop2_b32 v14, 7, v50 bitop3:0x40
; %bb.471:                              ;   in Loop: Header=BB168_305 Depth=1
	s_or_b32 exec_lo, exec_lo, s27
	s_delay_alu instid0(VALU_DEP_1) | instskip(NEXT) | instid1(VALU_DEP_2)
	v_dual_lshlrev_b32 v45, 24, v49 :: v_dual_lshlrev_b32 v14, 20, v14
	v_lshl_add_u32 v44, v44, 23, 0x3c000000
	s_delay_alu instid0(VALU_DEP_2) | instskip(NEXT) | instid1(VALU_DEP_1)
	v_and_b32_e32 v45, 0x80000000, v45
	v_or3_b32 v45, v14, v45, v44
	v_mov_b32_e32 v44, v15
.LBB168_472:                            ;   in Loop: Header=BB168_305 Depth=1
	s_or_b32 exec_lo, exec_lo, s25
.LBB168_473:                            ;   in Loop: Header=BB168_305 Depth=1
	s_delay_alu instid0(SALU_CYCLE_1)
	s_or_b32 exec_lo, exec_lo, s24
.LBB168_474:                            ;   in Loop: Header=BB168_305 Depth=1
	s_delay_alu instid0(SALU_CYCLE_1)
	s_or_b32 exec_lo, exec_lo, s23
	v_mov_b64_e32 v[48:49], s[8:9]
	v_or_b32_e32 v41, v41, v43
	v_or_b32_e32 v40, v40, v42
	;; [unrolled: 1-line block ×4, first 2 shown]
	s_delay_alu instid0(VALU_DEP_3) | instskip(NEXT) | instid1(VALU_DEP_2)
	v_pk_mul_f32 v[42:43], v[48:49], v[40:41]
	v_pk_mul_f32 v[40:41], v[48:49], v[44:45]
	s_and_saveexec_b32 s23, vcc_lo
	s_cbranch_execz .LBB168_476
; %bb.475:                              ;   in Loop: Header=BB168_305 Depth=1
	v_cmp_gt_i32_e64 s0, s34, v35
	s_delay_alu instid0(VALU_DEP_1) | instskip(SKIP_1) | instid1(VALU_DEP_1)
	v_cndmask_b32_e64 v42, 0, v42, s0
	v_cmp_gt_i32_e64 s0, s34, v64
	v_cndmask_b32_e64 v43, 0, v43, s0
	v_cmp_gt_i32_e64 s0, s34, v57
	s_delay_alu instid0(VALU_DEP_1) | instskip(SKIP_1) | instid1(VALU_DEP_1)
	v_cndmask_b32_e64 v40, 0, v40, s0
	v_cmp_gt_i32_e64 s0, s34, v56
	v_cndmask_b32_e64 v41, 0, v41, s0
.LBB168_476:                            ;   in Loop: Header=BB168_305 Depth=1
	s_or_b32 exec_lo, exec_lo, s23
	global_load_b32 v52, v[24:25], off offset:640
	v_mov_b64_e32 v[44:45], 0
	v_mov_b64_e32 v[46:47], 0
	s_mov_b32 s23, exec_lo
	s_wait_loadcnt 0x0
	v_and_b32_e32 v14, 0xff, v52
	s_delay_alu instid0(VALU_DEP_1)
	v_cmpx_ne_u16_e32 0, v14
	s_cbranch_execz .LBB168_484
; %bb.477:                              ;   in Loop: Header=BB168_305 Depth=1
	v_mov_b64_e32 v[46:47], 0x80000000
	s_mov_b32 s24, exec_lo
	v_cmpx_ne_u16_e32 0x80, v14
	s_cbranch_execz .LBB168_483
; %bb.478:                              ;   in Loop: Header=BB168_305 Depth=1
	v_mov_b64_e32 v[46:47], 0x7f800001
	v_and_b32_e32 v48, 0x7f, v52
	s_mov_b32 s25, exec_lo
	s_delay_alu instid0(VALU_DEP_1)
	v_cmpx_ne_u32_e32 0x7f, v48
	s_cbranch_execz .LBB168_482
; %bb.479:                              ;   in Loop: Header=BB168_305 Depth=1
	v_and_b32_e32 v14, 7, v52
	v_lshrrev_b32_e32 v46, 3, v48
	s_mov_b32 s27, exec_lo
	v_cmpx_gt_u32_e32 8, v48
; %bb.480:                              ;   in Loop: Header=BB168_305 Depth=1
	s_delay_alu instid0(VALU_DEP_3) | instskip(NEXT) | instid1(VALU_DEP_1)
	v_clz_i32_u32_e32 v46, v14
	v_min_u32_e32 v46, 32, v46
	s_delay_alu instid0(VALU_DEP_1) | instskip(NEXT) | instid1(VALU_DEP_1)
	v_subrev_nc_u32_e32 v47, 28, v46
	v_lshlrev_b64_e32 v[48:49], v47, v[14:15]
	s_delay_alu instid0(VALU_DEP_1)
	v_dual_sub_nc_u32 v46, 29, v46 :: v_dual_bitop2_b32 v14, 7, v48 bitop3:0x40
; %bb.481:                              ;   in Loop: Header=BB168_305 Depth=1
	s_or_b32 exec_lo, exec_lo, s27
	s_delay_alu instid0(VALU_DEP_1) | instskip(NEXT) | instid1(VALU_DEP_2)
	v_dual_lshlrev_b32 v47, 24, v52 :: v_dual_lshlrev_b32 v14, 20, v14
	v_lshl_add_u32 v46, v46, 23, 0x3c000000
	s_delay_alu instid0(VALU_DEP_2) | instskip(NEXT) | instid1(VALU_DEP_1)
	v_and_b32_e32 v47, 0x80000000, v47
	v_or3_b32 v14, v14, v47, v46
	s_delay_alu instid0(VALU_DEP_1)
	v_mov_b64_e32 v[46:47], v[14:15]
.LBB168_482:                            ;   in Loop: Header=BB168_305 Depth=1
	s_or_b32 exec_lo, exec_lo, s25
.LBB168_483:                            ;   in Loop: Header=BB168_305 Depth=1
	s_delay_alu instid0(SALU_CYCLE_1)
	s_or_b32 exec_lo, exec_lo, s24
.LBB168_484:                            ;   in Loop: Header=BB168_305 Depth=1
	s_delay_alu instid0(SALU_CYCLE_1) | instskip(SKIP_2) | instid1(VALU_DEP_1)
	s_or_b32 exec_lo, exec_lo, s23
	v_lshrrev_b16 v14, 8, v52
	s_mov_b32 s23, exec_lo
	v_cmpx_ne_u16_e32 0, v14
	s_cbranch_execz .LBB168_492
; %bb.485:                              ;   in Loop: Header=BB168_305 Depth=1
	v_mov_b64_e32 v[44:45], 0x8000000000000000
	s_mov_b32 s24, exec_lo
	v_cmpx_ne_u16_e32 0x80, v14
	s_cbranch_execz .LBB168_491
; %bb.486:                              ;   in Loop: Header=BB168_305 Depth=1
	v_and_b32_e32 v14, 0xffff, v14
	v_mov_b64_e32 v[44:45], 0x7f80000100000000
	s_mov_b32 s25, exec_lo
	s_delay_alu instid0(VALU_DEP_2) | instskip(NEXT) | instid1(VALU_DEP_1)
	v_and_b32_e32 v48, 0x7f, v14
	v_cmpx_ne_u32_e32 0x7f, v48
	s_cbranch_execz .LBB168_490
; %bb.487:                              ;   in Loop: Header=BB168_305 Depth=1
	v_dual_lshrrev_b32 v44, 3, v48 :: v_dual_bitop2_b32 v14, 7, v14 bitop3:0x40
	s_mov_b32 s27, exec_lo
	v_cmpx_gt_u32_e32 8, v48
; %bb.488:                              ;   in Loop: Header=BB168_305 Depth=1
	s_delay_alu instid0(VALU_DEP_2) | instskip(NEXT) | instid1(VALU_DEP_1)
	v_clz_i32_u32_e32 v44, v14
	v_min_u32_e32 v44, 32, v44
	s_delay_alu instid0(VALU_DEP_1) | instskip(SKIP_1) | instid1(VALU_DEP_2)
	v_subrev_nc_u32_e32 v45, 28, v44
	v_sub_nc_u32_e32 v44, 29, v44
	v_lshlrev_b64_e32 v[48:49], v45, v[14:15]
	s_delay_alu instid0(VALU_DEP_1)
	v_and_b32_e32 v14, 7, v48
; %bb.489:                              ;   in Loop: Header=BB168_305 Depth=1
	s_or_b32 exec_lo, exec_lo, s27
	s_delay_alu instid0(VALU_DEP_1) | instskip(SKIP_1) | instid1(VALU_DEP_2)
	v_dual_lshlrev_b32 v45, 16, v52 :: v_dual_lshlrev_b32 v14, 20, v14
	v_lshl_add_u32 v44, v44, 23, 0x3c000000
	v_and_b32_e32 v45, 0x80000000, v45
	s_delay_alu instid0(VALU_DEP_1)
	v_or3_b32 v45, v14, v45, v44
	v_mov_b32_e32 v44, v15
.LBB168_490:                            ;   in Loop: Header=BB168_305 Depth=1
	s_or_b32 exec_lo, exec_lo, s25
.LBB168_491:                            ;   in Loop: Header=BB168_305 Depth=1
	s_delay_alu instid0(SALU_CYCLE_1)
	s_or_b32 exec_lo, exec_lo, s24
.LBB168_492:                            ;   in Loop: Header=BB168_305 Depth=1
	s_delay_alu instid0(SALU_CYCLE_1) | instskip(SKIP_4) | instid1(VALU_DEP_3)
	s_or_b32 exec_lo, exec_lo, s23
	v_lshrrev_b32_e32 v53, 16, v52
	v_mov_b64_e32 v[48:49], 0
	v_mov_b64_e32 v[50:51], 0
	s_mov_b32 s23, exec_lo
	v_and_b32_e32 v14, 0xff, v53
	s_delay_alu instid0(VALU_DEP_1)
	v_cmpx_ne_u16_e32 0, v14
	s_cbranch_execz .LBB168_500
; %bb.493:                              ;   in Loop: Header=BB168_305 Depth=1
	v_mov_b64_e32 v[50:51], 0x80000000
	s_mov_b32 s24, exec_lo
	v_cmpx_ne_u16_e32 0x80, v14
	s_cbranch_execz .LBB168_499
; %bb.494:                              ;   in Loop: Header=BB168_305 Depth=1
	v_mov_b64_e32 v[50:51], 0x7f800001
	v_bfe_u32 v54, v52, 16, 7
	s_mov_b32 s25, exec_lo
	s_delay_alu instid0(VALU_DEP_1)
	v_cmpx_ne_u32_e32 0x7f, v54
	s_cbranch_execz .LBB168_498
; %bb.495:                              ;   in Loop: Header=BB168_305 Depth=1
	v_dual_lshrrev_b32 v50, 3, v54 :: v_dual_bitop2_b32 v14, 7, v53 bitop3:0x40
	s_mov_b32 s27, exec_lo
	v_cmpx_gt_u32_e32 8, v54
; %bb.496:                              ;   in Loop: Header=BB168_305 Depth=1
	s_delay_alu instid0(VALU_DEP_2) | instskip(NEXT) | instid1(VALU_DEP_1)
	v_clz_i32_u32_e32 v50, v14
	v_min_u32_e32 v50, 32, v50
	s_delay_alu instid0(VALU_DEP_1) | instskip(SKIP_1) | instid1(VALU_DEP_2)
	v_subrev_nc_u32_e32 v51, 28, v50
	v_sub_nc_u32_e32 v50, 29, v50
	v_lshlrev_b64_e32 v[54:55], v51, v[14:15]
	s_delay_alu instid0(VALU_DEP_1)
	v_and_b32_e32 v14, 7, v54
; %bb.497:                              ;   in Loop: Header=BB168_305 Depth=1
	s_or_b32 exec_lo, exec_lo, s27
	s_delay_alu instid0(VALU_DEP_1) | instskip(SKIP_1) | instid1(VALU_DEP_2)
	v_dual_lshlrev_b32 v51, 24, v53 :: v_dual_lshlrev_b32 v14, 20, v14
	v_lshl_add_u32 v50, v50, 23, 0x3c000000
	v_and_b32_e32 v51, 0x80000000, v51
	s_delay_alu instid0(VALU_DEP_1) | instskip(NEXT) | instid1(VALU_DEP_1)
	v_or3_b32 v14, v14, v51, v50
	v_mov_b64_e32 v[50:51], v[14:15]
.LBB168_498:                            ;   in Loop: Header=BB168_305 Depth=1
	s_or_b32 exec_lo, exec_lo, s25
.LBB168_499:                            ;   in Loop: Header=BB168_305 Depth=1
	s_delay_alu instid0(SALU_CYCLE_1)
	s_or_b32 exec_lo, exec_lo, s24
.LBB168_500:                            ;   in Loop: Header=BB168_305 Depth=1
	s_delay_alu instid0(SALU_CYCLE_1) | instskip(NEXT) | instid1(SALU_CYCLE_1)
	s_or_b32 exec_lo, exec_lo, s23
	s_mov_b32 s23, exec_lo
	v_cmpx_lt_u32_e32 0xffffff, v52
	s_cbranch_execz .LBB168_508
; %bb.501:                              ;   in Loop: Header=BB168_305 Depth=1
	v_mov_b64_e32 v[48:49], 0x8000000000000000
	v_lshrrev_b32_e32 v53, 24, v52
	s_mov_b32 s24, exec_lo
	s_delay_alu instid0(VALU_DEP_1)
	v_cmpx_ne_u32_e32 0x80, v53
	s_cbranch_execz .LBB168_507
; %bb.502:                              ;   in Loop: Header=BB168_305 Depth=1
	v_mov_b64_e32 v[48:49], 0x7f80000100000000
	v_bfe_u32 v52, v52, 24, 7
	s_mov_b32 s25, exec_lo
	s_delay_alu instid0(VALU_DEP_1)
	v_cmpx_ne_u32_e32 0x7f, v52
	s_cbranch_execz .LBB168_506
; %bb.503:                              ;   in Loop: Header=BB168_305 Depth=1
	v_dual_lshrrev_b32 v48, 3, v52 :: v_dual_bitop2_b32 v14, 7, v53 bitop3:0x40
	s_mov_b32 s27, exec_lo
	v_cmpx_gt_u32_e32 8, v52
; %bb.504:                              ;   in Loop: Header=BB168_305 Depth=1
	s_delay_alu instid0(VALU_DEP_2) | instskip(NEXT) | instid1(VALU_DEP_1)
	v_clz_i32_u32_e32 v48, v14
	v_min_u32_e32 v48, 32, v48
	s_delay_alu instid0(VALU_DEP_1) | instskip(NEXT) | instid1(VALU_DEP_1)
	v_subrev_nc_u32_e32 v49, 28, v48
	v_lshlrev_b64_e32 v[54:55], v49, v[14:15]
	s_delay_alu instid0(VALU_DEP_1)
	v_dual_sub_nc_u32 v48, 29, v48 :: v_dual_bitop2_b32 v14, 7, v54 bitop3:0x40
; %bb.505:                              ;   in Loop: Header=BB168_305 Depth=1
	s_or_b32 exec_lo, exec_lo, s27
	s_delay_alu instid0(VALU_DEP_1) | instskip(NEXT) | instid1(VALU_DEP_2)
	v_dual_lshlrev_b32 v49, 24, v53 :: v_dual_lshlrev_b32 v14, 20, v14
	v_lshl_add_u32 v48, v48, 23, 0x3c000000
	s_delay_alu instid0(VALU_DEP_2) | instskip(NEXT) | instid1(VALU_DEP_1)
	v_and_b32_e32 v49, 0x80000000, v49
	v_or3_b32 v49, v14, v49, v48
	v_mov_b32_e32 v48, v15
.LBB168_506:                            ;   in Loop: Header=BB168_305 Depth=1
	s_or_b32 exec_lo, exec_lo, s25
.LBB168_507:                            ;   in Loop: Header=BB168_305 Depth=1
	s_delay_alu instid0(SALU_CYCLE_1)
	s_or_b32 exec_lo, exec_lo, s24
.LBB168_508:                            ;   in Loop: Header=BB168_305 Depth=1
	s_delay_alu instid0(SALU_CYCLE_1)
	s_or_b32 exec_lo, exec_lo, s23
	v_mov_b64_e32 v[52:53], s[8:9]
	v_or_b32_e32 v45, v45, v47
	v_or_b32_e32 v44, v44, v46
	;; [unrolled: 1-line block ×4, first 2 shown]
	s_delay_alu instid0(VALU_DEP_3) | instskip(NEXT) | instid1(VALU_DEP_2)
	v_pk_mul_f32 v[46:47], v[52:53], v[44:45]
	v_pk_mul_f32 v[44:45], v[52:53], v[48:49]
	s_and_saveexec_b32 s23, vcc_lo
	s_cbranch_execz .LBB168_510
; %bb.509:                              ;   in Loop: Header=BB168_305 Depth=1
	v_cmp_gt_i32_e64 s0, s34, v35
	s_delay_alu instid0(VALU_DEP_1) | instskip(SKIP_1) | instid1(VALU_DEP_1)
	v_cndmask_b32_e64 v46, 0, v46, s0
	v_cmp_gt_i32_e64 s0, s34, v64
	v_cndmask_b32_e64 v47, 0, v47, s0
	v_cmp_gt_i32_e64 s0, s34, v57
	s_delay_alu instid0(VALU_DEP_1) | instskip(SKIP_1) | instid1(VALU_DEP_1)
	v_cndmask_b32_e64 v44, 0, v44, s0
	v_cmp_gt_i32_e64 s0, s34, v56
	v_cndmask_b32_e64 v45, 0, v45, s0
.LBB168_510:                            ;   in Loop: Header=BB168_305 Depth=1
	s_or_b32 exec_lo, exec_lo, s23
	global_load_b32 v65, v[24:25], off offset:768
	v_mov_b64_e32 v[48:49], 0
	v_mov_b64_e32 v[50:51], 0
	s_mov_b32 s23, exec_lo
	s_wait_loadcnt 0x0
	v_and_b32_e32 v14, 0xff, v65
	s_delay_alu instid0(VALU_DEP_1)
	v_cmpx_ne_u16_e32 0, v14
	s_cbranch_execz .LBB168_518
; %bb.511:                              ;   in Loop: Header=BB168_305 Depth=1
	v_mov_b64_e32 v[50:51], 0x80000000
	s_mov_b32 s24, exec_lo
	v_cmpx_ne_u16_e32 0x80, v14
	s_cbranch_execz .LBB168_517
; %bb.512:                              ;   in Loop: Header=BB168_305 Depth=1
	v_mov_b64_e32 v[50:51], 0x7f800001
	v_and_b32_e32 v52, 0x7f, v65
	s_mov_b32 s25, exec_lo
	s_delay_alu instid0(VALU_DEP_1)
	v_cmpx_ne_u32_e32 0x7f, v52
	s_cbranch_execz .LBB168_516
; %bb.513:                              ;   in Loop: Header=BB168_305 Depth=1
	v_dual_lshrrev_b32 v50, 3, v52 :: v_dual_bitop2_b32 v14, 7, v65 bitop3:0x40
	s_mov_b32 s27, exec_lo
	v_cmpx_gt_u32_e32 8, v52
; %bb.514:                              ;   in Loop: Header=BB168_305 Depth=1
	s_delay_alu instid0(VALU_DEP_2) | instskip(NEXT) | instid1(VALU_DEP_1)
	v_clz_i32_u32_e32 v50, v14
	v_min_u32_e32 v50, 32, v50
	s_delay_alu instid0(VALU_DEP_1) | instskip(NEXT) | instid1(VALU_DEP_1)
	v_subrev_nc_u32_e32 v51, 28, v50
	v_lshlrev_b64_e32 v[52:53], v51, v[14:15]
	s_delay_alu instid0(VALU_DEP_1)
	v_dual_sub_nc_u32 v50, 29, v50 :: v_dual_bitop2_b32 v14, 7, v52 bitop3:0x40
; %bb.515:                              ;   in Loop: Header=BB168_305 Depth=1
	s_or_b32 exec_lo, exec_lo, s27
	s_delay_alu instid0(VALU_DEP_1) | instskip(NEXT) | instid1(VALU_DEP_2)
	v_dual_lshlrev_b32 v51, 24, v65 :: v_dual_lshlrev_b32 v14, 20, v14
	v_lshl_add_u32 v50, v50, 23, 0x3c000000
	s_delay_alu instid0(VALU_DEP_2) | instskip(NEXT) | instid1(VALU_DEP_1)
	v_and_b32_e32 v51, 0x80000000, v51
	v_or3_b32 v14, v14, v51, v50
	s_delay_alu instid0(VALU_DEP_1)
	v_mov_b64_e32 v[50:51], v[14:15]
.LBB168_516:                            ;   in Loop: Header=BB168_305 Depth=1
	s_or_b32 exec_lo, exec_lo, s25
.LBB168_517:                            ;   in Loop: Header=BB168_305 Depth=1
	s_delay_alu instid0(SALU_CYCLE_1)
	s_or_b32 exec_lo, exec_lo, s24
.LBB168_518:                            ;   in Loop: Header=BB168_305 Depth=1
	s_delay_alu instid0(SALU_CYCLE_1) | instskip(SKIP_2) | instid1(VALU_DEP_1)
	s_or_b32 exec_lo, exec_lo, s23
	v_lshrrev_b16 v14, 8, v65
	s_mov_b32 s23, exec_lo
	v_cmpx_ne_u16_e32 0, v14
	s_cbranch_execz .LBB168_526
; %bb.519:                              ;   in Loop: Header=BB168_305 Depth=1
	v_mov_b64_e32 v[48:49], 0x8000000000000000
	s_mov_b32 s24, exec_lo
	v_cmpx_ne_u16_e32 0x80, v14
	s_cbranch_execz .LBB168_525
; %bb.520:                              ;   in Loop: Header=BB168_305 Depth=1
	v_and_b32_e32 v14, 0xffff, v14
	v_mov_b64_e32 v[48:49], 0x7f80000100000000
	s_mov_b32 s25, exec_lo
	s_delay_alu instid0(VALU_DEP_2) | instskip(NEXT) | instid1(VALU_DEP_1)
	v_and_b32_e32 v52, 0x7f, v14
	v_cmpx_ne_u32_e32 0x7f, v52
	s_cbranch_execz .LBB168_524
; %bb.521:                              ;   in Loop: Header=BB168_305 Depth=1
	v_dual_lshrrev_b32 v48, 3, v52 :: v_dual_bitop2_b32 v14, 7, v14 bitop3:0x40
	s_mov_b32 s27, exec_lo
	v_cmpx_gt_u32_e32 8, v52
; %bb.522:                              ;   in Loop: Header=BB168_305 Depth=1
	s_delay_alu instid0(VALU_DEP_2) | instskip(NEXT) | instid1(VALU_DEP_1)
	v_clz_i32_u32_e32 v48, v14
	v_min_u32_e32 v48, 32, v48
	s_delay_alu instid0(VALU_DEP_1) | instskip(SKIP_1) | instid1(VALU_DEP_2)
	v_subrev_nc_u32_e32 v49, 28, v48
	v_sub_nc_u32_e32 v48, 29, v48
	v_lshlrev_b64_e32 v[52:53], v49, v[14:15]
	s_delay_alu instid0(VALU_DEP_1)
	v_and_b32_e32 v14, 7, v52
; %bb.523:                              ;   in Loop: Header=BB168_305 Depth=1
	s_or_b32 exec_lo, exec_lo, s27
	s_delay_alu instid0(VALU_DEP_1) | instskip(SKIP_1) | instid1(VALU_DEP_2)
	v_dual_lshlrev_b32 v49, 16, v65 :: v_dual_lshlrev_b32 v14, 20, v14
	v_lshl_add_u32 v48, v48, 23, 0x3c000000
	v_and_b32_e32 v49, 0x80000000, v49
	s_delay_alu instid0(VALU_DEP_1)
	v_or3_b32 v49, v14, v49, v48
	v_mov_b32_e32 v48, v15
.LBB168_524:                            ;   in Loop: Header=BB168_305 Depth=1
	s_or_b32 exec_lo, exec_lo, s25
.LBB168_525:                            ;   in Loop: Header=BB168_305 Depth=1
	s_delay_alu instid0(SALU_CYCLE_1)
	s_or_b32 exec_lo, exec_lo, s24
.LBB168_526:                            ;   in Loop: Header=BB168_305 Depth=1
	s_delay_alu instid0(SALU_CYCLE_1) | instskip(SKIP_4) | instid1(VALU_DEP_3)
	s_or_b32 exec_lo, exec_lo, s23
	v_lshrrev_b32_e32 v66, 16, v65
	v_mov_b64_e32 v[52:53], 0
	v_mov_b64_e32 v[54:55], 0
	s_mov_b32 s23, exec_lo
	v_and_b32_e32 v14, 0xff, v66
	s_delay_alu instid0(VALU_DEP_1)
	v_cmpx_ne_u16_e32 0, v14
	s_cbranch_execz .LBB168_534
; %bb.527:                              ;   in Loop: Header=BB168_305 Depth=1
	v_mov_b64_e32 v[54:55], 0x80000000
	s_mov_b32 s24, exec_lo
	v_cmpx_ne_u16_e32 0x80, v14
	s_cbranch_execz .LBB168_533
; %bb.528:                              ;   in Loop: Header=BB168_305 Depth=1
	v_mov_b64_e32 v[54:55], 0x7f800001
	v_bfe_u32 v67, v65, 16, 7
	s_mov_b32 s25, exec_lo
	s_delay_alu instid0(VALU_DEP_1)
	v_cmpx_ne_u32_e32 0x7f, v67
	s_cbranch_execz .LBB168_532
; %bb.529:                              ;   in Loop: Header=BB168_305 Depth=1
	v_dual_lshrrev_b32 v54, 3, v67 :: v_dual_bitop2_b32 v14, 7, v66 bitop3:0x40
	s_mov_b32 s27, exec_lo
	v_cmpx_gt_u32_e32 8, v67
; %bb.530:                              ;   in Loop: Header=BB168_305 Depth=1
	s_delay_alu instid0(VALU_DEP_2) | instskip(NEXT) | instid1(VALU_DEP_1)
	v_clz_i32_u32_e32 v54, v14
	v_min_u32_e32 v54, 32, v54
	s_delay_alu instid0(VALU_DEP_1) | instskip(NEXT) | instid1(VALU_DEP_1)
	v_subrev_nc_u32_e32 v55, 28, v54
	v_lshlrev_b64_e32 v[68:69], v55, v[14:15]
	s_delay_alu instid0(VALU_DEP_1)
	v_dual_sub_nc_u32 v54, 29, v54 :: v_dual_bitop2_b32 v14, 7, v68 bitop3:0x40
; %bb.531:                              ;   in Loop: Header=BB168_305 Depth=1
	s_or_b32 exec_lo, exec_lo, s27
	v_lshlrev_b32_e32 v55, 24, v66
	s_delay_alu instid0(VALU_DEP_2) | instskip(NEXT) | instid1(VALU_DEP_3)
	v_lshlrev_b32_e32 v14, 20, v14
	v_lshl_add_u32 v54, v54, 23, 0x3c000000
	s_delay_alu instid0(VALU_DEP_3) | instskip(NEXT) | instid1(VALU_DEP_1)
	v_and_b32_e32 v55, 0x80000000, v55
	v_or3_b32 v14, v14, v55, v54
	s_delay_alu instid0(VALU_DEP_1)
	v_mov_b64_e32 v[54:55], v[14:15]
.LBB168_532:                            ;   in Loop: Header=BB168_305 Depth=1
	s_or_b32 exec_lo, exec_lo, s25
.LBB168_533:                            ;   in Loop: Header=BB168_305 Depth=1
	s_delay_alu instid0(SALU_CYCLE_1)
	s_or_b32 exec_lo, exec_lo, s24
.LBB168_534:                            ;   in Loop: Header=BB168_305 Depth=1
	s_delay_alu instid0(SALU_CYCLE_1) | instskip(NEXT) | instid1(SALU_CYCLE_1)
	s_or_b32 exec_lo, exec_lo, s23
	s_mov_b32 s23, exec_lo
	v_cmpx_lt_u32_e32 0xffffff, v65
	s_cbranch_execz .LBB168_542
; %bb.535:                              ;   in Loop: Header=BB168_305 Depth=1
	v_mov_b64_e32 v[52:53], 0x8000000000000000
	v_lshrrev_b32_e32 v66, 24, v65
	s_mov_b32 s24, exec_lo
	s_delay_alu instid0(VALU_DEP_1)
	v_cmpx_ne_u32_e32 0x80, v66
	s_cbranch_execz .LBB168_541
; %bb.536:                              ;   in Loop: Header=BB168_305 Depth=1
	v_mov_b64_e32 v[52:53], 0x7f80000100000000
	v_bfe_u32 v65, v65, 24, 7
	s_mov_b32 s25, exec_lo
	s_delay_alu instid0(VALU_DEP_1)
	v_cmpx_ne_u32_e32 0x7f, v65
	s_cbranch_execz .LBB168_540
; %bb.537:                              ;   in Loop: Header=BB168_305 Depth=1
	v_dual_lshrrev_b32 v52, 3, v65 :: v_dual_bitop2_b32 v14, 7, v66 bitop3:0x40
	s_mov_b32 s27, exec_lo
	v_cmpx_gt_u32_e32 8, v65
; %bb.538:                              ;   in Loop: Header=BB168_305 Depth=1
	s_delay_alu instid0(VALU_DEP_2) | instskip(NEXT) | instid1(VALU_DEP_1)
	v_clz_i32_u32_e32 v52, v14
	v_min_u32_e32 v52, 32, v52
	s_delay_alu instid0(VALU_DEP_1) | instskip(SKIP_1) | instid1(VALU_DEP_2)
	v_subrev_nc_u32_e32 v53, 28, v52
	v_sub_nc_u32_e32 v52, 29, v52
	v_lshlrev_b64_e32 v[68:69], v53, v[14:15]
	s_delay_alu instid0(VALU_DEP_1)
	v_and_b32_e32 v14, 7, v68
; %bb.539:                              ;   in Loop: Header=BB168_305 Depth=1
	s_or_b32 exec_lo, exec_lo, s27
	v_lshlrev_b32_e32 v53, 24, v66
	s_delay_alu instid0(VALU_DEP_2) | instskip(SKIP_1) | instid1(VALU_DEP_3)
	v_lshlrev_b32_e32 v14, 20, v14
	v_lshl_add_u32 v52, v52, 23, 0x3c000000
	v_and_b32_e32 v53, 0x80000000, v53
	s_delay_alu instid0(VALU_DEP_1)
	v_or3_b32 v53, v14, v53, v52
	v_mov_b32_e32 v52, v15
.LBB168_540:                            ;   in Loop: Header=BB168_305 Depth=1
	s_or_b32 exec_lo, exec_lo, s25
.LBB168_541:                            ;   in Loop: Header=BB168_305 Depth=1
	s_delay_alu instid0(SALU_CYCLE_1)
	s_or_b32 exec_lo, exec_lo, s24
.LBB168_542:                            ;   in Loop: Header=BB168_305 Depth=1
	s_delay_alu instid0(SALU_CYCLE_1)
	s_or_b32 exec_lo, exec_lo, s23
	v_mov_b64_e32 v[66:67], s[8:9]
	v_or_b32_e32 v49, v49, v51
	v_or_b32_e32 v48, v48, v50
	;; [unrolled: 1-line block ×4, first 2 shown]
	s_delay_alu instid0(VALU_DEP_3) | instskip(NEXT) | instid1(VALU_DEP_2)
	v_pk_mul_f32 v[50:51], v[66:67], v[48:49]
	v_pk_mul_f32 v[48:49], v[66:67], v[52:53]
	s_and_saveexec_b32 s23, vcc_lo
	s_cbranch_execz .LBB168_544
; %bb.543:                              ;   in Loop: Header=BB168_305 Depth=1
	v_cmp_gt_i32_e64 s0, s34, v35
	s_delay_alu instid0(VALU_DEP_1) | instskip(SKIP_1) | instid1(VALU_DEP_1)
	v_cndmask_b32_e64 v50, 0, v50, s0
	v_cmp_gt_i32_e64 s0, s34, v64
	v_cndmask_b32_e64 v51, 0, v51, s0
	v_cmp_gt_i32_e64 s0, s34, v57
	s_delay_alu instid0(VALU_DEP_1) | instskip(SKIP_1) | instid1(VALU_DEP_1)
	v_cndmask_b32_e64 v48, 0, v48, s0
	v_cmp_gt_i32_e64 s0, s34, v56
	v_cndmask_b32_e64 v49, 0, v49, s0
.LBB168_544:                            ;   in Loop: Header=BB168_305 Depth=1
	s_or_b32 exec_lo, exec_lo, s23
	global_load_b32 v65, v[24:25], off offset:896
	s_wait_xcnt 0x0
	v_mov_b64_e32 v[24:25], 0
	v_mov_b64_e32 v[52:53], 0
	s_mov_b32 s23, exec_lo
	s_wait_loadcnt 0x0
	v_and_b32_e32 v14, 0xff, v65
	s_delay_alu instid0(VALU_DEP_1)
	v_cmpx_ne_u16_e32 0, v14
	s_cbranch_execz .LBB168_552
; %bb.545:                              ;   in Loop: Header=BB168_305 Depth=1
	v_mov_b64_e32 v[52:53], 0x80000000
	s_mov_b32 s24, exec_lo
	v_cmpx_ne_u16_e32 0x80, v14
	s_cbranch_execz .LBB168_551
; %bb.546:                              ;   in Loop: Header=BB168_305 Depth=1
	v_mov_b64_e32 v[52:53], 0x7f800001
	v_and_b32_e32 v54, 0x7f, v65
	s_mov_b32 s25, exec_lo
	s_delay_alu instid0(VALU_DEP_1)
	v_cmpx_ne_u32_e32 0x7f, v54
	s_cbranch_execz .LBB168_550
; %bb.547:                              ;   in Loop: Header=BB168_305 Depth=1
	v_dual_lshrrev_b32 v52, 3, v54 :: v_dual_bitop2_b32 v14, 7, v65 bitop3:0x40
	s_mov_b32 s27, exec_lo
	v_cmpx_gt_u32_e32 8, v54
; %bb.548:                              ;   in Loop: Header=BB168_305 Depth=1
	s_delay_alu instid0(VALU_DEP_2) | instskip(NEXT) | instid1(VALU_DEP_1)
	v_clz_i32_u32_e32 v52, v14
	v_min_u32_e32 v52, 32, v52
	s_delay_alu instid0(VALU_DEP_1) | instskip(NEXT) | instid1(VALU_DEP_1)
	v_subrev_nc_u32_e32 v53, 28, v52
	v_lshlrev_b64_e32 v[54:55], v53, v[14:15]
	s_delay_alu instid0(VALU_DEP_1)
	v_dual_sub_nc_u32 v52, 29, v52 :: v_dual_bitop2_b32 v14, 7, v54 bitop3:0x40
; %bb.549:                              ;   in Loop: Header=BB168_305 Depth=1
	s_or_b32 exec_lo, exec_lo, s27
	s_delay_alu instid0(VALU_DEP_1) | instskip(NEXT) | instid1(VALU_DEP_2)
	v_dual_lshlrev_b32 v53, 24, v65 :: v_dual_lshlrev_b32 v14, 20, v14
	v_lshl_add_u32 v52, v52, 23, 0x3c000000
	s_delay_alu instid0(VALU_DEP_2) | instskip(NEXT) | instid1(VALU_DEP_1)
	v_and_b32_e32 v53, 0x80000000, v53
	v_or3_b32 v14, v14, v53, v52
	s_delay_alu instid0(VALU_DEP_1)
	v_mov_b64_e32 v[52:53], v[14:15]
.LBB168_550:                            ;   in Loop: Header=BB168_305 Depth=1
	s_or_b32 exec_lo, exec_lo, s25
.LBB168_551:                            ;   in Loop: Header=BB168_305 Depth=1
	s_delay_alu instid0(SALU_CYCLE_1)
	s_or_b32 exec_lo, exec_lo, s24
.LBB168_552:                            ;   in Loop: Header=BB168_305 Depth=1
	s_delay_alu instid0(SALU_CYCLE_1) | instskip(SKIP_2) | instid1(VALU_DEP_1)
	s_or_b32 exec_lo, exec_lo, s23
	v_lshrrev_b16 v14, 8, v65
	s_mov_b32 s23, exec_lo
	v_cmpx_ne_u16_e32 0, v14
	s_cbranch_execz .LBB168_560
; %bb.553:                              ;   in Loop: Header=BB168_305 Depth=1
	v_mov_b64_e32 v[24:25], 0x8000000000000000
	s_mov_b32 s24, exec_lo
	v_cmpx_ne_u16_e32 0x80, v14
	s_cbranch_execz .LBB168_559
; %bb.554:                              ;   in Loop: Header=BB168_305 Depth=1
	v_and_b32_e32 v14, 0xffff, v14
	v_mov_b64_e32 v[24:25], 0x7f80000100000000
	s_mov_b32 s25, exec_lo
	s_delay_alu instid0(VALU_DEP_2) | instskip(NEXT) | instid1(VALU_DEP_1)
	v_and_b32_e32 v54, 0x7f, v14
	v_cmpx_ne_u32_e32 0x7f, v54
	s_cbranch_execz .LBB168_558
; %bb.555:                              ;   in Loop: Header=BB168_305 Depth=1
	v_and_b32_e32 v14, 7, v14
	v_lshrrev_b32_e32 v24, 3, v54
	s_mov_b32 s27, exec_lo
	v_cmpx_gt_u32_e32 8, v54
; %bb.556:                              ;   in Loop: Header=BB168_305 Depth=1
	s_delay_alu instid0(VALU_DEP_3) | instskip(NEXT) | instid1(VALU_DEP_1)
	v_clz_i32_u32_e32 v24, v14
	v_min_u32_e32 v24, 32, v24
	s_delay_alu instid0(VALU_DEP_1) | instskip(NEXT) | instid1(VALU_DEP_1)
	v_subrev_nc_u32_e32 v25, 28, v24
	v_lshlrev_b64_e32 v[54:55], v25, v[14:15]
	s_delay_alu instid0(VALU_DEP_1)
	v_dual_sub_nc_u32 v24, 29, v24 :: v_dual_bitop2_b32 v14, 7, v54 bitop3:0x40
; %bb.557:                              ;   in Loop: Header=BB168_305 Depth=1
	s_or_b32 exec_lo, exec_lo, s27
	s_delay_alu instid0(VALU_DEP_1) | instskip(NEXT) | instid1(VALU_DEP_2)
	v_dual_lshlrev_b32 v25, 16, v65 :: v_dual_lshlrev_b32 v14, 20, v14
	v_lshl_add_u32 v24, v24, 23, 0x3c000000
	s_delay_alu instid0(VALU_DEP_2) | instskip(NEXT) | instid1(VALU_DEP_1)
	v_and_b32_e32 v25, 0x80000000, v25
	v_or3_b32 v25, v14, v25, v24
	v_mov_b32_e32 v24, v15
.LBB168_558:                            ;   in Loop: Header=BB168_305 Depth=1
	s_or_b32 exec_lo, exec_lo, s25
.LBB168_559:                            ;   in Loop: Header=BB168_305 Depth=1
	s_delay_alu instid0(SALU_CYCLE_1)
	s_or_b32 exec_lo, exec_lo, s24
.LBB168_560:                            ;   in Loop: Header=BB168_305 Depth=1
	s_delay_alu instid0(SALU_CYCLE_1) | instskip(SKIP_4) | instid1(VALU_DEP_3)
	s_or_b32 exec_lo, exec_lo, s23
	v_lshrrev_b32_e32 v66, 16, v65
	v_mov_b64_e32 v[54:55], 0
	v_mov_b64_e32 v[56:57], 0
	s_mov_b32 s23, exec_lo
	v_and_b32_e32 v14, 0xff, v66
	s_delay_alu instid0(VALU_DEP_1)
	v_cmpx_ne_u16_e32 0, v14
	s_cbranch_execz .LBB168_568
; %bb.561:                              ;   in Loop: Header=BB168_305 Depth=1
	v_mov_b64_e32 v[56:57], 0x80000000
	s_mov_b32 s24, exec_lo
	v_cmpx_ne_u16_e32 0x80, v14
	s_cbranch_execz .LBB168_567
; %bb.562:                              ;   in Loop: Header=BB168_305 Depth=1
	v_mov_b64_e32 v[56:57], 0x7f800001
	v_bfe_u32 v67, v65, 16, 7
	s_mov_b32 s25, exec_lo
	s_delay_alu instid0(VALU_DEP_1)
	v_cmpx_ne_u32_e32 0x7f, v67
	s_cbranch_execz .LBB168_566
; %bb.563:                              ;   in Loop: Header=BB168_305 Depth=1
	v_dual_lshrrev_b32 v56, 3, v67 :: v_dual_bitop2_b32 v14, 7, v66 bitop3:0x40
	s_mov_b32 s27, exec_lo
	v_cmpx_gt_u32_e32 8, v67
; %bb.564:                              ;   in Loop: Header=BB168_305 Depth=1
	s_delay_alu instid0(VALU_DEP_2) | instskip(NEXT) | instid1(VALU_DEP_1)
	v_clz_i32_u32_e32 v56, v14
	v_min_u32_e32 v56, 32, v56
	s_delay_alu instid0(VALU_DEP_1) | instskip(SKIP_1) | instid1(VALU_DEP_2)
	v_subrev_nc_u32_e32 v57, 28, v56
	v_sub_nc_u32_e32 v56, 29, v56
	v_lshlrev_b64_e32 v[68:69], v57, v[14:15]
	s_delay_alu instid0(VALU_DEP_1)
	v_and_b32_e32 v14, 7, v68
; %bb.565:                              ;   in Loop: Header=BB168_305 Depth=1
	s_or_b32 exec_lo, exec_lo, s27
	v_lshlrev_b32_e32 v57, 24, v66
	s_delay_alu instid0(VALU_DEP_2) | instskip(SKIP_1) | instid1(VALU_DEP_3)
	v_lshlrev_b32_e32 v14, 20, v14
	v_lshl_add_u32 v56, v56, 23, 0x3c000000
	v_and_b32_e32 v57, 0x80000000, v57
	s_delay_alu instid0(VALU_DEP_1) | instskip(NEXT) | instid1(VALU_DEP_1)
	v_or3_b32 v14, v14, v57, v56
	v_mov_b64_e32 v[56:57], v[14:15]
.LBB168_566:                            ;   in Loop: Header=BB168_305 Depth=1
	s_or_b32 exec_lo, exec_lo, s25
.LBB168_567:                            ;   in Loop: Header=BB168_305 Depth=1
	s_delay_alu instid0(SALU_CYCLE_1)
	s_or_b32 exec_lo, exec_lo, s24
.LBB168_568:                            ;   in Loop: Header=BB168_305 Depth=1
	s_delay_alu instid0(SALU_CYCLE_1) | instskip(NEXT) | instid1(SALU_CYCLE_1)
	s_or_b32 exec_lo, exec_lo, s23
	s_mov_b32 s23, exec_lo
	v_cmpx_lt_u32_e32 0xffffff, v65
	s_cbranch_execz .LBB168_576
; %bb.569:                              ;   in Loop: Header=BB168_305 Depth=1
	v_mov_b64_e32 v[54:55], 0x8000000000000000
	v_lshrrev_b32_e32 v66, 24, v65
	s_mov_b32 s24, exec_lo
	s_delay_alu instid0(VALU_DEP_1)
	v_cmpx_ne_u32_e32 0x80, v66
	s_cbranch_execz .LBB168_575
; %bb.570:                              ;   in Loop: Header=BB168_305 Depth=1
	v_mov_b64_e32 v[54:55], 0x7f80000100000000
	v_bfe_u32 v65, v65, 24, 7
	s_mov_b32 s25, exec_lo
	s_delay_alu instid0(VALU_DEP_1)
	v_cmpx_ne_u32_e32 0x7f, v65
	s_cbranch_execz .LBB168_574
; %bb.571:                              ;   in Loop: Header=BB168_305 Depth=1
	v_dual_lshrrev_b32 v54, 3, v65 :: v_dual_bitop2_b32 v14, 7, v66 bitop3:0x40
	s_mov_b32 s27, exec_lo
	v_cmpx_gt_u32_e32 8, v65
; %bb.572:                              ;   in Loop: Header=BB168_305 Depth=1
	s_delay_alu instid0(VALU_DEP_2) | instskip(NEXT) | instid1(VALU_DEP_1)
	v_clz_i32_u32_e32 v54, v14
	v_min_u32_e32 v54, 32, v54
	s_delay_alu instid0(VALU_DEP_1) | instskip(NEXT) | instid1(VALU_DEP_1)
	v_subrev_nc_u32_e32 v55, 28, v54
	v_lshlrev_b64_e32 v[68:69], v55, v[14:15]
	s_delay_alu instid0(VALU_DEP_1)
	v_dual_sub_nc_u32 v54, 29, v54 :: v_dual_bitop2_b32 v14, 7, v68 bitop3:0x40
; %bb.573:                              ;   in Loop: Header=BB168_305 Depth=1
	s_or_b32 exec_lo, exec_lo, s27
	v_lshlrev_b32_e32 v55, 24, v66
	s_delay_alu instid0(VALU_DEP_2) | instskip(NEXT) | instid1(VALU_DEP_3)
	v_lshlrev_b32_e32 v14, 20, v14
	v_lshl_add_u32 v54, v54, 23, 0x3c000000
	s_delay_alu instid0(VALU_DEP_3) | instskip(NEXT) | instid1(VALU_DEP_1)
	v_and_b32_e32 v55, 0x80000000, v55
	v_or3_b32 v55, v14, v55, v54
	v_mov_b32_e32 v54, v15
.LBB168_574:                            ;   in Loop: Header=BB168_305 Depth=1
	s_or_b32 exec_lo, exec_lo, s25
.LBB168_575:                            ;   in Loop: Header=BB168_305 Depth=1
	s_delay_alu instid0(SALU_CYCLE_1)
	s_or_b32 exec_lo, exec_lo, s24
.LBB168_576:                            ;   in Loop: Header=BB168_305 Depth=1
	s_delay_alu instid0(SALU_CYCLE_1)
	s_or_b32 exec_lo, exec_lo, s23
	v_mov_b64_e32 v[66:67], s[8:9]
	v_or_b32_e32 v25, v25, v53
	v_or_b32_e32 v24, v24, v52
	;; [unrolled: 1-line block ×4, first 2 shown]
	s_delay_alu instid0(VALU_DEP_3) | instskip(NEXT) | instid1(VALU_DEP_2)
	v_pk_mul_f32 v[52:53], v[66:67], v[24:25]
	v_pk_mul_f32 v[24:25], v[66:67], v[54:55]
	s_and_saveexec_b32 s0, vcc_lo
	s_cbranch_execz .LBB168_303
; %bb.577:                              ;   in Loop: Header=BB168_305 Depth=1
	v_cmp_gt_i32_e32 vcc_lo, s18, v64
	v_dual_cndmask_b32 v53, 0, v53, vcc_lo :: v_dual_bitop2_b32 v14, 3, v35 bitop3:0x54
	v_cmp_gt_i32_e32 vcc_lo, s34, v35
	v_dual_cndmask_b32 v52, 0, v52, vcc_lo :: v_dual_bitop2_b32 v54, 2, v35 bitop3:0x54
	s_delay_alu instid0(VALU_DEP_3) | instskip(SKIP_1) | instid1(VALU_DEP_3)
	v_cmp_gt_i32_e32 vcc_lo, s18, v14
	v_cndmask_b32_e32 v25, 0, v25, vcc_lo
	v_cmp_gt_i32_e32 vcc_lo, s34, v54
	v_cndmask_b32_e32 v24, 0, v24, vcc_lo
	s_branch .LBB168_303
.LBB168_578:
	s_or_b32 exec_lo, exec_lo, s19
.LBB168_579:
	s_delay_alu instid0(SALU_CYCLE_1)
	s_or_b32 exec_lo, exec_lo, s1
	ds_bpermute_b32 v2, v59, v8
	ds_bpermute_b32 v3, v59, v9
	ds_bpermute_b32 v4, v59, v12
	ds_bpermute_b32 v5, v59, v13
	ds_bpermute_b32 v18, v59, v10
	ds_bpermute_b32 v19, v59, v11
	v_and_b32_e32 v17, 0x3c1, v0
	v_lshrrev_b32_e32 v16, 1, v58
	s_mov_b32 s0, exec_lo
	ds_bpermute_b32 v14, v59, v6
	ds_bpermute_b32 v15, v59, v7
	s_wait_dscnt 0x0
	s_barrier_signal -1
	s_barrier_wait -1
	v_pk_add_f32 v[8:9], v[8:9], v[2:3]
	v_pk_add_f32 v[4:5], v[12:13], v[4:5]
	;; [unrolled: 1-line block ×3, first 2 shown]
	v_cmpx_ne_u32_e32 64, v17
	s_xor_b32 s0, exec_lo, s0
	s_delay_alu instid0(SALU_CYCLE_1)
	s_or_saveexec_b32 s0, s0
	v_pk_add_f32 v[6:7], v[6:7], v[14:15]
	v_lshl_add_u32 v10, v16, 2, 0x220
	v_lshlrev_b32_e32 v1, 9, v1
	s_xor_b32 exec_lo, exec_lo, s0
	s_cbranch_execz .LBB168_581
; %bb.580:
	s_delay_alu instid0(VALU_DEP_1) | instskip(NEXT) | instid1(VALU_DEP_1)
	v_add_nc_u32_e32 v11, v10, v1
	v_add_nc_u32_e32 v12, 0xfffffc00, v11
	;; [unrolled: 1-line block ×9, first 2 shown]
	ds_store_b32 v12, v8
	ds_store_b32 v13, v9
	;; [unrolled: 1-line block ×8, first 2 shown]
.LBB168_581:
	s_or_b32 exec_lo, exec_lo, s0
	v_lshlrev_b32_e32 v11, 2, v16
	s_mov_b32 s1, exec_lo
	v_cmp_eq_u32_e32 vcc_lo, 0, v60
	s_wait_dscnt 0x0
	s_barrier_signal -1
	v_add3_u32 v1, 0x220, v1, v11
	s_barrier_wait -1
	v_cmpx_gt_u32_e32 64, v0
	s_cbranch_execz .LBB168_592
; %bb.582:
	s_and_saveexec_b32 s0, vcc_lo
	s_cbranch_execnz .LBB168_608
; %bb.583:
	s_or_b32 exec_lo, exec_lo, s0
	s_and_saveexec_b32 s0, vcc_lo
	s_cbranch_execnz .LBB168_609
.LBB168_584:
	s_or_b32 exec_lo, exec_lo, s0
	s_and_saveexec_b32 s0, vcc_lo
	s_cbranch_execnz .LBB168_610
.LBB168_585:
	s_or_b32 exec_lo, exec_lo, s0
	s_and_saveexec_b32 s0, vcc_lo
	s_cbranch_execnz .LBB168_611
.LBB168_586:
	s_or_b32 exec_lo, exec_lo, s0
	s_and_saveexec_b32 s0, vcc_lo
	s_cbranch_execnz .LBB168_612
.LBB168_587:
	s_or_b32 exec_lo, exec_lo, s0
	s_and_saveexec_b32 s0, vcc_lo
	s_cbranch_execnz .LBB168_613
.LBB168_588:
	s_or_b32 exec_lo, exec_lo, s0
	s_and_saveexec_b32 s0, vcc_lo
	s_cbranch_execnz .LBB168_614
.LBB168_589:
	s_or_b32 exec_lo, exec_lo, s0
	s_and_saveexec_b32 s0, vcc_lo
	s_cbranch_execz .LBB168_591
.LBB168_590:
	ds_load_b32 v11, v1 offset:448
	s_wait_dscnt 0x0
	v_add_f32_e32 v7, v7, v11
.LBB168_591:
	s_or_b32 exec_lo, exec_lo, s0
.LBB168_592:
	s_delay_alu instid0(SALU_CYCLE_1) | instskip(SKIP_4) | instid1(VALU_DEP_1)
	s_or_b32 exec_lo, exec_lo, s1
	v_and_b32_e32 v11, 0x3e1, v0
	s_mov_b32 s1, exec_lo
	s_barrier_signal -1
	s_barrier_wait -1
	v_cmpx_eq_u32_e32 32, v11
	s_cbranch_execz .LBB168_594
; %bb.593:
	ds_store_2addr_b32 v10, v8, v9 offset1:16
	ds_store_2addr_b32 v10, v4, v5 offset0:32 offset1:48
	ds_store_2addr_b32 v10, v2, v3 offset0:64 offset1:80
	;; [unrolled: 1-line block ×3, first 2 shown]
.LBB168_594:
	s_or_b32 exec_lo, exec_lo, s1
	s_delay_alu instid0(SALU_CYCLE_1)
	s_mov_b32 s1, exec_lo
	s_wait_dscnt 0x0
	s_barrier_signal -1
	s_barrier_wait -1
	v_cmpx_gt_u32_e32 32, v0
	s_cbranch_execz .LBB168_605
; %bb.595:
	s_and_saveexec_b32 s0, vcc_lo
	s_cbranch_execnz .LBB168_615
; %bb.596:
	s_or_b32 exec_lo, exec_lo, s0
	s_and_saveexec_b32 s0, vcc_lo
	s_cbranch_execnz .LBB168_616
.LBB168_597:
	s_or_b32 exec_lo, exec_lo, s0
	s_and_saveexec_b32 s0, vcc_lo
	s_cbranch_execnz .LBB168_617
.LBB168_598:
	s_or_b32 exec_lo, exec_lo, s0
	s_and_saveexec_b32 s0, vcc_lo
	s_cbranch_execnz .LBB168_618
.LBB168_599:
	s_or_b32 exec_lo, exec_lo, s0
	s_and_saveexec_b32 s0, vcc_lo
	s_cbranch_execnz .LBB168_619
.LBB168_600:
	s_or_b32 exec_lo, exec_lo, s0
	s_and_saveexec_b32 s0, vcc_lo
	s_cbranch_execnz .LBB168_620
.LBB168_601:
	s_or_b32 exec_lo, exec_lo, s0
	s_and_saveexec_b32 s0, vcc_lo
	s_cbranch_execnz .LBB168_621
.LBB168_602:
	s_or_b32 exec_lo, exec_lo, s0
	s_and_saveexec_b32 s0, vcc_lo
	s_cbranch_execz .LBB168_604
.LBB168_603:
	ds_load_b32 v1, v1 offset:448
	s_wait_dscnt 0x0
	v_add_f32_e32 v7, v7, v1
.LBB168_604:
	s_or_b32 exec_lo, exec_lo, s0
.LBB168_605:
	s_delay_alu instid0(SALU_CYCLE_1)
	s_or_b32 exec_lo, exec_lo, s1
	s_mov_b32 s1, 0
	s_barrier_signal -1
	s_barrier_wait -1
	s_mov_b32 s0, exec_lo
	v_cmpx_eq_u32_e32 0, v11
	s_cbranch_execz .LBB168_607
; %bb.606:
	s_mul_i32 s0, s33, s7
	s_mul_i32 s2, s7, s6
	;; [unrolled: 1-line block ×3, first 2 shown]
	s_wait_kmcnt 0x0
	s_lshr_b32 s8, ttmp7, 16
	s_lshl_b32 s6, s0, 7
	s_bfe_u32 s0, ttmp6, 0x40014
	s_ashr_i32 s7, s6, 31
	s_add_co_i32 s0, s0, 1
	s_lshl_b64 s[6:7], s[6:7], 2
	s_ashr_i32 s3, s2, 31
	s_add_nc_u64 s[4:5], s[4:5], s[6:7]
	s_mul_i32 s0, s8, s0
	s_bfe_u32 s6, ttmp6, 0x40008
	s_lshl_b64 s[2:3], s[2:3], 2
	s_add_co_i32 s6, s6, s0
	s_cmp_eq_u32 s30, 0
	v_lshlrev_b32_e32 v0, 1, v0
	s_cselect_b32 s0, s8, s6
	s_add_nc_u64 s[2:3], s[4:5], s[2:3]
	s_lshl_b32 s0, s0, 9
	s_delay_alu instid0(SALU_CYCLE_1)
	s_add_nc_u64 s[0:1], s[2:3], s[0:1]
	s_clause 0x7
	global_store_b32 v0, v8, s[0:1]
	global_store_b32 v0, v9, s[0:1] offset:64
	global_store_b32 v0, v4, s[0:1] offset:128
	;; [unrolled: 1-line block ×7, first 2 shown]
.LBB168_607:
	s_sendmsg sendmsg(MSG_DEALLOC_VGPRS)
	s_endpgm
.LBB168_608:
	ds_load_b32 v11, v1
	s_wait_dscnt 0x0
	v_add_f32_e32 v8, v8, v11
	s_or_b32 exec_lo, exec_lo, s0
	s_and_saveexec_b32 s0, vcc_lo
	s_cbranch_execz .LBB168_584
.LBB168_609:
	ds_load_b32 v11, v1 offset:64
	s_wait_dscnt 0x0
	v_add_f32_e32 v9, v9, v11
	s_or_b32 exec_lo, exec_lo, s0
	s_and_saveexec_b32 s0, vcc_lo
	s_cbranch_execz .LBB168_585
.LBB168_610:
	ds_load_b32 v11, v1 offset:128
	s_wait_dscnt 0x0
	v_add_f32_e32 v4, v4, v11
	s_or_b32 exec_lo, exec_lo, s0
	s_and_saveexec_b32 s0, vcc_lo
	s_cbranch_execz .LBB168_586
.LBB168_611:
	ds_load_b32 v11, v1 offset:192
	s_wait_dscnt 0x0
	v_add_f32_e32 v5, v5, v11
	s_or_b32 exec_lo, exec_lo, s0
	s_and_saveexec_b32 s0, vcc_lo
	s_cbranch_execz .LBB168_587
.LBB168_612:
	ds_load_b32 v11, v1 offset:256
	s_wait_dscnt 0x0
	v_add_f32_e32 v2, v2, v11
	s_or_b32 exec_lo, exec_lo, s0
	s_and_saveexec_b32 s0, vcc_lo
	s_cbranch_execz .LBB168_588
.LBB168_613:
	ds_load_b32 v11, v1 offset:320
	s_wait_dscnt 0x0
	v_add_f32_e32 v3, v3, v11
	s_or_b32 exec_lo, exec_lo, s0
	s_and_saveexec_b32 s0, vcc_lo
	s_cbranch_execz .LBB168_589
.LBB168_614:
	ds_load_b32 v11, v1 offset:384
	s_wait_dscnt 0x0
	v_add_f32_e32 v6, v6, v11
	s_or_b32 exec_lo, exec_lo, s0
	s_and_saveexec_b32 s0, vcc_lo
	s_cbranch_execnz .LBB168_590
	s_branch .LBB168_591
.LBB168_615:
	ds_load_b32 v10, v1
	s_wait_dscnt 0x0
	v_add_f32_e32 v8, v8, v10
	s_or_b32 exec_lo, exec_lo, s0
	s_and_saveexec_b32 s0, vcc_lo
	s_cbranch_execz .LBB168_597
.LBB168_616:
	ds_load_b32 v10, v1 offset:64
	s_wait_dscnt 0x0
	v_add_f32_e32 v9, v9, v10
	s_or_b32 exec_lo, exec_lo, s0
	s_and_saveexec_b32 s0, vcc_lo
	s_cbranch_execz .LBB168_598
.LBB168_617:
	ds_load_b32 v10, v1 offset:128
	s_wait_dscnt 0x0
	v_add_f32_e32 v4, v4, v10
	s_or_b32 exec_lo, exec_lo, s0
	s_and_saveexec_b32 s0, vcc_lo
	s_cbranch_execz .LBB168_599
.LBB168_618:
	ds_load_b32 v10, v1 offset:192
	s_wait_dscnt 0x0
	v_add_f32_e32 v5, v5, v10
	s_or_b32 exec_lo, exec_lo, s0
	s_and_saveexec_b32 s0, vcc_lo
	s_cbranch_execz .LBB168_600
.LBB168_619:
	ds_load_b32 v10, v1 offset:256
	s_wait_dscnt 0x0
	v_add_f32_e32 v2, v2, v10
	s_or_b32 exec_lo, exec_lo, s0
	s_and_saveexec_b32 s0, vcc_lo
	s_cbranch_execz .LBB168_601
.LBB168_620:
	ds_load_b32 v10, v1 offset:320
	s_wait_dscnt 0x0
	v_add_f32_e32 v3, v3, v10
	s_or_b32 exec_lo, exec_lo, s0
	s_and_saveexec_b32 s0, vcc_lo
	s_cbranch_execz .LBB168_602
.LBB168_621:
	ds_load_b32 v10, v1 offset:384
	s_wait_dscnt 0x0
	v_add_f32_e32 v6, v6, v10
	s_or_b32 exec_lo, exec_lo, s0
	s_and_saveexec_b32 s0, vcc_lo
	s_cbranch_execnz .LBB168_603
	s_branch .LBB168_604
	.section	.rodata,"a",@progbits
	.p2align	6, 0x0
	.amdhsa_kernel _ZN4vllm25paged_attention_v1_kernelIfhLi128ELi8ELi128ELNS_18Fp8KVCacheDataTypeE1ELb1EEEvPT_PKS2_PKT0_S8_ifPKiSA_iPKfiiiSC_SC_iiiii
		.amdhsa_group_segment_fixed_size 544
		.amdhsa_private_segment_fixed_size 0
		.amdhsa_kernarg_size 384
		.amdhsa_user_sgpr_count 2
		.amdhsa_user_sgpr_dispatch_ptr 0
		.amdhsa_user_sgpr_queue_ptr 0
		.amdhsa_user_sgpr_kernarg_segment_ptr 1
		.amdhsa_user_sgpr_dispatch_id 0
		.amdhsa_user_sgpr_kernarg_preload_length 0
		.amdhsa_user_sgpr_kernarg_preload_offset 0
		.amdhsa_user_sgpr_private_segment_size 0
		.amdhsa_wavefront_size32 1
		.amdhsa_uses_dynamic_stack 0
		.amdhsa_enable_private_segment 0
		.amdhsa_system_sgpr_workgroup_id_x 1
		.amdhsa_system_sgpr_workgroup_id_y 1
		.amdhsa_system_sgpr_workgroup_id_z 1
		.amdhsa_system_sgpr_workgroup_info 0
		.amdhsa_system_vgpr_workitem_id 0
		.amdhsa_next_free_vgpr 88
		.amdhsa_next_free_sgpr 46
		.amdhsa_named_barrier_count 0
		.amdhsa_reserve_vcc 1
		.amdhsa_float_round_mode_32 0
		.amdhsa_float_round_mode_16_64 0
		.amdhsa_float_denorm_mode_32 3
		.amdhsa_float_denorm_mode_16_64 3
		.amdhsa_fp16_overflow 0
		.amdhsa_memory_ordered 1
		.amdhsa_forward_progress 1
		.amdhsa_inst_pref_size 168
		.amdhsa_round_robin_scheduling 0
		.amdhsa_exception_fp_ieee_invalid_op 0
		.amdhsa_exception_fp_denorm_src 0
		.amdhsa_exception_fp_ieee_div_zero 0
		.amdhsa_exception_fp_ieee_overflow 0
		.amdhsa_exception_fp_ieee_underflow 0
		.amdhsa_exception_fp_ieee_inexact 0
		.amdhsa_exception_int_div_zero 0
	.end_amdhsa_kernel
	.section	.text._ZN4vllm25paged_attention_v1_kernelIfhLi128ELi8ELi128ELNS_18Fp8KVCacheDataTypeE1ELb1EEEvPT_PKS2_PKT0_S8_ifPKiSA_iPKfiiiSC_SC_iiiii,"axG",@progbits,_ZN4vllm25paged_attention_v1_kernelIfhLi128ELi8ELi128ELNS_18Fp8KVCacheDataTypeE1ELb1EEEvPT_PKS2_PKT0_S8_ifPKiSA_iPKfiiiSC_SC_iiiii,comdat
.Lfunc_end168:
	.size	_ZN4vllm25paged_attention_v1_kernelIfhLi128ELi8ELi128ELNS_18Fp8KVCacheDataTypeE1ELb1EEEvPT_PKS2_PKT0_S8_ifPKiSA_iPKfiiiSC_SC_iiiii, .Lfunc_end168-_ZN4vllm25paged_attention_v1_kernelIfhLi128ELi8ELi128ELNS_18Fp8KVCacheDataTypeE1ELb1EEEvPT_PKS2_PKT0_S8_ifPKiSA_iPKfiiiSC_SC_iiiii
                                        ; -- End function
	.set _ZN4vllm25paged_attention_v1_kernelIfhLi128ELi8ELi128ELNS_18Fp8KVCacheDataTypeE1ELb1EEEvPT_PKS2_PKT0_S8_ifPKiSA_iPKfiiiSC_SC_iiiii.num_vgpr, 88
	.set _ZN4vllm25paged_attention_v1_kernelIfhLi128ELi8ELi128ELNS_18Fp8KVCacheDataTypeE1ELb1EEEvPT_PKS2_PKT0_S8_ifPKiSA_iPKfiiiSC_SC_iiiii.num_agpr, 0
	.set _ZN4vllm25paged_attention_v1_kernelIfhLi128ELi8ELi128ELNS_18Fp8KVCacheDataTypeE1ELb1EEEvPT_PKS2_PKT0_S8_ifPKiSA_iPKfiiiSC_SC_iiiii.numbered_sgpr, 46
	.set _ZN4vllm25paged_attention_v1_kernelIfhLi128ELi8ELi128ELNS_18Fp8KVCacheDataTypeE1ELb1EEEvPT_PKS2_PKT0_S8_ifPKiSA_iPKfiiiSC_SC_iiiii.num_named_barrier, 0
	.set _ZN4vllm25paged_attention_v1_kernelIfhLi128ELi8ELi128ELNS_18Fp8KVCacheDataTypeE1ELb1EEEvPT_PKS2_PKT0_S8_ifPKiSA_iPKfiiiSC_SC_iiiii.private_seg_size, 0
	.set _ZN4vllm25paged_attention_v1_kernelIfhLi128ELi8ELi128ELNS_18Fp8KVCacheDataTypeE1ELb1EEEvPT_PKS2_PKT0_S8_ifPKiSA_iPKfiiiSC_SC_iiiii.uses_vcc, 1
	.set _ZN4vllm25paged_attention_v1_kernelIfhLi128ELi8ELi128ELNS_18Fp8KVCacheDataTypeE1ELb1EEEvPT_PKS2_PKT0_S8_ifPKiSA_iPKfiiiSC_SC_iiiii.uses_flat_scratch, 0
	.set _ZN4vllm25paged_attention_v1_kernelIfhLi128ELi8ELi128ELNS_18Fp8KVCacheDataTypeE1ELb1EEEvPT_PKS2_PKT0_S8_ifPKiSA_iPKfiiiSC_SC_iiiii.has_dyn_sized_stack, 0
	.set _ZN4vllm25paged_attention_v1_kernelIfhLi128ELi8ELi128ELNS_18Fp8KVCacheDataTypeE1ELb1EEEvPT_PKS2_PKT0_S8_ifPKiSA_iPKfiiiSC_SC_iiiii.has_recursion, 0
	.set _ZN4vllm25paged_attention_v1_kernelIfhLi128ELi8ELi128ELNS_18Fp8KVCacheDataTypeE1ELb1EEEvPT_PKS2_PKT0_S8_ifPKiSA_iPKfiiiSC_SC_iiiii.has_indirect_call, 0
	.section	.AMDGPU.csdata,"",@progbits
; Kernel info:
; codeLenInByte = 21388
; TotalNumSgprs: 48
; NumVgprs: 88
; ScratchSize: 0
; MemoryBound: 0
; FloatMode: 240
; IeeeMode: 1
; LDSByteSize: 544 bytes/workgroup (compile time only)
; SGPRBlocks: 0
; VGPRBlocks: 5
; NumSGPRsForWavesPerEU: 48
; NumVGPRsForWavesPerEU: 88
; NamedBarCnt: 0
; Occupancy: 10
; WaveLimiterHint : 1
; COMPUTE_PGM_RSRC2:SCRATCH_EN: 0
; COMPUTE_PGM_RSRC2:USER_SGPR: 2
; COMPUTE_PGM_RSRC2:TRAP_HANDLER: 0
; COMPUTE_PGM_RSRC2:TGID_X_EN: 1
; COMPUTE_PGM_RSRC2:TGID_Y_EN: 1
; COMPUTE_PGM_RSRC2:TGID_Z_EN: 1
; COMPUTE_PGM_RSRC2:TIDIG_COMP_CNT: 0
	.section	.text._ZN4vllm25paged_attention_v1_kernelIfhLi192ELi8ELi128ELNS_18Fp8KVCacheDataTypeE1ELb1EEEvPT_PKS2_PKT0_S8_ifPKiSA_iPKfiiiSC_SC_iiiii,"axG",@progbits,_ZN4vllm25paged_attention_v1_kernelIfhLi192ELi8ELi128ELNS_18Fp8KVCacheDataTypeE1ELb1EEEvPT_PKS2_PKT0_S8_ifPKiSA_iPKfiiiSC_SC_iiiii,comdat
	.protected	_ZN4vllm25paged_attention_v1_kernelIfhLi192ELi8ELi128ELNS_18Fp8KVCacheDataTypeE1ELb1EEEvPT_PKS2_PKT0_S8_ifPKiSA_iPKfiiiSC_SC_iiiii ; -- Begin function _ZN4vllm25paged_attention_v1_kernelIfhLi192ELi8ELi128ELNS_18Fp8KVCacheDataTypeE1ELb1EEEvPT_PKS2_PKT0_S8_ifPKiSA_iPKfiiiSC_SC_iiiii
	.globl	_ZN4vllm25paged_attention_v1_kernelIfhLi192ELi8ELi128ELNS_18Fp8KVCacheDataTypeE1ELb1EEEvPT_PKS2_PKT0_S8_ifPKiSA_iPKfiiiSC_SC_iiiii
	.p2align	8
	.type	_ZN4vllm25paged_attention_v1_kernelIfhLi192ELi8ELi128ELNS_18Fp8KVCacheDataTypeE1ELb1EEEvPT_PKS2_PKT0_S8_ifPKiSA_iPKfiiiSC_SC_iiiii,@function
_ZN4vllm25paged_attention_v1_kernelIfhLi192ELi8ELi128ELNS_18Fp8KVCacheDataTypeE1ELb1EEEvPT_PKS2_PKT0_S8_ifPKiSA_iPKfiiiSC_SC_iiiii: ; @_ZN4vllm25paged_attention_v1_kernelIfhLi192ELi8ELi128ELNS_18Fp8KVCacheDataTypeE1ELb1EEEvPT_PKS2_PKT0_S8_ifPKiSA_iPKfiiiSC_SC_iiiii
; %bb.0:
	s_load_b64 s[26:27], s[0:1], 0x20
	s_bfe_u32 s3, ttmp6, 0x4000c
	s_bfe_u32 s5, ttmp6, 0x40010
	s_and_b32 s4, ttmp7, 0xffff
	s_add_co_i32 s3, s3, 1
	s_add_co_i32 s5, s5, 1
	s_and_b32 s2, ttmp6, 15
	s_bfe_u32 s6, ttmp6, 0x40004
	s_mul_i32 s3, ttmp9, s3
	s_mul_i32 s5, s4, s5
	s_getreg_b32 s30, hwreg(HW_REG_IB_STS2, 6, 4)
	s_add_co_i32 s2, s2, s3
	s_add_co_i32 s3, s6, s5
	s_cmp_eq_u32 s30, 0
	s_clause 0x1
	s_load_b32 s31, s[0:1], 0x80
	s_load_b64 s[6:7], s[0:1], 0x30
	s_cselect_b32 s33, s4, s3
	s_cselect_b32 s2, ttmp9, s2
	s_wait_kmcnt 0x0
	s_abs_i32 s3, s26
	s_delay_alu instid0(SALU_CYCLE_1) | instskip(SKIP_1) | instid1(SALU_CYCLE_2)
	s_cvt_f32_u32 s4, s3
	s_sub_co_i32 s5, 0, s3
	v_rcp_iflag_f32_e32 v1, s4
	s_abs_i32 s8, s31
	v_nop
	s_delay_alu instid0(TRANS32_DEP_1) | instskip(SKIP_1) | instid1(SALU_CYCLE_3)
	v_readfirstlane_b32 s4, v1
	s_mul_f32 s4, s4, 0x4f7ffffe
	s_cvt_u32_f32 s4, s4
	s_delay_alu instid0(SALU_CYCLE_3) | instskip(NEXT) | instid1(SALU_CYCLE_1)
	s_mul_i32 s5, s5, s4
	s_mul_hi_u32 s5, s4, s5
	s_delay_alu instid0(SALU_CYCLE_1) | instskip(SKIP_4) | instid1(SALU_CYCLE_1)
	s_add_co_i32 s4, s4, s5
	s_xor_b32 s5, s31, s26
	s_mul_hi_u32 s4, s8, s4
	s_ashr_i32 s5, s5, 31
	s_mul_i32 s9, s4, s3
	s_sub_co_i32 s8, s8, s9
	s_add_co_i32 s9, s4, 1
	s_sub_co_i32 s10, s8, s3
	s_cmp_ge_u32 s8, s3
	s_cselect_b32 s4, s9, s4
	s_cselect_b32 s8, s10, s8
	s_add_co_i32 s9, s4, 1
	s_cmp_ge_u32 s8, s3
	s_load_b64 s[10:11], s[0:1], 0x40
	s_cselect_b32 s3, s9, s4
	s_delay_alu instid0(SALU_CYCLE_1) | instskip(NEXT) | instid1(SALU_CYCLE_1)
	s_xor_b32 s3, s3, s5
	s_sub_co_i32 s12, s3, s5
	s_mov_b32 s5, 0
	s_abs_i32 s19, s12
	s_mov_b32 s9, s5
	s_cvt_f32_u32 s3, s19
	s_sub_co_i32 s4, 0, s19
	s_mov_b32 s36, s5
	s_delay_alu instid0(SALU_CYCLE_1) | instskip(SKIP_1) | instid1(TRANS32_DEP_1)
	v_rcp_iflag_f32_e32 v1, s3
	v_nop
	v_readfirstlane_b32 s3, v1
	s_mul_f32 s3, s3, 0x4f7ffffe
	s_delay_alu instid0(SALU_CYCLE_3) | instskip(NEXT) | instid1(SALU_CYCLE_3)
	s_cvt_u32_f32 s3, s3
	s_mul_i32 s4, s4, s3
	s_delay_alu instid0(SALU_CYCLE_1)
	s_mul_hi_u32 s8, s3, s4
	s_abs_i32 s4, s2
	s_add_co_i32 s8, s3, s8
	s_wait_kmcnt 0x0
	s_cmp_eq_u64 s[10:11], 0
	s_cbranch_scc1 .LBB169_2
; %bb.1:
	s_ashr_i32 s3, s2, 31
	s_delay_alu instid0(SALU_CYCLE_1) | instskip(NEXT) | instid1(SALU_CYCLE_1)
	s_lshl_b64 s[14:15], s[2:3], 2
	s_add_nc_u64 s[10:11], s[10:11], s[14:15]
	s_load_b32 s36, s[10:11], 0x0
.LBB169_2:
	s_load_b32 s35, s[6:7], s33 offset:0x0 scale_offset
	s_clause 0x1
	s_load_b32 s34, s[0:1], 0x88
	s_load_b96 s[16:18], s[0:1], 0x48
	v_and_b32_e32 v2, 3, v0
	s_ashr_i32 s3, s2, 31
	s_ashr_i32 s20, s12, 31
	s_mul_u64 s[8:9], s[4:5], s[8:9]
	s_wait_xcnt 0x0
	s_mul_i32 s6, s2, 0xc0
	s_mov_b32 s5, exec_lo
	v_cmpx_gt_u32_e32 0xc0, v0
	s_cbranch_execz .LBB169_5
; %bb.3:
	s_load_b64 s[10:11], s[0:1], 0x8
	s_wait_kmcnt 0x0
	s_mul_i32 s12, s16, s33
	s_ashr_i32 s7, s6, 31
	s_ashr_i32 s13, s12, 31
	v_and_b32_e32 v1, 0x3fc, v0
	s_lshl_b64 s[12:13], s[12:13], 2
	v_cmp_gt_u32_e32 vcc_lo, 64, v0
	s_delay_alu instid0(VALU_DEP_2) | instskip(SKIP_2) | instid1(SALU_CYCLE_1)
	v_mad_u32_u24 v1, 0xc0, v2, v1
	s_add_nc_u64 s[10:11], s[10:11], s[12:13]
	s_lshl_b64 s[12:13], s[6:7], 2
	s_add_nc_u64 s[10:11], s[10:11], s[12:13]
	global_load_b32 v3, v0, s[10:11] scale_offset
	s_wait_loadcnt 0x0
	ds_store_b32 v1, v3
	s_and_b32 exec_lo, exec_lo, vcc_lo
	s_cbranch_execz .LBB169_5
; %bb.4:
	v_dual_lshrrev_b32 v3, 2, v0 :: v_dual_lshlrev_b32 v4, 2, v2
	s_delay_alu instid0(VALU_DEP_1) | instskip(NEXT) | instid1(VALU_DEP_1)
	v_lshlrev_b32_e32 v3, 4, v3
	v_or3_b32 v3, v3, v4, 0x200
	global_load_b32 v3, v3, s[10:11]
	s_wait_loadcnt 0x0
	ds_store_b32 v1, v3 offset:128
.LBB169_5:
	s_or_b32 exec_lo, exec_lo, s5
	s_clause 0x1
	s_load_b128 s[12:15], s[0:1], 0x68
	s_load_b32 s8, s[0:1], 0x78
	s_mul_i32 s5, s9, s19
	s_xor_b32 s3, s3, s20
	s_sub_co_i32 s4, s4, s5
	s_add_co_i32 s5, s9, 1
	s_sub_co_i32 s7, s4, s19
	s_cmp_ge_u32 s4, s19
	s_mov_b32 s10, -1
	s_cselect_b32 s5, s5, s9
	s_cselect_b32 s4, s7, s4
	s_add_co_i32 s7, s5, 1
	s_cmp_ge_u32 s4, s19
	s_wait_dscnt 0x0
	s_cselect_b32 s4, s7, s5
	s_wait_kmcnt 0x0
	s_add_co_i32 s9, s35, -1
	s_xor_b32 s4, s4, s3
	s_barrier_signal -1
	s_sub_co_i32 s3, s4, s3
	s_barrier_wait -1
	s_abs_i32 s7, s15
	s_delay_alu instid0(SALU_CYCLE_1) | instskip(NEXT) | instid1(SALU_CYCLE_3)
	s_cvt_f32_u32 s5, s7
	v_rcp_iflag_f32_e32 v1, s5
	v_nop
	s_delay_alu instid0(TRANS32_DEP_1) | instskip(SKIP_1) | instid1(SALU_CYCLE_3)
	v_readfirstlane_b32 s5, v1
	s_mul_f32 s4, s5, 0x4f7ffffe
	s_cvt_u32_f32 s11, s4
	s_sub_co_i32 s4, 0, s7
	s_delay_alu instid0(SALU_CYCLE_2)
	s_mul_i32 s5, s4, s11
	s_abs_i32 s4, s9
	s_mul_hi_u32 s16, s11, s5
	s_mov_b32 s5, 0
	s_add_co_i32 s20, s11, s16
	s_cmp_lt_i32 s8, 0
	s_mov_b32 s21, s5
                                        ; implicit-def: $sgpr16
	s_cbranch_scc0 .LBB169_7
; %bb.6:
	s_mul_i32 s10, s12, s26
	s_delay_alu instid0(SALU_CYCLE_1) | instskip(NEXT) | instid1(SALU_CYCLE_1)
	s_add_co_i32 s10, s3, s10
	s_mul_i32 s10, s10, s8
	s_delay_alu instid0(SALU_CYCLE_1)
	s_sub_co_i32 s16, 1, s10
	s_mov_b32 s10, s5
.LBB169_7:
	s_ashr_i32 s9, s9, 31
	s_ashr_i32 s15, s15, 31
	s_and_not1_b32 vcc_lo, exec_lo, s10
	s_mul_u64 s[28:29], s[4:5], s[20:21]
	s_cbranch_vccnz .LBB169_9
; %bb.8:
	s_mul_i32 s5, s31, s12
	s_delay_alu instid0(SALU_CYCLE_1) | instskip(NEXT) | instid1(SALU_CYCLE_1)
	s_add_co_i32 s2, s5, s2
	s_mul_i32 s2, s2, s8
	s_delay_alu instid0(SALU_CYCLE_1)
	s_add_co_i32 s16, s2, 1
.LBB169_9:
	s_clause 0x1
	s_load_b32 s2, s[0:1], 0x38
	s_load_b64 s[22:23], s[0:1], 0x28
	s_mul_i32 s8, s29, s7
	s_xor_b32 s5, s9, s15
	s_sub_co_i32 s4, s4, s8
	s_add_co_i32 s12, s29, 1
	s_load_b128 s[8:11], s[0:1], 0x58
	v_dual_lshrrev_b32 v1, 5, v0 :: v_dual_lshrrev_b32 v51, 3, v0
	v_mov_b32_e32 v65, 0xff7fffff
	v_mbcnt_lo_u32_b32 v62, -1, 0
	s_mul_i32 s18, s3, s18
	s_delay_alu instid0(VALU_DEP_3)
	v_lshlrev_b32_e32 v50, 3, v1
	s_wait_kmcnt 0x0
	s_mul_i32 s24, s2, s33
	s_sub_co_i32 s2, s4, s7
	s_ashr_i32 s25, s24, 31
	s_cmp_ge_u32 s4, s7
	s_cselect_b32 s12, s12, s29
	s_cselect_b32 s2, s2, s4
	s_add_co_i32 s4, s12, 1
	s_cmp_ge_u32 s2, s7
	s_cselect_b32 s2, s4, s12
	s_add_co_i32 s4, s35, 7
	s_delay_alu instid0(SALU_CYCLE_1) | instskip(NEXT) | instid1(SALU_CYCLE_1)
	s_ashr_i32 s12, s4, 31
	s_lshr_b32 s12, s12, 29
	s_delay_alu instid0(SALU_CYCLE_1) | instskip(NEXT) | instid1(SALU_CYCLE_1)
	s_add_co_i32 s4, s4, s12
	s_ashr_i32 s12, s4, 3
	s_xor_b32 s4, s2, s5
	v_cmp_gt_i32_e64 s2, s12, v1
	s_sub_co_i32 s26, s4, s5
	s_and_saveexec_b32 s37, s2
	s_cbranch_execz .LBB169_405
; %bb.10:
	s_sub_co_i32 s38, s26, s13
	s_ashr_i32 s19, s18, 31
	s_cmp_neq_f32 s36, 0
	s_load_b64 s[4:5], s[0:1], 0x10
	v_bfe_u32 v63, v0, 2, 3
	v_dual_mov_b32 v53, 0 :: v_dual_lshlrev_b32 v54, 3, v1
	s_cselect_b32 vcc_lo, -1, 0
	s_abs_i32 s39, s14
	s_delay_alu instid0(VALU_DEP_1)
	v_dual_mov_b32 v3, v53 :: v_dual_lshlrev_b32 v52, 4, v63
	s_cvt_f32_u32 s28, s39
	v_subrev_nc_u32_e32 v6, s35, v63
	v_lshlrev_b32_e32 v5, 2, v63
	s_lshl_b64 s[40:41], s[24:25], 2
	v_rcp_iflag_f32_e32 v4, s28
	s_sub_co_i32 s42, 0, s39
	v_add_nc_u32_e32 v66, 1, v6
	v_lshl_or_b32 v7, v1, 5, v5
	v_cmp_eq_u32_e64 s3, 0, v2
	v_mul_u32_u24_e32 v64, 0xc0, v2
	v_dual_mov_b32 v68, 0xff7fffff :: v_dual_mov_b32 v65, 0xff7fffff
	v_readfirstlane_b32 s28, v4
	s_wait_kmcnt 0x0
	s_add_nc_u64 s[4:5], s[4:5], s[18:19]
	v_add_nc_u32_e32 v67, 0x320, v7
	v_add_nc_u64_e32 v[4:5], s[4:5], v[52:53]
	v_and_b32_e32 v52, 0x7c, v51
	s_mul_f32 s19, s28, 0x4f7ffffe
	s_add_nc_u64 s[4:5], s[22:23], s[40:41]
	v_mov_b32_e32 v69, v1
	s_mov_b32 s29, 0
	s_cvt_u32_f32 s28, s19
	v_add_nc_u64_e32 v[56:57], s[4:5], v[52:53]
	v_add_nc_u64_e32 v[58:59], v[4:5], v[2:3]
	s_mov_b32 s19, s17
	s_mul_i32 s42, s42, s28
	s_mov_b32 s40, s29
	s_mul_hi_u32 s4, s28, s42
	s_delay_alu instid0(SALU_CYCLE_1)
	s_add_co_i32 s28, s28, s4
	s_branch .LBB169_13
.LBB169_11:                             ;   in Loop: Header=BB169_13 Depth=1
	s_or_b32 exec_lo, exec_lo, s41
.LBB169_12:                             ;   in Loop: Header=BB169_13 Depth=1
	s_delay_alu instid0(SALU_CYCLE_1) | instskip(SKIP_3) | instid1(VALU_DEP_3)
	s_or_b32 exec_lo, exec_lo, s5
	v_dual_add_nc_u32 v69, 4, v69 :: v_dual_add_nc_u32 v54, 32, v54
	v_add_nc_u64_e32 v[56:57], 16, v[56:57]
	v_add_nc_u32_e32 v67, 0x80, v67
	v_cmp_le_i32_e64 s4, s12, v69
	s_or_b32 s40, s4, s40
	s_delay_alu instid0(SALU_CYCLE_1)
	s_and_not1_b32 exec_lo, exec_lo, s40
	s_cbranch_execz .LBB169_404
.LBB169_13:                             ; =>This Inner Loop Header: Depth=1
	v_mov_b32_e32 v55, v53
	s_wait_dscnt 0x0
	s_delay_alu instid0(VALU_DEP_1) | instskip(NEXT) | instid1(VALU_DEP_1)
	v_mul_u64_e32 v[2:3], s[20:21], v[54:55]
	v_mul_lo_u32 v2, v3, s7
	s_delay_alu instid0(VALU_DEP_1) | instskip(NEXT) | instid1(VALU_DEP_1)
	v_sub_nc_u32_e32 v2, v54, v2
	v_subrev_nc_u32_e32 v5, s7, v2
	v_cmp_le_u32_e64 s4, s7, v2
	s_delay_alu instid0(VALU_DEP_1) | instskip(NEXT) | instid1(VALU_DEP_1)
	v_dual_add_nc_u32 v4, 1, v3 :: v_dual_cndmask_b32 v2, v2, v5, s4
	v_cndmask_b32_e64 v3, v3, v4, s4
	s_delay_alu instid0(VALU_DEP_2) | instskip(NEXT) | instid1(VALU_DEP_2)
	v_cmp_le_u32_e64 s4, s7, v2
	v_add_nc_u32_e32 v4, 1, v3
	s_delay_alu instid0(VALU_DEP_1) | instskip(NEXT) | instid1(VALU_DEP_1)
	v_cndmask_b32_e64 v2, v3, v4, s4
	v_xor_b32_e32 v2, s15, v2
	s_delay_alu instid0(VALU_DEP_1) | instskip(NEXT) | instid1(VALU_DEP_1)
	v_subrev_nc_u32_e32 v4, s15, v2
	v_add_nc_u32_e32 v5, s16, v4
	v_cmp_ge_i32_e64 s5, s38, v4
	s_delay_alu instid0(VALU_DEP_2) | instskip(NEXT) | instid1(VALU_DEP_1)
	v_sub_nc_u32_e32 v2, 0, v5
	v_dual_ashrrev_i32 v5, 31, v5 :: v_dual_max_i32 v52, v5, v2
	s_delay_alu instid0(VALU_DEP_1) | instskip(NEXT) | instid1(VALU_DEP_1)
	v_mul_u64_e32 v[2:3], s[28:29], v[52:53]
	v_mul_lo_u32 v2, v3, s39
	s_delay_alu instid0(VALU_DEP_1) | instskip(NEXT) | instid1(VALU_DEP_1)
	v_sub_nc_u32_e32 v2, v52, v2
	v_subrev_nc_u32_e32 v3, s39, v2
	v_cmp_le_u32_e64 s4, s39, v2
	s_delay_alu instid0(VALU_DEP_1) | instskip(NEXT) | instid1(VALU_DEP_1)
	v_cndmask_b32_e64 v2, v2, v3, s4
	v_subrev_nc_u32_e32 v3, s39, v2
	v_cmp_le_u32_e64 s4, s39, v2
	s_delay_alu instid0(VALU_DEP_1) | instskip(NEXT) | instid1(VALU_DEP_1)
	v_cndmask_b32_e64 v2, v2, v3, s4
	v_xor_b32_e32 v2, v2, v5
	s_delay_alu instid0(VALU_DEP_1) | instskip(NEXT) | instid1(VALU_DEP_1)
	v_sub_nc_u32_e32 v2, v2, v5
	v_cmp_ne_u32_e64 s4, 0, v2
	s_and_b32 s4, s4, s5
	s_delay_alu instid0(SALU_CYCLE_1) | instskip(NEXT) | instid1(SALU_CYCLE_1)
	s_and_saveexec_b32 s5, s4
	s_xor_b32 s4, exec_lo, s5
	s_cbranch_execz .LBB169_17
; %bb.14:                               ;   in Loop: Header=BB169_13 Depth=1
	s_and_saveexec_b32 s5, s3
; %bb.15:                               ;   in Loop: Header=BB169_13 Depth=1
	ds_store_b32 v67, v68
; %bb.16:                               ;   in Loop: Header=BB169_13 Depth=1
	s_or_b32 exec_lo, exec_lo, s5
.LBB169_17:                             ;   in Loop: Header=BB169_13 Depth=1
	s_and_not1_saveexec_b32 s5, s4
	s_cbranch_execz .LBB169_12
; %bb.18:                               ;   in Loop: Header=BB169_13 Depth=1
	global_load_b32 v2, v[56:57], off
	v_dual_mov_b32 v55, 0 :: v_dual_mov_b32 v70, 0
	s_mov_b32 s42, exec_lo
	s_wait_loadcnt 0x0
	v_mad_nc_i64_i32 v[60:61], v2, s19, v[58:59]
	global_load_u8 v71, v[60:61], off
	ds_load_b128 v[46:49], v64
	ds_load_b128 v[42:45], v64 offset:16
	ds_load_b128 v[38:41], v64 offset:32
	;; [unrolled: 1-line block ×11, first 2 shown]
	s_load_b32 s41, s[8:9], 0x0
	s_wait_loadcnt 0x0
	v_cmpx_ne_u16_e32 0, v71
	s_cbranch_execz .LBB169_26
; %bb.19:                               ;   in Loop: Header=BB169_13 Depth=1
	v_bfrev_b32_e32 v70, 1
	s_mov_b32 s43, exec_lo
	v_cmpx_ne_u16_e32 0x80, v71
	s_cbranch_execz .LBB169_25
; %bb.20:                               ;   in Loop: Header=BB169_13 Depth=1
	v_and_b32_e32 v52, 0xffff, v71
	v_mov_b32_e32 v70, 0x7f800001
	s_mov_b32 s44, exec_lo
	s_delay_alu instid0(VALU_DEP_2) | instskip(NEXT) | instid1(VALU_DEP_1)
	v_and_b32_e32 v72, 0x7f, v52
	v_cmpx_ne_u32_e32 0x7f, v72
	s_cbranch_execz .LBB169_24
; %bb.21:                               ;   in Loop: Header=BB169_13 Depth=1
	v_and_b32_e32 v52, 7, v52
	v_lshrrev_b32_e32 v70, 3, v72
	s_mov_b32 s45, exec_lo
	v_cmpx_gt_u32_e32 8, v72
; %bb.22:                               ;   in Loop: Header=BB169_13 Depth=1
	s_delay_alu instid0(VALU_DEP_3) | instskip(NEXT) | instid1(VALU_DEP_1)
	v_clz_i32_u32_e32 v70, v52
	v_min_u32_e32 v70, 32, v70
	s_delay_alu instid0(VALU_DEP_1) | instskip(NEXT) | instid1(VALU_DEP_1)
	v_subrev_nc_u32_e32 v72, 28, v70
	v_lshlrev_b64_e32 v[72:73], v72, v[52:53]
	s_delay_alu instid0(VALU_DEP_1)
	v_dual_sub_nc_u32 v70, 29, v70 :: v_dual_bitop2_b32 v52, 7, v72 bitop3:0x40
; %bb.23:                               ;   in Loop: Header=BB169_13 Depth=1
	s_or_b32 exec_lo, exec_lo, s45
	s_delay_alu instid0(VALU_DEP_1) | instskip(NEXT) | instid1(VALU_DEP_2)
	v_dual_lshlrev_b32 v71, 24, v71 :: v_dual_lshlrev_b32 v52, 20, v52
	v_lshl_add_u32 v70, v70, 23, 0x3c000000
	s_delay_alu instid0(VALU_DEP_2) | instskip(NEXT) | instid1(VALU_DEP_1)
	v_and_b32_e32 v71, 0x80000000, v71
	v_or3_b32 v70, v52, v71, v70
.LBB169_24:                             ;   in Loop: Header=BB169_13 Depth=1
	s_or_b32 exec_lo, exec_lo, s44
.LBB169_25:                             ;   in Loop: Header=BB169_13 Depth=1
	s_delay_alu instid0(SALU_CYCLE_1)
	s_or_b32 exec_lo, exec_lo, s43
.LBB169_26:                             ;   in Loop: Header=BB169_13 Depth=1
	s_delay_alu instid0(SALU_CYCLE_1)
	s_or_b32 exec_lo, exec_lo, s42
	global_load_u8 v71, v[60:61], off offset:4
	s_mov_b32 s42, exec_lo
	s_wait_loadcnt 0x0
	v_cmpx_ne_u16_e32 0, v71
	s_cbranch_execz .LBB169_34
; %bb.27:                               ;   in Loop: Header=BB169_13 Depth=1
	v_bfrev_b32_e32 v55, 1
	s_mov_b32 s43, exec_lo
	v_cmpx_ne_u16_e32 0x80, v71
	s_cbranch_execz .LBB169_33
; %bb.28:                               ;   in Loop: Header=BB169_13 Depth=1
	v_and_b32_e32 v52, 0xffff, v71
	v_mov_b32_e32 v55, 0x7f800001
	s_mov_b32 s44, exec_lo
	s_delay_alu instid0(VALU_DEP_2) | instskip(NEXT) | instid1(VALU_DEP_1)
	v_and_b32_e32 v72, 0x7f, v52
	v_cmpx_ne_u32_e32 0x7f, v72
	s_cbranch_execz .LBB169_32
; %bb.29:                               ;   in Loop: Header=BB169_13 Depth=1
	v_and_b32_e32 v52, 7, v52
	v_lshrrev_b32_e32 v55, 3, v72
	s_mov_b32 s45, exec_lo
	v_cmpx_gt_u32_e32 8, v72
; %bb.30:                               ;   in Loop: Header=BB169_13 Depth=1
	s_delay_alu instid0(VALU_DEP_3) | instskip(NEXT) | instid1(VALU_DEP_1)
	v_clz_i32_u32_e32 v55, v52
	v_min_u32_e32 v55, 32, v55
	s_delay_alu instid0(VALU_DEP_1) | instskip(NEXT) | instid1(VALU_DEP_1)
	v_subrev_nc_u32_e32 v72, 28, v55
	v_lshlrev_b64_e32 v[72:73], v72, v[52:53]
	s_delay_alu instid0(VALU_DEP_1)
	v_dual_sub_nc_u32 v55, 29, v55 :: v_dual_bitop2_b32 v52, 7, v72 bitop3:0x40
; %bb.31:                               ;   in Loop: Header=BB169_13 Depth=1
	s_or_b32 exec_lo, exec_lo, s45
	s_delay_alu instid0(VALU_DEP_1) | instskip(NEXT) | instid1(VALU_DEP_2)
	v_dual_lshlrev_b32 v71, 24, v71 :: v_dual_lshlrev_b32 v52, 20, v52
	v_lshl_add_u32 v55, v55, 23, 0x3c000000
	s_delay_alu instid0(VALU_DEP_2) | instskip(NEXT) | instid1(VALU_DEP_1)
	v_and_b32_e32 v71, 0x80000000, v71
	v_or3_b32 v55, v52, v71, v55
.LBB169_32:                             ;   in Loop: Header=BB169_13 Depth=1
	s_or_b32 exec_lo, exec_lo, s44
.LBB169_33:                             ;   in Loop: Header=BB169_13 Depth=1
	s_delay_alu instid0(SALU_CYCLE_1)
	s_or_b32 exec_lo, exec_lo, s43
.LBB169_34:                             ;   in Loop: Header=BB169_13 Depth=1
	s_delay_alu instid0(SALU_CYCLE_1)
	s_or_b32 exec_lo, exec_lo, s42
	global_load_u8 v73, v[60:61], off offset:8
	v_dual_mov_b32 v71, 0 :: v_dual_mov_b32 v72, 0
	s_mov_b32 s42, exec_lo
	s_wait_loadcnt 0x0
	v_cmpx_ne_u16_e32 0, v73
	s_cbranch_execz .LBB169_42
; %bb.35:                               ;   in Loop: Header=BB169_13 Depth=1
	v_bfrev_b32_e32 v72, 1
	s_mov_b32 s43, exec_lo
	v_cmpx_ne_u16_e32 0x80, v73
	s_cbranch_execz .LBB169_41
; %bb.36:                               ;   in Loop: Header=BB169_13 Depth=1
	v_and_b32_e32 v52, 0xffff, v73
	v_mov_b32_e32 v72, 0x7f800001
	s_mov_b32 s44, exec_lo
	s_delay_alu instid0(VALU_DEP_2) | instskip(NEXT) | instid1(VALU_DEP_1)
	v_and_b32_e32 v74, 0x7f, v52
	v_cmpx_ne_u32_e32 0x7f, v74
	s_cbranch_execz .LBB169_40
; %bb.37:                               ;   in Loop: Header=BB169_13 Depth=1
	v_dual_lshrrev_b32 v72, 3, v74 :: v_dual_bitop2_b32 v52, 7, v52 bitop3:0x40
	s_mov_b32 s45, exec_lo
	v_cmpx_gt_u32_e32 8, v74
; %bb.38:                               ;   in Loop: Header=BB169_13 Depth=1
	s_delay_alu instid0(VALU_DEP_2) | instskip(NEXT) | instid1(VALU_DEP_1)
	v_clz_i32_u32_e32 v72, v52
	v_min_u32_e32 v72, 32, v72
	s_delay_alu instid0(VALU_DEP_1) | instskip(NEXT) | instid1(VALU_DEP_1)
	v_subrev_nc_u32_e32 v74, 28, v72
	v_lshlrev_b64_e32 v[74:75], v74, v[52:53]
	s_delay_alu instid0(VALU_DEP_1)
	v_dual_sub_nc_u32 v72, 29, v72 :: v_dual_bitop2_b32 v52, 7, v74 bitop3:0x40
; %bb.39:                               ;   in Loop: Header=BB169_13 Depth=1
	s_or_b32 exec_lo, exec_lo, s45
	s_delay_alu instid0(VALU_DEP_1) | instskip(NEXT) | instid1(VALU_DEP_2)
	v_dual_lshlrev_b32 v73, 24, v73 :: v_dual_lshlrev_b32 v52, 20, v52
	v_lshl_add_u32 v72, v72, 23, 0x3c000000
	s_delay_alu instid0(VALU_DEP_2) | instskip(NEXT) | instid1(VALU_DEP_1)
	v_and_b32_e32 v73, 0x80000000, v73
	v_or3_b32 v72, v52, v73, v72
.LBB169_40:                             ;   in Loop: Header=BB169_13 Depth=1
	s_or_b32 exec_lo, exec_lo, s44
.LBB169_41:                             ;   in Loop: Header=BB169_13 Depth=1
	s_delay_alu instid0(SALU_CYCLE_1)
	s_or_b32 exec_lo, exec_lo, s43
.LBB169_42:                             ;   in Loop: Header=BB169_13 Depth=1
	s_delay_alu instid0(SALU_CYCLE_1)
	s_or_b32 exec_lo, exec_lo, s42
	global_load_u8 v73, v[60:61], off offset:12
	s_mov_b32 s42, exec_lo
	s_wait_loadcnt 0x0
	v_cmpx_ne_u16_e32 0, v73
	s_cbranch_execz .LBB169_50
; %bb.43:                               ;   in Loop: Header=BB169_13 Depth=1
	v_bfrev_b32_e32 v71, 1
	s_mov_b32 s43, exec_lo
	v_cmpx_ne_u16_e32 0x80, v73
	s_cbranch_execz .LBB169_49
; %bb.44:                               ;   in Loop: Header=BB169_13 Depth=1
	v_and_b32_e32 v52, 0xffff, v73
	v_mov_b32_e32 v71, 0x7f800001
	s_mov_b32 s44, exec_lo
	s_delay_alu instid0(VALU_DEP_2) | instskip(NEXT) | instid1(VALU_DEP_1)
	v_and_b32_e32 v74, 0x7f, v52
	v_cmpx_ne_u32_e32 0x7f, v74
	s_cbranch_execz .LBB169_48
; %bb.45:                               ;   in Loop: Header=BB169_13 Depth=1
	v_dual_lshrrev_b32 v71, 3, v74 :: v_dual_bitop2_b32 v52, 7, v52 bitop3:0x40
	s_mov_b32 s45, exec_lo
	v_cmpx_gt_u32_e32 8, v74
; %bb.46:                               ;   in Loop: Header=BB169_13 Depth=1
	s_delay_alu instid0(VALU_DEP_2) | instskip(NEXT) | instid1(VALU_DEP_1)
	v_clz_i32_u32_e32 v71, v52
	v_min_u32_e32 v71, 32, v71
	s_delay_alu instid0(VALU_DEP_1) | instskip(NEXT) | instid1(VALU_DEP_1)
	v_subrev_nc_u32_e32 v74, 28, v71
	v_lshlrev_b64_e32 v[74:75], v74, v[52:53]
	s_delay_alu instid0(VALU_DEP_1)
	v_dual_sub_nc_u32 v71, 29, v71 :: v_dual_bitop2_b32 v52, 7, v74 bitop3:0x40
; %bb.47:                               ;   in Loop: Header=BB169_13 Depth=1
	s_or_b32 exec_lo, exec_lo, s45
	s_delay_alu instid0(VALU_DEP_1) | instskip(NEXT) | instid1(VALU_DEP_2)
	v_dual_lshlrev_b32 v73, 24, v73 :: v_dual_lshlrev_b32 v52, 20, v52
	v_lshl_add_u32 v71, v71, 23, 0x3c000000
	s_delay_alu instid0(VALU_DEP_2) | instskip(NEXT) | instid1(VALU_DEP_1)
	v_and_b32_e32 v73, 0x80000000, v73
	v_or3_b32 v71, v52, v73, v71
.LBB169_48:                             ;   in Loop: Header=BB169_13 Depth=1
	s_or_b32 exec_lo, exec_lo, s44
.LBB169_49:                             ;   in Loop: Header=BB169_13 Depth=1
	s_delay_alu instid0(SALU_CYCLE_1)
	s_or_b32 exec_lo, exec_lo, s43
.LBB169_50:                             ;   in Loop: Header=BB169_13 Depth=1
	s_delay_alu instid0(SALU_CYCLE_1)
	s_or_b32 exec_lo, exec_lo, s42
	global_load_u8 v75, v[60:61], off offset:128
	v_dual_mov_b32 v73, 0 :: v_dual_mov_b32 v74, 0
	s_mov_b32 s42, exec_lo
	s_wait_loadcnt 0x0
	v_cmpx_ne_u16_e32 0, v75
	s_cbranch_execz .LBB169_58
; %bb.51:                               ;   in Loop: Header=BB169_13 Depth=1
	v_bfrev_b32_e32 v74, 1
	s_mov_b32 s43, exec_lo
	v_cmpx_ne_u16_e32 0x80, v75
	s_cbranch_execz .LBB169_57
; %bb.52:                               ;   in Loop: Header=BB169_13 Depth=1
	v_and_b32_e32 v52, 0xffff, v75
	v_mov_b32_e32 v74, 0x7f800001
	s_mov_b32 s44, exec_lo
	s_delay_alu instid0(VALU_DEP_2) | instskip(NEXT) | instid1(VALU_DEP_1)
	v_and_b32_e32 v76, 0x7f, v52
	v_cmpx_ne_u32_e32 0x7f, v76
	s_cbranch_execz .LBB169_56
; %bb.53:                               ;   in Loop: Header=BB169_13 Depth=1
	v_and_b32_e32 v52, 7, v52
	v_lshrrev_b32_e32 v74, 3, v76
	s_mov_b32 s45, exec_lo
	v_cmpx_gt_u32_e32 8, v76
; %bb.54:                               ;   in Loop: Header=BB169_13 Depth=1
	s_delay_alu instid0(VALU_DEP_3) | instskip(NEXT) | instid1(VALU_DEP_1)
	v_clz_i32_u32_e32 v74, v52
	v_min_u32_e32 v74, 32, v74
	s_delay_alu instid0(VALU_DEP_1) | instskip(NEXT) | instid1(VALU_DEP_1)
	v_subrev_nc_u32_e32 v76, 28, v74
	v_lshlrev_b64_e32 v[76:77], v76, v[52:53]
	s_delay_alu instid0(VALU_DEP_1)
	v_dual_sub_nc_u32 v74, 29, v74 :: v_dual_bitop2_b32 v52, 7, v76 bitop3:0x40
; %bb.55:                               ;   in Loop: Header=BB169_13 Depth=1
	s_or_b32 exec_lo, exec_lo, s45
	s_delay_alu instid0(VALU_DEP_1) | instskip(NEXT) | instid1(VALU_DEP_2)
	v_dual_lshlrev_b32 v75, 24, v75 :: v_dual_lshlrev_b32 v52, 20, v52
	v_lshl_add_u32 v74, v74, 23, 0x3c000000
	s_delay_alu instid0(VALU_DEP_2) | instskip(NEXT) | instid1(VALU_DEP_1)
	v_and_b32_e32 v75, 0x80000000, v75
	v_or3_b32 v74, v52, v75, v74
.LBB169_56:                             ;   in Loop: Header=BB169_13 Depth=1
	s_or_b32 exec_lo, exec_lo, s44
.LBB169_57:                             ;   in Loop: Header=BB169_13 Depth=1
	s_delay_alu instid0(SALU_CYCLE_1)
	s_or_b32 exec_lo, exec_lo, s43
.LBB169_58:                             ;   in Loop: Header=BB169_13 Depth=1
	s_delay_alu instid0(SALU_CYCLE_1)
	s_or_b32 exec_lo, exec_lo, s42
	global_load_u8 v75, v[60:61], off offset:132
	s_mov_b32 s42, exec_lo
	s_wait_loadcnt 0x0
	v_cmpx_ne_u16_e32 0, v75
	s_cbranch_execz .LBB169_66
; %bb.59:                               ;   in Loop: Header=BB169_13 Depth=1
	v_bfrev_b32_e32 v73, 1
	s_mov_b32 s43, exec_lo
	v_cmpx_ne_u16_e32 0x80, v75
	s_cbranch_execz .LBB169_65
; %bb.60:                               ;   in Loop: Header=BB169_13 Depth=1
	v_and_b32_e32 v52, 0xffff, v75
	v_mov_b32_e32 v73, 0x7f800001
	s_mov_b32 s44, exec_lo
	s_delay_alu instid0(VALU_DEP_2) | instskip(NEXT) | instid1(VALU_DEP_1)
	v_and_b32_e32 v76, 0x7f, v52
	v_cmpx_ne_u32_e32 0x7f, v76
	s_cbranch_execz .LBB169_64
; %bb.61:                               ;   in Loop: Header=BB169_13 Depth=1
	v_and_b32_e32 v52, 7, v52
	v_lshrrev_b32_e32 v73, 3, v76
	s_mov_b32 s45, exec_lo
	v_cmpx_gt_u32_e32 8, v76
; %bb.62:                               ;   in Loop: Header=BB169_13 Depth=1
	s_delay_alu instid0(VALU_DEP_3) | instskip(NEXT) | instid1(VALU_DEP_1)
	v_clz_i32_u32_e32 v73, v52
	v_min_u32_e32 v73, 32, v73
	s_delay_alu instid0(VALU_DEP_1) | instskip(NEXT) | instid1(VALU_DEP_1)
	v_subrev_nc_u32_e32 v76, 28, v73
	v_lshlrev_b64_e32 v[76:77], v76, v[52:53]
	s_delay_alu instid0(VALU_DEP_1)
	v_dual_sub_nc_u32 v73, 29, v73 :: v_dual_bitop2_b32 v52, 7, v76 bitop3:0x40
; %bb.63:                               ;   in Loop: Header=BB169_13 Depth=1
	s_or_b32 exec_lo, exec_lo, s45
	s_delay_alu instid0(VALU_DEP_1) | instskip(NEXT) | instid1(VALU_DEP_2)
	v_dual_lshlrev_b32 v75, 24, v75 :: v_dual_lshlrev_b32 v52, 20, v52
	v_lshl_add_u32 v73, v73, 23, 0x3c000000
	s_delay_alu instid0(VALU_DEP_2) | instskip(NEXT) | instid1(VALU_DEP_1)
	v_and_b32_e32 v75, 0x80000000, v75
	v_or3_b32 v73, v52, v75, v73
.LBB169_64:                             ;   in Loop: Header=BB169_13 Depth=1
	s_or_b32 exec_lo, exec_lo, s44
.LBB169_65:                             ;   in Loop: Header=BB169_13 Depth=1
	s_delay_alu instid0(SALU_CYCLE_1)
	s_or_b32 exec_lo, exec_lo, s43
.LBB169_66:                             ;   in Loop: Header=BB169_13 Depth=1
	s_delay_alu instid0(SALU_CYCLE_1)
	s_or_b32 exec_lo, exec_lo, s42
	global_load_u8 v77, v[60:61], off offset:136
	v_dual_mov_b32 v75, 0 :: v_dual_mov_b32 v76, 0
	s_mov_b32 s42, exec_lo
	s_wait_loadcnt 0x0
	v_cmpx_ne_u16_e32 0, v77
	s_cbranch_execz .LBB169_74
; %bb.67:                               ;   in Loop: Header=BB169_13 Depth=1
	v_bfrev_b32_e32 v76, 1
	s_mov_b32 s43, exec_lo
	v_cmpx_ne_u16_e32 0x80, v77
	s_cbranch_execz .LBB169_73
; %bb.68:                               ;   in Loop: Header=BB169_13 Depth=1
	v_and_b32_e32 v52, 0xffff, v77
	v_mov_b32_e32 v76, 0x7f800001
	s_mov_b32 s44, exec_lo
	s_delay_alu instid0(VALU_DEP_2) | instskip(NEXT) | instid1(VALU_DEP_1)
	v_and_b32_e32 v78, 0x7f, v52
	v_cmpx_ne_u32_e32 0x7f, v78
	s_cbranch_execz .LBB169_72
; %bb.69:                               ;   in Loop: Header=BB169_13 Depth=1
	v_dual_lshrrev_b32 v76, 3, v78 :: v_dual_bitop2_b32 v52, 7, v52 bitop3:0x40
	s_mov_b32 s45, exec_lo
	v_cmpx_gt_u32_e32 8, v78
; %bb.70:                               ;   in Loop: Header=BB169_13 Depth=1
	s_delay_alu instid0(VALU_DEP_2) | instskip(NEXT) | instid1(VALU_DEP_1)
	v_clz_i32_u32_e32 v76, v52
	v_min_u32_e32 v76, 32, v76
	s_delay_alu instid0(VALU_DEP_1) | instskip(NEXT) | instid1(VALU_DEP_1)
	v_subrev_nc_u32_e32 v78, 28, v76
	v_lshlrev_b64_e32 v[78:79], v78, v[52:53]
	s_delay_alu instid0(VALU_DEP_1)
	v_dual_sub_nc_u32 v76, 29, v76 :: v_dual_bitop2_b32 v52, 7, v78 bitop3:0x40
; %bb.71:                               ;   in Loop: Header=BB169_13 Depth=1
	s_or_b32 exec_lo, exec_lo, s45
	s_delay_alu instid0(VALU_DEP_1) | instskip(NEXT) | instid1(VALU_DEP_2)
	v_dual_lshlrev_b32 v77, 24, v77 :: v_dual_lshlrev_b32 v52, 20, v52
	v_lshl_add_u32 v76, v76, 23, 0x3c000000
	s_delay_alu instid0(VALU_DEP_2) | instskip(NEXT) | instid1(VALU_DEP_1)
	v_and_b32_e32 v77, 0x80000000, v77
	v_or3_b32 v76, v52, v77, v76
.LBB169_72:                             ;   in Loop: Header=BB169_13 Depth=1
	s_or_b32 exec_lo, exec_lo, s44
.LBB169_73:                             ;   in Loop: Header=BB169_13 Depth=1
	s_delay_alu instid0(SALU_CYCLE_1)
	s_or_b32 exec_lo, exec_lo, s43
.LBB169_74:                             ;   in Loop: Header=BB169_13 Depth=1
	s_delay_alu instid0(SALU_CYCLE_1)
	s_or_b32 exec_lo, exec_lo, s42
	global_load_u8 v77, v[60:61], off offset:140
	s_mov_b32 s42, exec_lo
	s_wait_loadcnt 0x0
	v_cmpx_ne_u16_e32 0, v77
	s_cbranch_execz .LBB169_82
; %bb.75:                               ;   in Loop: Header=BB169_13 Depth=1
	v_bfrev_b32_e32 v75, 1
	s_mov_b32 s43, exec_lo
	v_cmpx_ne_u16_e32 0x80, v77
	s_cbranch_execz .LBB169_81
; %bb.76:                               ;   in Loop: Header=BB169_13 Depth=1
	v_and_b32_e32 v52, 0xffff, v77
	v_mov_b32_e32 v75, 0x7f800001
	s_mov_b32 s44, exec_lo
	s_delay_alu instid0(VALU_DEP_2) | instskip(NEXT) | instid1(VALU_DEP_1)
	v_and_b32_e32 v78, 0x7f, v52
	v_cmpx_ne_u32_e32 0x7f, v78
	s_cbranch_execz .LBB169_80
; %bb.77:                               ;   in Loop: Header=BB169_13 Depth=1
	v_dual_lshrrev_b32 v75, 3, v78 :: v_dual_bitop2_b32 v52, 7, v52 bitop3:0x40
	s_mov_b32 s45, exec_lo
	v_cmpx_gt_u32_e32 8, v78
; %bb.78:                               ;   in Loop: Header=BB169_13 Depth=1
	s_delay_alu instid0(VALU_DEP_2) | instskip(NEXT) | instid1(VALU_DEP_1)
	v_clz_i32_u32_e32 v75, v52
	v_min_u32_e32 v75, 32, v75
	s_delay_alu instid0(VALU_DEP_1) | instskip(NEXT) | instid1(VALU_DEP_1)
	v_subrev_nc_u32_e32 v78, 28, v75
	v_lshlrev_b64_e32 v[78:79], v78, v[52:53]
	s_delay_alu instid0(VALU_DEP_1)
	v_dual_sub_nc_u32 v75, 29, v75 :: v_dual_bitop2_b32 v52, 7, v78 bitop3:0x40
; %bb.79:                               ;   in Loop: Header=BB169_13 Depth=1
	s_or_b32 exec_lo, exec_lo, s45
	s_delay_alu instid0(VALU_DEP_1) | instskip(NEXT) | instid1(VALU_DEP_2)
	v_dual_lshlrev_b32 v77, 24, v77 :: v_dual_lshlrev_b32 v52, 20, v52
	v_lshl_add_u32 v75, v75, 23, 0x3c000000
	s_delay_alu instid0(VALU_DEP_2) | instskip(NEXT) | instid1(VALU_DEP_1)
	v_and_b32_e32 v77, 0x80000000, v77
	v_or3_b32 v75, v52, v77, v75
.LBB169_80:                             ;   in Loop: Header=BB169_13 Depth=1
	s_or_b32 exec_lo, exec_lo, s44
.LBB169_81:                             ;   in Loop: Header=BB169_13 Depth=1
	s_delay_alu instid0(SALU_CYCLE_1)
	s_or_b32 exec_lo, exec_lo, s43
.LBB169_82:                             ;   in Loop: Header=BB169_13 Depth=1
	s_delay_alu instid0(SALU_CYCLE_1)
	s_or_b32 exec_lo, exec_lo, s42
	global_load_u8 v79, v[60:61], off offset:256
	v_dual_mov_b32 v77, 0 :: v_dual_mov_b32 v78, 0
	s_mov_b32 s42, exec_lo
	s_wait_loadcnt 0x0
	v_cmpx_ne_u16_e32 0, v79
	s_cbranch_execz .LBB169_90
; %bb.83:                               ;   in Loop: Header=BB169_13 Depth=1
	v_bfrev_b32_e32 v78, 1
	s_mov_b32 s43, exec_lo
	v_cmpx_ne_u16_e32 0x80, v79
	s_cbranch_execz .LBB169_89
; %bb.84:                               ;   in Loop: Header=BB169_13 Depth=1
	v_and_b32_e32 v52, 0xffff, v79
	v_mov_b32_e32 v78, 0x7f800001
	s_mov_b32 s44, exec_lo
	s_delay_alu instid0(VALU_DEP_2) | instskip(NEXT) | instid1(VALU_DEP_1)
	v_and_b32_e32 v80, 0x7f, v52
	v_cmpx_ne_u32_e32 0x7f, v80
	s_cbranch_execz .LBB169_88
; %bb.85:                               ;   in Loop: Header=BB169_13 Depth=1
	v_and_b32_e32 v52, 7, v52
	v_lshrrev_b32_e32 v78, 3, v80
	s_mov_b32 s45, exec_lo
	v_cmpx_gt_u32_e32 8, v80
; %bb.86:                               ;   in Loop: Header=BB169_13 Depth=1
	s_delay_alu instid0(VALU_DEP_3) | instskip(NEXT) | instid1(VALU_DEP_1)
	v_clz_i32_u32_e32 v78, v52
	v_min_u32_e32 v78, 32, v78
	s_delay_alu instid0(VALU_DEP_1) | instskip(NEXT) | instid1(VALU_DEP_1)
	v_subrev_nc_u32_e32 v80, 28, v78
	v_lshlrev_b64_e32 v[80:81], v80, v[52:53]
	s_delay_alu instid0(VALU_DEP_1)
	v_dual_sub_nc_u32 v78, 29, v78 :: v_dual_bitop2_b32 v52, 7, v80 bitop3:0x40
; %bb.87:                               ;   in Loop: Header=BB169_13 Depth=1
	s_or_b32 exec_lo, exec_lo, s45
	s_delay_alu instid0(VALU_DEP_1) | instskip(NEXT) | instid1(VALU_DEP_2)
	v_dual_lshlrev_b32 v79, 24, v79 :: v_dual_lshlrev_b32 v52, 20, v52
	v_lshl_add_u32 v78, v78, 23, 0x3c000000
	s_delay_alu instid0(VALU_DEP_2) | instskip(NEXT) | instid1(VALU_DEP_1)
	v_and_b32_e32 v79, 0x80000000, v79
	v_or3_b32 v78, v52, v79, v78
.LBB169_88:                             ;   in Loop: Header=BB169_13 Depth=1
	s_or_b32 exec_lo, exec_lo, s44
.LBB169_89:                             ;   in Loop: Header=BB169_13 Depth=1
	s_delay_alu instid0(SALU_CYCLE_1)
	s_or_b32 exec_lo, exec_lo, s43
.LBB169_90:                             ;   in Loop: Header=BB169_13 Depth=1
	s_delay_alu instid0(SALU_CYCLE_1)
	s_or_b32 exec_lo, exec_lo, s42
	global_load_u8 v79, v[60:61], off offset:260
	s_mov_b32 s42, exec_lo
	s_wait_loadcnt 0x0
	v_cmpx_ne_u16_e32 0, v79
	s_cbranch_execz .LBB169_98
; %bb.91:                               ;   in Loop: Header=BB169_13 Depth=1
	v_bfrev_b32_e32 v77, 1
	s_mov_b32 s43, exec_lo
	v_cmpx_ne_u16_e32 0x80, v79
	s_cbranch_execz .LBB169_97
; %bb.92:                               ;   in Loop: Header=BB169_13 Depth=1
	v_and_b32_e32 v52, 0xffff, v79
	v_mov_b32_e32 v77, 0x7f800001
	s_mov_b32 s44, exec_lo
	s_delay_alu instid0(VALU_DEP_2) | instskip(NEXT) | instid1(VALU_DEP_1)
	v_and_b32_e32 v80, 0x7f, v52
	v_cmpx_ne_u32_e32 0x7f, v80
	s_cbranch_execz .LBB169_96
; %bb.93:                               ;   in Loop: Header=BB169_13 Depth=1
	v_and_b32_e32 v52, 7, v52
	v_lshrrev_b32_e32 v77, 3, v80
	s_mov_b32 s45, exec_lo
	v_cmpx_gt_u32_e32 8, v80
; %bb.94:                               ;   in Loop: Header=BB169_13 Depth=1
	s_delay_alu instid0(VALU_DEP_3) | instskip(NEXT) | instid1(VALU_DEP_1)
	v_clz_i32_u32_e32 v77, v52
	v_min_u32_e32 v77, 32, v77
	s_delay_alu instid0(VALU_DEP_1) | instskip(NEXT) | instid1(VALU_DEP_1)
	v_subrev_nc_u32_e32 v80, 28, v77
	v_lshlrev_b64_e32 v[80:81], v80, v[52:53]
	s_delay_alu instid0(VALU_DEP_1)
	v_dual_sub_nc_u32 v77, 29, v77 :: v_dual_bitop2_b32 v52, 7, v80 bitop3:0x40
; %bb.95:                               ;   in Loop: Header=BB169_13 Depth=1
	s_or_b32 exec_lo, exec_lo, s45
	s_delay_alu instid0(VALU_DEP_1) | instskip(NEXT) | instid1(VALU_DEP_2)
	v_dual_lshlrev_b32 v79, 24, v79 :: v_dual_lshlrev_b32 v52, 20, v52
	v_lshl_add_u32 v77, v77, 23, 0x3c000000
	s_delay_alu instid0(VALU_DEP_2) | instskip(NEXT) | instid1(VALU_DEP_1)
	v_and_b32_e32 v79, 0x80000000, v79
	v_or3_b32 v77, v52, v79, v77
.LBB169_96:                             ;   in Loop: Header=BB169_13 Depth=1
	s_or_b32 exec_lo, exec_lo, s44
.LBB169_97:                             ;   in Loop: Header=BB169_13 Depth=1
	s_delay_alu instid0(SALU_CYCLE_1)
	s_or_b32 exec_lo, exec_lo, s43
.LBB169_98:                             ;   in Loop: Header=BB169_13 Depth=1
	s_delay_alu instid0(SALU_CYCLE_1)
	s_or_b32 exec_lo, exec_lo, s42
	global_load_u8 v81, v[60:61], off offset:264
	v_dual_mov_b32 v79, 0 :: v_dual_mov_b32 v80, 0
	s_mov_b32 s42, exec_lo
	s_wait_loadcnt 0x0
	v_cmpx_ne_u16_e32 0, v81
	s_cbranch_execz .LBB169_106
; %bb.99:                               ;   in Loop: Header=BB169_13 Depth=1
	v_bfrev_b32_e32 v80, 1
	s_mov_b32 s43, exec_lo
	v_cmpx_ne_u16_e32 0x80, v81
	s_cbranch_execz .LBB169_105
; %bb.100:                              ;   in Loop: Header=BB169_13 Depth=1
	v_and_b32_e32 v52, 0xffff, v81
	v_mov_b32_e32 v80, 0x7f800001
	s_mov_b32 s44, exec_lo
	s_delay_alu instid0(VALU_DEP_2) | instskip(NEXT) | instid1(VALU_DEP_1)
	v_and_b32_e32 v82, 0x7f, v52
	v_cmpx_ne_u32_e32 0x7f, v82
	s_cbranch_execz .LBB169_104
; %bb.101:                              ;   in Loop: Header=BB169_13 Depth=1
	v_dual_lshrrev_b32 v80, 3, v82 :: v_dual_bitop2_b32 v52, 7, v52 bitop3:0x40
	s_mov_b32 s45, exec_lo
	v_cmpx_gt_u32_e32 8, v82
; %bb.102:                              ;   in Loop: Header=BB169_13 Depth=1
	s_delay_alu instid0(VALU_DEP_2) | instskip(NEXT) | instid1(VALU_DEP_1)
	v_clz_i32_u32_e32 v80, v52
	v_min_u32_e32 v80, 32, v80
	s_delay_alu instid0(VALU_DEP_1) | instskip(NEXT) | instid1(VALU_DEP_1)
	v_subrev_nc_u32_e32 v82, 28, v80
	v_lshlrev_b64_e32 v[82:83], v82, v[52:53]
	s_delay_alu instid0(VALU_DEP_1)
	v_dual_sub_nc_u32 v80, 29, v80 :: v_dual_bitop2_b32 v52, 7, v82 bitop3:0x40
; %bb.103:                              ;   in Loop: Header=BB169_13 Depth=1
	s_or_b32 exec_lo, exec_lo, s45
	s_delay_alu instid0(VALU_DEP_1) | instskip(NEXT) | instid1(VALU_DEP_2)
	v_dual_lshlrev_b32 v81, 24, v81 :: v_dual_lshlrev_b32 v52, 20, v52
	v_lshl_add_u32 v80, v80, 23, 0x3c000000
	s_delay_alu instid0(VALU_DEP_2) | instskip(NEXT) | instid1(VALU_DEP_1)
	v_and_b32_e32 v81, 0x80000000, v81
	v_or3_b32 v80, v52, v81, v80
.LBB169_104:                            ;   in Loop: Header=BB169_13 Depth=1
	s_or_b32 exec_lo, exec_lo, s44
.LBB169_105:                            ;   in Loop: Header=BB169_13 Depth=1
	s_delay_alu instid0(SALU_CYCLE_1)
	s_or_b32 exec_lo, exec_lo, s43
.LBB169_106:                            ;   in Loop: Header=BB169_13 Depth=1
	s_delay_alu instid0(SALU_CYCLE_1)
	s_or_b32 exec_lo, exec_lo, s42
	global_load_u8 v81, v[60:61], off offset:268
	s_mov_b32 s42, exec_lo
	s_wait_loadcnt 0x0
	v_cmpx_ne_u16_e32 0, v81
	s_cbranch_execz .LBB169_114
; %bb.107:                              ;   in Loop: Header=BB169_13 Depth=1
	v_bfrev_b32_e32 v79, 1
	s_mov_b32 s43, exec_lo
	v_cmpx_ne_u16_e32 0x80, v81
	s_cbranch_execz .LBB169_113
; %bb.108:                              ;   in Loop: Header=BB169_13 Depth=1
	v_and_b32_e32 v52, 0xffff, v81
	v_mov_b32_e32 v79, 0x7f800001
	s_mov_b32 s44, exec_lo
	s_delay_alu instid0(VALU_DEP_2) | instskip(NEXT) | instid1(VALU_DEP_1)
	v_and_b32_e32 v82, 0x7f, v52
	v_cmpx_ne_u32_e32 0x7f, v82
	s_cbranch_execz .LBB169_112
; %bb.109:                              ;   in Loop: Header=BB169_13 Depth=1
	v_dual_lshrrev_b32 v79, 3, v82 :: v_dual_bitop2_b32 v52, 7, v52 bitop3:0x40
	s_mov_b32 s45, exec_lo
	v_cmpx_gt_u32_e32 8, v82
; %bb.110:                              ;   in Loop: Header=BB169_13 Depth=1
	s_delay_alu instid0(VALU_DEP_2) | instskip(NEXT) | instid1(VALU_DEP_1)
	v_clz_i32_u32_e32 v79, v52
	v_min_u32_e32 v79, 32, v79
	s_delay_alu instid0(VALU_DEP_1) | instskip(NEXT) | instid1(VALU_DEP_1)
	v_subrev_nc_u32_e32 v82, 28, v79
	v_lshlrev_b64_e32 v[82:83], v82, v[52:53]
	s_delay_alu instid0(VALU_DEP_1)
	v_dual_sub_nc_u32 v79, 29, v79 :: v_dual_bitop2_b32 v52, 7, v82 bitop3:0x40
; %bb.111:                              ;   in Loop: Header=BB169_13 Depth=1
	s_or_b32 exec_lo, exec_lo, s45
	s_delay_alu instid0(VALU_DEP_1) | instskip(NEXT) | instid1(VALU_DEP_2)
	v_dual_lshlrev_b32 v81, 24, v81 :: v_dual_lshlrev_b32 v52, 20, v52
	v_lshl_add_u32 v79, v79, 23, 0x3c000000
	s_delay_alu instid0(VALU_DEP_2) | instskip(NEXT) | instid1(VALU_DEP_1)
	v_and_b32_e32 v81, 0x80000000, v81
	v_or3_b32 v79, v52, v81, v79
.LBB169_112:                            ;   in Loop: Header=BB169_13 Depth=1
	s_or_b32 exec_lo, exec_lo, s44
.LBB169_113:                            ;   in Loop: Header=BB169_13 Depth=1
	s_delay_alu instid0(SALU_CYCLE_1)
	s_or_b32 exec_lo, exec_lo, s43
.LBB169_114:                            ;   in Loop: Header=BB169_13 Depth=1
	s_delay_alu instid0(SALU_CYCLE_1)
	s_or_b32 exec_lo, exec_lo, s42
	global_load_u8 v83, v[60:61], off offset:384
	v_dual_mov_b32 v81, 0 :: v_dual_mov_b32 v82, 0
	s_mov_b32 s42, exec_lo
	s_wait_loadcnt 0x0
	v_cmpx_ne_u16_e32 0, v83
	s_cbranch_execz .LBB169_122
; %bb.115:                              ;   in Loop: Header=BB169_13 Depth=1
	v_bfrev_b32_e32 v82, 1
	s_mov_b32 s43, exec_lo
	v_cmpx_ne_u16_e32 0x80, v83
	s_cbranch_execz .LBB169_121
; %bb.116:                              ;   in Loop: Header=BB169_13 Depth=1
	v_and_b32_e32 v52, 0xffff, v83
	v_mov_b32_e32 v82, 0x7f800001
	s_mov_b32 s44, exec_lo
	s_delay_alu instid0(VALU_DEP_2) | instskip(NEXT) | instid1(VALU_DEP_1)
	v_and_b32_e32 v84, 0x7f, v52
	v_cmpx_ne_u32_e32 0x7f, v84
	s_cbranch_execz .LBB169_120
; %bb.117:                              ;   in Loop: Header=BB169_13 Depth=1
	v_and_b32_e32 v52, 7, v52
	v_lshrrev_b32_e32 v82, 3, v84
	s_mov_b32 s45, exec_lo
	v_cmpx_gt_u32_e32 8, v84
; %bb.118:                              ;   in Loop: Header=BB169_13 Depth=1
	s_delay_alu instid0(VALU_DEP_3) | instskip(NEXT) | instid1(VALU_DEP_1)
	v_clz_i32_u32_e32 v82, v52
	v_min_u32_e32 v82, 32, v82
	s_delay_alu instid0(VALU_DEP_1) | instskip(NEXT) | instid1(VALU_DEP_1)
	v_subrev_nc_u32_e32 v84, 28, v82
	v_lshlrev_b64_e32 v[84:85], v84, v[52:53]
	s_delay_alu instid0(VALU_DEP_1)
	v_dual_sub_nc_u32 v82, 29, v82 :: v_dual_bitop2_b32 v52, 7, v84 bitop3:0x40
; %bb.119:                              ;   in Loop: Header=BB169_13 Depth=1
	s_or_b32 exec_lo, exec_lo, s45
	s_delay_alu instid0(VALU_DEP_1) | instskip(NEXT) | instid1(VALU_DEP_2)
	v_dual_lshlrev_b32 v83, 24, v83 :: v_dual_lshlrev_b32 v52, 20, v52
	v_lshl_add_u32 v82, v82, 23, 0x3c000000
	s_delay_alu instid0(VALU_DEP_2) | instskip(NEXT) | instid1(VALU_DEP_1)
	v_and_b32_e32 v83, 0x80000000, v83
	v_or3_b32 v82, v52, v83, v82
.LBB169_120:                            ;   in Loop: Header=BB169_13 Depth=1
	s_or_b32 exec_lo, exec_lo, s44
.LBB169_121:                            ;   in Loop: Header=BB169_13 Depth=1
	s_delay_alu instid0(SALU_CYCLE_1)
	s_or_b32 exec_lo, exec_lo, s43
.LBB169_122:                            ;   in Loop: Header=BB169_13 Depth=1
	s_delay_alu instid0(SALU_CYCLE_1)
	s_or_b32 exec_lo, exec_lo, s42
	global_load_u8 v83, v[60:61], off offset:388
	s_mov_b32 s42, exec_lo
	s_wait_loadcnt 0x0
	v_cmpx_ne_u16_e32 0, v83
	s_cbranch_execz .LBB169_130
; %bb.123:                              ;   in Loop: Header=BB169_13 Depth=1
	v_bfrev_b32_e32 v81, 1
	s_mov_b32 s43, exec_lo
	v_cmpx_ne_u16_e32 0x80, v83
	s_cbranch_execz .LBB169_129
; %bb.124:                              ;   in Loop: Header=BB169_13 Depth=1
	v_and_b32_e32 v52, 0xffff, v83
	v_mov_b32_e32 v81, 0x7f800001
	s_mov_b32 s44, exec_lo
	s_delay_alu instid0(VALU_DEP_2) | instskip(NEXT) | instid1(VALU_DEP_1)
	v_and_b32_e32 v84, 0x7f, v52
	v_cmpx_ne_u32_e32 0x7f, v84
	s_cbranch_execz .LBB169_128
; %bb.125:                              ;   in Loop: Header=BB169_13 Depth=1
	v_and_b32_e32 v52, 7, v52
	v_lshrrev_b32_e32 v81, 3, v84
	s_mov_b32 s45, exec_lo
	v_cmpx_gt_u32_e32 8, v84
; %bb.126:                              ;   in Loop: Header=BB169_13 Depth=1
	s_delay_alu instid0(VALU_DEP_3) | instskip(NEXT) | instid1(VALU_DEP_1)
	v_clz_i32_u32_e32 v81, v52
	v_min_u32_e32 v81, 32, v81
	s_delay_alu instid0(VALU_DEP_1) | instskip(NEXT) | instid1(VALU_DEP_1)
	v_subrev_nc_u32_e32 v84, 28, v81
	v_lshlrev_b64_e32 v[84:85], v84, v[52:53]
	s_delay_alu instid0(VALU_DEP_1)
	v_dual_sub_nc_u32 v81, 29, v81 :: v_dual_bitop2_b32 v52, 7, v84 bitop3:0x40
; %bb.127:                              ;   in Loop: Header=BB169_13 Depth=1
	s_or_b32 exec_lo, exec_lo, s45
	s_delay_alu instid0(VALU_DEP_1) | instskip(NEXT) | instid1(VALU_DEP_2)
	v_dual_lshlrev_b32 v83, 24, v83 :: v_dual_lshlrev_b32 v52, 20, v52
	v_lshl_add_u32 v81, v81, 23, 0x3c000000
	s_delay_alu instid0(VALU_DEP_2) | instskip(NEXT) | instid1(VALU_DEP_1)
	v_and_b32_e32 v83, 0x80000000, v83
	v_or3_b32 v81, v52, v83, v81
.LBB169_128:                            ;   in Loop: Header=BB169_13 Depth=1
	s_or_b32 exec_lo, exec_lo, s44
.LBB169_129:                            ;   in Loop: Header=BB169_13 Depth=1
	s_delay_alu instid0(SALU_CYCLE_1)
	s_or_b32 exec_lo, exec_lo, s43
.LBB169_130:                            ;   in Loop: Header=BB169_13 Depth=1
	s_delay_alu instid0(SALU_CYCLE_1)
	s_or_b32 exec_lo, exec_lo, s42
	global_load_u8 v85, v[60:61], off offset:392
	v_dual_mov_b32 v83, 0 :: v_dual_mov_b32 v84, 0
	s_mov_b32 s42, exec_lo
	s_wait_loadcnt 0x0
	v_cmpx_ne_u16_e32 0, v85
	s_cbranch_execz .LBB169_138
; %bb.131:                              ;   in Loop: Header=BB169_13 Depth=1
	v_bfrev_b32_e32 v84, 1
	s_mov_b32 s43, exec_lo
	v_cmpx_ne_u16_e32 0x80, v85
	s_cbranch_execz .LBB169_137
; %bb.132:                              ;   in Loop: Header=BB169_13 Depth=1
	v_and_b32_e32 v52, 0xffff, v85
	v_mov_b32_e32 v84, 0x7f800001
	s_mov_b32 s44, exec_lo
	s_delay_alu instid0(VALU_DEP_2) | instskip(NEXT) | instid1(VALU_DEP_1)
	v_and_b32_e32 v86, 0x7f, v52
	v_cmpx_ne_u32_e32 0x7f, v86
	s_cbranch_execz .LBB169_136
; %bb.133:                              ;   in Loop: Header=BB169_13 Depth=1
	v_dual_lshrrev_b32 v84, 3, v86 :: v_dual_bitop2_b32 v52, 7, v52 bitop3:0x40
	s_mov_b32 s45, exec_lo
	v_cmpx_gt_u32_e32 8, v86
; %bb.134:                              ;   in Loop: Header=BB169_13 Depth=1
	s_delay_alu instid0(VALU_DEP_2) | instskip(NEXT) | instid1(VALU_DEP_1)
	v_clz_i32_u32_e32 v84, v52
	v_min_u32_e32 v84, 32, v84
	s_delay_alu instid0(VALU_DEP_1) | instskip(NEXT) | instid1(VALU_DEP_1)
	v_subrev_nc_u32_e32 v86, 28, v84
	v_lshlrev_b64_e32 v[86:87], v86, v[52:53]
	s_delay_alu instid0(VALU_DEP_1)
	v_dual_sub_nc_u32 v84, 29, v84 :: v_dual_bitop2_b32 v52, 7, v86 bitop3:0x40
; %bb.135:                              ;   in Loop: Header=BB169_13 Depth=1
	s_or_b32 exec_lo, exec_lo, s45
	s_delay_alu instid0(VALU_DEP_1) | instskip(NEXT) | instid1(VALU_DEP_2)
	v_dual_lshlrev_b32 v85, 24, v85 :: v_dual_lshlrev_b32 v52, 20, v52
	v_lshl_add_u32 v84, v84, 23, 0x3c000000
	s_delay_alu instid0(VALU_DEP_2) | instskip(NEXT) | instid1(VALU_DEP_1)
	v_and_b32_e32 v85, 0x80000000, v85
	v_or3_b32 v84, v52, v85, v84
.LBB169_136:                            ;   in Loop: Header=BB169_13 Depth=1
	s_or_b32 exec_lo, exec_lo, s44
.LBB169_137:                            ;   in Loop: Header=BB169_13 Depth=1
	s_delay_alu instid0(SALU_CYCLE_1)
	s_or_b32 exec_lo, exec_lo, s43
.LBB169_138:                            ;   in Loop: Header=BB169_13 Depth=1
	s_delay_alu instid0(SALU_CYCLE_1)
	s_or_b32 exec_lo, exec_lo, s42
	global_load_u8 v85, v[60:61], off offset:396
	s_mov_b32 s42, exec_lo
	s_wait_loadcnt 0x0
	v_cmpx_ne_u16_e32 0, v85
	s_cbranch_execz .LBB169_146
; %bb.139:                              ;   in Loop: Header=BB169_13 Depth=1
	v_bfrev_b32_e32 v83, 1
	s_mov_b32 s43, exec_lo
	v_cmpx_ne_u16_e32 0x80, v85
	s_cbranch_execz .LBB169_145
; %bb.140:                              ;   in Loop: Header=BB169_13 Depth=1
	v_and_b32_e32 v52, 0xffff, v85
	v_mov_b32_e32 v83, 0x7f800001
	s_mov_b32 s44, exec_lo
	s_delay_alu instid0(VALU_DEP_2) | instskip(NEXT) | instid1(VALU_DEP_1)
	v_and_b32_e32 v86, 0x7f, v52
	v_cmpx_ne_u32_e32 0x7f, v86
	s_cbranch_execz .LBB169_144
; %bb.141:                              ;   in Loop: Header=BB169_13 Depth=1
	v_dual_lshrrev_b32 v83, 3, v86 :: v_dual_bitop2_b32 v52, 7, v52 bitop3:0x40
	s_mov_b32 s45, exec_lo
	v_cmpx_gt_u32_e32 8, v86
; %bb.142:                              ;   in Loop: Header=BB169_13 Depth=1
	s_delay_alu instid0(VALU_DEP_2) | instskip(NEXT) | instid1(VALU_DEP_1)
	v_clz_i32_u32_e32 v83, v52
	v_min_u32_e32 v83, 32, v83
	s_delay_alu instid0(VALU_DEP_1) | instskip(NEXT) | instid1(VALU_DEP_1)
	v_subrev_nc_u32_e32 v86, 28, v83
	v_lshlrev_b64_e32 v[86:87], v86, v[52:53]
	s_delay_alu instid0(VALU_DEP_1)
	v_dual_sub_nc_u32 v83, 29, v83 :: v_dual_bitop2_b32 v52, 7, v86 bitop3:0x40
; %bb.143:                              ;   in Loop: Header=BB169_13 Depth=1
	s_or_b32 exec_lo, exec_lo, s45
	s_delay_alu instid0(VALU_DEP_1) | instskip(NEXT) | instid1(VALU_DEP_2)
	v_dual_lshlrev_b32 v85, 24, v85 :: v_dual_lshlrev_b32 v52, 20, v52
	v_lshl_add_u32 v83, v83, 23, 0x3c000000
	s_delay_alu instid0(VALU_DEP_2) | instskip(NEXT) | instid1(VALU_DEP_1)
	v_and_b32_e32 v85, 0x80000000, v85
	v_or3_b32 v83, v52, v85, v83
.LBB169_144:                            ;   in Loop: Header=BB169_13 Depth=1
	s_or_b32 exec_lo, exec_lo, s44
.LBB169_145:                            ;   in Loop: Header=BB169_13 Depth=1
	s_delay_alu instid0(SALU_CYCLE_1)
	s_or_b32 exec_lo, exec_lo, s43
.LBB169_146:                            ;   in Loop: Header=BB169_13 Depth=1
	s_delay_alu instid0(SALU_CYCLE_1)
	s_or_b32 exec_lo, exec_lo, s42
	global_load_u8 v87, v[60:61], off offset:512
	v_dual_mov_b32 v85, 0 :: v_dual_mov_b32 v86, 0
	s_mov_b32 s42, exec_lo
	s_wait_loadcnt 0x0
	v_cmpx_ne_u16_e32 0, v87
	s_cbranch_execz .LBB169_154
; %bb.147:                              ;   in Loop: Header=BB169_13 Depth=1
	v_bfrev_b32_e32 v86, 1
	s_mov_b32 s43, exec_lo
	v_cmpx_ne_u16_e32 0x80, v87
	s_cbranch_execz .LBB169_153
; %bb.148:                              ;   in Loop: Header=BB169_13 Depth=1
	v_and_b32_e32 v52, 0xffff, v87
	v_mov_b32_e32 v86, 0x7f800001
	s_mov_b32 s44, exec_lo
	s_delay_alu instid0(VALU_DEP_2) | instskip(NEXT) | instid1(VALU_DEP_1)
	v_and_b32_e32 v88, 0x7f, v52
	v_cmpx_ne_u32_e32 0x7f, v88
	s_cbranch_execz .LBB169_152
; %bb.149:                              ;   in Loop: Header=BB169_13 Depth=1
	v_and_b32_e32 v52, 7, v52
	v_lshrrev_b32_e32 v86, 3, v88
	s_mov_b32 s45, exec_lo
	v_cmpx_gt_u32_e32 8, v88
; %bb.150:                              ;   in Loop: Header=BB169_13 Depth=1
	s_delay_alu instid0(VALU_DEP_3) | instskip(NEXT) | instid1(VALU_DEP_1)
	v_clz_i32_u32_e32 v86, v52
	v_min_u32_e32 v86, 32, v86
	s_delay_alu instid0(VALU_DEP_1) | instskip(NEXT) | instid1(VALU_DEP_1)
	v_subrev_nc_u32_e32 v88, 28, v86
	v_lshlrev_b64_e32 v[88:89], v88, v[52:53]
	s_delay_alu instid0(VALU_DEP_1)
	v_dual_sub_nc_u32 v86, 29, v86 :: v_dual_bitop2_b32 v52, 7, v88 bitop3:0x40
; %bb.151:                              ;   in Loop: Header=BB169_13 Depth=1
	s_or_b32 exec_lo, exec_lo, s45
	s_delay_alu instid0(VALU_DEP_1) | instskip(NEXT) | instid1(VALU_DEP_2)
	v_dual_lshlrev_b32 v87, 24, v87 :: v_dual_lshlrev_b32 v52, 20, v52
	v_lshl_add_u32 v86, v86, 23, 0x3c000000
	s_delay_alu instid0(VALU_DEP_2) | instskip(NEXT) | instid1(VALU_DEP_1)
	v_and_b32_e32 v87, 0x80000000, v87
	v_or3_b32 v86, v52, v87, v86
.LBB169_152:                            ;   in Loop: Header=BB169_13 Depth=1
	s_or_b32 exec_lo, exec_lo, s44
.LBB169_153:                            ;   in Loop: Header=BB169_13 Depth=1
	s_delay_alu instid0(SALU_CYCLE_1)
	s_or_b32 exec_lo, exec_lo, s43
.LBB169_154:                            ;   in Loop: Header=BB169_13 Depth=1
	s_delay_alu instid0(SALU_CYCLE_1)
	s_or_b32 exec_lo, exec_lo, s42
	global_load_u8 v87, v[60:61], off offset:516
	s_mov_b32 s42, exec_lo
	s_wait_loadcnt 0x0
	v_cmpx_ne_u16_e32 0, v87
	s_cbranch_execz .LBB169_162
; %bb.155:                              ;   in Loop: Header=BB169_13 Depth=1
	v_bfrev_b32_e32 v85, 1
	s_mov_b32 s43, exec_lo
	v_cmpx_ne_u16_e32 0x80, v87
	s_cbranch_execz .LBB169_161
; %bb.156:                              ;   in Loop: Header=BB169_13 Depth=1
	v_and_b32_e32 v52, 0xffff, v87
	v_mov_b32_e32 v85, 0x7f800001
	s_mov_b32 s44, exec_lo
	s_delay_alu instid0(VALU_DEP_2) | instskip(NEXT) | instid1(VALU_DEP_1)
	v_and_b32_e32 v88, 0x7f, v52
	v_cmpx_ne_u32_e32 0x7f, v88
	s_cbranch_execz .LBB169_160
; %bb.157:                              ;   in Loop: Header=BB169_13 Depth=1
	v_and_b32_e32 v52, 7, v52
	v_lshrrev_b32_e32 v85, 3, v88
	s_mov_b32 s45, exec_lo
	v_cmpx_gt_u32_e32 8, v88
; %bb.158:                              ;   in Loop: Header=BB169_13 Depth=1
	s_delay_alu instid0(VALU_DEP_3) | instskip(NEXT) | instid1(VALU_DEP_1)
	v_clz_i32_u32_e32 v85, v52
	v_min_u32_e32 v85, 32, v85
	s_delay_alu instid0(VALU_DEP_1) | instskip(NEXT) | instid1(VALU_DEP_1)
	v_subrev_nc_u32_e32 v88, 28, v85
	v_lshlrev_b64_e32 v[88:89], v88, v[52:53]
	s_delay_alu instid0(VALU_DEP_1)
	v_dual_sub_nc_u32 v85, 29, v85 :: v_dual_bitop2_b32 v52, 7, v88 bitop3:0x40
; %bb.159:                              ;   in Loop: Header=BB169_13 Depth=1
	s_or_b32 exec_lo, exec_lo, s45
	s_delay_alu instid0(VALU_DEP_1) | instskip(NEXT) | instid1(VALU_DEP_2)
	v_dual_lshlrev_b32 v87, 24, v87 :: v_dual_lshlrev_b32 v52, 20, v52
	v_lshl_add_u32 v85, v85, 23, 0x3c000000
	s_delay_alu instid0(VALU_DEP_2) | instskip(NEXT) | instid1(VALU_DEP_1)
	v_and_b32_e32 v87, 0x80000000, v87
	v_or3_b32 v85, v52, v87, v85
.LBB169_160:                            ;   in Loop: Header=BB169_13 Depth=1
	s_or_b32 exec_lo, exec_lo, s44
.LBB169_161:                            ;   in Loop: Header=BB169_13 Depth=1
	s_delay_alu instid0(SALU_CYCLE_1)
	s_or_b32 exec_lo, exec_lo, s43
.LBB169_162:                            ;   in Loop: Header=BB169_13 Depth=1
	s_delay_alu instid0(SALU_CYCLE_1)
	s_or_b32 exec_lo, exec_lo, s42
	global_load_u8 v89, v[60:61], off offset:520
	v_dual_mov_b32 v87, 0 :: v_dual_mov_b32 v88, 0
	s_mov_b32 s42, exec_lo
	s_wait_loadcnt 0x0
	v_cmpx_ne_u16_e32 0, v89
	s_cbranch_execz .LBB169_170
; %bb.163:                              ;   in Loop: Header=BB169_13 Depth=1
	v_bfrev_b32_e32 v88, 1
	s_mov_b32 s43, exec_lo
	v_cmpx_ne_u16_e32 0x80, v89
	s_cbranch_execz .LBB169_169
; %bb.164:                              ;   in Loop: Header=BB169_13 Depth=1
	v_and_b32_e32 v52, 0xffff, v89
	v_mov_b32_e32 v88, 0x7f800001
	s_mov_b32 s44, exec_lo
	s_delay_alu instid0(VALU_DEP_2) | instskip(NEXT) | instid1(VALU_DEP_1)
	v_and_b32_e32 v90, 0x7f, v52
	v_cmpx_ne_u32_e32 0x7f, v90
	s_cbranch_execz .LBB169_168
; %bb.165:                              ;   in Loop: Header=BB169_13 Depth=1
	v_dual_lshrrev_b32 v88, 3, v90 :: v_dual_bitop2_b32 v52, 7, v52 bitop3:0x40
	s_mov_b32 s45, exec_lo
	v_cmpx_gt_u32_e32 8, v90
; %bb.166:                              ;   in Loop: Header=BB169_13 Depth=1
	s_delay_alu instid0(VALU_DEP_2) | instskip(NEXT) | instid1(VALU_DEP_1)
	v_clz_i32_u32_e32 v88, v52
	v_min_u32_e32 v88, 32, v88
	s_delay_alu instid0(VALU_DEP_1) | instskip(NEXT) | instid1(VALU_DEP_1)
	v_subrev_nc_u32_e32 v90, 28, v88
	v_lshlrev_b64_e32 v[90:91], v90, v[52:53]
	s_delay_alu instid0(VALU_DEP_1)
	v_dual_sub_nc_u32 v88, 29, v88 :: v_dual_bitop2_b32 v52, 7, v90 bitop3:0x40
; %bb.167:                              ;   in Loop: Header=BB169_13 Depth=1
	s_or_b32 exec_lo, exec_lo, s45
	s_delay_alu instid0(VALU_DEP_1) | instskip(NEXT) | instid1(VALU_DEP_2)
	v_dual_lshlrev_b32 v89, 24, v89 :: v_dual_lshlrev_b32 v52, 20, v52
	v_lshl_add_u32 v88, v88, 23, 0x3c000000
	s_delay_alu instid0(VALU_DEP_2) | instskip(NEXT) | instid1(VALU_DEP_1)
	v_and_b32_e32 v89, 0x80000000, v89
	v_or3_b32 v88, v52, v89, v88
.LBB169_168:                            ;   in Loop: Header=BB169_13 Depth=1
	s_or_b32 exec_lo, exec_lo, s44
.LBB169_169:                            ;   in Loop: Header=BB169_13 Depth=1
	s_delay_alu instid0(SALU_CYCLE_1)
	s_or_b32 exec_lo, exec_lo, s43
.LBB169_170:                            ;   in Loop: Header=BB169_13 Depth=1
	s_delay_alu instid0(SALU_CYCLE_1)
	s_or_b32 exec_lo, exec_lo, s42
	global_load_u8 v89, v[60:61], off offset:524
	s_mov_b32 s42, exec_lo
	s_wait_loadcnt 0x0
	v_cmpx_ne_u16_e32 0, v89
	s_cbranch_execz .LBB169_178
; %bb.171:                              ;   in Loop: Header=BB169_13 Depth=1
	v_bfrev_b32_e32 v87, 1
	s_mov_b32 s43, exec_lo
	v_cmpx_ne_u16_e32 0x80, v89
	s_cbranch_execz .LBB169_177
; %bb.172:                              ;   in Loop: Header=BB169_13 Depth=1
	v_and_b32_e32 v52, 0xffff, v89
	v_mov_b32_e32 v87, 0x7f800001
	s_mov_b32 s44, exec_lo
	s_delay_alu instid0(VALU_DEP_2) | instskip(NEXT) | instid1(VALU_DEP_1)
	v_and_b32_e32 v90, 0x7f, v52
	v_cmpx_ne_u32_e32 0x7f, v90
	s_cbranch_execz .LBB169_176
; %bb.173:                              ;   in Loop: Header=BB169_13 Depth=1
	v_dual_lshrrev_b32 v87, 3, v90 :: v_dual_bitop2_b32 v52, 7, v52 bitop3:0x40
	s_mov_b32 s45, exec_lo
	v_cmpx_gt_u32_e32 8, v90
; %bb.174:                              ;   in Loop: Header=BB169_13 Depth=1
	s_delay_alu instid0(VALU_DEP_2) | instskip(NEXT) | instid1(VALU_DEP_1)
	v_clz_i32_u32_e32 v87, v52
	v_min_u32_e32 v87, 32, v87
	s_delay_alu instid0(VALU_DEP_1) | instskip(NEXT) | instid1(VALU_DEP_1)
	v_subrev_nc_u32_e32 v90, 28, v87
	v_lshlrev_b64_e32 v[90:91], v90, v[52:53]
	s_delay_alu instid0(VALU_DEP_1)
	v_dual_sub_nc_u32 v87, 29, v87 :: v_dual_bitop2_b32 v52, 7, v90 bitop3:0x40
; %bb.175:                              ;   in Loop: Header=BB169_13 Depth=1
	s_or_b32 exec_lo, exec_lo, s45
	s_delay_alu instid0(VALU_DEP_1) | instskip(NEXT) | instid1(VALU_DEP_2)
	v_dual_lshlrev_b32 v89, 24, v89 :: v_dual_lshlrev_b32 v52, 20, v52
	v_lshl_add_u32 v87, v87, 23, 0x3c000000
	s_delay_alu instid0(VALU_DEP_2) | instskip(NEXT) | instid1(VALU_DEP_1)
	v_and_b32_e32 v89, 0x80000000, v89
	v_or3_b32 v87, v52, v89, v87
.LBB169_176:                            ;   in Loop: Header=BB169_13 Depth=1
	s_or_b32 exec_lo, exec_lo, s44
.LBB169_177:                            ;   in Loop: Header=BB169_13 Depth=1
	s_delay_alu instid0(SALU_CYCLE_1)
	s_or_b32 exec_lo, exec_lo, s43
.LBB169_178:                            ;   in Loop: Header=BB169_13 Depth=1
	s_delay_alu instid0(SALU_CYCLE_1)
	s_or_b32 exec_lo, exec_lo, s42
	global_load_u8 v91, v[60:61], off offset:640
	v_dual_mov_b32 v89, 0 :: v_dual_mov_b32 v90, 0
	s_mov_b32 s42, exec_lo
	s_wait_loadcnt 0x0
	v_cmpx_ne_u16_e32 0, v91
	s_cbranch_execz .LBB169_186
; %bb.179:                              ;   in Loop: Header=BB169_13 Depth=1
	v_bfrev_b32_e32 v90, 1
	s_mov_b32 s43, exec_lo
	v_cmpx_ne_u16_e32 0x80, v91
	s_cbranch_execz .LBB169_185
; %bb.180:                              ;   in Loop: Header=BB169_13 Depth=1
	v_and_b32_e32 v52, 0xffff, v91
	v_mov_b32_e32 v90, 0x7f800001
	s_mov_b32 s44, exec_lo
	s_delay_alu instid0(VALU_DEP_2) | instskip(NEXT) | instid1(VALU_DEP_1)
	v_and_b32_e32 v92, 0x7f, v52
	v_cmpx_ne_u32_e32 0x7f, v92
	s_cbranch_execz .LBB169_184
; %bb.181:                              ;   in Loop: Header=BB169_13 Depth=1
	v_and_b32_e32 v52, 7, v52
	v_lshrrev_b32_e32 v90, 3, v92
	s_mov_b32 s45, exec_lo
	v_cmpx_gt_u32_e32 8, v92
; %bb.182:                              ;   in Loop: Header=BB169_13 Depth=1
	s_delay_alu instid0(VALU_DEP_3) | instskip(NEXT) | instid1(VALU_DEP_1)
	v_clz_i32_u32_e32 v90, v52
	v_min_u32_e32 v90, 32, v90
	s_delay_alu instid0(VALU_DEP_1) | instskip(NEXT) | instid1(VALU_DEP_1)
	v_subrev_nc_u32_e32 v92, 28, v90
	v_lshlrev_b64_e32 v[92:93], v92, v[52:53]
	s_delay_alu instid0(VALU_DEP_1)
	v_dual_sub_nc_u32 v90, 29, v90 :: v_dual_bitop2_b32 v52, 7, v92 bitop3:0x40
; %bb.183:                              ;   in Loop: Header=BB169_13 Depth=1
	s_or_b32 exec_lo, exec_lo, s45
	s_delay_alu instid0(VALU_DEP_1) | instskip(NEXT) | instid1(VALU_DEP_2)
	v_dual_lshlrev_b32 v91, 24, v91 :: v_dual_lshlrev_b32 v52, 20, v52
	v_lshl_add_u32 v90, v90, 23, 0x3c000000
	s_delay_alu instid0(VALU_DEP_2) | instskip(NEXT) | instid1(VALU_DEP_1)
	v_and_b32_e32 v91, 0x80000000, v91
	v_or3_b32 v90, v52, v91, v90
.LBB169_184:                            ;   in Loop: Header=BB169_13 Depth=1
	s_or_b32 exec_lo, exec_lo, s44
.LBB169_185:                            ;   in Loop: Header=BB169_13 Depth=1
	s_delay_alu instid0(SALU_CYCLE_1)
	s_or_b32 exec_lo, exec_lo, s43
.LBB169_186:                            ;   in Loop: Header=BB169_13 Depth=1
	s_delay_alu instid0(SALU_CYCLE_1)
	s_or_b32 exec_lo, exec_lo, s42
	global_load_u8 v91, v[60:61], off offset:644
	s_mov_b32 s42, exec_lo
	s_wait_loadcnt 0x0
	v_cmpx_ne_u16_e32 0, v91
	s_cbranch_execz .LBB169_194
; %bb.187:                              ;   in Loop: Header=BB169_13 Depth=1
	v_bfrev_b32_e32 v89, 1
	s_mov_b32 s43, exec_lo
	v_cmpx_ne_u16_e32 0x80, v91
	s_cbranch_execz .LBB169_193
; %bb.188:                              ;   in Loop: Header=BB169_13 Depth=1
	v_and_b32_e32 v52, 0xffff, v91
	v_mov_b32_e32 v89, 0x7f800001
	s_mov_b32 s44, exec_lo
	s_delay_alu instid0(VALU_DEP_2) | instskip(NEXT) | instid1(VALU_DEP_1)
	v_and_b32_e32 v92, 0x7f, v52
	v_cmpx_ne_u32_e32 0x7f, v92
	s_cbranch_execz .LBB169_192
; %bb.189:                              ;   in Loop: Header=BB169_13 Depth=1
	v_and_b32_e32 v52, 7, v52
	v_lshrrev_b32_e32 v89, 3, v92
	s_mov_b32 s45, exec_lo
	v_cmpx_gt_u32_e32 8, v92
; %bb.190:                              ;   in Loop: Header=BB169_13 Depth=1
	s_delay_alu instid0(VALU_DEP_3) | instskip(NEXT) | instid1(VALU_DEP_1)
	v_clz_i32_u32_e32 v89, v52
	v_min_u32_e32 v89, 32, v89
	s_delay_alu instid0(VALU_DEP_1) | instskip(NEXT) | instid1(VALU_DEP_1)
	v_subrev_nc_u32_e32 v92, 28, v89
	v_lshlrev_b64_e32 v[92:93], v92, v[52:53]
	s_delay_alu instid0(VALU_DEP_1)
	v_dual_sub_nc_u32 v89, 29, v89 :: v_dual_bitop2_b32 v52, 7, v92 bitop3:0x40
; %bb.191:                              ;   in Loop: Header=BB169_13 Depth=1
	s_or_b32 exec_lo, exec_lo, s45
	s_delay_alu instid0(VALU_DEP_1) | instskip(NEXT) | instid1(VALU_DEP_2)
	v_dual_lshlrev_b32 v91, 24, v91 :: v_dual_lshlrev_b32 v52, 20, v52
	v_lshl_add_u32 v89, v89, 23, 0x3c000000
	s_delay_alu instid0(VALU_DEP_2) | instskip(NEXT) | instid1(VALU_DEP_1)
	v_and_b32_e32 v91, 0x80000000, v91
	v_or3_b32 v89, v52, v91, v89
.LBB169_192:                            ;   in Loop: Header=BB169_13 Depth=1
	s_or_b32 exec_lo, exec_lo, s44
.LBB169_193:                            ;   in Loop: Header=BB169_13 Depth=1
	s_delay_alu instid0(SALU_CYCLE_1)
	s_or_b32 exec_lo, exec_lo, s43
.LBB169_194:                            ;   in Loop: Header=BB169_13 Depth=1
	s_delay_alu instid0(SALU_CYCLE_1)
	s_or_b32 exec_lo, exec_lo, s42
	global_load_u8 v93, v[60:61], off offset:648
	v_dual_mov_b32 v91, 0 :: v_dual_mov_b32 v92, 0
	s_mov_b32 s42, exec_lo
	s_wait_loadcnt 0x0
	v_cmpx_ne_u16_e32 0, v93
	s_cbranch_execz .LBB169_202
; %bb.195:                              ;   in Loop: Header=BB169_13 Depth=1
	v_bfrev_b32_e32 v92, 1
	s_mov_b32 s43, exec_lo
	v_cmpx_ne_u16_e32 0x80, v93
	s_cbranch_execz .LBB169_201
; %bb.196:                              ;   in Loop: Header=BB169_13 Depth=1
	v_and_b32_e32 v52, 0xffff, v93
	v_mov_b32_e32 v92, 0x7f800001
	s_mov_b32 s44, exec_lo
	s_delay_alu instid0(VALU_DEP_2) | instskip(NEXT) | instid1(VALU_DEP_1)
	v_and_b32_e32 v94, 0x7f, v52
	v_cmpx_ne_u32_e32 0x7f, v94
	s_cbranch_execz .LBB169_200
; %bb.197:                              ;   in Loop: Header=BB169_13 Depth=1
	v_dual_lshrrev_b32 v92, 3, v94 :: v_dual_bitop2_b32 v52, 7, v52 bitop3:0x40
	s_mov_b32 s45, exec_lo
	v_cmpx_gt_u32_e32 8, v94
; %bb.198:                              ;   in Loop: Header=BB169_13 Depth=1
	s_delay_alu instid0(VALU_DEP_2) | instskip(NEXT) | instid1(VALU_DEP_1)
	v_clz_i32_u32_e32 v92, v52
	v_min_u32_e32 v92, 32, v92
	s_delay_alu instid0(VALU_DEP_1) | instskip(NEXT) | instid1(VALU_DEP_1)
	v_subrev_nc_u32_e32 v94, 28, v92
	v_lshlrev_b64_e32 v[94:95], v94, v[52:53]
	s_delay_alu instid0(VALU_DEP_1)
	v_dual_sub_nc_u32 v92, 29, v92 :: v_dual_bitop2_b32 v52, 7, v94 bitop3:0x40
; %bb.199:                              ;   in Loop: Header=BB169_13 Depth=1
	s_or_b32 exec_lo, exec_lo, s45
	s_delay_alu instid0(VALU_DEP_1) | instskip(NEXT) | instid1(VALU_DEP_2)
	v_dual_lshlrev_b32 v93, 24, v93 :: v_dual_lshlrev_b32 v52, 20, v52
	v_lshl_add_u32 v92, v92, 23, 0x3c000000
	s_delay_alu instid0(VALU_DEP_2) | instskip(NEXT) | instid1(VALU_DEP_1)
	v_and_b32_e32 v93, 0x80000000, v93
	v_or3_b32 v92, v52, v93, v92
.LBB169_200:                            ;   in Loop: Header=BB169_13 Depth=1
	s_or_b32 exec_lo, exec_lo, s44
.LBB169_201:                            ;   in Loop: Header=BB169_13 Depth=1
	s_delay_alu instid0(SALU_CYCLE_1)
	s_or_b32 exec_lo, exec_lo, s43
.LBB169_202:                            ;   in Loop: Header=BB169_13 Depth=1
	s_delay_alu instid0(SALU_CYCLE_1)
	s_or_b32 exec_lo, exec_lo, s42
	global_load_u8 v93, v[60:61], off offset:652
	s_mov_b32 s42, exec_lo
	s_wait_loadcnt 0x0
	v_cmpx_ne_u16_e32 0, v93
	s_cbranch_execz .LBB169_210
; %bb.203:                              ;   in Loop: Header=BB169_13 Depth=1
	v_bfrev_b32_e32 v91, 1
	s_mov_b32 s43, exec_lo
	v_cmpx_ne_u16_e32 0x80, v93
	s_cbranch_execz .LBB169_209
; %bb.204:                              ;   in Loop: Header=BB169_13 Depth=1
	v_and_b32_e32 v52, 0xffff, v93
	v_mov_b32_e32 v91, 0x7f800001
	s_mov_b32 s44, exec_lo
	s_delay_alu instid0(VALU_DEP_2) | instskip(NEXT) | instid1(VALU_DEP_1)
	v_and_b32_e32 v94, 0x7f, v52
	v_cmpx_ne_u32_e32 0x7f, v94
	s_cbranch_execz .LBB169_208
; %bb.205:                              ;   in Loop: Header=BB169_13 Depth=1
	v_dual_lshrrev_b32 v91, 3, v94 :: v_dual_bitop2_b32 v52, 7, v52 bitop3:0x40
	s_mov_b32 s45, exec_lo
	v_cmpx_gt_u32_e32 8, v94
; %bb.206:                              ;   in Loop: Header=BB169_13 Depth=1
	s_delay_alu instid0(VALU_DEP_2) | instskip(NEXT) | instid1(VALU_DEP_1)
	v_clz_i32_u32_e32 v91, v52
	v_min_u32_e32 v91, 32, v91
	s_delay_alu instid0(VALU_DEP_1) | instskip(NEXT) | instid1(VALU_DEP_1)
	v_subrev_nc_u32_e32 v94, 28, v91
	v_lshlrev_b64_e32 v[94:95], v94, v[52:53]
	s_delay_alu instid0(VALU_DEP_1)
	v_dual_sub_nc_u32 v91, 29, v91 :: v_dual_bitop2_b32 v52, 7, v94 bitop3:0x40
; %bb.207:                              ;   in Loop: Header=BB169_13 Depth=1
	s_or_b32 exec_lo, exec_lo, s45
	s_delay_alu instid0(VALU_DEP_1) | instskip(NEXT) | instid1(VALU_DEP_2)
	v_dual_lshlrev_b32 v93, 24, v93 :: v_dual_lshlrev_b32 v52, 20, v52
	v_lshl_add_u32 v91, v91, 23, 0x3c000000
	s_delay_alu instid0(VALU_DEP_2) | instskip(NEXT) | instid1(VALU_DEP_1)
	v_and_b32_e32 v93, 0x80000000, v93
	v_or3_b32 v91, v52, v93, v91
.LBB169_208:                            ;   in Loop: Header=BB169_13 Depth=1
	s_or_b32 exec_lo, exec_lo, s44
.LBB169_209:                            ;   in Loop: Header=BB169_13 Depth=1
	s_delay_alu instid0(SALU_CYCLE_1)
	s_or_b32 exec_lo, exec_lo, s43
.LBB169_210:                            ;   in Loop: Header=BB169_13 Depth=1
	s_delay_alu instid0(SALU_CYCLE_1)
	s_or_b32 exec_lo, exec_lo, s42
	global_load_u8 v95, v[60:61], off offset:768
	v_dual_mov_b32 v93, 0 :: v_dual_mov_b32 v94, 0
	s_mov_b32 s42, exec_lo
	s_wait_loadcnt 0x0
	v_cmpx_ne_u16_e32 0, v95
	s_cbranch_execz .LBB169_218
; %bb.211:                              ;   in Loop: Header=BB169_13 Depth=1
	v_bfrev_b32_e32 v94, 1
	s_mov_b32 s43, exec_lo
	v_cmpx_ne_u16_e32 0x80, v95
	s_cbranch_execz .LBB169_217
; %bb.212:                              ;   in Loop: Header=BB169_13 Depth=1
	v_and_b32_e32 v52, 0xffff, v95
	v_mov_b32_e32 v94, 0x7f800001
	s_mov_b32 s44, exec_lo
	s_delay_alu instid0(VALU_DEP_2) | instskip(NEXT) | instid1(VALU_DEP_1)
	v_and_b32_e32 v96, 0x7f, v52
	v_cmpx_ne_u32_e32 0x7f, v96
	s_cbranch_execz .LBB169_216
; %bb.213:                              ;   in Loop: Header=BB169_13 Depth=1
	v_and_b32_e32 v52, 7, v52
	v_lshrrev_b32_e32 v94, 3, v96
	s_mov_b32 s45, exec_lo
	v_cmpx_gt_u32_e32 8, v96
; %bb.214:                              ;   in Loop: Header=BB169_13 Depth=1
	s_delay_alu instid0(VALU_DEP_3) | instskip(NEXT) | instid1(VALU_DEP_1)
	v_clz_i32_u32_e32 v94, v52
	v_min_u32_e32 v94, 32, v94
	s_delay_alu instid0(VALU_DEP_1) | instskip(NEXT) | instid1(VALU_DEP_1)
	v_subrev_nc_u32_e32 v96, 28, v94
	v_lshlrev_b64_e32 v[96:97], v96, v[52:53]
	s_delay_alu instid0(VALU_DEP_1)
	v_dual_sub_nc_u32 v94, 29, v94 :: v_dual_bitop2_b32 v52, 7, v96 bitop3:0x40
; %bb.215:                              ;   in Loop: Header=BB169_13 Depth=1
	s_or_b32 exec_lo, exec_lo, s45
	s_delay_alu instid0(VALU_DEP_1) | instskip(NEXT) | instid1(VALU_DEP_2)
	v_dual_lshlrev_b32 v95, 24, v95 :: v_dual_lshlrev_b32 v52, 20, v52
	v_lshl_add_u32 v94, v94, 23, 0x3c000000
	s_delay_alu instid0(VALU_DEP_2) | instskip(NEXT) | instid1(VALU_DEP_1)
	v_and_b32_e32 v95, 0x80000000, v95
	v_or3_b32 v94, v52, v95, v94
.LBB169_216:                            ;   in Loop: Header=BB169_13 Depth=1
	s_or_b32 exec_lo, exec_lo, s44
.LBB169_217:                            ;   in Loop: Header=BB169_13 Depth=1
	s_delay_alu instid0(SALU_CYCLE_1)
	s_or_b32 exec_lo, exec_lo, s43
.LBB169_218:                            ;   in Loop: Header=BB169_13 Depth=1
	s_delay_alu instid0(SALU_CYCLE_1)
	s_or_b32 exec_lo, exec_lo, s42
	global_load_u8 v95, v[60:61], off offset:772
	s_mov_b32 s42, exec_lo
	s_wait_loadcnt 0x0
	v_cmpx_ne_u16_e32 0, v95
	s_cbranch_execz .LBB169_226
; %bb.219:                              ;   in Loop: Header=BB169_13 Depth=1
	v_bfrev_b32_e32 v93, 1
	s_mov_b32 s43, exec_lo
	v_cmpx_ne_u16_e32 0x80, v95
	s_cbranch_execz .LBB169_225
; %bb.220:                              ;   in Loop: Header=BB169_13 Depth=1
	v_and_b32_e32 v52, 0xffff, v95
	v_mov_b32_e32 v93, 0x7f800001
	s_mov_b32 s44, exec_lo
	s_delay_alu instid0(VALU_DEP_2) | instskip(NEXT) | instid1(VALU_DEP_1)
	v_and_b32_e32 v96, 0x7f, v52
	v_cmpx_ne_u32_e32 0x7f, v96
	s_cbranch_execz .LBB169_224
; %bb.221:                              ;   in Loop: Header=BB169_13 Depth=1
	v_and_b32_e32 v52, 7, v52
	v_lshrrev_b32_e32 v93, 3, v96
	s_mov_b32 s45, exec_lo
	v_cmpx_gt_u32_e32 8, v96
; %bb.222:                              ;   in Loop: Header=BB169_13 Depth=1
	s_delay_alu instid0(VALU_DEP_3) | instskip(NEXT) | instid1(VALU_DEP_1)
	v_clz_i32_u32_e32 v93, v52
	v_min_u32_e32 v93, 32, v93
	s_delay_alu instid0(VALU_DEP_1) | instskip(NEXT) | instid1(VALU_DEP_1)
	v_subrev_nc_u32_e32 v96, 28, v93
	v_lshlrev_b64_e32 v[96:97], v96, v[52:53]
	s_delay_alu instid0(VALU_DEP_1)
	v_dual_sub_nc_u32 v93, 29, v93 :: v_dual_bitop2_b32 v52, 7, v96 bitop3:0x40
; %bb.223:                              ;   in Loop: Header=BB169_13 Depth=1
	s_or_b32 exec_lo, exec_lo, s45
	s_delay_alu instid0(VALU_DEP_1) | instskip(NEXT) | instid1(VALU_DEP_2)
	v_dual_lshlrev_b32 v95, 24, v95 :: v_dual_lshlrev_b32 v52, 20, v52
	v_lshl_add_u32 v93, v93, 23, 0x3c000000
	s_delay_alu instid0(VALU_DEP_2) | instskip(NEXT) | instid1(VALU_DEP_1)
	v_and_b32_e32 v95, 0x80000000, v95
	v_or3_b32 v93, v52, v95, v93
.LBB169_224:                            ;   in Loop: Header=BB169_13 Depth=1
	s_or_b32 exec_lo, exec_lo, s44
.LBB169_225:                            ;   in Loop: Header=BB169_13 Depth=1
	s_delay_alu instid0(SALU_CYCLE_1)
	s_or_b32 exec_lo, exec_lo, s43
.LBB169_226:                            ;   in Loop: Header=BB169_13 Depth=1
	s_delay_alu instid0(SALU_CYCLE_1)
	s_or_b32 exec_lo, exec_lo, s42
	global_load_u8 v97, v[60:61], off offset:776
	v_dual_mov_b32 v95, 0 :: v_dual_mov_b32 v96, 0
	s_mov_b32 s42, exec_lo
	s_wait_loadcnt 0x0
	v_cmpx_ne_u16_e32 0, v97
	s_cbranch_execz .LBB169_234
; %bb.227:                              ;   in Loop: Header=BB169_13 Depth=1
	v_bfrev_b32_e32 v96, 1
	s_mov_b32 s43, exec_lo
	v_cmpx_ne_u16_e32 0x80, v97
	s_cbranch_execz .LBB169_233
; %bb.228:                              ;   in Loop: Header=BB169_13 Depth=1
	v_and_b32_e32 v52, 0xffff, v97
	v_mov_b32_e32 v96, 0x7f800001
	s_mov_b32 s44, exec_lo
	s_delay_alu instid0(VALU_DEP_2) | instskip(NEXT) | instid1(VALU_DEP_1)
	v_and_b32_e32 v98, 0x7f, v52
	v_cmpx_ne_u32_e32 0x7f, v98
	s_cbranch_execz .LBB169_232
; %bb.229:                              ;   in Loop: Header=BB169_13 Depth=1
	v_dual_lshrrev_b32 v96, 3, v98 :: v_dual_bitop2_b32 v52, 7, v52 bitop3:0x40
	s_mov_b32 s45, exec_lo
	v_cmpx_gt_u32_e32 8, v98
; %bb.230:                              ;   in Loop: Header=BB169_13 Depth=1
	s_delay_alu instid0(VALU_DEP_2) | instskip(NEXT) | instid1(VALU_DEP_1)
	v_clz_i32_u32_e32 v96, v52
	v_min_u32_e32 v96, 32, v96
	s_delay_alu instid0(VALU_DEP_1) | instskip(NEXT) | instid1(VALU_DEP_1)
	v_subrev_nc_u32_e32 v98, 28, v96
	v_lshlrev_b64_e32 v[98:99], v98, v[52:53]
	s_delay_alu instid0(VALU_DEP_1)
	v_dual_sub_nc_u32 v96, 29, v96 :: v_dual_bitop2_b32 v52, 7, v98 bitop3:0x40
; %bb.231:                              ;   in Loop: Header=BB169_13 Depth=1
	s_or_b32 exec_lo, exec_lo, s45
	s_delay_alu instid0(VALU_DEP_1) | instskip(NEXT) | instid1(VALU_DEP_2)
	v_dual_lshlrev_b32 v97, 24, v97 :: v_dual_lshlrev_b32 v52, 20, v52
	v_lshl_add_u32 v96, v96, 23, 0x3c000000
	s_delay_alu instid0(VALU_DEP_2) | instskip(NEXT) | instid1(VALU_DEP_1)
	v_and_b32_e32 v97, 0x80000000, v97
	v_or3_b32 v96, v52, v97, v96
.LBB169_232:                            ;   in Loop: Header=BB169_13 Depth=1
	s_or_b32 exec_lo, exec_lo, s44
.LBB169_233:                            ;   in Loop: Header=BB169_13 Depth=1
	s_delay_alu instid0(SALU_CYCLE_1)
	s_or_b32 exec_lo, exec_lo, s43
.LBB169_234:                            ;   in Loop: Header=BB169_13 Depth=1
	s_delay_alu instid0(SALU_CYCLE_1)
	s_or_b32 exec_lo, exec_lo, s42
	global_load_u8 v97, v[60:61], off offset:780
	s_mov_b32 s42, exec_lo
	s_wait_loadcnt 0x0
	v_cmpx_ne_u16_e32 0, v97
	s_cbranch_execz .LBB169_242
; %bb.235:                              ;   in Loop: Header=BB169_13 Depth=1
	v_bfrev_b32_e32 v95, 1
	s_mov_b32 s43, exec_lo
	v_cmpx_ne_u16_e32 0x80, v97
	s_cbranch_execz .LBB169_241
; %bb.236:                              ;   in Loop: Header=BB169_13 Depth=1
	v_and_b32_e32 v52, 0xffff, v97
	v_mov_b32_e32 v95, 0x7f800001
	s_mov_b32 s44, exec_lo
	s_delay_alu instid0(VALU_DEP_2) | instskip(NEXT) | instid1(VALU_DEP_1)
	v_and_b32_e32 v98, 0x7f, v52
	v_cmpx_ne_u32_e32 0x7f, v98
	s_cbranch_execz .LBB169_240
; %bb.237:                              ;   in Loop: Header=BB169_13 Depth=1
	v_dual_lshrrev_b32 v95, 3, v98 :: v_dual_bitop2_b32 v52, 7, v52 bitop3:0x40
	s_mov_b32 s45, exec_lo
	v_cmpx_gt_u32_e32 8, v98
; %bb.238:                              ;   in Loop: Header=BB169_13 Depth=1
	s_delay_alu instid0(VALU_DEP_2) | instskip(NEXT) | instid1(VALU_DEP_1)
	v_clz_i32_u32_e32 v95, v52
	v_min_u32_e32 v95, 32, v95
	s_delay_alu instid0(VALU_DEP_1) | instskip(NEXT) | instid1(VALU_DEP_1)
	v_subrev_nc_u32_e32 v98, 28, v95
	v_lshlrev_b64_e32 v[98:99], v98, v[52:53]
	s_delay_alu instid0(VALU_DEP_1)
	v_dual_sub_nc_u32 v95, 29, v95 :: v_dual_bitop2_b32 v52, 7, v98 bitop3:0x40
; %bb.239:                              ;   in Loop: Header=BB169_13 Depth=1
	s_or_b32 exec_lo, exec_lo, s45
	s_delay_alu instid0(VALU_DEP_1) | instskip(NEXT) | instid1(VALU_DEP_2)
	v_dual_lshlrev_b32 v97, 24, v97 :: v_dual_lshlrev_b32 v52, 20, v52
	v_lshl_add_u32 v95, v95, 23, 0x3c000000
	s_delay_alu instid0(VALU_DEP_2) | instskip(NEXT) | instid1(VALU_DEP_1)
	v_and_b32_e32 v97, 0x80000000, v97
	v_or3_b32 v95, v52, v97, v95
.LBB169_240:                            ;   in Loop: Header=BB169_13 Depth=1
	s_or_b32 exec_lo, exec_lo, s44
.LBB169_241:                            ;   in Loop: Header=BB169_13 Depth=1
	s_delay_alu instid0(SALU_CYCLE_1)
	s_or_b32 exec_lo, exec_lo, s43
.LBB169_242:                            ;   in Loop: Header=BB169_13 Depth=1
	s_delay_alu instid0(SALU_CYCLE_1)
	s_or_b32 exec_lo, exec_lo, s42
	global_load_u8 v99, v[60:61], off offset:896
	v_dual_mov_b32 v97, 0 :: v_dual_mov_b32 v98, 0
	s_mov_b32 s42, exec_lo
	s_wait_loadcnt 0x0
	v_cmpx_ne_u16_e32 0, v99
	s_cbranch_execz .LBB169_250
; %bb.243:                              ;   in Loop: Header=BB169_13 Depth=1
	v_bfrev_b32_e32 v98, 1
	s_mov_b32 s43, exec_lo
	v_cmpx_ne_u16_e32 0x80, v99
	s_cbranch_execz .LBB169_249
; %bb.244:                              ;   in Loop: Header=BB169_13 Depth=1
	v_and_b32_e32 v52, 0xffff, v99
	v_mov_b32_e32 v98, 0x7f800001
	s_mov_b32 s44, exec_lo
	s_delay_alu instid0(VALU_DEP_2) | instskip(NEXT) | instid1(VALU_DEP_1)
	v_and_b32_e32 v100, 0x7f, v52
	v_cmpx_ne_u32_e32 0x7f, v100
	s_cbranch_execz .LBB169_248
; %bb.245:                              ;   in Loop: Header=BB169_13 Depth=1
	v_and_b32_e32 v52, 7, v52
	v_lshrrev_b32_e32 v98, 3, v100
	s_mov_b32 s45, exec_lo
	v_cmpx_gt_u32_e32 8, v100
; %bb.246:                              ;   in Loop: Header=BB169_13 Depth=1
	s_delay_alu instid0(VALU_DEP_3) | instskip(NEXT) | instid1(VALU_DEP_1)
	v_clz_i32_u32_e32 v98, v52
	v_min_u32_e32 v98, 32, v98
	s_delay_alu instid0(VALU_DEP_1) | instskip(NEXT) | instid1(VALU_DEP_1)
	v_subrev_nc_u32_e32 v100, 28, v98
	v_lshlrev_b64_e32 v[100:101], v100, v[52:53]
	s_delay_alu instid0(VALU_DEP_1)
	v_dual_sub_nc_u32 v98, 29, v98 :: v_dual_bitop2_b32 v52, 7, v100 bitop3:0x40
; %bb.247:                              ;   in Loop: Header=BB169_13 Depth=1
	s_or_b32 exec_lo, exec_lo, s45
	s_delay_alu instid0(VALU_DEP_1) | instskip(NEXT) | instid1(VALU_DEP_2)
	v_dual_lshlrev_b32 v99, 24, v99 :: v_dual_lshlrev_b32 v52, 20, v52
	v_lshl_add_u32 v98, v98, 23, 0x3c000000
	s_delay_alu instid0(VALU_DEP_2) | instskip(NEXT) | instid1(VALU_DEP_1)
	v_and_b32_e32 v99, 0x80000000, v99
	v_or3_b32 v98, v52, v99, v98
.LBB169_248:                            ;   in Loop: Header=BB169_13 Depth=1
	s_or_b32 exec_lo, exec_lo, s44
.LBB169_249:                            ;   in Loop: Header=BB169_13 Depth=1
	s_delay_alu instid0(SALU_CYCLE_1)
	s_or_b32 exec_lo, exec_lo, s43
.LBB169_250:                            ;   in Loop: Header=BB169_13 Depth=1
	s_delay_alu instid0(SALU_CYCLE_1)
	s_or_b32 exec_lo, exec_lo, s42
	global_load_u8 v99, v[60:61], off offset:900
	s_mov_b32 s42, exec_lo
	s_wait_loadcnt 0x0
	v_cmpx_ne_u16_e32 0, v99
	s_cbranch_execz .LBB169_258
; %bb.251:                              ;   in Loop: Header=BB169_13 Depth=1
	v_bfrev_b32_e32 v97, 1
	s_mov_b32 s43, exec_lo
	v_cmpx_ne_u16_e32 0x80, v99
	s_cbranch_execz .LBB169_257
; %bb.252:                              ;   in Loop: Header=BB169_13 Depth=1
	v_and_b32_e32 v52, 0xffff, v99
	v_mov_b32_e32 v97, 0x7f800001
	s_mov_b32 s44, exec_lo
	s_delay_alu instid0(VALU_DEP_2) | instskip(NEXT) | instid1(VALU_DEP_1)
	v_and_b32_e32 v100, 0x7f, v52
	v_cmpx_ne_u32_e32 0x7f, v100
	s_cbranch_execz .LBB169_256
; %bb.253:                              ;   in Loop: Header=BB169_13 Depth=1
	v_and_b32_e32 v52, 7, v52
	v_lshrrev_b32_e32 v97, 3, v100
	s_mov_b32 s45, exec_lo
	v_cmpx_gt_u32_e32 8, v100
; %bb.254:                              ;   in Loop: Header=BB169_13 Depth=1
	s_delay_alu instid0(VALU_DEP_3) | instskip(NEXT) | instid1(VALU_DEP_1)
	v_clz_i32_u32_e32 v97, v52
	v_min_u32_e32 v97, 32, v97
	s_delay_alu instid0(VALU_DEP_1) | instskip(NEXT) | instid1(VALU_DEP_1)
	v_subrev_nc_u32_e32 v100, 28, v97
	v_lshlrev_b64_e32 v[100:101], v100, v[52:53]
	s_delay_alu instid0(VALU_DEP_1)
	v_dual_sub_nc_u32 v97, 29, v97 :: v_dual_bitop2_b32 v52, 7, v100 bitop3:0x40
; %bb.255:                              ;   in Loop: Header=BB169_13 Depth=1
	s_or_b32 exec_lo, exec_lo, s45
	s_delay_alu instid0(VALU_DEP_1) | instskip(NEXT) | instid1(VALU_DEP_2)
	v_dual_lshlrev_b32 v99, 24, v99 :: v_dual_lshlrev_b32 v52, 20, v52
	v_lshl_add_u32 v97, v97, 23, 0x3c000000
	s_delay_alu instid0(VALU_DEP_2) | instskip(NEXT) | instid1(VALU_DEP_1)
	v_and_b32_e32 v99, 0x80000000, v99
	v_or3_b32 v97, v52, v99, v97
.LBB169_256:                            ;   in Loop: Header=BB169_13 Depth=1
	s_or_b32 exec_lo, exec_lo, s44
.LBB169_257:                            ;   in Loop: Header=BB169_13 Depth=1
	s_delay_alu instid0(SALU_CYCLE_1)
	s_or_b32 exec_lo, exec_lo, s43
.LBB169_258:                            ;   in Loop: Header=BB169_13 Depth=1
	s_delay_alu instid0(SALU_CYCLE_1)
	s_or_b32 exec_lo, exec_lo, s42
	global_load_u8 v101, v[60:61], off offset:904
	v_dual_mov_b32 v99, 0 :: v_dual_mov_b32 v100, 0
	s_mov_b32 s42, exec_lo
	s_wait_loadcnt 0x0
	v_cmpx_ne_u16_e32 0, v101
	s_cbranch_execz .LBB169_266
; %bb.259:                              ;   in Loop: Header=BB169_13 Depth=1
	v_bfrev_b32_e32 v100, 1
	s_mov_b32 s43, exec_lo
	v_cmpx_ne_u16_e32 0x80, v101
	s_cbranch_execz .LBB169_265
; %bb.260:                              ;   in Loop: Header=BB169_13 Depth=1
	v_and_b32_e32 v52, 0xffff, v101
	v_mov_b32_e32 v100, 0x7f800001
	s_mov_b32 s44, exec_lo
	s_delay_alu instid0(VALU_DEP_2) | instskip(NEXT) | instid1(VALU_DEP_1)
	v_and_b32_e32 v102, 0x7f, v52
	v_cmpx_ne_u32_e32 0x7f, v102
	s_cbranch_execz .LBB169_264
; %bb.261:                              ;   in Loop: Header=BB169_13 Depth=1
	v_dual_lshrrev_b32 v100, 3, v102 :: v_dual_bitop2_b32 v52, 7, v52 bitop3:0x40
	s_mov_b32 s45, exec_lo
	v_cmpx_gt_u32_e32 8, v102
; %bb.262:                              ;   in Loop: Header=BB169_13 Depth=1
	s_delay_alu instid0(VALU_DEP_2) | instskip(NEXT) | instid1(VALU_DEP_1)
	v_clz_i32_u32_e32 v100, v52
	v_min_u32_e32 v100, 32, v100
	s_delay_alu instid0(VALU_DEP_1) | instskip(NEXT) | instid1(VALU_DEP_1)
	v_subrev_nc_u32_e32 v102, 28, v100
	v_lshlrev_b64_e32 v[102:103], v102, v[52:53]
	s_delay_alu instid0(VALU_DEP_1)
	v_dual_sub_nc_u32 v100, 29, v100 :: v_dual_bitop2_b32 v52, 7, v102 bitop3:0x40
; %bb.263:                              ;   in Loop: Header=BB169_13 Depth=1
	s_or_b32 exec_lo, exec_lo, s45
	s_delay_alu instid0(VALU_DEP_1) | instskip(NEXT) | instid1(VALU_DEP_2)
	v_dual_lshlrev_b32 v101, 24, v101 :: v_dual_lshlrev_b32 v52, 20, v52
	v_lshl_add_u32 v100, v100, 23, 0x3c000000
	s_delay_alu instid0(VALU_DEP_2) | instskip(NEXT) | instid1(VALU_DEP_1)
	v_and_b32_e32 v101, 0x80000000, v101
	v_or3_b32 v100, v52, v101, v100
.LBB169_264:                            ;   in Loop: Header=BB169_13 Depth=1
	s_or_b32 exec_lo, exec_lo, s44
.LBB169_265:                            ;   in Loop: Header=BB169_13 Depth=1
	s_delay_alu instid0(SALU_CYCLE_1)
	s_or_b32 exec_lo, exec_lo, s43
.LBB169_266:                            ;   in Loop: Header=BB169_13 Depth=1
	s_delay_alu instid0(SALU_CYCLE_1)
	s_or_b32 exec_lo, exec_lo, s42
	global_load_u8 v101, v[60:61], off offset:908
	s_mov_b32 s42, exec_lo
	s_wait_loadcnt 0x0
	v_cmpx_ne_u16_e32 0, v101
	s_cbranch_execz .LBB169_274
; %bb.267:                              ;   in Loop: Header=BB169_13 Depth=1
	v_bfrev_b32_e32 v99, 1
	s_mov_b32 s43, exec_lo
	v_cmpx_ne_u16_e32 0x80, v101
	s_cbranch_execz .LBB169_273
; %bb.268:                              ;   in Loop: Header=BB169_13 Depth=1
	v_and_b32_e32 v52, 0xffff, v101
	v_mov_b32_e32 v99, 0x7f800001
	s_mov_b32 s44, exec_lo
	s_delay_alu instid0(VALU_DEP_2) | instskip(NEXT) | instid1(VALU_DEP_1)
	v_and_b32_e32 v102, 0x7f, v52
	v_cmpx_ne_u32_e32 0x7f, v102
	s_cbranch_execz .LBB169_272
; %bb.269:                              ;   in Loop: Header=BB169_13 Depth=1
	v_dual_lshrrev_b32 v99, 3, v102 :: v_dual_bitop2_b32 v52, 7, v52 bitop3:0x40
	s_mov_b32 s45, exec_lo
	v_cmpx_gt_u32_e32 8, v102
; %bb.270:                              ;   in Loop: Header=BB169_13 Depth=1
	s_delay_alu instid0(VALU_DEP_2) | instskip(NEXT) | instid1(VALU_DEP_1)
	v_clz_i32_u32_e32 v99, v52
	v_min_u32_e32 v99, 32, v99
	s_delay_alu instid0(VALU_DEP_1) | instskip(NEXT) | instid1(VALU_DEP_1)
	v_subrev_nc_u32_e32 v102, 28, v99
	v_lshlrev_b64_e32 v[102:103], v102, v[52:53]
	s_delay_alu instid0(VALU_DEP_1)
	v_dual_sub_nc_u32 v99, 29, v99 :: v_dual_bitop2_b32 v52, 7, v102 bitop3:0x40
; %bb.271:                              ;   in Loop: Header=BB169_13 Depth=1
	s_or_b32 exec_lo, exec_lo, s45
	s_delay_alu instid0(VALU_DEP_1) | instskip(NEXT) | instid1(VALU_DEP_2)
	v_dual_lshlrev_b32 v101, 24, v101 :: v_dual_lshlrev_b32 v52, 20, v52
	v_lshl_add_u32 v99, v99, 23, 0x3c000000
	s_delay_alu instid0(VALU_DEP_2) | instskip(NEXT) | instid1(VALU_DEP_1)
	v_and_b32_e32 v101, 0x80000000, v101
	v_or3_b32 v99, v52, v101, v99
.LBB169_272:                            ;   in Loop: Header=BB169_13 Depth=1
	s_or_b32 exec_lo, exec_lo, s44
.LBB169_273:                            ;   in Loop: Header=BB169_13 Depth=1
	s_delay_alu instid0(SALU_CYCLE_1)
	s_or_b32 exec_lo, exec_lo, s43
.LBB169_274:                            ;   in Loop: Header=BB169_13 Depth=1
	s_delay_alu instid0(SALU_CYCLE_1)
	s_or_b32 exec_lo, exec_lo, s42
	global_load_u8 v103, v[60:61], off offset:1024
	v_dual_mov_b32 v101, 0 :: v_dual_mov_b32 v102, 0
	s_mov_b32 s42, exec_lo
	s_wait_loadcnt 0x0
	v_cmpx_ne_u16_e32 0, v103
	s_cbranch_execz .LBB169_282
; %bb.275:                              ;   in Loop: Header=BB169_13 Depth=1
	v_bfrev_b32_e32 v102, 1
	s_mov_b32 s43, exec_lo
	v_cmpx_ne_u16_e32 0x80, v103
	s_cbranch_execz .LBB169_281
; %bb.276:                              ;   in Loop: Header=BB169_13 Depth=1
	v_and_b32_e32 v52, 0xffff, v103
	v_mov_b32_e32 v102, 0x7f800001
	s_mov_b32 s44, exec_lo
	s_delay_alu instid0(VALU_DEP_2) | instskip(NEXT) | instid1(VALU_DEP_1)
	v_and_b32_e32 v104, 0x7f, v52
	v_cmpx_ne_u32_e32 0x7f, v104
	s_cbranch_execz .LBB169_280
; %bb.277:                              ;   in Loop: Header=BB169_13 Depth=1
	v_and_b32_e32 v52, 7, v52
	v_lshrrev_b32_e32 v102, 3, v104
	s_mov_b32 s45, exec_lo
	v_cmpx_gt_u32_e32 8, v104
; %bb.278:                              ;   in Loop: Header=BB169_13 Depth=1
	s_delay_alu instid0(VALU_DEP_3) | instskip(NEXT) | instid1(VALU_DEP_1)
	v_clz_i32_u32_e32 v102, v52
	v_min_u32_e32 v102, 32, v102
	s_delay_alu instid0(VALU_DEP_1) | instskip(NEXT) | instid1(VALU_DEP_1)
	v_subrev_nc_u32_e32 v104, 28, v102
	v_lshlrev_b64_e32 v[104:105], v104, v[52:53]
	s_delay_alu instid0(VALU_DEP_1)
	v_dual_sub_nc_u32 v102, 29, v102 :: v_dual_bitop2_b32 v52, 7, v104 bitop3:0x40
; %bb.279:                              ;   in Loop: Header=BB169_13 Depth=1
	s_or_b32 exec_lo, exec_lo, s45
	s_delay_alu instid0(VALU_DEP_1) | instskip(NEXT) | instid1(VALU_DEP_2)
	v_dual_lshlrev_b32 v103, 24, v103 :: v_dual_lshlrev_b32 v52, 20, v52
	v_lshl_add_u32 v102, v102, 23, 0x3c000000
	s_delay_alu instid0(VALU_DEP_2) | instskip(NEXT) | instid1(VALU_DEP_1)
	v_and_b32_e32 v103, 0x80000000, v103
	v_or3_b32 v102, v52, v103, v102
.LBB169_280:                            ;   in Loop: Header=BB169_13 Depth=1
	s_or_b32 exec_lo, exec_lo, s44
.LBB169_281:                            ;   in Loop: Header=BB169_13 Depth=1
	s_delay_alu instid0(SALU_CYCLE_1)
	s_or_b32 exec_lo, exec_lo, s43
.LBB169_282:                            ;   in Loop: Header=BB169_13 Depth=1
	s_delay_alu instid0(SALU_CYCLE_1)
	s_or_b32 exec_lo, exec_lo, s42
	global_load_u8 v103, v[60:61], off offset:1028
	s_mov_b32 s42, exec_lo
	s_wait_loadcnt 0x0
	v_cmpx_ne_u16_e32 0, v103
	s_cbranch_execz .LBB169_290
; %bb.283:                              ;   in Loop: Header=BB169_13 Depth=1
	v_bfrev_b32_e32 v101, 1
	s_mov_b32 s43, exec_lo
	v_cmpx_ne_u16_e32 0x80, v103
	s_cbranch_execz .LBB169_289
; %bb.284:                              ;   in Loop: Header=BB169_13 Depth=1
	v_and_b32_e32 v52, 0xffff, v103
	v_mov_b32_e32 v101, 0x7f800001
	s_mov_b32 s44, exec_lo
	s_delay_alu instid0(VALU_DEP_2) | instskip(NEXT) | instid1(VALU_DEP_1)
	v_and_b32_e32 v104, 0x7f, v52
	v_cmpx_ne_u32_e32 0x7f, v104
	s_cbranch_execz .LBB169_288
; %bb.285:                              ;   in Loop: Header=BB169_13 Depth=1
	v_and_b32_e32 v52, 7, v52
	v_lshrrev_b32_e32 v101, 3, v104
	s_mov_b32 s45, exec_lo
	v_cmpx_gt_u32_e32 8, v104
; %bb.286:                              ;   in Loop: Header=BB169_13 Depth=1
	s_delay_alu instid0(VALU_DEP_3) | instskip(NEXT) | instid1(VALU_DEP_1)
	v_clz_i32_u32_e32 v101, v52
	v_min_u32_e32 v101, 32, v101
	s_delay_alu instid0(VALU_DEP_1) | instskip(NEXT) | instid1(VALU_DEP_1)
	v_subrev_nc_u32_e32 v104, 28, v101
	v_lshlrev_b64_e32 v[104:105], v104, v[52:53]
	s_delay_alu instid0(VALU_DEP_1)
	v_dual_sub_nc_u32 v101, 29, v101 :: v_dual_bitop2_b32 v52, 7, v104 bitop3:0x40
; %bb.287:                              ;   in Loop: Header=BB169_13 Depth=1
	s_or_b32 exec_lo, exec_lo, s45
	s_delay_alu instid0(VALU_DEP_1) | instskip(NEXT) | instid1(VALU_DEP_2)
	v_dual_lshlrev_b32 v103, 24, v103 :: v_dual_lshlrev_b32 v52, 20, v52
	v_lshl_add_u32 v101, v101, 23, 0x3c000000
	s_delay_alu instid0(VALU_DEP_2) | instskip(NEXT) | instid1(VALU_DEP_1)
	v_and_b32_e32 v103, 0x80000000, v103
	v_or3_b32 v101, v52, v103, v101
.LBB169_288:                            ;   in Loop: Header=BB169_13 Depth=1
	s_or_b32 exec_lo, exec_lo, s44
.LBB169_289:                            ;   in Loop: Header=BB169_13 Depth=1
	s_delay_alu instid0(SALU_CYCLE_1)
	s_or_b32 exec_lo, exec_lo, s43
.LBB169_290:                            ;   in Loop: Header=BB169_13 Depth=1
	s_delay_alu instid0(SALU_CYCLE_1)
	s_or_b32 exec_lo, exec_lo, s42
	global_load_u8 v105, v[60:61], off offset:1032
	v_dual_mov_b32 v103, 0 :: v_dual_mov_b32 v104, 0
	s_mov_b32 s42, exec_lo
	s_wait_loadcnt 0x0
	v_cmpx_ne_u16_e32 0, v105
	s_cbranch_execz .LBB169_298
; %bb.291:                              ;   in Loop: Header=BB169_13 Depth=1
	v_bfrev_b32_e32 v104, 1
	s_mov_b32 s43, exec_lo
	v_cmpx_ne_u16_e32 0x80, v105
	s_cbranch_execz .LBB169_297
; %bb.292:                              ;   in Loop: Header=BB169_13 Depth=1
	v_and_b32_e32 v52, 0xffff, v105
	v_mov_b32_e32 v104, 0x7f800001
	s_mov_b32 s44, exec_lo
	s_delay_alu instid0(VALU_DEP_2) | instskip(NEXT) | instid1(VALU_DEP_1)
	v_and_b32_e32 v106, 0x7f, v52
	v_cmpx_ne_u32_e32 0x7f, v106
	s_cbranch_execz .LBB169_296
; %bb.293:                              ;   in Loop: Header=BB169_13 Depth=1
	v_dual_lshrrev_b32 v104, 3, v106 :: v_dual_bitop2_b32 v52, 7, v52 bitop3:0x40
	s_mov_b32 s45, exec_lo
	v_cmpx_gt_u32_e32 8, v106
; %bb.294:                              ;   in Loop: Header=BB169_13 Depth=1
	s_delay_alu instid0(VALU_DEP_2) | instskip(NEXT) | instid1(VALU_DEP_1)
	v_clz_i32_u32_e32 v104, v52
	v_min_u32_e32 v104, 32, v104
	s_delay_alu instid0(VALU_DEP_1) | instskip(NEXT) | instid1(VALU_DEP_1)
	v_subrev_nc_u32_e32 v106, 28, v104
	v_lshlrev_b64_e32 v[106:107], v106, v[52:53]
	s_delay_alu instid0(VALU_DEP_1)
	v_dual_sub_nc_u32 v104, 29, v104 :: v_dual_bitop2_b32 v52, 7, v106 bitop3:0x40
; %bb.295:                              ;   in Loop: Header=BB169_13 Depth=1
	s_or_b32 exec_lo, exec_lo, s45
	s_delay_alu instid0(VALU_DEP_1) | instskip(NEXT) | instid1(VALU_DEP_2)
	v_dual_lshlrev_b32 v105, 24, v105 :: v_dual_lshlrev_b32 v52, 20, v52
	v_lshl_add_u32 v104, v104, 23, 0x3c000000
	s_delay_alu instid0(VALU_DEP_2) | instskip(NEXT) | instid1(VALU_DEP_1)
	v_and_b32_e32 v105, 0x80000000, v105
	v_or3_b32 v104, v52, v105, v104
.LBB169_296:                            ;   in Loop: Header=BB169_13 Depth=1
	s_or_b32 exec_lo, exec_lo, s44
.LBB169_297:                            ;   in Loop: Header=BB169_13 Depth=1
	s_delay_alu instid0(SALU_CYCLE_1)
	s_or_b32 exec_lo, exec_lo, s43
.LBB169_298:                            ;   in Loop: Header=BB169_13 Depth=1
	s_delay_alu instid0(SALU_CYCLE_1)
	s_or_b32 exec_lo, exec_lo, s42
	global_load_u8 v105, v[60:61], off offset:1036
	s_mov_b32 s42, exec_lo
	s_wait_loadcnt 0x0
	v_cmpx_ne_u16_e32 0, v105
	s_cbranch_execz .LBB169_306
; %bb.299:                              ;   in Loop: Header=BB169_13 Depth=1
	v_bfrev_b32_e32 v103, 1
	s_mov_b32 s43, exec_lo
	v_cmpx_ne_u16_e32 0x80, v105
	s_cbranch_execz .LBB169_305
; %bb.300:                              ;   in Loop: Header=BB169_13 Depth=1
	v_and_b32_e32 v52, 0xffff, v105
	v_mov_b32_e32 v103, 0x7f800001
	s_mov_b32 s44, exec_lo
	s_delay_alu instid0(VALU_DEP_2) | instskip(NEXT) | instid1(VALU_DEP_1)
	v_and_b32_e32 v106, 0x7f, v52
	v_cmpx_ne_u32_e32 0x7f, v106
	s_cbranch_execz .LBB169_304
; %bb.301:                              ;   in Loop: Header=BB169_13 Depth=1
	v_dual_lshrrev_b32 v103, 3, v106 :: v_dual_bitop2_b32 v52, 7, v52 bitop3:0x40
	s_mov_b32 s45, exec_lo
	v_cmpx_gt_u32_e32 8, v106
; %bb.302:                              ;   in Loop: Header=BB169_13 Depth=1
	s_delay_alu instid0(VALU_DEP_2) | instskip(NEXT) | instid1(VALU_DEP_1)
	v_clz_i32_u32_e32 v103, v52
	v_min_u32_e32 v103, 32, v103
	s_delay_alu instid0(VALU_DEP_1) | instskip(NEXT) | instid1(VALU_DEP_1)
	v_subrev_nc_u32_e32 v106, 28, v103
	v_lshlrev_b64_e32 v[106:107], v106, v[52:53]
	s_delay_alu instid0(VALU_DEP_1)
	v_dual_sub_nc_u32 v103, 29, v103 :: v_dual_bitop2_b32 v52, 7, v106 bitop3:0x40
; %bb.303:                              ;   in Loop: Header=BB169_13 Depth=1
	s_or_b32 exec_lo, exec_lo, s45
	s_delay_alu instid0(VALU_DEP_1) | instskip(NEXT) | instid1(VALU_DEP_2)
	v_dual_lshlrev_b32 v105, 24, v105 :: v_dual_lshlrev_b32 v52, 20, v52
	v_lshl_add_u32 v103, v103, 23, 0x3c000000
	s_delay_alu instid0(VALU_DEP_2) | instskip(NEXT) | instid1(VALU_DEP_1)
	v_and_b32_e32 v105, 0x80000000, v105
	v_or3_b32 v103, v52, v105, v103
.LBB169_304:                            ;   in Loop: Header=BB169_13 Depth=1
	s_or_b32 exec_lo, exec_lo, s44
.LBB169_305:                            ;   in Loop: Header=BB169_13 Depth=1
	s_delay_alu instid0(SALU_CYCLE_1)
	s_or_b32 exec_lo, exec_lo, s43
.LBB169_306:                            ;   in Loop: Header=BB169_13 Depth=1
	s_delay_alu instid0(SALU_CYCLE_1)
	s_or_b32 exec_lo, exec_lo, s42
	global_load_u8 v107, v[60:61], off offset:1152
	v_dual_mov_b32 v105, 0 :: v_dual_mov_b32 v106, 0
	s_mov_b32 s42, exec_lo
	s_wait_loadcnt 0x0
	v_cmpx_ne_u16_e32 0, v107
	s_cbranch_execz .LBB169_314
; %bb.307:                              ;   in Loop: Header=BB169_13 Depth=1
	v_bfrev_b32_e32 v106, 1
	s_mov_b32 s43, exec_lo
	v_cmpx_ne_u16_e32 0x80, v107
	s_cbranch_execz .LBB169_313
; %bb.308:                              ;   in Loop: Header=BB169_13 Depth=1
	v_and_b32_e32 v52, 0xffff, v107
	v_mov_b32_e32 v106, 0x7f800001
	s_mov_b32 s44, exec_lo
	s_delay_alu instid0(VALU_DEP_2) | instskip(NEXT) | instid1(VALU_DEP_1)
	v_and_b32_e32 v108, 0x7f, v52
	v_cmpx_ne_u32_e32 0x7f, v108
	s_cbranch_execz .LBB169_312
; %bb.309:                              ;   in Loop: Header=BB169_13 Depth=1
	v_and_b32_e32 v52, 7, v52
	v_lshrrev_b32_e32 v106, 3, v108
	s_mov_b32 s45, exec_lo
	v_cmpx_gt_u32_e32 8, v108
; %bb.310:                              ;   in Loop: Header=BB169_13 Depth=1
	s_delay_alu instid0(VALU_DEP_3) | instskip(NEXT) | instid1(VALU_DEP_1)
	v_clz_i32_u32_e32 v106, v52
	v_min_u32_e32 v106, 32, v106
	s_delay_alu instid0(VALU_DEP_1) | instskip(NEXT) | instid1(VALU_DEP_1)
	v_subrev_nc_u32_e32 v108, 28, v106
	v_lshlrev_b64_e32 v[108:109], v108, v[52:53]
	s_delay_alu instid0(VALU_DEP_1)
	v_dual_sub_nc_u32 v106, 29, v106 :: v_dual_bitop2_b32 v52, 7, v108 bitop3:0x40
; %bb.311:                              ;   in Loop: Header=BB169_13 Depth=1
	s_or_b32 exec_lo, exec_lo, s45
	s_delay_alu instid0(VALU_DEP_1) | instskip(NEXT) | instid1(VALU_DEP_2)
	v_dual_lshlrev_b32 v107, 24, v107 :: v_dual_lshlrev_b32 v52, 20, v52
	v_lshl_add_u32 v106, v106, 23, 0x3c000000
	s_delay_alu instid0(VALU_DEP_2) | instskip(NEXT) | instid1(VALU_DEP_1)
	v_and_b32_e32 v107, 0x80000000, v107
	v_or3_b32 v106, v52, v107, v106
.LBB169_312:                            ;   in Loop: Header=BB169_13 Depth=1
	s_or_b32 exec_lo, exec_lo, s44
.LBB169_313:                            ;   in Loop: Header=BB169_13 Depth=1
	s_delay_alu instid0(SALU_CYCLE_1)
	s_or_b32 exec_lo, exec_lo, s43
.LBB169_314:                            ;   in Loop: Header=BB169_13 Depth=1
	s_delay_alu instid0(SALU_CYCLE_1)
	s_or_b32 exec_lo, exec_lo, s42
	global_load_u8 v107, v[60:61], off offset:1156
	s_mov_b32 s42, exec_lo
	s_wait_loadcnt 0x0
	v_cmpx_ne_u16_e32 0, v107
	s_cbranch_execz .LBB169_322
; %bb.315:                              ;   in Loop: Header=BB169_13 Depth=1
	v_bfrev_b32_e32 v105, 1
	s_mov_b32 s43, exec_lo
	v_cmpx_ne_u16_e32 0x80, v107
	s_cbranch_execz .LBB169_321
; %bb.316:                              ;   in Loop: Header=BB169_13 Depth=1
	v_and_b32_e32 v52, 0xffff, v107
	v_mov_b32_e32 v105, 0x7f800001
	s_mov_b32 s44, exec_lo
	s_delay_alu instid0(VALU_DEP_2) | instskip(NEXT) | instid1(VALU_DEP_1)
	v_and_b32_e32 v108, 0x7f, v52
	v_cmpx_ne_u32_e32 0x7f, v108
	s_cbranch_execz .LBB169_320
; %bb.317:                              ;   in Loop: Header=BB169_13 Depth=1
	v_and_b32_e32 v52, 7, v52
	v_lshrrev_b32_e32 v105, 3, v108
	s_mov_b32 s45, exec_lo
	v_cmpx_gt_u32_e32 8, v108
; %bb.318:                              ;   in Loop: Header=BB169_13 Depth=1
	s_delay_alu instid0(VALU_DEP_3) | instskip(NEXT) | instid1(VALU_DEP_1)
	v_clz_i32_u32_e32 v105, v52
	v_min_u32_e32 v105, 32, v105
	s_delay_alu instid0(VALU_DEP_1) | instskip(NEXT) | instid1(VALU_DEP_1)
	v_subrev_nc_u32_e32 v108, 28, v105
	v_lshlrev_b64_e32 v[108:109], v108, v[52:53]
	s_delay_alu instid0(VALU_DEP_1)
	v_dual_sub_nc_u32 v105, 29, v105 :: v_dual_bitop2_b32 v52, 7, v108 bitop3:0x40
; %bb.319:                              ;   in Loop: Header=BB169_13 Depth=1
	s_or_b32 exec_lo, exec_lo, s45
	s_delay_alu instid0(VALU_DEP_1) | instskip(NEXT) | instid1(VALU_DEP_2)
	v_dual_lshlrev_b32 v107, 24, v107 :: v_dual_lshlrev_b32 v52, 20, v52
	v_lshl_add_u32 v105, v105, 23, 0x3c000000
	s_delay_alu instid0(VALU_DEP_2) | instskip(NEXT) | instid1(VALU_DEP_1)
	v_and_b32_e32 v107, 0x80000000, v107
	v_or3_b32 v105, v52, v107, v105
.LBB169_320:                            ;   in Loop: Header=BB169_13 Depth=1
	s_or_b32 exec_lo, exec_lo, s44
.LBB169_321:                            ;   in Loop: Header=BB169_13 Depth=1
	s_delay_alu instid0(SALU_CYCLE_1)
	s_or_b32 exec_lo, exec_lo, s43
.LBB169_322:                            ;   in Loop: Header=BB169_13 Depth=1
	s_delay_alu instid0(SALU_CYCLE_1)
	s_or_b32 exec_lo, exec_lo, s42
	global_load_u8 v109, v[60:61], off offset:1160
	v_dual_mov_b32 v107, 0 :: v_dual_mov_b32 v108, 0
	s_mov_b32 s42, exec_lo
	s_wait_loadcnt 0x0
	v_cmpx_ne_u16_e32 0, v109
	s_cbranch_execz .LBB169_330
; %bb.323:                              ;   in Loop: Header=BB169_13 Depth=1
	v_bfrev_b32_e32 v108, 1
	s_mov_b32 s43, exec_lo
	v_cmpx_ne_u16_e32 0x80, v109
	s_cbranch_execz .LBB169_329
; %bb.324:                              ;   in Loop: Header=BB169_13 Depth=1
	v_and_b32_e32 v52, 0xffff, v109
	v_mov_b32_e32 v108, 0x7f800001
	s_mov_b32 s44, exec_lo
	s_delay_alu instid0(VALU_DEP_2) | instskip(NEXT) | instid1(VALU_DEP_1)
	v_and_b32_e32 v110, 0x7f, v52
	v_cmpx_ne_u32_e32 0x7f, v110
	s_cbranch_execz .LBB169_328
; %bb.325:                              ;   in Loop: Header=BB169_13 Depth=1
	v_dual_lshrrev_b32 v108, 3, v110 :: v_dual_bitop2_b32 v52, 7, v52 bitop3:0x40
	s_mov_b32 s45, exec_lo
	v_cmpx_gt_u32_e32 8, v110
; %bb.326:                              ;   in Loop: Header=BB169_13 Depth=1
	s_delay_alu instid0(VALU_DEP_2) | instskip(NEXT) | instid1(VALU_DEP_1)
	v_clz_i32_u32_e32 v108, v52
	v_min_u32_e32 v108, 32, v108
	s_delay_alu instid0(VALU_DEP_1) | instskip(NEXT) | instid1(VALU_DEP_1)
	v_subrev_nc_u32_e32 v110, 28, v108
	v_lshlrev_b64_e32 v[110:111], v110, v[52:53]
	s_delay_alu instid0(VALU_DEP_1)
	v_dual_sub_nc_u32 v108, 29, v108 :: v_dual_bitop2_b32 v52, 7, v110 bitop3:0x40
; %bb.327:                              ;   in Loop: Header=BB169_13 Depth=1
	s_or_b32 exec_lo, exec_lo, s45
	s_delay_alu instid0(VALU_DEP_1) | instskip(NEXT) | instid1(VALU_DEP_2)
	v_dual_lshlrev_b32 v109, 24, v109 :: v_dual_lshlrev_b32 v52, 20, v52
	v_lshl_add_u32 v108, v108, 23, 0x3c000000
	s_delay_alu instid0(VALU_DEP_2) | instskip(NEXT) | instid1(VALU_DEP_1)
	v_and_b32_e32 v109, 0x80000000, v109
	v_or3_b32 v108, v52, v109, v108
.LBB169_328:                            ;   in Loop: Header=BB169_13 Depth=1
	s_or_b32 exec_lo, exec_lo, s44
.LBB169_329:                            ;   in Loop: Header=BB169_13 Depth=1
	s_delay_alu instid0(SALU_CYCLE_1)
	s_or_b32 exec_lo, exec_lo, s43
.LBB169_330:                            ;   in Loop: Header=BB169_13 Depth=1
	s_delay_alu instid0(SALU_CYCLE_1)
	s_or_b32 exec_lo, exec_lo, s42
	global_load_u8 v109, v[60:61], off offset:1164
	s_mov_b32 s42, exec_lo
	s_wait_loadcnt 0x0
	v_cmpx_ne_u16_e32 0, v109
	s_cbranch_execz .LBB169_338
; %bb.331:                              ;   in Loop: Header=BB169_13 Depth=1
	v_bfrev_b32_e32 v107, 1
	s_mov_b32 s43, exec_lo
	v_cmpx_ne_u16_e32 0x80, v109
	s_cbranch_execz .LBB169_337
; %bb.332:                              ;   in Loop: Header=BB169_13 Depth=1
	v_and_b32_e32 v52, 0xffff, v109
	v_mov_b32_e32 v107, 0x7f800001
	s_mov_b32 s44, exec_lo
	s_delay_alu instid0(VALU_DEP_2) | instskip(NEXT) | instid1(VALU_DEP_1)
	v_and_b32_e32 v110, 0x7f, v52
	v_cmpx_ne_u32_e32 0x7f, v110
	s_cbranch_execz .LBB169_336
; %bb.333:                              ;   in Loop: Header=BB169_13 Depth=1
	v_dual_lshrrev_b32 v107, 3, v110 :: v_dual_bitop2_b32 v52, 7, v52 bitop3:0x40
	s_mov_b32 s45, exec_lo
	v_cmpx_gt_u32_e32 8, v110
; %bb.334:                              ;   in Loop: Header=BB169_13 Depth=1
	s_delay_alu instid0(VALU_DEP_2) | instskip(NEXT) | instid1(VALU_DEP_1)
	v_clz_i32_u32_e32 v107, v52
	v_min_u32_e32 v107, 32, v107
	s_delay_alu instid0(VALU_DEP_1) | instskip(NEXT) | instid1(VALU_DEP_1)
	v_subrev_nc_u32_e32 v110, 28, v107
	v_lshlrev_b64_e32 v[110:111], v110, v[52:53]
	s_delay_alu instid0(VALU_DEP_1)
	v_dual_sub_nc_u32 v107, 29, v107 :: v_dual_bitop2_b32 v52, 7, v110 bitop3:0x40
; %bb.335:                              ;   in Loop: Header=BB169_13 Depth=1
	s_or_b32 exec_lo, exec_lo, s45
	s_delay_alu instid0(VALU_DEP_1) | instskip(NEXT) | instid1(VALU_DEP_2)
	v_dual_lshlrev_b32 v109, 24, v109 :: v_dual_lshlrev_b32 v52, 20, v52
	v_lshl_add_u32 v107, v107, 23, 0x3c000000
	s_delay_alu instid0(VALU_DEP_2) | instskip(NEXT) | instid1(VALU_DEP_1)
	v_and_b32_e32 v109, 0x80000000, v109
	v_or3_b32 v107, v52, v109, v107
.LBB169_336:                            ;   in Loop: Header=BB169_13 Depth=1
	s_or_b32 exec_lo, exec_lo, s44
.LBB169_337:                            ;   in Loop: Header=BB169_13 Depth=1
	s_delay_alu instid0(SALU_CYCLE_1)
	s_or_b32 exec_lo, exec_lo, s43
.LBB169_338:                            ;   in Loop: Header=BB169_13 Depth=1
	s_delay_alu instid0(SALU_CYCLE_1)
	s_or_b32 exec_lo, exec_lo, s42
	global_load_u8 v111, v[60:61], off offset:1280
	v_dual_mov_b32 v109, 0 :: v_dual_mov_b32 v110, 0
	s_mov_b32 s42, exec_lo
	s_wait_loadcnt 0x0
	v_cmpx_ne_u16_e32 0, v111
	s_cbranch_execz .LBB169_346
; %bb.339:                              ;   in Loop: Header=BB169_13 Depth=1
	v_bfrev_b32_e32 v110, 1
	s_mov_b32 s43, exec_lo
	v_cmpx_ne_u16_e32 0x80, v111
	s_cbranch_execz .LBB169_345
; %bb.340:                              ;   in Loop: Header=BB169_13 Depth=1
	v_and_b32_e32 v52, 0xffff, v111
	v_mov_b32_e32 v110, 0x7f800001
	s_mov_b32 s44, exec_lo
	s_delay_alu instid0(VALU_DEP_2) | instskip(NEXT) | instid1(VALU_DEP_1)
	v_and_b32_e32 v112, 0x7f, v52
	v_cmpx_ne_u32_e32 0x7f, v112
	s_cbranch_execz .LBB169_344
; %bb.341:                              ;   in Loop: Header=BB169_13 Depth=1
	v_and_b32_e32 v52, 7, v52
	v_lshrrev_b32_e32 v110, 3, v112
	s_mov_b32 s45, exec_lo
	v_cmpx_gt_u32_e32 8, v112
; %bb.342:                              ;   in Loop: Header=BB169_13 Depth=1
	s_delay_alu instid0(VALU_DEP_3) | instskip(NEXT) | instid1(VALU_DEP_1)
	v_clz_i32_u32_e32 v110, v52
	v_min_u32_e32 v110, 32, v110
	s_delay_alu instid0(VALU_DEP_1) | instskip(NEXT) | instid1(VALU_DEP_1)
	v_subrev_nc_u32_e32 v112, 28, v110
	v_lshlrev_b64_e32 v[112:113], v112, v[52:53]
	s_delay_alu instid0(VALU_DEP_1)
	v_dual_sub_nc_u32 v110, 29, v110 :: v_dual_bitop2_b32 v52, 7, v112 bitop3:0x40
; %bb.343:                              ;   in Loop: Header=BB169_13 Depth=1
	s_or_b32 exec_lo, exec_lo, s45
	s_delay_alu instid0(VALU_DEP_1) | instskip(NEXT) | instid1(VALU_DEP_2)
	v_dual_lshlrev_b32 v111, 24, v111 :: v_dual_lshlrev_b32 v52, 20, v52
	v_lshl_add_u32 v110, v110, 23, 0x3c000000
	s_delay_alu instid0(VALU_DEP_2) | instskip(NEXT) | instid1(VALU_DEP_1)
	v_and_b32_e32 v111, 0x80000000, v111
	v_or3_b32 v110, v52, v111, v110
.LBB169_344:                            ;   in Loop: Header=BB169_13 Depth=1
	s_or_b32 exec_lo, exec_lo, s44
.LBB169_345:                            ;   in Loop: Header=BB169_13 Depth=1
	s_delay_alu instid0(SALU_CYCLE_1)
	s_or_b32 exec_lo, exec_lo, s43
.LBB169_346:                            ;   in Loop: Header=BB169_13 Depth=1
	s_delay_alu instid0(SALU_CYCLE_1)
	s_or_b32 exec_lo, exec_lo, s42
	global_load_u8 v111, v[60:61], off offset:1284
	s_mov_b32 s42, exec_lo
	s_wait_loadcnt 0x0
	v_cmpx_ne_u16_e32 0, v111
	s_cbranch_execz .LBB169_354
; %bb.347:                              ;   in Loop: Header=BB169_13 Depth=1
	v_bfrev_b32_e32 v109, 1
	s_mov_b32 s43, exec_lo
	v_cmpx_ne_u16_e32 0x80, v111
	s_cbranch_execz .LBB169_353
; %bb.348:                              ;   in Loop: Header=BB169_13 Depth=1
	v_and_b32_e32 v52, 0xffff, v111
	v_mov_b32_e32 v109, 0x7f800001
	s_mov_b32 s44, exec_lo
	s_delay_alu instid0(VALU_DEP_2) | instskip(NEXT) | instid1(VALU_DEP_1)
	v_and_b32_e32 v112, 0x7f, v52
	v_cmpx_ne_u32_e32 0x7f, v112
	s_cbranch_execz .LBB169_352
; %bb.349:                              ;   in Loop: Header=BB169_13 Depth=1
	v_and_b32_e32 v52, 7, v52
	v_lshrrev_b32_e32 v109, 3, v112
	s_mov_b32 s45, exec_lo
	v_cmpx_gt_u32_e32 8, v112
; %bb.350:                              ;   in Loop: Header=BB169_13 Depth=1
	s_delay_alu instid0(VALU_DEP_3) | instskip(NEXT) | instid1(VALU_DEP_1)
	v_clz_i32_u32_e32 v109, v52
	v_min_u32_e32 v109, 32, v109
	s_delay_alu instid0(VALU_DEP_1) | instskip(NEXT) | instid1(VALU_DEP_1)
	v_subrev_nc_u32_e32 v112, 28, v109
	v_lshlrev_b64_e32 v[112:113], v112, v[52:53]
	s_delay_alu instid0(VALU_DEP_1)
	v_dual_sub_nc_u32 v109, 29, v109 :: v_dual_bitop2_b32 v52, 7, v112 bitop3:0x40
; %bb.351:                              ;   in Loop: Header=BB169_13 Depth=1
	s_or_b32 exec_lo, exec_lo, s45
	s_delay_alu instid0(VALU_DEP_1) | instskip(NEXT) | instid1(VALU_DEP_2)
	v_dual_lshlrev_b32 v111, 24, v111 :: v_dual_lshlrev_b32 v52, 20, v52
	v_lshl_add_u32 v109, v109, 23, 0x3c000000
	s_delay_alu instid0(VALU_DEP_2) | instskip(NEXT) | instid1(VALU_DEP_1)
	v_and_b32_e32 v111, 0x80000000, v111
	v_or3_b32 v109, v52, v111, v109
.LBB169_352:                            ;   in Loop: Header=BB169_13 Depth=1
	s_or_b32 exec_lo, exec_lo, s44
.LBB169_353:                            ;   in Loop: Header=BB169_13 Depth=1
	s_delay_alu instid0(SALU_CYCLE_1)
	s_or_b32 exec_lo, exec_lo, s43
.LBB169_354:                            ;   in Loop: Header=BB169_13 Depth=1
	s_delay_alu instid0(SALU_CYCLE_1)
	s_or_b32 exec_lo, exec_lo, s42
	global_load_u8 v113, v[60:61], off offset:1288
	v_dual_mov_b32 v111, 0 :: v_dual_mov_b32 v112, 0
	s_mov_b32 s42, exec_lo
	s_wait_loadcnt 0x0
	v_cmpx_ne_u16_e32 0, v113
	s_cbranch_execz .LBB169_362
; %bb.355:                              ;   in Loop: Header=BB169_13 Depth=1
	v_bfrev_b32_e32 v112, 1
	s_mov_b32 s43, exec_lo
	v_cmpx_ne_u16_e32 0x80, v113
	s_cbranch_execz .LBB169_361
; %bb.356:                              ;   in Loop: Header=BB169_13 Depth=1
	v_and_b32_e32 v52, 0xffff, v113
	v_mov_b32_e32 v112, 0x7f800001
	s_mov_b32 s44, exec_lo
	s_delay_alu instid0(VALU_DEP_2) | instskip(NEXT) | instid1(VALU_DEP_1)
	v_and_b32_e32 v114, 0x7f, v52
	v_cmpx_ne_u32_e32 0x7f, v114
	s_cbranch_execz .LBB169_360
; %bb.357:                              ;   in Loop: Header=BB169_13 Depth=1
	v_dual_lshrrev_b32 v112, 3, v114 :: v_dual_bitop2_b32 v52, 7, v52 bitop3:0x40
	s_mov_b32 s45, exec_lo
	v_cmpx_gt_u32_e32 8, v114
; %bb.358:                              ;   in Loop: Header=BB169_13 Depth=1
	s_delay_alu instid0(VALU_DEP_2) | instskip(NEXT) | instid1(VALU_DEP_1)
	v_clz_i32_u32_e32 v112, v52
	v_min_u32_e32 v112, 32, v112
	s_delay_alu instid0(VALU_DEP_1) | instskip(NEXT) | instid1(VALU_DEP_1)
	v_subrev_nc_u32_e32 v114, 28, v112
	v_lshlrev_b64_e32 v[114:115], v114, v[52:53]
	s_delay_alu instid0(VALU_DEP_1)
	v_dual_sub_nc_u32 v112, 29, v112 :: v_dual_bitop2_b32 v52, 7, v114 bitop3:0x40
; %bb.359:                              ;   in Loop: Header=BB169_13 Depth=1
	s_or_b32 exec_lo, exec_lo, s45
	s_delay_alu instid0(VALU_DEP_1) | instskip(NEXT) | instid1(VALU_DEP_2)
	v_dual_lshlrev_b32 v113, 24, v113 :: v_dual_lshlrev_b32 v52, 20, v52
	v_lshl_add_u32 v112, v112, 23, 0x3c000000
	s_delay_alu instid0(VALU_DEP_2) | instskip(NEXT) | instid1(VALU_DEP_1)
	v_and_b32_e32 v113, 0x80000000, v113
	v_or3_b32 v112, v52, v113, v112
.LBB169_360:                            ;   in Loop: Header=BB169_13 Depth=1
	s_or_b32 exec_lo, exec_lo, s44
.LBB169_361:                            ;   in Loop: Header=BB169_13 Depth=1
	s_delay_alu instid0(SALU_CYCLE_1)
	s_or_b32 exec_lo, exec_lo, s43
.LBB169_362:                            ;   in Loop: Header=BB169_13 Depth=1
	s_delay_alu instid0(SALU_CYCLE_1)
	s_or_b32 exec_lo, exec_lo, s42
	global_load_u8 v113, v[60:61], off offset:1292
	s_mov_b32 s42, exec_lo
	s_wait_loadcnt 0x0
	v_cmpx_ne_u16_e32 0, v113
	s_cbranch_execz .LBB169_370
; %bb.363:                              ;   in Loop: Header=BB169_13 Depth=1
	v_bfrev_b32_e32 v111, 1
	s_mov_b32 s43, exec_lo
	v_cmpx_ne_u16_e32 0x80, v113
	s_cbranch_execz .LBB169_369
; %bb.364:                              ;   in Loop: Header=BB169_13 Depth=1
	v_and_b32_e32 v52, 0xffff, v113
	v_mov_b32_e32 v111, 0x7f800001
	s_mov_b32 s44, exec_lo
	s_delay_alu instid0(VALU_DEP_2) | instskip(NEXT) | instid1(VALU_DEP_1)
	v_and_b32_e32 v114, 0x7f, v52
	v_cmpx_ne_u32_e32 0x7f, v114
	s_cbranch_execz .LBB169_368
; %bb.365:                              ;   in Loop: Header=BB169_13 Depth=1
	v_dual_lshrrev_b32 v111, 3, v114 :: v_dual_bitop2_b32 v52, 7, v52 bitop3:0x40
	s_mov_b32 s45, exec_lo
	v_cmpx_gt_u32_e32 8, v114
; %bb.366:                              ;   in Loop: Header=BB169_13 Depth=1
	s_delay_alu instid0(VALU_DEP_2) | instskip(NEXT) | instid1(VALU_DEP_1)
	v_clz_i32_u32_e32 v111, v52
	v_min_u32_e32 v111, 32, v111
	s_delay_alu instid0(VALU_DEP_1) | instskip(NEXT) | instid1(VALU_DEP_1)
	v_subrev_nc_u32_e32 v114, 28, v111
	v_lshlrev_b64_e32 v[114:115], v114, v[52:53]
	s_delay_alu instid0(VALU_DEP_1)
	v_dual_sub_nc_u32 v111, 29, v111 :: v_dual_bitop2_b32 v52, 7, v114 bitop3:0x40
; %bb.367:                              ;   in Loop: Header=BB169_13 Depth=1
	s_or_b32 exec_lo, exec_lo, s45
	s_delay_alu instid0(VALU_DEP_1) | instskip(NEXT) | instid1(VALU_DEP_2)
	v_dual_lshlrev_b32 v113, 24, v113 :: v_dual_lshlrev_b32 v52, 20, v52
	v_lshl_add_u32 v111, v111, 23, 0x3c000000
	s_delay_alu instid0(VALU_DEP_2) | instskip(NEXT) | instid1(VALU_DEP_1)
	v_and_b32_e32 v113, 0x80000000, v113
	v_or3_b32 v111, v52, v113, v111
.LBB169_368:                            ;   in Loop: Header=BB169_13 Depth=1
	s_or_b32 exec_lo, exec_lo, s44
.LBB169_369:                            ;   in Loop: Header=BB169_13 Depth=1
	s_delay_alu instid0(SALU_CYCLE_1)
	s_or_b32 exec_lo, exec_lo, s43
.LBB169_370:                            ;   in Loop: Header=BB169_13 Depth=1
	s_delay_alu instid0(SALU_CYCLE_1)
	s_or_b32 exec_lo, exec_lo, s42
	global_load_u8 v115, v[60:61], off offset:1408
	v_dual_mov_b32 v113, 0 :: v_dual_mov_b32 v114, 0
	s_mov_b32 s42, exec_lo
	s_wait_loadcnt 0x0
	v_cmpx_ne_u16_e32 0, v115
	s_cbranch_execz .LBB169_378
; %bb.371:                              ;   in Loop: Header=BB169_13 Depth=1
	v_bfrev_b32_e32 v114, 1
	s_mov_b32 s43, exec_lo
	v_cmpx_ne_u16_e32 0x80, v115
	s_cbranch_execz .LBB169_377
; %bb.372:                              ;   in Loop: Header=BB169_13 Depth=1
	v_and_b32_e32 v52, 0xffff, v115
	v_mov_b32_e32 v114, 0x7f800001
	s_mov_b32 s44, exec_lo
	s_delay_alu instid0(VALU_DEP_2) | instskip(NEXT) | instid1(VALU_DEP_1)
	v_and_b32_e32 v116, 0x7f, v52
	v_cmpx_ne_u32_e32 0x7f, v116
	s_cbranch_execz .LBB169_376
; %bb.373:                              ;   in Loop: Header=BB169_13 Depth=1
	v_and_b32_e32 v52, 7, v52
	v_lshrrev_b32_e32 v114, 3, v116
	s_mov_b32 s45, exec_lo
	v_cmpx_gt_u32_e32 8, v116
; %bb.374:                              ;   in Loop: Header=BB169_13 Depth=1
	s_delay_alu instid0(VALU_DEP_3) | instskip(NEXT) | instid1(VALU_DEP_1)
	v_clz_i32_u32_e32 v114, v52
	v_min_u32_e32 v114, 32, v114
	s_delay_alu instid0(VALU_DEP_1) | instskip(NEXT) | instid1(VALU_DEP_1)
	v_subrev_nc_u32_e32 v116, 28, v114
	v_lshlrev_b64_e32 v[116:117], v116, v[52:53]
	s_delay_alu instid0(VALU_DEP_1)
	v_dual_sub_nc_u32 v114, 29, v114 :: v_dual_bitop2_b32 v52, 7, v116 bitop3:0x40
; %bb.375:                              ;   in Loop: Header=BB169_13 Depth=1
	s_or_b32 exec_lo, exec_lo, s45
	s_delay_alu instid0(VALU_DEP_1) | instskip(NEXT) | instid1(VALU_DEP_2)
	v_dual_lshlrev_b32 v115, 24, v115 :: v_dual_lshlrev_b32 v52, 20, v52
	v_lshl_add_u32 v114, v114, 23, 0x3c000000
	s_delay_alu instid0(VALU_DEP_2) | instskip(NEXT) | instid1(VALU_DEP_1)
	v_and_b32_e32 v115, 0x80000000, v115
	v_or3_b32 v114, v52, v115, v114
.LBB169_376:                            ;   in Loop: Header=BB169_13 Depth=1
	s_or_b32 exec_lo, exec_lo, s44
.LBB169_377:                            ;   in Loop: Header=BB169_13 Depth=1
	s_delay_alu instid0(SALU_CYCLE_1)
	s_or_b32 exec_lo, exec_lo, s43
.LBB169_378:                            ;   in Loop: Header=BB169_13 Depth=1
	s_delay_alu instid0(SALU_CYCLE_1)
	s_or_b32 exec_lo, exec_lo, s42
	global_load_u8 v115, v[60:61], off offset:1412
	s_mov_b32 s42, exec_lo
	s_wait_loadcnt 0x0
	v_cmpx_ne_u16_e32 0, v115
	s_cbranch_execz .LBB169_386
; %bb.379:                              ;   in Loop: Header=BB169_13 Depth=1
	v_bfrev_b32_e32 v113, 1
	s_mov_b32 s43, exec_lo
	v_cmpx_ne_u16_e32 0x80, v115
	s_cbranch_execz .LBB169_385
; %bb.380:                              ;   in Loop: Header=BB169_13 Depth=1
	v_and_b32_e32 v52, 0xffff, v115
	v_mov_b32_e32 v113, 0x7f800001
	s_mov_b32 s44, exec_lo
	s_delay_alu instid0(VALU_DEP_2) | instskip(NEXT) | instid1(VALU_DEP_1)
	v_and_b32_e32 v116, 0x7f, v52
	v_cmpx_ne_u32_e32 0x7f, v116
	s_cbranch_execz .LBB169_384
; %bb.381:                              ;   in Loop: Header=BB169_13 Depth=1
	v_and_b32_e32 v52, 7, v52
	v_lshrrev_b32_e32 v113, 3, v116
	s_mov_b32 s45, exec_lo
	v_cmpx_gt_u32_e32 8, v116
; %bb.382:                              ;   in Loop: Header=BB169_13 Depth=1
	s_delay_alu instid0(VALU_DEP_3) | instskip(NEXT) | instid1(VALU_DEP_1)
	v_clz_i32_u32_e32 v113, v52
	v_min_u32_e32 v113, 32, v113
	s_delay_alu instid0(VALU_DEP_1) | instskip(NEXT) | instid1(VALU_DEP_1)
	v_subrev_nc_u32_e32 v116, 28, v113
	v_lshlrev_b64_e32 v[116:117], v116, v[52:53]
	s_delay_alu instid0(VALU_DEP_1)
	v_dual_sub_nc_u32 v113, 29, v113 :: v_dual_bitop2_b32 v52, 7, v116 bitop3:0x40
; %bb.383:                              ;   in Loop: Header=BB169_13 Depth=1
	s_or_b32 exec_lo, exec_lo, s45
	s_delay_alu instid0(VALU_DEP_1) | instskip(NEXT) | instid1(VALU_DEP_2)
	v_dual_lshlrev_b32 v115, 24, v115 :: v_dual_lshlrev_b32 v52, 20, v52
	v_lshl_add_u32 v113, v113, 23, 0x3c000000
	s_delay_alu instid0(VALU_DEP_2) | instskip(NEXT) | instid1(VALU_DEP_1)
	v_and_b32_e32 v115, 0x80000000, v115
	v_or3_b32 v113, v52, v115, v113
.LBB169_384:                            ;   in Loop: Header=BB169_13 Depth=1
	s_or_b32 exec_lo, exec_lo, s44
.LBB169_385:                            ;   in Loop: Header=BB169_13 Depth=1
	s_delay_alu instid0(SALU_CYCLE_1)
	s_or_b32 exec_lo, exec_lo, s43
.LBB169_386:                            ;   in Loop: Header=BB169_13 Depth=1
	s_delay_alu instid0(SALU_CYCLE_1)
	s_or_b32 exec_lo, exec_lo, s42
	global_load_u8 v117, v[60:61], off offset:1416
	v_dual_mov_b32 v115, 0 :: v_dual_mov_b32 v116, 0
	s_mov_b32 s42, exec_lo
	s_wait_loadcnt 0x0
	v_cmpx_ne_u16_e32 0, v117
	s_cbranch_execz .LBB169_394
; %bb.387:                              ;   in Loop: Header=BB169_13 Depth=1
	v_bfrev_b32_e32 v116, 1
	s_mov_b32 s43, exec_lo
	v_cmpx_ne_u16_e32 0x80, v117
	s_cbranch_execz .LBB169_393
; %bb.388:                              ;   in Loop: Header=BB169_13 Depth=1
	v_and_b32_e32 v52, 0xffff, v117
	v_mov_b32_e32 v116, 0x7f800001
	s_mov_b32 s44, exec_lo
	s_delay_alu instid0(VALU_DEP_2) | instskip(NEXT) | instid1(VALU_DEP_1)
	v_and_b32_e32 v118, 0x7f, v52
	v_cmpx_ne_u32_e32 0x7f, v118
	s_cbranch_execz .LBB169_392
; %bb.389:                              ;   in Loop: Header=BB169_13 Depth=1
	v_dual_lshrrev_b32 v116, 3, v118 :: v_dual_bitop2_b32 v52, 7, v52 bitop3:0x40
	s_mov_b32 s45, exec_lo
	v_cmpx_gt_u32_e32 8, v118
; %bb.390:                              ;   in Loop: Header=BB169_13 Depth=1
	s_delay_alu instid0(VALU_DEP_2) | instskip(NEXT) | instid1(VALU_DEP_1)
	v_clz_i32_u32_e32 v116, v52
	v_min_u32_e32 v116, 32, v116
	s_delay_alu instid0(VALU_DEP_1) | instskip(NEXT) | instid1(VALU_DEP_1)
	v_subrev_nc_u32_e32 v118, 28, v116
	v_lshlrev_b64_e32 v[118:119], v118, v[52:53]
	s_delay_alu instid0(VALU_DEP_1)
	v_dual_sub_nc_u32 v116, 29, v116 :: v_dual_bitop2_b32 v52, 7, v118 bitop3:0x40
; %bb.391:                              ;   in Loop: Header=BB169_13 Depth=1
	s_or_b32 exec_lo, exec_lo, s45
	s_delay_alu instid0(VALU_DEP_1) | instskip(NEXT) | instid1(VALU_DEP_2)
	v_dual_lshlrev_b32 v117, 24, v117 :: v_dual_lshlrev_b32 v52, 20, v52
	v_lshl_add_u32 v116, v116, 23, 0x3c000000
	s_delay_alu instid0(VALU_DEP_2) | instskip(NEXT) | instid1(VALU_DEP_1)
	v_and_b32_e32 v117, 0x80000000, v117
	v_or3_b32 v116, v52, v117, v116
.LBB169_392:                            ;   in Loop: Header=BB169_13 Depth=1
	s_or_b32 exec_lo, exec_lo, s44
.LBB169_393:                            ;   in Loop: Header=BB169_13 Depth=1
	s_delay_alu instid0(SALU_CYCLE_1)
	s_or_b32 exec_lo, exec_lo, s43
.LBB169_394:                            ;   in Loop: Header=BB169_13 Depth=1
	s_delay_alu instid0(SALU_CYCLE_1)
	s_or_b32 exec_lo, exec_lo, s42
	global_load_u8 v60, v[60:61], off offset:1420
	s_mov_b32 s42, exec_lo
	s_wait_loadcnt 0x0
	v_cmpx_ne_u16_e32 0, v60
	s_cbranch_execz .LBB169_402
; %bb.395:                              ;   in Loop: Header=BB169_13 Depth=1
	v_bfrev_b32_e32 v115, 1
	s_mov_b32 s43, exec_lo
	v_cmpx_ne_u16_e32 0x80, v60
	s_cbranch_execz .LBB169_401
; %bb.396:                              ;   in Loop: Header=BB169_13 Depth=1
	v_and_b32_e32 v52, 0xffff, v60
	v_mov_b32_e32 v115, 0x7f800001
	s_mov_b32 s44, exec_lo
	s_delay_alu instid0(VALU_DEP_2) | instskip(NEXT) | instid1(VALU_DEP_1)
	v_and_b32_e32 v117, 0x7f, v52
	v_cmpx_ne_u32_e32 0x7f, v117
	s_cbranch_execz .LBB169_400
; %bb.397:                              ;   in Loop: Header=BB169_13 Depth=1
	v_dual_lshrrev_b32 v61, 3, v117 :: v_dual_bitop2_b32 v52, 7, v52 bitop3:0x40
	s_mov_b32 s45, exec_lo
	v_cmpx_gt_u32_e32 8, v117
; %bb.398:                              ;   in Loop: Header=BB169_13 Depth=1
	s_delay_alu instid0(VALU_DEP_2) | instskip(NEXT) | instid1(VALU_DEP_1)
	v_clz_i32_u32_e32 v61, v52
	v_min_u32_e32 v61, 32, v61
	s_delay_alu instid0(VALU_DEP_1) | instskip(NEXT) | instid1(VALU_DEP_1)
	v_subrev_nc_u32_e32 v115, 28, v61
	v_lshlrev_b64_e32 v[118:119], v115, v[52:53]
	s_delay_alu instid0(VALU_DEP_1)
	v_dual_sub_nc_u32 v61, 29, v61 :: v_dual_bitop2_b32 v52, 7, v118 bitop3:0x40
; %bb.399:                              ;   in Loop: Header=BB169_13 Depth=1
	s_or_b32 exec_lo, exec_lo, s45
	v_lshlrev_b32_e32 v60, 24, v60
	s_delay_alu instid0(VALU_DEP_2) | instskip(NEXT) | instid1(VALU_DEP_3)
	v_lshlrev_b32_e32 v52, 20, v52
	v_lshl_add_u32 v61, v61, 23, 0x3c000000
	s_delay_alu instid0(VALU_DEP_3) | instskip(NEXT) | instid1(VALU_DEP_1)
	v_and_b32_e32 v60, 0x80000000, v60
	v_or3_b32 v115, v52, v60, v61
.LBB169_400:                            ;   in Loop: Header=BB169_13 Depth=1
	s_or_b32 exec_lo, exec_lo, s44
.LBB169_401:                            ;   in Loop: Header=BB169_13 Depth=1
	s_delay_alu instid0(SALU_CYCLE_1)
	s_or_b32 exec_lo, exec_lo, s43
.LBB169_402:                            ;   in Loop: Header=BB169_13 Depth=1
	s_delay_alu instid0(SALU_CYCLE_1) | instskip(SKIP_3) | instid1(VALU_DEP_1)
	s_or_b32 exec_lo, exec_lo, s42
	s_wait_kmcnt 0x0
	v_dual_mul_f32 v52, s41, v55 :: v_dual_mul_f32 v55, s41, v70
	s_wait_dscnt 0xb
	v_mul_f32_e32 v47, v47, v52
	s_delay_alu instid0(VALU_DEP_1) | instskip(NEXT) | instid1(VALU_DEP_1)
	v_dual_mul_f32 v52, s41, v72 :: v_dual_fmac_f32 v47, v46, v55
	v_dual_mul_f32 v46, s41, v71 :: v_dual_fmac_f32 v47, v48, v52
	v_mul_f32_e32 v48, s41, v74
	s_delay_alu instid0(VALU_DEP_2) | instskip(SKIP_1) | instid1(VALU_DEP_1)
	v_dual_fmac_f32 v47, v49, v46 :: v_dual_mul_f32 v46, s41, v73
	s_wait_dscnt 0xa
	v_fmac_f32_e32 v47, v42, v48
	s_delay_alu instid0(VALU_DEP_1) | instskip(NEXT) | instid1(VALU_DEP_1)
	v_dual_mul_f32 v42, s41, v76 :: v_dual_fmac_f32 v47, v43, v46
	v_dual_mul_f32 v43, s41, v75 :: v_dual_fmac_f32 v47, v44, v42
	s_delay_alu instid0(VALU_DEP_1) | instskip(SKIP_1) | instid1(VALU_DEP_1)
	v_dual_mul_f32 v42, s41, v78 :: v_dual_fmac_f32 v47, v45, v43
	s_wait_dscnt 0x9
	v_dual_mul_f32 v43, s41, v77 :: v_dual_fmac_f32 v47, v38, v42
	s_delay_alu instid0(VALU_DEP_1) | instskip(NEXT) | instid1(VALU_DEP_1)
	v_dual_mul_f32 v38, s41, v80 :: v_dual_fmac_f32 v47, v39, v43
	v_dual_mul_f32 v39, s41, v79 :: v_dual_fmac_f32 v47, v40, v38
	s_delay_alu instid0(VALU_DEP_1) | instskip(SKIP_1) | instid1(VALU_DEP_1)
	v_dual_mul_f32 v38, s41, v82 :: v_dual_fmac_f32 v47, v41, v39
	s_wait_dscnt 0x8
	v_dual_mul_f32 v39, s41, v81 :: v_dual_fmac_f32 v47, v34, v38
	;; [unrolled: 7-line block ×10, first 2 shown]
	v_dual_mul_f32 v6, s41, v116 :: v_dual_bitop2_b32 v2, 2, v62 bitop3:0x14
	s_delay_alu instid0(VALU_DEP_2) | instskip(SKIP_1) | instid1(VALU_DEP_3)
	v_fmac_f32_e32 v47, v3, v7
	v_mul_f32_e32 v3, s41, v115
	v_cmp_gt_i32_e64 s4, 32, v2
	s_delay_alu instid0(VALU_DEP_3) | instskip(NEXT) | instid1(VALU_DEP_1)
	v_fmac_f32_e32 v47, v4, v6
	v_dual_cndmask_b32 v2, v62, v2, s4 :: v_dual_fmac_f32 v47, v5, v3
	v_xor_b32_e32 v3, 1, v62
	s_delay_alu instid0(VALU_DEP_2) | instskip(NEXT) | instid1(VALU_DEP_2)
	v_lshlrev_b32_e32 v2, 2, v2
	v_cmp_gt_i32_e64 s4, 32, v3
	ds_bpermute_b32 v2, v2, v47
	v_cndmask_b32_e64 v3, v62, v3, s4
	s_wait_dscnt 0x0
	s_delay_alu instid0(VALU_DEP_1)
	v_dual_add_f32 v2, v47, v2 :: v_dual_lshlrev_b32 v3, 2, v3
	ds_bpermute_b32 v3, v3, v2
	s_and_saveexec_b32 s41, s3
	s_cbranch_execz .LBB169_11
; %bb.403:                              ;   in Loop: Header=BB169_13 Depth=1
	v_add_nc_u32_e32 v4, v66, v54
	s_wait_dscnt 0x0
	v_add_f32_e32 v2, v2, v3
	s_delay_alu instid0(VALU_DEP_2) | instskip(NEXT) | instid1(VALU_DEP_1)
	v_cvt_f32_i32_e32 v4, v4
	v_mul_f32_e32 v4, s36, v4
	s_delay_alu instid0(VALU_DEP_1) | instskip(NEXT) | instid1(VALU_DEP_1)
	v_dual_cndmask_b32 v3, 0, v4 :: v_dual_max_num_f32 v4, v65, v65
	v_fmac_f32_e32 v3, s27, v2
	v_add_nc_u32_e32 v2, v63, v54
	s_delay_alu instid0(VALU_DEP_1) | instskip(NEXT) | instid1(VALU_DEP_3)
	v_cmp_gt_i32_e64 s4, s35, v2
	v_max_num_f32_e32 v4, v4, v3
	s_delay_alu instid0(VALU_DEP_1)
	v_dual_cndmask_b32 v65, v65, v4, s4 :: v_dual_cndmask_b32 v2, 0, v3, s4
	ds_store_b32 v67, v2
	s_branch .LBB169_11
.LBB169_404:
	s_or_b32 exec_lo, exec_lo, s40
.LBB169_405:
	s_delay_alu instid0(SALU_CYCLE_1)
	s_or_b32 exec_lo, exec_lo, s37
	v_dual_max_num_f32 v5, v65, v65 :: v_dual_bitop2_b32 v2, 16, v62 bitop3:0x14
	v_xor_b32_e32 v4, 8, v62
	s_clause 0x1
	s_load_b64 s[4:5], s[0:1], 0x0
	s_load_b64 s[8:9], s[0:1], 0x18
	v_and_b32_e32 v78, 31, v0
	v_cmp_gt_i32_e32 vcc_lo, 32, v2
	v_cndmask_b32_e32 v2, v62, v2, vcc_lo
	v_cmp_gt_i32_e32 vcc_lo, 32, v4
	s_delay_alu instid0(VALU_DEP_2) | instskip(SKIP_4) | instid1(VALU_DEP_1)
	v_dual_cndmask_b32 v4, v62, v4, vcc_lo :: v_dual_lshlrev_b32 v2, 2, v2
	s_wait_dscnt 0x0
	ds_bpermute_b32 v3, v2, v65
	s_wait_dscnt 0x0
	v_dual_max_num_f32 v6, v3, v3 :: v_dual_lshlrev_b32 v3, 2, v4
	v_max_num_f32_e32 v4, v5, v6
	ds_bpermute_b32 v5, v3, v4
	s_wait_dscnt 0x0
	v_dual_max_num_f32 v5, v5, v5 :: v_dual_bitop2_b32 v6, 4, v62 bitop3:0x14
	s_delay_alu instid0(VALU_DEP_1) | instskip(NEXT) | instid1(VALU_DEP_2)
	v_max_num_f32_e32 v5, v4, v5
	v_cmp_gt_i32_e32 vcc_lo, 32, v6
	v_dual_lshlrev_b32 v4, 2, v1 :: v_dual_cndmask_b32 v6, v62, v6, vcc_lo
	v_cmp_eq_u32_e32 vcc_lo, 0, v78
	s_delay_alu instid0(VALU_DEP_2)
	v_lshlrev_b32_e32 v6, 2, v6
	ds_bpermute_b32 v7, v6, v5
	s_wait_xcnt 0x0
	s_and_saveexec_b32 s0, vcc_lo
	s_cbranch_execz .LBB169_407
; %bb.406:
	s_wait_dscnt 0x0
	v_dual_max_num_f32 v7, v7, v7 :: v_dual_max_num_f32 v5, v5, v5
	s_delay_alu instid0(VALU_DEP_1)
	v_max_num_f32_e32 v5, v5, v7
	ds_store_b32 v4, v5 offset:768
.LBB169_407:
	s_or_b32 exec_lo, exec_lo, s0
	v_cmp_gt_u32_e64 s0, 4, v78
	v_dual_mov_b32 v8, 0xff7fffff :: v_dual_lshlrev_b32 v5, 2, v78
	s_wait_dscnt 0x0
	s_barrier_signal -1
	s_barrier_wait -1
	s_and_saveexec_b32 s1, s0
; %bb.408:
	ds_load_b32 v8, v5 offset:768
; %bb.409:
	s_or_b32 exec_lo, exec_lo, s1
	v_xor_b32_e32 v7, 2, v62
	v_xor_b32_e32 v10, 1, v62
	s_delay_alu instid0(VALU_DEP_2) | instskip(NEXT) | instid1(VALU_DEP_1)
	v_cmp_gt_i32_e64 s1, 32, v7
	v_cndmask_b32_e64 v7, v62, v7, s1
	s_delay_alu instid0(VALU_DEP_3) | instskip(NEXT) | instid1(VALU_DEP_1)
	v_cmp_gt_i32_e64 s1, 32, v10
	v_dual_lshlrev_b32 v7, 2, v7 :: v_dual_cndmask_b32 v10, v62, v10, s1
	s_lshl_b32 s1, s12, 3
	s_delay_alu instid0(SALU_CYCLE_1)
	s_min_i32 s19, s1, s35
	s_wait_dscnt 0x0
	ds_bpermute_b32 v9, v7, v8
	v_max_num_f32_e32 v8, v8, v8
	v_cmp_gt_i32_e64 s1, s19, v0
	s_wait_dscnt 0x0
	v_dual_lshlrev_b32 v79, 2, v10 :: v_dual_max_num_f32 v9, v9, v9
	s_delay_alu instid0(VALU_DEP_1) | instskip(SKIP_3) | instid1(VALU_DEP_1)
	v_max_num_f32_e32 v8, v8, v9
	ds_bpermute_b32 v9, v79, v8
	s_wait_dscnt 0x0
	v_max_num_f32_e32 v9, v9, v9
	v_dual_max_num_f32 v9, v8, v9 :: v_dual_mov_b32 v8, 0
	ds_bpermute_b32 v9, v8, v9
	s_and_saveexec_b32 s27, s1
	s_cbranch_execz .LBB169_413
; %bb.410:
	v_lshl_add_u32 v10, v0, 2, 0x320
	v_dual_mov_b32 v8, 0 :: v_dual_mov_b32 v11, v0
	s_mov_b32 s28, 0
.LBB169_411:                            ; =>This Inner Loop Header: Depth=1
	ds_load_b32 v12, v10
	v_add_nc_u32_e32 v11, 0x80, v11
	s_delay_alu instid0(VALU_DEP_1) | instskip(SKIP_3) | instid1(VALU_DEP_1)
	v_cmp_le_i32_e64 s3, s19, v11
	s_or_b32 s28, s3, s28
	s_wait_dscnt 0x0
	v_sub_f32_e32 v12, v12, v9
	v_mul_f32_e32 v12, 0x3fb8aa3b, v12
	s_delay_alu instid0(VALU_DEP_1)
	v_exp_f32_e32 v12, v12
	ds_store_b32 v10, v12
	v_nop
	v_add_f32_e32 v8, v8, v12
	v_add_nc_u32_e32 v10, 0x200, v10
	s_and_not1_b32 exec_lo, exec_lo, s28
	s_cbranch_execnz .LBB169_411
; %bb.412:
	s_or_b32 exec_lo, exec_lo, s28
.LBB169_413:
	s_delay_alu instid0(SALU_CYCLE_1)
	s_or_b32 exec_lo, exec_lo, s27
	ds_bpermute_b32 v2, v2, v8
	s_wait_dscnt 0x0
	v_add_f32_e32 v2, v8, v2
	ds_bpermute_b32 v3, v3, v2
	s_wait_dscnt 0x0
	v_add_f32_e32 v2, v2, v3
	;; [unrolled: 3-line block ×5, first 2 shown]
	s_and_saveexec_b32 s3, vcc_lo
; %bb.414:
	ds_store_b32 v4, v2 offset:784
; %bb.415:
	s_or_b32 exec_lo, exec_lo, s3
	s_wait_dscnt 0x0
	s_barrier_signal -1
	s_barrier_wait -1
	s_and_saveexec_b32 s3, s0
; %bb.416:
	ds_load_b32 v2, v5 offset:784
; %bb.417:
	s_or_b32 exec_lo, exec_lo, s3
	s_wait_dscnt 0x0
	ds_bpermute_b32 v3, v7, v2
	s_wait_dscnt 0x0
	v_dual_mov_b32 v7, 0 :: v_dual_add_f32 v2, v2, v3
	ds_bpermute_b32 v3, v79, v2
	s_wait_dscnt 0x0
	v_add_f32_e32 v2, v2, v3
	ds_bpermute_b32 v2, v7, v2
	s_and_saveexec_b32 s0, s1
	s_cbranch_execz .LBB169_430
; %bb.418:
	s_wait_dscnt 0x0
	v_add_f32_e32 v2, 0x358637bd, v2
	s_mov_b32 s3, -1
	s_mov_b32 s1, exec_lo
	s_delay_alu instid0(VALU_DEP_1) | instskip(NEXT) | instid1(VALU_DEP_1)
	v_div_scale_f32 v3, null, v2, v2, 1.0
	v_rcp_f32_e32 v5, v3
	v_nop
	s_delay_alu instid0(TRANS32_DEP_1) | instskip(NEXT) | instid1(VALU_DEP_1)
	v_fma_f32 v4, -v3, v5, 1.0
	v_fmac_f32_e32 v5, v4, v5
	v_div_scale_f32 v6, vcc_lo, 1.0, v2, 1.0
	s_delay_alu instid0(VALU_DEP_1) | instskip(NEXT) | instid1(VALU_DEP_1)
	v_mul_f32_e32 v8, v6, v5
	v_fma_f32 v4, -v3, v8, v6
	s_delay_alu instid0(VALU_DEP_1) | instskip(SKIP_1) | instid1(VALU_DEP_2)
	v_fmac_f32_e32 v8, v4, v5
	v_xad_u32 v4, v0, -1, s19
	v_fma_f32 v3, -v3, v8, v6
	s_delay_alu instid0(VALU_DEP_1) | instskip(NEXT) | instid1(VALU_DEP_1)
	v_div_fmas_f32 v3, v3, v5, v8
	v_div_fixup_f32 v2, v3, v2, 1.0
	v_mov_b32_e32 v3, v0
	v_cmpx_lt_u32_e32 0x7f, v4
	s_cbranch_execz .LBB169_427
; %bb.419:
	s_delay_alu instid0(VALU_DEP_3) | instskip(NEXT) | instid1(VALU_DEP_1)
	v_dual_mov_b32 v3, v2 :: v_dual_lshrrev_b32 v4, 7, v4
	v_dual_mov_b32 v9, 0 :: v_dual_add_nc_u32 v5, -1, v4
	s_delay_alu instid0(VALU_DEP_1) | instskip(SKIP_1) | instid1(VALU_DEP_2)
	v_lshrrev_b32_e32 v6, 1, v5
	v_cmp_lt_u32_e32 vcc_lo, 13, v5
	v_add_nc_u32_e32 v5, 1, v6
	s_and_saveexec_b32 s3, vcc_lo
	s_cbranch_execz .LBB169_423
; %bb.420:
	s_delay_alu instid0(VALU_DEP_1)
	v_and_b32_e32 v6, -8, v5
	v_lshl_add_u32 v8, v0, 2, 0x320
	s_mov_b32 s27, 0
	s_mov_b32 s28, 0
.LBB169_421:                            ; =>This Inner Loop Header: Depth=1
	ds_load_2addr_stride64_b32 v[10:11], v8 offset1:2
	ds_load_2addr_stride64_b32 v[12:13], v8 offset0:4 offset1:6
	ds_load_2addr_stride64_b32 v[14:15], v8 offset0:8 offset1:10
	;; [unrolled: 1-line block ×7, first 2 shown]
	s_add_co_i32 s28, s28, 16
	s_delay_alu instid0(SALU_CYCLE_1) | instskip(NEXT) | instid1(VALU_DEP_1)
	v_dual_mov_b32 v9, s28 :: v_dual_add_nc_u32 v6, -8, v6
	v_cmp_eq_u32_e32 vcc_lo, 0, v6
	s_or_b32 s27, vcc_lo, s27
	s_wait_dscnt 0x7
	v_pk_mul_f32 v[10:11], v[2:3], v[10:11]
	s_wait_dscnt 0x6
	v_pk_mul_f32 v[12:13], v[2:3], v[12:13]
	;; [unrolled: 2-line block ×8, first 2 shown]
	ds_store_2addr_stride64_b32 v8, v10, v11 offset1:2
	ds_store_2addr_stride64_b32 v8, v12, v13 offset0:4 offset1:6
	ds_store_2addr_stride64_b32 v8, v14, v15 offset0:8 offset1:10
	;; [unrolled: 1-line block ×7, first 2 shown]
	v_add_nc_u32_e32 v8, 0x2000, v8
	s_and_not1_b32 exec_lo, exec_lo, s27
	s_cbranch_execnz .LBB169_421
; %bb.422:
	s_or_b32 exec_lo, exec_lo, s27
.LBB169_423:
	s_delay_alu instid0(SALU_CYCLE_1) | instskip(NEXT) | instid1(VALU_DEP_1)
	s_or_b32 exec_lo, exec_lo, s3
	v_and_b32_e32 v5, 7, v5
	s_mov_b32 s27, 0
	s_mov_b32 s3, exec_lo
	s_delay_alu instid0(VALU_DEP_1)
	v_cmpx_ne_u32_e32 0, v5
	s_cbranch_execz .LBB169_426
; %bb.424:
	v_dual_lshlrev_b32 v6, 9, v9 :: v_dual_lshlrev_b32 v8, 2, v0
	s_delay_alu instid0(VALU_DEP_1)
	v_add3_u32 v6, v6, v8, 0x320
.LBB169_425:                            ; =>This Inner Loop Header: Depth=1
	ds_load_2addr_stride64_b32 v[8:9], v6 offset1:2
	v_add_nc_u32_e32 v5, -1, v5
	s_delay_alu instid0(VALU_DEP_1)
	v_cmp_eq_u32_e32 vcc_lo, 0, v5
	s_or_b32 s27, vcc_lo, s27
	s_wait_dscnt 0x0
	v_pk_mul_f32 v[8:9], v[2:3], v[8:9]
	ds_store_2addr_stride64_b32 v6, v8, v9 offset1:2
	v_add_nc_u32_e32 v6, 0x400, v6
	s_and_not1_b32 exec_lo, exec_lo, s27
	s_cbranch_execnz .LBB169_425
.LBB169_426:
	s_or_b32 exec_lo, exec_lo, s3
	v_add_nc_u32_e32 v3, 1, v4
	s_delay_alu instid0(VALU_DEP_1) | instskip(NEXT) | instid1(VALU_DEP_1)
	v_and_b32_e32 v4, 0x3fffffe, v3
	v_cmp_ne_u32_e32 vcc_lo, v3, v4
	v_lshl_add_u32 v3, v4, 7, v0
	s_or_not1_b32 s3, vcc_lo, exec_lo
.LBB169_427:
	s_or_b32 exec_lo, exec_lo, s1
	s_delay_alu instid0(SALU_CYCLE_1)
	s_and_b32 exec_lo, exec_lo, s3
	s_cbranch_execz .LBB169_430
; %bb.428:
	v_lshl_add_u32 v4, v3, 2, 0x320
	s_mov_b32 s1, 0
.LBB169_429:                            ; =>This Inner Loop Header: Depth=1
	ds_load_b32 v5, v4
	v_add_nc_u32_e32 v3, 0x80, v3
	s_delay_alu instid0(VALU_DEP_1)
	v_cmp_le_i32_e32 vcc_lo, s19, v3
	s_or_b32 s1, vcc_lo, s1
	s_wait_dscnt 0x0
	v_mul_f32_e32 v5, v2, v5
	ds_store_b32 v4, v5
	v_add_nc_u32_e32 v4, 0x200, v4
	s_and_not1_b32 exec_lo, exec_lo, s1
	s_cbranch_execnz .LBB169_429
.LBB169_430:
	s_or_b32 exec_lo, exec_lo, s0
	v_dual_mov_b32 v6, 0 :: v_dual_bitop2_b32 v80, 1, v0 bitop3:0x40
	v_dual_mov_b32 v11, 0 :: v_dual_mov_b32 v10, 0
	v_dual_mov_b32 v13, 0 :: v_dual_mov_b32 v12, 0
	;; [unrolled: 1-line block ×5, first 2 shown]
	s_wait_dscnt 0x0
	s_barrier_signal -1
	s_barrier_wait -1
	s_and_saveexec_b32 s1, s2
	s_cbranch_execz .LBB169_844
; %bb.431:
	s_abs_i32 s14, s14
	v_dual_mov_b32 v19, 0 :: v_dual_lshlrev_b32 v2, 2, v0
	s_cvt_f32_u32 s0, s14
	s_ashr_i32 s19, s18, 31
	v_dual_mov_b32 v81, v1 :: v_dual_lshlrev_b32 v4, 4, v80
	s_delay_alu instid0(SALU_CYCLE_1)
	v_rcp_iflag_f32_e32 v3, s0
	v_and_b32_e32 v18, 0x7c, v2
	s_wait_kmcnt 0x0
	s_add_nc_u64 s[8:9], s[8:9], s[18:19]
	s_lshl_b64 s[24:25], s[24:25], 2
	s_sub_co_i32 s2, 0, s14
	v_dual_mov_b32 v8, 0 :: v_dual_bitop2_b32 v82, 4, v2 bitop3:0x40
	v_readfirstlane_b32 s0, v3
	v_add_nc_u64_e32 v[20:21], s[8:9], v[18:19]
	v_and_b32_e32 v18, 0x7c, v51
	v_lshl_or_b32 v3, v1, 5, v4
	s_add_nc_u64 s[8:9], s[22:23], s[24:25]
	s_mul_f32 s0, s0, 0x4f7ffffe
	v_dual_mov_b32 v9, 0 :: v_dual_mov_b32 v17, 0
	v_add_nc_u64_e32 v[22:23], s[8:9], v[18:19]
	s_delay_alu instid0(SALU_CYCLE_1) | instskip(SKIP_2) | instid1(SALU_CYCLE_1)
	s_cvt_u32_f32 s0, s0
	v_dual_mov_b32 v16, 0 :: v_dual_add_nc_u32 v83, 0x320, v3
	v_dual_mov_b32 v14, 0 :: v_dual_mov_b32 v15, 0
	s_mul_i32 s2, s2, s0
	v_dual_mov_b32 v12, 0 :: v_dual_mov_b32 v13, 0
	v_dual_mov_b32 v10, 0 :: v_dual_mov_b32 v11, 0
	;; [unrolled: 1-line block ×3, first 2 shown]
	s_mov_b32 s3, 0
	s_mul_hi_u32 s2, s0, s2
	s_sub_co_i32 s13, s26, s13
	s_add_co_i32 s26, s12, -1
	s_mov_b32 s18, s35
	s_add_co_i32 s2, s0, s2
	s_mov_b32 s19, s3
	s_branch .LBB169_434
.LBB169_432:                            ;   in Loop: Header=BB169_434 Depth=1
	s_or_b32 exec_lo, exec_lo, s0
	s_wait_dscnt 0x0
	v_mul_f32_e32 v51, v2, v66
	v_mul_f32_e32 v18, v2, v70
	v_dual_mul_f32 v62, v2, v62 :: v_dual_mul_f32 v48, v2, v48
	v_dual_mul_f32 v58, v2, v58 :: v_dual_mul_f32 v44, v2, v44
	s_delay_alu instid0(VALU_DEP_4) | instskip(NEXT) | instid1(VALU_DEP_4)
	v_fmac_f32_e32 v51, v3, v67
	v_dual_fmac_f32 v18, v3, v71 :: v_dual_mul_f32 v54, v2, v54
	s_delay_alu instid0(VALU_DEP_4) | instskip(NEXT) | instid1(VALU_DEP_3)
	v_dual_mul_f32 v32, v2, v32 :: v_dual_fmac_f32 v62, v3, v63
	v_fmac_f32_e32 v51, v4, v64
	s_delay_alu instid0(VALU_DEP_3) | instskip(NEXT) | instid1(VALU_DEP_4)
	v_fmac_f32_e32 v18, v4, v68
	v_dual_fmac_f32 v54, v3, v55 :: v_dual_fmac_f32 v48, v3, v49
	s_delay_alu instid0(VALU_DEP_4) | instskip(NEXT) | instid1(VALU_DEP_4)
	v_dual_fmac_f32 v44, v3, v45 :: v_dual_fmac_f32 v62, v4, v60
	v_dual_fmac_f32 v58, v3, v59 :: v_dual_fmac_f32 v51, v5, v65
	s_delay_alu instid0(VALU_DEP_4) | instskip(NEXT) | instid1(VALU_DEP_4)
	v_fmac_f32_e32 v18, v5, v69
	v_dual_fmac_f32 v54, v4, v52 :: v_dual_fmac_f32 v48, v4, v46
	s_delay_alu instid0(VALU_DEP_4) | instskip(NEXT) | instid1(VALU_DEP_3)
	v_dual_fmac_f32 v62, v5, v61 :: v_dual_fmac_f32 v44, v4, v42
	v_dual_add_f32 v11, v11, v51 :: v_dual_add_f32 v6, v6, v18
	v_fmac_f32_e32 v58, v4, v56
	s_delay_alu instid0(VALU_DEP_3) | instskip(NEXT) | instid1(VALU_DEP_4)
	v_dual_fmac_f32 v54, v5, v53 :: v_dual_add_f32 v10, v10, v62
	v_dual_fmac_f32 v44, v5, v43 :: v_dual_mul_f32 v18, v2, v40
	v_mul_f32_e32 v26, v2, v26
	s_delay_alu instid0(VALU_DEP_3) | instskip(NEXT) | instid1(VALU_DEP_3)
	v_dual_add_f32 v12, v12, v54 :: v_dual_mul_f32 v36, v2, v36
	v_dual_fmac_f32 v32, v3, v33 :: v_dual_add_f32 v14, v14, v44
	s_delay_alu instid0(VALU_DEP_4) | instskip(SKIP_1) | instid1(VALU_DEP_4)
	v_fmac_f32_e32 v18, v3, v41
	v_pk_mul_f32 v[40:41], v[2:3], v[72:73]
	v_dual_fmac_f32 v36, v3, v37 :: v_dual_fmac_f32 v26, v3, v27
	v_pk_mul_f32 v[2:3], v[4:5], v[28:29]
	v_dual_fmac_f32 v58, v5, v57 :: v_dual_fmac_f32 v48, v5, v47
	s_delay_alu instid0(VALU_DEP_4) | instskip(NEXT) | instid1(VALU_DEP_4)
	v_dual_add_f32 v27, v41, v40 :: v_dual_fmac_f32 v18, v4, v38
	v_dual_fmac_f32 v36, v4, v34 :: v_dual_fmac_f32 v26, v4, v24
	s_delay_alu instid0(VALU_DEP_3) | instskip(NEXT) | instid1(VALU_DEP_3)
	v_dual_add_f32 v13, v13, v58 :: v_dual_add_f32 v15, v15, v48
	v_dual_add_f32 v2, v2, v27 :: v_dual_fmac_f32 v32, v4, v30
	s_delay_alu instid0(VALU_DEP_4) | instskip(NEXT) | instid1(VALU_DEP_4)
	v_fmac_f32_e32 v18, v5, v39
	v_dual_fmac_f32 v36, v5, v35 :: v_dual_fmac_f32 v26, v5, v25
	s_delay_alu instid0(VALU_DEP_3) | instskip(NEXT) | instid1(VALU_DEP_2)
	v_dual_add_f32 v2, v3, v2 :: v_dual_fmac_f32 v32, v5, v31
	v_dual_add_f32 v17, v17, v18 :: v_dual_add_f32 v16, v16, v36
	s_delay_alu instid0(VALU_DEP_3) | instskip(NEXT) | instid1(VALU_DEP_3)
	v_add_f32_e32 v8, v8, v26
	v_dual_add_f32 v7, v7, v2 :: v_dual_add_f32 v9, v9, v32
.LBB169_433:                            ;   in Loop: Header=BB169_434 Depth=1
	s_or_b32 exec_lo, exec_lo, s22
	v_dual_add_nc_u32 v81, 4, v81 :: v_dual_add_nc_u32 v50, 32, v50
	v_add_nc_u64_e32 v[22:23], 16, v[22:23]
	v_add_nc_u32_e32 v83, 0x80, v83
	s_delay_alu instid0(VALU_DEP_3) | instskip(SKIP_1) | instid1(SALU_CYCLE_1)
	v_cmp_le_i32_e32 vcc_lo, s12, v81
	s_or_b32 s19, vcc_lo, s19
	s_and_not1_b32 exec_lo, exec_lo, s19
	s_cbranch_execz .LBB169_843
.LBB169_434:                            ; =>This Inner Loop Header: Depth=1
	v_mov_b32_e32 v51, v19
	s_delay_alu instid0(VALU_DEP_1) | instskip(NEXT) | instid1(VALU_DEP_1)
	v_mul_u64_e32 v[2:3], s[20:21], v[50:51]
	v_mul_lo_u32 v2, v3, s7
	s_delay_alu instid0(VALU_DEP_1) | instskip(NEXT) | instid1(VALU_DEP_1)
	v_sub_nc_u32_e32 v2, v50, v2
	v_subrev_nc_u32_e32 v5, s7, v2
	v_cmp_le_u32_e32 vcc_lo, s7, v2
	s_delay_alu instid0(VALU_DEP_2) | instskip(NEXT) | instid1(VALU_DEP_1)
	v_dual_add_nc_u32 v4, 1, v3 :: v_dual_cndmask_b32 v2, v2, v5, vcc_lo
	v_cndmask_b32_e32 v3, v3, v4, vcc_lo
	s_delay_alu instid0(VALU_DEP_2) | instskip(NEXT) | instid1(VALU_DEP_2)
	v_cmp_le_u32_e32 vcc_lo, s7, v2
	v_add_nc_u32_e32 v4, 1, v3
	s_delay_alu instid0(VALU_DEP_1) | instskip(NEXT) | instid1(VALU_DEP_1)
	v_cndmask_b32_e32 v2, v3, v4, vcc_lo
	v_xor_b32_e32 v2, s15, v2
	s_delay_alu instid0(VALU_DEP_1) | instskip(NEXT) | instid1(VALU_DEP_1)
	v_subrev_nc_u32_e32 v4, s15, v2
	v_add_nc_u32_e32 v5, s16, v4
	v_cmp_lt_i32_e64 s0, s13, v4
	s_delay_alu instid0(VALU_DEP_2) | instskip(NEXT) | instid1(VALU_DEP_1)
	v_sub_nc_u32_e32 v2, 0, v5
	v_dual_ashrrev_i32 v5, 31, v5 :: v_dual_max_i32 v18, v5, v2
	s_delay_alu instid0(VALU_DEP_1) | instskip(NEXT) | instid1(VALU_DEP_1)
	v_mul_u64_e32 v[2:3], s[2:3], v[18:19]
	v_mul_lo_u32 v2, v3, s14
	s_delay_alu instid0(VALU_DEP_1) | instskip(NEXT) | instid1(VALU_DEP_1)
	v_sub_nc_u32_e32 v2, v18, v2
	v_subrev_nc_u32_e32 v3, s14, v2
	v_cmp_le_u32_e32 vcc_lo, s14, v2
	s_delay_alu instid0(VALU_DEP_2) | instskip(NEXT) | instid1(VALU_DEP_1)
	v_cndmask_b32_e32 v2, v2, v3, vcc_lo
	v_subrev_nc_u32_e32 v3, s14, v2
	v_cmp_le_u32_e32 vcc_lo, s14, v2
	s_delay_alu instid0(VALU_DEP_2) | instskip(NEXT) | instid1(VALU_DEP_1)
	v_cndmask_b32_e32 v2, v2, v3, vcc_lo
	v_xor_b32_e32 v2, v2, v5
	s_delay_alu instid0(VALU_DEP_1) | instskip(NEXT) | instid1(VALU_DEP_1)
	v_sub_nc_u32_e32 v2, v2, v5
	v_cmp_eq_u32_e32 vcc_lo, 0, v2
	s_or_b32 s0, vcc_lo, s0
	s_delay_alu instid0(SALU_CYCLE_1)
	s_and_saveexec_b32 s22, s0
	s_cbranch_execz .LBB169_433
; %bb.435:                              ;   in Loop: Header=BB169_434 Depth=1
	global_load_b32 v2, v[22:23], off
	s_load_b32 s8, s[10:11], 0x0
	v_mov_b64_e32 v[24:25], 0
	v_mov_b64_e32 v[26:27], 0
	s_mov_b32 s0, exec_lo
	s_wait_loadcnt 0x0
	v_mad_nc_i64_i32 v[28:29], v2, s17, v[20:21]
	ds_load_b128 v[2:5], v83
	global_load_b32 v34, v[28:29], off
	s_wait_loadcnt 0x0
	v_and_b32_e32 v18, 0xff, v34
	s_delay_alu instid0(VALU_DEP_1)
	v_cmpx_ne_u16_e32 0, v18
	s_cbranch_execz .LBB169_443
; %bb.436:                              ;   in Loop: Header=BB169_434 Depth=1
	v_mov_b64_e32 v[26:27], 0x80000000
	s_mov_b32 s9, exec_lo
	v_cmpx_ne_u16_e32 0x80, v18
	s_cbranch_execz .LBB169_442
; %bb.437:                              ;   in Loop: Header=BB169_434 Depth=1
	v_mov_b64_e32 v[26:27], 0x7f800001
	v_and_b32_e32 v30, 0x7f, v34
	s_mov_b32 s23, exec_lo
	s_delay_alu instid0(VALU_DEP_1)
	v_cmpx_ne_u32_e32 0x7f, v30
	s_cbranch_execz .LBB169_441
; %bb.438:                              ;   in Loop: Header=BB169_434 Depth=1
	v_and_b32_e32 v18, 7, v34
	v_lshrrev_b32_e32 v26, 3, v30
	s_mov_b32 s24, exec_lo
	v_cmpx_gt_u32_e32 8, v30
; %bb.439:                              ;   in Loop: Header=BB169_434 Depth=1
	s_delay_alu instid0(VALU_DEP_3) | instskip(NEXT) | instid1(VALU_DEP_1)
	v_clz_i32_u32_e32 v26, v18
	v_min_u32_e32 v26, 32, v26
	s_delay_alu instid0(VALU_DEP_1) | instskip(SKIP_1) | instid1(VALU_DEP_2)
	v_subrev_nc_u32_e32 v27, 28, v26
	v_sub_nc_u32_e32 v26, 29, v26
	v_lshlrev_b64_e32 v[30:31], v27, v[18:19]
	s_delay_alu instid0(VALU_DEP_1)
	v_and_b32_e32 v18, 7, v30
; %bb.440:                              ;   in Loop: Header=BB169_434 Depth=1
	s_or_b32 exec_lo, exec_lo, s24
	v_lshlrev_b32_e32 v27, 24, v34
	s_delay_alu instid0(VALU_DEP_2) | instskip(SKIP_1) | instid1(VALU_DEP_3)
	v_lshlrev_b32_e32 v18, 20, v18
	v_lshl_add_u32 v26, v26, 23, 0x3c000000
	v_and_b32_e32 v27, 0x80000000, v27
	s_delay_alu instid0(VALU_DEP_1) | instskip(NEXT) | instid1(VALU_DEP_1)
	v_or3_b32 v18, v18, v27, v26
	v_mov_b64_e32 v[26:27], v[18:19]
.LBB169_441:                            ;   in Loop: Header=BB169_434 Depth=1
	s_or_b32 exec_lo, exec_lo, s23
.LBB169_442:                            ;   in Loop: Header=BB169_434 Depth=1
	s_delay_alu instid0(SALU_CYCLE_1)
	s_or_b32 exec_lo, exec_lo, s9
.LBB169_443:                            ;   in Loop: Header=BB169_434 Depth=1
	s_delay_alu instid0(SALU_CYCLE_1) | instskip(SKIP_2) | instid1(VALU_DEP_1)
	s_or_b32 exec_lo, exec_lo, s0
	v_lshrrev_b16 v18, 8, v34
	s_mov_b32 s0, exec_lo
	v_cmpx_ne_u16_e32 0, v18
	s_cbranch_execz .LBB169_451
; %bb.444:                              ;   in Loop: Header=BB169_434 Depth=1
	v_mov_b64_e32 v[24:25], 0x8000000000000000
	s_mov_b32 s9, exec_lo
	v_cmpx_ne_u16_e32 0x80, v18
	s_cbranch_execz .LBB169_450
; %bb.445:                              ;   in Loop: Header=BB169_434 Depth=1
	v_and_b32_e32 v18, 0xffff, v18
	v_mov_b64_e32 v[24:25], 0x7f80000100000000
	s_mov_b32 s23, exec_lo
	s_delay_alu instid0(VALU_DEP_2) | instskip(NEXT) | instid1(VALU_DEP_1)
	v_and_b32_e32 v30, 0x7f, v18
	v_cmpx_ne_u32_e32 0x7f, v30
	s_cbranch_execz .LBB169_449
; %bb.446:                              ;   in Loop: Header=BB169_434 Depth=1
	v_and_b32_e32 v18, 7, v18
	v_lshrrev_b32_e32 v24, 3, v30
	s_mov_b32 s24, exec_lo
	v_cmpx_gt_u32_e32 8, v30
; %bb.447:                              ;   in Loop: Header=BB169_434 Depth=1
	s_delay_alu instid0(VALU_DEP_3) | instskip(NEXT) | instid1(VALU_DEP_1)
	v_clz_i32_u32_e32 v24, v18
	v_min_u32_e32 v24, 32, v24
	s_delay_alu instid0(VALU_DEP_1) | instskip(NEXT) | instid1(VALU_DEP_1)
	v_subrev_nc_u32_e32 v25, 28, v24
	v_lshlrev_b64_e32 v[30:31], v25, v[18:19]
	s_delay_alu instid0(VALU_DEP_1)
	v_dual_sub_nc_u32 v24, 29, v24 :: v_dual_bitop2_b32 v18, 7, v30 bitop3:0x40
; %bb.448:                              ;   in Loop: Header=BB169_434 Depth=1
	s_or_b32 exec_lo, exec_lo, s24
	v_lshlrev_b32_e32 v25, 16, v34
	s_delay_alu instid0(VALU_DEP_2) | instskip(NEXT) | instid1(VALU_DEP_3)
	v_lshlrev_b32_e32 v18, 20, v18
	v_lshl_add_u32 v24, v24, 23, 0x3c000000
	s_delay_alu instid0(VALU_DEP_3) | instskip(NEXT) | instid1(VALU_DEP_1)
	v_and_b32_e32 v25, 0x80000000, v25
	v_or3_b32 v25, v18, v25, v24
	v_mov_b32_e32 v24, v19
.LBB169_449:                            ;   in Loop: Header=BB169_434 Depth=1
	s_or_b32 exec_lo, exec_lo, s23
.LBB169_450:                            ;   in Loop: Header=BB169_434 Depth=1
	s_delay_alu instid0(SALU_CYCLE_1)
	s_or_b32 exec_lo, exec_lo, s9
.LBB169_451:                            ;   in Loop: Header=BB169_434 Depth=1
	s_delay_alu instid0(SALU_CYCLE_1) | instskip(SKIP_4) | instid1(VALU_DEP_3)
	s_or_b32 exec_lo, exec_lo, s0
	v_lshrrev_b32_e32 v35, 16, v34
	v_mov_b64_e32 v[30:31], 0
	v_mov_b64_e32 v[32:33], 0
	s_mov_b32 s0, exec_lo
	v_and_b32_e32 v18, 0xff, v35
	s_delay_alu instid0(VALU_DEP_1)
	v_cmpx_ne_u16_e32 0, v18
	s_cbranch_execz .LBB169_459
; %bb.452:                              ;   in Loop: Header=BB169_434 Depth=1
	v_mov_b64_e32 v[32:33], 0x80000000
	s_mov_b32 s9, exec_lo
	v_cmpx_ne_u16_e32 0x80, v18
	s_cbranch_execz .LBB169_458
; %bb.453:                              ;   in Loop: Header=BB169_434 Depth=1
	v_mov_b64_e32 v[32:33], 0x7f800001
	v_bfe_u32 v36, v34, 16, 7
	s_mov_b32 s23, exec_lo
	s_delay_alu instid0(VALU_DEP_1)
	v_cmpx_ne_u32_e32 0x7f, v36
	s_cbranch_execz .LBB169_457
; %bb.454:                              ;   in Loop: Header=BB169_434 Depth=1
	v_dual_lshrrev_b32 v32, 3, v36 :: v_dual_bitop2_b32 v18, 7, v35 bitop3:0x40
	s_mov_b32 s24, exec_lo
	v_cmpx_gt_u32_e32 8, v36
; %bb.455:                              ;   in Loop: Header=BB169_434 Depth=1
	s_delay_alu instid0(VALU_DEP_2) | instskip(NEXT) | instid1(VALU_DEP_1)
	v_clz_i32_u32_e32 v32, v18
	v_min_u32_e32 v32, 32, v32
	s_delay_alu instid0(VALU_DEP_1) | instskip(SKIP_1) | instid1(VALU_DEP_2)
	v_subrev_nc_u32_e32 v33, 28, v32
	v_sub_nc_u32_e32 v32, 29, v32
	v_lshlrev_b64_e32 v[36:37], v33, v[18:19]
	s_delay_alu instid0(VALU_DEP_1)
	v_and_b32_e32 v18, 7, v36
; %bb.456:                              ;   in Loop: Header=BB169_434 Depth=1
	s_or_b32 exec_lo, exec_lo, s24
	s_delay_alu instid0(VALU_DEP_1) | instskip(SKIP_1) | instid1(VALU_DEP_2)
	v_dual_lshlrev_b32 v33, 24, v35 :: v_dual_lshlrev_b32 v18, 20, v18
	v_lshl_add_u32 v32, v32, 23, 0x3c000000
	v_and_b32_e32 v33, 0x80000000, v33
	s_delay_alu instid0(VALU_DEP_1) | instskip(NEXT) | instid1(VALU_DEP_1)
	v_or3_b32 v18, v18, v33, v32
	v_mov_b64_e32 v[32:33], v[18:19]
.LBB169_457:                            ;   in Loop: Header=BB169_434 Depth=1
	s_or_b32 exec_lo, exec_lo, s23
.LBB169_458:                            ;   in Loop: Header=BB169_434 Depth=1
	s_delay_alu instid0(SALU_CYCLE_1)
	s_or_b32 exec_lo, exec_lo, s9
.LBB169_459:                            ;   in Loop: Header=BB169_434 Depth=1
	s_delay_alu instid0(SALU_CYCLE_1) | instskip(NEXT) | instid1(SALU_CYCLE_1)
	s_or_b32 exec_lo, exec_lo, s0
	s_mov_b32 s0, exec_lo
	v_cmpx_lt_u32_e32 0xffffff, v34
	s_cbranch_execz .LBB169_467
; %bb.460:                              ;   in Loop: Header=BB169_434 Depth=1
	v_mov_b64_e32 v[30:31], 0x8000000000000000
	v_lshrrev_b32_e32 v35, 24, v34
	s_mov_b32 s9, exec_lo
	s_delay_alu instid0(VALU_DEP_1)
	v_cmpx_ne_u32_e32 0x80, v35
	s_cbranch_execz .LBB169_466
; %bb.461:                              ;   in Loop: Header=BB169_434 Depth=1
	v_mov_b64_e32 v[30:31], 0x7f80000100000000
	v_bfe_u32 v34, v34, 24, 7
	s_mov_b32 s23, exec_lo
	s_delay_alu instid0(VALU_DEP_1)
	v_cmpx_ne_u32_e32 0x7f, v34
	s_cbranch_execz .LBB169_465
; %bb.462:                              ;   in Loop: Header=BB169_434 Depth=1
	v_dual_lshrrev_b32 v30, 3, v34 :: v_dual_bitop2_b32 v18, 7, v35 bitop3:0x40
	s_mov_b32 s24, exec_lo
	v_cmpx_gt_u32_e32 8, v34
; %bb.463:                              ;   in Loop: Header=BB169_434 Depth=1
	s_delay_alu instid0(VALU_DEP_2) | instskip(NEXT) | instid1(VALU_DEP_1)
	v_clz_i32_u32_e32 v30, v18
	v_min_u32_e32 v30, 32, v30
	s_delay_alu instid0(VALU_DEP_1) | instskip(NEXT) | instid1(VALU_DEP_1)
	v_subrev_nc_u32_e32 v31, 28, v30
	v_lshlrev_b64_e32 v[36:37], v31, v[18:19]
	s_delay_alu instid0(VALU_DEP_1)
	v_dual_sub_nc_u32 v30, 29, v30 :: v_dual_bitop2_b32 v18, 7, v36 bitop3:0x40
; %bb.464:                              ;   in Loop: Header=BB169_434 Depth=1
	s_or_b32 exec_lo, exec_lo, s24
	s_delay_alu instid0(VALU_DEP_1) | instskip(NEXT) | instid1(VALU_DEP_2)
	v_dual_lshlrev_b32 v31, 24, v35 :: v_dual_lshlrev_b32 v18, 20, v18
	v_lshl_add_u32 v30, v30, 23, 0x3c000000
	s_delay_alu instid0(VALU_DEP_2) | instskip(NEXT) | instid1(VALU_DEP_1)
	v_and_b32_e32 v31, 0x80000000, v31
	v_or3_b32 v31, v18, v31, v30
	v_mov_b32_e32 v30, v19
.LBB169_465:                            ;   in Loop: Header=BB169_434 Depth=1
	s_or_b32 exec_lo, exec_lo, s23
.LBB169_466:                            ;   in Loop: Header=BB169_434 Depth=1
	s_delay_alu instid0(SALU_CYCLE_1)
	s_or_b32 exec_lo, exec_lo, s9
.LBB169_467:                            ;   in Loop: Header=BB169_434 Depth=1
	s_delay_alu instid0(SALU_CYCLE_1)
	s_or_b32 exec_lo, exec_lo, s0
	v_dual_add_nc_u32 v51, v82, v50 :: v_dual_bitop2_b32 v25, v25, v27 bitop3:0x54
	v_or_b32_e32 v24, v24, v26
	v_or_b32_e32 v31, v31, v33
	;; [unrolled: 1-line block ×3, first 2 shown]
	v_cmp_eq_u32_e32 vcc_lo, s26, v81
	v_add_nc_u32_e32 v84, 1, v51
	s_wait_kmcnt 0x0
	v_pk_mul_f32 v[26:27], s[8:9], v[24:25] op_sel_hi:[0,1]
	v_dual_add_nc_u32 v77, 2, v51 :: v_dual_add_nc_u32 v76, 3, v51
	v_pk_mul_f32 v[24:25], s[8:9], v[30:31] op_sel_hi:[0,1]
	s_and_saveexec_b32 s9, vcc_lo
	s_cbranch_execz .LBB169_469
; %bb.468:                              ;   in Loop: Header=BB169_434 Depth=1
	v_cmp_gt_i32_e64 s0, s35, v51
	s_delay_alu instid0(VALU_DEP_1) | instskip(SKIP_1) | instid1(VALU_DEP_1)
	v_cndmask_b32_e64 v26, 0, v26, s0
	v_cmp_gt_i32_e64 s0, s35, v84
	v_cndmask_b32_e64 v27, 0, v27, s0
	v_cmp_gt_i32_e64 s0, s35, v77
	s_delay_alu instid0(VALU_DEP_1) | instskip(SKIP_1) | instid1(VALU_DEP_1)
	v_cndmask_b32_e64 v24, 0, v24, s0
	v_cmp_gt_i32_e64 s0, s35, v76
	v_cndmask_b32_e64 v25, 0, v25, s0
.LBB169_469:                            ;   in Loop: Header=BB169_434 Depth=1
	s_or_b32 exec_lo, exec_lo, s9
	global_load_b32 v38, v[28:29], off offset:128
	v_mov_b64_e32 v[30:31], 0
	v_mov_b64_e32 v[32:33], 0
	s_mov_b32 s9, exec_lo
	s_wait_loadcnt 0x0
	v_and_b32_e32 v18, 0xff, v38
	s_delay_alu instid0(VALU_DEP_1)
	v_cmpx_ne_u16_e32 0, v18
	s_cbranch_execz .LBB169_477
; %bb.470:                              ;   in Loop: Header=BB169_434 Depth=1
	v_mov_b64_e32 v[32:33], 0x80000000
	s_mov_b32 s23, exec_lo
	v_cmpx_ne_u16_e32 0x80, v18
	s_cbranch_execz .LBB169_476
; %bb.471:                              ;   in Loop: Header=BB169_434 Depth=1
	v_mov_b64_e32 v[32:33], 0x7f800001
	v_and_b32_e32 v34, 0x7f, v38
	s_mov_b32 s24, exec_lo
	s_delay_alu instid0(VALU_DEP_1)
	v_cmpx_ne_u32_e32 0x7f, v34
	s_cbranch_execz .LBB169_475
; %bb.472:                              ;   in Loop: Header=BB169_434 Depth=1
	v_and_b32_e32 v18, 7, v38
	v_lshrrev_b32_e32 v32, 3, v34
	s_mov_b32 s25, exec_lo
	v_cmpx_gt_u32_e32 8, v34
; %bb.473:                              ;   in Loop: Header=BB169_434 Depth=1
	s_delay_alu instid0(VALU_DEP_3) | instskip(NEXT) | instid1(VALU_DEP_1)
	v_clz_i32_u32_e32 v32, v18
	v_min_u32_e32 v32, 32, v32
	s_delay_alu instid0(VALU_DEP_1) | instskip(NEXT) | instid1(VALU_DEP_1)
	v_subrev_nc_u32_e32 v33, 28, v32
	v_lshlrev_b64_e32 v[34:35], v33, v[18:19]
	s_delay_alu instid0(VALU_DEP_1)
	v_dual_sub_nc_u32 v32, 29, v32 :: v_dual_bitop2_b32 v18, 7, v34 bitop3:0x40
; %bb.474:                              ;   in Loop: Header=BB169_434 Depth=1
	s_or_b32 exec_lo, exec_lo, s25
	v_lshlrev_b32_e32 v33, 24, v38
	s_delay_alu instid0(VALU_DEP_2) | instskip(NEXT) | instid1(VALU_DEP_3)
	v_lshlrev_b32_e32 v18, 20, v18
	v_lshl_add_u32 v32, v32, 23, 0x3c000000
	s_delay_alu instid0(VALU_DEP_3) | instskip(NEXT) | instid1(VALU_DEP_1)
	v_and_b32_e32 v33, 0x80000000, v33
	v_or3_b32 v18, v18, v33, v32
	s_delay_alu instid0(VALU_DEP_1)
	v_mov_b64_e32 v[32:33], v[18:19]
.LBB169_475:                            ;   in Loop: Header=BB169_434 Depth=1
	s_or_b32 exec_lo, exec_lo, s24
.LBB169_476:                            ;   in Loop: Header=BB169_434 Depth=1
	s_delay_alu instid0(SALU_CYCLE_1)
	s_or_b32 exec_lo, exec_lo, s23
.LBB169_477:                            ;   in Loop: Header=BB169_434 Depth=1
	s_delay_alu instid0(SALU_CYCLE_1) | instskip(SKIP_2) | instid1(VALU_DEP_1)
	s_or_b32 exec_lo, exec_lo, s9
	v_lshrrev_b16 v18, 8, v38
	s_mov_b32 s9, exec_lo
	v_cmpx_ne_u16_e32 0, v18
	s_cbranch_execz .LBB169_485
; %bb.478:                              ;   in Loop: Header=BB169_434 Depth=1
	v_mov_b64_e32 v[30:31], 0x8000000000000000
	s_mov_b32 s23, exec_lo
	v_cmpx_ne_u16_e32 0x80, v18
	s_cbranch_execz .LBB169_484
; %bb.479:                              ;   in Loop: Header=BB169_434 Depth=1
	v_and_b32_e32 v18, 0xffff, v18
	v_mov_b64_e32 v[30:31], 0x7f80000100000000
	s_mov_b32 s24, exec_lo
	s_delay_alu instid0(VALU_DEP_2) | instskip(NEXT) | instid1(VALU_DEP_1)
	v_and_b32_e32 v34, 0x7f, v18
	v_cmpx_ne_u32_e32 0x7f, v34
	s_cbranch_execz .LBB169_483
; %bb.480:                              ;   in Loop: Header=BB169_434 Depth=1
	v_and_b32_e32 v18, 7, v18
	v_lshrrev_b32_e32 v30, 3, v34
	s_mov_b32 s25, exec_lo
	v_cmpx_gt_u32_e32 8, v34
; %bb.481:                              ;   in Loop: Header=BB169_434 Depth=1
	s_delay_alu instid0(VALU_DEP_3) | instskip(NEXT) | instid1(VALU_DEP_1)
	v_clz_i32_u32_e32 v30, v18
	v_min_u32_e32 v30, 32, v30
	s_delay_alu instid0(VALU_DEP_1) | instskip(SKIP_1) | instid1(VALU_DEP_2)
	v_subrev_nc_u32_e32 v31, 28, v30
	v_sub_nc_u32_e32 v30, 29, v30
	v_lshlrev_b64_e32 v[34:35], v31, v[18:19]
	s_delay_alu instid0(VALU_DEP_1)
	v_and_b32_e32 v18, 7, v34
; %bb.482:                              ;   in Loop: Header=BB169_434 Depth=1
	s_or_b32 exec_lo, exec_lo, s25
	v_lshlrev_b32_e32 v31, 16, v38
	s_delay_alu instid0(VALU_DEP_2) | instskip(SKIP_1) | instid1(VALU_DEP_3)
	v_lshlrev_b32_e32 v18, 20, v18
	v_lshl_add_u32 v30, v30, 23, 0x3c000000
	v_and_b32_e32 v31, 0x80000000, v31
	s_delay_alu instid0(VALU_DEP_1)
	v_or3_b32 v31, v18, v31, v30
	v_mov_b32_e32 v30, v19
.LBB169_483:                            ;   in Loop: Header=BB169_434 Depth=1
	s_or_b32 exec_lo, exec_lo, s24
.LBB169_484:                            ;   in Loop: Header=BB169_434 Depth=1
	s_delay_alu instid0(SALU_CYCLE_1)
	s_or_b32 exec_lo, exec_lo, s23
.LBB169_485:                            ;   in Loop: Header=BB169_434 Depth=1
	s_delay_alu instid0(SALU_CYCLE_1) | instskip(SKIP_4) | instid1(VALU_DEP_3)
	s_or_b32 exec_lo, exec_lo, s9
	v_lshrrev_b32_e32 v39, 16, v38
	v_mov_b64_e32 v[34:35], 0
	v_mov_b64_e32 v[36:37], 0
	s_mov_b32 s9, exec_lo
	v_and_b32_e32 v18, 0xff, v39
	s_delay_alu instid0(VALU_DEP_1)
	v_cmpx_ne_u16_e32 0, v18
	s_cbranch_execz .LBB169_493
; %bb.486:                              ;   in Loop: Header=BB169_434 Depth=1
	v_mov_b64_e32 v[36:37], 0x80000000
	s_mov_b32 s23, exec_lo
	v_cmpx_ne_u16_e32 0x80, v18
	s_cbranch_execz .LBB169_492
; %bb.487:                              ;   in Loop: Header=BB169_434 Depth=1
	v_mov_b64_e32 v[36:37], 0x7f800001
	v_bfe_u32 v40, v38, 16, 7
	s_mov_b32 s24, exec_lo
	s_delay_alu instid0(VALU_DEP_1)
	v_cmpx_ne_u32_e32 0x7f, v40
	s_cbranch_execz .LBB169_491
; %bb.488:                              ;   in Loop: Header=BB169_434 Depth=1
	v_dual_lshrrev_b32 v36, 3, v40 :: v_dual_bitop2_b32 v18, 7, v39 bitop3:0x40
	s_mov_b32 s25, exec_lo
	v_cmpx_gt_u32_e32 8, v40
; %bb.489:                              ;   in Loop: Header=BB169_434 Depth=1
	s_delay_alu instid0(VALU_DEP_2) | instskip(NEXT) | instid1(VALU_DEP_1)
	v_clz_i32_u32_e32 v36, v18
	v_min_u32_e32 v36, 32, v36
	s_delay_alu instid0(VALU_DEP_1) | instskip(SKIP_1) | instid1(VALU_DEP_2)
	v_subrev_nc_u32_e32 v37, 28, v36
	v_sub_nc_u32_e32 v36, 29, v36
	v_lshlrev_b64_e32 v[40:41], v37, v[18:19]
	s_delay_alu instid0(VALU_DEP_1)
	v_and_b32_e32 v18, 7, v40
; %bb.490:                              ;   in Loop: Header=BB169_434 Depth=1
	s_or_b32 exec_lo, exec_lo, s25
	s_delay_alu instid0(VALU_DEP_1) | instskip(SKIP_1) | instid1(VALU_DEP_2)
	v_dual_lshlrev_b32 v37, 24, v39 :: v_dual_lshlrev_b32 v18, 20, v18
	v_lshl_add_u32 v36, v36, 23, 0x3c000000
	v_and_b32_e32 v37, 0x80000000, v37
	s_delay_alu instid0(VALU_DEP_1) | instskip(NEXT) | instid1(VALU_DEP_1)
	v_or3_b32 v18, v18, v37, v36
	v_mov_b64_e32 v[36:37], v[18:19]
.LBB169_491:                            ;   in Loop: Header=BB169_434 Depth=1
	s_or_b32 exec_lo, exec_lo, s24
.LBB169_492:                            ;   in Loop: Header=BB169_434 Depth=1
	s_delay_alu instid0(SALU_CYCLE_1)
	s_or_b32 exec_lo, exec_lo, s23
.LBB169_493:                            ;   in Loop: Header=BB169_434 Depth=1
	s_delay_alu instid0(SALU_CYCLE_1) | instskip(NEXT) | instid1(SALU_CYCLE_1)
	s_or_b32 exec_lo, exec_lo, s9
	s_mov_b32 s9, exec_lo
	v_cmpx_lt_u32_e32 0xffffff, v38
	s_cbranch_execz .LBB169_501
; %bb.494:                              ;   in Loop: Header=BB169_434 Depth=1
	v_mov_b64_e32 v[34:35], 0x8000000000000000
	v_lshrrev_b32_e32 v39, 24, v38
	s_mov_b32 s23, exec_lo
	s_delay_alu instid0(VALU_DEP_1)
	v_cmpx_ne_u32_e32 0x80, v39
	s_cbranch_execz .LBB169_500
; %bb.495:                              ;   in Loop: Header=BB169_434 Depth=1
	v_mov_b64_e32 v[34:35], 0x7f80000100000000
	v_bfe_u32 v38, v38, 24, 7
	s_mov_b32 s24, exec_lo
	s_delay_alu instid0(VALU_DEP_1)
	v_cmpx_ne_u32_e32 0x7f, v38
	s_cbranch_execz .LBB169_499
; %bb.496:                              ;   in Loop: Header=BB169_434 Depth=1
	v_dual_lshrrev_b32 v34, 3, v38 :: v_dual_bitop2_b32 v18, 7, v39 bitop3:0x40
	s_mov_b32 s25, exec_lo
	v_cmpx_gt_u32_e32 8, v38
; %bb.497:                              ;   in Loop: Header=BB169_434 Depth=1
	s_delay_alu instid0(VALU_DEP_2) | instskip(NEXT) | instid1(VALU_DEP_1)
	v_clz_i32_u32_e32 v34, v18
	v_min_u32_e32 v34, 32, v34
	s_delay_alu instid0(VALU_DEP_1) | instskip(NEXT) | instid1(VALU_DEP_1)
	v_subrev_nc_u32_e32 v35, 28, v34
	v_lshlrev_b64_e32 v[40:41], v35, v[18:19]
	s_delay_alu instid0(VALU_DEP_1)
	v_dual_sub_nc_u32 v34, 29, v34 :: v_dual_bitop2_b32 v18, 7, v40 bitop3:0x40
; %bb.498:                              ;   in Loop: Header=BB169_434 Depth=1
	s_or_b32 exec_lo, exec_lo, s25
	s_delay_alu instid0(VALU_DEP_1) | instskip(NEXT) | instid1(VALU_DEP_2)
	v_dual_lshlrev_b32 v35, 24, v39 :: v_dual_lshlrev_b32 v18, 20, v18
	v_lshl_add_u32 v34, v34, 23, 0x3c000000
	s_delay_alu instid0(VALU_DEP_2) | instskip(NEXT) | instid1(VALU_DEP_1)
	v_and_b32_e32 v35, 0x80000000, v35
	v_or3_b32 v35, v18, v35, v34
	v_mov_b32_e32 v34, v19
.LBB169_499:                            ;   in Loop: Header=BB169_434 Depth=1
	s_or_b32 exec_lo, exec_lo, s24
.LBB169_500:                            ;   in Loop: Header=BB169_434 Depth=1
	s_delay_alu instid0(SALU_CYCLE_1)
	s_or_b32 exec_lo, exec_lo, s23
.LBB169_501:                            ;   in Loop: Header=BB169_434 Depth=1
	s_delay_alu instid0(SALU_CYCLE_1)
	s_or_b32 exec_lo, exec_lo, s9
	s_mov_b32 s9, s8
	v_or_b32_e32 v31, v31, v33
	v_mov_b64_e32 v[38:39], s[8:9]
	v_or_b32_e32 v30, v30, v32
	v_or_b32_e32 v35, v35, v37
	;; [unrolled: 1-line block ×3, first 2 shown]
	s_delay_alu instid0(VALU_DEP_3) | instskip(NEXT) | instid1(VALU_DEP_2)
	v_pk_mul_f32 v[32:33], v[38:39], v[30:31]
	v_pk_mul_f32 v[30:31], v[38:39], v[34:35]
	s_and_saveexec_b32 s23, vcc_lo
	s_cbranch_execz .LBB169_503
; %bb.502:                              ;   in Loop: Header=BB169_434 Depth=1
	v_cmp_gt_i32_e64 s0, s35, v51
	s_delay_alu instid0(VALU_DEP_1) | instskip(SKIP_1) | instid1(VALU_DEP_1)
	v_cndmask_b32_e64 v32, 0, v32, s0
	v_cmp_gt_i32_e64 s0, s35, v84
	v_cndmask_b32_e64 v33, 0, v33, s0
	v_cmp_gt_i32_e64 s0, s35, v77
	s_delay_alu instid0(VALU_DEP_1) | instskip(SKIP_1) | instid1(VALU_DEP_1)
	v_cndmask_b32_e64 v30, 0, v30, s0
	v_cmp_gt_i32_e64 s0, s35, v76
	v_cndmask_b32_e64 v31, 0, v31, s0
.LBB169_503:                            ;   in Loop: Header=BB169_434 Depth=1
	s_or_b32 exec_lo, exec_lo, s23
	global_load_b32 v42, v[28:29], off offset:256
	v_mov_b64_e32 v[34:35], 0
	v_mov_b64_e32 v[36:37], 0
	s_mov_b32 s23, exec_lo
	s_wait_loadcnt 0x0
	v_and_b32_e32 v18, 0xff, v42
	s_delay_alu instid0(VALU_DEP_1)
	v_cmpx_ne_u16_e32 0, v18
	s_cbranch_execz .LBB169_511
; %bb.504:                              ;   in Loop: Header=BB169_434 Depth=1
	v_mov_b64_e32 v[36:37], 0x80000000
	s_mov_b32 s24, exec_lo
	v_cmpx_ne_u16_e32 0x80, v18
	s_cbranch_execz .LBB169_510
; %bb.505:                              ;   in Loop: Header=BB169_434 Depth=1
	v_mov_b64_e32 v[36:37], 0x7f800001
	v_and_b32_e32 v38, 0x7f, v42
	s_mov_b32 s25, exec_lo
	s_delay_alu instid0(VALU_DEP_1)
	v_cmpx_ne_u32_e32 0x7f, v38
	s_cbranch_execz .LBB169_509
; %bb.506:                              ;   in Loop: Header=BB169_434 Depth=1
	v_and_b32_e32 v18, 7, v42
	v_lshrrev_b32_e32 v36, 3, v38
	s_mov_b32 s27, exec_lo
	v_cmpx_gt_u32_e32 8, v38
; %bb.507:                              ;   in Loop: Header=BB169_434 Depth=1
	s_delay_alu instid0(VALU_DEP_3) | instskip(NEXT) | instid1(VALU_DEP_1)
	v_clz_i32_u32_e32 v36, v18
	v_min_u32_e32 v36, 32, v36
	s_delay_alu instid0(VALU_DEP_1) | instskip(NEXT) | instid1(VALU_DEP_1)
	v_subrev_nc_u32_e32 v37, 28, v36
	v_lshlrev_b64_e32 v[38:39], v37, v[18:19]
	s_delay_alu instid0(VALU_DEP_1)
	v_dual_sub_nc_u32 v36, 29, v36 :: v_dual_bitop2_b32 v18, 7, v38 bitop3:0x40
; %bb.508:                              ;   in Loop: Header=BB169_434 Depth=1
	s_or_b32 exec_lo, exec_lo, s27
	v_lshlrev_b32_e32 v37, 24, v42
	s_delay_alu instid0(VALU_DEP_2) | instskip(NEXT) | instid1(VALU_DEP_3)
	v_lshlrev_b32_e32 v18, 20, v18
	v_lshl_add_u32 v36, v36, 23, 0x3c000000
	s_delay_alu instid0(VALU_DEP_3) | instskip(NEXT) | instid1(VALU_DEP_1)
	v_and_b32_e32 v37, 0x80000000, v37
	v_or3_b32 v18, v18, v37, v36
	s_delay_alu instid0(VALU_DEP_1)
	v_mov_b64_e32 v[36:37], v[18:19]
.LBB169_509:                            ;   in Loop: Header=BB169_434 Depth=1
	s_or_b32 exec_lo, exec_lo, s25
.LBB169_510:                            ;   in Loop: Header=BB169_434 Depth=1
	s_delay_alu instid0(SALU_CYCLE_1)
	s_or_b32 exec_lo, exec_lo, s24
.LBB169_511:                            ;   in Loop: Header=BB169_434 Depth=1
	s_delay_alu instid0(SALU_CYCLE_1) | instskip(SKIP_2) | instid1(VALU_DEP_1)
	s_or_b32 exec_lo, exec_lo, s23
	v_lshrrev_b16 v18, 8, v42
	s_mov_b32 s23, exec_lo
	v_cmpx_ne_u16_e32 0, v18
	s_cbranch_execz .LBB169_519
; %bb.512:                              ;   in Loop: Header=BB169_434 Depth=1
	v_mov_b64_e32 v[34:35], 0x8000000000000000
	s_mov_b32 s24, exec_lo
	v_cmpx_ne_u16_e32 0x80, v18
	s_cbranch_execz .LBB169_518
; %bb.513:                              ;   in Loop: Header=BB169_434 Depth=1
	v_and_b32_e32 v18, 0xffff, v18
	v_mov_b64_e32 v[34:35], 0x7f80000100000000
	s_mov_b32 s25, exec_lo
	s_delay_alu instid0(VALU_DEP_2) | instskip(NEXT) | instid1(VALU_DEP_1)
	v_and_b32_e32 v38, 0x7f, v18
	v_cmpx_ne_u32_e32 0x7f, v38
	s_cbranch_execz .LBB169_517
; %bb.514:                              ;   in Loop: Header=BB169_434 Depth=1
	v_and_b32_e32 v18, 7, v18
	v_lshrrev_b32_e32 v34, 3, v38
	s_mov_b32 s27, exec_lo
	v_cmpx_gt_u32_e32 8, v38
; %bb.515:                              ;   in Loop: Header=BB169_434 Depth=1
	s_delay_alu instid0(VALU_DEP_3) | instskip(NEXT) | instid1(VALU_DEP_1)
	v_clz_i32_u32_e32 v34, v18
	v_min_u32_e32 v34, 32, v34
	s_delay_alu instid0(VALU_DEP_1) | instskip(SKIP_1) | instid1(VALU_DEP_2)
	v_subrev_nc_u32_e32 v35, 28, v34
	v_sub_nc_u32_e32 v34, 29, v34
	v_lshlrev_b64_e32 v[38:39], v35, v[18:19]
	s_delay_alu instid0(VALU_DEP_1)
	v_and_b32_e32 v18, 7, v38
; %bb.516:                              ;   in Loop: Header=BB169_434 Depth=1
	s_or_b32 exec_lo, exec_lo, s27
	v_lshlrev_b32_e32 v35, 16, v42
	s_delay_alu instid0(VALU_DEP_2) | instskip(SKIP_1) | instid1(VALU_DEP_3)
	v_lshlrev_b32_e32 v18, 20, v18
	v_lshl_add_u32 v34, v34, 23, 0x3c000000
	v_and_b32_e32 v35, 0x80000000, v35
	s_delay_alu instid0(VALU_DEP_1)
	v_or3_b32 v35, v18, v35, v34
	v_mov_b32_e32 v34, v19
.LBB169_517:                            ;   in Loop: Header=BB169_434 Depth=1
	s_or_b32 exec_lo, exec_lo, s25
.LBB169_518:                            ;   in Loop: Header=BB169_434 Depth=1
	s_delay_alu instid0(SALU_CYCLE_1)
	s_or_b32 exec_lo, exec_lo, s24
.LBB169_519:                            ;   in Loop: Header=BB169_434 Depth=1
	s_delay_alu instid0(SALU_CYCLE_1) | instskip(SKIP_4) | instid1(VALU_DEP_3)
	s_or_b32 exec_lo, exec_lo, s23
	v_lshrrev_b32_e32 v43, 16, v42
	v_mov_b64_e32 v[38:39], 0
	v_mov_b64_e32 v[40:41], 0
	s_mov_b32 s23, exec_lo
	v_and_b32_e32 v18, 0xff, v43
	s_delay_alu instid0(VALU_DEP_1)
	v_cmpx_ne_u16_e32 0, v18
	s_cbranch_execz .LBB169_527
; %bb.520:                              ;   in Loop: Header=BB169_434 Depth=1
	v_mov_b64_e32 v[40:41], 0x80000000
	s_mov_b32 s24, exec_lo
	v_cmpx_ne_u16_e32 0x80, v18
	s_cbranch_execz .LBB169_526
; %bb.521:                              ;   in Loop: Header=BB169_434 Depth=1
	v_mov_b64_e32 v[40:41], 0x7f800001
	v_bfe_u32 v44, v42, 16, 7
	s_mov_b32 s25, exec_lo
	s_delay_alu instid0(VALU_DEP_1)
	v_cmpx_ne_u32_e32 0x7f, v44
	s_cbranch_execz .LBB169_525
; %bb.522:                              ;   in Loop: Header=BB169_434 Depth=1
	v_dual_lshrrev_b32 v40, 3, v44 :: v_dual_bitop2_b32 v18, 7, v43 bitop3:0x40
	s_mov_b32 s27, exec_lo
	v_cmpx_gt_u32_e32 8, v44
; %bb.523:                              ;   in Loop: Header=BB169_434 Depth=1
	s_delay_alu instid0(VALU_DEP_2) | instskip(NEXT) | instid1(VALU_DEP_1)
	v_clz_i32_u32_e32 v40, v18
	v_min_u32_e32 v40, 32, v40
	s_delay_alu instid0(VALU_DEP_1) | instskip(SKIP_1) | instid1(VALU_DEP_2)
	v_subrev_nc_u32_e32 v41, 28, v40
	v_sub_nc_u32_e32 v40, 29, v40
	v_lshlrev_b64_e32 v[44:45], v41, v[18:19]
	s_delay_alu instid0(VALU_DEP_1)
	v_and_b32_e32 v18, 7, v44
; %bb.524:                              ;   in Loop: Header=BB169_434 Depth=1
	s_or_b32 exec_lo, exec_lo, s27
	s_delay_alu instid0(VALU_DEP_1) | instskip(SKIP_1) | instid1(VALU_DEP_2)
	v_dual_lshlrev_b32 v41, 24, v43 :: v_dual_lshlrev_b32 v18, 20, v18
	v_lshl_add_u32 v40, v40, 23, 0x3c000000
	v_and_b32_e32 v41, 0x80000000, v41
	s_delay_alu instid0(VALU_DEP_1) | instskip(NEXT) | instid1(VALU_DEP_1)
	v_or3_b32 v18, v18, v41, v40
	v_mov_b64_e32 v[40:41], v[18:19]
.LBB169_525:                            ;   in Loop: Header=BB169_434 Depth=1
	s_or_b32 exec_lo, exec_lo, s25
.LBB169_526:                            ;   in Loop: Header=BB169_434 Depth=1
	s_delay_alu instid0(SALU_CYCLE_1)
	s_or_b32 exec_lo, exec_lo, s24
.LBB169_527:                            ;   in Loop: Header=BB169_434 Depth=1
	s_delay_alu instid0(SALU_CYCLE_1) | instskip(NEXT) | instid1(SALU_CYCLE_1)
	s_or_b32 exec_lo, exec_lo, s23
	s_mov_b32 s23, exec_lo
	v_cmpx_lt_u32_e32 0xffffff, v42
	s_cbranch_execz .LBB169_535
; %bb.528:                              ;   in Loop: Header=BB169_434 Depth=1
	v_mov_b64_e32 v[38:39], 0x8000000000000000
	v_lshrrev_b32_e32 v43, 24, v42
	s_mov_b32 s24, exec_lo
	s_delay_alu instid0(VALU_DEP_1)
	v_cmpx_ne_u32_e32 0x80, v43
	s_cbranch_execz .LBB169_534
; %bb.529:                              ;   in Loop: Header=BB169_434 Depth=1
	v_mov_b64_e32 v[38:39], 0x7f80000100000000
	v_bfe_u32 v42, v42, 24, 7
	s_mov_b32 s25, exec_lo
	s_delay_alu instid0(VALU_DEP_1)
	v_cmpx_ne_u32_e32 0x7f, v42
	s_cbranch_execz .LBB169_533
; %bb.530:                              ;   in Loop: Header=BB169_434 Depth=1
	v_dual_lshrrev_b32 v38, 3, v42 :: v_dual_bitop2_b32 v18, 7, v43 bitop3:0x40
	s_mov_b32 s27, exec_lo
	v_cmpx_gt_u32_e32 8, v42
; %bb.531:                              ;   in Loop: Header=BB169_434 Depth=1
	s_delay_alu instid0(VALU_DEP_2) | instskip(NEXT) | instid1(VALU_DEP_1)
	v_clz_i32_u32_e32 v38, v18
	v_min_u32_e32 v38, 32, v38
	s_delay_alu instid0(VALU_DEP_1) | instskip(NEXT) | instid1(VALU_DEP_1)
	v_subrev_nc_u32_e32 v39, 28, v38
	v_lshlrev_b64_e32 v[44:45], v39, v[18:19]
	s_delay_alu instid0(VALU_DEP_1)
	v_dual_sub_nc_u32 v38, 29, v38 :: v_dual_bitop2_b32 v18, 7, v44 bitop3:0x40
; %bb.532:                              ;   in Loop: Header=BB169_434 Depth=1
	s_or_b32 exec_lo, exec_lo, s27
	s_delay_alu instid0(VALU_DEP_1) | instskip(NEXT) | instid1(VALU_DEP_2)
	v_dual_lshlrev_b32 v39, 24, v43 :: v_dual_lshlrev_b32 v18, 20, v18
	v_lshl_add_u32 v38, v38, 23, 0x3c000000
	s_delay_alu instid0(VALU_DEP_2) | instskip(NEXT) | instid1(VALU_DEP_1)
	v_and_b32_e32 v39, 0x80000000, v39
	v_or3_b32 v39, v18, v39, v38
	v_mov_b32_e32 v38, v19
.LBB169_533:                            ;   in Loop: Header=BB169_434 Depth=1
	s_or_b32 exec_lo, exec_lo, s25
.LBB169_534:                            ;   in Loop: Header=BB169_434 Depth=1
	s_delay_alu instid0(SALU_CYCLE_1)
	s_or_b32 exec_lo, exec_lo, s24
.LBB169_535:                            ;   in Loop: Header=BB169_434 Depth=1
	s_delay_alu instid0(SALU_CYCLE_1)
	s_or_b32 exec_lo, exec_lo, s23
	v_mov_b64_e32 v[42:43], s[8:9]
	v_or_b32_e32 v35, v35, v37
	v_or_b32_e32 v34, v34, v36
	;; [unrolled: 1-line block ×4, first 2 shown]
	s_delay_alu instid0(VALU_DEP_3) | instskip(NEXT) | instid1(VALU_DEP_2)
	v_pk_mul_f32 v[36:37], v[42:43], v[34:35]
	v_pk_mul_f32 v[34:35], v[42:43], v[38:39]
	s_and_saveexec_b32 s23, vcc_lo
	s_cbranch_execz .LBB169_537
; %bb.536:                              ;   in Loop: Header=BB169_434 Depth=1
	v_cmp_gt_i32_e64 s0, s35, v51
	s_delay_alu instid0(VALU_DEP_1) | instskip(SKIP_1) | instid1(VALU_DEP_1)
	v_cndmask_b32_e64 v36, 0, v36, s0
	v_cmp_gt_i32_e64 s0, s35, v84
	v_cndmask_b32_e64 v37, 0, v37, s0
	v_cmp_gt_i32_e64 s0, s35, v77
	s_delay_alu instid0(VALU_DEP_1) | instskip(SKIP_1) | instid1(VALU_DEP_1)
	v_cndmask_b32_e64 v34, 0, v34, s0
	v_cmp_gt_i32_e64 s0, s35, v76
	v_cndmask_b32_e64 v35, 0, v35, s0
.LBB169_537:                            ;   in Loop: Header=BB169_434 Depth=1
	s_or_b32 exec_lo, exec_lo, s23
	global_load_b32 v46, v[28:29], off offset:384
	v_mov_b64_e32 v[38:39], 0
	v_mov_b64_e32 v[40:41], 0
	s_mov_b32 s23, exec_lo
	s_wait_loadcnt 0x0
	v_and_b32_e32 v18, 0xff, v46
	s_delay_alu instid0(VALU_DEP_1)
	v_cmpx_ne_u16_e32 0, v18
	s_cbranch_execz .LBB169_545
; %bb.538:                              ;   in Loop: Header=BB169_434 Depth=1
	v_mov_b64_e32 v[40:41], 0x80000000
	s_mov_b32 s24, exec_lo
	v_cmpx_ne_u16_e32 0x80, v18
	s_cbranch_execz .LBB169_544
; %bb.539:                              ;   in Loop: Header=BB169_434 Depth=1
	v_mov_b64_e32 v[40:41], 0x7f800001
	v_and_b32_e32 v42, 0x7f, v46
	s_mov_b32 s25, exec_lo
	s_delay_alu instid0(VALU_DEP_1)
	v_cmpx_ne_u32_e32 0x7f, v42
	s_cbranch_execz .LBB169_543
; %bb.540:                              ;   in Loop: Header=BB169_434 Depth=1
	v_and_b32_e32 v18, 7, v46
	v_lshrrev_b32_e32 v40, 3, v42
	s_mov_b32 s27, exec_lo
	v_cmpx_gt_u32_e32 8, v42
; %bb.541:                              ;   in Loop: Header=BB169_434 Depth=1
	s_delay_alu instid0(VALU_DEP_3) | instskip(NEXT) | instid1(VALU_DEP_1)
	v_clz_i32_u32_e32 v40, v18
	v_min_u32_e32 v40, 32, v40
	s_delay_alu instid0(VALU_DEP_1) | instskip(NEXT) | instid1(VALU_DEP_1)
	v_subrev_nc_u32_e32 v41, 28, v40
	v_lshlrev_b64_e32 v[42:43], v41, v[18:19]
	s_delay_alu instid0(VALU_DEP_1)
	v_dual_sub_nc_u32 v40, 29, v40 :: v_dual_bitop2_b32 v18, 7, v42 bitop3:0x40
; %bb.542:                              ;   in Loop: Header=BB169_434 Depth=1
	s_or_b32 exec_lo, exec_lo, s27
	v_lshlrev_b32_e32 v41, 24, v46
	s_delay_alu instid0(VALU_DEP_2) | instskip(NEXT) | instid1(VALU_DEP_3)
	v_lshlrev_b32_e32 v18, 20, v18
	v_lshl_add_u32 v40, v40, 23, 0x3c000000
	s_delay_alu instid0(VALU_DEP_3) | instskip(NEXT) | instid1(VALU_DEP_1)
	v_and_b32_e32 v41, 0x80000000, v41
	v_or3_b32 v18, v18, v41, v40
	s_delay_alu instid0(VALU_DEP_1)
	v_mov_b64_e32 v[40:41], v[18:19]
.LBB169_543:                            ;   in Loop: Header=BB169_434 Depth=1
	s_or_b32 exec_lo, exec_lo, s25
.LBB169_544:                            ;   in Loop: Header=BB169_434 Depth=1
	s_delay_alu instid0(SALU_CYCLE_1)
	s_or_b32 exec_lo, exec_lo, s24
.LBB169_545:                            ;   in Loop: Header=BB169_434 Depth=1
	s_delay_alu instid0(SALU_CYCLE_1) | instskip(SKIP_2) | instid1(VALU_DEP_1)
	s_or_b32 exec_lo, exec_lo, s23
	v_lshrrev_b16 v18, 8, v46
	s_mov_b32 s23, exec_lo
	v_cmpx_ne_u16_e32 0, v18
	s_cbranch_execz .LBB169_553
; %bb.546:                              ;   in Loop: Header=BB169_434 Depth=1
	v_mov_b64_e32 v[38:39], 0x8000000000000000
	s_mov_b32 s24, exec_lo
	v_cmpx_ne_u16_e32 0x80, v18
	s_cbranch_execz .LBB169_552
; %bb.547:                              ;   in Loop: Header=BB169_434 Depth=1
	v_and_b32_e32 v18, 0xffff, v18
	v_mov_b64_e32 v[38:39], 0x7f80000100000000
	s_mov_b32 s25, exec_lo
	s_delay_alu instid0(VALU_DEP_2) | instskip(NEXT) | instid1(VALU_DEP_1)
	v_and_b32_e32 v42, 0x7f, v18
	v_cmpx_ne_u32_e32 0x7f, v42
	s_cbranch_execz .LBB169_551
; %bb.548:                              ;   in Loop: Header=BB169_434 Depth=1
	v_and_b32_e32 v18, 7, v18
	v_lshrrev_b32_e32 v38, 3, v42
	s_mov_b32 s27, exec_lo
	v_cmpx_gt_u32_e32 8, v42
; %bb.549:                              ;   in Loop: Header=BB169_434 Depth=1
	s_delay_alu instid0(VALU_DEP_3) | instskip(NEXT) | instid1(VALU_DEP_1)
	v_clz_i32_u32_e32 v38, v18
	v_min_u32_e32 v38, 32, v38
	s_delay_alu instid0(VALU_DEP_1) | instskip(SKIP_1) | instid1(VALU_DEP_2)
	v_subrev_nc_u32_e32 v39, 28, v38
	v_sub_nc_u32_e32 v38, 29, v38
	v_lshlrev_b64_e32 v[42:43], v39, v[18:19]
	s_delay_alu instid0(VALU_DEP_1)
	v_and_b32_e32 v18, 7, v42
; %bb.550:                              ;   in Loop: Header=BB169_434 Depth=1
	s_or_b32 exec_lo, exec_lo, s27
	v_lshlrev_b32_e32 v39, 16, v46
	s_delay_alu instid0(VALU_DEP_2) | instskip(SKIP_1) | instid1(VALU_DEP_3)
	v_lshlrev_b32_e32 v18, 20, v18
	v_lshl_add_u32 v38, v38, 23, 0x3c000000
	v_and_b32_e32 v39, 0x80000000, v39
	s_delay_alu instid0(VALU_DEP_1)
	v_or3_b32 v39, v18, v39, v38
	v_mov_b32_e32 v38, v19
.LBB169_551:                            ;   in Loop: Header=BB169_434 Depth=1
	s_or_b32 exec_lo, exec_lo, s25
.LBB169_552:                            ;   in Loop: Header=BB169_434 Depth=1
	s_delay_alu instid0(SALU_CYCLE_1)
	s_or_b32 exec_lo, exec_lo, s24
.LBB169_553:                            ;   in Loop: Header=BB169_434 Depth=1
	s_delay_alu instid0(SALU_CYCLE_1) | instskip(SKIP_4) | instid1(VALU_DEP_3)
	s_or_b32 exec_lo, exec_lo, s23
	v_lshrrev_b32_e32 v47, 16, v46
	v_mov_b64_e32 v[42:43], 0
	v_mov_b64_e32 v[44:45], 0
	s_mov_b32 s23, exec_lo
	v_and_b32_e32 v18, 0xff, v47
	s_delay_alu instid0(VALU_DEP_1)
	v_cmpx_ne_u16_e32 0, v18
	s_cbranch_execz .LBB169_561
; %bb.554:                              ;   in Loop: Header=BB169_434 Depth=1
	v_mov_b64_e32 v[44:45], 0x80000000
	s_mov_b32 s24, exec_lo
	v_cmpx_ne_u16_e32 0x80, v18
	s_cbranch_execz .LBB169_560
; %bb.555:                              ;   in Loop: Header=BB169_434 Depth=1
	v_mov_b64_e32 v[44:45], 0x7f800001
	v_bfe_u32 v48, v46, 16, 7
	s_mov_b32 s25, exec_lo
	s_delay_alu instid0(VALU_DEP_1)
	v_cmpx_ne_u32_e32 0x7f, v48
	s_cbranch_execz .LBB169_559
; %bb.556:                              ;   in Loop: Header=BB169_434 Depth=1
	v_dual_lshrrev_b32 v44, 3, v48 :: v_dual_bitop2_b32 v18, 7, v47 bitop3:0x40
	s_mov_b32 s27, exec_lo
	v_cmpx_gt_u32_e32 8, v48
; %bb.557:                              ;   in Loop: Header=BB169_434 Depth=1
	s_delay_alu instid0(VALU_DEP_2) | instskip(NEXT) | instid1(VALU_DEP_1)
	v_clz_i32_u32_e32 v44, v18
	v_min_u32_e32 v44, 32, v44
	s_delay_alu instid0(VALU_DEP_1) | instskip(SKIP_1) | instid1(VALU_DEP_2)
	v_subrev_nc_u32_e32 v45, 28, v44
	v_sub_nc_u32_e32 v44, 29, v44
	v_lshlrev_b64_e32 v[48:49], v45, v[18:19]
	s_delay_alu instid0(VALU_DEP_1)
	v_and_b32_e32 v18, 7, v48
; %bb.558:                              ;   in Loop: Header=BB169_434 Depth=1
	s_or_b32 exec_lo, exec_lo, s27
	s_delay_alu instid0(VALU_DEP_1) | instskip(SKIP_1) | instid1(VALU_DEP_2)
	v_dual_lshlrev_b32 v45, 24, v47 :: v_dual_lshlrev_b32 v18, 20, v18
	v_lshl_add_u32 v44, v44, 23, 0x3c000000
	v_and_b32_e32 v45, 0x80000000, v45
	s_delay_alu instid0(VALU_DEP_1) | instskip(NEXT) | instid1(VALU_DEP_1)
	v_or3_b32 v18, v18, v45, v44
	v_mov_b64_e32 v[44:45], v[18:19]
.LBB169_559:                            ;   in Loop: Header=BB169_434 Depth=1
	s_or_b32 exec_lo, exec_lo, s25
.LBB169_560:                            ;   in Loop: Header=BB169_434 Depth=1
	s_delay_alu instid0(SALU_CYCLE_1)
	s_or_b32 exec_lo, exec_lo, s24
.LBB169_561:                            ;   in Loop: Header=BB169_434 Depth=1
	s_delay_alu instid0(SALU_CYCLE_1) | instskip(NEXT) | instid1(SALU_CYCLE_1)
	s_or_b32 exec_lo, exec_lo, s23
	s_mov_b32 s23, exec_lo
	v_cmpx_lt_u32_e32 0xffffff, v46
	s_cbranch_execz .LBB169_569
; %bb.562:                              ;   in Loop: Header=BB169_434 Depth=1
	v_mov_b64_e32 v[42:43], 0x8000000000000000
	v_lshrrev_b32_e32 v47, 24, v46
	s_mov_b32 s24, exec_lo
	s_delay_alu instid0(VALU_DEP_1)
	v_cmpx_ne_u32_e32 0x80, v47
	s_cbranch_execz .LBB169_568
; %bb.563:                              ;   in Loop: Header=BB169_434 Depth=1
	v_mov_b64_e32 v[42:43], 0x7f80000100000000
	v_bfe_u32 v46, v46, 24, 7
	s_mov_b32 s25, exec_lo
	s_delay_alu instid0(VALU_DEP_1)
	v_cmpx_ne_u32_e32 0x7f, v46
	s_cbranch_execz .LBB169_567
; %bb.564:                              ;   in Loop: Header=BB169_434 Depth=1
	v_dual_lshrrev_b32 v42, 3, v46 :: v_dual_bitop2_b32 v18, 7, v47 bitop3:0x40
	s_mov_b32 s27, exec_lo
	v_cmpx_gt_u32_e32 8, v46
; %bb.565:                              ;   in Loop: Header=BB169_434 Depth=1
	s_delay_alu instid0(VALU_DEP_2) | instskip(NEXT) | instid1(VALU_DEP_1)
	v_clz_i32_u32_e32 v42, v18
	v_min_u32_e32 v42, 32, v42
	s_delay_alu instid0(VALU_DEP_1) | instskip(NEXT) | instid1(VALU_DEP_1)
	v_subrev_nc_u32_e32 v43, 28, v42
	v_lshlrev_b64_e32 v[48:49], v43, v[18:19]
	s_delay_alu instid0(VALU_DEP_1)
	v_dual_sub_nc_u32 v42, 29, v42 :: v_dual_bitop2_b32 v18, 7, v48 bitop3:0x40
; %bb.566:                              ;   in Loop: Header=BB169_434 Depth=1
	s_or_b32 exec_lo, exec_lo, s27
	s_delay_alu instid0(VALU_DEP_1) | instskip(NEXT) | instid1(VALU_DEP_2)
	v_dual_lshlrev_b32 v43, 24, v47 :: v_dual_lshlrev_b32 v18, 20, v18
	v_lshl_add_u32 v42, v42, 23, 0x3c000000
	s_delay_alu instid0(VALU_DEP_2) | instskip(NEXT) | instid1(VALU_DEP_1)
	v_and_b32_e32 v43, 0x80000000, v43
	v_or3_b32 v43, v18, v43, v42
	v_mov_b32_e32 v42, v19
.LBB169_567:                            ;   in Loop: Header=BB169_434 Depth=1
	s_or_b32 exec_lo, exec_lo, s25
.LBB169_568:                            ;   in Loop: Header=BB169_434 Depth=1
	s_delay_alu instid0(SALU_CYCLE_1)
	s_or_b32 exec_lo, exec_lo, s24
.LBB169_569:                            ;   in Loop: Header=BB169_434 Depth=1
	s_delay_alu instid0(SALU_CYCLE_1)
	s_or_b32 exec_lo, exec_lo, s23
	v_mov_b64_e32 v[46:47], s[8:9]
	v_or_b32_e32 v39, v39, v41
	v_or_b32_e32 v38, v38, v40
	;; [unrolled: 1-line block ×4, first 2 shown]
	s_delay_alu instid0(VALU_DEP_3) | instskip(NEXT) | instid1(VALU_DEP_2)
	v_pk_mul_f32 v[40:41], v[46:47], v[38:39]
	v_pk_mul_f32 v[38:39], v[46:47], v[42:43]
	s_and_saveexec_b32 s23, vcc_lo
	s_cbranch_execz .LBB169_571
; %bb.570:                              ;   in Loop: Header=BB169_434 Depth=1
	v_cmp_gt_i32_e64 s0, s35, v51
	s_delay_alu instid0(VALU_DEP_1) | instskip(SKIP_1) | instid1(VALU_DEP_1)
	v_cndmask_b32_e64 v40, 0, v40, s0
	v_cmp_gt_i32_e64 s0, s35, v84
	v_cndmask_b32_e64 v41, 0, v41, s0
	v_cmp_gt_i32_e64 s0, s35, v77
	s_delay_alu instid0(VALU_DEP_1) | instskip(SKIP_1) | instid1(VALU_DEP_1)
	v_cndmask_b32_e64 v38, 0, v38, s0
	v_cmp_gt_i32_e64 s0, s35, v76
	v_cndmask_b32_e64 v39, 0, v39, s0
.LBB169_571:                            ;   in Loop: Header=BB169_434 Depth=1
	s_or_b32 exec_lo, exec_lo, s23
	global_load_b32 v52, v[28:29], off offset:512
	v_mov_b64_e32 v[42:43], 0
	v_mov_b64_e32 v[44:45], 0
	s_mov_b32 s23, exec_lo
	s_wait_loadcnt 0x0
	v_and_b32_e32 v18, 0xff, v52
	s_delay_alu instid0(VALU_DEP_1)
	v_cmpx_ne_u16_e32 0, v18
	s_cbranch_execz .LBB169_579
; %bb.572:                              ;   in Loop: Header=BB169_434 Depth=1
	v_mov_b64_e32 v[44:45], 0x80000000
	s_mov_b32 s24, exec_lo
	v_cmpx_ne_u16_e32 0x80, v18
	s_cbranch_execz .LBB169_578
; %bb.573:                              ;   in Loop: Header=BB169_434 Depth=1
	v_mov_b64_e32 v[44:45], 0x7f800001
	v_and_b32_e32 v46, 0x7f, v52
	s_mov_b32 s25, exec_lo
	s_delay_alu instid0(VALU_DEP_1)
	v_cmpx_ne_u32_e32 0x7f, v46
	s_cbranch_execz .LBB169_577
; %bb.574:                              ;   in Loop: Header=BB169_434 Depth=1
	v_dual_lshrrev_b32 v44, 3, v46 :: v_dual_bitop2_b32 v18, 7, v52 bitop3:0x40
	s_mov_b32 s27, exec_lo
	v_cmpx_gt_u32_e32 8, v46
; %bb.575:                              ;   in Loop: Header=BB169_434 Depth=1
	s_delay_alu instid0(VALU_DEP_2) | instskip(NEXT) | instid1(VALU_DEP_1)
	v_clz_i32_u32_e32 v44, v18
	v_min_u32_e32 v44, 32, v44
	s_delay_alu instid0(VALU_DEP_1) | instskip(NEXT) | instid1(VALU_DEP_1)
	v_subrev_nc_u32_e32 v45, 28, v44
	v_lshlrev_b64_e32 v[46:47], v45, v[18:19]
	s_delay_alu instid0(VALU_DEP_1)
	v_dual_sub_nc_u32 v44, 29, v44 :: v_dual_bitop2_b32 v18, 7, v46 bitop3:0x40
; %bb.576:                              ;   in Loop: Header=BB169_434 Depth=1
	s_or_b32 exec_lo, exec_lo, s27
	s_delay_alu instid0(VALU_DEP_1) | instskip(NEXT) | instid1(VALU_DEP_2)
	v_dual_lshlrev_b32 v45, 24, v52 :: v_dual_lshlrev_b32 v18, 20, v18
	v_lshl_add_u32 v44, v44, 23, 0x3c000000
	s_delay_alu instid0(VALU_DEP_2) | instskip(NEXT) | instid1(VALU_DEP_1)
	v_and_b32_e32 v45, 0x80000000, v45
	v_or3_b32 v18, v18, v45, v44
	s_delay_alu instid0(VALU_DEP_1)
	v_mov_b64_e32 v[44:45], v[18:19]
.LBB169_577:                            ;   in Loop: Header=BB169_434 Depth=1
	s_or_b32 exec_lo, exec_lo, s25
.LBB169_578:                            ;   in Loop: Header=BB169_434 Depth=1
	s_delay_alu instid0(SALU_CYCLE_1)
	s_or_b32 exec_lo, exec_lo, s24
.LBB169_579:                            ;   in Loop: Header=BB169_434 Depth=1
	s_delay_alu instid0(SALU_CYCLE_1) | instskip(SKIP_2) | instid1(VALU_DEP_1)
	s_or_b32 exec_lo, exec_lo, s23
	v_lshrrev_b16 v18, 8, v52
	s_mov_b32 s23, exec_lo
	v_cmpx_ne_u16_e32 0, v18
	s_cbranch_execz .LBB169_587
; %bb.580:                              ;   in Loop: Header=BB169_434 Depth=1
	v_mov_b64_e32 v[42:43], 0x8000000000000000
	s_mov_b32 s24, exec_lo
	v_cmpx_ne_u16_e32 0x80, v18
	s_cbranch_execz .LBB169_586
; %bb.581:                              ;   in Loop: Header=BB169_434 Depth=1
	v_and_b32_e32 v18, 0xffff, v18
	v_mov_b64_e32 v[42:43], 0x7f80000100000000
	s_mov_b32 s25, exec_lo
	s_delay_alu instid0(VALU_DEP_2) | instskip(NEXT) | instid1(VALU_DEP_1)
	v_and_b32_e32 v46, 0x7f, v18
	v_cmpx_ne_u32_e32 0x7f, v46
	s_cbranch_execz .LBB169_585
; %bb.582:                              ;   in Loop: Header=BB169_434 Depth=1
	v_and_b32_e32 v18, 7, v18
	v_lshrrev_b32_e32 v42, 3, v46
	s_mov_b32 s27, exec_lo
	v_cmpx_gt_u32_e32 8, v46
; %bb.583:                              ;   in Loop: Header=BB169_434 Depth=1
	s_delay_alu instid0(VALU_DEP_3) | instskip(NEXT) | instid1(VALU_DEP_1)
	v_clz_i32_u32_e32 v42, v18
	v_min_u32_e32 v42, 32, v42
	s_delay_alu instid0(VALU_DEP_1) | instskip(SKIP_1) | instid1(VALU_DEP_2)
	v_subrev_nc_u32_e32 v43, 28, v42
	v_sub_nc_u32_e32 v42, 29, v42
	v_lshlrev_b64_e32 v[46:47], v43, v[18:19]
	s_delay_alu instid0(VALU_DEP_1)
	v_and_b32_e32 v18, 7, v46
; %bb.584:                              ;   in Loop: Header=BB169_434 Depth=1
	s_or_b32 exec_lo, exec_lo, s27
	s_delay_alu instid0(VALU_DEP_1) | instskip(SKIP_1) | instid1(VALU_DEP_2)
	v_dual_lshlrev_b32 v43, 16, v52 :: v_dual_lshlrev_b32 v18, 20, v18
	v_lshl_add_u32 v42, v42, 23, 0x3c000000
	v_and_b32_e32 v43, 0x80000000, v43
	s_delay_alu instid0(VALU_DEP_1)
	v_or3_b32 v43, v18, v43, v42
	v_mov_b32_e32 v42, v19
.LBB169_585:                            ;   in Loop: Header=BB169_434 Depth=1
	s_or_b32 exec_lo, exec_lo, s25
.LBB169_586:                            ;   in Loop: Header=BB169_434 Depth=1
	s_delay_alu instid0(SALU_CYCLE_1)
	s_or_b32 exec_lo, exec_lo, s24
.LBB169_587:                            ;   in Loop: Header=BB169_434 Depth=1
	s_delay_alu instid0(SALU_CYCLE_1) | instskip(SKIP_4) | instid1(VALU_DEP_3)
	s_or_b32 exec_lo, exec_lo, s23
	v_lshrrev_b32_e32 v53, 16, v52
	v_mov_b64_e32 v[46:47], 0
	v_mov_b64_e32 v[48:49], 0
	s_mov_b32 s23, exec_lo
	v_and_b32_e32 v18, 0xff, v53
	s_delay_alu instid0(VALU_DEP_1)
	v_cmpx_ne_u16_e32 0, v18
	s_cbranch_execz .LBB169_595
; %bb.588:                              ;   in Loop: Header=BB169_434 Depth=1
	v_mov_b64_e32 v[48:49], 0x80000000
	s_mov_b32 s24, exec_lo
	v_cmpx_ne_u16_e32 0x80, v18
	s_cbranch_execz .LBB169_594
; %bb.589:                              ;   in Loop: Header=BB169_434 Depth=1
	v_mov_b64_e32 v[48:49], 0x7f800001
	v_bfe_u32 v54, v52, 16, 7
	s_mov_b32 s25, exec_lo
	s_delay_alu instid0(VALU_DEP_1)
	v_cmpx_ne_u32_e32 0x7f, v54
	s_cbranch_execz .LBB169_593
; %bb.590:                              ;   in Loop: Header=BB169_434 Depth=1
	v_dual_lshrrev_b32 v48, 3, v54 :: v_dual_bitop2_b32 v18, 7, v53 bitop3:0x40
	s_mov_b32 s27, exec_lo
	v_cmpx_gt_u32_e32 8, v54
; %bb.591:                              ;   in Loop: Header=BB169_434 Depth=1
	s_delay_alu instid0(VALU_DEP_2) | instskip(NEXT) | instid1(VALU_DEP_1)
	v_clz_i32_u32_e32 v48, v18
	v_min_u32_e32 v48, 32, v48
	s_delay_alu instid0(VALU_DEP_1) | instskip(NEXT) | instid1(VALU_DEP_1)
	v_subrev_nc_u32_e32 v49, 28, v48
	v_lshlrev_b64_e32 v[54:55], v49, v[18:19]
	s_delay_alu instid0(VALU_DEP_1)
	v_dual_sub_nc_u32 v48, 29, v48 :: v_dual_bitop2_b32 v18, 7, v54 bitop3:0x40
; %bb.592:                              ;   in Loop: Header=BB169_434 Depth=1
	s_or_b32 exec_lo, exec_lo, s27
	s_delay_alu instid0(VALU_DEP_1) | instskip(NEXT) | instid1(VALU_DEP_2)
	v_dual_lshlrev_b32 v49, 24, v53 :: v_dual_lshlrev_b32 v18, 20, v18
	v_lshl_add_u32 v48, v48, 23, 0x3c000000
	s_delay_alu instid0(VALU_DEP_2) | instskip(NEXT) | instid1(VALU_DEP_1)
	v_and_b32_e32 v49, 0x80000000, v49
	v_or3_b32 v18, v18, v49, v48
	s_delay_alu instid0(VALU_DEP_1)
	v_mov_b64_e32 v[48:49], v[18:19]
.LBB169_593:                            ;   in Loop: Header=BB169_434 Depth=1
	s_or_b32 exec_lo, exec_lo, s25
.LBB169_594:                            ;   in Loop: Header=BB169_434 Depth=1
	s_delay_alu instid0(SALU_CYCLE_1)
	s_or_b32 exec_lo, exec_lo, s24
.LBB169_595:                            ;   in Loop: Header=BB169_434 Depth=1
	s_delay_alu instid0(SALU_CYCLE_1) | instskip(NEXT) | instid1(SALU_CYCLE_1)
	s_or_b32 exec_lo, exec_lo, s23
	s_mov_b32 s23, exec_lo
	v_cmpx_lt_u32_e32 0xffffff, v52
	s_cbranch_execz .LBB169_603
; %bb.596:                              ;   in Loop: Header=BB169_434 Depth=1
	v_mov_b64_e32 v[46:47], 0x8000000000000000
	v_lshrrev_b32_e32 v53, 24, v52
	s_mov_b32 s24, exec_lo
	s_delay_alu instid0(VALU_DEP_1)
	v_cmpx_ne_u32_e32 0x80, v53
	s_cbranch_execz .LBB169_602
; %bb.597:                              ;   in Loop: Header=BB169_434 Depth=1
	v_mov_b64_e32 v[46:47], 0x7f80000100000000
	v_bfe_u32 v52, v52, 24, 7
	s_mov_b32 s25, exec_lo
	s_delay_alu instid0(VALU_DEP_1)
	v_cmpx_ne_u32_e32 0x7f, v52
	s_cbranch_execz .LBB169_601
; %bb.598:                              ;   in Loop: Header=BB169_434 Depth=1
	v_dual_lshrrev_b32 v46, 3, v52 :: v_dual_bitop2_b32 v18, 7, v53 bitop3:0x40
	s_mov_b32 s27, exec_lo
	v_cmpx_gt_u32_e32 8, v52
; %bb.599:                              ;   in Loop: Header=BB169_434 Depth=1
	s_delay_alu instid0(VALU_DEP_2) | instskip(NEXT) | instid1(VALU_DEP_1)
	v_clz_i32_u32_e32 v46, v18
	v_min_u32_e32 v46, 32, v46
	s_delay_alu instid0(VALU_DEP_1) | instskip(SKIP_1) | instid1(VALU_DEP_2)
	v_subrev_nc_u32_e32 v47, 28, v46
	v_sub_nc_u32_e32 v46, 29, v46
	v_lshlrev_b64_e32 v[54:55], v47, v[18:19]
	s_delay_alu instid0(VALU_DEP_1)
	v_and_b32_e32 v18, 7, v54
; %bb.600:                              ;   in Loop: Header=BB169_434 Depth=1
	s_or_b32 exec_lo, exec_lo, s27
	s_delay_alu instid0(VALU_DEP_1) | instskip(SKIP_1) | instid1(VALU_DEP_2)
	v_dual_lshlrev_b32 v47, 24, v53 :: v_dual_lshlrev_b32 v18, 20, v18
	v_lshl_add_u32 v46, v46, 23, 0x3c000000
	v_and_b32_e32 v47, 0x80000000, v47
	s_delay_alu instid0(VALU_DEP_1)
	v_or3_b32 v47, v18, v47, v46
	v_mov_b32_e32 v46, v19
.LBB169_601:                            ;   in Loop: Header=BB169_434 Depth=1
	s_or_b32 exec_lo, exec_lo, s25
.LBB169_602:                            ;   in Loop: Header=BB169_434 Depth=1
	s_delay_alu instid0(SALU_CYCLE_1)
	s_or_b32 exec_lo, exec_lo, s24
.LBB169_603:                            ;   in Loop: Header=BB169_434 Depth=1
	s_delay_alu instid0(SALU_CYCLE_1)
	s_or_b32 exec_lo, exec_lo, s23
	v_mov_b64_e32 v[52:53], s[8:9]
	v_or_b32_e32 v43, v43, v45
	v_or_b32_e32 v42, v42, v44
	v_or_b32_e32 v47, v47, v49
	v_or_b32_e32 v46, v46, v48
	s_delay_alu instid0(VALU_DEP_3) | instskip(NEXT) | instid1(VALU_DEP_2)
	v_pk_mul_f32 v[44:45], v[52:53], v[42:43]
	v_pk_mul_f32 v[42:43], v[52:53], v[46:47]
	s_and_saveexec_b32 s23, vcc_lo
	s_cbranch_execz .LBB169_605
; %bb.604:                              ;   in Loop: Header=BB169_434 Depth=1
	v_cmp_gt_i32_e64 s0, s35, v51
	s_delay_alu instid0(VALU_DEP_1) | instskip(SKIP_1) | instid1(VALU_DEP_1)
	v_cndmask_b32_e64 v44, 0, v44, s0
	v_cmp_gt_i32_e64 s0, s35, v84
	v_cndmask_b32_e64 v45, 0, v45, s0
	v_cmp_gt_i32_e64 s0, s35, v77
	s_delay_alu instid0(VALU_DEP_1) | instskip(SKIP_1) | instid1(VALU_DEP_1)
	v_cndmask_b32_e64 v42, 0, v42, s0
	v_cmp_gt_i32_e64 s0, s35, v76
	v_cndmask_b32_e64 v43, 0, v43, s0
.LBB169_605:                            ;   in Loop: Header=BB169_434 Depth=1
	s_or_b32 exec_lo, exec_lo, s23
	global_load_b32 v56, v[28:29], off offset:640
	v_mov_b64_e32 v[46:47], 0
	v_mov_b64_e32 v[48:49], 0
	s_mov_b32 s23, exec_lo
	s_wait_loadcnt 0x0
	v_and_b32_e32 v18, 0xff, v56
	s_delay_alu instid0(VALU_DEP_1)
	v_cmpx_ne_u16_e32 0, v18
	s_cbranch_execz .LBB169_613
; %bb.606:                              ;   in Loop: Header=BB169_434 Depth=1
	v_mov_b64_e32 v[48:49], 0x80000000
	s_mov_b32 s24, exec_lo
	v_cmpx_ne_u16_e32 0x80, v18
	s_cbranch_execz .LBB169_612
; %bb.607:                              ;   in Loop: Header=BB169_434 Depth=1
	v_mov_b64_e32 v[48:49], 0x7f800001
	v_and_b32_e32 v52, 0x7f, v56
	s_mov_b32 s25, exec_lo
	s_delay_alu instid0(VALU_DEP_1)
	v_cmpx_ne_u32_e32 0x7f, v52
	s_cbranch_execz .LBB169_611
; %bb.608:                              ;   in Loop: Header=BB169_434 Depth=1
	v_and_b32_e32 v18, 7, v56
	v_lshrrev_b32_e32 v48, 3, v52
	s_mov_b32 s27, exec_lo
	v_cmpx_gt_u32_e32 8, v52
; %bb.609:                              ;   in Loop: Header=BB169_434 Depth=1
	s_delay_alu instid0(VALU_DEP_3) | instskip(NEXT) | instid1(VALU_DEP_1)
	v_clz_i32_u32_e32 v48, v18
	v_min_u32_e32 v48, 32, v48
	s_delay_alu instid0(VALU_DEP_1) | instskip(SKIP_1) | instid1(VALU_DEP_2)
	v_subrev_nc_u32_e32 v49, 28, v48
	v_sub_nc_u32_e32 v48, 29, v48
	v_lshlrev_b64_e32 v[52:53], v49, v[18:19]
	s_delay_alu instid0(VALU_DEP_1)
	v_and_b32_e32 v18, 7, v52
; %bb.610:                              ;   in Loop: Header=BB169_434 Depth=1
	s_or_b32 exec_lo, exec_lo, s27
	s_delay_alu instid0(VALU_DEP_1) | instskip(SKIP_1) | instid1(VALU_DEP_2)
	v_dual_lshlrev_b32 v49, 24, v56 :: v_dual_lshlrev_b32 v18, 20, v18
	v_lshl_add_u32 v48, v48, 23, 0x3c000000
	v_and_b32_e32 v49, 0x80000000, v49
	s_delay_alu instid0(VALU_DEP_1) | instskip(NEXT) | instid1(VALU_DEP_1)
	v_or3_b32 v18, v18, v49, v48
	v_mov_b64_e32 v[48:49], v[18:19]
.LBB169_611:                            ;   in Loop: Header=BB169_434 Depth=1
	s_or_b32 exec_lo, exec_lo, s25
.LBB169_612:                            ;   in Loop: Header=BB169_434 Depth=1
	s_delay_alu instid0(SALU_CYCLE_1)
	s_or_b32 exec_lo, exec_lo, s24
.LBB169_613:                            ;   in Loop: Header=BB169_434 Depth=1
	s_delay_alu instid0(SALU_CYCLE_1) | instskip(SKIP_2) | instid1(VALU_DEP_1)
	s_or_b32 exec_lo, exec_lo, s23
	v_lshrrev_b16 v18, 8, v56
	s_mov_b32 s23, exec_lo
	v_cmpx_ne_u16_e32 0, v18
	s_cbranch_execz .LBB169_621
; %bb.614:                              ;   in Loop: Header=BB169_434 Depth=1
	v_mov_b64_e32 v[46:47], 0x8000000000000000
	s_mov_b32 s24, exec_lo
	v_cmpx_ne_u16_e32 0x80, v18
	s_cbranch_execz .LBB169_620
; %bb.615:                              ;   in Loop: Header=BB169_434 Depth=1
	v_and_b32_e32 v18, 0xffff, v18
	v_mov_b64_e32 v[46:47], 0x7f80000100000000
	s_mov_b32 s25, exec_lo
	s_delay_alu instid0(VALU_DEP_2) | instskip(NEXT) | instid1(VALU_DEP_1)
	v_and_b32_e32 v52, 0x7f, v18
	v_cmpx_ne_u32_e32 0x7f, v52
	s_cbranch_execz .LBB169_619
; %bb.616:                              ;   in Loop: Header=BB169_434 Depth=1
	v_dual_lshrrev_b32 v46, 3, v52 :: v_dual_bitop2_b32 v18, 7, v18 bitop3:0x40
	s_mov_b32 s27, exec_lo
	v_cmpx_gt_u32_e32 8, v52
; %bb.617:                              ;   in Loop: Header=BB169_434 Depth=1
	s_delay_alu instid0(VALU_DEP_2) | instskip(NEXT) | instid1(VALU_DEP_1)
	v_clz_i32_u32_e32 v46, v18
	v_min_u32_e32 v46, 32, v46
	s_delay_alu instid0(VALU_DEP_1) | instskip(NEXT) | instid1(VALU_DEP_1)
	v_subrev_nc_u32_e32 v47, 28, v46
	v_lshlrev_b64_e32 v[52:53], v47, v[18:19]
	s_delay_alu instid0(VALU_DEP_1)
	v_dual_sub_nc_u32 v46, 29, v46 :: v_dual_bitop2_b32 v18, 7, v52 bitop3:0x40
; %bb.618:                              ;   in Loop: Header=BB169_434 Depth=1
	s_or_b32 exec_lo, exec_lo, s27
	s_delay_alu instid0(VALU_DEP_1) | instskip(NEXT) | instid1(VALU_DEP_2)
	v_dual_lshlrev_b32 v47, 16, v56 :: v_dual_lshlrev_b32 v18, 20, v18
	v_lshl_add_u32 v46, v46, 23, 0x3c000000
	s_delay_alu instid0(VALU_DEP_2) | instskip(NEXT) | instid1(VALU_DEP_1)
	v_and_b32_e32 v47, 0x80000000, v47
	v_or3_b32 v47, v18, v47, v46
	v_mov_b32_e32 v46, v19
.LBB169_619:                            ;   in Loop: Header=BB169_434 Depth=1
	s_or_b32 exec_lo, exec_lo, s25
.LBB169_620:                            ;   in Loop: Header=BB169_434 Depth=1
	s_delay_alu instid0(SALU_CYCLE_1)
	s_or_b32 exec_lo, exec_lo, s24
.LBB169_621:                            ;   in Loop: Header=BB169_434 Depth=1
	s_delay_alu instid0(SALU_CYCLE_1) | instskip(SKIP_4) | instid1(VALU_DEP_3)
	s_or_b32 exec_lo, exec_lo, s23
	v_lshrrev_b32_e32 v57, 16, v56
	v_mov_b64_e32 v[52:53], 0
	v_mov_b64_e32 v[54:55], 0
	s_mov_b32 s23, exec_lo
	v_and_b32_e32 v18, 0xff, v57
	s_delay_alu instid0(VALU_DEP_1)
	v_cmpx_ne_u16_e32 0, v18
	s_cbranch_execz .LBB169_629
; %bb.622:                              ;   in Loop: Header=BB169_434 Depth=1
	v_mov_b64_e32 v[54:55], 0x80000000
	s_mov_b32 s24, exec_lo
	v_cmpx_ne_u16_e32 0x80, v18
	s_cbranch_execz .LBB169_628
; %bb.623:                              ;   in Loop: Header=BB169_434 Depth=1
	v_mov_b64_e32 v[54:55], 0x7f800001
	v_bfe_u32 v58, v56, 16, 7
	s_mov_b32 s25, exec_lo
	s_delay_alu instid0(VALU_DEP_1)
	v_cmpx_ne_u32_e32 0x7f, v58
	s_cbranch_execz .LBB169_627
; %bb.624:                              ;   in Loop: Header=BB169_434 Depth=1
	v_dual_lshrrev_b32 v54, 3, v58 :: v_dual_bitop2_b32 v18, 7, v57 bitop3:0x40
	s_mov_b32 s27, exec_lo
	v_cmpx_gt_u32_e32 8, v58
; %bb.625:                              ;   in Loop: Header=BB169_434 Depth=1
	s_delay_alu instid0(VALU_DEP_2) | instskip(NEXT) | instid1(VALU_DEP_1)
	v_clz_i32_u32_e32 v54, v18
	v_min_u32_e32 v54, 32, v54
	s_delay_alu instid0(VALU_DEP_1) | instskip(SKIP_1) | instid1(VALU_DEP_2)
	v_subrev_nc_u32_e32 v55, 28, v54
	v_sub_nc_u32_e32 v54, 29, v54
	v_lshlrev_b64_e32 v[58:59], v55, v[18:19]
	s_delay_alu instid0(VALU_DEP_1)
	v_and_b32_e32 v18, 7, v58
; %bb.626:                              ;   in Loop: Header=BB169_434 Depth=1
	s_or_b32 exec_lo, exec_lo, s27
	s_delay_alu instid0(VALU_DEP_1) | instskip(SKIP_1) | instid1(VALU_DEP_2)
	v_dual_lshlrev_b32 v55, 24, v57 :: v_dual_lshlrev_b32 v18, 20, v18
	v_lshl_add_u32 v54, v54, 23, 0x3c000000
	v_and_b32_e32 v55, 0x80000000, v55
	s_delay_alu instid0(VALU_DEP_1) | instskip(NEXT) | instid1(VALU_DEP_1)
	v_or3_b32 v18, v18, v55, v54
	v_mov_b64_e32 v[54:55], v[18:19]
.LBB169_627:                            ;   in Loop: Header=BB169_434 Depth=1
	s_or_b32 exec_lo, exec_lo, s25
.LBB169_628:                            ;   in Loop: Header=BB169_434 Depth=1
	s_delay_alu instid0(SALU_CYCLE_1)
	s_or_b32 exec_lo, exec_lo, s24
.LBB169_629:                            ;   in Loop: Header=BB169_434 Depth=1
	s_delay_alu instid0(SALU_CYCLE_1) | instskip(NEXT) | instid1(SALU_CYCLE_1)
	s_or_b32 exec_lo, exec_lo, s23
	s_mov_b32 s23, exec_lo
	v_cmpx_lt_u32_e32 0xffffff, v56
	s_cbranch_execz .LBB169_637
; %bb.630:                              ;   in Loop: Header=BB169_434 Depth=1
	v_mov_b64_e32 v[52:53], 0x8000000000000000
	v_lshrrev_b32_e32 v57, 24, v56
	s_mov_b32 s24, exec_lo
	s_delay_alu instid0(VALU_DEP_1)
	v_cmpx_ne_u32_e32 0x80, v57
	s_cbranch_execz .LBB169_636
; %bb.631:                              ;   in Loop: Header=BB169_434 Depth=1
	v_mov_b64_e32 v[52:53], 0x7f80000100000000
	v_bfe_u32 v56, v56, 24, 7
	s_mov_b32 s25, exec_lo
	s_delay_alu instid0(VALU_DEP_1)
	v_cmpx_ne_u32_e32 0x7f, v56
	s_cbranch_execz .LBB169_635
; %bb.632:                              ;   in Loop: Header=BB169_434 Depth=1
	v_dual_lshrrev_b32 v52, 3, v56 :: v_dual_bitop2_b32 v18, 7, v57 bitop3:0x40
	s_mov_b32 s27, exec_lo
	v_cmpx_gt_u32_e32 8, v56
; %bb.633:                              ;   in Loop: Header=BB169_434 Depth=1
	s_delay_alu instid0(VALU_DEP_2) | instskip(NEXT) | instid1(VALU_DEP_1)
	v_clz_i32_u32_e32 v52, v18
	v_min_u32_e32 v52, 32, v52
	s_delay_alu instid0(VALU_DEP_1) | instskip(NEXT) | instid1(VALU_DEP_1)
	v_subrev_nc_u32_e32 v53, 28, v52
	v_lshlrev_b64_e32 v[58:59], v53, v[18:19]
	s_delay_alu instid0(VALU_DEP_1)
	v_dual_sub_nc_u32 v52, 29, v52 :: v_dual_bitop2_b32 v18, 7, v58 bitop3:0x40
; %bb.634:                              ;   in Loop: Header=BB169_434 Depth=1
	s_or_b32 exec_lo, exec_lo, s27
	s_delay_alu instid0(VALU_DEP_1) | instskip(NEXT) | instid1(VALU_DEP_2)
	v_dual_lshlrev_b32 v53, 24, v57 :: v_dual_lshlrev_b32 v18, 20, v18
	v_lshl_add_u32 v52, v52, 23, 0x3c000000
	s_delay_alu instid0(VALU_DEP_2) | instskip(NEXT) | instid1(VALU_DEP_1)
	v_and_b32_e32 v53, 0x80000000, v53
	v_or3_b32 v53, v18, v53, v52
	v_mov_b32_e32 v52, v19
.LBB169_635:                            ;   in Loop: Header=BB169_434 Depth=1
	s_or_b32 exec_lo, exec_lo, s25
.LBB169_636:                            ;   in Loop: Header=BB169_434 Depth=1
	s_delay_alu instid0(SALU_CYCLE_1)
	s_or_b32 exec_lo, exec_lo, s24
.LBB169_637:                            ;   in Loop: Header=BB169_434 Depth=1
	s_delay_alu instid0(SALU_CYCLE_1)
	s_or_b32 exec_lo, exec_lo, s23
	v_mov_b64_e32 v[56:57], s[8:9]
	v_or_b32_e32 v47, v47, v49
	v_or_b32_e32 v46, v46, v48
	;; [unrolled: 1-line block ×4, first 2 shown]
	s_delay_alu instid0(VALU_DEP_3) | instskip(NEXT) | instid1(VALU_DEP_2)
	v_pk_mul_f32 v[48:49], v[56:57], v[46:47]
	v_pk_mul_f32 v[46:47], v[56:57], v[52:53]
	s_and_saveexec_b32 s23, vcc_lo
	s_cbranch_execz .LBB169_639
; %bb.638:                              ;   in Loop: Header=BB169_434 Depth=1
	v_cmp_gt_i32_e64 s0, s35, v51
	s_delay_alu instid0(VALU_DEP_1) | instskip(SKIP_1) | instid1(VALU_DEP_1)
	v_cndmask_b32_e64 v48, 0, v48, s0
	v_cmp_gt_i32_e64 s0, s35, v84
	v_cndmask_b32_e64 v49, 0, v49, s0
	v_cmp_gt_i32_e64 s0, s35, v77
	s_delay_alu instid0(VALU_DEP_1) | instskip(SKIP_1) | instid1(VALU_DEP_1)
	v_cndmask_b32_e64 v46, 0, v46, s0
	v_cmp_gt_i32_e64 s0, s35, v76
	v_cndmask_b32_e64 v47, 0, v47, s0
.LBB169_639:                            ;   in Loop: Header=BB169_434 Depth=1
	s_or_b32 exec_lo, exec_lo, s23
	global_load_b32 v60, v[28:29], off offset:768
	v_mov_b64_e32 v[52:53], 0
	v_mov_b64_e32 v[54:55], 0
	s_mov_b32 s23, exec_lo
	s_wait_loadcnt 0x0
	v_and_b32_e32 v18, 0xff, v60
	s_delay_alu instid0(VALU_DEP_1)
	v_cmpx_ne_u16_e32 0, v18
	s_cbranch_execz .LBB169_647
; %bb.640:                              ;   in Loop: Header=BB169_434 Depth=1
	v_mov_b64_e32 v[54:55], 0x80000000
	s_mov_b32 s24, exec_lo
	v_cmpx_ne_u16_e32 0x80, v18
	s_cbranch_execz .LBB169_646
; %bb.641:                              ;   in Loop: Header=BB169_434 Depth=1
	v_mov_b64_e32 v[54:55], 0x7f800001
	v_and_b32_e32 v56, 0x7f, v60
	s_mov_b32 s25, exec_lo
	s_delay_alu instid0(VALU_DEP_1)
	v_cmpx_ne_u32_e32 0x7f, v56
	s_cbranch_execz .LBB169_645
; %bb.642:                              ;   in Loop: Header=BB169_434 Depth=1
	v_and_b32_e32 v18, 7, v60
	v_lshrrev_b32_e32 v54, 3, v56
	s_mov_b32 s27, exec_lo
	v_cmpx_gt_u32_e32 8, v56
; %bb.643:                              ;   in Loop: Header=BB169_434 Depth=1
	s_delay_alu instid0(VALU_DEP_3) | instskip(NEXT) | instid1(VALU_DEP_1)
	v_clz_i32_u32_e32 v54, v18
	v_min_u32_e32 v54, 32, v54
	s_delay_alu instid0(VALU_DEP_1) | instskip(NEXT) | instid1(VALU_DEP_1)
	v_subrev_nc_u32_e32 v55, 28, v54
	v_lshlrev_b64_e32 v[56:57], v55, v[18:19]
	s_delay_alu instid0(VALU_DEP_1)
	v_dual_sub_nc_u32 v54, 29, v54 :: v_dual_bitop2_b32 v18, 7, v56 bitop3:0x40
; %bb.644:                              ;   in Loop: Header=BB169_434 Depth=1
	s_or_b32 exec_lo, exec_lo, s27
	s_delay_alu instid0(VALU_DEP_1) | instskip(NEXT) | instid1(VALU_DEP_2)
	v_dual_lshlrev_b32 v55, 24, v60 :: v_dual_lshlrev_b32 v18, 20, v18
	v_lshl_add_u32 v54, v54, 23, 0x3c000000
	s_delay_alu instid0(VALU_DEP_2) | instskip(NEXT) | instid1(VALU_DEP_1)
	v_and_b32_e32 v55, 0x80000000, v55
	v_or3_b32 v18, v18, v55, v54
	s_delay_alu instid0(VALU_DEP_1)
	v_mov_b64_e32 v[54:55], v[18:19]
.LBB169_645:                            ;   in Loop: Header=BB169_434 Depth=1
	s_or_b32 exec_lo, exec_lo, s25
.LBB169_646:                            ;   in Loop: Header=BB169_434 Depth=1
	s_delay_alu instid0(SALU_CYCLE_1)
	s_or_b32 exec_lo, exec_lo, s24
.LBB169_647:                            ;   in Loop: Header=BB169_434 Depth=1
	s_delay_alu instid0(SALU_CYCLE_1) | instskip(SKIP_2) | instid1(VALU_DEP_1)
	s_or_b32 exec_lo, exec_lo, s23
	v_lshrrev_b16 v18, 8, v60
	s_mov_b32 s23, exec_lo
	v_cmpx_ne_u16_e32 0, v18
	s_cbranch_execz .LBB169_655
; %bb.648:                              ;   in Loop: Header=BB169_434 Depth=1
	v_mov_b64_e32 v[52:53], 0x8000000000000000
	s_mov_b32 s24, exec_lo
	v_cmpx_ne_u16_e32 0x80, v18
	s_cbranch_execz .LBB169_654
; %bb.649:                              ;   in Loop: Header=BB169_434 Depth=1
	v_and_b32_e32 v18, 0xffff, v18
	v_mov_b64_e32 v[52:53], 0x7f80000100000000
	s_mov_b32 s25, exec_lo
	s_delay_alu instid0(VALU_DEP_2) | instskip(NEXT) | instid1(VALU_DEP_1)
	v_and_b32_e32 v56, 0x7f, v18
	v_cmpx_ne_u32_e32 0x7f, v56
	s_cbranch_execz .LBB169_653
; %bb.650:                              ;   in Loop: Header=BB169_434 Depth=1
	v_dual_lshrrev_b32 v52, 3, v56 :: v_dual_bitop2_b32 v18, 7, v18 bitop3:0x40
	s_mov_b32 s27, exec_lo
	v_cmpx_gt_u32_e32 8, v56
; %bb.651:                              ;   in Loop: Header=BB169_434 Depth=1
	s_delay_alu instid0(VALU_DEP_2) | instskip(NEXT) | instid1(VALU_DEP_1)
	v_clz_i32_u32_e32 v52, v18
	v_min_u32_e32 v52, 32, v52
	s_delay_alu instid0(VALU_DEP_1) | instskip(SKIP_1) | instid1(VALU_DEP_2)
	v_subrev_nc_u32_e32 v53, 28, v52
	v_sub_nc_u32_e32 v52, 29, v52
	v_lshlrev_b64_e32 v[56:57], v53, v[18:19]
	s_delay_alu instid0(VALU_DEP_1)
	v_and_b32_e32 v18, 7, v56
; %bb.652:                              ;   in Loop: Header=BB169_434 Depth=1
	s_or_b32 exec_lo, exec_lo, s27
	s_delay_alu instid0(VALU_DEP_1) | instskip(SKIP_1) | instid1(VALU_DEP_2)
	v_dual_lshlrev_b32 v53, 16, v60 :: v_dual_lshlrev_b32 v18, 20, v18
	v_lshl_add_u32 v52, v52, 23, 0x3c000000
	v_and_b32_e32 v53, 0x80000000, v53
	s_delay_alu instid0(VALU_DEP_1)
	v_or3_b32 v53, v18, v53, v52
	v_mov_b32_e32 v52, v19
.LBB169_653:                            ;   in Loop: Header=BB169_434 Depth=1
	s_or_b32 exec_lo, exec_lo, s25
.LBB169_654:                            ;   in Loop: Header=BB169_434 Depth=1
	s_delay_alu instid0(SALU_CYCLE_1)
	s_or_b32 exec_lo, exec_lo, s24
.LBB169_655:                            ;   in Loop: Header=BB169_434 Depth=1
	s_delay_alu instid0(SALU_CYCLE_1) | instskip(SKIP_4) | instid1(VALU_DEP_3)
	s_or_b32 exec_lo, exec_lo, s23
	v_lshrrev_b32_e32 v61, 16, v60
	v_mov_b64_e32 v[56:57], 0
	v_mov_b64_e32 v[58:59], 0
	s_mov_b32 s23, exec_lo
	v_and_b32_e32 v18, 0xff, v61
	s_delay_alu instid0(VALU_DEP_1)
	v_cmpx_ne_u16_e32 0, v18
	s_cbranch_execz .LBB169_663
; %bb.656:                              ;   in Loop: Header=BB169_434 Depth=1
	v_mov_b64_e32 v[58:59], 0x80000000
	s_mov_b32 s24, exec_lo
	v_cmpx_ne_u16_e32 0x80, v18
	s_cbranch_execz .LBB169_662
; %bb.657:                              ;   in Loop: Header=BB169_434 Depth=1
	v_mov_b64_e32 v[58:59], 0x7f800001
	v_bfe_u32 v62, v60, 16, 7
	s_mov_b32 s25, exec_lo
	s_delay_alu instid0(VALU_DEP_1)
	v_cmpx_ne_u32_e32 0x7f, v62
	s_cbranch_execz .LBB169_661
; %bb.658:                              ;   in Loop: Header=BB169_434 Depth=1
	v_dual_lshrrev_b32 v58, 3, v62 :: v_dual_bitop2_b32 v18, 7, v61 bitop3:0x40
	s_mov_b32 s27, exec_lo
	v_cmpx_gt_u32_e32 8, v62
; %bb.659:                              ;   in Loop: Header=BB169_434 Depth=1
	s_delay_alu instid0(VALU_DEP_2) | instskip(NEXT) | instid1(VALU_DEP_1)
	v_clz_i32_u32_e32 v58, v18
	v_min_u32_e32 v58, 32, v58
	s_delay_alu instid0(VALU_DEP_1) | instskip(SKIP_1) | instid1(VALU_DEP_2)
	v_subrev_nc_u32_e32 v59, 28, v58
	v_sub_nc_u32_e32 v58, 29, v58
	v_lshlrev_b64_e32 v[62:63], v59, v[18:19]
	s_delay_alu instid0(VALU_DEP_1)
	v_and_b32_e32 v18, 7, v62
; %bb.660:                              ;   in Loop: Header=BB169_434 Depth=1
	s_or_b32 exec_lo, exec_lo, s27
	s_delay_alu instid0(VALU_DEP_1) | instskip(SKIP_1) | instid1(VALU_DEP_2)
	v_dual_lshlrev_b32 v59, 24, v61 :: v_dual_lshlrev_b32 v18, 20, v18
	v_lshl_add_u32 v58, v58, 23, 0x3c000000
	v_and_b32_e32 v59, 0x80000000, v59
	s_delay_alu instid0(VALU_DEP_1) | instskip(NEXT) | instid1(VALU_DEP_1)
	v_or3_b32 v18, v18, v59, v58
	v_mov_b64_e32 v[58:59], v[18:19]
.LBB169_661:                            ;   in Loop: Header=BB169_434 Depth=1
	s_or_b32 exec_lo, exec_lo, s25
.LBB169_662:                            ;   in Loop: Header=BB169_434 Depth=1
	s_delay_alu instid0(SALU_CYCLE_1)
	s_or_b32 exec_lo, exec_lo, s24
.LBB169_663:                            ;   in Loop: Header=BB169_434 Depth=1
	s_delay_alu instid0(SALU_CYCLE_1) | instskip(NEXT) | instid1(SALU_CYCLE_1)
	s_or_b32 exec_lo, exec_lo, s23
	s_mov_b32 s23, exec_lo
	v_cmpx_lt_u32_e32 0xffffff, v60
	s_cbranch_execz .LBB169_671
; %bb.664:                              ;   in Loop: Header=BB169_434 Depth=1
	v_mov_b64_e32 v[56:57], 0x8000000000000000
	v_lshrrev_b32_e32 v61, 24, v60
	s_mov_b32 s24, exec_lo
	s_delay_alu instid0(VALU_DEP_1)
	v_cmpx_ne_u32_e32 0x80, v61
	s_cbranch_execz .LBB169_670
; %bb.665:                              ;   in Loop: Header=BB169_434 Depth=1
	v_mov_b64_e32 v[56:57], 0x7f80000100000000
	v_bfe_u32 v60, v60, 24, 7
	s_mov_b32 s25, exec_lo
	s_delay_alu instid0(VALU_DEP_1)
	v_cmpx_ne_u32_e32 0x7f, v60
	s_cbranch_execz .LBB169_669
; %bb.666:                              ;   in Loop: Header=BB169_434 Depth=1
	v_dual_lshrrev_b32 v56, 3, v60 :: v_dual_bitop2_b32 v18, 7, v61 bitop3:0x40
	s_mov_b32 s27, exec_lo
	v_cmpx_gt_u32_e32 8, v60
; %bb.667:                              ;   in Loop: Header=BB169_434 Depth=1
	s_delay_alu instid0(VALU_DEP_2) | instskip(NEXT) | instid1(VALU_DEP_1)
	v_clz_i32_u32_e32 v56, v18
	v_min_u32_e32 v56, 32, v56
	s_delay_alu instid0(VALU_DEP_1) | instskip(NEXT) | instid1(VALU_DEP_1)
	v_subrev_nc_u32_e32 v57, 28, v56
	v_lshlrev_b64_e32 v[62:63], v57, v[18:19]
	s_delay_alu instid0(VALU_DEP_1)
	v_dual_sub_nc_u32 v56, 29, v56 :: v_dual_bitop2_b32 v18, 7, v62 bitop3:0x40
; %bb.668:                              ;   in Loop: Header=BB169_434 Depth=1
	s_or_b32 exec_lo, exec_lo, s27
	s_delay_alu instid0(VALU_DEP_1) | instskip(NEXT) | instid1(VALU_DEP_2)
	v_dual_lshlrev_b32 v57, 24, v61 :: v_dual_lshlrev_b32 v18, 20, v18
	v_lshl_add_u32 v56, v56, 23, 0x3c000000
	s_delay_alu instid0(VALU_DEP_2) | instskip(NEXT) | instid1(VALU_DEP_1)
	v_and_b32_e32 v57, 0x80000000, v57
	v_or3_b32 v57, v18, v57, v56
	v_mov_b32_e32 v56, v19
.LBB169_669:                            ;   in Loop: Header=BB169_434 Depth=1
	s_or_b32 exec_lo, exec_lo, s25
.LBB169_670:                            ;   in Loop: Header=BB169_434 Depth=1
	s_delay_alu instid0(SALU_CYCLE_1)
	s_or_b32 exec_lo, exec_lo, s24
.LBB169_671:                            ;   in Loop: Header=BB169_434 Depth=1
	s_delay_alu instid0(SALU_CYCLE_1)
	s_or_b32 exec_lo, exec_lo, s23
	v_mov_b64_e32 v[60:61], s[8:9]
	v_or_b32_e32 v53, v53, v55
	v_or_b32_e32 v52, v52, v54
	;; [unrolled: 1-line block ×4, first 2 shown]
	s_delay_alu instid0(VALU_DEP_3) | instskip(NEXT) | instid1(VALU_DEP_2)
	v_pk_mul_f32 v[54:55], v[60:61], v[52:53]
	v_pk_mul_f32 v[52:53], v[60:61], v[56:57]
	s_and_saveexec_b32 s23, vcc_lo
	s_cbranch_execz .LBB169_673
; %bb.672:                              ;   in Loop: Header=BB169_434 Depth=1
	v_cmp_gt_i32_e64 s0, s35, v51
	s_delay_alu instid0(VALU_DEP_1) | instskip(SKIP_1) | instid1(VALU_DEP_1)
	v_cndmask_b32_e64 v54, 0, v54, s0
	v_cmp_gt_i32_e64 s0, s35, v84
	v_cndmask_b32_e64 v55, 0, v55, s0
	v_cmp_gt_i32_e64 s0, s35, v77
	s_delay_alu instid0(VALU_DEP_1) | instskip(SKIP_1) | instid1(VALU_DEP_1)
	v_cndmask_b32_e64 v52, 0, v52, s0
	v_cmp_gt_i32_e64 s0, s35, v76
	v_cndmask_b32_e64 v53, 0, v53, s0
.LBB169_673:                            ;   in Loop: Header=BB169_434 Depth=1
	s_or_b32 exec_lo, exec_lo, s23
	global_load_b32 v64, v[28:29], off offset:896
	v_mov_b64_e32 v[56:57], 0
	v_mov_b64_e32 v[58:59], 0
	s_mov_b32 s23, exec_lo
	s_wait_loadcnt 0x0
	v_and_b32_e32 v18, 0xff, v64
	s_delay_alu instid0(VALU_DEP_1)
	v_cmpx_ne_u16_e32 0, v18
	s_cbranch_execz .LBB169_681
; %bb.674:                              ;   in Loop: Header=BB169_434 Depth=1
	v_mov_b64_e32 v[58:59], 0x80000000
	s_mov_b32 s24, exec_lo
	v_cmpx_ne_u16_e32 0x80, v18
	s_cbranch_execz .LBB169_680
; %bb.675:                              ;   in Loop: Header=BB169_434 Depth=1
	v_mov_b64_e32 v[58:59], 0x7f800001
	v_and_b32_e32 v60, 0x7f, v64
	s_mov_b32 s25, exec_lo
	s_delay_alu instid0(VALU_DEP_1)
	v_cmpx_ne_u32_e32 0x7f, v60
	s_cbranch_execz .LBB169_679
; %bb.676:                              ;   in Loop: Header=BB169_434 Depth=1
	v_and_b32_e32 v18, 7, v64
	v_lshrrev_b32_e32 v58, 3, v60
	s_mov_b32 s27, exec_lo
	v_cmpx_gt_u32_e32 8, v60
; %bb.677:                              ;   in Loop: Header=BB169_434 Depth=1
	s_delay_alu instid0(VALU_DEP_3) | instskip(NEXT) | instid1(VALU_DEP_1)
	v_clz_i32_u32_e32 v58, v18
	v_min_u32_e32 v58, 32, v58
	s_delay_alu instid0(VALU_DEP_1) | instskip(NEXT) | instid1(VALU_DEP_1)
	v_subrev_nc_u32_e32 v59, 28, v58
	v_lshlrev_b64_e32 v[60:61], v59, v[18:19]
	s_delay_alu instid0(VALU_DEP_1)
	v_dual_sub_nc_u32 v58, 29, v58 :: v_dual_bitop2_b32 v18, 7, v60 bitop3:0x40
; %bb.678:                              ;   in Loop: Header=BB169_434 Depth=1
	s_or_b32 exec_lo, exec_lo, s27
	s_delay_alu instid0(VALU_DEP_1) | instskip(NEXT) | instid1(VALU_DEP_2)
	v_dual_lshlrev_b32 v59, 24, v64 :: v_dual_lshlrev_b32 v18, 20, v18
	v_lshl_add_u32 v58, v58, 23, 0x3c000000
	s_delay_alu instid0(VALU_DEP_2) | instskip(NEXT) | instid1(VALU_DEP_1)
	v_and_b32_e32 v59, 0x80000000, v59
	v_or3_b32 v18, v18, v59, v58
	s_delay_alu instid0(VALU_DEP_1)
	v_mov_b64_e32 v[58:59], v[18:19]
.LBB169_679:                            ;   in Loop: Header=BB169_434 Depth=1
	s_or_b32 exec_lo, exec_lo, s25
.LBB169_680:                            ;   in Loop: Header=BB169_434 Depth=1
	s_delay_alu instid0(SALU_CYCLE_1)
	s_or_b32 exec_lo, exec_lo, s24
.LBB169_681:                            ;   in Loop: Header=BB169_434 Depth=1
	s_delay_alu instid0(SALU_CYCLE_1) | instskip(SKIP_2) | instid1(VALU_DEP_1)
	s_or_b32 exec_lo, exec_lo, s23
	v_lshrrev_b16 v18, 8, v64
	s_mov_b32 s23, exec_lo
	v_cmpx_ne_u16_e32 0, v18
	s_cbranch_execz .LBB169_689
; %bb.682:                              ;   in Loop: Header=BB169_434 Depth=1
	v_mov_b64_e32 v[56:57], 0x8000000000000000
	s_mov_b32 s24, exec_lo
	v_cmpx_ne_u16_e32 0x80, v18
	s_cbranch_execz .LBB169_688
; %bb.683:                              ;   in Loop: Header=BB169_434 Depth=1
	v_and_b32_e32 v18, 0xffff, v18
	v_mov_b64_e32 v[56:57], 0x7f80000100000000
	s_mov_b32 s25, exec_lo
	s_delay_alu instid0(VALU_DEP_2) | instskip(NEXT) | instid1(VALU_DEP_1)
	v_and_b32_e32 v60, 0x7f, v18
	v_cmpx_ne_u32_e32 0x7f, v60
	s_cbranch_execz .LBB169_687
; %bb.684:                              ;   in Loop: Header=BB169_434 Depth=1
	v_dual_lshrrev_b32 v56, 3, v60 :: v_dual_bitop2_b32 v18, 7, v18 bitop3:0x40
	s_mov_b32 s27, exec_lo
	v_cmpx_gt_u32_e32 8, v60
; %bb.685:                              ;   in Loop: Header=BB169_434 Depth=1
	s_delay_alu instid0(VALU_DEP_2) | instskip(NEXT) | instid1(VALU_DEP_1)
	v_clz_i32_u32_e32 v56, v18
	v_min_u32_e32 v56, 32, v56
	s_delay_alu instid0(VALU_DEP_1) | instskip(SKIP_1) | instid1(VALU_DEP_2)
	v_subrev_nc_u32_e32 v57, 28, v56
	v_sub_nc_u32_e32 v56, 29, v56
	v_lshlrev_b64_e32 v[60:61], v57, v[18:19]
	s_delay_alu instid0(VALU_DEP_1)
	v_and_b32_e32 v18, 7, v60
; %bb.686:                              ;   in Loop: Header=BB169_434 Depth=1
	s_or_b32 exec_lo, exec_lo, s27
	s_delay_alu instid0(VALU_DEP_1) | instskip(SKIP_1) | instid1(VALU_DEP_2)
	v_dual_lshlrev_b32 v57, 16, v64 :: v_dual_lshlrev_b32 v18, 20, v18
	v_lshl_add_u32 v56, v56, 23, 0x3c000000
	v_and_b32_e32 v57, 0x80000000, v57
	s_delay_alu instid0(VALU_DEP_1)
	v_or3_b32 v57, v18, v57, v56
	v_mov_b32_e32 v56, v19
.LBB169_687:                            ;   in Loop: Header=BB169_434 Depth=1
	s_or_b32 exec_lo, exec_lo, s25
.LBB169_688:                            ;   in Loop: Header=BB169_434 Depth=1
	s_delay_alu instid0(SALU_CYCLE_1)
	s_or_b32 exec_lo, exec_lo, s24
.LBB169_689:                            ;   in Loop: Header=BB169_434 Depth=1
	s_delay_alu instid0(SALU_CYCLE_1) | instskip(SKIP_4) | instid1(VALU_DEP_3)
	s_or_b32 exec_lo, exec_lo, s23
	v_lshrrev_b32_e32 v65, 16, v64
	v_mov_b64_e32 v[60:61], 0
	v_mov_b64_e32 v[62:63], 0
	s_mov_b32 s23, exec_lo
	v_and_b32_e32 v18, 0xff, v65
	s_delay_alu instid0(VALU_DEP_1)
	v_cmpx_ne_u16_e32 0, v18
	s_cbranch_execz .LBB169_697
; %bb.690:                              ;   in Loop: Header=BB169_434 Depth=1
	v_mov_b64_e32 v[62:63], 0x80000000
	s_mov_b32 s24, exec_lo
	v_cmpx_ne_u16_e32 0x80, v18
	s_cbranch_execz .LBB169_696
; %bb.691:                              ;   in Loop: Header=BB169_434 Depth=1
	v_mov_b64_e32 v[62:63], 0x7f800001
	v_bfe_u32 v66, v64, 16, 7
	s_mov_b32 s25, exec_lo
	s_delay_alu instid0(VALU_DEP_1)
	v_cmpx_ne_u32_e32 0x7f, v66
	s_cbranch_execz .LBB169_695
; %bb.692:                              ;   in Loop: Header=BB169_434 Depth=1
	v_dual_lshrrev_b32 v62, 3, v66 :: v_dual_bitop2_b32 v18, 7, v65 bitop3:0x40
	s_mov_b32 s27, exec_lo
	v_cmpx_gt_u32_e32 8, v66
; %bb.693:                              ;   in Loop: Header=BB169_434 Depth=1
	s_delay_alu instid0(VALU_DEP_2) | instskip(NEXT) | instid1(VALU_DEP_1)
	v_clz_i32_u32_e32 v62, v18
	v_min_u32_e32 v62, 32, v62
	s_delay_alu instid0(VALU_DEP_1) | instskip(SKIP_1) | instid1(VALU_DEP_2)
	v_subrev_nc_u32_e32 v63, 28, v62
	v_sub_nc_u32_e32 v62, 29, v62
	v_lshlrev_b64_e32 v[66:67], v63, v[18:19]
	s_delay_alu instid0(VALU_DEP_1)
	v_and_b32_e32 v18, 7, v66
; %bb.694:                              ;   in Loop: Header=BB169_434 Depth=1
	s_or_b32 exec_lo, exec_lo, s27
	s_delay_alu instid0(VALU_DEP_1) | instskip(SKIP_1) | instid1(VALU_DEP_2)
	v_dual_lshlrev_b32 v63, 24, v65 :: v_dual_lshlrev_b32 v18, 20, v18
	v_lshl_add_u32 v62, v62, 23, 0x3c000000
	v_and_b32_e32 v63, 0x80000000, v63
	s_delay_alu instid0(VALU_DEP_1) | instskip(NEXT) | instid1(VALU_DEP_1)
	v_or3_b32 v18, v18, v63, v62
	v_mov_b64_e32 v[62:63], v[18:19]
.LBB169_695:                            ;   in Loop: Header=BB169_434 Depth=1
	s_or_b32 exec_lo, exec_lo, s25
.LBB169_696:                            ;   in Loop: Header=BB169_434 Depth=1
	s_delay_alu instid0(SALU_CYCLE_1)
	s_or_b32 exec_lo, exec_lo, s24
.LBB169_697:                            ;   in Loop: Header=BB169_434 Depth=1
	s_delay_alu instid0(SALU_CYCLE_1) | instskip(NEXT) | instid1(SALU_CYCLE_1)
	s_or_b32 exec_lo, exec_lo, s23
	s_mov_b32 s23, exec_lo
	v_cmpx_lt_u32_e32 0xffffff, v64
	s_cbranch_execz .LBB169_705
; %bb.698:                              ;   in Loop: Header=BB169_434 Depth=1
	v_mov_b64_e32 v[60:61], 0x8000000000000000
	v_lshrrev_b32_e32 v65, 24, v64
	s_mov_b32 s24, exec_lo
	s_delay_alu instid0(VALU_DEP_1)
	v_cmpx_ne_u32_e32 0x80, v65
	s_cbranch_execz .LBB169_704
; %bb.699:                              ;   in Loop: Header=BB169_434 Depth=1
	v_mov_b64_e32 v[60:61], 0x7f80000100000000
	v_bfe_u32 v64, v64, 24, 7
	s_mov_b32 s25, exec_lo
	s_delay_alu instid0(VALU_DEP_1)
	v_cmpx_ne_u32_e32 0x7f, v64
	s_cbranch_execz .LBB169_703
; %bb.700:                              ;   in Loop: Header=BB169_434 Depth=1
	v_dual_lshrrev_b32 v60, 3, v64 :: v_dual_bitop2_b32 v18, 7, v65 bitop3:0x40
	s_mov_b32 s27, exec_lo
	v_cmpx_gt_u32_e32 8, v64
; %bb.701:                              ;   in Loop: Header=BB169_434 Depth=1
	s_delay_alu instid0(VALU_DEP_2) | instskip(NEXT) | instid1(VALU_DEP_1)
	v_clz_i32_u32_e32 v60, v18
	v_min_u32_e32 v60, 32, v60
	s_delay_alu instid0(VALU_DEP_1) | instskip(NEXT) | instid1(VALU_DEP_1)
	v_subrev_nc_u32_e32 v61, 28, v60
	v_lshlrev_b64_e32 v[66:67], v61, v[18:19]
	s_delay_alu instid0(VALU_DEP_1)
	v_dual_sub_nc_u32 v60, 29, v60 :: v_dual_bitop2_b32 v18, 7, v66 bitop3:0x40
; %bb.702:                              ;   in Loop: Header=BB169_434 Depth=1
	s_or_b32 exec_lo, exec_lo, s27
	s_delay_alu instid0(VALU_DEP_1) | instskip(NEXT) | instid1(VALU_DEP_2)
	v_dual_lshlrev_b32 v61, 24, v65 :: v_dual_lshlrev_b32 v18, 20, v18
	v_lshl_add_u32 v60, v60, 23, 0x3c000000
	s_delay_alu instid0(VALU_DEP_2) | instskip(NEXT) | instid1(VALU_DEP_1)
	v_and_b32_e32 v61, 0x80000000, v61
	v_or3_b32 v61, v18, v61, v60
	v_mov_b32_e32 v60, v19
.LBB169_703:                            ;   in Loop: Header=BB169_434 Depth=1
	s_or_b32 exec_lo, exec_lo, s25
.LBB169_704:                            ;   in Loop: Header=BB169_434 Depth=1
	s_delay_alu instid0(SALU_CYCLE_1)
	s_or_b32 exec_lo, exec_lo, s24
.LBB169_705:                            ;   in Loop: Header=BB169_434 Depth=1
	s_delay_alu instid0(SALU_CYCLE_1)
	s_or_b32 exec_lo, exec_lo, s23
	v_mov_b64_e32 v[64:65], s[8:9]
	v_or_b32_e32 v57, v57, v59
	v_or_b32_e32 v56, v56, v58
	v_or_b32_e32 v61, v61, v63
	v_or_b32_e32 v60, v60, v62
	s_delay_alu instid0(VALU_DEP_3) | instskip(NEXT) | instid1(VALU_DEP_2)
	v_pk_mul_f32 v[58:59], v[64:65], v[56:57]
	v_pk_mul_f32 v[56:57], v[64:65], v[60:61]
	s_and_saveexec_b32 s23, vcc_lo
	s_cbranch_execz .LBB169_707
; %bb.706:                              ;   in Loop: Header=BB169_434 Depth=1
	v_cmp_gt_i32_e64 s0, s35, v51
	s_delay_alu instid0(VALU_DEP_1) | instskip(SKIP_1) | instid1(VALU_DEP_1)
	v_cndmask_b32_e64 v58, 0, v58, s0
	v_cmp_gt_i32_e64 s0, s35, v84
	v_cndmask_b32_e64 v59, 0, v59, s0
	v_cmp_gt_i32_e64 s0, s35, v77
	s_delay_alu instid0(VALU_DEP_1) | instskip(SKIP_1) | instid1(VALU_DEP_1)
	v_cndmask_b32_e64 v56, 0, v56, s0
	v_cmp_gt_i32_e64 s0, s35, v76
	v_cndmask_b32_e64 v57, 0, v57, s0
.LBB169_707:                            ;   in Loop: Header=BB169_434 Depth=1
	s_or_b32 exec_lo, exec_lo, s23
	global_load_b32 v68, v[28:29], off offset:1024
	v_mov_b64_e32 v[60:61], 0
	v_mov_b64_e32 v[62:63], 0
	s_mov_b32 s23, exec_lo
	s_wait_loadcnt 0x0
	v_and_b32_e32 v18, 0xff, v68
	s_delay_alu instid0(VALU_DEP_1)
	v_cmpx_ne_u16_e32 0, v18
	s_cbranch_execz .LBB169_715
; %bb.708:                              ;   in Loop: Header=BB169_434 Depth=1
	v_mov_b64_e32 v[62:63], 0x80000000
	s_mov_b32 s24, exec_lo
	v_cmpx_ne_u16_e32 0x80, v18
	s_cbranch_execz .LBB169_714
; %bb.709:                              ;   in Loop: Header=BB169_434 Depth=1
	v_mov_b64_e32 v[62:63], 0x7f800001
	v_and_b32_e32 v64, 0x7f, v68
	s_mov_b32 s25, exec_lo
	s_delay_alu instid0(VALU_DEP_1)
	v_cmpx_ne_u32_e32 0x7f, v64
	s_cbranch_execz .LBB169_713
; %bb.710:                              ;   in Loop: Header=BB169_434 Depth=1
	v_and_b32_e32 v18, 7, v68
	v_lshrrev_b32_e32 v62, 3, v64
	s_mov_b32 s27, exec_lo
	v_cmpx_gt_u32_e32 8, v64
; %bb.711:                              ;   in Loop: Header=BB169_434 Depth=1
	s_delay_alu instid0(VALU_DEP_3) | instskip(NEXT) | instid1(VALU_DEP_1)
	v_clz_i32_u32_e32 v62, v18
	v_min_u32_e32 v62, 32, v62
	s_delay_alu instid0(VALU_DEP_1) | instskip(NEXT) | instid1(VALU_DEP_1)
	v_subrev_nc_u32_e32 v63, 28, v62
	v_lshlrev_b64_e32 v[64:65], v63, v[18:19]
	s_delay_alu instid0(VALU_DEP_1)
	v_dual_sub_nc_u32 v62, 29, v62 :: v_dual_bitop2_b32 v18, 7, v64 bitop3:0x40
; %bb.712:                              ;   in Loop: Header=BB169_434 Depth=1
	s_or_b32 exec_lo, exec_lo, s27
	s_delay_alu instid0(VALU_DEP_1) | instskip(NEXT) | instid1(VALU_DEP_2)
	v_dual_lshlrev_b32 v63, 24, v68 :: v_dual_lshlrev_b32 v18, 20, v18
	v_lshl_add_u32 v62, v62, 23, 0x3c000000
	s_delay_alu instid0(VALU_DEP_2) | instskip(NEXT) | instid1(VALU_DEP_1)
	v_and_b32_e32 v63, 0x80000000, v63
	v_or3_b32 v18, v18, v63, v62
	s_delay_alu instid0(VALU_DEP_1)
	v_mov_b64_e32 v[62:63], v[18:19]
.LBB169_713:                            ;   in Loop: Header=BB169_434 Depth=1
	s_or_b32 exec_lo, exec_lo, s25
.LBB169_714:                            ;   in Loop: Header=BB169_434 Depth=1
	s_delay_alu instid0(SALU_CYCLE_1)
	s_or_b32 exec_lo, exec_lo, s24
.LBB169_715:                            ;   in Loop: Header=BB169_434 Depth=1
	s_delay_alu instid0(SALU_CYCLE_1) | instskip(SKIP_2) | instid1(VALU_DEP_1)
	s_or_b32 exec_lo, exec_lo, s23
	v_lshrrev_b16 v18, 8, v68
	s_mov_b32 s23, exec_lo
	v_cmpx_ne_u16_e32 0, v18
	s_cbranch_execz .LBB169_723
; %bb.716:                              ;   in Loop: Header=BB169_434 Depth=1
	v_mov_b64_e32 v[60:61], 0x8000000000000000
	s_mov_b32 s24, exec_lo
	v_cmpx_ne_u16_e32 0x80, v18
	s_cbranch_execz .LBB169_722
; %bb.717:                              ;   in Loop: Header=BB169_434 Depth=1
	v_and_b32_e32 v18, 0xffff, v18
	v_mov_b64_e32 v[60:61], 0x7f80000100000000
	s_mov_b32 s25, exec_lo
	s_delay_alu instid0(VALU_DEP_2) | instskip(NEXT) | instid1(VALU_DEP_1)
	v_and_b32_e32 v64, 0x7f, v18
	v_cmpx_ne_u32_e32 0x7f, v64
	s_cbranch_execz .LBB169_721
; %bb.718:                              ;   in Loop: Header=BB169_434 Depth=1
	v_dual_lshrrev_b32 v60, 3, v64 :: v_dual_bitop2_b32 v18, 7, v18 bitop3:0x40
	s_mov_b32 s27, exec_lo
	v_cmpx_gt_u32_e32 8, v64
; %bb.719:                              ;   in Loop: Header=BB169_434 Depth=1
	s_delay_alu instid0(VALU_DEP_2) | instskip(NEXT) | instid1(VALU_DEP_1)
	v_clz_i32_u32_e32 v60, v18
	v_min_u32_e32 v60, 32, v60
	s_delay_alu instid0(VALU_DEP_1) | instskip(SKIP_1) | instid1(VALU_DEP_2)
	v_subrev_nc_u32_e32 v61, 28, v60
	v_sub_nc_u32_e32 v60, 29, v60
	v_lshlrev_b64_e32 v[64:65], v61, v[18:19]
	s_delay_alu instid0(VALU_DEP_1)
	v_and_b32_e32 v18, 7, v64
; %bb.720:                              ;   in Loop: Header=BB169_434 Depth=1
	s_or_b32 exec_lo, exec_lo, s27
	s_delay_alu instid0(VALU_DEP_1) | instskip(SKIP_1) | instid1(VALU_DEP_2)
	v_dual_lshlrev_b32 v61, 16, v68 :: v_dual_lshlrev_b32 v18, 20, v18
	v_lshl_add_u32 v60, v60, 23, 0x3c000000
	v_and_b32_e32 v61, 0x80000000, v61
	s_delay_alu instid0(VALU_DEP_1)
	v_or3_b32 v61, v18, v61, v60
	v_mov_b32_e32 v60, v19
.LBB169_721:                            ;   in Loop: Header=BB169_434 Depth=1
	s_or_b32 exec_lo, exec_lo, s25
.LBB169_722:                            ;   in Loop: Header=BB169_434 Depth=1
	s_delay_alu instid0(SALU_CYCLE_1)
	s_or_b32 exec_lo, exec_lo, s24
.LBB169_723:                            ;   in Loop: Header=BB169_434 Depth=1
	s_delay_alu instid0(SALU_CYCLE_1) | instskip(SKIP_4) | instid1(VALU_DEP_3)
	s_or_b32 exec_lo, exec_lo, s23
	v_lshrrev_b32_e32 v69, 16, v68
	v_mov_b64_e32 v[64:65], 0
	v_mov_b64_e32 v[66:67], 0
	s_mov_b32 s23, exec_lo
	v_and_b32_e32 v18, 0xff, v69
	s_delay_alu instid0(VALU_DEP_1)
	v_cmpx_ne_u16_e32 0, v18
	s_cbranch_execz .LBB169_731
; %bb.724:                              ;   in Loop: Header=BB169_434 Depth=1
	v_mov_b64_e32 v[66:67], 0x80000000
	s_mov_b32 s24, exec_lo
	v_cmpx_ne_u16_e32 0x80, v18
	s_cbranch_execz .LBB169_730
; %bb.725:                              ;   in Loop: Header=BB169_434 Depth=1
	v_mov_b64_e32 v[66:67], 0x7f800001
	v_bfe_u32 v70, v68, 16, 7
	s_mov_b32 s25, exec_lo
	s_delay_alu instid0(VALU_DEP_1)
	v_cmpx_ne_u32_e32 0x7f, v70
	s_cbranch_execz .LBB169_729
; %bb.726:                              ;   in Loop: Header=BB169_434 Depth=1
	v_dual_lshrrev_b32 v66, 3, v70 :: v_dual_bitop2_b32 v18, 7, v69 bitop3:0x40
	s_mov_b32 s27, exec_lo
	v_cmpx_gt_u32_e32 8, v70
; %bb.727:                              ;   in Loop: Header=BB169_434 Depth=1
	s_delay_alu instid0(VALU_DEP_2) | instskip(NEXT) | instid1(VALU_DEP_1)
	v_clz_i32_u32_e32 v66, v18
	v_min_u32_e32 v66, 32, v66
	s_delay_alu instid0(VALU_DEP_1) | instskip(SKIP_1) | instid1(VALU_DEP_2)
	v_subrev_nc_u32_e32 v67, 28, v66
	v_sub_nc_u32_e32 v66, 29, v66
	v_lshlrev_b64_e32 v[70:71], v67, v[18:19]
	s_delay_alu instid0(VALU_DEP_1)
	v_and_b32_e32 v18, 7, v70
; %bb.728:                              ;   in Loop: Header=BB169_434 Depth=1
	s_or_b32 exec_lo, exec_lo, s27
	s_delay_alu instid0(VALU_DEP_1) | instskip(SKIP_1) | instid1(VALU_DEP_2)
	v_dual_lshlrev_b32 v67, 24, v69 :: v_dual_lshlrev_b32 v18, 20, v18
	v_lshl_add_u32 v66, v66, 23, 0x3c000000
	v_and_b32_e32 v67, 0x80000000, v67
	s_delay_alu instid0(VALU_DEP_1) | instskip(NEXT) | instid1(VALU_DEP_1)
	v_or3_b32 v18, v18, v67, v66
	v_mov_b64_e32 v[66:67], v[18:19]
.LBB169_729:                            ;   in Loop: Header=BB169_434 Depth=1
	s_or_b32 exec_lo, exec_lo, s25
.LBB169_730:                            ;   in Loop: Header=BB169_434 Depth=1
	s_delay_alu instid0(SALU_CYCLE_1)
	s_or_b32 exec_lo, exec_lo, s24
.LBB169_731:                            ;   in Loop: Header=BB169_434 Depth=1
	s_delay_alu instid0(SALU_CYCLE_1) | instskip(NEXT) | instid1(SALU_CYCLE_1)
	s_or_b32 exec_lo, exec_lo, s23
	s_mov_b32 s23, exec_lo
	v_cmpx_lt_u32_e32 0xffffff, v68
	s_cbranch_execz .LBB169_739
; %bb.732:                              ;   in Loop: Header=BB169_434 Depth=1
	v_mov_b64_e32 v[64:65], 0x8000000000000000
	v_lshrrev_b32_e32 v69, 24, v68
	s_mov_b32 s24, exec_lo
	s_delay_alu instid0(VALU_DEP_1)
	v_cmpx_ne_u32_e32 0x80, v69
	s_cbranch_execz .LBB169_738
; %bb.733:                              ;   in Loop: Header=BB169_434 Depth=1
	v_mov_b64_e32 v[64:65], 0x7f80000100000000
	v_bfe_u32 v68, v68, 24, 7
	s_mov_b32 s25, exec_lo
	s_delay_alu instid0(VALU_DEP_1)
	v_cmpx_ne_u32_e32 0x7f, v68
	s_cbranch_execz .LBB169_737
; %bb.734:                              ;   in Loop: Header=BB169_434 Depth=1
	v_dual_lshrrev_b32 v64, 3, v68 :: v_dual_bitop2_b32 v18, 7, v69 bitop3:0x40
	s_mov_b32 s27, exec_lo
	v_cmpx_gt_u32_e32 8, v68
; %bb.735:                              ;   in Loop: Header=BB169_434 Depth=1
	s_delay_alu instid0(VALU_DEP_2) | instskip(NEXT) | instid1(VALU_DEP_1)
	v_clz_i32_u32_e32 v64, v18
	v_min_u32_e32 v64, 32, v64
	s_delay_alu instid0(VALU_DEP_1) | instskip(NEXT) | instid1(VALU_DEP_1)
	v_subrev_nc_u32_e32 v65, 28, v64
	v_lshlrev_b64_e32 v[70:71], v65, v[18:19]
	s_delay_alu instid0(VALU_DEP_1)
	v_dual_sub_nc_u32 v64, 29, v64 :: v_dual_bitop2_b32 v18, 7, v70 bitop3:0x40
; %bb.736:                              ;   in Loop: Header=BB169_434 Depth=1
	s_or_b32 exec_lo, exec_lo, s27
	s_delay_alu instid0(VALU_DEP_1) | instskip(NEXT) | instid1(VALU_DEP_2)
	v_dual_lshlrev_b32 v65, 24, v69 :: v_dual_lshlrev_b32 v18, 20, v18
	v_lshl_add_u32 v64, v64, 23, 0x3c000000
	s_delay_alu instid0(VALU_DEP_2) | instskip(NEXT) | instid1(VALU_DEP_1)
	v_and_b32_e32 v65, 0x80000000, v65
	v_or3_b32 v65, v18, v65, v64
	v_mov_b32_e32 v64, v19
.LBB169_737:                            ;   in Loop: Header=BB169_434 Depth=1
	s_or_b32 exec_lo, exec_lo, s25
.LBB169_738:                            ;   in Loop: Header=BB169_434 Depth=1
	s_delay_alu instid0(SALU_CYCLE_1)
	s_or_b32 exec_lo, exec_lo, s24
.LBB169_739:                            ;   in Loop: Header=BB169_434 Depth=1
	s_delay_alu instid0(SALU_CYCLE_1)
	s_or_b32 exec_lo, exec_lo, s23
	v_mov_b64_e32 v[68:69], s[8:9]
	v_or_b32_e32 v61, v61, v63
	v_or_b32_e32 v60, v60, v62
	;; [unrolled: 1-line block ×4, first 2 shown]
	s_delay_alu instid0(VALU_DEP_3) | instskip(NEXT) | instid1(VALU_DEP_2)
	v_pk_mul_f32 v[62:63], v[68:69], v[60:61]
	v_pk_mul_f32 v[60:61], v[68:69], v[64:65]
	s_and_saveexec_b32 s23, vcc_lo
	s_cbranch_execz .LBB169_741
; %bb.740:                              ;   in Loop: Header=BB169_434 Depth=1
	v_cmp_gt_i32_e64 s0, s35, v51
	s_delay_alu instid0(VALU_DEP_1) | instskip(SKIP_1) | instid1(VALU_DEP_1)
	v_cndmask_b32_e64 v62, 0, v62, s0
	v_cmp_gt_i32_e64 s0, s35, v84
	v_cndmask_b32_e64 v63, 0, v63, s0
	v_cmp_gt_i32_e64 s0, s35, v77
	s_delay_alu instid0(VALU_DEP_1) | instskip(SKIP_1) | instid1(VALU_DEP_1)
	v_cndmask_b32_e64 v60, 0, v60, s0
	v_cmp_gt_i32_e64 s0, s35, v76
	v_cndmask_b32_e64 v61, 0, v61, s0
.LBB169_741:                            ;   in Loop: Header=BB169_434 Depth=1
	s_or_b32 exec_lo, exec_lo, s23
	global_load_b32 v72, v[28:29], off offset:1152
	v_mov_b64_e32 v[64:65], 0
	v_mov_b64_e32 v[66:67], 0
	s_mov_b32 s23, exec_lo
	s_wait_loadcnt 0x0
	v_and_b32_e32 v18, 0xff, v72
	s_delay_alu instid0(VALU_DEP_1)
	v_cmpx_ne_u16_e32 0, v18
	s_cbranch_execz .LBB169_749
; %bb.742:                              ;   in Loop: Header=BB169_434 Depth=1
	v_mov_b64_e32 v[66:67], 0x80000000
	s_mov_b32 s24, exec_lo
	v_cmpx_ne_u16_e32 0x80, v18
	s_cbranch_execz .LBB169_748
; %bb.743:                              ;   in Loop: Header=BB169_434 Depth=1
	v_mov_b64_e32 v[66:67], 0x7f800001
	v_and_b32_e32 v68, 0x7f, v72
	s_mov_b32 s25, exec_lo
	s_delay_alu instid0(VALU_DEP_1)
	v_cmpx_ne_u32_e32 0x7f, v68
	s_cbranch_execz .LBB169_747
; %bb.744:                              ;   in Loop: Header=BB169_434 Depth=1
	v_and_b32_e32 v18, 7, v72
	v_lshrrev_b32_e32 v66, 3, v68
	s_mov_b32 s27, exec_lo
	v_cmpx_gt_u32_e32 8, v68
; %bb.745:                              ;   in Loop: Header=BB169_434 Depth=1
	s_delay_alu instid0(VALU_DEP_3) | instskip(NEXT) | instid1(VALU_DEP_1)
	v_clz_i32_u32_e32 v66, v18
	v_min_u32_e32 v66, 32, v66
	s_delay_alu instid0(VALU_DEP_1) | instskip(NEXT) | instid1(VALU_DEP_1)
	v_subrev_nc_u32_e32 v67, 28, v66
	v_lshlrev_b64_e32 v[68:69], v67, v[18:19]
	s_delay_alu instid0(VALU_DEP_1)
	v_dual_sub_nc_u32 v66, 29, v66 :: v_dual_bitop2_b32 v18, 7, v68 bitop3:0x40
; %bb.746:                              ;   in Loop: Header=BB169_434 Depth=1
	s_or_b32 exec_lo, exec_lo, s27
	s_delay_alu instid0(VALU_DEP_1) | instskip(NEXT) | instid1(VALU_DEP_2)
	v_dual_lshlrev_b32 v67, 24, v72 :: v_dual_lshlrev_b32 v18, 20, v18
	v_lshl_add_u32 v66, v66, 23, 0x3c000000
	s_delay_alu instid0(VALU_DEP_2) | instskip(NEXT) | instid1(VALU_DEP_1)
	v_and_b32_e32 v67, 0x80000000, v67
	v_or3_b32 v18, v18, v67, v66
	s_delay_alu instid0(VALU_DEP_1)
	v_mov_b64_e32 v[66:67], v[18:19]
.LBB169_747:                            ;   in Loop: Header=BB169_434 Depth=1
	s_or_b32 exec_lo, exec_lo, s25
.LBB169_748:                            ;   in Loop: Header=BB169_434 Depth=1
	s_delay_alu instid0(SALU_CYCLE_1)
	s_or_b32 exec_lo, exec_lo, s24
.LBB169_749:                            ;   in Loop: Header=BB169_434 Depth=1
	s_delay_alu instid0(SALU_CYCLE_1) | instskip(SKIP_2) | instid1(VALU_DEP_1)
	s_or_b32 exec_lo, exec_lo, s23
	v_lshrrev_b16 v18, 8, v72
	s_mov_b32 s23, exec_lo
	v_cmpx_ne_u16_e32 0, v18
	s_cbranch_execz .LBB169_757
; %bb.750:                              ;   in Loop: Header=BB169_434 Depth=1
	v_mov_b64_e32 v[64:65], 0x8000000000000000
	s_mov_b32 s24, exec_lo
	v_cmpx_ne_u16_e32 0x80, v18
	s_cbranch_execz .LBB169_756
; %bb.751:                              ;   in Loop: Header=BB169_434 Depth=1
	v_and_b32_e32 v18, 0xffff, v18
	v_mov_b64_e32 v[64:65], 0x7f80000100000000
	s_mov_b32 s25, exec_lo
	s_delay_alu instid0(VALU_DEP_2) | instskip(NEXT) | instid1(VALU_DEP_1)
	v_and_b32_e32 v68, 0x7f, v18
	v_cmpx_ne_u32_e32 0x7f, v68
	s_cbranch_execz .LBB169_755
; %bb.752:                              ;   in Loop: Header=BB169_434 Depth=1
	v_dual_lshrrev_b32 v64, 3, v68 :: v_dual_bitop2_b32 v18, 7, v18 bitop3:0x40
	s_mov_b32 s27, exec_lo
	v_cmpx_gt_u32_e32 8, v68
; %bb.753:                              ;   in Loop: Header=BB169_434 Depth=1
	s_delay_alu instid0(VALU_DEP_2) | instskip(NEXT) | instid1(VALU_DEP_1)
	v_clz_i32_u32_e32 v64, v18
	v_min_u32_e32 v64, 32, v64
	s_delay_alu instid0(VALU_DEP_1) | instskip(SKIP_1) | instid1(VALU_DEP_2)
	v_subrev_nc_u32_e32 v65, 28, v64
	v_sub_nc_u32_e32 v64, 29, v64
	v_lshlrev_b64_e32 v[68:69], v65, v[18:19]
	s_delay_alu instid0(VALU_DEP_1)
	v_and_b32_e32 v18, 7, v68
; %bb.754:                              ;   in Loop: Header=BB169_434 Depth=1
	s_or_b32 exec_lo, exec_lo, s27
	s_delay_alu instid0(VALU_DEP_1) | instskip(SKIP_1) | instid1(VALU_DEP_2)
	v_dual_lshlrev_b32 v65, 16, v72 :: v_dual_lshlrev_b32 v18, 20, v18
	v_lshl_add_u32 v64, v64, 23, 0x3c000000
	v_and_b32_e32 v65, 0x80000000, v65
	s_delay_alu instid0(VALU_DEP_1)
	v_or3_b32 v65, v18, v65, v64
	v_mov_b32_e32 v64, v19
.LBB169_755:                            ;   in Loop: Header=BB169_434 Depth=1
	s_or_b32 exec_lo, exec_lo, s25
.LBB169_756:                            ;   in Loop: Header=BB169_434 Depth=1
	s_delay_alu instid0(SALU_CYCLE_1)
	s_or_b32 exec_lo, exec_lo, s24
.LBB169_757:                            ;   in Loop: Header=BB169_434 Depth=1
	s_delay_alu instid0(SALU_CYCLE_1) | instskip(SKIP_4) | instid1(VALU_DEP_3)
	s_or_b32 exec_lo, exec_lo, s23
	v_lshrrev_b32_e32 v73, 16, v72
	v_mov_b64_e32 v[68:69], 0
	v_mov_b64_e32 v[70:71], 0
	s_mov_b32 s23, exec_lo
	v_and_b32_e32 v18, 0xff, v73
	s_delay_alu instid0(VALU_DEP_1)
	v_cmpx_ne_u16_e32 0, v18
	s_cbranch_execz .LBB169_765
; %bb.758:                              ;   in Loop: Header=BB169_434 Depth=1
	v_mov_b64_e32 v[70:71], 0x80000000
	s_mov_b32 s24, exec_lo
	v_cmpx_ne_u16_e32 0x80, v18
	s_cbranch_execz .LBB169_764
; %bb.759:                              ;   in Loop: Header=BB169_434 Depth=1
	v_mov_b64_e32 v[70:71], 0x7f800001
	v_bfe_u32 v74, v72, 16, 7
	s_mov_b32 s25, exec_lo
	s_delay_alu instid0(VALU_DEP_1)
	v_cmpx_ne_u32_e32 0x7f, v74
	s_cbranch_execz .LBB169_763
; %bb.760:                              ;   in Loop: Header=BB169_434 Depth=1
	v_dual_lshrrev_b32 v70, 3, v74 :: v_dual_bitop2_b32 v18, 7, v73 bitop3:0x40
	s_mov_b32 s27, exec_lo
	v_cmpx_gt_u32_e32 8, v74
; %bb.761:                              ;   in Loop: Header=BB169_434 Depth=1
	s_delay_alu instid0(VALU_DEP_2) | instskip(NEXT) | instid1(VALU_DEP_1)
	v_clz_i32_u32_e32 v70, v18
	v_min_u32_e32 v70, 32, v70
	s_delay_alu instid0(VALU_DEP_1) | instskip(SKIP_1) | instid1(VALU_DEP_2)
	v_subrev_nc_u32_e32 v71, 28, v70
	v_sub_nc_u32_e32 v70, 29, v70
	v_lshlrev_b64_e32 v[74:75], v71, v[18:19]
	s_delay_alu instid0(VALU_DEP_1)
	v_and_b32_e32 v18, 7, v74
; %bb.762:                              ;   in Loop: Header=BB169_434 Depth=1
	s_or_b32 exec_lo, exec_lo, s27
	s_delay_alu instid0(VALU_DEP_1) | instskip(SKIP_1) | instid1(VALU_DEP_2)
	v_dual_lshlrev_b32 v71, 24, v73 :: v_dual_lshlrev_b32 v18, 20, v18
	v_lshl_add_u32 v70, v70, 23, 0x3c000000
	v_and_b32_e32 v71, 0x80000000, v71
	s_delay_alu instid0(VALU_DEP_1) | instskip(NEXT) | instid1(VALU_DEP_1)
	v_or3_b32 v18, v18, v71, v70
	v_mov_b64_e32 v[70:71], v[18:19]
.LBB169_763:                            ;   in Loop: Header=BB169_434 Depth=1
	s_or_b32 exec_lo, exec_lo, s25
.LBB169_764:                            ;   in Loop: Header=BB169_434 Depth=1
	s_delay_alu instid0(SALU_CYCLE_1)
	s_or_b32 exec_lo, exec_lo, s24
.LBB169_765:                            ;   in Loop: Header=BB169_434 Depth=1
	s_delay_alu instid0(SALU_CYCLE_1) | instskip(NEXT) | instid1(SALU_CYCLE_1)
	s_or_b32 exec_lo, exec_lo, s23
	s_mov_b32 s23, exec_lo
	v_cmpx_lt_u32_e32 0xffffff, v72
	s_cbranch_execz .LBB169_773
; %bb.766:                              ;   in Loop: Header=BB169_434 Depth=1
	v_mov_b64_e32 v[68:69], 0x8000000000000000
	v_lshrrev_b32_e32 v73, 24, v72
	s_mov_b32 s24, exec_lo
	s_delay_alu instid0(VALU_DEP_1)
	v_cmpx_ne_u32_e32 0x80, v73
	s_cbranch_execz .LBB169_772
; %bb.767:                              ;   in Loop: Header=BB169_434 Depth=1
	v_mov_b64_e32 v[68:69], 0x7f80000100000000
	v_bfe_u32 v72, v72, 24, 7
	s_mov_b32 s25, exec_lo
	s_delay_alu instid0(VALU_DEP_1)
	v_cmpx_ne_u32_e32 0x7f, v72
	s_cbranch_execz .LBB169_771
; %bb.768:                              ;   in Loop: Header=BB169_434 Depth=1
	v_dual_lshrrev_b32 v68, 3, v72 :: v_dual_bitop2_b32 v18, 7, v73 bitop3:0x40
	s_mov_b32 s27, exec_lo
	v_cmpx_gt_u32_e32 8, v72
; %bb.769:                              ;   in Loop: Header=BB169_434 Depth=1
	s_delay_alu instid0(VALU_DEP_2) | instskip(NEXT) | instid1(VALU_DEP_1)
	v_clz_i32_u32_e32 v68, v18
	v_min_u32_e32 v68, 32, v68
	s_delay_alu instid0(VALU_DEP_1) | instskip(NEXT) | instid1(VALU_DEP_1)
	v_subrev_nc_u32_e32 v69, 28, v68
	v_lshlrev_b64_e32 v[74:75], v69, v[18:19]
	s_delay_alu instid0(VALU_DEP_1)
	v_dual_sub_nc_u32 v68, 29, v68 :: v_dual_bitop2_b32 v18, 7, v74 bitop3:0x40
; %bb.770:                              ;   in Loop: Header=BB169_434 Depth=1
	s_or_b32 exec_lo, exec_lo, s27
	s_delay_alu instid0(VALU_DEP_1) | instskip(NEXT) | instid1(VALU_DEP_2)
	v_dual_lshlrev_b32 v69, 24, v73 :: v_dual_lshlrev_b32 v18, 20, v18
	v_lshl_add_u32 v68, v68, 23, 0x3c000000
	s_delay_alu instid0(VALU_DEP_2) | instskip(NEXT) | instid1(VALU_DEP_1)
	v_and_b32_e32 v69, 0x80000000, v69
	v_or3_b32 v69, v18, v69, v68
	v_mov_b32_e32 v68, v19
.LBB169_771:                            ;   in Loop: Header=BB169_434 Depth=1
	s_or_b32 exec_lo, exec_lo, s25
.LBB169_772:                            ;   in Loop: Header=BB169_434 Depth=1
	s_delay_alu instid0(SALU_CYCLE_1)
	s_or_b32 exec_lo, exec_lo, s24
.LBB169_773:                            ;   in Loop: Header=BB169_434 Depth=1
	s_delay_alu instid0(SALU_CYCLE_1)
	s_or_b32 exec_lo, exec_lo, s23
	v_mov_b64_e32 v[72:73], s[8:9]
	v_or_b32_e32 v65, v65, v67
	v_or_b32_e32 v64, v64, v66
	;; [unrolled: 1-line block ×4, first 2 shown]
	s_delay_alu instid0(VALU_DEP_3) | instskip(NEXT) | instid1(VALU_DEP_2)
	v_pk_mul_f32 v[66:67], v[72:73], v[64:65]
	v_pk_mul_f32 v[64:65], v[72:73], v[68:69]
	s_and_saveexec_b32 s23, vcc_lo
	s_cbranch_execz .LBB169_775
; %bb.774:                              ;   in Loop: Header=BB169_434 Depth=1
	v_cmp_gt_i32_e64 s0, s35, v51
	s_delay_alu instid0(VALU_DEP_1) | instskip(SKIP_1) | instid1(VALU_DEP_1)
	v_cndmask_b32_e64 v66, 0, v66, s0
	v_cmp_gt_i32_e64 s0, s35, v84
	v_cndmask_b32_e64 v67, 0, v67, s0
	v_cmp_gt_i32_e64 s0, s35, v77
	s_delay_alu instid0(VALU_DEP_1) | instskip(SKIP_1) | instid1(VALU_DEP_1)
	v_cndmask_b32_e64 v64, 0, v64, s0
	v_cmp_gt_i32_e64 s0, s35, v76
	v_cndmask_b32_e64 v65, 0, v65, s0
.LBB169_775:                            ;   in Loop: Header=BB169_434 Depth=1
	s_or_b32 exec_lo, exec_lo, s23
	global_load_b32 v85, v[28:29], off offset:1280
	v_mov_b64_e32 v[68:69], 0
	v_mov_b64_e32 v[70:71], 0
	s_mov_b32 s23, exec_lo
	s_wait_loadcnt 0x0
	v_and_b32_e32 v18, 0xff, v85
	s_delay_alu instid0(VALU_DEP_1)
	v_cmpx_ne_u16_e32 0, v18
	s_cbranch_execz .LBB169_783
; %bb.776:                              ;   in Loop: Header=BB169_434 Depth=1
	v_mov_b64_e32 v[70:71], 0x80000000
	s_mov_b32 s24, exec_lo
	v_cmpx_ne_u16_e32 0x80, v18
	s_cbranch_execz .LBB169_782
; %bb.777:                              ;   in Loop: Header=BB169_434 Depth=1
	v_mov_b64_e32 v[70:71], 0x7f800001
	v_and_b32_e32 v72, 0x7f, v85
	s_mov_b32 s25, exec_lo
	s_delay_alu instid0(VALU_DEP_1)
	v_cmpx_ne_u32_e32 0x7f, v72
	s_cbranch_execz .LBB169_781
; %bb.778:                              ;   in Loop: Header=BB169_434 Depth=1
	v_dual_lshrrev_b32 v70, 3, v72 :: v_dual_bitop2_b32 v18, 7, v85 bitop3:0x40
	s_mov_b32 s27, exec_lo
	v_cmpx_gt_u32_e32 8, v72
; %bb.779:                              ;   in Loop: Header=BB169_434 Depth=1
	s_delay_alu instid0(VALU_DEP_2) | instskip(NEXT) | instid1(VALU_DEP_1)
	v_clz_i32_u32_e32 v70, v18
	v_min_u32_e32 v70, 32, v70
	s_delay_alu instid0(VALU_DEP_1) | instskip(NEXT) | instid1(VALU_DEP_1)
	v_subrev_nc_u32_e32 v71, 28, v70
	v_lshlrev_b64_e32 v[72:73], v71, v[18:19]
	s_delay_alu instid0(VALU_DEP_1)
	v_dual_sub_nc_u32 v70, 29, v70 :: v_dual_bitop2_b32 v18, 7, v72 bitop3:0x40
; %bb.780:                              ;   in Loop: Header=BB169_434 Depth=1
	s_or_b32 exec_lo, exec_lo, s27
	s_delay_alu instid0(VALU_DEP_1) | instskip(NEXT) | instid1(VALU_DEP_2)
	v_dual_lshlrev_b32 v71, 24, v85 :: v_dual_lshlrev_b32 v18, 20, v18
	v_lshl_add_u32 v70, v70, 23, 0x3c000000
	s_delay_alu instid0(VALU_DEP_2) | instskip(NEXT) | instid1(VALU_DEP_1)
	v_and_b32_e32 v71, 0x80000000, v71
	v_or3_b32 v18, v18, v71, v70
	s_delay_alu instid0(VALU_DEP_1)
	v_mov_b64_e32 v[70:71], v[18:19]
.LBB169_781:                            ;   in Loop: Header=BB169_434 Depth=1
	s_or_b32 exec_lo, exec_lo, s25
.LBB169_782:                            ;   in Loop: Header=BB169_434 Depth=1
	s_delay_alu instid0(SALU_CYCLE_1)
	s_or_b32 exec_lo, exec_lo, s24
.LBB169_783:                            ;   in Loop: Header=BB169_434 Depth=1
	s_delay_alu instid0(SALU_CYCLE_1) | instskip(SKIP_2) | instid1(VALU_DEP_1)
	s_or_b32 exec_lo, exec_lo, s23
	v_lshrrev_b16 v18, 8, v85
	s_mov_b32 s23, exec_lo
	v_cmpx_ne_u16_e32 0, v18
	s_cbranch_execz .LBB169_791
; %bb.784:                              ;   in Loop: Header=BB169_434 Depth=1
	v_mov_b64_e32 v[68:69], 0x8000000000000000
	s_mov_b32 s24, exec_lo
	v_cmpx_ne_u16_e32 0x80, v18
	s_cbranch_execz .LBB169_790
; %bb.785:                              ;   in Loop: Header=BB169_434 Depth=1
	v_and_b32_e32 v18, 0xffff, v18
	v_mov_b64_e32 v[68:69], 0x7f80000100000000
	s_mov_b32 s25, exec_lo
	s_delay_alu instid0(VALU_DEP_2) | instskip(NEXT) | instid1(VALU_DEP_1)
	v_and_b32_e32 v72, 0x7f, v18
	v_cmpx_ne_u32_e32 0x7f, v72
	s_cbranch_execz .LBB169_789
; %bb.786:                              ;   in Loop: Header=BB169_434 Depth=1
	v_dual_lshrrev_b32 v68, 3, v72 :: v_dual_bitop2_b32 v18, 7, v18 bitop3:0x40
	s_mov_b32 s27, exec_lo
	v_cmpx_gt_u32_e32 8, v72
; %bb.787:                              ;   in Loop: Header=BB169_434 Depth=1
	s_delay_alu instid0(VALU_DEP_2) | instskip(NEXT) | instid1(VALU_DEP_1)
	v_clz_i32_u32_e32 v68, v18
	v_min_u32_e32 v68, 32, v68
	s_delay_alu instid0(VALU_DEP_1) | instskip(SKIP_1) | instid1(VALU_DEP_2)
	v_subrev_nc_u32_e32 v69, 28, v68
	v_sub_nc_u32_e32 v68, 29, v68
	v_lshlrev_b64_e32 v[72:73], v69, v[18:19]
	s_delay_alu instid0(VALU_DEP_1)
	v_and_b32_e32 v18, 7, v72
; %bb.788:                              ;   in Loop: Header=BB169_434 Depth=1
	s_or_b32 exec_lo, exec_lo, s27
	s_delay_alu instid0(VALU_DEP_1) | instskip(SKIP_1) | instid1(VALU_DEP_2)
	v_dual_lshlrev_b32 v69, 16, v85 :: v_dual_lshlrev_b32 v18, 20, v18
	v_lshl_add_u32 v68, v68, 23, 0x3c000000
	v_and_b32_e32 v69, 0x80000000, v69
	s_delay_alu instid0(VALU_DEP_1)
	v_or3_b32 v69, v18, v69, v68
	v_mov_b32_e32 v68, v19
.LBB169_789:                            ;   in Loop: Header=BB169_434 Depth=1
	s_or_b32 exec_lo, exec_lo, s25
.LBB169_790:                            ;   in Loop: Header=BB169_434 Depth=1
	s_delay_alu instid0(SALU_CYCLE_1)
	s_or_b32 exec_lo, exec_lo, s24
.LBB169_791:                            ;   in Loop: Header=BB169_434 Depth=1
	s_delay_alu instid0(SALU_CYCLE_1) | instskip(SKIP_4) | instid1(VALU_DEP_3)
	s_or_b32 exec_lo, exec_lo, s23
	v_lshrrev_b32_e32 v86, 16, v85
	v_mov_b64_e32 v[72:73], 0
	v_mov_b64_e32 v[74:75], 0
	s_mov_b32 s23, exec_lo
	v_and_b32_e32 v18, 0xff, v86
	s_delay_alu instid0(VALU_DEP_1)
	v_cmpx_ne_u16_e32 0, v18
	s_cbranch_execz .LBB169_799
; %bb.792:                              ;   in Loop: Header=BB169_434 Depth=1
	v_mov_b64_e32 v[74:75], 0x80000000
	s_mov_b32 s24, exec_lo
	v_cmpx_ne_u16_e32 0x80, v18
	s_cbranch_execz .LBB169_798
; %bb.793:                              ;   in Loop: Header=BB169_434 Depth=1
	v_mov_b64_e32 v[74:75], 0x7f800001
	v_bfe_u32 v87, v85, 16, 7
	s_mov_b32 s25, exec_lo
	s_delay_alu instid0(VALU_DEP_1)
	v_cmpx_ne_u32_e32 0x7f, v87
	s_cbranch_execz .LBB169_797
; %bb.794:                              ;   in Loop: Header=BB169_434 Depth=1
	v_dual_lshrrev_b32 v74, 3, v87 :: v_dual_bitop2_b32 v18, 7, v86 bitop3:0x40
	s_mov_b32 s27, exec_lo
	v_cmpx_gt_u32_e32 8, v87
; %bb.795:                              ;   in Loop: Header=BB169_434 Depth=1
	s_delay_alu instid0(VALU_DEP_2) | instskip(NEXT) | instid1(VALU_DEP_1)
	v_clz_i32_u32_e32 v74, v18
	v_min_u32_e32 v74, 32, v74
	s_delay_alu instid0(VALU_DEP_1) | instskip(NEXT) | instid1(VALU_DEP_1)
	v_subrev_nc_u32_e32 v75, 28, v74
	v_lshlrev_b64_e32 v[88:89], v75, v[18:19]
	s_delay_alu instid0(VALU_DEP_1)
	v_dual_sub_nc_u32 v74, 29, v74 :: v_dual_bitop2_b32 v18, 7, v88 bitop3:0x40
; %bb.796:                              ;   in Loop: Header=BB169_434 Depth=1
	s_or_b32 exec_lo, exec_lo, s27
	v_lshlrev_b32_e32 v75, 24, v86
	s_delay_alu instid0(VALU_DEP_2) | instskip(NEXT) | instid1(VALU_DEP_3)
	v_lshlrev_b32_e32 v18, 20, v18
	v_lshl_add_u32 v74, v74, 23, 0x3c000000
	s_delay_alu instid0(VALU_DEP_3) | instskip(NEXT) | instid1(VALU_DEP_1)
	v_and_b32_e32 v75, 0x80000000, v75
	v_or3_b32 v18, v18, v75, v74
	s_delay_alu instid0(VALU_DEP_1)
	v_mov_b64_e32 v[74:75], v[18:19]
.LBB169_797:                            ;   in Loop: Header=BB169_434 Depth=1
	s_or_b32 exec_lo, exec_lo, s25
.LBB169_798:                            ;   in Loop: Header=BB169_434 Depth=1
	s_delay_alu instid0(SALU_CYCLE_1)
	s_or_b32 exec_lo, exec_lo, s24
.LBB169_799:                            ;   in Loop: Header=BB169_434 Depth=1
	s_delay_alu instid0(SALU_CYCLE_1) | instskip(NEXT) | instid1(SALU_CYCLE_1)
	s_or_b32 exec_lo, exec_lo, s23
	s_mov_b32 s23, exec_lo
	v_cmpx_lt_u32_e32 0xffffff, v85
	s_cbranch_execz .LBB169_807
; %bb.800:                              ;   in Loop: Header=BB169_434 Depth=1
	v_mov_b64_e32 v[72:73], 0x8000000000000000
	v_lshrrev_b32_e32 v86, 24, v85
	s_mov_b32 s24, exec_lo
	s_delay_alu instid0(VALU_DEP_1)
	v_cmpx_ne_u32_e32 0x80, v86
	s_cbranch_execz .LBB169_806
; %bb.801:                              ;   in Loop: Header=BB169_434 Depth=1
	v_mov_b64_e32 v[72:73], 0x7f80000100000000
	v_bfe_u32 v85, v85, 24, 7
	s_mov_b32 s25, exec_lo
	s_delay_alu instid0(VALU_DEP_1)
	v_cmpx_ne_u32_e32 0x7f, v85
	s_cbranch_execz .LBB169_805
; %bb.802:                              ;   in Loop: Header=BB169_434 Depth=1
	v_dual_lshrrev_b32 v72, 3, v85 :: v_dual_bitop2_b32 v18, 7, v86 bitop3:0x40
	s_mov_b32 s27, exec_lo
	v_cmpx_gt_u32_e32 8, v85
; %bb.803:                              ;   in Loop: Header=BB169_434 Depth=1
	s_delay_alu instid0(VALU_DEP_2) | instskip(NEXT) | instid1(VALU_DEP_1)
	v_clz_i32_u32_e32 v72, v18
	v_min_u32_e32 v72, 32, v72
	s_delay_alu instid0(VALU_DEP_1) | instskip(SKIP_1) | instid1(VALU_DEP_2)
	v_subrev_nc_u32_e32 v73, 28, v72
	v_sub_nc_u32_e32 v72, 29, v72
	v_lshlrev_b64_e32 v[88:89], v73, v[18:19]
	s_delay_alu instid0(VALU_DEP_1)
	v_and_b32_e32 v18, 7, v88
; %bb.804:                              ;   in Loop: Header=BB169_434 Depth=1
	s_or_b32 exec_lo, exec_lo, s27
	v_lshlrev_b32_e32 v73, 24, v86
	s_delay_alu instid0(VALU_DEP_2) | instskip(SKIP_1) | instid1(VALU_DEP_3)
	v_lshlrev_b32_e32 v18, 20, v18
	v_lshl_add_u32 v72, v72, 23, 0x3c000000
	v_and_b32_e32 v73, 0x80000000, v73
	s_delay_alu instid0(VALU_DEP_1)
	v_or3_b32 v73, v18, v73, v72
	v_mov_b32_e32 v72, v19
.LBB169_805:                            ;   in Loop: Header=BB169_434 Depth=1
	s_or_b32 exec_lo, exec_lo, s25
.LBB169_806:                            ;   in Loop: Header=BB169_434 Depth=1
	s_delay_alu instid0(SALU_CYCLE_1)
	s_or_b32 exec_lo, exec_lo, s24
.LBB169_807:                            ;   in Loop: Header=BB169_434 Depth=1
	s_delay_alu instid0(SALU_CYCLE_1)
	s_or_b32 exec_lo, exec_lo, s23
	v_mov_b64_e32 v[86:87], s[8:9]
	v_or_b32_e32 v69, v69, v71
	v_or_b32_e32 v68, v68, v70
	;; [unrolled: 1-line block ×4, first 2 shown]
	s_delay_alu instid0(VALU_DEP_3) | instskip(NEXT) | instid1(VALU_DEP_2)
	v_pk_mul_f32 v[70:71], v[86:87], v[68:69]
	v_pk_mul_f32 v[68:69], v[86:87], v[72:73]
	s_and_saveexec_b32 s23, vcc_lo
	s_cbranch_execz .LBB169_809
; %bb.808:                              ;   in Loop: Header=BB169_434 Depth=1
	v_cmp_gt_i32_e64 s0, s35, v51
	s_delay_alu instid0(VALU_DEP_1) | instskip(SKIP_1) | instid1(VALU_DEP_1)
	v_cndmask_b32_e64 v70, 0, v70, s0
	v_cmp_gt_i32_e64 s0, s35, v84
	v_cndmask_b32_e64 v71, 0, v71, s0
	v_cmp_gt_i32_e64 s0, s35, v77
	s_delay_alu instid0(VALU_DEP_1) | instskip(SKIP_1) | instid1(VALU_DEP_1)
	v_cndmask_b32_e64 v68, 0, v68, s0
	v_cmp_gt_i32_e64 s0, s35, v76
	v_cndmask_b32_e64 v69, 0, v69, s0
.LBB169_809:                            ;   in Loop: Header=BB169_434 Depth=1
	s_or_b32 exec_lo, exec_lo, s23
	global_load_b32 v85, v[28:29], off offset:1408
	s_wait_xcnt 0x0
	v_mov_b64_e32 v[28:29], 0
	v_mov_b64_e32 v[72:73], 0
	s_mov_b32 s23, exec_lo
	s_wait_loadcnt 0x0
	v_and_b32_e32 v18, 0xff, v85
	s_delay_alu instid0(VALU_DEP_1)
	v_cmpx_ne_u16_e32 0, v18
	s_cbranch_execz .LBB169_817
; %bb.810:                              ;   in Loop: Header=BB169_434 Depth=1
	v_mov_b64_e32 v[72:73], 0x80000000
	s_mov_b32 s24, exec_lo
	v_cmpx_ne_u16_e32 0x80, v18
	s_cbranch_execz .LBB169_816
; %bb.811:                              ;   in Loop: Header=BB169_434 Depth=1
	v_mov_b64_e32 v[72:73], 0x7f800001
	v_and_b32_e32 v74, 0x7f, v85
	s_mov_b32 s25, exec_lo
	s_delay_alu instid0(VALU_DEP_1)
	v_cmpx_ne_u32_e32 0x7f, v74
	s_cbranch_execz .LBB169_815
; %bb.812:                              ;   in Loop: Header=BB169_434 Depth=1
	v_dual_lshrrev_b32 v72, 3, v74 :: v_dual_bitop2_b32 v18, 7, v85 bitop3:0x40
	s_mov_b32 s27, exec_lo
	v_cmpx_gt_u32_e32 8, v74
; %bb.813:                              ;   in Loop: Header=BB169_434 Depth=1
	s_delay_alu instid0(VALU_DEP_2) | instskip(NEXT) | instid1(VALU_DEP_1)
	v_clz_i32_u32_e32 v72, v18
	v_min_u32_e32 v72, 32, v72
	s_delay_alu instid0(VALU_DEP_1) | instskip(NEXT) | instid1(VALU_DEP_1)
	v_subrev_nc_u32_e32 v73, 28, v72
	v_lshlrev_b64_e32 v[74:75], v73, v[18:19]
	s_delay_alu instid0(VALU_DEP_1)
	v_dual_sub_nc_u32 v72, 29, v72 :: v_dual_bitop2_b32 v18, 7, v74 bitop3:0x40
; %bb.814:                              ;   in Loop: Header=BB169_434 Depth=1
	s_or_b32 exec_lo, exec_lo, s27
	s_delay_alu instid0(VALU_DEP_1) | instskip(NEXT) | instid1(VALU_DEP_2)
	v_dual_lshlrev_b32 v73, 24, v85 :: v_dual_lshlrev_b32 v18, 20, v18
	v_lshl_add_u32 v72, v72, 23, 0x3c000000
	s_delay_alu instid0(VALU_DEP_2) | instskip(NEXT) | instid1(VALU_DEP_1)
	v_and_b32_e32 v73, 0x80000000, v73
	v_or3_b32 v18, v18, v73, v72
	s_delay_alu instid0(VALU_DEP_1)
	v_mov_b64_e32 v[72:73], v[18:19]
.LBB169_815:                            ;   in Loop: Header=BB169_434 Depth=1
	s_or_b32 exec_lo, exec_lo, s25
.LBB169_816:                            ;   in Loop: Header=BB169_434 Depth=1
	s_delay_alu instid0(SALU_CYCLE_1)
	s_or_b32 exec_lo, exec_lo, s24
.LBB169_817:                            ;   in Loop: Header=BB169_434 Depth=1
	s_delay_alu instid0(SALU_CYCLE_1) | instskip(SKIP_2) | instid1(VALU_DEP_1)
	s_or_b32 exec_lo, exec_lo, s23
	v_lshrrev_b16 v18, 8, v85
	s_mov_b32 s23, exec_lo
	v_cmpx_ne_u16_e32 0, v18
	s_cbranch_execz .LBB169_825
; %bb.818:                              ;   in Loop: Header=BB169_434 Depth=1
	v_mov_b64_e32 v[28:29], 0x8000000000000000
	s_mov_b32 s24, exec_lo
	v_cmpx_ne_u16_e32 0x80, v18
	s_cbranch_execz .LBB169_824
; %bb.819:                              ;   in Loop: Header=BB169_434 Depth=1
	v_and_b32_e32 v18, 0xffff, v18
	v_mov_b64_e32 v[28:29], 0x7f80000100000000
	s_mov_b32 s25, exec_lo
	s_delay_alu instid0(VALU_DEP_2) | instskip(NEXT) | instid1(VALU_DEP_1)
	v_and_b32_e32 v74, 0x7f, v18
	v_cmpx_ne_u32_e32 0x7f, v74
	s_cbranch_execz .LBB169_823
; %bb.820:                              ;   in Loop: Header=BB169_434 Depth=1
	v_and_b32_e32 v18, 7, v18
	v_lshrrev_b32_e32 v28, 3, v74
	s_mov_b32 s27, exec_lo
	v_cmpx_gt_u32_e32 8, v74
; %bb.821:                              ;   in Loop: Header=BB169_434 Depth=1
	s_delay_alu instid0(VALU_DEP_3) | instskip(NEXT) | instid1(VALU_DEP_1)
	v_clz_i32_u32_e32 v28, v18
	v_min_u32_e32 v28, 32, v28
	s_delay_alu instid0(VALU_DEP_1) | instskip(NEXT) | instid1(VALU_DEP_1)
	v_subrev_nc_u32_e32 v29, 28, v28
	v_lshlrev_b64_e32 v[74:75], v29, v[18:19]
	s_delay_alu instid0(VALU_DEP_1)
	v_dual_sub_nc_u32 v28, 29, v28 :: v_dual_bitop2_b32 v18, 7, v74 bitop3:0x40
; %bb.822:                              ;   in Loop: Header=BB169_434 Depth=1
	s_or_b32 exec_lo, exec_lo, s27
	s_delay_alu instid0(VALU_DEP_1) | instskip(NEXT) | instid1(VALU_DEP_2)
	v_dual_lshlrev_b32 v29, 16, v85 :: v_dual_lshlrev_b32 v18, 20, v18
	v_lshl_add_u32 v28, v28, 23, 0x3c000000
	s_delay_alu instid0(VALU_DEP_2) | instskip(NEXT) | instid1(VALU_DEP_1)
	v_and_b32_e32 v29, 0x80000000, v29
	v_or3_b32 v29, v18, v29, v28
	v_mov_b32_e32 v28, v19
.LBB169_823:                            ;   in Loop: Header=BB169_434 Depth=1
	s_or_b32 exec_lo, exec_lo, s25
.LBB169_824:                            ;   in Loop: Header=BB169_434 Depth=1
	s_delay_alu instid0(SALU_CYCLE_1)
	s_or_b32 exec_lo, exec_lo, s24
.LBB169_825:                            ;   in Loop: Header=BB169_434 Depth=1
	s_delay_alu instid0(SALU_CYCLE_1) | instskip(SKIP_4) | instid1(VALU_DEP_3)
	s_or_b32 exec_lo, exec_lo, s23
	v_lshrrev_b32_e32 v86, 16, v85
	v_mov_b64_e32 v[74:75], 0
	v_mov_b64_e32 v[76:77], 0
	s_mov_b32 s23, exec_lo
	v_and_b32_e32 v18, 0xff, v86
	s_delay_alu instid0(VALU_DEP_1)
	v_cmpx_ne_u16_e32 0, v18
	s_cbranch_execz .LBB169_833
; %bb.826:                              ;   in Loop: Header=BB169_434 Depth=1
	v_mov_b64_e32 v[76:77], 0x80000000
	s_mov_b32 s24, exec_lo
	v_cmpx_ne_u16_e32 0x80, v18
	s_cbranch_execz .LBB169_832
; %bb.827:                              ;   in Loop: Header=BB169_434 Depth=1
	v_mov_b64_e32 v[76:77], 0x7f800001
	v_bfe_u32 v87, v85, 16, 7
	s_mov_b32 s25, exec_lo
	s_delay_alu instid0(VALU_DEP_1)
	v_cmpx_ne_u32_e32 0x7f, v87
	s_cbranch_execz .LBB169_831
; %bb.828:                              ;   in Loop: Header=BB169_434 Depth=1
	v_dual_lshrrev_b32 v76, 3, v87 :: v_dual_bitop2_b32 v18, 7, v86 bitop3:0x40
	s_mov_b32 s27, exec_lo
	v_cmpx_gt_u32_e32 8, v87
; %bb.829:                              ;   in Loop: Header=BB169_434 Depth=1
	s_delay_alu instid0(VALU_DEP_2) | instskip(NEXT) | instid1(VALU_DEP_1)
	v_clz_i32_u32_e32 v76, v18
	v_min_u32_e32 v76, 32, v76
	s_delay_alu instid0(VALU_DEP_1) | instskip(SKIP_1) | instid1(VALU_DEP_2)
	v_subrev_nc_u32_e32 v77, 28, v76
	v_sub_nc_u32_e32 v76, 29, v76
	v_lshlrev_b64_e32 v[88:89], v77, v[18:19]
	s_delay_alu instid0(VALU_DEP_1)
	v_and_b32_e32 v18, 7, v88
; %bb.830:                              ;   in Loop: Header=BB169_434 Depth=1
	s_or_b32 exec_lo, exec_lo, s27
	v_lshlrev_b32_e32 v77, 24, v86
	s_delay_alu instid0(VALU_DEP_2) | instskip(SKIP_1) | instid1(VALU_DEP_3)
	v_lshlrev_b32_e32 v18, 20, v18
	v_lshl_add_u32 v76, v76, 23, 0x3c000000
	v_and_b32_e32 v77, 0x80000000, v77
	s_delay_alu instid0(VALU_DEP_1) | instskip(NEXT) | instid1(VALU_DEP_1)
	v_or3_b32 v18, v18, v77, v76
	v_mov_b64_e32 v[76:77], v[18:19]
.LBB169_831:                            ;   in Loop: Header=BB169_434 Depth=1
	s_or_b32 exec_lo, exec_lo, s25
.LBB169_832:                            ;   in Loop: Header=BB169_434 Depth=1
	s_delay_alu instid0(SALU_CYCLE_1)
	s_or_b32 exec_lo, exec_lo, s24
.LBB169_833:                            ;   in Loop: Header=BB169_434 Depth=1
	s_delay_alu instid0(SALU_CYCLE_1) | instskip(NEXT) | instid1(SALU_CYCLE_1)
	s_or_b32 exec_lo, exec_lo, s23
	s_mov_b32 s23, exec_lo
	v_cmpx_lt_u32_e32 0xffffff, v85
	s_cbranch_execz .LBB169_841
; %bb.834:                              ;   in Loop: Header=BB169_434 Depth=1
	v_mov_b64_e32 v[74:75], 0x8000000000000000
	v_lshrrev_b32_e32 v86, 24, v85
	s_mov_b32 s24, exec_lo
	s_delay_alu instid0(VALU_DEP_1)
	v_cmpx_ne_u32_e32 0x80, v86
	s_cbranch_execz .LBB169_840
; %bb.835:                              ;   in Loop: Header=BB169_434 Depth=1
	v_mov_b64_e32 v[74:75], 0x7f80000100000000
	v_bfe_u32 v85, v85, 24, 7
	s_mov_b32 s25, exec_lo
	s_delay_alu instid0(VALU_DEP_1)
	v_cmpx_ne_u32_e32 0x7f, v85
	s_cbranch_execz .LBB169_839
; %bb.836:                              ;   in Loop: Header=BB169_434 Depth=1
	v_dual_lshrrev_b32 v74, 3, v85 :: v_dual_bitop2_b32 v18, 7, v86 bitop3:0x40
	s_mov_b32 s27, exec_lo
	v_cmpx_gt_u32_e32 8, v85
; %bb.837:                              ;   in Loop: Header=BB169_434 Depth=1
	s_delay_alu instid0(VALU_DEP_2) | instskip(NEXT) | instid1(VALU_DEP_1)
	v_clz_i32_u32_e32 v74, v18
	v_min_u32_e32 v74, 32, v74
	s_delay_alu instid0(VALU_DEP_1) | instskip(NEXT) | instid1(VALU_DEP_1)
	v_subrev_nc_u32_e32 v75, 28, v74
	v_lshlrev_b64_e32 v[88:89], v75, v[18:19]
	s_delay_alu instid0(VALU_DEP_1)
	v_dual_sub_nc_u32 v74, 29, v74 :: v_dual_bitop2_b32 v18, 7, v88 bitop3:0x40
; %bb.838:                              ;   in Loop: Header=BB169_434 Depth=1
	s_or_b32 exec_lo, exec_lo, s27
	v_lshlrev_b32_e32 v75, 24, v86
	s_delay_alu instid0(VALU_DEP_2) | instskip(NEXT) | instid1(VALU_DEP_3)
	v_lshlrev_b32_e32 v18, 20, v18
	v_lshl_add_u32 v74, v74, 23, 0x3c000000
	s_delay_alu instid0(VALU_DEP_3) | instskip(NEXT) | instid1(VALU_DEP_1)
	v_and_b32_e32 v75, 0x80000000, v75
	v_or3_b32 v75, v18, v75, v74
	v_mov_b32_e32 v74, v19
.LBB169_839:                            ;   in Loop: Header=BB169_434 Depth=1
	s_or_b32 exec_lo, exec_lo, s25
.LBB169_840:                            ;   in Loop: Header=BB169_434 Depth=1
	s_delay_alu instid0(SALU_CYCLE_1)
	s_or_b32 exec_lo, exec_lo, s24
.LBB169_841:                            ;   in Loop: Header=BB169_434 Depth=1
	s_delay_alu instid0(SALU_CYCLE_1)
	s_or_b32 exec_lo, exec_lo, s23
	v_mov_b64_e32 v[86:87], s[8:9]
	v_or_b32_e32 v29, v29, v73
	v_or_b32_e32 v28, v28, v72
	;; [unrolled: 1-line block ×4, first 2 shown]
	s_delay_alu instid0(VALU_DEP_3) | instskip(NEXT) | instid1(VALU_DEP_2)
	v_pk_mul_f32 v[72:73], v[86:87], v[28:29]
	v_pk_mul_f32 v[28:29], v[86:87], v[74:75]
	s_and_saveexec_b32 s0, vcc_lo
	s_cbranch_execz .LBB169_432
; %bb.842:                              ;   in Loop: Header=BB169_434 Depth=1
	v_cmp_gt_i32_e32 vcc_lo, s18, v84
	v_dual_cndmask_b32 v73, 0, v73, vcc_lo :: v_dual_bitop2_b32 v18, 3, v51 bitop3:0x54
	v_cmp_gt_i32_e32 vcc_lo, s35, v51
	v_dual_cndmask_b32 v72, 0, v72, vcc_lo :: v_dual_bitop2_b32 v74, 2, v51 bitop3:0x54
	s_delay_alu instid0(VALU_DEP_3) | instskip(SKIP_1) | instid1(VALU_DEP_3)
	v_cmp_gt_i32_e32 vcc_lo, s18, v18
	v_cndmask_b32_e32 v29, 0, v29, vcc_lo
	v_cmp_gt_i32_e32 vcc_lo, s35, v74
	v_cndmask_b32_e32 v28, 0, v28, vcc_lo
	s_branch .LBB169_432
.LBB169_843:
	s_or_b32 exec_lo, exec_lo, s19
.LBB169_844:
	s_delay_alu instid0(SALU_CYCLE_1)
	s_or_b32 exec_lo, exec_lo, s1
	ds_bpermute_b32 v2, v79, v8
	ds_bpermute_b32 v3, v79, v9
	ds_bpermute_b32 v4, v79, v16
	ds_bpermute_b32 v5, v79, v17
	ds_bpermute_b32 v24, v79, v14
	ds_bpermute_b32 v25, v79, v15
	ds_bpermute_b32 v26, v79, v12
	ds_bpermute_b32 v27, v79, v13
	ds_bpermute_b32 v28, v79, v10
	ds_bpermute_b32 v29, v79, v11
	v_lshrrev_b32_e32 v22, 1, v78
	v_and_b32_e32 v23, 0x3c1, v0
	s_mov_b32 s0, exec_lo
	ds_bpermute_b32 v20, v79, v6
	ds_bpermute_b32 v21, v79, v7
	s_wait_dscnt 0x0
	s_barrier_signal -1
	s_barrier_wait -1
	v_pk_add_f32 v[18:19], v[8:9], v[2:3]
	v_pk_add_f32 v[16:17], v[16:17], v[4:5]
	;; [unrolled: 1-line block ×5, first 2 shown]
	v_cmpx_ne_u32_e32 64, v23
	s_xor_b32 s0, exec_lo, s0
	s_delay_alu instid0(SALU_CYCLE_1)
	s_or_saveexec_b32 s0, s0
	v_pk_add_f32 v[6:7], v[6:7], v[20:21]
	v_lshl_add_u32 v10, v22, 2, 0x320
	v_mul_u32_u24_e32 v1, 0x300, v1
	s_xor_b32 exec_lo, exec_lo, s0
	s_cbranch_execz .LBB169_846
; %bb.845:
	s_delay_alu instid0(VALU_DEP_1) | instskip(NEXT) | instid1(VALU_DEP_1)
	v_add_nc_u32_e32 v11, v10, v1
	v_add_nc_u32_e32 v12, 0xfffffa00, v11
	;; [unrolled: 1-line block ×13, first 2 shown]
	ds_store_b32 v12, v18
	ds_store_b32 v13, v19
	;; [unrolled: 1-line block ×12, first 2 shown]
.LBB169_846:
	s_or_b32 exec_lo, exec_lo, s0
	v_lshlrev_b32_e32 v11, 2, v22
	s_mov_b32 s1, exec_lo
	v_cmp_eq_u32_e32 vcc_lo, 0, v80
	s_wait_dscnt 0x0
	s_barrier_signal -1
	v_add3_u32 v1, 0x320, v1, v11
	s_barrier_wait -1
	v_cmpx_gt_u32_e32 64, v0
	s_cbranch_execz .LBB169_861
; %bb.847:
	s_and_saveexec_b32 s0, vcc_lo
	s_cbranch_execnz .LBB169_881
; %bb.848:
	s_or_b32 exec_lo, exec_lo, s0
	s_and_saveexec_b32 s0, vcc_lo
	s_cbranch_execnz .LBB169_882
.LBB169_849:
	s_or_b32 exec_lo, exec_lo, s0
	s_and_saveexec_b32 s0, vcc_lo
	s_cbranch_execnz .LBB169_883
.LBB169_850:
	s_or_b32 exec_lo, exec_lo, s0
	s_and_saveexec_b32 s0, vcc_lo
	s_cbranch_execnz .LBB169_884
.LBB169_851:
	s_or_b32 exec_lo, exec_lo, s0
	s_and_saveexec_b32 s0, vcc_lo
	s_cbranch_execnz .LBB169_885
.LBB169_852:
	s_or_b32 exec_lo, exec_lo, s0
	s_and_saveexec_b32 s0, vcc_lo
	s_cbranch_execnz .LBB169_886
.LBB169_853:
	s_or_b32 exec_lo, exec_lo, s0
	s_and_saveexec_b32 s0, vcc_lo
	s_cbranch_execnz .LBB169_887
.LBB169_854:
	s_or_b32 exec_lo, exec_lo, s0
	s_and_saveexec_b32 s0, vcc_lo
	s_cbranch_execnz .LBB169_888
.LBB169_855:
	s_or_b32 exec_lo, exec_lo, s0
	s_and_saveexec_b32 s0, vcc_lo
	s_cbranch_execnz .LBB169_889
.LBB169_856:
	s_or_b32 exec_lo, exec_lo, s0
	s_and_saveexec_b32 s0, vcc_lo
	s_cbranch_execnz .LBB169_890
.LBB169_857:
	s_or_b32 exec_lo, exec_lo, s0
	s_and_saveexec_b32 s0, vcc_lo
	s_cbranch_execnz .LBB169_891
.LBB169_858:
	s_or_b32 exec_lo, exec_lo, s0
	s_and_saveexec_b32 s0, vcc_lo
	s_cbranch_execz .LBB169_860
.LBB169_859:
	ds_load_b32 v11, v1 offset:704
	s_wait_dscnt 0x0
	v_add_f32_e32 v7, v7, v11
.LBB169_860:
	s_or_b32 exec_lo, exec_lo, s0
.LBB169_861:
	s_delay_alu instid0(SALU_CYCLE_1) | instskip(SKIP_4) | instid1(VALU_DEP_1)
	s_or_b32 exec_lo, exec_lo, s1
	v_and_b32_e32 v11, 0x3e1, v0
	s_mov_b32 s1, exec_lo
	s_barrier_signal -1
	s_barrier_wait -1
	v_cmpx_eq_u32_e32 32, v11
	s_cbranch_execz .LBB169_863
; %bb.862:
	ds_store_2addr_b32 v10, v18, v19 offset1:16
	ds_store_2addr_b32 v10, v16, v17 offset0:32 offset1:48
	ds_store_2addr_b32 v10, v8, v9 offset0:64 offset1:80
	;; [unrolled: 1-line block ×5, first 2 shown]
.LBB169_863:
	s_or_b32 exec_lo, exec_lo, s1
	s_delay_alu instid0(SALU_CYCLE_1)
	s_mov_b32 s1, exec_lo
	s_wait_dscnt 0x0
	s_barrier_signal -1
	s_barrier_wait -1
	v_cmpx_gt_u32_e32 32, v0
	s_cbranch_execz .LBB169_878
; %bb.864:
	s_and_saveexec_b32 s0, vcc_lo
	s_cbranch_execnz .LBB169_892
; %bb.865:
	s_or_b32 exec_lo, exec_lo, s0
	s_and_saveexec_b32 s0, vcc_lo
	s_cbranch_execnz .LBB169_893
.LBB169_866:
	s_or_b32 exec_lo, exec_lo, s0
	s_and_saveexec_b32 s0, vcc_lo
	s_cbranch_execnz .LBB169_894
.LBB169_867:
	s_or_b32 exec_lo, exec_lo, s0
	s_and_saveexec_b32 s0, vcc_lo
	s_cbranch_execnz .LBB169_895
.LBB169_868:
	s_or_b32 exec_lo, exec_lo, s0
	s_and_saveexec_b32 s0, vcc_lo
	s_cbranch_execnz .LBB169_896
.LBB169_869:
	s_or_b32 exec_lo, exec_lo, s0
	s_and_saveexec_b32 s0, vcc_lo
	s_cbranch_execnz .LBB169_897
.LBB169_870:
	s_or_b32 exec_lo, exec_lo, s0
	s_and_saveexec_b32 s0, vcc_lo
	s_cbranch_execnz .LBB169_898
.LBB169_871:
	s_or_b32 exec_lo, exec_lo, s0
	s_and_saveexec_b32 s0, vcc_lo
	s_cbranch_execnz .LBB169_899
.LBB169_872:
	s_or_b32 exec_lo, exec_lo, s0
	s_and_saveexec_b32 s0, vcc_lo
	s_cbranch_execnz .LBB169_900
.LBB169_873:
	s_or_b32 exec_lo, exec_lo, s0
	s_and_saveexec_b32 s0, vcc_lo
	s_cbranch_execnz .LBB169_901
.LBB169_874:
	s_or_b32 exec_lo, exec_lo, s0
	s_and_saveexec_b32 s0, vcc_lo
	s_cbranch_execnz .LBB169_902
.LBB169_875:
	s_or_b32 exec_lo, exec_lo, s0
	s_and_saveexec_b32 s0, vcc_lo
	s_cbranch_execz .LBB169_877
.LBB169_876:
	ds_load_b32 v1, v1 offset:704
	s_wait_dscnt 0x0
	v_add_f32_e32 v7, v7, v1
.LBB169_877:
	s_or_b32 exec_lo, exec_lo, s0
.LBB169_878:
	s_delay_alu instid0(SALU_CYCLE_1)
	s_or_b32 exec_lo, exec_lo, s1
	s_mov_b32 s1, 0
	s_barrier_signal -1
	s_barrier_wait -1
	s_mov_b32 s0, exec_lo
	v_cmpx_eq_u32_e32 0, v11
	s_cbranch_execz .LBB169_880
; %bb.879:
	s_mul_i32 s0, s33, s34
	s_mul_i32 s2, s34, s6
	;; [unrolled: 1-line block ×3, first 2 shown]
	s_wait_kmcnt 0x0
	s_lshr_b32 s8, ttmp7, 16
	s_mul_i32 s6, s0, 0xc0
	s_bfe_u32 s0, ttmp6, 0x40014
	s_ashr_i32 s7, s6, 31
	s_add_co_i32 s0, s0, 1
	s_lshl_b64 s[6:7], s[6:7], 2
	s_ashr_i32 s3, s2, 31
	s_add_nc_u64 s[4:5], s[4:5], s[6:7]
	s_mul_i32 s0, s8, s0
	s_bfe_u32 s6, ttmp6, 0x40008
	s_lshl_b64 s[2:3], s[2:3], 2
	s_add_co_i32 s6, s6, s0
	s_cmp_eq_u32 s30, 0
	v_lshlrev_b32_e32 v0, 1, v0
	s_cselect_b32 s0, s8, s6
	s_add_nc_u64 s[2:3], s[4:5], s[2:3]
	s_mulk_i32 s0, 0x300
	s_delay_alu instid0(SALU_CYCLE_1)
	s_add_nc_u64 s[0:1], s[2:3], s[0:1]
	s_clause 0xb
	global_store_b32 v0, v18, s[0:1]
	global_store_b32 v0, v19, s[0:1] offset:64
	global_store_b32 v0, v16, s[0:1] offset:128
	global_store_b32 v0, v17, s[0:1] offset:192
	global_store_b32 v0, v8, s[0:1] offset:256
	global_store_b32 v0, v9, s[0:1] offset:320
	global_store_b32 v0, v4, s[0:1] offset:384
	global_store_b32 v0, v5, s[0:1] offset:448
	global_store_b32 v0, v2, s[0:1] offset:512
	global_store_b32 v0, v3, s[0:1] offset:576
	global_store_b32 v0, v6, s[0:1] offset:640
	global_store_b32 v0, v7, s[0:1] offset:704
.LBB169_880:
	s_sendmsg sendmsg(MSG_DEALLOC_VGPRS)
	s_endpgm
.LBB169_881:
	ds_load_b32 v11, v1
	s_wait_dscnt 0x0
	v_add_f32_e32 v18, v18, v11
	s_or_b32 exec_lo, exec_lo, s0
	s_and_saveexec_b32 s0, vcc_lo
	s_cbranch_execz .LBB169_849
.LBB169_882:
	ds_load_b32 v11, v1 offset:64
	s_wait_dscnt 0x0
	v_add_f32_e32 v19, v19, v11
	s_or_b32 exec_lo, exec_lo, s0
	s_and_saveexec_b32 s0, vcc_lo
	s_cbranch_execz .LBB169_850
.LBB169_883:
	ds_load_b32 v11, v1 offset:128
	s_wait_dscnt 0x0
	v_add_f32_e32 v16, v16, v11
	s_or_b32 exec_lo, exec_lo, s0
	s_and_saveexec_b32 s0, vcc_lo
	s_cbranch_execz .LBB169_851
.LBB169_884:
	ds_load_b32 v11, v1 offset:192
	s_wait_dscnt 0x0
	v_add_f32_e32 v17, v17, v11
	s_or_b32 exec_lo, exec_lo, s0
	s_and_saveexec_b32 s0, vcc_lo
	s_cbranch_execz .LBB169_852
.LBB169_885:
	ds_load_b32 v11, v1 offset:256
	s_wait_dscnt 0x0
	v_add_f32_e32 v8, v8, v11
	s_or_b32 exec_lo, exec_lo, s0
	s_and_saveexec_b32 s0, vcc_lo
	s_cbranch_execz .LBB169_853
.LBB169_886:
	ds_load_b32 v11, v1 offset:320
	s_wait_dscnt 0x0
	v_add_f32_e32 v9, v9, v11
	s_or_b32 exec_lo, exec_lo, s0
	s_and_saveexec_b32 s0, vcc_lo
	s_cbranch_execz .LBB169_854
.LBB169_887:
	ds_load_b32 v11, v1 offset:384
	s_wait_dscnt 0x0
	v_add_f32_e32 v4, v4, v11
	s_or_b32 exec_lo, exec_lo, s0
	s_and_saveexec_b32 s0, vcc_lo
	s_cbranch_execz .LBB169_855
.LBB169_888:
	ds_load_b32 v11, v1 offset:448
	s_wait_dscnt 0x0
	v_add_f32_e32 v5, v5, v11
	s_or_b32 exec_lo, exec_lo, s0
	s_and_saveexec_b32 s0, vcc_lo
	s_cbranch_execz .LBB169_856
.LBB169_889:
	ds_load_b32 v11, v1 offset:512
	s_wait_dscnt 0x0
	v_add_f32_e32 v2, v2, v11
	s_or_b32 exec_lo, exec_lo, s0
	s_and_saveexec_b32 s0, vcc_lo
	s_cbranch_execz .LBB169_857
.LBB169_890:
	ds_load_b32 v11, v1 offset:576
	s_wait_dscnt 0x0
	v_add_f32_e32 v3, v3, v11
	s_or_b32 exec_lo, exec_lo, s0
	s_and_saveexec_b32 s0, vcc_lo
	s_cbranch_execz .LBB169_858
.LBB169_891:
	ds_load_b32 v11, v1 offset:640
	s_wait_dscnt 0x0
	v_add_f32_e32 v6, v6, v11
	s_or_b32 exec_lo, exec_lo, s0
	s_and_saveexec_b32 s0, vcc_lo
	s_cbranch_execnz .LBB169_859
	s_branch .LBB169_860
.LBB169_892:
	ds_load_b32 v10, v1
	s_wait_dscnt 0x0
	v_add_f32_e32 v18, v18, v10
	s_or_b32 exec_lo, exec_lo, s0
	s_and_saveexec_b32 s0, vcc_lo
	s_cbranch_execz .LBB169_866
.LBB169_893:
	ds_load_b32 v10, v1 offset:64
	s_wait_dscnt 0x0
	v_add_f32_e32 v19, v19, v10
	s_or_b32 exec_lo, exec_lo, s0
	s_and_saveexec_b32 s0, vcc_lo
	s_cbranch_execz .LBB169_867
.LBB169_894:
	ds_load_b32 v10, v1 offset:128
	s_wait_dscnt 0x0
	v_add_f32_e32 v16, v16, v10
	s_or_b32 exec_lo, exec_lo, s0
	s_and_saveexec_b32 s0, vcc_lo
	s_cbranch_execz .LBB169_868
.LBB169_895:
	ds_load_b32 v10, v1 offset:192
	s_wait_dscnt 0x0
	v_add_f32_e32 v17, v17, v10
	s_or_b32 exec_lo, exec_lo, s0
	s_and_saveexec_b32 s0, vcc_lo
	s_cbranch_execz .LBB169_869
.LBB169_896:
	ds_load_b32 v10, v1 offset:256
	s_wait_dscnt 0x0
	v_add_f32_e32 v8, v8, v10
	s_or_b32 exec_lo, exec_lo, s0
	s_and_saveexec_b32 s0, vcc_lo
	s_cbranch_execz .LBB169_870
.LBB169_897:
	ds_load_b32 v10, v1 offset:320
	s_wait_dscnt 0x0
	v_add_f32_e32 v9, v9, v10
	s_or_b32 exec_lo, exec_lo, s0
	s_and_saveexec_b32 s0, vcc_lo
	s_cbranch_execz .LBB169_871
.LBB169_898:
	ds_load_b32 v10, v1 offset:384
	s_wait_dscnt 0x0
	v_add_f32_e32 v4, v4, v10
	s_or_b32 exec_lo, exec_lo, s0
	s_and_saveexec_b32 s0, vcc_lo
	s_cbranch_execz .LBB169_872
.LBB169_899:
	ds_load_b32 v10, v1 offset:448
	s_wait_dscnt 0x0
	v_add_f32_e32 v5, v5, v10
	s_or_b32 exec_lo, exec_lo, s0
	s_and_saveexec_b32 s0, vcc_lo
	s_cbranch_execz .LBB169_873
.LBB169_900:
	ds_load_b32 v10, v1 offset:512
	s_wait_dscnt 0x0
	v_add_f32_e32 v2, v2, v10
	s_or_b32 exec_lo, exec_lo, s0
	s_and_saveexec_b32 s0, vcc_lo
	s_cbranch_execz .LBB169_874
.LBB169_901:
	ds_load_b32 v10, v1 offset:576
	s_wait_dscnt 0x0
	v_add_f32_e32 v3, v3, v10
	s_or_b32 exec_lo, exec_lo, s0
	s_and_saveexec_b32 s0, vcc_lo
	s_cbranch_execz .LBB169_875
.LBB169_902:
	ds_load_b32 v10, v1 offset:640
	s_wait_dscnt 0x0
	v_add_f32_e32 v6, v6, v10
	s_or_b32 exec_lo, exec_lo, s0
	s_and_saveexec_b32 s0, vcc_lo
	s_cbranch_execnz .LBB169_876
	s_branch .LBB169_877
	.section	.rodata,"a",@progbits
	.p2align	6, 0x0
	.amdhsa_kernel _ZN4vllm25paged_attention_v1_kernelIfhLi192ELi8ELi128ELNS_18Fp8KVCacheDataTypeE1ELb1EEEvPT_PKS2_PKT0_S8_ifPKiSA_iPKfiiiSC_SC_iiiii
		.amdhsa_group_segment_fixed_size 800
		.amdhsa_private_segment_fixed_size 0
		.amdhsa_kernarg_size 384
		.amdhsa_user_sgpr_count 2
		.amdhsa_user_sgpr_dispatch_ptr 0
		.amdhsa_user_sgpr_queue_ptr 0
		.amdhsa_user_sgpr_kernarg_segment_ptr 1
		.amdhsa_user_sgpr_dispatch_id 0
		.amdhsa_user_sgpr_kernarg_preload_length 0
		.amdhsa_user_sgpr_kernarg_preload_offset 0
		.amdhsa_user_sgpr_private_segment_size 0
		.amdhsa_wavefront_size32 1
		.amdhsa_uses_dynamic_stack 0
		.amdhsa_enable_private_segment 0
		.amdhsa_system_sgpr_workgroup_id_x 1
		.amdhsa_system_sgpr_workgroup_id_y 1
		.amdhsa_system_sgpr_workgroup_id_z 1
		.amdhsa_system_sgpr_workgroup_info 0
		.amdhsa_system_vgpr_workitem_id 0
		.amdhsa_next_free_vgpr 120
		.amdhsa_next_free_sgpr 46
		.amdhsa_named_barrier_count 0
		.amdhsa_reserve_vcc 1
		.amdhsa_float_round_mode_32 0
		.amdhsa_float_round_mode_16_64 0
		.amdhsa_float_denorm_mode_32 3
		.amdhsa_float_denorm_mode_16_64 3
		.amdhsa_fp16_overflow 0
		.amdhsa_memory_ordered 1
		.amdhsa_forward_progress 1
		.amdhsa_inst_pref_size 236
		.amdhsa_round_robin_scheduling 0
		.amdhsa_exception_fp_ieee_invalid_op 0
		.amdhsa_exception_fp_denorm_src 0
		.amdhsa_exception_fp_ieee_div_zero 0
		.amdhsa_exception_fp_ieee_overflow 0
		.amdhsa_exception_fp_ieee_underflow 0
		.amdhsa_exception_fp_ieee_inexact 0
		.amdhsa_exception_int_div_zero 0
	.end_amdhsa_kernel
	.section	.text._ZN4vllm25paged_attention_v1_kernelIfhLi192ELi8ELi128ELNS_18Fp8KVCacheDataTypeE1ELb1EEEvPT_PKS2_PKT0_S8_ifPKiSA_iPKfiiiSC_SC_iiiii,"axG",@progbits,_ZN4vllm25paged_attention_v1_kernelIfhLi192ELi8ELi128ELNS_18Fp8KVCacheDataTypeE1ELb1EEEvPT_PKS2_PKT0_S8_ifPKiSA_iPKfiiiSC_SC_iiiii,comdat
.Lfunc_end169:
	.size	_ZN4vllm25paged_attention_v1_kernelIfhLi192ELi8ELi128ELNS_18Fp8KVCacheDataTypeE1ELb1EEEvPT_PKS2_PKT0_S8_ifPKiSA_iPKfiiiSC_SC_iiiii, .Lfunc_end169-_ZN4vllm25paged_attention_v1_kernelIfhLi192ELi8ELi128ELNS_18Fp8KVCacheDataTypeE1ELb1EEEvPT_PKS2_PKT0_S8_ifPKiSA_iPKfiiiSC_SC_iiiii
                                        ; -- End function
	.set _ZN4vllm25paged_attention_v1_kernelIfhLi192ELi8ELi128ELNS_18Fp8KVCacheDataTypeE1ELb1EEEvPT_PKS2_PKT0_S8_ifPKiSA_iPKfiiiSC_SC_iiiii.num_vgpr, 120
	.set _ZN4vllm25paged_attention_v1_kernelIfhLi192ELi8ELi128ELNS_18Fp8KVCacheDataTypeE1ELb1EEEvPT_PKS2_PKT0_S8_ifPKiSA_iPKfiiiSC_SC_iiiii.num_agpr, 0
	.set _ZN4vllm25paged_attention_v1_kernelIfhLi192ELi8ELi128ELNS_18Fp8KVCacheDataTypeE1ELb1EEEvPT_PKS2_PKT0_S8_ifPKiSA_iPKfiiiSC_SC_iiiii.numbered_sgpr, 46
	.set _ZN4vllm25paged_attention_v1_kernelIfhLi192ELi8ELi128ELNS_18Fp8KVCacheDataTypeE1ELb1EEEvPT_PKS2_PKT0_S8_ifPKiSA_iPKfiiiSC_SC_iiiii.num_named_barrier, 0
	.set _ZN4vllm25paged_attention_v1_kernelIfhLi192ELi8ELi128ELNS_18Fp8KVCacheDataTypeE1ELb1EEEvPT_PKS2_PKT0_S8_ifPKiSA_iPKfiiiSC_SC_iiiii.private_seg_size, 0
	.set _ZN4vllm25paged_attention_v1_kernelIfhLi192ELi8ELi128ELNS_18Fp8KVCacheDataTypeE1ELb1EEEvPT_PKS2_PKT0_S8_ifPKiSA_iPKfiiiSC_SC_iiiii.uses_vcc, 1
	.set _ZN4vllm25paged_attention_v1_kernelIfhLi192ELi8ELi128ELNS_18Fp8KVCacheDataTypeE1ELb1EEEvPT_PKS2_PKT0_S8_ifPKiSA_iPKfiiiSC_SC_iiiii.uses_flat_scratch, 0
	.set _ZN4vllm25paged_attention_v1_kernelIfhLi192ELi8ELi128ELNS_18Fp8KVCacheDataTypeE1ELb1EEEvPT_PKS2_PKT0_S8_ifPKiSA_iPKfiiiSC_SC_iiiii.has_dyn_sized_stack, 0
	.set _ZN4vllm25paged_attention_v1_kernelIfhLi192ELi8ELi128ELNS_18Fp8KVCacheDataTypeE1ELb1EEEvPT_PKS2_PKT0_S8_ifPKiSA_iPKfiiiSC_SC_iiiii.has_recursion, 0
	.set _ZN4vllm25paged_attention_v1_kernelIfhLi192ELi8ELi128ELNS_18Fp8KVCacheDataTypeE1ELb1EEEvPT_PKS2_PKT0_S8_ifPKiSA_iPKfiiiSC_SC_iiiii.has_indirect_call, 0
	.section	.AMDGPU.csdata,"",@progbits
; Kernel info:
; codeLenInByte = 30176
; TotalNumSgprs: 48
; NumVgprs: 120
; ScratchSize: 0
; MemoryBound: 0
; FloatMode: 240
; IeeeMode: 1
; LDSByteSize: 800 bytes/workgroup (compile time only)
; SGPRBlocks: 0
; VGPRBlocks: 7
; NumSGPRsForWavesPerEU: 48
; NumVGPRsForWavesPerEU: 120
; NamedBarCnt: 0
; Occupancy: 8
; WaveLimiterHint : 1
; COMPUTE_PGM_RSRC2:SCRATCH_EN: 0
; COMPUTE_PGM_RSRC2:USER_SGPR: 2
; COMPUTE_PGM_RSRC2:TRAP_HANDLER: 0
; COMPUTE_PGM_RSRC2:TGID_X_EN: 1
; COMPUTE_PGM_RSRC2:TGID_Y_EN: 1
; COMPUTE_PGM_RSRC2:TGID_Z_EN: 1
; COMPUTE_PGM_RSRC2:TIDIG_COMP_CNT: 0
	.section	.text._ZN4vllm25paged_attention_v1_kernelIfhLi256ELi8ELi128ELNS_18Fp8KVCacheDataTypeE1ELb1EEEvPT_PKS2_PKT0_S8_ifPKiSA_iPKfiiiSC_SC_iiiii,"axG",@progbits,_ZN4vllm25paged_attention_v1_kernelIfhLi256ELi8ELi128ELNS_18Fp8KVCacheDataTypeE1ELb1EEEvPT_PKS2_PKT0_S8_ifPKiSA_iPKfiiiSC_SC_iiiii,comdat
	.protected	_ZN4vllm25paged_attention_v1_kernelIfhLi256ELi8ELi128ELNS_18Fp8KVCacheDataTypeE1ELb1EEEvPT_PKS2_PKT0_S8_ifPKiSA_iPKfiiiSC_SC_iiiii ; -- Begin function _ZN4vllm25paged_attention_v1_kernelIfhLi256ELi8ELi128ELNS_18Fp8KVCacheDataTypeE1ELb1EEEvPT_PKS2_PKT0_S8_ifPKiSA_iPKfiiiSC_SC_iiiii
	.globl	_ZN4vllm25paged_attention_v1_kernelIfhLi256ELi8ELi128ELNS_18Fp8KVCacheDataTypeE1ELb1EEEvPT_PKS2_PKT0_S8_ifPKiSA_iPKfiiiSC_SC_iiiii
	.p2align	8
	.type	_ZN4vllm25paged_attention_v1_kernelIfhLi256ELi8ELi128ELNS_18Fp8KVCacheDataTypeE1ELb1EEEvPT_PKS2_PKT0_S8_ifPKiSA_iPKfiiiSC_SC_iiiii,@function
_ZN4vllm25paged_attention_v1_kernelIfhLi256ELi8ELi128ELNS_18Fp8KVCacheDataTypeE1ELb1EEEvPT_PKS2_PKT0_S8_ifPKiSA_iPKfiiiSC_SC_iiiii: ; @_ZN4vllm25paged_attention_v1_kernelIfhLi256ELi8ELi128ELNS_18Fp8KVCacheDataTypeE1ELb1EEEvPT_PKS2_PKT0_S8_ifPKiSA_iPKfiiiSC_SC_iiiii
; %bb.0:
	s_load_b64 s[26:27], s[0:1], 0x20
	s_bfe_u32 s3, ttmp6, 0x4000c
	s_bfe_u32 s5, ttmp6, 0x40010
	s_and_b32 s4, ttmp7, 0xffff
	s_add_co_i32 s3, s3, 1
	s_add_co_i32 s5, s5, 1
	s_and_b32 s2, ttmp6, 15
	s_bfe_u32 s6, ttmp6, 0x40004
	s_mul_i32 s3, ttmp9, s3
	s_mul_i32 s5, s4, s5
	s_getreg_b32 s30, hwreg(HW_REG_IB_STS2, 6, 4)
	s_add_co_i32 s2, s2, s3
	s_add_co_i32 s3, s6, s5
	s_cmp_eq_u32 s30, 0
	s_clause 0x1
	s_load_b32 s31, s[0:1], 0x80
	s_load_b64 s[6:7], s[0:1], 0x30
	s_cselect_b32 s33, s4, s3
	s_cselect_b32 s2, ttmp9, s2
	s_wait_kmcnt 0x0
	s_abs_i32 s3, s26
	s_delay_alu instid0(SALU_CYCLE_1) | instskip(SKIP_1) | instid1(SALU_CYCLE_2)
	s_cvt_f32_u32 s4, s3
	s_sub_co_i32 s5, 0, s3
	v_rcp_iflag_f32_e32 v1, s4
	s_abs_i32 s8, s31
	v_nop
	s_delay_alu instid0(TRANS32_DEP_1) | instskip(SKIP_1) | instid1(SALU_CYCLE_3)
	v_readfirstlane_b32 s4, v1
	s_mul_f32 s4, s4, 0x4f7ffffe
	s_cvt_u32_f32 s4, s4
	s_delay_alu instid0(SALU_CYCLE_3) | instskip(NEXT) | instid1(SALU_CYCLE_1)
	s_mul_i32 s5, s5, s4
	s_mul_hi_u32 s5, s4, s5
	s_delay_alu instid0(SALU_CYCLE_1) | instskip(SKIP_4) | instid1(SALU_CYCLE_1)
	s_add_co_i32 s4, s4, s5
	s_xor_b32 s5, s31, s26
	s_mul_hi_u32 s4, s8, s4
	s_ashr_i32 s5, s5, 31
	s_mul_i32 s9, s4, s3
	s_sub_co_i32 s8, s8, s9
	s_add_co_i32 s9, s4, 1
	s_sub_co_i32 s10, s8, s3
	s_cmp_ge_u32 s8, s3
	s_cselect_b32 s4, s9, s4
	s_cselect_b32 s8, s10, s8
	s_add_co_i32 s9, s4, 1
	s_cmp_ge_u32 s8, s3
	s_load_b64 s[10:11], s[0:1], 0x40
	s_cselect_b32 s3, s9, s4
	s_delay_alu instid0(SALU_CYCLE_1) | instskip(NEXT) | instid1(SALU_CYCLE_1)
	s_xor_b32 s3, s3, s5
	s_sub_co_i32 s12, s3, s5
	s_mov_b32 s5, 0
	s_abs_i32 s19, s12
	s_mov_b32 s9, s5
	s_cvt_f32_u32 s3, s19
	s_sub_co_i32 s4, 0, s19
	s_mov_b32 s36, s5
	s_delay_alu instid0(SALU_CYCLE_1) | instskip(SKIP_1) | instid1(TRANS32_DEP_1)
	v_rcp_iflag_f32_e32 v1, s3
	v_nop
	v_readfirstlane_b32 s3, v1
	s_mul_f32 s3, s3, 0x4f7ffffe
	s_delay_alu instid0(SALU_CYCLE_3) | instskip(NEXT) | instid1(SALU_CYCLE_3)
	s_cvt_u32_f32 s3, s3
	s_mul_i32 s4, s4, s3
	s_delay_alu instid0(SALU_CYCLE_1)
	s_mul_hi_u32 s8, s3, s4
	s_abs_i32 s4, s2
	s_add_co_i32 s8, s3, s8
	s_wait_kmcnt 0x0
	s_cmp_eq_u64 s[10:11], 0
	s_cbranch_scc1 .LBB170_2
; %bb.1:
	s_ashr_i32 s3, s2, 31
	s_delay_alu instid0(SALU_CYCLE_1) | instskip(NEXT) | instid1(SALU_CYCLE_1)
	s_lshl_b64 s[14:15], s[2:3], 2
	s_add_nc_u64 s[10:11], s[10:11], s[14:15]
	s_load_b32 s36, s[10:11], 0x0
.LBB170_2:
	s_load_b32 s35, s[6:7], s33 offset:0x0 scale_offset
	s_clause 0x1
	s_load_b32 s34, s[0:1], 0x88
	s_load_b96 s[16:18], s[0:1], 0x48
	v_and_b32_e32 v2, 3, v0
	s_ashr_i32 s3, s2, 31
	s_ashr_i32 s20, s12, 31
	s_mul_u64 s[8:9], s[4:5], s[8:9]
	s_wait_xcnt 0x0
	s_lshl_b32 s6, s2, 8
	s_mov_b32 s5, exec_lo
	v_cmpx_gt_u32_e32 0x100, v0
	s_cbranch_execz .LBB170_5
; %bb.3:
	s_load_b64 s[10:11], s[0:1], 0x8
	s_wait_kmcnt 0x0
	s_mul_i32 s12, s16, s33
	s_ashr_i32 s7, s6, 31
	s_ashr_i32 s13, s12, 31
	v_and_b32_e32 v3, 0x3fc, v0
	s_lshl_b64 s[12:13], s[12:13], 2
	v_cmp_gt_u32_e32 vcc_lo, 0x80, v0
	s_delay_alu instid0(VALU_DEP_2) | instskip(SKIP_2) | instid1(SALU_CYCLE_1)
	v_lshl_add_u32 v4, v2, 8, v3
	s_add_nc_u64 s[10:11], s[10:11], s[12:13]
	s_lshl_b64 s[12:13], s[6:7], 2
	s_add_nc_u64 s[10:11], s[10:11], s[12:13]
	global_load_b32 v1, v0, s[10:11] scale_offset
	s_wait_loadcnt 0x0
	ds_store_b32 v4, v1
	s_and_b32 exec_lo, exec_lo, vcc_lo
	s_cbranch_execz .LBB170_5
; %bb.4:
	v_dual_lshrrev_b32 v1, 2, v0 :: v_dual_lshlrev_b32 v3, 2, v2
	s_delay_alu instid0(VALU_DEP_1) | instskip(NEXT) | instid1(VALU_DEP_1)
	v_lshlrev_b32_e32 v1, 4, v1
	v_or3_b32 v1, v1, v3, 0x200
	global_load_b32 v1, v1, s[10:11]
	s_wait_loadcnt 0x0
	ds_store_b32 v4, v1 offset:128
.LBB170_5:
	s_or_b32 exec_lo, exec_lo, s5
	s_clause 0x1
	s_load_b128 s[12:15], s[0:1], 0x68
	s_load_b32 s8, s[0:1], 0x78
	s_mul_i32 s5, s9, s19
	s_xor_b32 s3, s3, s20
	s_sub_co_i32 s4, s4, s5
	s_add_co_i32 s5, s9, 1
	s_sub_co_i32 s7, s4, s19
	s_cmp_ge_u32 s4, s19
	s_mov_b32 s10, -1
	s_cselect_b32 s5, s5, s9
	s_cselect_b32 s4, s7, s4
	s_add_co_i32 s7, s5, 1
	s_cmp_ge_u32 s4, s19
	s_wait_dscnt 0x0
	s_cselect_b32 s4, s7, s5
	s_wait_kmcnt 0x0
	s_add_co_i32 s9, s35, -1
	s_xor_b32 s4, s4, s3
	s_barrier_signal -1
	s_sub_co_i32 s3, s4, s3
	s_barrier_wait -1
	s_abs_i32 s7, s15
	s_delay_alu instid0(SALU_CYCLE_1) | instskip(NEXT) | instid1(SALU_CYCLE_3)
	s_cvt_f32_u32 s5, s7
	v_rcp_iflag_f32_e32 v1, s5
	v_nop
	s_delay_alu instid0(TRANS32_DEP_1) | instskip(SKIP_1) | instid1(SALU_CYCLE_3)
	v_readfirstlane_b32 s5, v1
	s_mul_f32 s4, s5, 0x4f7ffffe
	s_cvt_u32_f32 s11, s4
	s_sub_co_i32 s4, 0, s7
	s_delay_alu instid0(SALU_CYCLE_2)
	s_mul_i32 s5, s4, s11
	s_abs_i32 s4, s9
	s_mul_hi_u32 s16, s11, s5
	s_mov_b32 s5, 0
	s_add_co_i32 s20, s11, s16
	s_cmp_lt_i32 s8, 0
	s_mov_b32 s21, s5
                                        ; implicit-def: $sgpr16
	s_cbranch_scc0 .LBB170_7
; %bb.6:
	s_mul_i32 s10, s12, s26
	s_delay_alu instid0(SALU_CYCLE_1) | instskip(NEXT) | instid1(SALU_CYCLE_1)
	s_add_co_i32 s10, s3, s10
	s_mul_i32 s10, s10, s8
	s_delay_alu instid0(SALU_CYCLE_1)
	s_sub_co_i32 s16, 1, s10
	s_mov_b32 s10, s5
.LBB170_7:
	s_ashr_i32 s9, s9, 31
	s_ashr_i32 s15, s15, 31
	s_and_not1_b32 vcc_lo, exec_lo, s10
	s_mul_u64 s[28:29], s[4:5], s[20:21]
	s_cbranch_vccnz .LBB170_9
; %bb.8:
	s_mul_i32 s5, s31, s12
	s_delay_alu instid0(SALU_CYCLE_1) | instskip(NEXT) | instid1(SALU_CYCLE_1)
	s_add_co_i32 s2, s5, s2
	s_mul_i32 s2, s2, s8
	s_delay_alu instid0(SALU_CYCLE_1)
	s_add_co_i32 s16, s2, 1
.LBB170_9:
	s_clause 0x1
	s_load_b32 s2, s[0:1], 0x38
	s_load_b64 s[22:23], s[0:1], 0x28
	s_mul_i32 s8, s29, s7
	s_xor_b32 s5, s9, s15
	s_sub_co_i32 s4, s4, s8
	s_add_co_i32 s12, s29, 1
	s_load_b128 s[8:11], s[0:1], 0x58
	v_dual_mov_b32 v100, 0xff7fffff :: v_dual_lshrrev_b32 v1, 5, v0
	v_lshrrev_b32_e32 v26, 3, v0
	v_mbcnt_lo_u32_b32 v64, -1, 0
	s_mul_i32 s18, s3, s18
	s_delay_alu instid0(VALU_DEP_3)
	v_lshlrev_b32_e32 v50, 3, v1
	s_clause 0x1
	scratch_store_b32 off, v0, off offset:32
	scratch_store_b32 off, v1, off offset:36
	s_wait_kmcnt 0x0
	s_mul_i32 s24, s2, s33
	s_sub_co_i32 s2, s4, s7
	s_ashr_i32 s25, s24, 31
	s_cmp_ge_u32 s4, s7
	s_cselect_b32 s12, s12, s29
	s_cselect_b32 s2, s2, s4
	s_add_co_i32 s4, s12, 1
	s_cmp_ge_u32 s2, s7
	s_cselect_b32 s2, s4, s12
	s_add_co_i32 s4, s35, 7
	s_delay_alu instid0(SALU_CYCLE_1) | instskip(NEXT) | instid1(SALU_CYCLE_1)
	s_ashr_i32 s12, s4, 31
	s_lshr_b32 s12, s12, 29
	s_delay_alu instid0(SALU_CYCLE_1) | instskip(NEXT) | instid1(SALU_CYCLE_1)
	s_add_co_i32 s4, s4, s12
	s_ashr_i32 s12, s4, 3
	s_xor_b32 s4, s2, s5
	v_cmp_gt_i32_e64 s2, s12, v1
	s_sub_co_i32 s26, s4, s5
	s_wait_xcnt 0x0
	s_and_saveexec_b32 s37, s2
	s_cbranch_execz .LBB170_533
; %bb.10:
	s_clause 0x1
	scratch_load_b32 v0, off, off offset:32
	scratch_load_b32 v70, off, off offset:36
	s_sub_co_i32 s38, s26, s13
	s_ashr_i32 s19, s18, 31
	s_cmp_neq_f32 s36, 0
	s_load_b64 s[4:5], s[0:1], 0x10
	v_dual_mov_b32 v53, 0 :: v_dual_lshlrev_b32 v66, 8, v2
	s_cselect_b32 vcc_lo, -1, 0
	s_abs_i32 s39, s14
	s_lshl_b64 s[40:41], s[24:25], 2
	s_cvt_f32_u32 s28, s39
	s_sub_co_i32 s42, 0, s39
	v_cmp_eq_u32_e64 s3, 0, v2
	v_mov_b32_e32 v100, 0xff7fffff
	s_mov_b32 s29, 0
	s_wait_kmcnt 0x0
	s_add_nc_u64 s[4:5], s[4:5], s[18:19]
	s_wait_loadcnt 0x1
	v_bfe_u32 v101, v0, 2, 3
	v_rcp_iflag_f32_e32 v0, s28
	s_wait_loadcnt 0x0
	v_dual_mov_b32 v3, v53 :: v_dual_lshlrev_b32 v54, 3, v70
	s_delay_alu instid0(VALU_DEP_2) | instskip(SKIP_1) | instid1(TRANS32_DEP_1)
	v_dual_lshlrev_b32 v1, 2, v101 :: v_dual_lshlrev_b32 v52, 4, v101
	v_subrev_nc_u32_e32 v4, s35, v101
	v_readfirstlane_b32 s28, v0
	scratch_store_b32 off, v101, off offset:40 ; 4-byte Folded Spill
	v_lshl_or_b32 v5, v70, 5, v1
	v_add_nc_u64_e32 v[0:1], s[4:5], v[52:53]
	v_and_b32_e32 v52, 0x7c, v26
	s_mul_f32 s19, s28, 0x4f7ffffe
	s_add_nc_u64 s[4:5], s[22:23], s[40:41]
	v_add_nc_u32_e32 v98, 1, v4
	v_add_nc_u32_e32 v69, 0x420, v5
	s_cvt_u32_f32 s28, s19
	v_add_nc_u64_e32 v[56:57], s[4:5], v[52:53]
	v_add_nc_u64_e32 v[0:1], v[0:1], v[2:3]
	s_mov_b32 s19, s17
	s_mul_i32 s42, s42, s28
	s_mov_b32 s40, s29
	s_mul_hi_u32 s4, s28, s42
	s_delay_alu instid0(SALU_CYCLE_1)
	s_add_co_i32 s28, s28, s4
	s_clause 0x1
	scratch_store_b64 off, v[0:1], off offset:24
	scratch_store_b32 off, v26, off offset:44
	s_branch .LBB170_13
.LBB170_11:                             ;   in Loop: Header=BB170_13 Depth=1
	s_or_b32 exec_lo, exec_lo, s41
.LBB170_12:                             ;   in Loop: Header=BB170_13 Depth=1
	s_delay_alu instid0(SALU_CYCLE_1) | instskip(SKIP_4) | instid1(VALU_DEP_4)
	s_or_b32 exec_lo, exec_lo, s5
	v_add_nc_u32_e32 v70, 4, v70
	v_add_nc_u64_e32 v[56:57], 16, v[56:57]
	v_add_nc_u32_e32 v54, 32, v54
	v_add_nc_u32_e32 v69, 0x80, v69
	v_cmp_le_i32_e64 s4, s12, v70
	s_or_b32 s40, s4, s40
	s_delay_alu instid0(SALU_CYCLE_1)
	s_and_not1_b32 exec_lo, exec_lo, s40
	s_cbranch_execz .LBB170_532
.LBB170_13:                             ; =>This Inner Loop Header: Depth=1
	v_mov_b32_e32 v55, v53
	s_wait_xcnt 0x1
	s_wait_dscnt 0x0
	s_delay_alu instid0(VALU_DEP_1) | instskip(NEXT) | instid1(VALU_DEP_1)
	v_mul_u64_e32 v[0:1], s[20:21], v[54:55]
	v_mul_lo_u32 v0, v1, s7
	s_delay_alu instid0(VALU_DEP_1) | instskip(NEXT) | instid1(VALU_DEP_1)
	v_sub_nc_u32_e32 v0, v54, v0
	v_subrev_nc_u32_e32 v3, s7, v0
	v_cmp_le_u32_e64 s4, s7, v0
	s_delay_alu instid0(VALU_DEP_1) | instskip(NEXT) | instid1(VALU_DEP_1)
	v_dual_add_nc_u32 v2, 1, v1 :: v_dual_cndmask_b32 v0, v0, v3, s4
	v_cndmask_b32_e64 v1, v1, v2, s4
	s_delay_alu instid0(VALU_DEP_2) | instskip(NEXT) | instid1(VALU_DEP_2)
	v_cmp_le_u32_e64 s4, s7, v0
	v_add_nc_u32_e32 v2, 1, v1
	s_delay_alu instid0(VALU_DEP_1) | instskip(NEXT) | instid1(VALU_DEP_1)
	v_cndmask_b32_e64 v0, v1, v2, s4
	v_xor_b32_e32 v0, s15, v0
	s_delay_alu instid0(VALU_DEP_1) | instskip(NEXT) | instid1(VALU_DEP_1)
	v_subrev_nc_u32_e32 v2, s15, v0
	v_add_nc_u32_e32 v3, s16, v2
	v_cmp_ge_i32_e64 s5, s38, v2
	s_delay_alu instid0(VALU_DEP_2) | instskip(NEXT) | instid1(VALU_DEP_1)
	v_sub_nc_u32_e32 v0, 0, v3
	v_dual_ashrrev_i32 v3, 31, v3 :: v_dual_max_i32 v52, v3, v0
	s_delay_alu instid0(VALU_DEP_1) | instskip(NEXT) | instid1(VALU_DEP_1)
	v_mul_u64_e32 v[0:1], s[28:29], v[52:53]
	v_mul_lo_u32 v0, v1, s39
	s_delay_alu instid0(VALU_DEP_1) | instskip(NEXT) | instid1(VALU_DEP_1)
	v_sub_nc_u32_e32 v0, v52, v0
	v_subrev_nc_u32_e32 v1, s39, v0
	v_cmp_le_u32_e64 s4, s39, v0
	s_delay_alu instid0(VALU_DEP_1) | instskip(NEXT) | instid1(VALU_DEP_1)
	v_cndmask_b32_e64 v0, v0, v1, s4
	v_subrev_nc_u32_e32 v1, s39, v0
	v_cmp_le_u32_e64 s4, s39, v0
	s_delay_alu instid0(VALU_DEP_1) | instskip(NEXT) | instid1(VALU_DEP_1)
	v_cndmask_b32_e64 v0, v0, v1, s4
	v_xor_b32_e32 v0, v0, v3
	s_delay_alu instid0(VALU_DEP_1) | instskip(NEXT) | instid1(VALU_DEP_1)
	v_sub_nc_u32_e32 v0, v0, v3
	v_cmp_ne_u32_e64 s4, 0, v0
	s_and_b32 s4, s4, s5
	s_wait_xcnt 0x0
	s_and_saveexec_b32 s5, s4
	s_delay_alu instid0(SALU_CYCLE_1)
	s_xor_b32 s4, exec_lo, s5
	s_cbranch_execz .LBB170_17
; %bb.14:                               ;   in Loop: Header=BB170_13 Depth=1
	s_and_saveexec_b32 s5, s3
; %bb.15:                               ;   in Loop: Header=BB170_13 Depth=1
	v_mov_b32_e32 v0, 0xff7fffff
	ds_store_b32 v69, v0
; %bb.16:                               ;   in Loop: Header=BB170_13 Depth=1
	s_or_b32 exec_lo, exec_lo, s5
.LBB170_17:                             ;   in Loop: Header=BB170_13 Depth=1
	s_and_not1_saveexec_b32 s5, s4
	s_cbranch_execz .LBB170_12
; %bb.18:                               ;   in Loop: Header=BB170_13 Depth=1
	global_load_b32 v0, v[56:57], off
	scratch_load_b64 v[2:3], off, off offset:24 ; 8-byte Folded Reload
	v_dual_mov_b32 v73, 0 :: v_dual_mov_b32 v75, 0
	s_mov_b32 s42, exec_lo
	s_wait_loadcnt 0x0
	v_mad_nc_i64_i32 v[62:63], v0, s19, v[2:3]
	ds_load_b128 v[2:5], v66
	global_load_u8 v1, v[62:63], off
	s_wait_dscnt 0x0
	scratch_store_b128 off, v[2:5], off offset:8 ; 16-byte Folded Spill
	ds_load_b128 v[42:45], v66 offset:16
	ds_load_b128 v[38:41], v66 offset:32
	ds_load_b128 v[34:37], v66 offset:48
	ds_load_b128 v[30:33], v66 offset:64
	ds_load_b128 v[26:29], v66 offset:80
	ds_load_b128 v[22:25], v66 offset:96
	ds_load_b128 v[18:21], v66 offset:112
	ds_load_b128 v[14:17], v66 offset:128
	ds_load_b128 v[10:13], v66 offset:144
	ds_load_b128 v[6:9], v66 offset:160
	s_wait_xcnt 0x0
	ds_load_b128 v[2:5], v66 offset:176
	ds_load_b64 v[58:59], v66 offset:192
	s_load_b32 s41, s[8:9], 0x0
	s_wait_dscnt 0x0
	scratch_store_b64 off, v[58:59], off    ; 8-byte Folded Spill
	s_wait_loadcnt 0x0
	s_wait_xcnt 0x0
	v_cmpx_ne_u16_e32 0, v1
	s_cbranch_execz .LBB170_26
; %bb.19:                               ;   in Loop: Header=BB170_13 Depth=1
	v_bfrev_b32_e32 v75, 1
	s_mov_b32 s43, exec_lo
	v_cmpx_ne_u16_e32 0x80, v1
	s_cbranch_execz .LBB170_25
; %bb.20:                               ;   in Loop: Header=BB170_13 Depth=1
	v_and_b32_e32 v0, 0xffff, v1
	v_mov_b32_e32 v75, 0x7f800001
	s_mov_b32 s44, exec_lo
	s_delay_alu instid0(VALU_DEP_2) | instskip(NEXT) | instid1(VALU_DEP_1)
	v_and_b32_e32 v58, 0x7f, v0
	v_cmpx_ne_u32_e32 0x7f, v58
	s_cbranch_execz .LBB170_24
; %bb.21:                               ;   in Loop: Header=BB170_13 Depth=1
	v_dual_lshrrev_b32 v51, 3, v58 :: v_dual_bitop2_b32 v52, 7, v0 bitop3:0x40
	s_mov_b32 s45, exec_lo
	v_cmpx_gt_u32_e32 8, v58
; %bb.22:                               ;   in Loop: Header=BB170_13 Depth=1
	s_delay_alu instid0(VALU_DEP_2) | instskip(NEXT) | instid1(VALU_DEP_1)
	v_clz_i32_u32_e32 v0, v52
	v_min_u32_e32 v0, 32, v0
	s_delay_alu instid0(VALU_DEP_1) | instskip(NEXT) | instid1(VALU_DEP_1)
	v_subrev_nc_u32_e32 v51, 28, v0
	v_lshlrev_b64_e32 v[58:59], v51, v[52:53]
	s_delay_alu instid0(VALU_DEP_1)
	v_dual_sub_nc_u32 v51, 29, v0 :: v_dual_bitop2_b32 v52, 7, v58 bitop3:0x40
; %bb.23:                               ;   in Loop: Header=BB170_13 Depth=1
	s_or_b32 exec_lo, exec_lo, s45
	s_delay_alu instid0(VALU_DEP_1) | instskip(NEXT) | instid1(VALU_DEP_2)
	v_dual_lshlrev_b32 v0, 24, v1 :: v_dual_lshlrev_b32 v1, 20, v52
	v_lshl_add_u32 v51, v51, 23, 0x3c000000
	s_delay_alu instid0(VALU_DEP_2) | instskip(NEXT) | instid1(VALU_DEP_1)
	v_and_b32_e32 v0, 0x80000000, v0
	v_or3_b32 v75, v1, v0, v51
.LBB170_24:                             ;   in Loop: Header=BB170_13 Depth=1
	s_or_b32 exec_lo, exec_lo, s44
.LBB170_25:                             ;   in Loop: Header=BB170_13 Depth=1
	s_delay_alu instid0(SALU_CYCLE_1)
	s_or_b32 exec_lo, exec_lo, s43
.LBB170_26:                             ;   in Loop: Header=BB170_13 Depth=1
	s_delay_alu instid0(SALU_CYCLE_1)
	s_or_b32 exec_lo, exec_lo, s42
	global_load_u8 v1, v[62:63], off offset:4
	s_mov_b32 s42, exec_lo
	s_wait_loadcnt 0x0
	s_wait_xcnt 0x0
	v_cmpx_ne_u16_e32 0, v1
	s_cbranch_execz .LBB170_34
; %bb.27:                               ;   in Loop: Header=BB170_13 Depth=1
	v_bfrev_b32_e32 v73, 1
	s_mov_b32 s43, exec_lo
	v_cmpx_ne_u16_e32 0x80, v1
	s_cbranch_execz .LBB170_33
; %bb.28:                               ;   in Loop: Header=BB170_13 Depth=1
	v_and_b32_e32 v0, 0xffff, v1
	v_mov_b32_e32 v73, 0x7f800001
	s_mov_b32 s44, exec_lo
	s_delay_alu instid0(VALU_DEP_2) | instskip(NEXT) | instid1(VALU_DEP_1)
	v_and_b32_e32 v58, 0x7f, v0
	v_cmpx_ne_u32_e32 0x7f, v58
	s_cbranch_execz .LBB170_32
; %bb.29:                               ;   in Loop: Header=BB170_13 Depth=1
	v_dual_lshrrev_b32 v51, 3, v58 :: v_dual_bitop2_b32 v52, 7, v0 bitop3:0x40
	s_mov_b32 s45, exec_lo
	v_cmpx_gt_u32_e32 8, v58
; %bb.30:                               ;   in Loop: Header=BB170_13 Depth=1
	s_delay_alu instid0(VALU_DEP_2) | instskip(NEXT) | instid1(VALU_DEP_1)
	v_clz_i32_u32_e32 v0, v52
	v_min_u32_e32 v0, 32, v0
	s_delay_alu instid0(VALU_DEP_1) | instskip(NEXT) | instid1(VALU_DEP_1)
	v_subrev_nc_u32_e32 v51, 28, v0
	v_lshlrev_b64_e32 v[58:59], v51, v[52:53]
	s_delay_alu instid0(VALU_DEP_1)
	v_dual_sub_nc_u32 v51, 29, v0 :: v_dual_bitop2_b32 v52, 7, v58 bitop3:0x40
; %bb.31:                               ;   in Loop: Header=BB170_13 Depth=1
	s_or_b32 exec_lo, exec_lo, s45
	s_delay_alu instid0(VALU_DEP_1) | instskip(NEXT) | instid1(VALU_DEP_2)
	v_dual_lshlrev_b32 v0, 24, v1 :: v_dual_lshlrev_b32 v1, 20, v52
	v_lshl_add_u32 v51, v51, 23, 0x3c000000
	s_delay_alu instid0(VALU_DEP_2) | instskip(NEXT) | instid1(VALU_DEP_1)
	v_and_b32_e32 v0, 0x80000000, v0
	v_or3_b32 v73, v1, v0, v51
.LBB170_32:                             ;   in Loop: Header=BB170_13 Depth=1
	s_or_b32 exec_lo, exec_lo, s44
.LBB170_33:                             ;   in Loop: Header=BB170_13 Depth=1
	s_delay_alu instid0(SALU_CYCLE_1)
	s_or_b32 exec_lo, exec_lo, s43
.LBB170_34:                             ;   in Loop: Header=BB170_13 Depth=1
	s_delay_alu instid0(SALU_CYCLE_1)
	s_or_b32 exec_lo, exec_lo, s42
	global_load_u8 v1, v[62:63], off offset:8
	v_dual_mov_b32 v77, 0 :: v_dual_mov_b32 v79, 0
	s_mov_b32 s42, exec_lo
	s_wait_loadcnt 0x0
	s_wait_xcnt 0x0
	v_cmpx_ne_u16_e32 0, v1
	s_cbranch_execz .LBB170_42
; %bb.35:                               ;   in Loop: Header=BB170_13 Depth=1
	v_bfrev_b32_e32 v79, 1
	s_mov_b32 s43, exec_lo
	v_cmpx_ne_u16_e32 0x80, v1
	s_cbranch_execz .LBB170_41
; %bb.36:                               ;   in Loop: Header=BB170_13 Depth=1
	v_and_b32_e32 v0, 0xffff, v1
	v_mov_b32_e32 v79, 0x7f800001
	s_mov_b32 s44, exec_lo
	s_delay_alu instid0(VALU_DEP_2) | instskip(NEXT) | instid1(VALU_DEP_1)
	v_and_b32_e32 v58, 0x7f, v0
	v_cmpx_ne_u32_e32 0x7f, v58
	s_cbranch_execz .LBB170_40
; %bb.37:                               ;   in Loop: Header=BB170_13 Depth=1
	v_dual_lshrrev_b32 v51, 3, v58 :: v_dual_bitop2_b32 v52, 7, v0 bitop3:0x40
	s_mov_b32 s45, exec_lo
	v_cmpx_gt_u32_e32 8, v58
; %bb.38:                               ;   in Loop: Header=BB170_13 Depth=1
	s_delay_alu instid0(VALU_DEP_2) | instskip(NEXT) | instid1(VALU_DEP_1)
	v_clz_i32_u32_e32 v0, v52
	v_min_u32_e32 v0, 32, v0
	s_delay_alu instid0(VALU_DEP_1) | instskip(NEXT) | instid1(VALU_DEP_1)
	v_subrev_nc_u32_e32 v51, 28, v0
	v_lshlrev_b64_e32 v[58:59], v51, v[52:53]
	s_delay_alu instid0(VALU_DEP_1)
	v_dual_sub_nc_u32 v51, 29, v0 :: v_dual_bitop2_b32 v52, 7, v58 bitop3:0x40
; %bb.39:                               ;   in Loop: Header=BB170_13 Depth=1
	s_or_b32 exec_lo, exec_lo, s45
	s_delay_alu instid0(VALU_DEP_1) | instskip(NEXT) | instid1(VALU_DEP_2)
	v_dual_lshlrev_b32 v0, 24, v1 :: v_dual_lshlrev_b32 v1, 20, v52
	v_lshl_add_u32 v51, v51, 23, 0x3c000000
	s_delay_alu instid0(VALU_DEP_2) | instskip(NEXT) | instid1(VALU_DEP_1)
	v_and_b32_e32 v0, 0x80000000, v0
	v_or3_b32 v79, v1, v0, v51
.LBB170_40:                             ;   in Loop: Header=BB170_13 Depth=1
	s_or_b32 exec_lo, exec_lo, s44
.LBB170_41:                             ;   in Loop: Header=BB170_13 Depth=1
	s_delay_alu instid0(SALU_CYCLE_1)
	s_or_b32 exec_lo, exec_lo, s43
.LBB170_42:                             ;   in Loop: Header=BB170_13 Depth=1
	s_delay_alu instid0(SALU_CYCLE_1)
	s_or_b32 exec_lo, exec_lo, s42
	global_load_u8 v1, v[62:63], off offset:12
	s_mov_b32 s42, exec_lo
	s_wait_loadcnt 0x0
	s_wait_xcnt 0x0
	v_cmpx_ne_u16_e32 0, v1
	s_cbranch_execz .LBB170_50
; %bb.43:                               ;   in Loop: Header=BB170_13 Depth=1
	v_bfrev_b32_e32 v77, 1
	s_mov_b32 s43, exec_lo
	v_cmpx_ne_u16_e32 0x80, v1
	s_cbranch_execz .LBB170_49
; %bb.44:                               ;   in Loop: Header=BB170_13 Depth=1
	v_and_b32_e32 v0, 0xffff, v1
	v_mov_b32_e32 v77, 0x7f800001
	s_mov_b32 s44, exec_lo
	s_delay_alu instid0(VALU_DEP_2) | instskip(NEXT) | instid1(VALU_DEP_1)
	v_and_b32_e32 v58, 0x7f, v0
	v_cmpx_ne_u32_e32 0x7f, v58
	s_cbranch_execz .LBB170_48
; %bb.45:                               ;   in Loop: Header=BB170_13 Depth=1
	v_dual_lshrrev_b32 v51, 3, v58 :: v_dual_bitop2_b32 v52, 7, v0 bitop3:0x40
	s_mov_b32 s45, exec_lo
	v_cmpx_gt_u32_e32 8, v58
; %bb.46:                               ;   in Loop: Header=BB170_13 Depth=1
	s_delay_alu instid0(VALU_DEP_2) | instskip(NEXT) | instid1(VALU_DEP_1)
	v_clz_i32_u32_e32 v0, v52
	v_min_u32_e32 v0, 32, v0
	s_delay_alu instid0(VALU_DEP_1) | instskip(NEXT) | instid1(VALU_DEP_1)
	v_subrev_nc_u32_e32 v51, 28, v0
	v_lshlrev_b64_e32 v[58:59], v51, v[52:53]
	s_delay_alu instid0(VALU_DEP_1)
	v_dual_sub_nc_u32 v51, 29, v0 :: v_dual_bitop2_b32 v52, 7, v58 bitop3:0x40
; %bb.47:                               ;   in Loop: Header=BB170_13 Depth=1
	s_or_b32 exec_lo, exec_lo, s45
	s_delay_alu instid0(VALU_DEP_1) | instskip(NEXT) | instid1(VALU_DEP_2)
	v_dual_lshlrev_b32 v0, 24, v1 :: v_dual_lshlrev_b32 v1, 20, v52
	v_lshl_add_u32 v51, v51, 23, 0x3c000000
	s_delay_alu instid0(VALU_DEP_2) | instskip(NEXT) | instid1(VALU_DEP_1)
	v_and_b32_e32 v0, 0x80000000, v0
	v_or3_b32 v77, v1, v0, v51
.LBB170_48:                             ;   in Loop: Header=BB170_13 Depth=1
	s_or_b32 exec_lo, exec_lo, s44
.LBB170_49:                             ;   in Loop: Header=BB170_13 Depth=1
	s_delay_alu instid0(SALU_CYCLE_1)
	s_or_b32 exec_lo, exec_lo, s43
.LBB170_50:                             ;   in Loop: Header=BB170_13 Depth=1
	s_delay_alu instid0(SALU_CYCLE_1)
	s_or_b32 exec_lo, exec_lo, s42
	global_load_u8 v1, v[62:63], off offset:128
	v_dual_mov_b32 v81, 0 :: v_dual_mov_b32 v83, 0
	s_mov_b32 s42, exec_lo
	s_wait_loadcnt 0x0
	s_wait_xcnt 0x0
	v_cmpx_ne_u16_e32 0, v1
	s_cbranch_execz .LBB170_58
; %bb.51:                               ;   in Loop: Header=BB170_13 Depth=1
	v_bfrev_b32_e32 v83, 1
	s_mov_b32 s43, exec_lo
	v_cmpx_ne_u16_e32 0x80, v1
	s_cbranch_execz .LBB170_57
; %bb.52:                               ;   in Loop: Header=BB170_13 Depth=1
	v_and_b32_e32 v0, 0xffff, v1
	v_mov_b32_e32 v83, 0x7f800001
	s_mov_b32 s44, exec_lo
	s_delay_alu instid0(VALU_DEP_2) | instskip(NEXT) | instid1(VALU_DEP_1)
	v_and_b32_e32 v58, 0x7f, v0
	v_cmpx_ne_u32_e32 0x7f, v58
	s_cbranch_execz .LBB170_56
; %bb.53:                               ;   in Loop: Header=BB170_13 Depth=1
	v_dual_lshrrev_b32 v51, 3, v58 :: v_dual_bitop2_b32 v52, 7, v0 bitop3:0x40
	s_mov_b32 s45, exec_lo
	v_cmpx_gt_u32_e32 8, v58
; %bb.54:                               ;   in Loop: Header=BB170_13 Depth=1
	s_delay_alu instid0(VALU_DEP_2) | instskip(NEXT) | instid1(VALU_DEP_1)
	v_clz_i32_u32_e32 v0, v52
	v_min_u32_e32 v0, 32, v0
	s_delay_alu instid0(VALU_DEP_1) | instskip(NEXT) | instid1(VALU_DEP_1)
	v_subrev_nc_u32_e32 v51, 28, v0
	v_lshlrev_b64_e32 v[58:59], v51, v[52:53]
	s_delay_alu instid0(VALU_DEP_1)
	v_dual_sub_nc_u32 v51, 29, v0 :: v_dual_bitop2_b32 v52, 7, v58 bitop3:0x40
; %bb.55:                               ;   in Loop: Header=BB170_13 Depth=1
	s_or_b32 exec_lo, exec_lo, s45
	s_delay_alu instid0(VALU_DEP_1) | instskip(NEXT) | instid1(VALU_DEP_2)
	v_dual_lshlrev_b32 v0, 24, v1 :: v_dual_lshlrev_b32 v1, 20, v52
	v_lshl_add_u32 v51, v51, 23, 0x3c000000
	s_delay_alu instid0(VALU_DEP_2) | instskip(NEXT) | instid1(VALU_DEP_1)
	v_and_b32_e32 v0, 0x80000000, v0
	v_or3_b32 v83, v1, v0, v51
.LBB170_56:                             ;   in Loop: Header=BB170_13 Depth=1
	s_or_b32 exec_lo, exec_lo, s44
.LBB170_57:                             ;   in Loop: Header=BB170_13 Depth=1
	s_delay_alu instid0(SALU_CYCLE_1)
	s_or_b32 exec_lo, exec_lo, s43
.LBB170_58:                             ;   in Loop: Header=BB170_13 Depth=1
	s_delay_alu instid0(SALU_CYCLE_1)
	s_or_b32 exec_lo, exec_lo, s42
	global_load_u8 v1, v[62:63], off offset:132
	s_mov_b32 s42, exec_lo
	s_wait_loadcnt 0x0
	s_wait_xcnt 0x0
	v_cmpx_ne_u16_e32 0, v1
	s_cbranch_execz .LBB170_66
; %bb.59:                               ;   in Loop: Header=BB170_13 Depth=1
	v_bfrev_b32_e32 v81, 1
	s_mov_b32 s43, exec_lo
	v_cmpx_ne_u16_e32 0x80, v1
	s_cbranch_execz .LBB170_65
; %bb.60:                               ;   in Loop: Header=BB170_13 Depth=1
	v_and_b32_e32 v0, 0xffff, v1
	v_mov_b32_e32 v81, 0x7f800001
	s_mov_b32 s44, exec_lo
	s_delay_alu instid0(VALU_DEP_2) | instskip(NEXT) | instid1(VALU_DEP_1)
	v_and_b32_e32 v58, 0x7f, v0
	v_cmpx_ne_u32_e32 0x7f, v58
	s_cbranch_execz .LBB170_64
; %bb.61:                               ;   in Loop: Header=BB170_13 Depth=1
	v_dual_lshrrev_b32 v51, 3, v58 :: v_dual_bitop2_b32 v52, 7, v0 bitop3:0x40
	s_mov_b32 s45, exec_lo
	v_cmpx_gt_u32_e32 8, v58
; %bb.62:                               ;   in Loop: Header=BB170_13 Depth=1
	s_delay_alu instid0(VALU_DEP_2) | instskip(NEXT) | instid1(VALU_DEP_1)
	v_clz_i32_u32_e32 v0, v52
	v_min_u32_e32 v0, 32, v0
	s_delay_alu instid0(VALU_DEP_1) | instskip(NEXT) | instid1(VALU_DEP_1)
	v_subrev_nc_u32_e32 v51, 28, v0
	v_lshlrev_b64_e32 v[58:59], v51, v[52:53]
	s_delay_alu instid0(VALU_DEP_1)
	v_dual_sub_nc_u32 v51, 29, v0 :: v_dual_bitop2_b32 v52, 7, v58 bitop3:0x40
; %bb.63:                               ;   in Loop: Header=BB170_13 Depth=1
	s_or_b32 exec_lo, exec_lo, s45
	s_delay_alu instid0(VALU_DEP_1) | instskip(NEXT) | instid1(VALU_DEP_2)
	v_dual_lshlrev_b32 v0, 24, v1 :: v_dual_lshlrev_b32 v1, 20, v52
	v_lshl_add_u32 v51, v51, 23, 0x3c000000
	s_delay_alu instid0(VALU_DEP_2) | instskip(NEXT) | instid1(VALU_DEP_1)
	v_and_b32_e32 v0, 0x80000000, v0
	v_or3_b32 v81, v1, v0, v51
.LBB170_64:                             ;   in Loop: Header=BB170_13 Depth=1
	s_or_b32 exec_lo, exec_lo, s44
.LBB170_65:                             ;   in Loop: Header=BB170_13 Depth=1
	s_delay_alu instid0(SALU_CYCLE_1)
	s_or_b32 exec_lo, exec_lo, s43
.LBB170_66:                             ;   in Loop: Header=BB170_13 Depth=1
	s_delay_alu instid0(SALU_CYCLE_1)
	s_or_b32 exec_lo, exec_lo, s42
	global_load_u8 v1, v[62:63], off offset:136
	v_dual_mov_b32 v85, 0 :: v_dual_mov_b32 v87, 0
	s_mov_b32 s42, exec_lo
	s_wait_loadcnt 0x0
	s_wait_xcnt 0x0
	v_cmpx_ne_u16_e32 0, v1
	s_cbranch_execz .LBB170_74
; %bb.67:                               ;   in Loop: Header=BB170_13 Depth=1
	v_bfrev_b32_e32 v87, 1
	s_mov_b32 s43, exec_lo
	v_cmpx_ne_u16_e32 0x80, v1
	s_cbranch_execz .LBB170_73
; %bb.68:                               ;   in Loop: Header=BB170_13 Depth=1
	v_and_b32_e32 v0, 0xffff, v1
	v_mov_b32_e32 v87, 0x7f800001
	s_mov_b32 s44, exec_lo
	s_delay_alu instid0(VALU_DEP_2) | instskip(NEXT) | instid1(VALU_DEP_1)
	v_and_b32_e32 v58, 0x7f, v0
	v_cmpx_ne_u32_e32 0x7f, v58
	s_cbranch_execz .LBB170_72
; %bb.69:                               ;   in Loop: Header=BB170_13 Depth=1
	v_dual_lshrrev_b32 v51, 3, v58 :: v_dual_bitop2_b32 v52, 7, v0 bitop3:0x40
	s_mov_b32 s45, exec_lo
	v_cmpx_gt_u32_e32 8, v58
; %bb.70:                               ;   in Loop: Header=BB170_13 Depth=1
	s_delay_alu instid0(VALU_DEP_2) | instskip(NEXT) | instid1(VALU_DEP_1)
	v_clz_i32_u32_e32 v0, v52
	v_min_u32_e32 v0, 32, v0
	s_delay_alu instid0(VALU_DEP_1) | instskip(NEXT) | instid1(VALU_DEP_1)
	v_subrev_nc_u32_e32 v51, 28, v0
	v_lshlrev_b64_e32 v[58:59], v51, v[52:53]
	s_delay_alu instid0(VALU_DEP_1)
	v_dual_sub_nc_u32 v51, 29, v0 :: v_dual_bitop2_b32 v52, 7, v58 bitop3:0x40
; %bb.71:                               ;   in Loop: Header=BB170_13 Depth=1
	s_or_b32 exec_lo, exec_lo, s45
	s_delay_alu instid0(VALU_DEP_1) | instskip(NEXT) | instid1(VALU_DEP_2)
	v_dual_lshlrev_b32 v0, 24, v1 :: v_dual_lshlrev_b32 v1, 20, v52
	v_lshl_add_u32 v51, v51, 23, 0x3c000000
	s_delay_alu instid0(VALU_DEP_2) | instskip(NEXT) | instid1(VALU_DEP_1)
	v_and_b32_e32 v0, 0x80000000, v0
	v_or3_b32 v87, v1, v0, v51
.LBB170_72:                             ;   in Loop: Header=BB170_13 Depth=1
	s_or_b32 exec_lo, exec_lo, s44
.LBB170_73:                             ;   in Loop: Header=BB170_13 Depth=1
	s_delay_alu instid0(SALU_CYCLE_1)
	s_or_b32 exec_lo, exec_lo, s43
.LBB170_74:                             ;   in Loop: Header=BB170_13 Depth=1
	s_delay_alu instid0(SALU_CYCLE_1)
	s_or_b32 exec_lo, exec_lo, s42
	global_load_u8 v1, v[62:63], off offset:140
	s_mov_b32 s42, exec_lo
	s_wait_loadcnt 0x0
	s_wait_xcnt 0x0
	v_cmpx_ne_u16_e32 0, v1
	s_cbranch_execz .LBB170_82
; %bb.75:                               ;   in Loop: Header=BB170_13 Depth=1
	v_bfrev_b32_e32 v85, 1
	s_mov_b32 s43, exec_lo
	v_cmpx_ne_u16_e32 0x80, v1
	s_cbranch_execz .LBB170_81
; %bb.76:                               ;   in Loop: Header=BB170_13 Depth=1
	v_and_b32_e32 v0, 0xffff, v1
	v_mov_b32_e32 v85, 0x7f800001
	s_mov_b32 s44, exec_lo
	s_delay_alu instid0(VALU_DEP_2) | instskip(NEXT) | instid1(VALU_DEP_1)
	v_and_b32_e32 v58, 0x7f, v0
	v_cmpx_ne_u32_e32 0x7f, v58
	s_cbranch_execz .LBB170_80
; %bb.77:                               ;   in Loop: Header=BB170_13 Depth=1
	v_dual_lshrrev_b32 v51, 3, v58 :: v_dual_bitop2_b32 v52, 7, v0 bitop3:0x40
	s_mov_b32 s45, exec_lo
	v_cmpx_gt_u32_e32 8, v58
; %bb.78:                               ;   in Loop: Header=BB170_13 Depth=1
	s_delay_alu instid0(VALU_DEP_2) | instskip(NEXT) | instid1(VALU_DEP_1)
	v_clz_i32_u32_e32 v0, v52
	v_min_u32_e32 v0, 32, v0
	s_delay_alu instid0(VALU_DEP_1) | instskip(NEXT) | instid1(VALU_DEP_1)
	v_subrev_nc_u32_e32 v51, 28, v0
	v_lshlrev_b64_e32 v[58:59], v51, v[52:53]
	s_delay_alu instid0(VALU_DEP_1)
	v_dual_sub_nc_u32 v51, 29, v0 :: v_dual_bitop2_b32 v52, 7, v58 bitop3:0x40
; %bb.79:                               ;   in Loop: Header=BB170_13 Depth=1
	s_or_b32 exec_lo, exec_lo, s45
	s_delay_alu instid0(VALU_DEP_1) | instskip(NEXT) | instid1(VALU_DEP_2)
	v_dual_lshlrev_b32 v0, 24, v1 :: v_dual_lshlrev_b32 v1, 20, v52
	v_lshl_add_u32 v51, v51, 23, 0x3c000000
	s_delay_alu instid0(VALU_DEP_2) | instskip(NEXT) | instid1(VALU_DEP_1)
	v_and_b32_e32 v0, 0x80000000, v0
	v_or3_b32 v85, v1, v0, v51
.LBB170_80:                             ;   in Loop: Header=BB170_13 Depth=1
	s_or_b32 exec_lo, exec_lo, s44
.LBB170_81:                             ;   in Loop: Header=BB170_13 Depth=1
	s_delay_alu instid0(SALU_CYCLE_1)
	s_or_b32 exec_lo, exec_lo, s43
.LBB170_82:                             ;   in Loop: Header=BB170_13 Depth=1
	s_delay_alu instid0(SALU_CYCLE_1)
	s_or_b32 exec_lo, exec_lo, s42
	global_load_u8 v1, v[62:63], off offset:256
	v_dual_mov_b32 v89, 0 :: v_dual_mov_b32 v91, 0
	s_mov_b32 s42, exec_lo
	s_wait_loadcnt 0x0
	s_wait_xcnt 0x0
	v_cmpx_ne_u16_e32 0, v1
	s_cbranch_execz .LBB170_90
; %bb.83:                               ;   in Loop: Header=BB170_13 Depth=1
	v_bfrev_b32_e32 v91, 1
	s_mov_b32 s43, exec_lo
	v_cmpx_ne_u16_e32 0x80, v1
	s_cbranch_execz .LBB170_89
; %bb.84:                               ;   in Loop: Header=BB170_13 Depth=1
	v_and_b32_e32 v0, 0xffff, v1
	v_mov_b32_e32 v91, 0x7f800001
	s_mov_b32 s44, exec_lo
	s_delay_alu instid0(VALU_DEP_2) | instskip(NEXT) | instid1(VALU_DEP_1)
	v_and_b32_e32 v58, 0x7f, v0
	v_cmpx_ne_u32_e32 0x7f, v58
	s_cbranch_execz .LBB170_88
; %bb.85:                               ;   in Loop: Header=BB170_13 Depth=1
	v_dual_lshrrev_b32 v51, 3, v58 :: v_dual_bitop2_b32 v52, 7, v0 bitop3:0x40
	s_mov_b32 s45, exec_lo
	v_cmpx_gt_u32_e32 8, v58
; %bb.86:                               ;   in Loop: Header=BB170_13 Depth=1
	s_delay_alu instid0(VALU_DEP_2) | instskip(NEXT) | instid1(VALU_DEP_1)
	v_clz_i32_u32_e32 v0, v52
	v_min_u32_e32 v0, 32, v0
	s_delay_alu instid0(VALU_DEP_1) | instskip(NEXT) | instid1(VALU_DEP_1)
	v_subrev_nc_u32_e32 v51, 28, v0
	v_lshlrev_b64_e32 v[58:59], v51, v[52:53]
	s_delay_alu instid0(VALU_DEP_1)
	v_dual_sub_nc_u32 v51, 29, v0 :: v_dual_bitop2_b32 v52, 7, v58 bitop3:0x40
; %bb.87:                               ;   in Loop: Header=BB170_13 Depth=1
	s_or_b32 exec_lo, exec_lo, s45
	s_delay_alu instid0(VALU_DEP_1) | instskip(NEXT) | instid1(VALU_DEP_2)
	v_dual_lshlrev_b32 v0, 24, v1 :: v_dual_lshlrev_b32 v1, 20, v52
	v_lshl_add_u32 v51, v51, 23, 0x3c000000
	s_delay_alu instid0(VALU_DEP_2) | instskip(NEXT) | instid1(VALU_DEP_1)
	v_and_b32_e32 v0, 0x80000000, v0
	v_or3_b32 v91, v1, v0, v51
.LBB170_88:                             ;   in Loop: Header=BB170_13 Depth=1
	s_or_b32 exec_lo, exec_lo, s44
.LBB170_89:                             ;   in Loop: Header=BB170_13 Depth=1
	s_delay_alu instid0(SALU_CYCLE_1)
	s_or_b32 exec_lo, exec_lo, s43
.LBB170_90:                             ;   in Loop: Header=BB170_13 Depth=1
	s_delay_alu instid0(SALU_CYCLE_1)
	s_or_b32 exec_lo, exec_lo, s42
	global_load_u8 v1, v[62:63], off offset:260
	s_mov_b32 s42, exec_lo
	s_wait_loadcnt 0x0
	s_wait_xcnt 0x0
	v_cmpx_ne_u16_e32 0, v1
	s_cbranch_execz .LBB170_98
; %bb.91:                               ;   in Loop: Header=BB170_13 Depth=1
	v_bfrev_b32_e32 v89, 1
	s_mov_b32 s43, exec_lo
	v_cmpx_ne_u16_e32 0x80, v1
	s_cbranch_execz .LBB170_97
; %bb.92:                               ;   in Loop: Header=BB170_13 Depth=1
	v_and_b32_e32 v0, 0xffff, v1
	v_mov_b32_e32 v89, 0x7f800001
	s_mov_b32 s44, exec_lo
	s_delay_alu instid0(VALU_DEP_2) | instskip(NEXT) | instid1(VALU_DEP_1)
	v_and_b32_e32 v58, 0x7f, v0
	v_cmpx_ne_u32_e32 0x7f, v58
	s_cbranch_execz .LBB170_96
; %bb.93:                               ;   in Loop: Header=BB170_13 Depth=1
	v_dual_lshrrev_b32 v51, 3, v58 :: v_dual_bitop2_b32 v52, 7, v0 bitop3:0x40
	s_mov_b32 s45, exec_lo
	v_cmpx_gt_u32_e32 8, v58
; %bb.94:                               ;   in Loop: Header=BB170_13 Depth=1
	s_delay_alu instid0(VALU_DEP_2) | instskip(NEXT) | instid1(VALU_DEP_1)
	v_clz_i32_u32_e32 v0, v52
	v_min_u32_e32 v0, 32, v0
	s_delay_alu instid0(VALU_DEP_1) | instskip(NEXT) | instid1(VALU_DEP_1)
	v_subrev_nc_u32_e32 v51, 28, v0
	v_lshlrev_b64_e32 v[58:59], v51, v[52:53]
	s_delay_alu instid0(VALU_DEP_1)
	v_dual_sub_nc_u32 v51, 29, v0 :: v_dual_bitop2_b32 v52, 7, v58 bitop3:0x40
; %bb.95:                               ;   in Loop: Header=BB170_13 Depth=1
	s_or_b32 exec_lo, exec_lo, s45
	s_delay_alu instid0(VALU_DEP_1) | instskip(NEXT) | instid1(VALU_DEP_2)
	v_dual_lshlrev_b32 v0, 24, v1 :: v_dual_lshlrev_b32 v1, 20, v52
	v_lshl_add_u32 v51, v51, 23, 0x3c000000
	s_delay_alu instid0(VALU_DEP_2) | instskip(NEXT) | instid1(VALU_DEP_1)
	v_and_b32_e32 v0, 0x80000000, v0
	v_or3_b32 v89, v1, v0, v51
.LBB170_96:                             ;   in Loop: Header=BB170_13 Depth=1
	s_or_b32 exec_lo, exec_lo, s44
.LBB170_97:                             ;   in Loop: Header=BB170_13 Depth=1
	s_delay_alu instid0(SALU_CYCLE_1)
	s_or_b32 exec_lo, exec_lo, s43
.LBB170_98:                             ;   in Loop: Header=BB170_13 Depth=1
	s_delay_alu instid0(SALU_CYCLE_1)
	s_or_b32 exec_lo, exec_lo, s42
	global_load_u8 v1, v[62:63], off offset:264
	v_dual_mov_b32 v93, 0 :: v_dual_mov_b32 v95, 0
	s_mov_b32 s42, exec_lo
	s_wait_loadcnt 0x0
	s_wait_xcnt 0x0
	v_cmpx_ne_u16_e32 0, v1
	s_cbranch_execz .LBB170_106
; %bb.99:                               ;   in Loop: Header=BB170_13 Depth=1
	v_bfrev_b32_e32 v95, 1
	s_mov_b32 s43, exec_lo
	v_cmpx_ne_u16_e32 0x80, v1
	s_cbranch_execz .LBB170_105
; %bb.100:                              ;   in Loop: Header=BB170_13 Depth=1
	v_and_b32_e32 v0, 0xffff, v1
	v_mov_b32_e32 v95, 0x7f800001
	s_mov_b32 s44, exec_lo
	s_delay_alu instid0(VALU_DEP_2) | instskip(NEXT) | instid1(VALU_DEP_1)
	v_and_b32_e32 v58, 0x7f, v0
	v_cmpx_ne_u32_e32 0x7f, v58
	s_cbranch_execz .LBB170_104
; %bb.101:                              ;   in Loop: Header=BB170_13 Depth=1
	v_dual_lshrrev_b32 v51, 3, v58 :: v_dual_bitop2_b32 v52, 7, v0 bitop3:0x40
	s_mov_b32 s45, exec_lo
	v_cmpx_gt_u32_e32 8, v58
; %bb.102:                              ;   in Loop: Header=BB170_13 Depth=1
	s_delay_alu instid0(VALU_DEP_2) | instskip(NEXT) | instid1(VALU_DEP_1)
	v_clz_i32_u32_e32 v0, v52
	v_min_u32_e32 v0, 32, v0
	s_delay_alu instid0(VALU_DEP_1) | instskip(NEXT) | instid1(VALU_DEP_1)
	v_subrev_nc_u32_e32 v51, 28, v0
	v_lshlrev_b64_e32 v[58:59], v51, v[52:53]
	s_delay_alu instid0(VALU_DEP_1)
	v_dual_sub_nc_u32 v51, 29, v0 :: v_dual_bitop2_b32 v52, 7, v58 bitop3:0x40
; %bb.103:                              ;   in Loop: Header=BB170_13 Depth=1
	s_or_b32 exec_lo, exec_lo, s45
	s_delay_alu instid0(VALU_DEP_1) | instskip(NEXT) | instid1(VALU_DEP_2)
	v_dual_lshlrev_b32 v0, 24, v1 :: v_dual_lshlrev_b32 v1, 20, v52
	v_lshl_add_u32 v51, v51, 23, 0x3c000000
	s_delay_alu instid0(VALU_DEP_2) | instskip(NEXT) | instid1(VALU_DEP_1)
	v_and_b32_e32 v0, 0x80000000, v0
	v_or3_b32 v95, v1, v0, v51
.LBB170_104:                            ;   in Loop: Header=BB170_13 Depth=1
	s_or_b32 exec_lo, exec_lo, s44
.LBB170_105:                            ;   in Loop: Header=BB170_13 Depth=1
	s_delay_alu instid0(SALU_CYCLE_1)
	s_or_b32 exec_lo, exec_lo, s43
.LBB170_106:                            ;   in Loop: Header=BB170_13 Depth=1
	s_delay_alu instid0(SALU_CYCLE_1)
	s_or_b32 exec_lo, exec_lo, s42
	global_load_u8 v1, v[62:63], off offset:268
	s_mov_b32 s42, exec_lo
	s_wait_loadcnt 0x0
	s_wait_xcnt 0x0
	v_cmpx_ne_u16_e32 0, v1
	s_cbranch_execz .LBB170_114
; %bb.107:                              ;   in Loop: Header=BB170_13 Depth=1
	v_bfrev_b32_e32 v93, 1
	s_mov_b32 s43, exec_lo
	v_cmpx_ne_u16_e32 0x80, v1
	s_cbranch_execz .LBB170_113
; %bb.108:                              ;   in Loop: Header=BB170_13 Depth=1
	v_and_b32_e32 v0, 0xffff, v1
	v_mov_b32_e32 v93, 0x7f800001
	s_mov_b32 s44, exec_lo
	s_delay_alu instid0(VALU_DEP_2) | instskip(NEXT) | instid1(VALU_DEP_1)
	v_and_b32_e32 v58, 0x7f, v0
	v_cmpx_ne_u32_e32 0x7f, v58
	s_cbranch_execz .LBB170_112
; %bb.109:                              ;   in Loop: Header=BB170_13 Depth=1
	v_dual_lshrrev_b32 v51, 3, v58 :: v_dual_bitop2_b32 v52, 7, v0 bitop3:0x40
	s_mov_b32 s45, exec_lo
	v_cmpx_gt_u32_e32 8, v58
; %bb.110:                              ;   in Loop: Header=BB170_13 Depth=1
	s_delay_alu instid0(VALU_DEP_2) | instskip(NEXT) | instid1(VALU_DEP_1)
	v_clz_i32_u32_e32 v0, v52
	v_min_u32_e32 v0, 32, v0
	s_delay_alu instid0(VALU_DEP_1) | instskip(NEXT) | instid1(VALU_DEP_1)
	v_subrev_nc_u32_e32 v51, 28, v0
	v_lshlrev_b64_e32 v[58:59], v51, v[52:53]
	s_delay_alu instid0(VALU_DEP_1)
	v_dual_sub_nc_u32 v51, 29, v0 :: v_dual_bitop2_b32 v52, 7, v58 bitop3:0x40
; %bb.111:                              ;   in Loop: Header=BB170_13 Depth=1
	s_or_b32 exec_lo, exec_lo, s45
	s_delay_alu instid0(VALU_DEP_1) | instskip(NEXT) | instid1(VALU_DEP_2)
	v_dual_lshlrev_b32 v0, 24, v1 :: v_dual_lshlrev_b32 v1, 20, v52
	v_lshl_add_u32 v51, v51, 23, 0x3c000000
	s_delay_alu instid0(VALU_DEP_2) | instskip(NEXT) | instid1(VALU_DEP_1)
	v_and_b32_e32 v0, 0x80000000, v0
	v_or3_b32 v93, v1, v0, v51
.LBB170_112:                            ;   in Loop: Header=BB170_13 Depth=1
	s_or_b32 exec_lo, exec_lo, s44
.LBB170_113:                            ;   in Loop: Header=BB170_13 Depth=1
	s_delay_alu instid0(SALU_CYCLE_1)
	s_or_b32 exec_lo, exec_lo, s43
.LBB170_114:                            ;   in Loop: Header=BB170_13 Depth=1
	s_delay_alu instid0(SALU_CYCLE_1)
	s_or_b32 exec_lo, exec_lo, s42
	global_load_u8 v1, v[62:63], off offset:384
	v_dual_mov_b32 v97, 0 :: v_dual_mov_b32 v46, 0
	s_mov_b32 s42, exec_lo
	s_wait_loadcnt 0x0
	s_wait_xcnt 0x0
	v_cmpx_ne_u16_e32 0, v1
	s_cbranch_execz .LBB170_122
; %bb.115:                              ;   in Loop: Header=BB170_13 Depth=1
	v_bfrev_b32_e32 v46, 1
	s_mov_b32 s43, exec_lo
	v_cmpx_ne_u16_e32 0x80, v1
	s_cbranch_execz .LBB170_121
; %bb.116:                              ;   in Loop: Header=BB170_13 Depth=1
	v_and_b32_e32 v0, 0xffff, v1
	v_mov_b32_e32 v46, 0x7f800001
	s_mov_b32 s44, exec_lo
	s_delay_alu instid0(VALU_DEP_2) | instskip(NEXT) | instid1(VALU_DEP_1)
	v_and_b32_e32 v58, 0x7f, v0
	v_cmpx_ne_u32_e32 0x7f, v58
	s_cbranch_execz .LBB170_120
; %bb.117:                              ;   in Loop: Header=BB170_13 Depth=1
	v_dual_lshrrev_b32 v51, 3, v58 :: v_dual_bitop2_b32 v52, 7, v0 bitop3:0x40
	s_mov_b32 s45, exec_lo
	v_cmpx_gt_u32_e32 8, v58
; %bb.118:                              ;   in Loop: Header=BB170_13 Depth=1
	s_delay_alu instid0(VALU_DEP_2) | instskip(NEXT) | instid1(VALU_DEP_1)
	v_clz_i32_u32_e32 v0, v52
	v_min_u32_e32 v0, 32, v0
	s_delay_alu instid0(VALU_DEP_1) | instskip(NEXT) | instid1(VALU_DEP_1)
	v_subrev_nc_u32_e32 v51, 28, v0
	v_lshlrev_b64_e32 v[58:59], v51, v[52:53]
	s_delay_alu instid0(VALU_DEP_1)
	v_dual_sub_nc_u32 v51, 29, v0 :: v_dual_bitop2_b32 v52, 7, v58 bitop3:0x40
; %bb.119:                              ;   in Loop: Header=BB170_13 Depth=1
	s_or_b32 exec_lo, exec_lo, s45
	s_delay_alu instid0(VALU_DEP_1) | instskip(NEXT) | instid1(VALU_DEP_2)
	v_dual_lshlrev_b32 v0, 24, v1 :: v_dual_lshlrev_b32 v1, 20, v52
	v_lshl_add_u32 v51, v51, 23, 0x3c000000
	s_delay_alu instid0(VALU_DEP_2) | instskip(NEXT) | instid1(VALU_DEP_1)
	v_and_b32_e32 v0, 0x80000000, v0
	v_or3_b32 v46, v1, v0, v51
.LBB170_120:                            ;   in Loop: Header=BB170_13 Depth=1
	s_or_b32 exec_lo, exec_lo, s44
.LBB170_121:                            ;   in Loop: Header=BB170_13 Depth=1
	s_delay_alu instid0(SALU_CYCLE_1)
	s_or_b32 exec_lo, exec_lo, s43
.LBB170_122:                            ;   in Loop: Header=BB170_13 Depth=1
	s_delay_alu instid0(SALU_CYCLE_1)
	s_or_b32 exec_lo, exec_lo, s42
	global_load_u8 v1, v[62:63], off offset:388
	s_mov_b32 s42, exec_lo
	s_wait_loadcnt 0x0
	s_wait_xcnt 0x0
	v_cmpx_ne_u16_e32 0, v1
	s_cbranch_execz .LBB170_130
; %bb.123:                              ;   in Loop: Header=BB170_13 Depth=1
	v_bfrev_b32_e32 v97, 1
	s_mov_b32 s43, exec_lo
	v_cmpx_ne_u16_e32 0x80, v1
	s_cbranch_execz .LBB170_129
; %bb.124:                              ;   in Loop: Header=BB170_13 Depth=1
	v_and_b32_e32 v0, 0xffff, v1
	v_mov_b32_e32 v97, 0x7f800001
	s_mov_b32 s44, exec_lo
	s_delay_alu instid0(VALU_DEP_2) | instskip(NEXT) | instid1(VALU_DEP_1)
	v_and_b32_e32 v58, 0x7f, v0
	v_cmpx_ne_u32_e32 0x7f, v58
	s_cbranch_execz .LBB170_128
; %bb.125:                              ;   in Loop: Header=BB170_13 Depth=1
	v_dual_lshrrev_b32 v51, 3, v58 :: v_dual_bitop2_b32 v52, 7, v0 bitop3:0x40
	s_mov_b32 s45, exec_lo
	v_cmpx_gt_u32_e32 8, v58
; %bb.126:                              ;   in Loop: Header=BB170_13 Depth=1
	s_delay_alu instid0(VALU_DEP_2) | instskip(NEXT) | instid1(VALU_DEP_1)
	v_clz_i32_u32_e32 v0, v52
	v_min_u32_e32 v0, 32, v0
	s_delay_alu instid0(VALU_DEP_1) | instskip(NEXT) | instid1(VALU_DEP_1)
	v_subrev_nc_u32_e32 v51, 28, v0
	v_lshlrev_b64_e32 v[58:59], v51, v[52:53]
	s_delay_alu instid0(VALU_DEP_1)
	v_dual_sub_nc_u32 v51, 29, v0 :: v_dual_bitop2_b32 v52, 7, v58 bitop3:0x40
; %bb.127:                              ;   in Loop: Header=BB170_13 Depth=1
	s_or_b32 exec_lo, exec_lo, s45
	s_delay_alu instid0(VALU_DEP_1) | instskip(NEXT) | instid1(VALU_DEP_2)
	v_dual_lshlrev_b32 v0, 24, v1 :: v_dual_lshlrev_b32 v1, 20, v52
	v_lshl_add_u32 v51, v51, 23, 0x3c000000
	s_delay_alu instid0(VALU_DEP_2) | instskip(NEXT) | instid1(VALU_DEP_1)
	v_and_b32_e32 v0, 0x80000000, v0
	v_or3_b32 v97, v1, v0, v51
.LBB170_128:                            ;   in Loop: Header=BB170_13 Depth=1
	s_or_b32 exec_lo, exec_lo, s44
.LBB170_129:                            ;   in Loop: Header=BB170_13 Depth=1
	s_delay_alu instid0(SALU_CYCLE_1)
	s_or_b32 exec_lo, exec_lo, s43
.LBB170_130:                            ;   in Loop: Header=BB170_13 Depth=1
	s_delay_alu instid0(SALU_CYCLE_1)
	s_or_b32 exec_lo, exec_lo, s42
	global_load_u8 v1, v[62:63], off offset:392
	v_dual_mov_b32 v82, 0 :: v_dual_mov_b32 v71, 0
	s_mov_b32 s42, exec_lo
	s_wait_loadcnt 0x0
	s_wait_xcnt 0x0
	v_cmpx_ne_u16_e32 0, v1
	s_cbranch_execz .LBB170_138
; %bb.131:                              ;   in Loop: Header=BB170_13 Depth=1
	v_bfrev_b32_e32 v71, 1
	s_mov_b32 s43, exec_lo
	v_cmpx_ne_u16_e32 0x80, v1
	s_cbranch_execz .LBB170_137
; %bb.132:                              ;   in Loop: Header=BB170_13 Depth=1
	v_and_b32_e32 v0, 0xffff, v1
	v_mov_b32_e32 v71, 0x7f800001
	s_mov_b32 s44, exec_lo
	s_delay_alu instid0(VALU_DEP_2) | instskip(NEXT) | instid1(VALU_DEP_1)
	v_and_b32_e32 v58, 0x7f, v0
	v_cmpx_ne_u32_e32 0x7f, v58
	s_cbranch_execz .LBB170_136
; %bb.133:                              ;   in Loop: Header=BB170_13 Depth=1
	v_dual_lshrrev_b32 v51, 3, v58 :: v_dual_bitop2_b32 v52, 7, v0 bitop3:0x40
	s_mov_b32 s45, exec_lo
	v_cmpx_gt_u32_e32 8, v58
; %bb.134:                              ;   in Loop: Header=BB170_13 Depth=1
	s_delay_alu instid0(VALU_DEP_2) | instskip(NEXT) | instid1(VALU_DEP_1)
	v_clz_i32_u32_e32 v0, v52
	v_min_u32_e32 v0, 32, v0
	s_delay_alu instid0(VALU_DEP_1) | instskip(NEXT) | instid1(VALU_DEP_1)
	v_subrev_nc_u32_e32 v51, 28, v0
	v_lshlrev_b64_e32 v[58:59], v51, v[52:53]
	s_delay_alu instid0(VALU_DEP_1)
	v_dual_sub_nc_u32 v51, 29, v0 :: v_dual_bitop2_b32 v52, 7, v58 bitop3:0x40
; %bb.135:                              ;   in Loop: Header=BB170_13 Depth=1
	s_or_b32 exec_lo, exec_lo, s45
	s_delay_alu instid0(VALU_DEP_1) | instskip(NEXT) | instid1(VALU_DEP_2)
	v_dual_lshlrev_b32 v0, 24, v1 :: v_dual_lshlrev_b32 v1, 20, v52
	v_lshl_add_u32 v51, v51, 23, 0x3c000000
	s_delay_alu instid0(VALU_DEP_2) | instskip(NEXT) | instid1(VALU_DEP_1)
	v_and_b32_e32 v0, 0x80000000, v0
	v_or3_b32 v71, v1, v0, v51
.LBB170_136:                            ;   in Loop: Header=BB170_13 Depth=1
	s_or_b32 exec_lo, exec_lo, s44
.LBB170_137:                            ;   in Loop: Header=BB170_13 Depth=1
	s_delay_alu instid0(SALU_CYCLE_1)
	s_or_b32 exec_lo, exec_lo, s43
.LBB170_138:                            ;   in Loop: Header=BB170_13 Depth=1
	s_delay_alu instid0(SALU_CYCLE_1)
	s_or_b32 exec_lo, exec_lo, s42
	global_load_u8 v1, v[62:63], off offset:396
	s_mov_b32 s42, exec_lo
	s_wait_loadcnt 0x0
	s_wait_xcnt 0x0
	v_cmpx_ne_u16_e32 0, v1
	s_cbranch_execz .LBB170_146
; %bb.139:                              ;   in Loop: Header=BB170_13 Depth=1
	v_bfrev_b32_e32 v82, 1
	s_mov_b32 s43, exec_lo
	v_cmpx_ne_u16_e32 0x80, v1
	s_cbranch_execz .LBB170_145
; %bb.140:                              ;   in Loop: Header=BB170_13 Depth=1
	v_and_b32_e32 v0, 0xffff, v1
	v_mov_b32_e32 v82, 0x7f800001
	s_mov_b32 s44, exec_lo
	s_delay_alu instid0(VALU_DEP_2) | instskip(NEXT) | instid1(VALU_DEP_1)
	v_and_b32_e32 v58, 0x7f, v0
	v_cmpx_ne_u32_e32 0x7f, v58
	s_cbranch_execz .LBB170_144
; %bb.141:                              ;   in Loop: Header=BB170_13 Depth=1
	v_dual_lshrrev_b32 v51, 3, v58 :: v_dual_bitop2_b32 v52, 7, v0 bitop3:0x40
	s_mov_b32 s45, exec_lo
	v_cmpx_gt_u32_e32 8, v58
; %bb.142:                              ;   in Loop: Header=BB170_13 Depth=1
	s_delay_alu instid0(VALU_DEP_2) | instskip(NEXT) | instid1(VALU_DEP_1)
	v_clz_i32_u32_e32 v0, v52
	v_min_u32_e32 v0, 32, v0
	s_delay_alu instid0(VALU_DEP_1) | instskip(NEXT) | instid1(VALU_DEP_1)
	v_subrev_nc_u32_e32 v51, 28, v0
	v_lshlrev_b64_e32 v[58:59], v51, v[52:53]
	s_delay_alu instid0(VALU_DEP_1)
	v_dual_sub_nc_u32 v51, 29, v0 :: v_dual_bitop2_b32 v52, 7, v58 bitop3:0x40
; %bb.143:                              ;   in Loop: Header=BB170_13 Depth=1
	s_or_b32 exec_lo, exec_lo, s45
	s_delay_alu instid0(VALU_DEP_1) | instskip(NEXT) | instid1(VALU_DEP_2)
	v_dual_lshlrev_b32 v0, 24, v1 :: v_dual_lshlrev_b32 v1, 20, v52
	v_lshl_add_u32 v51, v51, 23, 0x3c000000
	s_delay_alu instid0(VALU_DEP_2) | instskip(NEXT) | instid1(VALU_DEP_1)
	v_and_b32_e32 v0, 0x80000000, v0
	v_or3_b32 v82, v1, v0, v51
.LBB170_144:                            ;   in Loop: Header=BB170_13 Depth=1
	s_or_b32 exec_lo, exec_lo, s44
.LBB170_145:                            ;   in Loop: Header=BB170_13 Depth=1
	s_delay_alu instid0(SALU_CYCLE_1)
	s_or_b32 exec_lo, exec_lo, s43
.LBB170_146:                            ;   in Loop: Header=BB170_13 Depth=1
	s_delay_alu instid0(SALU_CYCLE_1)
	s_or_b32 exec_lo, exec_lo, s42
	global_load_u8 v1, v[62:63], off offset:512
	v_dual_mov_b32 v84, 0 :: v_dual_mov_b32 v76, 0
	s_mov_b32 s42, exec_lo
	s_wait_loadcnt 0x0
	s_wait_xcnt 0x0
	v_cmpx_ne_u16_e32 0, v1
	s_cbranch_execz .LBB170_154
; %bb.147:                              ;   in Loop: Header=BB170_13 Depth=1
	v_bfrev_b32_e32 v76, 1
	s_mov_b32 s43, exec_lo
	v_cmpx_ne_u16_e32 0x80, v1
	s_cbranch_execz .LBB170_153
; %bb.148:                              ;   in Loop: Header=BB170_13 Depth=1
	v_and_b32_e32 v0, 0xffff, v1
	v_mov_b32_e32 v76, 0x7f800001
	s_mov_b32 s44, exec_lo
	s_delay_alu instid0(VALU_DEP_2) | instskip(NEXT) | instid1(VALU_DEP_1)
	v_and_b32_e32 v58, 0x7f, v0
	v_cmpx_ne_u32_e32 0x7f, v58
	s_cbranch_execz .LBB170_152
; %bb.149:                              ;   in Loop: Header=BB170_13 Depth=1
	v_dual_lshrrev_b32 v51, 3, v58 :: v_dual_bitop2_b32 v52, 7, v0 bitop3:0x40
	s_mov_b32 s45, exec_lo
	v_cmpx_gt_u32_e32 8, v58
; %bb.150:                              ;   in Loop: Header=BB170_13 Depth=1
	s_delay_alu instid0(VALU_DEP_2) | instskip(NEXT) | instid1(VALU_DEP_1)
	v_clz_i32_u32_e32 v0, v52
	v_min_u32_e32 v0, 32, v0
	s_delay_alu instid0(VALU_DEP_1) | instskip(NEXT) | instid1(VALU_DEP_1)
	v_subrev_nc_u32_e32 v51, 28, v0
	v_lshlrev_b64_e32 v[58:59], v51, v[52:53]
	s_delay_alu instid0(VALU_DEP_1)
	v_dual_sub_nc_u32 v51, 29, v0 :: v_dual_bitop2_b32 v52, 7, v58 bitop3:0x40
; %bb.151:                              ;   in Loop: Header=BB170_13 Depth=1
	s_or_b32 exec_lo, exec_lo, s45
	s_delay_alu instid0(VALU_DEP_1) | instskip(NEXT) | instid1(VALU_DEP_2)
	v_dual_lshlrev_b32 v0, 24, v1 :: v_dual_lshlrev_b32 v1, 20, v52
	v_lshl_add_u32 v51, v51, 23, 0x3c000000
	s_delay_alu instid0(VALU_DEP_2) | instskip(NEXT) | instid1(VALU_DEP_1)
	v_and_b32_e32 v0, 0x80000000, v0
	v_or3_b32 v76, v1, v0, v51
.LBB170_152:                            ;   in Loop: Header=BB170_13 Depth=1
	s_or_b32 exec_lo, exec_lo, s44
.LBB170_153:                            ;   in Loop: Header=BB170_13 Depth=1
	s_delay_alu instid0(SALU_CYCLE_1)
	s_or_b32 exec_lo, exec_lo, s43
.LBB170_154:                            ;   in Loop: Header=BB170_13 Depth=1
	s_delay_alu instid0(SALU_CYCLE_1)
	s_or_b32 exec_lo, exec_lo, s42
	global_load_u8 v1, v[62:63], off offset:516
	s_mov_b32 s42, exec_lo
	s_wait_loadcnt 0x0
	s_wait_xcnt 0x0
	v_cmpx_ne_u16_e32 0, v1
	s_cbranch_execz .LBB170_162
; %bb.155:                              ;   in Loop: Header=BB170_13 Depth=1
	v_bfrev_b32_e32 v84, 1
	s_mov_b32 s43, exec_lo
	v_cmpx_ne_u16_e32 0x80, v1
	s_cbranch_execz .LBB170_161
; %bb.156:                              ;   in Loop: Header=BB170_13 Depth=1
	v_and_b32_e32 v0, 0xffff, v1
	v_mov_b32_e32 v84, 0x7f800001
	s_mov_b32 s44, exec_lo
	s_delay_alu instid0(VALU_DEP_2) | instskip(NEXT) | instid1(VALU_DEP_1)
	v_and_b32_e32 v58, 0x7f, v0
	v_cmpx_ne_u32_e32 0x7f, v58
	s_cbranch_execz .LBB170_160
; %bb.157:                              ;   in Loop: Header=BB170_13 Depth=1
	v_dual_lshrrev_b32 v51, 3, v58 :: v_dual_bitop2_b32 v52, 7, v0 bitop3:0x40
	s_mov_b32 s45, exec_lo
	v_cmpx_gt_u32_e32 8, v58
; %bb.158:                              ;   in Loop: Header=BB170_13 Depth=1
	s_delay_alu instid0(VALU_DEP_2) | instskip(NEXT) | instid1(VALU_DEP_1)
	v_clz_i32_u32_e32 v0, v52
	v_min_u32_e32 v0, 32, v0
	s_delay_alu instid0(VALU_DEP_1) | instskip(NEXT) | instid1(VALU_DEP_1)
	v_subrev_nc_u32_e32 v51, 28, v0
	v_lshlrev_b64_e32 v[58:59], v51, v[52:53]
	s_delay_alu instid0(VALU_DEP_1)
	v_dual_sub_nc_u32 v51, 29, v0 :: v_dual_bitop2_b32 v52, 7, v58 bitop3:0x40
; %bb.159:                              ;   in Loop: Header=BB170_13 Depth=1
	s_or_b32 exec_lo, exec_lo, s45
	s_delay_alu instid0(VALU_DEP_1) | instskip(NEXT) | instid1(VALU_DEP_2)
	v_dual_lshlrev_b32 v0, 24, v1 :: v_dual_lshlrev_b32 v1, 20, v52
	v_lshl_add_u32 v51, v51, 23, 0x3c000000
	s_delay_alu instid0(VALU_DEP_2) | instskip(NEXT) | instid1(VALU_DEP_1)
	v_and_b32_e32 v0, 0x80000000, v0
	v_or3_b32 v84, v1, v0, v51
.LBB170_160:                            ;   in Loop: Header=BB170_13 Depth=1
	s_or_b32 exec_lo, exec_lo, s44
.LBB170_161:                            ;   in Loop: Header=BB170_13 Depth=1
	s_delay_alu instid0(SALU_CYCLE_1)
	s_or_b32 exec_lo, exec_lo, s43
.LBB170_162:                            ;   in Loop: Header=BB170_13 Depth=1
	s_delay_alu instid0(SALU_CYCLE_1)
	s_or_b32 exec_lo, exec_lo, s42
	global_load_u8 v1, v[62:63], off offset:520
	v_dual_mov_b32 v86, 0 :: v_dual_mov_b32 v72, 0
	s_mov_b32 s42, exec_lo
	s_wait_loadcnt 0x0
	s_wait_xcnt 0x0
	v_cmpx_ne_u16_e32 0, v1
	s_cbranch_execz .LBB170_170
; %bb.163:                              ;   in Loop: Header=BB170_13 Depth=1
	v_bfrev_b32_e32 v72, 1
	s_mov_b32 s43, exec_lo
	v_cmpx_ne_u16_e32 0x80, v1
	s_cbranch_execz .LBB170_169
; %bb.164:                              ;   in Loop: Header=BB170_13 Depth=1
	v_and_b32_e32 v0, 0xffff, v1
	v_mov_b32_e32 v72, 0x7f800001
	s_mov_b32 s44, exec_lo
	s_delay_alu instid0(VALU_DEP_2) | instskip(NEXT) | instid1(VALU_DEP_1)
	v_and_b32_e32 v58, 0x7f, v0
	v_cmpx_ne_u32_e32 0x7f, v58
	s_cbranch_execz .LBB170_168
; %bb.165:                              ;   in Loop: Header=BB170_13 Depth=1
	v_dual_lshrrev_b32 v51, 3, v58 :: v_dual_bitop2_b32 v52, 7, v0 bitop3:0x40
	s_mov_b32 s45, exec_lo
	v_cmpx_gt_u32_e32 8, v58
; %bb.166:                              ;   in Loop: Header=BB170_13 Depth=1
	s_delay_alu instid0(VALU_DEP_2) | instskip(NEXT) | instid1(VALU_DEP_1)
	v_clz_i32_u32_e32 v0, v52
	v_min_u32_e32 v0, 32, v0
	s_delay_alu instid0(VALU_DEP_1) | instskip(NEXT) | instid1(VALU_DEP_1)
	v_subrev_nc_u32_e32 v51, 28, v0
	v_lshlrev_b64_e32 v[58:59], v51, v[52:53]
	s_delay_alu instid0(VALU_DEP_1)
	v_dual_sub_nc_u32 v51, 29, v0 :: v_dual_bitop2_b32 v52, 7, v58 bitop3:0x40
; %bb.167:                              ;   in Loop: Header=BB170_13 Depth=1
	s_or_b32 exec_lo, exec_lo, s45
	s_delay_alu instid0(VALU_DEP_1) | instskip(NEXT) | instid1(VALU_DEP_2)
	v_dual_lshlrev_b32 v0, 24, v1 :: v_dual_lshlrev_b32 v1, 20, v52
	v_lshl_add_u32 v51, v51, 23, 0x3c000000
	s_delay_alu instid0(VALU_DEP_2) | instskip(NEXT) | instid1(VALU_DEP_1)
	v_and_b32_e32 v0, 0x80000000, v0
	v_or3_b32 v72, v1, v0, v51
.LBB170_168:                            ;   in Loop: Header=BB170_13 Depth=1
	s_or_b32 exec_lo, exec_lo, s44
.LBB170_169:                            ;   in Loop: Header=BB170_13 Depth=1
	s_delay_alu instid0(SALU_CYCLE_1)
	s_or_b32 exec_lo, exec_lo, s43
.LBB170_170:                            ;   in Loop: Header=BB170_13 Depth=1
	s_delay_alu instid0(SALU_CYCLE_1)
	s_or_b32 exec_lo, exec_lo, s42
	global_load_u8 v1, v[62:63], off offset:524
	s_mov_b32 s42, exec_lo
	s_wait_loadcnt 0x0
	s_wait_xcnt 0x0
	v_cmpx_ne_u16_e32 0, v1
	s_cbranch_execz .LBB170_178
; %bb.171:                              ;   in Loop: Header=BB170_13 Depth=1
	v_bfrev_b32_e32 v86, 1
	s_mov_b32 s43, exec_lo
	v_cmpx_ne_u16_e32 0x80, v1
	s_cbranch_execz .LBB170_177
; %bb.172:                              ;   in Loop: Header=BB170_13 Depth=1
	v_and_b32_e32 v0, 0xffff, v1
	v_mov_b32_e32 v86, 0x7f800001
	s_mov_b32 s44, exec_lo
	s_delay_alu instid0(VALU_DEP_2) | instskip(NEXT) | instid1(VALU_DEP_1)
	v_and_b32_e32 v58, 0x7f, v0
	v_cmpx_ne_u32_e32 0x7f, v58
	s_cbranch_execz .LBB170_176
; %bb.173:                              ;   in Loop: Header=BB170_13 Depth=1
	v_dual_lshrrev_b32 v51, 3, v58 :: v_dual_bitop2_b32 v52, 7, v0 bitop3:0x40
	s_mov_b32 s45, exec_lo
	v_cmpx_gt_u32_e32 8, v58
; %bb.174:                              ;   in Loop: Header=BB170_13 Depth=1
	s_delay_alu instid0(VALU_DEP_2) | instskip(NEXT) | instid1(VALU_DEP_1)
	v_clz_i32_u32_e32 v0, v52
	v_min_u32_e32 v0, 32, v0
	s_delay_alu instid0(VALU_DEP_1) | instskip(NEXT) | instid1(VALU_DEP_1)
	v_subrev_nc_u32_e32 v51, 28, v0
	v_lshlrev_b64_e32 v[58:59], v51, v[52:53]
	s_delay_alu instid0(VALU_DEP_1)
	v_dual_sub_nc_u32 v51, 29, v0 :: v_dual_bitop2_b32 v52, 7, v58 bitop3:0x40
; %bb.175:                              ;   in Loop: Header=BB170_13 Depth=1
	s_or_b32 exec_lo, exec_lo, s45
	s_delay_alu instid0(VALU_DEP_1) | instskip(NEXT) | instid1(VALU_DEP_2)
	v_dual_lshlrev_b32 v0, 24, v1 :: v_dual_lshlrev_b32 v1, 20, v52
	v_lshl_add_u32 v51, v51, 23, 0x3c000000
	s_delay_alu instid0(VALU_DEP_2) | instskip(NEXT) | instid1(VALU_DEP_1)
	v_and_b32_e32 v0, 0x80000000, v0
	v_or3_b32 v86, v1, v0, v51
.LBB170_176:                            ;   in Loop: Header=BB170_13 Depth=1
	s_or_b32 exec_lo, exec_lo, s44
.LBB170_177:                            ;   in Loop: Header=BB170_13 Depth=1
	s_delay_alu instid0(SALU_CYCLE_1)
	s_or_b32 exec_lo, exec_lo, s43
.LBB170_178:                            ;   in Loop: Header=BB170_13 Depth=1
	s_delay_alu instid0(SALU_CYCLE_1)
	s_or_b32 exec_lo, exec_lo, s42
	global_load_u8 v1, v[62:63], off offset:640
	v_dual_mov_b32 v88, 0 :: v_dual_mov_b32 v78, 0
	s_mov_b32 s42, exec_lo
	s_wait_loadcnt 0x0
	s_wait_xcnt 0x0
	v_cmpx_ne_u16_e32 0, v1
	s_cbranch_execz .LBB170_186
; %bb.179:                              ;   in Loop: Header=BB170_13 Depth=1
	v_bfrev_b32_e32 v78, 1
	s_mov_b32 s43, exec_lo
	v_cmpx_ne_u16_e32 0x80, v1
	s_cbranch_execz .LBB170_185
; %bb.180:                              ;   in Loop: Header=BB170_13 Depth=1
	v_and_b32_e32 v0, 0xffff, v1
	v_mov_b32_e32 v78, 0x7f800001
	s_mov_b32 s44, exec_lo
	s_delay_alu instid0(VALU_DEP_2) | instskip(NEXT) | instid1(VALU_DEP_1)
	v_and_b32_e32 v58, 0x7f, v0
	v_cmpx_ne_u32_e32 0x7f, v58
	s_cbranch_execz .LBB170_184
; %bb.181:                              ;   in Loop: Header=BB170_13 Depth=1
	v_dual_lshrrev_b32 v51, 3, v58 :: v_dual_bitop2_b32 v52, 7, v0 bitop3:0x40
	s_mov_b32 s45, exec_lo
	v_cmpx_gt_u32_e32 8, v58
; %bb.182:                              ;   in Loop: Header=BB170_13 Depth=1
	s_delay_alu instid0(VALU_DEP_2) | instskip(NEXT) | instid1(VALU_DEP_1)
	v_clz_i32_u32_e32 v0, v52
	v_min_u32_e32 v0, 32, v0
	s_delay_alu instid0(VALU_DEP_1) | instskip(NEXT) | instid1(VALU_DEP_1)
	v_subrev_nc_u32_e32 v51, 28, v0
	v_lshlrev_b64_e32 v[58:59], v51, v[52:53]
	s_delay_alu instid0(VALU_DEP_1)
	v_dual_sub_nc_u32 v51, 29, v0 :: v_dual_bitop2_b32 v52, 7, v58 bitop3:0x40
; %bb.183:                              ;   in Loop: Header=BB170_13 Depth=1
	s_or_b32 exec_lo, exec_lo, s45
	s_delay_alu instid0(VALU_DEP_1) | instskip(NEXT) | instid1(VALU_DEP_2)
	v_dual_lshlrev_b32 v0, 24, v1 :: v_dual_lshlrev_b32 v1, 20, v52
	v_lshl_add_u32 v51, v51, 23, 0x3c000000
	s_delay_alu instid0(VALU_DEP_2) | instskip(NEXT) | instid1(VALU_DEP_1)
	v_and_b32_e32 v0, 0x80000000, v0
	v_or3_b32 v78, v1, v0, v51
.LBB170_184:                            ;   in Loop: Header=BB170_13 Depth=1
	s_or_b32 exec_lo, exec_lo, s44
.LBB170_185:                            ;   in Loop: Header=BB170_13 Depth=1
	s_delay_alu instid0(SALU_CYCLE_1)
	s_or_b32 exec_lo, exec_lo, s43
.LBB170_186:                            ;   in Loop: Header=BB170_13 Depth=1
	s_delay_alu instid0(SALU_CYCLE_1)
	s_or_b32 exec_lo, exec_lo, s42
	global_load_u8 v1, v[62:63], off offset:644
	s_mov_b32 s42, exec_lo
	s_wait_loadcnt 0x0
	s_wait_xcnt 0x0
	v_cmpx_ne_u16_e32 0, v1
	s_cbranch_execz .LBB170_194
; %bb.187:                              ;   in Loop: Header=BB170_13 Depth=1
	v_bfrev_b32_e32 v88, 1
	s_mov_b32 s43, exec_lo
	v_cmpx_ne_u16_e32 0x80, v1
	s_cbranch_execz .LBB170_193
; %bb.188:                              ;   in Loop: Header=BB170_13 Depth=1
	v_and_b32_e32 v0, 0xffff, v1
	v_mov_b32_e32 v88, 0x7f800001
	s_mov_b32 s44, exec_lo
	s_delay_alu instid0(VALU_DEP_2) | instskip(NEXT) | instid1(VALU_DEP_1)
	v_and_b32_e32 v58, 0x7f, v0
	v_cmpx_ne_u32_e32 0x7f, v58
	s_cbranch_execz .LBB170_192
; %bb.189:                              ;   in Loop: Header=BB170_13 Depth=1
	v_dual_lshrrev_b32 v51, 3, v58 :: v_dual_bitop2_b32 v52, 7, v0 bitop3:0x40
	s_mov_b32 s45, exec_lo
	v_cmpx_gt_u32_e32 8, v58
; %bb.190:                              ;   in Loop: Header=BB170_13 Depth=1
	s_delay_alu instid0(VALU_DEP_2) | instskip(NEXT) | instid1(VALU_DEP_1)
	v_clz_i32_u32_e32 v0, v52
	v_min_u32_e32 v0, 32, v0
	s_delay_alu instid0(VALU_DEP_1) | instskip(NEXT) | instid1(VALU_DEP_1)
	v_subrev_nc_u32_e32 v51, 28, v0
	v_lshlrev_b64_e32 v[58:59], v51, v[52:53]
	s_delay_alu instid0(VALU_DEP_1)
	v_dual_sub_nc_u32 v51, 29, v0 :: v_dual_bitop2_b32 v52, 7, v58 bitop3:0x40
; %bb.191:                              ;   in Loop: Header=BB170_13 Depth=1
	s_or_b32 exec_lo, exec_lo, s45
	s_delay_alu instid0(VALU_DEP_1) | instskip(NEXT) | instid1(VALU_DEP_2)
	v_dual_lshlrev_b32 v0, 24, v1 :: v_dual_lshlrev_b32 v1, 20, v52
	v_lshl_add_u32 v51, v51, 23, 0x3c000000
	s_delay_alu instid0(VALU_DEP_2) | instskip(NEXT) | instid1(VALU_DEP_1)
	v_and_b32_e32 v0, 0x80000000, v0
	v_or3_b32 v88, v1, v0, v51
.LBB170_192:                            ;   in Loop: Header=BB170_13 Depth=1
	s_or_b32 exec_lo, exec_lo, s44
.LBB170_193:                            ;   in Loop: Header=BB170_13 Depth=1
	s_delay_alu instid0(SALU_CYCLE_1)
	s_or_b32 exec_lo, exec_lo, s43
.LBB170_194:                            ;   in Loop: Header=BB170_13 Depth=1
	s_delay_alu instid0(SALU_CYCLE_1)
	s_or_b32 exec_lo, exec_lo, s42
	global_load_u8 v1, v[62:63], off offset:648
	v_dual_mov_b32 v90, 0 :: v_dual_mov_b32 v55, 0
	s_mov_b32 s42, exec_lo
	s_wait_loadcnt 0x0
	s_wait_xcnt 0x0
	v_cmpx_ne_u16_e32 0, v1
	s_cbranch_execz .LBB170_202
; %bb.195:                              ;   in Loop: Header=BB170_13 Depth=1
	v_bfrev_b32_e32 v55, 1
	s_mov_b32 s43, exec_lo
	v_cmpx_ne_u16_e32 0x80, v1
	s_cbranch_execz .LBB170_201
; %bb.196:                              ;   in Loop: Header=BB170_13 Depth=1
	v_and_b32_e32 v0, 0xffff, v1
	v_mov_b32_e32 v55, 0x7f800001
	s_mov_b32 s44, exec_lo
	s_delay_alu instid0(VALU_DEP_2) | instskip(NEXT) | instid1(VALU_DEP_1)
	v_and_b32_e32 v58, 0x7f, v0
	v_cmpx_ne_u32_e32 0x7f, v58
	s_cbranch_execz .LBB170_200
; %bb.197:                              ;   in Loop: Header=BB170_13 Depth=1
	v_dual_lshrrev_b32 v51, 3, v58 :: v_dual_bitop2_b32 v52, 7, v0 bitop3:0x40
	s_mov_b32 s45, exec_lo
	v_cmpx_gt_u32_e32 8, v58
; %bb.198:                              ;   in Loop: Header=BB170_13 Depth=1
	s_delay_alu instid0(VALU_DEP_2) | instskip(NEXT) | instid1(VALU_DEP_1)
	v_clz_i32_u32_e32 v0, v52
	v_min_u32_e32 v0, 32, v0
	s_delay_alu instid0(VALU_DEP_1) | instskip(NEXT) | instid1(VALU_DEP_1)
	v_subrev_nc_u32_e32 v51, 28, v0
	v_lshlrev_b64_e32 v[58:59], v51, v[52:53]
	s_delay_alu instid0(VALU_DEP_1)
	v_dual_sub_nc_u32 v51, 29, v0 :: v_dual_bitop2_b32 v52, 7, v58 bitop3:0x40
; %bb.199:                              ;   in Loop: Header=BB170_13 Depth=1
	s_or_b32 exec_lo, exec_lo, s45
	s_delay_alu instid0(VALU_DEP_1) | instskip(NEXT) | instid1(VALU_DEP_2)
	v_dual_lshlrev_b32 v0, 24, v1 :: v_dual_lshlrev_b32 v1, 20, v52
	v_lshl_add_u32 v51, v51, 23, 0x3c000000
	s_delay_alu instid0(VALU_DEP_2) | instskip(NEXT) | instid1(VALU_DEP_1)
	v_and_b32_e32 v0, 0x80000000, v0
	v_or3_b32 v55, v1, v0, v51
.LBB170_200:                            ;   in Loop: Header=BB170_13 Depth=1
	s_or_b32 exec_lo, exec_lo, s44
.LBB170_201:                            ;   in Loop: Header=BB170_13 Depth=1
	s_delay_alu instid0(SALU_CYCLE_1)
	s_or_b32 exec_lo, exec_lo, s43
.LBB170_202:                            ;   in Loop: Header=BB170_13 Depth=1
	s_delay_alu instid0(SALU_CYCLE_1)
	s_or_b32 exec_lo, exec_lo, s42
	global_load_u8 v1, v[62:63], off offset:652
	s_mov_b32 s42, exec_lo
	s_wait_loadcnt 0x0
	s_wait_xcnt 0x0
	v_cmpx_ne_u16_e32 0, v1
	s_cbranch_execz .LBB170_210
; %bb.203:                              ;   in Loop: Header=BB170_13 Depth=1
	v_bfrev_b32_e32 v90, 1
	s_mov_b32 s43, exec_lo
	v_cmpx_ne_u16_e32 0x80, v1
	s_cbranch_execz .LBB170_209
; %bb.204:                              ;   in Loop: Header=BB170_13 Depth=1
	v_and_b32_e32 v0, 0xffff, v1
	v_mov_b32_e32 v90, 0x7f800001
	s_mov_b32 s44, exec_lo
	s_delay_alu instid0(VALU_DEP_2) | instskip(NEXT) | instid1(VALU_DEP_1)
	v_and_b32_e32 v58, 0x7f, v0
	v_cmpx_ne_u32_e32 0x7f, v58
	s_cbranch_execz .LBB170_208
; %bb.205:                              ;   in Loop: Header=BB170_13 Depth=1
	v_dual_lshrrev_b32 v51, 3, v58 :: v_dual_bitop2_b32 v52, 7, v0 bitop3:0x40
	s_mov_b32 s45, exec_lo
	v_cmpx_gt_u32_e32 8, v58
; %bb.206:                              ;   in Loop: Header=BB170_13 Depth=1
	s_delay_alu instid0(VALU_DEP_2) | instskip(NEXT) | instid1(VALU_DEP_1)
	v_clz_i32_u32_e32 v0, v52
	v_min_u32_e32 v0, 32, v0
	s_delay_alu instid0(VALU_DEP_1) | instskip(NEXT) | instid1(VALU_DEP_1)
	v_subrev_nc_u32_e32 v51, 28, v0
	v_lshlrev_b64_e32 v[58:59], v51, v[52:53]
	s_delay_alu instid0(VALU_DEP_1)
	v_dual_sub_nc_u32 v51, 29, v0 :: v_dual_bitop2_b32 v52, 7, v58 bitop3:0x40
; %bb.207:                              ;   in Loop: Header=BB170_13 Depth=1
	s_or_b32 exec_lo, exec_lo, s45
	s_delay_alu instid0(VALU_DEP_1) | instskip(NEXT) | instid1(VALU_DEP_2)
	v_dual_lshlrev_b32 v0, 24, v1 :: v_dual_lshlrev_b32 v1, 20, v52
	v_lshl_add_u32 v51, v51, 23, 0x3c000000
	s_delay_alu instid0(VALU_DEP_2) | instskip(NEXT) | instid1(VALU_DEP_1)
	v_and_b32_e32 v0, 0x80000000, v0
	v_or3_b32 v90, v1, v0, v51
.LBB170_208:                            ;   in Loop: Header=BB170_13 Depth=1
	s_or_b32 exec_lo, exec_lo, s44
.LBB170_209:                            ;   in Loop: Header=BB170_13 Depth=1
	s_delay_alu instid0(SALU_CYCLE_1)
	s_or_b32 exec_lo, exec_lo, s43
.LBB170_210:                            ;   in Loop: Header=BB170_13 Depth=1
	s_delay_alu instid0(SALU_CYCLE_1)
	s_or_b32 exec_lo, exec_lo, s42
	global_load_u8 v1, v[62:63], off offset:768
	v_dual_mov_b32 v92, 0 :: v_dual_mov_b32 v80, 0
	s_mov_b32 s42, exec_lo
	s_wait_loadcnt 0x0
	s_wait_xcnt 0x0
	v_cmpx_ne_u16_e32 0, v1
	s_cbranch_execz .LBB170_218
; %bb.211:                              ;   in Loop: Header=BB170_13 Depth=1
	v_bfrev_b32_e32 v80, 1
	s_mov_b32 s43, exec_lo
	v_cmpx_ne_u16_e32 0x80, v1
	s_cbranch_execz .LBB170_217
; %bb.212:                              ;   in Loop: Header=BB170_13 Depth=1
	v_and_b32_e32 v0, 0xffff, v1
	v_mov_b32_e32 v80, 0x7f800001
	s_mov_b32 s44, exec_lo
	s_delay_alu instid0(VALU_DEP_2) | instskip(NEXT) | instid1(VALU_DEP_1)
	v_and_b32_e32 v58, 0x7f, v0
	v_cmpx_ne_u32_e32 0x7f, v58
	s_cbranch_execz .LBB170_216
; %bb.213:                              ;   in Loop: Header=BB170_13 Depth=1
	v_dual_lshrrev_b32 v51, 3, v58 :: v_dual_bitop2_b32 v52, 7, v0 bitop3:0x40
	s_mov_b32 s45, exec_lo
	v_cmpx_gt_u32_e32 8, v58
; %bb.214:                              ;   in Loop: Header=BB170_13 Depth=1
	s_delay_alu instid0(VALU_DEP_2) | instskip(NEXT) | instid1(VALU_DEP_1)
	v_clz_i32_u32_e32 v0, v52
	v_min_u32_e32 v0, 32, v0
	s_delay_alu instid0(VALU_DEP_1) | instskip(NEXT) | instid1(VALU_DEP_1)
	v_subrev_nc_u32_e32 v51, 28, v0
	v_lshlrev_b64_e32 v[58:59], v51, v[52:53]
	s_delay_alu instid0(VALU_DEP_1)
	v_dual_sub_nc_u32 v51, 29, v0 :: v_dual_bitop2_b32 v52, 7, v58 bitop3:0x40
; %bb.215:                              ;   in Loop: Header=BB170_13 Depth=1
	s_or_b32 exec_lo, exec_lo, s45
	s_delay_alu instid0(VALU_DEP_1) | instskip(NEXT) | instid1(VALU_DEP_2)
	v_dual_lshlrev_b32 v0, 24, v1 :: v_dual_lshlrev_b32 v1, 20, v52
	v_lshl_add_u32 v51, v51, 23, 0x3c000000
	s_delay_alu instid0(VALU_DEP_2) | instskip(NEXT) | instid1(VALU_DEP_1)
	v_and_b32_e32 v0, 0x80000000, v0
	v_or3_b32 v80, v1, v0, v51
.LBB170_216:                            ;   in Loop: Header=BB170_13 Depth=1
	s_or_b32 exec_lo, exec_lo, s44
.LBB170_217:                            ;   in Loop: Header=BB170_13 Depth=1
	s_delay_alu instid0(SALU_CYCLE_1)
	s_or_b32 exec_lo, exec_lo, s43
.LBB170_218:                            ;   in Loop: Header=BB170_13 Depth=1
	s_delay_alu instid0(SALU_CYCLE_1)
	s_or_b32 exec_lo, exec_lo, s42
	global_load_u8 v1, v[62:63], off offset:772
	s_mov_b32 s42, exec_lo
	s_wait_loadcnt 0x0
	s_wait_xcnt 0x0
	v_cmpx_ne_u16_e32 0, v1
	s_cbranch_execz .LBB170_226
; %bb.219:                              ;   in Loop: Header=BB170_13 Depth=1
	v_bfrev_b32_e32 v92, 1
	s_mov_b32 s43, exec_lo
	v_cmpx_ne_u16_e32 0x80, v1
	s_cbranch_execz .LBB170_225
; %bb.220:                              ;   in Loop: Header=BB170_13 Depth=1
	v_and_b32_e32 v0, 0xffff, v1
	v_mov_b32_e32 v92, 0x7f800001
	s_mov_b32 s44, exec_lo
	s_delay_alu instid0(VALU_DEP_2) | instskip(NEXT) | instid1(VALU_DEP_1)
	v_and_b32_e32 v58, 0x7f, v0
	v_cmpx_ne_u32_e32 0x7f, v58
	s_cbranch_execz .LBB170_224
; %bb.221:                              ;   in Loop: Header=BB170_13 Depth=1
	v_dual_lshrrev_b32 v51, 3, v58 :: v_dual_bitop2_b32 v52, 7, v0 bitop3:0x40
	s_mov_b32 s45, exec_lo
	v_cmpx_gt_u32_e32 8, v58
; %bb.222:                              ;   in Loop: Header=BB170_13 Depth=1
	s_delay_alu instid0(VALU_DEP_2) | instskip(NEXT) | instid1(VALU_DEP_1)
	v_clz_i32_u32_e32 v0, v52
	v_min_u32_e32 v0, 32, v0
	s_delay_alu instid0(VALU_DEP_1) | instskip(NEXT) | instid1(VALU_DEP_1)
	v_subrev_nc_u32_e32 v51, 28, v0
	v_lshlrev_b64_e32 v[58:59], v51, v[52:53]
	s_delay_alu instid0(VALU_DEP_1)
	v_dual_sub_nc_u32 v51, 29, v0 :: v_dual_bitop2_b32 v52, 7, v58 bitop3:0x40
; %bb.223:                              ;   in Loop: Header=BB170_13 Depth=1
	s_or_b32 exec_lo, exec_lo, s45
	s_delay_alu instid0(VALU_DEP_1) | instskip(NEXT) | instid1(VALU_DEP_2)
	v_dual_lshlrev_b32 v0, 24, v1 :: v_dual_lshlrev_b32 v1, 20, v52
	v_lshl_add_u32 v51, v51, 23, 0x3c000000
	s_delay_alu instid0(VALU_DEP_2) | instskip(NEXT) | instid1(VALU_DEP_1)
	v_and_b32_e32 v0, 0x80000000, v0
	v_or3_b32 v92, v1, v0, v51
.LBB170_224:                            ;   in Loop: Header=BB170_13 Depth=1
	s_or_b32 exec_lo, exec_lo, s44
.LBB170_225:                            ;   in Loop: Header=BB170_13 Depth=1
	s_delay_alu instid0(SALU_CYCLE_1)
	s_or_b32 exec_lo, exec_lo, s43
.LBB170_226:                            ;   in Loop: Header=BB170_13 Depth=1
	s_delay_alu instid0(SALU_CYCLE_1)
	s_or_b32 exec_lo, exec_lo, s42
	global_load_u8 v1, v[62:63], off offset:776
	v_dual_mov_b32 v94, 0 :: v_dual_mov_b32 v74, 0
	s_mov_b32 s42, exec_lo
	s_wait_loadcnt 0x0
	s_wait_xcnt 0x0
	v_cmpx_ne_u16_e32 0, v1
	s_cbranch_execz .LBB170_234
; %bb.227:                              ;   in Loop: Header=BB170_13 Depth=1
	v_bfrev_b32_e32 v74, 1
	s_mov_b32 s43, exec_lo
	v_cmpx_ne_u16_e32 0x80, v1
	s_cbranch_execz .LBB170_233
; %bb.228:                              ;   in Loop: Header=BB170_13 Depth=1
	v_and_b32_e32 v0, 0xffff, v1
	v_mov_b32_e32 v74, 0x7f800001
	s_mov_b32 s44, exec_lo
	s_delay_alu instid0(VALU_DEP_2) | instskip(NEXT) | instid1(VALU_DEP_1)
	v_and_b32_e32 v58, 0x7f, v0
	v_cmpx_ne_u32_e32 0x7f, v58
	s_cbranch_execz .LBB170_232
; %bb.229:                              ;   in Loop: Header=BB170_13 Depth=1
	v_dual_lshrrev_b32 v51, 3, v58 :: v_dual_bitop2_b32 v52, 7, v0 bitop3:0x40
	s_mov_b32 s45, exec_lo
	v_cmpx_gt_u32_e32 8, v58
; %bb.230:                              ;   in Loop: Header=BB170_13 Depth=1
	s_delay_alu instid0(VALU_DEP_2) | instskip(NEXT) | instid1(VALU_DEP_1)
	v_clz_i32_u32_e32 v0, v52
	v_min_u32_e32 v0, 32, v0
	s_delay_alu instid0(VALU_DEP_1) | instskip(NEXT) | instid1(VALU_DEP_1)
	v_subrev_nc_u32_e32 v51, 28, v0
	v_lshlrev_b64_e32 v[58:59], v51, v[52:53]
	s_delay_alu instid0(VALU_DEP_1)
	v_dual_sub_nc_u32 v51, 29, v0 :: v_dual_bitop2_b32 v52, 7, v58 bitop3:0x40
; %bb.231:                              ;   in Loop: Header=BB170_13 Depth=1
	s_or_b32 exec_lo, exec_lo, s45
	s_delay_alu instid0(VALU_DEP_1) | instskip(NEXT) | instid1(VALU_DEP_2)
	v_dual_lshlrev_b32 v0, 24, v1 :: v_dual_lshlrev_b32 v1, 20, v52
	v_lshl_add_u32 v51, v51, 23, 0x3c000000
	s_delay_alu instid0(VALU_DEP_2) | instskip(NEXT) | instid1(VALU_DEP_1)
	v_and_b32_e32 v0, 0x80000000, v0
	v_or3_b32 v74, v1, v0, v51
.LBB170_232:                            ;   in Loop: Header=BB170_13 Depth=1
	s_or_b32 exec_lo, exec_lo, s44
.LBB170_233:                            ;   in Loop: Header=BB170_13 Depth=1
	s_delay_alu instid0(SALU_CYCLE_1)
	s_or_b32 exec_lo, exec_lo, s43
.LBB170_234:                            ;   in Loop: Header=BB170_13 Depth=1
	s_delay_alu instid0(SALU_CYCLE_1)
	s_or_b32 exec_lo, exec_lo, s42
	global_load_u8 v1, v[62:63], off offset:780
	s_mov_b32 s42, exec_lo
	s_wait_loadcnt 0x0
	s_wait_xcnt 0x0
	v_cmpx_ne_u16_e32 0, v1
	s_cbranch_execz .LBB170_242
; %bb.235:                              ;   in Loop: Header=BB170_13 Depth=1
	v_bfrev_b32_e32 v94, 1
	s_mov_b32 s43, exec_lo
	v_cmpx_ne_u16_e32 0x80, v1
	s_cbranch_execz .LBB170_241
; %bb.236:                              ;   in Loop: Header=BB170_13 Depth=1
	v_and_b32_e32 v0, 0xffff, v1
	v_mov_b32_e32 v94, 0x7f800001
	s_mov_b32 s44, exec_lo
	s_delay_alu instid0(VALU_DEP_2) | instskip(NEXT) | instid1(VALU_DEP_1)
	v_and_b32_e32 v58, 0x7f, v0
	v_cmpx_ne_u32_e32 0x7f, v58
	s_cbranch_execz .LBB170_240
; %bb.237:                              ;   in Loop: Header=BB170_13 Depth=1
	v_dual_lshrrev_b32 v51, 3, v58 :: v_dual_bitop2_b32 v52, 7, v0 bitop3:0x40
	s_mov_b32 s45, exec_lo
	v_cmpx_gt_u32_e32 8, v58
; %bb.238:                              ;   in Loop: Header=BB170_13 Depth=1
	s_delay_alu instid0(VALU_DEP_2) | instskip(NEXT) | instid1(VALU_DEP_1)
	v_clz_i32_u32_e32 v0, v52
	v_min_u32_e32 v0, 32, v0
	s_delay_alu instid0(VALU_DEP_1) | instskip(NEXT) | instid1(VALU_DEP_1)
	v_subrev_nc_u32_e32 v51, 28, v0
	v_lshlrev_b64_e32 v[58:59], v51, v[52:53]
	s_delay_alu instid0(VALU_DEP_1)
	v_dual_sub_nc_u32 v51, 29, v0 :: v_dual_bitop2_b32 v52, 7, v58 bitop3:0x40
; %bb.239:                              ;   in Loop: Header=BB170_13 Depth=1
	s_or_b32 exec_lo, exec_lo, s45
	s_delay_alu instid0(VALU_DEP_1) | instskip(NEXT) | instid1(VALU_DEP_2)
	v_dual_lshlrev_b32 v0, 24, v1 :: v_dual_lshlrev_b32 v1, 20, v52
	v_lshl_add_u32 v51, v51, 23, 0x3c000000
	s_delay_alu instid0(VALU_DEP_2) | instskip(NEXT) | instid1(VALU_DEP_1)
	v_and_b32_e32 v0, 0x80000000, v0
	v_or3_b32 v94, v1, v0, v51
.LBB170_240:                            ;   in Loop: Header=BB170_13 Depth=1
	s_or_b32 exec_lo, exec_lo, s44
.LBB170_241:                            ;   in Loop: Header=BB170_13 Depth=1
	s_delay_alu instid0(SALU_CYCLE_1)
	s_or_b32 exec_lo, exec_lo, s43
.LBB170_242:                            ;   in Loop: Header=BB170_13 Depth=1
	s_delay_alu instid0(SALU_CYCLE_1)
	s_or_b32 exec_lo, exec_lo, s42
	global_load_u8 v1, v[62:63], off offset:896
	v_dual_mov_b32 v96, 0 :: v_dual_mov_b32 v48, 0
	s_mov_b32 s42, exec_lo
	s_wait_loadcnt 0x0
	s_wait_xcnt 0x0
	v_cmpx_ne_u16_e32 0, v1
	s_cbranch_execz .LBB170_250
; %bb.243:                              ;   in Loop: Header=BB170_13 Depth=1
	v_bfrev_b32_e32 v48, 1
	s_mov_b32 s43, exec_lo
	v_cmpx_ne_u16_e32 0x80, v1
	s_cbranch_execz .LBB170_249
; %bb.244:                              ;   in Loop: Header=BB170_13 Depth=1
	v_and_b32_e32 v0, 0xffff, v1
	v_mov_b32_e32 v48, 0x7f800001
	s_mov_b32 s44, exec_lo
	s_delay_alu instid0(VALU_DEP_2) | instskip(NEXT) | instid1(VALU_DEP_1)
	v_and_b32_e32 v58, 0x7f, v0
	v_cmpx_ne_u32_e32 0x7f, v58
	s_cbranch_execz .LBB170_248
; %bb.245:                              ;   in Loop: Header=BB170_13 Depth=1
	v_dual_lshrrev_b32 v51, 3, v58 :: v_dual_bitop2_b32 v52, 7, v0 bitop3:0x40
	s_mov_b32 s45, exec_lo
	v_cmpx_gt_u32_e32 8, v58
; %bb.246:                              ;   in Loop: Header=BB170_13 Depth=1
	s_delay_alu instid0(VALU_DEP_2) | instskip(NEXT) | instid1(VALU_DEP_1)
	v_clz_i32_u32_e32 v0, v52
	v_min_u32_e32 v0, 32, v0
	s_delay_alu instid0(VALU_DEP_1) | instskip(NEXT) | instid1(VALU_DEP_1)
	v_subrev_nc_u32_e32 v51, 28, v0
	v_lshlrev_b64_e32 v[58:59], v51, v[52:53]
	s_delay_alu instid0(VALU_DEP_1)
	v_dual_sub_nc_u32 v51, 29, v0 :: v_dual_bitop2_b32 v52, 7, v58 bitop3:0x40
; %bb.247:                              ;   in Loop: Header=BB170_13 Depth=1
	s_or_b32 exec_lo, exec_lo, s45
	s_delay_alu instid0(VALU_DEP_1) | instskip(NEXT) | instid1(VALU_DEP_2)
	v_dual_lshlrev_b32 v0, 24, v1 :: v_dual_lshlrev_b32 v1, 20, v52
	v_lshl_add_u32 v51, v51, 23, 0x3c000000
	s_delay_alu instid0(VALU_DEP_2) | instskip(NEXT) | instid1(VALU_DEP_1)
	v_and_b32_e32 v0, 0x80000000, v0
	v_or3_b32 v48, v1, v0, v51
.LBB170_248:                            ;   in Loop: Header=BB170_13 Depth=1
	s_or_b32 exec_lo, exec_lo, s44
.LBB170_249:                            ;   in Loop: Header=BB170_13 Depth=1
	s_delay_alu instid0(SALU_CYCLE_1)
	s_or_b32 exec_lo, exec_lo, s43
.LBB170_250:                            ;   in Loop: Header=BB170_13 Depth=1
	s_delay_alu instid0(SALU_CYCLE_1)
	s_or_b32 exec_lo, exec_lo, s42
	global_load_u8 v1, v[62:63], off offset:900
	s_mov_b32 s42, exec_lo
	s_wait_loadcnt 0x0
	s_wait_xcnt 0x0
	v_cmpx_ne_u16_e32 0, v1
	s_cbranch_execz .LBB170_258
; %bb.251:                              ;   in Loop: Header=BB170_13 Depth=1
	v_bfrev_b32_e32 v96, 1
	s_mov_b32 s43, exec_lo
	v_cmpx_ne_u16_e32 0x80, v1
	s_cbranch_execz .LBB170_257
; %bb.252:                              ;   in Loop: Header=BB170_13 Depth=1
	v_and_b32_e32 v0, 0xffff, v1
	v_mov_b32_e32 v96, 0x7f800001
	s_mov_b32 s44, exec_lo
	s_delay_alu instid0(VALU_DEP_2) | instskip(NEXT) | instid1(VALU_DEP_1)
	v_and_b32_e32 v58, 0x7f, v0
	v_cmpx_ne_u32_e32 0x7f, v58
	s_cbranch_execz .LBB170_256
; %bb.253:                              ;   in Loop: Header=BB170_13 Depth=1
	v_dual_lshrrev_b32 v51, 3, v58 :: v_dual_bitop2_b32 v52, 7, v0 bitop3:0x40
	s_mov_b32 s45, exec_lo
	v_cmpx_gt_u32_e32 8, v58
; %bb.254:                              ;   in Loop: Header=BB170_13 Depth=1
	s_delay_alu instid0(VALU_DEP_2) | instskip(NEXT) | instid1(VALU_DEP_1)
	v_clz_i32_u32_e32 v0, v52
	v_min_u32_e32 v0, 32, v0
	s_delay_alu instid0(VALU_DEP_1) | instskip(NEXT) | instid1(VALU_DEP_1)
	v_subrev_nc_u32_e32 v51, 28, v0
	v_lshlrev_b64_e32 v[58:59], v51, v[52:53]
	s_delay_alu instid0(VALU_DEP_1)
	v_dual_sub_nc_u32 v51, 29, v0 :: v_dual_bitop2_b32 v52, 7, v58 bitop3:0x40
; %bb.255:                              ;   in Loop: Header=BB170_13 Depth=1
	s_or_b32 exec_lo, exec_lo, s45
	s_delay_alu instid0(VALU_DEP_1) | instskip(NEXT) | instid1(VALU_DEP_2)
	v_dual_lshlrev_b32 v0, 24, v1 :: v_dual_lshlrev_b32 v1, 20, v52
	v_lshl_add_u32 v51, v51, 23, 0x3c000000
	s_delay_alu instid0(VALU_DEP_2) | instskip(NEXT) | instid1(VALU_DEP_1)
	v_and_b32_e32 v0, 0x80000000, v0
	v_or3_b32 v96, v1, v0, v51
.LBB170_256:                            ;   in Loop: Header=BB170_13 Depth=1
	s_or_b32 exec_lo, exec_lo, s44
.LBB170_257:                            ;   in Loop: Header=BB170_13 Depth=1
	s_delay_alu instid0(SALU_CYCLE_1)
	s_or_b32 exec_lo, exec_lo, s43
.LBB170_258:                            ;   in Loop: Header=BB170_13 Depth=1
	s_delay_alu instid0(SALU_CYCLE_1)
	s_or_b32 exec_lo, exec_lo, s42
	global_load_u8 v1, v[62:63], off offset:904
	v_dual_mov_b32 v49, 0 :: v_dual_mov_b32 v99, 0
	s_mov_b32 s42, exec_lo
	s_wait_loadcnt 0x0
	s_wait_xcnt 0x0
	v_cmpx_ne_u16_e32 0, v1
	s_cbranch_execz .LBB170_266
; %bb.259:                              ;   in Loop: Header=BB170_13 Depth=1
	v_bfrev_b32_e32 v99, 1
	s_mov_b32 s43, exec_lo
	v_cmpx_ne_u16_e32 0x80, v1
	s_cbranch_execz .LBB170_265
; %bb.260:                              ;   in Loop: Header=BB170_13 Depth=1
	v_and_b32_e32 v0, 0xffff, v1
	v_mov_b32_e32 v99, 0x7f800001
	s_mov_b32 s44, exec_lo
	s_delay_alu instid0(VALU_DEP_2) | instskip(NEXT) | instid1(VALU_DEP_1)
	v_and_b32_e32 v58, 0x7f, v0
	v_cmpx_ne_u32_e32 0x7f, v58
	s_cbranch_execz .LBB170_264
; %bb.261:                              ;   in Loop: Header=BB170_13 Depth=1
	v_dual_lshrrev_b32 v51, 3, v58 :: v_dual_bitop2_b32 v52, 7, v0 bitop3:0x40
	s_mov_b32 s45, exec_lo
	v_cmpx_gt_u32_e32 8, v58
; %bb.262:                              ;   in Loop: Header=BB170_13 Depth=1
	s_delay_alu instid0(VALU_DEP_2) | instskip(NEXT) | instid1(VALU_DEP_1)
	v_clz_i32_u32_e32 v0, v52
	v_min_u32_e32 v0, 32, v0
	s_delay_alu instid0(VALU_DEP_1) | instskip(NEXT) | instid1(VALU_DEP_1)
	v_subrev_nc_u32_e32 v51, 28, v0
	v_lshlrev_b64_e32 v[58:59], v51, v[52:53]
	s_delay_alu instid0(VALU_DEP_1)
	v_dual_sub_nc_u32 v51, 29, v0 :: v_dual_bitop2_b32 v52, 7, v58 bitop3:0x40
; %bb.263:                              ;   in Loop: Header=BB170_13 Depth=1
	s_or_b32 exec_lo, exec_lo, s45
	s_delay_alu instid0(VALU_DEP_1) | instskip(NEXT) | instid1(VALU_DEP_2)
	v_dual_lshlrev_b32 v0, 24, v1 :: v_dual_lshlrev_b32 v1, 20, v52
	v_lshl_add_u32 v51, v51, 23, 0x3c000000
	s_delay_alu instid0(VALU_DEP_2) | instskip(NEXT) | instid1(VALU_DEP_1)
	v_and_b32_e32 v0, 0x80000000, v0
	v_or3_b32 v99, v1, v0, v51
.LBB170_264:                            ;   in Loop: Header=BB170_13 Depth=1
	s_or_b32 exec_lo, exec_lo, s44
.LBB170_265:                            ;   in Loop: Header=BB170_13 Depth=1
	s_delay_alu instid0(SALU_CYCLE_1)
	s_or_b32 exec_lo, exec_lo, s43
.LBB170_266:                            ;   in Loop: Header=BB170_13 Depth=1
	s_delay_alu instid0(SALU_CYCLE_1)
	s_or_b32 exec_lo, exec_lo, s42
	global_load_u8 v1, v[62:63], off offset:908
	s_mov_b32 s42, exec_lo
	s_wait_loadcnt 0x0
	s_wait_xcnt 0x0
	v_cmpx_ne_u16_e32 0, v1
	s_cbranch_execz .LBB170_274
; %bb.267:                              ;   in Loop: Header=BB170_13 Depth=1
	v_bfrev_b32_e32 v49, 1
	s_mov_b32 s43, exec_lo
	v_cmpx_ne_u16_e32 0x80, v1
	s_cbranch_execz .LBB170_273
; %bb.268:                              ;   in Loop: Header=BB170_13 Depth=1
	v_and_b32_e32 v0, 0xffff, v1
	v_mov_b32_e32 v49, 0x7f800001
	s_mov_b32 s44, exec_lo
	s_delay_alu instid0(VALU_DEP_2) | instskip(NEXT) | instid1(VALU_DEP_1)
	v_and_b32_e32 v58, 0x7f, v0
	v_cmpx_ne_u32_e32 0x7f, v58
	s_cbranch_execz .LBB170_272
; %bb.269:                              ;   in Loop: Header=BB170_13 Depth=1
	v_dual_lshrrev_b32 v51, 3, v58 :: v_dual_bitop2_b32 v52, 7, v0 bitop3:0x40
	s_mov_b32 s45, exec_lo
	v_cmpx_gt_u32_e32 8, v58
; %bb.270:                              ;   in Loop: Header=BB170_13 Depth=1
	s_delay_alu instid0(VALU_DEP_2) | instskip(NEXT) | instid1(VALU_DEP_1)
	v_clz_i32_u32_e32 v0, v52
	v_min_u32_e32 v0, 32, v0
	s_delay_alu instid0(VALU_DEP_1) | instskip(NEXT) | instid1(VALU_DEP_1)
	v_subrev_nc_u32_e32 v51, 28, v0
	v_lshlrev_b64_e32 v[58:59], v51, v[52:53]
	s_delay_alu instid0(VALU_DEP_1)
	v_dual_sub_nc_u32 v51, 29, v0 :: v_dual_bitop2_b32 v52, 7, v58 bitop3:0x40
; %bb.271:                              ;   in Loop: Header=BB170_13 Depth=1
	s_or_b32 exec_lo, exec_lo, s45
	s_delay_alu instid0(VALU_DEP_1) | instskip(NEXT) | instid1(VALU_DEP_2)
	v_dual_lshlrev_b32 v0, 24, v1 :: v_dual_lshlrev_b32 v1, 20, v52
	v_lshl_add_u32 v51, v51, 23, 0x3c000000
	s_delay_alu instid0(VALU_DEP_2) | instskip(NEXT) | instid1(VALU_DEP_1)
	v_and_b32_e32 v0, 0x80000000, v0
	v_or3_b32 v49, v1, v0, v51
.LBB170_272:                            ;   in Loop: Header=BB170_13 Depth=1
	s_or_b32 exec_lo, exec_lo, s44
.LBB170_273:                            ;   in Loop: Header=BB170_13 Depth=1
	s_delay_alu instid0(SALU_CYCLE_1)
	s_or_b32 exec_lo, exec_lo, s43
.LBB170_274:                            ;   in Loop: Header=BB170_13 Depth=1
	s_delay_alu instid0(SALU_CYCLE_1)
	s_or_b32 exec_lo, exec_lo, s42
	global_load_u8 v1, v[62:63], off offset:1024
	v_dual_mov_b32 v102, 0 :: v_dual_mov_b32 v103, 0
	s_mov_b32 s42, exec_lo
	s_wait_loadcnt 0x0
	s_wait_xcnt 0x0
	v_cmpx_ne_u16_e32 0, v1
	s_cbranch_execz .LBB170_282
; %bb.275:                              ;   in Loop: Header=BB170_13 Depth=1
	v_bfrev_b32_e32 v103, 1
	s_mov_b32 s43, exec_lo
	v_cmpx_ne_u16_e32 0x80, v1
	s_cbranch_execz .LBB170_281
; %bb.276:                              ;   in Loop: Header=BB170_13 Depth=1
	v_and_b32_e32 v0, 0xffff, v1
	v_mov_b32_e32 v103, 0x7f800001
	s_mov_b32 s44, exec_lo
	s_delay_alu instid0(VALU_DEP_2) | instskip(NEXT) | instid1(VALU_DEP_1)
	v_and_b32_e32 v58, 0x7f, v0
	v_cmpx_ne_u32_e32 0x7f, v58
	s_cbranch_execz .LBB170_280
; %bb.277:                              ;   in Loop: Header=BB170_13 Depth=1
	v_dual_lshrrev_b32 v51, 3, v58 :: v_dual_bitop2_b32 v52, 7, v0 bitop3:0x40
	s_mov_b32 s45, exec_lo
	v_cmpx_gt_u32_e32 8, v58
; %bb.278:                              ;   in Loop: Header=BB170_13 Depth=1
	s_delay_alu instid0(VALU_DEP_2) | instskip(NEXT) | instid1(VALU_DEP_1)
	v_clz_i32_u32_e32 v0, v52
	v_min_u32_e32 v0, 32, v0
	s_delay_alu instid0(VALU_DEP_1) | instskip(NEXT) | instid1(VALU_DEP_1)
	v_subrev_nc_u32_e32 v51, 28, v0
	v_lshlrev_b64_e32 v[58:59], v51, v[52:53]
	s_delay_alu instid0(VALU_DEP_1)
	v_dual_sub_nc_u32 v51, 29, v0 :: v_dual_bitop2_b32 v52, 7, v58 bitop3:0x40
; %bb.279:                              ;   in Loop: Header=BB170_13 Depth=1
	s_or_b32 exec_lo, exec_lo, s45
	s_delay_alu instid0(VALU_DEP_1) | instskip(NEXT) | instid1(VALU_DEP_2)
	v_dual_lshlrev_b32 v0, 24, v1 :: v_dual_lshlrev_b32 v1, 20, v52
	v_lshl_add_u32 v51, v51, 23, 0x3c000000
	s_delay_alu instid0(VALU_DEP_2) | instskip(NEXT) | instid1(VALU_DEP_1)
	v_and_b32_e32 v0, 0x80000000, v0
	v_or3_b32 v103, v1, v0, v51
.LBB170_280:                            ;   in Loop: Header=BB170_13 Depth=1
	s_or_b32 exec_lo, exec_lo, s44
.LBB170_281:                            ;   in Loop: Header=BB170_13 Depth=1
	s_delay_alu instid0(SALU_CYCLE_1)
	s_or_b32 exec_lo, exec_lo, s43
.LBB170_282:                            ;   in Loop: Header=BB170_13 Depth=1
	s_delay_alu instid0(SALU_CYCLE_1)
	s_or_b32 exec_lo, exec_lo, s42
	global_load_u8 v1, v[62:63], off offset:1028
	s_mov_b32 s42, exec_lo
	s_wait_loadcnt 0x0
	s_wait_xcnt 0x0
	v_cmpx_ne_u16_e32 0, v1
	s_cbranch_execz .LBB170_290
; %bb.283:                              ;   in Loop: Header=BB170_13 Depth=1
	v_bfrev_b32_e32 v102, 1
	s_mov_b32 s43, exec_lo
	v_cmpx_ne_u16_e32 0x80, v1
	s_cbranch_execz .LBB170_289
; %bb.284:                              ;   in Loop: Header=BB170_13 Depth=1
	v_and_b32_e32 v0, 0xffff, v1
	v_mov_b32_e32 v102, 0x7f800001
	s_mov_b32 s44, exec_lo
	s_delay_alu instid0(VALU_DEP_2) | instskip(NEXT) | instid1(VALU_DEP_1)
	v_and_b32_e32 v58, 0x7f, v0
	v_cmpx_ne_u32_e32 0x7f, v58
	s_cbranch_execz .LBB170_288
; %bb.285:                              ;   in Loop: Header=BB170_13 Depth=1
	v_dual_lshrrev_b32 v51, 3, v58 :: v_dual_bitop2_b32 v52, 7, v0 bitop3:0x40
	s_mov_b32 s45, exec_lo
	v_cmpx_gt_u32_e32 8, v58
; %bb.286:                              ;   in Loop: Header=BB170_13 Depth=1
	s_delay_alu instid0(VALU_DEP_2) | instskip(NEXT) | instid1(VALU_DEP_1)
	v_clz_i32_u32_e32 v0, v52
	v_min_u32_e32 v0, 32, v0
	s_delay_alu instid0(VALU_DEP_1) | instskip(NEXT) | instid1(VALU_DEP_1)
	v_subrev_nc_u32_e32 v51, 28, v0
	v_lshlrev_b64_e32 v[58:59], v51, v[52:53]
	s_delay_alu instid0(VALU_DEP_1)
	v_dual_sub_nc_u32 v51, 29, v0 :: v_dual_bitop2_b32 v52, 7, v58 bitop3:0x40
; %bb.287:                              ;   in Loop: Header=BB170_13 Depth=1
	s_or_b32 exec_lo, exec_lo, s45
	s_delay_alu instid0(VALU_DEP_1) | instskip(NEXT) | instid1(VALU_DEP_2)
	v_dual_lshlrev_b32 v0, 24, v1 :: v_dual_lshlrev_b32 v1, 20, v52
	v_lshl_add_u32 v51, v51, 23, 0x3c000000
	s_delay_alu instid0(VALU_DEP_2) | instskip(NEXT) | instid1(VALU_DEP_1)
	v_and_b32_e32 v0, 0x80000000, v0
	v_or3_b32 v102, v1, v0, v51
.LBB170_288:                            ;   in Loop: Header=BB170_13 Depth=1
	s_or_b32 exec_lo, exec_lo, s44
.LBB170_289:                            ;   in Loop: Header=BB170_13 Depth=1
	s_delay_alu instid0(SALU_CYCLE_1)
	s_or_b32 exec_lo, exec_lo, s43
.LBB170_290:                            ;   in Loop: Header=BB170_13 Depth=1
	s_delay_alu instid0(SALU_CYCLE_1)
	s_or_b32 exec_lo, exec_lo, s42
	global_load_u8 v1, v[62:63], off offset:1032
	v_dual_mov_b32 v104, 0 :: v_dual_mov_b32 v105, 0
	s_mov_b32 s42, exec_lo
	s_wait_loadcnt 0x0
	s_wait_xcnt 0x0
	v_cmpx_ne_u16_e32 0, v1
	s_cbranch_execz .LBB170_298
; %bb.291:                              ;   in Loop: Header=BB170_13 Depth=1
	v_bfrev_b32_e32 v105, 1
	s_mov_b32 s43, exec_lo
	v_cmpx_ne_u16_e32 0x80, v1
	s_cbranch_execz .LBB170_297
; %bb.292:                              ;   in Loop: Header=BB170_13 Depth=1
	v_and_b32_e32 v0, 0xffff, v1
	v_mov_b32_e32 v105, 0x7f800001
	s_mov_b32 s44, exec_lo
	s_delay_alu instid0(VALU_DEP_2) | instskip(NEXT) | instid1(VALU_DEP_1)
	v_and_b32_e32 v58, 0x7f, v0
	v_cmpx_ne_u32_e32 0x7f, v58
	s_cbranch_execz .LBB170_296
; %bb.293:                              ;   in Loop: Header=BB170_13 Depth=1
	v_dual_lshrrev_b32 v51, 3, v58 :: v_dual_bitop2_b32 v52, 7, v0 bitop3:0x40
	s_mov_b32 s45, exec_lo
	v_cmpx_gt_u32_e32 8, v58
; %bb.294:                              ;   in Loop: Header=BB170_13 Depth=1
	s_delay_alu instid0(VALU_DEP_2) | instskip(NEXT) | instid1(VALU_DEP_1)
	v_clz_i32_u32_e32 v0, v52
	v_min_u32_e32 v0, 32, v0
	s_delay_alu instid0(VALU_DEP_1) | instskip(NEXT) | instid1(VALU_DEP_1)
	v_subrev_nc_u32_e32 v51, 28, v0
	v_lshlrev_b64_e32 v[58:59], v51, v[52:53]
	s_delay_alu instid0(VALU_DEP_1)
	v_dual_sub_nc_u32 v51, 29, v0 :: v_dual_bitop2_b32 v52, 7, v58 bitop3:0x40
; %bb.295:                              ;   in Loop: Header=BB170_13 Depth=1
	s_or_b32 exec_lo, exec_lo, s45
	s_delay_alu instid0(VALU_DEP_1) | instskip(NEXT) | instid1(VALU_DEP_2)
	v_dual_lshlrev_b32 v0, 24, v1 :: v_dual_lshlrev_b32 v1, 20, v52
	v_lshl_add_u32 v51, v51, 23, 0x3c000000
	s_delay_alu instid0(VALU_DEP_2) | instskip(NEXT) | instid1(VALU_DEP_1)
	v_and_b32_e32 v0, 0x80000000, v0
	v_or3_b32 v105, v1, v0, v51
.LBB170_296:                            ;   in Loop: Header=BB170_13 Depth=1
	s_or_b32 exec_lo, exec_lo, s44
.LBB170_297:                            ;   in Loop: Header=BB170_13 Depth=1
	s_delay_alu instid0(SALU_CYCLE_1)
	s_or_b32 exec_lo, exec_lo, s43
.LBB170_298:                            ;   in Loop: Header=BB170_13 Depth=1
	s_delay_alu instid0(SALU_CYCLE_1)
	s_or_b32 exec_lo, exec_lo, s42
	global_load_u8 v1, v[62:63], off offset:1036
	s_mov_b32 s42, exec_lo
	s_wait_loadcnt 0x0
	s_wait_xcnt 0x0
	v_cmpx_ne_u16_e32 0, v1
	s_cbranch_execz .LBB170_306
; %bb.299:                              ;   in Loop: Header=BB170_13 Depth=1
	v_bfrev_b32_e32 v104, 1
	s_mov_b32 s43, exec_lo
	v_cmpx_ne_u16_e32 0x80, v1
	s_cbranch_execz .LBB170_305
; %bb.300:                              ;   in Loop: Header=BB170_13 Depth=1
	v_and_b32_e32 v0, 0xffff, v1
	v_mov_b32_e32 v104, 0x7f800001
	s_mov_b32 s44, exec_lo
	s_delay_alu instid0(VALU_DEP_2) | instskip(NEXT) | instid1(VALU_DEP_1)
	v_and_b32_e32 v58, 0x7f, v0
	v_cmpx_ne_u32_e32 0x7f, v58
	s_cbranch_execz .LBB170_304
; %bb.301:                              ;   in Loop: Header=BB170_13 Depth=1
	v_dual_lshrrev_b32 v51, 3, v58 :: v_dual_bitop2_b32 v52, 7, v0 bitop3:0x40
	s_mov_b32 s45, exec_lo
	v_cmpx_gt_u32_e32 8, v58
; %bb.302:                              ;   in Loop: Header=BB170_13 Depth=1
	s_delay_alu instid0(VALU_DEP_2) | instskip(NEXT) | instid1(VALU_DEP_1)
	v_clz_i32_u32_e32 v0, v52
	v_min_u32_e32 v0, 32, v0
	s_delay_alu instid0(VALU_DEP_1) | instskip(NEXT) | instid1(VALU_DEP_1)
	v_subrev_nc_u32_e32 v51, 28, v0
	v_lshlrev_b64_e32 v[58:59], v51, v[52:53]
	s_delay_alu instid0(VALU_DEP_1)
	v_dual_sub_nc_u32 v51, 29, v0 :: v_dual_bitop2_b32 v52, 7, v58 bitop3:0x40
; %bb.303:                              ;   in Loop: Header=BB170_13 Depth=1
	s_or_b32 exec_lo, exec_lo, s45
	s_delay_alu instid0(VALU_DEP_1) | instskip(NEXT) | instid1(VALU_DEP_2)
	v_dual_lshlrev_b32 v0, 24, v1 :: v_dual_lshlrev_b32 v1, 20, v52
	v_lshl_add_u32 v51, v51, 23, 0x3c000000
	s_delay_alu instid0(VALU_DEP_2) | instskip(NEXT) | instid1(VALU_DEP_1)
	v_and_b32_e32 v0, 0x80000000, v0
	v_or3_b32 v104, v1, v0, v51
.LBB170_304:                            ;   in Loop: Header=BB170_13 Depth=1
	s_or_b32 exec_lo, exec_lo, s44
.LBB170_305:                            ;   in Loop: Header=BB170_13 Depth=1
	s_delay_alu instid0(SALU_CYCLE_1)
	s_or_b32 exec_lo, exec_lo, s43
.LBB170_306:                            ;   in Loop: Header=BB170_13 Depth=1
	s_delay_alu instid0(SALU_CYCLE_1)
	s_or_b32 exec_lo, exec_lo, s42
	global_load_u8 v1, v[62:63], off offset:1152
	v_dual_mov_b32 v106, 0 :: v_dual_mov_b32 v107, 0
	s_mov_b32 s42, exec_lo
	s_wait_loadcnt 0x0
	s_wait_xcnt 0x0
	v_cmpx_ne_u16_e32 0, v1
	s_cbranch_execz .LBB170_314
; %bb.307:                              ;   in Loop: Header=BB170_13 Depth=1
	v_bfrev_b32_e32 v107, 1
	s_mov_b32 s43, exec_lo
	v_cmpx_ne_u16_e32 0x80, v1
	s_cbranch_execz .LBB170_313
; %bb.308:                              ;   in Loop: Header=BB170_13 Depth=1
	v_and_b32_e32 v0, 0xffff, v1
	v_mov_b32_e32 v107, 0x7f800001
	s_mov_b32 s44, exec_lo
	s_delay_alu instid0(VALU_DEP_2) | instskip(NEXT) | instid1(VALU_DEP_1)
	v_and_b32_e32 v58, 0x7f, v0
	v_cmpx_ne_u32_e32 0x7f, v58
	s_cbranch_execz .LBB170_312
; %bb.309:                              ;   in Loop: Header=BB170_13 Depth=1
	v_dual_lshrrev_b32 v51, 3, v58 :: v_dual_bitop2_b32 v52, 7, v0 bitop3:0x40
	s_mov_b32 s45, exec_lo
	v_cmpx_gt_u32_e32 8, v58
; %bb.310:                              ;   in Loop: Header=BB170_13 Depth=1
	s_delay_alu instid0(VALU_DEP_2) | instskip(NEXT) | instid1(VALU_DEP_1)
	v_clz_i32_u32_e32 v0, v52
	v_min_u32_e32 v0, 32, v0
	s_delay_alu instid0(VALU_DEP_1) | instskip(NEXT) | instid1(VALU_DEP_1)
	v_subrev_nc_u32_e32 v51, 28, v0
	v_lshlrev_b64_e32 v[58:59], v51, v[52:53]
	s_delay_alu instid0(VALU_DEP_1)
	v_dual_sub_nc_u32 v51, 29, v0 :: v_dual_bitop2_b32 v52, 7, v58 bitop3:0x40
; %bb.311:                              ;   in Loop: Header=BB170_13 Depth=1
	s_or_b32 exec_lo, exec_lo, s45
	s_delay_alu instid0(VALU_DEP_1) | instskip(NEXT) | instid1(VALU_DEP_2)
	v_dual_lshlrev_b32 v0, 24, v1 :: v_dual_lshlrev_b32 v1, 20, v52
	v_lshl_add_u32 v51, v51, 23, 0x3c000000
	s_delay_alu instid0(VALU_DEP_2) | instskip(NEXT) | instid1(VALU_DEP_1)
	v_and_b32_e32 v0, 0x80000000, v0
	v_or3_b32 v107, v1, v0, v51
.LBB170_312:                            ;   in Loop: Header=BB170_13 Depth=1
	s_or_b32 exec_lo, exec_lo, s44
.LBB170_313:                            ;   in Loop: Header=BB170_13 Depth=1
	s_delay_alu instid0(SALU_CYCLE_1)
	s_or_b32 exec_lo, exec_lo, s43
.LBB170_314:                            ;   in Loop: Header=BB170_13 Depth=1
	s_delay_alu instid0(SALU_CYCLE_1)
	s_or_b32 exec_lo, exec_lo, s42
	global_load_u8 v1, v[62:63], off offset:1156
	s_mov_b32 s42, exec_lo
	s_wait_loadcnt 0x0
	s_wait_xcnt 0x0
	v_cmpx_ne_u16_e32 0, v1
	s_cbranch_execz .LBB170_322
; %bb.315:                              ;   in Loop: Header=BB170_13 Depth=1
	v_bfrev_b32_e32 v106, 1
	s_mov_b32 s43, exec_lo
	v_cmpx_ne_u16_e32 0x80, v1
	s_cbranch_execz .LBB170_321
; %bb.316:                              ;   in Loop: Header=BB170_13 Depth=1
	v_and_b32_e32 v0, 0xffff, v1
	v_mov_b32_e32 v106, 0x7f800001
	s_mov_b32 s44, exec_lo
	s_delay_alu instid0(VALU_DEP_2) | instskip(NEXT) | instid1(VALU_DEP_1)
	v_and_b32_e32 v58, 0x7f, v0
	v_cmpx_ne_u32_e32 0x7f, v58
	s_cbranch_execz .LBB170_320
; %bb.317:                              ;   in Loop: Header=BB170_13 Depth=1
	v_dual_lshrrev_b32 v51, 3, v58 :: v_dual_bitop2_b32 v52, 7, v0 bitop3:0x40
	s_mov_b32 s45, exec_lo
	v_cmpx_gt_u32_e32 8, v58
; %bb.318:                              ;   in Loop: Header=BB170_13 Depth=1
	s_delay_alu instid0(VALU_DEP_2) | instskip(NEXT) | instid1(VALU_DEP_1)
	v_clz_i32_u32_e32 v0, v52
	v_min_u32_e32 v0, 32, v0
	s_delay_alu instid0(VALU_DEP_1) | instskip(NEXT) | instid1(VALU_DEP_1)
	v_subrev_nc_u32_e32 v51, 28, v0
	v_lshlrev_b64_e32 v[58:59], v51, v[52:53]
	s_delay_alu instid0(VALU_DEP_1)
	v_dual_sub_nc_u32 v51, 29, v0 :: v_dual_bitop2_b32 v52, 7, v58 bitop3:0x40
; %bb.319:                              ;   in Loop: Header=BB170_13 Depth=1
	s_or_b32 exec_lo, exec_lo, s45
	s_delay_alu instid0(VALU_DEP_1) | instskip(NEXT) | instid1(VALU_DEP_2)
	v_dual_lshlrev_b32 v0, 24, v1 :: v_dual_lshlrev_b32 v1, 20, v52
	v_lshl_add_u32 v51, v51, 23, 0x3c000000
	s_delay_alu instid0(VALU_DEP_2) | instskip(NEXT) | instid1(VALU_DEP_1)
	v_and_b32_e32 v0, 0x80000000, v0
	v_or3_b32 v106, v1, v0, v51
.LBB170_320:                            ;   in Loop: Header=BB170_13 Depth=1
	s_or_b32 exec_lo, exec_lo, s44
.LBB170_321:                            ;   in Loop: Header=BB170_13 Depth=1
	s_delay_alu instid0(SALU_CYCLE_1)
	s_or_b32 exec_lo, exec_lo, s43
.LBB170_322:                            ;   in Loop: Header=BB170_13 Depth=1
	s_delay_alu instid0(SALU_CYCLE_1)
	s_or_b32 exec_lo, exec_lo, s42
	global_load_u8 v1, v[62:63], off offset:1160
	v_dual_mov_b32 v108, 0 :: v_dual_mov_b32 v109, 0
	s_mov_b32 s42, exec_lo
	s_wait_loadcnt 0x0
	s_wait_xcnt 0x0
	v_cmpx_ne_u16_e32 0, v1
	s_cbranch_execz .LBB170_330
; %bb.323:                              ;   in Loop: Header=BB170_13 Depth=1
	v_bfrev_b32_e32 v109, 1
	s_mov_b32 s43, exec_lo
	v_cmpx_ne_u16_e32 0x80, v1
	s_cbranch_execz .LBB170_329
; %bb.324:                              ;   in Loop: Header=BB170_13 Depth=1
	v_and_b32_e32 v0, 0xffff, v1
	v_mov_b32_e32 v109, 0x7f800001
	s_mov_b32 s44, exec_lo
	s_delay_alu instid0(VALU_DEP_2) | instskip(NEXT) | instid1(VALU_DEP_1)
	v_and_b32_e32 v58, 0x7f, v0
	v_cmpx_ne_u32_e32 0x7f, v58
	s_cbranch_execz .LBB170_328
; %bb.325:                              ;   in Loop: Header=BB170_13 Depth=1
	v_dual_lshrrev_b32 v51, 3, v58 :: v_dual_bitop2_b32 v52, 7, v0 bitop3:0x40
	s_mov_b32 s45, exec_lo
	v_cmpx_gt_u32_e32 8, v58
; %bb.326:                              ;   in Loop: Header=BB170_13 Depth=1
	s_delay_alu instid0(VALU_DEP_2) | instskip(NEXT) | instid1(VALU_DEP_1)
	v_clz_i32_u32_e32 v0, v52
	v_min_u32_e32 v0, 32, v0
	s_delay_alu instid0(VALU_DEP_1) | instskip(NEXT) | instid1(VALU_DEP_1)
	v_subrev_nc_u32_e32 v51, 28, v0
	v_lshlrev_b64_e32 v[58:59], v51, v[52:53]
	s_delay_alu instid0(VALU_DEP_1)
	v_dual_sub_nc_u32 v51, 29, v0 :: v_dual_bitop2_b32 v52, 7, v58 bitop3:0x40
; %bb.327:                              ;   in Loop: Header=BB170_13 Depth=1
	s_or_b32 exec_lo, exec_lo, s45
	s_delay_alu instid0(VALU_DEP_1) | instskip(NEXT) | instid1(VALU_DEP_2)
	v_dual_lshlrev_b32 v0, 24, v1 :: v_dual_lshlrev_b32 v1, 20, v52
	v_lshl_add_u32 v51, v51, 23, 0x3c000000
	s_delay_alu instid0(VALU_DEP_2) | instskip(NEXT) | instid1(VALU_DEP_1)
	v_and_b32_e32 v0, 0x80000000, v0
	v_or3_b32 v109, v1, v0, v51
.LBB170_328:                            ;   in Loop: Header=BB170_13 Depth=1
	s_or_b32 exec_lo, exec_lo, s44
.LBB170_329:                            ;   in Loop: Header=BB170_13 Depth=1
	s_delay_alu instid0(SALU_CYCLE_1)
	s_or_b32 exec_lo, exec_lo, s43
.LBB170_330:                            ;   in Loop: Header=BB170_13 Depth=1
	s_delay_alu instid0(SALU_CYCLE_1)
	s_or_b32 exec_lo, exec_lo, s42
	global_load_u8 v1, v[62:63], off offset:1164
	s_mov_b32 s42, exec_lo
	s_wait_loadcnt 0x0
	s_wait_xcnt 0x0
	v_cmpx_ne_u16_e32 0, v1
	s_cbranch_execz .LBB170_338
; %bb.331:                              ;   in Loop: Header=BB170_13 Depth=1
	v_bfrev_b32_e32 v108, 1
	s_mov_b32 s43, exec_lo
	v_cmpx_ne_u16_e32 0x80, v1
	s_cbranch_execz .LBB170_337
; %bb.332:                              ;   in Loop: Header=BB170_13 Depth=1
	v_and_b32_e32 v0, 0xffff, v1
	v_mov_b32_e32 v108, 0x7f800001
	s_mov_b32 s44, exec_lo
	s_delay_alu instid0(VALU_DEP_2) | instskip(NEXT) | instid1(VALU_DEP_1)
	v_and_b32_e32 v58, 0x7f, v0
	v_cmpx_ne_u32_e32 0x7f, v58
	s_cbranch_execz .LBB170_336
; %bb.333:                              ;   in Loop: Header=BB170_13 Depth=1
	v_dual_lshrrev_b32 v51, 3, v58 :: v_dual_bitop2_b32 v52, 7, v0 bitop3:0x40
	s_mov_b32 s45, exec_lo
	v_cmpx_gt_u32_e32 8, v58
; %bb.334:                              ;   in Loop: Header=BB170_13 Depth=1
	s_delay_alu instid0(VALU_DEP_2) | instskip(NEXT) | instid1(VALU_DEP_1)
	v_clz_i32_u32_e32 v0, v52
	v_min_u32_e32 v0, 32, v0
	s_delay_alu instid0(VALU_DEP_1) | instskip(NEXT) | instid1(VALU_DEP_1)
	v_subrev_nc_u32_e32 v51, 28, v0
	v_lshlrev_b64_e32 v[58:59], v51, v[52:53]
	s_delay_alu instid0(VALU_DEP_1)
	v_dual_sub_nc_u32 v51, 29, v0 :: v_dual_bitop2_b32 v52, 7, v58 bitop3:0x40
; %bb.335:                              ;   in Loop: Header=BB170_13 Depth=1
	s_or_b32 exec_lo, exec_lo, s45
	s_delay_alu instid0(VALU_DEP_1) | instskip(NEXT) | instid1(VALU_DEP_2)
	v_dual_lshlrev_b32 v0, 24, v1 :: v_dual_lshlrev_b32 v1, 20, v52
	v_lshl_add_u32 v51, v51, 23, 0x3c000000
	s_delay_alu instid0(VALU_DEP_2) | instskip(NEXT) | instid1(VALU_DEP_1)
	v_and_b32_e32 v0, 0x80000000, v0
	v_or3_b32 v108, v1, v0, v51
.LBB170_336:                            ;   in Loop: Header=BB170_13 Depth=1
	s_or_b32 exec_lo, exec_lo, s44
.LBB170_337:                            ;   in Loop: Header=BB170_13 Depth=1
	s_delay_alu instid0(SALU_CYCLE_1)
	s_or_b32 exec_lo, exec_lo, s43
.LBB170_338:                            ;   in Loop: Header=BB170_13 Depth=1
	s_delay_alu instid0(SALU_CYCLE_1)
	s_or_b32 exec_lo, exec_lo, s42
	global_load_u8 v1, v[62:63], off offset:1280
	v_dual_mov_b32 v110, 0 :: v_dual_mov_b32 v111, 0
	s_mov_b32 s42, exec_lo
	s_wait_loadcnt 0x0
	s_wait_xcnt 0x0
	v_cmpx_ne_u16_e32 0, v1
	s_cbranch_execz .LBB170_346
; %bb.339:                              ;   in Loop: Header=BB170_13 Depth=1
	v_bfrev_b32_e32 v111, 1
	s_mov_b32 s43, exec_lo
	v_cmpx_ne_u16_e32 0x80, v1
	s_cbranch_execz .LBB170_345
; %bb.340:                              ;   in Loop: Header=BB170_13 Depth=1
	v_and_b32_e32 v0, 0xffff, v1
	v_mov_b32_e32 v111, 0x7f800001
	s_mov_b32 s44, exec_lo
	s_delay_alu instid0(VALU_DEP_2) | instskip(NEXT) | instid1(VALU_DEP_1)
	v_and_b32_e32 v58, 0x7f, v0
	v_cmpx_ne_u32_e32 0x7f, v58
	s_cbranch_execz .LBB170_344
; %bb.341:                              ;   in Loop: Header=BB170_13 Depth=1
	v_dual_lshrrev_b32 v51, 3, v58 :: v_dual_bitop2_b32 v52, 7, v0 bitop3:0x40
	s_mov_b32 s45, exec_lo
	v_cmpx_gt_u32_e32 8, v58
; %bb.342:                              ;   in Loop: Header=BB170_13 Depth=1
	s_delay_alu instid0(VALU_DEP_2) | instskip(NEXT) | instid1(VALU_DEP_1)
	v_clz_i32_u32_e32 v0, v52
	v_min_u32_e32 v0, 32, v0
	s_delay_alu instid0(VALU_DEP_1) | instskip(NEXT) | instid1(VALU_DEP_1)
	v_subrev_nc_u32_e32 v51, 28, v0
	v_lshlrev_b64_e32 v[58:59], v51, v[52:53]
	s_delay_alu instid0(VALU_DEP_1)
	v_dual_sub_nc_u32 v51, 29, v0 :: v_dual_bitop2_b32 v52, 7, v58 bitop3:0x40
; %bb.343:                              ;   in Loop: Header=BB170_13 Depth=1
	s_or_b32 exec_lo, exec_lo, s45
	s_delay_alu instid0(VALU_DEP_1) | instskip(NEXT) | instid1(VALU_DEP_2)
	v_dual_lshlrev_b32 v0, 24, v1 :: v_dual_lshlrev_b32 v1, 20, v52
	v_lshl_add_u32 v51, v51, 23, 0x3c000000
	s_delay_alu instid0(VALU_DEP_2) | instskip(NEXT) | instid1(VALU_DEP_1)
	v_and_b32_e32 v0, 0x80000000, v0
	v_or3_b32 v111, v1, v0, v51
.LBB170_344:                            ;   in Loop: Header=BB170_13 Depth=1
	s_or_b32 exec_lo, exec_lo, s44
.LBB170_345:                            ;   in Loop: Header=BB170_13 Depth=1
	s_delay_alu instid0(SALU_CYCLE_1)
	s_or_b32 exec_lo, exec_lo, s43
.LBB170_346:                            ;   in Loop: Header=BB170_13 Depth=1
	s_delay_alu instid0(SALU_CYCLE_1)
	s_or_b32 exec_lo, exec_lo, s42
	global_load_u8 v1, v[62:63], off offset:1284
	s_mov_b32 s42, exec_lo
	s_wait_loadcnt 0x0
	s_wait_xcnt 0x0
	v_cmpx_ne_u16_e32 0, v1
	s_cbranch_execz .LBB170_354
; %bb.347:                              ;   in Loop: Header=BB170_13 Depth=1
	v_bfrev_b32_e32 v110, 1
	s_mov_b32 s43, exec_lo
	v_cmpx_ne_u16_e32 0x80, v1
	s_cbranch_execz .LBB170_353
; %bb.348:                              ;   in Loop: Header=BB170_13 Depth=1
	v_and_b32_e32 v0, 0xffff, v1
	v_mov_b32_e32 v110, 0x7f800001
	s_mov_b32 s44, exec_lo
	s_delay_alu instid0(VALU_DEP_2) | instskip(NEXT) | instid1(VALU_DEP_1)
	v_and_b32_e32 v58, 0x7f, v0
	v_cmpx_ne_u32_e32 0x7f, v58
	s_cbranch_execz .LBB170_352
; %bb.349:                              ;   in Loop: Header=BB170_13 Depth=1
	v_dual_lshrrev_b32 v51, 3, v58 :: v_dual_bitop2_b32 v52, 7, v0 bitop3:0x40
	s_mov_b32 s45, exec_lo
	v_cmpx_gt_u32_e32 8, v58
; %bb.350:                              ;   in Loop: Header=BB170_13 Depth=1
	s_delay_alu instid0(VALU_DEP_2) | instskip(NEXT) | instid1(VALU_DEP_1)
	v_clz_i32_u32_e32 v0, v52
	v_min_u32_e32 v0, 32, v0
	s_delay_alu instid0(VALU_DEP_1) | instskip(NEXT) | instid1(VALU_DEP_1)
	v_subrev_nc_u32_e32 v51, 28, v0
	v_lshlrev_b64_e32 v[58:59], v51, v[52:53]
	s_delay_alu instid0(VALU_DEP_1)
	v_dual_sub_nc_u32 v51, 29, v0 :: v_dual_bitop2_b32 v52, 7, v58 bitop3:0x40
; %bb.351:                              ;   in Loop: Header=BB170_13 Depth=1
	s_or_b32 exec_lo, exec_lo, s45
	s_delay_alu instid0(VALU_DEP_1) | instskip(NEXT) | instid1(VALU_DEP_2)
	v_dual_lshlrev_b32 v0, 24, v1 :: v_dual_lshlrev_b32 v1, 20, v52
	v_lshl_add_u32 v51, v51, 23, 0x3c000000
	s_delay_alu instid0(VALU_DEP_2) | instskip(NEXT) | instid1(VALU_DEP_1)
	v_and_b32_e32 v0, 0x80000000, v0
	v_or3_b32 v110, v1, v0, v51
.LBB170_352:                            ;   in Loop: Header=BB170_13 Depth=1
	s_or_b32 exec_lo, exec_lo, s44
.LBB170_353:                            ;   in Loop: Header=BB170_13 Depth=1
	s_delay_alu instid0(SALU_CYCLE_1)
	s_or_b32 exec_lo, exec_lo, s43
.LBB170_354:                            ;   in Loop: Header=BB170_13 Depth=1
	s_delay_alu instid0(SALU_CYCLE_1)
	s_or_b32 exec_lo, exec_lo, s42
	global_load_u8 v1, v[62:63], off offset:1288
	v_dual_mov_b32 v112, 0 :: v_dual_mov_b32 v113, 0
	s_mov_b32 s42, exec_lo
	s_wait_loadcnt 0x0
	s_wait_xcnt 0x0
	v_cmpx_ne_u16_e32 0, v1
	s_cbranch_execz .LBB170_362
; %bb.355:                              ;   in Loop: Header=BB170_13 Depth=1
	v_bfrev_b32_e32 v113, 1
	s_mov_b32 s43, exec_lo
	v_cmpx_ne_u16_e32 0x80, v1
	s_cbranch_execz .LBB170_361
; %bb.356:                              ;   in Loop: Header=BB170_13 Depth=1
	v_and_b32_e32 v0, 0xffff, v1
	v_mov_b32_e32 v113, 0x7f800001
	s_mov_b32 s44, exec_lo
	s_delay_alu instid0(VALU_DEP_2) | instskip(NEXT) | instid1(VALU_DEP_1)
	v_and_b32_e32 v58, 0x7f, v0
	v_cmpx_ne_u32_e32 0x7f, v58
	s_cbranch_execz .LBB170_360
; %bb.357:                              ;   in Loop: Header=BB170_13 Depth=1
	v_dual_lshrrev_b32 v51, 3, v58 :: v_dual_bitop2_b32 v52, 7, v0 bitop3:0x40
	s_mov_b32 s45, exec_lo
	v_cmpx_gt_u32_e32 8, v58
; %bb.358:                              ;   in Loop: Header=BB170_13 Depth=1
	s_delay_alu instid0(VALU_DEP_2) | instskip(NEXT) | instid1(VALU_DEP_1)
	v_clz_i32_u32_e32 v0, v52
	v_min_u32_e32 v0, 32, v0
	s_delay_alu instid0(VALU_DEP_1) | instskip(NEXT) | instid1(VALU_DEP_1)
	v_subrev_nc_u32_e32 v51, 28, v0
	v_lshlrev_b64_e32 v[58:59], v51, v[52:53]
	s_delay_alu instid0(VALU_DEP_1)
	v_dual_sub_nc_u32 v51, 29, v0 :: v_dual_bitop2_b32 v52, 7, v58 bitop3:0x40
; %bb.359:                              ;   in Loop: Header=BB170_13 Depth=1
	s_or_b32 exec_lo, exec_lo, s45
	s_delay_alu instid0(VALU_DEP_1) | instskip(NEXT) | instid1(VALU_DEP_2)
	v_dual_lshlrev_b32 v0, 24, v1 :: v_dual_lshlrev_b32 v1, 20, v52
	v_lshl_add_u32 v51, v51, 23, 0x3c000000
	s_delay_alu instid0(VALU_DEP_2) | instskip(NEXT) | instid1(VALU_DEP_1)
	v_and_b32_e32 v0, 0x80000000, v0
	v_or3_b32 v113, v1, v0, v51
.LBB170_360:                            ;   in Loop: Header=BB170_13 Depth=1
	s_or_b32 exec_lo, exec_lo, s44
.LBB170_361:                            ;   in Loop: Header=BB170_13 Depth=1
	s_delay_alu instid0(SALU_CYCLE_1)
	s_or_b32 exec_lo, exec_lo, s43
.LBB170_362:                            ;   in Loop: Header=BB170_13 Depth=1
	s_delay_alu instid0(SALU_CYCLE_1)
	s_or_b32 exec_lo, exec_lo, s42
	global_load_u8 v1, v[62:63], off offset:1292
	s_mov_b32 s42, exec_lo
	s_wait_loadcnt 0x0
	s_wait_xcnt 0x0
	v_cmpx_ne_u16_e32 0, v1
	s_cbranch_execz .LBB170_370
; %bb.363:                              ;   in Loop: Header=BB170_13 Depth=1
	v_bfrev_b32_e32 v112, 1
	s_mov_b32 s43, exec_lo
	v_cmpx_ne_u16_e32 0x80, v1
	s_cbranch_execz .LBB170_369
; %bb.364:                              ;   in Loop: Header=BB170_13 Depth=1
	v_and_b32_e32 v0, 0xffff, v1
	v_mov_b32_e32 v112, 0x7f800001
	s_mov_b32 s44, exec_lo
	s_delay_alu instid0(VALU_DEP_2) | instskip(NEXT) | instid1(VALU_DEP_1)
	v_and_b32_e32 v58, 0x7f, v0
	v_cmpx_ne_u32_e32 0x7f, v58
	s_cbranch_execz .LBB170_368
; %bb.365:                              ;   in Loop: Header=BB170_13 Depth=1
	v_dual_lshrrev_b32 v51, 3, v58 :: v_dual_bitop2_b32 v52, 7, v0 bitop3:0x40
	s_mov_b32 s45, exec_lo
	v_cmpx_gt_u32_e32 8, v58
; %bb.366:                              ;   in Loop: Header=BB170_13 Depth=1
	s_delay_alu instid0(VALU_DEP_2) | instskip(NEXT) | instid1(VALU_DEP_1)
	v_clz_i32_u32_e32 v0, v52
	v_min_u32_e32 v0, 32, v0
	s_delay_alu instid0(VALU_DEP_1) | instskip(NEXT) | instid1(VALU_DEP_1)
	v_subrev_nc_u32_e32 v51, 28, v0
	v_lshlrev_b64_e32 v[58:59], v51, v[52:53]
	s_delay_alu instid0(VALU_DEP_1)
	v_dual_sub_nc_u32 v51, 29, v0 :: v_dual_bitop2_b32 v52, 7, v58 bitop3:0x40
; %bb.367:                              ;   in Loop: Header=BB170_13 Depth=1
	s_or_b32 exec_lo, exec_lo, s45
	s_delay_alu instid0(VALU_DEP_1) | instskip(NEXT) | instid1(VALU_DEP_2)
	v_dual_lshlrev_b32 v0, 24, v1 :: v_dual_lshlrev_b32 v1, 20, v52
	v_lshl_add_u32 v51, v51, 23, 0x3c000000
	s_delay_alu instid0(VALU_DEP_2) | instskip(NEXT) | instid1(VALU_DEP_1)
	v_and_b32_e32 v0, 0x80000000, v0
	v_or3_b32 v112, v1, v0, v51
.LBB170_368:                            ;   in Loop: Header=BB170_13 Depth=1
	s_or_b32 exec_lo, exec_lo, s44
.LBB170_369:                            ;   in Loop: Header=BB170_13 Depth=1
	s_delay_alu instid0(SALU_CYCLE_1)
	s_or_b32 exec_lo, exec_lo, s43
.LBB170_370:                            ;   in Loop: Header=BB170_13 Depth=1
	s_delay_alu instid0(SALU_CYCLE_1)
	s_or_b32 exec_lo, exec_lo, s42
	global_load_u8 v1, v[62:63], off offset:1408
	v_dual_mov_b32 v114, 0 :: v_dual_mov_b32 v115, 0
	s_mov_b32 s42, exec_lo
	s_wait_loadcnt 0x0
	s_wait_xcnt 0x0
	v_cmpx_ne_u16_e32 0, v1
	s_cbranch_execz .LBB170_378
; %bb.371:                              ;   in Loop: Header=BB170_13 Depth=1
	v_bfrev_b32_e32 v115, 1
	s_mov_b32 s43, exec_lo
	v_cmpx_ne_u16_e32 0x80, v1
	s_cbranch_execz .LBB170_377
; %bb.372:                              ;   in Loop: Header=BB170_13 Depth=1
	v_and_b32_e32 v0, 0xffff, v1
	v_mov_b32_e32 v115, 0x7f800001
	s_mov_b32 s44, exec_lo
	s_delay_alu instid0(VALU_DEP_2) | instskip(NEXT) | instid1(VALU_DEP_1)
	v_and_b32_e32 v58, 0x7f, v0
	v_cmpx_ne_u32_e32 0x7f, v58
	s_cbranch_execz .LBB170_376
; %bb.373:                              ;   in Loop: Header=BB170_13 Depth=1
	v_dual_lshrrev_b32 v51, 3, v58 :: v_dual_bitop2_b32 v52, 7, v0 bitop3:0x40
	s_mov_b32 s45, exec_lo
	v_cmpx_gt_u32_e32 8, v58
; %bb.374:                              ;   in Loop: Header=BB170_13 Depth=1
	s_delay_alu instid0(VALU_DEP_2) | instskip(NEXT) | instid1(VALU_DEP_1)
	v_clz_i32_u32_e32 v0, v52
	v_min_u32_e32 v0, 32, v0
	s_delay_alu instid0(VALU_DEP_1) | instskip(NEXT) | instid1(VALU_DEP_1)
	v_subrev_nc_u32_e32 v51, 28, v0
	v_lshlrev_b64_e32 v[58:59], v51, v[52:53]
	s_delay_alu instid0(VALU_DEP_1)
	v_dual_sub_nc_u32 v51, 29, v0 :: v_dual_bitop2_b32 v52, 7, v58 bitop3:0x40
; %bb.375:                              ;   in Loop: Header=BB170_13 Depth=1
	s_or_b32 exec_lo, exec_lo, s45
	s_delay_alu instid0(VALU_DEP_1) | instskip(NEXT) | instid1(VALU_DEP_2)
	v_dual_lshlrev_b32 v0, 24, v1 :: v_dual_lshlrev_b32 v1, 20, v52
	v_lshl_add_u32 v51, v51, 23, 0x3c000000
	s_delay_alu instid0(VALU_DEP_2) | instskip(NEXT) | instid1(VALU_DEP_1)
	v_and_b32_e32 v0, 0x80000000, v0
	v_or3_b32 v115, v1, v0, v51
.LBB170_376:                            ;   in Loop: Header=BB170_13 Depth=1
	s_or_b32 exec_lo, exec_lo, s44
.LBB170_377:                            ;   in Loop: Header=BB170_13 Depth=1
	s_delay_alu instid0(SALU_CYCLE_1)
	s_or_b32 exec_lo, exec_lo, s43
.LBB170_378:                            ;   in Loop: Header=BB170_13 Depth=1
	s_delay_alu instid0(SALU_CYCLE_1)
	s_or_b32 exec_lo, exec_lo, s42
	global_load_u8 v1, v[62:63], off offset:1412
	s_mov_b32 s42, exec_lo
	s_wait_loadcnt 0x0
	s_wait_xcnt 0x0
	v_cmpx_ne_u16_e32 0, v1
	s_cbranch_execz .LBB170_386
; %bb.379:                              ;   in Loop: Header=BB170_13 Depth=1
	v_bfrev_b32_e32 v114, 1
	s_mov_b32 s43, exec_lo
	v_cmpx_ne_u16_e32 0x80, v1
	s_cbranch_execz .LBB170_385
; %bb.380:                              ;   in Loop: Header=BB170_13 Depth=1
	v_and_b32_e32 v0, 0xffff, v1
	v_mov_b32_e32 v114, 0x7f800001
	s_mov_b32 s44, exec_lo
	s_delay_alu instid0(VALU_DEP_2) | instskip(NEXT) | instid1(VALU_DEP_1)
	v_and_b32_e32 v58, 0x7f, v0
	v_cmpx_ne_u32_e32 0x7f, v58
	s_cbranch_execz .LBB170_384
; %bb.381:                              ;   in Loop: Header=BB170_13 Depth=1
	v_dual_lshrrev_b32 v51, 3, v58 :: v_dual_bitop2_b32 v52, 7, v0 bitop3:0x40
	s_mov_b32 s45, exec_lo
	v_cmpx_gt_u32_e32 8, v58
; %bb.382:                              ;   in Loop: Header=BB170_13 Depth=1
	s_delay_alu instid0(VALU_DEP_2) | instskip(NEXT) | instid1(VALU_DEP_1)
	v_clz_i32_u32_e32 v0, v52
	v_min_u32_e32 v0, 32, v0
	s_delay_alu instid0(VALU_DEP_1) | instskip(NEXT) | instid1(VALU_DEP_1)
	v_subrev_nc_u32_e32 v51, 28, v0
	v_lshlrev_b64_e32 v[58:59], v51, v[52:53]
	s_delay_alu instid0(VALU_DEP_1)
	v_dual_sub_nc_u32 v51, 29, v0 :: v_dual_bitop2_b32 v52, 7, v58 bitop3:0x40
; %bb.383:                              ;   in Loop: Header=BB170_13 Depth=1
	s_or_b32 exec_lo, exec_lo, s45
	s_delay_alu instid0(VALU_DEP_1) | instskip(NEXT) | instid1(VALU_DEP_2)
	v_dual_lshlrev_b32 v0, 24, v1 :: v_dual_lshlrev_b32 v1, 20, v52
	v_lshl_add_u32 v51, v51, 23, 0x3c000000
	s_delay_alu instid0(VALU_DEP_2) | instskip(NEXT) | instid1(VALU_DEP_1)
	v_and_b32_e32 v0, 0x80000000, v0
	v_or3_b32 v114, v1, v0, v51
.LBB170_384:                            ;   in Loop: Header=BB170_13 Depth=1
	s_or_b32 exec_lo, exec_lo, s44
.LBB170_385:                            ;   in Loop: Header=BB170_13 Depth=1
	s_delay_alu instid0(SALU_CYCLE_1)
	s_or_b32 exec_lo, exec_lo, s43
.LBB170_386:                            ;   in Loop: Header=BB170_13 Depth=1
	s_delay_alu instid0(SALU_CYCLE_1)
	s_or_b32 exec_lo, exec_lo, s42
	global_load_u8 v1, v[62:63], off offset:1416
	v_dual_mov_b32 v116, 0 :: v_dual_mov_b32 v117, 0
	s_mov_b32 s42, exec_lo
	s_wait_loadcnt 0x0
	s_wait_xcnt 0x0
	v_cmpx_ne_u16_e32 0, v1
	s_cbranch_execz .LBB170_394
; %bb.387:                              ;   in Loop: Header=BB170_13 Depth=1
	v_bfrev_b32_e32 v117, 1
	s_mov_b32 s43, exec_lo
	v_cmpx_ne_u16_e32 0x80, v1
	s_cbranch_execz .LBB170_393
; %bb.388:                              ;   in Loop: Header=BB170_13 Depth=1
	v_and_b32_e32 v0, 0xffff, v1
	v_mov_b32_e32 v117, 0x7f800001
	s_mov_b32 s44, exec_lo
	s_delay_alu instid0(VALU_DEP_2) | instskip(NEXT) | instid1(VALU_DEP_1)
	v_and_b32_e32 v58, 0x7f, v0
	v_cmpx_ne_u32_e32 0x7f, v58
	s_cbranch_execz .LBB170_392
; %bb.389:                              ;   in Loop: Header=BB170_13 Depth=1
	v_dual_lshrrev_b32 v51, 3, v58 :: v_dual_bitop2_b32 v52, 7, v0 bitop3:0x40
	s_mov_b32 s45, exec_lo
	v_cmpx_gt_u32_e32 8, v58
; %bb.390:                              ;   in Loop: Header=BB170_13 Depth=1
	s_delay_alu instid0(VALU_DEP_2) | instskip(NEXT) | instid1(VALU_DEP_1)
	v_clz_i32_u32_e32 v0, v52
	v_min_u32_e32 v0, 32, v0
	s_delay_alu instid0(VALU_DEP_1) | instskip(NEXT) | instid1(VALU_DEP_1)
	v_subrev_nc_u32_e32 v51, 28, v0
	v_lshlrev_b64_e32 v[58:59], v51, v[52:53]
	s_delay_alu instid0(VALU_DEP_1)
	v_dual_sub_nc_u32 v51, 29, v0 :: v_dual_bitop2_b32 v52, 7, v58 bitop3:0x40
; %bb.391:                              ;   in Loop: Header=BB170_13 Depth=1
	s_or_b32 exec_lo, exec_lo, s45
	s_delay_alu instid0(VALU_DEP_1) | instskip(NEXT) | instid1(VALU_DEP_2)
	v_dual_lshlrev_b32 v0, 24, v1 :: v_dual_lshlrev_b32 v1, 20, v52
	v_lshl_add_u32 v51, v51, 23, 0x3c000000
	s_delay_alu instid0(VALU_DEP_2) | instskip(NEXT) | instid1(VALU_DEP_1)
	v_and_b32_e32 v0, 0x80000000, v0
	v_or3_b32 v117, v1, v0, v51
.LBB170_392:                            ;   in Loop: Header=BB170_13 Depth=1
	s_or_b32 exec_lo, exec_lo, s44
.LBB170_393:                            ;   in Loop: Header=BB170_13 Depth=1
	s_delay_alu instid0(SALU_CYCLE_1)
	s_or_b32 exec_lo, exec_lo, s43
.LBB170_394:                            ;   in Loop: Header=BB170_13 Depth=1
	s_delay_alu instid0(SALU_CYCLE_1)
	s_or_b32 exec_lo, exec_lo, s42
	global_load_u8 v1, v[62:63], off offset:1420
	s_mov_b32 s42, exec_lo
	s_wait_loadcnt 0x0
	s_wait_xcnt 0x0
	v_cmpx_ne_u16_e32 0, v1
	s_cbranch_execz .LBB170_402
; %bb.395:                              ;   in Loop: Header=BB170_13 Depth=1
	v_bfrev_b32_e32 v116, 1
	s_mov_b32 s43, exec_lo
	v_cmpx_ne_u16_e32 0x80, v1
	s_cbranch_execz .LBB170_401
; %bb.396:                              ;   in Loop: Header=BB170_13 Depth=1
	v_and_b32_e32 v0, 0xffff, v1
	v_mov_b32_e32 v116, 0x7f800001
	s_mov_b32 s44, exec_lo
	s_delay_alu instid0(VALU_DEP_2) | instskip(NEXT) | instid1(VALU_DEP_1)
	v_and_b32_e32 v58, 0x7f, v0
	v_cmpx_ne_u32_e32 0x7f, v58
	s_cbranch_execz .LBB170_400
; %bb.397:                              ;   in Loop: Header=BB170_13 Depth=1
	v_dual_lshrrev_b32 v51, 3, v58 :: v_dual_bitop2_b32 v52, 7, v0 bitop3:0x40
	s_mov_b32 s45, exec_lo
	v_cmpx_gt_u32_e32 8, v58
; %bb.398:                              ;   in Loop: Header=BB170_13 Depth=1
	s_delay_alu instid0(VALU_DEP_2) | instskip(NEXT) | instid1(VALU_DEP_1)
	v_clz_i32_u32_e32 v0, v52
	v_min_u32_e32 v0, 32, v0
	s_delay_alu instid0(VALU_DEP_1) | instskip(NEXT) | instid1(VALU_DEP_1)
	v_subrev_nc_u32_e32 v51, 28, v0
	v_lshlrev_b64_e32 v[58:59], v51, v[52:53]
	s_delay_alu instid0(VALU_DEP_1)
	v_dual_sub_nc_u32 v51, 29, v0 :: v_dual_bitop2_b32 v52, 7, v58 bitop3:0x40
; %bb.399:                              ;   in Loop: Header=BB170_13 Depth=1
	s_or_b32 exec_lo, exec_lo, s45
	s_delay_alu instid0(VALU_DEP_1) | instskip(NEXT) | instid1(VALU_DEP_2)
	v_dual_lshlrev_b32 v0, 24, v1 :: v_dual_lshlrev_b32 v1, 20, v52
	v_lshl_add_u32 v51, v51, 23, 0x3c000000
	s_delay_alu instid0(VALU_DEP_2) | instskip(NEXT) | instid1(VALU_DEP_1)
	v_and_b32_e32 v0, 0x80000000, v0
	v_or3_b32 v116, v1, v0, v51
.LBB170_400:                            ;   in Loop: Header=BB170_13 Depth=1
	s_or_b32 exec_lo, exec_lo, s44
.LBB170_401:                            ;   in Loop: Header=BB170_13 Depth=1
	s_delay_alu instid0(SALU_CYCLE_1)
	s_or_b32 exec_lo, exec_lo, s43
.LBB170_402:                            ;   in Loop: Header=BB170_13 Depth=1
	s_delay_alu instid0(SALU_CYCLE_1)
	s_or_b32 exec_lo, exec_lo, s42
	global_load_u8 v1, v[62:63], off offset:1536
	v_dual_mov_b32 v118, 0 :: v_dual_mov_b32 v119, 0
	s_mov_b32 s42, exec_lo
	s_wait_loadcnt 0x0
	s_wait_xcnt 0x0
	v_cmpx_ne_u16_e32 0, v1
	s_cbranch_execz .LBB170_410
; %bb.403:                              ;   in Loop: Header=BB170_13 Depth=1
	v_bfrev_b32_e32 v119, 1
	s_mov_b32 s43, exec_lo
	v_cmpx_ne_u16_e32 0x80, v1
	s_cbranch_execz .LBB170_409
; %bb.404:                              ;   in Loop: Header=BB170_13 Depth=1
	v_and_b32_e32 v0, 0xffff, v1
	v_mov_b32_e32 v119, 0x7f800001
	s_mov_b32 s44, exec_lo
	s_delay_alu instid0(VALU_DEP_2) | instskip(NEXT) | instid1(VALU_DEP_1)
	v_and_b32_e32 v58, 0x7f, v0
	v_cmpx_ne_u32_e32 0x7f, v58
	s_cbranch_execz .LBB170_408
; %bb.405:                              ;   in Loop: Header=BB170_13 Depth=1
	v_dual_lshrrev_b32 v51, 3, v58 :: v_dual_bitop2_b32 v52, 7, v0 bitop3:0x40
	s_mov_b32 s45, exec_lo
	v_cmpx_gt_u32_e32 8, v58
; %bb.406:                              ;   in Loop: Header=BB170_13 Depth=1
	s_delay_alu instid0(VALU_DEP_2) | instskip(NEXT) | instid1(VALU_DEP_1)
	v_clz_i32_u32_e32 v0, v52
	v_min_u32_e32 v0, 32, v0
	s_delay_alu instid0(VALU_DEP_1) | instskip(NEXT) | instid1(VALU_DEP_1)
	v_subrev_nc_u32_e32 v51, 28, v0
	v_lshlrev_b64_e32 v[58:59], v51, v[52:53]
	s_delay_alu instid0(VALU_DEP_1)
	v_dual_sub_nc_u32 v51, 29, v0 :: v_dual_bitop2_b32 v52, 7, v58 bitop3:0x40
; %bb.407:                              ;   in Loop: Header=BB170_13 Depth=1
	s_or_b32 exec_lo, exec_lo, s45
	s_delay_alu instid0(VALU_DEP_1) | instskip(NEXT) | instid1(VALU_DEP_2)
	v_dual_lshlrev_b32 v0, 24, v1 :: v_dual_lshlrev_b32 v1, 20, v52
	v_lshl_add_u32 v51, v51, 23, 0x3c000000
	s_delay_alu instid0(VALU_DEP_2) | instskip(NEXT) | instid1(VALU_DEP_1)
	v_and_b32_e32 v0, 0x80000000, v0
	v_or3_b32 v119, v1, v0, v51
.LBB170_408:                            ;   in Loop: Header=BB170_13 Depth=1
	s_or_b32 exec_lo, exec_lo, s44
.LBB170_409:                            ;   in Loop: Header=BB170_13 Depth=1
	s_delay_alu instid0(SALU_CYCLE_1)
	s_or_b32 exec_lo, exec_lo, s43
.LBB170_410:                            ;   in Loop: Header=BB170_13 Depth=1
	s_delay_alu instid0(SALU_CYCLE_1)
	s_or_b32 exec_lo, exec_lo, s42
	global_load_u8 v1, v[62:63], off offset:1540
	s_mov_b32 s42, exec_lo
	s_wait_loadcnt 0x0
	s_wait_xcnt 0x0
	v_cmpx_ne_u16_e32 0, v1
	s_cbranch_execz .LBB170_418
; %bb.411:                              ;   in Loop: Header=BB170_13 Depth=1
	v_bfrev_b32_e32 v118, 1
	s_mov_b32 s43, exec_lo
	v_cmpx_ne_u16_e32 0x80, v1
	s_cbranch_execz .LBB170_417
; %bb.412:                              ;   in Loop: Header=BB170_13 Depth=1
	v_and_b32_e32 v0, 0xffff, v1
	v_mov_b32_e32 v118, 0x7f800001
	s_mov_b32 s44, exec_lo
	s_delay_alu instid0(VALU_DEP_2) | instskip(NEXT) | instid1(VALU_DEP_1)
	v_and_b32_e32 v58, 0x7f, v0
	v_cmpx_ne_u32_e32 0x7f, v58
	s_cbranch_execz .LBB170_416
; %bb.413:                              ;   in Loop: Header=BB170_13 Depth=1
	v_dual_lshrrev_b32 v51, 3, v58 :: v_dual_bitop2_b32 v52, 7, v0 bitop3:0x40
	s_mov_b32 s45, exec_lo
	v_cmpx_gt_u32_e32 8, v58
; %bb.414:                              ;   in Loop: Header=BB170_13 Depth=1
	s_delay_alu instid0(VALU_DEP_2) | instskip(NEXT) | instid1(VALU_DEP_1)
	v_clz_i32_u32_e32 v0, v52
	v_min_u32_e32 v0, 32, v0
	s_delay_alu instid0(VALU_DEP_1) | instskip(NEXT) | instid1(VALU_DEP_1)
	v_subrev_nc_u32_e32 v51, 28, v0
	v_lshlrev_b64_e32 v[58:59], v51, v[52:53]
	s_delay_alu instid0(VALU_DEP_1)
	v_dual_sub_nc_u32 v51, 29, v0 :: v_dual_bitop2_b32 v52, 7, v58 bitop3:0x40
; %bb.415:                              ;   in Loop: Header=BB170_13 Depth=1
	s_or_b32 exec_lo, exec_lo, s45
	s_delay_alu instid0(VALU_DEP_1) | instskip(NEXT) | instid1(VALU_DEP_2)
	v_dual_lshlrev_b32 v0, 24, v1 :: v_dual_lshlrev_b32 v1, 20, v52
	v_lshl_add_u32 v51, v51, 23, 0x3c000000
	s_delay_alu instid0(VALU_DEP_2) | instskip(NEXT) | instid1(VALU_DEP_1)
	v_and_b32_e32 v0, 0x80000000, v0
	v_or3_b32 v118, v1, v0, v51
.LBB170_416:                            ;   in Loop: Header=BB170_13 Depth=1
	s_or_b32 exec_lo, exec_lo, s44
.LBB170_417:                            ;   in Loop: Header=BB170_13 Depth=1
	s_delay_alu instid0(SALU_CYCLE_1)
	s_or_b32 exec_lo, exec_lo, s43
.LBB170_418:                            ;   in Loop: Header=BB170_13 Depth=1
	s_delay_alu instid0(SALU_CYCLE_1)
	s_or_b32 exec_lo, exec_lo, s42
	global_load_u8 v1, v[62:63], off offset:1544
	v_dual_mov_b32 v120, 0 :: v_dual_mov_b32 v121, 0
	s_mov_b32 s42, exec_lo
	s_wait_loadcnt 0x0
	s_wait_xcnt 0x0
	v_cmpx_ne_u16_e32 0, v1
	s_cbranch_execz .LBB170_426
; %bb.419:                              ;   in Loop: Header=BB170_13 Depth=1
	v_bfrev_b32_e32 v121, 1
	s_mov_b32 s43, exec_lo
	v_cmpx_ne_u16_e32 0x80, v1
	s_cbranch_execz .LBB170_425
; %bb.420:                              ;   in Loop: Header=BB170_13 Depth=1
	v_and_b32_e32 v0, 0xffff, v1
	v_mov_b32_e32 v121, 0x7f800001
	s_mov_b32 s44, exec_lo
	s_delay_alu instid0(VALU_DEP_2) | instskip(NEXT) | instid1(VALU_DEP_1)
	v_and_b32_e32 v58, 0x7f, v0
	v_cmpx_ne_u32_e32 0x7f, v58
	s_cbranch_execz .LBB170_424
; %bb.421:                              ;   in Loop: Header=BB170_13 Depth=1
	v_dual_lshrrev_b32 v51, 3, v58 :: v_dual_bitop2_b32 v52, 7, v0 bitop3:0x40
	s_mov_b32 s45, exec_lo
	v_cmpx_gt_u32_e32 8, v58
; %bb.422:                              ;   in Loop: Header=BB170_13 Depth=1
	s_delay_alu instid0(VALU_DEP_2) | instskip(NEXT) | instid1(VALU_DEP_1)
	v_clz_i32_u32_e32 v0, v52
	v_min_u32_e32 v0, 32, v0
	s_delay_alu instid0(VALU_DEP_1) | instskip(NEXT) | instid1(VALU_DEP_1)
	v_subrev_nc_u32_e32 v51, 28, v0
	v_lshlrev_b64_e32 v[58:59], v51, v[52:53]
	s_delay_alu instid0(VALU_DEP_1)
	v_dual_sub_nc_u32 v51, 29, v0 :: v_dual_bitop2_b32 v52, 7, v58 bitop3:0x40
; %bb.423:                              ;   in Loop: Header=BB170_13 Depth=1
	s_or_b32 exec_lo, exec_lo, s45
	s_delay_alu instid0(VALU_DEP_1) | instskip(NEXT) | instid1(VALU_DEP_2)
	v_dual_lshlrev_b32 v0, 24, v1 :: v_dual_lshlrev_b32 v1, 20, v52
	v_lshl_add_u32 v51, v51, 23, 0x3c000000
	s_delay_alu instid0(VALU_DEP_2) | instskip(NEXT) | instid1(VALU_DEP_1)
	v_and_b32_e32 v0, 0x80000000, v0
	v_or3_b32 v121, v1, v0, v51
.LBB170_424:                            ;   in Loop: Header=BB170_13 Depth=1
	s_or_b32 exec_lo, exec_lo, s44
.LBB170_425:                            ;   in Loop: Header=BB170_13 Depth=1
	s_delay_alu instid0(SALU_CYCLE_1)
	s_or_b32 exec_lo, exec_lo, s43
.LBB170_426:                            ;   in Loop: Header=BB170_13 Depth=1
	s_delay_alu instid0(SALU_CYCLE_1)
	s_or_b32 exec_lo, exec_lo, s42
	global_load_u8 v1, v[62:63], off offset:1548
	s_mov_b32 s42, exec_lo
	s_wait_loadcnt 0x0
	s_wait_xcnt 0x0
	v_cmpx_ne_u16_e32 0, v1
	s_cbranch_execz .LBB170_434
; %bb.427:                              ;   in Loop: Header=BB170_13 Depth=1
	v_bfrev_b32_e32 v120, 1
	s_mov_b32 s43, exec_lo
	v_cmpx_ne_u16_e32 0x80, v1
	s_cbranch_execz .LBB170_433
; %bb.428:                              ;   in Loop: Header=BB170_13 Depth=1
	v_and_b32_e32 v0, 0xffff, v1
	v_mov_b32_e32 v120, 0x7f800001
	s_mov_b32 s44, exec_lo
	s_delay_alu instid0(VALU_DEP_2) | instskip(NEXT) | instid1(VALU_DEP_1)
	v_and_b32_e32 v58, 0x7f, v0
	v_cmpx_ne_u32_e32 0x7f, v58
	s_cbranch_execz .LBB170_432
; %bb.429:                              ;   in Loop: Header=BB170_13 Depth=1
	v_dual_lshrrev_b32 v51, 3, v58 :: v_dual_bitop2_b32 v52, 7, v0 bitop3:0x40
	s_mov_b32 s45, exec_lo
	v_cmpx_gt_u32_e32 8, v58
; %bb.430:                              ;   in Loop: Header=BB170_13 Depth=1
	s_delay_alu instid0(VALU_DEP_2) | instskip(NEXT) | instid1(VALU_DEP_1)
	v_clz_i32_u32_e32 v0, v52
	v_min_u32_e32 v0, 32, v0
	s_delay_alu instid0(VALU_DEP_1) | instskip(NEXT) | instid1(VALU_DEP_1)
	v_subrev_nc_u32_e32 v51, 28, v0
	v_lshlrev_b64_e32 v[58:59], v51, v[52:53]
	s_delay_alu instid0(VALU_DEP_1)
	v_dual_sub_nc_u32 v51, 29, v0 :: v_dual_bitop2_b32 v52, 7, v58 bitop3:0x40
; %bb.431:                              ;   in Loop: Header=BB170_13 Depth=1
	s_or_b32 exec_lo, exec_lo, s45
	s_delay_alu instid0(VALU_DEP_1) | instskip(NEXT) | instid1(VALU_DEP_2)
	v_dual_lshlrev_b32 v0, 24, v1 :: v_dual_lshlrev_b32 v1, 20, v52
	v_lshl_add_u32 v51, v51, 23, 0x3c000000
	s_delay_alu instid0(VALU_DEP_2) | instskip(NEXT) | instid1(VALU_DEP_1)
	v_and_b32_e32 v0, 0x80000000, v0
	v_or3_b32 v120, v1, v0, v51
.LBB170_432:                            ;   in Loop: Header=BB170_13 Depth=1
	s_or_b32 exec_lo, exec_lo, s44
.LBB170_433:                            ;   in Loop: Header=BB170_13 Depth=1
	s_delay_alu instid0(SALU_CYCLE_1)
	s_or_b32 exec_lo, exec_lo, s43
.LBB170_434:                            ;   in Loop: Header=BB170_13 Depth=1
	s_delay_alu instid0(SALU_CYCLE_1)
	s_or_b32 exec_lo, exec_lo, s42
	global_load_u8 v1, v[62:63], off offset:1664
	v_dual_mov_b32 v122, 0 :: v_dual_mov_b32 v123, 0
	s_mov_b32 s42, exec_lo
	s_wait_loadcnt 0x0
	s_wait_xcnt 0x0
	v_cmpx_ne_u16_e32 0, v1
	s_cbranch_execz .LBB170_442
; %bb.435:                              ;   in Loop: Header=BB170_13 Depth=1
	v_bfrev_b32_e32 v123, 1
	s_mov_b32 s43, exec_lo
	v_cmpx_ne_u16_e32 0x80, v1
	s_cbranch_execz .LBB170_441
; %bb.436:                              ;   in Loop: Header=BB170_13 Depth=1
	v_and_b32_e32 v0, 0xffff, v1
	v_mov_b32_e32 v123, 0x7f800001
	s_mov_b32 s44, exec_lo
	s_delay_alu instid0(VALU_DEP_2) | instskip(NEXT) | instid1(VALU_DEP_1)
	v_and_b32_e32 v58, 0x7f, v0
	v_cmpx_ne_u32_e32 0x7f, v58
	s_cbranch_execz .LBB170_440
; %bb.437:                              ;   in Loop: Header=BB170_13 Depth=1
	v_dual_lshrrev_b32 v51, 3, v58 :: v_dual_bitop2_b32 v52, 7, v0 bitop3:0x40
	s_mov_b32 s45, exec_lo
	v_cmpx_gt_u32_e32 8, v58
; %bb.438:                              ;   in Loop: Header=BB170_13 Depth=1
	s_delay_alu instid0(VALU_DEP_2) | instskip(NEXT) | instid1(VALU_DEP_1)
	v_clz_i32_u32_e32 v0, v52
	v_min_u32_e32 v0, 32, v0
	s_delay_alu instid0(VALU_DEP_1) | instskip(NEXT) | instid1(VALU_DEP_1)
	v_subrev_nc_u32_e32 v51, 28, v0
	v_lshlrev_b64_e32 v[58:59], v51, v[52:53]
	s_delay_alu instid0(VALU_DEP_1)
	v_dual_sub_nc_u32 v51, 29, v0 :: v_dual_bitop2_b32 v52, 7, v58 bitop3:0x40
; %bb.439:                              ;   in Loop: Header=BB170_13 Depth=1
	s_or_b32 exec_lo, exec_lo, s45
	s_delay_alu instid0(VALU_DEP_1) | instskip(NEXT) | instid1(VALU_DEP_2)
	v_dual_lshlrev_b32 v0, 24, v1 :: v_dual_lshlrev_b32 v1, 20, v52
	v_lshl_add_u32 v51, v51, 23, 0x3c000000
	s_delay_alu instid0(VALU_DEP_2) | instskip(NEXT) | instid1(VALU_DEP_1)
	v_and_b32_e32 v0, 0x80000000, v0
	v_or3_b32 v123, v1, v0, v51
.LBB170_440:                            ;   in Loop: Header=BB170_13 Depth=1
	s_or_b32 exec_lo, exec_lo, s44
.LBB170_441:                            ;   in Loop: Header=BB170_13 Depth=1
	s_delay_alu instid0(SALU_CYCLE_1)
	s_or_b32 exec_lo, exec_lo, s43
.LBB170_442:                            ;   in Loop: Header=BB170_13 Depth=1
	s_delay_alu instid0(SALU_CYCLE_1)
	s_or_b32 exec_lo, exec_lo, s42
	global_load_u8 v1, v[62:63], off offset:1668
	s_mov_b32 s42, exec_lo
	s_wait_loadcnt 0x0
	s_wait_xcnt 0x0
	v_cmpx_ne_u16_e32 0, v1
	s_cbranch_execz .LBB170_450
; %bb.443:                              ;   in Loop: Header=BB170_13 Depth=1
	v_bfrev_b32_e32 v122, 1
	s_mov_b32 s43, exec_lo
	v_cmpx_ne_u16_e32 0x80, v1
	s_cbranch_execz .LBB170_449
; %bb.444:                              ;   in Loop: Header=BB170_13 Depth=1
	v_and_b32_e32 v0, 0xffff, v1
	v_mov_b32_e32 v122, 0x7f800001
	s_mov_b32 s44, exec_lo
	s_delay_alu instid0(VALU_DEP_2) | instskip(NEXT) | instid1(VALU_DEP_1)
	v_and_b32_e32 v58, 0x7f, v0
	v_cmpx_ne_u32_e32 0x7f, v58
	s_cbranch_execz .LBB170_448
; %bb.445:                              ;   in Loop: Header=BB170_13 Depth=1
	v_dual_lshrrev_b32 v51, 3, v58 :: v_dual_bitop2_b32 v52, 7, v0 bitop3:0x40
	s_mov_b32 s45, exec_lo
	v_cmpx_gt_u32_e32 8, v58
; %bb.446:                              ;   in Loop: Header=BB170_13 Depth=1
	s_delay_alu instid0(VALU_DEP_2) | instskip(NEXT) | instid1(VALU_DEP_1)
	v_clz_i32_u32_e32 v0, v52
	v_min_u32_e32 v0, 32, v0
	s_delay_alu instid0(VALU_DEP_1) | instskip(NEXT) | instid1(VALU_DEP_1)
	v_subrev_nc_u32_e32 v51, 28, v0
	v_lshlrev_b64_e32 v[58:59], v51, v[52:53]
	s_delay_alu instid0(VALU_DEP_1)
	v_dual_sub_nc_u32 v51, 29, v0 :: v_dual_bitop2_b32 v52, 7, v58 bitop3:0x40
; %bb.447:                              ;   in Loop: Header=BB170_13 Depth=1
	s_or_b32 exec_lo, exec_lo, s45
	s_delay_alu instid0(VALU_DEP_1) | instskip(NEXT) | instid1(VALU_DEP_2)
	v_dual_lshlrev_b32 v0, 24, v1 :: v_dual_lshlrev_b32 v1, 20, v52
	v_lshl_add_u32 v51, v51, 23, 0x3c000000
	s_delay_alu instid0(VALU_DEP_2) | instskip(NEXT) | instid1(VALU_DEP_1)
	v_and_b32_e32 v0, 0x80000000, v0
	v_or3_b32 v122, v1, v0, v51
.LBB170_448:                            ;   in Loop: Header=BB170_13 Depth=1
	s_or_b32 exec_lo, exec_lo, s44
.LBB170_449:                            ;   in Loop: Header=BB170_13 Depth=1
	s_delay_alu instid0(SALU_CYCLE_1)
	s_or_b32 exec_lo, exec_lo, s43
.LBB170_450:                            ;   in Loop: Header=BB170_13 Depth=1
	s_delay_alu instid0(SALU_CYCLE_1)
	s_or_b32 exec_lo, exec_lo, s42
	global_load_u8 v1, v[62:63], off offset:1672
	v_dual_mov_b32 v124, 0 :: v_dual_mov_b32 v125, 0
	s_mov_b32 s42, exec_lo
	s_wait_loadcnt 0x0
	s_wait_xcnt 0x0
	v_cmpx_ne_u16_e32 0, v1
	s_cbranch_execz .LBB170_458
; %bb.451:                              ;   in Loop: Header=BB170_13 Depth=1
	v_bfrev_b32_e32 v125, 1
	s_mov_b32 s43, exec_lo
	v_cmpx_ne_u16_e32 0x80, v1
	s_cbranch_execz .LBB170_457
; %bb.452:                              ;   in Loop: Header=BB170_13 Depth=1
	v_and_b32_e32 v0, 0xffff, v1
	v_mov_b32_e32 v125, 0x7f800001
	s_mov_b32 s44, exec_lo
	s_delay_alu instid0(VALU_DEP_2) | instskip(NEXT) | instid1(VALU_DEP_1)
	v_and_b32_e32 v58, 0x7f, v0
	v_cmpx_ne_u32_e32 0x7f, v58
	s_cbranch_execz .LBB170_456
; %bb.453:                              ;   in Loop: Header=BB170_13 Depth=1
	v_dual_lshrrev_b32 v51, 3, v58 :: v_dual_bitop2_b32 v52, 7, v0 bitop3:0x40
	s_mov_b32 s45, exec_lo
	v_cmpx_gt_u32_e32 8, v58
; %bb.454:                              ;   in Loop: Header=BB170_13 Depth=1
	s_delay_alu instid0(VALU_DEP_2) | instskip(NEXT) | instid1(VALU_DEP_1)
	v_clz_i32_u32_e32 v0, v52
	v_min_u32_e32 v0, 32, v0
	s_delay_alu instid0(VALU_DEP_1) | instskip(NEXT) | instid1(VALU_DEP_1)
	v_subrev_nc_u32_e32 v51, 28, v0
	v_lshlrev_b64_e32 v[58:59], v51, v[52:53]
	s_delay_alu instid0(VALU_DEP_1)
	v_dual_sub_nc_u32 v51, 29, v0 :: v_dual_bitop2_b32 v52, 7, v58 bitop3:0x40
; %bb.455:                              ;   in Loop: Header=BB170_13 Depth=1
	s_or_b32 exec_lo, exec_lo, s45
	s_delay_alu instid0(VALU_DEP_1) | instskip(NEXT) | instid1(VALU_DEP_2)
	v_dual_lshlrev_b32 v0, 24, v1 :: v_dual_lshlrev_b32 v1, 20, v52
	v_lshl_add_u32 v51, v51, 23, 0x3c000000
	s_delay_alu instid0(VALU_DEP_2) | instskip(NEXT) | instid1(VALU_DEP_1)
	v_and_b32_e32 v0, 0x80000000, v0
	v_or3_b32 v125, v1, v0, v51
.LBB170_456:                            ;   in Loop: Header=BB170_13 Depth=1
	s_or_b32 exec_lo, exec_lo, s44
.LBB170_457:                            ;   in Loop: Header=BB170_13 Depth=1
	s_delay_alu instid0(SALU_CYCLE_1)
	s_or_b32 exec_lo, exec_lo, s43
.LBB170_458:                            ;   in Loop: Header=BB170_13 Depth=1
	s_delay_alu instid0(SALU_CYCLE_1)
	s_or_b32 exec_lo, exec_lo, s42
	global_load_u8 v1, v[62:63], off offset:1676
	s_mov_b32 s42, exec_lo
	s_wait_loadcnt 0x0
	s_wait_xcnt 0x0
	v_cmpx_ne_u16_e32 0, v1
	s_cbranch_execz .LBB170_466
; %bb.459:                              ;   in Loop: Header=BB170_13 Depth=1
	v_bfrev_b32_e32 v124, 1
	s_mov_b32 s43, exec_lo
	v_cmpx_ne_u16_e32 0x80, v1
	s_cbranch_execz .LBB170_465
; %bb.460:                              ;   in Loop: Header=BB170_13 Depth=1
	v_and_b32_e32 v0, 0xffff, v1
	v_mov_b32_e32 v124, 0x7f800001
	s_mov_b32 s44, exec_lo
	s_delay_alu instid0(VALU_DEP_2) | instskip(NEXT) | instid1(VALU_DEP_1)
	v_and_b32_e32 v58, 0x7f, v0
	v_cmpx_ne_u32_e32 0x7f, v58
	s_cbranch_execz .LBB170_464
; %bb.461:                              ;   in Loop: Header=BB170_13 Depth=1
	v_dual_lshrrev_b32 v51, 3, v58 :: v_dual_bitop2_b32 v52, 7, v0 bitop3:0x40
	s_mov_b32 s45, exec_lo
	v_cmpx_gt_u32_e32 8, v58
; %bb.462:                              ;   in Loop: Header=BB170_13 Depth=1
	s_delay_alu instid0(VALU_DEP_2) | instskip(NEXT) | instid1(VALU_DEP_1)
	v_clz_i32_u32_e32 v0, v52
	v_min_u32_e32 v0, 32, v0
	s_delay_alu instid0(VALU_DEP_1) | instskip(NEXT) | instid1(VALU_DEP_1)
	v_subrev_nc_u32_e32 v51, 28, v0
	v_lshlrev_b64_e32 v[58:59], v51, v[52:53]
	s_delay_alu instid0(VALU_DEP_1)
	v_dual_sub_nc_u32 v51, 29, v0 :: v_dual_bitop2_b32 v52, 7, v58 bitop3:0x40
; %bb.463:                              ;   in Loop: Header=BB170_13 Depth=1
	s_or_b32 exec_lo, exec_lo, s45
	s_delay_alu instid0(VALU_DEP_1) | instskip(NEXT) | instid1(VALU_DEP_2)
	v_dual_lshlrev_b32 v0, 24, v1 :: v_dual_lshlrev_b32 v1, 20, v52
	v_lshl_add_u32 v51, v51, 23, 0x3c000000
	s_delay_alu instid0(VALU_DEP_2) | instskip(NEXT) | instid1(VALU_DEP_1)
	v_and_b32_e32 v0, 0x80000000, v0
	v_or3_b32 v124, v1, v0, v51
.LBB170_464:                            ;   in Loop: Header=BB170_13 Depth=1
	s_or_b32 exec_lo, exec_lo, s44
.LBB170_465:                            ;   in Loop: Header=BB170_13 Depth=1
	s_delay_alu instid0(SALU_CYCLE_1)
	s_or_b32 exec_lo, exec_lo, s43
.LBB170_466:                            ;   in Loop: Header=BB170_13 Depth=1
	s_delay_alu instid0(SALU_CYCLE_1)
	s_or_b32 exec_lo, exec_lo, s42
	global_load_u8 v1, v[62:63], off offset:1792
	v_dual_mov_b32 v126, 0 :: v_dual_mov_b32 v127, 0
	s_mov_b32 s42, exec_lo
	s_wait_loadcnt 0x0
	s_wait_xcnt 0x0
	v_cmpx_ne_u16_e32 0, v1
	s_cbranch_execz .LBB170_474
; %bb.467:                              ;   in Loop: Header=BB170_13 Depth=1
	v_bfrev_b32_e32 v127, 1
	s_mov_b32 s43, exec_lo
	v_cmpx_ne_u16_e32 0x80, v1
	s_cbranch_execz .LBB170_473
; %bb.468:                              ;   in Loop: Header=BB170_13 Depth=1
	v_and_b32_e32 v0, 0xffff, v1
	v_mov_b32_e32 v127, 0x7f800001
	s_mov_b32 s44, exec_lo
	s_delay_alu instid0(VALU_DEP_2) | instskip(NEXT) | instid1(VALU_DEP_1)
	v_and_b32_e32 v58, 0x7f, v0
	v_cmpx_ne_u32_e32 0x7f, v58
	s_cbranch_execz .LBB170_472
; %bb.469:                              ;   in Loop: Header=BB170_13 Depth=1
	v_dual_lshrrev_b32 v51, 3, v58 :: v_dual_bitop2_b32 v52, 7, v0 bitop3:0x40
	s_mov_b32 s45, exec_lo
	v_cmpx_gt_u32_e32 8, v58
; %bb.470:                              ;   in Loop: Header=BB170_13 Depth=1
	s_delay_alu instid0(VALU_DEP_2) | instskip(NEXT) | instid1(VALU_DEP_1)
	v_clz_i32_u32_e32 v0, v52
	v_min_u32_e32 v0, 32, v0
	s_delay_alu instid0(VALU_DEP_1) | instskip(NEXT) | instid1(VALU_DEP_1)
	v_subrev_nc_u32_e32 v51, 28, v0
	v_lshlrev_b64_e32 v[58:59], v51, v[52:53]
	s_delay_alu instid0(VALU_DEP_1)
	v_dual_sub_nc_u32 v51, 29, v0 :: v_dual_bitop2_b32 v52, 7, v58 bitop3:0x40
; %bb.471:                              ;   in Loop: Header=BB170_13 Depth=1
	s_or_b32 exec_lo, exec_lo, s45
	s_delay_alu instid0(VALU_DEP_1) | instskip(NEXT) | instid1(VALU_DEP_2)
	v_dual_lshlrev_b32 v0, 24, v1 :: v_dual_lshlrev_b32 v1, 20, v52
	v_lshl_add_u32 v51, v51, 23, 0x3c000000
	s_delay_alu instid0(VALU_DEP_2) | instskip(NEXT) | instid1(VALU_DEP_1)
	v_and_b32_e32 v0, 0x80000000, v0
	v_or3_b32 v127, v1, v0, v51
.LBB170_472:                            ;   in Loop: Header=BB170_13 Depth=1
	s_or_b32 exec_lo, exec_lo, s44
.LBB170_473:                            ;   in Loop: Header=BB170_13 Depth=1
	s_delay_alu instid0(SALU_CYCLE_1)
	s_or_b32 exec_lo, exec_lo, s43
.LBB170_474:                            ;   in Loop: Header=BB170_13 Depth=1
	s_delay_alu instid0(SALU_CYCLE_1)
	s_or_b32 exec_lo, exec_lo, s42
	global_load_u8 v1, v[62:63], off offset:1796
	s_mov_b32 s42, exec_lo
	s_wait_loadcnt 0x0
	s_wait_xcnt 0x0
	v_cmpx_ne_u16_e32 0, v1
	s_cbranch_execz .LBB170_482
; %bb.475:                              ;   in Loop: Header=BB170_13 Depth=1
	v_bfrev_b32_e32 v126, 1
	s_mov_b32 s43, exec_lo
	v_cmpx_ne_u16_e32 0x80, v1
	s_cbranch_execz .LBB170_481
; %bb.476:                              ;   in Loop: Header=BB170_13 Depth=1
	v_and_b32_e32 v0, 0xffff, v1
	v_mov_b32_e32 v126, 0x7f800001
	s_mov_b32 s44, exec_lo
	s_delay_alu instid0(VALU_DEP_2) | instskip(NEXT) | instid1(VALU_DEP_1)
	v_and_b32_e32 v58, 0x7f, v0
	v_cmpx_ne_u32_e32 0x7f, v58
	s_cbranch_execz .LBB170_480
; %bb.477:                              ;   in Loop: Header=BB170_13 Depth=1
	v_dual_lshrrev_b32 v51, 3, v58 :: v_dual_bitop2_b32 v52, 7, v0 bitop3:0x40
	s_mov_b32 s45, exec_lo
	v_cmpx_gt_u32_e32 8, v58
; %bb.478:                              ;   in Loop: Header=BB170_13 Depth=1
	s_delay_alu instid0(VALU_DEP_2) | instskip(NEXT) | instid1(VALU_DEP_1)
	v_clz_i32_u32_e32 v0, v52
	v_min_u32_e32 v0, 32, v0
	s_delay_alu instid0(VALU_DEP_1) | instskip(NEXT) | instid1(VALU_DEP_1)
	v_subrev_nc_u32_e32 v51, 28, v0
	v_lshlrev_b64_e32 v[58:59], v51, v[52:53]
	s_delay_alu instid0(VALU_DEP_1)
	v_dual_sub_nc_u32 v51, 29, v0 :: v_dual_bitop2_b32 v52, 7, v58 bitop3:0x40
; %bb.479:                              ;   in Loop: Header=BB170_13 Depth=1
	s_or_b32 exec_lo, exec_lo, s45
	s_delay_alu instid0(VALU_DEP_1) | instskip(NEXT) | instid1(VALU_DEP_2)
	v_dual_lshlrev_b32 v0, 24, v1 :: v_dual_lshlrev_b32 v1, 20, v52
	v_lshl_add_u32 v51, v51, 23, 0x3c000000
	s_delay_alu instid0(VALU_DEP_2) | instskip(NEXT) | instid1(VALU_DEP_1)
	v_and_b32_e32 v0, 0x80000000, v0
	v_or3_b32 v126, v1, v0, v51
.LBB170_480:                            ;   in Loop: Header=BB170_13 Depth=1
	s_or_b32 exec_lo, exec_lo, s44
.LBB170_481:                            ;   in Loop: Header=BB170_13 Depth=1
	s_delay_alu instid0(SALU_CYCLE_1)
	s_or_b32 exec_lo, exec_lo, s43
.LBB170_482:                            ;   in Loop: Header=BB170_13 Depth=1
	s_delay_alu instid0(SALU_CYCLE_1)
	s_or_b32 exec_lo, exec_lo, s42
	global_load_u8 v58, v[62:63], off offset:1800
	v_dual_mov_b32 v51, 0 :: v_dual_mov_b32 v1, 0
	s_mov_b32 s42, exec_lo
	s_wait_loadcnt 0x0
	s_wait_xcnt 0x0
	v_cmpx_ne_u16_e32 0, v58
	s_cbranch_execz .LBB170_490
; %bb.483:                              ;   in Loop: Header=BB170_13 Depth=1
	v_bfrev_b32_e32 v1, 1
	s_mov_b32 s43, exec_lo
	v_cmpx_ne_u16_e32 0x80, v58
	s_cbranch_execz .LBB170_489
; %bb.484:                              ;   in Loop: Header=BB170_13 Depth=1
	v_and_b32_e32 v0, 0xffff, v58
	v_mov_b32_e32 v1, 0x7f800001
	s_mov_b32 s44, exec_lo
	s_delay_alu instid0(VALU_DEP_2) | instskip(NEXT) | instid1(VALU_DEP_1)
	v_and_b32_e32 v59, 0x7f, v0
	v_cmpx_ne_u32_e32 0x7f, v59
	s_cbranch_execz .LBB170_488
; %bb.485:                              ;   in Loop: Header=BB170_13 Depth=1
	v_dual_lshrrev_b32 v1, 3, v59 :: v_dual_bitop2_b32 v52, 7, v0 bitop3:0x40
	s_mov_b32 s45, exec_lo
	v_cmpx_gt_u32_e32 8, v59
; %bb.486:                              ;   in Loop: Header=BB170_13 Depth=1
	s_delay_alu instid0(VALU_DEP_2) | instskip(NEXT) | instid1(VALU_DEP_1)
	v_clz_i32_u32_e32 v0, v52
	v_min_u32_e32 v59, 32, v0
	s_delay_alu instid0(VALU_DEP_1) | instskip(NEXT) | instid1(VALU_DEP_1)
	v_subrev_nc_u32_e32 v0, 28, v59
	v_lshlrev_b64_e32 v[0:1], v0, v[52:53]
	s_delay_alu instid0(VALU_DEP_1)
	v_dual_sub_nc_u32 v1, 29, v59 :: v_dual_bitop2_b32 v52, 7, v0 bitop3:0x40
; %bb.487:                              ;   in Loop: Header=BB170_13 Depth=1
	s_or_b32 exec_lo, exec_lo, s45
	s_delay_alu instid0(VALU_DEP_1) | instskip(NEXT) | instid1(VALU_DEP_2)
	v_dual_lshlrev_b32 v0, 24, v58 :: v_dual_lshlrev_b32 v52, 20, v52
	v_lshl_add_u32 v1, v1, 23, 0x3c000000
	s_delay_alu instid0(VALU_DEP_2) | instskip(NEXT) | instid1(VALU_DEP_1)
	v_and_b32_e32 v0, 0x80000000, v0
	v_or3_b32 v1, v52, v0, v1
.LBB170_488:                            ;   in Loop: Header=BB170_13 Depth=1
	s_or_b32 exec_lo, exec_lo, s44
.LBB170_489:                            ;   in Loop: Header=BB170_13 Depth=1
	s_delay_alu instid0(SALU_CYCLE_1)
	s_or_b32 exec_lo, exec_lo, s43
.LBB170_490:                            ;   in Loop: Header=BB170_13 Depth=1
	s_delay_alu instid0(SALU_CYCLE_1)
	s_or_b32 exec_lo, exec_lo, s42
	global_load_u8 v58, v[62:63], off offset:1804
	s_mov_b32 s42, exec_lo
	s_wait_loadcnt 0x0
	s_wait_xcnt 0x0
	v_cmpx_ne_u16_e32 0, v58
	s_cbranch_execz .LBB170_498
; %bb.491:                              ;   in Loop: Header=BB170_13 Depth=1
	v_bfrev_b32_e32 v51, 1
	s_mov_b32 s43, exec_lo
	v_cmpx_ne_u16_e32 0x80, v58
	s_cbranch_execz .LBB170_497
; %bb.492:                              ;   in Loop: Header=BB170_13 Depth=1
	v_and_b32_e32 v0, 0xffff, v58
	v_mov_b32_e32 v51, 0x7f800001
	s_mov_b32 s44, exec_lo
	s_delay_alu instid0(VALU_DEP_2) | instskip(NEXT) | instid1(VALU_DEP_1)
	v_and_b32_e32 v59, 0x7f, v0
	v_cmpx_ne_u32_e32 0x7f, v59
	s_cbranch_execz .LBB170_496
; %bb.493:                              ;   in Loop: Header=BB170_13 Depth=1
	v_dual_lshrrev_b32 v51, 3, v59 :: v_dual_bitop2_b32 v52, 7, v0 bitop3:0x40
	s_mov_b32 s45, exec_lo
	v_cmpx_gt_u32_e32 8, v59
	s_cbranch_execz .LBB170_495
; %bb.494:                              ;   in Loop: Header=BB170_13 Depth=1
	s_delay_alu instid0(VALU_DEP_2) | instskip(NEXT) | instid1(VALU_DEP_1)
	v_clz_i32_u32_e32 v0, v52
	v_min_u32_e32 v0, 32, v0
	v_mov_b32_e32 v59, v64
	s_delay_alu instid0(VALU_DEP_2) | instskip(NEXT) | instid1(VALU_DEP_1)
	v_subrev_nc_u32_e32 v51, 28, v0
	v_lshlrev_b64_e32 v[64:65], v51, v[52:53]
	v_sub_nc_u32_e32 v51, 29, v0
	s_delay_alu instid0(VALU_DEP_2)
	v_dual_mov_b32 v64, v59 :: v_dual_bitop2_b32 v52, 7, v64 bitop3:0x40
.LBB170_495:                            ;   in Loop: Header=BB170_13 Depth=1
	s_or_b32 exec_lo, exec_lo, s45
	s_delay_alu instid0(VALU_DEP_1) | instskip(NEXT) | instid1(VALU_DEP_3)
	v_dual_lshlrev_b32 v0, 24, v58 :: v_dual_lshlrev_b32 v52, 20, v52
	v_lshl_add_u32 v51, v51, 23, 0x3c000000
	s_delay_alu instid0(VALU_DEP_2) | instskip(NEXT) | instid1(VALU_DEP_1)
	v_and_b32_e32 v0, 0x80000000, v0
	v_or3_b32 v51, v52, v0, v51
.LBB170_496:                            ;   in Loop: Header=BB170_13 Depth=1
	s_or_b32 exec_lo, exec_lo, s44
.LBB170_497:                            ;   in Loop: Header=BB170_13 Depth=1
	s_delay_alu instid0(SALU_CYCLE_1)
	s_or_b32 exec_lo, exec_lo, s43
.LBB170_498:                            ;   in Loop: Header=BB170_13 Depth=1
	s_delay_alu instid0(SALU_CYCLE_1)
	s_or_b32 exec_lo, exec_lo, s42
	global_load_u8 v58, v[62:63], off offset:1920
	v_dual_mov_b32 v65, 0 :: v_dual_mov_b32 v68, 0
	s_mov_b32 s42, exec_lo
	s_wait_loadcnt 0x0
	s_wait_xcnt 0x0
	v_cmpx_ne_u16_e32 0, v58
	s_cbranch_execz .LBB170_506
; %bb.499:                              ;   in Loop: Header=BB170_13 Depth=1
	v_bfrev_b32_e32 v68, 1
	s_mov_b32 s43, exec_lo
	v_cmpx_ne_u16_e32 0x80, v58
	s_cbranch_execz .LBB170_505
; %bb.500:                              ;   in Loop: Header=BB170_13 Depth=1
	v_and_b32_e32 v0, 0xffff, v58
	v_mov_b32_e32 v68, 0x7f800001
	s_mov_b32 s44, exec_lo
	s_delay_alu instid0(VALU_DEP_2) | instskip(NEXT) | instid1(VALU_DEP_1)
	v_and_b32_e32 v67, 0x7f, v0
	v_cmpx_ne_u32_e32 0x7f, v67
	s_cbranch_execz .LBB170_504
; %bb.501:                              ;   in Loop: Header=BB170_13 Depth=1
	v_dual_lshrrev_b32 v59, 3, v67 :: v_dual_bitop2_b32 v52, 7, v0 bitop3:0x40
	s_mov_b32 s45, exec_lo
	v_cmpx_gt_u32_e32 8, v67
	s_cbranch_execz .LBB170_503
; %bb.502:                              ;   in Loop: Header=BB170_13 Depth=1
	scratch_load_b32 v101, off, off offset:40 ; 4-byte Folded Reload
	v_clz_i32_u32_e32 v0, v52
	s_delay_alu instid0(VALU_DEP_1) | instskip(NEXT) | instid1(VALU_DEP_1)
	v_min_u32_e32 v0, 32, v0
	v_subrev_nc_u32_e32 v59, 28, v0
	s_delay_alu instid0(VALU_DEP_1) | instskip(SKIP_1) | instid1(VALU_DEP_2)
	v_lshlrev_b64_e32 v[60:61], v59, v[52:53]
	v_sub_nc_u32_e32 v59, 29, v0
	v_and_b32_e32 v52, 7, v60
.LBB170_503:                            ;   in Loop: Header=BB170_13 Depth=1
	s_wait_xcnt 0x0
	s_or_b32 exec_lo, exec_lo, s45
	s_delay_alu instid0(VALU_DEP_1) | instskip(SKIP_1) | instid1(VALU_DEP_2)
	v_dual_lshlrev_b32 v0, 24, v58 :: v_dual_lshlrev_b32 v52, 20, v52
	v_lshl_add_u32 v58, v59, 23, 0x3c000000
	v_and_b32_e32 v0, 0x80000000, v0
	s_delay_alu instid0(VALU_DEP_1)
	v_or3_b32 v68, v52, v0, v58
.LBB170_504:                            ;   in Loop: Header=BB170_13 Depth=1
	s_or_b32 exec_lo, exec_lo, s44
.LBB170_505:                            ;   in Loop: Header=BB170_13 Depth=1
	s_delay_alu instid0(SALU_CYCLE_1)
	s_or_b32 exec_lo, exec_lo, s43
.LBB170_506:                            ;   in Loop: Header=BB170_13 Depth=1
	s_delay_alu instid0(SALU_CYCLE_1)
	s_or_b32 exec_lo, exec_lo, s42
	global_load_u8 v58, v[62:63], off offset:1924
	s_mov_b32 s42, exec_lo
	s_wait_loadcnt 0x0
	v_cmpx_ne_u16_e32 0, v58
	s_cbranch_execz .LBB170_514
; %bb.507:                              ;   in Loop: Header=BB170_13 Depth=1
	v_bfrev_b32_e32 v65, 1
	s_mov_b32 s43, exec_lo
	v_cmpx_ne_u16_e32 0x80, v58
	s_cbranch_execz .LBB170_513
; %bb.508:                              ;   in Loop: Header=BB170_13 Depth=1
	v_and_b32_e32 v0, 0xffff, v58
	v_mov_b32_e32 v65, 0x7f800001
	s_mov_b32 s44, exec_lo
	s_delay_alu instid0(VALU_DEP_2) | instskip(NEXT) | instid1(VALU_DEP_1)
	v_and_b32_e32 v67, 0x7f, v0
	v_cmpx_ne_u32_e32 0x7f, v67
	s_cbranch_execz .LBB170_512
; %bb.509:                              ;   in Loop: Header=BB170_13 Depth=1
	v_dual_lshrrev_b32 v59, 3, v67 :: v_dual_bitop2_b32 v52, 7, v0 bitop3:0x40
	s_mov_b32 s45, exec_lo
	v_cmpx_gt_u32_e32 8, v67
	s_cbranch_execz .LBB170_511
; %bb.510:                              ;   in Loop: Header=BB170_13 Depth=1
	scratch_load_b32 v101, off, off offset:40 ; 4-byte Folded Reload
	v_clz_i32_u32_e32 v0, v52
	s_delay_alu instid0(VALU_DEP_1) | instskip(NEXT) | instid1(VALU_DEP_1)
	v_min_u32_e32 v0, 32, v0
	v_subrev_nc_u32_e32 v59, 28, v0
	s_delay_alu instid0(VALU_DEP_1) | instskip(SKIP_1) | instid1(VALU_DEP_2)
	v_lshlrev_b64_e32 v[60:61], v59, v[52:53]
	v_sub_nc_u32_e32 v59, 29, v0
	v_and_b32_e32 v52, 7, v60
.LBB170_511:                            ;   in Loop: Header=BB170_13 Depth=1
	s_wait_xcnt 0x0
	s_or_b32 exec_lo, exec_lo, s45
	s_delay_alu instid0(VALU_DEP_1) | instskip(SKIP_1) | instid1(VALU_DEP_2)
	v_dual_lshlrev_b32 v0, 24, v58 :: v_dual_lshlrev_b32 v52, 20, v52
	v_lshl_add_u32 v58, v59, 23, 0x3c000000
	v_and_b32_e32 v0, 0x80000000, v0
	s_delay_alu instid0(VALU_DEP_1)
	v_or3_b32 v65, v52, v0, v58
.LBB170_512:                            ;   in Loop: Header=BB170_13 Depth=1
	s_or_b32 exec_lo, exec_lo, s44
.LBB170_513:                            ;   in Loop: Header=BB170_13 Depth=1
	s_delay_alu instid0(SALU_CYCLE_1)
	s_or_b32 exec_lo, exec_lo, s43
.LBB170_514:                            ;   in Loop: Header=BB170_13 Depth=1
	s_delay_alu instid0(SALU_CYCLE_1)
	s_or_b32 exec_lo, exec_lo, s42
	global_load_u8 v67, v[62:63], off offset:1928
	v_dual_mov_b32 v58, 0 :: v_dual_mov_b32 v59, 0
	s_mov_b32 s42, exec_lo
	s_wait_loadcnt 0x0
	v_cmpx_ne_u16_e32 0, v67
	s_cbranch_execz .LBB170_522
; %bb.515:                              ;   in Loop: Header=BB170_13 Depth=1
	v_bfrev_b32_e32 v59, 1
	s_mov_b32 s43, exec_lo
	v_cmpx_ne_u16_e32 0x80, v67
	s_cbranch_execz .LBB170_521
; %bb.516:                              ;   in Loop: Header=BB170_13 Depth=1
	v_and_b32_e32 v52, 0xffff, v67
	v_mov_b32_e32 v59, 0x7f800001
	s_mov_b32 s44, exec_lo
	s_delay_alu instid0(VALU_DEP_2) | instskip(NEXT) | instid1(VALU_DEP_1)
	v_and_b32_e32 v0, 0x7f, v52
	v_cmpx_ne_u32_e32 0x7f, v0
	s_cbranch_execz .LBB170_520
; %bb.517:                              ;   in Loop: Header=BB170_13 Depth=1
	v_and_b32_e32 v52, 7, v52
	v_lshrrev_b32_e32 v59, 3, v0
	s_mov_b32 s45, exec_lo
	v_cmpx_gt_u32_e32 8, v0
	s_cbranch_execz .LBB170_519
; %bb.518:                              ;   in Loop: Header=BB170_13 Depth=1
	scratch_load_b32 v101, off, off offset:40 ; 4-byte Folded Reload
	v_clz_i32_u32_e32 v0, v52
	v_dual_mov_b32 v60, v98 :: v_dual_mov_b32 v98, v46
	v_mov_b64_e32 v[46:47], v[44:45]
	v_mov_b64_e32 v[44:45], v[42:43]
	s_delay_alu instid0(VALU_DEP_4)
	v_min_u32_e32 v0, 32, v0
	v_mov_b64_e32 v[42:43], v[40:41]
	v_mov_b64_e32 v[40:41], v[38:39]
	;; [unrolled: 1-line block ×9, first 2 shown]
	v_subrev_nc_u32_e32 v59, 28, v0
	v_mov_b64_e32 v[24:25], v[22:23]
	v_mov_b64_e32 v[22:23], v[20:21]
	;; [unrolled: 1-line block ×11, first 2 shown]
	v_lshlrev_b64_e32 v[2:3], v59, v[52:53]
	s_delay_alu instid0(VALU_DEP_1) | instskip(NEXT) | instid1(VALU_DEP_3)
	v_dual_sub_nc_u32 v59, 29, v0 :: v_dual_bitop2_b32 v52, 7, v2 bitop3:0x40
	v_mov_b64_e32 v[2:3], v[4:5]
	v_mov_b64_e32 v[4:5], v[6:7]
	;; [unrolled: 1-line block ×22, first 2 shown]
	v_dual_mov_b32 v46, v98 :: v_dual_mov_b32 v98, v60
.LBB170_519:                            ;   in Loop: Header=BB170_13 Depth=1
	s_wait_xcnt 0x0
	s_or_b32 exec_lo, exec_lo, s45
	v_dual_lshlrev_b32 v0, 24, v67 :: v_dual_lshlrev_b32 v52, 20, v52
	v_lshl_add_u32 v59, v59, 23, 0x3c000000
	s_delay_alu instid0(VALU_DEP_2) | instskip(NEXT) | instid1(VALU_DEP_1)
	v_and_b32_e32 v0, 0x80000000, v0
	v_or3_b32 v59, v52, v0, v59
.LBB170_520:                            ;   in Loop: Header=BB170_13 Depth=1
	s_or_b32 exec_lo, exec_lo, s44
.LBB170_521:                            ;   in Loop: Header=BB170_13 Depth=1
	s_delay_alu instid0(SALU_CYCLE_1)
	s_or_b32 exec_lo, exec_lo, s43
.LBB170_522:                            ;   in Loop: Header=BB170_13 Depth=1
	s_delay_alu instid0(SALU_CYCLE_1)
	s_or_b32 exec_lo, exec_lo, s42
	global_load_u8 v62, v[62:63], off offset:1932
	v_mov_b32_e32 v67, v46
	s_mov_b32 s42, exec_lo
	s_wait_loadcnt 0x0
	v_cmpx_ne_u16_e32 0, v62
	s_cbranch_execz .LBB170_530
; %bb.523:                              ;   in Loop: Header=BB170_13 Depth=1
	v_bfrev_b32_e32 v58, 1
	s_mov_b32 s43, exec_lo
	v_cmpx_ne_u16_e32 0x80, v62
	s_cbranch_execz .LBB170_529
; %bb.524:                              ;   in Loop: Header=BB170_13 Depth=1
	v_and_b32_e32 v52, 0xffff, v62
	v_mov_b32_e32 v58, 0x7f800001
	s_mov_b32 s44, exec_lo
	s_delay_alu instid0(VALU_DEP_2) | instskip(NEXT) | instid1(VALU_DEP_1)
	v_and_b32_e32 v0, 0x7f, v52
	v_cmpx_ne_u32_e32 0x7f, v0
	s_cbranch_execz .LBB170_528
; %bb.525:                              ;   in Loop: Header=BB170_13 Depth=1
	v_and_b32_e32 v52, 7, v52
	v_lshrrev_b32_e32 v58, 3, v0
	s_mov_b32 s45, exec_lo
	v_cmpx_gt_u32_e32 8, v0
	s_cbranch_execz .LBB170_527
; %bb.526:                              ;   in Loop: Header=BB170_13 Depth=1
	scratch_load_b32 v101, off, off offset:40 ; 4-byte Folded Reload
	v_clz_i32_u32_e32 v0, v52
	s_delay_alu instid0(VALU_DEP_1) | instskip(NEXT) | instid1(VALU_DEP_1)
	v_min_u32_e32 v0, 32, v0
	v_subrev_nc_u32_e32 v58, 28, v0
	s_delay_alu instid0(VALU_DEP_1) | instskip(SKIP_1) | instid1(VALU_DEP_2)
	v_lshlrev_b64_e32 v[60:61], v58, v[52:53]
	v_sub_nc_u32_e32 v58, 29, v0
	v_and_b32_e32 v52, 7, v60
.LBB170_527:                            ;   in Loop: Header=BB170_13 Depth=1
	s_wait_xcnt 0x0
	s_or_b32 exec_lo, exec_lo, s45
	s_delay_alu instid0(VALU_DEP_1) | instskip(SKIP_1) | instid1(VALU_DEP_2)
	v_dual_lshlrev_b32 v0, 24, v62 :: v_dual_lshlrev_b32 v52, 20, v52
	v_lshl_add_u32 v58, v58, 23, 0x3c000000
	v_and_b32_e32 v0, 0x80000000, v0
	s_delay_alu instid0(VALU_DEP_1)
	v_or3_b32 v58, v52, v0, v58
.LBB170_528:                            ;   in Loop: Header=BB170_13 Depth=1
	s_or_b32 exec_lo, exec_lo, s44
.LBB170_529:                            ;   in Loop: Header=BB170_13 Depth=1
	s_delay_alu instid0(SALU_CYCLE_1)
	s_or_b32 exec_lo, exec_lo, s43
.LBB170_530:                            ;   in Loop: Header=BB170_13 Depth=1
	s_delay_alu instid0(SALU_CYCLE_1) | instskip(SKIP_4) | instid1(VALU_DEP_1)
	s_or_b32 exec_lo, exec_lo, s42
	scratch_load_b128 v[60:63], off, off offset:8 th:TH_LOAD_LU ; 16-byte Folded Reload
	s_wait_kmcnt 0x0
	v_dual_mul_f32 v0, s41, v73 :: v_dual_mul_f32 v52, s41, v75
	s_wait_loadcnt 0x0
	v_dual_mul_f32 v46, s41, v77 :: v_dual_mul_f32 v47, v61, v0
	s_delay_alu instid0(VALU_DEP_1) | instskip(NEXT) | instid1(VALU_DEP_1)
	v_dual_mul_f32 v0, s41, v79 :: v_dual_fmac_f32 v47, v60, v52
	v_dual_fmac_f32 v47, v62, v0 :: v_dual_mul_f32 v0, s41, v83
	s_delay_alu instid0(VALU_DEP_1) | instskip(NEXT) | instid1(VALU_DEP_1)
	v_dual_fmac_f32 v47, v63, v46 :: v_dual_mul_f32 v46, s41, v81
	v_dual_fmac_f32 v47, v42, v0 :: v_dual_mul_f32 v0, s41, v87
	s_delay_alu instid0(VALU_DEP_1) | instskip(NEXT) | instid1(VALU_DEP_1)
	v_dual_mul_f32 v42, s41, v85 :: v_dual_fmac_f32 v47, v43, v46
	v_dual_fmac_f32 v47, v44, v0 :: v_dual_mul_f32 v0, s41, v91
	s_delay_alu instid0(VALU_DEP_1) | instskip(NEXT) | instid1(VALU_DEP_1)
	v_dual_fmac_f32 v47, v45, v42 :: v_dual_mul_f32 v42, s41, v89
	v_dual_fmac_f32 v47, v38, v0 :: v_dual_mul_f32 v0, s41, v95
	;; [unrolled: 6-line block ×3, first 2 shown]
	s_delay_alu instid0(VALU_DEP_1) | instskip(NEXT) | instid1(VALU_DEP_1)
	v_fmac_f32_e32 v47, v35, v38
	v_dual_mul_f32 v34, s41, v82 :: v_dual_fmac_f32 v47, v36, v0
	s_delay_alu instid0(VALU_DEP_1) | instskip(SKIP_1) | instid1(VALU_DEP_2)
	v_dual_mul_f32 v0, s41, v76 :: v_dual_fmac_f32 v47, v37, v34
	v_mul_f32_e32 v34, s41, v84
	v_dual_fmac_f32 v47, v30, v0 :: v_dual_mul_f32 v30, s41, v86
	s_delay_alu instid0(VALU_DEP_1) | instskip(NEXT) | instid1(VALU_DEP_1)
	v_dual_mul_f32 v0, s41, v72 :: v_dual_fmac_f32 v47, v31, v34
	v_dual_fmac_f32 v47, v32, v0 :: v_dual_mul_f32 v0, s41, v78
	s_delay_alu instid0(VALU_DEP_1) | instskip(NEXT) | instid1(VALU_DEP_1)
	v_dual_fmac_f32 v47, v33, v30 :: v_dual_mul_f32 v30, s41, v88
	v_dual_fmac_f32 v47, v26, v0 :: v_dual_mul_f32 v0, s41, v55
	s_delay_alu instid0(VALU_DEP_1) | instskip(NEXT) | instid1(VALU_DEP_1)
	v_fmac_f32_e32 v47, v27, v30
	v_dual_mul_f32 v26, s41, v90 :: v_dual_fmac_f32 v47, v28, v0
	s_delay_alu instid0(VALU_DEP_1) | instskip(SKIP_1) | instid1(VALU_DEP_2)
	v_dual_mul_f32 v0, s41, v80 :: v_dual_fmac_f32 v47, v29, v26
	v_mul_f32_e32 v26, s41, v92
	v_dual_fmac_f32 v47, v22, v0 :: v_dual_mul_f32 v0, s41, v74
	s_delay_alu instid0(VALU_DEP_1) | instskip(NEXT) | instid1(VALU_DEP_1)
	v_fmac_f32_e32 v47, v23, v26
	v_dual_mul_f32 v22, s41, v94 :: v_dual_fmac_f32 v47, v24, v0
	s_delay_alu instid0(VALU_DEP_1) | instskip(SKIP_1) | instid1(VALU_DEP_2)
	v_dual_mul_f32 v0, s41, v48 :: v_dual_fmac_f32 v47, v25, v22
	v_mul_f32_e32 v22, s41, v96
	v_dual_fmac_f32 v47, v18, v0 :: v_dual_mul_f32 v0, s41, v99
	s_delay_alu instid0(VALU_DEP_1) | instskip(NEXT) | instid1(VALU_DEP_1)
	v_dual_mul_f32 v18, s41, v49 :: v_dual_fmac_f32 v47, v19, v22
	v_dual_fmac_f32 v47, v20, v0 :: v_dual_mul_f32 v0, s41, v103
	s_delay_alu instid0(VALU_DEP_1) | instskip(NEXT) | instid1(VALU_DEP_1)
	v_fmac_f32_e32 v47, v21, v18
	v_dual_mul_f32 v18, s41, v102 :: v_dual_fmac_f32 v47, v14, v0
	v_dual_mul_f32 v0, s41, v105 :: v_dual_mul_f32 v14, s41, v104
	s_delay_alu instid0(VALU_DEP_2) | instskip(NEXT) | instid1(VALU_DEP_1)
	v_fmac_f32_e32 v47, v15, v18
	v_dual_fmac_f32 v47, v16, v0 :: v_dual_mul_f32 v0, s41, v107
	s_delay_alu instid0(VALU_DEP_1) | instskip(NEXT) | instid1(VALU_DEP_1)
	v_fmac_f32_e32 v47, v17, v14
	v_dual_mul_f32 v14, s41, v106 :: v_dual_fmac_f32 v47, v10, v0
	v_dual_mul_f32 v0, s41, v109 :: v_dual_mul_f32 v10, s41, v108
	s_delay_alu instid0(VALU_DEP_2) | instskip(NEXT) | instid1(VALU_DEP_1)
	v_fmac_f32_e32 v47, v11, v14
	v_dual_fmac_f32 v47, v12, v0 :: v_dual_mul_f32 v0, s41, v111
	s_delay_alu instid0(VALU_DEP_1) | instskip(NEXT) | instid1(VALU_DEP_1)
	v_fmac_f32_e32 v47, v13, v10
	v_dual_mul_f32 v10, s41, v110 :: v_dual_fmac_f32 v47, v6, v0
	v_dual_mul_f32 v0, s41, v113 :: v_dual_mul_f32 v6, s41, v112
	s_delay_alu instid0(VALU_DEP_2) | instskip(NEXT) | instid1(VALU_DEP_1)
	v_dual_fmac_f32 v47, v7, v10 :: v_dual_mul_f32 v10, s41, v120
	v_dual_fmac_f32 v47, v8, v0 :: v_dual_mul_f32 v0, s41, v115
	s_delay_alu instid0(VALU_DEP_1) | instskip(NEXT) | instid1(VALU_DEP_1)
	v_fmac_f32_e32 v47, v9, v6
	v_dual_mul_f32 v6, s41, v114 :: v_dual_fmac_f32 v47, v2, v0
	v_dual_mul_f32 v0, s41, v117 :: v_dual_mul_f32 v2, s41, v116
	s_delay_alu instid0(VALU_DEP_2) | instskip(SKIP_2) | instid1(VALU_DEP_1)
	v_fmac_f32_e32 v47, v3, v6
	ds_load_2addr_b64 v[6:9], v66 offset0:25 offset1:26
	v_dual_fmac_f32 v47, v4, v0 :: v_dual_mul_f32 v0, s41, v119
	v_fmac_f32_e32 v47, v5, v2
	scratch_load_b64 v[4:5], off, off th:TH_LOAD_LU ; 8-byte Folded Reload
	s_wait_loadcnt 0x0
	v_dual_mul_f32 v2, s41, v118 :: v_dual_fmac_f32 v47, v4, v0
	s_delay_alu instid0(VALU_DEP_1) | instskip(SKIP_3) | instid1(VALU_DEP_1)
	v_dual_mul_f32 v0, s41, v121 :: v_dual_fmac_f32 v47, v5, v2
	ds_load_2addr_b64 v[2:5], v66 offset0:27 offset1:28
	s_wait_dscnt 0x1
	v_dual_fmac_f32 v47, v0, v6 :: v_dual_mul_f32 v0, s41, v123
	v_dual_mul_f32 v6, s41, v122 :: v_dual_fmac_f32 v47, v10, v7
	v_mul_f32_e32 v10, s41, v124
	s_delay_alu instid0(VALU_DEP_2) | instskip(NEXT) | instid1(VALU_DEP_1)
	v_dual_fmac_f32 v47, v0, v8 :: v_dual_mul_f32 v0, s41, v125
	v_fmac_f32_e32 v47, v6, v9
	ds_load_2addr_b64 v[6:9], v66 offset0:29 offset1:30
	s_wait_dscnt 0x1
	v_dual_fmac_f32 v47, v0, v2 :: v_dual_mul_f32 v0, s41, v127
	s_delay_alu instid0(VALU_DEP_1) | instskip(NEXT) | instid1(VALU_DEP_1)
	v_dual_mul_f32 v2, s41, v126 :: v_dual_fmac_f32 v47, v10, v3
	v_dual_mul_f32 v3, s41, v1 :: v_dual_fmac_f32 v47, v0, v4
	ds_load_b64 v[0:1], v66 offset:248
	v_dual_mul_f32 v4, s41, v59 :: v_dual_fmac_f32 v47, v2, v5
	s_wait_dscnt 0x1
	s_delay_alu instid0(VALU_DEP_1) | instskip(NEXT) | instid1(VALU_DEP_1)
	v_dual_mul_f32 v2, s41, v51 :: v_dual_fmac_f32 v47, v3, v6
	v_dual_mul_f32 v3, s41, v68 :: v_dual_fmac_f32 v47, v2, v7
	s_delay_alu instid0(VALU_DEP_1) | instskip(NEXT) | instid1(VALU_DEP_1)
	v_dual_mul_f32 v2, s41, v65 :: v_dual_fmac_f32 v47, v3, v8
	v_dual_fmac_f32 v47, v2, v9 :: v_dual_bitop2_b32 v3, 2, v64 bitop3:0x14
	s_delay_alu instid0(VALU_DEP_1) | instskip(NEXT) | instid1(VALU_DEP_1)
	v_cmp_gt_i32_e64 s4, 32, v3
	v_dual_cndmask_b32 v2, v64, v3, s4 :: v_dual_mul_f32 v3, s41, v58
	s_wait_dscnt 0x0
	s_delay_alu instid0(VALU_DEP_1) | instskip(NEXT) | instid1(VALU_DEP_1)
	v_dual_fmac_f32 v47, v4, v0 :: v_dual_lshlrev_b32 v0, 2, v2
	v_dual_fmac_f32 v47, v3, v1 :: v_dual_bitop2_b32 v1, 1, v64 bitop3:0x14
	ds_bpermute_b32 v0, v0, v47
	v_cmp_gt_i32_e64 s4, 32, v1
	s_wait_dscnt 0x0
	s_delay_alu instid0(VALU_DEP_1) | instskip(NEXT) | instid1(VALU_DEP_1)
	v_dual_cndmask_b32 v1, v64, v1, s4 :: v_dual_add_f32 v0, v47, v0
	v_lshlrev_b32_e32 v1, 2, v1
	ds_bpermute_b32 v1, v1, v0
	s_wait_xcnt 0x0
	s_and_saveexec_b32 s41, s3
	s_cbranch_execz .LBB170_11
; %bb.531:                              ;   in Loop: Header=BB170_13 Depth=1
	s_wait_dscnt 0x0
	v_dual_add_nc_u32 v2, v98, v54 :: v_dual_add_f32 v0, v0, v1
	s_delay_alu instid0(VALU_DEP_1) | instskip(NEXT) | instid1(VALU_DEP_1)
	v_cvt_f32_i32_e32 v2, v2
	v_mul_f32_e32 v2, s36, v2
	s_delay_alu instid0(VALU_DEP_1) | instskip(NEXT) | instid1(VALU_DEP_1)
	v_dual_cndmask_b32 v1, 0, v2 :: v_dual_max_num_f32 v2, v100, v100
	v_dual_fmac_f32 v1, s27, v0 :: v_dual_add_nc_u32 v0, v101, v54
	s_delay_alu instid0(VALU_DEP_1) | instskip(NEXT) | instid1(VALU_DEP_2)
	v_max_num_f32_e32 v2, v2, v1
	v_cmp_gt_i32_e64 s4, s35, v0
	s_delay_alu instid0(VALU_DEP_1)
	v_dual_cndmask_b32 v0, 0, v1, s4 :: v_dual_cndmask_b32 v100, v100, v2, s4
	ds_store_b32 v69, v0
	s_branch .LBB170_11
.LBB170_532:
	s_or_b32 exec_lo, exec_lo, s40
	scratch_load_b32 v26, off, off offset:44 ; 4-byte Folded Reload
.LBB170_533:
	s_wait_xcnt 0x0
	s_or_b32 exec_lo, exec_lo, s37
	v_xor_b32_e32 v2, 8, v64
	v_xor_b32_e32 v0, 16, v64
	v_max_num_f32_e32 v3, v100, v100
	s_clause 0x1
	s_load_b64 s[4:5], s[0:1], 0x0
	s_load_b64 s[8:9], s[0:1], 0x18
	v_cmp_gt_i32_e32 vcc_lo, 32, v0
	v_cndmask_b32_e32 v0, v64, v0, vcc_lo
	v_cmp_gt_i32_e32 vcc_lo, 32, v2
	v_cndmask_b32_e32 v2, v64, v2, vcc_lo
	s_wait_dscnt 0x0
	s_delay_alu instid0(VALU_DEP_1) | instskip(SKIP_3) | instid1(VALU_DEP_1)
	v_dual_lshlrev_b32 v2, 2, v2 :: v_dual_lshlrev_b32 v1, 2, v0
	ds_bpermute_b32 v0, v1, v100
	s_wait_dscnt 0x0
	v_max_num_f32_e32 v0, v0, v0
	v_max_num_f32_e32 v0, v3, v0
	ds_bpermute_b32 v3, v2, v0
	s_wait_dscnt 0x0
	v_dual_max_num_f32 v3, v3, v3 :: v_dual_bitop2_b32 v4, 4, v64 bitop3:0x14
	s_delay_alu instid0(VALU_DEP_1)
	v_max_num_f32_e32 v0, v0, v3
	scratch_load_b32 v3, off, off offset:32 ; 4-byte Folded Reload
	v_cmp_gt_i32_e32 vcc_lo, 32, v4
	s_wait_loadcnt 0x0
	v_and_b32_e32 v98, 31, v3
	scratch_load_b32 v3, off, off offset:36 ; 4-byte Folded Reload
	v_cndmask_b32_e32 v4, v64, v4, vcc_lo
	v_cmp_eq_u32_e32 vcc_lo, 0, v98
	s_wait_loadcnt 0x0
	s_delay_alu instid0(VALU_DEP_2)
	v_dual_lshlrev_b32 v3, 2, v3 :: v_dual_lshlrev_b32 v5, 2, v4
	ds_bpermute_b32 v4, v5, v0
	s_wait_xcnt 0x0
	s_and_saveexec_b32 s0, vcc_lo
	s_cbranch_execz .LBB170_535
; %bb.534:
	s_wait_dscnt 0x0
	v_max_num_f32_e32 v4, v4, v4
	v_max_num_f32_e32 v0, v0, v0
	s_delay_alu instid0(VALU_DEP_1)
	v_max_num_f32_e32 v0, v0, v4
	ds_store_b32 v3, v0 offset:1024
.LBB170_535:
	s_or_b32 exec_lo, exec_lo, s0
	v_cmp_gt_u32_e64 s0, 4, v98
	v_mov_b32_e32 v0, 0xff7fffff
	s_wait_dscnt 0x0
	v_lshlrev_b32_e32 v4, 2, v98
	s_wait_storecnt 0x0
	s_barrier_signal -1
	s_barrier_wait -1
	s_and_saveexec_b32 s1, s0
; %bb.536:
	ds_load_b32 v0, v4 offset:1024
; %bb.537:
	s_or_b32 exec_lo, exec_lo, s1
	v_xor_b32_e32 v6, 2, v64
	v_xor_b32_e32 v8, 1, v64
	s_delay_alu instid0(VALU_DEP_2) | instskip(NEXT) | instid1(VALU_DEP_1)
	v_cmp_gt_i32_e64 s1, 32, v6
	v_cndmask_b32_e64 v6, v64, v6, s1
	s_delay_alu instid0(VALU_DEP_3) | instskip(NEXT) | instid1(VALU_DEP_1)
	v_cmp_gt_i32_e64 s1, 32, v8
	v_dual_lshlrev_b32 v6, 2, v6 :: v_dual_cndmask_b32 v8, v64, v8, s1
	s_lshl_b32 s1, s12, 3
	s_delay_alu instid0(SALU_CYCLE_1)
	s_min_i32 s19, s1, s35
	s_wait_dscnt 0x0
	ds_bpermute_b32 v7, v6, v0
	s_wait_dscnt 0x0
	v_dual_max_num_f32 v0, v0, v0 :: v_dual_max_num_f32 v7, v7, v7
	v_lshlrev_b32_e32 v99, 2, v8
	scratch_load_b32 v8, off, off offset:32 ; 4-byte Folded Reload
	v_max_num_f32_e32 v0, v0, v7
	ds_bpermute_b32 v7, v99, v0
	s_wait_dscnt 0x0
	v_max_num_f32_e32 v7, v7, v7
	s_delay_alu instid0(VALU_DEP_1)
	v_dual_max_num_f32 v7, v0, v7 :: v_dual_mov_b32 v0, 0
	ds_bpermute_b32 v7, v0, v7
	s_wait_loadcnt 0x0
	v_cmp_gt_i32_e64 s1, s19, v8
	s_and_saveexec_b32 s27, s1
	s_cbranch_execz .LBB170_541
; %bb.538:
	scratch_load_b32 v9, off, off offset:32 ; 4-byte Folded Reload
	v_mov_b32_e32 v0, 0
	s_mov_b32 s28, 0
	s_wait_loadcnt 0x0
	v_lshl_add_u32 v8, v9, 2, 0x420
.LBB170_539:                            ; =>This Inner Loop Header: Depth=1
	ds_load_b32 v10, v8
	v_add_nc_u32_e32 v9, 0x80, v9
	s_delay_alu instid0(VALU_DEP_1) | instskip(SKIP_3) | instid1(VALU_DEP_1)
	v_cmp_le_i32_e64 s3, s19, v9
	s_or_b32 s28, s3, s28
	s_wait_dscnt 0x0
	v_sub_f32_e32 v10, v10, v7
	v_mul_f32_e32 v10, 0x3fb8aa3b, v10
	s_delay_alu instid0(VALU_DEP_1)
	v_exp_f32_e32 v10, v10
	ds_store_b32 v8, v10
	v_nop
	v_add_f32_e32 v0, v0, v10
	v_add_nc_u32_e32 v8, 0x200, v8
	s_and_not1_b32 exec_lo, exec_lo, s28
	s_cbranch_execnz .LBB170_539
; %bb.540:
	s_or_b32 exec_lo, exec_lo, s28
.LBB170_541:
	s_delay_alu instid0(SALU_CYCLE_1)
	s_or_b32 exec_lo, exec_lo, s27
	ds_bpermute_b32 v1, v1, v0
	s_wait_dscnt 0x0
	v_add_f32_e32 v0, v0, v1
	ds_bpermute_b32 v1, v2, v0
	s_wait_dscnt 0x0
	v_add_f32_e32 v0, v0, v1
	;; [unrolled: 3-line block ×5, first 2 shown]
	s_and_saveexec_b32 s3, vcc_lo
; %bb.542:
	ds_store_b32 v3, v0 offset:1040
; %bb.543:
	s_or_b32 exec_lo, exec_lo, s3
	s_wait_dscnt 0x0
	s_barrier_signal -1
	s_barrier_wait -1
	s_and_saveexec_b32 s3, s0
; %bb.544:
	ds_load_b32 v0, v4 offset:1040
; %bb.545:
	s_or_b32 exec_lo, exec_lo, s3
	s_wait_dscnt 0x0
	ds_bpermute_b32 v1, v6, v0
	s_wait_dscnt 0x0
	v_dual_mov_b32 v7, 0 :: v_dual_add_f32 v0, v0, v1
	ds_bpermute_b32 v1, v99, v0
	s_wait_dscnt 0x0
	v_add_f32_e32 v0, v0, v1
	ds_bpermute_b32 v0, v7, v0
	s_and_saveexec_b32 s0, s1
	s_cbranch_execz .LBB170_558
; %bb.546:
	s_wait_dscnt 0x0
	v_add_f32_e32 v0, 0x358637bd, v0
	s_mov_b32 s3, -1
	s_mov_b32 s1, exec_lo
	s_delay_alu instid0(VALU_DEP_1) | instskip(SKIP_1) | instid1(VALU_DEP_2)
	v_div_scale_f32 v1, null, v0, v0, 1.0
	v_div_scale_f32 v4, vcc_lo, 1.0, v0, 1.0
	v_rcp_f32_e32 v2, v1
	v_nop
	s_delay_alu instid0(TRANS32_DEP_1) | instskip(NEXT) | instid1(VALU_DEP_1)
	v_fma_f32 v3, -v1, v2, 1.0
	v_fmac_f32_e32 v2, v3, v2
	s_delay_alu instid0(VALU_DEP_1) | instskip(NEXT) | instid1(VALU_DEP_1)
	v_mul_f32_e32 v3, v4, v2
	v_fma_f32 v5, -v1, v3, v4
	s_delay_alu instid0(VALU_DEP_1) | instskip(SKIP_2) | instid1(VALU_DEP_1)
	v_fmac_f32_e32 v3, v5, v2
	scratch_load_b32 v5, off, off offset:32 ; 4-byte Folded Reload
	v_fma_f32 v4, -v1, v3, v4
	v_div_fmas_f32 v2, v4, v2, v3
	s_delay_alu instid0(VALU_DEP_1) | instskip(SKIP_3) | instid1(VALU_DEP_2)
	v_div_fixup_f32 v2, v2, v0, 1.0
	s_wait_loadcnt 0x0
	v_xad_u32 v1, v5, -1, s19
	v_mov_b32_e32 v0, v5
	v_cmpx_lt_u32_e32 0x7f, v1
	s_cbranch_execz .LBB170_555
; %bb.547:
	v_lshrrev_b32_e32 v1, 7, v1
	s_mov_b32 s3, exec_lo
	v_dual_mov_b32 v3, v2 :: v_dual_mov_b32 v8, 0
	s_delay_alu instid0(VALU_DEP_2) | instskip(NEXT) | instid1(VALU_DEP_1)
	v_add_nc_u32_e32 v0, -1, v1
	v_lshrrev_b32_e32 v4, 1, v0
	s_delay_alu instid0(VALU_DEP_1)
	v_add_nc_u32_e32 v4, 1, v4
	v_cmpx_lt_u32_e32 13, v0
	s_cbranch_execz .LBB170_551
; %bb.548:
	scratch_load_b32 v0, off, off offset:32 ; 4-byte Folded Reload
	v_and_b32_e32 v5, -8, v4
	s_mov_b32 s27, 0
	s_mov_b32 s28, 0
	s_wait_loadcnt 0x0
	v_lshl_add_u32 v6, v0, 2, 0x420
.LBB170_549:                            ; =>This Inner Loop Header: Depth=1
	ds_load_2addr_stride64_b32 v[8:9], v6 offset1:2
	ds_load_2addr_stride64_b32 v[10:11], v6 offset0:4 offset1:6
	ds_load_2addr_stride64_b32 v[12:13], v6 offset0:8 offset1:10
	;; [unrolled: 1-line block ×7, first 2 shown]
	s_add_co_i32 s28, s28, 16
	v_add_nc_u32_e32 v5, -8, v5
	s_wait_dscnt 0x7
	v_pk_mul_f32 v[8:9], v[2:3], v[8:9]
	s_wait_dscnt 0x6
	v_pk_mul_f32 v[10:11], v[2:3], v[10:11]
	s_wait_dscnt 0x5
	v_pk_mul_f32 v[12:13], v[2:3], v[12:13]
	s_wait_dscnt 0x4
	v_pk_mul_f32 v[14:15], v[2:3], v[14:15]
	s_wait_dscnt 0x3
	v_pk_mul_f32 v[16:17], v[2:3], v[16:17]
	s_wait_dscnt 0x2
	v_pk_mul_f32 v[18:19], v[2:3], v[18:19]
	s_wait_dscnt 0x1
	v_pk_mul_f32 v[20:21], v[2:3], v[20:21]
	s_wait_dscnt 0x0
	v_pk_mul_f32 v[22:23], v[2:3], v[22:23]
	ds_store_2addr_stride64_b32 v6, v8, v9 offset1:2
	ds_store_2addr_stride64_b32 v6, v10, v11 offset0:4 offset1:6
	ds_store_2addr_stride64_b32 v6, v12, v13 offset0:8 offset1:10
	;; [unrolled: 1-line block ×7, first 2 shown]
	v_mov_b32_e32 v8, s28
	v_cmp_eq_u32_e32 vcc_lo, 0, v5
	v_add_nc_u32_e32 v6, 0x2000, v6
	s_or_b32 s27, vcc_lo, s27
	s_delay_alu instid0(SALU_CYCLE_1)
	s_and_not1_b32 exec_lo, exec_lo, s27
	s_cbranch_execnz .LBB170_549
; %bb.550:
	s_or_b32 exec_lo, exec_lo, s27
.LBB170_551:
	s_delay_alu instid0(SALU_CYCLE_1) | instskip(NEXT) | instid1(VALU_DEP_2)
	s_or_b32 exec_lo, exec_lo, s3
	v_and_b32_e32 v0, 7, v4
	s_mov_b32 s27, 0
	s_mov_b32 s3, exec_lo
	s_delay_alu instid0(VALU_DEP_1)
	v_cmpx_ne_u32_e32 0, v0
	s_cbranch_execz .LBB170_554
; %bb.552:
	scratch_load_b32 v5, off, off offset:32 ; 4-byte Folded Reload
	s_wait_loadcnt 0x0
	v_dual_lshlrev_b32 v4, 9, v8 :: v_dual_lshlrev_b32 v5, 2, v5
	s_delay_alu instid0(VALU_DEP_1)
	v_add3_u32 v4, v4, v5, 0x420
.LBB170_553:                            ; =>This Inner Loop Header: Depth=1
	ds_load_2addr_stride64_b32 v[8:9], v4 offset1:2
	v_add_nc_u32_e32 v0, -1, v0
	s_delay_alu instid0(VALU_DEP_1)
	v_cmp_eq_u32_e32 vcc_lo, 0, v0
	s_or_b32 s27, vcc_lo, s27
	s_wait_dscnt 0x0
	v_pk_mul_f32 v[8:9], v[2:3], v[8:9]
	ds_store_2addr_stride64_b32 v4, v8, v9 offset1:2
	v_add_nc_u32_e32 v4, 0x400, v4
	s_and_not1_b32 exec_lo, exec_lo, s27
	s_cbranch_execnz .LBB170_553
.LBB170_554:
	s_or_b32 exec_lo, exec_lo, s3
	v_add_nc_u32_e32 v0, 1, v1
	s_delay_alu instid0(VALU_DEP_1) | instskip(NEXT) | instid1(VALU_DEP_1)
	v_and_b32_e32 v1, 0x3fffffe, v0
	v_cmp_ne_u32_e32 vcc_lo, v0, v1
	scratch_load_b32 v0, off, off offset:32 ; 4-byte Folded Reload
	s_or_not1_b32 s3, vcc_lo, exec_lo
	s_wait_loadcnt 0x0
	v_lshl_add_u32 v0, v1, 7, v0
.LBB170_555:
	s_or_b32 exec_lo, exec_lo, s1
	s_delay_alu instid0(SALU_CYCLE_1)
	s_and_b32 exec_lo, exec_lo, s3
	s_cbranch_execz .LBB170_558
; %bb.556:
	s_delay_alu instid0(VALU_DEP_1)
	v_lshl_add_u32 v1, v0, 2, 0x420
	s_mov_b32 s1, 0
.LBB170_557:                            ; =>This Inner Loop Header: Depth=1
	ds_load_b32 v3, v1
	s_wait_dscnt 0x0
	v_dual_mul_f32 v3, v2, v3 :: v_dual_add_nc_u32 v0, 0x80, v0
	s_delay_alu instid0(VALU_DEP_1) | instskip(SKIP_3) | instid1(SALU_CYCLE_1)
	v_cmp_le_i32_e32 vcc_lo, s19, v0
	ds_store_b32 v1, v3
	v_add_nc_u32_e32 v1, 0x200, v1
	s_or_b32 s1, vcc_lo, s1
	s_and_not1_b32 exec_lo, exec_lo, s1
	s_cbranch_execnz .LBB170_557
.LBB170_558:
	s_or_b32 exec_lo, exec_lo, s0
	s_wait_dscnt 0x0
	scratch_load_b32 v0, off, off offset:32 ; 4-byte Folded Reload
	v_dual_mov_b32 v11, 0 :: v_dual_mov_b32 v10, 0
	v_dual_mov_b32 v13, 0 :: v_dual_mov_b32 v12, 0
	;; [unrolled: 1-line block ×7, first 2 shown]
	s_wait_loadcnt 0x0
	s_barrier_signal -1
	s_barrier_wait -1
	v_dual_mov_b32 v6, 0 :: v_dual_bitop2_b32 v100, 1, v0 bitop3:0x40
	s_wait_xcnt 0x0
	s_and_saveexec_b32 s1, s2
	s_cbranch_execz .LBB170_1108
; %bb.559:
	s_clause 0x1
	scratch_load_b32 v0, off, off offset:32
	scratch_load_b32 v3, off, off offset:36
	s_abs_i32 s14, s14
	s_ashr_i32 s19, s18, 31
	s_cvt_f32_u32 s0, s14
	v_lshlrev_b32_e32 v2, 4, v100
	s_wait_kmcnt 0x0
	s_add_nc_u64 s[8:9], s[8:9], s[18:19]
	s_lshl_b64 s[24:25], s[24:25], 2
	v_rcp_iflag_f32_e32 v1, s0
	s_sub_co_i32 s2, 0, s14
	v_dual_mov_b32 v9, 0 :: v_dual_mov_b32 v21, 0
	v_dual_mov_b32 v18, 0 :: v_dual_mov_b32 v19, 0
	;; [unrolled: 1-line block ×3, first 2 shown]
	s_delay_alu instid0(TRANS32_DEP_1)
	v_readfirstlane_b32 s0, v1
	v_dual_mov_b32 v14, 0 :: v_dual_mov_b32 v15, 0
	v_dual_mov_b32 v12, 0 :: v_dual_mov_b32 v13, 0
	s_mul_f32 s0, s0, 0x4f7ffffe
	v_dual_mov_b32 v10, 0 :: v_dual_mov_b32 v11, 0
	v_dual_mov_b32 v6, 0 :: v_dual_mov_b32 v7, 0
	s_delay_alu instid0(SALU_CYCLE_1)
	s_cvt_u32_f32 s0, s0
	s_mov_b32 s3, 0
	s_sub_co_i32 s13, s26, s13
	s_add_co_i32 s26, s12, -1
	s_mul_i32 s2, s2, s0
	s_mov_b32 s18, s35
	s_mul_hi_u32 s2, s0, s2
	s_mov_b32 s19, s3
	s_add_co_i32 s2, s0, s2
	v_dual_mov_b32 v23, 0 :: v_dual_mov_b32 v20, 0
	s_wait_loadcnt 0x0
	v_dual_mov_b32 v101, v3 :: v_dual_lshlrev_b32 v0, 2, v0
	v_lshl_or_b32 v1, v3, 5, v2
	s_delay_alu instid0(VALU_DEP_2) | instskip(SKIP_1) | instid1(VALU_DEP_3)
	v_dual_mov_b32 v8, 0 :: v_dual_bitop2_b32 v102, 4, v0 bitop3:0x40
	v_and_b32_e32 v22, 0x7c, v0
	v_add_nc_u32_e32 v103, 0x420, v1
	s_delay_alu instid0(VALU_DEP_2)
	v_add_nc_u64_e32 v[24:25], s[8:9], v[22:23]
	v_and_b32_e32 v22, 0x7c, v26
	s_add_nc_u64 s[8:9], s[22:23], s[24:25]
	s_delay_alu instid0(VALU_DEP_1) | instid1(SALU_CYCLE_1)
	v_add_nc_u64_e32 v[26:27], s[8:9], v[22:23]
	s_branch .LBB170_562
.LBB170_560:                            ;   in Loop: Header=BB170_562 Depth=1
	s_or_b32 exec_lo, exec_lo, s0
	s_wait_dscnt 0x0
	v_mul_f32_e32 v1, v2, v86
	v_mul_f32_e32 v0, v2, v90
	;; [unrolled: 1-line block ×3, first 2 shown]
	v_dual_mul_f32 v22, v2, v82 :: v_dual_mul_f32 v36, v2, v36
	s_delay_alu instid0(VALU_DEP_4) | instskip(NEXT) | instid1(VALU_DEP_4)
	v_fmac_f32_e32 v1, v3, v87
	v_dual_fmac_f32 v0, v3, v91 :: v_dual_mul_f32 v74, v2, v74
	s_delay_alu instid0(VALU_DEP_4) | instskip(NEXT) | instid1(VALU_DEP_4)
	v_fmac_f32_e32 v51, v3, v79
	v_dual_fmac_f32 v22, v3, v83 :: v_dual_mul_f32 v40, v2, v40
	v_fmac_f32_e32 v36, v3, v37
	s_delay_alu instid0(VALU_DEP_4) | instskip(SKIP_2) | instid1(VALU_DEP_3)
	v_dual_fmac_f32 v0, v4, v88 :: v_dual_mul_f32 v70, v2, v70
	v_dual_fmac_f32 v74, v3, v75 :: v_dual_fmac_f32 v1, v4, v84
	v_fmac_f32_e32 v51, v4, v76
	v_dual_fmac_f32 v22, v4, v80 :: v_dual_fmac_f32 v0, v5, v89
	s_delay_alu instid0(VALU_DEP_3) | instskip(NEXT) | instid1(VALU_DEP_3)
	v_dual_fmac_f32 v70, v3, v71 :: v_dual_fmac_f32 v1, v5, v85
	v_dual_fmac_f32 v74, v4, v72 :: v_dual_fmac_f32 v51, v5, v77
	s_delay_alu instid0(VALU_DEP_3) | instskip(NEXT) | instid1(VALU_DEP_3)
	v_dual_add_f32 v6, v6, v0 :: v_dual_fmac_f32 v22, v5, v81
	v_dual_fmac_f32 v70, v4, v68 :: v_dual_add_f32 v11, v11, v1
	s_delay_alu instid0(VALU_DEP_3) | instskip(NEXT) | instid1(VALU_DEP_3)
	v_dual_add_f32 v13, v13, v51 :: v_dual_mul_f32 v0, v2, v66
	v_dual_fmac_f32 v74, v5, v73 :: v_dual_add_f32 v10, v10, v22
	s_delay_alu instid0(VALU_DEP_3) | instskip(NEXT) | instid1(VALU_DEP_3)
	v_dual_fmac_f32 v70, v5, v69 :: v_dual_mul_f32 v1, v2, v62
	v_dual_fmac_f32 v0, v3, v67 :: v_dual_mul_f32 v22, v2, v58
	s_delay_alu instid0(VALU_DEP_3) | instskip(NEXT) | instid1(VALU_DEP_3)
	v_add_f32_e32 v12, v12, v74
	v_dual_add_f32 v15, v15, v70 :: v_dual_mul_f32 v48, v2, v48
	s_delay_alu instid0(VALU_DEP_4) | instskip(NEXT) | instid1(VALU_DEP_4)
	v_dual_fmac_f32 v1, v3, v63 :: v_dual_mul_f32 v51, v2, v54
	v_dual_fmac_f32 v22, v3, v59 :: v_dual_fmac_f32 v0, v4, v64
	s_delay_alu instid0(VALU_DEP_2) | instskip(NEXT) | instid1(VALU_DEP_2)
	v_dual_fmac_f32 v48, v3, v49 :: v_dual_fmac_f32 v1, v4, v60
	v_dual_fmac_f32 v51, v3, v55 :: v_dual_fmac_f32 v22, v4, v56
	s_delay_alu instid0(VALU_DEP_3) | instskip(NEXT) | instid1(VALU_DEP_3)
	v_fmac_f32_e32 v0, v5, v65
	v_dual_fmac_f32 v48, v4, v46 :: v_dual_fmac_f32 v1, v5, v61
	s_delay_alu instid0(VALU_DEP_3) | instskip(NEXT) | instid1(VALU_DEP_2)
	v_dual_fmac_f32 v51, v4, v52 :: v_dual_fmac_f32 v22, v5, v57
	v_dual_add_f32 v14, v14, v0 :: v_dual_fmac_f32 v48, v5, v47
	s_delay_alu instid0(VALU_DEP_2) | instskip(NEXT) | instid1(VALU_DEP_3)
	v_dual_mul_f32 v30, v2, v30 :: v_dual_fmac_f32 v51, v5, v53
	v_dual_add_f32 v16, v16, v22 :: v_dual_add_f32 v17, v17, v1
	v_mul_f32_e32 v22, v2, v44
	v_pk_mul_f32 v[0:1], v[2:3], v[92:93]
	v_dual_add_f32 v18, v18, v48 :: v_dual_fmac_f32 v40, v3, v41
	v_fmac_f32_e32 v30, v3, v31
	s_delay_alu instid0(VALU_DEP_4) | instskip(SKIP_1) | instid1(VALU_DEP_4)
	v_fmac_f32_e32 v22, v3, v45
	v_pk_mul_f32 v[2:3], v[4:5], v[32:33]
	v_dual_add_f32 v0, v1, v0 :: v_dual_fmac_f32 v40, v4, v38
	s_delay_alu instid0(VALU_DEP_4) | instskip(NEXT) | instid1(VALU_DEP_4)
	v_fmac_f32_e32 v30, v4, v28
	v_dual_fmac_f32 v22, v4, v42 :: v_dual_add_f32 v19, v19, v51
	s_delay_alu instid0(VALU_DEP_3) | instskip(NEXT) | instid1(VALU_DEP_3)
	v_dual_add_f32 v0, v2, v0 :: v_dual_fmac_f32 v36, v4, v34
	v_dual_fmac_f32 v40, v5, v39 :: v_dual_fmac_f32 v30, v5, v29
	s_delay_alu instid0(VALU_DEP_2) | instskip(NEXT) | instid1(VALU_DEP_2)
	v_dual_fmac_f32 v22, v5, v43 :: v_dual_add_f32 v0, v3, v0
	v_dual_fmac_f32 v36, v5, v35 :: v_dual_add_f32 v20, v20, v40
	s_delay_alu instid0(VALU_DEP_3) | instskip(NEXT) | instid1(VALU_DEP_3)
	v_add_f32_e32 v8, v8, v30
	v_dual_add_f32 v21, v21, v22 :: v_dual_add_f32 v7, v7, v0
	s_delay_alu instid0(VALU_DEP_3)
	v_add_f32_e32 v9, v9, v36
.LBB170_561:                            ;   in Loop: Header=BB170_562 Depth=1
	s_or_b32 exec_lo, exec_lo, s22
	v_dual_add_nc_u32 v101, 4, v101 :: v_dual_add_nc_u32 v50, 32, v50
	v_add_nc_u64_e32 v[26:27], 16, v[26:27]
	v_add_nc_u32_e32 v103, 0x80, v103
	s_delay_alu instid0(VALU_DEP_3) | instskip(SKIP_1) | instid1(SALU_CYCLE_1)
	v_cmp_le_i32_e32 vcc_lo, s12, v101
	s_or_b32 s19, vcc_lo, s19
	s_and_not1_b32 exec_lo, exec_lo, s19
	s_cbranch_execz .LBB170_1107
.LBB170_562:                            ; =>This Inner Loop Header: Depth=1
	v_mov_b32_e32 v51, v23
	s_delay_alu instid0(VALU_DEP_1) | instskip(NEXT) | instid1(VALU_DEP_1)
	v_mul_u64_e32 v[0:1], s[20:21], v[50:51]
	v_mul_lo_u32 v0, v1, s7
	s_delay_alu instid0(VALU_DEP_1) | instskip(NEXT) | instid1(VALU_DEP_1)
	v_sub_nc_u32_e32 v0, v50, v0
	v_subrev_nc_u32_e32 v3, s7, v0
	v_cmp_le_u32_e32 vcc_lo, s7, v0
	s_delay_alu instid0(VALU_DEP_2) | instskip(NEXT) | instid1(VALU_DEP_1)
	v_dual_add_nc_u32 v2, 1, v1 :: v_dual_cndmask_b32 v0, v0, v3, vcc_lo
	v_cndmask_b32_e32 v1, v1, v2, vcc_lo
	s_delay_alu instid0(VALU_DEP_2) | instskip(NEXT) | instid1(VALU_DEP_2)
	v_cmp_le_u32_e32 vcc_lo, s7, v0
	v_add_nc_u32_e32 v2, 1, v1
	s_delay_alu instid0(VALU_DEP_1) | instskip(NEXT) | instid1(VALU_DEP_1)
	v_cndmask_b32_e32 v0, v1, v2, vcc_lo
	v_xor_b32_e32 v0, s15, v0
	s_delay_alu instid0(VALU_DEP_1) | instskip(NEXT) | instid1(VALU_DEP_1)
	v_subrev_nc_u32_e32 v2, s15, v0
	v_add_nc_u32_e32 v3, s16, v2
	v_cmp_lt_i32_e64 s0, s13, v2
	s_delay_alu instid0(VALU_DEP_2) | instskip(NEXT) | instid1(VALU_DEP_1)
	v_sub_nc_u32_e32 v0, 0, v3
	v_dual_ashrrev_i32 v3, 31, v3 :: v_dual_max_i32 v22, v3, v0
	s_delay_alu instid0(VALU_DEP_1) | instskip(NEXT) | instid1(VALU_DEP_1)
	v_mul_u64_e32 v[0:1], s[2:3], v[22:23]
	v_mul_lo_u32 v0, v1, s14
	s_delay_alu instid0(VALU_DEP_1) | instskip(NEXT) | instid1(VALU_DEP_1)
	v_sub_nc_u32_e32 v0, v22, v0
	v_subrev_nc_u32_e32 v1, s14, v0
	v_cmp_le_u32_e32 vcc_lo, s14, v0
	s_delay_alu instid0(VALU_DEP_2) | instskip(NEXT) | instid1(VALU_DEP_1)
	v_cndmask_b32_e32 v0, v0, v1, vcc_lo
	v_subrev_nc_u32_e32 v1, s14, v0
	v_cmp_le_u32_e32 vcc_lo, s14, v0
	s_delay_alu instid0(VALU_DEP_2) | instskip(NEXT) | instid1(VALU_DEP_1)
	v_cndmask_b32_e32 v0, v0, v1, vcc_lo
	v_xor_b32_e32 v0, v0, v3
	s_delay_alu instid0(VALU_DEP_1) | instskip(NEXT) | instid1(VALU_DEP_1)
	v_sub_nc_u32_e32 v0, v0, v3
	v_cmp_eq_u32_e32 vcc_lo, 0, v0
	s_or_b32 s0, vcc_lo, s0
	s_delay_alu instid0(SALU_CYCLE_1)
	s_and_saveexec_b32 s22, s0
	s_cbranch_execz .LBB170_561
; %bb.563:                              ;   in Loop: Header=BB170_562 Depth=1
	global_load_b32 v0, v[26:27], off
	ds_load_b128 v[2:5], v103
	s_load_b32 s8, s[10:11], 0x0
	v_mov_b64_e32 v[28:29], 0
	v_mov_b64_e32 v[30:31], 0
	s_mov_b32 s0, exec_lo
	s_wait_loadcnt 0x0
	v_mad_nc_i64_i32 v[32:33], v0, s17, v[24:25]
	global_load_b32 v1, v[32:33], off
	s_wait_loadcnt 0x0
	v_and_b32_e32 v0, 0xff, v1
	s_delay_alu instid0(VALU_DEP_1)
	v_cmpx_ne_u16_e32 0, v0
	s_cbranch_execz .LBB170_571
; %bb.564:                              ;   in Loop: Header=BB170_562 Depth=1
	v_mov_b64_e32 v[30:31], 0x80000000
	s_mov_b32 s9, exec_lo
	v_cmpx_ne_u16_e32 0x80, v0
	s_cbranch_execz .LBB170_570
; %bb.565:                              ;   in Loop: Header=BB170_562 Depth=1
	v_mov_b64_e32 v[30:31], 0x7f800001
	v_and_b32_e32 v34, 0x7f, v1
	s_mov_b32 s23, exec_lo
	s_delay_alu instid0(VALU_DEP_1)
	v_cmpx_ne_u32_e32 0x7f, v34
	s_cbranch_execz .LBB170_569
; %bb.566:                              ;   in Loop: Header=BB170_562 Depth=1
	v_dual_lshrrev_b32 v0, 3, v34 :: v_dual_bitop2_b32 v22, 7, v1 bitop3:0x40
	s_mov_b32 s24, exec_lo
	v_cmpx_gt_u32_e32 8, v34
; %bb.567:                              ;   in Loop: Header=BB170_562 Depth=1
	s_delay_alu instid0(VALU_DEP_2) | instskip(NEXT) | instid1(VALU_DEP_1)
	v_clz_i32_u32_e32 v0, v22
	v_min_u32_e32 v0, 32, v0
	s_delay_alu instid0(VALU_DEP_1) | instskip(NEXT) | instid1(VALU_DEP_1)
	v_subrev_nc_u32_e32 v30, 28, v0
	v_lshlrev_b64_e32 v[30:31], v30, v[22:23]
	s_delay_alu instid0(VALU_DEP_1)
	v_dual_sub_nc_u32 v0, 29, v0 :: v_dual_bitop2_b32 v22, 7, v30 bitop3:0x40
; %bb.568:                              ;   in Loop: Header=BB170_562 Depth=1
	s_or_b32 exec_lo, exec_lo, s24
	s_delay_alu instid0(VALU_DEP_1) | instskip(NEXT) | instid1(VALU_DEP_2)
	v_dual_lshlrev_b32 v30, 24, v1 :: v_dual_lshlrev_b32 v22, 20, v22
	v_lshl_add_u32 v0, v0, 23, 0x3c000000
	s_delay_alu instid0(VALU_DEP_2) | instskip(NEXT) | instid1(VALU_DEP_1)
	v_and_b32_e32 v30, 0x80000000, v30
	v_or3_b32 v22, v22, v30, v0
	s_delay_alu instid0(VALU_DEP_1)
	v_mov_b64_e32 v[30:31], v[22:23]
.LBB170_569:                            ;   in Loop: Header=BB170_562 Depth=1
	s_or_b32 exec_lo, exec_lo, s23
.LBB170_570:                            ;   in Loop: Header=BB170_562 Depth=1
	s_delay_alu instid0(SALU_CYCLE_1)
	s_or_b32 exec_lo, exec_lo, s9
.LBB170_571:                            ;   in Loop: Header=BB170_562 Depth=1
	s_delay_alu instid0(SALU_CYCLE_1) | instskip(SKIP_2) | instid1(VALU_DEP_1)
	s_or_b32 exec_lo, exec_lo, s0
	v_lshrrev_b16 v0, 8, v1
	s_mov_b32 s0, exec_lo
	v_cmpx_ne_u16_e32 0, v0
	s_cbranch_execz .LBB170_579
; %bb.572:                              ;   in Loop: Header=BB170_562 Depth=1
	v_mov_b64_e32 v[28:29], 0x8000000000000000
	s_mov_b32 s9, exec_lo
	v_cmpx_ne_u16_e32 0x80, v0
	s_cbranch_execz .LBB170_578
; %bb.573:                              ;   in Loop: Header=BB170_562 Depth=1
	v_and_b32_e32 v0, 0xffff, v0
	v_mov_b64_e32 v[28:29], 0x7f80000100000000
	s_mov_b32 s23, exec_lo
	s_delay_alu instid0(VALU_DEP_2) | instskip(NEXT) | instid1(VALU_DEP_1)
	v_and_b32_e32 v34, 0x7f, v0
	v_cmpx_ne_u32_e32 0x7f, v34
	s_cbranch_execz .LBB170_577
; %bb.574:                              ;   in Loop: Header=BB170_562 Depth=1
	v_dual_lshrrev_b32 v0, 3, v34 :: v_dual_bitop2_b32 v22, 7, v0 bitop3:0x40
	s_mov_b32 s24, exec_lo
	v_cmpx_gt_u32_e32 8, v34
; %bb.575:                              ;   in Loop: Header=BB170_562 Depth=1
	s_delay_alu instid0(VALU_DEP_2) | instskip(NEXT) | instid1(VALU_DEP_1)
	v_clz_i32_u32_e32 v0, v22
	v_min_u32_e32 v0, 32, v0
	s_delay_alu instid0(VALU_DEP_1) | instskip(SKIP_1) | instid1(VALU_DEP_2)
	v_subrev_nc_u32_e32 v28, 28, v0
	v_sub_nc_u32_e32 v0, 29, v0
	v_lshlrev_b64_e32 v[28:29], v28, v[22:23]
	s_delay_alu instid0(VALU_DEP_1)
	v_and_b32_e32 v22, 7, v28
; %bb.576:                              ;   in Loop: Header=BB170_562 Depth=1
	s_or_b32 exec_lo, exec_lo, s24
	s_delay_alu instid0(VALU_DEP_1) | instskip(SKIP_1) | instid1(VALU_DEP_2)
	v_dual_lshlrev_b32 v28, 16, v1 :: v_dual_lshlrev_b32 v22, 20, v22
	v_lshl_add_u32 v0, v0, 23, 0x3c000000
	v_and_b32_e32 v28, 0x80000000, v28
	s_delay_alu instid0(VALU_DEP_1)
	v_or3_b32 v29, v22, v28, v0
	v_mov_b32_e32 v28, v23
.LBB170_577:                            ;   in Loop: Header=BB170_562 Depth=1
	s_or_b32 exec_lo, exec_lo, s23
.LBB170_578:                            ;   in Loop: Header=BB170_562 Depth=1
	s_delay_alu instid0(SALU_CYCLE_1)
	s_or_b32 exec_lo, exec_lo, s9
.LBB170_579:                            ;   in Loop: Header=BB170_562 Depth=1
	s_delay_alu instid0(SALU_CYCLE_1) | instskip(SKIP_4) | instid1(VALU_DEP_3)
	s_or_b32 exec_lo, exec_lo, s0
	v_lshrrev_b32_e32 v38, 16, v1
	v_mov_b64_e32 v[34:35], 0
	v_mov_b64_e32 v[36:37], 0
	s_mov_b32 s0, exec_lo
	v_and_b32_e32 v0, 0xff, v38
	s_delay_alu instid0(VALU_DEP_1)
	v_cmpx_ne_u16_e32 0, v0
	s_cbranch_execz .LBB170_587
; %bb.580:                              ;   in Loop: Header=BB170_562 Depth=1
	v_mov_b64_e32 v[36:37], 0x80000000
	s_mov_b32 s9, exec_lo
	v_cmpx_ne_u16_e32 0x80, v0
	s_cbranch_execz .LBB170_586
; %bb.581:                              ;   in Loop: Header=BB170_562 Depth=1
	v_mov_b64_e32 v[36:37], 0x7f800001
	v_bfe_u32 v39, v1, 16, 7
	s_mov_b32 s23, exec_lo
	s_delay_alu instid0(VALU_DEP_1)
	v_cmpx_ne_u32_e32 0x7f, v39
	s_cbranch_execz .LBB170_585
; %bb.582:                              ;   in Loop: Header=BB170_562 Depth=1
	v_dual_lshrrev_b32 v0, 3, v39 :: v_dual_bitop2_b32 v22, 7, v38 bitop3:0x40
	s_mov_b32 s24, exec_lo
	v_cmpx_gt_u32_e32 8, v39
; %bb.583:                              ;   in Loop: Header=BB170_562 Depth=1
	s_delay_alu instid0(VALU_DEP_2) | instskip(NEXT) | instid1(VALU_DEP_1)
	v_clz_i32_u32_e32 v0, v22
	v_min_u32_e32 v0, 32, v0
	s_delay_alu instid0(VALU_DEP_1) | instskip(SKIP_1) | instid1(VALU_DEP_2)
	v_subrev_nc_u32_e32 v36, 28, v0
	v_sub_nc_u32_e32 v0, 29, v0
	v_lshlrev_b64_e32 v[36:37], v36, v[22:23]
	s_delay_alu instid0(VALU_DEP_1)
	v_and_b32_e32 v22, 7, v36
; %bb.584:                              ;   in Loop: Header=BB170_562 Depth=1
	s_or_b32 exec_lo, exec_lo, s24
	v_lshlrev_b32_e32 v36, 24, v38
	s_delay_alu instid0(VALU_DEP_2) | instskip(SKIP_1) | instid1(VALU_DEP_3)
	v_lshlrev_b32_e32 v22, 20, v22
	v_lshl_add_u32 v0, v0, 23, 0x3c000000
	v_and_b32_e32 v36, 0x80000000, v36
	s_delay_alu instid0(VALU_DEP_1) | instskip(NEXT) | instid1(VALU_DEP_1)
	v_or3_b32 v22, v22, v36, v0
	v_mov_b64_e32 v[36:37], v[22:23]
.LBB170_585:                            ;   in Loop: Header=BB170_562 Depth=1
	s_or_b32 exec_lo, exec_lo, s23
.LBB170_586:                            ;   in Loop: Header=BB170_562 Depth=1
	s_delay_alu instid0(SALU_CYCLE_1)
	s_or_b32 exec_lo, exec_lo, s9
.LBB170_587:                            ;   in Loop: Header=BB170_562 Depth=1
	s_delay_alu instid0(SALU_CYCLE_1) | instskip(NEXT) | instid1(SALU_CYCLE_1)
	s_or_b32 exec_lo, exec_lo, s0
	s_mov_b32 s0, exec_lo
	v_cmpx_lt_u32_e32 0xffffff, v1
	s_cbranch_execz .LBB170_595
; %bb.588:                              ;   in Loop: Header=BB170_562 Depth=1
	v_mov_b64_e32 v[34:35], 0x8000000000000000
	v_lshrrev_b32_e32 v0, 24, v1
	s_mov_b32 s9, exec_lo
	s_delay_alu instid0(VALU_DEP_1)
	v_cmpx_ne_u32_e32 0x80, v0
	s_cbranch_execz .LBB170_594
; %bb.589:                              ;   in Loop: Header=BB170_562 Depth=1
	v_mov_b64_e32 v[34:35], 0x7f80000100000000
	v_bfe_u32 v38, v1, 24, 7
	s_mov_b32 s23, exec_lo
	s_delay_alu instid0(VALU_DEP_1)
	v_cmpx_ne_u32_e32 0x7f, v38
	s_cbranch_execz .LBB170_593
; %bb.590:                              ;   in Loop: Header=BB170_562 Depth=1
	v_dual_lshrrev_b32 v1, 3, v38 :: v_dual_bitop2_b32 v22, 7, v0 bitop3:0x40
	s_mov_b32 s24, exec_lo
	v_cmpx_gt_u32_e32 8, v38
; %bb.591:                              ;   in Loop: Header=BB170_562 Depth=1
	s_delay_alu instid0(VALU_DEP_2) | instskip(NEXT) | instid1(VALU_DEP_1)
	v_clz_i32_u32_e32 v1, v22
	v_min_u32_e32 v1, 32, v1
	s_delay_alu instid0(VALU_DEP_1) | instskip(NEXT) | instid1(VALU_DEP_1)
	v_subrev_nc_u32_e32 v34, 28, v1
	v_lshlrev_b64_e32 v[34:35], v34, v[22:23]
	s_delay_alu instid0(VALU_DEP_1)
	v_dual_sub_nc_u32 v1, 29, v1 :: v_dual_bitop2_b32 v22, 7, v34 bitop3:0x40
; %bb.592:                              ;   in Loop: Header=BB170_562 Depth=1
	s_or_b32 exec_lo, exec_lo, s24
	s_delay_alu instid0(VALU_DEP_1) | instskip(NEXT) | instid1(VALU_DEP_2)
	v_dual_lshlrev_b32 v0, 24, v0 :: v_dual_lshlrev_b32 v22, 20, v22
	v_lshl_add_u32 v1, v1, 23, 0x3c000000
	v_mov_b32_e32 v34, v23
	s_delay_alu instid0(VALU_DEP_3) | instskip(NEXT) | instid1(VALU_DEP_1)
	v_and_b32_e32 v0, 0x80000000, v0
	v_or3_b32 v35, v22, v0, v1
.LBB170_593:                            ;   in Loop: Header=BB170_562 Depth=1
	s_or_b32 exec_lo, exec_lo, s23
.LBB170_594:                            ;   in Loop: Header=BB170_562 Depth=1
	s_delay_alu instid0(SALU_CYCLE_1)
	s_or_b32 exec_lo, exec_lo, s9
.LBB170_595:                            ;   in Loop: Header=BB170_562 Depth=1
	s_delay_alu instid0(SALU_CYCLE_1)
	s_or_b32 exec_lo, exec_lo, s0
	v_dual_add_nc_u32 v51, v102, v50 :: v_dual_bitop2_b32 v1, v29, v31 bitop3:0x54
	v_or_b32_e32 v0, v28, v30
	v_or_b32_e32 v29, v35, v37
	v_or_b32_e32 v28, v34, v36
	v_cmp_eq_u32_e32 vcc_lo, s26, v101
	v_add_nc_u32_e32 v104, 1, v51
	s_wait_kmcnt 0x0
	v_pk_mul_f32 v[30:31], s[8:9], v[0:1] op_sel_hi:[0,1]
	v_dual_add_nc_u32 v97, 2, v51 :: v_dual_add_nc_u32 v96, 3, v51
	v_pk_mul_f32 v[28:29], s[8:9], v[28:29] op_sel_hi:[0,1]
	s_and_saveexec_b32 s9, vcc_lo
	s_cbranch_execz .LBB170_597
; %bb.596:                              ;   in Loop: Header=BB170_562 Depth=1
	v_cmp_gt_i32_e64 s0, s35, v51
	s_delay_alu instid0(VALU_DEP_1) | instskip(SKIP_1) | instid1(VALU_DEP_1)
	v_cndmask_b32_e64 v30, 0, v30, s0
	v_cmp_gt_i32_e64 s0, s35, v104
	v_cndmask_b32_e64 v31, 0, v31, s0
	v_cmp_gt_i32_e64 s0, s35, v97
	s_delay_alu instid0(VALU_DEP_1) | instskip(SKIP_1) | instid1(VALU_DEP_1)
	v_cndmask_b32_e64 v28, 0, v28, s0
	v_cmp_gt_i32_e64 s0, s35, v96
	v_cndmask_b32_e64 v29, 0, v29, s0
.LBB170_597:                            ;   in Loop: Header=BB170_562 Depth=1
	s_or_b32 exec_lo, exec_lo, s9
	global_load_b32 v1, v[32:33], off offset:128
	v_mov_b64_e32 v[34:35], 0
	v_mov_b64_e32 v[36:37], 0
	s_mov_b32 s9, exec_lo
	s_wait_loadcnt 0x0
	v_and_b32_e32 v0, 0xff, v1
	s_delay_alu instid0(VALU_DEP_1)
	v_cmpx_ne_u16_e32 0, v0
	s_cbranch_execz .LBB170_605
; %bb.598:                              ;   in Loop: Header=BB170_562 Depth=1
	v_mov_b64_e32 v[36:37], 0x80000000
	s_mov_b32 s23, exec_lo
	v_cmpx_ne_u16_e32 0x80, v0
	s_cbranch_execz .LBB170_604
; %bb.599:                              ;   in Loop: Header=BB170_562 Depth=1
	v_mov_b64_e32 v[36:37], 0x7f800001
	v_and_b32_e32 v38, 0x7f, v1
	s_mov_b32 s24, exec_lo
	s_delay_alu instid0(VALU_DEP_1)
	v_cmpx_ne_u32_e32 0x7f, v38
	s_cbranch_execz .LBB170_603
; %bb.600:                              ;   in Loop: Header=BB170_562 Depth=1
	v_dual_lshrrev_b32 v0, 3, v38 :: v_dual_bitop2_b32 v22, 7, v1 bitop3:0x40
	s_mov_b32 s25, exec_lo
	v_cmpx_gt_u32_e32 8, v38
; %bb.601:                              ;   in Loop: Header=BB170_562 Depth=1
	s_delay_alu instid0(VALU_DEP_2) | instskip(NEXT) | instid1(VALU_DEP_1)
	v_clz_i32_u32_e32 v0, v22
	v_min_u32_e32 v0, 32, v0
	s_delay_alu instid0(VALU_DEP_1) | instskip(SKIP_1) | instid1(VALU_DEP_2)
	v_subrev_nc_u32_e32 v36, 28, v0
	v_sub_nc_u32_e32 v0, 29, v0
	v_lshlrev_b64_e32 v[36:37], v36, v[22:23]
	s_delay_alu instid0(VALU_DEP_1)
	v_and_b32_e32 v22, 7, v36
; %bb.602:                              ;   in Loop: Header=BB170_562 Depth=1
	s_or_b32 exec_lo, exec_lo, s25
	s_delay_alu instid0(VALU_DEP_1) | instskip(SKIP_1) | instid1(VALU_DEP_2)
	v_dual_lshlrev_b32 v36, 24, v1 :: v_dual_lshlrev_b32 v22, 20, v22
	v_lshl_add_u32 v0, v0, 23, 0x3c000000
	v_and_b32_e32 v36, 0x80000000, v36
	s_delay_alu instid0(VALU_DEP_1) | instskip(NEXT) | instid1(VALU_DEP_1)
	v_or3_b32 v22, v22, v36, v0
	v_mov_b64_e32 v[36:37], v[22:23]
.LBB170_603:                            ;   in Loop: Header=BB170_562 Depth=1
	s_or_b32 exec_lo, exec_lo, s24
.LBB170_604:                            ;   in Loop: Header=BB170_562 Depth=1
	s_delay_alu instid0(SALU_CYCLE_1)
	s_or_b32 exec_lo, exec_lo, s23
.LBB170_605:                            ;   in Loop: Header=BB170_562 Depth=1
	s_delay_alu instid0(SALU_CYCLE_1) | instskip(SKIP_2) | instid1(VALU_DEP_1)
	s_or_b32 exec_lo, exec_lo, s9
	v_lshrrev_b16 v0, 8, v1
	s_mov_b32 s9, exec_lo
	v_cmpx_ne_u16_e32 0, v0
	s_cbranch_execz .LBB170_613
; %bb.606:                              ;   in Loop: Header=BB170_562 Depth=1
	v_mov_b64_e32 v[34:35], 0x8000000000000000
	s_mov_b32 s23, exec_lo
	v_cmpx_ne_u16_e32 0x80, v0
	s_cbranch_execz .LBB170_612
; %bb.607:                              ;   in Loop: Header=BB170_562 Depth=1
	v_and_b32_e32 v0, 0xffff, v0
	v_mov_b64_e32 v[34:35], 0x7f80000100000000
	s_mov_b32 s24, exec_lo
	s_delay_alu instid0(VALU_DEP_2) | instskip(NEXT) | instid1(VALU_DEP_1)
	v_and_b32_e32 v38, 0x7f, v0
	v_cmpx_ne_u32_e32 0x7f, v38
	s_cbranch_execz .LBB170_611
; %bb.608:                              ;   in Loop: Header=BB170_562 Depth=1
	v_dual_lshrrev_b32 v0, 3, v38 :: v_dual_bitop2_b32 v22, 7, v0 bitop3:0x40
	s_mov_b32 s25, exec_lo
	v_cmpx_gt_u32_e32 8, v38
; %bb.609:                              ;   in Loop: Header=BB170_562 Depth=1
	s_delay_alu instid0(VALU_DEP_2) | instskip(NEXT) | instid1(VALU_DEP_1)
	v_clz_i32_u32_e32 v0, v22
	v_min_u32_e32 v0, 32, v0
	s_delay_alu instid0(VALU_DEP_1) | instskip(NEXT) | instid1(VALU_DEP_1)
	v_subrev_nc_u32_e32 v34, 28, v0
	v_lshlrev_b64_e32 v[34:35], v34, v[22:23]
	s_delay_alu instid0(VALU_DEP_1)
	v_dual_sub_nc_u32 v0, 29, v0 :: v_dual_bitop2_b32 v22, 7, v34 bitop3:0x40
; %bb.610:                              ;   in Loop: Header=BB170_562 Depth=1
	s_or_b32 exec_lo, exec_lo, s25
	s_delay_alu instid0(VALU_DEP_1) | instskip(NEXT) | instid1(VALU_DEP_2)
	v_dual_lshlrev_b32 v34, 16, v1 :: v_dual_lshlrev_b32 v22, 20, v22
	v_lshl_add_u32 v0, v0, 23, 0x3c000000
	s_delay_alu instid0(VALU_DEP_2) | instskip(NEXT) | instid1(VALU_DEP_1)
	v_and_b32_e32 v34, 0x80000000, v34
	v_or3_b32 v35, v22, v34, v0
	v_mov_b32_e32 v34, v23
.LBB170_611:                            ;   in Loop: Header=BB170_562 Depth=1
	s_or_b32 exec_lo, exec_lo, s24
.LBB170_612:                            ;   in Loop: Header=BB170_562 Depth=1
	s_delay_alu instid0(SALU_CYCLE_1)
	s_or_b32 exec_lo, exec_lo, s23
.LBB170_613:                            ;   in Loop: Header=BB170_562 Depth=1
	s_delay_alu instid0(SALU_CYCLE_1) | instskip(SKIP_4) | instid1(VALU_DEP_3)
	s_or_b32 exec_lo, exec_lo, s9
	v_lshrrev_b32_e32 v42, 16, v1
	v_mov_b64_e32 v[38:39], 0
	v_mov_b64_e32 v[40:41], 0
	s_mov_b32 s9, exec_lo
	v_and_b32_e32 v0, 0xff, v42
	s_delay_alu instid0(VALU_DEP_1)
	v_cmpx_ne_u16_e32 0, v0
	s_cbranch_execz .LBB170_621
; %bb.614:                              ;   in Loop: Header=BB170_562 Depth=1
	v_mov_b64_e32 v[40:41], 0x80000000
	s_mov_b32 s23, exec_lo
	v_cmpx_ne_u16_e32 0x80, v0
	s_cbranch_execz .LBB170_620
; %bb.615:                              ;   in Loop: Header=BB170_562 Depth=1
	v_mov_b64_e32 v[40:41], 0x7f800001
	v_bfe_u32 v43, v1, 16, 7
	s_mov_b32 s24, exec_lo
	s_delay_alu instid0(VALU_DEP_1)
	v_cmpx_ne_u32_e32 0x7f, v43
	s_cbranch_execz .LBB170_619
; %bb.616:                              ;   in Loop: Header=BB170_562 Depth=1
	v_dual_lshrrev_b32 v0, 3, v43 :: v_dual_bitop2_b32 v22, 7, v42 bitop3:0x40
	s_mov_b32 s25, exec_lo
	v_cmpx_gt_u32_e32 8, v43
; %bb.617:                              ;   in Loop: Header=BB170_562 Depth=1
	s_delay_alu instid0(VALU_DEP_2) | instskip(NEXT) | instid1(VALU_DEP_1)
	v_clz_i32_u32_e32 v0, v22
	v_min_u32_e32 v0, 32, v0
	s_delay_alu instid0(VALU_DEP_1) | instskip(SKIP_1) | instid1(VALU_DEP_2)
	v_subrev_nc_u32_e32 v40, 28, v0
	v_sub_nc_u32_e32 v0, 29, v0
	v_lshlrev_b64_e32 v[40:41], v40, v[22:23]
	s_delay_alu instid0(VALU_DEP_1)
	v_and_b32_e32 v22, 7, v40
; %bb.618:                              ;   in Loop: Header=BB170_562 Depth=1
	s_or_b32 exec_lo, exec_lo, s25
	v_lshlrev_b32_e32 v40, 24, v42
	s_delay_alu instid0(VALU_DEP_2) | instskip(SKIP_1) | instid1(VALU_DEP_3)
	v_lshlrev_b32_e32 v22, 20, v22
	v_lshl_add_u32 v0, v0, 23, 0x3c000000
	v_and_b32_e32 v40, 0x80000000, v40
	s_delay_alu instid0(VALU_DEP_1) | instskip(NEXT) | instid1(VALU_DEP_1)
	v_or3_b32 v22, v22, v40, v0
	v_mov_b64_e32 v[40:41], v[22:23]
.LBB170_619:                            ;   in Loop: Header=BB170_562 Depth=1
	s_or_b32 exec_lo, exec_lo, s24
.LBB170_620:                            ;   in Loop: Header=BB170_562 Depth=1
	s_delay_alu instid0(SALU_CYCLE_1)
	s_or_b32 exec_lo, exec_lo, s23
.LBB170_621:                            ;   in Loop: Header=BB170_562 Depth=1
	s_delay_alu instid0(SALU_CYCLE_1) | instskip(NEXT) | instid1(SALU_CYCLE_1)
	s_or_b32 exec_lo, exec_lo, s9
	s_mov_b32 s9, exec_lo
	v_cmpx_lt_u32_e32 0xffffff, v1
	s_cbranch_execz .LBB170_629
; %bb.622:                              ;   in Loop: Header=BB170_562 Depth=1
	v_mov_b64_e32 v[38:39], 0x8000000000000000
	v_lshrrev_b32_e32 v0, 24, v1
	s_mov_b32 s23, exec_lo
	s_delay_alu instid0(VALU_DEP_1)
	v_cmpx_ne_u32_e32 0x80, v0
	s_cbranch_execz .LBB170_628
; %bb.623:                              ;   in Loop: Header=BB170_562 Depth=1
	v_mov_b64_e32 v[38:39], 0x7f80000100000000
	v_bfe_u32 v42, v1, 24, 7
	s_mov_b32 s24, exec_lo
	s_delay_alu instid0(VALU_DEP_1)
	v_cmpx_ne_u32_e32 0x7f, v42
	s_cbranch_execz .LBB170_627
; %bb.624:                              ;   in Loop: Header=BB170_562 Depth=1
	v_dual_lshrrev_b32 v1, 3, v42 :: v_dual_bitop2_b32 v22, 7, v0 bitop3:0x40
	s_mov_b32 s25, exec_lo
	v_cmpx_gt_u32_e32 8, v42
; %bb.625:                              ;   in Loop: Header=BB170_562 Depth=1
	s_delay_alu instid0(VALU_DEP_2) | instskip(NEXT) | instid1(VALU_DEP_1)
	v_clz_i32_u32_e32 v1, v22
	v_min_u32_e32 v1, 32, v1
	s_delay_alu instid0(VALU_DEP_1) | instskip(NEXT) | instid1(VALU_DEP_1)
	v_subrev_nc_u32_e32 v38, 28, v1
	v_lshlrev_b64_e32 v[38:39], v38, v[22:23]
	s_delay_alu instid0(VALU_DEP_1)
	v_dual_sub_nc_u32 v1, 29, v1 :: v_dual_bitop2_b32 v22, 7, v38 bitop3:0x40
; %bb.626:                              ;   in Loop: Header=BB170_562 Depth=1
	s_or_b32 exec_lo, exec_lo, s25
	s_delay_alu instid0(VALU_DEP_1) | instskip(NEXT) | instid1(VALU_DEP_2)
	v_dual_lshlrev_b32 v0, 24, v0 :: v_dual_lshlrev_b32 v22, 20, v22
	v_lshl_add_u32 v1, v1, 23, 0x3c000000
	v_mov_b32_e32 v38, v23
	s_delay_alu instid0(VALU_DEP_3) | instskip(NEXT) | instid1(VALU_DEP_1)
	v_and_b32_e32 v0, 0x80000000, v0
	v_or3_b32 v39, v22, v0, v1
.LBB170_627:                            ;   in Loop: Header=BB170_562 Depth=1
	s_or_b32 exec_lo, exec_lo, s24
.LBB170_628:                            ;   in Loop: Header=BB170_562 Depth=1
	s_delay_alu instid0(SALU_CYCLE_1)
	s_or_b32 exec_lo, exec_lo, s23
.LBB170_629:                            ;   in Loop: Header=BB170_562 Depth=1
	s_delay_alu instid0(SALU_CYCLE_1)
	s_or_b32 exec_lo, exec_lo, s9
	s_mov_b32 s9, s8
	v_or_b32_e32 v1, v35, v37
	v_or_b32_e32 v0, v34, v36
	v_mov_b64_e32 v[34:35], s[8:9]
	v_or_b32_e32 v39, v39, v41
	v_or_b32_e32 v38, v38, v40
	s_delay_alu instid0(VALU_DEP_3) | instskip(NEXT) | instid1(VALU_DEP_2)
	v_pk_mul_f32 v[36:37], v[34:35], v[0:1]
	v_pk_mul_f32 v[34:35], v[34:35], v[38:39]
	s_and_saveexec_b32 s23, vcc_lo
	s_cbranch_execz .LBB170_631
; %bb.630:                              ;   in Loop: Header=BB170_562 Depth=1
	v_cmp_gt_i32_e64 s0, s35, v51
	s_delay_alu instid0(VALU_DEP_1) | instskip(SKIP_1) | instid1(VALU_DEP_1)
	v_cndmask_b32_e64 v36, 0, v36, s0
	v_cmp_gt_i32_e64 s0, s35, v104
	v_cndmask_b32_e64 v37, 0, v37, s0
	v_cmp_gt_i32_e64 s0, s35, v97
	s_delay_alu instid0(VALU_DEP_1) | instskip(SKIP_1) | instid1(VALU_DEP_1)
	v_cndmask_b32_e64 v34, 0, v34, s0
	v_cmp_gt_i32_e64 s0, s35, v96
	v_cndmask_b32_e64 v35, 0, v35, s0
.LBB170_631:                            ;   in Loop: Header=BB170_562 Depth=1
	s_or_b32 exec_lo, exec_lo, s23
	global_load_b32 v1, v[32:33], off offset:256
	v_mov_b64_e32 v[38:39], 0
	v_mov_b64_e32 v[40:41], 0
	s_mov_b32 s23, exec_lo
	s_wait_loadcnt 0x0
	v_and_b32_e32 v0, 0xff, v1
	s_delay_alu instid0(VALU_DEP_1)
	v_cmpx_ne_u16_e32 0, v0
	s_cbranch_execz .LBB170_639
; %bb.632:                              ;   in Loop: Header=BB170_562 Depth=1
	v_mov_b64_e32 v[40:41], 0x80000000
	s_mov_b32 s24, exec_lo
	v_cmpx_ne_u16_e32 0x80, v0
	s_cbranch_execz .LBB170_638
; %bb.633:                              ;   in Loop: Header=BB170_562 Depth=1
	v_mov_b64_e32 v[40:41], 0x7f800001
	v_and_b32_e32 v42, 0x7f, v1
	s_mov_b32 s25, exec_lo
	s_delay_alu instid0(VALU_DEP_1)
	v_cmpx_ne_u32_e32 0x7f, v42
	s_cbranch_execz .LBB170_637
; %bb.634:                              ;   in Loop: Header=BB170_562 Depth=1
	v_dual_lshrrev_b32 v0, 3, v42 :: v_dual_bitop2_b32 v22, 7, v1 bitop3:0x40
	s_mov_b32 s27, exec_lo
	v_cmpx_gt_u32_e32 8, v42
; %bb.635:                              ;   in Loop: Header=BB170_562 Depth=1
	s_delay_alu instid0(VALU_DEP_2) | instskip(NEXT) | instid1(VALU_DEP_1)
	v_clz_i32_u32_e32 v0, v22
	v_min_u32_e32 v0, 32, v0
	s_delay_alu instid0(VALU_DEP_1) | instskip(SKIP_1) | instid1(VALU_DEP_2)
	v_subrev_nc_u32_e32 v40, 28, v0
	v_sub_nc_u32_e32 v0, 29, v0
	v_lshlrev_b64_e32 v[40:41], v40, v[22:23]
	s_delay_alu instid0(VALU_DEP_1)
	v_and_b32_e32 v22, 7, v40
; %bb.636:                              ;   in Loop: Header=BB170_562 Depth=1
	s_or_b32 exec_lo, exec_lo, s27
	s_delay_alu instid0(VALU_DEP_1) | instskip(SKIP_1) | instid1(VALU_DEP_2)
	v_dual_lshlrev_b32 v40, 24, v1 :: v_dual_lshlrev_b32 v22, 20, v22
	v_lshl_add_u32 v0, v0, 23, 0x3c000000
	v_and_b32_e32 v40, 0x80000000, v40
	s_delay_alu instid0(VALU_DEP_1) | instskip(NEXT) | instid1(VALU_DEP_1)
	v_or3_b32 v22, v22, v40, v0
	v_mov_b64_e32 v[40:41], v[22:23]
.LBB170_637:                            ;   in Loop: Header=BB170_562 Depth=1
	s_or_b32 exec_lo, exec_lo, s25
.LBB170_638:                            ;   in Loop: Header=BB170_562 Depth=1
	s_delay_alu instid0(SALU_CYCLE_1)
	s_or_b32 exec_lo, exec_lo, s24
.LBB170_639:                            ;   in Loop: Header=BB170_562 Depth=1
	s_delay_alu instid0(SALU_CYCLE_1) | instskip(SKIP_2) | instid1(VALU_DEP_1)
	s_or_b32 exec_lo, exec_lo, s23
	v_lshrrev_b16 v0, 8, v1
	s_mov_b32 s23, exec_lo
	v_cmpx_ne_u16_e32 0, v0
	s_cbranch_execz .LBB170_647
; %bb.640:                              ;   in Loop: Header=BB170_562 Depth=1
	v_mov_b64_e32 v[38:39], 0x8000000000000000
	s_mov_b32 s24, exec_lo
	v_cmpx_ne_u16_e32 0x80, v0
	s_cbranch_execz .LBB170_646
; %bb.641:                              ;   in Loop: Header=BB170_562 Depth=1
	v_and_b32_e32 v0, 0xffff, v0
	v_mov_b64_e32 v[38:39], 0x7f80000100000000
	s_mov_b32 s25, exec_lo
	s_delay_alu instid0(VALU_DEP_2) | instskip(NEXT) | instid1(VALU_DEP_1)
	v_and_b32_e32 v42, 0x7f, v0
	v_cmpx_ne_u32_e32 0x7f, v42
	s_cbranch_execz .LBB170_645
; %bb.642:                              ;   in Loop: Header=BB170_562 Depth=1
	v_dual_lshrrev_b32 v0, 3, v42 :: v_dual_bitop2_b32 v22, 7, v0 bitop3:0x40
	s_mov_b32 s27, exec_lo
	v_cmpx_gt_u32_e32 8, v42
; %bb.643:                              ;   in Loop: Header=BB170_562 Depth=1
	s_delay_alu instid0(VALU_DEP_2) | instskip(NEXT) | instid1(VALU_DEP_1)
	v_clz_i32_u32_e32 v0, v22
	v_min_u32_e32 v0, 32, v0
	s_delay_alu instid0(VALU_DEP_1) | instskip(NEXT) | instid1(VALU_DEP_1)
	v_subrev_nc_u32_e32 v38, 28, v0
	v_lshlrev_b64_e32 v[38:39], v38, v[22:23]
	s_delay_alu instid0(VALU_DEP_1)
	v_dual_sub_nc_u32 v0, 29, v0 :: v_dual_bitop2_b32 v22, 7, v38 bitop3:0x40
; %bb.644:                              ;   in Loop: Header=BB170_562 Depth=1
	s_or_b32 exec_lo, exec_lo, s27
	s_delay_alu instid0(VALU_DEP_1) | instskip(NEXT) | instid1(VALU_DEP_2)
	v_dual_lshlrev_b32 v38, 16, v1 :: v_dual_lshlrev_b32 v22, 20, v22
	v_lshl_add_u32 v0, v0, 23, 0x3c000000
	s_delay_alu instid0(VALU_DEP_2) | instskip(NEXT) | instid1(VALU_DEP_1)
	v_and_b32_e32 v38, 0x80000000, v38
	v_or3_b32 v39, v22, v38, v0
	v_mov_b32_e32 v38, v23
.LBB170_645:                            ;   in Loop: Header=BB170_562 Depth=1
	s_or_b32 exec_lo, exec_lo, s25
.LBB170_646:                            ;   in Loop: Header=BB170_562 Depth=1
	s_delay_alu instid0(SALU_CYCLE_1)
	s_or_b32 exec_lo, exec_lo, s24
.LBB170_647:                            ;   in Loop: Header=BB170_562 Depth=1
	s_delay_alu instid0(SALU_CYCLE_1) | instskip(SKIP_4) | instid1(VALU_DEP_3)
	s_or_b32 exec_lo, exec_lo, s23
	v_lshrrev_b32_e32 v46, 16, v1
	v_mov_b64_e32 v[42:43], 0
	v_mov_b64_e32 v[44:45], 0
	s_mov_b32 s23, exec_lo
	v_and_b32_e32 v0, 0xff, v46
	s_delay_alu instid0(VALU_DEP_1)
	v_cmpx_ne_u16_e32 0, v0
	s_cbranch_execz .LBB170_655
; %bb.648:                              ;   in Loop: Header=BB170_562 Depth=1
	v_mov_b64_e32 v[44:45], 0x80000000
	s_mov_b32 s24, exec_lo
	v_cmpx_ne_u16_e32 0x80, v0
	s_cbranch_execz .LBB170_654
; %bb.649:                              ;   in Loop: Header=BB170_562 Depth=1
	v_mov_b64_e32 v[44:45], 0x7f800001
	v_bfe_u32 v47, v1, 16, 7
	s_mov_b32 s25, exec_lo
	s_delay_alu instid0(VALU_DEP_1)
	v_cmpx_ne_u32_e32 0x7f, v47
	s_cbranch_execz .LBB170_653
; %bb.650:                              ;   in Loop: Header=BB170_562 Depth=1
	v_dual_lshrrev_b32 v0, 3, v47 :: v_dual_bitop2_b32 v22, 7, v46 bitop3:0x40
	s_mov_b32 s27, exec_lo
	v_cmpx_gt_u32_e32 8, v47
; %bb.651:                              ;   in Loop: Header=BB170_562 Depth=1
	s_delay_alu instid0(VALU_DEP_2) | instskip(NEXT) | instid1(VALU_DEP_1)
	v_clz_i32_u32_e32 v0, v22
	v_min_u32_e32 v0, 32, v0
	s_delay_alu instid0(VALU_DEP_1) | instskip(SKIP_1) | instid1(VALU_DEP_2)
	v_subrev_nc_u32_e32 v44, 28, v0
	v_sub_nc_u32_e32 v0, 29, v0
	v_lshlrev_b64_e32 v[44:45], v44, v[22:23]
	s_delay_alu instid0(VALU_DEP_1)
	v_and_b32_e32 v22, 7, v44
; %bb.652:                              ;   in Loop: Header=BB170_562 Depth=1
	s_or_b32 exec_lo, exec_lo, s27
	v_lshlrev_b32_e32 v44, 24, v46
	s_delay_alu instid0(VALU_DEP_2) | instskip(SKIP_1) | instid1(VALU_DEP_3)
	v_lshlrev_b32_e32 v22, 20, v22
	v_lshl_add_u32 v0, v0, 23, 0x3c000000
	v_and_b32_e32 v44, 0x80000000, v44
	s_delay_alu instid0(VALU_DEP_1) | instskip(NEXT) | instid1(VALU_DEP_1)
	v_or3_b32 v22, v22, v44, v0
	v_mov_b64_e32 v[44:45], v[22:23]
.LBB170_653:                            ;   in Loop: Header=BB170_562 Depth=1
	s_or_b32 exec_lo, exec_lo, s25
.LBB170_654:                            ;   in Loop: Header=BB170_562 Depth=1
	s_delay_alu instid0(SALU_CYCLE_1)
	s_or_b32 exec_lo, exec_lo, s24
.LBB170_655:                            ;   in Loop: Header=BB170_562 Depth=1
	s_delay_alu instid0(SALU_CYCLE_1) | instskip(NEXT) | instid1(SALU_CYCLE_1)
	s_or_b32 exec_lo, exec_lo, s23
	s_mov_b32 s23, exec_lo
	v_cmpx_lt_u32_e32 0xffffff, v1
	s_cbranch_execz .LBB170_663
; %bb.656:                              ;   in Loop: Header=BB170_562 Depth=1
	v_mov_b64_e32 v[42:43], 0x8000000000000000
	v_lshrrev_b32_e32 v0, 24, v1
	s_mov_b32 s24, exec_lo
	s_delay_alu instid0(VALU_DEP_1)
	v_cmpx_ne_u32_e32 0x80, v0
	s_cbranch_execz .LBB170_662
; %bb.657:                              ;   in Loop: Header=BB170_562 Depth=1
	v_mov_b64_e32 v[42:43], 0x7f80000100000000
	v_bfe_u32 v46, v1, 24, 7
	s_mov_b32 s25, exec_lo
	s_delay_alu instid0(VALU_DEP_1)
	v_cmpx_ne_u32_e32 0x7f, v46
	s_cbranch_execz .LBB170_661
; %bb.658:                              ;   in Loop: Header=BB170_562 Depth=1
	v_dual_lshrrev_b32 v1, 3, v46 :: v_dual_bitop2_b32 v22, 7, v0 bitop3:0x40
	s_mov_b32 s27, exec_lo
	v_cmpx_gt_u32_e32 8, v46
; %bb.659:                              ;   in Loop: Header=BB170_562 Depth=1
	s_delay_alu instid0(VALU_DEP_2) | instskip(NEXT) | instid1(VALU_DEP_1)
	v_clz_i32_u32_e32 v1, v22
	v_min_u32_e32 v1, 32, v1
	s_delay_alu instid0(VALU_DEP_1) | instskip(NEXT) | instid1(VALU_DEP_1)
	v_subrev_nc_u32_e32 v42, 28, v1
	v_lshlrev_b64_e32 v[42:43], v42, v[22:23]
	s_delay_alu instid0(VALU_DEP_1)
	v_dual_sub_nc_u32 v1, 29, v1 :: v_dual_bitop2_b32 v22, 7, v42 bitop3:0x40
; %bb.660:                              ;   in Loop: Header=BB170_562 Depth=1
	s_or_b32 exec_lo, exec_lo, s27
	s_delay_alu instid0(VALU_DEP_1) | instskip(NEXT) | instid1(VALU_DEP_2)
	v_dual_lshlrev_b32 v0, 24, v0 :: v_dual_lshlrev_b32 v22, 20, v22
	v_lshl_add_u32 v1, v1, 23, 0x3c000000
	v_mov_b32_e32 v42, v23
	s_delay_alu instid0(VALU_DEP_3) | instskip(NEXT) | instid1(VALU_DEP_1)
	v_and_b32_e32 v0, 0x80000000, v0
	v_or3_b32 v43, v22, v0, v1
.LBB170_661:                            ;   in Loop: Header=BB170_562 Depth=1
	s_or_b32 exec_lo, exec_lo, s25
.LBB170_662:                            ;   in Loop: Header=BB170_562 Depth=1
	s_delay_alu instid0(SALU_CYCLE_1)
	s_or_b32 exec_lo, exec_lo, s24
.LBB170_663:                            ;   in Loop: Header=BB170_562 Depth=1
	s_delay_alu instid0(SALU_CYCLE_1)
	s_or_b32 exec_lo, exec_lo, s23
	v_or_b32_e32 v1, v39, v41
	v_or_b32_e32 v0, v38, v40
	v_mov_b64_e32 v[38:39], s[8:9]
	v_or_b32_e32 v43, v43, v45
	v_or_b32_e32 v42, v42, v44
	s_delay_alu instid0(VALU_DEP_3) | instskip(NEXT) | instid1(VALU_DEP_2)
	v_pk_mul_f32 v[40:41], v[38:39], v[0:1]
	v_pk_mul_f32 v[38:39], v[38:39], v[42:43]
	s_and_saveexec_b32 s23, vcc_lo
	s_cbranch_execz .LBB170_665
; %bb.664:                              ;   in Loop: Header=BB170_562 Depth=1
	v_cmp_gt_i32_e64 s0, s35, v51
	s_delay_alu instid0(VALU_DEP_1) | instskip(SKIP_1) | instid1(VALU_DEP_1)
	v_cndmask_b32_e64 v40, 0, v40, s0
	v_cmp_gt_i32_e64 s0, s35, v104
	v_cndmask_b32_e64 v41, 0, v41, s0
	v_cmp_gt_i32_e64 s0, s35, v97
	s_delay_alu instid0(VALU_DEP_1) | instskip(SKIP_1) | instid1(VALU_DEP_1)
	v_cndmask_b32_e64 v38, 0, v38, s0
	v_cmp_gt_i32_e64 s0, s35, v96
	v_cndmask_b32_e64 v39, 0, v39, s0
.LBB170_665:                            ;   in Loop: Header=BB170_562 Depth=1
	s_or_b32 exec_lo, exec_lo, s23
	global_load_b32 v1, v[32:33], off offset:384
	v_mov_b64_e32 v[42:43], 0
	v_mov_b64_e32 v[44:45], 0
	s_mov_b32 s23, exec_lo
	s_wait_loadcnt 0x0
	v_and_b32_e32 v0, 0xff, v1
	s_delay_alu instid0(VALU_DEP_1)
	v_cmpx_ne_u16_e32 0, v0
	s_cbranch_execz .LBB170_673
; %bb.666:                              ;   in Loop: Header=BB170_562 Depth=1
	v_mov_b64_e32 v[44:45], 0x80000000
	s_mov_b32 s24, exec_lo
	v_cmpx_ne_u16_e32 0x80, v0
	s_cbranch_execz .LBB170_672
; %bb.667:                              ;   in Loop: Header=BB170_562 Depth=1
	v_mov_b64_e32 v[44:45], 0x7f800001
	v_and_b32_e32 v46, 0x7f, v1
	s_mov_b32 s25, exec_lo
	s_delay_alu instid0(VALU_DEP_1)
	v_cmpx_ne_u32_e32 0x7f, v46
	s_cbranch_execz .LBB170_671
; %bb.668:                              ;   in Loop: Header=BB170_562 Depth=1
	v_dual_lshrrev_b32 v0, 3, v46 :: v_dual_bitop2_b32 v22, 7, v1 bitop3:0x40
	s_mov_b32 s27, exec_lo
	v_cmpx_gt_u32_e32 8, v46
; %bb.669:                              ;   in Loop: Header=BB170_562 Depth=1
	s_delay_alu instid0(VALU_DEP_2) | instskip(NEXT) | instid1(VALU_DEP_1)
	v_clz_i32_u32_e32 v0, v22
	v_min_u32_e32 v0, 32, v0
	s_delay_alu instid0(VALU_DEP_1) | instskip(SKIP_1) | instid1(VALU_DEP_2)
	v_subrev_nc_u32_e32 v44, 28, v0
	v_sub_nc_u32_e32 v0, 29, v0
	v_lshlrev_b64_e32 v[44:45], v44, v[22:23]
	s_delay_alu instid0(VALU_DEP_1)
	v_and_b32_e32 v22, 7, v44
; %bb.670:                              ;   in Loop: Header=BB170_562 Depth=1
	s_or_b32 exec_lo, exec_lo, s27
	s_delay_alu instid0(VALU_DEP_1) | instskip(SKIP_1) | instid1(VALU_DEP_2)
	v_dual_lshlrev_b32 v44, 24, v1 :: v_dual_lshlrev_b32 v22, 20, v22
	v_lshl_add_u32 v0, v0, 23, 0x3c000000
	v_and_b32_e32 v44, 0x80000000, v44
	s_delay_alu instid0(VALU_DEP_1) | instskip(NEXT) | instid1(VALU_DEP_1)
	v_or3_b32 v22, v22, v44, v0
	v_mov_b64_e32 v[44:45], v[22:23]
.LBB170_671:                            ;   in Loop: Header=BB170_562 Depth=1
	s_or_b32 exec_lo, exec_lo, s25
.LBB170_672:                            ;   in Loop: Header=BB170_562 Depth=1
	s_delay_alu instid0(SALU_CYCLE_1)
	s_or_b32 exec_lo, exec_lo, s24
.LBB170_673:                            ;   in Loop: Header=BB170_562 Depth=1
	s_delay_alu instid0(SALU_CYCLE_1) | instskip(SKIP_2) | instid1(VALU_DEP_1)
	s_or_b32 exec_lo, exec_lo, s23
	v_lshrrev_b16 v0, 8, v1
	s_mov_b32 s23, exec_lo
	v_cmpx_ne_u16_e32 0, v0
	s_cbranch_execz .LBB170_681
; %bb.674:                              ;   in Loop: Header=BB170_562 Depth=1
	v_mov_b64_e32 v[42:43], 0x8000000000000000
	s_mov_b32 s24, exec_lo
	v_cmpx_ne_u16_e32 0x80, v0
	s_cbranch_execz .LBB170_680
; %bb.675:                              ;   in Loop: Header=BB170_562 Depth=1
	v_and_b32_e32 v0, 0xffff, v0
	v_mov_b64_e32 v[42:43], 0x7f80000100000000
	s_mov_b32 s25, exec_lo
	s_delay_alu instid0(VALU_DEP_2) | instskip(NEXT) | instid1(VALU_DEP_1)
	v_and_b32_e32 v46, 0x7f, v0
	v_cmpx_ne_u32_e32 0x7f, v46
	s_cbranch_execz .LBB170_679
; %bb.676:                              ;   in Loop: Header=BB170_562 Depth=1
	v_dual_lshrrev_b32 v0, 3, v46 :: v_dual_bitop2_b32 v22, 7, v0 bitop3:0x40
	s_mov_b32 s27, exec_lo
	v_cmpx_gt_u32_e32 8, v46
; %bb.677:                              ;   in Loop: Header=BB170_562 Depth=1
	s_delay_alu instid0(VALU_DEP_2) | instskip(NEXT) | instid1(VALU_DEP_1)
	v_clz_i32_u32_e32 v0, v22
	v_min_u32_e32 v0, 32, v0
	s_delay_alu instid0(VALU_DEP_1) | instskip(NEXT) | instid1(VALU_DEP_1)
	v_subrev_nc_u32_e32 v42, 28, v0
	v_lshlrev_b64_e32 v[42:43], v42, v[22:23]
	s_delay_alu instid0(VALU_DEP_1)
	v_dual_sub_nc_u32 v0, 29, v0 :: v_dual_bitop2_b32 v22, 7, v42 bitop3:0x40
; %bb.678:                              ;   in Loop: Header=BB170_562 Depth=1
	s_or_b32 exec_lo, exec_lo, s27
	s_delay_alu instid0(VALU_DEP_1) | instskip(NEXT) | instid1(VALU_DEP_2)
	v_dual_lshlrev_b32 v42, 16, v1 :: v_dual_lshlrev_b32 v22, 20, v22
	v_lshl_add_u32 v0, v0, 23, 0x3c000000
	s_delay_alu instid0(VALU_DEP_2) | instskip(NEXT) | instid1(VALU_DEP_1)
	v_and_b32_e32 v42, 0x80000000, v42
	v_or3_b32 v43, v22, v42, v0
	v_mov_b32_e32 v42, v23
.LBB170_679:                            ;   in Loop: Header=BB170_562 Depth=1
	s_or_b32 exec_lo, exec_lo, s25
.LBB170_680:                            ;   in Loop: Header=BB170_562 Depth=1
	s_delay_alu instid0(SALU_CYCLE_1)
	s_or_b32 exec_lo, exec_lo, s24
.LBB170_681:                            ;   in Loop: Header=BB170_562 Depth=1
	s_delay_alu instid0(SALU_CYCLE_1) | instskip(SKIP_4) | instid1(VALU_DEP_3)
	s_or_b32 exec_lo, exec_lo, s23
	v_lshrrev_b32_e32 v52, 16, v1
	v_mov_b64_e32 v[46:47], 0
	v_mov_b64_e32 v[48:49], 0
	s_mov_b32 s23, exec_lo
	v_and_b32_e32 v0, 0xff, v52
	s_delay_alu instid0(VALU_DEP_1)
	v_cmpx_ne_u16_e32 0, v0
	s_cbranch_execz .LBB170_689
; %bb.682:                              ;   in Loop: Header=BB170_562 Depth=1
	v_mov_b64_e32 v[48:49], 0x80000000
	s_mov_b32 s24, exec_lo
	v_cmpx_ne_u16_e32 0x80, v0
	s_cbranch_execz .LBB170_688
; %bb.683:                              ;   in Loop: Header=BB170_562 Depth=1
	v_mov_b64_e32 v[48:49], 0x7f800001
	v_bfe_u32 v53, v1, 16, 7
	s_mov_b32 s25, exec_lo
	s_delay_alu instid0(VALU_DEP_1)
	v_cmpx_ne_u32_e32 0x7f, v53
	s_cbranch_execz .LBB170_687
; %bb.684:                              ;   in Loop: Header=BB170_562 Depth=1
	v_dual_lshrrev_b32 v0, 3, v53 :: v_dual_bitop2_b32 v22, 7, v52 bitop3:0x40
	s_mov_b32 s27, exec_lo
	v_cmpx_gt_u32_e32 8, v53
; %bb.685:                              ;   in Loop: Header=BB170_562 Depth=1
	s_delay_alu instid0(VALU_DEP_2) | instskip(NEXT) | instid1(VALU_DEP_1)
	v_clz_i32_u32_e32 v0, v22
	v_min_u32_e32 v0, 32, v0
	s_delay_alu instid0(VALU_DEP_1) | instskip(SKIP_1) | instid1(VALU_DEP_2)
	v_subrev_nc_u32_e32 v48, 28, v0
	v_sub_nc_u32_e32 v0, 29, v0
	v_lshlrev_b64_e32 v[48:49], v48, v[22:23]
	s_delay_alu instid0(VALU_DEP_1)
	v_and_b32_e32 v22, 7, v48
; %bb.686:                              ;   in Loop: Header=BB170_562 Depth=1
	s_or_b32 exec_lo, exec_lo, s27
	s_delay_alu instid0(VALU_DEP_1) | instskip(SKIP_1) | instid1(VALU_DEP_2)
	v_dual_lshlrev_b32 v48, 24, v52 :: v_dual_lshlrev_b32 v22, 20, v22
	v_lshl_add_u32 v0, v0, 23, 0x3c000000
	v_and_b32_e32 v48, 0x80000000, v48
	s_delay_alu instid0(VALU_DEP_1) | instskip(NEXT) | instid1(VALU_DEP_1)
	v_or3_b32 v22, v22, v48, v0
	v_mov_b64_e32 v[48:49], v[22:23]
.LBB170_687:                            ;   in Loop: Header=BB170_562 Depth=1
	s_or_b32 exec_lo, exec_lo, s25
.LBB170_688:                            ;   in Loop: Header=BB170_562 Depth=1
	s_delay_alu instid0(SALU_CYCLE_1)
	s_or_b32 exec_lo, exec_lo, s24
.LBB170_689:                            ;   in Loop: Header=BB170_562 Depth=1
	s_delay_alu instid0(SALU_CYCLE_1) | instskip(NEXT) | instid1(SALU_CYCLE_1)
	s_or_b32 exec_lo, exec_lo, s23
	s_mov_b32 s23, exec_lo
	v_cmpx_lt_u32_e32 0xffffff, v1
	s_cbranch_execz .LBB170_697
; %bb.690:                              ;   in Loop: Header=BB170_562 Depth=1
	v_mov_b64_e32 v[46:47], 0x8000000000000000
	v_lshrrev_b32_e32 v0, 24, v1
	s_mov_b32 s24, exec_lo
	s_delay_alu instid0(VALU_DEP_1)
	v_cmpx_ne_u32_e32 0x80, v0
	s_cbranch_execz .LBB170_696
; %bb.691:                              ;   in Loop: Header=BB170_562 Depth=1
	v_mov_b64_e32 v[46:47], 0x7f80000100000000
	v_bfe_u32 v52, v1, 24, 7
	s_mov_b32 s25, exec_lo
	s_delay_alu instid0(VALU_DEP_1)
	v_cmpx_ne_u32_e32 0x7f, v52
	s_cbranch_execz .LBB170_695
; %bb.692:                              ;   in Loop: Header=BB170_562 Depth=1
	v_and_b32_e32 v22, 7, v0
	v_lshrrev_b32_e32 v1, 3, v52
	s_mov_b32 s27, exec_lo
	v_cmpx_gt_u32_e32 8, v52
; %bb.693:                              ;   in Loop: Header=BB170_562 Depth=1
	s_delay_alu instid0(VALU_DEP_3) | instskip(NEXT) | instid1(VALU_DEP_1)
	v_clz_i32_u32_e32 v1, v22
	v_min_u32_e32 v1, 32, v1
	s_delay_alu instid0(VALU_DEP_1) | instskip(NEXT) | instid1(VALU_DEP_1)
	v_subrev_nc_u32_e32 v46, 28, v1
	v_lshlrev_b64_e32 v[46:47], v46, v[22:23]
	s_delay_alu instid0(VALU_DEP_1)
	v_dual_sub_nc_u32 v1, 29, v1 :: v_dual_bitop2_b32 v22, 7, v46 bitop3:0x40
; %bb.694:                              ;   in Loop: Header=BB170_562 Depth=1
	s_or_b32 exec_lo, exec_lo, s27
	s_delay_alu instid0(VALU_DEP_1) | instskip(NEXT) | instid1(VALU_DEP_2)
	v_dual_lshlrev_b32 v0, 24, v0 :: v_dual_lshlrev_b32 v22, 20, v22
	v_lshl_add_u32 v1, v1, 23, 0x3c000000
	v_mov_b32_e32 v46, v23
	s_delay_alu instid0(VALU_DEP_3) | instskip(NEXT) | instid1(VALU_DEP_1)
	v_and_b32_e32 v0, 0x80000000, v0
	v_or3_b32 v47, v22, v0, v1
.LBB170_695:                            ;   in Loop: Header=BB170_562 Depth=1
	s_or_b32 exec_lo, exec_lo, s25
.LBB170_696:                            ;   in Loop: Header=BB170_562 Depth=1
	s_delay_alu instid0(SALU_CYCLE_1)
	s_or_b32 exec_lo, exec_lo, s24
.LBB170_697:                            ;   in Loop: Header=BB170_562 Depth=1
	s_delay_alu instid0(SALU_CYCLE_1)
	s_or_b32 exec_lo, exec_lo, s23
	v_or_b32_e32 v1, v43, v45
	v_or_b32_e32 v0, v42, v44
	v_mov_b64_e32 v[42:43], s[8:9]
	v_or_b32_e32 v47, v47, v49
	v_or_b32_e32 v46, v46, v48
	s_delay_alu instid0(VALU_DEP_3) | instskip(NEXT) | instid1(VALU_DEP_2)
	v_pk_mul_f32 v[44:45], v[42:43], v[0:1]
	v_pk_mul_f32 v[42:43], v[42:43], v[46:47]
	s_and_saveexec_b32 s23, vcc_lo
	s_cbranch_execz .LBB170_699
; %bb.698:                              ;   in Loop: Header=BB170_562 Depth=1
	v_cmp_gt_i32_e64 s0, s35, v51
	s_delay_alu instid0(VALU_DEP_1) | instskip(SKIP_1) | instid1(VALU_DEP_1)
	v_cndmask_b32_e64 v44, 0, v44, s0
	v_cmp_gt_i32_e64 s0, s35, v104
	v_cndmask_b32_e64 v45, 0, v45, s0
	v_cmp_gt_i32_e64 s0, s35, v97
	s_delay_alu instid0(VALU_DEP_1) | instskip(SKIP_1) | instid1(VALU_DEP_1)
	v_cndmask_b32_e64 v42, 0, v42, s0
	v_cmp_gt_i32_e64 s0, s35, v96
	v_cndmask_b32_e64 v43, 0, v43, s0
.LBB170_699:                            ;   in Loop: Header=BB170_562 Depth=1
	s_or_b32 exec_lo, exec_lo, s23
	global_load_b32 v1, v[32:33], off offset:512
	v_mov_b64_e32 v[46:47], 0
	v_mov_b64_e32 v[48:49], 0
	s_mov_b32 s23, exec_lo
	s_wait_loadcnt 0x0
	v_and_b32_e32 v0, 0xff, v1
	s_delay_alu instid0(VALU_DEP_1)
	v_cmpx_ne_u16_e32 0, v0
	s_cbranch_execz .LBB170_707
; %bb.700:                              ;   in Loop: Header=BB170_562 Depth=1
	v_mov_b64_e32 v[48:49], 0x80000000
	s_mov_b32 s24, exec_lo
	v_cmpx_ne_u16_e32 0x80, v0
	s_cbranch_execz .LBB170_706
; %bb.701:                              ;   in Loop: Header=BB170_562 Depth=1
	v_mov_b64_e32 v[48:49], 0x7f800001
	v_and_b32_e32 v52, 0x7f, v1
	s_mov_b32 s25, exec_lo
	s_delay_alu instid0(VALU_DEP_1)
	v_cmpx_ne_u32_e32 0x7f, v52
	s_cbranch_execz .LBB170_705
; %bb.702:                              ;   in Loop: Header=BB170_562 Depth=1
	v_dual_lshrrev_b32 v0, 3, v52 :: v_dual_bitop2_b32 v22, 7, v1 bitop3:0x40
	s_mov_b32 s27, exec_lo
	v_cmpx_gt_u32_e32 8, v52
; %bb.703:                              ;   in Loop: Header=BB170_562 Depth=1
	s_delay_alu instid0(VALU_DEP_2) | instskip(NEXT) | instid1(VALU_DEP_1)
	v_clz_i32_u32_e32 v0, v22
	v_min_u32_e32 v0, 32, v0
	s_delay_alu instid0(VALU_DEP_1) | instskip(SKIP_1) | instid1(VALU_DEP_2)
	v_subrev_nc_u32_e32 v48, 28, v0
	v_sub_nc_u32_e32 v0, 29, v0
	v_lshlrev_b64_e32 v[48:49], v48, v[22:23]
	s_delay_alu instid0(VALU_DEP_1)
	v_and_b32_e32 v22, 7, v48
; %bb.704:                              ;   in Loop: Header=BB170_562 Depth=1
	s_or_b32 exec_lo, exec_lo, s27
	s_delay_alu instid0(VALU_DEP_1) | instskip(SKIP_1) | instid1(VALU_DEP_2)
	v_dual_lshlrev_b32 v48, 24, v1 :: v_dual_lshlrev_b32 v22, 20, v22
	v_lshl_add_u32 v0, v0, 23, 0x3c000000
	v_and_b32_e32 v48, 0x80000000, v48
	s_delay_alu instid0(VALU_DEP_1) | instskip(NEXT) | instid1(VALU_DEP_1)
	v_or3_b32 v22, v22, v48, v0
	v_mov_b64_e32 v[48:49], v[22:23]
.LBB170_705:                            ;   in Loop: Header=BB170_562 Depth=1
	s_or_b32 exec_lo, exec_lo, s25
.LBB170_706:                            ;   in Loop: Header=BB170_562 Depth=1
	s_delay_alu instid0(SALU_CYCLE_1)
	s_or_b32 exec_lo, exec_lo, s24
.LBB170_707:                            ;   in Loop: Header=BB170_562 Depth=1
	s_delay_alu instid0(SALU_CYCLE_1) | instskip(SKIP_2) | instid1(VALU_DEP_1)
	s_or_b32 exec_lo, exec_lo, s23
	v_lshrrev_b16 v0, 8, v1
	s_mov_b32 s23, exec_lo
	v_cmpx_ne_u16_e32 0, v0
	s_cbranch_execz .LBB170_715
; %bb.708:                              ;   in Loop: Header=BB170_562 Depth=1
	v_mov_b64_e32 v[46:47], 0x8000000000000000
	s_mov_b32 s24, exec_lo
	v_cmpx_ne_u16_e32 0x80, v0
	s_cbranch_execz .LBB170_714
; %bb.709:                              ;   in Loop: Header=BB170_562 Depth=1
	v_and_b32_e32 v0, 0xffff, v0
	v_mov_b64_e32 v[46:47], 0x7f80000100000000
	s_mov_b32 s25, exec_lo
	s_delay_alu instid0(VALU_DEP_2) | instskip(NEXT) | instid1(VALU_DEP_1)
	v_and_b32_e32 v52, 0x7f, v0
	v_cmpx_ne_u32_e32 0x7f, v52
	s_cbranch_execz .LBB170_713
; %bb.710:                              ;   in Loop: Header=BB170_562 Depth=1
	v_and_b32_e32 v22, 7, v0
	v_lshrrev_b32_e32 v0, 3, v52
	s_mov_b32 s27, exec_lo
	v_cmpx_gt_u32_e32 8, v52
; %bb.711:                              ;   in Loop: Header=BB170_562 Depth=1
	s_delay_alu instid0(VALU_DEP_3) | instskip(NEXT) | instid1(VALU_DEP_1)
	v_clz_i32_u32_e32 v0, v22
	v_min_u32_e32 v0, 32, v0
	s_delay_alu instid0(VALU_DEP_1) | instskip(NEXT) | instid1(VALU_DEP_1)
	v_subrev_nc_u32_e32 v46, 28, v0
	v_lshlrev_b64_e32 v[46:47], v46, v[22:23]
	s_delay_alu instid0(VALU_DEP_1)
	v_dual_sub_nc_u32 v0, 29, v0 :: v_dual_bitop2_b32 v22, 7, v46 bitop3:0x40
; %bb.712:                              ;   in Loop: Header=BB170_562 Depth=1
	s_or_b32 exec_lo, exec_lo, s27
	s_delay_alu instid0(VALU_DEP_1) | instskip(NEXT) | instid1(VALU_DEP_2)
	v_dual_lshlrev_b32 v46, 16, v1 :: v_dual_lshlrev_b32 v22, 20, v22
	v_lshl_add_u32 v0, v0, 23, 0x3c000000
	s_delay_alu instid0(VALU_DEP_2) | instskip(NEXT) | instid1(VALU_DEP_1)
	v_and_b32_e32 v46, 0x80000000, v46
	v_or3_b32 v47, v22, v46, v0
	v_mov_b32_e32 v46, v23
.LBB170_713:                            ;   in Loop: Header=BB170_562 Depth=1
	s_or_b32 exec_lo, exec_lo, s25
.LBB170_714:                            ;   in Loop: Header=BB170_562 Depth=1
	s_delay_alu instid0(SALU_CYCLE_1)
	s_or_b32 exec_lo, exec_lo, s24
.LBB170_715:                            ;   in Loop: Header=BB170_562 Depth=1
	s_delay_alu instid0(SALU_CYCLE_1) | instskip(SKIP_4) | instid1(VALU_DEP_3)
	s_or_b32 exec_lo, exec_lo, s23
	v_lshrrev_b32_e32 v56, 16, v1
	v_mov_b64_e32 v[52:53], 0
	v_mov_b64_e32 v[54:55], 0
	s_mov_b32 s23, exec_lo
	v_and_b32_e32 v0, 0xff, v56
	s_delay_alu instid0(VALU_DEP_1)
	v_cmpx_ne_u16_e32 0, v0
	s_cbranch_execz .LBB170_723
; %bb.716:                              ;   in Loop: Header=BB170_562 Depth=1
	v_mov_b64_e32 v[54:55], 0x80000000
	s_mov_b32 s24, exec_lo
	v_cmpx_ne_u16_e32 0x80, v0
	s_cbranch_execz .LBB170_722
; %bb.717:                              ;   in Loop: Header=BB170_562 Depth=1
	v_mov_b64_e32 v[54:55], 0x7f800001
	v_bfe_u32 v57, v1, 16, 7
	s_mov_b32 s25, exec_lo
	s_delay_alu instid0(VALU_DEP_1)
	v_cmpx_ne_u32_e32 0x7f, v57
	s_cbranch_execz .LBB170_721
; %bb.718:                              ;   in Loop: Header=BB170_562 Depth=1
	v_dual_lshrrev_b32 v0, 3, v57 :: v_dual_bitop2_b32 v22, 7, v56 bitop3:0x40
	s_mov_b32 s27, exec_lo
	v_cmpx_gt_u32_e32 8, v57
; %bb.719:                              ;   in Loop: Header=BB170_562 Depth=1
	s_delay_alu instid0(VALU_DEP_2) | instskip(NEXT) | instid1(VALU_DEP_1)
	v_clz_i32_u32_e32 v0, v22
	v_min_u32_e32 v0, 32, v0
	s_delay_alu instid0(VALU_DEP_1) | instskip(NEXT) | instid1(VALU_DEP_1)
	v_subrev_nc_u32_e32 v54, 28, v0
	v_lshlrev_b64_e32 v[54:55], v54, v[22:23]
	s_delay_alu instid0(VALU_DEP_1)
	v_dual_sub_nc_u32 v0, 29, v0 :: v_dual_bitop2_b32 v22, 7, v54 bitop3:0x40
; %bb.720:                              ;   in Loop: Header=BB170_562 Depth=1
	s_or_b32 exec_lo, exec_lo, s27
	s_delay_alu instid0(VALU_DEP_1) | instskip(NEXT) | instid1(VALU_DEP_2)
	v_dual_lshlrev_b32 v54, 24, v56 :: v_dual_lshlrev_b32 v22, 20, v22
	v_lshl_add_u32 v0, v0, 23, 0x3c000000
	s_delay_alu instid0(VALU_DEP_2) | instskip(NEXT) | instid1(VALU_DEP_1)
	v_and_b32_e32 v54, 0x80000000, v54
	v_or3_b32 v22, v22, v54, v0
	s_delay_alu instid0(VALU_DEP_1)
	v_mov_b64_e32 v[54:55], v[22:23]
.LBB170_721:                            ;   in Loop: Header=BB170_562 Depth=1
	s_or_b32 exec_lo, exec_lo, s25
.LBB170_722:                            ;   in Loop: Header=BB170_562 Depth=1
	s_delay_alu instid0(SALU_CYCLE_1)
	s_or_b32 exec_lo, exec_lo, s24
.LBB170_723:                            ;   in Loop: Header=BB170_562 Depth=1
	s_delay_alu instid0(SALU_CYCLE_1) | instskip(NEXT) | instid1(SALU_CYCLE_1)
	s_or_b32 exec_lo, exec_lo, s23
	s_mov_b32 s23, exec_lo
	v_cmpx_lt_u32_e32 0xffffff, v1
	s_cbranch_execz .LBB170_731
; %bb.724:                              ;   in Loop: Header=BB170_562 Depth=1
	v_mov_b64_e32 v[52:53], 0x8000000000000000
	v_lshrrev_b32_e32 v0, 24, v1
	s_mov_b32 s24, exec_lo
	s_delay_alu instid0(VALU_DEP_1)
	v_cmpx_ne_u32_e32 0x80, v0
	s_cbranch_execz .LBB170_730
; %bb.725:                              ;   in Loop: Header=BB170_562 Depth=1
	v_mov_b64_e32 v[52:53], 0x7f80000100000000
	v_bfe_u32 v56, v1, 24, 7
	s_mov_b32 s25, exec_lo
	s_delay_alu instid0(VALU_DEP_1)
	v_cmpx_ne_u32_e32 0x7f, v56
	s_cbranch_execz .LBB170_729
; %bb.726:                              ;   in Loop: Header=BB170_562 Depth=1
	v_and_b32_e32 v22, 7, v0
	v_lshrrev_b32_e32 v1, 3, v56
	s_mov_b32 s27, exec_lo
	v_cmpx_gt_u32_e32 8, v56
; %bb.727:                              ;   in Loop: Header=BB170_562 Depth=1
	s_delay_alu instid0(VALU_DEP_3) | instskip(NEXT) | instid1(VALU_DEP_1)
	v_clz_i32_u32_e32 v1, v22
	v_min_u32_e32 v1, 32, v1
	s_delay_alu instid0(VALU_DEP_1) | instskip(NEXT) | instid1(VALU_DEP_1)
	v_subrev_nc_u32_e32 v52, 28, v1
	v_lshlrev_b64_e32 v[52:53], v52, v[22:23]
	s_delay_alu instid0(VALU_DEP_1)
	v_dual_sub_nc_u32 v1, 29, v1 :: v_dual_bitop2_b32 v22, 7, v52 bitop3:0x40
; %bb.728:                              ;   in Loop: Header=BB170_562 Depth=1
	s_or_b32 exec_lo, exec_lo, s27
	s_delay_alu instid0(VALU_DEP_1) | instskip(NEXT) | instid1(VALU_DEP_2)
	v_dual_lshlrev_b32 v0, 24, v0 :: v_dual_lshlrev_b32 v22, 20, v22
	v_lshl_add_u32 v1, v1, 23, 0x3c000000
	v_mov_b32_e32 v52, v23
	s_delay_alu instid0(VALU_DEP_3) | instskip(NEXT) | instid1(VALU_DEP_1)
	v_and_b32_e32 v0, 0x80000000, v0
	v_or3_b32 v53, v22, v0, v1
.LBB170_729:                            ;   in Loop: Header=BB170_562 Depth=1
	s_or_b32 exec_lo, exec_lo, s25
.LBB170_730:                            ;   in Loop: Header=BB170_562 Depth=1
	s_delay_alu instid0(SALU_CYCLE_1)
	s_or_b32 exec_lo, exec_lo, s24
.LBB170_731:                            ;   in Loop: Header=BB170_562 Depth=1
	s_delay_alu instid0(SALU_CYCLE_1)
	s_or_b32 exec_lo, exec_lo, s23
	v_or_b32_e32 v1, v47, v49
	v_or_b32_e32 v0, v46, v48
	v_mov_b64_e32 v[46:47], s[8:9]
	v_or_b32_e32 v53, v53, v55
	v_or_b32_e32 v52, v52, v54
	s_delay_alu instid0(VALU_DEP_3) | instskip(NEXT) | instid1(VALU_DEP_2)
	v_pk_mul_f32 v[48:49], v[46:47], v[0:1]
	v_pk_mul_f32 v[46:47], v[46:47], v[52:53]
	s_and_saveexec_b32 s23, vcc_lo
	s_cbranch_execz .LBB170_733
; %bb.732:                              ;   in Loop: Header=BB170_562 Depth=1
	v_cmp_gt_i32_e64 s0, s35, v51
	s_delay_alu instid0(VALU_DEP_1) | instskip(SKIP_1) | instid1(VALU_DEP_1)
	v_cndmask_b32_e64 v48, 0, v48, s0
	v_cmp_gt_i32_e64 s0, s35, v104
	v_cndmask_b32_e64 v49, 0, v49, s0
	v_cmp_gt_i32_e64 s0, s35, v97
	s_delay_alu instid0(VALU_DEP_1) | instskip(SKIP_1) | instid1(VALU_DEP_1)
	v_cndmask_b32_e64 v46, 0, v46, s0
	v_cmp_gt_i32_e64 s0, s35, v96
	v_cndmask_b32_e64 v47, 0, v47, s0
.LBB170_733:                            ;   in Loop: Header=BB170_562 Depth=1
	s_or_b32 exec_lo, exec_lo, s23
	global_load_b32 v1, v[32:33], off offset:640
	v_mov_b64_e32 v[52:53], 0
	v_mov_b64_e32 v[54:55], 0
	s_mov_b32 s23, exec_lo
	s_wait_loadcnt 0x0
	v_and_b32_e32 v0, 0xff, v1
	s_delay_alu instid0(VALU_DEP_1)
	v_cmpx_ne_u16_e32 0, v0
	s_cbranch_execz .LBB170_741
; %bb.734:                              ;   in Loop: Header=BB170_562 Depth=1
	v_mov_b64_e32 v[54:55], 0x80000000
	s_mov_b32 s24, exec_lo
	v_cmpx_ne_u16_e32 0x80, v0
	s_cbranch_execz .LBB170_740
; %bb.735:                              ;   in Loop: Header=BB170_562 Depth=1
	v_mov_b64_e32 v[54:55], 0x7f800001
	v_and_b32_e32 v56, 0x7f, v1
	s_mov_b32 s25, exec_lo
	s_delay_alu instid0(VALU_DEP_1)
	v_cmpx_ne_u32_e32 0x7f, v56
	s_cbranch_execz .LBB170_739
; %bb.736:                              ;   in Loop: Header=BB170_562 Depth=1
	v_dual_lshrrev_b32 v0, 3, v56 :: v_dual_bitop2_b32 v22, 7, v1 bitop3:0x40
	s_mov_b32 s27, exec_lo
	v_cmpx_gt_u32_e32 8, v56
; %bb.737:                              ;   in Loop: Header=BB170_562 Depth=1
	s_delay_alu instid0(VALU_DEP_2) | instskip(NEXT) | instid1(VALU_DEP_1)
	v_clz_i32_u32_e32 v0, v22
	v_min_u32_e32 v0, 32, v0
	s_delay_alu instid0(VALU_DEP_1) | instskip(NEXT) | instid1(VALU_DEP_1)
	v_subrev_nc_u32_e32 v54, 28, v0
	v_lshlrev_b64_e32 v[54:55], v54, v[22:23]
	s_delay_alu instid0(VALU_DEP_1)
	v_dual_sub_nc_u32 v0, 29, v0 :: v_dual_bitop2_b32 v22, 7, v54 bitop3:0x40
; %bb.738:                              ;   in Loop: Header=BB170_562 Depth=1
	s_or_b32 exec_lo, exec_lo, s27
	s_delay_alu instid0(VALU_DEP_1) | instskip(NEXT) | instid1(VALU_DEP_2)
	v_dual_lshlrev_b32 v54, 24, v1 :: v_dual_lshlrev_b32 v22, 20, v22
	v_lshl_add_u32 v0, v0, 23, 0x3c000000
	s_delay_alu instid0(VALU_DEP_2) | instskip(NEXT) | instid1(VALU_DEP_1)
	v_and_b32_e32 v54, 0x80000000, v54
	v_or3_b32 v22, v22, v54, v0
	s_delay_alu instid0(VALU_DEP_1)
	v_mov_b64_e32 v[54:55], v[22:23]
.LBB170_739:                            ;   in Loop: Header=BB170_562 Depth=1
	s_or_b32 exec_lo, exec_lo, s25
.LBB170_740:                            ;   in Loop: Header=BB170_562 Depth=1
	s_delay_alu instid0(SALU_CYCLE_1)
	s_or_b32 exec_lo, exec_lo, s24
.LBB170_741:                            ;   in Loop: Header=BB170_562 Depth=1
	s_delay_alu instid0(SALU_CYCLE_1) | instskip(SKIP_2) | instid1(VALU_DEP_1)
	s_or_b32 exec_lo, exec_lo, s23
	v_lshrrev_b16 v0, 8, v1
	s_mov_b32 s23, exec_lo
	v_cmpx_ne_u16_e32 0, v0
	s_cbranch_execz .LBB170_749
; %bb.742:                              ;   in Loop: Header=BB170_562 Depth=1
	v_mov_b64_e32 v[52:53], 0x8000000000000000
	s_mov_b32 s24, exec_lo
	v_cmpx_ne_u16_e32 0x80, v0
	s_cbranch_execz .LBB170_748
; %bb.743:                              ;   in Loop: Header=BB170_562 Depth=1
	v_and_b32_e32 v0, 0xffff, v0
	v_mov_b64_e32 v[52:53], 0x7f80000100000000
	s_mov_b32 s25, exec_lo
	s_delay_alu instid0(VALU_DEP_2) | instskip(NEXT) | instid1(VALU_DEP_1)
	v_and_b32_e32 v56, 0x7f, v0
	v_cmpx_ne_u32_e32 0x7f, v56
	s_cbranch_execz .LBB170_747
; %bb.744:                              ;   in Loop: Header=BB170_562 Depth=1
	v_and_b32_e32 v22, 7, v0
	v_lshrrev_b32_e32 v0, 3, v56
	s_mov_b32 s27, exec_lo
	v_cmpx_gt_u32_e32 8, v56
; %bb.745:                              ;   in Loop: Header=BB170_562 Depth=1
	s_delay_alu instid0(VALU_DEP_3) | instskip(NEXT) | instid1(VALU_DEP_1)
	v_clz_i32_u32_e32 v0, v22
	v_min_u32_e32 v0, 32, v0
	s_delay_alu instid0(VALU_DEP_1) | instskip(SKIP_1) | instid1(VALU_DEP_2)
	v_subrev_nc_u32_e32 v52, 28, v0
	v_sub_nc_u32_e32 v0, 29, v0
	v_lshlrev_b64_e32 v[52:53], v52, v[22:23]
	s_delay_alu instid0(VALU_DEP_1)
	v_and_b32_e32 v22, 7, v52
; %bb.746:                              ;   in Loop: Header=BB170_562 Depth=1
	s_or_b32 exec_lo, exec_lo, s27
	s_delay_alu instid0(VALU_DEP_1) | instskip(SKIP_1) | instid1(VALU_DEP_2)
	v_dual_lshlrev_b32 v52, 16, v1 :: v_dual_lshlrev_b32 v22, 20, v22
	v_lshl_add_u32 v0, v0, 23, 0x3c000000
	v_and_b32_e32 v52, 0x80000000, v52
	s_delay_alu instid0(VALU_DEP_1)
	v_or3_b32 v53, v22, v52, v0
	v_mov_b32_e32 v52, v23
.LBB170_747:                            ;   in Loop: Header=BB170_562 Depth=1
	s_or_b32 exec_lo, exec_lo, s25
.LBB170_748:                            ;   in Loop: Header=BB170_562 Depth=1
	s_delay_alu instid0(SALU_CYCLE_1)
	s_or_b32 exec_lo, exec_lo, s24
.LBB170_749:                            ;   in Loop: Header=BB170_562 Depth=1
	s_delay_alu instid0(SALU_CYCLE_1) | instskip(SKIP_4) | instid1(VALU_DEP_3)
	s_or_b32 exec_lo, exec_lo, s23
	v_lshrrev_b32_e32 v60, 16, v1
	v_mov_b64_e32 v[56:57], 0
	v_mov_b64_e32 v[58:59], 0
	s_mov_b32 s23, exec_lo
	v_and_b32_e32 v0, 0xff, v60
	s_delay_alu instid0(VALU_DEP_1)
	v_cmpx_ne_u16_e32 0, v0
	s_cbranch_execz .LBB170_757
; %bb.750:                              ;   in Loop: Header=BB170_562 Depth=1
	v_mov_b64_e32 v[58:59], 0x80000000
	s_mov_b32 s24, exec_lo
	v_cmpx_ne_u16_e32 0x80, v0
	s_cbranch_execz .LBB170_756
; %bb.751:                              ;   in Loop: Header=BB170_562 Depth=1
	v_mov_b64_e32 v[58:59], 0x7f800001
	v_bfe_u32 v61, v1, 16, 7
	s_mov_b32 s25, exec_lo
	s_delay_alu instid0(VALU_DEP_1)
	v_cmpx_ne_u32_e32 0x7f, v61
	s_cbranch_execz .LBB170_755
; %bb.752:                              ;   in Loop: Header=BB170_562 Depth=1
	v_dual_lshrrev_b32 v0, 3, v61 :: v_dual_bitop2_b32 v22, 7, v60 bitop3:0x40
	s_mov_b32 s27, exec_lo
	v_cmpx_gt_u32_e32 8, v61
; %bb.753:                              ;   in Loop: Header=BB170_562 Depth=1
	s_delay_alu instid0(VALU_DEP_2) | instskip(NEXT) | instid1(VALU_DEP_1)
	v_clz_i32_u32_e32 v0, v22
	v_min_u32_e32 v0, 32, v0
	s_delay_alu instid0(VALU_DEP_1) | instskip(NEXT) | instid1(VALU_DEP_1)
	v_subrev_nc_u32_e32 v58, 28, v0
	v_lshlrev_b64_e32 v[58:59], v58, v[22:23]
	s_delay_alu instid0(VALU_DEP_1)
	v_dual_sub_nc_u32 v0, 29, v0 :: v_dual_bitop2_b32 v22, 7, v58 bitop3:0x40
; %bb.754:                              ;   in Loop: Header=BB170_562 Depth=1
	s_or_b32 exec_lo, exec_lo, s27
	s_delay_alu instid0(VALU_DEP_1) | instskip(NEXT) | instid1(VALU_DEP_2)
	v_dual_lshlrev_b32 v58, 24, v60 :: v_dual_lshlrev_b32 v22, 20, v22
	v_lshl_add_u32 v0, v0, 23, 0x3c000000
	s_delay_alu instid0(VALU_DEP_2) | instskip(NEXT) | instid1(VALU_DEP_1)
	v_and_b32_e32 v58, 0x80000000, v58
	v_or3_b32 v22, v22, v58, v0
	s_delay_alu instid0(VALU_DEP_1)
	v_mov_b64_e32 v[58:59], v[22:23]
.LBB170_755:                            ;   in Loop: Header=BB170_562 Depth=1
	s_or_b32 exec_lo, exec_lo, s25
.LBB170_756:                            ;   in Loop: Header=BB170_562 Depth=1
	s_delay_alu instid0(SALU_CYCLE_1)
	s_or_b32 exec_lo, exec_lo, s24
.LBB170_757:                            ;   in Loop: Header=BB170_562 Depth=1
	s_delay_alu instid0(SALU_CYCLE_1) | instskip(NEXT) | instid1(SALU_CYCLE_1)
	s_or_b32 exec_lo, exec_lo, s23
	s_mov_b32 s23, exec_lo
	v_cmpx_lt_u32_e32 0xffffff, v1
	s_cbranch_execz .LBB170_765
; %bb.758:                              ;   in Loop: Header=BB170_562 Depth=1
	v_mov_b64_e32 v[56:57], 0x8000000000000000
	v_lshrrev_b32_e32 v0, 24, v1
	s_mov_b32 s24, exec_lo
	s_delay_alu instid0(VALU_DEP_1)
	v_cmpx_ne_u32_e32 0x80, v0
	s_cbranch_execz .LBB170_764
; %bb.759:                              ;   in Loop: Header=BB170_562 Depth=1
	v_mov_b64_e32 v[56:57], 0x7f80000100000000
	v_bfe_u32 v60, v1, 24, 7
	s_mov_b32 s25, exec_lo
	s_delay_alu instid0(VALU_DEP_1)
	v_cmpx_ne_u32_e32 0x7f, v60
	s_cbranch_execz .LBB170_763
; %bb.760:                              ;   in Loop: Header=BB170_562 Depth=1
	v_and_b32_e32 v22, 7, v0
	v_lshrrev_b32_e32 v1, 3, v60
	s_mov_b32 s27, exec_lo
	v_cmpx_gt_u32_e32 8, v60
; %bb.761:                              ;   in Loop: Header=BB170_562 Depth=1
	s_delay_alu instid0(VALU_DEP_3) | instskip(NEXT) | instid1(VALU_DEP_1)
	v_clz_i32_u32_e32 v1, v22
	v_min_u32_e32 v1, 32, v1
	s_delay_alu instid0(VALU_DEP_1) | instskip(NEXT) | instid1(VALU_DEP_1)
	v_subrev_nc_u32_e32 v56, 28, v1
	v_lshlrev_b64_e32 v[56:57], v56, v[22:23]
	s_delay_alu instid0(VALU_DEP_1)
	v_dual_sub_nc_u32 v1, 29, v1 :: v_dual_bitop2_b32 v22, 7, v56 bitop3:0x40
; %bb.762:                              ;   in Loop: Header=BB170_562 Depth=1
	s_or_b32 exec_lo, exec_lo, s27
	s_delay_alu instid0(VALU_DEP_1) | instskip(NEXT) | instid1(VALU_DEP_2)
	v_dual_lshlrev_b32 v0, 24, v0 :: v_dual_lshlrev_b32 v22, 20, v22
	v_lshl_add_u32 v1, v1, 23, 0x3c000000
	v_mov_b32_e32 v56, v23
	s_delay_alu instid0(VALU_DEP_3) | instskip(NEXT) | instid1(VALU_DEP_1)
	v_and_b32_e32 v0, 0x80000000, v0
	v_or3_b32 v57, v22, v0, v1
.LBB170_763:                            ;   in Loop: Header=BB170_562 Depth=1
	s_or_b32 exec_lo, exec_lo, s25
.LBB170_764:                            ;   in Loop: Header=BB170_562 Depth=1
	s_delay_alu instid0(SALU_CYCLE_1)
	s_or_b32 exec_lo, exec_lo, s24
.LBB170_765:                            ;   in Loop: Header=BB170_562 Depth=1
	s_delay_alu instid0(SALU_CYCLE_1)
	s_or_b32 exec_lo, exec_lo, s23
	v_or_b32_e32 v1, v53, v55
	v_or_b32_e32 v0, v52, v54
	v_mov_b64_e32 v[52:53], s[8:9]
	v_or_b32_e32 v57, v57, v59
	v_or_b32_e32 v56, v56, v58
	s_delay_alu instid0(VALU_DEP_3) | instskip(NEXT) | instid1(VALU_DEP_2)
	v_pk_mul_f32 v[54:55], v[52:53], v[0:1]
	v_pk_mul_f32 v[52:53], v[52:53], v[56:57]
	s_and_saveexec_b32 s23, vcc_lo
	s_cbranch_execz .LBB170_767
; %bb.766:                              ;   in Loop: Header=BB170_562 Depth=1
	v_cmp_gt_i32_e64 s0, s35, v51
	s_delay_alu instid0(VALU_DEP_1) | instskip(SKIP_1) | instid1(VALU_DEP_1)
	v_cndmask_b32_e64 v54, 0, v54, s0
	v_cmp_gt_i32_e64 s0, s35, v104
	v_cndmask_b32_e64 v55, 0, v55, s0
	v_cmp_gt_i32_e64 s0, s35, v97
	s_delay_alu instid0(VALU_DEP_1) | instskip(SKIP_1) | instid1(VALU_DEP_1)
	v_cndmask_b32_e64 v52, 0, v52, s0
	v_cmp_gt_i32_e64 s0, s35, v96
	v_cndmask_b32_e64 v53, 0, v53, s0
.LBB170_767:                            ;   in Loop: Header=BB170_562 Depth=1
	s_or_b32 exec_lo, exec_lo, s23
	global_load_b32 v1, v[32:33], off offset:768
	v_mov_b64_e32 v[56:57], 0
	v_mov_b64_e32 v[58:59], 0
	s_mov_b32 s23, exec_lo
	s_wait_loadcnt 0x0
	v_and_b32_e32 v0, 0xff, v1
	s_delay_alu instid0(VALU_DEP_1)
	v_cmpx_ne_u16_e32 0, v0
	s_cbranch_execz .LBB170_775
; %bb.768:                              ;   in Loop: Header=BB170_562 Depth=1
	v_mov_b64_e32 v[58:59], 0x80000000
	s_mov_b32 s24, exec_lo
	v_cmpx_ne_u16_e32 0x80, v0
	s_cbranch_execz .LBB170_774
; %bb.769:                              ;   in Loop: Header=BB170_562 Depth=1
	v_mov_b64_e32 v[58:59], 0x7f800001
	v_and_b32_e32 v60, 0x7f, v1
	s_mov_b32 s25, exec_lo
	s_delay_alu instid0(VALU_DEP_1)
	v_cmpx_ne_u32_e32 0x7f, v60
	s_cbranch_execz .LBB170_773
; %bb.770:                              ;   in Loop: Header=BB170_562 Depth=1
	v_dual_lshrrev_b32 v0, 3, v60 :: v_dual_bitop2_b32 v22, 7, v1 bitop3:0x40
	s_mov_b32 s27, exec_lo
	v_cmpx_gt_u32_e32 8, v60
; %bb.771:                              ;   in Loop: Header=BB170_562 Depth=1
	s_delay_alu instid0(VALU_DEP_2) | instskip(NEXT) | instid1(VALU_DEP_1)
	v_clz_i32_u32_e32 v0, v22
	v_min_u32_e32 v0, 32, v0
	s_delay_alu instid0(VALU_DEP_1) | instskip(NEXT) | instid1(VALU_DEP_1)
	v_subrev_nc_u32_e32 v58, 28, v0
	v_lshlrev_b64_e32 v[58:59], v58, v[22:23]
	s_delay_alu instid0(VALU_DEP_1)
	v_dual_sub_nc_u32 v0, 29, v0 :: v_dual_bitop2_b32 v22, 7, v58 bitop3:0x40
; %bb.772:                              ;   in Loop: Header=BB170_562 Depth=1
	s_or_b32 exec_lo, exec_lo, s27
	s_delay_alu instid0(VALU_DEP_1) | instskip(NEXT) | instid1(VALU_DEP_2)
	v_dual_lshlrev_b32 v58, 24, v1 :: v_dual_lshlrev_b32 v22, 20, v22
	v_lshl_add_u32 v0, v0, 23, 0x3c000000
	s_delay_alu instid0(VALU_DEP_2) | instskip(NEXT) | instid1(VALU_DEP_1)
	v_and_b32_e32 v58, 0x80000000, v58
	v_or3_b32 v22, v22, v58, v0
	s_delay_alu instid0(VALU_DEP_1)
	v_mov_b64_e32 v[58:59], v[22:23]
.LBB170_773:                            ;   in Loop: Header=BB170_562 Depth=1
	s_or_b32 exec_lo, exec_lo, s25
.LBB170_774:                            ;   in Loop: Header=BB170_562 Depth=1
	s_delay_alu instid0(SALU_CYCLE_1)
	s_or_b32 exec_lo, exec_lo, s24
.LBB170_775:                            ;   in Loop: Header=BB170_562 Depth=1
	s_delay_alu instid0(SALU_CYCLE_1) | instskip(SKIP_2) | instid1(VALU_DEP_1)
	s_or_b32 exec_lo, exec_lo, s23
	v_lshrrev_b16 v0, 8, v1
	s_mov_b32 s23, exec_lo
	v_cmpx_ne_u16_e32 0, v0
	s_cbranch_execz .LBB170_783
; %bb.776:                              ;   in Loop: Header=BB170_562 Depth=1
	v_mov_b64_e32 v[56:57], 0x8000000000000000
	s_mov_b32 s24, exec_lo
	v_cmpx_ne_u16_e32 0x80, v0
	s_cbranch_execz .LBB170_782
; %bb.777:                              ;   in Loop: Header=BB170_562 Depth=1
	v_and_b32_e32 v0, 0xffff, v0
	v_mov_b64_e32 v[56:57], 0x7f80000100000000
	s_mov_b32 s25, exec_lo
	s_delay_alu instid0(VALU_DEP_2) | instskip(NEXT) | instid1(VALU_DEP_1)
	v_and_b32_e32 v60, 0x7f, v0
	v_cmpx_ne_u32_e32 0x7f, v60
	s_cbranch_execz .LBB170_781
; %bb.778:                              ;   in Loop: Header=BB170_562 Depth=1
	v_and_b32_e32 v22, 7, v0
	v_lshrrev_b32_e32 v0, 3, v60
	s_mov_b32 s27, exec_lo
	v_cmpx_gt_u32_e32 8, v60
; %bb.779:                              ;   in Loop: Header=BB170_562 Depth=1
	s_delay_alu instid0(VALU_DEP_3) | instskip(NEXT) | instid1(VALU_DEP_1)
	v_clz_i32_u32_e32 v0, v22
	v_min_u32_e32 v0, 32, v0
	s_delay_alu instid0(VALU_DEP_1) | instskip(SKIP_1) | instid1(VALU_DEP_2)
	v_subrev_nc_u32_e32 v56, 28, v0
	v_sub_nc_u32_e32 v0, 29, v0
	v_lshlrev_b64_e32 v[56:57], v56, v[22:23]
	s_delay_alu instid0(VALU_DEP_1)
	v_and_b32_e32 v22, 7, v56
; %bb.780:                              ;   in Loop: Header=BB170_562 Depth=1
	s_or_b32 exec_lo, exec_lo, s27
	s_delay_alu instid0(VALU_DEP_1) | instskip(SKIP_1) | instid1(VALU_DEP_2)
	v_dual_lshlrev_b32 v56, 16, v1 :: v_dual_lshlrev_b32 v22, 20, v22
	v_lshl_add_u32 v0, v0, 23, 0x3c000000
	v_and_b32_e32 v56, 0x80000000, v56
	s_delay_alu instid0(VALU_DEP_1)
	v_or3_b32 v57, v22, v56, v0
	v_mov_b32_e32 v56, v23
.LBB170_781:                            ;   in Loop: Header=BB170_562 Depth=1
	s_or_b32 exec_lo, exec_lo, s25
.LBB170_782:                            ;   in Loop: Header=BB170_562 Depth=1
	s_delay_alu instid0(SALU_CYCLE_1)
	s_or_b32 exec_lo, exec_lo, s24
.LBB170_783:                            ;   in Loop: Header=BB170_562 Depth=1
	s_delay_alu instid0(SALU_CYCLE_1) | instskip(SKIP_4) | instid1(VALU_DEP_3)
	s_or_b32 exec_lo, exec_lo, s23
	v_lshrrev_b32_e32 v64, 16, v1
	v_mov_b64_e32 v[60:61], 0
	v_mov_b64_e32 v[62:63], 0
	s_mov_b32 s23, exec_lo
	v_and_b32_e32 v0, 0xff, v64
	s_delay_alu instid0(VALU_DEP_1)
	v_cmpx_ne_u16_e32 0, v0
	s_cbranch_execz .LBB170_791
; %bb.784:                              ;   in Loop: Header=BB170_562 Depth=1
	v_mov_b64_e32 v[62:63], 0x80000000
	s_mov_b32 s24, exec_lo
	v_cmpx_ne_u16_e32 0x80, v0
	s_cbranch_execz .LBB170_790
; %bb.785:                              ;   in Loop: Header=BB170_562 Depth=1
	v_mov_b64_e32 v[62:63], 0x7f800001
	v_bfe_u32 v65, v1, 16, 7
	s_mov_b32 s25, exec_lo
	s_delay_alu instid0(VALU_DEP_1)
	v_cmpx_ne_u32_e32 0x7f, v65
	s_cbranch_execz .LBB170_789
; %bb.786:                              ;   in Loop: Header=BB170_562 Depth=1
	v_dual_lshrrev_b32 v0, 3, v65 :: v_dual_bitop2_b32 v22, 7, v64 bitop3:0x40
	s_mov_b32 s27, exec_lo
	v_cmpx_gt_u32_e32 8, v65
; %bb.787:                              ;   in Loop: Header=BB170_562 Depth=1
	s_delay_alu instid0(VALU_DEP_2) | instskip(NEXT) | instid1(VALU_DEP_1)
	v_clz_i32_u32_e32 v0, v22
	v_min_u32_e32 v0, 32, v0
	s_delay_alu instid0(VALU_DEP_1) | instskip(NEXT) | instid1(VALU_DEP_1)
	v_subrev_nc_u32_e32 v62, 28, v0
	v_lshlrev_b64_e32 v[62:63], v62, v[22:23]
	s_delay_alu instid0(VALU_DEP_1)
	v_dual_sub_nc_u32 v0, 29, v0 :: v_dual_bitop2_b32 v22, 7, v62 bitop3:0x40
; %bb.788:                              ;   in Loop: Header=BB170_562 Depth=1
	s_or_b32 exec_lo, exec_lo, s27
	s_delay_alu instid0(VALU_DEP_1) | instskip(NEXT) | instid1(VALU_DEP_2)
	v_dual_lshlrev_b32 v62, 24, v64 :: v_dual_lshlrev_b32 v22, 20, v22
	v_lshl_add_u32 v0, v0, 23, 0x3c000000
	s_delay_alu instid0(VALU_DEP_2) | instskip(NEXT) | instid1(VALU_DEP_1)
	v_and_b32_e32 v62, 0x80000000, v62
	v_or3_b32 v22, v22, v62, v0
	s_delay_alu instid0(VALU_DEP_1)
	v_mov_b64_e32 v[62:63], v[22:23]
.LBB170_789:                            ;   in Loop: Header=BB170_562 Depth=1
	s_or_b32 exec_lo, exec_lo, s25
.LBB170_790:                            ;   in Loop: Header=BB170_562 Depth=1
	s_delay_alu instid0(SALU_CYCLE_1)
	s_or_b32 exec_lo, exec_lo, s24
.LBB170_791:                            ;   in Loop: Header=BB170_562 Depth=1
	s_delay_alu instid0(SALU_CYCLE_1) | instskip(NEXT) | instid1(SALU_CYCLE_1)
	s_or_b32 exec_lo, exec_lo, s23
	s_mov_b32 s23, exec_lo
	v_cmpx_lt_u32_e32 0xffffff, v1
	s_cbranch_execz .LBB170_799
; %bb.792:                              ;   in Loop: Header=BB170_562 Depth=1
	v_mov_b64_e32 v[60:61], 0x8000000000000000
	v_lshrrev_b32_e32 v0, 24, v1
	s_mov_b32 s24, exec_lo
	s_delay_alu instid0(VALU_DEP_1)
	v_cmpx_ne_u32_e32 0x80, v0
	s_cbranch_execz .LBB170_798
; %bb.793:                              ;   in Loop: Header=BB170_562 Depth=1
	v_mov_b64_e32 v[60:61], 0x7f80000100000000
	v_bfe_u32 v64, v1, 24, 7
	s_mov_b32 s25, exec_lo
	s_delay_alu instid0(VALU_DEP_1)
	v_cmpx_ne_u32_e32 0x7f, v64
	s_cbranch_execz .LBB170_797
; %bb.794:                              ;   in Loop: Header=BB170_562 Depth=1
	v_and_b32_e32 v22, 7, v0
	v_lshrrev_b32_e32 v1, 3, v64
	s_mov_b32 s27, exec_lo
	v_cmpx_gt_u32_e32 8, v64
; %bb.795:                              ;   in Loop: Header=BB170_562 Depth=1
	s_delay_alu instid0(VALU_DEP_3) | instskip(NEXT) | instid1(VALU_DEP_1)
	v_clz_i32_u32_e32 v1, v22
	v_min_u32_e32 v1, 32, v1
	s_delay_alu instid0(VALU_DEP_1) | instskip(NEXT) | instid1(VALU_DEP_1)
	v_subrev_nc_u32_e32 v60, 28, v1
	v_lshlrev_b64_e32 v[60:61], v60, v[22:23]
	s_delay_alu instid0(VALU_DEP_1)
	v_dual_sub_nc_u32 v1, 29, v1 :: v_dual_bitop2_b32 v22, 7, v60 bitop3:0x40
; %bb.796:                              ;   in Loop: Header=BB170_562 Depth=1
	s_or_b32 exec_lo, exec_lo, s27
	s_delay_alu instid0(VALU_DEP_1) | instskip(NEXT) | instid1(VALU_DEP_2)
	v_dual_lshlrev_b32 v0, 24, v0 :: v_dual_lshlrev_b32 v22, 20, v22
	v_lshl_add_u32 v1, v1, 23, 0x3c000000
	v_mov_b32_e32 v60, v23
	s_delay_alu instid0(VALU_DEP_3) | instskip(NEXT) | instid1(VALU_DEP_1)
	v_and_b32_e32 v0, 0x80000000, v0
	v_or3_b32 v61, v22, v0, v1
.LBB170_797:                            ;   in Loop: Header=BB170_562 Depth=1
	s_or_b32 exec_lo, exec_lo, s25
.LBB170_798:                            ;   in Loop: Header=BB170_562 Depth=1
	s_delay_alu instid0(SALU_CYCLE_1)
	s_or_b32 exec_lo, exec_lo, s24
.LBB170_799:                            ;   in Loop: Header=BB170_562 Depth=1
	s_delay_alu instid0(SALU_CYCLE_1)
	s_or_b32 exec_lo, exec_lo, s23
	v_or_b32_e32 v1, v57, v59
	v_or_b32_e32 v0, v56, v58
	v_mov_b64_e32 v[56:57], s[8:9]
	v_or_b32_e32 v61, v61, v63
	v_or_b32_e32 v60, v60, v62
	s_delay_alu instid0(VALU_DEP_3) | instskip(NEXT) | instid1(VALU_DEP_2)
	v_pk_mul_f32 v[58:59], v[56:57], v[0:1]
	v_pk_mul_f32 v[56:57], v[56:57], v[60:61]
	s_and_saveexec_b32 s23, vcc_lo
	s_cbranch_execz .LBB170_801
; %bb.800:                              ;   in Loop: Header=BB170_562 Depth=1
	v_cmp_gt_i32_e64 s0, s35, v51
	s_delay_alu instid0(VALU_DEP_1) | instskip(SKIP_1) | instid1(VALU_DEP_1)
	v_cndmask_b32_e64 v58, 0, v58, s0
	v_cmp_gt_i32_e64 s0, s35, v104
	v_cndmask_b32_e64 v59, 0, v59, s0
	v_cmp_gt_i32_e64 s0, s35, v97
	s_delay_alu instid0(VALU_DEP_1) | instskip(SKIP_1) | instid1(VALU_DEP_1)
	v_cndmask_b32_e64 v56, 0, v56, s0
	v_cmp_gt_i32_e64 s0, s35, v96
	v_cndmask_b32_e64 v57, 0, v57, s0
.LBB170_801:                            ;   in Loop: Header=BB170_562 Depth=1
	s_or_b32 exec_lo, exec_lo, s23
	global_load_b32 v1, v[32:33], off offset:896
	v_mov_b64_e32 v[60:61], 0
	v_mov_b64_e32 v[62:63], 0
	s_mov_b32 s23, exec_lo
	s_wait_loadcnt 0x0
	v_and_b32_e32 v0, 0xff, v1
	s_delay_alu instid0(VALU_DEP_1)
	v_cmpx_ne_u16_e32 0, v0
	s_cbranch_execz .LBB170_809
; %bb.802:                              ;   in Loop: Header=BB170_562 Depth=1
	v_mov_b64_e32 v[62:63], 0x80000000
	s_mov_b32 s24, exec_lo
	v_cmpx_ne_u16_e32 0x80, v0
	s_cbranch_execz .LBB170_808
; %bb.803:                              ;   in Loop: Header=BB170_562 Depth=1
	v_mov_b64_e32 v[62:63], 0x7f800001
	v_and_b32_e32 v64, 0x7f, v1
	s_mov_b32 s25, exec_lo
	s_delay_alu instid0(VALU_DEP_1)
	v_cmpx_ne_u32_e32 0x7f, v64
	s_cbranch_execz .LBB170_807
; %bb.804:                              ;   in Loop: Header=BB170_562 Depth=1
	v_dual_lshrrev_b32 v0, 3, v64 :: v_dual_bitop2_b32 v22, 7, v1 bitop3:0x40
	s_mov_b32 s27, exec_lo
	v_cmpx_gt_u32_e32 8, v64
; %bb.805:                              ;   in Loop: Header=BB170_562 Depth=1
	s_delay_alu instid0(VALU_DEP_2) | instskip(NEXT) | instid1(VALU_DEP_1)
	v_clz_i32_u32_e32 v0, v22
	v_min_u32_e32 v0, 32, v0
	s_delay_alu instid0(VALU_DEP_1) | instskip(NEXT) | instid1(VALU_DEP_1)
	v_subrev_nc_u32_e32 v62, 28, v0
	v_lshlrev_b64_e32 v[62:63], v62, v[22:23]
	s_delay_alu instid0(VALU_DEP_1)
	v_dual_sub_nc_u32 v0, 29, v0 :: v_dual_bitop2_b32 v22, 7, v62 bitop3:0x40
; %bb.806:                              ;   in Loop: Header=BB170_562 Depth=1
	s_or_b32 exec_lo, exec_lo, s27
	s_delay_alu instid0(VALU_DEP_1) | instskip(NEXT) | instid1(VALU_DEP_2)
	v_dual_lshlrev_b32 v62, 24, v1 :: v_dual_lshlrev_b32 v22, 20, v22
	v_lshl_add_u32 v0, v0, 23, 0x3c000000
	s_delay_alu instid0(VALU_DEP_2) | instskip(NEXT) | instid1(VALU_DEP_1)
	v_and_b32_e32 v62, 0x80000000, v62
	v_or3_b32 v22, v22, v62, v0
	s_delay_alu instid0(VALU_DEP_1)
	v_mov_b64_e32 v[62:63], v[22:23]
.LBB170_807:                            ;   in Loop: Header=BB170_562 Depth=1
	s_or_b32 exec_lo, exec_lo, s25
.LBB170_808:                            ;   in Loop: Header=BB170_562 Depth=1
	s_delay_alu instid0(SALU_CYCLE_1)
	s_or_b32 exec_lo, exec_lo, s24
.LBB170_809:                            ;   in Loop: Header=BB170_562 Depth=1
	s_delay_alu instid0(SALU_CYCLE_1) | instskip(SKIP_2) | instid1(VALU_DEP_1)
	s_or_b32 exec_lo, exec_lo, s23
	v_lshrrev_b16 v0, 8, v1
	s_mov_b32 s23, exec_lo
	v_cmpx_ne_u16_e32 0, v0
	s_cbranch_execz .LBB170_817
; %bb.810:                              ;   in Loop: Header=BB170_562 Depth=1
	v_mov_b64_e32 v[60:61], 0x8000000000000000
	s_mov_b32 s24, exec_lo
	v_cmpx_ne_u16_e32 0x80, v0
	s_cbranch_execz .LBB170_816
; %bb.811:                              ;   in Loop: Header=BB170_562 Depth=1
	v_and_b32_e32 v0, 0xffff, v0
	v_mov_b64_e32 v[60:61], 0x7f80000100000000
	s_mov_b32 s25, exec_lo
	s_delay_alu instid0(VALU_DEP_2) | instskip(NEXT) | instid1(VALU_DEP_1)
	v_and_b32_e32 v64, 0x7f, v0
	v_cmpx_ne_u32_e32 0x7f, v64
	s_cbranch_execz .LBB170_815
; %bb.812:                              ;   in Loop: Header=BB170_562 Depth=1
	v_and_b32_e32 v22, 7, v0
	v_lshrrev_b32_e32 v0, 3, v64
	s_mov_b32 s27, exec_lo
	v_cmpx_gt_u32_e32 8, v64
; %bb.813:                              ;   in Loop: Header=BB170_562 Depth=1
	s_delay_alu instid0(VALU_DEP_3) | instskip(NEXT) | instid1(VALU_DEP_1)
	v_clz_i32_u32_e32 v0, v22
	v_min_u32_e32 v0, 32, v0
	s_delay_alu instid0(VALU_DEP_1) | instskip(SKIP_1) | instid1(VALU_DEP_2)
	v_subrev_nc_u32_e32 v60, 28, v0
	v_sub_nc_u32_e32 v0, 29, v0
	v_lshlrev_b64_e32 v[60:61], v60, v[22:23]
	s_delay_alu instid0(VALU_DEP_1)
	v_and_b32_e32 v22, 7, v60
; %bb.814:                              ;   in Loop: Header=BB170_562 Depth=1
	s_or_b32 exec_lo, exec_lo, s27
	s_delay_alu instid0(VALU_DEP_1) | instskip(SKIP_1) | instid1(VALU_DEP_2)
	v_dual_lshlrev_b32 v60, 16, v1 :: v_dual_lshlrev_b32 v22, 20, v22
	v_lshl_add_u32 v0, v0, 23, 0x3c000000
	v_and_b32_e32 v60, 0x80000000, v60
	s_delay_alu instid0(VALU_DEP_1)
	v_or3_b32 v61, v22, v60, v0
	v_mov_b32_e32 v60, v23
.LBB170_815:                            ;   in Loop: Header=BB170_562 Depth=1
	s_or_b32 exec_lo, exec_lo, s25
.LBB170_816:                            ;   in Loop: Header=BB170_562 Depth=1
	s_delay_alu instid0(SALU_CYCLE_1)
	s_or_b32 exec_lo, exec_lo, s24
.LBB170_817:                            ;   in Loop: Header=BB170_562 Depth=1
	s_delay_alu instid0(SALU_CYCLE_1) | instskip(SKIP_4) | instid1(VALU_DEP_3)
	s_or_b32 exec_lo, exec_lo, s23
	v_lshrrev_b32_e32 v68, 16, v1
	v_mov_b64_e32 v[64:65], 0
	v_mov_b64_e32 v[66:67], 0
	s_mov_b32 s23, exec_lo
	v_and_b32_e32 v0, 0xff, v68
	s_delay_alu instid0(VALU_DEP_1)
	v_cmpx_ne_u16_e32 0, v0
	s_cbranch_execz .LBB170_825
; %bb.818:                              ;   in Loop: Header=BB170_562 Depth=1
	v_mov_b64_e32 v[66:67], 0x80000000
	s_mov_b32 s24, exec_lo
	v_cmpx_ne_u16_e32 0x80, v0
	s_cbranch_execz .LBB170_824
; %bb.819:                              ;   in Loop: Header=BB170_562 Depth=1
	v_mov_b64_e32 v[66:67], 0x7f800001
	v_bfe_u32 v69, v1, 16, 7
	s_mov_b32 s25, exec_lo
	s_delay_alu instid0(VALU_DEP_1)
	v_cmpx_ne_u32_e32 0x7f, v69
	s_cbranch_execz .LBB170_823
; %bb.820:                              ;   in Loop: Header=BB170_562 Depth=1
	v_dual_lshrrev_b32 v0, 3, v69 :: v_dual_bitop2_b32 v22, 7, v68 bitop3:0x40
	s_mov_b32 s27, exec_lo
	v_cmpx_gt_u32_e32 8, v69
; %bb.821:                              ;   in Loop: Header=BB170_562 Depth=1
	s_delay_alu instid0(VALU_DEP_2) | instskip(NEXT) | instid1(VALU_DEP_1)
	v_clz_i32_u32_e32 v0, v22
	v_min_u32_e32 v0, 32, v0
	s_delay_alu instid0(VALU_DEP_1) | instskip(NEXT) | instid1(VALU_DEP_1)
	v_subrev_nc_u32_e32 v66, 28, v0
	v_lshlrev_b64_e32 v[66:67], v66, v[22:23]
	s_delay_alu instid0(VALU_DEP_1)
	v_dual_sub_nc_u32 v0, 29, v0 :: v_dual_bitop2_b32 v22, 7, v66 bitop3:0x40
; %bb.822:                              ;   in Loop: Header=BB170_562 Depth=1
	s_or_b32 exec_lo, exec_lo, s27
	s_delay_alu instid0(VALU_DEP_1) | instskip(NEXT) | instid1(VALU_DEP_2)
	v_dual_lshlrev_b32 v66, 24, v68 :: v_dual_lshlrev_b32 v22, 20, v22
	v_lshl_add_u32 v0, v0, 23, 0x3c000000
	s_delay_alu instid0(VALU_DEP_2) | instskip(NEXT) | instid1(VALU_DEP_1)
	v_and_b32_e32 v66, 0x80000000, v66
	v_or3_b32 v22, v22, v66, v0
	s_delay_alu instid0(VALU_DEP_1)
	v_mov_b64_e32 v[66:67], v[22:23]
.LBB170_823:                            ;   in Loop: Header=BB170_562 Depth=1
	s_or_b32 exec_lo, exec_lo, s25
.LBB170_824:                            ;   in Loop: Header=BB170_562 Depth=1
	s_delay_alu instid0(SALU_CYCLE_1)
	s_or_b32 exec_lo, exec_lo, s24
.LBB170_825:                            ;   in Loop: Header=BB170_562 Depth=1
	s_delay_alu instid0(SALU_CYCLE_1) | instskip(NEXT) | instid1(SALU_CYCLE_1)
	s_or_b32 exec_lo, exec_lo, s23
	s_mov_b32 s23, exec_lo
	v_cmpx_lt_u32_e32 0xffffff, v1
	s_cbranch_execz .LBB170_833
; %bb.826:                              ;   in Loop: Header=BB170_562 Depth=1
	v_mov_b64_e32 v[64:65], 0x8000000000000000
	v_lshrrev_b32_e32 v0, 24, v1
	s_mov_b32 s24, exec_lo
	s_delay_alu instid0(VALU_DEP_1)
	v_cmpx_ne_u32_e32 0x80, v0
	s_cbranch_execz .LBB170_832
; %bb.827:                              ;   in Loop: Header=BB170_562 Depth=1
	v_mov_b64_e32 v[64:65], 0x7f80000100000000
	v_bfe_u32 v68, v1, 24, 7
	s_mov_b32 s25, exec_lo
	s_delay_alu instid0(VALU_DEP_1)
	v_cmpx_ne_u32_e32 0x7f, v68
	s_cbranch_execz .LBB170_831
; %bb.828:                              ;   in Loop: Header=BB170_562 Depth=1
	v_and_b32_e32 v22, 7, v0
	v_lshrrev_b32_e32 v1, 3, v68
	s_mov_b32 s27, exec_lo
	v_cmpx_gt_u32_e32 8, v68
; %bb.829:                              ;   in Loop: Header=BB170_562 Depth=1
	s_delay_alu instid0(VALU_DEP_3) | instskip(NEXT) | instid1(VALU_DEP_1)
	v_clz_i32_u32_e32 v1, v22
	v_min_u32_e32 v1, 32, v1
	s_delay_alu instid0(VALU_DEP_1) | instskip(NEXT) | instid1(VALU_DEP_1)
	v_subrev_nc_u32_e32 v64, 28, v1
	v_lshlrev_b64_e32 v[64:65], v64, v[22:23]
	s_delay_alu instid0(VALU_DEP_1)
	v_dual_sub_nc_u32 v1, 29, v1 :: v_dual_bitop2_b32 v22, 7, v64 bitop3:0x40
; %bb.830:                              ;   in Loop: Header=BB170_562 Depth=1
	s_or_b32 exec_lo, exec_lo, s27
	s_delay_alu instid0(VALU_DEP_1) | instskip(NEXT) | instid1(VALU_DEP_2)
	v_dual_lshlrev_b32 v0, 24, v0 :: v_dual_lshlrev_b32 v22, 20, v22
	v_lshl_add_u32 v1, v1, 23, 0x3c000000
	v_mov_b32_e32 v64, v23
	s_delay_alu instid0(VALU_DEP_3) | instskip(NEXT) | instid1(VALU_DEP_1)
	v_and_b32_e32 v0, 0x80000000, v0
	v_or3_b32 v65, v22, v0, v1
.LBB170_831:                            ;   in Loop: Header=BB170_562 Depth=1
	s_or_b32 exec_lo, exec_lo, s25
.LBB170_832:                            ;   in Loop: Header=BB170_562 Depth=1
	s_delay_alu instid0(SALU_CYCLE_1)
	s_or_b32 exec_lo, exec_lo, s24
.LBB170_833:                            ;   in Loop: Header=BB170_562 Depth=1
	s_delay_alu instid0(SALU_CYCLE_1)
	s_or_b32 exec_lo, exec_lo, s23
	v_or_b32_e32 v1, v61, v63
	v_or_b32_e32 v0, v60, v62
	v_mov_b64_e32 v[60:61], s[8:9]
	v_or_b32_e32 v65, v65, v67
	v_or_b32_e32 v64, v64, v66
	s_delay_alu instid0(VALU_DEP_3) | instskip(NEXT) | instid1(VALU_DEP_2)
	v_pk_mul_f32 v[62:63], v[60:61], v[0:1]
	v_pk_mul_f32 v[60:61], v[60:61], v[64:65]
	s_and_saveexec_b32 s23, vcc_lo
	s_cbranch_execz .LBB170_835
; %bb.834:                              ;   in Loop: Header=BB170_562 Depth=1
	v_cmp_gt_i32_e64 s0, s35, v51
	s_delay_alu instid0(VALU_DEP_1) | instskip(SKIP_1) | instid1(VALU_DEP_1)
	v_cndmask_b32_e64 v62, 0, v62, s0
	v_cmp_gt_i32_e64 s0, s35, v104
	v_cndmask_b32_e64 v63, 0, v63, s0
	v_cmp_gt_i32_e64 s0, s35, v97
	s_delay_alu instid0(VALU_DEP_1) | instskip(SKIP_1) | instid1(VALU_DEP_1)
	v_cndmask_b32_e64 v60, 0, v60, s0
	v_cmp_gt_i32_e64 s0, s35, v96
	v_cndmask_b32_e64 v61, 0, v61, s0
.LBB170_835:                            ;   in Loop: Header=BB170_562 Depth=1
	s_or_b32 exec_lo, exec_lo, s23
	global_load_b32 v1, v[32:33], off offset:1024
	v_mov_b64_e32 v[64:65], 0
	v_mov_b64_e32 v[66:67], 0
	s_mov_b32 s23, exec_lo
	s_wait_loadcnt 0x0
	v_and_b32_e32 v0, 0xff, v1
	s_delay_alu instid0(VALU_DEP_1)
	v_cmpx_ne_u16_e32 0, v0
	s_cbranch_execz .LBB170_843
; %bb.836:                              ;   in Loop: Header=BB170_562 Depth=1
	v_mov_b64_e32 v[66:67], 0x80000000
	s_mov_b32 s24, exec_lo
	v_cmpx_ne_u16_e32 0x80, v0
	s_cbranch_execz .LBB170_842
; %bb.837:                              ;   in Loop: Header=BB170_562 Depth=1
	v_mov_b64_e32 v[66:67], 0x7f800001
	v_and_b32_e32 v68, 0x7f, v1
	s_mov_b32 s25, exec_lo
	s_delay_alu instid0(VALU_DEP_1)
	v_cmpx_ne_u32_e32 0x7f, v68
	s_cbranch_execz .LBB170_841
; %bb.838:                              ;   in Loop: Header=BB170_562 Depth=1
	v_dual_lshrrev_b32 v0, 3, v68 :: v_dual_bitop2_b32 v22, 7, v1 bitop3:0x40
	s_mov_b32 s27, exec_lo
	v_cmpx_gt_u32_e32 8, v68
; %bb.839:                              ;   in Loop: Header=BB170_562 Depth=1
	s_delay_alu instid0(VALU_DEP_2) | instskip(NEXT) | instid1(VALU_DEP_1)
	v_clz_i32_u32_e32 v0, v22
	v_min_u32_e32 v0, 32, v0
	s_delay_alu instid0(VALU_DEP_1) | instskip(NEXT) | instid1(VALU_DEP_1)
	v_subrev_nc_u32_e32 v66, 28, v0
	v_lshlrev_b64_e32 v[66:67], v66, v[22:23]
	s_delay_alu instid0(VALU_DEP_1)
	v_dual_sub_nc_u32 v0, 29, v0 :: v_dual_bitop2_b32 v22, 7, v66 bitop3:0x40
; %bb.840:                              ;   in Loop: Header=BB170_562 Depth=1
	s_or_b32 exec_lo, exec_lo, s27
	s_delay_alu instid0(VALU_DEP_1) | instskip(NEXT) | instid1(VALU_DEP_2)
	v_dual_lshlrev_b32 v66, 24, v1 :: v_dual_lshlrev_b32 v22, 20, v22
	v_lshl_add_u32 v0, v0, 23, 0x3c000000
	s_delay_alu instid0(VALU_DEP_2) | instskip(NEXT) | instid1(VALU_DEP_1)
	v_and_b32_e32 v66, 0x80000000, v66
	v_or3_b32 v22, v22, v66, v0
	s_delay_alu instid0(VALU_DEP_1)
	v_mov_b64_e32 v[66:67], v[22:23]
.LBB170_841:                            ;   in Loop: Header=BB170_562 Depth=1
	s_or_b32 exec_lo, exec_lo, s25
.LBB170_842:                            ;   in Loop: Header=BB170_562 Depth=1
	s_delay_alu instid0(SALU_CYCLE_1)
	s_or_b32 exec_lo, exec_lo, s24
.LBB170_843:                            ;   in Loop: Header=BB170_562 Depth=1
	s_delay_alu instid0(SALU_CYCLE_1) | instskip(SKIP_2) | instid1(VALU_DEP_1)
	s_or_b32 exec_lo, exec_lo, s23
	v_lshrrev_b16 v0, 8, v1
	s_mov_b32 s23, exec_lo
	v_cmpx_ne_u16_e32 0, v0
	s_cbranch_execz .LBB170_851
; %bb.844:                              ;   in Loop: Header=BB170_562 Depth=1
	v_mov_b64_e32 v[64:65], 0x8000000000000000
	s_mov_b32 s24, exec_lo
	v_cmpx_ne_u16_e32 0x80, v0
	s_cbranch_execz .LBB170_850
; %bb.845:                              ;   in Loop: Header=BB170_562 Depth=1
	v_and_b32_e32 v0, 0xffff, v0
	v_mov_b64_e32 v[64:65], 0x7f80000100000000
	s_mov_b32 s25, exec_lo
	s_delay_alu instid0(VALU_DEP_2) | instskip(NEXT) | instid1(VALU_DEP_1)
	v_and_b32_e32 v68, 0x7f, v0
	v_cmpx_ne_u32_e32 0x7f, v68
	s_cbranch_execz .LBB170_849
; %bb.846:                              ;   in Loop: Header=BB170_562 Depth=1
	v_and_b32_e32 v22, 7, v0
	v_lshrrev_b32_e32 v0, 3, v68
	s_mov_b32 s27, exec_lo
	v_cmpx_gt_u32_e32 8, v68
; %bb.847:                              ;   in Loop: Header=BB170_562 Depth=1
	s_delay_alu instid0(VALU_DEP_3) | instskip(NEXT) | instid1(VALU_DEP_1)
	v_clz_i32_u32_e32 v0, v22
	v_min_u32_e32 v0, 32, v0
	s_delay_alu instid0(VALU_DEP_1) | instskip(SKIP_1) | instid1(VALU_DEP_2)
	v_subrev_nc_u32_e32 v64, 28, v0
	v_sub_nc_u32_e32 v0, 29, v0
	v_lshlrev_b64_e32 v[64:65], v64, v[22:23]
	s_delay_alu instid0(VALU_DEP_1)
	v_and_b32_e32 v22, 7, v64
; %bb.848:                              ;   in Loop: Header=BB170_562 Depth=1
	s_or_b32 exec_lo, exec_lo, s27
	s_delay_alu instid0(VALU_DEP_1) | instskip(SKIP_1) | instid1(VALU_DEP_2)
	v_dual_lshlrev_b32 v64, 16, v1 :: v_dual_lshlrev_b32 v22, 20, v22
	v_lshl_add_u32 v0, v0, 23, 0x3c000000
	v_and_b32_e32 v64, 0x80000000, v64
	s_delay_alu instid0(VALU_DEP_1)
	v_or3_b32 v65, v22, v64, v0
	v_mov_b32_e32 v64, v23
.LBB170_849:                            ;   in Loop: Header=BB170_562 Depth=1
	s_or_b32 exec_lo, exec_lo, s25
.LBB170_850:                            ;   in Loop: Header=BB170_562 Depth=1
	s_delay_alu instid0(SALU_CYCLE_1)
	s_or_b32 exec_lo, exec_lo, s24
.LBB170_851:                            ;   in Loop: Header=BB170_562 Depth=1
	s_delay_alu instid0(SALU_CYCLE_1) | instskip(SKIP_4) | instid1(VALU_DEP_3)
	s_or_b32 exec_lo, exec_lo, s23
	v_lshrrev_b32_e32 v72, 16, v1
	v_mov_b64_e32 v[68:69], 0
	v_mov_b64_e32 v[70:71], 0
	s_mov_b32 s23, exec_lo
	v_and_b32_e32 v0, 0xff, v72
	s_delay_alu instid0(VALU_DEP_1)
	v_cmpx_ne_u16_e32 0, v0
	s_cbranch_execz .LBB170_859
; %bb.852:                              ;   in Loop: Header=BB170_562 Depth=1
	v_mov_b64_e32 v[70:71], 0x80000000
	s_mov_b32 s24, exec_lo
	v_cmpx_ne_u16_e32 0x80, v0
	s_cbranch_execz .LBB170_858
; %bb.853:                              ;   in Loop: Header=BB170_562 Depth=1
	v_mov_b64_e32 v[70:71], 0x7f800001
	v_bfe_u32 v73, v1, 16, 7
	s_mov_b32 s25, exec_lo
	s_delay_alu instid0(VALU_DEP_1)
	v_cmpx_ne_u32_e32 0x7f, v73
	s_cbranch_execz .LBB170_857
; %bb.854:                              ;   in Loop: Header=BB170_562 Depth=1
	v_dual_lshrrev_b32 v0, 3, v73 :: v_dual_bitop2_b32 v22, 7, v72 bitop3:0x40
	s_mov_b32 s27, exec_lo
	v_cmpx_gt_u32_e32 8, v73
; %bb.855:                              ;   in Loop: Header=BB170_562 Depth=1
	s_delay_alu instid0(VALU_DEP_2) | instskip(NEXT) | instid1(VALU_DEP_1)
	v_clz_i32_u32_e32 v0, v22
	v_min_u32_e32 v0, 32, v0
	s_delay_alu instid0(VALU_DEP_1) | instskip(NEXT) | instid1(VALU_DEP_1)
	v_subrev_nc_u32_e32 v70, 28, v0
	v_lshlrev_b64_e32 v[70:71], v70, v[22:23]
	s_delay_alu instid0(VALU_DEP_1)
	v_dual_sub_nc_u32 v0, 29, v0 :: v_dual_bitop2_b32 v22, 7, v70 bitop3:0x40
; %bb.856:                              ;   in Loop: Header=BB170_562 Depth=1
	s_or_b32 exec_lo, exec_lo, s27
	s_delay_alu instid0(VALU_DEP_1) | instskip(NEXT) | instid1(VALU_DEP_2)
	v_dual_lshlrev_b32 v70, 24, v72 :: v_dual_lshlrev_b32 v22, 20, v22
	v_lshl_add_u32 v0, v0, 23, 0x3c000000
	s_delay_alu instid0(VALU_DEP_2) | instskip(NEXT) | instid1(VALU_DEP_1)
	v_and_b32_e32 v70, 0x80000000, v70
	v_or3_b32 v22, v22, v70, v0
	s_delay_alu instid0(VALU_DEP_1)
	v_mov_b64_e32 v[70:71], v[22:23]
.LBB170_857:                            ;   in Loop: Header=BB170_562 Depth=1
	s_or_b32 exec_lo, exec_lo, s25
.LBB170_858:                            ;   in Loop: Header=BB170_562 Depth=1
	s_delay_alu instid0(SALU_CYCLE_1)
	s_or_b32 exec_lo, exec_lo, s24
.LBB170_859:                            ;   in Loop: Header=BB170_562 Depth=1
	s_delay_alu instid0(SALU_CYCLE_1) | instskip(NEXT) | instid1(SALU_CYCLE_1)
	s_or_b32 exec_lo, exec_lo, s23
	s_mov_b32 s23, exec_lo
	v_cmpx_lt_u32_e32 0xffffff, v1
	s_cbranch_execz .LBB170_867
; %bb.860:                              ;   in Loop: Header=BB170_562 Depth=1
	v_mov_b64_e32 v[68:69], 0x8000000000000000
	v_lshrrev_b32_e32 v0, 24, v1
	s_mov_b32 s24, exec_lo
	s_delay_alu instid0(VALU_DEP_1)
	v_cmpx_ne_u32_e32 0x80, v0
	s_cbranch_execz .LBB170_866
; %bb.861:                              ;   in Loop: Header=BB170_562 Depth=1
	v_mov_b64_e32 v[68:69], 0x7f80000100000000
	v_bfe_u32 v72, v1, 24, 7
	s_mov_b32 s25, exec_lo
	s_delay_alu instid0(VALU_DEP_1)
	v_cmpx_ne_u32_e32 0x7f, v72
	s_cbranch_execz .LBB170_865
; %bb.862:                              ;   in Loop: Header=BB170_562 Depth=1
	v_and_b32_e32 v22, 7, v0
	v_lshrrev_b32_e32 v1, 3, v72
	s_mov_b32 s27, exec_lo
	v_cmpx_gt_u32_e32 8, v72
; %bb.863:                              ;   in Loop: Header=BB170_562 Depth=1
	s_delay_alu instid0(VALU_DEP_3) | instskip(NEXT) | instid1(VALU_DEP_1)
	v_clz_i32_u32_e32 v1, v22
	v_min_u32_e32 v1, 32, v1
	s_delay_alu instid0(VALU_DEP_1) | instskip(NEXT) | instid1(VALU_DEP_1)
	v_subrev_nc_u32_e32 v68, 28, v1
	v_lshlrev_b64_e32 v[68:69], v68, v[22:23]
	s_delay_alu instid0(VALU_DEP_1)
	v_dual_sub_nc_u32 v1, 29, v1 :: v_dual_bitop2_b32 v22, 7, v68 bitop3:0x40
; %bb.864:                              ;   in Loop: Header=BB170_562 Depth=1
	s_or_b32 exec_lo, exec_lo, s27
	s_delay_alu instid0(VALU_DEP_1) | instskip(NEXT) | instid1(VALU_DEP_2)
	v_dual_lshlrev_b32 v0, 24, v0 :: v_dual_lshlrev_b32 v22, 20, v22
	v_lshl_add_u32 v1, v1, 23, 0x3c000000
	v_mov_b32_e32 v68, v23
	s_delay_alu instid0(VALU_DEP_3) | instskip(NEXT) | instid1(VALU_DEP_1)
	v_and_b32_e32 v0, 0x80000000, v0
	v_or3_b32 v69, v22, v0, v1
.LBB170_865:                            ;   in Loop: Header=BB170_562 Depth=1
	s_or_b32 exec_lo, exec_lo, s25
.LBB170_866:                            ;   in Loop: Header=BB170_562 Depth=1
	s_delay_alu instid0(SALU_CYCLE_1)
	s_or_b32 exec_lo, exec_lo, s24
.LBB170_867:                            ;   in Loop: Header=BB170_562 Depth=1
	s_delay_alu instid0(SALU_CYCLE_1)
	s_or_b32 exec_lo, exec_lo, s23
	v_or_b32_e32 v1, v65, v67
	v_or_b32_e32 v0, v64, v66
	v_mov_b64_e32 v[64:65], s[8:9]
	v_or_b32_e32 v69, v69, v71
	v_or_b32_e32 v68, v68, v70
	s_delay_alu instid0(VALU_DEP_3) | instskip(NEXT) | instid1(VALU_DEP_2)
	v_pk_mul_f32 v[66:67], v[64:65], v[0:1]
	v_pk_mul_f32 v[64:65], v[64:65], v[68:69]
	s_and_saveexec_b32 s23, vcc_lo
	s_cbranch_execz .LBB170_869
; %bb.868:                              ;   in Loop: Header=BB170_562 Depth=1
	v_cmp_gt_i32_e64 s0, s35, v51
	s_delay_alu instid0(VALU_DEP_1) | instskip(SKIP_1) | instid1(VALU_DEP_1)
	v_cndmask_b32_e64 v66, 0, v66, s0
	v_cmp_gt_i32_e64 s0, s35, v104
	v_cndmask_b32_e64 v67, 0, v67, s0
	v_cmp_gt_i32_e64 s0, s35, v97
	s_delay_alu instid0(VALU_DEP_1) | instskip(SKIP_1) | instid1(VALU_DEP_1)
	v_cndmask_b32_e64 v64, 0, v64, s0
	v_cmp_gt_i32_e64 s0, s35, v96
	v_cndmask_b32_e64 v65, 0, v65, s0
.LBB170_869:                            ;   in Loop: Header=BB170_562 Depth=1
	s_or_b32 exec_lo, exec_lo, s23
	global_load_b32 v1, v[32:33], off offset:1152
	v_mov_b64_e32 v[68:69], 0
	v_mov_b64_e32 v[70:71], 0
	s_mov_b32 s23, exec_lo
	s_wait_loadcnt 0x0
	v_and_b32_e32 v0, 0xff, v1
	s_delay_alu instid0(VALU_DEP_1)
	v_cmpx_ne_u16_e32 0, v0
	s_cbranch_execz .LBB170_877
; %bb.870:                              ;   in Loop: Header=BB170_562 Depth=1
	v_mov_b64_e32 v[70:71], 0x80000000
	s_mov_b32 s24, exec_lo
	v_cmpx_ne_u16_e32 0x80, v0
	s_cbranch_execz .LBB170_876
; %bb.871:                              ;   in Loop: Header=BB170_562 Depth=1
	v_mov_b64_e32 v[70:71], 0x7f800001
	v_and_b32_e32 v72, 0x7f, v1
	s_mov_b32 s25, exec_lo
	s_delay_alu instid0(VALU_DEP_1)
	v_cmpx_ne_u32_e32 0x7f, v72
	s_cbranch_execz .LBB170_875
; %bb.872:                              ;   in Loop: Header=BB170_562 Depth=1
	v_dual_lshrrev_b32 v0, 3, v72 :: v_dual_bitop2_b32 v22, 7, v1 bitop3:0x40
	s_mov_b32 s27, exec_lo
	v_cmpx_gt_u32_e32 8, v72
; %bb.873:                              ;   in Loop: Header=BB170_562 Depth=1
	s_delay_alu instid0(VALU_DEP_2) | instskip(NEXT) | instid1(VALU_DEP_1)
	v_clz_i32_u32_e32 v0, v22
	v_min_u32_e32 v0, 32, v0
	s_delay_alu instid0(VALU_DEP_1) | instskip(NEXT) | instid1(VALU_DEP_1)
	v_subrev_nc_u32_e32 v70, 28, v0
	v_lshlrev_b64_e32 v[70:71], v70, v[22:23]
	s_delay_alu instid0(VALU_DEP_1)
	v_dual_sub_nc_u32 v0, 29, v0 :: v_dual_bitop2_b32 v22, 7, v70 bitop3:0x40
; %bb.874:                              ;   in Loop: Header=BB170_562 Depth=1
	s_or_b32 exec_lo, exec_lo, s27
	s_delay_alu instid0(VALU_DEP_1) | instskip(NEXT) | instid1(VALU_DEP_2)
	v_dual_lshlrev_b32 v70, 24, v1 :: v_dual_lshlrev_b32 v22, 20, v22
	v_lshl_add_u32 v0, v0, 23, 0x3c000000
	s_delay_alu instid0(VALU_DEP_2) | instskip(NEXT) | instid1(VALU_DEP_1)
	v_and_b32_e32 v70, 0x80000000, v70
	v_or3_b32 v22, v22, v70, v0
	s_delay_alu instid0(VALU_DEP_1)
	v_mov_b64_e32 v[70:71], v[22:23]
.LBB170_875:                            ;   in Loop: Header=BB170_562 Depth=1
	s_or_b32 exec_lo, exec_lo, s25
.LBB170_876:                            ;   in Loop: Header=BB170_562 Depth=1
	s_delay_alu instid0(SALU_CYCLE_1)
	s_or_b32 exec_lo, exec_lo, s24
.LBB170_877:                            ;   in Loop: Header=BB170_562 Depth=1
	s_delay_alu instid0(SALU_CYCLE_1) | instskip(SKIP_2) | instid1(VALU_DEP_1)
	s_or_b32 exec_lo, exec_lo, s23
	v_lshrrev_b16 v0, 8, v1
	s_mov_b32 s23, exec_lo
	v_cmpx_ne_u16_e32 0, v0
	s_cbranch_execz .LBB170_885
; %bb.878:                              ;   in Loop: Header=BB170_562 Depth=1
	v_mov_b64_e32 v[68:69], 0x8000000000000000
	s_mov_b32 s24, exec_lo
	v_cmpx_ne_u16_e32 0x80, v0
	s_cbranch_execz .LBB170_884
; %bb.879:                              ;   in Loop: Header=BB170_562 Depth=1
	v_and_b32_e32 v0, 0xffff, v0
	v_mov_b64_e32 v[68:69], 0x7f80000100000000
	s_mov_b32 s25, exec_lo
	s_delay_alu instid0(VALU_DEP_2) | instskip(NEXT) | instid1(VALU_DEP_1)
	v_and_b32_e32 v72, 0x7f, v0
	v_cmpx_ne_u32_e32 0x7f, v72
	s_cbranch_execz .LBB170_883
; %bb.880:                              ;   in Loop: Header=BB170_562 Depth=1
	v_and_b32_e32 v22, 7, v0
	v_lshrrev_b32_e32 v0, 3, v72
	s_mov_b32 s27, exec_lo
	v_cmpx_gt_u32_e32 8, v72
; %bb.881:                              ;   in Loop: Header=BB170_562 Depth=1
	s_delay_alu instid0(VALU_DEP_3) | instskip(NEXT) | instid1(VALU_DEP_1)
	v_clz_i32_u32_e32 v0, v22
	v_min_u32_e32 v0, 32, v0
	s_delay_alu instid0(VALU_DEP_1) | instskip(SKIP_1) | instid1(VALU_DEP_2)
	v_subrev_nc_u32_e32 v68, 28, v0
	v_sub_nc_u32_e32 v0, 29, v0
	v_lshlrev_b64_e32 v[68:69], v68, v[22:23]
	s_delay_alu instid0(VALU_DEP_1)
	v_and_b32_e32 v22, 7, v68
; %bb.882:                              ;   in Loop: Header=BB170_562 Depth=1
	s_or_b32 exec_lo, exec_lo, s27
	s_delay_alu instid0(VALU_DEP_1) | instskip(SKIP_1) | instid1(VALU_DEP_2)
	v_dual_lshlrev_b32 v68, 16, v1 :: v_dual_lshlrev_b32 v22, 20, v22
	v_lshl_add_u32 v0, v0, 23, 0x3c000000
	v_and_b32_e32 v68, 0x80000000, v68
	s_delay_alu instid0(VALU_DEP_1)
	v_or3_b32 v69, v22, v68, v0
	v_mov_b32_e32 v68, v23
.LBB170_883:                            ;   in Loop: Header=BB170_562 Depth=1
	s_or_b32 exec_lo, exec_lo, s25
.LBB170_884:                            ;   in Loop: Header=BB170_562 Depth=1
	s_delay_alu instid0(SALU_CYCLE_1)
	s_or_b32 exec_lo, exec_lo, s24
.LBB170_885:                            ;   in Loop: Header=BB170_562 Depth=1
	s_delay_alu instid0(SALU_CYCLE_1) | instskip(SKIP_4) | instid1(VALU_DEP_3)
	s_or_b32 exec_lo, exec_lo, s23
	v_lshrrev_b32_e32 v76, 16, v1
	v_mov_b64_e32 v[72:73], 0
	v_mov_b64_e32 v[74:75], 0
	s_mov_b32 s23, exec_lo
	v_and_b32_e32 v0, 0xff, v76
	s_delay_alu instid0(VALU_DEP_1)
	v_cmpx_ne_u16_e32 0, v0
	s_cbranch_execz .LBB170_893
; %bb.886:                              ;   in Loop: Header=BB170_562 Depth=1
	v_mov_b64_e32 v[74:75], 0x80000000
	s_mov_b32 s24, exec_lo
	v_cmpx_ne_u16_e32 0x80, v0
	s_cbranch_execz .LBB170_892
; %bb.887:                              ;   in Loop: Header=BB170_562 Depth=1
	v_mov_b64_e32 v[74:75], 0x7f800001
	v_bfe_u32 v77, v1, 16, 7
	s_mov_b32 s25, exec_lo
	s_delay_alu instid0(VALU_DEP_1)
	v_cmpx_ne_u32_e32 0x7f, v77
	s_cbranch_execz .LBB170_891
; %bb.888:                              ;   in Loop: Header=BB170_562 Depth=1
	v_dual_lshrrev_b32 v0, 3, v77 :: v_dual_bitop2_b32 v22, 7, v76 bitop3:0x40
	s_mov_b32 s27, exec_lo
	v_cmpx_gt_u32_e32 8, v77
; %bb.889:                              ;   in Loop: Header=BB170_562 Depth=1
	s_delay_alu instid0(VALU_DEP_2) | instskip(NEXT) | instid1(VALU_DEP_1)
	v_clz_i32_u32_e32 v0, v22
	v_min_u32_e32 v0, 32, v0
	s_delay_alu instid0(VALU_DEP_1) | instskip(NEXT) | instid1(VALU_DEP_1)
	v_subrev_nc_u32_e32 v74, 28, v0
	v_lshlrev_b64_e32 v[74:75], v74, v[22:23]
	s_delay_alu instid0(VALU_DEP_1)
	v_dual_sub_nc_u32 v0, 29, v0 :: v_dual_bitop2_b32 v22, 7, v74 bitop3:0x40
; %bb.890:                              ;   in Loop: Header=BB170_562 Depth=1
	s_or_b32 exec_lo, exec_lo, s27
	s_delay_alu instid0(VALU_DEP_1) | instskip(NEXT) | instid1(VALU_DEP_2)
	v_dual_lshlrev_b32 v74, 24, v76 :: v_dual_lshlrev_b32 v22, 20, v22
	v_lshl_add_u32 v0, v0, 23, 0x3c000000
	s_delay_alu instid0(VALU_DEP_2) | instskip(NEXT) | instid1(VALU_DEP_1)
	v_and_b32_e32 v74, 0x80000000, v74
	v_or3_b32 v22, v22, v74, v0
	s_delay_alu instid0(VALU_DEP_1)
	v_mov_b64_e32 v[74:75], v[22:23]
.LBB170_891:                            ;   in Loop: Header=BB170_562 Depth=1
	s_or_b32 exec_lo, exec_lo, s25
.LBB170_892:                            ;   in Loop: Header=BB170_562 Depth=1
	s_delay_alu instid0(SALU_CYCLE_1)
	s_or_b32 exec_lo, exec_lo, s24
.LBB170_893:                            ;   in Loop: Header=BB170_562 Depth=1
	s_delay_alu instid0(SALU_CYCLE_1) | instskip(NEXT) | instid1(SALU_CYCLE_1)
	s_or_b32 exec_lo, exec_lo, s23
	s_mov_b32 s23, exec_lo
	v_cmpx_lt_u32_e32 0xffffff, v1
	s_cbranch_execz .LBB170_901
; %bb.894:                              ;   in Loop: Header=BB170_562 Depth=1
	v_mov_b64_e32 v[72:73], 0x8000000000000000
	v_lshrrev_b32_e32 v0, 24, v1
	s_mov_b32 s24, exec_lo
	s_delay_alu instid0(VALU_DEP_1)
	v_cmpx_ne_u32_e32 0x80, v0
	s_cbranch_execz .LBB170_900
; %bb.895:                              ;   in Loop: Header=BB170_562 Depth=1
	v_mov_b64_e32 v[72:73], 0x7f80000100000000
	v_bfe_u32 v76, v1, 24, 7
	s_mov_b32 s25, exec_lo
	s_delay_alu instid0(VALU_DEP_1)
	v_cmpx_ne_u32_e32 0x7f, v76
	s_cbranch_execz .LBB170_899
; %bb.896:                              ;   in Loop: Header=BB170_562 Depth=1
	v_and_b32_e32 v22, 7, v0
	v_lshrrev_b32_e32 v1, 3, v76
	s_mov_b32 s27, exec_lo
	v_cmpx_gt_u32_e32 8, v76
; %bb.897:                              ;   in Loop: Header=BB170_562 Depth=1
	s_delay_alu instid0(VALU_DEP_3) | instskip(NEXT) | instid1(VALU_DEP_1)
	v_clz_i32_u32_e32 v1, v22
	v_min_u32_e32 v1, 32, v1
	s_delay_alu instid0(VALU_DEP_1) | instskip(NEXT) | instid1(VALU_DEP_1)
	v_subrev_nc_u32_e32 v72, 28, v1
	v_lshlrev_b64_e32 v[72:73], v72, v[22:23]
	s_delay_alu instid0(VALU_DEP_1)
	v_dual_sub_nc_u32 v1, 29, v1 :: v_dual_bitop2_b32 v22, 7, v72 bitop3:0x40
; %bb.898:                              ;   in Loop: Header=BB170_562 Depth=1
	s_or_b32 exec_lo, exec_lo, s27
	s_delay_alu instid0(VALU_DEP_1) | instskip(NEXT) | instid1(VALU_DEP_2)
	v_dual_lshlrev_b32 v0, 24, v0 :: v_dual_lshlrev_b32 v22, 20, v22
	v_lshl_add_u32 v1, v1, 23, 0x3c000000
	v_mov_b32_e32 v72, v23
	s_delay_alu instid0(VALU_DEP_3) | instskip(NEXT) | instid1(VALU_DEP_1)
	v_and_b32_e32 v0, 0x80000000, v0
	v_or3_b32 v73, v22, v0, v1
.LBB170_899:                            ;   in Loop: Header=BB170_562 Depth=1
	s_or_b32 exec_lo, exec_lo, s25
.LBB170_900:                            ;   in Loop: Header=BB170_562 Depth=1
	s_delay_alu instid0(SALU_CYCLE_1)
	s_or_b32 exec_lo, exec_lo, s24
.LBB170_901:                            ;   in Loop: Header=BB170_562 Depth=1
	s_delay_alu instid0(SALU_CYCLE_1)
	s_or_b32 exec_lo, exec_lo, s23
	v_or_b32_e32 v1, v69, v71
	v_or_b32_e32 v0, v68, v70
	v_mov_b64_e32 v[68:69], s[8:9]
	v_or_b32_e32 v73, v73, v75
	v_or_b32_e32 v72, v72, v74
	s_delay_alu instid0(VALU_DEP_3) | instskip(NEXT) | instid1(VALU_DEP_2)
	v_pk_mul_f32 v[70:71], v[68:69], v[0:1]
	v_pk_mul_f32 v[68:69], v[68:69], v[72:73]
	s_and_saveexec_b32 s23, vcc_lo
	s_cbranch_execz .LBB170_903
; %bb.902:                              ;   in Loop: Header=BB170_562 Depth=1
	v_cmp_gt_i32_e64 s0, s35, v51
	s_delay_alu instid0(VALU_DEP_1) | instskip(SKIP_1) | instid1(VALU_DEP_1)
	v_cndmask_b32_e64 v70, 0, v70, s0
	v_cmp_gt_i32_e64 s0, s35, v104
	v_cndmask_b32_e64 v71, 0, v71, s0
	v_cmp_gt_i32_e64 s0, s35, v97
	s_delay_alu instid0(VALU_DEP_1) | instskip(SKIP_1) | instid1(VALU_DEP_1)
	v_cndmask_b32_e64 v68, 0, v68, s0
	v_cmp_gt_i32_e64 s0, s35, v96
	v_cndmask_b32_e64 v69, 0, v69, s0
.LBB170_903:                            ;   in Loop: Header=BB170_562 Depth=1
	s_or_b32 exec_lo, exec_lo, s23
	global_load_b32 v1, v[32:33], off offset:1280
	v_mov_b64_e32 v[72:73], 0
	v_mov_b64_e32 v[74:75], 0
	s_mov_b32 s23, exec_lo
	s_wait_loadcnt 0x0
	v_and_b32_e32 v0, 0xff, v1
	s_delay_alu instid0(VALU_DEP_1)
	v_cmpx_ne_u16_e32 0, v0
	s_cbranch_execz .LBB170_911
; %bb.904:                              ;   in Loop: Header=BB170_562 Depth=1
	v_mov_b64_e32 v[74:75], 0x80000000
	s_mov_b32 s24, exec_lo
	v_cmpx_ne_u16_e32 0x80, v0
	s_cbranch_execz .LBB170_910
; %bb.905:                              ;   in Loop: Header=BB170_562 Depth=1
	v_mov_b64_e32 v[74:75], 0x7f800001
	v_and_b32_e32 v76, 0x7f, v1
	s_mov_b32 s25, exec_lo
	s_delay_alu instid0(VALU_DEP_1)
	v_cmpx_ne_u32_e32 0x7f, v76
	s_cbranch_execz .LBB170_909
; %bb.906:                              ;   in Loop: Header=BB170_562 Depth=1
	v_dual_lshrrev_b32 v0, 3, v76 :: v_dual_bitop2_b32 v22, 7, v1 bitop3:0x40
	s_mov_b32 s27, exec_lo
	v_cmpx_gt_u32_e32 8, v76
; %bb.907:                              ;   in Loop: Header=BB170_562 Depth=1
	s_delay_alu instid0(VALU_DEP_2) | instskip(NEXT) | instid1(VALU_DEP_1)
	v_clz_i32_u32_e32 v0, v22
	v_min_u32_e32 v0, 32, v0
	s_delay_alu instid0(VALU_DEP_1) | instskip(NEXT) | instid1(VALU_DEP_1)
	v_subrev_nc_u32_e32 v74, 28, v0
	v_lshlrev_b64_e32 v[74:75], v74, v[22:23]
	s_delay_alu instid0(VALU_DEP_1)
	v_dual_sub_nc_u32 v0, 29, v0 :: v_dual_bitop2_b32 v22, 7, v74 bitop3:0x40
; %bb.908:                              ;   in Loop: Header=BB170_562 Depth=1
	s_or_b32 exec_lo, exec_lo, s27
	s_delay_alu instid0(VALU_DEP_1) | instskip(NEXT) | instid1(VALU_DEP_2)
	v_dual_lshlrev_b32 v74, 24, v1 :: v_dual_lshlrev_b32 v22, 20, v22
	v_lshl_add_u32 v0, v0, 23, 0x3c000000
	s_delay_alu instid0(VALU_DEP_2) | instskip(NEXT) | instid1(VALU_DEP_1)
	v_and_b32_e32 v74, 0x80000000, v74
	v_or3_b32 v22, v22, v74, v0
	s_delay_alu instid0(VALU_DEP_1)
	v_mov_b64_e32 v[74:75], v[22:23]
.LBB170_909:                            ;   in Loop: Header=BB170_562 Depth=1
	s_or_b32 exec_lo, exec_lo, s25
.LBB170_910:                            ;   in Loop: Header=BB170_562 Depth=1
	s_delay_alu instid0(SALU_CYCLE_1)
	s_or_b32 exec_lo, exec_lo, s24
.LBB170_911:                            ;   in Loop: Header=BB170_562 Depth=1
	s_delay_alu instid0(SALU_CYCLE_1) | instskip(SKIP_2) | instid1(VALU_DEP_1)
	s_or_b32 exec_lo, exec_lo, s23
	v_lshrrev_b16 v0, 8, v1
	s_mov_b32 s23, exec_lo
	v_cmpx_ne_u16_e32 0, v0
	s_cbranch_execz .LBB170_919
; %bb.912:                              ;   in Loop: Header=BB170_562 Depth=1
	v_mov_b64_e32 v[72:73], 0x8000000000000000
	s_mov_b32 s24, exec_lo
	v_cmpx_ne_u16_e32 0x80, v0
	s_cbranch_execz .LBB170_918
; %bb.913:                              ;   in Loop: Header=BB170_562 Depth=1
	v_and_b32_e32 v0, 0xffff, v0
	v_mov_b64_e32 v[72:73], 0x7f80000100000000
	s_mov_b32 s25, exec_lo
	s_delay_alu instid0(VALU_DEP_2) | instskip(NEXT) | instid1(VALU_DEP_1)
	v_and_b32_e32 v76, 0x7f, v0
	v_cmpx_ne_u32_e32 0x7f, v76
	s_cbranch_execz .LBB170_917
; %bb.914:                              ;   in Loop: Header=BB170_562 Depth=1
	v_and_b32_e32 v22, 7, v0
	v_lshrrev_b32_e32 v0, 3, v76
	s_mov_b32 s27, exec_lo
	v_cmpx_gt_u32_e32 8, v76
; %bb.915:                              ;   in Loop: Header=BB170_562 Depth=1
	s_delay_alu instid0(VALU_DEP_3) | instskip(NEXT) | instid1(VALU_DEP_1)
	v_clz_i32_u32_e32 v0, v22
	v_min_u32_e32 v0, 32, v0
	s_delay_alu instid0(VALU_DEP_1) | instskip(SKIP_1) | instid1(VALU_DEP_2)
	v_subrev_nc_u32_e32 v72, 28, v0
	v_sub_nc_u32_e32 v0, 29, v0
	v_lshlrev_b64_e32 v[72:73], v72, v[22:23]
	s_delay_alu instid0(VALU_DEP_1)
	v_and_b32_e32 v22, 7, v72
; %bb.916:                              ;   in Loop: Header=BB170_562 Depth=1
	s_or_b32 exec_lo, exec_lo, s27
	s_delay_alu instid0(VALU_DEP_1) | instskip(SKIP_1) | instid1(VALU_DEP_2)
	v_dual_lshlrev_b32 v72, 16, v1 :: v_dual_lshlrev_b32 v22, 20, v22
	v_lshl_add_u32 v0, v0, 23, 0x3c000000
	v_and_b32_e32 v72, 0x80000000, v72
	s_delay_alu instid0(VALU_DEP_1)
	v_or3_b32 v73, v22, v72, v0
	v_mov_b32_e32 v72, v23
.LBB170_917:                            ;   in Loop: Header=BB170_562 Depth=1
	s_or_b32 exec_lo, exec_lo, s25
.LBB170_918:                            ;   in Loop: Header=BB170_562 Depth=1
	s_delay_alu instid0(SALU_CYCLE_1)
	s_or_b32 exec_lo, exec_lo, s24
.LBB170_919:                            ;   in Loop: Header=BB170_562 Depth=1
	s_delay_alu instid0(SALU_CYCLE_1) | instskip(SKIP_4) | instid1(VALU_DEP_3)
	s_or_b32 exec_lo, exec_lo, s23
	v_lshrrev_b32_e32 v80, 16, v1
	v_mov_b64_e32 v[76:77], 0
	v_mov_b64_e32 v[78:79], 0
	s_mov_b32 s23, exec_lo
	v_and_b32_e32 v0, 0xff, v80
	s_delay_alu instid0(VALU_DEP_1)
	v_cmpx_ne_u16_e32 0, v0
	s_cbranch_execz .LBB170_927
; %bb.920:                              ;   in Loop: Header=BB170_562 Depth=1
	v_mov_b64_e32 v[78:79], 0x80000000
	s_mov_b32 s24, exec_lo
	v_cmpx_ne_u16_e32 0x80, v0
	s_cbranch_execz .LBB170_926
; %bb.921:                              ;   in Loop: Header=BB170_562 Depth=1
	v_mov_b64_e32 v[78:79], 0x7f800001
	v_bfe_u32 v81, v1, 16, 7
	s_mov_b32 s25, exec_lo
	s_delay_alu instid0(VALU_DEP_1)
	v_cmpx_ne_u32_e32 0x7f, v81
	s_cbranch_execz .LBB170_925
; %bb.922:                              ;   in Loop: Header=BB170_562 Depth=1
	v_dual_lshrrev_b32 v0, 3, v81 :: v_dual_bitop2_b32 v22, 7, v80 bitop3:0x40
	s_mov_b32 s27, exec_lo
	v_cmpx_gt_u32_e32 8, v81
; %bb.923:                              ;   in Loop: Header=BB170_562 Depth=1
	s_delay_alu instid0(VALU_DEP_2) | instskip(NEXT) | instid1(VALU_DEP_1)
	v_clz_i32_u32_e32 v0, v22
	v_min_u32_e32 v0, 32, v0
	s_delay_alu instid0(VALU_DEP_1) | instskip(NEXT) | instid1(VALU_DEP_1)
	v_subrev_nc_u32_e32 v78, 28, v0
	v_lshlrev_b64_e32 v[78:79], v78, v[22:23]
	s_delay_alu instid0(VALU_DEP_1)
	v_dual_sub_nc_u32 v0, 29, v0 :: v_dual_bitop2_b32 v22, 7, v78 bitop3:0x40
; %bb.924:                              ;   in Loop: Header=BB170_562 Depth=1
	s_or_b32 exec_lo, exec_lo, s27
	s_delay_alu instid0(VALU_DEP_1) | instskip(NEXT) | instid1(VALU_DEP_2)
	v_dual_lshlrev_b32 v78, 24, v80 :: v_dual_lshlrev_b32 v22, 20, v22
	v_lshl_add_u32 v0, v0, 23, 0x3c000000
	s_delay_alu instid0(VALU_DEP_2) | instskip(NEXT) | instid1(VALU_DEP_1)
	v_and_b32_e32 v78, 0x80000000, v78
	v_or3_b32 v22, v22, v78, v0
	s_delay_alu instid0(VALU_DEP_1)
	v_mov_b64_e32 v[78:79], v[22:23]
.LBB170_925:                            ;   in Loop: Header=BB170_562 Depth=1
	s_or_b32 exec_lo, exec_lo, s25
.LBB170_926:                            ;   in Loop: Header=BB170_562 Depth=1
	s_delay_alu instid0(SALU_CYCLE_1)
	s_or_b32 exec_lo, exec_lo, s24
.LBB170_927:                            ;   in Loop: Header=BB170_562 Depth=1
	s_delay_alu instid0(SALU_CYCLE_1) | instskip(NEXT) | instid1(SALU_CYCLE_1)
	s_or_b32 exec_lo, exec_lo, s23
	s_mov_b32 s23, exec_lo
	v_cmpx_lt_u32_e32 0xffffff, v1
	s_cbranch_execz .LBB170_935
; %bb.928:                              ;   in Loop: Header=BB170_562 Depth=1
	v_mov_b64_e32 v[76:77], 0x8000000000000000
	v_lshrrev_b32_e32 v0, 24, v1
	s_mov_b32 s24, exec_lo
	s_delay_alu instid0(VALU_DEP_1)
	v_cmpx_ne_u32_e32 0x80, v0
	s_cbranch_execz .LBB170_934
; %bb.929:                              ;   in Loop: Header=BB170_562 Depth=1
	v_mov_b64_e32 v[76:77], 0x7f80000100000000
	v_bfe_u32 v80, v1, 24, 7
	s_mov_b32 s25, exec_lo
	s_delay_alu instid0(VALU_DEP_1)
	v_cmpx_ne_u32_e32 0x7f, v80
	s_cbranch_execz .LBB170_933
; %bb.930:                              ;   in Loop: Header=BB170_562 Depth=1
	v_and_b32_e32 v22, 7, v0
	v_lshrrev_b32_e32 v1, 3, v80
	s_mov_b32 s27, exec_lo
	v_cmpx_gt_u32_e32 8, v80
; %bb.931:                              ;   in Loop: Header=BB170_562 Depth=1
	s_delay_alu instid0(VALU_DEP_3) | instskip(NEXT) | instid1(VALU_DEP_1)
	v_clz_i32_u32_e32 v1, v22
	v_min_u32_e32 v1, 32, v1
	s_delay_alu instid0(VALU_DEP_1) | instskip(NEXT) | instid1(VALU_DEP_1)
	v_subrev_nc_u32_e32 v76, 28, v1
	v_lshlrev_b64_e32 v[76:77], v76, v[22:23]
	s_delay_alu instid0(VALU_DEP_1)
	v_dual_sub_nc_u32 v1, 29, v1 :: v_dual_bitop2_b32 v22, 7, v76 bitop3:0x40
; %bb.932:                              ;   in Loop: Header=BB170_562 Depth=1
	s_or_b32 exec_lo, exec_lo, s27
	s_delay_alu instid0(VALU_DEP_1) | instskip(NEXT) | instid1(VALU_DEP_2)
	v_dual_lshlrev_b32 v0, 24, v0 :: v_dual_lshlrev_b32 v22, 20, v22
	v_lshl_add_u32 v1, v1, 23, 0x3c000000
	v_mov_b32_e32 v76, v23
	s_delay_alu instid0(VALU_DEP_3) | instskip(NEXT) | instid1(VALU_DEP_1)
	v_and_b32_e32 v0, 0x80000000, v0
	v_or3_b32 v77, v22, v0, v1
.LBB170_933:                            ;   in Loop: Header=BB170_562 Depth=1
	s_or_b32 exec_lo, exec_lo, s25
.LBB170_934:                            ;   in Loop: Header=BB170_562 Depth=1
	s_delay_alu instid0(SALU_CYCLE_1)
	s_or_b32 exec_lo, exec_lo, s24
.LBB170_935:                            ;   in Loop: Header=BB170_562 Depth=1
	s_delay_alu instid0(SALU_CYCLE_1)
	s_or_b32 exec_lo, exec_lo, s23
	v_or_b32_e32 v1, v73, v75
	v_or_b32_e32 v0, v72, v74
	v_mov_b64_e32 v[72:73], s[8:9]
	v_or_b32_e32 v77, v77, v79
	v_or_b32_e32 v76, v76, v78
	s_delay_alu instid0(VALU_DEP_3) | instskip(NEXT) | instid1(VALU_DEP_2)
	v_pk_mul_f32 v[74:75], v[72:73], v[0:1]
	v_pk_mul_f32 v[72:73], v[72:73], v[76:77]
	s_and_saveexec_b32 s23, vcc_lo
	s_cbranch_execz .LBB170_937
; %bb.936:                              ;   in Loop: Header=BB170_562 Depth=1
	v_cmp_gt_i32_e64 s0, s35, v51
	s_delay_alu instid0(VALU_DEP_1) | instskip(SKIP_1) | instid1(VALU_DEP_1)
	v_cndmask_b32_e64 v74, 0, v74, s0
	v_cmp_gt_i32_e64 s0, s35, v104
	v_cndmask_b32_e64 v75, 0, v75, s0
	v_cmp_gt_i32_e64 s0, s35, v97
	s_delay_alu instid0(VALU_DEP_1) | instskip(SKIP_1) | instid1(VALU_DEP_1)
	v_cndmask_b32_e64 v72, 0, v72, s0
	v_cmp_gt_i32_e64 s0, s35, v96
	v_cndmask_b32_e64 v73, 0, v73, s0
.LBB170_937:                            ;   in Loop: Header=BB170_562 Depth=1
	s_or_b32 exec_lo, exec_lo, s23
	global_load_b32 v1, v[32:33], off offset:1408
	v_mov_b64_e32 v[76:77], 0
	v_mov_b64_e32 v[78:79], 0
	s_mov_b32 s23, exec_lo
	s_wait_loadcnt 0x0
	v_and_b32_e32 v0, 0xff, v1
	s_delay_alu instid0(VALU_DEP_1)
	v_cmpx_ne_u16_e32 0, v0
	s_cbranch_execz .LBB170_945
; %bb.938:                              ;   in Loop: Header=BB170_562 Depth=1
	v_mov_b64_e32 v[78:79], 0x80000000
	s_mov_b32 s24, exec_lo
	v_cmpx_ne_u16_e32 0x80, v0
	s_cbranch_execz .LBB170_944
; %bb.939:                              ;   in Loop: Header=BB170_562 Depth=1
	v_mov_b64_e32 v[78:79], 0x7f800001
	v_and_b32_e32 v80, 0x7f, v1
	s_mov_b32 s25, exec_lo
	s_delay_alu instid0(VALU_DEP_1)
	v_cmpx_ne_u32_e32 0x7f, v80
	s_cbranch_execz .LBB170_943
; %bb.940:                              ;   in Loop: Header=BB170_562 Depth=1
	v_dual_lshrrev_b32 v0, 3, v80 :: v_dual_bitop2_b32 v22, 7, v1 bitop3:0x40
	s_mov_b32 s27, exec_lo
	v_cmpx_gt_u32_e32 8, v80
; %bb.941:                              ;   in Loop: Header=BB170_562 Depth=1
	s_delay_alu instid0(VALU_DEP_2) | instskip(NEXT) | instid1(VALU_DEP_1)
	v_clz_i32_u32_e32 v0, v22
	v_min_u32_e32 v0, 32, v0
	s_delay_alu instid0(VALU_DEP_1) | instskip(NEXT) | instid1(VALU_DEP_1)
	v_subrev_nc_u32_e32 v78, 28, v0
	v_lshlrev_b64_e32 v[78:79], v78, v[22:23]
	s_delay_alu instid0(VALU_DEP_1)
	v_dual_sub_nc_u32 v0, 29, v0 :: v_dual_bitop2_b32 v22, 7, v78 bitop3:0x40
; %bb.942:                              ;   in Loop: Header=BB170_562 Depth=1
	s_or_b32 exec_lo, exec_lo, s27
	s_delay_alu instid0(VALU_DEP_1) | instskip(NEXT) | instid1(VALU_DEP_2)
	v_dual_lshlrev_b32 v78, 24, v1 :: v_dual_lshlrev_b32 v22, 20, v22
	v_lshl_add_u32 v0, v0, 23, 0x3c000000
	s_delay_alu instid0(VALU_DEP_2) | instskip(NEXT) | instid1(VALU_DEP_1)
	v_and_b32_e32 v78, 0x80000000, v78
	v_or3_b32 v22, v22, v78, v0
	s_delay_alu instid0(VALU_DEP_1)
	v_mov_b64_e32 v[78:79], v[22:23]
.LBB170_943:                            ;   in Loop: Header=BB170_562 Depth=1
	s_or_b32 exec_lo, exec_lo, s25
.LBB170_944:                            ;   in Loop: Header=BB170_562 Depth=1
	s_delay_alu instid0(SALU_CYCLE_1)
	s_or_b32 exec_lo, exec_lo, s24
.LBB170_945:                            ;   in Loop: Header=BB170_562 Depth=1
	s_delay_alu instid0(SALU_CYCLE_1) | instskip(SKIP_2) | instid1(VALU_DEP_1)
	s_or_b32 exec_lo, exec_lo, s23
	v_lshrrev_b16 v0, 8, v1
	s_mov_b32 s23, exec_lo
	v_cmpx_ne_u16_e32 0, v0
	s_cbranch_execz .LBB170_953
; %bb.946:                              ;   in Loop: Header=BB170_562 Depth=1
	v_mov_b64_e32 v[76:77], 0x8000000000000000
	s_mov_b32 s24, exec_lo
	v_cmpx_ne_u16_e32 0x80, v0
	s_cbranch_execz .LBB170_952
; %bb.947:                              ;   in Loop: Header=BB170_562 Depth=1
	v_and_b32_e32 v0, 0xffff, v0
	v_mov_b64_e32 v[76:77], 0x7f80000100000000
	s_mov_b32 s25, exec_lo
	s_delay_alu instid0(VALU_DEP_2) | instskip(NEXT) | instid1(VALU_DEP_1)
	v_and_b32_e32 v80, 0x7f, v0
	v_cmpx_ne_u32_e32 0x7f, v80
	s_cbranch_execz .LBB170_951
; %bb.948:                              ;   in Loop: Header=BB170_562 Depth=1
	v_and_b32_e32 v22, 7, v0
	v_lshrrev_b32_e32 v0, 3, v80
	s_mov_b32 s27, exec_lo
	v_cmpx_gt_u32_e32 8, v80
; %bb.949:                              ;   in Loop: Header=BB170_562 Depth=1
	s_delay_alu instid0(VALU_DEP_3) | instskip(NEXT) | instid1(VALU_DEP_1)
	v_clz_i32_u32_e32 v0, v22
	v_min_u32_e32 v0, 32, v0
	s_delay_alu instid0(VALU_DEP_1) | instskip(SKIP_1) | instid1(VALU_DEP_2)
	v_subrev_nc_u32_e32 v76, 28, v0
	v_sub_nc_u32_e32 v0, 29, v0
	v_lshlrev_b64_e32 v[76:77], v76, v[22:23]
	s_delay_alu instid0(VALU_DEP_1)
	v_and_b32_e32 v22, 7, v76
; %bb.950:                              ;   in Loop: Header=BB170_562 Depth=1
	s_or_b32 exec_lo, exec_lo, s27
	s_delay_alu instid0(VALU_DEP_1) | instskip(SKIP_1) | instid1(VALU_DEP_2)
	v_dual_lshlrev_b32 v76, 16, v1 :: v_dual_lshlrev_b32 v22, 20, v22
	v_lshl_add_u32 v0, v0, 23, 0x3c000000
	v_and_b32_e32 v76, 0x80000000, v76
	s_delay_alu instid0(VALU_DEP_1)
	v_or3_b32 v77, v22, v76, v0
	v_mov_b32_e32 v76, v23
.LBB170_951:                            ;   in Loop: Header=BB170_562 Depth=1
	s_or_b32 exec_lo, exec_lo, s25
.LBB170_952:                            ;   in Loop: Header=BB170_562 Depth=1
	s_delay_alu instid0(SALU_CYCLE_1)
	s_or_b32 exec_lo, exec_lo, s24
.LBB170_953:                            ;   in Loop: Header=BB170_562 Depth=1
	s_delay_alu instid0(SALU_CYCLE_1) | instskip(SKIP_4) | instid1(VALU_DEP_3)
	s_or_b32 exec_lo, exec_lo, s23
	v_lshrrev_b32_e32 v84, 16, v1
	v_mov_b64_e32 v[80:81], 0
	v_mov_b64_e32 v[82:83], 0
	s_mov_b32 s23, exec_lo
	v_and_b32_e32 v0, 0xff, v84
	s_delay_alu instid0(VALU_DEP_1)
	v_cmpx_ne_u16_e32 0, v0
	s_cbranch_execz .LBB170_961
; %bb.954:                              ;   in Loop: Header=BB170_562 Depth=1
	v_mov_b64_e32 v[82:83], 0x80000000
	s_mov_b32 s24, exec_lo
	v_cmpx_ne_u16_e32 0x80, v0
	s_cbranch_execz .LBB170_960
; %bb.955:                              ;   in Loop: Header=BB170_562 Depth=1
	v_mov_b64_e32 v[82:83], 0x7f800001
	v_bfe_u32 v85, v1, 16, 7
	s_mov_b32 s25, exec_lo
	s_delay_alu instid0(VALU_DEP_1)
	v_cmpx_ne_u32_e32 0x7f, v85
	s_cbranch_execz .LBB170_959
; %bb.956:                              ;   in Loop: Header=BB170_562 Depth=1
	v_dual_lshrrev_b32 v0, 3, v85 :: v_dual_bitop2_b32 v22, 7, v84 bitop3:0x40
	s_mov_b32 s27, exec_lo
	v_cmpx_gt_u32_e32 8, v85
; %bb.957:                              ;   in Loop: Header=BB170_562 Depth=1
	s_delay_alu instid0(VALU_DEP_2) | instskip(NEXT) | instid1(VALU_DEP_1)
	v_clz_i32_u32_e32 v0, v22
	v_min_u32_e32 v0, 32, v0
	s_delay_alu instid0(VALU_DEP_1) | instskip(NEXT) | instid1(VALU_DEP_1)
	v_subrev_nc_u32_e32 v82, 28, v0
	v_lshlrev_b64_e32 v[82:83], v82, v[22:23]
	s_delay_alu instid0(VALU_DEP_1)
	v_dual_sub_nc_u32 v0, 29, v0 :: v_dual_bitop2_b32 v22, 7, v82 bitop3:0x40
; %bb.958:                              ;   in Loop: Header=BB170_562 Depth=1
	s_or_b32 exec_lo, exec_lo, s27
	s_delay_alu instid0(VALU_DEP_1) | instskip(NEXT) | instid1(VALU_DEP_2)
	v_dual_lshlrev_b32 v82, 24, v84 :: v_dual_lshlrev_b32 v22, 20, v22
	v_lshl_add_u32 v0, v0, 23, 0x3c000000
	s_delay_alu instid0(VALU_DEP_2) | instskip(NEXT) | instid1(VALU_DEP_1)
	v_and_b32_e32 v82, 0x80000000, v82
	v_or3_b32 v22, v22, v82, v0
	s_delay_alu instid0(VALU_DEP_1)
	v_mov_b64_e32 v[82:83], v[22:23]
.LBB170_959:                            ;   in Loop: Header=BB170_562 Depth=1
	s_or_b32 exec_lo, exec_lo, s25
.LBB170_960:                            ;   in Loop: Header=BB170_562 Depth=1
	s_delay_alu instid0(SALU_CYCLE_1)
	s_or_b32 exec_lo, exec_lo, s24
.LBB170_961:                            ;   in Loop: Header=BB170_562 Depth=1
	s_delay_alu instid0(SALU_CYCLE_1) | instskip(NEXT) | instid1(SALU_CYCLE_1)
	s_or_b32 exec_lo, exec_lo, s23
	s_mov_b32 s23, exec_lo
	v_cmpx_lt_u32_e32 0xffffff, v1
	s_cbranch_execz .LBB170_969
; %bb.962:                              ;   in Loop: Header=BB170_562 Depth=1
	v_mov_b64_e32 v[80:81], 0x8000000000000000
	v_lshrrev_b32_e32 v0, 24, v1
	s_mov_b32 s24, exec_lo
	s_delay_alu instid0(VALU_DEP_1)
	v_cmpx_ne_u32_e32 0x80, v0
	s_cbranch_execz .LBB170_968
; %bb.963:                              ;   in Loop: Header=BB170_562 Depth=1
	v_mov_b64_e32 v[80:81], 0x7f80000100000000
	v_bfe_u32 v84, v1, 24, 7
	s_mov_b32 s25, exec_lo
	s_delay_alu instid0(VALU_DEP_1)
	v_cmpx_ne_u32_e32 0x7f, v84
	s_cbranch_execz .LBB170_967
; %bb.964:                              ;   in Loop: Header=BB170_562 Depth=1
	v_and_b32_e32 v22, 7, v0
	v_lshrrev_b32_e32 v1, 3, v84
	s_mov_b32 s27, exec_lo
	v_cmpx_gt_u32_e32 8, v84
; %bb.965:                              ;   in Loop: Header=BB170_562 Depth=1
	s_delay_alu instid0(VALU_DEP_3) | instskip(NEXT) | instid1(VALU_DEP_1)
	v_clz_i32_u32_e32 v1, v22
	v_min_u32_e32 v1, 32, v1
	s_delay_alu instid0(VALU_DEP_1) | instskip(NEXT) | instid1(VALU_DEP_1)
	v_subrev_nc_u32_e32 v80, 28, v1
	v_lshlrev_b64_e32 v[80:81], v80, v[22:23]
	s_delay_alu instid0(VALU_DEP_1)
	v_dual_sub_nc_u32 v1, 29, v1 :: v_dual_bitop2_b32 v22, 7, v80 bitop3:0x40
; %bb.966:                              ;   in Loop: Header=BB170_562 Depth=1
	s_or_b32 exec_lo, exec_lo, s27
	s_delay_alu instid0(VALU_DEP_1) | instskip(NEXT) | instid1(VALU_DEP_2)
	v_dual_lshlrev_b32 v0, 24, v0 :: v_dual_lshlrev_b32 v22, 20, v22
	v_lshl_add_u32 v1, v1, 23, 0x3c000000
	v_mov_b32_e32 v80, v23
	s_delay_alu instid0(VALU_DEP_3) | instskip(NEXT) | instid1(VALU_DEP_1)
	v_and_b32_e32 v0, 0x80000000, v0
	v_or3_b32 v81, v22, v0, v1
.LBB170_967:                            ;   in Loop: Header=BB170_562 Depth=1
	s_or_b32 exec_lo, exec_lo, s25
.LBB170_968:                            ;   in Loop: Header=BB170_562 Depth=1
	s_delay_alu instid0(SALU_CYCLE_1)
	s_or_b32 exec_lo, exec_lo, s24
.LBB170_969:                            ;   in Loop: Header=BB170_562 Depth=1
	s_delay_alu instid0(SALU_CYCLE_1)
	s_or_b32 exec_lo, exec_lo, s23
	v_or_b32_e32 v1, v77, v79
	v_or_b32_e32 v0, v76, v78
	v_mov_b64_e32 v[76:77], s[8:9]
	v_or_b32_e32 v81, v81, v83
	v_or_b32_e32 v80, v80, v82
	s_delay_alu instid0(VALU_DEP_3) | instskip(NEXT) | instid1(VALU_DEP_2)
	v_pk_mul_f32 v[78:79], v[76:77], v[0:1]
	v_pk_mul_f32 v[76:77], v[76:77], v[80:81]
	s_and_saveexec_b32 s23, vcc_lo
	s_cbranch_execz .LBB170_971
; %bb.970:                              ;   in Loop: Header=BB170_562 Depth=1
	v_cmp_gt_i32_e64 s0, s35, v51
	s_delay_alu instid0(VALU_DEP_1) | instskip(SKIP_1) | instid1(VALU_DEP_1)
	v_cndmask_b32_e64 v78, 0, v78, s0
	v_cmp_gt_i32_e64 s0, s35, v104
	v_cndmask_b32_e64 v79, 0, v79, s0
	v_cmp_gt_i32_e64 s0, s35, v97
	s_delay_alu instid0(VALU_DEP_1) | instskip(SKIP_1) | instid1(VALU_DEP_1)
	v_cndmask_b32_e64 v76, 0, v76, s0
	v_cmp_gt_i32_e64 s0, s35, v96
	v_cndmask_b32_e64 v77, 0, v77, s0
.LBB170_971:                            ;   in Loop: Header=BB170_562 Depth=1
	s_or_b32 exec_lo, exec_lo, s23
	global_load_b32 v1, v[32:33], off offset:1536
	v_mov_b64_e32 v[80:81], 0
	v_mov_b64_e32 v[82:83], 0
	s_mov_b32 s23, exec_lo
	s_wait_loadcnt 0x0
	v_and_b32_e32 v0, 0xff, v1
	s_delay_alu instid0(VALU_DEP_1)
	v_cmpx_ne_u16_e32 0, v0
	s_cbranch_execz .LBB170_979
; %bb.972:                              ;   in Loop: Header=BB170_562 Depth=1
	v_mov_b64_e32 v[82:83], 0x80000000
	s_mov_b32 s24, exec_lo
	v_cmpx_ne_u16_e32 0x80, v0
	s_cbranch_execz .LBB170_978
; %bb.973:                              ;   in Loop: Header=BB170_562 Depth=1
	v_mov_b64_e32 v[82:83], 0x7f800001
	v_and_b32_e32 v84, 0x7f, v1
	s_mov_b32 s25, exec_lo
	s_delay_alu instid0(VALU_DEP_1)
	v_cmpx_ne_u32_e32 0x7f, v84
	s_cbranch_execz .LBB170_977
; %bb.974:                              ;   in Loop: Header=BB170_562 Depth=1
	v_dual_lshrrev_b32 v0, 3, v84 :: v_dual_bitop2_b32 v22, 7, v1 bitop3:0x40
	s_mov_b32 s27, exec_lo
	v_cmpx_gt_u32_e32 8, v84
; %bb.975:                              ;   in Loop: Header=BB170_562 Depth=1
	s_delay_alu instid0(VALU_DEP_2) | instskip(NEXT) | instid1(VALU_DEP_1)
	v_clz_i32_u32_e32 v0, v22
	v_min_u32_e32 v0, 32, v0
	s_delay_alu instid0(VALU_DEP_1) | instskip(NEXT) | instid1(VALU_DEP_1)
	v_subrev_nc_u32_e32 v82, 28, v0
	v_lshlrev_b64_e32 v[82:83], v82, v[22:23]
	s_delay_alu instid0(VALU_DEP_1)
	v_dual_sub_nc_u32 v0, 29, v0 :: v_dual_bitop2_b32 v22, 7, v82 bitop3:0x40
; %bb.976:                              ;   in Loop: Header=BB170_562 Depth=1
	s_or_b32 exec_lo, exec_lo, s27
	s_delay_alu instid0(VALU_DEP_1) | instskip(NEXT) | instid1(VALU_DEP_2)
	v_dual_lshlrev_b32 v82, 24, v1 :: v_dual_lshlrev_b32 v22, 20, v22
	v_lshl_add_u32 v0, v0, 23, 0x3c000000
	s_delay_alu instid0(VALU_DEP_2) | instskip(NEXT) | instid1(VALU_DEP_1)
	v_and_b32_e32 v82, 0x80000000, v82
	v_or3_b32 v22, v22, v82, v0
	s_delay_alu instid0(VALU_DEP_1)
	v_mov_b64_e32 v[82:83], v[22:23]
.LBB170_977:                            ;   in Loop: Header=BB170_562 Depth=1
	s_or_b32 exec_lo, exec_lo, s25
.LBB170_978:                            ;   in Loop: Header=BB170_562 Depth=1
	s_delay_alu instid0(SALU_CYCLE_1)
	s_or_b32 exec_lo, exec_lo, s24
.LBB170_979:                            ;   in Loop: Header=BB170_562 Depth=1
	s_delay_alu instid0(SALU_CYCLE_1) | instskip(SKIP_2) | instid1(VALU_DEP_1)
	s_or_b32 exec_lo, exec_lo, s23
	v_lshrrev_b16 v0, 8, v1
	s_mov_b32 s23, exec_lo
	v_cmpx_ne_u16_e32 0, v0
	s_cbranch_execz .LBB170_987
; %bb.980:                              ;   in Loop: Header=BB170_562 Depth=1
	v_mov_b64_e32 v[80:81], 0x8000000000000000
	s_mov_b32 s24, exec_lo
	v_cmpx_ne_u16_e32 0x80, v0
	s_cbranch_execz .LBB170_986
; %bb.981:                              ;   in Loop: Header=BB170_562 Depth=1
	v_and_b32_e32 v0, 0xffff, v0
	v_mov_b64_e32 v[80:81], 0x7f80000100000000
	s_mov_b32 s25, exec_lo
	s_delay_alu instid0(VALU_DEP_2) | instskip(NEXT) | instid1(VALU_DEP_1)
	v_and_b32_e32 v84, 0x7f, v0
	v_cmpx_ne_u32_e32 0x7f, v84
	s_cbranch_execz .LBB170_985
; %bb.982:                              ;   in Loop: Header=BB170_562 Depth=1
	v_and_b32_e32 v22, 7, v0
	v_lshrrev_b32_e32 v0, 3, v84
	s_mov_b32 s27, exec_lo
	v_cmpx_gt_u32_e32 8, v84
; %bb.983:                              ;   in Loop: Header=BB170_562 Depth=1
	s_delay_alu instid0(VALU_DEP_3) | instskip(NEXT) | instid1(VALU_DEP_1)
	v_clz_i32_u32_e32 v0, v22
	v_min_u32_e32 v0, 32, v0
	s_delay_alu instid0(VALU_DEP_1) | instskip(SKIP_1) | instid1(VALU_DEP_2)
	v_subrev_nc_u32_e32 v80, 28, v0
	v_sub_nc_u32_e32 v0, 29, v0
	v_lshlrev_b64_e32 v[80:81], v80, v[22:23]
	s_delay_alu instid0(VALU_DEP_1)
	v_and_b32_e32 v22, 7, v80
; %bb.984:                              ;   in Loop: Header=BB170_562 Depth=1
	s_or_b32 exec_lo, exec_lo, s27
	s_delay_alu instid0(VALU_DEP_1) | instskip(SKIP_1) | instid1(VALU_DEP_2)
	v_dual_lshlrev_b32 v80, 16, v1 :: v_dual_lshlrev_b32 v22, 20, v22
	v_lshl_add_u32 v0, v0, 23, 0x3c000000
	v_and_b32_e32 v80, 0x80000000, v80
	s_delay_alu instid0(VALU_DEP_1)
	v_or3_b32 v81, v22, v80, v0
	v_mov_b32_e32 v80, v23
.LBB170_985:                            ;   in Loop: Header=BB170_562 Depth=1
	s_or_b32 exec_lo, exec_lo, s25
.LBB170_986:                            ;   in Loop: Header=BB170_562 Depth=1
	s_delay_alu instid0(SALU_CYCLE_1)
	s_or_b32 exec_lo, exec_lo, s24
.LBB170_987:                            ;   in Loop: Header=BB170_562 Depth=1
	s_delay_alu instid0(SALU_CYCLE_1) | instskip(SKIP_4) | instid1(VALU_DEP_3)
	s_or_b32 exec_lo, exec_lo, s23
	v_lshrrev_b32_e32 v88, 16, v1
	v_mov_b64_e32 v[84:85], 0
	v_mov_b64_e32 v[86:87], 0
	s_mov_b32 s23, exec_lo
	v_and_b32_e32 v0, 0xff, v88
	s_delay_alu instid0(VALU_DEP_1)
	v_cmpx_ne_u16_e32 0, v0
	s_cbranch_execz .LBB170_995
; %bb.988:                              ;   in Loop: Header=BB170_562 Depth=1
	v_mov_b64_e32 v[86:87], 0x80000000
	s_mov_b32 s24, exec_lo
	v_cmpx_ne_u16_e32 0x80, v0
	s_cbranch_execz .LBB170_994
; %bb.989:                              ;   in Loop: Header=BB170_562 Depth=1
	v_mov_b64_e32 v[86:87], 0x7f800001
	v_bfe_u32 v89, v1, 16, 7
	s_mov_b32 s25, exec_lo
	s_delay_alu instid0(VALU_DEP_1)
	v_cmpx_ne_u32_e32 0x7f, v89
	s_cbranch_execz .LBB170_993
; %bb.990:                              ;   in Loop: Header=BB170_562 Depth=1
	v_dual_lshrrev_b32 v0, 3, v89 :: v_dual_bitop2_b32 v22, 7, v88 bitop3:0x40
	s_mov_b32 s27, exec_lo
	v_cmpx_gt_u32_e32 8, v89
; %bb.991:                              ;   in Loop: Header=BB170_562 Depth=1
	s_delay_alu instid0(VALU_DEP_2) | instskip(NEXT) | instid1(VALU_DEP_1)
	v_clz_i32_u32_e32 v0, v22
	v_min_u32_e32 v0, 32, v0
	s_delay_alu instid0(VALU_DEP_1) | instskip(NEXT) | instid1(VALU_DEP_1)
	v_subrev_nc_u32_e32 v86, 28, v0
	v_lshlrev_b64_e32 v[86:87], v86, v[22:23]
	s_delay_alu instid0(VALU_DEP_1)
	v_dual_sub_nc_u32 v0, 29, v0 :: v_dual_bitop2_b32 v22, 7, v86 bitop3:0x40
; %bb.992:                              ;   in Loop: Header=BB170_562 Depth=1
	s_or_b32 exec_lo, exec_lo, s27
	s_delay_alu instid0(VALU_DEP_1) | instskip(NEXT) | instid1(VALU_DEP_2)
	v_dual_lshlrev_b32 v86, 24, v88 :: v_dual_lshlrev_b32 v22, 20, v22
	v_lshl_add_u32 v0, v0, 23, 0x3c000000
	s_delay_alu instid0(VALU_DEP_2) | instskip(NEXT) | instid1(VALU_DEP_1)
	v_and_b32_e32 v86, 0x80000000, v86
	v_or3_b32 v22, v22, v86, v0
	s_delay_alu instid0(VALU_DEP_1)
	v_mov_b64_e32 v[86:87], v[22:23]
.LBB170_993:                            ;   in Loop: Header=BB170_562 Depth=1
	s_or_b32 exec_lo, exec_lo, s25
.LBB170_994:                            ;   in Loop: Header=BB170_562 Depth=1
	s_delay_alu instid0(SALU_CYCLE_1)
	s_or_b32 exec_lo, exec_lo, s24
.LBB170_995:                            ;   in Loop: Header=BB170_562 Depth=1
	s_delay_alu instid0(SALU_CYCLE_1) | instskip(NEXT) | instid1(SALU_CYCLE_1)
	s_or_b32 exec_lo, exec_lo, s23
	s_mov_b32 s23, exec_lo
	v_cmpx_lt_u32_e32 0xffffff, v1
	s_cbranch_execz .LBB170_1003
; %bb.996:                              ;   in Loop: Header=BB170_562 Depth=1
	v_mov_b64_e32 v[84:85], 0x8000000000000000
	v_lshrrev_b32_e32 v0, 24, v1
	s_mov_b32 s24, exec_lo
	s_delay_alu instid0(VALU_DEP_1)
	v_cmpx_ne_u32_e32 0x80, v0
	s_cbranch_execz .LBB170_1002
; %bb.997:                              ;   in Loop: Header=BB170_562 Depth=1
	v_mov_b64_e32 v[84:85], 0x7f80000100000000
	v_bfe_u32 v88, v1, 24, 7
	s_mov_b32 s25, exec_lo
	s_delay_alu instid0(VALU_DEP_1)
	v_cmpx_ne_u32_e32 0x7f, v88
	s_cbranch_execz .LBB170_1001
; %bb.998:                              ;   in Loop: Header=BB170_562 Depth=1
	v_and_b32_e32 v22, 7, v0
	v_lshrrev_b32_e32 v1, 3, v88
	s_mov_b32 s27, exec_lo
	v_cmpx_gt_u32_e32 8, v88
; %bb.999:                              ;   in Loop: Header=BB170_562 Depth=1
	s_delay_alu instid0(VALU_DEP_3) | instskip(NEXT) | instid1(VALU_DEP_1)
	v_clz_i32_u32_e32 v1, v22
	v_min_u32_e32 v1, 32, v1
	s_delay_alu instid0(VALU_DEP_1) | instskip(NEXT) | instid1(VALU_DEP_1)
	v_subrev_nc_u32_e32 v84, 28, v1
	v_lshlrev_b64_e32 v[84:85], v84, v[22:23]
	s_delay_alu instid0(VALU_DEP_1)
	v_dual_sub_nc_u32 v1, 29, v1 :: v_dual_bitop2_b32 v22, 7, v84 bitop3:0x40
; %bb.1000:                             ;   in Loop: Header=BB170_562 Depth=1
	s_or_b32 exec_lo, exec_lo, s27
	s_delay_alu instid0(VALU_DEP_1) | instskip(NEXT) | instid1(VALU_DEP_2)
	v_dual_lshlrev_b32 v0, 24, v0 :: v_dual_lshlrev_b32 v22, 20, v22
	v_lshl_add_u32 v1, v1, 23, 0x3c000000
	v_mov_b32_e32 v84, v23
	s_delay_alu instid0(VALU_DEP_3) | instskip(NEXT) | instid1(VALU_DEP_1)
	v_and_b32_e32 v0, 0x80000000, v0
	v_or3_b32 v85, v22, v0, v1
.LBB170_1001:                           ;   in Loop: Header=BB170_562 Depth=1
	s_or_b32 exec_lo, exec_lo, s25
.LBB170_1002:                           ;   in Loop: Header=BB170_562 Depth=1
	s_delay_alu instid0(SALU_CYCLE_1)
	s_or_b32 exec_lo, exec_lo, s24
.LBB170_1003:                           ;   in Loop: Header=BB170_562 Depth=1
	s_delay_alu instid0(SALU_CYCLE_1)
	s_or_b32 exec_lo, exec_lo, s23
	v_or_b32_e32 v1, v81, v83
	v_or_b32_e32 v0, v80, v82
	v_mov_b64_e32 v[80:81], s[8:9]
	v_or_b32_e32 v85, v85, v87
	v_or_b32_e32 v84, v84, v86
	s_delay_alu instid0(VALU_DEP_3) | instskip(NEXT) | instid1(VALU_DEP_2)
	v_pk_mul_f32 v[82:83], v[80:81], v[0:1]
	v_pk_mul_f32 v[80:81], v[80:81], v[84:85]
	s_and_saveexec_b32 s23, vcc_lo
	s_cbranch_execz .LBB170_1005
; %bb.1004:                             ;   in Loop: Header=BB170_562 Depth=1
	v_cmp_gt_i32_e64 s0, s35, v51
	s_delay_alu instid0(VALU_DEP_1) | instskip(SKIP_1) | instid1(VALU_DEP_1)
	v_cndmask_b32_e64 v82, 0, v82, s0
	v_cmp_gt_i32_e64 s0, s35, v104
	v_cndmask_b32_e64 v83, 0, v83, s0
	v_cmp_gt_i32_e64 s0, s35, v97
	s_delay_alu instid0(VALU_DEP_1) | instskip(SKIP_1) | instid1(VALU_DEP_1)
	v_cndmask_b32_e64 v80, 0, v80, s0
	v_cmp_gt_i32_e64 s0, s35, v96
	v_cndmask_b32_e64 v81, 0, v81, s0
.LBB170_1005:                           ;   in Loop: Header=BB170_562 Depth=1
	s_or_b32 exec_lo, exec_lo, s23
	global_load_b32 v1, v[32:33], off offset:1664
	v_mov_b64_e32 v[84:85], 0
	v_mov_b64_e32 v[86:87], 0
	s_mov_b32 s23, exec_lo
	s_wait_loadcnt 0x0
	v_and_b32_e32 v0, 0xff, v1
	s_delay_alu instid0(VALU_DEP_1)
	v_cmpx_ne_u16_e32 0, v0
	s_cbranch_execz .LBB170_1013
; %bb.1006:                             ;   in Loop: Header=BB170_562 Depth=1
	v_mov_b64_e32 v[86:87], 0x80000000
	s_mov_b32 s24, exec_lo
	v_cmpx_ne_u16_e32 0x80, v0
	s_cbranch_execz .LBB170_1012
; %bb.1007:                             ;   in Loop: Header=BB170_562 Depth=1
	v_mov_b64_e32 v[86:87], 0x7f800001
	v_and_b32_e32 v88, 0x7f, v1
	s_mov_b32 s25, exec_lo
	s_delay_alu instid0(VALU_DEP_1)
	v_cmpx_ne_u32_e32 0x7f, v88
	s_cbranch_execz .LBB170_1011
; %bb.1008:                             ;   in Loop: Header=BB170_562 Depth=1
	v_dual_lshrrev_b32 v0, 3, v88 :: v_dual_bitop2_b32 v22, 7, v1 bitop3:0x40
	s_mov_b32 s27, exec_lo
	v_cmpx_gt_u32_e32 8, v88
; %bb.1009:                             ;   in Loop: Header=BB170_562 Depth=1
	s_delay_alu instid0(VALU_DEP_2) | instskip(NEXT) | instid1(VALU_DEP_1)
	v_clz_i32_u32_e32 v0, v22
	v_min_u32_e32 v0, 32, v0
	s_delay_alu instid0(VALU_DEP_1) | instskip(NEXT) | instid1(VALU_DEP_1)
	v_subrev_nc_u32_e32 v86, 28, v0
	v_lshlrev_b64_e32 v[86:87], v86, v[22:23]
	s_delay_alu instid0(VALU_DEP_1)
	v_dual_sub_nc_u32 v0, 29, v0 :: v_dual_bitop2_b32 v22, 7, v86 bitop3:0x40
; %bb.1010:                             ;   in Loop: Header=BB170_562 Depth=1
	s_or_b32 exec_lo, exec_lo, s27
	s_delay_alu instid0(VALU_DEP_1) | instskip(NEXT) | instid1(VALU_DEP_2)
	v_dual_lshlrev_b32 v86, 24, v1 :: v_dual_lshlrev_b32 v22, 20, v22
	v_lshl_add_u32 v0, v0, 23, 0x3c000000
	s_delay_alu instid0(VALU_DEP_2) | instskip(NEXT) | instid1(VALU_DEP_1)
	v_and_b32_e32 v86, 0x80000000, v86
	v_or3_b32 v22, v22, v86, v0
	s_delay_alu instid0(VALU_DEP_1)
	v_mov_b64_e32 v[86:87], v[22:23]
.LBB170_1011:                           ;   in Loop: Header=BB170_562 Depth=1
	s_or_b32 exec_lo, exec_lo, s25
.LBB170_1012:                           ;   in Loop: Header=BB170_562 Depth=1
	s_delay_alu instid0(SALU_CYCLE_1)
	s_or_b32 exec_lo, exec_lo, s24
.LBB170_1013:                           ;   in Loop: Header=BB170_562 Depth=1
	s_delay_alu instid0(SALU_CYCLE_1) | instskip(SKIP_2) | instid1(VALU_DEP_1)
	s_or_b32 exec_lo, exec_lo, s23
	v_lshrrev_b16 v0, 8, v1
	s_mov_b32 s23, exec_lo
	v_cmpx_ne_u16_e32 0, v0
	s_cbranch_execz .LBB170_1021
; %bb.1014:                             ;   in Loop: Header=BB170_562 Depth=1
	v_mov_b64_e32 v[84:85], 0x8000000000000000
	s_mov_b32 s24, exec_lo
	v_cmpx_ne_u16_e32 0x80, v0
	s_cbranch_execz .LBB170_1020
; %bb.1015:                             ;   in Loop: Header=BB170_562 Depth=1
	v_and_b32_e32 v0, 0xffff, v0
	v_mov_b64_e32 v[84:85], 0x7f80000100000000
	s_mov_b32 s25, exec_lo
	s_delay_alu instid0(VALU_DEP_2) | instskip(NEXT) | instid1(VALU_DEP_1)
	v_and_b32_e32 v88, 0x7f, v0
	v_cmpx_ne_u32_e32 0x7f, v88
	s_cbranch_execz .LBB170_1019
; %bb.1016:                             ;   in Loop: Header=BB170_562 Depth=1
	v_and_b32_e32 v22, 7, v0
	v_lshrrev_b32_e32 v0, 3, v88
	s_mov_b32 s27, exec_lo
	v_cmpx_gt_u32_e32 8, v88
; %bb.1017:                             ;   in Loop: Header=BB170_562 Depth=1
	s_delay_alu instid0(VALU_DEP_3) | instskip(NEXT) | instid1(VALU_DEP_1)
	v_clz_i32_u32_e32 v0, v22
	v_min_u32_e32 v0, 32, v0
	s_delay_alu instid0(VALU_DEP_1) | instskip(SKIP_1) | instid1(VALU_DEP_2)
	v_subrev_nc_u32_e32 v84, 28, v0
	v_sub_nc_u32_e32 v0, 29, v0
	v_lshlrev_b64_e32 v[84:85], v84, v[22:23]
	s_delay_alu instid0(VALU_DEP_1)
	v_and_b32_e32 v22, 7, v84
; %bb.1018:                             ;   in Loop: Header=BB170_562 Depth=1
	s_or_b32 exec_lo, exec_lo, s27
	s_delay_alu instid0(VALU_DEP_1) | instskip(SKIP_1) | instid1(VALU_DEP_2)
	v_dual_lshlrev_b32 v84, 16, v1 :: v_dual_lshlrev_b32 v22, 20, v22
	v_lshl_add_u32 v0, v0, 23, 0x3c000000
	v_and_b32_e32 v84, 0x80000000, v84
	s_delay_alu instid0(VALU_DEP_1)
	v_or3_b32 v85, v22, v84, v0
	v_mov_b32_e32 v84, v23
.LBB170_1019:                           ;   in Loop: Header=BB170_562 Depth=1
	s_or_b32 exec_lo, exec_lo, s25
.LBB170_1020:                           ;   in Loop: Header=BB170_562 Depth=1
	s_delay_alu instid0(SALU_CYCLE_1)
	s_or_b32 exec_lo, exec_lo, s24
.LBB170_1021:                           ;   in Loop: Header=BB170_562 Depth=1
	s_delay_alu instid0(SALU_CYCLE_1) | instskip(SKIP_4) | instid1(VALU_DEP_3)
	s_or_b32 exec_lo, exec_lo, s23
	v_lshrrev_b32_e32 v92, 16, v1
	v_mov_b64_e32 v[88:89], 0
	v_mov_b64_e32 v[90:91], 0
	s_mov_b32 s23, exec_lo
	v_and_b32_e32 v0, 0xff, v92
	s_delay_alu instid0(VALU_DEP_1)
	v_cmpx_ne_u16_e32 0, v0
	s_cbranch_execz .LBB170_1029
; %bb.1022:                             ;   in Loop: Header=BB170_562 Depth=1
	v_mov_b64_e32 v[90:91], 0x80000000
	s_mov_b32 s24, exec_lo
	v_cmpx_ne_u16_e32 0x80, v0
	s_cbranch_execz .LBB170_1028
; %bb.1023:                             ;   in Loop: Header=BB170_562 Depth=1
	v_mov_b64_e32 v[90:91], 0x7f800001
	v_bfe_u32 v93, v1, 16, 7
	s_mov_b32 s25, exec_lo
	s_delay_alu instid0(VALU_DEP_1)
	v_cmpx_ne_u32_e32 0x7f, v93
	s_cbranch_execz .LBB170_1027
; %bb.1024:                             ;   in Loop: Header=BB170_562 Depth=1
	v_dual_lshrrev_b32 v0, 3, v93 :: v_dual_bitop2_b32 v22, 7, v92 bitop3:0x40
	s_mov_b32 s27, exec_lo
	v_cmpx_gt_u32_e32 8, v93
; %bb.1025:                             ;   in Loop: Header=BB170_562 Depth=1
	s_delay_alu instid0(VALU_DEP_2) | instskip(NEXT) | instid1(VALU_DEP_1)
	v_clz_i32_u32_e32 v0, v22
	v_min_u32_e32 v0, 32, v0
	s_delay_alu instid0(VALU_DEP_1) | instskip(NEXT) | instid1(VALU_DEP_1)
	v_subrev_nc_u32_e32 v90, 28, v0
	v_lshlrev_b64_e32 v[90:91], v90, v[22:23]
	s_delay_alu instid0(VALU_DEP_1)
	v_dual_sub_nc_u32 v0, 29, v0 :: v_dual_bitop2_b32 v22, 7, v90 bitop3:0x40
; %bb.1026:                             ;   in Loop: Header=BB170_562 Depth=1
	s_or_b32 exec_lo, exec_lo, s27
	s_delay_alu instid0(VALU_DEP_1) | instskip(NEXT) | instid1(VALU_DEP_2)
	v_dual_lshlrev_b32 v90, 24, v92 :: v_dual_lshlrev_b32 v22, 20, v22
	v_lshl_add_u32 v0, v0, 23, 0x3c000000
	s_delay_alu instid0(VALU_DEP_2) | instskip(NEXT) | instid1(VALU_DEP_1)
	v_and_b32_e32 v90, 0x80000000, v90
	v_or3_b32 v22, v22, v90, v0
	s_delay_alu instid0(VALU_DEP_1)
	v_mov_b64_e32 v[90:91], v[22:23]
.LBB170_1027:                           ;   in Loop: Header=BB170_562 Depth=1
	s_or_b32 exec_lo, exec_lo, s25
.LBB170_1028:                           ;   in Loop: Header=BB170_562 Depth=1
	s_delay_alu instid0(SALU_CYCLE_1)
	s_or_b32 exec_lo, exec_lo, s24
.LBB170_1029:                           ;   in Loop: Header=BB170_562 Depth=1
	s_delay_alu instid0(SALU_CYCLE_1) | instskip(NEXT) | instid1(SALU_CYCLE_1)
	s_or_b32 exec_lo, exec_lo, s23
	s_mov_b32 s23, exec_lo
	v_cmpx_lt_u32_e32 0xffffff, v1
	s_cbranch_execz .LBB170_1037
; %bb.1030:                             ;   in Loop: Header=BB170_562 Depth=1
	v_mov_b64_e32 v[88:89], 0x8000000000000000
	v_lshrrev_b32_e32 v0, 24, v1
	s_mov_b32 s24, exec_lo
	s_delay_alu instid0(VALU_DEP_1)
	v_cmpx_ne_u32_e32 0x80, v0
	s_cbranch_execz .LBB170_1036
; %bb.1031:                             ;   in Loop: Header=BB170_562 Depth=1
	v_mov_b64_e32 v[88:89], 0x7f80000100000000
	v_bfe_u32 v92, v1, 24, 7
	s_mov_b32 s25, exec_lo
	s_delay_alu instid0(VALU_DEP_1)
	v_cmpx_ne_u32_e32 0x7f, v92
	s_cbranch_execz .LBB170_1035
; %bb.1032:                             ;   in Loop: Header=BB170_562 Depth=1
	v_and_b32_e32 v22, 7, v0
	v_lshrrev_b32_e32 v1, 3, v92
	s_mov_b32 s27, exec_lo
	v_cmpx_gt_u32_e32 8, v92
; %bb.1033:                             ;   in Loop: Header=BB170_562 Depth=1
	s_delay_alu instid0(VALU_DEP_3) | instskip(NEXT) | instid1(VALU_DEP_1)
	v_clz_i32_u32_e32 v1, v22
	v_min_u32_e32 v1, 32, v1
	s_delay_alu instid0(VALU_DEP_1) | instskip(NEXT) | instid1(VALU_DEP_1)
	v_subrev_nc_u32_e32 v88, 28, v1
	v_lshlrev_b64_e32 v[88:89], v88, v[22:23]
	s_delay_alu instid0(VALU_DEP_1)
	v_dual_sub_nc_u32 v1, 29, v1 :: v_dual_bitop2_b32 v22, 7, v88 bitop3:0x40
; %bb.1034:                             ;   in Loop: Header=BB170_562 Depth=1
	s_or_b32 exec_lo, exec_lo, s27
	s_delay_alu instid0(VALU_DEP_1) | instskip(NEXT) | instid1(VALU_DEP_2)
	v_dual_lshlrev_b32 v0, 24, v0 :: v_dual_lshlrev_b32 v22, 20, v22
	v_lshl_add_u32 v1, v1, 23, 0x3c000000
	v_mov_b32_e32 v88, v23
	s_delay_alu instid0(VALU_DEP_3) | instskip(NEXT) | instid1(VALU_DEP_1)
	v_and_b32_e32 v0, 0x80000000, v0
	v_or3_b32 v89, v22, v0, v1
.LBB170_1035:                           ;   in Loop: Header=BB170_562 Depth=1
	s_or_b32 exec_lo, exec_lo, s25
.LBB170_1036:                           ;   in Loop: Header=BB170_562 Depth=1
	s_delay_alu instid0(SALU_CYCLE_1)
	s_or_b32 exec_lo, exec_lo, s24
.LBB170_1037:                           ;   in Loop: Header=BB170_562 Depth=1
	s_delay_alu instid0(SALU_CYCLE_1)
	s_or_b32 exec_lo, exec_lo, s23
	v_or_b32_e32 v1, v85, v87
	v_or_b32_e32 v0, v84, v86
	v_mov_b64_e32 v[84:85], s[8:9]
	v_or_b32_e32 v89, v89, v91
	v_or_b32_e32 v88, v88, v90
	s_delay_alu instid0(VALU_DEP_3) | instskip(NEXT) | instid1(VALU_DEP_2)
	v_pk_mul_f32 v[86:87], v[84:85], v[0:1]
	v_pk_mul_f32 v[84:85], v[84:85], v[88:89]
	s_and_saveexec_b32 s23, vcc_lo
	s_cbranch_execz .LBB170_1039
; %bb.1038:                             ;   in Loop: Header=BB170_562 Depth=1
	v_cmp_gt_i32_e64 s0, s35, v51
	s_delay_alu instid0(VALU_DEP_1) | instskip(SKIP_1) | instid1(VALU_DEP_1)
	v_cndmask_b32_e64 v86, 0, v86, s0
	v_cmp_gt_i32_e64 s0, s35, v104
	v_cndmask_b32_e64 v87, 0, v87, s0
	v_cmp_gt_i32_e64 s0, s35, v97
	s_delay_alu instid0(VALU_DEP_1) | instskip(SKIP_1) | instid1(VALU_DEP_1)
	v_cndmask_b32_e64 v84, 0, v84, s0
	v_cmp_gt_i32_e64 s0, s35, v96
	v_cndmask_b32_e64 v85, 0, v85, s0
.LBB170_1039:                           ;   in Loop: Header=BB170_562 Depth=1
	s_or_b32 exec_lo, exec_lo, s23
	global_load_b32 v1, v[32:33], off offset:1792
	v_mov_b64_e32 v[88:89], 0
	v_mov_b64_e32 v[90:91], 0
	s_mov_b32 s23, exec_lo
	s_wait_loadcnt 0x0
	v_and_b32_e32 v0, 0xff, v1
	s_delay_alu instid0(VALU_DEP_1)
	v_cmpx_ne_u16_e32 0, v0
	s_cbranch_execz .LBB170_1047
; %bb.1040:                             ;   in Loop: Header=BB170_562 Depth=1
	v_mov_b64_e32 v[90:91], 0x80000000
	s_mov_b32 s24, exec_lo
	v_cmpx_ne_u16_e32 0x80, v0
	s_cbranch_execz .LBB170_1046
; %bb.1041:                             ;   in Loop: Header=BB170_562 Depth=1
	v_mov_b64_e32 v[90:91], 0x7f800001
	v_and_b32_e32 v92, 0x7f, v1
	s_mov_b32 s25, exec_lo
	s_delay_alu instid0(VALU_DEP_1)
	v_cmpx_ne_u32_e32 0x7f, v92
	s_cbranch_execz .LBB170_1045
; %bb.1042:                             ;   in Loop: Header=BB170_562 Depth=1
	v_dual_lshrrev_b32 v0, 3, v92 :: v_dual_bitop2_b32 v22, 7, v1 bitop3:0x40
	s_mov_b32 s27, exec_lo
	v_cmpx_gt_u32_e32 8, v92
; %bb.1043:                             ;   in Loop: Header=BB170_562 Depth=1
	s_delay_alu instid0(VALU_DEP_2) | instskip(NEXT) | instid1(VALU_DEP_1)
	v_clz_i32_u32_e32 v0, v22
	v_min_u32_e32 v0, 32, v0
	s_delay_alu instid0(VALU_DEP_1) | instskip(NEXT) | instid1(VALU_DEP_1)
	v_subrev_nc_u32_e32 v90, 28, v0
	v_lshlrev_b64_e32 v[90:91], v90, v[22:23]
	s_delay_alu instid0(VALU_DEP_1)
	v_dual_sub_nc_u32 v0, 29, v0 :: v_dual_bitop2_b32 v22, 7, v90 bitop3:0x40
; %bb.1044:                             ;   in Loop: Header=BB170_562 Depth=1
	s_or_b32 exec_lo, exec_lo, s27
	s_delay_alu instid0(VALU_DEP_1) | instskip(NEXT) | instid1(VALU_DEP_2)
	v_dual_lshlrev_b32 v90, 24, v1 :: v_dual_lshlrev_b32 v22, 20, v22
	v_lshl_add_u32 v0, v0, 23, 0x3c000000
	s_delay_alu instid0(VALU_DEP_2) | instskip(NEXT) | instid1(VALU_DEP_1)
	v_and_b32_e32 v90, 0x80000000, v90
	v_or3_b32 v22, v22, v90, v0
	s_delay_alu instid0(VALU_DEP_1)
	v_mov_b64_e32 v[90:91], v[22:23]
.LBB170_1045:                           ;   in Loop: Header=BB170_562 Depth=1
	s_or_b32 exec_lo, exec_lo, s25
.LBB170_1046:                           ;   in Loop: Header=BB170_562 Depth=1
	s_delay_alu instid0(SALU_CYCLE_1)
	s_or_b32 exec_lo, exec_lo, s24
.LBB170_1047:                           ;   in Loop: Header=BB170_562 Depth=1
	s_delay_alu instid0(SALU_CYCLE_1) | instskip(SKIP_2) | instid1(VALU_DEP_1)
	s_or_b32 exec_lo, exec_lo, s23
	v_lshrrev_b16 v0, 8, v1
	s_mov_b32 s23, exec_lo
	v_cmpx_ne_u16_e32 0, v0
	s_cbranch_execz .LBB170_1055
; %bb.1048:                             ;   in Loop: Header=BB170_562 Depth=1
	v_mov_b64_e32 v[88:89], 0x8000000000000000
	s_mov_b32 s24, exec_lo
	v_cmpx_ne_u16_e32 0x80, v0
	s_cbranch_execz .LBB170_1054
; %bb.1049:                             ;   in Loop: Header=BB170_562 Depth=1
	v_and_b32_e32 v0, 0xffff, v0
	v_mov_b64_e32 v[88:89], 0x7f80000100000000
	s_mov_b32 s25, exec_lo
	s_delay_alu instid0(VALU_DEP_2) | instskip(NEXT) | instid1(VALU_DEP_1)
	v_and_b32_e32 v92, 0x7f, v0
	v_cmpx_ne_u32_e32 0x7f, v92
	s_cbranch_execz .LBB170_1053
; %bb.1050:                             ;   in Loop: Header=BB170_562 Depth=1
	v_and_b32_e32 v22, 7, v0
	v_lshrrev_b32_e32 v0, 3, v92
	s_mov_b32 s27, exec_lo
	v_cmpx_gt_u32_e32 8, v92
; %bb.1051:                             ;   in Loop: Header=BB170_562 Depth=1
	s_delay_alu instid0(VALU_DEP_3) | instskip(NEXT) | instid1(VALU_DEP_1)
	v_clz_i32_u32_e32 v0, v22
	v_min_u32_e32 v0, 32, v0
	s_delay_alu instid0(VALU_DEP_1) | instskip(SKIP_1) | instid1(VALU_DEP_2)
	v_subrev_nc_u32_e32 v88, 28, v0
	v_sub_nc_u32_e32 v0, 29, v0
	v_lshlrev_b64_e32 v[88:89], v88, v[22:23]
	s_delay_alu instid0(VALU_DEP_1)
	v_and_b32_e32 v22, 7, v88
; %bb.1052:                             ;   in Loop: Header=BB170_562 Depth=1
	s_or_b32 exec_lo, exec_lo, s27
	s_delay_alu instid0(VALU_DEP_1) | instskip(SKIP_1) | instid1(VALU_DEP_2)
	v_dual_lshlrev_b32 v88, 16, v1 :: v_dual_lshlrev_b32 v22, 20, v22
	v_lshl_add_u32 v0, v0, 23, 0x3c000000
	v_and_b32_e32 v88, 0x80000000, v88
	s_delay_alu instid0(VALU_DEP_1)
	v_or3_b32 v89, v22, v88, v0
	v_mov_b32_e32 v88, v23
.LBB170_1053:                           ;   in Loop: Header=BB170_562 Depth=1
	s_or_b32 exec_lo, exec_lo, s25
.LBB170_1054:                           ;   in Loop: Header=BB170_562 Depth=1
	s_delay_alu instid0(SALU_CYCLE_1)
	s_or_b32 exec_lo, exec_lo, s24
.LBB170_1055:                           ;   in Loop: Header=BB170_562 Depth=1
	s_delay_alu instid0(SALU_CYCLE_1) | instskip(SKIP_4) | instid1(VALU_DEP_3)
	s_or_b32 exec_lo, exec_lo, s23
	v_lshrrev_b32_e32 v105, 16, v1
	v_mov_b64_e32 v[92:93], 0
	v_mov_b64_e32 v[94:95], 0
	s_mov_b32 s23, exec_lo
	v_and_b32_e32 v0, 0xff, v105
	s_delay_alu instid0(VALU_DEP_1)
	v_cmpx_ne_u16_e32 0, v0
	s_cbranch_execz .LBB170_1063
; %bb.1056:                             ;   in Loop: Header=BB170_562 Depth=1
	v_mov_b64_e32 v[94:95], 0x80000000
	s_mov_b32 s24, exec_lo
	v_cmpx_ne_u16_e32 0x80, v0
	s_cbranch_execz .LBB170_1062
; %bb.1057:                             ;   in Loop: Header=BB170_562 Depth=1
	v_mov_b64_e32 v[94:95], 0x7f800001
	v_bfe_u32 v106, v1, 16, 7
	s_mov_b32 s25, exec_lo
	s_delay_alu instid0(VALU_DEP_1)
	v_cmpx_ne_u32_e32 0x7f, v106
	s_cbranch_execz .LBB170_1061
; %bb.1058:                             ;   in Loop: Header=BB170_562 Depth=1
	v_dual_lshrrev_b32 v0, 3, v106 :: v_dual_bitop2_b32 v22, 7, v105 bitop3:0x40
	s_mov_b32 s27, exec_lo
	v_cmpx_gt_u32_e32 8, v106
; %bb.1059:                             ;   in Loop: Header=BB170_562 Depth=1
	s_delay_alu instid0(VALU_DEP_2) | instskip(NEXT) | instid1(VALU_DEP_1)
	v_clz_i32_u32_e32 v0, v22
	v_min_u32_e32 v0, 32, v0
	s_delay_alu instid0(VALU_DEP_1) | instskip(NEXT) | instid1(VALU_DEP_1)
	v_subrev_nc_u32_e32 v94, 28, v0
	v_lshlrev_b64_e32 v[94:95], v94, v[22:23]
	s_delay_alu instid0(VALU_DEP_1)
	v_dual_sub_nc_u32 v0, 29, v0 :: v_dual_bitop2_b32 v22, 7, v94 bitop3:0x40
; %bb.1060:                             ;   in Loop: Header=BB170_562 Depth=1
	s_or_b32 exec_lo, exec_lo, s27
	s_delay_alu instid0(VALU_DEP_1) | instskip(NEXT) | instid1(VALU_DEP_2)
	v_dual_lshlrev_b32 v94, 24, v105 :: v_dual_lshlrev_b32 v22, 20, v22
	v_lshl_add_u32 v0, v0, 23, 0x3c000000
	s_delay_alu instid0(VALU_DEP_2) | instskip(NEXT) | instid1(VALU_DEP_1)
	v_and_b32_e32 v94, 0x80000000, v94
	v_or3_b32 v22, v22, v94, v0
	s_delay_alu instid0(VALU_DEP_1)
	v_mov_b64_e32 v[94:95], v[22:23]
.LBB170_1061:                           ;   in Loop: Header=BB170_562 Depth=1
	s_or_b32 exec_lo, exec_lo, s25
.LBB170_1062:                           ;   in Loop: Header=BB170_562 Depth=1
	s_delay_alu instid0(SALU_CYCLE_1)
	s_or_b32 exec_lo, exec_lo, s24
.LBB170_1063:                           ;   in Loop: Header=BB170_562 Depth=1
	s_delay_alu instid0(SALU_CYCLE_1) | instskip(NEXT) | instid1(SALU_CYCLE_1)
	s_or_b32 exec_lo, exec_lo, s23
	s_mov_b32 s23, exec_lo
	v_cmpx_lt_u32_e32 0xffffff, v1
	s_cbranch_execz .LBB170_1071
; %bb.1064:                             ;   in Loop: Header=BB170_562 Depth=1
	v_mov_b64_e32 v[92:93], 0x8000000000000000
	v_lshrrev_b32_e32 v0, 24, v1
	s_mov_b32 s24, exec_lo
	s_delay_alu instid0(VALU_DEP_1)
	v_cmpx_ne_u32_e32 0x80, v0
	s_cbranch_execz .LBB170_1070
; %bb.1065:                             ;   in Loop: Header=BB170_562 Depth=1
	v_mov_b64_e32 v[92:93], 0x7f80000100000000
	v_bfe_u32 v105, v1, 24, 7
	s_mov_b32 s25, exec_lo
	s_delay_alu instid0(VALU_DEP_1)
	v_cmpx_ne_u32_e32 0x7f, v105
	s_cbranch_execz .LBB170_1069
; %bb.1066:                             ;   in Loop: Header=BB170_562 Depth=1
	v_dual_lshrrev_b32 v1, 3, v105 :: v_dual_bitop2_b32 v22, 7, v0 bitop3:0x40
	s_mov_b32 s27, exec_lo
	v_cmpx_gt_u32_e32 8, v105
; %bb.1067:                             ;   in Loop: Header=BB170_562 Depth=1
	s_delay_alu instid0(VALU_DEP_2) | instskip(NEXT) | instid1(VALU_DEP_1)
	v_clz_i32_u32_e32 v1, v22
	v_min_u32_e32 v1, 32, v1
	s_delay_alu instid0(VALU_DEP_1) | instskip(NEXT) | instid1(VALU_DEP_1)
	v_subrev_nc_u32_e32 v92, 28, v1
	v_lshlrev_b64_e32 v[92:93], v92, v[22:23]
	s_delay_alu instid0(VALU_DEP_1)
	v_dual_sub_nc_u32 v1, 29, v1 :: v_dual_bitop2_b32 v22, 7, v92 bitop3:0x40
; %bb.1068:                             ;   in Loop: Header=BB170_562 Depth=1
	s_or_b32 exec_lo, exec_lo, s27
	s_delay_alu instid0(VALU_DEP_1) | instskip(NEXT) | instid1(VALU_DEP_2)
	v_dual_lshlrev_b32 v0, 24, v0 :: v_dual_lshlrev_b32 v22, 20, v22
	v_lshl_add_u32 v1, v1, 23, 0x3c000000
	v_mov_b32_e32 v92, v23
	s_delay_alu instid0(VALU_DEP_3) | instskip(NEXT) | instid1(VALU_DEP_1)
	v_and_b32_e32 v0, 0x80000000, v0
	v_or3_b32 v93, v22, v0, v1
.LBB170_1069:                           ;   in Loop: Header=BB170_562 Depth=1
	s_or_b32 exec_lo, exec_lo, s25
.LBB170_1070:                           ;   in Loop: Header=BB170_562 Depth=1
	s_delay_alu instid0(SALU_CYCLE_1)
	s_or_b32 exec_lo, exec_lo, s24
.LBB170_1071:                           ;   in Loop: Header=BB170_562 Depth=1
	s_delay_alu instid0(SALU_CYCLE_1)
	s_or_b32 exec_lo, exec_lo, s23
	v_or_b32_e32 v1, v89, v91
	v_or_b32_e32 v0, v88, v90
	v_mov_b64_e32 v[88:89], s[8:9]
	v_or_b32_e32 v93, v93, v95
	v_or_b32_e32 v92, v92, v94
	s_delay_alu instid0(VALU_DEP_3) | instskip(NEXT) | instid1(VALU_DEP_2)
	v_pk_mul_f32 v[90:91], v[88:89], v[0:1]
	v_pk_mul_f32 v[88:89], v[88:89], v[92:93]
	s_and_saveexec_b32 s23, vcc_lo
	s_cbranch_execz .LBB170_1073
; %bb.1072:                             ;   in Loop: Header=BB170_562 Depth=1
	v_cmp_gt_i32_e64 s0, s35, v51
	s_delay_alu instid0(VALU_DEP_1) | instskip(SKIP_1) | instid1(VALU_DEP_1)
	v_cndmask_b32_e64 v90, 0, v90, s0
	v_cmp_gt_i32_e64 s0, s35, v104
	v_cndmask_b32_e64 v91, 0, v91, s0
	v_cmp_gt_i32_e64 s0, s35, v97
	s_delay_alu instid0(VALU_DEP_1) | instskip(SKIP_1) | instid1(VALU_DEP_1)
	v_cndmask_b32_e64 v88, 0, v88, s0
	v_cmp_gt_i32_e64 s0, s35, v96
	v_cndmask_b32_e64 v89, 0, v89, s0
.LBB170_1073:                           ;   in Loop: Header=BB170_562 Depth=1
	s_or_b32 exec_lo, exec_lo, s23
	global_load_b32 v1, v[32:33], off offset:1920
	s_wait_xcnt 0x0
	v_mov_b64_e32 v[32:33], 0
	v_mov_b64_e32 v[92:93], 0
	s_mov_b32 s23, exec_lo
	s_wait_loadcnt 0x0
	v_and_b32_e32 v0, 0xff, v1
	s_delay_alu instid0(VALU_DEP_1)
	v_cmpx_ne_u16_e32 0, v0
	s_cbranch_execz .LBB170_1081
; %bb.1074:                             ;   in Loop: Header=BB170_562 Depth=1
	v_mov_b64_e32 v[92:93], 0x80000000
	s_mov_b32 s24, exec_lo
	v_cmpx_ne_u16_e32 0x80, v0
	s_cbranch_execz .LBB170_1080
; %bb.1075:                             ;   in Loop: Header=BB170_562 Depth=1
	v_mov_b64_e32 v[92:93], 0x7f800001
	v_and_b32_e32 v94, 0x7f, v1
	s_mov_b32 s25, exec_lo
	s_delay_alu instid0(VALU_DEP_1)
	v_cmpx_ne_u32_e32 0x7f, v94
	s_cbranch_execz .LBB170_1079
; %bb.1076:                             ;   in Loop: Header=BB170_562 Depth=1
	v_dual_lshrrev_b32 v0, 3, v94 :: v_dual_bitop2_b32 v22, 7, v1 bitop3:0x40
	s_mov_b32 s27, exec_lo
	v_cmpx_gt_u32_e32 8, v94
; %bb.1077:                             ;   in Loop: Header=BB170_562 Depth=1
	s_delay_alu instid0(VALU_DEP_2) | instskip(NEXT) | instid1(VALU_DEP_1)
	v_clz_i32_u32_e32 v0, v22
	v_min_u32_e32 v0, 32, v0
	s_delay_alu instid0(VALU_DEP_1) | instskip(SKIP_1) | instid1(VALU_DEP_2)
	v_subrev_nc_u32_e32 v92, 28, v0
	v_sub_nc_u32_e32 v0, 29, v0
	v_lshlrev_b64_e32 v[92:93], v92, v[22:23]
	s_delay_alu instid0(VALU_DEP_1)
	v_and_b32_e32 v22, 7, v92
; %bb.1078:                             ;   in Loop: Header=BB170_562 Depth=1
	s_or_b32 exec_lo, exec_lo, s27
	s_delay_alu instid0(VALU_DEP_1) | instskip(SKIP_1) | instid1(VALU_DEP_2)
	v_dual_lshlrev_b32 v92, 24, v1 :: v_dual_lshlrev_b32 v22, 20, v22
	v_lshl_add_u32 v0, v0, 23, 0x3c000000
	v_and_b32_e32 v92, 0x80000000, v92
	s_delay_alu instid0(VALU_DEP_1) | instskip(NEXT) | instid1(VALU_DEP_1)
	v_or3_b32 v22, v22, v92, v0
	v_mov_b64_e32 v[92:93], v[22:23]
.LBB170_1079:                           ;   in Loop: Header=BB170_562 Depth=1
	s_or_b32 exec_lo, exec_lo, s25
.LBB170_1080:                           ;   in Loop: Header=BB170_562 Depth=1
	s_delay_alu instid0(SALU_CYCLE_1)
	s_or_b32 exec_lo, exec_lo, s24
.LBB170_1081:                           ;   in Loop: Header=BB170_562 Depth=1
	s_delay_alu instid0(SALU_CYCLE_1) | instskip(SKIP_2) | instid1(VALU_DEP_1)
	s_or_b32 exec_lo, exec_lo, s23
	v_lshrrev_b16 v0, 8, v1
	s_mov_b32 s23, exec_lo
	v_cmpx_ne_u16_e32 0, v0
	s_cbranch_execz .LBB170_1089
; %bb.1082:                             ;   in Loop: Header=BB170_562 Depth=1
	v_mov_b64_e32 v[32:33], 0x8000000000000000
	s_mov_b32 s24, exec_lo
	v_cmpx_ne_u16_e32 0x80, v0
	s_cbranch_execz .LBB170_1088
; %bb.1083:                             ;   in Loop: Header=BB170_562 Depth=1
	v_and_b32_e32 v0, 0xffff, v0
	v_mov_b64_e32 v[32:33], 0x7f80000100000000
	s_mov_b32 s25, exec_lo
	s_delay_alu instid0(VALU_DEP_2) | instskip(NEXT) | instid1(VALU_DEP_1)
	v_and_b32_e32 v94, 0x7f, v0
	v_cmpx_ne_u32_e32 0x7f, v94
	s_cbranch_execz .LBB170_1087
; %bb.1084:                             ;   in Loop: Header=BB170_562 Depth=1
	v_dual_lshrrev_b32 v0, 3, v94 :: v_dual_bitop2_b32 v22, 7, v0 bitop3:0x40
	s_mov_b32 s27, exec_lo
	v_cmpx_gt_u32_e32 8, v94
; %bb.1085:                             ;   in Loop: Header=BB170_562 Depth=1
	s_delay_alu instid0(VALU_DEP_2) | instskip(NEXT) | instid1(VALU_DEP_1)
	v_clz_i32_u32_e32 v0, v22
	v_min_u32_e32 v0, 32, v0
	s_delay_alu instid0(VALU_DEP_1) | instskip(SKIP_1) | instid1(VALU_DEP_2)
	v_subrev_nc_u32_e32 v32, 28, v0
	v_sub_nc_u32_e32 v0, 29, v0
	v_lshlrev_b64_e32 v[32:33], v32, v[22:23]
	s_delay_alu instid0(VALU_DEP_1)
	v_and_b32_e32 v22, 7, v32
; %bb.1086:                             ;   in Loop: Header=BB170_562 Depth=1
	s_or_b32 exec_lo, exec_lo, s27
	s_delay_alu instid0(VALU_DEP_1) | instskip(SKIP_1) | instid1(VALU_DEP_2)
	v_dual_lshlrev_b32 v32, 16, v1 :: v_dual_lshlrev_b32 v22, 20, v22
	v_lshl_add_u32 v0, v0, 23, 0x3c000000
	v_and_b32_e32 v32, 0x80000000, v32
	s_delay_alu instid0(VALU_DEP_1)
	v_or3_b32 v33, v22, v32, v0
	v_mov_b32_e32 v32, v23
.LBB170_1087:                           ;   in Loop: Header=BB170_562 Depth=1
	s_or_b32 exec_lo, exec_lo, s25
.LBB170_1088:                           ;   in Loop: Header=BB170_562 Depth=1
	s_delay_alu instid0(SALU_CYCLE_1)
	s_or_b32 exec_lo, exec_lo, s24
.LBB170_1089:                           ;   in Loop: Header=BB170_562 Depth=1
	s_delay_alu instid0(SALU_CYCLE_1) | instskip(SKIP_4) | instid1(VALU_DEP_3)
	s_or_b32 exec_lo, exec_lo, s23
	v_lshrrev_b32_e32 v105, 16, v1
	v_mov_b64_e32 v[94:95], 0
	v_mov_b64_e32 v[96:97], 0
	s_mov_b32 s23, exec_lo
	v_and_b32_e32 v0, 0xff, v105
	s_delay_alu instid0(VALU_DEP_1)
	v_cmpx_ne_u16_e32 0, v0
	s_cbranch_execz .LBB170_1097
; %bb.1090:                             ;   in Loop: Header=BB170_562 Depth=1
	v_mov_b64_e32 v[96:97], 0x80000000
	s_mov_b32 s24, exec_lo
	v_cmpx_ne_u16_e32 0x80, v0
	s_cbranch_execz .LBB170_1096
; %bb.1091:                             ;   in Loop: Header=BB170_562 Depth=1
	v_mov_b64_e32 v[96:97], 0x7f800001
	v_bfe_u32 v106, v1, 16, 7
	s_mov_b32 s25, exec_lo
	s_delay_alu instid0(VALU_DEP_1)
	v_cmpx_ne_u32_e32 0x7f, v106
	s_cbranch_execz .LBB170_1095
; %bb.1092:                             ;   in Loop: Header=BB170_562 Depth=1
	v_dual_lshrrev_b32 v0, 3, v106 :: v_dual_bitop2_b32 v22, 7, v105 bitop3:0x40
	s_mov_b32 s27, exec_lo
	v_cmpx_gt_u32_e32 8, v106
; %bb.1093:                             ;   in Loop: Header=BB170_562 Depth=1
	s_delay_alu instid0(VALU_DEP_2) | instskip(NEXT) | instid1(VALU_DEP_1)
	v_clz_i32_u32_e32 v0, v22
	v_min_u32_e32 v0, 32, v0
	s_delay_alu instid0(VALU_DEP_1) | instskip(SKIP_1) | instid1(VALU_DEP_2)
	v_subrev_nc_u32_e32 v96, 28, v0
	v_sub_nc_u32_e32 v0, 29, v0
	v_lshlrev_b64_e32 v[96:97], v96, v[22:23]
	s_delay_alu instid0(VALU_DEP_1)
	v_and_b32_e32 v22, 7, v96
; %bb.1094:                             ;   in Loop: Header=BB170_562 Depth=1
	s_or_b32 exec_lo, exec_lo, s27
	s_delay_alu instid0(VALU_DEP_1) | instskip(SKIP_1) | instid1(VALU_DEP_2)
	v_dual_lshlrev_b32 v96, 24, v105 :: v_dual_lshlrev_b32 v22, 20, v22
	v_lshl_add_u32 v0, v0, 23, 0x3c000000
	v_and_b32_e32 v96, 0x80000000, v96
	s_delay_alu instid0(VALU_DEP_1) | instskip(NEXT) | instid1(VALU_DEP_1)
	v_or3_b32 v22, v22, v96, v0
	v_mov_b64_e32 v[96:97], v[22:23]
.LBB170_1095:                           ;   in Loop: Header=BB170_562 Depth=1
	s_or_b32 exec_lo, exec_lo, s25
.LBB170_1096:                           ;   in Loop: Header=BB170_562 Depth=1
	s_delay_alu instid0(SALU_CYCLE_1)
	s_or_b32 exec_lo, exec_lo, s24
.LBB170_1097:                           ;   in Loop: Header=BB170_562 Depth=1
	s_delay_alu instid0(SALU_CYCLE_1) | instskip(NEXT) | instid1(SALU_CYCLE_1)
	s_or_b32 exec_lo, exec_lo, s23
	s_mov_b32 s23, exec_lo
	v_cmpx_lt_u32_e32 0xffffff, v1
	s_cbranch_execz .LBB170_1105
; %bb.1098:                             ;   in Loop: Header=BB170_562 Depth=1
	v_mov_b64_e32 v[94:95], 0x8000000000000000
	v_lshrrev_b32_e32 v0, 24, v1
	s_mov_b32 s24, exec_lo
	s_delay_alu instid0(VALU_DEP_1)
	v_cmpx_ne_u32_e32 0x80, v0
	s_cbranch_execz .LBB170_1104
; %bb.1099:                             ;   in Loop: Header=BB170_562 Depth=1
	v_mov_b64_e32 v[94:95], 0x7f80000100000000
	v_bfe_u32 v105, v1, 24, 7
	s_mov_b32 s25, exec_lo
	s_delay_alu instid0(VALU_DEP_1)
	v_cmpx_ne_u32_e32 0x7f, v105
	s_cbranch_execz .LBB170_1103
; %bb.1100:                             ;   in Loop: Header=BB170_562 Depth=1
	v_dual_lshrrev_b32 v1, 3, v105 :: v_dual_bitop2_b32 v22, 7, v0 bitop3:0x40
	s_mov_b32 s27, exec_lo
	v_cmpx_gt_u32_e32 8, v105
; %bb.1101:                             ;   in Loop: Header=BB170_562 Depth=1
	s_delay_alu instid0(VALU_DEP_2) | instskip(NEXT) | instid1(VALU_DEP_1)
	v_clz_i32_u32_e32 v1, v22
	v_min_u32_e32 v1, 32, v1
	s_delay_alu instid0(VALU_DEP_1) | instskip(NEXT) | instid1(VALU_DEP_1)
	v_subrev_nc_u32_e32 v94, 28, v1
	v_lshlrev_b64_e32 v[94:95], v94, v[22:23]
	s_delay_alu instid0(VALU_DEP_1)
	v_dual_sub_nc_u32 v1, 29, v1 :: v_dual_bitop2_b32 v22, 7, v94 bitop3:0x40
; %bb.1102:                             ;   in Loop: Header=BB170_562 Depth=1
	s_or_b32 exec_lo, exec_lo, s27
	s_delay_alu instid0(VALU_DEP_1) | instskip(NEXT) | instid1(VALU_DEP_2)
	v_dual_lshlrev_b32 v0, 24, v0 :: v_dual_lshlrev_b32 v22, 20, v22
	v_lshl_add_u32 v1, v1, 23, 0x3c000000
	v_mov_b32_e32 v94, v23
	s_delay_alu instid0(VALU_DEP_3) | instskip(NEXT) | instid1(VALU_DEP_1)
	v_and_b32_e32 v0, 0x80000000, v0
	v_or3_b32 v95, v22, v0, v1
.LBB170_1103:                           ;   in Loop: Header=BB170_562 Depth=1
	s_or_b32 exec_lo, exec_lo, s25
.LBB170_1104:                           ;   in Loop: Header=BB170_562 Depth=1
	s_delay_alu instid0(SALU_CYCLE_1)
	s_or_b32 exec_lo, exec_lo, s24
.LBB170_1105:                           ;   in Loop: Header=BB170_562 Depth=1
	s_delay_alu instid0(SALU_CYCLE_1)
	s_or_b32 exec_lo, exec_lo, s23
	v_or_b32_e32 v1, v33, v93
	v_or_b32_e32 v0, v32, v92
	v_mov_b64_e32 v[32:33], s[8:9]
	v_or_b32_e32 v95, v95, v97
	v_or_b32_e32 v94, v94, v96
	s_delay_alu instid0(VALU_DEP_3) | instskip(NEXT) | instid1(VALU_DEP_2)
	v_pk_mul_f32 v[92:93], v[32:33], v[0:1]
	v_pk_mul_f32 v[32:33], v[32:33], v[94:95]
	s_and_saveexec_b32 s0, vcc_lo
	s_cbranch_execz .LBB170_560
; %bb.1106:                             ;   in Loop: Header=BB170_562 Depth=1
	v_cmp_gt_i32_e32 vcc_lo, s18, v104
	v_dual_cndmask_b32 v93, 0, v93, vcc_lo :: v_dual_bitop2_b32 v0, 3, v51 bitop3:0x54
	v_cmp_gt_i32_e32 vcc_lo, s35, v51
	v_dual_cndmask_b32 v92, 0, v92, vcc_lo :: v_dual_bitop2_b32 v1, 2, v51 bitop3:0x54
	s_delay_alu instid0(VALU_DEP_3) | instskip(SKIP_1) | instid1(VALU_DEP_3)
	v_cmp_gt_i32_e32 vcc_lo, s18, v0
	v_cndmask_b32_e32 v33, 0, v33, vcc_lo
	v_cmp_gt_i32_e32 vcc_lo, s35, v1
	v_cndmask_b32_e32 v32, 0, v32, vcc_lo
	s_branch .LBB170_560
.LBB170_1107:
	s_or_b32 exec_lo, exec_lo, s19
.LBB170_1108:
	s_delay_alu instid0(SALU_CYCLE_1)
	s_or_b32 exec_lo, exec_lo, s1
	scratch_load_b32 v35, off, off offset:32 ; 4-byte Folded Reload
	ds_bpermute_b32 v0, v99, v8
	ds_bpermute_b32 v1, v99, v9
	;; [unrolled: 1-line block ×14, first 2 shown]
	s_mov_b32 s0, exec_lo
	ds_bpermute_b32 v24, v99, v6
	ds_bpermute_b32 v25, v99, v7
	s_wait_loadcnt_dscnt 0x0
	s_barrier_signal -1
	s_barrier_wait -1
	v_pk_add_f32 v[22:23], v[8:9], v[0:1]
	v_lshrrev_b32_e32 v1, 1, v98
	v_pk_add_f32 v[20:21], v[20:21], v[2:3]
	v_pk_add_f32 v[18:19], v[18:19], v[4:5]
	;; [unrolled: 1-line block ×6, first 2 shown]
	v_and_b32_e32 v34, 0x3c1, v35
	s_delay_alu instid0(VALU_DEP_1) | instskip(SKIP_1) | instid1(SALU_CYCLE_1)
	v_cmpx_ne_u32_e32 64, v34
	s_xor_b32 s0, exec_lo, s0
	s_or_saveexec_b32 s0, s0
	scratch_load_b32 v0, off, off offset:36 th:TH_LOAD_LU ; 4-byte Folded Reload
	v_pk_add_f32 v[6:7], v[6:7], v[24:25]
	v_lshl_add_u32 v10, v1, 2, 0x420
	s_wait_loadcnt 0x0
	v_lshlrev_b32_e32 v0, 10, v0
	s_xor_b32 exec_lo, exec_lo, s0
	s_cbranch_execz .LBB170_1110
; %bb.1109:
	s_delay_alu instid0(VALU_DEP_1) | instskip(NEXT) | instid1(VALU_DEP_1)
	v_add_nc_u32_e32 v11, v10, v0
	v_add_nc_u32_e32 v12, 0xfffff800, v11
	;; [unrolled: 1-line block ×9, first 2 shown]
	ds_store_b32 v12, v22
	ds_store_b32 v13, v23
	;; [unrolled: 1-line block ×8, first 2 shown]
	v_add_nc_u32_e32 v12, 0xfffffa00, v11
	v_add_nc_u32_e32 v13, 0xfffffa40, v11
	;; [unrolled: 1-line block ×8, first 2 shown]
	ds_store_b32 v12, v8
	ds_store_b32 v13, v9
	;; [unrolled: 1-line block ×8, first 2 shown]
.LBB170_1110:
	s_or_b32 exec_lo, exec_lo, s0
	v_lshlrev_b32_e32 v1, 2, v1
	s_mov_b32 s1, exec_lo
	v_cmp_eq_u32_e32 vcc_lo, 0, v100
	s_wait_dscnt 0x0
	s_barrier_signal -1
	v_add3_u32 v1, 0x420, v0, v1
	s_barrier_wait -1
	v_cmpx_gt_u32_e32 64, v35
	s_cbranch_execz .LBB170_1129
; %bb.1111:
	s_and_saveexec_b32 s0, vcc_lo
	s_cbranch_execnz .LBB170_1153
; %bb.1112:
	s_or_b32 exec_lo, exec_lo, s0
	s_and_saveexec_b32 s0, vcc_lo
	s_cbranch_execnz .LBB170_1154
.LBB170_1113:
	s_or_b32 exec_lo, exec_lo, s0
	s_and_saveexec_b32 s0, vcc_lo
	s_cbranch_execnz .LBB170_1155
.LBB170_1114:
	s_or_b32 exec_lo, exec_lo, s0
	s_and_saveexec_b32 s0, vcc_lo
	s_cbranch_execnz .LBB170_1156
.LBB170_1115:
	s_or_b32 exec_lo, exec_lo, s0
	s_and_saveexec_b32 s0, vcc_lo
	s_cbranch_execnz .LBB170_1157
.LBB170_1116:
	s_or_b32 exec_lo, exec_lo, s0
	s_and_saveexec_b32 s0, vcc_lo
	s_cbranch_execnz .LBB170_1158
.LBB170_1117:
	s_or_b32 exec_lo, exec_lo, s0
	s_and_saveexec_b32 s0, vcc_lo
	s_cbranch_execnz .LBB170_1159
.LBB170_1118:
	s_or_b32 exec_lo, exec_lo, s0
	s_and_saveexec_b32 s0, vcc_lo
	s_cbranch_execnz .LBB170_1160
.LBB170_1119:
	s_or_b32 exec_lo, exec_lo, s0
	s_and_saveexec_b32 s0, vcc_lo
	s_cbranch_execnz .LBB170_1161
.LBB170_1120:
	s_or_b32 exec_lo, exec_lo, s0
	s_and_saveexec_b32 s0, vcc_lo
	s_cbranch_execnz .LBB170_1162
.LBB170_1121:
	s_or_b32 exec_lo, exec_lo, s0
	s_and_saveexec_b32 s0, vcc_lo
	s_cbranch_execnz .LBB170_1163
.LBB170_1122:
	s_or_b32 exec_lo, exec_lo, s0
	s_and_saveexec_b32 s0, vcc_lo
	s_cbranch_execnz .LBB170_1164
.LBB170_1123:
	s_or_b32 exec_lo, exec_lo, s0
	s_and_saveexec_b32 s0, vcc_lo
	s_cbranch_execnz .LBB170_1165
.LBB170_1124:
	s_or_b32 exec_lo, exec_lo, s0
	s_and_saveexec_b32 s0, vcc_lo
	s_cbranch_execnz .LBB170_1166
.LBB170_1125:
	s_or_b32 exec_lo, exec_lo, s0
	s_and_saveexec_b32 s0, vcc_lo
	s_cbranch_execnz .LBB170_1167
.LBB170_1126:
	s_or_b32 exec_lo, exec_lo, s0
	s_and_saveexec_b32 s0, vcc_lo
	s_cbranch_execz .LBB170_1128
.LBB170_1127:
	ds_load_b32 v0, v1 offset:960
	s_wait_dscnt 0x0
	v_add_f32_e32 v7, v7, v0
.LBB170_1128:
	s_or_b32 exec_lo, exec_lo, s0
.LBB170_1129:
	s_delay_alu instid0(SALU_CYCLE_1) | instskip(SKIP_4) | instid1(VALU_DEP_1)
	s_or_b32 exec_lo, exec_lo, s1
	v_and_b32_e32 v11, 0x3e1, v35
	s_mov_b32 s1, exec_lo
	s_barrier_signal -1
	s_barrier_wait -1
	v_cmpx_eq_u32_e32 32, v11
	s_cbranch_execz .LBB170_1131
; %bb.1130:
	ds_store_2addr_b32 v10, v22, v23 offset1:16
	ds_store_2addr_b32 v10, v20, v21 offset0:32 offset1:48
	ds_store_2addr_b32 v10, v18, v19 offset0:64 offset1:80
	;; [unrolled: 1-line block ×7, first 2 shown]
.LBB170_1131:
	s_or_b32 exec_lo, exec_lo, s1
	s_delay_alu instid0(SALU_CYCLE_1)
	s_mov_b32 s1, exec_lo
	s_wait_dscnt 0x0
	s_barrier_signal -1
	s_barrier_wait -1
	v_cmpx_gt_u32_e32 32, v35
	s_cbranch_execz .LBB170_1150
; %bb.1132:
	s_and_saveexec_b32 s0, vcc_lo
	s_cbranch_execnz .LBB170_1168
; %bb.1133:
	s_or_b32 exec_lo, exec_lo, s0
	s_and_saveexec_b32 s0, vcc_lo
	s_cbranch_execnz .LBB170_1169
.LBB170_1134:
	s_or_b32 exec_lo, exec_lo, s0
	s_and_saveexec_b32 s0, vcc_lo
	s_cbranch_execnz .LBB170_1170
.LBB170_1135:
	s_or_b32 exec_lo, exec_lo, s0
	s_and_saveexec_b32 s0, vcc_lo
	s_cbranch_execnz .LBB170_1171
.LBB170_1136:
	s_or_b32 exec_lo, exec_lo, s0
	s_and_saveexec_b32 s0, vcc_lo
	s_cbranch_execnz .LBB170_1172
.LBB170_1137:
	s_or_b32 exec_lo, exec_lo, s0
	s_and_saveexec_b32 s0, vcc_lo
	s_cbranch_execnz .LBB170_1173
.LBB170_1138:
	s_or_b32 exec_lo, exec_lo, s0
	s_and_saveexec_b32 s0, vcc_lo
	s_cbranch_execnz .LBB170_1174
.LBB170_1139:
	s_or_b32 exec_lo, exec_lo, s0
	s_and_saveexec_b32 s0, vcc_lo
	s_cbranch_execnz .LBB170_1175
.LBB170_1140:
	s_or_b32 exec_lo, exec_lo, s0
	s_and_saveexec_b32 s0, vcc_lo
	s_cbranch_execnz .LBB170_1176
.LBB170_1141:
	s_or_b32 exec_lo, exec_lo, s0
	s_and_saveexec_b32 s0, vcc_lo
	s_cbranch_execnz .LBB170_1177
.LBB170_1142:
	s_or_b32 exec_lo, exec_lo, s0
	s_and_saveexec_b32 s0, vcc_lo
	s_cbranch_execnz .LBB170_1178
.LBB170_1143:
	s_or_b32 exec_lo, exec_lo, s0
	s_and_saveexec_b32 s0, vcc_lo
	s_cbranch_execnz .LBB170_1179
.LBB170_1144:
	s_or_b32 exec_lo, exec_lo, s0
	s_and_saveexec_b32 s0, vcc_lo
	s_cbranch_execnz .LBB170_1180
.LBB170_1145:
	s_or_b32 exec_lo, exec_lo, s0
	s_and_saveexec_b32 s0, vcc_lo
	s_cbranch_execnz .LBB170_1181
.LBB170_1146:
	s_or_b32 exec_lo, exec_lo, s0
	s_and_saveexec_b32 s0, vcc_lo
	s_cbranch_execnz .LBB170_1182
.LBB170_1147:
	s_or_b32 exec_lo, exec_lo, s0
	s_and_saveexec_b32 s0, vcc_lo
	s_cbranch_execz .LBB170_1149
.LBB170_1148:
	ds_load_b32 v0, v1 offset:960
	s_wait_dscnt 0x0
	v_add_f32_e32 v7, v7, v0
.LBB170_1149:
	s_or_b32 exec_lo, exec_lo, s0
.LBB170_1150:
	s_delay_alu instid0(SALU_CYCLE_1)
	s_or_b32 exec_lo, exec_lo, s1
	s_mov_b32 s1, 0
	s_barrier_signal -1
	s_barrier_wait -1
	s_mov_b32 s0, exec_lo
	v_cmpx_eq_u32_e32 0, v11
	s_cbranch_execz .LBB170_1152
; %bb.1151:
	s_mul_i32 s0, s33, s34
	s_mul_i32 s2, s34, s6
	;; [unrolled: 1-line block ×3, first 2 shown]
	s_wait_kmcnt 0x0
	s_lshr_b32 s8, ttmp7, 16
	s_lshl_b32 s6, s0, 8
	s_bfe_u32 s0, ttmp6, 0x40014
	s_ashr_i32 s7, s6, 31
	s_add_co_i32 s0, s0, 1
	s_lshl_b64 s[6:7], s[6:7], 2
	s_ashr_i32 s3, s2, 31
	s_add_nc_u64 s[4:5], s[4:5], s[6:7]
	s_mul_i32 s0, s8, s0
	s_bfe_u32 s6, ttmp6, 0x40008
	s_lshl_b64 s[2:3], s[2:3], 2
	s_add_co_i32 s6, s6, s0
	s_cmp_eq_u32 s30, 0
	v_lshlrev_b32_e32 v0, 1, v35
	s_cselect_b32 s0, s8, s6
	s_add_nc_u64 s[2:3], s[4:5], s[2:3]
	s_lshl_b32 s0, s0, 10
	s_delay_alu instid0(SALU_CYCLE_1)
	s_add_nc_u64 s[0:1], s[2:3], s[0:1]
	s_clause 0xf
	global_store_b32 v0, v22, s[0:1]
	global_store_b32 v0, v23, s[0:1] offset:64
	global_store_b32 v0, v20, s[0:1] offset:128
	;; [unrolled: 1-line block ×15, first 2 shown]
.LBB170_1152:
	s_sendmsg sendmsg(MSG_DEALLOC_VGPRS)
	s_endpgm
.LBB170_1153:
	ds_load_b32 v0, v1
	s_wait_dscnt 0x0
	v_add_f32_e32 v22, v22, v0
	s_or_b32 exec_lo, exec_lo, s0
	s_and_saveexec_b32 s0, vcc_lo
	s_cbranch_execz .LBB170_1113
.LBB170_1154:
	ds_load_b32 v0, v1 offset:64
	s_wait_dscnt 0x0
	v_add_f32_e32 v23, v23, v0
	s_or_b32 exec_lo, exec_lo, s0
	s_and_saveexec_b32 s0, vcc_lo
	s_cbranch_execz .LBB170_1114
.LBB170_1155:
	ds_load_b32 v0, v1 offset:128
	s_wait_dscnt 0x0
	v_add_f32_e32 v20, v20, v0
	s_or_b32 exec_lo, exec_lo, s0
	s_and_saveexec_b32 s0, vcc_lo
	s_cbranch_execz .LBB170_1115
.LBB170_1156:
	ds_load_b32 v0, v1 offset:192
	s_wait_dscnt 0x0
	v_add_f32_e32 v21, v21, v0
	s_or_b32 exec_lo, exec_lo, s0
	s_and_saveexec_b32 s0, vcc_lo
	s_cbranch_execz .LBB170_1116
.LBB170_1157:
	ds_load_b32 v0, v1 offset:256
	s_wait_dscnt 0x0
	v_add_f32_e32 v18, v18, v0
	s_or_b32 exec_lo, exec_lo, s0
	s_and_saveexec_b32 s0, vcc_lo
	s_cbranch_execz .LBB170_1117
.LBB170_1158:
	ds_load_b32 v0, v1 offset:320
	s_wait_dscnt 0x0
	v_add_f32_e32 v19, v19, v0
	s_or_b32 exec_lo, exec_lo, s0
	s_and_saveexec_b32 s0, vcc_lo
	s_cbranch_execz .LBB170_1118
.LBB170_1159:
	ds_load_b32 v0, v1 offset:384
	s_wait_dscnt 0x0
	v_add_f32_e32 v16, v16, v0
	s_or_b32 exec_lo, exec_lo, s0
	s_and_saveexec_b32 s0, vcc_lo
	s_cbranch_execz .LBB170_1119
.LBB170_1160:
	ds_load_b32 v0, v1 offset:448
	s_wait_dscnt 0x0
	v_add_f32_e32 v17, v17, v0
	s_or_b32 exec_lo, exec_lo, s0
	s_and_saveexec_b32 s0, vcc_lo
	s_cbranch_execz .LBB170_1120
.LBB170_1161:
	ds_load_b32 v0, v1 offset:512
	s_wait_dscnt 0x0
	v_add_f32_e32 v8, v8, v0
	s_or_b32 exec_lo, exec_lo, s0
	s_and_saveexec_b32 s0, vcc_lo
	s_cbranch_execz .LBB170_1121
.LBB170_1162:
	ds_load_b32 v0, v1 offset:576
	s_wait_dscnt 0x0
	v_add_f32_e32 v9, v9, v0
	s_or_b32 exec_lo, exec_lo, s0
	s_and_saveexec_b32 s0, vcc_lo
	s_cbranch_execz .LBB170_1122
.LBB170_1163:
	ds_load_b32 v0, v1 offset:640
	s_wait_dscnt 0x0
	v_add_f32_e32 v4, v4, v0
	s_or_b32 exec_lo, exec_lo, s0
	s_and_saveexec_b32 s0, vcc_lo
	s_cbranch_execz .LBB170_1123
.LBB170_1164:
	ds_load_b32 v0, v1 offset:704
	s_wait_dscnt 0x0
	v_add_f32_e32 v5, v5, v0
	s_or_b32 exec_lo, exec_lo, s0
	s_and_saveexec_b32 s0, vcc_lo
	s_cbranch_execz .LBB170_1124
.LBB170_1165:
	ds_load_b32 v0, v1 offset:768
	s_wait_dscnt 0x0
	v_add_f32_e32 v2, v2, v0
	s_or_b32 exec_lo, exec_lo, s0
	s_and_saveexec_b32 s0, vcc_lo
	s_cbranch_execz .LBB170_1125
.LBB170_1166:
	ds_load_b32 v0, v1 offset:832
	s_wait_dscnt 0x0
	v_add_f32_e32 v3, v3, v0
	s_or_b32 exec_lo, exec_lo, s0
	s_and_saveexec_b32 s0, vcc_lo
	s_cbranch_execz .LBB170_1126
.LBB170_1167:
	ds_load_b32 v0, v1 offset:896
	s_wait_dscnt 0x0
	v_add_f32_e32 v6, v6, v0
	s_or_b32 exec_lo, exec_lo, s0
	s_and_saveexec_b32 s0, vcc_lo
	s_cbranch_execnz .LBB170_1127
	s_branch .LBB170_1128
.LBB170_1168:
	ds_load_b32 v0, v1
	s_wait_dscnt 0x0
	v_add_f32_e32 v22, v22, v0
	s_or_b32 exec_lo, exec_lo, s0
	s_and_saveexec_b32 s0, vcc_lo
	s_cbranch_execz .LBB170_1134
.LBB170_1169:
	ds_load_b32 v0, v1 offset:64
	s_wait_dscnt 0x0
	v_add_f32_e32 v23, v23, v0
	s_or_b32 exec_lo, exec_lo, s0
	s_and_saveexec_b32 s0, vcc_lo
	s_cbranch_execz .LBB170_1135
.LBB170_1170:
	ds_load_b32 v0, v1 offset:128
	s_wait_dscnt 0x0
	v_add_f32_e32 v20, v20, v0
	s_or_b32 exec_lo, exec_lo, s0
	s_and_saveexec_b32 s0, vcc_lo
	s_cbranch_execz .LBB170_1136
.LBB170_1171:
	ds_load_b32 v0, v1 offset:192
	s_wait_dscnt 0x0
	v_add_f32_e32 v21, v21, v0
	s_or_b32 exec_lo, exec_lo, s0
	s_and_saveexec_b32 s0, vcc_lo
	s_cbranch_execz .LBB170_1137
.LBB170_1172:
	ds_load_b32 v0, v1 offset:256
	s_wait_dscnt 0x0
	v_add_f32_e32 v18, v18, v0
	s_or_b32 exec_lo, exec_lo, s0
	s_and_saveexec_b32 s0, vcc_lo
	s_cbranch_execz .LBB170_1138
.LBB170_1173:
	ds_load_b32 v0, v1 offset:320
	s_wait_dscnt 0x0
	v_add_f32_e32 v19, v19, v0
	s_or_b32 exec_lo, exec_lo, s0
	s_and_saveexec_b32 s0, vcc_lo
	s_cbranch_execz .LBB170_1139
.LBB170_1174:
	ds_load_b32 v0, v1 offset:384
	s_wait_dscnt 0x0
	v_add_f32_e32 v16, v16, v0
	s_or_b32 exec_lo, exec_lo, s0
	s_and_saveexec_b32 s0, vcc_lo
	s_cbranch_execz .LBB170_1140
.LBB170_1175:
	ds_load_b32 v0, v1 offset:448
	s_wait_dscnt 0x0
	v_add_f32_e32 v17, v17, v0
	s_or_b32 exec_lo, exec_lo, s0
	s_and_saveexec_b32 s0, vcc_lo
	s_cbranch_execz .LBB170_1141
.LBB170_1176:
	ds_load_b32 v0, v1 offset:512
	s_wait_dscnt 0x0
	v_add_f32_e32 v8, v8, v0
	s_or_b32 exec_lo, exec_lo, s0
	s_and_saveexec_b32 s0, vcc_lo
	s_cbranch_execz .LBB170_1142
.LBB170_1177:
	ds_load_b32 v0, v1 offset:576
	s_wait_dscnt 0x0
	v_add_f32_e32 v9, v9, v0
	s_or_b32 exec_lo, exec_lo, s0
	s_and_saveexec_b32 s0, vcc_lo
	s_cbranch_execz .LBB170_1143
.LBB170_1178:
	ds_load_b32 v0, v1 offset:640
	s_wait_dscnt 0x0
	v_add_f32_e32 v4, v4, v0
	s_or_b32 exec_lo, exec_lo, s0
	s_and_saveexec_b32 s0, vcc_lo
	s_cbranch_execz .LBB170_1144
.LBB170_1179:
	ds_load_b32 v0, v1 offset:704
	s_wait_dscnt 0x0
	v_add_f32_e32 v5, v5, v0
	s_or_b32 exec_lo, exec_lo, s0
	s_and_saveexec_b32 s0, vcc_lo
	s_cbranch_execz .LBB170_1145
.LBB170_1180:
	ds_load_b32 v0, v1 offset:768
	s_wait_dscnt 0x0
	v_add_f32_e32 v2, v2, v0
	s_or_b32 exec_lo, exec_lo, s0
	s_and_saveexec_b32 s0, vcc_lo
	s_cbranch_execz .LBB170_1146
.LBB170_1181:
	ds_load_b32 v0, v1 offset:832
	s_wait_dscnt 0x0
	v_add_f32_e32 v3, v3, v0
	s_or_b32 exec_lo, exec_lo, s0
	s_and_saveexec_b32 s0, vcc_lo
	s_cbranch_execz .LBB170_1147
.LBB170_1182:
	ds_load_b32 v0, v1 offset:896
	s_wait_dscnt 0x0
	v_add_f32_e32 v6, v6, v0
	s_or_b32 exec_lo, exec_lo, s0
	s_and_saveexec_b32 s0, vcc_lo
	s_cbranch_execnz .LBB170_1148
	s_branch .LBB170_1149
	.section	.rodata,"a",@progbits
	.p2align	6, 0x0
	.amdhsa_kernel _ZN4vllm25paged_attention_v1_kernelIfhLi256ELi8ELi128ELNS_18Fp8KVCacheDataTypeE1ELb1EEEvPT_PKS2_PKT0_S8_ifPKiSA_iPKfiiiSC_SC_iiiii
		.amdhsa_group_segment_fixed_size 1056
		.amdhsa_private_segment_fixed_size 52
		.amdhsa_kernarg_size 384
		.amdhsa_user_sgpr_count 2
		.amdhsa_user_sgpr_dispatch_ptr 0
		.amdhsa_user_sgpr_queue_ptr 0
		.amdhsa_user_sgpr_kernarg_segment_ptr 1
		.amdhsa_user_sgpr_dispatch_id 0
		.amdhsa_user_sgpr_kernarg_preload_length 0
		.amdhsa_user_sgpr_kernarg_preload_offset 0
		.amdhsa_user_sgpr_private_segment_size 0
		.amdhsa_wavefront_size32 1
		.amdhsa_uses_dynamic_stack 0
		.amdhsa_enable_private_segment 1
		.amdhsa_system_sgpr_workgroup_id_x 1
		.amdhsa_system_sgpr_workgroup_id_y 1
		.amdhsa_system_sgpr_workgroup_id_z 1
		.amdhsa_system_sgpr_workgroup_info 0
		.amdhsa_system_vgpr_workitem_id 0
		.amdhsa_next_free_vgpr 128
		.amdhsa_next_free_sgpr 46
		.amdhsa_named_barrier_count 0
		.amdhsa_reserve_vcc 1
		.amdhsa_float_round_mode_32 0
		.amdhsa_float_round_mode_16_64 0
		.amdhsa_float_denorm_mode_32 3
		.amdhsa_float_denorm_mode_16_64 3
		.amdhsa_fp16_overflow 0
		.amdhsa_memory_ordered 1
		.amdhsa_forward_progress 1
		.amdhsa_inst_pref_size 255
		.amdhsa_round_robin_scheduling 0
		.amdhsa_exception_fp_ieee_invalid_op 0
		.amdhsa_exception_fp_denorm_src 0
		.amdhsa_exception_fp_ieee_div_zero 0
		.amdhsa_exception_fp_ieee_overflow 0
		.amdhsa_exception_fp_ieee_underflow 0
		.amdhsa_exception_fp_ieee_inexact 0
		.amdhsa_exception_int_div_zero 0
	.end_amdhsa_kernel
	.section	.text._ZN4vllm25paged_attention_v1_kernelIfhLi256ELi8ELi128ELNS_18Fp8KVCacheDataTypeE1ELb1EEEvPT_PKS2_PKT0_S8_ifPKiSA_iPKfiiiSC_SC_iiiii,"axG",@progbits,_ZN4vllm25paged_attention_v1_kernelIfhLi256ELi8ELi128ELNS_18Fp8KVCacheDataTypeE1ELb1EEEvPT_PKS2_PKT0_S8_ifPKiSA_iPKfiiiSC_SC_iiiii,comdat
.Lfunc_end170:
	.size	_ZN4vllm25paged_attention_v1_kernelIfhLi256ELi8ELi128ELNS_18Fp8KVCacheDataTypeE1ELb1EEEvPT_PKS2_PKT0_S8_ifPKiSA_iPKfiiiSC_SC_iiiii, .Lfunc_end170-_ZN4vllm25paged_attention_v1_kernelIfhLi256ELi8ELi128ELNS_18Fp8KVCacheDataTypeE1ELb1EEEvPT_PKS2_PKT0_S8_ifPKiSA_iPKfiiiSC_SC_iiiii
                                        ; -- End function
	.set _ZN4vllm25paged_attention_v1_kernelIfhLi256ELi8ELi128ELNS_18Fp8KVCacheDataTypeE1ELb1EEEvPT_PKS2_PKT0_S8_ifPKiSA_iPKfiiiSC_SC_iiiii.num_vgpr, 128
	.set _ZN4vllm25paged_attention_v1_kernelIfhLi256ELi8ELi128ELNS_18Fp8KVCacheDataTypeE1ELb1EEEvPT_PKS2_PKT0_S8_ifPKiSA_iPKfiiiSC_SC_iiiii.num_agpr, 0
	.set _ZN4vllm25paged_attention_v1_kernelIfhLi256ELi8ELi128ELNS_18Fp8KVCacheDataTypeE1ELb1EEEvPT_PKS2_PKT0_S8_ifPKiSA_iPKfiiiSC_SC_iiiii.numbered_sgpr, 46
	.set _ZN4vllm25paged_attention_v1_kernelIfhLi256ELi8ELi128ELNS_18Fp8KVCacheDataTypeE1ELb1EEEvPT_PKS2_PKT0_S8_ifPKiSA_iPKfiiiSC_SC_iiiii.num_named_barrier, 0
	.set _ZN4vllm25paged_attention_v1_kernelIfhLi256ELi8ELi128ELNS_18Fp8KVCacheDataTypeE1ELb1EEEvPT_PKS2_PKT0_S8_ifPKiSA_iPKfiiiSC_SC_iiiii.private_seg_size, 52
	.set _ZN4vllm25paged_attention_v1_kernelIfhLi256ELi8ELi128ELNS_18Fp8KVCacheDataTypeE1ELb1EEEvPT_PKS2_PKT0_S8_ifPKiSA_iPKfiiiSC_SC_iiiii.uses_vcc, 1
	.set _ZN4vllm25paged_attention_v1_kernelIfhLi256ELi8ELi128ELNS_18Fp8KVCacheDataTypeE1ELb1EEEvPT_PKS2_PKT0_S8_ifPKiSA_iPKfiiiSC_SC_iiiii.uses_flat_scratch, 1
	.set _ZN4vllm25paged_attention_v1_kernelIfhLi256ELi8ELi128ELNS_18Fp8KVCacheDataTypeE1ELb1EEEvPT_PKS2_PKT0_S8_ifPKiSA_iPKfiiiSC_SC_iiiii.has_dyn_sized_stack, 0
	.set _ZN4vllm25paged_attention_v1_kernelIfhLi256ELi8ELi128ELNS_18Fp8KVCacheDataTypeE1ELb1EEEvPT_PKS2_PKT0_S8_ifPKiSA_iPKfiiiSC_SC_iiiii.has_recursion, 0
	.set _ZN4vllm25paged_attention_v1_kernelIfhLi256ELi8ELi128ELNS_18Fp8KVCacheDataTypeE1ELb1EEEvPT_PKS2_PKT0_S8_ifPKiSA_iPKfiiiSC_SC_iiiii.has_indirect_call, 0
	.section	.AMDGPU.csdata,"",@progbits
; Kernel info:
; codeLenInByte = 39900
; TotalNumSgprs: 48
; NumVgprs: 128
; ScratchSize: 52
; MemoryBound: 0
; FloatMode: 240
; IeeeMode: 1
; LDSByteSize: 1056 bytes/workgroup (compile time only)
; SGPRBlocks: 0
; VGPRBlocks: 7
; NumSGPRsForWavesPerEU: 48
; NumVGPRsForWavesPerEU: 128
; NamedBarCnt: 0
; Occupancy: 8
; WaveLimiterHint : 1
; COMPUTE_PGM_RSRC2:SCRATCH_EN: 1
; COMPUTE_PGM_RSRC2:USER_SGPR: 2
; COMPUTE_PGM_RSRC2:TRAP_HANDLER: 0
; COMPUTE_PGM_RSRC2:TGID_X_EN: 1
; COMPUTE_PGM_RSRC2:TGID_Y_EN: 1
; COMPUTE_PGM_RSRC2:TGID_Z_EN: 1
; COMPUTE_PGM_RSRC2:TIDIG_COMP_CNT: 0
	.section	.text._ZN4vllm25paged_attention_v1_kernelIfhLi32ELi8ELi128ELNS_18Fp8KVCacheDataTypeE1ELb0EEEvPT_PKS2_PKT0_S8_ifPKiSA_iPKfiiiSC_SC_iiiii,"axG",@progbits,_ZN4vllm25paged_attention_v1_kernelIfhLi32ELi8ELi128ELNS_18Fp8KVCacheDataTypeE1ELb0EEEvPT_PKS2_PKT0_S8_ifPKiSA_iPKfiiiSC_SC_iiiii,comdat
	.protected	_ZN4vllm25paged_attention_v1_kernelIfhLi32ELi8ELi128ELNS_18Fp8KVCacheDataTypeE1ELb0EEEvPT_PKS2_PKT0_S8_ifPKiSA_iPKfiiiSC_SC_iiiii ; -- Begin function _ZN4vllm25paged_attention_v1_kernelIfhLi32ELi8ELi128ELNS_18Fp8KVCacheDataTypeE1ELb0EEEvPT_PKS2_PKT0_S8_ifPKiSA_iPKfiiiSC_SC_iiiii
	.globl	_ZN4vllm25paged_attention_v1_kernelIfhLi32ELi8ELi128ELNS_18Fp8KVCacheDataTypeE1ELb0EEEvPT_PKS2_PKT0_S8_ifPKiSA_iPKfiiiSC_SC_iiiii
	.p2align	8
	.type	_ZN4vllm25paged_attention_v1_kernelIfhLi32ELi8ELi128ELNS_18Fp8KVCacheDataTypeE1ELb0EEEvPT_PKS2_PKT0_S8_ifPKiSA_iPKfiiiSC_SC_iiiii,@function
_ZN4vllm25paged_attention_v1_kernelIfhLi32ELi8ELi128ELNS_18Fp8KVCacheDataTypeE1ELb0EEEvPT_PKS2_PKT0_S8_ifPKiSA_iPKfiiiSC_SC_iiiii: ; @_ZN4vllm25paged_attention_v1_kernelIfhLi32ELi8ELi128ELNS_18Fp8KVCacheDataTypeE1ELb0EEEvPT_PKS2_PKT0_S8_ifPKiSA_iPKfiiiSC_SC_iiiii
; %bb.0:
	s_load_b64 s[10:11], s[0:1], 0x20
	s_bfe_u32 s3, ttmp6, 0x4000c
	s_bfe_u32 s5, ttmp6, 0x40010
	s_and_b32 s4, ttmp7, 0xffff
	s_add_co_i32 s3, s3, 1
	s_add_co_i32 s5, s5, 1
	s_and_b32 s2, ttmp6, 15
	s_bfe_u32 s6, ttmp6, 0x40004
	s_mul_i32 s3, ttmp9, s3
	s_mul_i32 s5, s4, s5
	s_getreg_b32 s22, hwreg(HW_REG_IB_STS2, 6, 4)
	s_add_co_i32 s7, s2, s3
	s_add_co_i32 s6, s6, s5
	s_cmp_eq_u32 s22, 0
	s_clause 0x1
	s_load_b32 s23, s[0:1], 0x80
	s_load_b64 s[2:3], s[0:1], 0x30
	s_cselect_b32 s24, s4, s6
	s_cselect_b32 s4, ttmp9, s7
	s_wait_kmcnt 0x0
	s_abs_i32 s5, s10
	s_delay_alu instid0(SALU_CYCLE_1) | instskip(SKIP_1) | instid1(SALU_CYCLE_2)
	s_cvt_f32_u32 s6, s5
	s_sub_co_i32 s7, 0, s5
	v_rcp_iflag_f32_e32 v1, s6
	s_abs_i32 s8, s23
	v_nop
	s_delay_alu instid0(TRANS32_DEP_1) | instskip(SKIP_1) | instid1(SALU_CYCLE_3)
	v_readfirstlane_b32 s6, v1
	s_mul_f32 s6, s6, 0x4f7ffffe
	s_cvt_u32_f32 s6, s6
	s_delay_alu instid0(SALU_CYCLE_3) | instskip(NEXT) | instid1(SALU_CYCLE_1)
	s_mul_i32 s7, s7, s6
	s_mul_hi_u32 s7, s6, s7
	s_delay_alu instid0(SALU_CYCLE_1) | instskip(SKIP_4) | instid1(SALU_CYCLE_1)
	s_add_co_i32 s6, s6, s7
	s_xor_b32 s7, s23, s10
	s_mul_hi_u32 s6, s8, s6
	s_ashr_i32 s7, s7, 31
	s_mul_i32 s9, s6, s5
	s_sub_co_i32 s8, s8, s9
	s_add_co_i32 s9, s6, 1
	s_sub_co_i32 s10, s8, s5
	s_cmp_ge_u32 s8, s5
	s_cselect_b32 s6, s9, s6
	s_cselect_b32 s8, s10, s8
	s_add_co_i32 s9, s6, 1
	s_cmp_ge_u32 s8, s5
	s_cselect_b32 s5, s9, s6
	s_load_b64 s[8:9], s[0:1], 0x40
	s_xor_b32 s5, s5, s7
	s_delay_alu instid0(SALU_CYCLE_1)
	s_sub_co_i32 s14, s5, s7
	s_mov_b32 s7, 0
	s_abs_i32 s16, s14
	s_mov_b32 s13, s7
	s_cvt_f32_u32 s5, s16
	s_sub_co_i32 s6, 0, s16
	s_mov_b32 s20, s7
	s_delay_alu instid0(SALU_CYCLE_1) | instskip(SKIP_1) | instid1(TRANS32_DEP_1)
	v_rcp_iflag_f32_e32 v1, s5
	v_nop
	v_readfirstlane_b32 s5, v1
	s_mul_f32 s5, s5, 0x4f7ffffe
	s_delay_alu instid0(SALU_CYCLE_3) | instskip(NEXT) | instid1(SALU_CYCLE_3)
	s_cvt_u32_f32 s5, s5
	s_mul_i32 s6, s6, s5
	s_delay_alu instid0(SALU_CYCLE_1)
	s_mul_hi_u32 s10, s5, s6
	s_abs_i32 s6, s4
	s_add_co_i32 s12, s5, s10
	s_wait_kmcnt 0x0
	s_cmp_eq_u64 s[8:9], 0
	s_cbranch_scc1 .LBB171_2
; %bb.1:
	s_ashr_i32 s5, s4, 31
	s_delay_alu instid0(SALU_CYCLE_1) | instskip(NEXT) | instid1(SALU_CYCLE_1)
	s_lshl_b64 s[18:19], s[4:5], 2
	s_add_nc_u64 s[8:9], s[8:9], s[18:19]
	s_load_b32 s20, s[8:9], 0x0
.LBB171_2:
	s_load_b32 s25, s[2:3], s24 offset:0x0 scale_offset
	s_wait_xcnt 0x0
	s_load_b96 s[8:10], s[0:1], 0x48
	v_and_b32_e32 v12, 3, v0
	v_cmp_gt_u32_e64 s2, 32, v0
	s_ashr_i32 s3, s4, 31
	s_ashr_i32 s5, s14, 31
	s_mul_u64 s[14:15], s[6:7], s[12:13]
	s_lshl_b32 s12, s4, 5
	s_and_saveexec_b32 s4, s2
	s_cbranch_execz .LBB171_4
; %bb.3:
	s_load_b64 s[18:19], s[0:1], 0x8
	s_wait_kmcnt 0x0
	s_mul_i32 s26, s8, s24
	s_ashr_i32 s13, s12, 31
	s_ashr_i32 s27, s26, 31
	v_and_b32_e32 v2, 0x3fc, v0
	s_lshl_b64 s[26:27], s[26:27], 2
	s_delay_alu instid0(VALU_DEP_1) | instskip(SKIP_2) | instid1(SALU_CYCLE_1)
	v_lshl_add_u32 v2, v12, 5, v2
	s_add_nc_u64 s[18:19], s[18:19], s[26:27]
	s_lshl_b64 s[26:27], s[12:13], 2
	s_add_nc_u64 s[18:19], s[18:19], s[26:27]
	global_load_b32 v1, v0, s[18:19] scale_offset
	s_wait_loadcnt 0x0
	ds_store_b32 v2, v1
.LBB171_4:
	s_or_b32 exec_lo, exec_lo, s4
	s_wait_kmcnt 0x0
	s_add_co_i32 s4, s25, 7
	s_load_b32 s7, s[0:1], 0x38
	s_ashr_i32 s8, s4, 31
	s_xor_b32 s3, s3, s5
	s_lshr_b32 s5, s8, 29
	s_mul_i32 s8, s15, s16
	s_add_co_i32 s4, s4, s5
	s_sub_co_i32 s5, s6, s8
	s_ashr_i32 s13, s4, 3
	s_add_co_i32 s4, s15, 1
	s_sub_co_i32 s6, s5, s16
	s_cmp_ge_u32 s5, s16
	v_lshrrev_b32_e32 v1, 5, v0
	s_cselect_b32 s4, s4, s15
	s_cselect_b32 s5, s6, s5
	s_add_co_i32 s6, s4, 1
	s_cmp_ge_u32 s5, s16
	v_mbcnt_lo_u32_b32 v19, -1, 0
	s_cselect_b32 s4, s6, s4
	s_wait_dscnt 0x0
	s_xor_b32 s4, s4, s3
	s_wait_kmcnt 0x0
	s_mul_i32 s14, s7, s24
	s_sub_co_i32 s18, s4, s3
	v_cmp_gt_i32_e64 s3, s13, v1
	s_ashr_i32 s15, s14, 31
	s_mov_b32 s4, exec_lo
	s_barrier_signal -1
	s_barrier_wait -1
                                        ; implicit-def: $vgpr11
                                        ; implicit-def: $vgpr20
	v_cmpx_le_i32_e64 s13, v1
	s_xor_b32 s4, exec_lo, s4
; %bb.5:
	v_dual_mov_b32 v11, 0 :: v_dual_mov_b32 v20, 32
	v_mbcnt_lo_u32_b32 v19, -1, 0
                                        ; implicit-def: $vgpr12
; %bb.6:
	s_or_saveexec_b32 s21, s4
	s_clause 0x2
	s_load_b32 s8, s[0:1], 0x88
	s_load_b64 s[16:17], s[0:1], 0x28
	s_load_b128 s[4:7], s[0:1], 0x58
	v_dual_mov_b32 v21, 0xff7fffff :: v_dual_lshrrev_b32 v18, 3, v0
	s_mul_i32 s18, s18, s10
	s_xor_b32 exec_lo, exec_lo, s21
	s_cbranch_execz .LBB171_76
; %bb.7:
	s_load_b64 s[26:27], s[0:1], 0x10
	v_dual_mov_b32 v20, 32 :: v_dual_bitop2_b32 v13, 2, v19 bitop3:0x14
	v_dual_mov_b32 v11, 0 :: v_dual_lshlrev_b32 v6, 5, v12
	v_bfe_u32 v16, v0, 2, 3
	v_xor_b32_e32 v14, 1, v19
	s_wait_kmcnt 0x0
	s_load_b32 s10, s[4:5], 0x0
	s_wait_xcnt 0x0
	v_cmp_gt_i32_e64 s4, 32, v13
	ds_load_b128 v[2:5], v6
	ds_load_b128 v[6:9], v6 offset:16
	v_lshlrev_b32_e32 v10, 4, v16
	s_ashr_i32 s19, s18, 31
	s_cmp_neq_f32 s20, 0
	v_cndmask_b32_e64 v17, v19, v13, s4
	v_cmp_gt_i32_e64 s4, 32, v14
	v_dual_mov_b32 v13, v11 :: v_dual_lshlrev_b32 v24, 2, v16
	v_lshl_or_b32 v22, v1, 3, v16
	v_cmp_eq_u32_e32 vcc_lo, 0, v12
	s_delay_alu instid0(VALU_DEP_4)
	v_cndmask_b32_e64 v21, v19, v14, s4
	s_add_nc_u64 s[26:27], s[26:27], s[18:19]
	s_cselect_b32 s4, -1, 0
	v_add_nc_u64_e32 v[14:15], s[26:27], v[10:11]
	v_and_b32_e32 v10, 0x7c, v18
	s_lshl_b64 s[26:27], s[14:15], 2
	v_lshl_or_b32 v16, v1, 5, v24
	s_add_nc_u64 s[26:27], s[16:17], s[26:27]
	v_dual_mov_b32 v26, v1 :: v_dual_lshlrev_b32 v23, 2, v17
	s_delay_alu instid0(VALU_DEP_4)
	v_add_nc_u64_e32 v[12:13], v[14:15], v[12:13]
	v_add_nc_u64_e32 v[14:15], s[26:27], v[10:11]
	v_dual_mov_b32 v21, 0xff7fffff :: v_dual_lshlrev_b32 v24, 2, v21
	v_add_nc_u32_e32 v25, 0xa0, v16
	s_mov_b32 s26, s9
	s_mov_b32 s19, 0
	s_sub_co_i32 s27, 1, s25
	s_branch .LBB171_9
.LBB171_8:                              ;   in Loop: Header=BB171_9 Depth=1
	s_or_b32 exec_lo, exec_lo, s28
	v_add_nc_u32_e32 v26, 4, v26
	v_add_nc_u64_e32 v[14:15], 16, v[14:15]
	v_add_nc_u32_e32 v22, 32, v22
	v_add_nc_u32_e32 v25, 0x80, v25
	s_delay_alu instid0(VALU_DEP_4) | instskip(SKIP_1) | instid1(SALU_CYCLE_1)
	v_cmp_le_i32_e64 s5, s13, v26
	s_or_b32 s19, s5, s19
	s_and_not1_b32 exec_lo, exec_lo, s19
	s_cbranch_execz .LBB171_75
.LBB171_9:                              ; =>This Inner Loop Header: Depth=1
	global_load_b32 v10, v[14:15], off
	v_dual_mov_b32 v27, 0 :: v_dual_mov_b32 v28, 0
	s_mov_b32 s28, exec_lo
	s_wait_loadcnt_dscnt 0x0
	v_mad_nc_i64_i32 v[16:17], v10, s26, v[12:13]
	global_load_u8 v29, v[16:17], off
	s_wait_loadcnt 0x0
	s_wait_xcnt 0x0
	v_cmpx_ne_u16_e32 0, v29
	s_cbranch_execz .LBB171_17
; %bb.10:                               ;   in Loop: Header=BB171_9 Depth=1
	v_bfrev_b32_e32 v28, 1
	s_mov_b32 s29, exec_lo
	v_cmpx_ne_u16_e32 0x80, v29
	s_cbranch_execz .LBB171_16
; %bb.11:                               ;   in Loop: Header=BB171_9 Depth=1
	v_and_b32_e32 v10, 0xffff, v29
	v_mov_b32_e32 v28, 0x7f800001
	s_mov_b32 s30, exec_lo
	s_delay_alu instid0(VALU_DEP_2) | instskip(NEXT) | instid1(VALU_DEP_1)
	v_and_b32_e32 v30, 0x7f, v10
	v_cmpx_ne_u32_e32 0x7f, v30
	s_cbranch_execz .LBB171_15
; %bb.12:                               ;   in Loop: Header=BB171_9 Depth=1
	v_and_b32_e32 v10, 7, v10
	v_lshrrev_b32_e32 v28, 3, v30
	s_mov_b32 s31, exec_lo
	v_cmpx_gt_u32_e32 8, v30
; %bb.13:                               ;   in Loop: Header=BB171_9 Depth=1
	s_delay_alu instid0(VALU_DEP_3) | instskip(NEXT) | instid1(VALU_DEP_1)
	v_clz_i32_u32_e32 v28, v10
	v_min_u32_e32 v28, 32, v28
	s_delay_alu instid0(VALU_DEP_1) | instskip(NEXT) | instid1(VALU_DEP_1)
	v_subrev_nc_u32_e32 v30, 28, v28
	v_lshlrev_b64_e32 v[30:31], v30, v[10:11]
	s_delay_alu instid0(VALU_DEP_1)
	v_dual_sub_nc_u32 v28, 29, v28 :: v_dual_bitop2_b32 v10, 7, v30 bitop3:0x40
; %bb.14:                               ;   in Loop: Header=BB171_9 Depth=1
	s_or_b32 exec_lo, exec_lo, s31
	s_delay_alu instid0(VALU_DEP_1) | instskip(NEXT) | instid1(VALU_DEP_2)
	v_dual_lshlrev_b32 v29, 24, v29 :: v_dual_lshlrev_b32 v10, 20, v10
	v_lshl_add_u32 v28, v28, 23, 0x3c000000
	s_delay_alu instid0(VALU_DEP_2) | instskip(NEXT) | instid1(VALU_DEP_1)
	v_and_b32_e32 v29, 0x80000000, v29
	v_or3_b32 v28, v10, v29, v28
.LBB171_15:                             ;   in Loop: Header=BB171_9 Depth=1
	s_or_b32 exec_lo, exec_lo, s30
.LBB171_16:                             ;   in Loop: Header=BB171_9 Depth=1
	s_delay_alu instid0(SALU_CYCLE_1)
	s_or_b32 exec_lo, exec_lo, s29
.LBB171_17:                             ;   in Loop: Header=BB171_9 Depth=1
	s_delay_alu instid0(SALU_CYCLE_1)
	s_or_b32 exec_lo, exec_lo, s28
	global_load_u8 v29, v[16:17], off offset:4
	s_mov_b32 s28, exec_lo
	s_wait_loadcnt 0x0
	v_cmpx_ne_u16_e32 0, v29
	s_cbranch_execz .LBB171_25
; %bb.18:                               ;   in Loop: Header=BB171_9 Depth=1
	v_bfrev_b32_e32 v27, 1
	s_mov_b32 s29, exec_lo
	v_cmpx_ne_u16_e32 0x80, v29
	s_cbranch_execz .LBB171_24
; %bb.19:                               ;   in Loop: Header=BB171_9 Depth=1
	v_and_b32_e32 v10, 0xffff, v29
	v_mov_b32_e32 v27, 0x7f800001
	s_mov_b32 s30, exec_lo
	s_delay_alu instid0(VALU_DEP_2) | instskip(NEXT) | instid1(VALU_DEP_1)
	v_and_b32_e32 v30, 0x7f, v10
	v_cmpx_ne_u32_e32 0x7f, v30
	s_cbranch_execz .LBB171_23
; %bb.20:                               ;   in Loop: Header=BB171_9 Depth=1
	v_and_b32_e32 v10, 7, v10
	v_lshrrev_b32_e32 v27, 3, v30
	s_mov_b32 s31, exec_lo
	v_cmpx_gt_u32_e32 8, v30
; %bb.21:                               ;   in Loop: Header=BB171_9 Depth=1
	s_delay_alu instid0(VALU_DEP_3) | instskip(NEXT) | instid1(VALU_DEP_1)
	v_clz_i32_u32_e32 v27, v10
	v_min_u32_e32 v27, 32, v27
	s_delay_alu instid0(VALU_DEP_1) | instskip(NEXT) | instid1(VALU_DEP_1)
	v_subrev_nc_u32_e32 v30, 28, v27
	v_lshlrev_b64_e32 v[30:31], v30, v[10:11]
	s_delay_alu instid0(VALU_DEP_1)
	v_dual_sub_nc_u32 v27, 29, v27 :: v_dual_bitop2_b32 v10, 7, v30 bitop3:0x40
; %bb.22:                               ;   in Loop: Header=BB171_9 Depth=1
	s_or_b32 exec_lo, exec_lo, s31
	s_delay_alu instid0(VALU_DEP_1) | instskip(NEXT) | instid1(VALU_DEP_2)
	v_dual_lshlrev_b32 v29, 24, v29 :: v_dual_lshlrev_b32 v10, 20, v10
	v_lshl_add_u32 v27, v27, 23, 0x3c000000
	s_delay_alu instid0(VALU_DEP_2) | instskip(NEXT) | instid1(VALU_DEP_1)
	v_and_b32_e32 v29, 0x80000000, v29
	v_or3_b32 v27, v10, v29, v27
.LBB171_23:                             ;   in Loop: Header=BB171_9 Depth=1
	s_or_b32 exec_lo, exec_lo, s30
.LBB171_24:                             ;   in Loop: Header=BB171_9 Depth=1
	s_delay_alu instid0(SALU_CYCLE_1)
	s_or_b32 exec_lo, exec_lo, s29
.LBB171_25:                             ;   in Loop: Header=BB171_9 Depth=1
	s_delay_alu instid0(SALU_CYCLE_1)
	s_or_b32 exec_lo, exec_lo, s28
	global_load_u8 v31, v[16:17], off offset:8
	v_dual_mov_b32 v29, 0 :: v_dual_mov_b32 v30, 0
	s_mov_b32 s28, exec_lo
	s_wait_loadcnt 0x0
	v_cmpx_ne_u16_e32 0, v31
	s_cbranch_execz .LBB171_33
; %bb.26:                               ;   in Loop: Header=BB171_9 Depth=1
	v_bfrev_b32_e32 v30, 1
	s_mov_b32 s29, exec_lo
	v_cmpx_ne_u16_e32 0x80, v31
	s_cbranch_execz .LBB171_32
; %bb.27:                               ;   in Loop: Header=BB171_9 Depth=1
	v_and_b32_e32 v10, 0xffff, v31
	v_mov_b32_e32 v30, 0x7f800001
	s_mov_b32 s30, exec_lo
	s_delay_alu instid0(VALU_DEP_2) | instskip(NEXT) | instid1(VALU_DEP_1)
	v_and_b32_e32 v32, 0x7f, v10
	v_cmpx_ne_u32_e32 0x7f, v32
	s_cbranch_execz .LBB171_31
; %bb.28:                               ;   in Loop: Header=BB171_9 Depth=1
	v_dual_lshrrev_b32 v30, 3, v32 :: v_dual_bitop2_b32 v10, 7, v10 bitop3:0x40
	s_mov_b32 s31, exec_lo
	v_cmpx_gt_u32_e32 8, v32
; %bb.29:                               ;   in Loop: Header=BB171_9 Depth=1
	s_delay_alu instid0(VALU_DEP_2) | instskip(NEXT) | instid1(VALU_DEP_1)
	v_clz_i32_u32_e32 v30, v10
	v_min_u32_e32 v30, 32, v30
	s_delay_alu instid0(VALU_DEP_1) | instskip(NEXT) | instid1(VALU_DEP_1)
	v_subrev_nc_u32_e32 v32, 28, v30
	v_lshlrev_b64_e32 v[32:33], v32, v[10:11]
	s_delay_alu instid0(VALU_DEP_1)
	v_dual_sub_nc_u32 v30, 29, v30 :: v_dual_bitop2_b32 v10, 7, v32 bitop3:0x40
; %bb.30:                               ;   in Loop: Header=BB171_9 Depth=1
	s_or_b32 exec_lo, exec_lo, s31
	s_delay_alu instid0(VALU_DEP_1) | instskip(NEXT) | instid1(VALU_DEP_2)
	v_dual_lshlrev_b32 v31, 24, v31 :: v_dual_lshlrev_b32 v10, 20, v10
	v_lshl_add_u32 v30, v30, 23, 0x3c000000
	s_delay_alu instid0(VALU_DEP_2) | instskip(NEXT) | instid1(VALU_DEP_1)
	v_and_b32_e32 v31, 0x80000000, v31
	v_or3_b32 v30, v10, v31, v30
.LBB171_31:                             ;   in Loop: Header=BB171_9 Depth=1
	s_or_b32 exec_lo, exec_lo, s30
.LBB171_32:                             ;   in Loop: Header=BB171_9 Depth=1
	s_delay_alu instid0(SALU_CYCLE_1)
	s_or_b32 exec_lo, exec_lo, s29
.LBB171_33:                             ;   in Loop: Header=BB171_9 Depth=1
	s_delay_alu instid0(SALU_CYCLE_1)
	s_or_b32 exec_lo, exec_lo, s28
	global_load_u8 v31, v[16:17], off offset:12
	s_mov_b32 s28, exec_lo
	s_wait_loadcnt 0x0
	v_cmpx_ne_u16_e32 0, v31
	s_cbranch_execz .LBB171_41
; %bb.34:                               ;   in Loop: Header=BB171_9 Depth=1
	v_bfrev_b32_e32 v29, 1
	s_mov_b32 s29, exec_lo
	v_cmpx_ne_u16_e32 0x80, v31
	s_cbranch_execz .LBB171_40
; %bb.35:                               ;   in Loop: Header=BB171_9 Depth=1
	v_and_b32_e32 v10, 0xffff, v31
	v_mov_b32_e32 v29, 0x7f800001
	s_mov_b32 s30, exec_lo
	s_delay_alu instid0(VALU_DEP_2) | instskip(NEXT) | instid1(VALU_DEP_1)
	v_and_b32_e32 v32, 0x7f, v10
	v_cmpx_ne_u32_e32 0x7f, v32
	s_cbranch_execz .LBB171_39
; %bb.36:                               ;   in Loop: Header=BB171_9 Depth=1
	v_dual_lshrrev_b32 v29, 3, v32 :: v_dual_bitop2_b32 v10, 7, v10 bitop3:0x40
	s_mov_b32 s31, exec_lo
	v_cmpx_gt_u32_e32 8, v32
; %bb.37:                               ;   in Loop: Header=BB171_9 Depth=1
	s_delay_alu instid0(VALU_DEP_2) | instskip(NEXT) | instid1(VALU_DEP_1)
	v_clz_i32_u32_e32 v29, v10
	v_min_u32_e32 v29, 32, v29
	s_delay_alu instid0(VALU_DEP_1) | instskip(NEXT) | instid1(VALU_DEP_1)
	v_subrev_nc_u32_e32 v32, 28, v29
	v_lshlrev_b64_e32 v[32:33], v32, v[10:11]
	s_delay_alu instid0(VALU_DEP_1)
	v_dual_sub_nc_u32 v29, 29, v29 :: v_dual_bitop2_b32 v10, 7, v32 bitop3:0x40
; %bb.38:                               ;   in Loop: Header=BB171_9 Depth=1
	s_or_b32 exec_lo, exec_lo, s31
	s_delay_alu instid0(VALU_DEP_1) | instskip(NEXT) | instid1(VALU_DEP_2)
	v_dual_lshlrev_b32 v31, 24, v31 :: v_dual_lshlrev_b32 v10, 20, v10
	v_lshl_add_u32 v29, v29, 23, 0x3c000000
	s_delay_alu instid0(VALU_DEP_2) | instskip(NEXT) | instid1(VALU_DEP_1)
	v_and_b32_e32 v31, 0x80000000, v31
	v_or3_b32 v29, v10, v31, v29
.LBB171_39:                             ;   in Loop: Header=BB171_9 Depth=1
	s_or_b32 exec_lo, exec_lo, s30
.LBB171_40:                             ;   in Loop: Header=BB171_9 Depth=1
	s_delay_alu instid0(SALU_CYCLE_1)
	s_or_b32 exec_lo, exec_lo, s29
.LBB171_41:                             ;   in Loop: Header=BB171_9 Depth=1
	s_delay_alu instid0(SALU_CYCLE_1)
	s_or_b32 exec_lo, exec_lo, s28
	global_load_u8 v33, v[16:17], off offset:128
	v_dual_mov_b32 v31, 0 :: v_dual_mov_b32 v32, 0
	s_mov_b32 s28, exec_lo
	s_wait_loadcnt 0x0
	v_cmpx_ne_u16_e32 0, v33
	s_cbranch_execz .LBB171_49
; %bb.42:                               ;   in Loop: Header=BB171_9 Depth=1
	v_bfrev_b32_e32 v32, 1
	s_mov_b32 s29, exec_lo
	v_cmpx_ne_u16_e32 0x80, v33
	s_cbranch_execz .LBB171_48
; %bb.43:                               ;   in Loop: Header=BB171_9 Depth=1
	v_and_b32_e32 v10, 0xffff, v33
	v_mov_b32_e32 v32, 0x7f800001
	s_mov_b32 s30, exec_lo
	s_delay_alu instid0(VALU_DEP_2) | instskip(NEXT) | instid1(VALU_DEP_1)
	v_and_b32_e32 v34, 0x7f, v10
	v_cmpx_ne_u32_e32 0x7f, v34
	s_cbranch_execz .LBB171_47
; %bb.44:                               ;   in Loop: Header=BB171_9 Depth=1
	v_and_b32_e32 v10, 7, v10
	v_lshrrev_b32_e32 v32, 3, v34
	s_mov_b32 s31, exec_lo
	v_cmpx_gt_u32_e32 8, v34
; %bb.45:                               ;   in Loop: Header=BB171_9 Depth=1
	s_delay_alu instid0(VALU_DEP_3) | instskip(NEXT) | instid1(VALU_DEP_1)
	v_clz_i32_u32_e32 v32, v10
	v_min_u32_e32 v32, 32, v32
	s_delay_alu instid0(VALU_DEP_1) | instskip(NEXT) | instid1(VALU_DEP_1)
	v_subrev_nc_u32_e32 v34, 28, v32
	v_lshlrev_b64_e32 v[34:35], v34, v[10:11]
	s_delay_alu instid0(VALU_DEP_1)
	v_dual_sub_nc_u32 v32, 29, v32 :: v_dual_bitop2_b32 v10, 7, v34 bitop3:0x40
; %bb.46:                               ;   in Loop: Header=BB171_9 Depth=1
	s_or_b32 exec_lo, exec_lo, s31
	s_delay_alu instid0(VALU_DEP_1) | instskip(NEXT) | instid1(VALU_DEP_2)
	v_dual_lshlrev_b32 v33, 24, v33 :: v_dual_lshlrev_b32 v10, 20, v10
	v_lshl_add_u32 v32, v32, 23, 0x3c000000
	s_delay_alu instid0(VALU_DEP_2) | instskip(NEXT) | instid1(VALU_DEP_1)
	v_and_b32_e32 v33, 0x80000000, v33
	v_or3_b32 v32, v10, v33, v32
.LBB171_47:                             ;   in Loop: Header=BB171_9 Depth=1
	s_or_b32 exec_lo, exec_lo, s30
.LBB171_48:                             ;   in Loop: Header=BB171_9 Depth=1
	s_delay_alu instid0(SALU_CYCLE_1)
	s_or_b32 exec_lo, exec_lo, s29
.LBB171_49:                             ;   in Loop: Header=BB171_9 Depth=1
	s_delay_alu instid0(SALU_CYCLE_1)
	s_or_b32 exec_lo, exec_lo, s28
	global_load_u8 v33, v[16:17], off offset:132
	s_mov_b32 s28, exec_lo
	s_wait_loadcnt 0x0
	v_cmpx_ne_u16_e32 0, v33
	s_cbranch_execz .LBB171_57
; %bb.50:                               ;   in Loop: Header=BB171_9 Depth=1
	v_bfrev_b32_e32 v31, 1
	s_mov_b32 s29, exec_lo
	v_cmpx_ne_u16_e32 0x80, v33
	s_cbranch_execz .LBB171_56
; %bb.51:                               ;   in Loop: Header=BB171_9 Depth=1
	v_and_b32_e32 v10, 0xffff, v33
	v_mov_b32_e32 v31, 0x7f800001
	s_mov_b32 s30, exec_lo
	s_delay_alu instid0(VALU_DEP_2) | instskip(NEXT) | instid1(VALU_DEP_1)
	v_and_b32_e32 v34, 0x7f, v10
	v_cmpx_ne_u32_e32 0x7f, v34
	s_cbranch_execz .LBB171_55
; %bb.52:                               ;   in Loop: Header=BB171_9 Depth=1
	v_and_b32_e32 v10, 7, v10
	v_lshrrev_b32_e32 v31, 3, v34
	s_mov_b32 s31, exec_lo
	v_cmpx_gt_u32_e32 8, v34
; %bb.53:                               ;   in Loop: Header=BB171_9 Depth=1
	s_delay_alu instid0(VALU_DEP_3) | instskip(NEXT) | instid1(VALU_DEP_1)
	v_clz_i32_u32_e32 v31, v10
	v_min_u32_e32 v31, 32, v31
	s_delay_alu instid0(VALU_DEP_1) | instskip(NEXT) | instid1(VALU_DEP_1)
	v_subrev_nc_u32_e32 v34, 28, v31
	v_lshlrev_b64_e32 v[34:35], v34, v[10:11]
	s_delay_alu instid0(VALU_DEP_1)
	v_dual_sub_nc_u32 v31, 29, v31 :: v_dual_bitop2_b32 v10, 7, v34 bitop3:0x40
; %bb.54:                               ;   in Loop: Header=BB171_9 Depth=1
	s_or_b32 exec_lo, exec_lo, s31
	s_delay_alu instid0(VALU_DEP_1) | instskip(NEXT) | instid1(VALU_DEP_2)
	v_dual_lshlrev_b32 v33, 24, v33 :: v_dual_lshlrev_b32 v10, 20, v10
	v_lshl_add_u32 v31, v31, 23, 0x3c000000
	s_delay_alu instid0(VALU_DEP_2) | instskip(NEXT) | instid1(VALU_DEP_1)
	v_and_b32_e32 v33, 0x80000000, v33
	v_or3_b32 v31, v10, v33, v31
.LBB171_55:                             ;   in Loop: Header=BB171_9 Depth=1
	s_or_b32 exec_lo, exec_lo, s30
.LBB171_56:                             ;   in Loop: Header=BB171_9 Depth=1
	s_delay_alu instid0(SALU_CYCLE_1)
	s_or_b32 exec_lo, exec_lo, s29
.LBB171_57:                             ;   in Loop: Header=BB171_9 Depth=1
	s_delay_alu instid0(SALU_CYCLE_1)
	s_or_b32 exec_lo, exec_lo, s28
	global_load_u8 v35, v[16:17], off offset:136
	v_dual_mov_b32 v33, 0 :: v_dual_mov_b32 v34, 0
	s_mov_b32 s28, exec_lo
	s_wait_loadcnt 0x0
	v_cmpx_ne_u16_e32 0, v35
	s_cbranch_execz .LBB171_65
; %bb.58:                               ;   in Loop: Header=BB171_9 Depth=1
	v_bfrev_b32_e32 v34, 1
	s_mov_b32 s29, exec_lo
	v_cmpx_ne_u16_e32 0x80, v35
	s_cbranch_execz .LBB171_64
; %bb.59:                               ;   in Loop: Header=BB171_9 Depth=1
	v_and_b32_e32 v10, 0xffff, v35
	v_mov_b32_e32 v34, 0x7f800001
	s_mov_b32 s30, exec_lo
	s_delay_alu instid0(VALU_DEP_2) | instskip(NEXT) | instid1(VALU_DEP_1)
	v_and_b32_e32 v36, 0x7f, v10
	v_cmpx_ne_u32_e32 0x7f, v36
	s_cbranch_execz .LBB171_63
; %bb.60:                               ;   in Loop: Header=BB171_9 Depth=1
	v_dual_lshrrev_b32 v34, 3, v36 :: v_dual_bitop2_b32 v10, 7, v10 bitop3:0x40
	s_mov_b32 s31, exec_lo
	v_cmpx_gt_u32_e32 8, v36
; %bb.61:                               ;   in Loop: Header=BB171_9 Depth=1
	s_delay_alu instid0(VALU_DEP_2) | instskip(NEXT) | instid1(VALU_DEP_1)
	v_clz_i32_u32_e32 v34, v10
	v_min_u32_e32 v34, 32, v34
	s_delay_alu instid0(VALU_DEP_1) | instskip(NEXT) | instid1(VALU_DEP_1)
	v_subrev_nc_u32_e32 v36, 28, v34
	v_lshlrev_b64_e32 v[36:37], v36, v[10:11]
	s_delay_alu instid0(VALU_DEP_1)
	v_dual_sub_nc_u32 v34, 29, v34 :: v_dual_bitop2_b32 v10, 7, v36 bitop3:0x40
; %bb.62:                               ;   in Loop: Header=BB171_9 Depth=1
	s_or_b32 exec_lo, exec_lo, s31
	s_delay_alu instid0(VALU_DEP_1) | instskip(NEXT) | instid1(VALU_DEP_2)
	v_dual_lshlrev_b32 v35, 24, v35 :: v_dual_lshlrev_b32 v10, 20, v10
	v_lshl_add_u32 v34, v34, 23, 0x3c000000
	s_delay_alu instid0(VALU_DEP_2) | instskip(NEXT) | instid1(VALU_DEP_1)
	v_and_b32_e32 v35, 0x80000000, v35
	v_or3_b32 v34, v10, v35, v34
.LBB171_63:                             ;   in Loop: Header=BB171_9 Depth=1
	s_or_b32 exec_lo, exec_lo, s30
.LBB171_64:                             ;   in Loop: Header=BB171_9 Depth=1
	s_delay_alu instid0(SALU_CYCLE_1)
	s_or_b32 exec_lo, exec_lo, s29
.LBB171_65:                             ;   in Loop: Header=BB171_9 Depth=1
	s_delay_alu instid0(SALU_CYCLE_1)
	s_or_b32 exec_lo, exec_lo, s28
	global_load_u8 v16, v[16:17], off offset:140
	s_mov_b32 s28, exec_lo
	s_wait_loadcnt 0x0
	v_cmpx_ne_u16_e32 0, v16
	s_cbranch_execz .LBB171_73
; %bb.66:                               ;   in Loop: Header=BB171_9 Depth=1
	v_bfrev_b32_e32 v33, 1
	s_mov_b32 s29, exec_lo
	v_cmpx_ne_u16_e32 0x80, v16
	s_cbranch_execz .LBB171_72
; %bb.67:                               ;   in Loop: Header=BB171_9 Depth=1
	v_and_b32_e32 v10, 0xffff, v16
	v_mov_b32_e32 v33, 0x7f800001
	s_mov_b32 s30, exec_lo
	s_delay_alu instid0(VALU_DEP_2) | instskip(NEXT) | instid1(VALU_DEP_1)
	v_and_b32_e32 v35, 0x7f, v10
	v_cmpx_ne_u32_e32 0x7f, v35
	s_cbranch_execz .LBB171_71
; %bb.68:                               ;   in Loop: Header=BB171_9 Depth=1
	v_dual_lshrrev_b32 v17, 3, v35 :: v_dual_bitop2_b32 v10, 7, v10 bitop3:0x40
	s_mov_b32 s31, exec_lo
	v_cmpx_gt_u32_e32 8, v35
; %bb.69:                               ;   in Loop: Header=BB171_9 Depth=1
	s_delay_alu instid0(VALU_DEP_2) | instskip(NEXT) | instid1(VALU_DEP_1)
	v_clz_i32_u32_e32 v17, v10
	v_min_u32_e32 v17, 32, v17
	s_delay_alu instid0(VALU_DEP_1) | instskip(NEXT) | instid1(VALU_DEP_1)
	v_subrev_nc_u32_e32 v33, 28, v17
	v_lshlrev_b64_e32 v[36:37], v33, v[10:11]
	s_delay_alu instid0(VALU_DEP_1)
	v_dual_sub_nc_u32 v17, 29, v17 :: v_dual_bitop2_b32 v10, 7, v36 bitop3:0x40
; %bb.70:                               ;   in Loop: Header=BB171_9 Depth=1
	s_or_b32 exec_lo, exec_lo, s31
	s_delay_alu instid0(VALU_DEP_1) | instskip(NEXT) | instid1(VALU_DEP_2)
	v_dual_lshlrev_b32 v16, 24, v16 :: v_dual_lshlrev_b32 v10, 20, v10
	v_lshl_add_u32 v17, v17, 23, 0x3c000000
	s_delay_alu instid0(VALU_DEP_2) | instskip(NEXT) | instid1(VALU_DEP_1)
	v_and_b32_e32 v16, 0x80000000, v16
	v_or3_b32 v33, v10, v16, v17
.LBB171_71:                             ;   in Loop: Header=BB171_9 Depth=1
	s_or_b32 exec_lo, exec_lo, s30
.LBB171_72:                             ;   in Loop: Header=BB171_9 Depth=1
	s_delay_alu instid0(SALU_CYCLE_1)
	s_or_b32 exec_lo, exec_lo, s29
.LBB171_73:                             ;   in Loop: Header=BB171_9 Depth=1
	s_delay_alu instid0(SALU_CYCLE_1) | instskip(SKIP_3) | instid1(VALU_DEP_1)
	s_or_b32 exec_lo, exec_lo, s28
	s_wait_kmcnt 0x0
	v_dual_mul_f32 v10, s10, v27 :: v_dual_mul_f32 v16, s10, v28
	s_wait_dscnt 0x1
	v_mul_f32_e32 v10, v3, v10
	s_delay_alu instid0(VALU_DEP_1) | instskip(SKIP_1) | instid1(VALU_DEP_2)
	v_dual_mul_f32 v17, s10, v30 :: v_dual_fmac_f32 v10, v2, v16
	v_mul_f32_e32 v16, s10, v29
	v_dual_fmac_f32 v10, v4, v17 :: v_dual_mul_f32 v17, s10, v32
	s_delay_alu instid0(VALU_DEP_1) | instskip(SKIP_1) | instid1(VALU_DEP_1)
	v_dual_fmac_f32 v10, v5, v16 :: v_dual_mul_f32 v16, s10, v31
	s_wait_dscnt 0x0
	v_dual_fmac_f32 v10, v6, v17 :: v_dual_mul_f32 v17, s10, v34
	s_delay_alu instid0(VALU_DEP_1) | instskip(NEXT) | instid1(VALU_DEP_1)
	v_dual_fmac_f32 v10, v7, v16 :: v_dual_mul_f32 v16, s10, v33
	v_fmac_f32_e32 v10, v8, v17
	s_delay_alu instid0(VALU_DEP_1)
	v_fmac_f32_e32 v10, v9, v16
	ds_bpermute_b32 v16, v23, v10
	s_wait_dscnt 0x0
	v_add_f32_e32 v10, v10, v16
	ds_bpermute_b32 v16, v24, v10
	s_and_saveexec_b32 s28, vcc_lo
	s_cbranch_execz .LBB171_8
; %bb.74:                               ;   in Loop: Header=BB171_9 Depth=1
	s_wait_dscnt 0x0
	v_dual_add_f32 v10, v10, v16 :: v_dual_add_nc_u32 v17, s27, v22
	v_cmp_gt_i32_e64 s5, s25, v22
	s_delay_alu instid0(VALU_DEP_2) | instskip(NEXT) | instid1(VALU_DEP_1)
	v_cvt_f32_i32_e32 v17, v17
	v_mul_f32_e32 v17, s20, v17
	s_delay_alu instid0(VALU_DEP_1) | instskip(NEXT) | instid1(VALU_DEP_1)
	v_cndmask_b32_e64 v16, 0, v17, s4
	v_dual_fmac_f32 v16, s11, v10 :: v_dual_max_num_f32 v17, v21, v21
	s_delay_alu instid0(VALU_DEP_1) | instskip(NEXT) | instid1(VALU_DEP_1)
	v_dual_max_num_f32 v10, v17, v16 :: v_dual_cndmask_b32 v16, 0, v16, s5
	v_cndmask_b32_e64 v21, v21, v10, s5
	ds_store_b32 v25, v16
	s_branch .LBB171_8
.LBB171_75:
	s_or_b32 exec_lo, exec_lo, s19
.LBB171_76:
	s_delay_alu instid0(SALU_CYCLE_1)
	s_or_b32 exec_lo, exec_lo, s21
	v_dual_max_num_f32 v5, v21, v21 :: v_dual_bitop2_b32 v2, 16, v19 bitop3:0x14
	s_clause 0x1
	s_load_b64 s[10:11], s[0:1], 0x0
	s_load_b64 s[20:21], s[0:1], 0x18
	v_and_b32_e32 v26, 31, v0
	v_xor_b32_e32 v4, 8, v19
	v_cmp_lt_i32_e32 vcc_lo, v2, v20
	v_cndmask_b32_e32 v2, v19, v2, vcc_lo
	s_delay_alu instid0(VALU_DEP_3) | instskip(NEXT) | instid1(VALU_DEP_2)
	v_cmp_lt_i32_e32 vcc_lo, v4, v20
	v_dual_lshlrev_b32 v2, 2, v2 :: v_dual_cndmask_b32 v4, v19, v4, vcc_lo
	ds_bpermute_b32 v3, v2, v21
	s_wait_dscnt 0x0
	v_dual_max_num_f32 v6, v3, v3 :: v_dual_lshlrev_b32 v3, 2, v4
	s_delay_alu instid0(VALU_DEP_1) | instskip(SKIP_4) | instid1(VALU_DEP_1)
	v_dual_max_num_f32 v4, v5, v6 :: v_dual_bitop2_b32 v6, 4, v19 bitop3:0x14
	ds_bpermute_b32 v5, v3, v4
	v_cmp_lt_i32_e32 vcc_lo, v6, v20
	v_cndmask_b32_e32 v6, v19, v6, vcc_lo
	s_wait_dscnt 0x0
	v_dual_max_num_f32 v5, v5, v5 :: v_dual_lshlrev_b32 v6, 2, v6
	s_delay_alu instid0(VALU_DEP_1)
	v_max_num_f32_e32 v5, v4, v5
	v_lshlrev_b32_e32 v4, 2, v1
	v_cmp_eq_u32_e32 vcc_lo, 0, v26
	ds_bpermute_b32 v7, v6, v5
	s_wait_xcnt 0x0
	s_and_saveexec_b32 s0, vcc_lo
	s_cbranch_execz .LBB171_78
; %bb.77:
	s_wait_dscnt 0x0
	v_dual_max_num_f32 v7, v7, v7 :: v_dual_max_num_f32 v5, v5, v5
	s_delay_alu instid0(VALU_DEP_1)
	v_max_num_f32_e32 v5, v5, v7
	ds_store_b32 v4, v5 offset:128
.LBB171_78:
	s_or_b32 exec_lo, exec_lo, s0
	v_cmp_gt_u32_e64 s0, 4, v26
	v_dual_mov_b32 v8, 0xff7fffff :: v_dual_lshlrev_b32 v5, 2, v26
	s_wait_dscnt 0x0
	s_barrier_signal -1
	s_barrier_wait -1
	s_and_saveexec_b32 s1, s0
; %bb.79:
	ds_load_b32 v8, v5 offset:128
; %bb.80:
	s_or_b32 exec_lo, exec_lo, s1
	v_xor_b32_e32 v7, 2, v19
	v_xor_b32_e32 v10, 1, v19
	s_delay_alu instid0(VALU_DEP_2) | instskip(NEXT) | instid1(VALU_DEP_1)
	v_cmp_lt_i32_e64 s1, v7, v20
	v_cndmask_b32_e64 v7, v19, v7, s1
	s_delay_alu instid0(VALU_DEP_3) | instskip(NEXT) | instid1(VALU_DEP_1)
	v_cmp_lt_i32_e64 s1, v10, v20
	v_dual_cndmask_b32 v10, v19, v10, s1 :: v_dual_lshlrev_b32 v7, 2, v7
	s_lshl_b32 s1, s13, 3
	s_wait_kmcnt 0x0
	s_min_i32 s5, s1, s25
	s_delay_alu instid0(VALU_DEP_1)
	v_lshlrev_b32_e32 v27, 2, v10
	s_wait_dscnt 0x0
	ds_bpermute_b32 v9, v7, v8
	v_max_num_f32_e32 v8, v8, v8
	v_cmp_gt_i32_e64 s1, s5, v0
	s_wait_dscnt 0x0
	v_max_num_f32_e32 v9, v9, v9
	s_delay_alu instid0(VALU_DEP_1) | instskip(SKIP_3) | instid1(VALU_DEP_1)
	v_max_num_f32_e32 v8, v8, v9
	ds_bpermute_b32 v9, v27, v8
	s_wait_dscnt 0x0
	v_max_num_f32_e32 v9, v9, v9
	v_dual_max_num_f32 v8, v8, v9 :: v_dual_lshlrev_b32 v9, 2, v11
	ds_bpermute_b32 v9, v9, v8
	v_mov_b32_e32 v8, 0
	s_and_saveexec_b32 s19, s1
	s_cbranch_execz .LBB171_84
; %bb.81:
	v_lshl_add_u32 v10, v0, 2, 0xa0
	v_dual_mov_b32 v8, 0 :: v_dual_mov_b32 v11, v0
	s_mov_b32 s26, 0
.LBB171_82:                             ; =>This Inner Loop Header: Depth=1
	ds_load_b32 v12, v10
	v_add_nc_u32_e32 v11, 0x80, v11
	s_delay_alu instid0(VALU_DEP_1) | instskip(SKIP_3) | instid1(VALU_DEP_1)
	v_cmp_le_i32_e64 s4, s5, v11
	s_or_b32 s26, s4, s26
	s_wait_dscnt 0x0
	v_sub_f32_e32 v12, v12, v9
	v_mul_f32_e32 v12, 0x3fb8aa3b, v12
	s_delay_alu instid0(VALU_DEP_1)
	v_exp_f32_e32 v12, v12
	ds_store_b32 v10, v12
	v_nop
	v_add_f32_e32 v8, v8, v12
	v_add_nc_u32_e32 v10, 0x200, v10
	s_and_not1_b32 exec_lo, exec_lo, s26
	s_cbranch_execnz .LBB171_82
; %bb.83:
	s_or_b32 exec_lo, exec_lo, s26
.LBB171_84:
	s_delay_alu instid0(SALU_CYCLE_1)
	s_or_b32 exec_lo, exec_lo, s19
	ds_bpermute_b32 v2, v2, v8
	s_wait_dscnt 0x0
	v_add_f32_e32 v2, v8, v2
	ds_bpermute_b32 v3, v3, v2
	s_wait_dscnt 0x0
	v_add_f32_e32 v2, v2, v3
	;; [unrolled: 3-line block ×5, first 2 shown]
	s_and_saveexec_b32 s4, vcc_lo
; %bb.85:
	ds_store_b32 v4, v2 offset:144
; %bb.86:
	s_or_b32 exec_lo, exec_lo, s4
	s_wait_dscnt 0x0
	s_barrier_signal -1
	s_barrier_wait -1
	s_and_saveexec_b32 s4, s0
; %bb.87:
	ds_load_b32 v2, v5 offset:144
; %bb.88:
	s_or_b32 exec_lo, exec_lo, s4
	s_wait_dscnt 0x0
	ds_bpermute_b32 v3, v7, v2
	v_lshlrev_b32_e32 v4, 2, v19
	s_wait_dscnt 0x0
	v_add_f32_e32 v2, v2, v3
	ds_bpermute_b32 v3, v27, v2
	s_wait_dscnt 0x0
	v_add_f32_e32 v2, v2, v3
	v_and_b32_e32 v3, 0xffffff80, v4
	ds_bpermute_b32 v2, v3, v2
	s_and_saveexec_b32 s0, s1
	s_cbranch_execz .LBB171_101
; %bb.89:
	s_wait_dscnt 0x0
	v_add_f32_e32 v2, 0x358637bd, v2
	s_mov_b32 s4, -1
	s_mov_b32 s1, exec_lo
	s_delay_alu instid0(VALU_DEP_1) | instskip(NEXT) | instid1(VALU_DEP_1)
	v_div_scale_f32 v3, null, v2, v2, 1.0
	v_rcp_f32_e32 v5, v3
	v_nop
	s_delay_alu instid0(TRANS32_DEP_1) | instskip(NEXT) | instid1(VALU_DEP_1)
	v_fma_f32 v4, -v3, v5, 1.0
	v_fmac_f32_e32 v5, v4, v5
	v_div_scale_f32 v6, vcc_lo, 1.0, v2, 1.0
	s_delay_alu instid0(VALU_DEP_1) | instskip(NEXT) | instid1(VALU_DEP_1)
	v_mul_f32_e32 v7, v6, v5
	v_fma_f32 v4, -v3, v7, v6
	s_delay_alu instid0(VALU_DEP_1) | instskip(SKIP_1) | instid1(VALU_DEP_2)
	v_fmac_f32_e32 v7, v4, v5
	v_xad_u32 v4, v0, -1, s5
	v_fma_f32 v3, -v3, v7, v6
	s_delay_alu instid0(VALU_DEP_1) | instskip(NEXT) | instid1(VALU_DEP_1)
	v_div_fmas_f32 v3, v3, v5, v7
	v_div_fixup_f32 v2, v3, v2, 1.0
	v_mov_b32_e32 v3, v0
	v_cmpx_lt_u32_e32 0x7f, v4
	s_cbranch_execz .LBB171_98
; %bb.90:
	s_delay_alu instid0(VALU_DEP_3) | instskip(NEXT) | instid1(VALU_DEP_1)
	v_dual_mov_b32 v3, v2 :: v_dual_lshrrev_b32 v4, 7, v4
	v_dual_mov_b32 v8, 0 :: v_dual_add_nc_u32 v5, -1, v4
	s_delay_alu instid0(VALU_DEP_1) | instskip(SKIP_1) | instid1(VALU_DEP_2)
	v_lshrrev_b32_e32 v6, 1, v5
	v_cmp_lt_u32_e32 vcc_lo, 13, v5
	v_add_nc_u32_e32 v5, 1, v6
	s_and_saveexec_b32 s4, vcc_lo
	s_cbranch_execz .LBB171_94
; %bb.91:
	s_delay_alu instid0(VALU_DEP_1)
	v_and_b32_e32 v6, -8, v5
	v_lshl_add_u32 v7, v0, 2, 0xa0
	s_mov_b32 s19, 0
	s_mov_b32 s26, 0
.LBB171_92:                             ; =>This Inner Loop Header: Depth=1
	ds_load_2addr_stride64_b32 v[8:9], v7 offset1:2
	ds_load_2addr_stride64_b32 v[10:11], v7 offset0:4 offset1:6
	ds_load_2addr_stride64_b32 v[12:13], v7 offset0:8 offset1:10
	;; [unrolled: 1-line block ×7, first 2 shown]
	s_add_co_i32 s26, s26, 16
	v_add_nc_u32_e32 v6, -8, v6
	s_wait_dscnt 0x7
	v_pk_mul_f32 v[8:9], v[2:3], v[8:9]
	s_wait_dscnt 0x6
	v_pk_mul_f32 v[10:11], v[2:3], v[10:11]
	s_wait_dscnt 0x5
	v_pk_mul_f32 v[12:13], v[2:3], v[12:13]
	s_wait_dscnt 0x4
	v_pk_mul_f32 v[14:15], v[2:3], v[14:15]
	s_wait_dscnt 0x3
	v_pk_mul_f32 v[16:17], v[2:3], v[16:17]
	s_wait_dscnt 0x2
	v_pk_mul_f32 v[20:21], v[2:3], v[20:21]
	s_wait_dscnt 0x1
	v_pk_mul_f32 v[22:23], v[2:3], v[22:23]
	s_wait_dscnt 0x0
	v_pk_mul_f32 v[24:25], v[2:3], v[24:25]
	ds_store_2addr_stride64_b32 v7, v8, v9 offset1:2
	ds_store_2addr_stride64_b32 v7, v10, v11 offset0:4 offset1:6
	ds_store_2addr_stride64_b32 v7, v12, v13 offset0:8 offset1:10
	;; [unrolled: 1-line block ×7, first 2 shown]
	v_mov_b32_e32 v8, s26
	v_cmp_eq_u32_e32 vcc_lo, 0, v6
	v_add_nc_u32_e32 v7, 0x2000, v7
	s_or_b32 s19, vcc_lo, s19
	s_delay_alu instid0(SALU_CYCLE_1)
	s_and_not1_b32 exec_lo, exec_lo, s19
	s_cbranch_execnz .LBB171_92
; %bb.93:
	s_or_b32 exec_lo, exec_lo, s19
.LBB171_94:
	s_delay_alu instid0(SALU_CYCLE_1) | instskip(NEXT) | instid1(VALU_DEP_1)
	s_or_b32 exec_lo, exec_lo, s4
	v_and_b32_e32 v5, 7, v5
	s_mov_b32 s19, 0
	s_mov_b32 s4, exec_lo
	s_delay_alu instid0(VALU_DEP_1)
	v_cmpx_ne_u32_e32 0, v5
	s_cbranch_execz .LBB171_97
; %bb.95:
	v_lshlrev_b32_e32 v6, 9, v8
	v_lshlrev_b32_e32 v7, 2, v0
	s_delay_alu instid0(VALU_DEP_1)
	v_add3_u32 v6, v6, v7, 0xa0
.LBB171_96:                             ; =>This Inner Loop Header: Depth=1
	ds_load_2addr_stride64_b32 v[8:9], v6 offset1:2
	v_add_nc_u32_e32 v5, -1, v5
	s_delay_alu instid0(VALU_DEP_1)
	v_cmp_eq_u32_e32 vcc_lo, 0, v5
	s_or_b32 s19, vcc_lo, s19
	s_wait_dscnt 0x0
	v_pk_mul_f32 v[8:9], v[2:3], v[8:9]
	ds_store_2addr_stride64_b32 v6, v8, v9 offset1:2
	v_add_nc_u32_e32 v6, 0x400, v6
	s_and_not1_b32 exec_lo, exec_lo, s19
	s_cbranch_execnz .LBB171_96
.LBB171_97:
	s_or_b32 exec_lo, exec_lo, s4
	v_add_nc_u32_e32 v3, 1, v4
	s_delay_alu instid0(VALU_DEP_1) | instskip(NEXT) | instid1(VALU_DEP_1)
	v_and_b32_e32 v4, 0x3fffffe, v3
	v_cmp_ne_u32_e32 vcc_lo, v3, v4
	v_lshl_add_u32 v3, v4, 7, v0
	s_or_not1_b32 s4, vcc_lo, exec_lo
.LBB171_98:
	s_or_b32 exec_lo, exec_lo, s1
	s_delay_alu instid0(SALU_CYCLE_1)
	s_and_b32 exec_lo, exec_lo, s4
	s_cbranch_execz .LBB171_101
; %bb.99:
	v_lshl_add_u32 v4, v3, 2, 0xa0
	s_mov_b32 s1, 0
.LBB171_100:                            ; =>This Inner Loop Header: Depth=1
	ds_load_b32 v5, v4
	v_add_nc_u32_e32 v3, 0x80, v3
	s_delay_alu instid0(VALU_DEP_1)
	v_cmp_le_i32_e32 vcc_lo, s5, v3
	s_or_b32 s1, vcc_lo, s1
	s_wait_dscnt 0x0
	v_mul_f32_e32 v5, v2, v5
	ds_store_b32 v4, v5
	v_add_nc_u32_e32 v4, 0x200, v4
	s_and_not1_b32 exec_lo, exec_lo, s1
	s_cbranch_execnz .LBB171_100
.LBB171_101:
	s_or_b32 exec_lo, exec_lo, s0
	v_dual_mov_b32 v7, 0 :: v_dual_bitop2_b32 v28, 1, v0 bitop3:0x40
	v_mov_b32_e32 v6, 0
	s_wait_dscnt 0x0
	s_barrier_signal -1
	s_barrier_wait -1
	s_and_saveexec_b32 s1, s3
	s_cbranch_execz .LBB171_173
; %bb.102:
	s_load_b32 s4, s[6:7], 0x0
	v_dual_mov_b32 v9, 0 :: v_dual_lshlrev_b32 v2, 2, v0
	s_ashr_i32 s19, s18, 31
	v_dual_lshlrev_b32 v3, 4, v28 :: v_dual_mov_b32 v7, 0
	s_delay_alu instid0(VALU_DEP_2)
	v_and_b32_e32 v8, 0x7c, v2
	s_wait_xcnt 0x0
	s_lshl_b64 s[6:7], s[14:15], 2
	s_add_nc_u64 s[14:15], s[20:21], s[18:19]
	v_dual_mov_b32 v6, 0 :: v_dual_bitop2_b32 v2, 4, v2 bitop3:0x40
	v_add_nc_u64_e32 v[10:11], s[14:15], v[8:9]
	v_and_b32_e32 v8, 0x7c, v18
	v_lshl_or_b32 v3, v1, 5, v3
	s_add_nc_u64 s[6:7], s[16:17], s[6:7]
	v_mov_b32_e32 v29, v1
	v_lshl_or_b32 v30, v1, 3, v2
	v_add_nc_u64_e32 v[12:13], s[6:7], v[8:9]
	v_add_nc_u32_e32 v31, 0xa0, v3
	s_mov_b32 s3, s9
	s_wait_kmcnt 0x0
	s_mov_b32 s5, s4
	s_add_co_i32 s6, s13, -1
	s_mov_b32 s9, s25
	s_mov_b32 s7, 0
	s_branch .LBB171_104
.LBB171_103:                            ;   in Loop: Header=BB171_104 Depth=1
	s_or_b32 exec_lo, exec_lo, s0
	s_wait_dscnt 0x0
	v_pk_mul_f32 v[18:19], v[2:3], v[18:19]
	v_mul_f32_e32 v8, v2, v16
	v_pk_mul_f32 v[20:21], v[4:5], v[20:21]
	v_add_nc_u64_e32 v[12:13], 16, v[12:13]
	s_delay_alu instid0(VALU_DEP_4) | instskip(NEXT) | instid1(VALU_DEP_4)
	v_dual_add_f32 v2, v19, v18 :: v_dual_add_nc_u32 v31, 0x80, v31
	v_fmac_f32_e32 v8, v3, v17
	v_dual_add_nc_u32 v29, 4, v29 :: v_dual_add_nc_u32 v30, 32, v30
	s_delay_alu instid0(VALU_DEP_3) | instskip(NEXT) | instid1(VALU_DEP_3)
	v_add_f32_e32 v2, v20, v2
	v_fmac_f32_e32 v8, v4, v14
	s_delay_alu instid0(VALU_DEP_3) | instskip(NEXT) | instid1(VALU_DEP_2)
	v_cmp_le_i32_e32 vcc_lo, s13, v29
	v_fmac_f32_e32 v8, v5, v15
	s_delay_alu instid0(VALU_DEP_4) | instskip(SKIP_1) | instid1(VALU_DEP_1)
	v_add_f32_e32 v2, v21, v2
	s_or_b32 s7, vcc_lo, s7
	v_dual_add_f32 v6, v6, v8 :: v_dual_add_f32 v7, v7, v2
	s_and_not1_b32 exec_lo, exec_lo, s7
	s_cbranch_execz .LBB171_172
.LBB171_104:                            ; =>This Inner Loop Header: Depth=1
	global_load_b32 v2, v[12:13], off
	v_mov_b64_e32 v[14:15], 0
	v_mov_b64_e32 v[16:17], 0
	s_mov_b32 s0, exec_lo
	s_wait_loadcnt 0x0
	v_mad_nc_i64_i32 v[18:19], v2, s3, v[10:11]
	ds_load_b128 v[2:5], v31
	global_load_b32 v24, v[18:19], off
	s_wait_loadcnt 0x0
	v_and_b32_e32 v8, 0xff, v24
	s_delay_alu instid0(VALU_DEP_1)
	v_cmpx_ne_u16_e32 0, v8
	s_cbranch_execz .LBB171_112
; %bb.105:                              ;   in Loop: Header=BB171_104 Depth=1
	v_mov_b64_e32 v[16:17], 0x80000000
	s_mov_b32 s14, exec_lo
	v_cmpx_ne_u16_e32 0x80, v8
	s_cbranch_execz .LBB171_111
; %bb.106:                              ;   in Loop: Header=BB171_104 Depth=1
	v_mov_b64_e32 v[16:17], 0x7f800001
	v_and_b32_e32 v20, 0x7f, v24
	s_mov_b32 s15, exec_lo
	s_delay_alu instid0(VALU_DEP_1)
	v_cmpx_ne_u32_e32 0x7f, v20
	s_cbranch_execz .LBB171_110
; %bb.107:                              ;   in Loop: Header=BB171_104 Depth=1
	v_and_b32_e32 v8, 7, v24
	v_lshrrev_b32_e32 v16, 3, v20
	s_mov_b32 s16, exec_lo
	v_cmpx_gt_u32_e32 8, v20
; %bb.108:                              ;   in Loop: Header=BB171_104 Depth=1
	s_delay_alu instid0(VALU_DEP_3) | instskip(NEXT) | instid1(VALU_DEP_1)
	v_clz_i32_u32_e32 v16, v8
	v_min_u32_e32 v16, 32, v16
	s_delay_alu instid0(VALU_DEP_1) | instskip(SKIP_1) | instid1(VALU_DEP_2)
	v_subrev_nc_u32_e32 v17, 28, v16
	v_sub_nc_u32_e32 v16, 29, v16
	v_lshlrev_b64_e32 v[20:21], v17, v[8:9]
	s_delay_alu instid0(VALU_DEP_1)
	v_and_b32_e32 v8, 7, v20
; %bb.109:                              ;   in Loop: Header=BB171_104 Depth=1
	s_or_b32 exec_lo, exec_lo, s16
	v_lshlrev_b32_e32 v17, 24, v24
	s_delay_alu instid0(VALU_DEP_2) | instskip(SKIP_1) | instid1(VALU_DEP_3)
	v_lshlrev_b32_e32 v8, 20, v8
	v_lshl_add_u32 v16, v16, 23, 0x3c000000
	v_and_b32_e32 v17, 0x80000000, v17
	s_delay_alu instid0(VALU_DEP_1) | instskip(NEXT) | instid1(VALU_DEP_1)
	v_or3_b32 v8, v8, v17, v16
	v_mov_b64_e32 v[16:17], v[8:9]
.LBB171_110:                            ;   in Loop: Header=BB171_104 Depth=1
	s_or_b32 exec_lo, exec_lo, s15
.LBB171_111:                            ;   in Loop: Header=BB171_104 Depth=1
	s_delay_alu instid0(SALU_CYCLE_1)
	s_or_b32 exec_lo, exec_lo, s14
.LBB171_112:                            ;   in Loop: Header=BB171_104 Depth=1
	s_delay_alu instid0(SALU_CYCLE_1) | instskip(SKIP_2) | instid1(VALU_DEP_1)
	s_or_b32 exec_lo, exec_lo, s0
	v_lshrrev_b16 v8, 8, v24
	s_mov_b32 s0, exec_lo
	v_cmpx_ne_u16_e32 0, v8
	s_cbranch_execz .LBB171_120
; %bb.113:                              ;   in Loop: Header=BB171_104 Depth=1
	v_mov_b64_e32 v[14:15], 0x8000000000000000
	s_mov_b32 s14, exec_lo
	v_cmpx_ne_u16_e32 0x80, v8
	s_cbranch_execz .LBB171_119
; %bb.114:                              ;   in Loop: Header=BB171_104 Depth=1
	v_and_b32_e32 v8, 0xffff, v8
	v_mov_b64_e32 v[14:15], 0x7f80000100000000
	s_mov_b32 s15, exec_lo
	s_delay_alu instid0(VALU_DEP_2) | instskip(NEXT) | instid1(VALU_DEP_1)
	v_and_b32_e32 v20, 0x7f, v8
	v_cmpx_ne_u32_e32 0x7f, v20
	s_cbranch_execz .LBB171_118
; %bb.115:                              ;   in Loop: Header=BB171_104 Depth=1
	v_and_b32_e32 v8, 7, v8
	v_lshrrev_b32_e32 v14, 3, v20
	s_mov_b32 s16, exec_lo
	v_cmpx_gt_u32_e32 8, v20
; %bb.116:                              ;   in Loop: Header=BB171_104 Depth=1
	s_delay_alu instid0(VALU_DEP_3) | instskip(NEXT) | instid1(VALU_DEP_1)
	v_clz_i32_u32_e32 v14, v8
	v_min_u32_e32 v14, 32, v14
	s_delay_alu instid0(VALU_DEP_1) | instskip(NEXT) | instid1(VALU_DEP_1)
	v_subrev_nc_u32_e32 v15, 28, v14
	v_lshlrev_b64_e32 v[20:21], v15, v[8:9]
	s_delay_alu instid0(VALU_DEP_1)
	v_dual_sub_nc_u32 v14, 29, v14 :: v_dual_bitop2_b32 v8, 7, v20 bitop3:0x40
; %bb.117:                              ;   in Loop: Header=BB171_104 Depth=1
	s_or_b32 exec_lo, exec_lo, s16
	v_lshlrev_b32_e32 v15, 16, v24
	s_delay_alu instid0(VALU_DEP_2) | instskip(NEXT) | instid1(VALU_DEP_3)
	v_lshlrev_b32_e32 v8, 20, v8
	v_lshl_add_u32 v14, v14, 23, 0x3c000000
	s_delay_alu instid0(VALU_DEP_3) | instskip(NEXT) | instid1(VALU_DEP_1)
	v_and_b32_e32 v15, 0x80000000, v15
	v_or3_b32 v15, v8, v15, v14
	v_mov_b32_e32 v14, v9
.LBB171_118:                            ;   in Loop: Header=BB171_104 Depth=1
	s_or_b32 exec_lo, exec_lo, s15
.LBB171_119:                            ;   in Loop: Header=BB171_104 Depth=1
	s_delay_alu instid0(SALU_CYCLE_1)
	s_or_b32 exec_lo, exec_lo, s14
.LBB171_120:                            ;   in Loop: Header=BB171_104 Depth=1
	s_delay_alu instid0(SALU_CYCLE_1) | instskip(SKIP_4) | instid1(VALU_DEP_3)
	s_or_b32 exec_lo, exec_lo, s0
	v_lshrrev_b32_e32 v25, 16, v24
	v_mov_b64_e32 v[20:21], 0
	v_mov_b64_e32 v[22:23], 0
	s_mov_b32 s0, exec_lo
	v_and_b32_e32 v8, 0xff, v25
	s_delay_alu instid0(VALU_DEP_1)
	v_cmpx_ne_u16_e32 0, v8
	s_cbranch_execz .LBB171_128
; %bb.121:                              ;   in Loop: Header=BB171_104 Depth=1
	v_mov_b64_e32 v[22:23], 0x80000000
	s_mov_b32 s14, exec_lo
	v_cmpx_ne_u16_e32 0x80, v8
	s_cbranch_execz .LBB171_127
; %bb.122:                              ;   in Loop: Header=BB171_104 Depth=1
	v_mov_b64_e32 v[22:23], 0x7f800001
	v_bfe_u32 v32, v24, 16, 7
	s_mov_b32 s15, exec_lo
	s_delay_alu instid0(VALU_DEP_1)
	v_cmpx_ne_u32_e32 0x7f, v32
	s_cbranch_execz .LBB171_126
; %bb.123:                              ;   in Loop: Header=BB171_104 Depth=1
	v_dual_lshrrev_b32 v22, 3, v32 :: v_dual_bitop2_b32 v8, 7, v25 bitop3:0x40
	s_mov_b32 s16, exec_lo
	v_cmpx_gt_u32_e32 8, v32
; %bb.124:                              ;   in Loop: Header=BB171_104 Depth=1
	s_delay_alu instid0(VALU_DEP_2) | instskip(NEXT) | instid1(VALU_DEP_1)
	v_clz_i32_u32_e32 v22, v8
	v_min_u32_e32 v22, 32, v22
	s_delay_alu instid0(VALU_DEP_1) | instskip(NEXT) | instid1(VALU_DEP_1)
	v_subrev_nc_u32_e32 v23, 28, v22
	v_lshlrev_b64_e32 v[32:33], v23, v[8:9]
	s_delay_alu instid0(VALU_DEP_1)
	v_dual_sub_nc_u32 v22, 29, v22 :: v_dual_bitop2_b32 v8, 7, v32 bitop3:0x40
; %bb.125:                              ;   in Loop: Header=BB171_104 Depth=1
	s_or_b32 exec_lo, exec_lo, s16
	s_delay_alu instid0(VALU_DEP_1) | instskip(NEXT) | instid1(VALU_DEP_2)
	v_dual_lshlrev_b32 v23, 24, v25 :: v_dual_lshlrev_b32 v8, 20, v8
	v_lshl_add_u32 v22, v22, 23, 0x3c000000
	s_delay_alu instid0(VALU_DEP_2) | instskip(NEXT) | instid1(VALU_DEP_1)
	v_and_b32_e32 v23, 0x80000000, v23
	v_or3_b32 v8, v8, v23, v22
	s_delay_alu instid0(VALU_DEP_1)
	v_mov_b64_e32 v[22:23], v[8:9]
.LBB171_126:                            ;   in Loop: Header=BB171_104 Depth=1
	s_or_b32 exec_lo, exec_lo, s15
.LBB171_127:                            ;   in Loop: Header=BB171_104 Depth=1
	s_delay_alu instid0(SALU_CYCLE_1)
	s_or_b32 exec_lo, exec_lo, s14
.LBB171_128:                            ;   in Loop: Header=BB171_104 Depth=1
	s_delay_alu instid0(SALU_CYCLE_1) | instskip(NEXT) | instid1(SALU_CYCLE_1)
	s_or_b32 exec_lo, exec_lo, s0
	s_mov_b32 s0, exec_lo
	v_cmpx_lt_u32_e32 0xffffff, v24
	s_cbranch_execz .LBB171_136
; %bb.129:                              ;   in Loop: Header=BB171_104 Depth=1
	v_mov_b64_e32 v[20:21], 0x8000000000000000
	v_lshrrev_b32_e32 v25, 24, v24
	s_mov_b32 s14, exec_lo
	s_delay_alu instid0(VALU_DEP_1)
	v_cmpx_ne_u32_e32 0x80, v25
	s_cbranch_execz .LBB171_135
; %bb.130:                              ;   in Loop: Header=BB171_104 Depth=1
	v_mov_b64_e32 v[20:21], 0x7f80000100000000
	v_bfe_u32 v24, v24, 24, 7
	s_mov_b32 s15, exec_lo
	s_delay_alu instid0(VALU_DEP_1)
	v_cmpx_ne_u32_e32 0x7f, v24
	s_cbranch_execz .LBB171_134
; %bb.131:                              ;   in Loop: Header=BB171_104 Depth=1
	v_dual_lshrrev_b32 v20, 3, v24 :: v_dual_bitop2_b32 v8, 7, v25 bitop3:0x40
	s_mov_b32 s16, exec_lo
	v_cmpx_gt_u32_e32 8, v24
; %bb.132:                              ;   in Loop: Header=BB171_104 Depth=1
	s_delay_alu instid0(VALU_DEP_2) | instskip(NEXT) | instid1(VALU_DEP_1)
	v_clz_i32_u32_e32 v20, v8
	v_min_u32_e32 v20, 32, v20
	s_delay_alu instid0(VALU_DEP_1) | instskip(SKIP_1) | instid1(VALU_DEP_2)
	v_subrev_nc_u32_e32 v21, 28, v20
	v_sub_nc_u32_e32 v20, 29, v20
	v_lshlrev_b64_e32 v[32:33], v21, v[8:9]
	s_delay_alu instid0(VALU_DEP_1)
	v_and_b32_e32 v8, 7, v32
; %bb.133:                              ;   in Loop: Header=BB171_104 Depth=1
	s_or_b32 exec_lo, exec_lo, s16
	s_delay_alu instid0(VALU_DEP_1) | instskip(SKIP_1) | instid1(VALU_DEP_2)
	v_dual_lshlrev_b32 v21, 24, v25 :: v_dual_lshlrev_b32 v8, 20, v8
	v_lshl_add_u32 v20, v20, 23, 0x3c000000
	v_and_b32_e32 v21, 0x80000000, v21
	s_delay_alu instid0(VALU_DEP_1)
	v_or3_b32 v21, v8, v21, v20
	v_mov_b32_e32 v20, v9
.LBB171_134:                            ;   in Loop: Header=BB171_104 Depth=1
	s_or_b32 exec_lo, exec_lo, s15
.LBB171_135:                            ;   in Loop: Header=BB171_104 Depth=1
	s_delay_alu instid0(SALU_CYCLE_1)
	s_or_b32 exec_lo, exec_lo, s14
.LBB171_136:                            ;   in Loop: Header=BB171_104 Depth=1
	s_delay_alu instid0(SALU_CYCLE_1)
	s_or_b32 exec_lo, exec_lo, s0
	v_mov_b64_e32 v[24:25], s[4:5]
	v_dual_add_nc_u32 v32, 1, v30 :: v_dual_bitop2_b32 v15, v15, v17 bitop3:0x54
	v_or_b32_e32 v14, v14, v16
	v_or_b32_e32 v21, v21, v23
	;; [unrolled: 1-line block ×3, first 2 shown]
	v_cmp_eq_u32_e32 vcc_lo, s6, v29
	s_delay_alu instid0(VALU_DEP_4) | instskip(NEXT) | instid1(VALU_DEP_3)
	v_pk_mul_f32 v[16:17], v[24:25], v[14:15]
	v_pk_mul_f32 v[14:15], v[24:25], v[20:21]
	s_and_saveexec_b32 s14, vcc_lo
	s_cbranch_execz .LBB171_138
; %bb.137:                              ;   in Loop: Header=BB171_104 Depth=1
	v_cmp_gt_i32_e64 s0, s25, v30
	s_delay_alu instid0(VALU_DEP_1) | instskip(SKIP_1) | instid1(VALU_DEP_1)
	v_dual_add_nc_u32 v8, 2, v30 :: v_dual_cndmask_b32 v16, 0, v16, s0
	v_cmp_gt_i32_e64 s0, s25, v32
	v_dual_add_nc_u32 v20, 3, v30 :: v_dual_cndmask_b32 v17, 0, v17, s0
	s_delay_alu instid0(VALU_DEP_3) | instskip(NEXT) | instid1(VALU_DEP_1)
	v_cmp_gt_i32_e64 s0, s25, v8
	v_cndmask_b32_e64 v14, 0, v14, s0
	s_delay_alu instid0(VALU_DEP_3) | instskip(NEXT) | instid1(VALU_DEP_1)
	v_cmp_gt_i32_e64 s0, s25, v20
	v_cndmask_b32_e64 v15, 0, v15, s0
.LBB171_138:                            ;   in Loop: Header=BB171_104 Depth=1
	s_or_b32 exec_lo, exec_lo, s14
	global_load_b32 v33, v[18:19], off offset:128
	s_wait_xcnt 0x0
	v_mov_b64_e32 v[18:19], 0
	v_mov_b64_e32 v[20:21], 0
	s_mov_b32 s14, exec_lo
	s_wait_loadcnt 0x0
	v_and_b32_e32 v8, 0xff, v33
	s_delay_alu instid0(VALU_DEP_1)
	v_cmpx_ne_u16_e32 0, v8
	s_cbranch_execz .LBB171_146
; %bb.139:                              ;   in Loop: Header=BB171_104 Depth=1
	v_mov_b64_e32 v[20:21], 0x80000000
	s_mov_b32 s15, exec_lo
	v_cmpx_ne_u16_e32 0x80, v8
	s_cbranch_execz .LBB171_145
; %bb.140:                              ;   in Loop: Header=BB171_104 Depth=1
	v_mov_b64_e32 v[20:21], 0x7f800001
	v_and_b32_e32 v22, 0x7f, v33
	s_mov_b32 s16, exec_lo
	s_delay_alu instid0(VALU_DEP_1)
	v_cmpx_ne_u32_e32 0x7f, v22
	s_cbranch_execz .LBB171_144
; %bb.141:                              ;   in Loop: Header=BB171_104 Depth=1
	v_dual_lshrrev_b32 v20, 3, v22 :: v_dual_bitop2_b32 v8, 7, v33 bitop3:0x40
	s_mov_b32 s17, exec_lo
	v_cmpx_gt_u32_e32 8, v22
; %bb.142:                              ;   in Loop: Header=BB171_104 Depth=1
	s_delay_alu instid0(VALU_DEP_2) | instskip(NEXT) | instid1(VALU_DEP_1)
	v_clz_i32_u32_e32 v20, v8
	v_min_u32_e32 v20, 32, v20
	s_delay_alu instid0(VALU_DEP_1) | instskip(NEXT) | instid1(VALU_DEP_1)
	v_subrev_nc_u32_e32 v21, 28, v20
	v_lshlrev_b64_e32 v[22:23], v21, v[8:9]
	s_delay_alu instid0(VALU_DEP_1)
	v_dual_sub_nc_u32 v20, 29, v20 :: v_dual_bitop2_b32 v8, 7, v22 bitop3:0x40
; %bb.143:                              ;   in Loop: Header=BB171_104 Depth=1
	s_or_b32 exec_lo, exec_lo, s17
	s_delay_alu instid0(VALU_DEP_1) | instskip(NEXT) | instid1(VALU_DEP_2)
	v_dual_lshlrev_b32 v21, 24, v33 :: v_dual_lshlrev_b32 v8, 20, v8
	v_lshl_add_u32 v20, v20, 23, 0x3c000000
	s_delay_alu instid0(VALU_DEP_2) | instskip(NEXT) | instid1(VALU_DEP_1)
	v_and_b32_e32 v21, 0x80000000, v21
	v_or3_b32 v8, v8, v21, v20
	s_delay_alu instid0(VALU_DEP_1)
	v_mov_b64_e32 v[20:21], v[8:9]
.LBB171_144:                            ;   in Loop: Header=BB171_104 Depth=1
	s_or_b32 exec_lo, exec_lo, s16
.LBB171_145:                            ;   in Loop: Header=BB171_104 Depth=1
	s_delay_alu instid0(SALU_CYCLE_1)
	s_or_b32 exec_lo, exec_lo, s15
.LBB171_146:                            ;   in Loop: Header=BB171_104 Depth=1
	s_delay_alu instid0(SALU_CYCLE_1) | instskip(SKIP_2) | instid1(VALU_DEP_1)
	s_or_b32 exec_lo, exec_lo, s14
	v_lshrrev_b16 v8, 8, v33
	s_mov_b32 s14, exec_lo
	v_cmpx_ne_u16_e32 0, v8
	s_cbranch_execz .LBB171_154
; %bb.147:                              ;   in Loop: Header=BB171_104 Depth=1
	v_mov_b64_e32 v[18:19], 0x8000000000000000
	s_mov_b32 s15, exec_lo
	v_cmpx_ne_u16_e32 0x80, v8
	s_cbranch_execz .LBB171_153
; %bb.148:                              ;   in Loop: Header=BB171_104 Depth=1
	v_and_b32_e32 v8, 0xffff, v8
	v_mov_b64_e32 v[18:19], 0x7f80000100000000
	s_mov_b32 s16, exec_lo
	s_delay_alu instid0(VALU_DEP_2) | instskip(NEXT) | instid1(VALU_DEP_1)
	v_and_b32_e32 v22, 0x7f, v8
	v_cmpx_ne_u32_e32 0x7f, v22
	s_cbranch_execz .LBB171_152
; %bb.149:                              ;   in Loop: Header=BB171_104 Depth=1
	v_dual_lshrrev_b32 v18, 3, v22 :: v_dual_bitop2_b32 v8, 7, v8 bitop3:0x40
	s_mov_b32 s17, exec_lo
	v_cmpx_gt_u32_e32 8, v22
; %bb.150:                              ;   in Loop: Header=BB171_104 Depth=1
	s_delay_alu instid0(VALU_DEP_2) | instskip(NEXT) | instid1(VALU_DEP_1)
	v_clz_i32_u32_e32 v18, v8
	v_min_u32_e32 v18, 32, v18
	s_delay_alu instid0(VALU_DEP_1) | instskip(SKIP_1) | instid1(VALU_DEP_2)
	v_subrev_nc_u32_e32 v19, 28, v18
	v_sub_nc_u32_e32 v18, 29, v18
	v_lshlrev_b64_e32 v[22:23], v19, v[8:9]
	s_delay_alu instid0(VALU_DEP_1)
	v_and_b32_e32 v8, 7, v22
; %bb.151:                              ;   in Loop: Header=BB171_104 Depth=1
	s_or_b32 exec_lo, exec_lo, s17
	s_delay_alu instid0(VALU_DEP_1) | instskip(SKIP_1) | instid1(VALU_DEP_2)
	v_dual_lshlrev_b32 v19, 16, v33 :: v_dual_lshlrev_b32 v8, 20, v8
	v_lshl_add_u32 v18, v18, 23, 0x3c000000
	v_and_b32_e32 v19, 0x80000000, v19
	s_delay_alu instid0(VALU_DEP_1)
	v_or3_b32 v19, v8, v19, v18
	v_mov_b32_e32 v18, v9
.LBB171_152:                            ;   in Loop: Header=BB171_104 Depth=1
	s_or_b32 exec_lo, exec_lo, s16
.LBB171_153:                            ;   in Loop: Header=BB171_104 Depth=1
	s_delay_alu instid0(SALU_CYCLE_1)
	s_or_b32 exec_lo, exec_lo, s15
.LBB171_154:                            ;   in Loop: Header=BB171_104 Depth=1
	s_delay_alu instid0(SALU_CYCLE_1) | instskip(SKIP_4) | instid1(VALU_DEP_3)
	s_or_b32 exec_lo, exec_lo, s14
	v_lshrrev_b32_e32 v34, 16, v33
	v_mov_b64_e32 v[22:23], 0
	v_mov_b64_e32 v[24:25], 0
	s_mov_b32 s14, exec_lo
	v_and_b32_e32 v8, 0xff, v34
	s_delay_alu instid0(VALU_DEP_1)
	v_cmpx_ne_u16_e32 0, v8
	s_cbranch_execz .LBB171_162
; %bb.155:                              ;   in Loop: Header=BB171_104 Depth=1
	v_mov_b64_e32 v[24:25], 0x80000000
	s_mov_b32 s15, exec_lo
	v_cmpx_ne_u16_e32 0x80, v8
	s_cbranch_execz .LBB171_161
; %bb.156:                              ;   in Loop: Header=BB171_104 Depth=1
	v_mov_b64_e32 v[24:25], 0x7f800001
	v_bfe_u32 v35, v33, 16, 7
	s_mov_b32 s16, exec_lo
	s_delay_alu instid0(VALU_DEP_1)
	v_cmpx_ne_u32_e32 0x7f, v35
	s_cbranch_execz .LBB171_160
; %bb.157:                              ;   in Loop: Header=BB171_104 Depth=1
	v_dual_lshrrev_b32 v24, 3, v35 :: v_dual_bitop2_b32 v8, 7, v34 bitop3:0x40
	s_mov_b32 s17, exec_lo
	v_cmpx_gt_u32_e32 8, v35
; %bb.158:                              ;   in Loop: Header=BB171_104 Depth=1
	s_delay_alu instid0(VALU_DEP_2) | instskip(NEXT) | instid1(VALU_DEP_1)
	v_clz_i32_u32_e32 v24, v8
	v_min_u32_e32 v24, 32, v24
	s_delay_alu instid0(VALU_DEP_1) | instskip(SKIP_1) | instid1(VALU_DEP_2)
	v_subrev_nc_u32_e32 v25, 28, v24
	v_sub_nc_u32_e32 v24, 29, v24
	v_lshlrev_b64_e32 v[36:37], v25, v[8:9]
	s_delay_alu instid0(VALU_DEP_1)
	v_and_b32_e32 v8, 7, v36
; %bb.159:                              ;   in Loop: Header=BB171_104 Depth=1
	s_or_b32 exec_lo, exec_lo, s17
	s_delay_alu instid0(VALU_DEP_1) | instskip(SKIP_1) | instid1(VALU_DEP_2)
	v_dual_lshlrev_b32 v25, 24, v34 :: v_dual_lshlrev_b32 v8, 20, v8
	v_lshl_add_u32 v24, v24, 23, 0x3c000000
	v_and_b32_e32 v25, 0x80000000, v25
	s_delay_alu instid0(VALU_DEP_1) | instskip(NEXT) | instid1(VALU_DEP_1)
	v_or3_b32 v8, v8, v25, v24
	v_mov_b64_e32 v[24:25], v[8:9]
.LBB171_160:                            ;   in Loop: Header=BB171_104 Depth=1
	s_or_b32 exec_lo, exec_lo, s16
.LBB171_161:                            ;   in Loop: Header=BB171_104 Depth=1
	s_delay_alu instid0(SALU_CYCLE_1)
	s_or_b32 exec_lo, exec_lo, s15
.LBB171_162:                            ;   in Loop: Header=BB171_104 Depth=1
	s_delay_alu instid0(SALU_CYCLE_1) | instskip(NEXT) | instid1(SALU_CYCLE_1)
	s_or_b32 exec_lo, exec_lo, s14
	s_mov_b32 s14, exec_lo
	v_cmpx_lt_u32_e32 0xffffff, v33
	s_cbranch_execz .LBB171_170
; %bb.163:                              ;   in Loop: Header=BB171_104 Depth=1
	v_mov_b64_e32 v[22:23], 0x8000000000000000
	v_lshrrev_b32_e32 v34, 24, v33
	s_mov_b32 s15, exec_lo
	s_delay_alu instid0(VALU_DEP_1)
	v_cmpx_ne_u32_e32 0x80, v34
	s_cbranch_execz .LBB171_169
; %bb.164:                              ;   in Loop: Header=BB171_104 Depth=1
	v_mov_b64_e32 v[22:23], 0x7f80000100000000
	v_bfe_u32 v33, v33, 24, 7
	s_mov_b32 s16, exec_lo
	s_delay_alu instid0(VALU_DEP_1)
	v_cmpx_ne_u32_e32 0x7f, v33
	s_cbranch_execz .LBB171_168
; %bb.165:                              ;   in Loop: Header=BB171_104 Depth=1
	v_dual_lshrrev_b32 v22, 3, v33 :: v_dual_bitop2_b32 v8, 7, v34 bitop3:0x40
	s_mov_b32 s17, exec_lo
	v_cmpx_gt_u32_e32 8, v33
; %bb.166:                              ;   in Loop: Header=BB171_104 Depth=1
	s_delay_alu instid0(VALU_DEP_2) | instskip(NEXT) | instid1(VALU_DEP_1)
	v_clz_i32_u32_e32 v22, v8
	v_min_u32_e32 v22, 32, v22
	s_delay_alu instid0(VALU_DEP_1) | instskip(NEXT) | instid1(VALU_DEP_1)
	v_subrev_nc_u32_e32 v23, 28, v22
	v_lshlrev_b64_e32 v[36:37], v23, v[8:9]
	s_delay_alu instid0(VALU_DEP_1)
	v_dual_sub_nc_u32 v22, 29, v22 :: v_dual_bitop2_b32 v8, 7, v36 bitop3:0x40
; %bb.167:                              ;   in Loop: Header=BB171_104 Depth=1
	s_or_b32 exec_lo, exec_lo, s17
	s_delay_alu instid0(VALU_DEP_1) | instskip(NEXT) | instid1(VALU_DEP_2)
	v_dual_lshlrev_b32 v23, 24, v34 :: v_dual_lshlrev_b32 v8, 20, v8
	v_lshl_add_u32 v22, v22, 23, 0x3c000000
	s_delay_alu instid0(VALU_DEP_2) | instskip(NEXT) | instid1(VALU_DEP_1)
	v_and_b32_e32 v23, 0x80000000, v23
	v_or3_b32 v23, v8, v23, v22
	v_mov_b32_e32 v22, v9
.LBB171_168:                            ;   in Loop: Header=BB171_104 Depth=1
	s_or_b32 exec_lo, exec_lo, s16
.LBB171_169:                            ;   in Loop: Header=BB171_104 Depth=1
	s_delay_alu instid0(SALU_CYCLE_1)
	s_or_b32 exec_lo, exec_lo, s15
.LBB171_170:                            ;   in Loop: Header=BB171_104 Depth=1
	s_delay_alu instid0(SALU_CYCLE_1)
	s_or_b32 exec_lo, exec_lo, s14
	v_or_b32_e32 v19, v19, v21
	v_or_b32_e32 v18, v18, v20
	v_mov_b64_e32 v[20:21], s[4:5]
	v_or_b32_e32 v23, v23, v25
	v_or_b32_e32 v22, v22, v24
	s_delay_alu instid0(VALU_DEP_3) | instskip(NEXT) | instid1(VALU_DEP_2)
	v_pk_mul_f32 v[18:19], v[20:21], v[18:19]
	v_pk_mul_f32 v[20:21], v[20:21], v[22:23]
	s_and_saveexec_b32 s0, vcc_lo
	s_cbranch_execz .LBB171_103
; %bb.171:                              ;   in Loop: Header=BB171_104 Depth=1
	v_cmp_gt_i32_e32 vcc_lo, s9, v32
	v_dual_cndmask_b32 v19, 0, v19, vcc_lo :: v_dual_bitop2_b32 v8, 3, v30 bitop3:0x54
	v_cmp_gt_i32_e32 vcc_lo, s25, v30
	v_cndmask_b32_e32 v18, 0, v18, vcc_lo
	s_delay_alu instid0(VALU_DEP_3) | instskip(SKIP_1) | instid1(VALU_DEP_1)
	v_cmp_gt_i32_e32 vcc_lo, s9, v8
	v_dual_cndmask_b32 v21, 0, v21, vcc_lo :: v_dual_bitop2_b32 v22, 2, v30 bitop3:0x54
	v_cmp_gt_i32_e32 vcc_lo, s25, v22
	v_cndmask_b32_e32 v20, 0, v20, vcc_lo
	s_branch .LBB171_103
.LBB171_172:
	s_or_b32 exec_lo, exec_lo, s7
.LBB171_173:
	s_delay_alu instid0(SALU_CYCLE_1)
	s_or_b32 exec_lo, exec_lo, s1
	ds_bpermute_b32 v2, v27, v6
	ds_bpermute_b32 v3, v27, v7
	v_lshrrev_b32_e32 v5, 1, v26
	v_and_b32_e32 v8, 0x3c1, v0
	s_mov_b32 s0, exec_lo
	s_wait_dscnt 0x0
	s_barrier_signal -1
	v_lshl_add_u32 v4, v5, 2, 0xa0
	s_barrier_wait -1
	v_pk_add_f32 v[2:3], v[6:7], v[2:3]
	v_cmpx_eq_u32_e32 64, v8
	s_cbranch_execz .LBB171_175
; %bb.174:
	v_lshl_add_u32 v1, v1, 7, v4
	s_delay_alu instid0(VALU_DEP_1)
	v_add_nc_u32_e32 v6, 0xffffff00, v1
	v_add_nc_u32_e32 v1, 0xffffff40, v1
	ds_store_b32 v6, v2
	ds_store_b32 v1, v3
.LBB171_175:
	s_or_b32 exec_lo, exec_lo, s0
	v_and_b32_e32 v1, 0x3e0, v0
	v_lshlrev_b32_e32 v5, 2, v5
	s_mov_b32 s1, exec_lo
	v_cmp_eq_u32_e32 vcc_lo, 0, v28
	s_wait_dscnt 0x0
	v_lshlrev_b32_e32 v1, 2, v1
	s_barrier_signal -1
	s_barrier_wait -1
	s_delay_alu instid0(VALU_DEP_1)
	v_add3_u32 v1, 0xa0, v1, v5
	v_cmpx_gt_u32_e32 64, v0
	s_cbranch_execz .LBB171_181
; %bb.176:
	s_and_saveexec_b32 s0, vcc_lo
	s_cbranch_execz .LBB171_178
; %bb.177:
	ds_load_b32 v5, v1
	s_wait_dscnt 0x0
	v_add_f32_e32 v2, v2, v5
.LBB171_178:
	s_or_b32 exec_lo, exec_lo, s0
	s_and_saveexec_b32 s0, vcc_lo
	s_cbranch_execz .LBB171_180
; %bb.179:
	ds_load_b32 v5, v1 offset:64
	s_wait_dscnt 0x0
	v_add_f32_e32 v3, v3, v5
.LBB171_180:
	s_or_b32 exec_lo, exec_lo, s0
.LBB171_181:
	s_delay_alu instid0(SALU_CYCLE_1) | instskip(SKIP_4) | instid1(VALU_DEP_1)
	s_or_b32 exec_lo, exec_lo, s1
	v_and_b32_e32 v5, 0x3e1, v0
	s_mov_b32 s1, exec_lo
	s_barrier_signal -1
	s_barrier_wait -1
	v_cmpx_eq_u32_e32 32, v5
; %bb.182:
	ds_store_2addr_b32 v4, v2, v3 offset1:16
; %bb.183:
	s_or_b32 exec_lo, exec_lo, s1
	s_wait_dscnt 0x0
	s_barrier_signal -1
	s_barrier_wait -1
	s_and_saveexec_b32 s0, s2
	s_cbranch_execz .LBB171_189
; %bb.184:
	s_and_saveexec_b32 s1, vcc_lo
	s_cbranch_execz .LBB171_186
; %bb.185:
	ds_load_b32 v4, v1
	s_wait_dscnt 0x0
	v_add_f32_e32 v2, v2, v4
.LBB171_186:
	s_or_b32 exec_lo, exec_lo, s1
	s_and_saveexec_b32 s1, vcc_lo
	s_cbranch_execz .LBB171_188
; %bb.187:
	ds_load_b32 v1, v1 offset:64
	s_wait_dscnt 0x0
	v_add_f32_e32 v3, v3, v1
.LBB171_188:
	s_or_b32 exec_lo, exec_lo, s1
.LBB171_189:
	s_delay_alu instid0(SALU_CYCLE_1)
	s_or_b32 exec_lo, exec_lo, s0
	s_mov_b32 s1, 0
	s_barrier_signal -1
	s_barrier_wait -1
	s_mov_b32 s0, exec_lo
	v_cmpx_eq_u32_e32 0, v5
	s_cbranch_execz .LBB171_191
; %bb.190:
	s_mul_i32 s0, s24, s8
	s_mul_i32 s2, s8, s12
	;; [unrolled: 1-line block ×3, first 2 shown]
	s_lshr_b32 s6, ttmp7, 16
	s_lshl_b32 s4, s0, 5
	s_bfe_u32 s0, ttmp6, 0x40014
	s_ashr_i32 s5, s4, 31
	s_add_co_i32 s0, s0, 1
	s_ashr_i32 s3, s2, 31
	s_mul_i32 s0, s6, s0
	s_bfe_u32 s7, ttmp6, 0x40008
	s_lshl_b64 s[4:5], s[4:5], 2
	s_lshl_b64 s[2:3], s[2:3], 2
	s_add_co_i32 s7, s7, s0
	s_cmp_eq_u32 s22, 0
	s_add_nc_u64 s[4:5], s[10:11], s[4:5]
	s_cselect_b32 s0, s6, s7
	v_lshlrev_b32_e32 v0, 1, v0
	s_add_nc_u64 s[2:3], s[4:5], s[2:3]
	s_lshl_b32 s0, s0, 7
	s_delay_alu instid0(SALU_CYCLE_1)
	s_add_nc_u64 s[0:1], s[2:3], s[0:1]
	s_clause 0x1
	global_store_b32 v0, v2, s[0:1]
	global_store_b32 v0, v3, s[0:1] offset:64
.LBB171_191:
	s_endpgm
	.section	.rodata,"a",@progbits
	.p2align	6, 0x0
	.amdhsa_kernel _ZN4vllm25paged_attention_v1_kernelIfhLi32ELi8ELi128ELNS_18Fp8KVCacheDataTypeE1ELb0EEEvPT_PKS2_PKT0_S8_ifPKiSA_iPKfiiiSC_SC_iiiii
		.amdhsa_group_segment_fixed_size 160
		.amdhsa_private_segment_fixed_size 0
		.amdhsa_kernarg_size 384
		.amdhsa_user_sgpr_count 2
		.amdhsa_user_sgpr_dispatch_ptr 0
		.amdhsa_user_sgpr_queue_ptr 0
		.amdhsa_user_sgpr_kernarg_segment_ptr 1
		.amdhsa_user_sgpr_dispatch_id 0
		.amdhsa_user_sgpr_kernarg_preload_length 0
		.amdhsa_user_sgpr_kernarg_preload_offset 0
		.amdhsa_user_sgpr_private_segment_size 0
		.amdhsa_wavefront_size32 1
		.amdhsa_uses_dynamic_stack 0
		.amdhsa_enable_private_segment 0
		.amdhsa_system_sgpr_workgroup_id_x 1
		.amdhsa_system_sgpr_workgroup_id_y 1
		.amdhsa_system_sgpr_workgroup_id_z 1
		.amdhsa_system_sgpr_workgroup_info 0
		.amdhsa_system_vgpr_workitem_id 0
		.amdhsa_next_free_vgpr 38
		.amdhsa_next_free_sgpr 32
		.amdhsa_named_barrier_count 0
		.amdhsa_reserve_vcc 1
		.amdhsa_float_round_mode_32 0
		.amdhsa_float_round_mode_16_64 0
		.amdhsa_float_denorm_mode_32 3
		.amdhsa_float_denorm_mode_16_64 3
		.amdhsa_fp16_overflow 0
		.amdhsa_memory_ordered 1
		.amdhsa_forward_progress 1
		.amdhsa_inst_pref_size 59
		.amdhsa_round_robin_scheduling 0
		.amdhsa_exception_fp_ieee_invalid_op 0
		.amdhsa_exception_fp_denorm_src 0
		.amdhsa_exception_fp_ieee_div_zero 0
		.amdhsa_exception_fp_ieee_overflow 0
		.amdhsa_exception_fp_ieee_underflow 0
		.amdhsa_exception_fp_ieee_inexact 0
		.amdhsa_exception_int_div_zero 0
	.end_amdhsa_kernel
	.section	.text._ZN4vllm25paged_attention_v1_kernelIfhLi32ELi8ELi128ELNS_18Fp8KVCacheDataTypeE1ELb0EEEvPT_PKS2_PKT0_S8_ifPKiSA_iPKfiiiSC_SC_iiiii,"axG",@progbits,_ZN4vllm25paged_attention_v1_kernelIfhLi32ELi8ELi128ELNS_18Fp8KVCacheDataTypeE1ELb0EEEvPT_PKS2_PKT0_S8_ifPKiSA_iPKfiiiSC_SC_iiiii,comdat
.Lfunc_end171:
	.size	_ZN4vllm25paged_attention_v1_kernelIfhLi32ELi8ELi128ELNS_18Fp8KVCacheDataTypeE1ELb0EEEvPT_PKS2_PKT0_S8_ifPKiSA_iPKfiiiSC_SC_iiiii, .Lfunc_end171-_ZN4vllm25paged_attention_v1_kernelIfhLi32ELi8ELi128ELNS_18Fp8KVCacheDataTypeE1ELb0EEEvPT_PKS2_PKT0_S8_ifPKiSA_iPKfiiiSC_SC_iiiii
                                        ; -- End function
	.set _ZN4vllm25paged_attention_v1_kernelIfhLi32ELi8ELi128ELNS_18Fp8KVCacheDataTypeE1ELb0EEEvPT_PKS2_PKT0_S8_ifPKiSA_iPKfiiiSC_SC_iiiii.num_vgpr, 38
	.set _ZN4vllm25paged_attention_v1_kernelIfhLi32ELi8ELi128ELNS_18Fp8KVCacheDataTypeE1ELb0EEEvPT_PKS2_PKT0_S8_ifPKiSA_iPKfiiiSC_SC_iiiii.num_agpr, 0
	.set _ZN4vllm25paged_attention_v1_kernelIfhLi32ELi8ELi128ELNS_18Fp8KVCacheDataTypeE1ELb0EEEvPT_PKS2_PKT0_S8_ifPKiSA_iPKfiiiSC_SC_iiiii.numbered_sgpr, 32
	.set _ZN4vllm25paged_attention_v1_kernelIfhLi32ELi8ELi128ELNS_18Fp8KVCacheDataTypeE1ELb0EEEvPT_PKS2_PKT0_S8_ifPKiSA_iPKfiiiSC_SC_iiiii.num_named_barrier, 0
	.set _ZN4vllm25paged_attention_v1_kernelIfhLi32ELi8ELi128ELNS_18Fp8KVCacheDataTypeE1ELb0EEEvPT_PKS2_PKT0_S8_ifPKiSA_iPKfiiiSC_SC_iiiii.private_seg_size, 0
	.set _ZN4vllm25paged_attention_v1_kernelIfhLi32ELi8ELi128ELNS_18Fp8KVCacheDataTypeE1ELb0EEEvPT_PKS2_PKT0_S8_ifPKiSA_iPKfiiiSC_SC_iiiii.uses_vcc, 1
	.set _ZN4vllm25paged_attention_v1_kernelIfhLi32ELi8ELi128ELNS_18Fp8KVCacheDataTypeE1ELb0EEEvPT_PKS2_PKT0_S8_ifPKiSA_iPKfiiiSC_SC_iiiii.uses_flat_scratch, 0
	.set _ZN4vllm25paged_attention_v1_kernelIfhLi32ELi8ELi128ELNS_18Fp8KVCacheDataTypeE1ELb0EEEvPT_PKS2_PKT0_S8_ifPKiSA_iPKfiiiSC_SC_iiiii.has_dyn_sized_stack, 0
	.set _ZN4vllm25paged_attention_v1_kernelIfhLi32ELi8ELi128ELNS_18Fp8KVCacheDataTypeE1ELb0EEEvPT_PKS2_PKT0_S8_ifPKiSA_iPKfiiiSC_SC_iiiii.has_recursion, 0
	.set _ZN4vllm25paged_attention_v1_kernelIfhLi32ELi8ELi128ELNS_18Fp8KVCacheDataTypeE1ELb0EEEvPT_PKS2_PKT0_S8_ifPKiSA_iPKfiiiSC_SC_iiiii.has_indirect_call, 0
	.section	.AMDGPU.csdata,"",@progbits
; Kernel info:
; codeLenInByte = 7480
; TotalNumSgprs: 34
; NumVgprs: 38
; ScratchSize: 0
; MemoryBound: 0
; FloatMode: 240
; IeeeMode: 1
; LDSByteSize: 160 bytes/workgroup (compile time only)
; SGPRBlocks: 0
; VGPRBlocks: 2
; NumSGPRsForWavesPerEU: 34
; NumVGPRsForWavesPerEU: 38
; NamedBarCnt: 0
; Occupancy: 16
; WaveLimiterHint : 1
; COMPUTE_PGM_RSRC2:SCRATCH_EN: 0
; COMPUTE_PGM_RSRC2:USER_SGPR: 2
; COMPUTE_PGM_RSRC2:TRAP_HANDLER: 0
; COMPUTE_PGM_RSRC2:TGID_X_EN: 1
; COMPUTE_PGM_RSRC2:TGID_Y_EN: 1
; COMPUTE_PGM_RSRC2:TGID_Z_EN: 1
; COMPUTE_PGM_RSRC2:TIDIG_COMP_CNT: 0
	.section	.text._ZN4vllm25paged_attention_v1_kernelIfhLi64ELi8ELi128ELNS_18Fp8KVCacheDataTypeE1ELb0EEEvPT_PKS2_PKT0_S8_ifPKiSA_iPKfiiiSC_SC_iiiii,"axG",@progbits,_ZN4vllm25paged_attention_v1_kernelIfhLi64ELi8ELi128ELNS_18Fp8KVCacheDataTypeE1ELb0EEEvPT_PKS2_PKT0_S8_ifPKiSA_iPKfiiiSC_SC_iiiii,comdat
	.protected	_ZN4vllm25paged_attention_v1_kernelIfhLi64ELi8ELi128ELNS_18Fp8KVCacheDataTypeE1ELb0EEEvPT_PKS2_PKT0_S8_ifPKiSA_iPKfiiiSC_SC_iiiii ; -- Begin function _ZN4vllm25paged_attention_v1_kernelIfhLi64ELi8ELi128ELNS_18Fp8KVCacheDataTypeE1ELb0EEEvPT_PKS2_PKT0_S8_ifPKiSA_iPKfiiiSC_SC_iiiii
	.globl	_ZN4vllm25paged_attention_v1_kernelIfhLi64ELi8ELi128ELNS_18Fp8KVCacheDataTypeE1ELb0EEEvPT_PKS2_PKT0_S8_ifPKiSA_iPKfiiiSC_SC_iiiii
	.p2align	8
	.type	_ZN4vllm25paged_attention_v1_kernelIfhLi64ELi8ELi128ELNS_18Fp8KVCacheDataTypeE1ELb0EEEvPT_PKS2_PKT0_S8_ifPKiSA_iPKfiiiSC_SC_iiiii,@function
_ZN4vllm25paged_attention_v1_kernelIfhLi64ELi8ELi128ELNS_18Fp8KVCacheDataTypeE1ELb0EEEvPT_PKS2_PKT0_S8_ifPKiSA_iPKfiiiSC_SC_iiiii: ; @_ZN4vllm25paged_attention_v1_kernelIfhLi64ELi8ELi128ELNS_18Fp8KVCacheDataTypeE1ELb0EEEvPT_PKS2_PKT0_S8_ifPKiSA_iPKfiiiSC_SC_iiiii
; %bb.0:
	s_load_b64 s[10:11], s[0:1], 0x20
	s_bfe_u32 s3, ttmp6, 0x4000c
	s_bfe_u32 s5, ttmp6, 0x40010
	s_and_b32 s4, ttmp7, 0xffff
	s_add_co_i32 s3, s3, 1
	s_add_co_i32 s5, s5, 1
	s_and_b32 s2, ttmp6, 15
	s_bfe_u32 s6, ttmp6, 0x40004
	s_mul_i32 s3, ttmp9, s3
	s_mul_i32 s5, s4, s5
	s_getreg_b32 s22, hwreg(HW_REG_IB_STS2, 6, 4)
	s_add_co_i32 s7, s2, s3
	s_add_co_i32 s6, s6, s5
	s_cmp_eq_u32 s22, 0
	s_clause 0x1
	s_load_b32 s23, s[0:1], 0x80
	s_load_b64 s[2:3], s[0:1], 0x30
	s_cselect_b32 s24, s4, s6
	s_cselect_b32 s4, ttmp9, s7
	s_wait_kmcnt 0x0
	s_abs_i32 s5, s10
	s_delay_alu instid0(SALU_CYCLE_1) | instskip(SKIP_1) | instid1(SALU_CYCLE_2)
	s_cvt_f32_u32 s6, s5
	s_sub_co_i32 s7, 0, s5
	v_rcp_iflag_f32_e32 v1, s6
	s_abs_i32 s8, s23
	v_nop
	s_delay_alu instid0(TRANS32_DEP_1) | instskip(SKIP_1) | instid1(SALU_CYCLE_3)
	v_readfirstlane_b32 s6, v1
	s_mul_f32 s6, s6, 0x4f7ffffe
	s_cvt_u32_f32 s6, s6
	s_delay_alu instid0(SALU_CYCLE_3) | instskip(NEXT) | instid1(SALU_CYCLE_1)
	s_mul_i32 s7, s7, s6
	s_mul_hi_u32 s7, s6, s7
	s_delay_alu instid0(SALU_CYCLE_1) | instskip(SKIP_4) | instid1(SALU_CYCLE_1)
	s_add_co_i32 s6, s6, s7
	s_xor_b32 s7, s23, s10
	s_mul_hi_u32 s6, s8, s6
	s_ashr_i32 s7, s7, 31
	s_mul_i32 s9, s6, s5
	s_sub_co_i32 s8, s8, s9
	s_add_co_i32 s9, s6, 1
	s_sub_co_i32 s10, s8, s5
	s_cmp_ge_u32 s8, s5
	s_cselect_b32 s6, s9, s6
	s_cselect_b32 s8, s10, s8
	s_add_co_i32 s9, s6, 1
	s_cmp_ge_u32 s8, s5
	s_cselect_b32 s5, s9, s6
	s_load_b64 s[8:9], s[0:1], 0x40
	s_xor_b32 s5, s5, s7
	s_delay_alu instid0(SALU_CYCLE_1)
	s_sub_co_i32 s14, s5, s7
	s_mov_b32 s7, 0
	s_abs_i32 s16, s14
	s_mov_b32 s13, s7
	s_cvt_f32_u32 s5, s16
	s_sub_co_i32 s6, 0, s16
	s_mov_b32 s20, s7
	s_delay_alu instid0(SALU_CYCLE_1) | instskip(SKIP_1) | instid1(TRANS32_DEP_1)
	v_rcp_iflag_f32_e32 v1, s5
	v_nop
	v_readfirstlane_b32 s5, v1
	s_mul_f32 s5, s5, 0x4f7ffffe
	s_delay_alu instid0(SALU_CYCLE_3) | instskip(NEXT) | instid1(SALU_CYCLE_3)
	s_cvt_u32_f32 s5, s5
	s_mul_i32 s6, s6, s5
	s_delay_alu instid0(SALU_CYCLE_1)
	s_mul_hi_u32 s10, s5, s6
	s_abs_i32 s6, s4
	s_add_co_i32 s12, s5, s10
	s_wait_kmcnt 0x0
	s_cmp_eq_u64 s[8:9], 0
	s_cbranch_scc1 .LBB172_2
; %bb.1:
	s_ashr_i32 s5, s4, 31
	s_delay_alu instid0(SALU_CYCLE_1) | instskip(NEXT) | instid1(SALU_CYCLE_1)
	s_lshl_b64 s[18:19], s[4:5], 2
	s_add_nc_u64 s[8:9], s[8:9], s[18:19]
	s_load_b32 s20, s[8:9], 0x0
.LBB172_2:
	s_load_b32 s25, s[2:3], s24 offset:0x0 scale_offset
	s_wait_xcnt 0x0
	s_load_b96 s[8:10], s[0:1], 0x48
	v_and_b32_e32 v20, 3, v0
	v_cmp_gt_u32_e64 s2, 64, v0
	s_ashr_i32 s3, s4, 31
	s_ashr_i32 s5, s14, 31
	s_mul_u64 s[14:15], s[6:7], s[12:13]
	s_lshl_b32 s12, s4, 6
	s_and_saveexec_b32 s4, s2
	s_cbranch_execz .LBB172_4
; %bb.3:
	s_load_b64 s[18:19], s[0:1], 0x8
	s_wait_kmcnt 0x0
	s_mul_i32 s26, s8, s24
	s_ashr_i32 s13, s12, 31
	s_ashr_i32 s27, s26, 31
	v_and_b32_e32 v2, 0x3fc, v0
	s_lshl_b64 s[26:27], s[26:27], 2
	s_delay_alu instid0(VALU_DEP_1) | instskip(SKIP_2) | instid1(SALU_CYCLE_1)
	v_lshl_add_u32 v2, v20, 6, v2
	s_add_nc_u64 s[18:19], s[18:19], s[26:27]
	s_lshl_b64 s[26:27], s[12:13], 2
	s_add_nc_u64 s[18:19], s[18:19], s[26:27]
	global_load_b32 v1, v0, s[18:19] scale_offset
	s_wait_loadcnt 0x0
	ds_store_b32 v2, v1
.LBB172_4:
	s_or_b32 exec_lo, exec_lo, s4
	s_wait_kmcnt 0x0
	s_add_co_i32 s4, s25, 7
	s_load_b32 s7, s[0:1], 0x38
	s_ashr_i32 s8, s4, 31
	s_xor_b32 s3, s3, s5
	s_lshr_b32 s5, s8, 29
	s_mul_i32 s8, s15, s16
	s_add_co_i32 s4, s4, s5
	s_sub_co_i32 s5, s6, s8
	s_ashr_i32 s13, s4, 3
	s_add_co_i32 s4, s15, 1
	s_sub_co_i32 s6, s5, s16
	s_cmp_ge_u32 s5, s16
	v_lshrrev_b32_e32 v1, 5, v0
	s_cselect_b32 s4, s4, s15
	s_cselect_b32 s5, s6, s5
	s_add_co_i32 s6, s4, 1
	s_cmp_ge_u32 s5, s16
	v_mbcnt_lo_u32_b32 v27, -1, 0
	s_cselect_b32 s4, s6, s4
	s_wait_dscnt 0x0
	s_xor_b32 s4, s4, s3
	s_wait_kmcnt 0x0
	s_mul_i32 s14, s7, s24
	s_sub_co_i32 s18, s4, s3
	v_cmp_gt_i32_e64 s3, s13, v1
	s_ashr_i32 s15, s14, 31
	s_mov_b32 s4, exec_lo
	s_barrier_signal -1
	s_barrier_wait -1
                                        ; implicit-def: $vgpr19
                                        ; implicit-def: $vgpr28
	v_cmpx_le_i32_e64 s13, v1
	s_xor_b32 s4, exec_lo, s4
; %bb.5:
	v_dual_mov_b32 v19, 0 :: v_dual_mov_b32 v28, 32
	v_mbcnt_lo_u32_b32 v27, -1, 0
                                        ; implicit-def: $vgpr20
; %bb.6:
	s_or_saveexec_b32 s21, s4
	s_clause 0x2
	s_load_b32 s8, s[0:1], 0x88
	s_load_b64 s[16:17], s[0:1], 0x28
	s_load_b128 s[4:7], s[0:1], 0x58
	v_dual_mov_b32 v29, 0xff7fffff :: v_dual_lshrrev_b32 v26, 3, v0
	s_mul_i32 s18, s18, s10
	s_xor_b32 exec_lo, exec_lo, s21
	s_cbranch_execz .LBB172_140
; %bb.7:
	s_load_b64 s[26:27], s[0:1], 0x10
	v_dual_mov_b32 v28, 32 :: v_dual_bitop2_b32 v21, 2, v27 bitop3:0x14
	v_dual_mov_b32 v19, 0 :: v_dual_lshlrev_b32 v14, 6, v20
	v_bfe_u32 v24, v0, 2, 3
	v_xor_b32_e32 v22, 1, v27
	s_wait_kmcnt 0x0
	s_load_b32 s10, s[4:5], 0x0
	s_wait_xcnt 0x0
	v_cmp_gt_i32_e64 s4, 32, v21
	ds_load_b128 v[2:5], v14
	ds_load_b128 v[6:9], v14 offset:16
	ds_load_b128 v[10:13], v14 offset:32
	;; [unrolled: 1-line block ×3, first 2 shown]
	v_lshlrev_b32_e32 v18, 4, v24
	s_ashr_i32 s19, s18, 31
	s_cmp_neq_f32 s20, 0
	v_cndmask_b32_e64 v25, v27, v21, s4
	v_cmp_gt_i32_e64 s4, 32, v22
	v_dual_mov_b32 v21, v19 :: v_dual_lshlrev_b32 v32, 2, v24
	v_cmp_eq_u32_e32 vcc_lo, 0, v20
	s_delay_alu instid0(VALU_DEP_3)
	v_dual_mov_b32 v34, v1 :: v_dual_cndmask_b32 v29, v27, v22, s4
	s_add_nc_u64 s[4:5], s[26:27], s[18:19]
	v_lshlrev_b32_e32 v30, 2, v25
	v_add_nc_u64_e32 v[22:23], s[4:5], v[18:19]
	v_and_b32_e32 v18, 0x7c, v26
	s_cselect_b32 s4, -1, 0
	s_lshl_b64 s[26:27], s[14:15], 2
	v_lshl_or_b32 v25, v1, 5, v32
	s_add_nc_u64 s[26:27], s[16:17], s[26:27]
	v_lshlrev_b32_e32 v31, 2, v29
	v_add_nc_u64_e32 v[20:21], v[22:23], v[20:21]
	v_add_nc_u64_e32 v[22:23], s[26:27], v[18:19]
	v_lshl_or_b32 v32, v1, 3, v24
	v_add_nc_u32_e32 v33, 0x120, v25
	v_mov_b32_e32 v29, 0xff7fffff
	s_mov_b32 s26, s9
	s_mov_b32 s19, 0
	s_sub_co_i32 s27, 1, s25
	s_branch .LBB172_9
.LBB172_8:                              ;   in Loop: Header=BB172_9 Depth=1
	s_or_b32 exec_lo, exec_lo, s28
	v_dual_add_nc_u32 v34, 4, v34 :: v_dual_add_nc_u32 v32, 32, v32
	v_add_nc_u64_e32 v[22:23], 16, v[22:23]
	v_add_nc_u32_e32 v33, 0x80, v33
	s_delay_alu instid0(VALU_DEP_3) | instskip(SKIP_1) | instid1(SALU_CYCLE_1)
	v_cmp_le_i32_e64 s5, s13, v34
	s_or_b32 s19, s5, s19
	s_and_not1_b32 exec_lo, exec_lo, s19
	s_cbranch_execz .LBB172_139
.LBB172_9:                              ; =>This Inner Loop Header: Depth=1
	global_load_b32 v18, v[22:23], off
	v_dual_mov_b32 v35, 0 :: v_dual_mov_b32 v36, 0
	s_mov_b32 s28, exec_lo
	s_wait_loadcnt_dscnt 0x0
	v_mad_nc_i64_i32 v[24:25], v18, s26, v[20:21]
	global_load_u8 v37, v[24:25], off
	s_wait_loadcnt 0x0
	s_wait_xcnt 0x0
	v_cmpx_ne_u16_e32 0, v37
	s_cbranch_execz .LBB172_17
; %bb.10:                               ;   in Loop: Header=BB172_9 Depth=1
	v_bfrev_b32_e32 v36, 1
	s_mov_b32 s29, exec_lo
	v_cmpx_ne_u16_e32 0x80, v37
	s_cbranch_execz .LBB172_16
; %bb.11:                               ;   in Loop: Header=BB172_9 Depth=1
	v_and_b32_e32 v18, 0xffff, v37
	v_mov_b32_e32 v36, 0x7f800001
	s_mov_b32 s30, exec_lo
	s_delay_alu instid0(VALU_DEP_2) | instskip(NEXT) | instid1(VALU_DEP_1)
	v_and_b32_e32 v38, 0x7f, v18
	v_cmpx_ne_u32_e32 0x7f, v38
	s_cbranch_execz .LBB172_15
; %bb.12:                               ;   in Loop: Header=BB172_9 Depth=1
	v_and_b32_e32 v18, 7, v18
	v_lshrrev_b32_e32 v36, 3, v38
	s_mov_b32 s31, exec_lo
	v_cmpx_gt_u32_e32 8, v38
; %bb.13:                               ;   in Loop: Header=BB172_9 Depth=1
	s_delay_alu instid0(VALU_DEP_3) | instskip(NEXT) | instid1(VALU_DEP_1)
	v_clz_i32_u32_e32 v36, v18
	v_min_u32_e32 v36, 32, v36
	s_delay_alu instid0(VALU_DEP_1) | instskip(NEXT) | instid1(VALU_DEP_1)
	v_subrev_nc_u32_e32 v38, 28, v36
	v_lshlrev_b64_e32 v[38:39], v38, v[18:19]
	s_delay_alu instid0(VALU_DEP_1)
	v_dual_sub_nc_u32 v36, 29, v36 :: v_dual_bitop2_b32 v18, 7, v38 bitop3:0x40
; %bb.14:                               ;   in Loop: Header=BB172_9 Depth=1
	s_or_b32 exec_lo, exec_lo, s31
	s_delay_alu instid0(VALU_DEP_1) | instskip(NEXT) | instid1(VALU_DEP_2)
	v_dual_lshlrev_b32 v37, 24, v37 :: v_dual_lshlrev_b32 v18, 20, v18
	v_lshl_add_u32 v36, v36, 23, 0x3c000000
	s_delay_alu instid0(VALU_DEP_2) | instskip(NEXT) | instid1(VALU_DEP_1)
	v_and_b32_e32 v37, 0x80000000, v37
	v_or3_b32 v36, v18, v37, v36
.LBB172_15:                             ;   in Loop: Header=BB172_9 Depth=1
	s_or_b32 exec_lo, exec_lo, s30
.LBB172_16:                             ;   in Loop: Header=BB172_9 Depth=1
	s_delay_alu instid0(SALU_CYCLE_1)
	s_or_b32 exec_lo, exec_lo, s29
.LBB172_17:                             ;   in Loop: Header=BB172_9 Depth=1
	s_delay_alu instid0(SALU_CYCLE_1)
	s_or_b32 exec_lo, exec_lo, s28
	global_load_u8 v37, v[24:25], off offset:4
	s_mov_b32 s28, exec_lo
	s_wait_loadcnt 0x0
	v_cmpx_ne_u16_e32 0, v37
	s_cbranch_execz .LBB172_25
; %bb.18:                               ;   in Loop: Header=BB172_9 Depth=1
	v_bfrev_b32_e32 v35, 1
	s_mov_b32 s29, exec_lo
	v_cmpx_ne_u16_e32 0x80, v37
	s_cbranch_execz .LBB172_24
; %bb.19:                               ;   in Loop: Header=BB172_9 Depth=1
	v_and_b32_e32 v18, 0xffff, v37
	v_mov_b32_e32 v35, 0x7f800001
	s_mov_b32 s30, exec_lo
	s_delay_alu instid0(VALU_DEP_2) | instskip(NEXT) | instid1(VALU_DEP_1)
	v_and_b32_e32 v38, 0x7f, v18
	v_cmpx_ne_u32_e32 0x7f, v38
	s_cbranch_execz .LBB172_23
; %bb.20:                               ;   in Loop: Header=BB172_9 Depth=1
	v_and_b32_e32 v18, 7, v18
	v_lshrrev_b32_e32 v35, 3, v38
	s_mov_b32 s31, exec_lo
	v_cmpx_gt_u32_e32 8, v38
; %bb.21:                               ;   in Loop: Header=BB172_9 Depth=1
	s_delay_alu instid0(VALU_DEP_3) | instskip(NEXT) | instid1(VALU_DEP_1)
	v_clz_i32_u32_e32 v35, v18
	v_min_u32_e32 v35, 32, v35
	s_delay_alu instid0(VALU_DEP_1) | instskip(NEXT) | instid1(VALU_DEP_1)
	v_subrev_nc_u32_e32 v38, 28, v35
	v_lshlrev_b64_e32 v[38:39], v38, v[18:19]
	s_delay_alu instid0(VALU_DEP_1)
	v_dual_sub_nc_u32 v35, 29, v35 :: v_dual_bitop2_b32 v18, 7, v38 bitop3:0x40
; %bb.22:                               ;   in Loop: Header=BB172_9 Depth=1
	s_or_b32 exec_lo, exec_lo, s31
	s_delay_alu instid0(VALU_DEP_1) | instskip(NEXT) | instid1(VALU_DEP_2)
	v_dual_lshlrev_b32 v37, 24, v37 :: v_dual_lshlrev_b32 v18, 20, v18
	v_lshl_add_u32 v35, v35, 23, 0x3c000000
	s_delay_alu instid0(VALU_DEP_2) | instskip(NEXT) | instid1(VALU_DEP_1)
	v_and_b32_e32 v37, 0x80000000, v37
	v_or3_b32 v35, v18, v37, v35
.LBB172_23:                             ;   in Loop: Header=BB172_9 Depth=1
	s_or_b32 exec_lo, exec_lo, s30
.LBB172_24:                             ;   in Loop: Header=BB172_9 Depth=1
	s_delay_alu instid0(SALU_CYCLE_1)
	s_or_b32 exec_lo, exec_lo, s29
.LBB172_25:                             ;   in Loop: Header=BB172_9 Depth=1
	s_delay_alu instid0(SALU_CYCLE_1)
	s_or_b32 exec_lo, exec_lo, s28
	global_load_u8 v39, v[24:25], off offset:8
	v_dual_mov_b32 v37, 0 :: v_dual_mov_b32 v38, 0
	s_mov_b32 s28, exec_lo
	s_wait_loadcnt 0x0
	v_cmpx_ne_u16_e32 0, v39
	s_cbranch_execz .LBB172_33
; %bb.26:                               ;   in Loop: Header=BB172_9 Depth=1
	v_bfrev_b32_e32 v38, 1
	s_mov_b32 s29, exec_lo
	v_cmpx_ne_u16_e32 0x80, v39
	s_cbranch_execz .LBB172_32
; %bb.27:                               ;   in Loop: Header=BB172_9 Depth=1
	v_and_b32_e32 v18, 0xffff, v39
	v_mov_b32_e32 v38, 0x7f800001
	s_mov_b32 s30, exec_lo
	s_delay_alu instid0(VALU_DEP_2) | instskip(NEXT) | instid1(VALU_DEP_1)
	v_and_b32_e32 v40, 0x7f, v18
	v_cmpx_ne_u32_e32 0x7f, v40
	s_cbranch_execz .LBB172_31
; %bb.28:                               ;   in Loop: Header=BB172_9 Depth=1
	v_dual_lshrrev_b32 v38, 3, v40 :: v_dual_bitop2_b32 v18, 7, v18 bitop3:0x40
	s_mov_b32 s31, exec_lo
	v_cmpx_gt_u32_e32 8, v40
; %bb.29:                               ;   in Loop: Header=BB172_9 Depth=1
	s_delay_alu instid0(VALU_DEP_2) | instskip(NEXT) | instid1(VALU_DEP_1)
	v_clz_i32_u32_e32 v38, v18
	v_min_u32_e32 v38, 32, v38
	s_delay_alu instid0(VALU_DEP_1) | instskip(NEXT) | instid1(VALU_DEP_1)
	v_subrev_nc_u32_e32 v40, 28, v38
	v_lshlrev_b64_e32 v[40:41], v40, v[18:19]
	s_delay_alu instid0(VALU_DEP_1)
	v_dual_sub_nc_u32 v38, 29, v38 :: v_dual_bitop2_b32 v18, 7, v40 bitop3:0x40
; %bb.30:                               ;   in Loop: Header=BB172_9 Depth=1
	s_or_b32 exec_lo, exec_lo, s31
	s_delay_alu instid0(VALU_DEP_1) | instskip(NEXT) | instid1(VALU_DEP_2)
	v_dual_lshlrev_b32 v39, 24, v39 :: v_dual_lshlrev_b32 v18, 20, v18
	v_lshl_add_u32 v38, v38, 23, 0x3c000000
	s_delay_alu instid0(VALU_DEP_2) | instskip(NEXT) | instid1(VALU_DEP_1)
	v_and_b32_e32 v39, 0x80000000, v39
	v_or3_b32 v38, v18, v39, v38
.LBB172_31:                             ;   in Loop: Header=BB172_9 Depth=1
	s_or_b32 exec_lo, exec_lo, s30
.LBB172_32:                             ;   in Loop: Header=BB172_9 Depth=1
	s_delay_alu instid0(SALU_CYCLE_1)
	s_or_b32 exec_lo, exec_lo, s29
.LBB172_33:                             ;   in Loop: Header=BB172_9 Depth=1
	s_delay_alu instid0(SALU_CYCLE_1)
	s_or_b32 exec_lo, exec_lo, s28
	global_load_u8 v39, v[24:25], off offset:12
	s_mov_b32 s28, exec_lo
	s_wait_loadcnt 0x0
	v_cmpx_ne_u16_e32 0, v39
	s_cbranch_execz .LBB172_41
; %bb.34:                               ;   in Loop: Header=BB172_9 Depth=1
	v_bfrev_b32_e32 v37, 1
	s_mov_b32 s29, exec_lo
	v_cmpx_ne_u16_e32 0x80, v39
	s_cbranch_execz .LBB172_40
; %bb.35:                               ;   in Loop: Header=BB172_9 Depth=1
	v_and_b32_e32 v18, 0xffff, v39
	v_mov_b32_e32 v37, 0x7f800001
	s_mov_b32 s30, exec_lo
	s_delay_alu instid0(VALU_DEP_2) | instskip(NEXT) | instid1(VALU_DEP_1)
	v_and_b32_e32 v40, 0x7f, v18
	v_cmpx_ne_u32_e32 0x7f, v40
	s_cbranch_execz .LBB172_39
; %bb.36:                               ;   in Loop: Header=BB172_9 Depth=1
	v_dual_lshrrev_b32 v37, 3, v40 :: v_dual_bitop2_b32 v18, 7, v18 bitop3:0x40
	s_mov_b32 s31, exec_lo
	v_cmpx_gt_u32_e32 8, v40
; %bb.37:                               ;   in Loop: Header=BB172_9 Depth=1
	s_delay_alu instid0(VALU_DEP_2) | instskip(NEXT) | instid1(VALU_DEP_1)
	v_clz_i32_u32_e32 v37, v18
	v_min_u32_e32 v37, 32, v37
	s_delay_alu instid0(VALU_DEP_1) | instskip(NEXT) | instid1(VALU_DEP_1)
	v_subrev_nc_u32_e32 v40, 28, v37
	v_lshlrev_b64_e32 v[40:41], v40, v[18:19]
	s_delay_alu instid0(VALU_DEP_1)
	v_dual_sub_nc_u32 v37, 29, v37 :: v_dual_bitop2_b32 v18, 7, v40 bitop3:0x40
; %bb.38:                               ;   in Loop: Header=BB172_9 Depth=1
	s_or_b32 exec_lo, exec_lo, s31
	s_delay_alu instid0(VALU_DEP_1) | instskip(NEXT) | instid1(VALU_DEP_2)
	v_dual_lshlrev_b32 v39, 24, v39 :: v_dual_lshlrev_b32 v18, 20, v18
	v_lshl_add_u32 v37, v37, 23, 0x3c000000
	s_delay_alu instid0(VALU_DEP_2) | instskip(NEXT) | instid1(VALU_DEP_1)
	v_and_b32_e32 v39, 0x80000000, v39
	v_or3_b32 v37, v18, v39, v37
.LBB172_39:                             ;   in Loop: Header=BB172_9 Depth=1
	s_or_b32 exec_lo, exec_lo, s30
.LBB172_40:                             ;   in Loop: Header=BB172_9 Depth=1
	s_delay_alu instid0(SALU_CYCLE_1)
	s_or_b32 exec_lo, exec_lo, s29
.LBB172_41:                             ;   in Loop: Header=BB172_9 Depth=1
	s_delay_alu instid0(SALU_CYCLE_1)
	s_or_b32 exec_lo, exec_lo, s28
	global_load_u8 v41, v[24:25], off offset:128
	v_dual_mov_b32 v39, 0 :: v_dual_mov_b32 v40, 0
	s_mov_b32 s28, exec_lo
	s_wait_loadcnt 0x0
	v_cmpx_ne_u16_e32 0, v41
	s_cbranch_execz .LBB172_49
; %bb.42:                               ;   in Loop: Header=BB172_9 Depth=1
	v_bfrev_b32_e32 v40, 1
	s_mov_b32 s29, exec_lo
	v_cmpx_ne_u16_e32 0x80, v41
	s_cbranch_execz .LBB172_48
; %bb.43:                               ;   in Loop: Header=BB172_9 Depth=1
	v_and_b32_e32 v18, 0xffff, v41
	v_mov_b32_e32 v40, 0x7f800001
	s_mov_b32 s30, exec_lo
	s_delay_alu instid0(VALU_DEP_2) | instskip(NEXT) | instid1(VALU_DEP_1)
	v_and_b32_e32 v42, 0x7f, v18
	v_cmpx_ne_u32_e32 0x7f, v42
	s_cbranch_execz .LBB172_47
; %bb.44:                               ;   in Loop: Header=BB172_9 Depth=1
	v_and_b32_e32 v18, 7, v18
	v_lshrrev_b32_e32 v40, 3, v42
	s_mov_b32 s31, exec_lo
	v_cmpx_gt_u32_e32 8, v42
; %bb.45:                               ;   in Loop: Header=BB172_9 Depth=1
	s_delay_alu instid0(VALU_DEP_3) | instskip(NEXT) | instid1(VALU_DEP_1)
	v_clz_i32_u32_e32 v40, v18
	v_min_u32_e32 v40, 32, v40
	s_delay_alu instid0(VALU_DEP_1) | instskip(NEXT) | instid1(VALU_DEP_1)
	v_subrev_nc_u32_e32 v42, 28, v40
	v_lshlrev_b64_e32 v[42:43], v42, v[18:19]
	s_delay_alu instid0(VALU_DEP_1)
	v_dual_sub_nc_u32 v40, 29, v40 :: v_dual_bitop2_b32 v18, 7, v42 bitop3:0x40
; %bb.46:                               ;   in Loop: Header=BB172_9 Depth=1
	s_or_b32 exec_lo, exec_lo, s31
	s_delay_alu instid0(VALU_DEP_1) | instskip(NEXT) | instid1(VALU_DEP_2)
	v_dual_lshlrev_b32 v41, 24, v41 :: v_dual_lshlrev_b32 v18, 20, v18
	v_lshl_add_u32 v40, v40, 23, 0x3c000000
	s_delay_alu instid0(VALU_DEP_2) | instskip(NEXT) | instid1(VALU_DEP_1)
	v_and_b32_e32 v41, 0x80000000, v41
	v_or3_b32 v40, v18, v41, v40
.LBB172_47:                             ;   in Loop: Header=BB172_9 Depth=1
	s_or_b32 exec_lo, exec_lo, s30
.LBB172_48:                             ;   in Loop: Header=BB172_9 Depth=1
	s_delay_alu instid0(SALU_CYCLE_1)
	s_or_b32 exec_lo, exec_lo, s29
.LBB172_49:                             ;   in Loop: Header=BB172_9 Depth=1
	s_delay_alu instid0(SALU_CYCLE_1)
	s_or_b32 exec_lo, exec_lo, s28
	global_load_u8 v41, v[24:25], off offset:132
	s_mov_b32 s28, exec_lo
	s_wait_loadcnt 0x0
	v_cmpx_ne_u16_e32 0, v41
	s_cbranch_execz .LBB172_57
; %bb.50:                               ;   in Loop: Header=BB172_9 Depth=1
	v_bfrev_b32_e32 v39, 1
	s_mov_b32 s29, exec_lo
	v_cmpx_ne_u16_e32 0x80, v41
	s_cbranch_execz .LBB172_56
; %bb.51:                               ;   in Loop: Header=BB172_9 Depth=1
	v_and_b32_e32 v18, 0xffff, v41
	v_mov_b32_e32 v39, 0x7f800001
	s_mov_b32 s30, exec_lo
	s_delay_alu instid0(VALU_DEP_2) | instskip(NEXT) | instid1(VALU_DEP_1)
	v_and_b32_e32 v42, 0x7f, v18
	v_cmpx_ne_u32_e32 0x7f, v42
	s_cbranch_execz .LBB172_55
; %bb.52:                               ;   in Loop: Header=BB172_9 Depth=1
	v_and_b32_e32 v18, 7, v18
	v_lshrrev_b32_e32 v39, 3, v42
	s_mov_b32 s31, exec_lo
	v_cmpx_gt_u32_e32 8, v42
; %bb.53:                               ;   in Loop: Header=BB172_9 Depth=1
	s_delay_alu instid0(VALU_DEP_3) | instskip(NEXT) | instid1(VALU_DEP_1)
	v_clz_i32_u32_e32 v39, v18
	v_min_u32_e32 v39, 32, v39
	s_delay_alu instid0(VALU_DEP_1) | instskip(NEXT) | instid1(VALU_DEP_1)
	v_subrev_nc_u32_e32 v42, 28, v39
	v_lshlrev_b64_e32 v[42:43], v42, v[18:19]
	s_delay_alu instid0(VALU_DEP_1)
	v_dual_sub_nc_u32 v39, 29, v39 :: v_dual_bitop2_b32 v18, 7, v42 bitop3:0x40
; %bb.54:                               ;   in Loop: Header=BB172_9 Depth=1
	s_or_b32 exec_lo, exec_lo, s31
	s_delay_alu instid0(VALU_DEP_1) | instskip(NEXT) | instid1(VALU_DEP_2)
	v_dual_lshlrev_b32 v41, 24, v41 :: v_dual_lshlrev_b32 v18, 20, v18
	v_lshl_add_u32 v39, v39, 23, 0x3c000000
	s_delay_alu instid0(VALU_DEP_2) | instskip(NEXT) | instid1(VALU_DEP_1)
	v_and_b32_e32 v41, 0x80000000, v41
	v_or3_b32 v39, v18, v41, v39
.LBB172_55:                             ;   in Loop: Header=BB172_9 Depth=1
	s_or_b32 exec_lo, exec_lo, s30
.LBB172_56:                             ;   in Loop: Header=BB172_9 Depth=1
	s_delay_alu instid0(SALU_CYCLE_1)
	s_or_b32 exec_lo, exec_lo, s29
.LBB172_57:                             ;   in Loop: Header=BB172_9 Depth=1
	s_delay_alu instid0(SALU_CYCLE_1)
	s_or_b32 exec_lo, exec_lo, s28
	global_load_u8 v43, v[24:25], off offset:136
	v_dual_mov_b32 v41, 0 :: v_dual_mov_b32 v42, 0
	s_mov_b32 s28, exec_lo
	s_wait_loadcnt 0x0
	v_cmpx_ne_u16_e32 0, v43
	s_cbranch_execz .LBB172_65
; %bb.58:                               ;   in Loop: Header=BB172_9 Depth=1
	v_bfrev_b32_e32 v42, 1
	s_mov_b32 s29, exec_lo
	v_cmpx_ne_u16_e32 0x80, v43
	s_cbranch_execz .LBB172_64
; %bb.59:                               ;   in Loop: Header=BB172_9 Depth=1
	v_and_b32_e32 v18, 0xffff, v43
	v_mov_b32_e32 v42, 0x7f800001
	s_mov_b32 s30, exec_lo
	s_delay_alu instid0(VALU_DEP_2) | instskip(NEXT) | instid1(VALU_DEP_1)
	v_and_b32_e32 v44, 0x7f, v18
	v_cmpx_ne_u32_e32 0x7f, v44
	s_cbranch_execz .LBB172_63
; %bb.60:                               ;   in Loop: Header=BB172_9 Depth=1
	v_dual_lshrrev_b32 v42, 3, v44 :: v_dual_bitop2_b32 v18, 7, v18 bitop3:0x40
	s_mov_b32 s31, exec_lo
	v_cmpx_gt_u32_e32 8, v44
; %bb.61:                               ;   in Loop: Header=BB172_9 Depth=1
	s_delay_alu instid0(VALU_DEP_2) | instskip(NEXT) | instid1(VALU_DEP_1)
	v_clz_i32_u32_e32 v42, v18
	v_min_u32_e32 v42, 32, v42
	s_delay_alu instid0(VALU_DEP_1) | instskip(NEXT) | instid1(VALU_DEP_1)
	v_subrev_nc_u32_e32 v44, 28, v42
	v_lshlrev_b64_e32 v[44:45], v44, v[18:19]
	s_delay_alu instid0(VALU_DEP_1)
	v_dual_sub_nc_u32 v42, 29, v42 :: v_dual_bitop2_b32 v18, 7, v44 bitop3:0x40
; %bb.62:                               ;   in Loop: Header=BB172_9 Depth=1
	s_or_b32 exec_lo, exec_lo, s31
	s_delay_alu instid0(VALU_DEP_1) | instskip(NEXT) | instid1(VALU_DEP_2)
	v_dual_lshlrev_b32 v43, 24, v43 :: v_dual_lshlrev_b32 v18, 20, v18
	v_lshl_add_u32 v42, v42, 23, 0x3c000000
	s_delay_alu instid0(VALU_DEP_2) | instskip(NEXT) | instid1(VALU_DEP_1)
	v_and_b32_e32 v43, 0x80000000, v43
	v_or3_b32 v42, v18, v43, v42
.LBB172_63:                             ;   in Loop: Header=BB172_9 Depth=1
	s_or_b32 exec_lo, exec_lo, s30
.LBB172_64:                             ;   in Loop: Header=BB172_9 Depth=1
	s_delay_alu instid0(SALU_CYCLE_1)
	s_or_b32 exec_lo, exec_lo, s29
.LBB172_65:                             ;   in Loop: Header=BB172_9 Depth=1
	s_delay_alu instid0(SALU_CYCLE_1)
	s_or_b32 exec_lo, exec_lo, s28
	global_load_u8 v43, v[24:25], off offset:140
	s_mov_b32 s28, exec_lo
	s_wait_loadcnt 0x0
	v_cmpx_ne_u16_e32 0, v43
	s_cbranch_execz .LBB172_73
; %bb.66:                               ;   in Loop: Header=BB172_9 Depth=1
	v_bfrev_b32_e32 v41, 1
	s_mov_b32 s29, exec_lo
	v_cmpx_ne_u16_e32 0x80, v43
	s_cbranch_execz .LBB172_72
; %bb.67:                               ;   in Loop: Header=BB172_9 Depth=1
	v_and_b32_e32 v18, 0xffff, v43
	v_mov_b32_e32 v41, 0x7f800001
	s_mov_b32 s30, exec_lo
	s_delay_alu instid0(VALU_DEP_2) | instskip(NEXT) | instid1(VALU_DEP_1)
	v_and_b32_e32 v44, 0x7f, v18
	v_cmpx_ne_u32_e32 0x7f, v44
	s_cbranch_execz .LBB172_71
; %bb.68:                               ;   in Loop: Header=BB172_9 Depth=1
	v_dual_lshrrev_b32 v41, 3, v44 :: v_dual_bitop2_b32 v18, 7, v18 bitop3:0x40
	s_mov_b32 s31, exec_lo
	v_cmpx_gt_u32_e32 8, v44
; %bb.69:                               ;   in Loop: Header=BB172_9 Depth=1
	s_delay_alu instid0(VALU_DEP_2) | instskip(NEXT) | instid1(VALU_DEP_1)
	v_clz_i32_u32_e32 v41, v18
	v_min_u32_e32 v41, 32, v41
	s_delay_alu instid0(VALU_DEP_1) | instskip(NEXT) | instid1(VALU_DEP_1)
	v_subrev_nc_u32_e32 v44, 28, v41
	v_lshlrev_b64_e32 v[44:45], v44, v[18:19]
	s_delay_alu instid0(VALU_DEP_1)
	v_dual_sub_nc_u32 v41, 29, v41 :: v_dual_bitop2_b32 v18, 7, v44 bitop3:0x40
; %bb.70:                               ;   in Loop: Header=BB172_9 Depth=1
	s_or_b32 exec_lo, exec_lo, s31
	s_delay_alu instid0(VALU_DEP_1) | instskip(NEXT) | instid1(VALU_DEP_2)
	v_dual_lshlrev_b32 v43, 24, v43 :: v_dual_lshlrev_b32 v18, 20, v18
	v_lshl_add_u32 v41, v41, 23, 0x3c000000
	s_delay_alu instid0(VALU_DEP_2) | instskip(NEXT) | instid1(VALU_DEP_1)
	v_and_b32_e32 v43, 0x80000000, v43
	v_or3_b32 v41, v18, v43, v41
.LBB172_71:                             ;   in Loop: Header=BB172_9 Depth=1
	s_or_b32 exec_lo, exec_lo, s30
.LBB172_72:                             ;   in Loop: Header=BB172_9 Depth=1
	s_delay_alu instid0(SALU_CYCLE_1)
	s_or_b32 exec_lo, exec_lo, s29
.LBB172_73:                             ;   in Loop: Header=BB172_9 Depth=1
	s_delay_alu instid0(SALU_CYCLE_1)
	s_or_b32 exec_lo, exec_lo, s28
	global_load_u8 v45, v[24:25], off offset:256
	v_dual_mov_b32 v43, 0 :: v_dual_mov_b32 v44, 0
	s_mov_b32 s28, exec_lo
	s_wait_loadcnt 0x0
	v_cmpx_ne_u16_e32 0, v45
	s_cbranch_execz .LBB172_81
; %bb.74:                               ;   in Loop: Header=BB172_9 Depth=1
	v_bfrev_b32_e32 v44, 1
	s_mov_b32 s29, exec_lo
	v_cmpx_ne_u16_e32 0x80, v45
	s_cbranch_execz .LBB172_80
; %bb.75:                               ;   in Loop: Header=BB172_9 Depth=1
	v_and_b32_e32 v18, 0xffff, v45
	v_mov_b32_e32 v44, 0x7f800001
	s_mov_b32 s30, exec_lo
	s_delay_alu instid0(VALU_DEP_2) | instskip(NEXT) | instid1(VALU_DEP_1)
	v_and_b32_e32 v46, 0x7f, v18
	v_cmpx_ne_u32_e32 0x7f, v46
	s_cbranch_execz .LBB172_79
; %bb.76:                               ;   in Loop: Header=BB172_9 Depth=1
	v_and_b32_e32 v18, 7, v18
	v_lshrrev_b32_e32 v44, 3, v46
	s_mov_b32 s31, exec_lo
	v_cmpx_gt_u32_e32 8, v46
; %bb.77:                               ;   in Loop: Header=BB172_9 Depth=1
	s_delay_alu instid0(VALU_DEP_3) | instskip(NEXT) | instid1(VALU_DEP_1)
	v_clz_i32_u32_e32 v44, v18
	v_min_u32_e32 v44, 32, v44
	s_delay_alu instid0(VALU_DEP_1) | instskip(NEXT) | instid1(VALU_DEP_1)
	v_subrev_nc_u32_e32 v46, 28, v44
	v_lshlrev_b64_e32 v[46:47], v46, v[18:19]
	s_delay_alu instid0(VALU_DEP_1)
	v_dual_sub_nc_u32 v44, 29, v44 :: v_dual_bitop2_b32 v18, 7, v46 bitop3:0x40
; %bb.78:                               ;   in Loop: Header=BB172_9 Depth=1
	s_or_b32 exec_lo, exec_lo, s31
	s_delay_alu instid0(VALU_DEP_1) | instskip(NEXT) | instid1(VALU_DEP_2)
	v_dual_lshlrev_b32 v45, 24, v45 :: v_dual_lshlrev_b32 v18, 20, v18
	v_lshl_add_u32 v44, v44, 23, 0x3c000000
	s_delay_alu instid0(VALU_DEP_2) | instskip(NEXT) | instid1(VALU_DEP_1)
	v_and_b32_e32 v45, 0x80000000, v45
	v_or3_b32 v44, v18, v45, v44
.LBB172_79:                             ;   in Loop: Header=BB172_9 Depth=1
	s_or_b32 exec_lo, exec_lo, s30
.LBB172_80:                             ;   in Loop: Header=BB172_9 Depth=1
	s_delay_alu instid0(SALU_CYCLE_1)
	s_or_b32 exec_lo, exec_lo, s29
.LBB172_81:                             ;   in Loop: Header=BB172_9 Depth=1
	s_delay_alu instid0(SALU_CYCLE_1)
	s_or_b32 exec_lo, exec_lo, s28
	global_load_u8 v45, v[24:25], off offset:260
	s_mov_b32 s28, exec_lo
	s_wait_loadcnt 0x0
	v_cmpx_ne_u16_e32 0, v45
	s_cbranch_execz .LBB172_89
; %bb.82:                               ;   in Loop: Header=BB172_9 Depth=1
	v_bfrev_b32_e32 v43, 1
	s_mov_b32 s29, exec_lo
	v_cmpx_ne_u16_e32 0x80, v45
	s_cbranch_execz .LBB172_88
; %bb.83:                               ;   in Loop: Header=BB172_9 Depth=1
	v_and_b32_e32 v18, 0xffff, v45
	v_mov_b32_e32 v43, 0x7f800001
	s_mov_b32 s30, exec_lo
	s_delay_alu instid0(VALU_DEP_2) | instskip(NEXT) | instid1(VALU_DEP_1)
	v_and_b32_e32 v46, 0x7f, v18
	v_cmpx_ne_u32_e32 0x7f, v46
	s_cbranch_execz .LBB172_87
; %bb.84:                               ;   in Loop: Header=BB172_9 Depth=1
	v_and_b32_e32 v18, 7, v18
	v_lshrrev_b32_e32 v43, 3, v46
	s_mov_b32 s31, exec_lo
	v_cmpx_gt_u32_e32 8, v46
; %bb.85:                               ;   in Loop: Header=BB172_9 Depth=1
	s_delay_alu instid0(VALU_DEP_3) | instskip(NEXT) | instid1(VALU_DEP_1)
	v_clz_i32_u32_e32 v43, v18
	v_min_u32_e32 v43, 32, v43
	s_delay_alu instid0(VALU_DEP_1) | instskip(NEXT) | instid1(VALU_DEP_1)
	v_subrev_nc_u32_e32 v46, 28, v43
	v_lshlrev_b64_e32 v[46:47], v46, v[18:19]
	s_delay_alu instid0(VALU_DEP_1)
	v_dual_sub_nc_u32 v43, 29, v43 :: v_dual_bitop2_b32 v18, 7, v46 bitop3:0x40
; %bb.86:                               ;   in Loop: Header=BB172_9 Depth=1
	s_or_b32 exec_lo, exec_lo, s31
	s_delay_alu instid0(VALU_DEP_1) | instskip(NEXT) | instid1(VALU_DEP_2)
	v_dual_lshlrev_b32 v45, 24, v45 :: v_dual_lshlrev_b32 v18, 20, v18
	v_lshl_add_u32 v43, v43, 23, 0x3c000000
	s_delay_alu instid0(VALU_DEP_2) | instskip(NEXT) | instid1(VALU_DEP_1)
	v_and_b32_e32 v45, 0x80000000, v45
	v_or3_b32 v43, v18, v45, v43
.LBB172_87:                             ;   in Loop: Header=BB172_9 Depth=1
	s_or_b32 exec_lo, exec_lo, s30
.LBB172_88:                             ;   in Loop: Header=BB172_9 Depth=1
	s_delay_alu instid0(SALU_CYCLE_1)
	s_or_b32 exec_lo, exec_lo, s29
.LBB172_89:                             ;   in Loop: Header=BB172_9 Depth=1
	s_delay_alu instid0(SALU_CYCLE_1)
	s_or_b32 exec_lo, exec_lo, s28
	global_load_u8 v47, v[24:25], off offset:264
	v_dual_mov_b32 v45, 0 :: v_dual_mov_b32 v46, 0
	s_mov_b32 s28, exec_lo
	s_wait_loadcnt 0x0
	v_cmpx_ne_u16_e32 0, v47
	s_cbranch_execz .LBB172_97
; %bb.90:                               ;   in Loop: Header=BB172_9 Depth=1
	v_bfrev_b32_e32 v46, 1
	s_mov_b32 s29, exec_lo
	v_cmpx_ne_u16_e32 0x80, v47
	s_cbranch_execz .LBB172_96
; %bb.91:                               ;   in Loop: Header=BB172_9 Depth=1
	v_and_b32_e32 v18, 0xffff, v47
	v_mov_b32_e32 v46, 0x7f800001
	s_mov_b32 s30, exec_lo
	s_delay_alu instid0(VALU_DEP_2) | instskip(NEXT) | instid1(VALU_DEP_1)
	v_and_b32_e32 v48, 0x7f, v18
	v_cmpx_ne_u32_e32 0x7f, v48
	s_cbranch_execz .LBB172_95
; %bb.92:                               ;   in Loop: Header=BB172_9 Depth=1
	v_dual_lshrrev_b32 v46, 3, v48 :: v_dual_bitop2_b32 v18, 7, v18 bitop3:0x40
	s_mov_b32 s31, exec_lo
	v_cmpx_gt_u32_e32 8, v48
; %bb.93:                               ;   in Loop: Header=BB172_9 Depth=1
	s_delay_alu instid0(VALU_DEP_2) | instskip(NEXT) | instid1(VALU_DEP_1)
	v_clz_i32_u32_e32 v46, v18
	v_min_u32_e32 v46, 32, v46
	s_delay_alu instid0(VALU_DEP_1) | instskip(NEXT) | instid1(VALU_DEP_1)
	v_subrev_nc_u32_e32 v48, 28, v46
	v_lshlrev_b64_e32 v[48:49], v48, v[18:19]
	s_delay_alu instid0(VALU_DEP_1)
	v_dual_sub_nc_u32 v46, 29, v46 :: v_dual_bitop2_b32 v18, 7, v48 bitop3:0x40
; %bb.94:                               ;   in Loop: Header=BB172_9 Depth=1
	s_or_b32 exec_lo, exec_lo, s31
	s_delay_alu instid0(VALU_DEP_1) | instskip(NEXT) | instid1(VALU_DEP_2)
	v_dual_lshlrev_b32 v47, 24, v47 :: v_dual_lshlrev_b32 v18, 20, v18
	v_lshl_add_u32 v46, v46, 23, 0x3c000000
	s_delay_alu instid0(VALU_DEP_2) | instskip(NEXT) | instid1(VALU_DEP_1)
	v_and_b32_e32 v47, 0x80000000, v47
	v_or3_b32 v46, v18, v47, v46
.LBB172_95:                             ;   in Loop: Header=BB172_9 Depth=1
	s_or_b32 exec_lo, exec_lo, s30
.LBB172_96:                             ;   in Loop: Header=BB172_9 Depth=1
	s_delay_alu instid0(SALU_CYCLE_1)
	s_or_b32 exec_lo, exec_lo, s29
.LBB172_97:                             ;   in Loop: Header=BB172_9 Depth=1
	s_delay_alu instid0(SALU_CYCLE_1)
	s_or_b32 exec_lo, exec_lo, s28
	global_load_u8 v47, v[24:25], off offset:268
	s_mov_b32 s28, exec_lo
	s_wait_loadcnt 0x0
	v_cmpx_ne_u16_e32 0, v47
	s_cbranch_execz .LBB172_105
; %bb.98:                               ;   in Loop: Header=BB172_9 Depth=1
	v_bfrev_b32_e32 v45, 1
	s_mov_b32 s29, exec_lo
	v_cmpx_ne_u16_e32 0x80, v47
	s_cbranch_execz .LBB172_104
; %bb.99:                               ;   in Loop: Header=BB172_9 Depth=1
	v_and_b32_e32 v18, 0xffff, v47
	v_mov_b32_e32 v45, 0x7f800001
	s_mov_b32 s30, exec_lo
	s_delay_alu instid0(VALU_DEP_2) | instskip(NEXT) | instid1(VALU_DEP_1)
	v_and_b32_e32 v48, 0x7f, v18
	v_cmpx_ne_u32_e32 0x7f, v48
	s_cbranch_execz .LBB172_103
; %bb.100:                              ;   in Loop: Header=BB172_9 Depth=1
	v_dual_lshrrev_b32 v45, 3, v48 :: v_dual_bitop2_b32 v18, 7, v18 bitop3:0x40
	s_mov_b32 s31, exec_lo
	v_cmpx_gt_u32_e32 8, v48
; %bb.101:                              ;   in Loop: Header=BB172_9 Depth=1
	s_delay_alu instid0(VALU_DEP_2) | instskip(NEXT) | instid1(VALU_DEP_1)
	v_clz_i32_u32_e32 v45, v18
	v_min_u32_e32 v45, 32, v45
	s_delay_alu instid0(VALU_DEP_1) | instskip(NEXT) | instid1(VALU_DEP_1)
	v_subrev_nc_u32_e32 v48, 28, v45
	v_lshlrev_b64_e32 v[48:49], v48, v[18:19]
	s_delay_alu instid0(VALU_DEP_1)
	v_dual_sub_nc_u32 v45, 29, v45 :: v_dual_bitop2_b32 v18, 7, v48 bitop3:0x40
; %bb.102:                              ;   in Loop: Header=BB172_9 Depth=1
	s_or_b32 exec_lo, exec_lo, s31
	s_delay_alu instid0(VALU_DEP_1) | instskip(NEXT) | instid1(VALU_DEP_2)
	v_dual_lshlrev_b32 v47, 24, v47 :: v_dual_lshlrev_b32 v18, 20, v18
	v_lshl_add_u32 v45, v45, 23, 0x3c000000
	s_delay_alu instid0(VALU_DEP_2) | instskip(NEXT) | instid1(VALU_DEP_1)
	v_and_b32_e32 v47, 0x80000000, v47
	v_or3_b32 v45, v18, v47, v45
.LBB172_103:                            ;   in Loop: Header=BB172_9 Depth=1
	s_or_b32 exec_lo, exec_lo, s30
.LBB172_104:                            ;   in Loop: Header=BB172_9 Depth=1
	s_delay_alu instid0(SALU_CYCLE_1)
	s_or_b32 exec_lo, exec_lo, s29
.LBB172_105:                            ;   in Loop: Header=BB172_9 Depth=1
	s_delay_alu instid0(SALU_CYCLE_1)
	s_or_b32 exec_lo, exec_lo, s28
	global_load_u8 v49, v[24:25], off offset:384
	v_dual_mov_b32 v47, 0 :: v_dual_mov_b32 v48, 0
	s_mov_b32 s28, exec_lo
	s_wait_loadcnt 0x0
	v_cmpx_ne_u16_e32 0, v49
	s_cbranch_execz .LBB172_113
; %bb.106:                              ;   in Loop: Header=BB172_9 Depth=1
	v_bfrev_b32_e32 v48, 1
	s_mov_b32 s29, exec_lo
	v_cmpx_ne_u16_e32 0x80, v49
	s_cbranch_execz .LBB172_112
; %bb.107:                              ;   in Loop: Header=BB172_9 Depth=1
	v_and_b32_e32 v18, 0xffff, v49
	v_mov_b32_e32 v48, 0x7f800001
	s_mov_b32 s30, exec_lo
	s_delay_alu instid0(VALU_DEP_2) | instskip(NEXT) | instid1(VALU_DEP_1)
	v_and_b32_e32 v50, 0x7f, v18
	v_cmpx_ne_u32_e32 0x7f, v50
	s_cbranch_execz .LBB172_111
; %bb.108:                              ;   in Loop: Header=BB172_9 Depth=1
	v_and_b32_e32 v18, 7, v18
	v_lshrrev_b32_e32 v48, 3, v50
	s_mov_b32 s31, exec_lo
	v_cmpx_gt_u32_e32 8, v50
; %bb.109:                              ;   in Loop: Header=BB172_9 Depth=1
	s_delay_alu instid0(VALU_DEP_3) | instskip(NEXT) | instid1(VALU_DEP_1)
	v_clz_i32_u32_e32 v48, v18
	v_min_u32_e32 v48, 32, v48
	s_delay_alu instid0(VALU_DEP_1) | instskip(NEXT) | instid1(VALU_DEP_1)
	v_subrev_nc_u32_e32 v50, 28, v48
	v_lshlrev_b64_e32 v[50:51], v50, v[18:19]
	s_delay_alu instid0(VALU_DEP_1)
	v_dual_sub_nc_u32 v48, 29, v48 :: v_dual_bitop2_b32 v18, 7, v50 bitop3:0x40
; %bb.110:                              ;   in Loop: Header=BB172_9 Depth=1
	s_or_b32 exec_lo, exec_lo, s31
	s_delay_alu instid0(VALU_DEP_1) | instskip(NEXT) | instid1(VALU_DEP_2)
	v_dual_lshlrev_b32 v49, 24, v49 :: v_dual_lshlrev_b32 v18, 20, v18
	v_lshl_add_u32 v48, v48, 23, 0x3c000000
	s_delay_alu instid0(VALU_DEP_2) | instskip(NEXT) | instid1(VALU_DEP_1)
	v_and_b32_e32 v49, 0x80000000, v49
	v_or3_b32 v48, v18, v49, v48
.LBB172_111:                            ;   in Loop: Header=BB172_9 Depth=1
	s_or_b32 exec_lo, exec_lo, s30
.LBB172_112:                            ;   in Loop: Header=BB172_9 Depth=1
	s_delay_alu instid0(SALU_CYCLE_1)
	s_or_b32 exec_lo, exec_lo, s29
.LBB172_113:                            ;   in Loop: Header=BB172_9 Depth=1
	s_delay_alu instid0(SALU_CYCLE_1)
	s_or_b32 exec_lo, exec_lo, s28
	global_load_u8 v49, v[24:25], off offset:388
	s_mov_b32 s28, exec_lo
	s_wait_loadcnt 0x0
	v_cmpx_ne_u16_e32 0, v49
	s_cbranch_execz .LBB172_121
; %bb.114:                              ;   in Loop: Header=BB172_9 Depth=1
	v_bfrev_b32_e32 v47, 1
	s_mov_b32 s29, exec_lo
	v_cmpx_ne_u16_e32 0x80, v49
	s_cbranch_execz .LBB172_120
; %bb.115:                              ;   in Loop: Header=BB172_9 Depth=1
	v_and_b32_e32 v18, 0xffff, v49
	v_mov_b32_e32 v47, 0x7f800001
	s_mov_b32 s30, exec_lo
	s_delay_alu instid0(VALU_DEP_2) | instskip(NEXT) | instid1(VALU_DEP_1)
	v_and_b32_e32 v50, 0x7f, v18
	v_cmpx_ne_u32_e32 0x7f, v50
	s_cbranch_execz .LBB172_119
; %bb.116:                              ;   in Loop: Header=BB172_9 Depth=1
	v_and_b32_e32 v18, 7, v18
	v_lshrrev_b32_e32 v47, 3, v50
	s_mov_b32 s31, exec_lo
	v_cmpx_gt_u32_e32 8, v50
; %bb.117:                              ;   in Loop: Header=BB172_9 Depth=1
	s_delay_alu instid0(VALU_DEP_3) | instskip(NEXT) | instid1(VALU_DEP_1)
	v_clz_i32_u32_e32 v47, v18
	v_min_u32_e32 v47, 32, v47
	s_delay_alu instid0(VALU_DEP_1) | instskip(NEXT) | instid1(VALU_DEP_1)
	v_subrev_nc_u32_e32 v50, 28, v47
	v_lshlrev_b64_e32 v[50:51], v50, v[18:19]
	s_delay_alu instid0(VALU_DEP_1)
	v_dual_sub_nc_u32 v47, 29, v47 :: v_dual_bitop2_b32 v18, 7, v50 bitop3:0x40
; %bb.118:                              ;   in Loop: Header=BB172_9 Depth=1
	s_or_b32 exec_lo, exec_lo, s31
	s_delay_alu instid0(VALU_DEP_1) | instskip(NEXT) | instid1(VALU_DEP_2)
	v_dual_lshlrev_b32 v49, 24, v49 :: v_dual_lshlrev_b32 v18, 20, v18
	v_lshl_add_u32 v47, v47, 23, 0x3c000000
	s_delay_alu instid0(VALU_DEP_2) | instskip(NEXT) | instid1(VALU_DEP_1)
	v_and_b32_e32 v49, 0x80000000, v49
	v_or3_b32 v47, v18, v49, v47
.LBB172_119:                            ;   in Loop: Header=BB172_9 Depth=1
	s_or_b32 exec_lo, exec_lo, s30
.LBB172_120:                            ;   in Loop: Header=BB172_9 Depth=1
	s_delay_alu instid0(SALU_CYCLE_1)
	s_or_b32 exec_lo, exec_lo, s29
.LBB172_121:                            ;   in Loop: Header=BB172_9 Depth=1
	s_delay_alu instid0(SALU_CYCLE_1)
	s_or_b32 exec_lo, exec_lo, s28
	global_load_u8 v51, v[24:25], off offset:392
	v_dual_mov_b32 v49, 0 :: v_dual_mov_b32 v50, 0
	s_mov_b32 s28, exec_lo
	s_wait_loadcnt 0x0
	v_cmpx_ne_u16_e32 0, v51
	s_cbranch_execz .LBB172_129
; %bb.122:                              ;   in Loop: Header=BB172_9 Depth=1
	v_bfrev_b32_e32 v50, 1
	s_mov_b32 s29, exec_lo
	v_cmpx_ne_u16_e32 0x80, v51
	s_cbranch_execz .LBB172_128
; %bb.123:                              ;   in Loop: Header=BB172_9 Depth=1
	v_and_b32_e32 v18, 0xffff, v51
	v_mov_b32_e32 v50, 0x7f800001
	s_mov_b32 s30, exec_lo
	s_delay_alu instid0(VALU_DEP_2) | instskip(NEXT) | instid1(VALU_DEP_1)
	v_and_b32_e32 v52, 0x7f, v18
	v_cmpx_ne_u32_e32 0x7f, v52
	s_cbranch_execz .LBB172_127
; %bb.124:                              ;   in Loop: Header=BB172_9 Depth=1
	v_dual_lshrrev_b32 v50, 3, v52 :: v_dual_bitop2_b32 v18, 7, v18 bitop3:0x40
	s_mov_b32 s31, exec_lo
	v_cmpx_gt_u32_e32 8, v52
; %bb.125:                              ;   in Loop: Header=BB172_9 Depth=1
	s_delay_alu instid0(VALU_DEP_2) | instskip(NEXT) | instid1(VALU_DEP_1)
	v_clz_i32_u32_e32 v50, v18
	v_min_u32_e32 v50, 32, v50
	s_delay_alu instid0(VALU_DEP_1) | instskip(NEXT) | instid1(VALU_DEP_1)
	v_subrev_nc_u32_e32 v52, 28, v50
	v_lshlrev_b64_e32 v[52:53], v52, v[18:19]
	s_delay_alu instid0(VALU_DEP_1)
	v_dual_sub_nc_u32 v50, 29, v50 :: v_dual_bitop2_b32 v18, 7, v52 bitop3:0x40
; %bb.126:                              ;   in Loop: Header=BB172_9 Depth=1
	s_or_b32 exec_lo, exec_lo, s31
	s_delay_alu instid0(VALU_DEP_1) | instskip(NEXT) | instid1(VALU_DEP_2)
	v_dual_lshlrev_b32 v51, 24, v51 :: v_dual_lshlrev_b32 v18, 20, v18
	v_lshl_add_u32 v50, v50, 23, 0x3c000000
	s_delay_alu instid0(VALU_DEP_2) | instskip(NEXT) | instid1(VALU_DEP_1)
	v_and_b32_e32 v51, 0x80000000, v51
	v_or3_b32 v50, v18, v51, v50
.LBB172_127:                            ;   in Loop: Header=BB172_9 Depth=1
	s_or_b32 exec_lo, exec_lo, s30
.LBB172_128:                            ;   in Loop: Header=BB172_9 Depth=1
	s_delay_alu instid0(SALU_CYCLE_1)
	s_or_b32 exec_lo, exec_lo, s29
.LBB172_129:                            ;   in Loop: Header=BB172_9 Depth=1
	s_delay_alu instid0(SALU_CYCLE_1)
	s_or_b32 exec_lo, exec_lo, s28
	global_load_u8 v24, v[24:25], off offset:396
	s_mov_b32 s28, exec_lo
	s_wait_loadcnt 0x0
	v_cmpx_ne_u16_e32 0, v24
	s_cbranch_execz .LBB172_137
; %bb.130:                              ;   in Loop: Header=BB172_9 Depth=1
	v_bfrev_b32_e32 v49, 1
	s_mov_b32 s29, exec_lo
	v_cmpx_ne_u16_e32 0x80, v24
	s_cbranch_execz .LBB172_136
; %bb.131:                              ;   in Loop: Header=BB172_9 Depth=1
	v_and_b32_e32 v18, 0xffff, v24
	v_mov_b32_e32 v49, 0x7f800001
	s_mov_b32 s30, exec_lo
	s_delay_alu instid0(VALU_DEP_2) | instskip(NEXT) | instid1(VALU_DEP_1)
	v_and_b32_e32 v51, 0x7f, v18
	v_cmpx_ne_u32_e32 0x7f, v51
	s_cbranch_execz .LBB172_135
; %bb.132:                              ;   in Loop: Header=BB172_9 Depth=1
	v_dual_lshrrev_b32 v25, 3, v51 :: v_dual_bitop2_b32 v18, 7, v18 bitop3:0x40
	s_mov_b32 s31, exec_lo
	v_cmpx_gt_u32_e32 8, v51
; %bb.133:                              ;   in Loop: Header=BB172_9 Depth=1
	s_delay_alu instid0(VALU_DEP_2) | instskip(NEXT) | instid1(VALU_DEP_1)
	v_clz_i32_u32_e32 v25, v18
	v_min_u32_e32 v25, 32, v25
	s_delay_alu instid0(VALU_DEP_1) | instskip(NEXT) | instid1(VALU_DEP_1)
	v_subrev_nc_u32_e32 v49, 28, v25
	v_lshlrev_b64_e32 v[52:53], v49, v[18:19]
	s_delay_alu instid0(VALU_DEP_1)
	v_dual_sub_nc_u32 v25, 29, v25 :: v_dual_bitop2_b32 v18, 7, v52 bitop3:0x40
; %bb.134:                              ;   in Loop: Header=BB172_9 Depth=1
	s_or_b32 exec_lo, exec_lo, s31
	s_delay_alu instid0(VALU_DEP_1) | instskip(NEXT) | instid1(VALU_DEP_2)
	v_dual_lshlrev_b32 v24, 24, v24 :: v_dual_lshlrev_b32 v18, 20, v18
	v_lshl_add_u32 v25, v25, 23, 0x3c000000
	s_delay_alu instid0(VALU_DEP_2) | instskip(NEXT) | instid1(VALU_DEP_1)
	v_and_b32_e32 v24, 0x80000000, v24
	v_or3_b32 v49, v18, v24, v25
.LBB172_135:                            ;   in Loop: Header=BB172_9 Depth=1
	s_or_b32 exec_lo, exec_lo, s30
.LBB172_136:                            ;   in Loop: Header=BB172_9 Depth=1
	s_delay_alu instid0(SALU_CYCLE_1)
	s_or_b32 exec_lo, exec_lo, s29
.LBB172_137:                            ;   in Loop: Header=BB172_9 Depth=1
	s_delay_alu instid0(SALU_CYCLE_1) | instskip(SKIP_3) | instid1(VALU_DEP_1)
	s_or_b32 exec_lo, exec_lo, s28
	s_wait_kmcnt 0x0
	v_dual_mul_f32 v18, s10, v35 :: v_dual_mul_f32 v24, s10, v36
	s_wait_dscnt 0x3
	v_mul_f32_e32 v18, v3, v18
	s_delay_alu instid0(VALU_DEP_1) | instskip(SKIP_1) | instid1(VALU_DEP_2)
	v_dual_mul_f32 v25, s10, v38 :: v_dual_fmac_f32 v18, v2, v24
	v_mul_f32_e32 v24, s10, v37
	v_dual_fmac_f32 v18, v4, v25 :: v_dual_mul_f32 v25, s10, v40
	s_delay_alu instid0(VALU_DEP_1) | instskip(SKIP_1) | instid1(VALU_DEP_1)
	v_dual_fmac_f32 v18, v5, v24 :: v_dual_mul_f32 v24, s10, v39
	s_wait_dscnt 0x2
	v_dual_fmac_f32 v18, v6, v25 :: v_dual_mul_f32 v25, s10, v42
	s_delay_alu instid0(VALU_DEP_1) | instskip(NEXT) | instid1(VALU_DEP_1)
	v_dual_fmac_f32 v18, v7, v24 :: v_dual_mul_f32 v24, s10, v41
	v_dual_fmac_f32 v18, v8, v25 :: v_dual_mul_f32 v25, s10, v44
	s_delay_alu instid0(VALU_DEP_1) | instskip(SKIP_1) | instid1(VALU_DEP_1)
	v_dual_fmac_f32 v18, v9, v24 :: v_dual_mul_f32 v24, s10, v43
	s_wait_dscnt 0x1
	v_dual_fmac_f32 v18, v10, v25 :: v_dual_mul_f32 v25, s10, v46
	s_delay_alu instid0(VALU_DEP_1) | instskip(NEXT) | instid1(VALU_DEP_1)
	v_dual_fmac_f32 v18, v11, v24 :: v_dual_mul_f32 v24, s10, v45
	;; [unrolled: 7-line block ×3, first 2 shown]
	v_fmac_f32_e32 v18, v16, v25
	s_delay_alu instid0(VALU_DEP_1)
	v_fmac_f32_e32 v18, v17, v24
	ds_bpermute_b32 v24, v30, v18
	s_wait_dscnt 0x0
	v_add_f32_e32 v18, v18, v24
	ds_bpermute_b32 v24, v31, v18
	s_and_saveexec_b32 s28, vcc_lo
	s_cbranch_execz .LBB172_8
; %bb.138:                              ;   in Loop: Header=BB172_9 Depth=1
	s_wait_dscnt 0x0
	v_add_f32_e32 v18, v18, v24
	v_add_nc_u32_e32 v25, s27, v32
	v_cmp_gt_i32_e64 s5, s25, v32
	s_delay_alu instid0(VALU_DEP_2) | instskip(NEXT) | instid1(VALU_DEP_1)
	v_cvt_f32_i32_e32 v25, v25
	v_mul_f32_e32 v25, s20, v25
	s_delay_alu instid0(VALU_DEP_1) | instskip(NEXT) | instid1(VALU_DEP_1)
	v_cndmask_b32_e64 v24, 0, v25, s4
	v_dual_max_num_f32 v25, v29, v29 :: v_dual_fmac_f32 v24, s11, v18
	s_delay_alu instid0(VALU_DEP_1) | instskip(NEXT) | instid1(VALU_DEP_1)
	v_dual_max_num_f32 v18, v25, v24 :: v_dual_cndmask_b32 v24, 0, v24, s5
	v_cndmask_b32_e64 v29, v29, v18, s5
	ds_store_b32 v33, v24
	s_branch .LBB172_8
.LBB172_139:
	s_or_b32 exec_lo, exec_lo, s19
.LBB172_140:
	s_delay_alu instid0(SALU_CYCLE_1)
	s_or_b32 exec_lo, exec_lo, s21
	v_dual_max_num_f32 v5, v29, v29 :: v_dual_bitop2_b32 v2, 16, v27 bitop3:0x14
	s_clause 0x1
	s_load_b64 s[10:11], s[0:1], 0x0
	s_load_b64 s[20:21], s[0:1], 0x18
	v_and_b32_e32 v36, 31, v0
	v_xor_b32_e32 v4, 8, v27
	v_cmp_lt_i32_e32 vcc_lo, v2, v28
	v_cndmask_b32_e32 v2, v27, v2, vcc_lo
	s_delay_alu instid0(VALU_DEP_3) | instskip(NEXT) | instid1(VALU_DEP_2)
	v_cmp_lt_i32_e32 vcc_lo, v4, v28
	v_dual_lshlrev_b32 v2, 2, v2 :: v_dual_cndmask_b32 v4, v27, v4, vcc_lo
	ds_bpermute_b32 v3, v2, v29
	s_wait_dscnt 0x0
	v_dual_max_num_f32 v6, v3, v3 :: v_dual_lshlrev_b32 v3, 2, v4
	s_delay_alu instid0(VALU_DEP_1) | instskip(SKIP_4) | instid1(VALU_DEP_1)
	v_dual_max_num_f32 v4, v5, v6 :: v_dual_bitop2_b32 v6, 4, v27 bitop3:0x14
	ds_bpermute_b32 v5, v3, v4
	v_cmp_lt_i32_e32 vcc_lo, v6, v28
	v_cndmask_b32_e32 v6, v27, v6, vcc_lo
	s_wait_dscnt 0x0
	v_dual_max_num_f32 v5, v5, v5 :: v_dual_lshlrev_b32 v6, 2, v6
	s_delay_alu instid0(VALU_DEP_1)
	v_max_num_f32_e32 v5, v4, v5
	v_lshlrev_b32_e32 v4, 2, v1
	v_cmp_eq_u32_e32 vcc_lo, 0, v36
	ds_bpermute_b32 v7, v6, v5
	s_wait_xcnt 0x0
	s_and_saveexec_b32 s0, vcc_lo
	s_cbranch_execz .LBB172_142
; %bb.141:
	s_wait_dscnt 0x0
	v_dual_max_num_f32 v7, v7, v7 :: v_dual_max_num_f32 v5, v5, v5
	s_delay_alu instid0(VALU_DEP_1)
	v_max_num_f32_e32 v5, v5, v7
	ds_store_b32 v4, v5 offset:256
.LBB172_142:
	s_or_b32 exec_lo, exec_lo, s0
	v_cmp_gt_u32_e64 s0, 4, v36
	v_dual_mov_b32 v8, 0xff7fffff :: v_dual_lshlrev_b32 v5, 2, v36
	s_wait_dscnt 0x0
	s_barrier_signal -1
	s_barrier_wait -1
	s_and_saveexec_b32 s1, s0
; %bb.143:
	ds_load_b32 v8, v5 offset:256
; %bb.144:
	s_or_b32 exec_lo, exec_lo, s1
	v_xor_b32_e32 v7, 2, v27
	v_xor_b32_e32 v10, 1, v27
	s_delay_alu instid0(VALU_DEP_2) | instskip(NEXT) | instid1(VALU_DEP_1)
	v_cmp_lt_i32_e64 s1, v7, v28
	v_cndmask_b32_e64 v7, v27, v7, s1
	s_delay_alu instid0(VALU_DEP_3) | instskip(NEXT) | instid1(VALU_DEP_1)
	v_cmp_lt_i32_e64 s1, v10, v28
	v_dual_cndmask_b32 v10, v27, v10, s1 :: v_dual_lshlrev_b32 v7, 2, v7
	s_lshl_b32 s1, s13, 3
	s_wait_kmcnt 0x0
	s_min_i32 s5, s1, s25
	s_delay_alu instid0(VALU_DEP_1)
	v_lshlrev_b32_e32 v37, 2, v10
	s_wait_dscnt 0x0
	ds_bpermute_b32 v9, v7, v8
	v_max_num_f32_e32 v8, v8, v8
	v_cmp_gt_i32_e64 s1, s5, v0
	s_wait_dscnt 0x0
	v_max_num_f32_e32 v9, v9, v9
	s_delay_alu instid0(VALU_DEP_1) | instskip(SKIP_3) | instid1(VALU_DEP_1)
	v_max_num_f32_e32 v8, v8, v9
	ds_bpermute_b32 v9, v37, v8
	s_wait_dscnt 0x0
	v_max_num_f32_e32 v9, v9, v9
	v_dual_max_num_f32 v8, v8, v9 :: v_dual_lshlrev_b32 v9, 2, v19
	ds_bpermute_b32 v9, v9, v8
	v_mov_b32_e32 v8, 0
	s_and_saveexec_b32 s19, s1
	s_cbranch_execz .LBB172_148
; %bb.145:
	v_lshl_add_u32 v10, v0, 2, 0x120
	v_dual_mov_b32 v8, 0 :: v_dual_mov_b32 v11, v0
	s_mov_b32 s26, 0
.LBB172_146:                            ; =>This Inner Loop Header: Depth=1
	ds_load_b32 v12, v10
	v_add_nc_u32_e32 v11, 0x80, v11
	s_delay_alu instid0(VALU_DEP_1) | instskip(SKIP_3) | instid1(VALU_DEP_1)
	v_cmp_le_i32_e64 s4, s5, v11
	s_or_b32 s26, s4, s26
	s_wait_dscnt 0x0
	v_sub_f32_e32 v12, v12, v9
	v_mul_f32_e32 v12, 0x3fb8aa3b, v12
	s_delay_alu instid0(VALU_DEP_1)
	v_exp_f32_e32 v12, v12
	ds_store_b32 v10, v12
	v_nop
	v_add_f32_e32 v8, v8, v12
	v_add_nc_u32_e32 v10, 0x200, v10
	s_and_not1_b32 exec_lo, exec_lo, s26
	s_cbranch_execnz .LBB172_146
; %bb.147:
	s_or_b32 exec_lo, exec_lo, s26
.LBB172_148:
	s_delay_alu instid0(SALU_CYCLE_1)
	s_or_b32 exec_lo, exec_lo, s19
	ds_bpermute_b32 v2, v2, v8
	s_wait_dscnt 0x0
	v_add_f32_e32 v2, v8, v2
	ds_bpermute_b32 v3, v3, v2
	s_wait_dscnt 0x0
	v_add_f32_e32 v2, v2, v3
	;; [unrolled: 3-line block ×5, first 2 shown]
	s_and_saveexec_b32 s4, vcc_lo
; %bb.149:
	ds_store_b32 v4, v2 offset:272
; %bb.150:
	s_or_b32 exec_lo, exec_lo, s4
	s_wait_dscnt 0x0
	s_barrier_signal -1
	s_barrier_wait -1
	s_and_saveexec_b32 s4, s0
; %bb.151:
	ds_load_b32 v2, v5 offset:272
; %bb.152:
	s_or_b32 exec_lo, exec_lo, s4
	s_wait_dscnt 0x0
	ds_bpermute_b32 v3, v7, v2
	v_lshlrev_b32_e32 v4, 2, v27
	s_wait_dscnt 0x0
	v_add_f32_e32 v2, v2, v3
	ds_bpermute_b32 v3, v37, v2
	s_wait_dscnt 0x0
	v_add_f32_e32 v2, v2, v3
	v_and_b32_e32 v3, 0xffffff80, v4
	ds_bpermute_b32 v2, v3, v2
	s_and_saveexec_b32 s0, s1
	s_cbranch_execz .LBB172_165
; %bb.153:
	s_wait_dscnt 0x0
	v_add_f32_e32 v2, 0x358637bd, v2
	s_mov_b32 s4, -1
	s_mov_b32 s1, exec_lo
	s_delay_alu instid0(VALU_DEP_1) | instskip(NEXT) | instid1(VALU_DEP_1)
	v_div_scale_f32 v3, null, v2, v2, 1.0
	v_rcp_f32_e32 v5, v3
	v_nop
	s_delay_alu instid0(TRANS32_DEP_1) | instskip(NEXT) | instid1(VALU_DEP_1)
	v_fma_f32 v4, -v3, v5, 1.0
	v_fmac_f32_e32 v5, v4, v5
	v_div_scale_f32 v6, vcc_lo, 1.0, v2, 1.0
	s_delay_alu instid0(VALU_DEP_1) | instskip(NEXT) | instid1(VALU_DEP_1)
	v_mul_f32_e32 v7, v6, v5
	v_fma_f32 v4, -v3, v7, v6
	s_delay_alu instid0(VALU_DEP_1) | instskip(SKIP_1) | instid1(VALU_DEP_2)
	v_fmac_f32_e32 v7, v4, v5
	v_xad_u32 v4, v0, -1, s5
	v_fma_f32 v3, -v3, v7, v6
	s_delay_alu instid0(VALU_DEP_1) | instskip(NEXT) | instid1(VALU_DEP_1)
	v_div_fmas_f32 v3, v3, v5, v7
	v_div_fixup_f32 v2, v3, v2, 1.0
	v_mov_b32_e32 v3, v0
	v_cmpx_lt_u32_e32 0x7f, v4
	s_cbranch_execz .LBB172_162
; %bb.154:
	s_delay_alu instid0(VALU_DEP_3) | instskip(NEXT) | instid1(VALU_DEP_1)
	v_dual_mov_b32 v3, v2 :: v_dual_lshrrev_b32 v4, 7, v4
	v_dual_mov_b32 v8, 0 :: v_dual_add_nc_u32 v5, -1, v4
	s_delay_alu instid0(VALU_DEP_1) | instskip(SKIP_1) | instid1(VALU_DEP_2)
	v_lshrrev_b32_e32 v6, 1, v5
	v_cmp_lt_u32_e32 vcc_lo, 13, v5
	v_add_nc_u32_e32 v5, 1, v6
	s_and_saveexec_b32 s4, vcc_lo
	s_cbranch_execz .LBB172_158
; %bb.155:
	s_delay_alu instid0(VALU_DEP_1)
	v_and_b32_e32 v6, -8, v5
	v_lshl_add_u32 v7, v0, 2, 0x120
	s_mov_b32 s19, 0
	s_mov_b32 s26, 0
.LBB172_156:                            ; =>This Inner Loop Header: Depth=1
	ds_load_2addr_stride64_b32 v[8:9], v7 offset1:2
	ds_load_2addr_stride64_b32 v[10:11], v7 offset0:4 offset1:6
	ds_load_2addr_stride64_b32 v[12:13], v7 offset0:8 offset1:10
	ds_load_2addr_stride64_b32 v[14:15], v7 offset0:12 offset1:14
	ds_load_2addr_stride64_b32 v[16:17], v7 offset0:16 offset1:18
	ds_load_2addr_stride64_b32 v[18:19], v7 offset0:20 offset1:22
	ds_load_2addr_stride64_b32 v[20:21], v7 offset0:24 offset1:26
	ds_load_2addr_stride64_b32 v[22:23], v7 offset0:28 offset1:30
	s_add_co_i32 s26, s26, 16
	v_add_nc_u32_e32 v6, -8, v6
	s_wait_dscnt 0x7
	v_pk_mul_f32 v[8:9], v[2:3], v[8:9]
	s_wait_dscnt 0x6
	v_pk_mul_f32 v[10:11], v[2:3], v[10:11]
	s_wait_dscnt 0x5
	v_pk_mul_f32 v[12:13], v[2:3], v[12:13]
	s_wait_dscnt 0x4
	v_pk_mul_f32 v[14:15], v[2:3], v[14:15]
	s_wait_dscnt 0x3
	v_pk_mul_f32 v[16:17], v[2:3], v[16:17]
	s_wait_dscnt 0x2
	v_pk_mul_f32 v[18:19], v[2:3], v[18:19]
	s_wait_dscnt 0x1
	v_pk_mul_f32 v[20:21], v[2:3], v[20:21]
	s_wait_dscnt 0x0
	v_pk_mul_f32 v[22:23], v[2:3], v[22:23]
	ds_store_2addr_stride64_b32 v7, v8, v9 offset1:2
	ds_store_2addr_stride64_b32 v7, v10, v11 offset0:4 offset1:6
	ds_store_2addr_stride64_b32 v7, v12, v13 offset0:8 offset1:10
	;; [unrolled: 1-line block ×7, first 2 shown]
	v_mov_b32_e32 v8, s26
	v_cmp_eq_u32_e32 vcc_lo, 0, v6
	v_add_nc_u32_e32 v7, 0x2000, v7
	s_or_b32 s19, vcc_lo, s19
	s_delay_alu instid0(SALU_CYCLE_1)
	s_and_not1_b32 exec_lo, exec_lo, s19
	s_cbranch_execnz .LBB172_156
; %bb.157:
	s_or_b32 exec_lo, exec_lo, s19
.LBB172_158:
	s_delay_alu instid0(SALU_CYCLE_1) | instskip(NEXT) | instid1(VALU_DEP_1)
	s_or_b32 exec_lo, exec_lo, s4
	v_and_b32_e32 v5, 7, v5
	s_mov_b32 s19, 0
	s_mov_b32 s4, exec_lo
	s_delay_alu instid0(VALU_DEP_1)
	v_cmpx_ne_u32_e32 0, v5
	s_cbranch_execz .LBB172_161
; %bb.159:
	v_lshlrev_b32_e32 v6, 9, v8
	v_lshlrev_b32_e32 v7, 2, v0
	s_delay_alu instid0(VALU_DEP_1)
	v_add3_u32 v6, v6, v7, 0x120
.LBB172_160:                            ; =>This Inner Loop Header: Depth=1
	ds_load_2addr_stride64_b32 v[8:9], v6 offset1:2
	v_add_nc_u32_e32 v5, -1, v5
	s_delay_alu instid0(VALU_DEP_1)
	v_cmp_eq_u32_e32 vcc_lo, 0, v5
	s_or_b32 s19, vcc_lo, s19
	s_wait_dscnt 0x0
	v_pk_mul_f32 v[8:9], v[2:3], v[8:9]
	ds_store_2addr_stride64_b32 v6, v8, v9 offset1:2
	v_add_nc_u32_e32 v6, 0x400, v6
	s_and_not1_b32 exec_lo, exec_lo, s19
	s_cbranch_execnz .LBB172_160
.LBB172_161:
	s_or_b32 exec_lo, exec_lo, s4
	v_add_nc_u32_e32 v3, 1, v4
	s_delay_alu instid0(VALU_DEP_1) | instskip(NEXT) | instid1(VALU_DEP_1)
	v_and_b32_e32 v4, 0x3fffffe, v3
	v_cmp_ne_u32_e32 vcc_lo, v3, v4
	v_lshl_add_u32 v3, v4, 7, v0
	s_or_not1_b32 s4, vcc_lo, exec_lo
.LBB172_162:
	s_or_b32 exec_lo, exec_lo, s1
	s_delay_alu instid0(SALU_CYCLE_1)
	s_and_b32 exec_lo, exec_lo, s4
	s_cbranch_execz .LBB172_165
; %bb.163:
	v_lshl_add_u32 v4, v3, 2, 0x120
	s_mov_b32 s1, 0
.LBB172_164:                            ; =>This Inner Loop Header: Depth=1
	ds_load_b32 v5, v4
	v_add_nc_u32_e32 v3, 0x80, v3
	s_delay_alu instid0(VALU_DEP_1)
	v_cmp_le_i32_e32 vcc_lo, s5, v3
	s_or_b32 s1, vcc_lo, s1
	s_wait_dscnt 0x0
	v_mul_f32_e32 v5, v2, v5
	ds_store_b32 v4, v5
	v_add_nc_u32_e32 v4, 0x200, v4
	s_and_not1_b32 exec_lo, exec_lo, s1
	s_cbranch_execnz .LBB172_164
.LBB172_165:
	s_or_b32 exec_lo, exec_lo, s0
	v_dual_mov_b32 v7, 0 :: v_dual_bitop2_b32 v38, 1, v0 bitop3:0x40
	s_wait_dscnt 0x0
	s_barrier_signal -1
	s_barrier_wait -1
	s_delay_alu instid0(VALU_DEP_1)
	v_dual_mov_b32 v6, v7 :: v_dual_mov_b32 v9, v7
	v_mov_b32_e32 v8, v7
	s_and_saveexec_b32 s1, s3
	s_cbranch_execz .LBB172_305
; %bb.166:
	s_load_b32 s4, s[6:7], 0x0
	v_dual_mov_b32 v11, 0 :: v_dual_lshlrev_b32 v2, 2, v0
	s_ashr_i32 s19, s18, 31
	v_dual_lshlrev_b32 v3, 4, v38 :: v_dual_mov_b32 v7, 0
	s_delay_alu instid0(VALU_DEP_2)
	v_and_b32_e32 v10, 0x7c, v2
	s_wait_xcnt 0x0
	s_lshl_b64 s[6:7], s[14:15], 2
	s_add_nc_u64 s[14:15], s[20:21], s[18:19]
	v_dual_mov_b32 v6, 0 :: v_dual_bitop2_b32 v2, 4, v2 bitop3:0x40
	v_add_nc_u64_e32 v[12:13], s[14:15], v[10:11]
	v_and_b32_e32 v10, 0x7c, v26
	v_lshl_or_b32 v3, v1, 5, v3
	s_add_nc_u64 s[6:7], s[16:17], s[6:7]
	v_mov_b32_e32 v9, 0
	v_lshl_or_b32 v39, v1, 3, v2
	v_add_nc_u64_e32 v[14:15], s[6:7], v[10:11]
	v_add_nc_u32_e32 v40, 0x120, v3
	v_dual_mov_b32 v8, 0 :: v_dual_mov_b32 v41, v1
	s_mov_b32 s3, s9
	s_wait_kmcnt 0x0
	s_mov_b32 s5, s4
	s_add_co_i32 s6, s13, -1
	s_mov_b32 s9, s25
	s_mov_b32 s7, 0
	s_branch .LBB172_168
.LBB172_167:                            ;   in Loop: Header=BB172_168 Depth=1
	s_or_b32 exec_lo, exec_lo, s0
	s_wait_dscnt 0x0
	v_dual_mul_f32 v10, v2, v28 :: v_dual_mul_f32 v18, v2, v18
	v_pk_mul_f32 v[20:21], v[2:3], v[20:21]
	v_mul_f32_e32 v24, v2, v24
	v_pk_mul_f32 v[30:31], v[4:5], v[30:31]
	s_delay_alu instid0(VALU_DEP_4) | instskip(NEXT) | instid1(VALU_DEP_4)
	v_fmac_f32_e32 v10, v3, v29
	v_dual_fmac_f32 v18, v3, v19 :: v_dual_add_f32 v2, v21, v20
	s_delay_alu instid0(VALU_DEP_4) | instskip(SKIP_1) | instid1(VALU_DEP_4)
	v_fmac_f32_e32 v24, v3, v25
	v_add_nc_u64_e32 v[14:15], 16, v[14:15]
	v_fmac_f32_e32 v10, v4, v26
	s_delay_alu instid0(VALU_DEP_4) | instskip(NEXT) | instid1(VALU_DEP_4)
	v_dual_fmac_f32 v18, v4, v16 :: v_dual_add_f32 v2, v30, v2
	v_dual_fmac_f32 v24, v4, v22 :: v_dual_add_nc_u32 v41, 4, v41
	s_delay_alu instid0(VALU_DEP_3) | instskip(NEXT) | instid1(VALU_DEP_3)
	v_fmac_f32_e32 v10, v5, v27
	v_dual_fmac_f32 v18, v5, v17 :: v_dual_add_f32 v2, v31, v2
	s_delay_alu instid0(VALU_DEP_3) | instskip(NEXT) | instid1(VALU_DEP_4)
	v_fmac_f32_e32 v24, v5, v23
	v_cmp_le_i32_e32 vcc_lo, s13, v41
	s_delay_alu instid0(VALU_DEP_4) | instskip(NEXT) | instid1(VALU_DEP_4)
	v_add_f32_e32 v6, v6, v10
	v_dual_add_f32 v8, v8, v18 :: v_dual_add_nc_u32 v39, 32, v39
	s_delay_alu instid0(VALU_DEP_4) | instskip(SKIP_2) | instid1(SALU_CYCLE_1)
	v_dual_add_f32 v9, v9, v24 :: v_dual_add_f32 v7, v7, v2
	v_add_nc_u32_e32 v40, 0x80, v40
	s_or_b32 s7, vcc_lo, s7
	s_and_not1_b32 exec_lo, exec_lo, s7
	s_cbranch_execz .LBB172_304
.LBB172_168:                            ; =>This Inner Loop Header: Depth=1
	global_load_b32 v2, v[14:15], off
	v_mov_b64_e32 v[16:17], 0
	v_mov_b64_e32 v[18:19], 0
	s_mov_b32 s0, exec_lo
	s_wait_loadcnt 0x0
	v_mad_nc_i64_i32 v[20:21], v2, s3, v[12:13]
	ds_load_b128 v[2:5], v40
	global_load_b32 v26, v[20:21], off
	s_wait_loadcnt 0x0
	v_and_b32_e32 v10, 0xff, v26
	s_delay_alu instid0(VALU_DEP_1)
	v_cmpx_ne_u16_e32 0, v10
	s_cbranch_execz .LBB172_176
; %bb.169:                              ;   in Loop: Header=BB172_168 Depth=1
	v_mov_b64_e32 v[18:19], 0x80000000
	s_mov_b32 s14, exec_lo
	v_cmpx_ne_u16_e32 0x80, v10
	s_cbranch_execz .LBB172_175
; %bb.170:                              ;   in Loop: Header=BB172_168 Depth=1
	v_mov_b64_e32 v[18:19], 0x7f800001
	v_and_b32_e32 v22, 0x7f, v26
	s_mov_b32 s15, exec_lo
	s_delay_alu instid0(VALU_DEP_1)
	v_cmpx_ne_u32_e32 0x7f, v22
	s_cbranch_execz .LBB172_174
; %bb.171:                              ;   in Loop: Header=BB172_168 Depth=1
	v_and_b32_e32 v10, 7, v26
	v_lshrrev_b32_e32 v18, 3, v22
	s_mov_b32 s16, exec_lo
	v_cmpx_gt_u32_e32 8, v22
; %bb.172:                              ;   in Loop: Header=BB172_168 Depth=1
	s_delay_alu instid0(VALU_DEP_3) | instskip(NEXT) | instid1(VALU_DEP_1)
	v_clz_i32_u32_e32 v18, v10
	v_min_u32_e32 v18, 32, v18
	s_delay_alu instid0(VALU_DEP_1) | instskip(SKIP_1) | instid1(VALU_DEP_2)
	v_subrev_nc_u32_e32 v19, 28, v18
	v_sub_nc_u32_e32 v18, 29, v18
	v_lshlrev_b64_e32 v[22:23], v19, v[10:11]
	s_delay_alu instid0(VALU_DEP_1)
	v_and_b32_e32 v10, 7, v22
; %bb.173:                              ;   in Loop: Header=BB172_168 Depth=1
	s_or_b32 exec_lo, exec_lo, s16
	v_lshlrev_b32_e32 v19, 24, v26
	s_delay_alu instid0(VALU_DEP_2) | instskip(SKIP_1) | instid1(VALU_DEP_3)
	v_lshlrev_b32_e32 v10, 20, v10
	v_lshl_add_u32 v18, v18, 23, 0x3c000000
	v_and_b32_e32 v19, 0x80000000, v19
	s_delay_alu instid0(VALU_DEP_1) | instskip(NEXT) | instid1(VALU_DEP_1)
	v_or3_b32 v10, v10, v19, v18
	v_mov_b64_e32 v[18:19], v[10:11]
.LBB172_174:                            ;   in Loop: Header=BB172_168 Depth=1
	s_or_b32 exec_lo, exec_lo, s15
.LBB172_175:                            ;   in Loop: Header=BB172_168 Depth=1
	s_delay_alu instid0(SALU_CYCLE_1)
	s_or_b32 exec_lo, exec_lo, s14
.LBB172_176:                            ;   in Loop: Header=BB172_168 Depth=1
	s_delay_alu instid0(SALU_CYCLE_1) | instskip(SKIP_2) | instid1(VALU_DEP_1)
	s_or_b32 exec_lo, exec_lo, s0
	v_lshrrev_b16 v10, 8, v26
	s_mov_b32 s0, exec_lo
	v_cmpx_ne_u16_e32 0, v10
	s_cbranch_execz .LBB172_184
; %bb.177:                              ;   in Loop: Header=BB172_168 Depth=1
	v_mov_b64_e32 v[16:17], 0x8000000000000000
	s_mov_b32 s14, exec_lo
	v_cmpx_ne_u16_e32 0x80, v10
	s_cbranch_execz .LBB172_183
; %bb.178:                              ;   in Loop: Header=BB172_168 Depth=1
	v_and_b32_e32 v10, 0xffff, v10
	v_mov_b64_e32 v[16:17], 0x7f80000100000000
	s_mov_b32 s15, exec_lo
	s_delay_alu instid0(VALU_DEP_2) | instskip(NEXT) | instid1(VALU_DEP_1)
	v_and_b32_e32 v22, 0x7f, v10
	v_cmpx_ne_u32_e32 0x7f, v22
	s_cbranch_execz .LBB172_182
; %bb.179:                              ;   in Loop: Header=BB172_168 Depth=1
	v_and_b32_e32 v10, 7, v10
	v_lshrrev_b32_e32 v16, 3, v22
	s_mov_b32 s16, exec_lo
	v_cmpx_gt_u32_e32 8, v22
; %bb.180:                              ;   in Loop: Header=BB172_168 Depth=1
	s_delay_alu instid0(VALU_DEP_3) | instskip(NEXT) | instid1(VALU_DEP_1)
	v_clz_i32_u32_e32 v16, v10
	v_min_u32_e32 v16, 32, v16
	s_delay_alu instid0(VALU_DEP_1) | instskip(NEXT) | instid1(VALU_DEP_1)
	v_subrev_nc_u32_e32 v17, 28, v16
	v_lshlrev_b64_e32 v[22:23], v17, v[10:11]
	s_delay_alu instid0(VALU_DEP_1)
	v_dual_sub_nc_u32 v16, 29, v16 :: v_dual_bitop2_b32 v10, 7, v22 bitop3:0x40
; %bb.181:                              ;   in Loop: Header=BB172_168 Depth=1
	s_or_b32 exec_lo, exec_lo, s16
	v_lshlrev_b32_e32 v17, 16, v26
	s_delay_alu instid0(VALU_DEP_2) | instskip(NEXT) | instid1(VALU_DEP_3)
	v_lshlrev_b32_e32 v10, 20, v10
	v_lshl_add_u32 v16, v16, 23, 0x3c000000
	s_delay_alu instid0(VALU_DEP_3) | instskip(NEXT) | instid1(VALU_DEP_1)
	v_and_b32_e32 v17, 0x80000000, v17
	v_or3_b32 v17, v10, v17, v16
	v_mov_b32_e32 v16, v11
.LBB172_182:                            ;   in Loop: Header=BB172_168 Depth=1
	s_or_b32 exec_lo, exec_lo, s15
.LBB172_183:                            ;   in Loop: Header=BB172_168 Depth=1
	s_delay_alu instid0(SALU_CYCLE_1)
	s_or_b32 exec_lo, exec_lo, s14
.LBB172_184:                            ;   in Loop: Header=BB172_168 Depth=1
	s_delay_alu instid0(SALU_CYCLE_1) | instskip(SKIP_4) | instid1(VALU_DEP_3)
	s_or_b32 exec_lo, exec_lo, s0
	v_lshrrev_b32_e32 v27, 16, v26
	v_mov_b64_e32 v[22:23], 0
	v_mov_b64_e32 v[24:25], 0
	s_mov_b32 s0, exec_lo
	v_and_b32_e32 v10, 0xff, v27
	s_delay_alu instid0(VALU_DEP_1)
	v_cmpx_ne_u16_e32 0, v10
	s_cbranch_execz .LBB172_192
; %bb.185:                              ;   in Loop: Header=BB172_168 Depth=1
	v_mov_b64_e32 v[24:25], 0x80000000
	s_mov_b32 s14, exec_lo
	v_cmpx_ne_u16_e32 0x80, v10
	s_cbranch_execz .LBB172_191
; %bb.186:                              ;   in Loop: Header=BB172_168 Depth=1
	v_mov_b64_e32 v[24:25], 0x7f800001
	v_bfe_u32 v28, v26, 16, 7
	s_mov_b32 s15, exec_lo
	s_delay_alu instid0(VALU_DEP_1)
	v_cmpx_ne_u32_e32 0x7f, v28
	s_cbranch_execz .LBB172_190
; %bb.187:                              ;   in Loop: Header=BB172_168 Depth=1
	v_dual_lshrrev_b32 v24, 3, v28 :: v_dual_bitop2_b32 v10, 7, v27 bitop3:0x40
	s_mov_b32 s16, exec_lo
	v_cmpx_gt_u32_e32 8, v28
; %bb.188:                              ;   in Loop: Header=BB172_168 Depth=1
	s_delay_alu instid0(VALU_DEP_2) | instskip(NEXT) | instid1(VALU_DEP_1)
	v_clz_i32_u32_e32 v24, v10
	v_min_u32_e32 v24, 32, v24
	s_delay_alu instid0(VALU_DEP_1) | instskip(SKIP_1) | instid1(VALU_DEP_2)
	v_subrev_nc_u32_e32 v25, 28, v24
	v_sub_nc_u32_e32 v24, 29, v24
	v_lshlrev_b64_e32 v[28:29], v25, v[10:11]
	s_delay_alu instid0(VALU_DEP_1)
	v_and_b32_e32 v10, 7, v28
; %bb.189:                              ;   in Loop: Header=BB172_168 Depth=1
	s_or_b32 exec_lo, exec_lo, s16
	s_delay_alu instid0(VALU_DEP_1) | instskip(SKIP_1) | instid1(VALU_DEP_2)
	v_dual_lshlrev_b32 v25, 24, v27 :: v_dual_lshlrev_b32 v10, 20, v10
	v_lshl_add_u32 v24, v24, 23, 0x3c000000
	v_and_b32_e32 v25, 0x80000000, v25
	s_delay_alu instid0(VALU_DEP_1) | instskip(NEXT) | instid1(VALU_DEP_1)
	v_or3_b32 v10, v10, v25, v24
	v_mov_b64_e32 v[24:25], v[10:11]
.LBB172_190:                            ;   in Loop: Header=BB172_168 Depth=1
	s_or_b32 exec_lo, exec_lo, s15
.LBB172_191:                            ;   in Loop: Header=BB172_168 Depth=1
	s_delay_alu instid0(SALU_CYCLE_1)
	s_or_b32 exec_lo, exec_lo, s14
.LBB172_192:                            ;   in Loop: Header=BB172_168 Depth=1
	s_delay_alu instid0(SALU_CYCLE_1) | instskip(NEXT) | instid1(SALU_CYCLE_1)
	s_or_b32 exec_lo, exec_lo, s0
	s_mov_b32 s0, exec_lo
	v_cmpx_lt_u32_e32 0xffffff, v26
	s_cbranch_execz .LBB172_200
; %bb.193:                              ;   in Loop: Header=BB172_168 Depth=1
	v_mov_b64_e32 v[22:23], 0x8000000000000000
	v_lshrrev_b32_e32 v27, 24, v26
	s_mov_b32 s14, exec_lo
	s_delay_alu instid0(VALU_DEP_1)
	v_cmpx_ne_u32_e32 0x80, v27
	s_cbranch_execz .LBB172_199
; %bb.194:                              ;   in Loop: Header=BB172_168 Depth=1
	v_mov_b64_e32 v[22:23], 0x7f80000100000000
	v_bfe_u32 v26, v26, 24, 7
	s_mov_b32 s15, exec_lo
	s_delay_alu instid0(VALU_DEP_1)
	v_cmpx_ne_u32_e32 0x7f, v26
	s_cbranch_execz .LBB172_198
; %bb.195:                              ;   in Loop: Header=BB172_168 Depth=1
	v_dual_lshrrev_b32 v22, 3, v26 :: v_dual_bitop2_b32 v10, 7, v27 bitop3:0x40
	s_mov_b32 s16, exec_lo
	v_cmpx_gt_u32_e32 8, v26
; %bb.196:                              ;   in Loop: Header=BB172_168 Depth=1
	s_delay_alu instid0(VALU_DEP_2) | instskip(NEXT) | instid1(VALU_DEP_1)
	v_clz_i32_u32_e32 v22, v10
	v_min_u32_e32 v22, 32, v22
	s_delay_alu instid0(VALU_DEP_1) | instskip(NEXT) | instid1(VALU_DEP_1)
	v_subrev_nc_u32_e32 v23, 28, v22
	v_lshlrev_b64_e32 v[28:29], v23, v[10:11]
	s_delay_alu instid0(VALU_DEP_1)
	v_dual_sub_nc_u32 v22, 29, v22 :: v_dual_bitop2_b32 v10, 7, v28 bitop3:0x40
; %bb.197:                              ;   in Loop: Header=BB172_168 Depth=1
	s_or_b32 exec_lo, exec_lo, s16
	s_delay_alu instid0(VALU_DEP_1) | instskip(NEXT) | instid1(VALU_DEP_2)
	v_dual_lshlrev_b32 v23, 24, v27 :: v_dual_lshlrev_b32 v10, 20, v10
	v_lshl_add_u32 v22, v22, 23, 0x3c000000
	s_delay_alu instid0(VALU_DEP_2) | instskip(NEXT) | instid1(VALU_DEP_1)
	v_and_b32_e32 v23, 0x80000000, v23
	v_or3_b32 v23, v10, v23, v22
	v_mov_b32_e32 v22, v11
.LBB172_198:                            ;   in Loop: Header=BB172_168 Depth=1
	s_or_b32 exec_lo, exec_lo, s15
.LBB172_199:                            ;   in Loop: Header=BB172_168 Depth=1
	s_delay_alu instid0(SALU_CYCLE_1)
	s_or_b32 exec_lo, exec_lo, s14
.LBB172_200:                            ;   in Loop: Header=BB172_168 Depth=1
	s_delay_alu instid0(SALU_CYCLE_1)
	s_or_b32 exec_lo, exec_lo, s0
	v_mov_b64_e32 v[26:27], s[4:5]
	v_or_b32_e32 v17, v17, v19
	v_dual_add_nc_u32 v42, 1, v39 :: v_dual_bitop2_b32 v16, v16, v18 bitop3:0x54
	v_dual_add_nc_u32 v35, 2, v39 :: v_dual_bitop2_b32 v23, v23, v25 bitop3:0x54
	;; [unrolled: 1-line block ×3, first 2 shown]
	v_cmp_eq_u32_e32 vcc_lo, s6, v41
	s_delay_alu instid0(VALU_DEP_4) | instskip(NEXT) | instid1(VALU_DEP_3)
	v_pk_mul_f32 v[18:19], v[26:27], v[16:17]
	v_pk_mul_f32 v[16:17], v[26:27], v[22:23]
	s_and_saveexec_b32 s14, vcc_lo
	s_cbranch_execz .LBB172_202
; %bb.201:                              ;   in Loop: Header=BB172_168 Depth=1
	v_cmp_gt_i32_e64 s0, s25, v39
	s_delay_alu instid0(VALU_DEP_1) | instskip(SKIP_1) | instid1(VALU_DEP_1)
	v_cndmask_b32_e64 v18, 0, v18, s0
	v_cmp_gt_i32_e64 s0, s25, v42
	v_cndmask_b32_e64 v19, 0, v19, s0
	v_cmp_gt_i32_e64 s0, s25, v35
	s_delay_alu instid0(VALU_DEP_1) | instskip(SKIP_1) | instid1(VALU_DEP_1)
	v_cndmask_b32_e64 v16, 0, v16, s0
	v_cmp_gt_i32_e64 s0, s25, v34
	v_cndmask_b32_e64 v17, 0, v17, s0
.LBB172_202:                            ;   in Loop: Header=BB172_168 Depth=1
	s_or_b32 exec_lo, exec_lo, s14
	global_load_b32 v30, v[20:21], off offset:128
	v_mov_b64_e32 v[22:23], 0
	v_mov_b64_e32 v[24:25], 0
	s_mov_b32 s14, exec_lo
	s_wait_loadcnt 0x0
	v_and_b32_e32 v10, 0xff, v30
	s_delay_alu instid0(VALU_DEP_1)
	v_cmpx_ne_u16_e32 0, v10
	s_cbranch_execz .LBB172_210
; %bb.203:                              ;   in Loop: Header=BB172_168 Depth=1
	v_mov_b64_e32 v[24:25], 0x80000000
	s_mov_b32 s15, exec_lo
	v_cmpx_ne_u16_e32 0x80, v10
	s_cbranch_execz .LBB172_209
; %bb.204:                              ;   in Loop: Header=BB172_168 Depth=1
	v_mov_b64_e32 v[24:25], 0x7f800001
	v_and_b32_e32 v26, 0x7f, v30
	s_mov_b32 s16, exec_lo
	s_delay_alu instid0(VALU_DEP_1)
	v_cmpx_ne_u32_e32 0x7f, v26
	s_cbranch_execz .LBB172_208
; %bb.205:                              ;   in Loop: Header=BB172_168 Depth=1
	v_and_b32_e32 v10, 7, v30
	v_lshrrev_b32_e32 v24, 3, v26
	s_mov_b32 s17, exec_lo
	v_cmpx_gt_u32_e32 8, v26
; %bb.206:                              ;   in Loop: Header=BB172_168 Depth=1
	s_delay_alu instid0(VALU_DEP_3) | instskip(NEXT) | instid1(VALU_DEP_1)
	v_clz_i32_u32_e32 v24, v10
	v_min_u32_e32 v24, 32, v24
	s_delay_alu instid0(VALU_DEP_1) | instskip(NEXT) | instid1(VALU_DEP_1)
	v_subrev_nc_u32_e32 v25, 28, v24
	v_lshlrev_b64_e32 v[26:27], v25, v[10:11]
	s_delay_alu instid0(VALU_DEP_1)
	v_dual_sub_nc_u32 v24, 29, v24 :: v_dual_bitop2_b32 v10, 7, v26 bitop3:0x40
; %bb.207:                              ;   in Loop: Header=BB172_168 Depth=1
	s_or_b32 exec_lo, exec_lo, s17
	v_lshlrev_b32_e32 v25, 24, v30
	s_delay_alu instid0(VALU_DEP_2) | instskip(NEXT) | instid1(VALU_DEP_3)
	v_lshlrev_b32_e32 v10, 20, v10
	v_lshl_add_u32 v24, v24, 23, 0x3c000000
	s_delay_alu instid0(VALU_DEP_3) | instskip(NEXT) | instid1(VALU_DEP_1)
	v_and_b32_e32 v25, 0x80000000, v25
	v_or3_b32 v10, v10, v25, v24
	s_delay_alu instid0(VALU_DEP_1)
	v_mov_b64_e32 v[24:25], v[10:11]
.LBB172_208:                            ;   in Loop: Header=BB172_168 Depth=1
	s_or_b32 exec_lo, exec_lo, s16
.LBB172_209:                            ;   in Loop: Header=BB172_168 Depth=1
	s_delay_alu instid0(SALU_CYCLE_1)
	s_or_b32 exec_lo, exec_lo, s15
.LBB172_210:                            ;   in Loop: Header=BB172_168 Depth=1
	s_delay_alu instid0(SALU_CYCLE_1) | instskip(SKIP_2) | instid1(VALU_DEP_1)
	s_or_b32 exec_lo, exec_lo, s14
	v_lshrrev_b16 v10, 8, v30
	s_mov_b32 s14, exec_lo
	v_cmpx_ne_u16_e32 0, v10
	s_cbranch_execz .LBB172_218
; %bb.211:                              ;   in Loop: Header=BB172_168 Depth=1
	v_mov_b64_e32 v[22:23], 0x8000000000000000
	s_mov_b32 s15, exec_lo
	v_cmpx_ne_u16_e32 0x80, v10
	s_cbranch_execz .LBB172_217
; %bb.212:                              ;   in Loop: Header=BB172_168 Depth=1
	v_and_b32_e32 v10, 0xffff, v10
	v_mov_b64_e32 v[22:23], 0x7f80000100000000
	s_mov_b32 s16, exec_lo
	s_delay_alu instid0(VALU_DEP_2) | instskip(NEXT) | instid1(VALU_DEP_1)
	v_and_b32_e32 v26, 0x7f, v10
	v_cmpx_ne_u32_e32 0x7f, v26
	s_cbranch_execz .LBB172_216
; %bb.213:                              ;   in Loop: Header=BB172_168 Depth=1
	v_and_b32_e32 v10, 7, v10
	v_lshrrev_b32_e32 v22, 3, v26
	s_mov_b32 s17, exec_lo
	v_cmpx_gt_u32_e32 8, v26
; %bb.214:                              ;   in Loop: Header=BB172_168 Depth=1
	s_delay_alu instid0(VALU_DEP_3) | instskip(NEXT) | instid1(VALU_DEP_1)
	v_clz_i32_u32_e32 v22, v10
	v_min_u32_e32 v22, 32, v22
	s_delay_alu instid0(VALU_DEP_1) | instskip(SKIP_1) | instid1(VALU_DEP_2)
	v_subrev_nc_u32_e32 v23, 28, v22
	v_sub_nc_u32_e32 v22, 29, v22
	v_lshlrev_b64_e32 v[26:27], v23, v[10:11]
	s_delay_alu instid0(VALU_DEP_1)
	v_and_b32_e32 v10, 7, v26
; %bb.215:                              ;   in Loop: Header=BB172_168 Depth=1
	s_or_b32 exec_lo, exec_lo, s17
	v_lshlrev_b32_e32 v23, 16, v30
	s_delay_alu instid0(VALU_DEP_2) | instskip(SKIP_1) | instid1(VALU_DEP_3)
	v_lshlrev_b32_e32 v10, 20, v10
	v_lshl_add_u32 v22, v22, 23, 0x3c000000
	v_and_b32_e32 v23, 0x80000000, v23
	s_delay_alu instid0(VALU_DEP_1)
	v_or3_b32 v23, v10, v23, v22
	v_mov_b32_e32 v22, v11
.LBB172_216:                            ;   in Loop: Header=BB172_168 Depth=1
	s_or_b32 exec_lo, exec_lo, s16
.LBB172_217:                            ;   in Loop: Header=BB172_168 Depth=1
	s_delay_alu instid0(SALU_CYCLE_1)
	s_or_b32 exec_lo, exec_lo, s15
.LBB172_218:                            ;   in Loop: Header=BB172_168 Depth=1
	s_delay_alu instid0(SALU_CYCLE_1) | instskip(SKIP_4) | instid1(VALU_DEP_3)
	s_or_b32 exec_lo, exec_lo, s14
	v_lshrrev_b32_e32 v31, 16, v30
	v_mov_b64_e32 v[26:27], 0
	v_mov_b64_e32 v[28:29], 0
	s_mov_b32 s14, exec_lo
	v_and_b32_e32 v10, 0xff, v31
	s_delay_alu instid0(VALU_DEP_1)
	v_cmpx_ne_u16_e32 0, v10
	s_cbranch_execz .LBB172_226
; %bb.219:                              ;   in Loop: Header=BB172_168 Depth=1
	v_mov_b64_e32 v[28:29], 0x80000000
	s_mov_b32 s15, exec_lo
	v_cmpx_ne_u16_e32 0x80, v10
	s_cbranch_execz .LBB172_225
; %bb.220:                              ;   in Loop: Header=BB172_168 Depth=1
	v_mov_b64_e32 v[28:29], 0x7f800001
	v_bfe_u32 v32, v30, 16, 7
	s_mov_b32 s16, exec_lo
	s_delay_alu instid0(VALU_DEP_1)
	v_cmpx_ne_u32_e32 0x7f, v32
	s_cbranch_execz .LBB172_224
; %bb.221:                              ;   in Loop: Header=BB172_168 Depth=1
	v_dual_lshrrev_b32 v28, 3, v32 :: v_dual_bitop2_b32 v10, 7, v31 bitop3:0x40
	s_mov_b32 s17, exec_lo
	v_cmpx_gt_u32_e32 8, v32
; %bb.222:                              ;   in Loop: Header=BB172_168 Depth=1
	s_delay_alu instid0(VALU_DEP_2) | instskip(NEXT) | instid1(VALU_DEP_1)
	v_clz_i32_u32_e32 v28, v10
	v_min_u32_e32 v28, 32, v28
	s_delay_alu instid0(VALU_DEP_1) | instskip(SKIP_1) | instid1(VALU_DEP_2)
	v_subrev_nc_u32_e32 v29, 28, v28
	v_sub_nc_u32_e32 v28, 29, v28
	v_lshlrev_b64_e32 v[32:33], v29, v[10:11]
	s_delay_alu instid0(VALU_DEP_1)
	v_and_b32_e32 v10, 7, v32
; %bb.223:                              ;   in Loop: Header=BB172_168 Depth=1
	s_or_b32 exec_lo, exec_lo, s17
	s_delay_alu instid0(VALU_DEP_1) | instskip(SKIP_1) | instid1(VALU_DEP_2)
	v_dual_lshlrev_b32 v29, 24, v31 :: v_dual_lshlrev_b32 v10, 20, v10
	v_lshl_add_u32 v28, v28, 23, 0x3c000000
	v_and_b32_e32 v29, 0x80000000, v29
	s_delay_alu instid0(VALU_DEP_1) | instskip(NEXT) | instid1(VALU_DEP_1)
	v_or3_b32 v10, v10, v29, v28
	v_mov_b64_e32 v[28:29], v[10:11]
.LBB172_224:                            ;   in Loop: Header=BB172_168 Depth=1
	s_or_b32 exec_lo, exec_lo, s16
.LBB172_225:                            ;   in Loop: Header=BB172_168 Depth=1
	s_delay_alu instid0(SALU_CYCLE_1)
	s_or_b32 exec_lo, exec_lo, s15
.LBB172_226:                            ;   in Loop: Header=BB172_168 Depth=1
	s_delay_alu instid0(SALU_CYCLE_1) | instskip(NEXT) | instid1(SALU_CYCLE_1)
	s_or_b32 exec_lo, exec_lo, s14
	s_mov_b32 s14, exec_lo
	v_cmpx_lt_u32_e32 0xffffff, v30
	s_cbranch_execz .LBB172_234
; %bb.227:                              ;   in Loop: Header=BB172_168 Depth=1
	v_mov_b64_e32 v[26:27], 0x8000000000000000
	v_lshrrev_b32_e32 v31, 24, v30
	s_mov_b32 s15, exec_lo
	s_delay_alu instid0(VALU_DEP_1)
	v_cmpx_ne_u32_e32 0x80, v31
	s_cbranch_execz .LBB172_233
; %bb.228:                              ;   in Loop: Header=BB172_168 Depth=1
	v_mov_b64_e32 v[26:27], 0x7f80000100000000
	v_bfe_u32 v30, v30, 24, 7
	s_mov_b32 s16, exec_lo
	s_delay_alu instid0(VALU_DEP_1)
	v_cmpx_ne_u32_e32 0x7f, v30
	s_cbranch_execz .LBB172_232
; %bb.229:                              ;   in Loop: Header=BB172_168 Depth=1
	v_dual_lshrrev_b32 v26, 3, v30 :: v_dual_bitop2_b32 v10, 7, v31 bitop3:0x40
	s_mov_b32 s17, exec_lo
	v_cmpx_gt_u32_e32 8, v30
; %bb.230:                              ;   in Loop: Header=BB172_168 Depth=1
	s_delay_alu instid0(VALU_DEP_2) | instskip(NEXT) | instid1(VALU_DEP_1)
	v_clz_i32_u32_e32 v26, v10
	v_min_u32_e32 v26, 32, v26
	s_delay_alu instid0(VALU_DEP_1) | instskip(NEXT) | instid1(VALU_DEP_1)
	v_subrev_nc_u32_e32 v27, 28, v26
	v_lshlrev_b64_e32 v[32:33], v27, v[10:11]
	s_delay_alu instid0(VALU_DEP_1)
	v_dual_sub_nc_u32 v26, 29, v26 :: v_dual_bitop2_b32 v10, 7, v32 bitop3:0x40
; %bb.231:                              ;   in Loop: Header=BB172_168 Depth=1
	s_or_b32 exec_lo, exec_lo, s17
	s_delay_alu instid0(VALU_DEP_1) | instskip(NEXT) | instid1(VALU_DEP_2)
	v_dual_lshlrev_b32 v27, 24, v31 :: v_dual_lshlrev_b32 v10, 20, v10
	v_lshl_add_u32 v26, v26, 23, 0x3c000000
	s_delay_alu instid0(VALU_DEP_2) | instskip(NEXT) | instid1(VALU_DEP_1)
	v_and_b32_e32 v27, 0x80000000, v27
	v_or3_b32 v27, v10, v27, v26
	v_mov_b32_e32 v26, v11
.LBB172_232:                            ;   in Loop: Header=BB172_168 Depth=1
	s_or_b32 exec_lo, exec_lo, s16
.LBB172_233:                            ;   in Loop: Header=BB172_168 Depth=1
	s_delay_alu instid0(SALU_CYCLE_1)
	s_or_b32 exec_lo, exec_lo, s15
.LBB172_234:                            ;   in Loop: Header=BB172_168 Depth=1
	s_delay_alu instid0(SALU_CYCLE_1)
	s_or_b32 exec_lo, exec_lo, s14
	v_mov_b64_e32 v[30:31], s[4:5]
	v_or_b32_e32 v23, v23, v25
	v_or_b32_e32 v22, v22, v24
	;; [unrolled: 1-line block ×4, first 2 shown]
	s_delay_alu instid0(VALU_DEP_3) | instskip(NEXT) | instid1(VALU_DEP_2)
	v_pk_mul_f32 v[24:25], v[30:31], v[22:23]
	v_pk_mul_f32 v[22:23], v[30:31], v[26:27]
	s_and_saveexec_b32 s14, vcc_lo
	s_cbranch_execz .LBB172_236
; %bb.235:                              ;   in Loop: Header=BB172_168 Depth=1
	v_cmp_gt_i32_e64 s0, s25, v39
	s_delay_alu instid0(VALU_DEP_1) | instskip(SKIP_1) | instid1(VALU_DEP_1)
	v_cndmask_b32_e64 v24, 0, v24, s0
	v_cmp_gt_i32_e64 s0, s25, v42
	v_cndmask_b32_e64 v25, 0, v25, s0
	v_cmp_gt_i32_e64 s0, s25, v35
	s_delay_alu instid0(VALU_DEP_1) | instskip(SKIP_1) | instid1(VALU_DEP_1)
	v_cndmask_b32_e64 v22, 0, v22, s0
	v_cmp_gt_i32_e64 s0, s25, v34
	v_cndmask_b32_e64 v23, 0, v23, s0
.LBB172_236:                            ;   in Loop: Header=BB172_168 Depth=1
	s_or_b32 exec_lo, exec_lo, s14
	global_load_b32 v43, v[20:21], off offset:256
	v_mov_b64_e32 v[26:27], 0
	v_mov_b64_e32 v[28:29], 0
	s_mov_b32 s14, exec_lo
	s_wait_loadcnt 0x0
	v_and_b32_e32 v10, 0xff, v43
	s_delay_alu instid0(VALU_DEP_1)
	v_cmpx_ne_u16_e32 0, v10
	s_cbranch_execz .LBB172_244
; %bb.237:                              ;   in Loop: Header=BB172_168 Depth=1
	v_mov_b64_e32 v[28:29], 0x80000000
	s_mov_b32 s15, exec_lo
	v_cmpx_ne_u16_e32 0x80, v10
	s_cbranch_execz .LBB172_243
; %bb.238:                              ;   in Loop: Header=BB172_168 Depth=1
	v_mov_b64_e32 v[28:29], 0x7f800001
	v_and_b32_e32 v30, 0x7f, v43
	s_mov_b32 s16, exec_lo
	s_delay_alu instid0(VALU_DEP_1)
	v_cmpx_ne_u32_e32 0x7f, v30
	s_cbranch_execz .LBB172_242
; %bb.239:                              ;   in Loop: Header=BB172_168 Depth=1
	v_dual_lshrrev_b32 v28, 3, v30 :: v_dual_bitop2_b32 v10, 7, v43 bitop3:0x40
	s_mov_b32 s17, exec_lo
	v_cmpx_gt_u32_e32 8, v30
; %bb.240:                              ;   in Loop: Header=BB172_168 Depth=1
	s_delay_alu instid0(VALU_DEP_2) | instskip(NEXT) | instid1(VALU_DEP_1)
	v_clz_i32_u32_e32 v28, v10
	v_min_u32_e32 v28, 32, v28
	s_delay_alu instid0(VALU_DEP_1) | instskip(NEXT) | instid1(VALU_DEP_1)
	v_subrev_nc_u32_e32 v29, 28, v28
	v_lshlrev_b64_e32 v[30:31], v29, v[10:11]
	s_delay_alu instid0(VALU_DEP_1)
	v_dual_sub_nc_u32 v28, 29, v28 :: v_dual_bitop2_b32 v10, 7, v30 bitop3:0x40
; %bb.241:                              ;   in Loop: Header=BB172_168 Depth=1
	s_or_b32 exec_lo, exec_lo, s17
	s_delay_alu instid0(VALU_DEP_1) | instskip(NEXT) | instid1(VALU_DEP_2)
	v_dual_lshlrev_b32 v29, 24, v43 :: v_dual_lshlrev_b32 v10, 20, v10
	v_lshl_add_u32 v28, v28, 23, 0x3c000000
	s_delay_alu instid0(VALU_DEP_2) | instskip(NEXT) | instid1(VALU_DEP_1)
	v_and_b32_e32 v29, 0x80000000, v29
	v_or3_b32 v10, v10, v29, v28
	s_delay_alu instid0(VALU_DEP_1)
	v_mov_b64_e32 v[28:29], v[10:11]
.LBB172_242:                            ;   in Loop: Header=BB172_168 Depth=1
	s_or_b32 exec_lo, exec_lo, s16
.LBB172_243:                            ;   in Loop: Header=BB172_168 Depth=1
	s_delay_alu instid0(SALU_CYCLE_1)
	s_or_b32 exec_lo, exec_lo, s15
.LBB172_244:                            ;   in Loop: Header=BB172_168 Depth=1
	s_delay_alu instid0(SALU_CYCLE_1) | instskip(SKIP_2) | instid1(VALU_DEP_1)
	s_or_b32 exec_lo, exec_lo, s14
	v_lshrrev_b16 v10, 8, v43
	s_mov_b32 s14, exec_lo
	v_cmpx_ne_u16_e32 0, v10
	s_cbranch_execz .LBB172_252
; %bb.245:                              ;   in Loop: Header=BB172_168 Depth=1
	v_mov_b64_e32 v[26:27], 0x8000000000000000
	s_mov_b32 s15, exec_lo
	v_cmpx_ne_u16_e32 0x80, v10
	s_cbranch_execz .LBB172_251
; %bb.246:                              ;   in Loop: Header=BB172_168 Depth=1
	v_and_b32_e32 v10, 0xffff, v10
	v_mov_b64_e32 v[26:27], 0x7f80000100000000
	s_mov_b32 s16, exec_lo
	s_delay_alu instid0(VALU_DEP_2) | instskip(NEXT) | instid1(VALU_DEP_1)
	v_and_b32_e32 v30, 0x7f, v10
	v_cmpx_ne_u32_e32 0x7f, v30
	s_cbranch_execz .LBB172_250
; %bb.247:                              ;   in Loop: Header=BB172_168 Depth=1
	v_and_b32_e32 v10, 7, v10
	v_lshrrev_b32_e32 v26, 3, v30
	s_mov_b32 s17, exec_lo
	v_cmpx_gt_u32_e32 8, v30
; %bb.248:                              ;   in Loop: Header=BB172_168 Depth=1
	s_delay_alu instid0(VALU_DEP_3) | instskip(NEXT) | instid1(VALU_DEP_1)
	v_clz_i32_u32_e32 v26, v10
	v_min_u32_e32 v26, 32, v26
	s_delay_alu instid0(VALU_DEP_1) | instskip(SKIP_1) | instid1(VALU_DEP_2)
	v_subrev_nc_u32_e32 v27, 28, v26
	v_sub_nc_u32_e32 v26, 29, v26
	v_lshlrev_b64_e32 v[30:31], v27, v[10:11]
	s_delay_alu instid0(VALU_DEP_1)
	v_and_b32_e32 v10, 7, v30
; %bb.249:                              ;   in Loop: Header=BB172_168 Depth=1
	s_or_b32 exec_lo, exec_lo, s17
	s_delay_alu instid0(VALU_DEP_1) | instskip(SKIP_1) | instid1(VALU_DEP_2)
	v_dual_lshlrev_b32 v27, 16, v43 :: v_dual_lshlrev_b32 v10, 20, v10
	v_lshl_add_u32 v26, v26, 23, 0x3c000000
	v_and_b32_e32 v27, 0x80000000, v27
	s_delay_alu instid0(VALU_DEP_1)
	v_or3_b32 v27, v10, v27, v26
	v_mov_b32_e32 v26, v11
.LBB172_250:                            ;   in Loop: Header=BB172_168 Depth=1
	s_or_b32 exec_lo, exec_lo, s16
.LBB172_251:                            ;   in Loop: Header=BB172_168 Depth=1
	s_delay_alu instid0(SALU_CYCLE_1)
	s_or_b32 exec_lo, exec_lo, s15
.LBB172_252:                            ;   in Loop: Header=BB172_168 Depth=1
	s_delay_alu instid0(SALU_CYCLE_1) | instskip(SKIP_4) | instid1(VALU_DEP_3)
	s_or_b32 exec_lo, exec_lo, s14
	v_lshrrev_b32_e32 v44, 16, v43
	v_mov_b64_e32 v[30:31], 0
	v_mov_b64_e32 v[32:33], 0
	s_mov_b32 s14, exec_lo
	v_and_b32_e32 v10, 0xff, v44
	s_delay_alu instid0(VALU_DEP_1)
	v_cmpx_ne_u16_e32 0, v10
	s_cbranch_execz .LBB172_260
; %bb.253:                              ;   in Loop: Header=BB172_168 Depth=1
	v_mov_b64_e32 v[32:33], 0x80000000
	s_mov_b32 s15, exec_lo
	v_cmpx_ne_u16_e32 0x80, v10
	s_cbranch_execz .LBB172_259
; %bb.254:                              ;   in Loop: Header=BB172_168 Depth=1
	v_mov_b64_e32 v[32:33], 0x7f800001
	v_bfe_u32 v45, v43, 16, 7
	s_mov_b32 s16, exec_lo
	s_delay_alu instid0(VALU_DEP_1)
	v_cmpx_ne_u32_e32 0x7f, v45
	s_cbranch_execz .LBB172_258
; %bb.255:                              ;   in Loop: Header=BB172_168 Depth=1
	v_dual_lshrrev_b32 v32, 3, v45 :: v_dual_bitop2_b32 v10, 7, v44 bitop3:0x40
	s_mov_b32 s17, exec_lo
	v_cmpx_gt_u32_e32 8, v45
; %bb.256:                              ;   in Loop: Header=BB172_168 Depth=1
	s_delay_alu instid0(VALU_DEP_2) | instskip(NEXT) | instid1(VALU_DEP_1)
	v_clz_i32_u32_e32 v32, v10
	v_min_u32_e32 v32, 32, v32
	s_delay_alu instid0(VALU_DEP_1) | instskip(NEXT) | instid1(VALU_DEP_1)
	v_subrev_nc_u32_e32 v33, 28, v32
	v_lshlrev_b64_e32 v[46:47], v33, v[10:11]
	s_delay_alu instid0(VALU_DEP_1)
	v_dual_sub_nc_u32 v32, 29, v32 :: v_dual_bitop2_b32 v10, 7, v46 bitop3:0x40
; %bb.257:                              ;   in Loop: Header=BB172_168 Depth=1
	s_or_b32 exec_lo, exec_lo, s17
	s_delay_alu instid0(VALU_DEP_1) | instskip(NEXT) | instid1(VALU_DEP_2)
	v_dual_lshlrev_b32 v33, 24, v44 :: v_dual_lshlrev_b32 v10, 20, v10
	v_lshl_add_u32 v32, v32, 23, 0x3c000000
	s_delay_alu instid0(VALU_DEP_2) | instskip(NEXT) | instid1(VALU_DEP_1)
	v_and_b32_e32 v33, 0x80000000, v33
	v_or3_b32 v10, v10, v33, v32
	s_delay_alu instid0(VALU_DEP_1)
	v_mov_b64_e32 v[32:33], v[10:11]
.LBB172_258:                            ;   in Loop: Header=BB172_168 Depth=1
	s_or_b32 exec_lo, exec_lo, s16
.LBB172_259:                            ;   in Loop: Header=BB172_168 Depth=1
	s_delay_alu instid0(SALU_CYCLE_1)
	s_or_b32 exec_lo, exec_lo, s15
.LBB172_260:                            ;   in Loop: Header=BB172_168 Depth=1
	s_delay_alu instid0(SALU_CYCLE_1) | instskip(NEXT) | instid1(SALU_CYCLE_1)
	s_or_b32 exec_lo, exec_lo, s14
	s_mov_b32 s14, exec_lo
	v_cmpx_lt_u32_e32 0xffffff, v43
	s_cbranch_execz .LBB172_268
; %bb.261:                              ;   in Loop: Header=BB172_168 Depth=1
	v_mov_b64_e32 v[30:31], 0x8000000000000000
	v_lshrrev_b32_e32 v44, 24, v43
	s_mov_b32 s15, exec_lo
	s_delay_alu instid0(VALU_DEP_1)
	v_cmpx_ne_u32_e32 0x80, v44
	s_cbranch_execz .LBB172_267
; %bb.262:                              ;   in Loop: Header=BB172_168 Depth=1
	v_mov_b64_e32 v[30:31], 0x7f80000100000000
	v_bfe_u32 v43, v43, 24, 7
	s_mov_b32 s16, exec_lo
	s_delay_alu instid0(VALU_DEP_1)
	v_cmpx_ne_u32_e32 0x7f, v43
	s_cbranch_execz .LBB172_266
; %bb.263:                              ;   in Loop: Header=BB172_168 Depth=1
	v_dual_lshrrev_b32 v30, 3, v43 :: v_dual_bitop2_b32 v10, 7, v44 bitop3:0x40
	s_mov_b32 s17, exec_lo
	v_cmpx_gt_u32_e32 8, v43
; %bb.264:                              ;   in Loop: Header=BB172_168 Depth=1
	s_delay_alu instid0(VALU_DEP_2) | instskip(NEXT) | instid1(VALU_DEP_1)
	v_clz_i32_u32_e32 v30, v10
	v_min_u32_e32 v30, 32, v30
	s_delay_alu instid0(VALU_DEP_1) | instskip(SKIP_1) | instid1(VALU_DEP_2)
	v_subrev_nc_u32_e32 v31, 28, v30
	v_sub_nc_u32_e32 v30, 29, v30
	v_lshlrev_b64_e32 v[46:47], v31, v[10:11]
	s_delay_alu instid0(VALU_DEP_1)
	v_and_b32_e32 v10, 7, v46
; %bb.265:                              ;   in Loop: Header=BB172_168 Depth=1
	s_or_b32 exec_lo, exec_lo, s17
	s_delay_alu instid0(VALU_DEP_1) | instskip(SKIP_1) | instid1(VALU_DEP_2)
	v_dual_lshlrev_b32 v31, 24, v44 :: v_dual_lshlrev_b32 v10, 20, v10
	v_lshl_add_u32 v30, v30, 23, 0x3c000000
	v_and_b32_e32 v31, 0x80000000, v31
	s_delay_alu instid0(VALU_DEP_1)
	v_or3_b32 v31, v10, v31, v30
	v_mov_b32_e32 v30, v11
.LBB172_266:                            ;   in Loop: Header=BB172_168 Depth=1
	s_or_b32 exec_lo, exec_lo, s16
.LBB172_267:                            ;   in Loop: Header=BB172_168 Depth=1
	s_delay_alu instid0(SALU_CYCLE_1)
	s_or_b32 exec_lo, exec_lo, s15
.LBB172_268:                            ;   in Loop: Header=BB172_168 Depth=1
	s_delay_alu instid0(SALU_CYCLE_1)
	s_or_b32 exec_lo, exec_lo, s14
	v_mov_b64_e32 v[44:45], s[4:5]
	v_or_b32_e32 v27, v27, v29
	v_or_b32_e32 v26, v26, v28
	;; [unrolled: 1-line block ×4, first 2 shown]
	s_delay_alu instid0(VALU_DEP_3) | instskip(NEXT) | instid1(VALU_DEP_2)
	v_pk_mul_f32 v[28:29], v[44:45], v[26:27]
	v_pk_mul_f32 v[26:27], v[44:45], v[30:31]
	s_and_saveexec_b32 s14, vcc_lo
	s_cbranch_execz .LBB172_270
; %bb.269:                              ;   in Loop: Header=BB172_168 Depth=1
	v_cmp_gt_i32_e64 s0, s25, v39
	s_delay_alu instid0(VALU_DEP_1) | instskip(SKIP_1) | instid1(VALU_DEP_1)
	v_cndmask_b32_e64 v28, 0, v28, s0
	v_cmp_gt_i32_e64 s0, s25, v42
	v_cndmask_b32_e64 v29, 0, v29, s0
	v_cmp_gt_i32_e64 s0, s25, v35
	s_delay_alu instid0(VALU_DEP_1) | instskip(SKIP_1) | instid1(VALU_DEP_1)
	v_cndmask_b32_e64 v26, 0, v26, s0
	v_cmp_gt_i32_e64 s0, s25, v34
	v_cndmask_b32_e64 v27, 0, v27, s0
.LBB172_270:                            ;   in Loop: Header=BB172_168 Depth=1
	s_or_b32 exec_lo, exec_lo, s14
	global_load_b32 v43, v[20:21], off offset:384
	s_wait_xcnt 0x0
	v_mov_b64_e32 v[20:21], 0
	v_mov_b64_e32 v[30:31], 0
	s_mov_b32 s14, exec_lo
	s_wait_loadcnt 0x0
	v_and_b32_e32 v10, 0xff, v43
	s_delay_alu instid0(VALU_DEP_1)
	v_cmpx_ne_u16_e32 0, v10
	s_cbranch_execz .LBB172_278
; %bb.271:                              ;   in Loop: Header=BB172_168 Depth=1
	v_mov_b64_e32 v[30:31], 0x80000000
	s_mov_b32 s15, exec_lo
	v_cmpx_ne_u16_e32 0x80, v10
	s_cbranch_execz .LBB172_277
; %bb.272:                              ;   in Loop: Header=BB172_168 Depth=1
	v_mov_b64_e32 v[30:31], 0x7f800001
	v_and_b32_e32 v32, 0x7f, v43
	s_mov_b32 s16, exec_lo
	s_delay_alu instid0(VALU_DEP_1)
	v_cmpx_ne_u32_e32 0x7f, v32
	s_cbranch_execz .LBB172_276
; %bb.273:                              ;   in Loop: Header=BB172_168 Depth=1
	v_dual_lshrrev_b32 v30, 3, v32 :: v_dual_bitop2_b32 v10, 7, v43 bitop3:0x40
	s_mov_b32 s17, exec_lo
	v_cmpx_gt_u32_e32 8, v32
; %bb.274:                              ;   in Loop: Header=BB172_168 Depth=1
	s_delay_alu instid0(VALU_DEP_2) | instskip(NEXT) | instid1(VALU_DEP_1)
	v_clz_i32_u32_e32 v30, v10
	v_min_u32_e32 v30, 32, v30
	s_delay_alu instid0(VALU_DEP_1) | instskip(NEXT) | instid1(VALU_DEP_1)
	v_subrev_nc_u32_e32 v31, 28, v30
	v_lshlrev_b64_e32 v[32:33], v31, v[10:11]
	s_delay_alu instid0(VALU_DEP_1)
	v_dual_sub_nc_u32 v30, 29, v30 :: v_dual_bitop2_b32 v10, 7, v32 bitop3:0x40
; %bb.275:                              ;   in Loop: Header=BB172_168 Depth=1
	s_or_b32 exec_lo, exec_lo, s17
	s_delay_alu instid0(VALU_DEP_1) | instskip(NEXT) | instid1(VALU_DEP_2)
	v_dual_lshlrev_b32 v31, 24, v43 :: v_dual_lshlrev_b32 v10, 20, v10
	v_lshl_add_u32 v30, v30, 23, 0x3c000000
	s_delay_alu instid0(VALU_DEP_2) | instskip(NEXT) | instid1(VALU_DEP_1)
	v_and_b32_e32 v31, 0x80000000, v31
	v_or3_b32 v10, v10, v31, v30
	s_delay_alu instid0(VALU_DEP_1)
	v_mov_b64_e32 v[30:31], v[10:11]
.LBB172_276:                            ;   in Loop: Header=BB172_168 Depth=1
	s_or_b32 exec_lo, exec_lo, s16
.LBB172_277:                            ;   in Loop: Header=BB172_168 Depth=1
	s_delay_alu instid0(SALU_CYCLE_1)
	s_or_b32 exec_lo, exec_lo, s15
.LBB172_278:                            ;   in Loop: Header=BB172_168 Depth=1
	s_delay_alu instid0(SALU_CYCLE_1) | instskip(SKIP_2) | instid1(VALU_DEP_1)
	s_or_b32 exec_lo, exec_lo, s14
	v_lshrrev_b16 v10, 8, v43
	s_mov_b32 s14, exec_lo
	v_cmpx_ne_u16_e32 0, v10
	s_cbranch_execz .LBB172_286
; %bb.279:                              ;   in Loop: Header=BB172_168 Depth=1
	v_mov_b64_e32 v[20:21], 0x8000000000000000
	s_mov_b32 s15, exec_lo
	v_cmpx_ne_u16_e32 0x80, v10
	s_cbranch_execz .LBB172_285
; %bb.280:                              ;   in Loop: Header=BB172_168 Depth=1
	v_and_b32_e32 v10, 0xffff, v10
	v_mov_b64_e32 v[20:21], 0x7f80000100000000
	s_mov_b32 s16, exec_lo
	s_delay_alu instid0(VALU_DEP_2) | instskip(NEXT) | instid1(VALU_DEP_1)
	v_and_b32_e32 v32, 0x7f, v10
	v_cmpx_ne_u32_e32 0x7f, v32
	s_cbranch_execz .LBB172_284
; %bb.281:                              ;   in Loop: Header=BB172_168 Depth=1
	v_dual_lshrrev_b32 v20, 3, v32 :: v_dual_bitop2_b32 v10, 7, v10 bitop3:0x40
	s_mov_b32 s17, exec_lo
	v_cmpx_gt_u32_e32 8, v32
; %bb.282:                              ;   in Loop: Header=BB172_168 Depth=1
	s_delay_alu instid0(VALU_DEP_2) | instskip(NEXT) | instid1(VALU_DEP_1)
	v_clz_i32_u32_e32 v20, v10
	v_min_u32_e32 v20, 32, v20
	s_delay_alu instid0(VALU_DEP_1) | instskip(SKIP_1) | instid1(VALU_DEP_2)
	v_subrev_nc_u32_e32 v21, 28, v20
	v_sub_nc_u32_e32 v20, 29, v20
	v_lshlrev_b64_e32 v[32:33], v21, v[10:11]
	s_delay_alu instid0(VALU_DEP_1)
	v_and_b32_e32 v10, 7, v32
; %bb.283:                              ;   in Loop: Header=BB172_168 Depth=1
	s_or_b32 exec_lo, exec_lo, s17
	s_delay_alu instid0(VALU_DEP_1) | instskip(SKIP_1) | instid1(VALU_DEP_2)
	v_dual_lshlrev_b32 v21, 16, v43 :: v_dual_lshlrev_b32 v10, 20, v10
	v_lshl_add_u32 v20, v20, 23, 0x3c000000
	v_and_b32_e32 v21, 0x80000000, v21
	s_delay_alu instid0(VALU_DEP_1)
	v_or3_b32 v21, v10, v21, v20
	v_mov_b32_e32 v20, v11
.LBB172_284:                            ;   in Loop: Header=BB172_168 Depth=1
	s_or_b32 exec_lo, exec_lo, s16
.LBB172_285:                            ;   in Loop: Header=BB172_168 Depth=1
	s_delay_alu instid0(SALU_CYCLE_1)
	s_or_b32 exec_lo, exec_lo, s15
.LBB172_286:                            ;   in Loop: Header=BB172_168 Depth=1
	s_delay_alu instid0(SALU_CYCLE_1) | instskip(SKIP_4) | instid1(VALU_DEP_3)
	s_or_b32 exec_lo, exec_lo, s14
	v_lshrrev_b32_e32 v44, 16, v43
	v_mov_b64_e32 v[32:33], 0
	v_mov_b64_e32 v[34:35], 0
	s_mov_b32 s14, exec_lo
	v_and_b32_e32 v10, 0xff, v44
	s_delay_alu instid0(VALU_DEP_1)
	v_cmpx_ne_u16_e32 0, v10
	s_cbranch_execz .LBB172_294
; %bb.287:                              ;   in Loop: Header=BB172_168 Depth=1
	v_mov_b64_e32 v[34:35], 0x80000000
	s_mov_b32 s15, exec_lo
	v_cmpx_ne_u16_e32 0x80, v10
	s_cbranch_execz .LBB172_293
; %bb.288:                              ;   in Loop: Header=BB172_168 Depth=1
	v_mov_b64_e32 v[34:35], 0x7f800001
	v_bfe_u32 v45, v43, 16, 7
	s_mov_b32 s16, exec_lo
	s_delay_alu instid0(VALU_DEP_1)
	v_cmpx_ne_u32_e32 0x7f, v45
	s_cbranch_execz .LBB172_292
; %bb.289:                              ;   in Loop: Header=BB172_168 Depth=1
	v_dual_lshrrev_b32 v34, 3, v45 :: v_dual_bitop2_b32 v10, 7, v44 bitop3:0x40
	s_mov_b32 s17, exec_lo
	v_cmpx_gt_u32_e32 8, v45
; %bb.290:                              ;   in Loop: Header=BB172_168 Depth=1
	s_delay_alu instid0(VALU_DEP_2) | instskip(NEXT) | instid1(VALU_DEP_1)
	v_clz_i32_u32_e32 v34, v10
	v_min_u32_e32 v34, 32, v34
	s_delay_alu instid0(VALU_DEP_1) | instskip(SKIP_1) | instid1(VALU_DEP_2)
	v_subrev_nc_u32_e32 v35, 28, v34
	v_sub_nc_u32_e32 v34, 29, v34
	v_lshlrev_b64_e32 v[46:47], v35, v[10:11]
	s_delay_alu instid0(VALU_DEP_1)
	v_and_b32_e32 v10, 7, v46
; %bb.291:                              ;   in Loop: Header=BB172_168 Depth=1
	s_or_b32 exec_lo, exec_lo, s17
	s_delay_alu instid0(VALU_DEP_1) | instskip(SKIP_1) | instid1(VALU_DEP_2)
	v_dual_lshlrev_b32 v35, 24, v44 :: v_dual_lshlrev_b32 v10, 20, v10
	v_lshl_add_u32 v34, v34, 23, 0x3c000000
	v_and_b32_e32 v35, 0x80000000, v35
	s_delay_alu instid0(VALU_DEP_1) | instskip(NEXT) | instid1(VALU_DEP_1)
	v_or3_b32 v10, v10, v35, v34
	v_mov_b64_e32 v[34:35], v[10:11]
.LBB172_292:                            ;   in Loop: Header=BB172_168 Depth=1
	s_or_b32 exec_lo, exec_lo, s16
.LBB172_293:                            ;   in Loop: Header=BB172_168 Depth=1
	s_delay_alu instid0(SALU_CYCLE_1)
	s_or_b32 exec_lo, exec_lo, s15
.LBB172_294:                            ;   in Loop: Header=BB172_168 Depth=1
	s_delay_alu instid0(SALU_CYCLE_1) | instskip(NEXT) | instid1(SALU_CYCLE_1)
	s_or_b32 exec_lo, exec_lo, s14
	s_mov_b32 s14, exec_lo
	v_cmpx_lt_u32_e32 0xffffff, v43
	s_cbranch_execz .LBB172_302
; %bb.295:                              ;   in Loop: Header=BB172_168 Depth=1
	v_mov_b64_e32 v[32:33], 0x8000000000000000
	v_lshrrev_b32_e32 v44, 24, v43
	s_mov_b32 s15, exec_lo
	s_delay_alu instid0(VALU_DEP_1)
	v_cmpx_ne_u32_e32 0x80, v44
	s_cbranch_execz .LBB172_301
; %bb.296:                              ;   in Loop: Header=BB172_168 Depth=1
	v_mov_b64_e32 v[32:33], 0x7f80000100000000
	v_bfe_u32 v43, v43, 24, 7
	s_mov_b32 s16, exec_lo
	s_delay_alu instid0(VALU_DEP_1)
	v_cmpx_ne_u32_e32 0x7f, v43
	s_cbranch_execz .LBB172_300
; %bb.297:                              ;   in Loop: Header=BB172_168 Depth=1
	v_dual_lshrrev_b32 v32, 3, v43 :: v_dual_bitop2_b32 v10, 7, v44 bitop3:0x40
	s_mov_b32 s17, exec_lo
	v_cmpx_gt_u32_e32 8, v43
; %bb.298:                              ;   in Loop: Header=BB172_168 Depth=1
	s_delay_alu instid0(VALU_DEP_2) | instskip(NEXT) | instid1(VALU_DEP_1)
	v_clz_i32_u32_e32 v32, v10
	v_min_u32_e32 v32, 32, v32
	s_delay_alu instid0(VALU_DEP_1) | instskip(NEXT) | instid1(VALU_DEP_1)
	v_subrev_nc_u32_e32 v33, 28, v32
	v_lshlrev_b64_e32 v[46:47], v33, v[10:11]
	s_delay_alu instid0(VALU_DEP_1)
	v_dual_sub_nc_u32 v32, 29, v32 :: v_dual_bitop2_b32 v10, 7, v46 bitop3:0x40
; %bb.299:                              ;   in Loop: Header=BB172_168 Depth=1
	s_or_b32 exec_lo, exec_lo, s17
	s_delay_alu instid0(VALU_DEP_1) | instskip(NEXT) | instid1(VALU_DEP_2)
	v_dual_lshlrev_b32 v33, 24, v44 :: v_dual_lshlrev_b32 v10, 20, v10
	v_lshl_add_u32 v32, v32, 23, 0x3c000000
	s_delay_alu instid0(VALU_DEP_2) | instskip(NEXT) | instid1(VALU_DEP_1)
	v_and_b32_e32 v33, 0x80000000, v33
	v_or3_b32 v33, v10, v33, v32
	v_mov_b32_e32 v32, v11
.LBB172_300:                            ;   in Loop: Header=BB172_168 Depth=1
	s_or_b32 exec_lo, exec_lo, s16
.LBB172_301:                            ;   in Loop: Header=BB172_168 Depth=1
	s_delay_alu instid0(SALU_CYCLE_1)
	s_or_b32 exec_lo, exec_lo, s15
.LBB172_302:                            ;   in Loop: Header=BB172_168 Depth=1
	s_delay_alu instid0(SALU_CYCLE_1)
	s_or_b32 exec_lo, exec_lo, s14
	v_or_b32_e32 v21, v21, v31
	v_or_b32_e32 v20, v20, v30
	v_mov_b64_e32 v[30:31], s[4:5]
	v_or_b32_e32 v33, v33, v35
	v_or_b32_e32 v32, v32, v34
	s_delay_alu instid0(VALU_DEP_3) | instskip(NEXT) | instid1(VALU_DEP_2)
	v_pk_mul_f32 v[20:21], v[30:31], v[20:21]
	v_pk_mul_f32 v[30:31], v[30:31], v[32:33]
	s_and_saveexec_b32 s0, vcc_lo
	s_cbranch_execz .LBB172_167
; %bb.303:                              ;   in Loop: Header=BB172_168 Depth=1
	v_cmp_gt_i32_e32 vcc_lo, s9, v42
	v_dual_cndmask_b32 v21, 0, v21, vcc_lo :: v_dual_bitop2_b32 v10, 3, v39 bitop3:0x54
	v_cmp_gt_i32_e32 vcc_lo, s25, v39
	v_dual_cndmask_b32 v20, 0, v20, vcc_lo :: v_dual_bitop2_b32 v32, 2, v39 bitop3:0x54
	s_delay_alu instid0(VALU_DEP_3) | instskip(SKIP_1) | instid1(VALU_DEP_3)
	v_cmp_gt_i32_e32 vcc_lo, s9, v10
	v_cndmask_b32_e32 v31, 0, v31, vcc_lo
	v_cmp_gt_i32_e32 vcc_lo, s25, v32
	v_cndmask_b32_e32 v30, 0, v30, vcc_lo
	s_branch .LBB172_167
.LBB172_304:
	s_or_b32 exec_lo, exec_lo, s7
.LBB172_305:
	s_delay_alu instid0(SALU_CYCLE_1)
	s_or_b32 exec_lo, exec_lo, s1
	ds_bpermute_b32 v2, v37, v8
	ds_bpermute_b32 v3, v37, v9
	;; [unrolled: 1-line block ×4, first 2 shown]
	v_and_b32_e32 v11, 0x3c1, v0
	v_lshrrev_b32_e32 v10, 1, v36
	s_mov_b32 s0, exec_lo
	s_wait_dscnt 0x0
	s_barrier_signal -1
	s_barrier_wait -1
	v_pk_add_f32 v[2:3], v[8:9], v[2:3]
	v_cmpx_ne_u32_e32 64, v11
	s_xor_b32 s0, exec_lo, s0
	s_delay_alu instid0(SALU_CYCLE_1)
	s_or_saveexec_b32 s0, s0
	v_pk_add_f32 v[4:5], v[6:7], v[4:5]
	v_lshl_add_u32 v6, v10, 2, 0x120
	v_lshlrev_b32_e32 v1, 8, v1
	s_xor_b32 exec_lo, exec_lo, s0
	s_cbranch_execz .LBB172_307
; %bb.306:
	s_delay_alu instid0(VALU_DEP_1) | instskip(NEXT) | instid1(VALU_DEP_1)
	v_add_nc_u32_e32 v7, v6, v1
	v_add_nc_u32_e32 v8, 0xfffffe00, v7
	;; [unrolled: 1-line block ×5, first 2 shown]
	ds_store_b32 v8, v2
	ds_store_b32 v9, v3
	;; [unrolled: 1-line block ×4, first 2 shown]
.LBB172_307:
	s_or_b32 exec_lo, exec_lo, s0
	v_lshlrev_b32_e32 v7, 2, v10
	v_cmp_eq_u32_e32 vcc_lo, 0, v38
	s_wait_dscnt 0x0
	s_barrier_signal -1
	s_barrier_wait -1
	v_add3_u32 v1, 0x120, v1, v7
	s_and_saveexec_b32 s0, s2
	s_cbranch_execz .LBB172_314
; %bb.308:
	s_and_saveexec_b32 s1, vcc_lo
	s_cbranch_execnz .LBB172_326
; %bb.309:
	s_or_b32 exec_lo, exec_lo, s1
	s_and_saveexec_b32 s1, vcc_lo
	s_cbranch_execnz .LBB172_327
.LBB172_310:
	s_or_b32 exec_lo, exec_lo, s1
	s_and_saveexec_b32 s1, vcc_lo
	s_cbranch_execnz .LBB172_328
.LBB172_311:
	s_or_b32 exec_lo, exec_lo, s1
	s_and_saveexec_b32 s1, vcc_lo
	s_cbranch_execz .LBB172_313
.LBB172_312:
	ds_load_b32 v7, v1 offset:192
	s_wait_dscnt 0x0
	v_add_f32_e32 v5, v5, v7
.LBB172_313:
	s_or_b32 exec_lo, exec_lo, s1
.LBB172_314:
	s_delay_alu instid0(SALU_CYCLE_1) | instskip(SKIP_4) | instid1(VALU_DEP_1)
	s_or_b32 exec_lo, exec_lo, s0
	v_and_b32_e32 v7, 0x3e1, v0
	s_mov_b32 s1, exec_lo
	s_barrier_signal -1
	s_barrier_wait -1
	v_cmpx_eq_u32_e32 32, v7
	s_cbranch_execz .LBB172_316
; %bb.315:
	ds_store_2addr_b32 v6, v2, v3 offset1:16
	ds_store_2addr_b32 v6, v4, v5 offset0:32 offset1:48
.LBB172_316:
	s_or_b32 exec_lo, exec_lo, s1
	s_delay_alu instid0(SALU_CYCLE_1)
	s_mov_b32 s1, exec_lo
	s_wait_dscnt 0x0
	s_barrier_signal -1
	s_barrier_wait -1
	v_cmpx_gt_u32_e32 32, v0
	s_cbranch_execz .LBB172_323
; %bb.317:
	s_and_saveexec_b32 s0, vcc_lo
	s_cbranch_execnz .LBB172_329
; %bb.318:
	s_or_b32 exec_lo, exec_lo, s0
	s_and_saveexec_b32 s0, vcc_lo
	s_cbranch_execnz .LBB172_330
.LBB172_319:
	s_or_b32 exec_lo, exec_lo, s0
	s_and_saveexec_b32 s0, vcc_lo
	s_cbranch_execnz .LBB172_331
.LBB172_320:
	s_or_b32 exec_lo, exec_lo, s0
	s_and_saveexec_b32 s0, vcc_lo
	s_cbranch_execz .LBB172_322
.LBB172_321:
	ds_load_b32 v1, v1 offset:192
	s_wait_dscnt 0x0
	v_add_f32_e32 v5, v5, v1
.LBB172_322:
	s_or_b32 exec_lo, exec_lo, s0
.LBB172_323:
	s_delay_alu instid0(SALU_CYCLE_1)
	s_or_b32 exec_lo, exec_lo, s1
	s_mov_b32 s1, 0
	s_barrier_signal -1
	s_barrier_wait -1
	s_mov_b32 s0, exec_lo
	v_cmpx_eq_u32_e32 0, v7
	s_cbranch_execz .LBB172_325
; %bb.324:
	s_mul_i32 s0, s24, s8
	s_mul_i32 s2, s8, s12
	;; [unrolled: 1-line block ×3, first 2 shown]
	s_lshr_b32 s6, ttmp7, 16
	s_lshl_b32 s4, s0, 6
	s_bfe_u32 s0, ttmp6, 0x40014
	s_ashr_i32 s5, s4, 31
	s_add_co_i32 s0, s0, 1
	s_ashr_i32 s3, s2, 31
	s_mul_i32 s0, s6, s0
	s_bfe_u32 s7, ttmp6, 0x40008
	s_lshl_b64 s[4:5], s[4:5], 2
	s_lshl_b64 s[2:3], s[2:3], 2
	s_add_co_i32 s7, s7, s0
	s_cmp_eq_u32 s22, 0
	s_add_nc_u64 s[4:5], s[10:11], s[4:5]
	s_cselect_b32 s0, s6, s7
	v_lshlrev_b32_e32 v0, 1, v0
	s_add_nc_u64 s[2:3], s[4:5], s[2:3]
	s_lshl_b32 s0, s0, 8
	s_delay_alu instid0(SALU_CYCLE_1)
	s_add_nc_u64 s[0:1], s[2:3], s[0:1]
	s_clause 0x3
	global_store_b32 v0, v2, s[0:1]
	global_store_b32 v0, v3, s[0:1] offset:64
	global_store_b32 v0, v4, s[0:1] offset:128
	;; [unrolled: 1-line block ×3, first 2 shown]
.LBB172_325:
	s_endpgm
.LBB172_326:
	ds_load_b32 v7, v1
	s_wait_dscnt 0x0
	v_add_f32_e32 v2, v2, v7
	s_or_b32 exec_lo, exec_lo, s1
	s_and_saveexec_b32 s1, vcc_lo
	s_cbranch_execz .LBB172_310
.LBB172_327:
	ds_load_b32 v7, v1 offset:64
	s_wait_dscnt 0x0
	v_add_f32_e32 v3, v3, v7
	s_or_b32 exec_lo, exec_lo, s1
	s_and_saveexec_b32 s1, vcc_lo
	s_cbranch_execz .LBB172_311
.LBB172_328:
	ds_load_b32 v7, v1 offset:128
	s_wait_dscnt 0x0
	v_add_f32_e32 v4, v4, v7
	s_or_b32 exec_lo, exec_lo, s1
	s_and_saveexec_b32 s1, vcc_lo
	s_cbranch_execnz .LBB172_312
	s_branch .LBB172_313
.LBB172_329:
	ds_load_b32 v6, v1
	s_wait_dscnt 0x0
	v_add_f32_e32 v2, v2, v6
	s_or_b32 exec_lo, exec_lo, s0
	s_and_saveexec_b32 s0, vcc_lo
	s_cbranch_execz .LBB172_319
.LBB172_330:
	ds_load_b32 v6, v1 offset:64
	s_wait_dscnt 0x0
	v_add_f32_e32 v3, v3, v6
	s_or_b32 exec_lo, exec_lo, s0
	s_and_saveexec_b32 s0, vcc_lo
	s_cbranch_execz .LBB172_320
.LBB172_331:
	ds_load_b32 v6, v1 offset:128
	s_wait_dscnt 0x0
	v_add_f32_e32 v4, v4, v6
	s_or_b32 exec_lo, exec_lo, s0
	s_and_saveexec_b32 s0, vcc_lo
	s_cbranch_execnz .LBB172_321
	s_branch .LBB172_322
	.section	.rodata,"a",@progbits
	.p2align	6, 0x0
	.amdhsa_kernel _ZN4vllm25paged_attention_v1_kernelIfhLi64ELi8ELi128ELNS_18Fp8KVCacheDataTypeE1ELb0EEEvPT_PKS2_PKT0_S8_ifPKiSA_iPKfiiiSC_SC_iiiii
		.amdhsa_group_segment_fixed_size 288
		.amdhsa_private_segment_fixed_size 0
		.amdhsa_kernarg_size 384
		.amdhsa_user_sgpr_count 2
		.amdhsa_user_sgpr_dispatch_ptr 0
		.amdhsa_user_sgpr_queue_ptr 0
		.amdhsa_user_sgpr_kernarg_segment_ptr 1
		.amdhsa_user_sgpr_dispatch_id 0
		.amdhsa_user_sgpr_kernarg_preload_length 0
		.amdhsa_user_sgpr_kernarg_preload_offset 0
		.amdhsa_user_sgpr_private_segment_size 0
		.amdhsa_wavefront_size32 1
		.amdhsa_uses_dynamic_stack 0
		.amdhsa_enable_private_segment 0
		.amdhsa_system_sgpr_workgroup_id_x 1
		.amdhsa_system_sgpr_workgroup_id_y 1
		.amdhsa_system_sgpr_workgroup_id_z 1
		.amdhsa_system_sgpr_workgroup_info 0
		.amdhsa_system_vgpr_workitem_id 0
		.amdhsa_next_free_vgpr 54
		.amdhsa_next_free_sgpr 32
		.amdhsa_named_barrier_count 0
		.amdhsa_reserve_vcc 1
		.amdhsa_float_round_mode_32 0
		.amdhsa_float_round_mode_16_64 0
		.amdhsa_float_denorm_mode_32 3
		.amdhsa_float_denorm_mode_16_64 3
		.amdhsa_fp16_overflow 0
		.amdhsa_memory_ordered 1
		.amdhsa_forward_progress 1
		.amdhsa_inst_pref_size 93
		.amdhsa_round_robin_scheduling 0
		.amdhsa_exception_fp_ieee_invalid_op 0
		.amdhsa_exception_fp_denorm_src 0
		.amdhsa_exception_fp_ieee_div_zero 0
		.amdhsa_exception_fp_ieee_overflow 0
		.amdhsa_exception_fp_ieee_underflow 0
		.amdhsa_exception_fp_ieee_inexact 0
		.amdhsa_exception_int_div_zero 0
	.end_amdhsa_kernel
	.section	.text._ZN4vllm25paged_attention_v1_kernelIfhLi64ELi8ELi128ELNS_18Fp8KVCacheDataTypeE1ELb0EEEvPT_PKS2_PKT0_S8_ifPKiSA_iPKfiiiSC_SC_iiiii,"axG",@progbits,_ZN4vllm25paged_attention_v1_kernelIfhLi64ELi8ELi128ELNS_18Fp8KVCacheDataTypeE1ELb0EEEvPT_PKS2_PKT0_S8_ifPKiSA_iPKfiiiSC_SC_iiiii,comdat
.Lfunc_end172:
	.size	_ZN4vllm25paged_attention_v1_kernelIfhLi64ELi8ELi128ELNS_18Fp8KVCacheDataTypeE1ELb0EEEvPT_PKS2_PKT0_S8_ifPKiSA_iPKfiiiSC_SC_iiiii, .Lfunc_end172-_ZN4vllm25paged_attention_v1_kernelIfhLi64ELi8ELi128ELNS_18Fp8KVCacheDataTypeE1ELb0EEEvPT_PKS2_PKT0_S8_ifPKiSA_iPKfiiiSC_SC_iiiii
                                        ; -- End function
	.set _ZN4vllm25paged_attention_v1_kernelIfhLi64ELi8ELi128ELNS_18Fp8KVCacheDataTypeE1ELb0EEEvPT_PKS2_PKT0_S8_ifPKiSA_iPKfiiiSC_SC_iiiii.num_vgpr, 54
	.set _ZN4vllm25paged_attention_v1_kernelIfhLi64ELi8ELi128ELNS_18Fp8KVCacheDataTypeE1ELb0EEEvPT_PKS2_PKT0_S8_ifPKiSA_iPKfiiiSC_SC_iiiii.num_agpr, 0
	.set _ZN4vllm25paged_attention_v1_kernelIfhLi64ELi8ELi128ELNS_18Fp8KVCacheDataTypeE1ELb0EEEvPT_PKS2_PKT0_S8_ifPKiSA_iPKfiiiSC_SC_iiiii.numbered_sgpr, 32
	.set _ZN4vllm25paged_attention_v1_kernelIfhLi64ELi8ELi128ELNS_18Fp8KVCacheDataTypeE1ELb0EEEvPT_PKS2_PKT0_S8_ifPKiSA_iPKfiiiSC_SC_iiiii.num_named_barrier, 0
	.set _ZN4vllm25paged_attention_v1_kernelIfhLi64ELi8ELi128ELNS_18Fp8KVCacheDataTypeE1ELb0EEEvPT_PKS2_PKT0_S8_ifPKiSA_iPKfiiiSC_SC_iiiii.private_seg_size, 0
	.set _ZN4vllm25paged_attention_v1_kernelIfhLi64ELi8ELi128ELNS_18Fp8KVCacheDataTypeE1ELb0EEEvPT_PKS2_PKT0_S8_ifPKiSA_iPKfiiiSC_SC_iiiii.uses_vcc, 1
	.set _ZN4vllm25paged_attention_v1_kernelIfhLi64ELi8ELi128ELNS_18Fp8KVCacheDataTypeE1ELb0EEEvPT_PKS2_PKT0_S8_ifPKiSA_iPKfiiiSC_SC_iiiii.uses_flat_scratch, 0
	.set _ZN4vllm25paged_attention_v1_kernelIfhLi64ELi8ELi128ELNS_18Fp8KVCacheDataTypeE1ELb0EEEvPT_PKS2_PKT0_S8_ifPKiSA_iPKfiiiSC_SC_iiiii.has_dyn_sized_stack, 0
	.set _ZN4vllm25paged_attention_v1_kernelIfhLi64ELi8ELi128ELNS_18Fp8KVCacheDataTypeE1ELb0EEEvPT_PKS2_PKT0_S8_ifPKiSA_iPKfiiiSC_SC_iiiii.has_recursion, 0
	.set _ZN4vllm25paged_attention_v1_kernelIfhLi64ELi8ELi128ELNS_18Fp8KVCacheDataTypeE1ELb0EEEvPT_PKS2_PKT0_S8_ifPKiSA_iPKfiiiSC_SC_iiiii.has_indirect_call, 0
	.section	.AMDGPU.csdata,"",@progbits
; Kernel info:
; codeLenInByte = 11880
; TotalNumSgprs: 34
; NumVgprs: 54
; ScratchSize: 0
; MemoryBound: 0
; FloatMode: 240
; IeeeMode: 1
; LDSByteSize: 288 bytes/workgroup (compile time only)
; SGPRBlocks: 0
; VGPRBlocks: 3
; NumSGPRsForWavesPerEU: 34
; NumVGPRsForWavesPerEU: 54
; NamedBarCnt: 0
; Occupancy: 16
; WaveLimiterHint : 1
; COMPUTE_PGM_RSRC2:SCRATCH_EN: 0
; COMPUTE_PGM_RSRC2:USER_SGPR: 2
; COMPUTE_PGM_RSRC2:TRAP_HANDLER: 0
; COMPUTE_PGM_RSRC2:TGID_X_EN: 1
; COMPUTE_PGM_RSRC2:TGID_Y_EN: 1
; COMPUTE_PGM_RSRC2:TGID_Z_EN: 1
; COMPUTE_PGM_RSRC2:TIDIG_COMP_CNT: 0
	.section	.text._ZN4vllm25paged_attention_v1_kernelIfhLi80ELi8ELi128ELNS_18Fp8KVCacheDataTypeE1ELb0EEEvPT_PKS2_PKT0_S8_ifPKiSA_iPKfiiiSC_SC_iiiii,"axG",@progbits,_ZN4vllm25paged_attention_v1_kernelIfhLi80ELi8ELi128ELNS_18Fp8KVCacheDataTypeE1ELb0EEEvPT_PKS2_PKT0_S8_ifPKiSA_iPKfiiiSC_SC_iiiii,comdat
	.protected	_ZN4vllm25paged_attention_v1_kernelIfhLi80ELi8ELi128ELNS_18Fp8KVCacheDataTypeE1ELb0EEEvPT_PKS2_PKT0_S8_ifPKiSA_iPKfiiiSC_SC_iiiii ; -- Begin function _ZN4vllm25paged_attention_v1_kernelIfhLi80ELi8ELi128ELNS_18Fp8KVCacheDataTypeE1ELb0EEEvPT_PKS2_PKT0_S8_ifPKiSA_iPKfiiiSC_SC_iiiii
	.globl	_ZN4vllm25paged_attention_v1_kernelIfhLi80ELi8ELi128ELNS_18Fp8KVCacheDataTypeE1ELb0EEEvPT_PKS2_PKT0_S8_ifPKiSA_iPKfiiiSC_SC_iiiii
	.p2align	8
	.type	_ZN4vllm25paged_attention_v1_kernelIfhLi80ELi8ELi128ELNS_18Fp8KVCacheDataTypeE1ELb0EEEvPT_PKS2_PKT0_S8_ifPKiSA_iPKfiiiSC_SC_iiiii,@function
_ZN4vllm25paged_attention_v1_kernelIfhLi80ELi8ELi128ELNS_18Fp8KVCacheDataTypeE1ELb0EEEvPT_PKS2_PKT0_S8_ifPKiSA_iPKfiiiSC_SC_iiiii: ; @_ZN4vllm25paged_attention_v1_kernelIfhLi80ELi8ELi128ELNS_18Fp8KVCacheDataTypeE1ELb0EEEvPT_PKS2_PKT0_S8_ifPKiSA_iPKfiiiSC_SC_iiiii
; %bb.0:
	s_load_b64 s[18:19], s[0:1], 0x20
	s_bfe_u32 s3, ttmp6, 0x4000c
	s_bfe_u32 s5, ttmp6, 0x40010
	s_and_b32 s4, ttmp7, 0xffff
	s_add_co_i32 s3, s3, 1
	s_add_co_i32 s5, s5, 1
	s_and_b32 s2, ttmp6, 15
	s_bfe_u32 s6, ttmp6, 0x40004
	s_mul_i32 s3, ttmp9, s3
	s_mul_i32 s5, s4, s5
	s_getreg_b32 s20, hwreg(HW_REG_IB_STS2, 6, 4)
	s_add_co_i32 s2, s2, s3
	s_add_co_i32 s3, s6, s5
	s_cmp_eq_u32 s20, 0
	s_clause 0x1
	s_load_b32 s21, s[0:1], 0x80
	s_load_b64 s[6:7], s[0:1], 0x30
	s_cselect_b32 s22, s4, s3
	s_cselect_b32 s2, ttmp9, s2
	s_wait_kmcnt 0x0
	s_abs_i32 s3, s18
	s_delay_alu instid0(SALU_CYCLE_1) | instskip(SKIP_1) | instid1(SALU_CYCLE_2)
	s_cvt_f32_u32 s4, s3
	s_sub_co_i32 s5, 0, s3
	v_rcp_iflag_f32_e32 v1, s4
	s_abs_i32 s8, s21
	v_nop
	s_delay_alu instid0(TRANS32_DEP_1) | instskip(SKIP_1) | instid1(SALU_CYCLE_3)
	v_readfirstlane_b32 s4, v1
	s_mul_f32 s4, s4, 0x4f7ffffe
	s_cvt_u32_f32 s4, s4
	s_delay_alu instid0(SALU_CYCLE_3) | instskip(NEXT) | instid1(SALU_CYCLE_1)
	s_mul_i32 s5, s5, s4
	s_mul_hi_u32 s5, s4, s5
	s_delay_alu instid0(SALU_CYCLE_1) | instskip(SKIP_4) | instid1(SALU_CYCLE_1)
	s_add_co_i32 s4, s4, s5
	s_xor_b32 s5, s21, s18
	s_mul_hi_u32 s4, s8, s4
	s_ashr_i32 s5, s5, 31
	s_mul_i32 s9, s4, s3
	s_sub_co_i32 s8, s8, s9
	s_add_co_i32 s9, s4, 1
	s_sub_co_i32 s10, s8, s3
	s_cmp_ge_u32 s8, s3
	s_cselect_b32 s4, s9, s4
	s_cselect_b32 s8, s10, s8
	s_add_co_i32 s9, s4, 1
	s_cmp_ge_u32 s8, s3
	s_cselect_b32 s3, s9, s4
	s_load_b64 s[8:9], s[0:1], 0x40
	s_xor_b32 s3, s3, s5
	s_delay_alu instid0(SALU_CYCLE_1)
	s_sub_co_i32 s14, s3, s5
	s_mov_b32 s5, 0
	s_abs_i32 s11, s14
	s_mov_b32 s13, s5
	s_cvt_f32_u32 s3, s11
	s_sub_co_i32 s4, 0, s11
	s_mov_b32 s18, s5
	s_delay_alu instid0(SALU_CYCLE_1) | instskip(SKIP_1) | instid1(TRANS32_DEP_1)
	v_rcp_iflag_f32_e32 v1, s3
	v_nop
	v_readfirstlane_b32 s3, v1
	s_mul_f32 s3, s3, 0x4f7ffffe
	s_delay_alu instid0(SALU_CYCLE_3) | instskip(NEXT) | instid1(SALU_CYCLE_3)
	s_cvt_u32_f32 s3, s3
	s_mul_i32 s4, s4, s3
	s_delay_alu instid0(SALU_CYCLE_1)
	s_mul_hi_u32 s10, s3, s4
	s_abs_i32 s4, s2
	s_add_co_i32 s12, s3, s10
	s_wait_kmcnt 0x0
	s_cmp_eq_u64 s[8:9], 0
	s_cbranch_scc1 .LBB173_2
; %bb.1:
	s_ashr_i32 s3, s2, 31
	s_delay_alu instid0(SALU_CYCLE_1) | instskip(NEXT) | instid1(SALU_CYCLE_1)
	s_lshl_b64 s[16:17], s[2:3], 2
	s_add_nc_u64 s[8:9], s[8:9], s[16:17]
	s_load_b32 s18, s[8:9], 0x0
.LBB173_2:
	s_load_b32 s23, s[6:7], s22 offset:0x0 scale_offset
	s_wait_xcnt 0x0
	s_load_b96 s[8:10], s[0:1], 0x48
	v_and_b32_e32 v24, 3, v0
	s_ashr_i32 s3, s2, 31
	s_ashr_i32 s14, s14, 31
	s_mul_u64 s[6:7], s[4:5], s[12:13]
	s_mul_i32 s12, s2, 0x50
	s_mov_b32 s2, exec_lo
	v_cmpx_gt_u32_e32 0x50, v0
	s_cbranch_execz .LBB173_4
; %bb.3:
	s_load_b64 s[16:17], s[0:1], 0x8
	s_wait_kmcnt 0x0
	s_mul_i32 s24, s8, s22
	s_ashr_i32 s13, s12, 31
	s_ashr_i32 s25, s24, 31
	v_and_b32_e32 v2, 0x3fc, v0
	s_lshl_b64 s[24:25], s[24:25], 2
	s_delay_alu instid0(VALU_DEP_1) | instskip(SKIP_2) | instid1(SALU_CYCLE_1)
	v_mad_u32_u24 v2, 0x50, v24, v2
	s_add_nc_u64 s[16:17], s[16:17], s[24:25]
	s_lshl_b64 s[24:25], s[12:13], 2
	s_add_nc_u64 s[16:17], s[16:17], s[24:25]
	global_load_b32 v1, v0, s[16:17] scale_offset
	s_wait_loadcnt 0x0
	ds_store_b32 v2, v1
.LBB173_4:
	s_or_b32 exec_lo, exec_lo, s2
	s_wait_kmcnt 0x0
	s_add_co_i32 s2, s23, 7
	s_load_b32 s5, s[0:1], 0x38
	s_ashr_i32 s6, s2, 31
	s_mul_i32 s8, s7, s11
	s_lshr_b32 s6, s6, 29
	s_sub_co_i32 s4, s4, s8
	s_add_co_i32 s2, s2, s6
	s_xor_b32 s3, s3, s14
	s_ashr_i32 s13, s2, 3
	s_add_co_i32 s2, s7, 1
	s_sub_co_i32 s6, s4, s11
	s_cmp_ge_u32 s4, s11
	v_lshrrev_b32_e32 v1, 5, v0
	s_cselect_b32 s2, s2, s7
	s_cselect_b32 s4, s6, s4
	s_add_co_i32 s6, s2, 1
	s_cmp_ge_u32 s4, s11
	v_mbcnt_lo_u32_b32 v31, -1, 0
	s_cselect_b32 s2, s6, s2
	s_mov_b32 s4, exec_lo
	s_xor_b32 s2, s2, s3
	s_wait_kmcnt 0x0
	s_mul_i32 s14, s5, s22
	s_sub_co_i32 s3, s2, s3
	v_cmp_gt_i32_e64 s2, s13, v1
	s_ashr_i32 s15, s14, 31
	s_wait_dscnt 0x0
	s_barrier_signal -1
	s_barrier_wait -1
                                        ; implicit-def: $vgpr23
                                        ; implicit-def: $vgpr32
	v_cmpx_le_i32_e64 s13, v1
	s_xor_b32 s4, exec_lo, s4
; %bb.5:
	v_dual_mov_b32 v23, 0 :: v_dual_mov_b32 v32, 32
	v_mbcnt_lo_u32_b32 v31, -1, 0
                                        ; implicit-def: $vgpr24
; %bb.6:
	s_or_saveexec_b32 s24, s4
	s_clause 0x2
	s_load_b32 s8, s[0:1], 0x88
	s_load_b64 s[16:17], s[0:1], 0x28
	s_load_b128 s[4:7], s[0:1], 0x58
	v_dual_mov_b32 v33, 0xff7fffff :: v_dual_lshrrev_b32 v30, 3, v0
	s_mul_i32 s10, s3, s10
	s_xor_b32 exec_lo, exec_lo, s24
	s_cbranch_execz .LBB173_172
; %bb.7:
	s_load_b64 s[26:27], s[0:1], 0x10
	v_bfe_u32 v28, v0, 2, 3
	v_xor_b32_e32 v25, 2, v31
	v_mul_u32_u24_e32 v18, 0x50, v24
	s_wait_kmcnt 0x0
	s_load_b32 s5, s[4:5], 0x0
	ds_load_b128 v[2:5], v18
	ds_load_b128 v[6:9], v18 offset:16
	ds_load_b128 v[10:13], v18 offset:32
	;; [unrolled: 1-line block ×4, first 2 shown]
	v_lshlrev_b32_e32 v22, 4, v28
	v_cmp_gt_i32_e64 s3, 32, v25
	v_dual_mov_b32 v23, 0 :: v_dual_bitop2_b32 v26, 1, v31 bitop3:0x14
	v_mov_b32_e32 v32, 32
	s_ashr_i32 s11, s10, 31
	v_cndmask_b32_e64 v29, v31, v25, s3
	s_delay_alu instid0(VALU_DEP_3)
	v_cmp_gt_i32_e64 s3, 32, v26
	s_cmp_neq_f32 s18, 0
	v_mov_b32_e32 v25, v23
	v_cmp_eq_u32_e32 vcc_lo, 0, v24
	s_add_nc_u64 s[26:27], s[26:27], s[10:11]
	v_cndmask_b32_e64 v33, v31, v26, s3
	v_add_nc_u64_e32 v[26:27], s[26:27], v[22:23]
	v_dual_lshlrev_b32 v22, 2, v28 :: v_dual_lshlrev_b32 v34, 2, v29
	s_cselect_b32 s3, -1, 0
	s_lshl_b64 s[26:27], s[14:15], 2
	v_dual_mov_b32 v38, v1 :: v_dual_lshlrev_b32 v35, 2, v33
	s_delay_alu instid0(VALU_DEP_2)
	v_lshl_or_b32 v29, v1, 5, v22
	v_and_b32_e32 v22, 0x7c, v30
	s_add_nc_u64 s[26:27], s[16:17], s[26:27]
	v_add_nc_u64_e32 v[24:25], v[26:27], v[24:25]
	v_lshl_or_b32 v36, v1, 3, v28
	v_add_nc_u32_e32 v37, 0x160, v29
	v_add_nc_u64_e32 v[26:27], s[26:27], v[22:23]
	v_mov_b32_e32 v33, 0xff7fffff
	s_mov_b32 s25, s9
	s_mov_b32 s11, 0
	s_sub_co_i32 s26, 1, s23
	s_branch .LBB173_9
.LBB173_8:                              ;   in Loop: Header=BB173_9 Depth=1
	s_or_b32 exec_lo, exec_lo, s27
	v_dual_add_nc_u32 v38, 4, v38 :: v_dual_add_nc_u32 v36, 32, v36
	v_add_nc_u64_e32 v[26:27], 16, v[26:27]
	v_add_nc_u32_e32 v37, 0x80, v37
	s_delay_alu instid0(VALU_DEP_3) | instskip(SKIP_1) | instid1(SALU_CYCLE_1)
	v_cmp_le_i32_e64 s4, s13, v38
	s_or_b32 s11, s4, s11
	s_and_not1_b32 exec_lo, exec_lo, s11
	s_cbranch_execz .LBB173_171
.LBB173_9:                              ; =>This Inner Loop Header: Depth=1
	global_load_b32 v22, v[26:27], off
	v_dual_mov_b32 v39, 0 :: v_dual_mov_b32 v40, 0
	s_mov_b32 s27, exec_lo
	s_wait_loadcnt_dscnt 0x0
	v_mad_nc_i64_i32 v[28:29], v22, s25, v[24:25]
	global_load_u8 v41, v[28:29], off
	s_wait_loadcnt 0x0
	s_wait_xcnt 0x0
	v_cmpx_ne_u16_e32 0, v41
	s_cbranch_execz .LBB173_17
; %bb.10:                               ;   in Loop: Header=BB173_9 Depth=1
	v_bfrev_b32_e32 v40, 1
	s_mov_b32 s28, exec_lo
	v_cmpx_ne_u16_e32 0x80, v41
	s_cbranch_execz .LBB173_16
; %bb.11:                               ;   in Loop: Header=BB173_9 Depth=1
	v_and_b32_e32 v22, 0xffff, v41
	v_mov_b32_e32 v40, 0x7f800001
	s_mov_b32 s29, exec_lo
	s_delay_alu instid0(VALU_DEP_2) | instskip(NEXT) | instid1(VALU_DEP_1)
	v_and_b32_e32 v42, 0x7f, v22
	v_cmpx_ne_u32_e32 0x7f, v42
	s_cbranch_execz .LBB173_15
; %bb.12:                               ;   in Loop: Header=BB173_9 Depth=1
	v_and_b32_e32 v22, 7, v22
	v_lshrrev_b32_e32 v40, 3, v42
	s_mov_b32 s30, exec_lo
	v_cmpx_gt_u32_e32 8, v42
; %bb.13:                               ;   in Loop: Header=BB173_9 Depth=1
	s_delay_alu instid0(VALU_DEP_3) | instskip(NEXT) | instid1(VALU_DEP_1)
	v_clz_i32_u32_e32 v40, v22
	v_min_u32_e32 v40, 32, v40
	s_delay_alu instid0(VALU_DEP_1) | instskip(NEXT) | instid1(VALU_DEP_1)
	v_subrev_nc_u32_e32 v42, 28, v40
	v_lshlrev_b64_e32 v[42:43], v42, v[22:23]
	s_delay_alu instid0(VALU_DEP_1)
	v_dual_sub_nc_u32 v40, 29, v40 :: v_dual_bitop2_b32 v22, 7, v42 bitop3:0x40
; %bb.14:                               ;   in Loop: Header=BB173_9 Depth=1
	s_or_b32 exec_lo, exec_lo, s30
	s_delay_alu instid0(VALU_DEP_1) | instskip(NEXT) | instid1(VALU_DEP_2)
	v_dual_lshlrev_b32 v41, 24, v41 :: v_dual_lshlrev_b32 v22, 20, v22
	v_lshl_add_u32 v40, v40, 23, 0x3c000000
	s_delay_alu instid0(VALU_DEP_2) | instskip(NEXT) | instid1(VALU_DEP_1)
	v_and_b32_e32 v41, 0x80000000, v41
	v_or3_b32 v40, v22, v41, v40
.LBB173_15:                             ;   in Loop: Header=BB173_9 Depth=1
	s_or_b32 exec_lo, exec_lo, s29
.LBB173_16:                             ;   in Loop: Header=BB173_9 Depth=1
	s_delay_alu instid0(SALU_CYCLE_1)
	s_or_b32 exec_lo, exec_lo, s28
.LBB173_17:                             ;   in Loop: Header=BB173_9 Depth=1
	s_delay_alu instid0(SALU_CYCLE_1)
	s_or_b32 exec_lo, exec_lo, s27
	global_load_u8 v41, v[28:29], off offset:4
	s_mov_b32 s27, exec_lo
	s_wait_loadcnt 0x0
	v_cmpx_ne_u16_e32 0, v41
	s_cbranch_execz .LBB173_25
; %bb.18:                               ;   in Loop: Header=BB173_9 Depth=1
	v_bfrev_b32_e32 v39, 1
	s_mov_b32 s28, exec_lo
	v_cmpx_ne_u16_e32 0x80, v41
	s_cbranch_execz .LBB173_24
; %bb.19:                               ;   in Loop: Header=BB173_9 Depth=1
	v_and_b32_e32 v22, 0xffff, v41
	v_mov_b32_e32 v39, 0x7f800001
	s_mov_b32 s29, exec_lo
	s_delay_alu instid0(VALU_DEP_2) | instskip(NEXT) | instid1(VALU_DEP_1)
	v_and_b32_e32 v42, 0x7f, v22
	v_cmpx_ne_u32_e32 0x7f, v42
	s_cbranch_execz .LBB173_23
; %bb.20:                               ;   in Loop: Header=BB173_9 Depth=1
	v_and_b32_e32 v22, 7, v22
	v_lshrrev_b32_e32 v39, 3, v42
	s_mov_b32 s30, exec_lo
	v_cmpx_gt_u32_e32 8, v42
; %bb.21:                               ;   in Loop: Header=BB173_9 Depth=1
	s_delay_alu instid0(VALU_DEP_3) | instskip(NEXT) | instid1(VALU_DEP_1)
	v_clz_i32_u32_e32 v39, v22
	v_min_u32_e32 v39, 32, v39
	s_delay_alu instid0(VALU_DEP_1) | instskip(NEXT) | instid1(VALU_DEP_1)
	v_subrev_nc_u32_e32 v42, 28, v39
	v_lshlrev_b64_e32 v[42:43], v42, v[22:23]
	s_delay_alu instid0(VALU_DEP_1)
	v_dual_sub_nc_u32 v39, 29, v39 :: v_dual_bitop2_b32 v22, 7, v42 bitop3:0x40
; %bb.22:                               ;   in Loop: Header=BB173_9 Depth=1
	s_or_b32 exec_lo, exec_lo, s30
	s_delay_alu instid0(VALU_DEP_1) | instskip(NEXT) | instid1(VALU_DEP_2)
	v_dual_lshlrev_b32 v41, 24, v41 :: v_dual_lshlrev_b32 v22, 20, v22
	v_lshl_add_u32 v39, v39, 23, 0x3c000000
	s_delay_alu instid0(VALU_DEP_2) | instskip(NEXT) | instid1(VALU_DEP_1)
	v_and_b32_e32 v41, 0x80000000, v41
	v_or3_b32 v39, v22, v41, v39
.LBB173_23:                             ;   in Loop: Header=BB173_9 Depth=1
	s_or_b32 exec_lo, exec_lo, s29
.LBB173_24:                             ;   in Loop: Header=BB173_9 Depth=1
	s_delay_alu instid0(SALU_CYCLE_1)
	s_or_b32 exec_lo, exec_lo, s28
.LBB173_25:                             ;   in Loop: Header=BB173_9 Depth=1
	s_delay_alu instid0(SALU_CYCLE_1)
	s_or_b32 exec_lo, exec_lo, s27
	global_load_u8 v43, v[28:29], off offset:8
	v_dual_mov_b32 v41, 0 :: v_dual_mov_b32 v42, 0
	s_mov_b32 s27, exec_lo
	s_wait_loadcnt 0x0
	v_cmpx_ne_u16_e32 0, v43
	s_cbranch_execz .LBB173_33
; %bb.26:                               ;   in Loop: Header=BB173_9 Depth=1
	v_bfrev_b32_e32 v42, 1
	s_mov_b32 s28, exec_lo
	v_cmpx_ne_u16_e32 0x80, v43
	s_cbranch_execz .LBB173_32
; %bb.27:                               ;   in Loop: Header=BB173_9 Depth=1
	v_and_b32_e32 v22, 0xffff, v43
	v_mov_b32_e32 v42, 0x7f800001
	s_mov_b32 s29, exec_lo
	s_delay_alu instid0(VALU_DEP_2) | instskip(NEXT) | instid1(VALU_DEP_1)
	v_and_b32_e32 v44, 0x7f, v22
	v_cmpx_ne_u32_e32 0x7f, v44
	s_cbranch_execz .LBB173_31
; %bb.28:                               ;   in Loop: Header=BB173_9 Depth=1
	v_dual_lshrrev_b32 v42, 3, v44 :: v_dual_bitop2_b32 v22, 7, v22 bitop3:0x40
	s_mov_b32 s30, exec_lo
	v_cmpx_gt_u32_e32 8, v44
; %bb.29:                               ;   in Loop: Header=BB173_9 Depth=1
	s_delay_alu instid0(VALU_DEP_2) | instskip(NEXT) | instid1(VALU_DEP_1)
	v_clz_i32_u32_e32 v42, v22
	v_min_u32_e32 v42, 32, v42
	s_delay_alu instid0(VALU_DEP_1) | instskip(NEXT) | instid1(VALU_DEP_1)
	v_subrev_nc_u32_e32 v44, 28, v42
	v_lshlrev_b64_e32 v[44:45], v44, v[22:23]
	s_delay_alu instid0(VALU_DEP_1)
	v_dual_sub_nc_u32 v42, 29, v42 :: v_dual_bitop2_b32 v22, 7, v44 bitop3:0x40
; %bb.30:                               ;   in Loop: Header=BB173_9 Depth=1
	s_or_b32 exec_lo, exec_lo, s30
	s_delay_alu instid0(VALU_DEP_1) | instskip(NEXT) | instid1(VALU_DEP_2)
	v_dual_lshlrev_b32 v43, 24, v43 :: v_dual_lshlrev_b32 v22, 20, v22
	v_lshl_add_u32 v42, v42, 23, 0x3c000000
	s_delay_alu instid0(VALU_DEP_2) | instskip(NEXT) | instid1(VALU_DEP_1)
	v_and_b32_e32 v43, 0x80000000, v43
	v_or3_b32 v42, v22, v43, v42
.LBB173_31:                             ;   in Loop: Header=BB173_9 Depth=1
	s_or_b32 exec_lo, exec_lo, s29
.LBB173_32:                             ;   in Loop: Header=BB173_9 Depth=1
	s_delay_alu instid0(SALU_CYCLE_1)
	s_or_b32 exec_lo, exec_lo, s28
.LBB173_33:                             ;   in Loop: Header=BB173_9 Depth=1
	s_delay_alu instid0(SALU_CYCLE_1)
	s_or_b32 exec_lo, exec_lo, s27
	global_load_u8 v43, v[28:29], off offset:12
	s_mov_b32 s27, exec_lo
	s_wait_loadcnt 0x0
	v_cmpx_ne_u16_e32 0, v43
	s_cbranch_execz .LBB173_41
; %bb.34:                               ;   in Loop: Header=BB173_9 Depth=1
	v_bfrev_b32_e32 v41, 1
	s_mov_b32 s28, exec_lo
	v_cmpx_ne_u16_e32 0x80, v43
	s_cbranch_execz .LBB173_40
; %bb.35:                               ;   in Loop: Header=BB173_9 Depth=1
	v_and_b32_e32 v22, 0xffff, v43
	v_mov_b32_e32 v41, 0x7f800001
	s_mov_b32 s29, exec_lo
	s_delay_alu instid0(VALU_DEP_2) | instskip(NEXT) | instid1(VALU_DEP_1)
	v_and_b32_e32 v44, 0x7f, v22
	v_cmpx_ne_u32_e32 0x7f, v44
	s_cbranch_execz .LBB173_39
; %bb.36:                               ;   in Loop: Header=BB173_9 Depth=1
	v_dual_lshrrev_b32 v41, 3, v44 :: v_dual_bitop2_b32 v22, 7, v22 bitop3:0x40
	s_mov_b32 s30, exec_lo
	v_cmpx_gt_u32_e32 8, v44
; %bb.37:                               ;   in Loop: Header=BB173_9 Depth=1
	s_delay_alu instid0(VALU_DEP_2) | instskip(NEXT) | instid1(VALU_DEP_1)
	v_clz_i32_u32_e32 v41, v22
	v_min_u32_e32 v41, 32, v41
	s_delay_alu instid0(VALU_DEP_1) | instskip(NEXT) | instid1(VALU_DEP_1)
	v_subrev_nc_u32_e32 v44, 28, v41
	v_lshlrev_b64_e32 v[44:45], v44, v[22:23]
	s_delay_alu instid0(VALU_DEP_1)
	v_dual_sub_nc_u32 v41, 29, v41 :: v_dual_bitop2_b32 v22, 7, v44 bitop3:0x40
; %bb.38:                               ;   in Loop: Header=BB173_9 Depth=1
	s_or_b32 exec_lo, exec_lo, s30
	s_delay_alu instid0(VALU_DEP_1) | instskip(NEXT) | instid1(VALU_DEP_2)
	v_dual_lshlrev_b32 v43, 24, v43 :: v_dual_lshlrev_b32 v22, 20, v22
	v_lshl_add_u32 v41, v41, 23, 0x3c000000
	s_delay_alu instid0(VALU_DEP_2) | instskip(NEXT) | instid1(VALU_DEP_1)
	v_and_b32_e32 v43, 0x80000000, v43
	v_or3_b32 v41, v22, v43, v41
.LBB173_39:                             ;   in Loop: Header=BB173_9 Depth=1
	s_or_b32 exec_lo, exec_lo, s29
.LBB173_40:                             ;   in Loop: Header=BB173_9 Depth=1
	s_delay_alu instid0(SALU_CYCLE_1)
	s_or_b32 exec_lo, exec_lo, s28
.LBB173_41:                             ;   in Loop: Header=BB173_9 Depth=1
	s_delay_alu instid0(SALU_CYCLE_1)
	s_or_b32 exec_lo, exec_lo, s27
	global_load_u8 v45, v[28:29], off offset:128
	v_dual_mov_b32 v43, 0 :: v_dual_mov_b32 v44, 0
	s_mov_b32 s27, exec_lo
	s_wait_loadcnt 0x0
	v_cmpx_ne_u16_e32 0, v45
	s_cbranch_execz .LBB173_49
; %bb.42:                               ;   in Loop: Header=BB173_9 Depth=1
	v_bfrev_b32_e32 v44, 1
	s_mov_b32 s28, exec_lo
	v_cmpx_ne_u16_e32 0x80, v45
	s_cbranch_execz .LBB173_48
; %bb.43:                               ;   in Loop: Header=BB173_9 Depth=1
	v_and_b32_e32 v22, 0xffff, v45
	v_mov_b32_e32 v44, 0x7f800001
	s_mov_b32 s29, exec_lo
	s_delay_alu instid0(VALU_DEP_2) | instskip(NEXT) | instid1(VALU_DEP_1)
	v_and_b32_e32 v46, 0x7f, v22
	v_cmpx_ne_u32_e32 0x7f, v46
	s_cbranch_execz .LBB173_47
; %bb.44:                               ;   in Loop: Header=BB173_9 Depth=1
	v_and_b32_e32 v22, 7, v22
	v_lshrrev_b32_e32 v44, 3, v46
	s_mov_b32 s30, exec_lo
	v_cmpx_gt_u32_e32 8, v46
; %bb.45:                               ;   in Loop: Header=BB173_9 Depth=1
	s_delay_alu instid0(VALU_DEP_3) | instskip(NEXT) | instid1(VALU_DEP_1)
	v_clz_i32_u32_e32 v44, v22
	v_min_u32_e32 v44, 32, v44
	s_delay_alu instid0(VALU_DEP_1) | instskip(NEXT) | instid1(VALU_DEP_1)
	v_subrev_nc_u32_e32 v46, 28, v44
	v_lshlrev_b64_e32 v[46:47], v46, v[22:23]
	s_delay_alu instid0(VALU_DEP_1)
	v_dual_sub_nc_u32 v44, 29, v44 :: v_dual_bitop2_b32 v22, 7, v46 bitop3:0x40
; %bb.46:                               ;   in Loop: Header=BB173_9 Depth=1
	s_or_b32 exec_lo, exec_lo, s30
	s_delay_alu instid0(VALU_DEP_1) | instskip(NEXT) | instid1(VALU_DEP_2)
	v_dual_lshlrev_b32 v45, 24, v45 :: v_dual_lshlrev_b32 v22, 20, v22
	v_lshl_add_u32 v44, v44, 23, 0x3c000000
	s_delay_alu instid0(VALU_DEP_2) | instskip(NEXT) | instid1(VALU_DEP_1)
	v_and_b32_e32 v45, 0x80000000, v45
	v_or3_b32 v44, v22, v45, v44
.LBB173_47:                             ;   in Loop: Header=BB173_9 Depth=1
	s_or_b32 exec_lo, exec_lo, s29
.LBB173_48:                             ;   in Loop: Header=BB173_9 Depth=1
	s_delay_alu instid0(SALU_CYCLE_1)
	s_or_b32 exec_lo, exec_lo, s28
.LBB173_49:                             ;   in Loop: Header=BB173_9 Depth=1
	s_delay_alu instid0(SALU_CYCLE_1)
	s_or_b32 exec_lo, exec_lo, s27
	global_load_u8 v45, v[28:29], off offset:132
	s_mov_b32 s27, exec_lo
	s_wait_loadcnt 0x0
	v_cmpx_ne_u16_e32 0, v45
	s_cbranch_execz .LBB173_57
; %bb.50:                               ;   in Loop: Header=BB173_9 Depth=1
	v_bfrev_b32_e32 v43, 1
	s_mov_b32 s28, exec_lo
	v_cmpx_ne_u16_e32 0x80, v45
	s_cbranch_execz .LBB173_56
; %bb.51:                               ;   in Loop: Header=BB173_9 Depth=1
	v_and_b32_e32 v22, 0xffff, v45
	v_mov_b32_e32 v43, 0x7f800001
	s_mov_b32 s29, exec_lo
	s_delay_alu instid0(VALU_DEP_2) | instskip(NEXT) | instid1(VALU_DEP_1)
	v_and_b32_e32 v46, 0x7f, v22
	v_cmpx_ne_u32_e32 0x7f, v46
	s_cbranch_execz .LBB173_55
; %bb.52:                               ;   in Loop: Header=BB173_9 Depth=1
	v_and_b32_e32 v22, 7, v22
	v_lshrrev_b32_e32 v43, 3, v46
	s_mov_b32 s30, exec_lo
	v_cmpx_gt_u32_e32 8, v46
; %bb.53:                               ;   in Loop: Header=BB173_9 Depth=1
	s_delay_alu instid0(VALU_DEP_3) | instskip(NEXT) | instid1(VALU_DEP_1)
	v_clz_i32_u32_e32 v43, v22
	v_min_u32_e32 v43, 32, v43
	s_delay_alu instid0(VALU_DEP_1) | instskip(NEXT) | instid1(VALU_DEP_1)
	v_subrev_nc_u32_e32 v46, 28, v43
	v_lshlrev_b64_e32 v[46:47], v46, v[22:23]
	s_delay_alu instid0(VALU_DEP_1)
	v_dual_sub_nc_u32 v43, 29, v43 :: v_dual_bitop2_b32 v22, 7, v46 bitop3:0x40
; %bb.54:                               ;   in Loop: Header=BB173_9 Depth=1
	s_or_b32 exec_lo, exec_lo, s30
	s_delay_alu instid0(VALU_DEP_1) | instskip(NEXT) | instid1(VALU_DEP_2)
	v_dual_lshlrev_b32 v45, 24, v45 :: v_dual_lshlrev_b32 v22, 20, v22
	v_lshl_add_u32 v43, v43, 23, 0x3c000000
	s_delay_alu instid0(VALU_DEP_2) | instskip(NEXT) | instid1(VALU_DEP_1)
	v_and_b32_e32 v45, 0x80000000, v45
	v_or3_b32 v43, v22, v45, v43
.LBB173_55:                             ;   in Loop: Header=BB173_9 Depth=1
	s_or_b32 exec_lo, exec_lo, s29
.LBB173_56:                             ;   in Loop: Header=BB173_9 Depth=1
	s_delay_alu instid0(SALU_CYCLE_1)
	s_or_b32 exec_lo, exec_lo, s28
.LBB173_57:                             ;   in Loop: Header=BB173_9 Depth=1
	s_delay_alu instid0(SALU_CYCLE_1)
	s_or_b32 exec_lo, exec_lo, s27
	global_load_u8 v47, v[28:29], off offset:136
	v_dual_mov_b32 v45, 0 :: v_dual_mov_b32 v46, 0
	s_mov_b32 s27, exec_lo
	s_wait_loadcnt 0x0
	v_cmpx_ne_u16_e32 0, v47
	s_cbranch_execz .LBB173_65
; %bb.58:                               ;   in Loop: Header=BB173_9 Depth=1
	v_bfrev_b32_e32 v46, 1
	s_mov_b32 s28, exec_lo
	v_cmpx_ne_u16_e32 0x80, v47
	s_cbranch_execz .LBB173_64
; %bb.59:                               ;   in Loop: Header=BB173_9 Depth=1
	v_and_b32_e32 v22, 0xffff, v47
	v_mov_b32_e32 v46, 0x7f800001
	s_mov_b32 s29, exec_lo
	s_delay_alu instid0(VALU_DEP_2) | instskip(NEXT) | instid1(VALU_DEP_1)
	v_and_b32_e32 v48, 0x7f, v22
	v_cmpx_ne_u32_e32 0x7f, v48
	s_cbranch_execz .LBB173_63
; %bb.60:                               ;   in Loop: Header=BB173_9 Depth=1
	v_dual_lshrrev_b32 v46, 3, v48 :: v_dual_bitop2_b32 v22, 7, v22 bitop3:0x40
	s_mov_b32 s30, exec_lo
	v_cmpx_gt_u32_e32 8, v48
; %bb.61:                               ;   in Loop: Header=BB173_9 Depth=1
	s_delay_alu instid0(VALU_DEP_2) | instskip(NEXT) | instid1(VALU_DEP_1)
	v_clz_i32_u32_e32 v46, v22
	v_min_u32_e32 v46, 32, v46
	s_delay_alu instid0(VALU_DEP_1) | instskip(NEXT) | instid1(VALU_DEP_1)
	v_subrev_nc_u32_e32 v48, 28, v46
	v_lshlrev_b64_e32 v[48:49], v48, v[22:23]
	s_delay_alu instid0(VALU_DEP_1)
	v_dual_sub_nc_u32 v46, 29, v46 :: v_dual_bitop2_b32 v22, 7, v48 bitop3:0x40
; %bb.62:                               ;   in Loop: Header=BB173_9 Depth=1
	s_or_b32 exec_lo, exec_lo, s30
	s_delay_alu instid0(VALU_DEP_1) | instskip(NEXT) | instid1(VALU_DEP_2)
	v_dual_lshlrev_b32 v47, 24, v47 :: v_dual_lshlrev_b32 v22, 20, v22
	v_lshl_add_u32 v46, v46, 23, 0x3c000000
	s_delay_alu instid0(VALU_DEP_2) | instskip(NEXT) | instid1(VALU_DEP_1)
	v_and_b32_e32 v47, 0x80000000, v47
	v_or3_b32 v46, v22, v47, v46
.LBB173_63:                             ;   in Loop: Header=BB173_9 Depth=1
	s_or_b32 exec_lo, exec_lo, s29
.LBB173_64:                             ;   in Loop: Header=BB173_9 Depth=1
	s_delay_alu instid0(SALU_CYCLE_1)
	s_or_b32 exec_lo, exec_lo, s28
.LBB173_65:                             ;   in Loop: Header=BB173_9 Depth=1
	s_delay_alu instid0(SALU_CYCLE_1)
	s_or_b32 exec_lo, exec_lo, s27
	global_load_u8 v47, v[28:29], off offset:140
	s_mov_b32 s27, exec_lo
	s_wait_loadcnt 0x0
	v_cmpx_ne_u16_e32 0, v47
	s_cbranch_execz .LBB173_73
; %bb.66:                               ;   in Loop: Header=BB173_9 Depth=1
	v_bfrev_b32_e32 v45, 1
	s_mov_b32 s28, exec_lo
	v_cmpx_ne_u16_e32 0x80, v47
	s_cbranch_execz .LBB173_72
; %bb.67:                               ;   in Loop: Header=BB173_9 Depth=1
	v_and_b32_e32 v22, 0xffff, v47
	v_mov_b32_e32 v45, 0x7f800001
	s_mov_b32 s29, exec_lo
	s_delay_alu instid0(VALU_DEP_2) | instskip(NEXT) | instid1(VALU_DEP_1)
	v_and_b32_e32 v48, 0x7f, v22
	v_cmpx_ne_u32_e32 0x7f, v48
	s_cbranch_execz .LBB173_71
; %bb.68:                               ;   in Loop: Header=BB173_9 Depth=1
	v_dual_lshrrev_b32 v45, 3, v48 :: v_dual_bitop2_b32 v22, 7, v22 bitop3:0x40
	s_mov_b32 s30, exec_lo
	v_cmpx_gt_u32_e32 8, v48
; %bb.69:                               ;   in Loop: Header=BB173_9 Depth=1
	s_delay_alu instid0(VALU_DEP_2) | instskip(NEXT) | instid1(VALU_DEP_1)
	v_clz_i32_u32_e32 v45, v22
	v_min_u32_e32 v45, 32, v45
	s_delay_alu instid0(VALU_DEP_1) | instskip(NEXT) | instid1(VALU_DEP_1)
	v_subrev_nc_u32_e32 v48, 28, v45
	v_lshlrev_b64_e32 v[48:49], v48, v[22:23]
	s_delay_alu instid0(VALU_DEP_1)
	v_dual_sub_nc_u32 v45, 29, v45 :: v_dual_bitop2_b32 v22, 7, v48 bitop3:0x40
; %bb.70:                               ;   in Loop: Header=BB173_9 Depth=1
	s_or_b32 exec_lo, exec_lo, s30
	s_delay_alu instid0(VALU_DEP_1) | instskip(NEXT) | instid1(VALU_DEP_2)
	v_dual_lshlrev_b32 v47, 24, v47 :: v_dual_lshlrev_b32 v22, 20, v22
	v_lshl_add_u32 v45, v45, 23, 0x3c000000
	s_delay_alu instid0(VALU_DEP_2) | instskip(NEXT) | instid1(VALU_DEP_1)
	v_and_b32_e32 v47, 0x80000000, v47
	v_or3_b32 v45, v22, v47, v45
.LBB173_71:                             ;   in Loop: Header=BB173_9 Depth=1
	s_or_b32 exec_lo, exec_lo, s29
.LBB173_72:                             ;   in Loop: Header=BB173_9 Depth=1
	s_delay_alu instid0(SALU_CYCLE_1)
	s_or_b32 exec_lo, exec_lo, s28
.LBB173_73:                             ;   in Loop: Header=BB173_9 Depth=1
	s_delay_alu instid0(SALU_CYCLE_1)
	s_or_b32 exec_lo, exec_lo, s27
	global_load_u8 v49, v[28:29], off offset:256
	v_dual_mov_b32 v47, 0 :: v_dual_mov_b32 v48, 0
	s_mov_b32 s27, exec_lo
	s_wait_loadcnt 0x0
	v_cmpx_ne_u16_e32 0, v49
	s_cbranch_execz .LBB173_81
; %bb.74:                               ;   in Loop: Header=BB173_9 Depth=1
	v_bfrev_b32_e32 v48, 1
	s_mov_b32 s28, exec_lo
	v_cmpx_ne_u16_e32 0x80, v49
	s_cbranch_execz .LBB173_80
; %bb.75:                               ;   in Loop: Header=BB173_9 Depth=1
	v_and_b32_e32 v22, 0xffff, v49
	v_mov_b32_e32 v48, 0x7f800001
	s_mov_b32 s29, exec_lo
	s_delay_alu instid0(VALU_DEP_2) | instskip(NEXT) | instid1(VALU_DEP_1)
	v_and_b32_e32 v50, 0x7f, v22
	v_cmpx_ne_u32_e32 0x7f, v50
	s_cbranch_execz .LBB173_79
; %bb.76:                               ;   in Loop: Header=BB173_9 Depth=1
	v_and_b32_e32 v22, 7, v22
	v_lshrrev_b32_e32 v48, 3, v50
	s_mov_b32 s30, exec_lo
	v_cmpx_gt_u32_e32 8, v50
; %bb.77:                               ;   in Loop: Header=BB173_9 Depth=1
	s_delay_alu instid0(VALU_DEP_3) | instskip(NEXT) | instid1(VALU_DEP_1)
	v_clz_i32_u32_e32 v48, v22
	v_min_u32_e32 v48, 32, v48
	s_delay_alu instid0(VALU_DEP_1) | instskip(NEXT) | instid1(VALU_DEP_1)
	v_subrev_nc_u32_e32 v50, 28, v48
	v_lshlrev_b64_e32 v[50:51], v50, v[22:23]
	s_delay_alu instid0(VALU_DEP_1)
	v_dual_sub_nc_u32 v48, 29, v48 :: v_dual_bitop2_b32 v22, 7, v50 bitop3:0x40
; %bb.78:                               ;   in Loop: Header=BB173_9 Depth=1
	s_or_b32 exec_lo, exec_lo, s30
	s_delay_alu instid0(VALU_DEP_1) | instskip(NEXT) | instid1(VALU_DEP_2)
	v_dual_lshlrev_b32 v49, 24, v49 :: v_dual_lshlrev_b32 v22, 20, v22
	v_lshl_add_u32 v48, v48, 23, 0x3c000000
	s_delay_alu instid0(VALU_DEP_2) | instskip(NEXT) | instid1(VALU_DEP_1)
	v_and_b32_e32 v49, 0x80000000, v49
	v_or3_b32 v48, v22, v49, v48
.LBB173_79:                             ;   in Loop: Header=BB173_9 Depth=1
	s_or_b32 exec_lo, exec_lo, s29
.LBB173_80:                             ;   in Loop: Header=BB173_9 Depth=1
	s_delay_alu instid0(SALU_CYCLE_1)
	s_or_b32 exec_lo, exec_lo, s28
.LBB173_81:                             ;   in Loop: Header=BB173_9 Depth=1
	s_delay_alu instid0(SALU_CYCLE_1)
	s_or_b32 exec_lo, exec_lo, s27
	global_load_u8 v49, v[28:29], off offset:260
	s_mov_b32 s27, exec_lo
	s_wait_loadcnt 0x0
	v_cmpx_ne_u16_e32 0, v49
	s_cbranch_execz .LBB173_89
; %bb.82:                               ;   in Loop: Header=BB173_9 Depth=1
	v_bfrev_b32_e32 v47, 1
	s_mov_b32 s28, exec_lo
	v_cmpx_ne_u16_e32 0x80, v49
	s_cbranch_execz .LBB173_88
; %bb.83:                               ;   in Loop: Header=BB173_9 Depth=1
	v_and_b32_e32 v22, 0xffff, v49
	v_mov_b32_e32 v47, 0x7f800001
	s_mov_b32 s29, exec_lo
	s_delay_alu instid0(VALU_DEP_2) | instskip(NEXT) | instid1(VALU_DEP_1)
	v_and_b32_e32 v50, 0x7f, v22
	v_cmpx_ne_u32_e32 0x7f, v50
	s_cbranch_execz .LBB173_87
; %bb.84:                               ;   in Loop: Header=BB173_9 Depth=1
	v_and_b32_e32 v22, 7, v22
	v_lshrrev_b32_e32 v47, 3, v50
	s_mov_b32 s30, exec_lo
	v_cmpx_gt_u32_e32 8, v50
; %bb.85:                               ;   in Loop: Header=BB173_9 Depth=1
	s_delay_alu instid0(VALU_DEP_3) | instskip(NEXT) | instid1(VALU_DEP_1)
	v_clz_i32_u32_e32 v47, v22
	v_min_u32_e32 v47, 32, v47
	s_delay_alu instid0(VALU_DEP_1) | instskip(NEXT) | instid1(VALU_DEP_1)
	v_subrev_nc_u32_e32 v50, 28, v47
	v_lshlrev_b64_e32 v[50:51], v50, v[22:23]
	s_delay_alu instid0(VALU_DEP_1)
	v_dual_sub_nc_u32 v47, 29, v47 :: v_dual_bitop2_b32 v22, 7, v50 bitop3:0x40
; %bb.86:                               ;   in Loop: Header=BB173_9 Depth=1
	s_or_b32 exec_lo, exec_lo, s30
	s_delay_alu instid0(VALU_DEP_1) | instskip(NEXT) | instid1(VALU_DEP_2)
	v_dual_lshlrev_b32 v49, 24, v49 :: v_dual_lshlrev_b32 v22, 20, v22
	v_lshl_add_u32 v47, v47, 23, 0x3c000000
	s_delay_alu instid0(VALU_DEP_2) | instskip(NEXT) | instid1(VALU_DEP_1)
	v_and_b32_e32 v49, 0x80000000, v49
	v_or3_b32 v47, v22, v49, v47
.LBB173_87:                             ;   in Loop: Header=BB173_9 Depth=1
	s_or_b32 exec_lo, exec_lo, s29
.LBB173_88:                             ;   in Loop: Header=BB173_9 Depth=1
	s_delay_alu instid0(SALU_CYCLE_1)
	s_or_b32 exec_lo, exec_lo, s28
.LBB173_89:                             ;   in Loop: Header=BB173_9 Depth=1
	s_delay_alu instid0(SALU_CYCLE_1)
	s_or_b32 exec_lo, exec_lo, s27
	global_load_u8 v51, v[28:29], off offset:264
	v_dual_mov_b32 v49, 0 :: v_dual_mov_b32 v50, 0
	s_mov_b32 s27, exec_lo
	s_wait_loadcnt 0x0
	v_cmpx_ne_u16_e32 0, v51
	s_cbranch_execz .LBB173_97
; %bb.90:                               ;   in Loop: Header=BB173_9 Depth=1
	v_bfrev_b32_e32 v50, 1
	s_mov_b32 s28, exec_lo
	v_cmpx_ne_u16_e32 0x80, v51
	s_cbranch_execz .LBB173_96
; %bb.91:                               ;   in Loop: Header=BB173_9 Depth=1
	v_and_b32_e32 v22, 0xffff, v51
	v_mov_b32_e32 v50, 0x7f800001
	s_mov_b32 s29, exec_lo
	s_delay_alu instid0(VALU_DEP_2) | instskip(NEXT) | instid1(VALU_DEP_1)
	v_and_b32_e32 v52, 0x7f, v22
	v_cmpx_ne_u32_e32 0x7f, v52
	s_cbranch_execz .LBB173_95
; %bb.92:                               ;   in Loop: Header=BB173_9 Depth=1
	v_dual_lshrrev_b32 v50, 3, v52 :: v_dual_bitop2_b32 v22, 7, v22 bitop3:0x40
	s_mov_b32 s30, exec_lo
	v_cmpx_gt_u32_e32 8, v52
; %bb.93:                               ;   in Loop: Header=BB173_9 Depth=1
	s_delay_alu instid0(VALU_DEP_2) | instskip(NEXT) | instid1(VALU_DEP_1)
	v_clz_i32_u32_e32 v50, v22
	v_min_u32_e32 v50, 32, v50
	s_delay_alu instid0(VALU_DEP_1) | instskip(NEXT) | instid1(VALU_DEP_1)
	v_subrev_nc_u32_e32 v52, 28, v50
	v_lshlrev_b64_e32 v[52:53], v52, v[22:23]
	s_delay_alu instid0(VALU_DEP_1)
	v_dual_sub_nc_u32 v50, 29, v50 :: v_dual_bitop2_b32 v22, 7, v52 bitop3:0x40
; %bb.94:                               ;   in Loop: Header=BB173_9 Depth=1
	s_or_b32 exec_lo, exec_lo, s30
	s_delay_alu instid0(VALU_DEP_1) | instskip(NEXT) | instid1(VALU_DEP_2)
	v_dual_lshlrev_b32 v51, 24, v51 :: v_dual_lshlrev_b32 v22, 20, v22
	v_lshl_add_u32 v50, v50, 23, 0x3c000000
	s_delay_alu instid0(VALU_DEP_2) | instskip(NEXT) | instid1(VALU_DEP_1)
	v_and_b32_e32 v51, 0x80000000, v51
	v_or3_b32 v50, v22, v51, v50
.LBB173_95:                             ;   in Loop: Header=BB173_9 Depth=1
	s_or_b32 exec_lo, exec_lo, s29
.LBB173_96:                             ;   in Loop: Header=BB173_9 Depth=1
	s_delay_alu instid0(SALU_CYCLE_1)
	s_or_b32 exec_lo, exec_lo, s28
.LBB173_97:                             ;   in Loop: Header=BB173_9 Depth=1
	s_delay_alu instid0(SALU_CYCLE_1)
	s_or_b32 exec_lo, exec_lo, s27
	global_load_u8 v51, v[28:29], off offset:268
	s_mov_b32 s27, exec_lo
	s_wait_loadcnt 0x0
	v_cmpx_ne_u16_e32 0, v51
	s_cbranch_execz .LBB173_105
; %bb.98:                               ;   in Loop: Header=BB173_9 Depth=1
	v_bfrev_b32_e32 v49, 1
	s_mov_b32 s28, exec_lo
	v_cmpx_ne_u16_e32 0x80, v51
	s_cbranch_execz .LBB173_104
; %bb.99:                               ;   in Loop: Header=BB173_9 Depth=1
	v_and_b32_e32 v22, 0xffff, v51
	v_mov_b32_e32 v49, 0x7f800001
	s_mov_b32 s29, exec_lo
	s_delay_alu instid0(VALU_DEP_2) | instskip(NEXT) | instid1(VALU_DEP_1)
	v_and_b32_e32 v52, 0x7f, v22
	v_cmpx_ne_u32_e32 0x7f, v52
	s_cbranch_execz .LBB173_103
; %bb.100:                              ;   in Loop: Header=BB173_9 Depth=1
	v_dual_lshrrev_b32 v49, 3, v52 :: v_dual_bitop2_b32 v22, 7, v22 bitop3:0x40
	s_mov_b32 s30, exec_lo
	v_cmpx_gt_u32_e32 8, v52
; %bb.101:                              ;   in Loop: Header=BB173_9 Depth=1
	s_delay_alu instid0(VALU_DEP_2) | instskip(NEXT) | instid1(VALU_DEP_1)
	v_clz_i32_u32_e32 v49, v22
	v_min_u32_e32 v49, 32, v49
	s_delay_alu instid0(VALU_DEP_1) | instskip(NEXT) | instid1(VALU_DEP_1)
	v_subrev_nc_u32_e32 v52, 28, v49
	v_lshlrev_b64_e32 v[52:53], v52, v[22:23]
	s_delay_alu instid0(VALU_DEP_1)
	v_dual_sub_nc_u32 v49, 29, v49 :: v_dual_bitop2_b32 v22, 7, v52 bitop3:0x40
; %bb.102:                              ;   in Loop: Header=BB173_9 Depth=1
	s_or_b32 exec_lo, exec_lo, s30
	s_delay_alu instid0(VALU_DEP_1) | instskip(NEXT) | instid1(VALU_DEP_2)
	v_dual_lshlrev_b32 v51, 24, v51 :: v_dual_lshlrev_b32 v22, 20, v22
	v_lshl_add_u32 v49, v49, 23, 0x3c000000
	s_delay_alu instid0(VALU_DEP_2) | instskip(NEXT) | instid1(VALU_DEP_1)
	v_and_b32_e32 v51, 0x80000000, v51
	v_or3_b32 v49, v22, v51, v49
.LBB173_103:                            ;   in Loop: Header=BB173_9 Depth=1
	s_or_b32 exec_lo, exec_lo, s29
.LBB173_104:                            ;   in Loop: Header=BB173_9 Depth=1
	s_delay_alu instid0(SALU_CYCLE_1)
	s_or_b32 exec_lo, exec_lo, s28
.LBB173_105:                            ;   in Loop: Header=BB173_9 Depth=1
	s_delay_alu instid0(SALU_CYCLE_1)
	s_or_b32 exec_lo, exec_lo, s27
	global_load_u8 v53, v[28:29], off offset:384
	v_dual_mov_b32 v51, 0 :: v_dual_mov_b32 v52, 0
	s_mov_b32 s27, exec_lo
	s_wait_loadcnt 0x0
	v_cmpx_ne_u16_e32 0, v53
	s_cbranch_execz .LBB173_113
; %bb.106:                              ;   in Loop: Header=BB173_9 Depth=1
	v_bfrev_b32_e32 v52, 1
	s_mov_b32 s28, exec_lo
	v_cmpx_ne_u16_e32 0x80, v53
	s_cbranch_execz .LBB173_112
; %bb.107:                              ;   in Loop: Header=BB173_9 Depth=1
	v_and_b32_e32 v22, 0xffff, v53
	v_mov_b32_e32 v52, 0x7f800001
	s_mov_b32 s29, exec_lo
	s_delay_alu instid0(VALU_DEP_2) | instskip(NEXT) | instid1(VALU_DEP_1)
	v_and_b32_e32 v54, 0x7f, v22
	v_cmpx_ne_u32_e32 0x7f, v54
	s_cbranch_execz .LBB173_111
; %bb.108:                              ;   in Loop: Header=BB173_9 Depth=1
	v_and_b32_e32 v22, 7, v22
	v_lshrrev_b32_e32 v52, 3, v54
	s_mov_b32 s30, exec_lo
	v_cmpx_gt_u32_e32 8, v54
; %bb.109:                              ;   in Loop: Header=BB173_9 Depth=1
	s_delay_alu instid0(VALU_DEP_3) | instskip(NEXT) | instid1(VALU_DEP_1)
	v_clz_i32_u32_e32 v52, v22
	v_min_u32_e32 v52, 32, v52
	s_delay_alu instid0(VALU_DEP_1) | instskip(NEXT) | instid1(VALU_DEP_1)
	v_subrev_nc_u32_e32 v54, 28, v52
	v_lshlrev_b64_e32 v[54:55], v54, v[22:23]
	s_delay_alu instid0(VALU_DEP_1)
	v_dual_sub_nc_u32 v52, 29, v52 :: v_dual_bitop2_b32 v22, 7, v54 bitop3:0x40
; %bb.110:                              ;   in Loop: Header=BB173_9 Depth=1
	s_or_b32 exec_lo, exec_lo, s30
	s_delay_alu instid0(VALU_DEP_1) | instskip(NEXT) | instid1(VALU_DEP_2)
	v_dual_lshlrev_b32 v53, 24, v53 :: v_dual_lshlrev_b32 v22, 20, v22
	v_lshl_add_u32 v52, v52, 23, 0x3c000000
	s_delay_alu instid0(VALU_DEP_2) | instskip(NEXT) | instid1(VALU_DEP_1)
	v_and_b32_e32 v53, 0x80000000, v53
	v_or3_b32 v52, v22, v53, v52
.LBB173_111:                            ;   in Loop: Header=BB173_9 Depth=1
	s_or_b32 exec_lo, exec_lo, s29
.LBB173_112:                            ;   in Loop: Header=BB173_9 Depth=1
	s_delay_alu instid0(SALU_CYCLE_1)
	s_or_b32 exec_lo, exec_lo, s28
.LBB173_113:                            ;   in Loop: Header=BB173_9 Depth=1
	s_delay_alu instid0(SALU_CYCLE_1)
	s_or_b32 exec_lo, exec_lo, s27
	global_load_u8 v53, v[28:29], off offset:388
	s_mov_b32 s27, exec_lo
	s_wait_loadcnt 0x0
	v_cmpx_ne_u16_e32 0, v53
	s_cbranch_execz .LBB173_121
; %bb.114:                              ;   in Loop: Header=BB173_9 Depth=1
	v_bfrev_b32_e32 v51, 1
	s_mov_b32 s28, exec_lo
	v_cmpx_ne_u16_e32 0x80, v53
	s_cbranch_execz .LBB173_120
; %bb.115:                              ;   in Loop: Header=BB173_9 Depth=1
	v_and_b32_e32 v22, 0xffff, v53
	v_mov_b32_e32 v51, 0x7f800001
	s_mov_b32 s29, exec_lo
	s_delay_alu instid0(VALU_DEP_2) | instskip(NEXT) | instid1(VALU_DEP_1)
	v_and_b32_e32 v54, 0x7f, v22
	v_cmpx_ne_u32_e32 0x7f, v54
	s_cbranch_execz .LBB173_119
; %bb.116:                              ;   in Loop: Header=BB173_9 Depth=1
	v_and_b32_e32 v22, 7, v22
	v_lshrrev_b32_e32 v51, 3, v54
	s_mov_b32 s30, exec_lo
	v_cmpx_gt_u32_e32 8, v54
; %bb.117:                              ;   in Loop: Header=BB173_9 Depth=1
	s_delay_alu instid0(VALU_DEP_3) | instskip(NEXT) | instid1(VALU_DEP_1)
	v_clz_i32_u32_e32 v51, v22
	v_min_u32_e32 v51, 32, v51
	s_delay_alu instid0(VALU_DEP_1) | instskip(NEXT) | instid1(VALU_DEP_1)
	v_subrev_nc_u32_e32 v54, 28, v51
	v_lshlrev_b64_e32 v[54:55], v54, v[22:23]
	s_delay_alu instid0(VALU_DEP_1)
	v_dual_sub_nc_u32 v51, 29, v51 :: v_dual_bitop2_b32 v22, 7, v54 bitop3:0x40
; %bb.118:                              ;   in Loop: Header=BB173_9 Depth=1
	s_or_b32 exec_lo, exec_lo, s30
	s_delay_alu instid0(VALU_DEP_1) | instskip(NEXT) | instid1(VALU_DEP_2)
	v_dual_lshlrev_b32 v53, 24, v53 :: v_dual_lshlrev_b32 v22, 20, v22
	v_lshl_add_u32 v51, v51, 23, 0x3c000000
	s_delay_alu instid0(VALU_DEP_2) | instskip(NEXT) | instid1(VALU_DEP_1)
	v_and_b32_e32 v53, 0x80000000, v53
	v_or3_b32 v51, v22, v53, v51
.LBB173_119:                            ;   in Loop: Header=BB173_9 Depth=1
	s_or_b32 exec_lo, exec_lo, s29
.LBB173_120:                            ;   in Loop: Header=BB173_9 Depth=1
	s_delay_alu instid0(SALU_CYCLE_1)
	s_or_b32 exec_lo, exec_lo, s28
.LBB173_121:                            ;   in Loop: Header=BB173_9 Depth=1
	s_delay_alu instid0(SALU_CYCLE_1)
	s_or_b32 exec_lo, exec_lo, s27
	global_load_u8 v55, v[28:29], off offset:392
	v_dual_mov_b32 v53, 0 :: v_dual_mov_b32 v54, 0
	s_mov_b32 s27, exec_lo
	s_wait_loadcnt 0x0
	v_cmpx_ne_u16_e32 0, v55
	s_cbranch_execz .LBB173_129
; %bb.122:                              ;   in Loop: Header=BB173_9 Depth=1
	v_bfrev_b32_e32 v54, 1
	s_mov_b32 s28, exec_lo
	v_cmpx_ne_u16_e32 0x80, v55
	s_cbranch_execz .LBB173_128
; %bb.123:                              ;   in Loop: Header=BB173_9 Depth=1
	v_and_b32_e32 v22, 0xffff, v55
	v_mov_b32_e32 v54, 0x7f800001
	s_mov_b32 s29, exec_lo
	s_delay_alu instid0(VALU_DEP_2) | instskip(NEXT) | instid1(VALU_DEP_1)
	v_and_b32_e32 v56, 0x7f, v22
	v_cmpx_ne_u32_e32 0x7f, v56
	s_cbranch_execz .LBB173_127
; %bb.124:                              ;   in Loop: Header=BB173_9 Depth=1
	v_dual_lshrrev_b32 v54, 3, v56 :: v_dual_bitop2_b32 v22, 7, v22 bitop3:0x40
	s_mov_b32 s30, exec_lo
	v_cmpx_gt_u32_e32 8, v56
; %bb.125:                              ;   in Loop: Header=BB173_9 Depth=1
	s_delay_alu instid0(VALU_DEP_2) | instskip(NEXT) | instid1(VALU_DEP_1)
	v_clz_i32_u32_e32 v54, v22
	v_min_u32_e32 v54, 32, v54
	s_delay_alu instid0(VALU_DEP_1) | instskip(NEXT) | instid1(VALU_DEP_1)
	v_subrev_nc_u32_e32 v56, 28, v54
	v_lshlrev_b64_e32 v[56:57], v56, v[22:23]
	s_delay_alu instid0(VALU_DEP_1)
	v_dual_sub_nc_u32 v54, 29, v54 :: v_dual_bitop2_b32 v22, 7, v56 bitop3:0x40
; %bb.126:                              ;   in Loop: Header=BB173_9 Depth=1
	s_or_b32 exec_lo, exec_lo, s30
	s_delay_alu instid0(VALU_DEP_1) | instskip(NEXT) | instid1(VALU_DEP_2)
	v_dual_lshlrev_b32 v55, 24, v55 :: v_dual_lshlrev_b32 v22, 20, v22
	v_lshl_add_u32 v54, v54, 23, 0x3c000000
	s_delay_alu instid0(VALU_DEP_2) | instskip(NEXT) | instid1(VALU_DEP_1)
	v_and_b32_e32 v55, 0x80000000, v55
	v_or3_b32 v54, v22, v55, v54
.LBB173_127:                            ;   in Loop: Header=BB173_9 Depth=1
	s_or_b32 exec_lo, exec_lo, s29
.LBB173_128:                            ;   in Loop: Header=BB173_9 Depth=1
	s_delay_alu instid0(SALU_CYCLE_1)
	s_or_b32 exec_lo, exec_lo, s28
.LBB173_129:                            ;   in Loop: Header=BB173_9 Depth=1
	s_delay_alu instid0(SALU_CYCLE_1)
	s_or_b32 exec_lo, exec_lo, s27
	global_load_u8 v55, v[28:29], off offset:396
	s_mov_b32 s27, exec_lo
	s_wait_loadcnt 0x0
	v_cmpx_ne_u16_e32 0, v55
	s_cbranch_execz .LBB173_137
; %bb.130:                              ;   in Loop: Header=BB173_9 Depth=1
	v_bfrev_b32_e32 v53, 1
	s_mov_b32 s28, exec_lo
	v_cmpx_ne_u16_e32 0x80, v55
	s_cbranch_execz .LBB173_136
; %bb.131:                              ;   in Loop: Header=BB173_9 Depth=1
	v_and_b32_e32 v22, 0xffff, v55
	v_mov_b32_e32 v53, 0x7f800001
	s_mov_b32 s29, exec_lo
	s_delay_alu instid0(VALU_DEP_2) | instskip(NEXT) | instid1(VALU_DEP_1)
	v_and_b32_e32 v56, 0x7f, v22
	v_cmpx_ne_u32_e32 0x7f, v56
	s_cbranch_execz .LBB173_135
; %bb.132:                              ;   in Loop: Header=BB173_9 Depth=1
	v_dual_lshrrev_b32 v53, 3, v56 :: v_dual_bitop2_b32 v22, 7, v22 bitop3:0x40
	s_mov_b32 s30, exec_lo
	v_cmpx_gt_u32_e32 8, v56
; %bb.133:                              ;   in Loop: Header=BB173_9 Depth=1
	s_delay_alu instid0(VALU_DEP_2) | instskip(NEXT) | instid1(VALU_DEP_1)
	v_clz_i32_u32_e32 v53, v22
	v_min_u32_e32 v53, 32, v53
	s_delay_alu instid0(VALU_DEP_1) | instskip(NEXT) | instid1(VALU_DEP_1)
	v_subrev_nc_u32_e32 v56, 28, v53
	v_lshlrev_b64_e32 v[56:57], v56, v[22:23]
	s_delay_alu instid0(VALU_DEP_1)
	v_dual_sub_nc_u32 v53, 29, v53 :: v_dual_bitop2_b32 v22, 7, v56 bitop3:0x40
; %bb.134:                              ;   in Loop: Header=BB173_9 Depth=1
	s_or_b32 exec_lo, exec_lo, s30
	s_delay_alu instid0(VALU_DEP_1) | instskip(NEXT) | instid1(VALU_DEP_2)
	v_dual_lshlrev_b32 v55, 24, v55 :: v_dual_lshlrev_b32 v22, 20, v22
	v_lshl_add_u32 v53, v53, 23, 0x3c000000
	s_delay_alu instid0(VALU_DEP_2) | instskip(NEXT) | instid1(VALU_DEP_1)
	v_and_b32_e32 v55, 0x80000000, v55
	v_or3_b32 v53, v22, v55, v53
.LBB173_135:                            ;   in Loop: Header=BB173_9 Depth=1
	s_or_b32 exec_lo, exec_lo, s29
.LBB173_136:                            ;   in Loop: Header=BB173_9 Depth=1
	s_delay_alu instid0(SALU_CYCLE_1)
	s_or_b32 exec_lo, exec_lo, s28
.LBB173_137:                            ;   in Loop: Header=BB173_9 Depth=1
	s_delay_alu instid0(SALU_CYCLE_1)
	s_or_b32 exec_lo, exec_lo, s27
	global_load_u8 v57, v[28:29], off offset:512
	v_dual_mov_b32 v55, 0 :: v_dual_mov_b32 v56, 0
	s_mov_b32 s27, exec_lo
	s_wait_loadcnt 0x0
	v_cmpx_ne_u16_e32 0, v57
	s_cbranch_execz .LBB173_145
; %bb.138:                              ;   in Loop: Header=BB173_9 Depth=1
	v_bfrev_b32_e32 v56, 1
	s_mov_b32 s28, exec_lo
	v_cmpx_ne_u16_e32 0x80, v57
	s_cbranch_execz .LBB173_144
; %bb.139:                              ;   in Loop: Header=BB173_9 Depth=1
	v_and_b32_e32 v22, 0xffff, v57
	v_mov_b32_e32 v56, 0x7f800001
	s_mov_b32 s29, exec_lo
	s_delay_alu instid0(VALU_DEP_2) | instskip(NEXT) | instid1(VALU_DEP_1)
	v_and_b32_e32 v58, 0x7f, v22
	v_cmpx_ne_u32_e32 0x7f, v58
	s_cbranch_execz .LBB173_143
; %bb.140:                              ;   in Loop: Header=BB173_9 Depth=1
	v_and_b32_e32 v22, 7, v22
	v_lshrrev_b32_e32 v56, 3, v58
	s_mov_b32 s30, exec_lo
	v_cmpx_gt_u32_e32 8, v58
; %bb.141:                              ;   in Loop: Header=BB173_9 Depth=1
	s_delay_alu instid0(VALU_DEP_3) | instskip(NEXT) | instid1(VALU_DEP_1)
	v_clz_i32_u32_e32 v56, v22
	v_min_u32_e32 v56, 32, v56
	s_delay_alu instid0(VALU_DEP_1) | instskip(NEXT) | instid1(VALU_DEP_1)
	v_subrev_nc_u32_e32 v58, 28, v56
	v_lshlrev_b64_e32 v[58:59], v58, v[22:23]
	s_delay_alu instid0(VALU_DEP_1)
	v_dual_sub_nc_u32 v56, 29, v56 :: v_dual_bitop2_b32 v22, 7, v58 bitop3:0x40
; %bb.142:                              ;   in Loop: Header=BB173_9 Depth=1
	s_or_b32 exec_lo, exec_lo, s30
	s_delay_alu instid0(VALU_DEP_1) | instskip(NEXT) | instid1(VALU_DEP_2)
	v_dual_lshlrev_b32 v57, 24, v57 :: v_dual_lshlrev_b32 v22, 20, v22
	v_lshl_add_u32 v56, v56, 23, 0x3c000000
	s_delay_alu instid0(VALU_DEP_2) | instskip(NEXT) | instid1(VALU_DEP_1)
	v_and_b32_e32 v57, 0x80000000, v57
	v_or3_b32 v56, v22, v57, v56
.LBB173_143:                            ;   in Loop: Header=BB173_9 Depth=1
	s_or_b32 exec_lo, exec_lo, s29
.LBB173_144:                            ;   in Loop: Header=BB173_9 Depth=1
	s_delay_alu instid0(SALU_CYCLE_1)
	s_or_b32 exec_lo, exec_lo, s28
.LBB173_145:                            ;   in Loop: Header=BB173_9 Depth=1
	s_delay_alu instid0(SALU_CYCLE_1)
	s_or_b32 exec_lo, exec_lo, s27
	global_load_u8 v57, v[28:29], off offset:516
	s_mov_b32 s27, exec_lo
	s_wait_loadcnt 0x0
	v_cmpx_ne_u16_e32 0, v57
	s_cbranch_execz .LBB173_153
; %bb.146:                              ;   in Loop: Header=BB173_9 Depth=1
	v_bfrev_b32_e32 v55, 1
	s_mov_b32 s28, exec_lo
	v_cmpx_ne_u16_e32 0x80, v57
	s_cbranch_execz .LBB173_152
; %bb.147:                              ;   in Loop: Header=BB173_9 Depth=1
	v_and_b32_e32 v22, 0xffff, v57
	v_mov_b32_e32 v55, 0x7f800001
	s_mov_b32 s29, exec_lo
	s_delay_alu instid0(VALU_DEP_2) | instskip(NEXT) | instid1(VALU_DEP_1)
	v_and_b32_e32 v58, 0x7f, v22
	v_cmpx_ne_u32_e32 0x7f, v58
	s_cbranch_execz .LBB173_151
; %bb.148:                              ;   in Loop: Header=BB173_9 Depth=1
	v_and_b32_e32 v22, 7, v22
	v_lshrrev_b32_e32 v55, 3, v58
	s_mov_b32 s30, exec_lo
	v_cmpx_gt_u32_e32 8, v58
; %bb.149:                              ;   in Loop: Header=BB173_9 Depth=1
	s_delay_alu instid0(VALU_DEP_3) | instskip(NEXT) | instid1(VALU_DEP_1)
	v_clz_i32_u32_e32 v55, v22
	v_min_u32_e32 v55, 32, v55
	s_delay_alu instid0(VALU_DEP_1) | instskip(NEXT) | instid1(VALU_DEP_1)
	v_subrev_nc_u32_e32 v58, 28, v55
	v_lshlrev_b64_e32 v[58:59], v58, v[22:23]
	s_delay_alu instid0(VALU_DEP_1)
	v_dual_sub_nc_u32 v55, 29, v55 :: v_dual_bitop2_b32 v22, 7, v58 bitop3:0x40
; %bb.150:                              ;   in Loop: Header=BB173_9 Depth=1
	s_or_b32 exec_lo, exec_lo, s30
	s_delay_alu instid0(VALU_DEP_1) | instskip(NEXT) | instid1(VALU_DEP_2)
	v_dual_lshlrev_b32 v57, 24, v57 :: v_dual_lshlrev_b32 v22, 20, v22
	v_lshl_add_u32 v55, v55, 23, 0x3c000000
	s_delay_alu instid0(VALU_DEP_2) | instskip(NEXT) | instid1(VALU_DEP_1)
	v_and_b32_e32 v57, 0x80000000, v57
	v_or3_b32 v55, v22, v57, v55
.LBB173_151:                            ;   in Loop: Header=BB173_9 Depth=1
	s_or_b32 exec_lo, exec_lo, s29
.LBB173_152:                            ;   in Loop: Header=BB173_9 Depth=1
	s_delay_alu instid0(SALU_CYCLE_1)
	s_or_b32 exec_lo, exec_lo, s28
.LBB173_153:                            ;   in Loop: Header=BB173_9 Depth=1
	s_delay_alu instid0(SALU_CYCLE_1)
	s_or_b32 exec_lo, exec_lo, s27
	global_load_u8 v59, v[28:29], off offset:520
	v_dual_mov_b32 v57, 0 :: v_dual_mov_b32 v58, 0
	s_mov_b32 s27, exec_lo
	s_wait_loadcnt 0x0
	v_cmpx_ne_u16_e32 0, v59
	s_cbranch_execz .LBB173_161
; %bb.154:                              ;   in Loop: Header=BB173_9 Depth=1
	v_bfrev_b32_e32 v58, 1
	s_mov_b32 s28, exec_lo
	v_cmpx_ne_u16_e32 0x80, v59
	s_cbranch_execz .LBB173_160
; %bb.155:                              ;   in Loop: Header=BB173_9 Depth=1
	v_and_b32_e32 v22, 0xffff, v59
	v_mov_b32_e32 v58, 0x7f800001
	s_mov_b32 s29, exec_lo
	s_delay_alu instid0(VALU_DEP_2) | instskip(NEXT) | instid1(VALU_DEP_1)
	v_and_b32_e32 v60, 0x7f, v22
	v_cmpx_ne_u32_e32 0x7f, v60
	s_cbranch_execz .LBB173_159
; %bb.156:                              ;   in Loop: Header=BB173_9 Depth=1
	v_dual_lshrrev_b32 v58, 3, v60 :: v_dual_bitop2_b32 v22, 7, v22 bitop3:0x40
	s_mov_b32 s30, exec_lo
	v_cmpx_gt_u32_e32 8, v60
; %bb.157:                              ;   in Loop: Header=BB173_9 Depth=1
	s_delay_alu instid0(VALU_DEP_2) | instskip(NEXT) | instid1(VALU_DEP_1)
	v_clz_i32_u32_e32 v58, v22
	v_min_u32_e32 v58, 32, v58
	s_delay_alu instid0(VALU_DEP_1) | instskip(NEXT) | instid1(VALU_DEP_1)
	v_subrev_nc_u32_e32 v60, 28, v58
	v_lshlrev_b64_e32 v[60:61], v60, v[22:23]
	s_delay_alu instid0(VALU_DEP_1)
	v_dual_sub_nc_u32 v58, 29, v58 :: v_dual_bitop2_b32 v22, 7, v60 bitop3:0x40
; %bb.158:                              ;   in Loop: Header=BB173_9 Depth=1
	s_or_b32 exec_lo, exec_lo, s30
	s_delay_alu instid0(VALU_DEP_1) | instskip(NEXT) | instid1(VALU_DEP_2)
	v_dual_lshlrev_b32 v59, 24, v59 :: v_dual_lshlrev_b32 v22, 20, v22
	v_lshl_add_u32 v58, v58, 23, 0x3c000000
	s_delay_alu instid0(VALU_DEP_2) | instskip(NEXT) | instid1(VALU_DEP_1)
	v_and_b32_e32 v59, 0x80000000, v59
	v_or3_b32 v58, v22, v59, v58
.LBB173_159:                            ;   in Loop: Header=BB173_9 Depth=1
	s_or_b32 exec_lo, exec_lo, s29
.LBB173_160:                            ;   in Loop: Header=BB173_9 Depth=1
	s_delay_alu instid0(SALU_CYCLE_1)
	s_or_b32 exec_lo, exec_lo, s28
.LBB173_161:                            ;   in Loop: Header=BB173_9 Depth=1
	s_delay_alu instid0(SALU_CYCLE_1)
	s_or_b32 exec_lo, exec_lo, s27
	global_load_u8 v28, v[28:29], off offset:524
	s_mov_b32 s27, exec_lo
	s_wait_loadcnt 0x0
	v_cmpx_ne_u16_e32 0, v28
	s_cbranch_execz .LBB173_169
; %bb.162:                              ;   in Loop: Header=BB173_9 Depth=1
	v_bfrev_b32_e32 v57, 1
	s_mov_b32 s28, exec_lo
	v_cmpx_ne_u16_e32 0x80, v28
	s_cbranch_execz .LBB173_168
; %bb.163:                              ;   in Loop: Header=BB173_9 Depth=1
	v_and_b32_e32 v22, 0xffff, v28
	v_mov_b32_e32 v57, 0x7f800001
	s_mov_b32 s29, exec_lo
	s_delay_alu instid0(VALU_DEP_2) | instskip(NEXT) | instid1(VALU_DEP_1)
	v_and_b32_e32 v59, 0x7f, v22
	v_cmpx_ne_u32_e32 0x7f, v59
	s_cbranch_execz .LBB173_167
; %bb.164:                              ;   in Loop: Header=BB173_9 Depth=1
	v_dual_lshrrev_b32 v29, 3, v59 :: v_dual_bitop2_b32 v22, 7, v22 bitop3:0x40
	s_mov_b32 s30, exec_lo
	v_cmpx_gt_u32_e32 8, v59
; %bb.165:                              ;   in Loop: Header=BB173_9 Depth=1
	s_delay_alu instid0(VALU_DEP_2) | instskip(NEXT) | instid1(VALU_DEP_1)
	v_clz_i32_u32_e32 v29, v22
	v_min_u32_e32 v29, 32, v29
	s_delay_alu instid0(VALU_DEP_1) | instskip(NEXT) | instid1(VALU_DEP_1)
	v_subrev_nc_u32_e32 v57, 28, v29
	v_lshlrev_b64_e32 v[60:61], v57, v[22:23]
	s_delay_alu instid0(VALU_DEP_1)
	v_dual_sub_nc_u32 v29, 29, v29 :: v_dual_bitop2_b32 v22, 7, v60 bitop3:0x40
; %bb.166:                              ;   in Loop: Header=BB173_9 Depth=1
	s_or_b32 exec_lo, exec_lo, s30
	s_delay_alu instid0(VALU_DEP_1) | instskip(NEXT) | instid1(VALU_DEP_2)
	v_dual_lshlrev_b32 v28, 24, v28 :: v_dual_lshlrev_b32 v22, 20, v22
	v_lshl_add_u32 v29, v29, 23, 0x3c000000
	s_delay_alu instid0(VALU_DEP_2) | instskip(NEXT) | instid1(VALU_DEP_1)
	v_and_b32_e32 v28, 0x80000000, v28
	v_or3_b32 v57, v22, v28, v29
.LBB173_167:                            ;   in Loop: Header=BB173_9 Depth=1
	s_or_b32 exec_lo, exec_lo, s29
.LBB173_168:                            ;   in Loop: Header=BB173_9 Depth=1
	s_delay_alu instid0(SALU_CYCLE_1)
	s_or_b32 exec_lo, exec_lo, s28
.LBB173_169:                            ;   in Loop: Header=BB173_9 Depth=1
	s_delay_alu instid0(SALU_CYCLE_1) | instskip(SKIP_3) | instid1(VALU_DEP_1)
	s_or_b32 exec_lo, exec_lo, s27
	s_wait_kmcnt 0x0
	v_dual_mul_f32 v22, s5, v39 :: v_dual_mul_f32 v28, s5, v40
	s_wait_dscnt 0x4
	v_mul_f32_e32 v22, v3, v22
	s_delay_alu instid0(VALU_DEP_1) | instskip(SKIP_1) | instid1(VALU_DEP_2)
	v_dual_mul_f32 v29, s5, v42 :: v_dual_fmac_f32 v22, v2, v28
	v_mul_f32_e32 v28, s5, v41
	v_dual_fmac_f32 v22, v4, v29 :: v_dual_mul_f32 v29, s5, v44
	s_delay_alu instid0(VALU_DEP_1) | instskip(SKIP_1) | instid1(VALU_DEP_1)
	v_dual_fmac_f32 v22, v5, v28 :: v_dual_mul_f32 v28, s5, v43
	s_wait_dscnt 0x3
	v_dual_fmac_f32 v22, v6, v29 :: v_dual_mul_f32 v29, s5, v46
	s_delay_alu instid0(VALU_DEP_1) | instskip(NEXT) | instid1(VALU_DEP_1)
	v_dual_fmac_f32 v22, v7, v28 :: v_dual_mul_f32 v28, s5, v45
	v_dual_fmac_f32 v22, v8, v29 :: v_dual_mul_f32 v29, s5, v48
	s_delay_alu instid0(VALU_DEP_1) | instskip(SKIP_1) | instid1(VALU_DEP_1)
	v_dual_fmac_f32 v22, v9, v28 :: v_dual_mul_f32 v28, s5, v47
	s_wait_dscnt 0x2
	v_dual_fmac_f32 v22, v10, v29 :: v_dual_mul_f32 v29, s5, v50
	s_delay_alu instid0(VALU_DEP_1) | instskip(NEXT) | instid1(VALU_DEP_1)
	v_dual_fmac_f32 v22, v11, v28 :: v_dual_mul_f32 v28, s5, v49
	;; [unrolled: 7-line block ×4, first 2 shown]
	v_fmac_f32_e32 v22, v20, v29
	s_delay_alu instid0(VALU_DEP_1)
	v_fmac_f32_e32 v22, v21, v28
	ds_bpermute_b32 v28, v34, v22
	s_wait_dscnt 0x0
	v_add_f32_e32 v22, v22, v28
	ds_bpermute_b32 v28, v35, v22
	s_and_saveexec_b32 s27, vcc_lo
	s_cbranch_execz .LBB173_8
; %bb.170:                              ;   in Loop: Header=BB173_9 Depth=1
	s_wait_dscnt 0x0
	v_add_f32_e32 v22, v22, v28
	v_add_nc_u32_e32 v29, s26, v36
	v_cmp_gt_i32_e64 s4, s23, v36
	s_delay_alu instid0(VALU_DEP_2) | instskip(NEXT) | instid1(VALU_DEP_1)
	v_cvt_f32_i32_e32 v29, v29
	v_mul_f32_e32 v29, s18, v29
	s_delay_alu instid0(VALU_DEP_1) | instskip(NEXT) | instid1(VALU_DEP_1)
	v_cndmask_b32_e64 v28, 0, v29, s3
	v_dual_max_num_f32 v29, v33, v33 :: v_dual_fmac_f32 v28, s19, v22
	s_delay_alu instid0(VALU_DEP_1) | instskip(NEXT) | instid1(VALU_DEP_1)
	v_dual_max_num_f32 v22, v29, v28 :: v_dual_cndmask_b32 v28, 0, v28, s4
	v_cndmask_b32_e64 v33, v33, v22, s4
	ds_store_b32 v37, v28
	s_branch .LBB173_8
.LBB173_171:
	s_or_b32 exec_lo, exec_lo, s11
.LBB173_172:
	s_delay_alu instid0(SALU_CYCLE_1)
	s_or_b32 exec_lo, exec_lo, s24
	v_dual_max_num_f32 v5, v33, v33 :: v_dual_bitop2_b32 v2, 16, v31 bitop3:0x14
	s_wait_kmcnt 0x0
	s_clause 0x1
	s_load_b64 s[4:5], s[0:1], 0x0
	s_load_b64 s[18:19], s[0:1], 0x18
	v_and_b32_e32 v40, 31, v0
	v_xor_b32_e32 v4, 8, v31
	v_cmp_lt_i32_e32 vcc_lo, v2, v32
	v_cndmask_b32_e32 v2, v31, v2, vcc_lo
	s_delay_alu instid0(VALU_DEP_3) | instskip(NEXT) | instid1(VALU_DEP_2)
	v_cmp_lt_i32_e32 vcc_lo, v4, v32
	v_dual_lshlrev_b32 v2, 2, v2 :: v_dual_cndmask_b32 v4, v31, v4, vcc_lo
	ds_bpermute_b32 v3, v2, v33
	s_wait_dscnt 0x0
	v_dual_max_num_f32 v6, v3, v3 :: v_dual_lshlrev_b32 v3, 2, v4
	s_delay_alu instid0(VALU_DEP_1) | instskip(SKIP_4) | instid1(VALU_DEP_1)
	v_dual_max_num_f32 v4, v5, v6 :: v_dual_bitop2_b32 v6, 4, v31 bitop3:0x14
	ds_bpermute_b32 v5, v3, v4
	v_cmp_lt_i32_e32 vcc_lo, v6, v32
	v_cndmask_b32_e32 v6, v31, v6, vcc_lo
	s_wait_dscnt 0x0
	v_dual_max_num_f32 v5, v5, v5 :: v_dual_lshlrev_b32 v6, 2, v6
	s_delay_alu instid0(VALU_DEP_1)
	v_max_num_f32_e32 v5, v4, v5
	v_lshlrev_b32_e32 v4, 2, v1
	v_cmp_eq_u32_e32 vcc_lo, 0, v40
	ds_bpermute_b32 v7, v6, v5
	s_wait_xcnt 0x0
	s_and_saveexec_b32 s0, vcc_lo
	s_cbranch_execz .LBB173_174
; %bb.173:
	s_wait_dscnt 0x0
	v_dual_max_num_f32 v7, v7, v7 :: v_dual_max_num_f32 v5, v5, v5
	s_delay_alu instid0(VALU_DEP_1)
	v_max_num_f32_e32 v5, v5, v7
	ds_store_b32 v4, v5 offset:320
.LBB173_174:
	s_or_b32 exec_lo, exec_lo, s0
	v_cmp_gt_u32_e64 s0, 4, v40
	v_dual_mov_b32 v8, 0xff7fffff :: v_dual_lshlrev_b32 v5, 2, v40
	s_wait_dscnt 0x0
	s_barrier_signal -1
	s_barrier_wait -1
	s_and_saveexec_b32 s1, s0
; %bb.175:
	ds_load_b32 v8, v5 offset:320
; %bb.176:
	s_or_b32 exec_lo, exec_lo, s1
	v_xor_b32_e32 v7, 2, v31
	v_xor_b32_e32 v10, 1, v31
	s_delay_alu instid0(VALU_DEP_2) | instskip(NEXT) | instid1(VALU_DEP_1)
	v_cmp_lt_i32_e64 s1, v7, v32
	v_cndmask_b32_e64 v7, v31, v7, s1
	s_delay_alu instid0(VALU_DEP_3) | instskip(NEXT) | instid1(VALU_DEP_1)
	v_cmp_lt_i32_e64 s1, v10, v32
	v_dual_cndmask_b32 v10, v31, v10, s1 :: v_dual_lshlrev_b32 v7, 2, v7
	s_lshl_b32 s1, s13, 3
	s_delay_alu instid0(SALU_CYCLE_1) | instskip(NEXT) | instid1(VALU_DEP_1)
	s_min_i32 s11, s1, s23
	v_lshlrev_b32_e32 v41, 2, v10
	s_wait_dscnt 0x0
	ds_bpermute_b32 v9, v7, v8
	v_max_num_f32_e32 v8, v8, v8
	v_cmp_gt_i32_e64 s1, s11, v0
	s_wait_dscnt 0x0
	v_max_num_f32_e32 v9, v9, v9
	s_delay_alu instid0(VALU_DEP_1) | instskip(SKIP_3) | instid1(VALU_DEP_1)
	v_max_num_f32_e32 v8, v8, v9
	ds_bpermute_b32 v9, v41, v8
	s_wait_dscnt 0x0
	v_max_num_f32_e32 v9, v9, v9
	v_dual_max_num_f32 v8, v8, v9 :: v_dual_lshlrev_b32 v9, 2, v23
	ds_bpermute_b32 v9, v9, v8
	v_mov_b32_e32 v8, 0
	s_and_saveexec_b32 s24, s1
	s_cbranch_execz .LBB173_180
; %bb.177:
	v_lshl_add_u32 v10, v0, 2, 0x160
	v_dual_mov_b32 v8, 0 :: v_dual_mov_b32 v11, v0
	s_mov_b32 s25, 0
.LBB173_178:                            ; =>This Inner Loop Header: Depth=1
	ds_load_b32 v12, v10
	v_add_nc_u32_e32 v11, 0x80, v11
	s_delay_alu instid0(VALU_DEP_1) | instskip(SKIP_3) | instid1(VALU_DEP_1)
	v_cmp_le_i32_e64 s3, s11, v11
	s_or_b32 s25, s3, s25
	s_wait_dscnt 0x0
	v_sub_f32_e32 v12, v12, v9
	v_mul_f32_e32 v12, 0x3fb8aa3b, v12
	s_delay_alu instid0(VALU_DEP_1)
	v_exp_f32_e32 v12, v12
	ds_store_b32 v10, v12
	v_nop
	v_add_f32_e32 v8, v8, v12
	v_add_nc_u32_e32 v10, 0x200, v10
	s_and_not1_b32 exec_lo, exec_lo, s25
	s_cbranch_execnz .LBB173_178
; %bb.179:
	s_or_b32 exec_lo, exec_lo, s25
.LBB173_180:
	s_delay_alu instid0(SALU_CYCLE_1)
	s_or_b32 exec_lo, exec_lo, s24
	ds_bpermute_b32 v2, v2, v8
	s_wait_dscnt 0x0
	v_add_f32_e32 v2, v8, v2
	ds_bpermute_b32 v3, v3, v2
	s_wait_dscnt 0x0
	v_add_f32_e32 v2, v2, v3
	ds_bpermute_b32 v3, v6, v2
	s_wait_dscnt 0x0
	v_add_f32_e32 v2, v2, v3
	ds_bpermute_b32 v3, v7, v2
	s_wait_dscnt 0x0
	v_add_f32_e32 v2, v2, v3
	ds_bpermute_b32 v3, v41, v2
	s_wait_dscnt 0x0
	v_add_f32_e32 v2, v2, v3
	s_and_saveexec_b32 s3, vcc_lo
; %bb.181:
	ds_store_b32 v4, v2 offset:336
; %bb.182:
	s_or_b32 exec_lo, exec_lo, s3
	s_wait_dscnt 0x0
	s_barrier_signal -1
	s_barrier_wait -1
	s_and_saveexec_b32 s3, s0
; %bb.183:
	ds_load_b32 v2, v5 offset:336
; %bb.184:
	s_or_b32 exec_lo, exec_lo, s3
	s_wait_dscnt 0x0
	ds_bpermute_b32 v3, v7, v2
	v_lshlrev_b32_e32 v4, 2, v31
	s_wait_dscnt 0x0
	v_add_f32_e32 v2, v2, v3
	ds_bpermute_b32 v3, v41, v2
	s_wait_dscnt 0x0
	v_add_f32_e32 v2, v2, v3
	v_and_b32_e32 v3, 0xffffff80, v4
	ds_bpermute_b32 v2, v3, v2
	s_and_saveexec_b32 s0, s1
	s_cbranch_execz .LBB173_197
; %bb.185:
	s_wait_dscnt 0x0
	v_add_f32_e32 v2, 0x358637bd, v2
	s_mov_b32 s3, -1
	s_mov_b32 s1, exec_lo
	s_delay_alu instid0(VALU_DEP_1) | instskip(NEXT) | instid1(VALU_DEP_1)
	v_div_scale_f32 v3, null, v2, v2, 1.0
	v_rcp_f32_e32 v5, v3
	v_nop
	s_delay_alu instid0(TRANS32_DEP_1) | instskip(NEXT) | instid1(VALU_DEP_1)
	v_fma_f32 v4, -v3, v5, 1.0
	v_fmac_f32_e32 v5, v4, v5
	v_div_scale_f32 v6, vcc_lo, 1.0, v2, 1.0
	s_delay_alu instid0(VALU_DEP_1) | instskip(NEXT) | instid1(VALU_DEP_1)
	v_mul_f32_e32 v7, v6, v5
	v_fma_f32 v4, -v3, v7, v6
	s_delay_alu instid0(VALU_DEP_1) | instskip(SKIP_1) | instid1(VALU_DEP_2)
	v_fmac_f32_e32 v7, v4, v5
	v_xad_u32 v4, v0, -1, s11
	v_fma_f32 v3, -v3, v7, v6
	s_delay_alu instid0(VALU_DEP_1) | instskip(NEXT) | instid1(VALU_DEP_1)
	v_div_fmas_f32 v3, v3, v5, v7
	v_div_fixup_f32 v2, v3, v2, 1.0
	v_mov_b32_e32 v3, v0
	v_cmpx_lt_u32_e32 0x7f, v4
	s_cbranch_execz .LBB173_194
; %bb.186:
	s_delay_alu instid0(VALU_DEP_3) | instskip(NEXT) | instid1(VALU_DEP_1)
	v_dual_mov_b32 v3, v2 :: v_dual_lshrrev_b32 v4, 7, v4
	v_dual_mov_b32 v8, 0 :: v_dual_add_nc_u32 v5, -1, v4
	s_delay_alu instid0(VALU_DEP_1) | instskip(SKIP_1) | instid1(VALU_DEP_2)
	v_lshrrev_b32_e32 v6, 1, v5
	v_cmp_lt_u32_e32 vcc_lo, 13, v5
	v_add_nc_u32_e32 v5, 1, v6
	s_and_saveexec_b32 s3, vcc_lo
	s_cbranch_execz .LBB173_190
; %bb.187:
	s_delay_alu instid0(VALU_DEP_1)
	v_and_b32_e32 v6, -8, v5
	v_lshl_add_u32 v7, v0, 2, 0x160
	s_mov_b32 s24, 0
	s_mov_b32 s25, 0
.LBB173_188:                            ; =>This Inner Loop Header: Depth=1
	ds_load_2addr_stride64_b32 v[8:9], v7 offset1:2
	ds_load_2addr_stride64_b32 v[10:11], v7 offset0:4 offset1:6
	ds_load_2addr_stride64_b32 v[12:13], v7 offset0:8 offset1:10
	;; [unrolled: 1-line block ×7, first 2 shown]
	s_add_co_i32 s25, s25, 16
	v_add_nc_u32_e32 v6, -8, v6
	s_wait_dscnt 0x7
	v_pk_mul_f32 v[8:9], v[2:3], v[8:9]
	s_wait_dscnt 0x6
	v_pk_mul_f32 v[10:11], v[2:3], v[10:11]
	;; [unrolled: 2-line block ×8, first 2 shown]
	ds_store_2addr_stride64_b32 v7, v8, v9 offset1:2
	ds_store_2addr_stride64_b32 v7, v10, v11 offset0:4 offset1:6
	ds_store_2addr_stride64_b32 v7, v12, v13 offset0:8 offset1:10
	;; [unrolled: 1-line block ×7, first 2 shown]
	v_mov_b32_e32 v8, s25
	v_cmp_eq_u32_e32 vcc_lo, 0, v6
	v_add_nc_u32_e32 v7, 0x2000, v7
	s_or_b32 s24, vcc_lo, s24
	s_delay_alu instid0(SALU_CYCLE_1)
	s_and_not1_b32 exec_lo, exec_lo, s24
	s_cbranch_execnz .LBB173_188
; %bb.189:
	s_or_b32 exec_lo, exec_lo, s24
.LBB173_190:
	s_delay_alu instid0(SALU_CYCLE_1) | instskip(NEXT) | instid1(VALU_DEP_1)
	s_or_b32 exec_lo, exec_lo, s3
	v_and_b32_e32 v5, 7, v5
	s_mov_b32 s24, 0
	s_mov_b32 s3, exec_lo
	s_delay_alu instid0(VALU_DEP_1)
	v_cmpx_ne_u32_e32 0, v5
	s_cbranch_execz .LBB173_193
; %bb.191:
	v_lshlrev_b32_e32 v6, 9, v8
	v_lshlrev_b32_e32 v7, 2, v0
	s_delay_alu instid0(VALU_DEP_1)
	v_add3_u32 v6, v6, v7, 0x160
.LBB173_192:                            ; =>This Inner Loop Header: Depth=1
	ds_load_2addr_stride64_b32 v[8:9], v6 offset1:2
	v_add_nc_u32_e32 v5, -1, v5
	s_delay_alu instid0(VALU_DEP_1)
	v_cmp_eq_u32_e32 vcc_lo, 0, v5
	s_or_b32 s24, vcc_lo, s24
	s_wait_dscnt 0x0
	v_pk_mul_f32 v[8:9], v[2:3], v[8:9]
	ds_store_2addr_stride64_b32 v6, v8, v9 offset1:2
	v_add_nc_u32_e32 v6, 0x400, v6
	s_and_not1_b32 exec_lo, exec_lo, s24
	s_cbranch_execnz .LBB173_192
.LBB173_193:
	s_or_b32 exec_lo, exec_lo, s3
	v_add_nc_u32_e32 v3, 1, v4
	s_delay_alu instid0(VALU_DEP_1) | instskip(NEXT) | instid1(VALU_DEP_1)
	v_and_b32_e32 v4, 0x3fffffe, v3
	v_cmp_ne_u32_e32 vcc_lo, v3, v4
	v_lshl_add_u32 v3, v4, 7, v0
	s_or_not1_b32 s3, vcc_lo, exec_lo
.LBB173_194:
	s_or_b32 exec_lo, exec_lo, s1
	s_delay_alu instid0(SALU_CYCLE_1)
	s_and_b32 exec_lo, exec_lo, s3
	s_cbranch_execz .LBB173_197
; %bb.195:
	v_lshl_add_u32 v4, v3, 2, 0x160
	s_mov_b32 s1, 0
.LBB173_196:                            ; =>This Inner Loop Header: Depth=1
	ds_load_b32 v5, v4
	v_add_nc_u32_e32 v3, 0x80, v3
	s_delay_alu instid0(VALU_DEP_1)
	v_cmp_le_i32_e32 vcc_lo, s11, v3
	s_or_b32 s1, vcc_lo, s1
	s_wait_dscnt 0x0
	v_mul_f32_e32 v5, v2, v5
	ds_store_b32 v4, v5
	v_add_nc_u32_e32 v4, 0x200, v4
	s_and_not1_b32 exec_lo, exec_lo, s1
	s_cbranch_execnz .LBB173_196
.LBB173_197:
	s_or_b32 exec_lo, exec_lo, s0
	v_dual_mov_b32 v7, 0 :: v_dual_bitop2_b32 v42, 1, v0 bitop3:0x40
	v_dual_mov_b32 v6, 0 :: v_dual_mov_b32 v9, 0
	v_dual_mov_b32 v8, 0 :: v_dual_mov_b32 v43, 0
	s_wait_dscnt 0x0
	s_barrier_signal -1
	s_barrier_wait -1
	s_and_saveexec_b32 s1, s2
	s_cbranch_execz .LBB173_371
; %bb.198:
	s_load_b32 s2, s[6:7], 0x0
	v_dual_mov_b32 v11, 0 :: v_dual_lshlrev_b32 v2, 2, v0
	s_ashr_i32 s11, s10, 31
	v_dual_lshlrev_b32 v3, 4, v42 :: v_dual_mov_b32 v43, 0
	s_delay_alu instid0(VALU_DEP_2)
	v_and_b32_e32 v10, 0x7c, v2
	s_wait_kmcnt 0x0
	s_add_nc_u64 s[10:11], s[18:19], s[10:11]
	s_lshl_b64 s[14:15], s[14:15], 2
	v_dual_mov_b32 v7, 0 :: v_dual_bitop2_b32 v2, 4, v2 bitop3:0x40
	v_add_nc_u64_e32 v[12:13], s[10:11], v[10:11]
	v_and_b32_e32 v10, 0x7c, v30
	v_lshl_or_b32 v3, v1, 5, v3
	s_add_nc_u64 s[10:11], s[16:17], s[14:15]
	v_mov_b32_e32 v6, 0
	v_lshl_or_b32 v44, v1, 3, v2
	v_add_nc_u64_e32 v[14:15], s[10:11], v[10:11]
	v_add_nc_u32_e32 v45, 0x160, v3
	v_dual_mov_b32 v9, 0 :: v_dual_mov_b32 v8, 0
	v_mov_b32_e32 v46, v1
	s_mov_b32 s6, s9
	s_mov_b32 s3, s2
	s_add_co_i32 s7, s13, -1
	s_mov_b32 s10, s23
	s_mov_b32 s9, 0
	s_branch .LBB173_200
.LBB173_199:                            ;   in Loop: Header=BB173_200 Depth=1
	s_or_b32 exec_lo, exec_lo, s0
	s_wait_dscnt 0x0
	v_dual_mul_f32 v10, v2, v32 :: v_dual_mul_f32 v18, v2, v18
	v_mul_f32_e32 v28, v2, v28
	v_pk_mul_f32 v[20:21], v[2:3], v[20:21]
	v_add_nc_u64_e32 v[14:15], 16, v[14:15]
	s_delay_alu instid0(VALU_DEP_4) | instskip(NEXT) | instid1(VALU_DEP_4)
	v_dual_fmac_f32 v10, v3, v33 :: v_dual_mul_f32 v24, v2, v24
	v_fmac_f32_e32 v28, v3, v29
	v_pk_mul_f32 v[32:33], v[4:5], v[34:35]
	v_fmac_f32_e32 v18, v3, v19
	s_delay_alu instid0(VALU_DEP_4) | instskip(SKIP_1) | instid1(VALU_DEP_3)
	v_dual_fmac_f32 v10, v4, v30 :: v_dual_add_f32 v2, v21, v20
	v_fmac_f32_e32 v24, v3, v25
	v_dual_fmac_f32 v28, v4, v26 :: v_dual_fmac_f32 v18, v4, v16
	s_delay_alu instid0(VALU_DEP_3) | instskip(NEXT) | instid1(VALU_DEP_3)
	v_dual_fmac_f32 v10, v5, v31 :: v_dual_add_f32 v2, v32, v2
	v_fmac_f32_e32 v24, v4, v22
	s_delay_alu instid0(VALU_DEP_3) | instskip(NEXT) | instid1(VALU_DEP_3)
	v_dual_fmac_f32 v28, v5, v27 :: v_dual_fmac_f32 v18, v5, v17
	v_add_f32_e32 v7, v7, v10
	s_delay_alu instid0(VALU_DEP_4) | instskip(NEXT) | instid1(VALU_DEP_4)
	v_dual_add_f32 v2, v33, v2 :: v_dual_add_nc_u32 v44, 32, v44
	v_dual_fmac_f32 v24, v5, v23 :: v_dual_add_nc_u32 v46, 4, v46
	s_delay_alu instid0(VALU_DEP_4) | instskip(SKIP_1) | instid1(VALU_DEP_3)
	v_dual_add_f32 v6, v6, v28 :: v_dual_add_f32 v8, v8, v18
	v_add_nc_u32_e32 v45, 0x80, v45
	v_add_f32_e32 v9, v9, v24
	s_delay_alu instid0(VALU_DEP_4) | instskip(SKIP_2) | instid1(SALU_CYCLE_1)
	v_cmp_le_i32_e32 vcc_lo, s13, v46
	v_add_f32_e32 v43, v43, v2
	s_or_b32 s9, vcc_lo, s9
	s_and_not1_b32 exec_lo, exec_lo, s9
	s_cbranch_execz .LBB173_370
.LBB173_200:                            ; =>This Inner Loop Header: Depth=1
	global_load_b32 v2, v[14:15], off
	v_mov_b64_e32 v[16:17], 0
	v_mov_b64_e32 v[18:19], 0
	s_mov_b32 s0, exec_lo
	s_wait_loadcnt 0x0
	v_mad_nc_i64_i32 v[20:21], v2, s6, v[12:13]
	ds_load_b128 v[2:5], v45
	global_load_b32 v26, v[20:21], off
	s_wait_loadcnt 0x0
	v_and_b32_e32 v10, 0xff, v26
	s_delay_alu instid0(VALU_DEP_1)
	v_cmpx_ne_u16_e32 0, v10
	s_cbranch_execz .LBB173_208
; %bb.201:                              ;   in Loop: Header=BB173_200 Depth=1
	v_mov_b64_e32 v[18:19], 0x80000000
	s_mov_b32 s11, exec_lo
	v_cmpx_ne_u16_e32 0x80, v10
	s_cbranch_execz .LBB173_207
; %bb.202:                              ;   in Loop: Header=BB173_200 Depth=1
	v_mov_b64_e32 v[18:19], 0x7f800001
	v_and_b32_e32 v22, 0x7f, v26
	s_mov_b32 s14, exec_lo
	s_delay_alu instid0(VALU_DEP_1)
	v_cmpx_ne_u32_e32 0x7f, v22
	s_cbranch_execz .LBB173_206
; %bb.203:                              ;   in Loop: Header=BB173_200 Depth=1
	v_and_b32_e32 v10, 7, v26
	v_lshrrev_b32_e32 v18, 3, v22
	s_mov_b32 s15, exec_lo
	v_cmpx_gt_u32_e32 8, v22
; %bb.204:                              ;   in Loop: Header=BB173_200 Depth=1
	s_delay_alu instid0(VALU_DEP_3) | instskip(NEXT) | instid1(VALU_DEP_1)
	v_clz_i32_u32_e32 v18, v10
	v_min_u32_e32 v18, 32, v18
	s_delay_alu instid0(VALU_DEP_1) | instskip(SKIP_1) | instid1(VALU_DEP_2)
	v_subrev_nc_u32_e32 v19, 28, v18
	v_sub_nc_u32_e32 v18, 29, v18
	v_lshlrev_b64_e32 v[22:23], v19, v[10:11]
	s_delay_alu instid0(VALU_DEP_1)
	v_and_b32_e32 v10, 7, v22
; %bb.205:                              ;   in Loop: Header=BB173_200 Depth=1
	s_or_b32 exec_lo, exec_lo, s15
	v_lshlrev_b32_e32 v19, 24, v26
	s_delay_alu instid0(VALU_DEP_2) | instskip(SKIP_1) | instid1(VALU_DEP_3)
	v_lshlrev_b32_e32 v10, 20, v10
	v_lshl_add_u32 v18, v18, 23, 0x3c000000
	v_and_b32_e32 v19, 0x80000000, v19
	s_delay_alu instid0(VALU_DEP_1) | instskip(NEXT) | instid1(VALU_DEP_1)
	v_or3_b32 v10, v10, v19, v18
	v_mov_b64_e32 v[18:19], v[10:11]
.LBB173_206:                            ;   in Loop: Header=BB173_200 Depth=1
	s_or_b32 exec_lo, exec_lo, s14
.LBB173_207:                            ;   in Loop: Header=BB173_200 Depth=1
	s_delay_alu instid0(SALU_CYCLE_1)
	s_or_b32 exec_lo, exec_lo, s11
.LBB173_208:                            ;   in Loop: Header=BB173_200 Depth=1
	s_delay_alu instid0(SALU_CYCLE_1) | instskip(SKIP_2) | instid1(VALU_DEP_1)
	s_or_b32 exec_lo, exec_lo, s0
	v_lshrrev_b16 v10, 8, v26
	s_mov_b32 s0, exec_lo
	v_cmpx_ne_u16_e32 0, v10
	s_cbranch_execz .LBB173_216
; %bb.209:                              ;   in Loop: Header=BB173_200 Depth=1
	v_mov_b64_e32 v[16:17], 0x8000000000000000
	s_mov_b32 s11, exec_lo
	v_cmpx_ne_u16_e32 0x80, v10
	s_cbranch_execz .LBB173_215
; %bb.210:                              ;   in Loop: Header=BB173_200 Depth=1
	v_and_b32_e32 v10, 0xffff, v10
	v_mov_b64_e32 v[16:17], 0x7f80000100000000
	s_mov_b32 s14, exec_lo
	s_delay_alu instid0(VALU_DEP_2) | instskip(NEXT) | instid1(VALU_DEP_1)
	v_and_b32_e32 v22, 0x7f, v10
	v_cmpx_ne_u32_e32 0x7f, v22
	s_cbranch_execz .LBB173_214
; %bb.211:                              ;   in Loop: Header=BB173_200 Depth=1
	v_and_b32_e32 v10, 7, v10
	v_lshrrev_b32_e32 v16, 3, v22
	s_mov_b32 s15, exec_lo
	v_cmpx_gt_u32_e32 8, v22
; %bb.212:                              ;   in Loop: Header=BB173_200 Depth=1
	s_delay_alu instid0(VALU_DEP_3) | instskip(NEXT) | instid1(VALU_DEP_1)
	v_clz_i32_u32_e32 v16, v10
	v_min_u32_e32 v16, 32, v16
	s_delay_alu instid0(VALU_DEP_1) | instskip(NEXT) | instid1(VALU_DEP_1)
	v_subrev_nc_u32_e32 v17, 28, v16
	v_lshlrev_b64_e32 v[22:23], v17, v[10:11]
	s_delay_alu instid0(VALU_DEP_1)
	v_dual_sub_nc_u32 v16, 29, v16 :: v_dual_bitop2_b32 v10, 7, v22 bitop3:0x40
; %bb.213:                              ;   in Loop: Header=BB173_200 Depth=1
	s_or_b32 exec_lo, exec_lo, s15
	v_lshlrev_b32_e32 v17, 16, v26
	s_delay_alu instid0(VALU_DEP_2) | instskip(NEXT) | instid1(VALU_DEP_3)
	v_lshlrev_b32_e32 v10, 20, v10
	v_lshl_add_u32 v16, v16, 23, 0x3c000000
	s_delay_alu instid0(VALU_DEP_3) | instskip(NEXT) | instid1(VALU_DEP_1)
	v_and_b32_e32 v17, 0x80000000, v17
	v_or3_b32 v17, v10, v17, v16
	v_mov_b32_e32 v16, v11
.LBB173_214:                            ;   in Loop: Header=BB173_200 Depth=1
	s_or_b32 exec_lo, exec_lo, s14
.LBB173_215:                            ;   in Loop: Header=BB173_200 Depth=1
	s_delay_alu instid0(SALU_CYCLE_1)
	s_or_b32 exec_lo, exec_lo, s11
.LBB173_216:                            ;   in Loop: Header=BB173_200 Depth=1
	s_delay_alu instid0(SALU_CYCLE_1) | instskip(SKIP_4) | instid1(VALU_DEP_3)
	s_or_b32 exec_lo, exec_lo, s0
	v_lshrrev_b32_e32 v27, 16, v26
	v_mov_b64_e32 v[22:23], 0
	v_mov_b64_e32 v[24:25], 0
	s_mov_b32 s0, exec_lo
	v_and_b32_e32 v10, 0xff, v27
	s_delay_alu instid0(VALU_DEP_1)
	v_cmpx_ne_u16_e32 0, v10
	s_cbranch_execz .LBB173_224
; %bb.217:                              ;   in Loop: Header=BB173_200 Depth=1
	v_mov_b64_e32 v[24:25], 0x80000000
	s_mov_b32 s11, exec_lo
	v_cmpx_ne_u16_e32 0x80, v10
	s_cbranch_execz .LBB173_223
; %bb.218:                              ;   in Loop: Header=BB173_200 Depth=1
	v_mov_b64_e32 v[24:25], 0x7f800001
	v_bfe_u32 v28, v26, 16, 7
	s_mov_b32 s14, exec_lo
	s_delay_alu instid0(VALU_DEP_1)
	v_cmpx_ne_u32_e32 0x7f, v28
	s_cbranch_execz .LBB173_222
; %bb.219:                              ;   in Loop: Header=BB173_200 Depth=1
	v_dual_lshrrev_b32 v24, 3, v28 :: v_dual_bitop2_b32 v10, 7, v27 bitop3:0x40
	s_mov_b32 s15, exec_lo
	v_cmpx_gt_u32_e32 8, v28
; %bb.220:                              ;   in Loop: Header=BB173_200 Depth=1
	s_delay_alu instid0(VALU_DEP_2) | instskip(NEXT) | instid1(VALU_DEP_1)
	v_clz_i32_u32_e32 v24, v10
	v_min_u32_e32 v24, 32, v24
	s_delay_alu instid0(VALU_DEP_1) | instskip(SKIP_1) | instid1(VALU_DEP_2)
	v_subrev_nc_u32_e32 v25, 28, v24
	v_sub_nc_u32_e32 v24, 29, v24
	v_lshlrev_b64_e32 v[28:29], v25, v[10:11]
	s_delay_alu instid0(VALU_DEP_1)
	v_and_b32_e32 v10, 7, v28
; %bb.221:                              ;   in Loop: Header=BB173_200 Depth=1
	s_or_b32 exec_lo, exec_lo, s15
	s_delay_alu instid0(VALU_DEP_1) | instskip(SKIP_1) | instid1(VALU_DEP_2)
	v_dual_lshlrev_b32 v25, 24, v27 :: v_dual_lshlrev_b32 v10, 20, v10
	v_lshl_add_u32 v24, v24, 23, 0x3c000000
	v_and_b32_e32 v25, 0x80000000, v25
	s_delay_alu instid0(VALU_DEP_1) | instskip(NEXT) | instid1(VALU_DEP_1)
	v_or3_b32 v10, v10, v25, v24
	v_mov_b64_e32 v[24:25], v[10:11]
.LBB173_222:                            ;   in Loop: Header=BB173_200 Depth=1
	s_or_b32 exec_lo, exec_lo, s14
.LBB173_223:                            ;   in Loop: Header=BB173_200 Depth=1
	s_delay_alu instid0(SALU_CYCLE_1)
	s_or_b32 exec_lo, exec_lo, s11
.LBB173_224:                            ;   in Loop: Header=BB173_200 Depth=1
	s_delay_alu instid0(SALU_CYCLE_1) | instskip(NEXT) | instid1(SALU_CYCLE_1)
	s_or_b32 exec_lo, exec_lo, s0
	s_mov_b32 s0, exec_lo
	v_cmpx_lt_u32_e32 0xffffff, v26
	s_cbranch_execz .LBB173_232
; %bb.225:                              ;   in Loop: Header=BB173_200 Depth=1
	v_mov_b64_e32 v[22:23], 0x8000000000000000
	v_lshrrev_b32_e32 v27, 24, v26
	s_mov_b32 s11, exec_lo
	s_delay_alu instid0(VALU_DEP_1)
	v_cmpx_ne_u32_e32 0x80, v27
	s_cbranch_execz .LBB173_231
; %bb.226:                              ;   in Loop: Header=BB173_200 Depth=1
	v_mov_b64_e32 v[22:23], 0x7f80000100000000
	v_bfe_u32 v26, v26, 24, 7
	s_mov_b32 s14, exec_lo
	s_delay_alu instid0(VALU_DEP_1)
	v_cmpx_ne_u32_e32 0x7f, v26
	s_cbranch_execz .LBB173_230
; %bb.227:                              ;   in Loop: Header=BB173_200 Depth=1
	v_dual_lshrrev_b32 v22, 3, v26 :: v_dual_bitop2_b32 v10, 7, v27 bitop3:0x40
	s_mov_b32 s15, exec_lo
	v_cmpx_gt_u32_e32 8, v26
; %bb.228:                              ;   in Loop: Header=BB173_200 Depth=1
	s_delay_alu instid0(VALU_DEP_2) | instskip(NEXT) | instid1(VALU_DEP_1)
	v_clz_i32_u32_e32 v22, v10
	v_min_u32_e32 v22, 32, v22
	s_delay_alu instid0(VALU_DEP_1) | instskip(NEXT) | instid1(VALU_DEP_1)
	v_subrev_nc_u32_e32 v23, 28, v22
	v_lshlrev_b64_e32 v[28:29], v23, v[10:11]
	s_delay_alu instid0(VALU_DEP_1)
	v_dual_sub_nc_u32 v22, 29, v22 :: v_dual_bitop2_b32 v10, 7, v28 bitop3:0x40
; %bb.229:                              ;   in Loop: Header=BB173_200 Depth=1
	s_or_b32 exec_lo, exec_lo, s15
	s_delay_alu instid0(VALU_DEP_1) | instskip(NEXT) | instid1(VALU_DEP_2)
	v_dual_lshlrev_b32 v23, 24, v27 :: v_dual_lshlrev_b32 v10, 20, v10
	v_lshl_add_u32 v22, v22, 23, 0x3c000000
	s_delay_alu instid0(VALU_DEP_2) | instskip(NEXT) | instid1(VALU_DEP_1)
	v_and_b32_e32 v23, 0x80000000, v23
	v_or3_b32 v23, v10, v23, v22
	v_mov_b32_e32 v22, v11
.LBB173_230:                            ;   in Loop: Header=BB173_200 Depth=1
	s_or_b32 exec_lo, exec_lo, s14
.LBB173_231:                            ;   in Loop: Header=BB173_200 Depth=1
	s_delay_alu instid0(SALU_CYCLE_1)
	s_or_b32 exec_lo, exec_lo, s11
.LBB173_232:                            ;   in Loop: Header=BB173_200 Depth=1
	s_delay_alu instid0(SALU_CYCLE_1)
	s_or_b32 exec_lo, exec_lo, s0
	v_mov_b64_e32 v[26:27], s[2:3]
	v_dual_add_nc_u32 v47, 1, v44 :: v_dual_bitop2_b32 v17, v17, v19 bitop3:0x54
	v_dual_add_nc_u32 v39, 2, v44 :: v_dual_bitop2_b32 v16, v16, v18 bitop3:0x54
	;; [unrolled: 1-line block ×3, first 2 shown]
	v_or_b32_e32 v22, v22, v24
	v_cmp_eq_u32_e32 vcc_lo, s7, v46
	s_delay_alu instid0(VALU_DEP_4) | instskip(NEXT) | instid1(VALU_DEP_3)
	v_pk_mul_f32 v[18:19], v[26:27], v[16:17]
	v_pk_mul_f32 v[16:17], v[26:27], v[22:23]
	s_and_saveexec_b32 s11, vcc_lo
	s_cbranch_execz .LBB173_234
; %bb.233:                              ;   in Loop: Header=BB173_200 Depth=1
	v_cmp_gt_i32_e64 s0, s23, v44
	s_delay_alu instid0(VALU_DEP_1) | instskip(SKIP_1) | instid1(VALU_DEP_1)
	v_cndmask_b32_e64 v18, 0, v18, s0
	v_cmp_gt_i32_e64 s0, s23, v47
	v_cndmask_b32_e64 v19, 0, v19, s0
	v_cmp_gt_i32_e64 s0, s23, v39
	s_delay_alu instid0(VALU_DEP_1) | instskip(SKIP_1) | instid1(VALU_DEP_1)
	v_cndmask_b32_e64 v16, 0, v16, s0
	v_cmp_gt_i32_e64 s0, s23, v38
	v_cndmask_b32_e64 v17, 0, v17, s0
.LBB173_234:                            ;   in Loop: Header=BB173_200 Depth=1
	s_or_b32 exec_lo, exec_lo, s11
	global_load_b32 v30, v[20:21], off offset:128
	v_mov_b64_e32 v[22:23], 0
	v_mov_b64_e32 v[24:25], 0
	s_mov_b32 s11, exec_lo
	s_wait_loadcnt 0x0
	v_and_b32_e32 v10, 0xff, v30
	s_delay_alu instid0(VALU_DEP_1)
	v_cmpx_ne_u16_e32 0, v10
	s_cbranch_execz .LBB173_242
; %bb.235:                              ;   in Loop: Header=BB173_200 Depth=1
	v_mov_b64_e32 v[24:25], 0x80000000
	s_mov_b32 s14, exec_lo
	v_cmpx_ne_u16_e32 0x80, v10
	s_cbranch_execz .LBB173_241
; %bb.236:                              ;   in Loop: Header=BB173_200 Depth=1
	v_mov_b64_e32 v[24:25], 0x7f800001
	v_and_b32_e32 v26, 0x7f, v30
	s_mov_b32 s15, exec_lo
	s_delay_alu instid0(VALU_DEP_1)
	v_cmpx_ne_u32_e32 0x7f, v26
	s_cbranch_execz .LBB173_240
; %bb.237:                              ;   in Loop: Header=BB173_200 Depth=1
	v_and_b32_e32 v10, 7, v30
	v_lshrrev_b32_e32 v24, 3, v26
	s_mov_b32 s16, exec_lo
	v_cmpx_gt_u32_e32 8, v26
; %bb.238:                              ;   in Loop: Header=BB173_200 Depth=1
	s_delay_alu instid0(VALU_DEP_3) | instskip(NEXT) | instid1(VALU_DEP_1)
	v_clz_i32_u32_e32 v24, v10
	v_min_u32_e32 v24, 32, v24
	s_delay_alu instid0(VALU_DEP_1) | instskip(NEXT) | instid1(VALU_DEP_1)
	v_subrev_nc_u32_e32 v25, 28, v24
	v_lshlrev_b64_e32 v[26:27], v25, v[10:11]
	s_delay_alu instid0(VALU_DEP_1)
	v_dual_sub_nc_u32 v24, 29, v24 :: v_dual_bitop2_b32 v10, 7, v26 bitop3:0x40
; %bb.239:                              ;   in Loop: Header=BB173_200 Depth=1
	s_or_b32 exec_lo, exec_lo, s16
	v_lshlrev_b32_e32 v25, 24, v30
	s_delay_alu instid0(VALU_DEP_2) | instskip(NEXT) | instid1(VALU_DEP_3)
	v_lshlrev_b32_e32 v10, 20, v10
	v_lshl_add_u32 v24, v24, 23, 0x3c000000
	s_delay_alu instid0(VALU_DEP_3) | instskip(NEXT) | instid1(VALU_DEP_1)
	v_and_b32_e32 v25, 0x80000000, v25
	v_or3_b32 v10, v10, v25, v24
	s_delay_alu instid0(VALU_DEP_1)
	v_mov_b64_e32 v[24:25], v[10:11]
.LBB173_240:                            ;   in Loop: Header=BB173_200 Depth=1
	s_or_b32 exec_lo, exec_lo, s15
.LBB173_241:                            ;   in Loop: Header=BB173_200 Depth=1
	s_delay_alu instid0(SALU_CYCLE_1)
	s_or_b32 exec_lo, exec_lo, s14
.LBB173_242:                            ;   in Loop: Header=BB173_200 Depth=1
	s_delay_alu instid0(SALU_CYCLE_1) | instskip(SKIP_2) | instid1(VALU_DEP_1)
	s_or_b32 exec_lo, exec_lo, s11
	v_lshrrev_b16 v10, 8, v30
	s_mov_b32 s11, exec_lo
	v_cmpx_ne_u16_e32 0, v10
	s_cbranch_execz .LBB173_250
; %bb.243:                              ;   in Loop: Header=BB173_200 Depth=1
	v_mov_b64_e32 v[22:23], 0x8000000000000000
	s_mov_b32 s14, exec_lo
	v_cmpx_ne_u16_e32 0x80, v10
	s_cbranch_execz .LBB173_249
; %bb.244:                              ;   in Loop: Header=BB173_200 Depth=1
	v_and_b32_e32 v10, 0xffff, v10
	v_mov_b64_e32 v[22:23], 0x7f80000100000000
	s_mov_b32 s15, exec_lo
	s_delay_alu instid0(VALU_DEP_2) | instskip(NEXT) | instid1(VALU_DEP_1)
	v_and_b32_e32 v26, 0x7f, v10
	v_cmpx_ne_u32_e32 0x7f, v26
	s_cbranch_execz .LBB173_248
; %bb.245:                              ;   in Loop: Header=BB173_200 Depth=1
	v_and_b32_e32 v10, 7, v10
	v_lshrrev_b32_e32 v22, 3, v26
	s_mov_b32 s16, exec_lo
	v_cmpx_gt_u32_e32 8, v26
; %bb.246:                              ;   in Loop: Header=BB173_200 Depth=1
	s_delay_alu instid0(VALU_DEP_3) | instskip(NEXT) | instid1(VALU_DEP_1)
	v_clz_i32_u32_e32 v22, v10
	v_min_u32_e32 v22, 32, v22
	s_delay_alu instid0(VALU_DEP_1) | instskip(SKIP_1) | instid1(VALU_DEP_2)
	v_subrev_nc_u32_e32 v23, 28, v22
	v_sub_nc_u32_e32 v22, 29, v22
	v_lshlrev_b64_e32 v[26:27], v23, v[10:11]
	s_delay_alu instid0(VALU_DEP_1)
	v_and_b32_e32 v10, 7, v26
; %bb.247:                              ;   in Loop: Header=BB173_200 Depth=1
	s_or_b32 exec_lo, exec_lo, s16
	v_lshlrev_b32_e32 v23, 16, v30
	s_delay_alu instid0(VALU_DEP_2) | instskip(SKIP_1) | instid1(VALU_DEP_3)
	v_lshlrev_b32_e32 v10, 20, v10
	v_lshl_add_u32 v22, v22, 23, 0x3c000000
	v_and_b32_e32 v23, 0x80000000, v23
	s_delay_alu instid0(VALU_DEP_1)
	v_or3_b32 v23, v10, v23, v22
	v_mov_b32_e32 v22, v11
.LBB173_248:                            ;   in Loop: Header=BB173_200 Depth=1
	s_or_b32 exec_lo, exec_lo, s15
.LBB173_249:                            ;   in Loop: Header=BB173_200 Depth=1
	s_delay_alu instid0(SALU_CYCLE_1)
	s_or_b32 exec_lo, exec_lo, s14
.LBB173_250:                            ;   in Loop: Header=BB173_200 Depth=1
	s_delay_alu instid0(SALU_CYCLE_1) | instskip(SKIP_4) | instid1(VALU_DEP_3)
	s_or_b32 exec_lo, exec_lo, s11
	v_lshrrev_b32_e32 v31, 16, v30
	v_mov_b64_e32 v[26:27], 0
	v_mov_b64_e32 v[28:29], 0
	s_mov_b32 s11, exec_lo
	v_and_b32_e32 v10, 0xff, v31
	s_delay_alu instid0(VALU_DEP_1)
	v_cmpx_ne_u16_e32 0, v10
	s_cbranch_execz .LBB173_258
; %bb.251:                              ;   in Loop: Header=BB173_200 Depth=1
	v_mov_b64_e32 v[28:29], 0x80000000
	s_mov_b32 s14, exec_lo
	v_cmpx_ne_u16_e32 0x80, v10
	s_cbranch_execz .LBB173_257
; %bb.252:                              ;   in Loop: Header=BB173_200 Depth=1
	v_mov_b64_e32 v[28:29], 0x7f800001
	v_bfe_u32 v32, v30, 16, 7
	s_mov_b32 s15, exec_lo
	s_delay_alu instid0(VALU_DEP_1)
	v_cmpx_ne_u32_e32 0x7f, v32
	s_cbranch_execz .LBB173_256
; %bb.253:                              ;   in Loop: Header=BB173_200 Depth=1
	v_dual_lshrrev_b32 v28, 3, v32 :: v_dual_bitop2_b32 v10, 7, v31 bitop3:0x40
	s_mov_b32 s16, exec_lo
	v_cmpx_gt_u32_e32 8, v32
; %bb.254:                              ;   in Loop: Header=BB173_200 Depth=1
	s_delay_alu instid0(VALU_DEP_2) | instskip(NEXT) | instid1(VALU_DEP_1)
	v_clz_i32_u32_e32 v28, v10
	v_min_u32_e32 v28, 32, v28
	s_delay_alu instid0(VALU_DEP_1) | instskip(SKIP_1) | instid1(VALU_DEP_2)
	v_subrev_nc_u32_e32 v29, 28, v28
	v_sub_nc_u32_e32 v28, 29, v28
	v_lshlrev_b64_e32 v[32:33], v29, v[10:11]
	s_delay_alu instid0(VALU_DEP_1)
	v_and_b32_e32 v10, 7, v32
; %bb.255:                              ;   in Loop: Header=BB173_200 Depth=1
	s_or_b32 exec_lo, exec_lo, s16
	s_delay_alu instid0(VALU_DEP_1) | instskip(SKIP_1) | instid1(VALU_DEP_2)
	v_dual_lshlrev_b32 v29, 24, v31 :: v_dual_lshlrev_b32 v10, 20, v10
	v_lshl_add_u32 v28, v28, 23, 0x3c000000
	v_and_b32_e32 v29, 0x80000000, v29
	s_delay_alu instid0(VALU_DEP_1) | instskip(NEXT) | instid1(VALU_DEP_1)
	v_or3_b32 v10, v10, v29, v28
	v_mov_b64_e32 v[28:29], v[10:11]
.LBB173_256:                            ;   in Loop: Header=BB173_200 Depth=1
	s_or_b32 exec_lo, exec_lo, s15
.LBB173_257:                            ;   in Loop: Header=BB173_200 Depth=1
	s_delay_alu instid0(SALU_CYCLE_1)
	s_or_b32 exec_lo, exec_lo, s14
.LBB173_258:                            ;   in Loop: Header=BB173_200 Depth=1
	s_delay_alu instid0(SALU_CYCLE_1) | instskip(NEXT) | instid1(SALU_CYCLE_1)
	s_or_b32 exec_lo, exec_lo, s11
	s_mov_b32 s11, exec_lo
	v_cmpx_lt_u32_e32 0xffffff, v30
	s_cbranch_execz .LBB173_266
; %bb.259:                              ;   in Loop: Header=BB173_200 Depth=1
	v_mov_b64_e32 v[26:27], 0x8000000000000000
	v_lshrrev_b32_e32 v31, 24, v30
	s_mov_b32 s14, exec_lo
	s_delay_alu instid0(VALU_DEP_1)
	v_cmpx_ne_u32_e32 0x80, v31
	s_cbranch_execz .LBB173_265
; %bb.260:                              ;   in Loop: Header=BB173_200 Depth=1
	v_mov_b64_e32 v[26:27], 0x7f80000100000000
	v_bfe_u32 v30, v30, 24, 7
	s_mov_b32 s15, exec_lo
	s_delay_alu instid0(VALU_DEP_1)
	v_cmpx_ne_u32_e32 0x7f, v30
	s_cbranch_execz .LBB173_264
; %bb.261:                              ;   in Loop: Header=BB173_200 Depth=1
	v_dual_lshrrev_b32 v26, 3, v30 :: v_dual_bitop2_b32 v10, 7, v31 bitop3:0x40
	s_mov_b32 s16, exec_lo
	v_cmpx_gt_u32_e32 8, v30
; %bb.262:                              ;   in Loop: Header=BB173_200 Depth=1
	s_delay_alu instid0(VALU_DEP_2) | instskip(NEXT) | instid1(VALU_DEP_1)
	v_clz_i32_u32_e32 v26, v10
	v_min_u32_e32 v26, 32, v26
	s_delay_alu instid0(VALU_DEP_1) | instskip(NEXT) | instid1(VALU_DEP_1)
	v_subrev_nc_u32_e32 v27, 28, v26
	v_lshlrev_b64_e32 v[32:33], v27, v[10:11]
	s_delay_alu instid0(VALU_DEP_1)
	v_dual_sub_nc_u32 v26, 29, v26 :: v_dual_bitop2_b32 v10, 7, v32 bitop3:0x40
; %bb.263:                              ;   in Loop: Header=BB173_200 Depth=1
	s_or_b32 exec_lo, exec_lo, s16
	s_delay_alu instid0(VALU_DEP_1) | instskip(NEXT) | instid1(VALU_DEP_2)
	v_dual_lshlrev_b32 v27, 24, v31 :: v_dual_lshlrev_b32 v10, 20, v10
	v_lshl_add_u32 v26, v26, 23, 0x3c000000
	s_delay_alu instid0(VALU_DEP_2) | instskip(NEXT) | instid1(VALU_DEP_1)
	v_and_b32_e32 v27, 0x80000000, v27
	v_or3_b32 v27, v10, v27, v26
	v_mov_b32_e32 v26, v11
.LBB173_264:                            ;   in Loop: Header=BB173_200 Depth=1
	s_or_b32 exec_lo, exec_lo, s15
.LBB173_265:                            ;   in Loop: Header=BB173_200 Depth=1
	s_delay_alu instid0(SALU_CYCLE_1)
	s_or_b32 exec_lo, exec_lo, s14
.LBB173_266:                            ;   in Loop: Header=BB173_200 Depth=1
	s_delay_alu instid0(SALU_CYCLE_1)
	s_or_b32 exec_lo, exec_lo, s11
	v_mov_b64_e32 v[30:31], s[2:3]
	v_or_b32_e32 v23, v23, v25
	v_or_b32_e32 v22, v22, v24
	;; [unrolled: 1-line block ×4, first 2 shown]
	s_delay_alu instid0(VALU_DEP_3) | instskip(NEXT) | instid1(VALU_DEP_2)
	v_pk_mul_f32 v[24:25], v[30:31], v[22:23]
	v_pk_mul_f32 v[22:23], v[30:31], v[26:27]
	s_and_saveexec_b32 s11, vcc_lo
	s_cbranch_execz .LBB173_268
; %bb.267:                              ;   in Loop: Header=BB173_200 Depth=1
	v_cmp_gt_i32_e64 s0, s23, v44
	s_delay_alu instid0(VALU_DEP_1) | instskip(SKIP_1) | instid1(VALU_DEP_1)
	v_cndmask_b32_e64 v24, 0, v24, s0
	v_cmp_gt_i32_e64 s0, s23, v47
	v_cndmask_b32_e64 v25, 0, v25, s0
	v_cmp_gt_i32_e64 s0, s23, v39
	s_delay_alu instid0(VALU_DEP_1) | instskip(SKIP_1) | instid1(VALU_DEP_1)
	v_cndmask_b32_e64 v22, 0, v22, s0
	v_cmp_gt_i32_e64 s0, s23, v38
	v_cndmask_b32_e64 v23, 0, v23, s0
.LBB173_268:                            ;   in Loop: Header=BB173_200 Depth=1
	s_or_b32 exec_lo, exec_lo, s11
	global_load_b32 v34, v[20:21], off offset:256
	v_mov_b64_e32 v[26:27], 0
	v_mov_b64_e32 v[28:29], 0
	s_mov_b32 s11, exec_lo
	s_wait_loadcnt 0x0
	v_and_b32_e32 v10, 0xff, v34
	s_delay_alu instid0(VALU_DEP_1)
	v_cmpx_ne_u16_e32 0, v10
	s_cbranch_execz .LBB173_276
; %bb.269:                              ;   in Loop: Header=BB173_200 Depth=1
	v_mov_b64_e32 v[28:29], 0x80000000
	s_mov_b32 s14, exec_lo
	v_cmpx_ne_u16_e32 0x80, v10
	s_cbranch_execz .LBB173_275
; %bb.270:                              ;   in Loop: Header=BB173_200 Depth=1
	v_mov_b64_e32 v[28:29], 0x7f800001
	v_and_b32_e32 v30, 0x7f, v34
	s_mov_b32 s15, exec_lo
	s_delay_alu instid0(VALU_DEP_1)
	v_cmpx_ne_u32_e32 0x7f, v30
	s_cbranch_execz .LBB173_274
; %bb.271:                              ;   in Loop: Header=BB173_200 Depth=1
	v_and_b32_e32 v10, 7, v34
	v_lshrrev_b32_e32 v28, 3, v30
	s_mov_b32 s16, exec_lo
	v_cmpx_gt_u32_e32 8, v30
; %bb.272:                              ;   in Loop: Header=BB173_200 Depth=1
	s_delay_alu instid0(VALU_DEP_3) | instskip(NEXT) | instid1(VALU_DEP_1)
	v_clz_i32_u32_e32 v28, v10
	v_min_u32_e32 v28, 32, v28
	s_delay_alu instid0(VALU_DEP_1) | instskip(NEXT) | instid1(VALU_DEP_1)
	v_subrev_nc_u32_e32 v29, 28, v28
	v_lshlrev_b64_e32 v[30:31], v29, v[10:11]
	s_delay_alu instid0(VALU_DEP_1)
	v_dual_sub_nc_u32 v28, 29, v28 :: v_dual_bitop2_b32 v10, 7, v30 bitop3:0x40
; %bb.273:                              ;   in Loop: Header=BB173_200 Depth=1
	s_or_b32 exec_lo, exec_lo, s16
	v_lshlrev_b32_e32 v29, 24, v34
	s_delay_alu instid0(VALU_DEP_2) | instskip(NEXT) | instid1(VALU_DEP_3)
	v_lshlrev_b32_e32 v10, 20, v10
	v_lshl_add_u32 v28, v28, 23, 0x3c000000
	s_delay_alu instid0(VALU_DEP_3) | instskip(NEXT) | instid1(VALU_DEP_1)
	v_and_b32_e32 v29, 0x80000000, v29
	v_or3_b32 v10, v10, v29, v28
	s_delay_alu instid0(VALU_DEP_1)
	v_mov_b64_e32 v[28:29], v[10:11]
.LBB173_274:                            ;   in Loop: Header=BB173_200 Depth=1
	s_or_b32 exec_lo, exec_lo, s15
.LBB173_275:                            ;   in Loop: Header=BB173_200 Depth=1
	s_delay_alu instid0(SALU_CYCLE_1)
	s_or_b32 exec_lo, exec_lo, s14
.LBB173_276:                            ;   in Loop: Header=BB173_200 Depth=1
	s_delay_alu instid0(SALU_CYCLE_1) | instskip(SKIP_2) | instid1(VALU_DEP_1)
	s_or_b32 exec_lo, exec_lo, s11
	v_lshrrev_b16 v10, 8, v34
	s_mov_b32 s11, exec_lo
	v_cmpx_ne_u16_e32 0, v10
	s_cbranch_execz .LBB173_284
; %bb.277:                              ;   in Loop: Header=BB173_200 Depth=1
	v_mov_b64_e32 v[26:27], 0x8000000000000000
	s_mov_b32 s14, exec_lo
	v_cmpx_ne_u16_e32 0x80, v10
	s_cbranch_execz .LBB173_283
; %bb.278:                              ;   in Loop: Header=BB173_200 Depth=1
	v_and_b32_e32 v10, 0xffff, v10
	v_mov_b64_e32 v[26:27], 0x7f80000100000000
	s_mov_b32 s15, exec_lo
	s_delay_alu instid0(VALU_DEP_2) | instskip(NEXT) | instid1(VALU_DEP_1)
	v_and_b32_e32 v30, 0x7f, v10
	v_cmpx_ne_u32_e32 0x7f, v30
	s_cbranch_execz .LBB173_282
; %bb.279:                              ;   in Loop: Header=BB173_200 Depth=1
	v_and_b32_e32 v10, 7, v10
	v_lshrrev_b32_e32 v26, 3, v30
	s_mov_b32 s16, exec_lo
	v_cmpx_gt_u32_e32 8, v30
; %bb.280:                              ;   in Loop: Header=BB173_200 Depth=1
	s_delay_alu instid0(VALU_DEP_3) | instskip(NEXT) | instid1(VALU_DEP_1)
	v_clz_i32_u32_e32 v26, v10
	v_min_u32_e32 v26, 32, v26
	s_delay_alu instid0(VALU_DEP_1) | instskip(SKIP_1) | instid1(VALU_DEP_2)
	v_subrev_nc_u32_e32 v27, 28, v26
	v_sub_nc_u32_e32 v26, 29, v26
	v_lshlrev_b64_e32 v[30:31], v27, v[10:11]
	s_delay_alu instid0(VALU_DEP_1)
	v_and_b32_e32 v10, 7, v30
; %bb.281:                              ;   in Loop: Header=BB173_200 Depth=1
	s_or_b32 exec_lo, exec_lo, s16
	v_lshlrev_b32_e32 v27, 16, v34
	s_delay_alu instid0(VALU_DEP_2) | instskip(SKIP_1) | instid1(VALU_DEP_3)
	v_lshlrev_b32_e32 v10, 20, v10
	v_lshl_add_u32 v26, v26, 23, 0x3c000000
	v_and_b32_e32 v27, 0x80000000, v27
	s_delay_alu instid0(VALU_DEP_1)
	v_or3_b32 v27, v10, v27, v26
	v_mov_b32_e32 v26, v11
.LBB173_282:                            ;   in Loop: Header=BB173_200 Depth=1
	s_or_b32 exec_lo, exec_lo, s15
.LBB173_283:                            ;   in Loop: Header=BB173_200 Depth=1
	s_delay_alu instid0(SALU_CYCLE_1)
	s_or_b32 exec_lo, exec_lo, s14
.LBB173_284:                            ;   in Loop: Header=BB173_200 Depth=1
	s_delay_alu instid0(SALU_CYCLE_1) | instskip(SKIP_4) | instid1(VALU_DEP_3)
	s_or_b32 exec_lo, exec_lo, s11
	v_lshrrev_b32_e32 v35, 16, v34
	v_mov_b64_e32 v[30:31], 0
	v_mov_b64_e32 v[32:33], 0
	s_mov_b32 s11, exec_lo
	v_and_b32_e32 v10, 0xff, v35
	s_delay_alu instid0(VALU_DEP_1)
	v_cmpx_ne_u16_e32 0, v10
	s_cbranch_execz .LBB173_292
; %bb.285:                              ;   in Loop: Header=BB173_200 Depth=1
	v_mov_b64_e32 v[32:33], 0x80000000
	s_mov_b32 s14, exec_lo
	v_cmpx_ne_u16_e32 0x80, v10
	s_cbranch_execz .LBB173_291
; %bb.286:                              ;   in Loop: Header=BB173_200 Depth=1
	v_mov_b64_e32 v[32:33], 0x7f800001
	v_bfe_u32 v36, v34, 16, 7
	s_mov_b32 s15, exec_lo
	s_delay_alu instid0(VALU_DEP_1)
	v_cmpx_ne_u32_e32 0x7f, v36
	s_cbranch_execz .LBB173_290
; %bb.287:                              ;   in Loop: Header=BB173_200 Depth=1
	v_dual_lshrrev_b32 v32, 3, v36 :: v_dual_bitop2_b32 v10, 7, v35 bitop3:0x40
	s_mov_b32 s16, exec_lo
	v_cmpx_gt_u32_e32 8, v36
; %bb.288:                              ;   in Loop: Header=BB173_200 Depth=1
	s_delay_alu instid0(VALU_DEP_2) | instskip(NEXT) | instid1(VALU_DEP_1)
	v_clz_i32_u32_e32 v32, v10
	v_min_u32_e32 v32, 32, v32
	s_delay_alu instid0(VALU_DEP_1) | instskip(SKIP_1) | instid1(VALU_DEP_2)
	v_subrev_nc_u32_e32 v33, 28, v32
	v_sub_nc_u32_e32 v32, 29, v32
	v_lshlrev_b64_e32 v[36:37], v33, v[10:11]
	s_delay_alu instid0(VALU_DEP_1)
	v_and_b32_e32 v10, 7, v36
; %bb.289:                              ;   in Loop: Header=BB173_200 Depth=1
	s_or_b32 exec_lo, exec_lo, s16
	s_delay_alu instid0(VALU_DEP_1) | instskip(SKIP_1) | instid1(VALU_DEP_2)
	v_dual_lshlrev_b32 v33, 24, v35 :: v_dual_lshlrev_b32 v10, 20, v10
	v_lshl_add_u32 v32, v32, 23, 0x3c000000
	v_and_b32_e32 v33, 0x80000000, v33
	s_delay_alu instid0(VALU_DEP_1) | instskip(NEXT) | instid1(VALU_DEP_1)
	v_or3_b32 v10, v10, v33, v32
	v_mov_b64_e32 v[32:33], v[10:11]
.LBB173_290:                            ;   in Loop: Header=BB173_200 Depth=1
	s_or_b32 exec_lo, exec_lo, s15
.LBB173_291:                            ;   in Loop: Header=BB173_200 Depth=1
	s_delay_alu instid0(SALU_CYCLE_1)
	s_or_b32 exec_lo, exec_lo, s14
.LBB173_292:                            ;   in Loop: Header=BB173_200 Depth=1
	s_delay_alu instid0(SALU_CYCLE_1) | instskip(NEXT) | instid1(SALU_CYCLE_1)
	s_or_b32 exec_lo, exec_lo, s11
	s_mov_b32 s11, exec_lo
	v_cmpx_lt_u32_e32 0xffffff, v34
	s_cbranch_execz .LBB173_300
; %bb.293:                              ;   in Loop: Header=BB173_200 Depth=1
	v_mov_b64_e32 v[30:31], 0x8000000000000000
	v_lshrrev_b32_e32 v35, 24, v34
	s_mov_b32 s14, exec_lo
	s_delay_alu instid0(VALU_DEP_1)
	v_cmpx_ne_u32_e32 0x80, v35
	s_cbranch_execz .LBB173_299
; %bb.294:                              ;   in Loop: Header=BB173_200 Depth=1
	v_mov_b64_e32 v[30:31], 0x7f80000100000000
	v_bfe_u32 v34, v34, 24, 7
	s_mov_b32 s15, exec_lo
	s_delay_alu instid0(VALU_DEP_1)
	v_cmpx_ne_u32_e32 0x7f, v34
	s_cbranch_execz .LBB173_298
; %bb.295:                              ;   in Loop: Header=BB173_200 Depth=1
	v_dual_lshrrev_b32 v30, 3, v34 :: v_dual_bitop2_b32 v10, 7, v35 bitop3:0x40
	s_mov_b32 s16, exec_lo
	v_cmpx_gt_u32_e32 8, v34
; %bb.296:                              ;   in Loop: Header=BB173_200 Depth=1
	s_delay_alu instid0(VALU_DEP_2) | instskip(NEXT) | instid1(VALU_DEP_1)
	v_clz_i32_u32_e32 v30, v10
	v_min_u32_e32 v30, 32, v30
	s_delay_alu instid0(VALU_DEP_1) | instskip(NEXT) | instid1(VALU_DEP_1)
	v_subrev_nc_u32_e32 v31, 28, v30
	v_lshlrev_b64_e32 v[36:37], v31, v[10:11]
	s_delay_alu instid0(VALU_DEP_1)
	v_dual_sub_nc_u32 v30, 29, v30 :: v_dual_bitop2_b32 v10, 7, v36 bitop3:0x40
; %bb.297:                              ;   in Loop: Header=BB173_200 Depth=1
	s_or_b32 exec_lo, exec_lo, s16
	s_delay_alu instid0(VALU_DEP_1) | instskip(NEXT) | instid1(VALU_DEP_2)
	v_dual_lshlrev_b32 v31, 24, v35 :: v_dual_lshlrev_b32 v10, 20, v10
	v_lshl_add_u32 v30, v30, 23, 0x3c000000
	s_delay_alu instid0(VALU_DEP_2) | instskip(NEXT) | instid1(VALU_DEP_1)
	v_and_b32_e32 v31, 0x80000000, v31
	v_or3_b32 v31, v10, v31, v30
	v_mov_b32_e32 v30, v11
.LBB173_298:                            ;   in Loop: Header=BB173_200 Depth=1
	s_or_b32 exec_lo, exec_lo, s15
.LBB173_299:                            ;   in Loop: Header=BB173_200 Depth=1
	s_delay_alu instid0(SALU_CYCLE_1)
	s_or_b32 exec_lo, exec_lo, s14
.LBB173_300:                            ;   in Loop: Header=BB173_200 Depth=1
	s_delay_alu instid0(SALU_CYCLE_1)
	s_or_b32 exec_lo, exec_lo, s11
	v_mov_b64_e32 v[34:35], s[2:3]
	v_or_b32_e32 v27, v27, v29
	v_or_b32_e32 v26, v26, v28
	v_or_b32_e32 v31, v31, v33
	v_or_b32_e32 v30, v30, v32
	s_delay_alu instid0(VALU_DEP_3) | instskip(NEXT) | instid1(VALU_DEP_2)
	v_pk_mul_f32 v[28:29], v[34:35], v[26:27]
	v_pk_mul_f32 v[26:27], v[34:35], v[30:31]
	s_and_saveexec_b32 s11, vcc_lo
	s_cbranch_execz .LBB173_302
; %bb.301:                              ;   in Loop: Header=BB173_200 Depth=1
	v_cmp_gt_i32_e64 s0, s23, v44
	s_delay_alu instid0(VALU_DEP_1) | instskip(SKIP_1) | instid1(VALU_DEP_1)
	v_cndmask_b32_e64 v28, 0, v28, s0
	v_cmp_gt_i32_e64 s0, s23, v47
	v_cndmask_b32_e64 v29, 0, v29, s0
	v_cmp_gt_i32_e64 s0, s23, v39
	s_delay_alu instid0(VALU_DEP_1) | instskip(SKIP_1) | instid1(VALU_DEP_1)
	v_cndmask_b32_e64 v26, 0, v26, s0
	v_cmp_gt_i32_e64 s0, s23, v38
	v_cndmask_b32_e64 v27, 0, v27, s0
.LBB173_302:                            ;   in Loop: Header=BB173_200 Depth=1
	s_or_b32 exec_lo, exec_lo, s11
	global_load_b32 v48, v[20:21], off offset:384
	v_mov_b64_e32 v[30:31], 0
	v_mov_b64_e32 v[32:33], 0
	s_mov_b32 s11, exec_lo
	s_wait_loadcnt 0x0
	v_and_b32_e32 v10, 0xff, v48
	s_delay_alu instid0(VALU_DEP_1)
	v_cmpx_ne_u16_e32 0, v10
	s_cbranch_execz .LBB173_310
; %bb.303:                              ;   in Loop: Header=BB173_200 Depth=1
	v_mov_b64_e32 v[32:33], 0x80000000
	s_mov_b32 s14, exec_lo
	v_cmpx_ne_u16_e32 0x80, v10
	s_cbranch_execz .LBB173_309
; %bb.304:                              ;   in Loop: Header=BB173_200 Depth=1
	v_mov_b64_e32 v[32:33], 0x7f800001
	v_and_b32_e32 v34, 0x7f, v48
	s_mov_b32 s15, exec_lo
	s_delay_alu instid0(VALU_DEP_1)
	v_cmpx_ne_u32_e32 0x7f, v34
	s_cbranch_execz .LBB173_308
; %bb.305:                              ;   in Loop: Header=BB173_200 Depth=1
	v_dual_lshrrev_b32 v32, 3, v34 :: v_dual_bitop2_b32 v10, 7, v48 bitop3:0x40
	s_mov_b32 s16, exec_lo
	v_cmpx_gt_u32_e32 8, v34
; %bb.306:                              ;   in Loop: Header=BB173_200 Depth=1
	s_delay_alu instid0(VALU_DEP_2) | instskip(NEXT) | instid1(VALU_DEP_1)
	v_clz_i32_u32_e32 v32, v10
	v_min_u32_e32 v32, 32, v32
	s_delay_alu instid0(VALU_DEP_1) | instskip(NEXT) | instid1(VALU_DEP_1)
	v_subrev_nc_u32_e32 v33, 28, v32
	v_lshlrev_b64_e32 v[34:35], v33, v[10:11]
	s_delay_alu instid0(VALU_DEP_1)
	v_dual_sub_nc_u32 v32, 29, v32 :: v_dual_bitop2_b32 v10, 7, v34 bitop3:0x40
; %bb.307:                              ;   in Loop: Header=BB173_200 Depth=1
	s_or_b32 exec_lo, exec_lo, s16
	s_delay_alu instid0(VALU_DEP_1) | instskip(NEXT) | instid1(VALU_DEP_2)
	v_dual_lshlrev_b32 v33, 24, v48 :: v_dual_lshlrev_b32 v10, 20, v10
	v_lshl_add_u32 v32, v32, 23, 0x3c000000
	s_delay_alu instid0(VALU_DEP_2) | instskip(NEXT) | instid1(VALU_DEP_1)
	v_and_b32_e32 v33, 0x80000000, v33
	v_or3_b32 v10, v10, v33, v32
	s_delay_alu instid0(VALU_DEP_1)
	v_mov_b64_e32 v[32:33], v[10:11]
.LBB173_308:                            ;   in Loop: Header=BB173_200 Depth=1
	s_or_b32 exec_lo, exec_lo, s15
.LBB173_309:                            ;   in Loop: Header=BB173_200 Depth=1
	s_delay_alu instid0(SALU_CYCLE_1)
	s_or_b32 exec_lo, exec_lo, s14
.LBB173_310:                            ;   in Loop: Header=BB173_200 Depth=1
	s_delay_alu instid0(SALU_CYCLE_1) | instskip(SKIP_2) | instid1(VALU_DEP_1)
	s_or_b32 exec_lo, exec_lo, s11
	v_lshrrev_b16 v10, 8, v48
	s_mov_b32 s11, exec_lo
	v_cmpx_ne_u16_e32 0, v10
	s_cbranch_execz .LBB173_318
; %bb.311:                              ;   in Loop: Header=BB173_200 Depth=1
	v_mov_b64_e32 v[30:31], 0x8000000000000000
	s_mov_b32 s14, exec_lo
	v_cmpx_ne_u16_e32 0x80, v10
	s_cbranch_execz .LBB173_317
; %bb.312:                              ;   in Loop: Header=BB173_200 Depth=1
	v_and_b32_e32 v10, 0xffff, v10
	v_mov_b64_e32 v[30:31], 0x7f80000100000000
	s_mov_b32 s15, exec_lo
	s_delay_alu instid0(VALU_DEP_2) | instskip(NEXT) | instid1(VALU_DEP_1)
	v_and_b32_e32 v34, 0x7f, v10
	v_cmpx_ne_u32_e32 0x7f, v34
	s_cbranch_execz .LBB173_316
; %bb.313:                              ;   in Loop: Header=BB173_200 Depth=1
	v_and_b32_e32 v10, 7, v10
	v_lshrrev_b32_e32 v30, 3, v34
	s_mov_b32 s16, exec_lo
	v_cmpx_gt_u32_e32 8, v34
; %bb.314:                              ;   in Loop: Header=BB173_200 Depth=1
	s_delay_alu instid0(VALU_DEP_3) | instskip(NEXT) | instid1(VALU_DEP_1)
	v_clz_i32_u32_e32 v30, v10
	v_min_u32_e32 v30, 32, v30
	s_delay_alu instid0(VALU_DEP_1) | instskip(SKIP_1) | instid1(VALU_DEP_2)
	v_subrev_nc_u32_e32 v31, 28, v30
	v_sub_nc_u32_e32 v30, 29, v30
	v_lshlrev_b64_e32 v[34:35], v31, v[10:11]
	s_delay_alu instid0(VALU_DEP_1)
	v_and_b32_e32 v10, 7, v34
; %bb.315:                              ;   in Loop: Header=BB173_200 Depth=1
	s_or_b32 exec_lo, exec_lo, s16
	s_delay_alu instid0(VALU_DEP_1) | instskip(SKIP_1) | instid1(VALU_DEP_2)
	v_dual_lshlrev_b32 v31, 16, v48 :: v_dual_lshlrev_b32 v10, 20, v10
	v_lshl_add_u32 v30, v30, 23, 0x3c000000
	v_and_b32_e32 v31, 0x80000000, v31
	s_delay_alu instid0(VALU_DEP_1)
	v_or3_b32 v31, v10, v31, v30
	v_mov_b32_e32 v30, v11
.LBB173_316:                            ;   in Loop: Header=BB173_200 Depth=1
	s_or_b32 exec_lo, exec_lo, s15
.LBB173_317:                            ;   in Loop: Header=BB173_200 Depth=1
	s_delay_alu instid0(SALU_CYCLE_1)
	s_or_b32 exec_lo, exec_lo, s14
.LBB173_318:                            ;   in Loop: Header=BB173_200 Depth=1
	s_delay_alu instid0(SALU_CYCLE_1) | instskip(SKIP_4) | instid1(VALU_DEP_3)
	s_or_b32 exec_lo, exec_lo, s11
	v_lshrrev_b32_e32 v49, 16, v48
	v_mov_b64_e32 v[34:35], 0
	v_mov_b64_e32 v[36:37], 0
	s_mov_b32 s11, exec_lo
	v_and_b32_e32 v10, 0xff, v49
	s_delay_alu instid0(VALU_DEP_1)
	v_cmpx_ne_u16_e32 0, v10
	s_cbranch_execz .LBB173_326
; %bb.319:                              ;   in Loop: Header=BB173_200 Depth=1
	v_mov_b64_e32 v[36:37], 0x80000000
	s_mov_b32 s14, exec_lo
	v_cmpx_ne_u16_e32 0x80, v10
	s_cbranch_execz .LBB173_325
; %bb.320:                              ;   in Loop: Header=BB173_200 Depth=1
	v_mov_b64_e32 v[36:37], 0x7f800001
	v_bfe_u32 v50, v48, 16, 7
	s_mov_b32 s15, exec_lo
	s_delay_alu instid0(VALU_DEP_1)
	v_cmpx_ne_u32_e32 0x7f, v50
	s_cbranch_execz .LBB173_324
; %bb.321:                              ;   in Loop: Header=BB173_200 Depth=1
	v_dual_lshrrev_b32 v36, 3, v50 :: v_dual_bitop2_b32 v10, 7, v49 bitop3:0x40
	s_mov_b32 s16, exec_lo
	v_cmpx_gt_u32_e32 8, v50
; %bb.322:                              ;   in Loop: Header=BB173_200 Depth=1
	s_delay_alu instid0(VALU_DEP_2) | instskip(NEXT) | instid1(VALU_DEP_1)
	v_clz_i32_u32_e32 v36, v10
	v_min_u32_e32 v36, 32, v36
	s_delay_alu instid0(VALU_DEP_1) | instskip(NEXT) | instid1(VALU_DEP_1)
	v_subrev_nc_u32_e32 v37, 28, v36
	v_lshlrev_b64_e32 v[50:51], v37, v[10:11]
	s_delay_alu instid0(VALU_DEP_1)
	v_dual_sub_nc_u32 v36, 29, v36 :: v_dual_bitop2_b32 v10, 7, v50 bitop3:0x40
; %bb.323:                              ;   in Loop: Header=BB173_200 Depth=1
	s_or_b32 exec_lo, exec_lo, s16
	s_delay_alu instid0(VALU_DEP_1) | instskip(NEXT) | instid1(VALU_DEP_2)
	v_dual_lshlrev_b32 v37, 24, v49 :: v_dual_lshlrev_b32 v10, 20, v10
	v_lshl_add_u32 v36, v36, 23, 0x3c000000
	s_delay_alu instid0(VALU_DEP_2) | instskip(NEXT) | instid1(VALU_DEP_1)
	v_and_b32_e32 v37, 0x80000000, v37
	v_or3_b32 v10, v10, v37, v36
	s_delay_alu instid0(VALU_DEP_1)
	v_mov_b64_e32 v[36:37], v[10:11]
.LBB173_324:                            ;   in Loop: Header=BB173_200 Depth=1
	s_or_b32 exec_lo, exec_lo, s15
.LBB173_325:                            ;   in Loop: Header=BB173_200 Depth=1
	s_delay_alu instid0(SALU_CYCLE_1)
	s_or_b32 exec_lo, exec_lo, s14
.LBB173_326:                            ;   in Loop: Header=BB173_200 Depth=1
	s_delay_alu instid0(SALU_CYCLE_1) | instskip(NEXT) | instid1(SALU_CYCLE_1)
	s_or_b32 exec_lo, exec_lo, s11
	s_mov_b32 s11, exec_lo
	v_cmpx_lt_u32_e32 0xffffff, v48
	s_cbranch_execz .LBB173_334
; %bb.327:                              ;   in Loop: Header=BB173_200 Depth=1
	v_mov_b64_e32 v[34:35], 0x8000000000000000
	v_lshrrev_b32_e32 v49, 24, v48
	s_mov_b32 s14, exec_lo
	s_delay_alu instid0(VALU_DEP_1)
	v_cmpx_ne_u32_e32 0x80, v49
	s_cbranch_execz .LBB173_333
; %bb.328:                              ;   in Loop: Header=BB173_200 Depth=1
	v_mov_b64_e32 v[34:35], 0x7f80000100000000
	v_bfe_u32 v48, v48, 24, 7
	s_mov_b32 s15, exec_lo
	s_delay_alu instid0(VALU_DEP_1)
	v_cmpx_ne_u32_e32 0x7f, v48
	s_cbranch_execz .LBB173_332
; %bb.329:                              ;   in Loop: Header=BB173_200 Depth=1
	v_dual_lshrrev_b32 v34, 3, v48 :: v_dual_bitop2_b32 v10, 7, v49 bitop3:0x40
	s_mov_b32 s16, exec_lo
	v_cmpx_gt_u32_e32 8, v48
; %bb.330:                              ;   in Loop: Header=BB173_200 Depth=1
	s_delay_alu instid0(VALU_DEP_2) | instskip(NEXT) | instid1(VALU_DEP_1)
	v_clz_i32_u32_e32 v34, v10
	v_min_u32_e32 v34, 32, v34
	s_delay_alu instid0(VALU_DEP_1) | instskip(SKIP_1) | instid1(VALU_DEP_2)
	v_subrev_nc_u32_e32 v35, 28, v34
	v_sub_nc_u32_e32 v34, 29, v34
	v_lshlrev_b64_e32 v[50:51], v35, v[10:11]
	s_delay_alu instid0(VALU_DEP_1)
	v_and_b32_e32 v10, 7, v50
; %bb.331:                              ;   in Loop: Header=BB173_200 Depth=1
	s_or_b32 exec_lo, exec_lo, s16
	s_delay_alu instid0(VALU_DEP_1) | instskip(SKIP_1) | instid1(VALU_DEP_2)
	v_dual_lshlrev_b32 v35, 24, v49 :: v_dual_lshlrev_b32 v10, 20, v10
	v_lshl_add_u32 v34, v34, 23, 0x3c000000
	v_and_b32_e32 v35, 0x80000000, v35
	s_delay_alu instid0(VALU_DEP_1)
	v_or3_b32 v35, v10, v35, v34
	v_mov_b32_e32 v34, v11
.LBB173_332:                            ;   in Loop: Header=BB173_200 Depth=1
	s_or_b32 exec_lo, exec_lo, s15
.LBB173_333:                            ;   in Loop: Header=BB173_200 Depth=1
	s_delay_alu instid0(SALU_CYCLE_1)
	s_or_b32 exec_lo, exec_lo, s14
.LBB173_334:                            ;   in Loop: Header=BB173_200 Depth=1
	s_delay_alu instid0(SALU_CYCLE_1)
	s_or_b32 exec_lo, exec_lo, s11
	v_mov_b64_e32 v[48:49], s[2:3]
	v_or_b32_e32 v31, v31, v33
	v_or_b32_e32 v30, v30, v32
	v_or_b32_e32 v35, v35, v37
	v_or_b32_e32 v34, v34, v36
	s_delay_alu instid0(VALU_DEP_3) | instskip(NEXT) | instid1(VALU_DEP_2)
	v_pk_mul_f32 v[32:33], v[48:49], v[30:31]
	v_pk_mul_f32 v[30:31], v[48:49], v[34:35]
	s_and_saveexec_b32 s11, vcc_lo
	s_cbranch_execz .LBB173_336
; %bb.335:                              ;   in Loop: Header=BB173_200 Depth=1
	v_cmp_gt_i32_e64 s0, s23, v44
	s_delay_alu instid0(VALU_DEP_1) | instskip(SKIP_1) | instid1(VALU_DEP_1)
	v_cndmask_b32_e64 v32, 0, v32, s0
	v_cmp_gt_i32_e64 s0, s23, v47
	v_cndmask_b32_e64 v33, 0, v33, s0
	v_cmp_gt_i32_e64 s0, s23, v39
	s_delay_alu instid0(VALU_DEP_1) | instskip(SKIP_1) | instid1(VALU_DEP_1)
	v_cndmask_b32_e64 v30, 0, v30, s0
	v_cmp_gt_i32_e64 s0, s23, v38
	v_cndmask_b32_e64 v31, 0, v31, s0
.LBB173_336:                            ;   in Loop: Header=BB173_200 Depth=1
	s_or_b32 exec_lo, exec_lo, s11
	global_load_b32 v48, v[20:21], off offset:512
	s_wait_xcnt 0x0
	v_mov_b64_e32 v[20:21], 0
	v_mov_b64_e32 v[34:35], 0
	s_mov_b32 s11, exec_lo
	s_wait_loadcnt 0x0
	v_and_b32_e32 v10, 0xff, v48
	s_delay_alu instid0(VALU_DEP_1)
	v_cmpx_ne_u16_e32 0, v10
	s_cbranch_execz .LBB173_344
; %bb.337:                              ;   in Loop: Header=BB173_200 Depth=1
	v_mov_b64_e32 v[34:35], 0x80000000
	s_mov_b32 s14, exec_lo
	v_cmpx_ne_u16_e32 0x80, v10
	s_cbranch_execz .LBB173_343
; %bb.338:                              ;   in Loop: Header=BB173_200 Depth=1
	v_mov_b64_e32 v[34:35], 0x7f800001
	v_and_b32_e32 v36, 0x7f, v48
	s_mov_b32 s15, exec_lo
	s_delay_alu instid0(VALU_DEP_1)
	v_cmpx_ne_u32_e32 0x7f, v36
	s_cbranch_execz .LBB173_342
; %bb.339:                              ;   in Loop: Header=BB173_200 Depth=1
	v_and_b32_e32 v10, 7, v48
	v_lshrrev_b32_e32 v34, 3, v36
	s_mov_b32 s16, exec_lo
	v_cmpx_gt_u32_e32 8, v36
; %bb.340:                              ;   in Loop: Header=BB173_200 Depth=1
	s_delay_alu instid0(VALU_DEP_3) | instskip(NEXT) | instid1(VALU_DEP_1)
	v_clz_i32_u32_e32 v34, v10
	v_min_u32_e32 v34, 32, v34
	s_delay_alu instid0(VALU_DEP_1) | instskip(NEXT) | instid1(VALU_DEP_1)
	v_subrev_nc_u32_e32 v35, 28, v34
	v_lshlrev_b64_e32 v[36:37], v35, v[10:11]
	s_delay_alu instid0(VALU_DEP_1)
	v_dual_sub_nc_u32 v34, 29, v34 :: v_dual_bitop2_b32 v10, 7, v36 bitop3:0x40
; %bb.341:                              ;   in Loop: Header=BB173_200 Depth=1
	s_or_b32 exec_lo, exec_lo, s16
	s_delay_alu instid0(VALU_DEP_1) | instskip(NEXT) | instid1(VALU_DEP_2)
	v_dual_lshlrev_b32 v35, 24, v48 :: v_dual_lshlrev_b32 v10, 20, v10
	v_lshl_add_u32 v34, v34, 23, 0x3c000000
	s_delay_alu instid0(VALU_DEP_2) | instskip(NEXT) | instid1(VALU_DEP_1)
	v_and_b32_e32 v35, 0x80000000, v35
	v_or3_b32 v10, v10, v35, v34
	s_delay_alu instid0(VALU_DEP_1)
	v_mov_b64_e32 v[34:35], v[10:11]
.LBB173_342:                            ;   in Loop: Header=BB173_200 Depth=1
	s_or_b32 exec_lo, exec_lo, s15
.LBB173_343:                            ;   in Loop: Header=BB173_200 Depth=1
	s_delay_alu instid0(SALU_CYCLE_1)
	s_or_b32 exec_lo, exec_lo, s14
.LBB173_344:                            ;   in Loop: Header=BB173_200 Depth=1
	s_delay_alu instid0(SALU_CYCLE_1) | instskip(SKIP_2) | instid1(VALU_DEP_1)
	s_or_b32 exec_lo, exec_lo, s11
	v_lshrrev_b16 v10, 8, v48
	s_mov_b32 s11, exec_lo
	v_cmpx_ne_u16_e32 0, v10
	s_cbranch_execz .LBB173_352
; %bb.345:                              ;   in Loop: Header=BB173_200 Depth=1
	v_mov_b64_e32 v[20:21], 0x8000000000000000
	s_mov_b32 s14, exec_lo
	v_cmpx_ne_u16_e32 0x80, v10
	s_cbranch_execz .LBB173_351
; %bb.346:                              ;   in Loop: Header=BB173_200 Depth=1
	v_and_b32_e32 v10, 0xffff, v10
	v_mov_b64_e32 v[20:21], 0x7f80000100000000
	s_mov_b32 s15, exec_lo
	s_delay_alu instid0(VALU_DEP_2) | instskip(NEXT) | instid1(VALU_DEP_1)
	v_and_b32_e32 v36, 0x7f, v10
	v_cmpx_ne_u32_e32 0x7f, v36
	s_cbranch_execz .LBB173_350
; %bb.347:                              ;   in Loop: Header=BB173_200 Depth=1
	v_dual_lshrrev_b32 v20, 3, v36 :: v_dual_bitop2_b32 v10, 7, v10 bitop3:0x40
	s_mov_b32 s16, exec_lo
	v_cmpx_gt_u32_e32 8, v36
; %bb.348:                              ;   in Loop: Header=BB173_200 Depth=1
	s_delay_alu instid0(VALU_DEP_2) | instskip(NEXT) | instid1(VALU_DEP_1)
	v_clz_i32_u32_e32 v20, v10
	v_min_u32_e32 v20, 32, v20
	s_delay_alu instid0(VALU_DEP_1) | instskip(SKIP_1) | instid1(VALU_DEP_2)
	v_subrev_nc_u32_e32 v21, 28, v20
	v_sub_nc_u32_e32 v20, 29, v20
	v_lshlrev_b64_e32 v[36:37], v21, v[10:11]
	s_delay_alu instid0(VALU_DEP_1)
	v_and_b32_e32 v10, 7, v36
; %bb.349:                              ;   in Loop: Header=BB173_200 Depth=1
	s_or_b32 exec_lo, exec_lo, s16
	s_delay_alu instid0(VALU_DEP_1) | instskip(SKIP_1) | instid1(VALU_DEP_2)
	v_dual_lshlrev_b32 v21, 16, v48 :: v_dual_lshlrev_b32 v10, 20, v10
	v_lshl_add_u32 v20, v20, 23, 0x3c000000
	v_and_b32_e32 v21, 0x80000000, v21
	s_delay_alu instid0(VALU_DEP_1)
	v_or3_b32 v21, v10, v21, v20
	v_mov_b32_e32 v20, v11
.LBB173_350:                            ;   in Loop: Header=BB173_200 Depth=1
	s_or_b32 exec_lo, exec_lo, s15
.LBB173_351:                            ;   in Loop: Header=BB173_200 Depth=1
	s_delay_alu instid0(SALU_CYCLE_1)
	s_or_b32 exec_lo, exec_lo, s14
.LBB173_352:                            ;   in Loop: Header=BB173_200 Depth=1
	s_delay_alu instid0(SALU_CYCLE_1) | instskip(SKIP_4) | instid1(VALU_DEP_3)
	s_or_b32 exec_lo, exec_lo, s11
	v_lshrrev_b32_e32 v49, 16, v48
	v_mov_b64_e32 v[36:37], 0
	v_mov_b64_e32 v[38:39], 0
	s_mov_b32 s11, exec_lo
	v_and_b32_e32 v10, 0xff, v49
	s_delay_alu instid0(VALU_DEP_1)
	v_cmpx_ne_u16_e32 0, v10
	s_cbranch_execz .LBB173_360
; %bb.353:                              ;   in Loop: Header=BB173_200 Depth=1
	v_mov_b64_e32 v[38:39], 0x80000000
	s_mov_b32 s14, exec_lo
	v_cmpx_ne_u16_e32 0x80, v10
	s_cbranch_execz .LBB173_359
; %bb.354:                              ;   in Loop: Header=BB173_200 Depth=1
	v_mov_b64_e32 v[38:39], 0x7f800001
	v_bfe_u32 v50, v48, 16, 7
	s_mov_b32 s15, exec_lo
	s_delay_alu instid0(VALU_DEP_1)
	v_cmpx_ne_u32_e32 0x7f, v50
	s_cbranch_execz .LBB173_358
; %bb.355:                              ;   in Loop: Header=BB173_200 Depth=1
	v_dual_lshrrev_b32 v38, 3, v50 :: v_dual_bitop2_b32 v10, 7, v49 bitop3:0x40
	s_mov_b32 s16, exec_lo
	v_cmpx_gt_u32_e32 8, v50
; %bb.356:                              ;   in Loop: Header=BB173_200 Depth=1
	s_delay_alu instid0(VALU_DEP_2) | instskip(NEXT) | instid1(VALU_DEP_1)
	v_clz_i32_u32_e32 v38, v10
	v_min_u32_e32 v38, 32, v38
	s_delay_alu instid0(VALU_DEP_1) | instskip(SKIP_1) | instid1(VALU_DEP_2)
	v_subrev_nc_u32_e32 v39, 28, v38
	v_sub_nc_u32_e32 v38, 29, v38
	v_lshlrev_b64_e32 v[50:51], v39, v[10:11]
	s_delay_alu instid0(VALU_DEP_1)
	v_and_b32_e32 v10, 7, v50
; %bb.357:                              ;   in Loop: Header=BB173_200 Depth=1
	s_or_b32 exec_lo, exec_lo, s16
	s_delay_alu instid0(VALU_DEP_1) | instskip(SKIP_1) | instid1(VALU_DEP_2)
	v_dual_lshlrev_b32 v39, 24, v49 :: v_dual_lshlrev_b32 v10, 20, v10
	v_lshl_add_u32 v38, v38, 23, 0x3c000000
	v_and_b32_e32 v39, 0x80000000, v39
	s_delay_alu instid0(VALU_DEP_1) | instskip(NEXT) | instid1(VALU_DEP_1)
	v_or3_b32 v10, v10, v39, v38
	v_mov_b64_e32 v[38:39], v[10:11]
.LBB173_358:                            ;   in Loop: Header=BB173_200 Depth=1
	s_or_b32 exec_lo, exec_lo, s15
.LBB173_359:                            ;   in Loop: Header=BB173_200 Depth=1
	s_delay_alu instid0(SALU_CYCLE_1)
	s_or_b32 exec_lo, exec_lo, s14
.LBB173_360:                            ;   in Loop: Header=BB173_200 Depth=1
	s_delay_alu instid0(SALU_CYCLE_1) | instskip(NEXT) | instid1(SALU_CYCLE_1)
	s_or_b32 exec_lo, exec_lo, s11
	s_mov_b32 s11, exec_lo
	v_cmpx_lt_u32_e32 0xffffff, v48
	s_cbranch_execz .LBB173_368
; %bb.361:                              ;   in Loop: Header=BB173_200 Depth=1
	v_mov_b64_e32 v[36:37], 0x8000000000000000
	v_lshrrev_b32_e32 v49, 24, v48
	s_mov_b32 s14, exec_lo
	s_delay_alu instid0(VALU_DEP_1)
	v_cmpx_ne_u32_e32 0x80, v49
	s_cbranch_execz .LBB173_367
; %bb.362:                              ;   in Loop: Header=BB173_200 Depth=1
	v_mov_b64_e32 v[36:37], 0x7f80000100000000
	v_bfe_u32 v48, v48, 24, 7
	s_mov_b32 s15, exec_lo
	s_delay_alu instid0(VALU_DEP_1)
	v_cmpx_ne_u32_e32 0x7f, v48
	s_cbranch_execz .LBB173_366
; %bb.363:                              ;   in Loop: Header=BB173_200 Depth=1
	v_dual_lshrrev_b32 v36, 3, v48 :: v_dual_bitop2_b32 v10, 7, v49 bitop3:0x40
	s_mov_b32 s16, exec_lo
	v_cmpx_gt_u32_e32 8, v48
; %bb.364:                              ;   in Loop: Header=BB173_200 Depth=1
	s_delay_alu instid0(VALU_DEP_2) | instskip(NEXT) | instid1(VALU_DEP_1)
	v_clz_i32_u32_e32 v36, v10
	v_min_u32_e32 v36, 32, v36
	s_delay_alu instid0(VALU_DEP_1) | instskip(NEXT) | instid1(VALU_DEP_1)
	v_subrev_nc_u32_e32 v37, 28, v36
	v_lshlrev_b64_e32 v[50:51], v37, v[10:11]
	s_delay_alu instid0(VALU_DEP_1)
	v_dual_sub_nc_u32 v36, 29, v36 :: v_dual_bitop2_b32 v10, 7, v50 bitop3:0x40
; %bb.365:                              ;   in Loop: Header=BB173_200 Depth=1
	s_or_b32 exec_lo, exec_lo, s16
	s_delay_alu instid0(VALU_DEP_1) | instskip(NEXT) | instid1(VALU_DEP_2)
	v_dual_lshlrev_b32 v37, 24, v49 :: v_dual_lshlrev_b32 v10, 20, v10
	v_lshl_add_u32 v36, v36, 23, 0x3c000000
	s_delay_alu instid0(VALU_DEP_2) | instskip(NEXT) | instid1(VALU_DEP_1)
	v_and_b32_e32 v37, 0x80000000, v37
	v_or3_b32 v37, v10, v37, v36
	v_mov_b32_e32 v36, v11
.LBB173_366:                            ;   in Loop: Header=BB173_200 Depth=1
	s_or_b32 exec_lo, exec_lo, s15
.LBB173_367:                            ;   in Loop: Header=BB173_200 Depth=1
	s_delay_alu instid0(SALU_CYCLE_1)
	s_or_b32 exec_lo, exec_lo, s14
.LBB173_368:                            ;   in Loop: Header=BB173_200 Depth=1
	s_delay_alu instid0(SALU_CYCLE_1)
	s_or_b32 exec_lo, exec_lo, s11
	v_or_b32_e32 v21, v21, v35
	v_or_b32_e32 v20, v20, v34
	v_mov_b64_e32 v[34:35], s[2:3]
	v_or_b32_e32 v37, v37, v39
	v_or_b32_e32 v36, v36, v38
	s_delay_alu instid0(VALU_DEP_3) | instskip(NEXT) | instid1(VALU_DEP_2)
	v_pk_mul_f32 v[20:21], v[34:35], v[20:21]
	v_pk_mul_f32 v[34:35], v[34:35], v[36:37]
	s_and_saveexec_b32 s0, vcc_lo
	s_cbranch_execz .LBB173_199
; %bb.369:                              ;   in Loop: Header=BB173_200 Depth=1
	v_cmp_gt_i32_e32 vcc_lo, s10, v47
	v_dual_cndmask_b32 v21, 0, v21, vcc_lo :: v_dual_bitop2_b32 v10, 3, v44 bitop3:0x54
	v_cmp_gt_i32_e32 vcc_lo, s23, v44
	v_cndmask_b32_e32 v20, 0, v20, vcc_lo
	s_delay_alu instid0(VALU_DEP_3) | instskip(SKIP_1) | instid1(VALU_DEP_1)
	v_cmp_gt_i32_e32 vcc_lo, s10, v10
	v_dual_cndmask_b32 v35, 0, v35, vcc_lo :: v_dual_bitop2_b32 v36, 2, v44 bitop3:0x54
	v_cmp_gt_i32_e32 vcc_lo, s23, v36
	v_cndmask_b32_e32 v34, 0, v34, vcc_lo
	s_branch .LBB173_199
.LBB173_370:
	s_or_b32 exec_lo, exec_lo, s9
.LBB173_371:
	s_delay_alu instid0(SALU_CYCLE_1)
	s_or_b32 exec_lo, exec_lo, s1
	ds_bpermute_b32 v2, v41, v8
	ds_bpermute_b32 v3, v41, v9
	;; [unrolled: 1-line block ×4, first 2 shown]
	v_and_b32_e32 v14, 0x3c1, v0
	v_lshrrev_b32_e32 v10, 1, v40
	s_mov_b32 s0, exec_lo
	ds_bpermute_b32 v11, v41, v43
	s_wait_dscnt 0x0
	s_barrier_signal -1
	s_barrier_wait -1
	v_pk_add_f32 v[4:5], v[8:9], v[2:3]
	v_pk_add_f32 v[2:3], v[6:7], v[12:13]
	v_cmpx_ne_u32_e32 64, v14
	s_xor_b32 s0, exec_lo, s0
	s_delay_alu instid0(SALU_CYCLE_1)
	s_or_saveexec_b32 s0, s0
	v_add_f32_e32 v6, v43, v11
	v_lshl_add_u32 v7, v10, 2, 0x160
	v_mul_u32_u24_e32 v1, 0x140, v1
	s_xor_b32 exec_lo, exec_lo, s0
	s_cbranch_execz .LBB173_373
; %bb.372:
	s_delay_alu instid0(VALU_DEP_1) | instskip(NEXT) | instid1(VALU_DEP_1)
	v_add_nc_u32_e32 v8, v7, v1
	v_add_nc_u32_e32 v9, 0xfffffd80, v8
	;; [unrolled: 1-line block ×6, first 2 shown]
	ds_store_b32 v9, v4
	ds_store_b32 v11, v5
	;; [unrolled: 1-line block ×5, first 2 shown]
.LBB173_373:
	s_or_b32 exec_lo, exec_lo, s0
	v_lshlrev_b32_e32 v8, 2, v10
	s_mov_b32 s1, exec_lo
	v_cmp_eq_u32_e32 vcc_lo, 0, v42
	s_wait_dscnt 0x0
	s_barrier_signal -1
	v_add3_u32 v1, 0x160, v1, v8
	s_barrier_wait -1
	v_cmpx_gt_u32_e32 64, v0
	s_cbranch_execz .LBB173_381
; %bb.374:
	s_and_saveexec_b32 s0, vcc_lo
	s_cbranch_execnz .LBB173_394
; %bb.375:
	s_or_b32 exec_lo, exec_lo, s0
	s_and_saveexec_b32 s0, vcc_lo
	s_cbranch_execnz .LBB173_395
.LBB173_376:
	s_or_b32 exec_lo, exec_lo, s0
	s_and_saveexec_b32 s0, vcc_lo
	s_cbranch_execnz .LBB173_396
.LBB173_377:
	s_or_b32 exec_lo, exec_lo, s0
	s_and_saveexec_b32 s0, vcc_lo
	s_cbranch_execnz .LBB173_397
.LBB173_378:
	s_or_b32 exec_lo, exec_lo, s0
	s_and_saveexec_b32 s0, vcc_lo
	s_cbranch_execz .LBB173_380
.LBB173_379:
	ds_load_b32 v8, v1 offset:256
	s_wait_dscnt 0x0
	v_add_f32_e32 v6, v6, v8
.LBB173_380:
	s_or_b32 exec_lo, exec_lo, s0
.LBB173_381:
	s_delay_alu instid0(SALU_CYCLE_1) | instskip(SKIP_4) | instid1(VALU_DEP_1)
	s_or_b32 exec_lo, exec_lo, s1
	v_and_b32_e32 v8, 0x3e1, v0
	s_mov_b32 s1, exec_lo
	s_barrier_signal -1
	s_barrier_wait -1
	v_cmpx_eq_u32_e32 32, v8
	s_cbranch_execz .LBB173_383
; %bb.382:
	ds_store_2addr_b32 v7, v4, v5 offset1:16
	ds_store_2addr_b32 v7, v2, v3 offset0:32 offset1:48
	ds_store_b32 v7, v6 offset:256
.LBB173_383:
	s_or_b32 exec_lo, exec_lo, s1
	s_delay_alu instid0(SALU_CYCLE_1)
	s_mov_b32 s1, exec_lo
	s_wait_dscnt 0x0
	s_barrier_signal -1
	s_barrier_wait -1
	v_cmpx_gt_u32_e32 32, v0
	s_cbranch_execz .LBB173_391
; %bb.384:
	s_and_saveexec_b32 s0, vcc_lo
	s_cbranch_execnz .LBB173_398
; %bb.385:
	s_or_b32 exec_lo, exec_lo, s0
	s_and_saveexec_b32 s0, vcc_lo
	s_cbranch_execnz .LBB173_399
.LBB173_386:
	s_or_b32 exec_lo, exec_lo, s0
	s_and_saveexec_b32 s0, vcc_lo
	s_cbranch_execnz .LBB173_400
.LBB173_387:
	s_or_b32 exec_lo, exec_lo, s0
	s_and_saveexec_b32 s0, vcc_lo
	s_cbranch_execnz .LBB173_401
.LBB173_388:
	s_or_b32 exec_lo, exec_lo, s0
	s_and_saveexec_b32 s0, vcc_lo
	s_cbranch_execz .LBB173_390
.LBB173_389:
	ds_load_b32 v1, v1 offset:256
	s_wait_dscnt 0x0
	v_add_f32_e32 v6, v6, v1
.LBB173_390:
	s_or_b32 exec_lo, exec_lo, s0
.LBB173_391:
	s_delay_alu instid0(SALU_CYCLE_1)
	s_or_b32 exec_lo, exec_lo, s1
	s_mov_b32 s1, 0
	s_barrier_signal -1
	s_barrier_wait -1
	s_mov_b32 s0, exec_lo
	v_cmpx_eq_u32_e32 0, v8
	s_cbranch_execz .LBB173_393
; %bb.392:
	s_mul_i32 s0, s22, s8
	s_mul_i32 s2, s8, s12
	;; [unrolled: 1-line block ×3, first 2 shown]
	s_lshr_b32 s8, ttmp7, 16
	s_mul_i32 s6, s0, 0x50
	s_bfe_u32 s0, ttmp6, 0x40014
	s_ashr_i32 s7, s6, 31
	s_add_co_i32 s0, s0, 1
	s_lshl_b64 s[6:7], s[6:7], 2
	s_ashr_i32 s3, s2, 31
	s_wait_kmcnt 0x0
	s_add_nc_u64 s[4:5], s[4:5], s[6:7]
	s_mul_i32 s0, s8, s0
	s_bfe_u32 s6, ttmp6, 0x40008
	s_lshl_b64 s[2:3], s[2:3], 2
	s_add_co_i32 s6, s6, s0
	s_cmp_eq_u32 s20, 0
	v_lshlrev_b32_e32 v0, 1, v0
	s_cselect_b32 s0, s8, s6
	s_add_nc_u64 s[2:3], s[4:5], s[2:3]
	s_mulk_i32 s0, 0x140
	s_delay_alu instid0(SALU_CYCLE_1)
	s_add_nc_u64 s[0:1], s[2:3], s[0:1]
	s_clause 0x4
	global_store_b32 v0, v4, s[0:1]
	global_store_b32 v0, v5, s[0:1] offset:64
	global_store_b32 v0, v2, s[0:1] offset:128
	;; [unrolled: 1-line block ×4, first 2 shown]
.LBB173_393:
	s_endpgm
.LBB173_394:
	ds_load_b32 v8, v1
	s_wait_dscnt 0x0
	v_add_f32_e32 v4, v4, v8
	s_or_b32 exec_lo, exec_lo, s0
	s_and_saveexec_b32 s0, vcc_lo
	s_cbranch_execz .LBB173_376
.LBB173_395:
	ds_load_b32 v8, v1 offset:64
	s_wait_dscnt 0x0
	v_add_f32_e32 v5, v5, v8
	s_or_b32 exec_lo, exec_lo, s0
	s_and_saveexec_b32 s0, vcc_lo
	s_cbranch_execz .LBB173_377
.LBB173_396:
	ds_load_b32 v8, v1 offset:128
	s_wait_dscnt 0x0
	v_add_f32_e32 v2, v2, v8
	s_or_b32 exec_lo, exec_lo, s0
	s_and_saveexec_b32 s0, vcc_lo
	s_cbranch_execz .LBB173_378
.LBB173_397:
	ds_load_b32 v8, v1 offset:192
	s_wait_dscnt 0x0
	v_add_f32_e32 v3, v3, v8
	s_or_b32 exec_lo, exec_lo, s0
	s_and_saveexec_b32 s0, vcc_lo
	s_cbranch_execnz .LBB173_379
	s_branch .LBB173_380
.LBB173_398:
	ds_load_b32 v7, v1
	s_wait_dscnt 0x0
	v_add_f32_e32 v4, v4, v7
	s_or_b32 exec_lo, exec_lo, s0
	s_and_saveexec_b32 s0, vcc_lo
	s_cbranch_execz .LBB173_386
.LBB173_399:
	ds_load_b32 v7, v1 offset:64
	s_wait_dscnt 0x0
	v_add_f32_e32 v5, v5, v7
	s_or_b32 exec_lo, exec_lo, s0
	s_and_saveexec_b32 s0, vcc_lo
	s_cbranch_execz .LBB173_387
.LBB173_400:
	ds_load_b32 v7, v1 offset:128
	s_wait_dscnt 0x0
	v_add_f32_e32 v2, v2, v7
	s_or_b32 exec_lo, exec_lo, s0
	s_and_saveexec_b32 s0, vcc_lo
	s_cbranch_execz .LBB173_388
.LBB173_401:
	ds_load_b32 v7, v1 offset:192
	s_wait_dscnt 0x0
	v_add_f32_e32 v3, v3, v7
	s_or_b32 exec_lo, exec_lo, s0
	s_and_saveexec_b32 s0, vcc_lo
	s_cbranch_execnz .LBB173_389
	s_branch .LBB173_390
	.section	.rodata,"a",@progbits
	.p2align	6, 0x0
	.amdhsa_kernel _ZN4vllm25paged_attention_v1_kernelIfhLi80ELi8ELi128ELNS_18Fp8KVCacheDataTypeE1ELb0EEEvPT_PKS2_PKT0_S8_ifPKiSA_iPKfiiiSC_SC_iiiii
		.amdhsa_group_segment_fixed_size 352
		.amdhsa_private_segment_fixed_size 0
		.amdhsa_kernarg_size 384
		.amdhsa_user_sgpr_count 2
		.amdhsa_user_sgpr_dispatch_ptr 0
		.amdhsa_user_sgpr_queue_ptr 0
		.amdhsa_user_sgpr_kernarg_segment_ptr 1
		.amdhsa_user_sgpr_dispatch_id 0
		.amdhsa_user_sgpr_kernarg_preload_length 0
		.amdhsa_user_sgpr_kernarg_preload_offset 0
		.amdhsa_user_sgpr_private_segment_size 0
		.amdhsa_wavefront_size32 1
		.amdhsa_uses_dynamic_stack 0
		.amdhsa_enable_private_segment 0
		.amdhsa_system_sgpr_workgroup_id_x 1
		.amdhsa_system_sgpr_workgroup_id_y 1
		.amdhsa_system_sgpr_workgroup_id_z 1
		.amdhsa_system_sgpr_workgroup_info 0
		.amdhsa_system_vgpr_workitem_id 0
		.amdhsa_next_free_vgpr 62
		.amdhsa_next_free_sgpr 31
		.amdhsa_named_barrier_count 0
		.amdhsa_reserve_vcc 1
		.amdhsa_float_round_mode_32 0
		.amdhsa_float_round_mode_16_64 0
		.amdhsa_float_denorm_mode_32 3
		.amdhsa_float_denorm_mode_16_64 3
		.amdhsa_fp16_overflow 0
		.amdhsa_memory_ordered 1
		.amdhsa_forward_progress 1
		.amdhsa_inst_pref_size 110
		.amdhsa_round_robin_scheduling 0
		.amdhsa_exception_fp_ieee_invalid_op 0
		.amdhsa_exception_fp_denorm_src 0
		.amdhsa_exception_fp_ieee_div_zero 0
		.amdhsa_exception_fp_ieee_overflow 0
		.amdhsa_exception_fp_ieee_underflow 0
		.amdhsa_exception_fp_ieee_inexact 0
		.amdhsa_exception_int_div_zero 0
	.end_amdhsa_kernel
	.section	.text._ZN4vllm25paged_attention_v1_kernelIfhLi80ELi8ELi128ELNS_18Fp8KVCacheDataTypeE1ELb0EEEvPT_PKS2_PKT0_S8_ifPKiSA_iPKfiiiSC_SC_iiiii,"axG",@progbits,_ZN4vllm25paged_attention_v1_kernelIfhLi80ELi8ELi128ELNS_18Fp8KVCacheDataTypeE1ELb0EEEvPT_PKS2_PKT0_S8_ifPKiSA_iPKfiiiSC_SC_iiiii,comdat
.Lfunc_end173:
	.size	_ZN4vllm25paged_attention_v1_kernelIfhLi80ELi8ELi128ELNS_18Fp8KVCacheDataTypeE1ELb0EEEvPT_PKS2_PKT0_S8_ifPKiSA_iPKfiiiSC_SC_iiiii, .Lfunc_end173-_ZN4vllm25paged_attention_v1_kernelIfhLi80ELi8ELi128ELNS_18Fp8KVCacheDataTypeE1ELb0EEEvPT_PKS2_PKT0_S8_ifPKiSA_iPKfiiiSC_SC_iiiii
                                        ; -- End function
	.set _ZN4vllm25paged_attention_v1_kernelIfhLi80ELi8ELi128ELNS_18Fp8KVCacheDataTypeE1ELb0EEEvPT_PKS2_PKT0_S8_ifPKiSA_iPKfiiiSC_SC_iiiii.num_vgpr, 62
	.set _ZN4vllm25paged_attention_v1_kernelIfhLi80ELi8ELi128ELNS_18Fp8KVCacheDataTypeE1ELb0EEEvPT_PKS2_PKT0_S8_ifPKiSA_iPKfiiiSC_SC_iiiii.num_agpr, 0
	.set _ZN4vllm25paged_attention_v1_kernelIfhLi80ELi8ELi128ELNS_18Fp8KVCacheDataTypeE1ELb0EEEvPT_PKS2_PKT0_S8_ifPKiSA_iPKfiiiSC_SC_iiiii.numbered_sgpr, 31
	.set _ZN4vllm25paged_attention_v1_kernelIfhLi80ELi8ELi128ELNS_18Fp8KVCacheDataTypeE1ELb0EEEvPT_PKS2_PKT0_S8_ifPKiSA_iPKfiiiSC_SC_iiiii.num_named_barrier, 0
	.set _ZN4vllm25paged_attention_v1_kernelIfhLi80ELi8ELi128ELNS_18Fp8KVCacheDataTypeE1ELb0EEEvPT_PKS2_PKT0_S8_ifPKiSA_iPKfiiiSC_SC_iiiii.private_seg_size, 0
	.set _ZN4vllm25paged_attention_v1_kernelIfhLi80ELi8ELi128ELNS_18Fp8KVCacheDataTypeE1ELb0EEEvPT_PKS2_PKT0_S8_ifPKiSA_iPKfiiiSC_SC_iiiii.uses_vcc, 1
	.set _ZN4vllm25paged_attention_v1_kernelIfhLi80ELi8ELi128ELNS_18Fp8KVCacheDataTypeE1ELb0EEEvPT_PKS2_PKT0_S8_ifPKiSA_iPKfiiiSC_SC_iiiii.uses_flat_scratch, 0
	.set _ZN4vllm25paged_attention_v1_kernelIfhLi80ELi8ELi128ELNS_18Fp8KVCacheDataTypeE1ELb0EEEvPT_PKS2_PKT0_S8_ifPKiSA_iPKfiiiSC_SC_iiiii.has_dyn_sized_stack, 0
	.set _ZN4vllm25paged_attention_v1_kernelIfhLi80ELi8ELi128ELNS_18Fp8KVCacheDataTypeE1ELb0EEEvPT_PKS2_PKT0_S8_ifPKiSA_iPKfiiiSC_SC_iiiii.has_recursion, 0
	.set _ZN4vllm25paged_attention_v1_kernelIfhLi80ELi8ELi128ELNS_18Fp8KVCacheDataTypeE1ELb0EEEvPT_PKS2_PKT0_S8_ifPKiSA_iPKfiiiSC_SC_iiiii.has_indirect_call, 0
	.section	.AMDGPU.csdata,"",@progbits
; Kernel info:
; codeLenInByte = 14076
; TotalNumSgprs: 33
; NumVgprs: 62
; ScratchSize: 0
; MemoryBound: 0
; FloatMode: 240
; IeeeMode: 1
; LDSByteSize: 352 bytes/workgroup (compile time only)
; SGPRBlocks: 0
; VGPRBlocks: 3
; NumSGPRsForWavesPerEU: 33
; NumVGPRsForWavesPerEU: 62
; NamedBarCnt: 0
; Occupancy: 16
; WaveLimiterHint : 1
; COMPUTE_PGM_RSRC2:SCRATCH_EN: 0
; COMPUTE_PGM_RSRC2:USER_SGPR: 2
; COMPUTE_PGM_RSRC2:TRAP_HANDLER: 0
; COMPUTE_PGM_RSRC2:TGID_X_EN: 1
; COMPUTE_PGM_RSRC2:TGID_Y_EN: 1
; COMPUTE_PGM_RSRC2:TGID_Z_EN: 1
; COMPUTE_PGM_RSRC2:TIDIG_COMP_CNT: 0
	.section	.text._ZN4vllm25paged_attention_v1_kernelIfhLi96ELi8ELi128ELNS_18Fp8KVCacheDataTypeE1ELb0EEEvPT_PKS2_PKT0_S8_ifPKiSA_iPKfiiiSC_SC_iiiii,"axG",@progbits,_ZN4vllm25paged_attention_v1_kernelIfhLi96ELi8ELi128ELNS_18Fp8KVCacheDataTypeE1ELb0EEEvPT_PKS2_PKT0_S8_ifPKiSA_iPKfiiiSC_SC_iiiii,comdat
	.protected	_ZN4vllm25paged_attention_v1_kernelIfhLi96ELi8ELi128ELNS_18Fp8KVCacheDataTypeE1ELb0EEEvPT_PKS2_PKT0_S8_ifPKiSA_iPKfiiiSC_SC_iiiii ; -- Begin function _ZN4vllm25paged_attention_v1_kernelIfhLi96ELi8ELi128ELNS_18Fp8KVCacheDataTypeE1ELb0EEEvPT_PKS2_PKT0_S8_ifPKiSA_iPKfiiiSC_SC_iiiii
	.globl	_ZN4vllm25paged_attention_v1_kernelIfhLi96ELi8ELi128ELNS_18Fp8KVCacheDataTypeE1ELb0EEEvPT_PKS2_PKT0_S8_ifPKiSA_iPKfiiiSC_SC_iiiii
	.p2align	8
	.type	_ZN4vllm25paged_attention_v1_kernelIfhLi96ELi8ELi128ELNS_18Fp8KVCacheDataTypeE1ELb0EEEvPT_PKS2_PKT0_S8_ifPKiSA_iPKfiiiSC_SC_iiiii,@function
_ZN4vllm25paged_attention_v1_kernelIfhLi96ELi8ELi128ELNS_18Fp8KVCacheDataTypeE1ELb0EEEvPT_PKS2_PKT0_S8_ifPKiSA_iPKfiiiSC_SC_iiiii: ; @_ZN4vllm25paged_attention_v1_kernelIfhLi96ELi8ELi128ELNS_18Fp8KVCacheDataTypeE1ELb0EEEvPT_PKS2_PKT0_S8_ifPKiSA_iPKfiiiSC_SC_iiiii
; %bb.0:
	s_load_b64 s[18:19], s[0:1], 0x20
	s_bfe_u32 s3, ttmp6, 0x4000c
	s_bfe_u32 s5, ttmp6, 0x40010
	s_and_b32 s4, ttmp7, 0xffff
	s_add_co_i32 s3, s3, 1
	s_add_co_i32 s5, s5, 1
	s_and_b32 s2, ttmp6, 15
	s_bfe_u32 s6, ttmp6, 0x40004
	s_mul_i32 s3, ttmp9, s3
	s_mul_i32 s5, s4, s5
	s_getreg_b32 s20, hwreg(HW_REG_IB_STS2, 6, 4)
	s_add_co_i32 s2, s2, s3
	s_add_co_i32 s3, s6, s5
	s_cmp_eq_u32 s20, 0
	s_clause 0x1
	s_load_b32 s21, s[0:1], 0x80
	s_load_b64 s[6:7], s[0:1], 0x30
	s_cselect_b32 s22, s4, s3
	s_cselect_b32 s2, ttmp9, s2
	s_wait_kmcnt 0x0
	s_abs_i32 s3, s18
	s_delay_alu instid0(SALU_CYCLE_1) | instskip(SKIP_1) | instid1(SALU_CYCLE_2)
	s_cvt_f32_u32 s4, s3
	s_sub_co_i32 s5, 0, s3
	v_rcp_iflag_f32_e32 v1, s4
	s_abs_i32 s8, s21
	v_nop
	s_delay_alu instid0(TRANS32_DEP_1) | instskip(SKIP_1) | instid1(SALU_CYCLE_3)
	v_readfirstlane_b32 s4, v1
	s_mul_f32 s4, s4, 0x4f7ffffe
	s_cvt_u32_f32 s4, s4
	s_delay_alu instid0(SALU_CYCLE_3) | instskip(NEXT) | instid1(SALU_CYCLE_1)
	s_mul_i32 s5, s5, s4
	s_mul_hi_u32 s5, s4, s5
	s_delay_alu instid0(SALU_CYCLE_1) | instskip(SKIP_4) | instid1(SALU_CYCLE_1)
	s_add_co_i32 s4, s4, s5
	s_xor_b32 s5, s21, s18
	s_mul_hi_u32 s4, s8, s4
	s_ashr_i32 s5, s5, 31
	s_mul_i32 s9, s4, s3
	s_sub_co_i32 s8, s8, s9
	s_add_co_i32 s9, s4, 1
	s_sub_co_i32 s10, s8, s3
	s_cmp_ge_u32 s8, s3
	s_cselect_b32 s4, s9, s4
	s_cselect_b32 s8, s10, s8
	s_add_co_i32 s9, s4, 1
	s_cmp_ge_u32 s8, s3
	s_cselect_b32 s3, s9, s4
	s_load_b64 s[8:9], s[0:1], 0x40
	s_xor_b32 s3, s3, s5
	s_delay_alu instid0(SALU_CYCLE_1)
	s_sub_co_i32 s14, s3, s5
	s_mov_b32 s5, 0
	s_abs_i32 s11, s14
	s_mov_b32 s13, s5
	s_cvt_f32_u32 s3, s11
	s_sub_co_i32 s4, 0, s11
	s_mov_b32 s18, s5
	s_delay_alu instid0(SALU_CYCLE_1) | instskip(SKIP_1) | instid1(TRANS32_DEP_1)
	v_rcp_iflag_f32_e32 v1, s3
	v_nop
	v_readfirstlane_b32 s3, v1
	s_mul_f32 s3, s3, 0x4f7ffffe
	s_delay_alu instid0(SALU_CYCLE_3) | instskip(NEXT) | instid1(SALU_CYCLE_3)
	s_cvt_u32_f32 s3, s3
	s_mul_i32 s4, s4, s3
	s_delay_alu instid0(SALU_CYCLE_1)
	s_mul_hi_u32 s10, s3, s4
	s_abs_i32 s4, s2
	s_add_co_i32 s12, s3, s10
	s_wait_kmcnt 0x0
	s_cmp_eq_u64 s[8:9], 0
	s_cbranch_scc1 .LBB174_2
; %bb.1:
	s_ashr_i32 s3, s2, 31
	s_delay_alu instid0(SALU_CYCLE_1) | instskip(NEXT) | instid1(SALU_CYCLE_1)
	s_lshl_b64 s[16:17], s[2:3], 2
	s_add_nc_u64 s[8:9], s[8:9], s[16:17]
	s_load_b32 s18, s[8:9], 0x0
.LBB174_2:
	s_load_b32 s23, s[6:7], s22 offset:0x0 scale_offset
	s_wait_xcnt 0x0
	s_load_b96 s[8:10], s[0:1], 0x48
	v_and_b32_e32 v28, 3, v0
	s_ashr_i32 s3, s2, 31
	s_ashr_i32 s14, s14, 31
	s_mul_u64 s[6:7], s[4:5], s[12:13]
	s_mul_i32 s12, s2, 0x60
	s_mov_b32 s2, exec_lo
	v_cmpx_gt_u32_e32 0x60, v0
	s_cbranch_execz .LBB174_4
; %bb.3:
	s_load_b64 s[16:17], s[0:1], 0x8
	s_wait_kmcnt 0x0
	s_mul_i32 s24, s8, s22
	s_ashr_i32 s13, s12, 31
	s_ashr_i32 s25, s24, 31
	v_and_b32_e32 v2, 0x3fc, v0
	s_lshl_b64 s[24:25], s[24:25], 2
	s_delay_alu instid0(VALU_DEP_1) | instskip(SKIP_2) | instid1(SALU_CYCLE_1)
	v_mad_u32_u24 v2, 0x60, v28, v2
	s_add_nc_u64 s[16:17], s[16:17], s[24:25]
	s_lshl_b64 s[24:25], s[12:13], 2
	s_add_nc_u64 s[16:17], s[16:17], s[24:25]
	global_load_b32 v1, v0, s[16:17] scale_offset
	s_wait_loadcnt 0x0
	ds_store_b32 v2, v1
.LBB174_4:
	s_or_b32 exec_lo, exec_lo, s2
	s_wait_kmcnt 0x0
	s_add_co_i32 s2, s23, 7
	s_load_b32 s5, s[0:1], 0x38
	s_ashr_i32 s6, s2, 31
	s_mul_i32 s8, s7, s11
	s_lshr_b32 s6, s6, 29
	s_sub_co_i32 s4, s4, s8
	s_add_co_i32 s2, s2, s6
	s_xor_b32 s3, s3, s14
	s_ashr_i32 s13, s2, 3
	s_add_co_i32 s2, s7, 1
	s_sub_co_i32 s6, s4, s11
	s_cmp_ge_u32 s4, s11
	v_lshrrev_b32_e32 v1, 5, v0
	s_cselect_b32 s2, s2, s7
	s_cselect_b32 s4, s6, s4
	s_add_co_i32 s6, s2, 1
	s_cmp_ge_u32 s4, s11
	v_mbcnt_lo_u32_b32 v35, -1, 0
	s_cselect_b32 s2, s6, s2
	s_mov_b32 s4, exec_lo
	s_xor_b32 s2, s2, s3
	s_wait_kmcnt 0x0
	s_mul_i32 s14, s5, s22
	s_sub_co_i32 s3, s2, s3
	v_cmp_gt_i32_e64 s2, s13, v1
	s_ashr_i32 s15, s14, 31
	s_wait_dscnt 0x0
	s_barrier_signal -1
	s_barrier_wait -1
                                        ; implicit-def: $vgpr27
                                        ; implicit-def: $vgpr36
	v_cmpx_le_i32_e64 s13, v1
	s_xor_b32 s4, exec_lo, s4
; %bb.5:
	v_dual_mov_b32 v27, 0 :: v_dual_mov_b32 v36, 32
	v_mbcnt_lo_u32_b32 v35, -1, 0
                                        ; implicit-def: $vgpr28
; %bb.6:
	s_or_saveexec_b32 s24, s4
	s_clause 0x2
	s_load_b32 s8, s[0:1], 0x88
	s_load_b64 s[16:17], s[0:1], 0x28
	s_load_b128 s[4:7], s[0:1], 0x58
	v_dual_mov_b32 v37, 0xff7fffff :: v_dual_lshrrev_b32 v34, 3, v0
	s_mul_i32 s10, s3, s10
	s_xor_b32 exec_lo, exec_lo, s24
	s_cbranch_execz .LBB174_204
; %bb.7:
	s_load_b64 s[26:27], s[0:1], 0x10
	v_bfe_u32 v32, v0, 2, 3
	v_xor_b32_e32 v29, 2, v35
	v_mul_u32_u24_e32 v22, 0x60, v28
	v_dual_mov_b32 v27, 0 :: v_dual_mov_b32 v36, 32
	s_delay_alu instid0(VALU_DEP_4) | instskip(NEXT) | instid1(VALU_DEP_4)
	v_lshlrev_b32_e32 v26, 4, v32
	v_cmp_gt_i32_e64 s3, 32, v29
	v_xor_b32_e32 v33, 1, v35
	s_wait_kmcnt 0x0
	s_load_b32 s5, s[4:5], 0x0
	ds_load_b128 v[2:5], v22
	ds_load_b128 v[6:9], v22 offset:16
	ds_load_b128 v[10:13], v22 offset:32
	;; [unrolled: 1-line block ×5, first 2 shown]
	s_ashr_i32 s11, s10, 31
	v_cndmask_b32_e64 v37, v35, v29, s3
	v_cmp_gt_i32_e64 s3, 32, v33
	v_mov_b32_e32 v29, v27
	s_cmp_neq_f32 s18, 0
	v_cmp_eq_u32_e32 vcc_lo, 0, v28
	v_lshlrev_b32_e32 v38, 2, v37
	v_lshl_or_b32 v40, v1, 3, v32
	v_mov_b32_e32 v37, 0xff7fffff
	s_add_nc_u64 s[26:27], s[26:27], s[10:11]
	s_mov_b32 s25, s9
	v_add_nc_u64_e32 v[30:31], s[26:27], v[26:27]
	v_dual_cndmask_b32 v26, v35, v33, s3 :: v_dual_lshlrev_b32 v33, 2, v32
	s_cselect_b32 s3, -1, 0
	s_lshl_b64 s[26:27], s[14:15], 2
	s_delay_alu instid0(VALU_DEP_1) | instskip(NEXT) | instid1(VALU_DEP_3)
	v_dual_mov_b32 v42, v1 :: v_dual_lshlrev_b32 v39, 2, v26
	v_add_nc_u64_e32 v[28:29], v[30:31], v[28:29]
	v_lshl_or_b32 v30, v1, 5, v33
	v_and_b32_e32 v26, 0x7c, v34
	s_add_nc_u64 s[26:27], s[16:17], s[26:27]
	s_mov_b32 s11, 0
	s_delay_alu instid0(VALU_DEP_2) | instskip(NEXT) | instid1(VALU_DEP_2)
	v_add_nc_u32_e32 v41, 0x1a0, v30
	v_add_nc_u64_e32 v[30:31], s[26:27], v[26:27]
	s_sub_co_i32 s26, 1, s23
	s_branch .LBB174_9
.LBB174_8:                              ;   in Loop: Header=BB174_9 Depth=1
	s_or_b32 exec_lo, exec_lo, s27
	v_dual_add_nc_u32 v42, 4, v42 :: v_dual_add_nc_u32 v40, 32, v40
	v_add_nc_u64_e32 v[30:31], 16, v[30:31]
	v_add_nc_u32_e32 v41, 0x80, v41
	s_delay_alu instid0(VALU_DEP_3) | instskip(SKIP_1) | instid1(SALU_CYCLE_1)
	v_cmp_le_i32_e64 s4, s13, v42
	s_or_b32 s11, s4, s11
	s_and_not1_b32 exec_lo, exec_lo, s11
	s_cbranch_execz .LBB174_203
.LBB174_9:                              ; =>This Inner Loop Header: Depth=1
	global_load_b32 v26, v[30:31], off
	v_dual_mov_b32 v43, 0 :: v_dual_mov_b32 v44, 0
	s_mov_b32 s27, exec_lo
	s_wait_loadcnt_dscnt 0x0
	v_mad_nc_i64_i32 v[32:33], v26, s25, v[28:29]
	global_load_u8 v45, v[32:33], off
	s_wait_loadcnt 0x0
	s_wait_xcnt 0x0
	v_cmpx_ne_u16_e32 0, v45
	s_cbranch_execz .LBB174_17
; %bb.10:                               ;   in Loop: Header=BB174_9 Depth=1
	v_bfrev_b32_e32 v44, 1
	s_mov_b32 s28, exec_lo
	v_cmpx_ne_u16_e32 0x80, v45
	s_cbranch_execz .LBB174_16
; %bb.11:                               ;   in Loop: Header=BB174_9 Depth=1
	v_and_b32_e32 v26, 0xffff, v45
	v_mov_b32_e32 v44, 0x7f800001
	s_mov_b32 s29, exec_lo
	s_delay_alu instid0(VALU_DEP_2) | instskip(NEXT) | instid1(VALU_DEP_1)
	v_and_b32_e32 v46, 0x7f, v26
	v_cmpx_ne_u32_e32 0x7f, v46
	s_cbranch_execz .LBB174_15
; %bb.12:                               ;   in Loop: Header=BB174_9 Depth=1
	v_and_b32_e32 v26, 7, v26
	v_lshrrev_b32_e32 v44, 3, v46
	s_mov_b32 s30, exec_lo
	v_cmpx_gt_u32_e32 8, v46
; %bb.13:                               ;   in Loop: Header=BB174_9 Depth=1
	s_delay_alu instid0(VALU_DEP_3) | instskip(NEXT) | instid1(VALU_DEP_1)
	v_clz_i32_u32_e32 v44, v26
	v_min_u32_e32 v44, 32, v44
	s_delay_alu instid0(VALU_DEP_1) | instskip(NEXT) | instid1(VALU_DEP_1)
	v_subrev_nc_u32_e32 v46, 28, v44
	v_lshlrev_b64_e32 v[46:47], v46, v[26:27]
	s_delay_alu instid0(VALU_DEP_1)
	v_dual_sub_nc_u32 v44, 29, v44 :: v_dual_bitop2_b32 v26, 7, v46 bitop3:0x40
; %bb.14:                               ;   in Loop: Header=BB174_9 Depth=1
	s_or_b32 exec_lo, exec_lo, s30
	s_delay_alu instid0(VALU_DEP_1) | instskip(NEXT) | instid1(VALU_DEP_2)
	v_dual_lshlrev_b32 v45, 24, v45 :: v_dual_lshlrev_b32 v26, 20, v26
	v_lshl_add_u32 v44, v44, 23, 0x3c000000
	s_delay_alu instid0(VALU_DEP_2) | instskip(NEXT) | instid1(VALU_DEP_1)
	v_and_b32_e32 v45, 0x80000000, v45
	v_or3_b32 v44, v26, v45, v44
.LBB174_15:                             ;   in Loop: Header=BB174_9 Depth=1
	s_or_b32 exec_lo, exec_lo, s29
.LBB174_16:                             ;   in Loop: Header=BB174_9 Depth=1
	s_delay_alu instid0(SALU_CYCLE_1)
	s_or_b32 exec_lo, exec_lo, s28
.LBB174_17:                             ;   in Loop: Header=BB174_9 Depth=1
	s_delay_alu instid0(SALU_CYCLE_1)
	s_or_b32 exec_lo, exec_lo, s27
	global_load_u8 v45, v[32:33], off offset:4
	s_mov_b32 s27, exec_lo
	s_wait_loadcnt 0x0
	v_cmpx_ne_u16_e32 0, v45
	s_cbranch_execz .LBB174_25
; %bb.18:                               ;   in Loop: Header=BB174_9 Depth=1
	v_bfrev_b32_e32 v43, 1
	s_mov_b32 s28, exec_lo
	v_cmpx_ne_u16_e32 0x80, v45
	s_cbranch_execz .LBB174_24
; %bb.19:                               ;   in Loop: Header=BB174_9 Depth=1
	v_and_b32_e32 v26, 0xffff, v45
	v_mov_b32_e32 v43, 0x7f800001
	s_mov_b32 s29, exec_lo
	s_delay_alu instid0(VALU_DEP_2) | instskip(NEXT) | instid1(VALU_DEP_1)
	v_and_b32_e32 v46, 0x7f, v26
	v_cmpx_ne_u32_e32 0x7f, v46
	s_cbranch_execz .LBB174_23
; %bb.20:                               ;   in Loop: Header=BB174_9 Depth=1
	v_and_b32_e32 v26, 7, v26
	v_lshrrev_b32_e32 v43, 3, v46
	s_mov_b32 s30, exec_lo
	v_cmpx_gt_u32_e32 8, v46
; %bb.21:                               ;   in Loop: Header=BB174_9 Depth=1
	s_delay_alu instid0(VALU_DEP_3) | instskip(NEXT) | instid1(VALU_DEP_1)
	v_clz_i32_u32_e32 v43, v26
	v_min_u32_e32 v43, 32, v43
	s_delay_alu instid0(VALU_DEP_1) | instskip(NEXT) | instid1(VALU_DEP_1)
	v_subrev_nc_u32_e32 v46, 28, v43
	v_lshlrev_b64_e32 v[46:47], v46, v[26:27]
	s_delay_alu instid0(VALU_DEP_1)
	v_dual_sub_nc_u32 v43, 29, v43 :: v_dual_bitop2_b32 v26, 7, v46 bitop3:0x40
; %bb.22:                               ;   in Loop: Header=BB174_9 Depth=1
	s_or_b32 exec_lo, exec_lo, s30
	s_delay_alu instid0(VALU_DEP_1) | instskip(NEXT) | instid1(VALU_DEP_2)
	v_dual_lshlrev_b32 v45, 24, v45 :: v_dual_lshlrev_b32 v26, 20, v26
	v_lshl_add_u32 v43, v43, 23, 0x3c000000
	s_delay_alu instid0(VALU_DEP_2) | instskip(NEXT) | instid1(VALU_DEP_1)
	v_and_b32_e32 v45, 0x80000000, v45
	v_or3_b32 v43, v26, v45, v43
.LBB174_23:                             ;   in Loop: Header=BB174_9 Depth=1
	s_or_b32 exec_lo, exec_lo, s29
.LBB174_24:                             ;   in Loop: Header=BB174_9 Depth=1
	s_delay_alu instid0(SALU_CYCLE_1)
	s_or_b32 exec_lo, exec_lo, s28
.LBB174_25:                             ;   in Loop: Header=BB174_9 Depth=1
	s_delay_alu instid0(SALU_CYCLE_1)
	s_or_b32 exec_lo, exec_lo, s27
	global_load_u8 v47, v[32:33], off offset:8
	v_dual_mov_b32 v45, 0 :: v_dual_mov_b32 v46, 0
	s_mov_b32 s27, exec_lo
	s_wait_loadcnt 0x0
	v_cmpx_ne_u16_e32 0, v47
	s_cbranch_execz .LBB174_33
; %bb.26:                               ;   in Loop: Header=BB174_9 Depth=1
	v_bfrev_b32_e32 v46, 1
	s_mov_b32 s28, exec_lo
	v_cmpx_ne_u16_e32 0x80, v47
	s_cbranch_execz .LBB174_32
; %bb.27:                               ;   in Loop: Header=BB174_9 Depth=1
	v_and_b32_e32 v26, 0xffff, v47
	v_mov_b32_e32 v46, 0x7f800001
	s_mov_b32 s29, exec_lo
	s_delay_alu instid0(VALU_DEP_2) | instskip(NEXT) | instid1(VALU_DEP_1)
	v_and_b32_e32 v48, 0x7f, v26
	v_cmpx_ne_u32_e32 0x7f, v48
	s_cbranch_execz .LBB174_31
; %bb.28:                               ;   in Loop: Header=BB174_9 Depth=1
	v_dual_lshrrev_b32 v46, 3, v48 :: v_dual_bitop2_b32 v26, 7, v26 bitop3:0x40
	s_mov_b32 s30, exec_lo
	v_cmpx_gt_u32_e32 8, v48
; %bb.29:                               ;   in Loop: Header=BB174_9 Depth=1
	s_delay_alu instid0(VALU_DEP_2) | instskip(NEXT) | instid1(VALU_DEP_1)
	v_clz_i32_u32_e32 v46, v26
	v_min_u32_e32 v46, 32, v46
	s_delay_alu instid0(VALU_DEP_1) | instskip(NEXT) | instid1(VALU_DEP_1)
	v_subrev_nc_u32_e32 v48, 28, v46
	v_lshlrev_b64_e32 v[48:49], v48, v[26:27]
	s_delay_alu instid0(VALU_DEP_1)
	v_dual_sub_nc_u32 v46, 29, v46 :: v_dual_bitop2_b32 v26, 7, v48 bitop3:0x40
; %bb.30:                               ;   in Loop: Header=BB174_9 Depth=1
	s_or_b32 exec_lo, exec_lo, s30
	s_delay_alu instid0(VALU_DEP_1) | instskip(NEXT) | instid1(VALU_DEP_2)
	v_dual_lshlrev_b32 v47, 24, v47 :: v_dual_lshlrev_b32 v26, 20, v26
	v_lshl_add_u32 v46, v46, 23, 0x3c000000
	s_delay_alu instid0(VALU_DEP_2) | instskip(NEXT) | instid1(VALU_DEP_1)
	v_and_b32_e32 v47, 0x80000000, v47
	v_or3_b32 v46, v26, v47, v46
.LBB174_31:                             ;   in Loop: Header=BB174_9 Depth=1
	s_or_b32 exec_lo, exec_lo, s29
.LBB174_32:                             ;   in Loop: Header=BB174_9 Depth=1
	s_delay_alu instid0(SALU_CYCLE_1)
	s_or_b32 exec_lo, exec_lo, s28
.LBB174_33:                             ;   in Loop: Header=BB174_9 Depth=1
	s_delay_alu instid0(SALU_CYCLE_1)
	s_or_b32 exec_lo, exec_lo, s27
	global_load_u8 v47, v[32:33], off offset:12
	s_mov_b32 s27, exec_lo
	s_wait_loadcnt 0x0
	v_cmpx_ne_u16_e32 0, v47
	s_cbranch_execz .LBB174_41
; %bb.34:                               ;   in Loop: Header=BB174_9 Depth=1
	v_bfrev_b32_e32 v45, 1
	s_mov_b32 s28, exec_lo
	v_cmpx_ne_u16_e32 0x80, v47
	s_cbranch_execz .LBB174_40
; %bb.35:                               ;   in Loop: Header=BB174_9 Depth=1
	v_and_b32_e32 v26, 0xffff, v47
	v_mov_b32_e32 v45, 0x7f800001
	s_mov_b32 s29, exec_lo
	s_delay_alu instid0(VALU_DEP_2) | instskip(NEXT) | instid1(VALU_DEP_1)
	v_and_b32_e32 v48, 0x7f, v26
	v_cmpx_ne_u32_e32 0x7f, v48
	s_cbranch_execz .LBB174_39
; %bb.36:                               ;   in Loop: Header=BB174_9 Depth=1
	v_dual_lshrrev_b32 v45, 3, v48 :: v_dual_bitop2_b32 v26, 7, v26 bitop3:0x40
	s_mov_b32 s30, exec_lo
	v_cmpx_gt_u32_e32 8, v48
; %bb.37:                               ;   in Loop: Header=BB174_9 Depth=1
	s_delay_alu instid0(VALU_DEP_2) | instskip(NEXT) | instid1(VALU_DEP_1)
	v_clz_i32_u32_e32 v45, v26
	v_min_u32_e32 v45, 32, v45
	s_delay_alu instid0(VALU_DEP_1) | instskip(NEXT) | instid1(VALU_DEP_1)
	v_subrev_nc_u32_e32 v48, 28, v45
	v_lshlrev_b64_e32 v[48:49], v48, v[26:27]
	s_delay_alu instid0(VALU_DEP_1)
	v_dual_sub_nc_u32 v45, 29, v45 :: v_dual_bitop2_b32 v26, 7, v48 bitop3:0x40
; %bb.38:                               ;   in Loop: Header=BB174_9 Depth=1
	s_or_b32 exec_lo, exec_lo, s30
	s_delay_alu instid0(VALU_DEP_1) | instskip(NEXT) | instid1(VALU_DEP_2)
	v_dual_lshlrev_b32 v47, 24, v47 :: v_dual_lshlrev_b32 v26, 20, v26
	v_lshl_add_u32 v45, v45, 23, 0x3c000000
	s_delay_alu instid0(VALU_DEP_2) | instskip(NEXT) | instid1(VALU_DEP_1)
	v_and_b32_e32 v47, 0x80000000, v47
	v_or3_b32 v45, v26, v47, v45
.LBB174_39:                             ;   in Loop: Header=BB174_9 Depth=1
	s_or_b32 exec_lo, exec_lo, s29
.LBB174_40:                             ;   in Loop: Header=BB174_9 Depth=1
	s_delay_alu instid0(SALU_CYCLE_1)
	s_or_b32 exec_lo, exec_lo, s28
.LBB174_41:                             ;   in Loop: Header=BB174_9 Depth=1
	s_delay_alu instid0(SALU_CYCLE_1)
	s_or_b32 exec_lo, exec_lo, s27
	global_load_u8 v49, v[32:33], off offset:128
	v_dual_mov_b32 v47, 0 :: v_dual_mov_b32 v48, 0
	s_mov_b32 s27, exec_lo
	s_wait_loadcnt 0x0
	v_cmpx_ne_u16_e32 0, v49
	s_cbranch_execz .LBB174_49
; %bb.42:                               ;   in Loop: Header=BB174_9 Depth=1
	v_bfrev_b32_e32 v48, 1
	s_mov_b32 s28, exec_lo
	v_cmpx_ne_u16_e32 0x80, v49
	s_cbranch_execz .LBB174_48
; %bb.43:                               ;   in Loop: Header=BB174_9 Depth=1
	v_and_b32_e32 v26, 0xffff, v49
	v_mov_b32_e32 v48, 0x7f800001
	s_mov_b32 s29, exec_lo
	s_delay_alu instid0(VALU_DEP_2) | instskip(NEXT) | instid1(VALU_DEP_1)
	v_and_b32_e32 v50, 0x7f, v26
	v_cmpx_ne_u32_e32 0x7f, v50
	s_cbranch_execz .LBB174_47
; %bb.44:                               ;   in Loop: Header=BB174_9 Depth=1
	v_and_b32_e32 v26, 7, v26
	v_lshrrev_b32_e32 v48, 3, v50
	s_mov_b32 s30, exec_lo
	v_cmpx_gt_u32_e32 8, v50
; %bb.45:                               ;   in Loop: Header=BB174_9 Depth=1
	s_delay_alu instid0(VALU_DEP_3) | instskip(NEXT) | instid1(VALU_DEP_1)
	v_clz_i32_u32_e32 v48, v26
	v_min_u32_e32 v48, 32, v48
	s_delay_alu instid0(VALU_DEP_1) | instskip(NEXT) | instid1(VALU_DEP_1)
	v_subrev_nc_u32_e32 v50, 28, v48
	v_lshlrev_b64_e32 v[50:51], v50, v[26:27]
	s_delay_alu instid0(VALU_DEP_1)
	v_dual_sub_nc_u32 v48, 29, v48 :: v_dual_bitop2_b32 v26, 7, v50 bitop3:0x40
; %bb.46:                               ;   in Loop: Header=BB174_9 Depth=1
	s_or_b32 exec_lo, exec_lo, s30
	s_delay_alu instid0(VALU_DEP_1) | instskip(NEXT) | instid1(VALU_DEP_2)
	v_dual_lshlrev_b32 v49, 24, v49 :: v_dual_lshlrev_b32 v26, 20, v26
	v_lshl_add_u32 v48, v48, 23, 0x3c000000
	s_delay_alu instid0(VALU_DEP_2) | instskip(NEXT) | instid1(VALU_DEP_1)
	v_and_b32_e32 v49, 0x80000000, v49
	v_or3_b32 v48, v26, v49, v48
.LBB174_47:                             ;   in Loop: Header=BB174_9 Depth=1
	s_or_b32 exec_lo, exec_lo, s29
.LBB174_48:                             ;   in Loop: Header=BB174_9 Depth=1
	s_delay_alu instid0(SALU_CYCLE_1)
	s_or_b32 exec_lo, exec_lo, s28
.LBB174_49:                             ;   in Loop: Header=BB174_9 Depth=1
	s_delay_alu instid0(SALU_CYCLE_1)
	s_or_b32 exec_lo, exec_lo, s27
	global_load_u8 v49, v[32:33], off offset:132
	s_mov_b32 s27, exec_lo
	s_wait_loadcnt 0x0
	v_cmpx_ne_u16_e32 0, v49
	s_cbranch_execz .LBB174_57
; %bb.50:                               ;   in Loop: Header=BB174_9 Depth=1
	v_bfrev_b32_e32 v47, 1
	s_mov_b32 s28, exec_lo
	v_cmpx_ne_u16_e32 0x80, v49
	s_cbranch_execz .LBB174_56
; %bb.51:                               ;   in Loop: Header=BB174_9 Depth=1
	v_and_b32_e32 v26, 0xffff, v49
	v_mov_b32_e32 v47, 0x7f800001
	s_mov_b32 s29, exec_lo
	s_delay_alu instid0(VALU_DEP_2) | instskip(NEXT) | instid1(VALU_DEP_1)
	v_and_b32_e32 v50, 0x7f, v26
	v_cmpx_ne_u32_e32 0x7f, v50
	s_cbranch_execz .LBB174_55
; %bb.52:                               ;   in Loop: Header=BB174_9 Depth=1
	v_and_b32_e32 v26, 7, v26
	v_lshrrev_b32_e32 v47, 3, v50
	s_mov_b32 s30, exec_lo
	v_cmpx_gt_u32_e32 8, v50
; %bb.53:                               ;   in Loop: Header=BB174_9 Depth=1
	s_delay_alu instid0(VALU_DEP_3) | instskip(NEXT) | instid1(VALU_DEP_1)
	v_clz_i32_u32_e32 v47, v26
	v_min_u32_e32 v47, 32, v47
	s_delay_alu instid0(VALU_DEP_1) | instskip(NEXT) | instid1(VALU_DEP_1)
	v_subrev_nc_u32_e32 v50, 28, v47
	v_lshlrev_b64_e32 v[50:51], v50, v[26:27]
	s_delay_alu instid0(VALU_DEP_1)
	v_dual_sub_nc_u32 v47, 29, v47 :: v_dual_bitop2_b32 v26, 7, v50 bitop3:0x40
; %bb.54:                               ;   in Loop: Header=BB174_9 Depth=1
	s_or_b32 exec_lo, exec_lo, s30
	s_delay_alu instid0(VALU_DEP_1) | instskip(NEXT) | instid1(VALU_DEP_2)
	v_dual_lshlrev_b32 v49, 24, v49 :: v_dual_lshlrev_b32 v26, 20, v26
	v_lshl_add_u32 v47, v47, 23, 0x3c000000
	s_delay_alu instid0(VALU_DEP_2) | instskip(NEXT) | instid1(VALU_DEP_1)
	v_and_b32_e32 v49, 0x80000000, v49
	v_or3_b32 v47, v26, v49, v47
.LBB174_55:                             ;   in Loop: Header=BB174_9 Depth=1
	s_or_b32 exec_lo, exec_lo, s29
.LBB174_56:                             ;   in Loop: Header=BB174_9 Depth=1
	s_delay_alu instid0(SALU_CYCLE_1)
	s_or_b32 exec_lo, exec_lo, s28
.LBB174_57:                             ;   in Loop: Header=BB174_9 Depth=1
	s_delay_alu instid0(SALU_CYCLE_1)
	s_or_b32 exec_lo, exec_lo, s27
	global_load_u8 v51, v[32:33], off offset:136
	v_dual_mov_b32 v49, 0 :: v_dual_mov_b32 v50, 0
	s_mov_b32 s27, exec_lo
	s_wait_loadcnt 0x0
	v_cmpx_ne_u16_e32 0, v51
	s_cbranch_execz .LBB174_65
; %bb.58:                               ;   in Loop: Header=BB174_9 Depth=1
	v_bfrev_b32_e32 v50, 1
	s_mov_b32 s28, exec_lo
	v_cmpx_ne_u16_e32 0x80, v51
	s_cbranch_execz .LBB174_64
; %bb.59:                               ;   in Loop: Header=BB174_9 Depth=1
	v_and_b32_e32 v26, 0xffff, v51
	v_mov_b32_e32 v50, 0x7f800001
	s_mov_b32 s29, exec_lo
	s_delay_alu instid0(VALU_DEP_2) | instskip(NEXT) | instid1(VALU_DEP_1)
	v_and_b32_e32 v52, 0x7f, v26
	v_cmpx_ne_u32_e32 0x7f, v52
	s_cbranch_execz .LBB174_63
; %bb.60:                               ;   in Loop: Header=BB174_9 Depth=1
	v_dual_lshrrev_b32 v50, 3, v52 :: v_dual_bitop2_b32 v26, 7, v26 bitop3:0x40
	s_mov_b32 s30, exec_lo
	v_cmpx_gt_u32_e32 8, v52
; %bb.61:                               ;   in Loop: Header=BB174_9 Depth=1
	s_delay_alu instid0(VALU_DEP_2) | instskip(NEXT) | instid1(VALU_DEP_1)
	v_clz_i32_u32_e32 v50, v26
	v_min_u32_e32 v50, 32, v50
	s_delay_alu instid0(VALU_DEP_1) | instskip(NEXT) | instid1(VALU_DEP_1)
	v_subrev_nc_u32_e32 v52, 28, v50
	v_lshlrev_b64_e32 v[52:53], v52, v[26:27]
	s_delay_alu instid0(VALU_DEP_1)
	v_dual_sub_nc_u32 v50, 29, v50 :: v_dual_bitop2_b32 v26, 7, v52 bitop3:0x40
; %bb.62:                               ;   in Loop: Header=BB174_9 Depth=1
	s_or_b32 exec_lo, exec_lo, s30
	s_delay_alu instid0(VALU_DEP_1) | instskip(NEXT) | instid1(VALU_DEP_2)
	v_dual_lshlrev_b32 v51, 24, v51 :: v_dual_lshlrev_b32 v26, 20, v26
	v_lshl_add_u32 v50, v50, 23, 0x3c000000
	s_delay_alu instid0(VALU_DEP_2) | instskip(NEXT) | instid1(VALU_DEP_1)
	v_and_b32_e32 v51, 0x80000000, v51
	v_or3_b32 v50, v26, v51, v50
.LBB174_63:                             ;   in Loop: Header=BB174_9 Depth=1
	s_or_b32 exec_lo, exec_lo, s29
.LBB174_64:                             ;   in Loop: Header=BB174_9 Depth=1
	s_delay_alu instid0(SALU_CYCLE_1)
	s_or_b32 exec_lo, exec_lo, s28
.LBB174_65:                             ;   in Loop: Header=BB174_9 Depth=1
	s_delay_alu instid0(SALU_CYCLE_1)
	s_or_b32 exec_lo, exec_lo, s27
	global_load_u8 v51, v[32:33], off offset:140
	s_mov_b32 s27, exec_lo
	s_wait_loadcnt 0x0
	v_cmpx_ne_u16_e32 0, v51
	s_cbranch_execz .LBB174_73
; %bb.66:                               ;   in Loop: Header=BB174_9 Depth=1
	v_bfrev_b32_e32 v49, 1
	s_mov_b32 s28, exec_lo
	v_cmpx_ne_u16_e32 0x80, v51
	s_cbranch_execz .LBB174_72
; %bb.67:                               ;   in Loop: Header=BB174_9 Depth=1
	v_and_b32_e32 v26, 0xffff, v51
	v_mov_b32_e32 v49, 0x7f800001
	s_mov_b32 s29, exec_lo
	s_delay_alu instid0(VALU_DEP_2) | instskip(NEXT) | instid1(VALU_DEP_1)
	v_and_b32_e32 v52, 0x7f, v26
	v_cmpx_ne_u32_e32 0x7f, v52
	s_cbranch_execz .LBB174_71
; %bb.68:                               ;   in Loop: Header=BB174_9 Depth=1
	v_dual_lshrrev_b32 v49, 3, v52 :: v_dual_bitop2_b32 v26, 7, v26 bitop3:0x40
	s_mov_b32 s30, exec_lo
	v_cmpx_gt_u32_e32 8, v52
; %bb.69:                               ;   in Loop: Header=BB174_9 Depth=1
	s_delay_alu instid0(VALU_DEP_2) | instskip(NEXT) | instid1(VALU_DEP_1)
	v_clz_i32_u32_e32 v49, v26
	v_min_u32_e32 v49, 32, v49
	s_delay_alu instid0(VALU_DEP_1) | instskip(NEXT) | instid1(VALU_DEP_1)
	v_subrev_nc_u32_e32 v52, 28, v49
	v_lshlrev_b64_e32 v[52:53], v52, v[26:27]
	s_delay_alu instid0(VALU_DEP_1)
	v_dual_sub_nc_u32 v49, 29, v49 :: v_dual_bitop2_b32 v26, 7, v52 bitop3:0x40
; %bb.70:                               ;   in Loop: Header=BB174_9 Depth=1
	s_or_b32 exec_lo, exec_lo, s30
	s_delay_alu instid0(VALU_DEP_1) | instskip(NEXT) | instid1(VALU_DEP_2)
	v_dual_lshlrev_b32 v51, 24, v51 :: v_dual_lshlrev_b32 v26, 20, v26
	v_lshl_add_u32 v49, v49, 23, 0x3c000000
	s_delay_alu instid0(VALU_DEP_2) | instskip(NEXT) | instid1(VALU_DEP_1)
	v_and_b32_e32 v51, 0x80000000, v51
	v_or3_b32 v49, v26, v51, v49
.LBB174_71:                             ;   in Loop: Header=BB174_9 Depth=1
	s_or_b32 exec_lo, exec_lo, s29
.LBB174_72:                             ;   in Loop: Header=BB174_9 Depth=1
	s_delay_alu instid0(SALU_CYCLE_1)
	s_or_b32 exec_lo, exec_lo, s28
.LBB174_73:                             ;   in Loop: Header=BB174_9 Depth=1
	s_delay_alu instid0(SALU_CYCLE_1)
	s_or_b32 exec_lo, exec_lo, s27
	global_load_u8 v53, v[32:33], off offset:256
	v_dual_mov_b32 v51, 0 :: v_dual_mov_b32 v52, 0
	s_mov_b32 s27, exec_lo
	s_wait_loadcnt 0x0
	v_cmpx_ne_u16_e32 0, v53
	s_cbranch_execz .LBB174_81
; %bb.74:                               ;   in Loop: Header=BB174_9 Depth=1
	v_bfrev_b32_e32 v52, 1
	s_mov_b32 s28, exec_lo
	v_cmpx_ne_u16_e32 0x80, v53
	s_cbranch_execz .LBB174_80
; %bb.75:                               ;   in Loop: Header=BB174_9 Depth=1
	v_and_b32_e32 v26, 0xffff, v53
	v_mov_b32_e32 v52, 0x7f800001
	s_mov_b32 s29, exec_lo
	s_delay_alu instid0(VALU_DEP_2) | instskip(NEXT) | instid1(VALU_DEP_1)
	v_and_b32_e32 v54, 0x7f, v26
	v_cmpx_ne_u32_e32 0x7f, v54
	s_cbranch_execz .LBB174_79
; %bb.76:                               ;   in Loop: Header=BB174_9 Depth=1
	v_and_b32_e32 v26, 7, v26
	v_lshrrev_b32_e32 v52, 3, v54
	s_mov_b32 s30, exec_lo
	v_cmpx_gt_u32_e32 8, v54
; %bb.77:                               ;   in Loop: Header=BB174_9 Depth=1
	s_delay_alu instid0(VALU_DEP_3) | instskip(NEXT) | instid1(VALU_DEP_1)
	v_clz_i32_u32_e32 v52, v26
	v_min_u32_e32 v52, 32, v52
	s_delay_alu instid0(VALU_DEP_1) | instskip(NEXT) | instid1(VALU_DEP_1)
	v_subrev_nc_u32_e32 v54, 28, v52
	v_lshlrev_b64_e32 v[54:55], v54, v[26:27]
	s_delay_alu instid0(VALU_DEP_1)
	v_dual_sub_nc_u32 v52, 29, v52 :: v_dual_bitop2_b32 v26, 7, v54 bitop3:0x40
; %bb.78:                               ;   in Loop: Header=BB174_9 Depth=1
	s_or_b32 exec_lo, exec_lo, s30
	s_delay_alu instid0(VALU_DEP_1) | instskip(NEXT) | instid1(VALU_DEP_2)
	v_dual_lshlrev_b32 v53, 24, v53 :: v_dual_lshlrev_b32 v26, 20, v26
	v_lshl_add_u32 v52, v52, 23, 0x3c000000
	s_delay_alu instid0(VALU_DEP_2) | instskip(NEXT) | instid1(VALU_DEP_1)
	v_and_b32_e32 v53, 0x80000000, v53
	v_or3_b32 v52, v26, v53, v52
.LBB174_79:                             ;   in Loop: Header=BB174_9 Depth=1
	s_or_b32 exec_lo, exec_lo, s29
.LBB174_80:                             ;   in Loop: Header=BB174_9 Depth=1
	s_delay_alu instid0(SALU_CYCLE_1)
	s_or_b32 exec_lo, exec_lo, s28
.LBB174_81:                             ;   in Loop: Header=BB174_9 Depth=1
	s_delay_alu instid0(SALU_CYCLE_1)
	s_or_b32 exec_lo, exec_lo, s27
	global_load_u8 v53, v[32:33], off offset:260
	s_mov_b32 s27, exec_lo
	s_wait_loadcnt 0x0
	v_cmpx_ne_u16_e32 0, v53
	s_cbranch_execz .LBB174_89
; %bb.82:                               ;   in Loop: Header=BB174_9 Depth=1
	v_bfrev_b32_e32 v51, 1
	s_mov_b32 s28, exec_lo
	v_cmpx_ne_u16_e32 0x80, v53
	s_cbranch_execz .LBB174_88
; %bb.83:                               ;   in Loop: Header=BB174_9 Depth=1
	v_and_b32_e32 v26, 0xffff, v53
	v_mov_b32_e32 v51, 0x7f800001
	s_mov_b32 s29, exec_lo
	s_delay_alu instid0(VALU_DEP_2) | instskip(NEXT) | instid1(VALU_DEP_1)
	v_and_b32_e32 v54, 0x7f, v26
	v_cmpx_ne_u32_e32 0x7f, v54
	s_cbranch_execz .LBB174_87
; %bb.84:                               ;   in Loop: Header=BB174_9 Depth=1
	v_and_b32_e32 v26, 7, v26
	v_lshrrev_b32_e32 v51, 3, v54
	s_mov_b32 s30, exec_lo
	v_cmpx_gt_u32_e32 8, v54
; %bb.85:                               ;   in Loop: Header=BB174_9 Depth=1
	s_delay_alu instid0(VALU_DEP_3) | instskip(NEXT) | instid1(VALU_DEP_1)
	v_clz_i32_u32_e32 v51, v26
	v_min_u32_e32 v51, 32, v51
	s_delay_alu instid0(VALU_DEP_1) | instskip(NEXT) | instid1(VALU_DEP_1)
	v_subrev_nc_u32_e32 v54, 28, v51
	v_lshlrev_b64_e32 v[54:55], v54, v[26:27]
	s_delay_alu instid0(VALU_DEP_1)
	v_dual_sub_nc_u32 v51, 29, v51 :: v_dual_bitop2_b32 v26, 7, v54 bitop3:0x40
; %bb.86:                               ;   in Loop: Header=BB174_9 Depth=1
	s_or_b32 exec_lo, exec_lo, s30
	s_delay_alu instid0(VALU_DEP_1) | instskip(NEXT) | instid1(VALU_DEP_2)
	v_dual_lshlrev_b32 v53, 24, v53 :: v_dual_lshlrev_b32 v26, 20, v26
	v_lshl_add_u32 v51, v51, 23, 0x3c000000
	s_delay_alu instid0(VALU_DEP_2) | instskip(NEXT) | instid1(VALU_DEP_1)
	v_and_b32_e32 v53, 0x80000000, v53
	v_or3_b32 v51, v26, v53, v51
.LBB174_87:                             ;   in Loop: Header=BB174_9 Depth=1
	s_or_b32 exec_lo, exec_lo, s29
.LBB174_88:                             ;   in Loop: Header=BB174_9 Depth=1
	s_delay_alu instid0(SALU_CYCLE_1)
	s_or_b32 exec_lo, exec_lo, s28
.LBB174_89:                             ;   in Loop: Header=BB174_9 Depth=1
	s_delay_alu instid0(SALU_CYCLE_1)
	s_or_b32 exec_lo, exec_lo, s27
	global_load_u8 v55, v[32:33], off offset:264
	v_dual_mov_b32 v53, 0 :: v_dual_mov_b32 v54, 0
	s_mov_b32 s27, exec_lo
	s_wait_loadcnt 0x0
	v_cmpx_ne_u16_e32 0, v55
	s_cbranch_execz .LBB174_97
; %bb.90:                               ;   in Loop: Header=BB174_9 Depth=1
	v_bfrev_b32_e32 v54, 1
	s_mov_b32 s28, exec_lo
	v_cmpx_ne_u16_e32 0x80, v55
	s_cbranch_execz .LBB174_96
; %bb.91:                               ;   in Loop: Header=BB174_9 Depth=1
	v_and_b32_e32 v26, 0xffff, v55
	v_mov_b32_e32 v54, 0x7f800001
	s_mov_b32 s29, exec_lo
	s_delay_alu instid0(VALU_DEP_2) | instskip(NEXT) | instid1(VALU_DEP_1)
	v_and_b32_e32 v56, 0x7f, v26
	v_cmpx_ne_u32_e32 0x7f, v56
	s_cbranch_execz .LBB174_95
; %bb.92:                               ;   in Loop: Header=BB174_9 Depth=1
	v_dual_lshrrev_b32 v54, 3, v56 :: v_dual_bitop2_b32 v26, 7, v26 bitop3:0x40
	s_mov_b32 s30, exec_lo
	v_cmpx_gt_u32_e32 8, v56
; %bb.93:                               ;   in Loop: Header=BB174_9 Depth=1
	s_delay_alu instid0(VALU_DEP_2) | instskip(NEXT) | instid1(VALU_DEP_1)
	v_clz_i32_u32_e32 v54, v26
	v_min_u32_e32 v54, 32, v54
	s_delay_alu instid0(VALU_DEP_1) | instskip(NEXT) | instid1(VALU_DEP_1)
	v_subrev_nc_u32_e32 v56, 28, v54
	v_lshlrev_b64_e32 v[56:57], v56, v[26:27]
	s_delay_alu instid0(VALU_DEP_1)
	v_dual_sub_nc_u32 v54, 29, v54 :: v_dual_bitop2_b32 v26, 7, v56 bitop3:0x40
; %bb.94:                               ;   in Loop: Header=BB174_9 Depth=1
	s_or_b32 exec_lo, exec_lo, s30
	s_delay_alu instid0(VALU_DEP_1) | instskip(NEXT) | instid1(VALU_DEP_2)
	v_dual_lshlrev_b32 v55, 24, v55 :: v_dual_lshlrev_b32 v26, 20, v26
	v_lshl_add_u32 v54, v54, 23, 0x3c000000
	s_delay_alu instid0(VALU_DEP_2) | instskip(NEXT) | instid1(VALU_DEP_1)
	v_and_b32_e32 v55, 0x80000000, v55
	v_or3_b32 v54, v26, v55, v54
.LBB174_95:                             ;   in Loop: Header=BB174_9 Depth=1
	s_or_b32 exec_lo, exec_lo, s29
.LBB174_96:                             ;   in Loop: Header=BB174_9 Depth=1
	s_delay_alu instid0(SALU_CYCLE_1)
	s_or_b32 exec_lo, exec_lo, s28
.LBB174_97:                             ;   in Loop: Header=BB174_9 Depth=1
	s_delay_alu instid0(SALU_CYCLE_1)
	s_or_b32 exec_lo, exec_lo, s27
	global_load_u8 v55, v[32:33], off offset:268
	s_mov_b32 s27, exec_lo
	s_wait_loadcnt 0x0
	v_cmpx_ne_u16_e32 0, v55
	s_cbranch_execz .LBB174_105
; %bb.98:                               ;   in Loop: Header=BB174_9 Depth=1
	v_bfrev_b32_e32 v53, 1
	s_mov_b32 s28, exec_lo
	v_cmpx_ne_u16_e32 0x80, v55
	s_cbranch_execz .LBB174_104
; %bb.99:                               ;   in Loop: Header=BB174_9 Depth=1
	v_and_b32_e32 v26, 0xffff, v55
	v_mov_b32_e32 v53, 0x7f800001
	s_mov_b32 s29, exec_lo
	s_delay_alu instid0(VALU_DEP_2) | instskip(NEXT) | instid1(VALU_DEP_1)
	v_and_b32_e32 v56, 0x7f, v26
	v_cmpx_ne_u32_e32 0x7f, v56
	s_cbranch_execz .LBB174_103
; %bb.100:                              ;   in Loop: Header=BB174_9 Depth=1
	v_dual_lshrrev_b32 v53, 3, v56 :: v_dual_bitop2_b32 v26, 7, v26 bitop3:0x40
	s_mov_b32 s30, exec_lo
	v_cmpx_gt_u32_e32 8, v56
; %bb.101:                              ;   in Loop: Header=BB174_9 Depth=1
	s_delay_alu instid0(VALU_DEP_2) | instskip(NEXT) | instid1(VALU_DEP_1)
	v_clz_i32_u32_e32 v53, v26
	v_min_u32_e32 v53, 32, v53
	s_delay_alu instid0(VALU_DEP_1) | instskip(NEXT) | instid1(VALU_DEP_1)
	v_subrev_nc_u32_e32 v56, 28, v53
	v_lshlrev_b64_e32 v[56:57], v56, v[26:27]
	s_delay_alu instid0(VALU_DEP_1)
	v_dual_sub_nc_u32 v53, 29, v53 :: v_dual_bitop2_b32 v26, 7, v56 bitop3:0x40
; %bb.102:                              ;   in Loop: Header=BB174_9 Depth=1
	s_or_b32 exec_lo, exec_lo, s30
	s_delay_alu instid0(VALU_DEP_1) | instskip(NEXT) | instid1(VALU_DEP_2)
	v_dual_lshlrev_b32 v55, 24, v55 :: v_dual_lshlrev_b32 v26, 20, v26
	v_lshl_add_u32 v53, v53, 23, 0x3c000000
	s_delay_alu instid0(VALU_DEP_2) | instskip(NEXT) | instid1(VALU_DEP_1)
	v_and_b32_e32 v55, 0x80000000, v55
	v_or3_b32 v53, v26, v55, v53
.LBB174_103:                            ;   in Loop: Header=BB174_9 Depth=1
	s_or_b32 exec_lo, exec_lo, s29
.LBB174_104:                            ;   in Loop: Header=BB174_9 Depth=1
	s_delay_alu instid0(SALU_CYCLE_1)
	s_or_b32 exec_lo, exec_lo, s28
.LBB174_105:                            ;   in Loop: Header=BB174_9 Depth=1
	s_delay_alu instid0(SALU_CYCLE_1)
	s_or_b32 exec_lo, exec_lo, s27
	global_load_u8 v57, v[32:33], off offset:384
	v_dual_mov_b32 v55, 0 :: v_dual_mov_b32 v56, 0
	s_mov_b32 s27, exec_lo
	s_wait_loadcnt 0x0
	v_cmpx_ne_u16_e32 0, v57
	s_cbranch_execz .LBB174_113
; %bb.106:                              ;   in Loop: Header=BB174_9 Depth=1
	v_bfrev_b32_e32 v56, 1
	s_mov_b32 s28, exec_lo
	v_cmpx_ne_u16_e32 0x80, v57
	s_cbranch_execz .LBB174_112
; %bb.107:                              ;   in Loop: Header=BB174_9 Depth=1
	v_and_b32_e32 v26, 0xffff, v57
	v_mov_b32_e32 v56, 0x7f800001
	s_mov_b32 s29, exec_lo
	s_delay_alu instid0(VALU_DEP_2) | instskip(NEXT) | instid1(VALU_DEP_1)
	v_and_b32_e32 v58, 0x7f, v26
	v_cmpx_ne_u32_e32 0x7f, v58
	s_cbranch_execz .LBB174_111
; %bb.108:                              ;   in Loop: Header=BB174_9 Depth=1
	v_and_b32_e32 v26, 7, v26
	v_lshrrev_b32_e32 v56, 3, v58
	s_mov_b32 s30, exec_lo
	v_cmpx_gt_u32_e32 8, v58
; %bb.109:                              ;   in Loop: Header=BB174_9 Depth=1
	s_delay_alu instid0(VALU_DEP_3) | instskip(NEXT) | instid1(VALU_DEP_1)
	v_clz_i32_u32_e32 v56, v26
	v_min_u32_e32 v56, 32, v56
	s_delay_alu instid0(VALU_DEP_1) | instskip(NEXT) | instid1(VALU_DEP_1)
	v_subrev_nc_u32_e32 v58, 28, v56
	v_lshlrev_b64_e32 v[58:59], v58, v[26:27]
	s_delay_alu instid0(VALU_DEP_1)
	v_dual_sub_nc_u32 v56, 29, v56 :: v_dual_bitop2_b32 v26, 7, v58 bitop3:0x40
; %bb.110:                              ;   in Loop: Header=BB174_9 Depth=1
	s_or_b32 exec_lo, exec_lo, s30
	s_delay_alu instid0(VALU_DEP_1) | instskip(NEXT) | instid1(VALU_DEP_2)
	v_dual_lshlrev_b32 v57, 24, v57 :: v_dual_lshlrev_b32 v26, 20, v26
	v_lshl_add_u32 v56, v56, 23, 0x3c000000
	s_delay_alu instid0(VALU_DEP_2) | instskip(NEXT) | instid1(VALU_DEP_1)
	v_and_b32_e32 v57, 0x80000000, v57
	v_or3_b32 v56, v26, v57, v56
.LBB174_111:                            ;   in Loop: Header=BB174_9 Depth=1
	s_or_b32 exec_lo, exec_lo, s29
.LBB174_112:                            ;   in Loop: Header=BB174_9 Depth=1
	s_delay_alu instid0(SALU_CYCLE_1)
	s_or_b32 exec_lo, exec_lo, s28
.LBB174_113:                            ;   in Loop: Header=BB174_9 Depth=1
	s_delay_alu instid0(SALU_CYCLE_1)
	s_or_b32 exec_lo, exec_lo, s27
	global_load_u8 v57, v[32:33], off offset:388
	s_mov_b32 s27, exec_lo
	s_wait_loadcnt 0x0
	v_cmpx_ne_u16_e32 0, v57
	s_cbranch_execz .LBB174_121
; %bb.114:                              ;   in Loop: Header=BB174_9 Depth=1
	v_bfrev_b32_e32 v55, 1
	s_mov_b32 s28, exec_lo
	v_cmpx_ne_u16_e32 0x80, v57
	s_cbranch_execz .LBB174_120
; %bb.115:                              ;   in Loop: Header=BB174_9 Depth=1
	v_and_b32_e32 v26, 0xffff, v57
	v_mov_b32_e32 v55, 0x7f800001
	s_mov_b32 s29, exec_lo
	s_delay_alu instid0(VALU_DEP_2) | instskip(NEXT) | instid1(VALU_DEP_1)
	v_and_b32_e32 v58, 0x7f, v26
	v_cmpx_ne_u32_e32 0x7f, v58
	s_cbranch_execz .LBB174_119
; %bb.116:                              ;   in Loop: Header=BB174_9 Depth=1
	v_and_b32_e32 v26, 7, v26
	v_lshrrev_b32_e32 v55, 3, v58
	s_mov_b32 s30, exec_lo
	v_cmpx_gt_u32_e32 8, v58
; %bb.117:                              ;   in Loop: Header=BB174_9 Depth=1
	s_delay_alu instid0(VALU_DEP_3) | instskip(NEXT) | instid1(VALU_DEP_1)
	v_clz_i32_u32_e32 v55, v26
	v_min_u32_e32 v55, 32, v55
	s_delay_alu instid0(VALU_DEP_1) | instskip(NEXT) | instid1(VALU_DEP_1)
	v_subrev_nc_u32_e32 v58, 28, v55
	v_lshlrev_b64_e32 v[58:59], v58, v[26:27]
	s_delay_alu instid0(VALU_DEP_1)
	v_dual_sub_nc_u32 v55, 29, v55 :: v_dual_bitop2_b32 v26, 7, v58 bitop3:0x40
; %bb.118:                              ;   in Loop: Header=BB174_9 Depth=1
	s_or_b32 exec_lo, exec_lo, s30
	s_delay_alu instid0(VALU_DEP_1) | instskip(NEXT) | instid1(VALU_DEP_2)
	v_dual_lshlrev_b32 v57, 24, v57 :: v_dual_lshlrev_b32 v26, 20, v26
	v_lshl_add_u32 v55, v55, 23, 0x3c000000
	s_delay_alu instid0(VALU_DEP_2) | instskip(NEXT) | instid1(VALU_DEP_1)
	v_and_b32_e32 v57, 0x80000000, v57
	v_or3_b32 v55, v26, v57, v55
.LBB174_119:                            ;   in Loop: Header=BB174_9 Depth=1
	s_or_b32 exec_lo, exec_lo, s29
.LBB174_120:                            ;   in Loop: Header=BB174_9 Depth=1
	s_delay_alu instid0(SALU_CYCLE_1)
	s_or_b32 exec_lo, exec_lo, s28
.LBB174_121:                            ;   in Loop: Header=BB174_9 Depth=1
	s_delay_alu instid0(SALU_CYCLE_1)
	s_or_b32 exec_lo, exec_lo, s27
	global_load_u8 v59, v[32:33], off offset:392
	v_dual_mov_b32 v57, 0 :: v_dual_mov_b32 v58, 0
	s_mov_b32 s27, exec_lo
	s_wait_loadcnt 0x0
	v_cmpx_ne_u16_e32 0, v59
	s_cbranch_execz .LBB174_129
; %bb.122:                              ;   in Loop: Header=BB174_9 Depth=1
	v_bfrev_b32_e32 v58, 1
	s_mov_b32 s28, exec_lo
	v_cmpx_ne_u16_e32 0x80, v59
	s_cbranch_execz .LBB174_128
; %bb.123:                              ;   in Loop: Header=BB174_9 Depth=1
	v_and_b32_e32 v26, 0xffff, v59
	v_mov_b32_e32 v58, 0x7f800001
	s_mov_b32 s29, exec_lo
	s_delay_alu instid0(VALU_DEP_2) | instskip(NEXT) | instid1(VALU_DEP_1)
	v_and_b32_e32 v60, 0x7f, v26
	v_cmpx_ne_u32_e32 0x7f, v60
	s_cbranch_execz .LBB174_127
; %bb.124:                              ;   in Loop: Header=BB174_9 Depth=1
	v_dual_lshrrev_b32 v58, 3, v60 :: v_dual_bitop2_b32 v26, 7, v26 bitop3:0x40
	s_mov_b32 s30, exec_lo
	v_cmpx_gt_u32_e32 8, v60
; %bb.125:                              ;   in Loop: Header=BB174_9 Depth=1
	s_delay_alu instid0(VALU_DEP_2) | instskip(NEXT) | instid1(VALU_DEP_1)
	v_clz_i32_u32_e32 v58, v26
	v_min_u32_e32 v58, 32, v58
	s_delay_alu instid0(VALU_DEP_1) | instskip(NEXT) | instid1(VALU_DEP_1)
	v_subrev_nc_u32_e32 v60, 28, v58
	v_lshlrev_b64_e32 v[60:61], v60, v[26:27]
	s_delay_alu instid0(VALU_DEP_1)
	v_dual_sub_nc_u32 v58, 29, v58 :: v_dual_bitop2_b32 v26, 7, v60 bitop3:0x40
; %bb.126:                              ;   in Loop: Header=BB174_9 Depth=1
	s_or_b32 exec_lo, exec_lo, s30
	s_delay_alu instid0(VALU_DEP_1) | instskip(NEXT) | instid1(VALU_DEP_2)
	v_dual_lshlrev_b32 v59, 24, v59 :: v_dual_lshlrev_b32 v26, 20, v26
	v_lshl_add_u32 v58, v58, 23, 0x3c000000
	s_delay_alu instid0(VALU_DEP_2) | instskip(NEXT) | instid1(VALU_DEP_1)
	v_and_b32_e32 v59, 0x80000000, v59
	v_or3_b32 v58, v26, v59, v58
.LBB174_127:                            ;   in Loop: Header=BB174_9 Depth=1
	s_or_b32 exec_lo, exec_lo, s29
.LBB174_128:                            ;   in Loop: Header=BB174_9 Depth=1
	s_delay_alu instid0(SALU_CYCLE_1)
	s_or_b32 exec_lo, exec_lo, s28
.LBB174_129:                            ;   in Loop: Header=BB174_9 Depth=1
	s_delay_alu instid0(SALU_CYCLE_1)
	s_or_b32 exec_lo, exec_lo, s27
	global_load_u8 v59, v[32:33], off offset:396
	s_mov_b32 s27, exec_lo
	s_wait_loadcnt 0x0
	v_cmpx_ne_u16_e32 0, v59
	s_cbranch_execz .LBB174_137
; %bb.130:                              ;   in Loop: Header=BB174_9 Depth=1
	v_bfrev_b32_e32 v57, 1
	s_mov_b32 s28, exec_lo
	v_cmpx_ne_u16_e32 0x80, v59
	s_cbranch_execz .LBB174_136
; %bb.131:                              ;   in Loop: Header=BB174_9 Depth=1
	v_and_b32_e32 v26, 0xffff, v59
	v_mov_b32_e32 v57, 0x7f800001
	s_mov_b32 s29, exec_lo
	s_delay_alu instid0(VALU_DEP_2) | instskip(NEXT) | instid1(VALU_DEP_1)
	v_and_b32_e32 v60, 0x7f, v26
	v_cmpx_ne_u32_e32 0x7f, v60
	s_cbranch_execz .LBB174_135
; %bb.132:                              ;   in Loop: Header=BB174_9 Depth=1
	v_dual_lshrrev_b32 v57, 3, v60 :: v_dual_bitop2_b32 v26, 7, v26 bitop3:0x40
	s_mov_b32 s30, exec_lo
	v_cmpx_gt_u32_e32 8, v60
; %bb.133:                              ;   in Loop: Header=BB174_9 Depth=1
	s_delay_alu instid0(VALU_DEP_2) | instskip(NEXT) | instid1(VALU_DEP_1)
	v_clz_i32_u32_e32 v57, v26
	v_min_u32_e32 v57, 32, v57
	s_delay_alu instid0(VALU_DEP_1) | instskip(NEXT) | instid1(VALU_DEP_1)
	v_subrev_nc_u32_e32 v60, 28, v57
	v_lshlrev_b64_e32 v[60:61], v60, v[26:27]
	s_delay_alu instid0(VALU_DEP_1)
	v_dual_sub_nc_u32 v57, 29, v57 :: v_dual_bitop2_b32 v26, 7, v60 bitop3:0x40
; %bb.134:                              ;   in Loop: Header=BB174_9 Depth=1
	s_or_b32 exec_lo, exec_lo, s30
	s_delay_alu instid0(VALU_DEP_1) | instskip(NEXT) | instid1(VALU_DEP_2)
	v_dual_lshlrev_b32 v59, 24, v59 :: v_dual_lshlrev_b32 v26, 20, v26
	v_lshl_add_u32 v57, v57, 23, 0x3c000000
	s_delay_alu instid0(VALU_DEP_2) | instskip(NEXT) | instid1(VALU_DEP_1)
	v_and_b32_e32 v59, 0x80000000, v59
	v_or3_b32 v57, v26, v59, v57
.LBB174_135:                            ;   in Loop: Header=BB174_9 Depth=1
	s_or_b32 exec_lo, exec_lo, s29
.LBB174_136:                            ;   in Loop: Header=BB174_9 Depth=1
	s_delay_alu instid0(SALU_CYCLE_1)
	s_or_b32 exec_lo, exec_lo, s28
.LBB174_137:                            ;   in Loop: Header=BB174_9 Depth=1
	s_delay_alu instid0(SALU_CYCLE_1)
	s_or_b32 exec_lo, exec_lo, s27
	global_load_u8 v61, v[32:33], off offset:512
	v_dual_mov_b32 v59, 0 :: v_dual_mov_b32 v60, 0
	s_mov_b32 s27, exec_lo
	s_wait_loadcnt 0x0
	v_cmpx_ne_u16_e32 0, v61
	s_cbranch_execz .LBB174_145
; %bb.138:                              ;   in Loop: Header=BB174_9 Depth=1
	v_bfrev_b32_e32 v60, 1
	s_mov_b32 s28, exec_lo
	v_cmpx_ne_u16_e32 0x80, v61
	s_cbranch_execz .LBB174_144
; %bb.139:                              ;   in Loop: Header=BB174_9 Depth=1
	v_and_b32_e32 v26, 0xffff, v61
	v_mov_b32_e32 v60, 0x7f800001
	s_mov_b32 s29, exec_lo
	s_delay_alu instid0(VALU_DEP_2) | instskip(NEXT) | instid1(VALU_DEP_1)
	v_and_b32_e32 v62, 0x7f, v26
	v_cmpx_ne_u32_e32 0x7f, v62
	s_cbranch_execz .LBB174_143
; %bb.140:                              ;   in Loop: Header=BB174_9 Depth=1
	v_and_b32_e32 v26, 7, v26
	v_lshrrev_b32_e32 v60, 3, v62
	s_mov_b32 s30, exec_lo
	v_cmpx_gt_u32_e32 8, v62
; %bb.141:                              ;   in Loop: Header=BB174_9 Depth=1
	s_delay_alu instid0(VALU_DEP_3) | instskip(NEXT) | instid1(VALU_DEP_1)
	v_clz_i32_u32_e32 v60, v26
	v_min_u32_e32 v60, 32, v60
	s_delay_alu instid0(VALU_DEP_1) | instskip(NEXT) | instid1(VALU_DEP_1)
	v_subrev_nc_u32_e32 v62, 28, v60
	v_lshlrev_b64_e32 v[62:63], v62, v[26:27]
	s_delay_alu instid0(VALU_DEP_1)
	v_dual_sub_nc_u32 v60, 29, v60 :: v_dual_bitop2_b32 v26, 7, v62 bitop3:0x40
; %bb.142:                              ;   in Loop: Header=BB174_9 Depth=1
	s_or_b32 exec_lo, exec_lo, s30
	s_delay_alu instid0(VALU_DEP_1) | instskip(NEXT) | instid1(VALU_DEP_2)
	v_dual_lshlrev_b32 v61, 24, v61 :: v_dual_lshlrev_b32 v26, 20, v26
	v_lshl_add_u32 v60, v60, 23, 0x3c000000
	s_delay_alu instid0(VALU_DEP_2) | instskip(NEXT) | instid1(VALU_DEP_1)
	v_and_b32_e32 v61, 0x80000000, v61
	v_or3_b32 v60, v26, v61, v60
.LBB174_143:                            ;   in Loop: Header=BB174_9 Depth=1
	s_or_b32 exec_lo, exec_lo, s29
.LBB174_144:                            ;   in Loop: Header=BB174_9 Depth=1
	s_delay_alu instid0(SALU_CYCLE_1)
	s_or_b32 exec_lo, exec_lo, s28
.LBB174_145:                            ;   in Loop: Header=BB174_9 Depth=1
	s_delay_alu instid0(SALU_CYCLE_1)
	s_or_b32 exec_lo, exec_lo, s27
	global_load_u8 v61, v[32:33], off offset:516
	s_mov_b32 s27, exec_lo
	s_wait_loadcnt 0x0
	v_cmpx_ne_u16_e32 0, v61
	s_cbranch_execz .LBB174_153
; %bb.146:                              ;   in Loop: Header=BB174_9 Depth=1
	v_bfrev_b32_e32 v59, 1
	s_mov_b32 s28, exec_lo
	v_cmpx_ne_u16_e32 0x80, v61
	s_cbranch_execz .LBB174_152
; %bb.147:                              ;   in Loop: Header=BB174_9 Depth=1
	v_and_b32_e32 v26, 0xffff, v61
	v_mov_b32_e32 v59, 0x7f800001
	s_mov_b32 s29, exec_lo
	s_delay_alu instid0(VALU_DEP_2) | instskip(NEXT) | instid1(VALU_DEP_1)
	v_and_b32_e32 v62, 0x7f, v26
	v_cmpx_ne_u32_e32 0x7f, v62
	s_cbranch_execz .LBB174_151
; %bb.148:                              ;   in Loop: Header=BB174_9 Depth=1
	v_and_b32_e32 v26, 7, v26
	v_lshrrev_b32_e32 v59, 3, v62
	s_mov_b32 s30, exec_lo
	v_cmpx_gt_u32_e32 8, v62
; %bb.149:                              ;   in Loop: Header=BB174_9 Depth=1
	s_delay_alu instid0(VALU_DEP_3) | instskip(NEXT) | instid1(VALU_DEP_1)
	v_clz_i32_u32_e32 v59, v26
	v_min_u32_e32 v59, 32, v59
	s_delay_alu instid0(VALU_DEP_1) | instskip(NEXT) | instid1(VALU_DEP_1)
	v_subrev_nc_u32_e32 v62, 28, v59
	v_lshlrev_b64_e32 v[62:63], v62, v[26:27]
	s_delay_alu instid0(VALU_DEP_1)
	v_dual_sub_nc_u32 v59, 29, v59 :: v_dual_bitop2_b32 v26, 7, v62 bitop3:0x40
; %bb.150:                              ;   in Loop: Header=BB174_9 Depth=1
	s_or_b32 exec_lo, exec_lo, s30
	s_delay_alu instid0(VALU_DEP_1) | instskip(NEXT) | instid1(VALU_DEP_2)
	v_dual_lshlrev_b32 v61, 24, v61 :: v_dual_lshlrev_b32 v26, 20, v26
	v_lshl_add_u32 v59, v59, 23, 0x3c000000
	s_delay_alu instid0(VALU_DEP_2) | instskip(NEXT) | instid1(VALU_DEP_1)
	v_and_b32_e32 v61, 0x80000000, v61
	v_or3_b32 v59, v26, v61, v59
.LBB174_151:                            ;   in Loop: Header=BB174_9 Depth=1
	s_or_b32 exec_lo, exec_lo, s29
.LBB174_152:                            ;   in Loop: Header=BB174_9 Depth=1
	s_delay_alu instid0(SALU_CYCLE_1)
	s_or_b32 exec_lo, exec_lo, s28
.LBB174_153:                            ;   in Loop: Header=BB174_9 Depth=1
	s_delay_alu instid0(SALU_CYCLE_1)
	s_or_b32 exec_lo, exec_lo, s27
	global_load_u8 v63, v[32:33], off offset:520
	v_dual_mov_b32 v61, 0 :: v_dual_mov_b32 v62, 0
	s_mov_b32 s27, exec_lo
	s_wait_loadcnt 0x0
	v_cmpx_ne_u16_e32 0, v63
	s_cbranch_execz .LBB174_161
; %bb.154:                              ;   in Loop: Header=BB174_9 Depth=1
	v_bfrev_b32_e32 v62, 1
	s_mov_b32 s28, exec_lo
	v_cmpx_ne_u16_e32 0x80, v63
	s_cbranch_execz .LBB174_160
; %bb.155:                              ;   in Loop: Header=BB174_9 Depth=1
	v_and_b32_e32 v26, 0xffff, v63
	v_mov_b32_e32 v62, 0x7f800001
	s_mov_b32 s29, exec_lo
	s_delay_alu instid0(VALU_DEP_2) | instskip(NEXT) | instid1(VALU_DEP_1)
	v_and_b32_e32 v64, 0x7f, v26
	v_cmpx_ne_u32_e32 0x7f, v64
	s_cbranch_execz .LBB174_159
; %bb.156:                              ;   in Loop: Header=BB174_9 Depth=1
	v_dual_lshrrev_b32 v62, 3, v64 :: v_dual_bitop2_b32 v26, 7, v26 bitop3:0x40
	s_mov_b32 s30, exec_lo
	v_cmpx_gt_u32_e32 8, v64
; %bb.157:                              ;   in Loop: Header=BB174_9 Depth=1
	s_delay_alu instid0(VALU_DEP_2) | instskip(NEXT) | instid1(VALU_DEP_1)
	v_clz_i32_u32_e32 v62, v26
	v_min_u32_e32 v62, 32, v62
	s_delay_alu instid0(VALU_DEP_1) | instskip(NEXT) | instid1(VALU_DEP_1)
	v_subrev_nc_u32_e32 v64, 28, v62
	v_lshlrev_b64_e32 v[64:65], v64, v[26:27]
	s_delay_alu instid0(VALU_DEP_1)
	v_dual_sub_nc_u32 v62, 29, v62 :: v_dual_bitop2_b32 v26, 7, v64 bitop3:0x40
; %bb.158:                              ;   in Loop: Header=BB174_9 Depth=1
	s_or_b32 exec_lo, exec_lo, s30
	s_delay_alu instid0(VALU_DEP_1) | instskip(NEXT) | instid1(VALU_DEP_2)
	v_dual_lshlrev_b32 v63, 24, v63 :: v_dual_lshlrev_b32 v26, 20, v26
	v_lshl_add_u32 v62, v62, 23, 0x3c000000
	s_delay_alu instid0(VALU_DEP_2) | instskip(NEXT) | instid1(VALU_DEP_1)
	v_and_b32_e32 v63, 0x80000000, v63
	v_or3_b32 v62, v26, v63, v62
.LBB174_159:                            ;   in Loop: Header=BB174_9 Depth=1
	s_or_b32 exec_lo, exec_lo, s29
.LBB174_160:                            ;   in Loop: Header=BB174_9 Depth=1
	s_delay_alu instid0(SALU_CYCLE_1)
	s_or_b32 exec_lo, exec_lo, s28
.LBB174_161:                            ;   in Loop: Header=BB174_9 Depth=1
	s_delay_alu instid0(SALU_CYCLE_1)
	s_or_b32 exec_lo, exec_lo, s27
	global_load_u8 v63, v[32:33], off offset:524
	s_mov_b32 s27, exec_lo
	s_wait_loadcnt 0x0
	v_cmpx_ne_u16_e32 0, v63
	s_cbranch_execz .LBB174_169
; %bb.162:                              ;   in Loop: Header=BB174_9 Depth=1
	v_bfrev_b32_e32 v61, 1
	s_mov_b32 s28, exec_lo
	v_cmpx_ne_u16_e32 0x80, v63
	s_cbranch_execz .LBB174_168
; %bb.163:                              ;   in Loop: Header=BB174_9 Depth=1
	v_and_b32_e32 v26, 0xffff, v63
	v_mov_b32_e32 v61, 0x7f800001
	s_mov_b32 s29, exec_lo
	s_delay_alu instid0(VALU_DEP_2) | instskip(NEXT) | instid1(VALU_DEP_1)
	v_and_b32_e32 v64, 0x7f, v26
	v_cmpx_ne_u32_e32 0x7f, v64
	s_cbranch_execz .LBB174_167
; %bb.164:                              ;   in Loop: Header=BB174_9 Depth=1
	v_dual_lshrrev_b32 v61, 3, v64 :: v_dual_bitop2_b32 v26, 7, v26 bitop3:0x40
	s_mov_b32 s30, exec_lo
	v_cmpx_gt_u32_e32 8, v64
; %bb.165:                              ;   in Loop: Header=BB174_9 Depth=1
	s_delay_alu instid0(VALU_DEP_2) | instskip(NEXT) | instid1(VALU_DEP_1)
	v_clz_i32_u32_e32 v61, v26
	v_min_u32_e32 v61, 32, v61
	s_delay_alu instid0(VALU_DEP_1) | instskip(NEXT) | instid1(VALU_DEP_1)
	v_subrev_nc_u32_e32 v64, 28, v61
	v_lshlrev_b64_e32 v[64:65], v64, v[26:27]
	s_delay_alu instid0(VALU_DEP_1)
	v_dual_sub_nc_u32 v61, 29, v61 :: v_dual_bitop2_b32 v26, 7, v64 bitop3:0x40
; %bb.166:                              ;   in Loop: Header=BB174_9 Depth=1
	s_or_b32 exec_lo, exec_lo, s30
	s_delay_alu instid0(VALU_DEP_1) | instskip(NEXT) | instid1(VALU_DEP_2)
	v_dual_lshlrev_b32 v63, 24, v63 :: v_dual_lshlrev_b32 v26, 20, v26
	v_lshl_add_u32 v61, v61, 23, 0x3c000000
	s_delay_alu instid0(VALU_DEP_2) | instskip(NEXT) | instid1(VALU_DEP_1)
	v_and_b32_e32 v63, 0x80000000, v63
	v_or3_b32 v61, v26, v63, v61
.LBB174_167:                            ;   in Loop: Header=BB174_9 Depth=1
	s_or_b32 exec_lo, exec_lo, s29
.LBB174_168:                            ;   in Loop: Header=BB174_9 Depth=1
	s_delay_alu instid0(SALU_CYCLE_1)
	s_or_b32 exec_lo, exec_lo, s28
.LBB174_169:                            ;   in Loop: Header=BB174_9 Depth=1
	s_delay_alu instid0(SALU_CYCLE_1)
	s_or_b32 exec_lo, exec_lo, s27
	global_load_u8 v65, v[32:33], off offset:640
	v_dual_mov_b32 v63, 0 :: v_dual_mov_b32 v64, 0
	s_mov_b32 s27, exec_lo
	s_wait_loadcnt 0x0
	v_cmpx_ne_u16_e32 0, v65
	s_cbranch_execz .LBB174_177
; %bb.170:                              ;   in Loop: Header=BB174_9 Depth=1
	v_bfrev_b32_e32 v64, 1
	s_mov_b32 s28, exec_lo
	v_cmpx_ne_u16_e32 0x80, v65
	s_cbranch_execz .LBB174_176
; %bb.171:                              ;   in Loop: Header=BB174_9 Depth=1
	v_and_b32_e32 v26, 0xffff, v65
	v_mov_b32_e32 v64, 0x7f800001
	s_mov_b32 s29, exec_lo
	s_delay_alu instid0(VALU_DEP_2) | instskip(NEXT) | instid1(VALU_DEP_1)
	v_and_b32_e32 v66, 0x7f, v26
	v_cmpx_ne_u32_e32 0x7f, v66
	s_cbranch_execz .LBB174_175
; %bb.172:                              ;   in Loop: Header=BB174_9 Depth=1
	v_and_b32_e32 v26, 7, v26
	v_lshrrev_b32_e32 v64, 3, v66
	s_mov_b32 s30, exec_lo
	v_cmpx_gt_u32_e32 8, v66
; %bb.173:                              ;   in Loop: Header=BB174_9 Depth=1
	s_delay_alu instid0(VALU_DEP_3) | instskip(NEXT) | instid1(VALU_DEP_1)
	v_clz_i32_u32_e32 v64, v26
	v_min_u32_e32 v64, 32, v64
	s_delay_alu instid0(VALU_DEP_1) | instskip(NEXT) | instid1(VALU_DEP_1)
	v_subrev_nc_u32_e32 v66, 28, v64
	v_lshlrev_b64_e32 v[66:67], v66, v[26:27]
	s_delay_alu instid0(VALU_DEP_1)
	v_dual_sub_nc_u32 v64, 29, v64 :: v_dual_bitop2_b32 v26, 7, v66 bitop3:0x40
; %bb.174:                              ;   in Loop: Header=BB174_9 Depth=1
	s_or_b32 exec_lo, exec_lo, s30
	s_delay_alu instid0(VALU_DEP_1) | instskip(NEXT) | instid1(VALU_DEP_2)
	v_dual_lshlrev_b32 v65, 24, v65 :: v_dual_lshlrev_b32 v26, 20, v26
	v_lshl_add_u32 v64, v64, 23, 0x3c000000
	s_delay_alu instid0(VALU_DEP_2) | instskip(NEXT) | instid1(VALU_DEP_1)
	v_and_b32_e32 v65, 0x80000000, v65
	v_or3_b32 v64, v26, v65, v64
.LBB174_175:                            ;   in Loop: Header=BB174_9 Depth=1
	s_or_b32 exec_lo, exec_lo, s29
.LBB174_176:                            ;   in Loop: Header=BB174_9 Depth=1
	s_delay_alu instid0(SALU_CYCLE_1)
	s_or_b32 exec_lo, exec_lo, s28
.LBB174_177:                            ;   in Loop: Header=BB174_9 Depth=1
	s_delay_alu instid0(SALU_CYCLE_1)
	s_or_b32 exec_lo, exec_lo, s27
	global_load_u8 v65, v[32:33], off offset:644
	s_mov_b32 s27, exec_lo
	s_wait_loadcnt 0x0
	v_cmpx_ne_u16_e32 0, v65
	s_cbranch_execz .LBB174_185
; %bb.178:                              ;   in Loop: Header=BB174_9 Depth=1
	v_bfrev_b32_e32 v63, 1
	s_mov_b32 s28, exec_lo
	v_cmpx_ne_u16_e32 0x80, v65
	s_cbranch_execz .LBB174_184
; %bb.179:                              ;   in Loop: Header=BB174_9 Depth=1
	v_and_b32_e32 v26, 0xffff, v65
	v_mov_b32_e32 v63, 0x7f800001
	s_mov_b32 s29, exec_lo
	s_delay_alu instid0(VALU_DEP_2) | instskip(NEXT) | instid1(VALU_DEP_1)
	v_and_b32_e32 v66, 0x7f, v26
	v_cmpx_ne_u32_e32 0x7f, v66
	s_cbranch_execz .LBB174_183
; %bb.180:                              ;   in Loop: Header=BB174_9 Depth=1
	v_and_b32_e32 v26, 7, v26
	v_lshrrev_b32_e32 v63, 3, v66
	s_mov_b32 s30, exec_lo
	v_cmpx_gt_u32_e32 8, v66
; %bb.181:                              ;   in Loop: Header=BB174_9 Depth=1
	s_delay_alu instid0(VALU_DEP_3) | instskip(NEXT) | instid1(VALU_DEP_1)
	v_clz_i32_u32_e32 v63, v26
	v_min_u32_e32 v63, 32, v63
	s_delay_alu instid0(VALU_DEP_1) | instskip(NEXT) | instid1(VALU_DEP_1)
	v_subrev_nc_u32_e32 v66, 28, v63
	v_lshlrev_b64_e32 v[66:67], v66, v[26:27]
	s_delay_alu instid0(VALU_DEP_1)
	v_dual_sub_nc_u32 v63, 29, v63 :: v_dual_bitop2_b32 v26, 7, v66 bitop3:0x40
; %bb.182:                              ;   in Loop: Header=BB174_9 Depth=1
	s_or_b32 exec_lo, exec_lo, s30
	s_delay_alu instid0(VALU_DEP_1) | instskip(NEXT) | instid1(VALU_DEP_2)
	v_dual_lshlrev_b32 v65, 24, v65 :: v_dual_lshlrev_b32 v26, 20, v26
	v_lshl_add_u32 v63, v63, 23, 0x3c000000
	s_delay_alu instid0(VALU_DEP_2) | instskip(NEXT) | instid1(VALU_DEP_1)
	v_and_b32_e32 v65, 0x80000000, v65
	v_or3_b32 v63, v26, v65, v63
.LBB174_183:                            ;   in Loop: Header=BB174_9 Depth=1
	s_or_b32 exec_lo, exec_lo, s29
.LBB174_184:                            ;   in Loop: Header=BB174_9 Depth=1
	s_delay_alu instid0(SALU_CYCLE_1)
	s_or_b32 exec_lo, exec_lo, s28
.LBB174_185:                            ;   in Loop: Header=BB174_9 Depth=1
	s_delay_alu instid0(SALU_CYCLE_1)
	s_or_b32 exec_lo, exec_lo, s27
	global_load_u8 v67, v[32:33], off offset:648
	v_dual_mov_b32 v65, 0 :: v_dual_mov_b32 v66, 0
	s_mov_b32 s27, exec_lo
	s_wait_loadcnt 0x0
	v_cmpx_ne_u16_e32 0, v67
	s_cbranch_execz .LBB174_193
; %bb.186:                              ;   in Loop: Header=BB174_9 Depth=1
	v_bfrev_b32_e32 v66, 1
	s_mov_b32 s28, exec_lo
	v_cmpx_ne_u16_e32 0x80, v67
	s_cbranch_execz .LBB174_192
; %bb.187:                              ;   in Loop: Header=BB174_9 Depth=1
	v_and_b32_e32 v26, 0xffff, v67
	v_mov_b32_e32 v66, 0x7f800001
	s_mov_b32 s29, exec_lo
	s_delay_alu instid0(VALU_DEP_2) | instskip(NEXT) | instid1(VALU_DEP_1)
	v_and_b32_e32 v68, 0x7f, v26
	v_cmpx_ne_u32_e32 0x7f, v68
	s_cbranch_execz .LBB174_191
; %bb.188:                              ;   in Loop: Header=BB174_9 Depth=1
	v_dual_lshrrev_b32 v66, 3, v68 :: v_dual_bitop2_b32 v26, 7, v26 bitop3:0x40
	s_mov_b32 s30, exec_lo
	v_cmpx_gt_u32_e32 8, v68
; %bb.189:                              ;   in Loop: Header=BB174_9 Depth=1
	s_delay_alu instid0(VALU_DEP_2) | instskip(NEXT) | instid1(VALU_DEP_1)
	v_clz_i32_u32_e32 v66, v26
	v_min_u32_e32 v66, 32, v66
	s_delay_alu instid0(VALU_DEP_1) | instskip(NEXT) | instid1(VALU_DEP_1)
	v_subrev_nc_u32_e32 v68, 28, v66
	v_lshlrev_b64_e32 v[68:69], v68, v[26:27]
	s_delay_alu instid0(VALU_DEP_1)
	v_dual_sub_nc_u32 v66, 29, v66 :: v_dual_bitop2_b32 v26, 7, v68 bitop3:0x40
; %bb.190:                              ;   in Loop: Header=BB174_9 Depth=1
	s_or_b32 exec_lo, exec_lo, s30
	s_delay_alu instid0(VALU_DEP_1) | instskip(NEXT) | instid1(VALU_DEP_2)
	v_dual_lshlrev_b32 v67, 24, v67 :: v_dual_lshlrev_b32 v26, 20, v26
	v_lshl_add_u32 v66, v66, 23, 0x3c000000
	s_delay_alu instid0(VALU_DEP_2) | instskip(NEXT) | instid1(VALU_DEP_1)
	v_and_b32_e32 v67, 0x80000000, v67
	v_or3_b32 v66, v26, v67, v66
.LBB174_191:                            ;   in Loop: Header=BB174_9 Depth=1
	s_or_b32 exec_lo, exec_lo, s29
.LBB174_192:                            ;   in Loop: Header=BB174_9 Depth=1
	s_delay_alu instid0(SALU_CYCLE_1)
	s_or_b32 exec_lo, exec_lo, s28
.LBB174_193:                            ;   in Loop: Header=BB174_9 Depth=1
	s_delay_alu instid0(SALU_CYCLE_1)
	s_or_b32 exec_lo, exec_lo, s27
	global_load_u8 v32, v[32:33], off offset:652
	s_mov_b32 s27, exec_lo
	s_wait_loadcnt 0x0
	v_cmpx_ne_u16_e32 0, v32
	s_cbranch_execz .LBB174_201
; %bb.194:                              ;   in Loop: Header=BB174_9 Depth=1
	v_bfrev_b32_e32 v65, 1
	s_mov_b32 s28, exec_lo
	v_cmpx_ne_u16_e32 0x80, v32
	s_cbranch_execz .LBB174_200
; %bb.195:                              ;   in Loop: Header=BB174_9 Depth=1
	v_and_b32_e32 v26, 0xffff, v32
	v_mov_b32_e32 v65, 0x7f800001
	s_mov_b32 s29, exec_lo
	s_delay_alu instid0(VALU_DEP_2) | instskip(NEXT) | instid1(VALU_DEP_1)
	v_and_b32_e32 v67, 0x7f, v26
	v_cmpx_ne_u32_e32 0x7f, v67
	s_cbranch_execz .LBB174_199
; %bb.196:                              ;   in Loop: Header=BB174_9 Depth=1
	v_dual_lshrrev_b32 v33, 3, v67 :: v_dual_bitop2_b32 v26, 7, v26 bitop3:0x40
	s_mov_b32 s30, exec_lo
	v_cmpx_gt_u32_e32 8, v67
; %bb.197:                              ;   in Loop: Header=BB174_9 Depth=1
	s_delay_alu instid0(VALU_DEP_2) | instskip(NEXT) | instid1(VALU_DEP_1)
	v_clz_i32_u32_e32 v33, v26
	v_min_u32_e32 v33, 32, v33
	s_delay_alu instid0(VALU_DEP_1) | instskip(NEXT) | instid1(VALU_DEP_1)
	v_subrev_nc_u32_e32 v65, 28, v33
	v_lshlrev_b64_e32 v[68:69], v65, v[26:27]
	s_delay_alu instid0(VALU_DEP_1)
	v_dual_sub_nc_u32 v33, 29, v33 :: v_dual_bitop2_b32 v26, 7, v68 bitop3:0x40
; %bb.198:                              ;   in Loop: Header=BB174_9 Depth=1
	s_or_b32 exec_lo, exec_lo, s30
	s_delay_alu instid0(VALU_DEP_1) | instskip(NEXT) | instid1(VALU_DEP_2)
	v_dual_lshlrev_b32 v32, 24, v32 :: v_dual_lshlrev_b32 v26, 20, v26
	v_lshl_add_u32 v33, v33, 23, 0x3c000000
	s_delay_alu instid0(VALU_DEP_2) | instskip(NEXT) | instid1(VALU_DEP_1)
	v_and_b32_e32 v32, 0x80000000, v32
	v_or3_b32 v65, v26, v32, v33
.LBB174_199:                            ;   in Loop: Header=BB174_9 Depth=1
	s_or_b32 exec_lo, exec_lo, s29
.LBB174_200:                            ;   in Loop: Header=BB174_9 Depth=1
	s_delay_alu instid0(SALU_CYCLE_1)
	s_or_b32 exec_lo, exec_lo, s28
.LBB174_201:                            ;   in Loop: Header=BB174_9 Depth=1
	s_delay_alu instid0(SALU_CYCLE_1) | instskip(SKIP_3) | instid1(VALU_DEP_1)
	s_or_b32 exec_lo, exec_lo, s27
	s_wait_kmcnt 0x0
	v_dual_mul_f32 v26, s5, v43 :: v_dual_mul_f32 v32, s5, v44
	s_wait_dscnt 0x5
	v_mul_f32_e32 v26, v3, v26
	s_delay_alu instid0(VALU_DEP_1) | instskip(SKIP_1) | instid1(VALU_DEP_2)
	v_dual_mul_f32 v33, s5, v46 :: v_dual_fmac_f32 v26, v2, v32
	v_mul_f32_e32 v32, s5, v45
	v_dual_fmac_f32 v26, v4, v33 :: v_dual_mul_f32 v33, s5, v48
	s_delay_alu instid0(VALU_DEP_1) | instskip(SKIP_1) | instid1(VALU_DEP_1)
	v_dual_fmac_f32 v26, v5, v32 :: v_dual_mul_f32 v32, s5, v47
	s_wait_dscnt 0x4
	v_dual_fmac_f32 v26, v6, v33 :: v_dual_mul_f32 v33, s5, v50
	s_delay_alu instid0(VALU_DEP_1) | instskip(NEXT) | instid1(VALU_DEP_1)
	v_dual_fmac_f32 v26, v7, v32 :: v_dual_mul_f32 v32, s5, v49
	v_dual_fmac_f32 v26, v8, v33 :: v_dual_mul_f32 v33, s5, v52
	s_delay_alu instid0(VALU_DEP_1) | instskip(SKIP_1) | instid1(VALU_DEP_1)
	v_dual_fmac_f32 v26, v9, v32 :: v_dual_mul_f32 v32, s5, v51
	s_wait_dscnt 0x3
	v_dual_fmac_f32 v26, v10, v33 :: v_dual_mul_f32 v33, s5, v54
	s_delay_alu instid0(VALU_DEP_1) | instskip(NEXT) | instid1(VALU_DEP_1)
	v_dual_fmac_f32 v26, v11, v32 :: v_dual_mul_f32 v32, s5, v53
	;; [unrolled: 7-line block ×5, first 2 shown]
	v_fmac_f32_e32 v26, v24, v33
	s_delay_alu instid0(VALU_DEP_1)
	v_fmac_f32_e32 v26, v25, v32
	ds_bpermute_b32 v32, v38, v26
	s_wait_dscnt 0x0
	v_add_f32_e32 v26, v26, v32
	ds_bpermute_b32 v32, v39, v26
	s_and_saveexec_b32 s27, vcc_lo
	s_cbranch_execz .LBB174_8
; %bb.202:                              ;   in Loop: Header=BB174_9 Depth=1
	s_wait_dscnt 0x0
	v_add_f32_e32 v26, v26, v32
	v_add_nc_u32_e32 v33, s26, v40
	v_cmp_gt_i32_e64 s4, s23, v40
	s_delay_alu instid0(VALU_DEP_2) | instskip(NEXT) | instid1(VALU_DEP_1)
	v_cvt_f32_i32_e32 v33, v33
	v_mul_f32_e32 v33, s18, v33
	s_delay_alu instid0(VALU_DEP_1) | instskip(NEXT) | instid1(VALU_DEP_1)
	v_cndmask_b32_e64 v32, 0, v33, s3
	v_dual_max_num_f32 v33, v37, v37 :: v_dual_fmac_f32 v32, s19, v26
	s_delay_alu instid0(VALU_DEP_1) | instskip(NEXT) | instid1(VALU_DEP_1)
	v_dual_max_num_f32 v26, v33, v32 :: v_dual_cndmask_b32 v32, 0, v32, s4
	v_cndmask_b32_e64 v37, v37, v26, s4
	ds_store_b32 v41, v32
	s_branch .LBB174_8
.LBB174_203:
	s_or_b32 exec_lo, exec_lo, s11
.LBB174_204:
	s_delay_alu instid0(SALU_CYCLE_1)
	s_or_b32 exec_lo, exec_lo, s24
	v_dual_max_num_f32 v5, v37, v37 :: v_dual_bitop2_b32 v2, 16, v35 bitop3:0x14
	s_wait_kmcnt 0x0
	s_clause 0x1
	s_load_b64 s[4:5], s[0:1], 0x0
	s_load_b64 s[18:19], s[0:1], 0x18
	v_and_b32_e32 v46, 31, v0
	v_xor_b32_e32 v4, 8, v35
	v_cmp_lt_i32_e32 vcc_lo, v2, v36
	v_cndmask_b32_e32 v2, v35, v2, vcc_lo
	s_delay_alu instid0(VALU_DEP_3) | instskip(NEXT) | instid1(VALU_DEP_2)
	v_cmp_lt_i32_e32 vcc_lo, v4, v36
	v_dual_lshlrev_b32 v2, 2, v2 :: v_dual_cndmask_b32 v4, v35, v4, vcc_lo
	ds_bpermute_b32 v3, v2, v37
	s_wait_dscnt 0x0
	v_dual_max_num_f32 v6, v3, v3 :: v_dual_lshlrev_b32 v3, 2, v4
	s_delay_alu instid0(VALU_DEP_1) | instskip(SKIP_4) | instid1(VALU_DEP_1)
	v_dual_max_num_f32 v4, v5, v6 :: v_dual_bitop2_b32 v6, 4, v35 bitop3:0x14
	ds_bpermute_b32 v5, v3, v4
	v_cmp_lt_i32_e32 vcc_lo, v6, v36
	v_cndmask_b32_e32 v6, v35, v6, vcc_lo
	s_wait_dscnt 0x0
	v_dual_max_num_f32 v5, v5, v5 :: v_dual_lshlrev_b32 v6, 2, v6
	s_delay_alu instid0(VALU_DEP_1)
	v_max_num_f32_e32 v5, v4, v5
	v_lshlrev_b32_e32 v4, 2, v1
	v_cmp_eq_u32_e32 vcc_lo, 0, v46
	ds_bpermute_b32 v7, v6, v5
	s_wait_xcnt 0x0
	s_and_saveexec_b32 s0, vcc_lo
	s_cbranch_execz .LBB174_206
; %bb.205:
	s_wait_dscnt 0x0
	v_dual_max_num_f32 v7, v7, v7 :: v_dual_max_num_f32 v5, v5, v5
	s_delay_alu instid0(VALU_DEP_1)
	v_max_num_f32_e32 v5, v5, v7
	ds_store_b32 v4, v5 offset:384
.LBB174_206:
	s_or_b32 exec_lo, exec_lo, s0
	v_cmp_gt_u32_e64 s0, 4, v46
	v_dual_mov_b32 v8, 0xff7fffff :: v_dual_lshlrev_b32 v5, 2, v46
	s_wait_dscnt 0x0
	s_barrier_signal -1
	s_barrier_wait -1
	s_and_saveexec_b32 s1, s0
; %bb.207:
	ds_load_b32 v8, v5 offset:384
; %bb.208:
	s_or_b32 exec_lo, exec_lo, s1
	v_xor_b32_e32 v7, 2, v35
	v_xor_b32_e32 v10, 1, v35
	s_delay_alu instid0(VALU_DEP_2) | instskip(NEXT) | instid1(VALU_DEP_1)
	v_cmp_lt_i32_e64 s1, v7, v36
	v_cndmask_b32_e64 v7, v35, v7, s1
	s_delay_alu instid0(VALU_DEP_3) | instskip(NEXT) | instid1(VALU_DEP_1)
	v_cmp_lt_i32_e64 s1, v10, v36
	v_dual_cndmask_b32 v10, v35, v10, s1 :: v_dual_lshlrev_b32 v7, 2, v7
	s_lshl_b32 s1, s13, 3
	s_delay_alu instid0(SALU_CYCLE_1) | instskip(NEXT) | instid1(VALU_DEP_1)
	s_min_i32 s11, s1, s23
	v_lshlrev_b32_e32 v47, 2, v10
	s_wait_dscnt 0x0
	ds_bpermute_b32 v9, v7, v8
	v_max_num_f32_e32 v8, v8, v8
	v_cmp_gt_i32_e64 s1, s11, v0
	s_wait_dscnt 0x0
	v_max_num_f32_e32 v9, v9, v9
	s_delay_alu instid0(VALU_DEP_1) | instskip(SKIP_3) | instid1(VALU_DEP_1)
	v_max_num_f32_e32 v8, v8, v9
	ds_bpermute_b32 v9, v47, v8
	s_wait_dscnt 0x0
	v_max_num_f32_e32 v9, v9, v9
	v_dual_max_num_f32 v8, v8, v9 :: v_dual_lshlrev_b32 v9, 2, v27
	ds_bpermute_b32 v9, v9, v8
	v_mov_b32_e32 v8, 0
	s_and_saveexec_b32 s24, s1
	s_cbranch_execz .LBB174_212
; %bb.209:
	v_lshl_add_u32 v10, v0, 2, 0x1a0
	v_dual_mov_b32 v8, 0 :: v_dual_mov_b32 v11, v0
	s_mov_b32 s25, 0
.LBB174_210:                            ; =>This Inner Loop Header: Depth=1
	ds_load_b32 v12, v10
	v_add_nc_u32_e32 v11, 0x80, v11
	s_delay_alu instid0(VALU_DEP_1) | instskip(SKIP_3) | instid1(VALU_DEP_1)
	v_cmp_le_i32_e64 s3, s11, v11
	s_or_b32 s25, s3, s25
	s_wait_dscnt 0x0
	v_sub_f32_e32 v12, v12, v9
	v_mul_f32_e32 v12, 0x3fb8aa3b, v12
	s_delay_alu instid0(VALU_DEP_1)
	v_exp_f32_e32 v12, v12
	ds_store_b32 v10, v12
	v_nop
	v_add_f32_e32 v8, v8, v12
	v_add_nc_u32_e32 v10, 0x200, v10
	s_and_not1_b32 exec_lo, exec_lo, s25
	s_cbranch_execnz .LBB174_210
; %bb.211:
	s_or_b32 exec_lo, exec_lo, s25
.LBB174_212:
	s_delay_alu instid0(SALU_CYCLE_1)
	s_or_b32 exec_lo, exec_lo, s24
	ds_bpermute_b32 v2, v2, v8
	s_wait_dscnt 0x0
	v_add_f32_e32 v2, v8, v2
	ds_bpermute_b32 v3, v3, v2
	s_wait_dscnt 0x0
	v_add_f32_e32 v2, v2, v3
	;; [unrolled: 3-line block ×5, first 2 shown]
	s_and_saveexec_b32 s3, vcc_lo
; %bb.213:
	ds_store_b32 v4, v2 offset:400
; %bb.214:
	s_or_b32 exec_lo, exec_lo, s3
	s_wait_dscnt 0x0
	s_barrier_signal -1
	s_barrier_wait -1
	s_and_saveexec_b32 s3, s0
; %bb.215:
	ds_load_b32 v2, v5 offset:400
; %bb.216:
	s_or_b32 exec_lo, exec_lo, s3
	s_wait_dscnt 0x0
	ds_bpermute_b32 v3, v7, v2
	v_lshlrev_b32_e32 v4, 2, v35
	s_wait_dscnt 0x0
	v_add_f32_e32 v2, v2, v3
	ds_bpermute_b32 v3, v47, v2
	s_wait_dscnt 0x0
	v_add_f32_e32 v2, v2, v3
	v_and_b32_e32 v3, 0xffffff80, v4
	ds_bpermute_b32 v2, v3, v2
	s_and_saveexec_b32 s0, s1
	s_cbranch_execz .LBB174_229
; %bb.217:
	s_wait_dscnt 0x0
	v_add_f32_e32 v2, 0x358637bd, v2
	s_mov_b32 s3, -1
	s_mov_b32 s1, exec_lo
	s_delay_alu instid0(VALU_DEP_1) | instskip(NEXT) | instid1(VALU_DEP_1)
	v_div_scale_f32 v3, null, v2, v2, 1.0
	v_rcp_f32_e32 v5, v3
	v_nop
	s_delay_alu instid0(TRANS32_DEP_1) | instskip(NEXT) | instid1(VALU_DEP_1)
	v_fma_f32 v4, -v3, v5, 1.0
	v_fmac_f32_e32 v5, v4, v5
	v_div_scale_f32 v6, vcc_lo, 1.0, v2, 1.0
	s_delay_alu instid0(VALU_DEP_1) | instskip(NEXT) | instid1(VALU_DEP_1)
	v_mul_f32_e32 v7, v6, v5
	v_fma_f32 v4, -v3, v7, v6
	s_delay_alu instid0(VALU_DEP_1) | instskip(SKIP_1) | instid1(VALU_DEP_2)
	v_fmac_f32_e32 v7, v4, v5
	v_xad_u32 v4, v0, -1, s11
	v_fma_f32 v3, -v3, v7, v6
	s_delay_alu instid0(VALU_DEP_1) | instskip(NEXT) | instid1(VALU_DEP_1)
	v_div_fmas_f32 v3, v3, v5, v7
	v_div_fixup_f32 v2, v3, v2, 1.0
	v_mov_b32_e32 v3, v0
	v_cmpx_lt_u32_e32 0x7f, v4
	s_cbranch_execz .LBB174_226
; %bb.218:
	s_delay_alu instid0(VALU_DEP_3) | instskip(NEXT) | instid1(VALU_DEP_1)
	v_dual_mov_b32 v3, v2 :: v_dual_lshrrev_b32 v4, 7, v4
	v_dual_mov_b32 v8, 0 :: v_dual_add_nc_u32 v5, -1, v4
	s_delay_alu instid0(VALU_DEP_1) | instskip(SKIP_1) | instid1(VALU_DEP_2)
	v_lshrrev_b32_e32 v6, 1, v5
	v_cmp_lt_u32_e32 vcc_lo, 13, v5
	v_add_nc_u32_e32 v5, 1, v6
	s_and_saveexec_b32 s3, vcc_lo
	s_cbranch_execz .LBB174_222
; %bb.219:
	s_delay_alu instid0(VALU_DEP_1)
	v_and_b32_e32 v6, -8, v5
	v_lshl_add_u32 v7, v0, 2, 0x1a0
	s_mov_b32 s24, 0
	s_mov_b32 s25, 0
.LBB174_220:                            ; =>This Inner Loop Header: Depth=1
	ds_load_2addr_stride64_b32 v[8:9], v7 offset1:2
	ds_load_2addr_stride64_b32 v[10:11], v7 offset0:4 offset1:6
	ds_load_2addr_stride64_b32 v[12:13], v7 offset0:8 offset1:10
	;; [unrolled: 1-line block ×7, first 2 shown]
	s_add_co_i32 s25, s25, 16
	v_add_nc_u32_e32 v6, -8, v6
	s_wait_dscnt 0x7
	v_pk_mul_f32 v[8:9], v[2:3], v[8:9]
	s_wait_dscnt 0x6
	v_pk_mul_f32 v[10:11], v[2:3], v[10:11]
	;; [unrolled: 2-line block ×8, first 2 shown]
	ds_store_2addr_stride64_b32 v7, v8, v9 offset1:2
	ds_store_2addr_stride64_b32 v7, v10, v11 offset0:4 offset1:6
	ds_store_2addr_stride64_b32 v7, v12, v13 offset0:8 offset1:10
	;; [unrolled: 1-line block ×7, first 2 shown]
	v_mov_b32_e32 v8, s25
	v_cmp_eq_u32_e32 vcc_lo, 0, v6
	v_add_nc_u32_e32 v7, 0x2000, v7
	s_or_b32 s24, vcc_lo, s24
	s_delay_alu instid0(SALU_CYCLE_1)
	s_and_not1_b32 exec_lo, exec_lo, s24
	s_cbranch_execnz .LBB174_220
; %bb.221:
	s_or_b32 exec_lo, exec_lo, s24
.LBB174_222:
	s_delay_alu instid0(SALU_CYCLE_1) | instskip(NEXT) | instid1(VALU_DEP_1)
	s_or_b32 exec_lo, exec_lo, s3
	v_and_b32_e32 v5, 7, v5
	s_mov_b32 s24, 0
	s_mov_b32 s3, exec_lo
	s_delay_alu instid0(VALU_DEP_1)
	v_cmpx_ne_u32_e32 0, v5
	s_cbranch_execz .LBB174_225
; %bb.223:
	v_lshlrev_b32_e32 v6, 9, v8
	v_lshlrev_b32_e32 v7, 2, v0
	s_delay_alu instid0(VALU_DEP_1)
	v_add3_u32 v6, v6, v7, 0x1a0
.LBB174_224:                            ; =>This Inner Loop Header: Depth=1
	ds_load_2addr_stride64_b32 v[8:9], v6 offset1:2
	v_add_nc_u32_e32 v5, -1, v5
	s_delay_alu instid0(VALU_DEP_1)
	v_cmp_eq_u32_e32 vcc_lo, 0, v5
	s_or_b32 s24, vcc_lo, s24
	s_wait_dscnt 0x0
	v_pk_mul_f32 v[8:9], v[2:3], v[8:9]
	ds_store_2addr_stride64_b32 v6, v8, v9 offset1:2
	v_add_nc_u32_e32 v6, 0x400, v6
	s_and_not1_b32 exec_lo, exec_lo, s24
	s_cbranch_execnz .LBB174_224
.LBB174_225:
	s_or_b32 exec_lo, exec_lo, s3
	v_add_nc_u32_e32 v3, 1, v4
	s_delay_alu instid0(VALU_DEP_1) | instskip(NEXT) | instid1(VALU_DEP_1)
	v_and_b32_e32 v4, 0x3fffffe, v3
	v_cmp_ne_u32_e32 vcc_lo, v3, v4
	v_lshl_add_u32 v3, v4, 7, v0
	s_or_not1_b32 s3, vcc_lo, exec_lo
.LBB174_226:
	s_or_b32 exec_lo, exec_lo, s1
	s_delay_alu instid0(SALU_CYCLE_1)
	s_and_b32 exec_lo, exec_lo, s3
	s_cbranch_execz .LBB174_229
; %bb.227:
	v_lshl_add_u32 v4, v3, 2, 0x1a0
	s_mov_b32 s1, 0
.LBB174_228:                            ; =>This Inner Loop Header: Depth=1
	ds_load_b32 v5, v4
	v_add_nc_u32_e32 v3, 0x80, v3
	s_delay_alu instid0(VALU_DEP_1)
	v_cmp_le_i32_e32 vcc_lo, s11, v3
	s_or_b32 s1, vcc_lo, s1
	s_wait_dscnt 0x0
	v_mul_f32_e32 v5, v2, v5
	ds_store_b32 v4, v5
	v_add_nc_u32_e32 v4, 0x200, v4
	s_and_not1_b32 exec_lo, exec_lo, s1
	s_cbranch_execnz .LBB174_228
.LBB174_229:
	s_or_b32 exec_lo, exec_lo, s0
	v_dual_mov_b32 v7, 0 :: v_dual_bitop2_b32 v48, 1, v0 bitop3:0x40
	s_wait_dscnt 0x0
	s_barrier_signal -1
	s_barrier_wait -1
	s_delay_alu instid0(VALU_DEP_1)
	v_dual_mov_b32 v6, v7 :: v_dual_mov_b32 v9, v7
	v_dual_mov_b32 v8, v7 :: v_dual_mov_b32 v11, v7
	v_mov_b32_e32 v10, v7
	s_and_saveexec_b32 s1, s2
	s_cbranch_execz .LBB174_437
; %bb.230:
	s_load_b32 s2, s[6:7], 0x0
	v_dual_mov_b32 v13, 0 :: v_dual_lshlrev_b32 v2, 2, v0
	s_ashr_i32 s11, s10, 31
	v_dual_lshlrev_b32 v3, 4, v48 :: v_dual_mov_b32 v7, 0
	s_delay_alu instid0(VALU_DEP_2)
	v_and_b32_e32 v12, 0x7c, v2
	s_wait_kmcnt 0x0
	s_add_nc_u64 s[10:11], s[18:19], s[10:11]
	s_lshl_b64 s[14:15], s[14:15], 2
	v_dual_mov_b32 v6, 0 :: v_dual_bitop2_b32 v2, 4, v2 bitop3:0x40
	v_add_nc_u64_e32 v[14:15], s[10:11], v[12:13]
	v_and_b32_e32 v12, 0x7c, v34
	v_lshl_or_b32 v3, v1, 5, v3
	s_add_nc_u64 s[10:11], s[16:17], s[14:15]
	v_mov_b32_e32 v9, 0
	v_lshl_or_b32 v49, v1, 3, v2
	v_add_nc_u64_e32 v[16:17], s[10:11], v[12:13]
	v_add_nc_u32_e32 v50, 0x1a0, v3
	v_dual_mov_b32 v8, 0 :: v_dual_mov_b32 v11, 0
	v_dual_mov_b32 v10, 0 :: v_dual_mov_b32 v51, v1
	s_mov_b32 s6, s9
	s_mov_b32 s3, s2
	s_add_co_i32 s7, s13, -1
	s_mov_b32 s10, s23
	s_mov_b32 s9, 0
	s_branch .LBB174_232
.LBB174_231:                            ;   in Loop: Header=BB174_232 Depth=1
	s_or_b32 exec_lo, exec_lo, s0
	s_wait_dscnt 0x0
	v_dual_mul_f32 v12, v2, v38 :: v_dual_mul_f32 v20, v2, v20
	v_mul_f32_e32 v38, v2, v34
	v_pk_mul_f32 v[22:23], v[2:3], v[22:23]
	v_add_nc_u64_e32 v[16:17], 16, v[16:17]
	s_delay_alu instid0(VALU_DEP_4) | instskip(NEXT) | instid1(VALU_DEP_4)
	v_dual_fmac_f32 v12, v3, v39 :: v_dual_mul_f32 v30, v2, v30
	v_dual_fmac_f32 v38, v3, v35 :: v_dual_mul_f32 v26, v2, v26
	v_pk_mul_f32 v[34:35], v[4:5], v[40:41]
	s_delay_alu instid0(VALU_DEP_3) | instskip(NEXT) | instid1(VALU_DEP_3)
	v_dual_fmac_f32 v20, v3, v21 :: v_dual_fmac_f32 v30, v3, v31
	v_dual_fmac_f32 v12, v4, v36 :: v_dual_fmac_f32 v26, v3, v27
	s_delay_alu instid0(VALU_DEP_4) | instskip(NEXT) | instid1(VALU_DEP_3)
	v_dual_fmac_f32 v38, v4, v32 :: v_dual_add_f32 v2, v23, v22
	v_dual_fmac_f32 v30, v4, v28 :: v_dual_fmac_f32 v20, v4, v18
	s_delay_alu instid0(VALU_DEP_3) | instskip(NEXT) | instid1(VALU_DEP_3)
	v_fmac_f32_e32 v12, v5, v37
	v_fmac_f32_e32 v38, v5, v33
	s_delay_alu instid0(VALU_DEP_4) | instskip(NEXT) | instid1(VALU_DEP_3)
	v_dual_fmac_f32 v26, v4, v24 :: v_dual_add_f32 v2, v34, v2
	v_dual_add_f32 v6, v6, v12 :: v_dual_add_nc_u32 v51, 4, v51
	s_delay_alu instid0(VALU_DEP_3) | instskip(SKIP_1) | instid1(VALU_DEP_4)
	v_add_f32_e32 v9, v9, v38
	v_dual_fmac_f32 v30, v5, v29 :: v_dual_fmac_f32 v20, v5, v19
	v_dual_fmac_f32 v26, v5, v25 :: v_dual_add_f32 v2, v35, v2
	s_delay_alu instid0(VALU_DEP_4) | instskip(NEXT) | instid1(VALU_DEP_3)
	v_cmp_le_i32_e32 vcc_lo, s13, v51
	v_dual_add_f32 v8, v8, v30 :: v_dual_add_f32 v10, v10, v20
	s_delay_alu instid0(VALU_DEP_3) | instskip(NEXT) | instid1(VALU_DEP_4)
	v_dual_add_f32 v11, v11, v26 :: v_dual_add_nc_u32 v49, 32, v49
	v_add_f32_e32 v7, v7, v2
	v_add_nc_u32_e32 v50, 0x80, v50
	s_or_b32 s9, vcc_lo, s9
	s_delay_alu instid0(SALU_CYCLE_1)
	s_and_not1_b32 exec_lo, exec_lo, s9
	s_cbranch_execz .LBB174_436
.LBB174_232:                            ; =>This Inner Loop Header: Depth=1
	global_load_b32 v2, v[16:17], off
	v_mov_b64_e32 v[18:19], 0
	v_mov_b64_e32 v[20:21], 0
	s_mov_b32 s0, exec_lo
	s_wait_loadcnt 0x0
	v_mad_nc_i64_i32 v[22:23], v2, s6, v[14:15]
	ds_load_b128 v[2:5], v50
	global_load_b32 v28, v[22:23], off
	s_wait_loadcnt 0x0
	v_and_b32_e32 v12, 0xff, v28
	s_delay_alu instid0(VALU_DEP_1)
	v_cmpx_ne_u16_e32 0, v12
	s_cbranch_execz .LBB174_240
; %bb.233:                              ;   in Loop: Header=BB174_232 Depth=1
	v_mov_b64_e32 v[20:21], 0x80000000
	s_mov_b32 s11, exec_lo
	v_cmpx_ne_u16_e32 0x80, v12
	s_cbranch_execz .LBB174_239
; %bb.234:                              ;   in Loop: Header=BB174_232 Depth=1
	v_mov_b64_e32 v[20:21], 0x7f800001
	v_and_b32_e32 v24, 0x7f, v28
	s_mov_b32 s14, exec_lo
	s_delay_alu instid0(VALU_DEP_1)
	v_cmpx_ne_u32_e32 0x7f, v24
	s_cbranch_execz .LBB174_238
; %bb.235:                              ;   in Loop: Header=BB174_232 Depth=1
	v_and_b32_e32 v12, 7, v28
	v_lshrrev_b32_e32 v20, 3, v24
	s_mov_b32 s15, exec_lo
	v_cmpx_gt_u32_e32 8, v24
; %bb.236:                              ;   in Loop: Header=BB174_232 Depth=1
	s_delay_alu instid0(VALU_DEP_3) | instskip(NEXT) | instid1(VALU_DEP_1)
	v_clz_i32_u32_e32 v20, v12
	v_min_u32_e32 v20, 32, v20
	s_delay_alu instid0(VALU_DEP_1) | instskip(SKIP_1) | instid1(VALU_DEP_2)
	v_subrev_nc_u32_e32 v21, 28, v20
	v_sub_nc_u32_e32 v20, 29, v20
	v_lshlrev_b64_e32 v[24:25], v21, v[12:13]
	s_delay_alu instid0(VALU_DEP_1)
	v_and_b32_e32 v12, 7, v24
; %bb.237:                              ;   in Loop: Header=BB174_232 Depth=1
	s_or_b32 exec_lo, exec_lo, s15
	v_lshlrev_b32_e32 v21, 24, v28
	s_delay_alu instid0(VALU_DEP_2) | instskip(SKIP_1) | instid1(VALU_DEP_3)
	v_lshlrev_b32_e32 v12, 20, v12
	v_lshl_add_u32 v20, v20, 23, 0x3c000000
	v_and_b32_e32 v21, 0x80000000, v21
	s_delay_alu instid0(VALU_DEP_1) | instskip(NEXT) | instid1(VALU_DEP_1)
	v_or3_b32 v12, v12, v21, v20
	v_mov_b64_e32 v[20:21], v[12:13]
.LBB174_238:                            ;   in Loop: Header=BB174_232 Depth=1
	s_or_b32 exec_lo, exec_lo, s14
.LBB174_239:                            ;   in Loop: Header=BB174_232 Depth=1
	s_delay_alu instid0(SALU_CYCLE_1)
	s_or_b32 exec_lo, exec_lo, s11
.LBB174_240:                            ;   in Loop: Header=BB174_232 Depth=1
	s_delay_alu instid0(SALU_CYCLE_1) | instskip(SKIP_2) | instid1(VALU_DEP_1)
	s_or_b32 exec_lo, exec_lo, s0
	v_lshrrev_b16 v12, 8, v28
	s_mov_b32 s0, exec_lo
	v_cmpx_ne_u16_e32 0, v12
	s_cbranch_execz .LBB174_248
; %bb.241:                              ;   in Loop: Header=BB174_232 Depth=1
	v_mov_b64_e32 v[18:19], 0x8000000000000000
	s_mov_b32 s11, exec_lo
	v_cmpx_ne_u16_e32 0x80, v12
	s_cbranch_execz .LBB174_247
; %bb.242:                              ;   in Loop: Header=BB174_232 Depth=1
	v_and_b32_e32 v12, 0xffff, v12
	v_mov_b64_e32 v[18:19], 0x7f80000100000000
	s_mov_b32 s14, exec_lo
	s_delay_alu instid0(VALU_DEP_2) | instskip(NEXT) | instid1(VALU_DEP_1)
	v_and_b32_e32 v24, 0x7f, v12
	v_cmpx_ne_u32_e32 0x7f, v24
	s_cbranch_execz .LBB174_246
; %bb.243:                              ;   in Loop: Header=BB174_232 Depth=1
	v_and_b32_e32 v12, 7, v12
	v_lshrrev_b32_e32 v18, 3, v24
	s_mov_b32 s15, exec_lo
	v_cmpx_gt_u32_e32 8, v24
; %bb.244:                              ;   in Loop: Header=BB174_232 Depth=1
	s_delay_alu instid0(VALU_DEP_3) | instskip(NEXT) | instid1(VALU_DEP_1)
	v_clz_i32_u32_e32 v18, v12
	v_min_u32_e32 v18, 32, v18
	s_delay_alu instid0(VALU_DEP_1) | instskip(NEXT) | instid1(VALU_DEP_1)
	v_subrev_nc_u32_e32 v19, 28, v18
	v_lshlrev_b64_e32 v[24:25], v19, v[12:13]
	s_delay_alu instid0(VALU_DEP_1)
	v_dual_sub_nc_u32 v18, 29, v18 :: v_dual_bitop2_b32 v12, 7, v24 bitop3:0x40
; %bb.245:                              ;   in Loop: Header=BB174_232 Depth=1
	s_or_b32 exec_lo, exec_lo, s15
	v_lshlrev_b32_e32 v19, 16, v28
	s_delay_alu instid0(VALU_DEP_2) | instskip(NEXT) | instid1(VALU_DEP_3)
	v_lshlrev_b32_e32 v12, 20, v12
	v_lshl_add_u32 v18, v18, 23, 0x3c000000
	s_delay_alu instid0(VALU_DEP_3) | instskip(NEXT) | instid1(VALU_DEP_1)
	v_and_b32_e32 v19, 0x80000000, v19
	v_or3_b32 v19, v12, v19, v18
	v_mov_b32_e32 v18, v13
.LBB174_246:                            ;   in Loop: Header=BB174_232 Depth=1
	s_or_b32 exec_lo, exec_lo, s14
.LBB174_247:                            ;   in Loop: Header=BB174_232 Depth=1
	s_delay_alu instid0(SALU_CYCLE_1)
	s_or_b32 exec_lo, exec_lo, s11
.LBB174_248:                            ;   in Loop: Header=BB174_232 Depth=1
	s_delay_alu instid0(SALU_CYCLE_1) | instskip(SKIP_4) | instid1(VALU_DEP_3)
	s_or_b32 exec_lo, exec_lo, s0
	v_lshrrev_b32_e32 v29, 16, v28
	v_mov_b64_e32 v[24:25], 0
	v_mov_b64_e32 v[26:27], 0
	s_mov_b32 s0, exec_lo
	v_and_b32_e32 v12, 0xff, v29
	s_delay_alu instid0(VALU_DEP_1)
	v_cmpx_ne_u16_e32 0, v12
	s_cbranch_execz .LBB174_256
; %bb.249:                              ;   in Loop: Header=BB174_232 Depth=1
	v_mov_b64_e32 v[26:27], 0x80000000
	s_mov_b32 s11, exec_lo
	v_cmpx_ne_u16_e32 0x80, v12
	s_cbranch_execz .LBB174_255
; %bb.250:                              ;   in Loop: Header=BB174_232 Depth=1
	v_mov_b64_e32 v[26:27], 0x7f800001
	v_bfe_u32 v30, v28, 16, 7
	s_mov_b32 s14, exec_lo
	s_delay_alu instid0(VALU_DEP_1)
	v_cmpx_ne_u32_e32 0x7f, v30
	s_cbranch_execz .LBB174_254
; %bb.251:                              ;   in Loop: Header=BB174_232 Depth=1
	v_dual_lshrrev_b32 v26, 3, v30 :: v_dual_bitop2_b32 v12, 7, v29 bitop3:0x40
	s_mov_b32 s15, exec_lo
	v_cmpx_gt_u32_e32 8, v30
; %bb.252:                              ;   in Loop: Header=BB174_232 Depth=1
	s_delay_alu instid0(VALU_DEP_2) | instskip(NEXT) | instid1(VALU_DEP_1)
	v_clz_i32_u32_e32 v26, v12
	v_min_u32_e32 v26, 32, v26
	s_delay_alu instid0(VALU_DEP_1) | instskip(SKIP_1) | instid1(VALU_DEP_2)
	v_subrev_nc_u32_e32 v27, 28, v26
	v_sub_nc_u32_e32 v26, 29, v26
	v_lshlrev_b64_e32 v[30:31], v27, v[12:13]
	s_delay_alu instid0(VALU_DEP_1)
	v_and_b32_e32 v12, 7, v30
; %bb.253:                              ;   in Loop: Header=BB174_232 Depth=1
	s_or_b32 exec_lo, exec_lo, s15
	s_delay_alu instid0(VALU_DEP_1) | instskip(SKIP_1) | instid1(VALU_DEP_2)
	v_dual_lshlrev_b32 v27, 24, v29 :: v_dual_lshlrev_b32 v12, 20, v12
	v_lshl_add_u32 v26, v26, 23, 0x3c000000
	v_and_b32_e32 v27, 0x80000000, v27
	s_delay_alu instid0(VALU_DEP_1) | instskip(NEXT) | instid1(VALU_DEP_1)
	v_or3_b32 v12, v12, v27, v26
	v_mov_b64_e32 v[26:27], v[12:13]
.LBB174_254:                            ;   in Loop: Header=BB174_232 Depth=1
	s_or_b32 exec_lo, exec_lo, s14
.LBB174_255:                            ;   in Loop: Header=BB174_232 Depth=1
	s_delay_alu instid0(SALU_CYCLE_1)
	s_or_b32 exec_lo, exec_lo, s11
.LBB174_256:                            ;   in Loop: Header=BB174_232 Depth=1
	s_delay_alu instid0(SALU_CYCLE_1) | instskip(NEXT) | instid1(SALU_CYCLE_1)
	s_or_b32 exec_lo, exec_lo, s0
	s_mov_b32 s0, exec_lo
	v_cmpx_lt_u32_e32 0xffffff, v28
	s_cbranch_execz .LBB174_264
; %bb.257:                              ;   in Loop: Header=BB174_232 Depth=1
	v_mov_b64_e32 v[24:25], 0x8000000000000000
	v_lshrrev_b32_e32 v29, 24, v28
	s_mov_b32 s11, exec_lo
	s_delay_alu instid0(VALU_DEP_1)
	v_cmpx_ne_u32_e32 0x80, v29
	s_cbranch_execz .LBB174_263
; %bb.258:                              ;   in Loop: Header=BB174_232 Depth=1
	v_mov_b64_e32 v[24:25], 0x7f80000100000000
	v_bfe_u32 v28, v28, 24, 7
	s_mov_b32 s14, exec_lo
	s_delay_alu instid0(VALU_DEP_1)
	v_cmpx_ne_u32_e32 0x7f, v28
	s_cbranch_execz .LBB174_262
; %bb.259:                              ;   in Loop: Header=BB174_232 Depth=1
	v_dual_lshrrev_b32 v24, 3, v28 :: v_dual_bitop2_b32 v12, 7, v29 bitop3:0x40
	s_mov_b32 s15, exec_lo
	v_cmpx_gt_u32_e32 8, v28
; %bb.260:                              ;   in Loop: Header=BB174_232 Depth=1
	s_delay_alu instid0(VALU_DEP_2) | instskip(NEXT) | instid1(VALU_DEP_1)
	v_clz_i32_u32_e32 v24, v12
	v_min_u32_e32 v24, 32, v24
	s_delay_alu instid0(VALU_DEP_1) | instskip(NEXT) | instid1(VALU_DEP_1)
	v_subrev_nc_u32_e32 v25, 28, v24
	v_lshlrev_b64_e32 v[30:31], v25, v[12:13]
	s_delay_alu instid0(VALU_DEP_1)
	v_dual_sub_nc_u32 v24, 29, v24 :: v_dual_bitop2_b32 v12, 7, v30 bitop3:0x40
; %bb.261:                              ;   in Loop: Header=BB174_232 Depth=1
	s_or_b32 exec_lo, exec_lo, s15
	s_delay_alu instid0(VALU_DEP_1) | instskip(NEXT) | instid1(VALU_DEP_2)
	v_dual_lshlrev_b32 v25, 24, v29 :: v_dual_lshlrev_b32 v12, 20, v12
	v_lshl_add_u32 v24, v24, 23, 0x3c000000
	s_delay_alu instid0(VALU_DEP_2) | instskip(NEXT) | instid1(VALU_DEP_1)
	v_and_b32_e32 v25, 0x80000000, v25
	v_or3_b32 v25, v12, v25, v24
	v_mov_b32_e32 v24, v13
.LBB174_262:                            ;   in Loop: Header=BB174_232 Depth=1
	s_or_b32 exec_lo, exec_lo, s14
.LBB174_263:                            ;   in Loop: Header=BB174_232 Depth=1
	s_delay_alu instid0(SALU_CYCLE_1)
	s_or_b32 exec_lo, exec_lo, s11
.LBB174_264:                            ;   in Loop: Header=BB174_232 Depth=1
	s_delay_alu instid0(SALU_CYCLE_1)
	s_or_b32 exec_lo, exec_lo, s0
	v_mov_b64_e32 v[28:29], s[2:3]
	v_or_b32_e32 v19, v19, v21
	v_dual_add_nc_u32 v52, 1, v49 :: v_dual_bitop2_b32 v18, v18, v20 bitop3:0x54
	v_dual_add_nc_u32 v45, 2, v49 :: v_dual_bitop2_b32 v25, v25, v27 bitop3:0x54
	v_dual_add_nc_u32 v44, 3, v49 :: v_dual_bitop2_b32 v24, v24, v26 bitop3:0x54
	v_cmp_eq_u32_e32 vcc_lo, s7, v51
	s_delay_alu instid0(VALU_DEP_4) | instskip(NEXT) | instid1(VALU_DEP_3)
	v_pk_mul_f32 v[20:21], v[28:29], v[18:19]
	v_pk_mul_f32 v[18:19], v[28:29], v[24:25]
	s_and_saveexec_b32 s11, vcc_lo
	s_cbranch_execz .LBB174_266
; %bb.265:                              ;   in Loop: Header=BB174_232 Depth=1
	v_cmp_gt_i32_e64 s0, s23, v49
	s_delay_alu instid0(VALU_DEP_1) | instskip(SKIP_1) | instid1(VALU_DEP_1)
	v_cndmask_b32_e64 v20, 0, v20, s0
	v_cmp_gt_i32_e64 s0, s23, v52
	v_cndmask_b32_e64 v21, 0, v21, s0
	v_cmp_gt_i32_e64 s0, s23, v45
	s_delay_alu instid0(VALU_DEP_1) | instskip(SKIP_1) | instid1(VALU_DEP_1)
	v_cndmask_b32_e64 v18, 0, v18, s0
	v_cmp_gt_i32_e64 s0, s23, v44
	v_cndmask_b32_e64 v19, 0, v19, s0
.LBB174_266:                            ;   in Loop: Header=BB174_232 Depth=1
	s_or_b32 exec_lo, exec_lo, s11
	global_load_b32 v32, v[22:23], off offset:128
	v_mov_b64_e32 v[24:25], 0
	v_mov_b64_e32 v[26:27], 0
	s_mov_b32 s11, exec_lo
	s_wait_loadcnt 0x0
	v_and_b32_e32 v12, 0xff, v32
	s_delay_alu instid0(VALU_DEP_1)
	v_cmpx_ne_u16_e32 0, v12
	s_cbranch_execz .LBB174_274
; %bb.267:                              ;   in Loop: Header=BB174_232 Depth=1
	v_mov_b64_e32 v[26:27], 0x80000000
	s_mov_b32 s14, exec_lo
	v_cmpx_ne_u16_e32 0x80, v12
	s_cbranch_execz .LBB174_273
; %bb.268:                              ;   in Loop: Header=BB174_232 Depth=1
	v_mov_b64_e32 v[26:27], 0x7f800001
	v_and_b32_e32 v28, 0x7f, v32
	s_mov_b32 s15, exec_lo
	s_delay_alu instid0(VALU_DEP_1)
	v_cmpx_ne_u32_e32 0x7f, v28
	s_cbranch_execz .LBB174_272
; %bb.269:                              ;   in Loop: Header=BB174_232 Depth=1
	v_and_b32_e32 v12, 7, v32
	v_lshrrev_b32_e32 v26, 3, v28
	s_mov_b32 s16, exec_lo
	v_cmpx_gt_u32_e32 8, v28
; %bb.270:                              ;   in Loop: Header=BB174_232 Depth=1
	s_delay_alu instid0(VALU_DEP_3) | instskip(NEXT) | instid1(VALU_DEP_1)
	v_clz_i32_u32_e32 v26, v12
	v_min_u32_e32 v26, 32, v26
	s_delay_alu instid0(VALU_DEP_1) | instskip(NEXT) | instid1(VALU_DEP_1)
	v_subrev_nc_u32_e32 v27, 28, v26
	v_lshlrev_b64_e32 v[28:29], v27, v[12:13]
	s_delay_alu instid0(VALU_DEP_1)
	v_dual_sub_nc_u32 v26, 29, v26 :: v_dual_bitop2_b32 v12, 7, v28 bitop3:0x40
; %bb.271:                              ;   in Loop: Header=BB174_232 Depth=1
	s_or_b32 exec_lo, exec_lo, s16
	v_lshlrev_b32_e32 v27, 24, v32
	s_delay_alu instid0(VALU_DEP_2) | instskip(NEXT) | instid1(VALU_DEP_3)
	v_lshlrev_b32_e32 v12, 20, v12
	v_lshl_add_u32 v26, v26, 23, 0x3c000000
	s_delay_alu instid0(VALU_DEP_3) | instskip(NEXT) | instid1(VALU_DEP_1)
	v_and_b32_e32 v27, 0x80000000, v27
	v_or3_b32 v12, v12, v27, v26
	s_delay_alu instid0(VALU_DEP_1)
	v_mov_b64_e32 v[26:27], v[12:13]
.LBB174_272:                            ;   in Loop: Header=BB174_232 Depth=1
	s_or_b32 exec_lo, exec_lo, s15
.LBB174_273:                            ;   in Loop: Header=BB174_232 Depth=1
	s_delay_alu instid0(SALU_CYCLE_1)
	s_or_b32 exec_lo, exec_lo, s14
.LBB174_274:                            ;   in Loop: Header=BB174_232 Depth=1
	s_delay_alu instid0(SALU_CYCLE_1) | instskip(SKIP_2) | instid1(VALU_DEP_1)
	s_or_b32 exec_lo, exec_lo, s11
	v_lshrrev_b16 v12, 8, v32
	s_mov_b32 s11, exec_lo
	v_cmpx_ne_u16_e32 0, v12
	s_cbranch_execz .LBB174_282
; %bb.275:                              ;   in Loop: Header=BB174_232 Depth=1
	v_mov_b64_e32 v[24:25], 0x8000000000000000
	s_mov_b32 s14, exec_lo
	v_cmpx_ne_u16_e32 0x80, v12
	s_cbranch_execz .LBB174_281
; %bb.276:                              ;   in Loop: Header=BB174_232 Depth=1
	v_and_b32_e32 v12, 0xffff, v12
	v_mov_b64_e32 v[24:25], 0x7f80000100000000
	s_mov_b32 s15, exec_lo
	s_delay_alu instid0(VALU_DEP_2) | instskip(NEXT) | instid1(VALU_DEP_1)
	v_and_b32_e32 v28, 0x7f, v12
	v_cmpx_ne_u32_e32 0x7f, v28
	s_cbranch_execz .LBB174_280
; %bb.277:                              ;   in Loop: Header=BB174_232 Depth=1
	v_and_b32_e32 v12, 7, v12
	v_lshrrev_b32_e32 v24, 3, v28
	s_mov_b32 s16, exec_lo
	v_cmpx_gt_u32_e32 8, v28
; %bb.278:                              ;   in Loop: Header=BB174_232 Depth=1
	s_delay_alu instid0(VALU_DEP_3) | instskip(NEXT) | instid1(VALU_DEP_1)
	v_clz_i32_u32_e32 v24, v12
	v_min_u32_e32 v24, 32, v24
	s_delay_alu instid0(VALU_DEP_1) | instskip(SKIP_1) | instid1(VALU_DEP_2)
	v_subrev_nc_u32_e32 v25, 28, v24
	v_sub_nc_u32_e32 v24, 29, v24
	v_lshlrev_b64_e32 v[28:29], v25, v[12:13]
	s_delay_alu instid0(VALU_DEP_1)
	v_and_b32_e32 v12, 7, v28
; %bb.279:                              ;   in Loop: Header=BB174_232 Depth=1
	s_or_b32 exec_lo, exec_lo, s16
	v_lshlrev_b32_e32 v25, 16, v32
	s_delay_alu instid0(VALU_DEP_2) | instskip(SKIP_1) | instid1(VALU_DEP_3)
	v_lshlrev_b32_e32 v12, 20, v12
	v_lshl_add_u32 v24, v24, 23, 0x3c000000
	v_and_b32_e32 v25, 0x80000000, v25
	s_delay_alu instid0(VALU_DEP_1)
	v_or3_b32 v25, v12, v25, v24
	v_mov_b32_e32 v24, v13
.LBB174_280:                            ;   in Loop: Header=BB174_232 Depth=1
	s_or_b32 exec_lo, exec_lo, s15
.LBB174_281:                            ;   in Loop: Header=BB174_232 Depth=1
	s_delay_alu instid0(SALU_CYCLE_1)
	s_or_b32 exec_lo, exec_lo, s14
.LBB174_282:                            ;   in Loop: Header=BB174_232 Depth=1
	s_delay_alu instid0(SALU_CYCLE_1) | instskip(SKIP_4) | instid1(VALU_DEP_3)
	s_or_b32 exec_lo, exec_lo, s11
	v_lshrrev_b32_e32 v33, 16, v32
	v_mov_b64_e32 v[28:29], 0
	v_mov_b64_e32 v[30:31], 0
	s_mov_b32 s11, exec_lo
	v_and_b32_e32 v12, 0xff, v33
	s_delay_alu instid0(VALU_DEP_1)
	v_cmpx_ne_u16_e32 0, v12
	s_cbranch_execz .LBB174_290
; %bb.283:                              ;   in Loop: Header=BB174_232 Depth=1
	v_mov_b64_e32 v[30:31], 0x80000000
	s_mov_b32 s14, exec_lo
	v_cmpx_ne_u16_e32 0x80, v12
	s_cbranch_execz .LBB174_289
; %bb.284:                              ;   in Loop: Header=BB174_232 Depth=1
	v_mov_b64_e32 v[30:31], 0x7f800001
	v_bfe_u32 v34, v32, 16, 7
	s_mov_b32 s15, exec_lo
	s_delay_alu instid0(VALU_DEP_1)
	v_cmpx_ne_u32_e32 0x7f, v34
	s_cbranch_execz .LBB174_288
; %bb.285:                              ;   in Loop: Header=BB174_232 Depth=1
	v_dual_lshrrev_b32 v30, 3, v34 :: v_dual_bitop2_b32 v12, 7, v33 bitop3:0x40
	s_mov_b32 s16, exec_lo
	v_cmpx_gt_u32_e32 8, v34
; %bb.286:                              ;   in Loop: Header=BB174_232 Depth=1
	s_delay_alu instid0(VALU_DEP_2) | instskip(NEXT) | instid1(VALU_DEP_1)
	v_clz_i32_u32_e32 v30, v12
	v_min_u32_e32 v30, 32, v30
	s_delay_alu instid0(VALU_DEP_1) | instskip(SKIP_1) | instid1(VALU_DEP_2)
	v_subrev_nc_u32_e32 v31, 28, v30
	v_sub_nc_u32_e32 v30, 29, v30
	v_lshlrev_b64_e32 v[34:35], v31, v[12:13]
	s_delay_alu instid0(VALU_DEP_1)
	v_and_b32_e32 v12, 7, v34
; %bb.287:                              ;   in Loop: Header=BB174_232 Depth=1
	s_or_b32 exec_lo, exec_lo, s16
	s_delay_alu instid0(VALU_DEP_1) | instskip(SKIP_1) | instid1(VALU_DEP_2)
	v_dual_lshlrev_b32 v31, 24, v33 :: v_dual_lshlrev_b32 v12, 20, v12
	v_lshl_add_u32 v30, v30, 23, 0x3c000000
	v_and_b32_e32 v31, 0x80000000, v31
	s_delay_alu instid0(VALU_DEP_1) | instskip(NEXT) | instid1(VALU_DEP_1)
	v_or3_b32 v12, v12, v31, v30
	v_mov_b64_e32 v[30:31], v[12:13]
.LBB174_288:                            ;   in Loop: Header=BB174_232 Depth=1
	s_or_b32 exec_lo, exec_lo, s15
.LBB174_289:                            ;   in Loop: Header=BB174_232 Depth=1
	s_delay_alu instid0(SALU_CYCLE_1)
	s_or_b32 exec_lo, exec_lo, s14
.LBB174_290:                            ;   in Loop: Header=BB174_232 Depth=1
	s_delay_alu instid0(SALU_CYCLE_1) | instskip(NEXT) | instid1(SALU_CYCLE_1)
	s_or_b32 exec_lo, exec_lo, s11
	s_mov_b32 s11, exec_lo
	v_cmpx_lt_u32_e32 0xffffff, v32
	s_cbranch_execz .LBB174_298
; %bb.291:                              ;   in Loop: Header=BB174_232 Depth=1
	v_mov_b64_e32 v[28:29], 0x8000000000000000
	v_lshrrev_b32_e32 v33, 24, v32
	s_mov_b32 s14, exec_lo
	s_delay_alu instid0(VALU_DEP_1)
	v_cmpx_ne_u32_e32 0x80, v33
	s_cbranch_execz .LBB174_297
; %bb.292:                              ;   in Loop: Header=BB174_232 Depth=1
	v_mov_b64_e32 v[28:29], 0x7f80000100000000
	v_bfe_u32 v32, v32, 24, 7
	s_mov_b32 s15, exec_lo
	s_delay_alu instid0(VALU_DEP_1)
	v_cmpx_ne_u32_e32 0x7f, v32
	s_cbranch_execz .LBB174_296
; %bb.293:                              ;   in Loop: Header=BB174_232 Depth=1
	v_dual_lshrrev_b32 v28, 3, v32 :: v_dual_bitop2_b32 v12, 7, v33 bitop3:0x40
	s_mov_b32 s16, exec_lo
	v_cmpx_gt_u32_e32 8, v32
; %bb.294:                              ;   in Loop: Header=BB174_232 Depth=1
	s_delay_alu instid0(VALU_DEP_2) | instskip(NEXT) | instid1(VALU_DEP_1)
	v_clz_i32_u32_e32 v28, v12
	v_min_u32_e32 v28, 32, v28
	s_delay_alu instid0(VALU_DEP_1) | instskip(NEXT) | instid1(VALU_DEP_1)
	v_subrev_nc_u32_e32 v29, 28, v28
	v_lshlrev_b64_e32 v[34:35], v29, v[12:13]
	s_delay_alu instid0(VALU_DEP_1)
	v_dual_sub_nc_u32 v28, 29, v28 :: v_dual_bitop2_b32 v12, 7, v34 bitop3:0x40
; %bb.295:                              ;   in Loop: Header=BB174_232 Depth=1
	s_or_b32 exec_lo, exec_lo, s16
	s_delay_alu instid0(VALU_DEP_1) | instskip(NEXT) | instid1(VALU_DEP_2)
	v_dual_lshlrev_b32 v29, 24, v33 :: v_dual_lshlrev_b32 v12, 20, v12
	v_lshl_add_u32 v28, v28, 23, 0x3c000000
	s_delay_alu instid0(VALU_DEP_2) | instskip(NEXT) | instid1(VALU_DEP_1)
	v_and_b32_e32 v29, 0x80000000, v29
	v_or3_b32 v29, v12, v29, v28
	v_mov_b32_e32 v28, v13
.LBB174_296:                            ;   in Loop: Header=BB174_232 Depth=1
	s_or_b32 exec_lo, exec_lo, s15
.LBB174_297:                            ;   in Loop: Header=BB174_232 Depth=1
	s_delay_alu instid0(SALU_CYCLE_1)
	s_or_b32 exec_lo, exec_lo, s14
.LBB174_298:                            ;   in Loop: Header=BB174_232 Depth=1
	s_delay_alu instid0(SALU_CYCLE_1)
	s_or_b32 exec_lo, exec_lo, s11
	v_mov_b64_e32 v[32:33], s[2:3]
	v_or_b32_e32 v25, v25, v27
	v_or_b32_e32 v24, v24, v26
	;; [unrolled: 1-line block ×4, first 2 shown]
	s_delay_alu instid0(VALU_DEP_3) | instskip(NEXT) | instid1(VALU_DEP_2)
	v_pk_mul_f32 v[26:27], v[32:33], v[24:25]
	v_pk_mul_f32 v[24:25], v[32:33], v[28:29]
	s_and_saveexec_b32 s11, vcc_lo
	s_cbranch_execz .LBB174_300
; %bb.299:                              ;   in Loop: Header=BB174_232 Depth=1
	v_cmp_gt_i32_e64 s0, s23, v49
	s_delay_alu instid0(VALU_DEP_1) | instskip(SKIP_1) | instid1(VALU_DEP_1)
	v_cndmask_b32_e64 v26, 0, v26, s0
	v_cmp_gt_i32_e64 s0, s23, v52
	v_cndmask_b32_e64 v27, 0, v27, s0
	v_cmp_gt_i32_e64 s0, s23, v45
	s_delay_alu instid0(VALU_DEP_1) | instskip(SKIP_1) | instid1(VALU_DEP_1)
	v_cndmask_b32_e64 v24, 0, v24, s0
	v_cmp_gt_i32_e64 s0, s23, v44
	v_cndmask_b32_e64 v25, 0, v25, s0
.LBB174_300:                            ;   in Loop: Header=BB174_232 Depth=1
	s_or_b32 exec_lo, exec_lo, s11
	global_load_b32 v36, v[22:23], off offset:256
	v_mov_b64_e32 v[28:29], 0
	v_mov_b64_e32 v[30:31], 0
	s_mov_b32 s11, exec_lo
	s_wait_loadcnt 0x0
	v_and_b32_e32 v12, 0xff, v36
	s_delay_alu instid0(VALU_DEP_1)
	v_cmpx_ne_u16_e32 0, v12
	s_cbranch_execz .LBB174_308
; %bb.301:                              ;   in Loop: Header=BB174_232 Depth=1
	v_mov_b64_e32 v[30:31], 0x80000000
	s_mov_b32 s14, exec_lo
	v_cmpx_ne_u16_e32 0x80, v12
	s_cbranch_execz .LBB174_307
; %bb.302:                              ;   in Loop: Header=BB174_232 Depth=1
	v_mov_b64_e32 v[30:31], 0x7f800001
	v_and_b32_e32 v32, 0x7f, v36
	s_mov_b32 s15, exec_lo
	s_delay_alu instid0(VALU_DEP_1)
	v_cmpx_ne_u32_e32 0x7f, v32
	s_cbranch_execz .LBB174_306
; %bb.303:                              ;   in Loop: Header=BB174_232 Depth=1
	v_and_b32_e32 v12, 7, v36
	v_lshrrev_b32_e32 v30, 3, v32
	s_mov_b32 s16, exec_lo
	v_cmpx_gt_u32_e32 8, v32
; %bb.304:                              ;   in Loop: Header=BB174_232 Depth=1
	s_delay_alu instid0(VALU_DEP_3) | instskip(NEXT) | instid1(VALU_DEP_1)
	v_clz_i32_u32_e32 v30, v12
	v_min_u32_e32 v30, 32, v30
	s_delay_alu instid0(VALU_DEP_1) | instskip(NEXT) | instid1(VALU_DEP_1)
	v_subrev_nc_u32_e32 v31, 28, v30
	v_lshlrev_b64_e32 v[32:33], v31, v[12:13]
	s_delay_alu instid0(VALU_DEP_1)
	v_dual_sub_nc_u32 v30, 29, v30 :: v_dual_bitop2_b32 v12, 7, v32 bitop3:0x40
; %bb.305:                              ;   in Loop: Header=BB174_232 Depth=1
	s_or_b32 exec_lo, exec_lo, s16
	v_lshlrev_b32_e32 v31, 24, v36
	s_delay_alu instid0(VALU_DEP_2) | instskip(NEXT) | instid1(VALU_DEP_3)
	v_lshlrev_b32_e32 v12, 20, v12
	v_lshl_add_u32 v30, v30, 23, 0x3c000000
	s_delay_alu instid0(VALU_DEP_3) | instskip(NEXT) | instid1(VALU_DEP_1)
	v_and_b32_e32 v31, 0x80000000, v31
	v_or3_b32 v12, v12, v31, v30
	s_delay_alu instid0(VALU_DEP_1)
	v_mov_b64_e32 v[30:31], v[12:13]
.LBB174_306:                            ;   in Loop: Header=BB174_232 Depth=1
	s_or_b32 exec_lo, exec_lo, s15
.LBB174_307:                            ;   in Loop: Header=BB174_232 Depth=1
	s_delay_alu instid0(SALU_CYCLE_1)
	s_or_b32 exec_lo, exec_lo, s14
.LBB174_308:                            ;   in Loop: Header=BB174_232 Depth=1
	s_delay_alu instid0(SALU_CYCLE_1) | instskip(SKIP_2) | instid1(VALU_DEP_1)
	s_or_b32 exec_lo, exec_lo, s11
	v_lshrrev_b16 v12, 8, v36
	s_mov_b32 s11, exec_lo
	v_cmpx_ne_u16_e32 0, v12
	s_cbranch_execz .LBB174_316
; %bb.309:                              ;   in Loop: Header=BB174_232 Depth=1
	v_mov_b64_e32 v[28:29], 0x8000000000000000
	s_mov_b32 s14, exec_lo
	v_cmpx_ne_u16_e32 0x80, v12
	s_cbranch_execz .LBB174_315
; %bb.310:                              ;   in Loop: Header=BB174_232 Depth=1
	v_and_b32_e32 v12, 0xffff, v12
	v_mov_b64_e32 v[28:29], 0x7f80000100000000
	s_mov_b32 s15, exec_lo
	s_delay_alu instid0(VALU_DEP_2) | instskip(NEXT) | instid1(VALU_DEP_1)
	v_and_b32_e32 v32, 0x7f, v12
	v_cmpx_ne_u32_e32 0x7f, v32
	s_cbranch_execz .LBB174_314
; %bb.311:                              ;   in Loop: Header=BB174_232 Depth=1
	v_and_b32_e32 v12, 7, v12
	v_lshrrev_b32_e32 v28, 3, v32
	s_mov_b32 s16, exec_lo
	v_cmpx_gt_u32_e32 8, v32
; %bb.312:                              ;   in Loop: Header=BB174_232 Depth=1
	s_delay_alu instid0(VALU_DEP_3) | instskip(NEXT) | instid1(VALU_DEP_1)
	v_clz_i32_u32_e32 v28, v12
	v_min_u32_e32 v28, 32, v28
	s_delay_alu instid0(VALU_DEP_1) | instskip(SKIP_1) | instid1(VALU_DEP_2)
	v_subrev_nc_u32_e32 v29, 28, v28
	v_sub_nc_u32_e32 v28, 29, v28
	v_lshlrev_b64_e32 v[32:33], v29, v[12:13]
	s_delay_alu instid0(VALU_DEP_1)
	v_and_b32_e32 v12, 7, v32
; %bb.313:                              ;   in Loop: Header=BB174_232 Depth=1
	s_or_b32 exec_lo, exec_lo, s16
	v_lshlrev_b32_e32 v29, 16, v36
	s_delay_alu instid0(VALU_DEP_2) | instskip(SKIP_1) | instid1(VALU_DEP_3)
	v_lshlrev_b32_e32 v12, 20, v12
	v_lshl_add_u32 v28, v28, 23, 0x3c000000
	v_and_b32_e32 v29, 0x80000000, v29
	s_delay_alu instid0(VALU_DEP_1)
	v_or3_b32 v29, v12, v29, v28
	v_mov_b32_e32 v28, v13
.LBB174_314:                            ;   in Loop: Header=BB174_232 Depth=1
	s_or_b32 exec_lo, exec_lo, s15
.LBB174_315:                            ;   in Loop: Header=BB174_232 Depth=1
	s_delay_alu instid0(SALU_CYCLE_1)
	s_or_b32 exec_lo, exec_lo, s14
.LBB174_316:                            ;   in Loop: Header=BB174_232 Depth=1
	s_delay_alu instid0(SALU_CYCLE_1) | instskip(SKIP_4) | instid1(VALU_DEP_3)
	s_or_b32 exec_lo, exec_lo, s11
	v_lshrrev_b32_e32 v37, 16, v36
	v_mov_b64_e32 v[32:33], 0
	v_mov_b64_e32 v[34:35], 0
	s_mov_b32 s11, exec_lo
	v_and_b32_e32 v12, 0xff, v37
	s_delay_alu instid0(VALU_DEP_1)
	v_cmpx_ne_u16_e32 0, v12
	s_cbranch_execz .LBB174_324
; %bb.317:                              ;   in Loop: Header=BB174_232 Depth=1
	v_mov_b64_e32 v[34:35], 0x80000000
	s_mov_b32 s14, exec_lo
	v_cmpx_ne_u16_e32 0x80, v12
	s_cbranch_execz .LBB174_323
; %bb.318:                              ;   in Loop: Header=BB174_232 Depth=1
	v_mov_b64_e32 v[34:35], 0x7f800001
	v_bfe_u32 v38, v36, 16, 7
	s_mov_b32 s15, exec_lo
	s_delay_alu instid0(VALU_DEP_1)
	v_cmpx_ne_u32_e32 0x7f, v38
	s_cbranch_execz .LBB174_322
; %bb.319:                              ;   in Loop: Header=BB174_232 Depth=1
	v_dual_lshrrev_b32 v34, 3, v38 :: v_dual_bitop2_b32 v12, 7, v37 bitop3:0x40
	s_mov_b32 s16, exec_lo
	v_cmpx_gt_u32_e32 8, v38
; %bb.320:                              ;   in Loop: Header=BB174_232 Depth=1
	s_delay_alu instid0(VALU_DEP_2) | instskip(NEXT) | instid1(VALU_DEP_1)
	v_clz_i32_u32_e32 v34, v12
	v_min_u32_e32 v34, 32, v34
	s_delay_alu instid0(VALU_DEP_1) | instskip(SKIP_1) | instid1(VALU_DEP_2)
	v_subrev_nc_u32_e32 v35, 28, v34
	v_sub_nc_u32_e32 v34, 29, v34
	v_lshlrev_b64_e32 v[38:39], v35, v[12:13]
	s_delay_alu instid0(VALU_DEP_1)
	v_and_b32_e32 v12, 7, v38
; %bb.321:                              ;   in Loop: Header=BB174_232 Depth=1
	s_or_b32 exec_lo, exec_lo, s16
	s_delay_alu instid0(VALU_DEP_1) | instskip(SKIP_1) | instid1(VALU_DEP_2)
	v_dual_lshlrev_b32 v35, 24, v37 :: v_dual_lshlrev_b32 v12, 20, v12
	v_lshl_add_u32 v34, v34, 23, 0x3c000000
	v_and_b32_e32 v35, 0x80000000, v35
	s_delay_alu instid0(VALU_DEP_1) | instskip(NEXT) | instid1(VALU_DEP_1)
	v_or3_b32 v12, v12, v35, v34
	v_mov_b64_e32 v[34:35], v[12:13]
.LBB174_322:                            ;   in Loop: Header=BB174_232 Depth=1
	s_or_b32 exec_lo, exec_lo, s15
.LBB174_323:                            ;   in Loop: Header=BB174_232 Depth=1
	s_delay_alu instid0(SALU_CYCLE_1)
	s_or_b32 exec_lo, exec_lo, s14
.LBB174_324:                            ;   in Loop: Header=BB174_232 Depth=1
	s_delay_alu instid0(SALU_CYCLE_1) | instskip(NEXT) | instid1(SALU_CYCLE_1)
	s_or_b32 exec_lo, exec_lo, s11
	s_mov_b32 s11, exec_lo
	v_cmpx_lt_u32_e32 0xffffff, v36
	s_cbranch_execz .LBB174_332
; %bb.325:                              ;   in Loop: Header=BB174_232 Depth=1
	v_mov_b64_e32 v[32:33], 0x8000000000000000
	v_lshrrev_b32_e32 v37, 24, v36
	s_mov_b32 s14, exec_lo
	s_delay_alu instid0(VALU_DEP_1)
	v_cmpx_ne_u32_e32 0x80, v37
	s_cbranch_execz .LBB174_331
; %bb.326:                              ;   in Loop: Header=BB174_232 Depth=1
	v_mov_b64_e32 v[32:33], 0x7f80000100000000
	v_bfe_u32 v36, v36, 24, 7
	s_mov_b32 s15, exec_lo
	s_delay_alu instid0(VALU_DEP_1)
	v_cmpx_ne_u32_e32 0x7f, v36
	s_cbranch_execz .LBB174_330
; %bb.327:                              ;   in Loop: Header=BB174_232 Depth=1
	v_dual_lshrrev_b32 v32, 3, v36 :: v_dual_bitop2_b32 v12, 7, v37 bitop3:0x40
	s_mov_b32 s16, exec_lo
	v_cmpx_gt_u32_e32 8, v36
; %bb.328:                              ;   in Loop: Header=BB174_232 Depth=1
	s_delay_alu instid0(VALU_DEP_2) | instskip(NEXT) | instid1(VALU_DEP_1)
	v_clz_i32_u32_e32 v32, v12
	v_min_u32_e32 v32, 32, v32
	s_delay_alu instid0(VALU_DEP_1) | instskip(NEXT) | instid1(VALU_DEP_1)
	v_subrev_nc_u32_e32 v33, 28, v32
	v_lshlrev_b64_e32 v[38:39], v33, v[12:13]
	s_delay_alu instid0(VALU_DEP_1)
	v_dual_sub_nc_u32 v32, 29, v32 :: v_dual_bitop2_b32 v12, 7, v38 bitop3:0x40
; %bb.329:                              ;   in Loop: Header=BB174_232 Depth=1
	s_or_b32 exec_lo, exec_lo, s16
	s_delay_alu instid0(VALU_DEP_1) | instskip(NEXT) | instid1(VALU_DEP_2)
	v_dual_lshlrev_b32 v33, 24, v37 :: v_dual_lshlrev_b32 v12, 20, v12
	v_lshl_add_u32 v32, v32, 23, 0x3c000000
	s_delay_alu instid0(VALU_DEP_2) | instskip(NEXT) | instid1(VALU_DEP_1)
	v_and_b32_e32 v33, 0x80000000, v33
	v_or3_b32 v33, v12, v33, v32
	v_mov_b32_e32 v32, v13
.LBB174_330:                            ;   in Loop: Header=BB174_232 Depth=1
	s_or_b32 exec_lo, exec_lo, s15
.LBB174_331:                            ;   in Loop: Header=BB174_232 Depth=1
	s_delay_alu instid0(SALU_CYCLE_1)
	s_or_b32 exec_lo, exec_lo, s14
.LBB174_332:                            ;   in Loop: Header=BB174_232 Depth=1
	s_delay_alu instid0(SALU_CYCLE_1)
	s_or_b32 exec_lo, exec_lo, s11
	v_mov_b64_e32 v[36:37], s[2:3]
	v_or_b32_e32 v29, v29, v31
	v_or_b32_e32 v28, v28, v30
	v_or_b32_e32 v33, v33, v35
	v_or_b32_e32 v32, v32, v34
	s_delay_alu instid0(VALU_DEP_3) | instskip(NEXT) | instid1(VALU_DEP_2)
	v_pk_mul_f32 v[30:31], v[36:37], v[28:29]
	v_pk_mul_f32 v[28:29], v[36:37], v[32:33]
	s_and_saveexec_b32 s11, vcc_lo
	s_cbranch_execz .LBB174_334
; %bb.333:                              ;   in Loop: Header=BB174_232 Depth=1
	v_cmp_gt_i32_e64 s0, s23, v49
	s_delay_alu instid0(VALU_DEP_1) | instskip(SKIP_1) | instid1(VALU_DEP_1)
	v_cndmask_b32_e64 v30, 0, v30, s0
	v_cmp_gt_i32_e64 s0, s23, v52
	v_cndmask_b32_e64 v31, 0, v31, s0
	v_cmp_gt_i32_e64 s0, s23, v45
	s_delay_alu instid0(VALU_DEP_1) | instskip(SKIP_1) | instid1(VALU_DEP_1)
	v_cndmask_b32_e64 v28, 0, v28, s0
	v_cmp_gt_i32_e64 s0, s23, v44
	v_cndmask_b32_e64 v29, 0, v29, s0
.LBB174_334:                            ;   in Loop: Header=BB174_232 Depth=1
	s_or_b32 exec_lo, exec_lo, s11
	global_load_b32 v40, v[22:23], off offset:384
	v_mov_b64_e32 v[32:33], 0
	v_mov_b64_e32 v[34:35], 0
	s_mov_b32 s11, exec_lo
	s_wait_loadcnt 0x0
	v_and_b32_e32 v12, 0xff, v40
	s_delay_alu instid0(VALU_DEP_1)
	v_cmpx_ne_u16_e32 0, v12
	s_cbranch_execz .LBB174_342
; %bb.335:                              ;   in Loop: Header=BB174_232 Depth=1
	v_mov_b64_e32 v[34:35], 0x80000000
	s_mov_b32 s14, exec_lo
	v_cmpx_ne_u16_e32 0x80, v12
	s_cbranch_execz .LBB174_341
; %bb.336:                              ;   in Loop: Header=BB174_232 Depth=1
	v_mov_b64_e32 v[34:35], 0x7f800001
	v_and_b32_e32 v36, 0x7f, v40
	s_mov_b32 s15, exec_lo
	s_delay_alu instid0(VALU_DEP_1)
	v_cmpx_ne_u32_e32 0x7f, v36
	s_cbranch_execz .LBB174_340
; %bb.337:                              ;   in Loop: Header=BB174_232 Depth=1
	v_and_b32_e32 v12, 7, v40
	v_lshrrev_b32_e32 v34, 3, v36
	s_mov_b32 s16, exec_lo
	v_cmpx_gt_u32_e32 8, v36
; %bb.338:                              ;   in Loop: Header=BB174_232 Depth=1
	s_delay_alu instid0(VALU_DEP_3) | instskip(NEXT) | instid1(VALU_DEP_1)
	v_clz_i32_u32_e32 v34, v12
	v_min_u32_e32 v34, 32, v34
	s_delay_alu instid0(VALU_DEP_1) | instskip(NEXT) | instid1(VALU_DEP_1)
	v_subrev_nc_u32_e32 v35, 28, v34
	v_lshlrev_b64_e32 v[36:37], v35, v[12:13]
	s_delay_alu instid0(VALU_DEP_1)
	v_dual_sub_nc_u32 v34, 29, v34 :: v_dual_bitop2_b32 v12, 7, v36 bitop3:0x40
; %bb.339:                              ;   in Loop: Header=BB174_232 Depth=1
	s_or_b32 exec_lo, exec_lo, s16
	v_lshlrev_b32_e32 v35, 24, v40
	s_delay_alu instid0(VALU_DEP_2) | instskip(NEXT) | instid1(VALU_DEP_3)
	v_lshlrev_b32_e32 v12, 20, v12
	v_lshl_add_u32 v34, v34, 23, 0x3c000000
	s_delay_alu instid0(VALU_DEP_3) | instskip(NEXT) | instid1(VALU_DEP_1)
	v_and_b32_e32 v35, 0x80000000, v35
	v_or3_b32 v12, v12, v35, v34
	s_delay_alu instid0(VALU_DEP_1)
	v_mov_b64_e32 v[34:35], v[12:13]
.LBB174_340:                            ;   in Loop: Header=BB174_232 Depth=1
	s_or_b32 exec_lo, exec_lo, s15
.LBB174_341:                            ;   in Loop: Header=BB174_232 Depth=1
	s_delay_alu instid0(SALU_CYCLE_1)
	s_or_b32 exec_lo, exec_lo, s14
.LBB174_342:                            ;   in Loop: Header=BB174_232 Depth=1
	s_delay_alu instid0(SALU_CYCLE_1) | instskip(SKIP_2) | instid1(VALU_DEP_1)
	s_or_b32 exec_lo, exec_lo, s11
	v_lshrrev_b16 v12, 8, v40
	s_mov_b32 s11, exec_lo
	v_cmpx_ne_u16_e32 0, v12
	s_cbranch_execz .LBB174_350
; %bb.343:                              ;   in Loop: Header=BB174_232 Depth=1
	v_mov_b64_e32 v[32:33], 0x8000000000000000
	s_mov_b32 s14, exec_lo
	v_cmpx_ne_u16_e32 0x80, v12
	s_cbranch_execz .LBB174_349
; %bb.344:                              ;   in Loop: Header=BB174_232 Depth=1
	v_and_b32_e32 v12, 0xffff, v12
	v_mov_b64_e32 v[32:33], 0x7f80000100000000
	s_mov_b32 s15, exec_lo
	s_delay_alu instid0(VALU_DEP_2) | instskip(NEXT) | instid1(VALU_DEP_1)
	v_and_b32_e32 v36, 0x7f, v12
	v_cmpx_ne_u32_e32 0x7f, v36
	s_cbranch_execz .LBB174_348
; %bb.345:                              ;   in Loop: Header=BB174_232 Depth=1
	v_and_b32_e32 v12, 7, v12
	v_lshrrev_b32_e32 v32, 3, v36
	s_mov_b32 s16, exec_lo
	v_cmpx_gt_u32_e32 8, v36
; %bb.346:                              ;   in Loop: Header=BB174_232 Depth=1
	s_delay_alu instid0(VALU_DEP_3) | instskip(NEXT) | instid1(VALU_DEP_1)
	v_clz_i32_u32_e32 v32, v12
	v_min_u32_e32 v32, 32, v32
	s_delay_alu instid0(VALU_DEP_1) | instskip(SKIP_1) | instid1(VALU_DEP_2)
	v_subrev_nc_u32_e32 v33, 28, v32
	v_sub_nc_u32_e32 v32, 29, v32
	v_lshlrev_b64_e32 v[36:37], v33, v[12:13]
	s_delay_alu instid0(VALU_DEP_1)
	v_and_b32_e32 v12, 7, v36
; %bb.347:                              ;   in Loop: Header=BB174_232 Depth=1
	s_or_b32 exec_lo, exec_lo, s16
	v_lshlrev_b32_e32 v33, 16, v40
	s_delay_alu instid0(VALU_DEP_2) | instskip(SKIP_1) | instid1(VALU_DEP_3)
	v_lshlrev_b32_e32 v12, 20, v12
	v_lshl_add_u32 v32, v32, 23, 0x3c000000
	v_and_b32_e32 v33, 0x80000000, v33
	s_delay_alu instid0(VALU_DEP_1)
	v_or3_b32 v33, v12, v33, v32
	v_mov_b32_e32 v32, v13
.LBB174_348:                            ;   in Loop: Header=BB174_232 Depth=1
	s_or_b32 exec_lo, exec_lo, s15
.LBB174_349:                            ;   in Loop: Header=BB174_232 Depth=1
	s_delay_alu instid0(SALU_CYCLE_1)
	s_or_b32 exec_lo, exec_lo, s14
.LBB174_350:                            ;   in Loop: Header=BB174_232 Depth=1
	s_delay_alu instid0(SALU_CYCLE_1) | instskip(SKIP_4) | instid1(VALU_DEP_3)
	s_or_b32 exec_lo, exec_lo, s11
	v_lshrrev_b32_e32 v41, 16, v40
	v_mov_b64_e32 v[36:37], 0
	v_mov_b64_e32 v[38:39], 0
	s_mov_b32 s11, exec_lo
	v_and_b32_e32 v12, 0xff, v41
	s_delay_alu instid0(VALU_DEP_1)
	v_cmpx_ne_u16_e32 0, v12
	s_cbranch_execz .LBB174_358
; %bb.351:                              ;   in Loop: Header=BB174_232 Depth=1
	v_mov_b64_e32 v[38:39], 0x80000000
	s_mov_b32 s14, exec_lo
	v_cmpx_ne_u16_e32 0x80, v12
	s_cbranch_execz .LBB174_357
; %bb.352:                              ;   in Loop: Header=BB174_232 Depth=1
	v_mov_b64_e32 v[38:39], 0x7f800001
	v_bfe_u32 v42, v40, 16, 7
	s_mov_b32 s15, exec_lo
	s_delay_alu instid0(VALU_DEP_1)
	v_cmpx_ne_u32_e32 0x7f, v42
	s_cbranch_execz .LBB174_356
; %bb.353:                              ;   in Loop: Header=BB174_232 Depth=1
	v_dual_lshrrev_b32 v38, 3, v42 :: v_dual_bitop2_b32 v12, 7, v41 bitop3:0x40
	s_mov_b32 s16, exec_lo
	v_cmpx_gt_u32_e32 8, v42
; %bb.354:                              ;   in Loop: Header=BB174_232 Depth=1
	s_delay_alu instid0(VALU_DEP_2) | instskip(NEXT) | instid1(VALU_DEP_1)
	v_clz_i32_u32_e32 v38, v12
	v_min_u32_e32 v38, 32, v38
	s_delay_alu instid0(VALU_DEP_1) | instskip(SKIP_1) | instid1(VALU_DEP_2)
	v_subrev_nc_u32_e32 v39, 28, v38
	v_sub_nc_u32_e32 v38, 29, v38
	v_lshlrev_b64_e32 v[42:43], v39, v[12:13]
	s_delay_alu instid0(VALU_DEP_1)
	v_and_b32_e32 v12, 7, v42
; %bb.355:                              ;   in Loop: Header=BB174_232 Depth=1
	s_or_b32 exec_lo, exec_lo, s16
	s_delay_alu instid0(VALU_DEP_1) | instskip(SKIP_1) | instid1(VALU_DEP_2)
	v_dual_lshlrev_b32 v39, 24, v41 :: v_dual_lshlrev_b32 v12, 20, v12
	v_lshl_add_u32 v38, v38, 23, 0x3c000000
	v_and_b32_e32 v39, 0x80000000, v39
	s_delay_alu instid0(VALU_DEP_1) | instskip(NEXT) | instid1(VALU_DEP_1)
	v_or3_b32 v12, v12, v39, v38
	v_mov_b64_e32 v[38:39], v[12:13]
.LBB174_356:                            ;   in Loop: Header=BB174_232 Depth=1
	s_or_b32 exec_lo, exec_lo, s15
.LBB174_357:                            ;   in Loop: Header=BB174_232 Depth=1
	s_delay_alu instid0(SALU_CYCLE_1)
	s_or_b32 exec_lo, exec_lo, s14
.LBB174_358:                            ;   in Loop: Header=BB174_232 Depth=1
	s_delay_alu instid0(SALU_CYCLE_1) | instskip(NEXT) | instid1(SALU_CYCLE_1)
	s_or_b32 exec_lo, exec_lo, s11
	s_mov_b32 s11, exec_lo
	v_cmpx_lt_u32_e32 0xffffff, v40
	s_cbranch_execz .LBB174_366
; %bb.359:                              ;   in Loop: Header=BB174_232 Depth=1
	v_mov_b64_e32 v[36:37], 0x8000000000000000
	v_lshrrev_b32_e32 v41, 24, v40
	s_mov_b32 s14, exec_lo
	s_delay_alu instid0(VALU_DEP_1)
	v_cmpx_ne_u32_e32 0x80, v41
	s_cbranch_execz .LBB174_365
; %bb.360:                              ;   in Loop: Header=BB174_232 Depth=1
	v_mov_b64_e32 v[36:37], 0x7f80000100000000
	v_bfe_u32 v40, v40, 24, 7
	s_mov_b32 s15, exec_lo
	s_delay_alu instid0(VALU_DEP_1)
	v_cmpx_ne_u32_e32 0x7f, v40
	s_cbranch_execz .LBB174_364
; %bb.361:                              ;   in Loop: Header=BB174_232 Depth=1
	v_dual_lshrrev_b32 v36, 3, v40 :: v_dual_bitop2_b32 v12, 7, v41 bitop3:0x40
	s_mov_b32 s16, exec_lo
	v_cmpx_gt_u32_e32 8, v40
; %bb.362:                              ;   in Loop: Header=BB174_232 Depth=1
	s_delay_alu instid0(VALU_DEP_2) | instskip(NEXT) | instid1(VALU_DEP_1)
	v_clz_i32_u32_e32 v36, v12
	v_min_u32_e32 v36, 32, v36
	s_delay_alu instid0(VALU_DEP_1) | instskip(NEXT) | instid1(VALU_DEP_1)
	v_subrev_nc_u32_e32 v37, 28, v36
	v_lshlrev_b64_e32 v[42:43], v37, v[12:13]
	s_delay_alu instid0(VALU_DEP_1)
	v_dual_sub_nc_u32 v36, 29, v36 :: v_dual_bitop2_b32 v12, 7, v42 bitop3:0x40
; %bb.363:                              ;   in Loop: Header=BB174_232 Depth=1
	s_or_b32 exec_lo, exec_lo, s16
	s_delay_alu instid0(VALU_DEP_1) | instskip(NEXT) | instid1(VALU_DEP_2)
	v_dual_lshlrev_b32 v37, 24, v41 :: v_dual_lshlrev_b32 v12, 20, v12
	v_lshl_add_u32 v36, v36, 23, 0x3c000000
	s_delay_alu instid0(VALU_DEP_2) | instskip(NEXT) | instid1(VALU_DEP_1)
	v_and_b32_e32 v37, 0x80000000, v37
	v_or3_b32 v37, v12, v37, v36
	v_mov_b32_e32 v36, v13
.LBB174_364:                            ;   in Loop: Header=BB174_232 Depth=1
	s_or_b32 exec_lo, exec_lo, s15
.LBB174_365:                            ;   in Loop: Header=BB174_232 Depth=1
	s_delay_alu instid0(SALU_CYCLE_1)
	s_or_b32 exec_lo, exec_lo, s14
.LBB174_366:                            ;   in Loop: Header=BB174_232 Depth=1
	s_delay_alu instid0(SALU_CYCLE_1)
	s_or_b32 exec_lo, exec_lo, s11
	v_mov_b64_e32 v[40:41], s[2:3]
	v_or_b32_e32 v33, v33, v35
	v_or_b32_e32 v32, v32, v34
	;; [unrolled: 1-line block ×4, first 2 shown]
	s_delay_alu instid0(VALU_DEP_3) | instskip(NEXT) | instid1(VALU_DEP_2)
	v_pk_mul_f32 v[34:35], v[40:41], v[32:33]
	v_pk_mul_f32 v[32:33], v[40:41], v[36:37]
	s_and_saveexec_b32 s11, vcc_lo
	s_cbranch_execz .LBB174_368
; %bb.367:                              ;   in Loop: Header=BB174_232 Depth=1
	v_cmp_gt_i32_e64 s0, s23, v49
	s_delay_alu instid0(VALU_DEP_1) | instskip(SKIP_1) | instid1(VALU_DEP_1)
	v_cndmask_b32_e64 v34, 0, v34, s0
	v_cmp_gt_i32_e64 s0, s23, v52
	v_cndmask_b32_e64 v35, 0, v35, s0
	v_cmp_gt_i32_e64 s0, s23, v45
	s_delay_alu instid0(VALU_DEP_1) | instskip(SKIP_1) | instid1(VALU_DEP_1)
	v_cndmask_b32_e64 v32, 0, v32, s0
	v_cmp_gt_i32_e64 s0, s23, v44
	v_cndmask_b32_e64 v33, 0, v33, s0
.LBB174_368:                            ;   in Loop: Header=BB174_232 Depth=1
	s_or_b32 exec_lo, exec_lo, s11
	global_load_b32 v53, v[22:23], off offset:512
	v_mov_b64_e32 v[36:37], 0
	v_mov_b64_e32 v[38:39], 0
	s_mov_b32 s11, exec_lo
	s_wait_loadcnt 0x0
	v_and_b32_e32 v12, 0xff, v53
	s_delay_alu instid0(VALU_DEP_1)
	v_cmpx_ne_u16_e32 0, v12
	s_cbranch_execz .LBB174_376
; %bb.369:                              ;   in Loop: Header=BB174_232 Depth=1
	v_mov_b64_e32 v[38:39], 0x80000000
	s_mov_b32 s14, exec_lo
	v_cmpx_ne_u16_e32 0x80, v12
	s_cbranch_execz .LBB174_375
; %bb.370:                              ;   in Loop: Header=BB174_232 Depth=1
	v_mov_b64_e32 v[38:39], 0x7f800001
	v_and_b32_e32 v40, 0x7f, v53
	s_mov_b32 s15, exec_lo
	s_delay_alu instid0(VALU_DEP_1)
	v_cmpx_ne_u32_e32 0x7f, v40
	s_cbranch_execz .LBB174_374
; %bb.371:                              ;   in Loop: Header=BB174_232 Depth=1
	v_dual_lshrrev_b32 v38, 3, v40 :: v_dual_bitop2_b32 v12, 7, v53 bitop3:0x40
	s_mov_b32 s16, exec_lo
	v_cmpx_gt_u32_e32 8, v40
; %bb.372:                              ;   in Loop: Header=BB174_232 Depth=1
	s_delay_alu instid0(VALU_DEP_2) | instskip(NEXT) | instid1(VALU_DEP_1)
	v_clz_i32_u32_e32 v38, v12
	v_min_u32_e32 v38, 32, v38
	s_delay_alu instid0(VALU_DEP_1) | instskip(NEXT) | instid1(VALU_DEP_1)
	v_subrev_nc_u32_e32 v39, 28, v38
	v_lshlrev_b64_e32 v[40:41], v39, v[12:13]
	s_delay_alu instid0(VALU_DEP_1)
	v_dual_sub_nc_u32 v38, 29, v38 :: v_dual_bitop2_b32 v12, 7, v40 bitop3:0x40
; %bb.373:                              ;   in Loop: Header=BB174_232 Depth=1
	s_or_b32 exec_lo, exec_lo, s16
	s_delay_alu instid0(VALU_DEP_1) | instskip(NEXT) | instid1(VALU_DEP_2)
	v_dual_lshlrev_b32 v39, 24, v53 :: v_dual_lshlrev_b32 v12, 20, v12
	v_lshl_add_u32 v38, v38, 23, 0x3c000000
	s_delay_alu instid0(VALU_DEP_2) | instskip(NEXT) | instid1(VALU_DEP_1)
	v_and_b32_e32 v39, 0x80000000, v39
	v_or3_b32 v12, v12, v39, v38
	s_delay_alu instid0(VALU_DEP_1)
	v_mov_b64_e32 v[38:39], v[12:13]
.LBB174_374:                            ;   in Loop: Header=BB174_232 Depth=1
	s_or_b32 exec_lo, exec_lo, s15
.LBB174_375:                            ;   in Loop: Header=BB174_232 Depth=1
	s_delay_alu instid0(SALU_CYCLE_1)
	s_or_b32 exec_lo, exec_lo, s14
.LBB174_376:                            ;   in Loop: Header=BB174_232 Depth=1
	s_delay_alu instid0(SALU_CYCLE_1) | instskip(SKIP_2) | instid1(VALU_DEP_1)
	s_or_b32 exec_lo, exec_lo, s11
	v_lshrrev_b16 v12, 8, v53
	s_mov_b32 s11, exec_lo
	v_cmpx_ne_u16_e32 0, v12
	s_cbranch_execz .LBB174_384
; %bb.377:                              ;   in Loop: Header=BB174_232 Depth=1
	v_mov_b64_e32 v[36:37], 0x8000000000000000
	s_mov_b32 s14, exec_lo
	v_cmpx_ne_u16_e32 0x80, v12
	s_cbranch_execz .LBB174_383
; %bb.378:                              ;   in Loop: Header=BB174_232 Depth=1
	v_and_b32_e32 v12, 0xffff, v12
	v_mov_b64_e32 v[36:37], 0x7f80000100000000
	s_mov_b32 s15, exec_lo
	s_delay_alu instid0(VALU_DEP_2) | instskip(NEXT) | instid1(VALU_DEP_1)
	v_and_b32_e32 v40, 0x7f, v12
	v_cmpx_ne_u32_e32 0x7f, v40
	s_cbranch_execz .LBB174_382
; %bb.379:                              ;   in Loop: Header=BB174_232 Depth=1
	v_and_b32_e32 v12, 7, v12
	v_lshrrev_b32_e32 v36, 3, v40
	s_mov_b32 s16, exec_lo
	v_cmpx_gt_u32_e32 8, v40
; %bb.380:                              ;   in Loop: Header=BB174_232 Depth=1
	s_delay_alu instid0(VALU_DEP_3) | instskip(NEXT) | instid1(VALU_DEP_1)
	v_clz_i32_u32_e32 v36, v12
	v_min_u32_e32 v36, 32, v36
	s_delay_alu instid0(VALU_DEP_1) | instskip(SKIP_1) | instid1(VALU_DEP_2)
	v_subrev_nc_u32_e32 v37, 28, v36
	v_sub_nc_u32_e32 v36, 29, v36
	v_lshlrev_b64_e32 v[40:41], v37, v[12:13]
	s_delay_alu instid0(VALU_DEP_1)
	v_and_b32_e32 v12, 7, v40
; %bb.381:                              ;   in Loop: Header=BB174_232 Depth=1
	s_or_b32 exec_lo, exec_lo, s16
	s_delay_alu instid0(VALU_DEP_1) | instskip(SKIP_1) | instid1(VALU_DEP_2)
	v_dual_lshlrev_b32 v37, 16, v53 :: v_dual_lshlrev_b32 v12, 20, v12
	v_lshl_add_u32 v36, v36, 23, 0x3c000000
	v_and_b32_e32 v37, 0x80000000, v37
	s_delay_alu instid0(VALU_DEP_1)
	v_or3_b32 v37, v12, v37, v36
	v_mov_b32_e32 v36, v13
.LBB174_382:                            ;   in Loop: Header=BB174_232 Depth=1
	s_or_b32 exec_lo, exec_lo, s15
.LBB174_383:                            ;   in Loop: Header=BB174_232 Depth=1
	s_delay_alu instid0(SALU_CYCLE_1)
	s_or_b32 exec_lo, exec_lo, s14
.LBB174_384:                            ;   in Loop: Header=BB174_232 Depth=1
	s_delay_alu instid0(SALU_CYCLE_1) | instskip(SKIP_4) | instid1(VALU_DEP_3)
	s_or_b32 exec_lo, exec_lo, s11
	v_lshrrev_b32_e32 v54, 16, v53
	v_mov_b64_e32 v[40:41], 0
	v_mov_b64_e32 v[42:43], 0
	s_mov_b32 s11, exec_lo
	v_and_b32_e32 v12, 0xff, v54
	s_delay_alu instid0(VALU_DEP_1)
	v_cmpx_ne_u16_e32 0, v12
	s_cbranch_execz .LBB174_392
; %bb.385:                              ;   in Loop: Header=BB174_232 Depth=1
	v_mov_b64_e32 v[42:43], 0x80000000
	s_mov_b32 s14, exec_lo
	v_cmpx_ne_u16_e32 0x80, v12
	s_cbranch_execz .LBB174_391
; %bb.386:                              ;   in Loop: Header=BB174_232 Depth=1
	v_mov_b64_e32 v[42:43], 0x7f800001
	v_bfe_u32 v55, v53, 16, 7
	s_mov_b32 s15, exec_lo
	s_delay_alu instid0(VALU_DEP_1)
	v_cmpx_ne_u32_e32 0x7f, v55
	s_cbranch_execz .LBB174_390
; %bb.387:                              ;   in Loop: Header=BB174_232 Depth=1
	v_dual_lshrrev_b32 v42, 3, v55 :: v_dual_bitop2_b32 v12, 7, v54 bitop3:0x40
	s_mov_b32 s16, exec_lo
	v_cmpx_gt_u32_e32 8, v55
; %bb.388:                              ;   in Loop: Header=BB174_232 Depth=1
	s_delay_alu instid0(VALU_DEP_2) | instskip(NEXT) | instid1(VALU_DEP_1)
	v_clz_i32_u32_e32 v42, v12
	v_min_u32_e32 v42, 32, v42
	s_delay_alu instid0(VALU_DEP_1) | instskip(NEXT) | instid1(VALU_DEP_1)
	v_subrev_nc_u32_e32 v43, 28, v42
	v_lshlrev_b64_e32 v[56:57], v43, v[12:13]
	s_delay_alu instid0(VALU_DEP_1)
	v_dual_sub_nc_u32 v42, 29, v42 :: v_dual_bitop2_b32 v12, 7, v56 bitop3:0x40
; %bb.389:                              ;   in Loop: Header=BB174_232 Depth=1
	s_or_b32 exec_lo, exec_lo, s16
	s_delay_alu instid0(VALU_DEP_1) | instskip(NEXT) | instid1(VALU_DEP_2)
	v_dual_lshlrev_b32 v43, 24, v54 :: v_dual_lshlrev_b32 v12, 20, v12
	v_lshl_add_u32 v42, v42, 23, 0x3c000000
	s_delay_alu instid0(VALU_DEP_2) | instskip(NEXT) | instid1(VALU_DEP_1)
	v_and_b32_e32 v43, 0x80000000, v43
	v_or3_b32 v12, v12, v43, v42
	s_delay_alu instid0(VALU_DEP_1)
	v_mov_b64_e32 v[42:43], v[12:13]
.LBB174_390:                            ;   in Loop: Header=BB174_232 Depth=1
	s_or_b32 exec_lo, exec_lo, s15
.LBB174_391:                            ;   in Loop: Header=BB174_232 Depth=1
	s_delay_alu instid0(SALU_CYCLE_1)
	s_or_b32 exec_lo, exec_lo, s14
.LBB174_392:                            ;   in Loop: Header=BB174_232 Depth=1
	s_delay_alu instid0(SALU_CYCLE_1) | instskip(NEXT) | instid1(SALU_CYCLE_1)
	s_or_b32 exec_lo, exec_lo, s11
	s_mov_b32 s11, exec_lo
	v_cmpx_lt_u32_e32 0xffffff, v53
	s_cbranch_execz .LBB174_400
; %bb.393:                              ;   in Loop: Header=BB174_232 Depth=1
	v_mov_b64_e32 v[40:41], 0x8000000000000000
	v_lshrrev_b32_e32 v54, 24, v53
	s_mov_b32 s14, exec_lo
	s_delay_alu instid0(VALU_DEP_1)
	v_cmpx_ne_u32_e32 0x80, v54
	s_cbranch_execz .LBB174_399
; %bb.394:                              ;   in Loop: Header=BB174_232 Depth=1
	v_mov_b64_e32 v[40:41], 0x7f80000100000000
	v_bfe_u32 v53, v53, 24, 7
	s_mov_b32 s15, exec_lo
	s_delay_alu instid0(VALU_DEP_1)
	v_cmpx_ne_u32_e32 0x7f, v53
	s_cbranch_execz .LBB174_398
; %bb.395:                              ;   in Loop: Header=BB174_232 Depth=1
	v_dual_lshrrev_b32 v40, 3, v53 :: v_dual_bitop2_b32 v12, 7, v54 bitop3:0x40
	s_mov_b32 s16, exec_lo
	v_cmpx_gt_u32_e32 8, v53
; %bb.396:                              ;   in Loop: Header=BB174_232 Depth=1
	s_delay_alu instid0(VALU_DEP_2) | instskip(NEXT) | instid1(VALU_DEP_1)
	v_clz_i32_u32_e32 v40, v12
	v_min_u32_e32 v40, 32, v40
	s_delay_alu instid0(VALU_DEP_1) | instskip(SKIP_1) | instid1(VALU_DEP_2)
	v_subrev_nc_u32_e32 v41, 28, v40
	v_sub_nc_u32_e32 v40, 29, v40
	v_lshlrev_b64_e32 v[56:57], v41, v[12:13]
	s_delay_alu instid0(VALU_DEP_1)
	v_and_b32_e32 v12, 7, v56
; %bb.397:                              ;   in Loop: Header=BB174_232 Depth=1
	s_or_b32 exec_lo, exec_lo, s16
	s_delay_alu instid0(VALU_DEP_1) | instskip(SKIP_1) | instid1(VALU_DEP_2)
	v_dual_lshlrev_b32 v41, 24, v54 :: v_dual_lshlrev_b32 v12, 20, v12
	v_lshl_add_u32 v40, v40, 23, 0x3c000000
	v_and_b32_e32 v41, 0x80000000, v41
	s_delay_alu instid0(VALU_DEP_1)
	v_or3_b32 v41, v12, v41, v40
	v_mov_b32_e32 v40, v13
.LBB174_398:                            ;   in Loop: Header=BB174_232 Depth=1
	s_or_b32 exec_lo, exec_lo, s15
.LBB174_399:                            ;   in Loop: Header=BB174_232 Depth=1
	s_delay_alu instid0(SALU_CYCLE_1)
	s_or_b32 exec_lo, exec_lo, s14
.LBB174_400:                            ;   in Loop: Header=BB174_232 Depth=1
	s_delay_alu instid0(SALU_CYCLE_1)
	s_or_b32 exec_lo, exec_lo, s11
	v_mov_b64_e32 v[54:55], s[2:3]
	v_or_b32_e32 v37, v37, v39
	v_or_b32_e32 v36, v36, v38
	;; [unrolled: 1-line block ×4, first 2 shown]
	s_delay_alu instid0(VALU_DEP_3) | instskip(NEXT) | instid1(VALU_DEP_2)
	v_pk_mul_f32 v[38:39], v[54:55], v[36:37]
	v_pk_mul_f32 v[36:37], v[54:55], v[40:41]
	s_and_saveexec_b32 s11, vcc_lo
	s_cbranch_execz .LBB174_402
; %bb.401:                              ;   in Loop: Header=BB174_232 Depth=1
	v_cmp_gt_i32_e64 s0, s23, v49
	s_delay_alu instid0(VALU_DEP_1) | instskip(SKIP_1) | instid1(VALU_DEP_1)
	v_cndmask_b32_e64 v38, 0, v38, s0
	v_cmp_gt_i32_e64 s0, s23, v52
	v_cndmask_b32_e64 v39, 0, v39, s0
	v_cmp_gt_i32_e64 s0, s23, v45
	s_delay_alu instid0(VALU_DEP_1) | instskip(SKIP_1) | instid1(VALU_DEP_1)
	v_cndmask_b32_e64 v36, 0, v36, s0
	v_cmp_gt_i32_e64 s0, s23, v44
	v_cndmask_b32_e64 v37, 0, v37, s0
.LBB174_402:                            ;   in Loop: Header=BB174_232 Depth=1
	s_or_b32 exec_lo, exec_lo, s11
	global_load_b32 v53, v[22:23], off offset:640
	s_wait_xcnt 0x0
	v_mov_b64_e32 v[22:23], 0
	v_mov_b64_e32 v[40:41], 0
	s_mov_b32 s11, exec_lo
	s_wait_loadcnt 0x0
	v_and_b32_e32 v12, 0xff, v53
	s_delay_alu instid0(VALU_DEP_1)
	v_cmpx_ne_u16_e32 0, v12
	s_cbranch_execz .LBB174_410
; %bb.403:                              ;   in Loop: Header=BB174_232 Depth=1
	v_mov_b64_e32 v[40:41], 0x80000000
	s_mov_b32 s14, exec_lo
	v_cmpx_ne_u16_e32 0x80, v12
	s_cbranch_execz .LBB174_409
; %bb.404:                              ;   in Loop: Header=BB174_232 Depth=1
	v_mov_b64_e32 v[40:41], 0x7f800001
	v_and_b32_e32 v42, 0x7f, v53
	s_mov_b32 s15, exec_lo
	s_delay_alu instid0(VALU_DEP_1)
	v_cmpx_ne_u32_e32 0x7f, v42
	s_cbranch_execz .LBB174_408
; %bb.405:                              ;   in Loop: Header=BB174_232 Depth=1
	v_dual_lshrrev_b32 v40, 3, v42 :: v_dual_bitop2_b32 v12, 7, v53 bitop3:0x40
	s_mov_b32 s16, exec_lo
	v_cmpx_gt_u32_e32 8, v42
; %bb.406:                              ;   in Loop: Header=BB174_232 Depth=1
	s_delay_alu instid0(VALU_DEP_2) | instskip(NEXT) | instid1(VALU_DEP_1)
	v_clz_i32_u32_e32 v40, v12
	v_min_u32_e32 v40, 32, v40
	s_delay_alu instid0(VALU_DEP_1) | instskip(NEXT) | instid1(VALU_DEP_1)
	v_subrev_nc_u32_e32 v41, 28, v40
	v_lshlrev_b64_e32 v[42:43], v41, v[12:13]
	s_delay_alu instid0(VALU_DEP_1)
	v_dual_sub_nc_u32 v40, 29, v40 :: v_dual_bitop2_b32 v12, 7, v42 bitop3:0x40
; %bb.407:                              ;   in Loop: Header=BB174_232 Depth=1
	s_or_b32 exec_lo, exec_lo, s16
	s_delay_alu instid0(VALU_DEP_1) | instskip(NEXT) | instid1(VALU_DEP_2)
	v_dual_lshlrev_b32 v41, 24, v53 :: v_dual_lshlrev_b32 v12, 20, v12
	v_lshl_add_u32 v40, v40, 23, 0x3c000000
	s_delay_alu instid0(VALU_DEP_2) | instskip(NEXT) | instid1(VALU_DEP_1)
	v_and_b32_e32 v41, 0x80000000, v41
	v_or3_b32 v12, v12, v41, v40
	s_delay_alu instid0(VALU_DEP_1)
	v_mov_b64_e32 v[40:41], v[12:13]
.LBB174_408:                            ;   in Loop: Header=BB174_232 Depth=1
	s_or_b32 exec_lo, exec_lo, s15
.LBB174_409:                            ;   in Loop: Header=BB174_232 Depth=1
	s_delay_alu instid0(SALU_CYCLE_1)
	s_or_b32 exec_lo, exec_lo, s14
.LBB174_410:                            ;   in Loop: Header=BB174_232 Depth=1
	s_delay_alu instid0(SALU_CYCLE_1) | instskip(SKIP_2) | instid1(VALU_DEP_1)
	s_or_b32 exec_lo, exec_lo, s11
	v_lshrrev_b16 v12, 8, v53
	s_mov_b32 s11, exec_lo
	v_cmpx_ne_u16_e32 0, v12
	s_cbranch_execz .LBB174_418
; %bb.411:                              ;   in Loop: Header=BB174_232 Depth=1
	v_mov_b64_e32 v[22:23], 0x8000000000000000
	s_mov_b32 s14, exec_lo
	v_cmpx_ne_u16_e32 0x80, v12
	s_cbranch_execz .LBB174_417
; %bb.412:                              ;   in Loop: Header=BB174_232 Depth=1
	v_and_b32_e32 v12, 0xffff, v12
	v_mov_b64_e32 v[22:23], 0x7f80000100000000
	s_mov_b32 s15, exec_lo
	s_delay_alu instid0(VALU_DEP_2) | instskip(NEXT) | instid1(VALU_DEP_1)
	v_and_b32_e32 v42, 0x7f, v12
	v_cmpx_ne_u32_e32 0x7f, v42
	s_cbranch_execz .LBB174_416
; %bb.413:                              ;   in Loop: Header=BB174_232 Depth=1
	v_dual_lshrrev_b32 v22, 3, v42 :: v_dual_bitop2_b32 v12, 7, v12 bitop3:0x40
	s_mov_b32 s16, exec_lo
	v_cmpx_gt_u32_e32 8, v42
; %bb.414:                              ;   in Loop: Header=BB174_232 Depth=1
	s_delay_alu instid0(VALU_DEP_2) | instskip(NEXT) | instid1(VALU_DEP_1)
	v_clz_i32_u32_e32 v22, v12
	v_min_u32_e32 v22, 32, v22
	s_delay_alu instid0(VALU_DEP_1) | instskip(SKIP_1) | instid1(VALU_DEP_2)
	v_subrev_nc_u32_e32 v23, 28, v22
	v_sub_nc_u32_e32 v22, 29, v22
	v_lshlrev_b64_e32 v[42:43], v23, v[12:13]
	s_delay_alu instid0(VALU_DEP_1)
	v_and_b32_e32 v12, 7, v42
; %bb.415:                              ;   in Loop: Header=BB174_232 Depth=1
	s_or_b32 exec_lo, exec_lo, s16
	s_delay_alu instid0(VALU_DEP_1) | instskip(SKIP_1) | instid1(VALU_DEP_2)
	v_dual_lshlrev_b32 v23, 16, v53 :: v_dual_lshlrev_b32 v12, 20, v12
	v_lshl_add_u32 v22, v22, 23, 0x3c000000
	v_and_b32_e32 v23, 0x80000000, v23
	s_delay_alu instid0(VALU_DEP_1)
	v_or3_b32 v23, v12, v23, v22
	v_mov_b32_e32 v22, v13
.LBB174_416:                            ;   in Loop: Header=BB174_232 Depth=1
	s_or_b32 exec_lo, exec_lo, s15
.LBB174_417:                            ;   in Loop: Header=BB174_232 Depth=1
	s_delay_alu instid0(SALU_CYCLE_1)
	s_or_b32 exec_lo, exec_lo, s14
.LBB174_418:                            ;   in Loop: Header=BB174_232 Depth=1
	s_delay_alu instid0(SALU_CYCLE_1) | instskip(SKIP_4) | instid1(VALU_DEP_3)
	s_or_b32 exec_lo, exec_lo, s11
	v_lshrrev_b32_e32 v54, 16, v53
	v_mov_b64_e32 v[42:43], 0
	v_mov_b64_e32 v[44:45], 0
	s_mov_b32 s11, exec_lo
	v_and_b32_e32 v12, 0xff, v54
	s_delay_alu instid0(VALU_DEP_1)
	v_cmpx_ne_u16_e32 0, v12
	s_cbranch_execz .LBB174_426
; %bb.419:                              ;   in Loop: Header=BB174_232 Depth=1
	v_mov_b64_e32 v[44:45], 0x80000000
	s_mov_b32 s14, exec_lo
	v_cmpx_ne_u16_e32 0x80, v12
	s_cbranch_execz .LBB174_425
; %bb.420:                              ;   in Loop: Header=BB174_232 Depth=1
	v_mov_b64_e32 v[44:45], 0x7f800001
	v_bfe_u32 v55, v53, 16, 7
	s_mov_b32 s15, exec_lo
	s_delay_alu instid0(VALU_DEP_1)
	v_cmpx_ne_u32_e32 0x7f, v55
	s_cbranch_execz .LBB174_424
; %bb.421:                              ;   in Loop: Header=BB174_232 Depth=1
	v_dual_lshrrev_b32 v44, 3, v55 :: v_dual_bitop2_b32 v12, 7, v54 bitop3:0x40
	s_mov_b32 s16, exec_lo
	v_cmpx_gt_u32_e32 8, v55
; %bb.422:                              ;   in Loop: Header=BB174_232 Depth=1
	s_delay_alu instid0(VALU_DEP_2) | instskip(NEXT) | instid1(VALU_DEP_1)
	v_clz_i32_u32_e32 v44, v12
	v_min_u32_e32 v44, 32, v44
	s_delay_alu instid0(VALU_DEP_1) | instskip(SKIP_1) | instid1(VALU_DEP_2)
	v_subrev_nc_u32_e32 v45, 28, v44
	v_sub_nc_u32_e32 v44, 29, v44
	v_lshlrev_b64_e32 v[56:57], v45, v[12:13]
	s_delay_alu instid0(VALU_DEP_1)
	v_and_b32_e32 v12, 7, v56
; %bb.423:                              ;   in Loop: Header=BB174_232 Depth=1
	s_or_b32 exec_lo, exec_lo, s16
	s_delay_alu instid0(VALU_DEP_1) | instskip(SKIP_1) | instid1(VALU_DEP_2)
	v_dual_lshlrev_b32 v45, 24, v54 :: v_dual_lshlrev_b32 v12, 20, v12
	v_lshl_add_u32 v44, v44, 23, 0x3c000000
	v_and_b32_e32 v45, 0x80000000, v45
	s_delay_alu instid0(VALU_DEP_1) | instskip(NEXT) | instid1(VALU_DEP_1)
	v_or3_b32 v12, v12, v45, v44
	v_mov_b64_e32 v[44:45], v[12:13]
.LBB174_424:                            ;   in Loop: Header=BB174_232 Depth=1
	s_or_b32 exec_lo, exec_lo, s15
.LBB174_425:                            ;   in Loop: Header=BB174_232 Depth=1
	s_delay_alu instid0(SALU_CYCLE_1)
	s_or_b32 exec_lo, exec_lo, s14
.LBB174_426:                            ;   in Loop: Header=BB174_232 Depth=1
	s_delay_alu instid0(SALU_CYCLE_1) | instskip(NEXT) | instid1(SALU_CYCLE_1)
	s_or_b32 exec_lo, exec_lo, s11
	s_mov_b32 s11, exec_lo
	v_cmpx_lt_u32_e32 0xffffff, v53
	s_cbranch_execz .LBB174_434
; %bb.427:                              ;   in Loop: Header=BB174_232 Depth=1
	v_mov_b64_e32 v[42:43], 0x8000000000000000
	v_lshrrev_b32_e32 v54, 24, v53
	s_mov_b32 s14, exec_lo
	s_delay_alu instid0(VALU_DEP_1)
	v_cmpx_ne_u32_e32 0x80, v54
	s_cbranch_execz .LBB174_433
; %bb.428:                              ;   in Loop: Header=BB174_232 Depth=1
	v_mov_b64_e32 v[42:43], 0x7f80000100000000
	v_bfe_u32 v53, v53, 24, 7
	s_mov_b32 s15, exec_lo
	s_delay_alu instid0(VALU_DEP_1)
	v_cmpx_ne_u32_e32 0x7f, v53
	s_cbranch_execz .LBB174_432
; %bb.429:                              ;   in Loop: Header=BB174_232 Depth=1
	v_dual_lshrrev_b32 v42, 3, v53 :: v_dual_bitop2_b32 v12, 7, v54 bitop3:0x40
	s_mov_b32 s16, exec_lo
	v_cmpx_gt_u32_e32 8, v53
; %bb.430:                              ;   in Loop: Header=BB174_232 Depth=1
	s_delay_alu instid0(VALU_DEP_2) | instskip(NEXT) | instid1(VALU_DEP_1)
	v_clz_i32_u32_e32 v42, v12
	v_min_u32_e32 v42, 32, v42
	s_delay_alu instid0(VALU_DEP_1) | instskip(NEXT) | instid1(VALU_DEP_1)
	v_subrev_nc_u32_e32 v43, 28, v42
	v_lshlrev_b64_e32 v[56:57], v43, v[12:13]
	s_delay_alu instid0(VALU_DEP_1)
	v_dual_sub_nc_u32 v42, 29, v42 :: v_dual_bitop2_b32 v12, 7, v56 bitop3:0x40
; %bb.431:                              ;   in Loop: Header=BB174_232 Depth=1
	s_or_b32 exec_lo, exec_lo, s16
	s_delay_alu instid0(VALU_DEP_1) | instskip(NEXT) | instid1(VALU_DEP_2)
	v_dual_lshlrev_b32 v43, 24, v54 :: v_dual_lshlrev_b32 v12, 20, v12
	v_lshl_add_u32 v42, v42, 23, 0x3c000000
	s_delay_alu instid0(VALU_DEP_2) | instskip(NEXT) | instid1(VALU_DEP_1)
	v_and_b32_e32 v43, 0x80000000, v43
	v_or3_b32 v43, v12, v43, v42
	v_mov_b32_e32 v42, v13
.LBB174_432:                            ;   in Loop: Header=BB174_232 Depth=1
	s_or_b32 exec_lo, exec_lo, s15
.LBB174_433:                            ;   in Loop: Header=BB174_232 Depth=1
	s_delay_alu instid0(SALU_CYCLE_1)
	s_or_b32 exec_lo, exec_lo, s14
.LBB174_434:                            ;   in Loop: Header=BB174_232 Depth=1
	s_delay_alu instid0(SALU_CYCLE_1)
	s_or_b32 exec_lo, exec_lo, s11
	v_or_b32_e32 v23, v23, v41
	v_or_b32_e32 v22, v22, v40
	v_mov_b64_e32 v[40:41], s[2:3]
	v_or_b32_e32 v43, v43, v45
	v_or_b32_e32 v42, v42, v44
	s_delay_alu instid0(VALU_DEP_3) | instskip(NEXT) | instid1(VALU_DEP_2)
	v_pk_mul_f32 v[22:23], v[40:41], v[22:23]
	v_pk_mul_f32 v[40:41], v[40:41], v[42:43]
	s_and_saveexec_b32 s0, vcc_lo
	s_cbranch_execz .LBB174_231
; %bb.435:                              ;   in Loop: Header=BB174_232 Depth=1
	v_cmp_gt_i32_e32 vcc_lo, s10, v52
	v_dual_cndmask_b32 v23, 0, v23, vcc_lo :: v_dual_bitop2_b32 v12, 3, v49 bitop3:0x54
	v_cmp_gt_i32_e32 vcc_lo, s23, v49
	v_dual_cndmask_b32 v22, 0, v22, vcc_lo :: v_dual_bitop2_b32 v42, 2, v49 bitop3:0x54
	s_delay_alu instid0(VALU_DEP_3) | instskip(SKIP_1) | instid1(VALU_DEP_3)
	v_cmp_gt_i32_e32 vcc_lo, s10, v12
	v_cndmask_b32_e32 v41, 0, v41, vcc_lo
	v_cmp_gt_i32_e32 vcc_lo, s23, v42
	v_cndmask_b32_e32 v40, 0, v40, vcc_lo
	s_branch .LBB174_231
.LBB174_436:
	s_or_b32 exec_lo, exec_lo, s9
.LBB174_437:
	s_delay_alu instid0(SALU_CYCLE_1)
	s_or_b32 exec_lo, exec_lo, s1
	ds_bpermute_b32 v2, v47, v10
	ds_bpermute_b32 v3, v47, v11
	;; [unrolled: 1-line block ×4, first 2 shown]
	v_and_b32_e32 v15, 0x3c1, v0
	v_lshrrev_b32_e32 v14, 1, v46
	s_mov_b32 s0, exec_lo
	ds_bpermute_b32 v12, v47, v6
	ds_bpermute_b32 v13, v47, v7
	s_wait_dscnt 0x0
	s_barrier_signal -1
	s_barrier_wait -1
	v_pk_add_f32 v[4:5], v[10:11], v[2:3]
	v_pk_add_f32 v[2:3], v[8:9], v[16:17]
	v_cmpx_ne_u32_e32 64, v15
	s_xor_b32 s0, exec_lo, s0
	s_delay_alu instid0(SALU_CYCLE_1)
	s_or_saveexec_b32 s0, s0
	v_pk_add_f32 v[6:7], v[6:7], v[12:13]
	v_lshl_add_u32 v8, v14, 2, 0x1a0
	v_mul_u32_u24_e32 v1, 0x180, v1
	s_xor_b32 exec_lo, exec_lo, s0
	s_cbranch_execz .LBB174_439
; %bb.438:
	s_delay_alu instid0(VALU_DEP_1) | instskip(NEXT) | instid1(VALU_DEP_1)
	v_add_nc_u32_e32 v9, v8, v1
	v_add_nc_u32_e32 v10, 0xfffffd00, v9
	;; [unrolled: 1-line block ×7, first 2 shown]
	ds_store_b32 v10, v4
	ds_store_b32 v11, v5
	;; [unrolled: 1-line block ×6, first 2 shown]
.LBB174_439:
	s_or_b32 exec_lo, exec_lo, s0
	v_lshlrev_b32_e32 v9, 2, v14
	s_mov_b32 s1, exec_lo
	v_cmp_eq_u32_e32 vcc_lo, 0, v48
	s_wait_dscnt 0x0
	s_barrier_signal -1
	v_add3_u32 v1, 0x1a0, v1, v9
	s_barrier_wait -1
	v_cmpx_gt_u32_e32 64, v0
	s_cbranch_execz .LBB174_448
; %bb.440:
	s_and_saveexec_b32 s0, vcc_lo
	s_cbranch_execnz .LBB174_462
; %bb.441:
	s_or_b32 exec_lo, exec_lo, s0
	s_and_saveexec_b32 s0, vcc_lo
	s_cbranch_execnz .LBB174_463
.LBB174_442:
	s_or_b32 exec_lo, exec_lo, s0
	s_and_saveexec_b32 s0, vcc_lo
	s_cbranch_execnz .LBB174_464
.LBB174_443:
	s_or_b32 exec_lo, exec_lo, s0
	s_and_saveexec_b32 s0, vcc_lo
	s_cbranch_execnz .LBB174_465
.LBB174_444:
	s_or_b32 exec_lo, exec_lo, s0
	s_and_saveexec_b32 s0, vcc_lo
	s_cbranch_execnz .LBB174_466
.LBB174_445:
	s_or_b32 exec_lo, exec_lo, s0
	s_and_saveexec_b32 s0, vcc_lo
	s_cbranch_execz .LBB174_447
.LBB174_446:
	ds_load_b32 v9, v1 offset:320
	s_wait_dscnt 0x0
	v_add_f32_e32 v7, v7, v9
.LBB174_447:
	s_or_b32 exec_lo, exec_lo, s0
.LBB174_448:
	s_delay_alu instid0(SALU_CYCLE_1) | instskip(SKIP_4) | instid1(VALU_DEP_1)
	s_or_b32 exec_lo, exec_lo, s1
	v_and_b32_e32 v9, 0x3e1, v0
	s_mov_b32 s1, exec_lo
	s_barrier_signal -1
	s_barrier_wait -1
	v_cmpx_eq_u32_e32 32, v9
	s_cbranch_execz .LBB174_450
; %bb.449:
	ds_store_2addr_b32 v8, v4, v5 offset1:16
	ds_store_2addr_b32 v8, v2, v3 offset0:32 offset1:48
	ds_store_2addr_b32 v8, v6, v7 offset0:64 offset1:80
.LBB174_450:
	s_or_b32 exec_lo, exec_lo, s1
	s_delay_alu instid0(SALU_CYCLE_1)
	s_mov_b32 s1, exec_lo
	s_wait_dscnt 0x0
	s_barrier_signal -1
	s_barrier_wait -1
	v_cmpx_gt_u32_e32 32, v0
	s_cbranch_execz .LBB174_459
; %bb.451:
	s_and_saveexec_b32 s0, vcc_lo
	s_cbranch_execnz .LBB174_467
; %bb.452:
	s_or_b32 exec_lo, exec_lo, s0
	s_and_saveexec_b32 s0, vcc_lo
	s_cbranch_execnz .LBB174_468
.LBB174_453:
	s_or_b32 exec_lo, exec_lo, s0
	s_and_saveexec_b32 s0, vcc_lo
	s_cbranch_execnz .LBB174_469
.LBB174_454:
	s_or_b32 exec_lo, exec_lo, s0
	s_and_saveexec_b32 s0, vcc_lo
	s_cbranch_execnz .LBB174_470
.LBB174_455:
	s_or_b32 exec_lo, exec_lo, s0
	s_and_saveexec_b32 s0, vcc_lo
	s_cbranch_execnz .LBB174_471
.LBB174_456:
	s_or_b32 exec_lo, exec_lo, s0
	s_and_saveexec_b32 s0, vcc_lo
	s_cbranch_execz .LBB174_458
.LBB174_457:
	ds_load_b32 v1, v1 offset:320
	s_wait_dscnt 0x0
	v_add_f32_e32 v7, v7, v1
.LBB174_458:
	s_or_b32 exec_lo, exec_lo, s0
.LBB174_459:
	s_delay_alu instid0(SALU_CYCLE_1)
	s_or_b32 exec_lo, exec_lo, s1
	s_mov_b32 s1, 0
	s_barrier_signal -1
	s_barrier_wait -1
	s_mov_b32 s0, exec_lo
	v_cmpx_eq_u32_e32 0, v9
	s_cbranch_execz .LBB174_461
; %bb.460:
	s_mul_i32 s0, s22, s8
	s_mul_i32 s2, s8, s12
	s_mul_i32 s0, s0, s21
	s_lshr_b32 s8, ttmp7, 16
	s_mul_i32 s6, s0, 0x60
	s_bfe_u32 s0, ttmp6, 0x40014
	s_ashr_i32 s7, s6, 31
	s_add_co_i32 s0, s0, 1
	s_lshl_b64 s[6:7], s[6:7], 2
	s_ashr_i32 s3, s2, 31
	s_wait_kmcnt 0x0
	s_add_nc_u64 s[4:5], s[4:5], s[6:7]
	s_mul_i32 s0, s8, s0
	s_bfe_u32 s6, ttmp6, 0x40008
	s_lshl_b64 s[2:3], s[2:3], 2
	s_add_co_i32 s6, s6, s0
	s_cmp_eq_u32 s20, 0
	v_lshlrev_b32_e32 v0, 1, v0
	s_cselect_b32 s0, s8, s6
	s_add_nc_u64 s[2:3], s[4:5], s[2:3]
	s_mulk_i32 s0, 0x180
	s_delay_alu instid0(SALU_CYCLE_1)
	s_add_nc_u64 s[0:1], s[2:3], s[0:1]
	s_clause 0x5
	global_store_b32 v0, v4, s[0:1]
	global_store_b32 v0, v5, s[0:1] offset:64
	global_store_b32 v0, v2, s[0:1] offset:128
	;; [unrolled: 1-line block ×5, first 2 shown]
.LBB174_461:
	s_sendmsg sendmsg(MSG_DEALLOC_VGPRS)
	s_endpgm
.LBB174_462:
	ds_load_b32 v9, v1
	s_wait_dscnt 0x0
	v_add_f32_e32 v4, v4, v9
	s_or_b32 exec_lo, exec_lo, s0
	s_and_saveexec_b32 s0, vcc_lo
	s_cbranch_execz .LBB174_442
.LBB174_463:
	ds_load_b32 v9, v1 offset:64
	s_wait_dscnt 0x0
	v_add_f32_e32 v5, v5, v9
	s_or_b32 exec_lo, exec_lo, s0
	s_and_saveexec_b32 s0, vcc_lo
	s_cbranch_execz .LBB174_443
.LBB174_464:
	ds_load_b32 v9, v1 offset:128
	s_wait_dscnt 0x0
	v_add_f32_e32 v2, v2, v9
	s_or_b32 exec_lo, exec_lo, s0
	s_and_saveexec_b32 s0, vcc_lo
	s_cbranch_execz .LBB174_444
.LBB174_465:
	ds_load_b32 v9, v1 offset:192
	s_wait_dscnt 0x0
	v_add_f32_e32 v3, v3, v9
	s_or_b32 exec_lo, exec_lo, s0
	s_and_saveexec_b32 s0, vcc_lo
	s_cbranch_execz .LBB174_445
.LBB174_466:
	ds_load_b32 v9, v1 offset:256
	s_wait_dscnt 0x0
	v_add_f32_e32 v6, v6, v9
	s_or_b32 exec_lo, exec_lo, s0
	s_and_saveexec_b32 s0, vcc_lo
	s_cbranch_execnz .LBB174_446
	s_branch .LBB174_447
.LBB174_467:
	ds_load_b32 v8, v1
	s_wait_dscnt 0x0
	v_add_f32_e32 v4, v4, v8
	s_or_b32 exec_lo, exec_lo, s0
	s_and_saveexec_b32 s0, vcc_lo
	s_cbranch_execz .LBB174_453
.LBB174_468:
	ds_load_b32 v8, v1 offset:64
	s_wait_dscnt 0x0
	v_add_f32_e32 v5, v5, v8
	s_or_b32 exec_lo, exec_lo, s0
	s_and_saveexec_b32 s0, vcc_lo
	s_cbranch_execz .LBB174_454
.LBB174_469:
	ds_load_b32 v8, v1 offset:128
	s_wait_dscnt 0x0
	v_add_f32_e32 v2, v2, v8
	s_or_b32 exec_lo, exec_lo, s0
	s_and_saveexec_b32 s0, vcc_lo
	s_cbranch_execz .LBB174_455
.LBB174_470:
	ds_load_b32 v8, v1 offset:192
	s_wait_dscnt 0x0
	v_add_f32_e32 v3, v3, v8
	s_or_b32 exec_lo, exec_lo, s0
	s_and_saveexec_b32 s0, vcc_lo
	s_cbranch_execz .LBB174_456
.LBB174_471:
	ds_load_b32 v8, v1 offset:256
	s_wait_dscnt 0x0
	v_add_f32_e32 v6, v6, v8
	s_or_b32 exec_lo, exec_lo, s0
	s_and_saveexec_b32 s0, vcc_lo
	s_cbranch_execnz .LBB174_457
	s_branch .LBB174_458
	.section	.rodata,"a",@progbits
	.p2align	6, 0x0
	.amdhsa_kernel _ZN4vllm25paged_attention_v1_kernelIfhLi96ELi8ELi128ELNS_18Fp8KVCacheDataTypeE1ELb0EEEvPT_PKS2_PKT0_S8_ifPKiSA_iPKfiiiSC_SC_iiiii
		.amdhsa_group_segment_fixed_size 416
		.amdhsa_private_segment_fixed_size 0
		.amdhsa_kernarg_size 384
		.amdhsa_user_sgpr_count 2
		.amdhsa_user_sgpr_dispatch_ptr 0
		.amdhsa_user_sgpr_queue_ptr 0
		.amdhsa_user_sgpr_kernarg_segment_ptr 1
		.amdhsa_user_sgpr_dispatch_id 0
		.amdhsa_user_sgpr_kernarg_preload_length 0
		.amdhsa_user_sgpr_kernarg_preload_offset 0
		.amdhsa_user_sgpr_private_segment_size 0
		.amdhsa_wavefront_size32 1
		.amdhsa_uses_dynamic_stack 0
		.amdhsa_enable_private_segment 0
		.amdhsa_system_sgpr_workgroup_id_x 1
		.amdhsa_system_sgpr_workgroup_id_y 1
		.amdhsa_system_sgpr_workgroup_id_z 1
		.amdhsa_system_sgpr_workgroup_info 0
		.amdhsa_system_vgpr_workitem_id 0
		.amdhsa_next_free_vgpr 70
		.amdhsa_next_free_sgpr 31
		.amdhsa_named_barrier_count 0
		.amdhsa_reserve_vcc 1
		.amdhsa_float_round_mode_32 0
		.amdhsa_float_round_mode_16_64 0
		.amdhsa_float_denorm_mode_32 3
		.amdhsa_float_denorm_mode_16_64 3
		.amdhsa_fp16_overflow 0
		.amdhsa_memory_ordered 1
		.amdhsa_forward_progress 1
		.amdhsa_inst_pref_size 127
		.amdhsa_round_robin_scheduling 0
		.amdhsa_exception_fp_ieee_invalid_op 0
		.amdhsa_exception_fp_denorm_src 0
		.amdhsa_exception_fp_ieee_div_zero 0
		.amdhsa_exception_fp_ieee_overflow 0
		.amdhsa_exception_fp_ieee_underflow 0
		.amdhsa_exception_fp_ieee_inexact 0
		.amdhsa_exception_int_div_zero 0
	.end_amdhsa_kernel
	.section	.text._ZN4vllm25paged_attention_v1_kernelIfhLi96ELi8ELi128ELNS_18Fp8KVCacheDataTypeE1ELb0EEEvPT_PKS2_PKT0_S8_ifPKiSA_iPKfiiiSC_SC_iiiii,"axG",@progbits,_ZN4vllm25paged_attention_v1_kernelIfhLi96ELi8ELi128ELNS_18Fp8KVCacheDataTypeE1ELb0EEEvPT_PKS2_PKT0_S8_ifPKiSA_iPKfiiiSC_SC_iiiii,comdat
.Lfunc_end174:
	.size	_ZN4vllm25paged_attention_v1_kernelIfhLi96ELi8ELi128ELNS_18Fp8KVCacheDataTypeE1ELb0EEEvPT_PKS2_PKT0_S8_ifPKiSA_iPKfiiiSC_SC_iiiii, .Lfunc_end174-_ZN4vllm25paged_attention_v1_kernelIfhLi96ELi8ELi128ELNS_18Fp8KVCacheDataTypeE1ELb0EEEvPT_PKS2_PKT0_S8_ifPKiSA_iPKfiiiSC_SC_iiiii
                                        ; -- End function
	.set _ZN4vllm25paged_attention_v1_kernelIfhLi96ELi8ELi128ELNS_18Fp8KVCacheDataTypeE1ELb0EEEvPT_PKS2_PKT0_S8_ifPKiSA_iPKfiiiSC_SC_iiiii.num_vgpr, 70
	.set _ZN4vllm25paged_attention_v1_kernelIfhLi96ELi8ELi128ELNS_18Fp8KVCacheDataTypeE1ELb0EEEvPT_PKS2_PKT0_S8_ifPKiSA_iPKfiiiSC_SC_iiiii.num_agpr, 0
	.set _ZN4vllm25paged_attention_v1_kernelIfhLi96ELi8ELi128ELNS_18Fp8KVCacheDataTypeE1ELb0EEEvPT_PKS2_PKT0_S8_ifPKiSA_iPKfiiiSC_SC_iiiii.numbered_sgpr, 31
	.set _ZN4vllm25paged_attention_v1_kernelIfhLi96ELi8ELi128ELNS_18Fp8KVCacheDataTypeE1ELb0EEEvPT_PKS2_PKT0_S8_ifPKiSA_iPKfiiiSC_SC_iiiii.num_named_barrier, 0
	.set _ZN4vllm25paged_attention_v1_kernelIfhLi96ELi8ELi128ELNS_18Fp8KVCacheDataTypeE1ELb0EEEvPT_PKS2_PKT0_S8_ifPKiSA_iPKfiiiSC_SC_iiiii.private_seg_size, 0
	.set _ZN4vllm25paged_attention_v1_kernelIfhLi96ELi8ELi128ELNS_18Fp8KVCacheDataTypeE1ELb0EEEvPT_PKS2_PKT0_S8_ifPKiSA_iPKfiiiSC_SC_iiiii.uses_vcc, 1
	.set _ZN4vllm25paged_attention_v1_kernelIfhLi96ELi8ELi128ELNS_18Fp8KVCacheDataTypeE1ELb0EEEvPT_PKS2_PKT0_S8_ifPKiSA_iPKfiiiSC_SC_iiiii.uses_flat_scratch, 0
	.set _ZN4vllm25paged_attention_v1_kernelIfhLi96ELi8ELi128ELNS_18Fp8KVCacheDataTypeE1ELb0EEEvPT_PKS2_PKT0_S8_ifPKiSA_iPKfiiiSC_SC_iiiii.has_dyn_sized_stack, 0
	.set _ZN4vllm25paged_attention_v1_kernelIfhLi96ELi8ELi128ELNS_18Fp8KVCacheDataTypeE1ELb0EEEvPT_PKS2_PKT0_S8_ifPKiSA_iPKfiiiSC_SC_iiiii.has_recursion, 0
	.set _ZN4vllm25paged_attention_v1_kernelIfhLi96ELi8ELi128ELNS_18Fp8KVCacheDataTypeE1ELb0EEEvPT_PKS2_PKT0_S8_ifPKiSA_iPKfiiiSC_SC_iiiii.has_indirect_call, 0
	.section	.AMDGPU.csdata,"",@progbits
; Kernel info:
; codeLenInByte = 16256
; TotalNumSgprs: 33
; NumVgprs: 70
; ScratchSize: 0
; MemoryBound: 0
; FloatMode: 240
; IeeeMode: 1
; LDSByteSize: 416 bytes/workgroup (compile time only)
; SGPRBlocks: 0
; VGPRBlocks: 4
; NumSGPRsForWavesPerEU: 33
; NumVGPRsForWavesPerEU: 70
; NamedBarCnt: 0
; Occupancy: 12
; WaveLimiterHint : 1
; COMPUTE_PGM_RSRC2:SCRATCH_EN: 0
; COMPUTE_PGM_RSRC2:USER_SGPR: 2
; COMPUTE_PGM_RSRC2:TRAP_HANDLER: 0
; COMPUTE_PGM_RSRC2:TGID_X_EN: 1
; COMPUTE_PGM_RSRC2:TGID_Y_EN: 1
; COMPUTE_PGM_RSRC2:TGID_Z_EN: 1
; COMPUTE_PGM_RSRC2:TIDIG_COMP_CNT: 0
	.section	.text._ZN4vllm25paged_attention_v1_kernelIfhLi112ELi8ELi128ELNS_18Fp8KVCacheDataTypeE1ELb0EEEvPT_PKS2_PKT0_S8_ifPKiSA_iPKfiiiSC_SC_iiiii,"axG",@progbits,_ZN4vllm25paged_attention_v1_kernelIfhLi112ELi8ELi128ELNS_18Fp8KVCacheDataTypeE1ELb0EEEvPT_PKS2_PKT0_S8_ifPKiSA_iPKfiiiSC_SC_iiiii,comdat
	.protected	_ZN4vllm25paged_attention_v1_kernelIfhLi112ELi8ELi128ELNS_18Fp8KVCacheDataTypeE1ELb0EEEvPT_PKS2_PKT0_S8_ifPKiSA_iPKfiiiSC_SC_iiiii ; -- Begin function _ZN4vllm25paged_attention_v1_kernelIfhLi112ELi8ELi128ELNS_18Fp8KVCacheDataTypeE1ELb0EEEvPT_PKS2_PKT0_S8_ifPKiSA_iPKfiiiSC_SC_iiiii
	.globl	_ZN4vllm25paged_attention_v1_kernelIfhLi112ELi8ELi128ELNS_18Fp8KVCacheDataTypeE1ELb0EEEvPT_PKS2_PKT0_S8_ifPKiSA_iPKfiiiSC_SC_iiiii
	.p2align	8
	.type	_ZN4vllm25paged_attention_v1_kernelIfhLi112ELi8ELi128ELNS_18Fp8KVCacheDataTypeE1ELb0EEEvPT_PKS2_PKT0_S8_ifPKiSA_iPKfiiiSC_SC_iiiii,@function
_ZN4vllm25paged_attention_v1_kernelIfhLi112ELi8ELi128ELNS_18Fp8KVCacheDataTypeE1ELb0EEEvPT_PKS2_PKT0_S8_ifPKiSA_iPKfiiiSC_SC_iiiii: ; @_ZN4vllm25paged_attention_v1_kernelIfhLi112ELi8ELi128ELNS_18Fp8KVCacheDataTypeE1ELb0EEEvPT_PKS2_PKT0_S8_ifPKiSA_iPKfiiiSC_SC_iiiii
; %bb.0:
	s_load_b64 s[18:19], s[0:1], 0x20
	s_bfe_u32 s3, ttmp6, 0x4000c
	s_bfe_u32 s5, ttmp6, 0x40010
	s_and_b32 s4, ttmp7, 0xffff
	s_add_co_i32 s3, s3, 1
	s_add_co_i32 s5, s5, 1
	s_and_b32 s2, ttmp6, 15
	s_bfe_u32 s6, ttmp6, 0x40004
	s_mul_i32 s3, ttmp9, s3
	s_mul_i32 s5, s4, s5
	s_getreg_b32 s20, hwreg(HW_REG_IB_STS2, 6, 4)
	s_add_co_i32 s2, s2, s3
	s_add_co_i32 s3, s6, s5
	s_cmp_eq_u32 s20, 0
	s_clause 0x1
	s_load_b32 s21, s[0:1], 0x80
	s_load_b64 s[6:7], s[0:1], 0x30
	s_cselect_b32 s22, s4, s3
	s_cselect_b32 s2, ttmp9, s2
	s_wait_kmcnt 0x0
	s_abs_i32 s3, s18
	s_delay_alu instid0(SALU_CYCLE_1) | instskip(SKIP_1) | instid1(SALU_CYCLE_2)
	s_cvt_f32_u32 s4, s3
	s_sub_co_i32 s5, 0, s3
	v_rcp_iflag_f32_e32 v1, s4
	s_abs_i32 s8, s21
	v_nop
	s_delay_alu instid0(TRANS32_DEP_1) | instskip(SKIP_1) | instid1(SALU_CYCLE_3)
	v_readfirstlane_b32 s4, v1
	s_mul_f32 s4, s4, 0x4f7ffffe
	s_cvt_u32_f32 s4, s4
	s_delay_alu instid0(SALU_CYCLE_3) | instskip(NEXT) | instid1(SALU_CYCLE_1)
	s_mul_i32 s5, s5, s4
	s_mul_hi_u32 s5, s4, s5
	s_delay_alu instid0(SALU_CYCLE_1) | instskip(SKIP_4) | instid1(SALU_CYCLE_1)
	s_add_co_i32 s4, s4, s5
	s_xor_b32 s5, s21, s18
	s_mul_hi_u32 s4, s8, s4
	s_ashr_i32 s5, s5, 31
	s_mul_i32 s9, s4, s3
	s_sub_co_i32 s8, s8, s9
	s_add_co_i32 s9, s4, 1
	s_sub_co_i32 s10, s8, s3
	s_cmp_ge_u32 s8, s3
	s_cselect_b32 s4, s9, s4
	s_cselect_b32 s8, s10, s8
	s_add_co_i32 s9, s4, 1
	s_cmp_ge_u32 s8, s3
	s_cselect_b32 s3, s9, s4
	s_load_b64 s[8:9], s[0:1], 0x40
	s_xor_b32 s3, s3, s5
	s_delay_alu instid0(SALU_CYCLE_1)
	s_sub_co_i32 s14, s3, s5
	s_mov_b32 s5, 0
	s_abs_i32 s11, s14
	s_mov_b32 s13, s5
	s_cvt_f32_u32 s3, s11
	s_sub_co_i32 s4, 0, s11
	s_mov_b32 s18, s5
	s_delay_alu instid0(SALU_CYCLE_1) | instskip(SKIP_1) | instid1(TRANS32_DEP_1)
	v_rcp_iflag_f32_e32 v1, s3
	v_nop
	v_readfirstlane_b32 s3, v1
	s_mul_f32 s3, s3, 0x4f7ffffe
	s_delay_alu instid0(SALU_CYCLE_3) | instskip(NEXT) | instid1(SALU_CYCLE_3)
	s_cvt_u32_f32 s3, s3
	s_mul_i32 s4, s4, s3
	s_delay_alu instid0(SALU_CYCLE_1)
	s_mul_hi_u32 s10, s3, s4
	s_abs_i32 s4, s2
	s_add_co_i32 s12, s3, s10
	s_wait_kmcnt 0x0
	s_cmp_eq_u64 s[8:9], 0
	s_cbranch_scc1 .LBB175_2
; %bb.1:
	s_ashr_i32 s3, s2, 31
	s_delay_alu instid0(SALU_CYCLE_1) | instskip(NEXT) | instid1(SALU_CYCLE_1)
	s_lshl_b64 s[16:17], s[2:3], 2
	s_add_nc_u64 s[8:9], s[8:9], s[16:17]
	s_load_b32 s18, s[8:9], 0x0
.LBB175_2:
	s_load_b32 s23, s[6:7], s22 offset:0x0 scale_offset
	s_wait_xcnt 0x0
	s_load_b96 s[8:10], s[0:1], 0x48
	v_and_b32_e32 v32, 3, v0
	s_ashr_i32 s3, s2, 31
	s_ashr_i32 s14, s14, 31
	s_mul_u64 s[6:7], s[4:5], s[12:13]
	s_mul_i32 s12, s2, 0x70
	s_mov_b32 s2, exec_lo
	v_cmpx_gt_u32_e32 0x70, v0
	s_cbranch_execz .LBB175_4
; %bb.3:
	s_load_b64 s[16:17], s[0:1], 0x8
	s_wait_kmcnt 0x0
	s_mul_i32 s24, s8, s22
	s_ashr_i32 s13, s12, 31
	s_ashr_i32 s25, s24, 31
	v_and_b32_e32 v2, 0x3fc, v0
	s_lshl_b64 s[24:25], s[24:25], 2
	s_delay_alu instid0(VALU_DEP_1) | instskip(SKIP_2) | instid1(SALU_CYCLE_1)
	v_mad_u32_u24 v2, 0x70, v32, v2
	s_add_nc_u64 s[16:17], s[16:17], s[24:25]
	s_lshl_b64 s[24:25], s[12:13], 2
	s_add_nc_u64 s[16:17], s[16:17], s[24:25]
	global_load_b32 v1, v0, s[16:17] scale_offset
	s_wait_loadcnt 0x0
	ds_store_b32 v2, v1
.LBB175_4:
	s_or_b32 exec_lo, exec_lo, s2
	s_wait_kmcnt 0x0
	s_add_co_i32 s2, s23, 7
	s_load_b32 s5, s[0:1], 0x38
	s_ashr_i32 s6, s2, 31
	s_mul_i32 s8, s7, s11
	s_lshr_b32 s6, s6, 29
	s_sub_co_i32 s4, s4, s8
	s_add_co_i32 s2, s2, s6
	s_xor_b32 s3, s3, s14
	s_ashr_i32 s13, s2, 3
	s_add_co_i32 s2, s7, 1
	s_sub_co_i32 s6, s4, s11
	s_cmp_ge_u32 s4, s11
	v_lshrrev_b32_e32 v1, 5, v0
	s_cselect_b32 s2, s2, s7
	s_cselect_b32 s4, s6, s4
	s_add_co_i32 s6, s2, 1
	s_cmp_ge_u32 s4, s11
	v_mbcnt_lo_u32_b32 v39, -1, 0
	s_cselect_b32 s2, s6, s2
	s_mov_b32 s4, exec_lo
	s_xor_b32 s2, s2, s3
	s_wait_kmcnt 0x0
	s_mul_i32 s14, s5, s22
	s_sub_co_i32 s3, s2, s3
	v_cmp_gt_i32_e64 s2, s13, v1
	s_ashr_i32 s15, s14, 31
	s_wait_dscnt 0x0
	s_barrier_signal -1
	s_barrier_wait -1
                                        ; implicit-def: $vgpr31
                                        ; implicit-def: $vgpr40
	v_cmpx_le_i32_e64 s13, v1
	s_xor_b32 s4, exec_lo, s4
; %bb.5:
	v_dual_mov_b32 v31, 0 :: v_dual_mov_b32 v40, 32
	v_mbcnt_lo_u32_b32 v39, -1, 0
                                        ; implicit-def: $vgpr32
; %bb.6:
	s_or_saveexec_b32 s24, s4
	s_clause 0x2
	s_load_b32 s8, s[0:1], 0x88
	s_load_b64 s[16:17], s[0:1], 0x28
	s_load_b128 s[4:7], s[0:1], 0x58
	v_dual_mov_b32 v41, 0xff7fffff :: v_dual_lshrrev_b32 v38, 3, v0
	s_mul_i32 s10, s3, s10
	s_xor_b32 exec_lo, exec_lo, s24
	s_cbranch_execz .LBB175_236
; %bb.7:
	s_load_b64 s[26:27], s[0:1], 0x10
	v_bfe_u32 v36, v0, 2, 3
	v_xor_b32_e32 v27, 2, v39
	v_mul_u32_u24_e32 v26, 0x70, v32
	v_dual_mov_b32 v31, 0 :: v_dual_mov_b32 v40, 32
	s_delay_alu instid0(VALU_DEP_4) | instskip(NEXT) | instid1(VALU_DEP_4)
	v_lshlrev_b32_e32 v30, 4, v36
	v_cmp_gt_i32_e32 vcc_lo, 32, v27
	ds_load_b128 v[2:5], v26
	ds_load_b128 v[6:9], v26 offset:16
	ds_load_b128 v[10:13], v26 offset:32
	;; [unrolled: 1-line block ×5, first 2 shown]
	s_ashr_i32 s11, s10, 31
	s_wait_kmcnt 0x0
	s_load_b32 s5, s[4:5], 0x0
	s_cmp_neq_f32 s18, 0
	v_cndmask_b32_e32 v34, v39, v27, vcc_lo
	v_xor_b32_e32 v33, 1, v39
	ds_load_b128 v[26:29], v26 offset:96
	s_cselect_b32 s3, -1, 0
	v_lshl_or_b32 v44, v1, 3, v36
	v_lshlrev_b32_e32 v42, 2, v34
	v_cmp_gt_i32_e32 vcc_lo, 32, v33
	v_mov_b32_e32 v41, 0xff7fffff
	s_add_nc_u64 s[26:27], s[26:27], s[10:11]
	s_mov_b32 s25, s9
	v_add_nc_u64_e32 v[34:35], s[26:27], v[30:31]
	v_cndmask_b32_e32 v37, v39, v33, vcc_lo
	v_dual_mov_b32 v33, v31 :: v_dual_lshlrev_b32 v30, 2, v36
	v_cmp_eq_u32_e32 vcc_lo, 0, v32
	s_lshl_b64 s[26:27], s[14:15], 2
	s_delay_alu instid0(VALU_DEP_3) | instskip(NEXT) | instid1(VALU_DEP_3)
	v_dual_mov_b32 v46, v1 :: v_dual_lshlrev_b32 v43, 2, v37
	v_add_nc_u64_e32 v[32:33], v[34:35], v[32:33]
	v_lshl_or_b32 v34, v1, 5, v30
	v_and_b32_e32 v30, 0x7c, v38
	s_add_nc_u64 s[26:27], s[16:17], s[26:27]
	s_mov_b32 s11, 0
	s_delay_alu instid0(VALU_DEP_2) | instskip(NEXT) | instid1(VALU_DEP_2)
	v_add_nc_u32_e32 v45, 0x1e0, v34
	v_add_nc_u64_e32 v[34:35], s[26:27], v[30:31]
	s_sub_co_i32 s26, 1, s23
	s_branch .LBB175_9
.LBB175_8:                              ;   in Loop: Header=BB175_9 Depth=1
	s_or_b32 exec_lo, exec_lo, s27
	v_dual_add_nc_u32 v46, 4, v46 :: v_dual_add_nc_u32 v44, 32, v44
	v_add_nc_u64_e32 v[34:35], 16, v[34:35]
	v_add_nc_u32_e32 v45, 0x80, v45
	s_delay_alu instid0(VALU_DEP_3) | instskip(SKIP_1) | instid1(SALU_CYCLE_1)
	v_cmp_le_i32_e64 s4, s13, v46
	s_or_b32 s11, s4, s11
	s_and_not1_b32 exec_lo, exec_lo, s11
	s_cbranch_execz .LBB175_235
.LBB175_9:                              ; =>This Inner Loop Header: Depth=1
	global_load_b32 v30, v[34:35], off
	v_dual_mov_b32 v47, 0 :: v_dual_mov_b32 v48, 0
	s_mov_b32 s27, exec_lo
	s_wait_loadcnt_dscnt 0x0
	v_mad_nc_i64_i32 v[36:37], v30, s25, v[32:33]
	global_load_u8 v49, v[36:37], off
	s_wait_loadcnt 0x0
	s_wait_xcnt 0x0
	v_cmpx_ne_u16_e32 0, v49
	s_cbranch_execz .LBB175_17
; %bb.10:                               ;   in Loop: Header=BB175_9 Depth=1
	v_bfrev_b32_e32 v48, 1
	s_mov_b32 s28, exec_lo
	v_cmpx_ne_u16_e32 0x80, v49
	s_cbranch_execz .LBB175_16
; %bb.11:                               ;   in Loop: Header=BB175_9 Depth=1
	v_and_b32_e32 v30, 0xffff, v49
	v_mov_b32_e32 v48, 0x7f800001
	s_mov_b32 s29, exec_lo
	s_delay_alu instid0(VALU_DEP_2) | instskip(NEXT) | instid1(VALU_DEP_1)
	v_and_b32_e32 v50, 0x7f, v30
	v_cmpx_ne_u32_e32 0x7f, v50
	s_cbranch_execz .LBB175_15
; %bb.12:                               ;   in Loop: Header=BB175_9 Depth=1
	v_and_b32_e32 v30, 7, v30
	v_lshrrev_b32_e32 v48, 3, v50
	s_mov_b32 s30, exec_lo
	v_cmpx_gt_u32_e32 8, v50
; %bb.13:                               ;   in Loop: Header=BB175_9 Depth=1
	s_delay_alu instid0(VALU_DEP_3) | instskip(NEXT) | instid1(VALU_DEP_1)
	v_clz_i32_u32_e32 v48, v30
	v_min_u32_e32 v48, 32, v48
	s_delay_alu instid0(VALU_DEP_1) | instskip(NEXT) | instid1(VALU_DEP_1)
	v_subrev_nc_u32_e32 v50, 28, v48
	v_lshlrev_b64_e32 v[50:51], v50, v[30:31]
	s_delay_alu instid0(VALU_DEP_1)
	v_dual_sub_nc_u32 v48, 29, v48 :: v_dual_bitop2_b32 v30, 7, v50 bitop3:0x40
; %bb.14:                               ;   in Loop: Header=BB175_9 Depth=1
	s_or_b32 exec_lo, exec_lo, s30
	s_delay_alu instid0(VALU_DEP_1) | instskip(NEXT) | instid1(VALU_DEP_2)
	v_dual_lshlrev_b32 v49, 24, v49 :: v_dual_lshlrev_b32 v30, 20, v30
	v_lshl_add_u32 v48, v48, 23, 0x3c000000
	s_delay_alu instid0(VALU_DEP_2) | instskip(NEXT) | instid1(VALU_DEP_1)
	v_and_b32_e32 v49, 0x80000000, v49
	v_or3_b32 v48, v30, v49, v48
.LBB175_15:                             ;   in Loop: Header=BB175_9 Depth=1
	s_or_b32 exec_lo, exec_lo, s29
.LBB175_16:                             ;   in Loop: Header=BB175_9 Depth=1
	s_delay_alu instid0(SALU_CYCLE_1)
	s_or_b32 exec_lo, exec_lo, s28
.LBB175_17:                             ;   in Loop: Header=BB175_9 Depth=1
	s_delay_alu instid0(SALU_CYCLE_1)
	s_or_b32 exec_lo, exec_lo, s27
	global_load_u8 v49, v[36:37], off offset:4
	s_mov_b32 s27, exec_lo
	s_wait_loadcnt 0x0
	v_cmpx_ne_u16_e32 0, v49
	s_cbranch_execz .LBB175_25
; %bb.18:                               ;   in Loop: Header=BB175_9 Depth=1
	v_bfrev_b32_e32 v47, 1
	s_mov_b32 s28, exec_lo
	v_cmpx_ne_u16_e32 0x80, v49
	s_cbranch_execz .LBB175_24
; %bb.19:                               ;   in Loop: Header=BB175_9 Depth=1
	v_and_b32_e32 v30, 0xffff, v49
	v_mov_b32_e32 v47, 0x7f800001
	s_mov_b32 s29, exec_lo
	s_delay_alu instid0(VALU_DEP_2) | instskip(NEXT) | instid1(VALU_DEP_1)
	v_and_b32_e32 v50, 0x7f, v30
	v_cmpx_ne_u32_e32 0x7f, v50
	s_cbranch_execz .LBB175_23
; %bb.20:                               ;   in Loop: Header=BB175_9 Depth=1
	v_and_b32_e32 v30, 7, v30
	v_lshrrev_b32_e32 v47, 3, v50
	s_mov_b32 s30, exec_lo
	v_cmpx_gt_u32_e32 8, v50
; %bb.21:                               ;   in Loop: Header=BB175_9 Depth=1
	s_delay_alu instid0(VALU_DEP_3) | instskip(NEXT) | instid1(VALU_DEP_1)
	v_clz_i32_u32_e32 v47, v30
	v_min_u32_e32 v47, 32, v47
	s_delay_alu instid0(VALU_DEP_1) | instskip(NEXT) | instid1(VALU_DEP_1)
	v_subrev_nc_u32_e32 v50, 28, v47
	v_lshlrev_b64_e32 v[50:51], v50, v[30:31]
	s_delay_alu instid0(VALU_DEP_1)
	v_dual_sub_nc_u32 v47, 29, v47 :: v_dual_bitop2_b32 v30, 7, v50 bitop3:0x40
; %bb.22:                               ;   in Loop: Header=BB175_9 Depth=1
	s_or_b32 exec_lo, exec_lo, s30
	s_delay_alu instid0(VALU_DEP_1) | instskip(NEXT) | instid1(VALU_DEP_2)
	v_dual_lshlrev_b32 v49, 24, v49 :: v_dual_lshlrev_b32 v30, 20, v30
	v_lshl_add_u32 v47, v47, 23, 0x3c000000
	s_delay_alu instid0(VALU_DEP_2) | instskip(NEXT) | instid1(VALU_DEP_1)
	v_and_b32_e32 v49, 0x80000000, v49
	v_or3_b32 v47, v30, v49, v47
.LBB175_23:                             ;   in Loop: Header=BB175_9 Depth=1
	s_or_b32 exec_lo, exec_lo, s29
.LBB175_24:                             ;   in Loop: Header=BB175_9 Depth=1
	s_delay_alu instid0(SALU_CYCLE_1)
	s_or_b32 exec_lo, exec_lo, s28
.LBB175_25:                             ;   in Loop: Header=BB175_9 Depth=1
	s_delay_alu instid0(SALU_CYCLE_1)
	s_or_b32 exec_lo, exec_lo, s27
	global_load_u8 v51, v[36:37], off offset:8
	v_dual_mov_b32 v49, 0 :: v_dual_mov_b32 v50, 0
	s_mov_b32 s27, exec_lo
	s_wait_loadcnt 0x0
	v_cmpx_ne_u16_e32 0, v51
	s_cbranch_execz .LBB175_33
; %bb.26:                               ;   in Loop: Header=BB175_9 Depth=1
	v_bfrev_b32_e32 v50, 1
	s_mov_b32 s28, exec_lo
	v_cmpx_ne_u16_e32 0x80, v51
	s_cbranch_execz .LBB175_32
; %bb.27:                               ;   in Loop: Header=BB175_9 Depth=1
	v_and_b32_e32 v30, 0xffff, v51
	v_mov_b32_e32 v50, 0x7f800001
	s_mov_b32 s29, exec_lo
	s_delay_alu instid0(VALU_DEP_2) | instskip(NEXT) | instid1(VALU_DEP_1)
	v_and_b32_e32 v52, 0x7f, v30
	v_cmpx_ne_u32_e32 0x7f, v52
	s_cbranch_execz .LBB175_31
; %bb.28:                               ;   in Loop: Header=BB175_9 Depth=1
	v_dual_lshrrev_b32 v50, 3, v52 :: v_dual_bitop2_b32 v30, 7, v30 bitop3:0x40
	s_mov_b32 s30, exec_lo
	v_cmpx_gt_u32_e32 8, v52
; %bb.29:                               ;   in Loop: Header=BB175_9 Depth=1
	s_delay_alu instid0(VALU_DEP_2) | instskip(NEXT) | instid1(VALU_DEP_1)
	v_clz_i32_u32_e32 v50, v30
	v_min_u32_e32 v50, 32, v50
	s_delay_alu instid0(VALU_DEP_1) | instskip(NEXT) | instid1(VALU_DEP_1)
	v_subrev_nc_u32_e32 v52, 28, v50
	v_lshlrev_b64_e32 v[52:53], v52, v[30:31]
	s_delay_alu instid0(VALU_DEP_1)
	v_dual_sub_nc_u32 v50, 29, v50 :: v_dual_bitop2_b32 v30, 7, v52 bitop3:0x40
; %bb.30:                               ;   in Loop: Header=BB175_9 Depth=1
	s_or_b32 exec_lo, exec_lo, s30
	s_delay_alu instid0(VALU_DEP_1) | instskip(NEXT) | instid1(VALU_DEP_2)
	v_dual_lshlrev_b32 v51, 24, v51 :: v_dual_lshlrev_b32 v30, 20, v30
	v_lshl_add_u32 v50, v50, 23, 0x3c000000
	s_delay_alu instid0(VALU_DEP_2) | instskip(NEXT) | instid1(VALU_DEP_1)
	v_and_b32_e32 v51, 0x80000000, v51
	v_or3_b32 v50, v30, v51, v50
.LBB175_31:                             ;   in Loop: Header=BB175_9 Depth=1
	s_or_b32 exec_lo, exec_lo, s29
.LBB175_32:                             ;   in Loop: Header=BB175_9 Depth=1
	s_delay_alu instid0(SALU_CYCLE_1)
	s_or_b32 exec_lo, exec_lo, s28
.LBB175_33:                             ;   in Loop: Header=BB175_9 Depth=1
	s_delay_alu instid0(SALU_CYCLE_1)
	s_or_b32 exec_lo, exec_lo, s27
	global_load_u8 v51, v[36:37], off offset:12
	s_mov_b32 s27, exec_lo
	s_wait_loadcnt 0x0
	v_cmpx_ne_u16_e32 0, v51
	s_cbranch_execz .LBB175_41
; %bb.34:                               ;   in Loop: Header=BB175_9 Depth=1
	v_bfrev_b32_e32 v49, 1
	s_mov_b32 s28, exec_lo
	v_cmpx_ne_u16_e32 0x80, v51
	s_cbranch_execz .LBB175_40
; %bb.35:                               ;   in Loop: Header=BB175_9 Depth=1
	v_and_b32_e32 v30, 0xffff, v51
	v_mov_b32_e32 v49, 0x7f800001
	s_mov_b32 s29, exec_lo
	s_delay_alu instid0(VALU_DEP_2) | instskip(NEXT) | instid1(VALU_DEP_1)
	v_and_b32_e32 v52, 0x7f, v30
	v_cmpx_ne_u32_e32 0x7f, v52
	s_cbranch_execz .LBB175_39
; %bb.36:                               ;   in Loop: Header=BB175_9 Depth=1
	v_dual_lshrrev_b32 v49, 3, v52 :: v_dual_bitop2_b32 v30, 7, v30 bitop3:0x40
	s_mov_b32 s30, exec_lo
	v_cmpx_gt_u32_e32 8, v52
; %bb.37:                               ;   in Loop: Header=BB175_9 Depth=1
	s_delay_alu instid0(VALU_DEP_2) | instskip(NEXT) | instid1(VALU_DEP_1)
	v_clz_i32_u32_e32 v49, v30
	v_min_u32_e32 v49, 32, v49
	s_delay_alu instid0(VALU_DEP_1) | instskip(NEXT) | instid1(VALU_DEP_1)
	v_subrev_nc_u32_e32 v52, 28, v49
	v_lshlrev_b64_e32 v[52:53], v52, v[30:31]
	s_delay_alu instid0(VALU_DEP_1)
	v_dual_sub_nc_u32 v49, 29, v49 :: v_dual_bitop2_b32 v30, 7, v52 bitop3:0x40
; %bb.38:                               ;   in Loop: Header=BB175_9 Depth=1
	s_or_b32 exec_lo, exec_lo, s30
	s_delay_alu instid0(VALU_DEP_1) | instskip(NEXT) | instid1(VALU_DEP_2)
	v_dual_lshlrev_b32 v51, 24, v51 :: v_dual_lshlrev_b32 v30, 20, v30
	v_lshl_add_u32 v49, v49, 23, 0x3c000000
	s_delay_alu instid0(VALU_DEP_2) | instskip(NEXT) | instid1(VALU_DEP_1)
	v_and_b32_e32 v51, 0x80000000, v51
	v_or3_b32 v49, v30, v51, v49
.LBB175_39:                             ;   in Loop: Header=BB175_9 Depth=1
	s_or_b32 exec_lo, exec_lo, s29
.LBB175_40:                             ;   in Loop: Header=BB175_9 Depth=1
	s_delay_alu instid0(SALU_CYCLE_1)
	s_or_b32 exec_lo, exec_lo, s28
.LBB175_41:                             ;   in Loop: Header=BB175_9 Depth=1
	s_delay_alu instid0(SALU_CYCLE_1)
	s_or_b32 exec_lo, exec_lo, s27
	global_load_u8 v53, v[36:37], off offset:128
	v_dual_mov_b32 v51, 0 :: v_dual_mov_b32 v52, 0
	s_mov_b32 s27, exec_lo
	s_wait_loadcnt 0x0
	v_cmpx_ne_u16_e32 0, v53
	s_cbranch_execz .LBB175_49
; %bb.42:                               ;   in Loop: Header=BB175_9 Depth=1
	v_bfrev_b32_e32 v52, 1
	s_mov_b32 s28, exec_lo
	v_cmpx_ne_u16_e32 0x80, v53
	s_cbranch_execz .LBB175_48
; %bb.43:                               ;   in Loop: Header=BB175_9 Depth=1
	v_and_b32_e32 v30, 0xffff, v53
	v_mov_b32_e32 v52, 0x7f800001
	s_mov_b32 s29, exec_lo
	s_delay_alu instid0(VALU_DEP_2) | instskip(NEXT) | instid1(VALU_DEP_1)
	v_and_b32_e32 v54, 0x7f, v30
	v_cmpx_ne_u32_e32 0x7f, v54
	s_cbranch_execz .LBB175_47
; %bb.44:                               ;   in Loop: Header=BB175_9 Depth=1
	v_and_b32_e32 v30, 7, v30
	v_lshrrev_b32_e32 v52, 3, v54
	s_mov_b32 s30, exec_lo
	v_cmpx_gt_u32_e32 8, v54
; %bb.45:                               ;   in Loop: Header=BB175_9 Depth=1
	s_delay_alu instid0(VALU_DEP_3) | instskip(NEXT) | instid1(VALU_DEP_1)
	v_clz_i32_u32_e32 v52, v30
	v_min_u32_e32 v52, 32, v52
	s_delay_alu instid0(VALU_DEP_1) | instskip(NEXT) | instid1(VALU_DEP_1)
	v_subrev_nc_u32_e32 v54, 28, v52
	v_lshlrev_b64_e32 v[54:55], v54, v[30:31]
	s_delay_alu instid0(VALU_DEP_1)
	v_dual_sub_nc_u32 v52, 29, v52 :: v_dual_bitop2_b32 v30, 7, v54 bitop3:0x40
; %bb.46:                               ;   in Loop: Header=BB175_9 Depth=1
	s_or_b32 exec_lo, exec_lo, s30
	s_delay_alu instid0(VALU_DEP_1) | instskip(NEXT) | instid1(VALU_DEP_2)
	v_dual_lshlrev_b32 v53, 24, v53 :: v_dual_lshlrev_b32 v30, 20, v30
	v_lshl_add_u32 v52, v52, 23, 0x3c000000
	s_delay_alu instid0(VALU_DEP_2) | instskip(NEXT) | instid1(VALU_DEP_1)
	v_and_b32_e32 v53, 0x80000000, v53
	v_or3_b32 v52, v30, v53, v52
.LBB175_47:                             ;   in Loop: Header=BB175_9 Depth=1
	s_or_b32 exec_lo, exec_lo, s29
.LBB175_48:                             ;   in Loop: Header=BB175_9 Depth=1
	s_delay_alu instid0(SALU_CYCLE_1)
	s_or_b32 exec_lo, exec_lo, s28
.LBB175_49:                             ;   in Loop: Header=BB175_9 Depth=1
	s_delay_alu instid0(SALU_CYCLE_1)
	s_or_b32 exec_lo, exec_lo, s27
	global_load_u8 v53, v[36:37], off offset:132
	s_mov_b32 s27, exec_lo
	s_wait_loadcnt 0x0
	v_cmpx_ne_u16_e32 0, v53
	s_cbranch_execz .LBB175_57
; %bb.50:                               ;   in Loop: Header=BB175_9 Depth=1
	v_bfrev_b32_e32 v51, 1
	s_mov_b32 s28, exec_lo
	v_cmpx_ne_u16_e32 0x80, v53
	s_cbranch_execz .LBB175_56
; %bb.51:                               ;   in Loop: Header=BB175_9 Depth=1
	v_and_b32_e32 v30, 0xffff, v53
	v_mov_b32_e32 v51, 0x7f800001
	s_mov_b32 s29, exec_lo
	s_delay_alu instid0(VALU_DEP_2) | instskip(NEXT) | instid1(VALU_DEP_1)
	v_and_b32_e32 v54, 0x7f, v30
	v_cmpx_ne_u32_e32 0x7f, v54
	s_cbranch_execz .LBB175_55
; %bb.52:                               ;   in Loop: Header=BB175_9 Depth=1
	v_and_b32_e32 v30, 7, v30
	v_lshrrev_b32_e32 v51, 3, v54
	s_mov_b32 s30, exec_lo
	v_cmpx_gt_u32_e32 8, v54
; %bb.53:                               ;   in Loop: Header=BB175_9 Depth=1
	s_delay_alu instid0(VALU_DEP_3) | instskip(NEXT) | instid1(VALU_DEP_1)
	v_clz_i32_u32_e32 v51, v30
	v_min_u32_e32 v51, 32, v51
	s_delay_alu instid0(VALU_DEP_1) | instskip(NEXT) | instid1(VALU_DEP_1)
	v_subrev_nc_u32_e32 v54, 28, v51
	v_lshlrev_b64_e32 v[54:55], v54, v[30:31]
	s_delay_alu instid0(VALU_DEP_1)
	v_dual_sub_nc_u32 v51, 29, v51 :: v_dual_bitop2_b32 v30, 7, v54 bitop3:0x40
; %bb.54:                               ;   in Loop: Header=BB175_9 Depth=1
	s_or_b32 exec_lo, exec_lo, s30
	s_delay_alu instid0(VALU_DEP_1) | instskip(NEXT) | instid1(VALU_DEP_2)
	v_dual_lshlrev_b32 v53, 24, v53 :: v_dual_lshlrev_b32 v30, 20, v30
	v_lshl_add_u32 v51, v51, 23, 0x3c000000
	s_delay_alu instid0(VALU_DEP_2) | instskip(NEXT) | instid1(VALU_DEP_1)
	v_and_b32_e32 v53, 0x80000000, v53
	v_or3_b32 v51, v30, v53, v51
.LBB175_55:                             ;   in Loop: Header=BB175_9 Depth=1
	s_or_b32 exec_lo, exec_lo, s29
.LBB175_56:                             ;   in Loop: Header=BB175_9 Depth=1
	s_delay_alu instid0(SALU_CYCLE_1)
	s_or_b32 exec_lo, exec_lo, s28
.LBB175_57:                             ;   in Loop: Header=BB175_9 Depth=1
	s_delay_alu instid0(SALU_CYCLE_1)
	s_or_b32 exec_lo, exec_lo, s27
	global_load_u8 v55, v[36:37], off offset:136
	v_dual_mov_b32 v53, 0 :: v_dual_mov_b32 v54, 0
	s_mov_b32 s27, exec_lo
	s_wait_loadcnt 0x0
	v_cmpx_ne_u16_e32 0, v55
	s_cbranch_execz .LBB175_65
; %bb.58:                               ;   in Loop: Header=BB175_9 Depth=1
	v_bfrev_b32_e32 v54, 1
	s_mov_b32 s28, exec_lo
	v_cmpx_ne_u16_e32 0x80, v55
	s_cbranch_execz .LBB175_64
; %bb.59:                               ;   in Loop: Header=BB175_9 Depth=1
	v_and_b32_e32 v30, 0xffff, v55
	v_mov_b32_e32 v54, 0x7f800001
	s_mov_b32 s29, exec_lo
	s_delay_alu instid0(VALU_DEP_2) | instskip(NEXT) | instid1(VALU_DEP_1)
	v_and_b32_e32 v56, 0x7f, v30
	v_cmpx_ne_u32_e32 0x7f, v56
	s_cbranch_execz .LBB175_63
; %bb.60:                               ;   in Loop: Header=BB175_9 Depth=1
	v_dual_lshrrev_b32 v54, 3, v56 :: v_dual_bitop2_b32 v30, 7, v30 bitop3:0x40
	s_mov_b32 s30, exec_lo
	v_cmpx_gt_u32_e32 8, v56
; %bb.61:                               ;   in Loop: Header=BB175_9 Depth=1
	s_delay_alu instid0(VALU_DEP_2) | instskip(NEXT) | instid1(VALU_DEP_1)
	v_clz_i32_u32_e32 v54, v30
	v_min_u32_e32 v54, 32, v54
	s_delay_alu instid0(VALU_DEP_1) | instskip(NEXT) | instid1(VALU_DEP_1)
	v_subrev_nc_u32_e32 v56, 28, v54
	v_lshlrev_b64_e32 v[56:57], v56, v[30:31]
	s_delay_alu instid0(VALU_DEP_1)
	v_dual_sub_nc_u32 v54, 29, v54 :: v_dual_bitop2_b32 v30, 7, v56 bitop3:0x40
; %bb.62:                               ;   in Loop: Header=BB175_9 Depth=1
	s_or_b32 exec_lo, exec_lo, s30
	s_delay_alu instid0(VALU_DEP_1) | instskip(NEXT) | instid1(VALU_DEP_2)
	v_dual_lshlrev_b32 v55, 24, v55 :: v_dual_lshlrev_b32 v30, 20, v30
	v_lshl_add_u32 v54, v54, 23, 0x3c000000
	s_delay_alu instid0(VALU_DEP_2) | instskip(NEXT) | instid1(VALU_DEP_1)
	v_and_b32_e32 v55, 0x80000000, v55
	v_or3_b32 v54, v30, v55, v54
.LBB175_63:                             ;   in Loop: Header=BB175_9 Depth=1
	s_or_b32 exec_lo, exec_lo, s29
.LBB175_64:                             ;   in Loop: Header=BB175_9 Depth=1
	s_delay_alu instid0(SALU_CYCLE_1)
	s_or_b32 exec_lo, exec_lo, s28
.LBB175_65:                             ;   in Loop: Header=BB175_9 Depth=1
	s_delay_alu instid0(SALU_CYCLE_1)
	s_or_b32 exec_lo, exec_lo, s27
	global_load_u8 v55, v[36:37], off offset:140
	s_mov_b32 s27, exec_lo
	s_wait_loadcnt 0x0
	v_cmpx_ne_u16_e32 0, v55
	s_cbranch_execz .LBB175_73
; %bb.66:                               ;   in Loop: Header=BB175_9 Depth=1
	v_bfrev_b32_e32 v53, 1
	s_mov_b32 s28, exec_lo
	v_cmpx_ne_u16_e32 0x80, v55
	s_cbranch_execz .LBB175_72
; %bb.67:                               ;   in Loop: Header=BB175_9 Depth=1
	v_and_b32_e32 v30, 0xffff, v55
	v_mov_b32_e32 v53, 0x7f800001
	s_mov_b32 s29, exec_lo
	s_delay_alu instid0(VALU_DEP_2) | instskip(NEXT) | instid1(VALU_DEP_1)
	v_and_b32_e32 v56, 0x7f, v30
	v_cmpx_ne_u32_e32 0x7f, v56
	s_cbranch_execz .LBB175_71
; %bb.68:                               ;   in Loop: Header=BB175_9 Depth=1
	v_dual_lshrrev_b32 v53, 3, v56 :: v_dual_bitop2_b32 v30, 7, v30 bitop3:0x40
	s_mov_b32 s30, exec_lo
	v_cmpx_gt_u32_e32 8, v56
; %bb.69:                               ;   in Loop: Header=BB175_9 Depth=1
	s_delay_alu instid0(VALU_DEP_2) | instskip(NEXT) | instid1(VALU_DEP_1)
	v_clz_i32_u32_e32 v53, v30
	v_min_u32_e32 v53, 32, v53
	s_delay_alu instid0(VALU_DEP_1) | instskip(NEXT) | instid1(VALU_DEP_1)
	v_subrev_nc_u32_e32 v56, 28, v53
	v_lshlrev_b64_e32 v[56:57], v56, v[30:31]
	s_delay_alu instid0(VALU_DEP_1)
	v_dual_sub_nc_u32 v53, 29, v53 :: v_dual_bitop2_b32 v30, 7, v56 bitop3:0x40
; %bb.70:                               ;   in Loop: Header=BB175_9 Depth=1
	s_or_b32 exec_lo, exec_lo, s30
	s_delay_alu instid0(VALU_DEP_1) | instskip(NEXT) | instid1(VALU_DEP_2)
	v_dual_lshlrev_b32 v55, 24, v55 :: v_dual_lshlrev_b32 v30, 20, v30
	v_lshl_add_u32 v53, v53, 23, 0x3c000000
	s_delay_alu instid0(VALU_DEP_2) | instskip(NEXT) | instid1(VALU_DEP_1)
	v_and_b32_e32 v55, 0x80000000, v55
	v_or3_b32 v53, v30, v55, v53
.LBB175_71:                             ;   in Loop: Header=BB175_9 Depth=1
	s_or_b32 exec_lo, exec_lo, s29
.LBB175_72:                             ;   in Loop: Header=BB175_9 Depth=1
	s_delay_alu instid0(SALU_CYCLE_1)
	s_or_b32 exec_lo, exec_lo, s28
.LBB175_73:                             ;   in Loop: Header=BB175_9 Depth=1
	s_delay_alu instid0(SALU_CYCLE_1)
	s_or_b32 exec_lo, exec_lo, s27
	global_load_u8 v57, v[36:37], off offset:256
	v_dual_mov_b32 v55, 0 :: v_dual_mov_b32 v56, 0
	s_mov_b32 s27, exec_lo
	s_wait_loadcnt 0x0
	v_cmpx_ne_u16_e32 0, v57
	s_cbranch_execz .LBB175_81
; %bb.74:                               ;   in Loop: Header=BB175_9 Depth=1
	v_bfrev_b32_e32 v56, 1
	s_mov_b32 s28, exec_lo
	v_cmpx_ne_u16_e32 0x80, v57
	s_cbranch_execz .LBB175_80
; %bb.75:                               ;   in Loop: Header=BB175_9 Depth=1
	v_and_b32_e32 v30, 0xffff, v57
	v_mov_b32_e32 v56, 0x7f800001
	s_mov_b32 s29, exec_lo
	s_delay_alu instid0(VALU_DEP_2) | instskip(NEXT) | instid1(VALU_DEP_1)
	v_and_b32_e32 v58, 0x7f, v30
	v_cmpx_ne_u32_e32 0x7f, v58
	s_cbranch_execz .LBB175_79
; %bb.76:                               ;   in Loop: Header=BB175_9 Depth=1
	v_and_b32_e32 v30, 7, v30
	v_lshrrev_b32_e32 v56, 3, v58
	s_mov_b32 s30, exec_lo
	v_cmpx_gt_u32_e32 8, v58
; %bb.77:                               ;   in Loop: Header=BB175_9 Depth=1
	s_delay_alu instid0(VALU_DEP_3) | instskip(NEXT) | instid1(VALU_DEP_1)
	v_clz_i32_u32_e32 v56, v30
	v_min_u32_e32 v56, 32, v56
	s_delay_alu instid0(VALU_DEP_1) | instskip(NEXT) | instid1(VALU_DEP_1)
	v_subrev_nc_u32_e32 v58, 28, v56
	v_lshlrev_b64_e32 v[58:59], v58, v[30:31]
	s_delay_alu instid0(VALU_DEP_1)
	v_dual_sub_nc_u32 v56, 29, v56 :: v_dual_bitop2_b32 v30, 7, v58 bitop3:0x40
; %bb.78:                               ;   in Loop: Header=BB175_9 Depth=1
	s_or_b32 exec_lo, exec_lo, s30
	s_delay_alu instid0(VALU_DEP_1) | instskip(NEXT) | instid1(VALU_DEP_2)
	v_dual_lshlrev_b32 v57, 24, v57 :: v_dual_lshlrev_b32 v30, 20, v30
	v_lshl_add_u32 v56, v56, 23, 0x3c000000
	s_delay_alu instid0(VALU_DEP_2) | instskip(NEXT) | instid1(VALU_DEP_1)
	v_and_b32_e32 v57, 0x80000000, v57
	v_or3_b32 v56, v30, v57, v56
.LBB175_79:                             ;   in Loop: Header=BB175_9 Depth=1
	s_or_b32 exec_lo, exec_lo, s29
.LBB175_80:                             ;   in Loop: Header=BB175_9 Depth=1
	s_delay_alu instid0(SALU_CYCLE_1)
	s_or_b32 exec_lo, exec_lo, s28
.LBB175_81:                             ;   in Loop: Header=BB175_9 Depth=1
	s_delay_alu instid0(SALU_CYCLE_1)
	s_or_b32 exec_lo, exec_lo, s27
	global_load_u8 v57, v[36:37], off offset:260
	s_mov_b32 s27, exec_lo
	s_wait_loadcnt 0x0
	v_cmpx_ne_u16_e32 0, v57
	s_cbranch_execz .LBB175_89
; %bb.82:                               ;   in Loop: Header=BB175_9 Depth=1
	v_bfrev_b32_e32 v55, 1
	s_mov_b32 s28, exec_lo
	v_cmpx_ne_u16_e32 0x80, v57
	s_cbranch_execz .LBB175_88
; %bb.83:                               ;   in Loop: Header=BB175_9 Depth=1
	v_and_b32_e32 v30, 0xffff, v57
	v_mov_b32_e32 v55, 0x7f800001
	s_mov_b32 s29, exec_lo
	s_delay_alu instid0(VALU_DEP_2) | instskip(NEXT) | instid1(VALU_DEP_1)
	v_and_b32_e32 v58, 0x7f, v30
	v_cmpx_ne_u32_e32 0x7f, v58
	s_cbranch_execz .LBB175_87
; %bb.84:                               ;   in Loop: Header=BB175_9 Depth=1
	v_and_b32_e32 v30, 7, v30
	v_lshrrev_b32_e32 v55, 3, v58
	s_mov_b32 s30, exec_lo
	v_cmpx_gt_u32_e32 8, v58
; %bb.85:                               ;   in Loop: Header=BB175_9 Depth=1
	s_delay_alu instid0(VALU_DEP_3) | instskip(NEXT) | instid1(VALU_DEP_1)
	v_clz_i32_u32_e32 v55, v30
	v_min_u32_e32 v55, 32, v55
	s_delay_alu instid0(VALU_DEP_1) | instskip(NEXT) | instid1(VALU_DEP_1)
	v_subrev_nc_u32_e32 v58, 28, v55
	v_lshlrev_b64_e32 v[58:59], v58, v[30:31]
	s_delay_alu instid0(VALU_DEP_1)
	v_dual_sub_nc_u32 v55, 29, v55 :: v_dual_bitop2_b32 v30, 7, v58 bitop3:0x40
; %bb.86:                               ;   in Loop: Header=BB175_9 Depth=1
	s_or_b32 exec_lo, exec_lo, s30
	s_delay_alu instid0(VALU_DEP_1) | instskip(NEXT) | instid1(VALU_DEP_2)
	v_dual_lshlrev_b32 v57, 24, v57 :: v_dual_lshlrev_b32 v30, 20, v30
	v_lshl_add_u32 v55, v55, 23, 0x3c000000
	s_delay_alu instid0(VALU_DEP_2) | instskip(NEXT) | instid1(VALU_DEP_1)
	v_and_b32_e32 v57, 0x80000000, v57
	v_or3_b32 v55, v30, v57, v55
.LBB175_87:                             ;   in Loop: Header=BB175_9 Depth=1
	s_or_b32 exec_lo, exec_lo, s29
.LBB175_88:                             ;   in Loop: Header=BB175_9 Depth=1
	s_delay_alu instid0(SALU_CYCLE_1)
	s_or_b32 exec_lo, exec_lo, s28
.LBB175_89:                             ;   in Loop: Header=BB175_9 Depth=1
	s_delay_alu instid0(SALU_CYCLE_1)
	s_or_b32 exec_lo, exec_lo, s27
	global_load_u8 v59, v[36:37], off offset:264
	v_dual_mov_b32 v57, 0 :: v_dual_mov_b32 v58, 0
	s_mov_b32 s27, exec_lo
	s_wait_loadcnt 0x0
	v_cmpx_ne_u16_e32 0, v59
	s_cbranch_execz .LBB175_97
; %bb.90:                               ;   in Loop: Header=BB175_9 Depth=1
	v_bfrev_b32_e32 v58, 1
	s_mov_b32 s28, exec_lo
	v_cmpx_ne_u16_e32 0x80, v59
	s_cbranch_execz .LBB175_96
; %bb.91:                               ;   in Loop: Header=BB175_9 Depth=1
	v_and_b32_e32 v30, 0xffff, v59
	v_mov_b32_e32 v58, 0x7f800001
	s_mov_b32 s29, exec_lo
	s_delay_alu instid0(VALU_DEP_2) | instskip(NEXT) | instid1(VALU_DEP_1)
	v_and_b32_e32 v60, 0x7f, v30
	v_cmpx_ne_u32_e32 0x7f, v60
	s_cbranch_execz .LBB175_95
; %bb.92:                               ;   in Loop: Header=BB175_9 Depth=1
	v_dual_lshrrev_b32 v58, 3, v60 :: v_dual_bitop2_b32 v30, 7, v30 bitop3:0x40
	s_mov_b32 s30, exec_lo
	v_cmpx_gt_u32_e32 8, v60
; %bb.93:                               ;   in Loop: Header=BB175_9 Depth=1
	s_delay_alu instid0(VALU_DEP_2) | instskip(NEXT) | instid1(VALU_DEP_1)
	v_clz_i32_u32_e32 v58, v30
	v_min_u32_e32 v58, 32, v58
	s_delay_alu instid0(VALU_DEP_1) | instskip(NEXT) | instid1(VALU_DEP_1)
	v_subrev_nc_u32_e32 v60, 28, v58
	v_lshlrev_b64_e32 v[60:61], v60, v[30:31]
	s_delay_alu instid0(VALU_DEP_1)
	v_dual_sub_nc_u32 v58, 29, v58 :: v_dual_bitop2_b32 v30, 7, v60 bitop3:0x40
; %bb.94:                               ;   in Loop: Header=BB175_9 Depth=1
	s_or_b32 exec_lo, exec_lo, s30
	s_delay_alu instid0(VALU_DEP_1) | instskip(NEXT) | instid1(VALU_DEP_2)
	v_dual_lshlrev_b32 v59, 24, v59 :: v_dual_lshlrev_b32 v30, 20, v30
	v_lshl_add_u32 v58, v58, 23, 0x3c000000
	s_delay_alu instid0(VALU_DEP_2) | instskip(NEXT) | instid1(VALU_DEP_1)
	v_and_b32_e32 v59, 0x80000000, v59
	v_or3_b32 v58, v30, v59, v58
.LBB175_95:                             ;   in Loop: Header=BB175_9 Depth=1
	s_or_b32 exec_lo, exec_lo, s29
.LBB175_96:                             ;   in Loop: Header=BB175_9 Depth=1
	s_delay_alu instid0(SALU_CYCLE_1)
	s_or_b32 exec_lo, exec_lo, s28
.LBB175_97:                             ;   in Loop: Header=BB175_9 Depth=1
	s_delay_alu instid0(SALU_CYCLE_1)
	s_or_b32 exec_lo, exec_lo, s27
	global_load_u8 v59, v[36:37], off offset:268
	s_mov_b32 s27, exec_lo
	s_wait_loadcnt 0x0
	v_cmpx_ne_u16_e32 0, v59
	s_cbranch_execz .LBB175_105
; %bb.98:                               ;   in Loop: Header=BB175_9 Depth=1
	v_bfrev_b32_e32 v57, 1
	s_mov_b32 s28, exec_lo
	v_cmpx_ne_u16_e32 0x80, v59
	s_cbranch_execz .LBB175_104
; %bb.99:                               ;   in Loop: Header=BB175_9 Depth=1
	v_and_b32_e32 v30, 0xffff, v59
	v_mov_b32_e32 v57, 0x7f800001
	s_mov_b32 s29, exec_lo
	s_delay_alu instid0(VALU_DEP_2) | instskip(NEXT) | instid1(VALU_DEP_1)
	v_and_b32_e32 v60, 0x7f, v30
	v_cmpx_ne_u32_e32 0x7f, v60
	s_cbranch_execz .LBB175_103
; %bb.100:                              ;   in Loop: Header=BB175_9 Depth=1
	v_dual_lshrrev_b32 v57, 3, v60 :: v_dual_bitop2_b32 v30, 7, v30 bitop3:0x40
	s_mov_b32 s30, exec_lo
	v_cmpx_gt_u32_e32 8, v60
; %bb.101:                              ;   in Loop: Header=BB175_9 Depth=1
	s_delay_alu instid0(VALU_DEP_2) | instskip(NEXT) | instid1(VALU_DEP_1)
	v_clz_i32_u32_e32 v57, v30
	v_min_u32_e32 v57, 32, v57
	s_delay_alu instid0(VALU_DEP_1) | instskip(NEXT) | instid1(VALU_DEP_1)
	v_subrev_nc_u32_e32 v60, 28, v57
	v_lshlrev_b64_e32 v[60:61], v60, v[30:31]
	s_delay_alu instid0(VALU_DEP_1)
	v_dual_sub_nc_u32 v57, 29, v57 :: v_dual_bitop2_b32 v30, 7, v60 bitop3:0x40
; %bb.102:                              ;   in Loop: Header=BB175_9 Depth=1
	s_or_b32 exec_lo, exec_lo, s30
	s_delay_alu instid0(VALU_DEP_1) | instskip(NEXT) | instid1(VALU_DEP_2)
	v_dual_lshlrev_b32 v59, 24, v59 :: v_dual_lshlrev_b32 v30, 20, v30
	v_lshl_add_u32 v57, v57, 23, 0x3c000000
	s_delay_alu instid0(VALU_DEP_2) | instskip(NEXT) | instid1(VALU_DEP_1)
	v_and_b32_e32 v59, 0x80000000, v59
	v_or3_b32 v57, v30, v59, v57
.LBB175_103:                            ;   in Loop: Header=BB175_9 Depth=1
	s_or_b32 exec_lo, exec_lo, s29
.LBB175_104:                            ;   in Loop: Header=BB175_9 Depth=1
	s_delay_alu instid0(SALU_CYCLE_1)
	s_or_b32 exec_lo, exec_lo, s28
.LBB175_105:                            ;   in Loop: Header=BB175_9 Depth=1
	s_delay_alu instid0(SALU_CYCLE_1)
	s_or_b32 exec_lo, exec_lo, s27
	global_load_u8 v61, v[36:37], off offset:384
	v_dual_mov_b32 v59, 0 :: v_dual_mov_b32 v60, 0
	s_mov_b32 s27, exec_lo
	s_wait_loadcnt 0x0
	v_cmpx_ne_u16_e32 0, v61
	s_cbranch_execz .LBB175_113
; %bb.106:                              ;   in Loop: Header=BB175_9 Depth=1
	v_bfrev_b32_e32 v60, 1
	s_mov_b32 s28, exec_lo
	v_cmpx_ne_u16_e32 0x80, v61
	s_cbranch_execz .LBB175_112
; %bb.107:                              ;   in Loop: Header=BB175_9 Depth=1
	v_and_b32_e32 v30, 0xffff, v61
	v_mov_b32_e32 v60, 0x7f800001
	s_mov_b32 s29, exec_lo
	s_delay_alu instid0(VALU_DEP_2) | instskip(NEXT) | instid1(VALU_DEP_1)
	v_and_b32_e32 v62, 0x7f, v30
	v_cmpx_ne_u32_e32 0x7f, v62
	s_cbranch_execz .LBB175_111
; %bb.108:                              ;   in Loop: Header=BB175_9 Depth=1
	v_and_b32_e32 v30, 7, v30
	v_lshrrev_b32_e32 v60, 3, v62
	s_mov_b32 s30, exec_lo
	v_cmpx_gt_u32_e32 8, v62
; %bb.109:                              ;   in Loop: Header=BB175_9 Depth=1
	s_delay_alu instid0(VALU_DEP_3) | instskip(NEXT) | instid1(VALU_DEP_1)
	v_clz_i32_u32_e32 v60, v30
	v_min_u32_e32 v60, 32, v60
	s_delay_alu instid0(VALU_DEP_1) | instskip(NEXT) | instid1(VALU_DEP_1)
	v_subrev_nc_u32_e32 v62, 28, v60
	v_lshlrev_b64_e32 v[62:63], v62, v[30:31]
	s_delay_alu instid0(VALU_DEP_1)
	v_dual_sub_nc_u32 v60, 29, v60 :: v_dual_bitop2_b32 v30, 7, v62 bitop3:0x40
; %bb.110:                              ;   in Loop: Header=BB175_9 Depth=1
	s_or_b32 exec_lo, exec_lo, s30
	s_delay_alu instid0(VALU_DEP_1) | instskip(NEXT) | instid1(VALU_DEP_2)
	v_dual_lshlrev_b32 v61, 24, v61 :: v_dual_lshlrev_b32 v30, 20, v30
	v_lshl_add_u32 v60, v60, 23, 0x3c000000
	s_delay_alu instid0(VALU_DEP_2) | instskip(NEXT) | instid1(VALU_DEP_1)
	v_and_b32_e32 v61, 0x80000000, v61
	v_or3_b32 v60, v30, v61, v60
.LBB175_111:                            ;   in Loop: Header=BB175_9 Depth=1
	s_or_b32 exec_lo, exec_lo, s29
.LBB175_112:                            ;   in Loop: Header=BB175_9 Depth=1
	s_delay_alu instid0(SALU_CYCLE_1)
	s_or_b32 exec_lo, exec_lo, s28
.LBB175_113:                            ;   in Loop: Header=BB175_9 Depth=1
	s_delay_alu instid0(SALU_CYCLE_1)
	s_or_b32 exec_lo, exec_lo, s27
	global_load_u8 v61, v[36:37], off offset:388
	s_mov_b32 s27, exec_lo
	s_wait_loadcnt 0x0
	v_cmpx_ne_u16_e32 0, v61
	s_cbranch_execz .LBB175_121
; %bb.114:                              ;   in Loop: Header=BB175_9 Depth=1
	v_bfrev_b32_e32 v59, 1
	s_mov_b32 s28, exec_lo
	v_cmpx_ne_u16_e32 0x80, v61
	s_cbranch_execz .LBB175_120
; %bb.115:                              ;   in Loop: Header=BB175_9 Depth=1
	v_and_b32_e32 v30, 0xffff, v61
	v_mov_b32_e32 v59, 0x7f800001
	s_mov_b32 s29, exec_lo
	s_delay_alu instid0(VALU_DEP_2) | instskip(NEXT) | instid1(VALU_DEP_1)
	v_and_b32_e32 v62, 0x7f, v30
	v_cmpx_ne_u32_e32 0x7f, v62
	s_cbranch_execz .LBB175_119
; %bb.116:                              ;   in Loop: Header=BB175_9 Depth=1
	v_and_b32_e32 v30, 7, v30
	v_lshrrev_b32_e32 v59, 3, v62
	s_mov_b32 s30, exec_lo
	v_cmpx_gt_u32_e32 8, v62
; %bb.117:                              ;   in Loop: Header=BB175_9 Depth=1
	s_delay_alu instid0(VALU_DEP_3) | instskip(NEXT) | instid1(VALU_DEP_1)
	v_clz_i32_u32_e32 v59, v30
	v_min_u32_e32 v59, 32, v59
	s_delay_alu instid0(VALU_DEP_1) | instskip(NEXT) | instid1(VALU_DEP_1)
	v_subrev_nc_u32_e32 v62, 28, v59
	v_lshlrev_b64_e32 v[62:63], v62, v[30:31]
	s_delay_alu instid0(VALU_DEP_1)
	v_dual_sub_nc_u32 v59, 29, v59 :: v_dual_bitop2_b32 v30, 7, v62 bitop3:0x40
; %bb.118:                              ;   in Loop: Header=BB175_9 Depth=1
	s_or_b32 exec_lo, exec_lo, s30
	s_delay_alu instid0(VALU_DEP_1) | instskip(NEXT) | instid1(VALU_DEP_2)
	v_dual_lshlrev_b32 v61, 24, v61 :: v_dual_lshlrev_b32 v30, 20, v30
	v_lshl_add_u32 v59, v59, 23, 0x3c000000
	s_delay_alu instid0(VALU_DEP_2) | instskip(NEXT) | instid1(VALU_DEP_1)
	v_and_b32_e32 v61, 0x80000000, v61
	v_or3_b32 v59, v30, v61, v59
.LBB175_119:                            ;   in Loop: Header=BB175_9 Depth=1
	s_or_b32 exec_lo, exec_lo, s29
.LBB175_120:                            ;   in Loop: Header=BB175_9 Depth=1
	s_delay_alu instid0(SALU_CYCLE_1)
	s_or_b32 exec_lo, exec_lo, s28
.LBB175_121:                            ;   in Loop: Header=BB175_9 Depth=1
	s_delay_alu instid0(SALU_CYCLE_1)
	s_or_b32 exec_lo, exec_lo, s27
	global_load_u8 v63, v[36:37], off offset:392
	v_dual_mov_b32 v61, 0 :: v_dual_mov_b32 v62, 0
	s_mov_b32 s27, exec_lo
	s_wait_loadcnt 0x0
	v_cmpx_ne_u16_e32 0, v63
	s_cbranch_execz .LBB175_129
; %bb.122:                              ;   in Loop: Header=BB175_9 Depth=1
	v_bfrev_b32_e32 v62, 1
	s_mov_b32 s28, exec_lo
	v_cmpx_ne_u16_e32 0x80, v63
	s_cbranch_execz .LBB175_128
; %bb.123:                              ;   in Loop: Header=BB175_9 Depth=1
	v_and_b32_e32 v30, 0xffff, v63
	v_mov_b32_e32 v62, 0x7f800001
	s_mov_b32 s29, exec_lo
	s_delay_alu instid0(VALU_DEP_2) | instskip(NEXT) | instid1(VALU_DEP_1)
	v_and_b32_e32 v64, 0x7f, v30
	v_cmpx_ne_u32_e32 0x7f, v64
	s_cbranch_execz .LBB175_127
; %bb.124:                              ;   in Loop: Header=BB175_9 Depth=1
	v_dual_lshrrev_b32 v62, 3, v64 :: v_dual_bitop2_b32 v30, 7, v30 bitop3:0x40
	s_mov_b32 s30, exec_lo
	v_cmpx_gt_u32_e32 8, v64
; %bb.125:                              ;   in Loop: Header=BB175_9 Depth=1
	s_delay_alu instid0(VALU_DEP_2) | instskip(NEXT) | instid1(VALU_DEP_1)
	v_clz_i32_u32_e32 v62, v30
	v_min_u32_e32 v62, 32, v62
	s_delay_alu instid0(VALU_DEP_1) | instskip(NEXT) | instid1(VALU_DEP_1)
	v_subrev_nc_u32_e32 v64, 28, v62
	v_lshlrev_b64_e32 v[64:65], v64, v[30:31]
	s_delay_alu instid0(VALU_DEP_1)
	v_dual_sub_nc_u32 v62, 29, v62 :: v_dual_bitop2_b32 v30, 7, v64 bitop3:0x40
; %bb.126:                              ;   in Loop: Header=BB175_9 Depth=1
	s_or_b32 exec_lo, exec_lo, s30
	s_delay_alu instid0(VALU_DEP_1) | instskip(NEXT) | instid1(VALU_DEP_2)
	v_dual_lshlrev_b32 v63, 24, v63 :: v_dual_lshlrev_b32 v30, 20, v30
	v_lshl_add_u32 v62, v62, 23, 0x3c000000
	s_delay_alu instid0(VALU_DEP_2) | instskip(NEXT) | instid1(VALU_DEP_1)
	v_and_b32_e32 v63, 0x80000000, v63
	v_or3_b32 v62, v30, v63, v62
.LBB175_127:                            ;   in Loop: Header=BB175_9 Depth=1
	s_or_b32 exec_lo, exec_lo, s29
.LBB175_128:                            ;   in Loop: Header=BB175_9 Depth=1
	s_delay_alu instid0(SALU_CYCLE_1)
	s_or_b32 exec_lo, exec_lo, s28
.LBB175_129:                            ;   in Loop: Header=BB175_9 Depth=1
	s_delay_alu instid0(SALU_CYCLE_1)
	s_or_b32 exec_lo, exec_lo, s27
	global_load_u8 v63, v[36:37], off offset:396
	s_mov_b32 s27, exec_lo
	s_wait_loadcnt 0x0
	v_cmpx_ne_u16_e32 0, v63
	s_cbranch_execz .LBB175_137
; %bb.130:                              ;   in Loop: Header=BB175_9 Depth=1
	v_bfrev_b32_e32 v61, 1
	s_mov_b32 s28, exec_lo
	v_cmpx_ne_u16_e32 0x80, v63
	s_cbranch_execz .LBB175_136
; %bb.131:                              ;   in Loop: Header=BB175_9 Depth=1
	v_and_b32_e32 v30, 0xffff, v63
	v_mov_b32_e32 v61, 0x7f800001
	s_mov_b32 s29, exec_lo
	s_delay_alu instid0(VALU_DEP_2) | instskip(NEXT) | instid1(VALU_DEP_1)
	v_and_b32_e32 v64, 0x7f, v30
	v_cmpx_ne_u32_e32 0x7f, v64
	s_cbranch_execz .LBB175_135
; %bb.132:                              ;   in Loop: Header=BB175_9 Depth=1
	v_dual_lshrrev_b32 v61, 3, v64 :: v_dual_bitop2_b32 v30, 7, v30 bitop3:0x40
	s_mov_b32 s30, exec_lo
	v_cmpx_gt_u32_e32 8, v64
; %bb.133:                              ;   in Loop: Header=BB175_9 Depth=1
	s_delay_alu instid0(VALU_DEP_2) | instskip(NEXT) | instid1(VALU_DEP_1)
	v_clz_i32_u32_e32 v61, v30
	v_min_u32_e32 v61, 32, v61
	s_delay_alu instid0(VALU_DEP_1) | instskip(NEXT) | instid1(VALU_DEP_1)
	v_subrev_nc_u32_e32 v64, 28, v61
	v_lshlrev_b64_e32 v[64:65], v64, v[30:31]
	s_delay_alu instid0(VALU_DEP_1)
	v_dual_sub_nc_u32 v61, 29, v61 :: v_dual_bitop2_b32 v30, 7, v64 bitop3:0x40
; %bb.134:                              ;   in Loop: Header=BB175_9 Depth=1
	s_or_b32 exec_lo, exec_lo, s30
	s_delay_alu instid0(VALU_DEP_1) | instskip(NEXT) | instid1(VALU_DEP_2)
	v_dual_lshlrev_b32 v63, 24, v63 :: v_dual_lshlrev_b32 v30, 20, v30
	v_lshl_add_u32 v61, v61, 23, 0x3c000000
	s_delay_alu instid0(VALU_DEP_2) | instskip(NEXT) | instid1(VALU_DEP_1)
	v_and_b32_e32 v63, 0x80000000, v63
	v_or3_b32 v61, v30, v63, v61
.LBB175_135:                            ;   in Loop: Header=BB175_9 Depth=1
	s_or_b32 exec_lo, exec_lo, s29
.LBB175_136:                            ;   in Loop: Header=BB175_9 Depth=1
	s_delay_alu instid0(SALU_CYCLE_1)
	s_or_b32 exec_lo, exec_lo, s28
.LBB175_137:                            ;   in Loop: Header=BB175_9 Depth=1
	s_delay_alu instid0(SALU_CYCLE_1)
	s_or_b32 exec_lo, exec_lo, s27
	global_load_u8 v65, v[36:37], off offset:512
	v_dual_mov_b32 v63, 0 :: v_dual_mov_b32 v64, 0
	s_mov_b32 s27, exec_lo
	s_wait_loadcnt 0x0
	v_cmpx_ne_u16_e32 0, v65
	s_cbranch_execz .LBB175_145
; %bb.138:                              ;   in Loop: Header=BB175_9 Depth=1
	v_bfrev_b32_e32 v64, 1
	s_mov_b32 s28, exec_lo
	v_cmpx_ne_u16_e32 0x80, v65
	s_cbranch_execz .LBB175_144
; %bb.139:                              ;   in Loop: Header=BB175_9 Depth=1
	v_and_b32_e32 v30, 0xffff, v65
	v_mov_b32_e32 v64, 0x7f800001
	s_mov_b32 s29, exec_lo
	s_delay_alu instid0(VALU_DEP_2) | instskip(NEXT) | instid1(VALU_DEP_1)
	v_and_b32_e32 v66, 0x7f, v30
	v_cmpx_ne_u32_e32 0x7f, v66
	s_cbranch_execz .LBB175_143
; %bb.140:                              ;   in Loop: Header=BB175_9 Depth=1
	v_and_b32_e32 v30, 7, v30
	v_lshrrev_b32_e32 v64, 3, v66
	s_mov_b32 s30, exec_lo
	v_cmpx_gt_u32_e32 8, v66
; %bb.141:                              ;   in Loop: Header=BB175_9 Depth=1
	s_delay_alu instid0(VALU_DEP_3) | instskip(NEXT) | instid1(VALU_DEP_1)
	v_clz_i32_u32_e32 v64, v30
	v_min_u32_e32 v64, 32, v64
	s_delay_alu instid0(VALU_DEP_1) | instskip(NEXT) | instid1(VALU_DEP_1)
	v_subrev_nc_u32_e32 v66, 28, v64
	v_lshlrev_b64_e32 v[66:67], v66, v[30:31]
	s_delay_alu instid0(VALU_DEP_1)
	v_dual_sub_nc_u32 v64, 29, v64 :: v_dual_bitop2_b32 v30, 7, v66 bitop3:0x40
; %bb.142:                              ;   in Loop: Header=BB175_9 Depth=1
	s_or_b32 exec_lo, exec_lo, s30
	s_delay_alu instid0(VALU_DEP_1) | instskip(NEXT) | instid1(VALU_DEP_2)
	v_dual_lshlrev_b32 v65, 24, v65 :: v_dual_lshlrev_b32 v30, 20, v30
	v_lshl_add_u32 v64, v64, 23, 0x3c000000
	s_delay_alu instid0(VALU_DEP_2) | instskip(NEXT) | instid1(VALU_DEP_1)
	v_and_b32_e32 v65, 0x80000000, v65
	v_or3_b32 v64, v30, v65, v64
.LBB175_143:                            ;   in Loop: Header=BB175_9 Depth=1
	s_or_b32 exec_lo, exec_lo, s29
.LBB175_144:                            ;   in Loop: Header=BB175_9 Depth=1
	s_delay_alu instid0(SALU_CYCLE_1)
	s_or_b32 exec_lo, exec_lo, s28
.LBB175_145:                            ;   in Loop: Header=BB175_9 Depth=1
	s_delay_alu instid0(SALU_CYCLE_1)
	s_or_b32 exec_lo, exec_lo, s27
	global_load_u8 v65, v[36:37], off offset:516
	s_mov_b32 s27, exec_lo
	s_wait_loadcnt 0x0
	v_cmpx_ne_u16_e32 0, v65
	s_cbranch_execz .LBB175_153
; %bb.146:                              ;   in Loop: Header=BB175_9 Depth=1
	v_bfrev_b32_e32 v63, 1
	s_mov_b32 s28, exec_lo
	v_cmpx_ne_u16_e32 0x80, v65
	s_cbranch_execz .LBB175_152
; %bb.147:                              ;   in Loop: Header=BB175_9 Depth=1
	v_and_b32_e32 v30, 0xffff, v65
	v_mov_b32_e32 v63, 0x7f800001
	s_mov_b32 s29, exec_lo
	s_delay_alu instid0(VALU_DEP_2) | instskip(NEXT) | instid1(VALU_DEP_1)
	v_and_b32_e32 v66, 0x7f, v30
	v_cmpx_ne_u32_e32 0x7f, v66
	s_cbranch_execz .LBB175_151
; %bb.148:                              ;   in Loop: Header=BB175_9 Depth=1
	v_and_b32_e32 v30, 7, v30
	v_lshrrev_b32_e32 v63, 3, v66
	s_mov_b32 s30, exec_lo
	v_cmpx_gt_u32_e32 8, v66
; %bb.149:                              ;   in Loop: Header=BB175_9 Depth=1
	s_delay_alu instid0(VALU_DEP_3) | instskip(NEXT) | instid1(VALU_DEP_1)
	v_clz_i32_u32_e32 v63, v30
	v_min_u32_e32 v63, 32, v63
	s_delay_alu instid0(VALU_DEP_1) | instskip(NEXT) | instid1(VALU_DEP_1)
	v_subrev_nc_u32_e32 v66, 28, v63
	v_lshlrev_b64_e32 v[66:67], v66, v[30:31]
	s_delay_alu instid0(VALU_DEP_1)
	v_dual_sub_nc_u32 v63, 29, v63 :: v_dual_bitop2_b32 v30, 7, v66 bitop3:0x40
; %bb.150:                              ;   in Loop: Header=BB175_9 Depth=1
	s_or_b32 exec_lo, exec_lo, s30
	s_delay_alu instid0(VALU_DEP_1) | instskip(NEXT) | instid1(VALU_DEP_2)
	v_dual_lshlrev_b32 v65, 24, v65 :: v_dual_lshlrev_b32 v30, 20, v30
	v_lshl_add_u32 v63, v63, 23, 0x3c000000
	s_delay_alu instid0(VALU_DEP_2) | instskip(NEXT) | instid1(VALU_DEP_1)
	v_and_b32_e32 v65, 0x80000000, v65
	v_or3_b32 v63, v30, v65, v63
.LBB175_151:                            ;   in Loop: Header=BB175_9 Depth=1
	s_or_b32 exec_lo, exec_lo, s29
.LBB175_152:                            ;   in Loop: Header=BB175_9 Depth=1
	s_delay_alu instid0(SALU_CYCLE_1)
	s_or_b32 exec_lo, exec_lo, s28
.LBB175_153:                            ;   in Loop: Header=BB175_9 Depth=1
	s_delay_alu instid0(SALU_CYCLE_1)
	s_or_b32 exec_lo, exec_lo, s27
	global_load_u8 v67, v[36:37], off offset:520
	v_dual_mov_b32 v65, 0 :: v_dual_mov_b32 v66, 0
	s_mov_b32 s27, exec_lo
	s_wait_loadcnt 0x0
	v_cmpx_ne_u16_e32 0, v67
	s_cbranch_execz .LBB175_161
; %bb.154:                              ;   in Loop: Header=BB175_9 Depth=1
	v_bfrev_b32_e32 v66, 1
	s_mov_b32 s28, exec_lo
	v_cmpx_ne_u16_e32 0x80, v67
	s_cbranch_execz .LBB175_160
; %bb.155:                              ;   in Loop: Header=BB175_9 Depth=1
	v_and_b32_e32 v30, 0xffff, v67
	v_mov_b32_e32 v66, 0x7f800001
	s_mov_b32 s29, exec_lo
	s_delay_alu instid0(VALU_DEP_2) | instskip(NEXT) | instid1(VALU_DEP_1)
	v_and_b32_e32 v68, 0x7f, v30
	v_cmpx_ne_u32_e32 0x7f, v68
	s_cbranch_execz .LBB175_159
; %bb.156:                              ;   in Loop: Header=BB175_9 Depth=1
	v_dual_lshrrev_b32 v66, 3, v68 :: v_dual_bitop2_b32 v30, 7, v30 bitop3:0x40
	s_mov_b32 s30, exec_lo
	v_cmpx_gt_u32_e32 8, v68
; %bb.157:                              ;   in Loop: Header=BB175_9 Depth=1
	s_delay_alu instid0(VALU_DEP_2) | instskip(NEXT) | instid1(VALU_DEP_1)
	v_clz_i32_u32_e32 v66, v30
	v_min_u32_e32 v66, 32, v66
	s_delay_alu instid0(VALU_DEP_1) | instskip(NEXT) | instid1(VALU_DEP_1)
	v_subrev_nc_u32_e32 v68, 28, v66
	v_lshlrev_b64_e32 v[68:69], v68, v[30:31]
	s_delay_alu instid0(VALU_DEP_1)
	v_dual_sub_nc_u32 v66, 29, v66 :: v_dual_bitop2_b32 v30, 7, v68 bitop3:0x40
; %bb.158:                              ;   in Loop: Header=BB175_9 Depth=1
	s_or_b32 exec_lo, exec_lo, s30
	s_delay_alu instid0(VALU_DEP_1) | instskip(NEXT) | instid1(VALU_DEP_2)
	v_dual_lshlrev_b32 v67, 24, v67 :: v_dual_lshlrev_b32 v30, 20, v30
	v_lshl_add_u32 v66, v66, 23, 0x3c000000
	s_delay_alu instid0(VALU_DEP_2) | instskip(NEXT) | instid1(VALU_DEP_1)
	v_and_b32_e32 v67, 0x80000000, v67
	v_or3_b32 v66, v30, v67, v66
.LBB175_159:                            ;   in Loop: Header=BB175_9 Depth=1
	s_or_b32 exec_lo, exec_lo, s29
.LBB175_160:                            ;   in Loop: Header=BB175_9 Depth=1
	s_delay_alu instid0(SALU_CYCLE_1)
	s_or_b32 exec_lo, exec_lo, s28
.LBB175_161:                            ;   in Loop: Header=BB175_9 Depth=1
	s_delay_alu instid0(SALU_CYCLE_1)
	s_or_b32 exec_lo, exec_lo, s27
	global_load_u8 v67, v[36:37], off offset:524
	s_mov_b32 s27, exec_lo
	s_wait_loadcnt 0x0
	v_cmpx_ne_u16_e32 0, v67
	s_cbranch_execz .LBB175_169
; %bb.162:                              ;   in Loop: Header=BB175_9 Depth=1
	v_bfrev_b32_e32 v65, 1
	s_mov_b32 s28, exec_lo
	v_cmpx_ne_u16_e32 0x80, v67
	s_cbranch_execz .LBB175_168
; %bb.163:                              ;   in Loop: Header=BB175_9 Depth=1
	v_and_b32_e32 v30, 0xffff, v67
	v_mov_b32_e32 v65, 0x7f800001
	s_mov_b32 s29, exec_lo
	s_delay_alu instid0(VALU_DEP_2) | instskip(NEXT) | instid1(VALU_DEP_1)
	v_and_b32_e32 v68, 0x7f, v30
	v_cmpx_ne_u32_e32 0x7f, v68
	s_cbranch_execz .LBB175_167
; %bb.164:                              ;   in Loop: Header=BB175_9 Depth=1
	v_dual_lshrrev_b32 v65, 3, v68 :: v_dual_bitop2_b32 v30, 7, v30 bitop3:0x40
	s_mov_b32 s30, exec_lo
	v_cmpx_gt_u32_e32 8, v68
; %bb.165:                              ;   in Loop: Header=BB175_9 Depth=1
	s_delay_alu instid0(VALU_DEP_2) | instskip(NEXT) | instid1(VALU_DEP_1)
	v_clz_i32_u32_e32 v65, v30
	v_min_u32_e32 v65, 32, v65
	s_delay_alu instid0(VALU_DEP_1) | instskip(NEXT) | instid1(VALU_DEP_1)
	v_subrev_nc_u32_e32 v68, 28, v65
	v_lshlrev_b64_e32 v[68:69], v68, v[30:31]
	s_delay_alu instid0(VALU_DEP_1)
	v_dual_sub_nc_u32 v65, 29, v65 :: v_dual_bitop2_b32 v30, 7, v68 bitop3:0x40
; %bb.166:                              ;   in Loop: Header=BB175_9 Depth=1
	s_or_b32 exec_lo, exec_lo, s30
	s_delay_alu instid0(VALU_DEP_1) | instskip(NEXT) | instid1(VALU_DEP_2)
	v_dual_lshlrev_b32 v67, 24, v67 :: v_dual_lshlrev_b32 v30, 20, v30
	v_lshl_add_u32 v65, v65, 23, 0x3c000000
	s_delay_alu instid0(VALU_DEP_2) | instskip(NEXT) | instid1(VALU_DEP_1)
	v_and_b32_e32 v67, 0x80000000, v67
	v_or3_b32 v65, v30, v67, v65
.LBB175_167:                            ;   in Loop: Header=BB175_9 Depth=1
	s_or_b32 exec_lo, exec_lo, s29
.LBB175_168:                            ;   in Loop: Header=BB175_9 Depth=1
	s_delay_alu instid0(SALU_CYCLE_1)
	s_or_b32 exec_lo, exec_lo, s28
.LBB175_169:                            ;   in Loop: Header=BB175_9 Depth=1
	s_delay_alu instid0(SALU_CYCLE_1)
	s_or_b32 exec_lo, exec_lo, s27
	global_load_u8 v69, v[36:37], off offset:640
	v_dual_mov_b32 v67, 0 :: v_dual_mov_b32 v68, 0
	s_mov_b32 s27, exec_lo
	s_wait_loadcnt 0x0
	v_cmpx_ne_u16_e32 0, v69
	s_cbranch_execz .LBB175_177
; %bb.170:                              ;   in Loop: Header=BB175_9 Depth=1
	v_bfrev_b32_e32 v68, 1
	s_mov_b32 s28, exec_lo
	v_cmpx_ne_u16_e32 0x80, v69
	s_cbranch_execz .LBB175_176
; %bb.171:                              ;   in Loop: Header=BB175_9 Depth=1
	v_and_b32_e32 v30, 0xffff, v69
	v_mov_b32_e32 v68, 0x7f800001
	s_mov_b32 s29, exec_lo
	s_delay_alu instid0(VALU_DEP_2) | instskip(NEXT) | instid1(VALU_DEP_1)
	v_and_b32_e32 v70, 0x7f, v30
	v_cmpx_ne_u32_e32 0x7f, v70
	s_cbranch_execz .LBB175_175
; %bb.172:                              ;   in Loop: Header=BB175_9 Depth=1
	v_and_b32_e32 v30, 7, v30
	v_lshrrev_b32_e32 v68, 3, v70
	s_mov_b32 s30, exec_lo
	v_cmpx_gt_u32_e32 8, v70
; %bb.173:                              ;   in Loop: Header=BB175_9 Depth=1
	s_delay_alu instid0(VALU_DEP_3) | instskip(NEXT) | instid1(VALU_DEP_1)
	v_clz_i32_u32_e32 v68, v30
	v_min_u32_e32 v68, 32, v68
	s_delay_alu instid0(VALU_DEP_1) | instskip(NEXT) | instid1(VALU_DEP_1)
	v_subrev_nc_u32_e32 v70, 28, v68
	v_lshlrev_b64_e32 v[70:71], v70, v[30:31]
	s_delay_alu instid0(VALU_DEP_1)
	v_dual_sub_nc_u32 v68, 29, v68 :: v_dual_bitop2_b32 v30, 7, v70 bitop3:0x40
; %bb.174:                              ;   in Loop: Header=BB175_9 Depth=1
	s_or_b32 exec_lo, exec_lo, s30
	s_delay_alu instid0(VALU_DEP_1) | instskip(NEXT) | instid1(VALU_DEP_2)
	v_dual_lshlrev_b32 v69, 24, v69 :: v_dual_lshlrev_b32 v30, 20, v30
	v_lshl_add_u32 v68, v68, 23, 0x3c000000
	s_delay_alu instid0(VALU_DEP_2) | instskip(NEXT) | instid1(VALU_DEP_1)
	v_and_b32_e32 v69, 0x80000000, v69
	v_or3_b32 v68, v30, v69, v68
.LBB175_175:                            ;   in Loop: Header=BB175_9 Depth=1
	s_or_b32 exec_lo, exec_lo, s29
.LBB175_176:                            ;   in Loop: Header=BB175_9 Depth=1
	s_delay_alu instid0(SALU_CYCLE_1)
	s_or_b32 exec_lo, exec_lo, s28
.LBB175_177:                            ;   in Loop: Header=BB175_9 Depth=1
	s_delay_alu instid0(SALU_CYCLE_1)
	s_or_b32 exec_lo, exec_lo, s27
	global_load_u8 v69, v[36:37], off offset:644
	s_mov_b32 s27, exec_lo
	s_wait_loadcnt 0x0
	v_cmpx_ne_u16_e32 0, v69
	s_cbranch_execz .LBB175_185
; %bb.178:                              ;   in Loop: Header=BB175_9 Depth=1
	v_bfrev_b32_e32 v67, 1
	s_mov_b32 s28, exec_lo
	v_cmpx_ne_u16_e32 0x80, v69
	s_cbranch_execz .LBB175_184
; %bb.179:                              ;   in Loop: Header=BB175_9 Depth=1
	v_and_b32_e32 v30, 0xffff, v69
	v_mov_b32_e32 v67, 0x7f800001
	s_mov_b32 s29, exec_lo
	s_delay_alu instid0(VALU_DEP_2) | instskip(NEXT) | instid1(VALU_DEP_1)
	v_and_b32_e32 v70, 0x7f, v30
	v_cmpx_ne_u32_e32 0x7f, v70
	s_cbranch_execz .LBB175_183
; %bb.180:                              ;   in Loop: Header=BB175_9 Depth=1
	v_and_b32_e32 v30, 7, v30
	v_lshrrev_b32_e32 v67, 3, v70
	s_mov_b32 s30, exec_lo
	v_cmpx_gt_u32_e32 8, v70
; %bb.181:                              ;   in Loop: Header=BB175_9 Depth=1
	s_delay_alu instid0(VALU_DEP_3) | instskip(NEXT) | instid1(VALU_DEP_1)
	v_clz_i32_u32_e32 v67, v30
	v_min_u32_e32 v67, 32, v67
	s_delay_alu instid0(VALU_DEP_1) | instskip(NEXT) | instid1(VALU_DEP_1)
	v_subrev_nc_u32_e32 v70, 28, v67
	v_lshlrev_b64_e32 v[70:71], v70, v[30:31]
	s_delay_alu instid0(VALU_DEP_1)
	v_dual_sub_nc_u32 v67, 29, v67 :: v_dual_bitop2_b32 v30, 7, v70 bitop3:0x40
; %bb.182:                              ;   in Loop: Header=BB175_9 Depth=1
	s_or_b32 exec_lo, exec_lo, s30
	s_delay_alu instid0(VALU_DEP_1) | instskip(NEXT) | instid1(VALU_DEP_2)
	v_dual_lshlrev_b32 v69, 24, v69 :: v_dual_lshlrev_b32 v30, 20, v30
	v_lshl_add_u32 v67, v67, 23, 0x3c000000
	s_delay_alu instid0(VALU_DEP_2) | instskip(NEXT) | instid1(VALU_DEP_1)
	v_and_b32_e32 v69, 0x80000000, v69
	v_or3_b32 v67, v30, v69, v67
.LBB175_183:                            ;   in Loop: Header=BB175_9 Depth=1
	s_or_b32 exec_lo, exec_lo, s29
.LBB175_184:                            ;   in Loop: Header=BB175_9 Depth=1
	s_delay_alu instid0(SALU_CYCLE_1)
	s_or_b32 exec_lo, exec_lo, s28
.LBB175_185:                            ;   in Loop: Header=BB175_9 Depth=1
	s_delay_alu instid0(SALU_CYCLE_1)
	s_or_b32 exec_lo, exec_lo, s27
	global_load_u8 v71, v[36:37], off offset:648
	v_dual_mov_b32 v69, 0 :: v_dual_mov_b32 v70, 0
	s_mov_b32 s27, exec_lo
	s_wait_loadcnt 0x0
	v_cmpx_ne_u16_e32 0, v71
	s_cbranch_execz .LBB175_193
; %bb.186:                              ;   in Loop: Header=BB175_9 Depth=1
	v_bfrev_b32_e32 v70, 1
	s_mov_b32 s28, exec_lo
	v_cmpx_ne_u16_e32 0x80, v71
	s_cbranch_execz .LBB175_192
; %bb.187:                              ;   in Loop: Header=BB175_9 Depth=1
	v_and_b32_e32 v30, 0xffff, v71
	v_mov_b32_e32 v70, 0x7f800001
	s_mov_b32 s29, exec_lo
	s_delay_alu instid0(VALU_DEP_2) | instskip(NEXT) | instid1(VALU_DEP_1)
	v_and_b32_e32 v72, 0x7f, v30
	v_cmpx_ne_u32_e32 0x7f, v72
	s_cbranch_execz .LBB175_191
; %bb.188:                              ;   in Loop: Header=BB175_9 Depth=1
	v_dual_lshrrev_b32 v70, 3, v72 :: v_dual_bitop2_b32 v30, 7, v30 bitop3:0x40
	s_mov_b32 s30, exec_lo
	v_cmpx_gt_u32_e32 8, v72
; %bb.189:                              ;   in Loop: Header=BB175_9 Depth=1
	s_delay_alu instid0(VALU_DEP_2) | instskip(NEXT) | instid1(VALU_DEP_1)
	v_clz_i32_u32_e32 v70, v30
	v_min_u32_e32 v70, 32, v70
	s_delay_alu instid0(VALU_DEP_1) | instskip(NEXT) | instid1(VALU_DEP_1)
	v_subrev_nc_u32_e32 v72, 28, v70
	v_lshlrev_b64_e32 v[72:73], v72, v[30:31]
	s_delay_alu instid0(VALU_DEP_1)
	v_dual_sub_nc_u32 v70, 29, v70 :: v_dual_bitop2_b32 v30, 7, v72 bitop3:0x40
; %bb.190:                              ;   in Loop: Header=BB175_9 Depth=1
	s_or_b32 exec_lo, exec_lo, s30
	s_delay_alu instid0(VALU_DEP_1) | instskip(NEXT) | instid1(VALU_DEP_2)
	v_dual_lshlrev_b32 v71, 24, v71 :: v_dual_lshlrev_b32 v30, 20, v30
	v_lshl_add_u32 v70, v70, 23, 0x3c000000
	s_delay_alu instid0(VALU_DEP_2) | instskip(NEXT) | instid1(VALU_DEP_1)
	v_and_b32_e32 v71, 0x80000000, v71
	v_or3_b32 v70, v30, v71, v70
.LBB175_191:                            ;   in Loop: Header=BB175_9 Depth=1
	s_or_b32 exec_lo, exec_lo, s29
.LBB175_192:                            ;   in Loop: Header=BB175_9 Depth=1
	s_delay_alu instid0(SALU_CYCLE_1)
	s_or_b32 exec_lo, exec_lo, s28
.LBB175_193:                            ;   in Loop: Header=BB175_9 Depth=1
	s_delay_alu instid0(SALU_CYCLE_1)
	s_or_b32 exec_lo, exec_lo, s27
	global_load_u8 v71, v[36:37], off offset:652
	s_mov_b32 s27, exec_lo
	s_wait_loadcnt 0x0
	v_cmpx_ne_u16_e32 0, v71
	s_cbranch_execz .LBB175_201
; %bb.194:                              ;   in Loop: Header=BB175_9 Depth=1
	v_bfrev_b32_e32 v69, 1
	s_mov_b32 s28, exec_lo
	v_cmpx_ne_u16_e32 0x80, v71
	s_cbranch_execz .LBB175_200
; %bb.195:                              ;   in Loop: Header=BB175_9 Depth=1
	v_and_b32_e32 v30, 0xffff, v71
	v_mov_b32_e32 v69, 0x7f800001
	s_mov_b32 s29, exec_lo
	s_delay_alu instid0(VALU_DEP_2) | instskip(NEXT) | instid1(VALU_DEP_1)
	v_and_b32_e32 v72, 0x7f, v30
	v_cmpx_ne_u32_e32 0x7f, v72
	s_cbranch_execz .LBB175_199
; %bb.196:                              ;   in Loop: Header=BB175_9 Depth=1
	v_dual_lshrrev_b32 v69, 3, v72 :: v_dual_bitop2_b32 v30, 7, v30 bitop3:0x40
	s_mov_b32 s30, exec_lo
	v_cmpx_gt_u32_e32 8, v72
; %bb.197:                              ;   in Loop: Header=BB175_9 Depth=1
	s_delay_alu instid0(VALU_DEP_2) | instskip(NEXT) | instid1(VALU_DEP_1)
	v_clz_i32_u32_e32 v69, v30
	v_min_u32_e32 v69, 32, v69
	s_delay_alu instid0(VALU_DEP_1) | instskip(NEXT) | instid1(VALU_DEP_1)
	v_subrev_nc_u32_e32 v72, 28, v69
	v_lshlrev_b64_e32 v[72:73], v72, v[30:31]
	s_delay_alu instid0(VALU_DEP_1)
	v_dual_sub_nc_u32 v69, 29, v69 :: v_dual_bitop2_b32 v30, 7, v72 bitop3:0x40
; %bb.198:                              ;   in Loop: Header=BB175_9 Depth=1
	s_or_b32 exec_lo, exec_lo, s30
	s_delay_alu instid0(VALU_DEP_1) | instskip(NEXT) | instid1(VALU_DEP_2)
	v_dual_lshlrev_b32 v71, 24, v71 :: v_dual_lshlrev_b32 v30, 20, v30
	v_lshl_add_u32 v69, v69, 23, 0x3c000000
	s_delay_alu instid0(VALU_DEP_2) | instskip(NEXT) | instid1(VALU_DEP_1)
	v_and_b32_e32 v71, 0x80000000, v71
	v_or3_b32 v69, v30, v71, v69
.LBB175_199:                            ;   in Loop: Header=BB175_9 Depth=1
	s_or_b32 exec_lo, exec_lo, s29
.LBB175_200:                            ;   in Loop: Header=BB175_9 Depth=1
	s_delay_alu instid0(SALU_CYCLE_1)
	s_or_b32 exec_lo, exec_lo, s28
.LBB175_201:                            ;   in Loop: Header=BB175_9 Depth=1
	s_delay_alu instid0(SALU_CYCLE_1)
	s_or_b32 exec_lo, exec_lo, s27
	global_load_u8 v73, v[36:37], off offset:768
	v_dual_mov_b32 v71, 0 :: v_dual_mov_b32 v72, 0
	s_mov_b32 s27, exec_lo
	s_wait_loadcnt 0x0
	v_cmpx_ne_u16_e32 0, v73
	s_cbranch_execz .LBB175_209
; %bb.202:                              ;   in Loop: Header=BB175_9 Depth=1
	v_bfrev_b32_e32 v72, 1
	s_mov_b32 s28, exec_lo
	v_cmpx_ne_u16_e32 0x80, v73
	s_cbranch_execz .LBB175_208
; %bb.203:                              ;   in Loop: Header=BB175_9 Depth=1
	v_and_b32_e32 v30, 0xffff, v73
	v_mov_b32_e32 v72, 0x7f800001
	s_mov_b32 s29, exec_lo
	s_delay_alu instid0(VALU_DEP_2) | instskip(NEXT) | instid1(VALU_DEP_1)
	v_and_b32_e32 v74, 0x7f, v30
	v_cmpx_ne_u32_e32 0x7f, v74
	s_cbranch_execz .LBB175_207
; %bb.204:                              ;   in Loop: Header=BB175_9 Depth=1
	v_and_b32_e32 v30, 7, v30
	v_lshrrev_b32_e32 v72, 3, v74
	s_mov_b32 s30, exec_lo
	v_cmpx_gt_u32_e32 8, v74
; %bb.205:                              ;   in Loop: Header=BB175_9 Depth=1
	s_delay_alu instid0(VALU_DEP_3) | instskip(NEXT) | instid1(VALU_DEP_1)
	v_clz_i32_u32_e32 v72, v30
	v_min_u32_e32 v72, 32, v72
	s_delay_alu instid0(VALU_DEP_1) | instskip(NEXT) | instid1(VALU_DEP_1)
	v_subrev_nc_u32_e32 v74, 28, v72
	v_lshlrev_b64_e32 v[74:75], v74, v[30:31]
	s_delay_alu instid0(VALU_DEP_1)
	v_dual_sub_nc_u32 v72, 29, v72 :: v_dual_bitop2_b32 v30, 7, v74 bitop3:0x40
; %bb.206:                              ;   in Loop: Header=BB175_9 Depth=1
	s_or_b32 exec_lo, exec_lo, s30
	s_delay_alu instid0(VALU_DEP_1) | instskip(NEXT) | instid1(VALU_DEP_2)
	v_dual_lshlrev_b32 v73, 24, v73 :: v_dual_lshlrev_b32 v30, 20, v30
	v_lshl_add_u32 v72, v72, 23, 0x3c000000
	s_delay_alu instid0(VALU_DEP_2) | instskip(NEXT) | instid1(VALU_DEP_1)
	v_and_b32_e32 v73, 0x80000000, v73
	v_or3_b32 v72, v30, v73, v72
.LBB175_207:                            ;   in Loop: Header=BB175_9 Depth=1
	s_or_b32 exec_lo, exec_lo, s29
.LBB175_208:                            ;   in Loop: Header=BB175_9 Depth=1
	s_delay_alu instid0(SALU_CYCLE_1)
	s_or_b32 exec_lo, exec_lo, s28
.LBB175_209:                            ;   in Loop: Header=BB175_9 Depth=1
	s_delay_alu instid0(SALU_CYCLE_1)
	s_or_b32 exec_lo, exec_lo, s27
	global_load_u8 v73, v[36:37], off offset:772
	s_mov_b32 s27, exec_lo
	s_wait_loadcnt 0x0
	v_cmpx_ne_u16_e32 0, v73
	s_cbranch_execz .LBB175_217
; %bb.210:                              ;   in Loop: Header=BB175_9 Depth=1
	v_bfrev_b32_e32 v71, 1
	s_mov_b32 s28, exec_lo
	v_cmpx_ne_u16_e32 0x80, v73
	s_cbranch_execz .LBB175_216
; %bb.211:                              ;   in Loop: Header=BB175_9 Depth=1
	v_and_b32_e32 v30, 0xffff, v73
	v_mov_b32_e32 v71, 0x7f800001
	s_mov_b32 s29, exec_lo
	s_delay_alu instid0(VALU_DEP_2) | instskip(NEXT) | instid1(VALU_DEP_1)
	v_and_b32_e32 v74, 0x7f, v30
	v_cmpx_ne_u32_e32 0x7f, v74
	s_cbranch_execz .LBB175_215
; %bb.212:                              ;   in Loop: Header=BB175_9 Depth=1
	v_and_b32_e32 v30, 7, v30
	v_lshrrev_b32_e32 v71, 3, v74
	s_mov_b32 s30, exec_lo
	v_cmpx_gt_u32_e32 8, v74
; %bb.213:                              ;   in Loop: Header=BB175_9 Depth=1
	s_delay_alu instid0(VALU_DEP_3) | instskip(NEXT) | instid1(VALU_DEP_1)
	v_clz_i32_u32_e32 v71, v30
	v_min_u32_e32 v71, 32, v71
	s_delay_alu instid0(VALU_DEP_1) | instskip(NEXT) | instid1(VALU_DEP_1)
	v_subrev_nc_u32_e32 v74, 28, v71
	v_lshlrev_b64_e32 v[74:75], v74, v[30:31]
	s_delay_alu instid0(VALU_DEP_1)
	v_dual_sub_nc_u32 v71, 29, v71 :: v_dual_bitop2_b32 v30, 7, v74 bitop3:0x40
; %bb.214:                              ;   in Loop: Header=BB175_9 Depth=1
	s_or_b32 exec_lo, exec_lo, s30
	s_delay_alu instid0(VALU_DEP_1) | instskip(NEXT) | instid1(VALU_DEP_2)
	v_dual_lshlrev_b32 v73, 24, v73 :: v_dual_lshlrev_b32 v30, 20, v30
	v_lshl_add_u32 v71, v71, 23, 0x3c000000
	s_delay_alu instid0(VALU_DEP_2) | instskip(NEXT) | instid1(VALU_DEP_1)
	v_and_b32_e32 v73, 0x80000000, v73
	v_or3_b32 v71, v30, v73, v71
.LBB175_215:                            ;   in Loop: Header=BB175_9 Depth=1
	s_or_b32 exec_lo, exec_lo, s29
.LBB175_216:                            ;   in Loop: Header=BB175_9 Depth=1
	s_delay_alu instid0(SALU_CYCLE_1)
	s_or_b32 exec_lo, exec_lo, s28
.LBB175_217:                            ;   in Loop: Header=BB175_9 Depth=1
	s_delay_alu instid0(SALU_CYCLE_1)
	s_or_b32 exec_lo, exec_lo, s27
	global_load_u8 v75, v[36:37], off offset:776
	v_dual_mov_b32 v73, 0 :: v_dual_mov_b32 v74, 0
	s_mov_b32 s27, exec_lo
	s_wait_loadcnt 0x0
	v_cmpx_ne_u16_e32 0, v75
	s_cbranch_execz .LBB175_225
; %bb.218:                              ;   in Loop: Header=BB175_9 Depth=1
	v_bfrev_b32_e32 v74, 1
	s_mov_b32 s28, exec_lo
	v_cmpx_ne_u16_e32 0x80, v75
	s_cbranch_execz .LBB175_224
; %bb.219:                              ;   in Loop: Header=BB175_9 Depth=1
	v_and_b32_e32 v30, 0xffff, v75
	v_mov_b32_e32 v74, 0x7f800001
	s_mov_b32 s29, exec_lo
	s_delay_alu instid0(VALU_DEP_2) | instskip(NEXT) | instid1(VALU_DEP_1)
	v_and_b32_e32 v76, 0x7f, v30
	v_cmpx_ne_u32_e32 0x7f, v76
	s_cbranch_execz .LBB175_223
; %bb.220:                              ;   in Loop: Header=BB175_9 Depth=1
	v_dual_lshrrev_b32 v74, 3, v76 :: v_dual_bitop2_b32 v30, 7, v30 bitop3:0x40
	s_mov_b32 s30, exec_lo
	v_cmpx_gt_u32_e32 8, v76
; %bb.221:                              ;   in Loop: Header=BB175_9 Depth=1
	s_delay_alu instid0(VALU_DEP_2) | instskip(NEXT) | instid1(VALU_DEP_1)
	v_clz_i32_u32_e32 v74, v30
	v_min_u32_e32 v74, 32, v74
	s_delay_alu instid0(VALU_DEP_1) | instskip(NEXT) | instid1(VALU_DEP_1)
	v_subrev_nc_u32_e32 v76, 28, v74
	v_lshlrev_b64_e32 v[76:77], v76, v[30:31]
	s_delay_alu instid0(VALU_DEP_1)
	v_dual_sub_nc_u32 v74, 29, v74 :: v_dual_bitop2_b32 v30, 7, v76 bitop3:0x40
; %bb.222:                              ;   in Loop: Header=BB175_9 Depth=1
	s_or_b32 exec_lo, exec_lo, s30
	s_delay_alu instid0(VALU_DEP_1) | instskip(NEXT) | instid1(VALU_DEP_2)
	v_dual_lshlrev_b32 v75, 24, v75 :: v_dual_lshlrev_b32 v30, 20, v30
	v_lshl_add_u32 v74, v74, 23, 0x3c000000
	s_delay_alu instid0(VALU_DEP_2) | instskip(NEXT) | instid1(VALU_DEP_1)
	v_and_b32_e32 v75, 0x80000000, v75
	v_or3_b32 v74, v30, v75, v74
.LBB175_223:                            ;   in Loop: Header=BB175_9 Depth=1
	s_or_b32 exec_lo, exec_lo, s29
.LBB175_224:                            ;   in Loop: Header=BB175_9 Depth=1
	s_delay_alu instid0(SALU_CYCLE_1)
	s_or_b32 exec_lo, exec_lo, s28
.LBB175_225:                            ;   in Loop: Header=BB175_9 Depth=1
	s_delay_alu instid0(SALU_CYCLE_1)
	s_or_b32 exec_lo, exec_lo, s27
	global_load_u8 v36, v[36:37], off offset:780
	s_mov_b32 s27, exec_lo
	s_wait_loadcnt 0x0
	v_cmpx_ne_u16_e32 0, v36
	s_cbranch_execz .LBB175_233
; %bb.226:                              ;   in Loop: Header=BB175_9 Depth=1
	v_bfrev_b32_e32 v73, 1
	s_mov_b32 s28, exec_lo
	v_cmpx_ne_u16_e32 0x80, v36
	s_cbranch_execz .LBB175_232
; %bb.227:                              ;   in Loop: Header=BB175_9 Depth=1
	v_and_b32_e32 v30, 0xffff, v36
	v_mov_b32_e32 v73, 0x7f800001
	s_mov_b32 s29, exec_lo
	s_delay_alu instid0(VALU_DEP_2) | instskip(NEXT) | instid1(VALU_DEP_1)
	v_and_b32_e32 v75, 0x7f, v30
	v_cmpx_ne_u32_e32 0x7f, v75
	s_cbranch_execz .LBB175_231
; %bb.228:                              ;   in Loop: Header=BB175_9 Depth=1
	v_dual_lshrrev_b32 v37, 3, v75 :: v_dual_bitop2_b32 v30, 7, v30 bitop3:0x40
	s_mov_b32 s30, exec_lo
	v_cmpx_gt_u32_e32 8, v75
; %bb.229:                              ;   in Loop: Header=BB175_9 Depth=1
	s_delay_alu instid0(VALU_DEP_2) | instskip(NEXT) | instid1(VALU_DEP_1)
	v_clz_i32_u32_e32 v37, v30
	v_min_u32_e32 v37, 32, v37
	s_delay_alu instid0(VALU_DEP_1) | instskip(NEXT) | instid1(VALU_DEP_1)
	v_subrev_nc_u32_e32 v73, 28, v37
	v_lshlrev_b64_e32 v[76:77], v73, v[30:31]
	s_delay_alu instid0(VALU_DEP_1)
	v_dual_sub_nc_u32 v37, 29, v37 :: v_dual_bitop2_b32 v30, 7, v76 bitop3:0x40
; %bb.230:                              ;   in Loop: Header=BB175_9 Depth=1
	s_or_b32 exec_lo, exec_lo, s30
	s_delay_alu instid0(VALU_DEP_1) | instskip(NEXT) | instid1(VALU_DEP_2)
	v_dual_lshlrev_b32 v36, 24, v36 :: v_dual_lshlrev_b32 v30, 20, v30
	v_lshl_add_u32 v37, v37, 23, 0x3c000000
	s_delay_alu instid0(VALU_DEP_2) | instskip(NEXT) | instid1(VALU_DEP_1)
	v_and_b32_e32 v36, 0x80000000, v36
	v_or3_b32 v73, v30, v36, v37
.LBB175_231:                            ;   in Loop: Header=BB175_9 Depth=1
	s_or_b32 exec_lo, exec_lo, s29
.LBB175_232:                            ;   in Loop: Header=BB175_9 Depth=1
	s_delay_alu instid0(SALU_CYCLE_1)
	s_or_b32 exec_lo, exec_lo, s28
.LBB175_233:                            ;   in Loop: Header=BB175_9 Depth=1
	s_delay_alu instid0(SALU_CYCLE_1) | instskip(SKIP_3) | instid1(VALU_DEP_1)
	s_or_b32 exec_lo, exec_lo, s27
	s_wait_kmcnt 0x0
	v_dual_mul_f32 v30, s5, v47 :: v_dual_mul_f32 v36, s5, v48
	s_wait_dscnt 0x6
	v_mul_f32_e32 v30, v3, v30
	s_delay_alu instid0(VALU_DEP_1) | instskip(SKIP_1) | instid1(VALU_DEP_2)
	v_dual_mul_f32 v37, s5, v50 :: v_dual_fmac_f32 v30, v2, v36
	v_mul_f32_e32 v36, s5, v49
	v_dual_fmac_f32 v30, v4, v37 :: v_dual_mul_f32 v37, s5, v52
	s_delay_alu instid0(VALU_DEP_1) | instskip(SKIP_1) | instid1(VALU_DEP_1)
	v_dual_fmac_f32 v30, v5, v36 :: v_dual_mul_f32 v36, s5, v51
	s_wait_dscnt 0x5
	v_dual_fmac_f32 v30, v6, v37 :: v_dual_mul_f32 v37, s5, v54
	s_delay_alu instid0(VALU_DEP_1) | instskip(NEXT) | instid1(VALU_DEP_1)
	v_dual_fmac_f32 v30, v7, v36 :: v_dual_mul_f32 v36, s5, v53
	v_dual_fmac_f32 v30, v8, v37 :: v_dual_mul_f32 v37, s5, v56
	s_delay_alu instid0(VALU_DEP_1) | instskip(SKIP_1) | instid1(VALU_DEP_1)
	v_dual_fmac_f32 v30, v9, v36 :: v_dual_mul_f32 v36, s5, v55
	s_wait_dscnt 0x4
	v_dual_fmac_f32 v30, v10, v37 :: v_dual_mul_f32 v37, s5, v58
	s_delay_alu instid0(VALU_DEP_1) | instskip(NEXT) | instid1(VALU_DEP_1)
	v_dual_fmac_f32 v30, v11, v36 :: v_dual_mul_f32 v36, s5, v57
	;; [unrolled: 7-line block ×6, first 2 shown]
	v_fmac_f32_e32 v30, v28, v37
	s_delay_alu instid0(VALU_DEP_1)
	v_fmac_f32_e32 v30, v29, v36
	ds_bpermute_b32 v36, v42, v30
	s_wait_dscnt 0x0
	v_add_f32_e32 v30, v30, v36
	ds_bpermute_b32 v36, v43, v30
	s_and_saveexec_b32 s27, vcc_lo
	s_cbranch_execz .LBB175_8
; %bb.234:                              ;   in Loop: Header=BB175_9 Depth=1
	s_wait_dscnt 0x0
	v_add_f32_e32 v30, v30, v36
	v_add_nc_u32_e32 v37, s26, v44
	v_cmp_gt_i32_e64 s4, s23, v44
	s_delay_alu instid0(VALU_DEP_2) | instskip(NEXT) | instid1(VALU_DEP_1)
	v_cvt_f32_i32_e32 v37, v37
	v_mul_f32_e32 v37, s18, v37
	s_delay_alu instid0(VALU_DEP_1) | instskip(NEXT) | instid1(VALU_DEP_1)
	v_cndmask_b32_e64 v36, 0, v37, s3
	v_dual_max_num_f32 v37, v41, v41 :: v_dual_fmac_f32 v36, s19, v30
	s_delay_alu instid0(VALU_DEP_1) | instskip(NEXT) | instid1(VALU_DEP_1)
	v_dual_max_num_f32 v30, v37, v36 :: v_dual_cndmask_b32 v36, 0, v36, s4
	v_cndmask_b32_e64 v41, v41, v30, s4
	ds_store_b32 v45, v36
	s_branch .LBB175_8
.LBB175_235:
	s_or_b32 exec_lo, exec_lo, s11
.LBB175_236:
	s_delay_alu instid0(SALU_CYCLE_1)
	s_or_b32 exec_lo, exec_lo, s24
	v_dual_max_num_f32 v5, v41, v41 :: v_dual_bitop2_b32 v2, 16, v39 bitop3:0x14
	s_wait_kmcnt 0x0
	s_clause 0x1
	s_load_b64 s[4:5], s[0:1], 0x0
	s_load_b64 s[18:19], s[0:1], 0x18
	v_and_b32_e32 v50, 31, v0
	v_xor_b32_e32 v4, 8, v39
	v_cmp_lt_i32_e32 vcc_lo, v2, v40
	v_cndmask_b32_e32 v2, v39, v2, vcc_lo
	s_delay_alu instid0(VALU_DEP_3) | instskip(NEXT) | instid1(VALU_DEP_2)
	v_cmp_lt_i32_e32 vcc_lo, v4, v40
	v_dual_lshlrev_b32 v2, 2, v2 :: v_dual_cndmask_b32 v4, v39, v4, vcc_lo
	ds_bpermute_b32 v3, v2, v41
	s_wait_dscnt 0x0
	v_dual_max_num_f32 v6, v3, v3 :: v_dual_lshlrev_b32 v3, 2, v4
	s_delay_alu instid0(VALU_DEP_1) | instskip(SKIP_4) | instid1(VALU_DEP_1)
	v_dual_max_num_f32 v4, v5, v6 :: v_dual_bitop2_b32 v6, 4, v39 bitop3:0x14
	ds_bpermute_b32 v5, v3, v4
	v_cmp_lt_i32_e32 vcc_lo, v6, v40
	v_cndmask_b32_e32 v6, v39, v6, vcc_lo
	s_wait_dscnt 0x0
	v_dual_max_num_f32 v5, v5, v5 :: v_dual_lshlrev_b32 v6, 2, v6
	s_delay_alu instid0(VALU_DEP_1)
	v_max_num_f32_e32 v5, v4, v5
	v_lshlrev_b32_e32 v4, 2, v1
	v_cmp_eq_u32_e32 vcc_lo, 0, v50
	ds_bpermute_b32 v7, v6, v5
	s_wait_xcnt 0x0
	s_and_saveexec_b32 s0, vcc_lo
	s_cbranch_execz .LBB175_238
; %bb.237:
	s_wait_dscnt 0x0
	v_dual_max_num_f32 v7, v7, v7 :: v_dual_max_num_f32 v5, v5, v5
	s_delay_alu instid0(VALU_DEP_1)
	v_max_num_f32_e32 v5, v5, v7
	ds_store_b32 v4, v5 offset:448
.LBB175_238:
	s_or_b32 exec_lo, exec_lo, s0
	v_cmp_gt_u32_e64 s0, 4, v50
	v_dual_mov_b32 v8, 0xff7fffff :: v_dual_lshlrev_b32 v5, 2, v50
	s_wait_dscnt 0x0
	s_barrier_signal -1
	s_barrier_wait -1
	s_and_saveexec_b32 s1, s0
; %bb.239:
	ds_load_b32 v8, v5 offset:448
; %bb.240:
	s_or_b32 exec_lo, exec_lo, s1
	v_xor_b32_e32 v7, 2, v39
	v_xor_b32_e32 v10, 1, v39
	s_delay_alu instid0(VALU_DEP_2) | instskip(NEXT) | instid1(VALU_DEP_1)
	v_cmp_lt_i32_e64 s1, v7, v40
	v_cndmask_b32_e64 v7, v39, v7, s1
	s_delay_alu instid0(VALU_DEP_3) | instskip(NEXT) | instid1(VALU_DEP_1)
	v_cmp_lt_i32_e64 s1, v10, v40
	v_dual_cndmask_b32 v10, v39, v10, s1 :: v_dual_lshlrev_b32 v7, 2, v7
	s_lshl_b32 s1, s13, 3
	s_delay_alu instid0(SALU_CYCLE_1) | instskip(NEXT) | instid1(VALU_DEP_1)
	s_min_i32 s11, s1, s23
	v_lshlrev_b32_e32 v51, 2, v10
	s_wait_dscnt 0x0
	ds_bpermute_b32 v9, v7, v8
	v_max_num_f32_e32 v8, v8, v8
	v_cmp_gt_i32_e64 s1, s11, v0
	s_wait_dscnt 0x0
	v_max_num_f32_e32 v9, v9, v9
	s_delay_alu instid0(VALU_DEP_1) | instskip(SKIP_3) | instid1(VALU_DEP_1)
	v_max_num_f32_e32 v8, v8, v9
	ds_bpermute_b32 v9, v51, v8
	s_wait_dscnt 0x0
	v_max_num_f32_e32 v9, v9, v9
	v_dual_max_num_f32 v8, v8, v9 :: v_dual_lshlrev_b32 v9, 2, v31
	ds_bpermute_b32 v9, v9, v8
	v_mov_b32_e32 v8, 0
	s_and_saveexec_b32 s24, s1
	s_cbranch_execz .LBB175_244
; %bb.241:
	v_lshl_add_u32 v10, v0, 2, 0x1e0
	v_dual_mov_b32 v8, 0 :: v_dual_mov_b32 v11, v0
	s_mov_b32 s25, 0
.LBB175_242:                            ; =>This Inner Loop Header: Depth=1
	ds_load_b32 v12, v10
	v_add_nc_u32_e32 v11, 0x80, v11
	s_delay_alu instid0(VALU_DEP_1) | instskip(SKIP_3) | instid1(VALU_DEP_1)
	v_cmp_le_i32_e64 s3, s11, v11
	s_or_b32 s25, s3, s25
	s_wait_dscnt 0x0
	v_sub_f32_e32 v12, v12, v9
	v_mul_f32_e32 v12, 0x3fb8aa3b, v12
	s_delay_alu instid0(VALU_DEP_1)
	v_exp_f32_e32 v12, v12
	ds_store_b32 v10, v12
	v_nop
	v_add_f32_e32 v8, v8, v12
	v_add_nc_u32_e32 v10, 0x200, v10
	s_and_not1_b32 exec_lo, exec_lo, s25
	s_cbranch_execnz .LBB175_242
; %bb.243:
	s_or_b32 exec_lo, exec_lo, s25
.LBB175_244:
	s_delay_alu instid0(SALU_CYCLE_1)
	s_or_b32 exec_lo, exec_lo, s24
	ds_bpermute_b32 v2, v2, v8
	s_wait_dscnt 0x0
	v_add_f32_e32 v2, v8, v2
	ds_bpermute_b32 v3, v3, v2
	s_wait_dscnt 0x0
	v_add_f32_e32 v2, v2, v3
	;; [unrolled: 3-line block ×5, first 2 shown]
	s_and_saveexec_b32 s3, vcc_lo
; %bb.245:
	ds_store_b32 v4, v2 offset:464
; %bb.246:
	s_or_b32 exec_lo, exec_lo, s3
	s_wait_dscnt 0x0
	s_barrier_signal -1
	s_barrier_wait -1
	s_and_saveexec_b32 s3, s0
; %bb.247:
	ds_load_b32 v2, v5 offset:464
; %bb.248:
	s_or_b32 exec_lo, exec_lo, s3
	s_wait_dscnt 0x0
	ds_bpermute_b32 v3, v7, v2
	v_lshlrev_b32_e32 v4, 2, v39
	s_wait_dscnt 0x0
	v_add_f32_e32 v2, v2, v3
	ds_bpermute_b32 v3, v51, v2
	s_wait_dscnt 0x0
	v_add_f32_e32 v2, v2, v3
	v_and_b32_e32 v3, 0xffffff80, v4
	ds_bpermute_b32 v2, v3, v2
	s_and_saveexec_b32 s0, s1
	s_cbranch_execz .LBB175_261
; %bb.249:
	s_wait_dscnt 0x0
	v_add_f32_e32 v2, 0x358637bd, v2
	s_mov_b32 s3, -1
	s_mov_b32 s1, exec_lo
	s_delay_alu instid0(VALU_DEP_1) | instskip(NEXT) | instid1(VALU_DEP_1)
	v_div_scale_f32 v3, null, v2, v2, 1.0
	v_rcp_f32_e32 v5, v3
	v_nop
	s_delay_alu instid0(TRANS32_DEP_1) | instskip(NEXT) | instid1(VALU_DEP_1)
	v_fma_f32 v4, -v3, v5, 1.0
	v_fmac_f32_e32 v5, v4, v5
	v_div_scale_f32 v6, vcc_lo, 1.0, v2, 1.0
	s_delay_alu instid0(VALU_DEP_1) | instskip(NEXT) | instid1(VALU_DEP_1)
	v_mul_f32_e32 v7, v6, v5
	v_fma_f32 v4, -v3, v7, v6
	s_delay_alu instid0(VALU_DEP_1) | instskip(SKIP_1) | instid1(VALU_DEP_2)
	v_fmac_f32_e32 v7, v4, v5
	v_xad_u32 v4, v0, -1, s11
	v_fma_f32 v3, -v3, v7, v6
	s_delay_alu instid0(VALU_DEP_1) | instskip(NEXT) | instid1(VALU_DEP_1)
	v_div_fmas_f32 v3, v3, v5, v7
	v_div_fixup_f32 v2, v3, v2, 1.0
	v_mov_b32_e32 v3, v0
	v_cmpx_lt_u32_e32 0x7f, v4
	s_cbranch_execz .LBB175_258
; %bb.250:
	s_delay_alu instid0(VALU_DEP_3) | instskip(NEXT) | instid1(VALU_DEP_1)
	v_dual_mov_b32 v3, v2 :: v_dual_lshrrev_b32 v4, 7, v4
	v_dual_mov_b32 v8, 0 :: v_dual_add_nc_u32 v5, -1, v4
	s_delay_alu instid0(VALU_DEP_1) | instskip(SKIP_1) | instid1(VALU_DEP_2)
	v_lshrrev_b32_e32 v6, 1, v5
	v_cmp_lt_u32_e32 vcc_lo, 13, v5
	v_add_nc_u32_e32 v5, 1, v6
	s_and_saveexec_b32 s3, vcc_lo
	s_cbranch_execz .LBB175_254
; %bb.251:
	s_delay_alu instid0(VALU_DEP_1)
	v_and_b32_e32 v6, -8, v5
	v_lshl_add_u32 v7, v0, 2, 0x1e0
	s_mov_b32 s24, 0
	s_mov_b32 s25, 0
.LBB175_252:                            ; =>This Inner Loop Header: Depth=1
	ds_load_2addr_stride64_b32 v[8:9], v7 offset1:2
	ds_load_2addr_stride64_b32 v[10:11], v7 offset0:4 offset1:6
	ds_load_2addr_stride64_b32 v[12:13], v7 offset0:8 offset1:10
	;; [unrolled: 1-line block ×7, first 2 shown]
	s_add_co_i32 s25, s25, 16
	v_add_nc_u32_e32 v6, -8, v6
	s_wait_dscnt 0x7
	v_pk_mul_f32 v[8:9], v[2:3], v[8:9]
	s_wait_dscnt 0x6
	v_pk_mul_f32 v[10:11], v[2:3], v[10:11]
	s_wait_dscnt 0x5
	v_pk_mul_f32 v[12:13], v[2:3], v[12:13]
	s_wait_dscnt 0x4
	v_pk_mul_f32 v[14:15], v[2:3], v[14:15]
	s_wait_dscnt 0x3
	v_pk_mul_f32 v[16:17], v[2:3], v[16:17]
	s_wait_dscnt 0x2
	v_pk_mul_f32 v[18:19], v[2:3], v[18:19]
	s_wait_dscnt 0x1
	v_pk_mul_f32 v[20:21], v[2:3], v[20:21]
	s_wait_dscnt 0x0
	v_pk_mul_f32 v[22:23], v[2:3], v[22:23]
	ds_store_2addr_stride64_b32 v7, v8, v9 offset1:2
	ds_store_2addr_stride64_b32 v7, v10, v11 offset0:4 offset1:6
	ds_store_2addr_stride64_b32 v7, v12, v13 offset0:8 offset1:10
	;; [unrolled: 1-line block ×7, first 2 shown]
	v_mov_b32_e32 v8, s25
	v_cmp_eq_u32_e32 vcc_lo, 0, v6
	v_add_nc_u32_e32 v7, 0x2000, v7
	s_or_b32 s24, vcc_lo, s24
	s_delay_alu instid0(SALU_CYCLE_1)
	s_and_not1_b32 exec_lo, exec_lo, s24
	s_cbranch_execnz .LBB175_252
; %bb.253:
	s_or_b32 exec_lo, exec_lo, s24
.LBB175_254:
	s_delay_alu instid0(SALU_CYCLE_1) | instskip(NEXT) | instid1(VALU_DEP_1)
	s_or_b32 exec_lo, exec_lo, s3
	v_and_b32_e32 v5, 7, v5
	s_mov_b32 s24, 0
	s_mov_b32 s3, exec_lo
	s_delay_alu instid0(VALU_DEP_1)
	v_cmpx_ne_u32_e32 0, v5
	s_cbranch_execz .LBB175_257
; %bb.255:
	v_lshlrev_b32_e32 v6, 9, v8
	v_lshlrev_b32_e32 v7, 2, v0
	s_delay_alu instid0(VALU_DEP_1)
	v_add3_u32 v6, v6, v7, 0x1e0
.LBB175_256:                            ; =>This Inner Loop Header: Depth=1
	ds_load_2addr_stride64_b32 v[8:9], v6 offset1:2
	v_add_nc_u32_e32 v5, -1, v5
	s_delay_alu instid0(VALU_DEP_1)
	v_cmp_eq_u32_e32 vcc_lo, 0, v5
	s_or_b32 s24, vcc_lo, s24
	s_wait_dscnt 0x0
	v_pk_mul_f32 v[8:9], v[2:3], v[8:9]
	ds_store_2addr_stride64_b32 v6, v8, v9 offset1:2
	v_add_nc_u32_e32 v6, 0x400, v6
	s_and_not1_b32 exec_lo, exec_lo, s24
	s_cbranch_execnz .LBB175_256
.LBB175_257:
	s_or_b32 exec_lo, exec_lo, s3
	v_add_nc_u32_e32 v3, 1, v4
	s_delay_alu instid0(VALU_DEP_1) | instskip(NEXT) | instid1(VALU_DEP_1)
	v_and_b32_e32 v4, 0x3fffffe, v3
	v_cmp_ne_u32_e32 vcc_lo, v3, v4
	v_lshl_add_u32 v3, v4, 7, v0
	s_or_not1_b32 s3, vcc_lo, exec_lo
.LBB175_258:
	s_or_b32 exec_lo, exec_lo, s1
	s_delay_alu instid0(SALU_CYCLE_1)
	s_and_b32 exec_lo, exec_lo, s3
	s_cbranch_execz .LBB175_261
; %bb.259:
	v_lshl_add_u32 v4, v3, 2, 0x1e0
	s_mov_b32 s1, 0
.LBB175_260:                            ; =>This Inner Loop Header: Depth=1
	ds_load_b32 v5, v4
	v_add_nc_u32_e32 v3, 0x80, v3
	s_delay_alu instid0(VALU_DEP_1)
	v_cmp_le_i32_e32 vcc_lo, s11, v3
	s_or_b32 s1, vcc_lo, s1
	s_wait_dscnt 0x0
	v_mul_f32_e32 v5, v2, v5
	ds_store_b32 v4, v5
	v_add_nc_u32_e32 v4, 0x200, v4
	s_and_not1_b32 exec_lo, exec_lo, s1
	s_cbranch_execnz .LBB175_260
.LBB175_261:
	s_or_b32 exec_lo, exec_lo, s0
	v_dual_mov_b32 v7, 0 :: v_dual_bitop2_b32 v52, 1, v0 bitop3:0x40
	v_dual_mov_b32 v6, 0 :: v_dual_mov_b32 v9, 0
	v_dual_mov_b32 v8, 0 :: v_dual_mov_b32 v11, 0
	;; [unrolled: 1-line block ×3, first 2 shown]
	s_wait_dscnt 0x0
	s_barrier_signal -1
	s_barrier_wait -1
	s_and_saveexec_b32 s1, s2
	s_cbranch_execz .LBB175_503
; %bb.262:
	s_load_b32 s2, s[6:7], 0x0
	v_dual_mov_b32 v13, 0 :: v_dual_lshlrev_b32 v2, 2, v0
	s_ashr_i32 s11, s10, 31
	v_dual_lshlrev_b32 v3, 4, v52 :: v_dual_mov_b32 v53, 0
	s_delay_alu instid0(VALU_DEP_2)
	v_and_b32_e32 v12, 0x7c, v2
	s_wait_kmcnt 0x0
	s_add_nc_u64 s[10:11], s[18:19], s[10:11]
	s_lshl_b64 s[14:15], s[14:15], 2
	v_dual_mov_b32 v7, 0 :: v_dual_bitop2_b32 v2, 4, v2 bitop3:0x40
	v_add_nc_u64_e32 v[14:15], s[10:11], v[12:13]
	v_and_b32_e32 v12, 0x7c, v38
	v_lshl_or_b32 v3, v1, 5, v3
	s_add_nc_u64 s[10:11], s[16:17], s[14:15]
	v_mov_b32_e32 v6, 0
	v_lshl_or_b32 v54, v1, 3, v2
	v_add_nc_u64_e32 v[16:17], s[10:11], v[12:13]
	v_add_nc_u32_e32 v55, 0x1e0, v3
	v_dual_mov_b32 v9, 0 :: v_dual_mov_b32 v8, 0
	v_dual_mov_b32 v11, 0 :: v_dual_mov_b32 v10, 0
	v_mov_b32_e32 v56, v1
	s_mov_b32 s6, s9
	s_mov_b32 s3, s2
	s_add_co_i32 s7, s13, -1
	s_mov_b32 s10, s23
	s_mov_b32 s9, 0
	s_branch .LBB175_264
.LBB175_263:                            ;   in Loop: Header=BB175_264 Depth=1
	s_or_b32 exec_lo, exec_lo, s0
	s_wait_dscnt 0x0
	v_mul_f32_e32 v12, v2, v42
	v_mul_f32_e32 v42, v2, v38
	v_dual_mul_f32 v34, v2, v34 :: v_dual_mul_f32 v20, v2, v20
	v_pk_mul_f32 v[22:23], v[4:5], v[22:23]
	v_add_nc_u64_e32 v[16:17], 16, v[16:17]
	s_delay_alu instid0(VALU_DEP_4) | instskip(SKIP_3) | instid1(VALU_DEP_4)
	v_fmac_f32_e32 v42, v3, v39
	v_dual_fmac_f32 v12, v3, v43 :: v_dual_mul_f32 v30, v2, v30
	v_mul_f32_e32 v26, v2, v26
	v_pk_mul_f32 v[38:39], v[2:3], v[44:45]
	v_fmac_f32_e32 v42, v4, v36
	s_delay_alu instid0(VALU_DEP_4) | instskip(SKIP_1) | instid1(VALU_DEP_2)
	v_dual_fmac_f32 v12, v4, v40 :: v_dual_fmac_f32 v34, v3, v35
	v_dual_fmac_f32 v30, v3, v31 :: v_dual_fmac_f32 v20, v3, v21
	v_dual_add_f32 v2, v39, v38 :: v_dual_fmac_f32 v12, v5, v41
	s_delay_alu instid0(VALU_DEP_3) | instskip(SKIP_1) | instid1(VALU_DEP_3)
	v_fmac_f32_e32 v34, v4, v32
	v_fmac_f32_e32 v42, v5, v37
	v_dual_fmac_f32 v30, v4, v28 :: v_dual_add_f32 v2, v22, v2
	s_delay_alu instid0(VALU_DEP_4) | instskip(NEXT) | instid1(VALU_DEP_3)
	v_add_f32_e32 v7, v7, v12
	v_dual_fmac_f32 v26, v3, v27 :: v_dual_add_f32 v6, v6, v42
	v_dual_fmac_f32 v34, v5, v33 :: v_dual_fmac_f32 v20, v4, v18
	s_delay_alu instid0(VALU_DEP_4) | instskip(NEXT) | instid1(VALU_DEP_3)
	v_fmac_f32_e32 v30, v5, v29
	v_dual_fmac_f32 v26, v4, v24 :: v_dual_add_nc_u32 v54, 32, v54
	s_delay_alu instid0(VALU_DEP_3) | instskip(NEXT) | instid1(VALU_DEP_4)
	v_add_f32_e32 v9, v9, v34
	v_dual_fmac_f32 v20, v5, v19 :: v_dual_add_nc_u32 v56, 4, v56
	s_delay_alu instid0(VALU_DEP_3) | instskip(NEXT) | instid1(VALU_DEP_2)
	v_dual_add_f32 v8, v8, v30 :: v_dual_fmac_f32 v26, v5, v25
	v_dual_add_f32 v2, v23, v2 :: v_dual_add_f32 v10, v10, v20
	s_delay_alu instid0(VALU_DEP_3) | instskip(SKIP_1) | instid1(VALU_DEP_4)
	v_cmp_le_i32_e32 vcc_lo, s13, v56
	v_add_nc_u32_e32 v55, 0x80, v55
	v_add_f32_e32 v11, v11, v26
	s_delay_alu instid0(VALU_DEP_4) | instskip(SKIP_1) | instid1(SALU_CYCLE_1)
	v_add_f32_e32 v53, v53, v2
	s_or_b32 s9, vcc_lo, s9
	s_and_not1_b32 exec_lo, exec_lo, s9
	s_cbranch_execz .LBB175_502
.LBB175_264:                            ; =>This Inner Loop Header: Depth=1
	global_load_b32 v2, v[16:17], off
	v_mov_b64_e32 v[18:19], 0
	v_mov_b64_e32 v[20:21], 0
	s_mov_b32 s0, exec_lo
	s_wait_loadcnt 0x0
	v_mad_nc_i64_i32 v[22:23], v2, s6, v[14:15]
	ds_load_b128 v[2:5], v55
	global_load_b32 v28, v[22:23], off
	s_wait_loadcnt 0x0
	v_and_b32_e32 v12, 0xff, v28
	s_delay_alu instid0(VALU_DEP_1)
	v_cmpx_ne_u16_e32 0, v12
	s_cbranch_execz .LBB175_272
; %bb.265:                              ;   in Loop: Header=BB175_264 Depth=1
	v_mov_b64_e32 v[20:21], 0x80000000
	s_mov_b32 s11, exec_lo
	v_cmpx_ne_u16_e32 0x80, v12
	s_cbranch_execz .LBB175_271
; %bb.266:                              ;   in Loop: Header=BB175_264 Depth=1
	v_mov_b64_e32 v[20:21], 0x7f800001
	v_and_b32_e32 v24, 0x7f, v28
	s_mov_b32 s14, exec_lo
	s_delay_alu instid0(VALU_DEP_1)
	v_cmpx_ne_u32_e32 0x7f, v24
	s_cbranch_execz .LBB175_270
; %bb.267:                              ;   in Loop: Header=BB175_264 Depth=1
	v_and_b32_e32 v12, 7, v28
	v_lshrrev_b32_e32 v20, 3, v24
	s_mov_b32 s15, exec_lo
	v_cmpx_gt_u32_e32 8, v24
; %bb.268:                              ;   in Loop: Header=BB175_264 Depth=1
	s_delay_alu instid0(VALU_DEP_3) | instskip(NEXT) | instid1(VALU_DEP_1)
	v_clz_i32_u32_e32 v20, v12
	v_min_u32_e32 v20, 32, v20
	s_delay_alu instid0(VALU_DEP_1) | instskip(SKIP_1) | instid1(VALU_DEP_2)
	v_subrev_nc_u32_e32 v21, 28, v20
	v_sub_nc_u32_e32 v20, 29, v20
	v_lshlrev_b64_e32 v[24:25], v21, v[12:13]
	s_delay_alu instid0(VALU_DEP_1)
	v_and_b32_e32 v12, 7, v24
; %bb.269:                              ;   in Loop: Header=BB175_264 Depth=1
	s_or_b32 exec_lo, exec_lo, s15
	v_lshlrev_b32_e32 v21, 24, v28
	s_delay_alu instid0(VALU_DEP_2) | instskip(SKIP_1) | instid1(VALU_DEP_3)
	v_lshlrev_b32_e32 v12, 20, v12
	v_lshl_add_u32 v20, v20, 23, 0x3c000000
	v_and_b32_e32 v21, 0x80000000, v21
	s_delay_alu instid0(VALU_DEP_1) | instskip(NEXT) | instid1(VALU_DEP_1)
	v_or3_b32 v12, v12, v21, v20
	v_mov_b64_e32 v[20:21], v[12:13]
.LBB175_270:                            ;   in Loop: Header=BB175_264 Depth=1
	s_or_b32 exec_lo, exec_lo, s14
.LBB175_271:                            ;   in Loop: Header=BB175_264 Depth=1
	s_delay_alu instid0(SALU_CYCLE_1)
	s_or_b32 exec_lo, exec_lo, s11
.LBB175_272:                            ;   in Loop: Header=BB175_264 Depth=1
	s_delay_alu instid0(SALU_CYCLE_1) | instskip(SKIP_2) | instid1(VALU_DEP_1)
	s_or_b32 exec_lo, exec_lo, s0
	v_lshrrev_b16 v12, 8, v28
	s_mov_b32 s0, exec_lo
	v_cmpx_ne_u16_e32 0, v12
	s_cbranch_execz .LBB175_280
; %bb.273:                              ;   in Loop: Header=BB175_264 Depth=1
	v_mov_b64_e32 v[18:19], 0x8000000000000000
	s_mov_b32 s11, exec_lo
	v_cmpx_ne_u16_e32 0x80, v12
	s_cbranch_execz .LBB175_279
; %bb.274:                              ;   in Loop: Header=BB175_264 Depth=1
	v_and_b32_e32 v12, 0xffff, v12
	v_mov_b64_e32 v[18:19], 0x7f80000100000000
	s_mov_b32 s14, exec_lo
	s_delay_alu instid0(VALU_DEP_2) | instskip(NEXT) | instid1(VALU_DEP_1)
	v_and_b32_e32 v24, 0x7f, v12
	v_cmpx_ne_u32_e32 0x7f, v24
	s_cbranch_execz .LBB175_278
; %bb.275:                              ;   in Loop: Header=BB175_264 Depth=1
	v_and_b32_e32 v12, 7, v12
	v_lshrrev_b32_e32 v18, 3, v24
	s_mov_b32 s15, exec_lo
	v_cmpx_gt_u32_e32 8, v24
; %bb.276:                              ;   in Loop: Header=BB175_264 Depth=1
	s_delay_alu instid0(VALU_DEP_3) | instskip(NEXT) | instid1(VALU_DEP_1)
	v_clz_i32_u32_e32 v18, v12
	v_min_u32_e32 v18, 32, v18
	s_delay_alu instid0(VALU_DEP_1) | instskip(NEXT) | instid1(VALU_DEP_1)
	v_subrev_nc_u32_e32 v19, 28, v18
	v_lshlrev_b64_e32 v[24:25], v19, v[12:13]
	s_delay_alu instid0(VALU_DEP_1)
	v_dual_sub_nc_u32 v18, 29, v18 :: v_dual_bitop2_b32 v12, 7, v24 bitop3:0x40
; %bb.277:                              ;   in Loop: Header=BB175_264 Depth=1
	s_or_b32 exec_lo, exec_lo, s15
	v_lshlrev_b32_e32 v19, 16, v28
	s_delay_alu instid0(VALU_DEP_2) | instskip(NEXT) | instid1(VALU_DEP_3)
	v_lshlrev_b32_e32 v12, 20, v12
	v_lshl_add_u32 v18, v18, 23, 0x3c000000
	s_delay_alu instid0(VALU_DEP_3) | instskip(NEXT) | instid1(VALU_DEP_1)
	v_and_b32_e32 v19, 0x80000000, v19
	v_or3_b32 v19, v12, v19, v18
	v_mov_b32_e32 v18, v13
.LBB175_278:                            ;   in Loop: Header=BB175_264 Depth=1
	s_or_b32 exec_lo, exec_lo, s14
.LBB175_279:                            ;   in Loop: Header=BB175_264 Depth=1
	s_delay_alu instid0(SALU_CYCLE_1)
	s_or_b32 exec_lo, exec_lo, s11
.LBB175_280:                            ;   in Loop: Header=BB175_264 Depth=1
	s_delay_alu instid0(SALU_CYCLE_1) | instskip(SKIP_4) | instid1(VALU_DEP_3)
	s_or_b32 exec_lo, exec_lo, s0
	v_lshrrev_b32_e32 v29, 16, v28
	v_mov_b64_e32 v[24:25], 0
	v_mov_b64_e32 v[26:27], 0
	s_mov_b32 s0, exec_lo
	v_and_b32_e32 v12, 0xff, v29
	s_delay_alu instid0(VALU_DEP_1)
	v_cmpx_ne_u16_e32 0, v12
	s_cbranch_execz .LBB175_288
; %bb.281:                              ;   in Loop: Header=BB175_264 Depth=1
	v_mov_b64_e32 v[26:27], 0x80000000
	s_mov_b32 s11, exec_lo
	v_cmpx_ne_u16_e32 0x80, v12
	s_cbranch_execz .LBB175_287
; %bb.282:                              ;   in Loop: Header=BB175_264 Depth=1
	v_mov_b64_e32 v[26:27], 0x7f800001
	v_bfe_u32 v30, v28, 16, 7
	s_mov_b32 s14, exec_lo
	s_delay_alu instid0(VALU_DEP_1)
	v_cmpx_ne_u32_e32 0x7f, v30
	s_cbranch_execz .LBB175_286
; %bb.283:                              ;   in Loop: Header=BB175_264 Depth=1
	v_dual_lshrrev_b32 v26, 3, v30 :: v_dual_bitop2_b32 v12, 7, v29 bitop3:0x40
	s_mov_b32 s15, exec_lo
	v_cmpx_gt_u32_e32 8, v30
; %bb.284:                              ;   in Loop: Header=BB175_264 Depth=1
	s_delay_alu instid0(VALU_DEP_2) | instskip(NEXT) | instid1(VALU_DEP_1)
	v_clz_i32_u32_e32 v26, v12
	v_min_u32_e32 v26, 32, v26
	s_delay_alu instid0(VALU_DEP_1) | instskip(SKIP_1) | instid1(VALU_DEP_2)
	v_subrev_nc_u32_e32 v27, 28, v26
	v_sub_nc_u32_e32 v26, 29, v26
	v_lshlrev_b64_e32 v[30:31], v27, v[12:13]
	s_delay_alu instid0(VALU_DEP_1)
	v_and_b32_e32 v12, 7, v30
; %bb.285:                              ;   in Loop: Header=BB175_264 Depth=1
	s_or_b32 exec_lo, exec_lo, s15
	s_delay_alu instid0(VALU_DEP_1) | instskip(SKIP_1) | instid1(VALU_DEP_2)
	v_dual_lshlrev_b32 v27, 24, v29 :: v_dual_lshlrev_b32 v12, 20, v12
	v_lshl_add_u32 v26, v26, 23, 0x3c000000
	v_and_b32_e32 v27, 0x80000000, v27
	s_delay_alu instid0(VALU_DEP_1) | instskip(NEXT) | instid1(VALU_DEP_1)
	v_or3_b32 v12, v12, v27, v26
	v_mov_b64_e32 v[26:27], v[12:13]
.LBB175_286:                            ;   in Loop: Header=BB175_264 Depth=1
	s_or_b32 exec_lo, exec_lo, s14
.LBB175_287:                            ;   in Loop: Header=BB175_264 Depth=1
	s_delay_alu instid0(SALU_CYCLE_1)
	s_or_b32 exec_lo, exec_lo, s11
.LBB175_288:                            ;   in Loop: Header=BB175_264 Depth=1
	s_delay_alu instid0(SALU_CYCLE_1) | instskip(NEXT) | instid1(SALU_CYCLE_1)
	s_or_b32 exec_lo, exec_lo, s0
	s_mov_b32 s0, exec_lo
	v_cmpx_lt_u32_e32 0xffffff, v28
	s_cbranch_execz .LBB175_296
; %bb.289:                              ;   in Loop: Header=BB175_264 Depth=1
	v_mov_b64_e32 v[24:25], 0x8000000000000000
	v_lshrrev_b32_e32 v29, 24, v28
	s_mov_b32 s11, exec_lo
	s_delay_alu instid0(VALU_DEP_1)
	v_cmpx_ne_u32_e32 0x80, v29
	s_cbranch_execz .LBB175_295
; %bb.290:                              ;   in Loop: Header=BB175_264 Depth=1
	v_mov_b64_e32 v[24:25], 0x7f80000100000000
	v_bfe_u32 v28, v28, 24, 7
	s_mov_b32 s14, exec_lo
	s_delay_alu instid0(VALU_DEP_1)
	v_cmpx_ne_u32_e32 0x7f, v28
	s_cbranch_execz .LBB175_294
; %bb.291:                              ;   in Loop: Header=BB175_264 Depth=1
	v_dual_lshrrev_b32 v24, 3, v28 :: v_dual_bitop2_b32 v12, 7, v29 bitop3:0x40
	s_mov_b32 s15, exec_lo
	v_cmpx_gt_u32_e32 8, v28
; %bb.292:                              ;   in Loop: Header=BB175_264 Depth=1
	s_delay_alu instid0(VALU_DEP_2) | instskip(NEXT) | instid1(VALU_DEP_1)
	v_clz_i32_u32_e32 v24, v12
	v_min_u32_e32 v24, 32, v24
	s_delay_alu instid0(VALU_DEP_1) | instskip(NEXT) | instid1(VALU_DEP_1)
	v_subrev_nc_u32_e32 v25, 28, v24
	v_lshlrev_b64_e32 v[30:31], v25, v[12:13]
	s_delay_alu instid0(VALU_DEP_1)
	v_dual_sub_nc_u32 v24, 29, v24 :: v_dual_bitop2_b32 v12, 7, v30 bitop3:0x40
; %bb.293:                              ;   in Loop: Header=BB175_264 Depth=1
	s_or_b32 exec_lo, exec_lo, s15
	s_delay_alu instid0(VALU_DEP_1) | instskip(NEXT) | instid1(VALU_DEP_2)
	v_dual_lshlrev_b32 v25, 24, v29 :: v_dual_lshlrev_b32 v12, 20, v12
	v_lshl_add_u32 v24, v24, 23, 0x3c000000
	s_delay_alu instid0(VALU_DEP_2) | instskip(NEXT) | instid1(VALU_DEP_1)
	v_and_b32_e32 v25, 0x80000000, v25
	v_or3_b32 v25, v12, v25, v24
	v_mov_b32_e32 v24, v13
.LBB175_294:                            ;   in Loop: Header=BB175_264 Depth=1
	s_or_b32 exec_lo, exec_lo, s14
.LBB175_295:                            ;   in Loop: Header=BB175_264 Depth=1
	s_delay_alu instid0(SALU_CYCLE_1)
	s_or_b32 exec_lo, exec_lo, s11
.LBB175_296:                            ;   in Loop: Header=BB175_264 Depth=1
	s_delay_alu instid0(SALU_CYCLE_1)
	s_or_b32 exec_lo, exec_lo, s0
	v_mov_b64_e32 v[28:29], s[2:3]
	v_dual_add_nc_u32 v57, 1, v54 :: v_dual_bitop2_b32 v19, v19, v21 bitop3:0x54
	v_dual_add_nc_u32 v49, 2, v54 :: v_dual_bitop2_b32 v18, v18, v20 bitop3:0x54
	;; [unrolled: 1-line block ×3, first 2 shown]
	v_or_b32_e32 v24, v24, v26
	v_cmp_eq_u32_e32 vcc_lo, s7, v56
	s_delay_alu instid0(VALU_DEP_4) | instskip(NEXT) | instid1(VALU_DEP_3)
	v_pk_mul_f32 v[20:21], v[28:29], v[18:19]
	v_pk_mul_f32 v[18:19], v[28:29], v[24:25]
	s_and_saveexec_b32 s11, vcc_lo
	s_cbranch_execz .LBB175_298
; %bb.297:                              ;   in Loop: Header=BB175_264 Depth=1
	v_cmp_gt_i32_e64 s0, s23, v54
	s_delay_alu instid0(VALU_DEP_1) | instskip(SKIP_1) | instid1(VALU_DEP_1)
	v_cndmask_b32_e64 v20, 0, v20, s0
	v_cmp_gt_i32_e64 s0, s23, v57
	v_cndmask_b32_e64 v21, 0, v21, s0
	v_cmp_gt_i32_e64 s0, s23, v49
	s_delay_alu instid0(VALU_DEP_1) | instskip(SKIP_1) | instid1(VALU_DEP_1)
	v_cndmask_b32_e64 v18, 0, v18, s0
	v_cmp_gt_i32_e64 s0, s23, v48
	v_cndmask_b32_e64 v19, 0, v19, s0
.LBB175_298:                            ;   in Loop: Header=BB175_264 Depth=1
	s_or_b32 exec_lo, exec_lo, s11
	global_load_b32 v32, v[22:23], off offset:128
	v_mov_b64_e32 v[24:25], 0
	v_mov_b64_e32 v[26:27], 0
	s_mov_b32 s11, exec_lo
	s_wait_loadcnt 0x0
	v_and_b32_e32 v12, 0xff, v32
	s_delay_alu instid0(VALU_DEP_1)
	v_cmpx_ne_u16_e32 0, v12
	s_cbranch_execz .LBB175_306
; %bb.299:                              ;   in Loop: Header=BB175_264 Depth=1
	v_mov_b64_e32 v[26:27], 0x80000000
	s_mov_b32 s14, exec_lo
	v_cmpx_ne_u16_e32 0x80, v12
	s_cbranch_execz .LBB175_305
; %bb.300:                              ;   in Loop: Header=BB175_264 Depth=1
	v_mov_b64_e32 v[26:27], 0x7f800001
	v_and_b32_e32 v28, 0x7f, v32
	s_mov_b32 s15, exec_lo
	s_delay_alu instid0(VALU_DEP_1)
	v_cmpx_ne_u32_e32 0x7f, v28
	s_cbranch_execz .LBB175_304
; %bb.301:                              ;   in Loop: Header=BB175_264 Depth=1
	v_and_b32_e32 v12, 7, v32
	v_lshrrev_b32_e32 v26, 3, v28
	s_mov_b32 s16, exec_lo
	v_cmpx_gt_u32_e32 8, v28
; %bb.302:                              ;   in Loop: Header=BB175_264 Depth=1
	s_delay_alu instid0(VALU_DEP_3) | instskip(NEXT) | instid1(VALU_DEP_1)
	v_clz_i32_u32_e32 v26, v12
	v_min_u32_e32 v26, 32, v26
	s_delay_alu instid0(VALU_DEP_1) | instskip(NEXT) | instid1(VALU_DEP_1)
	v_subrev_nc_u32_e32 v27, 28, v26
	v_lshlrev_b64_e32 v[28:29], v27, v[12:13]
	s_delay_alu instid0(VALU_DEP_1)
	v_dual_sub_nc_u32 v26, 29, v26 :: v_dual_bitop2_b32 v12, 7, v28 bitop3:0x40
; %bb.303:                              ;   in Loop: Header=BB175_264 Depth=1
	s_or_b32 exec_lo, exec_lo, s16
	v_lshlrev_b32_e32 v27, 24, v32
	s_delay_alu instid0(VALU_DEP_2) | instskip(NEXT) | instid1(VALU_DEP_3)
	v_lshlrev_b32_e32 v12, 20, v12
	v_lshl_add_u32 v26, v26, 23, 0x3c000000
	s_delay_alu instid0(VALU_DEP_3) | instskip(NEXT) | instid1(VALU_DEP_1)
	v_and_b32_e32 v27, 0x80000000, v27
	v_or3_b32 v12, v12, v27, v26
	s_delay_alu instid0(VALU_DEP_1)
	v_mov_b64_e32 v[26:27], v[12:13]
.LBB175_304:                            ;   in Loop: Header=BB175_264 Depth=1
	s_or_b32 exec_lo, exec_lo, s15
.LBB175_305:                            ;   in Loop: Header=BB175_264 Depth=1
	s_delay_alu instid0(SALU_CYCLE_1)
	s_or_b32 exec_lo, exec_lo, s14
.LBB175_306:                            ;   in Loop: Header=BB175_264 Depth=1
	s_delay_alu instid0(SALU_CYCLE_1) | instskip(SKIP_2) | instid1(VALU_DEP_1)
	s_or_b32 exec_lo, exec_lo, s11
	v_lshrrev_b16 v12, 8, v32
	s_mov_b32 s11, exec_lo
	v_cmpx_ne_u16_e32 0, v12
	s_cbranch_execz .LBB175_314
; %bb.307:                              ;   in Loop: Header=BB175_264 Depth=1
	v_mov_b64_e32 v[24:25], 0x8000000000000000
	s_mov_b32 s14, exec_lo
	v_cmpx_ne_u16_e32 0x80, v12
	s_cbranch_execz .LBB175_313
; %bb.308:                              ;   in Loop: Header=BB175_264 Depth=1
	v_and_b32_e32 v12, 0xffff, v12
	v_mov_b64_e32 v[24:25], 0x7f80000100000000
	s_mov_b32 s15, exec_lo
	s_delay_alu instid0(VALU_DEP_2) | instskip(NEXT) | instid1(VALU_DEP_1)
	v_and_b32_e32 v28, 0x7f, v12
	v_cmpx_ne_u32_e32 0x7f, v28
	s_cbranch_execz .LBB175_312
; %bb.309:                              ;   in Loop: Header=BB175_264 Depth=1
	v_and_b32_e32 v12, 7, v12
	v_lshrrev_b32_e32 v24, 3, v28
	s_mov_b32 s16, exec_lo
	v_cmpx_gt_u32_e32 8, v28
; %bb.310:                              ;   in Loop: Header=BB175_264 Depth=1
	s_delay_alu instid0(VALU_DEP_3) | instskip(NEXT) | instid1(VALU_DEP_1)
	v_clz_i32_u32_e32 v24, v12
	v_min_u32_e32 v24, 32, v24
	s_delay_alu instid0(VALU_DEP_1) | instskip(SKIP_1) | instid1(VALU_DEP_2)
	v_subrev_nc_u32_e32 v25, 28, v24
	v_sub_nc_u32_e32 v24, 29, v24
	v_lshlrev_b64_e32 v[28:29], v25, v[12:13]
	s_delay_alu instid0(VALU_DEP_1)
	v_and_b32_e32 v12, 7, v28
; %bb.311:                              ;   in Loop: Header=BB175_264 Depth=1
	s_or_b32 exec_lo, exec_lo, s16
	v_lshlrev_b32_e32 v25, 16, v32
	s_delay_alu instid0(VALU_DEP_2) | instskip(SKIP_1) | instid1(VALU_DEP_3)
	v_lshlrev_b32_e32 v12, 20, v12
	v_lshl_add_u32 v24, v24, 23, 0x3c000000
	v_and_b32_e32 v25, 0x80000000, v25
	s_delay_alu instid0(VALU_DEP_1)
	v_or3_b32 v25, v12, v25, v24
	v_mov_b32_e32 v24, v13
.LBB175_312:                            ;   in Loop: Header=BB175_264 Depth=1
	s_or_b32 exec_lo, exec_lo, s15
.LBB175_313:                            ;   in Loop: Header=BB175_264 Depth=1
	s_delay_alu instid0(SALU_CYCLE_1)
	s_or_b32 exec_lo, exec_lo, s14
.LBB175_314:                            ;   in Loop: Header=BB175_264 Depth=1
	s_delay_alu instid0(SALU_CYCLE_1) | instskip(SKIP_4) | instid1(VALU_DEP_3)
	s_or_b32 exec_lo, exec_lo, s11
	v_lshrrev_b32_e32 v33, 16, v32
	v_mov_b64_e32 v[28:29], 0
	v_mov_b64_e32 v[30:31], 0
	s_mov_b32 s11, exec_lo
	v_and_b32_e32 v12, 0xff, v33
	s_delay_alu instid0(VALU_DEP_1)
	v_cmpx_ne_u16_e32 0, v12
	s_cbranch_execz .LBB175_322
; %bb.315:                              ;   in Loop: Header=BB175_264 Depth=1
	v_mov_b64_e32 v[30:31], 0x80000000
	s_mov_b32 s14, exec_lo
	v_cmpx_ne_u16_e32 0x80, v12
	s_cbranch_execz .LBB175_321
; %bb.316:                              ;   in Loop: Header=BB175_264 Depth=1
	v_mov_b64_e32 v[30:31], 0x7f800001
	v_bfe_u32 v34, v32, 16, 7
	s_mov_b32 s15, exec_lo
	s_delay_alu instid0(VALU_DEP_1)
	v_cmpx_ne_u32_e32 0x7f, v34
	s_cbranch_execz .LBB175_320
; %bb.317:                              ;   in Loop: Header=BB175_264 Depth=1
	v_dual_lshrrev_b32 v30, 3, v34 :: v_dual_bitop2_b32 v12, 7, v33 bitop3:0x40
	s_mov_b32 s16, exec_lo
	v_cmpx_gt_u32_e32 8, v34
; %bb.318:                              ;   in Loop: Header=BB175_264 Depth=1
	s_delay_alu instid0(VALU_DEP_2) | instskip(NEXT) | instid1(VALU_DEP_1)
	v_clz_i32_u32_e32 v30, v12
	v_min_u32_e32 v30, 32, v30
	s_delay_alu instid0(VALU_DEP_1) | instskip(SKIP_1) | instid1(VALU_DEP_2)
	v_subrev_nc_u32_e32 v31, 28, v30
	v_sub_nc_u32_e32 v30, 29, v30
	v_lshlrev_b64_e32 v[34:35], v31, v[12:13]
	s_delay_alu instid0(VALU_DEP_1)
	v_and_b32_e32 v12, 7, v34
; %bb.319:                              ;   in Loop: Header=BB175_264 Depth=1
	s_or_b32 exec_lo, exec_lo, s16
	s_delay_alu instid0(VALU_DEP_1) | instskip(SKIP_1) | instid1(VALU_DEP_2)
	v_dual_lshlrev_b32 v31, 24, v33 :: v_dual_lshlrev_b32 v12, 20, v12
	v_lshl_add_u32 v30, v30, 23, 0x3c000000
	v_and_b32_e32 v31, 0x80000000, v31
	s_delay_alu instid0(VALU_DEP_1) | instskip(NEXT) | instid1(VALU_DEP_1)
	v_or3_b32 v12, v12, v31, v30
	v_mov_b64_e32 v[30:31], v[12:13]
.LBB175_320:                            ;   in Loop: Header=BB175_264 Depth=1
	s_or_b32 exec_lo, exec_lo, s15
.LBB175_321:                            ;   in Loop: Header=BB175_264 Depth=1
	s_delay_alu instid0(SALU_CYCLE_1)
	s_or_b32 exec_lo, exec_lo, s14
.LBB175_322:                            ;   in Loop: Header=BB175_264 Depth=1
	s_delay_alu instid0(SALU_CYCLE_1) | instskip(NEXT) | instid1(SALU_CYCLE_1)
	s_or_b32 exec_lo, exec_lo, s11
	s_mov_b32 s11, exec_lo
	v_cmpx_lt_u32_e32 0xffffff, v32
	s_cbranch_execz .LBB175_330
; %bb.323:                              ;   in Loop: Header=BB175_264 Depth=1
	v_mov_b64_e32 v[28:29], 0x8000000000000000
	v_lshrrev_b32_e32 v33, 24, v32
	s_mov_b32 s14, exec_lo
	s_delay_alu instid0(VALU_DEP_1)
	v_cmpx_ne_u32_e32 0x80, v33
	s_cbranch_execz .LBB175_329
; %bb.324:                              ;   in Loop: Header=BB175_264 Depth=1
	v_mov_b64_e32 v[28:29], 0x7f80000100000000
	v_bfe_u32 v32, v32, 24, 7
	s_mov_b32 s15, exec_lo
	s_delay_alu instid0(VALU_DEP_1)
	v_cmpx_ne_u32_e32 0x7f, v32
	s_cbranch_execz .LBB175_328
; %bb.325:                              ;   in Loop: Header=BB175_264 Depth=1
	v_dual_lshrrev_b32 v28, 3, v32 :: v_dual_bitop2_b32 v12, 7, v33 bitop3:0x40
	s_mov_b32 s16, exec_lo
	v_cmpx_gt_u32_e32 8, v32
; %bb.326:                              ;   in Loop: Header=BB175_264 Depth=1
	s_delay_alu instid0(VALU_DEP_2) | instskip(NEXT) | instid1(VALU_DEP_1)
	v_clz_i32_u32_e32 v28, v12
	v_min_u32_e32 v28, 32, v28
	s_delay_alu instid0(VALU_DEP_1) | instskip(NEXT) | instid1(VALU_DEP_1)
	v_subrev_nc_u32_e32 v29, 28, v28
	v_lshlrev_b64_e32 v[34:35], v29, v[12:13]
	s_delay_alu instid0(VALU_DEP_1)
	v_dual_sub_nc_u32 v28, 29, v28 :: v_dual_bitop2_b32 v12, 7, v34 bitop3:0x40
; %bb.327:                              ;   in Loop: Header=BB175_264 Depth=1
	s_or_b32 exec_lo, exec_lo, s16
	s_delay_alu instid0(VALU_DEP_1) | instskip(NEXT) | instid1(VALU_DEP_2)
	v_dual_lshlrev_b32 v29, 24, v33 :: v_dual_lshlrev_b32 v12, 20, v12
	v_lshl_add_u32 v28, v28, 23, 0x3c000000
	s_delay_alu instid0(VALU_DEP_2) | instskip(NEXT) | instid1(VALU_DEP_1)
	v_and_b32_e32 v29, 0x80000000, v29
	v_or3_b32 v29, v12, v29, v28
	v_mov_b32_e32 v28, v13
.LBB175_328:                            ;   in Loop: Header=BB175_264 Depth=1
	s_or_b32 exec_lo, exec_lo, s15
.LBB175_329:                            ;   in Loop: Header=BB175_264 Depth=1
	s_delay_alu instid0(SALU_CYCLE_1)
	s_or_b32 exec_lo, exec_lo, s14
.LBB175_330:                            ;   in Loop: Header=BB175_264 Depth=1
	s_delay_alu instid0(SALU_CYCLE_1)
	s_or_b32 exec_lo, exec_lo, s11
	v_mov_b64_e32 v[32:33], s[2:3]
	v_or_b32_e32 v25, v25, v27
	v_or_b32_e32 v24, v24, v26
	;; [unrolled: 1-line block ×4, first 2 shown]
	s_delay_alu instid0(VALU_DEP_3) | instskip(NEXT) | instid1(VALU_DEP_2)
	v_pk_mul_f32 v[26:27], v[32:33], v[24:25]
	v_pk_mul_f32 v[24:25], v[32:33], v[28:29]
	s_and_saveexec_b32 s11, vcc_lo
	s_cbranch_execz .LBB175_332
; %bb.331:                              ;   in Loop: Header=BB175_264 Depth=1
	v_cmp_gt_i32_e64 s0, s23, v54
	s_delay_alu instid0(VALU_DEP_1) | instskip(SKIP_1) | instid1(VALU_DEP_1)
	v_cndmask_b32_e64 v26, 0, v26, s0
	v_cmp_gt_i32_e64 s0, s23, v57
	v_cndmask_b32_e64 v27, 0, v27, s0
	v_cmp_gt_i32_e64 s0, s23, v49
	s_delay_alu instid0(VALU_DEP_1) | instskip(SKIP_1) | instid1(VALU_DEP_1)
	v_cndmask_b32_e64 v24, 0, v24, s0
	v_cmp_gt_i32_e64 s0, s23, v48
	v_cndmask_b32_e64 v25, 0, v25, s0
.LBB175_332:                            ;   in Loop: Header=BB175_264 Depth=1
	s_or_b32 exec_lo, exec_lo, s11
	global_load_b32 v36, v[22:23], off offset:256
	v_mov_b64_e32 v[28:29], 0
	v_mov_b64_e32 v[30:31], 0
	s_mov_b32 s11, exec_lo
	s_wait_loadcnt 0x0
	v_and_b32_e32 v12, 0xff, v36
	s_delay_alu instid0(VALU_DEP_1)
	v_cmpx_ne_u16_e32 0, v12
	s_cbranch_execz .LBB175_340
; %bb.333:                              ;   in Loop: Header=BB175_264 Depth=1
	v_mov_b64_e32 v[30:31], 0x80000000
	s_mov_b32 s14, exec_lo
	v_cmpx_ne_u16_e32 0x80, v12
	s_cbranch_execz .LBB175_339
; %bb.334:                              ;   in Loop: Header=BB175_264 Depth=1
	v_mov_b64_e32 v[30:31], 0x7f800001
	v_and_b32_e32 v32, 0x7f, v36
	s_mov_b32 s15, exec_lo
	s_delay_alu instid0(VALU_DEP_1)
	v_cmpx_ne_u32_e32 0x7f, v32
	s_cbranch_execz .LBB175_338
; %bb.335:                              ;   in Loop: Header=BB175_264 Depth=1
	v_and_b32_e32 v12, 7, v36
	v_lshrrev_b32_e32 v30, 3, v32
	s_mov_b32 s16, exec_lo
	v_cmpx_gt_u32_e32 8, v32
; %bb.336:                              ;   in Loop: Header=BB175_264 Depth=1
	s_delay_alu instid0(VALU_DEP_3) | instskip(NEXT) | instid1(VALU_DEP_1)
	v_clz_i32_u32_e32 v30, v12
	v_min_u32_e32 v30, 32, v30
	s_delay_alu instid0(VALU_DEP_1) | instskip(NEXT) | instid1(VALU_DEP_1)
	v_subrev_nc_u32_e32 v31, 28, v30
	v_lshlrev_b64_e32 v[32:33], v31, v[12:13]
	s_delay_alu instid0(VALU_DEP_1)
	v_dual_sub_nc_u32 v30, 29, v30 :: v_dual_bitop2_b32 v12, 7, v32 bitop3:0x40
; %bb.337:                              ;   in Loop: Header=BB175_264 Depth=1
	s_or_b32 exec_lo, exec_lo, s16
	v_lshlrev_b32_e32 v31, 24, v36
	s_delay_alu instid0(VALU_DEP_2) | instskip(NEXT) | instid1(VALU_DEP_3)
	v_lshlrev_b32_e32 v12, 20, v12
	v_lshl_add_u32 v30, v30, 23, 0x3c000000
	s_delay_alu instid0(VALU_DEP_3) | instskip(NEXT) | instid1(VALU_DEP_1)
	v_and_b32_e32 v31, 0x80000000, v31
	v_or3_b32 v12, v12, v31, v30
	s_delay_alu instid0(VALU_DEP_1)
	v_mov_b64_e32 v[30:31], v[12:13]
.LBB175_338:                            ;   in Loop: Header=BB175_264 Depth=1
	s_or_b32 exec_lo, exec_lo, s15
.LBB175_339:                            ;   in Loop: Header=BB175_264 Depth=1
	s_delay_alu instid0(SALU_CYCLE_1)
	s_or_b32 exec_lo, exec_lo, s14
.LBB175_340:                            ;   in Loop: Header=BB175_264 Depth=1
	s_delay_alu instid0(SALU_CYCLE_1) | instskip(SKIP_2) | instid1(VALU_DEP_1)
	s_or_b32 exec_lo, exec_lo, s11
	v_lshrrev_b16 v12, 8, v36
	s_mov_b32 s11, exec_lo
	v_cmpx_ne_u16_e32 0, v12
	s_cbranch_execz .LBB175_348
; %bb.341:                              ;   in Loop: Header=BB175_264 Depth=1
	v_mov_b64_e32 v[28:29], 0x8000000000000000
	s_mov_b32 s14, exec_lo
	v_cmpx_ne_u16_e32 0x80, v12
	s_cbranch_execz .LBB175_347
; %bb.342:                              ;   in Loop: Header=BB175_264 Depth=1
	v_and_b32_e32 v12, 0xffff, v12
	v_mov_b64_e32 v[28:29], 0x7f80000100000000
	s_mov_b32 s15, exec_lo
	s_delay_alu instid0(VALU_DEP_2) | instskip(NEXT) | instid1(VALU_DEP_1)
	v_and_b32_e32 v32, 0x7f, v12
	v_cmpx_ne_u32_e32 0x7f, v32
	s_cbranch_execz .LBB175_346
; %bb.343:                              ;   in Loop: Header=BB175_264 Depth=1
	v_and_b32_e32 v12, 7, v12
	v_lshrrev_b32_e32 v28, 3, v32
	s_mov_b32 s16, exec_lo
	v_cmpx_gt_u32_e32 8, v32
; %bb.344:                              ;   in Loop: Header=BB175_264 Depth=1
	s_delay_alu instid0(VALU_DEP_3) | instskip(NEXT) | instid1(VALU_DEP_1)
	v_clz_i32_u32_e32 v28, v12
	v_min_u32_e32 v28, 32, v28
	s_delay_alu instid0(VALU_DEP_1) | instskip(SKIP_1) | instid1(VALU_DEP_2)
	v_subrev_nc_u32_e32 v29, 28, v28
	v_sub_nc_u32_e32 v28, 29, v28
	v_lshlrev_b64_e32 v[32:33], v29, v[12:13]
	s_delay_alu instid0(VALU_DEP_1)
	v_and_b32_e32 v12, 7, v32
; %bb.345:                              ;   in Loop: Header=BB175_264 Depth=1
	s_or_b32 exec_lo, exec_lo, s16
	v_lshlrev_b32_e32 v29, 16, v36
	s_delay_alu instid0(VALU_DEP_2) | instskip(SKIP_1) | instid1(VALU_DEP_3)
	v_lshlrev_b32_e32 v12, 20, v12
	v_lshl_add_u32 v28, v28, 23, 0x3c000000
	v_and_b32_e32 v29, 0x80000000, v29
	s_delay_alu instid0(VALU_DEP_1)
	v_or3_b32 v29, v12, v29, v28
	v_mov_b32_e32 v28, v13
.LBB175_346:                            ;   in Loop: Header=BB175_264 Depth=1
	s_or_b32 exec_lo, exec_lo, s15
.LBB175_347:                            ;   in Loop: Header=BB175_264 Depth=1
	s_delay_alu instid0(SALU_CYCLE_1)
	s_or_b32 exec_lo, exec_lo, s14
.LBB175_348:                            ;   in Loop: Header=BB175_264 Depth=1
	s_delay_alu instid0(SALU_CYCLE_1) | instskip(SKIP_4) | instid1(VALU_DEP_3)
	s_or_b32 exec_lo, exec_lo, s11
	v_lshrrev_b32_e32 v37, 16, v36
	v_mov_b64_e32 v[32:33], 0
	v_mov_b64_e32 v[34:35], 0
	s_mov_b32 s11, exec_lo
	v_and_b32_e32 v12, 0xff, v37
	s_delay_alu instid0(VALU_DEP_1)
	v_cmpx_ne_u16_e32 0, v12
	s_cbranch_execz .LBB175_356
; %bb.349:                              ;   in Loop: Header=BB175_264 Depth=1
	v_mov_b64_e32 v[34:35], 0x80000000
	s_mov_b32 s14, exec_lo
	v_cmpx_ne_u16_e32 0x80, v12
	s_cbranch_execz .LBB175_355
; %bb.350:                              ;   in Loop: Header=BB175_264 Depth=1
	v_mov_b64_e32 v[34:35], 0x7f800001
	v_bfe_u32 v38, v36, 16, 7
	s_mov_b32 s15, exec_lo
	s_delay_alu instid0(VALU_DEP_1)
	v_cmpx_ne_u32_e32 0x7f, v38
	s_cbranch_execz .LBB175_354
; %bb.351:                              ;   in Loop: Header=BB175_264 Depth=1
	v_dual_lshrrev_b32 v34, 3, v38 :: v_dual_bitop2_b32 v12, 7, v37 bitop3:0x40
	s_mov_b32 s16, exec_lo
	v_cmpx_gt_u32_e32 8, v38
; %bb.352:                              ;   in Loop: Header=BB175_264 Depth=1
	s_delay_alu instid0(VALU_DEP_2) | instskip(NEXT) | instid1(VALU_DEP_1)
	v_clz_i32_u32_e32 v34, v12
	v_min_u32_e32 v34, 32, v34
	s_delay_alu instid0(VALU_DEP_1) | instskip(SKIP_1) | instid1(VALU_DEP_2)
	v_subrev_nc_u32_e32 v35, 28, v34
	v_sub_nc_u32_e32 v34, 29, v34
	v_lshlrev_b64_e32 v[38:39], v35, v[12:13]
	s_delay_alu instid0(VALU_DEP_1)
	v_and_b32_e32 v12, 7, v38
; %bb.353:                              ;   in Loop: Header=BB175_264 Depth=1
	s_or_b32 exec_lo, exec_lo, s16
	s_delay_alu instid0(VALU_DEP_1) | instskip(SKIP_1) | instid1(VALU_DEP_2)
	v_dual_lshlrev_b32 v35, 24, v37 :: v_dual_lshlrev_b32 v12, 20, v12
	v_lshl_add_u32 v34, v34, 23, 0x3c000000
	v_and_b32_e32 v35, 0x80000000, v35
	s_delay_alu instid0(VALU_DEP_1) | instskip(NEXT) | instid1(VALU_DEP_1)
	v_or3_b32 v12, v12, v35, v34
	v_mov_b64_e32 v[34:35], v[12:13]
.LBB175_354:                            ;   in Loop: Header=BB175_264 Depth=1
	s_or_b32 exec_lo, exec_lo, s15
.LBB175_355:                            ;   in Loop: Header=BB175_264 Depth=1
	s_delay_alu instid0(SALU_CYCLE_1)
	s_or_b32 exec_lo, exec_lo, s14
.LBB175_356:                            ;   in Loop: Header=BB175_264 Depth=1
	s_delay_alu instid0(SALU_CYCLE_1) | instskip(NEXT) | instid1(SALU_CYCLE_1)
	s_or_b32 exec_lo, exec_lo, s11
	s_mov_b32 s11, exec_lo
	v_cmpx_lt_u32_e32 0xffffff, v36
	s_cbranch_execz .LBB175_364
; %bb.357:                              ;   in Loop: Header=BB175_264 Depth=1
	v_mov_b64_e32 v[32:33], 0x8000000000000000
	v_lshrrev_b32_e32 v37, 24, v36
	s_mov_b32 s14, exec_lo
	s_delay_alu instid0(VALU_DEP_1)
	v_cmpx_ne_u32_e32 0x80, v37
	s_cbranch_execz .LBB175_363
; %bb.358:                              ;   in Loop: Header=BB175_264 Depth=1
	v_mov_b64_e32 v[32:33], 0x7f80000100000000
	v_bfe_u32 v36, v36, 24, 7
	s_mov_b32 s15, exec_lo
	s_delay_alu instid0(VALU_DEP_1)
	v_cmpx_ne_u32_e32 0x7f, v36
	s_cbranch_execz .LBB175_362
; %bb.359:                              ;   in Loop: Header=BB175_264 Depth=1
	v_dual_lshrrev_b32 v32, 3, v36 :: v_dual_bitop2_b32 v12, 7, v37 bitop3:0x40
	s_mov_b32 s16, exec_lo
	v_cmpx_gt_u32_e32 8, v36
; %bb.360:                              ;   in Loop: Header=BB175_264 Depth=1
	s_delay_alu instid0(VALU_DEP_2) | instskip(NEXT) | instid1(VALU_DEP_1)
	v_clz_i32_u32_e32 v32, v12
	v_min_u32_e32 v32, 32, v32
	s_delay_alu instid0(VALU_DEP_1) | instskip(NEXT) | instid1(VALU_DEP_1)
	v_subrev_nc_u32_e32 v33, 28, v32
	v_lshlrev_b64_e32 v[38:39], v33, v[12:13]
	s_delay_alu instid0(VALU_DEP_1)
	v_dual_sub_nc_u32 v32, 29, v32 :: v_dual_bitop2_b32 v12, 7, v38 bitop3:0x40
; %bb.361:                              ;   in Loop: Header=BB175_264 Depth=1
	s_or_b32 exec_lo, exec_lo, s16
	s_delay_alu instid0(VALU_DEP_1) | instskip(NEXT) | instid1(VALU_DEP_2)
	v_dual_lshlrev_b32 v33, 24, v37 :: v_dual_lshlrev_b32 v12, 20, v12
	v_lshl_add_u32 v32, v32, 23, 0x3c000000
	s_delay_alu instid0(VALU_DEP_2) | instskip(NEXT) | instid1(VALU_DEP_1)
	v_and_b32_e32 v33, 0x80000000, v33
	v_or3_b32 v33, v12, v33, v32
	v_mov_b32_e32 v32, v13
.LBB175_362:                            ;   in Loop: Header=BB175_264 Depth=1
	s_or_b32 exec_lo, exec_lo, s15
.LBB175_363:                            ;   in Loop: Header=BB175_264 Depth=1
	s_delay_alu instid0(SALU_CYCLE_1)
	s_or_b32 exec_lo, exec_lo, s14
.LBB175_364:                            ;   in Loop: Header=BB175_264 Depth=1
	s_delay_alu instid0(SALU_CYCLE_1)
	s_or_b32 exec_lo, exec_lo, s11
	v_mov_b64_e32 v[36:37], s[2:3]
	v_or_b32_e32 v29, v29, v31
	v_or_b32_e32 v28, v28, v30
	v_or_b32_e32 v33, v33, v35
	v_or_b32_e32 v32, v32, v34
	s_delay_alu instid0(VALU_DEP_3) | instskip(NEXT) | instid1(VALU_DEP_2)
	v_pk_mul_f32 v[30:31], v[36:37], v[28:29]
	v_pk_mul_f32 v[28:29], v[36:37], v[32:33]
	s_and_saveexec_b32 s11, vcc_lo
	s_cbranch_execz .LBB175_366
; %bb.365:                              ;   in Loop: Header=BB175_264 Depth=1
	v_cmp_gt_i32_e64 s0, s23, v54
	s_delay_alu instid0(VALU_DEP_1) | instskip(SKIP_1) | instid1(VALU_DEP_1)
	v_cndmask_b32_e64 v30, 0, v30, s0
	v_cmp_gt_i32_e64 s0, s23, v57
	v_cndmask_b32_e64 v31, 0, v31, s0
	v_cmp_gt_i32_e64 s0, s23, v49
	s_delay_alu instid0(VALU_DEP_1) | instskip(SKIP_1) | instid1(VALU_DEP_1)
	v_cndmask_b32_e64 v28, 0, v28, s0
	v_cmp_gt_i32_e64 s0, s23, v48
	v_cndmask_b32_e64 v29, 0, v29, s0
.LBB175_366:                            ;   in Loop: Header=BB175_264 Depth=1
	s_or_b32 exec_lo, exec_lo, s11
	global_load_b32 v40, v[22:23], off offset:384
	v_mov_b64_e32 v[32:33], 0
	v_mov_b64_e32 v[34:35], 0
	s_mov_b32 s11, exec_lo
	s_wait_loadcnt 0x0
	v_and_b32_e32 v12, 0xff, v40
	s_delay_alu instid0(VALU_DEP_1)
	v_cmpx_ne_u16_e32 0, v12
	s_cbranch_execz .LBB175_374
; %bb.367:                              ;   in Loop: Header=BB175_264 Depth=1
	v_mov_b64_e32 v[34:35], 0x80000000
	s_mov_b32 s14, exec_lo
	v_cmpx_ne_u16_e32 0x80, v12
	s_cbranch_execz .LBB175_373
; %bb.368:                              ;   in Loop: Header=BB175_264 Depth=1
	v_mov_b64_e32 v[34:35], 0x7f800001
	v_and_b32_e32 v36, 0x7f, v40
	s_mov_b32 s15, exec_lo
	s_delay_alu instid0(VALU_DEP_1)
	v_cmpx_ne_u32_e32 0x7f, v36
	s_cbranch_execz .LBB175_372
; %bb.369:                              ;   in Loop: Header=BB175_264 Depth=1
	v_and_b32_e32 v12, 7, v40
	v_lshrrev_b32_e32 v34, 3, v36
	s_mov_b32 s16, exec_lo
	v_cmpx_gt_u32_e32 8, v36
; %bb.370:                              ;   in Loop: Header=BB175_264 Depth=1
	s_delay_alu instid0(VALU_DEP_3) | instskip(NEXT) | instid1(VALU_DEP_1)
	v_clz_i32_u32_e32 v34, v12
	v_min_u32_e32 v34, 32, v34
	s_delay_alu instid0(VALU_DEP_1) | instskip(NEXT) | instid1(VALU_DEP_1)
	v_subrev_nc_u32_e32 v35, 28, v34
	v_lshlrev_b64_e32 v[36:37], v35, v[12:13]
	s_delay_alu instid0(VALU_DEP_1)
	v_dual_sub_nc_u32 v34, 29, v34 :: v_dual_bitop2_b32 v12, 7, v36 bitop3:0x40
; %bb.371:                              ;   in Loop: Header=BB175_264 Depth=1
	s_or_b32 exec_lo, exec_lo, s16
	v_lshlrev_b32_e32 v35, 24, v40
	s_delay_alu instid0(VALU_DEP_2) | instskip(NEXT) | instid1(VALU_DEP_3)
	v_lshlrev_b32_e32 v12, 20, v12
	v_lshl_add_u32 v34, v34, 23, 0x3c000000
	s_delay_alu instid0(VALU_DEP_3) | instskip(NEXT) | instid1(VALU_DEP_1)
	v_and_b32_e32 v35, 0x80000000, v35
	v_or3_b32 v12, v12, v35, v34
	s_delay_alu instid0(VALU_DEP_1)
	v_mov_b64_e32 v[34:35], v[12:13]
.LBB175_372:                            ;   in Loop: Header=BB175_264 Depth=1
	s_or_b32 exec_lo, exec_lo, s15
.LBB175_373:                            ;   in Loop: Header=BB175_264 Depth=1
	s_delay_alu instid0(SALU_CYCLE_1)
	s_or_b32 exec_lo, exec_lo, s14
.LBB175_374:                            ;   in Loop: Header=BB175_264 Depth=1
	s_delay_alu instid0(SALU_CYCLE_1) | instskip(SKIP_2) | instid1(VALU_DEP_1)
	s_or_b32 exec_lo, exec_lo, s11
	v_lshrrev_b16 v12, 8, v40
	s_mov_b32 s11, exec_lo
	v_cmpx_ne_u16_e32 0, v12
	s_cbranch_execz .LBB175_382
; %bb.375:                              ;   in Loop: Header=BB175_264 Depth=1
	v_mov_b64_e32 v[32:33], 0x8000000000000000
	s_mov_b32 s14, exec_lo
	v_cmpx_ne_u16_e32 0x80, v12
	s_cbranch_execz .LBB175_381
; %bb.376:                              ;   in Loop: Header=BB175_264 Depth=1
	v_and_b32_e32 v12, 0xffff, v12
	v_mov_b64_e32 v[32:33], 0x7f80000100000000
	s_mov_b32 s15, exec_lo
	s_delay_alu instid0(VALU_DEP_2) | instskip(NEXT) | instid1(VALU_DEP_1)
	v_and_b32_e32 v36, 0x7f, v12
	v_cmpx_ne_u32_e32 0x7f, v36
	s_cbranch_execz .LBB175_380
; %bb.377:                              ;   in Loop: Header=BB175_264 Depth=1
	v_and_b32_e32 v12, 7, v12
	v_lshrrev_b32_e32 v32, 3, v36
	s_mov_b32 s16, exec_lo
	v_cmpx_gt_u32_e32 8, v36
; %bb.378:                              ;   in Loop: Header=BB175_264 Depth=1
	s_delay_alu instid0(VALU_DEP_3) | instskip(NEXT) | instid1(VALU_DEP_1)
	v_clz_i32_u32_e32 v32, v12
	v_min_u32_e32 v32, 32, v32
	s_delay_alu instid0(VALU_DEP_1) | instskip(SKIP_1) | instid1(VALU_DEP_2)
	v_subrev_nc_u32_e32 v33, 28, v32
	v_sub_nc_u32_e32 v32, 29, v32
	v_lshlrev_b64_e32 v[36:37], v33, v[12:13]
	s_delay_alu instid0(VALU_DEP_1)
	v_and_b32_e32 v12, 7, v36
; %bb.379:                              ;   in Loop: Header=BB175_264 Depth=1
	s_or_b32 exec_lo, exec_lo, s16
	v_lshlrev_b32_e32 v33, 16, v40
	s_delay_alu instid0(VALU_DEP_2) | instskip(SKIP_1) | instid1(VALU_DEP_3)
	v_lshlrev_b32_e32 v12, 20, v12
	v_lshl_add_u32 v32, v32, 23, 0x3c000000
	v_and_b32_e32 v33, 0x80000000, v33
	s_delay_alu instid0(VALU_DEP_1)
	v_or3_b32 v33, v12, v33, v32
	v_mov_b32_e32 v32, v13
.LBB175_380:                            ;   in Loop: Header=BB175_264 Depth=1
	s_or_b32 exec_lo, exec_lo, s15
.LBB175_381:                            ;   in Loop: Header=BB175_264 Depth=1
	s_delay_alu instid0(SALU_CYCLE_1)
	s_or_b32 exec_lo, exec_lo, s14
.LBB175_382:                            ;   in Loop: Header=BB175_264 Depth=1
	s_delay_alu instid0(SALU_CYCLE_1) | instskip(SKIP_4) | instid1(VALU_DEP_3)
	s_or_b32 exec_lo, exec_lo, s11
	v_lshrrev_b32_e32 v41, 16, v40
	v_mov_b64_e32 v[36:37], 0
	v_mov_b64_e32 v[38:39], 0
	s_mov_b32 s11, exec_lo
	v_and_b32_e32 v12, 0xff, v41
	s_delay_alu instid0(VALU_DEP_1)
	v_cmpx_ne_u16_e32 0, v12
	s_cbranch_execz .LBB175_390
; %bb.383:                              ;   in Loop: Header=BB175_264 Depth=1
	v_mov_b64_e32 v[38:39], 0x80000000
	s_mov_b32 s14, exec_lo
	v_cmpx_ne_u16_e32 0x80, v12
	s_cbranch_execz .LBB175_389
; %bb.384:                              ;   in Loop: Header=BB175_264 Depth=1
	v_mov_b64_e32 v[38:39], 0x7f800001
	v_bfe_u32 v42, v40, 16, 7
	s_mov_b32 s15, exec_lo
	s_delay_alu instid0(VALU_DEP_1)
	v_cmpx_ne_u32_e32 0x7f, v42
	s_cbranch_execz .LBB175_388
; %bb.385:                              ;   in Loop: Header=BB175_264 Depth=1
	v_dual_lshrrev_b32 v38, 3, v42 :: v_dual_bitop2_b32 v12, 7, v41 bitop3:0x40
	s_mov_b32 s16, exec_lo
	v_cmpx_gt_u32_e32 8, v42
; %bb.386:                              ;   in Loop: Header=BB175_264 Depth=1
	s_delay_alu instid0(VALU_DEP_2) | instskip(NEXT) | instid1(VALU_DEP_1)
	v_clz_i32_u32_e32 v38, v12
	v_min_u32_e32 v38, 32, v38
	s_delay_alu instid0(VALU_DEP_1) | instskip(SKIP_1) | instid1(VALU_DEP_2)
	v_subrev_nc_u32_e32 v39, 28, v38
	v_sub_nc_u32_e32 v38, 29, v38
	v_lshlrev_b64_e32 v[42:43], v39, v[12:13]
	s_delay_alu instid0(VALU_DEP_1)
	v_and_b32_e32 v12, 7, v42
; %bb.387:                              ;   in Loop: Header=BB175_264 Depth=1
	s_or_b32 exec_lo, exec_lo, s16
	s_delay_alu instid0(VALU_DEP_1) | instskip(SKIP_1) | instid1(VALU_DEP_2)
	v_dual_lshlrev_b32 v39, 24, v41 :: v_dual_lshlrev_b32 v12, 20, v12
	v_lshl_add_u32 v38, v38, 23, 0x3c000000
	v_and_b32_e32 v39, 0x80000000, v39
	s_delay_alu instid0(VALU_DEP_1) | instskip(NEXT) | instid1(VALU_DEP_1)
	v_or3_b32 v12, v12, v39, v38
	v_mov_b64_e32 v[38:39], v[12:13]
.LBB175_388:                            ;   in Loop: Header=BB175_264 Depth=1
	s_or_b32 exec_lo, exec_lo, s15
.LBB175_389:                            ;   in Loop: Header=BB175_264 Depth=1
	s_delay_alu instid0(SALU_CYCLE_1)
	s_or_b32 exec_lo, exec_lo, s14
.LBB175_390:                            ;   in Loop: Header=BB175_264 Depth=1
	s_delay_alu instid0(SALU_CYCLE_1) | instskip(NEXT) | instid1(SALU_CYCLE_1)
	s_or_b32 exec_lo, exec_lo, s11
	s_mov_b32 s11, exec_lo
	v_cmpx_lt_u32_e32 0xffffff, v40
	s_cbranch_execz .LBB175_398
; %bb.391:                              ;   in Loop: Header=BB175_264 Depth=1
	v_mov_b64_e32 v[36:37], 0x8000000000000000
	v_lshrrev_b32_e32 v41, 24, v40
	s_mov_b32 s14, exec_lo
	s_delay_alu instid0(VALU_DEP_1)
	v_cmpx_ne_u32_e32 0x80, v41
	s_cbranch_execz .LBB175_397
; %bb.392:                              ;   in Loop: Header=BB175_264 Depth=1
	v_mov_b64_e32 v[36:37], 0x7f80000100000000
	v_bfe_u32 v40, v40, 24, 7
	s_mov_b32 s15, exec_lo
	s_delay_alu instid0(VALU_DEP_1)
	v_cmpx_ne_u32_e32 0x7f, v40
	s_cbranch_execz .LBB175_396
; %bb.393:                              ;   in Loop: Header=BB175_264 Depth=1
	v_dual_lshrrev_b32 v36, 3, v40 :: v_dual_bitop2_b32 v12, 7, v41 bitop3:0x40
	s_mov_b32 s16, exec_lo
	v_cmpx_gt_u32_e32 8, v40
; %bb.394:                              ;   in Loop: Header=BB175_264 Depth=1
	s_delay_alu instid0(VALU_DEP_2) | instskip(NEXT) | instid1(VALU_DEP_1)
	v_clz_i32_u32_e32 v36, v12
	v_min_u32_e32 v36, 32, v36
	s_delay_alu instid0(VALU_DEP_1) | instskip(NEXT) | instid1(VALU_DEP_1)
	v_subrev_nc_u32_e32 v37, 28, v36
	v_lshlrev_b64_e32 v[42:43], v37, v[12:13]
	s_delay_alu instid0(VALU_DEP_1)
	v_dual_sub_nc_u32 v36, 29, v36 :: v_dual_bitop2_b32 v12, 7, v42 bitop3:0x40
; %bb.395:                              ;   in Loop: Header=BB175_264 Depth=1
	s_or_b32 exec_lo, exec_lo, s16
	s_delay_alu instid0(VALU_DEP_1) | instskip(NEXT) | instid1(VALU_DEP_2)
	v_dual_lshlrev_b32 v37, 24, v41 :: v_dual_lshlrev_b32 v12, 20, v12
	v_lshl_add_u32 v36, v36, 23, 0x3c000000
	s_delay_alu instid0(VALU_DEP_2) | instskip(NEXT) | instid1(VALU_DEP_1)
	v_and_b32_e32 v37, 0x80000000, v37
	v_or3_b32 v37, v12, v37, v36
	v_mov_b32_e32 v36, v13
.LBB175_396:                            ;   in Loop: Header=BB175_264 Depth=1
	s_or_b32 exec_lo, exec_lo, s15
.LBB175_397:                            ;   in Loop: Header=BB175_264 Depth=1
	s_delay_alu instid0(SALU_CYCLE_1)
	s_or_b32 exec_lo, exec_lo, s14
.LBB175_398:                            ;   in Loop: Header=BB175_264 Depth=1
	s_delay_alu instid0(SALU_CYCLE_1)
	s_or_b32 exec_lo, exec_lo, s11
	v_mov_b64_e32 v[40:41], s[2:3]
	v_or_b32_e32 v33, v33, v35
	v_or_b32_e32 v32, v32, v34
	;; [unrolled: 1-line block ×4, first 2 shown]
	s_delay_alu instid0(VALU_DEP_3) | instskip(NEXT) | instid1(VALU_DEP_2)
	v_pk_mul_f32 v[34:35], v[40:41], v[32:33]
	v_pk_mul_f32 v[32:33], v[40:41], v[36:37]
	s_and_saveexec_b32 s11, vcc_lo
	s_cbranch_execz .LBB175_400
; %bb.399:                              ;   in Loop: Header=BB175_264 Depth=1
	v_cmp_gt_i32_e64 s0, s23, v54
	s_delay_alu instid0(VALU_DEP_1) | instskip(SKIP_1) | instid1(VALU_DEP_1)
	v_cndmask_b32_e64 v34, 0, v34, s0
	v_cmp_gt_i32_e64 s0, s23, v57
	v_cndmask_b32_e64 v35, 0, v35, s0
	v_cmp_gt_i32_e64 s0, s23, v49
	s_delay_alu instid0(VALU_DEP_1) | instskip(SKIP_1) | instid1(VALU_DEP_1)
	v_cndmask_b32_e64 v32, 0, v32, s0
	v_cmp_gt_i32_e64 s0, s23, v48
	v_cndmask_b32_e64 v33, 0, v33, s0
.LBB175_400:                            ;   in Loop: Header=BB175_264 Depth=1
	s_or_b32 exec_lo, exec_lo, s11
	global_load_b32 v44, v[22:23], off offset:512
	v_mov_b64_e32 v[36:37], 0
	v_mov_b64_e32 v[38:39], 0
	s_mov_b32 s11, exec_lo
	s_wait_loadcnt 0x0
	v_and_b32_e32 v12, 0xff, v44
	s_delay_alu instid0(VALU_DEP_1)
	v_cmpx_ne_u16_e32 0, v12
	s_cbranch_execz .LBB175_408
; %bb.401:                              ;   in Loop: Header=BB175_264 Depth=1
	v_mov_b64_e32 v[38:39], 0x80000000
	s_mov_b32 s14, exec_lo
	v_cmpx_ne_u16_e32 0x80, v12
	s_cbranch_execz .LBB175_407
; %bb.402:                              ;   in Loop: Header=BB175_264 Depth=1
	v_mov_b64_e32 v[38:39], 0x7f800001
	v_and_b32_e32 v40, 0x7f, v44
	s_mov_b32 s15, exec_lo
	s_delay_alu instid0(VALU_DEP_1)
	v_cmpx_ne_u32_e32 0x7f, v40
	s_cbranch_execz .LBB175_406
; %bb.403:                              ;   in Loop: Header=BB175_264 Depth=1
	v_and_b32_e32 v12, 7, v44
	v_lshrrev_b32_e32 v38, 3, v40
	s_mov_b32 s16, exec_lo
	v_cmpx_gt_u32_e32 8, v40
; %bb.404:                              ;   in Loop: Header=BB175_264 Depth=1
	s_delay_alu instid0(VALU_DEP_3) | instskip(NEXT) | instid1(VALU_DEP_1)
	v_clz_i32_u32_e32 v38, v12
	v_min_u32_e32 v38, 32, v38
	s_delay_alu instid0(VALU_DEP_1) | instskip(NEXT) | instid1(VALU_DEP_1)
	v_subrev_nc_u32_e32 v39, 28, v38
	v_lshlrev_b64_e32 v[40:41], v39, v[12:13]
	s_delay_alu instid0(VALU_DEP_1)
	v_dual_sub_nc_u32 v38, 29, v38 :: v_dual_bitop2_b32 v12, 7, v40 bitop3:0x40
; %bb.405:                              ;   in Loop: Header=BB175_264 Depth=1
	s_or_b32 exec_lo, exec_lo, s16
	v_lshlrev_b32_e32 v39, 24, v44
	s_delay_alu instid0(VALU_DEP_2) | instskip(NEXT) | instid1(VALU_DEP_3)
	v_lshlrev_b32_e32 v12, 20, v12
	v_lshl_add_u32 v38, v38, 23, 0x3c000000
	s_delay_alu instid0(VALU_DEP_3) | instskip(NEXT) | instid1(VALU_DEP_1)
	v_and_b32_e32 v39, 0x80000000, v39
	v_or3_b32 v12, v12, v39, v38
	s_delay_alu instid0(VALU_DEP_1)
	v_mov_b64_e32 v[38:39], v[12:13]
.LBB175_406:                            ;   in Loop: Header=BB175_264 Depth=1
	s_or_b32 exec_lo, exec_lo, s15
.LBB175_407:                            ;   in Loop: Header=BB175_264 Depth=1
	s_delay_alu instid0(SALU_CYCLE_1)
	s_or_b32 exec_lo, exec_lo, s14
.LBB175_408:                            ;   in Loop: Header=BB175_264 Depth=1
	s_delay_alu instid0(SALU_CYCLE_1) | instskip(SKIP_2) | instid1(VALU_DEP_1)
	s_or_b32 exec_lo, exec_lo, s11
	v_lshrrev_b16 v12, 8, v44
	s_mov_b32 s11, exec_lo
	v_cmpx_ne_u16_e32 0, v12
	s_cbranch_execz .LBB175_416
; %bb.409:                              ;   in Loop: Header=BB175_264 Depth=1
	v_mov_b64_e32 v[36:37], 0x8000000000000000
	s_mov_b32 s14, exec_lo
	v_cmpx_ne_u16_e32 0x80, v12
	s_cbranch_execz .LBB175_415
; %bb.410:                              ;   in Loop: Header=BB175_264 Depth=1
	v_and_b32_e32 v12, 0xffff, v12
	v_mov_b64_e32 v[36:37], 0x7f80000100000000
	s_mov_b32 s15, exec_lo
	s_delay_alu instid0(VALU_DEP_2) | instskip(NEXT) | instid1(VALU_DEP_1)
	v_and_b32_e32 v40, 0x7f, v12
	v_cmpx_ne_u32_e32 0x7f, v40
	s_cbranch_execz .LBB175_414
; %bb.411:                              ;   in Loop: Header=BB175_264 Depth=1
	v_and_b32_e32 v12, 7, v12
	v_lshrrev_b32_e32 v36, 3, v40
	s_mov_b32 s16, exec_lo
	v_cmpx_gt_u32_e32 8, v40
; %bb.412:                              ;   in Loop: Header=BB175_264 Depth=1
	s_delay_alu instid0(VALU_DEP_3) | instskip(NEXT) | instid1(VALU_DEP_1)
	v_clz_i32_u32_e32 v36, v12
	v_min_u32_e32 v36, 32, v36
	s_delay_alu instid0(VALU_DEP_1) | instskip(SKIP_1) | instid1(VALU_DEP_2)
	v_subrev_nc_u32_e32 v37, 28, v36
	v_sub_nc_u32_e32 v36, 29, v36
	v_lshlrev_b64_e32 v[40:41], v37, v[12:13]
	s_delay_alu instid0(VALU_DEP_1)
	v_and_b32_e32 v12, 7, v40
; %bb.413:                              ;   in Loop: Header=BB175_264 Depth=1
	s_or_b32 exec_lo, exec_lo, s16
	v_lshlrev_b32_e32 v37, 16, v44
	s_delay_alu instid0(VALU_DEP_2) | instskip(SKIP_1) | instid1(VALU_DEP_3)
	v_lshlrev_b32_e32 v12, 20, v12
	v_lshl_add_u32 v36, v36, 23, 0x3c000000
	v_and_b32_e32 v37, 0x80000000, v37
	s_delay_alu instid0(VALU_DEP_1)
	v_or3_b32 v37, v12, v37, v36
	v_mov_b32_e32 v36, v13
.LBB175_414:                            ;   in Loop: Header=BB175_264 Depth=1
	s_or_b32 exec_lo, exec_lo, s15
.LBB175_415:                            ;   in Loop: Header=BB175_264 Depth=1
	s_delay_alu instid0(SALU_CYCLE_1)
	s_or_b32 exec_lo, exec_lo, s14
.LBB175_416:                            ;   in Loop: Header=BB175_264 Depth=1
	s_delay_alu instid0(SALU_CYCLE_1) | instskip(SKIP_4) | instid1(VALU_DEP_3)
	s_or_b32 exec_lo, exec_lo, s11
	v_lshrrev_b32_e32 v45, 16, v44
	v_mov_b64_e32 v[40:41], 0
	v_mov_b64_e32 v[42:43], 0
	s_mov_b32 s11, exec_lo
	v_and_b32_e32 v12, 0xff, v45
	s_delay_alu instid0(VALU_DEP_1)
	v_cmpx_ne_u16_e32 0, v12
	s_cbranch_execz .LBB175_424
; %bb.417:                              ;   in Loop: Header=BB175_264 Depth=1
	v_mov_b64_e32 v[42:43], 0x80000000
	s_mov_b32 s14, exec_lo
	v_cmpx_ne_u16_e32 0x80, v12
	s_cbranch_execz .LBB175_423
; %bb.418:                              ;   in Loop: Header=BB175_264 Depth=1
	v_mov_b64_e32 v[42:43], 0x7f800001
	v_bfe_u32 v46, v44, 16, 7
	s_mov_b32 s15, exec_lo
	s_delay_alu instid0(VALU_DEP_1)
	v_cmpx_ne_u32_e32 0x7f, v46
	s_cbranch_execz .LBB175_422
; %bb.419:                              ;   in Loop: Header=BB175_264 Depth=1
	v_dual_lshrrev_b32 v42, 3, v46 :: v_dual_bitop2_b32 v12, 7, v45 bitop3:0x40
	s_mov_b32 s16, exec_lo
	v_cmpx_gt_u32_e32 8, v46
; %bb.420:                              ;   in Loop: Header=BB175_264 Depth=1
	s_delay_alu instid0(VALU_DEP_2) | instskip(NEXT) | instid1(VALU_DEP_1)
	v_clz_i32_u32_e32 v42, v12
	v_min_u32_e32 v42, 32, v42
	s_delay_alu instid0(VALU_DEP_1) | instskip(SKIP_1) | instid1(VALU_DEP_2)
	v_subrev_nc_u32_e32 v43, 28, v42
	v_sub_nc_u32_e32 v42, 29, v42
	v_lshlrev_b64_e32 v[46:47], v43, v[12:13]
	s_delay_alu instid0(VALU_DEP_1)
	v_and_b32_e32 v12, 7, v46
; %bb.421:                              ;   in Loop: Header=BB175_264 Depth=1
	s_or_b32 exec_lo, exec_lo, s16
	s_delay_alu instid0(VALU_DEP_1) | instskip(SKIP_1) | instid1(VALU_DEP_2)
	v_dual_lshlrev_b32 v43, 24, v45 :: v_dual_lshlrev_b32 v12, 20, v12
	v_lshl_add_u32 v42, v42, 23, 0x3c000000
	v_and_b32_e32 v43, 0x80000000, v43
	s_delay_alu instid0(VALU_DEP_1) | instskip(NEXT) | instid1(VALU_DEP_1)
	v_or3_b32 v12, v12, v43, v42
	v_mov_b64_e32 v[42:43], v[12:13]
.LBB175_422:                            ;   in Loop: Header=BB175_264 Depth=1
	s_or_b32 exec_lo, exec_lo, s15
.LBB175_423:                            ;   in Loop: Header=BB175_264 Depth=1
	s_delay_alu instid0(SALU_CYCLE_1)
	s_or_b32 exec_lo, exec_lo, s14
.LBB175_424:                            ;   in Loop: Header=BB175_264 Depth=1
	s_delay_alu instid0(SALU_CYCLE_1) | instskip(NEXT) | instid1(SALU_CYCLE_1)
	s_or_b32 exec_lo, exec_lo, s11
	s_mov_b32 s11, exec_lo
	v_cmpx_lt_u32_e32 0xffffff, v44
	s_cbranch_execz .LBB175_432
; %bb.425:                              ;   in Loop: Header=BB175_264 Depth=1
	v_mov_b64_e32 v[40:41], 0x8000000000000000
	v_lshrrev_b32_e32 v45, 24, v44
	s_mov_b32 s14, exec_lo
	s_delay_alu instid0(VALU_DEP_1)
	v_cmpx_ne_u32_e32 0x80, v45
	s_cbranch_execz .LBB175_431
; %bb.426:                              ;   in Loop: Header=BB175_264 Depth=1
	v_mov_b64_e32 v[40:41], 0x7f80000100000000
	v_bfe_u32 v44, v44, 24, 7
	s_mov_b32 s15, exec_lo
	s_delay_alu instid0(VALU_DEP_1)
	v_cmpx_ne_u32_e32 0x7f, v44
	s_cbranch_execz .LBB175_430
; %bb.427:                              ;   in Loop: Header=BB175_264 Depth=1
	v_dual_lshrrev_b32 v40, 3, v44 :: v_dual_bitop2_b32 v12, 7, v45 bitop3:0x40
	s_mov_b32 s16, exec_lo
	v_cmpx_gt_u32_e32 8, v44
; %bb.428:                              ;   in Loop: Header=BB175_264 Depth=1
	s_delay_alu instid0(VALU_DEP_2) | instskip(NEXT) | instid1(VALU_DEP_1)
	v_clz_i32_u32_e32 v40, v12
	v_min_u32_e32 v40, 32, v40
	s_delay_alu instid0(VALU_DEP_1) | instskip(NEXT) | instid1(VALU_DEP_1)
	v_subrev_nc_u32_e32 v41, 28, v40
	v_lshlrev_b64_e32 v[46:47], v41, v[12:13]
	s_delay_alu instid0(VALU_DEP_1)
	v_dual_sub_nc_u32 v40, 29, v40 :: v_dual_bitop2_b32 v12, 7, v46 bitop3:0x40
; %bb.429:                              ;   in Loop: Header=BB175_264 Depth=1
	s_or_b32 exec_lo, exec_lo, s16
	s_delay_alu instid0(VALU_DEP_1) | instskip(NEXT) | instid1(VALU_DEP_2)
	v_dual_lshlrev_b32 v41, 24, v45 :: v_dual_lshlrev_b32 v12, 20, v12
	v_lshl_add_u32 v40, v40, 23, 0x3c000000
	s_delay_alu instid0(VALU_DEP_2) | instskip(NEXT) | instid1(VALU_DEP_1)
	v_and_b32_e32 v41, 0x80000000, v41
	v_or3_b32 v41, v12, v41, v40
	v_mov_b32_e32 v40, v13
.LBB175_430:                            ;   in Loop: Header=BB175_264 Depth=1
	s_or_b32 exec_lo, exec_lo, s15
.LBB175_431:                            ;   in Loop: Header=BB175_264 Depth=1
	s_delay_alu instid0(SALU_CYCLE_1)
	s_or_b32 exec_lo, exec_lo, s14
.LBB175_432:                            ;   in Loop: Header=BB175_264 Depth=1
	s_delay_alu instid0(SALU_CYCLE_1)
	s_or_b32 exec_lo, exec_lo, s11
	v_mov_b64_e32 v[44:45], s[2:3]
	v_or_b32_e32 v37, v37, v39
	v_or_b32_e32 v36, v36, v38
	;; [unrolled: 1-line block ×4, first 2 shown]
	s_delay_alu instid0(VALU_DEP_3) | instskip(NEXT) | instid1(VALU_DEP_2)
	v_pk_mul_f32 v[38:39], v[44:45], v[36:37]
	v_pk_mul_f32 v[36:37], v[44:45], v[40:41]
	s_and_saveexec_b32 s11, vcc_lo
	s_cbranch_execz .LBB175_434
; %bb.433:                              ;   in Loop: Header=BB175_264 Depth=1
	v_cmp_gt_i32_e64 s0, s23, v54
	s_delay_alu instid0(VALU_DEP_1) | instskip(SKIP_1) | instid1(VALU_DEP_1)
	v_cndmask_b32_e64 v38, 0, v38, s0
	v_cmp_gt_i32_e64 s0, s23, v57
	v_cndmask_b32_e64 v39, 0, v39, s0
	v_cmp_gt_i32_e64 s0, s23, v49
	s_delay_alu instid0(VALU_DEP_1) | instskip(SKIP_1) | instid1(VALU_DEP_1)
	v_cndmask_b32_e64 v36, 0, v36, s0
	v_cmp_gt_i32_e64 s0, s23, v48
	v_cndmask_b32_e64 v37, 0, v37, s0
.LBB175_434:                            ;   in Loop: Header=BB175_264 Depth=1
	s_or_b32 exec_lo, exec_lo, s11
	global_load_b32 v58, v[22:23], off offset:640
	v_mov_b64_e32 v[40:41], 0
	v_mov_b64_e32 v[42:43], 0
	s_mov_b32 s11, exec_lo
	s_wait_loadcnt 0x0
	v_and_b32_e32 v12, 0xff, v58
	s_delay_alu instid0(VALU_DEP_1)
	v_cmpx_ne_u16_e32 0, v12
	s_cbranch_execz .LBB175_442
; %bb.435:                              ;   in Loop: Header=BB175_264 Depth=1
	v_mov_b64_e32 v[42:43], 0x80000000
	s_mov_b32 s14, exec_lo
	v_cmpx_ne_u16_e32 0x80, v12
	s_cbranch_execz .LBB175_441
; %bb.436:                              ;   in Loop: Header=BB175_264 Depth=1
	v_mov_b64_e32 v[42:43], 0x7f800001
	v_and_b32_e32 v44, 0x7f, v58
	s_mov_b32 s15, exec_lo
	s_delay_alu instid0(VALU_DEP_1)
	v_cmpx_ne_u32_e32 0x7f, v44
	s_cbranch_execz .LBB175_440
; %bb.437:                              ;   in Loop: Header=BB175_264 Depth=1
	v_dual_lshrrev_b32 v42, 3, v44 :: v_dual_bitop2_b32 v12, 7, v58 bitop3:0x40
	s_mov_b32 s16, exec_lo
	v_cmpx_gt_u32_e32 8, v44
; %bb.438:                              ;   in Loop: Header=BB175_264 Depth=1
	s_delay_alu instid0(VALU_DEP_2) | instskip(NEXT) | instid1(VALU_DEP_1)
	v_clz_i32_u32_e32 v42, v12
	v_min_u32_e32 v42, 32, v42
	s_delay_alu instid0(VALU_DEP_1) | instskip(NEXT) | instid1(VALU_DEP_1)
	v_subrev_nc_u32_e32 v43, 28, v42
	v_lshlrev_b64_e32 v[44:45], v43, v[12:13]
	s_delay_alu instid0(VALU_DEP_1)
	v_dual_sub_nc_u32 v42, 29, v42 :: v_dual_bitop2_b32 v12, 7, v44 bitop3:0x40
; %bb.439:                              ;   in Loop: Header=BB175_264 Depth=1
	s_or_b32 exec_lo, exec_lo, s16
	s_delay_alu instid0(VALU_DEP_1) | instskip(NEXT) | instid1(VALU_DEP_2)
	v_dual_lshlrev_b32 v43, 24, v58 :: v_dual_lshlrev_b32 v12, 20, v12
	v_lshl_add_u32 v42, v42, 23, 0x3c000000
	s_delay_alu instid0(VALU_DEP_2) | instskip(NEXT) | instid1(VALU_DEP_1)
	v_and_b32_e32 v43, 0x80000000, v43
	v_or3_b32 v12, v12, v43, v42
	s_delay_alu instid0(VALU_DEP_1)
	v_mov_b64_e32 v[42:43], v[12:13]
.LBB175_440:                            ;   in Loop: Header=BB175_264 Depth=1
	s_or_b32 exec_lo, exec_lo, s15
.LBB175_441:                            ;   in Loop: Header=BB175_264 Depth=1
	s_delay_alu instid0(SALU_CYCLE_1)
	s_or_b32 exec_lo, exec_lo, s14
.LBB175_442:                            ;   in Loop: Header=BB175_264 Depth=1
	s_delay_alu instid0(SALU_CYCLE_1) | instskip(SKIP_2) | instid1(VALU_DEP_1)
	s_or_b32 exec_lo, exec_lo, s11
	v_lshrrev_b16 v12, 8, v58
	s_mov_b32 s11, exec_lo
	v_cmpx_ne_u16_e32 0, v12
	s_cbranch_execz .LBB175_450
; %bb.443:                              ;   in Loop: Header=BB175_264 Depth=1
	v_mov_b64_e32 v[40:41], 0x8000000000000000
	s_mov_b32 s14, exec_lo
	v_cmpx_ne_u16_e32 0x80, v12
	s_cbranch_execz .LBB175_449
; %bb.444:                              ;   in Loop: Header=BB175_264 Depth=1
	v_and_b32_e32 v12, 0xffff, v12
	v_mov_b64_e32 v[40:41], 0x7f80000100000000
	s_mov_b32 s15, exec_lo
	s_delay_alu instid0(VALU_DEP_2) | instskip(NEXT) | instid1(VALU_DEP_1)
	v_and_b32_e32 v44, 0x7f, v12
	v_cmpx_ne_u32_e32 0x7f, v44
	s_cbranch_execz .LBB175_448
; %bb.445:                              ;   in Loop: Header=BB175_264 Depth=1
	v_and_b32_e32 v12, 7, v12
	v_lshrrev_b32_e32 v40, 3, v44
	s_mov_b32 s16, exec_lo
	v_cmpx_gt_u32_e32 8, v44
; %bb.446:                              ;   in Loop: Header=BB175_264 Depth=1
	s_delay_alu instid0(VALU_DEP_3) | instskip(NEXT) | instid1(VALU_DEP_1)
	v_clz_i32_u32_e32 v40, v12
	v_min_u32_e32 v40, 32, v40
	s_delay_alu instid0(VALU_DEP_1) | instskip(SKIP_1) | instid1(VALU_DEP_2)
	v_subrev_nc_u32_e32 v41, 28, v40
	v_sub_nc_u32_e32 v40, 29, v40
	v_lshlrev_b64_e32 v[44:45], v41, v[12:13]
	s_delay_alu instid0(VALU_DEP_1)
	v_and_b32_e32 v12, 7, v44
; %bb.447:                              ;   in Loop: Header=BB175_264 Depth=1
	s_or_b32 exec_lo, exec_lo, s16
	s_delay_alu instid0(VALU_DEP_1) | instskip(SKIP_1) | instid1(VALU_DEP_2)
	v_dual_lshlrev_b32 v41, 16, v58 :: v_dual_lshlrev_b32 v12, 20, v12
	v_lshl_add_u32 v40, v40, 23, 0x3c000000
	v_and_b32_e32 v41, 0x80000000, v41
	s_delay_alu instid0(VALU_DEP_1)
	v_or3_b32 v41, v12, v41, v40
	v_mov_b32_e32 v40, v13
.LBB175_448:                            ;   in Loop: Header=BB175_264 Depth=1
	s_or_b32 exec_lo, exec_lo, s15
.LBB175_449:                            ;   in Loop: Header=BB175_264 Depth=1
	s_delay_alu instid0(SALU_CYCLE_1)
	s_or_b32 exec_lo, exec_lo, s14
.LBB175_450:                            ;   in Loop: Header=BB175_264 Depth=1
	s_delay_alu instid0(SALU_CYCLE_1) | instskip(SKIP_4) | instid1(VALU_DEP_3)
	s_or_b32 exec_lo, exec_lo, s11
	v_lshrrev_b32_e32 v59, 16, v58
	v_mov_b64_e32 v[44:45], 0
	v_mov_b64_e32 v[46:47], 0
	s_mov_b32 s11, exec_lo
	v_and_b32_e32 v12, 0xff, v59
	s_delay_alu instid0(VALU_DEP_1)
	v_cmpx_ne_u16_e32 0, v12
	s_cbranch_execz .LBB175_458
; %bb.451:                              ;   in Loop: Header=BB175_264 Depth=1
	v_mov_b64_e32 v[46:47], 0x80000000
	s_mov_b32 s14, exec_lo
	v_cmpx_ne_u16_e32 0x80, v12
	s_cbranch_execz .LBB175_457
; %bb.452:                              ;   in Loop: Header=BB175_264 Depth=1
	v_mov_b64_e32 v[46:47], 0x7f800001
	v_bfe_u32 v60, v58, 16, 7
	s_mov_b32 s15, exec_lo
	s_delay_alu instid0(VALU_DEP_1)
	v_cmpx_ne_u32_e32 0x7f, v60
	s_cbranch_execz .LBB175_456
; %bb.453:                              ;   in Loop: Header=BB175_264 Depth=1
	v_dual_lshrrev_b32 v46, 3, v60 :: v_dual_bitop2_b32 v12, 7, v59 bitop3:0x40
	s_mov_b32 s16, exec_lo
	v_cmpx_gt_u32_e32 8, v60
; %bb.454:                              ;   in Loop: Header=BB175_264 Depth=1
	s_delay_alu instid0(VALU_DEP_2) | instskip(NEXT) | instid1(VALU_DEP_1)
	v_clz_i32_u32_e32 v46, v12
	v_min_u32_e32 v46, 32, v46
	s_delay_alu instid0(VALU_DEP_1) | instskip(NEXT) | instid1(VALU_DEP_1)
	v_subrev_nc_u32_e32 v47, 28, v46
	v_lshlrev_b64_e32 v[60:61], v47, v[12:13]
	s_delay_alu instid0(VALU_DEP_1)
	v_dual_sub_nc_u32 v46, 29, v46 :: v_dual_bitop2_b32 v12, 7, v60 bitop3:0x40
; %bb.455:                              ;   in Loop: Header=BB175_264 Depth=1
	s_or_b32 exec_lo, exec_lo, s16
	s_delay_alu instid0(VALU_DEP_1) | instskip(NEXT) | instid1(VALU_DEP_2)
	v_dual_lshlrev_b32 v47, 24, v59 :: v_dual_lshlrev_b32 v12, 20, v12
	v_lshl_add_u32 v46, v46, 23, 0x3c000000
	s_delay_alu instid0(VALU_DEP_2) | instskip(NEXT) | instid1(VALU_DEP_1)
	v_and_b32_e32 v47, 0x80000000, v47
	v_or3_b32 v12, v12, v47, v46
	s_delay_alu instid0(VALU_DEP_1)
	v_mov_b64_e32 v[46:47], v[12:13]
.LBB175_456:                            ;   in Loop: Header=BB175_264 Depth=1
	s_or_b32 exec_lo, exec_lo, s15
.LBB175_457:                            ;   in Loop: Header=BB175_264 Depth=1
	s_delay_alu instid0(SALU_CYCLE_1)
	s_or_b32 exec_lo, exec_lo, s14
.LBB175_458:                            ;   in Loop: Header=BB175_264 Depth=1
	s_delay_alu instid0(SALU_CYCLE_1) | instskip(NEXT) | instid1(SALU_CYCLE_1)
	s_or_b32 exec_lo, exec_lo, s11
	s_mov_b32 s11, exec_lo
	v_cmpx_lt_u32_e32 0xffffff, v58
	s_cbranch_execz .LBB175_466
; %bb.459:                              ;   in Loop: Header=BB175_264 Depth=1
	v_mov_b64_e32 v[44:45], 0x8000000000000000
	v_lshrrev_b32_e32 v59, 24, v58
	s_mov_b32 s14, exec_lo
	s_delay_alu instid0(VALU_DEP_1)
	v_cmpx_ne_u32_e32 0x80, v59
	s_cbranch_execz .LBB175_465
; %bb.460:                              ;   in Loop: Header=BB175_264 Depth=1
	v_mov_b64_e32 v[44:45], 0x7f80000100000000
	v_bfe_u32 v58, v58, 24, 7
	s_mov_b32 s15, exec_lo
	s_delay_alu instid0(VALU_DEP_1)
	v_cmpx_ne_u32_e32 0x7f, v58
	s_cbranch_execz .LBB175_464
; %bb.461:                              ;   in Loop: Header=BB175_264 Depth=1
	v_dual_lshrrev_b32 v44, 3, v58 :: v_dual_bitop2_b32 v12, 7, v59 bitop3:0x40
	s_mov_b32 s16, exec_lo
	v_cmpx_gt_u32_e32 8, v58
; %bb.462:                              ;   in Loop: Header=BB175_264 Depth=1
	s_delay_alu instid0(VALU_DEP_2) | instskip(NEXT) | instid1(VALU_DEP_1)
	v_clz_i32_u32_e32 v44, v12
	v_min_u32_e32 v44, 32, v44
	s_delay_alu instid0(VALU_DEP_1) | instskip(SKIP_1) | instid1(VALU_DEP_2)
	v_subrev_nc_u32_e32 v45, 28, v44
	v_sub_nc_u32_e32 v44, 29, v44
	v_lshlrev_b64_e32 v[60:61], v45, v[12:13]
	s_delay_alu instid0(VALU_DEP_1)
	v_and_b32_e32 v12, 7, v60
; %bb.463:                              ;   in Loop: Header=BB175_264 Depth=1
	s_or_b32 exec_lo, exec_lo, s16
	s_delay_alu instid0(VALU_DEP_1) | instskip(SKIP_1) | instid1(VALU_DEP_2)
	v_dual_lshlrev_b32 v45, 24, v59 :: v_dual_lshlrev_b32 v12, 20, v12
	v_lshl_add_u32 v44, v44, 23, 0x3c000000
	v_and_b32_e32 v45, 0x80000000, v45
	s_delay_alu instid0(VALU_DEP_1)
	v_or3_b32 v45, v12, v45, v44
	v_mov_b32_e32 v44, v13
.LBB175_464:                            ;   in Loop: Header=BB175_264 Depth=1
	s_or_b32 exec_lo, exec_lo, s15
.LBB175_465:                            ;   in Loop: Header=BB175_264 Depth=1
	s_delay_alu instid0(SALU_CYCLE_1)
	s_or_b32 exec_lo, exec_lo, s14
.LBB175_466:                            ;   in Loop: Header=BB175_264 Depth=1
	s_delay_alu instid0(SALU_CYCLE_1)
	s_or_b32 exec_lo, exec_lo, s11
	v_mov_b64_e32 v[58:59], s[2:3]
	v_or_b32_e32 v41, v41, v43
	v_or_b32_e32 v40, v40, v42
	;; [unrolled: 1-line block ×4, first 2 shown]
	s_delay_alu instid0(VALU_DEP_3) | instskip(NEXT) | instid1(VALU_DEP_2)
	v_pk_mul_f32 v[42:43], v[58:59], v[40:41]
	v_pk_mul_f32 v[40:41], v[58:59], v[44:45]
	s_and_saveexec_b32 s11, vcc_lo
	s_cbranch_execz .LBB175_468
; %bb.467:                              ;   in Loop: Header=BB175_264 Depth=1
	v_cmp_gt_i32_e64 s0, s23, v54
	s_delay_alu instid0(VALU_DEP_1) | instskip(SKIP_1) | instid1(VALU_DEP_1)
	v_cndmask_b32_e64 v42, 0, v42, s0
	v_cmp_gt_i32_e64 s0, s23, v57
	v_cndmask_b32_e64 v43, 0, v43, s0
	v_cmp_gt_i32_e64 s0, s23, v49
	s_delay_alu instid0(VALU_DEP_1) | instskip(SKIP_1) | instid1(VALU_DEP_1)
	v_cndmask_b32_e64 v40, 0, v40, s0
	v_cmp_gt_i32_e64 s0, s23, v48
	v_cndmask_b32_e64 v41, 0, v41, s0
.LBB175_468:                            ;   in Loop: Header=BB175_264 Depth=1
	s_or_b32 exec_lo, exec_lo, s11
	global_load_b32 v58, v[22:23], off offset:768
	s_wait_xcnt 0x0
	v_mov_b64_e32 v[22:23], 0
	v_mov_b64_e32 v[44:45], 0
	s_mov_b32 s11, exec_lo
	s_wait_loadcnt 0x0
	v_and_b32_e32 v12, 0xff, v58
	s_delay_alu instid0(VALU_DEP_1)
	v_cmpx_ne_u16_e32 0, v12
	s_cbranch_execz .LBB175_476
; %bb.469:                              ;   in Loop: Header=BB175_264 Depth=1
	v_mov_b64_e32 v[44:45], 0x80000000
	s_mov_b32 s14, exec_lo
	v_cmpx_ne_u16_e32 0x80, v12
	s_cbranch_execz .LBB175_475
; %bb.470:                              ;   in Loop: Header=BB175_264 Depth=1
	v_mov_b64_e32 v[44:45], 0x7f800001
	v_and_b32_e32 v46, 0x7f, v58
	s_mov_b32 s15, exec_lo
	s_delay_alu instid0(VALU_DEP_1)
	v_cmpx_ne_u32_e32 0x7f, v46
	s_cbranch_execz .LBB175_474
; %bb.471:                              ;   in Loop: Header=BB175_264 Depth=1
	v_and_b32_e32 v12, 7, v58
	v_lshrrev_b32_e32 v44, 3, v46
	s_mov_b32 s16, exec_lo
	v_cmpx_gt_u32_e32 8, v46
; %bb.472:                              ;   in Loop: Header=BB175_264 Depth=1
	s_delay_alu instid0(VALU_DEP_3) | instskip(NEXT) | instid1(VALU_DEP_1)
	v_clz_i32_u32_e32 v44, v12
	v_min_u32_e32 v44, 32, v44
	s_delay_alu instid0(VALU_DEP_1) | instskip(NEXT) | instid1(VALU_DEP_1)
	v_subrev_nc_u32_e32 v45, 28, v44
	v_lshlrev_b64_e32 v[46:47], v45, v[12:13]
	s_delay_alu instid0(VALU_DEP_1)
	v_dual_sub_nc_u32 v44, 29, v44 :: v_dual_bitop2_b32 v12, 7, v46 bitop3:0x40
; %bb.473:                              ;   in Loop: Header=BB175_264 Depth=1
	s_or_b32 exec_lo, exec_lo, s16
	s_delay_alu instid0(VALU_DEP_1) | instskip(NEXT) | instid1(VALU_DEP_2)
	v_dual_lshlrev_b32 v45, 24, v58 :: v_dual_lshlrev_b32 v12, 20, v12
	v_lshl_add_u32 v44, v44, 23, 0x3c000000
	s_delay_alu instid0(VALU_DEP_2) | instskip(NEXT) | instid1(VALU_DEP_1)
	v_and_b32_e32 v45, 0x80000000, v45
	v_or3_b32 v12, v12, v45, v44
	s_delay_alu instid0(VALU_DEP_1)
	v_mov_b64_e32 v[44:45], v[12:13]
.LBB175_474:                            ;   in Loop: Header=BB175_264 Depth=1
	s_or_b32 exec_lo, exec_lo, s15
.LBB175_475:                            ;   in Loop: Header=BB175_264 Depth=1
	s_delay_alu instid0(SALU_CYCLE_1)
	s_or_b32 exec_lo, exec_lo, s14
.LBB175_476:                            ;   in Loop: Header=BB175_264 Depth=1
	s_delay_alu instid0(SALU_CYCLE_1) | instskip(SKIP_2) | instid1(VALU_DEP_1)
	s_or_b32 exec_lo, exec_lo, s11
	v_lshrrev_b16 v12, 8, v58
	s_mov_b32 s11, exec_lo
	v_cmpx_ne_u16_e32 0, v12
	s_cbranch_execz .LBB175_484
; %bb.477:                              ;   in Loop: Header=BB175_264 Depth=1
	v_mov_b64_e32 v[22:23], 0x8000000000000000
	s_mov_b32 s14, exec_lo
	v_cmpx_ne_u16_e32 0x80, v12
	s_cbranch_execz .LBB175_483
; %bb.478:                              ;   in Loop: Header=BB175_264 Depth=1
	v_and_b32_e32 v12, 0xffff, v12
	v_mov_b64_e32 v[22:23], 0x7f80000100000000
	s_mov_b32 s15, exec_lo
	s_delay_alu instid0(VALU_DEP_2) | instskip(NEXT) | instid1(VALU_DEP_1)
	v_and_b32_e32 v46, 0x7f, v12
	v_cmpx_ne_u32_e32 0x7f, v46
	s_cbranch_execz .LBB175_482
; %bb.479:                              ;   in Loop: Header=BB175_264 Depth=1
	v_dual_lshrrev_b32 v22, 3, v46 :: v_dual_bitop2_b32 v12, 7, v12 bitop3:0x40
	s_mov_b32 s16, exec_lo
	v_cmpx_gt_u32_e32 8, v46
; %bb.480:                              ;   in Loop: Header=BB175_264 Depth=1
	s_delay_alu instid0(VALU_DEP_2) | instskip(NEXT) | instid1(VALU_DEP_1)
	v_clz_i32_u32_e32 v22, v12
	v_min_u32_e32 v22, 32, v22
	s_delay_alu instid0(VALU_DEP_1) | instskip(SKIP_1) | instid1(VALU_DEP_2)
	v_subrev_nc_u32_e32 v23, 28, v22
	v_sub_nc_u32_e32 v22, 29, v22
	v_lshlrev_b64_e32 v[46:47], v23, v[12:13]
	s_delay_alu instid0(VALU_DEP_1)
	v_and_b32_e32 v12, 7, v46
; %bb.481:                              ;   in Loop: Header=BB175_264 Depth=1
	s_or_b32 exec_lo, exec_lo, s16
	s_delay_alu instid0(VALU_DEP_1) | instskip(SKIP_1) | instid1(VALU_DEP_2)
	v_dual_lshlrev_b32 v23, 16, v58 :: v_dual_lshlrev_b32 v12, 20, v12
	v_lshl_add_u32 v22, v22, 23, 0x3c000000
	v_and_b32_e32 v23, 0x80000000, v23
	s_delay_alu instid0(VALU_DEP_1)
	v_or3_b32 v23, v12, v23, v22
	v_mov_b32_e32 v22, v13
.LBB175_482:                            ;   in Loop: Header=BB175_264 Depth=1
	s_or_b32 exec_lo, exec_lo, s15
.LBB175_483:                            ;   in Loop: Header=BB175_264 Depth=1
	s_delay_alu instid0(SALU_CYCLE_1)
	s_or_b32 exec_lo, exec_lo, s14
.LBB175_484:                            ;   in Loop: Header=BB175_264 Depth=1
	s_delay_alu instid0(SALU_CYCLE_1) | instskip(SKIP_4) | instid1(VALU_DEP_3)
	s_or_b32 exec_lo, exec_lo, s11
	v_lshrrev_b32_e32 v59, 16, v58
	v_mov_b64_e32 v[46:47], 0
	v_mov_b64_e32 v[48:49], 0
	s_mov_b32 s11, exec_lo
	v_and_b32_e32 v12, 0xff, v59
	s_delay_alu instid0(VALU_DEP_1)
	v_cmpx_ne_u16_e32 0, v12
	s_cbranch_execz .LBB175_492
; %bb.485:                              ;   in Loop: Header=BB175_264 Depth=1
	v_mov_b64_e32 v[48:49], 0x80000000
	s_mov_b32 s14, exec_lo
	v_cmpx_ne_u16_e32 0x80, v12
	s_cbranch_execz .LBB175_491
; %bb.486:                              ;   in Loop: Header=BB175_264 Depth=1
	v_mov_b64_e32 v[48:49], 0x7f800001
	v_bfe_u32 v60, v58, 16, 7
	s_mov_b32 s15, exec_lo
	s_delay_alu instid0(VALU_DEP_1)
	v_cmpx_ne_u32_e32 0x7f, v60
	s_cbranch_execz .LBB175_490
; %bb.487:                              ;   in Loop: Header=BB175_264 Depth=1
	v_dual_lshrrev_b32 v48, 3, v60 :: v_dual_bitop2_b32 v12, 7, v59 bitop3:0x40
	s_mov_b32 s16, exec_lo
	v_cmpx_gt_u32_e32 8, v60
; %bb.488:                              ;   in Loop: Header=BB175_264 Depth=1
	s_delay_alu instid0(VALU_DEP_2) | instskip(NEXT) | instid1(VALU_DEP_1)
	v_clz_i32_u32_e32 v48, v12
	v_min_u32_e32 v48, 32, v48
	s_delay_alu instid0(VALU_DEP_1) | instskip(SKIP_1) | instid1(VALU_DEP_2)
	v_subrev_nc_u32_e32 v49, 28, v48
	v_sub_nc_u32_e32 v48, 29, v48
	v_lshlrev_b64_e32 v[60:61], v49, v[12:13]
	s_delay_alu instid0(VALU_DEP_1)
	v_and_b32_e32 v12, 7, v60
; %bb.489:                              ;   in Loop: Header=BB175_264 Depth=1
	s_or_b32 exec_lo, exec_lo, s16
	s_delay_alu instid0(VALU_DEP_1) | instskip(SKIP_1) | instid1(VALU_DEP_2)
	v_dual_lshlrev_b32 v49, 24, v59 :: v_dual_lshlrev_b32 v12, 20, v12
	v_lshl_add_u32 v48, v48, 23, 0x3c000000
	v_and_b32_e32 v49, 0x80000000, v49
	s_delay_alu instid0(VALU_DEP_1) | instskip(NEXT) | instid1(VALU_DEP_1)
	v_or3_b32 v12, v12, v49, v48
	v_mov_b64_e32 v[48:49], v[12:13]
.LBB175_490:                            ;   in Loop: Header=BB175_264 Depth=1
	s_or_b32 exec_lo, exec_lo, s15
.LBB175_491:                            ;   in Loop: Header=BB175_264 Depth=1
	s_delay_alu instid0(SALU_CYCLE_1)
	s_or_b32 exec_lo, exec_lo, s14
.LBB175_492:                            ;   in Loop: Header=BB175_264 Depth=1
	s_delay_alu instid0(SALU_CYCLE_1) | instskip(NEXT) | instid1(SALU_CYCLE_1)
	s_or_b32 exec_lo, exec_lo, s11
	s_mov_b32 s11, exec_lo
	v_cmpx_lt_u32_e32 0xffffff, v58
	s_cbranch_execz .LBB175_500
; %bb.493:                              ;   in Loop: Header=BB175_264 Depth=1
	v_mov_b64_e32 v[46:47], 0x8000000000000000
	v_lshrrev_b32_e32 v59, 24, v58
	s_mov_b32 s14, exec_lo
	s_delay_alu instid0(VALU_DEP_1)
	v_cmpx_ne_u32_e32 0x80, v59
	s_cbranch_execz .LBB175_499
; %bb.494:                              ;   in Loop: Header=BB175_264 Depth=1
	v_mov_b64_e32 v[46:47], 0x7f80000100000000
	v_bfe_u32 v58, v58, 24, 7
	s_mov_b32 s15, exec_lo
	s_delay_alu instid0(VALU_DEP_1)
	v_cmpx_ne_u32_e32 0x7f, v58
	s_cbranch_execz .LBB175_498
; %bb.495:                              ;   in Loop: Header=BB175_264 Depth=1
	v_dual_lshrrev_b32 v46, 3, v58 :: v_dual_bitop2_b32 v12, 7, v59 bitop3:0x40
	s_mov_b32 s16, exec_lo
	v_cmpx_gt_u32_e32 8, v58
; %bb.496:                              ;   in Loop: Header=BB175_264 Depth=1
	s_delay_alu instid0(VALU_DEP_2) | instskip(NEXT) | instid1(VALU_DEP_1)
	v_clz_i32_u32_e32 v46, v12
	v_min_u32_e32 v46, 32, v46
	s_delay_alu instid0(VALU_DEP_1) | instskip(NEXT) | instid1(VALU_DEP_1)
	v_subrev_nc_u32_e32 v47, 28, v46
	v_lshlrev_b64_e32 v[60:61], v47, v[12:13]
	s_delay_alu instid0(VALU_DEP_1)
	v_dual_sub_nc_u32 v46, 29, v46 :: v_dual_bitop2_b32 v12, 7, v60 bitop3:0x40
; %bb.497:                              ;   in Loop: Header=BB175_264 Depth=1
	s_or_b32 exec_lo, exec_lo, s16
	s_delay_alu instid0(VALU_DEP_1) | instskip(NEXT) | instid1(VALU_DEP_2)
	v_dual_lshlrev_b32 v47, 24, v59 :: v_dual_lshlrev_b32 v12, 20, v12
	v_lshl_add_u32 v46, v46, 23, 0x3c000000
	s_delay_alu instid0(VALU_DEP_2) | instskip(NEXT) | instid1(VALU_DEP_1)
	v_and_b32_e32 v47, 0x80000000, v47
	v_or3_b32 v47, v12, v47, v46
	v_mov_b32_e32 v46, v13
.LBB175_498:                            ;   in Loop: Header=BB175_264 Depth=1
	s_or_b32 exec_lo, exec_lo, s15
.LBB175_499:                            ;   in Loop: Header=BB175_264 Depth=1
	s_delay_alu instid0(SALU_CYCLE_1)
	s_or_b32 exec_lo, exec_lo, s14
.LBB175_500:                            ;   in Loop: Header=BB175_264 Depth=1
	s_delay_alu instid0(SALU_CYCLE_1)
	s_or_b32 exec_lo, exec_lo, s11
	v_mov_b64_e32 v[58:59], s[2:3]
	v_or_b32_e32 v23, v23, v45
	v_or_b32_e32 v22, v22, v44
	;; [unrolled: 1-line block ×4, first 2 shown]
	s_delay_alu instid0(VALU_DEP_3) | instskip(NEXT) | instid1(VALU_DEP_2)
	v_pk_mul_f32 v[44:45], v[58:59], v[22:23]
	v_pk_mul_f32 v[22:23], v[58:59], v[46:47]
	s_and_saveexec_b32 s0, vcc_lo
	s_cbranch_execz .LBB175_263
; %bb.501:                              ;   in Loop: Header=BB175_264 Depth=1
	v_cmp_gt_i32_e32 vcc_lo, s10, v57
	v_dual_cndmask_b32 v45, 0, v45, vcc_lo :: v_dual_bitop2_b32 v12, 3, v54 bitop3:0x54
	v_cmp_gt_i32_e32 vcc_lo, s23, v54
	v_dual_cndmask_b32 v44, 0, v44, vcc_lo :: v_dual_bitop2_b32 v46, 2, v54 bitop3:0x54
	s_delay_alu instid0(VALU_DEP_3) | instskip(SKIP_1) | instid1(VALU_DEP_3)
	v_cmp_gt_i32_e32 vcc_lo, s10, v12
	v_cndmask_b32_e32 v23, 0, v23, vcc_lo
	v_cmp_gt_i32_e32 vcc_lo, s23, v46
	v_cndmask_b32_e32 v22, 0, v22, vcc_lo
	s_branch .LBB175_263
.LBB175_502:
	s_or_b32 exec_lo, exec_lo, s9
.LBB175_503:
	s_delay_alu instid0(SALU_CYCLE_1)
	s_or_b32 exec_lo, exec_lo, s1
	ds_bpermute_b32 v2, v51, v10
	ds_bpermute_b32 v3, v51, v11
	;; [unrolled: 1-line block ×6, first 2 shown]
	v_and_b32_e32 v16, 0x3c1, v0
	v_lshrrev_b32_e32 v12, 1, v50
	s_mov_b32 s0, exec_lo
	ds_bpermute_b32 v13, v51, v53
	s_wait_dscnt 0x0
	s_barrier_signal -1
	s_barrier_wait -1
	v_pk_add_f32 v[10:11], v[10:11], v[2:3]
	v_pk_add_f32 v[4:5], v[8:9], v[4:5]
	;; [unrolled: 1-line block ×3, first 2 shown]
	v_cmpx_ne_u32_e32 64, v16
	s_xor_b32 s0, exec_lo, s0
	s_delay_alu instid0(SALU_CYCLE_1)
	s_or_saveexec_b32 s0, s0
	v_add_f32_e32 v6, v53, v13
	v_lshl_add_u32 v7, v12, 2, 0x1e0
	v_mul_u32_u24_e32 v1, 0x1c0, v1
	s_xor_b32 exec_lo, exec_lo, s0
	s_cbranch_execz .LBB175_505
; %bb.504:
	s_delay_alu instid0(VALU_DEP_1) | instskip(NEXT) | instid1(VALU_DEP_1)
	v_add_nc_u32_e32 v8, v7, v1
	v_add_nc_u32_e32 v9, 0xfffffc80, v8
	v_add_nc_u32_e32 v13, 0xfffffcc0, v8
	v_add_nc_u32_e32 v14, 0xfffffd00, v8
	v_add_nc_u32_e32 v15, 0xfffffd40, v8
	v_add_nc_u32_e32 v16, 0xfffffd80, v8
	v_add_nc_u32_e32 v17, 0xfffffdc0, v8
	v_add_nc_u32_e32 v8, 0xfffffe00, v8
	ds_store_b32 v9, v10
	ds_store_b32 v13, v11
	;; [unrolled: 1-line block ×7, first 2 shown]
.LBB175_505:
	s_or_b32 exec_lo, exec_lo, s0
	v_lshlrev_b32_e32 v8, 2, v12
	s_mov_b32 s1, exec_lo
	v_cmp_eq_u32_e32 vcc_lo, 0, v52
	s_wait_dscnt 0x0
	s_barrier_signal -1
	v_add3_u32 v1, 0x1e0, v1, v8
	s_barrier_wait -1
	v_cmpx_gt_u32_e32 64, v0
	s_cbranch_execz .LBB175_515
; %bb.506:
	s_and_saveexec_b32 s0, vcc_lo
	s_cbranch_execnz .LBB175_530
; %bb.507:
	s_or_b32 exec_lo, exec_lo, s0
	s_and_saveexec_b32 s0, vcc_lo
	s_cbranch_execnz .LBB175_531
.LBB175_508:
	s_or_b32 exec_lo, exec_lo, s0
	s_and_saveexec_b32 s0, vcc_lo
	s_cbranch_execnz .LBB175_532
.LBB175_509:
	s_or_b32 exec_lo, exec_lo, s0
	s_and_saveexec_b32 s0, vcc_lo
	s_cbranch_execnz .LBB175_533
.LBB175_510:
	s_or_b32 exec_lo, exec_lo, s0
	s_and_saveexec_b32 s0, vcc_lo
	s_cbranch_execnz .LBB175_534
.LBB175_511:
	s_or_b32 exec_lo, exec_lo, s0
	s_and_saveexec_b32 s0, vcc_lo
	s_cbranch_execnz .LBB175_535
.LBB175_512:
	s_or_b32 exec_lo, exec_lo, s0
	s_and_saveexec_b32 s0, vcc_lo
	s_cbranch_execz .LBB175_514
.LBB175_513:
	ds_load_b32 v8, v1 offset:384
	s_wait_dscnt 0x0
	v_add_f32_e32 v6, v6, v8
.LBB175_514:
	s_or_b32 exec_lo, exec_lo, s0
.LBB175_515:
	s_delay_alu instid0(SALU_CYCLE_1) | instskip(SKIP_4) | instid1(VALU_DEP_1)
	s_or_b32 exec_lo, exec_lo, s1
	v_and_b32_e32 v8, 0x3e1, v0
	s_mov_b32 s1, exec_lo
	s_barrier_signal -1
	s_barrier_wait -1
	v_cmpx_eq_u32_e32 32, v8
	s_cbranch_execz .LBB175_517
; %bb.516:
	ds_store_2addr_b32 v7, v10, v11 offset1:16
	ds_store_2addr_b32 v7, v4, v5 offset0:32 offset1:48
	ds_store_2addr_b32 v7, v2, v3 offset0:64 offset1:80
	ds_store_b32 v7, v6 offset:384
.LBB175_517:
	s_or_b32 exec_lo, exec_lo, s1
	s_delay_alu instid0(SALU_CYCLE_1)
	s_mov_b32 s1, exec_lo
	s_wait_dscnt 0x0
	s_barrier_signal -1
	s_barrier_wait -1
	v_cmpx_gt_u32_e32 32, v0
	s_cbranch_execz .LBB175_527
; %bb.518:
	s_and_saveexec_b32 s0, vcc_lo
	s_cbranch_execnz .LBB175_536
; %bb.519:
	s_or_b32 exec_lo, exec_lo, s0
	s_and_saveexec_b32 s0, vcc_lo
	s_cbranch_execnz .LBB175_537
.LBB175_520:
	s_or_b32 exec_lo, exec_lo, s0
	s_and_saveexec_b32 s0, vcc_lo
	s_cbranch_execnz .LBB175_538
.LBB175_521:
	s_or_b32 exec_lo, exec_lo, s0
	s_and_saveexec_b32 s0, vcc_lo
	s_cbranch_execnz .LBB175_539
.LBB175_522:
	s_or_b32 exec_lo, exec_lo, s0
	s_and_saveexec_b32 s0, vcc_lo
	s_cbranch_execnz .LBB175_540
.LBB175_523:
	s_or_b32 exec_lo, exec_lo, s0
	s_and_saveexec_b32 s0, vcc_lo
	s_cbranch_execnz .LBB175_541
.LBB175_524:
	s_or_b32 exec_lo, exec_lo, s0
	s_and_saveexec_b32 s0, vcc_lo
	s_cbranch_execz .LBB175_526
.LBB175_525:
	ds_load_b32 v1, v1 offset:384
	s_wait_dscnt 0x0
	v_add_f32_e32 v6, v6, v1
.LBB175_526:
	s_or_b32 exec_lo, exec_lo, s0
.LBB175_527:
	s_delay_alu instid0(SALU_CYCLE_1)
	s_or_b32 exec_lo, exec_lo, s1
	s_mov_b32 s1, 0
	s_barrier_signal -1
	s_barrier_wait -1
	s_mov_b32 s0, exec_lo
	v_cmpx_eq_u32_e32 0, v8
	s_cbranch_execz .LBB175_529
; %bb.528:
	s_mul_i32 s0, s22, s8
	s_mul_i32 s2, s8, s12
	;; [unrolled: 1-line block ×3, first 2 shown]
	s_lshr_b32 s8, ttmp7, 16
	s_mul_i32 s6, s0, 0x70
	s_bfe_u32 s0, ttmp6, 0x40014
	s_ashr_i32 s7, s6, 31
	s_add_co_i32 s0, s0, 1
	s_lshl_b64 s[6:7], s[6:7], 2
	s_ashr_i32 s3, s2, 31
	s_wait_kmcnt 0x0
	s_add_nc_u64 s[4:5], s[4:5], s[6:7]
	s_mul_i32 s0, s8, s0
	s_bfe_u32 s6, ttmp6, 0x40008
	s_lshl_b64 s[2:3], s[2:3], 2
	s_add_co_i32 s6, s6, s0
	s_cmp_eq_u32 s20, 0
	v_lshlrev_b32_e32 v0, 1, v0
	s_cselect_b32 s0, s8, s6
	s_add_nc_u64 s[2:3], s[4:5], s[2:3]
	s_mulk_i32 s0, 0x1c0
	s_delay_alu instid0(SALU_CYCLE_1)
	s_add_nc_u64 s[0:1], s[2:3], s[0:1]
	s_clause 0x6
	global_store_b32 v0, v10, s[0:1]
	global_store_b32 v0, v11, s[0:1] offset:64
	global_store_b32 v0, v4, s[0:1] offset:128
	;; [unrolled: 1-line block ×6, first 2 shown]
.LBB175_529:
	s_sendmsg sendmsg(MSG_DEALLOC_VGPRS)
	s_endpgm
.LBB175_530:
	ds_load_b32 v8, v1
	s_wait_dscnt 0x0
	v_add_f32_e32 v10, v10, v8
	s_or_b32 exec_lo, exec_lo, s0
	s_and_saveexec_b32 s0, vcc_lo
	s_cbranch_execz .LBB175_508
.LBB175_531:
	ds_load_b32 v8, v1 offset:64
	s_wait_dscnt 0x0
	v_add_f32_e32 v11, v11, v8
	s_or_b32 exec_lo, exec_lo, s0
	s_and_saveexec_b32 s0, vcc_lo
	s_cbranch_execz .LBB175_509
.LBB175_532:
	ds_load_b32 v8, v1 offset:128
	s_wait_dscnt 0x0
	v_add_f32_e32 v4, v4, v8
	s_or_b32 exec_lo, exec_lo, s0
	s_and_saveexec_b32 s0, vcc_lo
	s_cbranch_execz .LBB175_510
.LBB175_533:
	ds_load_b32 v8, v1 offset:192
	s_wait_dscnt 0x0
	v_add_f32_e32 v5, v5, v8
	s_or_b32 exec_lo, exec_lo, s0
	s_and_saveexec_b32 s0, vcc_lo
	s_cbranch_execz .LBB175_511
.LBB175_534:
	ds_load_b32 v8, v1 offset:256
	s_wait_dscnt 0x0
	v_add_f32_e32 v2, v2, v8
	s_or_b32 exec_lo, exec_lo, s0
	s_and_saveexec_b32 s0, vcc_lo
	s_cbranch_execz .LBB175_512
.LBB175_535:
	ds_load_b32 v8, v1 offset:320
	s_wait_dscnt 0x0
	v_add_f32_e32 v3, v3, v8
	s_or_b32 exec_lo, exec_lo, s0
	s_and_saveexec_b32 s0, vcc_lo
	s_cbranch_execnz .LBB175_513
	s_branch .LBB175_514
.LBB175_536:
	ds_load_b32 v7, v1
	s_wait_dscnt 0x0
	v_add_f32_e32 v10, v10, v7
	s_or_b32 exec_lo, exec_lo, s0
	s_and_saveexec_b32 s0, vcc_lo
	s_cbranch_execz .LBB175_520
.LBB175_537:
	ds_load_b32 v7, v1 offset:64
	s_wait_dscnt 0x0
	v_add_f32_e32 v11, v11, v7
	s_or_b32 exec_lo, exec_lo, s0
	s_and_saveexec_b32 s0, vcc_lo
	s_cbranch_execz .LBB175_521
.LBB175_538:
	ds_load_b32 v7, v1 offset:128
	s_wait_dscnt 0x0
	v_add_f32_e32 v4, v4, v7
	s_or_b32 exec_lo, exec_lo, s0
	s_and_saveexec_b32 s0, vcc_lo
	s_cbranch_execz .LBB175_522
.LBB175_539:
	ds_load_b32 v7, v1 offset:192
	s_wait_dscnt 0x0
	v_add_f32_e32 v5, v5, v7
	s_or_b32 exec_lo, exec_lo, s0
	s_and_saveexec_b32 s0, vcc_lo
	s_cbranch_execz .LBB175_523
.LBB175_540:
	ds_load_b32 v7, v1 offset:256
	s_wait_dscnt 0x0
	v_add_f32_e32 v2, v2, v7
	s_or_b32 exec_lo, exec_lo, s0
	s_and_saveexec_b32 s0, vcc_lo
	s_cbranch_execz .LBB175_524
.LBB175_541:
	ds_load_b32 v7, v1 offset:320
	s_wait_dscnt 0x0
	v_add_f32_e32 v3, v3, v7
	s_or_b32 exec_lo, exec_lo, s0
	s_and_saveexec_b32 s0, vcc_lo
	s_cbranch_execnz .LBB175_525
	s_branch .LBB175_526
	.section	.rodata,"a",@progbits
	.p2align	6, 0x0
	.amdhsa_kernel _ZN4vllm25paged_attention_v1_kernelIfhLi112ELi8ELi128ELNS_18Fp8KVCacheDataTypeE1ELb0EEEvPT_PKS2_PKT0_S8_ifPKiSA_iPKfiiiSC_SC_iiiii
		.amdhsa_group_segment_fixed_size 480
		.amdhsa_private_segment_fixed_size 0
		.amdhsa_kernarg_size 384
		.amdhsa_user_sgpr_count 2
		.amdhsa_user_sgpr_dispatch_ptr 0
		.amdhsa_user_sgpr_queue_ptr 0
		.amdhsa_user_sgpr_kernarg_segment_ptr 1
		.amdhsa_user_sgpr_dispatch_id 0
		.amdhsa_user_sgpr_kernarg_preload_length 0
		.amdhsa_user_sgpr_kernarg_preload_offset 0
		.amdhsa_user_sgpr_private_segment_size 0
		.amdhsa_wavefront_size32 1
		.amdhsa_uses_dynamic_stack 0
		.amdhsa_enable_private_segment 0
		.amdhsa_system_sgpr_workgroup_id_x 1
		.amdhsa_system_sgpr_workgroup_id_y 1
		.amdhsa_system_sgpr_workgroup_id_z 1
		.amdhsa_system_sgpr_workgroup_info 0
		.amdhsa_system_vgpr_workitem_id 0
		.amdhsa_next_free_vgpr 78
		.amdhsa_next_free_sgpr 31
		.amdhsa_named_barrier_count 0
		.amdhsa_reserve_vcc 1
		.amdhsa_float_round_mode_32 0
		.amdhsa_float_round_mode_16_64 0
		.amdhsa_float_denorm_mode_32 3
		.amdhsa_float_denorm_mode_16_64 3
		.amdhsa_fp16_overflow 0
		.amdhsa_memory_ordered 1
		.amdhsa_forward_progress 1
		.amdhsa_inst_pref_size 144
		.amdhsa_round_robin_scheduling 0
		.amdhsa_exception_fp_ieee_invalid_op 0
		.amdhsa_exception_fp_denorm_src 0
		.amdhsa_exception_fp_ieee_div_zero 0
		.amdhsa_exception_fp_ieee_overflow 0
		.amdhsa_exception_fp_ieee_underflow 0
		.amdhsa_exception_fp_ieee_inexact 0
		.amdhsa_exception_int_div_zero 0
	.end_amdhsa_kernel
	.section	.text._ZN4vllm25paged_attention_v1_kernelIfhLi112ELi8ELi128ELNS_18Fp8KVCacheDataTypeE1ELb0EEEvPT_PKS2_PKT0_S8_ifPKiSA_iPKfiiiSC_SC_iiiii,"axG",@progbits,_ZN4vllm25paged_attention_v1_kernelIfhLi112ELi8ELi128ELNS_18Fp8KVCacheDataTypeE1ELb0EEEvPT_PKS2_PKT0_S8_ifPKiSA_iPKfiiiSC_SC_iiiii,comdat
.Lfunc_end175:
	.size	_ZN4vllm25paged_attention_v1_kernelIfhLi112ELi8ELi128ELNS_18Fp8KVCacheDataTypeE1ELb0EEEvPT_PKS2_PKT0_S8_ifPKiSA_iPKfiiiSC_SC_iiiii, .Lfunc_end175-_ZN4vllm25paged_attention_v1_kernelIfhLi112ELi8ELi128ELNS_18Fp8KVCacheDataTypeE1ELb0EEEvPT_PKS2_PKT0_S8_ifPKiSA_iPKfiiiSC_SC_iiiii
                                        ; -- End function
	.set _ZN4vllm25paged_attention_v1_kernelIfhLi112ELi8ELi128ELNS_18Fp8KVCacheDataTypeE1ELb0EEEvPT_PKS2_PKT0_S8_ifPKiSA_iPKfiiiSC_SC_iiiii.num_vgpr, 78
	.set _ZN4vllm25paged_attention_v1_kernelIfhLi112ELi8ELi128ELNS_18Fp8KVCacheDataTypeE1ELb0EEEvPT_PKS2_PKT0_S8_ifPKiSA_iPKfiiiSC_SC_iiiii.num_agpr, 0
	.set _ZN4vllm25paged_attention_v1_kernelIfhLi112ELi8ELi128ELNS_18Fp8KVCacheDataTypeE1ELb0EEEvPT_PKS2_PKT0_S8_ifPKiSA_iPKfiiiSC_SC_iiiii.numbered_sgpr, 31
	.set _ZN4vllm25paged_attention_v1_kernelIfhLi112ELi8ELi128ELNS_18Fp8KVCacheDataTypeE1ELb0EEEvPT_PKS2_PKT0_S8_ifPKiSA_iPKfiiiSC_SC_iiiii.num_named_barrier, 0
	.set _ZN4vllm25paged_attention_v1_kernelIfhLi112ELi8ELi128ELNS_18Fp8KVCacheDataTypeE1ELb0EEEvPT_PKS2_PKT0_S8_ifPKiSA_iPKfiiiSC_SC_iiiii.private_seg_size, 0
	.set _ZN4vllm25paged_attention_v1_kernelIfhLi112ELi8ELi128ELNS_18Fp8KVCacheDataTypeE1ELb0EEEvPT_PKS2_PKT0_S8_ifPKiSA_iPKfiiiSC_SC_iiiii.uses_vcc, 1
	.set _ZN4vllm25paged_attention_v1_kernelIfhLi112ELi8ELi128ELNS_18Fp8KVCacheDataTypeE1ELb0EEEvPT_PKS2_PKT0_S8_ifPKiSA_iPKfiiiSC_SC_iiiii.uses_flat_scratch, 0
	.set _ZN4vllm25paged_attention_v1_kernelIfhLi112ELi8ELi128ELNS_18Fp8KVCacheDataTypeE1ELb0EEEvPT_PKS2_PKT0_S8_ifPKiSA_iPKfiiiSC_SC_iiiii.has_dyn_sized_stack, 0
	.set _ZN4vllm25paged_attention_v1_kernelIfhLi112ELi8ELi128ELNS_18Fp8KVCacheDataTypeE1ELb0EEEvPT_PKS2_PKT0_S8_ifPKiSA_iPKfiiiSC_SC_iiiii.has_recursion, 0
	.set _ZN4vllm25paged_attention_v1_kernelIfhLi112ELi8ELi128ELNS_18Fp8KVCacheDataTypeE1ELb0EEEvPT_PKS2_PKT0_S8_ifPKiSA_iPKfiiiSC_SC_iiiii.has_indirect_call, 0
	.section	.AMDGPU.csdata,"",@progbits
; Kernel info:
; codeLenInByte = 18392
; TotalNumSgprs: 33
; NumVgprs: 78
; ScratchSize: 0
; MemoryBound: 0
; FloatMode: 240
; IeeeMode: 1
; LDSByteSize: 480 bytes/workgroup (compile time only)
; SGPRBlocks: 0
; VGPRBlocks: 4
; NumSGPRsForWavesPerEU: 33
; NumVGPRsForWavesPerEU: 78
; NamedBarCnt: 0
; Occupancy: 12
; WaveLimiterHint : 1
; COMPUTE_PGM_RSRC2:SCRATCH_EN: 0
; COMPUTE_PGM_RSRC2:USER_SGPR: 2
; COMPUTE_PGM_RSRC2:TRAP_HANDLER: 0
; COMPUTE_PGM_RSRC2:TGID_X_EN: 1
; COMPUTE_PGM_RSRC2:TGID_Y_EN: 1
; COMPUTE_PGM_RSRC2:TGID_Z_EN: 1
; COMPUTE_PGM_RSRC2:TIDIG_COMP_CNT: 0
	.section	.text._ZN4vllm25paged_attention_v1_kernelIfhLi120ELi8ELi128ELNS_18Fp8KVCacheDataTypeE1ELb0EEEvPT_PKS2_PKT0_S8_ifPKiSA_iPKfiiiSC_SC_iiiii,"axG",@progbits,_ZN4vllm25paged_attention_v1_kernelIfhLi120ELi8ELi128ELNS_18Fp8KVCacheDataTypeE1ELb0EEEvPT_PKS2_PKT0_S8_ifPKiSA_iPKfiiiSC_SC_iiiii,comdat
	.protected	_ZN4vllm25paged_attention_v1_kernelIfhLi120ELi8ELi128ELNS_18Fp8KVCacheDataTypeE1ELb0EEEvPT_PKS2_PKT0_S8_ifPKiSA_iPKfiiiSC_SC_iiiii ; -- Begin function _ZN4vllm25paged_attention_v1_kernelIfhLi120ELi8ELi128ELNS_18Fp8KVCacheDataTypeE1ELb0EEEvPT_PKS2_PKT0_S8_ifPKiSA_iPKfiiiSC_SC_iiiii
	.globl	_ZN4vllm25paged_attention_v1_kernelIfhLi120ELi8ELi128ELNS_18Fp8KVCacheDataTypeE1ELb0EEEvPT_PKS2_PKT0_S8_ifPKiSA_iPKfiiiSC_SC_iiiii
	.p2align	8
	.type	_ZN4vllm25paged_attention_v1_kernelIfhLi120ELi8ELi128ELNS_18Fp8KVCacheDataTypeE1ELb0EEEvPT_PKS2_PKT0_S8_ifPKiSA_iPKfiiiSC_SC_iiiii,@function
_ZN4vllm25paged_attention_v1_kernelIfhLi120ELi8ELi128ELNS_18Fp8KVCacheDataTypeE1ELb0EEEvPT_PKS2_PKT0_S8_ifPKiSA_iPKfiiiSC_SC_iiiii: ; @_ZN4vllm25paged_attention_v1_kernelIfhLi120ELi8ELi128ELNS_18Fp8KVCacheDataTypeE1ELb0EEEvPT_PKS2_PKT0_S8_ifPKiSA_iPKfiiiSC_SC_iiiii
; %bb.0:
	s_load_b64 s[18:19], s[0:1], 0x20
	s_bfe_u32 s3, ttmp6, 0x4000c
	s_bfe_u32 s5, ttmp6, 0x40010
	s_and_b32 s4, ttmp7, 0xffff
	s_add_co_i32 s3, s3, 1
	s_add_co_i32 s5, s5, 1
	s_and_b32 s2, ttmp6, 15
	s_bfe_u32 s6, ttmp6, 0x40004
	s_mul_i32 s3, ttmp9, s3
	s_mul_i32 s5, s4, s5
	s_getreg_b32 s20, hwreg(HW_REG_IB_STS2, 6, 4)
	s_add_co_i32 s2, s2, s3
	s_add_co_i32 s3, s6, s5
	s_cmp_eq_u32 s20, 0
	s_clause 0x1
	s_load_b32 s21, s[0:1], 0x80
	s_load_b64 s[6:7], s[0:1], 0x30
	s_cselect_b32 s22, s4, s3
	s_cselect_b32 s2, ttmp9, s2
	s_wait_kmcnt 0x0
	s_abs_i32 s3, s18
	s_delay_alu instid0(SALU_CYCLE_1) | instskip(SKIP_1) | instid1(SALU_CYCLE_2)
	s_cvt_f32_u32 s4, s3
	s_sub_co_i32 s5, 0, s3
	v_rcp_iflag_f32_e32 v1, s4
	s_abs_i32 s8, s21
	v_nop
	s_delay_alu instid0(TRANS32_DEP_1) | instskip(SKIP_1) | instid1(SALU_CYCLE_3)
	v_readfirstlane_b32 s4, v1
	s_mul_f32 s4, s4, 0x4f7ffffe
	s_cvt_u32_f32 s4, s4
	s_delay_alu instid0(SALU_CYCLE_3) | instskip(NEXT) | instid1(SALU_CYCLE_1)
	s_mul_i32 s5, s5, s4
	s_mul_hi_u32 s5, s4, s5
	s_delay_alu instid0(SALU_CYCLE_1) | instskip(SKIP_4) | instid1(SALU_CYCLE_1)
	s_add_co_i32 s4, s4, s5
	s_xor_b32 s5, s21, s18
	s_mul_hi_u32 s4, s8, s4
	s_ashr_i32 s5, s5, 31
	s_mul_i32 s9, s4, s3
	s_sub_co_i32 s8, s8, s9
	s_add_co_i32 s9, s4, 1
	s_sub_co_i32 s10, s8, s3
	s_cmp_ge_u32 s8, s3
	s_cselect_b32 s4, s9, s4
	s_cselect_b32 s8, s10, s8
	s_add_co_i32 s9, s4, 1
	s_cmp_ge_u32 s8, s3
	s_cselect_b32 s3, s9, s4
	s_load_b64 s[8:9], s[0:1], 0x40
	s_xor_b32 s3, s3, s5
	s_delay_alu instid0(SALU_CYCLE_1)
	s_sub_co_i32 s14, s3, s5
	s_mov_b32 s5, 0
	s_abs_i32 s11, s14
	s_mov_b32 s13, s5
	s_cvt_f32_u32 s3, s11
	s_sub_co_i32 s4, 0, s11
	s_mov_b32 s18, s5
	s_delay_alu instid0(SALU_CYCLE_1) | instskip(SKIP_1) | instid1(TRANS32_DEP_1)
	v_rcp_iflag_f32_e32 v1, s3
	v_nop
	v_readfirstlane_b32 s3, v1
	s_mul_f32 s3, s3, 0x4f7ffffe
	s_delay_alu instid0(SALU_CYCLE_3) | instskip(NEXT) | instid1(SALU_CYCLE_3)
	s_cvt_u32_f32 s3, s3
	s_mul_i32 s4, s4, s3
	s_delay_alu instid0(SALU_CYCLE_1)
	s_mul_hi_u32 s10, s3, s4
	s_abs_i32 s4, s2
	s_add_co_i32 s12, s3, s10
	s_wait_kmcnt 0x0
	s_cmp_eq_u64 s[8:9], 0
	s_cbranch_scc1 .LBB176_2
; %bb.1:
	s_ashr_i32 s3, s2, 31
	s_delay_alu instid0(SALU_CYCLE_1) | instskip(NEXT) | instid1(SALU_CYCLE_1)
	s_lshl_b64 s[16:17], s[2:3], 2
	s_add_nc_u64 s[8:9], s[8:9], s[16:17]
	s_load_b32 s18, s[8:9], 0x0
.LBB176_2:
	s_load_b32 s23, s[6:7], s22 offset:0x0 scale_offset
	s_wait_xcnt 0x0
	s_load_b96 s[8:10], s[0:1], 0x48
	v_and_b32_e32 v34, 3, v0
	s_ashr_i32 s3, s2, 31
	s_ashr_i32 s14, s14, 31
	s_mul_u64 s[6:7], s[4:5], s[12:13]
	s_mul_i32 s12, s2, 0x78
	s_mov_b32 s2, exec_lo
	v_cmpx_gt_u32_e32 0x78, v0
	s_cbranch_execz .LBB176_4
; %bb.3:
	s_load_b64 s[16:17], s[0:1], 0x8
	s_wait_kmcnt 0x0
	s_mul_i32 s24, s8, s22
	s_ashr_i32 s13, s12, 31
	s_ashr_i32 s25, s24, 31
	v_and_b32_e32 v2, 0x3fc, v0
	s_lshl_b64 s[24:25], s[24:25], 2
	s_delay_alu instid0(VALU_DEP_1) | instskip(SKIP_2) | instid1(SALU_CYCLE_1)
	v_mad_u32_u24 v2, 0x78, v34, v2
	s_add_nc_u64 s[16:17], s[16:17], s[24:25]
	s_lshl_b64 s[24:25], s[12:13], 2
	s_add_nc_u64 s[16:17], s[16:17], s[24:25]
	global_load_b32 v1, v0, s[16:17] scale_offset
	s_wait_loadcnt 0x0
	ds_store_b32 v2, v1
.LBB176_4:
	s_or_b32 exec_lo, exec_lo, s2
	s_wait_kmcnt 0x0
	s_add_co_i32 s2, s23, 7
	s_load_b32 s5, s[0:1], 0x38
	s_ashr_i32 s6, s2, 31
	s_mul_i32 s8, s7, s11
	s_lshr_b32 s6, s6, 29
	s_sub_co_i32 s4, s4, s8
	s_add_co_i32 s2, s2, s6
	s_xor_b32 s3, s3, s14
	s_ashr_i32 s13, s2, 3
	s_add_co_i32 s2, s7, 1
	s_sub_co_i32 s6, s4, s11
	s_cmp_ge_u32 s4, s11
	v_lshrrev_b32_e32 v1, 5, v0
	s_cselect_b32 s2, s2, s7
	s_cselect_b32 s4, s6, s4
	s_add_co_i32 s6, s2, 1
	s_cmp_ge_u32 s4, s11
	v_mbcnt_lo_u32_b32 v41, -1, 0
	s_cselect_b32 s2, s6, s2
	s_wait_dscnt 0x0
	s_xor_b32 s2, s2, s3
	s_wait_kmcnt 0x0
	s_mul_i32 s14, s5, s22
	s_sub_co_i32 s3, s2, s3
	v_cmp_le_i32_e64 s2, s13, v1
	s_ashr_i32 s15, s14, 31
	s_barrier_signal -1
	s_barrier_wait -1
                                        ; implicit-def: $vgpr31
                                        ; implicit-def: $vgpr42
	s_and_saveexec_b32 s4, s2
	s_delay_alu instid0(SALU_CYCLE_1)
	s_xor_b32 s4, exec_lo, s4
; %bb.5:
	v_dual_mov_b32 v31, 0 :: v_dual_mov_b32 v42, 32
	v_mbcnt_lo_u32_b32 v41, -1, 0
                                        ; implicit-def: $vgpr34
; %bb.6:
	s_or_saveexec_b32 s24, s4
	s_clause 0x2
	s_load_b32 s8, s[0:1], 0x88
	s_load_b64 s[16:17], s[0:1], 0x28
	s_load_b128 s[4:7], s[0:1], 0x58
	v_dual_mov_b32 v43, 0xff7fffff :: v_dual_lshrrev_b32 v40, 3, v0
	s_mul_i32 s10, s3, s10
	s_xor_b32 exec_lo, exec_lo, s24
	s_cbranch_execz .LBB176_252
; %bb.7:
	s_load_b64 s[26:27], s[0:1], 0x10
	v_bfe_u32 v38, v0, 2, 3
	v_xor_b32_e32 v18, 2, v41
	v_mul_u32_u24_e32 v32, 0x78, v34
	v_dual_mov_b32 v31, 0 :: v_dual_mov_b32 v42, 32
	s_delay_alu instid0(VALU_DEP_4) | instskip(NEXT) | instid1(VALU_DEP_4)
	v_lshlrev_b32_e32 v30, 4, v38
	v_cmp_gt_i32_e32 vcc_lo, 32, v18
	v_xor_b32_e32 v35, 1, v41
	s_ashr_i32 s11, s10, 31
	ds_load_2addr_b64 v[2:5], v32 offset1:1
	ds_load_2addr_b64 v[6:9], v32 offset0:2 offset1:3
	ds_load_2addr_b64 v[10:13], v32 offset0:4 offset1:5
	;; [unrolled: 1-line block ×3, first 2 shown]
	s_cmp_neq_f32 s18, 0
	v_cndmask_b32_e32 v36, v41, v18, vcc_lo
	ds_load_2addr_b64 v[18:21], v32 offset0:8 offset1:9
	ds_load_2addr_b64 v[22:25], v32 offset0:10 offset1:11
	;; [unrolled: 1-line block ×3, first 2 shown]
	ds_load_b64 v[32:33], v32 offset:112
	v_cmp_gt_i32_e32 vcc_lo, 32, v35
	s_wait_kmcnt 0x0
	s_load_b32 s5, s[4:5], 0x0
	s_cselect_b32 s3, -1, 0
	v_lshlrev_b32_e32 v44, 2, v36
	v_lshl_or_b32 v46, v1, 3, v38
	v_mov_b32_e32 v43, 0xff7fffff
	s_add_nc_u64 s[26:27], s[26:27], s[10:11]
	s_mov_b32 s25, s9
	v_add_nc_u64_e32 v[36:37], s[26:27], v[30:31]
	v_dual_cndmask_b32 v30, v41, v35 :: v_dual_mov_b32 v35, v31
	v_lshlrev_b32_e32 v39, 2, v38
	v_cmp_eq_u32_e32 vcc_lo, 0, v34
	s_lshl_b64 s[26:27], s[14:15], 2
	s_delay_alu instid0(VALU_DEP_3)
	v_dual_mov_b32 v48, v1 :: v_dual_lshlrev_b32 v45, 2, v30
	v_add_nc_u64_e32 v[34:35], v[36:37], v[34:35]
	v_lshl_or_b32 v36, v1, 5, v39
	v_and_b32_e32 v30, 0x7c, v40
	s_add_nc_u64 s[26:27], s[16:17], s[26:27]
	s_mov_b32 s11, 0
	s_delay_alu instid0(VALU_DEP_2) | instskip(NEXT) | instid1(VALU_DEP_2)
	v_add_nc_u32_e32 v47, 0x200, v36
	v_add_nc_u64_e32 v[36:37], s[26:27], v[30:31]
	s_sub_co_i32 s26, 1, s23
	s_branch .LBB176_9
.LBB176_8:                              ;   in Loop: Header=BB176_9 Depth=1
	s_or_b32 exec_lo, exec_lo, s27
	v_dual_add_nc_u32 v48, 4, v48 :: v_dual_add_nc_u32 v46, 32, v46
	v_add_nc_u64_e32 v[36:37], 16, v[36:37]
	v_add_nc_u32_e32 v47, 0x80, v47
	s_delay_alu instid0(VALU_DEP_3) | instskip(SKIP_1) | instid1(SALU_CYCLE_1)
	v_cmp_le_i32_e64 s4, s13, v48
	s_or_b32 s11, s4, s11
	s_and_not1_b32 exec_lo, exec_lo, s11
	s_cbranch_execz .LBB176_251
.LBB176_9:                              ; =>This Inner Loop Header: Depth=1
	global_load_b32 v30, v[36:37], off
	v_dual_mov_b32 v49, 0 :: v_dual_mov_b32 v50, 0
	s_mov_b32 s27, exec_lo
	s_wait_loadcnt_dscnt 0x0
	v_mad_nc_i64_i32 v[38:39], v30, s25, v[34:35]
	global_load_u8 v51, v[38:39], off
	s_wait_loadcnt 0x0
	s_wait_xcnt 0x0
	v_cmpx_ne_u16_e32 0, v51
	s_cbranch_execz .LBB176_17
; %bb.10:                               ;   in Loop: Header=BB176_9 Depth=1
	v_bfrev_b32_e32 v50, 1
	s_mov_b32 s28, exec_lo
	v_cmpx_ne_u16_e32 0x80, v51
	s_cbranch_execz .LBB176_16
; %bb.11:                               ;   in Loop: Header=BB176_9 Depth=1
	v_and_b32_e32 v30, 0xffff, v51
	v_mov_b32_e32 v50, 0x7f800001
	s_mov_b32 s29, exec_lo
	s_delay_alu instid0(VALU_DEP_2) | instskip(NEXT) | instid1(VALU_DEP_1)
	v_and_b32_e32 v52, 0x7f, v30
	v_cmpx_ne_u32_e32 0x7f, v52
	s_cbranch_execz .LBB176_15
; %bb.12:                               ;   in Loop: Header=BB176_9 Depth=1
	v_dual_lshrrev_b32 v50, 3, v52 :: v_dual_bitop2_b32 v30, 7, v30 bitop3:0x40
	s_mov_b32 s30, exec_lo
	v_cmpx_gt_u32_e32 8, v52
; %bb.13:                               ;   in Loop: Header=BB176_9 Depth=1
	s_delay_alu instid0(VALU_DEP_2) | instskip(NEXT) | instid1(VALU_DEP_1)
	v_clz_i32_u32_e32 v50, v30
	v_min_u32_e32 v50, 32, v50
	s_delay_alu instid0(VALU_DEP_1) | instskip(NEXT) | instid1(VALU_DEP_1)
	v_subrev_nc_u32_e32 v52, 28, v50
	v_lshlrev_b64_e32 v[52:53], v52, v[30:31]
	s_delay_alu instid0(VALU_DEP_1)
	v_dual_sub_nc_u32 v50, 29, v50 :: v_dual_bitop2_b32 v30, 7, v52 bitop3:0x40
; %bb.14:                               ;   in Loop: Header=BB176_9 Depth=1
	s_or_b32 exec_lo, exec_lo, s30
	s_delay_alu instid0(VALU_DEP_1) | instskip(NEXT) | instid1(VALU_DEP_2)
	v_dual_lshlrev_b32 v51, 24, v51 :: v_dual_lshlrev_b32 v30, 20, v30
	v_lshl_add_u32 v50, v50, 23, 0x3c000000
	s_delay_alu instid0(VALU_DEP_2) | instskip(NEXT) | instid1(VALU_DEP_1)
	v_and_b32_e32 v51, 0x80000000, v51
	v_or3_b32 v50, v30, v51, v50
.LBB176_15:                             ;   in Loop: Header=BB176_9 Depth=1
	s_or_b32 exec_lo, exec_lo, s29
.LBB176_16:                             ;   in Loop: Header=BB176_9 Depth=1
	s_delay_alu instid0(SALU_CYCLE_1)
	s_or_b32 exec_lo, exec_lo, s28
.LBB176_17:                             ;   in Loop: Header=BB176_9 Depth=1
	s_delay_alu instid0(SALU_CYCLE_1)
	s_or_b32 exec_lo, exec_lo, s27
	global_load_u8 v51, v[38:39], off offset:4
	s_mov_b32 s27, exec_lo
	s_wait_loadcnt 0x0
	v_cmpx_ne_u16_e32 0, v51
	s_cbranch_execz .LBB176_25
; %bb.18:                               ;   in Loop: Header=BB176_9 Depth=1
	v_bfrev_b32_e32 v49, 1
	s_mov_b32 s28, exec_lo
	v_cmpx_ne_u16_e32 0x80, v51
	s_cbranch_execz .LBB176_24
; %bb.19:                               ;   in Loop: Header=BB176_9 Depth=1
	v_and_b32_e32 v30, 0xffff, v51
	v_mov_b32_e32 v49, 0x7f800001
	s_mov_b32 s29, exec_lo
	s_delay_alu instid0(VALU_DEP_2) | instskip(NEXT) | instid1(VALU_DEP_1)
	v_and_b32_e32 v52, 0x7f, v30
	v_cmpx_ne_u32_e32 0x7f, v52
	s_cbranch_execz .LBB176_23
; %bb.20:                               ;   in Loop: Header=BB176_9 Depth=1
	v_dual_lshrrev_b32 v49, 3, v52 :: v_dual_bitop2_b32 v30, 7, v30 bitop3:0x40
	s_mov_b32 s30, exec_lo
	v_cmpx_gt_u32_e32 8, v52
; %bb.21:                               ;   in Loop: Header=BB176_9 Depth=1
	s_delay_alu instid0(VALU_DEP_2) | instskip(NEXT) | instid1(VALU_DEP_1)
	v_clz_i32_u32_e32 v49, v30
	v_min_u32_e32 v49, 32, v49
	s_delay_alu instid0(VALU_DEP_1) | instskip(NEXT) | instid1(VALU_DEP_1)
	v_subrev_nc_u32_e32 v52, 28, v49
	v_lshlrev_b64_e32 v[52:53], v52, v[30:31]
	s_delay_alu instid0(VALU_DEP_1)
	v_dual_sub_nc_u32 v49, 29, v49 :: v_dual_bitop2_b32 v30, 7, v52 bitop3:0x40
; %bb.22:                               ;   in Loop: Header=BB176_9 Depth=1
	s_or_b32 exec_lo, exec_lo, s30
	s_delay_alu instid0(VALU_DEP_1) | instskip(NEXT) | instid1(VALU_DEP_2)
	v_dual_lshlrev_b32 v51, 24, v51 :: v_dual_lshlrev_b32 v30, 20, v30
	v_lshl_add_u32 v49, v49, 23, 0x3c000000
	s_delay_alu instid0(VALU_DEP_2) | instskip(NEXT) | instid1(VALU_DEP_1)
	v_and_b32_e32 v51, 0x80000000, v51
	v_or3_b32 v49, v30, v51, v49
.LBB176_23:                             ;   in Loop: Header=BB176_9 Depth=1
	s_or_b32 exec_lo, exec_lo, s29
.LBB176_24:                             ;   in Loop: Header=BB176_9 Depth=1
	s_delay_alu instid0(SALU_CYCLE_1)
	s_or_b32 exec_lo, exec_lo, s28
.LBB176_25:                             ;   in Loop: Header=BB176_9 Depth=1
	s_delay_alu instid0(SALU_CYCLE_1)
	s_or_b32 exec_lo, exec_lo, s27
	global_load_u8 v53, v[38:39], off offset:8
	v_dual_mov_b32 v51, 0 :: v_dual_mov_b32 v52, 0
	s_mov_b32 s27, exec_lo
	s_wait_loadcnt 0x0
	v_cmpx_ne_u16_e32 0, v53
	s_cbranch_execz .LBB176_33
; %bb.26:                               ;   in Loop: Header=BB176_9 Depth=1
	v_bfrev_b32_e32 v52, 1
	s_mov_b32 s28, exec_lo
	v_cmpx_ne_u16_e32 0x80, v53
	s_cbranch_execz .LBB176_32
; %bb.27:                               ;   in Loop: Header=BB176_9 Depth=1
	v_and_b32_e32 v30, 0xffff, v53
	v_mov_b32_e32 v52, 0x7f800001
	s_mov_b32 s29, exec_lo
	s_delay_alu instid0(VALU_DEP_2) | instskip(NEXT) | instid1(VALU_DEP_1)
	v_and_b32_e32 v54, 0x7f, v30
	v_cmpx_ne_u32_e32 0x7f, v54
	s_cbranch_execz .LBB176_31
; %bb.28:                               ;   in Loop: Header=BB176_9 Depth=1
	v_and_b32_e32 v30, 7, v30
	v_lshrrev_b32_e32 v52, 3, v54
	s_mov_b32 s30, exec_lo
	v_cmpx_gt_u32_e32 8, v54
; %bb.29:                               ;   in Loop: Header=BB176_9 Depth=1
	s_delay_alu instid0(VALU_DEP_3) | instskip(NEXT) | instid1(VALU_DEP_1)
	v_clz_i32_u32_e32 v52, v30
	v_min_u32_e32 v52, 32, v52
	s_delay_alu instid0(VALU_DEP_1) | instskip(NEXT) | instid1(VALU_DEP_1)
	v_subrev_nc_u32_e32 v54, 28, v52
	v_lshlrev_b64_e32 v[54:55], v54, v[30:31]
	s_delay_alu instid0(VALU_DEP_1)
	v_dual_sub_nc_u32 v52, 29, v52 :: v_dual_bitop2_b32 v30, 7, v54 bitop3:0x40
; %bb.30:                               ;   in Loop: Header=BB176_9 Depth=1
	s_or_b32 exec_lo, exec_lo, s30
	s_delay_alu instid0(VALU_DEP_1) | instskip(NEXT) | instid1(VALU_DEP_2)
	v_dual_lshlrev_b32 v53, 24, v53 :: v_dual_lshlrev_b32 v30, 20, v30
	v_lshl_add_u32 v52, v52, 23, 0x3c000000
	s_delay_alu instid0(VALU_DEP_2) | instskip(NEXT) | instid1(VALU_DEP_1)
	v_and_b32_e32 v53, 0x80000000, v53
	v_or3_b32 v52, v30, v53, v52
.LBB176_31:                             ;   in Loop: Header=BB176_9 Depth=1
	s_or_b32 exec_lo, exec_lo, s29
.LBB176_32:                             ;   in Loop: Header=BB176_9 Depth=1
	s_delay_alu instid0(SALU_CYCLE_1)
	s_or_b32 exec_lo, exec_lo, s28
.LBB176_33:                             ;   in Loop: Header=BB176_9 Depth=1
	s_delay_alu instid0(SALU_CYCLE_1)
	s_or_b32 exec_lo, exec_lo, s27
	global_load_u8 v53, v[38:39], off offset:12
	s_mov_b32 s27, exec_lo
	s_wait_loadcnt 0x0
	v_cmpx_ne_u16_e32 0, v53
	s_cbranch_execz .LBB176_41
; %bb.34:                               ;   in Loop: Header=BB176_9 Depth=1
	v_bfrev_b32_e32 v51, 1
	s_mov_b32 s28, exec_lo
	v_cmpx_ne_u16_e32 0x80, v53
	s_cbranch_execz .LBB176_40
; %bb.35:                               ;   in Loop: Header=BB176_9 Depth=1
	v_and_b32_e32 v30, 0xffff, v53
	v_mov_b32_e32 v51, 0x7f800001
	s_mov_b32 s29, exec_lo
	s_delay_alu instid0(VALU_DEP_2) | instskip(NEXT) | instid1(VALU_DEP_1)
	v_and_b32_e32 v54, 0x7f, v30
	v_cmpx_ne_u32_e32 0x7f, v54
	s_cbranch_execz .LBB176_39
; %bb.36:                               ;   in Loop: Header=BB176_9 Depth=1
	v_and_b32_e32 v30, 7, v30
	v_lshrrev_b32_e32 v51, 3, v54
	s_mov_b32 s30, exec_lo
	v_cmpx_gt_u32_e32 8, v54
; %bb.37:                               ;   in Loop: Header=BB176_9 Depth=1
	s_delay_alu instid0(VALU_DEP_3) | instskip(NEXT) | instid1(VALU_DEP_1)
	v_clz_i32_u32_e32 v51, v30
	v_min_u32_e32 v51, 32, v51
	s_delay_alu instid0(VALU_DEP_1) | instskip(NEXT) | instid1(VALU_DEP_1)
	v_subrev_nc_u32_e32 v54, 28, v51
	v_lshlrev_b64_e32 v[54:55], v54, v[30:31]
	s_delay_alu instid0(VALU_DEP_1)
	v_dual_sub_nc_u32 v51, 29, v51 :: v_dual_bitop2_b32 v30, 7, v54 bitop3:0x40
; %bb.38:                               ;   in Loop: Header=BB176_9 Depth=1
	s_or_b32 exec_lo, exec_lo, s30
	s_delay_alu instid0(VALU_DEP_1) | instskip(NEXT) | instid1(VALU_DEP_2)
	v_dual_lshlrev_b32 v53, 24, v53 :: v_dual_lshlrev_b32 v30, 20, v30
	v_lshl_add_u32 v51, v51, 23, 0x3c000000
	s_delay_alu instid0(VALU_DEP_2) | instskip(NEXT) | instid1(VALU_DEP_1)
	v_and_b32_e32 v53, 0x80000000, v53
	v_or3_b32 v51, v30, v53, v51
.LBB176_39:                             ;   in Loop: Header=BB176_9 Depth=1
	s_or_b32 exec_lo, exec_lo, s29
.LBB176_40:                             ;   in Loop: Header=BB176_9 Depth=1
	s_delay_alu instid0(SALU_CYCLE_1)
	s_or_b32 exec_lo, exec_lo, s28
.LBB176_41:                             ;   in Loop: Header=BB176_9 Depth=1
	s_delay_alu instid0(SALU_CYCLE_1)
	s_or_b32 exec_lo, exec_lo, s27
	global_load_u8 v55, v[38:39], off offset:128
	v_dual_mov_b32 v53, 0 :: v_dual_mov_b32 v54, 0
	s_mov_b32 s27, exec_lo
	s_wait_loadcnt 0x0
	v_cmpx_ne_u16_e32 0, v55
	s_cbranch_execz .LBB176_49
; %bb.42:                               ;   in Loop: Header=BB176_9 Depth=1
	v_bfrev_b32_e32 v54, 1
	s_mov_b32 s28, exec_lo
	v_cmpx_ne_u16_e32 0x80, v55
	s_cbranch_execz .LBB176_48
; %bb.43:                               ;   in Loop: Header=BB176_9 Depth=1
	v_and_b32_e32 v30, 0xffff, v55
	v_mov_b32_e32 v54, 0x7f800001
	s_mov_b32 s29, exec_lo
	s_delay_alu instid0(VALU_DEP_2) | instskip(NEXT) | instid1(VALU_DEP_1)
	v_and_b32_e32 v56, 0x7f, v30
	v_cmpx_ne_u32_e32 0x7f, v56
	s_cbranch_execz .LBB176_47
; %bb.44:                               ;   in Loop: Header=BB176_9 Depth=1
	v_dual_lshrrev_b32 v54, 3, v56 :: v_dual_bitop2_b32 v30, 7, v30 bitop3:0x40
	s_mov_b32 s30, exec_lo
	v_cmpx_gt_u32_e32 8, v56
; %bb.45:                               ;   in Loop: Header=BB176_9 Depth=1
	s_delay_alu instid0(VALU_DEP_2) | instskip(NEXT) | instid1(VALU_DEP_1)
	v_clz_i32_u32_e32 v54, v30
	v_min_u32_e32 v54, 32, v54
	s_delay_alu instid0(VALU_DEP_1) | instskip(NEXT) | instid1(VALU_DEP_1)
	v_subrev_nc_u32_e32 v56, 28, v54
	v_lshlrev_b64_e32 v[56:57], v56, v[30:31]
	s_delay_alu instid0(VALU_DEP_1)
	v_dual_sub_nc_u32 v54, 29, v54 :: v_dual_bitop2_b32 v30, 7, v56 bitop3:0x40
; %bb.46:                               ;   in Loop: Header=BB176_9 Depth=1
	s_or_b32 exec_lo, exec_lo, s30
	s_delay_alu instid0(VALU_DEP_1) | instskip(NEXT) | instid1(VALU_DEP_2)
	v_dual_lshlrev_b32 v55, 24, v55 :: v_dual_lshlrev_b32 v30, 20, v30
	v_lshl_add_u32 v54, v54, 23, 0x3c000000
	s_delay_alu instid0(VALU_DEP_2) | instskip(NEXT) | instid1(VALU_DEP_1)
	v_and_b32_e32 v55, 0x80000000, v55
	v_or3_b32 v54, v30, v55, v54
.LBB176_47:                             ;   in Loop: Header=BB176_9 Depth=1
	s_or_b32 exec_lo, exec_lo, s29
.LBB176_48:                             ;   in Loop: Header=BB176_9 Depth=1
	s_delay_alu instid0(SALU_CYCLE_1)
	s_or_b32 exec_lo, exec_lo, s28
.LBB176_49:                             ;   in Loop: Header=BB176_9 Depth=1
	s_delay_alu instid0(SALU_CYCLE_1)
	s_or_b32 exec_lo, exec_lo, s27
	global_load_u8 v55, v[38:39], off offset:132
	s_mov_b32 s27, exec_lo
	s_wait_loadcnt 0x0
	v_cmpx_ne_u16_e32 0, v55
	s_cbranch_execz .LBB176_57
; %bb.50:                               ;   in Loop: Header=BB176_9 Depth=1
	v_bfrev_b32_e32 v53, 1
	s_mov_b32 s28, exec_lo
	v_cmpx_ne_u16_e32 0x80, v55
	s_cbranch_execz .LBB176_56
; %bb.51:                               ;   in Loop: Header=BB176_9 Depth=1
	v_and_b32_e32 v30, 0xffff, v55
	v_mov_b32_e32 v53, 0x7f800001
	s_mov_b32 s29, exec_lo
	s_delay_alu instid0(VALU_DEP_2) | instskip(NEXT) | instid1(VALU_DEP_1)
	v_and_b32_e32 v56, 0x7f, v30
	v_cmpx_ne_u32_e32 0x7f, v56
	s_cbranch_execz .LBB176_55
; %bb.52:                               ;   in Loop: Header=BB176_9 Depth=1
	v_dual_lshrrev_b32 v53, 3, v56 :: v_dual_bitop2_b32 v30, 7, v30 bitop3:0x40
	s_mov_b32 s30, exec_lo
	v_cmpx_gt_u32_e32 8, v56
; %bb.53:                               ;   in Loop: Header=BB176_9 Depth=1
	s_delay_alu instid0(VALU_DEP_2) | instskip(NEXT) | instid1(VALU_DEP_1)
	v_clz_i32_u32_e32 v53, v30
	v_min_u32_e32 v53, 32, v53
	s_delay_alu instid0(VALU_DEP_1) | instskip(NEXT) | instid1(VALU_DEP_1)
	v_subrev_nc_u32_e32 v56, 28, v53
	v_lshlrev_b64_e32 v[56:57], v56, v[30:31]
	s_delay_alu instid0(VALU_DEP_1)
	v_dual_sub_nc_u32 v53, 29, v53 :: v_dual_bitop2_b32 v30, 7, v56 bitop3:0x40
; %bb.54:                               ;   in Loop: Header=BB176_9 Depth=1
	s_or_b32 exec_lo, exec_lo, s30
	s_delay_alu instid0(VALU_DEP_1) | instskip(NEXT) | instid1(VALU_DEP_2)
	v_dual_lshlrev_b32 v55, 24, v55 :: v_dual_lshlrev_b32 v30, 20, v30
	v_lshl_add_u32 v53, v53, 23, 0x3c000000
	s_delay_alu instid0(VALU_DEP_2) | instskip(NEXT) | instid1(VALU_DEP_1)
	v_and_b32_e32 v55, 0x80000000, v55
	v_or3_b32 v53, v30, v55, v53
.LBB176_55:                             ;   in Loop: Header=BB176_9 Depth=1
	s_or_b32 exec_lo, exec_lo, s29
.LBB176_56:                             ;   in Loop: Header=BB176_9 Depth=1
	s_delay_alu instid0(SALU_CYCLE_1)
	s_or_b32 exec_lo, exec_lo, s28
.LBB176_57:                             ;   in Loop: Header=BB176_9 Depth=1
	s_delay_alu instid0(SALU_CYCLE_1)
	s_or_b32 exec_lo, exec_lo, s27
	global_load_u8 v57, v[38:39], off offset:136
	v_dual_mov_b32 v55, 0 :: v_dual_mov_b32 v56, 0
	s_mov_b32 s27, exec_lo
	s_wait_loadcnt 0x0
	v_cmpx_ne_u16_e32 0, v57
	s_cbranch_execz .LBB176_65
; %bb.58:                               ;   in Loop: Header=BB176_9 Depth=1
	v_bfrev_b32_e32 v56, 1
	s_mov_b32 s28, exec_lo
	v_cmpx_ne_u16_e32 0x80, v57
	s_cbranch_execz .LBB176_64
; %bb.59:                               ;   in Loop: Header=BB176_9 Depth=1
	v_and_b32_e32 v30, 0xffff, v57
	v_mov_b32_e32 v56, 0x7f800001
	s_mov_b32 s29, exec_lo
	s_delay_alu instid0(VALU_DEP_2) | instskip(NEXT) | instid1(VALU_DEP_1)
	v_and_b32_e32 v58, 0x7f, v30
	v_cmpx_ne_u32_e32 0x7f, v58
	s_cbranch_execz .LBB176_63
; %bb.60:                               ;   in Loop: Header=BB176_9 Depth=1
	v_and_b32_e32 v30, 7, v30
	v_lshrrev_b32_e32 v56, 3, v58
	s_mov_b32 s30, exec_lo
	v_cmpx_gt_u32_e32 8, v58
; %bb.61:                               ;   in Loop: Header=BB176_9 Depth=1
	s_delay_alu instid0(VALU_DEP_3) | instskip(NEXT) | instid1(VALU_DEP_1)
	v_clz_i32_u32_e32 v56, v30
	v_min_u32_e32 v56, 32, v56
	s_delay_alu instid0(VALU_DEP_1) | instskip(NEXT) | instid1(VALU_DEP_1)
	v_subrev_nc_u32_e32 v58, 28, v56
	v_lshlrev_b64_e32 v[58:59], v58, v[30:31]
	s_delay_alu instid0(VALU_DEP_1)
	v_dual_sub_nc_u32 v56, 29, v56 :: v_dual_bitop2_b32 v30, 7, v58 bitop3:0x40
; %bb.62:                               ;   in Loop: Header=BB176_9 Depth=1
	s_or_b32 exec_lo, exec_lo, s30
	s_delay_alu instid0(VALU_DEP_1) | instskip(NEXT) | instid1(VALU_DEP_2)
	v_dual_lshlrev_b32 v57, 24, v57 :: v_dual_lshlrev_b32 v30, 20, v30
	v_lshl_add_u32 v56, v56, 23, 0x3c000000
	s_delay_alu instid0(VALU_DEP_2) | instskip(NEXT) | instid1(VALU_DEP_1)
	v_and_b32_e32 v57, 0x80000000, v57
	v_or3_b32 v56, v30, v57, v56
.LBB176_63:                             ;   in Loop: Header=BB176_9 Depth=1
	s_or_b32 exec_lo, exec_lo, s29
.LBB176_64:                             ;   in Loop: Header=BB176_9 Depth=1
	s_delay_alu instid0(SALU_CYCLE_1)
	s_or_b32 exec_lo, exec_lo, s28
.LBB176_65:                             ;   in Loop: Header=BB176_9 Depth=1
	s_delay_alu instid0(SALU_CYCLE_1)
	s_or_b32 exec_lo, exec_lo, s27
	global_load_u8 v57, v[38:39], off offset:140
	s_mov_b32 s27, exec_lo
	s_wait_loadcnt 0x0
	v_cmpx_ne_u16_e32 0, v57
	s_cbranch_execz .LBB176_73
; %bb.66:                               ;   in Loop: Header=BB176_9 Depth=1
	v_bfrev_b32_e32 v55, 1
	s_mov_b32 s28, exec_lo
	v_cmpx_ne_u16_e32 0x80, v57
	s_cbranch_execz .LBB176_72
; %bb.67:                               ;   in Loop: Header=BB176_9 Depth=1
	v_and_b32_e32 v30, 0xffff, v57
	v_mov_b32_e32 v55, 0x7f800001
	s_mov_b32 s29, exec_lo
	s_delay_alu instid0(VALU_DEP_2) | instskip(NEXT) | instid1(VALU_DEP_1)
	v_and_b32_e32 v58, 0x7f, v30
	v_cmpx_ne_u32_e32 0x7f, v58
	s_cbranch_execz .LBB176_71
; %bb.68:                               ;   in Loop: Header=BB176_9 Depth=1
	v_and_b32_e32 v30, 7, v30
	v_lshrrev_b32_e32 v55, 3, v58
	s_mov_b32 s30, exec_lo
	v_cmpx_gt_u32_e32 8, v58
; %bb.69:                               ;   in Loop: Header=BB176_9 Depth=1
	s_delay_alu instid0(VALU_DEP_3) | instskip(NEXT) | instid1(VALU_DEP_1)
	v_clz_i32_u32_e32 v55, v30
	v_min_u32_e32 v55, 32, v55
	s_delay_alu instid0(VALU_DEP_1) | instskip(NEXT) | instid1(VALU_DEP_1)
	v_subrev_nc_u32_e32 v58, 28, v55
	v_lshlrev_b64_e32 v[58:59], v58, v[30:31]
	s_delay_alu instid0(VALU_DEP_1)
	v_dual_sub_nc_u32 v55, 29, v55 :: v_dual_bitop2_b32 v30, 7, v58 bitop3:0x40
; %bb.70:                               ;   in Loop: Header=BB176_9 Depth=1
	s_or_b32 exec_lo, exec_lo, s30
	s_delay_alu instid0(VALU_DEP_1) | instskip(NEXT) | instid1(VALU_DEP_2)
	v_dual_lshlrev_b32 v57, 24, v57 :: v_dual_lshlrev_b32 v30, 20, v30
	v_lshl_add_u32 v55, v55, 23, 0x3c000000
	s_delay_alu instid0(VALU_DEP_2) | instskip(NEXT) | instid1(VALU_DEP_1)
	v_and_b32_e32 v57, 0x80000000, v57
	v_or3_b32 v55, v30, v57, v55
.LBB176_71:                             ;   in Loop: Header=BB176_9 Depth=1
	s_or_b32 exec_lo, exec_lo, s29
.LBB176_72:                             ;   in Loop: Header=BB176_9 Depth=1
	s_delay_alu instid0(SALU_CYCLE_1)
	s_or_b32 exec_lo, exec_lo, s28
.LBB176_73:                             ;   in Loop: Header=BB176_9 Depth=1
	s_delay_alu instid0(SALU_CYCLE_1)
	s_or_b32 exec_lo, exec_lo, s27
	global_load_u8 v59, v[38:39], off offset:256
	v_dual_mov_b32 v57, 0 :: v_dual_mov_b32 v58, 0
	s_mov_b32 s27, exec_lo
	s_wait_loadcnt 0x0
	v_cmpx_ne_u16_e32 0, v59
	s_cbranch_execz .LBB176_81
; %bb.74:                               ;   in Loop: Header=BB176_9 Depth=1
	v_bfrev_b32_e32 v58, 1
	s_mov_b32 s28, exec_lo
	v_cmpx_ne_u16_e32 0x80, v59
	s_cbranch_execz .LBB176_80
; %bb.75:                               ;   in Loop: Header=BB176_9 Depth=1
	v_and_b32_e32 v30, 0xffff, v59
	v_mov_b32_e32 v58, 0x7f800001
	s_mov_b32 s29, exec_lo
	s_delay_alu instid0(VALU_DEP_2) | instskip(NEXT) | instid1(VALU_DEP_1)
	v_and_b32_e32 v60, 0x7f, v30
	v_cmpx_ne_u32_e32 0x7f, v60
	s_cbranch_execz .LBB176_79
; %bb.76:                               ;   in Loop: Header=BB176_9 Depth=1
	v_dual_lshrrev_b32 v58, 3, v60 :: v_dual_bitop2_b32 v30, 7, v30 bitop3:0x40
	s_mov_b32 s30, exec_lo
	v_cmpx_gt_u32_e32 8, v60
; %bb.77:                               ;   in Loop: Header=BB176_9 Depth=1
	s_delay_alu instid0(VALU_DEP_2) | instskip(NEXT) | instid1(VALU_DEP_1)
	v_clz_i32_u32_e32 v58, v30
	v_min_u32_e32 v58, 32, v58
	s_delay_alu instid0(VALU_DEP_1) | instskip(NEXT) | instid1(VALU_DEP_1)
	v_subrev_nc_u32_e32 v60, 28, v58
	v_lshlrev_b64_e32 v[60:61], v60, v[30:31]
	s_delay_alu instid0(VALU_DEP_1)
	v_dual_sub_nc_u32 v58, 29, v58 :: v_dual_bitop2_b32 v30, 7, v60 bitop3:0x40
; %bb.78:                               ;   in Loop: Header=BB176_9 Depth=1
	s_or_b32 exec_lo, exec_lo, s30
	s_delay_alu instid0(VALU_DEP_1) | instskip(NEXT) | instid1(VALU_DEP_2)
	v_dual_lshlrev_b32 v59, 24, v59 :: v_dual_lshlrev_b32 v30, 20, v30
	v_lshl_add_u32 v58, v58, 23, 0x3c000000
	s_delay_alu instid0(VALU_DEP_2) | instskip(NEXT) | instid1(VALU_DEP_1)
	v_and_b32_e32 v59, 0x80000000, v59
	v_or3_b32 v58, v30, v59, v58
.LBB176_79:                             ;   in Loop: Header=BB176_9 Depth=1
	s_or_b32 exec_lo, exec_lo, s29
.LBB176_80:                             ;   in Loop: Header=BB176_9 Depth=1
	s_delay_alu instid0(SALU_CYCLE_1)
	s_or_b32 exec_lo, exec_lo, s28
.LBB176_81:                             ;   in Loop: Header=BB176_9 Depth=1
	s_delay_alu instid0(SALU_CYCLE_1)
	s_or_b32 exec_lo, exec_lo, s27
	global_load_u8 v59, v[38:39], off offset:260
	s_mov_b32 s27, exec_lo
	s_wait_loadcnt 0x0
	v_cmpx_ne_u16_e32 0, v59
	s_cbranch_execz .LBB176_89
; %bb.82:                               ;   in Loop: Header=BB176_9 Depth=1
	v_bfrev_b32_e32 v57, 1
	s_mov_b32 s28, exec_lo
	v_cmpx_ne_u16_e32 0x80, v59
	s_cbranch_execz .LBB176_88
; %bb.83:                               ;   in Loop: Header=BB176_9 Depth=1
	v_and_b32_e32 v30, 0xffff, v59
	v_mov_b32_e32 v57, 0x7f800001
	s_mov_b32 s29, exec_lo
	s_delay_alu instid0(VALU_DEP_2) | instskip(NEXT) | instid1(VALU_DEP_1)
	v_and_b32_e32 v60, 0x7f, v30
	v_cmpx_ne_u32_e32 0x7f, v60
	s_cbranch_execz .LBB176_87
; %bb.84:                               ;   in Loop: Header=BB176_9 Depth=1
	v_dual_lshrrev_b32 v57, 3, v60 :: v_dual_bitop2_b32 v30, 7, v30 bitop3:0x40
	s_mov_b32 s30, exec_lo
	v_cmpx_gt_u32_e32 8, v60
; %bb.85:                               ;   in Loop: Header=BB176_9 Depth=1
	s_delay_alu instid0(VALU_DEP_2) | instskip(NEXT) | instid1(VALU_DEP_1)
	v_clz_i32_u32_e32 v57, v30
	v_min_u32_e32 v57, 32, v57
	s_delay_alu instid0(VALU_DEP_1) | instskip(NEXT) | instid1(VALU_DEP_1)
	v_subrev_nc_u32_e32 v60, 28, v57
	v_lshlrev_b64_e32 v[60:61], v60, v[30:31]
	s_delay_alu instid0(VALU_DEP_1)
	v_dual_sub_nc_u32 v57, 29, v57 :: v_dual_bitop2_b32 v30, 7, v60 bitop3:0x40
; %bb.86:                               ;   in Loop: Header=BB176_9 Depth=1
	s_or_b32 exec_lo, exec_lo, s30
	s_delay_alu instid0(VALU_DEP_1) | instskip(NEXT) | instid1(VALU_DEP_2)
	v_dual_lshlrev_b32 v59, 24, v59 :: v_dual_lshlrev_b32 v30, 20, v30
	v_lshl_add_u32 v57, v57, 23, 0x3c000000
	s_delay_alu instid0(VALU_DEP_2) | instskip(NEXT) | instid1(VALU_DEP_1)
	v_and_b32_e32 v59, 0x80000000, v59
	v_or3_b32 v57, v30, v59, v57
.LBB176_87:                             ;   in Loop: Header=BB176_9 Depth=1
	s_or_b32 exec_lo, exec_lo, s29
.LBB176_88:                             ;   in Loop: Header=BB176_9 Depth=1
	s_delay_alu instid0(SALU_CYCLE_1)
	s_or_b32 exec_lo, exec_lo, s28
.LBB176_89:                             ;   in Loop: Header=BB176_9 Depth=1
	s_delay_alu instid0(SALU_CYCLE_1)
	s_or_b32 exec_lo, exec_lo, s27
	global_load_u8 v61, v[38:39], off offset:264
	v_dual_mov_b32 v59, 0 :: v_dual_mov_b32 v60, 0
	s_mov_b32 s27, exec_lo
	s_wait_loadcnt 0x0
	v_cmpx_ne_u16_e32 0, v61
	s_cbranch_execz .LBB176_97
; %bb.90:                               ;   in Loop: Header=BB176_9 Depth=1
	v_bfrev_b32_e32 v60, 1
	s_mov_b32 s28, exec_lo
	v_cmpx_ne_u16_e32 0x80, v61
	s_cbranch_execz .LBB176_96
; %bb.91:                               ;   in Loop: Header=BB176_9 Depth=1
	v_and_b32_e32 v30, 0xffff, v61
	v_mov_b32_e32 v60, 0x7f800001
	s_mov_b32 s29, exec_lo
	s_delay_alu instid0(VALU_DEP_2) | instskip(NEXT) | instid1(VALU_DEP_1)
	v_and_b32_e32 v62, 0x7f, v30
	v_cmpx_ne_u32_e32 0x7f, v62
	s_cbranch_execz .LBB176_95
; %bb.92:                               ;   in Loop: Header=BB176_9 Depth=1
	v_and_b32_e32 v30, 7, v30
	v_lshrrev_b32_e32 v60, 3, v62
	s_mov_b32 s30, exec_lo
	v_cmpx_gt_u32_e32 8, v62
; %bb.93:                               ;   in Loop: Header=BB176_9 Depth=1
	s_delay_alu instid0(VALU_DEP_3) | instskip(NEXT) | instid1(VALU_DEP_1)
	v_clz_i32_u32_e32 v60, v30
	v_min_u32_e32 v60, 32, v60
	s_delay_alu instid0(VALU_DEP_1) | instskip(NEXT) | instid1(VALU_DEP_1)
	v_subrev_nc_u32_e32 v62, 28, v60
	v_lshlrev_b64_e32 v[62:63], v62, v[30:31]
	s_delay_alu instid0(VALU_DEP_1)
	v_dual_sub_nc_u32 v60, 29, v60 :: v_dual_bitop2_b32 v30, 7, v62 bitop3:0x40
; %bb.94:                               ;   in Loop: Header=BB176_9 Depth=1
	s_or_b32 exec_lo, exec_lo, s30
	s_delay_alu instid0(VALU_DEP_1) | instskip(NEXT) | instid1(VALU_DEP_2)
	v_dual_lshlrev_b32 v61, 24, v61 :: v_dual_lshlrev_b32 v30, 20, v30
	v_lshl_add_u32 v60, v60, 23, 0x3c000000
	s_delay_alu instid0(VALU_DEP_2) | instskip(NEXT) | instid1(VALU_DEP_1)
	v_and_b32_e32 v61, 0x80000000, v61
	v_or3_b32 v60, v30, v61, v60
.LBB176_95:                             ;   in Loop: Header=BB176_9 Depth=1
	s_or_b32 exec_lo, exec_lo, s29
.LBB176_96:                             ;   in Loop: Header=BB176_9 Depth=1
	s_delay_alu instid0(SALU_CYCLE_1)
	s_or_b32 exec_lo, exec_lo, s28
.LBB176_97:                             ;   in Loop: Header=BB176_9 Depth=1
	s_delay_alu instid0(SALU_CYCLE_1)
	s_or_b32 exec_lo, exec_lo, s27
	global_load_u8 v61, v[38:39], off offset:268
	s_mov_b32 s27, exec_lo
	s_wait_loadcnt 0x0
	v_cmpx_ne_u16_e32 0, v61
	s_cbranch_execz .LBB176_105
; %bb.98:                               ;   in Loop: Header=BB176_9 Depth=1
	v_bfrev_b32_e32 v59, 1
	s_mov_b32 s28, exec_lo
	v_cmpx_ne_u16_e32 0x80, v61
	s_cbranch_execz .LBB176_104
; %bb.99:                               ;   in Loop: Header=BB176_9 Depth=1
	v_and_b32_e32 v30, 0xffff, v61
	v_mov_b32_e32 v59, 0x7f800001
	s_mov_b32 s29, exec_lo
	s_delay_alu instid0(VALU_DEP_2) | instskip(NEXT) | instid1(VALU_DEP_1)
	v_and_b32_e32 v62, 0x7f, v30
	v_cmpx_ne_u32_e32 0x7f, v62
	s_cbranch_execz .LBB176_103
; %bb.100:                              ;   in Loop: Header=BB176_9 Depth=1
	v_and_b32_e32 v30, 7, v30
	v_lshrrev_b32_e32 v59, 3, v62
	s_mov_b32 s30, exec_lo
	v_cmpx_gt_u32_e32 8, v62
; %bb.101:                              ;   in Loop: Header=BB176_9 Depth=1
	s_delay_alu instid0(VALU_DEP_3) | instskip(NEXT) | instid1(VALU_DEP_1)
	v_clz_i32_u32_e32 v59, v30
	v_min_u32_e32 v59, 32, v59
	s_delay_alu instid0(VALU_DEP_1) | instskip(NEXT) | instid1(VALU_DEP_1)
	v_subrev_nc_u32_e32 v62, 28, v59
	v_lshlrev_b64_e32 v[62:63], v62, v[30:31]
	s_delay_alu instid0(VALU_DEP_1)
	v_dual_sub_nc_u32 v59, 29, v59 :: v_dual_bitop2_b32 v30, 7, v62 bitop3:0x40
; %bb.102:                              ;   in Loop: Header=BB176_9 Depth=1
	s_or_b32 exec_lo, exec_lo, s30
	s_delay_alu instid0(VALU_DEP_1) | instskip(NEXT) | instid1(VALU_DEP_2)
	v_dual_lshlrev_b32 v61, 24, v61 :: v_dual_lshlrev_b32 v30, 20, v30
	v_lshl_add_u32 v59, v59, 23, 0x3c000000
	s_delay_alu instid0(VALU_DEP_2) | instskip(NEXT) | instid1(VALU_DEP_1)
	v_and_b32_e32 v61, 0x80000000, v61
	v_or3_b32 v59, v30, v61, v59
.LBB176_103:                            ;   in Loop: Header=BB176_9 Depth=1
	s_or_b32 exec_lo, exec_lo, s29
.LBB176_104:                            ;   in Loop: Header=BB176_9 Depth=1
	s_delay_alu instid0(SALU_CYCLE_1)
	s_or_b32 exec_lo, exec_lo, s28
.LBB176_105:                            ;   in Loop: Header=BB176_9 Depth=1
	s_delay_alu instid0(SALU_CYCLE_1)
	s_or_b32 exec_lo, exec_lo, s27
	global_load_u8 v63, v[38:39], off offset:384
	v_dual_mov_b32 v61, 0 :: v_dual_mov_b32 v62, 0
	s_mov_b32 s27, exec_lo
	s_wait_loadcnt 0x0
	v_cmpx_ne_u16_e32 0, v63
	s_cbranch_execz .LBB176_113
; %bb.106:                              ;   in Loop: Header=BB176_9 Depth=1
	v_bfrev_b32_e32 v62, 1
	s_mov_b32 s28, exec_lo
	v_cmpx_ne_u16_e32 0x80, v63
	s_cbranch_execz .LBB176_112
; %bb.107:                              ;   in Loop: Header=BB176_9 Depth=1
	v_and_b32_e32 v30, 0xffff, v63
	v_mov_b32_e32 v62, 0x7f800001
	s_mov_b32 s29, exec_lo
	s_delay_alu instid0(VALU_DEP_2) | instskip(NEXT) | instid1(VALU_DEP_1)
	v_and_b32_e32 v64, 0x7f, v30
	v_cmpx_ne_u32_e32 0x7f, v64
	s_cbranch_execz .LBB176_111
; %bb.108:                              ;   in Loop: Header=BB176_9 Depth=1
	v_dual_lshrrev_b32 v62, 3, v64 :: v_dual_bitop2_b32 v30, 7, v30 bitop3:0x40
	s_mov_b32 s30, exec_lo
	v_cmpx_gt_u32_e32 8, v64
; %bb.109:                              ;   in Loop: Header=BB176_9 Depth=1
	s_delay_alu instid0(VALU_DEP_2) | instskip(NEXT) | instid1(VALU_DEP_1)
	v_clz_i32_u32_e32 v62, v30
	v_min_u32_e32 v62, 32, v62
	s_delay_alu instid0(VALU_DEP_1) | instskip(NEXT) | instid1(VALU_DEP_1)
	v_subrev_nc_u32_e32 v64, 28, v62
	v_lshlrev_b64_e32 v[64:65], v64, v[30:31]
	s_delay_alu instid0(VALU_DEP_1)
	v_dual_sub_nc_u32 v62, 29, v62 :: v_dual_bitop2_b32 v30, 7, v64 bitop3:0x40
; %bb.110:                              ;   in Loop: Header=BB176_9 Depth=1
	s_or_b32 exec_lo, exec_lo, s30
	s_delay_alu instid0(VALU_DEP_1) | instskip(NEXT) | instid1(VALU_DEP_2)
	v_dual_lshlrev_b32 v63, 24, v63 :: v_dual_lshlrev_b32 v30, 20, v30
	v_lshl_add_u32 v62, v62, 23, 0x3c000000
	s_delay_alu instid0(VALU_DEP_2) | instskip(NEXT) | instid1(VALU_DEP_1)
	v_and_b32_e32 v63, 0x80000000, v63
	v_or3_b32 v62, v30, v63, v62
.LBB176_111:                            ;   in Loop: Header=BB176_9 Depth=1
	s_or_b32 exec_lo, exec_lo, s29
.LBB176_112:                            ;   in Loop: Header=BB176_9 Depth=1
	s_delay_alu instid0(SALU_CYCLE_1)
	s_or_b32 exec_lo, exec_lo, s28
.LBB176_113:                            ;   in Loop: Header=BB176_9 Depth=1
	s_delay_alu instid0(SALU_CYCLE_1)
	s_or_b32 exec_lo, exec_lo, s27
	global_load_u8 v63, v[38:39], off offset:388
	s_mov_b32 s27, exec_lo
	s_wait_loadcnt 0x0
	v_cmpx_ne_u16_e32 0, v63
	s_cbranch_execz .LBB176_121
; %bb.114:                              ;   in Loop: Header=BB176_9 Depth=1
	v_bfrev_b32_e32 v61, 1
	s_mov_b32 s28, exec_lo
	v_cmpx_ne_u16_e32 0x80, v63
	s_cbranch_execz .LBB176_120
; %bb.115:                              ;   in Loop: Header=BB176_9 Depth=1
	v_and_b32_e32 v30, 0xffff, v63
	v_mov_b32_e32 v61, 0x7f800001
	s_mov_b32 s29, exec_lo
	s_delay_alu instid0(VALU_DEP_2) | instskip(NEXT) | instid1(VALU_DEP_1)
	v_and_b32_e32 v64, 0x7f, v30
	v_cmpx_ne_u32_e32 0x7f, v64
	s_cbranch_execz .LBB176_119
; %bb.116:                              ;   in Loop: Header=BB176_9 Depth=1
	v_dual_lshrrev_b32 v61, 3, v64 :: v_dual_bitop2_b32 v30, 7, v30 bitop3:0x40
	s_mov_b32 s30, exec_lo
	v_cmpx_gt_u32_e32 8, v64
; %bb.117:                              ;   in Loop: Header=BB176_9 Depth=1
	s_delay_alu instid0(VALU_DEP_2) | instskip(NEXT) | instid1(VALU_DEP_1)
	v_clz_i32_u32_e32 v61, v30
	v_min_u32_e32 v61, 32, v61
	s_delay_alu instid0(VALU_DEP_1) | instskip(NEXT) | instid1(VALU_DEP_1)
	v_subrev_nc_u32_e32 v64, 28, v61
	v_lshlrev_b64_e32 v[64:65], v64, v[30:31]
	s_delay_alu instid0(VALU_DEP_1)
	v_dual_sub_nc_u32 v61, 29, v61 :: v_dual_bitop2_b32 v30, 7, v64 bitop3:0x40
; %bb.118:                              ;   in Loop: Header=BB176_9 Depth=1
	s_or_b32 exec_lo, exec_lo, s30
	s_delay_alu instid0(VALU_DEP_1) | instskip(NEXT) | instid1(VALU_DEP_2)
	v_dual_lshlrev_b32 v63, 24, v63 :: v_dual_lshlrev_b32 v30, 20, v30
	v_lshl_add_u32 v61, v61, 23, 0x3c000000
	s_delay_alu instid0(VALU_DEP_2) | instskip(NEXT) | instid1(VALU_DEP_1)
	v_and_b32_e32 v63, 0x80000000, v63
	v_or3_b32 v61, v30, v63, v61
.LBB176_119:                            ;   in Loop: Header=BB176_9 Depth=1
	s_or_b32 exec_lo, exec_lo, s29
.LBB176_120:                            ;   in Loop: Header=BB176_9 Depth=1
	s_delay_alu instid0(SALU_CYCLE_1)
	s_or_b32 exec_lo, exec_lo, s28
.LBB176_121:                            ;   in Loop: Header=BB176_9 Depth=1
	s_delay_alu instid0(SALU_CYCLE_1)
	s_or_b32 exec_lo, exec_lo, s27
	global_load_u8 v65, v[38:39], off offset:392
	v_dual_mov_b32 v63, 0 :: v_dual_mov_b32 v64, 0
	s_mov_b32 s27, exec_lo
	s_wait_loadcnt 0x0
	v_cmpx_ne_u16_e32 0, v65
	s_cbranch_execz .LBB176_129
; %bb.122:                              ;   in Loop: Header=BB176_9 Depth=1
	v_bfrev_b32_e32 v64, 1
	s_mov_b32 s28, exec_lo
	v_cmpx_ne_u16_e32 0x80, v65
	s_cbranch_execz .LBB176_128
; %bb.123:                              ;   in Loop: Header=BB176_9 Depth=1
	v_and_b32_e32 v30, 0xffff, v65
	v_mov_b32_e32 v64, 0x7f800001
	s_mov_b32 s29, exec_lo
	s_delay_alu instid0(VALU_DEP_2) | instskip(NEXT) | instid1(VALU_DEP_1)
	v_and_b32_e32 v66, 0x7f, v30
	v_cmpx_ne_u32_e32 0x7f, v66
	s_cbranch_execz .LBB176_127
; %bb.124:                              ;   in Loop: Header=BB176_9 Depth=1
	v_and_b32_e32 v30, 7, v30
	v_lshrrev_b32_e32 v64, 3, v66
	s_mov_b32 s30, exec_lo
	v_cmpx_gt_u32_e32 8, v66
; %bb.125:                              ;   in Loop: Header=BB176_9 Depth=1
	s_delay_alu instid0(VALU_DEP_3) | instskip(NEXT) | instid1(VALU_DEP_1)
	v_clz_i32_u32_e32 v64, v30
	v_min_u32_e32 v64, 32, v64
	s_delay_alu instid0(VALU_DEP_1) | instskip(NEXT) | instid1(VALU_DEP_1)
	v_subrev_nc_u32_e32 v66, 28, v64
	v_lshlrev_b64_e32 v[66:67], v66, v[30:31]
	s_delay_alu instid0(VALU_DEP_1)
	v_dual_sub_nc_u32 v64, 29, v64 :: v_dual_bitop2_b32 v30, 7, v66 bitop3:0x40
; %bb.126:                              ;   in Loop: Header=BB176_9 Depth=1
	s_or_b32 exec_lo, exec_lo, s30
	s_delay_alu instid0(VALU_DEP_1) | instskip(NEXT) | instid1(VALU_DEP_2)
	v_dual_lshlrev_b32 v65, 24, v65 :: v_dual_lshlrev_b32 v30, 20, v30
	v_lshl_add_u32 v64, v64, 23, 0x3c000000
	s_delay_alu instid0(VALU_DEP_2) | instskip(NEXT) | instid1(VALU_DEP_1)
	v_and_b32_e32 v65, 0x80000000, v65
	v_or3_b32 v64, v30, v65, v64
.LBB176_127:                            ;   in Loop: Header=BB176_9 Depth=1
	s_or_b32 exec_lo, exec_lo, s29
.LBB176_128:                            ;   in Loop: Header=BB176_9 Depth=1
	s_delay_alu instid0(SALU_CYCLE_1)
	s_or_b32 exec_lo, exec_lo, s28
.LBB176_129:                            ;   in Loop: Header=BB176_9 Depth=1
	s_delay_alu instid0(SALU_CYCLE_1)
	s_or_b32 exec_lo, exec_lo, s27
	global_load_u8 v65, v[38:39], off offset:396
	s_mov_b32 s27, exec_lo
	s_wait_loadcnt 0x0
	v_cmpx_ne_u16_e32 0, v65
	s_cbranch_execz .LBB176_137
; %bb.130:                              ;   in Loop: Header=BB176_9 Depth=1
	v_bfrev_b32_e32 v63, 1
	s_mov_b32 s28, exec_lo
	v_cmpx_ne_u16_e32 0x80, v65
	s_cbranch_execz .LBB176_136
; %bb.131:                              ;   in Loop: Header=BB176_9 Depth=1
	v_and_b32_e32 v30, 0xffff, v65
	v_mov_b32_e32 v63, 0x7f800001
	s_mov_b32 s29, exec_lo
	s_delay_alu instid0(VALU_DEP_2) | instskip(NEXT) | instid1(VALU_DEP_1)
	v_and_b32_e32 v66, 0x7f, v30
	v_cmpx_ne_u32_e32 0x7f, v66
	s_cbranch_execz .LBB176_135
; %bb.132:                              ;   in Loop: Header=BB176_9 Depth=1
	v_and_b32_e32 v30, 7, v30
	v_lshrrev_b32_e32 v63, 3, v66
	s_mov_b32 s30, exec_lo
	v_cmpx_gt_u32_e32 8, v66
; %bb.133:                              ;   in Loop: Header=BB176_9 Depth=1
	s_delay_alu instid0(VALU_DEP_3) | instskip(NEXT) | instid1(VALU_DEP_1)
	v_clz_i32_u32_e32 v63, v30
	v_min_u32_e32 v63, 32, v63
	s_delay_alu instid0(VALU_DEP_1) | instskip(NEXT) | instid1(VALU_DEP_1)
	v_subrev_nc_u32_e32 v66, 28, v63
	v_lshlrev_b64_e32 v[66:67], v66, v[30:31]
	s_delay_alu instid0(VALU_DEP_1)
	v_dual_sub_nc_u32 v63, 29, v63 :: v_dual_bitop2_b32 v30, 7, v66 bitop3:0x40
; %bb.134:                              ;   in Loop: Header=BB176_9 Depth=1
	s_or_b32 exec_lo, exec_lo, s30
	s_delay_alu instid0(VALU_DEP_1) | instskip(NEXT) | instid1(VALU_DEP_2)
	v_dual_lshlrev_b32 v65, 24, v65 :: v_dual_lshlrev_b32 v30, 20, v30
	v_lshl_add_u32 v63, v63, 23, 0x3c000000
	s_delay_alu instid0(VALU_DEP_2) | instskip(NEXT) | instid1(VALU_DEP_1)
	v_and_b32_e32 v65, 0x80000000, v65
	v_or3_b32 v63, v30, v65, v63
.LBB176_135:                            ;   in Loop: Header=BB176_9 Depth=1
	s_or_b32 exec_lo, exec_lo, s29
.LBB176_136:                            ;   in Loop: Header=BB176_9 Depth=1
	s_delay_alu instid0(SALU_CYCLE_1)
	s_or_b32 exec_lo, exec_lo, s28
.LBB176_137:                            ;   in Loop: Header=BB176_9 Depth=1
	s_delay_alu instid0(SALU_CYCLE_1)
	s_or_b32 exec_lo, exec_lo, s27
	global_load_u8 v67, v[38:39], off offset:512
	v_dual_mov_b32 v65, 0 :: v_dual_mov_b32 v66, 0
	s_mov_b32 s27, exec_lo
	s_wait_loadcnt 0x0
	v_cmpx_ne_u16_e32 0, v67
	s_cbranch_execz .LBB176_145
; %bb.138:                              ;   in Loop: Header=BB176_9 Depth=1
	v_bfrev_b32_e32 v66, 1
	s_mov_b32 s28, exec_lo
	v_cmpx_ne_u16_e32 0x80, v67
	s_cbranch_execz .LBB176_144
; %bb.139:                              ;   in Loop: Header=BB176_9 Depth=1
	v_and_b32_e32 v30, 0xffff, v67
	v_mov_b32_e32 v66, 0x7f800001
	s_mov_b32 s29, exec_lo
	s_delay_alu instid0(VALU_DEP_2) | instskip(NEXT) | instid1(VALU_DEP_1)
	v_and_b32_e32 v68, 0x7f, v30
	v_cmpx_ne_u32_e32 0x7f, v68
	s_cbranch_execz .LBB176_143
; %bb.140:                              ;   in Loop: Header=BB176_9 Depth=1
	v_dual_lshrrev_b32 v66, 3, v68 :: v_dual_bitop2_b32 v30, 7, v30 bitop3:0x40
	s_mov_b32 s30, exec_lo
	v_cmpx_gt_u32_e32 8, v68
; %bb.141:                              ;   in Loop: Header=BB176_9 Depth=1
	s_delay_alu instid0(VALU_DEP_2) | instskip(NEXT) | instid1(VALU_DEP_1)
	v_clz_i32_u32_e32 v66, v30
	v_min_u32_e32 v66, 32, v66
	s_delay_alu instid0(VALU_DEP_1) | instskip(NEXT) | instid1(VALU_DEP_1)
	v_subrev_nc_u32_e32 v68, 28, v66
	v_lshlrev_b64_e32 v[68:69], v68, v[30:31]
	s_delay_alu instid0(VALU_DEP_1)
	v_dual_sub_nc_u32 v66, 29, v66 :: v_dual_bitop2_b32 v30, 7, v68 bitop3:0x40
; %bb.142:                              ;   in Loop: Header=BB176_9 Depth=1
	s_or_b32 exec_lo, exec_lo, s30
	s_delay_alu instid0(VALU_DEP_1) | instskip(NEXT) | instid1(VALU_DEP_2)
	v_dual_lshlrev_b32 v67, 24, v67 :: v_dual_lshlrev_b32 v30, 20, v30
	v_lshl_add_u32 v66, v66, 23, 0x3c000000
	s_delay_alu instid0(VALU_DEP_2) | instskip(NEXT) | instid1(VALU_DEP_1)
	v_and_b32_e32 v67, 0x80000000, v67
	v_or3_b32 v66, v30, v67, v66
.LBB176_143:                            ;   in Loop: Header=BB176_9 Depth=1
	s_or_b32 exec_lo, exec_lo, s29
.LBB176_144:                            ;   in Loop: Header=BB176_9 Depth=1
	s_delay_alu instid0(SALU_CYCLE_1)
	s_or_b32 exec_lo, exec_lo, s28
.LBB176_145:                            ;   in Loop: Header=BB176_9 Depth=1
	s_delay_alu instid0(SALU_CYCLE_1)
	s_or_b32 exec_lo, exec_lo, s27
	global_load_u8 v67, v[38:39], off offset:516
	s_mov_b32 s27, exec_lo
	s_wait_loadcnt 0x0
	v_cmpx_ne_u16_e32 0, v67
	s_cbranch_execz .LBB176_153
; %bb.146:                              ;   in Loop: Header=BB176_9 Depth=1
	v_bfrev_b32_e32 v65, 1
	s_mov_b32 s28, exec_lo
	v_cmpx_ne_u16_e32 0x80, v67
	s_cbranch_execz .LBB176_152
; %bb.147:                              ;   in Loop: Header=BB176_9 Depth=1
	v_and_b32_e32 v30, 0xffff, v67
	v_mov_b32_e32 v65, 0x7f800001
	s_mov_b32 s29, exec_lo
	s_delay_alu instid0(VALU_DEP_2) | instskip(NEXT) | instid1(VALU_DEP_1)
	v_and_b32_e32 v68, 0x7f, v30
	v_cmpx_ne_u32_e32 0x7f, v68
	s_cbranch_execz .LBB176_151
; %bb.148:                              ;   in Loop: Header=BB176_9 Depth=1
	v_dual_lshrrev_b32 v65, 3, v68 :: v_dual_bitop2_b32 v30, 7, v30 bitop3:0x40
	s_mov_b32 s30, exec_lo
	v_cmpx_gt_u32_e32 8, v68
; %bb.149:                              ;   in Loop: Header=BB176_9 Depth=1
	s_delay_alu instid0(VALU_DEP_2) | instskip(NEXT) | instid1(VALU_DEP_1)
	v_clz_i32_u32_e32 v65, v30
	v_min_u32_e32 v65, 32, v65
	s_delay_alu instid0(VALU_DEP_1) | instskip(NEXT) | instid1(VALU_DEP_1)
	v_subrev_nc_u32_e32 v68, 28, v65
	v_lshlrev_b64_e32 v[68:69], v68, v[30:31]
	s_delay_alu instid0(VALU_DEP_1)
	v_dual_sub_nc_u32 v65, 29, v65 :: v_dual_bitop2_b32 v30, 7, v68 bitop3:0x40
; %bb.150:                              ;   in Loop: Header=BB176_9 Depth=1
	s_or_b32 exec_lo, exec_lo, s30
	s_delay_alu instid0(VALU_DEP_1) | instskip(NEXT) | instid1(VALU_DEP_2)
	v_dual_lshlrev_b32 v67, 24, v67 :: v_dual_lshlrev_b32 v30, 20, v30
	v_lshl_add_u32 v65, v65, 23, 0x3c000000
	s_delay_alu instid0(VALU_DEP_2) | instskip(NEXT) | instid1(VALU_DEP_1)
	v_and_b32_e32 v67, 0x80000000, v67
	v_or3_b32 v65, v30, v67, v65
.LBB176_151:                            ;   in Loop: Header=BB176_9 Depth=1
	s_or_b32 exec_lo, exec_lo, s29
.LBB176_152:                            ;   in Loop: Header=BB176_9 Depth=1
	s_delay_alu instid0(SALU_CYCLE_1)
	s_or_b32 exec_lo, exec_lo, s28
.LBB176_153:                            ;   in Loop: Header=BB176_9 Depth=1
	s_delay_alu instid0(SALU_CYCLE_1)
	s_or_b32 exec_lo, exec_lo, s27
	global_load_u8 v69, v[38:39], off offset:520
	v_dual_mov_b32 v67, 0 :: v_dual_mov_b32 v68, 0
	s_mov_b32 s27, exec_lo
	s_wait_loadcnt 0x0
	v_cmpx_ne_u16_e32 0, v69
	s_cbranch_execz .LBB176_161
; %bb.154:                              ;   in Loop: Header=BB176_9 Depth=1
	v_bfrev_b32_e32 v68, 1
	s_mov_b32 s28, exec_lo
	v_cmpx_ne_u16_e32 0x80, v69
	s_cbranch_execz .LBB176_160
; %bb.155:                              ;   in Loop: Header=BB176_9 Depth=1
	v_and_b32_e32 v30, 0xffff, v69
	v_mov_b32_e32 v68, 0x7f800001
	s_mov_b32 s29, exec_lo
	s_delay_alu instid0(VALU_DEP_2) | instskip(NEXT) | instid1(VALU_DEP_1)
	v_and_b32_e32 v70, 0x7f, v30
	v_cmpx_ne_u32_e32 0x7f, v70
	s_cbranch_execz .LBB176_159
; %bb.156:                              ;   in Loop: Header=BB176_9 Depth=1
	v_and_b32_e32 v30, 7, v30
	v_lshrrev_b32_e32 v68, 3, v70
	s_mov_b32 s30, exec_lo
	v_cmpx_gt_u32_e32 8, v70
; %bb.157:                              ;   in Loop: Header=BB176_9 Depth=1
	s_delay_alu instid0(VALU_DEP_3) | instskip(NEXT) | instid1(VALU_DEP_1)
	v_clz_i32_u32_e32 v68, v30
	v_min_u32_e32 v68, 32, v68
	s_delay_alu instid0(VALU_DEP_1) | instskip(NEXT) | instid1(VALU_DEP_1)
	v_subrev_nc_u32_e32 v70, 28, v68
	v_lshlrev_b64_e32 v[70:71], v70, v[30:31]
	s_delay_alu instid0(VALU_DEP_1)
	v_dual_sub_nc_u32 v68, 29, v68 :: v_dual_bitop2_b32 v30, 7, v70 bitop3:0x40
; %bb.158:                              ;   in Loop: Header=BB176_9 Depth=1
	s_or_b32 exec_lo, exec_lo, s30
	s_delay_alu instid0(VALU_DEP_1) | instskip(NEXT) | instid1(VALU_DEP_2)
	v_dual_lshlrev_b32 v69, 24, v69 :: v_dual_lshlrev_b32 v30, 20, v30
	v_lshl_add_u32 v68, v68, 23, 0x3c000000
	s_delay_alu instid0(VALU_DEP_2) | instskip(NEXT) | instid1(VALU_DEP_1)
	v_and_b32_e32 v69, 0x80000000, v69
	v_or3_b32 v68, v30, v69, v68
.LBB176_159:                            ;   in Loop: Header=BB176_9 Depth=1
	s_or_b32 exec_lo, exec_lo, s29
.LBB176_160:                            ;   in Loop: Header=BB176_9 Depth=1
	s_delay_alu instid0(SALU_CYCLE_1)
	s_or_b32 exec_lo, exec_lo, s28
.LBB176_161:                            ;   in Loop: Header=BB176_9 Depth=1
	s_delay_alu instid0(SALU_CYCLE_1)
	s_or_b32 exec_lo, exec_lo, s27
	global_load_u8 v69, v[38:39], off offset:524
	s_mov_b32 s27, exec_lo
	s_wait_loadcnt 0x0
	v_cmpx_ne_u16_e32 0, v69
	s_cbranch_execz .LBB176_169
; %bb.162:                              ;   in Loop: Header=BB176_9 Depth=1
	v_bfrev_b32_e32 v67, 1
	s_mov_b32 s28, exec_lo
	v_cmpx_ne_u16_e32 0x80, v69
	s_cbranch_execz .LBB176_168
; %bb.163:                              ;   in Loop: Header=BB176_9 Depth=1
	v_and_b32_e32 v30, 0xffff, v69
	v_mov_b32_e32 v67, 0x7f800001
	s_mov_b32 s29, exec_lo
	s_delay_alu instid0(VALU_DEP_2) | instskip(NEXT) | instid1(VALU_DEP_1)
	v_and_b32_e32 v70, 0x7f, v30
	v_cmpx_ne_u32_e32 0x7f, v70
	s_cbranch_execz .LBB176_167
; %bb.164:                              ;   in Loop: Header=BB176_9 Depth=1
	v_and_b32_e32 v30, 7, v30
	v_lshrrev_b32_e32 v67, 3, v70
	s_mov_b32 s30, exec_lo
	v_cmpx_gt_u32_e32 8, v70
; %bb.165:                              ;   in Loop: Header=BB176_9 Depth=1
	s_delay_alu instid0(VALU_DEP_3) | instskip(NEXT) | instid1(VALU_DEP_1)
	v_clz_i32_u32_e32 v67, v30
	v_min_u32_e32 v67, 32, v67
	s_delay_alu instid0(VALU_DEP_1) | instskip(NEXT) | instid1(VALU_DEP_1)
	v_subrev_nc_u32_e32 v70, 28, v67
	v_lshlrev_b64_e32 v[70:71], v70, v[30:31]
	s_delay_alu instid0(VALU_DEP_1)
	v_dual_sub_nc_u32 v67, 29, v67 :: v_dual_bitop2_b32 v30, 7, v70 bitop3:0x40
; %bb.166:                              ;   in Loop: Header=BB176_9 Depth=1
	s_or_b32 exec_lo, exec_lo, s30
	s_delay_alu instid0(VALU_DEP_1) | instskip(NEXT) | instid1(VALU_DEP_2)
	v_dual_lshlrev_b32 v69, 24, v69 :: v_dual_lshlrev_b32 v30, 20, v30
	v_lshl_add_u32 v67, v67, 23, 0x3c000000
	s_delay_alu instid0(VALU_DEP_2) | instskip(NEXT) | instid1(VALU_DEP_1)
	v_and_b32_e32 v69, 0x80000000, v69
	v_or3_b32 v67, v30, v69, v67
.LBB176_167:                            ;   in Loop: Header=BB176_9 Depth=1
	s_or_b32 exec_lo, exec_lo, s29
.LBB176_168:                            ;   in Loop: Header=BB176_9 Depth=1
	s_delay_alu instid0(SALU_CYCLE_1)
	s_or_b32 exec_lo, exec_lo, s28
.LBB176_169:                            ;   in Loop: Header=BB176_9 Depth=1
	s_delay_alu instid0(SALU_CYCLE_1)
	s_or_b32 exec_lo, exec_lo, s27
	global_load_u8 v71, v[38:39], off offset:640
	v_dual_mov_b32 v69, 0 :: v_dual_mov_b32 v70, 0
	s_mov_b32 s27, exec_lo
	s_wait_loadcnt 0x0
	v_cmpx_ne_u16_e32 0, v71
	s_cbranch_execz .LBB176_177
; %bb.170:                              ;   in Loop: Header=BB176_9 Depth=1
	v_bfrev_b32_e32 v70, 1
	s_mov_b32 s28, exec_lo
	v_cmpx_ne_u16_e32 0x80, v71
	s_cbranch_execz .LBB176_176
; %bb.171:                              ;   in Loop: Header=BB176_9 Depth=1
	v_and_b32_e32 v30, 0xffff, v71
	v_mov_b32_e32 v70, 0x7f800001
	s_mov_b32 s29, exec_lo
	s_delay_alu instid0(VALU_DEP_2) | instskip(NEXT) | instid1(VALU_DEP_1)
	v_and_b32_e32 v72, 0x7f, v30
	v_cmpx_ne_u32_e32 0x7f, v72
	s_cbranch_execz .LBB176_175
; %bb.172:                              ;   in Loop: Header=BB176_9 Depth=1
	v_dual_lshrrev_b32 v70, 3, v72 :: v_dual_bitop2_b32 v30, 7, v30 bitop3:0x40
	s_mov_b32 s30, exec_lo
	v_cmpx_gt_u32_e32 8, v72
; %bb.173:                              ;   in Loop: Header=BB176_9 Depth=1
	s_delay_alu instid0(VALU_DEP_2) | instskip(NEXT) | instid1(VALU_DEP_1)
	v_clz_i32_u32_e32 v70, v30
	v_min_u32_e32 v70, 32, v70
	s_delay_alu instid0(VALU_DEP_1) | instskip(NEXT) | instid1(VALU_DEP_1)
	v_subrev_nc_u32_e32 v72, 28, v70
	v_lshlrev_b64_e32 v[72:73], v72, v[30:31]
	s_delay_alu instid0(VALU_DEP_1)
	v_dual_sub_nc_u32 v70, 29, v70 :: v_dual_bitop2_b32 v30, 7, v72 bitop3:0x40
; %bb.174:                              ;   in Loop: Header=BB176_9 Depth=1
	s_or_b32 exec_lo, exec_lo, s30
	s_delay_alu instid0(VALU_DEP_1) | instskip(NEXT) | instid1(VALU_DEP_2)
	v_dual_lshlrev_b32 v71, 24, v71 :: v_dual_lshlrev_b32 v30, 20, v30
	v_lshl_add_u32 v70, v70, 23, 0x3c000000
	s_delay_alu instid0(VALU_DEP_2) | instskip(NEXT) | instid1(VALU_DEP_1)
	v_and_b32_e32 v71, 0x80000000, v71
	v_or3_b32 v70, v30, v71, v70
.LBB176_175:                            ;   in Loop: Header=BB176_9 Depth=1
	s_or_b32 exec_lo, exec_lo, s29
.LBB176_176:                            ;   in Loop: Header=BB176_9 Depth=1
	s_delay_alu instid0(SALU_CYCLE_1)
	s_or_b32 exec_lo, exec_lo, s28
.LBB176_177:                            ;   in Loop: Header=BB176_9 Depth=1
	s_delay_alu instid0(SALU_CYCLE_1)
	s_or_b32 exec_lo, exec_lo, s27
	global_load_u8 v71, v[38:39], off offset:644
	s_mov_b32 s27, exec_lo
	s_wait_loadcnt 0x0
	v_cmpx_ne_u16_e32 0, v71
	s_cbranch_execz .LBB176_185
; %bb.178:                              ;   in Loop: Header=BB176_9 Depth=1
	v_bfrev_b32_e32 v69, 1
	s_mov_b32 s28, exec_lo
	v_cmpx_ne_u16_e32 0x80, v71
	s_cbranch_execz .LBB176_184
; %bb.179:                              ;   in Loop: Header=BB176_9 Depth=1
	v_and_b32_e32 v30, 0xffff, v71
	v_mov_b32_e32 v69, 0x7f800001
	s_mov_b32 s29, exec_lo
	s_delay_alu instid0(VALU_DEP_2) | instskip(NEXT) | instid1(VALU_DEP_1)
	v_and_b32_e32 v72, 0x7f, v30
	v_cmpx_ne_u32_e32 0x7f, v72
	s_cbranch_execz .LBB176_183
; %bb.180:                              ;   in Loop: Header=BB176_9 Depth=1
	v_dual_lshrrev_b32 v69, 3, v72 :: v_dual_bitop2_b32 v30, 7, v30 bitop3:0x40
	s_mov_b32 s30, exec_lo
	v_cmpx_gt_u32_e32 8, v72
; %bb.181:                              ;   in Loop: Header=BB176_9 Depth=1
	s_delay_alu instid0(VALU_DEP_2) | instskip(NEXT) | instid1(VALU_DEP_1)
	v_clz_i32_u32_e32 v69, v30
	v_min_u32_e32 v69, 32, v69
	s_delay_alu instid0(VALU_DEP_1) | instskip(NEXT) | instid1(VALU_DEP_1)
	v_subrev_nc_u32_e32 v72, 28, v69
	v_lshlrev_b64_e32 v[72:73], v72, v[30:31]
	s_delay_alu instid0(VALU_DEP_1)
	v_dual_sub_nc_u32 v69, 29, v69 :: v_dual_bitop2_b32 v30, 7, v72 bitop3:0x40
; %bb.182:                              ;   in Loop: Header=BB176_9 Depth=1
	s_or_b32 exec_lo, exec_lo, s30
	s_delay_alu instid0(VALU_DEP_1) | instskip(NEXT) | instid1(VALU_DEP_2)
	v_dual_lshlrev_b32 v71, 24, v71 :: v_dual_lshlrev_b32 v30, 20, v30
	v_lshl_add_u32 v69, v69, 23, 0x3c000000
	s_delay_alu instid0(VALU_DEP_2) | instskip(NEXT) | instid1(VALU_DEP_1)
	v_and_b32_e32 v71, 0x80000000, v71
	v_or3_b32 v69, v30, v71, v69
.LBB176_183:                            ;   in Loop: Header=BB176_9 Depth=1
	s_or_b32 exec_lo, exec_lo, s29
.LBB176_184:                            ;   in Loop: Header=BB176_9 Depth=1
	s_delay_alu instid0(SALU_CYCLE_1)
	s_or_b32 exec_lo, exec_lo, s28
.LBB176_185:                            ;   in Loop: Header=BB176_9 Depth=1
	s_delay_alu instid0(SALU_CYCLE_1)
	s_or_b32 exec_lo, exec_lo, s27
	global_load_u8 v73, v[38:39], off offset:648
	v_dual_mov_b32 v71, 0 :: v_dual_mov_b32 v72, 0
	s_mov_b32 s27, exec_lo
	s_wait_loadcnt 0x0
	v_cmpx_ne_u16_e32 0, v73
	s_cbranch_execz .LBB176_193
; %bb.186:                              ;   in Loop: Header=BB176_9 Depth=1
	v_bfrev_b32_e32 v72, 1
	s_mov_b32 s28, exec_lo
	v_cmpx_ne_u16_e32 0x80, v73
	s_cbranch_execz .LBB176_192
; %bb.187:                              ;   in Loop: Header=BB176_9 Depth=1
	v_and_b32_e32 v30, 0xffff, v73
	v_mov_b32_e32 v72, 0x7f800001
	s_mov_b32 s29, exec_lo
	s_delay_alu instid0(VALU_DEP_2) | instskip(NEXT) | instid1(VALU_DEP_1)
	v_and_b32_e32 v74, 0x7f, v30
	v_cmpx_ne_u32_e32 0x7f, v74
	s_cbranch_execz .LBB176_191
; %bb.188:                              ;   in Loop: Header=BB176_9 Depth=1
	v_and_b32_e32 v30, 7, v30
	v_lshrrev_b32_e32 v72, 3, v74
	s_mov_b32 s30, exec_lo
	v_cmpx_gt_u32_e32 8, v74
; %bb.189:                              ;   in Loop: Header=BB176_9 Depth=1
	s_delay_alu instid0(VALU_DEP_3) | instskip(NEXT) | instid1(VALU_DEP_1)
	v_clz_i32_u32_e32 v72, v30
	v_min_u32_e32 v72, 32, v72
	s_delay_alu instid0(VALU_DEP_1) | instskip(NEXT) | instid1(VALU_DEP_1)
	v_subrev_nc_u32_e32 v74, 28, v72
	v_lshlrev_b64_e32 v[74:75], v74, v[30:31]
	s_delay_alu instid0(VALU_DEP_1)
	v_dual_sub_nc_u32 v72, 29, v72 :: v_dual_bitop2_b32 v30, 7, v74 bitop3:0x40
; %bb.190:                              ;   in Loop: Header=BB176_9 Depth=1
	s_or_b32 exec_lo, exec_lo, s30
	s_delay_alu instid0(VALU_DEP_1) | instskip(NEXT) | instid1(VALU_DEP_2)
	v_dual_lshlrev_b32 v73, 24, v73 :: v_dual_lshlrev_b32 v30, 20, v30
	v_lshl_add_u32 v72, v72, 23, 0x3c000000
	s_delay_alu instid0(VALU_DEP_2) | instskip(NEXT) | instid1(VALU_DEP_1)
	v_and_b32_e32 v73, 0x80000000, v73
	v_or3_b32 v72, v30, v73, v72
.LBB176_191:                            ;   in Loop: Header=BB176_9 Depth=1
	s_or_b32 exec_lo, exec_lo, s29
.LBB176_192:                            ;   in Loop: Header=BB176_9 Depth=1
	s_delay_alu instid0(SALU_CYCLE_1)
	s_or_b32 exec_lo, exec_lo, s28
.LBB176_193:                            ;   in Loop: Header=BB176_9 Depth=1
	s_delay_alu instid0(SALU_CYCLE_1)
	s_or_b32 exec_lo, exec_lo, s27
	global_load_u8 v73, v[38:39], off offset:652
	s_mov_b32 s27, exec_lo
	s_wait_loadcnt 0x0
	v_cmpx_ne_u16_e32 0, v73
	s_cbranch_execz .LBB176_201
; %bb.194:                              ;   in Loop: Header=BB176_9 Depth=1
	v_bfrev_b32_e32 v71, 1
	s_mov_b32 s28, exec_lo
	v_cmpx_ne_u16_e32 0x80, v73
	s_cbranch_execz .LBB176_200
; %bb.195:                              ;   in Loop: Header=BB176_9 Depth=1
	v_and_b32_e32 v30, 0xffff, v73
	v_mov_b32_e32 v71, 0x7f800001
	s_mov_b32 s29, exec_lo
	s_delay_alu instid0(VALU_DEP_2) | instskip(NEXT) | instid1(VALU_DEP_1)
	v_and_b32_e32 v74, 0x7f, v30
	v_cmpx_ne_u32_e32 0x7f, v74
	s_cbranch_execz .LBB176_199
; %bb.196:                              ;   in Loop: Header=BB176_9 Depth=1
	v_and_b32_e32 v30, 7, v30
	v_lshrrev_b32_e32 v71, 3, v74
	s_mov_b32 s30, exec_lo
	v_cmpx_gt_u32_e32 8, v74
; %bb.197:                              ;   in Loop: Header=BB176_9 Depth=1
	s_delay_alu instid0(VALU_DEP_3) | instskip(NEXT) | instid1(VALU_DEP_1)
	v_clz_i32_u32_e32 v71, v30
	v_min_u32_e32 v71, 32, v71
	s_delay_alu instid0(VALU_DEP_1) | instskip(NEXT) | instid1(VALU_DEP_1)
	v_subrev_nc_u32_e32 v74, 28, v71
	v_lshlrev_b64_e32 v[74:75], v74, v[30:31]
	s_delay_alu instid0(VALU_DEP_1)
	v_dual_sub_nc_u32 v71, 29, v71 :: v_dual_bitop2_b32 v30, 7, v74 bitop3:0x40
; %bb.198:                              ;   in Loop: Header=BB176_9 Depth=1
	s_or_b32 exec_lo, exec_lo, s30
	s_delay_alu instid0(VALU_DEP_1) | instskip(NEXT) | instid1(VALU_DEP_2)
	v_dual_lshlrev_b32 v73, 24, v73 :: v_dual_lshlrev_b32 v30, 20, v30
	v_lshl_add_u32 v71, v71, 23, 0x3c000000
	s_delay_alu instid0(VALU_DEP_2) | instskip(NEXT) | instid1(VALU_DEP_1)
	v_and_b32_e32 v73, 0x80000000, v73
	v_or3_b32 v71, v30, v73, v71
.LBB176_199:                            ;   in Loop: Header=BB176_9 Depth=1
	s_or_b32 exec_lo, exec_lo, s29
.LBB176_200:                            ;   in Loop: Header=BB176_9 Depth=1
	s_delay_alu instid0(SALU_CYCLE_1)
	s_or_b32 exec_lo, exec_lo, s28
.LBB176_201:                            ;   in Loop: Header=BB176_9 Depth=1
	s_delay_alu instid0(SALU_CYCLE_1)
	s_or_b32 exec_lo, exec_lo, s27
	global_load_u8 v75, v[38:39], off offset:768
	v_dual_mov_b32 v73, 0 :: v_dual_mov_b32 v74, 0
	s_mov_b32 s27, exec_lo
	s_wait_loadcnt 0x0
	v_cmpx_ne_u16_e32 0, v75
	s_cbranch_execz .LBB176_209
; %bb.202:                              ;   in Loop: Header=BB176_9 Depth=1
	v_bfrev_b32_e32 v74, 1
	s_mov_b32 s28, exec_lo
	v_cmpx_ne_u16_e32 0x80, v75
	s_cbranch_execz .LBB176_208
; %bb.203:                              ;   in Loop: Header=BB176_9 Depth=1
	v_and_b32_e32 v30, 0xffff, v75
	v_mov_b32_e32 v74, 0x7f800001
	s_mov_b32 s29, exec_lo
	s_delay_alu instid0(VALU_DEP_2) | instskip(NEXT) | instid1(VALU_DEP_1)
	v_and_b32_e32 v76, 0x7f, v30
	v_cmpx_ne_u32_e32 0x7f, v76
	s_cbranch_execz .LBB176_207
; %bb.204:                              ;   in Loop: Header=BB176_9 Depth=1
	v_dual_lshrrev_b32 v74, 3, v76 :: v_dual_bitop2_b32 v30, 7, v30 bitop3:0x40
	s_mov_b32 s30, exec_lo
	v_cmpx_gt_u32_e32 8, v76
; %bb.205:                              ;   in Loop: Header=BB176_9 Depth=1
	s_delay_alu instid0(VALU_DEP_2) | instskip(NEXT) | instid1(VALU_DEP_1)
	v_clz_i32_u32_e32 v74, v30
	v_min_u32_e32 v74, 32, v74
	s_delay_alu instid0(VALU_DEP_1) | instskip(NEXT) | instid1(VALU_DEP_1)
	v_subrev_nc_u32_e32 v76, 28, v74
	v_lshlrev_b64_e32 v[76:77], v76, v[30:31]
	s_delay_alu instid0(VALU_DEP_1)
	v_dual_sub_nc_u32 v74, 29, v74 :: v_dual_bitop2_b32 v30, 7, v76 bitop3:0x40
; %bb.206:                              ;   in Loop: Header=BB176_9 Depth=1
	s_or_b32 exec_lo, exec_lo, s30
	s_delay_alu instid0(VALU_DEP_1) | instskip(NEXT) | instid1(VALU_DEP_2)
	v_dual_lshlrev_b32 v75, 24, v75 :: v_dual_lshlrev_b32 v30, 20, v30
	v_lshl_add_u32 v74, v74, 23, 0x3c000000
	s_delay_alu instid0(VALU_DEP_2) | instskip(NEXT) | instid1(VALU_DEP_1)
	v_and_b32_e32 v75, 0x80000000, v75
	v_or3_b32 v74, v30, v75, v74
.LBB176_207:                            ;   in Loop: Header=BB176_9 Depth=1
	s_or_b32 exec_lo, exec_lo, s29
.LBB176_208:                            ;   in Loop: Header=BB176_9 Depth=1
	s_delay_alu instid0(SALU_CYCLE_1)
	s_or_b32 exec_lo, exec_lo, s28
.LBB176_209:                            ;   in Loop: Header=BB176_9 Depth=1
	s_delay_alu instid0(SALU_CYCLE_1)
	s_or_b32 exec_lo, exec_lo, s27
	global_load_u8 v75, v[38:39], off offset:772
	s_mov_b32 s27, exec_lo
	s_wait_loadcnt 0x0
	v_cmpx_ne_u16_e32 0, v75
	s_cbranch_execz .LBB176_217
; %bb.210:                              ;   in Loop: Header=BB176_9 Depth=1
	v_bfrev_b32_e32 v73, 1
	s_mov_b32 s28, exec_lo
	v_cmpx_ne_u16_e32 0x80, v75
	s_cbranch_execz .LBB176_216
; %bb.211:                              ;   in Loop: Header=BB176_9 Depth=1
	v_and_b32_e32 v30, 0xffff, v75
	v_mov_b32_e32 v73, 0x7f800001
	s_mov_b32 s29, exec_lo
	s_delay_alu instid0(VALU_DEP_2) | instskip(NEXT) | instid1(VALU_DEP_1)
	v_and_b32_e32 v76, 0x7f, v30
	v_cmpx_ne_u32_e32 0x7f, v76
	s_cbranch_execz .LBB176_215
; %bb.212:                              ;   in Loop: Header=BB176_9 Depth=1
	v_dual_lshrrev_b32 v73, 3, v76 :: v_dual_bitop2_b32 v30, 7, v30 bitop3:0x40
	s_mov_b32 s30, exec_lo
	v_cmpx_gt_u32_e32 8, v76
; %bb.213:                              ;   in Loop: Header=BB176_9 Depth=1
	s_delay_alu instid0(VALU_DEP_2) | instskip(NEXT) | instid1(VALU_DEP_1)
	v_clz_i32_u32_e32 v73, v30
	v_min_u32_e32 v73, 32, v73
	s_delay_alu instid0(VALU_DEP_1) | instskip(NEXT) | instid1(VALU_DEP_1)
	v_subrev_nc_u32_e32 v76, 28, v73
	v_lshlrev_b64_e32 v[76:77], v76, v[30:31]
	s_delay_alu instid0(VALU_DEP_1)
	v_dual_sub_nc_u32 v73, 29, v73 :: v_dual_bitop2_b32 v30, 7, v76 bitop3:0x40
; %bb.214:                              ;   in Loop: Header=BB176_9 Depth=1
	s_or_b32 exec_lo, exec_lo, s30
	s_delay_alu instid0(VALU_DEP_1) | instskip(NEXT) | instid1(VALU_DEP_2)
	v_dual_lshlrev_b32 v75, 24, v75 :: v_dual_lshlrev_b32 v30, 20, v30
	v_lshl_add_u32 v73, v73, 23, 0x3c000000
	s_delay_alu instid0(VALU_DEP_2) | instskip(NEXT) | instid1(VALU_DEP_1)
	v_and_b32_e32 v75, 0x80000000, v75
	v_or3_b32 v73, v30, v75, v73
.LBB176_215:                            ;   in Loop: Header=BB176_9 Depth=1
	s_or_b32 exec_lo, exec_lo, s29
.LBB176_216:                            ;   in Loop: Header=BB176_9 Depth=1
	s_delay_alu instid0(SALU_CYCLE_1)
	s_or_b32 exec_lo, exec_lo, s28
.LBB176_217:                            ;   in Loop: Header=BB176_9 Depth=1
	s_delay_alu instid0(SALU_CYCLE_1)
	s_or_b32 exec_lo, exec_lo, s27
	global_load_u8 v77, v[38:39], off offset:776
	v_dual_mov_b32 v75, 0 :: v_dual_mov_b32 v76, 0
	s_mov_b32 s27, exec_lo
	s_wait_loadcnt 0x0
	v_cmpx_ne_u16_e32 0, v77
	s_cbranch_execz .LBB176_225
; %bb.218:                              ;   in Loop: Header=BB176_9 Depth=1
	v_bfrev_b32_e32 v76, 1
	s_mov_b32 s28, exec_lo
	v_cmpx_ne_u16_e32 0x80, v77
	s_cbranch_execz .LBB176_224
; %bb.219:                              ;   in Loop: Header=BB176_9 Depth=1
	v_and_b32_e32 v30, 0xffff, v77
	v_mov_b32_e32 v76, 0x7f800001
	s_mov_b32 s29, exec_lo
	s_delay_alu instid0(VALU_DEP_2) | instskip(NEXT) | instid1(VALU_DEP_1)
	v_and_b32_e32 v78, 0x7f, v30
	v_cmpx_ne_u32_e32 0x7f, v78
	s_cbranch_execz .LBB176_223
; %bb.220:                              ;   in Loop: Header=BB176_9 Depth=1
	v_and_b32_e32 v30, 7, v30
	v_lshrrev_b32_e32 v76, 3, v78
	s_mov_b32 s30, exec_lo
	v_cmpx_gt_u32_e32 8, v78
; %bb.221:                              ;   in Loop: Header=BB176_9 Depth=1
	s_delay_alu instid0(VALU_DEP_3) | instskip(NEXT) | instid1(VALU_DEP_1)
	v_clz_i32_u32_e32 v76, v30
	v_min_u32_e32 v76, 32, v76
	s_delay_alu instid0(VALU_DEP_1) | instskip(NEXT) | instid1(VALU_DEP_1)
	v_subrev_nc_u32_e32 v78, 28, v76
	v_lshlrev_b64_e32 v[78:79], v78, v[30:31]
	s_delay_alu instid0(VALU_DEP_1)
	v_dual_sub_nc_u32 v76, 29, v76 :: v_dual_bitop2_b32 v30, 7, v78 bitop3:0x40
; %bb.222:                              ;   in Loop: Header=BB176_9 Depth=1
	s_or_b32 exec_lo, exec_lo, s30
	s_delay_alu instid0(VALU_DEP_1) | instskip(NEXT) | instid1(VALU_DEP_2)
	v_dual_lshlrev_b32 v77, 24, v77 :: v_dual_lshlrev_b32 v30, 20, v30
	v_lshl_add_u32 v76, v76, 23, 0x3c000000
	s_delay_alu instid0(VALU_DEP_2) | instskip(NEXT) | instid1(VALU_DEP_1)
	v_and_b32_e32 v77, 0x80000000, v77
	v_or3_b32 v76, v30, v77, v76
.LBB176_223:                            ;   in Loop: Header=BB176_9 Depth=1
	s_or_b32 exec_lo, exec_lo, s29
.LBB176_224:                            ;   in Loop: Header=BB176_9 Depth=1
	s_delay_alu instid0(SALU_CYCLE_1)
	s_or_b32 exec_lo, exec_lo, s28
.LBB176_225:                            ;   in Loop: Header=BB176_9 Depth=1
	s_delay_alu instid0(SALU_CYCLE_1)
	s_or_b32 exec_lo, exec_lo, s27
	global_load_u8 v77, v[38:39], off offset:780
	s_mov_b32 s27, exec_lo
	s_wait_loadcnt 0x0
	v_cmpx_ne_u16_e32 0, v77
	s_cbranch_execz .LBB176_233
; %bb.226:                              ;   in Loop: Header=BB176_9 Depth=1
	v_bfrev_b32_e32 v75, 1
	s_mov_b32 s28, exec_lo
	v_cmpx_ne_u16_e32 0x80, v77
	s_cbranch_execz .LBB176_232
; %bb.227:                              ;   in Loop: Header=BB176_9 Depth=1
	v_and_b32_e32 v30, 0xffff, v77
	v_mov_b32_e32 v75, 0x7f800001
	s_mov_b32 s29, exec_lo
	s_delay_alu instid0(VALU_DEP_2) | instskip(NEXT) | instid1(VALU_DEP_1)
	v_and_b32_e32 v78, 0x7f, v30
	v_cmpx_ne_u32_e32 0x7f, v78
	s_cbranch_execz .LBB176_231
; %bb.228:                              ;   in Loop: Header=BB176_9 Depth=1
	v_and_b32_e32 v30, 7, v30
	v_lshrrev_b32_e32 v75, 3, v78
	s_mov_b32 s30, exec_lo
	v_cmpx_gt_u32_e32 8, v78
; %bb.229:                              ;   in Loop: Header=BB176_9 Depth=1
	s_delay_alu instid0(VALU_DEP_3) | instskip(NEXT) | instid1(VALU_DEP_1)
	v_clz_i32_u32_e32 v75, v30
	v_min_u32_e32 v75, 32, v75
	s_delay_alu instid0(VALU_DEP_1) | instskip(NEXT) | instid1(VALU_DEP_1)
	v_subrev_nc_u32_e32 v78, 28, v75
	v_lshlrev_b64_e32 v[78:79], v78, v[30:31]
	s_delay_alu instid0(VALU_DEP_1)
	v_dual_sub_nc_u32 v75, 29, v75 :: v_dual_bitop2_b32 v30, 7, v78 bitop3:0x40
; %bb.230:                              ;   in Loop: Header=BB176_9 Depth=1
	s_or_b32 exec_lo, exec_lo, s30
	s_delay_alu instid0(VALU_DEP_1) | instskip(NEXT) | instid1(VALU_DEP_2)
	v_dual_lshlrev_b32 v77, 24, v77 :: v_dual_lshlrev_b32 v30, 20, v30
	v_lshl_add_u32 v75, v75, 23, 0x3c000000
	s_delay_alu instid0(VALU_DEP_2) | instskip(NEXT) | instid1(VALU_DEP_1)
	v_and_b32_e32 v77, 0x80000000, v77
	v_or3_b32 v75, v30, v77, v75
.LBB176_231:                            ;   in Loop: Header=BB176_9 Depth=1
	s_or_b32 exec_lo, exec_lo, s29
.LBB176_232:                            ;   in Loop: Header=BB176_9 Depth=1
	s_delay_alu instid0(SALU_CYCLE_1)
	s_or_b32 exec_lo, exec_lo, s28
.LBB176_233:                            ;   in Loop: Header=BB176_9 Depth=1
	s_delay_alu instid0(SALU_CYCLE_1)
	s_or_b32 exec_lo, exec_lo, s27
	global_load_u8 v79, v[38:39], off offset:896
	v_dual_mov_b32 v77, 0 :: v_dual_mov_b32 v78, 0
	s_mov_b32 s27, exec_lo
	s_wait_loadcnt 0x0
	v_cmpx_ne_u16_e32 0, v79
	s_cbranch_execz .LBB176_241
; %bb.234:                              ;   in Loop: Header=BB176_9 Depth=1
	v_bfrev_b32_e32 v78, 1
	s_mov_b32 s28, exec_lo
	v_cmpx_ne_u16_e32 0x80, v79
	s_cbranch_execz .LBB176_240
; %bb.235:                              ;   in Loop: Header=BB176_9 Depth=1
	v_and_b32_e32 v30, 0xffff, v79
	v_mov_b32_e32 v78, 0x7f800001
	s_mov_b32 s29, exec_lo
	s_delay_alu instid0(VALU_DEP_2) | instskip(NEXT) | instid1(VALU_DEP_1)
	v_and_b32_e32 v80, 0x7f, v30
	v_cmpx_ne_u32_e32 0x7f, v80
	s_cbranch_execz .LBB176_239
; %bb.236:                              ;   in Loop: Header=BB176_9 Depth=1
	v_dual_lshrrev_b32 v78, 3, v80 :: v_dual_bitop2_b32 v30, 7, v30 bitop3:0x40
	s_mov_b32 s30, exec_lo
	v_cmpx_gt_u32_e32 8, v80
; %bb.237:                              ;   in Loop: Header=BB176_9 Depth=1
	s_delay_alu instid0(VALU_DEP_2) | instskip(NEXT) | instid1(VALU_DEP_1)
	v_clz_i32_u32_e32 v78, v30
	v_min_u32_e32 v78, 32, v78
	s_delay_alu instid0(VALU_DEP_1) | instskip(NEXT) | instid1(VALU_DEP_1)
	v_subrev_nc_u32_e32 v80, 28, v78
	v_lshlrev_b64_e32 v[80:81], v80, v[30:31]
	s_delay_alu instid0(VALU_DEP_1)
	v_dual_sub_nc_u32 v78, 29, v78 :: v_dual_bitop2_b32 v30, 7, v80 bitop3:0x40
; %bb.238:                              ;   in Loop: Header=BB176_9 Depth=1
	s_or_b32 exec_lo, exec_lo, s30
	s_delay_alu instid0(VALU_DEP_1) | instskip(NEXT) | instid1(VALU_DEP_2)
	v_dual_lshlrev_b32 v79, 24, v79 :: v_dual_lshlrev_b32 v30, 20, v30
	v_lshl_add_u32 v78, v78, 23, 0x3c000000
	s_delay_alu instid0(VALU_DEP_2) | instskip(NEXT) | instid1(VALU_DEP_1)
	v_and_b32_e32 v79, 0x80000000, v79
	v_or3_b32 v78, v30, v79, v78
.LBB176_239:                            ;   in Loop: Header=BB176_9 Depth=1
	s_or_b32 exec_lo, exec_lo, s29
.LBB176_240:                            ;   in Loop: Header=BB176_9 Depth=1
	s_delay_alu instid0(SALU_CYCLE_1)
	s_or_b32 exec_lo, exec_lo, s28
.LBB176_241:                            ;   in Loop: Header=BB176_9 Depth=1
	s_delay_alu instid0(SALU_CYCLE_1)
	s_or_b32 exec_lo, exec_lo, s27
	global_load_u8 v38, v[38:39], off offset:900
	s_mov_b32 s27, exec_lo
	s_wait_loadcnt 0x0
	v_cmpx_ne_u16_e32 0, v38
	s_cbranch_execz .LBB176_249
; %bb.242:                              ;   in Loop: Header=BB176_9 Depth=1
	v_bfrev_b32_e32 v77, 1
	s_mov_b32 s28, exec_lo
	v_cmpx_ne_u16_e32 0x80, v38
	s_cbranch_execz .LBB176_248
; %bb.243:                              ;   in Loop: Header=BB176_9 Depth=1
	v_and_b32_e32 v30, 0xffff, v38
	v_mov_b32_e32 v77, 0x7f800001
	s_mov_b32 s29, exec_lo
	s_delay_alu instid0(VALU_DEP_2) | instskip(NEXT) | instid1(VALU_DEP_1)
	v_and_b32_e32 v79, 0x7f, v30
	v_cmpx_ne_u32_e32 0x7f, v79
	s_cbranch_execz .LBB176_247
; %bb.244:                              ;   in Loop: Header=BB176_9 Depth=1
	v_dual_lshrrev_b32 v39, 3, v79 :: v_dual_bitop2_b32 v30, 7, v30 bitop3:0x40
	s_mov_b32 s30, exec_lo
	v_cmpx_gt_u32_e32 8, v79
; %bb.245:                              ;   in Loop: Header=BB176_9 Depth=1
	s_delay_alu instid0(VALU_DEP_2) | instskip(NEXT) | instid1(VALU_DEP_1)
	v_clz_i32_u32_e32 v39, v30
	v_min_u32_e32 v39, 32, v39
	s_delay_alu instid0(VALU_DEP_1) | instskip(NEXT) | instid1(VALU_DEP_1)
	v_subrev_nc_u32_e32 v77, 28, v39
	v_lshlrev_b64_e32 v[80:81], v77, v[30:31]
	s_delay_alu instid0(VALU_DEP_1)
	v_dual_sub_nc_u32 v39, 29, v39 :: v_dual_bitop2_b32 v30, 7, v80 bitop3:0x40
; %bb.246:                              ;   in Loop: Header=BB176_9 Depth=1
	s_or_b32 exec_lo, exec_lo, s30
	v_lshlrev_b32_e32 v38, 24, v38
	s_delay_alu instid0(VALU_DEP_2) | instskip(NEXT) | instid1(VALU_DEP_3)
	v_lshlrev_b32_e32 v30, 20, v30
	v_lshl_add_u32 v39, v39, 23, 0x3c000000
	s_delay_alu instid0(VALU_DEP_3) | instskip(NEXT) | instid1(VALU_DEP_1)
	v_and_b32_e32 v38, 0x80000000, v38
	v_or3_b32 v77, v30, v38, v39
.LBB176_247:                            ;   in Loop: Header=BB176_9 Depth=1
	s_or_b32 exec_lo, exec_lo, s29
.LBB176_248:                            ;   in Loop: Header=BB176_9 Depth=1
	s_delay_alu instid0(SALU_CYCLE_1)
	s_or_b32 exec_lo, exec_lo, s28
.LBB176_249:                            ;   in Loop: Header=BB176_9 Depth=1
	s_delay_alu instid0(SALU_CYCLE_1) | instskip(SKIP_3) | instid1(VALU_DEP_1)
	s_or_b32 exec_lo, exec_lo, s27
	s_wait_kmcnt 0x0
	v_dual_mul_f32 v30, s5, v49 :: v_dual_mul_f32 v38, s5, v50
	s_wait_dscnt 0x7
	v_dual_mul_f32 v39, s5, v52 :: v_dual_mul_f32 v30, v3, v30
	s_delay_alu instid0(VALU_DEP_1) | instskip(NEXT) | instid1(VALU_DEP_1)
	v_dual_fmac_f32 v30, v2, v38 :: v_dual_mul_f32 v38, s5, v51
	v_dual_fmac_f32 v30, v4, v39 :: v_dual_mul_f32 v39, s5, v54
	s_delay_alu instid0(VALU_DEP_1) | instskip(SKIP_1) | instid1(VALU_DEP_1)
	v_dual_fmac_f32 v30, v5, v38 :: v_dual_mul_f32 v38, s5, v53
	s_wait_dscnt 0x6
	v_dual_fmac_f32 v30, v6, v39 :: v_dual_mul_f32 v39, s5, v56
	s_delay_alu instid0(VALU_DEP_1) | instskip(NEXT) | instid1(VALU_DEP_1)
	v_dual_fmac_f32 v30, v7, v38 :: v_dual_mul_f32 v38, s5, v55
	v_dual_fmac_f32 v30, v8, v39 :: v_dual_mul_f32 v39, s5, v58
	s_delay_alu instid0(VALU_DEP_1) | instskip(SKIP_1) | instid1(VALU_DEP_1)
	v_dual_fmac_f32 v30, v9, v38 :: v_dual_mul_f32 v38, s5, v57
	s_wait_dscnt 0x5
	v_dual_fmac_f32 v30, v10, v39 :: v_dual_mul_f32 v39, s5, v60
	;; [unrolled: 7-line block ×6, first 2 shown]
	s_delay_alu instid0(VALU_DEP_1) | instskip(NEXT) | instid1(VALU_DEP_1)
	v_dual_fmac_f32 v30, v27, v38 :: v_dual_mul_f32 v38, s5, v75
	v_dual_fmac_f32 v30, v28, v39 :: v_dual_mul_f32 v39, s5, v78
	s_delay_alu instid0(VALU_DEP_1) | instskip(SKIP_1) | instid1(VALU_DEP_1)
	v_dual_fmac_f32 v30, v29, v38 :: v_dual_mul_f32 v38, s5, v77
	s_wait_dscnt 0x0
	v_fmac_f32_e32 v30, v32, v39
	s_delay_alu instid0(VALU_DEP_1)
	v_fmac_f32_e32 v30, v33, v38
	ds_bpermute_b32 v38, v44, v30
	s_wait_dscnt 0x0
	v_add_f32_e32 v30, v30, v38
	ds_bpermute_b32 v38, v45, v30
	s_and_saveexec_b32 s27, vcc_lo
	s_cbranch_execz .LBB176_8
; %bb.250:                              ;   in Loop: Header=BB176_9 Depth=1
	v_add_nc_u32_e32 v39, s26, v46
	v_cmp_gt_i32_e64 s4, s23, v46
	s_wait_dscnt 0x0
	v_add_f32_e32 v30, v30, v38
	s_delay_alu instid0(VALU_DEP_3) | instskip(NEXT) | instid1(VALU_DEP_1)
	v_cvt_f32_i32_e32 v39, v39
	v_mul_f32_e32 v39, s18, v39
	s_delay_alu instid0(VALU_DEP_1) | instskip(NEXT) | instid1(VALU_DEP_1)
	v_cndmask_b32_e64 v38, 0, v39, s3
	v_dual_max_num_f32 v39, v43, v43 :: v_dual_fmac_f32 v38, s19, v30
	s_delay_alu instid0(VALU_DEP_1) | instskip(NEXT) | instid1(VALU_DEP_1)
	v_dual_max_num_f32 v30, v39, v38 :: v_dual_cndmask_b32 v38, 0, v38, s4
	v_cndmask_b32_e64 v43, v43, v30, s4
	ds_store_b32 v47, v38
	s_branch .LBB176_8
.LBB176_251:
	s_or_b32 exec_lo, exec_lo, s11
.LBB176_252:
	s_delay_alu instid0(SALU_CYCLE_1)
	s_or_b32 exec_lo, exec_lo, s24
	v_dual_max_num_f32 v5, v43, v43 :: v_dual_bitop2_b32 v2, 16, v41 bitop3:0x14
	s_wait_kmcnt 0x0
	s_clause 0x1
	s_load_b64 s[4:5], s[0:1], 0x0
	s_load_b64 s[18:19], s[0:1], 0x18
	v_xor_b32_e32 v4, 8, v41
	v_cmp_lt_i32_e32 vcc_lo, v2, v42
	v_cndmask_b32_e32 v2, v41, v2, vcc_lo
	s_delay_alu instid0(VALU_DEP_3) | instskip(NEXT) | instid1(VALU_DEP_2)
	v_cmp_lt_i32_e32 vcc_lo, v4, v42
	v_dual_lshlrev_b32 v2, 2, v2 :: v_dual_cndmask_b32 v4, v41, v4, vcc_lo
	ds_bpermute_b32 v3, v2, v43
	s_wait_dscnt 0x0
	v_dual_max_num_f32 v6, v3, v3 :: v_dual_lshlrev_b32 v3, 2, v4
	s_delay_alu instid0(VALU_DEP_1) | instskip(SKIP_4) | instid1(VALU_DEP_1)
	v_dual_max_num_f32 v4, v5, v6 :: v_dual_bitop2_b32 v6, 4, v41 bitop3:0x14
	ds_bpermute_b32 v5, v3, v4
	v_cmp_lt_i32_e32 vcc_lo, v6, v42
	v_cndmask_b32_e32 v7, v41, v6, vcc_lo
	s_wait_dscnt 0x0
	v_dual_lshlrev_b32 v7, 2, v7 :: v_dual_max_num_f32 v5, v5, v5
	s_delay_alu instid0(VALU_DEP_1)
	v_dual_max_num_f32 v6, v4, v5 :: v_dual_bitop2_b32 v4, 31, v0 bitop3:0x40
	v_lshlrev_b32_e32 v5, 2, v1
	ds_bpermute_b32 v8, v7, v6
	v_cmp_eq_u32_e32 vcc_lo, 0, v4
	s_wait_xcnt 0x0
	s_and_saveexec_b32 s0, vcc_lo
	s_cbranch_execz .LBB176_254
; %bb.253:
	s_wait_dscnt 0x0
	v_dual_max_num_f32 v8, v8, v8 :: v_dual_max_num_f32 v6, v6, v6
	s_delay_alu instid0(VALU_DEP_1)
	v_max_num_f32_e32 v6, v6, v8
	ds_store_b32 v5, v6 offset:480
.LBB176_254:
	s_or_b32 exec_lo, exec_lo, s0
	v_cmp_gt_u32_e64 s0, 4, v4
	v_dual_mov_b32 v9, 0xff7fffff :: v_dual_lshlrev_b32 v6, 2, v4
	s_wait_dscnt 0x0
	s_barrier_signal -1
	s_barrier_wait -1
	s_and_saveexec_b32 s1, s0
; %bb.255:
	ds_load_b32 v9, v6 offset:480
; %bb.256:
	s_or_b32 exec_lo, exec_lo, s1
	v_xor_b32_e32 v11, 1, v41
	v_xor_b32_e32 v8, 2, v41
	s_delay_alu instid0(VALU_DEP_1) | instskip(NEXT) | instid1(VALU_DEP_1)
	v_cmp_lt_i32_e64 s1, v8, v42
	v_cndmask_b32_e64 v8, v41, v8, s1
	s_delay_alu instid0(VALU_DEP_1) | instskip(SKIP_4) | instid1(VALU_DEP_1)
	v_lshlrev_b32_e32 v8, 2, v8
	s_wait_dscnt 0x0
	ds_bpermute_b32 v10, v8, v9
	s_wait_dscnt 0x0
	v_dual_max_num_f32 v9, v9, v9 :: v_dual_max_num_f32 v10, v10, v10
	v_max_num_f32_e32 v9, v9, v10
	v_cmp_lt_i32_e64 s1, v11, v42
	s_delay_alu instid0(VALU_DEP_1) | instskip(SKIP_1) | instid1(SALU_CYCLE_1)
	v_cndmask_b32_e64 v11, v41, v11, s1
	s_lshl_b32 s1, s13, 3
	s_min_i32 s11, s1, s23
	s_delay_alu instid0(VALU_DEP_1) | instskip(SKIP_4) | instid1(VALU_DEP_1)
	v_lshlrev_b32_e32 v59, 2, v11
	v_cmp_gt_i32_e64 s1, s11, v0
	ds_bpermute_b32 v10, v59, v9
	s_wait_dscnt 0x0
	v_max_num_f32_e32 v10, v10, v10
	v_dual_max_num_f32 v9, v9, v10 :: v_dual_lshlrev_b32 v10, 2, v31
	ds_bpermute_b32 v10, v10, v9
	v_mov_b32_e32 v9, 0
	s_and_saveexec_b32 s24, s1
	s_cbranch_execz .LBB176_260
; %bb.257:
	v_lshl_add_u32 v11, v0, 2, 0x200
	v_dual_mov_b32 v9, 0 :: v_dual_mov_b32 v12, v0
	s_mov_b32 s25, 0
.LBB176_258:                            ; =>This Inner Loop Header: Depth=1
	ds_load_b32 v13, v11
	v_add_nc_u32_e32 v12, 0x80, v12
	s_delay_alu instid0(VALU_DEP_1) | instskip(SKIP_3) | instid1(VALU_DEP_1)
	v_cmp_le_i32_e64 s3, s11, v12
	s_or_b32 s25, s3, s25
	s_wait_dscnt 0x0
	v_sub_f32_e32 v13, v13, v10
	v_mul_f32_e32 v13, 0x3fb8aa3b, v13
	s_delay_alu instid0(VALU_DEP_1)
	v_exp_f32_e32 v13, v13
	ds_store_b32 v11, v13
	v_nop
	v_add_f32_e32 v9, v9, v13
	v_add_nc_u32_e32 v11, 0x200, v11
	s_and_not1_b32 exec_lo, exec_lo, s25
	s_cbranch_execnz .LBB176_258
; %bb.259:
	s_or_b32 exec_lo, exec_lo, s25
.LBB176_260:
	s_delay_alu instid0(SALU_CYCLE_1)
	s_or_b32 exec_lo, exec_lo, s24
	ds_bpermute_b32 v2, v2, v9
	s_wait_dscnt 0x0
	v_add_f32_e32 v2, v9, v2
	ds_bpermute_b32 v3, v3, v2
	s_wait_dscnt 0x0
	v_add_f32_e32 v2, v2, v3
	;; [unrolled: 3-line block ×5, first 2 shown]
	s_and_saveexec_b32 s3, vcc_lo
; %bb.261:
	ds_store_b32 v5, v2 offset:496
; %bb.262:
	s_or_b32 exec_lo, exec_lo, s3
	s_wait_dscnt 0x0
	s_barrier_signal -1
	s_barrier_wait -1
	s_and_saveexec_b32 s3, s0
; %bb.263:
	ds_load_b32 v2, v6 offset:496
; %bb.264:
	s_or_b32 exec_lo, exec_lo, s3
	s_wait_dscnt 0x0
	ds_bpermute_b32 v3, v8, v2
	s_wait_dscnt 0x0
	v_dual_add_f32 v2, v2, v3 :: v_dual_lshlrev_b32 v5, 2, v41
	ds_bpermute_b32 v3, v59, v2
	s_wait_dscnt 0x0
	v_add_f32_e32 v2, v2, v3
	v_and_b32_e32 v3, 0xffffff80, v5
	ds_bpermute_b32 v2, v3, v2
	s_and_saveexec_b32 s0, s1
	s_cbranch_execz .LBB176_277
; %bb.265:
	s_wait_dscnt 0x0
	v_add_f32_e32 v2, 0x358637bd, v2
	s_mov_b32 s3, -1
	s_mov_b32 s1, exec_lo
	s_delay_alu instid0(VALU_DEP_1) | instskip(SKIP_1) | instid1(VALU_DEP_2)
	v_div_scale_f32 v3, null, v2, v2, 1.0
	v_div_scale_f32 v7, vcc_lo, 1.0, v2, 1.0
	v_rcp_f32_e32 v6, v3
	v_nop
	s_delay_alu instid0(TRANS32_DEP_1) | instskip(NEXT) | instid1(VALU_DEP_1)
	v_fma_f32 v5, -v3, v6, 1.0
	v_fmac_f32_e32 v6, v5, v6
	s_delay_alu instid0(VALU_DEP_1) | instskip(NEXT) | instid1(VALU_DEP_1)
	v_mul_f32_e32 v8, v7, v6
	v_fma_f32 v5, -v3, v8, v7
	s_delay_alu instid0(VALU_DEP_1) | instskip(SKIP_1) | instid1(VALU_DEP_2)
	v_fmac_f32_e32 v8, v5, v6
	v_xad_u32 v5, v0, -1, s11
	v_fma_f32 v3, -v3, v8, v7
	s_delay_alu instid0(VALU_DEP_1) | instskip(NEXT) | instid1(VALU_DEP_1)
	v_div_fmas_f32 v3, v3, v6, v8
	v_div_fixup_f32 v2, v3, v2, 1.0
	v_mov_b32_e32 v3, v0
	v_cmpx_lt_u32_e32 0x7f, v5
	s_cbranch_execz .LBB176_274
; %bb.266:
	s_delay_alu instid0(VALU_DEP_3) | instskip(NEXT) | instid1(VALU_DEP_1)
	v_dual_lshrrev_b32 v5, 7, v5 :: v_dual_mov_b32 v3, v2
	v_dual_mov_b32 v9, 0 :: v_dual_add_nc_u32 v6, -1, v5
	s_delay_alu instid0(VALU_DEP_1) | instskip(SKIP_1) | instid1(VALU_DEP_2)
	v_lshrrev_b32_e32 v7, 1, v6
	v_cmp_lt_u32_e32 vcc_lo, 13, v6
	v_add_nc_u32_e32 v6, 1, v7
	s_and_saveexec_b32 s3, vcc_lo
	s_cbranch_execz .LBB176_270
; %bb.267:
	s_delay_alu instid0(VALU_DEP_1)
	v_and_b32_e32 v7, -8, v6
	v_lshl_add_u32 v8, v0, 2, 0x200
	s_mov_b32 s24, 0
	s_mov_b32 s25, 0
.LBB176_268:                            ; =>This Inner Loop Header: Depth=1
	ds_load_2addr_stride64_b32 v[10:11], v8 offset1:2
	ds_load_2addr_stride64_b32 v[12:13], v8 offset0:4 offset1:6
	ds_load_2addr_stride64_b32 v[14:15], v8 offset0:8 offset1:10
	;; [unrolled: 1-line block ×7, first 2 shown]
	s_add_co_i32 s25, s25, 16
	s_delay_alu instid0(SALU_CYCLE_1) | instskip(NEXT) | instid1(VALU_DEP_1)
	v_dual_add_nc_u32 v7, -8, v7 :: v_dual_mov_b32 v9, s25
	v_cmp_eq_u32_e32 vcc_lo, 0, v7
	s_or_b32 s24, vcc_lo, s24
	s_wait_dscnt 0x7
	v_pk_mul_f32 v[10:11], v[2:3], v[10:11]
	s_wait_dscnt 0x6
	v_pk_mul_f32 v[12:13], v[2:3], v[12:13]
	;; [unrolled: 2-line block ×8, first 2 shown]
	ds_store_2addr_stride64_b32 v8, v10, v11 offset1:2
	ds_store_2addr_stride64_b32 v8, v12, v13 offset0:4 offset1:6
	ds_store_2addr_stride64_b32 v8, v14, v15 offset0:8 offset1:10
	;; [unrolled: 1-line block ×7, first 2 shown]
	v_add_nc_u32_e32 v8, 0x2000, v8
	s_and_not1_b32 exec_lo, exec_lo, s24
	s_cbranch_execnz .LBB176_268
; %bb.269:
	s_or_b32 exec_lo, exec_lo, s24
.LBB176_270:
	s_delay_alu instid0(SALU_CYCLE_1) | instskip(NEXT) | instid1(VALU_DEP_1)
	s_or_b32 exec_lo, exec_lo, s3
	v_and_b32_e32 v6, 7, v6
	s_mov_b32 s24, 0
	s_mov_b32 s3, exec_lo
	s_delay_alu instid0(VALU_DEP_1)
	v_cmpx_ne_u32_e32 0, v6
	s_cbranch_execz .LBB176_273
; %bb.271:
	v_dual_lshlrev_b32 v7, 9, v9 :: v_dual_lshlrev_b32 v8, 2, v0
	s_delay_alu instid0(VALU_DEP_1)
	v_add3_u32 v7, v7, v8, 0x200
.LBB176_272:                            ; =>This Inner Loop Header: Depth=1
	ds_load_2addr_stride64_b32 v[8:9], v7 offset1:2
	v_add_nc_u32_e32 v6, -1, v6
	s_delay_alu instid0(VALU_DEP_1)
	v_cmp_eq_u32_e32 vcc_lo, 0, v6
	s_or_b32 s24, vcc_lo, s24
	s_wait_dscnt 0x0
	v_pk_mul_f32 v[8:9], v[2:3], v[8:9]
	ds_store_2addr_stride64_b32 v7, v8, v9 offset1:2
	v_add_nc_u32_e32 v7, 0x400, v7
	s_and_not1_b32 exec_lo, exec_lo, s24
	s_cbranch_execnz .LBB176_272
.LBB176_273:
	s_or_b32 exec_lo, exec_lo, s3
	v_add_nc_u32_e32 v3, 1, v5
	s_delay_alu instid0(VALU_DEP_1) | instskip(NEXT) | instid1(VALU_DEP_1)
	v_and_b32_e32 v5, 0x3fffffe, v3
	v_cmp_ne_u32_e32 vcc_lo, v3, v5
	v_lshl_add_u32 v3, v5, 7, v0
	s_or_not1_b32 s3, vcc_lo, exec_lo
.LBB176_274:
	s_or_b32 exec_lo, exec_lo, s1
	s_delay_alu instid0(SALU_CYCLE_1)
	s_and_b32 exec_lo, exec_lo, s3
	s_cbranch_execz .LBB176_277
; %bb.275:
	v_lshl_add_u32 v5, v3, 2, 0x200
	s_mov_b32 s1, 0
.LBB176_276:                            ; =>This Inner Loop Header: Depth=1
	ds_load_b32 v6, v5
	s_wait_dscnt 0x0
	v_dual_mul_f32 v6, v2, v6 :: v_dual_add_nc_u32 v3, 0x80, v3
	s_delay_alu instid0(VALU_DEP_1) | instskip(SKIP_3) | instid1(SALU_CYCLE_1)
	v_cmp_le_i32_e32 vcc_lo, s11, v3
	ds_store_b32 v5, v6
	v_add_nc_u32_e32 v5, 0x200, v5
	s_or_b32 s1, vcc_lo, s1
	s_and_not1_b32 exec_lo, exec_lo, s1
	s_cbranch_execnz .LBB176_276
.LBB176_277:
	s_or_b32 exec_lo, exec_lo, s0
	v_lshrrev_b32_e32 v58, 1, v4
	s_wait_dscnt 0x0
	s_barrier_signal -1
	s_barrier_wait -1
	s_and_saveexec_b32 s0, s2
	s_delay_alu instid0(SALU_CYCLE_1)
	s_xor_b32 s0, exec_lo, s0
; %bb.278:
	v_lshrrev_b32_e32 v58, 1, v4
                                        ; implicit-def: $vgpr40
; %bb.279:
	s_or_saveexec_b32 s24, s0
	v_dual_mov_b32 v7, 0 :: v_dual_bitop2_b32 v60, 1, v0 bitop3:0x40
	v_dual_mov_b32 v6, 0 :: v_dual_mov_b32 v9, 0
	v_dual_mov_b32 v8, 0 :: v_dual_mov_b32 v11, 0
	;; [unrolled: 1-line block ×3, first 2 shown]
	v_mov_b32_e32 v12, 0
	s_xor_b32 exec_lo, exec_lo, s24
	s_cbranch_execz .LBB176_557
; %bb.280:
	s_load_b32 s6, s[6:7], 0x0
	v_dual_mov_b32 v15, 0 :: v_dual_lshlrev_b32 v2, 2, v0
	v_or_b32_e32 v3, 0x70, v58
	v_and_b32_e32 v14, 0x7c, v40
	s_delay_alu instid0(VALU_DEP_3) | instskip(SKIP_1) | instid1(VALU_DEP_3)
	v_dual_lshlrev_b32 v4, 4, v60 :: v_dual_bitop2_b32 v2, 4, v2 bitop3:0x40
	s_lshl_b64 s[0:1], s[14:15], 2
	v_cmp_gt_u32_e32 vcc_lo, 0x78, v3
	s_add_nc_u64 s[0:1], s[16:17], s[0:1]
	v_dual_mov_b32 v17, v15 :: v_dual_mov_b32 v19, v15
	v_lshl_or_b32 v18, v3, 3, v2
	v_lshl_or_b32 v3, v1, 5, v4
	v_add_nc_u64_e32 v[20:21], s[0:1], v[14:15]
	v_lshl_or_b32 v16, v58, 3, v2
	v_lshl_or_b32 v61, v1, 3, v2
	s_delay_alu instid0(VALU_DEP_4)
	v_dual_mov_b32 v7, 0 :: v_dual_add_nc_u32 v62, 0x200, v3
	v_dual_mov_b32 v6, 0 :: v_dual_mov_b32 v9, 0
	v_dual_mov_b32 v8, 0 :: v_dual_mov_b32 v11, 0
	;; [unrolled: 1-line block ×4, first 2 shown]
	s_ashr_i32 s11, s10, 31
	s_add_co_i32 s25, s13, -1
	s_wait_kmcnt 0x0
	s_add_nc_u64 s[2:3], s[18:19], s[10:11]
	s_mov_b32 s7, s6
	s_mov_b32 s11, s23
	;; [unrolled: 1-line block ×3, first 2 shown]
	s_branch .LBB176_283
.LBB176_281:                            ;   in Loop: Header=BB176_283 Depth=1
	s_or_b32 exec_lo, exec_lo, s1
	s_wait_dscnt 0x0
	v_pk_mul_f32 v[26:27], v[2:3], v[26:27]
	v_pk_mul_f32 v[52:53], v[4:5], v[52:53]
	s_delay_alu instid0(VALU_DEP_2) | instskip(NEXT) | instid1(VALU_DEP_1)
	v_add_f32_e32 v14, v27, v26
	v_add_f32_e32 v14, v52, v14
	s_delay_alu instid0(VALU_DEP_1) | instskip(NEXT) | instid1(VALU_DEP_1)
	v_add_f32_e32 v14, v53, v14
	v_add_f32_e32 v7, v7, v14
.LBB176_282:                            ;   in Loop: Header=BB176_283 Depth=1
	s_or_b32 exec_lo, exec_lo, s14
	s_wait_dscnt 0x0
	v_dual_mul_f32 v14, v2, v50 :: v_dual_mul_f32 v26, v2, v48
	v_mul_f32_e32 v27, v2, v44
	v_dual_mul_f32 v36, v2, v36 :: v_dual_mul_f32 v30, v2, v30
	s_delay_alu instid0(VALU_DEP_3) | instskip(NEXT) | instid1(VALU_DEP_4)
	v_dual_fmac_f32 v14, v3, v51 :: v_dual_mul_f32 v40, v2, v40
	v_dual_fmac_f32 v26, v3, v49 :: v_dual_mul_f32 v2, v2, v24
	v_add_nc_u64_e32 v[20:21], 16, v[20:21]
	s_delay_alu instid0(VALU_DEP_3) | instskip(NEXT) | instid1(VALU_DEP_3)
	v_dual_fmac_f32 v14, v4, v32 :: v_dual_fmac_f32 v27, v3, v45
	v_dual_fmac_f32 v36, v3, v37 :: v_dual_fmac_f32 v26, v4, v46
	v_fmac_f32_e32 v40, v3, v41
	s_delay_alu instid0(VALU_DEP_3) | instskip(NEXT) | instid1(VALU_DEP_4)
	v_dual_add_nc_u32 v61, 32, v61 :: v_dual_fmac_f32 v27, v4, v42
	v_fmac_f32_e32 v14, v5, v33
	s_delay_alu instid0(VALU_DEP_4) | instskip(SKIP_1) | instid1(VALU_DEP_4)
	v_fmac_f32_e32 v26, v5, v47
	v_fmac_f32_e32 v2, v3, v25
	v_dual_fmac_f32 v27, v5, v43 :: v_dual_add_nc_u32 v62, 0x80, v62
	s_delay_alu instid0(VALU_DEP_4) | instskip(SKIP_1) | instid1(VALU_DEP_2)
	v_dual_fmac_f32 v30, v3, v31 :: v_dual_add_f32 v6, v6, v14
	v_fmac_f32_e32 v40, v4, v38
	v_dual_add_f32 v9, v9, v26 :: v_dual_fmac_f32 v30, v4, v28
	v_fmac_f32_e32 v36, v4, v34
	s_delay_alu instid0(VALU_DEP_3) | instskip(NEXT) | instid1(VALU_DEP_3)
	v_dual_fmac_f32 v2, v4, v22 :: v_dual_fmac_f32 v40, v5, v39
	v_dual_add_f32 v8, v8, v27 :: v_dual_fmac_f32 v30, v5, v29
	v_add_nc_u32_e32 v63, 4, v63
	s_delay_alu instid0(VALU_DEP_3) | instskip(NEXT) | instid1(VALU_DEP_4)
	v_fmac_f32_e32 v2, v5, v23
	v_dual_fmac_f32 v36, v5, v35 :: v_dual_add_f32 v11, v11, v40
	s_delay_alu instid0(VALU_DEP_4) | instskip(NEXT) | instid1(VALU_DEP_4)
	v_add_f32_e32 v13, v13, v30
	v_cmp_le_i32_e64 s0, s13, v63
	s_delay_alu instid0(VALU_DEP_3) | instskip(SKIP_1) | instid1(SALU_CYCLE_1)
	v_dual_add_f32 v12, v12, v2 :: v_dual_add_f32 v10, v10, v36
	s_or_b32 s10, s0, s10
	s_and_not1_b32 exec_lo, exec_lo, s10
	s_cbranch_execz .LBB176_556
.LBB176_283:                            ; =>This Inner Loop Header: Depth=1
	global_load_b32 v2, v[20:21], off
	v_mov_b64_e32 v[22:23], 0
	v_mov_b64_e32 v[24:25], 0
	s_mov_b32 s1, exec_lo
	s_wait_loadcnt 0x0
	v_mad_nc_i64_i32 v[26:27], v2, s9, s[2:3]
	ds_load_b128 v[2:5], v62
	v_add_nc_u64_e32 v[32:33], v[26:27], v[16:17]
	global_load_b32 v34, v[32:33], off
	s_wait_loadcnt 0x0
	v_and_b32_e32 v14, 0xff, v34
	s_delay_alu instid0(VALU_DEP_1)
	v_cmpx_ne_u16_e32 0, v14
	s_cbranch_execz .LBB176_291
; %bb.284:                              ;   in Loop: Header=BB176_283 Depth=1
	v_mov_b64_e32 v[24:25], 0x80000000
	s_mov_b32 s14, exec_lo
	v_cmpx_ne_u16_e32 0x80, v14
	s_cbranch_execz .LBB176_290
; %bb.285:                              ;   in Loop: Header=BB176_283 Depth=1
	v_mov_b64_e32 v[24:25], 0x7f800001
	v_and_b32_e32 v28, 0x7f, v34
	s_mov_b32 s15, exec_lo
	s_delay_alu instid0(VALU_DEP_1)
	v_cmpx_ne_u32_e32 0x7f, v28
	s_cbranch_execz .LBB176_289
; %bb.286:                              ;   in Loop: Header=BB176_283 Depth=1
	v_dual_lshrrev_b32 v24, 3, v28 :: v_dual_bitop2_b32 v14, 7, v34 bitop3:0x40
	s_mov_b32 s16, exec_lo
	v_cmpx_gt_u32_e32 8, v28
; %bb.287:                              ;   in Loop: Header=BB176_283 Depth=1
	s_delay_alu instid0(VALU_DEP_2) | instskip(NEXT) | instid1(VALU_DEP_1)
	v_clz_i32_u32_e32 v24, v14
	v_min_u32_e32 v24, 32, v24
	s_delay_alu instid0(VALU_DEP_1) | instskip(SKIP_1) | instid1(VALU_DEP_2)
	v_subrev_nc_u32_e32 v25, 28, v24
	v_sub_nc_u32_e32 v24, 29, v24
	v_lshlrev_b64_e32 v[28:29], v25, v[14:15]
	s_delay_alu instid0(VALU_DEP_1)
	v_and_b32_e32 v14, 7, v28
; %bb.288:                              ;   in Loop: Header=BB176_283 Depth=1
	s_or_b32 exec_lo, exec_lo, s16
	v_lshlrev_b32_e32 v25, 24, v34
	s_delay_alu instid0(VALU_DEP_2) | instskip(SKIP_1) | instid1(VALU_DEP_3)
	v_lshlrev_b32_e32 v14, 20, v14
	v_lshl_add_u32 v24, v24, 23, 0x3c000000
	v_and_b32_e32 v25, 0x80000000, v25
	s_delay_alu instid0(VALU_DEP_1) | instskip(NEXT) | instid1(VALU_DEP_1)
	v_or3_b32 v14, v14, v25, v24
	v_mov_b64_e32 v[24:25], v[14:15]
.LBB176_289:                            ;   in Loop: Header=BB176_283 Depth=1
	s_or_b32 exec_lo, exec_lo, s15
.LBB176_290:                            ;   in Loop: Header=BB176_283 Depth=1
	s_delay_alu instid0(SALU_CYCLE_1)
	s_or_b32 exec_lo, exec_lo, s14
.LBB176_291:                            ;   in Loop: Header=BB176_283 Depth=1
	s_delay_alu instid0(SALU_CYCLE_1) | instskip(SKIP_2) | instid1(VALU_DEP_1)
	s_or_b32 exec_lo, exec_lo, s1
	v_lshrrev_b16 v14, 8, v34
	s_mov_b32 s1, exec_lo
	v_cmpx_ne_u16_e32 0, v14
	s_cbranch_execz .LBB176_299
; %bb.292:                              ;   in Loop: Header=BB176_283 Depth=1
	v_mov_b64_e32 v[22:23], 0x8000000000000000
	s_mov_b32 s14, exec_lo
	v_cmpx_ne_u16_e32 0x80, v14
	s_cbranch_execz .LBB176_298
; %bb.293:                              ;   in Loop: Header=BB176_283 Depth=1
	v_and_b32_e32 v14, 0xffff, v14
	v_mov_b64_e32 v[22:23], 0x7f80000100000000
	s_mov_b32 s15, exec_lo
	s_delay_alu instid0(VALU_DEP_2) | instskip(NEXT) | instid1(VALU_DEP_1)
	v_and_b32_e32 v28, 0x7f, v14
	v_cmpx_ne_u32_e32 0x7f, v28
	s_cbranch_execz .LBB176_297
; %bb.294:                              ;   in Loop: Header=BB176_283 Depth=1
	v_dual_lshrrev_b32 v22, 3, v28 :: v_dual_bitop2_b32 v14, 7, v14 bitop3:0x40
	s_mov_b32 s16, exec_lo
	v_cmpx_gt_u32_e32 8, v28
; %bb.295:                              ;   in Loop: Header=BB176_283 Depth=1
	s_delay_alu instid0(VALU_DEP_2) | instskip(NEXT) | instid1(VALU_DEP_1)
	v_clz_i32_u32_e32 v22, v14
	v_min_u32_e32 v22, 32, v22
	s_delay_alu instid0(VALU_DEP_1) | instskip(NEXT) | instid1(VALU_DEP_1)
	v_subrev_nc_u32_e32 v23, 28, v22
	v_lshlrev_b64_e32 v[28:29], v23, v[14:15]
	s_delay_alu instid0(VALU_DEP_1)
	v_dual_sub_nc_u32 v22, 29, v22 :: v_dual_bitop2_b32 v14, 7, v28 bitop3:0x40
; %bb.296:                              ;   in Loop: Header=BB176_283 Depth=1
	s_or_b32 exec_lo, exec_lo, s16
	v_lshlrev_b32_e32 v23, 16, v34
	s_delay_alu instid0(VALU_DEP_2) | instskip(NEXT) | instid1(VALU_DEP_3)
	v_lshlrev_b32_e32 v14, 20, v14
	v_lshl_add_u32 v22, v22, 23, 0x3c000000
	s_delay_alu instid0(VALU_DEP_3) | instskip(NEXT) | instid1(VALU_DEP_1)
	v_and_b32_e32 v23, 0x80000000, v23
	v_or3_b32 v23, v14, v23, v22
	v_mov_b32_e32 v22, v15
.LBB176_297:                            ;   in Loop: Header=BB176_283 Depth=1
	s_or_b32 exec_lo, exec_lo, s15
.LBB176_298:                            ;   in Loop: Header=BB176_283 Depth=1
	s_delay_alu instid0(SALU_CYCLE_1)
	s_or_b32 exec_lo, exec_lo, s14
.LBB176_299:                            ;   in Loop: Header=BB176_283 Depth=1
	s_delay_alu instid0(SALU_CYCLE_1) | instskip(SKIP_4) | instid1(VALU_DEP_3)
	s_or_b32 exec_lo, exec_lo, s1
	v_lshrrev_b32_e32 v35, 16, v34
	v_mov_b64_e32 v[28:29], 0
	v_mov_b64_e32 v[30:31], 0
	s_mov_b32 s1, exec_lo
	v_and_b32_e32 v14, 0xff, v35
	s_delay_alu instid0(VALU_DEP_1)
	v_cmpx_ne_u16_e32 0, v14
	s_cbranch_execz .LBB176_307
; %bb.300:                              ;   in Loop: Header=BB176_283 Depth=1
	v_mov_b64_e32 v[30:31], 0x80000000
	s_mov_b32 s14, exec_lo
	v_cmpx_ne_u16_e32 0x80, v14
	s_cbranch_execz .LBB176_306
; %bb.301:                              ;   in Loop: Header=BB176_283 Depth=1
	v_mov_b64_e32 v[30:31], 0x7f800001
	v_bfe_u32 v36, v34, 16, 7
	s_mov_b32 s15, exec_lo
	s_delay_alu instid0(VALU_DEP_1)
	v_cmpx_ne_u32_e32 0x7f, v36
	s_cbranch_execz .LBB176_305
; %bb.302:                              ;   in Loop: Header=BB176_283 Depth=1
	v_dual_lshrrev_b32 v30, 3, v36 :: v_dual_bitop2_b32 v14, 7, v35 bitop3:0x40
	s_mov_b32 s16, exec_lo
	v_cmpx_gt_u32_e32 8, v36
; %bb.303:                              ;   in Loop: Header=BB176_283 Depth=1
	s_delay_alu instid0(VALU_DEP_2) | instskip(NEXT) | instid1(VALU_DEP_1)
	v_clz_i32_u32_e32 v30, v14
	v_min_u32_e32 v30, 32, v30
	s_delay_alu instid0(VALU_DEP_1) | instskip(NEXT) | instid1(VALU_DEP_1)
	v_subrev_nc_u32_e32 v31, 28, v30
	v_lshlrev_b64_e32 v[36:37], v31, v[14:15]
	s_delay_alu instid0(VALU_DEP_1)
	v_dual_sub_nc_u32 v30, 29, v30 :: v_dual_bitop2_b32 v14, 7, v36 bitop3:0x40
; %bb.304:                              ;   in Loop: Header=BB176_283 Depth=1
	s_or_b32 exec_lo, exec_lo, s16
	s_delay_alu instid0(VALU_DEP_1) | instskip(NEXT) | instid1(VALU_DEP_2)
	v_dual_lshlrev_b32 v31, 24, v35 :: v_dual_lshlrev_b32 v14, 20, v14
	v_lshl_add_u32 v30, v30, 23, 0x3c000000
	s_delay_alu instid0(VALU_DEP_2) | instskip(NEXT) | instid1(VALU_DEP_1)
	v_and_b32_e32 v31, 0x80000000, v31
	v_or3_b32 v14, v14, v31, v30
	s_delay_alu instid0(VALU_DEP_1)
	v_mov_b64_e32 v[30:31], v[14:15]
.LBB176_305:                            ;   in Loop: Header=BB176_283 Depth=1
	s_or_b32 exec_lo, exec_lo, s15
.LBB176_306:                            ;   in Loop: Header=BB176_283 Depth=1
	s_delay_alu instid0(SALU_CYCLE_1)
	s_or_b32 exec_lo, exec_lo, s14
.LBB176_307:                            ;   in Loop: Header=BB176_283 Depth=1
	s_delay_alu instid0(SALU_CYCLE_1) | instskip(NEXT) | instid1(SALU_CYCLE_1)
	s_or_b32 exec_lo, exec_lo, s1
	s_mov_b32 s1, exec_lo
	v_cmpx_lt_u32_e32 0xffffff, v34
	s_cbranch_execz .LBB176_315
; %bb.308:                              ;   in Loop: Header=BB176_283 Depth=1
	v_mov_b64_e32 v[28:29], 0x8000000000000000
	v_lshrrev_b32_e32 v35, 24, v34
	s_mov_b32 s14, exec_lo
	s_delay_alu instid0(VALU_DEP_1)
	v_cmpx_ne_u32_e32 0x80, v35
	s_cbranch_execz .LBB176_314
; %bb.309:                              ;   in Loop: Header=BB176_283 Depth=1
	v_mov_b64_e32 v[28:29], 0x7f80000100000000
	v_bfe_u32 v34, v34, 24, 7
	s_mov_b32 s15, exec_lo
	s_delay_alu instid0(VALU_DEP_1)
	v_cmpx_ne_u32_e32 0x7f, v34
	s_cbranch_execz .LBB176_313
; %bb.310:                              ;   in Loop: Header=BB176_283 Depth=1
	v_dual_lshrrev_b32 v28, 3, v34 :: v_dual_bitop2_b32 v14, 7, v35 bitop3:0x40
	s_mov_b32 s16, exec_lo
	v_cmpx_gt_u32_e32 8, v34
; %bb.311:                              ;   in Loop: Header=BB176_283 Depth=1
	s_delay_alu instid0(VALU_DEP_2) | instskip(NEXT) | instid1(VALU_DEP_1)
	v_clz_i32_u32_e32 v28, v14
	v_min_u32_e32 v28, 32, v28
	s_delay_alu instid0(VALU_DEP_1) | instskip(SKIP_1) | instid1(VALU_DEP_2)
	v_subrev_nc_u32_e32 v29, 28, v28
	v_sub_nc_u32_e32 v28, 29, v28
	v_lshlrev_b64_e32 v[36:37], v29, v[14:15]
	s_delay_alu instid0(VALU_DEP_1)
	v_and_b32_e32 v14, 7, v36
; %bb.312:                              ;   in Loop: Header=BB176_283 Depth=1
	s_or_b32 exec_lo, exec_lo, s16
	s_delay_alu instid0(VALU_DEP_1) | instskip(SKIP_1) | instid1(VALU_DEP_2)
	v_dual_lshlrev_b32 v29, 24, v35 :: v_dual_lshlrev_b32 v14, 20, v14
	v_lshl_add_u32 v28, v28, 23, 0x3c000000
	v_and_b32_e32 v29, 0x80000000, v29
	s_delay_alu instid0(VALU_DEP_1)
	v_or3_b32 v29, v14, v29, v28
	v_mov_b32_e32 v28, v15
.LBB176_313:                            ;   in Loop: Header=BB176_283 Depth=1
	s_or_b32 exec_lo, exec_lo, s15
.LBB176_314:                            ;   in Loop: Header=BB176_283 Depth=1
	s_delay_alu instid0(SALU_CYCLE_1)
	s_or_b32 exec_lo, exec_lo, s14
.LBB176_315:                            ;   in Loop: Header=BB176_283 Depth=1
	s_delay_alu instid0(SALU_CYCLE_1)
	s_or_b32 exec_lo, exec_lo, s1
	v_mov_b64_e32 v[34:35], s[6:7]
	v_or_b32_e32 v23, v23, v25
	v_dual_add_nc_u32 v57, 2, v61 :: v_dual_bitop2_b32 v22, v22, v24 bitop3:0x54
	v_dual_add_nc_u32 v56, 3, v61 :: v_dual_bitop2_b32 v29, v29, v31 bitop3:0x54
	v_or_b32_e32 v28, v28, v30
	v_cmp_eq_u32_e64 s0, s25, v63
	s_delay_alu instid0(VALU_DEP_4) | instskip(NEXT) | instid1(VALU_DEP_3)
	v_pk_mul_f32 v[24:25], v[34:35], v[22:23]
	v_pk_mul_f32 v[22:23], v[34:35], v[28:29]
	s_and_saveexec_b32 s14, s0
	s_cbranch_execz .LBB176_317
; %bb.316:                              ;   in Loop: Header=BB176_283 Depth=1
	v_cmp_gt_i32_e64 s1, s23, v61
	s_delay_alu instid0(VALU_DEP_1) | instskip(NEXT) | instid1(VALU_DEP_1)
	v_dual_add_nc_u32 v14, 1, v61 :: v_dual_cndmask_b32 v24, 0, v24, s1
	v_cmp_gt_i32_e64 s1, s23, v14
	s_delay_alu instid0(VALU_DEP_1) | instskip(SKIP_1) | instid1(VALU_DEP_1)
	v_cndmask_b32_e64 v25, 0, v25, s1
	v_cmp_gt_i32_e64 s1, s23, v57
	v_cndmask_b32_e64 v22, 0, v22, s1
	v_cmp_gt_i32_e64 s1, s23, v56
	s_delay_alu instid0(VALU_DEP_1)
	v_cndmask_b32_e64 v23, 0, v23, s1
.LBB176_317:                            ;   in Loop: Header=BB176_283 Depth=1
	s_or_b32 exec_lo, exec_lo, s14
	global_load_b32 v38, v[32:33], off offset:128
	v_mov_b64_e32 v[28:29], 0
	v_mov_b64_e32 v[30:31], 0
	s_mov_b32 s14, exec_lo
	s_wait_loadcnt 0x0
	v_and_b32_e32 v14, 0xff, v38
	s_delay_alu instid0(VALU_DEP_1)
	v_cmpx_ne_u16_e32 0, v14
	s_cbranch_execz .LBB176_325
; %bb.318:                              ;   in Loop: Header=BB176_283 Depth=1
	v_mov_b64_e32 v[30:31], 0x80000000
	s_mov_b32 s15, exec_lo
	v_cmpx_ne_u16_e32 0x80, v14
	s_cbranch_execz .LBB176_324
; %bb.319:                              ;   in Loop: Header=BB176_283 Depth=1
	v_mov_b64_e32 v[30:31], 0x7f800001
	v_and_b32_e32 v34, 0x7f, v38
	s_mov_b32 s16, exec_lo
	s_delay_alu instid0(VALU_DEP_1)
	v_cmpx_ne_u32_e32 0x7f, v34
	s_cbranch_execz .LBB176_323
; %bb.320:                              ;   in Loop: Header=BB176_283 Depth=1
	v_and_b32_e32 v14, 7, v38
	v_lshrrev_b32_e32 v30, 3, v34
	s_mov_b32 s17, exec_lo
	v_cmpx_gt_u32_e32 8, v34
; %bb.321:                              ;   in Loop: Header=BB176_283 Depth=1
	s_delay_alu instid0(VALU_DEP_3) | instskip(NEXT) | instid1(VALU_DEP_1)
	v_clz_i32_u32_e32 v30, v14
	v_min_u32_e32 v30, 32, v30
	s_delay_alu instid0(VALU_DEP_1) | instskip(SKIP_1) | instid1(VALU_DEP_2)
	v_subrev_nc_u32_e32 v31, 28, v30
	v_sub_nc_u32_e32 v30, 29, v30
	v_lshlrev_b64_e32 v[34:35], v31, v[14:15]
	s_delay_alu instid0(VALU_DEP_1)
	v_and_b32_e32 v14, 7, v34
; %bb.322:                              ;   in Loop: Header=BB176_283 Depth=1
	s_or_b32 exec_lo, exec_lo, s17
	v_lshlrev_b32_e32 v31, 24, v38
	s_delay_alu instid0(VALU_DEP_2) | instskip(SKIP_1) | instid1(VALU_DEP_3)
	v_lshlrev_b32_e32 v14, 20, v14
	v_lshl_add_u32 v30, v30, 23, 0x3c000000
	v_and_b32_e32 v31, 0x80000000, v31
	s_delay_alu instid0(VALU_DEP_1) | instskip(NEXT) | instid1(VALU_DEP_1)
	v_or3_b32 v14, v14, v31, v30
	v_mov_b64_e32 v[30:31], v[14:15]
.LBB176_323:                            ;   in Loop: Header=BB176_283 Depth=1
	s_or_b32 exec_lo, exec_lo, s16
.LBB176_324:                            ;   in Loop: Header=BB176_283 Depth=1
	s_delay_alu instid0(SALU_CYCLE_1)
	s_or_b32 exec_lo, exec_lo, s15
.LBB176_325:                            ;   in Loop: Header=BB176_283 Depth=1
	s_delay_alu instid0(SALU_CYCLE_1) | instskip(SKIP_2) | instid1(VALU_DEP_1)
	s_or_b32 exec_lo, exec_lo, s14
	v_lshrrev_b16 v14, 8, v38
	s_mov_b32 s14, exec_lo
	v_cmpx_ne_u16_e32 0, v14
	s_cbranch_execz .LBB176_333
; %bb.326:                              ;   in Loop: Header=BB176_283 Depth=1
	v_mov_b64_e32 v[28:29], 0x8000000000000000
	s_mov_b32 s15, exec_lo
	v_cmpx_ne_u16_e32 0x80, v14
	s_cbranch_execz .LBB176_332
; %bb.327:                              ;   in Loop: Header=BB176_283 Depth=1
	v_and_b32_e32 v14, 0xffff, v14
	v_mov_b64_e32 v[28:29], 0x7f80000100000000
	s_mov_b32 s16, exec_lo
	s_delay_alu instid0(VALU_DEP_2) | instskip(NEXT) | instid1(VALU_DEP_1)
	v_and_b32_e32 v34, 0x7f, v14
	v_cmpx_ne_u32_e32 0x7f, v34
	s_cbranch_execz .LBB176_331
; %bb.328:                              ;   in Loop: Header=BB176_283 Depth=1
	v_and_b32_e32 v14, 7, v14
	v_lshrrev_b32_e32 v28, 3, v34
	s_mov_b32 s17, exec_lo
	v_cmpx_gt_u32_e32 8, v34
; %bb.329:                              ;   in Loop: Header=BB176_283 Depth=1
	s_delay_alu instid0(VALU_DEP_3) | instskip(NEXT) | instid1(VALU_DEP_1)
	v_clz_i32_u32_e32 v28, v14
	v_min_u32_e32 v28, 32, v28
	s_delay_alu instid0(VALU_DEP_1) | instskip(NEXT) | instid1(VALU_DEP_1)
	v_subrev_nc_u32_e32 v29, 28, v28
	v_lshlrev_b64_e32 v[34:35], v29, v[14:15]
	s_delay_alu instid0(VALU_DEP_1)
	v_dual_sub_nc_u32 v28, 29, v28 :: v_dual_bitop2_b32 v14, 7, v34 bitop3:0x40
; %bb.330:                              ;   in Loop: Header=BB176_283 Depth=1
	s_or_b32 exec_lo, exec_lo, s17
	v_lshlrev_b32_e32 v29, 16, v38
	s_delay_alu instid0(VALU_DEP_2) | instskip(NEXT) | instid1(VALU_DEP_3)
	v_lshlrev_b32_e32 v14, 20, v14
	v_lshl_add_u32 v28, v28, 23, 0x3c000000
	s_delay_alu instid0(VALU_DEP_3) | instskip(NEXT) | instid1(VALU_DEP_1)
	v_and_b32_e32 v29, 0x80000000, v29
	v_or3_b32 v29, v14, v29, v28
	v_mov_b32_e32 v28, v15
.LBB176_331:                            ;   in Loop: Header=BB176_283 Depth=1
	s_or_b32 exec_lo, exec_lo, s16
.LBB176_332:                            ;   in Loop: Header=BB176_283 Depth=1
	s_delay_alu instid0(SALU_CYCLE_1)
	s_or_b32 exec_lo, exec_lo, s15
.LBB176_333:                            ;   in Loop: Header=BB176_283 Depth=1
	s_delay_alu instid0(SALU_CYCLE_1) | instskip(SKIP_4) | instid1(VALU_DEP_3)
	s_or_b32 exec_lo, exec_lo, s14
	v_lshrrev_b32_e32 v39, 16, v38
	v_mov_b64_e32 v[34:35], 0
	v_mov_b64_e32 v[36:37], 0
	s_mov_b32 s14, exec_lo
	v_and_b32_e32 v14, 0xff, v39
	s_delay_alu instid0(VALU_DEP_1)
	v_cmpx_ne_u16_e32 0, v14
	s_cbranch_execz .LBB176_341
; %bb.334:                              ;   in Loop: Header=BB176_283 Depth=1
	v_mov_b64_e32 v[36:37], 0x80000000
	s_mov_b32 s15, exec_lo
	v_cmpx_ne_u16_e32 0x80, v14
	s_cbranch_execz .LBB176_340
; %bb.335:                              ;   in Loop: Header=BB176_283 Depth=1
	v_mov_b64_e32 v[36:37], 0x7f800001
	v_bfe_u32 v40, v38, 16, 7
	s_mov_b32 s16, exec_lo
	s_delay_alu instid0(VALU_DEP_1)
	v_cmpx_ne_u32_e32 0x7f, v40
	s_cbranch_execz .LBB176_339
; %bb.336:                              ;   in Loop: Header=BB176_283 Depth=1
	v_dual_lshrrev_b32 v36, 3, v40 :: v_dual_bitop2_b32 v14, 7, v39 bitop3:0x40
	s_mov_b32 s17, exec_lo
	v_cmpx_gt_u32_e32 8, v40
; %bb.337:                              ;   in Loop: Header=BB176_283 Depth=1
	s_delay_alu instid0(VALU_DEP_2) | instskip(NEXT) | instid1(VALU_DEP_1)
	v_clz_i32_u32_e32 v36, v14
	v_min_u32_e32 v36, 32, v36
	s_delay_alu instid0(VALU_DEP_1) | instskip(SKIP_1) | instid1(VALU_DEP_2)
	v_subrev_nc_u32_e32 v37, 28, v36
	v_sub_nc_u32_e32 v36, 29, v36
	v_lshlrev_b64_e32 v[40:41], v37, v[14:15]
	s_delay_alu instid0(VALU_DEP_1)
	v_and_b32_e32 v14, 7, v40
; %bb.338:                              ;   in Loop: Header=BB176_283 Depth=1
	s_or_b32 exec_lo, exec_lo, s17
	s_delay_alu instid0(VALU_DEP_1) | instskip(SKIP_1) | instid1(VALU_DEP_2)
	v_dual_lshlrev_b32 v37, 24, v39 :: v_dual_lshlrev_b32 v14, 20, v14
	v_lshl_add_u32 v36, v36, 23, 0x3c000000
	v_and_b32_e32 v37, 0x80000000, v37
	s_delay_alu instid0(VALU_DEP_1) | instskip(NEXT) | instid1(VALU_DEP_1)
	v_or3_b32 v14, v14, v37, v36
	v_mov_b64_e32 v[36:37], v[14:15]
.LBB176_339:                            ;   in Loop: Header=BB176_283 Depth=1
	s_or_b32 exec_lo, exec_lo, s16
.LBB176_340:                            ;   in Loop: Header=BB176_283 Depth=1
	s_delay_alu instid0(SALU_CYCLE_1)
	s_or_b32 exec_lo, exec_lo, s15
.LBB176_341:                            ;   in Loop: Header=BB176_283 Depth=1
	s_delay_alu instid0(SALU_CYCLE_1) | instskip(NEXT) | instid1(SALU_CYCLE_1)
	s_or_b32 exec_lo, exec_lo, s14
	s_mov_b32 s14, exec_lo
	v_cmpx_lt_u32_e32 0xffffff, v38
	s_cbranch_execz .LBB176_349
; %bb.342:                              ;   in Loop: Header=BB176_283 Depth=1
	v_mov_b64_e32 v[34:35], 0x8000000000000000
	v_lshrrev_b32_e32 v39, 24, v38
	s_mov_b32 s15, exec_lo
	s_delay_alu instid0(VALU_DEP_1)
	v_cmpx_ne_u32_e32 0x80, v39
	s_cbranch_execz .LBB176_348
; %bb.343:                              ;   in Loop: Header=BB176_283 Depth=1
	v_mov_b64_e32 v[34:35], 0x7f80000100000000
	v_bfe_u32 v38, v38, 24, 7
	s_mov_b32 s16, exec_lo
	s_delay_alu instid0(VALU_DEP_1)
	v_cmpx_ne_u32_e32 0x7f, v38
	s_cbranch_execz .LBB176_347
; %bb.344:                              ;   in Loop: Header=BB176_283 Depth=1
	v_dual_lshrrev_b32 v34, 3, v38 :: v_dual_bitop2_b32 v14, 7, v39 bitop3:0x40
	s_mov_b32 s17, exec_lo
	v_cmpx_gt_u32_e32 8, v38
; %bb.345:                              ;   in Loop: Header=BB176_283 Depth=1
	s_delay_alu instid0(VALU_DEP_2) | instskip(NEXT) | instid1(VALU_DEP_1)
	v_clz_i32_u32_e32 v34, v14
	v_min_u32_e32 v34, 32, v34
	s_delay_alu instid0(VALU_DEP_1) | instskip(NEXT) | instid1(VALU_DEP_1)
	v_subrev_nc_u32_e32 v35, 28, v34
	v_lshlrev_b64_e32 v[40:41], v35, v[14:15]
	s_delay_alu instid0(VALU_DEP_1)
	v_dual_sub_nc_u32 v34, 29, v34 :: v_dual_bitop2_b32 v14, 7, v40 bitop3:0x40
; %bb.346:                              ;   in Loop: Header=BB176_283 Depth=1
	s_or_b32 exec_lo, exec_lo, s17
	s_delay_alu instid0(VALU_DEP_1) | instskip(NEXT) | instid1(VALU_DEP_2)
	v_dual_lshlrev_b32 v35, 24, v39 :: v_dual_lshlrev_b32 v14, 20, v14
	v_lshl_add_u32 v34, v34, 23, 0x3c000000
	s_delay_alu instid0(VALU_DEP_2) | instskip(NEXT) | instid1(VALU_DEP_1)
	v_and_b32_e32 v35, 0x80000000, v35
	v_or3_b32 v35, v14, v35, v34
	v_mov_b32_e32 v34, v15
.LBB176_347:                            ;   in Loop: Header=BB176_283 Depth=1
	s_or_b32 exec_lo, exec_lo, s16
.LBB176_348:                            ;   in Loop: Header=BB176_283 Depth=1
	s_delay_alu instid0(SALU_CYCLE_1)
	s_or_b32 exec_lo, exec_lo, s15
.LBB176_349:                            ;   in Loop: Header=BB176_283 Depth=1
	s_delay_alu instid0(SALU_CYCLE_1)
	s_or_b32 exec_lo, exec_lo, s14
	v_mov_b64_e32 v[38:39], s[6:7]
	v_or_b32_e32 v29, v29, v31
	v_or_b32_e32 v28, v28, v30
	;; [unrolled: 1-line block ×4, first 2 shown]
	s_delay_alu instid0(VALU_DEP_3) | instskip(NEXT) | instid1(VALU_DEP_2)
	v_pk_mul_f32 v[30:31], v[38:39], v[28:29]
	v_pk_mul_f32 v[28:29], v[38:39], v[34:35]
	s_and_saveexec_b32 s14, s0
	s_cbranch_execz .LBB176_351
; %bb.350:                              ;   in Loop: Header=BB176_283 Depth=1
	v_cmp_gt_i32_e64 s1, s23, v61
	s_delay_alu instid0(VALU_DEP_1) | instskip(NEXT) | instid1(VALU_DEP_1)
	v_dual_add_nc_u32 v14, 1, v61 :: v_dual_cndmask_b32 v30, 0, v30, s1
	v_cmp_gt_i32_e64 s1, s23, v14
	s_delay_alu instid0(VALU_DEP_1) | instskip(SKIP_1) | instid1(VALU_DEP_1)
	v_cndmask_b32_e64 v31, 0, v31, s1
	v_cmp_gt_i32_e64 s1, s23, v57
	v_cndmask_b32_e64 v28, 0, v28, s1
	v_cmp_gt_i32_e64 s1, s23, v56
	s_delay_alu instid0(VALU_DEP_1)
	v_cndmask_b32_e64 v29, 0, v29, s1
.LBB176_351:                            ;   in Loop: Header=BB176_283 Depth=1
	s_or_b32 exec_lo, exec_lo, s14
	global_load_b32 v42, v[32:33], off offset:256
	v_mov_b64_e32 v[34:35], 0
	v_mov_b64_e32 v[36:37], 0
	s_mov_b32 s14, exec_lo
	s_wait_loadcnt 0x0
	v_and_b32_e32 v14, 0xff, v42
	s_delay_alu instid0(VALU_DEP_1)
	v_cmpx_ne_u16_e32 0, v14
	s_cbranch_execz .LBB176_359
; %bb.352:                              ;   in Loop: Header=BB176_283 Depth=1
	v_mov_b64_e32 v[36:37], 0x80000000
	s_mov_b32 s15, exec_lo
	v_cmpx_ne_u16_e32 0x80, v14
	s_cbranch_execz .LBB176_358
; %bb.353:                              ;   in Loop: Header=BB176_283 Depth=1
	v_mov_b64_e32 v[36:37], 0x7f800001
	v_and_b32_e32 v38, 0x7f, v42
	s_mov_b32 s16, exec_lo
	s_delay_alu instid0(VALU_DEP_1)
	v_cmpx_ne_u32_e32 0x7f, v38
	s_cbranch_execz .LBB176_357
; %bb.354:                              ;   in Loop: Header=BB176_283 Depth=1
	v_and_b32_e32 v14, 7, v42
	v_lshrrev_b32_e32 v36, 3, v38
	s_mov_b32 s17, exec_lo
	v_cmpx_gt_u32_e32 8, v38
; %bb.355:                              ;   in Loop: Header=BB176_283 Depth=1
	s_delay_alu instid0(VALU_DEP_3) | instskip(NEXT) | instid1(VALU_DEP_1)
	v_clz_i32_u32_e32 v36, v14
	v_min_u32_e32 v36, 32, v36
	s_delay_alu instid0(VALU_DEP_1) | instskip(NEXT) | instid1(VALU_DEP_1)
	v_subrev_nc_u32_e32 v37, 28, v36
	v_lshlrev_b64_e32 v[38:39], v37, v[14:15]
	s_delay_alu instid0(VALU_DEP_1)
	v_dual_sub_nc_u32 v36, 29, v36 :: v_dual_bitop2_b32 v14, 7, v38 bitop3:0x40
; %bb.356:                              ;   in Loop: Header=BB176_283 Depth=1
	s_or_b32 exec_lo, exec_lo, s17
	v_lshlrev_b32_e32 v37, 24, v42
	s_delay_alu instid0(VALU_DEP_2) | instskip(NEXT) | instid1(VALU_DEP_3)
	v_lshlrev_b32_e32 v14, 20, v14
	v_lshl_add_u32 v36, v36, 23, 0x3c000000
	s_delay_alu instid0(VALU_DEP_3) | instskip(NEXT) | instid1(VALU_DEP_1)
	v_and_b32_e32 v37, 0x80000000, v37
	v_or3_b32 v14, v14, v37, v36
	s_delay_alu instid0(VALU_DEP_1)
	v_mov_b64_e32 v[36:37], v[14:15]
.LBB176_357:                            ;   in Loop: Header=BB176_283 Depth=1
	s_or_b32 exec_lo, exec_lo, s16
.LBB176_358:                            ;   in Loop: Header=BB176_283 Depth=1
	s_delay_alu instid0(SALU_CYCLE_1)
	s_or_b32 exec_lo, exec_lo, s15
.LBB176_359:                            ;   in Loop: Header=BB176_283 Depth=1
	s_delay_alu instid0(SALU_CYCLE_1) | instskip(SKIP_2) | instid1(VALU_DEP_1)
	s_or_b32 exec_lo, exec_lo, s14
	v_lshrrev_b16 v14, 8, v42
	s_mov_b32 s14, exec_lo
	v_cmpx_ne_u16_e32 0, v14
	s_cbranch_execz .LBB176_367
; %bb.360:                              ;   in Loop: Header=BB176_283 Depth=1
	v_mov_b64_e32 v[34:35], 0x8000000000000000
	s_mov_b32 s15, exec_lo
	v_cmpx_ne_u16_e32 0x80, v14
	s_cbranch_execz .LBB176_366
; %bb.361:                              ;   in Loop: Header=BB176_283 Depth=1
	v_and_b32_e32 v14, 0xffff, v14
	v_mov_b64_e32 v[34:35], 0x7f80000100000000
	s_mov_b32 s16, exec_lo
	s_delay_alu instid0(VALU_DEP_2) | instskip(NEXT) | instid1(VALU_DEP_1)
	v_and_b32_e32 v38, 0x7f, v14
	v_cmpx_ne_u32_e32 0x7f, v38
	s_cbranch_execz .LBB176_365
; %bb.362:                              ;   in Loop: Header=BB176_283 Depth=1
	v_and_b32_e32 v14, 7, v14
	v_lshrrev_b32_e32 v34, 3, v38
	s_mov_b32 s17, exec_lo
	v_cmpx_gt_u32_e32 8, v38
; %bb.363:                              ;   in Loop: Header=BB176_283 Depth=1
	s_delay_alu instid0(VALU_DEP_3) | instskip(NEXT) | instid1(VALU_DEP_1)
	v_clz_i32_u32_e32 v34, v14
	v_min_u32_e32 v34, 32, v34
	s_delay_alu instid0(VALU_DEP_1) | instskip(SKIP_1) | instid1(VALU_DEP_2)
	v_subrev_nc_u32_e32 v35, 28, v34
	v_sub_nc_u32_e32 v34, 29, v34
	v_lshlrev_b64_e32 v[38:39], v35, v[14:15]
	s_delay_alu instid0(VALU_DEP_1)
	v_and_b32_e32 v14, 7, v38
; %bb.364:                              ;   in Loop: Header=BB176_283 Depth=1
	s_or_b32 exec_lo, exec_lo, s17
	v_lshlrev_b32_e32 v35, 16, v42
	s_delay_alu instid0(VALU_DEP_2) | instskip(SKIP_1) | instid1(VALU_DEP_3)
	v_lshlrev_b32_e32 v14, 20, v14
	v_lshl_add_u32 v34, v34, 23, 0x3c000000
	v_and_b32_e32 v35, 0x80000000, v35
	s_delay_alu instid0(VALU_DEP_1)
	v_or3_b32 v35, v14, v35, v34
	v_mov_b32_e32 v34, v15
.LBB176_365:                            ;   in Loop: Header=BB176_283 Depth=1
	s_or_b32 exec_lo, exec_lo, s16
.LBB176_366:                            ;   in Loop: Header=BB176_283 Depth=1
	s_delay_alu instid0(SALU_CYCLE_1)
	s_or_b32 exec_lo, exec_lo, s15
.LBB176_367:                            ;   in Loop: Header=BB176_283 Depth=1
	s_delay_alu instid0(SALU_CYCLE_1) | instskip(SKIP_4) | instid1(VALU_DEP_3)
	s_or_b32 exec_lo, exec_lo, s14
	v_lshrrev_b32_e32 v43, 16, v42
	v_mov_b64_e32 v[38:39], 0
	v_mov_b64_e32 v[40:41], 0
	s_mov_b32 s14, exec_lo
	v_and_b32_e32 v14, 0xff, v43
	s_delay_alu instid0(VALU_DEP_1)
	v_cmpx_ne_u16_e32 0, v14
	s_cbranch_execz .LBB176_375
; %bb.368:                              ;   in Loop: Header=BB176_283 Depth=1
	v_mov_b64_e32 v[40:41], 0x80000000
	s_mov_b32 s15, exec_lo
	v_cmpx_ne_u16_e32 0x80, v14
	s_cbranch_execz .LBB176_374
; %bb.369:                              ;   in Loop: Header=BB176_283 Depth=1
	v_mov_b64_e32 v[40:41], 0x7f800001
	v_bfe_u32 v44, v42, 16, 7
	s_mov_b32 s16, exec_lo
	s_delay_alu instid0(VALU_DEP_1)
	v_cmpx_ne_u32_e32 0x7f, v44
	s_cbranch_execz .LBB176_373
; %bb.370:                              ;   in Loop: Header=BB176_283 Depth=1
	v_dual_lshrrev_b32 v40, 3, v44 :: v_dual_bitop2_b32 v14, 7, v43 bitop3:0x40
	s_mov_b32 s17, exec_lo
	v_cmpx_gt_u32_e32 8, v44
; %bb.371:                              ;   in Loop: Header=BB176_283 Depth=1
	s_delay_alu instid0(VALU_DEP_2) | instskip(NEXT) | instid1(VALU_DEP_1)
	v_clz_i32_u32_e32 v40, v14
	v_min_u32_e32 v40, 32, v40
	s_delay_alu instid0(VALU_DEP_1) | instskip(SKIP_1) | instid1(VALU_DEP_2)
	v_subrev_nc_u32_e32 v41, 28, v40
	v_sub_nc_u32_e32 v40, 29, v40
	v_lshlrev_b64_e32 v[44:45], v41, v[14:15]
	s_delay_alu instid0(VALU_DEP_1)
	v_and_b32_e32 v14, 7, v44
; %bb.372:                              ;   in Loop: Header=BB176_283 Depth=1
	s_or_b32 exec_lo, exec_lo, s17
	s_delay_alu instid0(VALU_DEP_1) | instskip(SKIP_1) | instid1(VALU_DEP_2)
	v_dual_lshlrev_b32 v41, 24, v43 :: v_dual_lshlrev_b32 v14, 20, v14
	v_lshl_add_u32 v40, v40, 23, 0x3c000000
	v_and_b32_e32 v41, 0x80000000, v41
	s_delay_alu instid0(VALU_DEP_1) | instskip(NEXT) | instid1(VALU_DEP_1)
	v_or3_b32 v14, v14, v41, v40
	v_mov_b64_e32 v[40:41], v[14:15]
.LBB176_373:                            ;   in Loop: Header=BB176_283 Depth=1
	s_or_b32 exec_lo, exec_lo, s16
.LBB176_374:                            ;   in Loop: Header=BB176_283 Depth=1
	s_delay_alu instid0(SALU_CYCLE_1)
	s_or_b32 exec_lo, exec_lo, s15
.LBB176_375:                            ;   in Loop: Header=BB176_283 Depth=1
	s_delay_alu instid0(SALU_CYCLE_1) | instskip(NEXT) | instid1(SALU_CYCLE_1)
	s_or_b32 exec_lo, exec_lo, s14
	s_mov_b32 s14, exec_lo
	v_cmpx_lt_u32_e32 0xffffff, v42
	s_cbranch_execz .LBB176_383
; %bb.376:                              ;   in Loop: Header=BB176_283 Depth=1
	v_mov_b64_e32 v[38:39], 0x8000000000000000
	v_lshrrev_b32_e32 v43, 24, v42
	s_mov_b32 s15, exec_lo
	s_delay_alu instid0(VALU_DEP_1)
	v_cmpx_ne_u32_e32 0x80, v43
	s_cbranch_execz .LBB176_382
; %bb.377:                              ;   in Loop: Header=BB176_283 Depth=1
	v_mov_b64_e32 v[38:39], 0x7f80000100000000
	v_bfe_u32 v42, v42, 24, 7
	s_mov_b32 s16, exec_lo
	s_delay_alu instid0(VALU_DEP_1)
	v_cmpx_ne_u32_e32 0x7f, v42
	s_cbranch_execz .LBB176_381
; %bb.378:                              ;   in Loop: Header=BB176_283 Depth=1
	v_dual_lshrrev_b32 v38, 3, v42 :: v_dual_bitop2_b32 v14, 7, v43 bitop3:0x40
	s_mov_b32 s17, exec_lo
	v_cmpx_gt_u32_e32 8, v42
; %bb.379:                              ;   in Loop: Header=BB176_283 Depth=1
	s_delay_alu instid0(VALU_DEP_2) | instskip(NEXT) | instid1(VALU_DEP_1)
	v_clz_i32_u32_e32 v38, v14
	v_min_u32_e32 v38, 32, v38
	s_delay_alu instid0(VALU_DEP_1) | instskip(NEXT) | instid1(VALU_DEP_1)
	v_subrev_nc_u32_e32 v39, 28, v38
	v_lshlrev_b64_e32 v[44:45], v39, v[14:15]
	s_delay_alu instid0(VALU_DEP_1)
	v_dual_sub_nc_u32 v38, 29, v38 :: v_dual_bitop2_b32 v14, 7, v44 bitop3:0x40
; %bb.380:                              ;   in Loop: Header=BB176_283 Depth=1
	s_or_b32 exec_lo, exec_lo, s17
	s_delay_alu instid0(VALU_DEP_1) | instskip(NEXT) | instid1(VALU_DEP_2)
	v_dual_lshlrev_b32 v39, 24, v43 :: v_dual_lshlrev_b32 v14, 20, v14
	v_lshl_add_u32 v38, v38, 23, 0x3c000000
	s_delay_alu instid0(VALU_DEP_2) | instskip(NEXT) | instid1(VALU_DEP_1)
	v_and_b32_e32 v39, 0x80000000, v39
	v_or3_b32 v39, v14, v39, v38
	v_mov_b32_e32 v38, v15
.LBB176_381:                            ;   in Loop: Header=BB176_283 Depth=1
	s_or_b32 exec_lo, exec_lo, s16
.LBB176_382:                            ;   in Loop: Header=BB176_283 Depth=1
	s_delay_alu instid0(SALU_CYCLE_1)
	s_or_b32 exec_lo, exec_lo, s15
.LBB176_383:                            ;   in Loop: Header=BB176_283 Depth=1
	s_delay_alu instid0(SALU_CYCLE_1)
	s_or_b32 exec_lo, exec_lo, s14
	v_mov_b64_e32 v[42:43], s[6:7]
	v_or_b32_e32 v35, v35, v37
	v_or_b32_e32 v34, v34, v36
	;; [unrolled: 1-line block ×4, first 2 shown]
	s_delay_alu instid0(VALU_DEP_3) | instskip(NEXT) | instid1(VALU_DEP_2)
	v_pk_mul_f32 v[36:37], v[42:43], v[34:35]
	v_pk_mul_f32 v[34:35], v[42:43], v[38:39]
	s_and_saveexec_b32 s14, s0
	s_cbranch_execz .LBB176_385
; %bb.384:                              ;   in Loop: Header=BB176_283 Depth=1
	v_cmp_gt_i32_e64 s1, s23, v61
	s_delay_alu instid0(VALU_DEP_1) | instskip(NEXT) | instid1(VALU_DEP_1)
	v_dual_add_nc_u32 v14, 1, v61 :: v_dual_cndmask_b32 v36, 0, v36, s1
	v_cmp_gt_i32_e64 s1, s23, v14
	s_delay_alu instid0(VALU_DEP_1) | instskip(SKIP_1) | instid1(VALU_DEP_1)
	v_cndmask_b32_e64 v37, 0, v37, s1
	v_cmp_gt_i32_e64 s1, s23, v57
	v_cndmask_b32_e64 v34, 0, v34, s1
	v_cmp_gt_i32_e64 s1, s23, v56
	s_delay_alu instid0(VALU_DEP_1)
	v_cndmask_b32_e64 v35, 0, v35, s1
.LBB176_385:                            ;   in Loop: Header=BB176_283 Depth=1
	s_or_b32 exec_lo, exec_lo, s14
	global_load_b32 v46, v[32:33], off offset:384
	v_mov_b64_e32 v[38:39], 0
	v_mov_b64_e32 v[40:41], 0
	s_mov_b32 s14, exec_lo
	s_wait_loadcnt 0x0
	v_and_b32_e32 v14, 0xff, v46
	s_delay_alu instid0(VALU_DEP_1)
	v_cmpx_ne_u16_e32 0, v14
	s_cbranch_execz .LBB176_393
; %bb.386:                              ;   in Loop: Header=BB176_283 Depth=1
	v_mov_b64_e32 v[40:41], 0x80000000
	s_mov_b32 s15, exec_lo
	v_cmpx_ne_u16_e32 0x80, v14
	s_cbranch_execz .LBB176_392
; %bb.387:                              ;   in Loop: Header=BB176_283 Depth=1
	v_mov_b64_e32 v[40:41], 0x7f800001
	v_and_b32_e32 v42, 0x7f, v46
	s_mov_b32 s16, exec_lo
	s_delay_alu instid0(VALU_DEP_1)
	v_cmpx_ne_u32_e32 0x7f, v42
	s_cbranch_execz .LBB176_391
; %bb.388:                              ;   in Loop: Header=BB176_283 Depth=1
	v_and_b32_e32 v14, 7, v46
	v_lshrrev_b32_e32 v40, 3, v42
	s_mov_b32 s17, exec_lo
	v_cmpx_gt_u32_e32 8, v42
; %bb.389:                              ;   in Loop: Header=BB176_283 Depth=1
	s_delay_alu instid0(VALU_DEP_3) | instskip(NEXT) | instid1(VALU_DEP_1)
	v_clz_i32_u32_e32 v40, v14
	v_min_u32_e32 v40, 32, v40
	s_delay_alu instid0(VALU_DEP_1) | instskip(NEXT) | instid1(VALU_DEP_1)
	v_subrev_nc_u32_e32 v41, 28, v40
	v_lshlrev_b64_e32 v[42:43], v41, v[14:15]
	s_delay_alu instid0(VALU_DEP_1)
	v_dual_sub_nc_u32 v40, 29, v40 :: v_dual_bitop2_b32 v14, 7, v42 bitop3:0x40
; %bb.390:                              ;   in Loop: Header=BB176_283 Depth=1
	s_or_b32 exec_lo, exec_lo, s17
	v_lshlrev_b32_e32 v41, 24, v46
	s_delay_alu instid0(VALU_DEP_2) | instskip(NEXT) | instid1(VALU_DEP_3)
	v_lshlrev_b32_e32 v14, 20, v14
	v_lshl_add_u32 v40, v40, 23, 0x3c000000
	s_delay_alu instid0(VALU_DEP_3) | instskip(NEXT) | instid1(VALU_DEP_1)
	v_and_b32_e32 v41, 0x80000000, v41
	v_or3_b32 v14, v14, v41, v40
	s_delay_alu instid0(VALU_DEP_1)
	v_mov_b64_e32 v[40:41], v[14:15]
.LBB176_391:                            ;   in Loop: Header=BB176_283 Depth=1
	s_or_b32 exec_lo, exec_lo, s16
.LBB176_392:                            ;   in Loop: Header=BB176_283 Depth=1
	s_delay_alu instid0(SALU_CYCLE_1)
	s_or_b32 exec_lo, exec_lo, s15
.LBB176_393:                            ;   in Loop: Header=BB176_283 Depth=1
	s_delay_alu instid0(SALU_CYCLE_1) | instskip(SKIP_2) | instid1(VALU_DEP_1)
	s_or_b32 exec_lo, exec_lo, s14
	v_lshrrev_b16 v14, 8, v46
	s_mov_b32 s14, exec_lo
	v_cmpx_ne_u16_e32 0, v14
	s_cbranch_execz .LBB176_401
; %bb.394:                              ;   in Loop: Header=BB176_283 Depth=1
	v_mov_b64_e32 v[38:39], 0x8000000000000000
	s_mov_b32 s15, exec_lo
	v_cmpx_ne_u16_e32 0x80, v14
	s_cbranch_execz .LBB176_400
; %bb.395:                              ;   in Loop: Header=BB176_283 Depth=1
	v_and_b32_e32 v14, 0xffff, v14
	v_mov_b64_e32 v[38:39], 0x7f80000100000000
	s_mov_b32 s16, exec_lo
	s_delay_alu instid0(VALU_DEP_2) | instskip(NEXT) | instid1(VALU_DEP_1)
	v_and_b32_e32 v42, 0x7f, v14
	v_cmpx_ne_u32_e32 0x7f, v42
	s_cbranch_execz .LBB176_399
; %bb.396:                              ;   in Loop: Header=BB176_283 Depth=1
	v_and_b32_e32 v14, 7, v14
	v_lshrrev_b32_e32 v38, 3, v42
	s_mov_b32 s17, exec_lo
	v_cmpx_gt_u32_e32 8, v42
; %bb.397:                              ;   in Loop: Header=BB176_283 Depth=1
	s_delay_alu instid0(VALU_DEP_3) | instskip(NEXT) | instid1(VALU_DEP_1)
	v_clz_i32_u32_e32 v38, v14
	v_min_u32_e32 v38, 32, v38
	s_delay_alu instid0(VALU_DEP_1) | instskip(SKIP_1) | instid1(VALU_DEP_2)
	v_subrev_nc_u32_e32 v39, 28, v38
	v_sub_nc_u32_e32 v38, 29, v38
	v_lshlrev_b64_e32 v[42:43], v39, v[14:15]
	s_delay_alu instid0(VALU_DEP_1)
	v_and_b32_e32 v14, 7, v42
; %bb.398:                              ;   in Loop: Header=BB176_283 Depth=1
	s_or_b32 exec_lo, exec_lo, s17
	v_lshlrev_b32_e32 v39, 16, v46
	s_delay_alu instid0(VALU_DEP_2) | instskip(SKIP_1) | instid1(VALU_DEP_3)
	v_lshlrev_b32_e32 v14, 20, v14
	v_lshl_add_u32 v38, v38, 23, 0x3c000000
	v_and_b32_e32 v39, 0x80000000, v39
	s_delay_alu instid0(VALU_DEP_1)
	v_or3_b32 v39, v14, v39, v38
	v_mov_b32_e32 v38, v15
.LBB176_399:                            ;   in Loop: Header=BB176_283 Depth=1
	s_or_b32 exec_lo, exec_lo, s16
.LBB176_400:                            ;   in Loop: Header=BB176_283 Depth=1
	s_delay_alu instid0(SALU_CYCLE_1)
	s_or_b32 exec_lo, exec_lo, s15
.LBB176_401:                            ;   in Loop: Header=BB176_283 Depth=1
	s_delay_alu instid0(SALU_CYCLE_1) | instskip(SKIP_4) | instid1(VALU_DEP_3)
	s_or_b32 exec_lo, exec_lo, s14
	v_lshrrev_b32_e32 v47, 16, v46
	v_mov_b64_e32 v[42:43], 0
	v_mov_b64_e32 v[44:45], 0
	s_mov_b32 s14, exec_lo
	v_and_b32_e32 v14, 0xff, v47
	s_delay_alu instid0(VALU_DEP_1)
	v_cmpx_ne_u16_e32 0, v14
	s_cbranch_execz .LBB176_409
; %bb.402:                              ;   in Loop: Header=BB176_283 Depth=1
	v_mov_b64_e32 v[44:45], 0x80000000
	s_mov_b32 s15, exec_lo
	v_cmpx_ne_u16_e32 0x80, v14
	s_cbranch_execz .LBB176_408
; %bb.403:                              ;   in Loop: Header=BB176_283 Depth=1
	v_mov_b64_e32 v[44:45], 0x7f800001
	v_bfe_u32 v48, v46, 16, 7
	s_mov_b32 s16, exec_lo
	s_delay_alu instid0(VALU_DEP_1)
	v_cmpx_ne_u32_e32 0x7f, v48
	s_cbranch_execz .LBB176_407
; %bb.404:                              ;   in Loop: Header=BB176_283 Depth=1
	v_dual_lshrrev_b32 v44, 3, v48 :: v_dual_bitop2_b32 v14, 7, v47 bitop3:0x40
	s_mov_b32 s17, exec_lo
	v_cmpx_gt_u32_e32 8, v48
; %bb.405:                              ;   in Loop: Header=BB176_283 Depth=1
	s_delay_alu instid0(VALU_DEP_2) | instskip(NEXT) | instid1(VALU_DEP_1)
	v_clz_i32_u32_e32 v44, v14
	v_min_u32_e32 v44, 32, v44
	s_delay_alu instid0(VALU_DEP_1) | instskip(SKIP_1) | instid1(VALU_DEP_2)
	v_subrev_nc_u32_e32 v45, 28, v44
	v_sub_nc_u32_e32 v44, 29, v44
	v_lshlrev_b64_e32 v[48:49], v45, v[14:15]
	s_delay_alu instid0(VALU_DEP_1)
	v_and_b32_e32 v14, 7, v48
; %bb.406:                              ;   in Loop: Header=BB176_283 Depth=1
	s_or_b32 exec_lo, exec_lo, s17
	s_delay_alu instid0(VALU_DEP_1) | instskip(SKIP_1) | instid1(VALU_DEP_2)
	v_dual_lshlrev_b32 v45, 24, v47 :: v_dual_lshlrev_b32 v14, 20, v14
	v_lshl_add_u32 v44, v44, 23, 0x3c000000
	v_and_b32_e32 v45, 0x80000000, v45
	s_delay_alu instid0(VALU_DEP_1) | instskip(NEXT) | instid1(VALU_DEP_1)
	v_or3_b32 v14, v14, v45, v44
	v_mov_b64_e32 v[44:45], v[14:15]
.LBB176_407:                            ;   in Loop: Header=BB176_283 Depth=1
	s_or_b32 exec_lo, exec_lo, s16
.LBB176_408:                            ;   in Loop: Header=BB176_283 Depth=1
	s_delay_alu instid0(SALU_CYCLE_1)
	s_or_b32 exec_lo, exec_lo, s15
.LBB176_409:                            ;   in Loop: Header=BB176_283 Depth=1
	s_delay_alu instid0(SALU_CYCLE_1) | instskip(NEXT) | instid1(SALU_CYCLE_1)
	s_or_b32 exec_lo, exec_lo, s14
	s_mov_b32 s14, exec_lo
	v_cmpx_lt_u32_e32 0xffffff, v46
	s_cbranch_execz .LBB176_417
; %bb.410:                              ;   in Loop: Header=BB176_283 Depth=1
	v_mov_b64_e32 v[42:43], 0x8000000000000000
	v_lshrrev_b32_e32 v47, 24, v46
	s_mov_b32 s15, exec_lo
	s_delay_alu instid0(VALU_DEP_1)
	v_cmpx_ne_u32_e32 0x80, v47
	s_cbranch_execz .LBB176_416
; %bb.411:                              ;   in Loop: Header=BB176_283 Depth=1
	v_mov_b64_e32 v[42:43], 0x7f80000100000000
	v_bfe_u32 v46, v46, 24, 7
	s_mov_b32 s16, exec_lo
	s_delay_alu instid0(VALU_DEP_1)
	v_cmpx_ne_u32_e32 0x7f, v46
	s_cbranch_execz .LBB176_415
; %bb.412:                              ;   in Loop: Header=BB176_283 Depth=1
	v_dual_lshrrev_b32 v42, 3, v46 :: v_dual_bitop2_b32 v14, 7, v47 bitop3:0x40
	s_mov_b32 s17, exec_lo
	v_cmpx_gt_u32_e32 8, v46
; %bb.413:                              ;   in Loop: Header=BB176_283 Depth=1
	s_delay_alu instid0(VALU_DEP_2) | instskip(NEXT) | instid1(VALU_DEP_1)
	v_clz_i32_u32_e32 v42, v14
	v_min_u32_e32 v42, 32, v42
	s_delay_alu instid0(VALU_DEP_1) | instskip(NEXT) | instid1(VALU_DEP_1)
	v_subrev_nc_u32_e32 v43, 28, v42
	v_lshlrev_b64_e32 v[48:49], v43, v[14:15]
	s_delay_alu instid0(VALU_DEP_1)
	v_dual_sub_nc_u32 v42, 29, v42 :: v_dual_bitop2_b32 v14, 7, v48 bitop3:0x40
; %bb.414:                              ;   in Loop: Header=BB176_283 Depth=1
	s_or_b32 exec_lo, exec_lo, s17
	s_delay_alu instid0(VALU_DEP_1) | instskip(NEXT) | instid1(VALU_DEP_2)
	v_dual_lshlrev_b32 v43, 24, v47 :: v_dual_lshlrev_b32 v14, 20, v14
	v_lshl_add_u32 v42, v42, 23, 0x3c000000
	s_delay_alu instid0(VALU_DEP_2) | instskip(NEXT) | instid1(VALU_DEP_1)
	v_and_b32_e32 v43, 0x80000000, v43
	v_or3_b32 v43, v14, v43, v42
	v_mov_b32_e32 v42, v15
.LBB176_415:                            ;   in Loop: Header=BB176_283 Depth=1
	s_or_b32 exec_lo, exec_lo, s16
.LBB176_416:                            ;   in Loop: Header=BB176_283 Depth=1
	s_delay_alu instid0(SALU_CYCLE_1)
	s_or_b32 exec_lo, exec_lo, s15
.LBB176_417:                            ;   in Loop: Header=BB176_283 Depth=1
	s_delay_alu instid0(SALU_CYCLE_1)
	s_or_b32 exec_lo, exec_lo, s14
	v_mov_b64_e32 v[46:47], s[6:7]
	v_or_b32_e32 v39, v39, v41
	v_or_b32_e32 v38, v38, v40
	;; [unrolled: 1-line block ×4, first 2 shown]
	s_delay_alu instid0(VALU_DEP_3) | instskip(NEXT) | instid1(VALU_DEP_2)
	v_pk_mul_f32 v[40:41], v[46:47], v[38:39]
	v_pk_mul_f32 v[38:39], v[46:47], v[42:43]
	s_and_saveexec_b32 s14, s0
	s_cbranch_execz .LBB176_419
; %bb.418:                              ;   in Loop: Header=BB176_283 Depth=1
	v_cmp_gt_i32_e64 s1, s23, v61
	s_delay_alu instid0(VALU_DEP_1) | instskip(NEXT) | instid1(VALU_DEP_1)
	v_dual_add_nc_u32 v14, 1, v61 :: v_dual_cndmask_b32 v40, 0, v40, s1
	v_cmp_gt_i32_e64 s1, s23, v14
	s_delay_alu instid0(VALU_DEP_1) | instskip(SKIP_1) | instid1(VALU_DEP_1)
	v_cndmask_b32_e64 v41, 0, v41, s1
	v_cmp_gt_i32_e64 s1, s23, v57
	v_cndmask_b32_e64 v38, 0, v38, s1
	v_cmp_gt_i32_e64 s1, s23, v56
	s_delay_alu instid0(VALU_DEP_1)
	v_cndmask_b32_e64 v39, 0, v39, s1
.LBB176_419:                            ;   in Loop: Header=BB176_283 Depth=1
	s_or_b32 exec_lo, exec_lo, s14
	global_load_b32 v50, v[32:33], off offset:512
	v_mov_b64_e32 v[42:43], 0
	v_mov_b64_e32 v[44:45], 0
	s_mov_b32 s14, exec_lo
	s_wait_loadcnt 0x0
	v_and_b32_e32 v14, 0xff, v50
	s_delay_alu instid0(VALU_DEP_1)
	v_cmpx_ne_u16_e32 0, v14
	s_cbranch_execz .LBB176_427
; %bb.420:                              ;   in Loop: Header=BB176_283 Depth=1
	v_mov_b64_e32 v[44:45], 0x80000000
	s_mov_b32 s15, exec_lo
	v_cmpx_ne_u16_e32 0x80, v14
	s_cbranch_execz .LBB176_426
; %bb.421:                              ;   in Loop: Header=BB176_283 Depth=1
	v_mov_b64_e32 v[44:45], 0x7f800001
	v_and_b32_e32 v46, 0x7f, v50
	s_mov_b32 s16, exec_lo
	s_delay_alu instid0(VALU_DEP_1)
	v_cmpx_ne_u32_e32 0x7f, v46
	s_cbranch_execz .LBB176_425
; %bb.422:                              ;   in Loop: Header=BB176_283 Depth=1
	v_and_b32_e32 v14, 7, v50
	v_lshrrev_b32_e32 v44, 3, v46
	s_mov_b32 s17, exec_lo
	v_cmpx_gt_u32_e32 8, v46
; %bb.423:                              ;   in Loop: Header=BB176_283 Depth=1
	s_delay_alu instid0(VALU_DEP_3) | instskip(NEXT) | instid1(VALU_DEP_1)
	v_clz_i32_u32_e32 v44, v14
	v_min_u32_e32 v44, 32, v44
	s_delay_alu instid0(VALU_DEP_1) | instskip(NEXT) | instid1(VALU_DEP_1)
	v_subrev_nc_u32_e32 v45, 28, v44
	v_lshlrev_b64_e32 v[46:47], v45, v[14:15]
	s_delay_alu instid0(VALU_DEP_1)
	v_dual_sub_nc_u32 v44, 29, v44 :: v_dual_bitop2_b32 v14, 7, v46 bitop3:0x40
; %bb.424:                              ;   in Loop: Header=BB176_283 Depth=1
	s_or_b32 exec_lo, exec_lo, s17
	v_lshlrev_b32_e32 v45, 24, v50
	s_delay_alu instid0(VALU_DEP_2) | instskip(NEXT) | instid1(VALU_DEP_3)
	v_lshlrev_b32_e32 v14, 20, v14
	v_lshl_add_u32 v44, v44, 23, 0x3c000000
	s_delay_alu instid0(VALU_DEP_3) | instskip(NEXT) | instid1(VALU_DEP_1)
	v_and_b32_e32 v45, 0x80000000, v45
	v_or3_b32 v14, v14, v45, v44
	s_delay_alu instid0(VALU_DEP_1)
	v_mov_b64_e32 v[44:45], v[14:15]
.LBB176_425:                            ;   in Loop: Header=BB176_283 Depth=1
	s_or_b32 exec_lo, exec_lo, s16
.LBB176_426:                            ;   in Loop: Header=BB176_283 Depth=1
	s_delay_alu instid0(SALU_CYCLE_1)
	s_or_b32 exec_lo, exec_lo, s15
.LBB176_427:                            ;   in Loop: Header=BB176_283 Depth=1
	s_delay_alu instid0(SALU_CYCLE_1) | instskip(SKIP_2) | instid1(VALU_DEP_1)
	s_or_b32 exec_lo, exec_lo, s14
	v_lshrrev_b16 v14, 8, v50
	s_mov_b32 s14, exec_lo
	v_cmpx_ne_u16_e32 0, v14
	s_cbranch_execz .LBB176_435
; %bb.428:                              ;   in Loop: Header=BB176_283 Depth=1
	v_mov_b64_e32 v[42:43], 0x8000000000000000
	s_mov_b32 s15, exec_lo
	v_cmpx_ne_u16_e32 0x80, v14
	s_cbranch_execz .LBB176_434
; %bb.429:                              ;   in Loop: Header=BB176_283 Depth=1
	v_and_b32_e32 v14, 0xffff, v14
	v_mov_b64_e32 v[42:43], 0x7f80000100000000
	s_mov_b32 s16, exec_lo
	s_delay_alu instid0(VALU_DEP_2) | instskip(NEXT) | instid1(VALU_DEP_1)
	v_and_b32_e32 v46, 0x7f, v14
	v_cmpx_ne_u32_e32 0x7f, v46
	s_cbranch_execz .LBB176_433
; %bb.430:                              ;   in Loop: Header=BB176_283 Depth=1
	v_and_b32_e32 v14, 7, v14
	v_lshrrev_b32_e32 v42, 3, v46
	s_mov_b32 s17, exec_lo
	v_cmpx_gt_u32_e32 8, v46
; %bb.431:                              ;   in Loop: Header=BB176_283 Depth=1
	s_delay_alu instid0(VALU_DEP_3) | instskip(NEXT) | instid1(VALU_DEP_1)
	v_clz_i32_u32_e32 v42, v14
	v_min_u32_e32 v42, 32, v42
	s_delay_alu instid0(VALU_DEP_1) | instskip(SKIP_1) | instid1(VALU_DEP_2)
	v_subrev_nc_u32_e32 v43, 28, v42
	v_sub_nc_u32_e32 v42, 29, v42
	v_lshlrev_b64_e32 v[46:47], v43, v[14:15]
	s_delay_alu instid0(VALU_DEP_1)
	v_and_b32_e32 v14, 7, v46
; %bb.432:                              ;   in Loop: Header=BB176_283 Depth=1
	s_or_b32 exec_lo, exec_lo, s17
	v_lshlrev_b32_e32 v43, 16, v50
	s_delay_alu instid0(VALU_DEP_2) | instskip(SKIP_1) | instid1(VALU_DEP_3)
	v_lshlrev_b32_e32 v14, 20, v14
	v_lshl_add_u32 v42, v42, 23, 0x3c000000
	v_and_b32_e32 v43, 0x80000000, v43
	s_delay_alu instid0(VALU_DEP_1)
	v_or3_b32 v43, v14, v43, v42
	v_mov_b32_e32 v42, v15
.LBB176_433:                            ;   in Loop: Header=BB176_283 Depth=1
	s_or_b32 exec_lo, exec_lo, s16
.LBB176_434:                            ;   in Loop: Header=BB176_283 Depth=1
	s_delay_alu instid0(SALU_CYCLE_1)
	s_or_b32 exec_lo, exec_lo, s15
.LBB176_435:                            ;   in Loop: Header=BB176_283 Depth=1
	s_delay_alu instid0(SALU_CYCLE_1) | instskip(SKIP_4) | instid1(VALU_DEP_3)
	s_or_b32 exec_lo, exec_lo, s14
	v_lshrrev_b32_e32 v51, 16, v50
	v_mov_b64_e32 v[46:47], 0
	v_mov_b64_e32 v[48:49], 0
	s_mov_b32 s14, exec_lo
	v_and_b32_e32 v14, 0xff, v51
	s_delay_alu instid0(VALU_DEP_1)
	v_cmpx_ne_u16_e32 0, v14
	s_cbranch_execz .LBB176_443
; %bb.436:                              ;   in Loop: Header=BB176_283 Depth=1
	v_mov_b64_e32 v[48:49], 0x80000000
	s_mov_b32 s15, exec_lo
	v_cmpx_ne_u16_e32 0x80, v14
	s_cbranch_execz .LBB176_442
; %bb.437:                              ;   in Loop: Header=BB176_283 Depth=1
	v_mov_b64_e32 v[48:49], 0x7f800001
	v_bfe_u32 v52, v50, 16, 7
	s_mov_b32 s16, exec_lo
	s_delay_alu instid0(VALU_DEP_1)
	v_cmpx_ne_u32_e32 0x7f, v52
	s_cbranch_execz .LBB176_441
; %bb.438:                              ;   in Loop: Header=BB176_283 Depth=1
	v_dual_lshrrev_b32 v48, 3, v52 :: v_dual_bitop2_b32 v14, 7, v51 bitop3:0x40
	s_mov_b32 s17, exec_lo
	v_cmpx_gt_u32_e32 8, v52
; %bb.439:                              ;   in Loop: Header=BB176_283 Depth=1
	s_delay_alu instid0(VALU_DEP_2) | instskip(NEXT) | instid1(VALU_DEP_1)
	v_clz_i32_u32_e32 v48, v14
	v_min_u32_e32 v48, 32, v48
	s_delay_alu instid0(VALU_DEP_1) | instskip(SKIP_1) | instid1(VALU_DEP_2)
	v_subrev_nc_u32_e32 v49, 28, v48
	v_sub_nc_u32_e32 v48, 29, v48
	v_lshlrev_b64_e32 v[52:53], v49, v[14:15]
	s_delay_alu instid0(VALU_DEP_1)
	v_and_b32_e32 v14, 7, v52
; %bb.440:                              ;   in Loop: Header=BB176_283 Depth=1
	s_or_b32 exec_lo, exec_lo, s17
	s_delay_alu instid0(VALU_DEP_1) | instskip(SKIP_1) | instid1(VALU_DEP_2)
	v_dual_lshlrev_b32 v49, 24, v51 :: v_dual_lshlrev_b32 v14, 20, v14
	v_lshl_add_u32 v48, v48, 23, 0x3c000000
	v_and_b32_e32 v49, 0x80000000, v49
	s_delay_alu instid0(VALU_DEP_1) | instskip(NEXT) | instid1(VALU_DEP_1)
	v_or3_b32 v14, v14, v49, v48
	v_mov_b64_e32 v[48:49], v[14:15]
.LBB176_441:                            ;   in Loop: Header=BB176_283 Depth=1
	s_or_b32 exec_lo, exec_lo, s16
.LBB176_442:                            ;   in Loop: Header=BB176_283 Depth=1
	s_delay_alu instid0(SALU_CYCLE_1)
	s_or_b32 exec_lo, exec_lo, s15
.LBB176_443:                            ;   in Loop: Header=BB176_283 Depth=1
	s_delay_alu instid0(SALU_CYCLE_1) | instskip(NEXT) | instid1(SALU_CYCLE_1)
	s_or_b32 exec_lo, exec_lo, s14
	s_mov_b32 s14, exec_lo
	v_cmpx_lt_u32_e32 0xffffff, v50
	s_cbranch_execz .LBB176_451
; %bb.444:                              ;   in Loop: Header=BB176_283 Depth=1
	v_mov_b64_e32 v[46:47], 0x8000000000000000
	v_lshrrev_b32_e32 v51, 24, v50
	s_mov_b32 s15, exec_lo
	s_delay_alu instid0(VALU_DEP_1)
	v_cmpx_ne_u32_e32 0x80, v51
	s_cbranch_execz .LBB176_450
; %bb.445:                              ;   in Loop: Header=BB176_283 Depth=1
	v_mov_b64_e32 v[46:47], 0x7f80000100000000
	v_bfe_u32 v50, v50, 24, 7
	s_mov_b32 s16, exec_lo
	s_delay_alu instid0(VALU_DEP_1)
	v_cmpx_ne_u32_e32 0x7f, v50
	s_cbranch_execz .LBB176_449
; %bb.446:                              ;   in Loop: Header=BB176_283 Depth=1
	v_dual_lshrrev_b32 v46, 3, v50 :: v_dual_bitop2_b32 v14, 7, v51 bitop3:0x40
	s_mov_b32 s17, exec_lo
	v_cmpx_gt_u32_e32 8, v50
; %bb.447:                              ;   in Loop: Header=BB176_283 Depth=1
	s_delay_alu instid0(VALU_DEP_2) | instskip(NEXT) | instid1(VALU_DEP_1)
	v_clz_i32_u32_e32 v46, v14
	v_min_u32_e32 v46, 32, v46
	s_delay_alu instid0(VALU_DEP_1) | instskip(NEXT) | instid1(VALU_DEP_1)
	v_subrev_nc_u32_e32 v47, 28, v46
	v_lshlrev_b64_e32 v[52:53], v47, v[14:15]
	s_delay_alu instid0(VALU_DEP_1)
	v_dual_sub_nc_u32 v46, 29, v46 :: v_dual_bitop2_b32 v14, 7, v52 bitop3:0x40
; %bb.448:                              ;   in Loop: Header=BB176_283 Depth=1
	s_or_b32 exec_lo, exec_lo, s17
	s_delay_alu instid0(VALU_DEP_1) | instskip(NEXT) | instid1(VALU_DEP_2)
	v_dual_lshlrev_b32 v47, 24, v51 :: v_dual_lshlrev_b32 v14, 20, v14
	v_lshl_add_u32 v46, v46, 23, 0x3c000000
	s_delay_alu instid0(VALU_DEP_2) | instskip(NEXT) | instid1(VALU_DEP_1)
	v_and_b32_e32 v47, 0x80000000, v47
	v_or3_b32 v47, v14, v47, v46
	v_mov_b32_e32 v46, v15
.LBB176_449:                            ;   in Loop: Header=BB176_283 Depth=1
	s_or_b32 exec_lo, exec_lo, s16
.LBB176_450:                            ;   in Loop: Header=BB176_283 Depth=1
	s_delay_alu instid0(SALU_CYCLE_1)
	s_or_b32 exec_lo, exec_lo, s15
.LBB176_451:                            ;   in Loop: Header=BB176_283 Depth=1
	s_delay_alu instid0(SALU_CYCLE_1)
	s_or_b32 exec_lo, exec_lo, s14
	v_mov_b64_e32 v[50:51], s[6:7]
	v_or_b32_e32 v43, v43, v45
	v_or_b32_e32 v42, v42, v44
	;; [unrolled: 1-line block ×4, first 2 shown]
	s_delay_alu instid0(VALU_DEP_3) | instskip(NEXT) | instid1(VALU_DEP_2)
	v_pk_mul_f32 v[44:45], v[50:51], v[42:43]
	v_pk_mul_f32 v[42:43], v[50:51], v[46:47]
	s_and_saveexec_b32 s14, s0
	s_cbranch_execz .LBB176_453
; %bb.452:                              ;   in Loop: Header=BB176_283 Depth=1
	v_cmp_gt_i32_e64 s1, s23, v61
	s_delay_alu instid0(VALU_DEP_1) | instskip(NEXT) | instid1(VALU_DEP_1)
	v_dual_add_nc_u32 v14, 1, v61 :: v_dual_cndmask_b32 v44, 0, v44, s1
	v_cmp_gt_i32_e64 s1, s23, v14
	s_delay_alu instid0(VALU_DEP_1) | instskip(SKIP_1) | instid1(VALU_DEP_1)
	v_cndmask_b32_e64 v45, 0, v45, s1
	v_cmp_gt_i32_e64 s1, s23, v57
	v_cndmask_b32_e64 v42, 0, v42, s1
	v_cmp_gt_i32_e64 s1, s23, v56
	s_delay_alu instid0(VALU_DEP_1)
	v_cndmask_b32_e64 v43, 0, v43, s1
.LBB176_453:                            ;   in Loop: Header=BB176_283 Depth=1
	s_or_b32 exec_lo, exec_lo, s14
	global_load_b32 v54, v[32:33], off offset:640
	v_mov_b64_e32 v[46:47], 0
	v_mov_b64_e32 v[48:49], 0
	s_mov_b32 s14, exec_lo
	s_wait_loadcnt 0x0
	v_and_b32_e32 v14, 0xff, v54
	s_delay_alu instid0(VALU_DEP_1)
	v_cmpx_ne_u16_e32 0, v14
	s_cbranch_execz .LBB176_461
; %bb.454:                              ;   in Loop: Header=BB176_283 Depth=1
	v_mov_b64_e32 v[48:49], 0x80000000
	s_mov_b32 s15, exec_lo
	v_cmpx_ne_u16_e32 0x80, v14
	s_cbranch_execz .LBB176_460
; %bb.455:                              ;   in Loop: Header=BB176_283 Depth=1
	v_mov_b64_e32 v[48:49], 0x7f800001
	v_and_b32_e32 v50, 0x7f, v54
	s_mov_b32 s16, exec_lo
	s_delay_alu instid0(VALU_DEP_1)
	v_cmpx_ne_u32_e32 0x7f, v50
	s_cbranch_execz .LBB176_459
; %bb.456:                              ;   in Loop: Header=BB176_283 Depth=1
	v_and_b32_e32 v14, 7, v54
	v_lshrrev_b32_e32 v48, 3, v50
	s_mov_b32 s17, exec_lo
	v_cmpx_gt_u32_e32 8, v50
; %bb.457:                              ;   in Loop: Header=BB176_283 Depth=1
	s_delay_alu instid0(VALU_DEP_3) | instskip(NEXT) | instid1(VALU_DEP_1)
	v_clz_i32_u32_e32 v48, v14
	v_min_u32_e32 v48, 32, v48
	s_delay_alu instid0(VALU_DEP_1) | instskip(NEXT) | instid1(VALU_DEP_1)
	v_subrev_nc_u32_e32 v49, 28, v48
	v_lshlrev_b64_e32 v[50:51], v49, v[14:15]
	s_delay_alu instid0(VALU_DEP_1)
	v_dual_sub_nc_u32 v48, 29, v48 :: v_dual_bitop2_b32 v14, 7, v50 bitop3:0x40
; %bb.458:                              ;   in Loop: Header=BB176_283 Depth=1
	s_or_b32 exec_lo, exec_lo, s17
	v_lshlrev_b32_e32 v49, 24, v54
	s_delay_alu instid0(VALU_DEP_2) | instskip(NEXT) | instid1(VALU_DEP_3)
	v_lshlrev_b32_e32 v14, 20, v14
	v_lshl_add_u32 v48, v48, 23, 0x3c000000
	s_delay_alu instid0(VALU_DEP_3) | instskip(NEXT) | instid1(VALU_DEP_1)
	v_and_b32_e32 v49, 0x80000000, v49
	v_or3_b32 v14, v14, v49, v48
	s_delay_alu instid0(VALU_DEP_1)
	v_mov_b64_e32 v[48:49], v[14:15]
.LBB176_459:                            ;   in Loop: Header=BB176_283 Depth=1
	s_or_b32 exec_lo, exec_lo, s16
.LBB176_460:                            ;   in Loop: Header=BB176_283 Depth=1
	s_delay_alu instid0(SALU_CYCLE_1)
	s_or_b32 exec_lo, exec_lo, s15
.LBB176_461:                            ;   in Loop: Header=BB176_283 Depth=1
	s_delay_alu instid0(SALU_CYCLE_1) | instskip(SKIP_2) | instid1(VALU_DEP_1)
	s_or_b32 exec_lo, exec_lo, s14
	v_lshrrev_b16 v14, 8, v54
	s_mov_b32 s14, exec_lo
	v_cmpx_ne_u16_e32 0, v14
	s_cbranch_execz .LBB176_469
; %bb.462:                              ;   in Loop: Header=BB176_283 Depth=1
	v_mov_b64_e32 v[46:47], 0x8000000000000000
	s_mov_b32 s15, exec_lo
	v_cmpx_ne_u16_e32 0x80, v14
	s_cbranch_execz .LBB176_468
; %bb.463:                              ;   in Loop: Header=BB176_283 Depth=1
	v_and_b32_e32 v14, 0xffff, v14
	v_mov_b64_e32 v[46:47], 0x7f80000100000000
	s_mov_b32 s16, exec_lo
	s_delay_alu instid0(VALU_DEP_2) | instskip(NEXT) | instid1(VALU_DEP_1)
	v_and_b32_e32 v50, 0x7f, v14
	v_cmpx_ne_u32_e32 0x7f, v50
	s_cbranch_execz .LBB176_467
; %bb.464:                              ;   in Loop: Header=BB176_283 Depth=1
	v_and_b32_e32 v14, 7, v14
	v_lshrrev_b32_e32 v46, 3, v50
	s_mov_b32 s17, exec_lo
	v_cmpx_gt_u32_e32 8, v50
; %bb.465:                              ;   in Loop: Header=BB176_283 Depth=1
	s_delay_alu instid0(VALU_DEP_3) | instskip(NEXT) | instid1(VALU_DEP_1)
	v_clz_i32_u32_e32 v46, v14
	v_min_u32_e32 v46, 32, v46
	s_delay_alu instid0(VALU_DEP_1) | instskip(SKIP_1) | instid1(VALU_DEP_2)
	v_subrev_nc_u32_e32 v47, 28, v46
	v_sub_nc_u32_e32 v46, 29, v46
	v_lshlrev_b64_e32 v[50:51], v47, v[14:15]
	s_delay_alu instid0(VALU_DEP_1)
	v_and_b32_e32 v14, 7, v50
; %bb.466:                              ;   in Loop: Header=BB176_283 Depth=1
	s_or_b32 exec_lo, exec_lo, s17
	v_lshlrev_b32_e32 v47, 16, v54
	s_delay_alu instid0(VALU_DEP_2) | instskip(SKIP_1) | instid1(VALU_DEP_3)
	v_lshlrev_b32_e32 v14, 20, v14
	v_lshl_add_u32 v46, v46, 23, 0x3c000000
	v_and_b32_e32 v47, 0x80000000, v47
	s_delay_alu instid0(VALU_DEP_1)
	v_or3_b32 v47, v14, v47, v46
	v_mov_b32_e32 v46, v15
.LBB176_467:                            ;   in Loop: Header=BB176_283 Depth=1
	s_or_b32 exec_lo, exec_lo, s16
.LBB176_468:                            ;   in Loop: Header=BB176_283 Depth=1
	s_delay_alu instid0(SALU_CYCLE_1)
	s_or_b32 exec_lo, exec_lo, s15
.LBB176_469:                            ;   in Loop: Header=BB176_283 Depth=1
	s_delay_alu instid0(SALU_CYCLE_1) | instskip(SKIP_4) | instid1(VALU_DEP_3)
	s_or_b32 exec_lo, exec_lo, s14
	v_lshrrev_b32_e32 v55, 16, v54
	v_mov_b64_e32 v[50:51], 0
	v_mov_b64_e32 v[52:53], 0
	s_mov_b32 s14, exec_lo
	v_and_b32_e32 v14, 0xff, v55
	s_delay_alu instid0(VALU_DEP_1)
	v_cmpx_ne_u16_e32 0, v14
	s_cbranch_execz .LBB176_477
; %bb.470:                              ;   in Loop: Header=BB176_283 Depth=1
	v_mov_b64_e32 v[52:53], 0x80000000
	s_mov_b32 s15, exec_lo
	v_cmpx_ne_u16_e32 0x80, v14
	s_cbranch_execz .LBB176_476
; %bb.471:                              ;   in Loop: Header=BB176_283 Depth=1
	v_mov_b64_e32 v[52:53], 0x7f800001
	v_bfe_u32 v64, v54, 16, 7
	s_mov_b32 s16, exec_lo
	s_delay_alu instid0(VALU_DEP_1)
	v_cmpx_ne_u32_e32 0x7f, v64
	s_cbranch_execz .LBB176_475
; %bb.472:                              ;   in Loop: Header=BB176_283 Depth=1
	v_dual_lshrrev_b32 v52, 3, v64 :: v_dual_bitop2_b32 v14, 7, v55 bitop3:0x40
	s_mov_b32 s17, exec_lo
	v_cmpx_gt_u32_e32 8, v64
; %bb.473:                              ;   in Loop: Header=BB176_283 Depth=1
	s_delay_alu instid0(VALU_DEP_2) | instskip(NEXT) | instid1(VALU_DEP_1)
	v_clz_i32_u32_e32 v52, v14
	v_min_u32_e32 v52, 32, v52
	s_delay_alu instid0(VALU_DEP_1) | instskip(SKIP_1) | instid1(VALU_DEP_2)
	v_subrev_nc_u32_e32 v53, 28, v52
	v_sub_nc_u32_e32 v52, 29, v52
	v_lshlrev_b64_e32 v[64:65], v53, v[14:15]
	s_delay_alu instid0(VALU_DEP_1)
	v_and_b32_e32 v14, 7, v64
; %bb.474:                              ;   in Loop: Header=BB176_283 Depth=1
	s_or_b32 exec_lo, exec_lo, s17
	s_delay_alu instid0(VALU_DEP_1) | instskip(SKIP_1) | instid1(VALU_DEP_2)
	v_dual_lshlrev_b32 v53, 24, v55 :: v_dual_lshlrev_b32 v14, 20, v14
	v_lshl_add_u32 v52, v52, 23, 0x3c000000
	v_and_b32_e32 v53, 0x80000000, v53
	s_delay_alu instid0(VALU_DEP_1) | instskip(NEXT) | instid1(VALU_DEP_1)
	v_or3_b32 v14, v14, v53, v52
	v_mov_b64_e32 v[52:53], v[14:15]
.LBB176_475:                            ;   in Loop: Header=BB176_283 Depth=1
	s_or_b32 exec_lo, exec_lo, s16
.LBB176_476:                            ;   in Loop: Header=BB176_283 Depth=1
	s_delay_alu instid0(SALU_CYCLE_1)
	s_or_b32 exec_lo, exec_lo, s15
.LBB176_477:                            ;   in Loop: Header=BB176_283 Depth=1
	s_delay_alu instid0(SALU_CYCLE_1) | instskip(NEXT) | instid1(SALU_CYCLE_1)
	s_or_b32 exec_lo, exec_lo, s14
	s_mov_b32 s14, exec_lo
	v_cmpx_lt_u32_e32 0xffffff, v54
	s_cbranch_execz .LBB176_485
; %bb.478:                              ;   in Loop: Header=BB176_283 Depth=1
	v_mov_b64_e32 v[50:51], 0x8000000000000000
	v_lshrrev_b32_e32 v55, 24, v54
	s_mov_b32 s15, exec_lo
	s_delay_alu instid0(VALU_DEP_1)
	v_cmpx_ne_u32_e32 0x80, v55
	s_cbranch_execz .LBB176_484
; %bb.479:                              ;   in Loop: Header=BB176_283 Depth=1
	v_mov_b64_e32 v[50:51], 0x7f80000100000000
	v_bfe_u32 v54, v54, 24, 7
	s_mov_b32 s16, exec_lo
	s_delay_alu instid0(VALU_DEP_1)
	v_cmpx_ne_u32_e32 0x7f, v54
	s_cbranch_execz .LBB176_483
; %bb.480:                              ;   in Loop: Header=BB176_283 Depth=1
	v_dual_lshrrev_b32 v50, 3, v54 :: v_dual_bitop2_b32 v14, 7, v55 bitop3:0x40
	s_mov_b32 s17, exec_lo
	v_cmpx_gt_u32_e32 8, v54
; %bb.481:                              ;   in Loop: Header=BB176_283 Depth=1
	s_delay_alu instid0(VALU_DEP_2) | instskip(NEXT) | instid1(VALU_DEP_1)
	v_clz_i32_u32_e32 v50, v14
	v_min_u32_e32 v50, 32, v50
	s_delay_alu instid0(VALU_DEP_1) | instskip(NEXT) | instid1(VALU_DEP_1)
	v_subrev_nc_u32_e32 v51, 28, v50
	v_lshlrev_b64_e32 v[64:65], v51, v[14:15]
	s_delay_alu instid0(VALU_DEP_1)
	v_dual_sub_nc_u32 v50, 29, v50 :: v_dual_bitop2_b32 v14, 7, v64 bitop3:0x40
; %bb.482:                              ;   in Loop: Header=BB176_283 Depth=1
	s_or_b32 exec_lo, exec_lo, s17
	s_delay_alu instid0(VALU_DEP_1) | instskip(NEXT) | instid1(VALU_DEP_2)
	v_dual_lshlrev_b32 v51, 24, v55 :: v_dual_lshlrev_b32 v14, 20, v14
	v_lshl_add_u32 v50, v50, 23, 0x3c000000
	s_delay_alu instid0(VALU_DEP_2) | instskip(NEXT) | instid1(VALU_DEP_1)
	v_and_b32_e32 v51, 0x80000000, v51
	v_or3_b32 v51, v14, v51, v50
	v_mov_b32_e32 v50, v15
.LBB176_483:                            ;   in Loop: Header=BB176_283 Depth=1
	s_or_b32 exec_lo, exec_lo, s16
.LBB176_484:                            ;   in Loop: Header=BB176_283 Depth=1
	s_delay_alu instid0(SALU_CYCLE_1)
	s_or_b32 exec_lo, exec_lo, s15
.LBB176_485:                            ;   in Loop: Header=BB176_283 Depth=1
	s_delay_alu instid0(SALU_CYCLE_1)
	s_or_b32 exec_lo, exec_lo, s14
	v_mov_b64_e32 v[54:55], s[6:7]
	v_or_b32_e32 v47, v47, v49
	v_or_b32_e32 v46, v46, v48
	;; [unrolled: 1-line block ×4, first 2 shown]
	s_delay_alu instid0(VALU_DEP_3) | instskip(NEXT) | instid1(VALU_DEP_2)
	v_pk_mul_f32 v[48:49], v[54:55], v[46:47]
	v_pk_mul_f32 v[46:47], v[54:55], v[50:51]
	s_and_saveexec_b32 s14, s0
	s_cbranch_execz .LBB176_487
; %bb.486:                              ;   in Loop: Header=BB176_283 Depth=1
	v_cmp_gt_i32_e64 s1, s23, v61
	s_delay_alu instid0(VALU_DEP_1) | instskip(NEXT) | instid1(VALU_DEP_1)
	v_dual_add_nc_u32 v14, 1, v61 :: v_dual_cndmask_b32 v48, 0, v48, s1
	v_cmp_gt_i32_e64 s1, s23, v14
	s_delay_alu instid0(VALU_DEP_1) | instskip(SKIP_1) | instid1(VALU_DEP_1)
	v_cndmask_b32_e64 v49, 0, v49, s1
	v_cmp_gt_i32_e64 s1, s23, v57
	v_cndmask_b32_e64 v46, 0, v46, s1
	v_cmp_gt_i32_e64 s1, s23, v56
	s_delay_alu instid0(VALU_DEP_1)
	v_cndmask_b32_e64 v47, 0, v47, s1
.LBB176_487:                            ;   in Loop: Header=BB176_283 Depth=1
	s_or_b32 exec_lo, exec_lo, s14
	global_load_b32 v64, v[32:33], off offset:768
	s_wait_xcnt 0x0
	v_mov_b64_e32 v[32:33], 0
	v_mov_b64_e32 v[50:51], 0
	s_mov_b32 s14, exec_lo
	s_wait_loadcnt 0x0
	v_and_b32_e32 v14, 0xff, v64
	s_delay_alu instid0(VALU_DEP_1)
	v_cmpx_ne_u16_e32 0, v14
	s_cbranch_execz .LBB176_495
; %bb.488:                              ;   in Loop: Header=BB176_283 Depth=1
	v_mov_b64_e32 v[50:51], 0x80000000
	s_mov_b32 s15, exec_lo
	v_cmpx_ne_u16_e32 0x80, v14
	s_cbranch_execz .LBB176_494
; %bb.489:                              ;   in Loop: Header=BB176_283 Depth=1
	v_mov_b64_e32 v[50:51], 0x7f800001
	v_and_b32_e32 v52, 0x7f, v64
	s_mov_b32 s16, exec_lo
	s_delay_alu instid0(VALU_DEP_1)
	v_cmpx_ne_u32_e32 0x7f, v52
	s_cbranch_execz .LBB176_493
; %bb.490:                              ;   in Loop: Header=BB176_283 Depth=1
	v_and_b32_e32 v14, 7, v64
	v_lshrrev_b32_e32 v50, 3, v52
	s_mov_b32 s17, exec_lo
	v_cmpx_gt_u32_e32 8, v52
; %bb.491:                              ;   in Loop: Header=BB176_283 Depth=1
	s_delay_alu instid0(VALU_DEP_3) | instskip(NEXT) | instid1(VALU_DEP_1)
	v_clz_i32_u32_e32 v50, v14
	v_min_u32_e32 v50, 32, v50
	s_delay_alu instid0(VALU_DEP_1) | instskip(NEXT) | instid1(VALU_DEP_1)
	v_subrev_nc_u32_e32 v51, 28, v50
	v_lshlrev_b64_e32 v[52:53], v51, v[14:15]
	s_delay_alu instid0(VALU_DEP_1)
	v_dual_sub_nc_u32 v50, 29, v50 :: v_dual_bitop2_b32 v14, 7, v52 bitop3:0x40
; %bb.492:                              ;   in Loop: Header=BB176_283 Depth=1
	s_or_b32 exec_lo, exec_lo, s17
	s_delay_alu instid0(VALU_DEP_1) | instskip(NEXT) | instid1(VALU_DEP_2)
	v_dual_lshlrev_b32 v51, 24, v64 :: v_dual_lshlrev_b32 v14, 20, v14
	v_lshl_add_u32 v50, v50, 23, 0x3c000000
	s_delay_alu instid0(VALU_DEP_2) | instskip(NEXT) | instid1(VALU_DEP_1)
	v_and_b32_e32 v51, 0x80000000, v51
	v_or3_b32 v14, v14, v51, v50
	s_delay_alu instid0(VALU_DEP_1)
	v_mov_b64_e32 v[50:51], v[14:15]
.LBB176_493:                            ;   in Loop: Header=BB176_283 Depth=1
	s_or_b32 exec_lo, exec_lo, s16
.LBB176_494:                            ;   in Loop: Header=BB176_283 Depth=1
	s_delay_alu instid0(SALU_CYCLE_1)
	s_or_b32 exec_lo, exec_lo, s15
.LBB176_495:                            ;   in Loop: Header=BB176_283 Depth=1
	s_delay_alu instid0(SALU_CYCLE_1) | instskip(SKIP_2) | instid1(VALU_DEP_1)
	s_or_b32 exec_lo, exec_lo, s14
	v_lshrrev_b16 v14, 8, v64
	s_mov_b32 s14, exec_lo
	v_cmpx_ne_u16_e32 0, v14
	s_cbranch_execz .LBB176_503
; %bb.496:                              ;   in Loop: Header=BB176_283 Depth=1
	v_mov_b64_e32 v[32:33], 0x8000000000000000
	s_mov_b32 s15, exec_lo
	v_cmpx_ne_u16_e32 0x80, v14
	s_cbranch_execz .LBB176_502
; %bb.497:                              ;   in Loop: Header=BB176_283 Depth=1
	v_and_b32_e32 v14, 0xffff, v14
	v_mov_b64_e32 v[32:33], 0x7f80000100000000
	s_mov_b32 s16, exec_lo
	s_delay_alu instid0(VALU_DEP_2) | instskip(NEXT) | instid1(VALU_DEP_1)
	v_and_b32_e32 v52, 0x7f, v14
	v_cmpx_ne_u32_e32 0x7f, v52
	s_cbranch_execz .LBB176_501
; %bb.498:                              ;   in Loop: Header=BB176_283 Depth=1
	v_dual_lshrrev_b32 v32, 3, v52 :: v_dual_bitop2_b32 v14, 7, v14 bitop3:0x40
	s_mov_b32 s17, exec_lo
	v_cmpx_gt_u32_e32 8, v52
; %bb.499:                              ;   in Loop: Header=BB176_283 Depth=1
	s_delay_alu instid0(VALU_DEP_2) | instskip(NEXT) | instid1(VALU_DEP_1)
	v_clz_i32_u32_e32 v32, v14
	v_min_u32_e32 v32, 32, v32
	s_delay_alu instid0(VALU_DEP_1) | instskip(SKIP_1) | instid1(VALU_DEP_2)
	v_subrev_nc_u32_e32 v33, 28, v32
	v_sub_nc_u32_e32 v32, 29, v32
	v_lshlrev_b64_e32 v[52:53], v33, v[14:15]
	s_delay_alu instid0(VALU_DEP_1)
	v_and_b32_e32 v14, 7, v52
; %bb.500:                              ;   in Loop: Header=BB176_283 Depth=1
	s_or_b32 exec_lo, exec_lo, s17
	s_delay_alu instid0(VALU_DEP_1) | instskip(SKIP_1) | instid1(VALU_DEP_2)
	v_dual_lshlrev_b32 v33, 16, v64 :: v_dual_lshlrev_b32 v14, 20, v14
	v_lshl_add_u32 v32, v32, 23, 0x3c000000
	v_and_b32_e32 v33, 0x80000000, v33
	s_delay_alu instid0(VALU_DEP_1)
	v_or3_b32 v33, v14, v33, v32
	v_mov_b32_e32 v32, v15
.LBB176_501:                            ;   in Loop: Header=BB176_283 Depth=1
	s_or_b32 exec_lo, exec_lo, s16
.LBB176_502:                            ;   in Loop: Header=BB176_283 Depth=1
	s_delay_alu instid0(SALU_CYCLE_1)
	s_or_b32 exec_lo, exec_lo, s15
.LBB176_503:                            ;   in Loop: Header=BB176_283 Depth=1
	s_delay_alu instid0(SALU_CYCLE_1) | instskip(SKIP_4) | instid1(VALU_DEP_3)
	s_or_b32 exec_lo, exec_lo, s14
	v_lshrrev_b32_e32 v65, 16, v64
	v_mov_b64_e32 v[52:53], 0
	v_mov_b64_e32 v[54:55], 0
	s_mov_b32 s14, exec_lo
	v_and_b32_e32 v14, 0xff, v65
	s_delay_alu instid0(VALU_DEP_1)
	v_cmpx_ne_u16_e32 0, v14
	s_cbranch_execz .LBB176_511
; %bb.504:                              ;   in Loop: Header=BB176_283 Depth=1
	v_mov_b64_e32 v[54:55], 0x80000000
	s_mov_b32 s15, exec_lo
	v_cmpx_ne_u16_e32 0x80, v14
	s_cbranch_execz .LBB176_510
; %bb.505:                              ;   in Loop: Header=BB176_283 Depth=1
	v_mov_b64_e32 v[54:55], 0x7f800001
	v_bfe_u32 v66, v64, 16, 7
	s_mov_b32 s16, exec_lo
	s_delay_alu instid0(VALU_DEP_1)
	v_cmpx_ne_u32_e32 0x7f, v66
	s_cbranch_execz .LBB176_509
; %bb.506:                              ;   in Loop: Header=BB176_283 Depth=1
	v_dual_lshrrev_b32 v54, 3, v66 :: v_dual_bitop2_b32 v14, 7, v65 bitop3:0x40
	s_mov_b32 s17, exec_lo
	v_cmpx_gt_u32_e32 8, v66
; %bb.507:                              ;   in Loop: Header=BB176_283 Depth=1
	s_delay_alu instid0(VALU_DEP_2) | instskip(NEXT) | instid1(VALU_DEP_1)
	v_clz_i32_u32_e32 v54, v14
	v_min_u32_e32 v54, 32, v54
	s_delay_alu instid0(VALU_DEP_1) | instskip(SKIP_1) | instid1(VALU_DEP_2)
	v_subrev_nc_u32_e32 v55, 28, v54
	v_sub_nc_u32_e32 v54, 29, v54
	v_lshlrev_b64_e32 v[66:67], v55, v[14:15]
	s_delay_alu instid0(VALU_DEP_1)
	v_and_b32_e32 v14, 7, v66
; %bb.508:                              ;   in Loop: Header=BB176_283 Depth=1
	s_or_b32 exec_lo, exec_lo, s17
	s_delay_alu instid0(VALU_DEP_1) | instskip(SKIP_1) | instid1(VALU_DEP_2)
	v_dual_lshlrev_b32 v55, 24, v65 :: v_dual_lshlrev_b32 v14, 20, v14
	v_lshl_add_u32 v54, v54, 23, 0x3c000000
	v_and_b32_e32 v55, 0x80000000, v55
	s_delay_alu instid0(VALU_DEP_1) | instskip(NEXT) | instid1(VALU_DEP_1)
	v_or3_b32 v14, v14, v55, v54
	v_mov_b64_e32 v[54:55], v[14:15]
.LBB176_509:                            ;   in Loop: Header=BB176_283 Depth=1
	s_or_b32 exec_lo, exec_lo, s16
.LBB176_510:                            ;   in Loop: Header=BB176_283 Depth=1
	s_delay_alu instid0(SALU_CYCLE_1)
	s_or_b32 exec_lo, exec_lo, s15
.LBB176_511:                            ;   in Loop: Header=BB176_283 Depth=1
	s_delay_alu instid0(SALU_CYCLE_1) | instskip(NEXT) | instid1(SALU_CYCLE_1)
	s_or_b32 exec_lo, exec_lo, s14
	s_mov_b32 s14, exec_lo
	v_cmpx_lt_u32_e32 0xffffff, v64
	s_cbranch_execz .LBB176_519
; %bb.512:                              ;   in Loop: Header=BB176_283 Depth=1
	v_mov_b64_e32 v[52:53], 0x8000000000000000
	v_lshrrev_b32_e32 v65, 24, v64
	s_mov_b32 s15, exec_lo
	s_delay_alu instid0(VALU_DEP_1)
	v_cmpx_ne_u32_e32 0x80, v65
	s_cbranch_execz .LBB176_518
; %bb.513:                              ;   in Loop: Header=BB176_283 Depth=1
	v_mov_b64_e32 v[52:53], 0x7f80000100000000
	v_bfe_u32 v64, v64, 24, 7
	s_mov_b32 s16, exec_lo
	s_delay_alu instid0(VALU_DEP_1)
	v_cmpx_ne_u32_e32 0x7f, v64
	s_cbranch_execz .LBB176_517
; %bb.514:                              ;   in Loop: Header=BB176_283 Depth=1
	v_dual_lshrrev_b32 v52, 3, v64 :: v_dual_bitop2_b32 v14, 7, v65 bitop3:0x40
	s_mov_b32 s17, exec_lo
	v_cmpx_gt_u32_e32 8, v64
; %bb.515:                              ;   in Loop: Header=BB176_283 Depth=1
	s_delay_alu instid0(VALU_DEP_2) | instskip(NEXT) | instid1(VALU_DEP_1)
	v_clz_i32_u32_e32 v52, v14
	v_min_u32_e32 v52, 32, v52
	s_delay_alu instid0(VALU_DEP_1) | instskip(NEXT) | instid1(VALU_DEP_1)
	v_subrev_nc_u32_e32 v53, 28, v52
	v_lshlrev_b64_e32 v[66:67], v53, v[14:15]
	s_delay_alu instid0(VALU_DEP_1)
	v_dual_sub_nc_u32 v52, 29, v52 :: v_dual_bitop2_b32 v14, 7, v66 bitop3:0x40
; %bb.516:                              ;   in Loop: Header=BB176_283 Depth=1
	s_or_b32 exec_lo, exec_lo, s17
	s_delay_alu instid0(VALU_DEP_1) | instskip(NEXT) | instid1(VALU_DEP_2)
	v_dual_lshlrev_b32 v53, 24, v65 :: v_dual_lshlrev_b32 v14, 20, v14
	v_lshl_add_u32 v52, v52, 23, 0x3c000000
	s_delay_alu instid0(VALU_DEP_2) | instskip(NEXT) | instid1(VALU_DEP_1)
	v_and_b32_e32 v53, 0x80000000, v53
	v_or3_b32 v53, v14, v53, v52
	v_mov_b32_e32 v52, v15
.LBB176_517:                            ;   in Loop: Header=BB176_283 Depth=1
	s_or_b32 exec_lo, exec_lo, s16
.LBB176_518:                            ;   in Loop: Header=BB176_283 Depth=1
	s_delay_alu instid0(SALU_CYCLE_1)
	s_or_b32 exec_lo, exec_lo, s15
.LBB176_519:                            ;   in Loop: Header=BB176_283 Depth=1
	s_delay_alu instid0(SALU_CYCLE_1)
	s_or_b32 exec_lo, exec_lo, s14
	v_mov_b64_e32 v[64:65], s[6:7]
	v_or_b32_e32 v33, v33, v51
	v_or_b32_e32 v32, v32, v50
	v_or_b32_e32 v53, v53, v55
	v_or_b32_e32 v52, v52, v54
	s_delay_alu instid0(VALU_DEP_3) | instskip(NEXT) | instid1(VALU_DEP_2)
	v_pk_mul_f32 v[50:51], v[64:65], v[32:33]
	v_pk_mul_f32 v[32:33], v[64:65], v[52:53]
	s_and_saveexec_b32 s14, s0
	s_cbranch_execz .LBB176_521
; %bb.520:                              ;   in Loop: Header=BB176_283 Depth=1
	v_cmp_gt_i32_e64 s1, s23, v61
	s_delay_alu instid0(VALU_DEP_1) | instskip(NEXT) | instid1(VALU_DEP_1)
	v_dual_add_nc_u32 v14, 1, v61 :: v_dual_cndmask_b32 v50, 0, v50, s1
	v_cmp_gt_i32_e64 s1, s23, v14
	s_delay_alu instid0(VALU_DEP_1) | instskip(SKIP_1) | instid1(VALU_DEP_1)
	v_cndmask_b32_e64 v51, 0, v51, s1
	v_cmp_gt_i32_e64 s1, s23, v57
	v_cndmask_b32_e64 v32, 0, v32, s1
	v_cmp_gt_i32_e64 s1, s23, v56
	s_delay_alu instid0(VALU_DEP_1)
	v_cndmask_b32_e64 v33, 0, v33, s1
.LBB176_521:                            ;   in Loop: Header=BB176_283 Depth=1
	s_or_b32 exec_lo, exec_lo, s14
	s_and_saveexec_b32 s14, vcc_lo
	s_cbranch_execz .LBB176_282
; %bb.522:                              ;   in Loop: Header=BB176_283 Depth=1
	v_add_nc_u64_e32 v[26:27], v[26:27], v[18:19]
	v_mov_b64_e32 v[52:53], 0
	s_mov_b32 s15, exec_lo
	global_load_b32 v64, v[26:27], off
	s_wait_xcnt 0x0
	v_mov_b64_e32 v[26:27], 0
	s_wait_loadcnt 0x0
	v_and_b32_e32 v14, 0xff, v64
	s_delay_alu instid0(VALU_DEP_1)
	v_cmpx_ne_u16_e32 0, v14
	s_cbranch_execz .LBB176_530
; %bb.523:                              ;   in Loop: Header=BB176_283 Depth=1
	v_mov_b64_e32 v[52:53], 0x80000000
	s_mov_b32 s16, exec_lo
	v_cmpx_ne_u16_e32 0x80, v14
	s_cbranch_execz .LBB176_529
; %bb.524:                              ;   in Loop: Header=BB176_283 Depth=1
	v_mov_b64_e32 v[52:53], 0x7f800001
	v_and_b32_e32 v54, 0x7f, v64
	s_mov_b32 s17, exec_lo
	s_delay_alu instid0(VALU_DEP_1)
	v_cmpx_ne_u32_e32 0x7f, v54
	s_cbranch_execz .LBB176_528
; %bb.525:                              ;   in Loop: Header=BB176_283 Depth=1
	v_dual_lshrrev_b32 v52, 3, v54 :: v_dual_bitop2_b32 v14, 7, v64 bitop3:0x40
	s_mov_b32 s18, exec_lo
	v_cmpx_gt_u32_e32 8, v54
; %bb.526:                              ;   in Loop: Header=BB176_283 Depth=1
	s_delay_alu instid0(VALU_DEP_2) | instskip(NEXT) | instid1(VALU_DEP_1)
	v_clz_i32_u32_e32 v52, v14
	v_min_u32_e32 v52, 32, v52
	s_delay_alu instid0(VALU_DEP_1) | instskip(NEXT) | instid1(VALU_DEP_1)
	v_subrev_nc_u32_e32 v53, 28, v52
	v_lshlrev_b64_e32 v[54:55], v53, v[14:15]
	s_delay_alu instid0(VALU_DEP_1)
	v_dual_sub_nc_u32 v52, 29, v52 :: v_dual_bitop2_b32 v14, 7, v54 bitop3:0x40
; %bb.527:                              ;   in Loop: Header=BB176_283 Depth=1
	s_or_b32 exec_lo, exec_lo, s18
	s_delay_alu instid0(VALU_DEP_1) | instskip(NEXT) | instid1(VALU_DEP_2)
	v_dual_lshlrev_b32 v53, 24, v64 :: v_dual_lshlrev_b32 v14, 20, v14
	v_lshl_add_u32 v52, v52, 23, 0x3c000000
	s_delay_alu instid0(VALU_DEP_2) | instskip(NEXT) | instid1(VALU_DEP_1)
	v_and_b32_e32 v53, 0x80000000, v53
	v_or3_b32 v14, v14, v53, v52
	s_delay_alu instid0(VALU_DEP_1)
	v_mov_b64_e32 v[52:53], v[14:15]
.LBB176_528:                            ;   in Loop: Header=BB176_283 Depth=1
	s_or_b32 exec_lo, exec_lo, s17
.LBB176_529:                            ;   in Loop: Header=BB176_283 Depth=1
	s_delay_alu instid0(SALU_CYCLE_1)
	s_or_b32 exec_lo, exec_lo, s16
.LBB176_530:                            ;   in Loop: Header=BB176_283 Depth=1
	s_delay_alu instid0(SALU_CYCLE_1) | instskip(SKIP_2) | instid1(VALU_DEP_1)
	s_or_b32 exec_lo, exec_lo, s15
	v_lshrrev_b16 v14, 8, v64
	s_mov_b32 s15, exec_lo
	v_cmpx_ne_u16_e32 0, v14
	s_cbranch_execz .LBB176_538
; %bb.531:                              ;   in Loop: Header=BB176_283 Depth=1
	v_mov_b64_e32 v[26:27], 0x8000000000000000
	s_mov_b32 s16, exec_lo
	v_cmpx_ne_u16_e32 0x80, v14
	s_cbranch_execz .LBB176_537
; %bb.532:                              ;   in Loop: Header=BB176_283 Depth=1
	v_and_b32_e32 v14, 0xffff, v14
	v_mov_b64_e32 v[26:27], 0x7f80000100000000
	s_mov_b32 s17, exec_lo
	s_delay_alu instid0(VALU_DEP_2) | instskip(NEXT) | instid1(VALU_DEP_1)
	v_and_b32_e32 v54, 0x7f, v14
	v_cmpx_ne_u32_e32 0x7f, v54
	s_cbranch_execz .LBB176_536
; %bb.533:                              ;   in Loop: Header=BB176_283 Depth=1
	v_and_b32_e32 v14, 7, v14
	v_lshrrev_b32_e32 v26, 3, v54
	s_mov_b32 s18, exec_lo
	v_cmpx_gt_u32_e32 8, v54
; %bb.534:                              ;   in Loop: Header=BB176_283 Depth=1
	s_delay_alu instid0(VALU_DEP_3) | instskip(NEXT) | instid1(VALU_DEP_1)
	v_clz_i32_u32_e32 v26, v14
	v_min_u32_e32 v26, 32, v26
	s_delay_alu instid0(VALU_DEP_1) | instskip(SKIP_1) | instid1(VALU_DEP_2)
	v_subrev_nc_u32_e32 v27, 28, v26
	v_sub_nc_u32_e32 v26, 29, v26
	v_lshlrev_b64_e32 v[54:55], v27, v[14:15]
	s_delay_alu instid0(VALU_DEP_1)
	v_and_b32_e32 v14, 7, v54
; %bb.535:                              ;   in Loop: Header=BB176_283 Depth=1
	s_or_b32 exec_lo, exec_lo, s18
	s_delay_alu instid0(VALU_DEP_1) | instskip(SKIP_1) | instid1(VALU_DEP_2)
	v_dual_lshlrev_b32 v27, 16, v64 :: v_dual_lshlrev_b32 v14, 20, v14
	v_lshl_add_u32 v26, v26, 23, 0x3c000000
	v_and_b32_e32 v27, 0x80000000, v27
	s_delay_alu instid0(VALU_DEP_1)
	v_or3_b32 v27, v14, v27, v26
	v_mov_b32_e32 v26, v15
.LBB176_536:                            ;   in Loop: Header=BB176_283 Depth=1
	s_or_b32 exec_lo, exec_lo, s17
.LBB176_537:                            ;   in Loop: Header=BB176_283 Depth=1
	s_delay_alu instid0(SALU_CYCLE_1)
	s_or_b32 exec_lo, exec_lo, s16
.LBB176_538:                            ;   in Loop: Header=BB176_283 Depth=1
	s_delay_alu instid0(SALU_CYCLE_1) | instskip(SKIP_4) | instid1(VALU_DEP_3)
	s_or_b32 exec_lo, exec_lo, s15
	v_lshrrev_b32_e32 v65, 16, v64
	v_mov_b64_e32 v[54:55], 0
	v_mov_b64_e32 v[56:57], 0
	s_mov_b32 s15, exec_lo
	v_and_b32_e32 v14, 0xff, v65
	s_delay_alu instid0(VALU_DEP_1)
	v_cmpx_ne_u16_e32 0, v14
	s_cbranch_execz .LBB176_546
; %bb.539:                              ;   in Loop: Header=BB176_283 Depth=1
	v_mov_b64_e32 v[56:57], 0x80000000
	s_mov_b32 s16, exec_lo
	v_cmpx_ne_u16_e32 0x80, v14
	s_cbranch_execz .LBB176_545
; %bb.540:                              ;   in Loop: Header=BB176_283 Depth=1
	v_mov_b64_e32 v[56:57], 0x7f800001
	v_bfe_u32 v66, v64, 16, 7
	s_mov_b32 s17, exec_lo
	s_delay_alu instid0(VALU_DEP_1)
	v_cmpx_ne_u32_e32 0x7f, v66
	s_cbranch_execz .LBB176_544
; %bb.541:                              ;   in Loop: Header=BB176_283 Depth=1
	v_dual_lshrrev_b32 v56, 3, v66 :: v_dual_bitop2_b32 v14, 7, v65 bitop3:0x40
	s_mov_b32 s18, exec_lo
	v_cmpx_gt_u32_e32 8, v66
; %bb.542:                              ;   in Loop: Header=BB176_283 Depth=1
	s_delay_alu instid0(VALU_DEP_2) | instskip(NEXT) | instid1(VALU_DEP_1)
	v_clz_i32_u32_e32 v56, v14
	v_min_u32_e32 v56, 32, v56
	s_delay_alu instid0(VALU_DEP_1) | instskip(NEXT) | instid1(VALU_DEP_1)
	v_subrev_nc_u32_e32 v57, 28, v56
	v_lshlrev_b64_e32 v[66:67], v57, v[14:15]
	s_delay_alu instid0(VALU_DEP_1)
	v_dual_sub_nc_u32 v56, 29, v56 :: v_dual_bitop2_b32 v14, 7, v66 bitop3:0x40
; %bb.543:                              ;   in Loop: Header=BB176_283 Depth=1
	s_or_b32 exec_lo, exec_lo, s18
	s_delay_alu instid0(VALU_DEP_1) | instskip(NEXT) | instid1(VALU_DEP_2)
	v_dual_lshlrev_b32 v57, 24, v65 :: v_dual_lshlrev_b32 v14, 20, v14
	v_lshl_add_u32 v56, v56, 23, 0x3c000000
	s_delay_alu instid0(VALU_DEP_2) | instskip(NEXT) | instid1(VALU_DEP_1)
	v_and_b32_e32 v57, 0x80000000, v57
	v_or3_b32 v14, v14, v57, v56
	s_delay_alu instid0(VALU_DEP_1)
	v_mov_b64_e32 v[56:57], v[14:15]
.LBB176_544:                            ;   in Loop: Header=BB176_283 Depth=1
	s_or_b32 exec_lo, exec_lo, s17
.LBB176_545:                            ;   in Loop: Header=BB176_283 Depth=1
	s_delay_alu instid0(SALU_CYCLE_1)
	s_or_b32 exec_lo, exec_lo, s16
.LBB176_546:                            ;   in Loop: Header=BB176_283 Depth=1
	s_delay_alu instid0(SALU_CYCLE_1) | instskip(NEXT) | instid1(SALU_CYCLE_1)
	s_or_b32 exec_lo, exec_lo, s15
	s_mov_b32 s15, exec_lo
	v_cmpx_lt_u32_e32 0xffffff, v64
	s_cbranch_execz .LBB176_554
; %bb.547:                              ;   in Loop: Header=BB176_283 Depth=1
	v_mov_b64_e32 v[54:55], 0x8000000000000000
	v_lshrrev_b32_e32 v65, 24, v64
	s_mov_b32 s16, exec_lo
	s_delay_alu instid0(VALU_DEP_1)
	v_cmpx_ne_u32_e32 0x80, v65
	s_cbranch_execz .LBB176_553
; %bb.548:                              ;   in Loop: Header=BB176_283 Depth=1
	v_mov_b64_e32 v[54:55], 0x7f80000100000000
	v_bfe_u32 v64, v64, 24, 7
	s_mov_b32 s17, exec_lo
	s_delay_alu instid0(VALU_DEP_1)
	v_cmpx_ne_u32_e32 0x7f, v64
	s_cbranch_execz .LBB176_552
; %bb.549:                              ;   in Loop: Header=BB176_283 Depth=1
	v_dual_lshrrev_b32 v54, 3, v64 :: v_dual_bitop2_b32 v14, 7, v65 bitop3:0x40
	s_mov_b32 s18, exec_lo
	v_cmpx_gt_u32_e32 8, v64
; %bb.550:                              ;   in Loop: Header=BB176_283 Depth=1
	s_delay_alu instid0(VALU_DEP_2) | instskip(NEXT) | instid1(VALU_DEP_1)
	v_clz_i32_u32_e32 v54, v14
	v_min_u32_e32 v54, 32, v54
	s_delay_alu instid0(VALU_DEP_1) | instskip(SKIP_1) | instid1(VALU_DEP_2)
	v_subrev_nc_u32_e32 v55, 28, v54
	v_sub_nc_u32_e32 v54, 29, v54
	v_lshlrev_b64_e32 v[66:67], v55, v[14:15]
	s_delay_alu instid0(VALU_DEP_1)
	v_and_b32_e32 v14, 7, v66
; %bb.551:                              ;   in Loop: Header=BB176_283 Depth=1
	s_or_b32 exec_lo, exec_lo, s18
	s_delay_alu instid0(VALU_DEP_1) | instskip(SKIP_1) | instid1(VALU_DEP_2)
	v_dual_lshlrev_b32 v55, 24, v65 :: v_dual_lshlrev_b32 v14, 20, v14
	v_lshl_add_u32 v54, v54, 23, 0x3c000000
	v_and_b32_e32 v55, 0x80000000, v55
	s_delay_alu instid0(VALU_DEP_1)
	v_or3_b32 v55, v14, v55, v54
	v_mov_b32_e32 v54, v15
.LBB176_552:                            ;   in Loop: Header=BB176_283 Depth=1
	s_or_b32 exec_lo, exec_lo, s17
.LBB176_553:                            ;   in Loop: Header=BB176_283 Depth=1
	s_delay_alu instid0(SALU_CYCLE_1)
	s_or_b32 exec_lo, exec_lo, s16
.LBB176_554:                            ;   in Loop: Header=BB176_283 Depth=1
	s_delay_alu instid0(SALU_CYCLE_1)
	s_or_b32 exec_lo, exec_lo, s15
	v_or_b32_e32 v27, v27, v53
	v_or_b32_e32 v26, v26, v52
	v_mov_b64_e32 v[52:53], s[6:7]
	v_or_b32_e32 v55, v55, v57
	v_or_b32_e32 v54, v54, v56
	s_delay_alu instid0(VALU_DEP_3) | instskip(NEXT) | instid1(VALU_DEP_2)
	v_pk_mul_f32 v[26:27], v[52:53], v[26:27]
	v_pk_mul_f32 v[52:53], v[52:53], v[54:55]
	s_and_saveexec_b32 s1, s0
	s_cbranch_execz .LBB176_281
; %bb.555:                              ;   in Loop: Header=BB176_283 Depth=1
	v_dual_add_nc_u32 v14, 1, v61 :: v_dual_bitop2_b32 v54, 3, v61 bitop3:0x54
	s_delay_alu instid0(VALU_DEP_1) | instskip(NEXT) | instid1(VALU_DEP_1)
	v_cmp_gt_i32_e64 s0, s11, v14
	v_dual_cndmask_b32 v27, 0, v27, s0 :: v_dual_bitop2_b32 v55, 2, v61 bitop3:0x54
	v_cmp_gt_i32_e64 s0, s23, v61
	s_delay_alu instid0(VALU_DEP_1) | instskip(SKIP_1) | instid1(VALU_DEP_1)
	v_cndmask_b32_e64 v26, 0, v26, s0
	v_cmp_gt_i32_e64 s0, s11, v54
	v_cndmask_b32_e64 v53, 0, v53, s0
	v_cmp_gt_i32_e64 s0, s23, v55
	s_delay_alu instid0(VALU_DEP_1)
	v_cndmask_b32_e64 v52, 0, v52, s0
	s_branch .LBB176_281
.LBB176_556:
	s_or_b32 exec_lo, exec_lo, s10
.LBB176_557:
	s_delay_alu instid0(SALU_CYCLE_1)
	s_or_b32 exec_lo, exec_lo, s24
	ds_bpermute_b32 v2, v59, v12
	ds_bpermute_b32 v3, v59, v13
	;; [unrolled: 1-line block ×8, first 2 shown]
	s_movk_i32 s0, 0x1e0
	v_and_b32_e32 v18, 0x3c0, v0
	v_mad_u32_u24 v1, v1, s0, 0x200
	s_mov_b32 s1, exec_lo
	v_cmp_eq_u32_e32 vcc_lo, 0, v60
	s_wait_dscnt 0x0
	s_barrier_signal -1
	s_barrier_wait -1
	v_pk_add_f32 v[12:13], v[12:13], v[2:3]
	v_pk_add_f32 v[10:11], v[10:11], v[4:5]
	;; [unrolled: 1-line block ×4, first 2 shown]
	v_cmpx_eq_u32_e32 64, v18
	s_cbranch_execz .LBB176_562
; %bb.558:
	v_add_nc_u32_e32 v6, 0xfffffc40, v1
	s_and_saveexec_b32 s0, vcc_lo
	s_cbranch_execz .LBB176_560
; %bb.559:
	s_delay_alu instid0(VALU_DEP_1)
	v_lshl_add_u32 v7, v58, 2, v6
	ds_store_2addr_b32 v7, v12, v13 offset1:16
	ds_store_2addr_b32 v7, v10, v11 offset0:32 offset1:48
	ds_store_2addr_b32 v7, v4, v5 offset0:64 offset1:80
	ds_store_b32 v7, v2 offset:384
.LBB176_560:
	s_or_b32 exec_lo, exec_lo, s0
	v_or_b32_e32 v7, 0x70, v58
	s_delay_alu instid0(VALU_DEP_1) | instskip(SKIP_1) | instid1(SALU_CYCLE_1)
	v_cmp_gt_u32_e64 s0, 0x78, v7
	s_and_b32 s0, vcc_lo, s0
	s_and_b32 exec_lo, exec_lo, s0
; %bb.561:
	v_lshl_add_u32 v6, v7, 2, v6
	ds_store_b32 v6, v3
.LBB176_562:
	s_or_b32 exec_lo, exec_lo, s1
	s_delay_alu instid0(SALU_CYCLE_1)
	s_mov_b32 s1, exec_lo
	s_wait_dscnt 0x0
	s_barrier_signal -1
	s_barrier_wait -1
	v_cmpx_gt_u32_e32 64, v0
	s_cbranch_execz .LBB176_574
; %bb.563:
	s_and_saveexec_b32 s0, vcc_lo
	s_cbranch_execnz .LBB176_597
; %bb.564:
	s_or_b32 exec_lo, exec_lo, s0
	s_and_saveexec_b32 s0, vcc_lo
	s_cbranch_execnz .LBB176_598
.LBB176_565:
	s_or_b32 exec_lo, exec_lo, s0
	s_and_saveexec_b32 s0, vcc_lo
	s_cbranch_execnz .LBB176_599
.LBB176_566:
	s_or_b32 exec_lo, exec_lo, s0
	s_and_saveexec_b32 s0, vcc_lo
	s_cbranch_execnz .LBB176_600
.LBB176_567:
	s_or_b32 exec_lo, exec_lo, s0
	s_and_saveexec_b32 s0, vcc_lo
	s_cbranch_execnz .LBB176_601
.LBB176_568:
	s_or_b32 exec_lo, exec_lo, s0
	s_and_saveexec_b32 s0, vcc_lo
	s_cbranch_execnz .LBB176_602
.LBB176_569:
	s_or_b32 exec_lo, exec_lo, s0
	s_and_saveexec_b32 s0, vcc_lo
	s_cbranch_execz .LBB176_571
.LBB176_570:
	v_lshl_add_u32 v6, v58, 2, v1
	ds_load_b32 v6, v6 offset:384
	s_wait_dscnt 0x0
	v_add_f32_e32 v2, v2, v6
.LBB176_571:
	s_or_b32 exec_lo, exec_lo, s0
	v_or_b32_e32 v6, 0x70, v58
	s_delay_alu instid0(VALU_DEP_1) | instskip(SKIP_1) | instid1(SALU_CYCLE_1)
	v_cmp_gt_u32_e64 s0, 0x78, v6
	s_and_b32 s2, vcc_lo, s0
	s_and_saveexec_b32 s0, s2
	s_cbranch_execz .LBB176_573
; %bb.572:
	v_lshl_add_u32 v6, v58, 2, v1
	ds_load_b32 v6, v6 offset:448
	s_wait_dscnt 0x0
	v_add_f32_e32 v3, v3, v6
.LBB176_573:
	s_or_b32 exec_lo, exec_lo, s0
.LBB176_574:
	s_delay_alu instid0(SALU_CYCLE_1) | instskip(SKIP_4) | instid1(VALU_DEP_1)
	s_or_b32 exec_lo, exec_lo, s1
	v_and_b32_e32 v6, 0x3e0, v0
	s_mov_b32 s1, exec_lo
	s_barrier_signal -1
	s_barrier_wait -1
	v_cmpx_eq_u32_e32 32, v6
	s_cbranch_execz .LBB176_579
; %bb.575:
	v_lshl_add_u32 v6, v58, 2, 0x200
	s_and_saveexec_b32 s0, vcc_lo
	s_cbranch_execz .LBB176_577
; %bb.576:
	ds_store_2addr_b32 v6, v12, v13 offset1:16
	ds_store_2addr_b32 v6, v10, v11 offset0:32 offset1:48
	ds_store_2addr_b32 v6, v4, v5 offset0:64 offset1:80
	ds_store_b32 v6, v2 offset:384
.LBB176_577:
	s_or_b32 exec_lo, exec_lo, s0
	v_or_b32_e32 v7, 0x70, v58
	s_delay_alu instid0(VALU_DEP_1) | instskip(SKIP_1) | instid1(SALU_CYCLE_1)
	v_cmp_gt_u32_e64 s0, 0x78, v7
	s_and_b32 s0, vcc_lo, s0
	s_and_b32 exec_lo, exec_lo, s0
; %bb.578:
	ds_store_b32 v6, v3 offset:448
.LBB176_579:
	s_or_b32 exec_lo, exec_lo, s1
	v_cmp_gt_u32_e64 s0, 32, v0
	s_wait_dscnt 0x0
	s_barrier_signal -1
	s_barrier_wait -1
	s_and_saveexec_b32 s2, s0
	s_cbranch_execz .LBB176_591
; %bb.580:
	v_lshl_add_u32 v1, v58, 2, v1
	s_and_saveexec_b32 s1, vcc_lo
	s_cbranch_execnz .LBB176_603
; %bb.581:
	s_or_b32 exec_lo, exec_lo, s1
	s_and_saveexec_b32 s1, vcc_lo
	s_cbranch_execnz .LBB176_604
.LBB176_582:
	s_or_b32 exec_lo, exec_lo, s1
	s_and_saveexec_b32 s1, vcc_lo
	s_cbranch_execnz .LBB176_605
.LBB176_583:
	s_or_b32 exec_lo, exec_lo, s1
	s_and_saveexec_b32 s1, vcc_lo
	s_cbranch_execnz .LBB176_606
.LBB176_584:
	s_or_b32 exec_lo, exec_lo, s1
	s_and_saveexec_b32 s1, vcc_lo
	s_cbranch_execnz .LBB176_607
.LBB176_585:
	s_or_b32 exec_lo, exec_lo, s1
	s_and_saveexec_b32 s1, vcc_lo
	s_cbranch_execnz .LBB176_608
.LBB176_586:
	s_or_b32 exec_lo, exec_lo, s1
	s_and_saveexec_b32 s1, vcc_lo
	s_cbranch_execz .LBB176_588
.LBB176_587:
	ds_load_b32 v6, v1 offset:384
	s_wait_dscnt 0x0
	v_add_f32_e32 v2, v2, v6
.LBB176_588:
	s_or_b32 exec_lo, exec_lo, s1
	v_or_b32_e32 v6, 0x70, v58
	s_delay_alu instid0(VALU_DEP_1) | instskip(SKIP_1) | instid1(SALU_CYCLE_1)
	v_cmp_gt_u32_e64 s1, 0x78, v6
	s_and_b32 s3, vcc_lo, s1
	s_and_saveexec_b32 s1, s3
	s_cbranch_execz .LBB176_590
; %bb.589:
	ds_load_b32 v1, v1 offset:448
	s_wait_dscnt 0x0
	v_add_f32_e32 v3, v3, v1
.LBB176_590:
	s_or_b32 exec_lo, exec_lo, s1
.LBB176_591:
	s_delay_alu instid0(SALU_CYCLE_1)
	s_or_b32 exec_lo, exec_lo, s2
	s_barrier_signal -1
	s_barrier_wait -1
	s_and_saveexec_b32 s1, s0
	s_cbranch_execz .LBB176_596
; %bb.592:
	s_mul_i32 s1, s22, s8
	s_bfe_u32 s7, ttmp6, 0x40014
	s_mul_i32 s1, s1, s21
	s_mul_i32 s0, s8, s12
	;; [unrolled: 1-line block ×3, first 2 shown]
	s_lshr_b32 s6, ttmp7, 16
	s_ashr_i32 s3, s2, 31
	s_add_co_i32 s7, s7, 1
	s_lshl_b64 s[2:3], s[2:3], 2
	s_ashr_i32 s1, s0, 31
	s_wait_kmcnt 0x0
	s_add_nc_u64 s[2:3], s[4:5], s[2:3]
	s_mul_i32 s4, s6, s7
	s_bfe_u32 s5, ttmp6, 0x40008
	s_lshl_b64 s[0:1], s[0:1], 2
	s_add_co_i32 s5, s5, s4
	s_cmp_eq_u32 s20, 0
	s_add_nc_u64 s[0:1], s[2:3], s[0:1]
	s_cselect_b32 s2, s6, s5
	v_lshrrev_b32_e32 v0, 1, v0
	s_mov_b32 s3, 0
	s_mulk_i32 s2, 0x1e0
	s_delay_alu instid0(SALU_CYCLE_1)
	s_add_nc_u64 s[2:3], s[0:1], s[2:3]
	s_and_saveexec_b32 s0, vcc_lo
	s_cbranch_execz .LBB176_594
; %bb.593:
	s_clause 0x6
	global_store_b32 v0, v12, s[2:3] scale_offset
	global_store_b32 v0, v13, s[2:3] offset:64 scale_offset
	global_store_b32 v0, v10, s[2:3] offset:128 scale_offset
	;; [unrolled: 1-line block ×6, first 2 shown]
.LBB176_594:
	s_wait_xcnt 0x0
	s_or_b32 exec_lo, exec_lo, s0
	v_or_b32_e32 v1, 0x70, v0
	s_delay_alu instid0(VALU_DEP_1) | instskip(SKIP_1) | instid1(SALU_CYCLE_1)
	v_cmp_gt_u32_e64 s0, 0x78, v1
	s_and_b32 s0, vcc_lo, s0
	s_and_b32 exec_lo, exec_lo, s0
	s_cbranch_execz .LBB176_596
; %bb.595:
	global_store_b32 v0, v3, s[2:3] offset:448 scale_offset
.LBB176_596:
	s_sendmsg sendmsg(MSG_DEALLOC_VGPRS)
	s_endpgm
.LBB176_597:
	v_lshl_add_u32 v6, v58, 2, v1
	ds_load_b32 v6, v6
	s_wait_dscnt 0x0
	v_add_f32_e32 v12, v12, v6
	s_or_b32 exec_lo, exec_lo, s0
	s_and_saveexec_b32 s0, vcc_lo
	s_cbranch_execz .LBB176_565
.LBB176_598:
	v_lshl_add_u32 v6, v58, 2, v1
	ds_load_b32 v6, v6 offset:64
	s_wait_dscnt 0x0
	v_add_f32_e32 v13, v13, v6
	s_or_b32 exec_lo, exec_lo, s0
	s_and_saveexec_b32 s0, vcc_lo
	s_cbranch_execz .LBB176_566
.LBB176_599:
	v_lshl_add_u32 v6, v58, 2, v1
	ds_load_b32 v6, v6 offset:128
	s_wait_dscnt 0x0
	v_add_f32_e32 v10, v10, v6
	s_or_b32 exec_lo, exec_lo, s0
	s_and_saveexec_b32 s0, vcc_lo
	s_cbranch_execz .LBB176_567
.LBB176_600:
	v_lshl_add_u32 v6, v58, 2, v1
	ds_load_b32 v6, v6 offset:192
	s_wait_dscnt 0x0
	v_add_f32_e32 v11, v11, v6
	s_or_b32 exec_lo, exec_lo, s0
	s_and_saveexec_b32 s0, vcc_lo
	s_cbranch_execz .LBB176_568
.LBB176_601:
	v_lshl_add_u32 v6, v58, 2, v1
	ds_load_b32 v6, v6 offset:256
	s_wait_dscnt 0x0
	v_add_f32_e32 v4, v4, v6
	s_or_b32 exec_lo, exec_lo, s0
	s_and_saveexec_b32 s0, vcc_lo
	s_cbranch_execz .LBB176_569
.LBB176_602:
	v_lshl_add_u32 v6, v58, 2, v1
	ds_load_b32 v6, v6 offset:320
	s_wait_dscnt 0x0
	v_add_f32_e32 v5, v5, v6
	s_or_b32 exec_lo, exec_lo, s0
	s_and_saveexec_b32 s0, vcc_lo
	s_cbranch_execnz .LBB176_570
	s_branch .LBB176_571
.LBB176_603:
	ds_load_b32 v6, v1
	s_wait_dscnt 0x0
	v_add_f32_e32 v12, v12, v6
	s_or_b32 exec_lo, exec_lo, s1
	s_and_saveexec_b32 s1, vcc_lo
	s_cbranch_execz .LBB176_582
.LBB176_604:
	ds_load_b32 v6, v1 offset:64
	s_wait_dscnt 0x0
	v_add_f32_e32 v13, v13, v6
	s_or_b32 exec_lo, exec_lo, s1
	s_and_saveexec_b32 s1, vcc_lo
	s_cbranch_execz .LBB176_583
.LBB176_605:
	ds_load_b32 v6, v1 offset:128
	s_wait_dscnt 0x0
	v_add_f32_e32 v10, v10, v6
	s_or_b32 exec_lo, exec_lo, s1
	s_and_saveexec_b32 s1, vcc_lo
	s_cbranch_execz .LBB176_584
.LBB176_606:
	ds_load_b32 v6, v1 offset:192
	s_wait_dscnt 0x0
	v_add_f32_e32 v11, v11, v6
	s_or_b32 exec_lo, exec_lo, s1
	s_and_saveexec_b32 s1, vcc_lo
	s_cbranch_execz .LBB176_585
.LBB176_607:
	ds_load_b32 v6, v1 offset:256
	s_wait_dscnt 0x0
	v_add_f32_e32 v4, v4, v6
	s_or_b32 exec_lo, exec_lo, s1
	s_and_saveexec_b32 s1, vcc_lo
	s_cbranch_execz .LBB176_586
.LBB176_608:
	ds_load_b32 v6, v1 offset:320
	s_wait_dscnt 0x0
	v_add_f32_e32 v5, v5, v6
	s_or_b32 exec_lo, exec_lo, s1
	s_and_saveexec_b32 s1, vcc_lo
	s_cbranch_execnz .LBB176_587
	s_branch .LBB176_588
	.section	.rodata,"a",@progbits
	.p2align	6, 0x0
	.amdhsa_kernel _ZN4vllm25paged_attention_v1_kernelIfhLi120ELi8ELi128ELNS_18Fp8KVCacheDataTypeE1ELb0EEEvPT_PKS2_PKT0_S8_ifPKiSA_iPKfiiiSC_SC_iiiii
		.amdhsa_group_segment_fixed_size 512
		.amdhsa_private_segment_fixed_size 0
		.amdhsa_kernarg_size 384
		.amdhsa_user_sgpr_count 2
		.amdhsa_user_sgpr_dispatch_ptr 0
		.amdhsa_user_sgpr_queue_ptr 0
		.amdhsa_user_sgpr_kernarg_segment_ptr 1
		.amdhsa_user_sgpr_dispatch_id 0
		.amdhsa_user_sgpr_kernarg_preload_length 0
		.amdhsa_user_sgpr_kernarg_preload_offset 0
		.amdhsa_user_sgpr_private_segment_size 0
		.amdhsa_wavefront_size32 1
		.amdhsa_uses_dynamic_stack 0
		.amdhsa_enable_private_segment 0
		.amdhsa_system_sgpr_workgroup_id_x 1
		.amdhsa_system_sgpr_workgroup_id_y 1
		.amdhsa_system_sgpr_workgroup_id_z 1
		.amdhsa_system_sgpr_workgroup_info 0
		.amdhsa_system_vgpr_workitem_id 0
		.amdhsa_next_free_vgpr 82
		.amdhsa_next_free_sgpr 31
		.amdhsa_named_barrier_count 0
		.amdhsa_reserve_vcc 1
		.amdhsa_float_round_mode_32 0
		.amdhsa_float_round_mode_16_64 0
		.amdhsa_float_denorm_mode_32 3
		.amdhsa_float_denorm_mode_16_64 3
		.amdhsa_fp16_overflow 0
		.amdhsa_memory_ordered 1
		.amdhsa_forward_progress 1
		.amdhsa_inst_pref_size 160
		.amdhsa_round_robin_scheduling 0
		.amdhsa_exception_fp_ieee_invalid_op 0
		.amdhsa_exception_fp_denorm_src 0
		.amdhsa_exception_fp_ieee_div_zero 0
		.amdhsa_exception_fp_ieee_overflow 0
		.amdhsa_exception_fp_ieee_underflow 0
		.amdhsa_exception_fp_ieee_inexact 0
		.amdhsa_exception_int_div_zero 0
	.end_amdhsa_kernel
	.section	.text._ZN4vllm25paged_attention_v1_kernelIfhLi120ELi8ELi128ELNS_18Fp8KVCacheDataTypeE1ELb0EEEvPT_PKS2_PKT0_S8_ifPKiSA_iPKfiiiSC_SC_iiiii,"axG",@progbits,_ZN4vllm25paged_attention_v1_kernelIfhLi120ELi8ELi128ELNS_18Fp8KVCacheDataTypeE1ELb0EEEvPT_PKS2_PKT0_S8_ifPKiSA_iPKfiiiSC_SC_iiiii,comdat
.Lfunc_end176:
	.size	_ZN4vllm25paged_attention_v1_kernelIfhLi120ELi8ELi128ELNS_18Fp8KVCacheDataTypeE1ELb0EEEvPT_PKS2_PKT0_S8_ifPKiSA_iPKfiiiSC_SC_iiiii, .Lfunc_end176-_ZN4vllm25paged_attention_v1_kernelIfhLi120ELi8ELi128ELNS_18Fp8KVCacheDataTypeE1ELb0EEEvPT_PKS2_PKT0_S8_ifPKiSA_iPKfiiiSC_SC_iiiii
                                        ; -- End function
	.set _ZN4vllm25paged_attention_v1_kernelIfhLi120ELi8ELi128ELNS_18Fp8KVCacheDataTypeE1ELb0EEEvPT_PKS2_PKT0_S8_ifPKiSA_iPKfiiiSC_SC_iiiii.num_vgpr, 82
	.set _ZN4vllm25paged_attention_v1_kernelIfhLi120ELi8ELi128ELNS_18Fp8KVCacheDataTypeE1ELb0EEEvPT_PKS2_PKT0_S8_ifPKiSA_iPKfiiiSC_SC_iiiii.num_agpr, 0
	.set _ZN4vllm25paged_attention_v1_kernelIfhLi120ELi8ELi128ELNS_18Fp8KVCacheDataTypeE1ELb0EEEvPT_PKS2_PKT0_S8_ifPKiSA_iPKfiiiSC_SC_iiiii.numbered_sgpr, 31
	.set _ZN4vllm25paged_attention_v1_kernelIfhLi120ELi8ELi128ELNS_18Fp8KVCacheDataTypeE1ELb0EEEvPT_PKS2_PKT0_S8_ifPKiSA_iPKfiiiSC_SC_iiiii.num_named_barrier, 0
	.set _ZN4vllm25paged_attention_v1_kernelIfhLi120ELi8ELi128ELNS_18Fp8KVCacheDataTypeE1ELb0EEEvPT_PKS2_PKT0_S8_ifPKiSA_iPKfiiiSC_SC_iiiii.private_seg_size, 0
	.set _ZN4vllm25paged_attention_v1_kernelIfhLi120ELi8ELi128ELNS_18Fp8KVCacheDataTypeE1ELb0EEEvPT_PKS2_PKT0_S8_ifPKiSA_iPKfiiiSC_SC_iiiii.uses_vcc, 1
	.set _ZN4vllm25paged_attention_v1_kernelIfhLi120ELi8ELi128ELNS_18Fp8KVCacheDataTypeE1ELb0EEEvPT_PKS2_PKT0_S8_ifPKiSA_iPKfiiiSC_SC_iiiii.uses_flat_scratch, 0
	.set _ZN4vllm25paged_attention_v1_kernelIfhLi120ELi8ELi128ELNS_18Fp8KVCacheDataTypeE1ELb0EEEvPT_PKS2_PKT0_S8_ifPKiSA_iPKfiiiSC_SC_iiiii.has_dyn_sized_stack, 0
	.set _ZN4vllm25paged_attention_v1_kernelIfhLi120ELi8ELi128ELNS_18Fp8KVCacheDataTypeE1ELb0EEEvPT_PKS2_PKT0_S8_ifPKiSA_iPKfiiiSC_SC_iiiii.has_recursion, 0
	.set _ZN4vllm25paged_attention_v1_kernelIfhLi120ELi8ELi128ELNS_18Fp8KVCacheDataTypeE1ELb0EEEvPT_PKS2_PKT0_S8_ifPKiSA_iPKfiiiSC_SC_iiiii.has_indirect_call, 0
	.section	.AMDGPU.csdata,"",@progbits
; Kernel info:
; codeLenInByte = 20428
; TotalNumSgprs: 33
; NumVgprs: 82
; ScratchSize: 0
; MemoryBound: 0
; FloatMode: 240
; IeeeMode: 1
; LDSByteSize: 512 bytes/workgroup (compile time only)
; SGPRBlocks: 0
; VGPRBlocks: 5
; NumSGPRsForWavesPerEU: 33
; NumVGPRsForWavesPerEU: 82
; NamedBarCnt: 0
; Occupancy: 10
; WaveLimiterHint : 1
; COMPUTE_PGM_RSRC2:SCRATCH_EN: 0
; COMPUTE_PGM_RSRC2:USER_SGPR: 2
; COMPUTE_PGM_RSRC2:TRAP_HANDLER: 0
; COMPUTE_PGM_RSRC2:TGID_X_EN: 1
; COMPUTE_PGM_RSRC2:TGID_Y_EN: 1
; COMPUTE_PGM_RSRC2:TGID_Z_EN: 1
; COMPUTE_PGM_RSRC2:TIDIG_COMP_CNT: 0
	.section	.text._ZN4vllm25paged_attention_v1_kernelIfhLi128ELi8ELi128ELNS_18Fp8KVCacheDataTypeE1ELb0EEEvPT_PKS2_PKT0_S8_ifPKiSA_iPKfiiiSC_SC_iiiii,"axG",@progbits,_ZN4vllm25paged_attention_v1_kernelIfhLi128ELi8ELi128ELNS_18Fp8KVCacheDataTypeE1ELb0EEEvPT_PKS2_PKT0_S8_ifPKiSA_iPKfiiiSC_SC_iiiii,comdat
	.protected	_ZN4vllm25paged_attention_v1_kernelIfhLi128ELi8ELi128ELNS_18Fp8KVCacheDataTypeE1ELb0EEEvPT_PKS2_PKT0_S8_ifPKiSA_iPKfiiiSC_SC_iiiii ; -- Begin function _ZN4vllm25paged_attention_v1_kernelIfhLi128ELi8ELi128ELNS_18Fp8KVCacheDataTypeE1ELb0EEEvPT_PKS2_PKT0_S8_ifPKiSA_iPKfiiiSC_SC_iiiii
	.globl	_ZN4vllm25paged_attention_v1_kernelIfhLi128ELi8ELi128ELNS_18Fp8KVCacheDataTypeE1ELb0EEEvPT_PKS2_PKT0_S8_ifPKiSA_iPKfiiiSC_SC_iiiii
	.p2align	8
	.type	_ZN4vllm25paged_attention_v1_kernelIfhLi128ELi8ELi128ELNS_18Fp8KVCacheDataTypeE1ELb0EEEvPT_PKS2_PKT0_S8_ifPKiSA_iPKfiiiSC_SC_iiiii,@function
_ZN4vllm25paged_attention_v1_kernelIfhLi128ELi8ELi128ELNS_18Fp8KVCacheDataTypeE1ELb0EEEvPT_PKS2_PKT0_S8_ifPKiSA_iPKfiiiSC_SC_iiiii: ; @_ZN4vllm25paged_attention_v1_kernelIfhLi128ELi8ELi128ELNS_18Fp8KVCacheDataTypeE1ELb0EEEvPT_PKS2_PKT0_S8_ifPKiSA_iPKfiiiSC_SC_iiiii
; %bb.0:
	s_load_b64 s[18:19], s[0:1], 0x20
	s_bfe_u32 s3, ttmp6, 0x4000c
	s_bfe_u32 s5, ttmp6, 0x40010
	s_and_b32 s4, ttmp7, 0xffff
	s_add_co_i32 s3, s3, 1
	s_add_co_i32 s5, s5, 1
	s_and_b32 s2, ttmp6, 15
	s_bfe_u32 s6, ttmp6, 0x40004
	s_mul_i32 s3, ttmp9, s3
	s_mul_i32 s5, s4, s5
	s_getreg_b32 s20, hwreg(HW_REG_IB_STS2, 6, 4)
	s_add_co_i32 s2, s2, s3
	s_add_co_i32 s3, s6, s5
	s_cmp_eq_u32 s20, 0
	s_clause 0x1
	s_load_b32 s21, s[0:1], 0x80
	s_load_b64 s[6:7], s[0:1], 0x30
	s_cselect_b32 s22, s4, s3
	s_cselect_b32 s2, ttmp9, s2
	s_wait_kmcnt 0x0
	s_abs_i32 s3, s18
	s_delay_alu instid0(SALU_CYCLE_1) | instskip(SKIP_1) | instid1(SALU_CYCLE_2)
	s_cvt_f32_u32 s4, s3
	s_sub_co_i32 s5, 0, s3
	v_rcp_iflag_f32_e32 v1, s4
	s_abs_i32 s8, s21
	v_nop
	s_delay_alu instid0(TRANS32_DEP_1) | instskip(SKIP_1) | instid1(SALU_CYCLE_3)
	v_readfirstlane_b32 s4, v1
	s_mul_f32 s4, s4, 0x4f7ffffe
	s_cvt_u32_f32 s4, s4
	s_delay_alu instid0(SALU_CYCLE_3) | instskip(NEXT) | instid1(SALU_CYCLE_1)
	s_mul_i32 s5, s5, s4
	s_mul_hi_u32 s5, s4, s5
	s_delay_alu instid0(SALU_CYCLE_1) | instskip(SKIP_4) | instid1(SALU_CYCLE_1)
	s_add_co_i32 s4, s4, s5
	s_xor_b32 s5, s21, s18
	s_mul_hi_u32 s4, s8, s4
	s_ashr_i32 s5, s5, 31
	s_mul_i32 s9, s4, s3
	s_sub_co_i32 s8, s8, s9
	s_add_co_i32 s9, s4, 1
	s_sub_co_i32 s10, s8, s3
	s_cmp_ge_u32 s8, s3
	s_cselect_b32 s4, s9, s4
	s_cselect_b32 s8, s10, s8
	s_add_co_i32 s9, s4, 1
	s_cmp_ge_u32 s8, s3
	s_cselect_b32 s3, s9, s4
	s_load_b64 s[8:9], s[0:1], 0x40
	s_xor_b32 s3, s3, s5
	s_delay_alu instid0(SALU_CYCLE_1)
	s_sub_co_i32 s14, s3, s5
	s_mov_b32 s5, 0
	s_abs_i32 s11, s14
	s_mov_b32 s13, s5
	s_cvt_f32_u32 s3, s11
	s_sub_co_i32 s4, 0, s11
	s_mov_b32 s18, s5
	s_delay_alu instid0(SALU_CYCLE_1) | instskip(SKIP_1) | instid1(TRANS32_DEP_1)
	v_rcp_iflag_f32_e32 v1, s3
	v_nop
	v_readfirstlane_b32 s3, v1
	s_mul_f32 s3, s3, 0x4f7ffffe
	s_delay_alu instid0(SALU_CYCLE_3) | instskip(NEXT) | instid1(SALU_CYCLE_3)
	s_cvt_u32_f32 s3, s3
	s_mul_i32 s4, s4, s3
	s_delay_alu instid0(SALU_CYCLE_1)
	s_mul_hi_u32 s10, s3, s4
	s_abs_i32 s4, s2
	s_add_co_i32 s12, s3, s10
	s_wait_kmcnt 0x0
	s_cmp_eq_u64 s[8:9], 0
	s_cbranch_scc1 .LBB177_2
; %bb.1:
	s_ashr_i32 s3, s2, 31
	s_delay_alu instid0(SALU_CYCLE_1) | instskip(NEXT) | instid1(SALU_CYCLE_1)
	s_lshl_b64 s[16:17], s[2:3], 2
	s_add_nc_u64 s[8:9], s[8:9], s[16:17]
	s_load_b32 s18, s[8:9], 0x0
.LBB177_2:
	s_load_b32 s23, s[6:7], s22 offset:0x0 scale_offset
	s_wait_xcnt 0x0
	s_load_b96 s[8:10], s[0:1], 0x48
	v_and_b32_e32 v36, 3, v0
	s_ashr_i32 s3, s2, 31
	s_ashr_i32 s14, s14, 31
	s_mul_u64 s[6:7], s[4:5], s[12:13]
	s_lshl_b32 s12, s2, 7
	s_mov_b32 s2, exec_lo
	v_cmpx_gt_u32_e32 0x80, v0
	s_cbranch_execz .LBB177_4
; %bb.3:
	s_load_b64 s[16:17], s[0:1], 0x8
	s_wait_kmcnt 0x0
	s_mul_i32 s24, s8, s22
	s_ashr_i32 s13, s12, 31
	s_ashr_i32 s25, s24, 31
	v_and_b32_e32 v2, 0x3fc, v0
	s_lshl_b64 s[24:25], s[24:25], 2
	s_delay_alu instid0(VALU_DEP_1) | instskip(SKIP_2) | instid1(SALU_CYCLE_1)
	v_lshl_add_u32 v2, v36, 7, v2
	s_add_nc_u64 s[16:17], s[16:17], s[24:25]
	s_lshl_b64 s[24:25], s[12:13], 2
	s_add_nc_u64 s[16:17], s[16:17], s[24:25]
	global_load_b32 v1, v0, s[16:17] scale_offset
	s_wait_loadcnt 0x0
	ds_store_b32 v2, v1
.LBB177_4:
	s_or_b32 exec_lo, exec_lo, s2
	s_wait_kmcnt 0x0
	s_add_co_i32 s2, s23, 7
	s_load_b32 s5, s[0:1], 0x38
	s_ashr_i32 s6, s2, 31
	s_mul_i32 s8, s7, s11
	s_lshr_b32 s6, s6, 29
	s_sub_co_i32 s4, s4, s8
	s_add_co_i32 s2, s2, s6
	s_xor_b32 s3, s3, s14
	s_ashr_i32 s13, s2, 3
	s_add_co_i32 s2, s7, 1
	s_sub_co_i32 s6, s4, s11
	s_cmp_ge_u32 s4, s11
	v_lshrrev_b32_e32 v1, 5, v0
	s_cselect_b32 s2, s2, s7
	s_cselect_b32 s4, s6, s4
	s_add_co_i32 s6, s2, 1
	s_cmp_ge_u32 s4, s11
	v_mbcnt_lo_u32_b32 v43, -1, 0
	s_cselect_b32 s2, s6, s2
	s_mov_b32 s4, exec_lo
	s_xor_b32 s2, s2, s3
	s_wait_kmcnt 0x0
	s_mul_i32 s14, s5, s22
	s_sub_co_i32 s3, s2, s3
	v_cmp_gt_i32_e64 s2, s13, v1
	s_ashr_i32 s15, s14, 31
	s_wait_dscnt 0x0
	s_barrier_signal -1
	s_barrier_wait -1
                                        ; implicit-def: $vgpr35
                                        ; implicit-def: $vgpr44
	v_cmpx_le_i32_e64 s13, v1
	s_xor_b32 s4, exec_lo, s4
; %bb.5:
	v_dual_mov_b32 v35, 0 :: v_dual_mov_b32 v44, 32
	v_mbcnt_lo_u32_b32 v43, -1, 0
                                        ; implicit-def: $vgpr36
; %bb.6:
	s_or_saveexec_b32 s24, s4
	s_clause 0x2
	s_load_b32 s8, s[0:1], 0x88
	s_load_b64 s[16:17], s[0:1], 0x28
	s_load_b128 s[4:7], s[0:1], 0x58
	v_dual_mov_b32 v45, 0xff7fffff :: v_dual_lshrrev_b32 v42, 3, v0
	s_mul_i32 s10, s3, s10
	s_xor_b32 exec_lo, exec_lo, s24
	s_cbranch_execz .LBB177_268
; %bb.7:
	s_load_b64 s[26:27], s[0:1], 0x10
	v_dual_mov_b32 v44, 32 :: v_dual_bitop2_b32 v18, 2, v43 bitop3:0x14
	v_bfe_u32 v40, v0, 2, 3
	v_dual_mov_b32 v35, 0 :: v_dual_lshlrev_b32 v30, 7, v36
	v_xor_b32_e32 v37, 1, v43
	s_delay_alu instid0(VALU_DEP_4) | instskip(NEXT) | instid1(VALU_DEP_4)
	v_cmp_gt_i32_e32 vcc_lo, 32, v18
	v_lshlrev_b32_e32 v34, 4, v40
	s_ashr_i32 s11, s10, 31
	ds_load_b128 v[2:5], v30
	ds_load_b128 v[6:9], v30 offset:16
	ds_load_b128 v[10:13], v30 offset:32
	;; [unrolled: 1-line block ×3, first 2 shown]
	s_cmp_neq_f32 s18, 0
	v_cndmask_b32_e32 v38, v43, v18, vcc_lo
	ds_load_b128 v[18:21], v30 offset:64
	ds_load_b128 v[22:25], v30 offset:80
	;; [unrolled: 1-line block ×4, first 2 shown]
	v_cmp_gt_i32_e32 vcc_lo, 32, v37
	s_wait_kmcnt 0x0
	s_load_b32 s5, s[4:5], 0x0
	s_cselect_b32 s3, -1, 0
	v_lshlrev_b32_e32 v46, 2, v38
	v_lshl_or_b32 v48, v1, 3, v40
	v_mov_b32_e32 v45, 0xff7fffff
	s_add_nc_u64 s[26:27], s[26:27], s[10:11]
	s_mov_b32 s25, s9
	v_add_nc_u64_e32 v[38:39], s[26:27], v[34:35]
	v_cndmask_b32_e32 v34, v43, v37, vcc_lo
	v_dual_mov_b32 v37, v35 :: v_dual_lshlrev_b32 v41, 2, v40
	v_cmp_eq_u32_e32 vcc_lo, 0, v36
	s_lshl_b64 s[26:27], s[14:15], 2
	s_delay_alu instid0(VALU_DEP_3) | instskip(NEXT) | instid1(VALU_DEP_3)
	v_lshlrev_b32_e32 v47, 2, v34
	v_add_nc_u64_e32 v[36:37], v[38:39], v[36:37]
	v_lshl_or_b32 v38, v1, 5, v41
	v_and_b32_e32 v34, 0x7c, v42
	s_add_nc_u64 s[26:27], s[16:17], s[26:27]
	s_mov_b32 s11, 0
	s_delay_alu instid0(VALU_DEP_2) | instskip(NEXT) | instid1(VALU_DEP_2)
	v_dual_mov_b32 v50, v1 :: v_dual_add_nc_u32 v49, 0x220, v38
	v_add_nc_u64_e32 v[38:39], s[26:27], v[34:35]
	s_sub_co_i32 s26, 1, s23
	s_branch .LBB177_9
.LBB177_8:                              ;   in Loop: Header=BB177_9 Depth=1
	s_or_b32 exec_lo, exec_lo, s27
	v_dual_add_nc_u32 v50, 4, v50 :: v_dual_add_nc_u32 v48, 32, v48
	v_add_nc_u64_e32 v[38:39], 16, v[38:39]
	v_add_nc_u32_e32 v49, 0x80, v49
	s_delay_alu instid0(VALU_DEP_3) | instskip(SKIP_1) | instid1(SALU_CYCLE_1)
	v_cmp_le_i32_e64 s4, s13, v50
	s_or_b32 s11, s4, s11
	s_and_not1_b32 exec_lo, exec_lo, s11
	s_cbranch_execz .LBB177_267
.LBB177_9:                              ; =>This Inner Loop Header: Depth=1
	global_load_b32 v34, v[38:39], off
	v_dual_mov_b32 v51, 0 :: v_dual_mov_b32 v52, 0
	s_mov_b32 s27, exec_lo
	s_wait_loadcnt_dscnt 0x0
	v_mad_nc_i64_i32 v[40:41], v34, s25, v[36:37]
	global_load_u8 v53, v[40:41], off
	s_wait_loadcnt 0x0
	s_wait_xcnt 0x0
	v_cmpx_ne_u16_e32 0, v53
	s_cbranch_execz .LBB177_17
; %bb.10:                               ;   in Loop: Header=BB177_9 Depth=1
	v_bfrev_b32_e32 v52, 1
	s_mov_b32 s28, exec_lo
	v_cmpx_ne_u16_e32 0x80, v53
	s_cbranch_execz .LBB177_16
; %bb.11:                               ;   in Loop: Header=BB177_9 Depth=1
	v_and_b32_e32 v34, 0xffff, v53
	v_mov_b32_e32 v52, 0x7f800001
	s_mov_b32 s29, exec_lo
	s_delay_alu instid0(VALU_DEP_2) | instskip(NEXT) | instid1(VALU_DEP_1)
	v_and_b32_e32 v54, 0x7f, v34
	v_cmpx_ne_u32_e32 0x7f, v54
	s_cbranch_execz .LBB177_15
; %bb.12:                               ;   in Loop: Header=BB177_9 Depth=1
	v_and_b32_e32 v34, 7, v34
	v_lshrrev_b32_e32 v52, 3, v54
	s_mov_b32 s30, exec_lo
	v_cmpx_gt_u32_e32 8, v54
; %bb.13:                               ;   in Loop: Header=BB177_9 Depth=1
	s_delay_alu instid0(VALU_DEP_3) | instskip(NEXT) | instid1(VALU_DEP_1)
	v_clz_i32_u32_e32 v52, v34
	v_min_u32_e32 v52, 32, v52
	s_delay_alu instid0(VALU_DEP_1) | instskip(NEXT) | instid1(VALU_DEP_1)
	v_subrev_nc_u32_e32 v54, 28, v52
	v_lshlrev_b64_e32 v[54:55], v54, v[34:35]
	s_delay_alu instid0(VALU_DEP_1)
	v_dual_sub_nc_u32 v52, 29, v52 :: v_dual_bitop2_b32 v34, 7, v54 bitop3:0x40
; %bb.14:                               ;   in Loop: Header=BB177_9 Depth=1
	s_or_b32 exec_lo, exec_lo, s30
	s_delay_alu instid0(VALU_DEP_1) | instskip(NEXT) | instid1(VALU_DEP_2)
	v_dual_lshlrev_b32 v53, 24, v53 :: v_dual_lshlrev_b32 v34, 20, v34
	v_lshl_add_u32 v52, v52, 23, 0x3c000000
	s_delay_alu instid0(VALU_DEP_2) | instskip(NEXT) | instid1(VALU_DEP_1)
	v_and_b32_e32 v53, 0x80000000, v53
	v_or3_b32 v52, v34, v53, v52
.LBB177_15:                             ;   in Loop: Header=BB177_9 Depth=1
	s_or_b32 exec_lo, exec_lo, s29
.LBB177_16:                             ;   in Loop: Header=BB177_9 Depth=1
	s_delay_alu instid0(SALU_CYCLE_1)
	s_or_b32 exec_lo, exec_lo, s28
.LBB177_17:                             ;   in Loop: Header=BB177_9 Depth=1
	s_delay_alu instid0(SALU_CYCLE_1)
	s_or_b32 exec_lo, exec_lo, s27
	global_load_u8 v53, v[40:41], off offset:4
	s_mov_b32 s27, exec_lo
	s_wait_loadcnt 0x0
	v_cmpx_ne_u16_e32 0, v53
	s_cbranch_execz .LBB177_25
; %bb.18:                               ;   in Loop: Header=BB177_9 Depth=1
	v_bfrev_b32_e32 v51, 1
	s_mov_b32 s28, exec_lo
	v_cmpx_ne_u16_e32 0x80, v53
	s_cbranch_execz .LBB177_24
; %bb.19:                               ;   in Loop: Header=BB177_9 Depth=1
	v_and_b32_e32 v34, 0xffff, v53
	v_mov_b32_e32 v51, 0x7f800001
	s_mov_b32 s29, exec_lo
	s_delay_alu instid0(VALU_DEP_2) | instskip(NEXT) | instid1(VALU_DEP_1)
	v_and_b32_e32 v54, 0x7f, v34
	v_cmpx_ne_u32_e32 0x7f, v54
	s_cbranch_execz .LBB177_23
; %bb.20:                               ;   in Loop: Header=BB177_9 Depth=1
	v_and_b32_e32 v34, 7, v34
	v_lshrrev_b32_e32 v51, 3, v54
	s_mov_b32 s30, exec_lo
	v_cmpx_gt_u32_e32 8, v54
; %bb.21:                               ;   in Loop: Header=BB177_9 Depth=1
	s_delay_alu instid0(VALU_DEP_3) | instskip(NEXT) | instid1(VALU_DEP_1)
	v_clz_i32_u32_e32 v51, v34
	v_min_u32_e32 v51, 32, v51
	s_delay_alu instid0(VALU_DEP_1) | instskip(NEXT) | instid1(VALU_DEP_1)
	v_subrev_nc_u32_e32 v54, 28, v51
	v_lshlrev_b64_e32 v[54:55], v54, v[34:35]
	s_delay_alu instid0(VALU_DEP_1)
	v_dual_sub_nc_u32 v51, 29, v51 :: v_dual_bitop2_b32 v34, 7, v54 bitop3:0x40
; %bb.22:                               ;   in Loop: Header=BB177_9 Depth=1
	s_or_b32 exec_lo, exec_lo, s30
	s_delay_alu instid0(VALU_DEP_1) | instskip(NEXT) | instid1(VALU_DEP_2)
	v_dual_lshlrev_b32 v53, 24, v53 :: v_dual_lshlrev_b32 v34, 20, v34
	v_lshl_add_u32 v51, v51, 23, 0x3c000000
	s_delay_alu instid0(VALU_DEP_2) | instskip(NEXT) | instid1(VALU_DEP_1)
	v_and_b32_e32 v53, 0x80000000, v53
	v_or3_b32 v51, v34, v53, v51
.LBB177_23:                             ;   in Loop: Header=BB177_9 Depth=1
	s_or_b32 exec_lo, exec_lo, s29
.LBB177_24:                             ;   in Loop: Header=BB177_9 Depth=1
	s_delay_alu instid0(SALU_CYCLE_1)
	s_or_b32 exec_lo, exec_lo, s28
.LBB177_25:                             ;   in Loop: Header=BB177_9 Depth=1
	s_delay_alu instid0(SALU_CYCLE_1)
	s_or_b32 exec_lo, exec_lo, s27
	global_load_u8 v55, v[40:41], off offset:8
	v_dual_mov_b32 v53, 0 :: v_dual_mov_b32 v54, 0
	s_mov_b32 s27, exec_lo
	s_wait_loadcnt 0x0
	v_cmpx_ne_u16_e32 0, v55
	s_cbranch_execz .LBB177_33
; %bb.26:                               ;   in Loop: Header=BB177_9 Depth=1
	v_bfrev_b32_e32 v54, 1
	s_mov_b32 s28, exec_lo
	v_cmpx_ne_u16_e32 0x80, v55
	s_cbranch_execz .LBB177_32
; %bb.27:                               ;   in Loop: Header=BB177_9 Depth=1
	v_and_b32_e32 v34, 0xffff, v55
	v_mov_b32_e32 v54, 0x7f800001
	s_mov_b32 s29, exec_lo
	s_delay_alu instid0(VALU_DEP_2) | instskip(NEXT) | instid1(VALU_DEP_1)
	v_and_b32_e32 v56, 0x7f, v34
	v_cmpx_ne_u32_e32 0x7f, v56
	s_cbranch_execz .LBB177_31
; %bb.28:                               ;   in Loop: Header=BB177_9 Depth=1
	v_dual_lshrrev_b32 v54, 3, v56 :: v_dual_bitop2_b32 v34, 7, v34 bitop3:0x40
	s_mov_b32 s30, exec_lo
	v_cmpx_gt_u32_e32 8, v56
; %bb.29:                               ;   in Loop: Header=BB177_9 Depth=1
	s_delay_alu instid0(VALU_DEP_2) | instskip(NEXT) | instid1(VALU_DEP_1)
	v_clz_i32_u32_e32 v54, v34
	v_min_u32_e32 v54, 32, v54
	s_delay_alu instid0(VALU_DEP_1) | instskip(NEXT) | instid1(VALU_DEP_1)
	v_subrev_nc_u32_e32 v56, 28, v54
	v_lshlrev_b64_e32 v[56:57], v56, v[34:35]
	s_delay_alu instid0(VALU_DEP_1)
	v_dual_sub_nc_u32 v54, 29, v54 :: v_dual_bitop2_b32 v34, 7, v56 bitop3:0x40
; %bb.30:                               ;   in Loop: Header=BB177_9 Depth=1
	s_or_b32 exec_lo, exec_lo, s30
	s_delay_alu instid0(VALU_DEP_1) | instskip(NEXT) | instid1(VALU_DEP_2)
	v_dual_lshlrev_b32 v55, 24, v55 :: v_dual_lshlrev_b32 v34, 20, v34
	v_lshl_add_u32 v54, v54, 23, 0x3c000000
	s_delay_alu instid0(VALU_DEP_2) | instskip(NEXT) | instid1(VALU_DEP_1)
	v_and_b32_e32 v55, 0x80000000, v55
	v_or3_b32 v54, v34, v55, v54
.LBB177_31:                             ;   in Loop: Header=BB177_9 Depth=1
	s_or_b32 exec_lo, exec_lo, s29
.LBB177_32:                             ;   in Loop: Header=BB177_9 Depth=1
	s_delay_alu instid0(SALU_CYCLE_1)
	s_or_b32 exec_lo, exec_lo, s28
.LBB177_33:                             ;   in Loop: Header=BB177_9 Depth=1
	s_delay_alu instid0(SALU_CYCLE_1)
	s_or_b32 exec_lo, exec_lo, s27
	global_load_u8 v55, v[40:41], off offset:12
	s_mov_b32 s27, exec_lo
	s_wait_loadcnt 0x0
	v_cmpx_ne_u16_e32 0, v55
	s_cbranch_execz .LBB177_41
; %bb.34:                               ;   in Loop: Header=BB177_9 Depth=1
	v_bfrev_b32_e32 v53, 1
	s_mov_b32 s28, exec_lo
	v_cmpx_ne_u16_e32 0x80, v55
	s_cbranch_execz .LBB177_40
; %bb.35:                               ;   in Loop: Header=BB177_9 Depth=1
	v_and_b32_e32 v34, 0xffff, v55
	v_mov_b32_e32 v53, 0x7f800001
	s_mov_b32 s29, exec_lo
	s_delay_alu instid0(VALU_DEP_2) | instskip(NEXT) | instid1(VALU_DEP_1)
	v_and_b32_e32 v56, 0x7f, v34
	v_cmpx_ne_u32_e32 0x7f, v56
	s_cbranch_execz .LBB177_39
; %bb.36:                               ;   in Loop: Header=BB177_9 Depth=1
	v_dual_lshrrev_b32 v53, 3, v56 :: v_dual_bitop2_b32 v34, 7, v34 bitop3:0x40
	s_mov_b32 s30, exec_lo
	v_cmpx_gt_u32_e32 8, v56
; %bb.37:                               ;   in Loop: Header=BB177_9 Depth=1
	s_delay_alu instid0(VALU_DEP_2) | instskip(NEXT) | instid1(VALU_DEP_1)
	v_clz_i32_u32_e32 v53, v34
	v_min_u32_e32 v53, 32, v53
	s_delay_alu instid0(VALU_DEP_1) | instskip(NEXT) | instid1(VALU_DEP_1)
	v_subrev_nc_u32_e32 v56, 28, v53
	v_lshlrev_b64_e32 v[56:57], v56, v[34:35]
	s_delay_alu instid0(VALU_DEP_1)
	v_dual_sub_nc_u32 v53, 29, v53 :: v_dual_bitop2_b32 v34, 7, v56 bitop3:0x40
; %bb.38:                               ;   in Loop: Header=BB177_9 Depth=1
	s_or_b32 exec_lo, exec_lo, s30
	s_delay_alu instid0(VALU_DEP_1) | instskip(NEXT) | instid1(VALU_DEP_2)
	v_dual_lshlrev_b32 v55, 24, v55 :: v_dual_lshlrev_b32 v34, 20, v34
	v_lshl_add_u32 v53, v53, 23, 0x3c000000
	s_delay_alu instid0(VALU_DEP_2) | instskip(NEXT) | instid1(VALU_DEP_1)
	v_and_b32_e32 v55, 0x80000000, v55
	v_or3_b32 v53, v34, v55, v53
.LBB177_39:                             ;   in Loop: Header=BB177_9 Depth=1
	s_or_b32 exec_lo, exec_lo, s29
.LBB177_40:                             ;   in Loop: Header=BB177_9 Depth=1
	s_delay_alu instid0(SALU_CYCLE_1)
	s_or_b32 exec_lo, exec_lo, s28
.LBB177_41:                             ;   in Loop: Header=BB177_9 Depth=1
	s_delay_alu instid0(SALU_CYCLE_1)
	s_or_b32 exec_lo, exec_lo, s27
	global_load_u8 v57, v[40:41], off offset:128
	v_dual_mov_b32 v55, 0 :: v_dual_mov_b32 v56, 0
	s_mov_b32 s27, exec_lo
	s_wait_loadcnt 0x0
	v_cmpx_ne_u16_e32 0, v57
	s_cbranch_execz .LBB177_49
; %bb.42:                               ;   in Loop: Header=BB177_9 Depth=1
	v_bfrev_b32_e32 v56, 1
	s_mov_b32 s28, exec_lo
	v_cmpx_ne_u16_e32 0x80, v57
	s_cbranch_execz .LBB177_48
; %bb.43:                               ;   in Loop: Header=BB177_9 Depth=1
	v_and_b32_e32 v34, 0xffff, v57
	v_mov_b32_e32 v56, 0x7f800001
	s_mov_b32 s29, exec_lo
	s_delay_alu instid0(VALU_DEP_2) | instskip(NEXT) | instid1(VALU_DEP_1)
	v_and_b32_e32 v58, 0x7f, v34
	v_cmpx_ne_u32_e32 0x7f, v58
	s_cbranch_execz .LBB177_47
; %bb.44:                               ;   in Loop: Header=BB177_9 Depth=1
	v_and_b32_e32 v34, 7, v34
	v_lshrrev_b32_e32 v56, 3, v58
	s_mov_b32 s30, exec_lo
	v_cmpx_gt_u32_e32 8, v58
; %bb.45:                               ;   in Loop: Header=BB177_9 Depth=1
	s_delay_alu instid0(VALU_DEP_3) | instskip(NEXT) | instid1(VALU_DEP_1)
	v_clz_i32_u32_e32 v56, v34
	v_min_u32_e32 v56, 32, v56
	s_delay_alu instid0(VALU_DEP_1) | instskip(NEXT) | instid1(VALU_DEP_1)
	v_subrev_nc_u32_e32 v58, 28, v56
	v_lshlrev_b64_e32 v[58:59], v58, v[34:35]
	s_delay_alu instid0(VALU_DEP_1)
	v_dual_sub_nc_u32 v56, 29, v56 :: v_dual_bitop2_b32 v34, 7, v58 bitop3:0x40
; %bb.46:                               ;   in Loop: Header=BB177_9 Depth=1
	s_or_b32 exec_lo, exec_lo, s30
	s_delay_alu instid0(VALU_DEP_1) | instskip(NEXT) | instid1(VALU_DEP_2)
	v_dual_lshlrev_b32 v57, 24, v57 :: v_dual_lshlrev_b32 v34, 20, v34
	v_lshl_add_u32 v56, v56, 23, 0x3c000000
	s_delay_alu instid0(VALU_DEP_2) | instskip(NEXT) | instid1(VALU_DEP_1)
	v_and_b32_e32 v57, 0x80000000, v57
	v_or3_b32 v56, v34, v57, v56
.LBB177_47:                             ;   in Loop: Header=BB177_9 Depth=1
	s_or_b32 exec_lo, exec_lo, s29
.LBB177_48:                             ;   in Loop: Header=BB177_9 Depth=1
	s_delay_alu instid0(SALU_CYCLE_1)
	s_or_b32 exec_lo, exec_lo, s28
.LBB177_49:                             ;   in Loop: Header=BB177_9 Depth=1
	s_delay_alu instid0(SALU_CYCLE_1)
	s_or_b32 exec_lo, exec_lo, s27
	global_load_u8 v57, v[40:41], off offset:132
	s_mov_b32 s27, exec_lo
	s_wait_loadcnt 0x0
	v_cmpx_ne_u16_e32 0, v57
	s_cbranch_execz .LBB177_57
; %bb.50:                               ;   in Loop: Header=BB177_9 Depth=1
	v_bfrev_b32_e32 v55, 1
	s_mov_b32 s28, exec_lo
	v_cmpx_ne_u16_e32 0x80, v57
	s_cbranch_execz .LBB177_56
; %bb.51:                               ;   in Loop: Header=BB177_9 Depth=1
	v_and_b32_e32 v34, 0xffff, v57
	v_mov_b32_e32 v55, 0x7f800001
	s_mov_b32 s29, exec_lo
	s_delay_alu instid0(VALU_DEP_2) | instskip(NEXT) | instid1(VALU_DEP_1)
	v_and_b32_e32 v58, 0x7f, v34
	v_cmpx_ne_u32_e32 0x7f, v58
	s_cbranch_execz .LBB177_55
; %bb.52:                               ;   in Loop: Header=BB177_9 Depth=1
	v_and_b32_e32 v34, 7, v34
	v_lshrrev_b32_e32 v55, 3, v58
	s_mov_b32 s30, exec_lo
	v_cmpx_gt_u32_e32 8, v58
; %bb.53:                               ;   in Loop: Header=BB177_9 Depth=1
	s_delay_alu instid0(VALU_DEP_3) | instskip(NEXT) | instid1(VALU_DEP_1)
	v_clz_i32_u32_e32 v55, v34
	v_min_u32_e32 v55, 32, v55
	s_delay_alu instid0(VALU_DEP_1) | instskip(NEXT) | instid1(VALU_DEP_1)
	v_subrev_nc_u32_e32 v58, 28, v55
	v_lshlrev_b64_e32 v[58:59], v58, v[34:35]
	s_delay_alu instid0(VALU_DEP_1)
	v_dual_sub_nc_u32 v55, 29, v55 :: v_dual_bitop2_b32 v34, 7, v58 bitop3:0x40
; %bb.54:                               ;   in Loop: Header=BB177_9 Depth=1
	s_or_b32 exec_lo, exec_lo, s30
	s_delay_alu instid0(VALU_DEP_1) | instskip(NEXT) | instid1(VALU_DEP_2)
	v_dual_lshlrev_b32 v57, 24, v57 :: v_dual_lshlrev_b32 v34, 20, v34
	v_lshl_add_u32 v55, v55, 23, 0x3c000000
	s_delay_alu instid0(VALU_DEP_2) | instskip(NEXT) | instid1(VALU_DEP_1)
	v_and_b32_e32 v57, 0x80000000, v57
	v_or3_b32 v55, v34, v57, v55
.LBB177_55:                             ;   in Loop: Header=BB177_9 Depth=1
	s_or_b32 exec_lo, exec_lo, s29
.LBB177_56:                             ;   in Loop: Header=BB177_9 Depth=1
	s_delay_alu instid0(SALU_CYCLE_1)
	s_or_b32 exec_lo, exec_lo, s28
.LBB177_57:                             ;   in Loop: Header=BB177_9 Depth=1
	s_delay_alu instid0(SALU_CYCLE_1)
	s_or_b32 exec_lo, exec_lo, s27
	global_load_u8 v59, v[40:41], off offset:136
	v_dual_mov_b32 v57, 0 :: v_dual_mov_b32 v58, 0
	s_mov_b32 s27, exec_lo
	s_wait_loadcnt 0x0
	v_cmpx_ne_u16_e32 0, v59
	s_cbranch_execz .LBB177_65
; %bb.58:                               ;   in Loop: Header=BB177_9 Depth=1
	v_bfrev_b32_e32 v58, 1
	s_mov_b32 s28, exec_lo
	v_cmpx_ne_u16_e32 0x80, v59
	s_cbranch_execz .LBB177_64
; %bb.59:                               ;   in Loop: Header=BB177_9 Depth=1
	v_and_b32_e32 v34, 0xffff, v59
	v_mov_b32_e32 v58, 0x7f800001
	s_mov_b32 s29, exec_lo
	s_delay_alu instid0(VALU_DEP_2) | instskip(NEXT) | instid1(VALU_DEP_1)
	v_and_b32_e32 v60, 0x7f, v34
	v_cmpx_ne_u32_e32 0x7f, v60
	s_cbranch_execz .LBB177_63
; %bb.60:                               ;   in Loop: Header=BB177_9 Depth=1
	v_dual_lshrrev_b32 v58, 3, v60 :: v_dual_bitop2_b32 v34, 7, v34 bitop3:0x40
	s_mov_b32 s30, exec_lo
	v_cmpx_gt_u32_e32 8, v60
; %bb.61:                               ;   in Loop: Header=BB177_9 Depth=1
	s_delay_alu instid0(VALU_DEP_2) | instskip(NEXT) | instid1(VALU_DEP_1)
	v_clz_i32_u32_e32 v58, v34
	v_min_u32_e32 v58, 32, v58
	s_delay_alu instid0(VALU_DEP_1) | instskip(NEXT) | instid1(VALU_DEP_1)
	v_subrev_nc_u32_e32 v60, 28, v58
	v_lshlrev_b64_e32 v[60:61], v60, v[34:35]
	s_delay_alu instid0(VALU_DEP_1)
	v_dual_sub_nc_u32 v58, 29, v58 :: v_dual_bitop2_b32 v34, 7, v60 bitop3:0x40
; %bb.62:                               ;   in Loop: Header=BB177_9 Depth=1
	s_or_b32 exec_lo, exec_lo, s30
	s_delay_alu instid0(VALU_DEP_1) | instskip(NEXT) | instid1(VALU_DEP_2)
	v_dual_lshlrev_b32 v59, 24, v59 :: v_dual_lshlrev_b32 v34, 20, v34
	v_lshl_add_u32 v58, v58, 23, 0x3c000000
	s_delay_alu instid0(VALU_DEP_2) | instskip(NEXT) | instid1(VALU_DEP_1)
	v_and_b32_e32 v59, 0x80000000, v59
	v_or3_b32 v58, v34, v59, v58
.LBB177_63:                             ;   in Loop: Header=BB177_9 Depth=1
	s_or_b32 exec_lo, exec_lo, s29
.LBB177_64:                             ;   in Loop: Header=BB177_9 Depth=1
	s_delay_alu instid0(SALU_CYCLE_1)
	s_or_b32 exec_lo, exec_lo, s28
.LBB177_65:                             ;   in Loop: Header=BB177_9 Depth=1
	s_delay_alu instid0(SALU_CYCLE_1)
	s_or_b32 exec_lo, exec_lo, s27
	global_load_u8 v59, v[40:41], off offset:140
	s_mov_b32 s27, exec_lo
	s_wait_loadcnt 0x0
	v_cmpx_ne_u16_e32 0, v59
	s_cbranch_execz .LBB177_73
; %bb.66:                               ;   in Loop: Header=BB177_9 Depth=1
	v_bfrev_b32_e32 v57, 1
	s_mov_b32 s28, exec_lo
	v_cmpx_ne_u16_e32 0x80, v59
	s_cbranch_execz .LBB177_72
; %bb.67:                               ;   in Loop: Header=BB177_9 Depth=1
	v_and_b32_e32 v34, 0xffff, v59
	v_mov_b32_e32 v57, 0x7f800001
	s_mov_b32 s29, exec_lo
	s_delay_alu instid0(VALU_DEP_2) | instskip(NEXT) | instid1(VALU_DEP_1)
	v_and_b32_e32 v60, 0x7f, v34
	v_cmpx_ne_u32_e32 0x7f, v60
	s_cbranch_execz .LBB177_71
; %bb.68:                               ;   in Loop: Header=BB177_9 Depth=1
	v_dual_lshrrev_b32 v57, 3, v60 :: v_dual_bitop2_b32 v34, 7, v34 bitop3:0x40
	s_mov_b32 s30, exec_lo
	v_cmpx_gt_u32_e32 8, v60
; %bb.69:                               ;   in Loop: Header=BB177_9 Depth=1
	s_delay_alu instid0(VALU_DEP_2) | instskip(NEXT) | instid1(VALU_DEP_1)
	v_clz_i32_u32_e32 v57, v34
	v_min_u32_e32 v57, 32, v57
	s_delay_alu instid0(VALU_DEP_1) | instskip(NEXT) | instid1(VALU_DEP_1)
	v_subrev_nc_u32_e32 v60, 28, v57
	v_lshlrev_b64_e32 v[60:61], v60, v[34:35]
	s_delay_alu instid0(VALU_DEP_1)
	v_dual_sub_nc_u32 v57, 29, v57 :: v_dual_bitop2_b32 v34, 7, v60 bitop3:0x40
; %bb.70:                               ;   in Loop: Header=BB177_9 Depth=1
	s_or_b32 exec_lo, exec_lo, s30
	s_delay_alu instid0(VALU_DEP_1) | instskip(NEXT) | instid1(VALU_DEP_2)
	v_dual_lshlrev_b32 v59, 24, v59 :: v_dual_lshlrev_b32 v34, 20, v34
	v_lshl_add_u32 v57, v57, 23, 0x3c000000
	s_delay_alu instid0(VALU_DEP_2) | instskip(NEXT) | instid1(VALU_DEP_1)
	v_and_b32_e32 v59, 0x80000000, v59
	v_or3_b32 v57, v34, v59, v57
.LBB177_71:                             ;   in Loop: Header=BB177_9 Depth=1
	s_or_b32 exec_lo, exec_lo, s29
.LBB177_72:                             ;   in Loop: Header=BB177_9 Depth=1
	s_delay_alu instid0(SALU_CYCLE_1)
	s_or_b32 exec_lo, exec_lo, s28
.LBB177_73:                             ;   in Loop: Header=BB177_9 Depth=1
	s_delay_alu instid0(SALU_CYCLE_1)
	s_or_b32 exec_lo, exec_lo, s27
	global_load_u8 v61, v[40:41], off offset:256
	v_dual_mov_b32 v59, 0 :: v_dual_mov_b32 v60, 0
	s_mov_b32 s27, exec_lo
	s_wait_loadcnt 0x0
	v_cmpx_ne_u16_e32 0, v61
	s_cbranch_execz .LBB177_81
; %bb.74:                               ;   in Loop: Header=BB177_9 Depth=1
	v_bfrev_b32_e32 v60, 1
	s_mov_b32 s28, exec_lo
	v_cmpx_ne_u16_e32 0x80, v61
	s_cbranch_execz .LBB177_80
; %bb.75:                               ;   in Loop: Header=BB177_9 Depth=1
	v_and_b32_e32 v34, 0xffff, v61
	v_mov_b32_e32 v60, 0x7f800001
	s_mov_b32 s29, exec_lo
	s_delay_alu instid0(VALU_DEP_2) | instskip(NEXT) | instid1(VALU_DEP_1)
	v_and_b32_e32 v62, 0x7f, v34
	v_cmpx_ne_u32_e32 0x7f, v62
	s_cbranch_execz .LBB177_79
; %bb.76:                               ;   in Loop: Header=BB177_9 Depth=1
	v_and_b32_e32 v34, 7, v34
	v_lshrrev_b32_e32 v60, 3, v62
	s_mov_b32 s30, exec_lo
	v_cmpx_gt_u32_e32 8, v62
; %bb.77:                               ;   in Loop: Header=BB177_9 Depth=1
	s_delay_alu instid0(VALU_DEP_3) | instskip(NEXT) | instid1(VALU_DEP_1)
	v_clz_i32_u32_e32 v60, v34
	v_min_u32_e32 v60, 32, v60
	s_delay_alu instid0(VALU_DEP_1) | instskip(NEXT) | instid1(VALU_DEP_1)
	v_subrev_nc_u32_e32 v62, 28, v60
	v_lshlrev_b64_e32 v[62:63], v62, v[34:35]
	s_delay_alu instid0(VALU_DEP_1)
	v_dual_sub_nc_u32 v60, 29, v60 :: v_dual_bitop2_b32 v34, 7, v62 bitop3:0x40
; %bb.78:                               ;   in Loop: Header=BB177_9 Depth=1
	s_or_b32 exec_lo, exec_lo, s30
	s_delay_alu instid0(VALU_DEP_1) | instskip(NEXT) | instid1(VALU_DEP_2)
	v_dual_lshlrev_b32 v61, 24, v61 :: v_dual_lshlrev_b32 v34, 20, v34
	v_lshl_add_u32 v60, v60, 23, 0x3c000000
	s_delay_alu instid0(VALU_DEP_2) | instskip(NEXT) | instid1(VALU_DEP_1)
	v_and_b32_e32 v61, 0x80000000, v61
	v_or3_b32 v60, v34, v61, v60
.LBB177_79:                             ;   in Loop: Header=BB177_9 Depth=1
	s_or_b32 exec_lo, exec_lo, s29
.LBB177_80:                             ;   in Loop: Header=BB177_9 Depth=1
	s_delay_alu instid0(SALU_CYCLE_1)
	s_or_b32 exec_lo, exec_lo, s28
.LBB177_81:                             ;   in Loop: Header=BB177_9 Depth=1
	s_delay_alu instid0(SALU_CYCLE_1)
	s_or_b32 exec_lo, exec_lo, s27
	global_load_u8 v61, v[40:41], off offset:260
	s_mov_b32 s27, exec_lo
	s_wait_loadcnt 0x0
	v_cmpx_ne_u16_e32 0, v61
	s_cbranch_execz .LBB177_89
; %bb.82:                               ;   in Loop: Header=BB177_9 Depth=1
	v_bfrev_b32_e32 v59, 1
	s_mov_b32 s28, exec_lo
	v_cmpx_ne_u16_e32 0x80, v61
	s_cbranch_execz .LBB177_88
; %bb.83:                               ;   in Loop: Header=BB177_9 Depth=1
	v_and_b32_e32 v34, 0xffff, v61
	v_mov_b32_e32 v59, 0x7f800001
	s_mov_b32 s29, exec_lo
	s_delay_alu instid0(VALU_DEP_2) | instskip(NEXT) | instid1(VALU_DEP_1)
	v_and_b32_e32 v62, 0x7f, v34
	v_cmpx_ne_u32_e32 0x7f, v62
	s_cbranch_execz .LBB177_87
; %bb.84:                               ;   in Loop: Header=BB177_9 Depth=1
	v_and_b32_e32 v34, 7, v34
	v_lshrrev_b32_e32 v59, 3, v62
	s_mov_b32 s30, exec_lo
	v_cmpx_gt_u32_e32 8, v62
; %bb.85:                               ;   in Loop: Header=BB177_9 Depth=1
	s_delay_alu instid0(VALU_DEP_3) | instskip(NEXT) | instid1(VALU_DEP_1)
	v_clz_i32_u32_e32 v59, v34
	v_min_u32_e32 v59, 32, v59
	s_delay_alu instid0(VALU_DEP_1) | instskip(NEXT) | instid1(VALU_DEP_1)
	v_subrev_nc_u32_e32 v62, 28, v59
	v_lshlrev_b64_e32 v[62:63], v62, v[34:35]
	s_delay_alu instid0(VALU_DEP_1)
	v_dual_sub_nc_u32 v59, 29, v59 :: v_dual_bitop2_b32 v34, 7, v62 bitop3:0x40
; %bb.86:                               ;   in Loop: Header=BB177_9 Depth=1
	s_or_b32 exec_lo, exec_lo, s30
	s_delay_alu instid0(VALU_DEP_1) | instskip(NEXT) | instid1(VALU_DEP_2)
	v_dual_lshlrev_b32 v61, 24, v61 :: v_dual_lshlrev_b32 v34, 20, v34
	v_lshl_add_u32 v59, v59, 23, 0x3c000000
	s_delay_alu instid0(VALU_DEP_2) | instskip(NEXT) | instid1(VALU_DEP_1)
	v_and_b32_e32 v61, 0x80000000, v61
	v_or3_b32 v59, v34, v61, v59
.LBB177_87:                             ;   in Loop: Header=BB177_9 Depth=1
	s_or_b32 exec_lo, exec_lo, s29
.LBB177_88:                             ;   in Loop: Header=BB177_9 Depth=1
	s_delay_alu instid0(SALU_CYCLE_1)
	s_or_b32 exec_lo, exec_lo, s28
.LBB177_89:                             ;   in Loop: Header=BB177_9 Depth=1
	s_delay_alu instid0(SALU_CYCLE_1)
	s_or_b32 exec_lo, exec_lo, s27
	global_load_u8 v63, v[40:41], off offset:264
	v_dual_mov_b32 v61, 0 :: v_dual_mov_b32 v62, 0
	s_mov_b32 s27, exec_lo
	s_wait_loadcnt 0x0
	v_cmpx_ne_u16_e32 0, v63
	s_cbranch_execz .LBB177_97
; %bb.90:                               ;   in Loop: Header=BB177_9 Depth=1
	v_bfrev_b32_e32 v62, 1
	s_mov_b32 s28, exec_lo
	v_cmpx_ne_u16_e32 0x80, v63
	s_cbranch_execz .LBB177_96
; %bb.91:                               ;   in Loop: Header=BB177_9 Depth=1
	v_and_b32_e32 v34, 0xffff, v63
	v_mov_b32_e32 v62, 0x7f800001
	s_mov_b32 s29, exec_lo
	s_delay_alu instid0(VALU_DEP_2) | instskip(NEXT) | instid1(VALU_DEP_1)
	v_and_b32_e32 v64, 0x7f, v34
	v_cmpx_ne_u32_e32 0x7f, v64
	s_cbranch_execz .LBB177_95
; %bb.92:                               ;   in Loop: Header=BB177_9 Depth=1
	v_dual_lshrrev_b32 v62, 3, v64 :: v_dual_bitop2_b32 v34, 7, v34 bitop3:0x40
	s_mov_b32 s30, exec_lo
	v_cmpx_gt_u32_e32 8, v64
; %bb.93:                               ;   in Loop: Header=BB177_9 Depth=1
	s_delay_alu instid0(VALU_DEP_2) | instskip(NEXT) | instid1(VALU_DEP_1)
	v_clz_i32_u32_e32 v62, v34
	v_min_u32_e32 v62, 32, v62
	s_delay_alu instid0(VALU_DEP_1) | instskip(NEXT) | instid1(VALU_DEP_1)
	v_subrev_nc_u32_e32 v64, 28, v62
	v_lshlrev_b64_e32 v[64:65], v64, v[34:35]
	s_delay_alu instid0(VALU_DEP_1)
	v_dual_sub_nc_u32 v62, 29, v62 :: v_dual_bitop2_b32 v34, 7, v64 bitop3:0x40
; %bb.94:                               ;   in Loop: Header=BB177_9 Depth=1
	s_or_b32 exec_lo, exec_lo, s30
	s_delay_alu instid0(VALU_DEP_1) | instskip(NEXT) | instid1(VALU_DEP_2)
	v_dual_lshlrev_b32 v63, 24, v63 :: v_dual_lshlrev_b32 v34, 20, v34
	v_lshl_add_u32 v62, v62, 23, 0x3c000000
	s_delay_alu instid0(VALU_DEP_2) | instskip(NEXT) | instid1(VALU_DEP_1)
	v_and_b32_e32 v63, 0x80000000, v63
	v_or3_b32 v62, v34, v63, v62
.LBB177_95:                             ;   in Loop: Header=BB177_9 Depth=1
	s_or_b32 exec_lo, exec_lo, s29
.LBB177_96:                             ;   in Loop: Header=BB177_9 Depth=1
	s_delay_alu instid0(SALU_CYCLE_1)
	s_or_b32 exec_lo, exec_lo, s28
.LBB177_97:                             ;   in Loop: Header=BB177_9 Depth=1
	s_delay_alu instid0(SALU_CYCLE_1)
	s_or_b32 exec_lo, exec_lo, s27
	global_load_u8 v63, v[40:41], off offset:268
	s_mov_b32 s27, exec_lo
	s_wait_loadcnt 0x0
	v_cmpx_ne_u16_e32 0, v63
	s_cbranch_execz .LBB177_105
; %bb.98:                               ;   in Loop: Header=BB177_9 Depth=1
	v_bfrev_b32_e32 v61, 1
	s_mov_b32 s28, exec_lo
	v_cmpx_ne_u16_e32 0x80, v63
	s_cbranch_execz .LBB177_104
; %bb.99:                               ;   in Loop: Header=BB177_9 Depth=1
	v_and_b32_e32 v34, 0xffff, v63
	v_mov_b32_e32 v61, 0x7f800001
	s_mov_b32 s29, exec_lo
	s_delay_alu instid0(VALU_DEP_2) | instskip(NEXT) | instid1(VALU_DEP_1)
	v_and_b32_e32 v64, 0x7f, v34
	v_cmpx_ne_u32_e32 0x7f, v64
	s_cbranch_execz .LBB177_103
; %bb.100:                              ;   in Loop: Header=BB177_9 Depth=1
	v_dual_lshrrev_b32 v61, 3, v64 :: v_dual_bitop2_b32 v34, 7, v34 bitop3:0x40
	s_mov_b32 s30, exec_lo
	v_cmpx_gt_u32_e32 8, v64
; %bb.101:                              ;   in Loop: Header=BB177_9 Depth=1
	s_delay_alu instid0(VALU_DEP_2) | instskip(NEXT) | instid1(VALU_DEP_1)
	v_clz_i32_u32_e32 v61, v34
	v_min_u32_e32 v61, 32, v61
	s_delay_alu instid0(VALU_DEP_1) | instskip(NEXT) | instid1(VALU_DEP_1)
	v_subrev_nc_u32_e32 v64, 28, v61
	v_lshlrev_b64_e32 v[64:65], v64, v[34:35]
	s_delay_alu instid0(VALU_DEP_1)
	v_dual_sub_nc_u32 v61, 29, v61 :: v_dual_bitop2_b32 v34, 7, v64 bitop3:0x40
; %bb.102:                              ;   in Loop: Header=BB177_9 Depth=1
	s_or_b32 exec_lo, exec_lo, s30
	s_delay_alu instid0(VALU_DEP_1) | instskip(NEXT) | instid1(VALU_DEP_2)
	v_dual_lshlrev_b32 v63, 24, v63 :: v_dual_lshlrev_b32 v34, 20, v34
	v_lshl_add_u32 v61, v61, 23, 0x3c000000
	s_delay_alu instid0(VALU_DEP_2) | instskip(NEXT) | instid1(VALU_DEP_1)
	v_and_b32_e32 v63, 0x80000000, v63
	v_or3_b32 v61, v34, v63, v61
.LBB177_103:                            ;   in Loop: Header=BB177_9 Depth=1
	s_or_b32 exec_lo, exec_lo, s29
.LBB177_104:                            ;   in Loop: Header=BB177_9 Depth=1
	s_delay_alu instid0(SALU_CYCLE_1)
	s_or_b32 exec_lo, exec_lo, s28
.LBB177_105:                            ;   in Loop: Header=BB177_9 Depth=1
	s_delay_alu instid0(SALU_CYCLE_1)
	s_or_b32 exec_lo, exec_lo, s27
	global_load_u8 v65, v[40:41], off offset:384
	v_dual_mov_b32 v63, 0 :: v_dual_mov_b32 v64, 0
	s_mov_b32 s27, exec_lo
	s_wait_loadcnt 0x0
	v_cmpx_ne_u16_e32 0, v65
	s_cbranch_execz .LBB177_113
; %bb.106:                              ;   in Loop: Header=BB177_9 Depth=1
	v_bfrev_b32_e32 v64, 1
	s_mov_b32 s28, exec_lo
	v_cmpx_ne_u16_e32 0x80, v65
	s_cbranch_execz .LBB177_112
; %bb.107:                              ;   in Loop: Header=BB177_9 Depth=1
	v_and_b32_e32 v34, 0xffff, v65
	v_mov_b32_e32 v64, 0x7f800001
	s_mov_b32 s29, exec_lo
	s_delay_alu instid0(VALU_DEP_2) | instskip(NEXT) | instid1(VALU_DEP_1)
	v_and_b32_e32 v66, 0x7f, v34
	v_cmpx_ne_u32_e32 0x7f, v66
	s_cbranch_execz .LBB177_111
; %bb.108:                              ;   in Loop: Header=BB177_9 Depth=1
	v_and_b32_e32 v34, 7, v34
	v_lshrrev_b32_e32 v64, 3, v66
	s_mov_b32 s30, exec_lo
	v_cmpx_gt_u32_e32 8, v66
; %bb.109:                              ;   in Loop: Header=BB177_9 Depth=1
	s_delay_alu instid0(VALU_DEP_3) | instskip(NEXT) | instid1(VALU_DEP_1)
	v_clz_i32_u32_e32 v64, v34
	v_min_u32_e32 v64, 32, v64
	s_delay_alu instid0(VALU_DEP_1) | instskip(NEXT) | instid1(VALU_DEP_1)
	v_subrev_nc_u32_e32 v66, 28, v64
	v_lshlrev_b64_e32 v[66:67], v66, v[34:35]
	s_delay_alu instid0(VALU_DEP_1)
	v_dual_sub_nc_u32 v64, 29, v64 :: v_dual_bitop2_b32 v34, 7, v66 bitop3:0x40
; %bb.110:                              ;   in Loop: Header=BB177_9 Depth=1
	s_or_b32 exec_lo, exec_lo, s30
	s_delay_alu instid0(VALU_DEP_1) | instskip(NEXT) | instid1(VALU_DEP_2)
	v_dual_lshlrev_b32 v65, 24, v65 :: v_dual_lshlrev_b32 v34, 20, v34
	v_lshl_add_u32 v64, v64, 23, 0x3c000000
	s_delay_alu instid0(VALU_DEP_2) | instskip(NEXT) | instid1(VALU_DEP_1)
	v_and_b32_e32 v65, 0x80000000, v65
	v_or3_b32 v64, v34, v65, v64
.LBB177_111:                            ;   in Loop: Header=BB177_9 Depth=1
	s_or_b32 exec_lo, exec_lo, s29
.LBB177_112:                            ;   in Loop: Header=BB177_9 Depth=1
	s_delay_alu instid0(SALU_CYCLE_1)
	s_or_b32 exec_lo, exec_lo, s28
.LBB177_113:                            ;   in Loop: Header=BB177_9 Depth=1
	s_delay_alu instid0(SALU_CYCLE_1)
	s_or_b32 exec_lo, exec_lo, s27
	global_load_u8 v65, v[40:41], off offset:388
	s_mov_b32 s27, exec_lo
	s_wait_loadcnt 0x0
	v_cmpx_ne_u16_e32 0, v65
	s_cbranch_execz .LBB177_121
; %bb.114:                              ;   in Loop: Header=BB177_9 Depth=1
	v_bfrev_b32_e32 v63, 1
	s_mov_b32 s28, exec_lo
	v_cmpx_ne_u16_e32 0x80, v65
	s_cbranch_execz .LBB177_120
; %bb.115:                              ;   in Loop: Header=BB177_9 Depth=1
	v_and_b32_e32 v34, 0xffff, v65
	v_mov_b32_e32 v63, 0x7f800001
	s_mov_b32 s29, exec_lo
	s_delay_alu instid0(VALU_DEP_2) | instskip(NEXT) | instid1(VALU_DEP_1)
	v_and_b32_e32 v66, 0x7f, v34
	v_cmpx_ne_u32_e32 0x7f, v66
	s_cbranch_execz .LBB177_119
; %bb.116:                              ;   in Loop: Header=BB177_9 Depth=1
	v_and_b32_e32 v34, 7, v34
	v_lshrrev_b32_e32 v63, 3, v66
	s_mov_b32 s30, exec_lo
	v_cmpx_gt_u32_e32 8, v66
; %bb.117:                              ;   in Loop: Header=BB177_9 Depth=1
	s_delay_alu instid0(VALU_DEP_3) | instskip(NEXT) | instid1(VALU_DEP_1)
	v_clz_i32_u32_e32 v63, v34
	v_min_u32_e32 v63, 32, v63
	s_delay_alu instid0(VALU_DEP_1) | instskip(NEXT) | instid1(VALU_DEP_1)
	v_subrev_nc_u32_e32 v66, 28, v63
	v_lshlrev_b64_e32 v[66:67], v66, v[34:35]
	s_delay_alu instid0(VALU_DEP_1)
	v_dual_sub_nc_u32 v63, 29, v63 :: v_dual_bitop2_b32 v34, 7, v66 bitop3:0x40
; %bb.118:                              ;   in Loop: Header=BB177_9 Depth=1
	s_or_b32 exec_lo, exec_lo, s30
	s_delay_alu instid0(VALU_DEP_1) | instskip(NEXT) | instid1(VALU_DEP_2)
	v_dual_lshlrev_b32 v65, 24, v65 :: v_dual_lshlrev_b32 v34, 20, v34
	v_lshl_add_u32 v63, v63, 23, 0x3c000000
	s_delay_alu instid0(VALU_DEP_2) | instskip(NEXT) | instid1(VALU_DEP_1)
	v_and_b32_e32 v65, 0x80000000, v65
	v_or3_b32 v63, v34, v65, v63
.LBB177_119:                            ;   in Loop: Header=BB177_9 Depth=1
	s_or_b32 exec_lo, exec_lo, s29
.LBB177_120:                            ;   in Loop: Header=BB177_9 Depth=1
	s_delay_alu instid0(SALU_CYCLE_1)
	s_or_b32 exec_lo, exec_lo, s28
.LBB177_121:                            ;   in Loop: Header=BB177_9 Depth=1
	s_delay_alu instid0(SALU_CYCLE_1)
	s_or_b32 exec_lo, exec_lo, s27
	global_load_u8 v67, v[40:41], off offset:392
	v_dual_mov_b32 v65, 0 :: v_dual_mov_b32 v66, 0
	s_mov_b32 s27, exec_lo
	s_wait_loadcnt 0x0
	v_cmpx_ne_u16_e32 0, v67
	s_cbranch_execz .LBB177_129
; %bb.122:                              ;   in Loop: Header=BB177_9 Depth=1
	v_bfrev_b32_e32 v66, 1
	s_mov_b32 s28, exec_lo
	v_cmpx_ne_u16_e32 0x80, v67
	s_cbranch_execz .LBB177_128
; %bb.123:                              ;   in Loop: Header=BB177_9 Depth=1
	v_and_b32_e32 v34, 0xffff, v67
	v_mov_b32_e32 v66, 0x7f800001
	s_mov_b32 s29, exec_lo
	s_delay_alu instid0(VALU_DEP_2) | instskip(NEXT) | instid1(VALU_DEP_1)
	v_and_b32_e32 v68, 0x7f, v34
	v_cmpx_ne_u32_e32 0x7f, v68
	s_cbranch_execz .LBB177_127
; %bb.124:                              ;   in Loop: Header=BB177_9 Depth=1
	v_dual_lshrrev_b32 v66, 3, v68 :: v_dual_bitop2_b32 v34, 7, v34 bitop3:0x40
	s_mov_b32 s30, exec_lo
	v_cmpx_gt_u32_e32 8, v68
; %bb.125:                              ;   in Loop: Header=BB177_9 Depth=1
	s_delay_alu instid0(VALU_DEP_2) | instskip(NEXT) | instid1(VALU_DEP_1)
	v_clz_i32_u32_e32 v66, v34
	v_min_u32_e32 v66, 32, v66
	s_delay_alu instid0(VALU_DEP_1) | instskip(NEXT) | instid1(VALU_DEP_1)
	v_subrev_nc_u32_e32 v68, 28, v66
	v_lshlrev_b64_e32 v[68:69], v68, v[34:35]
	s_delay_alu instid0(VALU_DEP_1)
	v_dual_sub_nc_u32 v66, 29, v66 :: v_dual_bitop2_b32 v34, 7, v68 bitop3:0x40
; %bb.126:                              ;   in Loop: Header=BB177_9 Depth=1
	s_or_b32 exec_lo, exec_lo, s30
	s_delay_alu instid0(VALU_DEP_1) | instskip(NEXT) | instid1(VALU_DEP_2)
	v_dual_lshlrev_b32 v67, 24, v67 :: v_dual_lshlrev_b32 v34, 20, v34
	v_lshl_add_u32 v66, v66, 23, 0x3c000000
	s_delay_alu instid0(VALU_DEP_2) | instskip(NEXT) | instid1(VALU_DEP_1)
	v_and_b32_e32 v67, 0x80000000, v67
	v_or3_b32 v66, v34, v67, v66
.LBB177_127:                            ;   in Loop: Header=BB177_9 Depth=1
	s_or_b32 exec_lo, exec_lo, s29
.LBB177_128:                            ;   in Loop: Header=BB177_9 Depth=1
	s_delay_alu instid0(SALU_CYCLE_1)
	s_or_b32 exec_lo, exec_lo, s28
.LBB177_129:                            ;   in Loop: Header=BB177_9 Depth=1
	s_delay_alu instid0(SALU_CYCLE_1)
	s_or_b32 exec_lo, exec_lo, s27
	global_load_u8 v67, v[40:41], off offset:396
	s_mov_b32 s27, exec_lo
	s_wait_loadcnt 0x0
	v_cmpx_ne_u16_e32 0, v67
	s_cbranch_execz .LBB177_137
; %bb.130:                              ;   in Loop: Header=BB177_9 Depth=1
	v_bfrev_b32_e32 v65, 1
	s_mov_b32 s28, exec_lo
	v_cmpx_ne_u16_e32 0x80, v67
	s_cbranch_execz .LBB177_136
; %bb.131:                              ;   in Loop: Header=BB177_9 Depth=1
	v_and_b32_e32 v34, 0xffff, v67
	v_mov_b32_e32 v65, 0x7f800001
	s_mov_b32 s29, exec_lo
	s_delay_alu instid0(VALU_DEP_2) | instskip(NEXT) | instid1(VALU_DEP_1)
	v_and_b32_e32 v68, 0x7f, v34
	v_cmpx_ne_u32_e32 0x7f, v68
	s_cbranch_execz .LBB177_135
; %bb.132:                              ;   in Loop: Header=BB177_9 Depth=1
	v_dual_lshrrev_b32 v65, 3, v68 :: v_dual_bitop2_b32 v34, 7, v34 bitop3:0x40
	s_mov_b32 s30, exec_lo
	v_cmpx_gt_u32_e32 8, v68
; %bb.133:                              ;   in Loop: Header=BB177_9 Depth=1
	s_delay_alu instid0(VALU_DEP_2) | instskip(NEXT) | instid1(VALU_DEP_1)
	v_clz_i32_u32_e32 v65, v34
	v_min_u32_e32 v65, 32, v65
	s_delay_alu instid0(VALU_DEP_1) | instskip(NEXT) | instid1(VALU_DEP_1)
	v_subrev_nc_u32_e32 v68, 28, v65
	v_lshlrev_b64_e32 v[68:69], v68, v[34:35]
	s_delay_alu instid0(VALU_DEP_1)
	v_dual_sub_nc_u32 v65, 29, v65 :: v_dual_bitop2_b32 v34, 7, v68 bitop3:0x40
; %bb.134:                              ;   in Loop: Header=BB177_9 Depth=1
	s_or_b32 exec_lo, exec_lo, s30
	s_delay_alu instid0(VALU_DEP_1) | instskip(NEXT) | instid1(VALU_DEP_2)
	v_dual_lshlrev_b32 v67, 24, v67 :: v_dual_lshlrev_b32 v34, 20, v34
	v_lshl_add_u32 v65, v65, 23, 0x3c000000
	s_delay_alu instid0(VALU_DEP_2) | instskip(NEXT) | instid1(VALU_DEP_1)
	v_and_b32_e32 v67, 0x80000000, v67
	v_or3_b32 v65, v34, v67, v65
.LBB177_135:                            ;   in Loop: Header=BB177_9 Depth=1
	s_or_b32 exec_lo, exec_lo, s29
.LBB177_136:                            ;   in Loop: Header=BB177_9 Depth=1
	s_delay_alu instid0(SALU_CYCLE_1)
	s_or_b32 exec_lo, exec_lo, s28
.LBB177_137:                            ;   in Loop: Header=BB177_9 Depth=1
	s_delay_alu instid0(SALU_CYCLE_1)
	s_or_b32 exec_lo, exec_lo, s27
	global_load_u8 v69, v[40:41], off offset:512
	v_dual_mov_b32 v67, 0 :: v_dual_mov_b32 v68, 0
	s_mov_b32 s27, exec_lo
	s_wait_loadcnt 0x0
	v_cmpx_ne_u16_e32 0, v69
	s_cbranch_execz .LBB177_145
; %bb.138:                              ;   in Loop: Header=BB177_9 Depth=1
	v_bfrev_b32_e32 v68, 1
	s_mov_b32 s28, exec_lo
	v_cmpx_ne_u16_e32 0x80, v69
	s_cbranch_execz .LBB177_144
; %bb.139:                              ;   in Loop: Header=BB177_9 Depth=1
	v_and_b32_e32 v34, 0xffff, v69
	v_mov_b32_e32 v68, 0x7f800001
	s_mov_b32 s29, exec_lo
	s_delay_alu instid0(VALU_DEP_2) | instskip(NEXT) | instid1(VALU_DEP_1)
	v_and_b32_e32 v70, 0x7f, v34
	v_cmpx_ne_u32_e32 0x7f, v70
	s_cbranch_execz .LBB177_143
; %bb.140:                              ;   in Loop: Header=BB177_9 Depth=1
	v_and_b32_e32 v34, 7, v34
	v_lshrrev_b32_e32 v68, 3, v70
	s_mov_b32 s30, exec_lo
	v_cmpx_gt_u32_e32 8, v70
; %bb.141:                              ;   in Loop: Header=BB177_9 Depth=1
	s_delay_alu instid0(VALU_DEP_3) | instskip(NEXT) | instid1(VALU_DEP_1)
	v_clz_i32_u32_e32 v68, v34
	v_min_u32_e32 v68, 32, v68
	s_delay_alu instid0(VALU_DEP_1) | instskip(NEXT) | instid1(VALU_DEP_1)
	v_subrev_nc_u32_e32 v70, 28, v68
	v_lshlrev_b64_e32 v[70:71], v70, v[34:35]
	s_delay_alu instid0(VALU_DEP_1)
	v_dual_sub_nc_u32 v68, 29, v68 :: v_dual_bitop2_b32 v34, 7, v70 bitop3:0x40
; %bb.142:                              ;   in Loop: Header=BB177_9 Depth=1
	s_or_b32 exec_lo, exec_lo, s30
	s_delay_alu instid0(VALU_DEP_1) | instskip(NEXT) | instid1(VALU_DEP_2)
	v_dual_lshlrev_b32 v69, 24, v69 :: v_dual_lshlrev_b32 v34, 20, v34
	v_lshl_add_u32 v68, v68, 23, 0x3c000000
	s_delay_alu instid0(VALU_DEP_2) | instskip(NEXT) | instid1(VALU_DEP_1)
	v_and_b32_e32 v69, 0x80000000, v69
	v_or3_b32 v68, v34, v69, v68
.LBB177_143:                            ;   in Loop: Header=BB177_9 Depth=1
	s_or_b32 exec_lo, exec_lo, s29
.LBB177_144:                            ;   in Loop: Header=BB177_9 Depth=1
	s_delay_alu instid0(SALU_CYCLE_1)
	s_or_b32 exec_lo, exec_lo, s28
.LBB177_145:                            ;   in Loop: Header=BB177_9 Depth=1
	s_delay_alu instid0(SALU_CYCLE_1)
	s_or_b32 exec_lo, exec_lo, s27
	global_load_u8 v69, v[40:41], off offset:516
	s_mov_b32 s27, exec_lo
	s_wait_loadcnt 0x0
	v_cmpx_ne_u16_e32 0, v69
	s_cbranch_execz .LBB177_153
; %bb.146:                              ;   in Loop: Header=BB177_9 Depth=1
	v_bfrev_b32_e32 v67, 1
	s_mov_b32 s28, exec_lo
	v_cmpx_ne_u16_e32 0x80, v69
	s_cbranch_execz .LBB177_152
; %bb.147:                              ;   in Loop: Header=BB177_9 Depth=1
	v_and_b32_e32 v34, 0xffff, v69
	v_mov_b32_e32 v67, 0x7f800001
	s_mov_b32 s29, exec_lo
	s_delay_alu instid0(VALU_DEP_2) | instskip(NEXT) | instid1(VALU_DEP_1)
	v_and_b32_e32 v70, 0x7f, v34
	v_cmpx_ne_u32_e32 0x7f, v70
	s_cbranch_execz .LBB177_151
; %bb.148:                              ;   in Loop: Header=BB177_9 Depth=1
	v_and_b32_e32 v34, 7, v34
	v_lshrrev_b32_e32 v67, 3, v70
	s_mov_b32 s30, exec_lo
	v_cmpx_gt_u32_e32 8, v70
; %bb.149:                              ;   in Loop: Header=BB177_9 Depth=1
	s_delay_alu instid0(VALU_DEP_3) | instskip(NEXT) | instid1(VALU_DEP_1)
	v_clz_i32_u32_e32 v67, v34
	v_min_u32_e32 v67, 32, v67
	s_delay_alu instid0(VALU_DEP_1) | instskip(NEXT) | instid1(VALU_DEP_1)
	v_subrev_nc_u32_e32 v70, 28, v67
	v_lshlrev_b64_e32 v[70:71], v70, v[34:35]
	s_delay_alu instid0(VALU_DEP_1)
	v_dual_sub_nc_u32 v67, 29, v67 :: v_dual_bitop2_b32 v34, 7, v70 bitop3:0x40
; %bb.150:                              ;   in Loop: Header=BB177_9 Depth=1
	s_or_b32 exec_lo, exec_lo, s30
	s_delay_alu instid0(VALU_DEP_1) | instskip(NEXT) | instid1(VALU_DEP_2)
	v_dual_lshlrev_b32 v69, 24, v69 :: v_dual_lshlrev_b32 v34, 20, v34
	v_lshl_add_u32 v67, v67, 23, 0x3c000000
	s_delay_alu instid0(VALU_DEP_2) | instskip(NEXT) | instid1(VALU_DEP_1)
	v_and_b32_e32 v69, 0x80000000, v69
	v_or3_b32 v67, v34, v69, v67
.LBB177_151:                            ;   in Loop: Header=BB177_9 Depth=1
	s_or_b32 exec_lo, exec_lo, s29
.LBB177_152:                            ;   in Loop: Header=BB177_9 Depth=1
	s_delay_alu instid0(SALU_CYCLE_1)
	s_or_b32 exec_lo, exec_lo, s28
.LBB177_153:                            ;   in Loop: Header=BB177_9 Depth=1
	s_delay_alu instid0(SALU_CYCLE_1)
	s_or_b32 exec_lo, exec_lo, s27
	global_load_u8 v71, v[40:41], off offset:520
	v_dual_mov_b32 v69, 0 :: v_dual_mov_b32 v70, 0
	s_mov_b32 s27, exec_lo
	s_wait_loadcnt 0x0
	v_cmpx_ne_u16_e32 0, v71
	s_cbranch_execz .LBB177_161
; %bb.154:                              ;   in Loop: Header=BB177_9 Depth=1
	v_bfrev_b32_e32 v70, 1
	s_mov_b32 s28, exec_lo
	v_cmpx_ne_u16_e32 0x80, v71
	s_cbranch_execz .LBB177_160
; %bb.155:                              ;   in Loop: Header=BB177_9 Depth=1
	v_and_b32_e32 v34, 0xffff, v71
	v_mov_b32_e32 v70, 0x7f800001
	s_mov_b32 s29, exec_lo
	s_delay_alu instid0(VALU_DEP_2) | instskip(NEXT) | instid1(VALU_DEP_1)
	v_and_b32_e32 v72, 0x7f, v34
	v_cmpx_ne_u32_e32 0x7f, v72
	s_cbranch_execz .LBB177_159
; %bb.156:                              ;   in Loop: Header=BB177_9 Depth=1
	v_dual_lshrrev_b32 v70, 3, v72 :: v_dual_bitop2_b32 v34, 7, v34 bitop3:0x40
	s_mov_b32 s30, exec_lo
	v_cmpx_gt_u32_e32 8, v72
; %bb.157:                              ;   in Loop: Header=BB177_9 Depth=1
	s_delay_alu instid0(VALU_DEP_2) | instskip(NEXT) | instid1(VALU_DEP_1)
	v_clz_i32_u32_e32 v70, v34
	v_min_u32_e32 v70, 32, v70
	s_delay_alu instid0(VALU_DEP_1) | instskip(NEXT) | instid1(VALU_DEP_1)
	v_subrev_nc_u32_e32 v72, 28, v70
	v_lshlrev_b64_e32 v[72:73], v72, v[34:35]
	s_delay_alu instid0(VALU_DEP_1)
	v_dual_sub_nc_u32 v70, 29, v70 :: v_dual_bitop2_b32 v34, 7, v72 bitop3:0x40
; %bb.158:                              ;   in Loop: Header=BB177_9 Depth=1
	s_or_b32 exec_lo, exec_lo, s30
	s_delay_alu instid0(VALU_DEP_1) | instskip(NEXT) | instid1(VALU_DEP_2)
	v_dual_lshlrev_b32 v71, 24, v71 :: v_dual_lshlrev_b32 v34, 20, v34
	v_lshl_add_u32 v70, v70, 23, 0x3c000000
	s_delay_alu instid0(VALU_DEP_2) | instskip(NEXT) | instid1(VALU_DEP_1)
	v_and_b32_e32 v71, 0x80000000, v71
	v_or3_b32 v70, v34, v71, v70
.LBB177_159:                            ;   in Loop: Header=BB177_9 Depth=1
	s_or_b32 exec_lo, exec_lo, s29
.LBB177_160:                            ;   in Loop: Header=BB177_9 Depth=1
	s_delay_alu instid0(SALU_CYCLE_1)
	s_or_b32 exec_lo, exec_lo, s28
.LBB177_161:                            ;   in Loop: Header=BB177_9 Depth=1
	s_delay_alu instid0(SALU_CYCLE_1)
	s_or_b32 exec_lo, exec_lo, s27
	global_load_u8 v71, v[40:41], off offset:524
	s_mov_b32 s27, exec_lo
	s_wait_loadcnt 0x0
	v_cmpx_ne_u16_e32 0, v71
	s_cbranch_execz .LBB177_169
; %bb.162:                              ;   in Loop: Header=BB177_9 Depth=1
	v_bfrev_b32_e32 v69, 1
	s_mov_b32 s28, exec_lo
	v_cmpx_ne_u16_e32 0x80, v71
	s_cbranch_execz .LBB177_168
; %bb.163:                              ;   in Loop: Header=BB177_9 Depth=1
	v_and_b32_e32 v34, 0xffff, v71
	v_mov_b32_e32 v69, 0x7f800001
	s_mov_b32 s29, exec_lo
	s_delay_alu instid0(VALU_DEP_2) | instskip(NEXT) | instid1(VALU_DEP_1)
	v_and_b32_e32 v72, 0x7f, v34
	v_cmpx_ne_u32_e32 0x7f, v72
	s_cbranch_execz .LBB177_167
; %bb.164:                              ;   in Loop: Header=BB177_9 Depth=1
	v_dual_lshrrev_b32 v69, 3, v72 :: v_dual_bitop2_b32 v34, 7, v34 bitop3:0x40
	s_mov_b32 s30, exec_lo
	v_cmpx_gt_u32_e32 8, v72
; %bb.165:                              ;   in Loop: Header=BB177_9 Depth=1
	s_delay_alu instid0(VALU_DEP_2) | instskip(NEXT) | instid1(VALU_DEP_1)
	v_clz_i32_u32_e32 v69, v34
	v_min_u32_e32 v69, 32, v69
	s_delay_alu instid0(VALU_DEP_1) | instskip(NEXT) | instid1(VALU_DEP_1)
	v_subrev_nc_u32_e32 v72, 28, v69
	v_lshlrev_b64_e32 v[72:73], v72, v[34:35]
	s_delay_alu instid0(VALU_DEP_1)
	v_dual_sub_nc_u32 v69, 29, v69 :: v_dual_bitop2_b32 v34, 7, v72 bitop3:0x40
; %bb.166:                              ;   in Loop: Header=BB177_9 Depth=1
	s_or_b32 exec_lo, exec_lo, s30
	s_delay_alu instid0(VALU_DEP_1) | instskip(NEXT) | instid1(VALU_DEP_2)
	v_dual_lshlrev_b32 v71, 24, v71 :: v_dual_lshlrev_b32 v34, 20, v34
	v_lshl_add_u32 v69, v69, 23, 0x3c000000
	s_delay_alu instid0(VALU_DEP_2) | instskip(NEXT) | instid1(VALU_DEP_1)
	v_and_b32_e32 v71, 0x80000000, v71
	v_or3_b32 v69, v34, v71, v69
.LBB177_167:                            ;   in Loop: Header=BB177_9 Depth=1
	s_or_b32 exec_lo, exec_lo, s29
.LBB177_168:                            ;   in Loop: Header=BB177_9 Depth=1
	s_delay_alu instid0(SALU_CYCLE_1)
	s_or_b32 exec_lo, exec_lo, s28
.LBB177_169:                            ;   in Loop: Header=BB177_9 Depth=1
	s_delay_alu instid0(SALU_CYCLE_1)
	s_or_b32 exec_lo, exec_lo, s27
	global_load_u8 v73, v[40:41], off offset:640
	v_dual_mov_b32 v71, 0 :: v_dual_mov_b32 v72, 0
	s_mov_b32 s27, exec_lo
	s_wait_loadcnt 0x0
	v_cmpx_ne_u16_e32 0, v73
	s_cbranch_execz .LBB177_177
; %bb.170:                              ;   in Loop: Header=BB177_9 Depth=1
	v_bfrev_b32_e32 v72, 1
	s_mov_b32 s28, exec_lo
	v_cmpx_ne_u16_e32 0x80, v73
	s_cbranch_execz .LBB177_176
; %bb.171:                              ;   in Loop: Header=BB177_9 Depth=1
	v_and_b32_e32 v34, 0xffff, v73
	v_mov_b32_e32 v72, 0x7f800001
	s_mov_b32 s29, exec_lo
	s_delay_alu instid0(VALU_DEP_2) | instskip(NEXT) | instid1(VALU_DEP_1)
	v_and_b32_e32 v74, 0x7f, v34
	v_cmpx_ne_u32_e32 0x7f, v74
	s_cbranch_execz .LBB177_175
; %bb.172:                              ;   in Loop: Header=BB177_9 Depth=1
	v_and_b32_e32 v34, 7, v34
	v_lshrrev_b32_e32 v72, 3, v74
	s_mov_b32 s30, exec_lo
	v_cmpx_gt_u32_e32 8, v74
; %bb.173:                              ;   in Loop: Header=BB177_9 Depth=1
	s_delay_alu instid0(VALU_DEP_3) | instskip(NEXT) | instid1(VALU_DEP_1)
	v_clz_i32_u32_e32 v72, v34
	v_min_u32_e32 v72, 32, v72
	s_delay_alu instid0(VALU_DEP_1) | instskip(NEXT) | instid1(VALU_DEP_1)
	v_subrev_nc_u32_e32 v74, 28, v72
	v_lshlrev_b64_e32 v[74:75], v74, v[34:35]
	s_delay_alu instid0(VALU_DEP_1)
	v_dual_sub_nc_u32 v72, 29, v72 :: v_dual_bitop2_b32 v34, 7, v74 bitop3:0x40
; %bb.174:                              ;   in Loop: Header=BB177_9 Depth=1
	s_or_b32 exec_lo, exec_lo, s30
	s_delay_alu instid0(VALU_DEP_1) | instskip(NEXT) | instid1(VALU_DEP_2)
	v_dual_lshlrev_b32 v73, 24, v73 :: v_dual_lshlrev_b32 v34, 20, v34
	v_lshl_add_u32 v72, v72, 23, 0x3c000000
	s_delay_alu instid0(VALU_DEP_2) | instskip(NEXT) | instid1(VALU_DEP_1)
	v_and_b32_e32 v73, 0x80000000, v73
	v_or3_b32 v72, v34, v73, v72
.LBB177_175:                            ;   in Loop: Header=BB177_9 Depth=1
	s_or_b32 exec_lo, exec_lo, s29
.LBB177_176:                            ;   in Loop: Header=BB177_9 Depth=1
	s_delay_alu instid0(SALU_CYCLE_1)
	s_or_b32 exec_lo, exec_lo, s28
.LBB177_177:                            ;   in Loop: Header=BB177_9 Depth=1
	s_delay_alu instid0(SALU_CYCLE_1)
	s_or_b32 exec_lo, exec_lo, s27
	global_load_u8 v73, v[40:41], off offset:644
	s_mov_b32 s27, exec_lo
	s_wait_loadcnt 0x0
	v_cmpx_ne_u16_e32 0, v73
	s_cbranch_execz .LBB177_185
; %bb.178:                              ;   in Loop: Header=BB177_9 Depth=1
	v_bfrev_b32_e32 v71, 1
	s_mov_b32 s28, exec_lo
	v_cmpx_ne_u16_e32 0x80, v73
	s_cbranch_execz .LBB177_184
; %bb.179:                              ;   in Loop: Header=BB177_9 Depth=1
	v_and_b32_e32 v34, 0xffff, v73
	v_mov_b32_e32 v71, 0x7f800001
	s_mov_b32 s29, exec_lo
	s_delay_alu instid0(VALU_DEP_2) | instskip(NEXT) | instid1(VALU_DEP_1)
	v_and_b32_e32 v74, 0x7f, v34
	v_cmpx_ne_u32_e32 0x7f, v74
	s_cbranch_execz .LBB177_183
; %bb.180:                              ;   in Loop: Header=BB177_9 Depth=1
	v_and_b32_e32 v34, 7, v34
	v_lshrrev_b32_e32 v71, 3, v74
	s_mov_b32 s30, exec_lo
	v_cmpx_gt_u32_e32 8, v74
; %bb.181:                              ;   in Loop: Header=BB177_9 Depth=1
	s_delay_alu instid0(VALU_DEP_3) | instskip(NEXT) | instid1(VALU_DEP_1)
	v_clz_i32_u32_e32 v71, v34
	v_min_u32_e32 v71, 32, v71
	s_delay_alu instid0(VALU_DEP_1) | instskip(NEXT) | instid1(VALU_DEP_1)
	v_subrev_nc_u32_e32 v74, 28, v71
	v_lshlrev_b64_e32 v[74:75], v74, v[34:35]
	s_delay_alu instid0(VALU_DEP_1)
	v_dual_sub_nc_u32 v71, 29, v71 :: v_dual_bitop2_b32 v34, 7, v74 bitop3:0x40
; %bb.182:                              ;   in Loop: Header=BB177_9 Depth=1
	s_or_b32 exec_lo, exec_lo, s30
	s_delay_alu instid0(VALU_DEP_1) | instskip(NEXT) | instid1(VALU_DEP_2)
	v_dual_lshlrev_b32 v73, 24, v73 :: v_dual_lshlrev_b32 v34, 20, v34
	v_lshl_add_u32 v71, v71, 23, 0x3c000000
	s_delay_alu instid0(VALU_DEP_2) | instskip(NEXT) | instid1(VALU_DEP_1)
	v_and_b32_e32 v73, 0x80000000, v73
	v_or3_b32 v71, v34, v73, v71
.LBB177_183:                            ;   in Loop: Header=BB177_9 Depth=1
	s_or_b32 exec_lo, exec_lo, s29
.LBB177_184:                            ;   in Loop: Header=BB177_9 Depth=1
	s_delay_alu instid0(SALU_CYCLE_1)
	s_or_b32 exec_lo, exec_lo, s28
.LBB177_185:                            ;   in Loop: Header=BB177_9 Depth=1
	s_delay_alu instid0(SALU_CYCLE_1)
	s_or_b32 exec_lo, exec_lo, s27
	global_load_u8 v75, v[40:41], off offset:648
	v_dual_mov_b32 v73, 0 :: v_dual_mov_b32 v74, 0
	s_mov_b32 s27, exec_lo
	s_wait_loadcnt 0x0
	v_cmpx_ne_u16_e32 0, v75
	s_cbranch_execz .LBB177_193
; %bb.186:                              ;   in Loop: Header=BB177_9 Depth=1
	v_bfrev_b32_e32 v74, 1
	s_mov_b32 s28, exec_lo
	v_cmpx_ne_u16_e32 0x80, v75
	s_cbranch_execz .LBB177_192
; %bb.187:                              ;   in Loop: Header=BB177_9 Depth=1
	v_and_b32_e32 v34, 0xffff, v75
	v_mov_b32_e32 v74, 0x7f800001
	s_mov_b32 s29, exec_lo
	s_delay_alu instid0(VALU_DEP_2) | instskip(NEXT) | instid1(VALU_DEP_1)
	v_and_b32_e32 v76, 0x7f, v34
	v_cmpx_ne_u32_e32 0x7f, v76
	s_cbranch_execz .LBB177_191
; %bb.188:                              ;   in Loop: Header=BB177_9 Depth=1
	v_dual_lshrrev_b32 v74, 3, v76 :: v_dual_bitop2_b32 v34, 7, v34 bitop3:0x40
	s_mov_b32 s30, exec_lo
	v_cmpx_gt_u32_e32 8, v76
; %bb.189:                              ;   in Loop: Header=BB177_9 Depth=1
	s_delay_alu instid0(VALU_DEP_2) | instskip(NEXT) | instid1(VALU_DEP_1)
	v_clz_i32_u32_e32 v74, v34
	v_min_u32_e32 v74, 32, v74
	s_delay_alu instid0(VALU_DEP_1) | instskip(NEXT) | instid1(VALU_DEP_1)
	v_subrev_nc_u32_e32 v76, 28, v74
	v_lshlrev_b64_e32 v[76:77], v76, v[34:35]
	s_delay_alu instid0(VALU_DEP_1)
	v_dual_sub_nc_u32 v74, 29, v74 :: v_dual_bitop2_b32 v34, 7, v76 bitop3:0x40
; %bb.190:                              ;   in Loop: Header=BB177_9 Depth=1
	s_or_b32 exec_lo, exec_lo, s30
	s_delay_alu instid0(VALU_DEP_1) | instskip(NEXT) | instid1(VALU_DEP_2)
	v_dual_lshlrev_b32 v75, 24, v75 :: v_dual_lshlrev_b32 v34, 20, v34
	v_lshl_add_u32 v74, v74, 23, 0x3c000000
	s_delay_alu instid0(VALU_DEP_2) | instskip(NEXT) | instid1(VALU_DEP_1)
	v_and_b32_e32 v75, 0x80000000, v75
	v_or3_b32 v74, v34, v75, v74
.LBB177_191:                            ;   in Loop: Header=BB177_9 Depth=1
	s_or_b32 exec_lo, exec_lo, s29
.LBB177_192:                            ;   in Loop: Header=BB177_9 Depth=1
	s_delay_alu instid0(SALU_CYCLE_1)
	s_or_b32 exec_lo, exec_lo, s28
.LBB177_193:                            ;   in Loop: Header=BB177_9 Depth=1
	s_delay_alu instid0(SALU_CYCLE_1)
	s_or_b32 exec_lo, exec_lo, s27
	global_load_u8 v75, v[40:41], off offset:652
	s_mov_b32 s27, exec_lo
	s_wait_loadcnt 0x0
	v_cmpx_ne_u16_e32 0, v75
	s_cbranch_execz .LBB177_201
; %bb.194:                              ;   in Loop: Header=BB177_9 Depth=1
	v_bfrev_b32_e32 v73, 1
	s_mov_b32 s28, exec_lo
	v_cmpx_ne_u16_e32 0x80, v75
	s_cbranch_execz .LBB177_200
; %bb.195:                              ;   in Loop: Header=BB177_9 Depth=1
	v_and_b32_e32 v34, 0xffff, v75
	v_mov_b32_e32 v73, 0x7f800001
	s_mov_b32 s29, exec_lo
	s_delay_alu instid0(VALU_DEP_2) | instskip(NEXT) | instid1(VALU_DEP_1)
	v_and_b32_e32 v76, 0x7f, v34
	v_cmpx_ne_u32_e32 0x7f, v76
	s_cbranch_execz .LBB177_199
; %bb.196:                              ;   in Loop: Header=BB177_9 Depth=1
	v_dual_lshrrev_b32 v73, 3, v76 :: v_dual_bitop2_b32 v34, 7, v34 bitop3:0x40
	s_mov_b32 s30, exec_lo
	v_cmpx_gt_u32_e32 8, v76
; %bb.197:                              ;   in Loop: Header=BB177_9 Depth=1
	s_delay_alu instid0(VALU_DEP_2) | instskip(NEXT) | instid1(VALU_DEP_1)
	v_clz_i32_u32_e32 v73, v34
	v_min_u32_e32 v73, 32, v73
	s_delay_alu instid0(VALU_DEP_1) | instskip(NEXT) | instid1(VALU_DEP_1)
	v_subrev_nc_u32_e32 v76, 28, v73
	v_lshlrev_b64_e32 v[76:77], v76, v[34:35]
	s_delay_alu instid0(VALU_DEP_1)
	v_dual_sub_nc_u32 v73, 29, v73 :: v_dual_bitop2_b32 v34, 7, v76 bitop3:0x40
; %bb.198:                              ;   in Loop: Header=BB177_9 Depth=1
	s_or_b32 exec_lo, exec_lo, s30
	s_delay_alu instid0(VALU_DEP_1) | instskip(NEXT) | instid1(VALU_DEP_2)
	v_dual_lshlrev_b32 v75, 24, v75 :: v_dual_lshlrev_b32 v34, 20, v34
	v_lshl_add_u32 v73, v73, 23, 0x3c000000
	s_delay_alu instid0(VALU_DEP_2) | instskip(NEXT) | instid1(VALU_DEP_1)
	v_and_b32_e32 v75, 0x80000000, v75
	v_or3_b32 v73, v34, v75, v73
.LBB177_199:                            ;   in Loop: Header=BB177_9 Depth=1
	s_or_b32 exec_lo, exec_lo, s29
.LBB177_200:                            ;   in Loop: Header=BB177_9 Depth=1
	s_delay_alu instid0(SALU_CYCLE_1)
	s_or_b32 exec_lo, exec_lo, s28
.LBB177_201:                            ;   in Loop: Header=BB177_9 Depth=1
	s_delay_alu instid0(SALU_CYCLE_1)
	s_or_b32 exec_lo, exec_lo, s27
	global_load_u8 v77, v[40:41], off offset:768
	v_dual_mov_b32 v75, 0 :: v_dual_mov_b32 v76, 0
	s_mov_b32 s27, exec_lo
	s_wait_loadcnt 0x0
	v_cmpx_ne_u16_e32 0, v77
	s_cbranch_execz .LBB177_209
; %bb.202:                              ;   in Loop: Header=BB177_9 Depth=1
	v_bfrev_b32_e32 v76, 1
	s_mov_b32 s28, exec_lo
	v_cmpx_ne_u16_e32 0x80, v77
	s_cbranch_execz .LBB177_208
; %bb.203:                              ;   in Loop: Header=BB177_9 Depth=1
	v_and_b32_e32 v34, 0xffff, v77
	v_mov_b32_e32 v76, 0x7f800001
	s_mov_b32 s29, exec_lo
	s_delay_alu instid0(VALU_DEP_2) | instskip(NEXT) | instid1(VALU_DEP_1)
	v_and_b32_e32 v78, 0x7f, v34
	v_cmpx_ne_u32_e32 0x7f, v78
	s_cbranch_execz .LBB177_207
; %bb.204:                              ;   in Loop: Header=BB177_9 Depth=1
	v_and_b32_e32 v34, 7, v34
	v_lshrrev_b32_e32 v76, 3, v78
	s_mov_b32 s30, exec_lo
	v_cmpx_gt_u32_e32 8, v78
; %bb.205:                              ;   in Loop: Header=BB177_9 Depth=1
	s_delay_alu instid0(VALU_DEP_3) | instskip(NEXT) | instid1(VALU_DEP_1)
	v_clz_i32_u32_e32 v76, v34
	v_min_u32_e32 v76, 32, v76
	s_delay_alu instid0(VALU_DEP_1) | instskip(NEXT) | instid1(VALU_DEP_1)
	v_subrev_nc_u32_e32 v78, 28, v76
	v_lshlrev_b64_e32 v[78:79], v78, v[34:35]
	s_delay_alu instid0(VALU_DEP_1)
	v_dual_sub_nc_u32 v76, 29, v76 :: v_dual_bitop2_b32 v34, 7, v78 bitop3:0x40
; %bb.206:                              ;   in Loop: Header=BB177_9 Depth=1
	s_or_b32 exec_lo, exec_lo, s30
	s_delay_alu instid0(VALU_DEP_1) | instskip(NEXT) | instid1(VALU_DEP_2)
	v_dual_lshlrev_b32 v77, 24, v77 :: v_dual_lshlrev_b32 v34, 20, v34
	v_lshl_add_u32 v76, v76, 23, 0x3c000000
	s_delay_alu instid0(VALU_DEP_2) | instskip(NEXT) | instid1(VALU_DEP_1)
	v_and_b32_e32 v77, 0x80000000, v77
	v_or3_b32 v76, v34, v77, v76
.LBB177_207:                            ;   in Loop: Header=BB177_9 Depth=1
	s_or_b32 exec_lo, exec_lo, s29
.LBB177_208:                            ;   in Loop: Header=BB177_9 Depth=1
	s_delay_alu instid0(SALU_CYCLE_1)
	s_or_b32 exec_lo, exec_lo, s28
.LBB177_209:                            ;   in Loop: Header=BB177_9 Depth=1
	s_delay_alu instid0(SALU_CYCLE_1)
	s_or_b32 exec_lo, exec_lo, s27
	global_load_u8 v77, v[40:41], off offset:772
	s_mov_b32 s27, exec_lo
	s_wait_loadcnt 0x0
	v_cmpx_ne_u16_e32 0, v77
	s_cbranch_execz .LBB177_217
; %bb.210:                              ;   in Loop: Header=BB177_9 Depth=1
	v_bfrev_b32_e32 v75, 1
	s_mov_b32 s28, exec_lo
	v_cmpx_ne_u16_e32 0x80, v77
	s_cbranch_execz .LBB177_216
; %bb.211:                              ;   in Loop: Header=BB177_9 Depth=1
	v_and_b32_e32 v34, 0xffff, v77
	v_mov_b32_e32 v75, 0x7f800001
	s_mov_b32 s29, exec_lo
	s_delay_alu instid0(VALU_DEP_2) | instskip(NEXT) | instid1(VALU_DEP_1)
	v_and_b32_e32 v78, 0x7f, v34
	v_cmpx_ne_u32_e32 0x7f, v78
	s_cbranch_execz .LBB177_215
; %bb.212:                              ;   in Loop: Header=BB177_9 Depth=1
	v_and_b32_e32 v34, 7, v34
	v_lshrrev_b32_e32 v75, 3, v78
	s_mov_b32 s30, exec_lo
	v_cmpx_gt_u32_e32 8, v78
; %bb.213:                              ;   in Loop: Header=BB177_9 Depth=1
	s_delay_alu instid0(VALU_DEP_3) | instskip(NEXT) | instid1(VALU_DEP_1)
	v_clz_i32_u32_e32 v75, v34
	v_min_u32_e32 v75, 32, v75
	s_delay_alu instid0(VALU_DEP_1) | instskip(NEXT) | instid1(VALU_DEP_1)
	v_subrev_nc_u32_e32 v78, 28, v75
	v_lshlrev_b64_e32 v[78:79], v78, v[34:35]
	s_delay_alu instid0(VALU_DEP_1)
	v_dual_sub_nc_u32 v75, 29, v75 :: v_dual_bitop2_b32 v34, 7, v78 bitop3:0x40
; %bb.214:                              ;   in Loop: Header=BB177_9 Depth=1
	s_or_b32 exec_lo, exec_lo, s30
	s_delay_alu instid0(VALU_DEP_1) | instskip(NEXT) | instid1(VALU_DEP_2)
	v_dual_lshlrev_b32 v77, 24, v77 :: v_dual_lshlrev_b32 v34, 20, v34
	v_lshl_add_u32 v75, v75, 23, 0x3c000000
	s_delay_alu instid0(VALU_DEP_2) | instskip(NEXT) | instid1(VALU_DEP_1)
	v_and_b32_e32 v77, 0x80000000, v77
	v_or3_b32 v75, v34, v77, v75
.LBB177_215:                            ;   in Loop: Header=BB177_9 Depth=1
	s_or_b32 exec_lo, exec_lo, s29
.LBB177_216:                            ;   in Loop: Header=BB177_9 Depth=1
	s_delay_alu instid0(SALU_CYCLE_1)
	s_or_b32 exec_lo, exec_lo, s28
.LBB177_217:                            ;   in Loop: Header=BB177_9 Depth=1
	s_delay_alu instid0(SALU_CYCLE_1)
	s_or_b32 exec_lo, exec_lo, s27
	global_load_u8 v79, v[40:41], off offset:776
	v_dual_mov_b32 v77, 0 :: v_dual_mov_b32 v78, 0
	s_mov_b32 s27, exec_lo
	s_wait_loadcnt 0x0
	v_cmpx_ne_u16_e32 0, v79
	s_cbranch_execz .LBB177_225
; %bb.218:                              ;   in Loop: Header=BB177_9 Depth=1
	v_bfrev_b32_e32 v78, 1
	s_mov_b32 s28, exec_lo
	v_cmpx_ne_u16_e32 0x80, v79
	s_cbranch_execz .LBB177_224
; %bb.219:                              ;   in Loop: Header=BB177_9 Depth=1
	v_and_b32_e32 v34, 0xffff, v79
	v_mov_b32_e32 v78, 0x7f800001
	s_mov_b32 s29, exec_lo
	s_delay_alu instid0(VALU_DEP_2) | instskip(NEXT) | instid1(VALU_DEP_1)
	v_and_b32_e32 v80, 0x7f, v34
	v_cmpx_ne_u32_e32 0x7f, v80
	s_cbranch_execz .LBB177_223
; %bb.220:                              ;   in Loop: Header=BB177_9 Depth=1
	v_dual_lshrrev_b32 v78, 3, v80 :: v_dual_bitop2_b32 v34, 7, v34 bitop3:0x40
	s_mov_b32 s30, exec_lo
	v_cmpx_gt_u32_e32 8, v80
; %bb.221:                              ;   in Loop: Header=BB177_9 Depth=1
	s_delay_alu instid0(VALU_DEP_2) | instskip(NEXT) | instid1(VALU_DEP_1)
	v_clz_i32_u32_e32 v78, v34
	v_min_u32_e32 v78, 32, v78
	s_delay_alu instid0(VALU_DEP_1) | instskip(NEXT) | instid1(VALU_DEP_1)
	v_subrev_nc_u32_e32 v80, 28, v78
	v_lshlrev_b64_e32 v[80:81], v80, v[34:35]
	s_delay_alu instid0(VALU_DEP_1)
	v_dual_sub_nc_u32 v78, 29, v78 :: v_dual_bitop2_b32 v34, 7, v80 bitop3:0x40
; %bb.222:                              ;   in Loop: Header=BB177_9 Depth=1
	s_or_b32 exec_lo, exec_lo, s30
	s_delay_alu instid0(VALU_DEP_1) | instskip(NEXT) | instid1(VALU_DEP_2)
	v_dual_lshlrev_b32 v79, 24, v79 :: v_dual_lshlrev_b32 v34, 20, v34
	v_lshl_add_u32 v78, v78, 23, 0x3c000000
	s_delay_alu instid0(VALU_DEP_2) | instskip(NEXT) | instid1(VALU_DEP_1)
	v_and_b32_e32 v79, 0x80000000, v79
	v_or3_b32 v78, v34, v79, v78
.LBB177_223:                            ;   in Loop: Header=BB177_9 Depth=1
	s_or_b32 exec_lo, exec_lo, s29
.LBB177_224:                            ;   in Loop: Header=BB177_9 Depth=1
	s_delay_alu instid0(SALU_CYCLE_1)
	s_or_b32 exec_lo, exec_lo, s28
.LBB177_225:                            ;   in Loop: Header=BB177_9 Depth=1
	s_delay_alu instid0(SALU_CYCLE_1)
	s_or_b32 exec_lo, exec_lo, s27
	global_load_u8 v79, v[40:41], off offset:780
	s_mov_b32 s27, exec_lo
	s_wait_loadcnt 0x0
	v_cmpx_ne_u16_e32 0, v79
	s_cbranch_execz .LBB177_233
; %bb.226:                              ;   in Loop: Header=BB177_9 Depth=1
	v_bfrev_b32_e32 v77, 1
	s_mov_b32 s28, exec_lo
	v_cmpx_ne_u16_e32 0x80, v79
	s_cbranch_execz .LBB177_232
; %bb.227:                              ;   in Loop: Header=BB177_9 Depth=1
	v_and_b32_e32 v34, 0xffff, v79
	v_mov_b32_e32 v77, 0x7f800001
	s_mov_b32 s29, exec_lo
	s_delay_alu instid0(VALU_DEP_2) | instskip(NEXT) | instid1(VALU_DEP_1)
	v_and_b32_e32 v80, 0x7f, v34
	v_cmpx_ne_u32_e32 0x7f, v80
	s_cbranch_execz .LBB177_231
; %bb.228:                              ;   in Loop: Header=BB177_9 Depth=1
	v_dual_lshrrev_b32 v77, 3, v80 :: v_dual_bitop2_b32 v34, 7, v34 bitop3:0x40
	s_mov_b32 s30, exec_lo
	v_cmpx_gt_u32_e32 8, v80
; %bb.229:                              ;   in Loop: Header=BB177_9 Depth=1
	s_delay_alu instid0(VALU_DEP_2) | instskip(NEXT) | instid1(VALU_DEP_1)
	v_clz_i32_u32_e32 v77, v34
	v_min_u32_e32 v77, 32, v77
	s_delay_alu instid0(VALU_DEP_1) | instskip(NEXT) | instid1(VALU_DEP_1)
	v_subrev_nc_u32_e32 v80, 28, v77
	v_lshlrev_b64_e32 v[80:81], v80, v[34:35]
	s_delay_alu instid0(VALU_DEP_1)
	v_dual_sub_nc_u32 v77, 29, v77 :: v_dual_bitop2_b32 v34, 7, v80 bitop3:0x40
; %bb.230:                              ;   in Loop: Header=BB177_9 Depth=1
	s_or_b32 exec_lo, exec_lo, s30
	s_delay_alu instid0(VALU_DEP_1) | instskip(NEXT) | instid1(VALU_DEP_2)
	v_dual_lshlrev_b32 v79, 24, v79 :: v_dual_lshlrev_b32 v34, 20, v34
	v_lshl_add_u32 v77, v77, 23, 0x3c000000
	s_delay_alu instid0(VALU_DEP_2) | instskip(NEXT) | instid1(VALU_DEP_1)
	v_and_b32_e32 v79, 0x80000000, v79
	v_or3_b32 v77, v34, v79, v77
.LBB177_231:                            ;   in Loop: Header=BB177_9 Depth=1
	s_or_b32 exec_lo, exec_lo, s29
.LBB177_232:                            ;   in Loop: Header=BB177_9 Depth=1
	s_delay_alu instid0(SALU_CYCLE_1)
	s_or_b32 exec_lo, exec_lo, s28
.LBB177_233:                            ;   in Loop: Header=BB177_9 Depth=1
	s_delay_alu instid0(SALU_CYCLE_1)
	s_or_b32 exec_lo, exec_lo, s27
	global_load_u8 v81, v[40:41], off offset:896
	v_dual_mov_b32 v79, 0 :: v_dual_mov_b32 v80, 0
	s_mov_b32 s27, exec_lo
	s_wait_loadcnt 0x0
	v_cmpx_ne_u16_e32 0, v81
	s_cbranch_execz .LBB177_241
; %bb.234:                              ;   in Loop: Header=BB177_9 Depth=1
	v_bfrev_b32_e32 v80, 1
	s_mov_b32 s28, exec_lo
	v_cmpx_ne_u16_e32 0x80, v81
	s_cbranch_execz .LBB177_240
; %bb.235:                              ;   in Loop: Header=BB177_9 Depth=1
	v_and_b32_e32 v34, 0xffff, v81
	v_mov_b32_e32 v80, 0x7f800001
	s_mov_b32 s29, exec_lo
	s_delay_alu instid0(VALU_DEP_2) | instskip(NEXT) | instid1(VALU_DEP_1)
	v_and_b32_e32 v82, 0x7f, v34
	v_cmpx_ne_u32_e32 0x7f, v82
	s_cbranch_execz .LBB177_239
; %bb.236:                              ;   in Loop: Header=BB177_9 Depth=1
	v_and_b32_e32 v34, 7, v34
	v_lshrrev_b32_e32 v80, 3, v82
	s_mov_b32 s30, exec_lo
	v_cmpx_gt_u32_e32 8, v82
; %bb.237:                              ;   in Loop: Header=BB177_9 Depth=1
	s_delay_alu instid0(VALU_DEP_3) | instskip(NEXT) | instid1(VALU_DEP_1)
	v_clz_i32_u32_e32 v80, v34
	v_min_u32_e32 v80, 32, v80
	s_delay_alu instid0(VALU_DEP_1) | instskip(NEXT) | instid1(VALU_DEP_1)
	v_subrev_nc_u32_e32 v82, 28, v80
	v_lshlrev_b64_e32 v[82:83], v82, v[34:35]
	s_delay_alu instid0(VALU_DEP_1)
	v_dual_sub_nc_u32 v80, 29, v80 :: v_dual_bitop2_b32 v34, 7, v82 bitop3:0x40
; %bb.238:                              ;   in Loop: Header=BB177_9 Depth=1
	s_or_b32 exec_lo, exec_lo, s30
	s_delay_alu instid0(VALU_DEP_1) | instskip(NEXT) | instid1(VALU_DEP_2)
	v_dual_lshlrev_b32 v81, 24, v81 :: v_dual_lshlrev_b32 v34, 20, v34
	v_lshl_add_u32 v80, v80, 23, 0x3c000000
	s_delay_alu instid0(VALU_DEP_2) | instskip(NEXT) | instid1(VALU_DEP_1)
	v_and_b32_e32 v81, 0x80000000, v81
	v_or3_b32 v80, v34, v81, v80
.LBB177_239:                            ;   in Loop: Header=BB177_9 Depth=1
	s_or_b32 exec_lo, exec_lo, s29
.LBB177_240:                            ;   in Loop: Header=BB177_9 Depth=1
	s_delay_alu instid0(SALU_CYCLE_1)
	s_or_b32 exec_lo, exec_lo, s28
.LBB177_241:                            ;   in Loop: Header=BB177_9 Depth=1
	s_delay_alu instid0(SALU_CYCLE_1)
	s_or_b32 exec_lo, exec_lo, s27
	global_load_u8 v81, v[40:41], off offset:900
	s_mov_b32 s27, exec_lo
	s_wait_loadcnt 0x0
	v_cmpx_ne_u16_e32 0, v81
	s_cbranch_execz .LBB177_249
; %bb.242:                              ;   in Loop: Header=BB177_9 Depth=1
	v_bfrev_b32_e32 v79, 1
	s_mov_b32 s28, exec_lo
	v_cmpx_ne_u16_e32 0x80, v81
	s_cbranch_execz .LBB177_248
; %bb.243:                              ;   in Loop: Header=BB177_9 Depth=1
	v_and_b32_e32 v34, 0xffff, v81
	v_mov_b32_e32 v79, 0x7f800001
	s_mov_b32 s29, exec_lo
	s_delay_alu instid0(VALU_DEP_2) | instskip(NEXT) | instid1(VALU_DEP_1)
	v_and_b32_e32 v82, 0x7f, v34
	v_cmpx_ne_u32_e32 0x7f, v82
	s_cbranch_execz .LBB177_247
; %bb.244:                              ;   in Loop: Header=BB177_9 Depth=1
	v_and_b32_e32 v34, 7, v34
	v_lshrrev_b32_e32 v79, 3, v82
	s_mov_b32 s30, exec_lo
	v_cmpx_gt_u32_e32 8, v82
; %bb.245:                              ;   in Loop: Header=BB177_9 Depth=1
	s_delay_alu instid0(VALU_DEP_3) | instskip(NEXT) | instid1(VALU_DEP_1)
	v_clz_i32_u32_e32 v79, v34
	v_min_u32_e32 v79, 32, v79
	s_delay_alu instid0(VALU_DEP_1) | instskip(NEXT) | instid1(VALU_DEP_1)
	v_subrev_nc_u32_e32 v82, 28, v79
	v_lshlrev_b64_e32 v[82:83], v82, v[34:35]
	s_delay_alu instid0(VALU_DEP_1)
	v_dual_sub_nc_u32 v79, 29, v79 :: v_dual_bitop2_b32 v34, 7, v82 bitop3:0x40
; %bb.246:                              ;   in Loop: Header=BB177_9 Depth=1
	s_or_b32 exec_lo, exec_lo, s30
	s_delay_alu instid0(VALU_DEP_1) | instskip(NEXT) | instid1(VALU_DEP_2)
	v_dual_lshlrev_b32 v81, 24, v81 :: v_dual_lshlrev_b32 v34, 20, v34
	v_lshl_add_u32 v79, v79, 23, 0x3c000000
	s_delay_alu instid0(VALU_DEP_2) | instskip(NEXT) | instid1(VALU_DEP_1)
	v_and_b32_e32 v81, 0x80000000, v81
	v_or3_b32 v79, v34, v81, v79
.LBB177_247:                            ;   in Loop: Header=BB177_9 Depth=1
	s_or_b32 exec_lo, exec_lo, s29
.LBB177_248:                            ;   in Loop: Header=BB177_9 Depth=1
	s_delay_alu instid0(SALU_CYCLE_1)
	s_or_b32 exec_lo, exec_lo, s28
.LBB177_249:                            ;   in Loop: Header=BB177_9 Depth=1
	s_delay_alu instid0(SALU_CYCLE_1)
	s_or_b32 exec_lo, exec_lo, s27
	global_load_u8 v83, v[40:41], off offset:904
	v_dual_mov_b32 v81, 0 :: v_dual_mov_b32 v82, 0
	s_mov_b32 s27, exec_lo
	s_wait_loadcnt 0x0
	v_cmpx_ne_u16_e32 0, v83
	s_cbranch_execz .LBB177_257
; %bb.250:                              ;   in Loop: Header=BB177_9 Depth=1
	v_bfrev_b32_e32 v82, 1
	s_mov_b32 s28, exec_lo
	v_cmpx_ne_u16_e32 0x80, v83
	s_cbranch_execz .LBB177_256
; %bb.251:                              ;   in Loop: Header=BB177_9 Depth=1
	v_and_b32_e32 v34, 0xffff, v83
	v_mov_b32_e32 v82, 0x7f800001
	s_mov_b32 s29, exec_lo
	s_delay_alu instid0(VALU_DEP_2) | instskip(NEXT) | instid1(VALU_DEP_1)
	v_and_b32_e32 v84, 0x7f, v34
	v_cmpx_ne_u32_e32 0x7f, v84
	s_cbranch_execz .LBB177_255
; %bb.252:                              ;   in Loop: Header=BB177_9 Depth=1
	v_dual_lshrrev_b32 v82, 3, v84 :: v_dual_bitop2_b32 v34, 7, v34 bitop3:0x40
	s_mov_b32 s30, exec_lo
	v_cmpx_gt_u32_e32 8, v84
; %bb.253:                              ;   in Loop: Header=BB177_9 Depth=1
	s_delay_alu instid0(VALU_DEP_2) | instskip(NEXT) | instid1(VALU_DEP_1)
	v_clz_i32_u32_e32 v82, v34
	v_min_u32_e32 v82, 32, v82
	s_delay_alu instid0(VALU_DEP_1) | instskip(NEXT) | instid1(VALU_DEP_1)
	v_subrev_nc_u32_e32 v84, 28, v82
	v_lshlrev_b64_e32 v[84:85], v84, v[34:35]
	s_delay_alu instid0(VALU_DEP_1)
	v_dual_sub_nc_u32 v82, 29, v82 :: v_dual_bitop2_b32 v34, 7, v84 bitop3:0x40
; %bb.254:                              ;   in Loop: Header=BB177_9 Depth=1
	s_or_b32 exec_lo, exec_lo, s30
	s_delay_alu instid0(VALU_DEP_1) | instskip(NEXT) | instid1(VALU_DEP_2)
	v_dual_lshlrev_b32 v83, 24, v83 :: v_dual_lshlrev_b32 v34, 20, v34
	v_lshl_add_u32 v82, v82, 23, 0x3c000000
	s_delay_alu instid0(VALU_DEP_2) | instskip(NEXT) | instid1(VALU_DEP_1)
	v_and_b32_e32 v83, 0x80000000, v83
	v_or3_b32 v82, v34, v83, v82
.LBB177_255:                            ;   in Loop: Header=BB177_9 Depth=1
	s_or_b32 exec_lo, exec_lo, s29
.LBB177_256:                            ;   in Loop: Header=BB177_9 Depth=1
	s_delay_alu instid0(SALU_CYCLE_1)
	s_or_b32 exec_lo, exec_lo, s28
.LBB177_257:                            ;   in Loop: Header=BB177_9 Depth=1
	s_delay_alu instid0(SALU_CYCLE_1)
	s_or_b32 exec_lo, exec_lo, s27
	global_load_u8 v40, v[40:41], off offset:908
	s_mov_b32 s27, exec_lo
	s_wait_loadcnt 0x0
	v_cmpx_ne_u16_e32 0, v40
	s_cbranch_execz .LBB177_265
; %bb.258:                              ;   in Loop: Header=BB177_9 Depth=1
	v_bfrev_b32_e32 v81, 1
	s_mov_b32 s28, exec_lo
	v_cmpx_ne_u16_e32 0x80, v40
	s_cbranch_execz .LBB177_264
; %bb.259:                              ;   in Loop: Header=BB177_9 Depth=1
	v_and_b32_e32 v34, 0xffff, v40
	v_mov_b32_e32 v81, 0x7f800001
	s_mov_b32 s29, exec_lo
	s_delay_alu instid0(VALU_DEP_2) | instskip(NEXT) | instid1(VALU_DEP_1)
	v_and_b32_e32 v83, 0x7f, v34
	v_cmpx_ne_u32_e32 0x7f, v83
	s_cbranch_execz .LBB177_263
; %bb.260:                              ;   in Loop: Header=BB177_9 Depth=1
	v_dual_lshrrev_b32 v41, 3, v83 :: v_dual_bitop2_b32 v34, 7, v34 bitop3:0x40
	s_mov_b32 s30, exec_lo
	v_cmpx_gt_u32_e32 8, v83
; %bb.261:                              ;   in Loop: Header=BB177_9 Depth=1
	s_delay_alu instid0(VALU_DEP_2) | instskip(NEXT) | instid1(VALU_DEP_1)
	v_clz_i32_u32_e32 v41, v34
	v_min_u32_e32 v41, 32, v41
	s_delay_alu instid0(VALU_DEP_1) | instskip(NEXT) | instid1(VALU_DEP_1)
	v_subrev_nc_u32_e32 v81, 28, v41
	v_lshlrev_b64_e32 v[84:85], v81, v[34:35]
	s_delay_alu instid0(VALU_DEP_1)
	v_dual_sub_nc_u32 v41, 29, v41 :: v_dual_bitop2_b32 v34, 7, v84 bitop3:0x40
; %bb.262:                              ;   in Loop: Header=BB177_9 Depth=1
	s_or_b32 exec_lo, exec_lo, s30
	s_delay_alu instid0(VALU_DEP_1) | instskip(NEXT) | instid1(VALU_DEP_2)
	v_dual_lshlrev_b32 v40, 24, v40 :: v_dual_lshlrev_b32 v34, 20, v34
	v_lshl_add_u32 v41, v41, 23, 0x3c000000
	s_delay_alu instid0(VALU_DEP_2) | instskip(NEXT) | instid1(VALU_DEP_1)
	v_and_b32_e32 v40, 0x80000000, v40
	v_or3_b32 v81, v34, v40, v41
.LBB177_263:                            ;   in Loop: Header=BB177_9 Depth=1
	s_or_b32 exec_lo, exec_lo, s29
.LBB177_264:                            ;   in Loop: Header=BB177_9 Depth=1
	s_delay_alu instid0(SALU_CYCLE_1)
	s_or_b32 exec_lo, exec_lo, s28
.LBB177_265:                            ;   in Loop: Header=BB177_9 Depth=1
	s_delay_alu instid0(SALU_CYCLE_1) | instskip(SKIP_3) | instid1(VALU_DEP_1)
	s_or_b32 exec_lo, exec_lo, s27
	s_wait_kmcnt 0x0
	v_dual_mul_f32 v34, s5, v51 :: v_dual_mul_f32 v40, s5, v52
	s_wait_dscnt 0x7
	v_mul_f32_e32 v34, v3, v34
	s_delay_alu instid0(VALU_DEP_1) | instskip(SKIP_1) | instid1(VALU_DEP_2)
	v_dual_mul_f32 v41, s5, v54 :: v_dual_fmac_f32 v34, v2, v40
	v_mul_f32_e32 v40, s5, v53
	v_dual_fmac_f32 v34, v4, v41 :: v_dual_mul_f32 v41, s5, v56
	s_delay_alu instid0(VALU_DEP_1) | instskip(SKIP_1) | instid1(VALU_DEP_1)
	v_dual_fmac_f32 v34, v5, v40 :: v_dual_mul_f32 v40, s5, v55
	s_wait_dscnt 0x6
	v_dual_fmac_f32 v34, v6, v41 :: v_dual_mul_f32 v41, s5, v58
	s_delay_alu instid0(VALU_DEP_1) | instskip(NEXT) | instid1(VALU_DEP_1)
	v_dual_fmac_f32 v34, v7, v40 :: v_dual_mul_f32 v40, s5, v57
	v_dual_fmac_f32 v34, v8, v41 :: v_dual_mul_f32 v41, s5, v60
	s_delay_alu instid0(VALU_DEP_1) | instskip(SKIP_1) | instid1(VALU_DEP_1)
	v_dual_fmac_f32 v34, v9, v40 :: v_dual_mul_f32 v40, s5, v59
	s_wait_dscnt 0x5
	v_dual_fmac_f32 v34, v10, v41 :: v_dual_mul_f32 v41, s5, v62
	s_delay_alu instid0(VALU_DEP_1) | instskip(NEXT) | instid1(VALU_DEP_1)
	v_dual_fmac_f32 v34, v11, v40 :: v_dual_mul_f32 v40, s5, v61
	;; [unrolled: 7-line block ×7, first 2 shown]
	v_fmac_f32_e32 v34, v32, v41
	s_delay_alu instid0(VALU_DEP_1)
	v_fmac_f32_e32 v34, v33, v40
	ds_bpermute_b32 v40, v46, v34
	s_wait_dscnt 0x0
	v_add_f32_e32 v34, v34, v40
	ds_bpermute_b32 v40, v47, v34
	s_and_saveexec_b32 s27, vcc_lo
	s_cbranch_execz .LBB177_8
; %bb.266:                              ;   in Loop: Header=BB177_9 Depth=1
	s_wait_dscnt 0x0
	v_add_f32_e32 v34, v34, v40
	v_add_nc_u32_e32 v41, s26, v48
	v_cmp_gt_i32_e64 s4, s23, v48
	s_delay_alu instid0(VALU_DEP_2) | instskip(NEXT) | instid1(VALU_DEP_1)
	v_cvt_f32_i32_e32 v41, v41
	v_mul_f32_e32 v41, s18, v41
	s_delay_alu instid0(VALU_DEP_1) | instskip(NEXT) | instid1(VALU_DEP_1)
	v_cndmask_b32_e64 v40, 0, v41, s3
	v_dual_max_num_f32 v41, v45, v45 :: v_dual_fmac_f32 v40, s19, v34
	s_delay_alu instid0(VALU_DEP_1) | instskip(NEXT) | instid1(VALU_DEP_1)
	v_dual_max_num_f32 v34, v41, v40 :: v_dual_cndmask_b32 v40, 0, v40, s4
	v_cndmask_b32_e64 v45, v45, v34, s4
	ds_store_b32 v49, v40
	s_branch .LBB177_8
.LBB177_267:
	s_or_b32 exec_lo, exec_lo, s11
.LBB177_268:
	s_delay_alu instid0(SALU_CYCLE_1)
	s_or_b32 exec_lo, exec_lo, s24
	v_dual_max_num_f32 v5, v45, v45 :: v_dual_bitop2_b32 v2, 16, v43 bitop3:0x14
	s_wait_kmcnt 0x0
	s_clause 0x1
	s_load_b64 s[4:5], s[0:1], 0x0
	s_load_b64 s[18:19], s[0:1], 0x18
	v_and_b32_e32 v56, 31, v0
	v_xor_b32_e32 v4, 8, v43
	v_cmp_lt_i32_e32 vcc_lo, v2, v44
	v_cndmask_b32_e32 v2, v43, v2, vcc_lo
	s_delay_alu instid0(VALU_DEP_3) | instskip(NEXT) | instid1(VALU_DEP_2)
	v_cmp_lt_i32_e32 vcc_lo, v4, v44
	v_dual_lshlrev_b32 v2, 2, v2 :: v_dual_cndmask_b32 v4, v43, v4, vcc_lo
	ds_bpermute_b32 v3, v2, v45
	s_wait_dscnt 0x0
	v_dual_max_num_f32 v6, v3, v3 :: v_dual_lshlrev_b32 v3, 2, v4
	s_delay_alu instid0(VALU_DEP_1) | instskip(SKIP_4) | instid1(VALU_DEP_1)
	v_dual_max_num_f32 v4, v5, v6 :: v_dual_bitop2_b32 v6, 4, v43 bitop3:0x14
	ds_bpermute_b32 v5, v3, v4
	v_cmp_lt_i32_e32 vcc_lo, v6, v44
	v_cndmask_b32_e32 v6, v43, v6, vcc_lo
	s_wait_dscnt 0x0
	v_dual_max_num_f32 v5, v5, v5 :: v_dual_lshlrev_b32 v6, 2, v6
	s_delay_alu instid0(VALU_DEP_1)
	v_max_num_f32_e32 v5, v4, v5
	v_lshlrev_b32_e32 v4, 2, v1
	v_cmp_eq_u32_e32 vcc_lo, 0, v56
	ds_bpermute_b32 v7, v6, v5
	s_wait_xcnt 0x0
	s_and_saveexec_b32 s0, vcc_lo
	s_cbranch_execz .LBB177_270
; %bb.269:
	s_wait_dscnt 0x0
	v_dual_max_num_f32 v7, v7, v7 :: v_dual_max_num_f32 v5, v5, v5
	s_delay_alu instid0(VALU_DEP_1)
	v_max_num_f32_e32 v5, v5, v7
	ds_store_b32 v4, v5 offset:512
.LBB177_270:
	s_or_b32 exec_lo, exec_lo, s0
	v_cmp_gt_u32_e64 s0, 4, v56
	v_dual_mov_b32 v8, 0xff7fffff :: v_dual_lshlrev_b32 v5, 2, v56
	s_wait_dscnt 0x0
	s_barrier_signal -1
	s_barrier_wait -1
	s_and_saveexec_b32 s1, s0
; %bb.271:
	ds_load_b32 v8, v5 offset:512
; %bb.272:
	s_or_b32 exec_lo, exec_lo, s1
	v_xor_b32_e32 v7, 2, v43
	v_xor_b32_e32 v10, 1, v43
	s_delay_alu instid0(VALU_DEP_2) | instskip(NEXT) | instid1(VALU_DEP_1)
	v_cmp_lt_i32_e64 s1, v7, v44
	v_cndmask_b32_e64 v7, v43, v7, s1
	s_delay_alu instid0(VALU_DEP_3) | instskip(NEXT) | instid1(VALU_DEP_1)
	v_cmp_lt_i32_e64 s1, v10, v44
	v_dual_cndmask_b32 v10, v43, v10, s1 :: v_dual_lshlrev_b32 v7, 2, v7
	s_lshl_b32 s1, s13, 3
	s_delay_alu instid0(SALU_CYCLE_1) | instskip(NEXT) | instid1(VALU_DEP_1)
	s_min_i32 s11, s1, s23
	v_lshlrev_b32_e32 v57, 2, v10
	s_wait_dscnt 0x0
	ds_bpermute_b32 v9, v7, v8
	v_max_num_f32_e32 v8, v8, v8
	v_cmp_gt_i32_e64 s1, s11, v0
	s_wait_dscnt 0x0
	v_max_num_f32_e32 v9, v9, v9
	s_delay_alu instid0(VALU_DEP_1) | instskip(SKIP_3) | instid1(VALU_DEP_1)
	v_max_num_f32_e32 v8, v8, v9
	ds_bpermute_b32 v9, v57, v8
	s_wait_dscnt 0x0
	v_max_num_f32_e32 v9, v9, v9
	v_dual_max_num_f32 v8, v8, v9 :: v_dual_lshlrev_b32 v9, 2, v35
	ds_bpermute_b32 v9, v9, v8
	v_mov_b32_e32 v8, 0
	s_and_saveexec_b32 s24, s1
	s_cbranch_execz .LBB177_276
; %bb.273:
	v_lshl_add_u32 v10, v0, 2, 0x220
	v_dual_mov_b32 v8, 0 :: v_dual_mov_b32 v11, v0
	s_mov_b32 s25, 0
.LBB177_274:                            ; =>This Inner Loop Header: Depth=1
	ds_load_b32 v12, v10
	v_add_nc_u32_e32 v11, 0x80, v11
	s_delay_alu instid0(VALU_DEP_1) | instskip(SKIP_3) | instid1(VALU_DEP_1)
	v_cmp_le_i32_e64 s3, s11, v11
	s_or_b32 s25, s3, s25
	s_wait_dscnt 0x0
	v_sub_f32_e32 v12, v12, v9
	v_mul_f32_e32 v12, 0x3fb8aa3b, v12
	s_delay_alu instid0(VALU_DEP_1)
	v_exp_f32_e32 v12, v12
	ds_store_b32 v10, v12
	v_nop
	v_add_f32_e32 v8, v8, v12
	v_add_nc_u32_e32 v10, 0x200, v10
	s_and_not1_b32 exec_lo, exec_lo, s25
	s_cbranch_execnz .LBB177_274
; %bb.275:
	s_or_b32 exec_lo, exec_lo, s25
.LBB177_276:
	s_delay_alu instid0(SALU_CYCLE_1)
	s_or_b32 exec_lo, exec_lo, s24
	ds_bpermute_b32 v2, v2, v8
	s_wait_dscnt 0x0
	v_add_f32_e32 v2, v8, v2
	ds_bpermute_b32 v3, v3, v2
	s_wait_dscnt 0x0
	v_add_f32_e32 v2, v2, v3
	;; [unrolled: 3-line block ×5, first 2 shown]
	s_and_saveexec_b32 s3, vcc_lo
; %bb.277:
	ds_store_b32 v4, v2 offset:528
; %bb.278:
	s_or_b32 exec_lo, exec_lo, s3
	s_wait_dscnt 0x0
	s_barrier_signal -1
	s_barrier_wait -1
	s_and_saveexec_b32 s3, s0
; %bb.279:
	ds_load_b32 v2, v5 offset:528
; %bb.280:
	s_or_b32 exec_lo, exec_lo, s3
	s_wait_dscnt 0x0
	ds_bpermute_b32 v3, v7, v2
	v_lshlrev_b32_e32 v4, 2, v43
	s_wait_dscnt 0x0
	v_add_f32_e32 v2, v2, v3
	ds_bpermute_b32 v3, v57, v2
	s_wait_dscnt 0x0
	v_add_f32_e32 v2, v2, v3
	v_and_b32_e32 v3, 0xffffff80, v4
	ds_bpermute_b32 v2, v3, v2
	s_and_saveexec_b32 s0, s1
	s_cbranch_execz .LBB177_293
; %bb.281:
	s_wait_dscnt 0x0
	v_add_f32_e32 v2, 0x358637bd, v2
	s_mov_b32 s3, -1
	s_mov_b32 s1, exec_lo
	s_delay_alu instid0(VALU_DEP_1) | instskip(NEXT) | instid1(VALU_DEP_1)
	v_div_scale_f32 v3, null, v2, v2, 1.0
	v_rcp_f32_e32 v5, v3
	v_nop
	s_delay_alu instid0(TRANS32_DEP_1) | instskip(NEXT) | instid1(VALU_DEP_1)
	v_fma_f32 v4, -v3, v5, 1.0
	v_fmac_f32_e32 v5, v4, v5
	v_div_scale_f32 v6, vcc_lo, 1.0, v2, 1.0
	s_delay_alu instid0(VALU_DEP_1) | instskip(NEXT) | instid1(VALU_DEP_1)
	v_mul_f32_e32 v7, v6, v5
	v_fma_f32 v4, -v3, v7, v6
	s_delay_alu instid0(VALU_DEP_1) | instskip(SKIP_1) | instid1(VALU_DEP_2)
	v_fmac_f32_e32 v7, v4, v5
	v_xad_u32 v4, v0, -1, s11
	v_fma_f32 v3, -v3, v7, v6
	s_delay_alu instid0(VALU_DEP_1) | instskip(NEXT) | instid1(VALU_DEP_1)
	v_div_fmas_f32 v3, v3, v5, v7
	v_div_fixup_f32 v2, v3, v2, 1.0
	v_mov_b32_e32 v3, v0
	v_cmpx_lt_u32_e32 0x7f, v4
	s_cbranch_execz .LBB177_290
; %bb.282:
	s_delay_alu instid0(VALU_DEP_3) | instskip(NEXT) | instid1(VALU_DEP_1)
	v_dual_mov_b32 v3, v2 :: v_dual_lshrrev_b32 v4, 7, v4
	v_dual_mov_b32 v8, 0 :: v_dual_add_nc_u32 v5, -1, v4
	s_delay_alu instid0(VALU_DEP_1) | instskip(SKIP_1) | instid1(VALU_DEP_2)
	v_lshrrev_b32_e32 v6, 1, v5
	v_cmp_lt_u32_e32 vcc_lo, 13, v5
	v_add_nc_u32_e32 v5, 1, v6
	s_and_saveexec_b32 s3, vcc_lo
	s_cbranch_execz .LBB177_286
; %bb.283:
	s_delay_alu instid0(VALU_DEP_1)
	v_and_b32_e32 v6, -8, v5
	v_lshl_add_u32 v7, v0, 2, 0x220
	s_mov_b32 s24, 0
	s_mov_b32 s25, 0
.LBB177_284:                            ; =>This Inner Loop Header: Depth=1
	ds_load_2addr_stride64_b32 v[8:9], v7 offset1:2
	ds_load_2addr_stride64_b32 v[10:11], v7 offset0:4 offset1:6
	ds_load_2addr_stride64_b32 v[12:13], v7 offset0:8 offset1:10
	;; [unrolled: 1-line block ×7, first 2 shown]
	s_add_co_i32 s25, s25, 16
	v_add_nc_u32_e32 v6, -8, v6
	s_wait_dscnt 0x7
	v_pk_mul_f32 v[8:9], v[2:3], v[8:9]
	s_wait_dscnt 0x6
	v_pk_mul_f32 v[10:11], v[2:3], v[10:11]
	;; [unrolled: 2-line block ×8, first 2 shown]
	ds_store_2addr_stride64_b32 v7, v8, v9 offset1:2
	ds_store_2addr_stride64_b32 v7, v10, v11 offset0:4 offset1:6
	ds_store_2addr_stride64_b32 v7, v12, v13 offset0:8 offset1:10
	;; [unrolled: 1-line block ×7, first 2 shown]
	v_mov_b32_e32 v8, s25
	v_cmp_eq_u32_e32 vcc_lo, 0, v6
	v_add_nc_u32_e32 v7, 0x2000, v7
	s_or_b32 s24, vcc_lo, s24
	s_delay_alu instid0(SALU_CYCLE_1)
	s_and_not1_b32 exec_lo, exec_lo, s24
	s_cbranch_execnz .LBB177_284
; %bb.285:
	s_or_b32 exec_lo, exec_lo, s24
.LBB177_286:
	s_delay_alu instid0(SALU_CYCLE_1) | instskip(NEXT) | instid1(VALU_DEP_1)
	s_or_b32 exec_lo, exec_lo, s3
	v_and_b32_e32 v5, 7, v5
	s_mov_b32 s24, 0
	s_mov_b32 s3, exec_lo
	s_delay_alu instid0(VALU_DEP_1)
	v_cmpx_ne_u32_e32 0, v5
	s_cbranch_execz .LBB177_289
; %bb.287:
	v_lshlrev_b32_e32 v6, 9, v8
	v_lshlrev_b32_e32 v7, 2, v0
	s_delay_alu instid0(VALU_DEP_1)
	v_add3_u32 v6, v6, v7, 0x220
.LBB177_288:                            ; =>This Inner Loop Header: Depth=1
	ds_load_2addr_stride64_b32 v[8:9], v6 offset1:2
	v_add_nc_u32_e32 v5, -1, v5
	s_delay_alu instid0(VALU_DEP_1)
	v_cmp_eq_u32_e32 vcc_lo, 0, v5
	s_or_b32 s24, vcc_lo, s24
	s_wait_dscnt 0x0
	v_pk_mul_f32 v[8:9], v[2:3], v[8:9]
	ds_store_2addr_stride64_b32 v6, v8, v9 offset1:2
	v_add_nc_u32_e32 v6, 0x400, v6
	s_and_not1_b32 exec_lo, exec_lo, s24
	s_cbranch_execnz .LBB177_288
.LBB177_289:
	s_or_b32 exec_lo, exec_lo, s3
	v_add_nc_u32_e32 v3, 1, v4
	s_delay_alu instid0(VALU_DEP_1) | instskip(NEXT) | instid1(VALU_DEP_1)
	v_and_b32_e32 v4, 0x3fffffe, v3
	v_cmp_ne_u32_e32 vcc_lo, v3, v4
	v_lshl_add_u32 v3, v4, 7, v0
	s_or_not1_b32 s3, vcc_lo, exec_lo
.LBB177_290:
	s_or_b32 exec_lo, exec_lo, s1
	s_delay_alu instid0(SALU_CYCLE_1)
	s_and_b32 exec_lo, exec_lo, s3
	s_cbranch_execz .LBB177_293
; %bb.291:
	v_lshl_add_u32 v4, v3, 2, 0x220
	s_mov_b32 s1, 0
.LBB177_292:                            ; =>This Inner Loop Header: Depth=1
	ds_load_b32 v5, v4
	v_add_nc_u32_e32 v3, 0x80, v3
	s_delay_alu instid0(VALU_DEP_1)
	v_cmp_le_i32_e32 vcc_lo, s11, v3
	s_or_b32 s1, vcc_lo, s1
	s_wait_dscnt 0x0
	v_mul_f32_e32 v5, v2, v5
	ds_store_b32 v4, v5
	v_add_nc_u32_e32 v4, 0x200, v4
	s_and_not1_b32 exec_lo, exec_lo, s1
	s_cbranch_execnz .LBB177_292
.LBB177_293:
	s_or_b32 exec_lo, exec_lo, s0
	v_dual_mov_b32 v7, 0 :: v_dual_bitop2_b32 v58, 1, v0 bitop3:0x40
	s_wait_dscnt 0x0
	s_barrier_signal -1
	s_barrier_wait -1
	s_delay_alu instid0(VALU_DEP_1)
	v_dual_mov_b32 v6, v7 :: v_dual_mov_b32 v9, v7
	v_dual_mov_b32 v8, v7 :: v_dual_mov_b32 v11, v7
	;; [unrolled: 1-line block ×3, first 2 shown]
	v_mov_b32_e32 v12, v7
	s_and_saveexec_b32 s1, s2
	s_cbranch_execz .LBB177_569
; %bb.294:
	s_load_b32 s2, s[6:7], 0x0
	v_dual_mov_b32 v15, 0 :: v_dual_lshlrev_b32 v2, 2, v0
	s_ashr_i32 s11, s10, 31
	v_dual_lshlrev_b32 v3, 4, v58 :: v_dual_mov_b32 v7, 0
	s_delay_alu instid0(VALU_DEP_2)
	v_and_b32_e32 v14, 0x7c, v2
	s_wait_kmcnt 0x0
	s_add_nc_u64 s[10:11], s[18:19], s[10:11]
	s_lshl_b64 s[14:15], s[14:15], 2
	v_dual_mov_b32 v6, 0 :: v_dual_bitop2_b32 v2, 4, v2 bitop3:0x40
	v_add_nc_u64_e32 v[16:17], s[10:11], v[14:15]
	v_and_b32_e32 v14, 0x7c, v42
	v_lshl_or_b32 v3, v1, 5, v3
	s_add_nc_u64 s[10:11], s[16:17], s[14:15]
	v_mov_b32_e32 v9, 0
	v_lshl_or_b32 v59, v1, 3, v2
	v_add_nc_u64_e32 v[18:19], s[10:11], v[14:15]
	v_add_nc_u32_e32 v60, 0x220, v3
	v_dual_mov_b32 v8, 0 :: v_dual_mov_b32 v11, 0
	v_dual_mov_b32 v10, 0 :: v_dual_mov_b32 v13, 0
	;; [unrolled: 1-line block ×3, first 2 shown]
	s_mov_b32 s6, s9
	s_mov_b32 s3, s2
	s_add_co_i32 s7, s13, -1
	s_mov_b32 s10, s23
	s_mov_b32 s9, 0
	s_branch .LBB177_296
.LBB177_295:                            ;   in Loop: Header=BB177_296 Depth=1
	s_or_b32 exec_lo, exec_lo, s0
	s_wait_dscnt 0x0
	v_mul_f32_e32 v44, v2, v44
	v_mul_f32_e32 v14, v2, v48
	v_add_nc_u64_e32 v[18:19], 16, v[18:19]
	v_add_nc_u32_e32 v59, 32, v59
	v_add_nc_u32_e32 v60, 0x80, v60
	v_fmac_f32_e32 v44, v3, v45
	v_dual_fmac_f32 v14, v3, v49 :: v_dual_mul_f32 v40, v2, v40
	v_mul_f32_e32 v32, v2, v32
	s_delay_alu instid0(VALU_DEP_3) | instskip(NEXT) | instid1(VALU_DEP_3)
	v_dual_mul_f32 v28, v2, v28 :: v_dual_fmac_f32 v44, v4, v42
	v_dual_fmac_f32 v14, v4, v46 :: v_dual_fmac_f32 v40, v3, v41
	v_dual_mul_f32 v41, v2, v36 :: v_dual_mul_f32 v22, v2, v22
	s_delay_alu instid0(VALU_DEP_3) | instskip(NEXT) | instid1(VALU_DEP_3)
	v_fmac_f32_e32 v44, v5, v43
	v_dual_fmac_f32 v14, v5, v47 :: v_dual_fmac_f32 v40, v4, v38
	s_delay_alu instid0(VALU_DEP_3) | instskip(SKIP_2) | instid1(VALU_DEP_3)
	v_fmac_f32_e32 v41, v3, v37
	v_pk_mul_f32 v[36:37], v[2:3], v[50:51]
	v_dual_fmac_f32 v28, v3, v29 :: v_dual_fmac_f32 v22, v3, v23
	v_dual_fmac_f32 v40, v5, v39 :: v_dual_fmac_f32 v41, v4, v34
	v_dual_add_f32 v6, v6, v14 :: v_dual_add_f32 v9, v9, v44
	s_delay_alu instid0(VALU_DEP_2) | instskip(SKIP_3) | instid1(VALU_DEP_4)
	v_dual_fmac_f32 v32, v3, v33 :: v_dual_add_f32 v8, v8, v40
	v_pk_mul_f32 v[2:3], v[4:5], v[24:25]
	v_add_f32_e32 v14, v37, v36
	v_dual_fmac_f32 v41, v5, v35 :: v_dual_fmac_f32 v28, v4, v26
	v_dual_fmac_f32 v32, v4, v30 :: v_dual_fmac_f32 v22, v4, v20
	s_delay_alu instid0(VALU_DEP_3) | instskip(NEXT) | instid1(VALU_DEP_2)
	v_dual_add_f32 v2, v2, v14 :: v_dual_add_nc_u32 v61, 4, v61
	v_dual_add_f32 v11, v11, v41 :: v_dual_fmac_f32 v32, v5, v31
	s_delay_alu instid0(VALU_DEP_3) | instskip(NEXT) | instid1(VALU_DEP_3)
	v_dual_fmac_f32 v28, v5, v27 :: v_dual_fmac_f32 v22, v5, v21
	v_add_f32_e32 v2, v3, v2
	s_delay_alu instid0(VALU_DEP_4) | instskip(NEXT) | instid1(VALU_DEP_4)
	v_cmp_le_i32_e32 vcc_lo, s13, v61
	v_add_f32_e32 v10, v10, v32
	s_delay_alu instid0(VALU_DEP_4) | instskip(NEXT) | instid1(VALU_DEP_4)
	v_dual_add_f32 v13, v13, v28 :: v_dual_add_f32 v12, v12, v22
	v_add_f32_e32 v7, v7, v2
	s_or_b32 s9, vcc_lo, s9
	s_delay_alu instid0(SALU_CYCLE_1)
	s_and_not1_b32 exec_lo, exec_lo, s9
	s_cbranch_execz .LBB177_568
.LBB177_296:                            ; =>This Inner Loop Header: Depth=1
	global_load_b32 v2, v[18:19], off
	v_mov_b64_e32 v[20:21], 0
	v_mov_b64_e32 v[22:23], 0
	s_mov_b32 s0, exec_lo
	s_wait_loadcnt 0x0
	v_mad_nc_i64_i32 v[24:25], v2, s6, v[16:17]
	ds_load_b128 v[2:5], v60
	global_load_b32 v30, v[24:25], off
	s_wait_loadcnt 0x0
	v_and_b32_e32 v14, 0xff, v30
	s_delay_alu instid0(VALU_DEP_1)
	v_cmpx_ne_u16_e32 0, v14
	s_cbranch_execz .LBB177_304
; %bb.297:                              ;   in Loop: Header=BB177_296 Depth=1
	v_mov_b64_e32 v[22:23], 0x80000000
	s_mov_b32 s11, exec_lo
	v_cmpx_ne_u16_e32 0x80, v14
	s_cbranch_execz .LBB177_303
; %bb.298:                              ;   in Loop: Header=BB177_296 Depth=1
	v_mov_b64_e32 v[22:23], 0x7f800001
	v_and_b32_e32 v26, 0x7f, v30
	s_mov_b32 s14, exec_lo
	s_delay_alu instid0(VALU_DEP_1)
	v_cmpx_ne_u32_e32 0x7f, v26
	s_cbranch_execz .LBB177_302
; %bb.299:                              ;   in Loop: Header=BB177_296 Depth=1
	v_and_b32_e32 v14, 7, v30
	v_lshrrev_b32_e32 v22, 3, v26
	s_mov_b32 s15, exec_lo
	v_cmpx_gt_u32_e32 8, v26
; %bb.300:                              ;   in Loop: Header=BB177_296 Depth=1
	s_delay_alu instid0(VALU_DEP_3) | instskip(NEXT) | instid1(VALU_DEP_1)
	v_clz_i32_u32_e32 v22, v14
	v_min_u32_e32 v22, 32, v22
	s_delay_alu instid0(VALU_DEP_1) | instskip(SKIP_1) | instid1(VALU_DEP_2)
	v_subrev_nc_u32_e32 v23, 28, v22
	v_sub_nc_u32_e32 v22, 29, v22
	v_lshlrev_b64_e32 v[26:27], v23, v[14:15]
	s_delay_alu instid0(VALU_DEP_1)
	v_and_b32_e32 v14, 7, v26
; %bb.301:                              ;   in Loop: Header=BB177_296 Depth=1
	s_or_b32 exec_lo, exec_lo, s15
	v_lshlrev_b32_e32 v23, 24, v30
	s_delay_alu instid0(VALU_DEP_2) | instskip(SKIP_1) | instid1(VALU_DEP_3)
	v_lshlrev_b32_e32 v14, 20, v14
	v_lshl_add_u32 v22, v22, 23, 0x3c000000
	v_and_b32_e32 v23, 0x80000000, v23
	s_delay_alu instid0(VALU_DEP_1) | instskip(NEXT) | instid1(VALU_DEP_1)
	v_or3_b32 v14, v14, v23, v22
	v_mov_b64_e32 v[22:23], v[14:15]
.LBB177_302:                            ;   in Loop: Header=BB177_296 Depth=1
	s_or_b32 exec_lo, exec_lo, s14
.LBB177_303:                            ;   in Loop: Header=BB177_296 Depth=1
	s_delay_alu instid0(SALU_CYCLE_1)
	s_or_b32 exec_lo, exec_lo, s11
.LBB177_304:                            ;   in Loop: Header=BB177_296 Depth=1
	s_delay_alu instid0(SALU_CYCLE_1) | instskip(SKIP_2) | instid1(VALU_DEP_1)
	s_or_b32 exec_lo, exec_lo, s0
	v_lshrrev_b16 v14, 8, v30
	s_mov_b32 s0, exec_lo
	v_cmpx_ne_u16_e32 0, v14
	s_cbranch_execz .LBB177_312
; %bb.305:                              ;   in Loop: Header=BB177_296 Depth=1
	v_mov_b64_e32 v[20:21], 0x8000000000000000
	s_mov_b32 s11, exec_lo
	v_cmpx_ne_u16_e32 0x80, v14
	s_cbranch_execz .LBB177_311
; %bb.306:                              ;   in Loop: Header=BB177_296 Depth=1
	v_and_b32_e32 v14, 0xffff, v14
	v_mov_b64_e32 v[20:21], 0x7f80000100000000
	s_mov_b32 s14, exec_lo
	s_delay_alu instid0(VALU_DEP_2) | instskip(NEXT) | instid1(VALU_DEP_1)
	v_and_b32_e32 v26, 0x7f, v14
	v_cmpx_ne_u32_e32 0x7f, v26
	s_cbranch_execz .LBB177_310
; %bb.307:                              ;   in Loop: Header=BB177_296 Depth=1
	v_and_b32_e32 v14, 7, v14
	v_lshrrev_b32_e32 v20, 3, v26
	s_mov_b32 s15, exec_lo
	v_cmpx_gt_u32_e32 8, v26
; %bb.308:                              ;   in Loop: Header=BB177_296 Depth=1
	s_delay_alu instid0(VALU_DEP_3) | instskip(NEXT) | instid1(VALU_DEP_1)
	v_clz_i32_u32_e32 v20, v14
	v_min_u32_e32 v20, 32, v20
	s_delay_alu instid0(VALU_DEP_1) | instskip(NEXT) | instid1(VALU_DEP_1)
	v_subrev_nc_u32_e32 v21, 28, v20
	v_lshlrev_b64_e32 v[26:27], v21, v[14:15]
	s_delay_alu instid0(VALU_DEP_1)
	v_dual_sub_nc_u32 v20, 29, v20 :: v_dual_bitop2_b32 v14, 7, v26 bitop3:0x40
; %bb.309:                              ;   in Loop: Header=BB177_296 Depth=1
	s_or_b32 exec_lo, exec_lo, s15
	v_lshlrev_b32_e32 v21, 16, v30
	s_delay_alu instid0(VALU_DEP_2) | instskip(NEXT) | instid1(VALU_DEP_3)
	v_lshlrev_b32_e32 v14, 20, v14
	v_lshl_add_u32 v20, v20, 23, 0x3c000000
	s_delay_alu instid0(VALU_DEP_3) | instskip(NEXT) | instid1(VALU_DEP_1)
	v_and_b32_e32 v21, 0x80000000, v21
	v_or3_b32 v21, v14, v21, v20
	v_mov_b32_e32 v20, v15
.LBB177_310:                            ;   in Loop: Header=BB177_296 Depth=1
	s_or_b32 exec_lo, exec_lo, s14
.LBB177_311:                            ;   in Loop: Header=BB177_296 Depth=1
	s_delay_alu instid0(SALU_CYCLE_1)
	s_or_b32 exec_lo, exec_lo, s11
.LBB177_312:                            ;   in Loop: Header=BB177_296 Depth=1
	s_delay_alu instid0(SALU_CYCLE_1) | instskip(SKIP_4) | instid1(VALU_DEP_3)
	s_or_b32 exec_lo, exec_lo, s0
	v_lshrrev_b32_e32 v31, 16, v30
	v_mov_b64_e32 v[26:27], 0
	v_mov_b64_e32 v[28:29], 0
	s_mov_b32 s0, exec_lo
	v_and_b32_e32 v14, 0xff, v31
	s_delay_alu instid0(VALU_DEP_1)
	v_cmpx_ne_u16_e32 0, v14
	s_cbranch_execz .LBB177_320
; %bb.313:                              ;   in Loop: Header=BB177_296 Depth=1
	v_mov_b64_e32 v[28:29], 0x80000000
	s_mov_b32 s11, exec_lo
	v_cmpx_ne_u16_e32 0x80, v14
	s_cbranch_execz .LBB177_319
; %bb.314:                              ;   in Loop: Header=BB177_296 Depth=1
	v_mov_b64_e32 v[28:29], 0x7f800001
	v_bfe_u32 v32, v30, 16, 7
	s_mov_b32 s14, exec_lo
	s_delay_alu instid0(VALU_DEP_1)
	v_cmpx_ne_u32_e32 0x7f, v32
	s_cbranch_execz .LBB177_318
; %bb.315:                              ;   in Loop: Header=BB177_296 Depth=1
	v_dual_lshrrev_b32 v28, 3, v32 :: v_dual_bitop2_b32 v14, 7, v31 bitop3:0x40
	s_mov_b32 s15, exec_lo
	v_cmpx_gt_u32_e32 8, v32
; %bb.316:                              ;   in Loop: Header=BB177_296 Depth=1
	s_delay_alu instid0(VALU_DEP_2) | instskip(NEXT) | instid1(VALU_DEP_1)
	v_clz_i32_u32_e32 v28, v14
	v_min_u32_e32 v28, 32, v28
	s_delay_alu instid0(VALU_DEP_1) | instskip(SKIP_1) | instid1(VALU_DEP_2)
	v_subrev_nc_u32_e32 v29, 28, v28
	v_sub_nc_u32_e32 v28, 29, v28
	v_lshlrev_b64_e32 v[32:33], v29, v[14:15]
	s_delay_alu instid0(VALU_DEP_1)
	v_and_b32_e32 v14, 7, v32
; %bb.317:                              ;   in Loop: Header=BB177_296 Depth=1
	s_or_b32 exec_lo, exec_lo, s15
	s_delay_alu instid0(VALU_DEP_1) | instskip(SKIP_1) | instid1(VALU_DEP_2)
	v_dual_lshlrev_b32 v29, 24, v31 :: v_dual_lshlrev_b32 v14, 20, v14
	v_lshl_add_u32 v28, v28, 23, 0x3c000000
	v_and_b32_e32 v29, 0x80000000, v29
	s_delay_alu instid0(VALU_DEP_1) | instskip(NEXT) | instid1(VALU_DEP_1)
	v_or3_b32 v14, v14, v29, v28
	v_mov_b64_e32 v[28:29], v[14:15]
.LBB177_318:                            ;   in Loop: Header=BB177_296 Depth=1
	s_or_b32 exec_lo, exec_lo, s14
.LBB177_319:                            ;   in Loop: Header=BB177_296 Depth=1
	s_delay_alu instid0(SALU_CYCLE_1)
	s_or_b32 exec_lo, exec_lo, s11
.LBB177_320:                            ;   in Loop: Header=BB177_296 Depth=1
	s_delay_alu instid0(SALU_CYCLE_1) | instskip(NEXT) | instid1(SALU_CYCLE_1)
	s_or_b32 exec_lo, exec_lo, s0
	s_mov_b32 s0, exec_lo
	v_cmpx_lt_u32_e32 0xffffff, v30
	s_cbranch_execz .LBB177_328
; %bb.321:                              ;   in Loop: Header=BB177_296 Depth=1
	v_mov_b64_e32 v[26:27], 0x8000000000000000
	v_lshrrev_b32_e32 v31, 24, v30
	s_mov_b32 s11, exec_lo
	s_delay_alu instid0(VALU_DEP_1)
	v_cmpx_ne_u32_e32 0x80, v31
	s_cbranch_execz .LBB177_327
; %bb.322:                              ;   in Loop: Header=BB177_296 Depth=1
	v_mov_b64_e32 v[26:27], 0x7f80000100000000
	v_bfe_u32 v30, v30, 24, 7
	s_mov_b32 s14, exec_lo
	s_delay_alu instid0(VALU_DEP_1)
	v_cmpx_ne_u32_e32 0x7f, v30
	s_cbranch_execz .LBB177_326
; %bb.323:                              ;   in Loop: Header=BB177_296 Depth=1
	v_dual_lshrrev_b32 v26, 3, v30 :: v_dual_bitop2_b32 v14, 7, v31 bitop3:0x40
	s_mov_b32 s15, exec_lo
	v_cmpx_gt_u32_e32 8, v30
; %bb.324:                              ;   in Loop: Header=BB177_296 Depth=1
	s_delay_alu instid0(VALU_DEP_2) | instskip(NEXT) | instid1(VALU_DEP_1)
	v_clz_i32_u32_e32 v26, v14
	v_min_u32_e32 v26, 32, v26
	s_delay_alu instid0(VALU_DEP_1) | instskip(NEXT) | instid1(VALU_DEP_1)
	v_subrev_nc_u32_e32 v27, 28, v26
	v_lshlrev_b64_e32 v[32:33], v27, v[14:15]
	s_delay_alu instid0(VALU_DEP_1)
	v_dual_sub_nc_u32 v26, 29, v26 :: v_dual_bitop2_b32 v14, 7, v32 bitop3:0x40
; %bb.325:                              ;   in Loop: Header=BB177_296 Depth=1
	s_or_b32 exec_lo, exec_lo, s15
	s_delay_alu instid0(VALU_DEP_1) | instskip(NEXT) | instid1(VALU_DEP_2)
	v_dual_lshlrev_b32 v27, 24, v31 :: v_dual_lshlrev_b32 v14, 20, v14
	v_lshl_add_u32 v26, v26, 23, 0x3c000000
	s_delay_alu instid0(VALU_DEP_2) | instskip(NEXT) | instid1(VALU_DEP_1)
	v_and_b32_e32 v27, 0x80000000, v27
	v_or3_b32 v27, v14, v27, v26
	v_mov_b32_e32 v26, v15
.LBB177_326:                            ;   in Loop: Header=BB177_296 Depth=1
	s_or_b32 exec_lo, exec_lo, s14
.LBB177_327:                            ;   in Loop: Header=BB177_296 Depth=1
	s_delay_alu instid0(SALU_CYCLE_1)
	s_or_b32 exec_lo, exec_lo, s11
.LBB177_328:                            ;   in Loop: Header=BB177_296 Depth=1
	s_delay_alu instid0(SALU_CYCLE_1)
	s_or_b32 exec_lo, exec_lo, s0
	v_mov_b64_e32 v[30:31], s[2:3]
	v_or_b32_e32 v21, v21, v23
	v_dual_add_nc_u32 v62, 1, v59 :: v_dual_bitop2_b32 v20, v20, v22 bitop3:0x54
	v_dual_add_nc_u32 v55, 2, v59 :: v_dual_bitop2_b32 v27, v27, v29 bitop3:0x54
	;; [unrolled: 1-line block ×3, first 2 shown]
	v_cmp_eq_u32_e32 vcc_lo, s7, v61
	s_delay_alu instid0(VALU_DEP_4) | instskip(NEXT) | instid1(VALU_DEP_3)
	v_pk_mul_f32 v[22:23], v[30:31], v[20:21]
	v_pk_mul_f32 v[20:21], v[30:31], v[26:27]
	s_and_saveexec_b32 s11, vcc_lo
	s_cbranch_execz .LBB177_330
; %bb.329:                              ;   in Loop: Header=BB177_296 Depth=1
	v_cmp_gt_i32_e64 s0, s23, v59
	s_delay_alu instid0(VALU_DEP_1) | instskip(SKIP_1) | instid1(VALU_DEP_1)
	v_cndmask_b32_e64 v22, 0, v22, s0
	v_cmp_gt_i32_e64 s0, s23, v62
	v_cndmask_b32_e64 v23, 0, v23, s0
	v_cmp_gt_i32_e64 s0, s23, v55
	s_delay_alu instid0(VALU_DEP_1) | instskip(SKIP_1) | instid1(VALU_DEP_1)
	v_cndmask_b32_e64 v20, 0, v20, s0
	v_cmp_gt_i32_e64 s0, s23, v54
	v_cndmask_b32_e64 v21, 0, v21, s0
.LBB177_330:                            ;   in Loop: Header=BB177_296 Depth=1
	s_or_b32 exec_lo, exec_lo, s11
	global_load_b32 v34, v[24:25], off offset:128
	v_mov_b64_e32 v[26:27], 0
	v_mov_b64_e32 v[28:29], 0
	s_mov_b32 s11, exec_lo
	s_wait_loadcnt 0x0
	v_and_b32_e32 v14, 0xff, v34
	s_delay_alu instid0(VALU_DEP_1)
	v_cmpx_ne_u16_e32 0, v14
	s_cbranch_execz .LBB177_338
; %bb.331:                              ;   in Loop: Header=BB177_296 Depth=1
	v_mov_b64_e32 v[28:29], 0x80000000
	s_mov_b32 s14, exec_lo
	v_cmpx_ne_u16_e32 0x80, v14
	s_cbranch_execz .LBB177_337
; %bb.332:                              ;   in Loop: Header=BB177_296 Depth=1
	v_mov_b64_e32 v[28:29], 0x7f800001
	v_and_b32_e32 v30, 0x7f, v34
	s_mov_b32 s15, exec_lo
	s_delay_alu instid0(VALU_DEP_1)
	v_cmpx_ne_u32_e32 0x7f, v30
	s_cbranch_execz .LBB177_336
; %bb.333:                              ;   in Loop: Header=BB177_296 Depth=1
	v_and_b32_e32 v14, 7, v34
	v_lshrrev_b32_e32 v28, 3, v30
	s_mov_b32 s16, exec_lo
	v_cmpx_gt_u32_e32 8, v30
; %bb.334:                              ;   in Loop: Header=BB177_296 Depth=1
	s_delay_alu instid0(VALU_DEP_3) | instskip(NEXT) | instid1(VALU_DEP_1)
	v_clz_i32_u32_e32 v28, v14
	v_min_u32_e32 v28, 32, v28
	s_delay_alu instid0(VALU_DEP_1) | instskip(NEXT) | instid1(VALU_DEP_1)
	v_subrev_nc_u32_e32 v29, 28, v28
	v_lshlrev_b64_e32 v[30:31], v29, v[14:15]
	s_delay_alu instid0(VALU_DEP_1)
	v_dual_sub_nc_u32 v28, 29, v28 :: v_dual_bitop2_b32 v14, 7, v30 bitop3:0x40
; %bb.335:                              ;   in Loop: Header=BB177_296 Depth=1
	s_or_b32 exec_lo, exec_lo, s16
	v_lshlrev_b32_e32 v29, 24, v34
	s_delay_alu instid0(VALU_DEP_2) | instskip(NEXT) | instid1(VALU_DEP_3)
	v_lshlrev_b32_e32 v14, 20, v14
	v_lshl_add_u32 v28, v28, 23, 0x3c000000
	s_delay_alu instid0(VALU_DEP_3) | instskip(NEXT) | instid1(VALU_DEP_1)
	v_and_b32_e32 v29, 0x80000000, v29
	v_or3_b32 v14, v14, v29, v28
	s_delay_alu instid0(VALU_DEP_1)
	v_mov_b64_e32 v[28:29], v[14:15]
.LBB177_336:                            ;   in Loop: Header=BB177_296 Depth=1
	s_or_b32 exec_lo, exec_lo, s15
.LBB177_337:                            ;   in Loop: Header=BB177_296 Depth=1
	s_delay_alu instid0(SALU_CYCLE_1)
	s_or_b32 exec_lo, exec_lo, s14
.LBB177_338:                            ;   in Loop: Header=BB177_296 Depth=1
	s_delay_alu instid0(SALU_CYCLE_1) | instskip(SKIP_2) | instid1(VALU_DEP_1)
	s_or_b32 exec_lo, exec_lo, s11
	v_lshrrev_b16 v14, 8, v34
	s_mov_b32 s11, exec_lo
	v_cmpx_ne_u16_e32 0, v14
	s_cbranch_execz .LBB177_346
; %bb.339:                              ;   in Loop: Header=BB177_296 Depth=1
	v_mov_b64_e32 v[26:27], 0x8000000000000000
	s_mov_b32 s14, exec_lo
	v_cmpx_ne_u16_e32 0x80, v14
	s_cbranch_execz .LBB177_345
; %bb.340:                              ;   in Loop: Header=BB177_296 Depth=1
	v_and_b32_e32 v14, 0xffff, v14
	v_mov_b64_e32 v[26:27], 0x7f80000100000000
	s_mov_b32 s15, exec_lo
	s_delay_alu instid0(VALU_DEP_2) | instskip(NEXT) | instid1(VALU_DEP_1)
	v_and_b32_e32 v30, 0x7f, v14
	v_cmpx_ne_u32_e32 0x7f, v30
	s_cbranch_execz .LBB177_344
; %bb.341:                              ;   in Loop: Header=BB177_296 Depth=1
	v_and_b32_e32 v14, 7, v14
	v_lshrrev_b32_e32 v26, 3, v30
	s_mov_b32 s16, exec_lo
	v_cmpx_gt_u32_e32 8, v30
; %bb.342:                              ;   in Loop: Header=BB177_296 Depth=1
	s_delay_alu instid0(VALU_DEP_3) | instskip(NEXT) | instid1(VALU_DEP_1)
	v_clz_i32_u32_e32 v26, v14
	v_min_u32_e32 v26, 32, v26
	s_delay_alu instid0(VALU_DEP_1) | instskip(SKIP_1) | instid1(VALU_DEP_2)
	v_subrev_nc_u32_e32 v27, 28, v26
	v_sub_nc_u32_e32 v26, 29, v26
	v_lshlrev_b64_e32 v[30:31], v27, v[14:15]
	s_delay_alu instid0(VALU_DEP_1)
	v_and_b32_e32 v14, 7, v30
; %bb.343:                              ;   in Loop: Header=BB177_296 Depth=1
	s_or_b32 exec_lo, exec_lo, s16
	v_lshlrev_b32_e32 v27, 16, v34
	s_delay_alu instid0(VALU_DEP_2) | instskip(SKIP_1) | instid1(VALU_DEP_3)
	v_lshlrev_b32_e32 v14, 20, v14
	v_lshl_add_u32 v26, v26, 23, 0x3c000000
	v_and_b32_e32 v27, 0x80000000, v27
	s_delay_alu instid0(VALU_DEP_1)
	v_or3_b32 v27, v14, v27, v26
	v_mov_b32_e32 v26, v15
.LBB177_344:                            ;   in Loop: Header=BB177_296 Depth=1
	s_or_b32 exec_lo, exec_lo, s15
.LBB177_345:                            ;   in Loop: Header=BB177_296 Depth=1
	s_delay_alu instid0(SALU_CYCLE_1)
	s_or_b32 exec_lo, exec_lo, s14
.LBB177_346:                            ;   in Loop: Header=BB177_296 Depth=1
	s_delay_alu instid0(SALU_CYCLE_1) | instskip(SKIP_4) | instid1(VALU_DEP_3)
	s_or_b32 exec_lo, exec_lo, s11
	v_lshrrev_b32_e32 v35, 16, v34
	v_mov_b64_e32 v[30:31], 0
	v_mov_b64_e32 v[32:33], 0
	s_mov_b32 s11, exec_lo
	v_and_b32_e32 v14, 0xff, v35
	s_delay_alu instid0(VALU_DEP_1)
	v_cmpx_ne_u16_e32 0, v14
	s_cbranch_execz .LBB177_354
; %bb.347:                              ;   in Loop: Header=BB177_296 Depth=1
	v_mov_b64_e32 v[32:33], 0x80000000
	s_mov_b32 s14, exec_lo
	v_cmpx_ne_u16_e32 0x80, v14
	s_cbranch_execz .LBB177_353
; %bb.348:                              ;   in Loop: Header=BB177_296 Depth=1
	v_mov_b64_e32 v[32:33], 0x7f800001
	v_bfe_u32 v36, v34, 16, 7
	s_mov_b32 s15, exec_lo
	s_delay_alu instid0(VALU_DEP_1)
	v_cmpx_ne_u32_e32 0x7f, v36
	s_cbranch_execz .LBB177_352
; %bb.349:                              ;   in Loop: Header=BB177_296 Depth=1
	v_dual_lshrrev_b32 v32, 3, v36 :: v_dual_bitop2_b32 v14, 7, v35 bitop3:0x40
	s_mov_b32 s16, exec_lo
	v_cmpx_gt_u32_e32 8, v36
; %bb.350:                              ;   in Loop: Header=BB177_296 Depth=1
	s_delay_alu instid0(VALU_DEP_2) | instskip(NEXT) | instid1(VALU_DEP_1)
	v_clz_i32_u32_e32 v32, v14
	v_min_u32_e32 v32, 32, v32
	s_delay_alu instid0(VALU_DEP_1) | instskip(SKIP_1) | instid1(VALU_DEP_2)
	v_subrev_nc_u32_e32 v33, 28, v32
	v_sub_nc_u32_e32 v32, 29, v32
	v_lshlrev_b64_e32 v[36:37], v33, v[14:15]
	s_delay_alu instid0(VALU_DEP_1)
	v_and_b32_e32 v14, 7, v36
; %bb.351:                              ;   in Loop: Header=BB177_296 Depth=1
	s_or_b32 exec_lo, exec_lo, s16
	s_delay_alu instid0(VALU_DEP_1) | instskip(SKIP_1) | instid1(VALU_DEP_2)
	v_dual_lshlrev_b32 v33, 24, v35 :: v_dual_lshlrev_b32 v14, 20, v14
	v_lshl_add_u32 v32, v32, 23, 0x3c000000
	v_and_b32_e32 v33, 0x80000000, v33
	s_delay_alu instid0(VALU_DEP_1) | instskip(NEXT) | instid1(VALU_DEP_1)
	v_or3_b32 v14, v14, v33, v32
	v_mov_b64_e32 v[32:33], v[14:15]
.LBB177_352:                            ;   in Loop: Header=BB177_296 Depth=1
	s_or_b32 exec_lo, exec_lo, s15
.LBB177_353:                            ;   in Loop: Header=BB177_296 Depth=1
	s_delay_alu instid0(SALU_CYCLE_1)
	s_or_b32 exec_lo, exec_lo, s14
.LBB177_354:                            ;   in Loop: Header=BB177_296 Depth=1
	s_delay_alu instid0(SALU_CYCLE_1) | instskip(NEXT) | instid1(SALU_CYCLE_1)
	s_or_b32 exec_lo, exec_lo, s11
	s_mov_b32 s11, exec_lo
	v_cmpx_lt_u32_e32 0xffffff, v34
	s_cbranch_execz .LBB177_362
; %bb.355:                              ;   in Loop: Header=BB177_296 Depth=1
	v_mov_b64_e32 v[30:31], 0x8000000000000000
	v_lshrrev_b32_e32 v35, 24, v34
	s_mov_b32 s14, exec_lo
	s_delay_alu instid0(VALU_DEP_1)
	v_cmpx_ne_u32_e32 0x80, v35
	s_cbranch_execz .LBB177_361
; %bb.356:                              ;   in Loop: Header=BB177_296 Depth=1
	v_mov_b64_e32 v[30:31], 0x7f80000100000000
	v_bfe_u32 v34, v34, 24, 7
	s_mov_b32 s15, exec_lo
	s_delay_alu instid0(VALU_DEP_1)
	v_cmpx_ne_u32_e32 0x7f, v34
	s_cbranch_execz .LBB177_360
; %bb.357:                              ;   in Loop: Header=BB177_296 Depth=1
	v_dual_lshrrev_b32 v30, 3, v34 :: v_dual_bitop2_b32 v14, 7, v35 bitop3:0x40
	s_mov_b32 s16, exec_lo
	v_cmpx_gt_u32_e32 8, v34
; %bb.358:                              ;   in Loop: Header=BB177_296 Depth=1
	s_delay_alu instid0(VALU_DEP_2) | instskip(NEXT) | instid1(VALU_DEP_1)
	v_clz_i32_u32_e32 v30, v14
	v_min_u32_e32 v30, 32, v30
	s_delay_alu instid0(VALU_DEP_1) | instskip(NEXT) | instid1(VALU_DEP_1)
	v_subrev_nc_u32_e32 v31, 28, v30
	v_lshlrev_b64_e32 v[36:37], v31, v[14:15]
	s_delay_alu instid0(VALU_DEP_1)
	v_dual_sub_nc_u32 v30, 29, v30 :: v_dual_bitop2_b32 v14, 7, v36 bitop3:0x40
; %bb.359:                              ;   in Loop: Header=BB177_296 Depth=1
	s_or_b32 exec_lo, exec_lo, s16
	s_delay_alu instid0(VALU_DEP_1) | instskip(NEXT) | instid1(VALU_DEP_2)
	v_dual_lshlrev_b32 v31, 24, v35 :: v_dual_lshlrev_b32 v14, 20, v14
	v_lshl_add_u32 v30, v30, 23, 0x3c000000
	s_delay_alu instid0(VALU_DEP_2) | instskip(NEXT) | instid1(VALU_DEP_1)
	v_and_b32_e32 v31, 0x80000000, v31
	v_or3_b32 v31, v14, v31, v30
	v_mov_b32_e32 v30, v15
.LBB177_360:                            ;   in Loop: Header=BB177_296 Depth=1
	s_or_b32 exec_lo, exec_lo, s15
.LBB177_361:                            ;   in Loop: Header=BB177_296 Depth=1
	s_delay_alu instid0(SALU_CYCLE_1)
	s_or_b32 exec_lo, exec_lo, s14
.LBB177_362:                            ;   in Loop: Header=BB177_296 Depth=1
	s_delay_alu instid0(SALU_CYCLE_1)
	s_or_b32 exec_lo, exec_lo, s11
	v_mov_b64_e32 v[34:35], s[2:3]
	v_or_b32_e32 v27, v27, v29
	v_or_b32_e32 v26, v26, v28
	;; [unrolled: 1-line block ×4, first 2 shown]
	s_delay_alu instid0(VALU_DEP_3) | instskip(NEXT) | instid1(VALU_DEP_2)
	v_pk_mul_f32 v[28:29], v[34:35], v[26:27]
	v_pk_mul_f32 v[26:27], v[34:35], v[30:31]
	s_and_saveexec_b32 s11, vcc_lo
	s_cbranch_execz .LBB177_364
; %bb.363:                              ;   in Loop: Header=BB177_296 Depth=1
	v_cmp_gt_i32_e64 s0, s23, v59
	s_delay_alu instid0(VALU_DEP_1) | instskip(SKIP_1) | instid1(VALU_DEP_1)
	v_cndmask_b32_e64 v28, 0, v28, s0
	v_cmp_gt_i32_e64 s0, s23, v62
	v_cndmask_b32_e64 v29, 0, v29, s0
	v_cmp_gt_i32_e64 s0, s23, v55
	s_delay_alu instid0(VALU_DEP_1) | instskip(SKIP_1) | instid1(VALU_DEP_1)
	v_cndmask_b32_e64 v26, 0, v26, s0
	v_cmp_gt_i32_e64 s0, s23, v54
	v_cndmask_b32_e64 v27, 0, v27, s0
.LBB177_364:                            ;   in Loop: Header=BB177_296 Depth=1
	s_or_b32 exec_lo, exec_lo, s11
	global_load_b32 v38, v[24:25], off offset:256
	v_mov_b64_e32 v[30:31], 0
	v_mov_b64_e32 v[32:33], 0
	s_mov_b32 s11, exec_lo
	s_wait_loadcnt 0x0
	v_and_b32_e32 v14, 0xff, v38
	s_delay_alu instid0(VALU_DEP_1)
	v_cmpx_ne_u16_e32 0, v14
	s_cbranch_execz .LBB177_372
; %bb.365:                              ;   in Loop: Header=BB177_296 Depth=1
	v_mov_b64_e32 v[32:33], 0x80000000
	s_mov_b32 s14, exec_lo
	v_cmpx_ne_u16_e32 0x80, v14
	s_cbranch_execz .LBB177_371
; %bb.366:                              ;   in Loop: Header=BB177_296 Depth=1
	v_mov_b64_e32 v[32:33], 0x7f800001
	v_and_b32_e32 v34, 0x7f, v38
	s_mov_b32 s15, exec_lo
	s_delay_alu instid0(VALU_DEP_1)
	v_cmpx_ne_u32_e32 0x7f, v34
	s_cbranch_execz .LBB177_370
; %bb.367:                              ;   in Loop: Header=BB177_296 Depth=1
	v_and_b32_e32 v14, 7, v38
	v_lshrrev_b32_e32 v32, 3, v34
	s_mov_b32 s16, exec_lo
	v_cmpx_gt_u32_e32 8, v34
; %bb.368:                              ;   in Loop: Header=BB177_296 Depth=1
	s_delay_alu instid0(VALU_DEP_3) | instskip(NEXT) | instid1(VALU_DEP_1)
	v_clz_i32_u32_e32 v32, v14
	v_min_u32_e32 v32, 32, v32
	s_delay_alu instid0(VALU_DEP_1) | instskip(NEXT) | instid1(VALU_DEP_1)
	v_subrev_nc_u32_e32 v33, 28, v32
	v_lshlrev_b64_e32 v[34:35], v33, v[14:15]
	s_delay_alu instid0(VALU_DEP_1)
	v_dual_sub_nc_u32 v32, 29, v32 :: v_dual_bitop2_b32 v14, 7, v34 bitop3:0x40
; %bb.369:                              ;   in Loop: Header=BB177_296 Depth=1
	s_or_b32 exec_lo, exec_lo, s16
	v_lshlrev_b32_e32 v33, 24, v38
	s_delay_alu instid0(VALU_DEP_2) | instskip(NEXT) | instid1(VALU_DEP_3)
	v_lshlrev_b32_e32 v14, 20, v14
	v_lshl_add_u32 v32, v32, 23, 0x3c000000
	s_delay_alu instid0(VALU_DEP_3) | instskip(NEXT) | instid1(VALU_DEP_1)
	v_and_b32_e32 v33, 0x80000000, v33
	v_or3_b32 v14, v14, v33, v32
	s_delay_alu instid0(VALU_DEP_1)
	v_mov_b64_e32 v[32:33], v[14:15]
.LBB177_370:                            ;   in Loop: Header=BB177_296 Depth=1
	s_or_b32 exec_lo, exec_lo, s15
.LBB177_371:                            ;   in Loop: Header=BB177_296 Depth=1
	s_delay_alu instid0(SALU_CYCLE_1)
	s_or_b32 exec_lo, exec_lo, s14
.LBB177_372:                            ;   in Loop: Header=BB177_296 Depth=1
	s_delay_alu instid0(SALU_CYCLE_1) | instskip(SKIP_2) | instid1(VALU_DEP_1)
	s_or_b32 exec_lo, exec_lo, s11
	v_lshrrev_b16 v14, 8, v38
	s_mov_b32 s11, exec_lo
	v_cmpx_ne_u16_e32 0, v14
	s_cbranch_execz .LBB177_380
; %bb.373:                              ;   in Loop: Header=BB177_296 Depth=1
	v_mov_b64_e32 v[30:31], 0x8000000000000000
	s_mov_b32 s14, exec_lo
	v_cmpx_ne_u16_e32 0x80, v14
	s_cbranch_execz .LBB177_379
; %bb.374:                              ;   in Loop: Header=BB177_296 Depth=1
	v_and_b32_e32 v14, 0xffff, v14
	v_mov_b64_e32 v[30:31], 0x7f80000100000000
	s_mov_b32 s15, exec_lo
	s_delay_alu instid0(VALU_DEP_2) | instskip(NEXT) | instid1(VALU_DEP_1)
	v_and_b32_e32 v34, 0x7f, v14
	v_cmpx_ne_u32_e32 0x7f, v34
	s_cbranch_execz .LBB177_378
; %bb.375:                              ;   in Loop: Header=BB177_296 Depth=1
	v_and_b32_e32 v14, 7, v14
	v_lshrrev_b32_e32 v30, 3, v34
	s_mov_b32 s16, exec_lo
	v_cmpx_gt_u32_e32 8, v34
; %bb.376:                              ;   in Loop: Header=BB177_296 Depth=1
	s_delay_alu instid0(VALU_DEP_3) | instskip(NEXT) | instid1(VALU_DEP_1)
	v_clz_i32_u32_e32 v30, v14
	v_min_u32_e32 v30, 32, v30
	s_delay_alu instid0(VALU_DEP_1) | instskip(SKIP_1) | instid1(VALU_DEP_2)
	v_subrev_nc_u32_e32 v31, 28, v30
	v_sub_nc_u32_e32 v30, 29, v30
	v_lshlrev_b64_e32 v[34:35], v31, v[14:15]
	s_delay_alu instid0(VALU_DEP_1)
	v_and_b32_e32 v14, 7, v34
; %bb.377:                              ;   in Loop: Header=BB177_296 Depth=1
	s_or_b32 exec_lo, exec_lo, s16
	v_lshlrev_b32_e32 v31, 16, v38
	s_delay_alu instid0(VALU_DEP_2) | instskip(SKIP_1) | instid1(VALU_DEP_3)
	v_lshlrev_b32_e32 v14, 20, v14
	v_lshl_add_u32 v30, v30, 23, 0x3c000000
	v_and_b32_e32 v31, 0x80000000, v31
	s_delay_alu instid0(VALU_DEP_1)
	v_or3_b32 v31, v14, v31, v30
	v_mov_b32_e32 v30, v15
.LBB177_378:                            ;   in Loop: Header=BB177_296 Depth=1
	s_or_b32 exec_lo, exec_lo, s15
.LBB177_379:                            ;   in Loop: Header=BB177_296 Depth=1
	s_delay_alu instid0(SALU_CYCLE_1)
	s_or_b32 exec_lo, exec_lo, s14
.LBB177_380:                            ;   in Loop: Header=BB177_296 Depth=1
	s_delay_alu instid0(SALU_CYCLE_1) | instskip(SKIP_4) | instid1(VALU_DEP_3)
	s_or_b32 exec_lo, exec_lo, s11
	v_lshrrev_b32_e32 v39, 16, v38
	v_mov_b64_e32 v[34:35], 0
	v_mov_b64_e32 v[36:37], 0
	s_mov_b32 s11, exec_lo
	v_and_b32_e32 v14, 0xff, v39
	s_delay_alu instid0(VALU_DEP_1)
	v_cmpx_ne_u16_e32 0, v14
	s_cbranch_execz .LBB177_388
; %bb.381:                              ;   in Loop: Header=BB177_296 Depth=1
	v_mov_b64_e32 v[36:37], 0x80000000
	s_mov_b32 s14, exec_lo
	v_cmpx_ne_u16_e32 0x80, v14
	s_cbranch_execz .LBB177_387
; %bb.382:                              ;   in Loop: Header=BB177_296 Depth=1
	v_mov_b64_e32 v[36:37], 0x7f800001
	v_bfe_u32 v40, v38, 16, 7
	s_mov_b32 s15, exec_lo
	s_delay_alu instid0(VALU_DEP_1)
	v_cmpx_ne_u32_e32 0x7f, v40
	s_cbranch_execz .LBB177_386
; %bb.383:                              ;   in Loop: Header=BB177_296 Depth=1
	v_dual_lshrrev_b32 v36, 3, v40 :: v_dual_bitop2_b32 v14, 7, v39 bitop3:0x40
	s_mov_b32 s16, exec_lo
	v_cmpx_gt_u32_e32 8, v40
; %bb.384:                              ;   in Loop: Header=BB177_296 Depth=1
	s_delay_alu instid0(VALU_DEP_2) | instskip(NEXT) | instid1(VALU_DEP_1)
	v_clz_i32_u32_e32 v36, v14
	v_min_u32_e32 v36, 32, v36
	s_delay_alu instid0(VALU_DEP_1) | instskip(SKIP_1) | instid1(VALU_DEP_2)
	v_subrev_nc_u32_e32 v37, 28, v36
	v_sub_nc_u32_e32 v36, 29, v36
	v_lshlrev_b64_e32 v[40:41], v37, v[14:15]
	s_delay_alu instid0(VALU_DEP_1)
	v_and_b32_e32 v14, 7, v40
; %bb.385:                              ;   in Loop: Header=BB177_296 Depth=1
	s_or_b32 exec_lo, exec_lo, s16
	s_delay_alu instid0(VALU_DEP_1) | instskip(SKIP_1) | instid1(VALU_DEP_2)
	v_dual_lshlrev_b32 v37, 24, v39 :: v_dual_lshlrev_b32 v14, 20, v14
	v_lshl_add_u32 v36, v36, 23, 0x3c000000
	v_and_b32_e32 v37, 0x80000000, v37
	s_delay_alu instid0(VALU_DEP_1) | instskip(NEXT) | instid1(VALU_DEP_1)
	v_or3_b32 v14, v14, v37, v36
	v_mov_b64_e32 v[36:37], v[14:15]
.LBB177_386:                            ;   in Loop: Header=BB177_296 Depth=1
	s_or_b32 exec_lo, exec_lo, s15
.LBB177_387:                            ;   in Loop: Header=BB177_296 Depth=1
	s_delay_alu instid0(SALU_CYCLE_1)
	s_or_b32 exec_lo, exec_lo, s14
.LBB177_388:                            ;   in Loop: Header=BB177_296 Depth=1
	s_delay_alu instid0(SALU_CYCLE_1) | instskip(NEXT) | instid1(SALU_CYCLE_1)
	s_or_b32 exec_lo, exec_lo, s11
	s_mov_b32 s11, exec_lo
	v_cmpx_lt_u32_e32 0xffffff, v38
	s_cbranch_execz .LBB177_396
; %bb.389:                              ;   in Loop: Header=BB177_296 Depth=1
	v_mov_b64_e32 v[34:35], 0x8000000000000000
	v_lshrrev_b32_e32 v39, 24, v38
	s_mov_b32 s14, exec_lo
	s_delay_alu instid0(VALU_DEP_1)
	v_cmpx_ne_u32_e32 0x80, v39
	s_cbranch_execz .LBB177_395
; %bb.390:                              ;   in Loop: Header=BB177_296 Depth=1
	v_mov_b64_e32 v[34:35], 0x7f80000100000000
	v_bfe_u32 v38, v38, 24, 7
	s_mov_b32 s15, exec_lo
	s_delay_alu instid0(VALU_DEP_1)
	v_cmpx_ne_u32_e32 0x7f, v38
	s_cbranch_execz .LBB177_394
; %bb.391:                              ;   in Loop: Header=BB177_296 Depth=1
	v_dual_lshrrev_b32 v34, 3, v38 :: v_dual_bitop2_b32 v14, 7, v39 bitop3:0x40
	s_mov_b32 s16, exec_lo
	v_cmpx_gt_u32_e32 8, v38
; %bb.392:                              ;   in Loop: Header=BB177_296 Depth=1
	s_delay_alu instid0(VALU_DEP_2) | instskip(NEXT) | instid1(VALU_DEP_1)
	v_clz_i32_u32_e32 v34, v14
	v_min_u32_e32 v34, 32, v34
	s_delay_alu instid0(VALU_DEP_1) | instskip(NEXT) | instid1(VALU_DEP_1)
	v_subrev_nc_u32_e32 v35, 28, v34
	v_lshlrev_b64_e32 v[40:41], v35, v[14:15]
	s_delay_alu instid0(VALU_DEP_1)
	v_dual_sub_nc_u32 v34, 29, v34 :: v_dual_bitop2_b32 v14, 7, v40 bitop3:0x40
; %bb.393:                              ;   in Loop: Header=BB177_296 Depth=1
	s_or_b32 exec_lo, exec_lo, s16
	s_delay_alu instid0(VALU_DEP_1) | instskip(NEXT) | instid1(VALU_DEP_2)
	v_dual_lshlrev_b32 v35, 24, v39 :: v_dual_lshlrev_b32 v14, 20, v14
	v_lshl_add_u32 v34, v34, 23, 0x3c000000
	s_delay_alu instid0(VALU_DEP_2) | instskip(NEXT) | instid1(VALU_DEP_1)
	v_and_b32_e32 v35, 0x80000000, v35
	v_or3_b32 v35, v14, v35, v34
	v_mov_b32_e32 v34, v15
.LBB177_394:                            ;   in Loop: Header=BB177_296 Depth=1
	s_or_b32 exec_lo, exec_lo, s15
.LBB177_395:                            ;   in Loop: Header=BB177_296 Depth=1
	s_delay_alu instid0(SALU_CYCLE_1)
	s_or_b32 exec_lo, exec_lo, s14
.LBB177_396:                            ;   in Loop: Header=BB177_296 Depth=1
	s_delay_alu instid0(SALU_CYCLE_1)
	s_or_b32 exec_lo, exec_lo, s11
	v_mov_b64_e32 v[38:39], s[2:3]
	v_or_b32_e32 v31, v31, v33
	v_or_b32_e32 v30, v30, v32
	;; [unrolled: 1-line block ×4, first 2 shown]
	s_delay_alu instid0(VALU_DEP_3) | instskip(NEXT) | instid1(VALU_DEP_2)
	v_pk_mul_f32 v[32:33], v[38:39], v[30:31]
	v_pk_mul_f32 v[30:31], v[38:39], v[34:35]
	s_and_saveexec_b32 s11, vcc_lo
	s_cbranch_execz .LBB177_398
; %bb.397:                              ;   in Loop: Header=BB177_296 Depth=1
	v_cmp_gt_i32_e64 s0, s23, v59
	s_delay_alu instid0(VALU_DEP_1) | instskip(SKIP_1) | instid1(VALU_DEP_1)
	v_cndmask_b32_e64 v32, 0, v32, s0
	v_cmp_gt_i32_e64 s0, s23, v62
	v_cndmask_b32_e64 v33, 0, v33, s0
	v_cmp_gt_i32_e64 s0, s23, v55
	s_delay_alu instid0(VALU_DEP_1) | instskip(SKIP_1) | instid1(VALU_DEP_1)
	v_cndmask_b32_e64 v30, 0, v30, s0
	v_cmp_gt_i32_e64 s0, s23, v54
	v_cndmask_b32_e64 v31, 0, v31, s0
.LBB177_398:                            ;   in Loop: Header=BB177_296 Depth=1
	s_or_b32 exec_lo, exec_lo, s11
	global_load_b32 v42, v[24:25], off offset:384
	v_mov_b64_e32 v[34:35], 0
	v_mov_b64_e32 v[36:37], 0
	s_mov_b32 s11, exec_lo
	s_wait_loadcnt 0x0
	v_and_b32_e32 v14, 0xff, v42
	s_delay_alu instid0(VALU_DEP_1)
	v_cmpx_ne_u16_e32 0, v14
	s_cbranch_execz .LBB177_406
; %bb.399:                              ;   in Loop: Header=BB177_296 Depth=1
	v_mov_b64_e32 v[36:37], 0x80000000
	s_mov_b32 s14, exec_lo
	v_cmpx_ne_u16_e32 0x80, v14
	s_cbranch_execz .LBB177_405
; %bb.400:                              ;   in Loop: Header=BB177_296 Depth=1
	v_mov_b64_e32 v[36:37], 0x7f800001
	v_and_b32_e32 v38, 0x7f, v42
	s_mov_b32 s15, exec_lo
	s_delay_alu instid0(VALU_DEP_1)
	v_cmpx_ne_u32_e32 0x7f, v38
	s_cbranch_execz .LBB177_404
; %bb.401:                              ;   in Loop: Header=BB177_296 Depth=1
	v_and_b32_e32 v14, 7, v42
	v_lshrrev_b32_e32 v36, 3, v38
	s_mov_b32 s16, exec_lo
	v_cmpx_gt_u32_e32 8, v38
; %bb.402:                              ;   in Loop: Header=BB177_296 Depth=1
	s_delay_alu instid0(VALU_DEP_3) | instskip(NEXT) | instid1(VALU_DEP_1)
	v_clz_i32_u32_e32 v36, v14
	v_min_u32_e32 v36, 32, v36
	s_delay_alu instid0(VALU_DEP_1) | instskip(NEXT) | instid1(VALU_DEP_1)
	v_subrev_nc_u32_e32 v37, 28, v36
	v_lshlrev_b64_e32 v[38:39], v37, v[14:15]
	s_delay_alu instid0(VALU_DEP_1)
	v_dual_sub_nc_u32 v36, 29, v36 :: v_dual_bitop2_b32 v14, 7, v38 bitop3:0x40
; %bb.403:                              ;   in Loop: Header=BB177_296 Depth=1
	s_or_b32 exec_lo, exec_lo, s16
	v_lshlrev_b32_e32 v37, 24, v42
	s_delay_alu instid0(VALU_DEP_2) | instskip(NEXT) | instid1(VALU_DEP_3)
	v_lshlrev_b32_e32 v14, 20, v14
	v_lshl_add_u32 v36, v36, 23, 0x3c000000
	s_delay_alu instid0(VALU_DEP_3) | instskip(NEXT) | instid1(VALU_DEP_1)
	v_and_b32_e32 v37, 0x80000000, v37
	v_or3_b32 v14, v14, v37, v36
	s_delay_alu instid0(VALU_DEP_1)
	v_mov_b64_e32 v[36:37], v[14:15]
.LBB177_404:                            ;   in Loop: Header=BB177_296 Depth=1
	s_or_b32 exec_lo, exec_lo, s15
.LBB177_405:                            ;   in Loop: Header=BB177_296 Depth=1
	s_delay_alu instid0(SALU_CYCLE_1)
	s_or_b32 exec_lo, exec_lo, s14
.LBB177_406:                            ;   in Loop: Header=BB177_296 Depth=1
	s_delay_alu instid0(SALU_CYCLE_1) | instskip(SKIP_2) | instid1(VALU_DEP_1)
	s_or_b32 exec_lo, exec_lo, s11
	v_lshrrev_b16 v14, 8, v42
	s_mov_b32 s11, exec_lo
	v_cmpx_ne_u16_e32 0, v14
	s_cbranch_execz .LBB177_414
; %bb.407:                              ;   in Loop: Header=BB177_296 Depth=1
	v_mov_b64_e32 v[34:35], 0x8000000000000000
	s_mov_b32 s14, exec_lo
	v_cmpx_ne_u16_e32 0x80, v14
	s_cbranch_execz .LBB177_413
; %bb.408:                              ;   in Loop: Header=BB177_296 Depth=1
	v_and_b32_e32 v14, 0xffff, v14
	v_mov_b64_e32 v[34:35], 0x7f80000100000000
	s_mov_b32 s15, exec_lo
	s_delay_alu instid0(VALU_DEP_2) | instskip(NEXT) | instid1(VALU_DEP_1)
	v_and_b32_e32 v38, 0x7f, v14
	v_cmpx_ne_u32_e32 0x7f, v38
	s_cbranch_execz .LBB177_412
; %bb.409:                              ;   in Loop: Header=BB177_296 Depth=1
	v_and_b32_e32 v14, 7, v14
	v_lshrrev_b32_e32 v34, 3, v38
	s_mov_b32 s16, exec_lo
	v_cmpx_gt_u32_e32 8, v38
; %bb.410:                              ;   in Loop: Header=BB177_296 Depth=1
	s_delay_alu instid0(VALU_DEP_3) | instskip(NEXT) | instid1(VALU_DEP_1)
	v_clz_i32_u32_e32 v34, v14
	v_min_u32_e32 v34, 32, v34
	s_delay_alu instid0(VALU_DEP_1) | instskip(SKIP_1) | instid1(VALU_DEP_2)
	v_subrev_nc_u32_e32 v35, 28, v34
	v_sub_nc_u32_e32 v34, 29, v34
	v_lshlrev_b64_e32 v[38:39], v35, v[14:15]
	s_delay_alu instid0(VALU_DEP_1)
	v_and_b32_e32 v14, 7, v38
; %bb.411:                              ;   in Loop: Header=BB177_296 Depth=1
	s_or_b32 exec_lo, exec_lo, s16
	v_lshlrev_b32_e32 v35, 16, v42
	s_delay_alu instid0(VALU_DEP_2) | instskip(SKIP_1) | instid1(VALU_DEP_3)
	v_lshlrev_b32_e32 v14, 20, v14
	v_lshl_add_u32 v34, v34, 23, 0x3c000000
	v_and_b32_e32 v35, 0x80000000, v35
	s_delay_alu instid0(VALU_DEP_1)
	v_or3_b32 v35, v14, v35, v34
	v_mov_b32_e32 v34, v15
.LBB177_412:                            ;   in Loop: Header=BB177_296 Depth=1
	s_or_b32 exec_lo, exec_lo, s15
.LBB177_413:                            ;   in Loop: Header=BB177_296 Depth=1
	s_delay_alu instid0(SALU_CYCLE_1)
	s_or_b32 exec_lo, exec_lo, s14
.LBB177_414:                            ;   in Loop: Header=BB177_296 Depth=1
	s_delay_alu instid0(SALU_CYCLE_1) | instskip(SKIP_4) | instid1(VALU_DEP_3)
	s_or_b32 exec_lo, exec_lo, s11
	v_lshrrev_b32_e32 v43, 16, v42
	v_mov_b64_e32 v[38:39], 0
	v_mov_b64_e32 v[40:41], 0
	s_mov_b32 s11, exec_lo
	v_and_b32_e32 v14, 0xff, v43
	s_delay_alu instid0(VALU_DEP_1)
	v_cmpx_ne_u16_e32 0, v14
	s_cbranch_execz .LBB177_422
; %bb.415:                              ;   in Loop: Header=BB177_296 Depth=1
	v_mov_b64_e32 v[40:41], 0x80000000
	s_mov_b32 s14, exec_lo
	v_cmpx_ne_u16_e32 0x80, v14
	s_cbranch_execz .LBB177_421
; %bb.416:                              ;   in Loop: Header=BB177_296 Depth=1
	v_mov_b64_e32 v[40:41], 0x7f800001
	v_bfe_u32 v44, v42, 16, 7
	s_mov_b32 s15, exec_lo
	s_delay_alu instid0(VALU_DEP_1)
	v_cmpx_ne_u32_e32 0x7f, v44
	s_cbranch_execz .LBB177_420
; %bb.417:                              ;   in Loop: Header=BB177_296 Depth=1
	v_dual_lshrrev_b32 v40, 3, v44 :: v_dual_bitop2_b32 v14, 7, v43 bitop3:0x40
	s_mov_b32 s16, exec_lo
	v_cmpx_gt_u32_e32 8, v44
; %bb.418:                              ;   in Loop: Header=BB177_296 Depth=1
	s_delay_alu instid0(VALU_DEP_2) | instskip(NEXT) | instid1(VALU_DEP_1)
	v_clz_i32_u32_e32 v40, v14
	v_min_u32_e32 v40, 32, v40
	s_delay_alu instid0(VALU_DEP_1) | instskip(SKIP_1) | instid1(VALU_DEP_2)
	v_subrev_nc_u32_e32 v41, 28, v40
	v_sub_nc_u32_e32 v40, 29, v40
	v_lshlrev_b64_e32 v[44:45], v41, v[14:15]
	s_delay_alu instid0(VALU_DEP_1)
	v_and_b32_e32 v14, 7, v44
; %bb.419:                              ;   in Loop: Header=BB177_296 Depth=1
	s_or_b32 exec_lo, exec_lo, s16
	s_delay_alu instid0(VALU_DEP_1) | instskip(SKIP_1) | instid1(VALU_DEP_2)
	v_dual_lshlrev_b32 v41, 24, v43 :: v_dual_lshlrev_b32 v14, 20, v14
	v_lshl_add_u32 v40, v40, 23, 0x3c000000
	v_and_b32_e32 v41, 0x80000000, v41
	s_delay_alu instid0(VALU_DEP_1) | instskip(NEXT) | instid1(VALU_DEP_1)
	v_or3_b32 v14, v14, v41, v40
	v_mov_b64_e32 v[40:41], v[14:15]
.LBB177_420:                            ;   in Loop: Header=BB177_296 Depth=1
	s_or_b32 exec_lo, exec_lo, s15
.LBB177_421:                            ;   in Loop: Header=BB177_296 Depth=1
	s_delay_alu instid0(SALU_CYCLE_1)
	s_or_b32 exec_lo, exec_lo, s14
.LBB177_422:                            ;   in Loop: Header=BB177_296 Depth=1
	s_delay_alu instid0(SALU_CYCLE_1) | instskip(NEXT) | instid1(SALU_CYCLE_1)
	s_or_b32 exec_lo, exec_lo, s11
	s_mov_b32 s11, exec_lo
	v_cmpx_lt_u32_e32 0xffffff, v42
	s_cbranch_execz .LBB177_430
; %bb.423:                              ;   in Loop: Header=BB177_296 Depth=1
	v_mov_b64_e32 v[38:39], 0x8000000000000000
	v_lshrrev_b32_e32 v43, 24, v42
	s_mov_b32 s14, exec_lo
	s_delay_alu instid0(VALU_DEP_1)
	v_cmpx_ne_u32_e32 0x80, v43
	s_cbranch_execz .LBB177_429
; %bb.424:                              ;   in Loop: Header=BB177_296 Depth=1
	v_mov_b64_e32 v[38:39], 0x7f80000100000000
	v_bfe_u32 v42, v42, 24, 7
	s_mov_b32 s15, exec_lo
	s_delay_alu instid0(VALU_DEP_1)
	v_cmpx_ne_u32_e32 0x7f, v42
	s_cbranch_execz .LBB177_428
; %bb.425:                              ;   in Loop: Header=BB177_296 Depth=1
	v_dual_lshrrev_b32 v38, 3, v42 :: v_dual_bitop2_b32 v14, 7, v43 bitop3:0x40
	s_mov_b32 s16, exec_lo
	v_cmpx_gt_u32_e32 8, v42
; %bb.426:                              ;   in Loop: Header=BB177_296 Depth=1
	s_delay_alu instid0(VALU_DEP_2) | instskip(NEXT) | instid1(VALU_DEP_1)
	v_clz_i32_u32_e32 v38, v14
	v_min_u32_e32 v38, 32, v38
	s_delay_alu instid0(VALU_DEP_1) | instskip(NEXT) | instid1(VALU_DEP_1)
	v_subrev_nc_u32_e32 v39, 28, v38
	v_lshlrev_b64_e32 v[44:45], v39, v[14:15]
	s_delay_alu instid0(VALU_DEP_1)
	v_dual_sub_nc_u32 v38, 29, v38 :: v_dual_bitop2_b32 v14, 7, v44 bitop3:0x40
; %bb.427:                              ;   in Loop: Header=BB177_296 Depth=1
	s_or_b32 exec_lo, exec_lo, s16
	s_delay_alu instid0(VALU_DEP_1) | instskip(NEXT) | instid1(VALU_DEP_2)
	v_dual_lshlrev_b32 v39, 24, v43 :: v_dual_lshlrev_b32 v14, 20, v14
	v_lshl_add_u32 v38, v38, 23, 0x3c000000
	s_delay_alu instid0(VALU_DEP_2) | instskip(NEXT) | instid1(VALU_DEP_1)
	v_and_b32_e32 v39, 0x80000000, v39
	v_or3_b32 v39, v14, v39, v38
	v_mov_b32_e32 v38, v15
.LBB177_428:                            ;   in Loop: Header=BB177_296 Depth=1
	s_or_b32 exec_lo, exec_lo, s15
.LBB177_429:                            ;   in Loop: Header=BB177_296 Depth=1
	s_delay_alu instid0(SALU_CYCLE_1)
	s_or_b32 exec_lo, exec_lo, s14
.LBB177_430:                            ;   in Loop: Header=BB177_296 Depth=1
	s_delay_alu instid0(SALU_CYCLE_1)
	s_or_b32 exec_lo, exec_lo, s11
	v_mov_b64_e32 v[42:43], s[2:3]
	v_or_b32_e32 v35, v35, v37
	v_or_b32_e32 v34, v34, v36
	;; [unrolled: 1-line block ×4, first 2 shown]
	s_delay_alu instid0(VALU_DEP_3) | instskip(NEXT) | instid1(VALU_DEP_2)
	v_pk_mul_f32 v[36:37], v[42:43], v[34:35]
	v_pk_mul_f32 v[34:35], v[42:43], v[38:39]
	s_and_saveexec_b32 s11, vcc_lo
	s_cbranch_execz .LBB177_432
; %bb.431:                              ;   in Loop: Header=BB177_296 Depth=1
	v_cmp_gt_i32_e64 s0, s23, v59
	s_delay_alu instid0(VALU_DEP_1) | instskip(SKIP_1) | instid1(VALU_DEP_1)
	v_cndmask_b32_e64 v36, 0, v36, s0
	v_cmp_gt_i32_e64 s0, s23, v62
	v_cndmask_b32_e64 v37, 0, v37, s0
	v_cmp_gt_i32_e64 s0, s23, v55
	s_delay_alu instid0(VALU_DEP_1) | instskip(SKIP_1) | instid1(VALU_DEP_1)
	v_cndmask_b32_e64 v34, 0, v34, s0
	v_cmp_gt_i32_e64 s0, s23, v54
	v_cndmask_b32_e64 v35, 0, v35, s0
.LBB177_432:                            ;   in Loop: Header=BB177_296 Depth=1
	s_or_b32 exec_lo, exec_lo, s11
	global_load_b32 v46, v[24:25], off offset:512
	v_mov_b64_e32 v[38:39], 0
	v_mov_b64_e32 v[40:41], 0
	s_mov_b32 s11, exec_lo
	s_wait_loadcnt 0x0
	v_and_b32_e32 v14, 0xff, v46
	s_delay_alu instid0(VALU_DEP_1)
	v_cmpx_ne_u16_e32 0, v14
	s_cbranch_execz .LBB177_440
; %bb.433:                              ;   in Loop: Header=BB177_296 Depth=1
	v_mov_b64_e32 v[40:41], 0x80000000
	s_mov_b32 s14, exec_lo
	v_cmpx_ne_u16_e32 0x80, v14
	s_cbranch_execz .LBB177_439
; %bb.434:                              ;   in Loop: Header=BB177_296 Depth=1
	v_mov_b64_e32 v[40:41], 0x7f800001
	v_and_b32_e32 v42, 0x7f, v46
	s_mov_b32 s15, exec_lo
	s_delay_alu instid0(VALU_DEP_1)
	v_cmpx_ne_u32_e32 0x7f, v42
	s_cbranch_execz .LBB177_438
; %bb.435:                              ;   in Loop: Header=BB177_296 Depth=1
	v_and_b32_e32 v14, 7, v46
	v_lshrrev_b32_e32 v40, 3, v42
	s_mov_b32 s16, exec_lo
	v_cmpx_gt_u32_e32 8, v42
; %bb.436:                              ;   in Loop: Header=BB177_296 Depth=1
	s_delay_alu instid0(VALU_DEP_3) | instskip(NEXT) | instid1(VALU_DEP_1)
	v_clz_i32_u32_e32 v40, v14
	v_min_u32_e32 v40, 32, v40
	s_delay_alu instid0(VALU_DEP_1) | instskip(NEXT) | instid1(VALU_DEP_1)
	v_subrev_nc_u32_e32 v41, 28, v40
	v_lshlrev_b64_e32 v[42:43], v41, v[14:15]
	s_delay_alu instid0(VALU_DEP_1)
	v_dual_sub_nc_u32 v40, 29, v40 :: v_dual_bitop2_b32 v14, 7, v42 bitop3:0x40
; %bb.437:                              ;   in Loop: Header=BB177_296 Depth=1
	s_or_b32 exec_lo, exec_lo, s16
	v_lshlrev_b32_e32 v41, 24, v46
	s_delay_alu instid0(VALU_DEP_2) | instskip(NEXT) | instid1(VALU_DEP_3)
	v_lshlrev_b32_e32 v14, 20, v14
	v_lshl_add_u32 v40, v40, 23, 0x3c000000
	s_delay_alu instid0(VALU_DEP_3) | instskip(NEXT) | instid1(VALU_DEP_1)
	v_and_b32_e32 v41, 0x80000000, v41
	v_or3_b32 v14, v14, v41, v40
	s_delay_alu instid0(VALU_DEP_1)
	v_mov_b64_e32 v[40:41], v[14:15]
.LBB177_438:                            ;   in Loop: Header=BB177_296 Depth=1
	s_or_b32 exec_lo, exec_lo, s15
.LBB177_439:                            ;   in Loop: Header=BB177_296 Depth=1
	s_delay_alu instid0(SALU_CYCLE_1)
	s_or_b32 exec_lo, exec_lo, s14
.LBB177_440:                            ;   in Loop: Header=BB177_296 Depth=1
	s_delay_alu instid0(SALU_CYCLE_1) | instskip(SKIP_2) | instid1(VALU_DEP_1)
	s_or_b32 exec_lo, exec_lo, s11
	v_lshrrev_b16 v14, 8, v46
	s_mov_b32 s11, exec_lo
	v_cmpx_ne_u16_e32 0, v14
	s_cbranch_execz .LBB177_448
; %bb.441:                              ;   in Loop: Header=BB177_296 Depth=1
	v_mov_b64_e32 v[38:39], 0x8000000000000000
	s_mov_b32 s14, exec_lo
	v_cmpx_ne_u16_e32 0x80, v14
	s_cbranch_execz .LBB177_447
; %bb.442:                              ;   in Loop: Header=BB177_296 Depth=1
	v_and_b32_e32 v14, 0xffff, v14
	v_mov_b64_e32 v[38:39], 0x7f80000100000000
	s_mov_b32 s15, exec_lo
	s_delay_alu instid0(VALU_DEP_2) | instskip(NEXT) | instid1(VALU_DEP_1)
	v_and_b32_e32 v42, 0x7f, v14
	v_cmpx_ne_u32_e32 0x7f, v42
	s_cbranch_execz .LBB177_446
; %bb.443:                              ;   in Loop: Header=BB177_296 Depth=1
	v_and_b32_e32 v14, 7, v14
	v_lshrrev_b32_e32 v38, 3, v42
	s_mov_b32 s16, exec_lo
	v_cmpx_gt_u32_e32 8, v42
; %bb.444:                              ;   in Loop: Header=BB177_296 Depth=1
	s_delay_alu instid0(VALU_DEP_3) | instskip(NEXT) | instid1(VALU_DEP_1)
	v_clz_i32_u32_e32 v38, v14
	v_min_u32_e32 v38, 32, v38
	s_delay_alu instid0(VALU_DEP_1) | instskip(SKIP_1) | instid1(VALU_DEP_2)
	v_subrev_nc_u32_e32 v39, 28, v38
	v_sub_nc_u32_e32 v38, 29, v38
	v_lshlrev_b64_e32 v[42:43], v39, v[14:15]
	s_delay_alu instid0(VALU_DEP_1)
	v_and_b32_e32 v14, 7, v42
; %bb.445:                              ;   in Loop: Header=BB177_296 Depth=1
	s_or_b32 exec_lo, exec_lo, s16
	v_lshlrev_b32_e32 v39, 16, v46
	s_delay_alu instid0(VALU_DEP_2) | instskip(SKIP_1) | instid1(VALU_DEP_3)
	v_lshlrev_b32_e32 v14, 20, v14
	v_lshl_add_u32 v38, v38, 23, 0x3c000000
	v_and_b32_e32 v39, 0x80000000, v39
	s_delay_alu instid0(VALU_DEP_1)
	v_or3_b32 v39, v14, v39, v38
	v_mov_b32_e32 v38, v15
.LBB177_446:                            ;   in Loop: Header=BB177_296 Depth=1
	s_or_b32 exec_lo, exec_lo, s15
.LBB177_447:                            ;   in Loop: Header=BB177_296 Depth=1
	s_delay_alu instid0(SALU_CYCLE_1)
	s_or_b32 exec_lo, exec_lo, s14
.LBB177_448:                            ;   in Loop: Header=BB177_296 Depth=1
	s_delay_alu instid0(SALU_CYCLE_1) | instskip(SKIP_4) | instid1(VALU_DEP_3)
	s_or_b32 exec_lo, exec_lo, s11
	v_lshrrev_b32_e32 v47, 16, v46
	v_mov_b64_e32 v[42:43], 0
	v_mov_b64_e32 v[44:45], 0
	s_mov_b32 s11, exec_lo
	v_and_b32_e32 v14, 0xff, v47
	s_delay_alu instid0(VALU_DEP_1)
	v_cmpx_ne_u16_e32 0, v14
	s_cbranch_execz .LBB177_456
; %bb.449:                              ;   in Loop: Header=BB177_296 Depth=1
	v_mov_b64_e32 v[44:45], 0x80000000
	s_mov_b32 s14, exec_lo
	v_cmpx_ne_u16_e32 0x80, v14
	s_cbranch_execz .LBB177_455
; %bb.450:                              ;   in Loop: Header=BB177_296 Depth=1
	v_mov_b64_e32 v[44:45], 0x7f800001
	v_bfe_u32 v48, v46, 16, 7
	s_mov_b32 s15, exec_lo
	s_delay_alu instid0(VALU_DEP_1)
	v_cmpx_ne_u32_e32 0x7f, v48
	s_cbranch_execz .LBB177_454
; %bb.451:                              ;   in Loop: Header=BB177_296 Depth=1
	v_dual_lshrrev_b32 v44, 3, v48 :: v_dual_bitop2_b32 v14, 7, v47 bitop3:0x40
	s_mov_b32 s16, exec_lo
	v_cmpx_gt_u32_e32 8, v48
; %bb.452:                              ;   in Loop: Header=BB177_296 Depth=1
	s_delay_alu instid0(VALU_DEP_2) | instskip(NEXT) | instid1(VALU_DEP_1)
	v_clz_i32_u32_e32 v44, v14
	v_min_u32_e32 v44, 32, v44
	s_delay_alu instid0(VALU_DEP_1) | instskip(SKIP_1) | instid1(VALU_DEP_2)
	v_subrev_nc_u32_e32 v45, 28, v44
	v_sub_nc_u32_e32 v44, 29, v44
	v_lshlrev_b64_e32 v[48:49], v45, v[14:15]
	s_delay_alu instid0(VALU_DEP_1)
	v_and_b32_e32 v14, 7, v48
; %bb.453:                              ;   in Loop: Header=BB177_296 Depth=1
	s_or_b32 exec_lo, exec_lo, s16
	s_delay_alu instid0(VALU_DEP_1) | instskip(SKIP_1) | instid1(VALU_DEP_2)
	v_dual_lshlrev_b32 v45, 24, v47 :: v_dual_lshlrev_b32 v14, 20, v14
	v_lshl_add_u32 v44, v44, 23, 0x3c000000
	v_and_b32_e32 v45, 0x80000000, v45
	s_delay_alu instid0(VALU_DEP_1) | instskip(NEXT) | instid1(VALU_DEP_1)
	v_or3_b32 v14, v14, v45, v44
	v_mov_b64_e32 v[44:45], v[14:15]
.LBB177_454:                            ;   in Loop: Header=BB177_296 Depth=1
	s_or_b32 exec_lo, exec_lo, s15
.LBB177_455:                            ;   in Loop: Header=BB177_296 Depth=1
	s_delay_alu instid0(SALU_CYCLE_1)
	s_or_b32 exec_lo, exec_lo, s14
.LBB177_456:                            ;   in Loop: Header=BB177_296 Depth=1
	s_delay_alu instid0(SALU_CYCLE_1) | instskip(NEXT) | instid1(SALU_CYCLE_1)
	s_or_b32 exec_lo, exec_lo, s11
	s_mov_b32 s11, exec_lo
	v_cmpx_lt_u32_e32 0xffffff, v46
	s_cbranch_execz .LBB177_464
; %bb.457:                              ;   in Loop: Header=BB177_296 Depth=1
	v_mov_b64_e32 v[42:43], 0x8000000000000000
	v_lshrrev_b32_e32 v47, 24, v46
	s_mov_b32 s14, exec_lo
	s_delay_alu instid0(VALU_DEP_1)
	v_cmpx_ne_u32_e32 0x80, v47
	s_cbranch_execz .LBB177_463
; %bb.458:                              ;   in Loop: Header=BB177_296 Depth=1
	v_mov_b64_e32 v[42:43], 0x7f80000100000000
	v_bfe_u32 v46, v46, 24, 7
	s_mov_b32 s15, exec_lo
	s_delay_alu instid0(VALU_DEP_1)
	v_cmpx_ne_u32_e32 0x7f, v46
	s_cbranch_execz .LBB177_462
; %bb.459:                              ;   in Loop: Header=BB177_296 Depth=1
	v_dual_lshrrev_b32 v42, 3, v46 :: v_dual_bitop2_b32 v14, 7, v47 bitop3:0x40
	s_mov_b32 s16, exec_lo
	v_cmpx_gt_u32_e32 8, v46
; %bb.460:                              ;   in Loop: Header=BB177_296 Depth=1
	s_delay_alu instid0(VALU_DEP_2) | instskip(NEXT) | instid1(VALU_DEP_1)
	v_clz_i32_u32_e32 v42, v14
	v_min_u32_e32 v42, 32, v42
	s_delay_alu instid0(VALU_DEP_1) | instskip(NEXT) | instid1(VALU_DEP_1)
	v_subrev_nc_u32_e32 v43, 28, v42
	v_lshlrev_b64_e32 v[48:49], v43, v[14:15]
	s_delay_alu instid0(VALU_DEP_1)
	v_dual_sub_nc_u32 v42, 29, v42 :: v_dual_bitop2_b32 v14, 7, v48 bitop3:0x40
; %bb.461:                              ;   in Loop: Header=BB177_296 Depth=1
	s_or_b32 exec_lo, exec_lo, s16
	s_delay_alu instid0(VALU_DEP_1) | instskip(NEXT) | instid1(VALU_DEP_2)
	v_dual_lshlrev_b32 v43, 24, v47 :: v_dual_lshlrev_b32 v14, 20, v14
	v_lshl_add_u32 v42, v42, 23, 0x3c000000
	s_delay_alu instid0(VALU_DEP_2) | instskip(NEXT) | instid1(VALU_DEP_1)
	v_and_b32_e32 v43, 0x80000000, v43
	v_or3_b32 v43, v14, v43, v42
	v_mov_b32_e32 v42, v15
.LBB177_462:                            ;   in Loop: Header=BB177_296 Depth=1
	s_or_b32 exec_lo, exec_lo, s15
.LBB177_463:                            ;   in Loop: Header=BB177_296 Depth=1
	s_delay_alu instid0(SALU_CYCLE_1)
	s_or_b32 exec_lo, exec_lo, s14
.LBB177_464:                            ;   in Loop: Header=BB177_296 Depth=1
	s_delay_alu instid0(SALU_CYCLE_1)
	s_or_b32 exec_lo, exec_lo, s11
	v_mov_b64_e32 v[46:47], s[2:3]
	v_or_b32_e32 v39, v39, v41
	v_or_b32_e32 v38, v38, v40
	;; [unrolled: 1-line block ×4, first 2 shown]
	s_delay_alu instid0(VALU_DEP_3) | instskip(NEXT) | instid1(VALU_DEP_2)
	v_pk_mul_f32 v[40:41], v[46:47], v[38:39]
	v_pk_mul_f32 v[38:39], v[46:47], v[42:43]
	s_and_saveexec_b32 s11, vcc_lo
	s_cbranch_execz .LBB177_466
; %bb.465:                              ;   in Loop: Header=BB177_296 Depth=1
	v_cmp_gt_i32_e64 s0, s23, v59
	s_delay_alu instid0(VALU_DEP_1) | instskip(SKIP_1) | instid1(VALU_DEP_1)
	v_cndmask_b32_e64 v40, 0, v40, s0
	v_cmp_gt_i32_e64 s0, s23, v62
	v_cndmask_b32_e64 v41, 0, v41, s0
	v_cmp_gt_i32_e64 s0, s23, v55
	s_delay_alu instid0(VALU_DEP_1) | instskip(SKIP_1) | instid1(VALU_DEP_1)
	v_cndmask_b32_e64 v38, 0, v38, s0
	v_cmp_gt_i32_e64 s0, s23, v54
	v_cndmask_b32_e64 v39, 0, v39, s0
.LBB177_466:                            ;   in Loop: Header=BB177_296 Depth=1
	s_or_b32 exec_lo, exec_lo, s11
	global_load_b32 v50, v[24:25], off offset:640
	v_mov_b64_e32 v[42:43], 0
	v_mov_b64_e32 v[44:45], 0
	s_mov_b32 s11, exec_lo
	s_wait_loadcnt 0x0
	v_and_b32_e32 v14, 0xff, v50
	s_delay_alu instid0(VALU_DEP_1)
	v_cmpx_ne_u16_e32 0, v14
	s_cbranch_execz .LBB177_474
; %bb.467:                              ;   in Loop: Header=BB177_296 Depth=1
	v_mov_b64_e32 v[44:45], 0x80000000
	s_mov_b32 s14, exec_lo
	v_cmpx_ne_u16_e32 0x80, v14
	s_cbranch_execz .LBB177_473
; %bb.468:                              ;   in Loop: Header=BB177_296 Depth=1
	v_mov_b64_e32 v[44:45], 0x7f800001
	v_and_b32_e32 v46, 0x7f, v50
	s_mov_b32 s15, exec_lo
	s_delay_alu instid0(VALU_DEP_1)
	v_cmpx_ne_u32_e32 0x7f, v46
	s_cbranch_execz .LBB177_472
; %bb.469:                              ;   in Loop: Header=BB177_296 Depth=1
	v_and_b32_e32 v14, 7, v50
	v_lshrrev_b32_e32 v44, 3, v46
	s_mov_b32 s16, exec_lo
	v_cmpx_gt_u32_e32 8, v46
; %bb.470:                              ;   in Loop: Header=BB177_296 Depth=1
	s_delay_alu instid0(VALU_DEP_3) | instskip(NEXT) | instid1(VALU_DEP_1)
	v_clz_i32_u32_e32 v44, v14
	v_min_u32_e32 v44, 32, v44
	s_delay_alu instid0(VALU_DEP_1) | instskip(NEXT) | instid1(VALU_DEP_1)
	v_subrev_nc_u32_e32 v45, 28, v44
	v_lshlrev_b64_e32 v[46:47], v45, v[14:15]
	s_delay_alu instid0(VALU_DEP_1)
	v_dual_sub_nc_u32 v44, 29, v44 :: v_dual_bitop2_b32 v14, 7, v46 bitop3:0x40
; %bb.471:                              ;   in Loop: Header=BB177_296 Depth=1
	s_or_b32 exec_lo, exec_lo, s16
	v_lshlrev_b32_e32 v45, 24, v50
	s_delay_alu instid0(VALU_DEP_2) | instskip(NEXT) | instid1(VALU_DEP_3)
	v_lshlrev_b32_e32 v14, 20, v14
	v_lshl_add_u32 v44, v44, 23, 0x3c000000
	s_delay_alu instid0(VALU_DEP_3) | instskip(NEXT) | instid1(VALU_DEP_1)
	v_and_b32_e32 v45, 0x80000000, v45
	v_or3_b32 v14, v14, v45, v44
	s_delay_alu instid0(VALU_DEP_1)
	v_mov_b64_e32 v[44:45], v[14:15]
.LBB177_472:                            ;   in Loop: Header=BB177_296 Depth=1
	s_or_b32 exec_lo, exec_lo, s15
.LBB177_473:                            ;   in Loop: Header=BB177_296 Depth=1
	s_delay_alu instid0(SALU_CYCLE_1)
	s_or_b32 exec_lo, exec_lo, s14
.LBB177_474:                            ;   in Loop: Header=BB177_296 Depth=1
	s_delay_alu instid0(SALU_CYCLE_1) | instskip(SKIP_2) | instid1(VALU_DEP_1)
	s_or_b32 exec_lo, exec_lo, s11
	v_lshrrev_b16 v14, 8, v50
	s_mov_b32 s11, exec_lo
	v_cmpx_ne_u16_e32 0, v14
	s_cbranch_execz .LBB177_482
; %bb.475:                              ;   in Loop: Header=BB177_296 Depth=1
	v_mov_b64_e32 v[42:43], 0x8000000000000000
	s_mov_b32 s14, exec_lo
	v_cmpx_ne_u16_e32 0x80, v14
	s_cbranch_execz .LBB177_481
; %bb.476:                              ;   in Loop: Header=BB177_296 Depth=1
	v_and_b32_e32 v14, 0xffff, v14
	v_mov_b64_e32 v[42:43], 0x7f80000100000000
	s_mov_b32 s15, exec_lo
	s_delay_alu instid0(VALU_DEP_2) | instskip(NEXT) | instid1(VALU_DEP_1)
	v_and_b32_e32 v46, 0x7f, v14
	v_cmpx_ne_u32_e32 0x7f, v46
	s_cbranch_execz .LBB177_480
; %bb.477:                              ;   in Loop: Header=BB177_296 Depth=1
	v_and_b32_e32 v14, 7, v14
	v_lshrrev_b32_e32 v42, 3, v46
	s_mov_b32 s16, exec_lo
	v_cmpx_gt_u32_e32 8, v46
; %bb.478:                              ;   in Loop: Header=BB177_296 Depth=1
	s_delay_alu instid0(VALU_DEP_3) | instskip(NEXT) | instid1(VALU_DEP_1)
	v_clz_i32_u32_e32 v42, v14
	v_min_u32_e32 v42, 32, v42
	s_delay_alu instid0(VALU_DEP_1) | instskip(SKIP_1) | instid1(VALU_DEP_2)
	v_subrev_nc_u32_e32 v43, 28, v42
	v_sub_nc_u32_e32 v42, 29, v42
	v_lshlrev_b64_e32 v[46:47], v43, v[14:15]
	s_delay_alu instid0(VALU_DEP_1)
	v_and_b32_e32 v14, 7, v46
; %bb.479:                              ;   in Loop: Header=BB177_296 Depth=1
	s_or_b32 exec_lo, exec_lo, s16
	v_lshlrev_b32_e32 v43, 16, v50
	s_delay_alu instid0(VALU_DEP_2) | instskip(SKIP_1) | instid1(VALU_DEP_3)
	v_lshlrev_b32_e32 v14, 20, v14
	v_lshl_add_u32 v42, v42, 23, 0x3c000000
	v_and_b32_e32 v43, 0x80000000, v43
	s_delay_alu instid0(VALU_DEP_1)
	v_or3_b32 v43, v14, v43, v42
	v_mov_b32_e32 v42, v15
.LBB177_480:                            ;   in Loop: Header=BB177_296 Depth=1
	s_or_b32 exec_lo, exec_lo, s15
.LBB177_481:                            ;   in Loop: Header=BB177_296 Depth=1
	s_delay_alu instid0(SALU_CYCLE_1)
	s_or_b32 exec_lo, exec_lo, s14
.LBB177_482:                            ;   in Loop: Header=BB177_296 Depth=1
	s_delay_alu instid0(SALU_CYCLE_1) | instskip(SKIP_4) | instid1(VALU_DEP_3)
	s_or_b32 exec_lo, exec_lo, s11
	v_lshrrev_b32_e32 v51, 16, v50
	v_mov_b64_e32 v[46:47], 0
	v_mov_b64_e32 v[48:49], 0
	s_mov_b32 s11, exec_lo
	v_and_b32_e32 v14, 0xff, v51
	s_delay_alu instid0(VALU_DEP_1)
	v_cmpx_ne_u16_e32 0, v14
	s_cbranch_execz .LBB177_490
; %bb.483:                              ;   in Loop: Header=BB177_296 Depth=1
	v_mov_b64_e32 v[48:49], 0x80000000
	s_mov_b32 s14, exec_lo
	v_cmpx_ne_u16_e32 0x80, v14
	s_cbranch_execz .LBB177_489
; %bb.484:                              ;   in Loop: Header=BB177_296 Depth=1
	v_mov_b64_e32 v[48:49], 0x7f800001
	v_bfe_u32 v52, v50, 16, 7
	s_mov_b32 s15, exec_lo
	s_delay_alu instid0(VALU_DEP_1)
	v_cmpx_ne_u32_e32 0x7f, v52
	s_cbranch_execz .LBB177_488
; %bb.485:                              ;   in Loop: Header=BB177_296 Depth=1
	v_dual_lshrrev_b32 v48, 3, v52 :: v_dual_bitop2_b32 v14, 7, v51 bitop3:0x40
	s_mov_b32 s16, exec_lo
	v_cmpx_gt_u32_e32 8, v52
; %bb.486:                              ;   in Loop: Header=BB177_296 Depth=1
	s_delay_alu instid0(VALU_DEP_2) | instskip(NEXT) | instid1(VALU_DEP_1)
	v_clz_i32_u32_e32 v48, v14
	v_min_u32_e32 v48, 32, v48
	s_delay_alu instid0(VALU_DEP_1) | instskip(SKIP_1) | instid1(VALU_DEP_2)
	v_subrev_nc_u32_e32 v49, 28, v48
	v_sub_nc_u32_e32 v48, 29, v48
	v_lshlrev_b64_e32 v[52:53], v49, v[14:15]
	s_delay_alu instid0(VALU_DEP_1)
	v_and_b32_e32 v14, 7, v52
; %bb.487:                              ;   in Loop: Header=BB177_296 Depth=1
	s_or_b32 exec_lo, exec_lo, s16
	s_delay_alu instid0(VALU_DEP_1) | instskip(SKIP_1) | instid1(VALU_DEP_2)
	v_dual_lshlrev_b32 v49, 24, v51 :: v_dual_lshlrev_b32 v14, 20, v14
	v_lshl_add_u32 v48, v48, 23, 0x3c000000
	v_and_b32_e32 v49, 0x80000000, v49
	s_delay_alu instid0(VALU_DEP_1) | instskip(NEXT) | instid1(VALU_DEP_1)
	v_or3_b32 v14, v14, v49, v48
	v_mov_b64_e32 v[48:49], v[14:15]
.LBB177_488:                            ;   in Loop: Header=BB177_296 Depth=1
	s_or_b32 exec_lo, exec_lo, s15
.LBB177_489:                            ;   in Loop: Header=BB177_296 Depth=1
	s_delay_alu instid0(SALU_CYCLE_1)
	s_or_b32 exec_lo, exec_lo, s14
.LBB177_490:                            ;   in Loop: Header=BB177_296 Depth=1
	s_delay_alu instid0(SALU_CYCLE_1) | instskip(NEXT) | instid1(SALU_CYCLE_1)
	s_or_b32 exec_lo, exec_lo, s11
	s_mov_b32 s11, exec_lo
	v_cmpx_lt_u32_e32 0xffffff, v50
	s_cbranch_execz .LBB177_498
; %bb.491:                              ;   in Loop: Header=BB177_296 Depth=1
	v_mov_b64_e32 v[46:47], 0x8000000000000000
	v_lshrrev_b32_e32 v51, 24, v50
	s_mov_b32 s14, exec_lo
	s_delay_alu instid0(VALU_DEP_1)
	v_cmpx_ne_u32_e32 0x80, v51
	s_cbranch_execz .LBB177_497
; %bb.492:                              ;   in Loop: Header=BB177_296 Depth=1
	v_mov_b64_e32 v[46:47], 0x7f80000100000000
	v_bfe_u32 v50, v50, 24, 7
	s_mov_b32 s15, exec_lo
	s_delay_alu instid0(VALU_DEP_1)
	v_cmpx_ne_u32_e32 0x7f, v50
	s_cbranch_execz .LBB177_496
; %bb.493:                              ;   in Loop: Header=BB177_296 Depth=1
	v_dual_lshrrev_b32 v46, 3, v50 :: v_dual_bitop2_b32 v14, 7, v51 bitop3:0x40
	s_mov_b32 s16, exec_lo
	v_cmpx_gt_u32_e32 8, v50
; %bb.494:                              ;   in Loop: Header=BB177_296 Depth=1
	s_delay_alu instid0(VALU_DEP_2) | instskip(NEXT) | instid1(VALU_DEP_1)
	v_clz_i32_u32_e32 v46, v14
	v_min_u32_e32 v46, 32, v46
	s_delay_alu instid0(VALU_DEP_1) | instskip(NEXT) | instid1(VALU_DEP_1)
	v_subrev_nc_u32_e32 v47, 28, v46
	v_lshlrev_b64_e32 v[52:53], v47, v[14:15]
	s_delay_alu instid0(VALU_DEP_1)
	v_dual_sub_nc_u32 v46, 29, v46 :: v_dual_bitop2_b32 v14, 7, v52 bitop3:0x40
; %bb.495:                              ;   in Loop: Header=BB177_296 Depth=1
	s_or_b32 exec_lo, exec_lo, s16
	s_delay_alu instid0(VALU_DEP_1) | instskip(NEXT) | instid1(VALU_DEP_2)
	v_dual_lshlrev_b32 v47, 24, v51 :: v_dual_lshlrev_b32 v14, 20, v14
	v_lshl_add_u32 v46, v46, 23, 0x3c000000
	s_delay_alu instid0(VALU_DEP_2) | instskip(NEXT) | instid1(VALU_DEP_1)
	v_and_b32_e32 v47, 0x80000000, v47
	v_or3_b32 v47, v14, v47, v46
	v_mov_b32_e32 v46, v15
.LBB177_496:                            ;   in Loop: Header=BB177_296 Depth=1
	s_or_b32 exec_lo, exec_lo, s15
.LBB177_497:                            ;   in Loop: Header=BB177_296 Depth=1
	s_delay_alu instid0(SALU_CYCLE_1)
	s_or_b32 exec_lo, exec_lo, s14
.LBB177_498:                            ;   in Loop: Header=BB177_296 Depth=1
	s_delay_alu instid0(SALU_CYCLE_1)
	s_or_b32 exec_lo, exec_lo, s11
	v_mov_b64_e32 v[50:51], s[2:3]
	v_or_b32_e32 v43, v43, v45
	v_or_b32_e32 v42, v42, v44
	;; [unrolled: 1-line block ×4, first 2 shown]
	s_delay_alu instid0(VALU_DEP_3) | instskip(NEXT) | instid1(VALU_DEP_2)
	v_pk_mul_f32 v[44:45], v[50:51], v[42:43]
	v_pk_mul_f32 v[42:43], v[50:51], v[46:47]
	s_and_saveexec_b32 s11, vcc_lo
	s_cbranch_execz .LBB177_500
; %bb.499:                              ;   in Loop: Header=BB177_296 Depth=1
	v_cmp_gt_i32_e64 s0, s23, v59
	s_delay_alu instid0(VALU_DEP_1) | instskip(SKIP_1) | instid1(VALU_DEP_1)
	v_cndmask_b32_e64 v44, 0, v44, s0
	v_cmp_gt_i32_e64 s0, s23, v62
	v_cndmask_b32_e64 v45, 0, v45, s0
	v_cmp_gt_i32_e64 s0, s23, v55
	s_delay_alu instid0(VALU_DEP_1) | instskip(SKIP_1) | instid1(VALU_DEP_1)
	v_cndmask_b32_e64 v42, 0, v42, s0
	v_cmp_gt_i32_e64 s0, s23, v54
	v_cndmask_b32_e64 v43, 0, v43, s0
.LBB177_500:                            ;   in Loop: Header=BB177_296 Depth=1
	s_or_b32 exec_lo, exec_lo, s11
	global_load_b32 v63, v[24:25], off offset:768
	v_mov_b64_e32 v[46:47], 0
	v_mov_b64_e32 v[48:49], 0
	s_mov_b32 s11, exec_lo
	s_wait_loadcnt 0x0
	v_and_b32_e32 v14, 0xff, v63
	s_delay_alu instid0(VALU_DEP_1)
	v_cmpx_ne_u16_e32 0, v14
	s_cbranch_execz .LBB177_508
; %bb.501:                              ;   in Loop: Header=BB177_296 Depth=1
	v_mov_b64_e32 v[48:49], 0x80000000
	s_mov_b32 s14, exec_lo
	v_cmpx_ne_u16_e32 0x80, v14
	s_cbranch_execz .LBB177_507
; %bb.502:                              ;   in Loop: Header=BB177_296 Depth=1
	v_mov_b64_e32 v[48:49], 0x7f800001
	v_and_b32_e32 v50, 0x7f, v63
	s_mov_b32 s15, exec_lo
	s_delay_alu instid0(VALU_DEP_1)
	v_cmpx_ne_u32_e32 0x7f, v50
	s_cbranch_execz .LBB177_506
; %bb.503:                              ;   in Loop: Header=BB177_296 Depth=1
	v_dual_lshrrev_b32 v48, 3, v50 :: v_dual_bitop2_b32 v14, 7, v63 bitop3:0x40
	s_mov_b32 s16, exec_lo
	v_cmpx_gt_u32_e32 8, v50
; %bb.504:                              ;   in Loop: Header=BB177_296 Depth=1
	s_delay_alu instid0(VALU_DEP_2) | instskip(NEXT) | instid1(VALU_DEP_1)
	v_clz_i32_u32_e32 v48, v14
	v_min_u32_e32 v48, 32, v48
	s_delay_alu instid0(VALU_DEP_1) | instskip(NEXT) | instid1(VALU_DEP_1)
	v_subrev_nc_u32_e32 v49, 28, v48
	v_lshlrev_b64_e32 v[50:51], v49, v[14:15]
	s_delay_alu instid0(VALU_DEP_1)
	v_dual_sub_nc_u32 v48, 29, v48 :: v_dual_bitop2_b32 v14, 7, v50 bitop3:0x40
; %bb.505:                              ;   in Loop: Header=BB177_296 Depth=1
	s_or_b32 exec_lo, exec_lo, s16
	s_delay_alu instid0(VALU_DEP_1) | instskip(NEXT) | instid1(VALU_DEP_2)
	v_dual_lshlrev_b32 v49, 24, v63 :: v_dual_lshlrev_b32 v14, 20, v14
	v_lshl_add_u32 v48, v48, 23, 0x3c000000
	s_delay_alu instid0(VALU_DEP_2) | instskip(NEXT) | instid1(VALU_DEP_1)
	v_and_b32_e32 v49, 0x80000000, v49
	v_or3_b32 v14, v14, v49, v48
	s_delay_alu instid0(VALU_DEP_1)
	v_mov_b64_e32 v[48:49], v[14:15]
.LBB177_506:                            ;   in Loop: Header=BB177_296 Depth=1
	s_or_b32 exec_lo, exec_lo, s15
.LBB177_507:                            ;   in Loop: Header=BB177_296 Depth=1
	s_delay_alu instid0(SALU_CYCLE_1)
	s_or_b32 exec_lo, exec_lo, s14
.LBB177_508:                            ;   in Loop: Header=BB177_296 Depth=1
	s_delay_alu instid0(SALU_CYCLE_1) | instskip(SKIP_2) | instid1(VALU_DEP_1)
	s_or_b32 exec_lo, exec_lo, s11
	v_lshrrev_b16 v14, 8, v63
	s_mov_b32 s11, exec_lo
	v_cmpx_ne_u16_e32 0, v14
	s_cbranch_execz .LBB177_516
; %bb.509:                              ;   in Loop: Header=BB177_296 Depth=1
	v_mov_b64_e32 v[46:47], 0x8000000000000000
	s_mov_b32 s14, exec_lo
	v_cmpx_ne_u16_e32 0x80, v14
	s_cbranch_execz .LBB177_515
; %bb.510:                              ;   in Loop: Header=BB177_296 Depth=1
	v_and_b32_e32 v14, 0xffff, v14
	v_mov_b64_e32 v[46:47], 0x7f80000100000000
	s_mov_b32 s15, exec_lo
	s_delay_alu instid0(VALU_DEP_2) | instskip(NEXT) | instid1(VALU_DEP_1)
	v_and_b32_e32 v50, 0x7f, v14
	v_cmpx_ne_u32_e32 0x7f, v50
	s_cbranch_execz .LBB177_514
; %bb.511:                              ;   in Loop: Header=BB177_296 Depth=1
	v_and_b32_e32 v14, 7, v14
	v_lshrrev_b32_e32 v46, 3, v50
	s_mov_b32 s16, exec_lo
	v_cmpx_gt_u32_e32 8, v50
; %bb.512:                              ;   in Loop: Header=BB177_296 Depth=1
	s_delay_alu instid0(VALU_DEP_3) | instskip(NEXT) | instid1(VALU_DEP_1)
	v_clz_i32_u32_e32 v46, v14
	v_min_u32_e32 v46, 32, v46
	s_delay_alu instid0(VALU_DEP_1) | instskip(SKIP_1) | instid1(VALU_DEP_2)
	v_subrev_nc_u32_e32 v47, 28, v46
	v_sub_nc_u32_e32 v46, 29, v46
	v_lshlrev_b64_e32 v[50:51], v47, v[14:15]
	s_delay_alu instid0(VALU_DEP_1)
	v_and_b32_e32 v14, 7, v50
; %bb.513:                              ;   in Loop: Header=BB177_296 Depth=1
	s_or_b32 exec_lo, exec_lo, s16
	s_delay_alu instid0(VALU_DEP_1) | instskip(SKIP_1) | instid1(VALU_DEP_2)
	v_dual_lshlrev_b32 v47, 16, v63 :: v_dual_lshlrev_b32 v14, 20, v14
	v_lshl_add_u32 v46, v46, 23, 0x3c000000
	v_and_b32_e32 v47, 0x80000000, v47
	s_delay_alu instid0(VALU_DEP_1)
	v_or3_b32 v47, v14, v47, v46
	v_mov_b32_e32 v46, v15
.LBB177_514:                            ;   in Loop: Header=BB177_296 Depth=1
	s_or_b32 exec_lo, exec_lo, s15
.LBB177_515:                            ;   in Loop: Header=BB177_296 Depth=1
	s_delay_alu instid0(SALU_CYCLE_1)
	s_or_b32 exec_lo, exec_lo, s14
.LBB177_516:                            ;   in Loop: Header=BB177_296 Depth=1
	s_delay_alu instid0(SALU_CYCLE_1) | instskip(SKIP_4) | instid1(VALU_DEP_3)
	s_or_b32 exec_lo, exec_lo, s11
	v_lshrrev_b32_e32 v64, 16, v63
	v_mov_b64_e32 v[50:51], 0
	v_mov_b64_e32 v[52:53], 0
	s_mov_b32 s11, exec_lo
	v_and_b32_e32 v14, 0xff, v64
	s_delay_alu instid0(VALU_DEP_1)
	v_cmpx_ne_u16_e32 0, v14
	s_cbranch_execz .LBB177_524
; %bb.517:                              ;   in Loop: Header=BB177_296 Depth=1
	v_mov_b64_e32 v[52:53], 0x80000000
	s_mov_b32 s14, exec_lo
	v_cmpx_ne_u16_e32 0x80, v14
	s_cbranch_execz .LBB177_523
; %bb.518:                              ;   in Loop: Header=BB177_296 Depth=1
	v_mov_b64_e32 v[52:53], 0x7f800001
	v_bfe_u32 v65, v63, 16, 7
	s_mov_b32 s15, exec_lo
	s_delay_alu instid0(VALU_DEP_1)
	v_cmpx_ne_u32_e32 0x7f, v65
	s_cbranch_execz .LBB177_522
; %bb.519:                              ;   in Loop: Header=BB177_296 Depth=1
	v_dual_lshrrev_b32 v52, 3, v65 :: v_dual_bitop2_b32 v14, 7, v64 bitop3:0x40
	s_mov_b32 s16, exec_lo
	v_cmpx_gt_u32_e32 8, v65
; %bb.520:                              ;   in Loop: Header=BB177_296 Depth=1
	s_delay_alu instid0(VALU_DEP_2) | instskip(NEXT) | instid1(VALU_DEP_1)
	v_clz_i32_u32_e32 v52, v14
	v_min_u32_e32 v52, 32, v52
	s_delay_alu instid0(VALU_DEP_1) | instskip(NEXT) | instid1(VALU_DEP_1)
	v_subrev_nc_u32_e32 v53, 28, v52
	v_lshlrev_b64_e32 v[66:67], v53, v[14:15]
	s_delay_alu instid0(VALU_DEP_1)
	v_dual_sub_nc_u32 v52, 29, v52 :: v_dual_bitop2_b32 v14, 7, v66 bitop3:0x40
; %bb.521:                              ;   in Loop: Header=BB177_296 Depth=1
	s_or_b32 exec_lo, exec_lo, s16
	s_delay_alu instid0(VALU_DEP_1) | instskip(NEXT) | instid1(VALU_DEP_2)
	v_dual_lshlrev_b32 v53, 24, v64 :: v_dual_lshlrev_b32 v14, 20, v14
	v_lshl_add_u32 v52, v52, 23, 0x3c000000
	s_delay_alu instid0(VALU_DEP_2) | instskip(NEXT) | instid1(VALU_DEP_1)
	v_and_b32_e32 v53, 0x80000000, v53
	v_or3_b32 v14, v14, v53, v52
	s_delay_alu instid0(VALU_DEP_1)
	v_mov_b64_e32 v[52:53], v[14:15]
.LBB177_522:                            ;   in Loop: Header=BB177_296 Depth=1
	s_or_b32 exec_lo, exec_lo, s15
.LBB177_523:                            ;   in Loop: Header=BB177_296 Depth=1
	s_delay_alu instid0(SALU_CYCLE_1)
	s_or_b32 exec_lo, exec_lo, s14
.LBB177_524:                            ;   in Loop: Header=BB177_296 Depth=1
	s_delay_alu instid0(SALU_CYCLE_1) | instskip(NEXT) | instid1(SALU_CYCLE_1)
	s_or_b32 exec_lo, exec_lo, s11
	s_mov_b32 s11, exec_lo
	v_cmpx_lt_u32_e32 0xffffff, v63
	s_cbranch_execz .LBB177_532
; %bb.525:                              ;   in Loop: Header=BB177_296 Depth=1
	v_mov_b64_e32 v[50:51], 0x8000000000000000
	v_lshrrev_b32_e32 v64, 24, v63
	s_mov_b32 s14, exec_lo
	s_delay_alu instid0(VALU_DEP_1)
	v_cmpx_ne_u32_e32 0x80, v64
	s_cbranch_execz .LBB177_531
; %bb.526:                              ;   in Loop: Header=BB177_296 Depth=1
	v_mov_b64_e32 v[50:51], 0x7f80000100000000
	v_bfe_u32 v63, v63, 24, 7
	s_mov_b32 s15, exec_lo
	s_delay_alu instid0(VALU_DEP_1)
	v_cmpx_ne_u32_e32 0x7f, v63
	s_cbranch_execz .LBB177_530
; %bb.527:                              ;   in Loop: Header=BB177_296 Depth=1
	v_dual_lshrrev_b32 v50, 3, v63 :: v_dual_bitop2_b32 v14, 7, v64 bitop3:0x40
	s_mov_b32 s16, exec_lo
	v_cmpx_gt_u32_e32 8, v63
; %bb.528:                              ;   in Loop: Header=BB177_296 Depth=1
	s_delay_alu instid0(VALU_DEP_2) | instskip(NEXT) | instid1(VALU_DEP_1)
	v_clz_i32_u32_e32 v50, v14
	v_min_u32_e32 v50, 32, v50
	s_delay_alu instid0(VALU_DEP_1) | instskip(SKIP_1) | instid1(VALU_DEP_2)
	v_subrev_nc_u32_e32 v51, 28, v50
	v_sub_nc_u32_e32 v50, 29, v50
	v_lshlrev_b64_e32 v[66:67], v51, v[14:15]
	s_delay_alu instid0(VALU_DEP_1)
	v_and_b32_e32 v14, 7, v66
; %bb.529:                              ;   in Loop: Header=BB177_296 Depth=1
	s_or_b32 exec_lo, exec_lo, s16
	s_delay_alu instid0(VALU_DEP_1) | instskip(SKIP_1) | instid1(VALU_DEP_2)
	v_dual_lshlrev_b32 v51, 24, v64 :: v_dual_lshlrev_b32 v14, 20, v14
	v_lshl_add_u32 v50, v50, 23, 0x3c000000
	v_and_b32_e32 v51, 0x80000000, v51
	s_delay_alu instid0(VALU_DEP_1)
	v_or3_b32 v51, v14, v51, v50
	v_mov_b32_e32 v50, v15
.LBB177_530:                            ;   in Loop: Header=BB177_296 Depth=1
	s_or_b32 exec_lo, exec_lo, s15
.LBB177_531:                            ;   in Loop: Header=BB177_296 Depth=1
	s_delay_alu instid0(SALU_CYCLE_1)
	s_or_b32 exec_lo, exec_lo, s14
.LBB177_532:                            ;   in Loop: Header=BB177_296 Depth=1
	s_delay_alu instid0(SALU_CYCLE_1)
	s_or_b32 exec_lo, exec_lo, s11
	v_mov_b64_e32 v[64:65], s[2:3]
	v_or_b32_e32 v47, v47, v49
	v_or_b32_e32 v46, v46, v48
	;; [unrolled: 1-line block ×4, first 2 shown]
	s_delay_alu instid0(VALU_DEP_3) | instskip(NEXT) | instid1(VALU_DEP_2)
	v_pk_mul_f32 v[48:49], v[64:65], v[46:47]
	v_pk_mul_f32 v[46:47], v[64:65], v[50:51]
	s_and_saveexec_b32 s11, vcc_lo
	s_cbranch_execz .LBB177_534
; %bb.533:                              ;   in Loop: Header=BB177_296 Depth=1
	v_cmp_gt_i32_e64 s0, s23, v59
	s_delay_alu instid0(VALU_DEP_1) | instskip(SKIP_1) | instid1(VALU_DEP_1)
	v_cndmask_b32_e64 v48, 0, v48, s0
	v_cmp_gt_i32_e64 s0, s23, v62
	v_cndmask_b32_e64 v49, 0, v49, s0
	v_cmp_gt_i32_e64 s0, s23, v55
	s_delay_alu instid0(VALU_DEP_1) | instskip(SKIP_1) | instid1(VALU_DEP_1)
	v_cndmask_b32_e64 v46, 0, v46, s0
	v_cmp_gt_i32_e64 s0, s23, v54
	v_cndmask_b32_e64 v47, 0, v47, s0
.LBB177_534:                            ;   in Loop: Header=BB177_296 Depth=1
	s_or_b32 exec_lo, exec_lo, s11
	global_load_b32 v63, v[24:25], off offset:896
	s_wait_xcnt 0x0
	v_mov_b64_e32 v[24:25], 0
	v_mov_b64_e32 v[50:51], 0
	s_mov_b32 s11, exec_lo
	s_wait_loadcnt 0x0
	v_and_b32_e32 v14, 0xff, v63
	s_delay_alu instid0(VALU_DEP_1)
	v_cmpx_ne_u16_e32 0, v14
	s_cbranch_execz .LBB177_542
; %bb.535:                              ;   in Loop: Header=BB177_296 Depth=1
	v_mov_b64_e32 v[50:51], 0x80000000
	s_mov_b32 s14, exec_lo
	v_cmpx_ne_u16_e32 0x80, v14
	s_cbranch_execz .LBB177_541
; %bb.536:                              ;   in Loop: Header=BB177_296 Depth=1
	v_mov_b64_e32 v[50:51], 0x7f800001
	v_and_b32_e32 v52, 0x7f, v63
	s_mov_b32 s15, exec_lo
	s_delay_alu instid0(VALU_DEP_1)
	v_cmpx_ne_u32_e32 0x7f, v52
	s_cbranch_execz .LBB177_540
; %bb.537:                              ;   in Loop: Header=BB177_296 Depth=1
	v_dual_lshrrev_b32 v50, 3, v52 :: v_dual_bitop2_b32 v14, 7, v63 bitop3:0x40
	s_mov_b32 s16, exec_lo
	v_cmpx_gt_u32_e32 8, v52
; %bb.538:                              ;   in Loop: Header=BB177_296 Depth=1
	s_delay_alu instid0(VALU_DEP_2) | instskip(NEXT) | instid1(VALU_DEP_1)
	v_clz_i32_u32_e32 v50, v14
	v_min_u32_e32 v50, 32, v50
	s_delay_alu instid0(VALU_DEP_1) | instskip(NEXT) | instid1(VALU_DEP_1)
	v_subrev_nc_u32_e32 v51, 28, v50
	v_lshlrev_b64_e32 v[52:53], v51, v[14:15]
	s_delay_alu instid0(VALU_DEP_1)
	v_dual_sub_nc_u32 v50, 29, v50 :: v_dual_bitop2_b32 v14, 7, v52 bitop3:0x40
; %bb.539:                              ;   in Loop: Header=BB177_296 Depth=1
	s_or_b32 exec_lo, exec_lo, s16
	s_delay_alu instid0(VALU_DEP_1) | instskip(NEXT) | instid1(VALU_DEP_2)
	v_dual_lshlrev_b32 v51, 24, v63 :: v_dual_lshlrev_b32 v14, 20, v14
	v_lshl_add_u32 v50, v50, 23, 0x3c000000
	s_delay_alu instid0(VALU_DEP_2) | instskip(NEXT) | instid1(VALU_DEP_1)
	v_and_b32_e32 v51, 0x80000000, v51
	v_or3_b32 v14, v14, v51, v50
	s_delay_alu instid0(VALU_DEP_1)
	v_mov_b64_e32 v[50:51], v[14:15]
.LBB177_540:                            ;   in Loop: Header=BB177_296 Depth=1
	s_or_b32 exec_lo, exec_lo, s15
.LBB177_541:                            ;   in Loop: Header=BB177_296 Depth=1
	s_delay_alu instid0(SALU_CYCLE_1)
	s_or_b32 exec_lo, exec_lo, s14
.LBB177_542:                            ;   in Loop: Header=BB177_296 Depth=1
	s_delay_alu instid0(SALU_CYCLE_1) | instskip(SKIP_2) | instid1(VALU_DEP_1)
	s_or_b32 exec_lo, exec_lo, s11
	v_lshrrev_b16 v14, 8, v63
	s_mov_b32 s11, exec_lo
	v_cmpx_ne_u16_e32 0, v14
	s_cbranch_execz .LBB177_550
; %bb.543:                              ;   in Loop: Header=BB177_296 Depth=1
	v_mov_b64_e32 v[24:25], 0x8000000000000000
	s_mov_b32 s14, exec_lo
	v_cmpx_ne_u16_e32 0x80, v14
	s_cbranch_execz .LBB177_549
; %bb.544:                              ;   in Loop: Header=BB177_296 Depth=1
	v_and_b32_e32 v14, 0xffff, v14
	v_mov_b64_e32 v[24:25], 0x7f80000100000000
	s_mov_b32 s15, exec_lo
	s_delay_alu instid0(VALU_DEP_2) | instskip(NEXT) | instid1(VALU_DEP_1)
	v_and_b32_e32 v52, 0x7f, v14
	v_cmpx_ne_u32_e32 0x7f, v52
	s_cbranch_execz .LBB177_548
; %bb.545:                              ;   in Loop: Header=BB177_296 Depth=1
	v_dual_lshrrev_b32 v24, 3, v52 :: v_dual_bitop2_b32 v14, 7, v14 bitop3:0x40
	s_mov_b32 s16, exec_lo
	v_cmpx_gt_u32_e32 8, v52
; %bb.546:                              ;   in Loop: Header=BB177_296 Depth=1
	s_delay_alu instid0(VALU_DEP_2) | instskip(NEXT) | instid1(VALU_DEP_1)
	v_clz_i32_u32_e32 v24, v14
	v_min_u32_e32 v24, 32, v24
	s_delay_alu instid0(VALU_DEP_1) | instskip(SKIP_1) | instid1(VALU_DEP_2)
	v_subrev_nc_u32_e32 v25, 28, v24
	v_sub_nc_u32_e32 v24, 29, v24
	v_lshlrev_b64_e32 v[52:53], v25, v[14:15]
	s_delay_alu instid0(VALU_DEP_1)
	v_and_b32_e32 v14, 7, v52
; %bb.547:                              ;   in Loop: Header=BB177_296 Depth=1
	s_or_b32 exec_lo, exec_lo, s16
	s_delay_alu instid0(VALU_DEP_1) | instskip(SKIP_1) | instid1(VALU_DEP_2)
	v_dual_lshlrev_b32 v25, 16, v63 :: v_dual_lshlrev_b32 v14, 20, v14
	v_lshl_add_u32 v24, v24, 23, 0x3c000000
	v_and_b32_e32 v25, 0x80000000, v25
	s_delay_alu instid0(VALU_DEP_1)
	v_or3_b32 v25, v14, v25, v24
	v_mov_b32_e32 v24, v15
.LBB177_548:                            ;   in Loop: Header=BB177_296 Depth=1
	s_or_b32 exec_lo, exec_lo, s15
.LBB177_549:                            ;   in Loop: Header=BB177_296 Depth=1
	s_delay_alu instid0(SALU_CYCLE_1)
	s_or_b32 exec_lo, exec_lo, s14
.LBB177_550:                            ;   in Loop: Header=BB177_296 Depth=1
	s_delay_alu instid0(SALU_CYCLE_1) | instskip(SKIP_4) | instid1(VALU_DEP_3)
	s_or_b32 exec_lo, exec_lo, s11
	v_lshrrev_b32_e32 v64, 16, v63
	v_mov_b64_e32 v[52:53], 0
	v_mov_b64_e32 v[54:55], 0
	s_mov_b32 s11, exec_lo
	v_and_b32_e32 v14, 0xff, v64
	s_delay_alu instid0(VALU_DEP_1)
	v_cmpx_ne_u16_e32 0, v14
	s_cbranch_execz .LBB177_558
; %bb.551:                              ;   in Loop: Header=BB177_296 Depth=1
	v_mov_b64_e32 v[54:55], 0x80000000
	s_mov_b32 s14, exec_lo
	v_cmpx_ne_u16_e32 0x80, v14
	s_cbranch_execz .LBB177_557
; %bb.552:                              ;   in Loop: Header=BB177_296 Depth=1
	v_mov_b64_e32 v[54:55], 0x7f800001
	v_bfe_u32 v65, v63, 16, 7
	s_mov_b32 s15, exec_lo
	s_delay_alu instid0(VALU_DEP_1)
	v_cmpx_ne_u32_e32 0x7f, v65
	s_cbranch_execz .LBB177_556
; %bb.553:                              ;   in Loop: Header=BB177_296 Depth=1
	v_dual_lshrrev_b32 v54, 3, v65 :: v_dual_bitop2_b32 v14, 7, v64 bitop3:0x40
	s_mov_b32 s16, exec_lo
	v_cmpx_gt_u32_e32 8, v65
; %bb.554:                              ;   in Loop: Header=BB177_296 Depth=1
	s_delay_alu instid0(VALU_DEP_2) | instskip(NEXT) | instid1(VALU_DEP_1)
	v_clz_i32_u32_e32 v54, v14
	v_min_u32_e32 v54, 32, v54
	s_delay_alu instid0(VALU_DEP_1) | instskip(SKIP_1) | instid1(VALU_DEP_2)
	v_subrev_nc_u32_e32 v55, 28, v54
	v_sub_nc_u32_e32 v54, 29, v54
	v_lshlrev_b64_e32 v[66:67], v55, v[14:15]
	s_delay_alu instid0(VALU_DEP_1)
	v_and_b32_e32 v14, 7, v66
; %bb.555:                              ;   in Loop: Header=BB177_296 Depth=1
	s_or_b32 exec_lo, exec_lo, s16
	s_delay_alu instid0(VALU_DEP_1) | instskip(SKIP_1) | instid1(VALU_DEP_2)
	v_dual_lshlrev_b32 v55, 24, v64 :: v_dual_lshlrev_b32 v14, 20, v14
	v_lshl_add_u32 v54, v54, 23, 0x3c000000
	v_and_b32_e32 v55, 0x80000000, v55
	s_delay_alu instid0(VALU_DEP_1) | instskip(NEXT) | instid1(VALU_DEP_1)
	v_or3_b32 v14, v14, v55, v54
	v_mov_b64_e32 v[54:55], v[14:15]
.LBB177_556:                            ;   in Loop: Header=BB177_296 Depth=1
	s_or_b32 exec_lo, exec_lo, s15
.LBB177_557:                            ;   in Loop: Header=BB177_296 Depth=1
	s_delay_alu instid0(SALU_CYCLE_1)
	s_or_b32 exec_lo, exec_lo, s14
.LBB177_558:                            ;   in Loop: Header=BB177_296 Depth=1
	s_delay_alu instid0(SALU_CYCLE_1) | instskip(NEXT) | instid1(SALU_CYCLE_1)
	s_or_b32 exec_lo, exec_lo, s11
	s_mov_b32 s11, exec_lo
	v_cmpx_lt_u32_e32 0xffffff, v63
	s_cbranch_execz .LBB177_566
; %bb.559:                              ;   in Loop: Header=BB177_296 Depth=1
	v_mov_b64_e32 v[52:53], 0x8000000000000000
	v_lshrrev_b32_e32 v64, 24, v63
	s_mov_b32 s14, exec_lo
	s_delay_alu instid0(VALU_DEP_1)
	v_cmpx_ne_u32_e32 0x80, v64
	s_cbranch_execz .LBB177_565
; %bb.560:                              ;   in Loop: Header=BB177_296 Depth=1
	v_mov_b64_e32 v[52:53], 0x7f80000100000000
	v_bfe_u32 v63, v63, 24, 7
	s_mov_b32 s15, exec_lo
	s_delay_alu instid0(VALU_DEP_1)
	v_cmpx_ne_u32_e32 0x7f, v63
	s_cbranch_execz .LBB177_564
; %bb.561:                              ;   in Loop: Header=BB177_296 Depth=1
	v_dual_lshrrev_b32 v52, 3, v63 :: v_dual_bitop2_b32 v14, 7, v64 bitop3:0x40
	s_mov_b32 s16, exec_lo
	v_cmpx_gt_u32_e32 8, v63
; %bb.562:                              ;   in Loop: Header=BB177_296 Depth=1
	s_delay_alu instid0(VALU_DEP_2) | instskip(NEXT) | instid1(VALU_DEP_1)
	v_clz_i32_u32_e32 v52, v14
	v_min_u32_e32 v52, 32, v52
	s_delay_alu instid0(VALU_DEP_1) | instskip(NEXT) | instid1(VALU_DEP_1)
	v_subrev_nc_u32_e32 v53, 28, v52
	v_lshlrev_b64_e32 v[66:67], v53, v[14:15]
	s_delay_alu instid0(VALU_DEP_1)
	v_dual_sub_nc_u32 v52, 29, v52 :: v_dual_bitop2_b32 v14, 7, v66 bitop3:0x40
; %bb.563:                              ;   in Loop: Header=BB177_296 Depth=1
	s_or_b32 exec_lo, exec_lo, s16
	s_delay_alu instid0(VALU_DEP_1) | instskip(NEXT) | instid1(VALU_DEP_2)
	v_dual_lshlrev_b32 v53, 24, v64 :: v_dual_lshlrev_b32 v14, 20, v14
	v_lshl_add_u32 v52, v52, 23, 0x3c000000
	s_delay_alu instid0(VALU_DEP_2) | instskip(NEXT) | instid1(VALU_DEP_1)
	v_and_b32_e32 v53, 0x80000000, v53
	v_or3_b32 v53, v14, v53, v52
	v_mov_b32_e32 v52, v15
.LBB177_564:                            ;   in Loop: Header=BB177_296 Depth=1
	s_or_b32 exec_lo, exec_lo, s15
.LBB177_565:                            ;   in Loop: Header=BB177_296 Depth=1
	s_delay_alu instid0(SALU_CYCLE_1)
	s_or_b32 exec_lo, exec_lo, s14
.LBB177_566:                            ;   in Loop: Header=BB177_296 Depth=1
	s_delay_alu instid0(SALU_CYCLE_1)
	s_or_b32 exec_lo, exec_lo, s11
	v_mov_b64_e32 v[64:65], s[2:3]
	v_or_b32_e32 v25, v25, v51
	v_or_b32_e32 v24, v24, v50
	;; [unrolled: 1-line block ×4, first 2 shown]
	s_delay_alu instid0(VALU_DEP_3) | instskip(NEXT) | instid1(VALU_DEP_2)
	v_pk_mul_f32 v[50:51], v[64:65], v[24:25]
	v_pk_mul_f32 v[24:25], v[64:65], v[52:53]
	s_and_saveexec_b32 s0, vcc_lo
	s_cbranch_execz .LBB177_295
; %bb.567:                              ;   in Loop: Header=BB177_296 Depth=1
	v_cmp_gt_i32_e32 vcc_lo, s10, v62
	v_or_b32_e32 v52, 2, v59
	v_cndmask_b32_e32 v51, 0, v51, vcc_lo
	v_cmp_gt_i32_e32 vcc_lo, s23, v59
	v_dual_cndmask_b32 v50, 0, v50, vcc_lo :: v_dual_bitop2_b32 v14, 3, v59 bitop3:0x54
	s_delay_alu instid0(VALU_DEP_1)
	v_cmp_gt_i32_e32 vcc_lo, s10, v14
	v_cndmask_b32_e32 v25, 0, v25, vcc_lo
	v_cmp_gt_i32_e32 vcc_lo, s23, v52
	v_cndmask_b32_e32 v24, 0, v24, vcc_lo
	s_branch .LBB177_295
.LBB177_568:
	s_or_b32 exec_lo, exec_lo, s9
.LBB177_569:
	s_delay_alu instid0(SALU_CYCLE_1)
	s_or_b32 exec_lo, exec_lo, s1
	ds_bpermute_b32 v2, v57, v12
	ds_bpermute_b32 v3, v57, v13
	;; [unrolled: 1-line block ×6, first 2 shown]
	v_and_b32_e32 v17, 0x3c1, v0
	v_lshrrev_b32_e32 v16, 1, v56
	s_mov_b32 s0, exec_lo
	ds_bpermute_b32 v14, v57, v6
	ds_bpermute_b32 v15, v57, v7
	s_wait_dscnt 0x0
	s_barrier_signal -1
	s_barrier_wait -1
	v_pk_add_f32 v[12:13], v[12:13], v[2:3]
	v_pk_add_f32 v[4:5], v[10:11], v[4:5]
	v_pk_add_f32 v[2:3], v[8:9], v[18:19]
	v_cmpx_ne_u32_e32 64, v17
	s_xor_b32 s0, exec_lo, s0
	s_delay_alu instid0(SALU_CYCLE_1)
	s_or_saveexec_b32 s0, s0
	v_pk_add_f32 v[6:7], v[6:7], v[14:15]
	v_lshl_add_u32 v8, v16, 2, 0x220
	v_lshlrev_b32_e32 v1, 9, v1
	s_xor_b32 exec_lo, exec_lo, s0
	s_cbranch_execz .LBB177_571
; %bb.570:
	s_delay_alu instid0(VALU_DEP_1) | instskip(NEXT) | instid1(VALU_DEP_1)
	v_add_nc_u32_e32 v9, v8, v1
	v_add_nc_u32_e32 v10, 0xfffffc00, v9
	;; [unrolled: 1-line block ×9, first 2 shown]
	ds_store_b32 v10, v12
	ds_store_b32 v11, v13
	;; [unrolled: 1-line block ×8, first 2 shown]
.LBB177_571:
	s_or_b32 exec_lo, exec_lo, s0
	v_lshlrev_b32_e32 v9, 2, v16
	s_mov_b32 s1, exec_lo
	v_cmp_eq_u32_e32 vcc_lo, 0, v58
	s_wait_dscnt 0x0
	s_barrier_signal -1
	v_add3_u32 v1, 0x220, v1, v9
	s_barrier_wait -1
	v_cmpx_gt_u32_e32 64, v0
	s_cbranch_execz .LBB177_582
; %bb.572:
	s_and_saveexec_b32 s0, vcc_lo
	s_cbranch_execnz .LBB177_598
; %bb.573:
	s_or_b32 exec_lo, exec_lo, s0
	s_and_saveexec_b32 s0, vcc_lo
	s_cbranch_execnz .LBB177_599
.LBB177_574:
	s_or_b32 exec_lo, exec_lo, s0
	s_and_saveexec_b32 s0, vcc_lo
	s_cbranch_execnz .LBB177_600
.LBB177_575:
	s_or_b32 exec_lo, exec_lo, s0
	s_and_saveexec_b32 s0, vcc_lo
	s_cbranch_execnz .LBB177_601
.LBB177_576:
	s_or_b32 exec_lo, exec_lo, s0
	s_and_saveexec_b32 s0, vcc_lo
	s_cbranch_execnz .LBB177_602
.LBB177_577:
	s_or_b32 exec_lo, exec_lo, s0
	s_and_saveexec_b32 s0, vcc_lo
	s_cbranch_execnz .LBB177_603
.LBB177_578:
	s_or_b32 exec_lo, exec_lo, s0
	s_and_saveexec_b32 s0, vcc_lo
	s_cbranch_execnz .LBB177_604
.LBB177_579:
	s_or_b32 exec_lo, exec_lo, s0
	s_and_saveexec_b32 s0, vcc_lo
	s_cbranch_execz .LBB177_581
.LBB177_580:
	ds_load_b32 v9, v1 offset:448
	s_wait_dscnt 0x0
	v_add_f32_e32 v7, v7, v9
.LBB177_581:
	s_or_b32 exec_lo, exec_lo, s0
.LBB177_582:
	s_delay_alu instid0(SALU_CYCLE_1) | instskip(SKIP_4) | instid1(VALU_DEP_1)
	s_or_b32 exec_lo, exec_lo, s1
	v_and_b32_e32 v9, 0x3e1, v0
	s_mov_b32 s1, exec_lo
	s_barrier_signal -1
	s_barrier_wait -1
	v_cmpx_eq_u32_e32 32, v9
	s_cbranch_execz .LBB177_584
; %bb.583:
	ds_store_2addr_b32 v8, v12, v13 offset1:16
	ds_store_2addr_b32 v8, v4, v5 offset0:32 offset1:48
	ds_store_2addr_b32 v8, v2, v3 offset0:64 offset1:80
	;; [unrolled: 1-line block ×3, first 2 shown]
.LBB177_584:
	s_or_b32 exec_lo, exec_lo, s1
	s_delay_alu instid0(SALU_CYCLE_1)
	s_mov_b32 s1, exec_lo
	s_wait_dscnt 0x0
	s_barrier_signal -1
	s_barrier_wait -1
	v_cmpx_gt_u32_e32 32, v0
	s_cbranch_execz .LBB177_595
; %bb.585:
	s_and_saveexec_b32 s0, vcc_lo
	s_cbranch_execnz .LBB177_605
; %bb.586:
	s_or_b32 exec_lo, exec_lo, s0
	s_and_saveexec_b32 s0, vcc_lo
	s_cbranch_execnz .LBB177_606
.LBB177_587:
	s_or_b32 exec_lo, exec_lo, s0
	s_and_saveexec_b32 s0, vcc_lo
	s_cbranch_execnz .LBB177_607
.LBB177_588:
	s_or_b32 exec_lo, exec_lo, s0
	s_and_saveexec_b32 s0, vcc_lo
	s_cbranch_execnz .LBB177_608
.LBB177_589:
	s_or_b32 exec_lo, exec_lo, s0
	s_and_saveexec_b32 s0, vcc_lo
	s_cbranch_execnz .LBB177_609
.LBB177_590:
	s_or_b32 exec_lo, exec_lo, s0
	s_and_saveexec_b32 s0, vcc_lo
	s_cbranch_execnz .LBB177_610
.LBB177_591:
	s_or_b32 exec_lo, exec_lo, s0
	s_and_saveexec_b32 s0, vcc_lo
	s_cbranch_execnz .LBB177_611
.LBB177_592:
	s_or_b32 exec_lo, exec_lo, s0
	s_and_saveexec_b32 s0, vcc_lo
	s_cbranch_execz .LBB177_594
.LBB177_593:
	ds_load_b32 v1, v1 offset:448
	s_wait_dscnt 0x0
	v_add_f32_e32 v7, v7, v1
.LBB177_594:
	s_or_b32 exec_lo, exec_lo, s0
.LBB177_595:
	s_delay_alu instid0(SALU_CYCLE_1)
	s_or_b32 exec_lo, exec_lo, s1
	s_mov_b32 s1, 0
	s_barrier_signal -1
	s_barrier_wait -1
	s_mov_b32 s0, exec_lo
	v_cmpx_eq_u32_e32 0, v9
	s_cbranch_execz .LBB177_597
; %bb.596:
	s_mul_i32 s0, s22, s8
	s_mul_i32 s2, s8, s12
	;; [unrolled: 1-line block ×3, first 2 shown]
	s_lshr_b32 s8, ttmp7, 16
	s_lshl_b32 s6, s0, 7
	s_bfe_u32 s0, ttmp6, 0x40014
	s_ashr_i32 s7, s6, 31
	s_add_co_i32 s0, s0, 1
	s_lshl_b64 s[6:7], s[6:7], 2
	s_ashr_i32 s3, s2, 31
	s_wait_kmcnt 0x0
	s_add_nc_u64 s[4:5], s[4:5], s[6:7]
	s_mul_i32 s0, s8, s0
	s_bfe_u32 s6, ttmp6, 0x40008
	s_lshl_b64 s[2:3], s[2:3], 2
	s_add_co_i32 s6, s6, s0
	s_cmp_eq_u32 s20, 0
	v_lshlrev_b32_e32 v0, 1, v0
	s_cselect_b32 s0, s8, s6
	s_add_nc_u64 s[2:3], s[4:5], s[2:3]
	s_lshl_b32 s0, s0, 9
	s_delay_alu instid0(SALU_CYCLE_1)
	s_add_nc_u64 s[0:1], s[2:3], s[0:1]
	s_clause 0x7
	global_store_b32 v0, v12, s[0:1]
	global_store_b32 v0, v13, s[0:1] offset:64
	global_store_b32 v0, v4, s[0:1] offset:128
	;; [unrolled: 1-line block ×7, first 2 shown]
.LBB177_597:
	s_sendmsg sendmsg(MSG_DEALLOC_VGPRS)
	s_endpgm
.LBB177_598:
	ds_load_b32 v9, v1
	s_wait_dscnt 0x0
	v_add_f32_e32 v12, v12, v9
	s_or_b32 exec_lo, exec_lo, s0
	s_and_saveexec_b32 s0, vcc_lo
	s_cbranch_execz .LBB177_574
.LBB177_599:
	ds_load_b32 v9, v1 offset:64
	s_wait_dscnt 0x0
	v_add_f32_e32 v13, v13, v9
	s_or_b32 exec_lo, exec_lo, s0
	s_and_saveexec_b32 s0, vcc_lo
	s_cbranch_execz .LBB177_575
.LBB177_600:
	ds_load_b32 v9, v1 offset:128
	s_wait_dscnt 0x0
	v_add_f32_e32 v4, v4, v9
	s_or_b32 exec_lo, exec_lo, s0
	s_and_saveexec_b32 s0, vcc_lo
	s_cbranch_execz .LBB177_576
.LBB177_601:
	ds_load_b32 v9, v1 offset:192
	s_wait_dscnt 0x0
	v_add_f32_e32 v5, v5, v9
	s_or_b32 exec_lo, exec_lo, s0
	s_and_saveexec_b32 s0, vcc_lo
	s_cbranch_execz .LBB177_577
.LBB177_602:
	ds_load_b32 v9, v1 offset:256
	s_wait_dscnt 0x0
	v_add_f32_e32 v2, v2, v9
	s_or_b32 exec_lo, exec_lo, s0
	s_and_saveexec_b32 s0, vcc_lo
	s_cbranch_execz .LBB177_578
.LBB177_603:
	ds_load_b32 v9, v1 offset:320
	s_wait_dscnt 0x0
	v_add_f32_e32 v3, v3, v9
	s_or_b32 exec_lo, exec_lo, s0
	s_and_saveexec_b32 s0, vcc_lo
	s_cbranch_execz .LBB177_579
.LBB177_604:
	ds_load_b32 v9, v1 offset:384
	s_wait_dscnt 0x0
	v_add_f32_e32 v6, v6, v9
	s_or_b32 exec_lo, exec_lo, s0
	s_and_saveexec_b32 s0, vcc_lo
	s_cbranch_execnz .LBB177_580
	s_branch .LBB177_581
.LBB177_605:
	ds_load_b32 v8, v1
	s_wait_dscnt 0x0
	v_add_f32_e32 v12, v12, v8
	s_or_b32 exec_lo, exec_lo, s0
	s_and_saveexec_b32 s0, vcc_lo
	s_cbranch_execz .LBB177_587
.LBB177_606:
	ds_load_b32 v8, v1 offset:64
	s_wait_dscnt 0x0
	v_add_f32_e32 v13, v13, v8
	s_or_b32 exec_lo, exec_lo, s0
	s_and_saveexec_b32 s0, vcc_lo
	s_cbranch_execz .LBB177_588
.LBB177_607:
	ds_load_b32 v8, v1 offset:128
	s_wait_dscnt 0x0
	v_add_f32_e32 v4, v4, v8
	s_or_b32 exec_lo, exec_lo, s0
	s_and_saveexec_b32 s0, vcc_lo
	s_cbranch_execz .LBB177_589
.LBB177_608:
	ds_load_b32 v8, v1 offset:192
	s_wait_dscnt 0x0
	v_add_f32_e32 v5, v5, v8
	s_or_b32 exec_lo, exec_lo, s0
	s_and_saveexec_b32 s0, vcc_lo
	s_cbranch_execz .LBB177_590
.LBB177_609:
	ds_load_b32 v8, v1 offset:256
	s_wait_dscnt 0x0
	v_add_f32_e32 v2, v2, v8
	s_or_b32 exec_lo, exec_lo, s0
	s_and_saveexec_b32 s0, vcc_lo
	s_cbranch_execz .LBB177_591
.LBB177_610:
	ds_load_b32 v8, v1 offset:320
	s_wait_dscnt 0x0
	v_add_f32_e32 v3, v3, v8
	s_or_b32 exec_lo, exec_lo, s0
	s_and_saveexec_b32 s0, vcc_lo
	s_cbranch_execz .LBB177_592
.LBB177_611:
	ds_load_b32 v8, v1 offset:384
	s_wait_dscnt 0x0
	v_add_f32_e32 v6, v6, v8
	s_or_b32 exec_lo, exec_lo, s0
	s_and_saveexec_b32 s0, vcc_lo
	s_cbranch_execnz .LBB177_593
	s_branch .LBB177_594
	.section	.rodata,"a",@progbits
	.p2align	6, 0x0
	.amdhsa_kernel _ZN4vllm25paged_attention_v1_kernelIfhLi128ELi8ELi128ELNS_18Fp8KVCacheDataTypeE1ELb0EEEvPT_PKS2_PKT0_S8_ifPKiSA_iPKfiiiSC_SC_iiiii
		.amdhsa_group_segment_fixed_size 544
		.amdhsa_private_segment_fixed_size 0
		.amdhsa_kernarg_size 384
		.amdhsa_user_sgpr_count 2
		.amdhsa_user_sgpr_dispatch_ptr 0
		.amdhsa_user_sgpr_queue_ptr 0
		.amdhsa_user_sgpr_kernarg_segment_ptr 1
		.amdhsa_user_sgpr_dispatch_id 0
		.amdhsa_user_sgpr_kernarg_preload_length 0
		.amdhsa_user_sgpr_kernarg_preload_offset 0
		.amdhsa_user_sgpr_private_segment_size 0
		.amdhsa_wavefront_size32 1
		.amdhsa_uses_dynamic_stack 0
		.amdhsa_enable_private_segment 0
		.amdhsa_system_sgpr_workgroup_id_x 1
		.amdhsa_system_sgpr_workgroup_id_y 1
		.amdhsa_system_sgpr_workgroup_id_z 1
		.amdhsa_system_sgpr_workgroup_info 0
		.amdhsa_system_vgpr_workitem_id 0
		.amdhsa_next_free_vgpr 86
		.amdhsa_next_free_sgpr 31
		.amdhsa_named_barrier_count 0
		.amdhsa_reserve_vcc 1
		.amdhsa_float_round_mode_32 0
		.amdhsa_float_round_mode_16_64 0
		.amdhsa_float_denorm_mode_32 3
		.amdhsa_float_denorm_mode_16_64 3
		.amdhsa_fp16_overflow 0
		.amdhsa_memory_ordered 1
		.amdhsa_forward_progress 1
		.amdhsa_inst_pref_size 161
		.amdhsa_round_robin_scheduling 0
		.amdhsa_exception_fp_ieee_invalid_op 0
		.amdhsa_exception_fp_denorm_src 0
		.amdhsa_exception_fp_ieee_div_zero 0
		.amdhsa_exception_fp_ieee_overflow 0
		.amdhsa_exception_fp_ieee_underflow 0
		.amdhsa_exception_fp_ieee_inexact 0
		.amdhsa_exception_int_div_zero 0
	.end_amdhsa_kernel
	.section	.text._ZN4vllm25paged_attention_v1_kernelIfhLi128ELi8ELi128ELNS_18Fp8KVCacheDataTypeE1ELb0EEEvPT_PKS2_PKT0_S8_ifPKiSA_iPKfiiiSC_SC_iiiii,"axG",@progbits,_ZN4vllm25paged_attention_v1_kernelIfhLi128ELi8ELi128ELNS_18Fp8KVCacheDataTypeE1ELb0EEEvPT_PKS2_PKT0_S8_ifPKiSA_iPKfiiiSC_SC_iiiii,comdat
.Lfunc_end177:
	.size	_ZN4vllm25paged_attention_v1_kernelIfhLi128ELi8ELi128ELNS_18Fp8KVCacheDataTypeE1ELb0EEEvPT_PKS2_PKT0_S8_ifPKiSA_iPKfiiiSC_SC_iiiii, .Lfunc_end177-_ZN4vllm25paged_attention_v1_kernelIfhLi128ELi8ELi128ELNS_18Fp8KVCacheDataTypeE1ELb0EEEvPT_PKS2_PKT0_S8_ifPKiSA_iPKfiiiSC_SC_iiiii
                                        ; -- End function
	.set _ZN4vllm25paged_attention_v1_kernelIfhLi128ELi8ELi128ELNS_18Fp8KVCacheDataTypeE1ELb0EEEvPT_PKS2_PKT0_S8_ifPKiSA_iPKfiiiSC_SC_iiiii.num_vgpr, 86
	.set _ZN4vllm25paged_attention_v1_kernelIfhLi128ELi8ELi128ELNS_18Fp8KVCacheDataTypeE1ELb0EEEvPT_PKS2_PKT0_S8_ifPKiSA_iPKfiiiSC_SC_iiiii.num_agpr, 0
	.set _ZN4vllm25paged_attention_v1_kernelIfhLi128ELi8ELi128ELNS_18Fp8KVCacheDataTypeE1ELb0EEEvPT_PKS2_PKT0_S8_ifPKiSA_iPKfiiiSC_SC_iiiii.numbered_sgpr, 31
	.set _ZN4vllm25paged_attention_v1_kernelIfhLi128ELi8ELi128ELNS_18Fp8KVCacheDataTypeE1ELb0EEEvPT_PKS2_PKT0_S8_ifPKiSA_iPKfiiiSC_SC_iiiii.num_named_barrier, 0
	.set _ZN4vllm25paged_attention_v1_kernelIfhLi128ELi8ELi128ELNS_18Fp8KVCacheDataTypeE1ELb0EEEvPT_PKS2_PKT0_S8_ifPKiSA_iPKfiiiSC_SC_iiiii.private_seg_size, 0
	.set _ZN4vllm25paged_attention_v1_kernelIfhLi128ELi8ELi128ELNS_18Fp8KVCacheDataTypeE1ELb0EEEvPT_PKS2_PKT0_S8_ifPKiSA_iPKfiiiSC_SC_iiiii.uses_vcc, 1
	.set _ZN4vllm25paged_attention_v1_kernelIfhLi128ELi8ELi128ELNS_18Fp8KVCacheDataTypeE1ELb0EEEvPT_PKS2_PKT0_S8_ifPKiSA_iPKfiiiSC_SC_iiiii.uses_flat_scratch, 0
	.set _ZN4vllm25paged_attention_v1_kernelIfhLi128ELi8ELi128ELNS_18Fp8KVCacheDataTypeE1ELb0EEEvPT_PKS2_PKT0_S8_ifPKiSA_iPKfiiiSC_SC_iiiii.has_dyn_sized_stack, 0
	.set _ZN4vllm25paged_attention_v1_kernelIfhLi128ELi8ELi128ELNS_18Fp8KVCacheDataTypeE1ELb0EEEvPT_PKS2_PKT0_S8_ifPKiSA_iPKfiiiSC_SC_iiiii.has_recursion, 0
	.set _ZN4vllm25paged_attention_v1_kernelIfhLi128ELi8ELi128ELNS_18Fp8KVCacheDataTypeE1ELb0EEEvPT_PKS2_PKT0_S8_ifPKiSA_iPKfiiiSC_SC_iiiii.has_indirect_call, 0
	.section	.AMDGPU.csdata,"",@progbits
; Kernel info:
; codeLenInByte = 20520
; TotalNumSgprs: 33
; NumVgprs: 86
; ScratchSize: 0
; MemoryBound: 0
; FloatMode: 240
; IeeeMode: 1
; LDSByteSize: 544 bytes/workgroup (compile time only)
; SGPRBlocks: 0
; VGPRBlocks: 5
; NumSGPRsForWavesPerEU: 33
; NumVGPRsForWavesPerEU: 86
; NamedBarCnt: 0
; Occupancy: 10
; WaveLimiterHint : 1
; COMPUTE_PGM_RSRC2:SCRATCH_EN: 0
; COMPUTE_PGM_RSRC2:USER_SGPR: 2
; COMPUTE_PGM_RSRC2:TRAP_HANDLER: 0
; COMPUTE_PGM_RSRC2:TGID_X_EN: 1
; COMPUTE_PGM_RSRC2:TGID_Y_EN: 1
; COMPUTE_PGM_RSRC2:TGID_Z_EN: 1
; COMPUTE_PGM_RSRC2:TIDIG_COMP_CNT: 0
	.section	.text._ZN4vllm25paged_attention_v1_kernelIfhLi192ELi8ELi128ELNS_18Fp8KVCacheDataTypeE1ELb0EEEvPT_PKS2_PKT0_S8_ifPKiSA_iPKfiiiSC_SC_iiiii,"axG",@progbits,_ZN4vllm25paged_attention_v1_kernelIfhLi192ELi8ELi128ELNS_18Fp8KVCacheDataTypeE1ELb0EEEvPT_PKS2_PKT0_S8_ifPKiSA_iPKfiiiSC_SC_iiiii,comdat
	.protected	_ZN4vllm25paged_attention_v1_kernelIfhLi192ELi8ELi128ELNS_18Fp8KVCacheDataTypeE1ELb0EEEvPT_PKS2_PKT0_S8_ifPKiSA_iPKfiiiSC_SC_iiiii ; -- Begin function _ZN4vllm25paged_attention_v1_kernelIfhLi192ELi8ELi128ELNS_18Fp8KVCacheDataTypeE1ELb0EEEvPT_PKS2_PKT0_S8_ifPKiSA_iPKfiiiSC_SC_iiiii
	.globl	_ZN4vllm25paged_attention_v1_kernelIfhLi192ELi8ELi128ELNS_18Fp8KVCacheDataTypeE1ELb0EEEvPT_PKS2_PKT0_S8_ifPKiSA_iPKfiiiSC_SC_iiiii
	.p2align	8
	.type	_ZN4vllm25paged_attention_v1_kernelIfhLi192ELi8ELi128ELNS_18Fp8KVCacheDataTypeE1ELb0EEEvPT_PKS2_PKT0_S8_ifPKiSA_iPKfiiiSC_SC_iiiii,@function
_ZN4vllm25paged_attention_v1_kernelIfhLi192ELi8ELi128ELNS_18Fp8KVCacheDataTypeE1ELb0EEEvPT_PKS2_PKT0_S8_ifPKiSA_iPKfiiiSC_SC_iiiii: ; @_ZN4vllm25paged_attention_v1_kernelIfhLi192ELi8ELi128ELNS_18Fp8KVCacheDataTypeE1ELb0EEEvPT_PKS2_PKT0_S8_ifPKiSA_iPKfiiiSC_SC_iiiii
; %bb.0:
	s_load_b64 s[18:19], s[0:1], 0x20
	s_bfe_u32 s3, ttmp6, 0x4000c
	s_bfe_u32 s5, ttmp6, 0x40010
	s_and_b32 s4, ttmp7, 0xffff
	s_add_co_i32 s3, s3, 1
	s_add_co_i32 s5, s5, 1
	s_and_b32 s2, ttmp6, 15
	s_bfe_u32 s6, ttmp6, 0x40004
	s_mul_i32 s3, ttmp9, s3
	s_mul_i32 s5, s4, s5
	s_getreg_b32 s20, hwreg(HW_REG_IB_STS2, 6, 4)
	s_add_co_i32 s2, s2, s3
	s_add_co_i32 s3, s6, s5
	s_cmp_eq_u32 s20, 0
	s_clause 0x1
	s_load_b32 s21, s[0:1], 0x80
	s_load_b64 s[6:7], s[0:1], 0x30
	s_cselect_b32 s22, s4, s3
	s_cselect_b32 s4, ttmp9, s2
	s_wait_kmcnt 0x0
	s_abs_i32 s2, s18
	s_delay_alu instid0(SALU_CYCLE_1) | instskip(SKIP_1) | instid1(SALU_CYCLE_2)
	s_cvt_f32_u32 s3, s2
	s_sub_co_i32 s5, 0, s2
	v_rcp_iflag_f32_e32 v1, s3
	s_abs_i32 s8, s21
	v_nop
	s_delay_alu instid0(TRANS32_DEP_1) | instskip(SKIP_1) | instid1(SALU_CYCLE_3)
	v_readfirstlane_b32 s3, v1
	s_mul_f32 s3, s3, 0x4f7ffffe
	s_cvt_u32_f32 s3, s3
	s_delay_alu instid0(SALU_CYCLE_3) | instskip(NEXT) | instid1(SALU_CYCLE_1)
	s_mul_i32 s5, s5, s3
	s_mul_hi_u32 s5, s3, s5
	s_delay_alu instid0(SALU_CYCLE_1) | instskip(SKIP_4) | instid1(SALU_CYCLE_1)
	s_add_co_i32 s3, s3, s5
	s_xor_b32 s5, s21, s18
	s_mul_hi_u32 s3, s8, s3
	s_ashr_i32 s5, s5, 31
	s_mul_i32 s9, s3, s2
	s_sub_co_i32 s8, s8, s9
	s_add_co_i32 s9, s3, 1
	s_sub_co_i32 s10, s8, s2
	s_cmp_ge_u32 s8, s2
	s_cselect_b32 s3, s9, s3
	s_cselect_b32 s8, s10, s8
	s_add_co_i32 s9, s3, 1
	s_cmp_ge_u32 s8, s2
	s_cselect_b32 s2, s9, s3
	s_load_b64 s[8:9], s[0:1], 0x40
	s_xor_b32 s2, s2, s5
	s_mov_b32 s3, 0
	s_sub_co_i32 s15, s2, s5
	s_mov_b32 s13, s3
	s_abs_i32 s11, s15
	s_mov_b32 s18, s3
	s_cvt_f32_u32 s2, s11
	s_delay_alu instid0(SALU_CYCLE_3) | instskip(SKIP_1) | instid1(TRANS32_DEP_1)
	v_rcp_iflag_f32_e32 v1, s2
	v_nop
	v_readfirstlane_b32 s2, v1
	s_mul_f32 s2, s2, 0x4f7ffffe
	s_delay_alu instid0(SALU_CYCLE_3) | instskip(SKIP_1) | instid1(SALU_CYCLE_2)
	s_cvt_u32_f32 s5, s2
	s_sub_co_i32 s2, 0, s11
	s_mul_i32 s2, s2, s5
	s_delay_alu instid0(SALU_CYCLE_1)
	s_mul_hi_u32 s10, s5, s2
	s_abs_i32 s2, s4
	s_add_co_i32 s12, s5, s10
	s_wait_kmcnt 0x0
	s_cmp_eq_u64 s[8:9], 0
	s_cbranch_scc1 .LBB178_2
; %bb.1:
	s_ashr_i32 s5, s4, 31
	s_delay_alu instid0(SALU_CYCLE_1) | instskip(NEXT) | instid1(SALU_CYCLE_1)
	s_lshl_b64 s[16:17], s[4:5], 2
	s_add_nc_u64 s[8:9], s[8:9], s[16:17]
	s_load_b32 s18, s[8:9], 0x0
.LBB178_2:
	s_load_b32 s24, s[6:7], s22 offset:0x0 scale_offset
	s_load_b32 s23, s[0:1], 0x88
	s_wait_xcnt 0x0
	s_load_b96 s[8:10], s[0:1], 0x48
	v_and_b32_e32 v52, 3, v0
	s_ashr_i32 s14, s4, 31
	s_ashr_i32 s15, s15, 31
	s_mul_u64 s[6:7], s[2:3], s[12:13]
	s_mul_i32 s12, s4, 0xc0
	s_mov_b32 s3, exec_lo
	v_cmpx_gt_u32_e32 0xc0, v0
	s_cbranch_execz .LBB178_5
; %bb.3:
	s_load_b64 s[4:5], s[0:1], 0x8
	s_wait_kmcnt 0x0
	s_mul_i32 s16, s8, s22
	s_ashr_i32 s13, s12, 31
	s_ashr_i32 s17, s16, 31
	v_and_b32_e32 v1, 0x3fc, v0
	s_lshl_b64 s[16:17], s[16:17], 2
	v_cmp_gt_u32_e32 vcc_lo, 64, v0
	s_delay_alu instid0(VALU_DEP_2) | instskip(SKIP_2) | instid1(SALU_CYCLE_1)
	v_mad_u32_u24 v1, 0xc0, v52, v1
	s_add_nc_u64 s[4:5], s[4:5], s[16:17]
	s_lshl_b64 s[16:17], s[12:13], 2
	s_add_nc_u64 s[4:5], s[4:5], s[16:17]
	global_load_b32 v2, v0, s[4:5] scale_offset
	s_wait_loadcnt 0x0
	ds_store_b32 v1, v2
	s_and_b32 exec_lo, exec_lo, vcc_lo
	s_cbranch_execz .LBB178_5
; %bb.4:
	v_lshrrev_b32_e32 v2, 2, v0
	s_delay_alu instid0(VALU_DEP_1) | instskip(NEXT) | instid1(VALU_DEP_1)
	v_dual_lshlrev_b32 v3, 2, v52 :: v_dual_lshlrev_b32 v2, 4, v2
	v_or3_b32 v2, v2, v3, 0x200
	global_load_b32 v2, v2, s[4:5]
	s_wait_loadcnt 0x0
	ds_store_b32 v1, v2 offset:128
.LBB178_5:
	s_or_b32 exec_lo, exec_lo, s3
	s_wait_kmcnt 0x0
	s_add_co_i32 s3, s24, 7
	s_load_b32 s4, s[0:1], 0x38
	s_ashr_i32 s5, s3, 31
	s_mul_i32 s8, s7, s11
	s_lshr_b32 s5, s5, 29
	s_sub_co_i32 s2, s2, s8
	s_add_co_i32 s3, s3, s5
	s_xor_b32 s6, s14, s15
	s_ashr_i32 s8, s3, 3
	s_add_co_i32 s3, s7, 1
	s_sub_co_i32 s5, s2, s11
	s_cmp_ge_u32 s2, s11
	v_lshrrev_b32_e32 v1, 5, v0
	s_cselect_b32 s3, s3, s7
	s_cselect_b32 s2, s5, s2
	s_add_co_i32 s5, s3, 1
	s_cmp_ge_u32 s2, s11
	v_mbcnt_lo_u32_b32 v59, -1, 0
	s_cselect_b32 s2, s5, s3
	s_wait_dscnt 0x0
	s_xor_b32 s2, s2, s6
	s_wait_kmcnt 0x0
	s_mul_i32 s14, s4, s22
	s_sub_co_i32 s3, s2, s6
	v_cmp_gt_i32_e64 s2, s8, v1
	s_ashr_i32 s15, s14, 31
	s_mov_b32 s4, exec_lo
	s_barrier_signal -1
	s_barrier_wait -1
                                        ; implicit-def: $vgpr51
                                        ; implicit-def: $vgpr60
	v_cmpx_le_i32_e64 s8, v1
	s_xor_b32 s4, exec_lo, s4
; %bb.6:
	v_dual_mov_b32 v51, 0 :: v_dual_mov_b32 v60, 32
	v_mbcnt_lo_u32_b32 v59, -1, 0
                                        ; implicit-def: $vgpr52
; %bb.7:
	s_or_saveexec_b32 s13, s4
	s_clause 0x1
	s_load_b64 s[16:17], s[0:1], 0x28
	s_load_b128 s[4:7], s[0:1], 0x58
	v_mov_b32_e32 v62, 0xff7fffff
	v_lshrrev_b32_e32 v58, 3, v0
	s_mul_i32 s10, s3, s10
	s_xor_b32 exec_lo, exec_lo, s13
	s_cbranch_execz .LBB178_397
; %bb.8:
	s_load_b64 s[26:27], s[0:1], 0x10
	v_dual_mov_b32 v51, 0 :: v_dual_bitop2_b32 v34, 2, v59 bitop3:0x14
	v_mul_u32_u24_e32 v46, 0xc0, v52
	v_bfe_u32 v56, v0, 2, 3
	v_xor_b32_e32 v35, 1, v59
	ds_load_b128 v[2:5], v46
	ds_load_b128 v[6:9], v46 offset:16
	ds_load_b128 v[10:13], v46 offset:32
	;; [unrolled: 1-line block ×7, first 2 shown]
	v_cmp_gt_i32_e32 vcc_lo, 32, v34
	v_lshlrev_b32_e32 v50, 4, v56
	s_ashr_i32 s11, s10, 31
	v_mov_b32_e32 v53, v51
	s_cmp_neq_f32 s18, 0
	v_cndmask_b32_e32 v42, v59, v34, vcc_lo
	v_cmp_gt_i32_e32 vcc_lo, 32, v35
	v_lshl_or_b32 v64, v1, 3, v56
	s_cselect_b32 s3, -1, 0
	s_mov_b32 s25, s9
	v_mov_b32_e32 v62, 0xff7fffff
	s_wait_kmcnt 0x0
	s_add_nc_u64 s[26:27], s[26:27], s[10:11]
	v_cndmask_b32_e32 v57, v59, v35, vcc_lo
	ds_load_b128 v[34:37], v46 offset:128
	ds_load_b128 v[38:41], v46 offset:144
	v_dual_mov_b32 v60, 32 :: v_dual_lshlrev_b32 v61, 2, v42
	s_load_b32 s5, s[4:5], 0x0
	ds_load_b128 v[42:45], v46 offset:160
	ds_load_b128 v[46:49], v46 offset:176
	v_add_nc_u64_e32 v[54:55], s[26:27], v[50:51]
	v_lshlrev_b32_e32 v50, 2, v56
	v_cmp_eq_u32_e32 vcc_lo, 0, v52
	s_lshl_b64 s[26:27], s[14:15], 2
	v_lshlrev_b32_e32 v63, 2, v57
	s_add_nc_u64 s[26:27], s[16:17], s[26:27]
	s_mov_b32 s11, 0
	v_add_nc_u64_e32 v[52:53], v[54:55], v[52:53]
	v_lshl_or_b32 v54, v1, 5, v50
	v_and_b32_e32 v50, 0x7c, v58
	s_delay_alu instid0(VALU_DEP_2) | instskip(NEXT) | instid1(VALU_DEP_2)
	v_dual_mov_b32 v66, v1 :: v_dual_add_nc_u32 v65, 0x320, v54
	v_add_nc_u64_e32 v[54:55], s[26:27], v[50:51]
	s_sub_co_i32 s26, 1, s24
	s_branch .LBB178_10
.LBB178_9:                              ;   in Loop: Header=BB178_10 Depth=1
	s_or_b32 exec_lo, exec_lo, s27
	v_dual_add_nc_u32 v66, 4, v66 :: v_dual_add_nc_u32 v64, 32, v64
	v_add_nc_u64_e32 v[54:55], 16, v[54:55]
	v_add_nc_u32_e32 v65, 0x80, v65
	s_delay_alu instid0(VALU_DEP_3) | instskip(SKIP_1) | instid1(SALU_CYCLE_1)
	v_cmp_le_i32_e64 s4, s8, v66
	s_or_b32 s11, s4, s11
	s_and_not1_b32 exec_lo, exec_lo, s11
	s_cbranch_execz .LBB178_396
.LBB178_10:                             ; =>This Inner Loop Header: Depth=1
	global_load_b32 v50, v[54:55], off
	v_dual_mov_b32 v67, 0 :: v_dual_mov_b32 v68, 0
	s_mov_b32 s27, exec_lo
	s_wait_loadcnt_dscnt 0x0
	v_mad_nc_i64_i32 v[56:57], v50, s25, v[52:53]
	global_load_u8 v69, v[56:57], off
	s_wait_loadcnt 0x0
	s_wait_xcnt 0x0
	v_cmpx_ne_u16_e32 0, v69
	s_cbranch_execz .LBB178_18
; %bb.11:                               ;   in Loop: Header=BB178_10 Depth=1
	v_bfrev_b32_e32 v68, 1
	s_mov_b32 s28, exec_lo
	v_cmpx_ne_u16_e32 0x80, v69
	s_cbranch_execz .LBB178_17
; %bb.12:                               ;   in Loop: Header=BB178_10 Depth=1
	v_and_b32_e32 v50, 0xffff, v69
	v_mov_b32_e32 v68, 0x7f800001
	s_mov_b32 s29, exec_lo
	s_delay_alu instid0(VALU_DEP_2) | instskip(NEXT) | instid1(VALU_DEP_1)
	v_and_b32_e32 v70, 0x7f, v50
	v_cmpx_ne_u32_e32 0x7f, v70
	s_cbranch_execz .LBB178_16
; %bb.13:                               ;   in Loop: Header=BB178_10 Depth=1
	v_and_b32_e32 v50, 7, v50
	v_lshrrev_b32_e32 v68, 3, v70
	s_mov_b32 s30, exec_lo
	v_cmpx_gt_u32_e32 8, v70
; %bb.14:                               ;   in Loop: Header=BB178_10 Depth=1
	s_delay_alu instid0(VALU_DEP_3) | instskip(NEXT) | instid1(VALU_DEP_1)
	v_clz_i32_u32_e32 v68, v50
	v_min_u32_e32 v68, 32, v68
	s_delay_alu instid0(VALU_DEP_1) | instskip(NEXT) | instid1(VALU_DEP_1)
	v_subrev_nc_u32_e32 v70, 28, v68
	v_lshlrev_b64_e32 v[70:71], v70, v[50:51]
	s_delay_alu instid0(VALU_DEP_1)
	v_dual_sub_nc_u32 v68, 29, v68 :: v_dual_bitop2_b32 v50, 7, v70 bitop3:0x40
; %bb.15:                               ;   in Loop: Header=BB178_10 Depth=1
	s_or_b32 exec_lo, exec_lo, s30
	s_delay_alu instid0(VALU_DEP_1) | instskip(NEXT) | instid1(VALU_DEP_2)
	v_dual_lshlrev_b32 v69, 24, v69 :: v_dual_lshlrev_b32 v50, 20, v50
	v_lshl_add_u32 v68, v68, 23, 0x3c000000
	s_delay_alu instid0(VALU_DEP_2) | instskip(NEXT) | instid1(VALU_DEP_1)
	v_and_b32_e32 v69, 0x80000000, v69
	v_or3_b32 v68, v50, v69, v68
.LBB178_16:                             ;   in Loop: Header=BB178_10 Depth=1
	s_or_b32 exec_lo, exec_lo, s29
.LBB178_17:                             ;   in Loop: Header=BB178_10 Depth=1
	s_delay_alu instid0(SALU_CYCLE_1)
	s_or_b32 exec_lo, exec_lo, s28
.LBB178_18:                             ;   in Loop: Header=BB178_10 Depth=1
	s_delay_alu instid0(SALU_CYCLE_1)
	s_or_b32 exec_lo, exec_lo, s27
	global_load_u8 v69, v[56:57], off offset:4
	s_mov_b32 s27, exec_lo
	s_wait_loadcnt 0x0
	v_cmpx_ne_u16_e32 0, v69
	s_cbranch_execz .LBB178_26
; %bb.19:                               ;   in Loop: Header=BB178_10 Depth=1
	v_bfrev_b32_e32 v67, 1
	s_mov_b32 s28, exec_lo
	v_cmpx_ne_u16_e32 0x80, v69
	s_cbranch_execz .LBB178_25
; %bb.20:                               ;   in Loop: Header=BB178_10 Depth=1
	v_and_b32_e32 v50, 0xffff, v69
	v_mov_b32_e32 v67, 0x7f800001
	s_mov_b32 s29, exec_lo
	s_delay_alu instid0(VALU_DEP_2) | instskip(NEXT) | instid1(VALU_DEP_1)
	v_and_b32_e32 v70, 0x7f, v50
	v_cmpx_ne_u32_e32 0x7f, v70
	s_cbranch_execz .LBB178_24
; %bb.21:                               ;   in Loop: Header=BB178_10 Depth=1
	v_and_b32_e32 v50, 7, v50
	v_lshrrev_b32_e32 v67, 3, v70
	s_mov_b32 s30, exec_lo
	v_cmpx_gt_u32_e32 8, v70
; %bb.22:                               ;   in Loop: Header=BB178_10 Depth=1
	s_delay_alu instid0(VALU_DEP_3) | instskip(NEXT) | instid1(VALU_DEP_1)
	v_clz_i32_u32_e32 v67, v50
	v_min_u32_e32 v67, 32, v67
	s_delay_alu instid0(VALU_DEP_1) | instskip(NEXT) | instid1(VALU_DEP_1)
	v_subrev_nc_u32_e32 v70, 28, v67
	v_lshlrev_b64_e32 v[70:71], v70, v[50:51]
	s_delay_alu instid0(VALU_DEP_1)
	v_dual_sub_nc_u32 v67, 29, v67 :: v_dual_bitop2_b32 v50, 7, v70 bitop3:0x40
; %bb.23:                               ;   in Loop: Header=BB178_10 Depth=1
	s_or_b32 exec_lo, exec_lo, s30
	s_delay_alu instid0(VALU_DEP_1) | instskip(NEXT) | instid1(VALU_DEP_2)
	v_dual_lshlrev_b32 v69, 24, v69 :: v_dual_lshlrev_b32 v50, 20, v50
	v_lshl_add_u32 v67, v67, 23, 0x3c000000
	s_delay_alu instid0(VALU_DEP_2) | instskip(NEXT) | instid1(VALU_DEP_1)
	v_and_b32_e32 v69, 0x80000000, v69
	v_or3_b32 v67, v50, v69, v67
.LBB178_24:                             ;   in Loop: Header=BB178_10 Depth=1
	s_or_b32 exec_lo, exec_lo, s29
.LBB178_25:                             ;   in Loop: Header=BB178_10 Depth=1
	s_delay_alu instid0(SALU_CYCLE_1)
	s_or_b32 exec_lo, exec_lo, s28
.LBB178_26:                             ;   in Loop: Header=BB178_10 Depth=1
	s_delay_alu instid0(SALU_CYCLE_1)
	s_or_b32 exec_lo, exec_lo, s27
	global_load_u8 v71, v[56:57], off offset:8
	v_dual_mov_b32 v69, 0 :: v_dual_mov_b32 v70, 0
	s_mov_b32 s27, exec_lo
	s_wait_loadcnt 0x0
	v_cmpx_ne_u16_e32 0, v71
	s_cbranch_execz .LBB178_34
; %bb.27:                               ;   in Loop: Header=BB178_10 Depth=1
	v_bfrev_b32_e32 v70, 1
	s_mov_b32 s28, exec_lo
	v_cmpx_ne_u16_e32 0x80, v71
	s_cbranch_execz .LBB178_33
; %bb.28:                               ;   in Loop: Header=BB178_10 Depth=1
	v_and_b32_e32 v50, 0xffff, v71
	v_mov_b32_e32 v70, 0x7f800001
	s_mov_b32 s29, exec_lo
	s_delay_alu instid0(VALU_DEP_2) | instskip(NEXT) | instid1(VALU_DEP_1)
	v_and_b32_e32 v72, 0x7f, v50
	v_cmpx_ne_u32_e32 0x7f, v72
	s_cbranch_execz .LBB178_32
; %bb.29:                               ;   in Loop: Header=BB178_10 Depth=1
	v_dual_lshrrev_b32 v70, 3, v72 :: v_dual_bitop2_b32 v50, 7, v50 bitop3:0x40
	s_mov_b32 s30, exec_lo
	v_cmpx_gt_u32_e32 8, v72
; %bb.30:                               ;   in Loop: Header=BB178_10 Depth=1
	s_delay_alu instid0(VALU_DEP_2) | instskip(NEXT) | instid1(VALU_DEP_1)
	v_clz_i32_u32_e32 v70, v50
	v_min_u32_e32 v70, 32, v70
	s_delay_alu instid0(VALU_DEP_1) | instskip(NEXT) | instid1(VALU_DEP_1)
	v_subrev_nc_u32_e32 v72, 28, v70
	v_lshlrev_b64_e32 v[72:73], v72, v[50:51]
	s_delay_alu instid0(VALU_DEP_1)
	v_dual_sub_nc_u32 v70, 29, v70 :: v_dual_bitop2_b32 v50, 7, v72 bitop3:0x40
; %bb.31:                               ;   in Loop: Header=BB178_10 Depth=1
	s_or_b32 exec_lo, exec_lo, s30
	s_delay_alu instid0(VALU_DEP_1) | instskip(NEXT) | instid1(VALU_DEP_2)
	v_dual_lshlrev_b32 v71, 24, v71 :: v_dual_lshlrev_b32 v50, 20, v50
	v_lshl_add_u32 v70, v70, 23, 0x3c000000
	s_delay_alu instid0(VALU_DEP_2) | instskip(NEXT) | instid1(VALU_DEP_1)
	v_and_b32_e32 v71, 0x80000000, v71
	v_or3_b32 v70, v50, v71, v70
.LBB178_32:                             ;   in Loop: Header=BB178_10 Depth=1
	s_or_b32 exec_lo, exec_lo, s29
.LBB178_33:                             ;   in Loop: Header=BB178_10 Depth=1
	s_delay_alu instid0(SALU_CYCLE_1)
	s_or_b32 exec_lo, exec_lo, s28
.LBB178_34:                             ;   in Loop: Header=BB178_10 Depth=1
	s_delay_alu instid0(SALU_CYCLE_1)
	s_or_b32 exec_lo, exec_lo, s27
	global_load_u8 v71, v[56:57], off offset:12
	s_mov_b32 s27, exec_lo
	s_wait_loadcnt 0x0
	v_cmpx_ne_u16_e32 0, v71
	s_cbranch_execz .LBB178_42
; %bb.35:                               ;   in Loop: Header=BB178_10 Depth=1
	v_bfrev_b32_e32 v69, 1
	s_mov_b32 s28, exec_lo
	v_cmpx_ne_u16_e32 0x80, v71
	s_cbranch_execz .LBB178_41
; %bb.36:                               ;   in Loop: Header=BB178_10 Depth=1
	v_and_b32_e32 v50, 0xffff, v71
	v_mov_b32_e32 v69, 0x7f800001
	s_mov_b32 s29, exec_lo
	s_delay_alu instid0(VALU_DEP_2) | instskip(NEXT) | instid1(VALU_DEP_1)
	v_and_b32_e32 v72, 0x7f, v50
	v_cmpx_ne_u32_e32 0x7f, v72
	s_cbranch_execz .LBB178_40
; %bb.37:                               ;   in Loop: Header=BB178_10 Depth=1
	v_dual_lshrrev_b32 v69, 3, v72 :: v_dual_bitop2_b32 v50, 7, v50 bitop3:0x40
	s_mov_b32 s30, exec_lo
	v_cmpx_gt_u32_e32 8, v72
; %bb.38:                               ;   in Loop: Header=BB178_10 Depth=1
	s_delay_alu instid0(VALU_DEP_2) | instskip(NEXT) | instid1(VALU_DEP_1)
	v_clz_i32_u32_e32 v69, v50
	v_min_u32_e32 v69, 32, v69
	s_delay_alu instid0(VALU_DEP_1) | instskip(NEXT) | instid1(VALU_DEP_1)
	v_subrev_nc_u32_e32 v72, 28, v69
	v_lshlrev_b64_e32 v[72:73], v72, v[50:51]
	s_delay_alu instid0(VALU_DEP_1)
	v_dual_sub_nc_u32 v69, 29, v69 :: v_dual_bitop2_b32 v50, 7, v72 bitop3:0x40
; %bb.39:                               ;   in Loop: Header=BB178_10 Depth=1
	s_or_b32 exec_lo, exec_lo, s30
	s_delay_alu instid0(VALU_DEP_1) | instskip(NEXT) | instid1(VALU_DEP_2)
	v_dual_lshlrev_b32 v71, 24, v71 :: v_dual_lshlrev_b32 v50, 20, v50
	v_lshl_add_u32 v69, v69, 23, 0x3c000000
	s_delay_alu instid0(VALU_DEP_2) | instskip(NEXT) | instid1(VALU_DEP_1)
	v_and_b32_e32 v71, 0x80000000, v71
	v_or3_b32 v69, v50, v71, v69
.LBB178_40:                             ;   in Loop: Header=BB178_10 Depth=1
	s_or_b32 exec_lo, exec_lo, s29
.LBB178_41:                             ;   in Loop: Header=BB178_10 Depth=1
	s_delay_alu instid0(SALU_CYCLE_1)
	s_or_b32 exec_lo, exec_lo, s28
.LBB178_42:                             ;   in Loop: Header=BB178_10 Depth=1
	s_delay_alu instid0(SALU_CYCLE_1)
	s_or_b32 exec_lo, exec_lo, s27
	global_load_u8 v73, v[56:57], off offset:128
	v_dual_mov_b32 v71, 0 :: v_dual_mov_b32 v72, 0
	s_mov_b32 s27, exec_lo
	s_wait_loadcnt 0x0
	v_cmpx_ne_u16_e32 0, v73
	s_cbranch_execz .LBB178_50
; %bb.43:                               ;   in Loop: Header=BB178_10 Depth=1
	v_bfrev_b32_e32 v72, 1
	s_mov_b32 s28, exec_lo
	v_cmpx_ne_u16_e32 0x80, v73
	s_cbranch_execz .LBB178_49
; %bb.44:                               ;   in Loop: Header=BB178_10 Depth=1
	v_and_b32_e32 v50, 0xffff, v73
	v_mov_b32_e32 v72, 0x7f800001
	s_mov_b32 s29, exec_lo
	s_delay_alu instid0(VALU_DEP_2) | instskip(NEXT) | instid1(VALU_DEP_1)
	v_and_b32_e32 v74, 0x7f, v50
	v_cmpx_ne_u32_e32 0x7f, v74
	s_cbranch_execz .LBB178_48
; %bb.45:                               ;   in Loop: Header=BB178_10 Depth=1
	v_and_b32_e32 v50, 7, v50
	v_lshrrev_b32_e32 v72, 3, v74
	s_mov_b32 s30, exec_lo
	v_cmpx_gt_u32_e32 8, v74
; %bb.46:                               ;   in Loop: Header=BB178_10 Depth=1
	s_delay_alu instid0(VALU_DEP_3) | instskip(NEXT) | instid1(VALU_DEP_1)
	v_clz_i32_u32_e32 v72, v50
	v_min_u32_e32 v72, 32, v72
	s_delay_alu instid0(VALU_DEP_1) | instskip(NEXT) | instid1(VALU_DEP_1)
	v_subrev_nc_u32_e32 v74, 28, v72
	v_lshlrev_b64_e32 v[74:75], v74, v[50:51]
	s_delay_alu instid0(VALU_DEP_1)
	v_dual_sub_nc_u32 v72, 29, v72 :: v_dual_bitop2_b32 v50, 7, v74 bitop3:0x40
; %bb.47:                               ;   in Loop: Header=BB178_10 Depth=1
	s_or_b32 exec_lo, exec_lo, s30
	s_delay_alu instid0(VALU_DEP_1) | instskip(NEXT) | instid1(VALU_DEP_2)
	v_dual_lshlrev_b32 v73, 24, v73 :: v_dual_lshlrev_b32 v50, 20, v50
	v_lshl_add_u32 v72, v72, 23, 0x3c000000
	s_delay_alu instid0(VALU_DEP_2) | instskip(NEXT) | instid1(VALU_DEP_1)
	v_and_b32_e32 v73, 0x80000000, v73
	v_or3_b32 v72, v50, v73, v72
.LBB178_48:                             ;   in Loop: Header=BB178_10 Depth=1
	s_or_b32 exec_lo, exec_lo, s29
.LBB178_49:                             ;   in Loop: Header=BB178_10 Depth=1
	s_delay_alu instid0(SALU_CYCLE_1)
	s_or_b32 exec_lo, exec_lo, s28
.LBB178_50:                             ;   in Loop: Header=BB178_10 Depth=1
	s_delay_alu instid0(SALU_CYCLE_1)
	s_or_b32 exec_lo, exec_lo, s27
	global_load_u8 v73, v[56:57], off offset:132
	s_mov_b32 s27, exec_lo
	s_wait_loadcnt 0x0
	v_cmpx_ne_u16_e32 0, v73
	s_cbranch_execz .LBB178_58
; %bb.51:                               ;   in Loop: Header=BB178_10 Depth=1
	v_bfrev_b32_e32 v71, 1
	s_mov_b32 s28, exec_lo
	v_cmpx_ne_u16_e32 0x80, v73
	s_cbranch_execz .LBB178_57
; %bb.52:                               ;   in Loop: Header=BB178_10 Depth=1
	v_and_b32_e32 v50, 0xffff, v73
	v_mov_b32_e32 v71, 0x7f800001
	s_mov_b32 s29, exec_lo
	s_delay_alu instid0(VALU_DEP_2) | instskip(NEXT) | instid1(VALU_DEP_1)
	v_and_b32_e32 v74, 0x7f, v50
	v_cmpx_ne_u32_e32 0x7f, v74
	s_cbranch_execz .LBB178_56
; %bb.53:                               ;   in Loop: Header=BB178_10 Depth=1
	v_and_b32_e32 v50, 7, v50
	v_lshrrev_b32_e32 v71, 3, v74
	s_mov_b32 s30, exec_lo
	v_cmpx_gt_u32_e32 8, v74
; %bb.54:                               ;   in Loop: Header=BB178_10 Depth=1
	s_delay_alu instid0(VALU_DEP_3) | instskip(NEXT) | instid1(VALU_DEP_1)
	v_clz_i32_u32_e32 v71, v50
	v_min_u32_e32 v71, 32, v71
	s_delay_alu instid0(VALU_DEP_1) | instskip(NEXT) | instid1(VALU_DEP_1)
	v_subrev_nc_u32_e32 v74, 28, v71
	v_lshlrev_b64_e32 v[74:75], v74, v[50:51]
	s_delay_alu instid0(VALU_DEP_1)
	v_dual_sub_nc_u32 v71, 29, v71 :: v_dual_bitop2_b32 v50, 7, v74 bitop3:0x40
; %bb.55:                               ;   in Loop: Header=BB178_10 Depth=1
	s_or_b32 exec_lo, exec_lo, s30
	s_delay_alu instid0(VALU_DEP_1) | instskip(NEXT) | instid1(VALU_DEP_2)
	v_dual_lshlrev_b32 v73, 24, v73 :: v_dual_lshlrev_b32 v50, 20, v50
	v_lshl_add_u32 v71, v71, 23, 0x3c000000
	s_delay_alu instid0(VALU_DEP_2) | instskip(NEXT) | instid1(VALU_DEP_1)
	v_and_b32_e32 v73, 0x80000000, v73
	v_or3_b32 v71, v50, v73, v71
.LBB178_56:                             ;   in Loop: Header=BB178_10 Depth=1
	s_or_b32 exec_lo, exec_lo, s29
.LBB178_57:                             ;   in Loop: Header=BB178_10 Depth=1
	s_delay_alu instid0(SALU_CYCLE_1)
	s_or_b32 exec_lo, exec_lo, s28
.LBB178_58:                             ;   in Loop: Header=BB178_10 Depth=1
	s_delay_alu instid0(SALU_CYCLE_1)
	s_or_b32 exec_lo, exec_lo, s27
	global_load_u8 v75, v[56:57], off offset:136
	v_dual_mov_b32 v73, 0 :: v_dual_mov_b32 v74, 0
	s_mov_b32 s27, exec_lo
	s_wait_loadcnt 0x0
	v_cmpx_ne_u16_e32 0, v75
	s_cbranch_execz .LBB178_66
; %bb.59:                               ;   in Loop: Header=BB178_10 Depth=1
	v_bfrev_b32_e32 v74, 1
	s_mov_b32 s28, exec_lo
	v_cmpx_ne_u16_e32 0x80, v75
	s_cbranch_execz .LBB178_65
; %bb.60:                               ;   in Loop: Header=BB178_10 Depth=1
	v_and_b32_e32 v50, 0xffff, v75
	v_mov_b32_e32 v74, 0x7f800001
	s_mov_b32 s29, exec_lo
	s_delay_alu instid0(VALU_DEP_2) | instskip(NEXT) | instid1(VALU_DEP_1)
	v_and_b32_e32 v76, 0x7f, v50
	v_cmpx_ne_u32_e32 0x7f, v76
	s_cbranch_execz .LBB178_64
; %bb.61:                               ;   in Loop: Header=BB178_10 Depth=1
	v_dual_lshrrev_b32 v74, 3, v76 :: v_dual_bitop2_b32 v50, 7, v50 bitop3:0x40
	s_mov_b32 s30, exec_lo
	v_cmpx_gt_u32_e32 8, v76
; %bb.62:                               ;   in Loop: Header=BB178_10 Depth=1
	s_delay_alu instid0(VALU_DEP_2) | instskip(NEXT) | instid1(VALU_DEP_1)
	v_clz_i32_u32_e32 v74, v50
	v_min_u32_e32 v74, 32, v74
	s_delay_alu instid0(VALU_DEP_1) | instskip(NEXT) | instid1(VALU_DEP_1)
	v_subrev_nc_u32_e32 v76, 28, v74
	v_lshlrev_b64_e32 v[76:77], v76, v[50:51]
	s_delay_alu instid0(VALU_DEP_1)
	v_dual_sub_nc_u32 v74, 29, v74 :: v_dual_bitop2_b32 v50, 7, v76 bitop3:0x40
; %bb.63:                               ;   in Loop: Header=BB178_10 Depth=1
	s_or_b32 exec_lo, exec_lo, s30
	s_delay_alu instid0(VALU_DEP_1) | instskip(NEXT) | instid1(VALU_DEP_2)
	v_dual_lshlrev_b32 v75, 24, v75 :: v_dual_lshlrev_b32 v50, 20, v50
	v_lshl_add_u32 v74, v74, 23, 0x3c000000
	s_delay_alu instid0(VALU_DEP_2) | instskip(NEXT) | instid1(VALU_DEP_1)
	v_and_b32_e32 v75, 0x80000000, v75
	v_or3_b32 v74, v50, v75, v74
.LBB178_64:                             ;   in Loop: Header=BB178_10 Depth=1
	s_or_b32 exec_lo, exec_lo, s29
.LBB178_65:                             ;   in Loop: Header=BB178_10 Depth=1
	s_delay_alu instid0(SALU_CYCLE_1)
	s_or_b32 exec_lo, exec_lo, s28
.LBB178_66:                             ;   in Loop: Header=BB178_10 Depth=1
	s_delay_alu instid0(SALU_CYCLE_1)
	s_or_b32 exec_lo, exec_lo, s27
	global_load_u8 v75, v[56:57], off offset:140
	s_mov_b32 s27, exec_lo
	s_wait_loadcnt 0x0
	v_cmpx_ne_u16_e32 0, v75
	s_cbranch_execz .LBB178_74
; %bb.67:                               ;   in Loop: Header=BB178_10 Depth=1
	v_bfrev_b32_e32 v73, 1
	s_mov_b32 s28, exec_lo
	v_cmpx_ne_u16_e32 0x80, v75
	s_cbranch_execz .LBB178_73
; %bb.68:                               ;   in Loop: Header=BB178_10 Depth=1
	v_and_b32_e32 v50, 0xffff, v75
	v_mov_b32_e32 v73, 0x7f800001
	s_mov_b32 s29, exec_lo
	s_delay_alu instid0(VALU_DEP_2) | instskip(NEXT) | instid1(VALU_DEP_1)
	v_and_b32_e32 v76, 0x7f, v50
	v_cmpx_ne_u32_e32 0x7f, v76
	s_cbranch_execz .LBB178_72
; %bb.69:                               ;   in Loop: Header=BB178_10 Depth=1
	v_dual_lshrrev_b32 v73, 3, v76 :: v_dual_bitop2_b32 v50, 7, v50 bitop3:0x40
	s_mov_b32 s30, exec_lo
	v_cmpx_gt_u32_e32 8, v76
; %bb.70:                               ;   in Loop: Header=BB178_10 Depth=1
	s_delay_alu instid0(VALU_DEP_2) | instskip(NEXT) | instid1(VALU_DEP_1)
	v_clz_i32_u32_e32 v73, v50
	v_min_u32_e32 v73, 32, v73
	s_delay_alu instid0(VALU_DEP_1) | instskip(NEXT) | instid1(VALU_DEP_1)
	v_subrev_nc_u32_e32 v76, 28, v73
	v_lshlrev_b64_e32 v[76:77], v76, v[50:51]
	s_delay_alu instid0(VALU_DEP_1)
	v_dual_sub_nc_u32 v73, 29, v73 :: v_dual_bitop2_b32 v50, 7, v76 bitop3:0x40
; %bb.71:                               ;   in Loop: Header=BB178_10 Depth=1
	s_or_b32 exec_lo, exec_lo, s30
	s_delay_alu instid0(VALU_DEP_1) | instskip(NEXT) | instid1(VALU_DEP_2)
	v_dual_lshlrev_b32 v75, 24, v75 :: v_dual_lshlrev_b32 v50, 20, v50
	v_lshl_add_u32 v73, v73, 23, 0x3c000000
	s_delay_alu instid0(VALU_DEP_2) | instskip(NEXT) | instid1(VALU_DEP_1)
	v_and_b32_e32 v75, 0x80000000, v75
	v_or3_b32 v73, v50, v75, v73
.LBB178_72:                             ;   in Loop: Header=BB178_10 Depth=1
	s_or_b32 exec_lo, exec_lo, s29
.LBB178_73:                             ;   in Loop: Header=BB178_10 Depth=1
	s_delay_alu instid0(SALU_CYCLE_1)
	s_or_b32 exec_lo, exec_lo, s28
.LBB178_74:                             ;   in Loop: Header=BB178_10 Depth=1
	s_delay_alu instid0(SALU_CYCLE_1)
	s_or_b32 exec_lo, exec_lo, s27
	global_load_u8 v77, v[56:57], off offset:256
	v_dual_mov_b32 v75, 0 :: v_dual_mov_b32 v76, 0
	s_mov_b32 s27, exec_lo
	s_wait_loadcnt 0x0
	v_cmpx_ne_u16_e32 0, v77
	s_cbranch_execz .LBB178_82
; %bb.75:                               ;   in Loop: Header=BB178_10 Depth=1
	v_bfrev_b32_e32 v76, 1
	s_mov_b32 s28, exec_lo
	v_cmpx_ne_u16_e32 0x80, v77
	s_cbranch_execz .LBB178_81
; %bb.76:                               ;   in Loop: Header=BB178_10 Depth=1
	v_and_b32_e32 v50, 0xffff, v77
	v_mov_b32_e32 v76, 0x7f800001
	s_mov_b32 s29, exec_lo
	s_delay_alu instid0(VALU_DEP_2) | instskip(NEXT) | instid1(VALU_DEP_1)
	v_and_b32_e32 v78, 0x7f, v50
	v_cmpx_ne_u32_e32 0x7f, v78
	s_cbranch_execz .LBB178_80
; %bb.77:                               ;   in Loop: Header=BB178_10 Depth=1
	v_and_b32_e32 v50, 7, v50
	v_lshrrev_b32_e32 v76, 3, v78
	s_mov_b32 s30, exec_lo
	v_cmpx_gt_u32_e32 8, v78
; %bb.78:                               ;   in Loop: Header=BB178_10 Depth=1
	s_delay_alu instid0(VALU_DEP_3) | instskip(NEXT) | instid1(VALU_DEP_1)
	v_clz_i32_u32_e32 v76, v50
	v_min_u32_e32 v76, 32, v76
	s_delay_alu instid0(VALU_DEP_1) | instskip(NEXT) | instid1(VALU_DEP_1)
	v_subrev_nc_u32_e32 v78, 28, v76
	v_lshlrev_b64_e32 v[78:79], v78, v[50:51]
	s_delay_alu instid0(VALU_DEP_1)
	v_dual_sub_nc_u32 v76, 29, v76 :: v_dual_bitop2_b32 v50, 7, v78 bitop3:0x40
; %bb.79:                               ;   in Loop: Header=BB178_10 Depth=1
	s_or_b32 exec_lo, exec_lo, s30
	s_delay_alu instid0(VALU_DEP_1) | instskip(NEXT) | instid1(VALU_DEP_2)
	v_dual_lshlrev_b32 v77, 24, v77 :: v_dual_lshlrev_b32 v50, 20, v50
	v_lshl_add_u32 v76, v76, 23, 0x3c000000
	s_delay_alu instid0(VALU_DEP_2) | instskip(NEXT) | instid1(VALU_DEP_1)
	v_and_b32_e32 v77, 0x80000000, v77
	v_or3_b32 v76, v50, v77, v76
.LBB178_80:                             ;   in Loop: Header=BB178_10 Depth=1
	s_or_b32 exec_lo, exec_lo, s29
.LBB178_81:                             ;   in Loop: Header=BB178_10 Depth=1
	s_delay_alu instid0(SALU_CYCLE_1)
	s_or_b32 exec_lo, exec_lo, s28
.LBB178_82:                             ;   in Loop: Header=BB178_10 Depth=1
	s_delay_alu instid0(SALU_CYCLE_1)
	s_or_b32 exec_lo, exec_lo, s27
	global_load_u8 v77, v[56:57], off offset:260
	s_mov_b32 s27, exec_lo
	s_wait_loadcnt 0x0
	v_cmpx_ne_u16_e32 0, v77
	s_cbranch_execz .LBB178_90
; %bb.83:                               ;   in Loop: Header=BB178_10 Depth=1
	v_bfrev_b32_e32 v75, 1
	s_mov_b32 s28, exec_lo
	v_cmpx_ne_u16_e32 0x80, v77
	s_cbranch_execz .LBB178_89
; %bb.84:                               ;   in Loop: Header=BB178_10 Depth=1
	v_and_b32_e32 v50, 0xffff, v77
	v_mov_b32_e32 v75, 0x7f800001
	s_mov_b32 s29, exec_lo
	s_delay_alu instid0(VALU_DEP_2) | instskip(NEXT) | instid1(VALU_DEP_1)
	v_and_b32_e32 v78, 0x7f, v50
	v_cmpx_ne_u32_e32 0x7f, v78
	s_cbranch_execz .LBB178_88
; %bb.85:                               ;   in Loop: Header=BB178_10 Depth=1
	v_and_b32_e32 v50, 7, v50
	v_lshrrev_b32_e32 v75, 3, v78
	s_mov_b32 s30, exec_lo
	v_cmpx_gt_u32_e32 8, v78
; %bb.86:                               ;   in Loop: Header=BB178_10 Depth=1
	s_delay_alu instid0(VALU_DEP_3) | instskip(NEXT) | instid1(VALU_DEP_1)
	v_clz_i32_u32_e32 v75, v50
	v_min_u32_e32 v75, 32, v75
	s_delay_alu instid0(VALU_DEP_1) | instskip(NEXT) | instid1(VALU_DEP_1)
	v_subrev_nc_u32_e32 v78, 28, v75
	v_lshlrev_b64_e32 v[78:79], v78, v[50:51]
	s_delay_alu instid0(VALU_DEP_1)
	v_dual_sub_nc_u32 v75, 29, v75 :: v_dual_bitop2_b32 v50, 7, v78 bitop3:0x40
; %bb.87:                               ;   in Loop: Header=BB178_10 Depth=1
	s_or_b32 exec_lo, exec_lo, s30
	s_delay_alu instid0(VALU_DEP_1) | instskip(NEXT) | instid1(VALU_DEP_2)
	v_dual_lshlrev_b32 v77, 24, v77 :: v_dual_lshlrev_b32 v50, 20, v50
	v_lshl_add_u32 v75, v75, 23, 0x3c000000
	s_delay_alu instid0(VALU_DEP_2) | instskip(NEXT) | instid1(VALU_DEP_1)
	v_and_b32_e32 v77, 0x80000000, v77
	v_or3_b32 v75, v50, v77, v75
.LBB178_88:                             ;   in Loop: Header=BB178_10 Depth=1
	s_or_b32 exec_lo, exec_lo, s29
.LBB178_89:                             ;   in Loop: Header=BB178_10 Depth=1
	s_delay_alu instid0(SALU_CYCLE_1)
	s_or_b32 exec_lo, exec_lo, s28
.LBB178_90:                             ;   in Loop: Header=BB178_10 Depth=1
	s_delay_alu instid0(SALU_CYCLE_1)
	s_or_b32 exec_lo, exec_lo, s27
	global_load_u8 v79, v[56:57], off offset:264
	v_dual_mov_b32 v77, 0 :: v_dual_mov_b32 v78, 0
	s_mov_b32 s27, exec_lo
	s_wait_loadcnt 0x0
	v_cmpx_ne_u16_e32 0, v79
	s_cbranch_execz .LBB178_98
; %bb.91:                               ;   in Loop: Header=BB178_10 Depth=1
	v_bfrev_b32_e32 v78, 1
	s_mov_b32 s28, exec_lo
	v_cmpx_ne_u16_e32 0x80, v79
	s_cbranch_execz .LBB178_97
; %bb.92:                               ;   in Loop: Header=BB178_10 Depth=1
	v_and_b32_e32 v50, 0xffff, v79
	v_mov_b32_e32 v78, 0x7f800001
	s_mov_b32 s29, exec_lo
	s_delay_alu instid0(VALU_DEP_2) | instskip(NEXT) | instid1(VALU_DEP_1)
	v_and_b32_e32 v80, 0x7f, v50
	v_cmpx_ne_u32_e32 0x7f, v80
	s_cbranch_execz .LBB178_96
; %bb.93:                               ;   in Loop: Header=BB178_10 Depth=1
	v_dual_lshrrev_b32 v78, 3, v80 :: v_dual_bitop2_b32 v50, 7, v50 bitop3:0x40
	s_mov_b32 s30, exec_lo
	v_cmpx_gt_u32_e32 8, v80
; %bb.94:                               ;   in Loop: Header=BB178_10 Depth=1
	s_delay_alu instid0(VALU_DEP_2) | instskip(NEXT) | instid1(VALU_DEP_1)
	v_clz_i32_u32_e32 v78, v50
	v_min_u32_e32 v78, 32, v78
	s_delay_alu instid0(VALU_DEP_1) | instskip(NEXT) | instid1(VALU_DEP_1)
	v_subrev_nc_u32_e32 v80, 28, v78
	v_lshlrev_b64_e32 v[80:81], v80, v[50:51]
	s_delay_alu instid0(VALU_DEP_1)
	v_dual_sub_nc_u32 v78, 29, v78 :: v_dual_bitop2_b32 v50, 7, v80 bitop3:0x40
; %bb.95:                               ;   in Loop: Header=BB178_10 Depth=1
	s_or_b32 exec_lo, exec_lo, s30
	s_delay_alu instid0(VALU_DEP_1) | instskip(NEXT) | instid1(VALU_DEP_2)
	v_dual_lshlrev_b32 v79, 24, v79 :: v_dual_lshlrev_b32 v50, 20, v50
	v_lshl_add_u32 v78, v78, 23, 0x3c000000
	s_delay_alu instid0(VALU_DEP_2) | instskip(NEXT) | instid1(VALU_DEP_1)
	v_and_b32_e32 v79, 0x80000000, v79
	v_or3_b32 v78, v50, v79, v78
.LBB178_96:                             ;   in Loop: Header=BB178_10 Depth=1
	s_or_b32 exec_lo, exec_lo, s29
.LBB178_97:                             ;   in Loop: Header=BB178_10 Depth=1
	s_delay_alu instid0(SALU_CYCLE_1)
	s_or_b32 exec_lo, exec_lo, s28
.LBB178_98:                             ;   in Loop: Header=BB178_10 Depth=1
	s_delay_alu instid0(SALU_CYCLE_1)
	s_or_b32 exec_lo, exec_lo, s27
	global_load_u8 v79, v[56:57], off offset:268
	s_mov_b32 s27, exec_lo
	s_wait_loadcnt 0x0
	v_cmpx_ne_u16_e32 0, v79
	s_cbranch_execz .LBB178_106
; %bb.99:                               ;   in Loop: Header=BB178_10 Depth=1
	v_bfrev_b32_e32 v77, 1
	s_mov_b32 s28, exec_lo
	v_cmpx_ne_u16_e32 0x80, v79
	s_cbranch_execz .LBB178_105
; %bb.100:                              ;   in Loop: Header=BB178_10 Depth=1
	v_and_b32_e32 v50, 0xffff, v79
	v_mov_b32_e32 v77, 0x7f800001
	s_mov_b32 s29, exec_lo
	s_delay_alu instid0(VALU_DEP_2) | instskip(NEXT) | instid1(VALU_DEP_1)
	v_and_b32_e32 v80, 0x7f, v50
	v_cmpx_ne_u32_e32 0x7f, v80
	s_cbranch_execz .LBB178_104
; %bb.101:                              ;   in Loop: Header=BB178_10 Depth=1
	v_dual_lshrrev_b32 v77, 3, v80 :: v_dual_bitop2_b32 v50, 7, v50 bitop3:0x40
	s_mov_b32 s30, exec_lo
	v_cmpx_gt_u32_e32 8, v80
; %bb.102:                              ;   in Loop: Header=BB178_10 Depth=1
	s_delay_alu instid0(VALU_DEP_2) | instskip(NEXT) | instid1(VALU_DEP_1)
	v_clz_i32_u32_e32 v77, v50
	v_min_u32_e32 v77, 32, v77
	s_delay_alu instid0(VALU_DEP_1) | instskip(NEXT) | instid1(VALU_DEP_1)
	v_subrev_nc_u32_e32 v80, 28, v77
	v_lshlrev_b64_e32 v[80:81], v80, v[50:51]
	s_delay_alu instid0(VALU_DEP_1)
	v_dual_sub_nc_u32 v77, 29, v77 :: v_dual_bitop2_b32 v50, 7, v80 bitop3:0x40
; %bb.103:                              ;   in Loop: Header=BB178_10 Depth=1
	s_or_b32 exec_lo, exec_lo, s30
	s_delay_alu instid0(VALU_DEP_1) | instskip(NEXT) | instid1(VALU_DEP_2)
	v_dual_lshlrev_b32 v79, 24, v79 :: v_dual_lshlrev_b32 v50, 20, v50
	v_lshl_add_u32 v77, v77, 23, 0x3c000000
	s_delay_alu instid0(VALU_DEP_2) | instskip(NEXT) | instid1(VALU_DEP_1)
	v_and_b32_e32 v79, 0x80000000, v79
	v_or3_b32 v77, v50, v79, v77
.LBB178_104:                            ;   in Loop: Header=BB178_10 Depth=1
	s_or_b32 exec_lo, exec_lo, s29
.LBB178_105:                            ;   in Loop: Header=BB178_10 Depth=1
	s_delay_alu instid0(SALU_CYCLE_1)
	s_or_b32 exec_lo, exec_lo, s28
.LBB178_106:                            ;   in Loop: Header=BB178_10 Depth=1
	s_delay_alu instid0(SALU_CYCLE_1)
	s_or_b32 exec_lo, exec_lo, s27
	global_load_u8 v81, v[56:57], off offset:384
	v_dual_mov_b32 v79, 0 :: v_dual_mov_b32 v80, 0
	s_mov_b32 s27, exec_lo
	s_wait_loadcnt 0x0
	v_cmpx_ne_u16_e32 0, v81
	s_cbranch_execz .LBB178_114
; %bb.107:                              ;   in Loop: Header=BB178_10 Depth=1
	v_bfrev_b32_e32 v80, 1
	s_mov_b32 s28, exec_lo
	v_cmpx_ne_u16_e32 0x80, v81
	s_cbranch_execz .LBB178_113
; %bb.108:                              ;   in Loop: Header=BB178_10 Depth=1
	v_and_b32_e32 v50, 0xffff, v81
	v_mov_b32_e32 v80, 0x7f800001
	s_mov_b32 s29, exec_lo
	s_delay_alu instid0(VALU_DEP_2) | instskip(NEXT) | instid1(VALU_DEP_1)
	v_and_b32_e32 v82, 0x7f, v50
	v_cmpx_ne_u32_e32 0x7f, v82
	s_cbranch_execz .LBB178_112
; %bb.109:                              ;   in Loop: Header=BB178_10 Depth=1
	v_and_b32_e32 v50, 7, v50
	v_lshrrev_b32_e32 v80, 3, v82
	s_mov_b32 s30, exec_lo
	v_cmpx_gt_u32_e32 8, v82
; %bb.110:                              ;   in Loop: Header=BB178_10 Depth=1
	s_delay_alu instid0(VALU_DEP_3) | instskip(NEXT) | instid1(VALU_DEP_1)
	v_clz_i32_u32_e32 v80, v50
	v_min_u32_e32 v80, 32, v80
	s_delay_alu instid0(VALU_DEP_1) | instskip(NEXT) | instid1(VALU_DEP_1)
	v_subrev_nc_u32_e32 v82, 28, v80
	v_lshlrev_b64_e32 v[82:83], v82, v[50:51]
	s_delay_alu instid0(VALU_DEP_1)
	v_dual_sub_nc_u32 v80, 29, v80 :: v_dual_bitop2_b32 v50, 7, v82 bitop3:0x40
; %bb.111:                              ;   in Loop: Header=BB178_10 Depth=1
	s_or_b32 exec_lo, exec_lo, s30
	s_delay_alu instid0(VALU_DEP_1) | instskip(NEXT) | instid1(VALU_DEP_2)
	v_dual_lshlrev_b32 v81, 24, v81 :: v_dual_lshlrev_b32 v50, 20, v50
	v_lshl_add_u32 v80, v80, 23, 0x3c000000
	s_delay_alu instid0(VALU_DEP_2) | instskip(NEXT) | instid1(VALU_DEP_1)
	v_and_b32_e32 v81, 0x80000000, v81
	v_or3_b32 v80, v50, v81, v80
.LBB178_112:                            ;   in Loop: Header=BB178_10 Depth=1
	s_or_b32 exec_lo, exec_lo, s29
.LBB178_113:                            ;   in Loop: Header=BB178_10 Depth=1
	s_delay_alu instid0(SALU_CYCLE_1)
	s_or_b32 exec_lo, exec_lo, s28
.LBB178_114:                            ;   in Loop: Header=BB178_10 Depth=1
	s_delay_alu instid0(SALU_CYCLE_1)
	s_or_b32 exec_lo, exec_lo, s27
	global_load_u8 v81, v[56:57], off offset:388
	s_mov_b32 s27, exec_lo
	s_wait_loadcnt 0x0
	v_cmpx_ne_u16_e32 0, v81
	s_cbranch_execz .LBB178_122
; %bb.115:                              ;   in Loop: Header=BB178_10 Depth=1
	v_bfrev_b32_e32 v79, 1
	s_mov_b32 s28, exec_lo
	v_cmpx_ne_u16_e32 0x80, v81
	s_cbranch_execz .LBB178_121
; %bb.116:                              ;   in Loop: Header=BB178_10 Depth=1
	v_and_b32_e32 v50, 0xffff, v81
	v_mov_b32_e32 v79, 0x7f800001
	s_mov_b32 s29, exec_lo
	s_delay_alu instid0(VALU_DEP_2) | instskip(NEXT) | instid1(VALU_DEP_1)
	v_and_b32_e32 v82, 0x7f, v50
	v_cmpx_ne_u32_e32 0x7f, v82
	s_cbranch_execz .LBB178_120
; %bb.117:                              ;   in Loop: Header=BB178_10 Depth=1
	v_and_b32_e32 v50, 7, v50
	v_lshrrev_b32_e32 v79, 3, v82
	s_mov_b32 s30, exec_lo
	v_cmpx_gt_u32_e32 8, v82
; %bb.118:                              ;   in Loop: Header=BB178_10 Depth=1
	s_delay_alu instid0(VALU_DEP_3) | instskip(NEXT) | instid1(VALU_DEP_1)
	v_clz_i32_u32_e32 v79, v50
	v_min_u32_e32 v79, 32, v79
	s_delay_alu instid0(VALU_DEP_1) | instskip(NEXT) | instid1(VALU_DEP_1)
	v_subrev_nc_u32_e32 v82, 28, v79
	v_lshlrev_b64_e32 v[82:83], v82, v[50:51]
	s_delay_alu instid0(VALU_DEP_1)
	v_dual_sub_nc_u32 v79, 29, v79 :: v_dual_bitop2_b32 v50, 7, v82 bitop3:0x40
; %bb.119:                              ;   in Loop: Header=BB178_10 Depth=1
	s_or_b32 exec_lo, exec_lo, s30
	s_delay_alu instid0(VALU_DEP_1) | instskip(NEXT) | instid1(VALU_DEP_2)
	v_dual_lshlrev_b32 v81, 24, v81 :: v_dual_lshlrev_b32 v50, 20, v50
	v_lshl_add_u32 v79, v79, 23, 0x3c000000
	s_delay_alu instid0(VALU_DEP_2) | instskip(NEXT) | instid1(VALU_DEP_1)
	v_and_b32_e32 v81, 0x80000000, v81
	v_or3_b32 v79, v50, v81, v79
.LBB178_120:                            ;   in Loop: Header=BB178_10 Depth=1
	s_or_b32 exec_lo, exec_lo, s29
.LBB178_121:                            ;   in Loop: Header=BB178_10 Depth=1
	s_delay_alu instid0(SALU_CYCLE_1)
	s_or_b32 exec_lo, exec_lo, s28
.LBB178_122:                            ;   in Loop: Header=BB178_10 Depth=1
	s_delay_alu instid0(SALU_CYCLE_1)
	s_or_b32 exec_lo, exec_lo, s27
	global_load_u8 v83, v[56:57], off offset:392
	v_dual_mov_b32 v81, 0 :: v_dual_mov_b32 v82, 0
	s_mov_b32 s27, exec_lo
	s_wait_loadcnt 0x0
	v_cmpx_ne_u16_e32 0, v83
	s_cbranch_execz .LBB178_130
; %bb.123:                              ;   in Loop: Header=BB178_10 Depth=1
	v_bfrev_b32_e32 v82, 1
	s_mov_b32 s28, exec_lo
	v_cmpx_ne_u16_e32 0x80, v83
	s_cbranch_execz .LBB178_129
; %bb.124:                              ;   in Loop: Header=BB178_10 Depth=1
	v_and_b32_e32 v50, 0xffff, v83
	v_mov_b32_e32 v82, 0x7f800001
	s_mov_b32 s29, exec_lo
	s_delay_alu instid0(VALU_DEP_2) | instskip(NEXT) | instid1(VALU_DEP_1)
	v_and_b32_e32 v84, 0x7f, v50
	v_cmpx_ne_u32_e32 0x7f, v84
	s_cbranch_execz .LBB178_128
; %bb.125:                              ;   in Loop: Header=BB178_10 Depth=1
	v_dual_lshrrev_b32 v82, 3, v84 :: v_dual_bitop2_b32 v50, 7, v50 bitop3:0x40
	s_mov_b32 s30, exec_lo
	v_cmpx_gt_u32_e32 8, v84
; %bb.126:                              ;   in Loop: Header=BB178_10 Depth=1
	s_delay_alu instid0(VALU_DEP_2) | instskip(NEXT) | instid1(VALU_DEP_1)
	v_clz_i32_u32_e32 v82, v50
	v_min_u32_e32 v82, 32, v82
	s_delay_alu instid0(VALU_DEP_1) | instskip(NEXT) | instid1(VALU_DEP_1)
	v_subrev_nc_u32_e32 v84, 28, v82
	v_lshlrev_b64_e32 v[84:85], v84, v[50:51]
	s_delay_alu instid0(VALU_DEP_1)
	v_dual_sub_nc_u32 v82, 29, v82 :: v_dual_bitop2_b32 v50, 7, v84 bitop3:0x40
; %bb.127:                              ;   in Loop: Header=BB178_10 Depth=1
	s_or_b32 exec_lo, exec_lo, s30
	s_delay_alu instid0(VALU_DEP_1) | instskip(NEXT) | instid1(VALU_DEP_2)
	v_dual_lshlrev_b32 v83, 24, v83 :: v_dual_lshlrev_b32 v50, 20, v50
	v_lshl_add_u32 v82, v82, 23, 0x3c000000
	s_delay_alu instid0(VALU_DEP_2) | instskip(NEXT) | instid1(VALU_DEP_1)
	v_and_b32_e32 v83, 0x80000000, v83
	v_or3_b32 v82, v50, v83, v82
.LBB178_128:                            ;   in Loop: Header=BB178_10 Depth=1
	s_or_b32 exec_lo, exec_lo, s29
.LBB178_129:                            ;   in Loop: Header=BB178_10 Depth=1
	s_delay_alu instid0(SALU_CYCLE_1)
	s_or_b32 exec_lo, exec_lo, s28
.LBB178_130:                            ;   in Loop: Header=BB178_10 Depth=1
	s_delay_alu instid0(SALU_CYCLE_1)
	s_or_b32 exec_lo, exec_lo, s27
	global_load_u8 v83, v[56:57], off offset:396
	s_mov_b32 s27, exec_lo
	s_wait_loadcnt 0x0
	v_cmpx_ne_u16_e32 0, v83
	s_cbranch_execz .LBB178_138
; %bb.131:                              ;   in Loop: Header=BB178_10 Depth=1
	v_bfrev_b32_e32 v81, 1
	s_mov_b32 s28, exec_lo
	v_cmpx_ne_u16_e32 0x80, v83
	s_cbranch_execz .LBB178_137
; %bb.132:                              ;   in Loop: Header=BB178_10 Depth=1
	v_and_b32_e32 v50, 0xffff, v83
	v_mov_b32_e32 v81, 0x7f800001
	s_mov_b32 s29, exec_lo
	s_delay_alu instid0(VALU_DEP_2) | instskip(NEXT) | instid1(VALU_DEP_1)
	v_and_b32_e32 v84, 0x7f, v50
	v_cmpx_ne_u32_e32 0x7f, v84
	s_cbranch_execz .LBB178_136
; %bb.133:                              ;   in Loop: Header=BB178_10 Depth=1
	v_dual_lshrrev_b32 v81, 3, v84 :: v_dual_bitop2_b32 v50, 7, v50 bitop3:0x40
	s_mov_b32 s30, exec_lo
	v_cmpx_gt_u32_e32 8, v84
; %bb.134:                              ;   in Loop: Header=BB178_10 Depth=1
	s_delay_alu instid0(VALU_DEP_2) | instskip(NEXT) | instid1(VALU_DEP_1)
	v_clz_i32_u32_e32 v81, v50
	v_min_u32_e32 v81, 32, v81
	s_delay_alu instid0(VALU_DEP_1) | instskip(NEXT) | instid1(VALU_DEP_1)
	v_subrev_nc_u32_e32 v84, 28, v81
	v_lshlrev_b64_e32 v[84:85], v84, v[50:51]
	s_delay_alu instid0(VALU_DEP_1)
	v_dual_sub_nc_u32 v81, 29, v81 :: v_dual_bitop2_b32 v50, 7, v84 bitop3:0x40
; %bb.135:                              ;   in Loop: Header=BB178_10 Depth=1
	s_or_b32 exec_lo, exec_lo, s30
	s_delay_alu instid0(VALU_DEP_1) | instskip(NEXT) | instid1(VALU_DEP_2)
	v_dual_lshlrev_b32 v83, 24, v83 :: v_dual_lshlrev_b32 v50, 20, v50
	v_lshl_add_u32 v81, v81, 23, 0x3c000000
	s_delay_alu instid0(VALU_DEP_2) | instskip(NEXT) | instid1(VALU_DEP_1)
	v_and_b32_e32 v83, 0x80000000, v83
	v_or3_b32 v81, v50, v83, v81
.LBB178_136:                            ;   in Loop: Header=BB178_10 Depth=1
	s_or_b32 exec_lo, exec_lo, s29
.LBB178_137:                            ;   in Loop: Header=BB178_10 Depth=1
	s_delay_alu instid0(SALU_CYCLE_1)
	s_or_b32 exec_lo, exec_lo, s28
.LBB178_138:                            ;   in Loop: Header=BB178_10 Depth=1
	s_delay_alu instid0(SALU_CYCLE_1)
	s_or_b32 exec_lo, exec_lo, s27
	global_load_u8 v85, v[56:57], off offset:512
	v_dual_mov_b32 v83, 0 :: v_dual_mov_b32 v84, 0
	s_mov_b32 s27, exec_lo
	s_wait_loadcnt 0x0
	v_cmpx_ne_u16_e32 0, v85
	s_cbranch_execz .LBB178_146
; %bb.139:                              ;   in Loop: Header=BB178_10 Depth=1
	v_bfrev_b32_e32 v84, 1
	s_mov_b32 s28, exec_lo
	v_cmpx_ne_u16_e32 0x80, v85
	s_cbranch_execz .LBB178_145
; %bb.140:                              ;   in Loop: Header=BB178_10 Depth=1
	v_and_b32_e32 v50, 0xffff, v85
	v_mov_b32_e32 v84, 0x7f800001
	s_mov_b32 s29, exec_lo
	s_delay_alu instid0(VALU_DEP_2) | instskip(NEXT) | instid1(VALU_DEP_1)
	v_and_b32_e32 v86, 0x7f, v50
	v_cmpx_ne_u32_e32 0x7f, v86
	s_cbranch_execz .LBB178_144
; %bb.141:                              ;   in Loop: Header=BB178_10 Depth=1
	v_and_b32_e32 v50, 7, v50
	v_lshrrev_b32_e32 v84, 3, v86
	s_mov_b32 s30, exec_lo
	v_cmpx_gt_u32_e32 8, v86
; %bb.142:                              ;   in Loop: Header=BB178_10 Depth=1
	s_delay_alu instid0(VALU_DEP_3) | instskip(NEXT) | instid1(VALU_DEP_1)
	v_clz_i32_u32_e32 v84, v50
	v_min_u32_e32 v84, 32, v84
	s_delay_alu instid0(VALU_DEP_1) | instskip(NEXT) | instid1(VALU_DEP_1)
	v_subrev_nc_u32_e32 v86, 28, v84
	v_lshlrev_b64_e32 v[86:87], v86, v[50:51]
	s_delay_alu instid0(VALU_DEP_1)
	v_dual_sub_nc_u32 v84, 29, v84 :: v_dual_bitop2_b32 v50, 7, v86 bitop3:0x40
; %bb.143:                              ;   in Loop: Header=BB178_10 Depth=1
	s_or_b32 exec_lo, exec_lo, s30
	s_delay_alu instid0(VALU_DEP_1) | instskip(NEXT) | instid1(VALU_DEP_2)
	v_dual_lshlrev_b32 v85, 24, v85 :: v_dual_lshlrev_b32 v50, 20, v50
	v_lshl_add_u32 v84, v84, 23, 0x3c000000
	s_delay_alu instid0(VALU_DEP_2) | instskip(NEXT) | instid1(VALU_DEP_1)
	v_and_b32_e32 v85, 0x80000000, v85
	v_or3_b32 v84, v50, v85, v84
.LBB178_144:                            ;   in Loop: Header=BB178_10 Depth=1
	s_or_b32 exec_lo, exec_lo, s29
.LBB178_145:                            ;   in Loop: Header=BB178_10 Depth=1
	s_delay_alu instid0(SALU_CYCLE_1)
	s_or_b32 exec_lo, exec_lo, s28
.LBB178_146:                            ;   in Loop: Header=BB178_10 Depth=1
	s_delay_alu instid0(SALU_CYCLE_1)
	s_or_b32 exec_lo, exec_lo, s27
	global_load_u8 v85, v[56:57], off offset:516
	s_mov_b32 s27, exec_lo
	s_wait_loadcnt 0x0
	v_cmpx_ne_u16_e32 0, v85
	s_cbranch_execz .LBB178_154
; %bb.147:                              ;   in Loop: Header=BB178_10 Depth=1
	v_bfrev_b32_e32 v83, 1
	s_mov_b32 s28, exec_lo
	v_cmpx_ne_u16_e32 0x80, v85
	s_cbranch_execz .LBB178_153
; %bb.148:                              ;   in Loop: Header=BB178_10 Depth=1
	v_and_b32_e32 v50, 0xffff, v85
	v_mov_b32_e32 v83, 0x7f800001
	s_mov_b32 s29, exec_lo
	s_delay_alu instid0(VALU_DEP_2) | instskip(NEXT) | instid1(VALU_DEP_1)
	v_and_b32_e32 v86, 0x7f, v50
	v_cmpx_ne_u32_e32 0x7f, v86
	s_cbranch_execz .LBB178_152
; %bb.149:                              ;   in Loop: Header=BB178_10 Depth=1
	v_and_b32_e32 v50, 7, v50
	v_lshrrev_b32_e32 v83, 3, v86
	s_mov_b32 s30, exec_lo
	v_cmpx_gt_u32_e32 8, v86
; %bb.150:                              ;   in Loop: Header=BB178_10 Depth=1
	s_delay_alu instid0(VALU_DEP_3) | instskip(NEXT) | instid1(VALU_DEP_1)
	v_clz_i32_u32_e32 v83, v50
	v_min_u32_e32 v83, 32, v83
	s_delay_alu instid0(VALU_DEP_1) | instskip(NEXT) | instid1(VALU_DEP_1)
	v_subrev_nc_u32_e32 v86, 28, v83
	v_lshlrev_b64_e32 v[86:87], v86, v[50:51]
	s_delay_alu instid0(VALU_DEP_1)
	v_dual_sub_nc_u32 v83, 29, v83 :: v_dual_bitop2_b32 v50, 7, v86 bitop3:0x40
; %bb.151:                              ;   in Loop: Header=BB178_10 Depth=1
	s_or_b32 exec_lo, exec_lo, s30
	s_delay_alu instid0(VALU_DEP_1) | instskip(NEXT) | instid1(VALU_DEP_2)
	v_dual_lshlrev_b32 v85, 24, v85 :: v_dual_lshlrev_b32 v50, 20, v50
	v_lshl_add_u32 v83, v83, 23, 0x3c000000
	s_delay_alu instid0(VALU_DEP_2) | instskip(NEXT) | instid1(VALU_DEP_1)
	v_and_b32_e32 v85, 0x80000000, v85
	v_or3_b32 v83, v50, v85, v83
.LBB178_152:                            ;   in Loop: Header=BB178_10 Depth=1
	s_or_b32 exec_lo, exec_lo, s29
.LBB178_153:                            ;   in Loop: Header=BB178_10 Depth=1
	s_delay_alu instid0(SALU_CYCLE_1)
	s_or_b32 exec_lo, exec_lo, s28
.LBB178_154:                            ;   in Loop: Header=BB178_10 Depth=1
	s_delay_alu instid0(SALU_CYCLE_1)
	s_or_b32 exec_lo, exec_lo, s27
	global_load_u8 v87, v[56:57], off offset:520
	v_dual_mov_b32 v85, 0 :: v_dual_mov_b32 v86, 0
	s_mov_b32 s27, exec_lo
	s_wait_loadcnt 0x0
	v_cmpx_ne_u16_e32 0, v87
	s_cbranch_execz .LBB178_162
; %bb.155:                              ;   in Loop: Header=BB178_10 Depth=1
	v_bfrev_b32_e32 v86, 1
	s_mov_b32 s28, exec_lo
	v_cmpx_ne_u16_e32 0x80, v87
	s_cbranch_execz .LBB178_161
; %bb.156:                              ;   in Loop: Header=BB178_10 Depth=1
	v_and_b32_e32 v50, 0xffff, v87
	v_mov_b32_e32 v86, 0x7f800001
	s_mov_b32 s29, exec_lo
	s_delay_alu instid0(VALU_DEP_2) | instskip(NEXT) | instid1(VALU_DEP_1)
	v_and_b32_e32 v88, 0x7f, v50
	v_cmpx_ne_u32_e32 0x7f, v88
	s_cbranch_execz .LBB178_160
; %bb.157:                              ;   in Loop: Header=BB178_10 Depth=1
	v_dual_lshrrev_b32 v86, 3, v88 :: v_dual_bitop2_b32 v50, 7, v50 bitop3:0x40
	s_mov_b32 s30, exec_lo
	v_cmpx_gt_u32_e32 8, v88
; %bb.158:                              ;   in Loop: Header=BB178_10 Depth=1
	s_delay_alu instid0(VALU_DEP_2) | instskip(NEXT) | instid1(VALU_DEP_1)
	v_clz_i32_u32_e32 v86, v50
	v_min_u32_e32 v86, 32, v86
	s_delay_alu instid0(VALU_DEP_1) | instskip(NEXT) | instid1(VALU_DEP_1)
	v_subrev_nc_u32_e32 v88, 28, v86
	v_lshlrev_b64_e32 v[88:89], v88, v[50:51]
	s_delay_alu instid0(VALU_DEP_1)
	v_dual_sub_nc_u32 v86, 29, v86 :: v_dual_bitop2_b32 v50, 7, v88 bitop3:0x40
; %bb.159:                              ;   in Loop: Header=BB178_10 Depth=1
	s_or_b32 exec_lo, exec_lo, s30
	s_delay_alu instid0(VALU_DEP_1) | instskip(NEXT) | instid1(VALU_DEP_2)
	v_dual_lshlrev_b32 v87, 24, v87 :: v_dual_lshlrev_b32 v50, 20, v50
	v_lshl_add_u32 v86, v86, 23, 0x3c000000
	s_delay_alu instid0(VALU_DEP_2) | instskip(NEXT) | instid1(VALU_DEP_1)
	v_and_b32_e32 v87, 0x80000000, v87
	v_or3_b32 v86, v50, v87, v86
.LBB178_160:                            ;   in Loop: Header=BB178_10 Depth=1
	s_or_b32 exec_lo, exec_lo, s29
.LBB178_161:                            ;   in Loop: Header=BB178_10 Depth=1
	s_delay_alu instid0(SALU_CYCLE_1)
	s_or_b32 exec_lo, exec_lo, s28
.LBB178_162:                            ;   in Loop: Header=BB178_10 Depth=1
	s_delay_alu instid0(SALU_CYCLE_1)
	s_or_b32 exec_lo, exec_lo, s27
	global_load_u8 v87, v[56:57], off offset:524
	s_mov_b32 s27, exec_lo
	s_wait_loadcnt 0x0
	v_cmpx_ne_u16_e32 0, v87
	s_cbranch_execz .LBB178_170
; %bb.163:                              ;   in Loop: Header=BB178_10 Depth=1
	v_bfrev_b32_e32 v85, 1
	s_mov_b32 s28, exec_lo
	v_cmpx_ne_u16_e32 0x80, v87
	s_cbranch_execz .LBB178_169
; %bb.164:                              ;   in Loop: Header=BB178_10 Depth=1
	v_and_b32_e32 v50, 0xffff, v87
	v_mov_b32_e32 v85, 0x7f800001
	s_mov_b32 s29, exec_lo
	s_delay_alu instid0(VALU_DEP_2) | instskip(NEXT) | instid1(VALU_DEP_1)
	v_and_b32_e32 v88, 0x7f, v50
	v_cmpx_ne_u32_e32 0x7f, v88
	s_cbranch_execz .LBB178_168
; %bb.165:                              ;   in Loop: Header=BB178_10 Depth=1
	v_dual_lshrrev_b32 v85, 3, v88 :: v_dual_bitop2_b32 v50, 7, v50 bitop3:0x40
	s_mov_b32 s30, exec_lo
	v_cmpx_gt_u32_e32 8, v88
; %bb.166:                              ;   in Loop: Header=BB178_10 Depth=1
	s_delay_alu instid0(VALU_DEP_2) | instskip(NEXT) | instid1(VALU_DEP_1)
	v_clz_i32_u32_e32 v85, v50
	v_min_u32_e32 v85, 32, v85
	s_delay_alu instid0(VALU_DEP_1) | instskip(NEXT) | instid1(VALU_DEP_1)
	v_subrev_nc_u32_e32 v88, 28, v85
	v_lshlrev_b64_e32 v[88:89], v88, v[50:51]
	s_delay_alu instid0(VALU_DEP_1)
	v_dual_sub_nc_u32 v85, 29, v85 :: v_dual_bitop2_b32 v50, 7, v88 bitop3:0x40
; %bb.167:                              ;   in Loop: Header=BB178_10 Depth=1
	s_or_b32 exec_lo, exec_lo, s30
	s_delay_alu instid0(VALU_DEP_1) | instskip(NEXT) | instid1(VALU_DEP_2)
	v_dual_lshlrev_b32 v87, 24, v87 :: v_dual_lshlrev_b32 v50, 20, v50
	v_lshl_add_u32 v85, v85, 23, 0x3c000000
	s_delay_alu instid0(VALU_DEP_2) | instskip(NEXT) | instid1(VALU_DEP_1)
	v_and_b32_e32 v87, 0x80000000, v87
	v_or3_b32 v85, v50, v87, v85
.LBB178_168:                            ;   in Loop: Header=BB178_10 Depth=1
	s_or_b32 exec_lo, exec_lo, s29
.LBB178_169:                            ;   in Loop: Header=BB178_10 Depth=1
	s_delay_alu instid0(SALU_CYCLE_1)
	s_or_b32 exec_lo, exec_lo, s28
.LBB178_170:                            ;   in Loop: Header=BB178_10 Depth=1
	s_delay_alu instid0(SALU_CYCLE_1)
	s_or_b32 exec_lo, exec_lo, s27
	global_load_u8 v89, v[56:57], off offset:640
	v_dual_mov_b32 v87, 0 :: v_dual_mov_b32 v88, 0
	s_mov_b32 s27, exec_lo
	s_wait_loadcnt 0x0
	v_cmpx_ne_u16_e32 0, v89
	s_cbranch_execz .LBB178_178
; %bb.171:                              ;   in Loop: Header=BB178_10 Depth=1
	v_bfrev_b32_e32 v88, 1
	s_mov_b32 s28, exec_lo
	v_cmpx_ne_u16_e32 0x80, v89
	s_cbranch_execz .LBB178_177
; %bb.172:                              ;   in Loop: Header=BB178_10 Depth=1
	v_and_b32_e32 v50, 0xffff, v89
	v_mov_b32_e32 v88, 0x7f800001
	s_mov_b32 s29, exec_lo
	s_delay_alu instid0(VALU_DEP_2) | instskip(NEXT) | instid1(VALU_DEP_1)
	v_and_b32_e32 v90, 0x7f, v50
	v_cmpx_ne_u32_e32 0x7f, v90
	s_cbranch_execz .LBB178_176
; %bb.173:                              ;   in Loop: Header=BB178_10 Depth=1
	v_and_b32_e32 v50, 7, v50
	v_lshrrev_b32_e32 v88, 3, v90
	s_mov_b32 s30, exec_lo
	v_cmpx_gt_u32_e32 8, v90
; %bb.174:                              ;   in Loop: Header=BB178_10 Depth=1
	s_delay_alu instid0(VALU_DEP_3) | instskip(NEXT) | instid1(VALU_DEP_1)
	v_clz_i32_u32_e32 v88, v50
	v_min_u32_e32 v88, 32, v88
	s_delay_alu instid0(VALU_DEP_1) | instskip(NEXT) | instid1(VALU_DEP_1)
	v_subrev_nc_u32_e32 v90, 28, v88
	v_lshlrev_b64_e32 v[90:91], v90, v[50:51]
	s_delay_alu instid0(VALU_DEP_1)
	v_dual_sub_nc_u32 v88, 29, v88 :: v_dual_bitop2_b32 v50, 7, v90 bitop3:0x40
; %bb.175:                              ;   in Loop: Header=BB178_10 Depth=1
	s_or_b32 exec_lo, exec_lo, s30
	s_delay_alu instid0(VALU_DEP_1) | instskip(NEXT) | instid1(VALU_DEP_2)
	v_dual_lshlrev_b32 v89, 24, v89 :: v_dual_lshlrev_b32 v50, 20, v50
	v_lshl_add_u32 v88, v88, 23, 0x3c000000
	s_delay_alu instid0(VALU_DEP_2) | instskip(NEXT) | instid1(VALU_DEP_1)
	v_and_b32_e32 v89, 0x80000000, v89
	v_or3_b32 v88, v50, v89, v88
.LBB178_176:                            ;   in Loop: Header=BB178_10 Depth=1
	s_or_b32 exec_lo, exec_lo, s29
.LBB178_177:                            ;   in Loop: Header=BB178_10 Depth=1
	s_delay_alu instid0(SALU_CYCLE_1)
	s_or_b32 exec_lo, exec_lo, s28
.LBB178_178:                            ;   in Loop: Header=BB178_10 Depth=1
	s_delay_alu instid0(SALU_CYCLE_1)
	s_or_b32 exec_lo, exec_lo, s27
	global_load_u8 v89, v[56:57], off offset:644
	s_mov_b32 s27, exec_lo
	s_wait_loadcnt 0x0
	v_cmpx_ne_u16_e32 0, v89
	s_cbranch_execz .LBB178_186
; %bb.179:                              ;   in Loop: Header=BB178_10 Depth=1
	v_bfrev_b32_e32 v87, 1
	s_mov_b32 s28, exec_lo
	v_cmpx_ne_u16_e32 0x80, v89
	s_cbranch_execz .LBB178_185
; %bb.180:                              ;   in Loop: Header=BB178_10 Depth=1
	v_and_b32_e32 v50, 0xffff, v89
	v_mov_b32_e32 v87, 0x7f800001
	s_mov_b32 s29, exec_lo
	s_delay_alu instid0(VALU_DEP_2) | instskip(NEXT) | instid1(VALU_DEP_1)
	v_and_b32_e32 v90, 0x7f, v50
	v_cmpx_ne_u32_e32 0x7f, v90
	s_cbranch_execz .LBB178_184
; %bb.181:                              ;   in Loop: Header=BB178_10 Depth=1
	v_and_b32_e32 v50, 7, v50
	v_lshrrev_b32_e32 v87, 3, v90
	s_mov_b32 s30, exec_lo
	v_cmpx_gt_u32_e32 8, v90
; %bb.182:                              ;   in Loop: Header=BB178_10 Depth=1
	s_delay_alu instid0(VALU_DEP_3) | instskip(NEXT) | instid1(VALU_DEP_1)
	v_clz_i32_u32_e32 v87, v50
	v_min_u32_e32 v87, 32, v87
	s_delay_alu instid0(VALU_DEP_1) | instskip(NEXT) | instid1(VALU_DEP_1)
	v_subrev_nc_u32_e32 v90, 28, v87
	v_lshlrev_b64_e32 v[90:91], v90, v[50:51]
	s_delay_alu instid0(VALU_DEP_1)
	v_dual_sub_nc_u32 v87, 29, v87 :: v_dual_bitop2_b32 v50, 7, v90 bitop3:0x40
; %bb.183:                              ;   in Loop: Header=BB178_10 Depth=1
	s_or_b32 exec_lo, exec_lo, s30
	s_delay_alu instid0(VALU_DEP_1) | instskip(NEXT) | instid1(VALU_DEP_2)
	v_dual_lshlrev_b32 v89, 24, v89 :: v_dual_lshlrev_b32 v50, 20, v50
	v_lshl_add_u32 v87, v87, 23, 0x3c000000
	s_delay_alu instid0(VALU_DEP_2) | instskip(NEXT) | instid1(VALU_DEP_1)
	v_and_b32_e32 v89, 0x80000000, v89
	v_or3_b32 v87, v50, v89, v87
.LBB178_184:                            ;   in Loop: Header=BB178_10 Depth=1
	s_or_b32 exec_lo, exec_lo, s29
.LBB178_185:                            ;   in Loop: Header=BB178_10 Depth=1
	s_delay_alu instid0(SALU_CYCLE_1)
	s_or_b32 exec_lo, exec_lo, s28
.LBB178_186:                            ;   in Loop: Header=BB178_10 Depth=1
	s_delay_alu instid0(SALU_CYCLE_1)
	s_or_b32 exec_lo, exec_lo, s27
	global_load_u8 v91, v[56:57], off offset:648
	v_dual_mov_b32 v89, 0 :: v_dual_mov_b32 v90, 0
	s_mov_b32 s27, exec_lo
	s_wait_loadcnt 0x0
	v_cmpx_ne_u16_e32 0, v91
	s_cbranch_execz .LBB178_194
; %bb.187:                              ;   in Loop: Header=BB178_10 Depth=1
	v_bfrev_b32_e32 v90, 1
	s_mov_b32 s28, exec_lo
	v_cmpx_ne_u16_e32 0x80, v91
	s_cbranch_execz .LBB178_193
; %bb.188:                              ;   in Loop: Header=BB178_10 Depth=1
	v_and_b32_e32 v50, 0xffff, v91
	v_mov_b32_e32 v90, 0x7f800001
	s_mov_b32 s29, exec_lo
	s_delay_alu instid0(VALU_DEP_2) | instskip(NEXT) | instid1(VALU_DEP_1)
	v_and_b32_e32 v92, 0x7f, v50
	v_cmpx_ne_u32_e32 0x7f, v92
	s_cbranch_execz .LBB178_192
; %bb.189:                              ;   in Loop: Header=BB178_10 Depth=1
	v_dual_lshrrev_b32 v90, 3, v92 :: v_dual_bitop2_b32 v50, 7, v50 bitop3:0x40
	s_mov_b32 s30, exec_lo
	v_cmpx_gt_u32_e32 8, v92
; %bb.190:                              ;   in Loop: Header=BB178_10 Depth=1
	s_delay_alu instid0(VALU_DEP_2) | instskip(NEXT) | instid1(VALU_DEP_1)
	v_clz_i32_u32_e32 v90, v50
	v_min_u32_e32 v90, 32, v90
	s_delay_alu instid0(VALU_DEP_1) | instskip(NEXT) | instid1(VALU_DEP_1)
	v_subrev_nc_u32_e32 v92, 28, v90
	v_lshlrev_b64_e32 v[92:93], v92, v[50:51]
	s_delay_alu instid0(VALU_DEP_1)
	v_dual_sub_nc_u32 v90, 29, v90 :: v_dual_bitop2_b32 v50, 7, v92 bitop3:0x40
; %bb.191:                              ;   in Loop: Header=BB178_10 Depth=1
	s_or_b32 exec_lo, exec_lo, s30
	s_delay_alu instid0(VALU_DEP_1) | instskip(NEXT) | instid1(VALU_DEP_2)
	v_dual_lshlrev_b32 v91, 24, v91 :: v_dual_lshlrev_b32 v50, 20, v50
	v_lshl_add_u32 v90, v90, 23, 0x3c000000
	s_delay_alu instid0(VALU_DEP_2) | instskip(NEXT) | instid1(VALU_DEP_1)
	v_and_b32_e32 v91, 0x80000000, v91
	v_or3_b32 v90, v50, v91, v90
.LBB178_192:                            ;   in Loop: Header=BB178_10 Depth=1
	s_or_b32 exec_lo, exec_lo, s29
.LBB178_193:                            ;   in Loop: Header=BB178_10 Depth=1
	s_delay_alu instid0(SALU_CYCLE_1)
	s_or_b32 exec_lo, exec_lo, s28
.LBB178_194:                            ;   in Loop: Header=BB178_10 Depth=1
	s_delay_alu instid0(SALU_CYCLE_1)
	s_or_b32 exec_lo, exec_lo, s27
	global_load_u8 v91, v[56:57], off offset:652
	s_mov_b32 s27, exec_lo
	s_wait_loadcnt 0x0
	v_cmpx_ne_u16_e32 0, v91
	s_cbranch_execz .LBB178_202
; %bb.195:                              ;   in Loop: Header=BB178_10 Depth=1
	v_bfrev_b32_e32 v89, 1
	s_mov_b32 s28, exec_lo
	v_cmpx_ne_u16_e32 0x80, v91
	s_cbranch_execz .LBB178_201
; %bb.196:                              ;   in Loop: Header=BB178_10 Depth=1
	v_and_b32_e32 v50, 0xffff, v91
	v_mov_b32_e32 v89, 0x7f800001
	s_mov_b32 s29, exec_lo
	s_delay_alu instid0(VALU_DEP_2) | instskip(NEXT) | instid1(VALU_DEP_1)
	v_and_b32_e32 v92, 0x7f, v50
	v_cmpx_ne_u32_e32 0x7f, v92
	s_cbranch_execz .LBB178_200
; %bb.197:                              ;   in Loop: Header=BB178_10 Depth=1
	v_dual_lshrrev_b32 v89, 3, v92 :: v_dual_bitop2_b32 v50, 7, v50 bitop3:0x40
	s_mov_b32 s30, exec_lo
	v_cmpx_gt_u32_e32 8, v92
; %bb.198:                              ;   in Loop: Header=BB178_10 Depth=1
	s_delay_alu instid0(VALU_DEP_2) | instskip(NEXT) | instid1(VALU_DEP_1)
	v_clz_i32_u32_e32 v89, v50
	v_min_u32_e32 v89, 32, v89
	s_delay_alu instid0(VALU_DEP_1) | instskip(NEXT) | instid1(VALU_DEP_1)
	v_subrev_nc_u32_e32 v92, 28, v89
	v_lshlrev_b64_e32 v[92:93], v92, v[50:51]
	s_delay_alu instid0(VALU_DEP_1)
	v_dual_sub_nc_u32 v89, 29, v89 :: v_dual_bitop2_b32 v50, 7, v92 bitop3:0x40
; %bb.199:                              ;   in Loop: Header=BB178_10 Depth=1
	s_or_b32 exec_lo, exec_lo, s30
	s_delay_alu instid0(VALU_DEP_1) | instskip(NEXT) | instid1(VALU_DEP_2)
	v_dual_lshlrev_b32 v91, 24, v91 :: v_dual_lshlrev_b32 v50, 20, v50
	v_lshl_add_u32 v89, v89, 23, 0x3c000000
	s_delay_alu instid0(VALU_DEP_2) | instskip(NEXT) | instid1(VALU_DEP_1)
	v_and_b32_e32 v91, 0x80000000, v91
	v_or3_b32 v89, v50, v91, v89
.LBB178_200:                            ;   in Loop: Header=BB178_10 Depth=1
	s_or_b32 exec_lo, exec_lo, s29
.LBB178_201:                            ;   in Loop: Header=BB178_10 Depth=1
	s_delay_alu instid0(SALU_CYCLE_1)
	s_or_b32 exec_lo, exec_lo, s28
.LBB178_202:                            ;   in Loop: Header=BB178_10 Depth=1
	s_delay_alu instid0(SALU_CYCLE_1)
	s_or_b32 exec_lo, exec_lo, s27
	global_load_u8 v93, v[56:57], off offset:768
	v_dual_mov_b32 v91, 0 :: v_dual_mov_b32 v92, 0
	s_mov_b32 s27, exec_lo
	s_wait_loadcnt 0x0
	v_cmpx_ne_u16_e32 0, v93
	s_cbranch_execz .LBB178_210
; %bb.203:                              ;   in Loop: Header=BB178_10 Depth=1
	v_bfrev_b32_e32 v92, 1
	s_mov_b32 s28, exec_lo
	v_cmpx_ne_u16_e32 0x80, v93
	s_cbranch_execz .LBB178_209
; %bb.204:                              ;   in Loop: Header=BB178_10 Depth=1
	v_and_b32_e32 v50, 0xffff, v93
	v_mov_b32_e32 v92, 0x7f800001
	s_mov_b32 s29, exec_lo
	s_delay_alu instid0(VALU_DEP_2) | instskip(NEXT) | instid1(VALU_DEP_1)
	v_and_b32_e32 v94, 0x7f, v50
	v_cmpx_ne_u32_e32 0x7f, v94
	s_cbranch_execz .LBB178_208
; %bb.205:                              ;   in Loop: Header=BB178_10 Depth=1
	v_and_b32_e32 v50, 7, v50
	v_lshrrev_b32_e32 v92, 3, v94
	s_mov_b32 s30, exec_lo
	v_cmpx_gt_u32_e32 8, v94
; %bb.206:                              ;   in Loop: Header=BB178_10 Depth=1
	s_delay_alu instid0(VALU_DEP_3) | instskip(NEXT) | instid1(VALU_DEP_1)
	v_clz_i32_u32_e32 v92, v50
	v_min_u32_e32 v92, 32, v92
	s_delay_alu instid0(VALU_DEP_1) | instskip(NEXT) | instid1(VALU_DEP_1)
	v_subrev_nc_u32_e32 v94, 28, v92
	v_lshlrev_b64_e32 v[94:95], v94, v[50:51]
	s_delay_alu instid0(VALU_DEP_1)
	v_dual_sub_nc_u32 v92, 29, v92 :: v_dual_bitop2_b32 v50, 7, v94 bitop3:0x40
; %bb.207:                              ;   in Loop: Header=BB178_10 Depth=1
	s_or_b32 exec_lo, exec_lo, s30
	s_delay_alu instid0(VALU_DEP_1) | instskip(NEXT) | instid1(VALU_DEP_2)
	v_dual_lshlrev_b32 v93, 24, v93 :: v_dual_lshlrev_b32 v50, 20, v50
	v_lshl_add_u32 v92, v92, 23, 0x3c000000
	s_delay_alu instid0(VALU_DEP_2) | instskip(NEXT) | instid1(VALU_DEP_1)
	v_and_b32_e32 v93, 0x80000000, v93
	v_or3_b32 v92, v50, v93, v92
.LBB178_208:                            ;   in Loop: Header=BB178_10 Depth=1
	s_or_b32 exec_lo, exec_lo, s29
.LBB178_209:                            ;   in Loop: Header=BB178_10 Depth=1
	s_delay_alu instid0(SALU_CYCLE_1)
	s_or_b32 exec_lo, exec_lo, s28
.LBB178_210:                            ;   in Loop: Header=BB178_10 Depth=1
	s_delay_alu instid0(SALU_CYCLE_1)
	s_or_b32 exec_lo, exec_lo, s27
	global_load_u8 v93, v[56:57], off offset:772
	s_mov_b32 s27, exec_lo
	s_wait_loadcnt 0x0
	v_cmpx_ne_u16_e32 0, v93
	s_cbranch_execz .LBB178_218
; %bb.211:                              ;   in Loop: Header=BB178_10 Depth=1
	v_bfrev_b32_e32 v91, 1
	s_mov_b32 s28, exec_lo
	v_cmpx_ne_u16_e32 0x80, v93
	s_cbranch_execz .LBB178_217
; %bb.212:                              ;   in Loop: Header=BB178_10 Depth=1
	v_and_b32_e32 v50, 0xffff, v93
	v_mov_b32_e32 v91, 0x7f800001
	s_mov_b32 s29, exec_lo
	s_delay_alu instid0(VALU_DEP_2) | instskip(NEXT) | instid1(VALU_DEP_1)
	v_and_b32_e32 v94, 0x7f, v50
	v_cmpx_ne_u32_e32 0x7f, v94
	s_cbranch_execz .LBB178_216
; %bb.213:                              ;   in Loop: Header=BB178_10 Depth=1
	v_and_b32_e32 v50, 7, v50
	v_lshrrev_b32_e32 v91, 3, v94
	s_mov_b32 s30, exec_lo
	v_cmpx_gt_u32_e32 8, v94
; %bb.214:                              ;   in Loop: Header=BB178_10 Depth=1
	s_delay_alu instid0(VALU_DEP_3) | instskip(NEXT) | instid1(VALU_DEP_1)
	v_clz_i32_u32_e32 v91, v50
	v_min_u32_e32 v91, 32, v91
	s_delay_alu instid0(VALU_DEP_1) | instskip(NEXT) | instid1(VALU_DEP_1)
	v_subrev_nc_u32_e32 v94, 28, v91
	v_lshlrev_b64_e32 v[94:95], v94, v[50:51]
	s_delay_alu instid0(VALU_DEP_1)
	v_dual_sub_nc_u32 v91, 29, v91 :: v_dual_bitop2_b32 v50, 7, v94 bitop3:0x40
; %bb.215:                              ;   in Loop: Header=BB178_10 Depth=1
	s_or_b32 exec_lo, exec_lo, s30
	s_delay_alu instid0(VALU_DEP_1) | instskip(NEXT) | instid1(VALU_DEP_2)
	v_dual_lshlrev_b32 v93, 24, v93 :: v_dual_lshlrev_b32 v50, 20, v50
	v_lshl_add_u32 v91, v91, 23, 0x3c000000
	s_delay_alu instid0(VALU_DEP_2) | instskip(NEXT) | instid1(VALU_DEP_1)
	v_and_b32_e32 v93, 0x80000000, v93
	v_or3_b32 v91, v50, v93, v91
.LBB178_216:                            ;   in Loop: Header=BB178_10 Depth=1
	s_or_b32 exec_lo, exec_lo, s29
.LBB178_217:                            ;   in Loop: Header=BB178_10 Depth=1
	s_delay_alu instid0(SALU_CYCLE_1)
	s_or_b32 exec_lo, exec_lo, s28
.LBB178_218:                            ;   in Loop: Header=BB178_10 Depth=1
	s_delay_alu instid0(SALU_CYCLE_1)
	s_or_b32 exec_lo, exec_lo, s27
	global_load_u8 v95, v[56:57], off offset:776
	v_dual_mov_b32 v93, 0 :: v_dual_mov_b32 v94, 0
	s_mov_b32 s27, exec_lo
	s_wait_loadcnt 0x0
	v_cmpx_ne_u16_e32 0, v95
	s_cbranch_execz .LBB178_226
; %bb.219:                              ;   in Loop: Header=BB178_10 Depth=1
	v_bfrev_b32_e32 v94, 1
	s_mov_b32 s28, exec_lo
	v_cmpx_ne_u16_e32 0x80, v95
	s_cbranch_execz .LBB178_225
; %bb.220:                              ;   in Loop: Header=BB178_10 Depth=1
	v_and_b32_e32 v50, 0xffff, v95
	v_mov_b32_e32 v94, 0x7f800001
	s_mov_b32 s29, exec_lo
	s_delay_alu instid0(VALU_DEP_2) | instskip(NEXT) | instid1(VALU_DEP_1)
	v_and_b32_e32 v96, 0x7f, v50
	v_cmpx_ne_u32_e32 0x7f, v96
	s_cbranch_execz .LBB178_224
; %bb.221:                              ;   in Loop: Header=BB178_10 Depth=1
	v_dual_lshrrev_b32 v94, 3, v96 :: v_dual_bitop2_b32 v50, 7, v50 bitop3:0x40
	s_mov_b32 s30, exec_lo
	v_cmpx_gt_u32_e32 8, v96
; %bb.222:                              ;   in Loop: Header=BB178_10 Depth=1
	s_delay_alu instid0(VALU_DEP_2) | instskip(NEXT) | instid1(VALU_DEP_1)
	v_clz_i32_u32_e32 v94, v50
	v_min_u32_e32 v94, 32, v94
	s_delay_alu instid0(VALU_DEP_1) | instskip(NEXT) | instid1(VALU_DEP_1)
	v_subrev_nc_u32_e32 v96, 28, v94
	v_lshlrev_b64_e32 v[96:97], v96, v[50:51]
	s_delay_alu instid0(VALU_DEP_1)
	v_dual_sub_nc_u32 v94, 29, v94 :: v_dual_bitop2_b32 v50, 7, v96 bitop3:0x40
; %bb.223:                              ;   in Loop: Header=BB178_10 Depth=1
	s_or_b32 exec_lo, exec_lo, s30
	s_delay_alu instid0(VALU_DEP_1) | instskip(NEXT) | instid1(VALU_DEP_2)
	v_dual_lshlrev_b32 v95, 24, v95 :: v_dual_lshlrev_b32 v50, 20, v50
	v_lshl_add_u32 v94, v94, 23, 0x3c000000
	s_delay_alu instid0(VALU_DEP_2) | instskip(NEXT) | instid1(VALU_DEP_1)
	v_and_b32_e32 v95, 0x80000000, v95
	v_or3_b32 v94, v50, v95, v94
.LBB178_224:                            ;   in Loop: Header=BB178_10 Depth=1
	s_or_b32 exec_lo, exec_lo, s29
.LBB178_225:                            ;   in Loop: Header=BB178_10 Depth=1
	s_delay_alu instid0(SALU_CYCLE_1)
	s_or_b32 exec_lo, exec_lo, s28
.LBB178_226:                            ;   in Loop: Header=BB178_10 Depth=1
	s_delay_alu instid0(SALU_CYCLE_1)
	s_or_b32 exec_lo, exec_lo, s27
	global_load_u8 v95, v[56:57], off offset:780
	s_mov_b32 s27, exec_lo
	s_wait_loadcnt 0x0
	v_cmpx_ne_u16_e32 0, v95
	s_cbranch_execz .LBB178_234
; %bb.227:                              ;   in Loop: Header=BB178_10 Depth=1
	v_bfrev_b32_e32 v93, 1
	s_mov_b32 s28, exec_lo
	v_cmpx_ne_u16_e32 0x80, v95
	s_cbranch_execz .LBB178_233
; %bb.228:                              ;   in Loop: Header=BB178_10 Depth=1
	v_and_b32_e32 v50, 0xffff, v95
	v_mov_b32_e32 v93, 0x7f800001
	s_mov_b32 s29, exec_lo
	s_delay_alu instid0(VALU_DEP_2) | instskip(NEXT) | instid1(VALU_DEP_1)
	v_and_b32_e32 v96, 0x7f, v50
	v_cmpx_ne_u32_e32 0x7f, v96
	s_cbranch_execz .LBB178_232
; %bb.229:                              ;   in Loop: Header=BB178_10 Depth=1
	v_dual_lshrrev_b32 v93, 3, v96 :: v_dual_bitop2_b32 v50, 7, v50 bitop3:0x40
	s_mov_b32 s30, exec_lo
	v_cmpx_gt_u32_e32 8, v96
; %bb.230:                              ;   in Loop: Header=BB178_10 Depth=1
	s_delay_alu instid0(VALU_DEP_2) | instskip(NEXT) | instid1(VALU_DEP_1)
	v_clz_i32_u32_e32 v93, v50
	v_min_u32_e32 v93, 32, v93
	s_delay_alu instid0(VALU_DEP_1) | instskip(NEXT) | instid1(VALU_DEP_1)
	v_subrev_nc_u32_e32 v96, 28, v93
	v_lshlrev_b64_e32 v[96:97], v96, v[50:51]
	s_delay_alu instid0(VALU_DEP_1)
	v_dual_sub_nc_u32 v93, 29, v93 :: v_dual_bitop2_b32 v50, 7, v96 bitop3:0x40
; %bb.231:                              ;   in Loop: Header=BB178_10 Depth=1
	s_or_b32 exec_lo, exec_lo, s30
	s_delay_alu instid0(VALU_DEP_1) | instskip(NEXT) | instid1(VALU_DEP_2)
	v_dual_lshlrev_b32 v95, 24, v95 :: v_dual_lshlrev_b32 v50, 20, v50
	v_lshl_add_u32 v93, v93, 23, 0x3c000000
	s_delay_alu instid0(VALU_DEP_2) | instskip(NEXT) | instid1(VALU_DEP_1)
	v_and_b32_e32 v95, 0x80000000, v95
	v_or3_b32 v93, v50, v95, v93
.LBB178_232:                            ;   in Loop: Header=BB178_10 Depth=1
	s_or_b32 exec_lo, exec_lo, s29
.LBB178_233:                            ;   in Loop: Header=BB178_10 Depth=1
	s_delay_alu instid0(SALU_CYCLE_1)
	s_or_b32 exec_lo, exec_lo, s28
.LBB178_234:                            ;   in Loop: Header=BB178_10 Depth=1
	s_delay_alu instid0(SALU_CYCLE_1)
	s_or_b32 exec_lo, exec_lo, s27
	global_load_u8 v97, v[56:57], off offset:896
	v_dual_mov_b32 v95, 0 :: v_dual_mov_b32 v96, 0
	s_mov_b32 s27, exec_lo
	s_wait_loadcnt 0x0
	v_cmpx_ne_u16_e32 0, v97
	s_cbranch_execz .LBB178_242
; %bb.235:                              ;   in Loop: Header=BB178_10 Depth=1
	v_bfrev_b32_e32 v96, 1
	s_mov_b32 s28, exec_lo
	v_cmpx_ne_u16_e32 0x80, v97
	s_cbranch_execz .LBB178_241
; %bb.236:                              ;   in Loop: Header=BB178_10 Depth=1
	v_and_b32_e32 v50, 0xffff, v97
	v_mov_b32_e32 v96, 0x7f800001
	s_mov_b32 s29, exec_lo
	s_delay_alu instid0(VALU_DEP_2) | instskip(NEXT) | instid1(VALU_DEP_1)
	v_and_b32_e32 v98, 0x7f, v50
	v_cmpx_ne_u32_e32 0x7f, v98
	s_cbranch_execz .LBB178_240
; %bb.237:                              ;   in Loop: Header=BB178_10 Depth=1
	v_and_b32_e32 v50, 7, v50
	v_lshrrev_b32_e32 v96, 3, v98
	s_mov_b32 s30, exec_lo
	v_cmpx_gt_u32_e32 8, v98
; %bb.238:                              ;   in Loop: Header=BB178_10 Depth=1
	s_delay_alu instid0(VALU_DEP_3) | instskip(NEXT) | instid1(VALU_DEP_1)
	v_clz_i32_u32_e32 v96, v50
	v_min_u32_e32 v96, 32, v96
	s_delay_alu instid0(VALU_DEP_1) | instskip(NEXT) | instid1(VALU_DEP_1)
	v_subrev_nc_u32_e32 v98, 28, v96
	v_lshlrev_b64_e32 v[98:99], v98, v[50:51]
	s_delay_alu instid0(VALU_DEP_1)
	v_dual_sub_nc_u32 v96, 29, v96 :: v_dual_bitop2_b32 v50, 7, v98 bitop3:0x40
; %bb.239:                              ;   in Loop: Header=BB178_10 Depth=1
	s_or_b32 exec_lo, exec_lo, s30
	s_delay_alu instid0(VALU_DEP_1) | instskip(NEXT) | instid1(VALU_DEP_2)
	v_dual_lshlrev_b32 v97, 24, v97 :: v_dual_lshlrev_b32 v50, 20, v50
	v_lshl_add_u32 v96, v96, 23, 0x3c000000
	s_delay_alu instid0(VALU_DEP_2) | instskip(NEXT) | instid1(VALU_DEP_1)
	v_and_b32_e32 v97, 0x80000000, v97
	v_or3_b32 v96, v50, v97, v96
.LBB178_240:                            ;   in Loop: Header=BB178_10 Depth=1
	s_or_b32 exec_lo, exec_lo, s29
.LBB178_241:                            ;   in Loop: Header=BB178_10 Depth=1
	s_delay_alu instid0(SALU_CYCLE_1)
	s_or_b32 exec_lo, exec_lo, s28
.LBB178_242:                            ;   in Loop: Header=BB178_10 Depth=1
	s_delay_alu instid0(SALU_CYCLE_1)
	s_or_b32 exec_lo, exec_lo, s27
	global_load_u8 v97, v[56:57], off offset:900
	s_mov_b32 s27, exec_lo
	s_wait_loadcnt 0x0
	v_cmpx_ne_u16_e32 0, v97
	s_cbranch_execz .LBB178_250
; %bb.243:                              ;   in Loop: Header=BB178_10 Depth=1
	v_bfrev_b32_e32 v95, 1
	s_mov_b32 s28, exec_lo
	v_cmpx_ne_u16_e32 0x80, v97
	s_cbranch_execz .LBB178_249
; %bb.244:                              ;   in Loop: Header=BB178_10 Depth=1
	v_and_b32_e32 v50, 0xffff, v97
	v_mov_b32_e32 v95, 0x7f800001
	s_mov_b32 s29, exec_lo
	s_delay_alu instid0(VALU_DEP_2) | instskip(NEXT) | instid1(VALU_DEP_1)
	v_and_b32_e32 v98, 0x7f, v50
	v_cmpx_ne_u32_e32 0x7f, v98
	s_cbranch_execz .LBB178_248
; %bb.245:                              ;   in Loop: Header=BB178_10 Depth=1
	v_and_b32_e32 v50, 7, v50
	v_lshrrev_b32_e32 v95, 3, v98
	s_mov_b32 s30, exec_lo
	v_cmpx_gt_u32_e32 8, v98
; %bb.246:                              ;   in Loop: Header=BB178_10 Depth=1
	s_delay_alu instid0(VALU_DEP_3) | instskip(NEXT) | instid1(VALU_DEP_1)
	v_clz_i32_u32_e32 v95, v50
	v_min_u32_e32 v95, 32, v95
	s_delay_alu instid0(VALU_DEP_1) | instskip(NEXT) | instid1(VALU_DEP_1)
	v_subrev_nc_u32_e32 v98, 28, v95
	v_lshlrev_b64_e32 v[98:99], v98, v[50:51]
	s_delay_alu instid0(VALU_DEP_1)
	v_dual_sub_nc_u32 v95, 29, v95 :: v_dual_bitop2_b32 v50, 7, v98 bitop3:0x40
; %bb.247:                              ;   in Loop: Header=BB178_10 Depth=1
	s_or_b32 exec_lo, exec_lo, s30
	s_delay_alu instid0(VALU_DEP_1) | instskip(NEXT) | instid1(VALU_DEP_2)
	v_dual_lshlrev_b32 v97, 24, v97 :: v_dual_lshlrev_b32 v50, 20, v50
	v_lshl_add_u32 v95, v95, 23, 0x3c000000
	s_delay_alu instid0(VALU_DEP_2) | instskip(NEXT) | instid1(VALU_DEP_1)
	v_and_b32_e32 v97, 0x80000000, v97
	v_or3_b32 v95, v50, v97, v95
.LBB178_248:                            ;   in Loop: Header=BB178_10 Depth=1
	s_or_b32 exec_lo, exec_lo, s29
.LBB178_249:                            ;   in Loop: Header=BB178_10 Depth=1
	s_delay_alu instid0(SALU_CYCLE_1)
	s_or_b32 exec_lo, exec_lo, s28
.LBB178_250:                            ;   in Loop: Header=BB178_10 Depth=1
	s_delay_alu instid0(SALU_CYCLE_1)
	s_or_b32 exec_lo, exec_lo, s27
	global_load_u8 v99, v[56:57], off offset:904
	v_dual_mov_b32 v97, 0 :: v_dual_mov_b32 v98, 0
	s_mov_b32 s27, exec_lo
	s_wait_loadcnt 0x0
	v_cmpx_ne_u16_e32 0, v99
	s_cbranch_execz .LBB178_258
; %bb.251:                              ;   in Loop: Header=BB178_10 Depth=1
	v_bfrev_b32_e32 v98, 1
	s_mov_b32 s28, exec_lo
	v_cmpx_ne_u16_e32 0x80, v99
	s_cbranch_execz .LBB178_257
; %bb.252:                              ;   in Loop: Header=BB178_10 Depth=1
	v_and_b32_e32 v50, 0xffff, v99
	v_mov_b32_e32 v98, 0x7f800001
	s_mov_b32 s29, exec_lo
	s_delay_alu instid0(VALU_DEP_2) | instskip(NEXT) | instid1(VALU_DEP_1)
	v_and_b32_e32 v100, 0x7f, v50
	v_cmpx_ne_u32_e32 0x7f, v100
	s_cbranch_execz .LBB178_256
; %bb.253:                              ;   in Loop: Header=BB178_10 Depth=1
	v_dual_lshrrev_b32 v98, 3, v100 :: v_dual_bitop2_b32 v50, 7, v50 bitop3:0x40
	s_mov_b32 s30, exec_lo
	v_cmpx_gt_u32_e32 8, v100
; %bb.254:                              ;   in Loop: Header=BB178_10 Depth=1
	s_delay_alu instid0(VALU_DEP_2) | instskip(NEXT) | instid1(VALU_DEP_1)
	v_clz_i32_u32_e32 v98, v50
	v_min_u32_e32 v98, 32, v98
	s_delay_alu instid0(VALU_DEP_1) | instskip(NEXT) | instid1(VALU_DEP_1)
	v_subrev_nc_u32_e32 v100, 28, v98
	v_lshlrev_b64_e32 v[100:101], v100, v[50:51]
	s_delay_alu instid0(VALU_DEP_1)
	v_dual_sub_nc_u32 v98, 29, v98 :: v_dual_bitop2_b32 v50, 7, v100 bitop3:0x40
; %bb.255:                              ;   in Loop: Header=BB178_10 Depth=1
	s_or_b32 exec_lo, exec_lo, s30
	s_delay_alu instid0(VALU_DEP_1) | instskip(NEXT) | instid1(VALU_DEP_2)
	v_dual_lshlrev_b32 v99, 24, v99 :: v_dual_lshlrev_b32 v50, 20, v50
	v_lshl_add_u32 v98, v98, 23, 0x3c000000
	s_delay_alu instid0(VALU_DEP_2) | instskip(NEXT) | instid1(VALU_DEP_1)
	v_and_b32_e32 v99, 0x80000000, v99
	v_or3_b32 v98, v50, v99, v98
.LBB178_256:                            ;   in Loop: Header=BB178_10 Depth=1
	s_or_b32 exec_lo, exec_lo, s29
.LBB178_257:                            ;   in Loop: Header=BB178_10 Depth=1
	s_delay_alu instid0(SALU_CYCLE_1)
	s_or_b32 exec_lo, exec_lo, s28
.LBB178_258:                            ;   in Loop: Header=BB178_10 Depth=1
	s_delay_alu instid0(SALU_CYCLE_1)
	s_or_b32 exec_lo, exec_lo, s27
	global_load_u8 v99, v[56:57], off offset:908
	s_mov_b32 s27, exec_lo
	s_wait_loadcnt 0x0
	v_cmpx_ne_u16_e32 0, v99
	s_cbranch_execz .LBB178_266
; %bb.259:                              ;   in Loop: Header=BB178_10 Depth=1
	v_bfrev_b32_e32 v97, 1
	s_mov_b32 s28, exec_lo
	v_cmpx_ne_u16_e32 0x80, v99
	s_cbranch_execz .LBB178_265
; %bb.260:                              ;   in Loop: Header=BB178_10 Depth=1
	v_and_b32_e32 v50, 0xffff, v99
	v_mov_b32_e32 v97, 0x7f800001
	s_mov_b32 s29, exec_lo
	s_delay_alu instid0(VALU_DEP_2) | instskip(NEXT) | instid1(VALU_DEP_1)
	v_and_b32_e32 v100, 0x7f, v50
	v_cmpx_ne_u32_e32 0x7f, v100
	s_cbranch_execz .LBB178_264
; %bb.261:                              ;   in Loop: Header=BB178_10 Depth=1
	v_dual_lshrrev_b32 v97, 3, v100 :: v_dual_bitop2_b32 v50, 7, v50 bitop3:0x40
	s_mov_b32 s30, exec_lo
	v_cmpx_gt_u32_e32 8, v100
; %bb.262:                              ;   in Loop: Header=BB178_10 Depth=1
	s_delay_alu instid0(VALU_DEP_2) | instskip(NEXT) | instid1(VALU_DEP_1)
	v_clz_i32_u32_e32 v97, v50
	v_min_u32_e32 v97, 32, v97
	s_delay_alu instid0(VALU_DEP_1) | instskip(NEXT) | instid1(VALU_DEP_1)
	v_subrev_nc_u32_e32 v100, 28, v97
	v_lshlrev_b64_e32 v[100:101], v100, v[50:51]
	s_delay_alu instid0(VALU_DEP_1)
	v_dual_sub_nc_u32 v97, 29, v97 :: v_dual_bitop2_b32 v50, 7, v100 bitop3:0x40
; %bb.263:                              ;   in Loop: Header=BB178_10 Depth=1
	s_or_b32 exec_lo, exec_lo, s30
	s_delay_alu instid0(VALU_DEP_1) | instskip(NEXT) | instid1(VALU_DEP_2)
	v_dual_lshlrev_b32 v99, 24, v99 :: v_dual_lshlrev_b32 v50, 20, v50
	v_lshl_add_u32 v97, v97, 23, 0x3c000000
	s_delay_alu instid0(VALU_DEP_2) | instskip(NEXT) | instid1(VALU_DEP_1)
	v_and_b32_e32 v99, 0x80000000, v99
	v_or3_b32 v97, v50, v99, v97
.LBB178_264:                            ;   in Loop: Header=BB178_10 Depth=1
	s_or_b32 exec_lo, exec_lo, s29
.LBB178_265:                            ;   in Loop: Header=BB178_10 Depth=1
	s_delay_alu instid0(SALU_CYCLE_1)
	s_or_b32 exec_lo, exec_lo, s28
.LBB178_266:                            ;   in Loop: Header=BB178_10 Depth=1
	s_delay_alu instid0(SALU_CYCLE_1)
	s_or_b32 exec_lo, exec_lo, s27
	global_load_u8 v101, v[56:57], off offset:1024
	v_dual_mov_b32 v99, 0 :: v_dual_mov_b32 v100, 0
	s_mov_b32 s27, exec_lo
	s_wait_loadcnt 0x0
	v_cmpx_ne_u16_e32 0, v101
	s_cbranch_execz .LBB178_274
; %bb.267:                              ;   in Loop: Header=BB178_10 Depth=1
	v_bfrev_b32_e32 v100, 1
	s_mov_b32 s28, exec_lo
	v_cmpx_ne_u16_e32 0x80, v101
	s_cbranch_execz .LBB178_273
; %bb.268:                              ;   in Loop: Header=BB178_10 Depth=1
	v_and_b32_e32 v50, 0xffff, v101
	v_mov_b32_e32 v100, 0x7f800001
	s_mov_b32 s29, exec_lo
	s_delay_alu instid0(VALU_DEP_2) | instskip(NEXT) | instid1(VALU_DEP_1)
	v_and_b32_e32 v102, 0x7f, v50
	v_cmpx_ne_u32_e32 0x7f, v102
	s_cbranch_execz .LBB178_272
; %bb.269:                              ;   in Loop: Header=BB178_10 Depth=1
	v_and_b32_e32 v50, 7, v50
	v_lshrrev_b32_e32 v100, 3, v102
	s_mov_b32 s30, exec_lo
	v_cmpx_gt_u32_e32 8, v102
; %bb.270:                              ;   in Loop: Header=BB178_10 Depth=1
	s_delay_alu instid0(VALU_DEP_3) | instskip(NEXT) | instid1(VALU_DEP_1)
	v_clz_i32_u32_e32 v100, v50
	v_min_u32_e32 v100, 32, v100
	s_delay_alu instid0(VALU_DEP_1) | instskip(NEXT) | instid1(VALU_DEP_1)
	v_subrev_nc_u32_e32 v102, 28, v100
	v_lshlrev_b64_e32 v[102:103], v102, v[50:51]
	s_delay_alu instid0(VALU_DEP_1)
	v_dual_sub_nc_u32 v100, 29, v100 :: v_dual_bitop2_b32 v50, 7, v102 bitop3:0x40
; %bb.271:                              ;   in Loop: Header=BB178_10 Depth=1
	s_or_b32 exec_lo, exec_lo, s30
	s_delay_alu instid0(VALU_DEP_1) | instskip(NEXT) | instid1(VALU_DEP_2)
	v_dual_lshlrev_b32 v101, 24, v101 :: v_dual_lshlrev_b32 v50, 20, v50
	v_lshl_add_u32 v100, v100, 23, 0x3c000000
	s_delay_alu instid0(VALU_DEP_2) | instskip(NEXT) | instid1(VALU_DEP_1)
	v_and_b32_e32 v101, 0x80000000, v101
	v_or3_b32 v100, v50, v101, v100
.LBB178_272:                            ;   in Loop: Header=BB178_10 Depth=1
	s_or_b32 exec_lo, exec_lo, s29
.LBB178_273:                            ;   in Loop: Header=BB178_10 Depth=1
	s_delay_alu instid0(SALU_CYCLE_1)
	s_or_b32 exec_lo, exec_lo, s28
.LBB178_274:                            ;   in Loop: Header=BB178_10 Depth=1
	s_delay_alu instid0(SALU_CYCLE_1)
	s_or_b32 exec_lo, exec_lo, s27
	global_load_u8 v101, v[56:57], off offset:1028
	s_mov_b32 s27, exec_lo
	s_wait_loadcnt 0x0
	v_cmpx_ne_u16_e32 0, v101
	s_cbranch_execz .LBB178_282
; %bb.275:                              ;   in Loop: Header=BB178_10 Depth=1
	v_bfrev_b32_e32 v99, 1
	s_mov_b32 s28, exec_lo
	v_cmpx_ne_u16_e32 0x80, v101
	s_cbranch_execz .LBB178_281
; %bb.276:                              ;   in Loop: Header=BB178_10 Depth=1
	v_and_b32_e32 v50, 0xffff, v101
	v_mov_b32_e32 v99, 0x7f800001
	s_mov_b32 s29, exec_lo
	s_delay_alu instid0(VALU_DEP_2) | instskip(NEXT) | instid1(VALU_DEP_1)
	v_and_b32_e32 v102, 0x7f, v50
	v_cmpx_ne_u32_e32 0x7f, v102
	s_cbranch_execz .LBB178_280
; %bb.277:                              ;   in Loop: Header=BB178_10 Depth=1
	v_and_b32_e32 v50, 7, v50
	v_lshrrev_b32_e32 v99, 3, v102
	s_mov_b32 s30, exec_lo
	v_cmpx_gt_u32_e32 8, v102
; %bb.278:                              ;   in Loop: Header=BB178_10 Depth=1
	s_delay_alu instid0(VALU_DEP_3) | instskip(NEXT) | instid1(VALU_DEP_1)
	v_clz_i32_u32_e32 v99, v50
	v_min_u32_e32 v99, 32, v99
	s_delay_alu instid0(VALU_DEP_1) | instskip(NEXT) | instid1(VALU_DEP_1)
	v_subrev_nc_u32_e32 v102, 28, v99
	v_lshlrev_b64_e32 v[102:103], v102, v[50:51]
	s_delay_alu instid0(VALU_DEP_1)
	v_dual_sub_nc_u32 v99, 29, v99 :: v_dual_bitop2_b32 v50, 7, v102 bitop3:0x40
; %bb.279:                              ;   in Loop: Header=BB178_10 Depth=1
	s_or_b32 exec_lo, exec_lo, s30
	s_delay_alu instid0(VALU_DEP_1) | instskip(NEXT) | instid1(VALU_DEP_2)
	v_dual_lshlrev_b32 v101, 24, v101 :: v_dual_lshlrev_b32 v50, 20, v50
	v_lshl_add_u32 v99, v99, 23, 0x3c000000
	s_delay_alu instid0(VALU_DEP_2) | instskip(NEXT) | instid1(VALU_DEP_1)
	v_and_b32_e32 v101, 0x80000000, v101
	v_or3_b32 v99, v50, v101, v99
.LBB178_280:                            ;   in Loop: Header=BB178_10 Depth=1
	s_or_b32 exec_lo, exec_lo, s29
.LBB178_281:                            ;   in Loop: Header=BB178_10 Depth=1
	s_delay_alu instid0(SALU_CYCLE_1)
	s_or_b32 exec_lo, exec_lo, s28
.LBB178_282:                            ;   in Loop: Header=BB178_10 Depth=1
	s_delay_alu instid0(SALU_CYCLE_1)
	s_or_b32 exec_lo, exec_lo, s27
	global_load_u8 v103, v[56:57], off offset:1032
	v_dual_mov_b32 v101, 0 :: v_dual_mov_b32 v102, 0
	s_mov_b32 s27, exec_lo
	s_wait_loadcnt 0x0
	v_cmpx_ne_u16_e32 0, v103
	s_cbranch_execz .LBB178_290
; %bb.283:                              ;   in Loop: Header=BB178_10 Depth=1
	v_bfrev_b32_e32 v102, 1
	s_mov_b32 s28, exec_lo
	v_cmpx_ne_u16_e32 0x80, v103
	s_cbranch_execz .LBB178_289
; %bb.284:                              ;   in Loop: Header=BB178_10 Depth=1
	v_and_b32_e32 v50, 0xffff, v103
	v_mov_b32_e32 v102, 0x7f800001
	s_mov_b32 s29, exec_lo
	s_delay_alu instid0(VALU_DEP_2) | instskip(NEXT) | instid1(VALU_DEP_1)
	v_and_b32_e32 v104, 0x7f, v50
	v_cmpx_ne_u32_e32 0x7f, v104
	s_cbranch_execz .LBB178_288
; %bb.285:                              ;   in Loop: Header=BB178_10 Depth=1
	v_dual_lshrrev_b32 v102, 3, v104 :: v_dual_bitop2_b32 v50, 7, v50 bitop3:0x40
	s_mov_b32 s30, exec_lo
	v_cmpx_gt_u32_e32 8, v104
; %bb.286:                              ;   in Loop: Header=BB178_10 Depth=1
	s_delay_alu instid0(VALU_DEP_2) | instskip(NEXT) | instid1(VALU_DEP_1)
	v_clz_i32_u32_e32 v102, v50
	v_min_u32_e32 v102, 32, v102
	s_delay_alu instid0(VALU_DEP_1) | instskip(NEXT) | instid1(VALU_DEP_1)
	v_subrev_nc_u32_e32 v104, 28, v102
	v_lshlrev_b64_e32 v[104:105], v104, v[50:51]
	s_delay_alu instid0(VALU_DEP_1)
	v_dual_sub_nc_u32 v102, 29, v102 :: v_dual_bitop2_b32 v50, 7, v104 bitop3:0x40
; %bb.287:                              ;   in Loop: Header=BB178_10 Depth=1
	s_or_b32 exec_lo, exec_lo, s30
	s_delay_alu instid0(VALU_DEP_1) | instskip(NEXT) | instid1(VALU_DEP_2)
	v_dual_lshlrev_b32 v103, 24, v103 :: v_dual_lshlrev_b32 v50, 20, v50
	v_lshl_add_u32 v102, v102, 23, 0x3c000000
	s_delay_alu instid0(VALU_DEP_2) | instskip(NEXT) | instid1(VALU_DEP_1)
	v_and_b32_e32 v103, 0x80000000, v103
	v_or3_b32 v102, v50, v103, v102
.LBB178_288:                            ;   in Loop: Header=BB178_10 Depth=1
	s_or_b32 exec_lo, exec_lo, s29
.LBB178_289:                            ;   in Loop: Header=BB178_10 Depth=1
	s_delay_alu instid0(SALU_CYCLE_1)
	s_or_b32 exec_lo, exec_lo, s28
.LBB178_290:                            ;   in Loop: Header=BB178_10 Depth=1
	s_delay_alu instid0(SALU_CYCLE_1)
	s_or_b32 exec_lo, exec_lo, s27
	global_load_u8 v103, v[56:57], off offset:1036
	s_mov_b32 s27, exec_lo
	s_wait_loadcnt 0x0
	v_cmpx_ne_u16_e32 0, v103
	s_cbranch_execz .LBB178_298
; %bb.291:                              ;   in Loop: Header=BB178_10 Depth=1
	v_bfrev_b32_e32 v101, 1
	s_mov_b32 s28, exec_lo
	v_cmpx_ne_u16_e32 0x80, v103
	s_cbranch_execz .LBB178_297
; %bb.292:                              ;   in Loop: Header=BB178_10 Depth=1
	v_and_b32_e32 v50, 0xffff, v103
	v_mov_b32_e32 v101, 0x7f800001
	s_mov_b32 s29, exec_lo
	s_delay_alu instid0(VALU_DEP_2) | instskip(NEXT) | instid1(VALU_DEP_1)
	v_and_b32_e32 v104, 0x7f, v50
	v_cmpx_ne_u32_e32 0x7f, v104
	s_cbranch_execz .LBB178_296
; %bb.293:                              ;   in Loop: Header=BB178_10 Depth=1
	v_dual_lshrrev_b32 v101, 3, v104 :: v_dual_bitop2_b32 v50, 7, v50 bitop3:0x40
	s_mov_b32 s30, exec_lo
	v_cmpx_gt_u32_e32 8, v104
; %bb.294:                              ;   in Loop: Header=BB178_10 Depth=1
	s_delay_alu instid0(VALU_DEP_2) | instskip(NEXT) | instid1(VALU_DEP_1)
	v_clz_i32_u32_e32 v101, v50
	v_min_u32_e32 v101, 32, v101
	s_delay_alu instid0(VALU_DEP_1) | instskip(NEXT) | instid1(VALU_DEP_1)
	v_subrev_nc_u32_e32 v104, 28, v101
	v_lshlrev_b64_e32 v[104:105], v104, v[50:51]
	s_delay_alu instid0(VALU_DEP_1)
	v_dual_sub_nc_u32 v101, 29, v101 :: v_dual_bitop2_b32 v50, 7, v104 bitop3:0x40
; %bb.295:                              ;   in Loop: Header=BB178_10 Depth=1
	s_or_b32 exec_lo, exec_lo, s30
	s_delay_alu instid0(VALU_DEP_1) | instskip(NEXT) | instid1(VALU_DEP_2)
	v_dual_lshlrev_b32 v103, 24, v103 :: v_dual_lshlrev_b32 v50, 20, v50
	v_lshl_add_u32 v101, v101, 23, 0x3c000000
	s_delay_alu instid0(VALU_DEP_2) | instskip(NEXT) | instid1(VALU_DEP_1)
	v_and_b32_e32 v103, 0x80000000, v103
	v_or3_b32 v101, v50, v103, v101
.LBB178_296:                            ;   in Loop: Header=BB178_10 Depth=1
	s_or_b32 exec_lo, exec_lo, s29
.LBB178_297:                            ;   in Loop: Header=BB178_10 Depth=1
	s_delay_alu instid0(SALU_CYCLE_1)
	s_or_b32 exec_lo, exec_lo, s28
.LBB178_298:                            ;   in Loop: Header=BB178_10 Depth=1
	s_delay_alu instid0(SALU_CYCLE_1)
	s_or_b32 exec_lo, exec_lo, s27
	global_load_u8 v105, v[56:57], off offset:1152
	v_dual_mov_b32 v103, 0 :: v_dual_mov_b32 v104, 0
	s_mov_b32 s27, exec_lo
	s_wait_loadcnt 0x0
	v_cmpx_ne_u16_e32 0, v105
	s_cbranch_execz .LBB178_306
; %bb.299:                              ;   in Loop: Header=BB178_10 Depth=1
	v_bfrev_b32_e32 v104, 1
	s_mov_b32 s28, exec_lo
	v_cmpx_ne_u16_e32 0x80, v105
	s_cbranch_execz .LBB178_305
; %bb.300:                              ;   in Loop: Header=BB178_10 Depth=1
	v_and_b32_e32 v50, 0xffff, v105
	v_mov_b32_e32 v104, 0x7f800001
	s_mov_b32 s29, exec_lo
	s_delay_alu instid0(VALU_DEP_2) | instskip(NEXT) | instid1(VALU_DEP_1)
	v_and_b32_e32 v106, 0x7f, v50
	v_cmpx_ne_u32_e32 0x7f, v106
	s_cbranch_execz .LBB178_304
; %bb.301:                              ;   in Loop: Header=BB178_10 Depth=1
	v_and_b32_e32 v50, 7, v50
	v_lshrrev_b32_e32 v104, 3, v106
	s_mov_b32 s30, exec_lo
	v_cmpx_gt_u32_e32 8, v106
; %bb.302:                              ;   in Loop: Header=BB178_10 Depth=1
	s_delay_alu instid0(VALU_DEP_3) | instskip(NEXT) | instid1(VALU_DEP_1)
	v_clz_i32_u32_e32 v104, v50
	v_min_u32_e32 v104, 32, v104
	s_delay_alu instid0(VALU_DEP_1) | instskip(NEXT) | instid1(VALU_DEP_1)
	v_subrev_nc_u32_e32 v106, 28, v104
	v_lshlrev_b64_e32 v[106:107], v106, v[50:51]
	s_delay_alu instid0(VALU_DEP_1)
	v_dual_sub_nc_u32 v104, 29, v104 :: v_dual_bitop2_b32 v50, 7, v106 bitop3:0x40
; %bb.303:                              ;   in Loop: Header=BB178_10 Depth=1
	s_or_b32 exec_lo, exec_lo, s30
	s_delay_alu instid0(VALU_DEP_1) | instskip(NEXT) | instid1(VALU_DEP_2)
	v_dual_lshlrev_b32 v105, 24, v105 :: v_dual_lshlrev_b32 v50, 20, v50
	v_lshl_add_u32 v104, v104, 23, 0x3c000000
	s_delay_alu instid0(VALU_DEP_2) | instskip(NEXT) | instid1(VALU_DEP_1)
	v_and_b32_e32 v105, 0x80000000, v105
	v_or3_b32 v104, v50, v105, v104
.LBB178_304:                            ;   in Loop: Header=BB178_10 Depth=1
	s_or_b32 exec_lo, exec_lo, s29
.LBB178_305:                            ;   in Loop: Header=BB178_10 Depth=1
	s_delay_alu instid0(SALU_CYCLE_1)
	s_or_b32 exec_lo, exec_lo, s28
.LBB178_306:                            ;   in Loop: Header=BB178_10 Depth=1
	s_delay_alu instid0(SALU_CYCLE_1)
	s_or_b32 exec_lo, exec_lo, s27
	global_load_u8 v105, v[56:57], off offset:1156
	s_mov_b32 s27, exec_lo
	s_wait_loadcnt 0x0
	v_cmpx_ne_u16_e32 0, v105
	s_cbranch_execz .LBB178_314
; %bb.307:                              ;   in Loop: Header=BB178_10 Depth=1
	v_bfrev_b32_e32 v103, 1
	s_mov_b32 s28, exec_lo
	v_cmpx_ne_u16_e32 0x80, v105
	s_cbranch_execz .LBB178_313
; %bb.308:                              ;   in Loop: Header=BB178_10 Depth=1
	v_and_b32_e32 v50, 0xffff, v105
	v_mov_b32_e32 v103, 0x7f800001
	s_mov_b32 s29, exec_lo
	s_delay_alu instid0(VALU_DEP_2) | instskip(NEXT) | instid1(VALU_DEP_1)
	v_and_b32_e32 v106, 0x7f, v50
	v_cmpx_ne_u32_e32 0x7f, v106
	s_cbranch_execz .LBB178_312
; %bb.309:                              ;   in Loop: Header=BB178_10 Depth=1
	v_and_b32_e32 v50, 7, v50
	v_lshrrev_b32_e32 v103, 3, v106
	s_mov_b32 s30, exec_lo
	v_cmpx_gt_u32_e32 8, v106
; %bb.310:                              ;   in Loop: Header=BB178_10 Depth=1
	s_delay_alu instid0(VALU_DEP_3) | instskip(NEXT) | instid1(VALU_DEP_1)
	v_clz_i32_u32_e32 v103, v50
	v_min_u32_e32 v103, 32, v103
	s_delay_alu instid0(VALU_DEP_1) | instskip(NEXT) | instid1(VALU_DEP_1)
	v_subrev_nc_u32_e32 v106, 28, v103
	v_lshlrev_b64_e32 v[106:107], v106, v[50:51]
	s_delay_alu instid0(VALU_DEP_1)
	v_dual_sub_nc_u32 v103, 29, v103 :: v_dual_bitop2_b32 v50, 7, v106 bitop3:0x40
; %bb.311:                              ;   in Loop: Header=BB178_10 Depth=1
	s_or_b32 exec_lo, exec_lo, s30
	s_delay_alu instid0(VALU_DEP_1) | instskip(NEXT) | instid1(VALU_DEP_2)
	v_dual_lshlrev_b32 v105, 24, v105 :: v_dual_lshlrev_b32 v50, 20, v50
	v_lshl_add_u32 v103, v103, 23, 0x3c000000
	s_delay_alu instid0(VALU_DEP_2) | instskip(NEXT) | instid1(VALU_DEP_1)
	v_and_b32_e32 v105, 0x80000000, v105
	v_or3_b32 v103, v50, v105, v103
.LBB178_312:                            ;   in Loop: Header=BB178_10 Depth=1
	s_or_b32 exec_lo, exec_lo, s29
.LBB178_313:                            ;   in Loop: Header=BB178_10 Depth=1
	s_delay_alu instid0(SALU_CYCLE_1)
	s_or_b32 exec_lo, exec_lo, s28
.LBB178_314:                            ;   in Loop: Header=BB178_10 Depth=1
	s_delay_alu instid0(SALU_CYCLE_1)
	s_or_b32 exec_lo, exec_lo, s27
	global_load_u8 v107, v[56:57], off offset:1160
	v_dual_mov_b32 v105, 0 :: v_dual_mov_b32 v106, 0
	s_mov_b32 s27, exec_lo
	s_wait_loadcnt 0x0
	v_cmpx_ne_u16_e32 0, v107
	s_cbranch_execz .LBB178_322
; %bb.315:                              ;   in Loop: Header=BB178_10 Depth=1
	v_bfrev_b32_e32 v106, 1
	s_mov_b32 s28, exec_lo
	v_cmpx_ne_u16_e32 0x80, v107
	s_cbranch_execz .LBB178_321
; %bb.316:                              ;   in Loop: Header=BB178_10 Depth=1
	v_and_b32_e32 v50, 0xffff, v107
	v_mov_b32_e32 v106, 0x7f800001
	s_mov_b32 s29, exec_lo
	s_delay_alu instid0(VALU_DEP_2) | instskip(NEXT) | instid1(VALU_DEP_1)
	v_and_b32_e32 v108, 0x7f, v50
	v_cmpx_ne_u32_e32 0x7f, v108
	s_cbranch_execz .LBB178_320
; %bb.317:                              ;   in Loop: Header=BB178_10 Depth=1
	v_dual_lshrrev_b32 v106, 3, v108 :: v_dual_bitop2_b32 v50, 7, v50 bitop3:0x40
	s_mov_b32 s30, exec_lo
	v_cmpx_gt_u32_e32 8, v108
; %bb.318:                              ;   in Loop: Header=BB178_10 Depth=1
	s_delay_alu instid0(VALU_DEP_2) | instskip(NEXT) | instid1(VALU_DEP_1)
	v_clz_i32_u32_e32 v106, v50
	v_min_u32_e32 v106, 32, v106
	s_delay_alu instid0(VALU_DEP_1) | instskip(NEXT) | instid1(VALU_DEP_1)
	v_subrev_nc_u32_e32 v108, 28, v106
	v_lshlrev_b64_e32 v[108:109], v108, v[50:51]
	s_delay_alu instid0(VALU_DEP_1)
	v_dual_sub_nc_u32 v106, 29, v106 :: v_dual_bitop2_b32 v50, 7, v108 bitop3:0x40
; %bb.319:                              ;   in Loop: Header=BB178_10 Depth=1
	s_or_b32 exec_lo, exec_lo, s30
	s_delay_alu instid0(VALU_DEP_1) | instskip(NEXT) | instid1(VALU_DEP_2)
	v_dual_lshlrev_b32 v107, 24, v107 :: v_dual_lshlrev_b32 v50, 20, v50
	v_lshl_add_u32 v106, v106, 23, 0x3c000000
	s_delay_alu instid0(VALU_DEP_2) | instskip(NEXT) | instid1(VALU_DEP_1)
	v_and_b32_e32 v107, 0x80000000, v107
	v_or3_b32 v106, v50, v107, v106
.LBB178_320:                            ;   in Loop: Header=BB178_10 Depth=1
	s_or_b32 exec_lo, exec_lo, s29
.LBB178_321:                            ;   in Loop: Header=BB178_10 Depth=1
	s_delay_alu instid0(SALU_CYCLE_1)
	s_or_b32 exec_lo, exec_lo, s28
.LBB178_322:                            ;   in Loop: Header=BB178_10 Depth=1
	s_delay_alu instid0(SALU_CYCLE_1)
	s_or_b32 exec_lo, exec_lo, s27
	global_load_u8 v107, v[56:57], off offset:1164
	s_mov_b32 s27, exec_lo
	s_wait_loadcnt 0x0
	v_cmpx_ne_u16_e32 0, v107
	s_cbranch_execz .LBB178_330
; %bb.323:                              ;   in Loop: Header=BB178_10 Depth=1
	v_bfrev_b32_e32 v105, 1
	s_mov_b32 s28, exec_lo
	v_cmpx_ne_u16_e32 0x80, v107
	s_cbranch_execz .LBB178_329
; %bb.324:                              ;   in Loop: Header=BB178_10 Depth=1
	v_and_b32_e32 v50, 0xffff, v107
	v_mov_b32_e32 v105, 0x7f800001
	s_mov_b32 s29, exec_lo
	s_delay_alu instid0(VALU_DEP_2) | instskip(NEXT) | instid1(VALU_DEP_1)
	v_and_b32_e32 v108, 0x7f, v50
	v_cmpx_ne_u32_e32 0x7f, v108
	s_cbranch_execz .LBB178_328
; %bb.325:                              ;   in Loop: Header=BB178_10 Depth=1
	v_dual_lshrrev_b32 v105, 3, v108 :: v_dual_bitop2_b32 v50, 7, v50 bitop3:0x40
	s_mov_b32 s30, exec_lo
	v_cmpx_gt_u32_e32 8, v108
; %bb.326:                              ;   in Loop: Header=BB178_10 Depth=1
	s_delay_alu instid0(VALU_DEP_2) | instskip(NEXT) | instid1(VALU_DEP_1)
	v_clz_i32_u32_e32 v105, v50
	v_min_u32_e32 v105, 32, v105
	s_delay_alu instid0(VALU_DEP_1) | instskip(NEXT) | instid1(VALU_DEP_1)
	v_subrev_nc_u32_e32 v108, 28, v105
	v_lshlrev_b64_e32 v[108:109], v108, v[50:51]
	s_delay_alu instid0(VALU_DEP_1)
	v_dual_sub_nc_u32 v105, 29, v105 :: v_dual_bitop2_b32 v50, 7, v108 bitop3:0x40
; %bb.327:                              ;   in Loop: Header=BB178_10 Depth=1
	s_or_b32 exec_lo, exec_lo, s30
	s_delay_alu instid0(VALU_DEP_1) | instskip(NEXT) | instid1(VALU_DEP_2)
	v_dual_lshlrev_b32 v107, 24, v107 :: v_dual_lshlrev_b32 v50, 20, v50
	v_lshl_add_u32 v105, v105, 23, 0x3c000000
	s_delay_alu instid0(VALU_DEP_2) | instskip(NEXT) | instid1(VALU_DEP_1)
	v_and_b32_e32 v107, 0x80000000, v107
	v_or3_b32 v105, v50, v107, v105
.LBB178_328:                            ;   in Loop: Header=BB178_10 Depth=1
	s_or_b32 exec_lo, exec_lo, s29
.LBB178_329:                            ;   in Loop: Header=BB178_10 Depth=1
	s_delay_alu instid0(SALU_CYCLE_1)
	s_or_b32 exec_lo, exec_lo, s28
.LBB178_330:                            ;   in Loop: Header=BB178_10 Depth=1
	s_delay_alu instid0(SALU_CYCLE_1)
	s_or_b32 exec_lo, exec_lo, s27
	global_load_u8 v109, v[56:57], off offset:1280
	v_dual_mov_b32 v107, 0 :: v_dual_mov_b32 v108, 0
	s_mov_b32 s27, exec_lo
	s_wait_loadcnt 0x0
	v_cmpx_ne_u16_e32 0, v109
	s_cbranch_execz .LBB178_338
; %bb.331:                              ;   in Loop: Header=BB178_10 Depth=1
	v_bfrev_b32_e32 v108, 1
	s_mov_b32 s28, exec_lo
	v_cmpx_ne_u16_e32 0x80, v109
	s_cbranch_execz .LBB178_337
; %bb.332:                              ;   in Loop: Header=BB178_10 Depth=1
	v_and_b32_e32 v50, 0xffff, v109
	v_mov_b32_e32 v108, 0x7f800001
	s_mov_b32 s29, exec_lo
	s_delay_alu instid0(VALU_DEP_2) | instskip(NEXT) | instid1(VALU_DEP_1)
	v_and_b32_e32 v110, 0x7f, v50
	v_cmpx_ne_u32_e32 0x7f, v110
	s_cbranch_execz .LBB178_336
; %bb.333:                              ;   in Loop: Header=BB178_10 Depth=1
	v_and_b32_e32 v50, 7, v50
	v_lshrrev_b32_e32 v108, 3, v110
	s_mov_b32 s30, exec_lo
	v_cmpx_gt_u32_e32 8, v110
; %bb.334:                              ;   in Loop: Header=BB178_10 Depth=1
	s_delay_alu instid0(VALU_DEP_3) | instskip(NEXT) | instid1(VALU_DEP_1)
	v_clz_i32_u32_e32 v108, v50
	v_min_u32_e32 v108, 32, v108
	s_delay_alu instid0(VALU_DEP_1) | instskip(NEXT) | instid1(VALU_DEP_1)
	v_subrev_nc_u32_e32 v110, 28, v108
	v_lshlrev_b64_e32 v[110:111], v110, v[50:51]
	s_delay_alu instid0(VALU_DEP_1)
	v_dual_sub_nc_u32 v108, 29, v108 :: v_dual_bitop2_b32 v50, 7, v110 bitop3:0x40
; %bb.335:                              ;   in Loop: Header=BB178_10 Depth=1
	s_or_b32 exec_lo, exec_lo, s30
	s_delay_alu instid0(VALU_DEP_1) | instskip(NEXT) | instid1(VALU_DEP_2)
	v_dual_lshlrev_b32 v109, 24, v109 :: v_dual_lshlrev_b32 v50, 20, v50
	v_lshl_add_u32 v108, v108, 23, 0x3c000000
	s_delay_alu instid0(VALU_DEP_2) | instskip(NEXT) | instid1(VALU_DEP_1)
	v_and_b32_e32 v109, 0x80000000, v109
	v_or3_b32 v108, v50, v109, v108
.LBB178_336:                            ;   in Loop: Header=BB178_10 Depth=1
	s_or_b32 exec_lo, exec_lo, s29
.LBB178_337:                            ;   in Loop: Header=BB178_10 Depth=1
	s_delay_alu instid0(SALU_CYCLE_1)
	s_or_b32 exec_lo, exec_lo, s28
.LBB178_338:                            ;   in Loop: Header=BB178_10 Depth=1
	s_delay_alu instid0(SALU_CYCLE_1)
	s_or_b32 exec_lo, exec_lo, s27
	global_load_u8 v109, v[56:57], off offset:1284
	s_mov_b32 s27, exec_lo
	s_wait_loadcnt 0x0
	v_cmpx_ne_u16_e32 0, v109
	s_cbranch_execz .LBB178_346
; %bb.339:                              ;   in Loop: Header=BB178_10 Depth=1
	v_bfrev_b32_e32 v107, 1
	s_mov_b32 s28, exec_lo
	v_cmpx_ne_u16_e32 0x80, v109
	s_cbranch_execz .LBB178_345
; %bb.340:                              ;   in Loop: Header=BB178_10 Depth=1
	v_and_b32_e32 v50, 0xffff, v109
	v_mov_b32_e32 v107, 0x7f800001
	s_mov_b32 s29, exec_lo
	s_delay_alu instid0(VALU_DEP_2) | instskip(NEXT) | instid1(VALU_DEP_1)
	v_and_b32_e32 v110, 0x7f, v50
	v_cmpx_ne_u32_e32 0x7f, v110
	s_cbranch_execz .LBB178_344
; %bb.341:                              ;   in Loop: Header=BB178_10 Depth=1
	v_and_b32_e32 v50, 7, v50
	v_lshrrev_b32_e32 v107, 3, v110
	s_mov_b32 s30, exec_lo
	v_cmpx_gt_u32_e32 8, v110
; %bb.342:                              ;   in Loop: Header=BB178_10 Depth=1
	s_delay_alu instid0(VALU_DEP_3) | instskip(NEXT) | instid1(VALU_DEP_1)
	v_clz_i32_u32_e32 v107, v50
	v_min_u32_e32 v107, 32, v107
	s_delay_alu instid0(VALU_DEP_1) | instskip(NEXT) | instid1(VALU_DEP_1)
	v_subrev_nc_u32_e32 v110, 28, v107
	v_lshlrev_b64_e32 v[110:111], v110, v[50:51]
	s_delay_alu instid0(VALU_DEP_1)
	v_dual_sub_nc_u32 v107, 29, v107 :: v_dual_bitop2_b32 v50, 7, v110 bitop3:0x40
; %bb.343:                              ;   in Loop: Header=BB178_10 Depth=1
	s_or_b32 exec_lo, exec_lo, s30
	s_delay_alu instid0(VALU_DEP_1) | instskip(NEXT) | instid1(VALU_DEP_2)
	v_dual_lshlrev_b32 v109, 24, v109 :: v_dual_lshlrev_b32 v50, 20, v50
	v_lshl_add_u32 v107, v107, 23, 0x3c000000
	s_delay_alu instid0(VALU_DEP_2) | instskip(NEXT) | instid1(VALU_DEP_1)
	v_and_b32_e32 v109, 0x80000000, v109
	v_or3_b32 v107, v50, v109, v107
.LBB178_344:                            ;   in Loop: Header=BB178_10 Depth=1
	s_or_b32 exec_lo, exec_lo, s29
.LBB178_345:                            ;   in Loop: Header=BB178_10 Depth=1
	s_delay_alu instid0(SALU_CYCLE_1)
	s_or_b32 exec_lo, exec_lo, s28
.LBB178_346:                            ;   in Loop: Header=BB178_10 Depth=1
	s_delay_alu instid0(SALU_CYCLE_1)
	s_or_b32 exec_lo, exec_lo, s27
	global_load_u8 v111, v[56:57], off offset:1288
	v_dual_mov_b32 v109, 0 :: v_dual_mov_b32 v110, 0
	s_mov_b32 s27, exec_lo
	s_wait_loadcnt 0x0
	v_cmpx_ne_u16_e32 0, v111
	s_cbranch_execz .LBB178_354
; %bb.347:                              ;   in Loop: Header=BB178_10 Depth=1
	v_bfrev_b32_e32 v110, 1
	s_mov_b32 s28, exec_lo
	v_cmpx_ne_u16_e32 0x80, v111
	s_cbranch_execz .LBB178_353
; %bb.348:                              ;   in Loop: Header=BB178_10 Depth=1
	v_and_b32_e32 v50, 0xffff, v111
	v_mov_b32_e32 v110, 0x7f800001
	s_mov_b32 s29, exec_lo
	s_delay_alu instid0(VALU_DEP_2) | instskip(NEXT) | instid1(VALU_DEP_1)
	v_and_b32_e32 v112, 0x7f, v50
	v_cmpx_ne_u32_e32 0x7f, v112
	s_cbranch_execz .LBB178_352
; %bb.349:                              ;   in Loop: Header=BB178_10 Depth=1
	v_dual_lshrrev_b32 v110, 3, v112 :: v_dual_bitop2_b32 v50, 7, v50 bitop3:0x40
	s_mov_b32 s30, exec_lo
	v_cmpx_gt_u32_e32 8, v112
; %bb.350:                              ;   in Loop: Header=BB178_10 Depth=1
	s_delay_alu instid0(VALU_DEP_2) | instskip(NEXT) | instid1(VALU_DEP_1)
	v_clz_i32_u32_e32 v110, v50
	v_min_u32_e32 v110, 32, v110
	s_delay_alu instid0(VALU_DEP_1) | instskip(NEXT) | instid1(VALU_DEP_1)
	v_subrev_nc_u32_e32 v112, 28, v110
	v_lshlrev_b64_e32 v[112:113], v112, v[50:51]
	s_delay_alu instid0(VALU_DEP_1)
	v_dual_sub_nc_u32 v110, 29, v110 :: v_dual_bitop2_b32 v50, 7, v112 bitop3:0x40
; %bb.351:                              ;   in Loop: Header=BB178_10 Depth=1
	s_or_b32 exec_lo, exec_lo, s30
	s_delay_alu instid0(VALU_DEP_1) | instskip(NEXT) | instid1(VALU_DEP_2)
	v_dual_lshlrev_b32 v111, 24, v111 :: v_dual_lshlrev_b32 v50, 20, v50
	v_lshl_add_u32 v110, v110, 23, 0x3c000000
	s_delay_alu instid0(VALU_DEP_2) | instskip(NEXT) | instid1(VALU_DEP_1)
	v_and_b32_e32 v111, 0x80000000, v111
	v_or3_b32 v110, v50, v111, v110
.LBB178_352:                            ;   in Loop: Header=BB178_10 Depth=1
	s_or_b32 exec_lo, exec_lo, s29
.LBB178_353:                            ;   in Loop: Header=BB178_10 Depth=1
	s_delay_alu instid0(SALU_CYCLE_1)
	s_or_b32 exec_lo, exec_lo, s28
.LBB178_354:                            ;   in Loop: Header=BB178_10 Depth=1
	s_delay_alu instid0(SALU_CYCLE_1)
	s_or_b32 exec_lo, exec_lo, s27
	global_load_u8 v111, v[56:57], off offset:1292
	s_mov_b32 s27, exec_lo
	s_wait_loadcnt 0x0
	v_cmpx_ne_u16_e32 0, v111
	s_cbranch_execz .LBB178_362
; %bb.355:                              ;   in Loop: Header=BB178_10 Depth=1
	v_bfrev_b32_e32 v109, 1
	s_mov_b32 s28, exec_lo
	v_cmpx_ne_u16_e32 0x80, v111
	s_cbranch_execz .LBB178_361
; %bb.356:                              ;   in Loop: Header=BB178_10 Depth=1
	v_and_b32_e32 v50, 0xffff, v111
	v_mov_b32_e32 v109, 0x7f800001
	s_mov_b32 s29, exec_lo
	s_delay_alu instid0(VALU_DEP_2) | instskip(NEXT) | instid1(VALU_DEP_1)
	v_and_b32_e32 v112, 0x7f, v50
	v_cmpx_ne_u32_e32 0x7f, v112
	s_cbranch_execz .LBB178_360
; %bb.357:                              ;   in Loop: Header=BB178_10 Depth=1
	v_dual_lshrrev_b32 v109, 3, v112 :: v_dual_bitop2_b32 v50, 7, v50 bitop3:0x40
	s_mov_b32 s30, exec_lo
	v_cmpx_gt_u32_e32 8, v112
; %bb.358:                              ;   in Loop: Header=BB178_10 Depth=1
	s_delay_alu instid0(VALU_DEP_2) | instskip(NEXT) | instid1(VALU_DEP_1)
	v_clz_i32_u32_e32 v109, v50
	v_min_u32_e32 v109, 32, v109
	s_delay_alu instid0(VALU_DEP_1) | instskip(NEXT) | instid1(VALU_DEP_1)
	v_subrev_nc_u32_e32 v112, 28, v109
	v_lshlrev_b64_e32 v[112:113], v112, v[50:51]
	s_delay_alu instid0(VALU_DEP_1)
	v_dual_sub_nc_u32 v109, 29, v109 :: v_dual_bitop2_b32 v50, 7, v112 bitop3:0x40
; %bb.359:                              ;   in Loop: Header=BB178_10 Depth=1
	s_or_b32 exec_lo, exec_lo, s30
	s_delay_alu instid0(VALU_DEP_1) | instskip(NEXT) | instid1(VALU_DEP_2)
	v_dual_lshlrev_b32 v111, 24, v111 :: v_dual_lshlrev_b32 v50, 20, v50
	v_lshl_add_u32 v109, v109, 23, 0x3c000000
	s_delay_alu instid0(VALU_DEP_2) | instskip(NEXT) | instid1(VALU_DEP_1)
	v_and_b32_e32 v111, 0x80000000, v111
	v_or3_b32 v109, v50, v111, v109
.LBB178_360:                            ;   in Loop: Header=BB178_10 Depth=1
	s_or_b32 exec_lo, exec_lo, s29
.LBB178_361:                            ;   in Loop: Header=BB178_10 Depth=1
	s_delay_alu instid0(SALU_CYCLE_1)
	s_or_b32 exec_lo, exec_lo, s28
.LBB178_362:                            ;   in Loop: Header=BB178_10 Depth=1
	s_delay_alu instid0(SALU_CYCLE_1)
	s_or_b32 exec_lo, exec_lo, s27
	global_load_u8 v113, v[56:57], off offset:1408
	v_dual_mov_b32 v111, 0 :: v_dual_mov_b32 v112, 0
	s_mov_b32 s27, exec_lo
	s_wait_loadcnt 0x0
	v_cmpx_ne_u16_e32 0, v113
	s_cbranch_execz .LBB178_370
; %bb.363:                              ;   in Loop: Header=BB178_10 Depth=1
	v_bfrev_b32_e32 v112, 1
	s_mov_b32 s28, exec_lo
	v_cmpx_ne_u16_e32 0x80, v113
	s_cbranch_execz .LBB178_369
; %bb.364:                              ;   in Loop: Header=BB178_10 Depth=1
	v_and_b32_e32 v50, 0xffff, v113
	v_mov_b32_e32 v112, 0x7f800001
	s_mov_b32 s29, exec_lo
	s_delay_alu instid0(VALU_DEP_2) | instskip(NEXT) | instid1(VALU_DEP_1)
	v_and_b32_e32 v114, 0x7f, v50
	v_cmpx_ne_u32_e32 0x7f, v114
	s_cbranch_execz .LBB178_368
; %bb.365:                              ;   in Loop: Header=BB178_10 Depth=1
	v_and_b32_e32 v50, 7, v50
	v_lshrrev_b32_e32 v112, 3, v114
	s_mov_b32 s30, exec_lo
	v_cmpx_gt_u32_e32 8, v114
; %bb.366:                              ;   in Loop: Header=BB178_10 Depth=1
	s_delay_alu instid0(VALU_DEP_3) | instskip(NEXT) | instid1(VALU_DEP_1)
	v_clz_i32_u32_e32 v112, v50
	v_min_u32_e32 v112, 32, v112
	s_delay_alu instid0(VALU_DEP_1) | instskip(NEXT) | instid1(VALU_DEP_1)
	v_subrev_nc_u32_e32 v114, 28, v112
	v_lshlrev_b64_e32 v[114:115], v114, v[50:51]
	s_delay_alu instid0(VALU_DEP_1)
	v_dual_sub_nc_u32 v112, 29, v112 :: v_dual_bitop2_b32 v50, 7, v114 bitop3:0x40
; %bb.367:                              ;   in Loop: Header=BB178_10 Depth=1
	s_or_b32 exec_lo, exec_lo, s30
	s_delay_alu instid0(VALU_DEP_1) | instskip(NEXT) | instid1(VALU_DEP_2)
	v_dual_lshlrev_b32 v113, 24, v113 :: v_dual_lshlrev_b32 v50, 20, v50
	v_lshl_add_u32 v112, v112, 23, 0x3c000000
	s_delay_alu instid0(VALU_DEP_2) | instskip(NEXT) | instid1(VALU_DEP_1)
	v_and_b32_e32 v113, 0x80000000, v113
	v_or3_b32 v112, v50, v113, v112
.LBB178_368:                            ;   in Loop: Header=BB178_10 Depth=1
	s_or_b32 exec_lo, exec_lo, s29
.LBB178_369:                            ;   in Loop: Header=BB178_10 Depth=1
	s_delay_alu instid0(SALU_CYCLE_1)
	s_or_b32 exec_lo, exec_lo, s28
.LBB178_370:                            ;   in Loop: Header=BB178_10 Depth=1
	s_delay_alu instid0(SALU_CYCLE_1)
	s_or_b32 exec_lo, exec_lo, s27
	global_load_u8 v113, v[56:57], off offset:1412
	s_mov_b32 s27, exec_lo
	s_wait_loadcnt 0x0
	v_cmpx_ne_u16_e32 0, v113
	s_cbranch_execz .LBB178_378
; %bb.371:                              ;   in Loop: Header=BB178_10 Depth=1
	v_bfrev_b32_e32 v111, 1
	s_mov_b32 s28, exec_lo
	v_cmpx_ne_u16_e32 0x80, v113
	s_cbranch_execz .LBB178_377
; %bb.372:                              ;   in Loop: Header=BB178_10 Depth=1
	v_and_b32_e32 v50, 0xffff, v113
	v_mov_b32_e32 v111, 0x7f800001
	s_mov_b32 s29, exec_lo
	s_delay_alu instid0(VALU_DEP_2) | instskip(NEXT) | instid1(VALU_DEP_1)
	v_and_b32_e32 v114, 0x7f, v50
	v_cmpx_ne_u32_e32 0x7f, v114
	s_cbranch_execz .LBB178_376
; %bb.373:                              ;   in Loop: Header=BB178_10 Depth=1
	v_and_b32_e32 v50, 7, v50
	v_lshrrev_b32_e32 v111, 3, v114
	s_mov_b32 s30, exec_lo
	v_cmpx_gt_u32_e32 8, v114
; %bb.374:                              ;   in Loop: Header=BB178_10 Depth=1
	s_delay_alu instid0(VALU_DEP_3) | instskip(NEXT) | instid1(VALU_DEP_1)
	v_clz_i32_u32_e32 v111, v50
	v_min_u32_e32 v111, 32, v111
	s_delay_alu instid0(VALU_DEP_1) | instskip(NEXT) | instid1(VALU_DEP_1)
	v_subrev_nc_u32_e32 v114, 28, v111
	v_lshlrev_b64_e32 v[114:115], v114, v[50:51]
	s_delay_alu instid0(VALU_DEP_1)
	v_dual_sub_nc_u32 v111, 29, v111 :: v_dual_bitop2_b32 v50, 7, v114 bitop3:0x40
; %bb.375:                              ;   in Loop: Header=BB178_10 Depth=1
	s_or_b32 exec_lo, exec_lo, s30
	s_delay_alu instid0(VALU_DEP_1) | instskip(NEXT) | instid1(VALU_DEP_2)
	v_dual_lshlrev_b32 v113, 24, v113 :: v_dual_lshlrev_b32 v50, 20, v50
	v_lshl_add_u32 v111, v111, 23, 0x3c000000
	s_delay_alu instid0(VALU_DEP_2) | instskip(NEXT) | instid1(VALU_DEP_1)
	v_and_b32_e32 v113, 0x80000000, v113
	v_or3_b32 v111, v50, v113, v111
.LBB178_376:                            ;   in Loop: Header=BB178_10 Depth=1
	s_or_b32 exec_lo, exec_lo, s29
.LBB178_377:                            ;   in Loop: Header=BB178_10 Depth=1
	s_delay_alu instid0(SALU_CYCLE_1)
	s_or_b32 exec_lo, exec_lo, s28
.LBB178_378:                            ;   in Loop: Header=BB178_10 Depth=1
	s_delay_alu instid0(SALU_CYCLE_1)
	s_or_b32 exec_lo, exec_lo, s27
	global_load_u8 v115, v[56:57], off offset:1416
	v_dual_mov_b32 v113, 0 :: v_dual_mov_b32 v114, 0
	s_mov_b32 s27, exec_lo
	s_wait_loadcnt 0x0
	v_cmpx_ne_u16_e32 0, v115
	s_cbranch_execz .LBB178_386
; %bb.379:                              ;   in Loop: Header=BB178_10 Depth=1
	v_bfrev_b32_e32 v114, 1
	s_mov_b32 s28, exec_lo
	v_cmpx_ne_u16_e32 0x80, v115
	s_cbranch_execz .LBB178_385
; %bb.380:                              ;   in Loop: Header=BB178_10 Depth=1
	v_and_b32_e32 v50, 0xffff, v115
	v_mov_b32_e32 v114, 0x7f800001
	s_mov_b32 s29, exec_lo
	s_delay_alu instid0(VALU_DEP_2) | instskip(NEXT) | instid1(VALU_DEP_1)
	v_and_b32_e32 v116, 0x7f, v50
	v_cmpx_ne_u32_e32 0x7f, v116
	s_cbranch_execz .LBB178_384
; %bb.381:                              ;   in Loop: Header=BB178_10 Depth=1
	v_dual_lshrrev_b32 v114, 3, v116 :: v_dual_bitop2_b32 v50, 7, v50 bitop3:0x40
	s_mov_b32 s30, exec_lo
	v_cmpx_gt_u32_e32 8, v116
; %bb.382:                              ;   in Loop: Header=BB178_10 Depth=1
	s_delay_alu instid0(VALU_DEP_2) | instskip(NEXT) | instid1(VALU_DEP_1)
	v_clz_i32_u32_e32 v114, v50
	v_min_u32_e32 v114, 32, v114
	s_delay_alu instid0(VALU_DEP_1) | instskip(NEXT) | instid1(VALU_DEP_1)
	v_subrev_nc_u32_e32 v116, 28, v114
	v_lshlrev_b64_e32 v[116:117], v116, v[50:51]
	s_delay_alu instid0(VALU_DEP_1)
	v_dual_sub_nc_u32 v114, 29, v114 :: v_dual_bitop2_b32 v50, 7, v116 bitop3:0x40
; %bb.383:                              ;   in Loop: Header=BB178_10 Depth=1
	s_or_b32 exec_lo, exec_lo, s30
	s_delay_alu instid0(VALU_DEP_1) | instskip(NEXT) | instid1(VALU_DEP_2)
	v_dual_lshlrev_b32 v115, 24, v115 :: v_dual_lshlrev_b32 v50, 20, v50
	v_lshl_add_u32 v114, v114, 23, 0x3c000000
	s_delay_alu instid0(VALU_DEP_2) | instskip(NEXT) | instid1(VALU_DEP_1)
	v_and_b32_e32 v115, 0x80000000, v115
	v_or3_b32 v114, v50, v115, v114
.LBB178_384:                            ;   in Loop: Header=BB178_10 Depth=1
	s_or_b32 exec_lo, exec_lo, s29
.LBB178_385:                            ;   in Loop: Header=BB178_10 Depth=1
	s_delay_alu instid0(SALU_CYCLE_1)
	s_or_b32 exec_lo, exec_lo, s28
.LBB178_386:                            ;   in Loop: Header=BB178_10 Depth=1
	s_delay_alu instid0(SALU_CYCLE_1)
	s_or_b32 exec_lo, exec_lo, s27
	global_load_u8 v56, v[56:57], off offset:1420
	s_mov_b32 s27, exec_lo
	s_wait_loadcnt 0x0
	v_cmpx_ne_u16_e32 0, v56
	s_cbranch_execz .LBB178_394
; %bb.387:                              ;   in Loop: Header=BB178_10 Depth=1
	v_bfrev_b32_e32 v113, 1
	s_mov_b32 s28, exec_lo
	v_cmpx_ne_u16_e32 0x80, v56
	s_cbranch_execz .LBB178_393
; %bb.388:                              ;   in Loop: Header=BB178_10 Depth=1
	v_and_b32_e32 v50, 0xffff, v56
	v_mov_b32_e32 v113, 0x7f800001
	s_mov_b32 s29, exec_lo
	s_delay_alu instid0(VALU_DEP_2) | instskip(NEXT) | instid1(VALU_DEP_1)
	v_and_b32_e32 v115, 0x7f, v50
	v_cmpx_ne_u32_e32 0x7f, v115
	s_cbranch_execz .LBB178_392
; %bb.389:                              ;   in Loop: Header=BB178_10 Depth=1
	v_dual_lshrrev_b32 v57, 3, v115 :: v_dual_bitop2_b32 v50, 7, v50 bitop3:0x40
	s_mov_b32 s30, exec_lo
	v_cmpx_gt_u32_e32 8, v115
; %bb.390:                              ;   in Loop: Header=BB178_10 Depth=1
	s_delay_alu instid0(VALU_DEP_2) | instskip(NEXT) | instid1(VALU_DEP_1)
	v_clz_i32_u32_e32 v57, v50
	v_min_u32_e32 v57, 32, v57
	s_delay_alu instid0(VALU_DEP_1) | instskip(NEXT) | instid1(VALU_DEP_1)
	v_subrev_nc_u32_e32 v113, 28, v57
	v_lshlrev_b64_e32 v[116:117], v113, v[50:51]
	s_delay_alu instid0(VALU_DEP_1)
	v_dual_sub_nc_u32 v57, 29, v57 :: v_dual_bitop2_b32 v50, 7, v116 bitop3:0x40
; %bb.391:                              ;   in Loop: Header=BB178_10 Depth=1
	s_or_b32 exec_lo, exec_lo, s30
	s_delay_alu instid0(VALU_DEP_1) | instskip(NEXT) | instid1(VALU_DEP_2)
	v_dual_lshlrev_b32 v56, 24, v56 :: v_dual_lshlrev_b32 v50, 20, v50
	v_lshl_add_u32 v57, v57, 23, 0x3c000000
	s_delay_alu instid0(VALU_DEP_2) | instskip(NEXT) | instid1(VALU_DEP_1)
	v_and_b32_e32 v56, 0x80000000, v56
	v_or3_b32 v113, v50, v56, v57
.LBB178_392:                            ;   in Loop: Header=BB178_10 Depth=1
	s_or_b32 exec_lo, exec_lo, s29
.LBB178_393:                            ;   in Loop: Header=BB178_10 Depth=1
	s_delay_alu instid0(SALU_CYCLE_1)
	s_or_b32 exec_lo, exec_lo, s28
.LBB178_394:                            ;   in Loop: Header=BB178_10 Depth=1
	s_delay_alu instid0(SALU_CYCLE_1) | instskip(SKIP_3) | instid1(VALU_DEP_1)
	s_or_b32 exec_lo, exec_lo, s27
	s_wait_kmcnt 0x0
	v_dual_mul_f32 v50, s5, v67 :: v_dual_mul_f32 v56, s5, v68
	s_wait_dscnt 0xb
	v_mul_f32_e32 v50, v3, v50
	s_delay_alu instid0(VALU_DEP_1) | instskip(SKIP_1) | instid1(VALU_DEP_2)
	v_dual_mul_f32 v57, s5, v70 :: v_dual_fmac_f32 v50, v2, v56
	v_mul_f32_e32 v56, s5, v69
	v_dual_fmac_f32 v50, v4, v57 :: v_dual_mul_f32 v57, s5, v72
	s_delay_alu instid0(VALU_DEP_1) | instskip(SKIP_1) | instid1(VALU_DEP_1)
	v_dual_fmac_f32 v50, v5, v56 :: v_dual_mul_f32 v56, s5, v71
	s_wait_dscnt 0xa
	v_dual_fmac_f32 v50, v6, v57 :: v_dual_mul_f32 v57, s5, v74
	s_delay_alu instid0(VALU_DEP_1) | instskip(NEXT) | instid1(VALU_DEP_1)
	v_dual_fmac_f32 v50, v7, v56 :: v_dual_mul_f32 v56, s5, v73
	v_dual_fmac_f32 v50, v8, v57 :: v_dual_mul_f32 v57, s5, v76
	s_delay_alu instid0(VALU_DEP_1) | instskip(SKIP_1) | instid1(VALU_DEP_1)
	v_dual_fmac_f32 v50, v9, v56 :: v_dual_mul_f32 v56, s5, v75
	s_wait_dscnt 0x9
	v_dual_fmac_f32 v50, v10, v57 :: v_dual_mul_f32 v57, s5, v78
	s_delay_alu instid0(VALU_DEP_1) | instskip(NEXT) | instid1(VALU_DEP_1)
	v_dual_fmac_f32 v50, v11, v56 :: v_dual_mul_f32 v56, s5, v77
	;; [unrolled: 7-line block ×11, first 2 shown]
	v_fmac_f32_e32 v50, v48, v57
	s_delay_alu instid0(VALU_DEP_1)
	v_fmac_f32_e32 v50, v49, v56
	ds_bpermute_b32 v56, v61, v50
	s_wait_dscnt 0x0
	v_add_f32_e32 v50, v50, v56
	ds_bpermute_b32 v56, v63, v50
	s_and_saveexec_b32 s27, vcc_lo
	s_cbranch_execz .LBB178_9
; %bb.395:                              ;   in Loop: Header=BB178_10 Depth=1
	s_wait_dscnt 0x0
	v_add_f32_e32 v50, v50, v56
	v_add_nc_u32_e32 v57, s26, v64
	v_cmp_gt_i32_e64 s4, s24, v64
	s_delay_alu instid0(VALU_DEP_2) | instskip(NEXT) | instid1(VALU_DEP_1)
	v_cvt_f32_i32_e32 v57, v57
	v_mul_f32_e32 v57, s18, v57
	s_delay_alu instid0(VALU_DEP_1) | instskip(NEXT) | instid1(VALU_DEP_1)
	v_dual_cndmask_b32 v56, 0, v57, s3 :: v_dual_max_num_f32 v57, v62, v62
	v_fmac_f32_e32 v56, s19, v50
	s_delay_alu instid0(VALU_DEP_1) | instskip(NEXT) | instid1(VALU_DEP_1)
	v_dual_max_num_f32 v50, v57, v56 :: v_dual_cndmask_b32 v56, 0, v56, s4
	v_cndmask_b32_e64 v62, v62, v50, s4
	ds_store_b32 v65, v56
	s_branch .LBB178_9
.LBB178_396:
	s_or_b32 exec_lo, exec_lo, s11
.LBB178_397:
	s_delay_alu instid0(SALU_CYCLE_1)
	s_or_b32 exec_lo, exec_lo, s13
	v_dual_max_num_f32 v5, v62, v62 :: v_dual_bitop2_b32 v2, 16, v59 bitop3:0x14
	s_wait_kmcnt 0x0
	s_clause 0x1
	s_load_b64 s[4:5], s[0:1], 0x0
	s_load_b64 s[18:19], s[0:1], 0x18
	v_and_b32_e32 v76, 31, v0
	v_xor_b32_e32 v4, 8, v59
	v_cmp_lt_i32_e32 vcc_lo, v2, v60
	v_cndmask_b32_e32 v2, v59, v2, vcc_lo
	s_delay_alu instid0(VALU_DEP_3) | instskip(NEXT) | instid1(VALU_DEP_2)
	v_cmp_lt_i32_e32 vcc_lo, v4, v60
	v_dual_lshlrev_b32 v2, 2, v2 :: v_dual_cndmask_b32 v4, v59, v4, vcc_lo
	ds_bpermute_b32 v3, v2, v62
	s_wait_dscnt 0x0
	v_dual_max_num_f32 v6, v3, v3 :: v_dual_lshlrev_b32 v3, 2, v4
	s_delay_alu instid0(VALU_DEP_1) | instskip(SKIP_4) | instid1(VALU_DEP_1)
	v_dual_max_num_f32 v4, v5, v6 :: v_dual_bitop2_b32 v6, 4, v59 bitop3:0x14
	ds_bpermute_b32 v5, v3, v4
	v_cmp_lt_i32_e32 vcc_lo, v6, v60
	v_cndmask_b32_e32 v6, v59, v6, vcc_lo
	s_wait_dscnt 0x0
	v_dual_max_num_f32 v5, v5, v5 :: v_dual_lshlrev_b32 v6, 2, v6
	s_delay_alu instid0(VALU_DEP_1)
	v_max_num_f32_e32 v5, v4, v5
	v_lshlrev_b32_e32 v4, 2, v1
	v_cmp_eq_u32_e32 vcc_lo, 0, v76
	ds_bpermute_b32 v7, v6, v5
	s_wait_xcnt 0x0
	s_and_saveexec_b32 s0, vcc_lo
	s_cbranch_execz .LBB178_399
; %bb.398:
	s_wait_dscnt 0x0
	v_dual_max_num_f32 v7, v7, v7 :: v_dual_max_num_f32 v5, v5, v5
	s_delay_alu instid0(VALU_DEP_1)
	v_max_num_f32_e32 v5, v5, v7
	ds_store_b32 v4, v5 offset:768
.LBB178_399:
	s_or_b32 exec_lo, exec_lo, s0
	v_cmp_gt_u32_e64 s0, 4, v76
	v_dual_mov_b32 v8, 0xff7fffff :: v_dual_lshlrev_b32 v5, 2, v76
	s_wait_dscnt 0x0
	s_barrier_signal -1
	s_barrier_wait -1
	s_and_saveexec_b32 s1, s0
; %bb.400:
	ds_load_b32 v8, v5 offset:768
; %bb.401:
	s_or_b32 exec_lo, exec_lo, s1
	v_xor_b32_e32 v7, 2, v59
	v_xor_b32_e32 v10, 1, v59
	s_delay_alu instid0(VALU_DEP_2) | instskip(NEXT) | instid1(VALU_DEP_1)
	v_cmp_lt_i32_e64 s1, v7, v60
	v_cndmask_b32_e64 v7, v59, v7, s1
	s_delay_alu instid0(VALU_DEP_3) | instskip(NEXT) | instid1(VALU_DEP_1)
	v_cmp_lt_i32_e64 s1, v10, v60
	v_dual_cndmask_b32 v10, v59, v10, s1 :: v_dual_lshlrev_b32 v7, 2, v7
	s_lshl_b32 s1, s8, 3
	s_delay_alu instid0(SALU_CYCLE_1) | instskip(NEXT) | instid1(VALU_DEP_1)
	s_min_i32 s11, s1, s24
	v_lshlrev_b32_e32 v77, 2, v10
	s_wait_dscnt 0x0
	ds_bpermute_b32 v9, v7, v8
	v_max_num_f32_e32 v8, v8, v8
	v_cmp_gt_i32_e64 s1, s11, v0
	s_wait_dscnt 0x0
	v_max_num_f32_e32 v9, v9, v9
	s_delay_alu instid0(VALU_DEP_1) | instskip(SKIP_3) | instid1(VALU_DEP_1)
	v_max_num_f32_e32 v8, v8, v9
	ds_bpermute_b32 v9, v77, v8
	s_wait_dscnt 0x0
	v_max_num_f32_e32 v9, v9, v9
	v_dual_max_num_f32 v8, v8, v9 :: v_dual_lshlrev_b32 v9, 2, v51
	ds_bpermute_b32 v9, v9, v8
	v_mov_b32_e32 v8, 0
	s_and_saveexec_b32 s13, s1
	s_cbranch_execz .LBB178_405
; %bb.402:
	v_lshl_add_u32 v10, v0, 2, 0x320
	v_dual_mov_b32 v8, 0 :: v_dual_mov_b32 v11, v0
	s_mov_b32 s25, 0
.LBB178_403:                            ; =>This Inner Loop Header: Depth=1
	ds_load_b32 v12, v10
	v_add_nc_u32_e32 v11, 0x80, v11
	s_delay_alu instid0(VALU_DEP_1) | instskip(SKIP_3) | instid1(VALU_DEP_1)
	v_cmp_le_i32_e64 s3, s11, v11
	s_or_b32 s25, s3, s25
	s_wait_dscnt 0x0
	v_sub_f32_e32 v12, v12, v9
	v_mul_f32_e32 v12, 0x3fb8aa3b, v12
	s_delay_alu instid0(VALU_DEP_1)
	v_exp_f32_e32 v12, v12
	ds_store_b32 v10, v12
	v_nop
	v_add_f32_e32 v8, v8, v12
	v_add_nc_u32_e32 v10, 0x200, v10
	s_and_not1_b32 exec_lo, exec_lo, s25
	s_cbranch_execnz .LBB178_403
; %bb.404:
	s_or_b32 exec_lo, exec_lo, s25
.LBB178_405:
	s_delay_alu instid0(SALU_CYCLE_1)
	s_or_b32 exec_lo, exec_lo, s13
	ds_bpermute_b32 v2, v2, v8
	s_wait_dscnt 0x0
	v_add_f32_e32 v2, v8, v2
	ds_bpermute_b32 v3, v3, v2
	s_wait_dscnt 0x0
	v_add_f32_e32 v2, v2, v3
	;; [unrolled: 3-line block ×5, first 2 shown]
	s_and_saveexec_b32 s3, vcc_lo
; %bb.406:
	ds_store_b32 v4, v2 offset:784
; %bb.407:
	s_or_b32 exec_lo, exec_lo, s3
	s_wait_dscnt 0x0
	s_barrier_signal -1
	s_barrier_wait -1
	s_and_saveexec_b32 s3, s0
; %bb.408:
	ds_load_b32 v2, v5 offset:784
; %bb.409:
	s_or_b32 exec_lo, exec_lo, s3
	s_wait_dscnt 0x0
	ds_bpermute_b32 v3, v7, v2
	v_lshlrev_b32_e32 v4, 2, v59
	s_wait_dscnt 0x0
	v_add_f32_e32 v2, v2, v3
	ds_bpermute_b32 v3, v77, v2
	s_wait_dscnt 0x0
	v_add_f32_e32 v2, v2, v3
	v_and_b32_e32 v3, 0xffffff80, v4
	ds_bpermute_b32 v2, v3, v2
	s_and_saveexec_b32 s0, s1
	s_cbranch_execz .LBB178_422
; %bb.410:
	s_wait_dscnt 0x0
	v_add_f32_e32 v2, 0x358637bd, v2
	s_mov_b32 s3, -1
	s_mov_b32 s1, exec_lo
	s_delay_alu instid0(VALU_DEP_1) | instskip(NEXT) | instid1(VALU_DEP_1)
	v_div_scale_f32 v3, null, v2, v2, 1.0
	v_rcp_f32_e32 v5, v3
	v_nop
	s_delay_alu instid0(TRANS32_DEP_1) | instskip(NEXT) | instid1(VALU_DEP_1)
	v_fma_f32 v4, -v3, v5, 1.0
	v_fmac_f32_e32 v5, v4, v5
	v_div_scale_f32 v6, vcc_lo, 1.0, v2, 1.0
	s_delay_alu instid0(VALU_DEP_1) | instskip(NEXT) | instid1(VALU_DEP_1)
	v_mul_f32_e32 v7, v6, v5
	v_fma_f32 v4, -v3, v7, v6
	s_delay_alu instid0(VALU_DEP_1) | instskip(SKIP_1) | instid1(VALU_DEP_2)
	v_fmac_f32_e32 v7, v4, v5
	v_xad_u32 v4, v0, -1, s11
	v_fma_f32 v3, -v3, v7, v6
	s_delay_alu instid0(VALU_DEP_1) | instskip(NEXT) | instid1(VALU_DEP_1)
	v_div_fmas_f32 v3, v3, v5, v7
	v_div_fixup_f32 v2, v3, v2, 1.0
	v_mov_b32_e32 v3, v0
	v_cmpx_lt_u32_e32 0x7f, v4
	s_cbranch_execz .LBB178_419
; %bb.411:
	s_delay_alu instid0(VALU_DEP_3) | instskip(NEXT) | instid1(VALU_DEP_1)
	v_dual_mov_b32 v3, v2 :: v_dual_lshrrev_b32 v4, 7, v4
	v_dual_mov_b32 v8, 0 :: v_dual_add_nc_u32 v5, -1, v4
	s_delay_alu instid0(VALU_DEP_1) | instskip(SKIP_1) | instid1(VALU_DEP_2)
	v_lshrrev_b32_e32 v6, 1, v5
	v_cmp_lt_u32_e32 vcc_lo, 13, v5
	v_add_nc_u32_e32 v5, 1, v6
	s_and_saveexec_b32 s3, vcc_lo
	s_cbranch_execz .LBB178_415
; %bb.412:
	s_delay_alu instid0(VALU_DEP_1)
	v_and_b32_e32 v6, -8, v5
	v_lshl_add_u32 v7, v0, 2, 0x320
	s_mov_b32 s13, 0
	s_mov_b32 s25, 0
.LBB178_413:                            ; =>This Inner Loop Header: Depth=1
	ds_load_2addr_stride64_b32 v[8:9], v7 offset1:2
	ds_load_2addr_stride64_b32 v[10:11], v7 offset0:4 offset1:6
	ds_load_2addr_stride64_b32 v[12:13], v7 offset0:8 offset1:10
	;; [unrolled: 1-line block ×7, first 2 shown]
	s_add_co_i32 s25, s25, 16
	v_add_nc_u32_e32 v6, -8, v6
	s_wait_dscnt 0x7
	v_pk_mul_f32 v[8:9], v[2:3], v[8:9]
	s_wait_dscnt 0x6
	v_pk_mul_f32 v[10:11], v[2:3], v[10:11]
	;; [unrolled: 2-line block ×8, first 2 shown]
	ds_store_2addr_stride64_b32 v7, v8, v9 offset1:2
	ds_store_2addr_stride64_b32 v7, v10, v11 offset0:4 offset1:6
	ds_store_2addr_stride64_b32 v7, v12, v13 offset0:8 offset1:10
	;; [unrolled: 1-line block ×7, first 2 shown]
	v_mov_b32_e32 v8, s25
	v_cmp_eq_u32_e32 vcc_lo, 0, v6
	v_add_nc_u32_e32 v7, 0x2000, v7
	s_or_b32 s13, vcc_lo, s13
	s_delay_alu instid0(SALU_CYCLE_1)
	s_and_not1_b32 exec_lo, exec_lo, s13
	s_cbranch_execnz .LBB178_413
; %bb.414:
	s_or_b32 exec_lo, exec_lo, s13
.LBB178_415:
	s_delay_alu instid0(SALU_CYCLE_1) | instskip(NEXT) | instid1(VALU_DEP_1)
	s_or_b32 exec_lo, exec_lo, s3
	v_and_b32_e32 v5, 7, v5
	s_mov_b32 s13, 0
	s_mov_b32 s3, exec_lo
	s_delay_alu instid0(VALU_DEP_1)
	v_cmpx_ne_u32_e32 0, v5
	s_cbranch_execz .LBB178_418
; %bb.416:
	v_lshlrev_b32_e32 v6, 9, v8
	v_lshlrev_b32_e32 v7, 2, v0
	s_delay_alu instid0(VALU_DEP_1)
	v_add3_u32 v6, v6, v7, 0x320
.LBB178_417:                            ; =>This Inner Loop Header: Depth=1
	ds_load_2addr_stride64_b32 v[8:9], v6 offset1:2
	v_add_nc_u32_e32 v5, -1, v5
	s_delay_alu instid0(VALU_DEP_1)
	v_cmp_eq_u32_e32 vcc_lo, 0, v5
	s_or_b32 s13, vcc_lo, s13
	s_wait_dscnt 0x0
	v_pk_mul_f32 v[8:9], v[2:3], v[8:9]
	ds_store_2addr_stride64_b32 v6, v8, v9 offset1:2
	v_add_nc_u32_e32 v6, 0x400, v6
	s_and_not1_b32 exec_lo, exec_lo, s13
	s_cbranch_execnz .LBB178_417
.LBB178_418:
	s_or_b32 exec_lo, exec_lo, s3
	v_add_nc_u32_e32 v3, 1, v4
	s_delay_alu instid0(VALU_DEP_1) | instskip(NEXT) | instid1(VALU_DEP_1)
	v_and_b32_e32 v4, 0x3fffffe, v3
	v_cmp_ne_u32_e32 vcc_lo, v3, v4
	v_lshl_add_u32 v3, v4, 7, v0
	s_or_not1_b32 s3, vcc_lo, exec_lo
.LBB178_419:
	s_or_b32 exec_lo, exec_lo, s1
	s_delay_alu instid0(SALU_CYCLE_1)
	s_and_b32 exec_lo, exec_lo, s3
	s_cbranch_execz .LBB178_422
; %bb.420:
	v_lshl_add_u32 v4, v3, 2, 0x320
	s_mov_b32 s1, 0
.LBB178_421:                            ; =>This Inner Loop Header: Depth=1
	ds_load_b32 v5, v4
	v_add_nc_u32_e32 v3, 0x80, v3
	s_delay_alu instid0(VALU_DEP_1)
	v_cmp_le_i32_e32 vcc_lo, s11, v3
	s_or_b32 s1, vcc_lo, s1
	s_wait_dscnt 0x0
	v_mul_f32_e32 v5, v2, v5
	ds_store_b32 v4, v5
	v_add_nc_u32_e32 v4, 0x200, v4
	s_and_not1_b32 exec_lo, exec_lo, s1
	s_cbranch_execnz .LBB178_421
.LBB178_422:
	s_or_b32 exec_lo, exec_lo, s0
	v_dual_mov_b32 v7, 0 :: v_dual_bitop2_b32 v78, 1, v0 bitop3:0x40
	s_wait_dscnt 0x0
	s_barrier_signal -1
	s_barrier_wait -1
	s_delay_alu instid0(VALU_DEP_1)
	v_dual_mov_b32 v6, v7 :: v_dual_mov_b32 v9, v7
	v_dual_mov_b32 v8, v7 :: v_dual_mov_b32 v11, v7
	;; [unrolled: 1-line block ×5, first 2 shown]
	v_mov_b32_e32 v16, v7
	s_and_saveexec_b32 s1, s2
	s_cbranch_execz .LBB178_834
; %bb.423:
	s_load_b32 s2, s[6:7], 0x0
	v_dual_mov_b32 v19, 0 :: v_dual_lshlrev_b32 v2, 2, v0
	s_ashr_i32 s11, s10, 31
	v_dual_lshlrev_b32 v3, 4, v78 :: v_dual_mov_b32 v7, 0
	s_delay_alu instid0(VALU_DEP_2)
	v_and_b32_e32 v18, 0x7c, v2
	s_wait_kmcnt 0x0
	s_add_nc_u64 s[10:11], s[18:19], s[10:11]
	s_lshl_b64 s[14:15], s[14:15], 2
	v_dual_mov_b32 v6, 0 :: v_dual_bitop2_b32 v2, 4, v2 bitop3:0x40
	v_add_nc_u64_e32 v[20:21], s[10:11], v[18:19]
	v_and_b32_e32 v18, 0x7c, v58
	v_lshl_or_b32 v3, v1, 5, v3
	s_add_nc_u64 s[10:11], s[16:17], s[14:15]
	v_mov_b32_e32 v9, 0
	v_lshl_or_b32 v79, v1, 3, v2
	v_add_nc_u64_e32 v[22:23], s[10:11], v[18:19]
	v_add_nc_u32_e32 v80, 0x320, v3
	v_dual_mov_b32 v8, 0 :: v_dual_mov_b32 v11, 0
	v_dual_mov_b32 v10, 0 :: v_dual_mov_b32 v13, 0
	;; [unrolled: 1-line block ×5, first 2 shown]
	s_mov_b32 s6, s9
	s_mov_b32 s3, s2
	s_add_co_i32 s7, s8, -1
	s_mov_b32 s10, s24
	s_mov_b32 s9, 0
	s_branch .LBB178_425
.LBB178_424:                            ;   in Loop: Header=BB178_425 Depth=1
	s_or_b32 exec_lo, exec_lo, s0
	s_wait_dscnt 0x0
	v_mul_f32_e32 v64, v2, v64
	v_mul_f32_e32 v18, v2, v68
	v_add_nc_u64_e32 v[22:23], 16, v[22:23]
	v_add_nc_u32_e32 v79, 32, v79
	v_add_nc_u32_e32 v80, 0x80, v80
	v_fmac_f32_e32 v64, v3, v65
	v_dual_fmac_f32 v18, v3, v69 :: v_dual_mul_f32 v60, v2, v60
	v_mul_f32_e32 v52, v2, v52
	s_delay_alu instid0(VALU_DEP_3) | instskip(NEXT) | instid1(VALU_DEP_3)
	v_dual_mul_f32 v36, v2, v36 :: v_dual_fmac_f32 v64, v4, v62
	v_dual_fmac_f32 v18, v4, v66 :: v_dual_mul_f32 v56, v2, v56
	s_delay_alu instid0(VALU_DEP_4) | instskip(NEXT) | instid1(VALU_DEP_2)
	v_dual_fmac_f32 v60, v3, v61 :: v_dual_mul_f32 v48, v2, v48
	v_dual_mul_f32 v44, v2, v44 :: v_dual_fmac_f32 v18, v5, v67
	v_fmac_f32_e32 v52, v3, v53
	s_delay_alu instid0(VALU_DEP_4) | instskip(NEXT) | instid1(VALU_DEP_4)
	v_fmac_f32_e32 v56, v3, v57
	v_fmac_f32_e32 v60, v4, v58
	s_delay_alu instid0(VALU_DEP_4) | instskip(SKIP_1) | instid1(VALU_DEP_3)
	v_dual_fmac_f32 v64, v5, v63 :: v_dual_add_f32 v6, v6, v18
	v_dual_fmac_f32 v48, v3, v49 :: v_dual_mul_f32 v18, v2, v40
	v_fmac_f32_e32 v60, v5, v59
	s_delay_alu instid0(VALU_DEP_3) | instskip(NEXT) | instid1(VALU_DEP_3)
	v_dual_add_f32 v9, v9, v64 :: v_dual_fmac_f32 v44, v3, v45
	v_dual_fmac_f32 v48, v4, v46 :: v_dual_fmac_f32 v18, v3, v41
	v_fmac_f32_e32 v52, v4, v50
	s_delay_alu instid0(VALU_DEP_4) | instskip(NEXT) | instid1(VALU_DEP_3)
	v_add_f32_e32 v8, v8, v60
	v_dual_mul_f32 v32, v2, v32 :: v_dual_fmac_f32 v48, v5, v47
	v_fmac_f32_e32 v44, v4, v42
	s_delay_alu instid0(VALU_DEP_4) | instskip(SKIP_1) | instid1(VALU_DEP_4)
	v_dual_fmac_f32 v52, v5, v51 :: v_dual_mul_f32 v26, v2, v26
	v_pk_mul_f32 v[40:41], v[2:3], v[70:71]
	v_add_f32_e32 v13, v13, v48
	s_delay_alu instid0(VALU_DEP_4) | instskip(SKIP_3) | instid1(VALU_DEP_3)
	v_dual_fmac_f32 v44, v5, v43 :: v_dual_fmac_f32 v18, v4, v38
	v_fmac_f32_e32 v36, v3, v37
	v_dual_fmac_f32 v32, v3, v33 :: v_dual_fmac_f32 v26, v3, v27
	v_pk_mul_f32 v[2:3], v[4:5], v[28:29]
	v_dual_add_f32 v27, v41, v40 :: v_dual_fmac_f32 v36, v4, v34
	v_dual_fmac_f32 v56, v4, v54 :: v_dual_add_f32 v10, v10, v52
	s_delay_alu instid0(VALU_DEP_2) | instskip(SKIP_1) | instid1(VALU_DEP_3)
	v_dual_fmac_f32 v26, v4, v24 :: v_dual_add_f32 v2, v2, v27
	v_dual_fmac_f32 v18, v5, v39 :: v_dual_fmac_f32 v32, v4, v30
	v_dual_fmac_f32 v56, v5, v55 :: v_dual_add_nc_u32 v81, 4, v81
	s_delay_alu instid0(VALU_DEP_3) | instskip(NEXT) | instid1(VALU_DEP_3)
	v_dual_add_f32 v12, v12, v44 :: v_dual_add_f32 v2, v3, v2
	v_dual_add_f32 v15, v15, v18 :: v_dual_fmac_f32 v36, v5, v35
	s_delay_alu instid0(VALU_DEP_4) | instskip(NEXT) | instid1(VALU_DEP_4)
	v_dual_fmac_f32 v32, v5, v31 :: v_dual_fmac_f32 v26, v5, v25
	v_cmp_le_i32_e32 vcc_lo, s8, v81
	v_add_f32_e32 v11, v11, v56
	s_delay_alu instid0(VALU_DEP_4) | instskip(NEXT) | instid1(VALU_DEP_4)
	v_add_f32_e32 v14, v14, v36
	v_dual_add_f32 v17, v17, v32 :: v_dual_add_f32 v7, v7, v2
	v_add_f32_e32 v16, v16, v26
	s_or_b32 s9, vcc_lo, s9
	s_delay_alu instid0(SALU_CYCLE_1)
	s_and_not1_b32 exec_lo, exec_lo, s9
	s_cbranch_execz .LBB178_833
.LBB178_425:                            ; =>This Inner Loop Header: Depth=1
	global_load_b32 v2, v[22:23], off
	v_mov_b64_e32 v[24:25], 0
	v_mov_b64_e32 v[26:27], 0
	s_mov_b32 s0, exec_lo
	s_wait_loadcnt 0x0
	v_mad_nc_i64_i32 v[28:29], v2, s6, v[20:21]
	ds_load_b128 v[2:5], v80
	global_load_b32 v34, v[28:29], off
	s_wait_loadcnt 0x0
	v_and_b32_e32 v18, 0xff, v34
	s_delay_alu instid0(VALU_DEP_1)
	v_cmpx_ne_u16_e32 0, v18
	s_cbranch_execz .LBB178_433
; %bb.426:                              ;   in Loop: Header=BB178_425 Depth=1
	v_mov_b64_e32 v[26:27], 0x80000000
	s_mov_b32 s11, exec_lo
	v_cmpx_ne_u16_e32 0x80, v18
	s_cbranch_execz .LBB178_432
; %bb.427:                              ;   in Loop: Header=BB178_425 Depth=1
	v_mov_b64_e32 v[26:27], 0x7f800001
	v_and_b32_e32 v30, 0x7f, v34
	s_mov_b32 s13, exec_lo
	s_delay_alu instid0(VALU_DEP_1)
	v_cmpx_ne_u32_e32 0x7f, v30
	s_cbranch_execz .LBB178_431
; %bb.428:                              ;   in Loop: Header=BB178_425 Depth=1
	v_and_b32_e32 v18, 7, v34
	v_lshrrev_b32_e32 v26, 3, v30
	s_mov_b32 s14, exec_lo
	v_cmpx_gt_u32_e32 8, v30
; %bb.429:                              ;   in Loop: Header=BB178_425 Depth=1
	s_delay_alu instid0(VALU_DEP_3) | instskip(NEXT) | instid1(VALU_DEP_1)
	v_clz_i32_u32_e32 v26, v18
	v_min_u32_e32 v26, 32, v26
	s_delay_alu instid0(VALU_DEP_1) | instskip(SKIP_1) | instid1(VALU_DEP_2)
	v_subrev_nc_u32_e32 v27, 28, v26
	v_sub_nc_u32_e32 v26, 29, v26
	v_lshlrev_b64_e32 v[30:31], v27, v[18:19]
	s_delay_alu instid0(VALU_DEP_1)
	v_and_b32_e32 v18, 7, v30
; %bb.430:                              ;   in Loop: Header=BB178_425 Depth=1
	s_or_b32 exec_lo, exec_lo, s14
	v_lshlrev_b32_e32 v27, 24, v34
	s_delay_alu instid0(VALU_DEP_2) | instskip(SKIP_1) | instid1(VALU_DEP_3)
	v_lshlrev_b32_e32 v18, 20, v18
	v_lshl_add_u32 v26, v26, 23, 0x3c000000
	v_and_b32_e32 v27, 0x80000000, v27
	s_delay_alu instid0(VALU_DEP_1) | instskip(NEXT) | instid1(VALU_DEP_1)
	v_or3_b32 v18, v18, v27, v26
	v_mov_b64_e32 v[26:27], v[18:19]
.LBB178_431:                            ;   in Loop: Header=BB178_425 Depth=1
	s_or_b32 exec_lo, exec_lo, s13
.LBB178_432:                            ;   in Loop: Header=BB178_425 Depth=1
	s_delay_alu instid0(SALU_CYCLE_1)
	s_or_b32 exec_lo, exec_lo, s11
.LBB178_433:                            ;   in Loop: Header=BB178_425 Depth=1
	s_delay_alu instid0(SALU_CYCLE_1) | instskip(SKIP_2) | instid1(VALU_DEP_1)
	s_or_b32 exec_lo, exec_lo, s0
	v_lshrrev_b16 v18, 8, v34
	s_mov_b32 s0, exec_lo
	v_cmpx_ne_u16_e32 0, v18
	s_cbranch_execz .LBB178_441
; %bb.434:                              ;   in Loop: Header=BB178_425 Depth=1
	v_mov_b64_e32 v[24:25], 0x8000000000000000
	s_mov_b32 s11, exec_lo
	v_cmpx_ne_u16_e32 0x80, v18
	s_cbranch_execz .LBB178_440
; %bb.435:                              ;   in Loop: Header=BB178_425 Depth=1
	v_and_b32_e32 v18, 0xffff, v18
	v_mov_b64_e32 v[24:25], 0x7f80000100000000
	s_mov_b32 s13, exec_lo
	s_delay_alu instid0(VALU_DEP_2) | instskip(NEXT) | instid1(VALU_DEP_1)
	v_and_b32_e32 v30, 0x7f, v18
	v_cmpx_ne_u32_e32 0x7f, v30
	s_cbranch_execz .LBB178_439
; %bb.436:                              ;   in Loop: Header=BB178_425 Depth=1
	v_and_b32_e32 v18, 7, v18
	v_lshrrev_b32_e32 v24, 3, v30
	s_mov_b32 s14, exec_lo
	v_cmpx_gt_u32_e32 8, v30
; %bb.437:                              ;   in Loop: Header=BB178_425 Depth=1
	s_delay_alu instid0(VALU_DEP_3) | instskip(NEXT) | instid1(VALU_DEP_1)
	v_clz_i32_u32_e32 v24, v18
	v_min_u32_e32 v24, 32, v24
	s_delay_alu instid0(VALU_DEP_1) | instskip(NEXT) | instid1(VALU_DEP_1)
	v_subrev_nc_u32_e32 v25, 28, v24
	v_lshlrev_b64_e32 v[30:31], v25, v[18:19]
	s_delay_alu instid0(VALU_DEP_1)
	v_dual_sub_nc_u32 v24, 29, v24 :: v_dual_bitop2_b32 v18, 7, v30 bitop3:0x40
; %bb.438:                              ;   in Loop: Header=BB178_425 Depth=1
	s_or_b32 exec_lo, exec_lo, s14
	v_lshlrev_b32_e32 v25, 16, v34
	s_delay_alu instid0(VALU_DEP_2) | instskip(NEXT) | instid1(VALU_DEP_3)
	v_lshlrev_b32_e32 v18, 20, v18
	v_lshl_add_u32 v24, v24, 23, 0x3c000000
	s_delay_alu instid0(VALU_DEP_3) | instskip(NEXT) | instid1(VALU_DEP_1)
	v_and_b32_e32 v25, 0x80000000, v25
	v_or3_b32 v25, v18, v25, v24
	v_mov_b32_e32 v24, v19
.LBB178_439:                            ;   in Loop: Header=BB178_425 Depth=1
	s_or_b32 exec_lo, exec_lo, s13
.LBB178_440:                            ;   in Loop: Header=BB178_425 Depth=1
	s_delay_alu instid0(SALU_CYCLE_1)
	s_or_b32 exec_lo, exec_lo, s11
.LBB178_441:                            ;   in Loop: Header=BB178_425 Depth=1
	s_delay_alu instid0(SALU_CYCLE_1) | instskip(SKIP_4) | instid1(VALU_DEP_3)
	s_or_b32 exec_lo, exec_lo, s0
	v_lshrrev_b32_e32 v35, 16, v34
	v_mov_b64_e32 v[30:31], 0
	v_mov_b64_e32 v[32:33], 0
	s_mov_b32 s0, exec_lo
	v_and_b32_e32 v18, 0xff, v35
	s_delay_alu instid0(VALU_DEP_1)
	v_cmpx_ne_u16_e32 0, v18
	s_cbranch_execz .LBB178_449
; %bb.442:                              ;   in Loop: Header=BB178_425 Depth=1
	v_mov_b64_e32 v[32:33], 0x80000000
	s_mov_b32 s11, exec_lo
	v_cmpx_ne_u16_e32 0x80, v18
	s_cbranch_execz .LBB178_448
; %bb.443:                              ;   in Loop: Header=BB178_425 Depth=1
	v_mov_b64_e32 v[32:33], 0x7f800001
	v_bfe_u32 v36, v34, 16, 7
	s_mov_b32 s13, exec_lo
	s_delay_alu instid0(VALU_DEP_1)
	v_cmpx_ne_u32_e32 0x7f, v36
	s_cbranch_execz .LBB178_447
; %bb.444:                              ;   in Loop: Header=BB178_425 Depth=1
	v_dual_lshrrev_b32 v32, 3, v36 :: v_dual_bitop2_b32 v18, 7, v35 bitop3:0x40
	s_mov_b32 s14, exec_lo
	v_cmpx_gt_u32_e32 8, v36
; %bb.445:                              ;   in Loop: Header=BB178_425 Depth=1
	s_delay_alu instid0(VALU_DEP_2) | instskip(NEXT) | instid1(VALU_DEP_1)
	v_clz_i32_u32_e32 v32, v18
	v_min_u32_e32 v32, 32, v32
	s_delay_alu instid0(VALU_DEP_1) | instskip(SKIP_1) | instid1(VALU_DEP_2)
	v_subrev_nc_u32_e32 v33, 28, v32
	v_sub_nc_u32_e32 v32, 29, v32
	v_lshlrev_b64_e32 v[36:37], v33, v[18:19]
	s_delay_alu instid0(VALU_DEP_1)
	v_and_b32_e32 v18, 7, v36
; %bb.446:                              ;   in Loop: Header=BB178_425 Depth=1
	s_or_b32 exec_lo, exec_lo, s14
	s_delay_alu instid0(VALU_DEP_1) | instskip(SKIP_1) | instid1(VALU_DEP_2)
	v_dual_lshlrev_b32 v33, 24, v35 :: v_dual_lshlrev_b32 v18, 20, v18
	v_lshl_add_u32 v32, v32, 23, 0x3c000000
	v_and_b32_e32 v33, 0x80000000, v33
	s_delay_alu instid0(VALU_DEP_1) | instskip(NEXT) | instid1(VALU_DEP_1)
	v_or3_b32 v18, v18, v33, v32
	v_mov_b64_e32 v[32:33], v[18:19]
.LBB178_447:                            ;   in Loop: Header=BB178_425 Depth=1
	s_or_b32 exec_lo, exec_lo, s13
.LBB178_448:                            ;   in Loop: Header=BB178_425 Depth=1
	s_delay_alu instid0(SALU_CYCLE_1)
	s_or_b32 exec_lo, exec_lo, s11
.LBB178_449:                            ;   in Loop: Header=BB178_425 Depth=1
	s_delay_alu instid0(SALU_CYCLE_1) | instskip(NEXT) | instid1(SALU_CYCLE_1)
	s_or_b32 exec_lo, exec_lo, s0
	s_mov_b32 s0, exec_lo
	v_cmpx_lt_u32_e32 0xffffff, v34
	s_cbranch_execz .LBB178_457
; %bb.450:                              ;   in Loop: Header=BB178_425 Depth=1
	v_mov_b64_e32 v[30:31], 0x8000000000000000
	v_lshrrev_b32_e32 v35, 24, v34
	s_mov_b32 s11, exec_lo
	s_delay_alu instid0(VALU_DEP_1)
	v_cmpx_ne_u32_e32 0x80, v35
	s_cbranch_execz .LBB178_456
; %bb.451:                              ;   in Loop: Header=BB178_425 Depth=1
	v_mov_b64_e32 v[30:31], 0x7f80000100000000
	v_bfe_u32 v34, v34, 24, 7
	s_mov_b32 s13, exec_lo
	s_delay_alu instid0(VALU_DEP_1)
	v_cmpx_ne_u32_e32 0x7f, v34
	s_cbranch_execz .LBB178_455
; %bb.452:                              ;   in Loop: Header=BB178_425 Depth=1
	v_dual_lshrrev_b32 v30, 3, v34 :: v_dual_bitop2_b32 v18, 7, v35 bitop3:0x40
	s_mov_b32 s14, exec_lo
	v_cmpx_gt_u32_e32 8, v34
; %bb.453:                              ;   in Loop: Header=BB178_425 Depth=1
	s_delay_alu instid0(VALU_DEP_2) | instskip(NEXT) | instid1(VALU_DEP_1)
	v_clz_i32_u32_e32 v30, v18
	v_min_u32_e32 v30, 32, v30
	s_delay_alu instid0(VALU_DEP_1) | instskip(NEXT) | instid1(VALU_DEP_1)
	v_subrev_nc_u32_e32 v31, 28, v30
	v_lshlrev_b64_e32 v[36:37], v31, v[18:19]
	s_delay_alu instid0(VALU_DEP_1)
	v_dual_sub_nc_u32 v30, 29, v30 :: v_dual_bitop2_b32 v18, 7, v36 bitop3:0x40
; %bb.454:                              ;   in Loop: Header=BB178_425 Depth=1
	s_or_b32 exec_lo, exec_lo, s14
	s_delay_alu instid0(VALU_DEP_1) | instskip(NEXT) | instid1(VALU_DEP_2)
	v_dual_lshlrev_b32 v31, 24, v35 :: v_dual_lshlrev_b32 v18, 20, v18
	v_lshl_add_u32 v30, v30, 23, 0x3c000000
	s_delay_alu instid0(VALU_DEP_2) | instskip(NEXT) | instid1(VALU_DEP_1)
	v_and_b32_e32 v31, 0x80000000, v31
	v_or3_b32 v31, v18, v31, v30
	v_mov_b32_e32 v30, v19
.LBB178_455:                            ;   in Loop: Header=BB178_425 Depth=1
	s_or_b32 exec_lo, exec_lo, s13
.LBB178_456:                            ;   in Loop: Header=BB178_425 Depth=1
	s_delay_alu instid0(SALU_CYCLE_1)
	s_or_b32 exec_lo, exec_lo, s11
.LBB178_457:                            ;   in Loop: Header=BB178_425 Depth=1
	s_delay_alu instid0(SALU_CYCLE_1)
	s_or_b32 exec_lo, exec_lo, s0
	v_mov_b64_e32 v[34:35], s[2:3]
	v_or_b32_e32 v25, v25, v27
	v_dual_add_nc_u32 v82, 1, v79 :: v_dual_bitop2_b32 v24, v24, v26 bitop3:0x54
	v_dual_add_nc_u32 v75, 2, v79 :: v_dual_bitop2_b32 v31, v31, v33 bitop3:0x54
	;; [unrolled: 1-line block ×3, first 2 shown]
	v_cmp_eq_u32_e32 vcc_lo, s7, v81
	s_delay_alu instid0(VALU_DEP_4) | instskip(NEXT) | instid1(VALU_DEP_3)
	v_pk_mul_f32 v[26:27], v[34:35], v[24:25]
	v_pk_mul_f32 v[24:25], v[34:35], v[30:31]
	s_and_saveexec_b32 s11, vcc_lo
	s_cbranch_execz .LBB178_459
; %bb.458:                              ;   in Loop: Header=BB178_425 Depth=1
	v_cmp_gt_i32_e64 s0, s24, v79
	s_delay_alu instid0(VALU_DEP_1) | instskip(SKIP_1) | instid1(VALU_DEP_1)
	v_cndmask_b32_e64 v26, 0, v26, s0
	v_cmp_gt_i32_e64 s0, s24, v82
	v_cndmask_b32_e64 v27, 0, v27, s0
	v_cmp_gt_i32_e64 s0, s24, v75
	s_delay_alu instid0(VALU_DEP_1) | instskip(SKIP_1) | instid1(VALU_DEP_1)
	v_cndmask_b32_e64 v24, 0, v24, s0
	v_cmp_gt_i32_e64 s0, s24, v74
	v_cndmask_b32_e64 v25, 0, v25, s0
.LBB178_459:                            ;   in Loop: Header=BB178_425 Depth=1
	s_or_b32 exec_lo, exec_lo, s11
	global_load_b32 v38, v[28:29], off offset:128
	v_mov_b64_e32 v[30:31], 0
	v_mov_b64_e32 v[32:33], 0
	s_mov_b32 s11, exec_lo
	s_wait_loadcnt 0x0
	v_and_b32_e32 v18, 0xff, v38
	s_delay_alu instid0(VALU_DEP_1)
	v_cmpx_ne_u16_e32 0, v18
	s_cbranch_execz .LBB178_467
; %bb.460:                              ;   in Loop: Header=BB178_425 Depth=1
	v_mov_b64_e32 v[32:33], 0x80000000
	s_mov_b32 s13, exec_lo
	v_cmpx_ne_u16_e32 0x80, v18
	s_cbranch_execz .LBB178_466
; %bb.461:                              ;   in Loop: Header=BB178_425 Depth=1
	v_mov_b64_e32 v[32:33], 0x7f800001
	v_and_b32_e32 v34, 0x7f, v38
	s_mov_b32 s14, exec_lo
	s_delay_alu instid0(VALU_DEP_1)
	v_cmpx_ne_u32_e32 0x7f, v34
	s_cbranch_execz .LBB178_465
; %bb.462:                              ;   in Loop: Header=BB178_425 Depth=1
	v_and_b32_e32 v18, 7, v38
	v_lshrrev_b32_e32 v32, 3, v34
	s_mov_b32 s15, exec_lo
	v_cmpx_gt_u32_e32 8, v34
; %bb.463:                              ;   in Loop: Header=BB178_425 Depth=1
	s_delay_alu instid0(VALU_DEP_3) | instskip(NEXT) | instid1(VALU_DEP_1)
	v_clz_i32_u32_e32 v32, v18
	v_min_u32_e32 v32, 32, v32
	s_delay_alu instid0(VALU_DEP_1) | instskip(NEXT) | instid1(VALU_DEP_1)
	v_subrev_nc_u32_e32 v33, 28, v32
	v_lshlrev_b64_e32 v[34:35], v33, v[18:19]
	s_delay_alu instid0(VALU_DEP_1)
	v_dual_sub_nc_u32 v32, 29, v32 :: v_dual_bitop2_b32 v18, 7, v34 bitop3:0x40
; %bb.464:                              ;   in Loop: Header=BB178_425 Depth=1
	s_or_b32 exec_lo, exec_lo, s15
	v_lshlrev_b32_e32 v33, 24, v38
	s_delay_alu instid0(VALU_DEP_2) | instskip(NEXT) | instid1(VALU_DEP_3)
	v_lshlrev_b32_e32 v18, 20, v18
	v_lshl_add_u32 v32, v32, 23, 0x3c000000
	s_delay_alu instid0(VALU_DEP_3) | instskip(NEXT) | instid1(VALU_DEP_1)
	v_and_b32_e32 v33, 0x80000000, v33
	v_or3_b32 v18, v18, v33, v32
	s_delay_alu instid0(VALU_DEP_1)
	v_mov_b64_e32 v[32:33], v[18:19]
.LBB178_465:                            ;   in Loop: Header=BB178_425 Depth=1
	s_or_b32 exec_lo, exec_lo, s14
.LBB178_466:                            ;   in Loop: Header=BB178_425 Depth=1
	s_delay_alu instid0(SALU_CYCLE_1)
	s_or_b32 exec_lo, exec_lo, s13
.LBB178_467:                            ;   in Loop: Header=BB178_425 Depth=1
	s_delay_alu instid0(SALU_CYCLE_1) | instskip(SKIP_2) | instid1(VALU_DEP_1)
	s_or_b32 exec_lo, exec_lo, s11
	v_lshrrev_b16 v18, 8, v38
	s_mov_b32 s11, exec_lo
	v_cmpx_ne_u16_e32 0, v18
	s_cbranch_execz .LBB178_475
; %bb.468:                              ;   in Loop: Header=BB178_425 Depth=1
	v_mov_b64_e32 v[30:31], 0x8000000000000000
	s_mov_b32 s13, exec_lo
	v_cmpx_ne_u16_e32 0x80, v18
	s_cbranch_execz .LBB178_474
; %bb.469:                              ;   in Loop: Header=BB178_425 Depth=1
	v_and_b32_e32 v18, 0xffff, v18
	v_mov_b64_e32 v[30:31], 0x7f80000100000000
	s_mov_b32 s14, exec_lo
	s_delay_alu instid0(VALU_DEP_2) | instskip(NEXT) | instid1(VALU_DEP_1)
	v_and_b32_e32 v34, 0x7f, v18
	v_cmpx_ne_u32_e32 0x7f, v34
	s_cbranch_execz .LBB178_473
; %bb.470:                              ;   in Loop: Header=BB178_425 Depth=1
	v_and_b32_e32 v18, 7, v18
	v_lshrrev_b32_e32 v30, 3, v34
	s_mov_b32 s15, exec_lo
	v_cmpx_gt_u32_e32 8, v34
; %bb.471:                              ;   in Loop: Header=BB178_425 Depth=1
	s_delay_alu instid0(VALU_DEP_3) | instskip(NEXT) | instid1(VALU_DEP_1)
	v_clz_i32_u32_e32 v30, v18
	v_min_u32_e32 v30, 32, v30
	s_delay_alu instid0(VALU_DEP_1) | instskip(SKIP_1) | instid1(VALU_DEP_2)
	v_subrev_nc_u32_e32 v31, 28, v30
	v_sub_nc_u32_e32 v30, 29, v30
	v_lshlrev_b64_e32 v[34:35], v31, v[18:19]
	s_delay_alu instid0(VALU_DEP_1)
	v_and_b32_e32 v18, 7, v34
; %bb.472:                              ;   in Loop: Header=BB178_425 Depth=1
	s_or_b32 exec_lo, exec_lo, s15
	v_lshlrev_b32_e32 v31, 16, v38
	s_delay_alu instid0(VALU_DEP_2) | instskip(SKIP_1) | instid1(VALU_DEP_3)
	v_lshlrev_b32_e32 v18, 20, v18
	v_lshl_add_u32 v30, v30, 23, 0x3c000000
	v_and_b32_e32 v31, 0x80000000, v31
	s_delay_alu instid0(VALU_DEP_1)
	v_or3_b32 v31, v18, v31, v30
	v_mov_b32_e32 v30, v19
.LBB178_473:                            ;   in Loop: Header=BB178_425 Depth=1
	s_or_b32 exec_lo, exec_lo, s14
.LBB178_474:                            ;   in Loop: Header=BB178_425 Depth=1
	s_delay_alu instid0(SALU_CYCLE_1)
	s_or_b32 exec_lo, exec_lo, s13
.LBB178_475:                            ;   in Loop: Header=BB178_425 Depth=1
	s_delay_alu instid0(SALU_CYCLE_1) | instskip(SKIP_4) | instid1(VALU_DEP_3)
	s_or_b32 exec_lo, exec_lo, s11
	v_lshrrev_b32_e32 v39, 16, v38
	v_mov_b64_e32 v[34:35], 0
	v_mov_b64_e32 v[36:37], 0
	s_mov_b32 s11, exec_lo
	v_and_b32_e32 v18, 0xff, v39
	s_delay_alu instid0(VALU_DEP_1)
	v_cmpx_ne_u16_e32 0, v18
	s_cbranch_execz .LBB178_483
; %bb.476:                              ;   in Loop: Header=BB178_425 Depth=1
	v_mov_b64_e32 v[36:37], 0x80000000
	s_mov_b32 s13, exec_lo
	v_cmpx_ne_u16_e32 0x80, v18
	s_cbranch_execz .LBB178_482
; %bb.477:                              ;   in Loop: Header=BB178_425 Depth=1
	v_mov_b64_e32 v[36:37], 0x7f800001
	v_bfe_u32 v40, v38, 16, 7
	s_mov_b32 s14, exec_lo
	s_delay_alu instid0(VALU_DEP_1)
	v_cmpx_ne_u32_e32 0x7f, v40
	s_cbranch_execz .LBB178_481
; %bb.478:                              ;   in Loop: Header=BB178_425 Depth=1
	v_dual_lshrrev_b32 v36, 3, v40 :: v_dual_bitop2_b32 v18, 7, v39 bitop3:0x40
	s_mov_b32 s15, exec_lo
	v_cmpx_gt_u32_e32 8, v40
; %bb.479:                              ;   in Loop: Header=BB178_425 Depth=1
	s_delay_alu instid0(VALU_DEP_2) | instskip(NEXT) | instid1(VALU_DEP_1)
	v_clz_i32_u32_e32 v36, v18
	v_min_u32_e32 v36, 32, v36
	s_delay_alu instid0(VALU_DEP_1) | instskip(SKIP_1) | instid1(VALU_DEP_2)
	v_subrev_nc_u32_e32 v37, 28, v36
	v_sub_nc_u32_e32 v36, 29, v36
	v_lshlrev_b64_e32 v[40:41], v37, v[18:19]
	s_delay_alu instid0(VALU_DEP_1)
	v_and_b32_e32 v18, 7, v40
; %bb.480:                              ;   in Loop: Header=BB178_425 Depth=1
	s_or_b32 exec_lo, exec_lo, s15
	s_delay_alu instid0(VALU_DEP_1) | instskip(SKIP_1) | instid1(VALU_DEP_2)
	v_dual_lshlrev_b32 v37, 24, v39 :: v_dual_lshlrev_b32 v18, 20, v18
	v_lshl_add_u32 v36, v36, 23, 0x3c000000
	v_and_b32_e32 v37, 0x80000000, v37
	s_delay_alu instid0(VALU_DEP_1) | instskip(NEXT) | instid1(VALU_DEP_1)
	v_or3_b32 v18, v18, v37, v36
	v_mov_b64_e32 v[36:37], v[18:19]
.LBB178_481:                            ;   in Loop: Header=BB178_425 Depth=1
	s_or_b32 exec_lo, exec_lo, s14
.LBB178_482:                            ;   in Loop: Header=BB178_425 Depth=1
	s_delay_alu instid0(SALU_CYCLE_1)
	s_or_b32 exec_lo, exec_lo, s13
.LBB178_483:                            ;   in Loop: Header=BB178_425 Depth=1
	s_delay_alu instid0(SALU_CYCLE_1) | instskip(NEXT) | instid1(SALU_CYCLE_1)
	s_or_b32 exec_lo, exec_lo, s11
	s_mov_b32 s11, exec_lo
	v_cmpx_lt_u32_e32 0xffffff, v38
	s_cbranch_execz .LBB178_491
; %bb.484:                              ;   in Loop: Header=BB178_425 Depth=1
	v_mov_b64_e32 v[34:35], 0x8000000000000000
	v_lshrrev_b32_e32 v39, 24, v38
	s_mov_b32 s13, exec_lo
	s_delay_alu instid0(VALU_DEP_1)
	v_cmpx_ne_u32_e32 0x80, v39
	s_cbranch_execz .LBB178_490
; %bb.485:                              ;   in Loop: Header=BB178_425 Depth=1
	v_mov_b64_e32 v[34:35], 0x7f80000100000000
	v_bfe_u32 v38, v38, 24, 7
	s_mov_b32 s14, exec_lo
	s_delay_alu instid0(VALU_DEP_1)
	v_cmpx_ne_u32_e32 0x7f, v38
	s_cbranch_execz .LBB178_489
; %bb.486:                              ;   in Loop: Header=BB178_425 Depth=1
	v_dual_lshrrev_b32 v34, 3, v38 :: v_dual_bitop2_b32 v18, 7, v39 bitop3:0x40
	s_mov_b32 s15, exec_lo
	v_cmpx_gt_u32_e32 8, v38
; %bb.487:                              ;   in Loop: Header=BB178_425 Depth=1
	s_delay_alu instid0(VALU_DEP_2) | instskip(NEXT) | instid1(VALU_DEP_1)
	v_clz_i32_u32_e32 v34, v18
	v_min_u32_e32 v34, 32, v34
	s_delay_alu instid0(VALU_DEP_1) | instskip(NEXT) | instid1(VALU_DEP_1)
	v_subrev_nc_u32_e32 v35, 28, v34
	v_lshlrev_b64_e32 v[40:41], v35, v[18:19]
	s_delay_alu instid0(VALU_DEP_1)
	v_dual_sub_nc_u32 v34, 29, v34 :: v_dual_bitop2_b32 v18, 7, v40 bitop3:0x40
; %bb.488:                              ;   in Loop: Header=BB178_425 Depth=1
	s_or_b32 exec_lo, exec_lo, s15
	s_delay_alu instid0(VALU_DEP_1) | instskip(NEXT) | instid1(VALU_DEP_2)
	v_dual_lshlrev_b32 v35, 24, v39 :: v_dual_lshlrev_b32 v18, 20, v18
	v_lshl_add_u32 v34, v34, 23, 0x3c000000
	s_delay_alu instid0(VALU_DEP_2) | instskip(NEXT) | instid1(VALU_DEP_1)
	v_and_b32_e32 v35, 0x80000000, v35
	v_or3_b32 v35, v18, v35, v34
	v_mov_b32_e32 v34, v19
.LBB178_489:                            ;   in Loop: Header=BB178_425 Depth=1
	s_or_b32 exec_lo, exec_lo, s14
.LBB178_490:                            ;   in Loop: Header=BB178_425 Depth=1
	s_delay_alu instid0(SALU_CYCLE_1)
	s_or_b32 exec_lo, exec_lo, s13
.LBB178_491:                            ;   in Loop: Header=BB178_425 Depth=1
	s_delay_alu instid0(SALU_CYCLE_1)
	s_or_b32 exec_lo, exec_lo, s11
	v_mov_b64_e32 v[38:39], s[2:3]
	v_or_b32_e32 v31, v31, v33
	v_or_b32_e32 v30, v30, v32
	;; [unrolled: 1-line block ×4, first 2 shown]
	s_delay_alu instid0(VALU_DEP_3) | instskip(NEXT) | instid1(VALU_DEP_2)
	v_pk_mul_f32 v[32:33], v[38:39], v[30:31]
	v_pk_mul_f32 v[30:31], v[38:39], v[34:35]
	s_and_saveexec_b32 s11, vcc_lo
	s_cbranch_execz .LBB178_493
; %bb.492:                              ;   in Loop: Header=BB178_425 Depth=1
	v_cmp_gt_i32_e64 s0, s24, v79
	s_delay_alu instid0(VALU_DEP_1) | instskip(SKIP_1) | instid1(VALU_DEP_1)
	v_cndmask_b32_e64 v32, 0, v32, s0
	v_cmp_gt_i32_e64 s0, s24, v82
	v_cndmask_b32_e64 v33, 0, v33, s0
	v_cmp_gt_i32_e64 s0, s24, v75
	s_delay_alu instid0(VALU_DEP_1) | instskip(SKIP_1) | instid1(VALU_DEP_1)
	v_cndmask_b32_e64 v30, 0, v30, s0
	v_cmp_gt_i32_e64 s0, s24, v74
	v_cndmask_b32_e64 v31, 0, v31, s0
.LBB178_493:                            ;   in Loop: Header=BB178_425 Depth=1
	s_or_b32 exec_lo, exec_lo, s11
	global_load_b32 v42, v[28:29], off offset:256
	v_mov_b64_e32 v[34:35], 0
	v_mov_b64_e32 v[36:37], 0
	s_mov_b32 s11, exec_lo
	s_wait_loadcnt 0x0
	v_and_b32_e32 v18, 0xff, v42
	s_delay_alu instid0(VALU_DEP_1)
	v_cmpx_ne_u16_e32 0, v18
	s_cbranch_execz .LBB178_501
; %bb.494:                              ;   in Loop: Header=BB178_425 Depth=1
	v_mov_b64_e32 v[36:37], 0x80000000
	s_mov_b32 s13, exec_lo
	v_cmpx_ne_u16_e32 0x80, v18
	s_cbranch_execz .LBB178_500
; %bb.495:                              ;   in Loop: Header=BB178_425 Depth=1
	v_mov_b64_e32 v[36:37], 0x7f800001
	v_and_b32_e32 v38, 0x7f, v42
	s_mov_b32 s14, exec_lo
	s_delay_alu instid0(VALU_DEP_1)
	v_cmpx_ne_u32_e32 0x7f, v38
	s_cbranch_execz .LBB178_499
; %bb.496:                              ;   in Loop: Header=BB178_425 Depth=1
	v_and_b32_e32 v18, 7, v42
	v_lshrrev_b32_e32 v36, 3, v38
	s_mov_b32 s15, exec_lo
	v_cmpx_gt_u32_e32 8, v38
; %bb.497:                              ;   in Loop: Header=BB178_425 Depth=1
	s_delay_alu instid0(VALU_DEP_3) | instskip(NEXT) | instid1(VALU_DEP_1)
	v_clz_i32_u32_e32 v36, v18
	v_min_u32_e32 v36, 32, v36
	s_delay_alu instid0(VALU_DEP_1) | instskip(NEXT) | instid1(VALU_DEP_1)
	v_subrev_nc_u32_e32 v37, 28, v36
	v_lshlrev_b64_e32 v[38:39], v37, v[18:19]
	s_delay_alu instid0(VALU_DEP_1)
	v_dual_sub_nc_u32 v36, 29, v36 :: v_dual_bitop2_b32 v18, 7, v38 bitop3:0x40
; %bb.498:                              ;   in Loop: Header=BB178_425 Depth=1
	s_or_b32 exec_lo, exec_lo, s15
	v_lshlrev_b32_e32 v37, 24, v42
	s_delay_alu instid0(VALU_DEP_2) | instskip(NEXT) | instid1(VALU_DEP_3)
	v_lshlrev_b32_e32 v18, 20, v18
	v_lshl_add_u32 v36, v36, 23, 0x3c000000
	s_delay_alu instid0(VALU_DEP_3) | instskip(NEXT) | instid1(VALU_DEP_1)
	v_and_b32_e32 v37, 0x80000000, v37
	v_or3_b32 v18, v18, v37, v36
	s_delay_alu instid0(VALU_DEP_1)
	v_mov_b64_e32 v[36:37], v[18:19]
.LBB178_499:                            ;   in Loop: Header=BB178_425 Depth=1
	s_or_b32 exec_lo, exec_lo, s14
.LBB178_500:                            ;   in Loop: Header=BB178_425 Depth=1
	s_delay_alu instid0(SALU_CYCLE_1)
	s_or_b32 exec_lo, exec_lo, s13
.LBB178_501:                            ;   in Loop: Header=BB178_425 Depth=1
	s_delay_alu instid0(SALU_CYCLE_1) | instskip(SKIP_2) | instid1(VALU_DEP_1)
	s_or_b32 exec_lo, exec_lo, s11
	v_lshrrev_b16 v18, 8, v42
	s_mov_b32 s11, exec_lo
	v_cmpx_ne_u16_e32 0, v18
	s_cbranch_execz .LBB178_509
; %bb.502:                              ;   in Loop: Header=BB178_425 Depth=1
	v_mov_b64_e32 v[34:35], 0x8000000000000000
	s_mov_b32 s13, exec_lo
	v_cmpx_ne_u16_e32 0x80, v18
	s_cbranch_execz .LBB178_508
; %bb.503:                              ;   in Loop: Header=BB178_425 Depth=1
	v_and_b32_e32 v18, 0xffff, v18
	v_mov_b64_e32 v[34:35], 0x7f80000100000000
	s_mov_b32 s14, exec_lo
	s_delay_alu instid0(VALU_DEP_2) | instskip(NEXT) | instid1(VALU_DEP_1)
	v_and_b32_e32 v38, 0x7f, v18
	v_cmpx_ne_u32_e32 0x7f, v38
	s_cbranch_execz .LBB178_507
; %bb.504:                              ;   in Loop: Header=BB178_425 Depth=1
	v_and_b32_e32 v18, 7, v18
	v_lshrrev_b32_e32 v34, 3, v38
	s_mov_b32 s15, exec_lo
	v_cmpx_gt_u32_e32 8, v38
; %bb.505:                              ;   in Loop: Header=BB178_425 Depth=1
	s_delay_alu instid0(VALU_DEP_3) | instskip(NEXT) | instid1(VALU_DEP_1)
	v_clz_i32_u32_e32 v34, v18
	v_min_u32_e32 v34, 32, v34
	s_delay_alu instid0(VALU_DEP_1) | instskip(SKIP_1) | instid1(VALU_DEP_2)
	v_subrev_nc_u32_e32 v35, 28, v34
	v_sub_nc_u32_e32 v34, 29, v34
	v_lshlrev_b64_e32 v[38:39], v35, v[18:19]
	s_delay_alu instid0(VALU_DEP_1)
	v_and_b32_e32 v18, 7, v38
; %bb.506:                              ;   in Loop: Header=BB178_425 Depth=1
	s_or_b32 exec_lo, exec_lo, s15
	v_lshlrev_b32_e32 v35, 16, v42
	s_delay_alu instid0(VALU_DEP_2) | instskip(SKIP_1) | instid1(VALU_DEP_3)
	v_lshlrev_b32_e32 v18, 20, v18
	v_lshl_add_u32 v34, v34, 23, 0x3c000000
	v_and_b32_e32 v35, 0x80000000, v35
	s_delay_alu instid0(VALU_DEP_1)
	v_or3_b32 v35, v18, v35, v34
	v_mov_b32_e32 v34, v19
.LBB178_507:                            ;   in Loop: Header=BB178_425 Depth=1
	s_or_b32 exec_lo, exec_lo, s14
.LBB178_508:                            ;   in Loop: Header=BB178_425 Depth=1
	s_delay_alu instid0(SALU_CYCLE_1)
	s_or_b32 exec_lo, exec_lo, s13
.LBB178_509:                            ;   in Loop: Header=BB178_425 Depth=1
	s_delay_alu instid0(SALU_CYCLE_1) | instskip(SKIP_4) | instid1(VALU_DEP_3)
	s_or_b32 exec_lo, exec_lo, s11
	v_lshrrev_b32_e32 v43, 16, v42
	v_mov_b64_e32 v[38:39], 0
	v_mov_b64_e32 v[40:41], 0
	s_mov_b32 s11, exec_lo
	v_and_b32_e32 v18, 0xff, v43
	s_delay_alu instid0(VALU_DEP_1)
	v_cmpx_ne_u16_e32 0, v18
	s_cbranch_execz .LBB178_517
; %bb.510:                              ;   in Loop: Header=BB178_425 Depth=1
	v_mov_b64_e32 v[40:41], 0x80000000
	s_mov_b32 s13, exec_lo
	v_cmpx_ne_u16_e32 0x80, v18
	s_cbranch_execz .LBB178_516
; %bb.511:                              ;   in Loop: Header=BB178_425 Depth=1
	v_mov_b64_e32 v[40:41], 0x7f800001
	v_bfe_u32 v44, v42, 16, 7
	s_mov_b32 s14, exec_lo
	s_delay_alu instid0(VALU_DEP_1)
	v_cmpx_ne_u32_e32 0x7f, v44
	s_cbranch_execz .LBB178_515
; %bb.512:                              ;   in Loop: Header=BB178_425 Depth=1
	v_dual_lshrrev_b32 v40, 3, v44 :: v_dual_bitop2_b32 v18, 7, v43 bitop3:0x40
	s_mov_b32 s15, exec_lo
	v_cmpx_gt_u32_e32 8, v44
; %bb.513:                              ;   in Loop: Header=BB178_425 Depth=1
	s_delay_alu instid0(VALU_DEP_2) | instskip(NEXT) | instid1(VALU_DEP_1)
	v_clz_i32_u32_e32 v40, v18
	v_min_u32_e32 v40, 32, v40
	s_delay_alu instid0(VALU_DEP_1) | instskip(SKIP_1) | instid1(VALU_DEP_2)
	v_subrev_nc_u32_e32 v41, 28, v40
	v_sub_nc_u32_e32 v40, 29, v40
	v_lshlrev_b64_e32 v[44:45], v41, v[18:19]
	s_delay_alu instid0(VALU_DEP_1)
	v_and_b32_e32 v18, 7, v44
; %bb.514:                              ;   in Loop: Header=BB178_425 Depth=1
	s_or_b32 exec_lo, exec_lo, s15
	s_delay_alu instid0(VALU_DEP_1) | instskip(SKIP_1) | instid1(VALU_DEP_2)
	v_dual_lshlrev_b32 v41, 24, v43 :: v_dual_lshlrev_b32 v18, 20, v18
	v_lshl_add_u32 v40, v40, 23, 0x3c000000
	v_and_b32_e32 v41, 0x80000000, v41
	s_delay_alu instid0(VALU_DEP_1) | instskip(NEXT) | instid1(VALU_DEP_1)
	v_or3_b32 v18, v18, v41, v40
	v_mov_b64_e32 v[40:41], v[18:19]
.LBB178_515:                            ;   in Loop: Header=BB178_425 Depth=1
	s_or_b32 exec_lo, exec_lo, s14
.LBB178_516:                            ;   in Loop: Header=BB178_425 Depth=1
	s_delay_alu instid0(SALU_CYCLE_1)
	s_or_b32 exec_lo, exec_lo, s13
.LBB178_517:                            ;   in Loop: Header=BB178_425 Depth=1
	s_delay_alu instid0(SALU_CYCLE_1) | instskip(NEXT) | instid1(SALU_CYCLE_1)
	s_or_b32 exec_lo, exec_lo, s11
	s_mov_b32 s11, exec_lo
	v_cmpx_lt_u32_e32 0xffffff, v42
	s_cbranch_execz .LBB178_525
; %bb.518:                              ;   in Loop: Header=BB178_425 Depth=1
	v_mov_b64_e32 v[38:39], 0x8000000000000000
	v_lshrrev_b32_e32 v43, 24, v42
	s_mov_b32 s13, exec_lo
	s_delay_alu instid0(VALU_DEP_1)
	v_cmpx_ne_u32_e32 0x80, v43
	s_cbranch_execz .LBB178_524
; %bb.519:                              ;   in Loop: Header=BB178_425 Depth=1
	v_mov_b64_e32 v[38:39], 0x7f80000100000000
	v_bfe_u32 v42, v42, 24, 7
	s_mov_b32 s14, exec_lo
	s_delay_alu instid0(VALU_DEP_1)
	v_cmpx_ne_u32_e32 0x7f, v42
	s_cbranch_execz .LBB178_523
; %bb.520:                              ;   in Loop: Header=BB178_425 Depth=1
	v_dual_lshrrev_b32 v38, 3, v42 :: v_dual_bitop2_b32 v18, 7, v43 bitop3:0x40
	s_mov_b32 s15, exec_lo
	v_cmpx_gt_u32_e32 8, v42
; %bb.521:                              ;   in Loop: Header=BB178_425 Depth=1
	s_delay_alu instid0(VALU_DEP_2) | instskip(NEXT) | instid1(VALU_DEP_1)
	v_clz_i32_u32_e32 v38, v18
	v_min_u32_e32 v38, 32, v38
	s_delay_alu instid0(VALU_DEP_1) | instskip(NEXT) | instid1(VALU_DEP_1)
	v_subrev_nc_u32_e32 v39, 28, v38
	v_lshlrev_b64_e32 v[44:45], v39, v[18:19]
	s_delay_alu instid0(VALU_DEP_1)
	v_dual_sub_nc_u32 v38, 29, v38 :: v_dual_bitop2_b32 v18, 7, v44 bitop3:0x40
; %bb.522:                              ;   in Loop: Header=BB178_425 Depth=1
	s_or_b32 exec_lo, exec_lo, s15
	s_delay_alu instid0(VALU_DEP_1) | instskip(NEXT) | instid1(VALU_DEP_2)
	v_dual_lshlrev_b32 v39, 24, v43 :: v_dual_lshlrev_b32 v18, 20, v18
	v_lshl_add_u32 v38, v38, 23, 0x3c000000
	s_delay_alu instid0(VALU_DEP_2) | instskip(NEXT) | instid1(VALU_DEP_1)
	v_and_b32_e32 v39, 0x80000000, v39
	v_or3_b32 v39, v18, v39, v38
	v_mov_b32_e32 v38, v19
.LBB178_523:                            ;   in Loop: Header=BB178_425 Depth=1
	s_or_b32 exec_lo, exec_lo, s14
.LBB178_524:                            ;   in Loop: Header=BB178_425 Depth=1
	s_delay_alu instid0(SALU_CYCLE_1)
	s_or_b32 exec_lo, exec_lo, s13
.LBB178_525:                            ;   in Loop: Header=BB178_425 Depth=1
	s_delay_alu instid0(SALU_CYCLE_1)
	s_or_b32 exec_lo, exec_lo, s11
	v_mov_b64_e32 v[42:43], s[2:3]
	v_or_b32_e32 v35, v35, v37
	v_or_b32_e32 v34, v34, v36
	;; [unrolled: 1-line block ×4, first 2 shown]
	s_delay_alu instid0(VALU_DEP_3) | instskip(NEXT) | instid1(VALU_DEP_2)
	v_pk_mul_f32 v[36:37], v[42:43], v[34:35]
	v_pk_mul_f32 v[34:35], v[42:43], v[38:39]
	s_and_saveexec_b32 s11, vcc_lo
	s_cbranch_execz .LBB178_527
; %bb.526:                              ;   in Loop: Header=BB178_425 Depth=1
	v_cmp_gt_i32_e64 s0, s24, v79
	s_delay_alu instid0(VALU_DEP_1) | instskip(SKIP_1) | instid1(VALU_DEP_1)
	v_cndmask_b32_e64 v36, 0, v36, s0
	v_cmp_gt_i32_e64 s0, s24, v82
	v_cndmask_b32_e64 v37, 0, v37, s0
	v_cmp_gt_i32_e64 s0, s24, v75
	s_delay_alu instid0(VALU_DEP_1) | instskip(SKIP_1) | instid1(VALU_DEP_1)
	v_cndmask_b32_e64 v34, 0, v34, s0
	v_cmp_gt_i32_e64 s0, s24, v74
	v_cndmask_b32_e64 v35, 0, v35, s0
.LBB178_527:                            ;   in Loop: Header=BB178_425 Depth=1
	s_or_b32 exec_lo, exec_lo, s11
	global_load_b32 v46, v[28:29], off offset:384
	v_mov_b64_e32 v[38:39], 0
	v_mov_b64_e32 v[40:41], 0
	s_mov_b32 s11, exec_lo
	s_wait_loadcnt 0x0
	v_and_b32_e32 v18, 0xff, v46
	s_delay_alu instid0(VALU_DEP_1)
	v_cmpx_ne_u16_e32 0, v18
	s_cbranch_execz .LBB178_535
; %bb.528:                              ;   in Loop: Header=BB178_425 Depth=1
	v_mov_b64_e32 v[40:41], 0x80000000
	s_mov_b32 s13, exec_lo
	v_cmpx_ne_u16_e32 0x80, v18
	s_cbranch_execz .LBB178_534
; %bb.529:                              ;   in Loop: Header=BB178_425 Depth=1
	v_mov_b64_e32 v[40:41], 0x7f800001
	v_and_b32_e32 v42, 0x7f, v46
	s_mov_b32 s14, exec_lo
	s_delay_alu instid0(VALU_DEP_1)
	v_cmpx_ne_u32_e32 0x7f, v42
	s_cbranch_execz .LBB178_533
; %bb.530:                              ;   in Loop: Header=BB178_425 Depth=1
	v_and_b32_e32 v18, 7, v46
	v_lshrrev_b32_e32 v40, 3, v42
	s_mov_b32 s15, exec_lo
	v_cmpx_gt_u32_e32 8, v42
; %bb.531:                              ;   in Loop: Header=BB178_425 Depth=1
	s_delay_alu instid0(VALU_DEP_3) | instskip(NEXT) | instid1(VALU_DEP_1)
	v_clz_i32_u32_e32 v40, v18
	v_min_u32_e32 v40, 32, v40
	s_delay_alu instid0(VALU_DEP_1) | instskip(NEXT) | instid1(VALU_DEP_1)
	v_subrev_nc_u32_e32 v41, 28, v40
	v_lshlrev_b64_e32 v[42:43], v41, v[18:19]
	s_delay_alu instid0(VALU_DEP_1)
	v_dual_sub_nc_u32 v40, 29, v40 :: v_dual_bitop2_b32 v18, 7, v42 bitop3:0x40
; %bb.532:                              ;   in Loop: Header=BB178_425 Depth=1
	s_or_b32 exec_lo, exec_lo, s15
	v_lshlrev_b32_e32 v41, 24, v46
	s_delay_alu instid0(VALU_DEP_2) | instskip(NEXT) | instid1(VALU_DEP_3)
	v_lshlrev_b32_e32 v18, 20, v18
	v_lshl_add_u32 v40, v40, 23, 0x3c000000
	s_delay_alu instid0(VALU_DEP_3) | instskip(NEXT) | instid1(VALU_DEP_1)
	v_and_b32_e32 v41, 0x80000000, v41
	v_or3_b32 v18, v18, v41, v40
	s_delay_alu instid0(VALU_DEP_1)
	v_mov_b64_e32 v[40:41], v[18:19]
.LBB178_533:                            ;   in Loop: Header=BB178_425 Depth=1
	s_or_b32 exec_lo, exec_lo, s14
.LBB178_534:                            ;   in Loop: Header=BB178_425 Depth=1
	s_delay_alu instid0(SALU_CYCLE_1)
	s_or_b32 exec_lo, exec_lo, s13
.LBB178_535:                            ;   in Loop: Header=BB178_425 Depth=1
	s_delay_alu instid0(SALU_CYCLE_1) | instskip(SKIP_2) | instid1(VALU_DEP_1)
	s_or_b32 exec_lo, exec_lo, s11
	v_lshrrev_b16 v18, 8, v46
	s_mov_b32 s11, exec_lo
	v_cmpx_ne_u16_e32 0, v18
	s_cbranch_execz .LBB178_543
; %bb.536:                              ;   in Loop: Header=BB178_425 Depth=1
	v_mov_b64_e32 v[38:39], 0x8000000000000000
	s_mov_b32 s13, exec_lo
	v_cmpx_ne_u16_e32 0x80, v18
	s_cbranch_execz .LBB178_542
; %bb.537:                              ;   in Loop: Header=BB178_425 Depth=1
	v_and_b32_e32 v18, 0xffff, v18
	v_mov_b64_e32 v[38:39], 0x7f80000100000000
	s_mov_b32 s14, exec_lo
	s_delay_alu instid0(VALU_DEP_2) | instskip(NEXT) | instid1(VALU_DEP_1)
	v_and_b32_e32 v42, 0x7f, v18
	v_cmpx_ne_u32_e32 0x7f, v42
	s_cbranch_execz .LBB178_541
; %bb.538:                              ;   in Loop: Header=BB178_425 Depth=1
	v_and_b32_e32 v18, 7, v18
	v_lshrrev_b32_e32 v38, 3, v42
	s_mov_b32 s15, exec_lo
	v_cmpx_gt_u32_e32 8, v42
; %bb.539:                              ;   in Loop: Header=BB178_425 Depth=1
	s_delay_alu instid0(VALU_DEP_3) | instskip(NEXT) | instid1(VALU_DEP_1)
	v_clz_i32_u32_e32 v38, v18
	v_min_u32_e32 v38, 32, v38
	s_delay_alu instid0(VALU_DEP_1) | instskip(SKIP_1) | instid1(VALU_DEP_2)
	v_subrev_nc_u32_e32 v39, 28, v38
	v_sub_nc_u32_e32 v38, 29, v38
	v_lshlrev_b64_e32 v[42:43], v39, v[18:19]
	s_delay_alu instid0(VALU_DEP_1)
	v_and_b32_e32 v18, 7, v42
; %bb.540:                              ;   in Loop: Header=BB178_425 Depth=1
	s_or_b32 exec_lo, exec_lo, s15
	v_lshlrev_b32_e32 v39, 16, v46
	s_delay_alu instid0(VALU_DEP_2) | instskip(SKIP_1) | instid1(VALU_DEP_3)
	v_lshlrev_b32_e32 v18, 20, v18
	v_lshl_add_u32 v38, v38, 23, 0x3c000000
	v_and_b32_e32 v39, 0x80000000, v39
	s_delay_alu instid0(VALU_DEP_1)
	v_or3_b32 v39, v18, v39, v38
	v_mov_b32_e32 v38, v19
.LBB178_541:                            ;   in Loop: Header=BB178_425 Depth=1
	s_or_b32 exec_lo, exec_lo, s14
.LBB178_542:                            ;   in Loop: Header=BB178_425 Depth=1
	s_delay_alu instid0(SALU_CYCLE_1)
	s_or_b32 exec_lo, exec_lo, s13
.LBB178_543:                            ;   in Loop: Header=BB178_425 Depth=1
	s_delay_alu instid0(SALU_CYCLE_1) | instskip(SKIP_4) | instid1(VALU_DEP_3)
	s_or_b32 exec_lo, exec_lo, s11
	v_lshrrev_b32_e32 v47, 16, v46
	v_mov_b64_e32 v[42:43], 0
	v_mov_b64_e32 v[44:45], 0
	s_mov_b32 s11, exec_lo
	v_and_b32_e32 v18, 0xff, v47
	s_delay_alu instid0(VALU_DEP_1)
	v_cmpx_ne_u16_e32 0, v18
	s_cbranch_execz .LBB178_551
; %bb.544:                              ;   in Loop: Header=BB178_425 Depth=1
	v_mov_b64_e32 v[44:45], 0x80000000
	s_mov_b32 s13, exec_lo
	v_cmpx_ne_u16_e32 0x80, v18
	s_cbranch_execz .LBB178_550
; %bb.545:                              ;   in Loop: Header=BB178_425 Depth=1
	v_mov_b64_e32 v[44:45], 0x7f800001
	v_bfe_u32 v48, v46, 16, 7
	s_mov_b32 s14, exec_lo
	s_delay_alu instid0(VALU_DEP_1)
	v_cmpx_ne_u32_e32 0x7f, v48
	s_cbranch_execz .LBB178_549
; %bb.546:                              ;   in Loop: Header=BB178_425 Depth=1
	v_dual_lshrrev_b32 v44, 3, v48 :: v_dual_bitop2_b32 v18, 7, v47 bitop3:0x40
	s_mov_b32 s15, exec_lo
	v_cmpx_gt_u32_e32 8, v48
; %bb.547:                              ;   in Loop: Header=BB178_425 Depth=1
	s_delay_alu instid0(VALU_DEP_2) | instskip(NEXT) | instid1(VALU_DEP_1)
	v_clz_i32_u32_e32 v44, v18
	v_min_u32_e32 v44, 32, v44
	s_delay_alu instid0(VALU_DEP_1) | instskip(SKIP_1) | instid1(VALU_DEP_2)
	v_subrev_nc_u32_e32 v45, 28, v44
	v_sub_nc_u32_e32 v44, 29, v44
	v_lshlrev_b64_e32 v[48:49], v45, v[18:19]
	s_delay_alu instid0(VALU_DEP_1)
	v_and_b32_e32 v18, 7, v48
; %bb.548:                              ;   in Loop: Header=BB178_425 Depth=1
	s_or_b32 exec_lo, exec_lo, s15
	s_delay_alu instid0(VALU_DEP_1) | instskip(SKIP_1) | instid1(VALU_DEP_2)
	v_dual_lshlrev_b32 v45, 24, v47 :: v_dual_lshlrev_b32 v18, 20, v18
	v_lshl_add_u32 v44, v44, 23, 0x3c000000
	v_and_b32_e32 v45, 0x80000000, v45
	s_delay_alu instid0(VALU_DEP_1) | instskip(NEXT) | instid1(VALU_DEP_1)
	v_or3_b32 v18, v18, v45, v44
	v_mov_b64_e32 v[44:45], v[18:19]
.LBB178_549:                            ;   in Loop: Header=BB178_425 Depth=1
	s_or_b32 exec_lo, exec_lo, s14
.LBB178_550:                            ;   in Loop: Header=BB178_425 Depth=1
	s_delay_alu instid0(SALU_CYCLE_1)
	s_or_b32 exec_lo, exec_lo, s13
.LBB178_551:                            ;   in Loop: Header=BB178_425 Depth=1
	s_delay_alu instid0(SALU_CYCLE_1) | instskip(NEXT) | instid1(SALU_CYCLE_1)
	s_or_b32 exec_lo, exec_lo, s11
	s_mov_b32 s11, exec_lo
	v_cmpx_lt_u32_e32 0xffffff, v46
	s_cbranch_execz .LBB178_559
; %bb.552:                              ;   in Loop: Header=BB178_425 Depth=1
	v_mov_b64_e32 v[42:43], 0x8000000000000000
	v_lshrrev_b32_e32 v47, 24, v46
	s_mov_b32 s13, exec_lo
	s_delay_alu instid0(VALU_DEP_1)
	v_cmpx_ne_u32_e32 0x80, v47
	s_cbranch_execz .LBB178_558
; %bb.553:                              ;   in Loop: Header=BB178_425 Depth=1
	v_mov_b64_e32 v[42:43], 0x7f80000100000000
	v_bfe_u32 v46, v46, 24, 7
	s_mov_b32 s14, exec_lo
	s_delay_alu instid0(VALU_DEP_1)
	v_cmpx_ne_u32_e32 0x7f, v46
	s_cbranch_execz .LBB178_557
; %bb.554:                              ;   in Loop: Header=BB178_425 Depth=1
	v_dual_lshrrev_b32 v42, 3, v46 :: v_dual_bitop2_b32 v18, 7, v47 bitop3:0x40
	s_mov_b32 s15, exec_lo
	v_cmpx_gt_u32_e32 8, v46
; %bb.555:                              ;   in Loop: Header=BB178_425 Depth=1
	s_delay_alu instid0(VALU_DEP_2) | instskip(NEXT) | instid1(VALU_DEP_1)
	v_clz_i32_u32_e32 v42, v18
	v_min_u32_e32 v42, 32, v42
	s_delay_alu instid0(VALU_DEP_1) | instskip(NEXT) | instid1(VALU_DEP_1)
	v_subrev_nc_u32_e32 v43, 28, v42
	v_lshlrev_b64_e32 v[48:49], v43, v[18:19]
	s_delay_alu instid0(VALU_DEP_1)
	v_dual_sub_nc_u32 v42, 29, v42 :: v_dual_bitop2_b32 v18, 7, v48 bitop3:0x40
; %bb.556:                              ;   in Loop: Header=BB178_425 Depth=1
	s_or_b32 exec_lo, exec_lo, s15
	s_delay_alu instid0(VALU_DEP_1) | instskip(NEXT) | instid1(VALU_DEP_2)
	v_dual_lshlrev_b32 v43, 24, v47 :: v_dual_lshlrev_b32 v18, 20, v18
	v_lshl_add_u32 v42, v42, 23, 0x3c000000
	s_delay_alu instid0(VALU_DEP_2) | instskip(NEXT) | instid1(VALU_DEP_1)
	v_and_b32_e32 v43, 0x80000000, v43
	v_or3_b32 v43, v18, v43, v42
	v_mov_b32_e32 v42, v19
.LBB178_557:                            ;   in Loop: Header=BB178_425 Depth=1
	s_or_b32 exec_lo, exec_lo, s14
.LBB178_558:                            ;   in Loop: Header=BB178_425 Depth=1
	s_delay_alu instid0(SALU_CYCLE_1)
	s_or_b32 exec_lo, exec_lo, s13
.LBB178_559:                            ;   in Loop: Header=BB178_425 Depth=1
	s_delay_alu instid0(SALU_CYCLE_1)
	s_or_b32 exec_lo, exec_lo, s11
	v_mov_b64_e32 v[46:47], s[2:3]
	v_or_b32_e32 v39, v39, v41
	v_or_b32_e32 v38, v38, v40
	;; [unrolled: 1-line block ×4, first 2 shown]
	s_delay_alu instid0(VALU_DEP_3) | instskip(NEXT) | instid1(VALU_DEP_2)
	v_pk_mul_f32 v[40:41], v[46:47], v[38:39]
	v_pk_mul_f32 v[38:39], v[46:47], v[42:43]
	s_and_saveexec_b32 s11, vcc_lo
	s_cbranch_execz .LBB178_561
; %bb.560:                              ;   in Loop: Header=BB178_425 Depth=1
	v_cmp_gt_i32_e64 s0, s24, v79
	s_delay_alu instid0(VALU_DEP_1) | instskip(SKIP_1) | instid1(VALU_DEP_1)
	v_cndmask_b32_e64 v40, 0, v40, s0
	v_cmp_gt_i32_e64 s0, s24, v82
	v_cndmask_b32_e64 v41, 0, v41, s0
	v_cmp_gt_i32_e64 s0, s24, v75
	s_delay_alu instid0(VALU_DEP_1) | instskip(SKIP_1) | instid1(VALU_DEP_1)
	v_cndmask_b32_e64 v38, 0, v38, s0
	v_cmp_gt_i32_e64 s0, s24, v74
	v_cndmask_b32_e64 v39, 0, v39, s0
.LBB178_561:                            ;   in Loop: Header=BB178_425 Depth=1
	s_or_b32 exec_lo, exec_lo, s11
	global_load_b32 v50, v[28:29], off offset:512
	v_mov_b64_e32 v[42:43], 0
	v_mov_b64_e32 v[44:45], 0
	s_mov_b32 s11, exec_lo
	s_wait_loadcnt 0x0
	v_and_b32_e32 v18, 0xff, v50
	s_delay_alu instid0(VALU_DEP_1)
	v_cmpx_ne_u16_e32 0, v18
	s_cbranch_execz .LBB178_569
; %bb.562:                              ;   in Loop: Header=BB178_425 Depth=1
	v_mov_b64_e32 v[44:45], 0x80000000
	s_mov_b32 s13, exec_lo
	v_cmpx_ne_u16_e32 0x80, v18
	s_cbranch_execz .LBB178_568
; %bb.563:                              ;   in Loop: Header=BB178_425 Depth=1
	v_mov_b64_e32 v[44:45], 0x7f800001
	v_and_b32_e32 v46, 0x7f, v50
	s_mov_b32 s14, exec_lo
	s_delay_alu instid0(VALU_DEP_1)
	v_cmpx_ne_u32_e32 0x7f, v46
	s_cbranch_execz .LBB178_567
; %bb.564:                              ;   in Loop: Header=BB178_425 Depth=1
	v_and_b32_e32 v18, 7, v50
	v_lshrrev_b32_e32 v44, 3, v46
	s_mov_b32 s15, exec_lo
	v_cmpx_gt_u32_e32 8, v46
; %bb.565:                              ;   in Loop: Header=BB178_425 Depth=1
	s_delay_alu instid0(VALU_DEP_3) | instskip(NEXT) | instid1(VALU_DEP_1)
	v_clz_i32_u32_e32 v44, v18
	v_min_u32_e32 v44, 32, v44
	s_delay_alu instid0(VALU_DEP_1) | instskip(NEXT) | instid1(VALU_DEP_1)
	v_subrev_nc_u32_e32 v45, 28, v44
	v_lshlrev_b64_e32 v[46:47], v45, v[18:19]
	s_delay_alu instid0(VALU_DEP_1)
	v_dual_sub_nc_u32 v44, 29, v44 :: v_dual_bitop2_b32 v18, 7, v46 bitop3:0x40
; %bb.566:                              ;   in Loop: Header=BB178_425 Depth=1
	s_or_b32 exec_lo, exec_lo, s15
	v_lshlrev_b32_e32 v45, 24, v50
	s_delay_alu instid0(VALU_DEP_2) | instskip(NEXT) | instid1(VALU_DEP_3)
	v_lshlrev_b32_e32 v18, 20, v18
	v_lshl_add_u32 v44, v44, 23, 0x3c000000
	s_delay_alu instid0(VALU_DEP_3) | instskip(NEXT) | instid1(VALU_DEP_1)
	v_and_b32_e32 v45, 0x80000000, v45
	v_or3_b32 v18, v18, v45, v44
	s_delay_alu instid0(VALU_DEP_1)
	v_mov_b64_e32 v[44:45], v[18:19]
.LBB178_567:                            ;   in Loop: Header=BB178_425 Depth=1
	s_or_b32 exec_lo, exec_lo, s14
.LBB178_568:                            ;   in Loop: Header=BB178_425 Depth=1
	s_delay_alu instid0(SALU_CYCLE_1)
	s_or_b32 exec_lo, exec_lo, s13
.LBB178_569:                            ;   in Loop: Header=BB178_425 Depth=1
	s_delay_alu instid0(SALU_CYCLE_1) | instskip(SKIP_2) | instid1(VALU_DEP_1)
	s_or_b32 exec_lo, exec_lo, s11
	v_lshrrev_b16 v18, 8, v50
	s_mov_b32 s11, exec_lo
	v_cmpx_ne_u16_e32 0, v18
	s_cbranch_execz .LBB178_577
; %bb.570:                              ;   in Loop: Header=BB178_425 Depth=1
	v_mov_b64_e32 v[42:43], 0x8000000000000000
	s_mov_b32 s13, exec_lo
	v_cmpx_ne_u16_e32 0x80, v18
	s_cbranch_execz .LBB178_576
; %bb.571:                              ;   in Loop: Header=BB178_425 Depth=1
	v_and_b32_e32 v18, 0xffff, v18
	v_mov_b64_e32 v[42:43], 0x7f80000100000000
	s_mov_b32 s14, exec_lo
	s_delay_alu instid0(VALU_DEP_2) | instskip(NEXT) | instid1(VALU_DEP_1)
	v_and_b32_e32 v46, 0x7f, v18
	v_cmpx_ne_u32_e32 0x7f, v46
	s_cbranch_execz .LBB178_575
; %bb.572:                              ;   in Loop: Header=BB178_425 Depth=1
	v_and_b32_e32 v18, 7, v18
	v_lshrrev_b32_e32 v42, 3, v46
	s_mov_b32 s15, exec_lo
	v_cmpx_gt_u32_e32 8, v46
; %bb.573:                              ;   in Loop: Header=BB178_425 Depth=1
	s_delay_alu instid0(VALU_DEP_3) | instskip(NEXT) | instid1(VALU_DEP_1)
	v_clz_i32_u32_e32 v42, v18
	v_min_u32_e32 v42, 32, v42
	s_delay_alu instid0(VALU_DEP_1) | instskip(SKIP_1) | instid1(VALU_DEP_2)
	v_subrev_nc_u32_e32 v43, 28, v42
	v_sub_nc_u32_e32 v42, 29, v42
	v_lshlrev_b64_e32 v[46:47], v43, v[18:19]
	s_delay_alu instid0(VALU_DEP_1)
	v_and_b32_e32 v18, 7, v46
; %bb.574:                              ;   in Loop: Header=BB178_425 Depth=1
	s_or_b32 exec_lo, exec_lo, s15
	v_lshlrev_b32_e32 v43, 16, v50
	s_delay_alu instid0(VALU_DEP_2) | instskip(SKIP_1) | instid1(VALU_DEP_3)
	v_lshlrev_b32_e32 v18, 20, v18
	v_lshl_add_u32 v42, v42, 23, 0x3c000000
	v_and_b32_e32 v43, 0x80000000, v43
	s_delay_alu instid0(VALU_DEP_1)
	v_or3_b32 v43, v18, v43, v42
	v_mov_b32_e32 v42, v19
.LBB178_575:                            ;   in Loop: Header=BB178_425 Depth=1
	s_or_b32 exec_lo, exec_lo, s14
.LBB178_576:                            ;   in Loop: Header=BB178_425 Depth=1
	s_delay_alu instid0(SALU_CYCLE_1)
	s_or_b32 exec_lo, exec_lo, s13
.LBB178_577:                            ;   in Loop: Header=BB178_425 Depth=1
	s_delay_alu instid0(SALU_CYCLE_1) | instskip(SKIP_4) | instid1(VALU_DEP_3)
	s_or_b32 exec_lo, exec_lo, s11
	v_lshrrev_b32_e32 v51, 16, v50
	v_mov_b64_e32 v[46:47], 0
	v_mov_b64_e32 v[48:49], 0
	s_mov_b32 s11, exec_lo
	v_and_b32_e32 v18, 0xff, v51
	s_delay_alu instid0(VALU_DEP_1)
	v_cmpx_ne_u16_e32 0, v18
	s_cbranch_execz .LBB178_585
; %bb.578:                              ;   in Loop: Header=BB178_425 Depth=1
	v_mov_b64_e32 v[48:49], 0x80000000
	s_mov_b32 s13, exec_lo
	v_cmpx_ne_u16_e32 0x80, v18
	s_cbranch_execz .LBB178_584
; %bb.579:                              ;   in Loop: Header=BB178_425 Depth=1
	v_mov_b64_e32 v[48:49], 0x7f800001
	v_bfe_u32 v52, v50, 16, 7
	s_mov_b32 s14, exec_lo
	s_delay_alu instid0(VALU_DEP_1)
	v_cmpx_ne_u32_e32 0x7f, v52
	s_cbranch_execz .LBB178_583
; %bb.580:                              ;   in Loop: Header=BB178_425 Depth=1
	v_dual_lshrrev_b32 v48, 3, v52 :: v_dual_bitop2_b32 v18, 7, v51 bitop3:0x40
	s_mov_b32 s15, exec_lo
	v_cmpx_gt_u32_e32 8, v52
; %bb.581:                              ;   in Loop: Header=BB178_425 Depth=1
	s_delay_alu instid0(VALU_DEP_2) | instskip(NEXT) | instid1(VALU_DEP_1)
	v_clz_i32_u32_e32 v48, v18
	v_min_u32_e32 v48, 32, v48
	s_delay_alu instid0(VALU_DEP_1) | instskip(SKIP_1) | instid1(VALU_DEP_2)
	v_subrev_nc_u32_e32 v49, 28, v48
	v_sub_nc_u32_e32 v48, 29, v48
	v_lshlrev_b64_e32 v[52:53], v49, v[18:19]
	s_delay_alu instid0(VALU_DEP_1)
	v_and_b32_e32 v18, 7, v52
; %bb.582:                              ;   in Loop: Header=BB178_425 Depth=1
	s_or_b32 exec_lo, exec_lo, s15
	s_delay_alu instid0(VALU_DEP_1) | instskip(SKIP_1) | instid1(VALU_DEP_2)
	v_dual_lshlrev_b32 v49, 24, v51 :: v_dual_lshlrev_b32 v18, 20, v18
	v_lshl_add_u32 v48, v48, 23, 0x3c000000
	v_and_b32_e32 v49, 0x80000000, v49
	s_delay_alu instid0(VALU_DEP_1) | instskip(NEXT) | instid1(VALU_DEP_1)
	v_or3_b32 v18, v18, v49, v48
	v_mov_b64_e32 v[48:49], v[18:19]
.LBB178_583:                            ;   in Loop: Header=BB178_425 Depth=1
	s_or_b32 exec_lo, exec_lo, s14
.LBB178_584:                            ;   in Loop: Header=BB178_425 Depth=1
	s_delay_alu instid0(SALU_CYCLE_1)
	s_or_b32 exec_lo, exec_lo, s13
.LBB178_585:                            ;   in Loop: Header=BB178_425 Depth=1
	s_delay_alu instid0(SALU_CYCLE_1) | instskip(NEXT) | instid1(SALU_CYCLE_1)
	s_or_b32 exec_lo, exec_lo, s11
	s_mov_b32 s11, exec_lo
	v_cmpx_lt_u32_e32 0xffffff, v50
	s_cbranch_execz .LBB178_593
; %bb.586:                              ;   in Loop: Header=BB178_425 Depth=1
	v_mov_b64_e32 v[46:47], 0x8000000000000000
	v_lshrrev_b32_e32 v51, 24, v50
	s_mov_b32 s13, exec_lo
	s_delay_alu instid0(VALU_DEP_1)
	v_cmpx_ne_u32_e32 0x80, v51
	s_cbranch_execz .LBB178_592
; %bb.587:                              ;   in Loop: Header=BB178_425 Depth=1
	v_mov_b64_e32 v[46:47], 0x7f80000100000000
	v_bfe_u32 v50, v50, 24, 7
	s_mov_b32 s14, exec_lo
	s_delay_alu instid0(VALU_DEP_1)
	v_cmpx_ne_u32_e32 0x7f, v50
	s_cbranch_execz .LBB178_591
; %bb.588:                              ;   in Loop: Header=BB178_425 Depth=1
	v_dual_lshrrev_b32 v46, 3, v50 :: v_dual_bitop2_b32 v18, 7, v51 bitop3:0x40
	s_mov_b32 s15, exec_lo
	v_cmpx_gt_u32_e32 8, v50
; %bb.589:                              ;   in Loop: Header=BB178_425 Depth=1
	s_delay_alu instid0(VALU_DEP_2) | instskip(NEXT) | instid1(VALU_DEP_1)
	v_clz_i32_u32_e32 v46, v18
	v_min_u32_e32 v46, 32, v46
	s_delay_alu instid0(VALU_DEP_1) | instskip(NEXT) | instid1(VALU_DEP_1)
	v_subrev_nc_u32_e32 v47, 28, v46
	v_lshlrev_b64_e32 v[52:53], v47, v[18:19]
	s_delay_alu instid0(VALU_DEP_1)
	v_dual_sub_nc_u32 v46, 29, v46 :: v_dual_bitop2_b32 v18, 7, v52 bitop3:0x40
; %bb.590:                              ;   in Loop: Header=BB178_425 Depth=1
	s_or_b32 exec_lo, exec_lo, s15
	s_delay_alu instid0(VALU_DEP_1) | instskip(NEXT) | instid1(VALU_DEP_2)
	v_dual_lshlrev_b32 v47, 24, v51 :: v_dual_lshlrev_b32 v18, 20, v18
	v_lshl_add_u32 v46, v46, 23, 0x3c000000
	s_delay_alu instid0(VALU_DEP_2) | instskip(NEXT) | instid1(VALU_DEP_1)
	v_and_b32_e32 v47, 0x80000000, v47
	v_or3_b32 v47, v18, v47, v46
	v_mov_b32_e32 v46, v19
.LBB178_591:                            ;   in Loop: Header=BB178_425 Depth=1
	s_or_b32 exec_lo, exec_lo, s14
.LBB178_592:                            ;   in Loop: Header=BB178_425 Depth=1
	s_delay_alu instid0(SALU_CYCLE_1)
	s_or_b32 exec_lo, exec_lo, s13
.LBB178_593:                            ;   in Loop: Header=BB178_425 Depth=1
	s_delay_alu instid0(SALU_CYCLE_1)
	s_or_b32 exec_lo, exec_lo, s11
	v_mov_b64_e32 v[50:51], s[2:3]
	v_or_b32_e32 v43, v43, v45
	v_or_b32_e32 v42, v42, v44
	;; [unrolled: 1-line block ×4, first 2 shown]
	s_delay_alu instid0(VALU_DEP_3) | instskip(NEXT) | instid1(VALU_DEP_2)
	v_pk_mul_f32 v[44:45], v[50:51], v[42:43]
	v_pk_mul_f32 v[42:43], v[50:51], v[46:47]
	s_and_saveexec_b32 s11, vcc_lo
	s_cbranch_execz .LBB178_595
; %bb.594:                              ;   in Loop: Header=BB178_425 Depth=1
	v_cmp_gt_i32_e64 s0, s24, v79
	s_delay_alu instid0(VALU_DEP_1) | instskip(SKIP_1) | instid1(VALU_DEP_1)
	v_cndmask_b32_e64 v44, 0, v44, s0
	v_cmp_gt_i32_e64 s0, s24, v82
	v_cndmask_b32_e64 v45, 0, v45, s0
	v_cmp_gt_i32_e64 s0, s24, v75
	s_delay_alu instid0(VALU_DEP_1) | instskip(SKIP_1) | instid1(VALU_DEP_1)
	v_cndmask_b32_e64 v42, 0, v42, s0
	v_cmp_gt_i32_e64 s0, s24, v74
	v_cndmask_b32_e64 v43, 0, v43, s0
.LBB178_595:                            ;   in Loop: Header=BB178_425 Depth=1
	s_or_b32 exec_lo, exec_lo, s11
	global_load_b32 v54, v[28:29], off offset:640
	v_mov_b64_e32 v[46:47], 0
	v_mov_b64_e32 v[48:49], 0
	s_mov_b32 s11, exec_lo
	s_wait_loadcnt 0x0
	v_and_b32_e32 v18, 0xff, v54
	s_delay_alu instid0(VALU_DEP_1)
	v_cmpx_ne_u16_e32 0, v18
	s_cbranch_execz .LBB178_603
; %bb.596:                              ;   in Loop: Header=BB178_425 Depth=1
	v_mov_b64_e32 v[48:49], 0x80000000
	s_mov_b32 s13, exec_lo
	v_cmpx_ne_u16_e32 0x80, v18
	s_cbranch_execz .LBB178_602
; %bb.597:                              ;   in Loop: Header=BB178_425 Depth=1
	v_mov_b64_e32 v[48:49], 0x7f800001
	v_and_b32_e32 v50, 0x7f, v54
	s_mov_b32 s14, exec_lo
	s_delay_alu instid0(VALU_DEP_1)
	v_cmpx_ne_u32_e32 0x7f, v50
	s_cbranch_execz .LBB178_601
; %bb.598:                              ;   in Loop: Header=BB178_425 Depth=1
	v_and_b32_e32 v18, 7, v54
	v_lshrrev_b32_e32 v48, 3, v50
	s_mov_b32 s15, exec_lo
	v_cmpx_gt_u32_e32 8, v50
; %bb.599:                              ;   in Loop: Header=BB178_425 Depth=1
	s_delay_alu instid0(VALU_DEP_3) | instskip(NEXT) | instid1(VALU_DEP_1)
	v_clz_i32_u32_e32 v48, v18
	v_min_u32_e32 v48, 32, v48
	s_delay_alu instid0(VALU_DEP_1) | instskip(NEXT) | instid1(VALU_DEP_1)
	v_subrev_nc_u32_e32 v49, 28, v48
	v_lshlrev_b64_e32 v[50:51], v49, v[18:19]
	s_delay_alu instid0(VALU_DEP_1)
	v_dual_sub_nc_u32 v48, 29, v48 :: v_dual_bitop2_b32 v18, 7, v50 bitop3:0x40
; %bb.600:                              ;   in Loop: Header=BB178_425 Depth=1
	s_or_b32 exec_lo, exec_lo, s15
	v_lshlrev_b32_e32 v49, 24, v54
	s_delay_alu instid0(VALU_DEP_2) | instskip(NEXT) | instid1(VALU_DEP_3)
	v_lshlrev_b32_e32 v18, 20, v18
	v_lshl_add_u32 v48, v48, 23, 0x3c000000
	s_delay_alu instid0(VALU_DEP_3) | instskip(NEXT) | instid1(VALU_DEP_1)
	v_and_b32_e32 v49, 0x80000000, v49
	v_or3_b32 v18, v18, v49, v48
	s_delay_alu instid0(VALU_DEP_1)
	v_mov_b64_e32 v[48:49], v[18:19]
.LBB178_601:                            ;   in Loop: Header=BB178_425 Depth=1
	s_or_b32 exec_lo, exec_lo, s14
.LBB178_602:                            ;   in Loop: Header=BB178_425 Depth=1
	s_delay_alu instid0(SALU_CYCLE_1)
	s_or_b32 exec_lo, exec_lo, s13
.LBB178_603:                            ;   in Loop: Header=BB178_425 Depth=1
	s_delay_alu instid0(SALU_CYCLE_1) | instskip(SKIP_2) | instid1(VALU_DEP_1)
	s_or_b32 exec_lo, exec_lo, s11
	v_lshrrev_b16 v18, 8, v54
	s_mov_b32 s11, exec_lo
	v_cmpx_ne_u16_e32 0, v18
	s_cbranch_execz .LBB178_611
; %bb.604:                              ;   in Loop: Header=BB178_425 Depth=1
	v_mov_b64_e32 v[46:47], 0x8000000000000000
	s_mov_b32 s13, exec_lo
	v_cmpx_ne_u16_e32 0x80, v18
	s_cbranch_execz .LBB178_610
; %bb.605:                              ;   in Loop: Header=BB178_425 Depth=1
	v_and_b32_e32 v18, 0xffff, v18
	v_mov_b64_e32 v[46:47], 0x7f80000100000000
	s_mov_b32 s14, exec_lo
	s_delay_alu instid0(VALU_DEP_2) | instskip(NEXT) | instid1(VALU_DEP_1)
	v_and_b32_e32 v50, 0x7f, v18
	v_cmpx_ne_u32_e32 0x7f, v50
	s_cbranch_execz .LBB178_609
; %bb.606:                              ;   in Loop: Header=BB178_425 Depth=1
	v_and_b32_e32 v18, 7, v18
	v_lshrrev_b32_e32 v46, 3, v50
	s_mov_b32 s15, exec_lo
	v_cmpx_gt_u32_e32 8, v50
; %bb.607:                              ;   in Loop: Header=BB178_425 Depth=1
	s_delay_alu instid0(VALU_DEP_3) | instskip(NEXT) | instid1(VALU_DEP_1)
	v_clz_i32_u32_e32 v46, v18
	v_min_u32_e32 v46, 32, v46
	s_delay_alu instid0(VALU_DEP_1) | instskip(SKIP_1) | instid1(VALU_DEP_2)
	v_subrev_nc_u32_e32 v47, 28, v46
	v_sub_nc_u32_e32 v46, 29, v46
	v_lshlrev_b64_e32 v[50:51], v47, v[18:19]
	s_delay_alu instid0(VALU_DEP_1)
	v_and_b32_e32 v18, 7, v50
; %bb.608:                              ;   in Loop: Header=BB178_425 Depth=1
	s_or_b32 exec_lo, exec_lo, s15
	v_lshlrev_b32_e32 v47, 16, v54
	s_delay_alu instid0(VALU_DEP_2) | instskip(SKIP_1) | instid1(VALU_DEP_3)
	v_lshlrev_b32_e32 v18, 20, v18
	v_lshl_add_u32 v46, v46, 23, 0x3c000000
	v_and_b32_e32 v47, 0x80000000, v47
	s_delay_alu instid0(VALU_DEP_1)
	v_or3_b32 v47, v18, v47, v46
	v_mov_b32_e32 v46, v19
.LBB178_609:                            ;   in Loop: Header=BB178_425 Depth=1
	s_or_b32 exec_lo, exec_lo, s14
.LBB178_610:                            ;   in Loop: Header=BB178_425 Depth=1
	s_delay_alu instid0(SALU_CYCLE_1)
	s_or_b32 exec_lo, exec_lo, s13
.LBB178_611:                            ;   in Loop: Header=BB178_425 Depth=1
	s_delay_alu instid0(SALU_CYCLE_1) | instskip(SKIP_4) | instid1(VALU_DEP_3)
	s_or_b32 exec_lo, exec_lo, s11
	v_lshrrev_b32_e32 v55, 16, v54
	v_mov_b64_e32 v[50:51], 0
	v_mov_b64_e32 v[52:53], 0
	s_mov_b32 s11, exec_lo
	v_and_b32_e32 v18, 0xff, v55
	s_delay_alu instid0(VALU_DEP_1)
	v_cmpx_ne_u16_e32 0, v18
	s_cbranch_execz .LBB178_619
; %bb.612:                              ;   in Loop: Header=BB178_425 Depth=1
	v_mov_b64_e32 v[52:53], 0x80000000
	s_mov_b32 s13, exec_lo
	v_cmpx_ne_u16_e32 0x80, v18
	s_cbranch_execz .LBB178_618
; %bb.613:                              ;   in Loop: Header=BB178_425 Depth=1
	v_mov_b64_e32 v[52:53], 0x7f800001
	v_bfe_u32 v56, v54, 16, 7
	s_mov_b32 s14, exec_lo
	s_delay_alu instid0(VALU_DEP_1)
	v_cmpx_ne_u32_e32 0x7f, v56
	s_cbranch_execz .LBB178_617
; %bb.614:                              ;   in Loop: Header=BB178_425 Depth=1
	v_dual_lshrrev_b32 v52, 3, v56 :: v_dual_bitop2_b32 v18, 7, v55 bitop3:0x40
	s_mov_b32 s15, exec_lo
	v_cmpx_gt_u32_e32 8, v56
; %bb.615:                              ;   in Loop: Header=BB178_425 Depth=1
	s_delay_alu instid0(VALU_DEP_2) | instskip(NEXT) | instid1(VALU_DEP_1)
	v_clz_i32_u32_e32 v52, v18
	v_min_u32_e32 v52, 32, v52
	s_delay_alu instid0(VALU_DEP_1) | instskip(SKIP_1) | instid1(VALU_DEP_2)
	v_subrev_nc_u32_e32 v53, 28, v52
	v_sub_nc_u32_e32 v52, 29, v52
	v_lshlrev_b64_e32 v[56:57], v53, v[18:19]
	s_delay_alu instid0(VALU_DEP_1)
	v_and_b32_e32 v18, 7, v56
; %bb.616:                              ;   in Loop: Header=BB178_425 Depth=1
	s_or_b32 exec_lo, exec_lo, s15
	s_delay_alu instid0(VALU_DEP_1) | instskip(SKIP_1) | instid1(VALU_DEP_2)
	v_dual_lshlrev_b32 v53, 24, v55 :: v_dual_lshlrev_b32 v18, 20, v18
	v_lshl_add_u32 v52, v52, 23, 0x3c000000
	v_and_b32_e32 v53, 0x80000000, v53
	s_delay_alu instid0(VALU_DEP_1) | instskip(NEXT) | instid1(VALU_DEP_1)
	v_or3_b32 v18, v18, v53, v52
	v_mov_b64_e32 v[52:53], v[18:19]
.LBB178_617:                            ;   in Loop: Header=BB178_425 Depth=1
	s_or_b32 exec_lo, exec_lo, s14
.LBB178_618:                            ;   in Loop: Header=BB178_425 Depth=1
	s_delay_alu instid0(SALU_CYCLE_1)
	s_or_b32 exec_lo, exec_lo, s13
.LBB178_619:                            ;   in Loop: Header=BB178_425 Depth=1
	s_delay_alu instid0(SALU_CYCLE_1) | instskip(NEXT) | instid1(SALU_CYCLE_1)
	s_or_b32 exec_lo, exec_lo, s11
	s_mov_b32 s11, exec_lo
	v_cmpx_lt_u32_e32 0xffffff, v54
	s_cbranch_execz .LBB178_627
; %bb.620:                              ;   in Loop: Header=BB178_425 Depth=1
	v_mov_b64_e32 v[50:51], 0x8000000000000000
	v_lshrrev_b32_e32 v55, 24, v54
	s_mov_b32 s13, exec_lo
	s_delay_alu instid0(VALU_DEP_1)
	v_cmpx_ne_u32_e32 0x80, v55
	s_cbranch_execz .LBB178_626
; %bb.621:                              ;   in Loop: Header=BB178_425 Depth=1
	v_mov_b64_e32 v[50:51], 0x7f80000100000000
	v_bfe_u32 v54, v54, 24, 7
	s_mov_b32 s14, exec_lo
	s_delay_alu instid0(VALU_DEP_1)
	v_cmpx_ne_u32_e32 0x7f, v54
	s_cbranch_execz .LBB178_625
; %bb.622:                              ;   in Loop: Header=BB178_425 Depth=1
	v_dual_lshrrev_b32 v50, 3, v54 :: v_dual_bitop2_b32 v18, 7, v55 bitop3:0x40
	s_mov_b32 s15, exec_lo
	v_cmpx_gt_u32_e32 8, v54
; %bb.623:                              ;   in Loop: Header=BB178_425 Depth=1
	s_delay_alu instid0(VALU_DEP_2) | instskip(NEXT) | instid1(VALU_DEP_1)
	v_clz_i32_u32_e32 v50, v18
	v_min_u32_e32 v50, 32, v50
	s_delay_alu instid0(VALU_DEP_1) | instskip(NEXT) | instid1(VALU_DEP_1)
	v_subrev_nc_u32_e32 v51, 28, v50
	v_lshlrev_b64_e32 v[56:57], v51, v[18:19]
	s_delay_alu instid0(VALU_DEP_1)
	v_dual_sub_nc_u32 v50, 29, v50 :: v_dual_bitop2_b32 v18, 7, v56 bitop3:0x40
; %bb.624:                              ;   in Loop: Header=BB178_425 Depth=1
	s_or_b32 exec_lo, exec_lo, s15
	s_delay_alu instid0(VALU_DEP_1) | instskip(NEXT) | instid1(VALU_DEP_2)
	v_dual_lshlrev_b32 v51, 24, v55 :: v_dual_lshlrev_b32 v18, 20, v18
	v_lshl_add_u32 v50, v50, 23, 0x3c000000
	s_delay_alu instid0(VALU_DEP_2) | instskip(NEXT) | instid1(VALU_DEP_1)
	v_and_b32_e32 v51, 0x80000000, v51
	v_or3_b32 v51, v18, v51, v50
	v_mov_b32_e32 v50, v19
.LBB178_625:                            ;   in Loop: Header=BB178_425 Depth=1
	s_or_b32 exec_lo, exec_lo, s14
.LBB178_626:                            ;   in Loop: Header=BB178_425 Depth=1
	s_delay_alu instid0(SALU_CYCLE_1)
	s_or_b32 exec_lo, exec_lo, s13
.LBB178_627:                            ;   in Loop: Header=BB178_425 Depth=1
	s_delay_alu instid0(SALU_CYCLE_1)
	s_or_b32 exec_lo, exec_lo, s11
	v_mov_b64_e32 v[54:55], s[2:3]
	v_or_b32_e32 v47, v47, v49
	v_or_b32_e32 v46, v46, v48
	;; [unrolled: 1-line block ×4, first 2 shown]
	s_delay_alu instid0(VALU_DEP_3) | instskip(NEXT) | instid1(VALU_DEP_2)
	v_pk_mul_f32 v[48:49], v[54:55], v[46:47]
	v_pk_mul_f32 v[46:47], v[54:55], v[50:51]
	s_and_saveexec_b32 s11, vcc_lo
	s_cbranch_execz .LBB178_629
; %bb.628:                              ;   in Loop: Header=BB178_425 Depth=1
	v_cmp_gt_i32_e64 s0, s24, v79
	s_delay_alu instid0(VALU_DEP_1) | instskip(SKIP_1) | instid1(VALU_DEP_1)
	v_cndmask_b32_e64 v48, 0, v48, s0
	v_cmp_gt_i32_e64 s0, s24, v82
	v_cndmask_b32_e64 v49, 0, v49, s0
	v_cmp_gt_i32_e64 s0, s24, v75
	s_delay_alu instid0(VALU_DEP_1) | instskip(SKIP_1) | instid1(VALU_DEP_1)
	v_cndmask_b32_e64 v46, 0, v46, s0
	v_cmp_gt_i32_e64 s0, s24, v74
	v_cndmask_b32_e64 v47, 0, v47, s0
.LBB178_629:                            ;   in Loop: Header=BB178_425 Depth=1
	s_or_b32 exec_lo, exec_lo, s11
	global_load_b32 v58, v[28:29], off offset:768
	v_mov_b64_e32 v[50:51], 0
	v_mov_b64_e32 v[52:53], 0
	s_mov_b32 s11, exec_lo
	s_wait_loadcnt 0x0
	v_and_b32_e32 v18, 0xff, v58
	s_delay_alu instid0(VALU_DEP_1)
	v_cmpx_ne_u16_e32 0, v18
	s_cbranch_execz .LBB178_637
; %bb.630:                              ;   in Loop: Header=BB178_425 Depth=1
	v_mov_b64_e32 v[52:53], 0x80000000
	s_mov_b32 s13, exec_lo
	v_cmpx_ne_u16_e32 0x80, v18
	s_cbranch_execz .LBB178_636
; %bb.631:                              ;   in Loop: Header=BB178_425 Depth=1
	v_mov_b64_e32 v[52:53], 0x7f800001
	v_and_b32_e32 v54, 0x7f, v58
	s_mov_b32 s14, exec_lo
	s_delay_alu instid0(VALU_DEP_1)
	v_cmpx_ne_u32_e32 0x7f, v54
	s_cbranch_execz .LBB178_635
; %bb.632:                              ;   in Loop: Header=BB178_425 Depth=1
	v_and_b32_e32 v18, 7, v58
	v_lshrrev_b32_e32 v52, 3, v54
	s_mov_b32 s15, exec_lo
	v_cmpx_gt_u32_e32 8, v54
; %bb.633:                              ;   in Loop: Header=BB178_425 Depth=1
	s_delay_alu instid0(VALU_DEP_3) | instskip(NEXT) | instid1(VALU_DEP_1)
	v_clz_i32_u32_e32 v52, v18
	v_min_u32_e32 v52, 32, v52
	s_delay_alu instid0(VALU_DEP_1) | instskip(NEXT) | instid1(VALU_DEP_1)
	v_subrev_nc_u32_e32 v53, 28, v52
	v_lshlrev_b64_e32 v[54:55], v53, v[18:19]
	s_delay_alu instid0(VALU_DEP_1)
	v_dual_sub_nc_u32 v52, 29, v52 :: v_dual_bitop2_b32 v18, 7, v54 bitop3:0x40
; %bb.634:                              ;   in Loop: Header=BB178_425 Depth=1
	s_or_b32 exec_lo, exec_lo, s15
	v_lshlrev_b32_e32 v53, 24, v58
	s_delay_alu instid0(VALU_DEP_2) | instskip(NEXT) | instid1(VALU_DEP_3)
	v_lshlrev_b32_e32 v18, 20, v18
	v_lshl_add_u32 v52, v52, 23, 0x3c000000
	s_delay_alu instid0(VALU_DEP_3) | instskip(NEXT) | instid1(VALU_DEP_1)
	v_and_b32_e32 v53, 0x80000000, v53
	v_or3_b32 v18, v18, v53, v52
	s_delay_alu instid0(VALU_DEP_1)
	v_mov_b64_e32 v[52:53], v[18:19]
.LBB178_635:                            ;   in Loop: Header=BB178_425 Depth=1
	s_or_b32 exec_lo, exec_lo, s14
.LBB178_636:                            ;   in Loop: Header=BB178_425 Depth=1
	s_delay_alu instid0(SALU_CYCLE_1)
	s_or_b32 exec_lo, exec_lo, s13
.LBB178_637:                            ;   in Loop: Header=BB178_425 Depth=1
	s_delay_alu instid0(SALU_CYCLE_1) | instskip(SKIP_2) | instid1(VALU_DEP_1)
	s_or_b32 exec_lo, exec_lo, s11
	v_lshrrev_b16 v18, 8, v58
	s_mov_b32 s11, exec_lo
	v_cmpx_ne_u16_e32 0, v18
	s_cbranch_execz .LBB178_645
; %bb.638:                              ;   in Loop: Header=BB178_425 Depth=1
	v_mov_b64_e32 v[50:51], 0x8000000000000000
	s_mov_b32 s13, exec_lo
	v_cmpx_ne_u16_e32 0x80, v18
	s_cbranch_execz .LBB178_644
; %bb.639:                              ;   in Loop: Header=BB178_425 Depth=1
	v_and_b32_e32 v18, 0xffff, v18
	v_mov_b64_e32 v[50:51], 0x7f80000100000000
	s_mov_b32 s14, exec_lo
	s_delay_alu instid0(VALU_DEP_2) | instskip(NEXT) | instid1(VALU_DEP_1)
	v_and_b32_e32 v54, 0x7f, v18
	v_cmpx_ne_u32_e32 0x7f, v54
	s_cbranch_execz .LBB178_643
; %bb.640:                              ;   in Loop: Header=BB178_425 Depth=1
	v_and_b32_e32 v18, 7, v18
	v_lshrrev_b32_e32 v50, 3, v54
	s_mov_b32 s15, exec_lo
	v_cmpx_gt_u32_e32 8, v54
; %bb.641:                              ;   in Loop: Header=BB178_425 Depth=1
	s_delay_alu instid0(VALU_DEP_3) | instskip(NEXT) | instid1(VALU_DEP_1)
	v_clz_i32_u32_e32 v50, v18
	v_min_u32_e32 v50, 32, v50
	s_delay_alu instid0(VALU_DEP_1) | instskip(SKIP_1) | instid1(VALU_DEP_2)
	v_subrev_nc_u32_e32 v51, 28, v50
	v_sub_nc_u32_e32 v50, 29, v50
	v_lshlrev_b64_e32 v[54:55], v51, v[18:19]
	s_delay_alu instid0(VALU_DEP_1)
	v_and_b32_e32 v18, 7, v54
; %bb.642:                              ;   in Loop: Header=BB178_425 Depth=1
	s_or_b32 exec_lo, exec_lo, s15
	v_lshlrev_b32_e32 v51, 16, v58
	s_delay_alu instid0(VALU_DEP_2) | instskip(SKIP_1) | instid1(VALU_DEP_3)
	v_lshlrev_b32_e32 v18, 20, v18
	v_lshl_add_u32 v50, v50, 23, 0x3c000000
	v_and_b32_e32 v51, 0x80000000, v51
	s_delay_alu instid0(VALU_DEP_1)
	v_or3_b32 v51, v18, v51, v50
	v_mov_b32_e32 v50, v19
.LBB178_643:                            ;   in Loop: Header=BB178_425 Depth=1
	s_or_b32 exec_lo, exec_lo, s14
.LBB178_644:                            ;   in Loop: Header=BB178_425 Depth=1
	s_delay_alu instid0(SALU_CYCLE_1)
	s_or_b32 exec_lo, exec_lo, s13
.LBB178_645:                            ;   in Loop: Header=BB178_425 Depth=1
	s_delay_alu instid0(SALU_CYCLE_1) | instskip(SKIP_4) | instid1(VALU_DEP_3)
	s_or_b32 exec_lo, exec_lo, s11
	v_lshrrev_b32_e32 v59, 16, v58
	v_mov_b64_e32 v[54:55], 0
	v_mov_b64_e32 v[56:57], 0
	s_mov_b32 s11, exec_lo
	v_and_b32_e32 v18, 0xff, v59
	s_delay_alu instid0(VALU_DEP_1)
	v_cmpx_ne_u16_e32 0, v18
	s_cbranch_execz .LBB178_653
; %bb.646:                              ;   in Loop: Header=BB178_425 Depth=1
	v_mov_b64_e32 v[56:57], 0x80000000
	s_mov_b32 s13, exec_lo
	v_cmpx_ne_u16_e32 0x80, v18
	s_cbranch_execz .LBB178_652
; %bb.647:                              ;   in Loop: Header=BB178_425 Depth=1
	v_mov_b64_e32 v[56:57], 0x7f800001
	v_bfe_u32 v60, v58, 16, 7
	s_mov_b32 s14, exec_lo
	s_delay_alu instid0(VALU_DEP_1)
	v_cmpx_ne_u32_e32 0x7f, v60
	s_cbranch_execz .LBB178_651
; %bb.648:                              ;   in Loop: Header=BB178_425 Depth=1
	v_dual_lshrrev_b32 v56, 3, v60 :: v_dual_bitop2_b32 v18, 7, v59 bitop3:0x40
	s_mov_b32 s15, exec_lo
	v_cmpx_gt_u32_e32 8, v60
; %bb.649:                              ;   in Loop: Header=BB178_425 Depth=1
	s_delay_alu instid0(VALU_DEP_2) | instskip(NEXT) | instid1(VALU_DEP_1)
	v_clz_i32_u32_e32 v56, v18
	v_min_u32_e32 v56, 32, v56
	s_delay_alu instid0(VALU_DEP_1) | instskip(SKIP_1) | instid1(VALU_DEP_2)
	v_subrev_nc_u32_e32 v57, 28, v56
	v_sub_nc_u32_e32 v56, 29, v56
	v_lshlrev_b64_e32 v[60:61], v57, v[18:19]
	s_delay_alu instid0(VALU_DEP_1)
	v_and_b32_e32 v18, 7, v60
; %bb.650:                              ;   in Loop: Header=BB178_425 Depth=1
	s_or_b32 exec_lo, exec_lo, s15
	s_delay_alu instid0(VALU_DEP_1) | instskip(SKIP_1) | instid1(VALU_DEP_2)
	v_dual_lshlrev_b32 v57, 24, v59 :: v_dual_lshlrev_b32 v18, 20, v18
	v_lshl_add_u32 v56, v56, 23, 0x3c000000
	v_and_b32_e32 v57, 0x80000000, v57
	s_delay_alu instid0(VALU_DEP_1) | instskip(NEXT) | instid1(VALU_DEP_1)
	v_or3_b32 v18, v18, v57, v56
	v_mov_b64_e32 v[56:57], v[18:19]
.LBB178_651:                            ;   in Loop: Header=BB178_425 Depth=1
	s_or_b32 exec_lo, exec_lo, s14
.LBB178_652:                            ;   in Loop: Header=BB178_425 Depth=1
	s_delay_alu instid0(SALU_CYCLE_1)
	s_or_b32 exec_lo, exec_lo, s13
.LBB178_653:                            ;   in Loop: Header=BB178_425 Depth=1
	s_delay_alu instid0(SALU_CYCLE_1) | instskip(NEXT) | instid1(SALU_CYCLE_1)
	s_or_b32 exec_lo, exec_lo, s11
	s_mov_b32 s11, exec_lo
	v_cmpx_lt_u32_e32 0xffffff, v58
	s_cbranch_execz .LBB178_661
; %bb.654:                              ;   in Loop: Header=BB178_425 Depth=1
	v_mov_b64_e32 v[54:55], 0x8000000000000000
	v_lshrrev_b32_e32 v59, 24, v58
	s_mov_b32 s13, exec_lo
	s_delay_alu instid0(VALU_DEP_1)
	v_cmpx_ne_u32_e32 0x80, v59
	s_cbranch_execz .LBB178_660
; %bb.655:                              ;   in Loop: Header=BB178_425 Depth=1
	v_mov_b64_e32 v[54:55], 0x7f80000100000000
	v_bfe_u32 v58, v58, 24, 7
	s_mov_b32 s14, exec_lo
	s_delay_alu instid0(VALU_DEP_1)
	v_cmpx_ne_u32_e32 0x7f, v58
	s_cbranch_execz .LBB178_659
; %bb.656:                              ;   in Loop: Header=BB178_425 Depth=1
	v_dual_lshrrev_b32 v54, 3, v58 :: v_dual_bitop2_b32 v18, 7, v59 bitop3:0x40
	s_mov_b32 s15, exec_lo
	v_cmpx_gt_u32_e32 8, v58
; %bb.657:                              ;   in Loop: Header=BB178_425 Depth=1
	s_delay_alu instid0(VALU_DEP_2) | instskip(NEXT) | instid1(VALU_DEP_1)
	v_clz_i32_u32_e32 v54, v18
	v_min_u32_e32 v54, 32, v54
	s_delay_alu instid0(VALU_DEP_1) | instskip(NEXT) | instid1(VALU_DEP_1)
	v_subrev_nc_u32_e32 v55, 28, v54
	v_lshlrev_b64_e32 v[60:61], v55, v[18:19]
	s_delay_alu instid0(VALU_DEP_1)
	v_dual_sub_nc_u32 v54, 29, v54 :: v_dual_bitop2_b32 v18, 7, v60 bitop3:0x40
; %bb.658:                              ;   in Loop: Header=BB178_425 Depth=1
	s_or_b32 exec_lo, exec_lo, s15
	s_delay_alu instid0(VALU_DEP_1) | instskip(NEXT) | instid1(VALU_DEP_2)
	v_dual_lshlrev_b32 v55, 24, v59 :: v_dual_lshlrev_b32 v18, 20, v18
	v_lshl_add_u32 v54, v54, 23, 0x3c000000
	s_delay_alu instid0(VALU_DEP_2) | instskip(NEXT) | instid1(VALU_DEP_1)
	v_and_b32_e32 v55, 0x80000000, v55
	v_or3_b32 v55, v18, v55, v54
	v_mov_b32_e32 v54, v19
.LBB178_659:                            ;   in Loop: Header=BB178_425 Depth=1
	s_or_b32 exec_lo, exec_lo, s14
.LBB178_660:                            ;   in Loop: Header=BB178_425 Depth=1
	s_delay_alu instid0(SALU_CYCLE_1)
	s_or_b32 exec_lo, exec_lo, s13
.LBB178_661:                            ;   in Loop: Header=BB178_425 Depth=1
	s_delay_alu instid0(SALU_CYCLE_1)
	s_or_b32 exec_lo, exec_lo, s11
	v_mov_b64_e32 v[58:59], s[2:3]
	v_or_b32_e32 v51, v51, v53
	v_or_b32_e32 v50, v50, v52
	;; [unrolled: 1-line block ×4, first 2 shown]
	s_delay_alu instid0(VALU_DEP_3) | instskip(NEXT) | instid1(VALU_DEP_2)
	v_pk_mul_f32 v[52:53], v[58:59], v[50:51]
	v_pk_mul_f32 v[50:51], v[58:59], v[54:55]
	s_and_saveexec_b32 s11, vcc_lo
	s_cbranch_execz .LBB178_663
; %bb.662:                              ;   in Loop: Header=BB178_425 Depth=1
	v_cmp_gt_i32_e64 s0, s24, v79
	s_delay_alu instid0(VALU_DEP_1) | instskip(SKIP_1) | instid1(VALU_DEP_1)
	v_cndmask_b32_e64 v52, 0, v52, s0
	v_cmp_gt_i32_e64 s0, s24, v82
	v_cndmask_b32_e64 v53, 0, v53, s0
	v_cmp_gt_i32_e64 s0, s24, v75
	s_delay_alu instid0(VALU_DEP_1) | instskip(SKIP_1) | instid1(VALU_DEP_1)
	v_cndmask_b32_e64 v50, 0, v50, s0
	v_cmp_gt_i32_e64 s0, s24, v74
	v_cndmask_b32_e64 v51, 0, v51, s0
.LBB178_663:                            ;   in Loop: Header=BB178_425 Depth=1
	s_or_b32 exec_lo, exec_lo, s11
	global_load_b32 v62, v[28:29], off offset:896
	v_mov_b64_e32 v[54:55], 0
	v_mov_b64_e32 v[56:57], 0
	s_mov_b32 s11, exec_lo
	s_wait_loadcnt 0x0
	v_and_b32_e32 v18, 0xff, v62
	s_delay_alu instid0(VALU_DEP_1)
	v_cmpx_ne_u16_e32 0, v18
	s_cbranch_execz .LBB178_671
; %bb.664:                              ;   in Loop: Header=BB178_425 Depth=1
	v_mov_b64_e32 v[56:57], 0x80000000
	s_mov_b32 s13, exec_lo
	v_cmpx_ne_u16_e32 0x80, v18
	s_cbranch_execz .LBB178_670
; %bb.665:                              ;   in Loop: Header=BB178_425 Depth=1
	v_mov_b64_e32 v[56:57], 0x7f800001
	v_and_b32_e32 v58, 0x7f, v62
	s_mov_b32 s14, exec_lo
	s_delay_alu instid0(VALU_DEP_1)
	v_cmpx_ne_u32_e32 0x7f, v58
	s_cbranch_execz .LBB178_669
; %bb.666:                              ;   in Loop: Header=BB178_425 Depth=1
	v_and_b32_e32 v18, 7, v62
	v_lshrrev_b32_e32 v56, 3, v58
	s_mov_b32 s15, exec_lo
	v_cmpx_gt_u32_e32 8, v58
; %bb.667:                              ;   in Loop: Header=BB178_425 Depth=1
	s_delay_alu instid0(VALU_DEP_3) | instskip(NEXT) | instid1(VALU_DEP_1)
	v_clz_i32_u32_e32 v56, v18
	v_min_u32_e32 v56, 32, v56
	s_delay_alu instid0(VALU_DEP_1) | instskip(NEXT) | instid1(VALU_DEP_1)
	v_subrev_nc_u32_e32 v57, 28, v56
	v_lshlrev_b64_e32 v[58:59], v57, v[18:19]
	s_delay_alu instid0(VALU_DEP_1)
	v_dual_sub_nc_u32 v56, 29, v56 :: v_dual_bitop2_b32 v18, 7, v58 bitop3:0x40
; %bb.668:                              ;   in Loop: Header=BB178_425 Depth=1
	s_or_b32 exec_lo, exec_lo, s15
	v_lshlrev_b32_e32 v57, 24, v62
	s_delay_alu instid0(VALU_DEP_2) | instskip(NEXT) | instid1(VALU_DEP_3)
	v_lshlrev_b32_e32 v18, 20, v18
	v_lshl_add_u32 v56, v56, 23, 0x3c000000
	s_delay_alu instid0(VALU_DEP_3) | instskip(NEXT) | instid1(VALU_DEP_1)
	v_and_b32_e32 v57, 0x80000000, v57
	v_or3_b32 v18, v18, v57, v56
	s_delay_alu instid0(VALU_DEP_1)
	v_mov_b64_e32 v[56:57], v[18:19]
.LBB178_669:                            ;   in Loop: Header=BB178_425 Depth=1
	s_or_b32 exec_lo, exec_lo, s14
.LBB178_670:                            ;   in Loop: Header=BB178_425 Depth=1
	s_delay_alu instid0(SALU_CYCLE_1)
	s_or_b32 exec_lo, exec_lo, s13
.LBB178_671:                            ;   in Loop: Header=BB178_425 Depth=1
	s_delay_alu instid0(SALU_CYCLE_1) | instskip(SKIP_2) | instid1(VALU_DEP_1)
	s_or_b32 exec_lo, exec_lo, s11
	v_lshrrev_b16 v18, 8, v62
	s_mov_b32 s11, exec_lo
	v_cmpx_ne_u16_e32 0, v18
	s_cbranch_execz .LBB178_679
; %bb.672:                              ;   in Loop: Header=BB178_425 Depth=1
	v_mov_b64_e32 v[54:55], 0x8000000000000000
	s_mov_b32 s13, exec_lo
	v_cmpx_ne_u16_e32 0x80, v18
	s_cbranch_execz .LBB178_678
; %bb.673:                              ;   in Loop: Header=BB178_425 Depth=1
	v_and_b32_e32 v18, 0xffff, v18
	v_mov_b64_e32 v[54:55], 0x7f80000100000000
	s_mov_b32 s14, exec_lo
	s_delay_alu instid0(VALU_DEP_2) | instskip(NEXT) | instid1(VALU_DEP_1)
	v_and_b32_e32 v58, 0x7f, v18
	v_cmpx_ne_u32_e32 0x7f, v58
	s_cbranch_execz .LBB178_677
; %bb.674:                              ;   in Loop: Header=BB178_425 Depth=1
	v_and_b32_e32 v18, 7, v18
	v_lshrrev_b32_e32 v54, 3, v58
	s_mov_b32 s15, exec_lo
	v_cmpx_gt_u32_e32 8, v58
; %bb.675:                              ;   in Loop: Header=BB178_425 Depth=1
	s_delay_alu instid0(VALU_DEP_3) | instskip(NEXT) | instid1(VALU_DEP_1)
	v_clz_i32_u32_e32 v54, v18
	v_min_u32_e32 v54, 32, v54
	s_delay_alu instid0(VALU_DEP_1) | instskip(SKIP_1) | instid1(VALU_DEP_2)
	v_subrev_nc_u32_e32 v55, 28, v54
	v_sub_nc_u32_e32 v54, 29, v54
	v_lshlrev_b64_e32 v[58:59], v55, v[18:19]
	s_delay_alu instid0(VALU_DEP_1)
	v_and_b32_e32 v18, 7, v58
; %bb.676:                              ;   in Loop: Header=BB178_425 Depth=1
	s_or_b32 exec_lo, exec_lo, s15
	v_lshlrev_b32_e32 v55, 16, v62
	s_delay_alu instid0(VALU_DEP_2) | instskip(SKIP_1) | instid1(VALU_DEP_3)
	v_lshlrev_b32_e32 v18, 20, v18
	v_lshl_add_u32 v54, v54, 23, 0x3c000000
	v_and_b32_e32 v55, 0x80000000, v55
	s_delay_alu instid0(VALU_DEP_1)
	v_or3_b32 v55, v18, v55, v54
	v_mov_b32_e32 v54, v19
.LBB178_677:                            ;   in Loop: Header=BB178_425 Depth=1
	s_or_b32 exec_lo, exec_lo, s14
.LBB178_678:                            ;   in Loop: Header=BB178_425 Depth=1
	s_delay_alu instid0(SALU_CYCLE_1)
	s_or_b32 exec_lo, exec_lo, s13
.LBB178_679:                            ;   in Loop: Header=BB178_425 Depth=1
	s_delay_alu instid0(SALU_CYCLE_1) | instskip(SKIP_4) | instid1(VALU_DEP_3)
	s_or_b32 exec_lo, exec_lo, s11
	v_lshrrev_b32_e32 v63, 16, v62
	v_mov_b64_e32 v[58:59], 0
	v_mov_b64_e32 v[60:61], 0
	s_mov_b32 s11, exec_lo
	v_and_b32_e32 v18, 0xff, v63
	s_delay_alu instid0(VALU_DEP_1)
	v_cmpx_ne_u16_e32 0, v18
	s_cbranch_execz .LBB178_687
; %bb.680:                              ;   in Loop: Header=BB178_425 Depth=1
	v_mov_b64_e32 v[60:61], 0x80000000
	s_mov_b32 s13, exec_lo
	v_cmpx_ne_u16_e32 0x80, v18
	s_cbranch_execz .LBB178_686
; %bb.681:                              ;   in Loop: Header=BB178_425 Depth=1
	v_mov_b64_e32 v[60:61], 0x7f800001
	v_bfe_u32 v64, v62, 16, 7
	s_mov_b32 s14, exec_lo
	s_delay_alu instid0(VALU_DEP_1)
	v_cmpx_ne_u32_e32 0x7f, v64
	s_cbranch_execz .LBB178_685
; %bb.682:                              ;   in Loop: Header=BB178_425 Depth=1
	v_dual_lshrrev_b32 v60, 3, v64 :: v_dual_bitop2_b32 v18, 7, v63 bitop3:0x40
	s_mov_b32 s15, exec_lo
	v_cmpx_gt_u32_e32 8, v64
; %bb.683:                              ;   in Loop: Header=BB178_425 Depth=1
	s_delay_alu instid0(VALU_DEP_2) | instskip(NEXT) | instid1(VALU_DEP_1)
	v_clz_i32_u32_e32 v60, v18
	v_min_u32_e32 v60, 32, v60
	s_delay_alu instid0(VALU_DEP_1) | instskip(SKIP_1) | instid1(VALU_DEP_2)
	v_subrev_nc_u32_e32 v61, 28, v60
	v_sub_nc_u32_e32 v60, 29, v60
	v_lshlrev_b64_e32 v[64:65], v61, v[18:19]
	s_delay_alu instid0(VALU_DEP_1)
	v_and_b32_e32 v18, 7, v64
; %bb.684:                              ;   in Loop: Header=BB178_425 Depth=1
	s_or_b32 exec_lo, exec_lo, s15
	s_delay_alu instid0(VALU_DEP_1) | instskip(SKIP_1) | instid1(VALU_DEP_2)
	v_dual_lshlrev_b32 v61, 24, v63 :: v_dual_lshlrev_b32 v18, 20, v18
	v_lshl_add_u32 v60, v60, 23, 0x3c000000
	v_and_b32_e32 v61, 0x80000000, v61
	s_delay_alu instid0(VALU_DEP_1) | instskip(NEXT) | instid1(VALU_DEP_1)
	v_or3_b32 v18, v18, v61, v60
	v_mov_b64_e32 v[60:61], v[18:19]
.LBB178_685:                            ;   in Loop: Header=BB178_425 Depth=1
	s_or_b32 exec_lo, exec_lo, s14
.LBB178_686:                            ;   in Loop: Header=BB178_425 Depth=1
	s_delay_alu instid0(SALU_CYCLE_1)
	s_or_b32 exec_lo, exec_lo, s13
.LBB178_687:                            ;   in Loop: Header=BB178_425 Depth=1
	s_delay_alu instid0(SALU_CYCLE_1) | instskip(NEXT) | instid1(SALU_CYCLE_1)
	s_or_b32 exec_lo, exec_lo, s11
	s_mov_b32 s11, exec_lo
	v_cmpx_lt_u32_e32 0xffffff, v62
	s_cbranch_execz .LBB178_695
; %bb.688:                              ;   in Loop: Header=BB178_425 Depth=1
	v_mov_b64_e32 v[58:59], 0x8000000000000000
	v_lshrrev_b32_e32 v63, 24, v62
	s_mov_b32 s13, exec_lo
	s_delay_alu instid0(VALU_DEP_1)
	v_cmpx_ne_u32_e32 0x80, v63
	s_cbranch_execz .LBB178_694
; %bb.689:                              ;   in Loop: Header=BB178_425 Depth=1
	v_mov_b64_e32 v[58:59], 0x7f80000100000000
	v_bfe_u32 v62, v62, 24, 7
	s_mov_b32 s14, exec_lo
	s_delay_alu instid0(VALU_DEP_1)
	v_cmpx_ne_u32_e32 0x7f, v62
	s_cbranch_execz .LBB178_693
; %bb.690:                              ;   in Loop: Header=BB178_425 Depth=1
	v_dual_lshrrev_b32 v58, 3, v62 :: v_dual_bitop2_b32 v18, 7, v63 bitop3:0x40
	s_mov_b32 s15, exec_lo
	v_cmpx_gt_u32_e32 8, v62
; %bb.691:                              ;   in Loop: Header=BB178_425 Depth=1
	s_delay_alu instid0(VALU_DEP_2) | instskip(NEXT) | instid1(VALU_DEP_1)
	v_clz_i32_u32_e32 v58, v18
	v_min_u32_e32 v58, 32, v58
	s_delay_alu instid0(VALU_DEP_1) | instskip(NEXT) | instid1(VALU_DEP_1)
	v_subrev_nc_u32_e32 v59, 28, v58
	v_lshlrev_b64_e32 v[64:65], v59, v[18:19]
	s_delay_alu instid0(VALU_DEP_1)
	v_dual_sub_nc_u32 v58, 29, v58 :: v_dual_bitop2_b32 v18, 7, v64 bitop3:0x40
; %bb.692:                              ;   in Loop: Header=BB178_425 Depth=1
	s_or_b32 exec_lo, exec_lo, s15
	s_delay_alu instid0(VALU_DEP_1) | instskip(NEXT) | instid1(VALU_DEP_2)
	v_dual_lshlrev_b32 v59, 24, v63 :: v_dual_lshlrev_b32 v18, 20, v18
	v_lshl_add_u32 v58, v58, 23, 0x3c000000
	s_delay_alu instid0(VALU_DEP_2) | instskip(NEXT) | instid1(VALU_DEP_1)
	v_and_b32_e32 v59, 0x80000000, v59
	v_or3_b32 v59, v18, v59, v58
	v_mov_b32_e32 v58, v19
.LBB178_693:                            ;   in Loop: Header=BB178_425 Depth=1
	s_or_b32 exec_lo, exec_lo, s14
.LBB178_694:                            ;   in Loop: Header=BB178_425 Depth=1
	s_delay_alu instid0(SALU_CYCLE_1)
	s_or_b32 exec_lo, exec_lo, s13
.LBB178_695:                            ;   in Loop: Header=BB178_425 Depth=1
	s_delay_alu instid0(SALU_CYCLE_1)
	s_or_b32 exec_lo, exec_lo, s11
	v_mov_b64_e32 v[62:63], s[2:3]
	v_or_b32_e32 v55, v55, v57
	v_or_b32_e32 v54, v54, v56
	;; [unrolled: 1-line block ×4, first 2 shown]
	s_delay_alu instid0(VALU_DEP_3) | instskip(NEXT) | instid1(VALU_DEP_2)
	v_pk_mul_f32 v[56:57], v[62:63], v[54:55]
	v_pk_mul_f32 v[54:55], v[62:63], v[58:59]
	s_and_saveexec_b32 s11, vcc_lo
	s_cbranch_execz .LBB178_697
; %bb.696:                              ;   in Loop: Header=BB178_425 Depth=1
	v_cmp_gt_i32_e64 s0, s24, v79
	s_delay_alu instid0(VALU_DEP_1) | instskip(SKIP_1) | instid1(VALU_DEP_1)
	v_cndmask_b32_e64 v56, 0, v56, s0
	v_cmp_gt_i32_e64 s0, s24, v82
	v_cndmask_b32_e64 v57, 0, v57, s0
	v_cmp_gt_i32_e64 s0, s24, v75
	s_delay_alu instid0(VALU_DEP_1) | instskip(SKIP_1) | instid1(VALU_DEP_1)
	v_cndmask_b32_e64 v54, 0, v54, s0
	v_cmp_gt_i32_e64 s0, s24, v74
	v_cndmask_b32_e64 v55, 0, v55, s0
.LBB178_697:                            ;   in Loop: Header=BB178_425 Depth=1
	s_or_b32 exec_lo, exec_lo, s11
	global_load_b32 v66, v[28:29], off offset:1024
	v_mov_b64_e32 v[58:59], 0
	v_mov_b64_e32 v[60:61], 0
	s_mov_b32 s11, exec_lo
	s_wait_loadcnt 0x0
	v_and_b32_e32 v18, 0xff, v66
	s_delay_alu instid0(VALU_DEP_1)
	v_cmpx_ne_u16_e32 0, v18
	s_cbranch_execz .LBB178_705
; %bb.698:                              ;   in Loop: Header=BB178_425 Depth=1
	v_mov_b64_e32 v[60:61], 0x80000000
	s_mov_b32 s13, exec_lo
	v_cmpx_ne_u16_e32 0x80, v18
	s_cbranch_execz .LBB178_704
; %bb.699:                              ;   in Loop: Header=BB178_425 Depth=1
	v_mov_b64_e32 v[60:61], 0x7f800001
	v_and_b32_e32 v62, 0x7f, v66
	s_mov_b32 s14, exec_lo
	s_delay_alu instid0(VALU_DEP_1)
	v_cmpx_ne_u32_e32 0x7f, v62
	s_cbranch_execz .LBB178_703
; %bb.700:                              ;   in Loop: Header=BB178_425 Depth=1
	v_and_b32_e32 v18, 7, v66
	v_lshrrev_b32_e32 v60, 3, v62
	s_mov_b32 s15, exec_lo
	v_cmpx_gt_u32_e32 8, v62
; %bb.701:                              ;   in Loop: Header=BB178_425 Depth=1
	s_delay_alu instid0(VALU_DEP_3) | instskip(NEXT) | instid1(VALU_DEP_1)
	v_clz_i32_u32_e32 v60, v18
	v_min_u32_e32 v60, 32, v60
	s_delay_alu instid0(VALU_DEP_1) | instskip(NEXT) | instid1(VALU_DEP_1)
	v_subrev_nc_u32_e32 v61, 28, v60
	v_lshlrev_b64_e32 v[62:63], v61, v[18:19]
	s_delay_alu instid0(VALU_DEP_1)
	v_dual_sub_nc_u32 v60, 29, v60 :: v_dual_bitop2_b32 v18, 7, v62 bitop3:0x40
; %bb.702:                              ;   in Loop: Header=BB178_425 Depth=1
	s_or_b32 exec_lo, exec_lo, s15
	v_lshlrev_b32_e32 v61, 24, v66
	s_delay_alu instid0(VALU_DEP_2) | instskip(NEXT) | instid1(VALU_DEP_3)
	v_lshlrev_b32_e32 v18, 20, v18
	v_lshl_add_u32 v60, v60, 23, 0x3c000000
	s_delay_alu instid0(VALU_DEP_3) | instskip(NEXT) | instid1(VALU_DEP_1)
	v_and_b32_e32 v61, 0x80000000, v61
	v_or3_b32 v18, v18, v61, v60
	s_delay_alu instid0(VALU_DEP_1)
	v_mov_b64_e32 v[60:61], v[18:19]
.LBB178_703:                            ;   in Loop: Header=BB178_425 Depth=1
	s_or_b32 exec_lo, exec_lo, s14
.LBB178_704:                            ;   in Loop: Header=BB178_425 Depth=1
	s_delay_alu instid0(SALU_CYCLE_1)
	s_or_b32 exec_lo, exec_lo, s13
.LBB178_705:                            ;   in Loop: Header=BB178_425 Depth=1
	s_delay_alu instid0(SALU_CYCLE_1) | instskip(SKIP_2) | instid1(VALU_DEP_1)
	s_or_b32 exec_lo, exec_lo, s11
	v_lshrrev_b16 v18, 8, v66
	s_mov_b32 s11, exec_lo
	v_cmpx_ne_u16_e32 0, v18
	s_cbranch_execz .LBB178_713
; %bb.706:                              ;   in Loop: Header=BB178_425 Depth=1
	v_mov_b64_e32 v[58:59], 0x8000000000000000
	s_mov_b32 s13, exec_lo
	v_cmpx_ne_u16_e32 0x80, v18
	s_cbranch_execz .LBB178_712
; %bb.707:                              ;   in Loop: Header=BB178_425 Depth=1
	v_and_b32_e32 v18, 0xffff, v18
	v_mov_b64_e32 v[58:59], 0x7f80000100000000
	s_mov_b32 s14, exec_lo
	s_delay_alu instid0(VALU_DEP_2) | instskip(NEXT) | instid1(VALU_DEP_1)
	v_and_b32_e32 v62, 0x7f, v18
	v_cmpx_ne_u32_e32 0x7f, v62
	s_cbranch_execz .LBB178_711
; %bb.708:                              ;   in Loop: Header=BB178_425 Depth=1
	v_and_b32_e32 v18, 7, v18
	v_lshrrev_b32_e32 v58, 3, v62
	s_mov_b32 s15, exec_lo
	v_cmpx_gt_u32_e32 8, v62
; %bb.709:                              ;   in Loop: Header=BB178_425 Depth=1
	s_delay_alu instid0(VALU_DEP_3) | instskip(NEXT) | instid1(VALU_DEP_1)
	v_clz_i32_u32_e32 v58, v18
	v_min_u32_e32 v58, 32, v58
	s_delay_alu instid0(VALU_DEP_1) | instskip(SKIP_1) | instid1(VALU_DEP_2)
	v_subrev_nc_u32_e32 v59, 28, v58
	v_sub_nc_u32_e32 v58, 29, v58
	v_lshlrev_b64_e32 v[62:63], v59, v[18:19]
	s_delay_alu instid0(VALU_DEP_1)
	v_and_b32_e32 v18, 7, v62
; %bb.710:                              ;   in Loop: Header=BB178_425 Depth=1
	s_or_b32 exec_lo, exec_lo, s15
	v_lshlrev_b32_e32 v59, 16, v66
	s_delay_alu instid0(VALU_DEP_2) | instskip(SKIP_1) | instid1(VALU_DEP_3)
	v_lshlrev_b32_e32 v18, 20, v18
	v_lshl_add_u32 v58, v58, 23, 0x3c000000
	v_and_b32_e32 v59, 0x80000000, v59
	s_delay_alu instid0(VALU_DEP_1)
	v_or3_b32 v59, v18, v59, v58
	v_mov_b32_e32 v58, v19
.LBB178_711:                            ;   in Loop: Header=BB178_425 Depth=1
	s_or_b32 exec_lo, exec_lo, s14
.LBB178_712:                            ;   in Loop: Header=BB178_425 Depth=1
	s_delay_alu instid0(SALU_CYCLE_1)
	s_or_b32 exec_lo, exec_lo, s13
.LBB178_713:                            ;   in Loop: Header=BB178_425 Depth=1
	s_delay_alu instid0(SALU_CYCLE_1) | instskip(SKIP_4) | instid1(VALU_DEP_3)
	s_or_b32 exec_lo, exec_lo, s11
	v_lshrrev_b32_e32 v67, 16, v66
	v_mov_b64_e32 v[62:63], 0
	v_mov_b64_e32 v[64:65], 0
	s_mov_b32 s11, exec_lo
	v_and_b32_e32 v18, 0xff, v67
	s_delay_alu instid0(VALU_DEP_1)
	v_cmpx_ne_u16_e32 0, v18
	s_cbranch_execz .LBB178_721
; %bb.714:                              ;   in Loop: Header=BB178_425 Depth=1
	v_mov_b64_e32 v[64:65], 0x80000000
	s_mov_b32 s13, exec_lo
	v_cmpx_ne_u16_e32 0x80, v18
	s_cbranch_execz .LBB178_720
; %bb.715:                              ;   in Loop: Header=BB178_425 Depth=1
	v_mov_b64_e32 v[64:65], 0x7f800001
	v_bfe_u32 v68, v66, 16, 7
	s_mov_b32 s14, exec_lo
	s_delay_alu instid0(VALU_DEP_1)
	v_cmpx_ne_u32_e32 0x7f, v68
	s_cbranch_execz .LBB178_719
; %bb.716:                              ;   in Loop: Header=BB178_425 Depth=1
	v_dual_lshrrev_b32 v64, 3, v68 :: v_dual_bitop2_b32 v18, 7, v67 bitop3:0x40
	s_mov_b32 s15, exec_lo
	v_cmpx_gt_u32_e32 8, v68
; %bb.717:                              ;   in Loop: Header=BB178_425 Depth=1
	s_delay_alu instid0(VALU_DEP_2) | instskip(NEXT) | instid1(VALU_DEP_1)
	v_clz_i32_u32_e32 v64, v18
	v_min_u32_e32 v64, 32, v64
	s_delay_alu instid0(VALU_DEP_1) | instskip(SKIP_1) | instid1(VALU_DEP_2)
	v_subrev_nc_u32_e32 v65, 28, v64
	v_sub_nc_u32_e32 v64, 29, v64
	v_lshlrev_b64_e32 v[68:69], v65, v[18:19]
	s_delay_alu instid0(VALU_DEP_1)
	v_and_b32_e32 v18, 7, v68
; %bb.718:                              ;   in Loop: Header=BB178_425 Depth=1
	s_or_b32 exec_lo, exec_lo, s15
	s_delay_alu instid0(VALU_DEP_1) | instskip(SKIP_1) | instid1(VALU_DEP_2)
	v_dual_lshlrev_b32 v65, 24, v67 :: v_dual_lshlrev_b32 v18, 20, v18
	v_lshl_add_u32 v64, v64, 23, 0x3c000000
	v_and_b32_e32 v65, 0x80000000, v65
	s_delay_alu instid0(VALU_DEP_1) | instskip(NEXT) | instid1(VALU_DEP_1)
	v_or3_b32 v18, v18, v65, v64
	v_mov_b64_e32 v[64:65], v[18:19]
.LBB178_719:                            ;   in Loop: Header=BB178_425 Depth=1
	s_or_b32 exec_lo, exec_lo, s14
.LBB178_720:                            ;   in Loop: Header=BB178_425 Depth=1
	s_delay_alu instid0(SALU_CYCLE_1)
	s_or_b32 exec_lo, exec_lo, s13
.LBB178_721:                            ;   in Loop: Header=BB178_425 Depth=1
	s_delay_alu instid0(SALU_CYCLE_1) | instskip(NEXT) | instid1(SALU_CYCLE_1)
	s_or_b32 exec_lo, exec_lo, s11
	s_mov_b32 s11, exec_lo
	v_cmpx_lt_u32_e32 0xffffff, v66
	s_cbranch_execz .LBB178_729
; %bb.722:                              ;   in Loop: Header=BB178_425 Depth=1
	v_mov_b64_e32 v[62:63], 0x8000000000000000
	v_lshrrev_b32_e32 v67, 24, v66
	s_mov_b32 s13, exec_lo
	s_delay_alu instid0(VALU_DEP_1)
	v_cmpx_ne_u32_e32 0x80, v67
	s_cbranch_execz .LBB178_728
; %bb.723:                              ;   in Loop: Header=BB178_425 Depth=1
	v_mov_b64_e32 v[62:63], 0x7f80000100000000
	v_bfe_u32 v66, v66, 24, 7
	s_mov_b32 s14, exec_lo
	s_delay_alu instid0(VALU_DEP_1)
	v_cmpx_ne_u32_e32 0x7f, v66
	s_cbranch_execz .LBB178_727
; %bb.724:                              ;   in Loop: Header=BB178_425 Depth=1
	v_dual_lshrrev_b32 v62, 3, v66 :: v_dual_bitop2_b32 v18, 7, v67 bitop3:0x40
	s_mov_b32 s15, exec_lo
	v_cmpx_gt_u32_e32 8, v66
; %bb.725:                              ;   in Loop: Header=BB178_425 Depth=1
	s_delay_alu instid0(VALU_DEP_2) | instskip(NEXT) | instid1(VALU_DEP_1)
	v_clz_i32_u32_e32 v62, v18
	v_min_u32_e32 v62, 32, v62
	s_delay_alu instid0(VALU_DEP_1) | instskip(NEXT) | instid1(VALU_DEP_1)
	v_subrev_nc_u32_e32 v63, 28, v62
	v_lshlrev_b64_e32 v[68:69], v63, v[18:19]
	s_delay_alu instid0(VALU_DEP_1)
	v_dual_sub_nc_u32 v62, 29, v62 :: v_dual_bitop2_b32 v18, 7, v68 bitop3:0x40
; %bb.726:                              ;   in Loop: Header=BB178_425 Depth=1
	s_or_b32 exec_lo, exec_lo, s15
	s_delay_alu instid0(VALU_DEP_1) | instskip(NEXT) | instid1(VALU_DEP_2)
	v_dual_lshlrev_b32 v63, 24, v67 :: v_dual_lshlrev_b32 v18, 20, v18
	v_lshl_add_u32 v62, v62, 23, 0x3c000000
	s_delay_alu instid0(VALU_DEP_2) | instskip(NEXT) | instid1(VALU_DEP_1)
	v_and_b32_e32 v63, 0x80000000, v63
	v_or3_b32 v63, v18, v63, v62
	v_mov_b32_e32 v62, v19
.LBB178_727:                            ;   in Loop: Header=BB178_425 Depth=1
	s_or_b32 exec_lo, exec_lo, s14
.LBB178_728:                            ;   in Loop: Header=BB178_425 Depth=1
	s_delay_alu instid0(SALU_CYCLE_1)
	s_or_b32 exec_lo, exec_lo, s13
.LBB178_729:                            ;   in Loop: Header=BB178_425 Depth=1
	s_delay_alu instid0(SALU_CYCLE_1)
	s_or_b32 exec_lo, exec_lo, s11
	v_mov_b64_e32 v[66:67], s[2:3]
	v_or_b32_e32 v59, v59, v61
	v_or_b32_e32 v58, v58, v60
	;; [unrolled: 1-line block ×4, first 2 shown]
	s_delay_alu instid0(VALU_DEP_3) | instskip(NEXT) | instid1(VALU_DEP_2)
	v_pk_mul_f32 v[60:61], v[66:67], v[58:59]
	v_pk_mul_f32 v[58:59], v[66:67], v[62:63]
	s_and_saveexec_b32 s11, vcc_lo
	s_cbranch_execz .LBB178_731
; %bb.730:                              ;   in Loop: Header=BB178_425 Depth=1
	v_cmp_gt_i32_e64 s0, s24, v79
	s_delay_alu instid0(VALU_DEP_1) | instskip(SKIP_1) | instid1(VALU_DEP_1)
	v_cndmask_b32_e64 v60, 0, v60, s0
	v_cmp_gt_i32_e64 s0, s24, v82
	v_cndmask_b32_e64 v61, 0, v61, s0
	v_cmp_gt_i32_e64 s0, s24, v75
	s_delay_alu instid0(VALU_DEP_1) | instskip(SKIP_1) | instid1(VALU_DEP_1)
	v_cndmask_b32_e64 v58, 0, v58, s0
	v_cmp_gt_i32_e64 s0, s24, v74
	v_cndmask_b32_e64 v59, 0, v59, s0
.LBB178_731:                            ;   in Loop: Header=BB178_425 Depth=1
	s_or_b32 exec_lo, exec_lo, s11
	global_load_b32 v70, v[28:29], off offset:1152
	v_mov_b64_e32 v[62:63], 0
	v_mov_b64_e32 v[64:65], 0
	s_mov_b32 s11, exec_lo
	s_wait_loadcnt 0x0
	v_and_b32_e32 v18, 0xff, v70
	s_delay_alu instid0(VALU_DEP_1)
	v_cmpx_ne_u16_e32 0, v18
	s_cbranch_execz .LBB178_739
; %bb.732:                              ;   in Loop: Header=BB178_425 Depth=1
	v_mov_b64_e32 v[64:65], 0x80000000
	s_mov_b32 s13, exec_lo
	v_cmpx_ne_u16_e32 0x80, v18
	s_cbranch_execz .LBB178_738
; %bb.733:                              ;   in Loop: Header=BB178_425 Depth=1
	v_mov_b64_e32 v[64:65], 0x7f800001
	v_and_b32_e32 v66, 0x7f, v70
	s_mov_b32 s14, exec_lo
	s_delay_alu instid0(VALU_DEP_1)
	v_cmpx_ne_u32_e32 0x7f, v66
	s_cbranch_execz .LBB178_737
; %bb.734:                              ;   in Loop: Header=BB178_425 Depth=1
	v_and_b32_e32 v18, 7, v70
	v_lshrrev_b32_e32 v64, 3, v66
	s_mov_b32 s15, exec_lo
	v_cmpx_gt_u32_e32 8, v66
; %bb.735:                              ;   in Loop: Header=BB178_425 Depth=1
	s_delay_alu instid0(VALU_DEP_3) | instskip(NEXT) | instid1(VALU_DEP_1)
	v_clz_i32_u32_e32 v64, v18
	v_min_u32_e32 v64, 32, v64
	s_delay_alu instid0(VALU_DEP_1) | instskip(NEXT) | instid1(VALU_DEP_1)
	v_subrev_nc_u32_e32 v65, 28, v64
	v_lshlrev_b64_e32 v[66:67], v65, v[18:19]
	s_delay_alu instid0(VALU_DEP_1)
	v_dual_sub_nc_u32 v64, 29, v64 :: v_dual_bitop2_b32 v18, 7, v66 bitop3:0x40
; %bb.736:                              ;   in Loop: Header=BB178_425 Depth=1
	s_or_b32 exec_lo, exec_lo, s15
	v_lshlrev_b32_e32 v65, 24, v70
	s_delay_alu instid0(VALU_DEP_2) | instskip(NEXT) | instid1(VALU_DEP_3)
	v_lshlrev_b32_e32 v18, 20, v18
	v_lshl_add_u32 v64, v64, 23, 0x3c000000
	s_delay_alu instid0(VALU_DEP_3) | instskip(NEXT) | instid1(VALU_DEP_1)
	v_and_b32_e32 v65, 0x80000000, v65
	v_or3_b32 v18, v18, v65, v64
	s_delay_alu instid0(VALU_DEP_1)
	v_mov_b64_e32 v[64:65], v[18:19]
.LBB178_737:                            ;   in Loop: Header=BB178_425 Depth=1
	s_or_b32 exec_lo, exec_lo, s14
.LBB178_738:                            ;   in Loop: Header=BB178_425 Depth=1
	s_delay_alu instid0(SALU_CYCLE_1)
	s_or_b32 exec_lo, exec_lo, s13
.LBB178_739:                            ;   in Loop: Header=BB178_425 Depth=1
	s_delay_alu instid0(SALU_CYCLE_1) | instskip(SKIP_2) | instid1(VALU_DEP_1)
	s_or_b32 exec_lo, exec_lo, s11
	v_lshrrev_b16 v18, 8, v70
	s_mov_b32 s11, exec_lo
	v_cmpx_ne_u16_e32 0, v18
	s_cbranch_execz .LBB178_747
; %bb.740:                              ;   in Loop: Header=BB178_425 Depth=1
	v_mov_b64_e32 v[62:63], 0x8000000000000000
	s_mov_b32 s13, exec_lo
	v_cmpx_ne_u16_e32 0x80, v18
	s_cbranch_execz .LBB178_746
; %bb.741:                              ;   in Loop: Header=BB178_425 Depth=1
	v_and_b32_e32 v18, 0xffff, v18
	v_mov_b64_e32 v[62:63], 0x7f80000100000000
	s_mov_b32 s14, exec_lo
	s_delay_alu instid0(VALU_DEP_2) | instskip(NEXT) | instid1(VALU_DEP_1)
	v_and_b32_e32 v66, 0x7f, v18
	v_cmpx_ne_u32_e32 0x7f, v66
	s_cbranch_execz .LBB178_745
; %bb.742:                              ;   in Loop: Header=BB178_425 Depth=1
	v_and_b32_e32 v18, 7, v18
	v_lshrrev_b32_e32 v62, 3, v66
	s_mov_b32 s15, exec_lo
	v_cmpx_gt_u32_e32 8, v66
; %bb.743:                              ;   in Loop: Header=BB178_425 Depth=1
	s_delay_alu instid0(VALU_DEP_3) | instskip(NEXT) | instid1(VALU_DEP_1)
	v_clz_i32_u32_e32 v62, v18
	v_min_u32_e32 v62, 32, v62
	s_delay_alu instid0(VALU_DEP_1) | instskip(SKIP_1) | instid1(VALU_DEP_2)
	v_subrev_nc_u32_e32 v63, 28, v62
	v_sub_nc_u32_e32 v62, 29, v62
	v_lshlrev_b64_e32 v[66:67], v63, v[18:19]
	s_delay_alu instid0(VALU_DEP_1)
	v_and_b32_e32 v18, 7, v66
; %bb.744:                              ;   in Loop: Header=BB178_425 Depth=1
	s_or_b32 exec_lo, exec_lo, s15
	v_lshlrev_b32_e32 v63, 16, v70
	s_delay_alu instid0(VALU_DEP_2) | instskip(SKIP_1) | instid1(VALU_DEP_3)
	v_lshlrev_b32_e32 v18, 20, v18
	v_lshl_add_u32 v62, v62, 23, 0x3c000000
	v_and_b32_e32 v63, 0x80000000, v63
	s_delay_alu instid0(VALU_DEP_1)
	v_or3_b32 v63, v18, v63, v62
	v_mov_b32_e32 v62, v19
.LBB178_745:                            ;   in Loop: Header=BB178_425 Depth=1
	s_or_b32 exec_lo, exec_lo, s14
.LBB178_746:                            ;   in Loop: Header=BB178_425 Depth=1
	s_delay_alu instid0(SALU_CYCLE_1)
	s_or_b32 exec_lo, exec_lo, s13
.LBB178_747:                            ;   in Loop: Header=BB178_425 Depth=1
	s_delay_alu instid0(SALU_CYCLE_1) | instskip(SKIP_4) | instid1(VALU_DEP_3)
	s_or_b32 exec_lo, exec_lo, s11
	v_lshrrev_b32_e32 v71, 16, v70
	v_mov_b64_e32 v[66:67], 0
	v_mov_b64_e32 v[68:69], 0
	s_mov_b32 s11, exec_lo
	v_and_b32_e32 v18, 0xff, v71
	s_delay_alu instid0(VALU_DEP_1)
	v_cmpx_ne_u16_e32 0, v18
	s_cbranch_execz .LBB178_755
; %bb.748:                              ;   in Loop: Header=BB178_425 Depth=1
	v_mov_b64_e32 v[68:69], 0x80000000
	s_mov_b32 s13, exec_lo
	v_cmpx_ne_u16_e32 0x80, v18
	s_cbranch_execz .LBB178_754
; %bb.749:                              ;   in Loop: Header=BB178_425 Depth=1
	v_mov_b64_e32 v[68:69], 0x7f800001
	v_bfe_u32 v72, v70, 16, 7
	s_mov_b32 s14, exec_lo
	s_delay_alu instid0(VALU_DEP_1)
	v_cmpx_ne_u32_e32 0x7f, v72
	s_cbranch_execz .LBB178_753
; %bb.750:                              ;   in Loop: Header=BB178_425 Depth=1
	v_dual_lshrrev_b32 v68, 3, v72 :: v_dual_bitop2_b32 v18, 7, v71 bitop3:0x40
	s_mov_b32 s15, exec_lo
	v_cmpx_gt_u32_e32 8, v72
; %bb.751:                              ;   in Loop: Header=BB178_425 Depth=1
	s_delay_alu instid0(VALU_DEP_2) | instskip(NEXT) | instid1(VALU_DEP_1)
	v_clz_i32_u32_e32 v68, v18
	v_min_u32_e32 v68, 32, v68
	s_delay_alu instid0(VALU_DEP_1) | instskip(SKIP_1) | instid1(VALU_DEP_2)
	v_subrev_nc_u32_e32 v69, 28, v68
	v_sub_nc_u32_e32 v68, 29, v68
	v_lshlrev_b64_e32 v[72:73], v69, v[18:19]
	s_delay_alu instid0(VALU_DEP_1)
	v_and_b32_e32 v18, 7, v72
; %bb.752:                              ;   in Loop: Header=BB178_425 Depth=1
	s_or_b32 exec_lo, exec_lo, s15
	s_delay_alu instid0(VALU_DEP_1) | instskip(SKIP_1) | instid1(VALU_DEP_2)
	v_dual_lshlrev_b32 v69, 24, v71 :: v_dual_lshlrev_b32 v18, 20, v18
	v_lshl_add_u32 v68, v68, 23, 0x3c000000
	v_and_b32_e32 v69, 0x80000000, v69
	s_delay_alu instid0(VALU_DEP_1) | instskip(NEXT) | instid1(VALU_DEP_1)
	v_or3_b32 v18, v18, v69, v68
	v_mov_b64_e32 v[68:69], v[18:19]
.LBB178_753:                            ;   in Loop: Header=BB178_425 Depth=1
	s_or_b32 exec_lo, exec_lo, s14
.LBB178_754:                            ;   in Loop: Header=BB178_425 Depth=1
	s_delay_alu instid0(SALU_CYCLE_1)
	s_or_b32 exec_lo, exec_lo, s13
.LBB178_755:                            ;   in Loop: Header=BB178_425 Depth=1
	s_delay_alu instid0(SALU_CYCLE_1) | instskip(NEXT) | instid1(SALU_CYCLE_1)
	s_or_b32 exec_lo, exec_lo, s11
	s_mov_b32 s11, exec_lo
	v_cmpx_lt_u32_e32 0xffffff, v70
	s_cbranch_execz .LBB178_763
; %bb.756:                              ;   in Loop: Header=BB178_425 Depth=1
	v_mov_b64_e32 v[66:67], 0x8000000000000000
	v_lshrrev_b32_e32 v71, 24, v70
	s_mov_b32 s13, exec_lo
	s_delay_alu instid0(VALU_DEP_1)
	v_cmpx_ne_u32_e32 0x80, v71
	s_cbranch_execz .LBB178_762
; %bb.757:                              ;   in Loop: Header=BB178_425 Depth=1
	v_mov_b64_e32 v[66:67], 0x7f80000100000000
	v_bfe_u32 v70, v70, 24, 7
	s_mov_b32 s14, exec_lo
	s_delay_alu instid0(VALU_DEP_1)
	v_cmpx_ne_u32_e32 0x7f, v70
	s_cbranch_execz .LBB178_761
; %bb.758:                              ;   in Loop: Header=BB178_425 Depth=1
	v_dual_lshrrev_b32 v66, 3, v70 :: v_dual_bitop2_b32 v18, 7, v71 bitop3:0x40
	s_mov_b32 s15, exec_lo
	v_cmpx_gt_u32_e32 8, v70
; %bb.759:                              ;   in Loop: Header=BB178_425 Depth=1
	s_delay_alu instid0(VALU_DEP_2) | instskip(NEXT) | instid1(VALU_DEP_1)
	v_clz_i32_u32_e32 v66, v18
	v_min_u32_e32 v66, 32, v66
	s_delay_alu instid0(VALU_DEP_1) | instskip(NEXT) | instid1(VALU_DEP_1)
	v_subrev_nc_u32_e32 v67, 28, v66
	v_lshlrev_b64_e32 v[72:73], v67, v[18:19]
	s_delay_alu instid0(VALU_DEP_1)
	v_dual_sub_nc_u32 v66, 29, v66 :: v_dual_bitop2_b32 v18, 7, v72 bitop3:0x40
; %bb.760:                              ;   in Loop: Header=BB178_425 Depth=1
	s_or_b32 exec_lo, exec_lo, s15
	s_delay_alu instid0(VALU_DEP_1) | instskip(NEXT) | instid1(VALU_DEP_2)
	v_dual_lshlrev_b32 v67, 24, v71 :: v_dual_lshlrev_b32 v18, 20, v18
	v_lshl_add_u32 v66, v66, 23, 0x3c000000
	s_delay_alu instid0(VALU_DEP_2) | instskip(NEXT) | instid1(VALU_DEP_1)
	v_and_b32_e32 v67, 0x80000000, v67
	v_or3_b32 v67, v18, v67, v66
	v_mov_b32_e32 v66, v19
.LBB178_761:                            ;   in Loop: Header=BB178_425 Depth=1
	s_or_b32 exec_lo, exec_lo, s14
.LBB178_762:                            ;   in Loop: Header=BB178_425 Depth=1
	s_delay_alu instid0(SALU_CYCLE_1)
	s_or_b32 exec_lo, exec_lo, s13
.LBB178_763:                            ;   in Loop: Header=BB178_425 Depth=1
	s_delay_alu instid0(SALU_CYCLE_1)
	s_or_b32 exec_lo, exec_lo, s11
	v_mov_b64_e32 v[70:71], s[2:3]
	v_or_b32_e32 v63, v63, v65
	v_or_b32_e32 v62, v62, v64
	v_or_b32_e32 v67, v67, v69
	v_or_b32_e32 v66, v66, v68
	s_delay_alu instid0(VALU_DEP_3) | instskip(NEXT) | instid1(VALU_DEP_2)
	v_pk_mul_f32 v[64:65], v[70:71], v[62:63]
	v_pk_mul_f32 v[62:63], v[70:71], v[66:67]
	s_and_saveexec_b32 s11, vcc_lo
	s_cbranch_execz .LBB178_765
; %bb.764:                              ;   in Loop: Header=BB178_425 Depth=1
	v_cmp_gt_i32_e64 s0, s24, v79
	s_delay_alu instid0(VALU_DEP_1) | instskip(SKIP_1) | instid1(VALU_DEP_1)
	v_cndmask_b32_e64 v64, 0, v64, s0
	v_cmp_gt_i32_e64 s0, s24, v82
	v_cndmask_b32_e64 v65, 0, v65, s0
	v_cmp_gt_i32_e64 s0, s24, v75
	s_delay_alu instid0(VALU_DEP_1) | instskip(SKIP_1) | instid1(VALU_DEP_1)
	v_cndmask_b32_e64 v62, 0, v62, s0
	v_cmp_gt_i32_e64 s0, s24, v74
	v_cndmask_b32_e64 v63, 0, v63, s0
.LBB178_765:                            ;   in Loop: Header=BB178_425 Depth=1
	s_or_b32 exec_lo, exec_lo, s11
	global_load_b32 v83, v[28:29], off offset:1280
	v_mov_b64_e32 v[66:67], 0
	v_mov_b64_e32 v[68:69], 0
	s_mov_b32 s11, exec_lo
	s_wait_loadcnt 0x0
	v_and_b32_e32 v18, 0xff, v83
	s_delay_alu instid0(VALU_DEP_1)
	v_cmpx_ne_u16_e32 0, v18
	s_cbranch_execz .LBB178_773
; %bb.766:                              ;   in Loop: Header=BB178_425 Depth=1
	v_mov_b64_e32 v[68:69], 0x80000000
	s_mov_b32 s13, exec_lo
	v_cmpx_ne_u16_e32 0x80, v18
	s_cbranch_execz .LBB178_772
; %bb.767:                              ;   in Loop: Header=BB178_425 Depth=1
	v_mov_b64_e32 v[68:69], 0x7f800001
	v_and_b32_e32 v70, 0x7f, v83
	s_mov_b32 s14, exec_lo
	s_delay_alu instid0(VALU_DEP_1)
	v_cmpx_ne_u32_e32 0x7f, v70
	s_cbranch_execz .LBB178_771
; %bb.768:                              ;   in Loop: Header=BB178_425 Depth=1
	v_dual_lshrrev_b32 v68, 3, v70 :: v_dual_bitop2_b32 v18, 7, v83 bitop3:0x40
	s_mov_b32 s15, exec_lo
	v_cmpx_gt_u32_e32 8, v70
; %bb.769:                              ;   in Loop: Header=BB178_425 Depth=1
	s_delay_alu instid0(VALU_DEP_2) | instskip(NEXT) | instid1(VALU_DEP_1)
	v_clz_i32_u32_e32 v68, v18
	v_min_u32_e32 v68, 32, v68
	s_delay_alu instid0(VALU_DEP_1) | instskip(NEXT) | instid1(VALU_DEP_1)
	v_subrev_nc_u32_e32 v69, 28, v68
	v_lshlrev_b64_e32 v[70:71], v69, v[18:19]
	s_delay_alu instid0(VALU_DEP_1)
	v_dual_sub_nc_u32 v68, 29, v68 :: v_dual_bitop2_b32 v18, 7, v70 bitop3:0x40
; %bb.770:                              ;   in Loop: Header=BB178_425 Depth=1
	s_or_b32 exec_lo, exec_lo, s15
	s_delay_alu instid0(VALU_DEP_1) | instskip(NEXT) | instid1(VALU_DEP_2)
	v_dual_lshlrev_b32 v69, 24, v83 :: v_dual_lshlrev_b32 v18, 20, v18
	v_lshl_add_u32 v68, v68, 23, 0x3c000000
	s_delay_alu instid0(VALU_DEP_2) | instskip(NEXT) | instid1(VALU_DEP_1)
	v_and_b32_e32 v69, 0x80000000, v69
	v_or3_b32 v18, v18, v69, v68
	s_delay_alu instid0(VALU_DEP_1)
	v_mov_b64_e32 v[68:69], v[18:19]
.LBB178_771:                            ;   in Loop: Header=BB178_425 Depth=1
	s_or_b32 exec_lo, exec_lo, s14
.LBB178_772:                            ;   in Loop: Header=BB178_425 Depth=1
	s_delay_alu instid0(SALU_CYCLE_1)
	s_or_b32 exec_lo, exec_lo, s13
.LBB178_773:                            ;   in Loop: Header=BB178_425 Depth=1
	s_delay_alu instid0(SALU_CYCLE_1) | instskip(SKIP_2) | instid1(VALU_DEP_1)
	s_or_b32 exec_lo, exec_lo, s11
	v_lshrrev_b16 v18, 8, v83
	s_mov_b32 s11, exec_lo
	v_cmpx_ne_u16_e32 0, v18
	s_cbranch_execz .LBB178_781
; %bb.774:                              ;   in Loop: Header=BB178_425 Depth=1
	v_mov_b64_e32 v[66:67], 0x8000000000000000
	s_mov_b32 s13, exec_lo
	v_cmpx_ne_u16_e32 0x80, v18
	s_cbranch_execz .LBB178_780
; %bb.775:                              ;   in Loop: Header=BB178_425 Depth=1
	v_and_b32_e32 v18, 0xffff, v18
	v_mov_b64_e32 v[66:67], 0x7f80000100000000
	s_mov_b32 s14, exec_lo
	s_delay_alu instid0(VALU_DEP_2) | instskip(NEXT) | instid1(VALU_DEP_1)
	v_and_b32_e32 v70, 0x7f, v18
	v_cmpx_ne_u32_e32 0x7f, v70
	s_cbranch_execz .LBB178_779
; %bb.776:                              ;   in Loop: Header=BB178_425 Depth=1
	v_and_b32_e32 v18, 7, v18
	v_lshrrev_b32_e32 v66, 3, v70
	s_mov_b32 s15, exec_lo
	v_cmpx_gt_u32_e32 8, v70
; %bb.777:                              ;   in Loop: Header=BB178_425 Depth=1
	s_delay_alu instid0(VALU_DEP_3) | instskip(NEXT) | instid1(VALU_DEP_1)
	v_clz_i32_u32_e32 v66, v18
	v_min_u32_e32 v66, 32, v66
	s_delay_alu instid0(VALU_DEP_1) | instskip(SKIP_1) | instid1(VALU_DEP_2)
	v_subrev_nc_u32_e32 v67, 28, v66
	v_sub_nc_u32_e32 v66, 29, v66
	v_lshlrev_b64_e32 v[70:71], v67, v[18:19]
	s_delay_alu instid0(VALU_DEP_1)
	v_and_b32_e32 v18, 7, v70
; %bb.778:                              ;   in Loop: Header=BB178_425 Depth=1
	s_or_b32 exec_lo, exec_lo, s15
	s_delay_alu instid0(VALU_DEP_1) | instskip(SKIP_1) | instid1(VALU_DEP_2)
	v_dual_lshlrev_b32 v67, 16, v83 :: v_dual_lshlrev_b32 v18, 20, v18
	v_lshl_add_u32 v66, v66, 23, 0x3c000000
	v_and_b32_e32 v67, 0x80000000, v67
	s_delay_alu instid0(VALU_DEP_1)
	v_or3_b32 v67, v18, v67, v66
	v_mov_b32_e32 v66, v19
.LBB178_779:                            ;   in Loop: Header=BB178_425 Depth=1
	s_or_b32 exec_lo, exec_lo, s14
.LBB178_780:                            ;   in Loop: Header=BB178_425 Depth=1
	s_delay_alu instid0(SALU_CYCLE_1)
	s_or_b32 exec_lo, exec_lo, s13
.LBB178_781:                            ;   in Loop: Header=BB178_425 Depth=1
	s_delay_alu instid0(SALU_CYCLE_1) | instskip(SKIP_4) | instid1(VALU_DEP_3)
	s_or_b32 exec_lo, exec_lo, s11
	v_lshrrev_b32_e32 v84, 16, v83
	v_mov_b64_e32 v[70:71], 0
	v_mov_b64_e32 v[72:73], 0
	s_mov_b32 s11, exec_lo
	v_and_b32_e32 v18, 0xff, v84
	s_delay_alu instid0(VALU_DEP_1)
	v_cmpx_ne_u16_e32 0, v18
	s_cbranch_execz .LBB178_789
; %bb.782:                              ;   in Loop: Header=BB178_425 Depth=1
	v_mov_b64_e32 v[72:73], 0x80000000
	s_mov_b32 s13, exec_lo
	v_cmpx_ne_u16_e32 0x80, v18
	s_cbranch_execz .LBB178_788
; %bb.783:                              ;   in Loop: Header=BB178_425 Depth=1
	v_mov_b64_e32 v[72:73], 0x7f800001
	v_bfe_u32 v85, v83, 16, 7
	s_mov_b32 s14, exec_lo
	s_delay_alu instid0(VALU_DEP_1)
	v_cmpx_ne_u32_e32 0x7f, v85
	s_cbranch_execz .LBB178_787
; %bb.784:                              ;   in Loop: Header=BB178_425 Depth=1
	v_dual_lshrrev_b32 v72, 3, v85 :: v_dual_bitop2_b32 v18, 7, v84 bitop3:0x40
	s_mov_b32 s15, exec_lo
	v_cmpx_gt_u32_e32 8, v85
; %bb.785:                              ;   in Loop: Header=BB178_425 Depth=1
	s_delay_alu instid0(VALU_DEP_2) | instskip(NEXT) | instid1(VALU_DEP_1)
	v_clz_i32_u32_e32 v72, v18
	v_min_u32_e32 v72, 32, v72
	s_delay_alu instid0(VALU_DEP_1) | instskip(NEXT) | instid1(VALU_DEP_1)
	v_subrev_nc_u32_e32 v73, 28, v72
	v_lshlrev_b64_e32 v[86:87], v73, v[18:19]
	s_delay_alu instid0(VALU_DEP_1)
	v_dual_sub_nc_u32 v72, 29, v72 :: v_dual_bitop2_b32 v18, 7, v86 bitop3:0x40
; %bb.786:                              ;   in Loop: Header=BB178_425 Depth=1
	s_or_b32 exec_lo, exec_lo, s15
	s_delay_alu instid0(VALU_DEP_1) | instskip(NEXT) | instid1(VALU_DEP_2)
	v_dual_lshlrev_b32 v73, 24, v84 :: v_dual_lshlrev_b32 v18, 20, v18
	v_lshl_add_u32 v72, v72, 23, 0x3c000000
	s_delay_alu instid0(VALU_DEP_2) | instskip(NEXT) | instid1(VALU_DEP_1)
	v_and_b32_e32 v73, 0x80000000, v73
	v_or3_b32 v18, v18, v73, v72
	s_delay_alu instid0(VALU_DEP_1)
	v_mov_b64_e32 v[72:73], v[18:19]
.LBB178_787:                            ;   in Loop: Header=BB178_425 Depth=1
	s_or_b32 exec_lo, exec_lo, s14
.LBB178_788:                            ;   in Loop: Header=BB178_425 Depth=1
	s_delay_alu instid0(SALU_CYCLE_1)
	s_or_b32 exec_lo, exec_lo, s13
.LBB178_789:                            ;   in Loop: Header=BB178_425 Depth=1
	s_delay_alu instid0(SALU_CYCLE_1) | instskip(NEXT) | instid1(SALU_CYCLE_1)
	s_or_b32 exec_lo, exec_lo, s11
	s_mov_b32 s11, exec_lo
	v_cmpx_lt_u32_e32 0xffffff, v83
	s_cbranch_execz .LBB178_797
; %bb.790:                              ;   in Loop: Header=BB178_425 Depth=1
	v_mov_b64_e32 v[70:71], 0x8000000000000000
	v_lshrrev_b32_e32 v84, 24, v83
	s_mov_b32 s13, exec_lo
	s_delay_alu instid0(VALU_DEP_1)
	v_cmpx_ne_u32_e32 0x80, v84
	s_cbranch_execz .LBB178_796
; %bb.791:                              ;   in Loop: Header=BB178_425 Depth=1
	v_mov_b64_e32 v[70:71], 0x7f80000100000000
	v_bfe_u32 v83, v83, 24, 7
	s_mov_b32 s14, exec_lo
	s_delay_alu instid0(VALU_DEP_1)
	v_cmpx_ne_u32_e32 0x7f, v83
	s_cbranch_execz .LBB178_795
; %bb.792:                              ;   in Loop: Header=BB178_425 Depth=1
	v_dual_lshrrev_b32 v70, 3, v83 :: v_dual_bitop2_b32 v18, 7, v84 bitop3:0x40
	s_mov_b32 s15, exec_lo
	v_cmpx_gt_u32_e32 8, v83
; %bb.793:                              ;   in Loop: Header=BB178_425 Depth=1
	s_delay_alu instid0(VALU_DEP_2) | instskip(NEXT) | instid1(VALU_DEP_1)
	v_clz_i32_u32_e32 v70, v18
	v_min_u32_e32 v70, 32, v70
	s_delay_alu instid0(VALU_DEP_1) | instskip(SKIP_1) | instid1(VALU_DEP_2)
	v_subrev_nc_u32_e32 v71, 28, v70
	v_sub_nc_u32_e32 v70, 29, v70
	v_lshlrev_b64_e32 v[86:87], v71, v[18:19]
	s_delay_alu instid0(VALU_DEP_1)
	v_and_b32_e32 v18, 7, v86
; %bb.794:                              ;   in Loop: Header=BB178_425 Depth=1
	s_or_b32 exec_lo, exec_lo, s15
	s_delay_alu instid0(VALU_DEP_1) | instskip(SKIP_1) | instid1(VALU_DEP_2)
	v_dual_lshlrev_b32 v71, 24, v84 :: v_dual_lshlrev_b32 v18, 20, v18
	v_lshl_add_u32 v70, v70, 23, 0x3c000000
	v_and_b32_e32 v71, 0x80000000, v71
	s_delay_alu instid0(VALU_DEP_1)
	v_or3_b32 v71, v18, v71, v70
	v_mov_b32_e32 v70, v19
.LBB178_795:                            ;   in Loop: Header=BB178_425 Depth=1
	s_or_b32 exec_lo, exec_lo, s14
.LBB178_796:                            ;   in Loop: Header=BB178_425 Depth=1
	s_delay_alu instid0(SALU_CYCLE_1)
	s_or_b32 exec_lo, exec_lo, s13
.LBB178_797:                            ;   in Loop: Header=BB178_425 Depth=1
	s_delay_alu instid0(SALU_CYCLE_1)
	s_or_b32 exec_lo, exec_lo, s11
	v_mov_b64_e32 v[84:85], s[2:3]
	v_or_b32_e32 v67, v67, v69
	v_or_b32_e32 v66, v66, v68
	;; [unrolled: 1-line block ×4, first 2 shown]
	s_delay_alu instid0(VALU_DEP_3) | instskip(NEXT) | instid1(VALU_DEP_2)
	v_pk_mul_f32 v[68:69], v[84:85], v[66:67]
	v_pk_mul_f32 v[66:67], v[84:85], v[70:71]
	s_and_saveexec_b32 s11, vcc_lo
	s_cbranch_execz .LBB178_799
; %bb.798:                              ;   in Loop: Header=BB178_425 Depth=1
	v_cmp_gt_i32_e64 s0, s24, v79
	s_delay_alu instid0(VALU_DEP_1) | instskip(SKIP_1) | instid1(VALU_DEP_1)
	v_cndmask_b32_e64 v68, 0, v68, s0
	v_cmp_gt_i32_e64 s0, s24, v82
	v_cndmask_b32_e64 v69, 0, v69, s0
	v_cmp_gt_i32_e64 s0, s24, v75
	s_delay_alu instid0(VALU_DEP_1) | instskip(SKIP_1) | instid1(VALU_DEP_1)
	v_cndmask_b32_e64 v66, 0, v66, s0
	v_cmp_gt_i32_e64 s0, s24, v74
	v_cndmask_b32_e64 v67, 0, v67, s0
.LBB178_799:                            ;   in Loop: Header=BB178_425 Depth=1
	s_or_b32 exec_lo, exec_lo, s11
	global_load_b32 v83, v[28:29], off offset:1408
	s_wait_xcnt 0x0
	v_mov_b64_e32 v[28:29], 0
	v_mov_b64_e32 v[70:71], 0
	s_mov_b32 s11, exec_lo
	s_wait_loadcnt 0x0
	v_and_b32_e32 v18, 0xff, v83
	s_delay_alu instid0(VALU_DEP_1)
	v_cmpx_ne_u16_e32 0, v18
	s_cbranch_execz .LBB178_807
; %bb.800:                              ;   in Loop: Header=BB178_425 Depth=1
	v_mov_b64_e32 v[70:71], 0x80000000
	s_mov_b32 s13, exec_lo
	v_cmpx_ne_u16_e32 0x80, v18
	s_cbranch_execz .LBB178_806
; %bb.801:                              ;   in Loop: Header=BB178_425 Depth=1
	v_mov_b64_e32 v[70:71], 0x7f800001
	v_and_b32_e32 v72, 0x7f, v83
	s_mov_b32 s14, exec_lo
	s_delay_alu instid0(VALU_DEP_1)
	v_cmpx_ne_u32_e32 0x7f, v72
	s_cbranch_execz .LBB178_805
; %bb.802:                              ;   in Loop: Header=BB178_425 Depth=1
	v_dual_lshrrev_b32 v70, 3, v72 :: v_dual_bitop2_b32 v18, 7, v83 bitop3:0x40
	s_mov_b32 s15, exec_lo
	v_cmpx_gt_u32_e32 8, v72
; %bb.803:                              ;   in Loop: Header=BB178_425 Depth=1
	s_delay_alu instid0(VALU_DEP_2) | instskip(NEXT) | instid1(VALU_DEP_1)
	v_clz_i32_u32_e32 v70, v18
	v_min_u32_e32 v70, 32, v70
	s_delay_alu instid0(VALU_DEP_1) | instskip(NEXT) | instid1(VALU_DEP_1)
	v_subrev_nc_u32_e32 v71, 28, v70
	v_lshlrev_b64_e32 v[72:73], v71, v[18:19]
	s_delay_alu instid0(VALU_DEP_1)
	v_dual_sub_nc_u32 v70, 29, v70 :: v_dual_bitop2_b32 v18, 7, v72 bitop3:0x40
; %bb.804:                              ;   in Loop: Header=BB178_425 Depth=1
	s_or_b32 exec_lo, exec_lo, s15
	s_delay_alu instid0(VALU_DEP_1) | instskip(NEXT) | instid1(VALU_DEP_2)
	v_dual_lshlrev_b32 v71, 24, v83 :: v_dual_lshlrev_b32 v18, 20, v18
	v_lshl_add_u32 v70, v70, 23, 0x3c000000
	s_delay_alu instid0(VALU_DEP_2) | instskip(NEXT) | instid1(VALU_DEP_1)
	v_and_b32_e32 v71, 0x80000000, v71
	v_or3_b32 v18, v18, v71, v70
	s_delay_alu instid0(VALU_DEP_1)
	v_mov_b64_e32 v[70:71], v[18:19]
.LBB178_805:                            ;   in Loop: Header=BB178_425 Depth=1
	s_or_b32 exec_lo, exec_lo, s14
.LBB178_806:                            ;   in Loop: Header=BB178_425 Depth=1
	s_delay_alu instid0(SALU_CYCLE_1)
	s_or_b32 exec_lo, exec_lo, s13
.LBB178_807:                            ;   in Loop: Header=BB178_425 Depth=1
	s_delay_alu instid0(SALU_CYCLE_1) | instskip(SKIP_2) | instid1(VALU_DEP_1)
	s_or_b32 exec_lo, exec_lo, s11
	v_lshrrev_b16 v18, 8, v83
	s_mov_b32 s11, exec_lo
	v_cmpx_ne_u16_e32 0, v18
	s_cbranch_execz .LBB178_815
; %bb.808:                              ;   in Loop: Header=BB178_425 Depth=1
	v_mov_b64_e32 v[28:29], 0x8000000000000000
	s_mov_b32 s13, exec_lo
	v_cmpx_ne_u16_e32 0x80, v18
	s_cbranch_execz .LBB178_814
; %bb.809:                              ;   in Loop: Header=BB178_425 Depth=1
	v_and_b32_e32 v18, 0xffff, v18
	v_mov_b64_e32 v[28:29], 0x7f80000100000000
	s_mov_b32 s14, exec_lo
	s_delay_alu instid0(VALU_DEP_2) | instskip(NEXT) | instid1(VALU_DEP_1)
	v_and_b32_e32 v72, 0x7f, v18
	v_cmpx_ne_u32_e32 0x7f, v72
	s_cbranch_execz .LBB178_813
; %bb.810:                              ;   in Loop: Header=BB178_425 Depth=1
	v_dual_lshrrev_b32 v28, 3, v72 :: v_dual_bitop2_b32 v18, 7, v18 bitop3:0x40
	s_mov_b32 s15, exec_lo
	v_cmpx_gt_u32_e32 8, v72
; %bb.811:                              ;   in Loop: Header=BB178_425 Depth=1
	s_delay_alu instid0(VALU_DEP_2) | instskip(NEXT) | instid1(VALU_DEP_1)
	v_clz_i32_u32_e32 v28, v18
	v_min_u32_e32 v28, 32, v28
	s_delay_alu instid0(VALU_DEP_1) | instskip(SKIP_1) | instid1(VALU_DEP_2)
	v_subrev_nc_u32_e32 v29, 28, v28
	v_sub_nc_u32_e32 v28, 29, v28
	v_lshlrev_b64_e32 v[72:73], v29, v[18:19]
	s_delay_alu instid0(VALU_DEP_1)
	v_and_b32_e32 v18, 7, v72
; %bb.812:                              ;   in Loop: Header=BB178_425 Depth=1
	s_or_b32 exec_lo, exec_lo, s15
	s_delay_alu instid0(VALU_DEP_1) | instskip(SKIP_1) | instid1(VALU_DEP_2)
	v_dual_lshlrev_b32 v29, 16, v83 :: v_dual_lshlrev_b32 v18, 20, v18
	v_lshl_add_u32 v28, v28, 23, 0x3c000000
	v_and_b32_e32 v29, 0x80000000, v29
	s_delay_alu instid0(VALU_DEP_1)
	v_or3_b32 v29, v18, v29, v28
	v_mov_b32_e32 v28, v19
.LBB178_813:                            ;   in Loop: Header=BB178_425 Depth=1
	s_or_b32 exec_lo, exec_lo, s14
.LBB178_814:                            ;   in Loop: Header=BB178_425 Depth=1
	s_delay_alu instid0(SALU_CYCLE_1)
	s_or_b32 exec_lo, exec_lo, s13
.LBB178_815:                            ;   in Loop: Header=BB178_425 Depth=1
	s_delay_alu instid0(SALU_CYCLE_1) | instskip(SKIP_4) | instid1(VALU_DEP_3)
	s_or_b32 exec_lo, exec_lo, s11
	v_lshrrev_b32_e32 v84, 16, v83
	v_mov_b64_e32 v[72:73], 0
	v_mov_b64_e32 v[74:75], 0
	s_mov_b32 s11, exec_lo
	v_and_b32_e32 v18, 0xff, v84
	s_delay_alu instid0(VALU_DEP_1)
	v_cmpx_ne_u16_e32 0, v18
	s_cbranch_execz .LBB178_823
; %bb.816:                              ;   in Loop: Header=BB178_425 Depth=1
	v_mov_b64_e32 v[74:75], 0x80000000
	s_mov_b32 s13, exec_lo
	v_cmpx_ne_u16_e32 0x80, v18
	s_cbranch_execz .LBB178_822
; %bb.817:                              ;   in Loop: Header=BB178_425 Depth=1
	v_mov_b64_e32 v[74:75], 0x7f800001
	v_bfe_u32 v85, v83, 16, 7
	s_mov_b32 s14, exec_lo
	s_delay_alu instid0(VALU_DEP_1)
	v_cmpx_ne_u32_e32 0x7f, v85
	s_cbranch_execz .LBB178_821
; %bb.818:                              ;   in Loop: Header=BB178_425 Depth=1
	v_dual_lshrrev_b32 v74, 3, v85 :: v_dual_bitop2_b32 v18, 7, v84 bitop3:0x40
	s_mov_b32 s15, exec_lo
	v_cmpx_gt_u32_e32 8, v85
; %bb.819:                              ;   in Loop: Header=BB178_425 Depth=1
	s_delay_alu instid0(VALU_DEP_2) | instskip(NEXT) | instid1(VALU_DEP_1)
	v_clz_i32_u32_e32 v74, v18
	v_min_u32_e32 v74, 32, v74
	s_delay_alu instid0(VALU_DEP_1) | instskip(SKIP_1) | instid1(VALU_DEP_2)
	v_subrev_nc_u32_e32 v75, 28, v74
	v_sub_nc_u32_e32 v74, 29, v74
	v_lshlrev_b64_e32 v[86:87], v75, v[18:19]
	s_delay_alu instid0(VALU_DEP_1)
	v_and_b32_e32 v18, 7, v86
; %bb.820:                              ;   in Loop: Header=BB178_425 Depth=1
	s_or_b32 exec_lo, exec_lo, s15
	s_delay_alu instid0(VALU_DEP_1) | instskip(SKIP_1) | instid1(VALU_DEP_2)
	v_dual_lshlrev_b32 v75, 24, v84 :: v_dual_lshlrev_b32 v18, 20, v18
	v_lshl_add_u32 v74, v74, 23, 0x3c000000
	v_and_b32_e32 v75, 0x80000000, v75
	s_delay_alu instid0(VALU_DEP_1) | instskip(NEXT) | instid1(VALU_DEP_1)
	v_or3_b32 v18, v18, v75, v74
	v_mov_b64_e32 v[74:75], v[18:19]
.LBB178_821:                            ;   in Loop: Header=BB178_425 Depth=1
	s_or_b32 exec_lo, exec_lo, s14
.LBB178_822:                            ;   in Loop: Header=BB178_425 Depth=1
	s_delay_alu instid0(SALU_CYCLE_1)
	s_or_b32 exec_lo, exec_lo, s13
.LBB178_823:                            ;   in Loop: Header=BB178_425 Depth=1
	s_delay_alu instid0(SALU_CYCLE_1) | instskip(NEXT) | instid1(SALU_CYCLE_1)
	s_or_b32 exec_lo, exec_lo, s11
	s_mov_b32 s11, exec_lo
	v_cmpx_lt_u32_e32 0xffffff, v83
	s_cbranch_execz .LBB178_831
; %bb.824:                              ;   in Loop: Header=BB178_425 Depth=1
	v_mov_b64_e32 v[72:73], 0x8000000000000000
	v_lshrrev_b32_e32 v84, 24, v83
	s_mov_b32 s13, exec_lo
	s_delay_alu instid0(VALU_DEP_1)
	v_cmpx_ne_u32_e32 0x80, v84
	s_cbranch_execz .LBB178_830
; %bb.825:                              ;   in Loop: Header=BB178_425 Depth=1
	v_mov_b64_e32 v[72:73], 0x7f80000100000000
	v_bfe_u32 v83, v83, 24, 7
	s_mov_b32 s14, exec_lo
	s_delay_alu instid0(VALU_DEP_1)
	v_cmpx_ne_u32_e32 0x7f, v83
	s_cbranch_execz .LBB178_829
; %bb.826:                              ;   in Loop: Header=BB178_425 Depth=1
	v_dual_lshrrev_b32 v72, 3, v83 :: v_dual_bitop2_b32 v18, 7, v84 bitop3:0x40
	s_mov_b32 s15, exec_lo
	v_cmpx_gt_u32_e32 8, v83
; %bb.827:                              ;   in Loop: Header=BB178_425 Depth=1
	s_delay_alu instid0(VALU_DEP_2) | instskip(NEXT) | instid1(VALU_DEP_1)
	v_clz_i32_u32_e32 v72, v18
	v_min_u32_e32 v72, 32, v72
	s_delay_alu instid0(VALU_DEP_1) | instskip(NEXT) | instid1(VALU_DEP_1)
	v_subrev_nc_u32_e32 v73, 28, v72
	v_lshlrev_b64_e32 v[86:87], v73, v[18:19]
	s_delay_alu instid0(VALU_DEP_1)
	v_dual_sub_nc_u32 v72, 29, v72 :: v_dual_bitop2_b32 v18, 7, v86 bitop3:0x40
; %bb.828:                              ;   in Loop: Header=BB178_425 Depth=1
	s_or_b32 exec_lo, exec_lo, s15
	s_delay_alu instid0(VALU_DEP_1) | instskip(NEXT) | instid1(VALU_DEP_2)
	v_dual_lshlrev_b32 v73, 24, v84 :: v_dual_lshlrev_b32 v18, 20, v18
	v_lshl_add_u32 v72, v72, 23, 0x3c000000
	s_delay_alu instid0(VALU_DEP_2) | instskip(NEXT) | instid1(VALU_DEP_1)
	v_and_b32_e32 v73, 0x80000000, v73
	v_or3_b32 v73, v18, v73, v72
	v_mov_b32_e32 v72, v19
.LBB178_829:                            ;   in Loop: Header=BB178_425 Depth=1
	s_or_b32 exec_lo, exec_lo, s14
.LBB178_830:                            ;   in Loop: Header=BB178_425 Depth=1
	s_delay_alu instid0(SALU_CYCLE_1)
	s_or_b32 exec_lo, exec_lo, s13
.LBB178_831:                            ;   in Loop: Header=BB178_425 Depth=1
	s_delay_alu instid0(SALU_CYCLE_1)
	s_or_b32 exec_lo, exec_lo, s11
	v_mov_b64_e32 v[84:85], s[2:3]
	v_or_b32_e32 v29, v29, v71
	v_or_b32_e32 v28, v28, v70
	;; [unrolled: 1-line block ×4, first 2 shown]
	s_delay_alu instid0(VALU_DEP_3) | instskip(NEXT) | instid1(VALU_DEP_2)
	v_pk_mul_f32 v[70:71], v[84:85], v[28:29]
	v_pk_mul_f32 v[28:29], v[84:85], v[72:73]
	s_and_saveexec_b32 s0, vcc_lo
	s_cbranch_execz .LBB178_424
; %bb.832:                              ;   in Loop: Header=BB178_425 Depth=1
	v_cmp_gt_i32_e32 vcc_lo, s10, v82
	v_or_b32_e32 v72, 2, v79
	v_cndmask_b32_e32 v71, 0, v71, vcc_lo
	v_cmp_gt_i32_e32 vcc_lo, s24, v79
	v_dual_cndmask_b32 v70, 0, v70, vcc_lo :: v_dual_bitop2_b32 v18, 3, v79 bitop3:0x54
	s_delay_alu instid0(VALU_DEP_1)
	v_cmp_gt_i32_e32 vcc_lo, s10, v18
	v_cndmask_b32_e32 v29, 0, v29, vcc_lo
	v_cmp_gt_i32_e32 vcc_lo, s24, v72
	v_cndmask_b32_e32 v28, 0, v28, vcc_lo
	s_branch .LBB178_424
.LBB178_833:
	s_or_b32 exec_lo, exec_lo, s9
.LBB178_834:
	s_delay_alu instid0(SALU_CYCLE_1)
	s_or_b32 exec_lo, exec_lo, s1
	ds_bpermute_b32 v2, v77, v16
	ds_bpermute_b32 v3, v77, v17
	;; [unrolled: 1-line block ×10, first 2 shown]
	v_lshrrev_b32_e32 v20, 1, v76
	v_and_b32_e32 v21, 0x3c1, v0
	s_mov_b32 s0, exec_lo
	ds_bpermute_b32 v18, v77, v6
	ds_bpermute_b32 v19, v77, v7
	s_wait_dscnt 0x0
	s_barrier_signal -1
	s_barrier_wait -1
	v_pk_add_f32 v[16:17], v[16:17], v[2:3]
	v_pk_add_f32 v[14:15], v[14:15], v[4:5]
	;; [unrolled: 1-line block ×5, first 2 shown]
	v_cmpx_ne_u32_e32 64, v21
	s_xor_b32 s0, exec_lo, s0
	s_delay_alu instid0(SALU_CYCLE_1)
	s_or_saveexec_b32 s0, s0
	v_pk_add_f32 v[6:7], v[6:7], v[18:19]
	v_lshl_add_u32 v8, v20, 2, 0x320
	v_mul_u32_u24_e32 v1, 0x300, v1
	s_xor_b32 exec_lo, exec_lo, s0
	s_cbranch_execz .LBB178_836
; %bb.835:
	s_delay_alu instid0(VALU_DEP_1) | instskip(NEXT) | instid1(VALU_DEP_1)
	v_add_nc_u32_e32 v9, v8, v1
	v_add_nc_u32_e32 v10, 0xfffffa00, v9
	;; [unrolled: 1-line block ×13, first 2 shown]
	ds_store_b32 v10, v16
	ds_store_b32 v11, v17
	;; [unrolled: 1-line block ×12, first 2 shown]
.LBB178_836:
	s_or_b32 exec_lo, exec_lo, s0
	v_lshlrev_b32_e32 v9, 2, v20
	s_mov_b32 s1, exec_lo
	v_cmp_eq_u32_e32 vcc_lo, 0, v78
	s_wait_dscnt 0x0
	s_barrier_signal -1
	v_add3_u32 v1, 0x320, v1, v9
	s_barrier_wait -1
	v_cmpx_gt_u32_e32 64, v0
	s_cbranch_execz .LBB178_851
; %bb.837:
	s_and_saveexec_b32 s0, vcc_lo
	s_cbranch_execnz .LBB178_871
; %bb.838:
	s_or_b32 exec_lo, exec_lo, s0
	s_and_saveexec_b32 s0, vcc_lo
	s_cbranch_execnz .LBB178_872
.LBB178_839:
	s_or_b32 exec_lo, exec_lo, s0
	s_and_saveexec_b32 s0, vcc_lo
	s_cbranch_execnz .LBB178_873
.LBB178_840:
	s_or_b32 exec_lo, exec_lo, s0
	s_and_saveexec_b32 s0, vcc_lo
	s_cbranch_execnz .LBB178_874
.LBB178_841:
	s_or_b32 exec_lo, exec_lo, s0
	s_and_saveexec_b32 s0, vcc_lo
	s_cbranch_execnz .LBB178_875
.LBB178_842:
	s_or_b32 exec_lo, exec_lo, s0
	s_and_saveexec_b32 s0, vcc_lo
	s_cbranch_execnz .LBB178_876
.LBB178_843:
	s_or_b32 exec_lo, exec_lo, s0
	s_and_saveexec_b32 s0, vcc_lo
	s_cbranch_execnz .LBB178_877
.LBB178_844:
	s_or_b32 exec_lo, exec_lo, s0
	s_and_saveexec_b32 s0, vcc_lo
	s_cbranch_execnz .LBB178_878
.LBB178_845:
	s_or_b32 exec_lo, exec_lo, s0
	s_and_saveexec_b32 s0, vcc_lo
	s_cbranch_execnz .LBB178_879
.LBB178_846:
	s_or_b32 exec_lo, exec_lo, s0
	s_and_saveexec_b32 s0, vcc_lo
	s_cbranch_execnz .LBB178_880
.LBB178_847:
	s_or_b32 exec_lo, exec_lo, s0
	s_and_saveexec_b32 s0, vcc_lo
	s_cbranch_execnz .LBB178_881
.LBB178_848:
	s_or_b32 exec_lo, exec_lo, s0
	s_and_saveexec_b32 s0, vcc_lo
	s_cbranch_execz .LBB178_850
.LBB178_849:
	ds_load_b32 v9, v1 offset:704
	s_wait_dscnt 0x0
	v_add_f32_e32 v7, v7, v9
.LBB178_850:
	s_or_b32 exec_lo, exec_lo, s0
.LBB178_851:
	s_delay_alu instid0(SALU_CYCLE_1) | instskip(SKIP_4) | instid1(VALU_DEP_1)
	s_or_b32 exec_lo, exec_lo, s1
	v_and_b32_e32 v9, 0x3e1, v0
	s_mov_b32 s1, exec_lo
	s_barrier_signal -1
	s_barrier_wait -1
	v_cmpx_eq_u32_e32 32, v9
	s_cbranch_execz .LBB178_853
; %bb.852:
	ds_store_2addr_b32 v8, v16, v17 offset1:16
	ds_store_2addr_b32 v8, v14, v15 offset0:32 offset1:48
	ds_store_2addr_b32 v8, v12, v13 offset0:64 offset1:80
	ds_store_2addr_b32 v8, v4, v5 offset0:96 offset1:112
	ds_store_2addr_b32 v8, v2, v3 offset0:128 offset1:144
	ds_store_2addr_b32 v8, v6, v7 offset0:160 offset1:176
.LBB178_853:
	s_or_b32 exec_lo, exec_lo, s1
	s_delay_alu instid0(SALU_CYCLE_1)
	s_mov_b32 s1, exec_lo
	s_wait_dscnt 0x0
	s_barrier_signal -1
	s_barrier_wait -1
	v_cmpx_gt_u32_e32 32, v0
	s_cbranch_execz .LBB178_868
; %bb.854:
	s_and_saveexec_b32 s0, vcc_lo
	s_cbranch_execnz .LBB178_882
; %bb.855:
	s_or_b32 exec_lo, exec_lo, s0
	s_and_saveexec_b32 s0, vcc_lo
	s_cbranch_execnz .LBB178_883
.LBB178_856:
	s_or_b32 exec_lo, exec_lo, s0
	s_and_saveexec_b32 s0, vcc_lo
	s_cbranch_execnz .LBB178_884
.LBB178_857:
	s_or_b32 exec_lo, exec_lo, s0
	s_and_saveexec_b32 s0, vcc_lo
	s_cbranch_execnz .LBB178_885
.LBB178_858:
	s_or_b32 exec_lo, exec_lo, s0
	s_and_saveexec_b32 s0, vcc_lo
	s_cbranch_execnz .LBB178_886
.LBB178_859:
	s_or_b32 exec_lo, exec_lo, s0
	s_and_saveexec_b32 s0, vcc_lo
	s_cbranch_execnz .LBB178_887
.LBB178_860:
	s_or_b32 exec_lo, exec_lo, s0
	s_and_saveexec_b32 s0, vcc_lo
	s_cbranch_execnz .LBB178_888
.LBB178_861:
	s_or_b32 exec_lo, exec_lo, s0
	s_and_saveexec_b32 s0, vcc_lo
	s_cbranch_execnz .LBB178_889
.LBB178_862:
	s_or_b32 exec_lo, exec_lo, s0
	s_and_saveexec_b32 s0, vcc_lo
	s_cbranch_execnz .LBB178_890
.LBB178_863:
	s_or_b32 exec_lo, exec_lo, s0
	s_and_saveexec_b32 s0, vcc_lo
	s_cbranch_execnz .LBB178_891
.LBB178_864:
	s_or_b32 exec_lo, exec_lo, s0
	s_and_saveexec_b32 s0, vcc_lo
	s_cbranch_execnz .LBB178_892
.LBB178_865:
	s_or_b32 exec_lo, exec_lo, s0
	s_and_saveexec_b32 s0, vcc_lo
	s_cbranch_execz .LBB178_867
.LBB178_866:
	ds_load_b32 v1, v1 offset:704
	s_wait_dscnt 0x0
	v_add_f32_e32 v7, v7, v1
.LBB178_867:
	s_or_b32 exec_lo, exec_lo, s0
.LBB178_868:
	s_delay_alu instid0(SALU_CYCLE_1)
	s_or_b32 exec_lo, exec_lo, s1
	s_mov_b32 s1, 0
	s_barrier_signal -1
	s_barrier_wait -1
	s_mov_b32 s0, exec_lo
	v_cmpx_eq_u32_e32 0, v9
	s_cbranch_execz .LBB178_870
; %bb.869:
	s_mul_i32 s0, s22, s23
	s_mul_i32 s2, s23, s12
	;; [unrolled: 1-line block ×3, first 2 shown]
	s_lshr_b32 s8, ttmp7, 16
	s_mul_i32 s6, s0, 0xc0
	s_bfe_u32 s0, ttmp6, 0x40014
	s_ashr_i32 s7, s6, 31
	s_add_co_i32 s0, s0, 1
	s_lshl_b64 s[6:7], s[6:7], 2
	s_ashr_i32 s3, s2, 31
	s_wait_kmcnt 0x0
	s_add_nc_u64 s[4:5], s[4:5], s[6:7]
	s_mul_i32 s0, s8, s0
	s_bfe_u32 s6, ttmp6, 0x40008
	s_lshl_b64 s[2:3], s[2:3], 2
	s_add_co_i32 s6, s6, s0
	s_cmp_eq_u32 s20, 0
	v_lshlrev_b32_e32 v0, 1, v0
	s_cselect_b32 s0, s8, s6
	s_add_nc_u64 s[2:3], s[4:5], s[2:3]
	s_mulk_i32 s0, 0x300
	s_delay_alu instid0(SALU_CYCLE_1)
	s_add_nc_u64 s[0:1], s[2:3], s[0:1]
	s_clause 0xb
	global_store_b32 v0, v16, s[0:1]
	global_store_b32 v0, v17, s[0:1] offset:64
	global_store_b32 v0, v14, s[0:1] offset:128
	;; [unrolled: 1-line block ×11, first 2 shown]
.LBB178_870:
	s_sendmsg sendmsg(MSG_DEALLOC_VGPRS)
	s_endpgm
.LBB178_871:
	ds_load_b32 v9, v1
	s_wait_dscnt 0x0
	v_add_f32_e32 v16, v16, v9
	s_or_b32 exec_lo, exec_lo, s0
	s_and_saveexec_b32 s0, vcc_lo
	s_cbranch_execz .LBB178_839
.LBB178_872:
	ds_load_b32 v9, v1 offset:64
	s_wait_dscnt 0x0
	v_add_f32_e32 v17, v17, v9
	s_or_b32 exec_lo, exec_lo, s0
	s_and_saveexec_b32 s0, vcc_lo
	s_cbranch_execz .LBB178_840
.LBB178_873:
	ds_load_b32 v9, v1 offset:128
	s_wait_dscnt 0x0
	v_add_f32_e32 v14, v14, v9
	s_or_b32 exec_lo, exec_lo, s0
	s_and_saveexec_b32 s0, vcc_lo
	s_cbranch_execz .LBB178_841
.LBB178_874:
	ds_load_b32 v9, v1 offset:192
	s_wait_dscnt 0x0
	v_add_f32_e32 v15, v15, v9
	s_or_b32 exec_lo, exec_lo, s0
	s_and_saveexec_b32 s0, vcc_lo
	s_cbranch_execz .LBB178_842
.LBB178_875:
	ds_load_b32 v9, v1 offset:256
	s_wait_dscnt 0x0
	v_add_f32_e32 v12, v12, v9
	s_or_b32 exec_lo, exec_lo, s0
	s_and_saveexec_b32 s0, vcc_lo
	s_cbranch_execz .LBB178_843
.LBB178_876:
	ds_load_b32 v9, v1 offset:320
	s_wait_dscnt 0x0
	v_add_f32_e32 v13, v13, v9
	s_or_b32 exec_lo, exec_lo, s0
	s_and_saveexec_b32 s0, vcc_lo
	s_cbranch_execz .LBB178_844
.LBB178_877:
	ds_load_b32 v9, v1 offset:384
	s_wait_dscnt 0x0
	v_add_f32_e32 v4, v4, v9
	s_or_b32 exec_lo, exec_lo, s0
	s_and_saveexec_b32 s0, vcc_lo
	s_cbranch_execz .LBB178_845
.LBB178_878:
	ds_load_b32 v9, v1 offset:448
	s_wait_dscnt 0x0
	v_add_f32_e32 v5, v5, v9
	s_or_b32 exec_lo, exec_lo, s0
	s_and_saveexec_b32 s0, vcc_lo
	s_cbranch_execz .LBB178_846
.LBB178_879:
	ds_load_b32 v9, v1 offset:512
	s_wait_dscnt 0x0
	v_add_f32_e32 v2, v2, v9
	s_or_b32 exec_lo, exec_lo, s0
	s_and_saveexec_b32 s0, vcc_lo
	s_cbranch_execz .LBB178_847
.LBB178_880:
	ds_load_b32 v9, v1 offset:576
	s_wait_dscnt 0x0
	v_add_f32_e32 v3, v3, v9
	s_or_b32 exec_lo, exec_lo, s0
	s_and_saveexec_b32 s0, vcc_lo
	s_cbranch_execz .LBB178_848
.LBB178_881:
	ds_load_b32 v9, v1 offset:640
	s_wait_dscnt 0x0
	v_add_f32_e32 v6, v6, v9
	s_or_b32 exec_lo, exec_lo, s0
	s_and_saveexec_b32 s0, vcc_lo
	s_cbranch_execnz .LBB178_849
	s_branch .LBB178_850
.LBB178_882:
	ds_load_b32 v8, v1
	s_wait_dscnt 0x0
	v_add_f32_e32 v16, v16, v8
	s_or_b32 exec_lo, exec_lo, s0
	s_and_saveexec_b32 s0, vcc_lo
	s_cbranch_execz .LBB178_856
.LBB178_883:
	ds_load_b32 v8, v1 offset:64
	s_wait_dscnt 0x0
	v_add_f32_e32 v17, v17, v8
	s_or_b32 exec_lo, exec_lo, s0
	s_and_saveexec_b32 s0, vcc_lo
	s_cbranch_execz .LBB178_857
.LBB178_884:
	ds_load_b32 v8, v1 offset:128
	s_wait_dscnt 0x0
	v_add_f32_e32 v14, v14, v8
	s_or_b32 exec_lo, exec_lo, s0
	s_and_saveexec_b32 s0, vcc_lo
	s_cbranch_execz .LBB178_858
.LBB178_885:
	ds_load_b32 v8, v1 offset:192
	s_wait_dscnt 0x0
	v_add_f32_e32 v15, v15, v8
	s_or_b32 exec_lo, exec_lo, s0
	s_and_saveexec_b32 s0, vcc_lo
	s_cbranch_execz .LBB178_859
.LBB178_886:
	ds_load_b32 v8, v1 offset:256
	s_wait_dscnt 0x0
	v_add_f32_e32 v12, v12, v8
	s_or_b32 exec_lo, exec_lo, s0
	s_and_saveexec_b32 s0, vcc_lo
	s_cbranch_execz .LBB178_860
.LBB178_887:
	ds_load_b32 v8, v1 offset:320
	s_wait_dscnt 0x0
	v_add_f32_e32 v13, v13, v8
	s_or_b32 exec_lo, exec_lo, s0
	s_and_saveexec_b32 s0, vcc_lo
	s_cbranch_execz .LBB178_861
.LBB178_888:
	ds_load_b32 v8, v1 offset:384
	s_wait_dscnt 0x0
	v_add_f32_e32 v4, v4, v8
	s_or_b32 exec_lo, exec_lo, s0
	s_and_saveexec_b32 s0, vcc_lo
	s_cbranch_execz .LBB178_862
.LBB178_889:
	ds_load_b32 v8, v1 offset:448
	s_wait_dscnt 0x0
	v_add_f32_e32 v5, v5, v8
	s_or_b32 exec_lo, exec_lo, s0
	s_and_saveexec_b32 s0, vcc_lo
	s_cbranch_execz .LBB178_863
.LBB178_890:
	ds_load_b32 v8, v1 offset:512
	s_wait_dscnt 0x0
	v_add_f32_e32 v2, v2, v8
	s_or_b32 exec_lo, exec_lo, s0
	s_and_saveexec_b32 s0, vcc_lo
	s_cbranch_execz .LBB178_864
.LBB178_891:
	ds_load_b32 v8, v1 offset:576
	s_wait_dscnt 0x0
	v_add_f32_e32 v3, v3, v8
	s_or_b32 exec_lo, exec_lo, s0
	s_and_saveexec_b32 s0, vcc_lo
	s_cbranch_execz .LBB178_865
.LBB178_892:
	ds_load_b32 v8, v1 offset:640
	s_wait_dscnt 0x0
	v_add_f32_e32 v6, v6, v8
	s_or_b32 exec_lo, exec_lo, s0
	s_and_saveexec_b32 s0, vcc_lo
	s_cbranch_execnz .LBB178_866
	s_branch .LBB178_867
	.section	.rodata,"a",@progbits
	.p2align	6, 0x0
	.amdhsa_kernel _ZN4vllm25paged_attention_v1_kernelIfhLi192ELi8ELi128ELNS_18Fp8KVCacheDataTypeE1ELb0EEEvPT_PKS2_PKT0_S8_ifPKiSA_iPKfiiiSC_SC_iiiii
		.amdhsa_group_segment_fixed_size 800
		.amdhsa_private_segment_fixed_size 0
		.amdhsa_kernarg_size 384
		.amdhsa_user_sgpr_count 2
		.amdhsa_user_sgpr_dispatch_ptr 0
		.amdhsa_user_sgpr_queue_ptr 0
		.amdhsa_user_sgpr_kernarg_segment_ptr 1
		.amdhsa_user_sgpr_dispatch_id 0
		.amdhsa_user_sgpr_kernarg_preload_length 0
		.amdhsa_user_sgpr_kernarg_preload_offset 0
		.amdhsa_user_sgpr_private_segment_size 0
		.amdhsa_wavefront_size32 1
		.amdhsa_uses_dynamic_stack 0
		.amdhsa_enable_private_segment 0
		.amdhsa_system_sgpr_workgroup_id_x 1
		.amdhsa_system_sgpr_workgroup_id_y 1
		.amdhsa_system_sgpr_workgroup_id_z 1
		.amdhsa_system_sgpr_workgroup_info 0
		.amdhsa_system_vgpr_workitem_id 0
		.amdhsa_next_free_vgpr 118
		.amdhsa_next_free_sgpr 31
		.amdhsa_named_barrier_count 0
		.amdhsa_reserve_vcc 1
		.amdhsa_float_round_mode_32 0
		.amdhsa_float_round_mode_16_64 0
		.amdhsa_float_denorm_mode_32 3
		.amdhsa_float_denorm_mode_16_64 3
		.amdhsa_fp16_overflow 0
		.amdhsa_memory_ordered 1
		.amdhsa_forward_progress 1
		.amdhsa_inst_pref_size 229
		.amdhsa_round_robin_scheduling 0
		.amdhsa_exception_fp_ieee_invalid_op 0
		.amdhsa_exception_fp_denorm_src 0
		.amdhsa_exception_fp_ieee_div_zero 0
		.amdhsa_exception_fp_ieee_overflow 0
		.amdhsa_exception_fp_ieee_underflow 0
		.amdhsa_exception_fp_ieee_inexact 0
		.amdhsa_exception_int_div_zero 0
	.end_amdhsa_kernel
	.section	.text._ZN4vllm25paged_attention_v1_kernelIfhLi192ELi8ELi128ELNS_18Fp8KVCacheDataTypeE1ELb0EEEvPT_PKS2_PKT0_S8_ifPKiSA_iPKfiiiSC_SC_iiiii,"axG",@progbits,_ZN4vllm25paged_attention_v1_kernelIfhLi192ELi8ELi128ELNS_18Fp8KVCacheDataTypeE1ELb0EEEvPT_PKS2_PKT0_S8_ifPKiSA_iPKfiiiSC_SC_iiiii,comdat
.Lfunc_end178:
	.size	_ZN4vllm25paged_attention_v1_kernelIfhLi192ELi8ELi128ELNS_18Fp8KVCacheDataTypeE1ELb0EEEvPT_PKS2_PKT0_S8_ifPKiSA_iPKfiiiSC_SC_iiiii, .Lfunc_end178-_ZN4vllm25paged_attention_v1_kernelIfhLi192ELi8ELi128ELNS_18Fp8KVCacheDataTypeE1ELb0EEEvPT_PKS2_PKT0_S8_ifPKiSA_iPKfiiiSC_SC_iiiii
                                        ; -- End function
	.set _ZN4vllm25paged_attention_v1_kernelIfhLi192ELi8ELi128ELNS_18Fp8KVCacheDataTypeE1ELb0EEEvPT_PKS2_PKT0_S8_ifPKiSA_iPKfiiiSC_SC_iiiii.num_vgpr, 118
	.set _ZN4vllm25paged_attention_v1_kernelIfhLi192ELi8ELi128ELNS_18Fp8KVCacheDataTypeE1ELb0EEEvPT_PKS2_PKT0_S8_ifPKiSA_iPKfiiiSC_SC_iiiii.num_agpr, 0
	.set _ZN4vllm25paged_attention_v1_kernelIfhLi192ELi8ELi128ELNS_18Fp8KVCacheDataTypeE1ELb0EEEvPT_PKS2_PKT0_S8_ifPKiSA_iPKfiiiSC_SC_iiiii.numbered_sgpr, 31
	.set _ZN4vllm25paged_attention_v1_kernelIfhLi192ELi8ELi128ELNS_18Fp8KVCacheDataTypeE1ELb0EEEvPT_PKS2_PKT0_S8_ifPKiSA_iPKfiiiSC_SC_iiiii.num_named_barrier, 0
	.set _ZN4vllm25paged_attention_v1_kernelIfhLi192ELi8ELi128ELNS_18Fp8KVCacheDataTypeE1ELb0EEEvPT_PKS2_PKT0_S8_ifPKiSA_iPKfiiiSC_SC_iiiii.private_seg_size, 0
	.set _ZN4vllm25paged_attention_v1_kernelIfhLi192ELi8ELi128ELNS_18Fp8KVCacheDataTypeE1ELb0EEEvPT_PKS2_PKT0_S8_ifPKiSA_iPKfiiiSC_SC_iiiii.uses_vcc, 1
	.set _ZN4vllm25paged_attention_v1_kernelIfhLi192ELi8ELi128ELNS_18Fp8KVCacheDataTypeE1ELb0EEEvPT_PKS2_PKT0_S8_ifPKiSA_iPKfiiiSC_SC_iiiii.uses_flat_scratch, 0
	.set _ZN4vllm25paged_attention_v1_kernelIfhLi192ELi8ELi128ELNS_18Fp8KVCacheDataTypeE1ELb0EEEvPT_PKS2_PKT0_S8_ifPKiSA_iPKfiiiSC_SC_iiiii.has_dyn_sized_stack, 0
	.set _ZN4vllm25paged_attention_v1_kernelIfhLi192ELi8ELi128ELNS_18Fp8KVCacheDataTypeE1ELb0EEEvPT_PKS2_PKT0_S8_ifPKiSA_iPKfiiiSC_SC_iiiii.has_recursion, 0
	.set _ZN4vllm25paged_attention_v1_kernelIfhLi192ELi8ELi128ELNS_18Fp8KVCacheDataTypeE1ELb0EEEvPT_PKS2_PKT0_S8_ifPKiSA_iPKfiiiSC_SC_iiiii.has_indirect_call, 0
	.section	.AMDGPU.csdata,"",@progbits
; Kernel info:
; codeLenInByte = 29272
; TotalNumSgprs: 33
; NumVgprs: 118
; ScratchSize: 0
; MemoryBound: 0
; FloatMode: 240
; IeeeMode: 1
; LDSByteSize: 800 bytes/workgroup (compile time only)
; SGPRBlocks: 0
; VGPRBlocks: 7
; NumSGPRsForWavesPerEU: 33
; NumVGPRsForWavesPerEU: 118
; NamedBarCnt: 0
; Occupancy: 8
; WaveLimiterHint : 1
; COMPUTE_PGM_RSRC2:SCRATCH_EN: 0
; COMPUTE_PGM_RSRC2:USER_SGPR: 2
; COMPUTE_PGM_RSRC2:TRAP_HANDLER: 0
; COMPUTE_PGM_RSRC2:TGID_X_EN: 1
; COMPUTE_PGM_RSRC2:TGID_Y_EN: 1
; COMPUTE_PGM_RSRC2:TGID_Z_EN: 1
; COMPUTE_PGM_RSRC2:TIDIG_COMP_CNT: 0
	.section	.text._ZN4vllm25paged_attention_v1_kernelIfhLi256ELi8ELi128ELNS_18Fp8KVCacheDataTypeE1ELb0EEEvPT_PKS2_PKT0_S8_ifPKiSA_iPKfiiiSC_SC_iiiii,"axG",@progbits,_ZN4vllm25paged_attention_v1_kernelIfhLi256ELi8ELi128ELNS_18Fp8KVCacheDataTypeE1ELb0EEEvPT_PKS2_PKT0_S8_ifPKiSA_iPKfiiiSC_SC_iiiii,comdat
	.protected	_ZN4vllm25paged_attention_v1_kernelIfhLi256ELi8ELi128ELNS_18Fp8KVCacheDataTypeE1ELb0EEEvPT_PKS2_PKT0_S8_ifPKiSA_iPKfiiiSC_SC_iiiii ; -- Begin function _ZN4vllm25paged_attention_v1_kernelIfhLi256ELi8ELi128ELNS_18Fp8KVCacheDataTypeE1ELb0EEEvPT_PKS2_PKT0_S8_ifPKiSA_iPKfiiiSC_SC_iiiii
	.globl	_ZN4vllm25paged_attention_v1_kernelIfhLi256ELi8ELi128ELNS_18Fp8KVCacheDataTypeE1ELb0EEEvPT_PKS2_PKT0_S8_ifPKiSA_iPKfiiiSC_SC_iiiii
	.p2align	8
	.type	_ZN4vllm25paged_attention_v1_kernelIfhLi256ELi8ELi128ELNS_18Fp8KVCacheDataTypeE1ELb0EEEvPT_PKS2_PKT0_S8_ifPKiSA_iPKfiiiSC_SC_iiiii,@function
_ZN4vllm25paged_attention_v1_kernelIfhLi256ELi8ELi128ELNS_18Fp8KVCacheDataTypeE1ELb0EEEvPT_PKS2_PKT0_S8_ifPKiSA_iPKfiiiSC_SC_iiiii: ; @_ZN4vllm25paged_attention_v1_kernelIfhLi256ELi8ELi128ELNS_18Fp8KVCacheDataTypeE1ELb0EEEvPT_PKS2_PKT0_S8_ifPKiSA_iPKfiiiSC_SC_iiiii
; %bb.0:
	s_load_b64 s[18:19], s[0:1], 0x20
	s_bfe_u32 s3, ttmp6, 0x4000c
	s_bfe_u32 s5, ttmp6, 0x40010
	s_and_b32 s4, ttmp7, 0xffff
	s_add_co_i32 s3, s3, 1
	s_add_co_i32 s5, s5, 1
	s_and_b32 s2, ttmp6, 15
	s_bfe_u32 s6, ttmp6, 0x40004
	s_mul_i32 s3, ttmp9, s3
	s_mul_i32 s5, s4, s5
	s_getreg_b32 s20, hwreg(HW_REG_IB_STS2, 6, 4)
	s_add_co_i32 s2, s2, s3
	s_add_co_i32 s3, s6, s5
	s_cmp_eq_u32 s20, 0
	v_mov_b32_e32 v22, v0
	s_cselect_b32 s22, s4, s3
	s_cselect_b32 s4, ttmp9, s2
	s_clause 0x1
	s_load_b32 s21, s[0:1], 0x80
	s_load_b64 s[6:7], s[0:1], 0x30
	s_wait_kmcnt 0x0
	s_abs_i32 s2, s18
	s_delay_alu instid0(SALU_CYCLE_1) | instskip(SKIP_1) | instid1(SALU_CYCLE_2)
	s_cvt_f32_u32 s3, s2
	s_sub_co_i32 s5, 0, s2
	v_rcp_iflag_f32_e32 v0, s3
	v_nop
	s_delay_alu instid0(TRANS32_DEP_1) | instskip(SKIP_2) | instid1(SALU_CYCLE_3)
	v_readfirstlane_b32 s3, v0
	s_abs_i32 s8, s21
	s_mul_f32 s3, s3, 0x4f7ffffe
	s_cvt_u32_f32 s3, s3
	s_delay_alu instid0(SALU_CYCLE_3) | instskip(NEXT) | instid1(SALU_CYCLE_1)
	s_mul_i32 s5, s5, s3
	s_mul_hi_u32 s5, s3, s5
	s_delay_alu instid0(SALU_CYCLE_1) | instskip(SKIP_4) | instid1(SALU_CYCLE_1)
	s_add_co_i32 s3, s3, s5
	s_xor_b32 s5, s21, s18
	s_mul_hi_u32 s3, s8, s3
	s_ashr_i32 s5, s5, 31
	s_mul_i32 s9, s3, s2
	s_sub_co_i32 s8, s8, s9
	s_add_co_i32 s9, s3, 1
	s_sub_co_i32 s10, s8, s2
	s_cmp_ge_u32 s8, s2
	s_cselect_b32 s3, s9, s3
	s_cselect_b32 s8, s10, s8
	s_add_co_i32 s9, s3, 1
	s_cmp_ge_u32 s8, s2
	s_cselect_b32 s2, s9, s3
	s_load_b64 s[8:9], s[0:1], 0x40
	s_xor_b32 s2, s2, s5
	s_mov_b32 s3, 0
	s_sub_co_i32 s15, s2, s5
	s_mov_b32 s13, s3
	s_abs_i32 s11, s15
	s_mov_b32 s18, s3
	s_cvt_f32_u32 s2, s11
	s_delay_alu instid0(SALU_CYCLE_3) | instskip(SKIP_1) | instid1(TRANS32_DEP_1)
	v_rcp_iflag_f32_e32 v0, s2
	v_nop
	v_readfirstlane_b32 s2, v0
	s_mul_f32 s2, s2, 0x4f7ffffe
	s_delay_alu instid0(SALU_CYCLE_3) | instskip(SKIP_1) | instid1(SALU_CYCLE_2)
	s_cvt_u32_f32 s5, s2
	s_sub_co_i32 s2, 0, s11
	s_mul_i32 s2, s2, s5
	s_delay_alu instid0(SALU_CYCLE_1)
	s_mul_hi_u32 s10, s5, s2
	s_abs_i32 s2, s4
	s_add_co_i32 s12, s5, s10
	s_wait_kmcnt 0x0
	s_cmp_eq_u64 s[8:9], 0
	s_cbranch_scc1 .LBB179_2
; %bb.1:
	s_ashr_i32 s5, s4, 31
	s_delay_alu instid0(SALU_CYCLE_1) | instskip(NEXT) | instid1(SALU_CYCLE_1)
	s_lshl_b64 s[16:17], s[4:5], 2
	s_add_nc_u64 s[8:9], s[8:9], s[16:17]
	s_load_b32 s18, s[8:9], 0x0
.LBB179_2:
	s_load_b32 s24, s[6:7], s22 offset:0x0 scale_offset
	s_load_b32 s23, s[0:1], 0x88
	s_wait_xcnt 0x0
	s_load_b96 s[8:10], s[0:1], 0x48
	v_and_b32_e32 v68, 3, v22
	s_ashr_i32 s14, s4, 31
	s_ashr_i32 s15, s15, 31
	s_mul_u64 s[6:7], s[2:3], s[12:13]
	s_lshl_b32 s12, s4, 8
	s_mov_b32 s3, exec_lo
	v_cmpx_gt_u32_e32 0x100, v22
	s_cbranch_execz .LBB179_5
; %bb.3:
	s_load_b64 s[4:5], s[0:1], 0x8
	s_wait_kmcnt 0x0
	s_mul_i32 s16, s8, s22
	s_ashr_i32 s13, s12, 31
	s_ashr_i32 s17, s16, 31
	v_and_b32_e32 v0, 0x3fc, v22
	s_lshl_b64 s[16:17], s[16:17], 2
	v_cmp_gt_u32_e32 vcc_lo, 0x80, v22
	s_delay_alu instid0(VALU_DEP_2) | instskip(SKIP_2) | instid1(SALU_CYCLE_1)
	v_lshl_add_u32 v0, v68, 8, v0
	s_add_nc_u64 s[4:5], s[4:5], s[16:17]
	s_lshl_b64 s[16:17], s[12:13], 2
	s_add_nc_u64 s[4:5], s[4:5], s[16:17]
	global_load_b32 v1, v22, s[4:5] scale_offset
	s_wait_loadcnt 0x0
	ds_store_b32 v0, v1
	s_and_b32 exec_lo, exec_lo, vcc_lo
	s_cbranch_execz .LBB179_5
; %bb.4:
	v_dual_lshrrev_b32 v1, 2, v22 :: v_dual_lshlrev_b32 v2, 2, v68
	s_delay_alu instid0(VALU_DEP_1) | instskip(NEXT) | instid1(VALU_DEP_1)
	v_lshlrev_b32_e32 v1, 4, v1
	v_or3_b32 v1, v1, v2, 0x200
	global_load_b32 v1, v1, s[4:5]
	s_wait_loadcnt 0x0
	ds_store_b32 v0, v1 offset:128
.LBB179_5:
	s_or_b32 exec_lo, exec_lo, s3
	s_wait_kmcnt 0x0
	s_add_co_i32 s3, s24, 7
	s_load_b32 s4, s[0:1], 0x38
	s_ashr_i32 s5, s3, 31
	s_mul_i32 s8, s7, s11
	s_lshr_b32 s5, s5, 29
	s_sub_co_i32 s2, s2, s8
	s_add_co_i32 s3, s3, s5
	s_xor_b32 s6, s14, s15
	s_ashr_i32 s8, s3, 3
	s_add_co_i32 s3, s7, 1
	s_sub_co_i32 s5, s2, s11
	s_cmp_ge_u32 s2, s11
	v_lshrrev_b32_e32 v0, 5, v22
	s_cselect_b32 s3, s3, s7
	s_cselect_b32 s2, s5, s2
	s_add_co_i32 s5, s3, 1
	s_cmp_ge_u32 s2, s11
	v_mbcnt_lo_u32_b32 v34, -1, 0
	s_cselect_b32 s2, s5, s3
	s_wait_dscnt 0x0
	s_xor_b32 s2, s2, s6
	s_wait_kmcnt 0x0
	s_mul_i32 s14, s4, s22
	s_sub_co_i32 s3, s2, s6
	v_cmp_gt_i32_e64 s2, s8, v0
	s_ashr_i32 s15, s14, 31
	s_mov_b32 s4, exec_lo
	s_barrier_signal -1
	scratch_store_b32 off, v0, off offset:68 ; 4-byte Folded Spill
	s_barrier_wait -1
	s_wait_storecnt 0x0
                                        ; implicit-def: $vgpr67
                                        ; implicit-def: $vgpr9
	s_wait_xcnt 0x0
	v_cmpx_le_i32_e64 s8, v0
	s_xor_b32 s4, exec_lo, s4
; %bb.6:
	v_dual_mov_b32 v67, 0 :: v_dual_mov_b32 v9, 32
	v_mbcnt_lo_u32_b32 v34, -1, 0
                                        ; implicit-def: $vgpr68
; %bb.7:
	s_or_saveexec_b32 s13, s4
	s_clause 0x1
	s_load_b64 s[16:17], s[0:1], 0x28
	s_load_b128 s[4:7], s[0:1], 0x58
	v_dual_mov_b32 v95, 0xff7fffff :: v_dual_lshrrev_b32 v72, 3, v22
	s_mul_i32 s10, s3, s10
	scratch_store_b32 off, v22, off offset:72 ; 4-byte Folded Spill
	s_wait_xcnt 0x0
	s_xor_b32 exec_lo, exec_lo, s13
	s_cbranch_execz .LBB179_525
; %bb.8:
	v_xor_b32_e32 v1, 1, v34
	v_dual_lshlrev_b32 v62, 8, v68 :: v_dual_bitop2_b32 v0, 2, v34 bitop3:0x14
	v_mov_b32_e32 v67, 0
	v_bfe_u32 v70, v22, 2, 3
	ds_load_b128 v[2:5], v62
	ds_load_b128 v[6:9], v62 offset:16
	ds_load_b128 v[10:13], v62 offset:32
	;; [unrolled: 1-line block ×7, first 2 shown]
	v_cmp_gt_i32_e32 vcc_lo, 32, v0
	scratch_store_b32 off, v34, off offset:88 ; 4-byte Folded Spill
	s_load_b64 s[26:27], s[0:1], 0x10
	v_dual_mov_b32 v69, v67 :: v_dual_lshlrev_b32 v66, 4, v70
	v_cndmask_b32_e32 v42, v34, v0, vcc_lo
	v_cmp_gt_i32_e32 vcc_lo, 32, v1
	s_ashr_i32 s11, s10, 31
	s_cmp_neq_f32 s18, 0
	s_mov_b32 s25, s9
	v_mov_b32_e32 v95, 0xff7fffff
	v_cndmask_b32_e32 v71, v34, v1, vcc_lo
	ds_load_b128 v[34:37], v62 offset:128
	ds_load_b128 v[38:41], v62 offset:144
	v_lshlrev_b32_e32 v96, 2, v42
	s_wait_kmcnt 0x0
	s_load_b32 s5, s[4:5], 0x0
	ds_load_b128 v[42:45], v62 offset:160
	ds_load_b128 v[46:49], v62 offset:176
	;; [unrolled: 1-line block ×6, first 2 shown]
	scratch_load_b32 v82, off, off offset:68 ; 4-byte Folded Reload
	s_cselect_b32 s3, -1, 0
	v_lshlrev_b32_e32 v94, 2, v71
	v_cmp_eq_u32_e32 vcc_lo, 0, v68
	scratch_store_b32 off, v72, off offset:84 ; 4-byte Folded Spill
	s_add_nc_u64 s[26:27], s[26:27], s[10:11]
	s_mov_b32 s11, 0
	v_add_nc_u64_e32 v[0:1], s[26:27], v[66:67]
	v_lshlrev_b32_e32 v66, 2, v70
	s_lshl_b64 s[26:27], s[14:15], 2
	s_delay_alu instid0(SALU_CYCLE_1) | instskip(NEXT) | instid1(VALU_DEP_2)
	s_add_nc_u64 s[26:27], s[16:17], s[26:27]
	v_add_nc_u64_e32 v[64:65], v[0:1], v[68:69]
	s_wait_loadcnt 0x0
	v_lshl_or_b32 v0, v82, 5, v66
	v_and_b32_e32 v66, 0x7c, v72
	v_lshl_or_b32 v80, v82, 3, v70
	s_delay_alu instid0(VALU_DEP_3) | instskip(NEXT) | instid1(VALU_DEP_3)
	v_dual_mov_b32 v70, v82 :: v_dual_add_nc_u32 v81, 0x420, v0
	v_add_nc_u64_e32 v[124:125], s[26:27], v[66:67]
	s_sub_co_i32 s26, 1, s24
	s_branch .LBB179_10
.LBB179_9:                              ;   in Loop: Header=BB179_10 Depth=1
	s_or_b32 exec_lo, exec_lo, s27
	v_dual_add_nc_u32 v70, 4, v70 :: v_dual_add_nc_u32 v80, 32, v80
	v_add_nc_u64_e32 v[124:125], 16, v[124:125]
	v_add_nc_u32_e32 v81, 0x80, v81
	s_delay_alu instid0(VALU_DEP_3) | instskip(SKIP_1) | instid1(SALU_CYCLE_1)
	v_cmp_le_i32_e64 s4, s8, v70
	s_or_b32 s11, s4, s11
	s_and_not1_b32 exec_lo, exec_lo, s11
	s_cbranch_execz .LBB179_524
.LBB179_10:                             ; =>This Inner Loop Header: Depth=1
	global_load_b32 v0, v[124:125], off
	s_wait_dscnt 0x0
	v_dual_mov_b32 v1, 0 :: v_dual_mov_b32 v63, 0
	s_mov_b32 s27, exec_lo
	scratch_store_b32 off, v1, off offset:64 ; 4-byte Folded Spill
	s_wait_loadcnt 0x0
	s_wait_xcnt 0x2
	v_mad_nc_i64_i32 v[72:73], v0, s25, v[64:65]
	global_load_u8 v0, v[72:73], off
	s_wait_loadcnt 0x0
	s_wait_xcnt 0x0
	v_cmpx_ne_u16_e32 0, v0
	s_cbranch_execz .LBB179_18
; %bb.11:                               ;   in Loop: Header=BB179_10 Depth=1
	v_bfrev_b32_e32 v63, 1
	s_mov_b32 s28, exec_lo
	v_cmpx_ne_u16_e32 0x80, v0
	s_cbranch_execz .LBB179_17
; %bb.12:                               ;   in Loop: Header=BB179_10 Depth=1
	v_and_b32_e32 v1, 0xffff, v0
	v_mov_b32_e32 v63, 0x7f800001
	s_mov_b32 s29, exec_lo
	s_delay_alu instid0(VALU_DEP_2) | instskip(NEXT) | instid1(VALU_DEP_1)
	v_and_b32_e32 v68, 0x7f, v1
	v_cmpx_ne_u32_e32 0x7f, v68
	s_cbranch_execz .LBB179_16
; %bb.13:                               ;   in Loop: Header=BB179_10 Depth=1
	v_dual_lshrrev_b32 v1, 3, v68 :: v_dual_bitop2_b32 v66, 7, v1 bitop3:0x40
	s_mov_b32 s30, exec_lo
	v_cmpx_gt_u32_e32 8, v68
; %bb.14:                               ;   in Loop: Header=BB179_10 Depth=1
	s_delay_alu instid0(VALU_DEP_2) | instskip(NEXT) | instid1(VALU_DEP_1)
	v_clz_i32_u32_e32 v1, v66
	v_min_u32_e32 v1, 32, v1
	s_delay_alu instid0(VALU_DEP_1) | instskip(NEXT) | instid1(VALU_DEP_1)
	v_subrev_nc_u32_e32 v68, 28, v1
	v_lshlrev_b64_e32 v[68:69], v68, v[66:67]
	s_delay_alu instid0(VALU_DEP_1)
	v_dual_sub_nc_u32 v1, 29, v1 :: v_dual_bitop2_b32 v66, 7, v68 bitop3:0x40
; %bb.15:                               ;   in Loop: Header=BB179_10 Depth=1
	s_or_b32 exec_lo, exec_lo, s30
	s_delay_alu instid0(VALU_DEP_1) | instskip(NEXT) | instid1(VALU_DEP_2)
	v_dual_lshlrev_b32 v0, 24, v0 :: v_dual_lshlrev_b32 v66, 20, v66
	v_lshl_add_u32 v1, v1, 23, 0x3c000000
	s_delay_alu instid0(VALU_DEP_2) | instskip(NEXT) | instid1(VALU_DEP_1)
	v_and_b32_e32 v0, 0x80000000, v0
	v_or3_b32 v63, v66, v0, v1
.LBB179_16:                             ;   in Loop: Header=BB179_10 Depth=1
	s_or_b32 exec_lo, exec_lo, s29
.LBB179_17:                             ;   in Loop: Header=BB179_10 Depth=1
	s_delay_alu instid0(SALU_CYCLE_1)
	s_or_b32 exec_lo, exec_lo, s28
.LBB179_18:                             ;   in Loop: Header=BB179_10 Depth=1
	s_delay_alu instid0(SALU_CYCLE_1)
	s_or_b32 exec_lo, exec_lo, s27
	global_load_u8 v0, v[72:73], off offset:4
	s_mov_b32 s27, exec_lo
	s_wait_loadcnt 0x0
	v_cmpx_ne_u16_e32 0, v0
	s_cbranch_execz .LBB179_26
; %bb.19:                               ;   in Loop: Header=BB179_10 Depth=1
	v_bfrev_b32_e32 v1, 1
	s_mov_b32 s28, exec_lo
	scratch_store_b32 off, v1, off offset:64 ; 4-byte Folded Spill
	s_wait_xcnt 0x0
	v_cmpx_ne_u16_e32 0x80, v0
	s_cbranch_execz .LBB179_25
; %bb.20:                               ;   in Loop: Header=BB179_10 Depth=1
	v_and_b32_e32 v1, 0xffff, v0
	v_mov_b32_e32 v62, 0x7f800001
	s_mov_b32 s29, exec_lo
	s_delay_alu instid0(VALU_DEP_2)
	v_and_b32_e32 v68, 0x7f, v1
	scratch_store_b32 off, v62, off offset:64 ; 4-byte Folded Spill
	s_wait_xcnt 0x0
	v_cmpx_ne_u32_e32 0x7f, v68
	s_cbranch_execz .LBB179_24
; %bb.21:                               ;   in Loop: Header=BB179_10 Depth=1
	v_dual_lshrrev_b32 v1, 3, v68 :: v_dual_bitop2_b32 v66, 7, v1 bitop3:0x40
	s_mov_b32 s30, exec_lo
	v_cmpx_gt_u32_e32 8, v68
; %bb.22:                               ;   in Loop: Header=BB179_10 Depth=1
	s_delay_alu instid0(VALU_DEP_2) | instskip(NEXT) | instid1(VALU_DEP_1)
	v_clz_i32_u32_e32 v1, v66
	v_min_u32_e32 v1, 32, v1
	s_delay_alu instid0(VALU_DEP_1) | instskip(NEXT) | instid1(VALU_DEP_1)
	v_subrev_nc_u32_e32 v68, 28, v1
	v_lshlrev_b64_e32 v[68:69], v68, v[66:67]
	s_delay_alu instid0(VALU_DEP_1)
	v_dual_sub_nc_u32 v1, 29, v1 :: v_dual_bitop2_b32 v66, 7, v68 bitop3:0x40
; %bb.23:                               ;   in Loop: Header=BB179_10 Depth=1
	s_or_b32 exec_lo, exec_lo, s30
	s_delay_alu instid0(VALU_DEP_1) | instskip(NEXT) | instid1(VALU_DEP_2)
	v_dual_lshlrev_b32 v0, 24, v0 :: v_dual_lshlrev_b32 v66, 20, v66
	v_lshl_add_u32 v1, v1, 23, 0x3c000000
	s_delay_alu instid0(VALU_DEP_2) | instskip(NEXT) | instid1(VALU_DEP_1)
	v_and_b32_e32 v0, 0x80000000, v0
	v_or3_b32 v0, v66, v0, v1
	scratch_store_b32 off, v0, off offset:64 ; 4-byte Folded Spill
.LBB179_24:                             ;   in Loop: Header=BB179_10 Depth=1
	s_wait_xcnt 0x0
	s_or_b32 exec_lo, exec_lo, s29
.LBB179_25:                             ;   in Loop: Header=BB179_10 Depth=1
	s_delay_alu instid0(SALU_CYCLE_1)
	s_or_b32 exec_lo, exec_lo, s28
.LBB179_26:                             ;   in Loop: Header=BB179_10 Depth=1
	s_delay_alu instid0(SALU_CYCLE_1)
	s_or_b32 exec_lo, exec_lo, s27
	global_load_u8 v0, v[72:73], off offset:8
	v_dual_mov_b32 v97, 0 :: v_dual_mov_b32 v102, 0
	s_mov_b32 s27, exec_lo
	s_wait_loadcnt 0x0
	v_cmpx_ne_u16_e32 0, v0
	s_cbranch_execz .LBB179_34
; %bb.27:                               ;   in Loop: Header=BB179_10 Depth=1
	v_bfrev_b32_e32 v102, 1
	s_mov_b32 s28, exec_lo
	v_cmpx_ne_u16_e32 0x80, v0
	s_cbranch_execz .LBB179_33
; %bb.28:                               ;   in Loop: Header=BB179_10 Depth=1
	v_and_b32_e32 v1, 0xffff, v0
	v_mov_b32_e32 v102, 0x7f800001
	s_mov_b32 s29, exec_lo
	s_delay_alu instid0(VALU_DEP_2) | instskip(NEXT) | instid1(VALU_DEP_1)
	v_and_b32_e32 v68, 0x7f, v1
	v_cmpx_ne_u32_e32 0x7f, v68
	s_cbranch_execz .LBB179_32
; %bb.29:                               ;   in Loop: Header=BB179_10 Depth=1
	v_dual_lshrrev_b32 v1, 3, v68 :: v_dual_bitop2_b32 v66, 7, v1 bitop3:0x40
	s_mov_b32 s30, exec_lo
	v_cmpx_gt_u32_e32 8, v68
; %bb.30:                               ;   in Loop: Header=BB179_10 Depth=1
	s_delay_alu instid0(VALU_DEP_2) | instskip(NEXT) | instid1(VALU_DEP_1)
	v_clz_i32_u32_e32 v1, v66
	v_min_u32_e32 v1, 32, v1
	s_delay_alu instid0(VALU_DEP_1) | instskip(NEXT) | instid1(VALU_DEP_1)
	v_subrev_nc_u32_e32 v68, 28, v1
	v_lshlrev_b64_e32 v[68:69], v68, v[66:67]
	s_delay_alu instid0(VALU_DEP_1)
	v_dual_sub_nc_u32 v1, 29, v1 :: v_dual_bitop2_b32 v66, 7, v68 bitop3:0x40
; %bb.31:                               ;   in Loop: Header=BB179_10 Depth=1
	s_or_b32 exec_lo, exec_lo, s30
	s_delay_alu instid0(VALU_DEP_1) | instskip(NEXT) | instid1(VALU_DEP_2)
	v_dual_lshlrev_b32 v0, 24, v0 :: v_dual_lshlrev_b32 v66, 20, v66
	v_lshl_add_u32 v1, v1, 23, 0x3c000000
	s_delay_alu instid0(VALU_DEP_2) | instskip(NEXT) | instid1(VALU_DEP_1)
	v_and_b32_e32 v0, 0x80000000, v0
	v_or3_b32 v102, v66, v0, v1
.LBB179_32:                             ;   in Loop: Header=BB179_10 Depth=1
	s_or_b32 exec_lo, exec_lo, s29
.LBB179_33:                             ;   in Loop: Header=BB179_10 Depth=1
	s_delay_alu instid0(SALU_CYCLE_1)
	s_or_b32 exec_lo, exec_lo, s28
.LBB179_34:                             ;   in Loop: Header=BB179_10 Depth=1
	s_delay_alu instid0(SALU_CYCLE_1)
	s_or_b32 exec_lo, exec_lo, s27
	global_load_u8 v0, v[72:73], off offset:12
	s_mov_b32 s27, exec_lo
	s_wait_loadcnt 0x0
	v_cmpx_ne_u16_e32 0, v0
	s_cbranch_execz .LBB179_42
; %bb.35:                               ;   in Loop: Header=BB179_10 Depth=1
	v_bfrev_b32_e32 v97, 1
	s_mov_b32 s28, exec_lo
	v_cmpx_ne_u16_e32 0x80, v0
	s_cbranch_execz .LBB179_41
; %bb.36:                               ;   in Loop: Header=BB179_10 Depth=1
	v_and_b32_e32 v1, 0xffff, v0
	v_mov_b32_e32 v97, 0x7f800001
	s_mov_b32 s29, exec_lo
	s_delay_alu instid0(VALU_DEP_2) | instskip(NEXT) | instid1(VALU_DEP_1)
	v_and_b32_e32 v68, 0x7f, v1
	v_cmpx_ne_u32_e32 0x7f, v68
	s_cbranch_execz .LBB179_40
; %bb.37:                               ;   in Loop: Header=BB179_10 Depth=1
	v_dual_lshrrev_b32 v1, 3, v68 :: v_dual_bitop2_b32 v66, 7, v1 bitop3:0x40
	s_mov_b32 s30, exec_lo
	v_cmpx_gt_u32_e32 8, v68
; %bb.38:                               ;   in Loop: Header=BB179_10 Depth=1
	s_delay_alu instid0(VALU_DEP_2) | instskip(NEXT) | instid1(VALU_DEP_1)
	v_clz_i32_u32_e32 v1, v66
	v_min_u32_e32 v1, 32, v1
	s_delay_alu instid0(VALU_DEP_1) | instskip(NEXT) | instid1(VALU_DEP_1)
	v_subrev_nc_u32_e32 v68, 28, v1
	v_lshlrev_b64_e32 v[68:69], v68, v[66:67]
	s_delay_alu instid0(VALU_DEP_1)
	v_dual_sub_nc_u32 v1, 29, v1 :: v_dual_bitop2_b32 v66, 7, v68 bitop3:0x40
; %bb.39:                               ;   in Loop: Header=BB179_10 Depth=1
	s_or_b32 exec_lo, exec_lo, s30
	s_delay_alu instid0(VALU_DEP_1) | instskip(NEXT) | instid1(VALU_DEP_2)
	v_dual_lshlrev_b32 v0, 24, v0 :: v_dual_lshlrev_b32 v66, 20, v66
	v_lshl_add_u32 v1, v1, 23, 0x3c000000
	s_delay_alu instid0(VALU_DEP_2) | instskip(NEXT) | instid1(VALU_DEP_1)
	v_and_b32_e32 v0, 0x80000000, v0
	v_or3_b32 v97, v66, v0, v1
.LBB179_40:                             ;   in Loop: Header=BB179_10 Depth=1
	s_or_b32 exec_lo, exec_lo, s29
.LBB179_41:                             ;   in Loop: Header=BB179_10 Depth=1
	s_delay_alu instid0(SALU_CYCLE_1)
	s_or_b32 exec_lo, exec_lo, s28
.LBB179_42:                             ;   in Loop: Header=BB179_10 Depth=1
	s_delay_alu instid0(SALU_CYCLE_1)
	s_or_b32 exec_lo, exec_lo, s27
	global_load_u8 v0, v[72:73], off offset:128
	v_dual_mov_b32 v103, 0 :: v_dual_mov_b32 v104, 0
	s_mov_b32 s27, exec_lo
	s_wait_loadcnt 0x0
	v_cmpx_ne_u16_e32 0, v0
	s_cbranch_execz .LBB179_50
; %bb.43:                               ;   in Loop: Header=BB179_10 Depth=1
	v_bfrev_b32_e32 v104, 1
	s_mov_b32 s28, exec_lo
	v_cmpx_ne_u16_e32 0x80, v0
	s_cbranch_execz .LBB179_49
; %bb.44:                               ;   in Loop: Header=BB179_10 Depth=1
	v_and_b32_e32 v1, 0xffff, v0
	v_mov_b32_e32 v104, 0x7f800001
	s_mov_b32 s29, exec_lo
	s_delay_alu instid0(VALU_DEP_2) | instskip(NEXT) | instid1(VALU_DEP_1)
	v_and_b32_e32 v68, 0x7f, v1
	v_cmpx_ne_u32_e32 0x7f, v68
	s_cbranch_execz .LBB179_48
; %bb.45:                               ;   in Loop: Header=BB179_10 Depth=1
	v_dual_lshrrev_b32 v1, 3, v68 :: v_dual_bitop2_b32 v66, 7, v1 bitop3:0x40
	s_mov_b32 s30, exec_lo
	v_cmpx_gt_u32_e32 8, v68
; %bb.46:                               ;   in Loop: Header=BB179_10 Depth=1
	s_delay_alu instid0(VALU_DEP_2) | instskip(NEXT) | instid1(VALU_DEP_1)
	v_clz_i32_u32_e32 v1, v66
	v_min_u32_e32 v1, 32, v1
	s_delay_alu instid0(VALU_DEP_1) | instskip(NEXT) | instid1(VALU_DEP_1)
	v_subrev_nc_u32_e32 v68, 28, v1
	v_lshlrev_b64_e32 v[68:69], v68, v[66:67]
	s_delay_alu instid0(VALU_DEP_1)
	v_dual_sub_nc_u32 v1, 29, v1 :: v_dual_bitop2_b32 v66, 7, v68 bitop3:0x40
; %bb.47:                               ;   in Loop: Header=BB179_10 Depth=1
	s_or_b32 exec_lo, exec_lo, s30
	s_delay_alu instid0(VALU_DEP_1) | instskip(NEXT) | instid1(VALU_DEP_2)
	v_dual_lshlrev_b32 v0, 24, v0 :: v_dual_lshlrev_b32 v66, 20, v66
	v_lshl_add_u32 v1, v1, 23, 0x3c000000
	s_delay_alu instid0(VALU_DEP_2) | instskip(NEXT) | instid1(VALU_DEP_1)
	v_and_b32_e32 v0, 0x80000000, v0
	v_or3_b32 v104, v66, v0, v1
.LBB179_48:                             ;   in Loop: Header=BB179_10 Depth=1
	s_or_b32 exec_lo, exec_lo, s29
.LBB179_49:                             ;   in Loop: Header=BB179_10 Depth=1
	s_delay_alu instid0(SALU_CYCLE_1)
	s_or_b32 exec_lo, exec_lo, s28
.LBB179_50:                             ;   in Loop: Header=BB179_10 Depth=1
	s_delay_alu instid0(SALU_CYCLE_1)
	s_or_b32 exec_lo, exec_lo, s27
	global_load_u8 v0, v[72:73], off offset:132
	s_mov_b32 s27, exec_lo
	s_wait_loadcnt 0x0
	v_cmpx_ne_u16_e32 0, v0
	s_cbranch_execz .LBB179_58
; %bb.51:                               ;   in Loop: Header=BB179_10 Depth=1
	v_bfrev_b32_e32 v103, 1
	s_mov_b32 s28, exec_lo
	v_cmpx_ne_u16_e32 0x80, v0
	s_cbranch_execz .LBB179_57
; %bb.52:                               ;   in Loop: Header=BB179_10 Depth=1
	v_and_b32_e32 v1, 0xffff, v0
	v_mov_b32_e32 v103, 0x7f800001
	s_mov_b32 s29, exec_lo
	s_delay_alu instid0(VALU_DEP_2) | instskip(NEXT) | instid1(VALU_DEP_1)
	v_and_b32_e32 v68, 0x7f, v1
	v_cmpx_ne_u32_e32 0x7f, v68
	s_cbranch_execz .LBB179_56
; %bb.53:                               ;   in Loop: Header=BB179_10 Depth=1
	v_dual_lshrrev_b32 v1, 3, v68 :: v_dual_bitop2_b32 v66, 7, v1 bitop3:0x40
	s_mov_b32 s30, exec_lo
	v_cmpx_gt_u32_e32 8, v68
; %bb.54:                               ;   in Loop: Header=BB179_10 Depth=1
	s_delay_alu instid0(VALU_DEP_2) | instskip(NEXT) | instid1(VALU_DEP_1)
	v_clz_i32_u32_e32 v1, v66
	v_min_u32_e32 v1, 32, v1
	s_delay_alu instid0(VALU_DEP_1) | instskip(NEXT) | instid1(VALU_DEP_1)
	v_subrev_nc_u32_e32 v68, 28, v1
	v_lshlrev_b64_e32 v[68:69], v68, v[66:67]
	s_delay_alu instid0(VALU_DEP_1)
	v_dual_sub_nc_u32 v1, 29, v1 :: v_dual_bitop2_b32 v66, 7, v68 bitop3:0x40
; %bb.55:                               ;   in Loop: Header=BB179_10 Depth=1
	s_or_b32 exec_lo, exec_lo, s30
	s_delay_alu instid0(VALU_DEP_1) | instskip(NEXT) | instid1(VALU_DEP_2)
	v_dual_lshlrev_b32 v0, 24, v0 :: v_dual_lshlrev_b32 v66, 20, v66
	v_lshl_add_u32 v1, v1, 23, 0x3c000000
	s_delay_alu instid0(VALU_DEP_2) | instskip(NEXT) | instid1(VALU_DEP_1)
	v_and_b32_e32 v0, 0x80000000, v0
	v_or3_b32 v103, v66, v0, v1
.LBB179_56:                             ;   in Loop: Header=BB179_10 Depth=1
	s_or_b32 exec_lo, exec_lo, s29
.LBB179_57:                             ;   in Loop: Header=BB179_10 Depth=1
	s_delay_alu instid0(SALU_CYCLE_1)
	s_or_b32 exec_lo, exec_lo, s28
.LBB179_58:                             ;   in Loop: Header=BB179_10 Depth=1
	s_delay_alu instid0(SALU_CYCLE_1)
	s_or_b32 exec_lo, exec_lo, s27
	global_load_u8 v0, v[72:73], off offset:136
	v_dual_mov_b32 v105, 0 :: v_dual_mov_b32 v106, 0
	s_mov_b32 s27, exec_lo
	s_wait_loadcnt 0x0
	v_cmpx_ne_u16_e32 0, v0
	s_cbranch_execz .LBB179_66
; %bb.59:                               ;   in Loop: Header=BB179_10 Depth=1
	v_bfrev_b32_e32 v106, 1
	s_mov_b32 s28, exec_lo
	v_cmpx_ne_u16_e32 0x80, v0
	s_cbranch_execz .LBB179_65
; %bb.60:                               ;   in Loop: Header=BB179_10 Depth=1
	v_and_b32_e32 v1, 0xffff, v0
	v_mov_b32_e32 v106, 0x7f800001
	s_mov_b32 s29, exec_lo
	s_delay_alu instid0(VALU_DEP_2) | instskip(NEXT) | instid1(VALU_DEP_1)
	v_and_b32_e32 v68, 0x7f, v1
	v_cmpx_ne_u32_e32 0x7f, v68
	s_cbranch_execz .LBB179_64
; %bb.61:                               ;   in Loop: Header=BB179_10 Depth=1
	v_dual_lshrrev_b32 v1, 3, v68 :: v_dual_bitop2_b32 v66, 7, v1 bitop3:0x40
	s_mov_b32 s30, exec_lo
	v_cmpx_gt_u32_e32 8, v68
; %bb.62:                               ;   in Loop: Header=BB179_10 Depth=1
	s_delay_alu instid0(VALU_DEP_2) | instskip(NEXT) | instid1(VALU_DEP_1)
	v_clz_i32_u32_e32 v1, v66
	v_min_u32_e32 v1, 32, v1
	s_delay_alu instid0(VALU_DEP_1) | instskip(NEXT) | instid1(VALU_DEP_1)
	v_subrev_nc_u32_e32 v68, 28, v1
	v_lshlrev_b64_e32 v[68:69], v68, v[66:67]
	s_delay_alu instid0(VALU_DEP_1)
	v_dual_sub_nc_u32 v1, 29, v1 :: v_dual_bitop2_b32 v66, 7, v68 bitop3:0x40
; %bb.63:                               ;   in Loop: Header=BB179_10 Depth=1
	s_or_b32 exec_lo, exec_lo, s30
	s_delay_alu instid0(VALU_DEP_1) | instskip(NEXT) | instid1(VALU_DEP_2)
	v_dual_lshlrev_b32 v0, 24, v0 :: v_dual_lshlrev_b32 v66, 20, v66
	v_lshl_add_u32 v1, v1, 23, 0x3c000000
	s_delay_alu instid0(VALU_DEP_2) | instskip(NEXT) | instid1(VALU_DEP_1)
	v_and_b32_e32 v0, 0x80000000, v0
	v_or3_b32 v106, v66, v0, v1
.LBB179_64:                             ;   in Loop: Header=BB179_10 Depth=1
	s_or_b32 exec_lo, exec_lo, s29
.LBB179_65:                             ;   in Loop: Header=BB179_10 Depth=1
	s_delay_alu instid0(SALU_CYCLE_1)
	s_or_b32 exec_lo, exec_lo, s28
.LBB179_66:                             ;   in Loop: Header=BB179_10 Depth=1
	s_delay_alu instid0(SALU_CYCLE_1)
	s_or_b32 exec_lo, exec_lo, s27
	global_load_u8 v0, v[72:73], off offset:140
	s_mov_b32 s27, exec_lo
	s_wait_loadcnt 0x0
	v_cmpx_ne_u16_e32 0, v0
	s_cbranch_execz .LBB179_74
; %bb.67:                               ;   in Loop: Header=BB179_10 Depth=1
	v_bfrev_b32_e32 v105, 1
	s_mov_b32 s28, exec_lo
	v_cmpx_ne_u16_e32 0x80, v0
	s_cbranch_execz .LBB179_73
; %bb.68:                               ;   in Loop: Header=BB179_10 Depth=1
	v_and_b32_e32 v1, 0xffff, v0
	v_mov_b32_e32 v105, 0x7f800001
	s_mov_b32 s29, exec_lo
	s_delay_alu instid0(VALU_DEP_2) | instskip(NEXT) | instid1(VALU_DEP_1)
	v_and_b32_e32 v68, 0x7f, v1
	v_cmpx_ne_u32_e32 0x7f, v68
	s_cbranch_execz .LBB179_72
; %bb.69:                               ;   in Loop: Header=BB179_10 Depth=1
	v_dual_lshrrev_b32 v1, 3, v68 :: v_dual_bitop2_b32 v66, 7, v1 bitop3:0x40
	s_mov_b32 s30, exec_lo
	v_cmpx_gt_u32_e32 8, v68
; %bb.70:                               ;   in Loop: Header=BB179_10 Depth=1
	s_delay_alu instid0(VALU_DEP_2) | instskip(NEXT) | instid1(VALU_DEP_1)
	v_clz_i32_u32_e32 v1, v66
	v_min_u32_e32 v1, 32, v1
	s_delay_alu instid0(VALU_DEP_1) | instskip(NEXT) | instid1(VALU_DEP_1)
	v_subrev_nc_u32_e32 v68, 28, v1
	v_lshlrev_b64_e32 v[68:69], v68, v[66:67]
	s_delay_alu instid0(VALU_DEP_1)
	v_dual_sub_nc_u32 v1, 29, v1 :: v_dual_bitop2_b32 v66, 7, v68 bitop3:0x40
; %bb.71:                               ;   in Loop: Header=BB179_10 Depth=1
	s_or_b32 exec_lo, exec_lo, s30
	s_delay_alu instid0(VALU_DEP_1) | instskip(NEXT) | instid1(VALU_DEP_2)
	v_dual_lshlrev_b32 v0, 24, v0 :: v_dual_lshlrev_b32 v66, 20, v66
	v_lshl_add_u32 v1, v1, 23, 0x3c000000
	s_delay_alu instid0(VALU_DEP_2) | instskip(NEXT) | instid1(VALU_DEP_1)
	v_and_b32_e32 v0, 0x80000000, v0
	v_or3_b32 v105, v66, v0, v1
.LBB179_72:                             ;   in Loop: Header=BB179_10 Depth=1
	s_or_b32 exec_lo, exec_lo, s29
.LBB179_73:                             ;   in Loop: Header=BB179_10 Depth=1
	s_delay_alu instid0(SALU_CYCLE_1)
	s_or_b32 exec_lo, exec_lo, s28
.LBB179_74:                             ;   in Loop: Header=BB179_10 Depth=1
	s_delay_alu instid0(SALU_CYCLE_1)
	s_or_b32 exec_lo, exec_lo, s27
	global_load_u8 v0, v[72:73], off offset:256
	v_dual_mov_b32 v107, 0 :: v_dual_mov_b32 v108, 0
	s_mov_b32 s27, exec_lo
	s_wait_loadcnt 0x0
	v_cmpx_ne_u16_e32 0, v0
	s_cbranch_execz .LBB179_82
; %bb.75:                               ;   in Loop: Header=BB179_10 Depth=1
	v_bfrev_b32_e32 v108, 1
	s_mov_b32 s28, exec_lo
	v_cmpx_ne_u16_e32 0x80, v0
	s_cbranch_execz .LBB179_81
; %bb.76:                               ;   in Loop: Header=BB179_10 Depth=1
	v_and_b32_e32 v1, 0xffff, v0
	v_mov_b32_e32 v108, 0x7f800001
	s_mov_b32 s29, exec_lo
	s_delay_alu instid0(VALU_DEP_2) | instskip(NEXT) | instid1(VALU_DEP_1)
	v_and_b32_e32 v68, 0x7f, v1
	v_cmpx_ne_u32_e32 0x7f, v68
	s_cbranch_execz .LBB179_80
; %bb.77:                               ;   in Loop: Header=BB179_10 Depth=1
	v_dual_lshrrev_b32 v1, 3, v68 :: v_dual_bitop2_b32 v66, 7, v1 bitop3:0x40
	s_mov_b32 s30, exec_lo
	v_cmpx_gt_u32_e32 8, v68
; %bb.78:                               ;   in Loop: Header=BB179_10 Depth=1
	s_delay_alu instid0(VALU_DEP_2) | instskip(NEXT) | instid1(VALU_DEP_1)
	v_clz_i32_u32_e32 v1, v66
	v_min_u32_e32 v1, 32, v1
	s_delay_alu instid0(VALU_DEP_1) | instskip(NEXT) | instid1(VALU_DEP_1)
	v_subrev_nc_u32_e32 v68, 28, v1
	v_lshlrev_b64_e32 v[68:69], v68, v[66:67]
	s_delay_alu instid0(VALU_DEP_1)
	v_dual_sub_nc_u32 v1, 29, v1 :: v_dual_bitop2_b32 v66, 7, v68 bitop3:0x40
; %bb.79:                               ;   in Loop: Header=BB179_10 Depth=1
	s_or_b32 exec_lo, exec_lo, s30
	s_delay_alu instid0(VALU_DEP_1) | instskip(NEXT) | instid1(VALU_DEP_2)
	v_dual_lshlrev_b32 v0, 24, v0 :: v_dual_lshlrev_b32 v66, 20, v66
	v_lshl_add_u32 v1, v1, 23, 0x3c000000
	s_delay_alu instid0(VALU_DEP_2) | instskip(NEXT) | instid1(VALU_DEP_1)
	v_and_b32_e32 v0, 0x80000000, v0
	v_or3_b32 v108, v66, v0, v1
.LBB179_80:                             ;   in Loop: Header=BB179_10 Depth=1
	s_or_b32 exec_lo, exec_lo, s29
.LBB179_81:                             ;   in Loop: Header=BB179_10 Depth=1
	s_delay_alu instid0(SALU_CYCLE_1)
	s_or_b32 exec_lo, exec_lo, s28
.LBB179_82:                             ;   in Loop: Header=BB179_10 Depth=1
	s_delay_alu instid0(SALU_CYCLE_1)
	s_or_b32 exec_lo, exec_lo, s27
	global_load_u8 v0, v[72:73], off offset:260
	s_mov_b32 s27, exec_lo
	s_wait_loadcnt 0x0
	v_cmpx_ne_u16_e32 0, v0
	s_cbranch_execz .LBB179_90
; %bb.83:                               ;   in Loop: Header=BB179_10 Depth=1
	v_bfrev_b32_e32 v107, 1
	s_mov_b32 s28, exec_lo
	v_cmpx_ne_u16_e32 0x80, v0
	s_cbranch_execz .LBB179_89
; %bb.84:                               ;   in Loop: Header=BB179_10 Depth=1
	v_and_b32_e32 v1, 0xffff, v0
	v_mov_b32_e32 v107, 0x7f800001
	s_mov_b32 s29, exec_lo
	s_delay_alu instid0(VALU_DEP_2) | instskip(NEXT) | instid1(VALU_DEP_1)
	v_and_b32_e32 v68, 0x7f, v1
	v_cmpx_ne_u32_e32 0x7f, v68
	s_cbranch_execz .LBB179_88
; %bb.85:                               ;   in Loop: Header=BB179_10 Depth=1
	v_dual_lshrrev_b32 v1, 3, v68 :: v_dual_bitop2_b32 v66, 7, v1 bitop3:0x40
	s_mov_b32 s30, exec_lo
	v_cmpx_gt_u32_e32 8, v68
; %bb.86:                               ;   in Loop: Header=BB179_10 Depth=1
	s_delay_alu instid0(VALU_DEP_2) | instskip(NEXT) | instid1(VALU_DEP_1)
	v_clz_i32_u32_e32 v1, v66
	v_min_u32_e32 v1, 32, v1
	s_delay_alu instid0(VALU_DEP_1) | instskip(NEXT) | instid1(VALU_DEP_1)
	v_subrev_nc_u32_e32 v68, 28, v1
	v_lshlrev_b64_e32 v[68:69], v68, v[66:67]
	s_delay_alu instid0(VALU_DEP_1)
	v_dual_sub_nc_u32 v1, 29, v1 :: v_dual_bitop2_b32 v66, 7, v68 bitop3:0x40
; %bb.87:                               ;   in Loop: Header=BB179_10 Depth=1
	s_or_b32 exec_lo, exec_lo, s30
	s_delay_alu instid0(VALU_DEP_1) | instskip(NEXT) | instid1(VALU_DEP_2)
	v_dual_lshlrev_b32 v0, 24, v0 :: v_dual_lshlrev_b32 v66, 20, v66
	v_lshl_add_u32 v1, v1, 23, 0x3c000000
	s_delay_alu instid0(VALU_DEP_2) | instskip(NEXT) | instid1(VALU_DEP_1)
	v_and_b32_e32 v0, 0x80000000, v0
	v_or3_b32 v107, v66, v0, v1
.LBB179_88:                             ;   in Loop: Header=BB179_10 Depth=1
	s_or_b32 exec_lo, exec_lo, s29
.LBB179_89:                             ;   in Loop: Header=BB179_10 Depth=1
	s_delay_alu instid0(SALU_CYCLE_1)
	s_or_b32 exec_lo, exec_lo, s28
.LBB179_90:                             ;   in Loop: Header=BB179_10 Depth=1
	s_delay_alu instid0(SALU_CYCLE_1)
	s_or_b32 exec_lo, exec_lo, s27
	global_load_u8 v0, v[72:73], off offset:264
	v_dual_mov_b32 v109, 0 :: v_dual_mov_b32 v110, 0
	s_mov_b32 s27, exec_lo
	s_wait_loadcnt 0x0
	v_cmpx_ne_u16_e32 0, v0
	s_cbranch_execz .LBB179_98
; %bb.91:                               ;   in Loop: Header=BB179_10 Depth=1
	v_bfrev_b32_e32 v110, 1
	s_mov_b32 s28, exec_lo
	v_cmpx_ne_u16_e32 0x80, v0
	s_cbranch_execz .LBB179_97
; %bb.92:                               ;   in Loop: Header=BB179_10 Depth=1
	v_and_b32_e32 v1, 0xffff, v0
	v_mov_b32_e32 v110, 0x7f800001
	s_mov_b32 s29, exec_lo
	s_delay_alu instid0(VALU_DEP_2) | instskip(NEXT) | instid1(VALU_DEP_1)
	v_and_b32_e32 v68, 0x7f, v1
	v_cmpx_ne_u32_e32 0x7f, v68
	s_cbranch_execz .LBB179_96
; %bb.93:                               ;   in Loop: Header=BB179_10 Depth=1
	v_dual_lshrrev_b32 v1, 3, v68 :: v_dual_bitop2_b32 v66, 7, v1 bitop3:0x40
	s_mov_b32 s30, exec_lo
	v_cmpx_gt_u32_e32 8, v68
; %bb.94:                               ;   in Loop: Header=BB179_10 Depth=1
	s_delay_alu instid0(VALU_DEP_2) | instskip(NEXT) | instid1(VALU_DEP_1)
	v_clz_i32_u32_e32 v1, v66
	v_min_u32_e32 v1, 32, v1
	s_delay_alu instid0(VALU_DEP_1) | instskip(NEXT) | instid1(VALU_DEP_1)
	v_subrev_nc_u32_e32 v68, 28, v1
	v_lshlrev_b64_e32 v[68:69], v68, v[66:67]
	s_delay_alu instid0(VALU_DEP_1)
	v_dual_sub_nc_u32 v1, 29, v1 :: v_dual_bitop2_b32 v66, 7, v68 bitop3:0x40
; %bb.95:                               ;   in Loop: Header=BB179_10 Depth=1
	s_or_b32 exec_lo, exec_lo, s30
	s_delay_alu instid0(VALU_DEP_1) | instskip(NEXT) | instid1(VALU_DEP_2)
	v_dual_lshlrev_b32 v0, 24, v0 :: v_dual_lshlrev_b32 v66, 20, v66
	v_lshl_add_u32 v1, v1, 23, 0x3c000000
	s_delay_alu instid0(VALU_DEP_2) | instskip(NEXT) | instid1(VALU_DEP_1)
	v_and_b32_e32 v0, 0x80000000, v0
	v_or3_b32 v110, v66, v0, v1
.LBB179_96:                             ;   in Loop: Header=BB179_10 Depth=1
	s_or_b32 exec_lo, exec_lo, s29
.LBB179_97:                             ;   in Loop: Header=BB179_10 Depth=1
	s_delay_alu instid0(SALU_CYCLE_1)
	s_or_b32 exec_lo, exec_lo, s28
.LBB179_98:                             ;   in Loop: Header=BB179_10 Depth=1
	s_delay_alu instid0(SALU_CYCLE_1)
	s_or_b32 exec_lo, exec_lo, s27
	global_load_u8 v0, v[72:73], off offset:268
	s_mov_b32 s27, exec_lo
	s_wait_loadcnt 0x0
	v_cmpx_ne_u16_e32 0, v0
	s_cbranch_execz .LBB179_106
; %bb.99:                               ;   in Loop: Header=BB179_10 Depth=1
	v_bfrev_b32_e32 v109, 1
	s_mov_b32 s28, exec_lo
	v_cmpx_ne_u16_e32 0x80, v0
	s_cbranch_execz .LBB179_105
; %bb.100:                              ;   in Loop: Header=BB179_10 Depth=1
	v_and_b32_e32 v1, 0xffff, v0
	v_mov_b32_e32 v109, 0x7f800001
	s_mov_b32 s29, exec_lo
	s_delay_alu instid0(VALU_DEP_2) | instskip(NEXT) | instid1(VALU_DEP_1)
	v_and_b32_e32 v68, 0x7f, v1
	v_cmpx_ne_u32_e32 0x7f, v68
	s_cbranch_execz .LBB179_104
; %bb.101:                              ;   in Loop: Header=BB179_10 Depth=1
	v_dual_lshrrev_b32 v1, 3, v68 :: v_dual_bitop2_b32 v66, 7, v1 bitop3:0x40
	s_mov_b32 s30, exec_lo
	v_cmpx_gt_u32_e32 8, v68
; %bb.102:                              ;   in Loop: Header=BB179_10 Depth=1
	s_delay_alu instid0(VALU_DEP_2) | instskip(NEXT) | instid1(VALU_DEP_1)
	v_clz_i32_u32_e32 v1, v66
	v_min_u32_e32 v1, 32, v1
	s_delay_alu instid0(VALU_DEP_1) | instskip(NEXT) | instid1(VALU_DEP_1)
	v_subrev_nc_u32_e32 v68, 28, v1
	v_lshlrev_b64_e32 v[68:69], v68, v[66:67]
	s_delay_alu instid0(VALU_DEP_1)
	v_dual_sub_nc_u32 v1, 29, v1 :: v_dual_bitop2_b32 v66, 7, v68 bitop3:0x40
; %bb.103:                              ;   in Loop: Header=BB179_10 Depth=1
	s_or_b32 exec_lo, exec_lo, s30
	s_delay_alu instid0(VALU_DEP_1) | instskip(NEXT) | instid1(VALU_DEP_2)
	v_dual_lshlrev_b32 v0, 24, v0 :: v_dual_lshlrev_b32 v66, 20, v66
	v_lshl_add_u32 v1, v1, 23, 0x3c000000
	s_delay_alu instid0(VALU_DEP_2) | instskip(NEXT) | instid1(VALU_DEP_1)
	v_and_b32_e32 v0, 0x80000000, v0
	v_or3_b32 v109, v66, v0, v1
.LBB179_104:                            ;   in Loop: Header=BB179_10 Depth=1
	s_or_b32 exec_lo, exec_lo, s29
.LBB179_105:                            ;   in Loop: Header=BB179_10 Depth=1
	s_delay_alu instid0(SALU_CYCLE_1)
	s_or_b32 exec_lo, exec_lo, s28
.LBB179_106:                            ;   in Loop: Header=BB179_10 Depth=1
	s_delay_alu instid0(SALU_CYCLE_1)
	s_or_b32 exec_lo, exec_lo, s27
	global_load_u8 v0, v[72:73], off offset:384
	v_dual_mov_b32 v111, 0 :: v_dual_mov_b32 v112, 0
	s_mov_b32 s27, exec_lo
	s_wait_loadcnt 0x0
	v_cmpx_ne_u16_e32 0, v0
	s_cbranch_execz .LBB179_114
; %bb.107:                              ;   in Loop: Header=BB179_10 Depth=1
	v_bfrev_b32_e32 v112, 1
	s_mov_b32 s28, exec_lo
	v_cmpx_ne_u16_e32 0x80, v0
	s_cbranch_execz .LBB179_113
; %bb.108:                              ;   in Loop: Header=BB179_10 Depth=1
	v_and_b32_e32 v1, 0xffff, v0
	v_mov_b32_e32 v112, 0x7f800001
	s_mov_b32 s29, exec_lo
	s_delay_alu instid0(VALU_DEP_2) | instskip(NEXT) | instid1(VALU_DEP_1)
	v_and_b32_e32 v68, 0x7f, v1
	v_cmpx_ne_u32_e32 0x7f, v68
	s_cbranch_execz .LBB179_112
; %bb.109:                              ;   in Loop: Header=BB179_10 Depth=1
	v_dual_lshrrev_b32 v1, 3, v68 :: v_dual_bitop2_b32 v66, 7, v1 bitop3:0x40
	s_mov_b32 s30, exec_lo
	v_cmpx_gt_u32_e32 8, v68
; %bb.110:                              ;   in Loop: Header=BB179_10 Depth=1
	s_delay_alu instid0(VALU_DEP_2) | instskip(NEXT) | instid1(VALU_DEP_1)
	v_clz_i32_u32_e32 v1, v66
	v_min_u32_e32 v1, 32, v1
	s_delay_alu instid0(VALU_DEP_1) | instskip(NEXT) | instid1(VALU_DEP_1)
	v_subrev_nc_u32_e32 v68, 28, v1
	v_lshlrev_b64_e32 v[68:69], v68, v[66:67]
	s_delay_alu instid0(VALU_DEP_1)
	v_dual_sub_nc_u32 v1, 29, v1 :: v_dual_bitop2_b32 v66, 7, v68 bitop3:0x40
; %bb.111:                              ;   in Loop: Header=BB179_10 Depth=1
	s_or_b32 exec_lo, exec_lo, s30
	s_delay_alu instid0(VALU_DEP_1) | instskip(NEXT) | instid1(VALU_DEP_2)
	v_dual_lshlrev_b32 v0, 24, v0 :: v_dual_lshlrev_b32 v66, 20, v66
	v_lshl_add_u32 v1, v1, 23, 0x3c000000
	s_delay_alu instid0(VALU_DEP_2) | instskip(NEXT) | instid1(VALU_DEP_1)
	v_and_b32_e32 v0, 0x80000000, v0
	v_or3_b32 v112, v66, v0, v1
.LBB179_112:                            ;   in Loop: Header=BB179_10 Depth=1
	s_or_b32 exec_lo, exec_lo, s29
.LBB179_113:                            ;   in Loop: Header=BB179_10 Depth=1
	s_delay_alu instid0(SALU_CYCLE_1)
	s_or_b32 exec_lo, exec_lo, s28
.LBB179_114:                            ;   in Loop: Header=BB179_10 Depth=1
	s_delay_alu instid0(SALU_CYCLE_1)
	s_or_b32 exec_lo, exec_lo, s27
	global_load_u8 v0, v[72:73], off offset:388
	s_mov_b32 s27, exec_lo
	s_wait_loadcnt 0x0
	v_cmpx_ne_u16_e32 0, v0
	s_cbranch_execz .LBB179_122
; %bb.115:                              ;   in Loop: Header=BB179_10 Depth=1
	v_bfrev_b32_e32 v111, 1
	s_mov_b32 s28, exec_lo
	v_cmpx_ne_u16_e32 0x80, v0
	s_cbranch_execz .LBB179_121
; %bb.116:                              ;   in Loop: Header=BB179_10 Depth=1
	v_and_b32_e32 v1, 0xffff, v0
	v_mov_b32_e32 v111, 0x7f800001
	s_mov_b32 s29, exec_lo
	s_delay_alu instid0(VALU_DEP_2) | instskip(NEXT) | instid1(VALU_DEP_1)
	v_and_b32_e32 v68, 0x7f, v1
	v_cmpx_ne_u32_e32 0x7f, v68
	s_cbranch_execz .LBB179_120
; %bb.117:                              ;   in Loop: Header=BB179_10 Depth=1
	v_dual_lshrrev_b32 v1, 3, v68 :: v_dual_bitop2_b32 v66, 7, v1 bitop3:0x40
	s_mov_b32 s30, exec_lo
	v_cmpx_gt_u32_e32 8, v68
; %bb.118:                              ;   in Loop: Header=BB179_10 Depth=1
	s_delay_alu instid0(VALU_DEP_2) | instskip(NEXT) | instid1(VALU_DEP_1)
	v_clz_i32_u32_e32 v1, v66
	v_min_u32_e32 v1, 32, v1
	s_delay_alu instid0(VALU_DEP_1) | instskip(NEXT) | instid1(VALU_DEP_1)
	v_subrev_nc_u32_e32 v68, 28, v1
	v_lshlrev_b64_e32 v[68:69], v68, v[66:67]
	s_delay_alu instid0(VALU_DEP_1)
	v_dual_sub_nc_u32 v1, 29, v1 :: v_dual_bitop2_b32 v66, 7, v68 bitop3:0x40
; %bb.119:                              ;   in Loop: Header=BB179_10 Depth=1
	s_or_b32 exec_lo, exec_lo, s30
	s_delay_alu instid0(VALU_DEP_1) | instskip(NEXT) | instid1(VALU_DEP_2)
	v_dual_lshlrev_b32 v0, 24, v0 :: v_dual_lshlrev_b32 v66, 20, v66
	v_lshl_add_u32 v1, v1, 23, 0x3c000000
	s_delay_alu instid0(VALU_DEP_2) | instskip(NEXT) | instid1(VALU_DEP_1)
	v_and_b32_e32 v0, 0x80000000, v0
	v_or3_b32 v111, v66, v0, v1
.LBB179_120:                            ;   in Loop: Header=BB179_10 Depth=1
	s_or_b32 exec_lo, exec_lo, s29
.LBB179_121:                            ;   in Loop: Header=BB179_10 Depth=1
	s_delay_alu instid0(SALU_CYCLE_1)
	s_or_b32 exec_lo, exec_lo, s28
.LBB179_122:                            ;   in Loop: Header=BB179_10 Depth=1
	s_delay_alu instid0(SALU_CYCLE_1)
	s_or_b32 exec_lo, exec_lo, s27
	global_load_u8 v0, v[72:73], off offset:392
	v_dual_mov_b32 v113, 0 :: v_dual_mov_b32 v114, 0
	s_mov_b32 s27, exec_lo
	s_wait_loadcnt 0x0
	v_cmpx_ne_u16_e32 0, v0
	s_cbranch_execz .LBB179_130
; %bb.123:                              ;   in Loop: Header=BB179_10 Depth=1
	v_bfrev_b32_e32 v114, 1
	s_mov_b32 s28, exec_lo
	v_cmpx_ne_u16_e32 0x80, v0
	s_cbranch_execz .LBB179_129
; %bb.124:                              ;   in Loop: Header=BB179_10 Depth=1
	v_and_b32_e32 v1, 0xffff, v0
	v_mov_b32_e32 v114, 0x7f800001
	s_mov_b32 s29, exec_lo
	s_delay_alu instid0(VALU_DEP_2) | instskip(NEXT) | instid1(VALU_DEP_1)
	v_and_b32_e32 v68, 0x7f, v1
	v_cmpx_ne_u32_e32 0x7f, v68
	s_cbranch_execz .LBB179_128
; %bb.125:                              ;   in Loop: Header=BB179_10 Depth=1
	v_dual_lshrrev_b32 v1, 3, v68 :: v_dual_bitop2_b32 v66, 7, v1 bitop3:0x40
	s_mov_b32 s30, exec_lo
	v_cmpx_gt_u32_e32 8, v68
; %bb.126:                              ;   in Loop: Header=BB179_10 Depth=1
	s_delay_alu instid0(VALU_DEP_2) | instskip(NEXT) | instid1(VALU_DEP_1)
	v_clz_i32_u32_e32 v1, v66
	v_min_u32_e32 v1, 32, v1
	s_delay_alu instid0(VALU_DEP_1) | instskip(NEXT) | instid1(VALU_DEP_1)
	v_subrev_nc_u32_e32 v68, 28, v1
	v_lshlrev_b64_e32 v[68:69], v68, v[66:67]
	s_delay_alu instid0(VALU_DEP_1)
	v_dual_sub_nc_u32 v1, 29, v1 :: v_dual_bitop2_b32 v66, 7, v68 bitop3:0x40
; %bb.127:                              ;   in Loop: Header=BB179_10 Depth=1
	s_or_b32 exec_lo, exec_lo, s30
	s_delay_alu instid0(VALU_DEP_1) | instskip(NEXT) | instid1(VALU_DEP_2)
	v_dual_lshlrev_b32 v0, 24, v0 :: v_dual_lshlrev_b32 v66, 20, v66
	v_lshl_add_u32 v1, v1, 23, 0x3c000000
	s_delay_alu instid0(VALU_DEP_2) | instskip(NEXT) | instid1(VALU_DEP_1)
	v_and_b32_e32 v0, 0x80000000, v0
	v_or3_b32 v114, v66, v0, v1
.LBB179_128:                            ;   in Loop: Header=BB179_10 Depth=1
	s_or_b32 exec_lo, exec_lo, s29
.LBB179_129:                            ;   in Loop: Header=BB179_10 Depth=1
	s_delay_alu instid0(SALU_CYCLE_1)
	s_or_b32 exec_lo, exec_lo, s28
.LBB179_130:                            ;   in Loop: Header=BB179_10 Depth=1
	s_delay_alu instid0(SALU_CYCLE_1)
	s_or_b32 exec_lo, exec_lo, s27
	global_load_u8 v0, v[72:73], off offset:396
	s_mov_b32 s27, exec_lo
	s_wait_loadcnt 0x0
	v_cmpx_ne_u16_e32 0, v0
	s_cbranch_execz .LBB179_138
; %bb.131:                              ;   in Loop: Header=BB179_10 Depth=1
	v_bfrev_b32_e32 v113, 1
	s_mov_b32 s28, exec_lo
	v_cmpx_ne_u16_e32 0x80, v0
	s_cbranch_execz .LBB179_137
; %bb.132:                              ;   in Loop: Header=BB179_10 Depth=1
	v_and_b32_e32 v1, 0xffff, v0
	v_mov_b32_e32 v113, 0x7f800001
	s_mov_b32 s29, exec_lo
	s_delay_alu instid0(VALU_DEP_2) | instskip(NEXT) | instid1(VALU_DEP_1)
	v_and_b32_e32 v68, 0x7f, v1
	v_cmpx_ne_u32_e32 0x7f, v68
	s_cbranch_execz .LBB179_136
; %bb.133:                              ;   in Loop: Header=BB179_10 Depth=1
	v_dual_lshrrev_b32 v1, 3, v68 :: v_dual_bitop2_b32 v66, 7, v1 bitop3:0x40
	s_mov_b32 s30, exec_lo
	v_cmpx_gt_u32_e32 8, v68
; %bb.134:                              ;   in Loop: Header=BB179_10 Depth=1
	s_delay_alu instid0(VALU_DEP_2) | instskip(NEXT) | instid1(VALU_DEP_1)
	v_clz_i32_u32_e32 v1, v66
	v_min_u32_e32 v1, 32, v1
	s_delay_alu instid0(VALU_DEP_1) | instskip(NEXT) | instid1(VALU_DEP_1)
	v_subrev_nc_u32_e32 v68, 28, v1
	v_lshlrev_b64_e32 v[68:69], v68, v[66:67]
	s_delay_alu instid0(VALU_DEP_1)
	v_dual_sub_nc_u32 v1, 29, v1 :: v_dual_bitop2_b32 v66, 7, v68 bitop3:0x40
; %bb.135:                              ;   in Loop: Header=BB179_10 Depth=1
	s_or_b32 exec_lo, exec_lo, s30
	s_delay_alu instid0(VALU_DEP_1) | instskip(NEXT) | instid1(VALU_DEP_2)
	v_dual_lshlrev_b32 v0, 24, v0 :: v_dual_lshlrev_b32 v66, 20, v66
	v_lshl_add_u32 v1, v1, 23, 0x3c000000
	s_delay_alu instid0(VALU_DEP_2) | instskip(NEXT) | instid1(VALU_DEP_1)
	v_and_b32_e32 v0, 0x80000000, v0
	v_or3_b32 v113, v66, v0, v1
.LBB179_136:                            ;   in Loop: Header=BB179_10 Depth=1
	s_or_b32 exec_lo, exec_lo, s29
.LBB179_137:                            ;   in Loop: Header=BB179_10 Depth=1
	s_delay_alu instid0(SALU_CYCLE_1)
	s_or_b32 exec_lo, exec_lo, s28
.LBB179_138:                            ;   in Loop: Header=BB179_10 Depth=1
	s_delay_alu instid0(SALU_CYCLE_1)
	s_or_b32 exec_lo, exec_lo, s27
	global_load_u8 v0, v[72:73], off offset:512
	v_dual_mov_b32 v115, 0 :: v_dual_mov_b32 v116, 0
	s_mov_b32 s27, exec_lo
	s_wait_loadcnt 0x0
	v_cmpx_ne_u16_e32 0, v0
	s_cbranch_execz .LBB179_146
; %bb.139:                              ;   in Loop: Header=BB179_10 Depth=1
	v_bfrev_b32_e32 v116, 1
	s_mov_b32 s28, exec_lo
	v_cmpx_ne_u16_e32 0x80, v0
	s_cbranch_execz .LBB179_145
; %bb.140:                              ;   in Loop: Header=BB179_10 Depth=1
	v_and_b32_e32 v1, 0xffff, v0
	v_mov_b32_e32 v116, 0x7f800001
	s_mov_b32 s29, exec_lo
	s_delay_alu instid0(VALU_DEP_2) | instskip(NEXT) | instid1(VALU_DEP_1)
	v_and_b32_e32 v68, 0x7f, v1
	v_cmpx_ne_u32_e32 0x7f, v68
	s_cbranch_execz .LBB179_144
; %bb.141:                              ;   in Loop: Header=BB179_10 Depth=1
	v_dual_lshrrev_b32 v1, 3, v68 :: v_dual_bitop2_b32 v66, 7, v1 bitop3:0x40
	s_mov_b32 s30, exec_lo
	v_cmpx_gt_u32_e32 8, v68
; %bb.142:                              ;   in Loop: Header=BB179_10 Depth=1
	s_delay_alu instid0(VALU_DEP_2) | instskip(NEXT) | instid1(VALU_DEP_1)
	v_clz_i32_u32_e32 v1, v66
	v_min_u32_e32 v1, 32, v1
	s_delay_alu instid0(VALU_DEP_1) | instskip(NEXT) | instid1(VALU_DEP_1)
	v_subrev_nc_u32_e32 v68, 28, v1
	v_lshlrev_b64_e32 v[68:69], v68, v[66:67]
	s_delay_alu instid0(VALU_DEP_1)
	v_dual_sub_nc_u32 v1, 29, v1 :: v_dual_bitop2_b32 v66, 7, v68 bitop3:0x40
; %bb.143:                              ;   in Loop: Header=BB179_10 Depth=1
	s_or_b32 exec_lo, exec_lo, s30
	s_delay_alu instid0(VALU_DEP_1) | instskip(NEXT) | instid1(VALU_DEP_2)
	v_dual_lshlrev_b32 v0, 24, v0 :: v_dual_lshlrev_b32 v66, 20, v66
	v_lshl_add_u32 v1, v1, 23, 0x3c000000
	s_delay_alu instid0(VALU_DEP_2) | instskip(NEXT) | instid1(VALU_DEP_1)
	v_and_b32_e32 v0, 0x80000000, v0
	v_or3_b32 v116, v66, v0, v1
.LBB179_144:                            ;   in Loop: Header=BB179_10 Depth=1
	s_or_b32 exec_lo, exec_lo, s29
.LBB179_145:                            ;   in Loop: Header=BB179_10 Depth=1
	s_delay_alu instid0(SALU_CYCLE_1)
	s_or_b32 exec_lo, exec_lo, s28
.LBB179_146:                            ;   in Loop: Header=BB179_10 Depth=1
	s_delay_alu instid0(SALU_CYCLE_1)
	s_or_b32 exec_lo, exec_lo, s27
	global_load_u8 v0, v[72:73], off offset:516
	s_mov_b32 s27, exec_lo
	s_wait_loadcnt 0x0
	v_cmpx_ne_u16_e32 0, v0
	s_cbranch_execz .LBB179_154
; %bb.147:                              ;   in Loop: Header=BB179_10 Depth=1
	v_bfrev_b32_e32 v115, 1
	s_mov_b32 s28, exec_lo
	v_cmpx_ne_u16_e32 0x80, v0
	s_cbranch_execz .LBB179_153
; %bb.148:                              ;   in Loop: Header=BB179_10 Depth=1
	v_and_b32_e32 v1, 0xffff, v0
	v_mov_b32_e32 v115, 0x7f800001
	s_mov_b32 s29, exec_lo
	s_delay_alu instid0(VALU_DEP_2) | instskip(NEXT) | instid1(VALU_DEP_1)
	v_and_b32_e32 v68, 0x7f, v1
	v_cmpx_ne_u32_e32 0x7f, v68
	s_cbranch_execz .LBB179_152
; %bb.149:                              ;   in Loop: Header=BB179_10 Depth=1
	v_dual_lshrrev_b32 v1, 3, v68 :: v_dual_bitop2_b32 v66, 7, v1 bitop3:0x40
	s_mov_b32 s30, exec_lo
	v_cmpx_gt_u32_e32 8, v68
; %bb.150:                              ;   in Loop: Header=BB179_10 Depth=1
	s_delay_alu instid0(VALU_DEP_2) | instskip(NEXT) | instid1(VALU_DEP_1)
	v_clz_i32_u32_e32 v1, v66
	v_min_u32_e32 v1, 32, v1
	s_delay_alu instid0(VALU_DEP_1) | instskip(NEXT) | instid1(VALU_DEP_1)
	v_subrev_nc_u32_e32 v68, 28, v1
	v_lshlrev_b64_e32 v[68:69], v68, v[66:67]
	s_delay_alu instid0(VALU_DEP_1)
	v_dual_sub_nc_u32 v1, 29, v1 :: v_dual_bitop2_b32 v66, 7, v68 bitop3:0x40
; %bb.151:                              ;   in Loop: Header=BB179_10 Depth=1
	s_or_b32 exec_lo, exec_lo, s30
	s_delay_alu instid0(VALU_DEP_1) | instskip(NEXT) | instid1(VALU_DEP_2)
	v_dual_lshlrev_b32 v0, 24, v0 :: v_dual_lshlrev_b32 v66, 20, v66
	v_lshl_add_u32 v1, v1, 23, 0x3c000000
	s_delay_alu instid0(VALU_DEP_2) | instskip(NEXT) | instid1(VALU_DEP_1)
	v_and_b32_e32 v0, 0x80000000, v0
	v_or3_b32 v115, v66, v0, v1
.LBB179_152:                            ;   in Loop: Header=BB179_10 Depth=1
	s_or_b32 exec_lo, exec_lo, s29
.LBB179_153:                            ;   in Loop: Header=BB179_10 Depth=1
	s_delay_alu instid0(SALU_CYCLE_1)
	s_or_b32 exec_lo, exec_lo, s28
.LBB179_154:                            ;   in Loop: Header=BB179_10 Depth=1
	s_delay_alu instid0(SALU_CYCLE_1)
	s_or_b32 exec_lo, exec_lo, s27
	global_load_u8 v0, v[72:73], off offset:520
	v_dual_mov_b32 v117, 0 :: v_dual_mov_b32 v118, 0
	s_mov_b32 s27, exec_lo
	s_wait_loadcnt 0x0
	v_cmpx_ne_u16_e32 0, v0
	s_cbranch_execz .LBB179_162
; %bb.155:                              ;   in Loop: Header=BB179_10 Depth=1
	v_bfrev_b32_e32 v118, 1
	s_mov_b32 s28, exec_lo
	v_cmpx_ne_u16_e32 0x80, v0
	s_cbranch_execz .LBB179_161
; %bb.156:                              ;   in Loop: Header=BB179_10 Depth=1
	v_and_b32_e32 v1, 0xffff, v0
	v_mov_b32_e32 v118, 0x7f800001
	s_mov_b32 s29, exec_lo
	s_delay_alu instid0(VALU_DEP_2) | instskip(NEXT) | instid1(VALU_DEP_1)
	v_and_b32_e32 v68, 0x7f, v1
	v_cmpx_ne_u32_e32 0x7f, v68
	s_cbranch_execz .LBB179_160
; %bb.157:                              ;   in Loop: Header=BB179_10 Depth=1
	v_dual_lshrrev_b32 v1, 3, v68 :: v_dual_bitop2_b32 v66, 7, v1 bitop3:0x40
	s_mov_b32 s30, exec_lo
	v_cmpx_gt_u32_e32 8, v68
; %bb.158:                              ;   in Loop: Header=BB179_10 Depth=1
	s_delay_alu instid0(VALU_DEP_2) | instskip(NEXT) | instid1(VALU_DEP_1)
	v_clz_i32_u32_e32 v1, v66
	v_min_u32_e32 v1, 32, v1
	s_delay_alu instid0(VALU_DEP_1) | instskip(NEXT) | instid1(VALU_DEP_1)
	v_subrev_nc_u32_e32 v68, 28, v1
	v_lshlrev_b64_e32 v[68:69], v68, v[66:67]
	s_delay_alu instid0(VALU_DEP_1)
	v_dual_sub_nc_u32 v1, 29, v1 :: v_dual_bitop2_b32 v66, 7, v68 bitop3:0x40
; %bb.159:                              ;   in Loop: Header=BB179_10 Depth=1
	s_or_b32 exec_lo, exec_lo, s30
	s_delay_alu instid0(VALU_DEP_1) | instskip(NEXT) | instid1(VALU_DEP_2)
	v_dual_lshlrev_b32 v0, 24, v0 :: v_dual_lshlrev_b32 v66, 20, v66
	v_lshl_add_u32 v1, v1, 23, 0x3c000000
	s_delay_alu instid0(VALU_DEP_2) | instskip(NEXT) | instid1(VALU_DEP_1)
	v_and_b32_e32 v0, 0x80000000, v0
	v_or3_b32 v118, v66, v0, v1
.LBB179_160:                            ;   in Loop: Header=BB179_10 Depth=1
	s_or_b32 exec_lo, exec_lo, s29
.LBB179_161:                            ;   in Loop: Header=BB179_10 Depth=1
	s_delay_alu instid0(SALU_CYCLE_1)
	s_or_b32 exec_lo, exec_lo, s28
.LBB179_162:                            ;   in Loop: Header=BB179_10 Depth=1
	s_delay_alu instid0(SALU_CYCLE_1)
	s_or_b32 exec_lo, exec_lo, s27
	global_load_u8 v0, v[72:73], off offset:524
	s_mov_b32 s27, exec_lo
	s_wait_loadcnt 0x0
	v_cmpx_ne_u16_e32 0, v0
	s_cbranch_execz .LBB179_170
; %bb.163:                              ;   in Loop: Header=BB179_10 Depth=1
	v_bfrev_b32_e32 v117, 1
	s_mov_b32 s28, exec_lo
	v_cmpx_ne_u16_e32 0x80, v0
	s_cbranch_execz .LBB179_169
; %bb.164:                              ;   in Loop: Header=BB179_10 Depth=1
	v_and_b32_e32 v1, 0xffff, v0
	v_mov_b32_e32 v117, 0x7f800001
	s_mov_b32 s29, exec_lo
	s_delay_alu instid0(VALU_DEP_2) | instskip(NEXT) | instid1(VALU_DEP_1)
	v_and_b32_e32 v68, 0x7f, v1
	v_cmpx_ne_u32_e32 0x7f, v68
	s_cbranch_execz .LBB179_168
; %bb.165:                              ;   in Loop: Header=BB179_10 Depth=1
	v_dual_lshrrev_b32 v1, 3, v68 :: v_dual_bitop2_b32 v66, 7, v1 bitop3:0x40
	s_mov_b32 s30, exec_lo
	v_cmpx_gt_u32_e32 8, v68
; %bb.166:                              ;   in Loop: Header=BB179_10 Depth=1
	s_delay_alu instid0(VALU_DEP_2) | instskip(NEXT) | instid1(VALU_DEP_1)
	v_clz_i32_u32_e32 v1, v66
	v_min_u32_e32 v1, 32, v1
	s_delay_alu instid0(VALU_DEP_1) | instskip(NEXT) | instid1(VALU_DEP_1)
	v_subrev_nc_u32_e32 v68, 28, v1
	v_lshlrev_b64_e32 v[68:69], v68, v[66:67]
	s_delay_alu instid0(VALU_DEP_1)
	v_dual_sub_nc_u32 v1, 29, v1 :: v_dual_bitop2_b32 v66, 7, v68 bitop3:0x40
; %bb.167:                              ;   in Loop: Header=BB179_10 Depth=1
	s_or_b32 exec_lo, exec_lo, s30
	s_delay_alu instid0(VALU_DEP_1) | instskip(NEXT) | instid1(VALU_DEP_2)
	v_dual_lshlrev_b32 v0, 24, v0 :: v_dual_lshlrev_b32 v66, 20, v66
	v_lshl_add_u32 v1, v1, 23, 0x3c000000
	s_delay_alu instid0(VALU_DEP_2) | instskip(NEXT) | instid1(VALU_DEP_1)
	v_and_b32_e32 v0, 0x80000000, v0
	v_or3_b32 v117, v66, v0, v1
.LBB179_168:                            ;   in Loop: Header=BB179_10 Depth=1
	s_or_b32 exec_lo, exec_lo, s29
.LBB179_169:                            ;   in Loop: Header=BB179_10 Depth=1
	s_delay_alu instid0(SALU_CYCLE_1)
	s_or_b32 exec_lo, exec_lo, s28
.LBB179_170:                            ;   in Loop: Header=BB179_10 Depth=1
	s_delay_alu instid0(SALU_CYCLE_1)
	s_or_b32 exec_lo, exec_lo, s27
	global_load_u8 v0, v[72:73], off offset:640
	v_dual_mov_b32 v119, 0 :: v_dual_mov_b32 v120, 0
	s_mov_b32 s27, exec_lo
	s_wait_loadcnt 0x0
	v_cmpx_ne_u16_e32 0, v0
	s_cbranch_execz .LBB179_178
; %bb.171:                              ;   in Loop: Header=BB179_10 Depth=1
	v_bfrev_b32_e32 v120, 1
	s_mov_b32 s28, exec_lo
	v_cmpx_ne_u16_e32 0x80, v0
	s_cbranch_execz .LBB179_177
; %bb.172:                              ;   in Loop: Header=BB179_10 Depth=1
	v_and_b32_e32 v1, 0xffff, v0
	v_mov_b32_e32 v120, 0x7f800001
	s_mov_b32 s29, exec_lo
	s_delay_alu instid0(VALU_DEP_2) | instskip(NEXT) | instid1(VALU_DEP_1)
	v_and_b32_e32 v68, 0x7f, v1
	v_cmpx_ne_u32_e32 0x7f, v68
	s_cbranch_execz .LBB179_176
; %bb.173:                              ;   in Loop: Header=BB179_10 Depth=1
	v_dual_lshrrev_b32 v1, 3, v68 :: v_dual_bitop2_b32 v66, 7, v1 bitop3:0x40
	s_mov_b32 s30, exec_lo
	v_cmpx_gt_u32_e32 8, v68
; %bb.174:                              ;   in Loop: Header=BB179_10 Depth=1
	s_delay_alu instid0(VALU_DEP_2) | instskip(NEXT) | instid1(VALU_DEP_1)
	v_clz_i32_u32_e32 v1, v66
	v_min_u32_e32 v1, 32, v1
	s_delay_alu instid0(VALU_DEP_1) | instskip(NEXT) | instid1(VALU_DEP_1)
	v_subrev_nc_u32_e32 v68, 28, v1
	v_lshlrev_b64_e32 v[68:69], v68, v[66:67]
	s_delay_alu instid0(VALU_DEP_1)
	v_dual_sub_nc_u32 v1, 29, v1 :: v_dual_bitop2_b32 v66, 7, v68 bitop3:0x40
; %bb.175:                              ;   in Loop: Header=BB179_10 Depth=1
	s_or_b32 exec_lo, exec_lo, s30
	s_delay_alu instid0(VALU_DEP_1) | instskip(NEXT) | instid1(VALU_DEP_2)
	v_dual_lshlrev_b32 v0, 24, v0 :: v_dual_lshlrev_b32 v66, 20, v66
	v_lshl_add_u32 v1, v1, 23, 0x3c000000
	s_delay_alu instid0(VALU_DEP_2) | instskip(NEXT) | instid1(VALU_DEP_1)
	v_and_b32_e32 v0, 0x80000000, v0
	v_or3_b32 v120, v66, v0, v1
.LBB179_176:                            ;   in Loop: Header=BB179_10 Depth=1
	s_or_b32 exec_lo, exec_lo, s29
.LBB179_177:                            ;   in Loop: Header=BB179_10 Depth=1
	s_delay_alu instid0(SALU_CYCLE_1)
	s_or_b32 exec_lo, exec_lo, s28
.LBB179_178:                            ;   in Loop: Header=BB179_10 Depth=1
	s_delay_alu instid0(SALU_CYCLE_1)
	s_or_b32 exec_lo, exec_lo, s27
	global_load_u8 v0, v[72:73], off offset:644
	s_mov_b32 s27, exec_lo
	s_wait_loadcnt 0x0
	v_cmpx_ne_u16_e32 0, v0
	s_cbranch_execz .LBB179_186
; %bb.179:                              ;   in Loop: Header=BB179_10 Depth=1
	v_bfrev_b32_e32 v119, 1
	s_mov_b32 s28, exec_lo
	v_cmpx_ne_u16_e32 0x80, v0
	s_cbranch_execz .LBB179_185
; %bb.180:                              ;   in Loop: Header=BB179_10 Depth=1
	v_and_b32_e32 v1, 0xffff, v0
	v_mov_b32_e32 v119, 0x7f800001
	s_mov_b32 s29, exec_lo
	s_delay_alu instid0(VALU_DEP_2) | instskip(NEXT) | instid1(VALU_DEP_1)
	v_and_b32_e32 v68, 0x7f, v1
	v_cmpx_ne_u32_e32 0x7f, v68
	s_cbranch_execz .LBB179_184
; %bb.181:                              ;   in Loop: Header=BB179_10 Depth=1
	v_dual_lshrrev_b32 v1, 3, v68 :: v_dual_bitop2_b32 v66, 7, v1 bitop3:0x40
	s_mov_b32 s30, exec_lo
	v_cmpx_gt_u32_e32 8, v68
; %bb.182:                              ;   in Loop: Header=BB179_10 Depth=1
	s_delay_alu instid0(VALU_DEP_2) | instskip(NEXT) | instid1(VALU_DEP_1)
	v_clz_i32_u32_e32 v1, v66
	v_min_u32_e32 v1, 32, v1
	s_delay_alu instid0(VALU_DEP_1) | instskip(NEXT) | instid1(VALU_DEP_1)
	v_subrev_nc_u32_e32 v68, 28, v1
	v_lshlrev_b64_e32 v[68:69], v68, v[66:67]
	s_delay_alu instid0(VALU_DEP_1)
	v_dual_sub_nc_u32 v1, 29, v1 :: v_dual_bitop2_b32 v66, 7, v68 bitop3:0x40
; %bb.183:                              ;   in Loop: Header=BB179_10 Depth=1
	s_or_b32 exec_lo, exec_lo, s30
	s_delay_alu instid0(VALU_DEP_1) | instskip(NEXT) | instid1(VALU_DEP_2)
	v_dual_lshlrev_b32 v0, 24, v0 :: v_dual_lshlrev_b32 v66, 20, v66
	v_lshl_add_u32 v1, v1, 23, 0x3c000000
	s_delay_alu instid0(VALU_DEP_2) | instskip(NEXT) | instid1(VALU_DEP_1)
	v_and_b32_e32 v0, 0x80000000, v0
	v_or3_b32 v119, v66, v0, v1
.LBB179_184:                            ;   in Loop: Header=BB179_10 Depth=1
	s_or_b32 exec_lo, exec_lo, s29
.LBB179_185:                            ;   in Loop: Header=BB179_10 Depth=1
	s_delay_alu instid0(SALU_CYCLE_1)
	s_or_b32 exec_lo, exec_lo, s28
.LBB179_186:                            ;   in Loop: Header=BB179_10 Depth=1
	s_delay_alu instid0(SALU_CYCLE_1)
	s_or_b32 exec_lo, exec_lo, s27
	global_load_u8 v0, v[72:73], off offset:648
	v_dual_mov_b32 v121, 0 :: v_dual_mov_b32 v122, 0
	s_mov_b32 s27, exec_lo
	s_wait_loadcnt 0x0
	v_cmpx_ne_u16_e32 0, v0
	s_cbranch_execz .LBB179_194
; %bb.187:                              ;   in Loop: Header=BB179_10 Depth=1
	v_bfrev_b32_e32 v122, 1
	s_mov_b32 s28, exec_lo
	v_cmpx_ne_u16_e32 0x80, v0
	s_cbranch_execz .LBB179_193
; %bb.188:                              ;   in Loop: Header=BB179_10 Depth=1
	v_and_b32_e32 v1, 0xffff, v0
	v_mov_b32_e32 v122, 0x7f800001
	s_mov_b32 s29, exec_lo
	s_delay_alu instid0(VALU_DEP_2) | instskip(NEXT) | instid1(VALU_DEP_1)
	v_and_b32_e32 v68, 0x7f, v1
	v_cmpx_ne_u32_e32 0x7f, v68
	s_cbranch_execz .LBB179_192
; %bb.189:                              ;   in Loop: Header=BB179_10 Depth=1
	v_dual_lshrrev_b32 v1, 3, v68 :: v_dual_bitop2_b32 v66, 7, v1 bitop3:0x40
	s_mov_b32 s30, exec_lo
	v_cmpx_gt_u32_e32 8, v68
; %bb.190:                              ;   in Loop: Header=BB179_10 Depth=1
	s_delay_alu instid0(VALU_DEP_2) | instskip(NEXT) | instid1(VALU_DEP_1)
	v_clz_i32_u32_e32 v1, v66
	v_min_u32_e32 v1, 32, v1
	s_delay_alu instid0(VALU_DEP_1) | instskip(NEXT) | instid1(VALU_DEP_1)
	v_subrev_nc_u32_e32 v68, 28, v1
	v_lshlrev_b64_e32 v[68:69], v68, v[66:67]
	s_delay_alu instid0(VALU_DEP_1)
	v_dual_sub_nc_u32 v1, 29, v1 :: v_dual_bitop2_b32 v66, 7, v68 bitop3:0x40
; %bb.191:                              ;   in Loop: Header=BB179_10 Depth=1
	s_or_b32 exec_lo, exec_lo, s30
	s_delay_alu instid0(VALU_DEP_1) | instskip(NEXT) | instid1(VALU_DEP_2)
	v_dual_lshlrev_b32 v0, 24, v0 :: v_dual_lshlrev_b32 v66, 20, v66
	v_lshl_add_u32 v1, v1, 23, 0x3c000000
	s_delay_alu instid0(VALU_DEP_2) | instskip(NEXT) | instid1(VALU_DEP_1)
	v_and_b32_e32 v0, 0x80000000, v0
	v_or3_b32 v122, v66, v0, v1
.LBB179_192:                            ;   in Loop: Header=BB179_10 Depth=1
	s_or_b32 exec_lo, exec_lo, s29
.LBB179_193:                            ;   in Loop: Header=BB179_10 Depth=1
	s_delay_alu instid0(SALU_CYCLE_1)
	s_or_b32 exec_lo, exec_lo, s28
.LBB179_194:                            ;   in Loop: Header=BB179_10 Depth=1
	s_delay_alu instid0(SALU_CYCLE_1)
	s_or_b32 exec_lo, exec_lo, s27
	global_load_u8 v0, v[72:73], off offset:652
	s_mov_b32 s27, exec_lo
	s_wait_loadcnt 0x0
	v_cmpx_ne_u16_e32 0, v0
	s_cbranch_execz .LBB179_202
; %bb.195:                              ;   in Loop: Header=BB179_10 Depth=1
	v_bfrev_b32_e32 v121, 1
	s_mov_b32 s28, exec_lo
	v_cmpx_ne_u16_e32 0x80, v0
	s_cbranch_execz .LBB179_201
; %bb.196:                              ;   in Loop: Header=BB179_10 Depth=1
	v_and_b32_e32 v1, 0xffff, v0
	v_mov_b32_e32 v121, 0x7f800001
	s_mov_b32 s29, exec_lo
	s_delay_alu instid0(VALU_DEP_2) | instskip(NEXT) | instid1(VALU_DEP_1)
	v_and_b32_e32 v68, 0x7f, v1
	v_cmpx_ne_u32_e32 0x7f, v68
	s_cbranch_execz .LBB179_200
; %bb.197:                              ;   in Loop: Header=BB179_10 Depth=1
	v_dual_lshrrev_b32 v1, 3, v68 :: v_dual_bitop2_b32 v66, 7, v1 bitop3:0x40
	s_mov_b32 s30, exec_lo
	v_cmpx_gt_u32_e32 8, v68
; %bb.198:                              ;   in Loop: Header=BB179_10 Depth=1
	s_delay_alu instid0(VALU_DEP_2) | instskip(NEXT) | instid1(VALU_DEP_1)
	v_clz_i32_u32_e32 v1, v66
	v_min_u32_e32 v1, 32, v1
	s_delay_alu instid0(VALU_DEP_1) | instskip(NEXT) | instid1(VALU_DEP_1)
	v_subrev_nc_u32_e32 v68, 28, v1
	v_lshlrev_b64_e32 v[68:69], v68, v[66:67]
	s_delay_alu instid0(VALU_DEP_1)
	v_dual_sub_nc_u32 v1, 29, v1 :: v_dual_bitop2_b32 v66, 7, v68 bitop3:0x40
; %bb.199:                              ;   in Loop: Header=BB179_10 Depth=1
	s_or_b32 exec_lo, exec_lo, s30
	s_delay_alu instid0(VALU_DEP_1) | instskip(NEXT) | instid1(VALU_DEP_2)
	v_dual_lshlrev_b32 v0, 24, v0 :: v_dual_lshlrev_b32 v66, 20, v66
	v_lshl_add_u32 v1, v1, 23, 0x3c000000
	s_delay_alu instid0(VALU_DEP_2) | instskip(NEXT) | instid1(VALU_DEP_1)
	v_and_b32_e32 v0, 0x80000000, v0
	v_or3_b32 v121, v66, v0, v1
.LBB179_200:                            ;   in Loop: Header=BB179_10 Depth=1
	s_or_b32 exec_lo, exec_lo, s29
.LBB179_201:                            ;   in Loop: Header=BB179_10 Depth=1
	s_delay_alu instid0(SALU_CYCLE_1)
	s_or_b32 exec_lo, exec_lo, s28
.LBB179_202:                            ;   in Loop: Header=BB179_10 Depth=1
	s_delay_alu instid0(SALU_CYCLE_1)
	s_or_b32 exec_lo, exec_lo, s27
	global_load_u8 v0, v[72:73], off offset:768
	v_dual_mov_b32 v82, 0 :: v_dual_mov_b32 v71, 0
	s_mov_b32 s27, exec_lo
	s_wait_loadcnt 0x0
	v_cmpx_ne_u16_e32 0, v0
	s_cbranch_execz .LBB179_210
; %bb.203:                              ;   in Loop: Header=BB179_10 Depth=1
	v_bfrev_b32_e32 v71, 1
	s_mov_b32 s28, exec_lo
	v_cmpx_ne_u16_e32 0x80, v0
	s_cbranch_execz .LBB179_209
; %bb.204:                              ;   in Loop: Header=BB179_10 Depth=1
	v_and_b32_e32 v1, 0xffff, v0
	v_mov_b32_e32 v71, 0x7f800001
	s_mov_b32 s29, exec_lo
	s_delay_alu instid0(VALU_DEP_2) | instskip(NEXT) | instid1(VALU_DEP_1)
	v_and_b32_e32 v68, 0x7f, v1
	v_cmpx_ne_u32_e32 0x7f, v68
	s_cbranch_execz .LBB179_208
; %bb.205:                              ;   in Loop: Header=BB179_10 Depth=1
	v_dual_lshrrev_b32 v1, 3, v68 :: v_dual_bitop2_b32 v66, 7, v1 bitop3:0x40
	s_mov_b32 s30, exec_lo
	v_cmpx_gt_u32_e32 8, v68
; %bb.206:                              ;   in Loop: Header=BB179_10 Depth=1
	s_delay_alu instid0(VALU_DEP_2) | instskip(NEXT) | instid1(VALU_DEP_1)
	v_clz_i32_u32_e32 v1, v66
	v_min_u32_e32 v1, 32, v1
	s_delay_alu instid0(VALU_DEP_1) | instskip(NEXT) | instid1(VALU_DEP_1)
	v_subrev_nc_u32_e32 v68, 28, v1
	v_lshlrev_b64_e32 v[68:69], v68, v[66:67]
	s_delay_alu instid0(VALU_DEP_1)
	v_dual_sub_nc_u32 v1, 29, v1 :: v_dual_bitop2_b32 v66, 7, v68 bitop3:0x40
; %bb.207:                              ;   in Loop: Header=BB179_10 Depth=1
	s_or_b32 exec_lo, exec_lo, s30
	s_delay_alu instid0(VALU_DEP_1) | instskip(NEXT) | instid1(VALU_DEP_2)
	v_dual_lshlrev_b32 v0, 24, v0 :: v_dual_lshlrev_b32 v66, 20, v66
	v_lshl_add_u32 v1, v1, 23, 0x3c000000
	s_delay_alu instid0(VALU_DEP_2) | instskip(NEXT) | instid1(VALU_DEP_1)
	v_and_b32_e32 v0, 0x80000000, v0
	v_or3_b32 v71, v66, v0, v1
.LBB179_208:                            ;   in Loop: Header=BB179_10 Depth=1
	s_or_b32 exec_lo, exec_lo, s29
.LBB179_209:                            ;   in Loop: Header=BB179_10 Depth=1
	s_delay_alu instid0(SALU_CYCLE_1)
	s_or_b32 exec_lo, exec_lo, s28
.LBB179_210:                            ;   in Loop: Header=BB179_10 Depth=1
	s_delay_alu instid0(SALU_CYCLE_1)
	s_or_b32 exec_lo, exec_lo, s27
	global_load_u8 v0, v[72:73], off offset:772
	s_mov_b32 s27, exec_lo
	s_wait_loadcnt 0x0
	v_cmpx_ne_u16_e32 0, v0
	s_cbranch_execz .LBB179_218
; %bb.211:                              ;   in Loop: Header=BB179_10 Depth=1
	v_bfrev_b32_e32 v82, 1
	s_mov_b32 s28, exec_lo
	v_cmpx_ne_u16_e32 0x80, v0
	s_cbranch_execz .LBB179_217
; %bb.212:                              ;   in Loop: Header=BB179_10 Depth=1
	v_and_b32_e32 v1, 0xffff, v0
	v_mov_b32_e32 v82, 0x7f800001
	s_mov_b32 s29, exec_lo
	s_delay_alu instid0(VALU_DEP_2) | instskip(NEXT) | instid1(VALU_DEP_1)
	v_and_b32_e32 v68, 0x7f, v1
	v_cmpx_ne_u32_e32 0x7f, v68
	s_cbranch_execz .LBB179_216
; %bb.213:                              ;   in Loop: Header=BB179_10 Depth=1
	v_dual_lshrrev_b32 v1, 3, v68 :: v_dual_bitop2_b32 v66, 7, v1 bitop3:0x40
	s_mov_b32 s30, exec_lo
	v_cmpx_gt_u32_e32 8, v68
; %bb.214:                              ;   in Loop: Header=BB179_10 Depth=1
	s_delay_alu instid0(VALU_DEP_2) | instskip(NEXT) | instid1(VALU_DEP_1)
	v_clz_i32_u32_e32 v1, v66
	v_min_u32_e32 v1, 32, v1
	s_delay_alu instid0(VALU_DEP_1) | instskip(NEXT) | instid1(VALU_DEP_1)
	v_subrev_nc_u32_e32 v68, 28, v1
	v_lshlrev_b64_e32 v[68:69], v68, v[66:67]
	s_delay_alu instid0(VALU_DEP_1)
	v_dual_sub_nc_u32 v1, 29, v1 :: v_dual_bitop2_b32 v66, 7, v68 bitop3:0x40
; %bb.215:                              ;   in Loop: Header=BB179_10 Depth=1
	s_or_b32 exec_lo, exec_lo, s30
	s_delay_alu instid0(VALU_DEP_1) | instskip(NEXT) | instid1(VALU_DEP_2)
	v_dual_lshlrev_b32 v0, 24, v0 :: v_dual_lshlrev_b32 v66, 20, v66
	v_lshl_add_u32 v1, v1, 23, 0x3c000000
	s_delay_alu instid0(VALU_DEP_2) | instskip(NEXT) | instid1(VALU_DEP_1)
	v_and_b32_e32 v0, 0x80000000, v0
	v_or3_b32 v82, v66, v0, v1
.LBB179_216:                            ;   in Loop: Header=BB179_10 Depth=1
	s_or_b32 exec_lo, exec_lo, s29
.LBB179_217:                            ;   in Loop: Header=BB179_10 Depth=1
	s_delay_alu instid0(SALU_CYCLE_1)
	s_or_b32 exec_lo, exec_lo, s28
.LBB179_218:                            ;   in Loop: Header=BB179_10 Depth=1
	s_delay_alu instid0(SALU_CYCLE_1)
	s_or_b32 exec_lo, exec_lo, s27
	global_load_u8 v0, v[72:73], off offset:776
	v_dual_mov_b32 v62, 0 :: v_dual_mov_b32 v126, 0
	s_mov_b32 s27, exec_lo
	s_wait_loadcnt 0x0
	v_cmpx_ne_u16_e32 0, v0
	s_cbranch_execz .LBB179_226
; %bb.219:                              ;   in Loop: Header=BB179_10 Depth=1
	v_bfrev_b32_e32 v126, 1
	s_mov_b32 s28, exec_lo
	v_cmpx_ne_u16_e32 0x80, v0
	s_cbranch_execz .LBB179_225
; %bb.220:                              ;   in Loop: Header=BB179_10 Depth=1
	v_and_b32_e32 v1, 0xffff, v0
	v_mov_b32_e32 v126, 0x7f800001
	s_mov_b32 s29, exec_lo
	s_delay_alu instid0(VALU_DEP_2) | instskip(NEXT) | instid1(VALU_DEP_1)
	v_and_b32_e32 v68, 0x7f, v1
	v_cmpx_ne_u32_e32 0x7f, v68
	s_cbranch_execz .LBB179_224
; %bb.221:                              ;   in Loop: Header=BB179_10 Depth=1
	v_dual_lshrrev_b32 v1, 3, v68 :: v_dual_bitop2_b32 v66, 7, v1 bitop3:0x40
	s_mov_b32 s30, exec_lo
	v_cmpx_gt_u32_e32 8, v68
; %bb.222:                              ;   in Loop: Header=BB179_10 Depth=1
	s_delay_alu instid0(VALU_DEP_2) | instskip(NEXT) | instid1(VALU_DEP_1)
	v_clz_i32_u32_e32 v1, v66
	v_min_u32_e32 v1, 32, v1
	s_delay_alu instid0(VALU_DEP_1) | instskip(NEXT) | instid1(VALU_DEP_1)
	v_subrev_nc_u32_e32 v68, 28, v1
	v_lshlrev_b64_e32 v[68:69], v68, v[66:67]
	s_delay_alu instid0(VALU_DEP_1)
	v_dual_sub_nc_u32 v1, 29, v1 :: v_dual_bitop2_b32 v66, 7, v68 bitop3:0x40
; %bb.223:                              ;   in Loop: Header=BB179_10 Depth=1
	s_or_b32 exec_lo, exec_lo, s30
	s_delay_alu instid0(VALU_DEP_1) | instskip(NEXT) | instid1(VALU_DEP_2)
	v_dual_lshlrev_b32 v0, 24, v0 :: v_dual_lshlrev_b32 v66, 20, v66
	v_lshl_add_u32 v1, v1, 23, 0x3c000000
	s_delay_alu instid0(VALU_DEP_2) | instskip(NEXT) | instid1(VALU_DEP_1)
	v_and_b32_e32 v0, 0x80000000, v0
	v_or3_b32 v126, v66, v0, v1
.LBB179_224:                            ;   in Loop: Header=BB179_10 Depth=1
	s_or_b32 exec_lo, exec_lo, s29
.LBB179_225:                            ;   in Loop: Header=BB179_10 Depth=1
	s_delay_alu instid0(SALU_CYCLE_1)
	s_or_b32 exec_lo, exec_lo, s28
.LBB179_226:                            ;   in Loop: Header=BB179_10 Depth=1
	s_delay_alu instid0(SALU_CYCLE_1)
	s_or_b32 exec_lo, exec_lo, s27
	global_load_u8 v0, v[72:73], off offset:780
	s_mov_b32 s27, exec_lo
	s_wait_loadcnt 0x0
	v_cmpx_ne_u16_e32 0, v0
	s_cbranch_execz .LBB179_234
; %bb.227:                              ;   in Loop: Header=BB179_10 Depth=1
	v_bfrev_b32_e32 v62, 1
	s_mov_b32 s28, exec_lo
	v_cmpx_ne_u16_e32 0x80, v0
	s_cbranch_execz .LBB179_233
; %bb.228:                              ;   in Loop: Header=BB179_10 Depth=1
	v_and_b32_e32 v1, 0xffff, v0
	v_mov_b32_e32 v62, 0x7f800001
	s_mov_b32 s29, exec_lo
	s_delay_alu instid0(VALU_DEP_2) | instskip(NEXT) | instid1(VALU_DEP_1)
	v_and_b32_e32 v68, 0x7f, v1
	v_cmpx_ne_u32_e32 0x7f, v68
	s_cbranch_execz .LBB179_232
; %bb.229:                              ;   in Loop: Header=BB179_10 Depth=1
	v_dual_lshrrev_b32 v1, 3, v68 :: v_dual_bitop2_b32 v66, 7, v1 bitop3:0x40
	s_mov_b32 s30, exec_lo
	v_cmpx_gt_u32_e32 8, v68
; %bb.230:                              ;   in Loop: Header=BB179_10 Depth=1
	s_delay_alu instid0(VALU_DEP_2) | instskip(NEXT) | instid1(VALU_DEP_1)
	v_clz_i32_u32_e32 v1, v66
	v_min_u32_e32 v1, 32, v1
	s_delay_alu instid0(VALU_DEP_1) | instskip(NEXT) | instid1(VALU_DEP_1)
	v_subrev_nc_u32_e32 v68, 28, v1
	v_lshlrev_b64_e32 v[68:69], v68, v[66:67]
	s_delay_alu instid0(VALU_DEP_1)
	v_dual_sub_nc_u32 v1, 29, v1 :: v_dual_bitop2_b32 v66, 7, v68 bitop3:0x40
; %bb.231:                              ;   in Loop: Header=BB179_10 Depth=1
	s_or_b32 exec_lo, exec_lo, s30
	s_delay_alu instid0(VALU_DEP_1) | instskip(NEXT) | instid1(VALU_DEP_2)
	v_dual_lshlrev_b32 v0, 24, v0 :: v_dual_lshlrev_b32 v66, 20, v66
	v_lshl_add_u32 v1, v1, 23, 0x3c000000
	s_delay_alu instid0(VALU_DEP_2) | instskip(NEXT) | instid1(VALU_DEP_1)
	v_and_b32_e32 v0, 0x80000000, v0
	v_or3_b32 v62, v66, v0, v1
.LBB179_232:                            ;   in Loop: Header=BB179_10 Depth=1
	s_or_b32 exec_lo, exec_lo, s29
.LBB179_233:                            ;   in Loop: Header=BB179_10 Depth=1
	s_delay_alu instid0(SALU_CYCLE_1)
	s_or_b32 exec_lo, exec_lo, s28
.LBB179_234:                            ;   in Loop: Header=BB179_10 Depth=1
	s_delay_alu instid0(SALU_CYCLE_1)
	s_or_b32 exec_lo, exec_lo, s27
	global_load_u8 v0, v[72:73], off offset:896
	v_dual_mov_b32 v74, 0 :: v_dual_mov_b32 v93, 0
	s_mov_b32 s27, exec_lo
	s_wait_loadcnt 0x0
	v_cmpx_ne_u16_e32 0, v0
	s_cbranch_execz .LBB179_242
; %bb.235:                              ;   in Loop: Header=BB179_10 Depth=1
	v_bfrev_b32_e32 v93, 1
	s_mov_b32 s28, exec_lo
	v_cmpx_ne_u16_e32 0x80, v0
	s_cbranch_execz .LBB179_241
; %bb.236:                              ;   in Loop: Header=BB179_10 Depth=1
	v_and_b32_e32 v1, 0xffff, v0
	v_mov_b32_e32 v93, 0x7f800001
	s_mov_b32 s29, exec_lo
	s_delay_alu instid0(VALU_DEP_2) | instskip(NEXT) | instid1(VALU_DEP_1)
	v_and_b32_e32 v68, 0x7f, v1
	v_cmpx_ne_u32_e32 0x7f, v68
	s_cbranch_execz .LBB179_240
; %bb.237:                              ;   in Loop: Header=BB179_10 Depth=1
	v_dual_lshrrev_b32 v1, 3, v68 :: v_dual_bitop2_b32 v66, 7, v1 bitop3:0x40
	s_mov_b32 s30, exec_lo
	v_cmpx_gt_u32_e32 8, v68
; %bb.238:                              ;   in Loop: Header=BB179_10 Depth=1
	s_delay_alu instid0(VALU_DEP_2) | instskip(NEXT) | instid1(VALU_DEP_1)
	v_clz_i32_u32_e32 v1, v66
	v_min_u32_e32 v1, 32, v1
	s_delay_alu instid0(VALU_DEP_1) | instskip(NEXT) | instid1(VALU_DEP_1)
	v_subrev_nc_u32_e32 v68, 28, v1
	v_lshlrev_b64_e32 v[68:69], v68, v[66:67]
	s_delay_alu instid0(VALU_DEP_1)
	v_dual_sub_nc_u32 v1, 29, v1 :: v_dual_bitop2_b32 v66, 7, v68 bitop3:0x40
; %bb.239:                              ;   in Loop: Header=BB179_10 Depth=1
	s_or_b32 exec_lo, exec_lo, s30
	s_delay_alu instid0(VALU_DEP_1) | instskip(NEXT) | instid1(VALU_DEP_2)
	v_dual_lshlrev_b32 v0, 24, v0 :: v_dual_lshlrev_b32 v66, 20, v66
	v_lshl_add_u32 v1, v1, 23, 0x3c000000
	s_delay_alu instid0(VALU_DEP_2) | instskip(NEXT) | instid1(VALU_DEP_1)
	v_and_b32_e32 v0, 0x80000000, v0
	v_or3_b32 v93, v66, v0, v1
.LBB179_240:                            ;   in Loop: Header=BB179_10 Depth=1
	s_or_b32 exec_lo, exec_lo, s29
.LBB179_241:                            ;   in Loop: Header=BB179_10 Depth=1
	s_delay_alu instid0(SALU_CYCLE_1)
	s_or_b32 exec_lo, exec_lo, s28
.LBB179_242:                            ;   in Loop: Header=BB179_10 Depth=1
	s_delay_alu instid0(SALU_CYCLE_1)
	s_or_b32 exec_lo, exec_lo, s27
	global_load_u8 v0, v[72:73], off offset:900
	s_mov_b32 s27, exec_lo
	s_wait_loadcnt 0x0
	v_cmpx_ne_u16_e32 0, v0
	s_cbranch_execz .LBB179_250
; %bb.243:                              ;   in Loop: Header=BB179_10 Depth=1
	v_bfrev_b32_e32 v74, 1
	s_mov_b32 s28, exec_lo
	v_cmpx_ne_u16_e32 0x80, v0
	s_cbranch_execz .LBB179_249
; %bb.244:                              ;   in Loop: Header=BB179_10 Depth=1
	v_and_b32_e32 v1, 0xffff, v0
	v_mov_b32_e32 v74, 0x7f800001
	s_mov_b32 s29, exec_lo
	s_delay_alu instid0(VALU_DEP_2) | instskip(NEXT) | instid1(VALU_DEP_1)
	v_and_b32_e32 v68, 0x7f, v1
	v_cmpx_ne_u32_e32 0x7f, v68
	s_cbranch_execz .LBB179_248
; %bb.245:                              ;   in Loop: Header=BB179_10 Depth=1
	v_dual_lshrrev_b32 v1, 3, v68 :: v_dual_bitop2_b32 v66, 7, v1 bitop3:0x40
	s_mov_b32 s30, exec_lo
	v_cmpx_gt_u32_e32 8, v68
; %bb.246:                              ;   in Loop: Header=BB179_10 Depth=1
	s_delay_alu instid0(VALU_DEP_2) | instskip(NEXT) | instid1(VALU_DEP_1)
	v_clz_i32_u32_e32 v1, v66
	v_min_u32_e32 v1, 32, v1
	s_delay_alu instid0(VALU_DEP_1) | instskip(NEXT) | instid1(VALU_DEP_1)
	v_subrev_nc_u32_e32 v68, 28, v1
	v_lshlrev_b64_e32 v[68:69], v68, v[66:67]
	s_delay_alu instid0(VALU_DEP_1)
	v_dual_sub_nc_u32 v1, 29, v1 :: v_dual_bitop2_b32 v66, 7, v68 bitop3:0x40
; %bb.247:                              ;   in Loop: Header=BB179_10 Depth=1
	s_or_b32 exec_lo, exec_lo, s30
	s_delay_alu instid0(VALU_DEP_1) | instskip(NEXT) | instid1(VALU_DEP_2)
	v_dual_lshlrev_b32 v0, 24, v0 :: v_dual_lshlrev_b32 v66, 20, v66
	v_lshl_add_u32 v1, v1, 23, 0x3c000000
	s_delay_alu instid0(VALU_DEP_2) | instskip(NEXT) | instid1(VALU_DEP_1)
	v_and_b32_e32 v0, 0x80000000, v0
	v_or3_b32 v74, v66, v0, v1
.LBB179_248:                            ;   in Loop: Header=BB179_10 Depth=1
	s_or_b32 exec_lo, exec_lo, s29
.LBB179_249:                            ;   in Loop: Header=BB179_10 Depth=1
	s_delay_alu instid0(SALU_CYCLE_1)
	s_or_b32 exec_lo, exec_lo, s28
.LBB179_250:                            ;   in Loop: Header=BB179_10 Depth=1
	s_delay_alu instid0(SALU_CYCLE_1)
	s_or_b32 exec_lo, exec_lo, s27
	global_load_u8 v0, v[72:73], off offset:904
	v_mov_b32_e32 v1, 0
	s_mov_b32 s27, exec_lo
	scratch_store_b32 off, v1, off          ; 4-byte Folded Spill
	s_wait_xcnt 0x0
	v_mov_b32_e32 v1, 0
	scratch_store_b32 off, v1, off offset:4 ; 4-byte Folded Spill
	s_wait_loadcnt 0x0
	v_cmpx_ne_u16_e32 0, v0
	s_cbranch_execz .LBB179_258
; %bb.251:                              ;   in Loop: Header=BB179_10 Depth=1
	v_bfrev_b32_e32 v1, 1
	s_mov_b32 s28, exec_lo
	scratch_store_b32 off, v1, off offset:4 ; 4-byte Folded Spill
	s_wait_xcnt 0x0
	v_cmpx_ne_u16_e32 0x80, v0
	s_cbranch_execz .LBB179_257
; %bb.252:                              ;   in Loop: Header=BB179_10 Depth=1
	v_and_b32_e32 v1, 0xffff, v0
	v_mov_b32_e32 v66, 0x7f800001
	s_mov_b32 s29, exec_lo
	s_delay_alu instid0(VALU_DEP_2)
	v_and_b32_e32 v68, 0x7f, v1
	scratch_store_b32 off, v66, off offset:4 ; 4-byte Folded Spill
	s_wait_xcnt 0x0
	v_cmpx_ne_u32_e32 0x7f, v68
	s_cbranch_execz .LBB179_256
; %bb.253:                              ;   in Loop: Header=BB179_10 Depth=1
	v_dual_lshrrev_b32 v1, 3, v68 :: v_dual_bitop2_b32 v66, 7, v1 bitop3:0x40
	s_mov_b32 s30, exec_lo
	v_cmpx_gt_u32_e32 8, v68
; %bb.254:                              ;   in Loop: Header=BB179_10 Depth=1
	s_delay_alu instid0(VALU_DEP_2) | instskip(NEXT) | instid1(VALU_DEP_1)
	v_clz_i32_u32_e32 v1, v66
	v_min_u32_e32 v1, 32, v1
	s_delay_alu instid0(VALU_DEP_1) | instskip(NEXT) | instid1(VALU_DEP_1)
	v_subrev_nc_u32_e32 v68, 28, v1
	v_lshlrev_b64_e32 v[68:69], v68, v[66:67]
	s_delay_alu instid0(VALU_DEP_1)
	v_dual_sub_nc_u32 v1, 29, v1 :: v_dual_bitop2_b32 v66, 7, v68 bitop3:0x40
; %bb.255:                              ;   in Loop: Header=BB179_10 Depth=1
	s_or_b32 exec_lo, exec_lo, s30
	s_delay_alu instid0(VALU_DEP_1) | instskip(NEXT) | instid1(VALU_DEP_2)
	v_dual_lshlrev_b32 v0, 24, v0 :: v_dual_lshlrev_b32 v66, 20, v66
	v_lshl_add_u32 v1, v1, 23, 0x3c000000
	s_delay_alu instid0(VALU_DEP_2) | instskip(NEXT) | instid1(VALU_DEP_1)
	v_and_b32_e32 v0, 0x80000000, v0
	v_or3_b32 v0, v66, v0, v1
	scratch_store_b32 off, v0, off offset:4 ; 4-byte Folded Spill
.LBB179_256:                            ;   in Loop: Header=BB179_10 Depth=1
	s_wait_xcnt 0x0
	s_or_b32 exec_lo, exec_lo, s29
.LBB179_257:                            ;   in Loop: Header=BB179_10 Depth=1
	s_delay_alu instid0(SALU_CYCLE_1)
	s_or_b32 exec_lo, exec_lo, s28
.LBB179_258:                            ;   in Loop: Header=BB179_10 Depth=1
	s_delay_alu instid0(SALU_CYCLE_1)
	s_or_b32 exec_lo, exec_lo, s27
	global_load_u8 v0, v[72:73], off offset:908
	s_mov_b32 s27, exec_lo
	s_wait_loadcnt 0x0
	v_cmpx_ne_u16_e32 0, v0
	s_cbranch_execz .LBB179_266
; %bb.259:                              ;   in Loop: Header=BB179_10 Depth=1
	v_bfrev_b32_e32 v1, 1
	s_mov_b32 s28, exec_lo
	scratch_store_b32 off, v1, off          ; 4-byte Folded Spill
	s_wait_xcnt 0x0
	v_cmpx_ne_u16_e32 0x80, v0
	s_cbranch_execz .LBB179_265
; %bb.260:                              ;   in Loop: Header=BB179_10 Depth=1
	v_and_b32_e32 v1, 0xffff, v0
	v_mov_b32_e32 v66, 0x7f800001
	s_mov_b32 s29, exec_lo
	s_delay_alu instid0(VALU_DEP_2)
	v_and_b32_e32 v68, 0x7f, v1
	scratch_store_b32 off, v66, off         ; 4-byte Folded Spill
	s_wait_xcnt 0x0
	v_cmpx_ne_u32_e32 0x7f, v68
	s_cbranch_execz .LBB179_264
; %bb.261:                              ;   in Loop: Header=BB179_10 Depth=1
	v_dual_lshrrev_b32 v1, 3, v68 :: v_dual_bitop2_b32 v66, 7, v1 bitop3:0x40
	s_mov_b32 s30, exec_lo
	v_cmpx_gt_u32_e32 8, v68
; %bb.262:                              ;   in Loop: Header=BB179_10 Depth=1
	s_delay_alu instid0(VALU_DEP_2) | instskip(NEXT) | instid1(VALU_DEP_1)
	v_clz_i32_u32_e32 v1, v66
	v_min_u32_e32 v1, 32, v1
	s_delay_alu instid0(VALU_DEP_1) | instskip(NEXT) | instid1(VALU_DEP_1)
	v_subrev_nc_u32_e32 v68, 28, v1
	v_lshlrev_b64_e32 v[68:69], v68, v[66:67]
	s_delay_alu instid0(VALU_DEP_1)
	v_dual_sub_nc_u32 v1, 29, v1 :: v_dual_bitop2_b32 v66, 7, v68 bitop3:0x40
; %bb.263:                              ;   in Loop: Header=BB179_10 Depth=1
	s_or_b32 exec_lo, exec_lo, s30
	s_delay_alu instid0(VALU_DEP_1) | instskip(NEXT) | instid1(VALU_DEP_2)
	v_dual_lshlrev_b32 v0, 24, v0 :: v_dual_lshlrev_b32 v66, 20, v66
	v_lshl_add_u32 v1, v1, 23, 0x3c000000
	s_delay_alu instid0(VALU_DEP_2) | instskip(NEXT) | instid1(VALU_DEP_1)
	v_and_b32_e32 v0, 0x80000000, v0
	v_or3_b32 v0, v66, v0, v1
	scratch_store_b32 off, v0, off          ; 4-byte Folded Spill
.LBB179_264:                            ;   in Loop: Header=BB179_10 Depth=1
	s_wait_xcnt 0x0
	s_or_b32 exec_lo, exec_lo, s29
.LBB179_265:                            ;   in Loop: Header=BB179_10 Depth=1
	s_delay_alu instid0(SALU_CYCLE_1)
	s_or_b32 exec_lo, exec_lo, s28
.LBB179_266:                            ;   in Loop: Header=BB179_10 Depth=1
	s_delay_alu instid0(SALU_CYCLE_1)
	s_or_b32 exec_lo, exec_lo, s27
	global_load_u8 v0, v[72:73], off offset:1024
	v_mov_b32_e32 v1, 0
	s_mov_b32 s27, exec_lo
	scratch_store_b32 off, v1, off offset:8 ; 4-byte Folded Spill
	s_wait_xcnt 0x0
	v_mov_b32_e32 v1, 0
	scratch_store_b32 off, v1, off offset:12 ; 4-byte Folded Spill
	s_wait_loadcnt 0x0
	v_cmpx_ne_u16_e32 0, v0
	s_cbranch_execz .LBB179_274
; %bb.267:                              ;   in Loop: Header=BB179_10 Depth=1
	v_bfrev_b32_e32 v1, 1
	s_mov_b32 s28, exec_lo
	scratch_store_b32 off, v1, off offset:12 ; 4-byte Folded Spill
	s_wait_xcnt 0x0
	v_cmpx_ne_u16_e32 0x80, v0
	s_cbranch_execz .LBB179_273
; %bb.268:                              ;   in Loop: Header=BB179_10 Depth=1
	v_and_b32_e32 v1, 0xffff, v0
	v_mov_b32_e32 v66, 0x7f800001
	s_mov_b32 s29, exec_lo
	s_delay_alu instid0(VALU_DEP_2)
	v_and_b32_e32 v68, 0x7f, v1
	scratch_store_b32 off, v66, off offset:12 ; 4-byte Folded Spill
	s_wait_xcnt 0x0
	v_cmpx_ne_u32_e32 0x7f, v68
	s_cbranch_execz .LBB179_272
; %bb.269:                              ;   in Loop: Header=BB179_10 Depth=1
	v_dual_lshrrev_b32 v1, 3, v68 :: v_dual_bitop2_b32 v66, 7, v1 bitop3:0x40
	s_mov_b32 s30, exec_lo
	v_cmpx_gt_u32_e32 8, v68
; %bb.270:                              ;   in Loop: Header=BB179_10 Depth=1
	s_delay_alu instid0(VALU_DEP_2) | instskip(NEXT) | instid1(VALU_DEP_1)
	v_clz_i32_u32_e32 v1, v66
	v_min_u32_e32 v1, 32, v1
	s_delay_alu instid0(VALU_DEP_1) | instskip(NEXT) | instid1(VALU_DEP_1)
	v_subrev_nc_u32_e32 v68, 28, v1
	v_lshlrev_b64_e32 v[68:69], v68, v[66:67]
	s_delay_alu instid0(VALU_DEP_1)
	v_dual_sub_nc_u32 v1, 29, v1 :: v_dual_bitop2_b32 v66, 7, v68 bitop3:0x40
; %bb.271:                              ;   in Loop: Header=BB179_10 Depth=1
	s_or_b32 exec_lo, exec_lo, s30
	s_delay_alu instid0(VALU_DEP_1) | instskip(NEXT) | instid1(VALU_DEP_2)
	v_dual_lshlrev_b32 v0, 24, v0 :: v_dual_lshlrev_b32 v66, 20, v66
	v_lshl_add_u32 v1, v1, 23, 0x3c000000
	s_delay_alu instid0(VALU_DEP_2) | instskip(NEXT) | instid1(VALU_DEP_1)
	v_and_b32_e32 v0, 0x80000000, v0
	v_or3_b32 v0, v66, v0, v1
	scratch_store_b32 off, v0, off offset:12 ; 4-byte Folded Spill
.LBB179_272:                            ;   in Loop: Header=BB179_10 Depth=1
	s_wait_xcnt 0x0
	s_or_b32 exec_lo, exec_lo, s29
.LBB179_273:                            ;   in Loop: Header=BB179_10 Depth=1
	s_delay_alu instid0(SALU_CYCLE_1)
	s_or_b32 exec_lo, exec_lo, s28
.LBB179_274:                            ;   in Loop: Header=BB179_10 Depth=1
	s_delay_alu instid0(SALU_CYCLE_1)
	s_or_b32 exec_lo, exec_lo, s27
	global_load_u8 v0, v[72:73], off offset:1028
	s_mov_b32 s27, exec_lo
	s_wait_loadcnt 0x0
	v_cmpx_ne_u16_e32 0, v0
	s_cbranch_execz .LBB179_282
; %bb.275:                              ;   in Loop: Header=BB179_10 Depth=1
	v_bfrev_b32_e32 v1, 1
	s_mov_b32 s28, exec_lo
	scratch_store_b32 off, v1, off offset:8 ; 4-byte Folded Spill
	s_wait_xcnt 0x0
	v_cmpx_ne_u16_e32 0x80, v0
	s_cbranch_execz .LBB179_281
; %bb.276:                              ;   in Loop: Header=BB179_10 Depth=1
	v_and_b32_e32 v1, 0xffff, v0
	v_mov_b32_e32 v66, 0x7f800001
	s_mov_b32 s29, exec_lo
	s_delay_alu instid0(VALU_DEP_2)
	v_and_b32_e32 v68, 0x7f, v1
	scratch_store_b32 off, v66, off offset:8 ; 4-byte Folded Spill
	s_wait_xcnt 0x0
	v_cmpx_ne_u32_e32 0x7f, v68
	s_cbranch_execz .LBB179_280
; %bb.277:                              ;   in Loop: Header=BB179_10 Depth=1
	v_dual_lshrrev_b32 v1, 3, v68 :: v_dual_bitop2_b32 v66, 7, v1 bitop3:0x40
	s_mov_b32 s30, exec_lo
	v_cmpx_gt_u32_e32 8, v68
; %bb.278:                              ;   in Loop: Header=BB179_10 Depth=1
	s_delay_alu instid0(VALU_DEP_2) | instskip(NEXT) | instid1(VALU_DEP_1)
	v_clz_i32_u32_e32 v1, v66
	v_min_u32_e32 v1, 32, v1
	s_delay_alu instid0(VALU_DEP_1) | instskip(NEXT) | instid1(VALU_DEP_1)
	v_subrev_nc_u32_e32 v68, 28, v1
	v_lshlrev_b64_e32 v[68:69], v68, v[66:67]
	s_delay_alu instid0(VALU_DEP_1)
	v_dual_sub_nc_u32 v1, 29, v1 :: v_dual_bitop2_b32 v66, 7, v68 bitop3:0x40
; %bb.279:                              ;   in Loop: Header=BB179_10 Depth=1
	s_or_b32 exec_lo, exec_lo, s30
	s_delay_alu instid0(VALU_DEP_1) | instskip(NEXT) | instid1(VALU_DEP_2)
	v_dual_lshlrev_b32 v0, 24, v0 :: v_dual_lshlrev_b32 v66, 20, v66
	v_lshl_add_u32 v1, v1, 23, 0x3c000000
	s_delay_alu instid0(VALU_DEP_2) | instskip(NEXT) | instid1(VALU_DEP_1)
	v_and_b32_e32 v0, 0x80000000, v0
	v_or3_b32 v0, v66, v0, v1
	scratch_store_b32 off, v0, off offset:8 ; 4-byte Folded Spill
.LBB179_280:                            ;   in Loop: Header=BB179_10 Depth=1
	s_wait_xcnt 0x0
	s_or_b32 exec_lo, exec_lo, s29
.LBB179_281:                            ;   in Loop: Header=BB179_10 Depth=1
	s_delay_alu instid0(SALU_CYCLE_1)
	s_or_b32 exec_lo, exec_lo, s28
.LBB179_282:                            ;   in Loop: Header=BB179_10 Depth=1
	s_delay_alu instid0(SALU_CYCLE_1)
	s_or_b32 exec_lo, exec_lo, s27
	global_load_u8 v0, v[72:73], off offset:1032
	v_mov_b32_e32 v1, 0
	s_mov_b32 s27, exec_lo
	scratch_store_b32 off, v1, off offset:16 ; 4-byte Folded Spill
	s_wait_xcnt 0x0
	v_mov_b32_e32 v1, 0
	scratch_store_b32 off, v1, off offset:20 ; 4-byte Folded Spill
	s_wait_loadcnt 0x0
	v_cmpx_ne_u16_e32 0, v0
	s_cbranch_execz .LBB179_290
; %bb.283:                              ;   in Loop: Header=BB179_10 Depth=1
	v_bfrev_b32_e32 v1, 1
	s_mov_b32 s28, exec_lo
	scratch_store_b32 off, v1, off offset:20 ; 4-byte Folded Spill
	s_wait_xcnt 0x0
	v_cmpx_ne_u16_e32 0x80, v0
	s_cbranch_execz .LBB179_289
; %bb.284:                              ;   in Loop: Header=BB179_10 Depth=1
	v_and_b32_e32 v1, 0xffff, v0
	v_mov_b32_e32 v66, 0x7f800001
	s_mov_b32 s29, exec_lo
	s_delay_alu instid0(VALU_DEP_2)
	v_and_b32_e32 v68, 0x7f, v1
	scratch_store_b32 off, v66, off offset:20 ; 4-byte Folded Spill
	s_wait_xcnt 0x0
	v_cmpx_ne_u32_e32 0x7f, v68
	s_cbranch_execz .LBB179_288
; %bb.285:                              ;   in Loop: Header=BB179_10 Depth=1
	v_dual_lshrrev_b32 v1, 3, v68 :: v_dual_bitop2_b32 v66, 7, v1 bitop3:0x40
	s_mov_b32 s30, exec_lo
	v_cmpx_gt_u32_e32 8, v68
; %bb.286:                              ;   in Loop: Header=BB179_10 Depth=1
	s_delay_alu instid0(VALU_DEP_2) | instskip(NEXT) | instid1(VALU_DEP_1)
	v_clz_i32_u32_e32 v1, v66
	v_min_u32_e32 v1, 32, v1
	s_delay_alu instid0(VALU_DEP_1) | instskip(NEXT) | instid1(VALU_DEP_1)
	v_subrev_nc_u32_e32 v68, 28, v1
	v_lshlrev_b64_e32 v[68:69], v68, v[66:67]
	s_delay_alu instid0(VALU_DEP_1)
	v_dual_sub_nc_u32 v1, 29, v1 :: v_dual_bitop2_b32 v66, 7, v68 bitop3:0x40
; %bb.287:                              ;   in Loop: Header=BB179_10 Depth=1
	s_or_b32 exec_lo, exec_lo, s30
	s_delay_alu instid0(VALU_DEP_1) | instskip(NEXT) | instid1(VALU_DEP_2)
	v_dual_lshlrev_b32 v0, 24, v0 :: v_dual_lshlrev_b32 v66, 20, v66
	v_lshl_add_u32 v1, v1, 23, 0x3c000000
	s_delay_alu instid0(VALU_DEP_2) | instskip(NEXT) | instid1(VALU_DEP_1)
	v_and_b32_e32 v0, 0x80000000, v0
	v_or3_b32 v0, v66, v0, v1
	scratch_store_b32 off, v0, off offset:20 ; 4-byte Folded Spill
.LBB179_288:                            ;   in Loop: Header=BB179_10 Depth=1
	s_wait_xcnt 0x0
	s_or_b32 exec_lo, exec_lo, s29
.LBB179_289:                            ;   in Loop: Header=BB179_10 Depth=1
	s_delay_alu instid0(SALU_CYCLE_1)
	s_or_b32 exec_lo, exec_lo, s28
.LBB179_290:                            ;   in Loop: Header=BB179_10 Depth=1
	s_delay_alu instid0(SALU_CYCLE_1)
	s_or_b32 exec_lo, exec_lo, s27
	global_load_u8 v0, v[72:73], off offset:1036
	s_mov_b32 s27, exec_lo
	s_wait_loadcnt 0x0
	v_cmpx_ne_u16_e32 0, v0
	s_cbranch_execz .LBB179_298
; %bb.291:                              ;   in Loop: Header=BB179_10 Depth=1
	v_bfrev_b32_e32 v1, 1
	s_mov_b32 s28, exec_lo
	scratch_store_b32 off, v1, off offset:16 ; 4-byte Folded Spill
	s_wait_xcnt 0x0
	v_cmpx_ne_u16_e32 0x80, v0
	s_cbranch_execz .LBB179_297
; %bb.292:                              ;   in Loop: Header=BB179_10 Depth=1
	v_and_b32_e32 v1, 0xffff, v0
	v_mov_b32_e32 v66, 0x7f800001
	s_mov_b32 s29, exec_lo
	s_delay_alu instid0(VALU_DEP_2)
	v_and_b32_e32 v68, 0x7f, v1
	scratch_store_b32 off, v66, off offset:16 ; 4-byte Folded Spill
	s_wait_xcnt 0x0
	v_cmpx_ne_u32_e32 0x7f, v68
	s_cbranch_execz .LBB179_296
; %bb.293:                              ;   in Loop: Header=BB179_10 Depth=1
	v_dual_lshrrev_b32 v1, 3, v68 :: v_dual_bitop2_b32 v66, 7, v1 bitop3:0x40
	s_mov_b32 s30, exec_lo
	v_cmpx_gt_u32_e32 8, v68
; %bb.294:                              ;   in Loop: Header=BB179_10 Depth=1
	s_delay_alu instid0(VALU_DEP_2) | instskip(NEXT) | instid1(VALU_DEP_1)
	v_clz_i32_u32_e32 v1, v66
	v_min_u32_e32 v1, 32, v1
	s_delay_alu instid0(VALU_DEP_1) | instskip(NEXT) | instid1(VALU_DEP_1)
	v_subrev_nc_u32_e32 v68, 28, v1
	v_lshlrev_b64_e32 v[68:69], v68, v[66:67]
	s_delay_alu instid0(VALU_DEP_1)
	v_dual_sub_nc_u32 v1, 29, v1 :: v_dual_bitop2_b32 v66, 7, v68 bitop3:0x40
; %bb.295:                              ;   in Loop: Header=BB179_10 Depth=1
	s_or_b32 exec_lo, exec_lo, s30
	s_delay_alu instid0(VALU_DEP_1) | instskip(NEXT) | instid1(VALU_DEP_2)
	v_dual_lshlrev_b32 v0, 24, v0 :: v_dual_lshlrev_b32 v66, 20, v66
	v_lshl_add_u32 v1, v1, 23, 0x3c000000
	s_delay_alu instid0(VALU_DEP_2) | instskip(NEXT) | instid1(VALU_DEP_1)
	v_and_b32_e32 v0, 0x80000000, v0
	v_or3_b32 v0, v66, v0, v1
	scratch_store_b32 off, v0, off offset:16 ; 4-byte Folded Spill
.LBB179_296:                            ;   in Loop: Header=BB179_10 Depth=1
	s_wait_xcnt 0x0
	s_or_b32 exec_lo, exec_lo, s29
.LBB179_297:                            ;   in Loop: Header=BB179_10 Depth=1
	s_delay_alu instid0(SALU_CYCLE_1)
	s_or_b32 exec_lo, exec_lo, s28
.LBB179_298:                            ;   in Loop: Header=BB179_10 Depth=1
	s_delay_alu instid0(SALU_CYCLE_1)
	s_or_b32 exec_lo, exec_lo, s27
	global_load_u8 v0, v[72:73], off offset:1152
	v_mov_b32_e32 v1, 0
	s_mov_b32 s27, exec_lo
	scratch_store_b32 off, v1, off offset:24 ; 4-byte Folded Spill
	s_wait_xcnt 0x0
	v_mov_b32_e32 v1, 0
	scratch_store_b32 off, v1, off offset:28 ; 4-byte Folded Spill
	s_wait_loadcnt 0x0
	v_cmpx_ne_u16_e32 0, v0
	s_cbranch_execz .LBB179_306
; %bb.299:                              ;   in Loop: Header=BB179_10 Depth=1
	v_bfrev_b32_e32 v1, 1
	s_mov_b32 s28, exec_lo
	scratch_store_b32 off, v1, off offset:28 ; 4-byte Folded Spill
	s_wait_xcnt 0x0
	v_cmpx_ne_u16_e32 0x80, v0
	s_cbranch_execz .LBB179_305
; %bb.300:                              ;   in Loop: Header=BB179_10 Depth=1
	v_and_b32_e32 v1, 0xffff, v0
	v_mov_b32_e32 v66, 0x7f800001
	s_mov_b32 s29, exec_lo
	s_delay_alu instid0(VALU_DEP_2)
	v_and_b32_e32 v68, 0x7f, v1
	scratch_store_b32 off, v66, off offset:28 ; 4-byte Folded Spill
	s_wait_xcnt 0x0
	v_cmpx_ne_u32_e32 0x7f, v68
	s_cbranch_execz .LBB179_304
; %bb.301:                              ;   in Loop: Header=BB179_10 Depth=1
	v_dual_lshrrev_b32 v1, 3, v68 :: v_dual_bitop2_b32 v66, 7, v1 bitop3:0x40
	s_mov_b32 s30, exec_lo
	v_cmpx_gt_u32_e32 8, v68
; %bb.302:                              ;   in Loop: Header=BB179_10 Depth=1
	s_delay_alu instid0(VALU_DEP_2) | instskip(NEXT) | instid1(VALU_DEP_1)
	v_clz_i32_u32_e32 v1, v66
	v_min_u32_e32 v1, 32, v1
	s_delay_alu instid0(VALU_DEP_1) | instskip(NEXT) | instid1(VALU_DEP_1)
	v_subrev_nc_u32_e32 v68, 28, v1
	v_lshlrev_b64_e32 v[68:69], v68, v[66:67]
	s_delay_alu instid0(VALU_DEP_1)
	v_dual_sub_nc_u32 v1, 29, v1 :: v_dual_bitop2_b32 v66, 7, v68 bitop3:0x40
; %bb.303:                              ;   in Loop: Header=BB179_10 Depth=1
	s_or_b32 exec_lo, exec_lo, s30
	s_delay_alu instid0(VALU_DEP_1) | instskip(NEXT) | instid1(VALU_DEP_2)
	v_dual_lshlrev_b32 v0, 24, v0 :: v_dual_lshlrev_b32 v66, 20, v66
	v_lshl_add_u32 v1, v1, 23, 0x3c000000
	s_delay_alu instid0(VALU_DEP_2) | instskip(NEXT) | instid1(VALU_DEP_1)
	v_and_b32_e32 v0, 0x80000000, v0
	v_or3_b32 v0, v66, v0, v1
	scratch_store_b32 off, v0, off offset:28 ; 4-byte Folded Spill
.LBB179_304:                            ;   in Loop: Header=BB179_10 Depth=1
	s_wait_xcnt 0x0
	s_or_b32 exec_lo, exec_lo, s29
.LBB179_305:                            ;   in Loop: Header=BB179_10 Depth=1
	s_delay_alu instid0(SALU_CYCLE_1)
	s_or_b32 exec_lo, exec_lo, s28
.LBB179_306:                            ;   in Loop: Header=BB179_10 Depth=1
	s_delay_alu instid0(SALU_CYCLE_1)
	s_or_b32 exec_lo, exec_lo, s27
	global_load_u8 v0, v[72:73], off offset:1156
	s_mov_b32 s27, exec_lo
	s_wait_loadcnt 0x0
	v_cmpx_ne_u16_e32 0, v0
	s_cbranch_execz .LBB179_314
; %bb.307:                              ;   in Loop: Header=BB179_10 Depth=1
	v_bfrev_b32_e32 v1, 1
	s_mov_b32 s28, exec_lo
	scratch_store_b32 off, v1, off offset:24 ; 4-byte Folded Spill
	s_wait_xcnt 0x0
	v_cmpx_ne_u16_e32 0x80, v0
	s_cbranch_execz .LBB179_313
; %bb.308:                              ;   in Loop: Header=BB179_10 Depth=1
	v_and_b32_e32 v1, 0xffff, v0
	v_mov_b32_e32 v66, 0x7f800001
	s_mov_b32 s29, exec_lo
	s_delay_alu instid0(VALU_DEP_2)
	v_and_b32_e32 v68, 0x7f, v1
	scratch_store_b32 off, v66, off offset:24 ; 4-byte Folded Spill
	s_wait_xcnt 0x0
	v_cmpx_ne_u32_e32 0x7f, v68
	s_cbranch_execz .LBB179_312
; %bb.309:                              ;   in Loop: Header=BB179_10 Depth=1
	v_dual_lshrrev_b32 v1, 3, v68 :: v_dual_bitop2_b32 v66, 7, v1 bitop3:0x40
	s_mov_b32 s30, exec_lo
	v_cmpx_gt_u32_e32 8, v68
; %bb.310:                              ;   in Loop: Header=BB179_10 Depth=1
	s_delay_alu instid0(VALU_DEP_2) | instskip(NEXT) | instid1(VALU_DEP_1)
	v_clz_i32_u32_e32 v1, v66
	v_min_u32_e32 v1, 32, v1
	s_delay_alu instid0(VALU_DEP_1) | instskip(NEXT) | instid1(VALU_DEP_1)
	v_subrev_nc_u32_e32 v68, 28, v1
	v_lshlrev_b64_e32 v[68:69], v68, v[66:67]
	s_delay_alu instid0(VALU_DEP_1)
	v_dual_sub_nc_u32 v1, 29, v1 :: v_dual_bitop2_b32 v66, 7, v68 bitop3:0x40
; %bb.311:                              ;   in Loop: Header=BB179_10 Depth=1
	s_or_b32 exec_lo, exec_lo, s30
	s_delay_alu instid0(VALU_DEP_1) | instskip(NEXT) | instid1(VALU_DEP_2)
	v_dual_lshlrev_b32 v0, 24, v0 :: v_dual_lshlrev_b32 v66, 20, v66
	v_lshl_add_u32 v1, v1, 23, 0x3c000000
	s_delay_alu instid0(VALU_DEP_2) | instskip(NEXT) | instid1(VALU_DEP_1)
	v_and_b32_e32 v0, 0x80000000, v0
	v_or3_b32 v0, v66, v0, v1
	scratch_store_b32 off, v0, off offset:24 ; 4-byte Folded Spill
.LBB179_312:                            ;   in Loop: Header=BB179_10 Depth=1
	s_wait_xcnt 0x0
	s_or_b32 exec_lo, exec_lo, s29
.LBB179_313:                            ;   in Loop: Header=BB179_10 Depth=1
	s_delay_alu instid0(SALU_CYCLE_1)
	s_or_b32 exec_lo, exec_lo, s28
.LBB179_314:                            ;   in Loop: Header=BB179_10 Depth=1
	s_delay_alu instid0(SALU_CYCLE_1)
	s_or_b32 exec_lo, exec_lo, s27
	global_load_u8 v0, v[72:73], off offset:1160
	v_mov_b32_e32 v1, 0
	s_mov_b32 s27, exec_lo
	scratch_store_b32 off, v1, off offset:32 ; 4-byte Folded Spill
	s_wait_xcnt 0x0
	v_mov_b32_e32 v1, 0
	scratch_store_b32 off, v1, off offset:36 ; 4-byte Folded Spill
	s_wait_loadcnt 0x0
	v_cmpx_ne_u16_e32 0, v0
	s_cbranch_execz .LBB179_322
; %bb.315:                              ;   in Loop: Header=BB179_10 Depth=1
	v_bfrev_b32_e32 v1, 1
	s_mov_b32 s28, exec_lo
	scratch_store_b32 off, v1, off offset:36 ; 4-byte Folded Spill
	s_wait_xcnt 0x0
	v_cmpx_ne_u16_e32 0x80, v0
	s_cbranch_execz .LBB179_321
; %bb.316:                              ;   in Loop: Header=BB179_10 Depth=1
	v_and_b32_e32 v1, 0xffff, v0
	v_mov_b32_e32 v66, 0x7f800001
	s_mov_b32 s29, exec_lo
	s_delay_alu instid0(VALU_DEP_2)
	v_and_b32_e32 v68, 0x7f, v1
	scratch_store_b32 off, v66, off offset:36 ; 4-byte Folded Spill
	s_wait_xcnt 0x0
	v_cmpx_ne_u32_e32 0x7f, v68
	s_cbranch_execz .LBB179_320
; %bb.317:                              ;   in Loop: Header=BB179_10 Depth=1
	v_dual_lshrrev_b32 v1, 3, v68 :: v_dual_bitop2_b32 v66, 7, v1 bitop3:0x40
	s_mov_b32 s30, exec_lo
	v_cmpx_gt_u32_e32 8, v68
; %bb.318:                              ;   in Loop: Header=BB179_10 Depth=1
	s_delay_alu instid0(VALU_DEP_2) | instskip(NEXT) | instid1(VALU_DEP_1)
	v_clz_i32_u32_e32 v1, v66
	v_min_u32_e32 v1, 32, v1
	s_delay_alu instid0(VALU_DEP_1) | instskip(NEXT) | instid1(VALU_DEP_1)
	v_subrev_nc_u32_e32 v68, 28, v1
	v_lshlrev_b64_e32 v[68:69], v68, v[66:67]
	s_delay_alu instid0(VALU_DEP_1)
	v_dual_sub_nc_u32 v1, 29, v1 :: v_dual_bitop2_b32 v66, 7, v68 bitop3:0x40
; %bb.319:                              ;   in Loop: Header=BB179_10 Depth=1
	s_or_b32 exec_lo, exec_lo, s30
	s_delay_alu instid0(VALU_DEP_1) | instskip(NEXT) | instid1(VALU_DEP_2)
	v_dual_lshlrev_b32 v0, 24, v0 :: v_dual_lshlrev_b32 v66, 20, v66
	v_lshl_add_u32 v1, v1, 23, 0x3c000000
	s_delay_alu instid0(VALU_DEP_2) | instskip(NEXT) | instid1(VALU_DEP_1)
	v_and_b32_e32 v0, 0x80000000, v0
	v_or3_b32 v0, v66, v0, v1
	scratch_store_b32 off, v0, off offset:36 ; 4-byte Folded Spill
.LBB179_320:                            ;   in Loop: Header=BB179_10 Depth=1
	s_wait_xcnt 0x0
	s_or_b32 exec_lo, exec_lo, s29
.LBB179_321:                            ;   in Loop: Header=BB179_10 Depth=1
	s_delay_alu instid0(SALU_CYCLE_1)
	s_or_b32 exec_lo, exec_lo, s28
.LBB179_322:                            ;   in Loop: Header=BB179_10 Depth=1
	s_delay_alu instid0(SALU_CYCLE_1)
	s_or_b32 exec_lo, exec_lo, s27
	global_load_u8 v0, v[72:73], off offset:1164
	s_mov_b32 s27, exec_lo
	s_wait_loadcnt 0x0
	v_cmpx_ne_u16_e32 0, v0
	s_cbranch_execz .LBB179_330
; %bb.323:                              ;   in Loop: Header=BB179_10 Depth=1
	v_bfrev_b32_e32 v1, 1
	s_mov_b32 s28, exec_lo
	scratch_store_b32 off, v1, off offset:32 ; 4-byte Folded Spill
	s_wait_xcnt 0x0
	v_cmpx_ne_u16_e32 0x80, v0
	s_cbranch_execz .LBB179_329
; %bb.324:                              ;   in Loop: Header=BB179_10 Depth=1
	v_and_b32_e32 v1, 0xffff, v0
	v_mov_b32_e32 v66, 0x7f800001
	s_mov_b32 s29, exec_lo
	s_delay_alu instid0(VALU_DEP_2)
	v_and_b32_e32 v68, 0x7f, v1
	scratch_store_b32 off, v66, off offset:32 ; 4-byte Folded Spill
	s_wait_xcnt 0x0
	v_cmpx_ne_u32_e32 0x7f, v68
	s_cbranch_execz .LBB179_328
; %bb.325:                              ;   in Loop: Header=BB179_10 Depth=1
	v_dual_lshrrev_b32 v1, 3, v68 :: v_dual_bitop2_b32 v66, 7, v1 bitop3:0x40
	s_mov_b32 s30, exec_lo
	v_cmpx_gt_u32_e32 8, v68
; %bb.326:                              ;   in Loop: Header=BB179_10 Depth=1
	s_delay_alu instid0(VALU_DEP_2) | instskip(NEXT) | instid1(VALU_DEP_1)
	v_clz_i32_u32_e32 v1, v66
	v_min_u32_e32 v1, 32, v1
	s_delay_alu instid0(VALU_DEP_1) | instskip(NEXT) | instid1(VALU_DEP_1)
	v_subrev_nc_u32_e32 v68, 28, v1
	v_lshlrev_b64_e32 v[68:69], v68, v[66:67]
	s_delay_alu instid0(VALU_DEP_1)
	v_dual_sub_nc_u32 v1, 29, v1 :: v_dual_bitop2_b32 v66, 7, v68 bitop3:0x40
; %bb.327:                              ;   in Loop: Header=BB179_10 Depth=1
	s_or_b32 exec_lo, exec_lo, s30
	s_delay_alu instid0(VALU_DEP_1) | instskip(NEXT) | instid1(VALU_DEP_2)
	v_dual_lshlrev_b32 v0, 24, v0 :: v_dual_lshlrev_b32 v66, 20, v66
	v_lshl_add_u32 v1, v1, 23, 0x3c000000
	s_delay_alu instid0(VALU_DEP_2) | instskip(NEXT) | instid1(VALU_DEP_1)
	v_and_b32_e32 v0, 0x80000000, v0
	v_or3_b32 v0, v66, v0, v1
	scratch_store_b32 off, v0, off offset:32 ; 4-byte Folded Spill
.LBB179_328:                            ;   in Loop: Header=BB179_10 Depth=1
	s_wait_xcnt 0x0
	s_or_b32 exec_lo, exec_lo, s29
.LBB179_329:                            ;   in Loop: Header=BB179_10 Depth=1
	s_delay_alu instid0(SALU_CYCLE_1)
	s_or_b32 exec_lo, exec_lo, s28
.LBB179_330:                            ;   in Loop: Header=BB179_10 Depth=1
	s_delay_alu instid0(SALU_CYCLE_1)
	s_or_b32 exec_lo, exec_lo, s27
	global_load_u8 v0, v[72:73], off offset:1280
	v_mov_b32_e32 v1, 0
	s_mov_b32 s27, exec_lo
	scratch_store_b32 off, v1, off offset:40 ; 4-byte Folded Spill
	s_wait_xcnt 0x0
	v_mov_b32_e32 v1, 0
	scratch_store_b32 off, v1, off offset:44 ; 4-byte Folded Spill
	s_wait_loadcnt 0x0
	v_cmpx_ne_u16_e32 0, v0
	s_cbranch_execz .LBB179_338
; %bb.331:                              ;   in Loop: Header=BB179_10 Depth=1
	v_bfrev_b32_e32 v1, 1
	s_mov_b32 s28, exec_lo
	scratch_store_b32 off, v1, off offset:44 ; 4-byte Folded Spill
	s_wait_xcnt 0x0
	v_cmpx_ne_u16_e32 0x80, v0
	s_cbranch_execz .LBB179_337
; %bb.332:                              ;   in Loop: Header=BB179_10 Depth=1
	v_and_b32_e32 v1, 0xffff, v0
	v_mov_b32_e32 v66, 0x7f800001
	s_mov_b32 s29, exec_lo
	s_delay_alu instid0(VALU_DEP_2)
	v_and_b32_e32 v68, 0x7f, v1
	scratch_store_b32 off, v66, off offset:44 ; 4-byte Folded Spill
	s_wait_xcnt 0x0
	v_cmpx_ne_u32_e32 0x7f, v68
	s_cbranch_execz .LBB179_336
; %bb.333:                              ;   in Loop: Header=BB179_10 Depth=1
	v_dual_lshrrev_b32 v1, 3, v68 :: v_dual_bitop2_b32 v66, 7, v1 bitop3:0x40
	s_mov_b32 s30, exec_lo
	v_cmpx_gt_u32_e32 8, v68
; %bb.334:                              ;   in Loop: Header=BB179_10 Depth=1
	s_delay_alu instid0(VALU_DEP_2) | instskip(NEXT) | instid1(VALU_DEP_1)
	v_clz_i32_u32_e32 v1, v66
	v_min_u32_e32 v1, 32, v1
	s_delay_alu instid0(VALU_DEP_1) | instskip(NEXT) | instid1(VALU_DEP_1)
	v_subrev_nc_u32_e32 v68, 28, v1
	v_lshlrev_b64_e32 v[68:69], v68, v[66:67]
	s_delay_alu instid0(VALU_DEP_1)
	v_dual_sub_nc_u32 v1, 29, v1 :: v_dual_bitop2_b32 v66, 7, v68 bitop3:0x40
; %bb.335:                              ;   in Loop: Header=BB179_10 Depth=1
	s_or_b32 exec_lo, exec_lo, s30
	s_delay_alu instid0(VALU_DEP_1) | instskip(NEXT) | instid1(VALU_DEP_2)
	v_dual_lshlrev_b32 v0, 24, v0 :: v_dual_lshlrev_b32 v66, 20, v66
	v_lshl_add_u32 v1, v1, 23, 0x3c000000
	s_delay_alu instid0(VALU_DEP_2) | instskip(NEXT) | instid1(VALU_DEP_1)
	v_and_b32_e32 v0, 0x80000000, v0
	v_or3_b32 v0, v66, v0, v1
	scratch_store_b32 off, v0, off offset:44 ; 4-byte Folded Spill
.LBB179_336:                            ;   in Loop: Header=BB179_10 Depth=1
	s_wait_xcnt 0x0
	s_or_b32 exec_lo, exec_lo, s29
.LBB179_337:                            ;   in Loop: Header=BB179_10 Depth=1
	s_delay_alu instid0(SALU_CYCLE_1)
	s_or_b32 exec_lo, exec_lo, s28
.LBB179_338:                            ;   in Loop: Header=BB179_10 Depth=1
	s_delay_alu instid0(SALU_CYCLE_1)
	s_or_b32 exec_lo, exec_lo, s27
	global_load_u8 v0, v[72:73], off offset:1284
	s_mov_b32 s27, exec_lo
	s_wait_loadcnt 0x0
	v_cmpx_ne_u16_e32 0, v0
	s_cbranch_execz .LBB179_346
; %bb.339:                              ;   in Loop: Header=BB179_10 Depth=1
	v_bfrev_b32_e32 v1, 1
	s_mov_b32 s28, exec_lo
	scratch_store_b32 off, v1, off offset:40 ; 4-byte Folded Spill
	s_wait_xcnt 0x0
	v_cmpx_ne_u16_e32 0x80, v0
	s_cbranch_execz .LBB179_345
; %bb.340:                              ;   in Loop: Header=BB179_10 Depth=1
	v_and_b32_e32 v1, 0xffff, v0
	v_mov_b32_e32 v66, 0x7f800001
	s_mov_b32 s29, exec_lo
	s_delay_alu instid0(VALU_DEP_2)
	v_and_b32_e32 v68, 0x7f, v1
	scratch_store_b32 off, v66, off offset:40 ; 4-byte Folded Spill
	s_wait_xcnt 0x0
	v_cmpx_ne_u32_e32 0x7f, v68
	s_cbranch_execz .LBB179_344
; %bb.341:                              ;   in Loop: Header=BB179_10 Depth=1
	v_dual_lshrrev_b32 v1, 3, v68 :: v_dual_bitop2_b32 v66, 7, v1 bitop3:0x40
	s_mov_b32 s30, exec_lo
	v_cmpx_gt_u32_e32 8, v68
; %bb.342:                              ;   in Loop: Header=BB179_10 Depth=1
	s_delay_alu instid0(VALU_DEP_2) | instskip(NEXT) | instid1(VALU_DEP_1)
	v_clz_i32_u32_e32 v1, v66
	v_min_u32_e32 v1, 32, v1
	s_delay_alu instid0(VALU_DEP_1) | instskip(NEXT) | instid1(VALU_DEP_1)
	v_subrev_nc_u32_e32 v68, 28, v1
	v_lshlrev_b64_e32 v[68:69], v68, v[66:67]
	s_delay_alu instid0(VALU_DEP_1)
	v_dual_sub_nc_u32 v1, 29, v1 :: v_dual_bitop2_b32 v66, 7, v68 bitop3:0x40
; %bb.343:                              ;   in Loop: Header=BB179_10 Depth=1
	s_or_b32 exec_lo, exec_lo, s30
	s_delay_alu instid0(VALU_DEP_1) | instskip(NEXT) | instid1(VALU_DEP_2)
	v_dual_lshlrev_b32 v0, 24, v0 :: v_dual_lshlrev_b32 v66, 20, v66
	v_lshl_add_u32 v1, v1, 23, 0x3c000000
	s_delay_alu instid0(VALU_DEP_2) | instskip(NEXT) | instid1(VALU_DEP_1)
	v_and_b32_e32 v0, 0x80000000, v0
	v_or3_b32 v0, v66, v0, v1
	scratch_store_b32 off, v0, off offset:40 ; 4-byte Folded Spill
.LBB179_344:                            ;   in Loop: Header=BB179_10 Depth=1
	s_wait_xcnt 0x0
	s_or_b32 exec_lo, exec_lo, s29
.LBB179_345:                            ;   in Loop: Header=BB179_10 Depth=1
	s_delay_alu instid0(SALU_CYCLE_1)
	s_or_b32 exec_lo, exec_lo, s28
.LBB179_346:                            ;   in Loop: Header=BB179_10 Depth=1
	s_delay_alu instid0(SALU_CYCLE_1)
	s_or_b32 exec_lo, exec_lo, s27
	global_load_u8 v0, v[72:73], off offset:1288
	v_mov_b32_e32 v1, 0
	s_mov_b32 s27, exec_lo
	scratch_store_b32 off, v1, off offset:48 ; 4-byte Folded Spill
	s_wait_xcnt 0x0
	v_mov_b32_e32 v1, 0
	scratch_store_b32 off, v1, off offset:52 ; 4-byte Folded Spill
	s_wait_loadcnt 0x0
	v_cmpx_ne_u16_e32 0, v0
	s_cbranch_execz .LBB179_354
; %bb.347:                              ;   in Loop: Header=BB179_10 Depth=1
	v_bfrev_b32_e32 v1, 1
	s_mov_b32 s28, exec_lo
	scratch_store_b32 off, v1, off offset:52 ; 4-byte Folded Spill
	s_wait_xcnt 0x0
	v_cmpx_ne_u16_e32 0x80, v0
	s_cbranch_execz .LBB179_353
; %bb.348:                              ;   in Loop: Header=BB179_10 Depth=1
	v_and_b32_e32 v1, 0xffff, v0
	v_mov_b32_e32 v66, 0x7f800001
	s_mov_b32 s29, exec_lo
	s_delay_alu instid0(VALU_DEP_2)
	v_and_b32_e32 v68, 0x7f, v1
	scratch_store_b32 off, v66, off offset:52 ; 4-byte Folded Spill
	s_wait_xcnt 0x0
	v_cmpx_ne_u32_e32 0x7f, v68
	s_cbranch_execz .LBB179_352
; %bb.349:                              ;   in Loop: Header=BB179_10 Depth=1
	v_dual_lshrrev_b32 v1, 3, v68 :: v_dual_bitop2_b32 v66, 7, v1 bitop3:0x40
	s_mov_b32 s30, exec_lo
	v_cmpx_gt_u32_e32 8, v68
; %bb.350:                              ;   in Loop: Header=BB179_10 Depth=1
	s_delay_alu instid0(VALU_DEP_2) | instskip(NEXT) | instid1(VALU_DEP_1)
	v_clz_i32_u32_e32 v1, v66
	v_min_u32_e32 v1, 32, v1
	s_delay_alu instid0(VALU_DEP_1) | instskip(NEXT) | instid1(VALU_DEP_1)
	v_subrev_nc_u32_e32 v68, 28, v1
	v_lshlrev_b64_e32 v[68:69], v68, v[66:67]
	s_delay_alu instid0(VALU_DEP_1)
	v_dual_sub_nc_u32 v1, 29, v1 :: v_dual_bitop2_b32 v66, 7, v68 bitop3:0x40
; %bb.351:                              ;   in Loop: Header=BB179_10 Depth=1
	s_or_b32 exec_lo, exec_lo, s30
	s_delay_alu instid0(VALU_DEP_1) | instskip(NEXT) | instid1(VALU_DEP_2)
	v_dual_lshlrev_b32 v0, 24, v0 :: v_dual_lshlrev_b32 v66, 20, v66
	v_lshl_add_u32 v1, v1, 23, 0x3c000000
	s_delay_alu instid0(VALU_DEP_2) | instskip(NEXT) | instid1(VALU_DEP_1)
	v_and_b32_e32 v0, 0x80000000, v0
	v_or3_b32 v0, v66, v0, v1
	scratch_store_b32 off, v0, off offset:52 ; 4-byte Folded Spill
.LBB179_352:                            ;   in Loop: Header=BB179_10 Depth=1
	s_wait_xcnt 0x0
	s_or_b32 exec_lo, exec_lo, s29
.LBB179_353:                            ;   in Loop: Header=BB179_10 Depth=1
	s_delay_alu instid0(SALU_CYCLE_1)
	s_or_b32 exec_lo, exec_lo, s28
.LBB179_354:                            ;   in Loop: Header=BB179_10 Depth=1
	s_delay_alu instid0(SALU_CYCLE_1)
	s_or_b32 exec_lo, exec_lo, s27
	global_load_u8 v0, v[72:73], off offset:1292
	s_mov_b32 s27, exec_lo
	s_wait_loadcnt 0x0
	v_cmpx_ne_u16_e32 0, v0
	s_cbranch_execz .LBB179_362
; %bb.355:                              ;   in Loop: Header=BB179_10 Depth=1
	v_bfrev_b32_e32 v1, 1
	s_mov_b32 s28, exec_lo
	scratch_store_b32 off, v1, off offset:48 ; 4-byte Folded Spill
	s_wait_xcnt 0x0
	v_cmpx_ne_u16_e32 0x80, v0
	s_cbranch_execz .LBB179_361
; %bb.356:                              ;   in Loop: Header=BB179_10 Depth=1
	v_and_b32_e32 v1, 0xffff, v0
	v_mov_b32_e32 v66, 0x7f800001
	s_mov_b32 s29, exec_lo
	s_delay_alu instid0(VALU_DEP_2)
	v_and_b32_e32 v68, 0x7f, v1
	scratch_store_b32 off, v66, off offset:48 ; 4-byte Folded Spill
	s_wait_xcnt 0x0
	v_cmpx_ne_u32_e32 0x7f, v68
	s_cbranch_execz .LBB179_360
; %bb.357:                              ;   in Loop: Header=BB179_10 Depth=1
	v_dual_lshrrev_b32 v1, 3, v68 :: v_dual_bitop2_b32 v66, 7, v1 bitop3:0x40
	s_mov_b32 s30, exec_lo
	v_cmpx_gt_u32_e32 8, v68
; %bb.358:                              ;   in Loop: Header=BB179_10 Depth=1
	s_delay_alu instid0(VALU_DEP_2) | instskip(NEXT) | instid1(VALU_DEP_1)
	v_clz_i32_u32_e32 v1, v66
	v_min_u32_e32 v1, 32, v1
	s_delay_alu instid0(VALU_DEP_1) | instskip(NEXT) | instid1(VALU_DEP_1)
	v_subrev_nc_u32_e32 v68, 28, v1
	v_lshlrev_b64_e32 v[68:69], v68, v[66:67]
	s_delay_alu instid0(VALU_DEP_1)
	v_dual_sub_nc_u32 v1, 29, v1 :: v_dual_bitop2_b32 v66, 7, v68 bitop3:0x40
; %bb.359:                              ;   in Loop: Header=BB179_10 Depth=1
	s_or_b32 exec_lo, exec_lo, s30
	s_delay_alu instid0(VALU_DEP_1) | instskip(NEXT) | instid1(VALU_DEP_2)
	v_dual_lshlrev_b32 v0, 24, v0 :: v_dual_lshlrev_b32 v66, 20, v66
	v_lshl_add_u32 v1, v1, 23, 0x3c000000
	s_delay_alu instid0(VALU_DEP_2) | instskip(NEXT) | instid1(VALU_DEP_1)
	v_and_b32_e32 v0, 0x80000000, v0
	v_or3_b32 v0, v66, v0, v1
	scratch_store_b32 off, v0, off offset:48 ; 4-byte Folded Spill
.LBB179_360:                            ;   in Loop: Header=BB179_10 Depth=1
	s_wait_xcnt 0x0
	s_or_b32 exec_lo, exec_lo, s29
.LBB179_361:                            ;   in Loop: Header=BB179_10 Depth=1
	s_delay_alu instid0(SALU_CYCLE_1)
	s_or_b32 exec_lo, exec_lo, s28
.LBB179_362:                            ;   in Loop: Header=BB179_10 Depth=1
	s_delay_alu instid0(SALU_CYCLE_1)
	s_or_b32 exec_lo, exec_lo, s27
	global_load_u8 v0, v[72:73], off offset:1408
	v_mov_b32_e32 v1, 0
	s_mov_b32 s27, exec_lo
	scratch_store_b32 off, v1, off offset:56 ; 4-byte Folded Spill
	s_wait_xcnt 0x0
	v_mov_b32_e32 v1, 0
	scratch_store_b32 off, v1, off offset:60 ; 4-byte Folded Spill
	s_wait_loadcnt 0x0
	v_cmpx_ne_u16_e32 0, v0
	s_cbranch_execz .LBB179_370
; %bb.363:                              ;   in Loop: Header=BB179_10 Depth=1
	v_bfrev_b32_e32 v1, 1
	s_mov_b32 s28, exec_lo
	scratch_store_b32 off, v1, off offset:60 ; 4-byte Folded Spill
	s_wait_xcnt 0x0
	v_cmpx_ne_u16_e32 0x80, v0
	s_cbranch_execz .LBB179_369
; %bb.364:                              ;   in Loop: Header=BB179_10 Depth=1
	v_and_b32_e32 v1, 0xffff, v0
	v_mov_b32_e32 v66, 0x7f800001
	s_mov_b32 s29, exec_lo
	s_delay_alu instid0(VALU_DEP_2)
	v_and_b32_e32 v68, 0x7f, v1
	scratch_store_b32 off, v66, off offset:60 ; 4-byte Folded Spill
	s_wait_xcnt 0x0
	v_cmpx_ne_u32_e32 0x7f, v68
	s_cbranch_execz .LBB179_368
; %bb.365:                              ;   in Loop: Header=BB179_10 Depth=1
	v_dual_lshrrev_b32 v1, 3, v68 :: v_dual_bitop2_b32 v66, 7, v1 bitop3:0x40
	s_mov_b32 s30, exec_lo
	v_cmpx_gt_u32_e32 8, v68
; %bb.366:                              ;   in Loop: Header=BB179_10 Depth=1
	s_delay_alu instid0(VALU_DEP_2) | instskip(NEXT) | instid1(VALU_DEP_1)
	v_clz_i32_u32_e32 v1, v66
	v_min_u32_e32 v1, 32, v1
	s_delay_alu instid0(VALU_DEP_1) | instskip(NEXT) | instid1(VALU_DEP_1)
	v_subrev_nc_u32_e32 v68, 28, v1
	v_lshlrev_b64_e32 v[68:69], v68, v[66:67]
	s_delay_alu instid0(VALU_DEP_1)
	v_dual_sub_nc_u32 v1, 29, v1 :: v_dual_bitop2_b32 v66, 7, v68 bitop3:0x40
; %bb.367:                              ;   in Loop: Header=BB179_10 Depth=1
	s_or_b32 exec_lo, exec_lo, s30
	s_delay_alu instid0(VALU_DEP_1) | instskip(NEXT) | instid1(VALU_DEP_2)
	v_dual_lshlrev_b32 v0, 24, v0 :: v_dual_lshlrev_b32 v66, 20, v66
	v_lshl_add_u32 v1, v1, 23, 0x3c000000
	s_delay_alu instid0(VALU_DEP_2) | instskip(NEXT) | instid1(VALU_DEP_1)
	v_and_b32_e32 v0, 0x80000000, v0
	v_or3_b32 v0, v66, v0, v1
	scratch_store_b32 off, v0, off offset:60 ; 4-byte Folded Spill
.LBB179_368:                            ;   in Loop: Header=BB179_10 Depth=1
	s_wait_xcnt 0x0
	s_or_b32 exec_lo, exec_lo, s29
.LBB179_369:                            ;   in Loop: Header=BB179_10 Depth=1
	s_delay_alu instid0(SALU_CYCLE_1)
	s_or_b32 exec_lo, exec_lo, s28
.LBB179_370:                            ;   in Loop: Header=BB179_10 Depth=1
	s_delay_alu instid0(SALU_CYCLE_1)
	s_or_b32 exec_lo, exec_lo, s27
	global_load_u8 v0, v[72:73], off offset:1412
	s_mov_b32 s27, exec_lo
	s_wait_loadcnt 0x0
	v_cmpx_ne_u16_e32 0, v0
	s_cbranch_execz .LBB179_378
; %bb.371:                              ;   in Loop: Header=BB179_10 Depth=1
	v_bfrev_b32_e32 v1, 1
	s_mov_b32 s28, exec_lo
	scratch_store_b32 off, v1, off offset:56 ; 4-byte Folded Spill
	s_wait_xcnt 0x0
	v_cmpx_ne_u16_e32 0x80, v0
	s_cbranch_execz .LBB179_377
; %bb.372:                              ;   in Loop: Header=BB179_10 Depth=1
	v_and_b32_e32 v1, 0xffff, v0
	v_mov_b32_e32 v66, 0x7f800001
	s_mov_b32 s29, exec_lo
	s_delay_alu instid0(VALU_DEP_2)
	v_and_b32_e32 v68, 0x7f, v1
	scratch_store_b32 off, v66, off offset:56 ; 4-byte Folded Spill
	s_wait_xcnt 0x0
	v_cmpx_ne_u32_e32 0x7f, v68
	s_cbranch_execz .LBB179_376
; %bb.373:                              ;   in Loop: Header=BB179_10 Depth=1
	v_dual_lshrrev_b32 v1, 3, v68 :: v_dual_bitop2_b32 v66, 7, v1 bitop3:0x40
	s_mov_b32 s30, exec_lo
	v_cmpx_gt_u32_e32 8, v68
; %bb.374:                              ;   in Loop: Header=BB179_10 Depth=1
	s_delay_alu instid0(VALU_DEP_2) | instskip(NEXT) | instid1(VALU_DEP_1)
	v_clz_i32_u32_e32 v1, v66
	v_min_u32_e32 v1, 32, v1
	s_delay_alu instid0(VALU_DEP_1) | instskip(NEXT) | instid1(VALU_DEP_1)
	v_subrev_nc_u32_e32 v68, 28, v1
	v_lshlrev_b64_e32 v[68:69], v68, v[66:67]
	s_delay_alu instid0(VALU_DEP_1)
	v_dual_sub_nc_u32 v1, 29, v1 :: v_dual_bitop2_b32 v66, 7, v68 bitop3:0x40
; %bb.375:                              ;   in Loop: Header=BB179_10 Depth=1
	s_or_b32 exec_lo, exec_lo, s30
	s_delay_alu instid0(VALU_DEP_1) | instskip(NEXT) | instid1(VALU_DEP_2)
	v_dual_lshlrev_b32 v0, 24, v0 :: v_dual_lshlrev_b32 v66, 20, v66
	v_lshl_add_u32 v1, v1, 23, 0x3c000000
	s_delay_alu instid0(VALU_DEP_2) | instskip(NEXT) | instid1(VALU_DEP_1)
	v_and_b32_e32 v0, 0x80000000, v0
	v_or3_b32 v0, v66, v0, v1
	scratch_store_b32 off, v0, off offset:56 ; 4-byte Folded Spill
.LBB179_376:                            ;   in Loop: Header=BB179_10 Depth=1
	s_wait_xcnt 0x0
	s_or_b32 exec_lo, exec_lo, s29
.LBB179_377:                            ;   in Loop: Header=BB179_10 Depth=1
	s_delay_alu instid0(SALU_CYCLE_1)
	s_or_b32 exec_lo, exec_lo, s28
.LBB179_378:                            ;   in Loop: Header=BB179_10 Depth=1
	s_delay_alu instid0(SALU_CYCLE_1)
	s_or_b32 exec_lo, exec_lo, s27
	global_load_u8 v0, v[72:73], off offset:1416
	v_dual_mov_b32 v1, 0 :: v_dual_mov_b32 v76, 0
	s_mov_b32 s27, exec_lo
	s_wait_loadcnt 0x0
	v_cmpx_ne_u16_e32 0, v0
	s_cbranch_execz .LBB179_386
; %bb.379:                              ;   in Loop: Header=BB179_10 Depth=1
	v_bfrev_b32_e32 v76, 1
	s_mov_b32 s28, exec_lo
	v_cmpx_ne_u16_e32 0x80, v0
	s_cbranch_execz .LBB179_385
; %bb.380:                              ;   in Loop: Header=BB179_10 Depth=1
	v_and_b32_e32 v66, 0xffff, v0
	v_mov_b32_e32 v76, 0x7f800001
	s_mov_b32 s29, exec_lo
	s_delay_alu instid0(VALU_DEP_2) | instskip(NEXT) | instid1(VALU_DEP_1)
	v_and_b32_e32 v69, 0x7f, v66
	v_cmpx_ne_u32_e32 0x7f, v69
	s_cbranch_execz .LBB179_384
; %bb.381:                              ;   in Loop: Header=BB179_10 Depth=1
	v_dual_lshrrev_b32 v68, 3, v69 :: v_dual_bitop2_b32 v66, 7, v66 bitop3:0x40
	s_mov_b32 s30, exec_lo
	v_cmpx_gt_u32_e32 8, v69
; %bb.382:                              ;   in Loop: Header=BB179_10 Depth=1
	s_delay_alu instid0(VALU_DEP_2) | instskip(NEXT) | instid1(VALU_DEP_1)
	v_clz_i32_u32_e32 v68, v66
	v_min_u32_e32 v68, 32, v68
	s_delay_alu instid0(VALU_DEP_1) | instskip(SKIP_1) | instid1(VALU_DEP_2)
	v_subrev_nc_u32_e32 v69, 28, v68
	v_sub_nc_u32_e32 v68, 29, v68
	v_lshlrev_b64_e32 v[76:77], v69, v[66:67]
	s_delay_alu instid0(VALU_DEP_1)
	v_and_b32_e32 v66, 7, v76
; %bb.383:                              ;   in Loop: Header=BB179_10 Depth=1
	s_or_b32 exec_lo, exec_lo, s30
	s_delay_alu instid0(VALU_DEP_1) | instskip(SKIP_1) | instid1(VALU_DEP_2)
	v_dual_lshlrev_b32 v0, 24, v0 :: v_dual_lshlrev_b32 v66, 20, v66
	v_lshl_add_u32 v68, v68, 23, 0x3c000000
	v_and_b32_e32 v0, 0x80000000, v0
	s_delay_alu instid0(VALU_DEP_1)
	v_or3_b32 v76, v66, v0, v68
.LBB179_384:                            ;   in Loop: Header=BB179_10 Depth=1
	s_or_b32 exec_lo, exec_lo, s29
.LBB179_385:                            ;   in Loop: Header=BB179_10 Depth=1
	s_delay_alu instid0(SALU_CYCLE_1)
	s_or_b32 exec_lo, exec_lo, s28
.LBB179_386:                            ;   in Loop: Header=BB179_10 Depth=1
	s_delay_alu instid0(SALU_CYCLE_1)
	s_or_b32 exec_lo, exec_lo, s27
	global_load_u8 v0, v[72:73], off offset:1420
	s_mov_b32 s27, exec_lo
	s_wait_loadcnt 0x0
	v_cmpx_ne_u16_e32 0, v0
	s_cbranch_execz .LBB179_394
; %bb.387:                              ;   in Loop: Header=BB179_10 Depth=1
	v_bfrev_b32_e32 v1, 1
	s_mov_b32 s28, exec_lo
	v_cmpx_ne_u16_e32 0x80, v0
	s_cbranch_execz .LBB179_393
; %bb.388:                              ;   in Loop: Header=BB179_10 Depth=1
	v_and_b32_e32 v66, 0xffff, v0
	v_mov_b32_e32 v1, 0x7f800001
	s_mov_b32 s29, exec_lo
	s_delay_alu instid0(VALU_DEP_2) | instskip(NEXT) | instid1(VALU_DEP_1)
	v_and_b32_e32 v68, 0x7f, v66
	v_cmpx_ne_u32_e32 0x7f, v68
	s_cbranch_execz .LBB179_392
; %bb.389:                              ;   in Loop: Header=BB179_10 Depth=1
	v_dual_lshrrev_b32 v1, 3, v68 :: v_dual_bitop2_b32 v66, 7, v66 bitop3:0x40
	s_mov_b32 s30, exec_lo
	v_cmpx_gt_u32_e32 8, v68
; %bb.390:                              ;   in Loop: Header=BB179_10 Depth=1
	s_delay_alu instid0(VALU_DEP_2) | instskip(NEXT) | instid1(VALU_DEP_1)
	v_clz_i32_u32_e32 v1, v66
	v_min_u32_e32 v1, 32, v1
	s_delay_alu instid0(VALU_DEP_1) | instskip(NEXT) | instid1(VALU_DEP_1)
	v_subrev_nc_u32_e32 v68, 28, v1
	v_lshlrev_b64_e32 v[68:69], v68, v[66:67]
	s_delay_alu instid0(VALU_DEP_1)
	v_dual_sub_nc_u32 v1, 29, v1 :: v_dual_bitop2_b32 v66, 7, v68 bitop3:0x40
; %bb.391:                              ;   in Loop: Header=BB179_10 Depth=1
	s_or_b32 exec_lo, exec_lo, s30
	s_delay_alu instid0(VALU_DEP_1) | instskip(NEXT) | instid1(VALU_DEP_2)
	v_dual_lshlrev_b32 v0, 24, v0 :: v_dual_lshlrev_b32 v66, 20, v66
	v_lshl_add_u32 v1, v1, 23, 0x3c000000
	s_delay_alu instid0(VALU_DEP_2) | instskip(NEXT) | instid1(VALU_DEP_1)
	v_and_b32_e32 v0, 0x80000000, v0
	v_or3_b32 v1, v66, v0, v1
.LBB179_392:                            ;   in Loop: Header=BB179_10 Depth=1
	s_or_b32 exec_lo, exec_lo, s29
.LBB179_393:                            ;   in Loop: Header=BB179_10 Depth=1
	s_delay_alu instid0(SALU_CYCLE_1)
	s_or_b32 exec_lo, exec_lo, s28
.LBB179_394:                            ;   in Loop: Header=BB179_10 Depth=1
	s_delay_alu instid0(SALU_CYCLE_1)
	s_or_b32 exec_lo, exec_lo, s27
	global_load_u8 v68, v[72:73], off offset:1536
	v_dual_mov_b32 v123, 0 :: v_dual_mov_b32 v0, 0
	s_mov_b32 s27, exec_lo
	s_wait_loadcnt 0x0
	v_cmpx_ne_u16_e32 0, v68
	s_cbranch_execz .LBB179_402
; %bb.395:                              ;   in Loop: Header=BB179_10 Depth=1
	v_bfrev_b32_e32 v0, 1
	s_mov_b32 s28, exec_lo
	v_cmpx_ne_u16_e32 0x80, v68
	s_cbranch_execz .LBB179_401
; %bb.396:                              ;   in Loop: Header=BB179_10 Depth=1
	v_and_b32_e32 v66, 0xffff, v68
	v_mov_b32_e32 v0, 0x7f800001
	s_mov_b32 s29, exec_lo
	s_delay_alu instid0(VALU_DEP_2) | instskip(NEXT) | instid1(VALU_DEP_1)
	v_and_b32_e32 v69, 0x7f, v66
	v_cmpx_ne_u32_e32 0x7f, v69
	s_cbranch_execz .LBB179_400
; %bb.397:                              ;   in Loop: Header=BB179_10 Depth=1
	v_dual_lshrrev_b32 v0, 3, v69 :: v_dual_bitop2_b32 v66, 7, v66 bitop3:0x40
	s_mov_b32 s30, exec_lo
	v_cmpx_gt_u32_e32 8, v69
; %bb.398:                              ;   in Loop: Header=BB179_10 Depth=1
	s_delay_alu instid0(VALU_DEP_2) | instskip(NEXT) | instid1(VALU_DEP_1)
	v_clz_i32_u32_e32 v0, v66
	v_min_u32_e32 v0, 32, v0
	s_delay_alu instid0(VALU_DEP_1) | instskip(NEXT) | instid1(VALU_DEP_1)
	v_subrev_nc_u32_e32 v69, 28, v0
	v_lshlrev_b64_e32 v[78:79], v69, v[66:67]
	s_delay_alu instid0(VALU_DEP_1)
	v_dual_sub_nc_u32 v0, 29, v0 :: v_dual_bitop2_b32 v66, 7, v78 bitop3:0x40
; %bb.399:                              ;   in Loop: Header=BB179_10 Depth=1
	s_or_b32 exec_lo, exec_lo, s30
	s_delay_alu instid0(VALU_DEP_1) | instskip(NEXT) | instid1(VALU_DEP_2)
	v_dual_lshlrev_b32 v68, 24, v68 :: v_dual_lshlrev_b32 v66, 20, v66
	v_lshl_add_u32 v0, v0, 23, 0x3c000000
	s_delay_alu instid0(VALU_DEP_2) | instskip(NEXT) | instid1(VALU_DEP_1)
	v_and_b32_e32 v68, 0x80000000, v68
	v_or3_b32 v0, v66, v68, v0
.LBB179_400:                            ;   in Loop: Header=BB179_10 Depth=1
	s_or_b32 exec_lo, exec_lo, s29
.LBB179_401:                            ;   in Loop: Header=BB179_10 Depth=1
	s_delay_alu instid0(SALU_CYCLE_1)
	s_or_b32 exec_lo, exec_lo, s28
.LBB179_402:                            ;   in Loop: Header=BB179_10 Depth=1
	s_delay_alu instid0(SALU_CYCLE_1)
	s_or_b32 exec_lo, exec_lo, s27
	global_load_u8 v68, v[72:73], off offset:1540
	s_mov_b32 s27, exec_lo
	s_wait_loadcnt 0x0
	v_cmpx_ne_u16_e32 0, v68
	s_cbranch_execz .LBB179_410
; %bb.403:                              ;   in Loop: Header=BB179_10 Depth=1
	v_bfrev_b32_e32 v123, 1
	s_mov_b32 s28, exec_lo
	v_cmpx_ne_u16_e32 0x80, v68
	s_cbranch_execz .LBB179_409
; %bb.404:                              ;   in Loop: Header=BB179_10 Depth=1
	v_and_b32_e32 v66, 0xffff, v68
	v_mov_b32_e32 v123, 0x7f800001
	s_mov_b32 s29, exec_lo
	s_delay_alu instid0(VALU_DEP_2) | instskip(NEXT) | instid1(VALU_DEP_1)
	v_and_b32_e32 v77, 0x7f, v66
	v_cmpx_ne_u32_e32 0x7f, v77
	s_cbranch_execz .LBB179_408
; %bb.405:                              ;   in Loop: Header=BB179_10 Depth=1
	v_dual_lshrrev_b32 v69, 3, v77 :: v_dual_bitop2_b32 v66, 7, v66 bitop3:0x40
	s_mov_b32 s30, exec_lo
	v_cmpx_gt_u32_e32 8, v77
; %bb.406:                              ;   in Loop: Header=BB179_10 Depth=1
	s_delay_alu instid0(VALU_DEP_2) | instskip(NEXT) | instid1(VALU_DEP_1)
	v_clz_i32_u32_e32 v69, v66
	v_min_u32_e32 v69, 32, v69
	s_delay_alu instid0(VALU_DEP_1) | instskip(NEXT) | instid1(VALU_DEP_1)
	v_subrev_nc_u32_e32 v75, 28, v69
	v_lshlrev_b64_e32 v[78:79], v75, v[66:67]
	s_delay_alu instid0(VALU_DEP_1)
	v_dual_sub_nc_u32 v69, 29, v69 :: v_dual_bitop2_b32 v66, 7, v78 bitop3:0x40
; %bb.407:                              ;   in Loop: Header=BB179_10 Depth=1
	s_or_b32 exec_lo, exec_lo, s30
	s_delay_alu instid0(VALU_DEP_1) | instskip(NEXT) | instid1(VALU_DEP_2)
	v_dual_lshlrev_b32 v68, 24, v68 :: v_dual_lshlrev_b32 v66, 20, v66
	v_lshl_add_u32 v69, v69, 23, 0x3c000000
	s_delay_alu instid0(VALU_DEP_2) | instskip(NEXT) | instid1(VALU_DEP_1)
	v_and_b32_e32 v68, 0x80000000, v68
	v_or3_b32 v123, v66, v68, v69
.LBB179_408:                            ;   in Loop: Header=BB179_10 Depth=1
	s_or_b32 exec_lo, exec_lo, s29
.LBB179_409:                            ;   in Loop: Header=BB179_10 Depth=1
	s_delay_alu instid0(SALU_CYCLE_1)
	s_or_b32 exec_lo, exec_lo, s28
.LBB179_410:                            ;   in Loop: Header=BB179_10 Depth=1
	s_delay_alu instid0(SALU_CYCLE_1)
	s_or_b32 exec_lo, exec_lo, s27
	global_load_u8 v68, v[72:73], off offset:1544
	v_dual_mov_b32 v77, 0 :: v_dual_mov_b32 v79, 0
	s_mov_b32 s27, exec_lo
	s_wait_loadcnt 0x0
	v_cmpx_ne_u16_e32 0, v68
	s_cbranch_execz .LBB179_418
; %bb.411:                              ;   in Loop: Header=BB179_10 Depth=1
	v_bfrev_b32_e32 v79, 1
	s_mov_b32 s28, exec_lo
	v_cmpx_ne_u16_e32 0x80, v68
	s_cbranch_execz .LBB179_417
; %bb.412:                              ;   in Loop: Header=BB179_10 Depth=1
	v_and_b32_e32 v66, 0xffff, v68
	v_mov_b32_e32 v79, 0x7f800001
	s_mov_b32 s29, exec_lo
	s_delay_alu instid0(VALU_DEP_2) | instskip(NEXT) | instid1(VALU_DEP_1)
	v_and_b32_e32 v78, 0x7f, v66
	v_cmpx_ne_u32_e32 0x7f, v78
	s_cbranch_execz .LBB179_416
; %bb.413:                              ;   in Loop: Header=BB179_10 Depth=1
	v_and_b32_e32 v66, 7, v66
	v_lshrrev_b32_e32 v69, 3, v78
	s_mov_b32 s30, exec_lo
	v_cmpx_gt_u32_e32 8, v78
; %bb.414:                              ;   in Loop: Header=BB179_10 Depth=1
	s_delay_alu instid0(VALU_DEP_3) | instskip(NEXT) | instid1(VALU_DEP_1)
	v_clz_i32_u32_e32 v69, v66
	v_min_u32_e32 v69, 32, v69
	s_delay_alu instid0(VALU_DEP_1) | instskip(NEXT) | instid1(VALU_DEP_1)
	v_subrev_nc_u32_e32 v78, 28, v69
	v_lshlrev_b64_e32 v[78:79], v78, v[66:67]
	s_delay_alu instid0(VALU_DEP_1)
	v_dual_sub_nc_u32 v69, 29, v69 :: v_dual_bitop2_b32 v66, 7, v78 bitop3:0x40
; %bb.415:                              ;   in Loop: Header=BB179_10 Depth=1
	s_or_b32 exec_lo, exec_lo, s30
	s_delay_alu instid0(VALU_DEP_1) | instskip(NEXT) | instid1(VALU_DEP_2)
	v_dual_lshlrev_b32 v68, 24, v68 :: v_dual_lshlrev_b32 v66, 20, v66
	v_lshl_add_u32 v69, v69, 23, 0x3c000000
	s_delay_alu instid0(VALU_DEP_2) | instskip(NEXT) | instid1(VALU_DEP_1)
	v_and_b32_e32 v68, 0x80000000, v68
	v_or3_b32 v79, v66, v68, v69
.LBB179_416:                            ;   in Loop: Header=BB179_10 Depth=1
	s_or_b32 exec_lo, exec_lo, s29
.LBB179_417:                            ;   in Loop: Header=BB179_10 Depth=1
	s_delay_alu instid0(SALU_CYCLE_1)
	s_or_b32 exec_lo, exec_lo, s28
.LBB179_418:                            ;   in Loop: Header=BB179_10 Depth=1
	s_delay_alu instid0(SALU_CYCLE_1)
	s_or_b32 exec_lo, exec_lo, s27
	global_load_u8 v68, v[72:73], off offset:1548
	s_mov_b32 s27, exec_lo
	s_wait_loadcnt 0x0
	v_cmpx_ne_u16_e32 0, v68
	s_cbranch_execz .LBB179_426
; %bb.419:                              ;   in Loop: Header=BB179_10 Depth=1
	v_bfrev_b32_e32 v77, 1
	s_mov_b32 s28, exec_lo
	v_cmpx_ne_u16_e32 0x80, v68
	s_cbranch_execz .LBB179_425
; %bb.420:                              ;   in Loop: Header=BB179_10 Depth=1
	v_and_b32_e32 v66, 0xffff, v68
	v_mov_b32_e32 v77, 0x7f800001
	s_mov_b32 s29, exec_lo
	s_delay_alu instid0(VALU_DEP_2) | instskip(NEXT) | instid1(VALU_DEP_1)
	v_and_b32_e32 v78, 0x7f, v66
	v_cmpx_ne_u32_e32 0x7f, v78
	s_cbranch_execz .LBB179_424
; %bb.421:                              ;   in Loop: Header=BB179_10 Depth=1
	v_and_b32_e32 v66, 7, v66
	v_lshrrev_b32_e32 v69, 3, v78
	s_mov_b32 s30, exec_lo
	v_cmpx_gt_u32_e32 8, v78
; %bb.422:                              ;   in Loop: Header=BB179_10 Depth=1
	s_delay_alu instid0(VALU_DEP_3) | instskip(NEXT) | instid1(VALU_DEP_1)
	v_clz_i32_u32_e32 v69, v66
	v_min_u32_e32 v69, 32, v69
	s_delay_alu instid0(VALU_DEP_1) | instskip(NEXT) | instid1(VALU_DEP_1)
	v_subrev_nc_u32_e32 v77, 28, v69
	v_lshlrev_b64_e32 v[84:85], v77, v[66:67]
	s_delay_alu instid0(VALU_DEP_1)
	v_dual_sub_nc_u32 v69, 29, v69 :: v_dual_bitop2_b32 v66, 7, v84 bitop3:0x40
; %bb.423:                              ;   in Loop: Header=BB179_10 Depth=1
	s_or_b32 exec_lo, exec_lo, s30
	s_delay_alu instid0(VALU_DEP_1) | instskip(NEXT) | instid1(VALU_DEP_2)
	v_dual_lshlrev_b32 v68, 24, v68 :: v_dual_lshlrev_b32 v66, 20, v66
	v_lshl_add_u32 v69, v69, 23, 0x3c000000
	s_delay_alu instid0(VALU_DEP_2) | instskip(NEXT) | instid1(VALU_DEP_1)
	v_and_b32_e32 v68, 0x80000000, v68
	v_or3_b32 v77, v66, v68, v69
.LBB179_424:                            ;   in Loop: Header=BB179_10 Depth=1
	s_or_b32 exec_lo, exec_lo, s29
.LBB179_425:                            ;   in Loop: Header=BB179_10 Depth=1
	s_delay_alu instid0(SALU_CYCLE_1)
	s_or_b32 exec_lo, exec_lo, s28
.LBB179_426:                            ;   in Loop: Header=BB179_10 Depth=1
	s_delay_alu instid0(SALU_CYCLE_1)
	s_or_b32 exec_lo, exec_lo, s27
	global_load_u8 v78, v[72:73], off offset:1664
	v_dual_mov_b32 v68, 0 :: v_dual_mov_b32 v69, 0
	s_mov_b32 s27, exec_lo
	s_wait_loadcnt 0x0
	v_cmpx_ne_u16_e32 0, v78
	s_cbranch_execz .LBB179_434
; %bb.427:                              ;   in Loop: Header=BB179_10 Depth=1
	v_bfrev_b32_e32 v69, 1
	s_mov_b32 s28, exec_lo
	v_cmpx_ne_u16_e32 0x80, v78
	s_cbranch_execz .LBB179_433
; %bb.428:                              ;   in Loop: Header=BB179_10 Depth=1
	v_and_b32_e32 v66, 0xffff, v78
	v_mov_b32_e32 v69, 0x7f800001
	s_mov_b32 s29, exec_lo
	s_delay_alu instid0(VALU_DEP_2) | instskip(NEXT) | instid1(VALU_DEP_1)
	v_and_b32_e32 v83, 0x7f, v66
	v_cmpx_ne_u32_e32 0x7f, v83
	s_cbranch_execz .LBB179_432
; %bb.429:                              ;   in Loop: Header=BB179_10 Depth=1
	v_dual_lshrrev_b32 v69, 3, v83 :: v_dual_bitop2_b32 v66, 7, v66 bitop3:0x40
	s_mov_b32 s30, exec_lo
	v_cmpx_gt_u32_e32 8, v83
; %bb.430:                              ;   in Loop: Header=BB179_10 Depth=1
	s_delay_alu instid0(VALU_DEP_2) | instskip(NEXT) | instid1(VALU_DEP_1)
	v_clz_i32_u32_e32 v69, v66
	v_min_u32_e32 v69, 32, v69
	s_delay_alu instid0(VALU_DEP_1) | instskip(NEXT) | instid1(VALU_DEP_1)
	v_subrev_nc_u32_e32 v83, 28, v69
	v_lshlrev_b64_e32 v[84:85], v83, v[66:67]
	s_delay_alu instid0(VALU_DEP_1)
	v_dual_sub_nc_u32 v69, 29, v69 :: v_dual_bitop2_b32 v66, 7, v84 bitop3:0x40
; %bb.431:                              ;   in Loop: Header=BB179_10 Depth=1
	s_or_b32 exec_lo, exec_lo, s30
	v_lshlrev_b32_e32 v78, 24, v78
	s_delay_alu instid0(VALU_DEP_2) | instskip(NEXT) | instid1(VALU_DEP_3)
	v_lshlrev_b32_e32 v66, 20, v66
	v_lshl_add_u32 v69, v69, 23, 0x3c000000
	s_delay_alu instid0(VALU_DEP_3) | instskip(NEXT) | instid1(VALU_DEP_1)
	v_and_b32_e32 v78, 0x80000000, v78
	v_or3_b32 v69, v66, v78, v69
.LBB179_432:                            ;   in Loop: Header=BB179_10 Depth=1
	s_or_b32 exec_lo, exec_lo, s29
.LBB179_433:                            ;   in Loop: Header=BB179_10 Depth=1
	s_delay_alu instid0(SALU_CYCLE_1)
	s_or_b32 exec_lo, exec_lo, s28
.LBB179_434:                            ;   in Loop: Header=BB179_10 Depth=1
	s_delay_alu instid0(SALU_CYCLE_1)
	s_or_b32 exec_lo, exec_lo, s27
	global_load_u8 v78, v[72:73], off offset:1668
	s_mov_b32 s27, exec_lo
	s_wait_loadcnt 0x0
	v_cmpx_ne_u16_e32 0, v78
	s_cbranch_execz .LBB179_442
; %bb.435:                              ;   in Loop: Header=BB179_10 Depth=1
	v_bfrev_b32_e32 v68, 1
	s_mov_b32 s28, exec_lo
	v_cmpx_ne_u16_e32 0x80, v78
	s_cbranch_execz .LBB179_441
; %bb.436:                              ;   in Loop: Header=BB179_10 Depth=1
	v_and_b32_e32 v66, 0xffff, v78
	v_mov_b32_e32 v68, 0x7f800001
	s_mov_b32 s29, exec_lo
	s_delay_alu instid0(VALU_DEP_2) | instskip(NEXT) | instid1(VALU_DEP_1)
	v_and_b32_e32 v83, 0x7f, v66
	v_cmpx_ne_u32_e32 0x7f, v83
	s_cbranch_execz .LBB179_440
; %bb.437:                              ;   in Loop: Header=BB179_10 Depth=1
	v_dual_lshrrev_b32 v68, 3, v83 :: v_dual_bitop2_b32 v66, 7, v66 bitop3:0x40
	s_mov_b32 s30, exec_lo
	v_cmpx_gt_u32_e32 8, v83
; %bb.438:                              ;   in Loop: Header=BB179_10 Depth=1
	s_delay_alu instid0(VALU_DEP_2) | instskip(NEXT) | instid1(VALU_DEP_1)
	v_clz_i32_u32_e32 v68, v66
	v_min_u32_e32 v68, 32, v68
	s_delay_alu instid0(VALU_DEP_1) | instskip(SKIP_1) | instid1(VALU_DEP_2)
	v_subrev_nc_u32_e32 v83, 28, v68
	v_sub_nc_u32_e32 v68, 29, v68
	v_lshlrev_b64_e32 v[84:85], v83, v[66:67]
	s_delay_alu instid0(VALU_DEP_1)
	v_and_b32_e32 v66, 7, v84
; %bb.439:                              ;   in Loop: Header=BB179_10 Depth=1
	s_or_b32 exec_lo, exec_lo, s30
	v_lshlrev_b32_e32 v78, 24, v78
	s_delay_alu instid0(VALU_DEP_2) | instskip(SKIP_1) | instid1(VALU_DEP_3)
	v_lshlrev_b32_e32 v66, 20, v66
	v_lshl_add_u32 v68, v68, 23, 0x3c000000
	v_and_b32_e32 v78, 0x80000000, v78
	s_delay_alu instid0(VALU_DEP_1)
	v_or3_b32 v68, v66, v78, v68
.LBB179_440:                            ;   in Loop: Header=BB179_10 Depth=1
	s_or_b32 exec_lo, exec_lo, s29
.LBB179_441:                            ;   in Loop: Header=BB179_10 Depth=1
	s_delay_alu instid0(SALU_CYCLE_1)
	s_or_b32 exec_lo, exec_lo, s28
.LBB179_442:                            ;   in Loop: Header=BB179_10 Depth=1
	s_delay_alu instid0(SALU_CYCLE_1)
	s_or_b32 exec_lo, exec_lo, s27
	global_load_u8 v84, v[72:73], off offset:1672
	v_dual_mov_b32 v78, 0 :: v_dual_mov_b32 v83, 0
	s_mov_b32 s27, exec_lo
	s_wait_loadcnt 0x0
	v_cmpx_ne_u16_e32 0, v84
	s_cbranch_execz .LBB179_450
; %bb.443:                              ;   in Loop: Header=BB179_10 Depth=1
	v_bfrev_b32_e32 v83, 1
	s_mov_b32 s28, exec_lo
	v_cmpx_ne_u16_e32 0x80, v84
	s_cbranch_execz .LBB179_449
; %bb.444:                              ;   in Loop: Header=BB179_10 Depth=1
	v_and_b32_e32 v66, 0xffff, v84
	v_mov_b32_e32 v83, 0x7f800001
	s_mov_b32 s29, exec_lo
	s_delay_alu instid0(VALU_DEP_2) | instskip(NEXT) | instid1(VALU_DEP_1)
	v_and_b32_e32 v85, 0x7f, v66
	v_cmpx_ne_u32_e32 0x7f, v85
	s_cbranch_execz .LBB179_448
; %bb.445:                              ;   in Loop: Header=BB179_10 Depth=1
	v_dual_lshrrev_b32 v83, 3, v85 :: v_dual_bitop2_b32 v66, 7, v66 bitop3:0x40
	s_mov_b32 s30, exec_lo
	v_cmpx_gt_u32_e32 8, v85
; %bb.446:                              ;   in Loop: Header=BB179_10 Depth=1
	s_delay_alu instid0(VALU_DEP_2) | instskip(NEXT) | instid1(VALU_DEP_1)
	v_clz_i32_u32_e32 v83, v66
	v_min_u32_e32 v83, 32, v83
	s_delay_alu instid0(VALU_DEP_1) | instskip(NEXT) | instid1(VALU_DEP_1)
	v_subrev_nc_u32_e32 v85, 28, v83
	v_lshlrev_b64_e32 v[86:87], v85, v[66:67]
	s_delay_alu instid0(VALU_DEP_1)
	v_dual_sub_nc_u32 v83, 29, v83 :: v_dual_bitop2_b32 v66, 7, v86 bitop3:0x40
; %bb.447:                              ;   in Loop: Header=BB179_10 Depth=1
	s_or_b32 exec_lo, exec_lo, s30
	s_delay_alu instid0(VALU_DEP_1) | instskip(NEXT) | instid1(VALU_DEP_2)
	v_dual_lshlrev_b32 v84, 24, v84 :: v_dual_lshlrev_b32 v66, 20, v66
	v_lshl_add_u32 v83, v83, 23, 0x3c000000
	s_delay_alu instid0(VALU_DEP_2) | instskip(NEXT) | instid1(VALU_DEP_1)
	v_and_b32_e32 v84, 0x80000000, v84
	v_or3_b32 v83, v66, v84, v83
.LBB179_448:                            ;   in Loop: Header=BB179_10 Depth=1
	s_or_b32 exec_lo, exec_lo, s29
.LBB179_449:                            ;   in Loop: Header=BB179_10 Depth=1
	s_delay_alu instid0(SALU_CYCLE_1)
	s_or_b32 exec_lo, exec_lo, s28
.LBB179_450:                            ;   in Loop: Header=BB179_10 Depth=1
	s_delay_alu instid0(SALU_CYCLE_1)
	s_or_b32 exec_lo, exec_lo, s27
	global_load_u8 v84, v[72:73], off offset:1676
	s_mov_b32 s27, exec_lo
	s_wait_loadcnt 0x0
	v_cmpx_ne_u16_e32 0, v84
	s_cbranch_execz .LBB179_458
; %bb.451:                              ;   in Loop: Header=BB179_10 Depth=1
	v_bfrev_b32_e32 v78, 1
	s_mov_b32 s28, exec_lo
	v_cmpx_ne_u16_e32 0x80, v84
	s_cbranch_execz .LBB179_457
; %bb.452:                              ;   in Loop: Header=BB179_10 Depth=1
	v_and_b32_e32 v66, 0xffff, v84
	v_mov_b32_e32 v78, 0x7f800001
	s_mov_b32 s29, exec_lo
	s_delay_alu instid0(VALU_DEP_2) | instskip(NEXT) | instid1(VALU_DEP_1)
	v_and_b32_e32 v85, 0x7f, v66
	v_cmpx_ne_u32_e32 0x7f, v85
	s_cbranch_execz .LBB179_456
; %bb.453:                              ;   in Loop: Header=BB179_10 Depth=1
	v_dual_lshrrev_b32 v78, 3, v85 :: v_dual_bitop2_b32 v66, 7, v66 bitop3:0x40
	s_mov_b32 s30, exec_lo
	v_cmpx_gt_u32_e32 8, v85
; %bb.454:                              ;   in Loop: Header=BB179_10 Depth=1
	s_delay_alu instid0(VALU_DEP_2) | instskip(NEXT) | instid1(VALU_DEP_1)
	v_clz_i32_u32_e32 v78, v66
	v_min_u32_e32 v78, 32, v78
	s_delay_alu instid0(VALU_DEP_1) | instskip(SKIP_1) | instid1(VALU_DEP_2)
	v_subrev_nc_u32_e32 v85, 28, v78
	v_sub_nc_u32_e32 v78, 29, v78
	v_lshlrev_b64_e32 v[86:87], v85, v[66:67]
	s_delay_alu instid0(VALU_DEP_1)
	v_and_b32_e32 v66, 7, v86
; %bb.455:                              ;   in Loop: Header=BB179_10 Depth=1
	s_or_b32 exec_lo, exec_lo, s30
	s_delay_alu instid0(VALU_DEP_1) | instskip(SKIP_1) | instid1(VALU_DEP_2)
	v_dual_lshlrev_b32 v84, 24, v84 :: v_dual_lshlrev_b32 v66, 20, v66
	v_lshl_add_u32 v78, v78, 23, 0x3c000000
	v_and_b32_e32 v84, 0x80000000, v84
	s_delay_alu instid0(VALU_DEP_1)
	v_or3_b32 v78, v66, v84, v78
.LBB179_456:                            ;   in Loop: Header=BB179_10 Depth=1
	s_or_b32 exec_lo, exec_lo, s29
.LBB179_457:                            ;   in Loop: Header=BB179_10 Depth=1
	s_delay_alu instid0(SALU_CYCLE_1)
	s_or_b32 exec_lo, exec_lo, s28
.LBB179_458:                            ;   in Loop: Header=BB179_10 Depth=1
	s_delay_alu instid0(SALU_CYCLE_1)
	s_or_b32 exec_lo, exec_lo, s27
	global_load_u8 v86, v[72:73], off offset:1792
	v_dual_mov_b32 v84, 0 :: v_dual_mov_b32 v85, 0
	s_mov_b32 s27, exec_lo
	s_wait_loadcnt 0x0
	v_cmpx_ne_u16_e32 0, v86
	s_cbranch_execz .LBB179_466
; %bb.459:                              ;   in Loop: Header=BB179_10 Depth=1
	v_bfrev_b32_e32 v85, 1
	s_mov_b32 s28, exec_lo
	v_cmpx_ne_u16_e32 0x80, v86
	s_cbranch_execz .LBB179_465
; %bb.460:                              ;   in Loop: Header=BB179_10 Depth=1
	v_and_b32_e32 v66, 0xffff, v86
	v_mov_b32_e32 v85, 0x7f800001
	s_mov_b32 s29, exec_lo
	s_delay_alu instid0(VALU_DEP_2) | instskip(NEXT) | instid1(VALU_DEP_1)
	v_and_b32_e32 v87, 0x7f, v66
	v_cmpx_ne_u32_e32 0x7f, v87
	s_cbranch_execz .LBB179_464
; %bb.461:                              ;   in Loop: Header=BB179_10 Depth=1
	v_dual_lshrrev_b32 v85, 3, v87 :: v_dual_bitop2_b32 v66, 7, v66 bitop3:0x40
	s_mov_b32 s30, exec_lo
	v_cmpx_gt_u32_e32 8, v87
; %bb.462:                              ;   in Loop: Header=BB179_10 Depth=1
	s_delay_alu instid0(VALU_DEP_2) | instskip(NEXT) | instid1(VALU_DEP_1)
	v_clz_i32_u32_e32 v85, v66
	v_min_u32_e32 v85, 32, v85
	s_delay_alu instid0(VALU_DEP_1) | instskip(NEXT) | instid1(VALU_DEP_1)
	v_subrev_nc_u32_e32 v87, 28, v85
	v_lshlrev_b64_e32 v[88:89], v87, v[66:67]
	s_delay_alu instid0(VALU_DEP_1)
	v_dual_sub_nc_u32 v85, 29, v85 :: v_dual_bitop2_b32 v66, 7, v88 bitop3:0x40
; %bb.463:                              ;   in Loop: Header=BB179_10 Depth=1
	s_or_b32 exec_lo, exec_lo, s30
	v_lshlrev_b32_e32 v86, 24, v86
	s_delay_alu instid0(VALU_DEP_2) | instskip(NEXT) | instid1(VALU_DEP_3)
	v_lshlrev_b32_e32 v66, 20, v66
	v_lshl_add_u32 v85, v85, 23, 0x3c000000
	s_delay_alu instid0(VALU_DEP_3) | instskip(NEXT) | instid1(VALU_DEP_1)
	v_and_b32_e32 v86, 0x80000000, v86
	v_or3_b32 v85, v66, v86, v85
.LBB179_464:                            ;   in Loop: Header=BB179_10 Depth=1
	s_or_b32 exec_lo, exec_lo, s29
.LBB179_465:                            ;   in Loop: Header=BB179_10 Depth=1
	s_delay_alu instid0(SALU_CYCLE_1)
	s_or_b32 exec_lo, exec_lo, s28
.LBB179_466:                            ;   in Loop: Header=BB179_10 Depth=1
	s_delay_alu instid0(SALU_CYCLE_1)
	s_or_b32 exec_lo, exec_lo, s27
	global_load_u8 v86, v[72:73], off offset:1796
	s_mov_b32 s27, exec_lo
	s_wait_loadcnt 0x0
	v_cmpx_ne_u16_e32 0, v86
	s_cbranch_execz .LBB179_474
; %bb.467:                              ;   in Loop: Header=BB179_10 Depth=1
	v_bfrev_b32_e32 v84, 1
	s_mov_b32 s28, exec_lo
	v_cmpx_ne_u16_e32 0x80, v86
	s_cbranch_execz .LBB179_473
; %bb.468:                              ;   in Loop: Header=BB179_10 Depth=1
	v_and_b32_e32 v66, 0xffff, v86
	v_mov_b32_e32 v84, 0x7f800001
	s_mov_b32 s29, exec_lo
	s_delay_alu instid0(VALU_DEP_2) | instskip(NEXT) | instid1(VALU_DEP_1)
	v_and_b32_e32 v87, 0x7f, v66
	v_cmpx_ne_u32_e32 0x7f, v87
	s_cbranch_execz .LBB179_472
; %bb.469:                              ;   in Loop: Header=BB179_10 Depth=1
	v_dual_lshrrev_b32 v84, 3, v87 :: v_dual_bitop2_b32 v66, 7, v66 bitop3:0x40
	s_mov_b32 s30, exec_lo
	v_cmpx_gt_u32_e32 8, v87
; %bb.470:                              ;   in Loop: Header=BB179_10 Depth=1
	s_delay_alu instid0(VALU_DEP_2) | instskip(NEXT) | instid1(VALU_DEP_1)
	v_clz_i32_u32_e32 v84, v66
	v_min_u32_e32 v84, 32, v84
	s_delay_alu instid0(VALU_DEP_1) | instskip(SKIP_1) | instid1(VALU_DEP_2)
	v_subrev_nc_u32_e32 v87, 28, v84
	v_sub_nc_u32_e32 v84, 29, v84
	v_lshlrev_b64_e32 v[88:89], v87, v[66:67]
	s_delay_alu instid0(VALU_DEP_1)
	v_and_b32_e32 v66, 7, v88
; %bb.471:                              ;   in Loop: Header=BB179_10 Depth=1
	s_or_b32 exec_lo, exec_lo, s30
	v_lshlrev_b32_e32 v86, 24, v86
	s_delay_alu instid0(VALU_DEP_2) | instskip(SKIP_1) | instid1(VALU_DEP_3)
	v_lshlrev_b32_e32 v66, 20, v66
	v_lshl_add_u32 v84, v84, 23, 0x3c000000
	v_and_b32_e32 v86, 0x80000000, v86
	s_delay_alu instid0(VALU_DEP_1)
	v_or3_b32 v84, v66, v86, v84
.LBB179_472:                            ;   in Loop: Header=BB179_10 Depth=1
	s_or_b32 exec_lo, exec_lo, s29
.LBB179_473:                            ;   in Loop: Header=BB179_10 Depth=1
	s_delay_alu instid0(SALU_CYCLE_1)
	s_or_b32 exec_lo, exec_lo, s28
.LBB179_474:                            ;   in Loop: Header=BB179_10 Depth=1
	s_delay_alu instid0(SALU_CYCLE_1)
	s_or_b32 exec_lo, exec_lo, s27
	global_load_u8 v88, v[72:73], off offset:1800
	v_dual_mov_b32 v86, 0 :: v_dual_mov_b32 v87, 0
	s_mov_b32 s27, exec_lo
	s_wait_loadcnt 0x0
	v_cmpx_ne_u16_e32 0, v88
	s_cbranch_execz .LBB179_482
; %bb.475:                              ;   in Loop: Header=BB179_10 Depth=1
	v_bfrev_b32_e32 v87, 1
	s_mov_b32 s28, exec_lo
	v_cmpx_ne_u16_e32 0x80, v88
	s_cbranch_execz .LBB179_481
; %bb.476:                              ;   in Loop: Header=BB179_10 Depth=1
	v_and_b32_e32 v66, 0xffff, v88
	v_mov_b32_e32 v87, 0x7f800001
	s_mov_b32 s29, exec_lo
	s_delay_alu instid0(VALU_DEP_2) | instskip(NEXT) | instid1(VALU_DEP_1)
	v_and_b32_e32 v89, 0x7f, v66
	v_cmpx_ne_u32_e32 0x7f, v89
	s_cbranch_execz .LBB179_480
; %bb.477:                              ;   in Loop: Header=BB179_10 Depth=1
	v_dual_lshrrev_b32 v87, 3, v89 :: v_dual_bitop2_b32 v66, 7, v66 bitop3:0x40
	s_mov_b32 s30, exec_lo
	v_cmpx_gt_u32_e32 8, v89
; %bb.478:                              ;   in Loop: Header=BB179_10 Depth=1
	s_delay_alu instid0(VALU_DEP_2) | instskip(NEXT) | instid1(VALU_DEP_1)
	v_clz_i32_u32_e32 v87, v66
	v_min_u32_e32 v87, 32, v87
	s_delay_alu instid0(VALU_DEP_1) | instskip(NEXT) | instid1(VALU_DEP_1)
	v_subrev_nc_u32_e32 v89, 28, v87
	v_lshlrev_b64_e32 v[90:91], v89, v[66:67]
	s_delay_alu instid0(VALU_DEP_1)
	v_dual_sub_nc_u32 v87, 29, v87 :: v_dual_bitop2_b32 v66, 7, v90 bitop3:0x40
; %bb.479:                              ;   in Loop: Header=BB179_10 Depth=1
	s_or_b32 exec_lo, exec_lo, s30
	s_delay_alu instid0(VALU_DEP_1) | instskip(NEXT) | instid1(VALU_DEP_2)
	v_dual_lshlrev_b32 v88, 24, v88 :: v_dual_lshlrev_b32 v66, 20, v66
	v_lshl_add_u32 v87, v87, 23, 0x3c000000
	s_delay_alu instid0(VALU_DEP_2) | instskip(NEXT) | instid1(VALU_DEP_1)
	v_and_b32_e32 v88, 0x80000000, v88
	v_or3_b32 v87, v66, v88, v87
.LBB179_480:                            ;   in Loop: Header=BB179_10 Depth=1
	s_or_b32 exec_lo, exec_lo, s29
.LBB179_481:                            ;   in Loop: Header=BB179_10 Depth=1
	s_delay_alu instid0(SALU_CYCLE_1)
	s_or_b32 exec_lo, exec_lo, s28
.LBB179_482:                            ;   in Loop: Header=BB179_10 Depth=1
	s_delay_alu instid0(SALU_CYCLE_1)
	s_or_b32 exec_lo, exec_lo, s27
	global_load_u8 v88, v[72:73], off offset:1804
	s_mov_b32 s27, exec_lo
	s_wait_loadcnt 0x0
	v_cmpx_ne_u16_e32 0, v88
	s_cbranch_execz .LBB179_490
; %bb.483:                              ;   in Loop: Header=BB179_10 Depth=1
	v_bfrev_b32_e32 v86, 1
	s_mov_b32 s28, exec_lo
	v_cmpx_ne_u16_e32 0x80, v88
	s_cbranch_execz .LBB179_489
; %bb.484:                              ;   in Loop: Header=BB179_10 Depth=1
	v_and_b32_e32 v66, 0xffff, v88
	v_mov_b32_e32 v86, 0x7f800001
	s_mov_b32 s29, exec_lo
	s_delay_alu instid0(VALU_DEP_2) | instskip(NEXT) | instid1(VALU_DEP_1)
	v_and_b32_e32 v89, 0x7f, v66
	v_cmpx_ne_u32_e32 0x7f, v89
	s_cbranch_execz .LBB179_488
; %bb.485:                              ;   in Loop: Header=BB179_10 Depth=1
	v_dual_lshrrev_b32 v86, 3, v89 :: v_dual_bitop2_b32 v66, 7, v66 bitop3:0x40
	s_mov_b32 s30, exec_lo
	v_cmpx_gt_u32_e32 8, v89
; %bb.486:                              ;   in Loop: Header=BB179_10 Depth=1
	s_delay_alu instid0(VALU_DEP_2) | instskip(NEXT) | instid1(VALU_DEP_1)
	v_clz_i32_u32_e32 v86, v66
	v_min_u32_e32 v86, 32, v86
	s_delay_alu instid0(VALU_DEP_1) | instskip(SKIP_1) | instid1(VALU_DEP_2)
	v_subrev_nc_u32_e32 v89, 28, v86
	v_sub_nc_u32_e32 v86, 29, v86
	v_lshlrev_b64_e32 v[90:91], v89, v[66:67]
	s_delay_alu instid0(VALU_DEP_1)
	v_and_b32_e32 v66, 7, v90
; %bb.487:                              ;   in Loop: Header=BB179_10 Depth=1
	s_or_b32 exec_lo, exec_lo, s30
	s_delay_alu instid0(VALU_DEP_1) | instskip(SKIP_1) | instid1(VALU_DEP_2)
	v_dual_lshlrev_b32 v88, 24, v88 :: v_dual_lshlrev_b32 v66, 20, v66
	v_lshl_add_u32 v86, v86, 23, 0x3c000000
	v_and_b32_e32 v88, 0x80000000, v88
	s_delay_alu instid0(VALU_DEP_1)
	v_or3_b32 v86, v66, v88, v86
.LBB179_488:                            ;   in Loop: Header=BB179_10 Depth=1
	s_or_b32 exec_lo, exec_lo, s29
.LBB179_489:                            ;   in Loop: Header=BB179_10 Depth=1
	s_delay_alu instid0(SALU_CYCLE_1)
	s_or_b32 exec_lo, exec_lo, s28
.LBB179_490:                            ;   in Loop: Header=BB179_10 Depth=1
	s_delay_alu instid0(SALU_CYCLE_1)
	s_or_b32 exec_lo, exec_lo, s27
	global_load_u8 v90, v[72:73], off offset:1920
	v_dual_mov_b32 v88, 0 :: v_dual_mov_b32 v89, 0
	s_mov_b32 s27, exec_lo
	s_wait_loadcnt 0x0
	v_cmpx_ne_u16_e32 0, v90
	s_cbranch_execz .LBB179_498
; %bb.491:                              ;   in Loop: Header=BB179_10 Depth=1
	v_bfrev_b32_e32 v89, 1
	s_mov_b32 s28, exec_lo
	v_cmpx_ne_u16_e32 0x80, v90
	s_cbranch_execz .LBB179_497
; %bb.492:                              ;   in Loop: Header=BB179_10 Depth=1
	v_and_b32_e32 v66, 0xffff, v90
	v_mov_b32_e32 v89, 0x7f800001
	s_mov_b32 s29, exec_lo
	s_delay_alu instid0(VALU_DEP_2) | instskip(NEXT) | instid1(VALU_DEP_1)
	v_and_b32_e32 v91, 0x7f, v66
	v_cmpx_ne_u32_e32 0x7f, v91
	s_cbranch_execz .LBB179_496
; %bb.493:                              ;   in Loop: Header=BB179_10 Depth=1
	v_dual_lshrrev_b32 v89, 3, v91 :: v_dual_bitop2_b32 v66, 7, v66 bitop3:0x40
	s_mov_b32 s30, exec_lo
	v_cmpx_gt_u32_e32 8, v91
	s_cbranch_execz .LBB179_495
; %bb.494:                              ;   in Loop: Header=BB179_10 Depth=1
	s_delay_alu instid0(VALU_DEP_2) | instskip(SKIP_2) | instid1(VALU_DEP_3)
	v_clz_i32_u32_e32 v89, v66
	v_dual_mov_b32 v75, v76 :: v_dual_mov_b32 v76, v1
	v_mov_b32_e32 v1, v93
	v_min_u32_e32 v89, 32, v89
	s_delay_alu instid0(VALU_DEP_1) | instskip(NEXT) | instid1(VALU_DEP_1)
	v_subrev_nc_u32_e32 v91, 28, v89
	v_lshlrev_b64_e32 v[92:93], v91, v[66:67]
	s_delay_alu instid0(VALU_DEP_4) | instskip(SKIP_1) | instid1(VALU_DEP_3)
	v_dual_mov_b32 v93, v1 :: v_dual_mov_b32 v1, v76
	v_dual_mov_b32 v76, v75 :: v_dual_sub_nc_u32 v89, 29, v89
	v_and_b32_e32 v66, 7, v92
.LBB179_495:                            ;   in Loop: Header=BB179_10 Depth=1
	s_or_b32 exec_lo, exec_lo, s30
	v_lshlrev_b32_e32 v90, 24, v90
	s_delay_alu instid0(VALU_DEP_2) | instskip(SKIP_1) | instid1(VALU_DEP_3)
	v_lshlrev_b32_e32 v66, 20, v66
	v_lshl_add_u32 v89, v89, 23, 0x3c000000
	v_and_b32_e32 v90, 0x80000000, v90
	s_delay_alu instid0(VALU_DEP_1)
	v_or3_b32 v89, v66, v90, v89
.LBB179_496:                            ;   in Loop: Header=BB179_10 Depth=1
	s_or_b32 exec_lo, exec_lo, s29
.LBB179_497:                            ;   in Loop: Header=BB179_10 Depth=1
	s_delay_alu instid0(SALU_CYCLE_1)
	s_or_b32 exec_lo, exec_lo, s28
.LBB179_498:                            ;   in Loop: Header=BB179_10 Depth=1
	s_delay_alu instid0(SALU_CYCLE_1)
	s_or_b32 exec_lo, exec_lo, s27
	global_load_u8 v90, v[72:73], off offset:1924
	s_mov_b32 s27, exec_lo
	s_wait_loadcnt 0x0
	v_cmpx_ne_u16_e32 0, v90
	s_cbranch_execz .LBB179_506
; %bb.499:                              ;   in Loop: Header=BB179_10 Depth=1
	v_bfrev_b32_e32 v88, 1
	s_mov_b32 s28, exec_lo
	v_cmpx_ne_u16_e32 0x80, v90
	s_cbranch_execz .LBB179_505
; %bb.500:                              ;   in Loop: Header=BB179_10 Depth=1
	v_and_b32_e32 v66, 0xffff, v90
	v_mov_b32_e32 v88, 0x7f800001
	s_mov_b32 s29, exec_lo
	s_delay_alu instid0(VALU_DEP_2) | instskip(NEXT) | instid1(VALU_DEP_1)
	v_and_b32_e32 v91, 0x7f, v66
	v_cmpx_ne_u32_e32 0x7f, v91
	s_cbranch_execz .LBB179_504
; %bb.501:                              ;   in Loop: Header=BB179_10 Depth=1
	v_dual_lshrrev_b32 v88, 3, v91 :: v_dual_bitop2_b32 v66, 7, v66 bitop3:0x40
	s_mov_b32 s30, exec_lo
	v_cmpx_gt_u32_e32 8, v91
	s_cbranch_execz .LBB179_503
; %bb.502:                              ;   in Loop: Header=BB179_10 Depth=1
	s_delay_alu instid0(VALU_DEP_2) | instskip(SKIP_2) | instid1(VALU_DEP_3)
	v_clz_i32_u32_e32 v88, v66
	v_dual_mov_b32 v75, v76 :: v_dual_mov_b32 v76, v1
	v_mov_b32_e32 v1, v93
	v_min_u32_e32 v88, 32, v88
	s_delay_alu instid0(VALU_DEP_1) | instskip(SKIP_1) | instid1(VALU_DEP_2)
	v_subrev_nc_u32_e32 v91, 28, v88
	v_sub_nc_u32_e32 v88, 29, v88
	v_lshlrev_b64_e32 v[92:93], v91, v[66:67]
	v_dual_mov_b32 v93, v1 :: v_dual_mov_b32 v1, v76
	s_delay_alu instid0(VALU_DEP_2)
	v_dual_mov_b32 v76, v75 :: v_dual_bitop2_b32 v66, 7, v92 bitop3:0x40
.LBB179_503:                            ;   in Loop: Header=BB179_10 Depth=1
	s_or_b32 exec_lo, exec_lo, s30
	v_lshlrev_b32_e32 v90, 24, v90
	s_delay_alu instid0(VALU_DEP_2) | instskip(SKIP_1) | instid1(VALU_DEP_3)
	v_lshlrev_b32_e32 v66, 20, v66
	v_lshl_add_u32 v88, v88, 23, 0x3c000000
	v_and_b32_e32 v90, 0x80000000, v90
	s_delay_alu instid0(VALU_DEP_1)
	v_or3_b32 v88, v66, v90, v88
.LBB179_504:                            ;   in Loop: Header=BB179_10 Depth=1
	s_or_b32 exec_lo, exec_lo, s29
.LBB179_505:                            ;   in Loop: Header=BB179_10 Depth=1
	s_delay_alu instid0(SALU_CYCLE_1)
	s_or_b32 exec_lo, exec_lo, s28
.LBB179_506:                            ;   in Loop: Header=BB179_10 Depth=1
	s_delay_alu instid0(SALU_CYCLE_1)
	s_or_b32 exec_lo, exec_lo, s27
	global_load_u8 v92, v[72:73], off offset:1928
	v_dual_mov_b32 v90, 0 :: v_dual_mov_b32 v91, 0
	s_mov_b32 s27, exec_lo
	s_wait_loadcnt 0x0
	v_cmpx_ne_u16_e32 0, v92
	s_cbranch_execz .LBB179_514
; %bb.507:                              ;   in Loop: Header=BB179_10 Depth=1
	v_bfrev_b32_e32 v91, 1
	s_mov_b32 s28, exec_lo
	v_cmpx_ne_u16_e32 0x80, v92
	s_cbranch_execz .LBB179_513
; %bb.508:                              ;   in Loop: Header=BB179_10 Depth=1
	v_and_b32_e32 v66, 0xffff, v92
	v_mov_b32_e32 v127, v93
	v_mov_b32_e32 v91, 0x7f800001
	s_mov_b32 s29, exec_lo
	s_delay_alu instid0(VALU_DEP_3) | instskip(NEXT) | instid1(VALU_DEP_1)
	v_and_b32_e32 v93, 0x7f, v66
	v_cmpx_ne_u32_e32 0x7f, v93
	s_cbranch_execz .LBB179_512
; %bb.509:                              ;   in Loop: Header=BB179_10 Depth=1
	v_dual_lshrrev_b32 v91, 3, v93 :: v_dual_bitop2_b32 v66, 7, v66 bitop3:0x40
	s_mov_b32 s30, exec_lo
	v_cmpx_gt_u32_e32 8, v93
	s_cbranch_execz .LBB179_511
; %bb.510:                              ;   in Loop: Header=BB179_10 Depth=1
	s_delay_alu instid0(VALU_DEP_2)
	v_clz_i32_u32_e32 v91, v66
	s_clause 0x1
	scratch_store_b32 off, v62, off offset:76
	scratch_store_b32 off, v70, off offset:80
	s_wait_xcnt 0x0
	v_dual_mov_b32 v70, v80 :: v_dual_mov_b32 v80, v121
	v_dual_mov_b32 v121, v119 :: v_dual_mov_b32 v119, v81
	v_min_u32_e32 v91, 32, v91
	v_dual_mov_b32 v81, v117 :: v_dual_mov_b32 v117, v115
	v_dual_mov_b32 v115, v113 :: v_dual_mov_b32 v113, v111
	;; [unrolled: 1-line block ×12, first 2 shown]
	v_mov_b32_e32 v102, v63
	s_wait_dscnt 0x1
	v_mov_b64_e32 v[62:63], v[60:61]
	v_mov_b64_e32 v[60:61], v[58:59]
	;; [unrolled: 1-line block ×19, first 2 shown]
	v_subrev_nc_u32_e32 v93, 28, v91
	v_mov_b64_e32 v[24:25], v[22:23]
	v_mov_b64_e32 v[22:23], v[20:21]
	;; [unrolled: 1-line block ×11, first 2 shown]
	v_lshlrev_b64_e32 v[2:3], v93, v[66:67]
	v_dual_sub_nc_u32 v91, 29, v91 :: v_dual_mov_b32 v105, v107
	v_dual_mov_b32 v107, v109 :: v_dual_mov_b32 v109, v111
	v_dual_mov_b32 v111, v113 :: v_dual_mov_b32 v113, v115
	s_delay_alu instid0(VALU_DEP_4)
	v_and_b32_e32 v66, 7, v2
	v_mov_b64_e32 v[2:3], v[4:5]
	v_mov_b64_e32 v[4:5], v[6:7]
	;; [unrolled: 1-line block ×30, first 2 shown]
	v_dual_mov_b32 v63, v102 :: v_dual_mov_b32 v102, v104
	v_dual_mov_b32 v104, v106 :: v_dual_mov_b32 v106, v108
	;; [unrolled: 1-line block ×12, first 2 shown]
	s_clause 0x1
	scratch_load_b32 v70, off, off offset:80
	scratch_load_b32 v62, off, off offset:76
.LBB179_511:                            ;   in Loop: Header=BB179_10 Depth=1
	s_wait_xcnt 0x0
	s_or_b32 exec_lo, exec_lo, s30
	v_dual_lshlrev_b32 v92, 24, v92 :: v_dual_lshlrev_b32 v66, 20, v66
	v_lshl_add_u32 v91, v91, 23, 0x3c000000
	s_delay_alu instid0(VALU_DEP_2) | instskip(NEXT) | instid1(VALU_DEP_1)
	v_and_b32_e32 v92, 0x80000000, v92
	v_or3_b32 v91, v66, v92, v91
.LBB179_512:                            ;   in Loop: Header=BB179_10 Depth=1
	s_or_b32 exec_lo, exec_lo, s29
	v_mov_b32_e32 v93, v127
.LBB179_513:                            ;   in Loop: Header=BB179_10 Depth=1
	s_or_b32 exec_lo, exec_lo, s28
.LBB179_514:                            ;   in Loop: Header=BB179_10 Depth=1
	s_delay_alu instid0(SALU_CYCLE_1)
	s_or_b32 exec_lo, exec_lo, s27
	global_load_u8 v72, v[72:73], off offset:1932
	v_mov_b32_e32 v127, v1
	s_mov_b32 s27, exec_lo
	s_wait_loadcnt 0x0
	v_cmpx_ne_u16_e32 0, v72
	s_cbranch_execz .LBB179_522
; %bb.515:                              ;   in Loop: Header=BB179_10 Depth=1
	v_bfrev_b32_e32 v90, 1
	s_mov_b32 s28, exec_lo
	v_cmpx_ne_u16_e32 0x80, v72
	s_cbranch_execz .LBB179_521
; %bb.516:                              ;   in Loop: Header=BB179_10 Depth=1
	v_and_b32_e32 v66, 0xffff, v72
	v_mov_b32_e32 v90, 0x7f800001
	s_mov_b32 s29, exec_lo
	s_delay_alu instid0(VALU_DEP_2) | instskip(NEXT) | instid1(VALU_DEP_1)
	v_and_b32_e32 v92, 0x7f, v66
	v_cmpx_ne_u32_e32 0x7f, v92
	s_cbranch_execz .LBB179_520
; %bb.517:                              ;   in Loop: Header=BB179_10 Depth=1
	v_dual_lshrrev_b32 v73, 3, v92 :: v_dual_bitop2_b32 v66, 7, v66 bitop3:0x40
	s_mov_b32 s30, exec_lo
	v_cmpx_gt_u32_e32 8, v92
	s_cbranch_execz .LBB179_519
; %bb.518:                              ;   in Loop: Header=BB179_10 Depth=1
	s_delay_alu instid0(VALU_DEP_2) | instskip(NEXT) | instid1(VALU_DEP_1)
	v_clz_i32_u32_e32 v73, v66
	v_min_u32_e32 v73, 32, v73
	v_mov_b32_e32 v1, v93
	s_delay_alu instid0(VALU_DEP_2) | instskip(SKIP_1) | instid1(VALU_DEP_2)
	v_subrev_nc_u32_e32 v90, 28, v73
	v_sub_nc_u32_e32 v73, 29, v73
	v_lshlrev_b64_e32 v[92:93], v90, v[66:67]
	s_delay_alu instid0(VALU_DEP_1)
	v_dual_mov_b32 v93, v1 :: v_dual_bitop2_b32 v66, 7, v92 bitop3:0x40
.LBB179_519:                            ;   in Loop: Header=BB179_10 Depth=1
	s_or_b32 exec_lo, exec_lo, s30
	s_delay_alu instid0(VALU_DEP_1) | instskip(SKIP_1) | instid1(VALU_DEP_2)
	v_dual_lshlrev_b32 v72, 24, v72 :: v_dual_lshlrev_b32 v66, 20, v66
	v_lshl_add_u32 v73, v73, 23, 0x3c000000
	v_and_b32_e32 v72, 0x80000000, v72
	s_delay_alu instid0(VALU_DEP_1)
	v_or3_b32 v90, v66, v72, v73
.LBB179_520:                            ;   in Loop: Header=BB179_10 Depth=1
	s_or_b32 exec_lo, exec_lo, s29
.LBB179_521:                            ;   in Loop: Header=BB179_10 Depth=1
	s_delay_alu instid0(SALU_CYCLE_1)
	s_or_b32 exec_lo, exec_lo, s28
.LBB179_522:                            ;   in Loop: Header=BB179_10 Depth=1
	s_delay_alu instid0(SALU_CYCLE_1)
	s_or_b32 exec_lo, exec_lo, s27
	scratch_load_b32 v1, off, off offset:64 th:TH_LOAD_LU ; 4-byte Folded Reload
	s_wait_kmcnt 0x0
	v_dual_mul_f32 v73, s5, v108 :: v_dual_mul_f32 v72, s5, v63
	s_wait_loadcnt 0x0
	v_dual_mul_f32 v0, s5, v0 :: v_dual_mul_f32 v66, s5, v1
	scratch_load_b32 v1, off, off offset:4 th:TH_LOAD_LU ; 4-byte Folded Reload
	s_wait_dscnt 0xf
	v_mul_f32_e32 v66, v3, v66
	s_delay_alu instid0(VALU_DEP_1) | instskip(NEXT) | instid1(VALU_DEP_1)
	v_dual_fmac_f32 v66, v2, v72 :: v_dual_mul_f32 v72, s5, v102
	v_dual_fmac_f32 v66, v4, v72 :: v_dual_mul_f32 v72, s5, v97
	s_delay_alu instid0(VALU_DEP_1) | instskip(SKIP_2) | instid1(VALU_DEP_1)
	v_fmac_f32_e32 v66, v5, v72
	v_mul_f32_e32 v72, s5, v104
	s_wait_dscnt 0xe
	v_dual_fmac_f32 v66, v6, v72 :: v_dual_mul_f32 v72, s5, v103
	s_delay_alu instid0(VALU_DEP_1) | instskip(NEXT) | instid1(VALU_DEP_1)
	v_dual_fmac_f32 v66, v7, v72 :: v_dual_mul_f32 v72, s5, v106
	v_dual_fmac_f32 v66, v8, v72 :: v_dual_mul_f32 v72, s5, v105
	s_delay_alu instid0(VALU_DEP_1) | instskip(SKIP_1) | instid1(VALU_DEP_1)
	v_dual_fmac_f32 v66, v9, v72 :: v_dual_mul_f32 v72, s5, v107
	s_wait_dscnt 0xd
	v_dual_fmac_f32 v66, v10, v73 :: v_dual_mul_f32 v73, s5, v110
	s_delay_alu instid0(VALU_DEP_1) | instskip(NEXT) | instid1(VALU_DEP_1)
	v_dual_fmac_f32 v66, v11, v72 :: v_dual_mul_f32 v72, s5, v109
	v_dual_fmac_f32 v66, v12, v73 :: v_dual_mul_f32 v73, s5, v112
	s_delay_alu instid0(VALU_DEP_1) | instskip(SKIP_1) | instid1(VALU_DEP_1)
	v_dual_fmac_f32 v66, v13, v72 :: v_dual_mul_f32 v72, s5, v111
	;; [unrolled: 7-line block ×5, first 2 shown]
	s_wait_dscnt 0x9
	v_dual_fmac_f32 v66, v26, v73 :: v_dual_mul_f32 v73, s5, v126
	s_delay_alu instid0(VALU_DEP_1) | instskip(NEXT) | instid1(VALU_DEP_1)
	v_dual_fmac_f32 v66, v27, v72 :: v_dual_mul_f32 v72, s5, v62
	v_fmac_f32_e32 v66, v28, v73
	s_delay_alu instid0(VALU_DEP_1) | instskip(SKIP_1) | instid1(VALU_DEP_1)
	v_dual_mul_f32 v73, s5, v93 :: v_dual_fmac_f32 v66, v29, v72
	s_wait_dscnt 0x8
	v_dual_mul_f32 v72, s5, v74 :: v_dual_fmac_f32 v66, v30, v73
	s_wait_loadcnt 0x0
	v_mul_f32_e32 v73, s5, v1
	scratch_load_b32 v1, off, off th:TH_LOAD_LU ; 4-byte Folded Reload
	s_wait_loadcnt 0x0
	v_dual_fmac_f32 v66, v31, v72 :: v_dual_mul_f32 v72, s5, v1
	scratch_load_b32 v1, off, off offset:12 th:TH_LOAD_LU ; 4-byte Folded Reload
	v_fmac_f32_e32 v66, v32, v73
	s_wait_loadcnt 0x0
	s_delay_alu instid0(VALU_DEP_1)
	v_dual_fmac_f32 v66, v33, v72 :: v_dual_mul_f32 v73, s5, v1
	scratch_load_b32 v1, off, off offset:8 th:TH_LOAD_LU ; 4-byte Folded Reload
	s_wait_dscnt 0x7
	v_fmac_f32_e32 v66, v34, v73
	s_wait_loadcnt 0x0
	v_mul_f32_e32 v72, s5, v1
	scratch_load_b32 v1, off, off offset:20 th:TH_LOAD_LU ; 4-byte Folded Reload
	s_wait_loadcnt 0x0
	v_mul_f32_e32 v73, s5, v1
	scratch_load_b32 v1, off, off offset:16 th:TH_LOAD_LU ; 4-byte Folded Reload
	s_wait_loadcnt 0x0
	v_dual_fmac_f32 v66, v35, v72 :: v_dual_mul_f32 v72, s5, v1
	scratch_load_b32 v1, off, off offset:28 th:TH_LOAD_LU ; 4-byte Folded Reload
	v_fmac_f32_e32 v66, v36, v73
	s_wait_loadcnt 0x0
	s_delay_alu instid0(VALU_DEP_1)
	v_dual_fmac_f32 v66, v37, v72 :: v_dual_mul_f32 v73, s5, v1
	scratch_load_b32 v1, off, off offset:24 th:TH_LOAD_LU ; 4-byte Folded Reload
	s_wait_dscnt 0x6
	v_fmac_f32_e32 v66, v38, v73
	s_wait_loadcnt 0x0
	v_mul_f32_e32 v72, s5, v1
	scratch_load_b32 v1, off, off offset:36 th:TH_LOAD_LU ; 4-byte Folded Reload
	s_wait_loadcnt 0x0
	v_mul_f32_e32 v73, s5, v1
	scratch_load_b32 v1, off, off offset:32 th:TH_LOAD_LU ; 4-byte Folded Reload
	;; [unrolled: 16-line block ×3, first 2 shown]
	s_wait_loadcnt 0x0
	v_dual_fmac_f32 v66, v43, v72 :: v_dual_mul_f32 v72, s5, v1
	scratch_load_b32 v1, off, off offset:60 th:TH_LOAD_LU ; 4-byte Folded Reload
	v_fmac_f32_e32 v66, v44, v73
	s_wait_loadcnt 0x0
	s_delay_alu instid0(VALU_DEP_1)
	v_dual_fmac_f32 v66, v45, v72 :: v_dual_mul_f32 v73, s5, v1
	scratch_load_b32 v1, off, off offset:56 th:TH_LOAD_LU ; 4-byte Folded Reload
	s_wait_dscnt 0x4
	v_dual_fmac_f32 v66, v46, v73 :: v_dual_mul_f32 v73, s5, v76
	s_wait_loadcnt 0x0
	v_dual_mul_f32 v72, s5, v1 :: v_dual_mul_f32 v1, s5, v127
	s_delay_alu instid0(VALU_DEP_1) | instskip(NEXT) | instid1(VALU_DEP_1)
	v_fmac_f32_e32 v66, v47, v72
	v_fmac_f32_e32 v66, v48, v73
	s_delay_alu instid0(VALU_DEP_1) | instskip(SKIP_1) | instid1(VALU_DEP_1)
	v_dual_fmac_f32 v66, v49, v1 :: v_dual_mul_f32 v1, s5, v123
	s_wait_dscnt 0x3
	v_dual_fmac_f32 v66, v50, v0 :: v_dual_mul_f32 v0, s5, v79
	s_delay_alu instid0(VALU_DEP_1) | instskip(NEXT) | instid1(VALU_DEP_1)
	v_fmac_f32_e32 v66, v51, v1
	v_dual_mul_f32 v1, s5, v77 :: v_dual_fmac_f32 v66, v52, v0
	v_mul_f32_e32 v0, s5, v69
	s_delay_alu instid0(VALU_DEP_2) | instskip(SKIP_1) | instid1(VALU_DEP_1)
	v_dual_fmac_f32 v66, v53, v1 :: v_dual_mul_f32 v1, s5, v68
	s_wait_dscnt 0x2
	v_dual_fmac_f32 v66, v54, v0 :: v_dual_mul_f32 v0, s5, v83
	s_delay_alu instid0(VALU_DEP_1) | instskip(NEXT) | instid1(VALU_DEP_1)
	v_dual_fmac_f32 v66, v55, v1 :: v_dual_mul_f32 v1, s5, v78
	v_dual_fmac_f32 v66, v56, v0 :: v_dual_mul_f32 v0, s5, v85
	s_delay_alu instid0(VALU_DEP_1) | instskip(SKIP_1) | instid1(VALU_DEP_1)
	v_dual_fmac_f32 v66, v57, v1 :: v_dual_mul_f32 v1, s5, v84
	s_wait_dscnt 0x1
	v_dual_fmac_f32 v66, v58, v0 :: v_dual_mul_f32 v0, s5, v87
	s_delay_alu instid0(VALU_DEP_1) | instskip(NEXT) | instid1(VALU_DEP_1)
	v_dual_fmac_f32 v66, v59, v1 :: v_dual_mul_f32 v1, s5, v86
	v_dual_fmac_f32 v66, v60, v0 :: v_dual_mul_f32 v0, s5, v89
	s_delay_alu instid0(VALU_DEP_1) | instskip(SKIP_1) | instid1(VALU_DEP_1)
	v_dual_fmac_f32 v66, v61, v1 :: v_dual_mul_f32 v1, s5, v88
	s_wait_dscnt 0x0
	v_dual_fmac_f32 v66, v98, v0 :: v_dual_mul_f32 v0, s5, v91
	s_delay_alu instid0(VALU_DEP_1) | instskip(NEXT) | instid1(VALU_DEP_1)
	v_dual_fmac_f32 v66, v99, v1 :: v_dual_mul_f32 v1, s5, v90
	v_fmac_f32_e32 v66, v100, v0
	s_delay_alu instid0(VALU_DEP_1)
	v_fmac_f32_e32 v66, v101, v1
	ds_bpermute_b32 v0, v96, v66
	s_wait_dscnt 0x0
	v_add_f32_e32 v0, v66, v0
	ds_bpermute_b32 v1, v94, v0
	s_wait_xcnt 0x0
	s_and_saveexec_b32 s27, vcc_lo
	s_cbranch_execz .LBB179_9
; %bb.523:                              ;   in Loop: Header=BB179_10 Depth=1
	s_wait_dscnt 0x0
	v_dual_add_nc_u32 v66, s26, v80 :: v_dual_add_f32 v0, v0, v1
	v_cmp_gt_i32_e64 s4, s24, v80
	s_delay_alu instid0(VALU_DEP_2) | instskip(NEXT) | instid1(VALU_DEP_1)
	v_cvt_f32_i32_e32 v66, v66
	v_mul_f32_e32 v66, s18, v66
	s_delay_alu instid0(VALU_DEP_1) | instskip(NEXT) | instid1(VALU_DEP_1)
	v_dual_cndmask_b32 v1, 0, v66, s3 :: v_dual_max_num_f32 v66, v95, v95
	v_fmac_f32_e32 v1, s19, v0
	s_delay_alu instid0(VALU_DEP_1) | instskip(NEXT) | instid1(VALU_DEP_1)
	v_dual_max_num_f32 v0, v66, v1 :: v_dual_cndmask_b32 v1, 0, v1, s4
	v_cndmask_b32_e64 v95, v95, v0, s4
	ds_store_b32 v81, v1
	s_branch .LBB179_9
.LBB179_524:
	s_or_b32 exec_lo, exec_lo, s11
	s_clause 0x2
	scratch_load_b32 v22, off, off offset:72
	scratch_load_b32 v72, off, off offset:84
	;; [unrolled: 1-line block ×3, first 2 shown]
	v_mov_b32_e32 v9, 32
.LBB179_525:
	s_wait_xcnt 0x0
	s_or_b32 exec_lo, exec_lo, s13
	s_wait_loadcnt 0x0
	v_dual_max_num_f32 v3, v95, v95 :: v_dual_bitop2_b32 v0, 16, v34 bitop3:0x14
	s_wait_kmcnt 0x0
	s_clause 0x1
	s_load_b64 s[4:5], s[0:1], 0x0
	s_load_b64 s[18:19], s[0:1], 0x18
	v_and_b32_e32 v96, 31, v22
	v_xor_b32_e32 v2, 8, v34
	v_cmp_lt_i32_e32 vcc_lo, v0, v9
	v_cndmask_b32_e32 v0, v34, v0, vcc_lo
	s_delay_alu instid0(VALU_DEP_3) | instskip(NEXT) | instid1(VALU_DEP_2)
	v_cmp_lt_i32_e32 vcc_lo, v2, v9
	v_dual_lshlrev_b32 v0, 2, v0 :: v_dual_cndmask_b32 v2, v34, v2, vcc_lo
	s_wait_dscnt 0x0
	ds_bpermute_b32 v1, v0, v95
	s_wait_dscnt 0x0
	v_dual_max_num_f32 v4, v1, v1 :: v_dual_lshlrev_b32 v1, 2, v2
	s_delay_alu instid0(VALU_DEP_1)
	v_dual_max_num_f32 v2, v3, v4 :: v_dual_bitop2_b32 v4, 4, v34 bitop3:0x14
	ds_bpermute_b32 v3, v1, v2
	v_cmp_lt_i32_e32 vcc_lo, v4, v9
	v_cndmask_b32_e32 v4, v34, v4, vcc_lo
	v_cmp_eq_u32_e32 vcc_lo, 0, v96
	s_wait_dscnt 0x0
	s_delay_alu instid0(VALU_DEP_2) | instskip(NEXT) | instid1(VALU_DEP_1)
	v_dual_max_num_f32 v3, v3, v3 :: v_dual_lshlrev_b32 v4, 2, v4
	v_max_num_f32_e32 v3, v2, v3
	scratch_load_b32 v2, off, off offset:68 ; 4-byte Folded Reload
	ds_bpermute_b32 v5, v4, v3
	s_wait_loadcnt 0x0
	v_lshlrev_b32_e32 v2, 2, v2
	s_wait_xcnt 0x0
	s_and_saveexec_b32 s0, vcc_lo
	s_cbranch_execz .LBB179_527
; %bb.526:
	s_wait_dscnt 0x0
	v_dual_max_num_f32 v5, v5, v5 :: v_dual_max_num_f32 v3, v3, v3
	s_delay_alu instid0(VALU_DEP_1)
	v_max_num_f32_e32 v3, v3, v5
	ds_store_b32 v2, v3 offset:1024
.LBB179_527:
	s_or_b32 exec_lo, exec_lo, s0
	v_cmp_gt_u32_e64 s0, 4, v96
	v_dual_mov_b32 v6, 0xff7fffff :: v_dual_lshlrev_b32 v3, 2, v96
	s_wait_storecnt_dscnt 0x0
	s_barrier_signal -1
	s_barrier_wait -1
	s_and_saveexec_b32 s1, s0
; %bb.528:
	ds_load_b32 v6, v3 offset:1024
; %bb.529:
	s_or_b32 exec_lo, exec_lo, s1
	v_xor_b32_e32 v8, 1, v34
	v_xor_b32_e32 v5, 2, v34
	s_delay_alu instid0(VALU_DEP_1) | instskip(NEXT) | instid1(VALU_DEP_1)
	v_cmp_lt_i32_e64 s1, v5, v9
	v_cndmask_b32_e64 v5, v34, v5, s1
	s_delay_alu instid0(VALU_DEP_1) | instskip(SKIP_4) | instid1(VALU_DEP_1)
	v_lshlrev_b32_e32 v5, 2, v5
	s_wait_dscnt 0x0
	ds_bpermute_b32 v7, v5, v6
	s_wait_dscnt 0x0
	v_dual_max_num_f32 v6, v6, v6 :: v_dual_max_num_f32 v7, v7, v7
	v_max_num_f32_e32 v6, v6, v7
	v_cmp_lt_i32_e64 s1, v8, v9
	s_delay_alu instid0(VALU_DEP_1) | instskip(SKIP_1) | instid1(SALU_CYCLE_1)
	v_cndmask_b32_e64 v8, v34, v8, s1
	s_lshl_b32 s1, s8, 3
	s_min_i32 s11, s1, s24
	s_delay_alu instid0(VALU_DEP_1) | instskip(SKIP_4) | instid1(VALU_DEP_1)
	v_lshlrev_b32_e32 v97, 2, v8
	v_cmp_gt_i32_e64 s1, s11, v22
	ds_bpermute_b32 v7, v97, v6
	s_wait_dscnt 0x0
	v_max_num_f32_e32 v7, v7, v7
	v_max_num_f32_e32 v6, v6, v7
	v_lshlrev_b32_e32 v7, 2, v67
	ds_bpermute_b32 v7, v7, v6
	v_mov_b32_e32 v6, 0
	s_and_saveexec_b32 s13, s1
	s_cbranch_execz .LBB179_533
; %bb.530:
	v_lshl_add_u32 v8, v22, 2, 0x420
	v_dual_mov_b32 v6, 0 :: v_dual_mov_b32 v9, v22
	s_mov_b32 s25, 0
.LBB179_531:                            ; =>This Inner Loop Header: Depth=1
	ds_load_b32 v10, v8
	v_add_nc_u32_e32 v9, 0x80, v9
	s_delay_alu instid0(VALU_DEP_1) | instskip(SKIP_3) | instid1(VALU_DEP_1)
	v_cmp_le_i32_e64 s3, s11, v9
	s_or_b32 s25, s3, s25
	s_wait_dscnt 0x0
	v_sub_f32_e32 v10, v10, v7
	v_mul_f32_e32 v10, 0x3fb8aa3b, v10
	s_delay_alu instid0(VALU_DEP_1)
	v_exp_f32_e32 v10, v10
	ds_store_b32 v8, v10
	v_nop
	v_add_f32_e32 v6, v6, v10
	v_add_nc_u32_e32 v8, 0x200, v8
	s_and_not1_b32 exec_lo, exec_lo, s25
	s_cbranch_execnz .LBB179_531
; %bb.532:
	s_or_b32 exec_lo, exec_lo, s25
.LBB179_533:
	s_delay_alu instid0(SALU_CYCLE_1)
	s_or_b32 exec_lo, exec_lo, s13
	ds_bpermute_b32 v0, v0, v6
	s_wait_dscnt 0x0
	v_add_f32_e32 v0, v6, v0
	ds_bpermute_b32 v1, v1, v0
	s_wait_dscnt 0x0
	v_add_f32_e32 v0, v0, v1
	;; [unrolled: 3-line block ×5, first 2 shown]
	s_and_saveexec_b32 s3, vcc_lo
; %bb.534:
	ds_store_b32 v2, v0 offset:1040
; %bb.535:
	s_or_b32 exec_lo, exec_lo, s3
	s_wait_dscnt 0x0
	s_barrier_signal -1
	s_barrier_wait -1
	s_and_saveexec_b32 s3, s0
; %bb.536:
	ds_load_b32 v0, v3 offset:1040
; %bb.537:
	s_or_b32 exec_lo, exec_lo, s3
	s_wait_dscnt 0x0
	ds_bpermute_b32 v1, v5, v0
	s_wait_dscnt 0x0
	v_dual_lshlrev_b32 v2, 2, v34 :: v_dual_add_f32 v0, v0, v1
	ds_bpermute_b32 v1, v97, v0
	s_wait_dscnt 0x0
	v_add_f32_e32 v0, v0, v1
	v_and_b32_e32 v1, 0xffffff80, v2
	ds_bpermute_b32 v0, v1, v0
	s_and_saveexec_b32 s0, s1
	s_cbranch_execz .LBB179_550
; %bb.538:
	s_wait_dscnt 0x0
	v_add_f32_e32 v0, 0x358637bd, v0
	s_mov_b32 s3, -1
	s_mov_b32 s1, exec_lo
	s_delay_alu instid0(VALU_DEP_1) | instskip(SKIP_1) | instid1(VALU_DEP_2)
	v_div_scale_f32 v1, null, v0, v0, 1.0
	v_div_scale_f32 v4, vcc_lo, 1.0, v0, 1.0
	v_rcp_f32_e32 v2, v1
	v_nop
	s_delay_alu instid0(TRANS32_DEP_1) | instskip(NEXT) | instid1(VALU_DEP_1)
	v_fma_f32 v3, -v1, v2, 1.0
	v_fmac_f32_e32 v2, v3, v2
	s_delay_alu instid0(VALU_DEP_1) | instskip(NEXT) | instid1(VALU_DEP_1)
	v_mul_f32_e32 v3, v4, v2
	v_fma_f32 v5, -v1, v3, v4
	s_delay_alu instid0(VALU_DEP_1) | instskip(NEXT) | instid1(VALU_DEP_1)
	v_fmac_f32_e32 v3, v5, v2
	v_fma_f32 v4, -v1, v3, v4
	v_xad_u32 v1, v22, -1, s11
	s_delay_alu instid0(VALU_DEP_2) | instskip(NEXT) | instid1(VALU_DEP_1)
	v_div_fmas_f32 v2, v4, v2, v3
	v_div_fixup_f32 v2, v2, v0, 1.0
	v_mov_b32_e32 v0, v22
	s_delay_alu instid0(VALU_DEP_4)
	v_cmpx_lt_u32_e32 0x7f, v1
	s_cbranch_execz .LBB179_547
; %bb.539:
	s_delay_alu instid0(VALU_DEP_3) | instskip(NEXT) | instid1(VALU_DEP_1)
	v_dual_mov_b32 v3, v2 :: v_dual_lshrrev_b32 v0, 7, v1
	v_dual_mov_b32 v6, 0 :: v_dual_add_nc_u32 v1, -1, v0
	s_delay_alu instid0(VALU_DEP_1) | instskip(SKIP_1) | instid1(VALU_DEP_2)
	v_lshrrev_b32_e32 v4, 1, v1
	v_cmp_lt_u32_e32 vcc_lo, 13, v1
	v_add_nc_u32_e32 v1, 1, v4
	s_and_saveexec_b32 s3, vcc_lo
	s_cbranch_execz .LBB179_543
; %bb.540:
	s_delay_alu instid0(VALU_DEP_1)
	v_and_b32_e32 v4, -8, v1
	v_lshl_add_u32 v5, v22, 2, 0x420
	s_mov_b32 s13, 0
	s_mov_b32 s25, 0
.LBB179_541:                            ; =>This Inner Loop Header: Depth=1
	ds_load_2addr_stride64_b32 v[6:7], v5 offset1:2
	ds_load_2addr_stride64_b32 v[8:9], v5 offset0:4 offset1:6
	ds_load_2addr_stride64_b32 v[10:11], v5 offset0:8 offset1:10
	;; [unrolled: 1-line block ×7, first 2 shown]
	s_add_co_i32 s25, s25, 16
	v_add_nc_u32_e32 v4, -8, v4
	s_wait_dscnt 0x7
	v_pk_mul_f32 v[6:7], v[2:3], v[6:7]
	s_wait_dscnt 0x6
	v_pk_mul_f32 v[8:9], v[2:3], v[8:9]
	;; [unrolled: 2-line block ×8, first 2 shown]
	ds_store_2addr_stride64_b32 v5, v6, v7 offset1:2
	ds_store_2addr_stride64_b32 v5, v8, v9 offset0:4 offset1:6
	ds_store_2addr_stride64_b32 v5, v10, v11 offset0:8 offset1:10
	;; [unrolled: 1-line block ×7, first 2 shown]
	v_mov_b32_e32 v6, s25
	v_cmp_eq_u32_e32 vcc_lo, 0, v4
	v_add_nc_u32_e32 v5, 0x2000, v5
	s_or_b32 s13, vcc_lo, s13
	s_delay_alu instid0(SALU_CYCLE_1)
	s_and_not1_b32 exec_lo, exec_lo, s13
	s_cbranch_execnz .LBB179_541
; %bb.542:
	s_or_b32 exec_lo, exec_lo, s13
.LBB179_543:
	s_delay_alu instid0(SALU_CYCLE_1) | instskip(NEXT) | instid1(VALU_DEP_1)
	s_or_b32 exec_lo, exec_lo, s3
	v_and_b32_e32 v1, 7, v1
	s_mov_b32 s13, 0
	s_mov_b32 s3, exec_lo
	s_delay_alu instid0(VALU_DEP_1)
	v_cmpx_ne_u32_e32 0, v1
	s_cbranch_execz .LBB179_546
; %bb.544:
	v_lshlrev_b32_e32 v4, 9, v6
	v_lshlrev_b32_e32 v5, 2, v22
	s_delay_alu instid0(VALU_DEP_1)
	v_add3_u32 v4, v4, v5, 0x420
.LBB179_545:                            ; =>This Inner Loop Header: Depth=1
	ds_load_2addr_stride64_b32 v[6:7], v4 offset1:2
	v_add_nc_u32_e32 v1, -1, v1
	s_delay_alu instid0(VALU_DEP_1)
	v_cmp_eq_u32_e32 vcc_lo, 0, v1
	s_or_b32 s13, vcc_lo, s13
	s_wait_dscnt 0x0
	v_pk_mul_f32 v[6:7], v[2:3], v[6:7]
	ds_store_2addr_stride64_b32 v4, v6, v7 offset1:2
	v_add_nc_u32_e32 v4, 0x400, v4
	s_and_not1_b32 exec_lo, exec_lo, s13
	s_cbranch_execnz .LBB179_545
.LBB179_546:
	s_or_b32 exec_lo, exec_lo, s3
	v_add_nc_u32_e32 v0, 1, v0
	s_delay_alu instid0(VALU_DEP_1) | instskip(NEXT) | instid1(VALU_DEP_1)
	v_and_b32_e32 v1, 0x3fffffe, v0
	v_cmp_ne_u32_e32 vcc_lo, v0, v1
	v_lshl_add_u32 v0, v1, 7, v22
	s_or_not1_b32 s3, vcc_lo, exec_lo
.LBB179_547:
	s_or_b32 exec_lo, exec_lo, s1
	s_delay_alu instid0(SALU_CYCLE_1)
	s_and_b32 exec_lo, exec_lo, s3
	s_cbranch_execz .LBB179_550
; %bb.548:
	v_lshl_add_u32 v1, v0, 2, 0x420
	s_mov_b32 s1, 0
.LBB179_549:                            ; =>This Inner Loop Header: Depth=1
	ds_load_b32 v3, v1
	s_wait_dscnt 0x0
	v_dual_mul_f32 v3, v2, v3 :: v_dual_add_nc_u32 v0, 0x80, v0
	s_delay_alu instid0(VALU_DEP_1) | instskip(SKIP_3) | instid1(SALU_CYCLE_1)
	v_cmp_le_i32_e32 vcc_lo, s11, v0
	ds_store_b32 v1, v3
	v_add_nc_u32_e32 v1, 0x200, v1
	s_or_b32 s1, vcc_lo, s1
	s_and_not1_b32 exec_lo, exec_lo, s1
	s_cbranch_execnz .LBB179_549
.LBB179_550:
	s_or_b32 exec_lo, exec_lo, s0
	v_dual_mov_b32 v7, 0 :: v_dual_bitop2_b32 v98, 1, v22 bitop3:0x40
	s_wait_dscnt 0x0
	s_barrier_signal -1
	s_barrier_wait -1
	s_delay_alu instid0(VALU_DEP_1)
	v_dual_mov_b32 v6, v7 :: v_dual_mov_b32 v9, v7
	v_dual_mov_b32 v8, v7 :: v_dual_mov_b32 v11, v7
	;; [unrolled: 1-line block ×7, first 2 shown]
	v_mov_b32_e32 v20, v7
	s_and_saveexec_b32 s1, s2
	s_cbranch_execz .LBB179_1098
; %bb.551:
	scratch_load_b32 v101, off, off offset:68 ; 4-byte Folded Reload
	s_load_b32 s2, s[6:7], 0x0
	v_dual_mov_b32 v23, 0 :: v_dual_lshlrev_b32 v0, 2, v22
	s_ashr_i32 s11, s10, 31
	v_dual_lshlrev_b32 v1, 4, v98 :: v_dual_mov_b32 v7, 0
	s_delay_alu instid0(VALU_DEP_2)
	v_and_b32_e32 v22, 0x7c, v0
	s_wait_kmcnt 0x0
	s_add_nc_u64 s[10:11], s[18:19], s[10:11]
	s_lshl_b64 s[14:15], s[14:15], 2
	v_dual_mov_b32 v6, 0 :: v_dual_bitop2_b32 v0, 4, v0 bitop3:0x40
	v_add_nc_u64_e32 v[24:25], s[10:11], v[22:23]
	v_and_b32_e32 v22, 0x7c, v72
	s_add_nc_u64 s[10:11], s[16:17], s[14:15]
	v_dual_mov_b32 v8, 0 :: v_dual_mov_b32 v11, 0
	v_dual_mov_b32 v10, 0 :: v_dual_mov_b32 v13, 0
	s_delay_alu instid0(VALU_DEP_3)
	v_add_nc_u64_e32 v[26:27], s[10:11], v[22:23]
	v_dual_mov_b32 v12, 0 :: v_dual_mov_b32 v15, 0
	v_dual_mov_b32 v14, 0 :: v_dual_mov_b32 v17, 0
	v_dual_mov_b32 v16, 0 :: v_dual_mov_b32 v19, 0
	v_dual_mov_b32 v18, 0 :: v_dual_mov_b32 v21, 0
	v_mov_b32_e32 v20, 0
	s_mov_b32 s6, s9
	s_mov_b32 s3, s2
	s_add_co_i32 s7, s8, -1
	s_mov_b32 s10, s24
	s_mov_b32 s9, 0
	s_wait_loadcnt 0x0
	v_lshl_or_b32 v1, v101, 5, v1
	v_mov_b32_e32 v9, 0
	v_lshl_or_b32 v99, v101, 3, v0
	s_delay_alu instid0(VALU_DEP_3)
	v_add_nc_u32_e32 v100, 0x420, v1
	s_branch .LBB179_553
.LBB179_552:                            ;   in Loop: Header=BB179_553 Depth=1
	s_or_b32 exec_lo, exec_lo, s0
	s_wait_dscnt 0x0
	v_mul_f32_e32 v1, v2, v84
	v_mul_f32_e32 v0, v2, v88
	v_add_nc_u64_e32 v[26:27], 16, v[26:27]
	v_add_nc_u32_e32 v99, 32, v99
	s_delay_alu instid0(VALU_DEP_4) | instskip(NEXT) | instid1(VALU_DEP_4)
	v_dual_fmac_f32 v1, v3, v85 :: v_dual_add_nc_u32 v100, 0x80, v100
	v_dual_fmac_f32 v0, v3, v89 :: v_dual_mul_f32 v22, v2, v80
	v_mul_f32_e32 v72, v2, v72
	s_delay_alu instid0(VALU_DEP_3) | instskip(NEXT) | instid1(VALU_DEP_3)
	v_dual_mul_f32 v44, v2, v44 :: v_dual_fmac_f32 v1, v4, v82
	v_dual_fmac_f32 v0, v4, v86 :: v_dual_mul_f32 v76, v2, v76
	s_delay_alu instid0(VALU_DEP_4) | instskip(NEXT) | instid1(VALU_DEP_3)
	v_dual_fmac_f32 v22, v3, v81 :: v_dual_mul_f32 v68, v2, v68
	v_dual_fmac_f32 v72, v3, v73 :: v_dual_fmac_f32 v1, v5, v83
	s_delay_alu instid0(VALU_DEP_2) | instskip(NEXT) | instid1(VALU_DEP_3)
	v_dual_fmac_f32 v76, v3, v77 :: v_dual_fmac_f32 v22, v4, v78
	v_fmac_f32_e32 v68, v3, v69
	s_delay_alu instid0(VALU_DEP_3) | instskip(NEXT) | instid1(VALU_DEP_3)
	v_dual_fmac_f32 v72, v4, v70 :: v_dual_add_f32 v9, v9, v1
	v_dual_fmac_f32 v44, v3, v45 :: v_dual_fmac_f32 v22, v5, v79
	s_delay_alu instid0(VALU_DEP_3) | instskip(SKIP_1) | instid1(VALU_DEP_3)
	v_fmac_f32_e32 v68, v4, v66
	v_dual_fmac_f32 v0, v5, v87 :: v_dual_mul_f32 v30, v2, v30
	v_fmac_f32_e32 v44, v4, v42
	s_delay_alu instid0(VALU_DEP_4) | instskip(NEXT) | instid1(VALU_DEP_3)
	v_add_f32_e32 v8, v8, v22
	v_dual_fmac_f32 v76, v4, v74 :: v_dual_add_f32 v6, v6, v0
	s_delay_alu instid0(VALU_DEP_4) | instskip(NEXT) | instid1(VALU_DEP_4)
	v_dual_mul_f32 v0, v2, v64 :: v_dual_fmac_f32 v30, v3, v31
	v_fmac_f32_e32 v44, v5, v43
	s_delay_alu instid0(VALU_DEP_3) | instskip(SKIP_1) | instid1(VALU_DEP_4)
	v_fmac_f32_e32 v76, v5, v75
	v_dual_fmac_f32 v72, v5, v71 :: v_dual_add_nc_u32 v101, 4, v101
	v_fmac_f32_e32 v30, v4, v28
	s_delay_alu instid0(VALU_DEP_3) | instskip(NEXT) | instid1(VALU_DEP_3)
	v_dual_add_f32 v11, v11, v76 :: v_dual_fmac_f32 v68, v5, v67
	v_dual_add_f32 v10, v10, v72 :: v_dual_fmac_f32 v0, v3, v65
	s_delay_alu instid0(VALU_DEP_3) | instskip(SKIP_1) | instid1(VALU_DEP_4)
	v_fmac_f32_e32 v30, v5, v29
	v_cmp_le_i32_e32 vcc_lo, s8, v101
	v_add_f32_e32 v13, v13, v68
	s_delay_alu instid0(VALU_DEP_4) | instskip(SKIP_2) | instid1(VALU_DEP_2)
	v_dual_mul_f32 v1, v2, v60 :: v_dual_fmac_f32 v0, v4, v62
	v_mul_f32_e32 v22, v2, v56
	s_or_b32 s9, vcc_lo, s9
	v_dual_fmac_f32 v1, v3, v61 :: v_dual_mul_f32 v52, v2, v52
	s_delay_alu instid0(VALU_DEP_2) | instskip(NEXT) | instid1(VALU_DEP_2)
	v_dual_fmac_f32 v22, v3, v57 :: v_dual_mul_f32 v48, v2, v48
	v_dual_fmac_f32 v0, v5, v63 :: v_dual_fmac_f32 v1, v4, v58
	s_delay_alu instid0(VALU_DEP_2) | instskip(NEXT) | instid1(VALU_DEP_2)
	v_dual_fmac_f32 v52, v3, v53 :: v_dual_fmac_f32 v22, v4, v54
	v_dual_fmac_f32 v48, v3, v49 :: v_dual_add_f32 v12, v12, v0
	s_delay_alu instid0(VALU_DEP_2) | instskip(NEXT) | instid1(VALU_DEP_2)
	v_dual_fmac_f32 v1, v5, v59 :: v_dual_fmac_f32 v52, v4, v50
	v_dual_fmac_f32 v22, v5, v55 :: v_dual_fmac_f32 v48, v4, v46
	s_delay_alu instid0(VALU_DEP_2) | instskip(NEXT) | instid1(VALU_DEP_2)
	v_dual_add_f32 v15, v15, v1 :: v_dual_fmac_f32 v52, v5, v51
	v_dual_add_f32 v14, v14, v22 :: v_dual_fmac_f32 v48, v5, v47
	v_mul_f32_e32 v22, v2, v40
	v_mul_f32_e32 v36, v2, v36
	s_delay_alu instid0(VALU_DEP_4) | instskip(SKIP_1) | instid1(VALU_DEP_4)
	v_add_f32_e32 v17, v17, v52
	v_pk_mul_f32 v[0:1], v[2:3], v[90:91]
	v_dual_add_f32 v16, v16, v48 :: v_dual_fmac_f32 v22, v3, v41
	s_delay_alu instid0(VALU_DEP_4) | instskip(SKIP_1) | instid1(VALU_DEP_3)
	v_fmac_f32_e32 v36, v3, v37
	v_pk_mul_f32 v[2:3], v[4:5], v[32:33]
	v_dual_add_f32 v0, v1, v0 :: v_dual_fmac_f32 v22, v4, v38
	s_delay_alu instid0(VALU_DEP_3) | instskip(NEXT) | instid1(VALU_DEP_2)
	v_dual_fmac_f32 v36, v4, v34 :: v_dual_add_f32 v19, v19, v44
	v_dual_add_f32 v0, v2, v0 :: v_dual_fmac_f32 v22, v5, v39
	s_delay_alu instid0(VALU_DEP_1) | instskip(SKIP_1) | instid1(VALU_DEP_2)
	v_dual_fmac_f32 v36, v5, v35 :: v_dual_add_f32 v0, v3, v0
	v_add_f32_e32 v20, v20, v30
	v_dual_add_f32 v18, v18, v22 :: v_dual_add_f32 v21, v21, v36
	s_delay_alu instid0(VALU_DEP_3)
	v_add_f32_e32 v7, v7, v0
	s_and_not1_b32 exec_lo, exec_lo, s9
	s_cbranch_execz .LBB179_1097
.LBB179_553:                            ; =>This Inner Loop Header: Depth=1
	global_load_b32 v0, v[26:27], off
	ds_load_b128 v[2:5], v100
	v_mov_b64_e32 v[28:29], 0
	v_mov_b64_e32 v[30:31], 0
	s_mov_b32 s0, exec_lo
	s_wait_loadcnt 0x0
	v_mad_nc_i64_i32 v[32:33], v0, s6, v[24:25]
	global_load_b32 v0, v[32:33], off
	s_wait_loadcnt 0x0
	v_and_b32_e32 v1, 0xff, v0
	s_delay_alu instid0(VALU_DEP_1)
	v_cmpx_ne_u16_e32 0, v1
	s_cbranch_execz .LBB179_561
; %bb.554:                              ;   in Loop: Header=BB179_553 Depth=1
	v_mov_b64_e32 v[30:31], 0x80000000
	s_mov_b32 s11, exec_lo
	v_cmpx_ne_u16_e32 0x80, v1
	s_cbranch_execz .LBB179_560
; %bb.555:                              ;   in Loop: Header=BB179_553 Depth=1
	v_mov_b64_e32 v[30:31], 0x7f800001
	v_and_b32_e32 v34, 0x7f, v0
	s_mov_b32 s13, exec_lo
	s_delay_alu instid0(VALU_DEP_1)
	v_cmpx_ne_u32_e32 0x7f, v34
	s_cbranch_execz .LBB179_559
; %bb.556:                              ;   in Loop: Header=BB179_553 Depth=1
	v_dual_lshrrev_b32 v1, 3, v34 :: v_dual_bitop2_b32 v22, 7, v0 bitop3:0x40
	s_mov_b32 s14, exec_lo
	v_cmpx_gt_u32_e32 8, v34
; %bb.557:                              ;   in Loop: Header=BB179_553 Depth=1
	s_delay_alu instid0(VALU_DEP_2) | instskip(NEXT) | instid1(VALU_DEP_1)
	v_clz_i32_u32_e32 v1, v22
	v_min_u32_e32 v1, 32, v1
	s_delay_alu instid0(VALU_DEP_1) | instskip(NEXT) | instid1(VALU_DEP_1)
	v_subrev_nc_u32_e32 v30, 28, v1
	v_lshlrev_b64_e32 v[30:31], v30, v[22:23]
	s_delay_alu instid0(VALU_DEP_1)
	v_dual_sub_nc_u32 v1, 29, v1 :: v_dual_bitop2_b32 v22, 7, v30 bitop3:0x40
; %bb.558:                              ;   in Loop: Header=BB179_553 Depth=1
	s_or_b32 exec_lo, exec_lo, s14
	s_delay_alu instid0(VALU_DEP_1) | instskip(NEXT) | instid1(VALU_DEP_2)
	v_dual_lshlrev_b32 v30, 24, v0 :: v_dual_lshlrev_b32 v22, 20, v22
	v_lshl_add_u32 v1, v1, 23, 0x3c000000
	s_delay_alu instid0(VALU_DEP_2) | instskip(NEXT) | instid1(VALU_DEP_1)
	v_and_b32_e32 v30, 0x80000000, v30
	v_or3_b32 v22, v22, v30, v1
	s_delay_alu instid0(VALU_DEP_1)
	v_mov_b64_e32 v[30:31], v[22:23]
.LBB179_559:                            ;   in Loop: Header=BB179_553 Depth=1
	s_or_b32 exec_lo, exec_lo, s13
.LBB179_560:                            ;   in Loop: Header=BB179_553 Depth=1
	s_delay_alu instid0(SALU_CYCLE_1)
	s_or_b32 exec_lo, exec_lo, s11
.LBB179_561:                            ;   in Loop: Header=BB179_553 Depth=1
	s_delay_alu instid0(SALU_CYCLE_1) | instskip(SKIP_2) | instid1(VALU_DEP_1)
	s_or_b32 exec_lo, exec_lo, s0
	v_lshrrev_b16 v1, 8, v0
	s_mov_b32 s0, exec_lo
	v_cmpx_ne_u16_e32 0, v1
	s_cbranch_execz .LBB179_569
; %bb.562:                              ;   in Loop: Header=BB179_553 Depth=1
	v_mov_b64_e32 v[28:29], 0x8000000000000000
	s_mov_b32 s11, exec_lo
	v_cmpx_ne_u16_e32 0x80, v1
	s_cbranch_execz .LBB179_568
; %bb.563:                              ;   in Loop: Header=BB179_553 Depth=1
	v_and_b32_e32 v1, 0xffff, v1
	v_mov_b64_e32 v[28:29], 0x7f80000100000000
	s_mov_b32 s13, exec_lo
	s_delay_alu instid0(VALU_DEP_2) | instskip(NEXT) | instid1(VALU_DEP_1)
	v_and_b32_e32 v34, 0x7f, v1
	v_cmpx_ne_u32_e32 0x7f, v34
	s_cbranch_execz .LBB179_567
; %bb.564:                              ;   in Loop: Header=BB179_553 Depth=1
	v_dual_lshrrev_b32 v1, 3, v34 :: v_dual_bitop2_b32 v22, 7, v1 bitop3:0x40
	s_mov_b32 s14, exec_lo
	v_cmpx_gt_u32_e32 8, v34
; %bb.565:                              ;   in Loop: Header=BB179_553 Depth=1
	s_delay_alu instid0(VALU_DEP_2) | instskip(NEXT) | instid1(VALU_DEP_1)
	v_clz_i32_u32_e32 v1, v22
	v_min_u32_e32 v1, 32, v1
	s_delay_alu instid0(VALU_DEP_1) | instskip(NEXT) | instid1(VALU_DEP_1)
	v_subrev_nc_u32_e32 v28, 28, v1
	v_lshlrev_b64_e32 v[28:29], v28, v[22:23]
	s_delay_alu instid0(VALU_DEP_1)
	v_dual_sub_nc_u32 v1, 29, v1 :: v_dual_bitop2_b32 v22, 7, v28 bitop3:0x40
; %bb.566:                              ;   in Loop: Header=BB179_553 Depth=1
	s_or_b32 exec_lo, exec_lo, s14
	s_delay_alu instid0(VALU_DEP_1) | instskip(NEXT) | instid1(VALU_DEP_2)
	v_dual_lshlrev_b32 v28, 16, v0 :: v_dual_lshlrev_b32 v22, 20, v22
	v_lshl_add_u32 v1, v1, 23, 0x3c000000
	s_delay_alu instid0(VALU_DEP_2) | instskip(NEXT) | instid1(VALU_DEP_1)
	v_and_b32_e32 v28, 0x80000000, v28
	v_or3_b32 v29, v22, v28, v1
	v_mov_b32_e32 v28, v23
.LBB179_567:                            ;   in Loop: Header=BB179_553 Depth=1
	s_or_b32 exec_lo, exec_lo, s13
.LBB179_568:                            ;   in Loop: Header=BB179_553 Depth=1
	s_delay_alu instid0(SALU_CYCLE_1)
	s_or_b32 exec_lo, exec_lo, s11
.LBB179_569:                            ;   in Loop: Header=BB179_553 Depth=1
	s_delay_alu instid0(SALU_CYCLE_1) | instskip(SKIP_4) | instid1(VALU_DEP_3)
	s_or_b32 exec_lo, exec_lo, s0
	v_lshrrev_b32_e32 v1, 16, v0
	v_mov_b64_e32 v[34:35], 0
	v_mov_b64_e32 v[36:37], 0
	s_mov_b32 s0, exec_lo
	v_and_b32_e32 v22, 0xff, v1
	s_delay_alu instid0(VALU_DEP_1)
	v_cmpx_ne_u16_e32 0, v22
	s_cbranch_execz .LBB179_577
; %bb.570:                              ;   in Loop: Header=BB179_553 Depth=1
	v_mov_b64_e32 v[36:37], 0x80000000
	s_mov_b32 s11, exec_lo
	v_cmpx_ne_u16_e32 0x80, v22
	s_cbranch_execz .LBB179_576
; %bb.571:                              ;   in Loop: Header=BB179_553 Depth=1
	v_mov_b64_e32 v[36:37], 0x7f800001
	v_bfe_u32 v38, v0, 16, 7
	s_mov_b32 s13, exec_lo
	s_delay_alu instid0(VALU_DEP_1)
	v_cmpx_ne_u32_e32 0x7f, v38
	s_cbranch_execz .LBB179_575
; %bb.572:                              ;   in Loop: Header=BB179_553 Depth=1
	v_dual_lshrrev_b32 v36, 3, v38 :: v_dual_bitop2_b32 v22, 7, v1 bitop3:0x40
	s_mov_b32 s14, exec_lo
	v_cmpx_gt_u32_e32 8, v38
; %bb.573:                              ;   in Loop: Header=BB179_553 Depth=1
	s_delay_alu instid0(VALU_DEP_2) | instskip(NEXT) | instid1(VALU_DEP_1)
	v_clz_i32_u32_e32 v36, v22
	v_min_u32_e32 v36, 32, v36
	s_delay_alu instid0(VALU_DEP_1) | instskip(NEXT) | instid1(VALU_DEP_1)
	v_subrev_nc_u32_e32 v37, 28, v36
	v_lshlrev_b64_e32 v[38:39], v37, v[22:23]
	s_delay_alu instid0(VALU_DEP_1)
	v_dual_sub_nc_u32 v36, 29, v36 :: v_dual_bitop2_b32 v22, 7, v38 bitop3:0x40
; %bb.574:                              ;   in Loop: Header=BB179_553 Depth=1
	s_or_b32 exec_lo, exec_lo, s14
	s_delay_alu instid0(VALU_DEP_1) | instskip(NEXT) | instid1(VALU_DEP_2)
	v_dual_lshlrev_b32 v1, 24, v1 :: v_dual_lshlrev_b32 v22, 20, v22
	v_lshl_add_u32 v36, v36, 23, 0x3c000000
	s_delay_alu instid0(VALU_DEP_2) | instskip(NEXT) | instid1(VALU_DEP_1)
	v_and_b32_e32 v1, 0x80000000, v1
	v_or3_b32 v22, v22, v1, v36
	s_delay_alu instid0(VALU_DEP_1)
	v_mov_b64_e32 v[36:37], v[22:23]
.LBB179_575:                            ;   in Loop: Header=BB179_553 Depth=1
	s_or_b32 exec_lo, exec_lo, s13
.LBB179_576:                            ;   in Loop: Header=BB179_553 Depth=1
	s_delay_alu instid0(SALU_CYCLE_1)
	s_or_b32 exec_lo, exec_lo, s11
.LBB179_577:                            ;   in Loop: Header=BB179_553 Depth=1
	s_delay_alu instid0(SALU_CYCLE_1) | instskip(NEXT) | instid1(SALU_CYCLE_1)
	s_or_b32 exec_lo, exec_lo, s0
	s_mov_b32 s0, exec_lo
	v_cmpx_lt_u32_e32 0xffffff, v0
	s_cbranch_execz .LBB179_585
; %bb.578:                              ;   in Loop: Header=BB179_553 Depth=1
	v_mov_b64_e32 v[34:35], 0x8000000000000000
	v_lshrrev_b32_e32 v1, 24, v0
	s_mov_b32 s11, exec_lo
	s_delay_alu instid0(VALU_DEP_1)
	v_cmpx_ne_u32_e32 0x80, v1
	s_cbranch_execz .LBB179_584
; %bb.579:                              ;   in Loop: Header=BB179_553 Depth=1
	v_mov_b64_e32 v[34:35], 0x7f80000100000000
	v_bfe_u32 v38, v0, 24, 7
	s_mov_b32 s13, exec_lo
	s_delay_alu instid0(VALU_DEP_1)
	v_cmpx_ne_u32_e32 0x7f, v38
	s_cbranch_execz .LBB179_583
; %bb.580:                              ;   in Loop: Header=BB179_553 Depth=1
	v_dual_lshrrev_b32 v0, 3, v38 :: v_dual_bitop2_b32 v22, 7, v1 bitop3:0x40
	s_mov_b32 s14, exec_lo
	v_cmpx_gt_u32_e32 8, v38
; %bb.581:                              ;   in Loop: Header=BB179_553 Depth=1
	s_delay_alu instid0(VALU_DEP_2) | instskip(NEXT) | instid1(VALU_DEP_1)
	v_clz_i32_u32_e32 v0, v22
	v_min_u32_e32 v0, 32, v0
	s_delay_alu instid0(VALU_DEP_1) | instskip(NEXT) | instid1(VALU_DEP_1)
	v_subrev_nc_u32_e32 v34, 28, v0
	v_lshlrev_b64_e32 v[34:35], v34, v[22:23]
	s_delay_alu instid0(VALU_DEP_1)
	v_dual_sub_nc_u32 v0, 29, v0 :: v_dual_bitop2_b32 v22, 7, v34 bitop3:0x40
; %bb.582:                              ;   in Loop: Header=BB179_553 Depth=1
	s_or_b32 exec_lo, exec_lo, s14
	s_delay_alu instid0(VALU_DEP_1) | instskip(NEXT) | instid1(VALU_DEP_2)
	v_dual_lshlrev_b32 v1, 24, v1 :: v_dual_lshlrev_b32 v22, 20, v22
	v_lshl_add_u32 v0, v0, 23, 0x3c000000
	v_mov_b32_e32 v34, v23
	s_delay_alu instid0(VALU_DEP_3) | instskip(NEXT) | instid1(VALU_DEP_1)
	v_and_b32_e32 v1, 0x80000000, v1
	v_or3_b32 v35, v22, v1, v0
.LBB179_583:                            ;   in Loop: Header=BB179_553 Depth=1
	s_or_b32 exec_lo, exec_lo, s13
.LBB179_584:                            ;   in Loop: Header=BB179_553 Depth=1
	s_delay_alu instid0(SALU_CYCLE_1)
	s_or_b32 exec_lo, exec_lo, s11
.LBB179_585:                            ;   in Loop: Header=BB179_553 Depth=1
	s_delay_alu instid0(SALU_CYCLE_1)
	s_or_b32 exec_lo, exec_lo, s0
	v_or_b32_e32 v1, v29, v31
	v_dual_add_nc_u32 v102, 1, v99 :: v_dual_bitop2_b32 v0, v28, v30 bitop3:0x54
	v_mov_b64_e32 v[28:29], s[2:3]
	v_dual_add_nc_u32 v95, 2, v99 :: v_dual_bitop2_b32 v35, v35, v37 bitop3:0x54
	v_dual_add_nc_u32 v94, 3, v99 :: v_dual_bitop2_b32 v34, v34, v36 bitop3:0x54
	v_cmp_eq_u32_e32 vcc_lo, s7, v101
	s_delay_alu instid0(VALU_DEP_4) | instskip(NEXT) | instid1(VALU_DEP_3)
	v_pk_mul_f32 v[30:31], v[28:29], v[0:1]
	v_pk_mul_f32 v[28:29], v[28:29], v[34:35]
	s_and_saveexec_b32 s11, vcc_lo
	s_cbranch_execz .LBB179_587
; %bb.586:                              ;   in Loop: Header=BB179_553 Depth=1
	v_cmp_gt_i32_e64 s0, s24, v99
	s_delay_alu instid0(VALU_DEP_1) | instskip(SKIP_1) | instid1(VALU_DEP_1)
	v_cndmask_b32_e64 v30, 0, v30, s0
	v_cmp_gt_i32_e64 s0, s24, v102
	v_cndmask_b32_e64 v31, 0, v31, s0
	v_cmp_gt_i32_e64 s0, s24, v95
	s_delay_alu instid0(VALU_DEP_1) | instskip(SKIP_1) | instid1(VALU_DEP_1)
	v_cndmask_b32_e64 v28, 0, v28, s0
	v_cmp_gt_i32_e64 s0, s24, v94
	v_cndmask_b32_e64 v29, 0, v29, s0
.LBB179_587:                            ;   in Loop: Header=BB179_553 Depth=1
	s_or_b32 exec_lo, exec_lo, s11
	global_load_b32 v0, v[32:33], off offset:128
	v_mov_b64_e32 v[34:35], 0
	v_mov_b64_e32 v[36:37], 0
	s_mov_b32 s11, exec_lo
	s_wait_loadcnt 0x0
	v_and_b32_e32 v1, 0xff, v0
	s_delay_alu instid0(VALU_DEP_1)
	v_cmpx_ne_u16_e32 0, v1
	s_cbranch_execz .LBB179_595
; %bb.588:                              ;   in Loop: Header=BB179_553 Depth=1
	v_mov_b64_e32 v[36:37], 0x80000000
	s_mov_b32 s13, exec_lo
	v_cmpx_ne_u16_e32 0x80, v1
	s_cbranch_execz .LBB179_594
; %bb.589:                              ;   in Loop: Header=BB179_553 Depth=1
	v_mov_b64_e32 v[36:37], 0x7f800001
	v_and_b32_e32 v38, 0x7f, v0
	s_mov_b32 s14, exec_lo
	s_delay_alu instid0(VALU_DEP_1)
	v_cmpx_ne_u32_e32 0x7f, v38
	s_cbranch_execz .LBB179_593
; %bb.590:                              ;   in Loop: Header=BB179_553 Depth=1
	v_dual_lshrrev_b32 v1, 3, v38 :: v_dual_bitop2_b32 v22, 7, v0 bitop3:0x40
	s_mov_b32 s15, exec_lo
	v_cmpx_gt_u32_e32 8, v38
; %bb.591:                              ;   in Loop: Header=BB179_553 Depth=1
	s_delay_alu instid0(VALU_DEP_2) | instskip(NEXT) | instid1(VALU_DEP_1)
	v_clz_i32_u32_e32 v1, v22
	v_min_u32_e32 v1, 32, v1
	s_delay_alu instid0(VALU_DEP_1) | instskip(NEXT) | instid1(VALU_DEP_1)
	v_subrev_nc_u32_e32 v36, 28, v1
	v_lshlrev_b64_e32 v[36:37], v36, v[22:23]
	s_delay_alu instid0(VALU_DEP_1)
	v_dual_sub_nc_u32 v1, 29, v1 :: v_dual_bitop2_b32 v22, 7, v36 bitop3:0x40
; %bb.592:                              ;   in Loop: Header=BB179_553 Depth=1
	s_or_b32 exec_lo, exec_lo, s15
	s_delay_alu instid0(VALU_DEP_1) | instskip(NEXT) | instid1(VALU_DEP_2)
	v_dual_lshlrev_b32 v36, 24, v0 :: v_dual_lshlrev_b32 v22, 20, v22
	v_lshl_add_u32 v1, v1, 23, 0x3c000000
	s_delay_alu instid0(VALU_DEP_2) | instskip(NEXT) | instid1(VALU_DEP_1)
	v_and_b32_e32 v36, 0x80000000, v36
	v_or3_b32 v22, v22, v36, v1
	s_delay_alu instid0(VALU_DEP_1)
	v_mov_b64_e32 v[36:37], v[22:23]
.LBB179_593:                            ;   in Loop: Header=BB179_553 Depth=1
	s_or_b32 exec_lo, exec_lo, s14
.LBB179_594:                            ;   in Loop: Header=BB179_553 Depth=1
	s_delay_alu instid0(SALU_CYCLE_1)
	s_or_b32 exec_lo, exec_lo, s13
.LBB179_595:                            ;   in Loop: Header=BB179_553 Depth=1
	s_delay_alu instid0(SALU_CYCLE_1) | instskip(SKIP_2) | instid1(VALU_DEP_1)
	s_or_b32 exec_lo, exec_lo, s11
	v_lshrrev_b16 v1, 8, v0
	s_mov_b32 s11, exec_lo
	v_cmpx_ne_u16_e32 0, v1
	s_cbranch_execz .LBB179_603
; %bb.596:                              ;   in Loop: Header=BB179_553 Depth=1
	v_mov_b64_e32 v[34:35], 0x8000000000000000
	s_mov_b32 s13, exec_lo
	v_cmpx_ne_u16_e32 0x80, v1
	s_cbranch_execz .LBB179_602
; %bb.597:                              ;   in Loop: Header=BB179_553 Depth=1
	v_and_b32_e32 v1, 0xffff, v1
	v_mov_b64_e32 v[34:35], 0x7f80000100000000
	s_mov_b32 s14, exec_lo
	s_delay_alu instid0(VALU_DEP_2) | instskip(NEXT) | instid1(VALU_DEP_1)
	v_and_b32_e32 v38, 0x7f, v1
	v_cmpx_ne_u32_e32 0x7f, v38
	s_cbranch_execz .LBB179_601
; %bb.598:                              ;   in Loop: Header=BB179_553 Depth=1
	v_dual_lshrrev_b32 v1, 3, v38 :: v_dual_bitop2_b32 v22, 7, v1 bitop3:0x40
	s_mov_b32 s15, exec_lo
	v_cmpx_gt_u32_e32 8, v38
; %bb.599:                              ;   in Loop: Header=BB179_553 Depth=1
	s_delay_alu instid0(VALU_DEP_2) | instskip(NEXT) | instid1(VALU_DEP_1)
	v_clz_i32_u32_e32 v1, v22
	v_min_u32_e32 v1, 32, v1
	s_delay_alu instid0(VALU_DEP_1) | instskip(NEXT) | instid1(VALU_DEP_1)
	v_subrev_nc_u32_e32 v34, 28, v1
	v_lshlrev_b64_e32 v[34:35], v34, v[22:23]
	s_delay_alu instid0(VALU_DEP_1)
	v_dual_sub_nc_u32 v1, 29, v1 :: v_dual_bitop2_b32 v22, 7, v34 bitop3:0x40
; %bb.600:                              ;   in Loop: Header=BB179_553 Depth=1
	s_or_b32 exec_lo, exec_lo, s15
	s_delay_alu instid0(VALU_DEP_1) | instskip(NEXT) | instid1(VALU_DEP_2)
	v_dual_lshlrev_b32 v34, 16, v0 :: v_dual_lshlrev_b32 v22, 20, v22
	v_lshl_add_u32 v1, v1, 23, 0x3c000000
	s_delay_alu instid0(VALU_DEP_2) | instskip(NEXT) | instid1(VALU_DEP_1)
	v_and_b32_e32 v34, 0x80000000, v34
	v_or3_b32 v35, v22, v34, v1
	v_mov_b32_e32 v34, v23
.LBB179_601:                            ;   in Loop: Header=BB179_553 Depth=1
	s_or_b32 exec_lo, exec_lo, s14
.LBB179_602:                            ;   in Loop: Header=BB179_553 Depth=1
	s_delay_alu instid0(SALU_CYCLE_1)
	s_or_b32 exec_lo, exec_lo, s13
.LBB179_603:                            ;   in Loop: Header=BB179_553 Depth=1
	s_delay_alu instid0(SALU_CYCLE_1) | instskip(SKIP_4) | instid1(VALU_DEP_3)
	s_or_b32 exec_lo, exec_lo, s11
	v_lshrrev_b32_e32 v1, 16, v0
	v_mov_b64_e32 v[38:39], 0
	v_mov_b64_e32 v[40:41], 0
	s_mov_b32 s11, exec_lo
	v_and_b32_e32 v22, 0xff, v1
	s_delay_alu instid0(VALU_DEP_1)
	v_cmpx_ne_u16_e32 0, v22
	s_cbranch_execz .LBB179_611
; %bb.604:                              ;   in Loop: Header=BB179_553 Depth=1
	v_mov_b64_e32 v[40:41], 0x80000000
	s_mov_b32 s13, exec_lo
	v_cmpx_ne_u16_e32 0x80, v22
	s_cbranch_execz .LBB179_610
; %bb.605:                              ;   in Loop: Header=BB179_553 Depth=1
	v_mov_b64_e32 v[40:41], 0x7f800001
	v_bfe_u32 v42, v0, 16, 7
	s_mov_b32 s14, exec_lo
	s_delay_alu instid0(VALU_DEP_1)
	v_cmpx_ne_u32_e32 0x7f, v42
	s_cbranch_execz .LBB179_609
; %bb.606:                              ;   in Loop: Header=BB179_553 Depth=1
	v_dual_lshrrev_b32 v40, 3, v42 :: v_dual_bitop2_b32 v22, 7, v1 bitop3:0x40
	s_mov_b32 s15, exec_lo
	v_cmpx_gt_u32_e32 8, v42
; %bb.607:                              ;   in Loop: Header=BB179_553 Depth=1
	s_delay_alu instid0(VALU_DEP_2) | instskip(NEXT) | instid1(VALU_DEP_1)
	v_clz_i32_u32_e32 v40, v22
	v_min_u32_e32 v40, 32, v40
	s_delay_alu instid0(VALU_DEP_1) | instskip(NEXT) | instid1(VALU_DEP_1)
	v_subrev_nc_u32_e32 v41, 28, v40
	v_lshlrev_b64_e32 v[42:43], v41, v[22:23]
	s_delay_alu instid0(VALU_DEP_1)
	v_dual_sub_nc_u32 v40, 29, v40 :: v_dual_bitop2_b32 v22, 7, v42 bitop3:0x40
; %bb.608:                              ;   in Loop: Header=BB179_553 Depth=1
	s_or_b32 exec_lo, exec_lo, s15
	s_delay_alu instid0(VALU_DEP_1) | instskip(NEXT) | instid1(VALU_DEP_2)
	v_dual_lshlrev_b32 v1, 24, v1 :: v_dual_lshlrev_b32 v22, 20, v22
	v_lshl_add_u32 v40, v40, 23, 0x3c000000
	s_delay_alu instid0(VALU_DEP_2) | instskip(NEXT) | instid1(VALU_DEP_1)
	v_and_b32_e32 v1, 0x80000000, v1
	v_or3_b32 v22, v22, v1, v40
	s_delay_alu instid0(VALU_DEP_1)
	v_mov_b64_e32 v[40:41], v[22:23]
.LBB179_609:                            ;   in Loop: Header=BB179_553 Depth=1
	s_or_b32 exec_lo, exec_lo, s14
.LBB179_610:                            ;   in Loop: Header=BB179_553 Depth=1
	s_delay_alu instid0(SALU_CYCLE_1)
	s_or_b32 exec_lo, exec_lo, s13
.LBB179_611:                            ;   in Loop: Header=BB179_553 Depth=1
	s_delay_alu instid0(SALU_CYCLE_1) | instskip(NEXT) | instid1(SALU_CYCLE_1)
	s_or_b32 exec_lo, exec_lo, s11
	s_mov_b32 s11, exec_lo
	v_cmpx_lt_u32_e32 0xffffff, v0
	s_cbranch_execz .LBB179_619
; %bb.612:                              ;   in Loop: Header=BB179_553 Depth=1
	v_mov_b64_e32 v[38:39], 0x8000000000000000
	v_lshrrev_b32_e32 v1, 24, v0
	s_mov_b32 s13, exec_lo
	s_delay_alu instid0(VALU_DEP_1)
	v_cmpx_ne_u32_e32 0x80, v1
	s_cbranch_execz .LBB179_618
; %bb.613:                              ;   in Loop: Header=BB179_553 Depth=1
	v_mov_b64_e32 v[38:39], 0x7f80000100000000
	v_bfe_u32 v42, v0, 24, 7
	s_mov_b32 s14, exec_lo
	s_delay_alu instid0(VALU_DEP_1)
	v_cmpx_ne_u32_e32 0x7f, v42
	s_cbranch_execz .LBB179_617
; %bb.614:                              ;   in Loop: Header=BB179_553 Depth=1
	v_dual_lshrrev_b32 v0, 3, v42 :: v_dual_bitop2_b32 v22, 7, v1 bitop3:0x40
	s_mov_b32 s15, exec_lo
	v_cmpx_gt_u32_e32 8, v42
; %bb.615:                              ;   in Loop: Header=BB179_553 Depth=1
	s_delay_alu instid0(VALU_DEP_2) | instskip(NEXT) | instid1(VALU_DEP_1)
	v_clz_i32_u32_e32 v0, v22
	v_min_u32_e32 v0, 32, v0
	s_delay_alu instid0(VALU_DEP_1) | instskip(NEXT) | instid1(VALU_DEP_1)
	v_subrev_nc_u32_e32 v38, 28, v0
	v_lshlrev_b64_e32 v[38:39], v38, v[22:23]
	s_delay_alu instid0(VALU_DEP_1)
	v_dual_sub_nc_u32 v0, 29, v0 :: v_dual_bitop2_b32 v22, 7, v38 bitop3:0x40
; %bb.616:                              ;   in Loop: Header=BB179_553 Depth=1
	s_or_b32 exec_lo, exec_lo, s15
	s_delay_alu instid0(VALU_DEP_1) | instskip(NEXT) | instid1(VALU_DEP_2)
	v_dual_lshlrev_b32 v1, 24, v1 :: v_dual_lshlrev_b32 v22, 20, v22
	v_lshl_add_u32 v0, v0, 23, 0x3c000000
	v_mov_b32_e32 v38, v23
	s_delay_alu instid0(VALU_DEP_3) | instskip(NEXT) | instid1(VALU_DEP_1)
	v_and_b32_e32 v1, 0x80000000, v1
	v_or3_b32 v39, v22, v1, v0
.LBB179_617:                            ;   in Loop: Header=BB179_553 Depth=1
	s_or_b32 exec_lo, exec_lo, s14
.LBB179_618:                            ;   in Loop: Header=BB179_553 Depth=1
	s_delay_alu instid0(SALU_CYCLE_1)
	s_or_b32 exec_lo, exec_lo, s13
.LBB179_619:                            ;   in Loop: Header=BB179_553 Depth=1
	s_delay_alu instid0(SALU_CYCLE_1)
	s_or_b32 exec_lo, exec_lo, s11
	v_or_b32_e32 v1, v35, v37
	v_or_b32_e32 v0, v34, v36
	v_mov_b64_e32 v[34:35], s[2:3]
	v_or_b32_e32 v39, v39, v41
	v_or_b32_e32 v38, v38, v40
	s_delay_alu instid0(VALU_DEP_3) | instskip(NEXT) | instid1(VALU_DEP_2)
	v_pk_mul_f32 v[36:37], v[34:35], v[0:1]
	v_pk_mul_f32 v[34:35], v[34:35], v[38:39]
	s_and_saveexec_b32 s11, vcc_lo
	s_cbranch_execz .LBB179_621
; %bb.620:                              ;   in Loop: Header=BB179_553 Depth=1
	v_cmp_gt_i32_e64 s0, s24, v99
	s_delay_alu instid0(VALU_DEP_1) | instskip(SKIP_1) | instid1(VALU_DEP_1)
	v_cndmask_b32_e64 v36, 0, v36, s0
	v_cmp_gt_i32_e64 s0, s24, v102
	v_cndmask_b32_e64 v37, 0, v37, s0
	v_cmp_gt_i32_e64 s0, s24, v95
	s_delay_alu instid0(VALU_DEP_1) | instskip(SKIP_1) | instid1(VALU_DEP_1)
	v_cndmask_b32_e64 v34, 0, v34, s0
	v_cmp_gt_i32_e64 s0, s24, v94
	v_cndmask_b32_e64 v35, 0, v35, s0
.LBB179_621:                            ;   in Loop: Header=BB179_553 Depth=1
	s_or_b32 exec_lo, exec_lo, s11
	global_load_b32 v0, v[32:33], off offset:256
	v_mov_b64_e32 v[38:39], 0
	v_mov_b64_e32 v[40:41], 0
	s_mov_b32 s11, exec_lo
	s_wait_loadcnt 0x0
	v_and_b32_e32 v1, 0xff, v0
	s_delay_alu instid0(VALU_DEP_1)
	v_cmpx_ne_u16_e32 0, v1
	s_cbranch_execz .LBB179_629
; %bb.622:                              ;   in Loop: Header=BB179_553 Depth=1
	v_mov_b64_e32 v[40:41], 0x80000000
	s_mov_b32 s13, exec_lo
	v_cmpx_ne_u16_e32 0x80, v1
	s_cbranch_execz .LBB179_628
; %bb.623:                              ;   in Loop: Header=BB179_553 Depth=1
	v_mov_b64_e32 v[40:41], 0x7f800001
	v_and_b32_e32 v42, 0x7f, v0
	s_mov_b32 s14, exec_lo
	s_delay_alu instid0(VALU_DEP_1)
	v_cmpx_ne_u32_e32 0x7f, v42
	s_cbranch_execz .LBB179_627
; %bb.624:                              ;   in Loop: Header=BB179_553 Depth=1
	v_dual_lshrrev_b32 v1, 3, v42 :: v_dual_bitop2_b32 v22, 7, v0 bitop3:0x40
	s_mov_b32 s15, exec_lo
	v_cmpx_gt_u32_e32 8, v42
; %bb.625:                              ;   in Loop: Header=BB179_553 Depth=1
	s_delay_alu instid0(VALU_DEP_2) | instskip(NEXT) | instid1(VALU_DEP_1)
	v_clz_i32_u32_e32 v1, v22
	v_min_u32_e32 v1, 32, v1
	s_delay_alu instid0(VALU_DEP_1) | instskip(NEXT) | instid1(VALU_DEP_1)
	v_subrev_nc_u32_e32 v40, 28, v1
	v_lshlrev_b64_e32 v[40:41], v40, v[22:23]
	s_delay_alu instid0(VALU_DEP_1)
	v_dual_sub_nc_u32 v1, 29, v1 :: v_dual_bitop2_b32 v22, 7, v40 bitop3:0x40
; %bb.626:                              ;   in Loop: Header=BB179_553 Depth=1
	s_or_b32 exec_lo, exec_lo, s15
	s_delay_alu instid0(VALU_DEP_1) | instskip(NEXT) | instid1(VALU_DEP_2)
	v_dual_lshlrev_b32 v40, 24, v0 :: v_dual_lshlrev_b32 v22, 20, v22
	v_lshl_add_u32 v1, v1, 23, 0x3c000000
	s_delay_alu instid0(VALU_DEP_2) | instskip(NEXT) | instid1(VALU_DEP_1)
	v_and_b32_e32 v40, 0x80000000, v40
	v_or3_b32 v22, v22, v40, v1
	s_delay_alu instid0(VALU_DEP_1)
	v_mov_b64_e32 v[40:41], v[22:23]
.LBB179_627:                            ;   in Loop: Header=BB179_553 Depth=1
	s_or_b32 exec_lo, exec_lo, s14
.LBB179_628:                            ;   in Loop: Header=BB179_553 Depth=1
	s_delay_alu instid0(SALU_CYCLE_1)
	s_or_b32 exec_lo, exec_lo, s13
.LBB179_629:                            ;   in Loop: Header=BB179_553 Depth=1
	s_delay_alu instid0(SALU_CYCLE_1) | instskip(SKIP_2) | instid1(VALU_DEP_1)
	s_or_b32 exec_lo, exec_lo, s11
	v_lshrrev_b16 v1, 8, v0
	s_mov_b32 s11, exec_lo
	v_cmpx_ne_u16_e32 0, v1
	s_cbranch_execz .LBB179_637
; %bb.630:                              ;   in Loop: Header=BB179_553 Depth=1
	v_mov_b64_e32 v[38:39], 0x8000000000000000
	s_mov_b32 s13, exec_lo
	v_cmpx_ne_u16_e32 0x80, v1
	s_cbranch_execz .LBB179_636
; %bb.631:                              ;   in Loop: Header=BB179_553 Depth=1
	v_and_b32_e32 v1, 0xffff, v1
	v_mov_b64_e32 v[38:39], 0x7f80000100000000
	s_mov_b32 s14, exec_lo
	s_delay_alu instid0(VALU_DEP_2) | instskip(NEXT) | instid1(VALU_DEP_1)
	v_and_b32_e32 v42, 0x7f, v1
	v_cmpx_ne_u32_e32 0x7f, v42
	s_cbranch_execz .LBB179_635
; %bb.632:                              ;   in Loop: Header=BB179_553 Depth=1
	v_dual_lshrrev_b32 v1, 3, v42 :: v_dual_bitop2_b32 v22, 7, v1 bitop3:0x40
	s_mov_b32 s15, exec_lo
	v_cmpx_gt_u32_e32 8, v42
; %bb.633:                              ;   in Loop: Header=BB179_553 Depth=1
	s_delay_alu instid0(VALU_DEP_2) | instskip(NEXT) | instid1(VALU_DEP_1)
	v_clz_i32_u32_e32 v1, v22
	v_min_u32_e32 v1, 32, v1
	s_delay_alu instid0(VALU_DEP_1) | instskip(NEXT) | instid1(VALU_DEP_1)
	v_subrev_nc_u32_e32 v38, 28, v1
	v_lshlrev_b64_e32 v[38:39], v38, v[22:23]
	s_delay_alu instid0(VALU_DEP_1)
	v_dual_sub_nc_u32 v1, 29, v1 :: v_dual_bitop2_b32 v22, 7, v38 bitop3:0x40
; %bb.634:                              ;   in Loop: Header=BB179_553 Depth=1
	s_or_b32 exec_lo, exec_lo, s15
	s_delay_alu instid0(VALU_DEP_1) | instskip(NEXT) | instid1(VALU_DEP_2)
	v_dual_lshlrev_b32 v38, 16, v0 :: v_dual_lshlrev_b32 v22, 20, v22
	v_lshl_add_u32 v1, v1, 23, 0x3c000000
	s_delay_alu instid0(VALU_DEP_2) | instskip(NEXT) | instid1(VALU_DEP_1)
	v_and_b32_e32 v38, 0x80000000, v38
	v_or3_b32 v39, v22, v38, v1
	v_mov_b32_e32 v38, v23
.LBB179_635:                            ;   in Loop: Header=BB179_553 Depth=1
	s_or_b32 exec_lo, exec_lo, s14
.LBB179_636:                            ;   in Loop: Header=BB179_553 Depth=1
	s_delay_alu instid0(SALU_CYCLE_1)
	s_or_b32 exec_lo, exec_lo, s13
.LBB179_637:                            ;   in Loop: Header=BB179_553 Depth=1
	s_delay_alu instid0(SALU_CYCLE_1) | instskip(SKIP_4) | instid1(VALU_DEP_3)
	s_or_b32 exec_lo, exec_lo, s11
	v_lshrrev_b32_e32 v1, 16, v0
	v_mov_b64_e32 v[42:43], 0
	v_mov_b64_e32 v[44:45], 0
	s_mov_b32 s11, exec_lo
	v_and_b32_e32 v22, 0xff, v1
	s_delay_alu instid0(VALU_DEP_1)
	v_cmpx_ne_u16_e32 0, v22
	s_cbranch_execz .LBB179_645
; %bb.638:                              ;   in Loop: Header=BB179_553 Depth=1
	v_mov_b64_e32 v[44:45], 0x80000000
	s_mov_b32 s13, exec_lo
	v_cmpx_ne_u16_e32 0x80, v22
	s_cbranch_execz .LBB179_644
; %bb.639:                              ;   in Loop: Header=BB179_553 Depth=1
	v_mov_b64_e32 v[44:45], 0x7f800001
	v_bfe_u32 v46, v0, 16, 7
	s_mov_b32 s14, exec_lo
	s_delay_alu instid0(VALU_DEP_1)
	v_cmpx_ne_u32_e32 0x7f, v46
	s_cbranch_execz .LBB179_643
; %bb.640:                              ;   in Loop: Header=BB179_553 Depth=1
	v_dual_lshrrev_b32 v44, 3, v46 :: v_dual_bitop2_b32 v22, 7, v1 bitop3:0x40
	s_mov_b32 s15, exec_lo
	v_cmpx_gt_u32_e32 8, v46
; %bb.641:                              ;   in Loop: Header=BB179_553 Depth=1
	s_delay_alu instid0(VALU_DEP_2) | instskip(NEXT) | instid1(VALU_DEP_1)
	v_clz_i32_u32_e32 v44, v22
	v_min_u32_e32 v44, 32, v44
	s_delay_alu instid0(VALU_DEP_1) | instskip(NEXT) | instid1(VALU_DEP_1)
	v_subrev_nc_u32_e32 v45, 28, v44
	v_lshlrev_b64_e32 v[46:47], v45, v[22:23]
	s_delay_alu instid0(VALU_DEP_1)
	v_dual_sub_nc_u32 v44, 29, v44 :: v_dual_bitop2_b32 v22, 7, v46 bitop3:0x40
; %bb.642:                              ;   in Loop: Header=BB179_553 Depth=1
	s_or_b32 exec_lo, exec_lo, s15
	s_delay_alu instid0(VALU_DEP_1) | instskip(NEXT) | instid1(VALU_DEP_2)
	v_dual_lshlrev_b32 v1, 24, v1 :: v_dual_lshlrev_b32 v22, 20, v22
	v_lshl_add_u32 v44, v44, 23, 0x3c000000
	s_delay_alu instid0(VALU_DEP_2) | instskip(NEXT) | instid1(VALU_DEP_1)
	v_and_b32_e32 v1, 0x80000000, v1
	v_or3_b32 v22, v22, v1, v44
	s_delay_alu instid0(VALU_DEP_1)
	v_mov_b64_e32 v[44:45], v[22:23]
.LBB179_643:                            ;   in Loop: Header=BB179_553 Depth=1
	s_or_b32 exec_lo, exec_lo, s14
.LBB179_644:                            ;   in Loop: Header=BB179_553 Depth=1
	s_delay_alu instid0(SALU_CYCLE_1)
	s_or_b32 exec_lo, exec_lo, s13
.LBB179_645:                            ;   in Loop: Header=BB179_553 Depth=1
	s_delay_alu instid0(SALU_CYCLE_1) | instskip(NEXT) | instid1(SALU_CYCLE_1)
	s_or_b32 exec_lo, exec_lo, s11
	s_mov_b32 s11, exec_lo
	v_cmpx_lt_u32_e32 0xffffff, v0
	s_cbranch_execz .LBB179_653
; %bb.646:                              ;   in Loop: Header=BB179_553 Depth=1
	v_mov_b64_e32 v[42:43], 0x8000000000000000
	v_lshrrev_b32_e32 v1, 24, v0
	s_mov_b32 s13, exec_lo
	s_delay_alu instid0(VALU_DEP_1)
	v_cmpx_ne_u32_e32 0x80, v1
	s_cbranch_execz .LBB179_652
; %bb.647:                              ;   in Loop: Header=BB179_553 Depth=1
	v_mov_b64_e32 v[42:43], 0x7f80000100000000
	v_bfe_u32 v46, v0, 24, 7
	s_mov_b32 s14, exec_lo
	s_delay_alu instid0(VALU_DEP_1)
	v_cmpx_ne_u32_e32 0x7f, v46
	s_cbranch_execz .LBB179_651
; %bb.648:                              ;   in Loop: Header=BB179_553 Depth=1
	v_dual_lshrrev_b32 v0, 3, v46 :: v_dual_bitop2_b32 v22, 7, v1 bitop3:0x40
	s_mov_b32 s15, exec_lo
	v_cmpx_gt_u32_e32 8, v46
; %bb.649:                              ;   in Loop: Header=BB179_553 Depth=1
	s_delay_alu instid0(VALU_DEP_2) | instskip(NEXT) | instid1(VALU_DEP_1)
	v_clz_i32_u32_e32 v0, v22
	v_min_u32_e32 v0, 32, v0
	s_delay_alu instid0(VALU_DEP_1) | instskip(NEXT) | instid1(VALU_DEP_1)
	v_subrev_nc_u32_e32 v42, 28, v0
	v_lshlrev_b64_e32 v[42:43], v42, v[22:23]
	s_delay_alu instid0(VALU_DEP_1)
	v_dual_sub_nc_u32 v0, 29, v0 :: v_dual_bitop2_b32 v22, 7, v42 bitop3:0x40
; %bb.650:                              ;   in Loop: Header=BB179_553 Depth=1
	s_or_b32 exec_lo, exec_lo, s15
	s_delay_alu instid0(VALU_DEP_1) | instskip(NEXT) | instid1(VALU_DEP_2)
	v_dual_lshlrev_b32 v1, 24, v1 :: v_dual_lshlrev_b32 v22, 20, v22
	v_lshl_add_u32 v0, v0, 23, 0x3c000000
	v_mov_b32_e32 v42, v23
	s_delay_alu instid0(VALU_DEP_3) | instskip(NEXT) | instid1(VALU_DEP_1)
	v_and_b32_e32 v1, 0x80000000, v1
	v_or3_b32 v43, v22, v1, v0
.LBB179_651:                            ;   in Loop: Header=BB179_553 Depth=1
	s_or_b32 exec_lo, exec_lo, s14
.LBB179_652:                            ;   in Loop: Header=BB179_553 Depth=1
	s_delay_alu instid0(SALU_CYCLE_1)
	s_or_b32 exec_lo, exec_lo, s13
.LBB179_653:                            ;   in Loop: Header=BB179_553 Depth=1
	s_delay_alu instid0(SALU_CYCLE_1)
	s_or_b32 exec_lo, exec_lo, s11
	v_or_b32_e32 v1, v39, v41
	v_or_b32_e32 v0, v38, v40
	v_mov_b64_e32 v[38:39], s[2:3]
	v_or_b32_e32 v43, v43, v45
	v_or_b32_e32 v42, v42, v44
	s_delay_alu instid0(VALU_DEP_3) | instskip(NEXT) | instid1(VALU_DEP_2)
	v_pk_mul_f32 v[40:41], v[38:39], v[0:1]
	v_pk_mul_f32 v[38:39], v[38:39], v[42:43]
	s_and_saveexec_b32 s11, vcc_lo
	s_cbranch_execz .LBB179_655
; %bb.654:                              ;   in Loop: Header=BB179_553 Depth=1
	v_cmp_gt_i32_e64 s0, s24, v99
	s_delay_alu instid0(VALU_DEP_1) | instskip(SKIP_1) | instid1(VALU_DEP_1)
	v_cndmask_b32_e64 v40, 0, v40, s0
	v_cmp_gt_i32_e64 s0, s24, v102
	v_cndmask_b32_e64 v41, 0, v41, s0
	v_cmp_gt_i32_e64 s0, s24, v95
	s_delay_alu instid0(VALU_DEP_1) | instskip(SKIP_1) | instid1(VALU_DEP_1)
	v_cndmask_b32_e64 v38, 0, v38, s0
	v_cmp_gt_i32_e64 s0, s24, v94
	v_cndmask_b32_e64 v39, 0, v39, s0
.LBB179_655:                            ;   in Loop: Header=BB179_553 Depth=1
	s_or_b32 exec_lo, exec_lo, s11
	global_load_b32 v0, v[32:33], off offset:384
	v_mov_b64_e32 v[42:43], 0
	v_mov_b64_e32 v[44:45], 0
	s_mov_b32 s11, exec_lo
	s_wait_loadcnt 0x0
	v_and_b32_e32 v1, 0xff, v0
	s_delay_alu instid0(VALU_DEP_1)
	v_cmpx_ne_u16_e32 0, v1
	s_cbranch_execz .LBB179_663
; %bb.656:                              ;   in Loop: Header=BB179_553 Depth=1
	v_mov_b64_e32 v[44:45], 0x80000000
	s_mov_b32 s13, exec_lo
	v_cmpx_ne_u16_e32 0x80, v1
	s_cbranch_execz .LBB179_662
; %bb.657:                              ;   in Loop: Header=BB179_553 Depth=1
	v_mov_b64_e32 v[44:45], 0x7f800001
	v_and_b32_e32 v46, 0x7f, v0
	s_mov_b32 s14, exec_lo
	s_delay_alu instid0(VALU_DEP_1)
	v_cmpx_ne_u32_e32 0x7f, v46
	s_cbranch_execz .LBB179_661
; %bb.658:                              ;   in Loop: Header=BB179_553 Depth=1
	v_dual_lshrrev_b32 v1, 3, v46 :: v_dual_bitop2_b32 v22, 7, v0 bitop3:0x40
	s_mov_b32 s15, exec_lo
	v_cmpx_gt_u32_e32 8, v46
; %bb.659:                              ;   in Loop: Header=BB179_553 Depth=1
	s_delay_alu instid0(VALU_DEP_2) | instskip(NEXT) | instid1(VALU_DEP_1)
	v_clz_i32_u32_e32 v1, v22
	v_min_u32_e32 v1, 32, v1
	s_delay_alu instid0(VALU_DEP_1) | instskip(NEXT) | instid1(VALU_DEP_1)
	v_subrev_nc_u32_e32 v44, 28, v1
	v_lshlrev_b64_e32 v[44:45], v44, v[22:23]
	s_delay_alu instid0(VALU_DEP_1)
	v_dual_sub_nc_u32 v1, 29, v1 :: v_dual_bitop2_b32 v22, 7, v44 bitop3:0x40
; %bb.660:                              ;   in Loop: Header=BB179_553 Depth=1
	s_or_b32 exec_lo, exec_lo, s15
	s_delay_alu instid0(VALU_DEP_1) | instskip(NEXT) | instid1(VALU_DEP_2)
	v_dual_lshlrev_b32 v44, 24, v0 :: v_dual_lshlrev_b32 v22, 20, v22
	v_lshl_add_u32 v1, v1, 23, 0x3c000000
	s_delay_alu instid0(VALU_DEP_2) | instskip(NEXT) | instid1(VALU_DEP_1)
	v_and_b32_e32 v44, 0x80000000, v44
	v_or3_b32 v22, v22, v44, v1
	s_delay_alu instid0(VALU_DEP_1)
	v_mov_b64_e32 v[44:45], v[22:23]
.LBB179_661:                            ;   in Loop: Header=BB179_553 Depth=1
	s_or_b32 exec_lo, exec_lo, s14
.LBB179_662:                            ;   in Loop: Header=BB179_553 Depth=1
	s_delay_alu instid0(SALU_CYCLE_1)
	s_or_b32 exec_lo, exec_lo, s13
.LBB179_663:                            ;   in Loop: Header=BB179_553 Depth=1
	s_delay_alu instid0(SALU_CYCLE_1) | instskip(SKIP_2) | instid1(VALU_DEP_1)
	s_or_b32 exec_lo, exec_lo, s11
	v_lshrrev_b16 v1, 8, v0
	s_mov_b32 s11, exec_lo
	v_cmpx_ne_u16_e32 0, v1
	s_cbranch_execz .LBB179_671
; %bb.664:                              ;   in Loop: Header=BB179_553 Depth=1
	v_mov_b64_e32 v[42:43], 0x8000000000000000
	s_mov_b32 s13, exec_lo
	v_cmpx_ne_u16_e32 0x80, v1
	s_cbranch_execz .LBB179_670
; %bb.665:                              ;   in Loop: Header=BB179_553 Depth=1
	v_and_b32_e32 v1, 0xffff, v1
	v_mov_b64_e32 v[42:43], 0x7f80000100000000
	s_mov_b32 s14, exec_lo
	s_delay_alu instid0(VALU_DEP_2) | instskip(NEXT) | instid1(VALU_DEP_1)
	v_and_b32_e32 v46, 0x7f, v1
	v_cmpx_ne_u32_e32 0x7f, v46
	s_cbranch_execz .LBB179_669
; %bb.666:                              ;   in Loop: Header=BB179_553 Depth=1
	v_dual_lshrrev_b32 v1, 3, v46 :: v_dual_bitop2_b32 v22, 7, v1 bitop3:0x40
	s_mov_b32 s15, exec_lo
	v_cmpx_gt_u32_e32 8, v46
; %bb.667:                              ;   in Loop: Header=BB179_553 Depth=1
	s_delay_alu instid0(VALU_DEP_2) | instskip(NEXT) | instid1(VALU_DEP_1)
	v_clz_i32_u32_e32 v1, v22
	v_min_u32_e32 v1, 32, v1
	s_delay_alu instid0(VALU_DEP_1) | instskip(NEXT) | instid1(VALU_DEP_1)
	v_subrev_nc_u32_e32 v42, 28, v1
	v_lshlrev_b64_e32 v[42:43], v42, v[22:23]
	s_delay_alu instid0(VALU_DEP_1)
	v_dual_sub_nc_u32 v1, 29, v1 :: v_dual_bitop2_b32 v22, 7, v42 bitop3:0x40
; %bb.668:                              ;   in Loop: Header=BB179_553 Depth=1
	s_or_b32 exec_lo, exec_lo, s15
	s_delay_alu instid0(VALU_DEP_1) | instskip(NEXT) | instid1(VALU_DEP_2)
	v_dual_lshlrev_b32 v42, 16, v0 :: v_dual_lshlrev_b32 v22, 20, v22
	v_lshl_add_u32 v1, v1, 23, 0x3c000000
	s_delay_alu instid0(VALU_DEP_2) | instskip(NEXT) | instid1(VALU_DEP_1)
	v_and_b32_e32 v42, 0x80000000, v42
	v_or3_b32 v43, v22, v42, v1
	v_mov_b32_e32 v42, v23
.LBB179_669:                            ;   in Loop: Header=BB179_553 Depth=1
	s_or_b32 exec_lo, exec_lo, s14
.LBB179_670:                            ;   in Loop: Header=BB179_553 Depth=1
	s_delay_alu instid0(SALU_CYCLE_1)
	s_or_b32 exec_lo, exec_lo, s13
.LBB179_671:                            ;   in Loop: Header=BB179_553 Depth=1
	s_delay_alu instid0(SALU_CYCLE_1) | instskip(SKIP_4) | instid1(VALU_DEP_3)
	s_or_b32 exec_lo, exec_lo, s11
	v_lshrrev_b32_e32 v1, 16, v0
	v_mov_b64_e32 v[46:47], 0
	v_mov_b64_e32 v[48:49], 0
	s_mov_b32 s11, exec_lo
	v_and_b32_e32 v22, 0xff, v1
	s_delay_alu instid0(VALU_DEP_1)
	v_cmpx_ne_u16_e32 0, v22
	s_cbranch_execz .LBB179_679
; %bb.672:                              ;   in Loop: Header=BB179_553 Depth=1
	v_mov_b64_e32 v[48:49], 0x80000000
	s_mov_b32 s13, exec_lo
	v_cmpx_ne_u16_e32 0x80, v22
	s_cbranch_execz .LBB179_678
; %bb.673:                              ;   in Loop: Header=BB179_553 Depth=1
	v_mov_b64_e32 v[48:49], 0x7f800001
	v_bfe_u32 v50, v0, 16, 7
	s_mov_b32 s14, exec_lo
	s_delay_alu instid0(VALU_DEP_1)
	v_cmpx_ne_u32_e32 0x7f, v50
	s_cbranch_execz .LBB179_677
; %bb.674:                              ;   in Loop: Header=BB179_553 Depth=1
	v_dual_lshrrev_b32 v48, 3, v50 :: v_dual_bitop2_b32 v22, 7, v1 bitop3:0x40
	s_mov_b32 s15, exec_lo
	v_cmpx_gt_u32_e32 8, v50
; %bb.675:                              ;   in Loop: Header=BB179_553 Depth=1
	s_delay_alu instid0(VALU_DEP_2) | instskip(NEXT) | instid1(VALU_DEP_1)
	v_clz_i32_u32_e32 v48, v22
	v_min_u32_e32 v48, 32, v48
	s_delay_alu instid0(VALU_DEP_1) | instskip(NEXT) | instid1(VALU_DEP_1)
	v_subrev_nc_u32_e32 v49, 28, v48
	v_lshlrev_b64_e32 v[50:51], v49, v[22:23]
	s_delay_alu instid0(VALU_DEP_1)
	v_dual_sub_nc_u32 v48, 29, v48 :: v_dual_bitop2_b32 v22, 7, v50 bitop3:0x40
; %bb.676:                              ;   in Loop: Header=BB179_553 Depth=1
	s_or_b32 exec_lo, exec_lo, s15
	s_delay_alu instid0(VALU_DEP_1) | instskip(NEXT) | instid1(VALU_DEP_2)
	v_dual_lshlrev_b32 v1, 24, v1 :: v_dual_lshlrev_b32 v22, 20, v22
	v_lshl_add_u32 v48, v48, 23, 0x3c000000
	s_delay_alu instid0(VALU_DEP_2) | instskip(NEXT) | instid1(VALU_DEP_1)
	v_and_b32_e32 v1, 0x80000000, v1
	v_or3_b32 v22, v22, v1, v48
	s_delay_alu instid0(VALU_DEP_1)
	v_mov_b64_e32 v[48:49], v[22:23]
.LBB179_677:                            ;   in Loop: Header=BB179_553 Depth=1
	s_or_b32 exec_lo, exec_lo, s14
.LBB179_678:                            ;   in Loop: Header=BB179_553 Depth=1
	s_delay_alu instid0(SALU_CYCLE_1)
	s_or_b32 exec_lo, exec_lo, s13
.LBB179_679:                            ;   in Loop: Header=BB179_553 Depth=1
	s_delay_alu instid0(SALU_CYCLE_1) | instskip(NEXT) | instid1(SALU_CYCLE_1)
	s_or_b32 exec_lo, exec_lo, s11
	s_mov_b32 s11, exec_lo
	v_cmpx_lt_u32_e32 0xffffff, v0
	s_cbranch_execz .LBB179_687
; %bb.680:                              ;   in Loop: Header=BB179_553 Depth=1
	v_mov_b64_e32 v[46:47], 0x8000000000000000
	v_lshrrev_b32_e32 v1, 24, v0
	s_mov_b32 s13, exec_lo
	s_delay_alu instid0(VALU_DEP_1)
	v_cmpx_ne_u32_e32 0x80, v1
	s_cbranch_execz .LBB179_686
; %bb.681:                              ;   in Loop: Header=BB179_553 Depth=1
	v_mov_b64_e32 v[46:47], 0x7f80000100000000
	v_bfe_u32 v50, v0, 24, 7
	s_mov_b32 s14, exec_lo
	s_delay_alu instid0(VALU_DEP_1)
	v_cmpx_ne_u32_e32 0x7f, v50
	s_cbranch_execz .LBB179_685
; %bb.682:                              ;   in Loop: Header=BB179_553 Depth=1
	v_dual_lshrrev_b32 v0, 3, v50 :: v_dual_bitop2_b32 v22, 7, v1 bitop3:0x40
	s_mov_b32 s15, exec_lo
	v_cmpx_gt_u32_e32 8, v50
; %bb.683:                              ;   in Loop: Header=BB179_553 Depth=1
	s_delay_alu instid0(VALU_DEP_2) | instskip(NEXT) | instid1(VALU_DEP_1)
	v_clz_i32_u32_e32 v0, v22
	v_min_u32_e32 v0, 32, v0
	s_delay_alu instid0(VALU_DEP_1) | instskip(NEXT) | instid1(VALU_DEP_1)
	v_subrev_nc_u32_e32 v46, 28, v0
	v_lshlrev_b64_e32 v[46:47], v46, v[22:23]
	s_delay_alu instid0(VALU_DEP_1)
	v_dual_sub_nc_u32 v0, 29, v0 :: v_dual_bitop2_b32 v22, 7, v46 bitop3:0x40
; %bb.684:                              ;   in Loop: Header=BB179_553 Depth=1
	s_or_b32 exec_lo, exec_lo, s15
	s_delay_alu instid0(VALU_DEP_1) | instskip(NEXT) | instid1(VALU_DEP_2)
	v_dual_lshlrev_b32 v1, 24, v1 :: v_dual_lshlrev_b32 v22, 20, v22
	v_lshl_add_u32 v0, v0, 23, 0x3c000000
	v_mov_b32_e32 v46, v23
	s_delay_alu instid0(VALU_DEP_3) | instskip(NEXT) | instid1(VALU_DEP_1)
	v_and_b32_e32 v1, 0x80000000, v1
	v_or3_b32 v47, v22, v1, v0
.LBB179_685:                            ;   in Loop: Header=BB179_553 Depth=1
	s_or_b32 exec_lo, exec_lo, s14
.LBB179_686:                            ;   in Loop: Header=BB179_553 Depth=1
	s_delay_alu instid0(SALU_CYCLE_1)
	s_or_b32 exec_lo, exec_lo, s13
.LBB179_687:                            ;   in Loop: Header=BB179_553 Depth=1
	s_delay_alu instid0(SALU_CYCLE_1)
	s_or_b32 exec_lo, exec_lo, s11
	v_or_b32_e32 v1, v43, v45
	v_or_b32_e32 v0, v42, v44
	v_mov_b64_e32 v[42:43], s[2:3]
	v_or_b32_e32 v47, v47, v49
	v_or_b32_e32 v46, v46, v48
	s_delay_alu instid0(VALU_DEP_3) | instskip(NEXT) | instid1(VALU_DEP_2)
	v_pk_mul_f32 v[44:45], v[42:43], v[0:1]
	v_pk_mul_f32 v[42:43], v[42:43], v[46:47]
	s_and_saveexec_b32 s11, vcc_lo
	s_cbranch_execz .LBB179_689
; %bb.688:                              ;   in Loop: Header=BB179_553 Depth=1
	v_cmp_gt_i32_e64 s0, s24, v99
	s_delay_alu instid0(VALU_DEP_1) | instskip(SKIP_1) | instid1(VALU_DEP_1)
	v_cndmask_b32_e64 v44, 0, v44, s0
	v_cmp_gt_i32_e64 s0, s24, v102
	v_cndmask_b32_e64 v45, 0, v45, s0
	v_cmp_gt_i32_e64 s0, s24, v95
	s_delay_alu instid0(VALU_DEP_1) | instskip(SKIP_1) | instid1(VALU_DEP_1)
	v_cndmask_b32_e64 v42, 0, v42, s0
	v_cmp_gt_i32_e64 s0, s24, v94
	v_cndmask_b32_e64 v43, 0, v43, s0
.LBB179_689:                            ;   in Loop: Header=BB179_553 Depth=1
	s_or_b32 exec_lo, exec_lo, s11
	global_load_b32 v0, v[32:33], off offset:512
	v_mov_b64_e32 v[46:47], 0
	v_mov_b64_e32 v[48:49], 0
	s_mov_b32 s11, exec_lo
	s_wait_loadcnt 0x0
	v_and_b32_e32 v1, 0xff, v0
	s_delay_alu instid0(VALU_DEP_1)
	v_cmpx_ne_u16_e32 0, v1
	s_cbranch_execz .LBB179_697
; %bb.690:                              ;   in Loop: Header=BB179_553 Depth=1
	v_mov_b64_e32 v[48:49], 0x80000000
	s_mov_b32 s13, exec_lo
	v_cmpx_ne_u16_e32 0x80, v1
	s_cbranch_execz .LBB179_696
; %bb.691:                              ;   in Loop: Header=BB179_553 Depth=1
	v_mov_b64_e32 v[48:49], 0x7f800001
	v_and_b32_e32 v50, 0x7f, v0
	s_mov_b32 s14, exec_lo
	s_delay_alu instid0(VALU_DEP_1)
	v_cmpx_ne_u32_e32 0x7f, v50
	s_cbranch_execz .LBB179_695
; %bb.692:                              ;   in Loop: Header=BB179_553 Depth=1
	v_dual_lshrrev_b32 v1, 3, v50 :: v_dual_bitop2_b32 v22, 7, v0 bitop3:0x40
	s_mov_b32 s15, exec_lo
	v_cmpx_gt_u32_e32 8, v50
; %bb.693:                              ;   in Loop: Header=BB179_553 Depth=1
	s_delay_alu instid0(VALU_DEP_2) | instskip(NEXT) | instid1(VALU_DEP_1)
	v_clz_i32_u32_e32 v1, v22
	v_min_u32_e32 v1, 32, v1
	s_delay_alu instid0(VALU_DEP_1) | instskip(NEXT) | instid1(VALU_DEP_1)
	v_subrev_nc_u32_e32 v48, 28, v1
	v_lshlrev_b64_e32 v[48:49], v48, v[22:23]
	s_delay_alu instid0(VALU_DEP_1)
	v_dual_sub_nc_u32 v1, 29, v1 :: v_dual_bitop2_b32 v22, 7, v48 bitop3:0x40
; %bb.694:                              ;   in Loop: Header=BB179_553 Depth=1
	s_or_b32 exec_lo, exec_lo, s15
	s_delay_alu instid0(VALU_DEP_1) | instskip(NEXT) | instid1(VALU_DEP_2)
	v_dual_lshlrev_b32 v48, 24, v0 :: v_dual_lshlrev_b32 v22, 20, v22
	v_lshl_add_u32 v1, v1, 23, 0x3c000000
	s_delay_alu instid0(VALU_DEP_2) | instskip(NEXT) | instid1(VALU_DEP_1)
	v_and_b32_e32 v48, 0x80000000, v48
	v_or3_b32 v22, v22, v48, v1
	s_delay_alu instid0(VALU_DEP_1)
	v_mov_b64_e32 v[48:49], v[22:23]
.LBB179_695:                            ;   in Loop: Header=BB179_553 Depth=1
	s_or_b32 exec_lo, exec_lo, s14
.LBB179_696:                            ;   in Loop: Header=BB179_553 Depth=1
	s_delay_alu instid0(SALU_CYCLE_1)
	s_or_b32 exec_lo, exec_lo, s13
.LBB179_697:                            ;   in Loop: Header=BB179_553 Depth=1
	s_delay_alu instid0(SALU_CYCLE_1) | instskip(SKIP_2) | instid1(VALU_DEP_1)
	s_or_b32 exec_lo, exec_lo, s11
	v_lshrrev_b16 v1, 8, v0
	s_mov_b32 s11, exec_lo
	v_cmpx_ne_u16_e32 0, v1
	s_cbranch_execz .LBB179_705
; %bb.698:                              ;   in Loop: Header=BB179_553 Depth=1
	v_mov_b64_e32 v[46:47], 0x8000000000000000
	s_mov_b32 s13, exec_lo
	v_cmpx_ne_u16_e32 0x80, v1
	s_cbranch_execz .LBB179_704
; %bb.699:                              ;   in Loop: Header=BB179_553 Depth=1
	v_and_b32_e32 v1, 0xffff, v1
	v_mov_b64_e32 v[46:47], 0x7f80000100000000
	s_mov_b32 s14, exec_lo
	s_delay_alu instid0(VALU_DEP_2) | instskip(NEXT) | instid1(VALU_DEP_1)
	v_and_b32_e32 v50, 0x7f, v1
	v_cmpx_ne_u32_e32 0x7f, v50
	s_cbranch_execz .LBB179_703
; %bb.700:                              ;   in Loop: Header=BB179_553 Depth=1
	v_dual_lshrrev_b32 v1, 3, v50 :: v_dual_bitop2_b32 v22, 7, v1 bitop3:0x40
	s_mov_b32 s15, exec_lo
	v_cmpx_gt_u32_e32 8, v50
; %bb.701:                              ;   in Loop: Header=BB179_553 Depth=1
	s_delay_alu instid0(VALU_DEP_2) | instskip(NEXT) | instid1(VALU_DEP_1)
	v_clz_i32_u32_e32 v1, v22
	v_min_u32_e32 v1, 32, v1
	s_delay_alu instid0(VALU_DEP_1) | instskip(NEXT) | instid1(VALU_DEP_1)
	v_subrev_nc_u32_e32 v46, 28, v1
	v_lshlrev_b64_e32 v[46:47], v46, v[22:23]
	s_delay_alu instid0(VALU_DEP_1)
	v_dual_sub_nc_u32 v1, 29, v1 :: v_dual_bitop2_b32 v22, 7, v46 bitop3:0x40
; %bb.702:                              ;   in Loop: Header=BB179_553 Depth=1
	s_or_b32 exec_lo, exec_lo, s15
	s_delay_alu instid0(VALU_DEP_1) | instskip(NEXT) | instid1(VALU_DEP_2)
	v_dual_lshlrev_b32 v46, 16, v0 :: v_dual_lshlrev_b32 v22, 20, v22
	v_lshl_add_u32 v1, v1, 23, 0x3c000000
	s_delay_alu instid0(VALU_DEP_2) | instskip(NEXT) | instid1(VALU_DEP_1)
	v_and_b32_e32 v46, 0x80000000, v46
	v_or3_b32 v47, v22, v46, v1
	v_mov_b32_e32 v46, v23
.LBB179_703:                            ;   in Loop: Header=BB179_553 Depth=1
	s_or_b32 exec_lo, exec_lo, s14
.LBB179_704:                            ;   in Loop: Header=BB179_553 Depth=1
	s_delay_alu instid0(SALU_CYCLE_1)
	s_or_b32 exec_lo, exec_lo, s13
.LBB179_705:                            ;   in Loop: Header=BB179_553 Depth=1
	s_delay_alu instid0(SALU_CYCLE_1) | instskip(SKIP_4) | instid1(VALU_DEP_3)
	s_or_b32 exec_lo, exec_lo, s11
	v_lshrrev_b32_e32 v1, 16, v0
	v_mov_b64_e32 v[50:51], 0
	v_mov_b64_e32 v[52:53], 0
	s_mov_b32 s11, exec_lo
	v_and_b32_e32 v22, 0xff, v1
	s_delay_alu instid0(VALU_DEP_1)
	v_cmpx_ne_u16_e32 0, v22
	s_cbranch_execz .LBB179_713
; %bb.706:                              ;   in Loop: Header=BB179_553 Depth=1
	v_mov_b64_e32 v[52:53], 0x80000000
	s_mov_b32 s13, exec_lo
	v_cmpx_ne_u16_e32 0x80, v22
	s_cbranch_execz .LBB179_712
; %bb.707:                              ;   in Loop: Header=BB179_553 Depth=1
	v_mov_b64_e32 v[52:53], 0x7f800001
	v_bfe_u32 v54, v0, 16, 7
	s_mov_b32 s14, exec_lo
	s_delay_alu instid0(VALU_DEP_1)
	v_cmpx_ne_u32_e32 0x7f, v54
	s_cbranch_execz .LBB179_711
; %bb.708:                              ;   in Loop: Header=BB179_553 Depth=1
	v_dual_lshrrev_b32 v52, 3, v54 :: v_dual_bitop2_b32 v22, 7, v1 bitop3:0x40
	s_mov_b32 s15, exec_lo
	v_cmpx_gt_u32_e32 8, v54
; %bb.709:                              ;   in Loop: Header=BB179_553 Depth=1
	s_delay_alu instid0(VALU_DEP_2) | instskip(NEXT) | instid1(VALU_DEP_1)
	v_clz_i32_u32_e32 v52, v22
	v_min_u32_e32 v52, 32, v52
	s_delay_alu instid0(VALU_DEP_1) | instskip(NEXT) | instid1(VALU_DEP_1)
	v_subrev_nc_u32_e32 v53, 28, v52
	v_lshlrev_b64_e32 v[54:55], v53, v[22:23]
	s_delay_alu instid0(VALU_DEP_1)
	v_dual_sub_nc_u32 v52, 29, v52 :: v_dual_bitop2_b32 v22, 7, v54 bitop3:0x40
; %bb.710:                              ;   in Loop: Header=BB179_553 Depth=1
	s_or_b32 exec_lo, exec_lo, s15
	s_delay_alu instid0(VALU_DEP_1) | instskip(NEXT) | instid1(VALU_DEP_2)
	v_dual_lshlrev_b32 v1, 24, v1 :: v_dual_lshlrev_b32 v22, 20, v22
	v_lshl_add_u32 v52, v52, 23, 0x3c000000
	s_delay_alu instid0(VALU_DEP_2) | instskip(NEXT) | instid1(VALU_DEP_1)
	v_and_b32_e32 v1, 0x80000000, v1
	v_or3_b32 v22, v22, v1, v52
	s_delay_alu instid0(VALU_DEP_1)
	v_mov_b64_e32 v[52:53], v[22:23]
.LBB179_711:                            ;   in Loop: Header=BB179_553 Depth=1
	s_or_b32 exec_lo, exec_lo, s14
.LBB179_712:                            ;   in Loop: Header=BB179_553 Depth=1
	s_delay_alu instid0(SALU_CYCLE_1)
	s_or_b32 exec_lo, exec_lo, s13
.LBB179_713:                            ;   in Loop: Header=BB179_553 Depth=1
	s_delay_alu instid0(SALU_CYCLE_1) | instskip(NEXT) | instid1(SALU_CYCLE_1)
	s_or_b32 exec_lo, exec_lo, s11
	s_mov_b32 s11, exec_lo
	v_cmpx_lt_u32_e32 0xffffff, v0
	s_cbranch_execz .LBB179_721
; %bb.714:                              ;   in Loop: Header=BB179_553 Depth=1
	v_mov_b64_e32 v[50:51], 0x8000000000000000
	v_lshrrev_b32_e32 v1, 24, v0
	s_mov_b32 s13, exec_lo
	s_delay_alu instid0(VALU_DEP_1)
	v_cmpx_ne_u32_e32 0x80, v1
	s_cbranch_execz .LBB179_720
; %bb.715:                              ;   in Loop: Header=BB179_553 Depth=1
	v_mov_b64_e32 v[50:51], 0x7f80000100000000
	v_bfe_u32 v54, v0, 24, 7
	s_mov_b32 s14, exec_lo
	s_delay_alu instid0(VALU_DEP_1)
	v_cmpx_ne_u32_e32 0x7f, v54
	s_cbranch_execz .LBB179_719
; %bb.716:                              ;   in Loop: Header=BB179_553 Depth=1
	v_dual_lshrrev_b32 v0, 3, v54 :: v_dual_bitop2_b32 v22, 7, v1 bitop3:0x40
	s_mov_b32 s15, exec_lo
	v_cmpx_gt_u32_e32 8, v54
; %bb.717:                              ;   in Loop: Header=BB179_553 Depth=1
	s_delay_alu instid0(VALU_DEP_2) | instskip(NEXT) | instid1(VALU_DEP_1)
	v_clz_i32_u32_e32 v0, v22
	v_min_u32_e32 v0, 32, v0
	s_delay_alu instid0(VALU_DEP_1) | instskip(NEXT) | instid1(VALU_DEP_1)
	v_subrev_nc_u32_e32 v50, 28, v0
	v_lshlrev_b64_e32 v[50:51], v50, v[22:23]
	s_delay_alu instid0(VALU_DEP_1)
	v_dual_sub_nc_u32 v0, 29, v0 :: v_dual_bitop2_b32 v22, 7, v50 bitop3:0x40
; %bb.718:                              ;   in Loop: Header=BB179_553 Depth=1
	s_or_b32 exec_lo, exec_lo, s15
	s_delay_alu instid0(VALU_DEP_1) | instskip(NEXT) | instid1(VALU_DEP_2)
	v_dual_lshlrev_b32 v1, 24, v1 :: v_dual_lshlrev_b32 v22, 20, v22
	v_lshl_add_u32 v0, v0, 23, 0x3c000000
	v_mov_b32_e32 v50, v23
	s_delay_alu instid0(VALU_DEP_3) | instskip(NEXT) | instid1(VALU_DEP_1)
	v_and_b32_e32 v1, 0x80000000, v1
	v_or3_b32 v51, v22, v1, v0
.LBB179_719:                            ;   in Loop: Header=BB179_553 Depth=1
	s_or_b32 exec_lo, exec_lo, s14
.LBB179_720:                            ;   in Loop: Header=BB179_553 Depth=1
	s_delay_alu instid0(SALU_CYCLE_1)
	s_or_b32 exec_lo, exec_lo, s13
.LBB179_721:                            ;   in Loop: Header=BB179_553 Depth=1
	s_delay_alu instid0(SALU_CYCLE_1)
	s_or_b32 exec_lo, exec_lo, s11
	v_or_b32_e32 v1, v47, v49
	v_or_b32_e32 v0, v46, v48
	v_mov_b64_e32 v[46:47], s[2:3]
	v_or_b32_e32 v51, v51, v53
	v_or_b32_e32 v50, v50, v52
	s_delay_alu instid0(VALU_DEP_3) | instskip(NEXT) | instid1(VALU_DEP_2)
	v_pk_mul_f32 v[48:49], v[46:47], v[0:1]
	v_pk_mul_f32 v[46:47], v[46:47], v[50:51]
	s_and_saveexec_b32 s11, vcc_lo
	s_cbranch_execz .LBB179_723
; %bb.722:                              ;   in Loop: Header=BB179_553 Depth=1
	v_cmp_gt_i32_e64 s0, s24, v99
	s_delay_alu instid0(VALU_DEP_1) | instskip(SKIP_1) | instid1(VALU_DEP_1)
	v_cndmask_b32_e64 v48, 0, v48, s0
	v_cmp_gt_i32_e64 s0, s24, v102
	v_cndmask_b32_e64 v49, 0, v49, s0
	v_cmp_gt_i32_e64 s0, s24, v95
	s_delay_alu instid0(VALU_DEP_1) | instskip(SKIP_1) | instid1(VALU_DEP_1)
	v_cndmask_b32_e64 v46, 0, v46, s0
	v_cmp_gt_i32_e64 s0, s24, v94
	v_cndmask_b32_e64 v47, 0, v47, s0
.LBB179_723:                            ;   in Loop: Header=BB179_553 Depth=1
	s_or_b32 exec_lo, exec_lo, s11
	global_load_b32 v0, v[32:33], off offset:640
	v_mov_b64_e32 v[50:51], 0
	v_mov_b64_e32 v[52:53], 0
	s_mov_b32 s11, exec_lo
	s_wait_loadcnt 0x0
	v_and_b32_e32 v1, 0xff, v0
	s_delay_alu instid0(VALU_DEP_1)
	v_cmpx_ne_u16_e32 0, v1
	s_cbranch_execz .LBB179_731
; %bb.724:                              ;   in Loop: Header=BB179_553 Depth=1
	v_mov_b64_e32 v[52:53], 0x80000000
	s_mov_b32 s13, exec_lo
	v_cmpx_ne_u16_e32 0x80, v1
	s_cbranch_execz .LBB179_730
; %bb.725:                              ;   in Loop: Header=BB179_553 Depth=1
	v_mov_b64_e32 v[52:53], 0x7f800001
	v_and_b32_e32 v54, 0x7f, v0
	s_mov_b32 s14, exec_lo
	s_delay_alu instid0(VALU_DEP_1)
	v_cmpx_ne_u32_e32 0x7f, v54
	s_cbranch_execz .LBB179_729
; %bb.726:                              ;   in Loop: Header=BB179_553 Depth=1
	v_dual_lshrrev_b32 v1, 3, v54 :: v_dual_bitop2_b32 v22, 7, v0 bitop3:0x40
	s_mov_b32 s15, exec_lo
	v_cmpx_gt_u32_e32 8, v54
; %bb.727:                              ;   in Loop: Header=BB179_553 Depth=1
	s_delay_alu instid0(VALU_DEP_2) | instskip(NEXT) | instid1(VALU_DEP_1)
	v_clz_i32_u32_e32 v1, v22
	v_min_u32_e32 v1, 32, v1
	s_delay_alu instid0(VALU_DEP_1) | instskip(NEXT) | instid1(VALU_DEP_1)
	v_subrev_nc_u32_e32 v52, 28, v1
	v_lshlrev_b64_e32 v[52:53], v52, v[22:23]
	s_delay_alu instid0(VALU_DEP_1)
	v_dual_sub_nc_u32 v1, 29, v1 :: v_dual_bitop2_b32 v22, 7, v52 bitop3:0x40
; %bb.728:                              ;   in Loop: Header=BB179_553 Depth=1
	s_or_b32 exec_lo, exec_lo, s15
	s_delay_alu instid0(VALU_DEP_1) | instskip(NEXT) | instid1(VALU_DEP_2)
	v_dual_lshlrev_b32 v52, 24, v0 :: v_dual_lshlrev_b32 v22, 20, v22
	v_lshl_add_u32 v1, v1, 23, 0x3c000000
	s_delay_alu instid0(VALU_DEP_2) | instskip(NEXT) | instid1(VALU_DEP_1)
	v_and_b32_e32 v52, 0x80000000, v52
	v_or3_b32 v22, v22, v52, v1
	s_delay_alu instid0(VALU_DEP_1)
	v_mov_b64_e32 v[52:53], v[22:23]
.LBB179_729:                            ;   in Loop: Header=BB179_553 Depth=1
	s_or_b32 exec_lo, exec_lo, s14
.LBB179_730:                            ;   in Loop: Header=BB179_553 Depth=1
	s_delay_alu instid0(SALU_CYCLE_1)
	s_or_b32 exec_lo, exec_lo, s13
.LBB179_731:                            ;   in Loop: Header=BB179_553 Depth=1
	s_delay_alu instid0(SALU_CYCLE_1) | instskip(SKIP_2) | instid1(VALU_DEP_1)
	s_or_b32 exec_lo, exec_lo, s11
	v_lshrrev_b16 v1, 8, v0
	s_mov_b32 s11, exec_lo
	v_cmpx_ne_u16_e32 0, v1
	s_cbranch_execz .LBB179_739
; %bb.732:                              ;   in Loop: Header=BB179_553 Depth=1
	v_mov_b64_e32 v[50:51], 0x8000000000000000
	s_mov_b32 s13, exec_lo
	v_cmpx_ne_u16_e32 0x80, v1
	s_cbranch_execz .LBB179_738
; %bb.733:                              ;   in Loop: Header=BB179_553 Depth=1
	v_and_b32_e32 v1, 0xffff, v1
	v_mov_b64_e32 v[50:51], 0x7f80000100000000
	s_mov_b32 s14, exec_lo
	s_delay_alu instid0(VALU_DEP_2) | instskip(NEXT) | instid1(VALU_DEP_1)
	v_and_b32_e32 v54, 0x7f, v1
	v_cmpx_ne_u32_e32 0x7f, v54
	s_cbranch_execz .LBB179_737
; %bb.734:                              ;   in Loop: Header=BB179_553 Depth=1
	v_dual_lshrrev_b32 v1, 3, v54 :: v_dual_bitop2_b32 v22, 7, v1 bitop3:0x40
	s_mov_b32 s15, exec_lo
	v_cmpx_gt_u32_e32 8, v54
; %bb.735:                              ;   in Loop: Header=BB179_553 Depth=1
	s_delay_alu instid0(VALU_DEP_2) | instskip(NEXT) | instid1(VALU_DEP_1)
	v_clz_i32_u32_e32 v1, v22
	v_min_u32_e32 v1, 32, v1
	s_delay_alu instid0(VALU_DEP_1) | instskip(NEXT) | instid1(VALU_DEP_1)
	v_subrev_nc_u32_e32 v50, 28, v1
	v_lshlrev_b64_e32 v[50:51], v50, v[22:23]
	s_delay_alu instid0(VALU_DEP_1)
	v_dual_sub_nc_u32 v1, 29, v1 :: v_dual_bitop2_b32 v22, 7, v50 bitop3:0x40
; %bb.736:                              ;   in Loop: Header=BB179_553 Depth=1
	s_or_b32 exec_lo, exec_lo, s15
	s_delay_alu instid0(VALU_DEP_1) | instskip(NEXT) | instid1(VALU_DEP_2)
	v_dual_lshlrev_b32 v50, 16, v0 :: v_dual_lshlrev_b32 v22, 20, v22
	v_lshl_add_u32 v1, v1, 23, 0x3c000000
	s_delay_alu instid0(VALU_DEP_2) | instskip(NEXT) | instid1(VALU_DEP_1)
	v_and_b32_e32 v50, 0x80000000, v50
	v_or3_b32 v51, v22, v50, v1
	v_mov_b32_e32 v50, v23
.LBB179_737:                            ;   in Loop: Header=BB179_553 Depth=1
	s_or_b32 exec_lo, exec_lo, s14
.LBB179_738:                            ;   in Loop: Header=BB179_553 Depth=1
	s_delay_alu instid0(SALU_CYCLE_1)
	s_or_b32 exec_lo, exec_lo, s13
.LBB179_739:                            ;   in Loop: Header=BB179_553 Depth=1
	s_delay_alu instid0(SALU_CYCLE_1) | instskip(SKIP_4) | instid1(VALU_DEP_3)
	s_or_b32 exec_lo, exec_lo, s11
	v_lshrrev_b32_e32 v1, 16, v0
	v_mov_b64_e32 v[54:55], 0
	v_mov_b64_e32 v[56:57], 0
	s_mov_b32 s11, exec_lo
	v_and_b32_e32 v22, 0xff, v1
	s_delay_alu instid0(VALU_DEP_1)
	v_cmpx_ne_u16_e32 0, v22
	s_cbranch_execz .LBB179_747
; %bb.740:                              ;   in Loop: Header=BB179_553 Depth=1
	v_mov_b64_e32 v[56:57], 0x80000000
	s_mov_b32 s13, exec_lo
	v_cmpx_ne_u16_e32 0x80, v22
	s_cbranch_execz .LBB179_746
; %bb.741:                              ;   in Loop: Header=BB179_553 Depth=1
	v_mov_b64_e32 v[56:57], 0x7f800001
	v_bfe_u32 v58, v0, 16, 7
	s_mov_b32 s14, exec_lo
	s_delay_alu instid0(VALU_DEP_1)
	v_cmpx_ne_u32_e32 0x7f, v58
	s_cbranch_execz .LBB179_745
; %bb.742:                              ;   in Loop: Header=BB179_553 Depth=1
	v_dual_lshrrev_b32 v56, 3, v58 :: v_dual_bitop2_b32 v22, 7, v1 bitop3:0x40
	s_mov_b32 s15, exec_lo
	v_cmpx_gt_u32_e32 8, v58
; %bb.743:                              ;   in Loop: Header=BB179_553 Depth=1
	s_delay_alu instid0(VALU_DEP_2) | instskip(NEXT) | instid1(VALU_DEP_1)
	v_clz_i32_u32_e32 v56, v22
	v_min_u32_e32 v56, 32, v56
	s_delay_alu instid0(VALU_DEP_1) | instskip(NEXT) | instid1(VALU_DEP_1)
	v_subrev_nc_u32_e32 v57, 28, v56
	v_lshlrev_b64_e32 v[58:59], v57, v[22:23]
	s_delay_alu instid0(VALU_DEP_1)
	v_dual_sub_nc_u32 v56, 29, v56 :: v_dual_bitop2_b32 v22, 7, v58 bitop3:0x40
; %bb.744:                              ;   in Loop: Header=BB179_553 Depth=1
	s_or_b32 exec_lo, exec_lo, s15
	s_delay_alu instid0(VALU_DEP_1) | instskip(NEXT) | instid1(VALU_DEP_2)
	v_dual_lshlrev_b32 v1, 24, v1 :: v_dual_lshlrev_b32 v22, 20, v22
	v_lshl_add_u32 v56, v56, 23, 0x3c000000
	s_delay_alu instid0(VALU_DEP_2) | instskip(NEXT) | instid1(VALU_DEP_1)
	v_and_b32_e32 v1, 0x80000000, v1
	v_or3_b32 v22, v22, v1, v56
	s_delay_alu instid0(VALU_DEP_1)
	v_mov_b64_e32 v[56:57], v[22:23]
.LBB179_745:                            ;   in Loop: Header=BB179_553 Depth=1
	s_or_b32 exec_lo, exec_lo, s14
.LBB179_746:                            ;   in Loop: Header=BB179_553 Depth=1
	s_delay_alu instid0(SALU_CYCLE_1)
	s_or_b32 exec_lo, exec_lo, s13
.LBB179_747:                            ;   in Loop: Header=BB179_553 Depth=1
	s_delay_alu instid0(SALU_CYCLE_1) | instskip(NEXT) | instid1(SALU_CYCLE_1)
	s_or_b32 exec_lo, exec_lo, s11
	s_mov_b32 s11, exec_lo
	v_cmpx_lt_u32_e32 0xffffff, v0
	s_cbranch_execz .LBB179_755
; %bb.748:                              ;   in Loop: Header=BB179_553 Depth=1
	v_mov_b64_e32 v[54:55], 0x8000000000000000
	v_lshrrev_b32_e32 v1, 24, v0
	s_mov_b32 s13, exec_lo
	s_delay_alu instid0(VALU_DEP_1)
	v_cmpx_ne_u32_e32 0x80, v1
	s_cbranch_execz .LBB179_754
; %bb.749:                              ;   in Loop: Header=BB179_553 Depth=1
	v_mov_b64_e32 v[54:55], 0x7f80000100000000
	v_bfe_u32 v58, v0, 24, 7
	s_mov_b32 s14, exec_lo
	s_delay_alu instid0(VALU_DEP_1)
	v_cmpx_ne_u32_e32 0x7f, v58
	s_cbranch_execz .LBB179_753
; %bb.750:                              ;   in Loop: Header=BB179_553 Depth=1
	v_dual_lshrrev_b32 v0, 3, v58 :: v_dual_bitop2_b32 v22, 7, v1 bitop3:0x40
	s_mov_b32 s15, exec_lo
	v_cmpx_gt_u32_e32 8, v58
; %bb.751:                              ;   in Loop: Header=BB179_553 Depth=1
	s_delay_alu instid0(VALU_DEP_2) | instskip(NEXT) | instid1(VALU_DEP_1)
	v_clz_i32_u32_e32 v0, v22
	v_min_u32_e32 v0, 32, v0
	s_delay_alu instid0(VALU_DEP_1) | instskip(NEXT) | instid1(VALU_DEP_1)
	v_subrev_nc_u32_e32 v54, 28, v0
	v_lshlrev_b64_e32 v[54:55], v54, v[22:23]
	s_delay_alu instid0(VALU_DEP_1)
	v_dual_sub_nc_u32 v0, 29, v0 :: v_dual_bitop2_b32 v22, 7, v54 bitop3:0x40
; %bb.752:                              ;   in Loop: Header=BB179_553 Depth=1
	s_or_b32 exec_lo, exec_lo, s15
	s_delay_alu instid0(VALU_DEP_1) | instskip(NEXT) | instid1(VALU_DEP_2)
	v_dual_lshlrev_b32 v1, 24, v1 :: v_dual_lshlrev_b32 v22, 20, v22
	v_lshl_add_u32 v0, v0, 23, 0x3c000000
	v_mov_b32_e32 v54, v23
	s_delay_alu instid0(VALU_DEP_3) | instskip(NEXT) | instid1(VALU_DEP_1)
	v_and_b32_e32 v1, 0x80000000, v1
	v_or3_b32 v55, v22, v1, v0
.LBB179_753:                            ;   in Loop: Header=BB179_553 Depth=1
	s_or_b32 exec_lo, exec_lo, s14
.LBB179_754:                            ;   in Loop: Header=BB179_553 Depth=1
	s_delay_alu instid0(SALU_CYCLE_1)
	s_or_b32 exec_lo, exec_lo, s13
.LBB179_755:                            ;   in Loop: Header=BB179_553 Depth=1
	s_delay_alu instid0(SALU_CYCLE_1)
	s_or_b32 exec_lo, exec_lo, s11
	v_or_b32_e32 v1, v51, v53
	v_or_b32_e32 v0, v50, v52
	v_mov_b64_e32 v[50:51], s[2:3]
	v_or_b32_e32 v55, v55, v57
	v_or_b32_e32 v54, v54, v56
	s_delay_alu instid0(VALU_DEP_3) | instskip(NEXT) | instid1(VALU_DEP_2)
	v_pk_mul_f32 v[52:53], v[50:51], v[0:1]
	v_pk_mul_f32 v[50:51], v[50:51], v[54:55]
	s_and_saveexec_b32 s11, vcc_lo
	s_cbranch_execz .LBB179_757
; %bb.756:                              ;   in Loop: Header=BB179_553 Depth=1
	v_cmp_gt_i32_e64 s0, s24, v99
	s_delay_alu instid0(VALU_DEP_1) | instskip(SKIP_1) | instid1(VALU_DEP_1)
	v_cndmask_b32_e64 v52, 0, v52, s0
	v_cmp_gt_i32_e64 s0, s24, v102
	v_cndmask_b32_e64 v53, 0, v53, s0
	v_cmp_gt_i32_e64 s0, s24, v95
	s_delay_alu instid0(VALU_DEP_1) | instskip(SKIP_1) | instid1(VALU_DEP_1)
	v_cndmask_b32_e64 v50, 0, v50, s0
	v_cmp_gt_i32_e64 s0, s24, v94
	v_cndmask_b32_e64 v51, 0, v51, s0
.LBB179_757:                            ;   in Loop: Header=BB179_553 Depth=1
	s_or_b32 exec_lo, exec_lo, s11
	global_load_b32 v0, v[32:33], off offset:768
	v_mov_b64_e32 v[54:55], 0
	v_mov_b64_e32 v[56:57], 0
	s_mov_b32 s11, exec_lo
	s_wait_loadcnt 0x0
	v_and_b32_e32 v1, 0xff, v0
	s_delay_alu instid0(VALU_DEP_1)
	v_cmpx_ne_u16_e32 0, v1
	s_cbranch_execz .LBB179_765
; %bb.758:                              ;   in Loop: Header=BB179_553 Depth=1
	v_mov_b64_e32 v[56:57], 0x80000000
	s_mov_b32 s13, exec_lo
	v_cmpx_ne_u16_e32 0x80, v1
	s_cbranch_execz .LBB179_764
; %bb.759:                              ;   in Loop: Header=BB179_553 Depth=1
	v_mov_b64_e32 v[56:57], 0x7f800001
	v_and_b32_e32 v58, 0x7f, v0
	s_mov_b32 s14, exec_lo
	s_delay_alu instid0(VALU_DEP_1)
	v_cmpx_ne_u32_e32 0x7f, v58
	s_cbranch_execz .LBB179_763
; %bb.760:                              ;   in Loop: Header=BB179_553 Depth=1
	v_dual_lshrrev_b32 v1, 3, v58 :: v_dual_bitop2_b32 v22, 7, v0 bitop3:0x40
	s_mov_b32 s15, exec_lo
	v_cmpx_gt_u32_e32 8, v58
; %bb.761:                              ;   in Loop: Header=BB179_553 Depth=1
	s_delay_alu instid0(VALU_DEP_2) | instskip(NEXT) | instid1(VALU_DEP_1)
	v_clz_i32_u32_e32 v1, v22
	v_min_u32_e32 v1, 32, v1
	s_delay_alu instid0(VALU_DEP_1) | instskip(NEXT) | instid1(VALU_DEP_1)
	v_subrev_nc_u32_e32 v56, 28, v1
	v_lshlrev_b64_e32 v[56:57], v56, v[22:23]
	s_delay_alu instid0(VALU_DEP_1)
	v_dual_sub_nc_u32 v1, 29, v1 :: v_dual_bitop2_b32 v22, 7, v56 bitop3:0x40
; %bb.762:                              ;   in Loop: Header=BB179_553 Depth=1
	s_or_b32 exec_lo, exec_lo, s15
	s_delay_alu instid0(VALU_DEP_1) | instskip(NEXT) | instid1(VALU_DEP_2)
	v_dual_lshlrev_b32 v56, 24, v0 :: v_dual_lshlrev_b32 v22, 20, v22
	v_lshl_add_u32 v1, v1, 23, 0x3c000000
	s_delay_alu instid0(VALU_DEP_2) | instskip(NEXT) | instid1(VALU_DEP_1)
	v_and_b32_e32 v56, 0x80000000, v56
	v_or3_b32 v22, v22, v56, v1
	s_delay_alu instid0(VALU_DEP_1)
	v_mov_b64_e32 v[56:57], v[22:23]
.LBB179_763:                            ;   in Loop: Header=BB179_553 Depth=1
	s_or_b32 exec_lo, exec_lo, s14
.LBB179_764:                            ;   in Loop: Header=BB179_553 Depth=1
	s_delay_alu instid0(SALU_CYCLE_1)
	s_or_b32 exec_lo, exec_lo, s13
.LBB179_765:                            ;   in Loop: Header=BB179_553 Depth=1
	s_delay_alu instid0(SALU_CYCLE_1) | instskip(SKIP_2) | instid1(VALU_DEP_1)
	s_or_b32 exec_lo, exec_lo, s11
	v_lshrrev_b16 v1, 8, v0
	s_mov_b32 s11, exec_lo
	v_cmpx_ne_u16_e32 0, v1
	s_cbranch_execz .LBB179_773
; %bb.766:                              ;   in Loop: Header=BB179_553 Depth=1
	v_mov_b64_e32 v[54:55], 0x8000000000000000
	s_mov_b32 s13, exec_lo
	v_cmpx_ne_u16_e32 0x80, v1
	s_cbranch_execz .LBB179_772
; %bb.767:                              ;   in Loop: Header=BB179_553 Depth=1
	v_and_b32_e32 v1, 0xffff, v1
	v_mov_b64_e32 v[54:55], 0x7f80000100000000
	s_mov_b32 s14, exec_lo
	s_delay_alu instid0(VALU_DEP_2) | instskip(NEXT) | instid1(VALU_DEP_1)
	v_and_b32_e32 v58, 0x7f, v1
	v_cmpx_ne_u32_e32 0x7f, v58
	s_cbranch_execz .LBB179_771
; %bb.768:                              ;   in Loop: Header=BB179_553 Depth=1
	v_dual_lshrrev_b32 v1, 3, v58 :: v_dual_bitop2_b32 v22, 7, v1 bitop3:0x40
	s_mov_b32 s15, exec_lo
	v_cmpx_gt_u32_e32 8, v58
; %bb.769:                              ;   in Loop: Header=BB179_553 Depth=1
	s_delay_alu instid0(VALU_DEP_2) | instskip(NEXT) | instid1(VALU_DEP_1)
	v_clz_i32_u32_e32 v1, v22
	v_min_u32_e32 v1, 32, v1
	s_delay_alu instid0(VALU_DEP_1) | instskip(NEXT) | instid1(VALU_DEP_1)
	v_subrev_nc_u32_e32 v54, 28, v1
	v_lshlrev_b64_e32 v[54:55], v54, v[22:23]
	s_delay_alu instid0(VALU_DEP_1)
	v_dual_sub_nc_u32 v1, 29, v1 :: v_dual_bitop2_b32 v22, 7, v54 bitop3:0x40
; %bb.770:                              ;   in Loop: Header=BB179_553 Depth=1
	s_or_b32 exec_lo, exec_lo, s15
	s_delay_alu instid0(VALU_DEP_1) | instskip(NEXT) | instid1(VALU_DEP_2)
	v_dual_lshlrev_b32 v54, 16, v0 :: v_dual_lshlrev_b32 v22, 20, v22
	v_lshl_add_u32 v1, v1, 23, 0x3c000000
	s_delay_alu instid0(VALU_DEP_2) | instskip(NEXT) | instid1(VALU_DEP_1)
	v_and_b32_e32 v54, 0x80000000, v54
	v_or3_b32 v55, v22, v54, v1
	v_mov_b32_e32 v54, v23
.LBB179_771:                            ;   in Loop: Header=BB179_553 Depth=1
	s_or_b32 exec_lo, exec_lo, s14
.LBB179_772:                            ;   in Loop: Header=BB179_553 Depth=1
	s_delay_alu instid0(SALU_CYCLE_1)
	s_or_b32 exec_lo, exec_lo, s13
.LBB179_773:                            ;   in Loop: Header=BB179_553 Depth=1
	s_delay_alu instid0(SALU_CYCLE_1) | instskip(SKIP_4) | instid1(VALU_DEP_3)
	s_or_b32 exec_lo, exec_lo, s11
	v_lshrrev_b32_e32 v1, 16, v0
	v_mov_b64_e32 v[58:59], 0
	v_mov_b64_e32 v[60:61], 0
	s_mov_b32 s11, exec_lo
	v_and_b32_e32 v22, 0xff, v1
	s_delay_alu instid0(VALU_DEP_1)
	v_cmpx_ne_u16_e32 0, v22
	s_cbranch_execz .LBB179_781
; %bb.774:                              ;   in Loop: Header=BB179_553 Depth=1
	v_mov_b64_e32 v[60:61], 0x80000000
	s_mov_b32 s13, exec_lo
	v_cmpx_ne_u16_e32 0x80, v22
	s_cbranch_execz .LBB179_780
; %bb.775:                              ;   in Loop: Header=BB179_553 Depth=1
	v_mov_b64_e32 v[60:61], 0x7f800001
	v_bfe_u32 v62, v0, 16, 7
	s_mov_b32 s14, exec_lo
	s_delay_alu instid0(VALU_DEP_1)
	v_cmpx_ne_u32_e32 0x7f, v62
	s_cbranch_execz .LBB179_779
; %bb.776:                              ;   in Loop: Header=BB179_553 Depth=1
	v_dual_lshrrev_b32 v60, 3, v62 :: v_dual_bitop2_b32 v22, 7, v1 bitop3:0x40
	s_mov_b32 s15, exec_lo
	v_cmpx_gt_u32_e32 8, v62
; %bb.777:                              ;   in Loop: Header=BB179_553 Depth=1
	s_delay_alu instid0(VALU_DEP_2) | instskip(NEXT) | instid1(VALU_DEP_1)
	v_clz_i32_u32_e32 v60, v22
	v_min_u32_e32 v60, 32, v60
	s_delay_alu instid0(VALU_DEP_1) | instskip(NEXT) | instid1(VALU_DEP_1)
	v_subrev_nc_u32_e32 v61, 28, v60
	v_lshlrev_b64_e32 v[62:63], v61, v[22:23]
	s_delay_alu instid0(VALU_DEP_1)
	v_dual_sub_nc_u32 v60, 29, v60 :: v_dual_bitop2_b32 v22, 7, v62 bitop3:0x40
; %bb.778:                              ;   in Loop: Header=BB179_553 Depth=1
	s_or_b32 exec_lo, exec_lo, s15
	s_delay_alu instid0(VALU_DEP_1) | instskip(NEXT) | instid1(VALU_DEP_2)
	v_dual_lshlrev_b32 v1, 24, v1 :: v_dual_lshlrev_b32 v22, 20, v22
	v_lshl_add_u32 v60, v60, 23, 0x3c000000
	s_delay_alu instid0(VALU_DEP_2) | instskip(NEXT) | instid1(VALU_DEP_1)
	v_and_b32_e32 v1, 0x80000000, v1
	v_or3_b32 v22, v22, v1, v60
	s_delay_alu instid0(VALU_DEP_1)
	v_mov_b64_e32 v[60:61], v[22:23]
.LBB179_779:                            ;   in Loop: Header=BB179_553 Depth=1
	s_or_b32 exec_lo, exec_lo, s14
.LBB179_780:                            ;   in Loop: Header=BB179_553 Depth=1
	s_delay_alu instid0(SALU_CYCLE_1)
	s_or_b32 exec_lo, exec_lo, s13
.LBB179_781:                            ;   in Loop: Header=BB179_553 Depth=1
	s_delay_alu instid0(SALU_CYCLE_1) | instskip(NEXT) | instid1(SALU_CYCLE_1)
	s_or_b32 exec_lo, exec_lo, s11
	s_mov_b32 s11, exec_lo
	v_cmpx_lt_u32_e32 0xffffff, v0
	s_cbranch_execz .LBB179_789
; %bb.782:                              ;   in Loop: Header=BB179_553 Depth=1
	v_mov_b64_e32 v[58:59], 0x8000000000000000
	v_lshrrev_b32_e32 v1, 24, v0
	s_mov_b32 s13, exec_lo
	s_delay_alu instid0(VALU_DEP_1)
	v_cmpx_ne_u32_e32 0x80, v1
	s_cbranch_execz .LBB179_788
; %bb.783:                              ;   in Loop: Header=BB179_553 Depth=1
	v_mov_b64_e32 v[58:59], 0x7f80000100000000
	v_bfe_u32 v62, v0, 24, 7
	s_mov_b32 s14, exec_lo
	s_delay_alu instid0(VALU_DEP_1)
	v_cmpx_ne_u32_e32 0x7f, v62
	s_cbranch_execz .LBB179_787
; %bb.784:                              ;   in Loop: Header=BB179_553 Depth=1
	v_dual_lshrrev_b32 v0, 3, v62 :: v_dual_bitop2_b32 v22, 7, v1 bitop3:0x40
	s_mov_b32 s15, exec_lo
	v_cmpx_gt_u32_e32 8, v62
; %bb.785:                              ;   in Loop: Header=BB179_553 Depth=1
	s_delay_alu instid0(VALU_DEP_2) | instskip(NEXT) | instid1(VALU_DEP_1)
	v_clz_i32_u32_e32 v0, v22
	v_min_u32_e32 v0, 32, v0
	s_delay_alu instid0(VALU_DEP_1) | instskip(NEXT) | instid1(VALU_DEP_1)
	v_subrev_nc_u32_e32 v58, 28, v0
	v_lshlrev_b64_e32 v[58:59], v58, v[22:23]
	s_delay_alu instid0(VALU_DEP_1)
	v_dual_sub_nc_u32 v0, 29, v0 :: v_dual_bitop2_b32 v22, 7, v58 bitop3:0x40
; %bb.786:                              ;   in Loop: Header=BB179_553 Depth=1
	s_or_b32 exec_lo, exec_lo, s15
	s_delay_alu instid0(VALU_DEP_1) | instskip(NEXT) | instid1(VALU_DEP_2)
	v_dual_lshlrev_b32 v1, 24, v1 :: v_dual_lshlrev_b32 v22, 20, v22
	v_lshl_add_u32 v0, v0, 23, 0x3c000000
	v_mov_b32_e32 v58, v23
	s_delay_alu instid0(VALU_DEP_3) | instskip(NEXT) | instid1(VALU_DEP_1)
	v_and_b32_e32 v1, 0x80000000, v1
	v_or3_b32 v59, v22, v1, v0
.LBB179_787:                            ;   in Loop: Header=BB179_553 Depth=1
	s_or_b32 exec_lo, exec_lo, s14
.LBB179_788:                            ;   in Loop: Header=BB179_553 Depth=1
	s_delay_alu instid0(SALU_CYCLE_1)
	s_or_b32 exec_lo, exec_lo, s13
.LBB179_789:                            ;   in Loop: Header=BB179_553 Depth=1
	s_delay_alu instid0(SALU_CYCLE_1)
	s_or_b32 exec_lo, exec_lo, s11
	v_or_b32_e32 v1, v55, v57
	v_or_b32_e32 v0, v54, v56
	v_mov_b64_e32 v[54:55], s[2:3]
	v_or_b32_e32 v59, v59, v61
	v_or_b32_e32 v58, v58, v60
	s_delay_alu instid0(VALU_DEP_3) | instskip(NEXT) | instid1(VALU_DEP_2)
	v_pk_mul_f32 v[56:57], v[54:55], v[0:1]
	v_pk_mul_f32 v[54:55], v[54:55], v[58:59]
	s_and_saveexec_b32 s11, vcc_lo
	s_cbranch_execz .LBB179_791
; %bb.790:                              ;   in Loop: Header=BB179_553 Depth=1
	v_cmp_gt_i32_e64 s0, s24, v99
	s_delay_alu instid0(VALU_DEP_1) | instskip(SKIP_1) | instid1(VALU_DEP_1)
	v_cndmask_b32_e64 v56, 0, v56, s0
	v_cmp_gt_i32_e64 s0, s24, v102
	v_cndmask_b32_e64 v57, 0, v57, s0
	v_cmp_gt_i32_e64 s0, s24, v95
	s_delay_alu instid0(VALU_DEP_1) | instskip(SKIP_1) | instid1(VALU_DEP_1)
	v_cndmask_b32_e64 v54, 0, v54, s0
	v_cmp_gt_i32_e64 s0, s24, v94
	v_cndmask_b32_e64 v55, 0, v55, s0
.LBB179_791:                            ;   in Loop: Header=BB179_553 Depth=1
	s_or_b32 exec_lo, exec_lo, s11
	global_load_b32 v0, v[32:33], off offset:896
	v_mov_b64_e32 v[58:59], 0
	v_mov_b64_e32 v[60:61], 0
	s_mov_b32 s11, exec_lo
	s_wait_loadcnt 0x0
	v_and_b32_e32 v1, 0xff, v0
	s_delay_alu instid0(VALU_DEP_1)
	v_cmpx_ne_u16_e32 0, v1
	s_cbranch_execz .LBB179_799
; %bb.792:                              ;   in Loop: Header=BB179_553 Depth=1
	v_mov_b64_e32 v[60:61], 0x80000000
	s_mov_b32 s13, exec_lo
	v_cmpx_ne_u16_e32 0x80, v1
	s_cbranch_execz .LBB179_798
; %bb.793:                              ;   in Loop: Header=BB179_553 Depth=1
	v_mov_b64_e32 v[60:61], 0x7f800001
	v_and_b32_e32 v62, 0x7f, v0
	s_mov_b32 s14, exec_lo
	s_delay_alu instid0(VALU_DEP_1)
	v_cmpx_ne_u32_e32 0x7f, v62
	s_cbranch_execz .LBB179_797
; %bb.794:                              ;   in Loop: Header=BB179_553 Depth=1
	v_dual_lshrrev_b32 v1, 3, v62 :: v_dual_bitop2_b32 v22, 7, v0 bitop3:0x40
	s_mov_b32 s15, exec_lo
	v_cmpx_gt_u32_e32 8, v62
; %bb.795:                              ;   in Loop: Header=BB179_553 Depth=1
	s_delay_alu instid0(VALU_DEP_2) | instskip(NEXT) | instid1(VALU_DEP_1)
	v_clz_i32_u32_e32 v1, v22
	v_min_u32_e32 v1, 32, v1
	s_delay_alu instid0(VALU_DEP_1) | instskip(NEXT) | instid1(VALU_DEP_1)
	v_subrev_nc_u32_e32 v60, 28, v1
	v_lshlrev_b64_e32 v[60:61], v60, v[22:23]
	s_delay_alu instid0(VALU_DEP_1)
	v_dual_sub_nc_u32 v1, 29, v1 :: v_dual_bitop2_b32 v22, 7, v60 bitop3:0x40
; %bb.796:                              ;   in Loop: Header=BB179_553 Depth=1
	s_or_b32 exec_lo, exec_lo, s15
	s_delay_alu instid0(VALU_DEP_1) | instskip(NEXT) | instid1(VALU_DEP_2)
	v_dual_lshlrev_b32 v60, 24, v0 :: v_dual_lshlrev_b32 v22, 20, v22
	v_lshl_add_u32 v1, v1, 23, 0x3c000000
	s_delay_alu instid0(VALU_DEP_2) | instskip(NEXT) | instid1(VALU_DEP_1)
	v_and_b32_e32 v60, 0x80000000, v60
	v_or3_b32 v22, v22, v60, v1
	s_delay_alu instid0(VALU_DEP_1)
	v_mov_b64_e32 v[60:61], v[22:23]
.LBB179_797:                            ;   in Loop: Header=BB179_553 Depth=1
	s_or_b32 exec_lo, exec_lo, s14
.LBB179_798:                            ;   in Loop: Header=BB179_553 Depth=1
	s_delay_alu instid0(SALU_CYCLE_1)
	s_or_b32 exec_lo, exec_lo, s13
.LBB179_799:                            ;   in Loop: Header=BB179_553 Depth=1
	s_delay_alu instid0(SALU_CYCLE_1) | instskip(SKIP_2) | instid1(VALU_DEP_1)
	s_or_b32 exec_lo, exec_lo, s11
	v_lshrrev_b16 v1, 8, v0
	s_mov_b32 s11, exec_lo
	v_cmpx_ne_u16_e32 0, v1
	s_cbranch_execz .LBB179_807
; %bb.800:                              ;   in Loop: Header=BB179_553 Depth=1
	v_mov_b64_e32 v[58:59], 0x8000000000000000
	s_mov_b32 s13, exec_lo
	v_cmpx_ne_u16_e32 0x80, v1
	s_cbranch_execz .LBB179_806
; %bb.801:                              ;   in Loop: Header=BB179_553 Depth=1
	v_and_b32_e32 v1, 0xffff, v1
	v_mov_b64_e32 v[58:59], 0x7f80000100000000
	s_mov_b32 s14, exec_lo
	s_delay_alu instid0(VALU_DEP_2) | instskip(NEXT) | instid1(VALU_DEP_1)
	v_and_b32_e32 v62, 0x7f, v1
	v_cmpx_ne_u32_e32 0x7f, v62
	s_cbranch_execz .LBB179_805
; %bb.802:                              ;   in Loop: Header=BB179_553 Depth=1
	v_dual_lshrrev_b32 v1, 3, v62 :: v_dual_bitop2_b32 v22, 7, v1 bitop3:0x40
	s_mov_b32 s15, exec_lo
	v_cmpx_gt_u32_e32 8, v62
; %bb.803:                              ;   in Loop: Header=BB179_553 Depth=1
	s_delay_alu instid0(VALU_DEP_2) | instskip(NEXT) | instid1(VALU_DEP_1)
	v_clz_i32_u32_e32 v1, v22
	v_min_u32_e32 v1, 32, v1
	s_delay_alu instid0(VALU_DEP_1) | instskip(NEXT) | instid1(VALU_DEP_1)
	v_subrev_nc_u32_e32 v58, 28, v1
	v_lshlrev_b64_e32 v[58:59], v58, v[22:23]
	s_delay_alu instid0(VALU_DEP_1)
	v_dual_sub_nc_u32 v1, 29, v1 :: v_dual_bitop2_b32 v22, 7, v58 bitop3:0x40
; %bb.804:                              ;   in Loop: Header=BB179_553 Depth=1
	s_or_b32 exec_lo, exec_lo, s15
	s_delay_alu instid0(VALU_DEP_1) | instskip(NEXT) | instid1(VALU_DEP_2)
	v_dual_lshlrev_b32 v58, 16, v0 :: v_dual_lshlrev_b32 v22, 20, v22
	v_lshl_add_u32 v1, v1, 23, 0x3c000000
	s_delay_alu instid0(VALU_DEP_2) | instskip(NEXT) | instid1(VALU_DEP_1)
	v_and_b32_e32 v58, 0x80000000, v58
	v_or3_b32 v59, v22, v58, v1
	v_mov_b32_e32 v58, v23
.LBB179_805:                            ;   in Loop: Header=BB179_553 Depth=1
	s_or_b32 exec_lo, exec_lo, s14
.LBB179_806:                            ;   in Loop: Header=BB179_553 Depth=1
	s_delay_alu instid0(SALU_CYCLE_1)
	s_or_b32 exec_lo, exec_lo, s13
.LBB179_807:                            ;   in Loop: Header=BB179_553 Depth=1
	s_delay_alu instid0(SALU_CYCLE_1) | instskip(SKIP_4) | instid1(VALU_DEP_3)
	s_or_b32 exec_lo, exec_lo, s11
	v_lshrrev_b32_e32 v1, 16, v0
	v_mov_b64_e32 v[62:63], 0
	v_mov_b64_e32 v[64:65], 0
	s_mov_b32 s11, exec_lo
	v_and_b32_e32 v22, 0xff, v1
	s_delay_alu instid0(VALU_DEP_1)
	v_cmpx_ne_u16_e32 0, v22
	s_cbranch_execz .LBB179_815
; %bb.808:                              ;   in Loop: Header=BB179_553 Depth=1
	v_mov_b64_e32 v[64:65], 0x80000000
	s_mov_b32 s13, exec_lo
	v_cmpx_ne_u16_e32 0x80, v22
	s_cbranch_execz .LBB179_814
; %bb.809:                              ;   in Loop: Header=BB179_553 Depth=1
	v_mov_b64_e32 v[64:65], 0x7f800001
	v_bfe_u32 v66, v0, 16, 7
	s_mov_b32 s14, exec_lo
	s_delay_alu instid0(VALU_DEP_1)
	v_cmpx_ne_u32_e32 0x7f, v66
	s_cbranch_execz .LBB179_813
; %bb.810:                              ;   in Loop: Header=BB179_553 Depth=1
	v_dual_lshrrev_b32 v64, 3, v66 :: v_dual_bitop2_b32 v22, 7, v1 bitop3:0x40
	s_mov_b32 s15, exec_lo
	v_cmpx_gt_u32_e32 8, v66
; %bb.811:                              ;   in Loop: Header=BB179_553 Depth=1
	s_delay_alu instid0(VALU_DEP_2) | instskip(NEXT) | instid1(VALU_DEP_1)
	v_clz_i32_u32_e32 v64, v22
	v_min_u32_e32 v64, 32, v64
	s_delay_alu instid0(VALU_DEP_1) | instskip(NEXT) | instid1(VALU_DEP_1)
	v_subrev_nc_u32_e32 v65, 28, v64
	v_lshlrev_b64_e32 v[66:67], v65, v[22:23]
	s_delay_alu instid0(VALU_DEP_1)
	v_dual_sub_nc_u32 v64, 29, v64 :: v_dual_bitop2_b32 v22, 7, v66 bitop3:0x40
; %bb.812:                              ;   in Loop: Header=BB179_553 Depth=1
	s_or_b32 exec_lo, exec_lo, s15
	s_delay_alu instid0(VALU_DEP_1) | instskip(NEXT) | instid1(VALU_DEP_2)
	v_dual_lshlrev_b32 v1, 24, v1 :: v_dual_lshlrev_b32 v22, 20, v22
	v_lshl_add_u32 v64, v64, 23, 0x3c000000
	s_delay_alu instid0(VALU_DEP_2) | instskip(NEXT) | instid1(VALU_DEP_1)
	v_and_b32_e32 v1, 0x80000000, v1
	v_or3_b32 v22, v22, v1, v64
	s_delay_alu instid0(VALU_DEP_1)
	v_mov_b64_e32 v[64:65], v[22:23]
.LBB179_813:                            ;   in Loop: Header=BB179_553 Depth=1
	s_or_b32 exec_lo, exec_lo, s14
.LBB179_814:                            ;   in Loop: Header=BB179_553 Depth=1
	s_delay_alu instid0(SALU_CYCLE_1)
	s_or_b32 exec_lo, exec_lo, s13
.LBB179_815:                            ;   in Loop: Header=BB179_553 Depth=1
	s_delay_alu instid0(SALU_CYCLE_1) | instskip(NEXT) | instid1(SALU_CYCLE_1)
	s_or_b32 exec_lo, exec_lo, s11
	s_mov_b32 s11, exec_lo
	v_cmpx_lt_u32_e32 0xffffff, v0
	s_cbranch_execz .LBB179_823
; %bb.816:                              ;   in Loop: Header=BB179_553 Depth=1
	v_mov_b64_e32 v[62:63], 0x8000000000000000
	v_lshrrev_b32_e32 v1, 24, v0
	s_mov_b32 s13, exec_lo
	s_delay_alu instid0(VALU_DEP_1)
	v_cmpx_ne_u32_e32 0x80, v1
	s_cbranch_execz .LBB179_822
; %bb.817:                              ;   in Loop: Header=BB179_553 Depth=1
	v_mov_b64_e32 v[62:63], 0x7f80000100000000
	v_bfe_u32 v66, v0, 24, 7
	s_mov_b32 s14, exec_lo
	s_delay_alu instid0(VALU_DEP_1)
	v_cmpx_ne_u32_e32 0x7f, v66
	s_cbranch_execz .LBB179_821
; %bb.818:                              ;   in Loop: Header=BB179_553 Depth=1
	v_dual_lshrrev_b32 v0, 3, v66 :: v_dual_bitop2_b32 v22, 7, v1 bitop3:0x40
	s_mov_b32 s15, exec_lo
	v_cmpx_gt_u32_e32 8, v66
; %bb.819:                              ;   in Loop: Header=BB179_553 Depth=1
	s_delay_alu instid0(VALU_DEP_2) | instskip(NEXT) | instid1(VALU_DEP_1)
	v_clz_i32_u32_e32 v0, v22
	v_min_u32_e32 v0, 32, v0
	s_delay_alu instid0(VALU_DEP_1) | instskip(NEXT) | instid1(VALU_DEP_1)
	v_subrev_nc_u32_e32 v62, 28, v0
	v_lshlrev_b64_e32 v[62:63], v62, v[22:23]
	s_delay_alu instid0(VALU_DEP_1)
	v_dual_sub_nc_u32 v0, 29, v0 :: v_dual_bitop2_b32 v22, 7, v62 bitop3:0x40
; %bb.820:                              ;   in Loop: Header=BB179_553 Depth=1
	s_or_b32 exec_lo, exec_lo, s15
	s_delay_alu instid0(VALU_DEP_1) | instskip(NEXT) | instid1(VALU_DEP_2)
	v_dual_lshlrev_b32 v1, 24, v1 :: v_dual_lshlrev_b32 v22, 20, v22
	v_lshl_add_u32 v0, v0, 23, 0x3c000000
	v_mov_b32_e32 v62, v23
	s_delay_alu instid0(VALU_DEP_3) | instskip(NEXT) | instid1(VALU_DEP_1)
	v_and_b32_e32 v1, 0x80000000, v1
	v_or3_b32 v63, v22, v1, v0
.LBB179_821:                            ;   in Loop: Header=BB179_553 Depth=1
	s_or_b32 exec_lo, exec_lo, s14
.LBB179_822:                            ;   in Loop: Header=BB179_553 Depth=1
	s_delay_alu instid0(SALU_CYCLE_1)
	s_or_b32 exec_lo, exec_lo, s13
.LBB179_823:                            ;   in Loop: Header=BB179_553 Depth=1
	s_delay_alu instid0(SALU_CYCLE_1)
	s_or_b32 exec_lo, exec_lo, s11
	v_or_b32_e32 v1, v59, v61
	v_or_b32_e32 v0, v58, v60
	v_mov_b64_e32 v[58:59], s[2:3]
	v_or_b32_e32 v63, v63, v65
	v_or_b32_e32 v62, v62, v64
	s_delay_alu instid0(VALU_DEP_3) | instskip(NEXT) | instid1(VALU_DEP_2)
	v_pk_mul_f32 v[60:61], v[58:59], v[0:1]
	v_pk_mul_f32 v[58:59], v[58:59], v[62:63]
	s_and_saveexec_b32 s11, vcc_lo
	s_cbranch_execz .LBB179_825
; %bb.824:                              ;   in Loop: Header=BB179_553 Depth=1
	v_cmp_gt_i32_e64 s0, s24, v99
	s_delay_alu instid0(VALU_DEP_1) | instskip(SKIP_1) | instid1(VALU_DEP_1)
	v_cndmask_b32_e64 v60, 0, v60, s0
	v_cmp_gt_i32_e64 s0, s24, v102
	v_cndmask_b32_e64 v61, 0, v61, s0
	v_cmp_gt_i32_e64 s0, s24, v95
	s_delay_alu instid0(VALU_DEP_1) | instskip(SKIP_1) | instid1(VALU_DEP_1)
	v_cndmask_b32_e64 v58, 0, v58, s0
	v_cmp_gt_i32_e64 s0, s24, v94
	v_cndmask_b32_e64 v59, 0, v59, s0
.LBB179_825:                            ;   in Loop: Header=BB179_553 Depth=1
	s_or_b32 exec_lo, exec_lo, s11
	global_load_b32 v0, v[32:33], off offset:1024
	v_mov_b64_e32 v[62:63], 0
	v_mov_b64_e32 v[64:65], 0
	s_mov_b32 s11, exec_lo
	s_wait_loadcnt 0x0
	v_and_b32_e32 v1, 0xff, v0
	s_delay_alu instid0(VALU_DEP_1)
	v_cmpx_ne_u16_e32 0, v1
	s_cbranch_execz .LBB179_833
; %bb.826:                              ;   in Loop: Header=BB179_553 Depth=1
	v_mov_b64_e32 v[64:65], 0x80000000
	s_mov_b32 s13, exec_lo
	v_cmpx_ne_u16_e32 0x80, v1
	s_cbranch_execz .LBB179_832
; %bb.827:                              ;   in Loop: Header=BB179_553 Depth=1
	v_mov_b64_e32 v[64:65], 0x7f800001
	v_and_b32_e32 v66, 0x7f, v0
	s_mov_b32 s14, exec_lo
	s_delay_alu instid0(VALU_DEP_1)
	v_cmpx_ne_u32_e32 0x7f, v66
	s_cbranch_execz .LBB179_831
; %bb.828:                              ;   in Loop: Header=BB179_553 Depth=1
	v_dual_lshrrev_b32 v1, 3, v66 :: v_dual_bitop2_b32 v22, 7, v0 bitop3:0x40
	s_mov_b32 s15, exec_lo
	v_cmpx_gt_u32_e32 8, v66
; %bb.829:                              ;   in Loop: Header=BB179_553 Depth=1
	s_delay_alu instid0(VALU_DEP_2) | instskip(NEXT) | instid1(VALU_DEP_1)
	v_clz_i32_u32_e32 v1, v22
	v_min_u32_e32 v1, 32, v1
	s_delay_alu instid0(VALU_DEP_1) | instskip(NEXT) | instid1(VALU_DEP_1)
	v_subrev_nc_u32_e32 v64, 28, v1
	v_lshlrev_b64_e32 v[64:65], v64, v[22:23]
	s_delay_alu instid0(VALU_DEP_1)
	v_dual_sub_nc_u32 v1, 29, v1 :: v_dual_bitop2_b32 v22, 7, v64 bitop3:0x40
; %bb.830:                              ;   in Loop: Header=BB179_553 Depth=1
	s_or_b32 exec_lo, exec_lo, s15
	s_delay_alu instid0(VALU_DEP_1) | instskip(NEXT) | instid1(VALU_DEP_2)
	v_dual_lshlrev_b32 v64, 24, v0 :: v_dual_lshlrev_b32 v22, 20, v22
	v_lshl_add_u32 v1, v1, 23, 0x3c000000
	s_delay_alu instid0(VALU_DEP_2) | instskip(NEXT) | instid1(VALU_DEP_1)
	v_and_b32_e32 v64, 0x80000000, v64
	v_or3_b32 v22, v22, v64, v1
	s_delay_alu instid0(VALU_DEP_1)
	v_mov_b64_e32 v[64:65], v[22:23]
.LBB179_831:                            ;   in Loop: Header=BB179_553 Depth=1
	s_or_b32 exec_lo, exec_lo, s14
.LBB179_832:                            ;   in Loop: Header=BB179_553 Depth=1
	s_delay_alu instid0(SALU_CYCLE_1)
	s_or_b32 exec_lo, exec_lo, s13
.LBB179_833:                            ;   in Loop: Header=BB179_553 Depth=1
	s_delay_alu instid0(SALU_CYCLE_1) | instskip(SKIP_2) | instid1(VALU_DEP_1)
	s_or_b32 exec_lo, exec_lo, s11
	v_lshrrev_b16 v1, 8, v0
	s_mov_b32 s11, exec_lo
	v_cmpx_ne_u16_e32 0, v1
	s_cbranch_execz .LBB179_841
; %bb.834:                              ;   in Loop: Header=BB179_553 Depth=1
	v_mov_b64_e32 v[62:63], 0x8000000000000000
	s_mov_b32 s13, exec_lo
	v_cmpx_ne_u16_e32 0x80, v1
	s_cbranch_execz .LBB179_840
; %bb.835:                              ;   in Loop: Header=BB179_553 Depth=1
	v_and_b32_e32 v1, 0xffff, v1
	v_mov_b64_e32 v[62:63], 0x7f80000100000000
	s_mov_b32 s14, exec_lo
	s_delay_alu instid0(VALU_DEP_2) | instskip(NEXT) | instid1(VALU_DEP_1)
	v_and_b32_e32 v66, 0x7f, v1
	v_cmpx_ne_u32_e32 0x7f, v66
	s_cbranch_execz .LBB179_839
; %bb.836:                              ;   in Loop: Header=BB179_553 Depth=1
	v_dual_lshrrev_b32 v1, 3, v66 :: v_dual_bitop2_b32 v22, 7, v1 bitop3:0x40
	s_mov_b32 s15, exec_lo
	v_cmpx_gt_u32_e32 8, v66
; %bb.837:                              ;   in Loop: Header=BB179_553 Depth=1
	s_delay_alu instid0(VALU_DEP_2) | instskip(NEXT) | instid1(VALU_DEP_1)
	v_clz_i32_u32_e32 v1, v22
	v_min_u32_e32 v1, 32, v1
	s_delay_alu instid0(VALU_DEP_1) | instskip(NEXT) | instid1(VALU_DEP_1)
	v_subrev_nc_u32_e32 v62, 28, v1
	v_lshlrev_b64_e32 v[62:63], v62, v[22:23]
	s_delay_alu instid0(VALU_DEP_1)
	v_dual_sub_nc_u32 v1, 29, v1 :: v_dual_bitop2_b32 v22, 7, v62 bitop3:0x40
; %bb.838:                              ;   in Loop: Header=BB179_553 Depth=1
	s_or_b32 exec_lo, exec_lo, s15
	s_delay_alu instid0(VALU_DEP_1) | instskip(NEXT) | instid1(VALU_DEP_2)
	v_dual_lshlrev_b32 v62, 16, v0 :: v_dual_lshlrev_b32 v22, 20, v22
	v_lshl_add_u32 v1, v1, 23, 0x3c000000
	s_delay_alu instid0(VALU_DEP_2) | instskip(NEXT) | instid1(VALU_DEP_1)
	v_and_b32_e32 v62, 0x80000000, v62
	v_or3_b32 v63, v22, v62, v1
	v_mov_b32_e32 v62, v23
.LBB179_839:                            ;   in Loop: Header=BB179_553 Depth=1
	s_or_b32 exec_lo, exec_lo, s14
.LBB179_840:                            ;   in Loop: Header=BB179_553 Depth=1
	s_delay_alu instid0(SALU_CYCLE_1)
	s_or_b32 exec_lo, exec_lo, s13
.LBB179_841:                            ;   in Loop: Header=BB179_553 Depth=1
	s_delay_alu instid0(SALU_CYCLE_1) | instskip(SKIP_4) | instid1(VALU_DEP_3)
	s_or_b32 exec_lo, exec_lo, s11
	v_lshrrev_b32_e32 v1, 16, v0
	v_mov_b64_e32 v[66:67], 0
	v_mov_b64_e32 v[68:69], 0
	s_mov_b32 s11, exec_lo
	v_and_b32_e32 v22, 0xff, v1
	s_delay_alu instid0(VALU_DEP_1)
	v_cmpx_ne_u16_e32 0, v22
	s_cbranch_execz .LBB179_849
; %bb.842:                              ;   in Loop: Header=BB179_553 Depth=1
	v_mov_b64_e32 v[68:69], 0x80000000
	s_mov_b32 s13, exec_lo
	v_cmpx_ne_u16_e32 0x80, v22
	s_cbranch_execz .LBB179_848
; %bb.843:                              ;   in Loop: Header=BB179_553 Depth=1
	v_mov_b64_e32 v[68:69], 0x7f800001
	v_bfe_u32 v70, v0, 16, 7
	s_mov_b32 s14, exec_lo
	s_delay_alu instid0(VALU_DEP_1)
	v_cmpx_ne_u32_e32 0x7f, v70
	s_cbranch_execz .LBB179_847
; %bb.844:                              ;   in Loop: Header=BB179_553 Depth=1
	v_dual_lshrrev_b32 v68, 3, v70 :: v_dual_bitop2_b32 v22, 7, v1 bitop3:0x40
	s_mov_b32 s15, exec_lo
	v_cmpx_gt_u32_e32 8, v70
; %bb.845:                              ;   in Loop: Header=BB179_553 Depth=1
	s_delay_alu instid0(VALU_DEP_2) | instskip(NEXT) | instid1(VALU_DEP_1)
	v_clz_i32_u32_e32 v68, v22
	v_min_u32_e32 v68, 32, v68
	s_delay_alu instid0(VALU_DEP_1) | instskip(NEXT) | instid1(VALU_DEP_1)
	v_subrev_nc_u32_e32 v69, 28, v68
	v_lshlrev_b64_e32 v[70:71], v69, v[22:23]
	s_delay_alu instid0(VALU_DEP_1)
	v_dual_sub_nc_u32 v68, 29, v68 :: v_dual_bitop2_b32 v22, 7, v70 bitop3:0x40
; %bb.846:                              ;   in Loop: Header=BB179_553 Depth=1
	s_or_b32 exec_lo, exec_lo, s15
	s_delay_alu instid0(VALU_DEP_1) | instskip(NEXT) | instid1(VALU_DEP_2)
	v_dual_lshlrev_b32 v1, 24, v1 :: v_dual_lshlrev_b32 v22, 20, v22
	v_lshl_add_u32 v68, v68, 23, 0x3c000000
	s_delay_alu instid0(VALU_DEP_2) | instskip(NEXT) | instid1(VALU_DEP_1)
	v_and_b32_e32 v1, 0x80000000, v1
	v_or3_b32 v22, v22, v1, v68
	s_delay_alu instid0(VALU_DEP_1)
	v_mov_b64_e32 v[68:69], v[22:23]
.LBB179_847:                            ;   in Loop: Header=BB179_553 Depth=1
	s_or_b32 exec_lo, exec_lo, s14
.LBB179_848:                            ;   in Loop: Header=BB179_553 Depth=1
	s_delay_alu instid0(SALU_CYCLE_1)
	s_or_b32 exec_lo, exec_lo, s13
.LBB179_849:                            ;   in Loop: Header=BB179_553 Depth=1
	s_delay_alu instid0(SALU_CYCLE_1) | instskip(NEXT) | instid1(SALU_CYCLE_1)
	s_or_b32 exec_lo, exec_lo, s11
	s_mov_b32 s11, exec_lo
	v_cmpx_lt_u32_e32 0xffffff, v0
	s_cbranch_execz .LBB179_857
; %bb.850:                              ;   in Loop: Header=BB179_553 Depth=1
	v_mov_b64_e32 v[66:67], 0x8000000000000000
	v_lshrrev_b32_e32 v1, 24, v0
	s_mov_b32 s13, exec_lo
	s_delay_alu instid0(VALU_DEP_1)
	v_cmpx_ne_u32_e32 0x80, v1
	s_cbranch_execz .LBB179_856
; %bb.851:                              ;   in Loop: Header=BB179_553 Depth=1
	v_mov_b64_e32 v[66:67], 0x7f80000100000000
	v_bfe_u32 v70, v0, 24, 7
	s_mov_b32 s14, exec_lo
	s_delay_alu instid0(VALU_DEP_1)
	v_cmpx_ne_u32_e32 0x7f, v70
	s_cbranch_execz .LBB179_855
; %bb.852:                              ;   in Loop: Header=BB179_553 Depth=1
	v_dual_lshrrev_b32 v0, 3, v70 :: v_dual_bitop2_b32 v22, 7, v1 bitop3:0x40
	s_mov_b32 s15, exec_lo
	v_cmpx_gt_u32_e32 8, v70
; %bb.853:                              ;   in Loop: Header=BB179_553 Depth=1
	s_delay_alu instid0(VALU_DEP_2) | instskip(NEXT) | instid1(VALU_DEP_1)
	v_clz_i32_u32_e32 v0, v22
	v_min_u32_e32 v0, 32, v0
	s_delay_alu instid0(VALU_DEP_1) | instskip(NEXT) | instid1(VALU_DEP_1)
	v_subrev_nc_u32_e32 v66, 28, v0
	v_lshlrev_b64_e32 v[66:67], v66, v[22:23]
	s_delay_alu instid0(VALU_DEP_1)
	v_dual_sub_nc_u32 v0, 29, v0 :: v_dual_bitop2_b32 v22, 7, v66 bitop3:0x40
; %bb.854:                              ;   in Loop: Header=BB179_553 Depth=1
	s_or_b32 exec_lo, exec_lo, s15
	s_delay_alu instid0(VALU_DEP_1) | instskip(NEXT) | instid1(VALU_DEP_2)
	v_dual_lshlrev_b32 v1, 24, v1 :: v_dual_lshlrev_b32 v22, 20, v22
	v_lshl_add_u32 v0, v0, 23, 0x3c000000
	v_mov_b32_e32 v66, v23
	s_delay_alu instid0(VALU_DEP_3) | instskip(NEXT) | instid1(VALU_DEP_1)
	v_and_b32_e32 v1, 0x80000000, v1
	v_or3_b32 v67, v22, v1, v0
.LBB179_855:                            ;   in Loop: Header=BB179_553 Depth=1
	s_or_b32 exec_lo, exec_lo, s14
.LBB179_856:                            ;   in Loop: Header=BB179_553 Depth=1
	s_delay_alu instid0(SALU_CYCLE_1)
	s_or_b32 exec_lo, exec_lo, s13
.LBB179_857:                            ;   in Loop: Header=BB179_553 Depth=1
	s_delay_alu instid0(SALU_CYCLE_1)
	s_or_b32 exec_lo, exec_lo, s11
	v_or_b32_e32 v1, v63, v65
	v_or_b32_e32 v0, v62, v64
	v_mov_b64_e32 v[62:63], s[2:3]
	v_or_b32_e32 v67, v67, v69
	v_or_b32_e32 v66, v66, v68
	s_delay_alu instid0(VALU_DEP_3) | instskip(NEXT) | instid1(VALU_DEP_2)
	v_pk_mul_f32 v[64:65], v[62:63], v[0:1]
	v_pk_mul_f32 v[62:63], v[62:63], v[66:67]
	s_and_saveexec_b32 s11, vcc_lo
	s_cbranch_execz .LBB179_859
; %bb.858:                              ;   in Loop: Header=BB179_553 Depth=1
	v_cmp_gt_i32_e64 s0, s24, v99
	s_delay_alu instid0(VALU_DEP_1) | instskip(SKIP_1) | instid1(VALU_DEP_1)
	v_cndmask_b32_e64 v64, 0, v64, s0
	v_cmp_gt_i32_e64 s0, s24, v102
	v_cndmask_b32_e64 v65, 0, v65, s0
	v_cmp_gt_i32_e64 s0, s24, v95
	s_delay_alu instid0(VALU_DEP_1) | instskip(SKIP_1) | instid1(VALU_DEP_1)
	v_cndmask_b32_e64 v62, 0, v62, s0
	v_cmp_gt_i32_e64 s0, s24, v94
	v_cndmask_b32_e64 v63, 0, v63, s0
.LBB179_859:                            ;   in Loop: Header=BB179_553 Depth=1
	s_or_b32 exec_lo, exec_lo, s11
	global_load_b32 v0, v[32:33], off offset:1152
	v_mov_b64_e32 v[66:67], 0
	v_mov_b64_e32 v[68:69], 0
	s_mov_b32 s11, exec_lo
	s_wait_loadcnt 0x0
	v_and_b32_e32 v1, 0xff, v0
	s_delay_alu instid0(VALU_DEP_1)
	v_cmpx_ne_u16_e32 0, v1
	s_cbranch_execz .LBB179_867
; %bb.860:                              ;   in Loop: Header=BB179_553 Depth=1
	v_mov_b64_e32 v[68:69], 0x80000000
	s_mov_b32 s13, exec_lo
	v_cmpx_ne_u16_e32 0x80, v1
	s_cbranch_execz .LBB179_866
; %bb.861:                              ;   in Loop: Header=BB179_553 Depth=1
	v_mov_b64_e32 v[68:69], 0x7f800001
	v_and_b32_e32 v70, 0x7f, v0
	s_mov_b32 s14, exec_lo
	s_delay_alu instid0(VALU_DEP_1)
	v_cmpx_ne_u32_e32 0x7f, v70
	s_cbranch_execz .LBB179_865
; %bb.862:                              ;   in Loop: Header=BB179_553 Depth=1
	v_dual_lshrrev_b32 v1, 3, v70 :: v_dual_bitop2_b32 v22, 7, v0 bitop3:0x40
	s_mov_b32 s15, exec_lo
	v_cmpx_gt_u32_e32 8, v70
; %bb.863:                              ;   in Loop: Header=BB179_553 Depth=1
	s_delay_alu instid0(VALU_DEP_2) | instskip(NEXT) | instid1(VALU_DEP_1)
	v_clz_i32_u32_e32 v1, v22
	v_min_u32_e32 v1, 32, v1
	s_delay_alu instid0(VALU_DEP_1) | instskip(NEXT) | instid1(VALU_DEP_1)
	v_subrev_nc_u32_e32 v68, 28, v1
	v_lshlrev_b64_e32 v[68:69], v68, v[22:23]
	s_delay_alu instid0(VALU_DEP_1)
	v_dual_sub_nc_u32 v1, 29, v1 :: v_dual_bitop2_b32 v22, 7, v68 bitop3:0x40
; %bb.864:                              ;   in Loop: Header=BB179_553 Depth=1
	s_or_b32 exec_lo, exec_lo, s15
	s_delay_alu instid0(VALU_DEP_1) | instskip(NEXT) | instid1(VALU_DEP_2)
	v_dual_lshlrev_b32 v68, 24, v0 :: v_dual_lshlrev_b32 v22, 20, v22
	v_lshl_add_u32 v1, v1, 23, 0x3c000000
	s_delay_alu instid0(VALU_DEP_2) | instskip(NEXT) | instid1(VALU_DEP_1)
	v_and_b32_e32 v68, 0x80000000, v68
	v_or3_b32 v22, v22, v68, v1
	s_delay_alu instid0(VALU_DEP_1)
	v_mov_b64_e32 v[68:69], v[22:23]
.LBB179_865:                            ;   in Loop: Header=BB179_553 Depth=1
	s_or_b32 exec_lo, exec_lo, s14
.LBB179_866:                            ;   in Loop: Header=BB179_553 Depth=1
	s_delay_alu instid0(SALU_CYCLE_1)
	s_or_b32 exec_lo, exec_lo, s13
.LBB179_867:                            ;   in Loop: Header=BB179_553 Depth=1
	s_delay_alu instid0(SALU_CYCLE_1) | instskip(SKIP_2) | instid1(VALU_DEP_1)
	s_or_b32 exec_lo, exec_lo, s11
	v_lshrrev_b16 v1, 8, v0
	s_mov_b32 s11, exec_lo
	v_cmpx_ne_u16_e32 0, v1
	s_cbranch_execz .LBB179_875
; %bb.868:                              ;   in Loop: Header=BB179_553 Depth=1
	v_mov_b64_e32 v[66:67], 0x8000000000000000
	s_mov_b32 s13, exec_lo
	v_cmpx_ne_u16_e32 0x80, v1
	s_cbranch_execz .LBB179_874
; %bb.869:                              ;   in Loop: Header=BB179_553 Depth=1
	v_and_b32_e32 v1, 0xffff, v1
	v_mov_b64_e32 v[66:67], 0x7f80000100000000
	s_mov_b32 s14, exec_lo
	s_delay_alu instid0(VALU_DEP_2) | instskip(NEXT) | instid1(VALU_DEP_1)
	v_and_b32_e32 v70, 0x7f, v1
	v_cmpx_ne_u32_e32 0x7f, v70
	s_cbranch_execz .LBB179_873
; %bb.870:                              ;   in Loop: Header=BB179_553 Depth=1
	v_dual_lshrrev_b32 v1, 3, v70 :: v_dual_bitop2_b32 v22, 7, v1 bitop3:0x40
	s_mov_b32 s15, exec_lo
	v_cmpx_gt_u32_e32 8, v70
; %bb.871:                              ;   in Loop: Header=BB179_553 Depth=1
	s_delay_alu instid0(VALU_DEP_2) | instskip(NEXT) | instid1(VALU_DEP_1)
	v_clz_i32_u32_e32 v1, v22
	v_min_u32_e32 v1, 32, v1
	s_delay_alu instid0(VALU_DEP_1) | instskip(NEXT) | instid1(VALU_DEP_1)
	v_subrev_nc_u32_e32 v66, 28, v1
	v_lshlrev_b64_e32 v[66:67], v66, v[22:23]
	s_delay_alu instid0(VALU_DEP_1)
	v_dual_sub_nc_u32 v1, 29, v1 :: v_dual_bitop2_b32 v22, 7, v66 bitop3:0x40
; %bb.872:                              ;   in Loop: Header=BB179_553 Depth=1
	s_or_b32 exec_lo, exec_lo, s15
	s_delay_alu instid0(VALU_DEP_1) | instskip(NEXT) | instid1(VALU_DEP_2)
	v_dual_lshlrev_b32 v66, 16, v0 :: v_dual_lshlrev_b32 v22, 20, v22
	v_lshl_add_u32 v1, v1, 23, 0x3c000000
	s_delay_alu instid0(VALU_DEP_2) | instskip(NEXT) | instid1(VALU_DEP_1)
	v_and_b32_e32 v66, 0x80000000, v66
	v_or3_b32 v67, v22, v66, v1
	v_mov_b32_e32 v66, v23
.LBB179_873:                            ;   in Loop: Header=BB179_553 Depth=1
	s_or_b32 exec_lo, exec_lo, s14
.LBB179_874:                            ;   in Loop: Header=BB179_553 Depth=1
	s_delay_alu instid0(SALU_CYCLE_1)
	s_or_b32 exec_lo, exec_lo, s13
.LBB179_875:                            ;   in Loop: Header=BB179_553 Depth=1
	s_delay_alu instid0(SALU_CYCLE_1) | instskip(SKIP_4) | instid1(VALU_DEP_3)
	s_or_b32 exec_lo, exec_lo, s11
	v_lshrrev_b32_e32 v1, 16, v0
	v_mov_b64_e32 v[70:71], 0
	v_mov_b64_e32 v[72:73], 0
	s_mov_b32 s11, exec_lo
	v_and_b32_e32 v22, 0xff, v1
	s_delay_alu instid0(VALU_DEP_1)
	v_cmpx_ne_u16_e32 0, v22
	s_cbranch_execz .LBB179_883
; %bb.876:                              ;   in Loop: Header=BB179_553 Depth=1
	v_mov_b64_e32 v[72:73], 0x80000000
	s_mov_b32 s13, exec_lo
	v_cmpx_ne_u16_e32 0x80, v22
	s_cbranch_execz .LBB179_882
; %bb.877:                              ;   in Loop: Header=BB179_553 Depth=1
	v_mov_b64_e32 v[72:73], 0x7f800001
	v_bfe_u32 v74, v0, 16, 7
	s_mov_b32 s14, exec_lo
	s_delay_alu instid0(VALU_DEP_1)
	v_cmpx_ne_u32_e32 0x7f, v74
	s_cbranch_execz .LBB179_881
; %bb.878:                              ;   in Loop: Header=BB179_553 Depth=1
	v_dual_lshrrev_b32 v72, 3, v74 :: v_dual_bitop2_b32 v22, 7, v1 bitop3:0x40
	s_mov_b32 s15, exec_lo
	v_cmpx_gt_u32_e32 8, v74
; %bb.879:                              ;   in Loop: Header=BB179_553 Depth=1
	s_delay_alu instid0(VALU_DEP_2) | instskip(NEXT) | instid1(VALU_DEP_1)
	v_clz_i32_u32_e32 v72, v22
	v_min_u32_e32 v72, 32, v72
	s_delay_alu instid0(VALU_DEP_1) | instskip(NEXT) | instid1(VALU_DEP_1)
	v_subrev_nc_u32_e32 v73, 28, v72
	v_lshlrev_b64_e32 v[74:75], v73, v[22:23]
	s_delay_alu instid0(VALU_DEP_1)
	v_dual_sub_nc_u32 v72, 29, v72 :: v_dual_bitop2_b32 v22, 7, v74 bitop3:0x40
; %bb.880:                              ;   in Loop: Header=BB179_553 Depth=1
	s_or_b32 exec_lo, exec_lo, s15
	s_delay_alu instid0(VALU_DEP_1) | instskip(NEXT) | instid1(VALU_DEP_2)
	v_dual_lshlrev_b32 v1, 24, v1 :: v_dual_lshlrev_b32 v22, 20, v22
	v_lshl_add_u32 v72, v72, 23, 0x3c000000
	s_delay_alu instid0(VALU_DEP_2) | instskip(NEXT) | instid1(VALU_DEP_1)
	v_and_b32_e32 v1, 0x80000000, v1
	v_or3_b32 v22, v22, v1, v72
	s_delay_alu instid0(VALU_DEP_1)
	v_mov_b64_e32 v[72:73], v[22:23]
.LBB179_881:                            ;   in Loop: Header=BB179_553 Depth=1
	s_or_b32 exec_lo, exec_lo, s14
.LBB179_882:                            ;   in Loop: Header=BB179_553 Depth=1
	s_delay_alu instid0(SALU_CYCLE_1)
	s_or_b32 exec_lo, exec_lo, s13
.LBB179_883:                            ;   in Loop: Header=BB179_553 Depth=1
	s_delay_alu instid0(SALU_CYCLE_1) | instskip(NEXT) | instid1(SALU_CYCLE_1)
	s_or_b32 exec_lo, exec_lo, s11
	s_mov_b32 s11, exec_lo
	v_cmpx_lt_u32_e32 0xffffff, v0
	s_cbranch_execz .LBB179_891
; %bb.884:                              ;   in Loop: Header=BB179_553 Depth=1
	v_mov_b64_e32 v[70:71], 0x8000000000000000
	v_lshrrev_b32_e32 v1, 24, v0
	s_mov_b32 s13, exec_lo
	s_delay_alu instid0(VALU_DEP_1)
	v_cmpx_ne_u32_e32 0x80, v1
	s_cbranch_execz .LBB179_890
; %bb.885:                              ;   in Loop: Header=BB179_553 Depth=1
	v_mov_b64_e32 v[70:71], 0x7f80000100000000
	v_bfe_u32 v74, v0, 24, 7
	s_mov_b32 s14, exec_lo
	s_delay_alu instid0(VALU_DEP_1)
	v_cmpx_ne_u32_e32 0x7f, v74
	s_cbranch_execz .LBB179_889
; %bb.886:                              ;   in Loop: Header=BB179_553 Depth=1
	v_dual_lshrrev_b32 v0, 3, v74 :: v_dual_bitop2_b32 v22, 7, v1 bitop3:0x40
	s_mov_b32 s15, exec_lo
	v_cmpx_gt_u32_e32 8, v74
; %bb.887:                              ;   in Loop: Header=BB179_553 Depth=1
	s_delay_alu instid0(VALU_DEP_2) | instskip(NEXT) | instid1(VALU_DEP_1)
	v_clz_i32_u32_e32 v0, v22
	v_min_u32_e32 v0, 32, v0
	s_delay_alu instid0(VALU_DEP_1) | instskip(NEXT) | instid1(VALU_DEP_1)
	v_subrev_nc_u32_e32 v70, 28, v0
	v_lshlrev_b64_e32 v[70:71], v70, v[22:23]
	s_delay_alu instid0(VALU_DEP_1)
	v_dual_sub_nc_u32 v0, 29, v0 :: v_dual_bitop2_b32 v22, 7, v70 bitop3:0x40
; %bb.888:                              ;   in Loop: Header=BB179_553 Depth=1
	s_or_b32 exec_lo, exec_lo, s15
	s_delay_alu instid0(VALU_DEP_1) | instskip(NEXT) | instid1(VALU_DEP_2)
	v_dual_lshlrev_b32 v1, 24, v1 :: v_dual_lshlrev_b32 v22, 20, v22
	v_lshl_add_u32 v0, v0, 23, 0x3c000000
	v_mov_b32_e32 v70, v23
	s_delay_alu instid0(VALU_DEP_3) | instskip(NEXT) | instid1(VALU_DEP_1)
	v_and_b32_e32 v1, 0x80000000, v1
	v_or3_b32 v71, v22, v1, v0
.LBB179_889:                            ;   in Loop: Header=BB179_553 Depth=1
	s_or_b32 exec_lo, exec_lo, s14
.LBB179_890:                            ;   in Loop: Header=BB179_553 Depth=1
	s_delay_alu instid0(SALU_CYCLE_1)
	s_or_b32 exec_lo, exec_lo, s13
.LBB179_891:                            ;   in Loop: Header=BB179_553 Depth=1
	s_delay_alu instid0(SALU_CYCLE_1)
	s_or_b32 exec_lo, exec_lo, s11
	v_or_b32_e32 v1, v67, v69
	v_or_b32_e32 v0, v66, v68
	v_mov_b64_e32 v[66:67], s[2:3]
	v_or_b32_e32 v71, v71, v73
	v_or_b32_e32 v70, v70, v72
	s_delay_alu instid0(VALU_DEP_3) | instskip(NEXT) | instid1(VALU_DEP_2)
	v_pk_mul_f32 v[68:69], v[66:67], v[0:1]
	v_pk_mul_f32 v[66:67], v[66:67], v[70:71]
	s_and_saveexec_b32 s11, vcc_lo
	s_cbranch_execz .LBB179_893
; %bb.892:                              ;   in Loop: Header=BB179_553 Depth=1
	v_cmp_gt_i32_e64 s0, s24, v99
	s_delay_alu instid0(VALU_DEP_1) | instskip(SKIP_1) | instid1(VALU_DEP_1)
	v_cndmask_b32_e64 v68, 0, v68, s0
	v_cmp_gt_i32_e64 s0, s24, v102
	v_cndmask_b32_e64 v69, 0, v69, s0
	v_cmp_gt_i32_e64 s0, s24, v95
	s_delay_alu instid0(VALU_DEP_1) | instskip(SKIP_1) | instid1(VALU_DEP_1)
	v_cndmask_b32_e64 v66, 0, v66, s0
	v_cmp_gt_i32_e64 s0, s24, v94
	v_cndmask_b32_e64 v67, 0, v67, s0
.LBB179_893:                            ;   in Loop: Header=BB179_553 Depth=1
	s_or_b32 exec_lo, exec_lo, s11
	global_load_b32 v0, v[32:33], off offset:1280
	v_mov_b64_e32 v[70:71], 0
	v_mov_b64_e32 v[72:73], 0
	s_mov_b32 s11, exec_lo
	s_wait_loadcnt 0x0
	v_and_b32_e32 v1, 0xff, v0
	s_delay_alu instid0(VALU_DEP_1)
	v_cmpx_ne_u16_e32 0, v1
	s_cbranch_execz .LBB179_901
; %bb.894:                              ;   in Loop: Header=BB179_553 Depth=1
	v_mov_b64_e32 v[72:73], 0x80000000
	s_mov_b32 s13, exec_lo
	v_cmpx_ne_u16_e32 0x80, v1
	s_cbranch_execz .LBB179_900
; %bb.895:                              ;   in Loop: Header=BB179_553 Depth=1
	v_mov_b64_e32 v[72:73], 0x7f800001
	v_and_b32_e32 v74, 0x7f, v0
	s_mov_b32 s14, exec_lo
	s_delay_alu instid0(VALU_DEP_1)
	v_cmpx_ne_u32_e32 0x7f, v74
	s_cbranch_execz .LBB179_899
; %bb.896:                              ;   in Loop: Header=BB179_553 Depth=1
	v_dual_lshrrev_b32 v1, 3, v74 :: v_dual_bitop2_b32 v22, 7, v0 bitop3:0x40
	s_mov_b32 s15, exec_lo
	v_cmpx_gt_u32_e32 8, v74
; %bb.897:                              ;   in Loop: Header=BB179_553 Depth=1
	s_delay_alu instid0(VALU_DEP_2) | instskip(NEXT) | instid1(VALU_DEP_1)
	v_clz_i32_u32_e32 v1, v22
	v_min_u32_e32 v1, 32, v1
	s_delay_alu instid0(VALU_DEP_1) | instskip(NEXT) | instid1(VALU_DEP_1)
	v_subrev_nc_u32_e32 v72, 28, v1
	v_lshlrev_b64_e32 v[72:73], v72, v[22:23]
	s_delay_alu instid0(VALU_DEP_1)
	v_dual_sub_nc_u32 v1, 29, v1 :: v_dual_bitop2_b32 v22, 7, v72 bitop3:0x40
; %bb.898:                              ;   in Loop: Header=BB179_553 Depth=1
	s_or_b32 exec_lo, exec_lo, s15
	s_delay_alu instid0(VALU_DEP_1) | instskip(NEXT) | instid1(VALU_DEP_2)
	v_dual_lshlrev_b32 v72, 24, v0 :: v_dual_lshlrev_b32 v22, 20, v22
	v_lshl_add_u32 v1, v1, 23, 0x3c000000
	s_delay_alu instid0(VALU_DEP_2) | instskip(NEXT) | instid1(VALU_DEP_1)
	v_and_b32_e32 v72, 0x80000000, v72
	v_or3_b32 v22, v22, v72, v1
	s_delay_alu instid0(VALU_DEP_1)
	v_mov_b64_e32 v[72:73], v[22:23]
.LBB179_899:                            ;   in Loop: Header=BB179_553 Depth=1
	s_or_b32 exec_lo, exec_lo, s14
.LBB179_900:                            ;   in Loop: Header=BB179_553 Depth=1
	s_delay_alu instid0(SALU_CYCLE_1)
	s_or_b32 exec_lo, exec_lo, s13
.LBB179_901:                            ;   in Loop: Header=BB179_553 Depth=1
	s_delay_alu instid0(SALU_CYCLE_1) | instskip(SKIP_2) | instid1(VALU_DEP_1)
	s_or_b32 exec_lo, exec_lo, s11
	v_lshrrev_b16 v1, 8, v0
	s_mov_b32 s11, exec_lo
	v_cmpx_ne_u16_e32 0, v1
	s_cbranch_execz .LBB179_909
; %bb.902:                              ;   in Loop: Header=BB179_553 Depth=1
	v_mov_b64_e32 v[70:71], 0x8000000000000000
	s_mov_b32 s13, exec_lo
	v_cmpx_ne_u16_e32 0x80, v1
	s_cbranch_execz .LBB179_908
; %bb.903:                              ;   in Loop: Header=BB179_553 Depth=1
	v_and_b32_e32 v1, 0xffff, v1
	v_mov_b64_e32 v[70:71], 0x7f80000100000000
	s_mov_b32 s14, exec_lo
	s_delay_alu instid0(VALU_DEP_2) | instskip(NEXT) | instid1(VALU_DEP_1)
	v_and_b32_e32 v74, 0x7f, v1
	v_cmpx_ne_u32_e32 0x7f, v74
	s_cbranch_execz .LBB179_907
; %bb.904:                              ;   in Loop: Header=BB179_553 Depth=1
	v_dual_lshrrev_b32 v1, 3, v74 :: v_dual_bitop2_b32 v22, 7, v1 bitop3:0x40
	s_mov_b32 s15, exec_lo
	v_cmpx_gt_u32_e32 8, v74
; %bb.905:                              ;   in Loop: Header=BB179_553 Depth=1
	s_delay_alu instid0(VALU_DEP_2) | instskip(NEXT) | instid1(VALU_DEP_1)
	v_clz_i32_u32_e32 v1, v22
	v_min_u32_e32 v1, 32, v1
	s_delay_alu instid0(VALU_DEP_1) | instskip(NEXT) | instid1(VALU_DEP_1)
	v_subrev_nc_u32_e32 v70, 28, v1
	v_lshlrev_b64_e32 v[70:71], v70, v[22:23]
	s_delay_alu instid0(VALU_DEP_1)
	v_dual_sub_nc_u32 v1, 29, v1 :: v_dual_bitop2_b32 v22, 7, v70 bitop3:0x40
; %bb.906:                              ;   in Loop: Header=BB179_553 Depth=1
	s_or_b32 exec_lo, exec_lo, s15
	s_delay_alu instid0(VALU_DEP_1) | instskip(NEXT) | instid1(VALU_DEP_2)
	v_dual_lshlrev_b32 v70, 16, v0 :: v_dual_lshlrev_b32 v22, 20, v22
	v_lshl_add_u32 v1, v1, 23, 0x3c000000
	s_delay_alu instid0(VALU_DEP_2) | instskip(NEXT) | instid1(VALU_DEP_1)
	v_and_b32_e32 v70, 0x80000000, v70
	v_or3_b32 v71, v22, v70, v1
	v_mov_b32_e32 v70, v23
.LBB179_907:                            ;   in Loop: Header=BB179_553 Depth=1
	s_or_b32 exec_lo, exec_lo, s14
.LBB179_908:                            ;   in Loop: Header=BB179_553 Depth=1
	s_delay_alu instid0(SALU_CYCLE_1)
	s_or_b32 exec_lo, exec_lo, s13
.LBB179_909:                            ;   in Loop: Header=BB179_553 Depth=1
	s_delay_alu instid0(SALU_CYCLE_1) | instskip(SKIP_4) | instid1(VALU_DEP_3)
	s_or_b32 exec_lo, exec_lo, s11
	v_lshrrev_b32_e32 v1, 16, v0
	v_mov_b64_e32 v[74:75], 0
	v_mov_b64_e32 v[76:77], 0
	s_mov_b32 s11, exec_lo
	v_and_b32_e32 v22, 0xff, v1
	s_delay_alu instid0(VALU_DEP_1)
	v_cmpx_ne_u16_e32 0, v22
	s_cbranch_execz .LBB179_917
; %bb.910:                              ;   in Loop: Header=BB179_553 Depth=1
	v_mov_b64_e32 v[76:77], 0x80000000
	s_mov_b32 s13, exec_lo
	v_cmpx_ne_u16_e32 0x80, v22
	s_cbranch_execz .LBB179_916
; %bb.911:                              ;   in Loop: Header=BB179_553 Depth=1
	v_mov_b64_e32 v[76:77], 0x7f800001
	v_bfe_u32 v78, v0, 16, 7
	s_mov_b32 s14, exec_lo
	s_delay_alu instid0(VALU_DEP_1)
	v_cmpx_ne_u32_e32 0x7f, v78
	s_cbranch_execz .LBB179_915
; %bb.912:                              ;   in Loop: Header=BB179_553 Depth=1
	v_dual_lshrrev_b32 v76, 3, v78 :: v_dual_bitop2_b32 v22, 7, v1 bitop3:0x40
	s_mov_b32 s15, exec_lo
	v_cmpx_gt_u32_e32 8, v78
; %bb.913:                              ;   in Loop: Header=BB179_553 Depth=1
	s_delay_alu instid0(VALU_DEP_2) | instskip(NEXT) | instid1(VALU_DEP_1)
	v_clz_i32_u32_e32 v76, v22
	v_min_u32_e32 v76, 32, v76
	s_delay_alu instid0(VALU_DEP_1) | instskip(NEXT) | instid1(VALU_DEP_1)
	v_subrev_nc_u32_e32 v77, 28, v76
	v_lshlrev_b64_e32 v[78:79], v77, v[22:23]
	s_delay_alu instid0(VALU_DEP_1)
	v_dual_sub_nc_u32 v76, 29, v76 :: v_dual_bitop2_b32 v22, 7, v78 bitop3:0x40
; %bb.914:                              ;   in Loop: Header=BB179_553 Depth=1
	s_or_b32 exec_lo, exec_lo, s15
	s_delay_alu instid0(VALU_DEP_1) | instskip(NEXT) | instid1(VALU_DEP_2)
	v_dual_lshlrev_b32 v1, 24, v1 :: v_dual_lshlrev_b32 v22, 20, v22
	v_lshl_add_u32 v76, v76, 23, 0x3c000000
	s_delay_alu instid0(VALU_DEP_2) | instskip(NEXT) | instid1(VALU_DEP_1)
	v_and_b32_e32 v1, 0x80000000, v1
	v_or3_b32 v22, v22, v1, v76
	s_delay_alu instid0(VALU_DEP_1)
	v_mov_b64_e32 v[76:77], v[22:23]
.LBB179_915:                            ;   in Loop: Header=BB179_553 Depth=1
	s_or_b32 exec_lo, exec_lo, s14
.LBB179_916:                            ;   in Loop: Header=BB179_553 Depth=1
	s_delay_alu instid0(SALU_CYCLE_1)
	s_or_b32 exec_lo, exec_lo, s13
.LBB179_917:                            ;   in Loop: Header=BB179_553 Depth=1
	s_delay_alu instid0(SALU_CYCLE_1) | instskip(NEXT) | instid1(SALU_CYCLE_1)
	s_or_b32 exec_lo, exec_lo, s11
	s_mov_b32 s11, exec_lo
	v_cmpx_lt_u32_e32 0xffffff, v0
	s_cbranch_execz .LBB179_925
; %bb.918:                              ;   in Loop: Header=BB179_553 Depth=1
	v_mov_b64_e32 v[74:75], 0x8000000000000000
	v_lshrrev_b32_e32 v1, 24, v0
	s_mov_b32 s13, exec_lo
	s_delay_alu instid0(VALU_DEP_1)
	v_cmpx_ne_u32_e32 0x80, v1
	s_cbranch_execz .LBB179_924
; %bb.919:                              ;   in Loop: Header=BB179_553 Depth=1
	v_mov_b64_e32 v[74:75], 0x7f80000100000000
	v_bfe_u32 v78, v0, 24, 7
	s_mov_b32 s14, exec_lo
	s_delay_alu instid0(VALU_DEP_1)
	v_cmpx_ne_u32_e32 0x7f, v78
	s_cbranch_execz .LBB179_923
; %bb.920:                              ;   in Loop: Header=BB179_553 Depth=1
	v_dual_lshrrev_b32 v0, 3, v78 :: v_dual_bitop2_b32 v22, 7, v1 bitop3:0x40
	s_mov_b32 s15, exec_lo
	v_cmpx_gt_u32_e32 8, v78
; %bb.921:                              ;   in Loop: Header=BB179_553 Depth=1
	s_delay_alu instid0(VALU_DEP_2) | instskip(NEXT) | instid1(VALU_DEP_1)
	v_clz_i32_u32_e32 v0, v22
	v_min_u32_e32 v0, 32, v0
	s_delay_alu instid0(VALU_DEP_1) | instskip(NEXT) | instid1(VALU_DEP_1)
	v_subrev_nc_u32_e32 v74, 28, v0
	v_lshlrev_b64_e32 v[74:75], v74, v[22:23]
	s_delay_alu instid0(VALU_DEP_1)
	v_dual_sub_nc_u32 v0, 29, v0 :: v_dual_bitop2_b32 v22, 7, v74 bitop3:0x40
; %bb.922:                              ;   in Loop: Header=BB179_553 Depth=1
	s_or_b32 exec_lo, exec_lo, s15
	s_delay_alu instid0(VALU_DEP_1) | instskip(NEXT) | instid1(VALU_DEP_2)
	v_dual_lshlrev_b32 v1, 24, v1 :: v_dual_lshlrev_b32 v22, 20, v22
	v_lshl_add_u32 v0, v0, 23, 0x3c000000
	v_mov_b32_e32 v74, v23
	s_delay_alu instid0(VALU_DEP_3) | instskip(NEXT) | instid1(VALU_DEP_1)
	v_and_b32_e32 v1, 0x80000000, v1
	v_or3_b32 v75, v22, v1, v0
.LBB179_923:                            ;   in Loop: Header=BB179_553 Depth=1
	s_or_b32 exec_lo, exec_lo, s14
.LBB179_924:                            ;   in Loop: Header=BB179_553 Depth=1
	s_delay_alu instid0(SALU_CYCLE_1)
	s_or_b32 exec_lo, exec_lo, s13
.LBB179_925:                            ;   in Loop: Header=BB179_553 Depth=1
	s_delay_alu instid0(SALU_CYCLE_1)
	s_or_b32 exec_lo, exec_lo, s11
	v_or_b32_e32 v1, v71, v73
	v_or_b32_e32 v0, v70, v72
	v_mov_b64_e32 v[70:71], s[2:3]
	v_or_b32_e32 v75, v75, v77
	v_or_b32_e32 v74, v74, v76
	s_delay_alu instid0(VALU_DEP_3) | instskip(NEXT) | instid1(VALU_DEP_2)
	v_pk_mul_f32 v[72:73], v[70:71], v[0:1]
	v_pk_mul_f32 v[70:71], v[70:71], v[74:75]
	s_and_saveexec_b32 s11, vcc_lo
	s_cbranch_execz .LBB179_927
; %bb.926:                              ;   in Loop: Header=BB179_553 Depth=1
	v_cmp_gt_i32_e64 s0, s24, v99
	s_delay_alu instid0(VALU_DEP_1) | instskip(SKIP_1) | instid1(VALU_DEP_1)
	v_cndmask_b32_e64 v72, 0, v72, s0
	v_cmp_gt_i32_e64 s0, s24, v102
	v_cndmask_b32_e64 v73, 0, v73, s0
	v_cmp_gt_i32_e64 s0, s24, v95
	s_delay_alu instid0(VALU_DEP_1) | instskip(SKIP_1) | instid1(VALU_DEP_1)
	v_cndmask_b32_e64 v70, 0, v70, s0
	v_cmp_gt_i32_e64 s0, s24, v94
	v_cndmask_b32_e64 v71, 0, v71, s0
.LBB179_927:                            ;   in Loop: Header=BB179_553 Depth=1
	s_or_b32 exec_lo, exec_lo, s11
	global_load_b32 v0, v[32:33], off offset:1408
	v_mov_b64_e32 v[74:75], 0
	v_mov_b64_e32 v[76:77], 0
	s_mov_b32 s11, exec_lo
	s_wait_loadcnt 0x0
	v_and_b32_e32 v1, 0xff, v0
	s_delay_alu instid0(VALU_DEP_1)
	v_cmpx_ne_u16_e32 0, v1
	s_cbranch_execz .LBB179_935
; %bb.928:                              ;   in Loop: Header=BB179_553 Depth=1
	v_mov_b64_e32 v[76:77], 0x80000000
	s_mov_b32 s13, exec_lo
	v_cmpx_ne_u16_e32 0x80, v1
	s_cbranch_execz .LBB179_934
; %bb.929:                              ;   in Loop: Header=BB179_553 Depth=1
	v_mov_b64_e32 v[76:77], 0x7f800001
	v_and_b32_e32 v78, 0x7f, v0
	s_mov_b32 s14, exec_lo
	s_delay_alu instid0(VALU_DEP_1)
	v_cmpx_ne_u32_e32 0x7f, v78
	s_cbranch_execz .LBB179_933
; %bb.930:                              ;   in Loop: Header=BB179_553 Depth=1
	v_dual_lshrrev_b32 v1, 3, v78 :: v_dual_bitop2_b32 v22, 7, v0 bitop3:0x40
	s_mov_b32 s15, exec_lo
	v_cmpx_gt_u32_e32 8, v78
; %bb.931:                              ;   in Loop: Header=BB179_553 Depth=1
	s_delay_alu instid0(VALU_DEP_2) | instskip(NEXT) | instid1(VALU_DEP_1)
	v_clz_i32_u32_e32 v1, v22
	v_min_u32_e32 v1, 32, v1
	s_delay_alu instid0(VALU_DEP_1) | instskip(NEXT) | instid1(VALU_DEP_1)
	v_subrev_nc_u32_e32 v76, 28, v1
	v_lshlrev_b64_e32 v[76:77], v76, v[22:23]
	s_delay_alu instid0(VALU_DEP_1)
	v_dual_sub_nc_u32 v1, 29, v1 :: v_dual_bitop2_b32 v22, 7, v76 bitop3:0x40
; %bb.932:                              ;   in Loop: Header=BB179_553 Depth=1
	s_or_b32 exec_lo, exec_lo, s15
	s_delay_alu instid0(VALU_DEP_1) | instskip(NEXT) | instid1(VALU_DEP_2)
	v_dual_lshlrev_b32 v76, 24, v0 :: v_dual_lshlrev_b32 v22, 20, v22
	v_lshl_add_u32 v1, v1, 23, 0x3c000000
	s_delay_alu instid0(VALU_DEP_2) | instskip(NEXT) | instid1(VALU_DEP_1)
	v_and_b32_e32 v76, 0x80000000, v76
	v_or3_b32 v22, v22, v76, v1
	s_delay_alu instid0(VALU_DEP_1)
	v_mov_b64_e32 v[76:77], v[22:23]
.LBB179_933:                            ;   in Loop: Header=BB179_553 Depth=1
	s_or_b32 exec_lo, exec_lo, s14
.LBB179_934:                            ;   in Loop: Header=BB179_553 Depth=1
	s_delay_alu instid0(SALU_CYCLE_1)
	s_or_b32 exec_lo, exec_lo, s13
.LBB179_935:                            ;   in Loop: Header=BB179_553 Depth=1
	s_delay_alu instid0(SALU_CYCLE_1) | instskip(SKIP_2) | instid1(VALU_DEP_1)
	s_or_b32 exec_lo, exec_lo, s11
	v_lshrrev_b16 v1, 8, v0
	s_mov_b32 s11, exec_lo
	v_cmpx_ne_u16_e32 0, v1
	s_cbranch_execz .LBB179_943
; %bb.936:                              ;   in Loop: Header=BB179_553 Depth=1
	v_mov_b64_e32 v[74:75], 0x8000000000000000
	s_mov_b32 s13, exec_lo
	v_cmpx_ne_u16_e32 0x80, v1
	s_cbranch_execz .LBB179_942
; %bb.937:                              ;   in Loop: Header=BB179_553 Depth=1
	v_and_b32_e32 v1, 0xffff, v1
	v_mov_b64_e32 v[74:75], 0x7f80000100000000
	s_mov_b32 s14, exec_lo
	s_delay_alu instid0(VALU_DEP_2) | instskip(NEXT) | instid1(VALU_DEP_1)
	v_and_b32_e32 v78, 0x7f, v1
	v_cmpx_ne_u32_e32 0x7f, v78
	s_cbranch_execz .LBB179_941
; %bb.938:                              ;   in Loop: Header=BB179_553 Depth=1
	v_dual_lshrrev_b32 v1, 3, v78 :: v_dual_bitop2_b32 v22, 7, v1 bitop3:0x40
	s_mov_b32 s15, exec_lo
	v_cmpx_gt_u32_e32 8, v78
; %bb.939:                              ;   in Loop: Header=BB179_553 Depth=1
	s_delay_alu instid0(VALU_DEP_2) | instskip(NEXT) | instid1(VALU_DEP_1)
	v_clz_i32_u32_e32 v1, v22
	v_min_u32_e32 v1, 32, v1
	s_delay_alu instid0(VALU_DEP_1) | instskip(NEXT) | instid1(VALU_DEP_1)
	v_subrev_nc_u32_e32 v74, 28, v1
	v_lshlrev_b64_e32 v[74:75], v74, v[22:23]
	s_delay_alu instid0(VALU_DEP_1)
	v_dual_sub_nc_u32 v1, 29, v1 :: v_dual_bitop2_b32 v22, 7, v74 bitop3:0x40
; %bb.940:                              ;   in Loop: Header=BB179_553 Depth=1
	s_or_b32 exec_lo, exec_lo, s15
	s_delay_alu instid0(VALU_DEP_1) | instskip(NEXT) | instid1(VALU_DEP_2)
	v_dual_lshlrev_b32 v74, 16, v0 :: v_dual_lshlrev_b32 v22, 20, v22
	v_lshl_add_u32 v1, v1, 23, 0x3c000000
	s_delay_alu instid0(VALU_DEP_2) | instskip(NEXT) | instid1(VALU_DEP_1)
	v_and_b32_e32 v74, 0x80000000, v74
	v_or3_b32 v75, v22, v74, v1
	v_mov_b32_e32 v74, v23
.LBB179_941:                            ;   in Loop: Header=BB179_553 Depth=1
	s_or_b32 exec_lo, exec_lo, s14
.LBB179_942:                            ;   in Loop: Header=BB179_553 Depth=1
	s_delay_alu instid0(SALU_CYCLE_1)
	s_or_b32 exec_lo, exec_lo, s13
.LBB179_943:                            ;   in Loop: Header=BB179_553 Depth=1
	s_delay_alu instid0(SALU_CYCLE_1) | instskip(SKIP_4) | instid1(VALU_DEP_3)
	s_or_b32 exec_lo, exec_lo, s11
	v_lshrrev_b32_e32 v1, 16, v0
	v_mov_b64_e32 v[78:79], 0
	v_mov_b64_e32 v[80:81], 0
	s_mov_b32 s11, exec_lo
	v_and_b32_e32 v22, 0xff, v1
	s_delay_alu instid0(VALU_DEP_1)
	v_cmpx_ne_u16_e32 0, v22
	s_cbranch_execz .LBB179_951
; %bb.944:                              ;   in Loop: Header=BB179_553 Depth=1
	v_mov_b64_e32 v[80:81], 0x80000000
	s_mov_b32 s13, exec_lo
	v_cmpx_ne_u16_e32 0x80, v22
	s_cbranch_execz .LBB179_950
; %bb.945:                              ;   in Loop: Header=BB179_553 Depth=1
	v_mov_b64_e32 v[80:81], 0x7f800001
	v_bfe_u32 v82, v0, 16, 7
	s_mov_b32 s14, exec_lo
	s_delay_alu instid0(VALU_DEP_1)
	v_cmpx_ne_u32_e32 0x7f, v82
	s_cbranch_execz .LBB179_949
; %bb.946:                              ;   in Loop: Header=BB179_553 Depth=1
	v_dual_lshrrev_b32 v80, 3, v82 :: v_dual_bitop2_b32 v22, 7, v1 bitop3:0x40
	s_mov_b32 s15, exec_lo
	v_cmpx_gt_u32_e32 8, v82
; %bb.947:                              ;   in Loop: Header=BB179_553 Depth=1
	s_delay_alu instid0(VALU_DEP_2) | instskip(NEXT) | instid1(VALU_DEP_1)
	v_clz_i32_u32_e32 v80, v22
	v_min_u32_e32 v80, 32, v80
	s_delay_alu instid0(VALU_DEP_1) | instskip(NEXT) | instid1(VALU_DEP_1)
	v_subrev_nc_u32_e32 v81, 28, v80
	v_lshlrev_b64_e32 v[82:83], v81, v[22:23]
	s_delay_alu instid0(VALU_DEP_1)
	v_dual_sub_nc_u32 v80, 29, v80 :: v_dual_bitop2_b32 v22, 7, v82 bitop3:0x40
; %bb.948:                              ;   in Loop: Header=BB179_553 Depth=1
	s_or_b32 exec_lo, exec_lo, s15
	s_delay_alu instid0(VALU_DEP_1) | instskip(NEXT) | instid1(VALU_DEP_2)
	v_dual_lshlrev_b32 v1, 24, v1 :: v_dual_lshlrev_b32 v22, 20, v22
	v_lshl_add_u32 v80, v80, 23, 0x3c000000
	s_delay_alu instid0(VALU_DEP_2) | instskip(NEXT) | instid1(VALU_DEP_1)
	v_and_b32_e32 v1, 0x80000000, v1
	v_or3_b32 v22, v22, v1, v80
	s_delay_alu instid0(VALU_DEP_1)
	v_mov_b64_e32 v[80:81], v[22:23]
.LBB179_949:                            ;   in Loop: Header=BB179_553 Depth=1
	s_or_b32 exec_lo, exec_lo, s14
.LBB179_950:                            ;   in Loop: Header=BB179_553 Depth=1
	s_delay_alu instid0(SALU_CYCLE_1)
	s_or_b32 exec_lo, exec_lo, s13
.LBB179_951:                            ;   in Loop: Header=BB179_553 Depth=1
	s_delay_alu instid0(SALU_CYCLE_1) | instskip(NEXT) | instid1(SALU_CYCLE_1)
	s_or_b32 exec_lo, exec_lo, s11
	s_mov_b32 s11, exec_lo
	v_cmpx_lt_u32_e32 0xffffff, v0
	s_cbranch_execz .LBB179_959
; %bb.952:                              ;   in Loop: Header=BB179_553 Depth=1
	v_mov_b64_e32 v[78:79], 0x8000000000000000
	v_lshrrev_b32_e32 v1, 24, v0
	s_mov_b32 s13, exec_lo
	s_delay_alu instid0(VALU_DEP_1)
	v_cmpx_ne_u32_e32 0x80, v1
	s_cbranch_execz .LBB179_958
; %bb.953:                              ;   in Loop: Header=BB179_553 Depth=1
	v_mov_b64_e32 v[78:79], 0x7f80000100000000
	v_bfe_u32 v82, v0, 24, 7
	s_mov_b32 s14, exec_lo
	s_delay_alu instid0(VALU_DEP_1)
	v_cmpx_ne_u32_e32 0x7f, v82
	s_cbranch_execz .LBB179_957
; %bb.954:                              ;   in Loop: Header=BB179_553 Depth=1
	v_dual_lshrrev_b32 v0, 3, v82 :: v_dual_bitop2_b32 v22, 7, v1 bitop3:0x40
	s_mov_b32 s15, exec_lo
	v_cmpx_gt_u32_e32 8, v82
; %bb.955:                              ;   in Loop: Header=BB179_553 Depth=1
	s_delay_alu instid0(VALU_DEP_2) | instskip(NEXT) | instid1(VALU_DEP_1)
	v_clz_i32_u32_e32 v0, v22
	v_min_u32_e32 v0, 32, v0
	s_delay_alu instid0(VALU_DEP_1) | instskip(NEXT) | instid1(VALU_DEP_1)
	v_subrev_nc_u32_e32 v78, 28, v0
	v_lshlrev_b64_e32 v[78:79], v78, v[22:23]
	s_delay_alu instid0(VALU_DEP_1)
	v_dual_sub_nc_u32 v0, 29, v0 :: v_dual_bitop2_b32 v22, 7, v78 bitop3:0x40
; %bb.956:                              ;   in Loop: Header=BB179_553 Depth=1
	s_or_b32 exec_lo, exec_lo, s15
	s_delay_alu instid0(VALU_DEP_1) | instskip(NEXT) | instid1(VALU_DEP_2)
	v_dual_lshlrev_b32 v1, 24, v1 :: v_dual_lshlrev_b32 v22, 20, v22
	v_lshl_add_u32 v0, v0, 23, 0x3c000000
	v_mov_b32_e32 v78, v23
	s_delay_alu instid0(VALU_DEP_3) | instskip(NEXT) | instid1(VALU_DEP_1)
	v_and_b32_e32 v1, 0x80000000, v1
	v_or3_b32 v79, v22, v1, v0
.LBB179_957:                            ;   in Loop: Header=BB179_553 Depth=1
	s_or_b32 exec_lo, exec_lo, s14
.LBB179_958:                            ;   in Loop: Header=BB179_553 Depth=1
	s_delay_alu instid0(SALU_CYCLE_1)
	s_or_b32 exec_lo, exec_lo, s13
.LBB179_959:                            ;   in Loop: Header=BB179_553 Depth=1
	s_delay_alu instid0(SALU_CYCLE_1)
	s_or_b32 exec_lo, exec_lo, s11
	v_or_b32_e32 v1, v75, v77
	v_or_b32_e32 v0, v74, v76
	v_mov_b64_e32 v[74:75], s[2:3]
	v_or_b32_e32 v79, v79, v81
	v_or_b32_e32 v78, v78, v80
	s_delay_alu instid0(VALU_DEP_3) | instskip(NEXT) | instid1(VALU_DEP_2)
	v_pk_mul_f32 v[76:77], v[74:75], v[0:1]
	v_pk_mul_f32 v[74:75], v[74:75], v[78:79]
	s_and_saveexec_b32 s11, vcc_lo
	s_cbranch_execz .LBB179_961
; %bb.960:                              ;   in Loop: Header=BB179_553 Depth=1
	v_cmp_gt_i32_e64 s0, s24, v99
	s_delay_alu instid0(VALU_DEP_1) | instskip(SKIP_1) | instid1(VALU_DEP_1)
	v_cndmask_b32_e64 v76, 0, v76, s0
	v_cmp_gt_i32_e64 s0, s24, v102
	v_cndmask_b32_e64 v77, 0, v77, s0
	v_cmp_gt_i32_e64 s0, s24, v95
	s_delay_alu instid0(VALU_DEP_1) | instskip(SKIP_1) | instid1(VALU_DEP_1)
	v_cndmask_b32_e64 v74, 0, v74, s0
	v_cmp_gt_i32_e64 s0, s24, v94
	v_cndmask_b32_e64 v75, 0, v75, s0
.LBB179_961:                            ;   in Loop: Header=BB179_553 Depth=1
	s_or_b32 exec_lo, exec_lo, s11
	global_load_b32 v0, v[32:33], off offset:1536
	v_mov_b64_e32 v[78:79], 0
	v_mov_b64_e32 v[80:81], 0
	s_mov_b32 s11, exec_lo
	s_wait_loadcnt 0x0
	v_and_b32_e32 v1, 0xff, v0
	s_delay_alu instid0(VALU_DEP_1)
	v_cmpx_ne_u16_e32 0, v1
	s_cbranch_execz .LBB179_969
; %bb.962:                              ;   in Loop: Header=BB179_553 Depth=1
	v_mov_b64_e32 v[80:81], 0x80000000
	s_mov_b32 s13, exec_lo
	v_cmpx_ne_u16_e32 0x80, v1
	s_cbranch_execz .LBB179_968
; %bb.963:                              ;   in Loop: Header=BB179_553 Depth=1
	v_mov_b64_e32 v[80:81], 0x7f800001
	v_and_b32_e32 v82, 0x7f, v0
	s_mov_b32 s14, exec_lo
	s_delay_alu instid0(VALU_DEP_1)
	v_cmpx_ne_u32_e32 0x7f, v82
	s_cbranch_execz .LBB179_967
; %bb.964:                              ;   in Loop: Header=BB179_553 Depth=1
	v_dual_lshrrev_b32 v1, 3, v82 :: v_dual_bitop2_b32 v22, 7, v0 bitop3:0x40
	s_mov_b32 s15, exec_lo
	v_cmpx_gt_u32_e32 8, v82
; %bb.965:                              ;   in Loop: Header=BB179_553 Depth=1
	s_delay_alu instid0(VALU_DEP_2) | instskip(NEXT) | instid1(VALU_DEP_1)
	v_clz_i32_u32_e32 v1, v22
	v_min_u32_e32 v1, 32, v1
	s_delay_alu instid0(VALU_DEP_1) | instskip(NEXT) | instid1(VALU_DEP_1)
	v_subrev_nc_u32_e32 v80, 28, v1
	v_lshlrev_b64_e32 v[80:81], v80, v[22:23]
	s_delay_alu instid0(VALU_DEP_1)
	v_dual_sub_nc_u32 v1, 29, v1 :: v_dual_bitop2_b32 v22, 7, v80 bitop3:0x40
; %bb.966:                              ;   in Loop: Header=BB179_553 Depth=1
	s_or_b32 exec_lo, exec_lo, s15
	s_delay_alu instid0(VALU_DEP_1) | instskip(NEXT) | instid1(VALU_DEP_2)
	v_dual_lshlrev_b32 v80, 24, v0 :: v_dual_lshlrev_b32 v22, 20, v22
	v_lshl_add_u32 v1, v1, 23, 0x3c000000
	s_delay_alu instid0(VALU_DEP_2) | instskip(NEXT) | instid1(VALU_DEP_1)
	v_and_b32_e32 v80, 0x80000000, v80
	v_or3_b32 v22, v22, v80, v1
	s_delay_alu instid0(VALU_DEP_1)
	v_mov_b64_e32 v[80:81], v[22:23]
.LBB179_967:                            ;   in Loop: Header=BB179_553 Depth=1
	s_or_b32 exec_lo, exec_lo, s14
.LBB179_968:                            ;   in Loop: Header=BB179_553 Depth=1
	s_delay_alu instid0(SALU_CYCLE_1)
	s_or_b32 exec_lo, exec_lo, s13
.LBB179_969:                            ;   in Loop: Header=BB179_553 Depth=1
	s_delay_alu instid0(SALU_CYCLE_1) | instskip(SKIP_2) | instid1(VALU_DEP_1)
	s_or_b32 exec_lo, exec_lo, s11
	v_lshrrev_b16 v1, 8, v0
	s_mov_b32 s11, exec_lo
	v_cmpx_ne_u16_e32 0, v1
	s_cbranch_execz .LBB179_977
; %bb.970:                              ;   in Loop: Header=BB179_553 Depth=1
	v_mov_b64_e32 v[78:79], 0x8000000000000000
	s_mov_b32 s13, exec_lo
	v_cmpx_ne_u16_e32 0x80, v1
	s_cbranch_execz .LBB179_976
; %bb.971:                              ;   in Loop: Header=BB179_553 Depth=1
	v_and_b32_e32 v1, 0xffff, v1
	v_mov_b64_e32 v[78:79], 0x7f80000100000000
	s_mov_b32 s14, exec_lo
	s_delay_alu instid0(VALU_DEP_2) | instskip(NEXT) | instid1(VALU_DEP_1)
	v_and_b32_e32 v82, 0x7f, v1
	v_cmpx_ne_u32_e32 0x7f, v82
	s_cbranch_execz .LBB179_975
; %bb.972:                              ;   in Loop: Header=BB179_553 Depth=1
	v_dual_lshrrev_b32 v1, 3, v82 :: v_dual_bitop2_b32 v22, 7, v1 bitop3:0x40
	s_mov_b32 s15, exec_lo
	v_cmpx_gt_u32_e32 8, v82
; %bb.973:                              ;   in Loop: Header=BB179_553 Depth=1
	s_delay_alu instid0(VALU_DEP_2) | instskip(NEXT) | instid1(VALU_DEP_1)
	v_clz_i32_u32_e32 v1, v22
	v_min_u32_e32 v1, 32, v1
	s_delay_alu instid0(VALU_DEP_1) | instskip(NEXT) | instid1(VALU_DEP_1)
	v_subrev_nc_u32_e32 v78, 28, v1
	v_lshlrev_b64_e32 v[78:79], v78, v[22:23]
	s_delay_alu instid0(VALU_DEP_1)
	v_dual_sub_nc_u32 v1, 29, v1 :: v_dual_bitop2_b32 v22, 7, v78 bitop3:0x40
; %bb.974:                              ;   in Loop: Header=BB179_553 Depth=1
	s_or_b32 exec_lo, exec_lo, s15
	s_delay_alu instid0(VALU_DEP_1) | instskip(NEXT) | instid1(VALU_DEP_2)
	v_dual_lshlrev_b32 v78, 16, v0 :: v_dual_lshlrev_b32 v22, 20, v22
	v_lshl_add_u32 v1, v1, 23, 0x3c000000
	s_delay_alu instid0(VALU_DEP_2) | instskip(NEXT) | instid1(VALU_DEP_1)
	v_and_b32_e32 v78, 0x80000000, v78
	v_or3_b32 v79, v22, v78, v1
	v_mov_b32_e32 v78, v23
.LBB179_975:                            ;   in Loop: Header=BB179_553 Depth=1
	s_or_b32 exec_lo, exec_lo, s14
.LBB179_976:                            ;   in Loop: Header=BB179_553 Depth=1
	s_delay_alu instid0(SALU_CYCLE_1)
	s_or_b32 exec_lo, exec_lo, s13
.LBB179_977:                            ;   in Loop: Header=BB179_553 Depth=1
	s_delay_alu instid0(SALU_CYCLE_1) | instskip(SKIP_4) | instid1(VALU_DEP_3)
	s_or_b32 exec_lo, exec_lo, s11
	v_lshrrev_b32_e32 v1, 16, v0
	v_mov_b64_e32 v[82:83], 0
	v_mov_b64_e32 v[84:85], 0
	s_mov_b32 s11, exec_lo
	v_and_b32_e32 v22, 0xff, v1
	s_delay_alu instid0(VALU_DEP_1)
	v_cmpx_ne_u16_e32 0, v22
	s_cbranch_execz .LBB179_985
; %bb.978:                              ;   in Loop: Header=BB179_553 Depth=1
	v_mov_b64_e32 v[84:85], 0x80000000
	s_mov_b32 s13, exec_lo
	v_cmpx_ne_u16_e32 0x80, v22
	s_cbranch_execz .LBB179_984
; %bb.979:                              ;   in Loop: Header=BB179_553 Depth=1
	v_mov_b64_e32 v[84:85], 0x7f800001
	v_bfe_u32 v86, v0, 16, 7
	s_mov_b32 s14, exec_lo
	s_delay_alu instid0(VALU_DEP_1)
	v_cmpx_ne_u32_e32 0x7f, v86
	s_cbranch_execz .LBB179_983
; %bb.980:                              ;   in Loop: Header=BB179_553 Depth=1
	v_dual_lshrrev_b32 v84, 3, v86 :: v_dual_bitop2_b32 v22, 7, v1 bitop3:0x40
	s_mov_b32 s15, exec_lo
	v_cmpx_gt_u32_e32 8, v86
; %bb.981:                              ;   in Loop: Header=BB179_553 Depth=1
	s_delay_alu instid0(VALU_DEP_2) | instskip(NEXT) | instid1(VALU_DEP_1)
	v_clz_i32_u32_e32 v84, v22
	v_min_u32_e32 v84, 32, v84
	s_delay_alu instid0(VALU_DEP_1) | instskip(NEXT) | instid1(VALU_DEP_1)
	v_subrev_nc_u32_e32 v85, 28, v84
	v_lshlrev_b64_e32 v[86:87], v85, v[22:23]
	s_delay_alu instid0(VALU_DEP_1)
	v_dual_sub_nc_u32 v84, 29, v84 :: v_dual_bitop2_b32 v22, 7, v86 bitop3:0x40
; %bb.982:                              ;   in Loop: Header=BB179_553 Depth=1
	s_or_b32 exec_lo, exec_lo, s15
	s_delay_alu instid0(VALU_DEP_1) | instskip(NEXT) | instid1(VALU_DEP_2)
	v_dual_lshlrev_b32 v1, 24, v1 :: v_dual_lshlrev_b32 v22, 20, v22
	v_lshl_add_u32 v84, v84, 23, 0x3c000000
	s_delay_alu instid0(VALU_DEP_2) | instskip(NEXT) | instid1(VALU_DEP_1)
	v_and_b32_e32 v1, 0x80000000, v1
	v_or3_b32 v22, v22, v1, v84
	s_delay_alu instid0(VALU_DEP_1)
	v_mov_b64_e32 v[84:85], v[22:23]
.LBB179_983:                            ;   in Loop: Header=BB179_553 Depth=1
	s_or_b32 exec_lo, exec_lo, s14
.LBB179_984:                            ;   in Loop: Header=BB179_553 Depth=1
	s_delay_alu instid0(SALU_CYCLE_1)
	s_or_b32 exec_lo, exec_lo, s13
.LBB179_985:                            ;   in Loop: Header=BB179_553 Depth=1
	s_delay_alu instid0(SALU_CYCLE_1) | instskip(NEXT) | instid1(SALU_CYCLE_1)
	s_or_b32 exec_lo, exec_lo, s11
	s_mov_b32 s11, exec_lo
	v_cmpx_lt_u32_e32 0xffffff, v0
	s_cbranch_execz .LBB179_993
; %bb.986:                              ;   in Loop: Header=BB179_553 Depth=1
	v_mov_b64_e32 v[82:83], 0x8000000000000000
	v_lshrrev_b32_e32 v1, 24, v0
	s_mov_b32 s13, exec_lo
	s_delay_alu instid0(VALU_DEP_1)
	v_cmpx_ne_u32_e32 0x80, v1
	s_cbranch_execz .LBB179_992
; %bb.987:                              ;   in Loop: Header=BB179_553 Depth=1
	v_mov_b64_e32 v[82:83], 0x7f80000100000000
	v_bfe_u32 v86, v0, 24, 7
	s_mov_b32 s14, exec_lo
	s_delay_alu instid0(VALU_DEP_1)
	v_cmpx_ne_u32_e32 0x7f, v86
	s_cbranch_execz .LBB179_991
; %bb.988:                              ;   in Loop: Header=BB179_553 Depth=1
	v_dual_lshrrev_b32 v0, 3, v86 :: v_dual_bitop2_b32 v22, 7, v1 bitop3:0x40
	s_mov_b32 s15, exec_lo
	v_cmpx_gt_u32_e32 8, v86
; %bb.989:                              ;   in Loop: Header=BB179_553 Depth=1
	s_delay_alu instid0(VALU_DEP_2) | instskip(NEXT) | instid1(VALU_DEP_1)
	v_clz_i32_u32_e32 v0, v22
	v_min_u32_e32 v0, 32, v0
	s_delay_alu instid0(VALU_DEP_1) | instskip(NEXT) | instid1(VALU_DEP_1)
	v_subrev_nc_u32_e32 v82, 28, v0
	v_lshlrev_b64_e32 v[82:83], v82, v[22:23]
	s_delay_alu instid0(VALU_DEP_1)
	v_dual_sub_nc_u32 v0, 29, v0 :: v_dual_bitop2_b32 v22, 7, v82 bitop3:0x40
; %bb.990:                              ;   in Loop: Header=BB179_553 Depth=1
	s_or_b32 exec_lo, exec_lo, s15
	s_delay_alu instid0(VALU_DEP_1) | instskip(NEXT) | instid1(VALU_DEP_2)
	v_dual_lshlrev_b32 v1, 24, v1 :: v_dual_lshlrev_b32 v22, 20, v22
	v_lshl_add_u32 v0, v0, 23, 0x3c000000
	v_mov_b32_e32 v82, v23
	s_delay_alu instid0(VALU_DEP_3) | instskip(NEXT) | instid1(VALU_DEP_1)
	v_and_b32_e32 v1, 0x80000000, v1
	v_or3_b32 v83, v22, v1, v0
.LBB179_991:                            ;   in Loop: Header=BB179_553 Depth=1
	s_or_b32 exec_lo, exec_lo, s14
.LBB179_992:                            ;   in Loop: Header=BB179_553 Depth=1
	s_delay_alu instid0(SALU_CYCLE_1)
	s_or_b32 exec_lo, exec_lo, s13
.LBB179_993:                            ;   in Loop: Header=BB179_553 Depth=1
	s_delay_alu instid0(SALU_CYCLE_1)
	s_or_b32 exec_lo, exec_lo, s11
	v_or_b32_e32 v1, v79, v81
	v_or_b32_e32 v0, v78, v80
	v_mov_b64_e32 v[78:79], s[2:3]
	v_or_b32_e32 v83, v83, v85
	v_or_b32_e32 v82, v82, v84
	s_delay_alu instid0(VALU_DEP_3) | instskip(NEXT) | instid1(VALU_DEP_2)
	v_pk_mul_f32 v[80:81], v[78:79], v[0:1]
	v_pk_mul_f32 v[78:79], v[78:79], v[82:83]
	s_and_saveexec_b32 s11, vcc_lo
	s_cbranch_execz .LBB179_995
; %bb.994:                              ;   in Loop: Header=BB179_553 Depth=1
	v_cmp_gt_i32_e64 s0, s24, v99
	s_delay_alu instid0(VALU_DEP_1) | instskip(SKIP_1) | instid1(VALU_DEP_1)
	v_cndmask_b32_e64 v80, 0, v80, s0
	v_cmp_gt_i32_e64 s0, s24, v102
	v_cndmask_b32_e64 v81, 0, v81, s0
	v_cmp_gt_i32_e64 s0, s24, v95
	s_delay_alu instid0(VALU_DEP_1) | instskip(SKIP_1) | instid1(VALU_DEP_1)
	v_cndmask_b32_e64 v78, 0, v78, s0
	v_cmp_gt_i32_e64 s0, s24, v94
	v_cndmask_b32_e64 v79, 0, v79, s0
.LBB179_995:                            ;   in Loop: Header=BB179_553 Depth=1
	s_or_b32 exec_lo, exec_lo, s11
	global_load_b32 v0, v[32:33], off offset:1664
	v_mov_b64_e32 v[82:83], 0
	v_mov_b64_e32 v[84:85], 0
	s_mov_b32 s11, exec_lo
	s_wait_loadcnt 0x0
	v_and_b32_e32 v1, 0xff, v0
	s_delay_alu instid0(VALU_DEP_1)
	v_cmpx_ne_u16_e32 0, v1
	s_cbranch_execz .LBB179_1003
; %bb.996:                              ;   in Loop: Header=BB179_553 Depth=1
	v_mov_b64_e32 v[84:85], 0x80000000
	s_mov_b32 s13, exec_lo
	v_cmpx_ne_u16_e32 0x80, v1
	s_cbranch_execz .LBB179_1002
; %bb.997:                              ;   in Loop: Header=BB179_553 Depth=1
	v_mov_b64_e32 v[84:85], 0x7f800001
	v_and_b32_e32 v86, 0x7f, v0
	s_mov_b32 s14, exec_lo
	s_delay_alu instid0(VALU_DEP_1)
	v_cmpx_ne_u32_e32 0x7f, v86
	s_cbranch_execz .LBB179_1001
; %bb.998:                              ;   in Loop: Header=BB179_553 Depth=1
	v_dual_lshrrev_b32 v1, 3, v86 :: v_dual_bitop2_b32 v22, 7, v0 bitop3:0x40
	s_mov_b32 s15, exec_lo
	v_cmpx_gt_u32_e32 8, v86
; %bb.999:                              ;   in Loop: Header=BB179_553 Depth=1
	s_delay_alu instid0(VALU_DEP_2) | instskip(NEXT) | instid1(VALU_DEP_1)
	v_clz_i32_u32_e32 v1, v22
	v_min_u32_e32 v1, 32, v1
	s_delay_alu instid0(VALU_DEP_1) | instskip(NEXT) | instid1(VALU_DEP_1)
	v_subrev_nc_u32_e32 v84, 28, v1
	v_lshlrev_b64_e32 v[84:85], v84, v[22:23]
	s_delay_alu instid0(VALU_DEP_1)
	v_dual_sub_nc_u32 v1, 29, v1 :: v_dual_bitop2_b32 v22, 7, v84 bitop3:0x40
; %bb.1000:                             ;   in Loop: Header=BB179_553 Depth=1
	s_or_b32 exec_lo, exec_lo, s15
	s_delay_alu instid0(VALU_DEP_1) | instskip(NEXT) | instid1(VALU_DEP_2)
	v_dual_lshlrev_b32 v84, 24, v0 :: v_dual_lshlrev_b32 v22, 20, v22
	v_lshl_add_u32 v1, v1, 23, 0x3c000000
	s_delay_alu instid0(VALU_DEP_2) | instskip(NEXT) | instid1(VALU_DEP_1)
	v_and_b32_e32 v84, 0x80000000, v84
	v_or3_b32 v22, v22, v84, v1
	s_delay_alu instid0(VALU_DEP_1)
	v_mov_b64_e32 v[84:85], v[22:23]
.LBB179_1001:                           ;   in Loop: Header=BB179_553 Depth=1
	s_or_b32 exec_lo, exec_lo, s14
.LBB179_1002:                           ;   in Loop: Header=BB179_553 Depth=1
	s_delay_alu instid0(SALU_CYCLE_1)
	s_or_b32 exec_lo, exec_lo, s13
.LBB179_1003:                           ;   in Loop: Header=BB179_553 Depth=1
	s_delay_alu instid0(SALU_CYCLE_1) | instskip(SKIP_2) | instid1(VALU_DEP_1)
	s_or_b32 exec_lo, exec_lo, s11
	v_lshrrev_b16 v1, 8, v0
	s_mov_b32 s11, exec_lo
	v_cmpx_ne_u16_e32 0, v1
	s_cbranch_execz .LBB179_1011
; %bb.1004:                             ;   in Loop: Header=BB179_553 Depth=1
	v_mov_b64_e32 v[82:83], 0x8000000000000000
	s_mov_b32 s13, exec_lo
	v_cmpx_ne_u16_e32 0x80, v1
	s_cbranch_execz .LBB179_1010
; %bb.1005:                             ;   in Loop: Header=BB179_553 Depth=1
	v_and_b32_e32 v1, 0xffff, v1
	v_mov_b64_e32 v[82:83], 0x7f80000100000000
	s_mov_b32 s14, exec_lo
	s_delay_alu instid0(VALU_DEP_2) | instskip(NEXT) | instid1(VALU_DEP_1)
	v_and_b32_e32 v86, 0x7f, v1
	v_cmpx_ne_u32_e32 0x7f, v86
	s_cbranch_execz .LBB179_1009
; %bb.1006:                             ;   in Loop: Header=BB179_553 Depth=1
	v_dual_lshrrev_b32 v1, 3, v86 :: v_dual_bitop2_b32 v22, 7, v1 bitop3:0x40
	s_mov_b32 s15, exec_lo
	v_cmpx_gt_u32_e32 8, v86
; %bb.1007:                             ;   in Loop: Header=BB179_553 Depth=1
	s_delay_alu instid0(VALU_DEP_2) | instskip(NEXT) | instid1(VALU_DEP_1)
	v_clz_i32_u32_e32 v1, v22
	v_min_u32_e32 v1, 32, v1
	s_delay_alu instid0(VALU_DEP_1) | instskip(NEXT) | instid1(VALU_DEP_1)
	v_subrev_nc_u32_e32 v82, 28, v1
	v_lshlrev_b64_e32 v[82:83], v82, v[22:23]
	s_delay_alu instid0(VALU_DEP_1)
	v_dual_sub_nc_u32 v1, 29, v1 :: v_dual_bitop2_b32 v22, 7, v82 bitop3:0x40
; %bb.1008:                             ;   in Loop: Header=BB179_553 Depth=1
	s_or_b32 exec_lo, exec_lo, s15
	s_delay_alu instid0(VALU_DEP_1) | instskip(NEXT) | instid1(VALU_DEP_2)
	v_dual_lshlrev_b32 v82, 16, v0 :: v_dual_lshlrev_b32 v22, 20, v22
	v_lshl_add_u32 v1, v1, 23, 0x3c000000
	s_delay_alu instid0(VALU_DEP_2) | instskip(NEXT) | instid1(VALU_DEP_1)
	v_and_b32_e32 v82, 0x80000000, v82
	v_or3_b32 v83, v22, v82, v1
	v_mov_b32_e32 v82, v23
.LBB179_1009:                           ;   in Loop: Header=BB179_553 Depth=1
	s_or_b32 exec_lo, exec_lo, s14
.LBB179_1010:                           ;   in Loop: Header=BB179_553 Depth=1
	s_delay_alu instid0(SALU_CYCLE_1)
	s_or_b32 exec_lo, exec_lo, s13
.LBB179_1011:                           ;   in Loop: Header=BB179_553 Depth=1
	s_delay_alu instid0(SALU_CYCLE_1) | instskip(SKIP_4) | instid1(VALU_DEP_3)
	s_or_b32 exec_lo, exec_lo, s11
	v_lshrrev_b32_e32 v1, 16, v0
	v_mov_b64_e32 v[86:87], 0
	v_mov_b64_e32 v[88:89], 0
	s_mov_b32 s11, exec_lo
	v_and_b32_e32 v22, 0xff, v1
	s_delay_alu instid0(VALU_DEP_1)
	v_cmpx_ne_u16_e32 0, v22
	s_cbranch_execz .LBB179_1019
; %bb.1012:                             ;   in Loop: Header=BB179_553 Depth=1
	v_mov_b64_e32 v[88:89], 0x80000000
	s_mov_b32 s13, exec_lo
	v_cmpx_ne_u16_e32 0x80, v22
	s_cbranch_execz .LBB179_1018
; %bb.1013:                             ;   in Loop: Header=BB179_553 Depth=1
	v_mov_b64_e32 v[88:89], 0x7f800001
	v_bfe_u32 v90, v0, 16, 7
	s_mov_b32 s14, exec_lo
	s_delay_alu instid0(VALU_DEP_1)
	v_cmpx_ne_u32_e32 0x7f, v90
	s_cbranch_execz .LBB179_1017
; %bb.1014:                             ;   in Loop: Header=BB179_553 Depth=1
	v_dual_lshrrev_b32 v88, 3, v90 :: v_dual_bitop2_b32 v22, 7, v1 bitop3:0x40
	s_mov_b32 s15, exec_lo
	v_cmpx_gt_u32_e32 8, v90
; %bb.1015:                             ;   in Loop: Header=BB179_553 Depth=1
	s_delay_alu instid0(VALU_DEP_2) | instskip(NEXT) | instid1(VALU_DEP_1)
	v_clz_i32_u32_e32 v88, v22
	v_min_u32_e32 v88, 32, v88
	s_delay_alu instid0(VALU_DEP_1) | instskip(NEXT) | instid1(VALU_DEP_1)
	v_subrev_nc_u32_e32 v89, 28, v88
	v_lshlrev_b64_e32 v[90:91], v89, v[22:23]
	s_delay_alu instid0(VALU_DEP_1)
	v_dual_sub_nc_u32 v88, 29, v88 :: v_dual_bitop2_b32 v22, 7, v90 bitop3:0x40
; %bb.1016:                             ;   in Loop: Header=BB179_553 Depth=1
	s_or_b32 exec_lo, exec_lo, s15
	s_delay_alu instid0(VALU_DEP_1) | instskip(NEXT) | instid1(VALU_DEP_2)
	v_dual_lshlrev_b32 v1, 24, v1 :: v_dual_lshlrev_b32 v22, 20, v22
	v_lshl_add_u32 v88, v88, 23, 0x3c000000
	s_delay_alu instid0(VALU_DEP_2) | instskip(NEXT) | instid1(VALU_DEP_1)
	v_and_b32_e32 v1, 0x80000000, v1
	v_or3_b32 v22, v22, v1, v88
	s_delay_alu instid0(VALU_DEP_1)
	v_mov_b64_e32 v[88:89], v[22:23]
.LBB179_1017:                           ;   in Loop: Header=BB179_553 Depth=1
	s_or_b32 exec_lo, exec_lo, s14
.LBB179_1018:                           ;   in Loop: Header=BB179_553 Depth=1
	s_delay_alu instid0(SALU_CYCLE_1)
	s_or_b32 exec_lo, exec_lo, s13
.LBB179_1019:                           ;   in Loop: Header=BB179_553 Depth=1
	s_delay_alu instid0(SALU_CYCLE_1) | instskip(NEXT) | instid1(SALU_CYCLE_1)
	s_or_b32 exec_lo, exec_lo, s11
	s_mov_b32 s11, exec_lo
	v_cmpx_lt_u32_e32 0xffffff, v0
	s_cbranch_execz .LBB179_1027
; %bb.1020:                             ;   in Loop: Header=BB179_553 Depth=1
	v_mov_b64_e32 v[86:87], 0x8000000000000000
	v_lshrrev_b32_e32 v1, 24, v0
	s_mov_b32 s13, exec_lo
	s_delay_alu instid0(VALU_DEP_1)
	v_cmpx_ne_u32_e32 0x80, v1
	s_cbranch_execz .LBB179_1026
; %bb.1021:                             ;   in Loop: Header=BB179_553 Depth=1
	v_mov_b64_e32 v[86:87], 0x7f80000100000000
	v_bfe_u32 v90, v0, 24, 7
	s_mov_b32 s14, exec_lo
	s_delay_alu instid0(VALU_DEP_1)
	v_cmpx_ne_u32_e32 0x7f, v90
	s_cbranch_execz .LBB179_1025
; %bb.1022:                             ;   in Loop: Header=BB179_553 Depth=1
	v_dual_lshrrev_b32 v0, 3, v90 :: v_dual_bitop2_b32 v22, 7, v1 bitop3:0x40
	s_mov_b32 s15, exec_lo
	v_cmpx_gt_u32_e32 8, v90
; %bb.1023:                             ;   in Loop: Header=BB179_553 Depth=1
	s_delay_alu instid0(VALU_DEP_2) | instskip(NEXT) | instid1(VALU_DEP_1)
	v_clz_i32_u32_e32 v0, v22
	v_min_u32_e32 v0, 32, v0
	s_delay_alu instid0(VALU_DEP_1) | instskip(NEXT) | instid1(VALU_DEP_1)
	v_subrev_nc_u32_e32 v86, 28, v0
	v_lshlrev_b64_e32 v[86:87], v86, v[22:23]
	s_delay_alu instid0(VALU_DEP_1)
	v_dual_sub_nc_u32 v0, 29, v0 :: v_dual_bitop2_b32 v22, 7, v86 bitop3:0x40
; %bb.1024:                             ;   in Loop: Header=BB179_553 Depth=1
	s_or_b32 exec_lo, exec_lo, s15
	s_delay_alu instid0(VALU_DEP_1) | instskip(NEXT) | instid1(VALU_DEP_2)
	v_dual_lshlrev_b32 v1, 24, v1 :: v_dual_lshlrev_b32 v22, 20, v22
	v_lshl_add_u32 v0, v0, 23, 0x3c000000
	v_mov_b32_e32 v86, v23
	s_delay_alu instid0(VALU_DEP_3) | instskip(NEXT) | instid1(VALU_DEP_1)
	v_and_b32_e32 v1, 0x80000000, v1
	v_or3_b32 v87, v22, v1, v0
.LBB179_1025:                           ;   in Loop: Header=BB179_553 Depth=1
	s_or_b32 exec_lo, exec_lo, s14
.LBB179_1026:                           ;   in Loop: Header=BB179_553 Depth=1
	s_delay_alu instid0(SALU_CYCLE_1)
	s_or_b32 exec_lo, exec_lo, s13
.LBB179_1027:                           ;   in Loop: Header=BB179_553 Depth=1
	s_delay_alu instid0(SALU_CYCLE_1)
	s_or_b32 exec_lo, exec_lo, s11
	v_or_b32_e32 v1, v83, v85
	v_or_b32_e32 v0, v82, v84
	v_mov_b64_e32 v[82:83], s[2:3]
	v_or_b32_e32 v87, v87, v89
	v_or_b32_e32 v86, v86, v88
	s_delay_alu instid0(VALU_DEP_3) | instskip(NEXT) | instid1(VALU_DEP_2)
	v_pk_mul_f32 v[84:85], v[82:83], v[0:1]
	v_pk_mul_f32 v[82:83], v[82:83], v[86:87]
	s_and_saveexec_b32 s11, vcc_lo
	s_cbranch_execz .LBB179_1029
; %bb.1028:                             ;   in Loop: Header=BB179_553 Depth=1
	v_cmp_gt_i32_e64 s0, s24, v99
	s_delay_alu instid0(VALU_DEP_1) | instskip(SKIP_1) | instid1(VALU_DEP_1)
	v_cndmask_b32_e64 v84, 0, v84, s0
	v_cmp_gt_i32_e64 s0, s24, v102
	v_cndmask_b32_e64 v85, 0, v85, s0
	v_cmp_gt_i32_e64 s0, s24, v95
	s_delay_alu instid0(VALU_DEP_1) | instskip(SKIP_1) | instid1(VALU_DEP_1)
	v_cndmask_b32_e64 v82, 0, v82, s0
	v_cmp_gt_i32_e64 s0, s24, v94
	v_cndmask_b32_e64 v83, 0, v83, s0
.LBB179_1029:                           ;   in Loop: Header=BB179_553 Depth=1
	s_or_b32 exec_lo, exec_lo, s11
	global_load_b32 v0, v[32:33], off offset:1792
	v_mov_b64_e32 v[86:87], 0
	v_mov_b64_e32 v[88:89], 0
	s_mov_b32 s11, exec_lo
	s_wait_loadcnt 0x0
	v_and_b32_e32 v1, 0xff, v0
	s_delay_alu instid0(VALU_DEP_1)
	v_cmpx_ne_u16_e32 0, v1
	s_cbranch_execz .LBB179_1037
; %bb.1030:                             ;   in Loop: Header=BB179_553 Depth=1
	v_mov_b64_e32 v[88:89], 0x80000000
	s_mov_b32 s13, exec_lo
	v_cmpx_ne_u16_e32 0x80, v1
	s_cbranch_execz .LBB179_1036
; %bb.1031:                             ;   in Loop: Header=BB179_553 Depth=1
	v_mov_b64_e32 v[88:89], 0x7f800001
	v_and_b32_e32 v90, 0x7f, v0
	s_mov_b32 s14, exec_lo
	s_delay_alu instid0(VALU_DEP_1)
	v_cmpx_ne_u32_e32 0x7f, v90
	s_cbranch_execz .LBB179_1035
; %bb.1032:                             ;   in Loop: Header=BB179_553 Depth=1
	v_dual_lshrrev_b32 v1, 3, v90 :: v_dual_bitop2_b32 v22, 7, v0 bitop3:0x40
	s_mov_b32 s15, exec_lo
	v_cmpx_gt_u32_e32 8, v90
; %bb.1033:                             ;   in Loop: Header=BB179_553 Depth=1
	s_delay_alu instid0(VALU_DEP_2) | instskip(NEXT) | instid1(VALU_DEP_1)
	v_clz_i32_u32_e32 v1, v22
	v_min_u32_e32 v1, 32, v1
	s_delay_alu instid0(VALU_DEP_1) | instskip(NEXT) | instid1(VALU_DEP_1)
	v_subrev_nc_u32_e32 v88, 28, v1
	v_lshlrev_b64_e32 v[88:89], v88, v[22:23]
	s_delay_alu instid0(VALU_DEP_1)
	v_dual_sub_nc_u32 v1, 29, v1 :: v_dual_bitop2_b32 v22, 7, v88 bitop3:0x40
; %bb.1034:                             ;   in Loop: Header=BB179_553 Depth=1
	s_or_b32 exec_lo, exec_lo, s15
	s_delay_alu instid0(VALU_DEP_1) | instskip(NEXT) | instid1(VALU_DEP_2)
	v_dual_lshlrev_b32 v88, 24, v0 :: v_dual_lshlrev_b32 v22, 20, v22
	v_lshl_add_u32 v1, v1, 23, 0x3c000000
	s_delay_alu instid0(VALU_DEP_2) | instskip(NEXT) | instid1(VALU_DEP_1)
	v_and_b32_e32 v88, 0x80000000, v88
	v_or3_b32 v22, v22, v88, v1
	s_delay_alu instid0(VALU_DEP_1)
	v_mov_b64_e32 v[88:89], v[22:23]
.LBB179_1035:                           ;   in Loop: Header=BB179_553 Depth=1
	s_or_b32 exec_lo, exec_lo, s14
.LBB179_1036:                           ;   in Loop: Header=BB179_553 Depth=1
	s_delay_alu instid0(SALU_CYCLE_1)
	s_or_b32 exec_lo, exec_lo, s13
.LBB179_1037:                           ;   in Loop: Header=BB179_553 Depth=1
	s_delay_alu instid0(SALU_CYCLE_1) | instskip(SKIP_2) | instid1(VALU_DEP_1)
	s_or_b32 exec_lo, exec_lo, s11
	v_lshrrev_b16 v1, 8, v0
	s_mov_b32 s11, exec_lo
	v_cmpx_ne_u16_e32 0, v1
	s_cbranch_execz .LBB179_1045
; %bb.1038:                             ;   in Loop: Header=BB179_553 Depth=1
	v_mov_b64_e32 v[86:87], 0x8000000000000000
	s_mov_b32 s13, exec_lo
	v_cmpx_ne_u16_e32 0x80, v1
	s_cbranch_execz .LBB179_1044
; %bb.1039:                             ;   in Loop: Header=BB179_553 Depth=1
	v_and_b32_e32 v1, 0xffff, v1
	v_mov_b64_e32 v[86:87], 0x7f80000100000000
	s_mov_b32 s14, exec_lo
	s_delay_alu instid0(VALU_DEP_2) | instskip(NEXT) | instid1(VALU_DEP_1)
	v_and_b32_e32 v90, 0x7f, v1
	v_cmpx_ne_u32_e32 0x7f, v90
	s_cbranch_execz .LBB179_1043
; %bb.1040:                             ;   in Loop: Header=BB179_553 Depth=1
	v_dual_lshrrev_b32 v1, 3, v90 :: v_dual_bitop2_b32 v22, 7, v1 bitop3:0x40
	s_mov_b32 s15, exec_lo
	v_cmpx_gt_u32_e32 8, v90
; %bb.1041:                             ;   in Loop: Header=BB179_553 Depth=1
	s_delay_alu instid0(VALU_DEP_2) | instskip(NEXT) | instid1(VALU_DEP_1)
	v_clz_i32_u32_e32 v1, v22
	v_min_u32_e32 v1, 32, v1
	s_delay_alu instid0(VALU_DEP_1) | instskip(NEXT) | instid1(VALU_DEP_1)
	v_subrev_nc_u32_e32 v86, 28, v1
	v_lshlrev_b64_e32 v[86:87], v86, v[22:23]
	s_delay_alu instid0(VALU_DEP_1)
	v_dual_sub_nc_u32 v1, 29, v1 :: v_dual_bitop2_b32 v22, 7, v86 bitop3:0x40
; %bb.1042:                             ;   in Loop: Header=BB179_553 Depth=1
	s_or_b32 exec_lo, exec_lo, s15
	s_delay_alu instid0(VALU_DEP_1) | instskip(NEXT) | instid1(VALU_DEP_2)
	v_dual_lshlrev_b32 v86, 16, v0 :: v_dual_lshlrev_b32 v22, 20, v22
	v_lshl_add_u32 v1, v1, 23, 0x3c000000
	s_delay_alu instid0(VALU_DEP_2) | instskip(NEXT) | instid1(VALU_DEP_1)
	v_and_b32_e32 v86, 0x80000000, v86
	v_or3_b32 v87, v22, v86, v1
	v_mov_b32_e32 v86, v23
.LBB179_1043:                           ;   in Loop: Header=BB179_553 Depth=1
	s_or_b32 exec_lo, exec_lo, s14
.LBB179_1044:                           ;   in Loop: Header=BB179_553 Depth=1
	s_delay_alu instid0(SALU_CYCLE_1)
	s_or_b32 exec_lo, exec_lo, s13
.LBB179_1045:                           ;   in Loop: Header=BB179_553 Depth=1
	s_delay_alu instid0(SALU_CYCLE_1) | instskip(SKIP_4) | instid1(VALU_DEP_3)
	s_or_b32 exec_lo, exec_lo, s11
	v_lshrrev_b32_e32 v1, 16, v0
	v_mov_b64_e32 v[90:91], 0
	v_mov_b64_e32 v[92:93], 0
	s_mov_b32 s11, exec_lo
	v_and_b32_e32 v22, 0xff, v1
	s_delay_alu instid0(VALU_DEP_1)
	v_cmpx_ne_u16_e32 0, v22
	s_cbranch_execz .LBB179_1053
; %bb.1046:                             ;   in Loop: Header=BB179_553 Depth=1
	v_mov_b64_e32 v[92:93], 0x80000000
	s_mov_b32 s13, exec_lo
	v_cmpx_ne_u16_e32 0x80, v22
	s_cbranch_execz .LBB179_1052
; %bb.1047:                             ;   in Loop: Header=BB179_553 Depth=1
	v_mov_b64_e32 v[92:93], 0x7f800001
	v_bfe_u32 v103, v0, 16, 7
	s_mov_b32 s14, exec_lo
	s_delay_alu instid0(VALU_DEP_1)
	v_cmpx_ne_u32_e32 0x7f, v103
	s_cbranch_execz .LBB179_1051
; %bb.1048:                             ;   in Loop: Header=BB179_553 Depth=1
	v_dual_lshrrev_b32 v92, 3, v103 :: v_dual_bitop2_b32 v22, 7, v1 bitop3:0x40
	s_mov_b32 s15, exec_lo
	v_cmpx_gt_u32_e32 8, v103
; %bb.1049:                             ;   in Loop: Header=BB179_553 Depth=1
	s_delay_alu instid0(VALU_DEP_2) | instskip(NEXT) | instid1(VALU_DEP_1)
	v_clz_i32_u32_e32 v92, v22
	v_min_u32_e32 v92, 32, v92
	s_delay_alu instid0(VALU_DEP_1) | instskip(SKIP_1) | instid1(VALU_DEP_2)
	v_subrev_nc_u32_e32 v93, 28, v92
	v_sub_nc_u32_e32 v92, 29, v92
	v_lshlrev_b64_e32 v[104:105], v93, v[22:23]
	s_delay_alu instid0(VALU_DEP_1)
	v_and_b32_e32 v22, 7, v104
; %bb.1050:                             ;   in Loop: Header=BB179_553 Depth=1
	s_or_b32 exec_lo, exec_lo, s15
	s_delay_alu instid0(VALU_DEP_1) | instskip(SKIP_1) | instid1(VALU_DEP_2)
	v_dual_lshlrev_b32 v1, 24, v1 :: v_dual_lshlrev_b32 v22, 20, v22
	v_lshl_add_u32 v92, v92, 23, 0x3c000000
	v_and_b32_e32 v1, 0x80000000, v1
	s_delay_alu instid0(VALU_DEP_1) | instskip(NEXT) | instid1(VALU_DEP_1)
	v_or3_b32 v22, v22, v1, v92
	v_mov_b64_e32 v[92:93], v[22:23]
.LBB179_1051:                           ;   in Loop: Header=BB179_553 Depth=1
	s_or_b32 exec_lo, exec_lo, s14
.LBB179_1052:                           ;   in Loop: Header=BB179_553 Depth=1
	s_delay_alu instid0(SALU_CYCLE_1)
	s_or_b32 exec_lo, exec_lo, s13
.LBB179_1053:                           ;   in Loop: Header=BB179_553 Depth=1
	s_delay_alu instid0(SALU_CYCLE_1) | instskip(NEXT) | instid1(SALU_CYCLE_1)
	s_or_b32 exec_lo, exec_lo, s11
	s_mov_b32 s11, exec_lo
	v_cmpx_lt_u32_e32 0xffffff, v0
	s_cbranch_execz .LBB179_1061
; %bb.1054:                             ;   in Loop: Header=BB179_553 Depth=1
	v_mov_b64_e32 v[90:91], 0x8000000000000000
	v_lshrrev_b32_e32 v1, 24, v0
	s_mov_b32 s13, exec_lo
	s_delay_alu instid0(VALU_DEP_1)
	v_cmpx_ne_u32_e32 0x80, v1
	s_cbranch_execz .LBB179_1060
; %bb.1055:                             ;   in Loop: Header=BB179_553 Depth=1
	v_mov_b64_e32 v[90:91], 0x7f80000100000000
	v_bfe_u32 v103, v0, 24, 7
	s_mov_b32 s14, exec_lo
	s_delay_alu instid0(VALU_DEP_1)
	v_cmpx_ne_u32_e32 0x7f, v103
	s_cbranch_execz .LBB179_1059
; %bb.1056:                             ;   in Loop: Header=BB179_553 Depth=1
	v_dual_lshrrev_b32 v0, 3, v103 :: v_dual_bitop2_b32 v22, 7, v1 bitop3:0x40
	s_mov_b32 s15, exec_lo
	v_cmpx_gt_u32_e32 8, v103
; %bb.1057:                             ;   in Loop: Header=BB179_553 Depth=1
	s_delay_alu instid0(VALU_DEP_2) | instskip(NEXT) | instid1(VALU_DEP_1)
	v_clz_i32_u32_e32 v0, v22
	v_min_u32_e32 v0, 32, v0
	s_delay_alu instid0(VALU_DEP_1) | instskip(NEXT) | instid1(VALU_DEP_1)
	v_subrev_nc_u32_e32 v90, 28, v0
	v_lshlrev_b64_e32 v[90:91], v90, v[22:23]
	s_delay_alu instid0(VALU_DEP_1)
	v_dual_sub_nc_u32 v0, 29, v0 :: v_dual_bitop2_b32 v22, 7, v90 bitop3:0x40
; %bb.1058:                             ;   in Loop: Header=BB179_553 Depth=1
	s_or_b32 exec_lo, exec_lo, s15
	s_delay_alu instid0(VALU_DEP_1) | instskip(NEXT) | instid1(VALU_DEP_2)
	v_dual_lshlrev_b32 v1, 24, v1 :: v_dual_lshlrev_b32 v22, 20, v22
	v_lshl_add_u32 v0, v0, 23, 0x3c000000
	v_mov_b32_e32 v90, v23
	s_delay_alu instid0(VALU_DEP_3) | instskip(NEXT) | instid1(VALU_DEP_1)
	v_and_b32_e32 v1, 0x80000000, v1
	v_or3_b32 v91, v22, v1, v0
.LBB179_1059:                           ;   in Loop: Header=BB179_553 Depth=1
	s_or_b32 exec_lo, exec_lo, s14
.LBB179_1060:                           ;   in Loop: Header=BB179_553 Depth=1
	s_delay_alu instid0(SALU_CYCLE_1)
	s_or_b32 exec_lo, exec_lo, s13
.LBB179_1061:                           ;   in Loop: Header=BB179_553 Depth=1
	s_delay_alu instid0(SALU_CYCLE_1)
	s_or_b32 exec_lo, exec_lo, s11
	v_or_b32_e32 v1, v87, v89
	v_or_b32_e32 v0, v86, v88
	v_mov_b64_e32 v[86:87], s[2:3]
	v_or_b32_e32 v91, v91, v93
	v_or_b32_e32 v90, v90, v92
	s_delay_alu instid0(VALU_DEP_3) | instskip(NEXT) | instid1(VALU_DEP_2)
	v_pk_mul_f32 v[88:89], v[86:87], v[0:1]
	v_pk_mul_f32 v[86:87], v[86:87], v[90:91]
	s_and_saveexec_b32 s11, vcc_lo
	s_cbranch_execz .LBB179_1063
; %bb.1062:                             ;   in Loop: Header=BB179_553 Depth=1
	v_cmp_gt_i32_e64 s0, s24, v99
	s_delay_alu instid0(VALU_DEP_1) | instskip(SKIP_1) | instid1(VALU_DEP_1)
	v_cndmask_b32_e64 v88, 0, v88, s0
	v_cmp_gt_i32_e64 s0, s24, v102
	v_cndmask_b32_e64 v89, 0, v89, s0
	v_cmp_gt_i32_e64 s0, s24, v95
	s_delay_alu instid0(VALU_DEP_1) | instskip(SKIP_1) | instid1(VALU_DEP_1)
	v_cndmask_b32_e64 v86, 0, v86, s0
	v_cmp_gt_i32_e64 s0, s24, v94
	v_cndmask_b32_e64 v87, 0, v87, s0
.LBB179_1063:                           ;   in Loop: Header=BB179_553 Depth=1
	s_or_b32 exec_lo, exec_lo, s11
	global_load_b32 v0, v[32:33], off offset:1920
	s_wait_xcnt 0x0
	v_mov_b64_e32 v[32:33], 0
	v_mov_b64_e32 v[90:91], 0
	s_mov_b32 s11, exec_lo
	s_wait_loadcnt 0x0
	v_and_b32_e32 v1, 0xff, v0
	s_delay_alu instid0(VALU_DEP_1)
	v_cmpx_ne_u16_e32 0, v1
	s_cbranch_execz .LBB179_1071
; %bb.1064:                             ;   in Loop: Header=BB179_553 Depth=1
	v_mov_b64_e32 v[90:91], 0x80000000
	s_mov_b32 s13, exec_lo
	v_cmpx_ne_u16_e32 0x80, v1
	s_cbranch_execz .LBB179_1070
; %bb.1065:                             ;   in Loop: Header=BB179_553 Depth=1
	v_mov_b64_e32 v[90:91], 0x7f800001
	v_and_b32_e32 v92, 0x7f, v0
	s_mov_b32 s14, exec_lo
	s_delay_alu instid0(VALU_DEP_1)
	v_cmpx_ne_u32_e32 0x7f, v92
	s_cbranch_execz .LBB179_1069
; %bb.1066:                             ;   in Loop: Header=BB179_553 Depth=1
	v_and_b32_e32 v22, 7, v0
	v_lshrrev_b32_e32 v1, 3, v92
	s_mov_b32 s15, exec_lo
	v_cmpx_gt_u32_e32 8, v92
; %bb.1067:                             ;   in Loop: Header=BB179_553 Depth=1
	s_delay_alu instid0(VALU_DEP_3) | instskip(NEXT) | instid1(VALU_DEP_1)
	v_clz_i32_u32_e32 v1, v22
	v_min_u32_e32 v1, 32, v1
	s_delay_alu instid0(VALU_DEP_1) | instskip(NEXT) | instid1(VALU_DEP_1)
	v_subrev_nc_u32_e32 v90, 28, v1
	v_lshlrev_b64_e32 v[90:91], v90, v[22:23]
	s_delay_alu instid0(VALU_DEP_1)
	v_dual_sub_nc_u32 v1, 29, v1 :: v_dual_bitop2_b32 v22, 7, v90 bitop3:0x40
; %bb.1068:                             ;   in Loop: Header=BB179_553 Depth=1
	s_or_b32 exec_lo, exec_lo, s15
	s_delay_alu instid0(VALU_DEP_1) | instskip(NEXT) | instid1(VALU_DEP_2)
	v_dual_lshlrev_b32 v90, 24, v0 :: v_dual_lshlrev_b32 v22, 20, v22
	v_lshl_add_u32 v1, v1, 23, 0x3c000000
	s_delay_alu instid0(VALU_DEP_2) | instskip(NEXT) | instid1(VALU_DEP_1)
	v_and_b32_e32 v90, 0x80000000, v90
	v_or3_b32 v22, v22, v90, v1
	s_delay_alu instid0(VALU_DEP_1)
	v_mov_b64_e32 v[90:91], v[22:23]
.LBB179_1069:                           ;   in Loop: Header=BB179_553 Depth=1
	s_or_b32 exec_lo, exec_lo, s14
.LBB179_1070:                           ;   in Loop: Header=BB179_553 Depth=1
	s_delay_alu instid0(SALU_CYCLE_1)
	s_or_b32 exec_lo, exec_lo, s13
.LBB179_1071:                           ;   in Loop: Header=BB179_553 Depth=1
	s_delay_alu instid0(SALU_CYCLE_1) | instskip(SKIP_2) | instid1(VALU_DEP_1)
	s_or_b32 exec_lo, exec_lo, s11
	v_lshrrev_b16 v1, 8, v0
	s_mov_b32 s11, exec_lo
	v_cmpx_ne_u16_e32 0, v1
	s_cbranch_execz .LBB179_1079
; %bb.1072:                             ;   in Loop: Header=BB179_553 Depth=1
	v_mov_b64_e32 v[32:33], 0x8000000000000000
	s_mov_b32 s13, exec_lo
	v_cmpx_ne_u16_e32 0x80, v1
	s_cbranch_execz .LBB179_1078
; %bb.1073:                             ;   in Loop: Header=BB179_553 Depth=1
	v_and_b32_e32 v1, 0xffff, v1
	v_mov_b64_e32 v[32:33], 0x7f80000100000000
	s_mov_b32 s14, exec_lo
	s_delay_alu instid0(VALU_DEP_2) | instskip(NEXT) | instid1(VALU_DEP_1)
	v_and_b32_e32 v92, 0x7f, v1
	v_cmpx_ne_u32_e32 0x7f, v92
	s_cbranch_execz .LBB179_1077
; %bb.1074:                             ;   in Loop: Header=BB179_553 Depth=1
	v_dual_lshrrev_b32 v1, 3, v92 :: v_dual_bitop2_b32 v22, 7, v1 bitop3:0x40
	s_mov_b32 s15, exec_lo
	v_cmpx_gt_u32_e32 8, v92
; %bb.1075:                             ;   in Loop: Header=BB179_553 Depth=1
	s_delay_alu instid0(VALU_DEP_2) | instskip(NEXT) | instid1(VALU_DEP_1)
	v_clz_i32_u32_e32 v1, v22
	v_min_u32_e32 v1, 32, v1
	s_delay_alu instid0(VALU_DEP_1) | instskip(NEXT) | instid1(VALU_DEP_1)
	v_subrev_nc_u32_e32 v32, 28, v1
	v_lshlrev_b64_e32 v[32:33], v32, v[22:23]
	s_delay_alu instid0(VALU_DEP_1)
	v_dual_sub_nc_u32 v1, 29, v1 :: v_dual_bitop2_b32 v22, 7, v32 bitop3:0x40
; %bb.1076:                             ;   in Loop: Header=BB179_553 Depth=1
	s_or_b32 exec_lo, exec_lo, s15
	s_delay_alu instid0(VALU_DEP_1) | instskip(NEXT) | instid1(VALU_DEP_2)
	v_dual_lshlrev_b32 v32, 16, v0 :: v_dual_lshlrev_b32 v22, 20, v22
	v_lshl_add_u32 v1, v1, 23, 0x3c000000
	s_delay_alu instid0(VALU_DEP_2) | instskip(NEXT) | instid1(VALU_DEP_1)
	v_and_b32_e32 v32, 0x80000000, v32
	v_or3_b32 v33, v22, v32, v1
	v_mov_b32_e32 v32, v23
.LBB179_1077:                           ;   in Loop: Header=BB179_553 Depth=1
	s_or_b32 exec_lo, exec_lo, s14
.LBB179_1078:                           ;   in Loop: Header=BB179_553 Depth=1
	s_delay_alu instid0(SALU_CYCLE_1)
	s_or_b32 exec_lo, exec_lo, s13
.LBB179_1079:                           ;   in Loop: Header=BB179_553 Depth=1
	s_delay_alu instid0(SALU_CYCLE_1) | instskip(SKIP_4) | instid1(VALU_DEP_3)
	s_or_b32 exec_lo, exec_lo, s11
	v_lshrrev_b32_e32 v1, 16, v0
	v_mov_b64_e32 v[92:93], 0
	v_mov_b64_e32 v[94:95], 0
	s_mov_b32 s11, exec_lo
	v_and_b32_e32 v22, 0xff, v1
	s_delay_alu instid0(VALU_DEP_1)
	v_cmpx_ne_u16_e32 0, v22
	s_cbranch_execz .LBB179_1087
; %bb.1080:                             ;   in Loop: Header=BB179_553 Depth=1
	v_mov_b64_e32 v[94:95], 0x80000000
	s_mov_b32 s13, exec_lo
	v_cmpx_ne_u16_e32 0x80, v22
	s_cbranch_execz .LBB179_1086
; %bb.1081:                             ;   in Loop: Header=BB179_553 Depth=1
	v_mov_b64_e32 v[94:95], 0x7f800001
	v_bfe_u32 v103, v0, 16, 7
	s_mov_b32 s14, exec_lo
	s_delay_alu instid0(VALU_DEP_1)
	v_cmpx_ne_u32_e32 0x7f, v103
	s_cbranch_execz .LBB179_1085
; %bb.1082:                             ;   in Loop: Header=BB179_553 Depth=1
	v_dual_lshrrev_b32 v94, 3, v103 :: v_dual_bitop2_b32 v22, 7, v1 bitop3:0x40
	s_mov_b32 s15, exec_lo
	v_cmpx_gt_u32_e32 8, v103
; %bb.1083:                             ;   in Loop: Header=BB179_553 Depth=1
	s_delay_alu instid0(VALU_DEP_2) | instskip(NEXT) | instid1(VALU_DEP_1)
	v_clz_i32_u32_e32 v94, v22
	v_min_u32_e32 v94, 32, v94
	s_delay_alu instid0(VALU_DEP_1) | instskip(NEXT) | instid1(VALU_DEP_1)
	v_subrev_nc_u32_e32 v95, 28, v94
	v_lshlrev_b64_e32 v[104:105], v95, v[22:23]
	s_delay_alu instid0(VALU_DEP_1)
	v_dual_sub_nc_u32 v94, 29, v94 :: v_dual_bitop2_b32 v22, 7, v104 bitop3:0x40
; %bb.1084:                             ;   in Loop: Header=BB179_553 Depth=1
	s_or_b32 exec_lo, exec_lo, s15
	s_delay_alu instid0(VALU_DEP_1) | instskip(NEXT) | instid1(VALU_DEP_2)
	v_dual_lshlrev_b32 v1, 24, v1 :: v_dual_lshlrev_b32 v22, 20, v22
	v_lshl_add_u32 v94, v94, 23, 0x3c000000
	s_delay_alu instid0(VALU_DEP_2) | instskip(NEXT) | instid1(VALU_DEP_1)
	v_and_b32_e32 v1, 0x80000000, v1
	v_or3_b32 v22, v22, v1, v94
	s_delay_alu instid0(VALU_DEP_1)
	v_mov_b64_e32 v[94:95], v[22:23]
.LBB179_1085:                           ;   in Loop: Header=BB179_553 Depth=1
	s_or_b32 exec_lo, exec_lo, s14
.LBB179_1086:                           ;   in Loop: Header=BB179_553 Depth=1
	s_delay_alu instid0(SALU_CYCLE_1)
	s_or_b32 exec_lo, exec_lo, s13
.LBB179_1087:                           ;   in Loop: Header=BB179_553 Depth=1
	s_delay_alu instid0(SALU_CYCLE_1) | instskip(NEXT) | instid1(SALU_CYCLE_1)
	s_or_b32 exec_lo, exec_lo, s11
	s_mov_b32 s11, exec_lo
	v_cmpx_lt_u32_e32 0xffffff, v0
	s_cbranch_execz .LBB179_1095
; %bb.1088:                             ;   in Loop: Header=BB179_553 Depth=1
	v_mov_b64_e32 v[92:93], 0x8000000000000000
	v_lshrrev_b32_e32 v1, 24, v0
	s_mov_b32 s13, exec_lo
	s_delay_alu instid0(VALU_DEP_1)
	v_cmpx_ne_u32_e32 0x80, v1
	s_cbranch_execz .LBB179_1094
; %bb.1089:                             ;   in Loop: Header=BB179_553 Depth=1
	v_mov_b64_e32 v[92:93], 0x7f80000100000000
	v_bfe_u32 v103, v0, 24, 7
	s_mov_b32 s14, exec_lo
	s_delay_alu instid0(VALU_DEP_1)
	v_cmpx_ne_u32_e32 0x7f, v103
	s_cbranch_execz .LBB179_1093
; %bb.1090:                             ;   in Loop: Header=BB179_553 Depth=1
	v_dual_lshrrev_b32 v0, 3, v103 :: v_dual_bitop2_b32 v22, 7, v1 bitop3:0x40
	s_mov_b32 s15, exec_lo
	v_cmpx_gt_u32_e32 8, v103
; %bb.1091:                             ;   in Loop: Header=BB179_553 Depth=1
	s_delay_alu instid0(VALU_DEP_2) | instskip(NEXT) | instid1(VALU_DEP_1)
	v_clz_i32_u32_e32 v0, v22
	v_min_u32_e32 v0, 32, v0
	s_delay_alu instid0(VALU_DEP_1) | instskip(SKIP_1) | instid1(VALU_DEP_2)
	v_subrev_nc_u32_e32 v92, 28, v0
	v_sub_nc_u32_e32 v0, 29, v0
	v_lshlrev_b64_e32 v[92:93], v92, v[22:23]
	s_delay_alu instid0(VALU_DEP_1)
	v_and_b32_e32 v22, 7, v92
; %bb.1092:                             ;   in Loop: Header=BB179_553 Depth=1
	s_or_b32 exec_lo, exec_lo, s15
	s_delay_alu instid0(VALU_DEP_1) | instskip(SKIP_2) | instid1(VALU_DEP_3)
	v_dual_lshlrev_b32 v1, 24, v1 :: v_dual_lshlrev_b32 v22, 20, v22
	v_lshl_add_u32 v0, v0, 23, 0x3c000000
	v_mov_b32_e32 v92, v23
	v_and_b32_e32 v1, 0x80000000, v1
	s_delay_alu instid0(VALU_DEP_1)
	v_or3_b32 v93, v22, v1, v0
.LBB179_1093:                           ;   in Loop: Header=BB179_553 Depth=1
	s_or_b32 exec_lo, exec_lo, s14
.LBB179_1094:                           ;   in Loop: Header=BB179_553 Depth=1
	s_delay_alu instid0(SALU_CYCLE_1)
	s_or_b32 exec_lo, exec_lo, s13
.LBB179_1095:                           ;   in Loop: Header=BB179_553 Depth=1
	s_delay_alu instid0(SALU_CYCLE_1)
	s_or_b32 exec_lo, exec_lo, s11
	v_or_b32_e32 v1, v33, v91
	v_or_b32_e32 v0, v32, v90
	v_mov_b64_e32 v[32:33], s[2:3]
	v_or_b32_e32 v93, v93, v95
	v_or_b32_e32 v92, v92, v94
	s_delay_alu instid0(VALU_DEP_3) | instskip(NEXT) | instid1(VALU_DEP_2)
	v_pk_mul_f32 v[90:91], v[32:33], v[0:1]
	v_pk_mul_f32 v[32:33], v[32:33], v[92:93]
	s_and_saveexec_b32 s0, vcc_lo
	s_cbranch_execz .LBB179_552
; %bb.1096:                             ;   in Loop: Header=BB179_553 Depth=1
	v_cmp_gt_i32_e32 vcc_lo, s10, v102
	v_or_b32_e32 v1, 2, v99
	v_cndmask_b32_e32 v91, 0, v91, vcc_lo
	v_cmp_gt_i32_e32 vcc_lo, s24, v99
	v_dual_cndmask_b32 v90, 0, v90, vcc_lo :: v_dual_bitop2_b32 v0, 3, v99 bitop3:0x54
	s_delay_alu instid0(VALU_DEP_1)
	v_cmp_gt_i32_e32 vcc_lo, s10, v0
	v_cndmask_b32_e32 v33, 0, v33, vcc_lo
	v_cmp_gt_i32_e32 vcc_lo, s24, v1
	v_cndmask_b32_e32 v32, 0, v32, vcc_lo
	s_branch .LBB179_552
.LBB179_1097:
	s_or_b32 exec_lo, exec_lo, s9
.LBB179_1098:
	s_delay_alu instid0(SALU_CYCLE_1)
	s_or_b32 exec_lo, exec_lo, s1
	scratch_load_b32 v32, off, off offset:72 ; 4-byte Folded Reload
	ds_bpermute_b32 v0, v97, v20
	ds_bpermute_b32 v1, v97, v21
	;; [unrolled: 1-line block ×14, first 2 shown]
	s_mov_b32 s0, exec_lo
	ds_bpermute_b32 v22, v97, v6
	ds_bpermute_b32 v23, v97, v7
	s_wait_loadcnt_dscnt 0x0
	s_barrier_signal -1
	s_barrier_wait -1
	v_pk_add_f32 v[20:21], v[20:21], v[0:1]
	v_lshrrev_b32_e32 v0, 1, v96
	v_pk_add_f32 v[18:19], v[18:19], v[2:3]
	v_pk_add_f32 v[16:17], v[16:17], v[4:5]
	;; [unrolled: 1-line block ×6, first 2 shown]
	v_and_b32_e32 v32, 0x3c1, v32
	s_delay_alu instid0(VALU_DEP_1) | instskip(SKIP_1) | instid1(SALU_CYCLE_1)
	v_cmpx_ne_u32_e32 64, v32
	s_xor_b32 s0, exec_lo, s0
	s_or_saveexec_b32 s0, s0
	scratch_load_b32 v8, off, off offset:68 th:TH_LOAD_LU ; 4-byte Folded Reload
	v_pk_add_f32 v[6:7], v[6:7], v[22:23]
	v_lshl_add_u32 v1, v0, 2, 0x420
	s_wait_loadcnt 0x0
	v_lshlrev_b32_e32 v8, 10, v8
	s_xor_b32 exec_lo, exec_lo, s0
	s_cbranch_execz .LBB179_1100
; %bb.1099:
	s_delay_alu instid0(VALU_DEP_1) | instskip(NEXT) | instid1(VALU_DEP_1)
	v_add_nc_u32_e32 v9, v1, v8
	v_add_nc_u32_e32 v10, 0xfffff800, v9
	;; [unrolled: 1-line block ×9, first 2 shown]
	ds_store_b32 v10, v20
	ds_store_b32 v11, v21
	;; [unrolled: 1-line block ×8, first 2 shown]
	v_add_nc_u32_e32 v10, 0xfffffa00, v9
	v_add_nc_u32_e32 v11, 0xfffffa40, v9
	;; [unrolled: 1-line block ×8, first 2 shown]
	ds_store_b32 v10, v12
	ds_store_b32 v11, v13
	;; [unrolled: 1-line block ×8, first 2 shown]
.LBB179_1100:
	s_or_b32 exec_lo, exec_lo, s0
	scratch_load_b32 v9, off, off offset:72 ; 4-byte Folded Reload
	v_lshlrev_b32_e32 v0, 2, v0
	s_mov_b32 s1, exec_lo
	v_cmp_eq_u32_e32 vcc_lo, 0, v98
	s_wait_loadcnt_dscnt 0x0
	s_barrier_signal -1
	v_add3_u32 v0, 0x420, v8, v0
	s_barrier_wait -1
	v_cmpx_gt_u32_e32 64, v9
	s_cbranch_execz .LBB179_1119
; %bb.1101:
	s_and_saveexec_b32 s0, vcc_lo
	s_cbranch_execnz .LBB179_1143
; %bb.1102:
	s_or_b32 exec_lo, exec_lo, s0
	s_and_saveexec_b32 s0, vcc_lo
	s_cbranch_execnz .LBB179_1144
.LBB179_1103:
	s_or_b32 exec_lo, exec_lo, s0
	s_and_saveexec_b32 s0, vcc_lo
	s_cbranch_execnz .LBB179_1145
.LBB179_1104:
	s_or_b32 exec_lo, exec_lo, s0
	s_and_saveexec_b32 s0, vcc_lo
	s_cbranch_execnz .LBB179_1146
.LBB179_1105:
	s_or_b32 exec_lo, exec_lo, s0
	s_and_saveexec_b32 s0, vcc_lo
	s_cbranch_execnz .LBB179_1147
.LBB179_1106:
	s_or_b32 exec_lo, exec_lo, s0
	s_and_saveexec_b32 s0, vcc_lo
	s_cbranch_execnz .LBB179_1148
.LBB179_1107:
	s_or_b32 exec_lo, exec_lo, s0
	s_and_saveexec_b32 s0, vcc_lo
	s_cbranch_execnz .LBB179_1149
.LBB179_1108:
	s_or_b32 exec_lo, exec_lo, s0
	s_and_saveexec_b32 s0, vcc_lo
	s_cbranch_execnz .LBB179_1150
.LBB179_1109:
	s_or_b32 exec_lo, exec_lo, s0
	s_and_saveexec_b32 s0, vcc_lo
	s_cbranch_execnz .LBB179_1151
.LBB179_1110:
	s_or_b32 exec_lo, exec_lo, s0
	s_and_saveexec_b32 s0, vcc_lo
	s_cbranch_execnz .LBB179_1152
.LBB179_1111:
	s_or_b32 exec_lo, exec_lo, s0
	s_and_saveexec_b32 s0, vcc_lo
	s_cbranch_execnz .LBB179_1153
.LBB179_1112:
	s_or_b32 exec_lo, exec_lo, s0
	s_and_saveexec_b32 s0, vcc_lo
	s_cbranch_execnz .LBB179_1154
.LBB179_1113:
	s_or_b32 exec_lo, exec_lo, s0
	s_and_saveexec_b32 s0, vcc_lo
	s_cbranch_execnz .LBB179_1155
.LBB179_1114:
	s_or_b32 exec_lo, exec_lo, s0
	s_and_saveexec_b32 s0, vcc_lo
	s_cbranch_execnz .LBB179_1156
.LBB179_1115:
	s_or_b32 exec_lo, exec_lo, s0
	s_and_saveexec_b32 s0, vcc_lo
	s_cbranch_execnz .LBB179_1157
.LBB179_1116:
	s_or_b32 exec_lo, exec_lo, s0
	s_and_saveexec_b32 s0, vcc_lo
	s_cbranch_execz .LBB179_1118
.LBB179_1117:
	ds_load_b32 v8, v0 offset:960
	s_wait_dscnt 0x0
	v_add_f32_e32 v7, v7, v8
.LBB179_1118:
	s_or_b32 exec_lo, exec_lo, s0
.LBB179_1119:
	s_delay_alu instid0(SALU_CYCLE_1) | instskip(SKIP_4) | instid1(VALU_DEP_1)
	s_or_b32 exec_lo, exec_lo, s1
	v_and_b32_e32 v8, 0x3e1, v9
	s_mov_b32 s1, exec_lo
	s_barrier_signal -1
	s_barrier_wait -1
	v_cmpx_eq_u32_e32 32, v8
	s_cbranch_execz .LBB179_1121
; %bb.1120:
	ds_store_2addr_b32 v1, v20, v21 offset1:16
	ds_store_2addr_b32 v1, v18, v19 offset0:32 offset1:48
	ds_store_2addr_b32 v1, v16, v17 offset0:64 offset1:80
	;; [unrolled: 1-line block ×7, first 2 shown]
.LBB179_1121:
	s_or_b32 exec_lo, exec_lo, s1
	s_delay_alu instid0(SALU_CYCLE_1)
	s_mov_b32 s1, exec_lo
	s_wait_dscnt 0x0
	s_barrier_signal -1
	s_barrier_wait -1
	v_cmpx_gt_u32_e32 32, v9
	s_cbranch_execz .LBB179_1140
; %bb.1122:
	s_and_saveexec_b32 s0, vcc_lo
	s_cbranch_execnz .LBB179_1158
; %bb.1123:
	s_or_b32 exec_lo, exec_lo, s0
	s_and_saveexec_b32 s0, vcc_lo
	s_cbranch_execnz .LBB179_1159
.LBB179_1124:
	s_or_b32 exec_lo, exec_lo, s0
	s_and_saveexec_b32 s0, vcc_lo
	s_cbranch_execnz .LBB179_1160
.LBB179_1125:
	s_or_b32 exec_lo, exec_lo, s0
	s_and_saveexec_b32 s0, vcc_lo
	s_cbranch_execnz .LBB179_1161
.LBB179_1126:
	s_or_b32 exec_lo, exec_lo, s0
	s_and_saveexec_b32 s0, vcc_lo
	s_cbranch_execnz .LBB179_1162
.LBB179_1127:
	s_or_b32 exec_lo, exec_lo, s0
	s_and_saveexec_b32 s0, vcc_lo
	s_cbranch_execnz .LBB179_1163
.LBB179_1128:
	s_or_b32 exec_lo, exec_lo, s0
	s_and_saveexec_b32 s0, vcc_lo
	s_cbranch_execnz .LBB179_1164
.LBB179_1129:
	s_or_b32 exec_lo, exec_lo, s0
	s_and_saveexec_b32 s0, vcc_lo
	s_cbranch_execnz .LBB179_1165
.LBB179_1130:
	s_or_b32 exec_lo, exec_lo, s0
	s_and_saveexec_b32 s0, vcc_lo
	s_cbranch_execnz .LBB179_1166
.LBB179_1131:
	s_or_b32 exec_lo, exec_lo, s0
	s_and_saveexec_b32 s0, vcc_lo
	s_cbranch_execnz .LBB179_1167
.LBB179_1132:
	s_or_b32 exec_lo, exec_lo, s0
	s_and_saveexec_b32 s0, vcc_lo
	s_cbranch_execnz .LBB179_1168
.LBB179_1133:
	s_or_b32 exec_lo, exec_lo, s0
	s_and_saveexec_b32 s0, vcc_lo
	s_cbranch_execnz .LBB179_1169
.LBB179_1134:
	s_or_b32 exec_lo, exec_lo, s0
	s_and_saveexec_b32 s0, vcc_lo
	s_cbranch_execnz .LBB179_1170
.LBB179_1135:
	s_or_b32 exec_lo, exec_lo, s0
	s_and_saveexec_b32 s0, vcc_lo
	s_cbranch_execnz .LBB179_1171
.LBB179_1136:
	s_or_b32 exec_lo, exec_lo, s0
	s_and_saveexec_b32 s0, vcc_lo
	s_cbranch_execnz .LBB179_1172
.LBB179_1137:
	s_or_b32 exec_lo, exec_lo, s0
	s_and_saveexec_b32 s0, vcc_lo
	s_cbranch_execz .LBB179_1139
.LBB179_1138:
	ds_load_b32 v0, v0 offset:960
	s_wait_dscnt 0x0
	v_add_f32_e32 v7, v7, v0
.LBB179_1139:
	s_or_b32 exec_lo, exec_lo, s0
.LBB179_1140:
	s_delay_alu instid0(SALU_CYCLE_1)
	s_or_b32 exec_lo, exec_lo, s1
	s_mov_b32 s1, 0
	s_barrier_signal -1
	s_barrier_wait -1
	s_mov_b32 s0, exec_lo
	v_cmpx_eq_u32_e32 0, v8
	s_cbranch_execz .LBB179_1142
; %bb.1141:
	s_mul_i32 s0, s22, s23
	s_mul_i32 s2, s23, s12
	;; [unrolled: 1-line block ×3, first 2 shown]
	s_lshr_b32 s8, ttmp7, 16
	s_lshl_b32 s6, s0, 8
	s_bfe_u32 s0, ttmp6, 0x40014
	s_ashr_i32 s7, s6, 31
	s_add_co_i32 s0, s0, 1
	s_lshl_b64 s[6:7], s[6:7], 2
	s_ashr_i32 s3, s2, 31
	s_wait_kmcnt 0x0
	s_add_nc_u64 s[4:5], s[4:5], s[6:7]
	s_mul_i32 s0, s8, s0
	s_bfe_u32 s6, ttmp6, 0x40008
	s_lshl_b64 s[2:3], s[2:3], 2
	s_add_co_i32 s6, s6, s0
	s_cmp_eq_u32 s20, 0
	v_lshlrev_b32_e32 v0, 1, v9
	s_cselect_b32 s0, s8, s6
	s_add_nc_u64 s[2:3], s[4:5], s[2:3]
	s_lshl_b32 s0, s0, 10
	s_delay_alu instid0(SALU_CYCLE_1)
	s_add_nc_u64 s[0:1], s[2:3], s[0:1]
	s_clause 0xf
	global_store_b32 v0, v20, s[0:1]
	global_store_b32 v0, v21, s[0:1] offset:64
	global_store_b32 v0, v18, s[0:1] offset:128
	global_store_b32 v0, v19, s[0:1] offset:192
	global_store_b32 v0, v16, s[0:1] offset:256
	global_store_b32 v0, v17, s[0:1] offset:320
	global_store_b32 v0, v14, s[0:1] offset:384
	global_store_b32 v0, v15, s[0:1] offset:448
	global_store_b32 v0, v12, s[0:1] offset:512
	global_store_b32 v0, v13, s[0:1] offset:576
	global_store_b32 v0, v4, s[0:1] offset:640
	global_store_b32 v0, v5, s[0:1] offset:704
	global_store_b32 v0, v2, s[0:1] offset:768
	global_store_b32 v0, v3, s[0:1] offset:832
	global_store_b32 v0, v6, s[0:1] offset:896
	global_store_b32 v0, v7, s[0:1] offset:960
.LBB179_1142:
	s_sendmsg sendmsg(MSG_DEALLOC_VGPRS)
	s_endpgm
.LBB179_1143:
	ds_load_b32 v8, v0
	s_wait_dscnt 0x0
	v_add_f32_e32 v20, v20, v8
	s_or_b32 exec_lo, exec_lo, s0
	s_and_saveexec_b32 s0, vcc_lo
	s_cbranch_execz .LBB179_1103
.LBB179_1144:
	ds_load_b32 v8, v0 offset:64
	s_wait_dscnt 0x0
	v_add_f32_e32 v21, v21, v8
	s_or_b32 exec_lo, exec_lo, s0
	s_and_saveexec_b32 s0, vcc_lo
	s_cbranch_execz .LBB179_1104
.LBB179_1145:
	ds_load_b32 v8, v0 offset:128
	s_wait_dscnt 0x0
	v_add_f32_e32 v18, v18, v8
	s_or_b32 exec_lo, exec_lo, s0
	s_and_saveexec_b32 s0, vcc_lo
	s_cbranch_execz .LBB179_1105
.LBB179_1146:
	ds_load_b32 v8, v0 offset:192
	s_wait_dscnt 0x0
	v_add_f32_e32 v19, v19, v8
	s_or_b32 exec_lo, exec_lo, s0
	s_and_saveexec_b32 s0, vcc_lo
	s_cbranch_execz .LBB179_1106
.LBB179_1147:
	ds_load_b32 v8, v0 offset:256
	s_wait_dscnt 0x0
	v_add_f32_e32 v16, v16, v8
	s_or_b32 exec_lo, exec_lo, s0
	s_and_saveexec_b32 s0, vcc_lo
	s_cbranch_execz .LBB179_1107
.LBB179_1148:
	ds_load_b32 v8, v0 offset:320
	s_wait_dscnt 0x0
	v_add_f32_e32 v17, v17, v8
	s_or_b32 exec_lo, exec_lo, s0
	s_and_saveexec_b32 s0, vcc_lo
	s_cbranch_execz .LBB179_1108
.LBB179_1149:
	ds_load_b32 v8, v0 offset:384
	s_wait_dscnt 0x0
	v_add_f32_e32 v14, v14, v8
	s_or_b32 exec_lo, exec_lo, s0
	s_and_saveexec_b32 s0, vcc_lo
	s_cbranch_execz .LBB179_1109
.LBB179_1150:
	ds_load_b32 v8, v0 offset:448
	s_wait_dscnt 0x0
	v_add_f32_e32 v15, v15, v8
	s_or_b32 exec_lo, exec_lo, s0
	s_and_saveexec_b32 s0, vcc_lo
	s_cbranch_execz .LBB179_1110
.LBB179_1151:
	ds_load_b32 v8, v0 offset:512
	s_wait_dscnt 0x0
	v_add_f32_e32 v12, v12, v8
	s_or_b32 exec_lo, exec_lo, s0
	s_and_saveexec_b32 s0, vcc_lo
	s_cbranch_execz .LBB179_1111
.LBB179_1152:
	ds_load_b32 v8, v0 offset:576
	s_wait_dscnt 0x0
	v_add_f32_e32 v13, v13, v8
	s_or_b32 exec_lo, exec_lo, s0
	s_and_saveexec_b32 s0, vcc_lo
	s_cbranch_execz .LBB179_1112
.LBB179_1153:
	ds_load_b32 v8, v0 offset:640
	s_wait_dscnt 0x0
	v_add_f32_e32 v4, v4, v8
	s_or_b32 exec_lo, exec_lo, s0
	s_and_saveexec_b32 s0, vcc_lo
	s_cbranch_execz .LBB179_1113
.LBB179_1154:
	ds_load_b32 v8, v0 offset:704
	s_wait_dscnt 0x0
	v_add_f32_e32 v5, v5, v8
	s_or_b32 exec_lo, exec_lo, s0
	s_and_saveexec_b32 s0, vcc_lo
	s_cbranch_execz .LBB179_1114
.LBB179_1155:
	ds_load_b32 v8, v0 offset:768
	s_wait_dscnt 0x0
	v_add_f32_e32 v2, v2, v8
	s_or_b32 exec_lo, exec_lo, s0
	s_and_saveexec_b32 s0, vcc_lo
	s_cbranch_execz .LBB179_1115
.LBB179_1156:
	ds_load_b32 v8, v0 offset:832
	s_wait_dscnt 0x0
	v_add_f32_e32 v3, v3, v8
	s_or_b32 exec_lo, exec_lo, s0
	s_and_saveexec_b32 s0, vcc_lo
	s_cbranch_execz .LBB179_1116
.LBB179_1157:
	ds_load_b32 v8, v0 offset:896
	s_wait_dscnt 0x0
	v_add_f32_e32 v6, v6, v8
	s_or_b32 exec_lo, exec_lo, s0
	s_and_saveexec_b32 s0, vcc_lo
	s_cbranch_execnz .LBB179_1117
	s_branch .LBB179_1118
.LBB179_1158:
	ds_load_b32 v1, v0
	s_wait_dscnt 0x0
	v_add_f32_e32 v20, v20, v1
	s_or_b32 exec_lo, exec_lo, s0
	s_and_saveexec_b32 s0, vcc_lo
	s_cbranch_execz .LBB179_1124
.LBB179_1159:
	ds_load_b32 v1, v0 offset:64
	s_wait_dscnt 0x0
	v_add_f32_e32 v21, v21, v1
	s_or_b32 exec_lo, exec_lo, s0
	s_and_saveexec_b32 s0, vcc_lo
	s_cbranch_execz .LBB179_1125
.LBB179_1160:
	ds_load_b32 v1, v0 offset:128
	s_wait_dscnt 0x0
	v_add_f32_e32 v18, v18, v1
	s_or_b32 exec_lo, exec_lo, s0
	s_and_saveexec_b32 s0, vcc_lo
	s_cbranch_execz .LBB179_1126
.LBB179_1161:
	ds_load_b32 v1, v0 offset:192
	s_wait_dscnt 0x0
	v_add_f32_e32 v19, v19, v1
	s_or_b32 exec_lo, exec_lo, s0
	s_and_saveexec_b32 s0, vcc_lo
	s_cbranch_execz .LBB179_1127
.LBB179_1162:
	ds_load_b32 v1, v0 offset:256
	s_wait_dscnt 0x0
	v_add_f32_e32 v16, v16, v1
	s_or_b32 exec_lo, exec_lo, s0
	s_and_saveexec_b32 s0, vcc_lo
	s_cbranch_execz .LBB179_1128
.LBB179_1163:
	ds_load_b32 v1, v0 offset:320
	s_wait_dscnt 0x0
	v_add_f32_e32 v17, v17, v1
	s_or_b32 exec_lo, exec_lo, s0
	s_and_saveexec_b32 s0, vcc_lo
	s_cbranch_execz .LBB179_1129
.LBB179_1164:
	ds_load_b32 v1, v0 offset:384
	s_wait_dscnt 0x0
	v_add_f32_e32 v14, v14, v1
	s_or_b32 exec_lo, exec_lo, s0
	s_and_saveexec_b32 s0, vcc_lo
	s_cbranch_execz .LBB179_1130
.LBB179_1165:
	ds_load_b32 v1, v0 offset:448
	s_wait_dscnt 0x0
	v_add_f32_e32 v15, v15, v1
	s_or_b32 exec_lo, exec_lo, s0
	s_and_saveexec_b32 s0, vcc_lo
	s_cbranch_execz .LBB179_1131
.LBB179_1166:
	ds_load_b32 v1, v0 offset:512
	s_wait_dscnt 0x0
	v_add_f32_e32 v12, v12, v1
	s_or_b32 exec_lo, exec_lo, s0
	s_and_saveexec_b32 s0, vcc_lo
	s_cbranch_execz .LBB179_1132
.LBB179_1167:
	ds_load_b32 v1, v0 offset:576
	s_wait_dscnt 0x0
	v_add_f32_e32 v13, v13, v1
	s_or_b32 exec_lo, exec_lo, s0
	s_and_saveexec_b32 s0, vcc_lo
	s_cbranch_execz .LBB179_1133
.LBB179_1168:
	ds_load_b32 v1, v0 offset:640
	s_wait_dscnt 0x0
	v_add_f32_e32 v4, v4, v1
	s_or_b32 exec_lo, exec_lo, s0
	s_and_saveexec_b32 s0, vcc_lo
	s_cbranch_execz .LBB179_1134
.LBB179_1169:
	ds_load_b32 v1, v0 offset:704
	s_wait_dscnt 0x0
	v_add_f32_e32 v5, v5, v1
	s_or_b32 exec_lo, exec_lo, s0
	s_and_saveexec_b32 s0, vcc_lo
	s_cbranch_execz .LBB179_1135
.LBB179_1170:
	ds_load_b32 v1, v0 offset:768
	s_wait_dscnt 0x0
	v_add_f32_e32 v2, v2, v1
	s_or_b32 exec_lo, exec_lo, s0
	s_and_saveexec_b32 s0, vcc_lo
	s_cbranch_execz .LBB179_1136
.LBB179_1171:
	ds_load_b32 v1, v0 offset:832
	s_wait_dscnt 0x0
	v_add_f32_e32 v3, v3, v1
	s_or_b32 exec_lo, exec_lo, s0
	s_and_saveexec_b32 s0, vcc_lo
	s_cbranch_execz .LBB179_1137
.LBB179_1172:
	ds_load_b32 v1, v0 offset:896
	s_wait_dscnt 0x0
	v_add_f32_e32 v6, v6, v1
	s_or_b32 exec_lo, exec_lo, s0
	s_and_saveexec_b32 s0, vcc_lo
	s_cbranch_execnz .LBB179_1138
	s_branch .LBB179_1139
	.section	.rodata,"a",@progbits
	.p2align	6, 0x0
	.amdhsa_kernel _ZN4vllm25paged_attention_v1_kernelIfhLi256ELi8ELi128ELNS_18Fp8KVCacheDataTypeE1ELb0EEEvPT_PKS2_PKT0_S8_ifPKiSA_iPKfiiiSC_SC_iiiii
		.amdhsa_group_segment_fixed_size 1056
		.amdhsa_private_segment_fixed_size 96
		.amdhsa_kernarg_size 384
		.amdhsa_user_sgpr_count 2
		.amdhsa_user_sgpr_dispatch_ptr 0
		.amdhsa_user_sgpr_queue_ptr 0
		.amdhsa_user_sgpr_kernarg_segment_ptr 1
		.amdhsa_user_sgpr_dispatch_id 0
		.amdhsa_user_sgpr_kernarg_preload_length 0
		.amdhsa_user_sgpr_kernarg_preload_offset 0
		.amdhsa_user_sgpr_private_segment_size 0
		.amdhsa_wavefront_size32 1
		.amdhsa_uses_dynamic_stack 0
		.amdhsa_enable_private_segment 1
		.amdhsa_system_sgpr_workgroup_id_x 1
		.amdhsa_system_sgpr_workgroup_id_y 1
		.amdhsa_system_sgpr_workgroup_id_z 1
		.amdhsa_system_sgpr_workgroup_info 0
		.amdhsa_system_vgpr_workitem_id 0
		.amdhsa_next_free_vgpr 128
		.amdhsa_next_free_sgpr 31
		.amdhsa_named_barrier_count 0
		.amdhsa_reserve_vcc 1
		.amdhsa_float_round_mode_32 0
		.amdhsa_float_round_mode_16_64 0
		.amdhsa_float_denorm_mode_32 3
		.amdhsa_float_denorm_mode_16_64 3
		.amdhsa_fp16_overflow 0
		.amdhsa_memory_ordered 1
		.amdhsa_forward_progress 1
		.amdhsa_inst_pref_size 255
		.amdhsa_round_robin_scheduling 0
		.amdhsa_exception_fp_ieee_invalid_op 0
		.amdhsa_exception_fp_denorm_src 0
		.amdhsa_exception_fp_ieee_div_zero 0
		.amdhsa_exception_fp_ieee_overflow 0
		.amdhsa_exception_fp_ieee_underflow 0
		.amdhsa_exception_fp_ieee_inexact 0
		.amdhsa_exception_int_div_zero 0
	.end_amdhsa_kernel
	.section	.text._ZN4vllm25paged_attention_v1_kernelIfhLi256ELi8ELi128ELNS_18Fp8KVCacheDataTypeE1ELb0EEEvPT_PKS2_PKT0_S8_ifPKiSA_iPKfiiiSC_SC_iiiii,"axG",@progbits,_ZN4vllm25paged_attention_v1_kernelIfhLi256ELi8ELi128ELNS_18Fp8KVCacheDataTypeE1ELb0EEEvPT_PKS2_PKT0_S8_ifPKiSA_iPKfiiiSC_SC_iiiii,comdat
.Lfunc_end179:
	.size	_ZN4vllm25paged_attention_v1_kernelIfhLi256ELi8ELi128ELNS_18Fp8KVCacheDataTypeE1ELb0EEEvPT_PKS2_PKT0_S8_ifPKiSA_iPKfiiiSC_SC_iiiii, .Lfunc_end179-_ZN4vllm25paged_attention_v1_kernelIfhLi256ELi8ELi128ELNS_18Fp8KVCacheDataTypeE1ELb0EEEvPT_PKS2_PKT0_S8_ifPKiSA_iPKfiiiSC_SC_iiiii
                                        ; -- End function
	.set _ZN4vllm25paged_attention_v1_kernelIfhLi256ELi8ELi128ELNS_18Fp8KVCacheDataTypeE1ELb0EEEvPT_PKS2_PKT0_S8_ifPKiSA_iPKfiiiSC_SC_iiiii.num_vgpr, 128
	.set _ZN4vllm25paged_attention_v1_kernelIfhLi256ELi8ELi128ELNS_18Fp8KVCacheDataTypeE1ELb0EEEvPT_PKS2_PKT0_S8_ifPKiSA_iPKfiiiSC_SC_iiiii.num_agpr, 0
	.set _ZN4vllm25paged_attention_v1_kernelIfhLi256ELi8ELi128ELNS_18Fp8KVCacheDataTypeE1ELb0EEEvPT_PKS2_PKT0_S8_ifPKiSA_iPKfiiiSC_SC_iiiii.numbered_sgpr, 31
	.set _ZN4vllm25paged_attention_v1_kernelIfhLi256ELi8ELi128ELNS_18Fp8KVCacheDataTypeE1ELb0EEEvPT_PKS2_PKT0_S8_ifPKiSA_iPKfiiiSC_SC_iiiii.num_named_barrier, 0
	.set _ZN4vllm25paged_attention_v1_kernelIfhLi256ELi8ELi128ELNS_18Fp8KVCacheDataTypeE1ELb0EEEvPT_PKS2_PKT0_S8_ifPKiSA_iPKfiiiSC_SC_iiiii.private_seg_size, 96
	.set _ZN4vllm25paged_attention_v1_kernelIfhLi256ELi8ELi128ELNS_18Fp8KVCacheDataTypeE1ELb0EEEvPT_PKS2_PKT0_S8_ifPKiSA_iPKfiiiSC_SC_iiiii.uses_vcc, 1
	.set _ZN4vllm25paged_attention_v1_kernelIfhLi256ELi8ELi128ELNS_18Fp8KVCacheDataTypeE1ELb0EEEvPT_PKS2_PKT0_S8_ifPKiSA_iPKfiiiSC_SC_iiiii.uses_flat_scratch, 1
	.set _ZN4vllm25paged_attention_v1_kernelIfhLi256ELi8ELi128ELNS_18Fp8KVCacheDataTypeE1ELb0EEEvPT_PKS2_PKT0_S8_ifPKiSA_iPKfiiiSC_SC_iiiii.has_dyn_sized_stack, 0
	.set _ZN4vllm25paged_attention_v1_kernelIfhLi256ELi8ELi128ELNS_18Fp8KVCacheDataTypeE1ELb0EEEvPT_PKS2_PKT0_S8_ifPKiSA_iPKfiiiSC_SC_iiiii.has_recursion, 0
	.set _ZN4vllm25paged_attention_v1_kernelIfhLi256ELi8ELi128ELNS_18Fp8KVCacheDataTypeE1ELb0EEEvPT_PKS2_PKT0_S8_ifPKiSA_iPKfiiiSC_SC_iiiii.has_indirect_call, 0
	.section	.AMDGPU.csdata,"",@progbits
; Kernel info:
; codeLenInByte = 40636
; TotalNumSgprs: 33
; NumVgprs: 128
; ScratchSize: 96
; MemoryBound: 0
; FloatMode: 240
; IeeeMode: 1
; LDSByteSize: 1056 bytes/workgroup (compile time only)
; SGPRBlocks: 0
; VGPRBlocks: 7
; NumSGPRsForWavesPerEU: 33
; NumVGPRsForWavesPerEU: 128
; NamedBarCnt: 0
; Occupancy: 8
; WaveLimiterHint : 1
; COMPUTE_PGM_RSRC2:SCRATCH_EN: 1
; COMPUTE_PGM_RSRC2:USER_SGPR: 2
; COMPUTE_PGM_RSRC2:TRAP_HANDLER: 0
; COMPUTE_PGM_RSRC2:TGID_X_EN: 1
; COMPUTE_PGM_RSRC2:TGID_Y_EN: 1
; COMPUTE_PGM_RSRC2:TGID_Z_EN: 1
; COMPUTE_PGM_RSRC2:TIDIG_COMP_CNT: 0
	.section	.text._ZN4vllm25paged_attention_v1_kernelIfhLi32ELi16ELi128ELNS_18Fp8KVCacheDataTypeE1ELb1EEEvPT_PKS2_PKT0_S8_ifPKiSA_iPKfiiiSC_SC_iiiii,"axG",@progbits,_ZN4vllm25paged_attention_v1_kernelIfhLi32ELi16ELi128ELNS_18Fp8KVCacheDataTypeE1ELb1EEEvPT_PKS2_PKT0_S8_ifPKiSA_iPKfiiiSC_SC_iiiii,comdat
	.protected	_ZN4vllm25paged_attention_v1_kernelIfhLi32ELi16ELi128ELNS_18Fp8KVCacheDataTypeE1ELb1EEEvPT_PKS2_PKT0_S8_ifPKiSA_iPKfiiiSC_SC_iiiii ; -- Begin function _ZN4vllm25paged_attention_v1_kernelIfhLi32ELi16ELi128ELNS_18Fp8KVCacheDataTypeE1ELb1EEEvPT_PKS2_PKT0_S8_ifPKiSA_iPKfiiiSC_SC_iiiii
	.globl	_ZN4vllm25paged_attention_v1_kernelIfhLi32ELi16ELi128ELNS_18Fp8KVCacheDataTypeE1ELb1EEEvPT_PKS2_PKT0_S8_ifPKiSA_iPKfiiiSC_SC_iiiii
	.p2align	8
	.type	_ZN4vllm25paged_attention_v1_kernelIfhLi32ELi16ELi128ELNS_18Fp8KVCacheDataTypeE1ELb1EEEvPT_PKS2_PKT0_S8_ifPKiSA_iPKfiiiSC_SC_iiiii,@function
_ZN4vllm25paged_attention_v1_kernelIfhLi32ELi16ELi128ELNS_18Fp8KVCacheDataTypeE1ELb1EEEvPT_PKS2_PKT0_S8_ifPKiSA_iPKfiiiSC_SC_iiiii: ; @_ZN4vllm25paged_attention_v1_kernelIfhLi32ELi16ELi128ELNS_18Fp8KVCacheDataTypeE1ELb1EEEvPT_PKS2_PKT0_S8_ifPKiSA_iPKfiiiSC_SC_iiiii
; %bb.0:
	s_load_b64 s[26:27], s[0:1], 0x20
	s_bfe_u32 s3, ttmp6, 0x4000c
	s_bfe_u32 s4, ttmp6, 0x40010
	s_and_b32 s6, ttmp7, 0xffff
	s_add_co_i32 s3, s3, 1
	s_add_co_i32 s4, s4, 1
	s_and_b32 s2, ttmp6, 15
	s_bfe_u32 s5, ttmp6, 0x40004
	s_mul_i32 s3, ttmp9, s3
	s_mul_i32 s4, s6, s4
	s_getreg_b32 s30, hwreg(HW_REG_IB_STS2, 6, 4)
	s_add_co_i32 s2, s2, s3
	s_add_co_i32 s3, s5, s4
	s_cmp_eq_u32 s30, 0
	s_clause 0x1
	s_load_b32 s31, s[0:1], 0x80
	s_load_b64 s[4:5], s[0:1], 0x30
	s_cselect_b32 s33, s6, s3
	s_cselect_b32 s2, ttmp9, s2
	s_wait_kmcnt 0x0
	s_abs_i32 s3, s26
	s_delay_alu instid0(SALU_CYCLE_1) | instskip(SKIP_1) | instid1(SALU_CYCLE_2)
	s_cvt_f32_u32 s6, s3
	s_sub_co_i32 s7, 0, s3
	v_rcp_iflag_f32_e32 v1, s6
	s_abs_i32 s8, s31
	v_nop
	s_delay_alu instid0(TRANS32_DEP_1) | instskip(SKIP_1) | instid1(SALU_CYCLE_3)
	v_readfirstlane_b32 s6, v1
	s_mul_f32 s6, s6, 0x4f7ffffe
	s_cvt_u32_f32 s6, s6
	s_delay_alu instid0(SALU_CYCLE_3) | instskip(NEXT) | instid1(SALU_CYCLE_1)
	s_mul_i32 s7, s7, s6
	s_mul_hi_u32 s7, s6, s7
	s_delay_alu instid0(SALU_CYCLE_1) | instskip(SKIP_4) | instid1(SALU_CYCLE_1)
	s_add_co_i32 s6, s6, s7
	s_xor_b32 s7, s31, s26
	s_mul_hi_u32 s6, s8, s6
	s_ashr_i32 s7, s7, 31
	s_mul_i32 s9, s6, s3
	s_sub_co_i32 s8, s8, s9
	s_add_co_i32 s9, s6, 1
	s_sub_co_i32 s10, s8, s3
	s_cmp_ge_u32 s8, s3
	s_cselect_b32 s6, s9, s6
	s_cselect_b32 s8, s10, s8
	s_add_co_i32 s9, s6, 1
	s_cmp_ge_u32 s8, s3
	s_load_b64 s[10:11], s[0:1], 0x40
	s_cselect_b32 s3, s9, s6
	s_mov_b32 s9, 0
	s_xor_b32 s3, s3, s7
	s_abs_i32 s8, s2
	s_sub_co_i32 s12, s3, s7
	s_mov_b32 s7, s9
	s_abs_i32 s19, s12
	s_mov_b32 s37, s9
	s_cvt_f32_u32 s3, s19
	s_sub_co_i32 s6, 0, s19
	s_delay_alu instid0(SALU_CYCLE_2) | instskip(SKIP_1) | instid1(TRANS32_DEP_1)
	v_rcp_iflag_f32_e32 v1, s3
	v_nop
	v_readfirstlane_b32 s3, v1
	s_mul_f32 s3, s3, 0x4f7ffffe
	s_delay_alu instid0(SALU_CYCLE_3) | instskip(NEXT) | instid1(SALU_CYCLE_3)
	s_cvt_u32_f32 s3, s3
	s_mul_i32 s6, s6, s3
	s_delay_alu instid0(SALU_CYCLE_1) | instskip(NEXT) | instid1(SALU_CYCLE_1)
	s_mul_hi_u32 s6, s3, s6
	s_add_co_i32 s6, s3, s6
	s_wait_kmcnt 0x0
	s_cmp_eq_u64 s[10:11], 0
	s_cbranch_scc1 .LBB180_2
; %bb.1:
	s_ashr_i32 s3, s2, 31
	s_delay_alu instid0(SALU_CYCLE_1) | instskip(NEXT) | instid1(SALU_CYCLE_1)
	s_lshl_b64 s[14:15], s[2:3], 2
	s_add_nc_u64 s[10:11], s[10:11], s[14:15]
	s_load_b32 s37, s[10:11], 0x0
.LBB180_2:
	s_load_b32 s34, s[4:5], s33 offset:0x0 scale_offset
	s_load_b96 s[16:18], s[0:1], 0x48
	v_dual_lshlrev_b32 v19, 2, v0 :: v_dual_bitop2_b32 v2, 1, v0 bitop3:0x40
	s_wait_xcnt 0x0
	s_mul_u64 s[4:5], s[8:9], s[6:7]
	s_ashr_i32 s3, s2, 31
	s_ashr_i32 s10, s12, 31
	s_lshl_b32 s6, s2, 5
	s_mov_b32 s4, exec_lo
	v_cmpx_gt_u32_e32 16, v0
	s_cbranch_execz .LBB180_4
; %bb.3:
	s_load_b64 s[12:13], s[0:1], 0x8
	s_wait_kmcnt 0x0
	s_mul_i32 s14, s16, s33
	s_ashr_i32 s7, s6, 31
	s_ashr_i32 s15, s14, 31
	v_and_b32_e32 v1, 0xff8, v19
	s_lshl_b64 s[14:15], s[14:15], 2
	s_delay_alu instid0(VALU_DEP_1) | instskip(SKIP_2) | instid1(SALU_CYCLE_1)
	v_lshl_add_u32 v1, v2, 6, v1
	s_add_nc_u64 s[12:13], s[12:13], s[14:15]
	s_lshl_b64 s[14:15], s[6:7], 2
	s_add_nc_u64 s[12:13], s[12:13], s[14:15]
	global_load_b64 v[4:5], v0, s[12:13] scale_offset
	s_wait_loadcnt 0x0
	ds_store_b64 v1, v[4:5]
.LBB180_4:
	s_or_b32 exec_lo, exec_lo, s4
	s_load_b128 s[12:15], s[0:1], 0x68
	s_mul_i32 s4, s5, s19
	s_xor_b32 s3, s3, s10
	s_sub_co_i32 s4, s8, s4
	s_add_co_i32 s7, s5, 1
	s_sub_co_i32 s8, s4, s19
	s_cmp_ge_u32 s4, s19
	s_mov_b32 s9, -1
	s_cselect_b32 s5, s7, s5
	s_cselect_b32 s4, s8, s4
	s_add_co_i32 s8, s5, 1
	s_cmp_ge_u32 s4, s19
	s_load_b32 s7, s[0:1], 0x78
	s_cselect_b32 s4, s8, s5
	s_wait_kmcnt 0x0
	s_add_co_i32 s8, s34, -1
	s_xor_b32 s4, s4, s3
	s_wait_dscnt 0x0
	s_sub_co_i32 s3, s4, s3
	s_barrier_signal -1
	s_barrier_wait -1
	s_abs_i32 s16, s15
	s_delay_alu instid0(SALU_CYCLE_1) | instskip(NEXT) | instid1(SALU_CYCLE_3)
	s_cvt_f32_u32 s5, s16
                                        ; implicit-def: $sgpr35
	v_rcp_iflag_f32_e32 v1, s5
	v_nop
	s_delay_alu instid0(TRANS32_DEP_1) | instskip(SKIP_1) | instid1(SALU_CYCLE_3)
	v_readfirstlane_b32 s5, v1
	s_mul_f32 s4, s5, 0x4f7ffffe
	s_cvt_u32_f32 s10, s4
	s_sub_co_i32 s4, 0, s16
	s_delay_alu instid0(SALU_CYCLE_2)
	s_mul_i32 s5, s4, s10
	s_abs_i32 s4, s8
	s_mul_hi_u32 s11, s10, s5
	s_mov_b32 s5, 0
	s_add_co_i32 s20, s10, s11
	s_cmp_lt_i32 s7, 0
	s_mov_b32 s21, s5
	s_cbranch_scc0 .LBB180_6
; %bb.5:
	s_mul_i32 s9, s12, s26
	s_delay_alu instid0(SALU_CYCLE_1) | instskip(NEXT) | instid1(SALU_CYCLE_1)
	s_add_co_i32 s9, s3, s9
	s_mul_i32 s9, s9, s7
	s_delay_alu instid0(SALU_CYCLE_1)
	s_sub_co_i32 s35, 1, s9
	s_mov_b32 s9, s5
.LBB180_6:
	s_ashr_i32 s8, s8, 31
	s_ashr_i32 s15, s15, 31
	s_and_not1_b32 vcc_lo, exec_lo, s9
	s_mul_u64 s[28:29], s[4:5], s[20:21]
	s_cbranch_vccnz .LBB180_8
; %bb.7:
	s_mul_i32 s5, s31, s12
	s_delay_alu instid0(SALU_CYCLE_1) | instskip(NEXT) | instid1(SALU_CYCLE_1)
	s_add_co_i32 s2, s5, s2
	s_mul_i32 s2, s2, s7
	s_delay_alu instid0(SALU_CYCLE_1)
	s_add_co_i32 s35, s2, 1
.LBB180_8:
	s_clause 0x1
	s_load_b32 s2, s[0:1], 0x38
	s_load_b64 s[22:23], s[0:1], 0x28
	s_mul_i32 s7, s29, s16
	s_xor_b32 s5, s8, s15
	s_sub_co_i32 s4, s4, s7
	s_add_co_i32 s12, s29, 1
	s_clause 0x1
	s_load_b32 s7, s[0:1], 0x88
	s_load_b128 s[8:11], s[0:1], 0x58
	v_dual_mov_b32 v64, 0xff7fffff :: v_dual_lshrrev_b32 v1, 5, v0
	v_lshrrev_b32_e32 v60, 3, v0
	v_mbcnt_lo_u32_b32 v61, -1, 0
	s_mul_i32 s18, s3, s18
	s_delay_alu instid0(VALU_DEP_3)
	v_lshlrev_b32_e32 v18, 4, v1
	s_wait_kmcnt 0x0
	s_mul_i32 s24, s2, s33
	s_sub_co_i32 s2, s4, s16
	s_ashr_i32 s25, s24, 31
	s_cmp_ge_u32 s4, s16
	s_cselect_b32 s12, s12, s29
	s_cselect_b32 s2, s2, s4
	s_add_co_i32 s4, s12, 1
	s_cmp_ge_u32 s2, s16
	s_cselect_b32 s2, s4, s12
	s_add_co_i32 s4, s34, 15
	s_delay_alu instid0(SALU_CYCLE_1) | instskip(NEXT) | instid1(SALU_CYCLE_1)
	s_ashr_i32 s12, s4, 31
	s_lshr_b32 s12, s12, 28
	s_delay_alu instid0(SALU_CYCLE_1) | instskip(NEXT) | instid1(SALU_CYCLE_1)
	s_add_co_i32 s4, s4, s12
	s_ashr_i32 s26, s4, 4
	s_xor_b32 s4, s2, s5
	v_cmp_gt_i32_e64 s2, s26, v1
	s_sub_co_i32 s36, s4, s5
	s_and_saveexec_b32 s38, s2
	s_cbranch_execz .LBB180_148
; %bb.9:
	s_load_b64 s[4:5], s[0:1], 0x10
	s_sub_co_i32 s39, s36, s13
	s_ashr_i32 s19, s18, 31
	s_cmp_neq_f32 s37, 0
	v_bfe_u32 v62, v0, 1, 4
	v_dual_mov_b32 v21, 0 :: v_dual_lshlrev_b32 v63, 6, v2
	s_cselect_b32 vcc_lo, -1, 0
	s_abs_i32 s40, s14
	s_delay_alu instid0(VALU_DEP_2)
	v_dual_lshlrev_b32 v22, 4, v1 :: v_dual_lshlrev_b32 v20, 4, v62
	s_cvt_f32_u32 s12, s40
	s_lshl_b64 s[42:43], s[24:25], 2
	v_cmp_eq_u32_e64 s3, 0, v2
	v_subrev_nc_u32_e32 v6, s34, v62
	v_rcp_iflag_f32_e32 v3, s12
	v_mov_b32_e32 v68, v1
	s_mov_b32 s29, 0
	s_delay_alu instid0(VALU_DEP_2)
	v_dual_mov_b32 v64, 0xff7fffff :: v_dual_add_nc_u32 v65, 1, v6
	s_wait_kmcnt 0x0
	s_add_nc_u64 s[4:5], s[4:5], s[18:19]
	s_sub_co_i32 s19, 0, s40
	v_readfirstlane_b32 s12, v3
	v_add_nc_u64_e32 v[4:5], s[4:5], v[20:21]
	v_dual_mov_b32 v67, 0xff7fffff :: v_dual_lshlrev_b32 v20, 1, v2
	v_lshlrev_b32_e32 v3, 2, v62
	s_mul_f32 s12, s12, 0x4f7ffffe
	s_add_nc_u64 s[4:5], s[22:23], s[42:43]
	s_mov_b32 s41, s29
	s_delay_alu instid0(VALU_DEP_3) | instskip(SKIP_3) | instid1(VALU_DEP_2)
	v_add_nc_u64_e32 v[24:25], v[4:5], v[20:21]
	v_and_b32_e32 v20, 0x7c, v60
	v_lshl_or_b32 v2, v1, 6, v3
	s_cvt_u32_f32 s12, s12
	v_add_nc_u64_e32 v[26:27], s[4:5], v[20:21]
	s_delay_alu instid0(SALU_CYCLE_2) | instskip(NEXT) | instid1(VALU_DEP_2)
	s_mul_i32 s19, s19, s12
	v_add_nc_u32_e32 v66, 0xa0, v2
	s_mul_hi_u32 s28, s12, s19
	s_mov_b32 s19, s17
	s_add_co_i32 s28, s12, s28
	s_branch .LBB180_12
.LBB180_10:                             ;   in Loop: Header=BB180_12 Depth=1
	s_or_b32 exec_lo, exec_lo, s12
.LBB180_11:                             ;   in Loop: Header=BB180_12 Depth=1
	s_delay_alu instid0(SALU_CYCLE_1) | instskip(SKIP_3) | instid1(VALU_DEP_3)
	s_or_b32 exec_lo, exec_lo, s5
	v_dual_add_nc_u32 v68, 4, v68 :: v_dual_add_nc_u32 v22, 64, v22
	v_add_nc_u64_e32 v[26:27], 16, v[26:27]
	v_add_nc_u32_e32 v66, 0x100, v66
	v_cmp_le_i32_e64 s4, s26, v68
	s_or_b32 s41, s4, s41
	s_delay_alu instid0(SALU_CYCLE_1)
	s_and_not1_b32 exec_lo, exec_lo, s41
	s_cbranch_execz .LBB180_147
.LBB180_12:                             ; =>This Inner Loop Header: Depth=1
	v_mov_b32_e32 v23, v21
	s_wait_dscnt 0x0
	s_delay_alu instid0(VALU_DEP_1) | instskip(NEXT) | instid1(VALU_DEP_1)
	v_mul_u64_e32 v[2:3], s[20:21], v[22:23]
	v_mul_lo_u32 v2, v3, s16
	s_delay_alu instid0(VALU_DEP_1) | instskip(NEXT) | instid1(VALU_DEP_1)
	v_sub_nc_u32_e32 v2, v22, v2
	v_subrev_nc_u32_e32 v5, s16, v2
	v_cmp_le_u32_e64 s4, s16, v2
	s_delay_alu instid0(VALU_DEP_1) | instskip(NEXT) | instid1(VALU_DEP_1)
	v_dual_add_nc_u32 v4, 1, v3 :: v_dual_cndmask_b32 v2, v2, v5, s4
	v_cndmask_b32_e64 v3, v3, v4, s4
	s_delay_alu instid0(VALU_DEP_2) | instskip(NEXT) | instid1(VALU_DEP_2)
	v_cmp_le_u32_e64 s4, s16, v2
	v_add_nc_u32_e32 v4, 1, v3
	s_delay_alu instid0(VALU_DEP_1) | instskip(NEXT) | instid1(VALU_DEP_1)
	v_cndmask_b32_e64 v2, v3, v4, s4
	v_xor_b32_e32 v2, s15, v2
	s_delay_alu instid0(VALU_DEP_1) | instskip(NEXT) | instid1(VALU_DEP_1)
	v_subrev_nc_u32_e32 v4, s15, v2
	v_add_nc_u32_e32 v5, s35, v4
	v_cmp_ge_i32_e64 s5, s39, v4
	s_delay_alu instid0(VALU_DEP_2) | instskip(NEXT) | instid1(VALU_DEP_1)
	v_sub_nc_u32_e32 v2, 0, v5
	v_dual_ashrrev_i32 v5, 31, v5 :: v_dual_max_i32 v20, v5, v2
	s_delay_alu instid0(VALU_DEP_1) | instskip(NEXT) | instid1(VALU_DEP_1)
	v_mul_u64_e32 v[2:3], s[28:29], v[20:21]
	v_mul_lo_u32 v2, v3, s40
	s_delay_alu instid0(VALU_DEP_1) | instskip(NEXT) | instid1(VALU_DEP_1)
	v_sub_nc_u32_e32 v2, v20, v2
	v_subrev_nc_u32_e32 v3, s40, v2
	v_cmp_le_u32_e64 s4, s40, v2
	s_delay_alu instid0(VALU_DEP_1) | instskip(NEXT) | instid1(VALU_DEP_1)
	v_cndmask_b32_e64 v2, v2, v3, s4
	v_subrev_nc_u32_e32 v3, s40, v2
	v_cmp_le_u32_e64 s4, s40, v2
	s_delay_alu instid0(VALU_DEP_1) | instskip(NEXT) | instid1(VALU_DEP_1)
	v_cndmask_b32_e64 v2, v2, v3, s4
	v_xor_b32_e32 v2, v2, v5
	s_delay_alu instid0(VALU_DEP_1) | instskip(NEXT) | instid1(VALU_DEP_1)
	v_sub_nc_u32_e32 v2, v2, v5
	v_cmp_ne_u32_e64 s4, 0, v2
	s_and_b32 s4, s4, s5
	s_delay_alu instid0(SALU_CYCLE_1) | instskip(NEXT) | instid1(SALU_CYCLE_1)
	s_and_saveexec_b32 s5, s4
	s_xor_b32 s4, exec_lo, s5
	s_cbranch_execz .LBB180_16
; %bb.13:                               ;   in Loop: Header=BB180_12 Depth=1
	s_and_saveexec_b32 s5, s3
; %bb.14:                               ;   in Loop: Header=BB180_12 Depth=1
	ds_store_b32 v66, v67
; %bb.15:                               ;   in Loop: Header=BB180_12 Depth=1
	s_or_b32 exec_lo, exec_lo, s5
.LBB180_16:                             ;   in Loop: Header=BB180_12 Depth=1
	s_and_not1_saveexec_b32 s5, s4
	s_cbranch_execz .LBB180_11
; %bb.17:                               ;   in Loop: Header=BB180_12 Depth=1
	global_load_b32 v2, v[26:27], off
	v_mov_b64_e32 v[28:29], 0
	v_mov_b64_e32 v[30:31], 0
	s_mov_b32 s42, exec_lo
	s_wait_loadcnt 0x0
	v_mad_nc_i64_i32 v[32:33], v2, s19, v[24:25]
	global_load_u16 v20, v[32:33], off
	ds_load_b128 v[14:17], v63
	ds_load_b128 v[10:13], v63 offset:16
	ds_load_b128 v[6:9], v63 offset:32
	;; [unrolled: 1-line block ×3, first 2 shown]
	s_load_b32 s12, s[8:9], 0x0
	s_wait_loadcnt 0x0
	v_and_b32_e32 v34, 0xff, v20
	v_and_b32_e32 v23, 0xffff, v20
	s_delay_alu instid0(VALU_DEP_2)
	v_cmpx_ne_u16_e32 0, v34
	s_cbranch_execz .LBB180_25
; %bb.18:                               ;   in Loop: Header=BB180_12 Depth=1
	v_mov_b64_e32 v[30:31], 0x80000000
	s_delay_alu instid0(VALU_DEP_3) | instskip(SKIP_1) | instid1(VALU_DEP_1)
	v_and_b32_e32 v20, 0xff, v23
	s_mov_b32 s43, exec_lo
	v_cmpx_ne_u16_e32 0x80, v20
	s_cbranch_execz .LBB180_24
; %bb.19:                               ;   in Loop: Header=BB180_12 Depth=1
	v_mov_b64_e32 v[30:31], 0x7f800001
	v_and_b32_e32 v34, 0x7f, v23
	s_mov_b32 s44, exec_lo
	s_delay_alu instid0(VALU_DEP_1)
	v_cmpx_ne_u32_e32 0x7f, v34
	s_cbranch_execz .LBB180_23
; %bb.20:                               ;   in Loop: Header=BB180_12 Depth=1
	v_dual_lshrrev_b32 v30, 3, v34 :: v_dual_bitop2_b32 v20, 7, v23 bitop3:0x40
	s_mov_b32 s45, exec_lo
	v_cmpx_gt_u32_e32 8, v34
; %bb.21:                               ;   in Loop: Header=BB180_12 Depth=1
	s_delay_alu instid0(VALU_DEP_2) | instskip(NEXT) | instid1(VALU_DEP_1)
	v_clz_i32_u32_e32 v30, v20
	v_min_u32_e32 v30, 32, v30
	s_delay_alu instid0(VALU_DEP_1) | instskip(SKIP_1) | instid1(VALU_DEP_2)
	v_subrev_nc_u32_e32 v31, 28, v30
	v_sub_nc_u32_e32 v30, 29, v30
	v_lshlrev_b64_e32 v[34:35], v31, v[20:21]
	s_delay_alu instid0(VALU_DEP_1)
	v_and_b32_e32 v20, 7, v34
; %bb.22:                               ;   in Loop: Header=BB180_12 Depth=1
	s_or_b32 exec_lo, exec_lo, s45
	s_delay_alu instid0(VALU_DEP_1) | instskip(SKIP_1) | instid1(VALU_DEP_2)
	v_dual_lshlrev_b32 v31, 24, v23 :: v_dual_lshlrev_b32 v20, 20, v20
	v_lshl_add_u32 v30, v30, 23, 0x3c000000
	v_and_b32_e32 v31, 0x80000000, v31
	s_delay_alu instid0(VALU_DEP_1) | instskip(NEXT) | instid1(VALU_DEP_1)
	v_or3_b32 v20, v20, v31, v30
	v_mov_b64_e32 v[30:31], v[20:21]
.LBB180_23:                             ;   in Loop: Header=BB180_12 Depth=1
	s_or_b32 exec_lo, exec_lo, s44
.LBB180_24:                             ;   in Loop: Header=BB180_12 Depth=1
	s_delay_alu instid0(SALU_CYCLE_1)
	s_or_b32 exec_lo, exec_lo, s43
.LBB180_25:                             ;   in Loop: Header=BB180_12 Depth=1
	s_delay_alu instid0(SALU_CYCLE_1) | instskip(NEXT) | instid1(VALU_DEP_2)
	s_or_b32 exec_lo, exec_lo, s42
	v_lshrrev_b16 v20, 8, v23
	s_mov_b32 s42, exec_lo
	s_delay_alu instid0(VALU_DEP_1)
	v_cmpx_ne_u16_e32 0, v20
	s_cbranch_execz .LBB180_33
; %bb.26:                               ;   in Loop: Header=BB180_12 Depth=1
	v_mov_b64_e32 v[28:29], 0x8000000000000000
	s_mov_b32 s43, exec_lo
	v_cmpx_ne_u16_e32 0x80, v20
	s_cbranch_execz .LBB180_32
; %bb.27:                               ;   in Loop: Header=BB180_12 Depth=1
	v_and_b32_e32 v20, 0xffff, v20
	v_mov_b64_e32 v[28:29], 0x7f80000100000000
	s_mov_b32 s44, exec_lo
	s_delay_alu instid0(VALU_DEP_2) | instskip(NEXT) | instid1(VALU_DEP_1)
	v_and_b32_e32 v34, 0x7f, v20
	v_cmpx_ne_u32_e32 0x7f, v34
	s_cbranch_execz .LBB180_31
; %bb.28:                               ;   in Loop: Header=BB180_12 Depth=1
	v_dual_lshrrev_b32 v28, 3, v34 :: v_dual_bitop2_b32 v20, 7, v20 bitop3:0x40
	s_mov_b32 s45, exec_lo
	v_cmpx_gt_u32_e32 8, v34
; %bb.29:                               ;   in Loop: Header=BB180_12 Depth=1
	s_delay_alu instid0(VALU_DEP_2) | instskip(NEXT) | instid1(VALU_DEP_1)
	v_clz_i32_u32_e32 v28, v20
	v_min_u32_e32 v28, 32, v28
	s_delay_alu instid0(VALU_DEP_1) | instskip(NEXT) | instid1(VALU_DEP_1)
	v_subrev_nc_u32_e32 v29, 28, v28
	v_lshlrev_b64_e32 v[34:35], v29, v[20:21]
	s_delay_alu instid0(VALU_DEP_1)
	v_dual_sub_nc_u32 v28, 29, v28 :: v_dual_bitop2_b32 v20, 7, v34 bitop3:0x40
; %bb.30:                               ;   in Loop: Header=BB180_12 Depth=1
	s_or_b32 exec_lo, exec_lo, s45
	s_delay_alu instid0(VALU_DEP_1) | instskip(NEXT) | instid1(VALU_DEP_2)
	v_dual_lshlrev_b32 v23, 16, v23 :: v_dual_lshlrev_b32 v20, 20, v20
	v_lshl_add_u32 v28, v28, 23, 0x3c000000
	s_delay_alu instid0(VALU_DEP_2) | instskip(NEXT) | instid1(VALU_DEP_1)
	v_and_b32_e32 v23, 0x80000000, v23
	v_or3_b32 v29, v20, v23, v28
	v_mov_b32_e32 v28, v21
.LBB180_31:                             ;   in Loop: Header=BB180_12 Depth=1
	s_or_b32 exec_lo, exec_lo, s44
.LBB180_32:                             ;   in Loop: Header=BB180_12 Depth=1
	s_delay_alu instid0(SALU_CYCLE_1)
	s_or_b32 exec_lo, exec_lo, s43
.LBB180_33:                             ;   in Loop: Header=BB180_12 Depth=1
	s_delay_alu instid0(SALU_CYCLE_1)
	s_or_b32 exec_lo, exec_lo, s42
	global_load_u16 v20, v[32:33], off offset:4
	v_mov_b64_e32 v[34:35], 0
	v_mov_b64_e32 v[36:37], 0
	s_mov_b32 s42, exec_lo
	s_wait_loadcnt 0x0
	v_and_b32_e32 v38, 0xff, v20
	v_and_b32_e32 v23, 0xffff, v20
	s_delay_alu instid0(VALU_DEP_2)
	v_cmpx_ne_u16_e32 0, v38
	s_cbranch_execz .LBB180_41
; %bb.34:                               ;   in Loop: Header=BB180_12 Depth=1
	v_mov_b64_e32 v[36:37], 0x80000000
	s_delay_alu instid0(VALU_DEP_3) | instskip(SKIP_1) | instid1(VALU_DEP_1)
	v_and_b32_e32 v20, 0xff, v23
	s_mov_b32 s43, exec_lo
	v_cmpx_ne_u16_e32 0x80, v20
	s_cbranch_execz .LBB180_40
; %bb.35:                               ;   in Loop: Header=BB180_12 Depth=1
	v_mov_b64_e32 v[36:37], 0x7f800001
	v_and_b32_e32 v38, 0x7f, v23
	s_mov_b32 s44, exec_lo
	s_delay_alu instid0(VALU_DEP_1)
	v_cmpx_ne_u32_e32 0x7f, v38
	s_cbranch_execz .LBB180_39
; %bb.36:                               ;   in Loop: Header=BB180_12 Depth=1
	v_dual_lshrrev_b32 v36, 3, v38 :: v_dual_bitop2_b32 v20, 7, v23 bitop3:0x40
	s_mov_b32 s45, exec_lo
	v_cmpx_gt_u32_e32 8, v38
; %bb.37:                               ;   in Loop: Header=BB180_12 Depth=1
	s_delay_alu instid0(VALU_DEP_2) | instskip(NEXT) | instid1(VALU_DEP_1)
	v_clz_i32_u32_e32 v36, v20
	v_min_u32_e32 v36, 32, v36
	s_delay_alu instid0(VALU_DEP_1) | instskip(NEXT) | instid1(VALU_DEP_1)
	v_subrev_nc_u32_e32 v37, 28, v36
	v_lshlrev_b64_e32 v[38:39], v37, v[20:21]
	s_delay_alu instid0(VALU_DEP_1)
	v_dual_sub_nc_u32 v36, 29, v36 :: v_dual_bitop2_b32 v20, 7, v38 bitop3:0x40
; %bb.38:                               ;   in Loop: Header=BB180_12 Depth=1
	s_or_b32 exec_lo, exec_lo, s45
	s_delay_alu instid0(VALU_DEP_1) | instskip(NEXT) | instid1(VALU_DEP_2)
	v_dual_lshlrev_b32 v37, 24, v23 :: v_dual_lshlrev_b32 v20, 20, v20
	v_lshl_add_u32 v36, v36, 23, 0x3c000000
	s_delay_alu instid0(VALU_DEP_2) | instskip(NEXT) | instid1(VALU_DEP_1)
	v_and_b32_e32 v37, 0x80000000, v37
	v_or3_b32 v20, v20, v37, v36
	s_delay_alu instid0(VALU_DEP_1)
	v_mov_b64_e32 v[36:37], v[20:21]
.LBB180_39:                             ;   in Loop: Header=BB180_12 Depth=1
	s_or_b32 exec_lo, exec_lo, s44
.LBB180_40:                             ;   in Loop: Header=BB180_12 Depth=1
	s_delay_alu instid0(SALU_CYCLE_1)
	s_or_b32 exec_lo, exec_lo, s43
.LBB180_41:                             ;   in Loop: Header=BB180_12 Depth=1
	s_delay_alu instid0(SALU_CYCLE_1) | instskip(NEXT) | instid1(VALU_DEP_2)
	s_or_b32 exec_lo, exec_lo, s42
	v_lshrrev_b16 v20, 8, v23
	s_mov_b32 s42, exec_lo
	s_delay_alu instid0(VALU_DEP_1)
	v_cmpx_ne_u16_e32 0, v20
	s_cbranch_execz .LBB180_49
; %bb.42:                               ;   in Loop: Header=BB180_12 Depth=1
	v_mov_b64_e32 v[34:35], 0x8000000000000000
	s_mov_b32 s43, exec_lo
	v_cmpx_ne_u16_e32 0x80, v20
	s_cbranch_execz .LBB180_48
; %bb.43:                               ;   in Loop: Header=BB180_12 Depth=1
	v_and_b32_e32 v20, 0xffff, v20
	v_mov_b64_e32 v[34:35], 0x7f80000100000000
	s_mov_b32 s44, exec_lo
	s_delay_alu instid0(VALU_DEP_2) | instskip(NEXT) | instid1(VALU_DEP_1)
	v_and_b32_e32 v38, 0x7f, v20
	v_cmpx_ne_u32_e32 0x7f, v38
	s_cbranch_execz .LBB180_47
; %bb.44:                               ;   in Loop: Header=BB180_12 Depth=1
	v_dual_lshrrev_b32 v34, 3, v38 :: v_dual_bitop2_b32 v20, 7, v20 bitop3:0x40
	s_mov_b32 s45, exec_lo
	v_cmpx_gt_u32_e32 8, v38
; %bb.45:                               ;   in Loop: Header=BB180_12 Depth=1
	s_delay_alu instid0(VALU_DEP_2) | instskip(NEXT) | instid1(VALU_DEP_1)
	v_clz_i32_u32_e32 v34, v20
	v_min_u32_e32 v34, 32, v34
	s_delay_alu instid0(VALU_DEP_1) | instskip(SKIP_1) | instid1(VALU_DEP_2)
	v_subrev_nc_u32_e32 v35, 28, v34
	v_sub_nc_u32_e32 v34, 29, v34
	v_lshlrev_b64_e32 v[38:39], v35, v[20:21]
	s_delay_alu instid0(VALU_DEP_1)
	v_and_b32_e32 v20, 7, v38
; %bb.46:                               ;   in Loop: Header=BB180_12 Depth=1
	s_or_b32 exec_lo, exec_lo, s45
	s_delay_alu instid0(VALU_DEP_1) | instskip(SKIP_1) | instid1(VALU_DEP_2)
	v_dual_lshlrev_b32 v23, 16, v23 :: v_dual_lshlrev_b32 v20, 20, v20
	v_lshl_add_u32 v34, v34, 23, 0x3c000000
	v_and_b32_e32 v23, 0x80000000, v23
	s_delay_alu instid0(VALU_DEP_1)
	v_or3_b32 v35, v20, v23, v34
	v_mov_b32_e32 v34, v21
.LBB180_47:                             ;   in Loop: Header=BB180_12 Depth=1
	s_or_b32 exec_lo, exec_lo, s44
.LBB180_48:                             ;   in Loop: Header=BB180_12 Depth=1
	s_delay_alu instid0(SALU_CYCLE_1)
	s_or_b32 exec_lo, exec_lo, s43
.LBB180_49:                             ;   in Loop: Header=BB180_12 Depth=1
	s_delay_alu instid0(SALU_CYCLE_1)
	s_or_b32 exec_lo, exec_lo, s42
	global_load_u16 v20, v[32:33], off offset:8
	v_mov_b64_e32 v[38:39], 0
	v_mov_b64_e32 v[40:41], 0
	s_mov_b32 s42, exec_lo
	s_wait_loadcnt 0x0
	v_and_b32_e32 v42, 0xff, v20
	v_and_b32_e32 v23, 0xffff, v20
	s_delay_alu instid0(VALU_DEP_2)
	v_cmpx_ne_u16_e32 0, v42
	s_cbranch_execz .LBB180_57
; %bb.50:                               ;   in Loop: Header=BB180_12 Depth=1
	v_mov_b64_e32 v[40:41], 0x80000000
	s_delay_alu instid0(VALU_DEP_3) | instskip(SKIP_1) | instid1(VALU_DEP_1)
	v_and_b32_e32 v20, 0xff, v23
	s_mov_b32 s43, exec_lo
	v_cmpx_ne_u16_e32 0x80, v20
	s_cbranch_execz .LBB180_56
; %bb.51:                               ;   in Loop: Header=BB180_12 Depth=1
	v_mov_b64_e32 v[40:41], 0x7f800001
	v_and_b32_e32 v42, 0x7f, v23
	s_mov_b32 s44, exec_lo
	s_delay_alu instid0(VALU_DEP_1)
	v_cmpx_ne_u32_e32 0x7f, v42
	s_cbranch_execz .LBB180_55
; %bb.52:                               ;   in Loop: Header=BB180_12 Depth=1
	v_dual_lshrrev_b32 v40, 3, v42 :: v_dual_bitop2_b32 v20, 7, v23 bitop3:0x40
	s_mov_b32 s45, exec_lo
	v_cmpx_gt_u32_e32 8, v42
; %bb.53:                               ;   in Loop: Header=BB180_12 Depth=1
	s_delay_alu instid0(VALU_DEP_2) | instskip(NEXT) | instid1(VALU_DEP_1)
	v_clz_i32_u32_e32 v40, v20
	v_min_u32_e32 v40, 32, v40
	s_delay_alu instid0(VALU_DEP_1) | instskip(NEXT) | instid1(VALU_DEP_1)
	v_subrev_nc_u32_e32 v41, 28, v40
	v_lshlrev_b64_e32 v[42:43], v41, v[20:21]
	s_delay_alu instid0(VALU_DEP_1)
	v_dual_sub_nc_u32 v40, 29, v40 :: v_dual_bitop2_b32 v20, 7, v42 bitop3:0x40
; %bb.54:                               ;   in Loop: Header=BB180_12 Depth=1
	s_or_b32 exec_lo, exec_lo, s45
	s_delay_alu instid0(VALU_DEP_1) | instskip(NEXT) | instid1(VALU_DEP_2)
	v_dual_lshlrev_b32 v41, 24, v23 :: v_dual_lshlrev_b32 v20, 20, v20
	v_lshl_add_u32 v40, v40, 23, 0x3c000000
	s_delay_alu instid0(VALU_DEP_2) | instskip(NEXT) | instid1(VALU_DEP_1)
	v_and_b32_e32 v41, 0x80000000, v41
	v_or3_b32 v20, v20, v41, v40
	s_delay_alu instid0(VALU_DEP_1)
	v_mov_b64_e32 v[40:41], v[20:21]
.LBB180_55:                             ;   in Loop: Header=BB180_12 Depth=1
	s_or_b32 exec_lo, exec_lo, s44
.LBB180_56:                             ;   in Loop: Header=BB180_12 Depth=1
	s_delay_alu instid0(SALU_CYCLE_1)
	s_or_b32 exec_lo, exec_lo, s43
.LBB180_57:                             ;   in Loop: Header=BB180_12 Depth=1
	s_delay_alu instid0(SALU_CYCLE_1) | instskip(NEXT) | instid1(VALU_DEP_2)
	s_or_b32 exec_lo, exec_lo, s42
	v_lshrrev_b16 v20, 8, v23
	s_mov_b32 s42, exec_lo
	s_delay_alu instid0(VALU_DEP_1)
	v_cmpx_ne_u16_e32 0, v20
	s_cbranch_execz .LBB180_65
; %bb.58:                               ;   in Loop: Header=BB180_12 Depth=1
	v_mov_b64_e32 v[38:39], 0x8000000000000000
	s_mov_b32 s43, exec_lo
	v_cmpx_ne_u16_e32 0x80, v20
	s_cbranch_execz .LBB180_64
; %bb.59:                               ;   in Loop: Header=BB180_12 Depth=1
	v_and_b32_e32 v20, 0xffff, v20
	v_mov_b64_e32 v[38:39], 0x7f80000100000000
	s_mov_b32 s44, exec_lo
	s_delay_alu instid0(VALU_DEP_2) | instskip(NEXT) | instid1(VALU_DEP_1)
	v_and_b32_e32 v42, 0x7f, v20
	v_cmpx_ne_u32_e32 0x7f, v42
	s_cbranch_execz .LBB180_63
; %bb.60:                               ;   in Loop: Header=BB180_12 Depth=1
	v_dual_lshrrev_b32 v38, 3, v42 :: v_dual_bitop2_b32 v20, 7, v20 bitop3:0x40
	s_mov_b32 s45, exec_lo
	v_cmpx_gt_u32_e32 8, v42
; %bb.61:                               ;   in Loop: Header=BB180_12 Depth=1
	s_delay_alu instid0(VALU_DEP_2) | instskip(NEXT) | instid1(VALU_DEP_1)
	v_clz_i32_u32_e32 v38, v20
	v_min_u32_e32 v38, 32, v38
	s_delay_alu instid0(VALU_DEP_1) | instskip(SKIP_1) | instid1(VALU_DEP_2)
	v_subrev_nc_u32_e32 v39, 28, v38
	v_sub_nc_u32_e32 v38, 29, v38
	v_lshlrev_b64_e32 v[42:43], v39, v[20:21]
	s_delay_alu instid0(VALU_DEP_1)
	v_and_b32_e32 v20, 7, v42
; %bb.62:                               ;   in Loop: Header=BB180_12 Depth=1
	s_or_b32 exec_lo, exec_lo, s45
	s_delay_alu instid0(VALU_DEP_1) | instskip(SKIP_1) | instid1(VALU_DEP_2)
	v_dual_lshlrev_b32 v23, 16, v23 :: v_dual_lshlrev_b32 v20, 20, v20
	v_lshl_add_u32 v38, v38, 23, 0x3c000000
	v_and_b32_e32 v23, 0x80000000, v23
	s_delay_alu instid0(VALU_DEP_1)
	v_or3_b32 v39, v20, v23, v38
	v_mov_b32_e32 v38, v21
.LBB180_63:                             ;   in Loop: Header=BB180_12 Depth=1
	s_or_b32 exec_lo, exec_lo, s44
.LBB180_64:                             ;   in Loop: Header=BB180_12 Depth=1
	s_delay_alu instid0(SALU_CYCLE_1)
	s_or_b32 exec_lo, exec_lo, s43
.LBB180_65:                             ;   in Loop: Header=BB180_12 Depth=1
	s_delay_alu instid0(SALU_CYCLE_1)
	s_or_b32 exec_lo, exec_lo, s42
	global_load_u16 v20, v[32:33], off offset:12
	v_mov_b64_e32 v[42:43], 0
	v_mov_b64_e32 v[44:45], 0
	s_mov_b32 s42, exec_lo
	s_wait_loadcnt 0x0
	v_and_b32_e32 v46, 0xff, v20
	v_and_b32_e32 v23, 0xffff, v20
	s_delay_alu instid0(VALU_DEP_2)
	v_cmpx_ne_u16_e32 0, v46
	s_cbranch_execz .LBB180_73
; %bb.66:                               ;   in Loop: Header=BB180_12 Depth=1
	v_mov_b64_e32 v[44:45], 0x80000000
	s_delay_alu instid0(VALU_DEP_3) | instskip(SKIP_1) | instid1(VALU_DEP_1)
	v_and_b32_e32 v20, 0xff, v23
	s_mov_b32 s43, exec_lo
	v_cmpx_ne_u16_e32 0x80, v20
	s_cbranch_execz .LBB180_72
; %bb.67:                               ;   in Loop: Header=BB180_12 Depth=1
	v_mov_b64_e32 v[44:45], 0x7f800001
	v_and_b32_e32 v46, 0x7f, v23
	s_mov_b32 s44, exec_lo
	s_delay_alu instid0(VALU_DEP_1)
	v_cmpx_ne_u32_e32 0x7f, v46
	s_cbranch_execz .LBB180_71
; %bb.68:                               ;   in Loop: Header=BB180_12 Depth=1
	v_dual_lshrrev_b32 v44, 3, v46 :: v_dual_bitop2_b32 v20, 7, v23 bitop3:0x40
	s_mov_b32 s45, exec_lo
	v_cmpx_gt_u32_e32 8, v46
; %bb.69:                               ;   in Loop: Header=BB180_12 Depth=1
	s_delay_alu instid0(VALU_DEP_2) | instskip(NEXT) | instid1(VALU_DEP_1)
	v_clz_i32_u32_e32 v44, v20
	v_min_u32_e32 v44, 32, v44
	s_delay_alu instid0(VALU_DEP_1) | instskip(NEXT) | instid1(VALU_DEP_1)
	v_subrev_nc_u32_e32 v45, 28, v44
	v_lshlrev_b64_e32 v[46:47], v45, v[20:21]
	s_delay_alu instid0(VALU_DEP_1)
	v_dual_sub_nc_u32 v44, 29, v44 :: v_dual_bitop2_b32 v20, 7, v46 bitop3:0x40
; %bb.70:                               ;   in Loop: Header=BB180_12 Depth=1
	s_or_b32 exec_lo, exec_lo, s45
	s_delay_alu instid0(VALU_DEP_1) | instskip(NEXT) | instid1(VALU_DEP_2)
	v_dual_lshlrev_b32 v45, 24, v23 :: v_dual_lshlrev_b32 v20, 20, v20
	v_lshl_add_u32 v44, v44, 23, 0x3c000000
	s_delay_alu instid0(VALU_DEP_2) | instskip(NEXT) | instid1(VALU_DEP_1)
	v_and_b32_e32 v45, 0x80000000, v45
	v_or3_b32 v20, v20, v45, v44
	s_delay_alu instid0(VALU_DEP_1)
	v_mov_b64_e32 v[44:45], v[20:21]
.LBB180_71:                             ;   in Loop: Header=BB180_12 Depth=1
	s_or_b32 exec_lo, exec_lo, s44
.LBB180_72:                             ;   in Loop: Header=BB180_12 Depth=1
	s_delay_alu instid0(SALU_CYCLE_1)
	s_or_b32 exec_lo, exec_lo, s43
.LBB180_73:                             ;   in Loop: Header=BB180_12 Depth=1
	s_delay_alu instid0(SALU_CYCLE_1) | instskip(NEXT) | instid1(VALU_DEP_2)
	s_or_b32 exec_lo, exec_lo, s42
	v_lshrrev_b16 v20, 8, v23
	s_mov_b32 s42, exec_lo
	s_delay_alu instid0(VALU_DEP_1)
	v_cmpx_ne_u16_e32 0, v20
	s_cbranch_execz .LBB180_81
; %bb.74:                               ;   in Loop: Header=BB180_12 Depth=1
	v_mov_b64_e32 v[42:43], 0x8000000000000000
	s_mov_b32 s43, exec_lo
	v_cmpx_ne_u16_e32 0x80, v20
	s_cbranch_execz .LBB180_80
; %bb.75:                               ;   in Loop: Header=BB180_12 Depth=1
	v_and_b32_e32 v20, 0xffff, v20
	v_mov_b64_e32 v[42:43], 0x7f80000100000000
	s_mov_b32 s44, exec_lo
	s_delay_alu instid0(VALU_DEP_2) | instskip(NEXT) | instid1(VALU_DEP_1)
	v_and_b32_e32 v46, 0x7f, v20
	v_cmpx_ne_u32_e32 0x7f, v46
	s_cbranch_execz .LBB180_79
; %bb.76:                               ;   in Loop: Header=BB180_12 Depth=1
	v_dual_lshrrev_b32 v42, 3, v46 :: v_dual_bitop2_b32 v20, 7, v20 bitop3:0x40
	s_mov_b32 s45, exec_lo
	v_cmpx_gt_u32_e32 8, v46
; %bb.77:                               ;   in Loop: Header=BB180_12 Depth=1
	s_delay_alu instid0(VALU_DEP_2) | instskip(NEXT) | instid1(VALU_DEP_1)
	v_clz_i32_u32_e32 v42, v20
	v_min_u32_e32 v42, 32, v42
	s_delay_alu instid0(VALU_DEP_1) | instskip(SKIP_1) | instid1(VALU_DEP_2)
	v_subrev_nc_u32_e32 v43, 28, v42
	v_sub_nc_u32_e32 v42, 29, v42
	v_lshlrev_b64_e32 v[46:47], v43, v[20:21]
	s_delay_alu instid0(VALU_DEP_1)
	v_and_b32_e32 v20, 7, v46
; %bb.78:                               ;   in Loop: Header=BB180_12 Depth=1
	s_or_b32 exec_lo, exec_lo, s45
	s_delay_alu instid0(VALU_DEP_1) | instskip(SKIP_1) | instid1(VALU_DEP_2)
	v_dual_lshlrev_b32 v23, 16, v23 :: v_dual_lshlrev_b32 v20, 20, v20
	v_lshl_add_u32 v42, v42, 23, 0x3c000000
	v_and_b32_e32 v23, 0x80000000, v23
	s_delay_alu instid0(VALU_DEP_1)
	v_or3_b32 v43, v20, v23, v42
	v_mov_b32_e32 v42, v21
.LBB180_79:                             ;   in Loop: Header=BB180_12 Depth=1
	s_or_b32 exec_lo, exec_lo, s44
.LBB180_80:                             ;   in Loop: Header=BB180_12 Depth=1
	s_delay_alu instid0(SALU_CYCLE_1)
	s_or_b32 exec_lo, exec_lo, s43
.LBB180_81:                             ;   in Loop: Header=BB180_12 Depth=1
	s_delay_alu instid0(SALU_CYCLE_1)
	s_or_b32 exec_lo, exec_lo, s42
	global_load_u16 v20, v[32:33], off offset:256
	v_mov_b64_e32 v[46:47], 0
	v_mov_b64_e32 v[48:49], 0
	s_mov_b32 s42, exec_lo
	s_wait_loadcnt 0x0
	v_and_b32_e32 v50, 0xff, v20
	v_and_b32_e32 v23, 0xffff, v20
	s_delay_alu instid0(VALU_DEP_2)
	v_cmpx_ne_u16_e32 0, v50
	s_cbranch_execz .LBB180_89
; %bb.82:                               ;   in Loop: Header=BB180_12 Depth=1
	v_mov_b64_e32 v[48:49], 0x80000000
	s_delay_alu instid0(VALU_DEP_3) | instskip(SKIP_1) | instid1(VALU_DEP_1)
	v_and_b32_e32 v20, 0xff, v23
	s_mov_b32 s43, exec_lo
	v_cmpx_ne_u16_e32 0x80, v20
	s_cbranch_execz .LBB180_88
; %bb.83:                               ;   in Loop: Header=BB180_12 Depth=1
	v_mov_b64_e32 v[48:49], 0x7f800001
	v_and_b32_e32 v50, 0x7f, v23
	s_mov_b32 s44, exec_lo
	s_delay_alu instid0(VALU_DEP_1)
	v_cmpx_ne_u32_e32 0x7f, v50
	s_cbranch_execz .LBB180_87
; %bb.84:                               ;   in Loop: Header=BB180_12 Depth=1
	v_dual_lshrrev_b32 v48, 3, v50 :: v_dual_bitop2_b32 v20, 7, v23 bitop3:0x40
	s_mov_b32 s45, exec_lo
	v_cmpx_gt_u32_e32 8, v50
; %bb.85:                               ;   in Loop: Header=BB180_12 Depth=1
	s_delay_alu instid0(VALU_DEP_2) | instskip(NEXT) | instid1(VALU_DEP_1)
	v_clz_i32_u32_e32 v48, v20
	v_min_u32_e32 v48, 32, v48
	s_delay_alu instid0(VALU_DEP_1) | instskip(NEXT) | instid1(VALU_DEP_1)
	v_subrev_nc_u32_e32 v49, 28, v48
	v_lshlrev_b64_e32 v[50:51], v49, v[20:21]
	s_delay_alu instid0(VALU_DEP_1)
	v_dual_sub_nc_u32 v48, 29, v48 :: v_dual_bitop2_b32 v20, 7, v50 bitop3:0x40
; %bb.86:                               ;   in Loop: Header=BB180_12 Depth=1
	s_or_b32 exec_lo, exec_lo, s45
	s_delay_alu instid0(VALU_DEP_1) | instskip(NEXT) | instid1(VALU_DEP_2)
	v_dual_lshlrev_b32 v49, 24, v23 :: v_dual_lshlrev_b32 v20, 20, v20
	v_lshl_add_u32 v48, v48, 23, 0x3c000000
	s_delay_alu instid0(VALU_DEP_2) | instskip(NEXT) | instid1(VALU_DEP_1)
	v_and_b32_e32 v49, 0x80000000, v49
	v_or3_b32 v20, v20, v49, v48
	s_delay_alu instid0(VALU_DEP_1)
	v_mov_b64_e32 v[48:49], v[20:21]
.LBB180_87:                             ;   in Loop: Header=BB180_12 Depth=1
	s_or_b32 exec_lo, exec_lo, s44
.LBB180_88:                             ;   in Loop: Header=BB180_12 Depth=1
	s_delay_alu instid0(SALU_CYCLE_1)
	s_or_b32 exec_lo, exec_lo, s43
.LBB180_89:                             ;   in Loop: Header=BB180_12 Depth=1
	s_delay_alu instid0(SALU_CYCLE_1) | instskip(NEXT) | instid1(VALU_DEP_2)
	s_or_b32 exec_lo, exec_lo, s42
	v_lshrrev_b16 v20, 8, v23
	s_mov_b32 s42, exec_lo
	s_delay_alu instid0(VALU_DEP_1)
	v_cmpx_ne_u16_e32 0, v20
	s_cbranch_execz .LBB180_97
; %bb.90:                               ;   in Loop: Header=BB180_12 Depth=1
	v_mov_b64_e32 v[46:47], 0x8000000000000000
	s_mov_b32 s43, exec_lo
	v_cmpx_ne_u16_e32 0x80, v20
	s_cbranch_execz .LBB180_96
; %bb.91:                               ;   in Loop: Header=BB180_12 Depth=1
	v_and_b32_e32 v20, 0xffff, v20
	v_mov_b64_e32 v[46:47], 0x7f80000100000000
	s_mov_b32 s44, exec_lo
	s_delay_alu instid0(VALU_DEP_2) | instskip(NEXT) | instid1(VALU_DEP_1)
	v_and_b32_e32 v50, 0x7f, v20
	v_cmpx_ne_u32_e32 0x7f, v50
	s_cbranch_execz .LBB180_95
; %bb.92:                               ;   in Loop: Header=BB180_12 Depth=1
	v_dual_lshrrev_b32 v46, 3, v50 :: v_dual_bitop2_b32 v20, 7, v20 bitop3:0x40
	s_mov_b32 s45, exec_lo
	v_cmpx_gt_u32_e32 8, v50
; %bb.93:                               ;   in Loop: Header=BB180_12 Depth=1
	s_delay_alu instid0(VALU_DEP_2) | instskip(NEXT) | instid1(VALU_DEP_1)
	v_clz_i32_u32_e32 v46, v20
	v_min_u32_e32 v46, 32, v46
	s_delay_alu instid0(VALU_DEP_1) | instskip(SKIP_1) | instid1(VALU_DEP_2)
	v_subrev_nc_u32_e32 v47, 28, v46
	v_sub_nc_u32_e32 v46, 29, v46
	v_lshlrev_b64_e32 v[50:51], v47, v[20:21]
	s_delay_alu instid0(VALU_DEP_1)
	v_and_b32_e32 v20, 7, v50
; %bb.94:                               ;   in Loop: Header=BB180_12 Depth=1
	s_or_b32 exec_lo, exec_lo, s45
	s_delay_alu instid0(VALU_DEP_1) | instskip(SKIP_1) | instid1(VALU_DEP_2)
	v_dual_lshlrev_b32 v23, 16, v23 :: v_dual_lshlrev_b32 v20, 20, v20
	v_lshl_add_u32 v46, v46, 23, 0x3c000000
	v_and_b32_e32 v23, 0x80000000, v23
	s_delay_alu instid0(VALU_DEP_1)
	v_or3_b32 v47, v20, v23, v46
	v_mov_b32_e32 v46, v21
.LBB180_95:                             ;   in Loop: Header=BB180_12 Depth=1
	s_or_b32 exec_lo, exec_lo, s44
.LBB180_96:                             ;   in Loop: Header=BB180_12 Depth=1
	s_delay_alu instid0(SALU_CYCLE_1)
	s_or_b32 exec_lo, exec_lo, s43
.LBB180_97:                             ;   in Loop: Header=BB180_12 Depth=1
	s_delay_alu instid0(SALU_CYCLE_1)
	s_or_b32 exec_lo, exec_lo, s42
	global_load_u16 v20, v[32:33], off offset:260
	v_mov_b64_e32 v[50:51], 0
	v_mov_b64_e32 v[52:53], 0
	s_mov_b32 s42, exec_lo
	s_wait_loadcnt 0x0
	v_and_b32_e32 v54, 0xff, v20
	v_and_b32_e32 v23, 0xffff, v20
	s_delay_alu instid0(VALU_DEP_2)
	v_cmpx_ne_u16_e32 0, v54
	s_cbranch_execz .LBB180_105
; %bb.98:                               ;   in Loop: Header=BB180_12 Depth=1
	v_mov_b64_e32 v[52:53], 0x80000000
	s_delay_alu instid0(VALU_DEP_3) | instskip(SKIP_1) | instid1(VALU_DEP_1)
	v_and_b32_e32 v20, 0xff, v23
	s_mov_b32 s43, exec_lo
	v_cmpx_ne_u16_e32 0x80, v20
	s_cbranch_execz .LBB180_104
; %bb.99:                               ;   in Loop: Header=BB180_12 Depth=1
	v_mov_b64_e32 v[52:53], 0x7f800001
	v_and_b32_e32 v54, 0x7f, v23
	s_mov_b32 s44, exec_lo
	s_delay_alu instid0(VALU_DEP_1)
	v_cmpx_ne_u32_e32 0x7f, v54
	s_cbranch_execz .LBB180_103
; %bb.100:                              ;   in Loop: Header=BB180_12 Depth=1
	v_dual_lshrrev_b32 v52, 3, v54 :: v_dual_bitop2_b32 v20, 7, v23 bitop3:0x40
	s_mov_b32 s45, exec_lo
	v_cmpx_gt_u32_e32 8, v54
; %bb.101:                              ;   in Loop: Header=BB180_12 Depth=1
	s_delay_alu instid0(VALU_DEP_2) | instskip(NEXT) | instid1(VALU_DEP_1)
	v_clz_i32_u32_e32 v52, v20
	v_min_u32_e32 v52, 32, v52
	s_delay_alu instid0(VALU_DEP_1) | instskip(NEXT) | instid1(VALU_DEP_1)
	v_subrev_nc_u32_e32 v53, 28, v52
	v_lshlrev_b64_e32 v[54:55], v53, v[20:21]
	s_delay_alu instid0(VALU_DEP_1)
	v_dual_sub_nc_u32 v52, 29, v52 :: v_dual_bitop2_b32 v20, 7, v54 bitop3:0x40
; %bb.102:                              ;   in Loop: Header=BB180_12 Depth=1
	s_or_b32 exec_lo, exec_lo, s45
	s_delay_alu instid0(VALU_DEP_1) | instskip(NEXT) | instid1(VALU_DEP_2)
	v_dual_lshlrev_b32 v53, 24, v23 :: v_dual_lshlrev_b32 v20, 20, v20
	v_lshl_add_u32 v52, v52, 23, 0x3c000000
	s_delay_alu instid0(VALU_DEP_2) | instskip(NEXT) | instid1(VALU_DEP_1)
	v_and_b32_e32 v53, 0x80000000, v53
	v_or3_b32 v20, v20, v53, v52
	s_delay_alu instid0(VALU_DEP_1)
	v_mov_b64_e32 v[52:53], v[20:21]
.LBB180_103:                            ;   in Loop: Header=BB180_12 Depth=1
	s_or_b32 exec_lo, exec_lo, s44
.LBB180_104:                            ;   in Loop: Header=BB180_12 Depth=1
	s_delay_alu instid0(SALU_CYCLE_1)
	s_or_b32 exec_lo, exec_lo, s43
.LBB180_105:                            ;   in Loop: Header=BB180_12 Depth=1
	s_delay_alu instid0(SALU_CYCLE_1) | instskip(NEXT) | instid1(VALU_DEP_2)
	s_or_b32 exec_lo, exec_lo, s42
	v_lshrrev_b16 v20, 8, v23
	s_mov_b32 s42, exec_lo
	s_delay_alu instid0(VALU_DEP_1)
	v_cmpx_ne_u16_e32 0, v20
	s_cbranch_execz .LBB180_113
; %bb.106:                              ;   in Loop: Header=BB180_12 Depth=1
	v_mov_b64_e32 v[50:51], 0x8000000000000000
	s_mov_b32 s43, exec_lo
	v_cmpx_ne_u16_e32 0x80, v20
	s_cbranch_execz .LBB180_112
; %bb.107:                              ;   in Loop: Header=BB180_12 Depth=1
	v_and_b32_e32 v20, 0xffff, v20
	v_mov_b64_e32 v[50:51], 0x7f80000100000000
	s_mov_b32 s44, exec_lo
	s_delay_alu instid0(VALU_DEP_2) | instskip(NEXT) | instid1(VALU_DEP_1)
	v_and_b32_e32 v54, 0x7f, v20
	v_cmpx_ne_u32_e32 0x7f, v54
	s_cbranch_execz .LBB180_111
; %bb.108:                              ;   in Loop: Header=BB180_12 Depth=1
	v_dual_lshrrev_b32 v50, 3, v54 :: v_dual_bitop2_b32 v20, 7, v20 bitop3:0x40
	s_mov_b32 s45, exec_lo
	v_cmpx_gt_u32_e32 8, v54
; %bb.109:                              ;   in Loop: Header=BB180_12 Depth=1
	s_delay_alu instid0(VALU_DEP_2) | instskip(NEXT) | instid1(VALU_DEP_1)
	v_clz_i32_u32_e32 v50, v20
	v_min_u32_e32 v50, 32, v50
	s_delay_alu instid0(VALU_DEP_1) | instskip(SKIP_1) | instid1(VALU_DEP_2)
	v_subrev_nc_u32_e32 v51, 28, v50
	v_sub_nc_u32_e32 v50, 29, v50
	v_lshlrev_b64_e32 v[54:55], v51, v[20:21]
	s_delay_alu instid0(VALU_DEP_1)
	v_and_b32_e32 v20, 7, v54
; %bb.110:                              ;   in Loop: Header=BB180_12 Depth=1
	s_or_b32 exec_lo, exec_lo, s45
	s_delay_alu instid0(VALU_DEP_1) | instskip(SKIP_1) | instid1(VALU_DEP_2)
	v_dual_lshlrev_b32 v23, 16, v23 :: v_dual_lshlrev_b32 v20, 20, v20
	v_lshl_add_u32 v50, v50, 23, 0x3c000000
	v_and_b32_e32 v23, 0x80000000, v23
	s_delay_alu instid0(VALU_DEP_1)
	v_or3_b32 v51, v20, v23, v50
	v_mov_b32_e32 v50, v21
.LBB180_111:                            ;   in Loop: Header=BB180_12 Depth=1
	s_or_b32 exec_lo, exec_lo, s44
.LBB180_112:                            ;   in Loop: Header=BB180_12 Depth=1
	s_delay_alu instid0(SALU_CYCLE_1)
	s_or_b32 exec_lo, exec_lo, s43
.LBB180_113:                            ;   in Loop: Header=BB180_12 Depth=1
	s_delay_alu instid0(SALU_CYCLE_1)
	s_or_b32 exec_lo, exec_lo, s42
	global_load_u16 v20, v[32:33], off offset:264
	v_mov_b64_e32 v[54:55], 0
	v_mov_b64_e32 v[56:57], 0
	s_mov_b32 s42, exec_lo
	s_wait_loadcnt 0x0
	v_and_b32_e32 v58, 0xff, v20
	v_and_b32_e32 v23, 0xffff, v20
	s_delay_alu instid0(VALU_DEP_2)
	v_cmpx_ne_u16_e32 0, v58
	s_cbranch_execz .LBB180_121
; %bb.114:                              ;   in Loop: Header=BB180_12 Depth=1
	v_mov_b64_e32 v[56:57], 0x80000000
	s_delay_alu instid0(VALU_DEP_3) | instskip(SKIP_1) | instid1(VALU_DEP_1)
	v_and_b32_e32 v20, 0xff, v23
	s_mov_b32 s43, exec_lo
	v_cmpx_ne_u16_e32 0x80, v20
	s_cbranch_execz .LBB180_120
; %bb.115:                              ;   in Loop: Header=BB180_12 Depth=1
	v_mov_b64_e32 v[56:57], 0x7f800001
	v_and_b32_e32 v58, 0x7f, v23
	s_mov_b32 s44, exec_lo
	s_delay_alu instid0(VALU_DEP_1)
	v_cmpx_ne_u32_e32 0x7f, v58
	s_cbranch_execz .LBB180_119
; %bb.116:                              ;   in Loop: Header=BB180_12 Depth=1
	v_dual_lshrrev_b32 v56, 3, v58 :: v_dual_bitop2_b32 v20, 7, v23 bitop3:0x40
	s_mov_b32 s45, exec_lo
	v_cmpx_gt_u32_e32 8, v58
; %bb.117:                              ;   in Loop: Header=BB180_12 Depth=1
	s_delay_alu instid0(VALU_DEP_2) | instskip(NEXT) | instid1(VALU_DEP_1)
	v_clz_i32_u32_e32 v56, v20
	v_min_u32_e32 v56, 32, v56
	s_delay_alu instid0(VALU_DEP_1) | instskip(NEXT) | instid1(VALU_DEP_1)
	v_subrev_nc_u32_e32 v57, 28, v56
	v_lshlrev_b64_e32 v[58:59], v57, v[20:21]
	s_delay_alu instid0(VALU_DEP_1)
	v_dual_sub_nc_u32 v56, 29, v56 :: v_dual_bitop2_b32 v20, 7, v58 bitop3:0x40
; %bb.118:                              ;   in Loop: Header=BB180_12 Depth=1
	s_or_b32 exec_lo, exec_lo, s45
	s_delay_alu instid0(VALU_DEP_1) | instskip(NEXT) | instid1(VALU_DEP_2)
	v_dual_lshlrev_b32 v57, 24, v23 :: v_dual_lshlrev_b32 v20, 20, v20
	v_lshl_add_u32 v56, v56, 23, 0x3c000000
	s_delay_alu instid0(VALU_DEP_2) | instskip(NEXT) | instid1(VALU_DEP_1)
	v_and_b32_e32 v57, 0x80000000, v57
	v_or3_b32 v20, v20, v57, v56
	s_delay_alu instid0(VALU_DEP_1)
	v_mov_b64_e32 v[56:57], v[20:21]
.LBB180_119:                            ;   in Loop: Header=BB180_12 Depth=1
	s_or_b32 exec_lo, exec_lo, s44
.LBB180_120:                            ;   in Loop: Header=BB180_12 Depth=1
	s_delay_alu instid0(SALU_CYCLE_1)
	s_or_b32 exec_lo, exec_lo, s43
.LBB180_121:                            ;   in Loop: Header=BB180_12 Depth=1
	s_delay_alu instid0(SALU_CYCLE_1) | instskip(NEXT) | instid1(VALU_DEP_2)
	s_or_b32 exec_lo, exec_lo, s42
	v_lshrrev_b16 v20, 8, v23
	s_mov_b32 s42, exec_lo
	s_delay_alu instid0(VALU_DEP_1)
	v_cmpx_ne_u16_e32 0, v20
	s_cbranch_execz .LBB180_129
; %bb.122:                              ;   in Loop: Header=BB180_12 Depth=1
	v_mov_b64_e32 v[54:55], 0x8000000000000000
	s_mov_b32 s43, exec_lo
	v_cmpx_ne_u16_e32 0x80, v20
	s_cbranch_execz .LBB180_128
; %bb.123:                              ;   in Loop: Header=BB180_12 Depth=1
	v_and_b32_e32 v20, 0xffff, v20
	v_mov_b64_e32 v[54:55], 0x7f80000100000000
	s_mov_b32 s44, exec_lo
	s_delay_alu instid0(VALU_DEP_2) | instskip(NEXT) | instid1(VALU_DEP_1)
	v_and_b32_e32 v58, 0x7f, v20
	v_cmpx_ne_u32_e32 0x7f, v58
	s_cbranch_execz .LBB180_127
; %bb.124:                              ;   in Loop: Header=BB180_12 Depth=1
	v_dual_lshrrev_b32 v54, 3, v58 :: v_dual_bitop2_b32 v20, 7, v20 bitop3:0x40
	s_mov_b32 s45, exec_lo
	v_cmpx_gt_u32_e32 8, v58
; %bb.125:                              ;   in Loop: Header=BB180_12 Depth=1
	s_delay_alu instid0(VALU_DEP_2) | instskip(NEXT) | instid1(VALU_DEP_1)
	v_clz_i32_u32_e32 v54, v20
	v_min_u32_e32 v54, 32, v54
	s_delay_alu instid0(VALU_DEP_1) | instskip(SKIP_1) | instid1(VALU_DEP_2)
	v_subrev_nc_u32_e32 v55, 28, v54
	v_sub_nc_u32_e32 v54, 29, v54
	v_lshlrev_b64_e32 v[58:59], v55, v[20:21]
	s_delay_alu instid0(VALU_DEP_1)
	v_and_b32_e32 v20, 7, v58
; %bb.126:                              ;   in Loop: Header=BB180_12 Depth=1
	s_or_b32 exec_lo, exec_lo, s45
	s_delay_alu instid0(VALU_DEP_1) | instskip(SKIP_1) | instid1(VALU_DEP_2)
	v_dual_lshlrev_b32 v23, 16, v23 :: v_dual_lshlrev_b32 v20, 20, v20
	v_lshl_add_u32 v54, v54, 23, 0x3c000000
	v_and_b32_e32 v23, 0x80000000, v23
	s_delay_alu instid0(VALU_DEP_1)
	v_or3_b32 v55, v20, v23, v54
	v_mov_b32_e32 v54, v21
.LBB180_127:                            ;   in Loop: Header=BB180_12 Depth=1
	s_or_b32 exec_lo, exec_lo, s44
.LBB180_128:                            ;   in Loop: Header=BB180_12 Depth=1
	s_delay_alu instid0(SALU_CYCLE_1)
	s_or_b32 exec_lo, exec_lo, s43
.LBB180_129:                            ;   in Loop: Header=BB180_12 Depth=1
	s_delay_alu instid0(SALU_CYCLE_1)
	s_or_b32 exec_lo, exec_lo, s42
	global_load_u16 v20, v[32:33], off offset:268
	s_wait_xcnt 0x0
	v_mov_b64_e32 v[32:33], 0
	v_mov_b64_e32 v[58:59], 0
	s_mov_b32 s42, exec_lo
	s_wait_loadcnt 0x0
	v_and_b32_e32 v69, 0xff, v20
	v_and_b32_e32 v23, 0xffff, v20
	s_delay_alu instid0(VALU_DEP_2)
	v_cmpx_ne_u16_e32 0, v69
	s_cbranch_execz .LBB180_137
; %bb.130:                              ;   in Loop: Header=BB180_12 Depth=1
	v_mov_b64_e32 v[58:59], 0x80000000
	s_delay_alu instid0(VALU_DEP_3) | instskip(SKIP_1) | instid1(VALU_DEP_1)
	v_and_b32_e32 v20, 0xff, v23
	s_mov_b32 s43, exec_lo
	v_cmpx_ne_u16_e32 0x80, v20
	s_cbranch_execz .LBB180_136
; %bb.131:                              ;   in Loop: Header=BB180_12 Depth=1
	v_mov_b64_e32 v[58:59], 0x7f800001
	v_and_b32_e32 v69, 0x7f, v23
	s_mov_b32 s44, exec_lo
	s_delay_alu instid0(VALU_DEP_1)
	v_cmpx_ne_u32_e32 0x7f, v69
	s_cbranch_execz .LBB180_135
; %bb.132:                              ;   in Loop: Header=BB180_12 Depth=1
	v_dual_lshrrev_b32 v58, 3, v69 :: v_dual_bitop2_b32 v20, 7, v23 bitop3:0x40
	s_mov_b32 s45, exec_lo
	v_cmpx_gt_u32_e32 8, v69
; %bb.133:                              ;   in Loop: Header=BB180_12 Depth=1
	s_delay_alu instid0(VALU_DEP_2) | instskip(NEXT) | instid1(VALU_DEP_1)
	v_clz_i32_u32_e32 v58, v20
	v_min_u32_e32 v58, 32, v58
	s_delay_alu instid0(VALU_DEP_1) | instskip(SKIP_1) | instid1(VALU_DEP_2)
	v_subrev_nc_u32_e32 v59, 28, v58
	v_sub_nc_u32_e32 v58, 29, v58
	v_lshlrev_b64_e32 v[70:71], v59, v[20:21]
	s_delay_alu instid0(VALU_DEP_1)
	v_and_b32_e32 v20, 7, v70
; %bb.134:                              ;   in Loop: Header=BB180_12 Depth=1
	s_or_b32 exec_lo, exec_lo, s45
	s_delay_alu instid0(VALU_DEP_1) | instskip(SKIP_1) | instid1(VALU_DEP_2)
	v_dual_lshlrev_b32 v59, 24, v23 :: v_dual_lshlrev_b32 v20, 20, v20
	v_lshl_add_u32 v58, v58, 23, 0x3c000000
	v_and_b32_e32 v59, 0x80000000, v59
	s_delay_alu instid0(VALU_DEP_1) | instskip(NEXT) | instid1(VALU_DEP_1)
	v_or3_b32 v20, v20, v59, v58
	v_mov_b64_e32 v[58:59], v[20:21]
.LBB180_135:                            ;   in Loop: Header=BB180_12 Depth=1
	s_or_b32 exec_lo, exec_lo, s44
.LBB180_136:                            ;   in Loop: Header=BB180_12 Depth=1
	s_delay_alu instid0(SALU_CYCLE_1)
	s_or_b32 exec_lo, exec_lo, s43
.LBB180_137:                            ;   in Loop: Header=BB180_12 Depth=1
	s_delay_alu instid0(SALU_CYCLE_1) | instskip(NEXT) | instid1(VALU_DEP_2)
	s_or_b32 exec_lo, exec_lo, s42
	v_lshrrev_b16 v20, 8, v23
	s_mov_b32 s42, exec_lo
	s_delay_alu instid0(VALU_DEP_1)
	v_cmpx_ne_u16_e32 0, v20
	s_cbranch_execz .LBB180_145
; %bb.138:                              ;   in Loop: Header=BB180_12 Depth=1
	v_mov_b64_e32 v[32:33], 0x8000000000000000
	s_mov_b32 s43, exec_lo
	v_cmpx_ne_u16_e32 0x80, v20
	s_cbranch_execz .LBB180_144
; %bb.139:                              ;   in Loop: Header=BB180_12 Depth=1
	v_and_b32_e32 v20, 0xffff, v20
	v_mov_b64_e32 v[32:33], 0x7f80000100000000
	s_mov_b32 s44, exec_lo
	s_delay_alu instid0(VALU_DEP_2) | instskip(NEXT) | instid1(VALU_DEP_1)
	v_and_b32_e32 v69, 0x7f, v20
	v_cmpx_ne_u32_e32 0x7f, v69
	s_cbranch_execz .LBB180_143
; %bb.140:                              ;   in Loop: Header=BB180_12 Depth=1
	v_dual_lshrrev_b32 v32, 3, v69 :: v_dual_bitop2_b32 v20, 7, v20 bitop3:0x40
	s_mov_b32 s45, exec_lo
	v_cmpx_gt_u32_e32 8, v69
; %bb.141:                              ;   in Loop: Header=BB180_12 Depth=1
	s_delay_alu instid0(VALU_DEP_2) | instskip(NEXT) | instid1(VALU_DEP_1)
	v_clz_i32_u32_e32 v32, v20
	v_min_u32_e32 v32, 32, v32
	s_delay_alu instid0(VALU_DEP_1) | instskip(NEXT) | instid1(VALU_DEP_1)
	v_subrev_nc_u32_e32 v33, 28, v32
	v_lshlrev_b64_e32 v[70:71], v33, v[20:21]
	s_delay_alu instid0(VALU_DEP_1)
	v_dual_sub_nc_u32 v32, 29, v32 :: v_dual_bitop2_b32 v20, 7, v70 bitop3:0x40
; %bb.142:                              ;   in Loop: Header=BB180_12 Depth=1
	s_or_b32 exec_lo, exec_lo, s45
	s_delay_alu instid0(VALU_DEP_1) | instskip(NEXT) | instid1(VALU_DEP_2)
	v_dual_lshlrev_b32 v23, 16, v23 :: v_dual_lshlrev_b32 v20, 20, v20
	v_lshl_add_u32 v32, v32, 23, 0x3c000000
	s_delay_alu instid0(VALU_DEP_2) | instskip(NEXT) | instid1(VALU_DEP_1)
	v_and_b32_e32 v23, 0x80000000, v23
	v_or3_b32 v33, v20, v23, v32
	v_mov_b32_e32 v32, v21
.LBB180_143:                            ;   in Loop: Header=BB180_12 Depth=1
	s_or_b32 exec_lo, exec_lo, s44
.LBB180_144:                            ;   in Loop: Header=BB180_12 Depth=1
	s_delay_alu instid0(SALU_CYCLE_1)
	s_or_b32 exec_lo, exec_lo, s43
.LBB180_145:                            ;   in Loop: Header=BB180_12 Depth=1
	s_delay_alu instid0(SALU_CYCLE_1)
	s_or_b32 exec_lo, exec_lo, s42
	v_or_b32_e32 v35, v35, v37
	v_or_b32_e32 v34, v34, v36
	;; [unrolled: 1-line block ×4, first 2 shown]
	s_wait_kmcnt 0x0
	s_delay_alu instid0(VALU_DEP_3) | instskip(NEXT) | instid1(VALU_DEP_2)
	v_pk_mul_f32 v[30:31], s[12:13], v[34:35] op_sel_hi:[0,1]
	v_pk_mul_f32 v[28:29], s[12:13], v[28:29] op_sel_hi:[0,1]
	s_wait_dscnt 0x3
	s_delay_alu instid0(VALU_DEP_2) | instskip(NEXT) | instid1(VALU_DEP_1)
	v_dual_mul_f32 v20, v16, v30 :: v_dual_mul_f32 v23, v17, v31
	v_dual_fmac_f32 v20, v14, v28 :: v_dual_bitop2_b32 v35, v39, v41 bitop3:0x54
	s_delay_alu instid0(VALU_DEP_2) | instskip(NEXT) | instid1(VALU_DEP_1)
	v_dual_fmac_f32 v23, v15, v29 :: v_dual_bitop2_b32 v34, v38, v40 bitop3:0x54
	v_pk_mul_f32 v[30:31], s[12:13], v[34:35] op_sel_hi:[0,1]
	s_wait_dscnt 0x2
	s_delay_alu instid0(VALU_DEP_1) | instskip(NEXT) | instid1(VALU_DEP_2)
	v_dual_fmac_f32 v20, v10, v30 :: v_dual_bitop2_b32 v17, v43, v45 bitop3:0x54
	v_dual_fmac_f32 v23, v11, v31 :: v_dual_bitop2_b32 v16, v42, v44 bitop3:0x54
	s_delay_alu instid0(VALU_DEP_1) | instskip(NEXT) | instid1(VALU_DEP_1)
	v_pk_mul_f32 v[16:17], s[12:13], v[16:17] op_sel_hi:[0,1]
	v_dual_fmac_f32 v20, v12, v16 :: v_dual_bitop2_b32 v15, v47, v49 bitop3:0x54
	s_delay_alu instid0(VALU_DEP_2) | instskip(NEXT) | instid1(VALU_DEP_1)
	v_dual_fmac_f32 v23, v13, v17 :: v_dual_bitop2_b32 v14, v46, v48 bitop3:0x54
	v_pk_mul_f32 v[14:15], s[12:13], v[14:15] op_sel_hi:[0,1]
	s_wait_dscnt 0x1
	s_delay_alu instid0(VALU_DEP_1) | instskip(NEXT) | instid1(VALU_DEP_2)
	v_dual_fmac_f32 v20, v6, v14 :: v_dual_bitop2_b32 v11, v51, v53 bitop3:0x54
	v_dual_fmac_f32 v23, v7, v15 :: v_dual_bitop2_b32 v10, v50, v52 bitop3:0x54
	s_delay_alu instid0(VALU_DEP_1) | instskip(NEXT) | instid1(VALU_DEP_1)
	v_pk_mul_f32 v[10:11], s[12:13], v[10:11] op_sel_hi:[0,1]
	v_dual_fmac_f32 v20, v8, v10 :: v_dual_bitop2_b32 v13, v55, v57 bitop3:0x54
	s_delay_alu instid0(VALU_DEP_2) | instskip(NEXT) | instid1(VALU_DEP_1)
	v_dual_fmac_f32 v23, v9, v11 :: v_dual_bitop2_b32 v12, v54, v56 bitop3:0x54
	v_pk_mul_f32 v[12:13], s[12:13], v[12:13] op_sel_hi:[0,1]
	s_wait_dscnt 0x0
	s_delay_alu instid0(VALU_DEP_1) | instskip(NEXT) | instid1(VALU_DEP_2)
	v_fmac_f32_e32 v23, v3, v13
	v_dual_fmac_f32 v20, v2, v12 :: v_dual_bitop2_b32 v8, 1, v61 bitop3:0x14
	v_or_b32_e32 v7, v33, v59
	s_delay_alu instid0(VALU_DEP_2) | instskip(NEXT) | instid1(VALU_DEP_1)
	v_cmp_gt_i32_e64 s4, 32, v8
	v_dual_cndmask_b32 v2, v61, v8, s4 :: v_dual_bitop2_b32 v6, v32, v58 bitop3:0x54
	s_delay_alu instid0(VALU_DEP_1) | instskip(NEXT) | instid1(VALU_DEP_1)
	v_pk_mul_f32 v[6:7], s[12:13], v[6:7] op_sel_hi:[0,1]
	v_dual_fmac_f32 v20, v4, v6 :: v_dual_fmac_f32 v23, v5, v7
	s_delay_alu instid0(VALU_DEP_1)
	v_dual_add_f32 v2, v20, v23 :: v_dual_lshlrev_b32 v3, 2, v2
	ds_bpermute_b32 v3, v3, v2
	s_and_saveexec_b32 s12, s3
	s_cbranch_execz .LBB180_10
; %bb.146:                              ;   in Loop: Header=BB180_12 Depth=1
	s_wait_dscnt 0x0
	v_dual_add_nc_u32 v4, v65, v22 :: v_dual_add_f32 v2, v2, v3
	s_delay_alu instid0(VALU_DEP_1) | instskip(NEXT) | instid1(VALU_DEP_1)
	v_cvt_f32_i32_e32 v4, v4
	v_mul_f32_e32 v4, s37, v4
	s_delay_alu instid0(VALU_DEP_1) | instskip(NEXT) | instid1(VALU_DEP_1)
	v_cndmask_b32_e32 v3, 0, v4, vcc_lo
	v_fmac_f32_e32 v3, s27, v2
	v_add_nc_u32_e32 v2, v62, v22
	s_delay_alu instid0(VALU_DEP_1) | instskip(NEXT) | instid1(VALU_DEP_1)
	v_cmp_gt_i32_e64 s4, s34, v2
	v_dual_max_num_f32 v4, v64, v64 :: v_dual_cndmask_b32 v2, 0, v3, s4
	s_delay_alu instid0(VALU_DEP_1)
	v_max_num_f32_e32 v4, v4, v3
	ds_store_b32 v66, v2
	v_cndmask_b32_e64 v64, v64, v4, s4
	s_branch .LBB180_10
.LBB180_147:
	s_or_b32 exec_lo, exec_lo, s41
.LBB180_148:
	s_delay_alu instid0(SALU_CYCLE_1)
	s_or_b32 exec_lo, exec_lo, s38
	v_dual_max_num_f32 v5, v64, v64 :: v_dual_bitop2_b32 v2, 16, v61 bitop3:0x14
	s_clause 0x1
	s_load_b64 s[4:5], s[0:1], 0x0
	s_load_b64 s[8:9], s[0:1], 0x18
	v_xor_b32_e32 v4, 8, v61
	v_and_b32_e32 v38, 31, v0
	v_cmp_gt_i32_e32 vcc_lo, 32, v2
	v_cndmask_b32_e32 v2, v61, v2, vcc_lo
	s_delay_alu instid0(VALU_DEP_4) | instskip(NEXT) | instid1(VALU_DEP_2)
	v_cmp_gt_i32_e32 vcc_lo, 32, v4
	v_dual_lshlrev_b32 v2, 2, v2 :: v_dual_cndmask_b32 v4, v61, v4, vcc_lo
	s_wait_dscnt 0x0
	ds_bpermute_b32 v3, v2, v64
	s_wait_dscnt 0x0
	v_dual_max_num_f32 v6, v3, v3 :: v_dual_lshlrev_b32 v3, 2, v4
	s_delay_alu instid0(VALU_DEP_1) | instskip(SKIP_4) | instid1(VALU_DEP_1)
	v_dual_max_num_f32 v5, v5, v6 :: v_dual_bitop2_b32 v6, 4, v61 bitop3:0x14
	ds_bpermute_b32 v4, v3, v5
	v_cmp_gt_i32_e32 vcc_lo, 32, v6
	s_wait_dscnt 0x0
	v_dual_cndmask_b32 v6, v61, v6 :: v_dual_max_num_f32 v7, v4, v4
	v_dual_max_num_f32 v5, v5, v7 :: v_dual_lshlrev_b32 v4, 2, v6
	ds_bpermute_b32 v6, v4, v5
	s_wait_dscnt 0x0
	v_dual_max_num_f32 v6, v6, v6 :: v_dual_bitop2_b32 v7, 2, v61 bitop3:0x14
	s_delay_alu instid0(VALU_DEP_1) | instskip(SKIP_1) | instid1(VALU_DEP_3)
	v_cmp_gt_i32_e32 vcc_lo, 32, v7
	v_cndmask_b32_e32 v7, v61, v7, vcc_lo
	v_dual_max_num_f32 v6, v5, v6 :: v_dual_lshlrev_b32 v5, 2, v1
	v_cmp_eq_u32_e32 vcc_lo, 0, v38
	s_delay_alu instid0(VALU_DEP_3)
	v_lshlrev_b32_e32 v39, 2, v7
	ds_bpermute_b32 v7, v39, v6
	s_wait_xcnt 0x0
	s_and_saveexec_b32 s0, vcc_lo
	s_cbranch_execz .LBB180_150
; %bb.149:
	s_wait_dscnt 0x0
	v_dual_max_num_f32 v7, v7, v7 :: v_dual_max_num_f32 v6, v6, v6
	s_delay_alu instid0(VALU_DEP_1)
	v_max_num_f32_e32 v6, v6, v7
	ds_store_b32 v5, v6 offset:128
.LBB180_150:
	s_or_b32 exec_lo, exec_lo, s0
	v_cmp_gt_u32_e64 s0, 4, v38
	s_wait_dscnt 0x0
	v_dual_mov_b32 v7, 0xff7fffff :: v_dual_lshlrev_b32 v6, 2, v38
	s_barrier_signal -1
	s_barrier_wait -1
	s_and_saveexec_b32 s1, s0
; %bb.151:
	ds_load_b32 v7, v6 offset:128
; %bb.152:
	s_or_b32 exec_lo, exec_lo, s1
	s_wait_dscnt 0x0
	ds_bpermute_b32 v8, v39, v7
	v_dual_max_num_f32 v7, v7, v7 :: v_dual_bitop2_b32 v9, 1, v61 bitop3:0x14
	s_delay_alu instid0(VALU_DEP_1) | instskip(NEXT) | instid1(VALU_DEP_1)
	v_cmp_gt_i32_e64 s1, 32, v9
	v_cndmask_b32_e64 v9, v61, v9, s1
	s_lshl_b32 s1, s26, 4
	s_delay_alu instid0(SALU_CYCLE_1) | instskip(NEXT) | instid1(SALU_CYCLE_1)
	s_min_i32 s12, s1, s34
	v_cmp_gt_i32_e64 s1, s12, v0
	s_wait_dscnt 0x0
	v_dual_max_num_f32 v8, v8, v8 :: v_dual_lshlrev_b32 v40, 2, v9
	s_delay_alu instid0(VALU_DEP_1) | instskip(SKIP_3) | instid1(VALU_DEP_1)
	v_max_num_f32_e32 v7, v7, v8
	ds_bpermute_b32 v8, v40, v7
	s_wait_dscnt 0x0
	v_max_num_f32_e32 v8, v8, v8
	v_dual_max_num_f32 v8, v7, v8 :: v_dual_mov_b32 v7, 0
	ds_bpermute_b32 v8, v7, v8
	s_and_saveexec_b32 s19, s1
	s_cbranch_execz .LBB180_156
; %bb.153:
	v_lshl_add_u32 v9, v0, 2, 0xa0
	v_dual_mov_b32 v7, 0 :: v_dual_mov_b32 v10, v0
	s_mov_b32 s27, 0
.LBB180_154:                            ; =>This Inner Loop Header: Depth=1
	ds_load_b32 v11, v9
	v_add_nc_u32_e32 v10, 0x80, v10
	s_delay_alu instid0(VALU_DEP_1) | instskip(SKIP_3) | instid1(VALU_DEP_1)
	v_cmp_le_i32_e64 s3, s12, v10
	s_or_b32 s27, s3, s27
	s_wait_dscnt 0x0
	v_sub_f32_e32 v11, v11, v8
	v_mul_f32_e32 v11, 0x3fb8aa3b, v11
	s_delay_alu instid0(VALU_DEP_1)
	v_exp_f32_e32 v11, v11
	ds_store_b32 v9, v11
	v_nop
	v_add_f32_e32 v7, v7, v11
	v_add_nc_u32_e32 v9, 0x200, v9
	s_and_not1_b32 exec_lo, exec_lo, s27
	s_cbranch_execnz .LBB180_154
; %bb.155:
	s_or_b32 exec_lo, exec_lo, s27
.LBB180_156:
	s_delay_alu instid0(SALU_CYCLE_1)
	s_or_b32 exec_lo, exec_lo, s19
	ds_bpermute_b32 v2, v2, v7
	s_wait_dscnt 0x0
	v_add_f32_e32 v2, v7, v2
	ds_bpermute_b32 v3, v3, v2
	s_wait_dscnt 0x0
	v_add_f32_e32 v2, v2, v3
	;; [unrolled: 3-line block ×5, first 2 shown]
	s_and_saveexec_b32 s3, vcc_lo
; %bb.157:
	ds_store_b32 v5, v2 offset:144
; %bb.158:
	s_or_b32 exec_lo, exec_lo, s3
	s_wait_dscnt 0x0
	s_barrier_signal -1
	s_barrier_wait -1
	s_and_saveexec_b32 s3, s0
; %bb.159:
	ds_load_b32 v2, v6 offset:144
; %bb.160:
	s_or_b32 exec_lo, exec_lo, s3
	s_wait_dscnt 0x0
	ds_bpermute_b32 v3, v39, v2
	s_wait_dscnt 0x0
	v_dual_mov_b32 v7, 0 :: v_dual_add_f32 v2, v2, v3
	ds_bpermute_b32 v3, v40, v2
	s_wait_dscnt 0x0
	v_add_f32_e32 v2, v2, v3
	ds_bpermute_b32 v2, v7, v2
	s_and_saveexec_b32 s0, s1
	s_cbranch_execz .LBB180_173
; %bb.161:
	s_wait_dscnt 0x0
	v_add_f32_e32 v2, 0x358637bd, v2
	s_mov_b32 s3, -1
	s_mov_b32 s1, exec_lo
	s_delay_alu instid0(VALU_DEP_1) | instskip(NEXT) | instid1(VALU_DEP_1)
	v_div_scale_f32 v3, null, v2, v2, 1.0
	v_rcp_f32_e32 v5, v3
	v_nop
	s_delay_alu instid0(TRANS32_DEP_1) | instskip(NEXT) | instid1(VALU_DEP_1)
	v_fma_f32 v4, -v3, v5, 1.0
	v_fmac_f32_e32 v5, v4, v5
	v_div_scale_f32 v6, vcc_lo, 1.0, v2, 1.0
	s_delay_alu instid0(VALU_DEP_1) | instskip(NEXT) | instid1(VALU_DEP_1)
	v_mul_f32_e32 v8, v6, v5
	v_fma_f32 v4, -v3, v8, v6
	s_delay_alu instid0(VALU_DEP_1) | instskip(SKIP_1) | instid1(VALU_DEP_2)
	v_fmac_f32_e32 v8, v4, v5
	v_xad_u32 v4, v0, -1, s12
	v_fma_f32 v3, -v3, v8, v6
	s_delay_alu instid0(VALU_DEP_1) | instskip(NEXT) | instid1(VALU_DEP_1)
	v_div_fmas_f32 v3, v3, v5, v8
	v_div_fixup_f32 v2, v3, v2, 1.0
	v_mov_b32_e32 v3, v0
	v_cmpx_lt_u32_e32 0x7f, v4
	s_cbranch_execz .LBB180_170
; %bb.162:
	s_delay_alu instid0(VALU_DEP_3) | instskip(NEXT) | instid1(VALU_DEP_1)
	v_dual_mov_b32 v3, v2 :: v_dual_lshrrev_b32 v4, 7, v4
	v_dual_mov_b32 v9, 0 :: v_dual_add_nc_u32 v5, -1, v4
	s_delay_alu instid0(VALU_DEP_1) | instskip(SKIP_1) | instid1(VALU_DEP_2)
	v_lshrrev_b32_e32 v6, 1, v5
	v_cmp_lt_u32_e32 vcc_lo, 13, v5
	v_add_nc_u32_e32 v5, 1, v6
	s_and_saveexec_b32 s3, vcc_lo
	s_cbranch_execz .LBB180_166
; %bb.163:
	s_delay_alu instid0(VALU_DEP_1)
	v_and_b32_e32 v6, -8, v5
	v_lshl_add_u32 v8, v0, 2, 0xa0
	s_mov_b32 s19, 0
	s_mov_b32 s27, 0
.LBB180_164:                            ; =>This Inner Loop Header: Depth=1
	ds_load_2addr_stride64_b32 v[10:11], v8 offset1:2
	ds_load_2addr_stride64_b32 v[12:13], v8 offset0:4 offset1:6
	ds_load_2addr_stride64_b32 v[14:15], v8 offset0:8 offset1:10
	;; [unrolled: 1-line block ×7, first 2 shown]
	s_add_co_i32 s27, s27, 16
	s_delay_alu instid0(SALU_CYCLE_1) | instskip(NEXT) | instid1(VALU_DEP_1)
	v_dual_mov_b32 v9, s27 :: v_dual_add_nc_u32 v6, -8, v6
	v_cmp_eq_u32_e32 vcc_lo, 0, v6
	s_or_b32 s19, vcc_lo, s19
	s_wait_dscnt 0x7
	v_pk_mul_f32 v[10:11], v[2:3], v[10:11]
	s_wait_dscnt 0x6
	v_pk_mul_f32 v[12:13], v[2:3], v[12:13]
	s_wait_dscnt 0x5
	v_pk_mul_f32 v[14:15], v[2:3], v[14:15]
	s_wait_dscnt 0x4
	v_pk_mul_f32 v[16:17], v[2:3], v[16:17]
	s_wait_dscnt 0x3
	v_pk_mul_f32 v[20:21], v[2:3], v[20:21]
	s_wait_dscnt 0x2
	v_pk_mul_f32 v[22:23], v[2:3], v[22:23]
	s_wait_dscnt 0x1
	v_pk_mul_f32 v[24:25], v[2:3], v[24:25]
	s_wait_dscnt 0x0
	v_pk_mul_f32 v[26:27], v[2:3], v[26:27]
	ds_store_2addr_stride64_b32 v8, v10, v11 offset1:2
	ds_store_2addr_stride64_b32 v8, v12, v13 offset0:4 offset1:6
	ds_store_2addr_stride64_b32 v8, v14, v15 offset0:8 offset1:10
	;; [unrolled: 1-line block ×7, first 2 shown]
	v_add_nc_u32_e32 v8, 0x2000, v8
	s_and_not1_b32 exec_lo, exec_lo, s19
	s_cbranch_execnz .LBB180_164
; %bb.165:
	s_or_b32 exec_lo, exec_lo, s19
.LBB180_166:
	s_delay_alu instid0(SALU_CYCLE_1) | instskip(NEXT) | instid1(VALU_DEP_1)
	s_or_b32 exec_lo, exec_lo, s3
	v_and_b32_e32 v5, 7, v5
	s_mov_b32 s19, 0
	s_mov_b32 s3, exec_lo
	s_delay_alu instid0(VALU_DEP_1)
	v_cmpx_ne_u32_e32 0, v5
	s_cbranch_execz .LBB180_169
; %bb.167:
	v_lshlrev_b32_e32 v6, 9, v9
	s_delay_alu instid0(VALU_DEP_1)
	v_add3_u32 v6, v6, v19, 0xa0
.LBB180_168:                            ; =>This Inner Loop Header: Depth=1
	ds_load_2addr_stride64_b32 v[8:9], v6 offset1:2
	v_add_nc_u32_e32 v5, -1, v5
	s_delay_alu instid0(VALU_DEP_1)
	v_cmp_eq_u32_e32 vcc_lo, 0, v5
	s_or_b32 s19, vcc_lo, s19
	s_wait_dscnt 0x0
	v_pk_mul_f32 v[8:9], v[2:3], v[8:9]
	ds_store_2addr_stride64_b32 v6, v8, v9 offset1:2
	v_add_nc_u32_e32 v6, 0x400, v6
	s_and_not1_b32 exec_lo, exec_lo, s19
	s_cbranch_execnz .LBB180_168
.LBB180_169:
	s_or_b32 exec_lo, exec_lo, s3
	v_add_nc_u32_e32 v3, 1, v4
	s_delay_alu instid0(VALU_DEP_1) | instskip(NEXT) | instid1(VALU_DEP_1)
	v_and_b32_e32 v4, 0x3fffffe, v3
	v_cmp_ne_u32_e32 vcc_lo, v3, v4
	v_lshl_add_u32 v3, v4, 7, v0
	s_or_not1_b32 s3, vcc_lo, exec_lo
.LBB180_170:
	s_or_b32 exec_lo, exec_lo, s1
	s_delay_alu instid0(SALU_CYCLE_1)
	s_and_b32 exec_lo, exec_lo, s3
	s_cbranch_execz .LBB180_173
; %bb.171:
	v_lshl_add_u32 v4, v3, 2, 0xa0
	s_mov_b32 s1, 0
.LBB180_172:                            ; =>This Inner Loop Header: Depth=1
	ds_load_b32 v5, v4
	v_add_nc_u32_e32 v3, 0x80, v3
	s_delay_alu instid0(VALU_DEP_1)
	v_cmp_le_i32_e32 vcc_lo, s12, v3
	s_or_b32 s1, vcc_lo, s1
	s_wait_dscnt 0x0
	v_mul_f32_e32 v5, v2, v5
	ds_store_b32 v4, v5
	v_add_nc_u32_e32 v4, 0x200, v4
	s_and_not1_b32 exec_lo, exec_lo, s1
	s_cbranch_execnz .LBB180_172
.LBB180_173:
	s_or_b32 exec_lo, exec_lo, s0
	v_dual_mov_b32 v6, 0 :: v_dual_bitop2_b32 v41, 3, v0 bitop3:0x40
	v_dual_mov_b32 v9, 0 :: v_dual_mov_b32 v8, 0
	s_wait_dscnt 0x0
	s_barrier_signal -1
	s_barrier_wait -1
	s_and_saveexec_b32 s1, s2
	s_cbranch_execz .LBB180_315
; %bb.174:
	s_abs_i32 s12, s14
	v_dual_mov_b32 v11, 0 :: v_dual_bitop2_b32 v42, 12, v19 bitop3:0x40
	s_cvt_f32_u32 s0, s12
	v_and_b32_e32 v10, 0x7c, v19
	s_ashr_i32 s19, s18, 31
	v_dual_lshlrev_b32 v3, 4, v41 :: v_dual_mov_b32 v43, v1
	v_rcp_iflag_f32_e32 v2, s0
	s_wait_kmcnt 0x0
	s_add_nc_u64 s[8:9], s[8:9], s[18:19]
	s_lshl_b64 s[24:25], s[24:25], 2
	v_add_nc_u64_e32 v[12:13], s[8:9], v[10:11]
	v_and_b32_e32 v10, 0x7c, v60
	s_add_nc_u64 s[8:9], s[22:23], s[24:25]
	s_sub_co_i32 s2, 0, s12
	v_readfirstlane_b32 s0, v2
	v_lshl_or_b32 v2, v1, 6, v3
	v_add_nc_u64_e32 v[14:15], s[8:9], v[10:11]
	v_dual_mov_b32 v8, 0 :: v_dual_mov_b32 v9, 0
	s_mul_f32 s0, s0, 0x4f7ffffe
	s_delay_alu instid0(VALU_DEP_3) | instskip(SKIP_1) | instid1(SALU_CYCLE_1)
	v_dual_mov_b32 v7, 0 :: v_dual_add_nc_u32 v44, 0xa0, v2
	v_mov_b32_e32 v6, 0
	s_cvt_u32_f32 s0, s0
	s_mov_b32 s3, 0
	s_sub_co_i32 s13, s36, s13
	s_mov_b32 s14, s17
	s_mul_i32 s2, s2, s0
	s_add_co_i32 s17, s26, -1
	s_mul_hi_u32 s2, s0, s2
	s_mov_b32 s18, s34
	s_add_co_i32 s2, s0, s2
	s_mov_b32 s19, s3
	s_branch .LBB180_177
.LBB180_175:                            ;   in Loop: Header=BB180_177 Depth=1
	s_or_b32 exec_lo, exec_lo, s0
	s_wait_dscnt 0x0
	v_dual_mul_f32 v10, v2, v30 :: v_dual_mul_f32 v20, v2, v20
	v_mul_f32_e32 v19, v2, v26
	v_pk_mul_f32 v[22:23], v[2:3], v[22:23]
	v_pk_mul_f32 v[32:33], v[4:5], v[32:33]
	s_delay_alu instid0(VALU_DEP_4) | instskip(NEXT) | instid1(VALU_DEP_4)
	v_dual_fmac_f32 v10, v3, v31 :: v_dual_fmac_f32 v20, v3, v21
	v_fmac_f32_e32 v19, v3, v27
	s_delay_alu instid0(VALU_DEP_2) | instskip(NEXT) | instid1(VALU_DEP_1)
	v_dual_add_f32 v2, v23, v22 :: v_dual_fmac_f32 v10, v4, v28
	v_dual_fmac_f32 v19, v4, v24 :: v_dual_fmac_f32 v10, v5, v29
	s_delay_alu instid0(VALU_DEP_1) | instskip(NEXT) | instid1(VALU_DEP_3)
	v_dual_fmac_f32 v20, v4, v16 :: v_dual_fmac_f32 v19, v5, v25
	v_add_f32_e32 v2, v32, v2
	s_delay_alu instid0(VALU_DEP_2) | instskip(NEXT) | instid1(VALU_DEP_3)
	v_dual_add_f32 v6, v6, v10 :: v_dual_fmac_f32 v20, v5, v17
	v_add_f32_e32 v9, v9, v19
	s_delay_alu instid0(VALU_DEP_2) | instskip(NEXT) | instid1(VALU_DEP_1)
	v_dual_add_f32 v2, v33, v2 :: v_dual_add_f32 v8, v8, v20
	v_add_f32_e32 v7, v7, v2
.LBB180_176:                            ;   in Loop: Header=BB180_177 Depth=1
	s_or_b32 exec_lo, exec_lo, s22
	v_dual_add_nc_u32 v43, 4, v43 :: v_dual_add_nc_u32 v18, 64, v18
	v_add_nc_u64_e32 v[14:15], 16, v[14:15]
	v_add_nc_u32_e32 v44, 0x100, v44
	s_delay_alu instid0(VALU_DEP_3) | instskip(SKIP_1) | instid1(SALU_CYCLE_1)
	v_cmp_le_i32_e32 vcc_lo, s26, v43
	s_or_b32 s19, vcc_lo, s19
	s_and_not1_b32 exec_lo, exec_lo, s19
	s_cbranch_execz .LBB180_314
.LBB180_177:                            ; =>This Inner Loop Header: Depth=1
	v_mov_b32_e32 v19, v11
	s_delay_alu instid0(VALU_DEP_1) | instskip(NEXT) | instid1(VALU_DEP_1)
	v_mul_u64_e32 v[2:3], s[20:21], v[18:19]
	v_mul_lo_u32 v2, v3, s16
	s_delay_alu instid0(VALU_DEP_1) | instskip(NEXT) | instid1(VALU_DEP_1)
	v_sub_nc_u32_e32 v2, v18, v2
	v_subrev_nc_u32_e32 v5, s16, v2
	v_cmp_le_u32_e32 vcc_lo, s16, v2
	s_delay_alu instid0(VALU_DEP_2) | instskip(NEXT) | instid1(VALU_DEP_1)
	v_dual_add_nc_u32 v4, 1, v3 :: v_dual_cndmask_b32 v2, v2, v5, vcc_lo
	v_cndmask_b32_e32 v3, v3, v4, vcc_lo
	s_delay_alu instid0(VALU_DEP_2) | instskip(NEXT) | instid1(VALU_DEP_2)
	v_cmp_le_u32_e32 vcc_lo, s16, v2
	v_add_nc_u32_e32 v4, 1, v3
	s_delay_alu instid0(VALU_DEP_1) | instskip(NEXT) | instid1(VALU_DEP_1)
	v_cndmask_b32_e32 v2, v3, v4, vcc_lo
	v_xor_b32_e32 v2, s15, v2
	s_delay_alu instid0(VALU_DEP_1) | instskip(NEXT) | instid1(VALU_DEP_1)
	v_subrev_nc_u32_e32 v4, s15, v2
	v_add_nc_u32_e32 v5, s35, v4
	v_cmp_lt_i32_e64 s0, s13, v4
	s_delay_alu instid0(VALU_DEP_2) | instskip(NEXT) | instid1(VALU_DEP_1)
	v_sub_nc_u32_e32 v2, 0, v5
	v_dual_ashrrev_i32 v5, 31, v5 :: v_dual_max_i32 v10, v5, v2
	s_delay_alu instid0(VALU_DEP_1) | instskip(NEXT) | instid1(VALU_DEP_1)
	v_mul_u64_e32 v[2:3], s[2:3], v[10:11]
	v_mul_lo_u32 v2, v3, s12
	s_delay_alu instid0(VALU_DEP_1) | instskip(NEXT) | instid1(VALU_DEP_1)
	v_sub_nc_u32_e32 v2, v10, v2
	v_subrev_nc_u32_e32 v3, s12, v2
	v_cmp_le_u32_e32 vcc_lo, s12, v2
	s_delay_alu instid0(VALU_DEP_2) | instskip(NEXT) | instid1(VALU_DEP_1)
	v_cndmask_b32_e32 v2, v2, v3, vcc_lo
	v_subrev_nc_u32_e32 v3, s12, v2
	v_cmp_le_u32_e32 vcc_lo, s12, v2
	s_delay_alu instid0(VALU_DEP_2) | instskip(NEXT) | instid1(VALU_DEP_1)
	v_cndmask_b32_e32 v2, v2, v3, vcc_lo
	v_xor_b32_e32 v2, v2, v5
	s_delay_alu instid0(VALU_DEP_1) | instskip(NEXT) | instid1(VALU_DEP_1)
	v_sub_nc_u32_e32 v2, v2, v5
	v_cmp_eq_u32_e32 vcc_lo, 0, v2
	s_or_b32 s0, vcc_lo, s0
	s_delay_alu instid0(SALU_CYCLE_1)
	s_and_saveexec_b32 s22, s0
	s_cbranch_execz .LBB180_176
; %bb.178:                              ;   in Loop: Header=BB180_177 Depth=1
	global_load_b32 v2, v[14:15], off
	s_load_b32 s8, s[10:11], 0x0
	v_mov_b64_e32 v[16:17], 0
	v_mov_b64_e32 v[20:21], 0
	s_mov_b32 s0, exec_lo
	s_wait_loadcnt 0x0
	v_mad_nc_i64_i32 v[22:23], v2, s14, v[12:13]
	ds_load_b128 v[2:5], v44
	global_load_b32 v19, v[22:23], off
	s_wait_loadcnt 0x0
	v_and_b32_e32 v10, 0xff, v19
	s_delay_alu instid0(VALU_DEP_1)
	v_cmpx_ne_u16_e32 0, v10
	s_cbranch_execz .LBB180_186
; %bb.179:                              ;   in Loop: Header=BB180_177 Depth=1
	v_mov_b64_e32 v[20:21], 0x80000000
	s_mov_b32 s9, exec_lo
	v_cmpx_ne_u16_e32 0x80, v10
	s_cbranch_execz .LBB180_185
; %bb.180:                              ;   in Loop: Header=BB180_177 Depth=1
	v_mov_b64_e32 v[20:21], 0x7f800001
	v_and_b32_e32 v24, 0x7f, v19
	s_mov_b32 s23, exec_lo
	s_delay_alu instid0(VALU_DEP_1)
	v_cmpx_ne_u32_e32 0x7f, v24
	s_cbranch_execz .LBB180_184
; %bb.181:                              ;   in Loop: Header=BB180_177 Depth=1
	v_dual_lshrrev_b32 v20, 3, v24 :: v_dual_bitop2_b32 v10, 7, v19 bitop3:0x40
	s_mov_b32 s24, exec_lo
	v_cmpx_gt_u32_e32 8, v24
; %bb.182:                              ;   in Loop: Header=BB180_177 Depth=1
	s_delay_alu instid0(VALU_DEP_2) | instskip(NEXT) | instid1(VALU_DEP_1)
	v_clz_i32_u32_e32 v20, v10
	v_min_u32_e32 v20, 32, v20
	s_delay_alu instid0(VALU_DEP_1) | instskip(SKIP_1) | instid1(VALU_DEP_2)
	v_subrev_nc_u32_e32 v21, 28, v20
	v_sub_nc_u32_e32 v20, 29, v20
	v_lshlrev_b64_e32 v[24:25], v21, v[10:11]
	s_delay_alu instid0(VALU_DEP_1)
	v_and_b32_e32 v10, 7, v24
; %bb.183:                              ;   in Loop: Header=BB180_177 Depth=1
	s_or_b32 exec_lo, exec_lo, s24
	s_delay_alu instid0(VALU_DEP_1) | instskip(SKIP_1) | instid1(VALU_DEP_2)
	v_dual_lshlrev_b32 v21, 24, v19 :: v_dual_lshlrev_b32 v10, 20, v10
	v_lshl_add_u32 v20, v20, 23, 0x3c000000
	v_and_b32_e32 v21, 0x80000000, v21
	s_delay_alu instid0(VALU_DEP_1) | instskip(NEXT) | instid1(VALU_DEP_1)
	v_or3_b32 v10, v10, v21, v20
	v_mov_b64_e32 v[20:21], v[10:11]
.LBB180_184:                            ;   in Loop: Header=BB180_177 Depth=1
	s_or_b32 exec_lo, exec_lo, s23
.LBB180_185:                            ;   in Loop: Header=BB180_177 Depth=1
	s_delay_alu instid0(SALU_CYCLE_1)
	s_or_b32 exec_lo, exec_lo, s9
.LBB180_186:                            ;   in Loop: Header=BB180_177 Depth=1
	s_delay_alu instid0(SALU_CYCLE_1) | instskip(SKIP_2) | instid1(VALU_DEP_1)
	s_or_b32 exec_lo, exec_lo, s0
	v_lshrrev_b16 v10, 8, v19
	s_mov_b32 s0, exec_lo
	v_cmpx_ne_u16_e32 0, v10
	s_cbranch_execz .LBB180_194
; %bb.187:                              ;   in Loop: Header=BB180_177 Depth=1
	v_mov_b64_e32 v[16:17], 0x8000000000000000
	s_mov_b32 s9, exec_lo
	v_cmpx_ne_u16_e32 0x80, v10
	s_cbranch_execz .LBB180_193
; %bb.188:                              ;   in Loop: Header=BB180_177 Depth=1
	v_and_b32_e32 v10, 0xffff, v10
	v_mov_b64_e32 v[16:17], 0x7f80000100000000
	s_mov_b32 s23, exec_lo
	s_delay_alu instid0(VALU_DEP_2) | instskip(NEXT) | instid1(VALU_DEP_1)
	v_and_b32_e32 v24, 0x7f, v10
	v_cmpx_ne_u32_e32 0x7f, v24
	s_cbranch_execz .LBB180_192
; %bb.189:                              ;   in Loop: Header=BB180_177 Depth=1
	v_dual_lshrrev_b32 v16, 3, v24 :: v_dual_bitop2_b32 v10, 7, v10 bitop3:0x40
	s_mov_b32 s24, exec_lo
	v_cmpx_gt_u32_e32 8, v24
; %bb.190:                              ;   in Loop: Header=BB180_177 Depth=1
	s_delay_alu instid0(VALU_DEP_2) | instskip(NEXT) | instid1(VALU_DEP_1)
	v_clz_i32_u32_e32 v16, v10
	v_min_u32_e32 v16, 32, v16
	s_delay_alu instid0(VALU_DEP_1) | instskip(SKIP_1) | instid1(VALU_DEP_2)
	v_subrev_nc_u32_e32 v17, 28, v16
	v_sub_nc_u32_e32 v16, 29, v16
	v_lshlrev_b64_e32 v[24:25], v17, v[10:11]
	s_delay_alu instid0(VALU_DEP_1)
	v_and_b32_e32 v10, 7, v24
; %bb.191:                              ;   in Loop: Header=BB180_177 Depth=1
	s_or_b32 exec_lo, exec_lo, s24
	s_delay_alu instid0(VALU_DEP_1) | instskip(SKIP_1) | instid1(VALU_DEP_2)
	v_dual_lshlrev_b32 v17, 16, v19 :: v_dual_lshlrev_b32 v10, 20, v10
	v_lshl_add_u32 v16, v16, 23, 0x3c000000
	v_and_b32_e32 v17, 0x80000000, v17
	s_delay_alu instid0(VALU_DEP_1)
	v_or3_b32 v17, v10, v17, v16
	v_mov_b32_e32 v16, v11
.LBB180_192:                            ;   in Loop: Header=BB180_177 Depth=1
	s_or_b32 exec_lo, exec_lo, s23
.LBB180_193:                            ;   in Loop: Header=BB180_177 Depth=1
	s_delay_alu instid0(SALU_CYCLE_1)
	s_or_b32 exec_lo, exec_lo, s9
.LBB180_194:                            ;   in Loop: Header=BB180_177 Depth=1
	s_delay_alu instid0(SALU_CYCLE_1) | instskip(SKIP_4) | instid1(VALU_DEP_3)
	s_or_b32 exec_lo, exec_lo, s0
	v_lshrrev_b32_e32 v28, 16, v19
	v_mov_b64_e32 v[24:25], 0
	v_mov_b64_e32 v[26:27], 0
	s_mov_b32 s0, exec_lo
	v_and_b32_e32 v10, 0xff, v28
	s_delay_alu instid0(VALU_DEP_1)
	v_cmpx_ne_u16_e32 0, v10
	s_cbranch_execz .LBB180_202
; %bb.195:                              ;   in Loop: Header=BB180_177 Depth=1
	v_mov_b64_e32 v[26:27], 0x80000000
	s_mov_b32 s9, exec_lo
	v_cmpx_ne_u16_e32 0x80, v10
	s_cbranch_execz .LBB180_201
; %bb.196:                              ;   in Loop: Header=BB180_177 Depth=1
	v_mov_b64_e32 v[26:27], 0x7f800001
	v_bfe_u32 v29, v19, 16, 7
	s_mov_b32 s23, exec_lo
	s_delay_alu instid0(VALU_DEP_1)
	v_cmpx_ne_u32_e32 0x7f, v29
	s_cbranch_execz .LBB180_200
; %bb.197:                              ;   in Loop: Header=BB180_177 Depth=1
	v_dual_lshrrev_b32 v26, 3, v29 :: v_dual_bitop2_b32 v10, 7, v28 bitop3:0x40
	s_mov_b32 s24, exec_lo
	v_cmpx_gt_u32_e32 8, v29
; %bb.198:                              ;   in Loop: Header=BB180_177 Depth=1
	s_delay_alu instid0(VALU_DEP_2) | instskip(NEXT) | instid1(VALU_DEP_1)
	v_clz_i32_u32_e32 v26, v10
	v_min_u32_e32 v26, 32, v26
	s_delay_alu instid0(VALU_DEP_1) | instskip(SKIP_1) | instid1(VALU_DEP_2)
	v_subrev_nc_u32_e32 v27, 28, v26
	v_sub_nc_u32_e32 v26, 29, v26
	v_lshlrev_b64_e32 v[30:31], v27, v[10:11]
	s_delay_alu instid0(VALU_DEP_1)
	v_and_b32_e32 v10, 7, v30
; %bb.199:                              ;   in Loop: Header=BB180_177 Depth=1
	s_or_b32 exec_lo, exec_lo, s24
	s_delay_alu instid0(VALU_DEP_1) | instskip(SKIP_1) | instid1(VALU_DEP_2)
	v_dual_lshlrev_b32 v27, 24, v28 :: v_dual_lshlrev_b32 v10, 20, v10
	v_lshl_add_u32 v26, v26, 23, 0x3c000000
	v_and_b32_e32 v27, 0x80000000, v27
	s_delay_alu instid0(VALU_DEP_1) | instskip(NEXT) | instid1(VALU_DEP_1)
	v_or3_b32 v10, v10, v27, v26
	v_mov_b64_e32 v[26:27], v[10:11]
.LBB180_200:                            ;   in Loop: Header=BB180_177 Depth=1
	s_or_b32 exec_lo, exec_lo, s23
.LBB180_201:                            ;   in Loop: Header=BB180_177 Depth=1
	s_delay_alu instid0(SALU_CYCLE_1)
	s_or_b32 exec_lo, exec_lo, s9
.LBB180_202:                            ;   in Loop: Header=BB180_177 Depth=1
	s_delay_alu instid0(SALU_CYCLE_1) | instskip(NEXT) | instid1(SALU_CYCLE_1)
	s_or_b32 exec_lo, exec_lo, s0
	s_mov_b32 s0, exec_lo
	v_cmpx_lt_u32_e32 0xffffff, v19
	s_cbranch_execz .LBB180_210
; %bb.203:                              ;   in Loop: Header=BB180_177 Depth=1
	v_mov_b64_e32 v[24:25], 0x8000000000000000
	v_lshrrev_b32_e32 v28, 24, v19
	s_mov_b32 s9, exec_lo
	s_delay_alu instid0(VALU_DEP_1)
	v_cmpx_ne_u32_e32 0x80, v28
	s_cbranch_execz .LBB180_209
; %bb.204:                              ;   in Loop: Header=BB180_177 Depth=1
	v_mov_b64_e32 v[24:25], 0x7f80000100000000
	v_bfe_u32 v29, v19, 24, 7
	s_mov_b32 s23, exec_lo
	s_delay_alu instid0(VALU_DEP_1)
	v_cmpx_ne_u32_e32 0x7f, v29
	s_cbranch_execz .LBB180_208
; %bb.205:                              ;   in Loop: Header=BB180_177 Depth=1
	v_dual_lshrrev_b32 v19, 3, v29 :: v_dual_bitop2_b32 v10, 7, v28 bitop3:0x40
	s_mov_b32 s24, exec_lo
	v_cmpx_gt_u32_e32 8, v29
; %bb.206:                              ;   in Loop: Header=BB180_177 Depth=1
	s_delay_alu instid0(VALU_DEP_2) | instskip(NEXT) | instid1(VALU_DEP_1)
	v_clz_i32_u32_e32 v19, v10
	v_min_u32_e32 v19, 32, v19
	s_delay_alu instid0(VALU_DEP_1) | instskip(NEXT) | instid1(VALU_DEP_1)
	v_subrev_nc_u32_e32 v24, 28, v19
	v_lshlrev_b64_e32 v[24:25], v24, v[10:11]
	s_delay_alu instid0(VALU_DEP_1)
	v_dual_sub_nc_u32 v19, 29, v19 :: v_dual_bitop2_b32 v10, 7, v24 bitop3:0x40
; %bb.207:                              ;   in Loop: Header=BB180_177 Depth=1
	s_or_b32 exec_lo, exec_lo, s24
	s_delay_alu instid0(VALU_DEP_1) | instskip(NEXT) | instid1(VALU_DEP_2)
	v_dual_lshlrev_b32 v24, 24, v28 :: v_dual_lshlrev_b32 v10, 20, v10
	v_lshl_add_u32 v19, v19, 23, 0x3c000000
	s_delay_alu instid0(VALU_DEP_2) | instskip(NEXT) | instid1(VALU_DEP_1)
	v_and_b32_e32 v24, 0x80000000, v24
	v_or3_b32 v25, v10, v24, v19
	v_mov_b32_e32 v24, v11
.LBB180_208:                            ;   in Loop: Header=BB180_177 Depth=1
	s_or_b32 exec_lo, exec_lo, s23
.LBB180_209:                            ;   in Loop: Header=BB180_177 Depth=1
	s_delay_alu instid0(SALU_CYCLE_1)
	s_or_b32 exec_lo, exec_lo, s9
.LBB180_210:                            ;   in Loop: Header=BB180_177 Depth=1
	s_delay_alu instid0(SALU_CYCLE_1)
	s_or_b32 exec_lo, exec_lo, s0
	v_dual_add_nc_u32 v19, v42, v18 :: v_dual_bitop2_b32 v17, v17, v21 bitop3:0x54
	v_or_b32_e32 v16, v16, v20
	v_or_b32_e32 v25, v25, v27
	;; [unrolled: 1-line block ×3, first 2 shown]
	v_cmp_eq_u32_e32 vcc_lo, s17, v43
	v_add_nc_u32_e32 v45, 1, v19
	s_wait_kmcnt 0x0
	v_pk_mul_f32 v[20:21], s[8:9], v[16:17] op_sel_hi:[0,1]
	v_add_nc_u32_e32 v37, 2, v19
	v_pk_mul_f32 v[16:17], s[8:9], v[24:25] op_sel_hi:[0,1]
	v_add_nc_u32_e32 v36, 3, v19
	s_and_saveexec_b32 s9, vcc_lo
	s_cbranch_execz .LBB180_212
; %bb.211:                              ;   in Loop: Header=BB180_177 Depth=1
	v_cmp_gt_i32_e64 s0, s34, v19
	s_delay_alu instid0(VALU_DEP_1) | instskip(SKIP_1) | instid1(VALU_DEP_1)
	v_cndmask_b32_e64 v20, 0, v20, s0
	v_cmp_gt_i32_e64 s0, s34, v45
	v_cndmask_b32_e64 v21, 0, v21, s0
	v_cmp_gt_i32_e64 s0, s34, v37
	s_delay_alu instid0(VALU_DEP_1) | instskip(SKIP_1) | instid1(VALU_DEP_1)
	v_cndmask_b32_e64 v16, 0, v16, s0
	v_cmp_gt_i32_e64 s0, s34, v36
	v_cndmask_b32_e64 v17, 0, v17, s0
.LBB180_212:                            ;   in Loop: Header=BB180_177 Depth=1
	s_or_b32 exec_lo, exec_lo, s9
	global_load_b32 v32, v[22:23], off offset:128
	v_mov_b64_e32 v[24:25], 0
	v_mov_b64_e32 v[26:27], 0
	s_mov_b32 s9, exec_lo
	s_wait_loadcnt 0x0
	v_and_b32_e32 v10, 0xff, v32
	s_delay_alu instid0(VALU_DEP_1)
	v_cmpx_ne_u16_e32 0, v10
	s_cbranch_execz .LBB180_220
; %bb.213:                              ;   in Loop: Header=BB180_177 Depth=1
	v_mov_b64_e32 v[26:27], 0x80000000
	s_mov_b32 s23, exec_lo
	v_cmpx_ne_u16_e32 0x80, v10
	s_cbranch_execz .LBB180_219
; %bb.214:                              ;   in Loop: Header=BB180_177 Depth=1
	v_mov_b64_e32 v[26:27], 0x7f800001
	v_and_b32_e32 v28, 0x7f, v32
	s_mov_b32 s24, exec_lo
	s_delay_alu instid0(VALU_DEP_1)
	v_cmpx_ne_u32_e32 0x7f, v28
	s_cbranch_execz .LBB180_218
; %bb.215:                              ;   in Loop: Header=BB180_177 Depth=1
	v_and_b32_e32 v10, 7, v32
	v_lshrrev_b32_e32 v26, 3, v28
	s_mov_b32 s25, exec_lo
	v_cmpx_gt_u32_e32 8, v28
; %bb.216:                              ;   in Loop: Header=BB180_177 Depth=1
	s_delay_alu instid0(VALU_DEP_3) | instskip(NEXT) | instid1(VALU_DEP_1)
	v_clz_i32_u32_e32 v26, v10
	v_min_u32_e32 v26, 32, v26
	s_delay_alu instid0(VALU_DEP_1) | instskip(NEXT) | instid1(VALU_DEP_1)
	v_subrev_nc_u32_e32 v27, 28, v26
	v_lshlrev_b64_e32 v[28:29], v27, v[10:11]
	s_delay_alu instid0(VALU_DEP_1)
	v_dual_sub_nc_u32 v26, 29, v26 :: v_dual_bitop2_b32 v10, 7, v28 bitop3:0x40
; %bb.217:                              ;   in Loop: Header=BB180_177 Depth=1
	s_or_b32 exec_lo, exec_lo, s25
	s_delay_alu instid0(VALU_DEP_1) | instskip(NEXT) | instid1(VALU_DEP_2)
	v_dual_lshlrev_b32 v27, 24, v32 :: v_dual_lshlrev_b32 v10, 20, v10
	v_lshl_add_u32 v26, v26, 23, 0x3c000000
	s_delay_alu instid0(VALU_DEP_2) | instskip(NEXT) | instid1(VALU_DEP_1)
	v_and_b32_e32 v27, 0x80000000, v27
	v_or3_b32 v10, v10, v27, v26
	s_delay_alu instid0(VALU_DEP_1)
	v_mov_b64_e32 v[26:27], v[10:11]
.LBB180_218:                            ;   in Loop: Header=BB180_177 Depth=1
	s_or_b32 exec_lo, exec_lo, s24
.LBB180_219:                            ;   in Loop: Header=BB180_177 Depth=1
	s_delay_alu instid0(SALU_CYCLE_1)
	s_or_b32 exec_lo, exec_lo, s23
.LBB180_220:                            ;   in Loop: Header=BB180_177 Depth=1
	s_delay_alu instid0(SALU_CYCLE_1) | instskip(SKIP_2) | instid1(VALU_DEP_1)
	s_or_b32 exec_lo, exec_lo, s9
	v_lshrrev_b16 v10, 8, v32
	s_mov_b32 s9, exec_lo
	v_cmpx_ne_u16_e32 0, v10
	s_cbranch_execz .LBB180_228
; %bb.221:                              ;   in Loop: Header=BB180_177 Depth=1
	v_mov_b64_e32 v[24:25], 0x8000000000000000
	s_mov_b32 s23, exec_lo
	v_cmpx_ne_u16_e32 0x80, v10
	s_cbranch_execz .LBB180_227
; %bb.222:                              ;   in Loop: Header=BB180_177 Depth=1
	v_and_b32_e32 v10, 0xffff, v10
	v_mov_b64_e32 v[24:25], 0x7f80000100000000
	s_mov_b32 s24, exec_lo
	s_delay_alu instid0(VALU_DEP_2) | instskip(NEXT) | instid1(VALU_DEP_1)
	v_and_b32_e32 v28, 0x7f, v10
	v_cmpx_ne_u32_e32 0x7f, v28
	s_cbranch_execz .LBB180_226
; %bb.223:                              ;   in Loop: Header=BB180_177 Depth=1
	v_dual_lshrrev_b32 v24, 3, v28 :: v_dual_bitop2_b32 v10, 7, v10 bitop3:0x40
	s_mov_b32 s25, exec_lo
	v_cmpx_gt_u32_e32 8, v28
; %bb.224:                              ;   in Loop: Header=BB180_177 Depth=1
	s_delay_alu instid0(VALU_DEP_2) | instskip(NEXT) | instid1(VALU_DEP_1)
	v_clz_i32_u32_e32 v24, v10
	v_min_u32_e32 v24, 32, v24
	s_delay_alu instid0(VALU_DEP_1) | instskip(SKIP_1) | instid1(VALU_DEP_2)
	v_subrev_nc_u32_e32 v25, 28, v24
	v_sub_nc_u32_e32 v24, 29, v24
	v_lshlrev_b64_e32 v[28:29], v25, v[10:11]
	s_delay_alu instid0(VALU_DEP_1)
	v_and_b32_e32 v10, 7, v28
; %bb.225:                              ;   in Loop: Header=BB180_177 Depth=1
	s_or_b32 exec_lo, exec_lo, s25
	s_delay_alu instid0(VALU_DEP_1) | instskip(SKIP_1) | instid1(VALU_DEP_2)
	v_dual_lshlrev_b32 v25, 16, v32 :: v_dual_lshlrev_b32 v10, 20, v10
	v_lshl_add_u32 v24, v24, 23, 0x3c000000
	v_and_b32_e32 v25, 0x80000000, v25
	s_delay_alu instid0(VALU_DEP_1)
	v_or3_b32 v25, v10, v25, v24
	v_mov_b32_e32 v24, v11
.LBB180_226:                            ;   in Loop: Header=BB180_177 Depth=1
	s_or_b32 exec_lo, exec_lo, s24
.LBB180_227:                            ;   in Loop: Header=BB180_177 Depth=1
	s_delay_alu instid0(SALU_CYCLE_1)
	s_or_b32 exec_lo, exec_lo, s23
.LBB180_228:                            ;   in Loop: Header=BB180_177 Depth=1
	s_delay_alu instid0(SALU_CYCLE_1) | instskip(SKIP_4) | instid1(VALU_DEP_3)
	s_or_b32 exec_lo, exec_lo, s9
	v_lshrrev_b32_e32 v33, 16, v32
	v_mov_b64_e32 v[28:29], 0
	v_mov_b64_e32 v[30:31], 0
	s_mov_b32 s9, exec_lo
	v_and_b32_e32 v10, 0xff, v33
	s_delay_alu instid0(VALU_DEP_1)
	v_cmpx_ne_u16_e32 0, v10
	s_cbranch_execz .LBB180_236
; %bb.229:                              ;   in Loop: Header=BB180_177 Depth=1
	v_mov_b64_e32 v[30:31], 0x80000000
	s_mov_b32 s23, exec_lo
	v_cmpx_ne_u16_e32 0x80, v10
	s_cbranch_execz .LBB180_235
; %bb.230:                              ;   in Loop: Header=BB180_177 Depth=1
	v_mov_b64_e32 v[30:31], 0x7f800001
	v_bfe_u32 v34, v32, 16, 7
	s_mov_b32 s24, exec_lo
	s_delay_alu instid0(VALU_DEP_1)
	v_cmpx_ne_u32_e32 0x7f, v34
	s_cbranch_execz .LBB180_234
; %bb.231:                              ;   in Loop: Header=BB180_177 Depth=1
	v_dual_lshrrev_b32 v30, 3, v34 :: v_dual_bitop2_b32 v10, 7, v33 bitop3:0x40
	s_mov_b32 s25, exec_lo
	v_cmpx_gt_u32_e32 8, v34
; %bb.232:                              ;   in Loop: Header=BB180_177 Depth=1
	s_delay_alu instid0(VALU_DEP_2) | instskip(NEXT) | instid1(VALU_DEP_1)
	v_clz_i32_u32_e32 v30, v10
	v_min_u32_e32 v30, 32, v30
	s_delay_alu instid0(VALU_DEP_1) | instskip(SKIP_1) | instid1(VALU_DEP_2)
	v_subrev_nc_u32_e32 v31, 28, v30
	v_sub_nc_u32_e32 v30, 29, v30
	v_lshlrev_b64_e32 v[34:35], v31, v[10:11]
	s_delay_alu instid0(VALU_DEP_1)
	v_and_b32_e32 v10, 7, v34
; %bb.233:                              ;   in Loop: Header=BB180_177 Depth=1
	s_or_b32 exec_lo, exec_lo, s25
	s_delay_alu instid0(VALU_DEP_1) | instskip(SKIP_1) | instid1(VALU_DEP_2)
	v_dual_lshlrev_b32 v31, 24, v33 :: v_dual_lshlrev_b32 v10, 20, v10
	v_lshl_add_u32 v30, v30, 23, 0x3c000000
	v_and_b32_e32 v31, 0x80000000, v31
	s_delay_alu instid0(VALU_DEP_1) | instskip(NEXT) | instid1(VALU_DEP_1)
	v_or3_b32 v10, v10, v31, v30
	v_mov_b64_e32 v[30:31], v[10:11]
.LBB180_234:                            ;   in Loop: Header=BB180_177 Depth=1
	s_or_b32 exec_lo, exec_lo, s24
.LBB180_235:                            ;   in Loop: Header=BB180_177 Depth=1
	s_delay_alu instid0(SALU_CYCLE_1)
	s_or_b32 exec_lo, exec_lo, s23
.LBB180_236:                            ;   in Loop: Header=BB180_177 Depth=1
	s_delay_alu instid0(SALU_CYCLE_1) | instskip(NEXT) | instid1(SALU_CYCLE_1)
	s_or_b32 exec_lo, exec_lo, s9
	s_mov_b32 s9, exec_lo
	v_cmpx_lt_u32_e32 0xffffff, v32
	s_cbranch_execz .LBB180_244
; %bb.237:                              ;   in Loop: Header=BB180_177 Depth=1
	v_mov_b64_e32 v[28:29], 0x8000000000000000
	v_lshrrev_b32_e32 v33, 24, v32
	s_mov_b32 s23, exec_lo
	s_delay_alu instid0(VALU_DEP_1)
	v_cmpx_ne_u32_e32 0x80, v33
	s_cbranch_execz .LBB180_243
; %bb.238:                              ;   in Loop: Header=BB180_177 Depth=1
	v_mov_b64_e32 v[28:29], 0x7f80000100000000
	v_bfe_u32 v32, v32, 24, 7
	s_mov_b32 s24, exec_lo
	s_delay_alu instid0(VALU_DEP_1)
	v_cmpx_ne_u32_e32 0x7f, v32
	s_cbranch_execz .LBB180_242
; %bb.239:                              ;   in Loop: Header=BB180_177 Depth=1
	v_dual_lshrrev_b32 v28, 3, v32 :: v_dual_bitop2_b32 v10, 7, v33 bitop3:0x40
	s_mov_b32 s25, exec_lo
	v_cmpx_gt_u32_e32 8, v32
; %bb.240:                              ;   in Loop: Header=BB180_177 Depth=1
	s_delay_alu instid0(VALU_DEP_2) | instskip(NEXT) | instid1(VALU_DEP_1)
	v_clz_i32_u32_e32 v28, v10
	v_min_u32_e32 v28, 32, v28
	s_delay_alu instid0(VALU_DEP_1) | instskip(NEXT) | instid1(VALU_DEP_1)
	v_subrev_nc_u32_e32 v29, 28, v28
	v_lshlrev_b64_e32 v[34:35], v29, v[10:11]
	s_delay_alu instid0(VALU_DEP_1)
	v_dual_sub_nc_u32 v28, 29, v28 :: v_dual_bitop2_b32 v10, 7, v34 bitop3:0x40
; %bb.241:                              ;   in Loop: Header=BB180_177 Depth=1
	s_or_b32 exec_lo, exec_lo, s25
	s_delay_alu instid0(VALU_DEP_1) | instskip(NEXT) | instid1(VALU_DEP_2)
	v_dual_lshlrev_b32 v29, 24, v33 :: v_dual_lshlrev_b32 v10, 20, v10
	v_lshl_add_u32 v28, v28, 23, 0x3c000000
	s_delay_alu instid0(VALU_DEP_2) | instskip(NEXT) | instid1(VALU_DEP_1)
	v_and_b32_e32 v29, 0x80000000, v29
	v_or3_b32 v29, v10, v29, v28
	v_mov_b32_e32 v28, v11
.LBB180_242:                            ;   in Loop: Header=BB180_177 Depth=1
	s_or_b32 exec_lo, exec_lo, s24
.LBB180_243:                            ;   in Loop: Header=BB180_177 Depth=1
	s_delay_alu instid0(SALU_CYCLE_1)
	s_or_b32 exec_lo, exec_lo, s23
.LBB180_244:                            ;   in Loop: Header=BB180_177 Depth=1
	s_delay_alu instid0(SALU_CYCLE_1)
	s_or_b32 exec_lo, exec_lo, s9
	s_mov_b32 s9, s8
	v_or_b32_e32 v25, v25, v27
	v_mov_b64_e32 v[32:33], s[8:9]
	v_or_b32_e32 v24, v24, v26
	v_or_b32_e32 v29, v29, v31
	;; [unrolled: 1-line block ×3, first 2 shown]
	s_delay_alu instid0(VALU_DEP_3) | instskip(NEXT) | instid1(VALU_DEP_2)
	v_pk_mul_f32 v[26:27], v[32:33], v[24:25]
	v_pk_mul_f32 v[24:25], v[32:33], v[28:29]
	s_and_saveexec_b32 s23, vcc_lo
	s_cbranch_execz .LBB180_246
; %bb.245:                              ;   in Loop: Header=BB180_177 Depth=1
	v_cmp_gt_i32_e64 s0, s34, v19
	s_delay_alu instid0(VALU_DEP_1) | instskip(SKIP_1) | instid1(VALU_DEP_1)
	v_cndmask_b32_e64 v26, 0, v26, s0
	v_cmp_gt_i32_e64 s0, s34, v45
	v_cndmask_b32_e64 v27, 0, v27, s0
	v_cmp_gt_i32_e64 s0, s34, v37
	s_delay_alu instid0(VALU_DEP_1) | instskip(SKIP_1) | instid1(VALU_DEP_1)
	v_cndmask_b32_e64 v24, 0, v24, s0
	v_cmp_gt_i32_e64 s0, s34, v36
	v_cndmask_b32_e64 v25, 0, v25, s0
.LBB180_246:                            ;   in Loop: Header=BB180_177 Depth=1
	s_or_b32 exec_lo, exec_lo, s23
	global_load_b32 v46, v[22:23], off offset:256
	v_mov_b64_e32 v[28:29], 0
	v_mov_b64_e32 v[30:31], 0
	s_mov_b32 s23, exec_lo
	s_wait_loadcnt 0x0
	v_and_b32_e32 v10, 0xff, v46
	s_delay_alu instid0(VALU_DEP_1)
	v_cmpx_ne_u16_e32 0, v10
	s_cbranch_execz .LBB180_254
; %bb.247:                              ;   in Loop: Header=BB180_177 Depth=1
	v_mov_b64_e32 v[30:31], 0x80000000
	s_mov_b32 s24, exec_lo
	v_cmpx_ne_u16_e32 0x80, v10
	s_cbranch_execz .LBB180_253
; %bb.248:                              ;   in Loop: Header=BB180_177 Depth=1
	v_mov_b64_e32 v[30:31], 0x7f800001
	v_and_b32_e32 v32, 0x7f, v46
	s_mov_b32 s25, exec_lo
	s_delay_alu instid0(VALU_DEP_1)
	v_cmpx_ne_u32_e32 0x7f, v32
	s_cbranch_execz .LBB180_252
; %bb.249:                              ;   in Loop: Header=BB180_177 Depth=1
	v_dual_lshrrev_b32 v30, 3, v32 :: v_dual_bitop2_b32 v10, 7, v46 bitop3:0x40
	s_mov_b32 s27, exec_lo
	v_cmpx_gt_u32_e32 8, v32
; %bb.250:                              ;   in Loop: Header=BB180_177 Depth=1
	s_delay_alu instid0(VALU_DEP_2) | instskip(NEXT) | instid1(VALU_DEP_1)
	v_clz_i32_u32_e32 v30, v10
	v_min_u32_e32 v30, 32, v30
	s_delay_alu instid0(VALU_DEP_1) | instskip(NEXT) | instid1(VALU_DEP_1)
	v_subrev_nc_u32_e32 v31, 28, v30
	v_lshlrev_b64_e32 v[32:33], v31, v[10:11]
	s_delay_alu instid0(VALU_DEP_1)
	v_dual_sub_nc_u32 v30, 29, v30 :: v_dual_bitop2_b32 v10, 7, v32 bitop3:0x40
; %bb.251:                              ;   in Loop: Header=BB180_177 Depth=1
	s_or_b32 exec_lo, exec_lo, s27
	v_lshlrev_b32_e32 v31, 24, v46
	s_delay_alu instid0(VALU_DEP_2) | instskip(NEXT) | instid1(VALU_DEP_3)
	v_lshlrev_b32_e32 v10, 20, v10
	v_lshl_add_u32 v30, v30, 23, 0x3c000000
	s_delay_alu instid0(VALU_DEP_3) | instskip(NEXT) | instid1(VALU_DEP_1)
	v_and_b32_e32 v31, 0x80000000, v31
	v_or3_b32 v10, v10, v31, v30
	s_delay_alu instid0(VALU_DEP_1)
	v_mov_b64_e32 v[30:31], v[10:11]
.LBB180_252:                            ;   in Loop: Header=BB180_177 Depth=1
	s_or_b32 exec_lo, exec_lo, s25
.LBB180_253:                            ;   in Loop: Header=BB180_177 Depth=1
	s_delay_alu instid0(SALU_CYCLE_1)
	s_or_b32 exec_lo, exec_lo, s24
.LBB180_254:                            ;   in Loop: Header=BB180_177 Depth=1
	s_delay_alu instid0(SALU_CYCLE_1) | instskip(SKIP_2) | instid1(VALU_DEP_1)
	s_or_b32 exec_lo, exec_lo, s23
	v_lshrrev_b16 v10, 8, v46
	s_mov_b32 s23, exec_lo
	v_cmpx_ne_u16_e32 0, v10
	s_cbranch_execz .LBB180_262
; %bb.255:                              ;   in Loop: Header=BB180_177 Depth=1
	v_mov_b64_e32 v[28:29], 0x8000000000000000
	s_mov_b32 s24, exec_lo
	v_cmpx_ne_u16_e32 0x80, v10
	s_cbranch_execz .LBB180_261
; %bb.256:                              ;   in Loop: Header=BB180_177 Depth=1
	v_and_b32_e32 v10, 0xffff, v10
	v_mov_b64_e32 v[28:29], 0x7f80000100000000
	s_mov_b32 s25, exec_lo
	s_delay_alu instid0(VALU_DEP_2) | instskip(NEXT) | instid1(VALU_DEP_1)
	v_and_b32_e32 v32, 0x7f, v10
	v_cmpx_ne_u32_e32 0x7f, v32
	s_cbranch_execz .LBB180_260
; %bb.257:                              ;   in Loop: Header=BB180_177 Depth=1
	v_dual_lshrrev_b32 v28, 3, v32 :: v_dual_bitop2_b32 v10, 7, v10 bitop3:0x40
	s_mov_b32 s27, exec_lo
	v_cmpx_gt_u32_e32 8, v32
; %bb.258:                              ;   in Loop: Header=BB180_177 Depth=1
	s_delay_alu instid0(VALU_DEP_2) | instskip(NEXT) | instid1(VALU_DEP_1)
	v_clz_i32_u32_e32 v28, v10
	v_min_u32_e32 v28, 32, v28
	s_delay_alu instid0(VALU_DEP_1) | instskip(SKIP_1) | instid1(VALU_DEP_2)
	v_subrev_nc_u32_e32 v29, 28, v28
	v_sub_nc_u32_e32 v28, 29, v28
	v_lshlrev_b64_e32 v[32:33], v29, v[10:11]
	s_delay_alu instid0(VALU_DEP_1)
	v_and_b32_e32 v10, 7, v32
; %bb.259:                              ;   in Loop: Header=BB180_177 Depth=1
	s_or_b32 exec_lo, exec_lo, s27
	v_lshlrev_b32_e32 v29, 16, v46
	s_delay_alu instid0(VALU_DEP_2) | instskip(SKIP_1) | instid1(VALU_DEP_3)
	v_lshlrev_b32_e32 v10, 20, v10
	v_lshl_add_u32 v28, v28, 23, 0x3c000000
	v_and_b32_e32 v29, 0x80000000, v29
	s_delay_alu instid0(VALU_DEP_1)
	v_or3_b32 v29, v10, v29, v28
	v_mov_b32_e32 v28, v11
.LBB180_260:                            ;   in Loop: Header=BB180_177 Depth=1
	s_or_b32 exec_lo, exec_lo, s25
.LBB180_261:                            ;   in Loop: Header=BB180_177 Depth=1
	s_delay_alu instid0(SALU_CYCLE_1)
	s_or_b32 exec_lo, exec_lo, s24
.LBB180_262:                            ;   in Loop: Header=BB180_177 Depth=1
	s_delay_alu instid0(SALU_CYCLE_1) | instskip(SKIP_4) | instid1(VALU_DEP_3)
	s_or_b32 exec_lo, exec_lo, s23
	v_lshrrev_b32_e32 v47, 16, v46
	v_mov_b64_e32 v[32:33], 0
	v_mov_b64_e32 v[34:35], 0
	s_mov_b32 s23, exec_lo
	v_and_b32_e32 v10, 0xff, v47
	s_delay_alu instid0(VALU_DEP_1)
	v_cmpx_ne_u16_e32 0, v10
	s_cbranch_execz .LBB180_270
; %bb.263:                              ;   in Loop: Header=BB180_177 Depth=1
	v_mov_b64_e32 v[34:35], 0x80000000
	s_mov_b32 s24, exec_lo
	v_cmpx_ne_u16_e32 0x80, v10
	s_cbranch_execz .LBB180_269
; %bb.264:                              ;   in Loop: Header=BB180_177 Depth=1
	v_mov_b64_e32 v[34:35], 0x7f800001
	v_bfe_u32 v48, v46, 16, 7
	s_mov_b32 s25, exec_lo
	s_delay_alu instid0(VALU_DEP_1)
	v_cmpx_ne_u32_e32 0x7f, v48
	s_cbranch_execz .LBB180_268
; %bb.265:                              ;   in Loop: Header=BB180_177 Depth=1
	v_dual_lshrrev_b32 v34, 3, v48 :: v_dual_bitop2_b32 v10, 7, v47 bitop3:0x40
	s_mov_b32 s27, exec_lo
	v_cmpx_gt_u32_e32 8, v48
; %bb.266:                              ;   in Loop: Header=BB180_177 Depth=1
	s_delay_alu instid0(VALU_DEP_2) | instskip(NEXT) | instid1(VALU_DEP_1)
	v_clz_i32_u32_e32 v34, v10
	v_min_u32_e32 v34, 32, v34
	s_delay_alu instid0(VALU_DEP_1) | instskip(NEXT) | instid1(VALU_DEP_1)
	v_subrev_nc_u32_e32 v35, 28, v34
	v_lshlrev_b64_e32 v[48:49], v35, v[10:11]
	s_delay_alu instid0(VALU_DEP_1)
	v_dual_sub_nc_u32 v34, 29, v34 :: v_dual_bitop2_b32 v10, 7, v48 bitop3:0x40
; %bb.267:                              ;   in Loop: Header=BB180_177 Depth=1
	s_or_b32 exec_lo, exec_lo, s27
	s_delay_alu instid0(VALU_DEP_1) | instskip(NEXT) | instid1(VALU_DEP_2)
	v_dual_lshlrev_b32 v35, 24, v47 :: v_dual_lshlrev_b32 v10, 20, v10
	v_lshl_add_u32 v34, v34, 23, 0x3c000000
	s_delay_alu instid0(VALU_DEP_2) | instskip(NEXT) | instid1(VALU_DEP_1)
	v_and_b32_e32 v35, 0x80000000, v35
	v_or3_b32 v10, v10, v35, v34
	s_delay_alu instid0(VALU_DEP_1)
	v_mov_b64_e32 v[34:35], v[10:11]
.LBB180_268:                            ;   in Loop: Header=BB180_177 Depth=1
	s_or_b32 exec_lo, exec_lo, s25
.LBB180_269:                            ;   in Loop: Header=BB180_177 Depth=1
	s_delay_alu instid0(SALU_CYCLE_1)
	s_or_b32 exec_lo, exec_lo, s24
.LBB180_270:                            ;   in Loop: Header=BB180_177 Depth=1
	s_delay_alu instid0(SALU_CYCLE_1) | instskip(NEXT) | instid1(SALU_CYCLE_1)
	s_or_b32 exec_lo, exec_lo, s23
	s_mov_b32 s23, exec_lo
	v_cmpx_lt_u32_e32 0xffffff, v46
	s_cbranch_execz .LBB180_278
; %bb.271:                              ;   in Loop: Header=BB180_177 Depth=1
	v_mov_b64_e32 v[32:33], 0x8000000000000000
	v_lshrrev_b32_e32 v47, 24, v46
	s_mov_b32 s24, exec_lo
	s_delay_alu instid0(VALU_DEP_1)
	v_cmpx_ne_u32_e32 0x80, v47
	s_cbranch_execz .LBB180_277
; %bb.272:                              ;   in Loop: Header=BB180_177 Depth=1
	v_mov_b64_e32 v[32:33], 0x7f80000100000000
	v_bfe_u32 v46, v46, 24, 7
	s_mov_b32 s25, exec_lo
	s_delay_alu instid0(VALU_DEP_1)
	v_cmpx_ne_u32_e32 0x7f, v46
	s_cbranch_execz .LBB180_276
; %bb.273:                              ;   in Loop: Header=BB180_177 Depth=1
	v_dual_lshrrev_b32 v32, 3, v46 :: v_dual_bitop2_b32 v10, 7, v47 bitop3:0x40
	s_mov_b32 s27, exec_lo
	v_cmpx_gt_u32_e32 8, v46
; %bb.274:                              ;   in Loop: Header=BB180_177 Depth=1
	s_delay_alu instid0(VALU_DEP_2) | instskip(NEXT) | instid1(VALU_DEP_1)
	v_clz_i32_u32_e32 v32, v10
	v_min_u32_e32 v32, 32, v32
	s_delay_alu instid0(VALU_DEP_1) | instskip(SKIP_1) | instid1(VALU_DEP_2)
	v_subrev_nc_u32_e32 v33, 28, v32
	v_sub_nc_u32_e32 v32, 29, v32
	v_lshlrev_b64_e32 v[48:49], v33, v[10:11]
	s_delay_alu instid0(VALU_DEP_1)
	v_and_b32_e32 v10, 7, v48
; %bb.275:                              ;   in Loop: Header=BB180_177 Depth=1
	s_or_b32 exec_lo, exec_lo, s27
	s_delay_alu instid0(VALU_DEP_1) | instskip(SKIP_1) | instid1(VALU_DEP_2)
	v_dual_lshlrev_b32 v33, 24, v47 :: v_dual_lshlrev_b32 v10, 20, v10
	v_lshl_add_u32 v32, v32, 23, 0x3c000000
	v_and_b32_e32 v33, 0x80000000, v33
	s_delay_alu instid0(VALU_DEP_1)
	v_or3_b32 v33, v10, v33, v32
	v_mov_b32_e32 v32, v11
.LBB180_276:                            ;   in Loop: Header=BB180_177 Depth=1
	s_or_b32 exec_lo, exec_lo, s25
.LBB180_277:                            ;   in Loop: Header=BB180_177 Depth=1
	s_delay_alu instid0(SALU_CYCLE_1)
	s_or_b32 exec_lo, exec_lo, s24
.LBB180_278:                            ;   in Loop: Header=BB180_177 Depth=1
	s_delay_alu instid0(SALU_CYCLE_1)
	s_or_b32 exec_lo, exec_lo, s23
	v_mov_b64_e32 v[46:47], s[8:9]
	v_or_b32_e32 v29, v29, v31
	v_or_b32_e32 v28, v28, v30
	;; [unrolled: 1-line block ×4, first 2 shown]
	s_delay_alu instid0(VALU_DEP_3) | instskip(NEXT) | instid1(VALU_DEP_2)
	v_pk_mul_f32 v[30:31], v[46:47], v[28:29]
	v_pk_mul_f32 v[28:29], v[46:47], v[32:33]
	s_and_saveexec_b32 s23, vcc_lo
	s_cbranch_execz .LBB180_280
; %bb.279:                              ;   in Loop: Header=BB180_177 Depth=1
	v_cmp_gt_i32_e64 s0, s34, v19
	s_delay_alu instid0(VALU_DEP_1) | instskip(SKIP_1) | instid1(VALU_DEP_1)
	v_cndmask_b32_e64 v30, 0, v30, s0
	v_cmp_gt_i32_e64 s0, s34, v45
	v_cndmask_b32_e64 v31, 0, v31, s0
	v_cmp_gt_i32_e64 s0, s34, v37
	s_delay_alu instid0(VALU_DEP_1) | instskip(SKIP_1) | instid1(VALU_DEP_1)
	v_cndmask_b32_e64 v28, 0, v28, s0
	v_cmp_gt_i32_e64 s0, s34, v36
	v_cndmask_b32_e64 v29, 0, v29, s0
.LBB180_280:                            ;   in Loop: Header=BB180_177 Depth=1
	s_or_b32 exec_lo, exec_lo, s23
	global_load_b32 v46, v[22:23], off offset:384
	s_wait_xcnt 0x0
	v_mov_b64_e32 v[22:23], 0
	v_mov_b64_e32 v[32:33], 0
	s_mov_b32 s23, exec_lo
	s_wait_loadcnt 0x0
	v_and_b32_e32 v10, 0xff, v46
	s_delay_alu instid0(VALU_DEP_1)
	v_cmpx_ne_u16_e32 0, v10
	s_cbranch_execz .LBB180_288
; %bb.281:                              ;   in Loop: Header=BB180_177 Depth=1
	v_mov_b64_e32 v[32:33], 0x80000000
	s_mov_b32 s24, exec_lo
	v_cmpx_ne_u16_e32 0x80, v10
	s_cbranch_execz .LBB180_287
; %bb.282:                              ;   in Loop: Header=BB180_177 Depth=1
	v_mov_b64_e32 v[32:33], 0x7f800001
	v_and_b32_e32 v34, 0x7f, v46
	s_mov_b32 s25, exec_lo
	s_delay_alu instid0(VALU_DEP_1)
	v_cmpx_ne_u32_e32 0x7f, v34
	s_cbranch_execz .LBB180_286
; %bb.283:                              ;   in Loop: Header=BB180_177 Depth=1
	v_and_b32_e32 v10, 7, v46
	v_lshrrev_b32_e32 v32, 3, v34
	s_mov_b32 s27, exec_lo
	v_cmpx_gt_u32_e32 8, v34
; %bb.284:                              ;   in Loop: Header=BB180_177 Depth=1
	s_delay_alu instid0(VALU_DEP_3) | instskip(NEXT) | instid1(VALU_DEP_1)
	v_clz_i32_u32_e32 v32, v10
	v_min_u32_e32 v32, 32, v32
	s_delay_alu instid0(VALU_DEP_1) | instskip(NEXT) | instid1(VALU_DEP_1)
	v_subrev_nc_u32_e32 v33, 28, v32
	v_lshlrev_b64_e32 v[34:35], v33, v[10:11]
	s_delay_alu instid0(VALU_DEP_1)
	v_dual_sub_nc_u32 v32, 29, v32 :: v_dual_bitop2_b32 v10, 7, v34 bitop3:0x40
; %bb.285:                              ;   in Loop: Header=BB180_177 Depth=1
	s_or_b32 exec_lo, exec_lo, s27
	v_lshlrev_b32_e32 v33, 24, v46
	s_delay_alu instid0(VALU_DEP_2) | instskip(NEXT) | instid1(VALU_DEP_3)
	v_lshlrev_b32_e32 v10, 20, v10
	v_lshl_add_u32 v32, v32, 23, 0x3c000000
	s_delay_alu instid0(VALU_DEP_3) | instskip(NEXT) | instid1(VALU_DEP_1)
	v_and_b32_e32 v33, 0x80000000, v33
	v_or3_b32 v10, v10, v33, v32
	s_delay_alu instid0(VALU_DEP_1)
	v_mov_b64_e32 v[32:33], v[10:11]
.LBB180_286:                            ;   in Loop: Header=BB180_177 Depth=1
	s_or_b32 exec_lo, exec_lo, s25
.LBB180_287:                            ;   in Loop: Header=BB180_177 Depth=1
	s_delay_alu instid0(SALU_CYCLE_1)
	s_or_b32 exec_lo, exec_lo, s24
.LBB180_288:                            ;   in Loop: Header=BB180_177 Depth=1
	s_delay_alu instid0(SALU_CYCLE_1) | instskip(SKIP_2) | instid1(VALU_DEP_1)
	s_or_b32 exec_lo, exec_lo, s23
	v_lshrrev_b16 v10, 8, v46
	s_mov_b32 s23, exec_lo
	v_cmpx_ne_u16_e32 0, v10
	s_cbranch_execz .LBB180_296
; %bb.289:                              ;   in Loop: Header=BB180_177 Depth=1
	v_mov_b64_e32 v[22:23], 0x8000000000000000
	s_mov_b32 s24, exec_lo
	v_cmpx_ne_u16_e32 0x80, v10
	s_cbranch_execz .LBB180_295
; %bb.290:                              ;   in Loop: Header=BB180_177 Depth=1
	v_and_b32_e32 v10, 0xffff, v10
	v_mov_b64_e32 v[22:23], 0x7f80000100000000
	s_mov_b32 s25, exec_lo
	s_delay_alu instid0(VALU_DEP_2) | instskip(NEXT) | instid1(VALU_DEP_1)
	v_and_b32_e32 v34, 0x7f, v10
	v_cmpx_ne_u32_e32 0x7f, v34
	s_cbranch_execz .LBB180_294
; %bb.291:                              ;   in Loop: Header=BB180_177 Depth=1
	v_and_b32_e32 v10, 7, v10
	v_lshrrev_b32_e32 v22, 3, v34
	s_mov_b32 s27, exec_lo
	v_cmpx_gt_u32_e32 8, v34
; %bb.292:                              ;   in Loop: Header=BB180_177 Depth=1
	s_delay_alu instid0(VALU_DEP_3) | instskip(NEXT) | instid1(VALU_DEP_1)
	v_clz_i32_u32_e32 v22, v10
	v_min_u32_e32 v22, 32, v22
	s_delay_alu instid0(VALU_DEP_1) | instskip(SKIP_1) | instid1(VALU_DEP_2)
	v_subrev_nc_u32_e32 v23, 28, v22
	v_sub_nc_u32_e32 v22, 29, v22
	v_lshlrev_b64_e32 v[34:35], v23, v[10:11]
	s_delay_alu instid0(VALU_DEP_1)
	v_and_b32_e32 v10, 7, v34
; %bb.293:                              ;   in Loop: Header=BB180_177 Depth=1
	s_or_b32 exec_lo, exec_lo, s27
	v_lshlrev_b32_e32 v23, 16, v46
	s_delay_alu instid0(VALU_DEP_2) | instskip(SKIP_1) | instid1(VALU_DEP_3)
	v_lshlrev_b32_e32 v10, 20, v10
	v_lshl_add_u32 v22, v22, 23, 0x3c000000
	v_and_b32_e32 v23, 0x80000000, v23
	s_delay_alu instid0(VALU_DEP_1)
	v_or3_b32 v23, v10, v23, v22
	v_mov_b32_e32 v22, v11
.LBB180_294:                            ;   in Loop: Header=BB180_177 Depth=1
	s_or_b32 exec_lo, exec_lo, s25
.LBB180_295:                            ;   in Loop: Header=BB180_177 Depth=1
	s_delay_alu instid0(SALU_CYCLE_1)
	s_or_b32 exec_lo, exec_lo, s24
.LBB180_296:                            ;   in Loop: Header=BB180_177 Depth=1
	s_delay_alu instid0(SALU_CYCLE_1) | instskip(SKIP_4) | instid1(VALU_DEP_3)
	s_or_b32 exec_lo, exec_lo, s23
	v_lshrrev_b32_e32 v47, 16, v46
	v_mov_b64_e32 v[34:35], 0
	v_mov_b64_e32 v[36:37], 0
	s_mov_b32 s23, exec_lo
	v_and_b32_e32 v10, 0xff, v47
	s_delay_alu instid0(VALU_DEP_1)
	v_cmpx_ne_u16_e32 0, v10
	s_cbranch_execz .LBB180_304
; %bb.297:                              ;   in Loop: Header=BB180_177 Depth=1
	v_mov_b64_e32 v[36:37], 0x80000000
	s_mov_b32 s24, exec_lo
	v_cmpx_ne_u16_e32 0x80, v10
	s_cbranch_execz .LBB180_303
; %bb.298:                              ;   in Loop: Header=BB180_177 Depth=1
	v_mov_b64_e32 v[36:37], 0x7f800001
	v_bfe_u32 v48, v46, 16, 7
	s_mov_b32 s25, exec_lo
	s_delay_alu instid0(VALU_DEP_1)
	v_cmpx_ne_u32_e32 0x7f, v48
	s_cbranch_execz .LBB180_302
; %bb.299:                              ;   in Loop: Header=BB180_177 Depth=1
	v_dual_lshrrev_b32 v36, 3, v48 :: v_dual_bitop2_b32 v10, 7, v47 bitop3:0x40
	s_mov_b32 s27, exec_lo
	v_cmpx_gt_u32_e32 8, v48
; %bb.300:                              ;   in Loop: Header=BB180_177 Depth=1
	s_delay_alu instid0(VALU_DEP_2) | instskip(NEXT) | instid1(VALU_DEP_1)
	v_clz_i32_u32_e32 v36, v10
	v_min_u32_e32 v36, 32, v36
	s_delay_alu instid0(VALU_DEP_1) | instskip(SKIP_1) | instid1(VALU_DEP_2)
	v_subrev_nc_u32_e32 v37, 28, v36
	v_sub_nc_u32_e32 v36, 29, v36
	v_lshlrev_b64_e32 v[48:49], v37, v[10:11]
	s_delay_alu instid0(VALU_DEP_1)
	v_and_b32_e32 v10, 7, v48
; %bb.301:                              ;   in Loop: Header=BB180_177 Depth=1
	s_or_b32 exec_lo, exec_lo, s27
	s_delay_alu instid0(VALU_DEP_1) | instskip(SKIP_1) | instid1(VALU_DEP_2)
	v_dual_lshlrev_b32 v37, 24, v47 :: v_dual_lshlrev_b32 v10, 20, v10
	v_lshl_add_u32 v36, v36, 23, 0x3c000000
	v_and_b32_e32 v37, 0x80000000, v37
	s_delay_alu instid0(VALU_DEP_1) | instskip(NEXT) | instid1(VALU_DEP_1)
	v_or3_b32 v10, v10, v37, v36
	v_mov_b64_e32 v[36:37], v[10:11]
.LBB180_302:                            ;   in Loop: Header=BB180_177 Depth=1
	s_or_b32 exec_lo, exec_lo, s25
.LBB180_303:                            ;   in Loop: Header=BB180_177 Depth=1
	s_delay_alu instid0(SALU_CYCLE_1)
	s_or_b32 exec_lo, exec_lo, s24
.LBB180_304:                            ;   in Loop: Header=BB180_177 Depth=1
	s_delay_alu instid0(SALU_CYCLE_1) | instskip(NEXT) | instid1(SALU_CYCLE_1)
	s_or_b32 exec_lo, exec_lo, s23
	s_mov_b32 s23, exec_lo
	v_cmpx_lt_u32_e32 0xffffff, v46
	s_cbranch_execz .LBB180_312
; %bb.305:                              ;   in Loop: Header=BB180_177 Depth=1
	v_mov_b64_e32 v[34:35], 0x8000000000000000
	v_lshrrev_b32_e32 v47, 24, v46
	s_mov_b32 s24, exec_lo
	s_delay_alu instid0(VALU_DEP_1)
	v_cmpx_ne_u32_e32 0x80, v47
	s_cbranch_execz .LBB180_311
; %bb.306:                              ;   in Loop: Header=BB180_177 Depth=1
	v_mov_b64_e32 v[34:35], 0x7f80000100000000
	v_bfe_u32 v46, v46, 24, 7
	s_mov_b32 s25, exec_lo
	s_delay_alu instid0(VALU_DEP_1)
	v_cmpx_ne_u32_e32 0x7f, v46
	s_cbranch_execz .LBB180_310
; %bb.307:                              ;   in Loop: Header=BB180_177 Depth=1
	v_dual_lshrrev_b32 v34, 3, v46 :: v_dual_bitop2_b32 v10, 7, v47 bitop3:0x40
	s_mov_b32 s27, exec_lo
	v_cmpx_gt_u32_e32 8, v46
; %bb.308:                              ;   in Loop: Header=BB180_177 Depth=1
	s_delay_alu instid0(VALU_DEP_2) | instskip(NEXT) | instid1(VALU_DEP_1)
	v_clz_i32_u32_e32 v34, v10
	v_min_u32_e32 v34, 32, v34
	s_delay_alu instid0(VALU_DEP_1) | instskip(NEXT) | instid1(VALU_DEP_1)
	v_subrev_nc_u32_e32 v35, 28, v34
	v_lshlrev_b64_e32 v[48:49], v35, v[10:11]
	s_delay_alu instid0(VALU_DEP_1)
	v_dual_sub_nc_u32 v34, 29, v34 :: v_dual_bitop2_b32 v10, 7, v48 bitop3:0x40
; %bb.309:                              ;   in Loop: Header=BB180_177 Depth=1
	s_or_b32 exec_lo, exec_lo, s27
	s_delay_alu instid0(VALU_DEP_1) | instskip(NEXT) | instid1(VALU_DEP_2)
	v_dual_lshlrev_b32 v35, 24, v47 :: v_dual_lshlrev_b32 v10, 20, v10
	v_lshl_add_u32 v34, v34, 23, 0x3c000000
	s_delay_alu instid0(VALU_DEP_2) | instskip(NEXT) | instid1(VALU_DEP_1)
	v_and_b32_e32 v35, 0x80000000, v35
	v_or3_b32 v35, v10, v35, v34
	v_mov_b32_e32 v34, v11
.LBB180_310:                            ;   in Loop: Header=BB180_177 Depth=1
	s_or_b32 exec_lo, exec_lo, s25
.LBB180_311:                            ;   in Loop: Header=BB180_177 Depth=1
	s_delay_alu instid0(SALU_CYCLE_1)
	s_or_b32 exec_lo, exec_lo, s24
.LBB180_312:                            ;   in Loop: Header=BB180_177 Depth=1
	s_delay_alu instid0(SALU_CYCLE_1)
	s_or_b32 exec_lo, exec_lo, s23
	v_or_b32_e32 v23, v23, v33
	v_or_b32_e32 v22, v22, v32
	v_mov_b64_e32 v[32:33], s[8:9]
	v_or_b32_e32 v35, v35, v37
	v_or_b32_e32 v34, v34, v36
	s_delay_alu instid0(VALU_DEP_3) | instskip(NEXT) | instid1(VALU_DEP_2)
	v_pk_mul_f32 v[22:23], v[32:33], v[22:23]
	v_pk_mul_f32 v[32:33], v[32:33], v[34:35]
	s_and_saveexec_b32 s0, vcc_lo
	s_cbranch_execz .LBB180_175
; %bb.313:                              ;   in Loop: Header=BB180_177 Depth=1
	v_cmp_gt_i32_e32 vcc_lo, s18, v45
	v_or_b32_e32 v34, 2, v19
	v_cndmask_b32_e32 v23, 0, v23, vcc_lo
	v_cmp_gt_i32_e32 vcc_lo, s34, v19
	v_dual_cndmask_b32 v22, 0, v22, vcc_lo :: v_dual_bitop2_b32 v10, 3, v19 bitop3:0x54
	s_delay_alu instid0(VALU_DEP_1)
	v_cmp_gt_i32_e32 vcc_lo, s18, v10
	v_cndmask_b32_e32 v33, 0, v33, vcc_lo
	v_cmp_gt_i32_e32 vcc_lo, s34, v34
	v_cndmask_b32_e32 v32, 0, v32, vcc_lo
	s_branch .LBB180_175
.LBB180_314:
	s_or_b32 exec_lo, exec_lo, s19
.LBB180_315:
	s_delay_alu instid0(SALU_CYCLE_1)
	s_or_b32 exec_lo, exec_lo, s1
	ds_bpermute_b32 v2, v39, v8
	ds_bpermute_b32 v3, v39, v9
	;; [unrolled: 1-line block ×4, first 2 shown]
	s_mov_b32 s0, exec_lo
	s_wait_dscnt 0x0
	s_barrier_signal -1
	s_barrier_wait -1
	v_pk_add_f32 v[2:3], v[8:9], v[2:3]
	v_and_b32_e32 v9, 0x3c3, v0
	v_pk_add_f32 v[4:5], v[6:7], v[4:5]
	v_and_b32_e32 v8, 28, v38
	ds_bpermute_b32 v10, v40, v2
	ds_bpermute_b32 v11, v40, v3
	;; [unrolled: 1-line block ×4, first 2 shown]
	s_wait_dscnt 0x2
	v_pk_add_f32 v[2:3], v[2:3], v[10:11]
	v_cmpx_ne_u32_e32 64, v9
	s_xor_b32 s0, exec_lo, s0
; %bb.316:
                                        ; implicit-def: $vgpr1
; %bb.317:
	s_delay_alu instid0(SALU_CYCLE_1)
	s_or_saveexec_b32 s0, s0
	s_wait_dscnt 0x0
	v_pk_add_f32 v[4:5], v[4:5], v[6:7]
	v_lshrrev_b32_e32 v7, 2, v38
	v_add_nc_u32_e32 v6, 0xa0, v8
	s_xor_b32 exec_lo, exec_lo, s0
	s_cbranch_execz .LBB180_319
; %bb.318:
	s_delay_alu instid0(VALU_DEP_1) | instskip(NEXT) | instid1(VALU_DEP_1)
	v_lshl_add_u32 v1, v1, 7, v6
	v_add_nc_u32_e32 v8, 0xffffff00, v1
	v_add_nc_u32_e32 v9, 0xffffff20, v1
	;; [unrolled: 1-line block ×4, first 2 shown]
	ds_store_b32 v8, v2
	ds_store_b32 v9, v3
	;; [unrolled: 1-line block ×4, first 2 shown]
.LBB180_319:
	s_or_b32 exec_lo, exec_lo, s0
	v_and_b32_e32 v1, 0x3e0, v0
	v_lshlrev_b32_e32 v7, 2, v7
	s_mov_b32 s1, exec_lo
	v_cmp_eq_u32_e32 vcc_lo, 0, v41
	s_wait_dscnt 0x0
	v_lshlrev_b32_e32 v1, 2, v1
	s_barrier_signal -1
	s_barrier_wait -1
	s_delay_alu instid0(VALU_DEP_1)
	v_add3_u32 v1, 0xa0, v1, v7
	v_cmpx_gt_u32_e32 64, v0
	s_cbranch_execz .LBB180_326
; %bb.320:
	s_and_saveexec_b32 s0, vcc_lo
	s_cbranch_execnz .LBB180_338
; %bb.321:
	s_or_b32 exec_lo, exec_lo, s0
	s_and_saveexec_b32 s0, vcc_lo
	s_cbranch_execnz .LBB180_339
.LBB180_322:
	s_or_b32 exec_lo, exec_lo, s0
	s_and_saveexec_b32 s0, vcc_lo
	s_cbranch_execnz .LBB180_340
.LBB180_323:
	s_or_b32 exec_lo, exec_lo, s0
	s_and_saveexec_b32 s0, vcc_lo
	s_cbranch_execz .LBB180_325
.LBB180_324:
	ds_load_b32 v7, v1 offset:96
	s_wait_dscnt 0x0
	v_add_f32_e32 v5, v5, v7
.LBB180_325:
	s_or_b32 exec_lo, exec_lo, s0
.LBB180_326:
	s_delay_alu instid0(SALU_CYCLE_1) | instskip(SKIP_4) | instid1(VALU_DEP_1)
	s_or_b32 exec_lo, exec_lo, s1
	v_and_b32_e32 v7, 0x3e3, v0
	s_mov_b32 s1, exec_lo
	s_barrier_signal -1
	s_barrier_wait -1
	v_cmpx_eq_u32_e32 32, v7
	s_cbranch_execz .LBB180_328
; %bb.327:
	ds_store_2addr_b32 v6, v2, v3 offset1:8
	ds_store_2addr_b32 v6, v4, v5 offset0:16 offset1:24
.LBB180_328:
	s_or_b32 exec_lo, exec_lo, s1
	s_delay_alu instid0(SALU_CYCLE_1)
	s_mov_b32 s1, exec_lo
	s_wait_dscnt 0x0
	s_barrier_signal -1
	s_barrier_wait -1
	v_cmpx_gt_u32_e32 32, v0
	s_cbranch_execz .LBB180_335
; %bb.329:
	s_and_saveexec_b32 s0, vcc_lo
	s_cbranch_execnz .LBB180_341
; %bb.330:
	s_or_b32 exec_lo, exec_lo, s0
	s_and_saveexec_b32 s0, vcc_lo
	s_cbranch_execnz .LBB180_342
.LBB180_331:
	s_or_b32 exec_lo, exec_lo, s0
	s_and_saveexec_b32 s0, vcc_lo
	s_cbranch_execnz .LBB180_343
.LBB180_332:
	s_or_b32 exec_lo, exec_lo, s0
	s_and_saveexec_b32 s0, vcc_lo
	s_cbranch_execz .LBB180_334
.LBB180_333:
	ds_load_b32 v1, v1 offset:96
	s_wait_dscnt 0x0
	v_add_f32_e32 v5, v5, v1
.LBB180_334:
	s_or_b32 exec_lo, exec_lo, s0
.LBB180_335:
	s_delay_alu instid0(SALU_CYCLE_1)
	s_or_b32 exec_lo, exec_lo, s1
	s_mov_b32 s1, 0
	s_barrier_signal -1
	s_barrier_wait -1
	s_mov_b32 s0, exec_lo
	v_cmpx_eq_u32_e32 0, v7
	s_cbranch_execz .LBB180_337
; %bb.336:
	s_mul_i32 s0, s33, s7
	s_mul_i32 s2, s7, s6
	;; [unrolled: 1-line block ×3, first 2 shown]
	s_wait_kmcnt 0x0
	s_lshr_b32 s8, ttmp7, 16
	s_lshl_b32 s6, s0, 5
	s_bfe_u32 s0, ttmp6, 0x40014
	s_ashr_i32 s7, s6, 31
	s_add_co_i32 s0, s0, 1
	s_ashr_i32 s3, s2, 31
	s_mul_i32 s0, s8, s0
	s_bfe_u32 s9, ttmp6, 0x40008
	s_lshl_b64 s[6:7], s[6:7], 2
	s_lshl_b64 s[2:3], s[2:3], 2
	s_add_co_i32 s9, s9, s0
	s_cmp_eq_u32 s30, 0
	s_add_nc_u64 s[4:5], s[4:5], s[6:7]
	s_cselect_b32 s0, s8, s9
	s_add_nc_u64 s[2:3], s[4:5], s[2:3]
	s_lshl_b32 s0, s0, 7
	s_delay_alu instid0(SALU_CYCLE_1)
	s_add_nc_u64 s[0:1], s[2:3], s[0:1]
	s_clause 0x3
	global_store_b32 v0, v2, s[0:1]
	global_store_b32 v0, v3, s[0:1] offset:32
	global_store_b32 v0, v4, s[0:1] offset:64
	;; [unrolled: 1-line block ×3, first 2 shown]
.LBB180_337:
	s_sendmsg sendmsg(MSG_DEALLOC_VGPRS)
	s_endpgm
.LBB180_338:
	ds_load_b32 v7, v1
	s_wait_dscnt 0x0
	v_add_f32_e32 v2, v2, v7
	s_or_b32 exec_lo, exec_lo, s0
	s_and_saveexec_b32 s0, vcc_lo
	s_cbranch_execz .LBB180_322
.LBB180_339:
	ds_load_b32 v7, v1 offset:32
	s_wait_dscnt 0x0
	v_add_f32_e32 v3, v3, v7
	s_or_b32 exec_lo, exec_lo, s0
	s_and_saveexec_b32 s0, vcc_lo
	s_cbranch_execz .LBB180_323
.LBB180_340:
	ds_load_b32 v7, v1 offset:64
	s_wait_dscnt 0x0
	v_add_f32_e32 v4, v4, v7
	s_or_b32 exec_lo, exec_lo, s0
	s_and_saveexec_b32 s0, vcc_lo
	s_cbranch_execnz .LBB180_324
	s_branch .LBB180_325
.LBB180_341:
	ds_load_b32 v6, v1
	s_wait_dscnt 0x0
	v_add_f32_e32 v2, v2, v6
	s_or_b32 exec_lo, exec_lo, s0
	s_and_saveexec_b32 s0, vcc_lo
	s_cbranch_execz .LBB180_331
.LBB180_342:
	ds_load_b32 v6, v1 offset:32
	s_wait_dscnt 0x0
	v_add_f32_e32 v3, v3, v6
	s_or_b32 exec_lo, exec_lo, s0
	s_and_saveexec_b32 s0, vcc_lo
	s_cbranch_execz .LBB180_332
.LBB180_343:
	ds_load_b32 v6, v1 offset:64
	s_wait_dscnt 0x0
	v_add_f32_e32 v4, v4, v6
	s_or_b32 exec_lo, exec_lo, s0
	s_and_saveexec_b32 s0, vcc_lo
	s_cbranch_execnz .LBB180_333
	s_branch .LBB180_334
	.section	.rodata,"a",@progbits
	.p2align	6, 0x0
	.amdhsa_kernel _ZN4vllm25paged_attention_v1_kernelIfhLi32ELi16ELi128ELNS_18Fp8KVCacheDataTypeE1ELb1EEEvPT_PKS2_PKT0_S8_ifPKiSA_iPKfiiiSC_SC_iiiii
		.amdhsa_group_segment_fixed_size 160
		.amdhsa_private_segment_fixed_size 0
		.amdhsa_kernarg_size 384
		.amdhsa_user_sgpr_count 2
		.amdhsa_user_sgpr_dispatch_ptr 0
		.amdhsa_user_sgpr_queue_ptr 0
		.amdhsa_user_sgpr_kernarg_segment_ptr 1
		.amdhsa_user_sgpr_dispatch_id 0
		.amdhsa_user_sgpr_kernarg_preload_length 0
		.amdhsa_user_sgpr_kernarg_preload_offset 0
		.amdhsa_user_sgpr_private_segment_size 0
		.amdhsa_wavefront_size32 1
		.amdhsa_uses_dynamic_stack 0
		.amdhsa_enable_private_segment 0
		.amdhsa_system_sgpr_workgroup_id_x 1
		.amdhsa_system_sgpr_workgroup_id_y 1
		.amdhsa_system_sgpr_workgroup_id_z 1
		.amdhsa_system_sgpr_workgroup_info 0
		.amdhsa_system_vgpr_workitem_id 0
		.amdhsa_next_free_vgpr 72
		.amdhsa_next_free_sgpr 46
		.amdhsa_named_barrier_count 0
		.amdhsa_reserve_vcc 1
		.amdhsa_float_round_mode_32 0
		.amdhsa_float_round_mode_16_64 0
		.amdhsa_float_denorm_mode_32 3
		.amdhsa_float_denorm_mode_16_64 3
		.amdhsa_fp16_overflow 0
		.amdhsa_memory_ordered 1
		.amdhsa_forward_progress 1
		.amdhsa_inst_pref_size 104
		.amdhsa_round_robin_scheduling 0
		.amdhsa_exception_fp_ieee_invalid_op 0
		.amdhsa_exception_fp_denorm_src 0
		.amdhsa_exception_fp_ieee_div_zero 0
		.amdhsa_exception_fp_ieee_overflow 0
		.amdhsa_exception_fp_ieee_underflow 0
		.amdhsa_exception_fp_ieee_inexact 0
		.amdhsa_exception_int_div_zero 0
	.end_amdhsa_kernel
	.section	.text._ZN4vllm25paged_attention_v1_kernelIfhLi32ELi16ELi128ELNS_18Fp8KVCacheDataTypeE1ELb1EEEvPT_PKS2_PKT0_S8_ifPKiSA_iPKfiiiSC_SC_iiiii,"axG",@progbits,_ZN4vllm25paged_attention_v1_kernelIfhLi32ELi16ELi128ELNS_18Fp8KVCacheDataTypeE1ELb1EEEvPT_PKS2_PKT0_S8_ifPKiSA_iPKfiiiSC_SC_iiiii,comdat
.Lfunc_end180:
	.size	_ZN4vllm25paged_attention_v1_kernelIfhLi32ELi16ELi128ELNS_18Fp8KVCacheDataTypeE1ELb1EEEvPT_PKS2_PKT0_S8_ifPKiSA_iPKfiiiSC_SC_iiiii, .Lfunc_end180-_ZN4vllm25paged_attention_v1_kernelIfhLi32ELi16ELi128ELNS_18Fp8KVCacheDataTypeE1ELb1EEEvPT_PKS2_PKT0_S8_ifPKiSA_iPKfiiiSC_SC_iiiii
                                        ; -- End function
	.set _ZN4vllm25paged_attention_v1_kernelIfhLi32ELi16ELi128ELNS_18Fp8KVCacheDataTypeE1ELb1EEEvPT_PKS2_PKT0_S8_ifPKiSA_iPKfiiiSC_SC_iiiii.num_vgpr, 72
	.set _ZN4vllm25paged_attention_v1_kernelIfhLi32ELi16ELi128ELNS_18Fp8KVCacheDataTypeE1ELb1EEEvPT_PKS2_PKT0_S8_ifPKiSA_iPKfiiiSC_SC_iiiii.num_agpr, 0
	.set _ZN4vllm25paged_attention_v1_kernelIfhLi32ELi16ELi128ELNS_18Fp8KVCacheDataTypeE1ELb1EEEvPT_PKS2_PKT0_S8_ifPKiSA_iPKfiiiSC_SC_iiiii.numbered_sgpr, 46
	.set _ZN4vllm25paged_attention_v1_kernelIfhLi32ELi16ELi128ELNS_18Fp8KVCacheDataTypeE1ELb1EEEvPT_PKS2_PKT0_S8_ifPKiSA_iPKfiiiSC_SC_iiiii.num_named_barrier, 0
	.set _ZN4vllm25paged_attention_v1_kernelIfhLi32ELi16ELi128ELNS_18Fp8KVCacheDataTypeE1ELb1EEEvPT_PKS2_PKT0_S8_ifPKiSA_iPKfiiiSC_SC_iiiii.private_seg_size, 0
	.set _ZN4vllm25paged_attention_v1_kernelIfhLi32ELi16ELi128ELNS_18Fp8KVCacheDataTypeE1ELb1EEEvPT_PKS2_PKT0_S8_ifPKiSA_iPKfiiiSC_SC_iiiii.uses_vcc, 1
	.set _ZN4vllm25paged_attention_v1_kernelIfhLi32ELi16ELi128ELNS_18Fp8KVCacheDataTypeE1ELb1EEEvPT_PKS2_PKT0_S8_ifPKiSA_iPKfiiiSC_SC_iiiii.uses_flat_scratch, 0
	.set _ZN4vllm25paged_attention_v1_kernelIfhLi32ELi16ELi128ELNS_18Fp8KVCacheDataTypeE1ELb1EEEvPT_PKS2_PKT0_S8_ifPKiSA_iPKfiiiSC_SC_iiiii.has_dyn_sized_stack, 0
	.set _ZN4vllm25paged_attention_v1_kernelIfhLi32ELi16ELi128ELNS_18Fp8KVCacheDataTypeE1ELb1EEEvPT_PKS2_PKT0_S8_ifPKiSA_iPKfiiiSC_SC_iiiii.has_recursion, 0
	.set _ZN4vllm25paged_attention_v1_kernelIfhLi32ELi16ELi128ELNS_18Fp8KVCacheDataTypeE1ELb1EEEvPT_PKS2_PKT0_S8_ifPKiSA_iPKfiiiSC_SC_iiiii.has_indirect_call, 0
	.section	.AMDGPU.csdata,"",@progbits
; Kernel info:
; codeLenInByte = 13216
; TotalNumSgprs: 48
; NumVgprs: 72
; ScratchSize: 0
; MemoryBound: 0
; FloatMode: 240
; IeeeMode: 1
; LDSByteSize: 160 bytes/workgroup (compile time only)
; SGPRBlocks: 0
; VGPRBlocks: 4
; NumSGPRsForWavesPerEU: 48
; NumVGPRsForWavesPerEU: 72
; NamedBarCnt: 0
; Occupancy: 12
; WaveLimiterHint : 1
; COMPUTE_PGM_RSRC2:SCRATCH_EN: 0
; COMPUTE_PGM_RSRC2:USER_SGPR: 2
; COMPUTE_PGM_RSRC2:TRAP_HANDLER: 0
; COMPUTE_PGM_RSRC2:TGID_X_EN: 1
; COMPUTE_PGM_RSRC2:TGID_Y_EN: 1
; COMPUTE_PGM_RSRC2:TGID_Z_EN: 1
; COMPUTE_PGM_RSRC2:TIDIG_COMP_CNT: 0
	.section	.text._ZN4vllm25paged_attention_v1_kernelIfhLi64ELi16ELi128ELNS_18Fp8KVCacheDataTypeE1ELb1EEEvPT_PKS2_PKT0_S8_ifPKiSA_iPKfiiiSC_SC_iiiii,"axG",@progbits,_ZN4vllm25paged_attention_v1_kernelIfhLi64ELi16ELi128ELNS_18Fp8KVCacheDataTypeE1ELb1EEEvPT_PKS2_PKT0_S8_ifPKiSA_iPKfiiiSC_SC_iiiii,comdat
	.protected	_ZN4vllm25paged_attention_v1_kernelIfhLi64ELi16ELi128ELNS_18Fp8KVCacheDataTypeE1ELb1EEEvPT_PKS2_PKT0_S8_ifPKiSA_iPKfiiiSC_SC_iiiii ; -- Begin function _ZN4vllm25paged_attention_v1_kernelIfhLi64ELi16ELi128ELNS_18Fp8KVCacheDataTypeE1ELb1EEEvPT_PKS2_PKT0_S8_ifPKiSA_iPKfiiiSC_SC_iiiii
	.globl	_ZN4vllm25paged_attention_v1_kernelIfhLi64ELi16ELi128ELNS_18Fp8KVCacheDataTypeE1ELb1EEEvPT_PKS2_PKT0_S8_ifPKiSA_iPKfiiiSC_SC_iiiii
	.p2align	8
	.type	_ZN4vllm25paged_attention_v1_kernelIfhLi64ELi16ELi128ELNS_18Fp8KVCacheDataTypeE1ELb1EEEvPT_PKS2_PKT0_S8_ifPKiSA_iPKfiiiSC_SC_iiiii,@function
_ZN4vllm25paged_attention_v1_kernelIfhLi64ELi16ELi128ELNS_18Fp8KVCacheDataTypeE1ELb1EEEvPT_PKS2_PKT0_S8_ifPKiSA_iPKfiiiSC_SC_iiiii: ; @_ZN4vllm25paged_attention_v1_kernelIfhLi64ELi16ELi128ELNS_18Fp8KVCacheDataTypeE1ELb1EEEvPT_PKS2_PKT0_S8_ifPKiSA_iPKfiiiSC_SC_iiiii
; %bb.0:
	s_load_b64 s[6:7], s[0:1], 0x20
	s_bfe_u32 s3, ttmp6, 0x4000c
	s_bfe_u32 s5, ttmp6, 0x40010
	s_and_b32 s4, ttmp7, 0xffff
	s_add_co_i32 s3, s3, 1
	s_add_co_i32 s5, s5, 1
	s_and_b32 s2, ttmp6, 15
	s_bfe_u32 s8, ttmp6, 0x40004
	s_mul_i32 s3, ttmp9, s3
	s_mul_i32 s5, s4, s5
	s_getreg_b32 s30, hwreg(HW_REG_IB_STS2, 6, 4)
	s_add_co_i32 s9, s2, s3
	s_add_co_i32 s8, s8, s5
	s_cmp_eq_u32 s30, 0
	s_clause 0x1
	s_load_b32 s31, s[0:1], 0x80
	s_load_b64 s[2:3], s[0:1], 0x30
	s_cselect_b32 s33, s4, s8
	s_cselect_b32 s4, ttmp9, s9
	s_wait_kmcnt 0x0
	s_abs_i32 s5, s6
	s_delay_alu instid0(SALU_CYCLE_1) | instskip(SKIP_1) | instid1(SALU_CYCLE_2)
	s_cvt_f32_u32 s8, s5
	s_sub_co_i32 s9, 0, s5
	v_rcp_iflag_f32_e32 v1, s8
	s_abs_i32 s10, s31
	v_nop
	s_delay_alu instid0(TRANS32_DEP_1) | instskip(SKIP_1) | instid1(SALU_CYCLE_3)
	v_readfirstlane_b32 s8, v1
	s_mul_f32 s8, s8, 0x4f7ffffe
	s_cvt_u32_f32 s8, s8
	s_delay_alu instid0(SALU_CYCLE_3) | instskip(NEXT) | instid1(SALU_CYCLE_1)
	s_mul_i32 s9, s9, s8
	s_mul_hi_u32 s9, s8, s9
	s_delay_alu instid0(SALU_CYCLE_1) | instskip(SKIP_4) | instid1(SALU_CYCLE_1)
	s_add_co_i32 s8, s8, s9
	s_xor_b32 s9, s31, s6
	s_mul_hi_u32 s8, s10, s8
	s_ashr_i32 s9, s9, 31
	s_mul_i32 s11, s8, s5
	s_sub_co_i32 s10, s10, s11
	s_add_co_i32 s11, s8, 1
	s_sub_co_i32 s12, s10, s5
	s_cmp_ge_u32 s10, s5
	s_cselect_b32 s8, s11, s8
	s_cselect_b32 s10, s12, s10
	s_add_co_i32 s11, s8, 1
	s_cmp_ge_u32 s10, s5
	s_load_b64 s[12:13], s[0:1], 0x40
	s_cselect_b32 s5, s11, s8
	s_delay_alu instid0(SALU_CYCLE_1) | instskip(NEXT) | instid1(SALU_CYCLE_1)
	s_xor_b32 s5, s5, s9
	s_sub_co_i32 s14, s5, s9
	s_mov_b32 s9, 0
	s_abs_i32 s19, s14
	s_mov_b32 s11, s9
	s_cvt_f32_u32 s5, s19
	s_sub_co_i32 s8, 0, s19
	s_mov_b32 s37, s9
	s_delay_alu instid0(SALU_CYCLE_1) | instskip(SKIP_1) | instid1(TRANS32_DEP_1)
	v_rcp_iflag_f32_e32 v1, s5
	v_nop
	v_readfirstlane_b32 s5, v1
	s_mul_f32 s5, s5, 0x4f7ffffe
	s_delay_alu instid0(SALU_CYCLE_3) | instskip(NEXT) | instid1(SALU_CYCLE_3)
	s_cvt_u32_f32 s5, s5
	s_mul_i32 s8, s8, s5
	s_delay_alu instid0(SALU_CYCLE_1)
	s_mul_hi_u32 s10, s5, s8
	s_abs_i32 s8, s4
	s_add_co_i32 s10, s5, s10
	s_wait_kmcnt 0x0
	s_cmp_eq_u64 s[12:13], 0
	s_cbranch_scc1 .LBB181_2
; %bb.1:
	s_ashr_i32 s5, s4, 31
	s_delay_alu instid0(SALU_CYCLE_1) | instskip(NEXT) | instid1(SALU_CYCLE_1)
	s_lshl_b64 s[16:17], s[4:5], 2
	s_add_nc_u64 s[12:13], s[12:13], s[16:17]
	s_load_b32 s37, s[12:13], 0x0
.LBB181_2:
	s_load_b32 s34, s[2:3], s33 offset:0x0 scale_offset
	s_load_b96 s[16:18], s[0:1], 0x48
	v_dual_lshlrev_b32 v35, 2, v0 :: v_dual_bitop2_b32 v2, 1, v0 bitop3:0x40
	s_wait_xcnt 0x0
	v_cmp_gt_u32_e64 s2, 32, v0
	s_ashr_i32 s3, s4, 31
	s_ashr_i32 s5, s14, 31
	s_mul_u64 s[10:11], s[8:9], s[10:11]
	s_lshl_b32 s20, s4, 6
	s_and_saveexec_b32 s9, s2
	s_cbranch_execz .LBB181_4
; %bb.3:
	s_load_b64 s[12:13], s[0:1], 0x8
	s_wait_kmcnt 0x0
	s_mul_i32 s14, s16, s33
	s_ashr_i32 s21, s20, 31
	s_ashr_i32 s15, s14, 31
	v_and_b32_e32 v1, 0xff8, v35
	s_lshl_b64 s[14:15], s[14:15], 2
	s_delay_alu instid0(VALU_DEP_1) | instskip(SKIP_2) | instid1(SALU_CYCLE_1)
	v_lshl_add_u32 v1, v2, 7, v1
	s_add_nc_u64 s[12:13], s[12:13], s[14:15]
	s_lshl_b64 s[14:15], s[20:21], 2
	s_add_nc_u64 s[12:13], s[12:13], s[14:15]
	global_load_b64 v[4:5], v0, s[12:13] scale_offset
	s_wait_loadcnt 0x0
	ds_store_b64 v1, v[4:5]
.LBB181_4:
	s_or_b32 exec_lo, exec_lo, s9
	s_load_b128 s[12:15], s[0:1], 0x68
	s_mul_i32 s9, s11, s19
	s_xor_b32 s5, s3, s5
	s_sub_co_i32 s3, s8, s9
	s_add_co_i32 s8, s11, 1
	s_sub_co_i32 s9, s3, s19
	s_cmp_ge_u32 s3, s19
	s_wait_dscnt 0x0
	s_cselect_b32 s8, s8, s11
	s_cselect_b32 s3, s9, s3
	s_add_co_i32 s9, s8, 1
	s_cmp_ge_u32 s3, s19
	s_load_b32 s3, s[0:1], 0x78
	s_cselect_b32 s8, s9, s8
	s_wait_kmcnt 0x0
	s_add_co_i32 s10, s34, -1
	s_xor_b32 s8, s8, s5
	s_mov_b32 s11, -1
	s_sub_co_i32 s5, s8, s5
	s_barrier_signal -1
	s_barrier_wait -1
	s_abs_i32 s16, s15
	s_delay_alu instid0(SALU_CYCLE_1) | instskip(NEXT) | instid1(SALU_CYCLE_3)
	s_cvt_f32_u32 s9, s16
	v_rcp_iflag_f32_e32 v1, s9
	v_nop
	s_delay_alu instid0(TRANS32_DEP_1) | instskip(SKIP_1) | instid1(SALU_CYCLE_3)
	v_readfirstlane_b32 s9, v1
	s_mul_f32 s8, s9, 0x4f7ffffe
	s_cvt_u32_f32 s19, s8
	s_sub_co_i32 s8, 0, s16
	s_delay_alu instid0(SALU_CYCLE_2)
	s_mul_i32 s9, s8, s19
	s_abs_i32 s8, s10
	s_mul_hi_u32 s21, s19, s9
	s_mov_b32 s9, 0
	s_add_co_i32 s22, s19, s21
	s_cmp_lt_i32 s3, 0
	s_mov_b32 s23, s9
                                        ; implicit-def: $sgpr21
	s_cbranch_scc0 .LBB181_6
; %bb.5:
	s_mul_i32 s6, s12, s6
	s_mov_b32 s11, s9
	s_add_co_i32 s6, s5, s6
	s_delay_alu instid0(SALU_CYCLE_1) | instskip(NEXT) | instid1(SALU_CYCLE_1)
	s_mul_i32 s6, s6, s3
	s_sub_co_i32 s21, 1, s6
.LBB181_6:
	s_ashr_i32 s6, s10, 31
	s_ashr_i32 s15, s15, 31
	s_and_not1_b32 vcc_lo, exec_lo, s11
	s_mul_u64 s[28:29], s[8:9], s[22:23]
	s_cbranch_vccnz .LBB181_8
; %bb.7:
	s_mul_i32 s9, s31, s12
	s_delay_alu instid0(SALU_CYCLE_1) | instskip(NEXT) | instid1(SALU_CYCLE_1)
	s_add_co_i32 s4, s9, s4
	s_mul_i32 s3, s4, s3
	s_delay_alu instid0(SALU_CYCLE_1)
	s_add_co_i32 s21, s3, 1
.LBB181_8:
	s_clause 0x1
	s_load_b32 s3, s[0:1], 0x38
	s_load_b64 s[24:25], s[0:1], 0x28
	s_xor_b32 s4, s6, s15
	s_mul_i32 s6, s29, s16
	s_add_co_i32 s19, s29, 1
	s_sub_co_i32 s6, s8, s6
	s_clause 0x1
	s_load_b32 s12, s[0:1], 0x88
	s_load_b128 s[8:11], s[0:1], 0x58
	v_dual_mov_b32 v112, 0xff7fffff :: v_dual_lshrrev_b32 v1, 5, v0
	v_lshrrev_b32_e32 v108, 3, v0
	v_mbcnt_lo_u32_b32 v109, -1, 0
	s_mul_i32 s18, s5, s18
	s_delay_alu instid0(VALU_DEP_3)
	v_lshlrev_b32_e32 v34, 4, v1
	s_wait_kmcnt 0x0
	s_mul_i32 s26, s3, s33
	s_sub_co_i32 s3, s6, s16
	s_ashr_i32 s27, s26, 31
	s_cmp_ge_u32 s6, s16
	s_cselect_b32 s19, s19, s29
	s_cselect_b32 s3, s3, s6
	s_add_co_i32 s6, s19, 1
	s_cmp_ge_u32 s3, s16
	s_cselect_b32 s3, s6, s19
	s_add_co_i32 s6, s34, 15
	s_delay_alu instid0(SALU_CYCLE_1) | instskip(NEXT) | instid1(SALU_CYCLE_1)
	s_ashr_i32 s19, s6, 31
	s_lshr_b32 s19, s19, 28
	s_delay_alu instid0(SALU_CYCLE_1) | instskip(NEXT) | instid1(SALU_CYCLE_1)
	s_add_co_i32 s6, s6, s19
	s_ashr_i32 s35, s6, 4
	s_xor_b32 s6, s3, s4
	v_cmp_gt_i32_e64 s3, s35, v1
	s_sub_co_i32 s36, s6, s4
	s_and_saveexec_b32 s38, s3
	s_cbranch_execz .LBB181_276
; %bb.9:
	s_load_b64 s[42:43], s[0:1], 0x10
	s_sub_co_i32 s39, s36, s13
	s_ashr_i32 s19, s18, 31
	s_cmp_neq_f32 s37, 0
	v_bfe_u32 v110, v0, 1, 4
	v_dual_mov_b32 v37, 0 :: v_dual_lshlrev_b32 v111, 7, v2
	s_cselect_b32 vcc_lo, -1, 0
	s_abs_i32 s40, s14
	s_delay_alu instid0(VALU_DEP_2)
	v_dual_lshlrev_b32 v38, 4, v1 :: v_dual_lshlrev_b32 v36, 4, v110
	s_cvt_f32_u32 s5, s40
	s_lshl_b64 s[44:45], s[26:27], 2
	v_cmp_eq_u32_e64 s4, 0, v2
	v_subrev_nc_u32_e32 v6, s34, v110
	v_rcp_iflag_f32_e32 v3, s5
	s_sub_co_i32 s6, 0, s40
	v_mov_b32_e32 v116, v1
	s_delay_alu instid0(VALU_DEP_2)
	v_dual_mov_b32 v112, 0xff7fffff :: v_dual_add_nc_u32 v113, 1, v6
	s_wait_kmcnt 0x0
	s_add_nc_u64 s[42:43], s[42:43], s[18:19]
	s_mov_b32 s29, 0
	v_readfirstlane_b32 s5, v3
	v_add_nc_u64_e32 v[4:5], s[42:43], v[36:37]
	v_dual_mov_b32 v115, 0xff7fffff :: v_dual_lshlrev_b32 v36, 1, v2
	v_lshlrev_b32_e32 v3, 2, v110
	s_mul_f32 s5, s5, 0x4f7ffffe
	s_add_nc_u64 s[42:43], s[24:25], s[44:45]
	s_mov_b32 s19, s17
	s_delay_alu instid0(VALU_DEP_3) | instskip(SKIP_4) | instid1(VALU_DEP_2)
	v_add_nc_u64_e32 v[40:41], v[4:5], v[36:37]
	v_and_b32_e32 v36, 0x7c, v108
	v_lshl_or_b32 v2, v1, 6, v3
	s_cvt_u32_f32 s5, s5
	s_mov_b32 s41, s29
	v_add_nc_u64_e32 v[42:43], s[42:43], v[36:37]
	s_delay_alu instid0(SALU_CYCLE_1) | instskip(SKIP_2) | instid1(SALU_CYCLE_1)
	s_mul_i32 s6, s6, s5
	v_add_nc_u32_e32 v114, 0x120, v2
	s_mul_hi_u32 s6, s5, s6
	s_add_co_i32 s28, s5, s6
	s_branch .LBB181_12
.LBB181_10:                             ;   in Loop: Header=BB181_12 Depth=1
	s_or_b32 exec_lo, exec_lo, s6
.LBB181_11:                             ;   in Loop: Header=BB181_12 Depth=1
	s_delay_alu instid0(SALU_CYCLE_1) | instskip(SKIP_3) | instid1(VALU_DEP_3)
	s_or_b32 exec_lo, exec_lo, s42
	v_dual_add_nc_u32 v116, 4, v116 :: v_dual_add_nc_u32 v38, 64, v38
	v_add_nc_u64_e32 v[42:43], 16, v[42:43]
	v_add_nc_u32_e32 v114, 0x100, v114
	v_cmp_le_i32_e64 s5, s35, v116
	s_or_b32 s41, s5, s41
	s_delay_alu instid0(SALU_CYCLE_1)
	s_and_not1_b32 exec_lo, exec_lo, s41
	s_cbranch_execz .LBB181_275
.LBB181_12:                             ; =>This Inner Loop Header: Depth=1
	v_mov_b32_e32 v39, v37
	s_wait_dscnt 0x0
	s_delay_alu instid0(VALU_DEP_1) | instskip(NEXT) | instid1(VALU_DEP_1)
	v_mul_u64_e32 v[2:3], s[22:23], v[38:39]
	v_mul_lo_u32 v2, v3, s16
	s_delay_alu instid0(VALU_DEP_1) | instskip(NEXT) | instid1(VALU_DEP_1)
	v_sub_nc_u32_e32 v2, v38, v2
	v_subrev_nc_u32_e32 v5, s16, v2
	v_cmp_le_u32_e64 s5, s16, v2
	s_delay_alu instid0(VALU_DEP_1) | instskip(NEXT) | instid1(VALU_DEP_1)
	v_dual_add_nc_u32 v4, 1, v3 :: v_dual_cndmask_b32 v2, v2, v5, s5
	v_cndmask_b32_e64 v3, v3, v4, s5
	s_delay_alu instid0(VALU_DEP_2) | instskip(NEXT) | instid1(VALU_DEP_2)
	v_cmp_le_u32_e64 s5, s16, v2
	v_add_nc_u32_e32 v4, 1, v3
	s_delay_alu instid0(VALU_DEP_1) | instskip(NEXT) | instid1(VALU_DEP_1)
	v_cndmask_b32_e64 v2, v3, v4, s5
	v_xor_b32_e32 v2, s15, v2
	s_delay_alu instid0(VALU_DEP_1) | instskip(NEXT) | instid1(VALU_DEP_1)
	v_subrev_nc_u32_e32 v4, s15, v2
	v_add_nc_u32_e32 v5, s21, v4
	v_cmp_ge_i32_e64 s6, s39, v4
	s_delay_alu instid0(VALU_DEP_2) | instskip(NEXT) | instid1(VALU_DEP_1)
	v_sub_nc_u32_e32 v2, 0, v5
	v_dual_ashrrev_i32 v5, 31, v5 :: v_dual_max_i32 v36, v5, v2
	s_delay_alu instid0(VALU_DEP_1) | instskip(NEXT) | instid1(VALU_DEP_1)
	v_mul_u64_e32 v[2:3], s[28:29], v[36:37]
	v_mul_lo_u32 v2, v3, s40
	s_delay_alu instid0(VALU_DEP_1) | instskip(NEXT) | instid1(VALU_DEP_1)
	v_sub_nc_u32_e32 v2, v36, v2
	v_subrev_nc_u32_e32 v3, s40, v2
	v_cmp_le_u32_e64 s5, s40, v2
	s_delay_alu instid0(VALU_DEP_1) | instskip(NEXT) | instid1(VALU_DEP_1)
	v_cndmask_b32_e64 v2, v2, v3, s5
	v_subrev_nc_u32_e32 v3, s40, v2
	v_cmp_le_u32_e64 s5, s40, v2
	s_delay_alu instid0(VALU_DEP_1) | instskip(NEXT) | instid1(VALU_DEP_1)
	v_cndmask_b32_e64 v2, v2, v3, s5
	v_xor_b32_e32 v2, v2, v5
	s_delay_alu instid0(VALU_DEP_1) | instskip(NEXT) | instid1(VALU_DEP_1)
	v_sub_nc_u32_e32 v2, v2, v5
	v_cmp_ne_u32_e64 s5, 0, v2
	s_and_b32 s5, s5, s6
	s_delay_alu instid0(SALU_CYCLE_1) | instskip(NEXT) | instid1(SALU_CYCLE_1)
	s_and_saveexec_b32 s6, s5
	s_xor_b32 s5, exec_lo, s6
	s_cbranch_execz .LBB181_16
; %bb.13:                               ;   in Loop: Header=BB181_12 Depth=1
	s_and_saveexec_b32 s6, s4
; %bb.14:                               ;   in Loop: Header=BB181_12 Depth=1
	ds_store_b32 v114, v115
; %bb.15:                               ;   in Loop: Header=BB181_12 Depth=1
	s_or_b32 exec_lo, exec_lo, s6
.LBB181_16:                             ;   in Loop: Header=BB181_12 Depth=1
	s_and_not1_saveexec_b32 s42, s5
	s_cbranch_execz .LBB181_11
; %bb.17:                               ;   in Loop: Header=BB181_12 Depth=1
	global_load_b32 v2, v[42:43], off
	v_mov_b64_e32 v[44:45], 0
	v_mov_b64_e32 v[46:47], 0
	s_mov_b32 s43, exec_lo
	s_wait_loadcnt 0x0
	v_mad_nc_i64_i32 v[52:53], v2, s19, v[40:41]
	global_load_u16 v36, v[52:53], off
	ds_load_b128 v[30:33], v111
	ds_load_b128 v[26:29], v111 offset:16
	ds_load_b128 v[22:25], v111 offset:32
	;; [unrolled: 1-line block ×7, first 2 shown]
	s_load_b32 s6, s[8:9], 0x0
	s_wait_loadcnt 0x0
	v_and_b32_e32 v48, 0xff, v36
	v_and_b32_e32 v39, 0xffff, v36
	s_delay_alu instid0(VALU_DEP_2)
	v_cmpx_ne_u16_e32 0, v48
	s_cbranch_execz .LBB181_25
; %bb.18:                               ;   in Loop: Header=BB181_12 Depth=1
	v_mov_b64_e32 v[46:47], 0x80000000
	s_delay_alu instid0(VALU_DEP_3) | instskip(SKIP_1) | instid1(VALU_DEP_1)
	v_and_b32_e32 v36, 0xff, v39
	s_mov_b32 s44, exec_lo
	v_cmpx_ne_u16_e32 0x80, v36
	s_cbranch_execz .LBB181_24
; %bb.19:                               ;   in Loop: Header=BB181_12 Depth=1
	v_mov_b64_e32 v[46:47], 0x7f800001
	v_and_b32_e32 v48, 0x7f, v39
	s_mov_b32 s45, exec_lo
	s_delay_alu instid0(VALU_DEP_1)
	v_cmpx_ne_u32_e32 0x7f, v48
	s_cbranch_execz .LBB181_23
; %bb.20:                               ;   in Loop: Header=BB181_12 Depth=1
	v_dual_lshrrev_b32 v46, 3, v48 :: v_dual_bitop2_b32 v36, 7, v39 bitop3:0x40
	s_mov_b32 s46, exec_lo
	v_cmpx_gt_u32_e32 8, v48
; %bb.21:                               ;   in Loop: Header=BB181_12 Depth=1
	s_delay_alu instid0(VALU_DEP_2) | instskip(NEXT) | instid1(VALU_DEP_1)
	v_clz_i32_u32_e32 v46, v36
	v_min_u32_e32 v46, 32, v46
	s_delay_alu instid0(VALU_DEP_1) | instskip(NEXT) | instid1(VALU_DEP_1)
	v_subrev_nc_u32_e32 v47, 28, v46
	v_lshlrev_b64_e32 v[48:49], v47, v[36:37]
	s_delay_alu instid0(VALU_DEP_1)
	v_dual_sub_nc_u32 v46, 29, v46 :: v_dual_bitop2_b32 v36, 7, v48 bitop3:0x40
; %bb.22:                               ;   in Loop: Header=BB181_12 Depth=1
	s_or_b32 exec_lo, exec_lo, s46
	s_delay_alu instid0(VALU_DEP_1) | instskip(NEXT) | instid1(VALU_DEP_2)
	v_dual_lshlrev_b32 v47, 24, v39 :: v_dual_lshlrev_b32 v36, 20, v36
	v_lshl_add_u32 v46, v46, 23, 0x3c000000
	s_delay_alu instid0(VALU_DEP_2) | instskip(NEXT) | instid1(VALU_DEP_1)
	v_and_b32_e32 v47, 0x80000000, v47
	v_or3_b32 v36, v36, v47, v46
	s_delay_alu instid0(VALU_DEP_1)
	v_mov_b64_e32 v[46:47], v[36:37]
.LBB181_23:                             ;   in Loop: Header=BB181_12 Depth=1
	s_or_b32 exec_lo, exec_lo, s45
.LBB181_24:                             ;   in Loop: Header=BB181_12 Depth=1
	s_delay_alu instid0(SALU_CYCLE_1)
	s_or_b32 exec_lo, exec_lo, s44
.LBB181_25:                             ;   in Loop: Header=BB181_12 Depth=1
	s_delay_alu instid0(SALU_CYCLE_1) | instskip(NEXT) | instid1(VALU_DEP_2)
	s_or_b32 exec_lo, exec_lo, s43
	v_lshrrev_b16 v36, 8, v39
	s_mov_b32 s43, exec_lo
	s_delay_alu instid0(VALU_DEP_1)
	v_cmpx_ne_u16_e32 0, v36
	s_cbranch_execz .LBB181_33
; %bb.26:                               ;   in Loop: Header=BB181_12 Depth=1
	v_mov_b64_e32 v[44:45], 0x8000000000000000
	s_mov_b32 s44, exec_lo
	v_cmpx_ne_u16_e32 0x80, v36
	s_cbranch_execz .LBB181_32
; %bb.27:                               ;   in Loop: Header=BB181_12 Depth=1
	v_and_b32_e32 v36, 0xffff, v36
	v_mov_b64_e32 v[44:45], 0x7f80000100000000
	s_mov_b32 s45, exec_lo
	s_delay_alu instid0(VALU_DEP_2) | instskip(NEXT) | instid1(VALU_DEP_1)
	v_and_b32_e32 v48, 0x7f, v36
	v_cmpx_ne_u32_e32 0x7f, v48
	s_cbranch_execz .LBB181_31
; %bb.28:                               ;   in Loop: Header=BB181_12 Depth=1
	v_and_b32_e32 v36, 7, v36
	v_lshrrev_b32_e32 v44, 3, v48
	s_mov_b32 s46, exec_lo
	v_cmpx_gt_u32_e32 8, v48
; %bb.29:                               ;   in Loop: Header=BB181_12 Depth=1
	s_delay_alu instid0(VALU_DEP_3) | instskip(NEXT) | instid1(VALU_DEP_1)
	v_clz_i32_u32_e32 v44, v36
	v_min_u32_e32 v44, 32, v44
	s_delay_alu instid0(VALU_DEP_1) | instskip(SKIP_1) | instid1(VALU_DEP_2)
	v_subrev_nc_u32_e32 v45, 28, v44
	v_sub_nc_u32_e32 v44, 29, v44
	v_lshlrev_b64_e32 v[48:49], v45, v[36:37]
	s_delay_alu instid0(VALU_DEP_1)
	v_and_b32_e32 v36, 7, v48
; %bb.30:                               ;   in Loop: Header=BB181_12 Depth=1
	s_or_b32 exec_lo, exec_lo, s46
	s_delay_alu instid0(VALU_DEP_1) | instskip(SKIP_1) | instid1(VALU_DEP_2)
	v_dual_lshlrev_b32 v39, 16, v39 :: v_dual_lshlrev_b32 v36, 20, v36
	v_lshl_add_u32 v44, v44, 23, 0x3c000000
	v_and_b32_e32 v39, 0x80000000, v39
	s_delay_alu instid0(VALU_DEP_1)
	v_or3_b32 v45, v36, v39, v44
	v_mov_b32_e32 v44, v37
.LBB181_31:                             ;   in Loop: Header=BB181_12 Depth=1
	s_or_b32 exec_lo, exec_lo, s45
.LBB181_32:                             ;   in Loop: Header=BB181_12 Depth=1
	s_delay_alu instid0(SALU_CYCLE_1)
	s_or_b32 exec_lo, exec_lo, s44
.LBB181_33:                             ;   in Loop: Header=BB181_12 Depth=1
	s_delay_alu instid0(SALU_CYCLE_1)
	s_or_b32 exec_lo, exec_lo, s43
	global_load_u16 v36, v[52:53], off offset:4
	v_mov_b64_e32 v[48:49], 0
	v_mov_b64_e32 v[50:51], 0
	s_mov_b32 s43, exec_lo
	s_wait_loadcnt 0x0
	v_and_b32_e32 v54, 0xff, v36
	v_and_b32_e32 v39, 0xffff, v36
	s_delay_alu instid0(VALU_DEP_2)
	v_cmpx_ne_u16_e32 0, v54
	s_cbranch_execz .LBB181_41
; %bb.34:                               ;   in Loop: Header=BB181_12 Depth=1
	v_mov_b64_e32 v[50:51], 0x80000000
	s_delay_alu instid0(VALU_DEP_3) | instskip(SKIP_1) | instid1(VALU_DEP_1)
	v_and_b32_e32 v36, 0xff, v39
	s_mov_b32 s44, exec_lo
	v_cmpx_ne_u16_e32 0x80, v36
	s_cbranch_execz .LBB181_40
; %bb.35:                               ;   in Loop: Header=BB181_12 Depth=1
	v_mov_b64_e32 v[50:51], 0x7f800001
	v_and_b32_e32 v54, 0x7f, v39
	s_mov_b32 s45, exec_lo
	s_delay_alu instid0(VALU_DEP_1)
	v_cmpx_ne_u32_e32 0x7f, v54
	s_cbranch_execz .LBB181_39
; %bb.36:                               ;   in Loop: Header=BB181_12 Depth=1
	v_dual_lshrrev_b32 v50, 3, v54 :: v_dual_bitop2_b32 v36, 7, v39 bitop3:0x40
	s_mov_b32 s46, exec_lo
	v_cmpx_gt_u32_e32 8, v54
; %bb.37:                               ;   in Loop: Header=BB181_12 Depth=1
	s_delay_alu instid0(VALU_DEP_2) | instskip(NEXT) | instid1(VALU_DEP_1)
	v_clz_i32_u32_e32 v50, v36
	v_min_u32_e32 v50, 32, v50
	s_delay_alu instid0(VALU_DEP_1) | instskip(SKIP_1) | instid1(VALU_DEP_2)
	v_subrev_nc_u32_e32 v51, 28, v50
	v_sub_nc_u32_e32 v50, 29, v50
	v_lshlrev_b64_e32 v[54:55], v51, v[36:37]
	s_delay_alu instid0(VALU_DEP_1)
	v_and_b32_e32 v36, 7, v54
; %bb.38:                               ;   in Loop: Header=BB181_12 Depth=1
	s_or_b32 exec_lo, exec_lo, s46
	s_delay_alu instid0(VALU_DEP_1) | instskip(SKIP_1) | instid1(VALU_DEP_2)
	v_dual_lshlrev_b32 v51, 24, v39 :: v_dual_lshlrev_b32 v36, 20, v36
	v_lshl_add_u32 v50, v50, 23, 0x3c000000
	v_and_b32_e32 v51, 0x80000000, v51
	s_delay_alu instid0(VALU_DEP_1) | instskip(NEXT) | instid1(VALU_DEP_1)
	v_or3_b32 v36, v36, v51, v50
	v_mov_b64_e32 v[50:51], v[36:37]
.LBB181_39:                             ;   in Loop: Header=BB181_12 Depth=1
	s_or_b32 exec_lo, exec_lo, s45
.LBB181_40:                             ;   in Loop: Header=BB181_12 Depth=1
	s_delay_alu instid0(SALU_CYCLE_1)
	s_or_b32 exec_lo, exec_lo, s44
.LBB181_41:                             ;   in Loop: Header=BB181_12 Depth=1
	s_delay_alu instid0(SALU_CYCLE_1) | instskip(NEXT) | instid1(VALU_DEP_2)
	s_or_b32 exec_lo, exec_lo, s43
	v_lshrrev_b16 v36, 8, v39
	s_mov_b32 s43, exec_lo
	s_delay_alu instid0(VALU_DEP_1)
	v_cmpx_ne_u16_e32 0, v36
	s_cbranch_execz .LBB181_49
; %bb.42:                               ;   in Loop: Header=BB181_12 Depth=1
	v_mov_b64_e32 v[48:49], 0x8000000000000000
	s_mov_b32 s44, exec_lo
	v_cmpx_ne_u16_e32 0x80, v36
	s_cbranch_execz .LBB181_48
; %bb.43:                               ;   in Loop: Header=BB181_12 Depth=1
	v_and_b32_e32 v36, 0xffff, v36
	v_mov_b64_e32 v[48:49], 0x7f80000100000000
	s_mov_b32 s45, exec_lo
	s_delay_alu instid0(VALU_DEP_2) | instskip(NEXT) | instid1(VALU_DEP_1)
	v_and_b32_e32 v54, 0x7f, v36
	v_cmpx_ne_u32_e32 0x7f, v54
	s_cbranch_execz .LBB181_47
; %bb.44:                               ;   in Loop: Header=BB181_12 Depth=1
	v_dual_lshrrev_b32 v48, 3, v54 :: v_dual_bitop2_b32 v36, 7, v36 bitop3:0x40
	s_mov_b32 s46, exec_lo
	v_cmpx_gt_u32_e32 8, v54
; %bb.45:                               ;   in Loop: Header=BB181_12 Depth=1
	s_delay_alu instid0(VALU_DEP_2) | instskip(NEXT) | instid1(VALU_DEP_1)
	v_clz_i32_u32_e32 v48, v36
	v_min_u32_e32 v48, 32, v48
	s_delay_alu instid0(VALU_DEP_1) | instskip(NEXT) | instid1(VALU_DEP_1)
	v_subrev_nc_u32_e32 v49, 28, v48
	v_lshlrev_b64_e32 v[54:55], v49, v[36:37]
	s_delay_alu instid0(VALU_DEP_1)
	v_dual_sub_nc_u32 v48, 29, v48 :: v_dual_bitop2_b32 v36, 7, v54 bitop3:0x40
; %bb.46:                               ;   in Loop: Header=BB181_12 Depth=1
	s_or_b32 exec_lo, exec_lo, s46
	s_delay_alu instid0(VALU_DEP_1) | instskip(NEXT) | instid1(VALU_DEP_2)
	v_dual_lshlrev_b32 v39, 16, v39 :: v_dual_lshlrev_b32 v36, 20, v36
	v_lshl_add_u32 v48, v48, 23, 0x3c000000
	s_delay_alu instid0(VALU_DEP_2) | instskip(NEXT) | instid1(VALU_DEP_1)
	v_and_b32_e32 v39, 0x80000000, v39
	v_or3_b32 v49, v36, v39, v48
	v_mov_b32_e32 v48, v37
.LBB181_47:                             ;   in Loop: Header=BB181_12 Depth=1
	s_or_b32 exec_lo, exec_lo, s45
.LBB181_48:                             ;   in Loop: Header=BB181_12 Depth=1
	s_delay_alu instid0(SALU_CYCLE_1)
	s_or_b32 exec_lo, exec_lo, s44
.LBB181_49:                             ;   in Loop: Header=BB181_12 Depth=1
	s_delay_alu instid0(SALU_CYCLE_1)
	s_or_b32 exec_lo, exec_lo, s43
	global_load_u16 v36, v[52:53], off offset:8
	v_mov_b64_e32 v[54:55], 0
	v_mov_b64_e32 v[56:57], 0
	s_mov_b32 s43, exec_lo
	s_wait_loadcnt 0x0
	v_and_b32_e32 v58, 0xff, v36
	v_and_b32_e32 v39, 0xffff, v36
	s_delay_alu instid0(VALU_DEP_2)
	v_cmpx_ne_u16_e32 0, v58
	s_cbranch_execz .LBB181_57
; %bb.50:                               ;   in Loop: Header=BB181_12 Depth=1
	v_mov_b64_e32 v[56:57], 0x80000000
	s_delay_alu instid0(VALU_DEP_3) | instskip(SKIP_1) | instid1(VALU_DEP_1)
	v_and_b32_e32 v36, 0xff, v39
	s_mov_b32 s44, exec_lo
	v_cmpx_ne_u16_e32 0x80, v36
	s_cbranch_execz .LBB181_56
; %bb.51:                               ;   in Loop: Header=BB181_12 Depth=1
	v_mov_b64_e32 v[56:57], 0x7f800001
	v_and_b32_e32 v58, 0x7f, v39
	s_mov_b32 s45, exec_lo
	s_delay_alu instid0(VALU_DEP_1)
	v_cmpx_ne_u32_e32 0x7f, v58
	s_cbranch_execz .LBB181_55
; %bb.52:                               ;   in Loop: Header=BB181_12 Depth=1
	v_dual_lshrrev_b32 v56, 3, v58 :: v_dual_bitop2_b32 v36, 7, v39 bitop3:0x40
	s_mov_b32 s46, exec_lo
	v_cmpx_gt_u32_e32 8, v58
; %bb.53:                               ;   in Loop: Header=BB181_12 Depth=1
	s_delay_alu instid0(VALU_DEP_2) | instskip(NEXT) | instid1(VALU_DEP_1)
	v_clz_i32_u32_e32 v56, v36
	v_min_u32_e32 v56, 32, v56
	s_delay_alu instid0(VALU_DEP_1) | instskip(NEXT) | instid1(VALU_DEP_1)
	v_subrev_nc_u32_e32 v57, 28, v56
	v_lshlrev_b64_e32 v[58:59], v57, v[36:37]
	s_delay_alu instid0(VALU_DEP_1)
	v_dual_sub_nc_u32 v56, 29, v56 :: v_dual_bitop2_b32 v36, 7, v58 bitop3:0x40
; %bb.54:                               ;   in Loop: Header=BB181_12 Depth=1
	s_or_b32 exec_lo, exec_lo, s46
	s_delay_alu instid0(VALU_DEP_1) | instskip(NEXT) | instid1(VALU_DEP_2)
	v_dual_lshlrev_b32 v57, 24, v39 :: v_dual_lshlrev_b32 v36, 20, v36
	v_lshl_add_u32 v56, v56, 23, 0x3c000000
	s_delay_alu instid0(VALU_DEP_2) | instskip(NEXT) | instid1(VALU_DEP_1)
	v_and_b32_e32 v57, 0x80000000, v57
	v_or3_b32 v36, v36, v57, v56
	s_delay_alu instid0(VALU_DEP_1)
	v_mov_b64_e32 v[56:57], v[36:37]
.LBB181_55:                             ;   in Loop: Header=BB181_12 Depth=1
	s_or_b32 exec_lo, exec_lo, s45
.LBB181_56:                             ;   in Loop: Header=BB181_12 Depth=1
	s_delay_alu instid0(SALU_CYCLE_1)
	s_or_b32 exec_lo, exec_lo, s44
.LBB181_57:                             ;   in Loop: Header=BB181_12 Depth=1
	s_delay_alu instid0(SALU_CYCLE_1) | instskip(NEXT) | instid1(VALU_DEP_2)
	s_or_b32 exec_lo, exec_lo, s43
	v_lshrrev_b16 v36, 8, v39
	s_mov_b32 s43, exec_lo
	s_delay_alu instid0(VALU_DEP_1)
	v_cmpx_ne_u16_e32 0, v36
	s_cbranch_execz .LBB181_65
; %bb.58:                               ;   in Loop: Header=BB181_12 Depth=1
	v_mov_b64_e32 v[54:55], 0x8000000000000000
	s_mov_b32 s44, exec_lo
	v_cmpx_ne_u16_e32 0x80, v36
	s_cbranch_execz .LBB181_64
; %bb.59:                               ;   in Loop: Header=BB181_12 Depth=1
	v_and_b32_e32 v36, 0xffff, v36
	v_mov_b64_e32 v[54:55], 0x7f80000100000000
	s_mov_b32 s45, exec_lo
	s_delay_alu instid0(VALU_DEP_2) | instskip(NEXT) | instid1(VALU_DEP_1)
	v_and_b32_e32 v58, 0x7f, v36
	v_cmpx_ne_u32_e32 0x7f, v58
	s_cbranch_execz .LBB181_63
; %bb.60:                               ;   in Loop: Header=BB181_12 Depth=1
	v_dual_lshrrev_b32 v54, 3, v58 :: v_dual_bitop2_b32 v36, 7, v36 bitop3:0x40
	s_mov_b32 s46, exec_lo
	v_cmpx_gt_u32_e32 8, v58
; %bb.61:                               ;   in Loop: Header=BB181_12 Depth=1
	s_delay_alu instid0(VALU_DEP_2) | instskip(NEXT) | instid1(VALU_DEP_1)
	v_clz_i32_u32_e32 v54, v36
	v_min_u32_e32 v54, 32, v54
	s_delay_alu instid0(VALU_DEP_1) | instskip(SKIP_1) | instid1(VALU_DEP_2)
	v_subrev_nc_u32_e32 v55, 28, v54
	v_sub_nc_u32_e32 v54, 29, v54
	v_lshlrev_b64_e32 v[58:59], v55, v[36:37]
	s_delay_alu instid0(VALU_DEP_1)
	v_and_b32_e32 v36, 7, v58
; %bb.62:                               ;   in Loop: Header=BB181_12 Depth=1
	s_or_b32 exec_lo, exec_lo, s46
	s_delay_alu instid0(VALU_DEP_1) | instskip(SKIP_1) | instid1(VALU_DEP_2)
	v_dual_lshlrev_b32 v39, 16, v39 :: v_dual_lshlrev_b32 v36, 20, v36
	v_lshl_add_u32 v54, v54, 23, 0x3c000000
	v_and_b32_e32 v39, 0x80000000, v39
	s_delay_alu instid0(VALU_DEP_1)
	v_or3_b32 v55, v36, v39, v54
	v_mov_b32_e32 v54, v37
.LBB181_63:                             ;   in Loop: Header=BB181_12 Depth=1
	s_or_b32 exec_lo, exec_lo, s45
.LBB181_64:                             ;   in Loop: Header=BB181_12 Depth=1
	s_delay_alu instid0(SALU_CYCLE_1)
	s_or_b32 exec_lo, exec_lo, s44
.LBB181_65:                             ;   in Loop: Header=BB181_12 Depth=1
	s_delay_alu instid0(SALU_CYCLE_1)
	s_or_b32 exec_lo, exec_lo, s43
	global_load_u16 v36, v[52:53], off offset:12
	v_mov_b64_e32 v[58:59], 0
	v_mov_b64_e32 v[60:61], 0
	s_mov_b32 s43, exec_lo
	s_wait_loadcnt 0x0
	v_and_b32_e32 v62, 0xff, v36
	v_and_b32_e32 v39, 0xffff, v36
	s_delay_alu instid0(VALU_DEP_2)
	v_cmpx_ne_u16_e32 0, v62
	s_cbranch_execz .LBB181_73
; %bb.66:                               ;   in Loop: Header=BB181_12 Depth=1
	v_mov_b64_e32 v[60:61], 0x80000000
	s_delay_alu instid0(VALU_DEP_3) | instskip(SKIP_1) | instid1(VALU_DEP_1)
	v_and_b32_e32 v36, 0xff, v39
	s_mov_b32 s44, exec_lo
	v_cmpx_ne_u16_e32 0x80, v36
	s_cbranch_execz .LBB181_72
; %bb.67:                               ;   in Loop: Header=BB181_12 Depth=1
	v_mov_b64_e32 v[60:61], 0x7f800001
	v_and_b32_e32 v62, 0x7f, v39
	s_mov_b32 s45, exec_lo
	s_delay_alu instid0(VALU_DEP_1)
	v_cmpx_ne_u32_e32 0x7f, v62
	s_cbranch_execz .LBB181_71
; %bb.68:                               ;   in Loop: Header=BB181_12 Depth=1
	v_dual_lshrrev_b32 v60, 3, v62 :: v_dual_bitop2_b32 v36, 7, v39 bitop3:0x40
	s_mov_b32 s46, exec_lo
	v_cmpx_gt_u32_e32 8, v62
; %bb.69:                               ;   in Loop: Header=BB181_12 Depth=1
	s_delay_alu instid0(VALU_DEP_2) | instskip(NEXT) | instid1(VALU_DEP_1)
	v_clz_i32_u32_e32 v60, v36
	v_min_u32_e32 v60, 32, v60
	s_delay_alu instid0(VALU_DEP_1) | instskip(NEXT) | instid1(VALU_DEP_1)
	v_subrev_nc_u32_e32 v61, 28, v60
	v_lshlrev_b64_e32 v[62:63], v61, v[36:37]
	s_delay_alu instid0(VALU_DEP_1)
	v_dual_sub_nc_u32 v60, 29, v60 :: v_dual_bitop2_b32 v36, 7, v62 bitop3:0x40
; %bb.70:                               ;   in Loop: Header=BB181_12 Depth=1
	s_or_b32 exec_lo, exec_lo, s46
	s_delay_alu instid0(VALU_DEP_1) | instskip(NEXT) | instid1(VALU_DEP_2)
	v_dual_lshlrev_b32 v61, 24, v39 :: v_dual_lshlrev_b32 v36, 20, v36
	v_lshl_add_u32 v60, v60, 23, 0x3c000000
	s_delay_alu instid0(VALU_DEP_2) | instskip(NEXT) | instid1(VALU_DEP_1)
	v_and_b32_e32 v61, 0x80000000, v61
	v_or3_b32 v36, v36, v61, v60
	s_delay_alu instid0(VALU_DEP_1)
	v_mov_b64_e32 v[60:61], v[36:37]
.LBB181_71:                             ;   in Loop: Header=BB181_12 Depth=1
	s_or_b32 exec_lo, exec_lo, s45
.LBB181_72:                             ;   in Loop: Header=BB181_12 Depth=1
	s_delay_alu instid0(SALU_CYCLE_1)
	s_or_b32 exec_lo, exec_lo, s44
.LBB181_73:                             ;   in Loop: Header=BB181_12 Depth=1
	s_delay_alu instid0(SALU_CYCLE_1) | instskip(NEXT) | instid1(VALU_DEP_2)
	s_or_b32 exec_lo, exec_lo, s43
	v_lshrrev_b16 v36, 8, v39
	s_mov_b32 s43, exec_lo
	s_delay_alu instid0(VALU_DEP_1)
	v_cmpx_ne_u16_e32 0, v36
	s_cbranch_execz .LBB181_81
; %bb.74:                               ;   in Loop: Header=BB181_12 Depth=1
	v_mov_b64_e32 v[58:59], 0x8000000000000000
	s_mov_b32 s44, exec_lo
	v_cmpx_ne_u16_e32 0x80, v36
	s_cbranch_execz .LBB181_80
; %bb.75:                               ;   in Loop: Header=BB181_12 Depth=1
	v_and_b32_e32 v36, 0xffff, v36
	v_mov_b64_e32 v[58:59], 0x7f80000100000000
	s_mov_b32 s45, exec_lo
	s_delay_alu instid0(VALU_DEP_2) | instskip(NEXT) | instid1(VALU_DEP_1)
	v_and_b32_e32 v62, 0x7f, v36
	v_cmpx_ne_u32_e32 0x7f, v62
	s_cbranch_execz .LBB181_79
; %bb.76:                               ;   in Loop: Header=BB181_12 Depth=1
	v_dual_lshrrev_b32 v58, 3, v62 :: v_dual_bitop2_b32 v36, 7, v36 bitop3:0x40
	s_mov_b32 s46, exec_lo
	v_cmpx_gt_u32_e32 8, v62
; %bb.77:                               ;   in Loop: Header=BB181_12 Depth=1
	s_delay_alu instid0(VALU_DEP_2) | instskip(NEXT) | instid1(VALU_DEP_1)
	v_clz_i32_u32_e32 v58, v36
	v_min_u32_e32 v58, 32, v58
	s_delay_alu instid0(VALU_DEP_1) | instskip(SKIP_1) | instid1(VALU_DEP_2)
	v_subrev_nc_u32_e32 v59, 28, v58
	v_sub_nc_u32_e32 v58, 29, v58
	v_lshlrev_b64_e32 v[62:63], v59, v[36:37]
	s_delay_alu instid0(VALU_DEP_1)
	v_and_b32_e32 v36, 7, v62
; %bb.78:                               ;   in Loop: Header=BB181_12 Depth=1
	s_or_b32 exec_lo, exec_lo, s46
	s_delay_alu instid0(VALU_DEP_1) | instskip(SKIP_1) | instid1(VALU_DEP_2)
	v_dual_lshlrev_b32 v39, 16, v39 :: v_dual_lshlrev_b32 v36, 20, v36
	v_lshl_add_u32 v58, v58, 23, 0x3c000000
	v_and_b32_e32 v39, 0x80000000, v39
	s_delay_alu instid0(VALU_DEP_1)
	v_or3_b32 v59, v36, v39, v58
	v_mov_b32_e32 v58, v37
.LBB181_79:                             ;   in Loop: Header=BB181_12 Depth=1
	s_or_b32 exec_lo, exec_lo, s45
.LBB181_80:                             ;   in Loop: Header=BB181_12 Depth=1
	s_delay_alu instid0(SALU_CYCLE_1)
	s_or_b32 exec_lo, exec_lo, s44
.LBB181_81:                             ;   in Loop: Header=BB181_12 Depth=1
	s_delay_alu instid0(SALU_CYCLE_1)
	s_or_b32 exec_lo, exec_lo, s43
	global_load_u16 v36, v[52:53], off offset:256
	v_mov_b64_e32 v[62:63], 0
	v_mov_b64_e32 v[64:65], 0
	s_mov_b32 s43, exec_lo
	s_wait_loadcnt 0x0
	v_and_b32_e32 v66, 0xff, v36
	v_and_b32_e32 v39, 0xffff, v36
	s_delay_alu instid0(VALU_DEP_2)
	v_cmpx_ne_u16_e32 0, v66
	s_cbranch_execz .LBB181_89
; %bb.82:                               ;   in Loop: Header=BB181_12 Depth=1
	v_mov_b64_e32 v[64:65], 0x80000000
	s_delay_alu instid0(VALU_DEP_3) | instskip(SKIP_1) | instid1(VALU_DEP_1)
	v_and_b32_e32 v36, 0xff, v39
	s_mov_b32 s44, exec_lo
	v_cmpx_ne_u16_e32 0x80, v36
	s_cbranch_execz .LBB181_88
; %bb.83:                               ;   in Loop: Header=BB181_12 Depth=1
	v_mov_b64_e32 v[64:65], 0x7f800001
	v_and_b32_e32 v66, 0x7f, v39
	s_mov_b32 s45, exec_lo
	s_delay_alu instid0(VALU_DEP_1)
	v_cmpx_ne_u32_e32 0x7f, v66
	s_cbranch_execz .LBB181_87
; %bb.84:                               ;   in Loop: Header=BB181_12 Depth=1
	v_dual_lshrrev_b32 v64, 3, v66 :: v_dual_bitop2_b32 v36, 7, v39 bitop3:0x40
	s_mov_b32 s46, exec_lo
	v_cmpx_gt_u32_e32 8, v66
; %bb.85:                               ;   in Loop: Header=BB181_12 Depth=1
	s_delay_alu instid0(VALU_DEP_2) | instskip(NEXT) | instid1(VALU_DEP_1)
	v_clz_i32_u32_e32 v64, v36
	v_min_u32_e32 v64, 32, v64
	s_delay_alu instid0(VALU_DEP_1) | instskip(NEXT) | instid1(VALU_DEP_1)
	v_subrev_nc_u32_e32 v65, 28, v64
	v_lshlrev_b64_e32 v[66:67], v65, v[36:37]
	s_delay_alu instid0(VALU_DEP_1)
	v_dual_sub_nc_u32 v64, 29, v64 :: v_dual_bitop2_b32 v36, 7, v66 bitop3:0x40
; %bb.86:                               ;   in Loop: Header=BB181_12 Depth=1
	s_or_b32 exec_lo, exec_lo, s46
	s_delay_alu instid0(VALU_DEP_1) | instskip(NEXT) | instid1(VALU_DEP_2)
	v_dual_lshlrev_b32 v65, 24, v39 :: v_dual_lshlrev_b32 v36, 20, v36
	v_lshl_add_u32 v64, v64, 23, 0x3c000000
	s_delay_alu instid0(VALU_DEP_2) | instskip(NEXT) | instid1(VALU_DEP_1)
	v_and_b32_e32 v65, 0x80000000, v65
	v_or3_b32 v36, v36, v65, v64
	s_delay_alu instid0(VALU_DEP_1)
	v_mov_b64_e32 v[64:65], v[36:37]
.LBB181_87:                             ;   in Loop: Header=BB181_12 Depth=1
	s_or_b32 exec_lo, exec_lo, s45
.LBB181_88:                             ;   in Loop: Header=BB181_12 Depth=1
	s_delay_alu instid0(SALU_CYCLE_1)
	s_or_b32 exec_lo, exec_lo, s44
.LBB181_89:                             ;   in Loop: Header=BB181_12 Depth=1
	s_delay_alu instid0(SALU_CYCLE_1) | instskip(NEXT) | instid1(VALU_DEP_2)
	s_or_b32 exec_lo, exec_lo, s43
	v_lshrrev_b16 v36, 8, v39
	s_mov_b32 s43, exec_lo
	s_delay_alu instid0(VALU_DEP_1)
	v_cmpx_ne_u16_e32 0, v36
	s_cbranch_execz .LBB181_97
; %bb.90:                               ;   in Loop: Header=BB181_12 Depth=1
	v_mov_b64_e32 v[62:63], 0x8000000000000000
	s_mov_b32 s44, exec_lo
	v_cmpx_ne_u16_e32 0x80, v36
	s_cbranch_execz .LBB181_96
; %bb.91:                               ;   in Loop: Header=BB181_12 Depth=1
	v_and_b32_e32 v36, 0xffff, v36
	v_mov_b64_e32 v[62:63], 0x7f80000100000000
	s_mov_b32 s45, exec_lo
	s_delay_alu instid0(VALU_DEP_2) | instskip(NEXT) | instid1(VALU_DEP_1)
	v_and_b32_e32 v66, 0x7f, v36
	v_cmpx_ne_u32_e32 0x7f, v66
	s_cbranch_execz .LBB181_95
; %bb.92:                               ;   in Loop: Header=BB181_12 Depth=1
	v_dual_lshrrev_b32 v62, 3, v66 :: v_dual_bitop2_b32 v36, 7, v36 bitop3:0x40
	s_mov_b32 s46, exec_lo
	v_cmpx_gt_u32_e32 8, v66
; %bb.93:                               ;   in Loop: Header=BB181_12 Depth=1
	s_delay_alu instid0(VALU_DEP_2) | instskip(NEXT) | instid1(VALU_DEP_1)
	v_clz_i32_u32_e32 v62, v36
	v_min_u32_e32 v62, 32, v62
	s_delay_alu instid0(VALU_DEP_1) | instskip(SKIP_1) | instid1(VALU_DEP_2)
	v_subrev_nc_u32_e32 v63, 28, v62
	v_sub_nc_u32_e32 v62, 29, v62
	v_lshlrev_b64_e32 v[66:67], v63, v[36:37]
	s_delay_alu instid0(VALU_DEP_1)
	v_and_b32_e32 v36, 7, v66
; %bb.94:                               ;   in Loop: Header=BB181_12 Depth=1
	s_or_b32 exec_lo, exec_lo, s46
	s_delay_alu instid0(VALU_DEP_1) | instskip(SKIP_1) | instid1(VALU_DEP_2)
	v_dual_lshlrev_b32 v39, 16, v39 :: v_dual_lshlrev_b32 v36, 20, v36
	v_lshl_add_u32 v62, v62, 23, 0x3c000000
	v_and_b32_e32 v39, 0x80000000, v39
	s_delay_alu instid0(VALU_DEP_1)
	v_or3_b32 v63, v36, v39, v62
	v_mov_b32_e32 v62, v37
.LBB181_95:                             ;   in Loop: Header=BB181_12 Depth=1
	s_or_b32 exec_lo, exec_lo, s45
.LBB181_96:                             ;   in Loop: Header=BB181_12 Depth=1
	s_delay_alu instid0(SALU_CYCLE_1)
	s_or_b32 exec_lo, exec_lo, s44
.LBB181_97:                             ;   in Loop: Header=BB181_12 Depth=1
	s_delay_alu instid0(SALU_CYCLE_1)
	s_or_b32 exec_lo, exec_lo, s43
	global_load_u16 v36, v[52:53], off offset:260
	v_mov_b64_e32 v[66:67], 0
	v_mov_b64_e32 v[68:69], 0
	s_mov_b32 s43, exec_lo
	s_wait_loadcnt 0x0
	v_and_b32_e32 v70, 0xff, v36
	v_and_b32_e32 v39, 0xffff, v36
	s_delay_alu instid0(VALU_DEP_2)
	v_cmpx_ne_u16_e32 0, v70
	s_cbranch_execz .LBB181_105
; %bb.98:                               ;   in Loop: Header=BB181_12 Depth=1
	v_mov_b64_e32 v[68:69], 0x80000000
	s_delay_alu instid0(VALU_DEP_3) | instskip(SKIP_1) | instid1(VALU_DEP_1)
	v_and_b32_e32 v36, 0xff, v39
	s_mov_b32 s44, exec_lo
	v_cmpx_ne_u16_e32 0x80, v36
	s_cbranch_execz .LBB181_104
; %bb.99:                               ;   in Loop: Header=BB181_12 Depth=1
	v_mov_b64_e32 v[68:69], 0x7f800001
	v_and_b32_e32 v70, 0x7f, v39
	s_mov_b32 s45, exec_lo
	s_delay_alu instid0(VALU_DEP_1)
	v_cmpx_ne_u32_e32 0x7f, v70
	s_cbranch_execz .LBB181_103
; %bb.100:                              ;   in Loop: Header=BB181_12 Depth=1
	v_dual_lshrrev_b32 v68, 3, v70 :: v_dual_bitop2_b32 v36, 7, v39 bitop3:0x40
	s_mov_b32 s46, exec_lo
	v_cmpx_gt_u32_e32 8, v70
; %bb.101:                              ;   in Loop: Header=BB181_12 Depth=1
	s_delay_alu instid0(VALU_DEP_2) | instskip(NEXT) | instid1(VALU_DEP_1)
	v_clz_i32_u32_e32 v68, v36
	v_min_u32_e32 v68, 32, v68
	s_delay_alu instid0(VALU_DEP_1) | instskip(NEXT) | instid1(VALU_DEP_1)
	v_subrev_nc_u32_e32 v69, 28, v68
	v_lshlrev_b64_e32 v[70:71], v69, v[36:37]
	s_delay_alu instid0(VALU_DEP_1)
	v_dual_sub_nc_u32 v68, 29, v68 :: v_dual_bitop2_b32 v36, 7, v70 bitop3:0x40
; %bb.102:                              ;   in Loop: Header=BB181_12 Depth=1
	s_or_b32 exec_lo, exec_lo, s46
	s_delay_alu instid0(VALU_DEP_1) | instskip(NEXT) | instid1(VALU_DEP_2)
	v_dual_lshlrev_b32 v69, 24, v39 :: v_dual_lshlrev_b32 v36, 20, v36
	v_lshl_add_u32 v68, v68, 23, 0x3c000000
	s_delay_alu instid0(VALU_DEP_2) | instskip(NEXT) | instid1(VALU_DEP_1)
	v_and_b32_e32 v69, 0x80000000, v69
	v_or3_b32 v36, v36, v69, v68
	s_delay_alu instid0(VALU_DEP_1)
	v_mov_b64_e32 v[68:69], v[36:37]
.LBB181_103:                            ;   in Loop: Header=BB181_12 Depth=1
	s_or_b32 exec_lo, exec_lo, s45
.LBB181_104:                            ;   in Loop: Header=BB181_12 Depth=1
	s_delay_alu instid0(SALU_CYCLE_1)
	s_or_b32 exec_lo, exec_lo, s44
.LBB181_105:                            ;   in Loop: Header=BB181_12 Depth=1
	s_delay_alu instid0(SALU_CYCLE_1) | instskip(NEXT) | instid1(VALU_DEP_2)
	s_or_b32 exec_lo, exec_lo, s43
	v_lshrrev_b16 v36, 8, v39
	s_mov_b32 s43, exec_lo
	s_delay_alu instid0(VALU_DEP_1)
	v_cmpx_ne_u16_e32 0, v36
	s_cbranch_execz .LBB181_113
; %bb.106:                              ;   in Loop: Header=BB181_12 Depth=1
	v_mov_b64_e32 v[66:67], 0x8000000000000000
	s_mov_b32 s44, exec_lo
	v_cmpx_ne_u16_e32 0x80, v36
	s_cbranch_execz .LBB181_112
; %bb.107:                              ;   in Loop: Header=BB181_12 Depth=1
	v_and_b32_e32 v36, 0xffff, v36
	v_mov_b64_e32 v[66:67], 0x7f80000100000000
	s_mov_b32 s45, exec_lo
	s_delay_alu instid0(VALU_DEP_2) | instskip(NEXT) | instid1(VALU_DEP_1)
	v_and_b32_e32 v70, 0x7f, v36
	v_cmpx_ne_u32_e32 0x7f, v70
	s_cbranch_execz .LBB181_111
; %bb.108:                              ;   in Loop: Header=BB181_12 Depth=1
	v_dual_lshrrev_b32 v66, 3, v70 :: v_dual_bitop2_b32 v36, 7, v36 bitop3:0x40
	s_mov_b32 s46, exec_lo
	v_cmpx_gt_u32_e32 8, v70
; %bb.109:                              ;   in Loop: Header=BB181_12 Depth=1
	s_delay_alu instid0(VALU_DEP_2) | instskip(NEXT) | instid1(VALU_DEP_1)
	v_clz_i32_u32_e32 v66, v36
	v_min_u32_e32 v66, 32, v66
	s_delay_alu instid0(VALU_DEP_1) | instskip(SKIP_1) | instid1(VALU_DEP_2)
	v_subrev_nc_u32_e32 v67, 28, v66
	v_sub_nc_u32_e32 v66, 29, v66
	v_lshlrev_b64_e32 v[70:71], v67, v[36:37]
	s_delay_alu instid0(VALU_DEP_1)
	v_and_b32_e32 v36, 7, v70
; %bb.110:                              ;   in Loop: Header=BB181_12 Depth=1
	s_or_b32 exec_lo, exec_lo, s46
	s_delay_alu instid0(VALU_DEP_1) | instskip(SKIP_1) | instid1(VALU_DEP_2)
	v_dual_lshlrev_b32 v39, 16, v39 :: v_dual_lshlrev_b32 v36, 20, v36
	v_lshl_add_u32 v66, v66, 23, 0x3c000000
	v_and_b32_e32 v39, 0x80000000, v39
	s_delay_alu instid0(VALU_DEP_1)
	v_or3_b32 v67, v36, v39, v66
	v_mov_b32_e32 v66, v37
.LBB181_111:                            ;   in Loop: Header=BB181_12 Depth=1
	s_or_b32 exec_lo, exec_lo, s45
.LBB181_112:                            ;   in Loop: Header=BB181_12 Depth=1
	s_delay_alu instid0(SALU_CYCLE_1)
	s_or_b32 exec_lo, exec_lo, s44
.LBB181_113:                            ;   in Loop: Header=BB181_12 Depth=1
	s_delay_alu instid0(SALU_CYCLE_1)
	s_or_b32 exec_lo, exec_lo, s43
	global_load_u16 v36, v[52:53], off offset:264
	v_mov_b64_e32 v[70:71], 0
	v_mov_b64_e32 v[72:73], 0
	s_mov_b32 s43, exec_lo
	s_wait_loadcnt 0x0
	v_and_b32_e32 v74, 0xff, v36
	v_and_b32_e32 v39, 0xffff, v36
	s_delay_alu instid0(VALU_DEP_2)
	v_cmpx_ne_u16_e32 0, v74
	s_cbranch_execz .LBB181_121
; %bb.114:                              ;   in Loop: Header=BB181_12 Depth=1
	v_mov_b64_e32 v[72:73], 0x80000000
	s_delay_alu instid0(VALU_DEP_3) | instskip(SKIP_1) | instid1(VALU_DEP_1)
	v_and_b32_e32 v36, 0xff, v39
	s_mov_b32 s44, exec_lo
	v_cmpx_ne_u16_e32 0x80, v36
	s_cbranch_execz .LBB181_120
; %bb.115:                              ;   in Loop: Header=BB181_12 Depth=1
	v_mov_b64_e32 v[72:73], 0x7f800001
	v_and_b32_e32 v74, 0x7f, v39
	s_mov_b32 s45, exec_lo
	s_delay_alu instid0(VALU_DEP_1)
	v_cmpx_ne_u32_e32 0x7f, v74
	s_cbranch_execz .LBB181_119
; %bb.116:                              ;   in Loop: Header=BB181_12 Depth=1
	v_dual_lshrrev_b32 v72, 3, v74 :: v_dual_bitop2_b32 v36, 7, v39 bitop3:0x40
	s_mov_b32 s46, exec_lo
	v_cmpx_gt_u32_e32 8, v74
; %bb.117:                              ;   in Loop: Header=BB181_12 Depth=1
	s_delay_alu instid0(VALU_DEP_2) | instskip(NEXT) | instid1(VALU_DEP_1)
	v_clz_i32_u32_e32 v72, v36
	v_min_u32_e32 v72, 32, v72
	s_delay_alu instid0(VALU_DEP_1) | instskip(NEXT) | instid1(VALU_DEP_1)
	v_subrev_nc_u32_e32 v73, 28, v72
	v_lshlrev_b64_e32 v[74:75], v73, v[36:37]
	s_delay_alu instid0(VALU_DEP_1)
	v_dual_sub_nc_u32 v72, 29, v72 :: v_dual_bitop2_b32 v36, 7, v74 bitop3:0x40
; %bb.118:                              ;   in Loop: Header=BB181_12 Depth=1
	s_or_b32 exec_lo, exec_lo, s46
	s_delay_alu instid0(VALU_DEP_1) | instskip(NEXT) | instid1(VALU_DEP_2)
	v_dual_lshlrev_b32 v73, 24, v39 :: v_dual_lshlrev_b32 v36, 20, v36
	v_lshl_add_u32 v72, v72, 23, 0x3c000000
	s_delay_alu instid0(VALU_DEP_2) | instskip(NEXT) | instid1(VALU_DEP_1)
	v_and_b32_e32 v73, 0x80000000, v73
	v_or3_b32 v36, v36, v73, v72
	s_delay_alu instid0(VALU_DEP_1)
	v_mov_b64_e32 v[72:73], v[36:37]
.LBB181_119:                            ;   in Loop: Header=BB181_12 Depth=1
	s_or_b32 exec_lo, exec_lo, s45
.LBB181_120:                            ;   in Loop: Header=BB181_12 Depth=1
	s_delay_alu instid0(SALU_CYCLE_1)
	s_or_b32 exec_lo, exec_lo, s44
.LBB181_121:                            ;   in Loop: Header=BB181_12 Depth=1
	s_delay_alu instid0(SALU_CYCLE_1) | instskip(NEXT) | instid1(VALU_DEP_2)
	s_or_b32 exec_lo, exec_lo, s43
	v_lshrrev_b16 v36, 8, v39
	s_mov_b32 s43, exec_lo
	s_delay_alu instid0(VALU_DEP_1)
	v_cmpx_ne_u16_e32 0, v36
	s_cbranch_execz .LBB181_129
; %bb.122:                              ;   in Loop: Header=BB181_12 Depth=1
	v_mov_b64_e32 v[70:71], 0x8000000000000000
	s_mov_b32 s44, exec_lo
	v_cmpx_ne_u16_e32 0x80, v36
	s_cbranch_execz .LBB181_128
; %bb.123:                              ;   in Loop: Header=BB181_12 Depth=1
	v_and_b32_e32 v36, 0xffff, v36
	v_mov_b64_e32 v[70:71], 0x7f80000100000000
	s_mov_b32 s45, exec_lo
	s_delay_alu instid0(VALU_DEP_2) | instskip(NEXT) | instid1(VALU_DEP_1)
	v_and_b32_e32 v74, 0x7f, v36
	v_cmpx_ne_u32_e32 0x7f, v74
	s_cbranch_execz .LBB181_127
; %bb.124:                              ;   in Loop: Header=BB181_12 Depth=1
	v_dual_lshrrev_b32 v70, 3, v74 :: v_dual_bitop2_b32 v36, 7, v36 bitop3:0x40
	s_mov_b32 s46, exec_lo
	v_cmpx_gt_u32_e32 8, v74
; %bb.125:                              ;   in Loop: Header=BB181_12 Depth=1
	s_delay_alu instid0(VALU_DEP_2) | instskip(NEXT) | instid1(VALU_DEP_1)
	v_clz_i32_u32_e32 v70, v36
	v_min_u32_e32 v70, 32, v70
	s_delay_alu instid0(VALU_DEP_1) | instskip(SKIP_1) | instid1(VALU_DEP_2)
	v_subrev_nc_u32_e32 v71, 28, v70
	v_sub_nc_u32_e32 v70, 29, v70
	v_lshlrev_b64_e32 v[74:75], v71, v[36:37]
	s_delay_alu instid0(VALU_DEP_1)
	v_and_b32_e32 v36, 7, v74
; %bb.126:                              ;   in Loop: Header=BB181_12 Depth=1
	s_or_b32 exec_lo, exec_lo, s46
	s_delay_alu instid0(VALU_DEP_1) | instskip(SKIP_1) | instid1(VALU_DEP_2)
	v_dual_lshlrev_b32 v39, 16, v39 :: v_dual_lshlrev_b32 v36, 20, v36
	v_lshl_add_u32 v70, v70, 23, 0x3c000000
	v_and_b32_e32 v39, 0x80000000, v39
	s_delay_alu instid0(VALU_DEP_1)
	v_or3_b32 v71, v36, v39, v70
	v_mov_b32_e32 v70, v37
.LBB181_127:                            ;   in Loop: Header=BB181_12 Depth=1
	s_or_b32 exec_lo, exec_lo, s45
.LBB181_128:                            ;   in Loop: Header=BB181_12 Depth=1
	s_delay_alu instid0(SALU_CYCLE_1)
	s_or_b32 exec_lo, exec_lo, s44
.LBB181_129:                            ;   in Loop: Header=BB181_12 Depth=1
	s_delay_alu instid0(SALU_CYCLE_1)
	s_or_b32 exec_lo, exec_lo, s43
	global_load_u16 v36, v[52:53], off offset:268
	v_mov_b64_e32 v[74:75], 0
	v_mov_b64_e32 v[76:77], 0
	s_mov_b32 s43, exec_lo
	s_wait_loadcnt 0x0
	v_and_b32_e32 v78, 0xff, v36
	v_and_b32_e32 v39, 0xffff, v36
	s_delay_alu instid0(VALU_DEP_2)
	v_cmpx_ne_u16_e32 0, v78
	s_cbranch_execz .LBB181_137
; %bb.130:                              ;   in Loop: Header=BB181_12 Depth=1
	v_mov_b64_e32 v[76:77], 0x80000000
	s_delay_alu instid0(VALU_DEP_3) | instskip(SKIP_1) | instid1(VALU_DEP_1)
	v_and_b32_e32 v36, 0xff, v39
	s_mov_b32 s44, exec_lo
	v_cmpx_ne_u16_e32 0x80, v36
	s_cbranch_execz .LBB181_136
; %bb.131:                              ;   in Loop: Header=BB181_12 Depth=1
	v_mov_b64_e32 v[76:77], 0x7f800001
	v_and_b32_e32 v78, 0x7f, v39
	s_mov_b32 s45, exec_lo
	s_delay_alu instid0(VALU_DEP_1)
	v_cmpx_ne_u32_e32 0x7f, v78
	s_cbranch_execz .LBB181_135
; %bb.132:                              ;   in Loop: Header=BB181_12 Depth=1
	v_dual_lshrrev_b32 v76, 3, v78 :: v_dual_bitop2_b32 v36, 7, v39 bitop3:0x40
	s_mov_b32 s46, exec_lo
	v_cmpx_gt_u32_e32 8, v78
; %bb.133:                              ;   in Loop: Header=BB181_12 Depth=1
	s_delay_alu instid0(VALU_DEP_2) | instskip(NEXT) | instid1(VALU_DEP_1)
	v_clz_i32_u32_e32 v76, v36
	v_min_u32_e32 v76, 32, v76
	s_delay_alu instid0(VALU_DEP_1) | instskip(NEXT) | instid1(VALU_DEP_1)
	v_subrev_nc_u32_e32 v77, 28, v76
	v_lshlrev_b64_e32 v[78:79], v77, v[36:37]
	s_delay_alu instid0(VALU_DEP_1)
	v_dual_sub_nc_u32 v76, 29, v76 :: v_dual_bitop2_b32 v36, 7, v78 bitop3:0x40
; %bb.134:                              ;   in Loop: Header=BB181_12 Depth=1
	s_or_b32 exec_lo, exec_lo, s46
	s_delay_alu instid0(VALU_DEP_1) | instskip(NEXT) | instid1(VALU_DEP_2)
	v_dual_lshlrev_b32 v77, 24, v39 :: v_dual_lshlrev_b32 v36, 20, v36
	v_lshl_add_u32 v76, v76, 23, 0x3c000000
	s_delay_alu instid0(VALU_DEP_2) | instskip(NEXT) | instid1(VALU_DEP_1)
	v_and_b32_e32 v77, 0x80000000, v77
	v_or3_b32 v36, v36, v77, v76
	s_delay_alu instid0(VALU_DEP_1)
	v_mov_b64_e32 v[76:77], v[36:37]
.LBB181_135:                            ;   in Loop: Header=BB181_12 Depth=1
	s_or_b32 exec_lo, exec_lo, s45
.LBB181_136:                            ;   in Loop: Header=BB181_12 Depth=1
	s_delay_alu instid0(SALU_CYCLE_1)
	s_or_b32 exec_lo, exec_lo, s44
.LBB181_137:                            ;   in Loop: Header=BB181_12 Depth=1
	s_delay_alu instid0(SALU_CYCLE_1) | instskip(NEXT) | instid1(VALU_DEP_2)
	s_or_b32 exec_lo, exec_lo, s43
	v_lshrrev_b16 v36, 8, v39
	s_mov_b32 s43, exec_lo
	s_delay_alu instid0(VALU_DEP_1)
	v_cmpx_ne_u16_e32 0, v36
	s_cbranch_execz .LBB181_145
; %bb.138:                              ;   in Loop: Header=BB181_12 Depth=1
	v_mov_b64_e32 v[74:75], 0x8000000000000000
	s_mov_b32 s44, exec_lo
	v_cmpx_ne_u16_e32 0x80, v36
	s_cbranch_execz .LBB181_144
; %bb.139:                              ;   in Loop: Header=BB181_12 Depth=1
	v_and_b32_e32 v36, 0xffff, v36
	v_mov_b64_e32 v[74:75], 0x7f80000100000000
	s_mov_b32 s45, exec_lo
	s_delay_alu instid0(VALU_DEP_2) | instskip(NEXT) | instid1(VALU_DEP_1)
	v_and_b32_e32 v78, 0x7f, v36
	v_cmpx_ne_u32_e32 0x7f, v78
	s_cbranch_execz .LBB181_143
; %bb.140:                              ;   in Loop: Header=BB181_12 Depth=1
	v_dual_lshrrev_b32 v74, 3, v78 :: v_dual_bitop2_b32 v36, 7, v36 bitop3:0x40
	s_mov_b32 s46, exec_lo
	v_cmpx_gt_u32_e32 8, v78
; %bb.141:                              ;   in Loop: Header=BB181_12 Depth=1
	s_delay_alu instid0(VALU_DEP_2) | instskip(NEXT) | instid1(VALU_DEP_1)
	v_clz_i32_u32_e32 v74, v36
	v_min_u32_e32 v74, 32, v74
	s_delay_alu instid0(VALU_DEP_1) | instskip(SKIP_1) | instid1(VALU_DEP_2)
	v_subrev_nc_u32_e32 v75, 28, v74
	v_sub_nc_u32_e32 v74, 29, v74
	v_lshlrev_b64_e32 v[78:79], v75, v[36:37]
	s_delay_alu instid0(VALU_DEP_1)
	v_and_b32_e32 v36, 7, v78
; %bb.142:                              ;   in Loop: Header=BB181_12 Depth=1
	s_or_b32 exec_lo, exec_lo, s46
	s_delay_alu instid0(VALU_DEP_1) | instskip(SKIP_1) | instid1(VALU_DEP_2)
	v_dual_lshlrev_b32 v39, 16, v39 :: v_dual_lshlrev_b32 v36, 20, v36
	v_lshl_add_u32 v74, v74, 23, 0x3c000000
	v_and_b32_e32 v39, 0x80000000, v39
	s_delay_alu instid0(VALU_DEP_1)
	v_or3_b32 v75, v36, v39, v74
	v_mov_b32_e32 v74, v37
.LBB181_143:                            ;   in Loop: Header=BB181_12 Depth=1
	s_or_b32 exec_lo, exec_lo, s45
.LBB181_144:                            ;   in Loop: Header=BB181_12 Depth=1
	s_delay_alu instid0(SALU_CYCLE_1)
	s_or_b32 exec_lo, exec_lo, s44
.LBB181_145:                            ;   in Loop: Header=BB181_12 Depth=1
	s_delay_alu instid0(SALU_CYCLE_1)
	s_or_b32 exec_lo, exec_lo, s43
	global_load_u16 v36, v[52:53], off offset:512
	v_mov_b64_e32 v[78:79], 0
	v_mov_b64_e32 v[80:81], 0
	s_mov_b32 s43, exec_lo
	s_wait_loadcnt 0x0
	v_and_b32_e32 v82, 0xff, v36
	v_and_b32_e32 v39, 0xffff, v36
	s_delay_alu instid0(VALU_DEP_2)
	v_cmpx_ne_u16_e32 0, v82
	s_cbranch_execz .LBB181_153
; %bb.146:                              ;   in Loop: Header=BB181_12 Depth=1
	v_mov_b64_e32 v[80:81], 0x80000000
	s_delay_alu instid0(VALU_DEP_3) | instskip(SKIP_1) | instid1(VALU_DEP_1)
	v_and_b32_e32 v36, 0xff, v39
	s_mov_b32 s44, exec_lo
	v_cmpx_ne_u16_e32 0x80, v36
	s_cbranch_execz .LBB181_152
; %bb.147:                              ;   in Loop: Header=BB181_12 Depth=1
	v_mov_b64_e32 v[80:81], 0x7f800001
	v_and_b32_e32 v82, 0x7f, v39
	s_mov_b32 s45, exec_lo
	s_delay_alu instid0(VALU_DEP_1)
	v_cmpx_ne_u32_e32 0x7f, v82
	s_cbranch_execz .LBB181_151
; %bb.148:                              ;   in Loop: Header=BB181_12 Depth=1
	v_dual_lshrrev_b32 v80, 3, v82 :: v_dual_bitop2_b32 v36, 7, v39 bitop3:0x40
	s_mov_b32 s46, exec_lo
	v_cmpx_gt_u32_e32 8, v82
; %bb.149:                              ;   in Loop: Header=BB181_12 Depth=1
	s_delay_alu instid0(VALU_DEP_2) | instskip(NEXT) | instid1(VALU_DEP_1)
	v_clz_i32_u32_e32 v80, v36
	v_min_u32_e32 v80, 32, v80
	s_delay_alu instid0(VALU_DEP_1) | instskip(NEXT) | instid1(VALU_DEP_1)
	v_subrev_nc_u32_e32 v81, 28, v80
	v_lshlrev_b64_e32 v[82:83], v81, v[36:37]
	s_delay_alu instid0(VALU_DEP_1)
	v_dual_sub_nc_u32 v80, 29, v80 :: v_dual_bitop2_b32 v36, 7, v82 bitop3:0x40
; %bb.150:                              ;   in Loop: Header=BB181_12 Depth=1
	s_or_b32 exec_lo, exec_lo, s46
	s_delay_alu instid0(VALU_DEP_1) | instskip(NEXT) | instid1(VALU_DEP_2)
	v_dual_lshlrev_b32 v81, 24, v39 :: v_dual_lshlrev_b32 v36, 20, v36
	v_lshl_add_u32 v80, v80, 23, 0x3c000000
	s_delay_alu instid0(VALU_DEP_2) | instskip(NEXT) | instid1(VALU_DEP_1)
	v_and_b32_e32 v81, 0x80000000, v81
	v_or3_b32 v36, v36, v81, v80
	s_delay_alu instid0(VALU_DEP_1)
	v_mov_b64_e32 v[80:81], v[36:37]
.LBB181_151:                            ;   in Loop: Header=BB181_12 Depth=1
	s_or_b32 exec_lo, exec_lo, s45
.LBB181_152:                            ;   in Loop: Header=BB181_12 Depth=1
	s_delay_alu instid0(SALU_CYCLE_1)
	s_or_b32 exec_lo, exec_lo, s44
.LBB181_153:                            ;   in Loop: Header=BB181_12 Depth=1
	s_delay_alu instid0(SALU_CYCLE_1) | instskip(NEXT) | instid1(VALU_DEP_2)
	s_or_b32 exec_lo, exec_lo, s43
	v_lshrrev_b16 v36, 8, v39
	s_mov_b32 s43, exec_lo
	s_delay_alu instid0(VALU_DEP_1)
	v_cmpx_ne_u16_e32 0, v36
	s_cbranch_execz .LBB181_161
; %bb.154:                              ;   in Loop: Header=BB181_12 Depth=1
	v_mov_b64_e32 v[78:79], 0x8000000000000000
	s_mov_b32 s44, exec_lo
	v_cmpx_ne_u16_e32 0x80, v36
	s_cbranch_execz .LBB181_160
; %bb.155:                              ;   in Loop: Header=BB181_12 Depth=1
	v_and_b32_e32 v36, 0xffff, v36
	v_mov_b64_e32 v[78:79], 0x7f80000100000000
	s_mov_b32 s45, exec_lo
	s_delay_alu instid0(VALU_DEP_2) | instskip(NEXT) | instid1(VALU_DEP_1)
	v_and_b32_e32 v82, 0x7f, v36
	v_cmpx_ne_u32_e32 0x7f, v82
	s_cbranch_execz .LBB181_159
; %bb.156:                              ;   in Loop: Header=BB181_12 Depth=1
	v_dual_lshrrev_b32 v78, 3, v82 :: v_dual_bitop2_b32 v36, 7, v36 bitop3:0x40
	s_mov_b32 s46, exec_lo
	v_cmpx_gt_u32_e32 8, v82
; %bb.157:                              ;   in Loop: Header=BB181_12 Depth=1
	s_delay_alu instid0(VALU_DEP_2) | instskip(NEXT) | instid1(VALU_DEP_1)
	v_clz_i32_u32_e32 v78, v36
	v_min_u32_e32 v78, 32, v78
	s_delay_alu instid0(VALU_DEP_1) | instskip(SKIP_1) | instid1(VALU_DEP_2)
	v_subrev_nc_u32_e32 v79, 28, v78
	v_sub_nc_u32_e32 v78, 29, v78
	v_lshlrev_b64_e32 v[82:83], v79, v[36:37]
	s_delay_alu instid0(VALU_DEP_1)
	v_and_b32_e32 v36, 7, v82
; %bb.158:                              ;   in Loop: Header=BB181_12 Depth=1
	s_or_b32 exec_lo, exec_lo, s46
	s_delay_alu instid0(VALU_DEP_1) | instskip(SKIP_1) | instid1(VALU_DEP_2)
	v_dual_lshlrev_b32 v39, 16, v39 :: v_dual_lshlrev_b32 v36, 20, v36
	v_lshl_add_u32 v78, v78, 23, 0x3c000000
	v_and_b32_e32 v39, 0x80000000, v39
	s_delay_alu instid0(VALU_DEP_1)
	v_or3_b32 v79, v36, v39, v78
	v_mov_b32_e32 v78, v37
.LBB181_159:                            ;   in Loop: Header=BB181_12 Depth=1
	s_or_b32 exec_lo, exec_lo, s45
.LBB181_160:                            ;   in Loop: Header=BB181_12 Depth=1
	s_delay_alu instid0(SALU_CYCLE_1)
	s_or_b32 exec_lo, exec_lo, s44
.LBB181_161:                            ;   in Loop: Header=BB181_12 Depth=1
	s_delay_alu instid0(SALU_CYCLE_1)
	s_or_b32 exec_lo, exec_lo, s43
	global_load_u16 v36, v[52:53], off offset:516
	v_mov_b64_e32 v[82:83], 0
	v_mov_b64_e32 v[84:85], 0
	s_mov_b32 s43, exec_lo
	s_wait_loadcnt 0x0
	v_and_b32_e32 v86, 0xff, v36
	v_and_b32_e32 v39, 0xffff, v36
	s_delay_alu instid0(VALU_DEP_2)
	v_cmpx_ne_u16_e32 0, v86
	s_cbranch_execz .LBB181_169
; %bb.162:                              ;   in Loop: Header=BB181_12 Depth=1
	v_mov_b64_e32 v[84:85], 0x80000000
	s_delay_alu instid0(VALU_DEP_3) | instskip(SKIP_1) | instid1(VALU_DEP_1)
	v_and_b32_e32 v36, 0xff, v39
	s_mov_b32 s44, exec_lo
	v_cmpx_ne_u16_e32 0x80, v36
	s_cbranch_execz .LBB181_168
; %bb.163:                              ;   in Loop: Header=BB181_12 Depth=1
	v_mov_b64_e32 v[84:85], 0x7f800001
	v_and_b32_e32 v86, 0x7f, v39
	s_mov_b32 s45, exec_lo
	s_delay_alu instid0(VALU_DEP_1)
	v_cmpx_ne_u32_e32 0x7f, v86
	s_cbranch_execz .LBB181_167
; %bb.164:                              ;   in Loop: Header=BB181_12 Depth=1
	v_dual_lshrrev_b32 v84, 3, v86 :: v_dual_bitop2_b32 v36, 7, v39 bitop3:0x40
	s_mov_b32 s46, exec_lo
	v_cmpx_gt_u32_e32 8, v86
; %bb.165:                              ;   in Loop: Header=BB181_12 Depth=1
	s_delay_alu instid0(VALU_DEP_2) | instskip(NEXT) | instid1(VALU_DEP_1)
	v_clz_i32_u32_e32 v84, v36
	v_min_u32_e32 v84, 32, v84
	s_delay_alu instid0(VALU_DEP_1) | instskip(NEXT) | instid1(VALU_DEP_1)
	v_subrev_nc_u32_e32 v85, 28, v84
	v_lshlrev_b64_e32 v[86:87], v85, v[36:37]
	s_delay_alu instid0(VALU_DEP_1)
	v_dual_sub_nc_u32 v84, 29, v84 :: v_dual_bitop2_b32 v36, 7, v86 bitop3:0x40
; %bb.166:                              ;   in Loop: Header=BB181_12 Depth=1
	s_or_b32 exec_lo, exec_lo, s46
	s_delay_alu instid0(VALU_DEP_1) | instskip(NEXT) | instid1(VALU_DEP_2)
	v_dual_lshlrev_b32 v85, 24, v39 :: v_dual_lshlrev_b32 v36, 20, v36
	v_lshl_add_u32 v84, v84, 23, 0x3c000000
	s_delay_alu instid0(VALU_DEP_2) | instskip(NEXT) | instid1(VALU_DEP_1)
	v_and_b32_e32 v85, 0x80000000, v85
	v_or3_b32 v36, v36, v85, v84
	s_delay_alu instid0(VALU_DEP_1)
	v_mov_b64_e32 v[84:85], v[36:37]
.LBB181_167:                            ;   in Loop: Header=BB181_12 Depth=1
	s_or_b32 exec_lo, exec_lo, s45
.LBB181_168:                            ;   in Loop: Header=BB181_12 Depth=1
	s_delay_alu instid0(SALU_CYCLE_1)
	s_or_b32 exec_lo, exec_lo, s44
.LBB181_169:                            ;   in Loop: Header=BB181_12 Depth=1
	s_delay_alu instid0(SALU_CYCLE_1) | instskip(NEXT) | instid1(VALU_DEP_2)
	s_or_b32 exec_lo, exec_lo, s43
	v_lshrrev_b16 v36, 8, v39
	s_mov_b32 s43, exec_lo
	s_delay_alu instid0(VALU_DEP_1)
	v_cmpx_ne_u16_e32 0, v36
	s_cbranch_execz .LBB181_177
; %bb.170:                              ;   in Loop: Header=BB181_12 Depth=1
	v_mov_b64_e32 v[82:83], 0x8000000000000000
	s_mov_b32 s44, exec_lo
	v_cmpx_ne_u16_e32 0x80, v36
	s_cbranch_execz .LBB181_176
; %bb.171:                              ;   in Loop: Header=BB181_12 Depth=1
	v_and_b32_e32 v36, 0xffff, v36
	v_mov_b64_e32 v[82:83], 0x7f80000100000000
	s_mov_b32 s45, exec_lo
	s_delay_alu instid0(VALU_DEP_2) | instskip(NEXT) | instid1(VALU_DEP_1)
	v_and_b32_e32 v86, 0x7f, v36
	v_cmpx_ne_u32_e32 0x7f, v86
	s_cbranch_execz .LBB181_175
; %bb.172:                              ;   in Loop: Header=BB181_12 Depth=1
	v_dual_lshrrev_b32 v82, 3, v86 :: v_dual_bitop2_b32 v36, 7, v36 bitop3:0x40
	s_mov_b32 s46, exec_lo
	v_cmpx_gt_u32_e32 8, v86
; %bb.173:                              ;   in Loop: Header=BB181_12 Depth=1
	s_delay_alu instid0(VALU_DEP_2) | instskip(NEXT) | instid1(VALU_DEP_1)
	v_clz_i32_u32_e32 v82, v36
	v_min_u32_e32 v82, 32, v82
	s_delay_alu instid0(VALU_DEP_1) | instskip(SKIP_1) | instid1(VALU_DEP_2)
	v_subrev_nc_u32_e32 v83, 28, v82
	v_sub_nc_u32_e32 v82, 29, v82
	v_lshlrev_b64_e32 v[86:87], v83, v[36:37]
	s_delay_alu instid0(VALU_DEP_1)
	v_and_b32_e32 v36, 7, v86
; %bb.174:                              ;   in Loop: Header=BB181_12 Depth=1
	s_or_b32 exec_lo, exec_lo, s46
	s_delay_alu instid0(VALU_DEP_1) | instskip(SKIP_1) | instid1(VALU_DEP_2)
	v_dual_lshlrev_b32 v39, 16, v39 :: v_dual_lshlrev_b32 v36, 20, v36
	v_lshl_add_u32 v82, v82, 23, 0x3c000000
	v_and_b32_e32 v39, 0x80000000, v39
	s_delay_alu instid0(VALU_DEP_1)
	v_or3_b32 v83, v36, v39, v82
	v_mov_b32_e32 v82, v37
.LBB181_175:                            ;   in Loop: Header=BB181_12 Depth=1
	s_or_b32 exec_lo, exec_lo, s45
.LBB181_176:                            ;   in Loop: Header=BB181_12 Depth=1
	s_delay_alu instid0(SALU_CYCLE_1)
	s_or_b32 exec_lo, exec_lo, s44
.LBB181_177:                            ;   in Loop: Header=BB181_12 Depth=1
	s_delay_alu instid0(SALU_CYCLE_1)
	s_or_b32 exec_lo, exec_lo, s43
	global_load_u16 v36, v[52:53], off offset:520
	v_mov_b64_e32 v[86:87], 0
	v_mov_b64_e32 v[88:89], 0
	s_mov_b32 s43, exec_lo
	s_wait_loadcnt 0x0
	v_and_b32_e32 v90, 0xff, v36
	v_and_b32_e32 v39, 0xffff, v36
	s_delay_alu instid0(VALU_DEP_2)
	v_cmpx_ne_u16_e32 0, v90
	s_cbranch_execz .LBB181_185
; %bb.178:                              ;   in Loop: Header=BB181_12 Depth=1
	v_mov_b64_e32 v[88:89], 0x80000000
	s_delay_alu instid0(VALU_DEP_3) | instskip(SKIP_1) | instid1(VALU_DEP_1)
	v_and_b32_e32 v36, 0xff, v39
	s_mov_b32 s44, exec_lo
	v_cmpx_ne_u16_e32 0x80, v36
	s_cbranch_execz .LBB181_184
; %bb.179:                              ;   in Loop: Header=BB181_12 Depth=1
	v_mov_b64_e32 v[88:89], 0x7f800001
	v_and_b32_e32 v90, 0x7f, v39
	s_mov_b32 s45, exec_lo
	s_delay_alu instid0(VALU_DEP_1)
	v_cmpx_ne_u32_e32 0x7f, v90
	s_cbranch_execz .LBB181_183
; %bb.180:                              ;   in Loop: Header=BB181_12 Depth=1
	v_dual_lshrrev_b32 v88, 3, v90 :: v_dual_bitop2_b32 v36, 7, v39 bitop3:0x40
	s_mov_b32 s46, exec_lo
	v_cmpx_gt_u32_e32 8, v90
; %bb.181:                              ;   in Loop: Header=BB181_12 Depth=1
	s_delay_alu instid0(VALU_DEP_2) | instskip(NEXT) | instid1(VALU_DEP_1)
	v_clz_i32_u32_e32 v88, v36
	v_min_u32_e32 v88, 32, v88
	s_delay_alu instid0(VALU_DEP_1) | instskip(NEXT) | instid1(VALU_DEP_1)
	v_subrev_nc_u32_e32 v89, 28, v88
	v_lshlrev_b64_e32 v[90:91], v89, v[36:37]
	s_delay_alu instid0(VALU_DEP_1)
	v_dual_sub_nc_u32 v88, 29, v88 :: v_dual_bitop2_b32 v36, 7, v90 bitop3:0x40
; %bb.182:                              ;   in Loop: Header=BB181_12 Depth=1
	s_or_b32 exec_lo, exec_lo, s46
	s_delay_alu instid0(VALU_DEP_1) | instskip(NEXT) | instid1(VALU_DEP_2)
	v_dual_lshlrev_b32 v89, 24, v39 :: v_dual_lshlrev_b32 v36, 20, v36
	v_lshl_add_u32 v88, v88, 23, 0x3c000000
	s_delay_alu instid0(VALU_DEP_2) | instskip(NEXT) | instid1(VALU_DEP_1)
	v_and_b32_e32 v89, 0x80000000, v89
	v_or3_b32 v36, v36, v89, v88
	s_delay_alu instid0(VALU_DEP_1)
	v_mov_b64_e32 v[88:89], v[36:37]
.LBB181_183:                            ;   in Loop: Header=BB181_12 Depth=1
	s_or_b32 exec_lo, exec_lo, s45
.LBB181_184:                            ;   in Loop: Header=BB181_12 Depth=1
	s_delay_alu instid0(SALU_CYCLE_1)
	s_or_b32 exec_lo, exec_lo, s44
.LBB181_185:                            ;   in Loop: Header=BB181_12 Depth=1
	s_delay_alu instid0(SALU_CYCLE_1) | instskip(NEXT) | instid1(VALU_DEP_2)
	s_or_b32 exec_lo, exec_lo, s43
	v_lshrrev_b16 v36, 8, v39
	s_mov_b32 s43, exec_lo
	s_delay_alu instid0(VALU_DEP_1)
	v_cmpx_ne_u16_e32 0, v36
	s_cbranch_execz .LBB181_193
; %bb.186:                              ;   in Loop: Header=BB181_12 Depth=1
	v_mov_b64_e32 v[86:87], 0x8000000000000000
	s_mov_b32 s44, exec_lo
	v_cmpx_ne_u16_e32 0x80, v36
	s_cbranch_execz .LBB181_192
; %bb.187:                              ;   in Loop: Header=BB181_12 Depth=1
	v_and_b32_e32 v36, 0xffff, v36
	v_mov_b64_e32 v[86:87], 0x7f80000100000000
	s_mov_b32 s45, exec_lo
	s_delay_alu instid0(VALU_DEP_2) | instskip(NEXT) | instid1(VALU_DEP_1)
	v_and_b32_e32 v90, 0x7f, v36
	v_cmpx_ne_u32_e32 0x7f, v90
	s_cbranch_execz .LBB181_191
; %bb.188:                              ;   in Loop: Header=BB181_12 Depth=1
	v_dual_lshrrev_b32 v86, 3, v90 :: v_dual_bitop2_b32 v36, 7, v36 bitop3:0x40
	s_mov_b32 s46, exec_lo
	v_cmpx_gt_u32_e32 8, v90
; %bb.189:                              ;   in Loop: Header=BB181_12 Depth=1
	s_delay_alu instid0(VALU_DEP_2) | instskip(NEXT) | instid1(VALU_DEP_1)
	v_clz_i32_u32_e32 v86, v36
	v_min_u32_e32 v86, 32, v86
	s_delay_alu instid0(VALU_DEP_1) | instskip(SKIP_1) | instid1(VALU_DEP_2)
	v_subrev_nc_u32_e32 v87, 28, v86
	v_sub_nc_u32_e32 v86, 29, v86
	v_lshlrev_b64_e32 v[90:91], v87, v[36:37]
	s_delay_alu instid0(VALU_DEP_1)
	v_and_b32_e32 v36, 7, v90
; %bb.190:                              ;   in Loop: Header=BB181_12 Depth=1
	s_or_b32 exec_lo, exec_lo, s46
	s_delay_alu instid0(VALU_DEP_1) | instskip(SKIP_1) | instid1(VALU_DEP_2)
	v_dual_lshlrev_b32 v39, 16, v39 :: v_dual_lshlrev_b32 v36, 20, v36
	v_lshl_add_u32 v86, v86, 23, 0x3c000000
	v_and_b32_e32 v39, 0x80000000, v39
	s_delay_alu instid0(VALU_DEP_1)
	v_or3_b32 v87, v36, v39, v86
	v_mov_b32_e32 v86, v37
.LBB181_191:                            ;   in Loop: Header=BB181_12 Depth=1
	s_or_b32 exec_lo, exec_lo, s45
.LBB181_192:                            ;   in Loop: Header=BB181_12 Depth=1
	s_delay_alu instid0(SALU_CYCLE_1)
	s_or_b32 exec_lo, exec_lo, s44
.LBB181_193:                            ;   in Loop: Header=BB181_12 Depth=1
	s_delay_alu instid0(SALU_CYCLE_1)
	s_or_b32 exec_lo, exec_lo, s43
	global_load_u16 v36, v[52:53], off offset:524
	v_mov_b64_e32 v[90:91], 0
	v_mov_b64_e32 v[92:93], 0
	s_mov_b32 s43, exec_lo
	s_wait_loadcnt 0x0
	v_and_b32_e32 v94, 0xff, v36
	v_and_b32_e32 v39, 0xffff, v36
	s_delay_alu instid0(VALU_DEP_2)
	v_cmpx_ne_u16_e32 0, v94
	s_cbranch_execz .LBB181_201
; %bb.194:                              ;   in Loop: Header=BB181_12 Depth=1
	v_mov_b64_e32 v[92:93], 0x80000000
	s_delay_alu instid0(VALU_DEP_3) | instskip(SKIP_1) | instid1(VALU_DEP_1)
	v_and_b32_e32 v36, 0xff, v39
	s_mov_b32 s44, exec_lo
	v_cmpx_ne_u16_e32 0x80, v36
	s_cbranch_execz .LBB181_200
; %bb.195:                              ;   in Loop: Header=BB181_12 Depth=1
	v_mov_b64_e32 v[92:93], 0x7f800001
	v_and_b32_e32 v94, 0x7f, v39
	s_mov_b32 s45, exec_lo
	s_delay_alu instid0(VALU_DEP_1)
	v_cmpx_ne_u32_e32 0x7f, v94
	s_cbranch_execz .LBB181_199
; %bb.196:                              ;   in Loop: Header=BB181_12 Depth=1
	v_dual_lshrrev_b32 v92, 3, v94 :: v_dual_bitop2_b32 v36, 7, v39 bitop3:0x40
	s_mov_b32 s46, exec_lo
	v_cmpx_gt_u32_e32 8, v94
; %bb.197:                              ;   in Loop: Header=BB181_12 Depth=1
	s_delay_alu instid0(VALU_DEP_2) | instskip(NEXT) | instid1(VALU_DEP_1)
	v_clz_i32_u32_e32 v92, v36
	v_min_u32_e32 v92, 32, v92
	s_delay_alu instid0(VALU_DEP_1) | instskip(NEXT) | instid1(VALU_DEP_1)
	v_subrev_nc_u32_e32 v93, 28, v92
	v_lshlrev_b64_e32 v[94:95], v93, v[36:37]
	s_delay_alu instid0(VALU_DEP_1)
	v_dual_sub_nc_u32 v92, 29, v92 :: v_dual_bitop2_b32 v36, 7, v94 bitop3:0x40
; %bb.198:                              ;   in Loop: Header=BB181_12 Depth=1
	s_or_b32 exec_lo, exec_lo, s46
	s_delay_alu instid0(VALU_DEP_1) | instskip(NEXT) | instid1(VALU_DEP_2)
	v_dual_lshlrev_b32 v93, 24, v39 :: v_dual_lshlrev_b32 v36, 20, v36
	v_lshl_add_u32 v92, v92, 23, 0x3c000000
	s_delay_alu instid0(VALU_DEP_2) | instskip(NEXT) | instid1(VALU_DEP_1)
	v_and_b32_e32 v93, 0x80000000, v93
	v_or3_b32 v36, v36, v93, v92
	s_delay_alu instid0(VALU_DEP_1)
	v_mov_b64_e32 v[92:93], v[36:37]
.LBB181_199:                            ;   in Loop: Header=BB181_12 Depth=1
	s_or_b32 exec_lo, exec_lo, s45
.LBB181_200:                            ;   in Loop: Header=BB181_12 Depth=1
	s_delay_alu instid0(SALU_CYCLE_1)
	s_or_b32 exec_lo, exec_lo, s44
.LBB181_201:                            ;   in Loop: Header=BB181_12 Depth=1
	s_delay_alu instid0(SALU_CYCLE_1) | instskip(NEXT) | instid1(VALU_DEP_2)
	s_or_b32 exec_lo, exec_lo, s43
	v_lshrrev_b16 v36, 8, v39
	s_mov_b32 s43, exec_lo
	s_delay_alu instid0(VALU_DEP_1)
	v_cmpx_ne_u16_e32 0, v36
	s_cbranch_execz .LBB181_209
; %bb.202:                              ;   in Loop: Header=BB181_12 Depth=1
	v_mov_b64_e32 v[90:91], 0x8000000000000000
	s_mov_b32 s44, exec_lo
	v_cmpx_ne_u16_e32 0x80, v36
	s_cbranch_execz .LBB181_208
; %bb.203:                              ;   in Loop: Header=BB181_12 Depth=1
	v_and_b32_e32 v36, 0xffff, v36
	v_mov_b64_e32 v[90:91], 0x7f80000100000000
	s_mov_b32 s45, exec_lo
	s_delay_alu instid0(VALU_DEP_2) | instskip(NEXT) | instid1(VALU_DEP_1)
	v_and_b32_e32 v94, 0x7f, v36
	v_cmpx_ne_u32_e32 0x7f, v94
	s_cbranch_execz .LBB181_207
; %bb.204:                              ;   in Loop: Header=BB181_12 Depth=1
	v_dual_lshrrev_b32 v90, 3, v94 :: v_dual_bitop2_b32 v36, 7, v36 bitop3:0x40
	s_mov_b32 s46, exec_lo
	v_cmpx_gt_u32_e32 8, v94
; %bb.205:                              ;   in Loop: Header=BB181_12 Depth=1
	s_delay_alu instid0(VALU_DEP_2) | instskip(NEXT) | instid1(VALU_DEP_1)
	v_clz_i32_u32_e32 v90, v36
	v_min_u32_e32 v90, 32, v90
	s_delay_alu instid0(VALU_DEP_1) | instskip(SKIP_1) | instid1(VALU_DEP_2)
	v_subrev_nc_u32_e32 v91, 28, v90
	v_sub_nc_u32_e32 v90, 29, v90
	v_lshlrev_b64_e32 v[94:95], v91, v[36:37]
	s_delay_alu instid0(VALU_DEP_1)
	v_and_b32_e32 v36, 7, v94
; %bb.206:                              ;   in Loop: Header=BB181_12 Depth=1
	s_or_b32 exec_lo, exec_lo, s46
	s_delay_alu instid0(VALU_DEP_1) | instskip(SKIP_1) | instid1(VALU_DEP_2)
	v_dual_lshlrev_b32 v39, 16, v39 :: v_dual_lshlrev_b32 v36, 20, v36
	v_lshl_add_u32 v90, v90, 23, 0x3c000000
	v_and_b32_e32 v39, 0x80000000, v39
	s_delay_alu instid0(VALU_DEP_1)
	v_or3_b32 v91, v36, v39, v90
	v_mov_b32_e32 v90, v37
.LBB181_207:                            ;   in Loop: Header=BB181_12 Depth=1
	s_or_b32 exec_lo, exec_lo, s45
.LBB181_208:                            ;   in Loop: Header=BB181_12 Depth=1
	s_delay_alu instid0(SALU_CYCLE_1)
	s_or_b32 exec_lo, exec_lo, s44
.LBB181_209:                            ;   in Loop: Header=BB181_12 Depth=1
	s_delay_alu instid0(SALU_CYCLE_1)
	s_or_b32 exec_lo, exec_lo, s43
	global_load_u16 v36, v[52:53], off offset:768
	v_mov_b64_e32 v[94:95], 0
	v_mov_b64_e32 v[96:97], 0
	s_mov_b32 s43, exec_lo
	s_wait_loadcnt 0x0
	v_and_b32_e32 v98, 0xff, v36
	v_and_b32_e32 v39, 0xffff, v36
	s_delay_alu instid0(VALU_DEP_2)
	v_cmpx_ne_u16_e32 0, v98
	s_cbranch_execz .LBB181_217
; %bb.210:                              ;   in Loop: Header=BB181_12 Depth=1
	v_mov_b64_e32 v[96:97], 0x80000000
	s_delay_alu instid0(VALU_DEP_3) | instskip(SKIP_1) | instid1(VALU_DEP_1)
	v_and_b32_e32 v36, 0xff, v39
	s_mov_b32 s44, exec_lo
	v_cmpx_ne_u16_e32 0x80, v36
	s_cbranch_execz .LBB181_216
; %bb.211:                              ;   in Loop: Header=BB181_12 Depth=1
	v_mov_b64_e32 v[96:97], 0x7f800001
	v_and_b32_e32 v98, 0x7f, v39
	s_mov_b32 s45, exec_lo
	s_delay_alu instid0(VALU_DEP_1)
	v_cmpx_ne_u32_e32 0x7f, v98
	s_cbranch_execz .LBB181_215
; %bb.212:                              ;   in Loop: Header=BB181_12 Depth=1
	v_dual_lshrrev_b32 v96, 3, v98 :: v_dual_bitop2_b32 v36, 7, v39 bitop3:0x40
	s_mov_b32 s46, exec_lo
	v_cmpx_gt_u32_e32 8, v98
; %bb.213:                              ;   in Loop: Header=BB181_12 Depth=1
	s_delay_alu instid0(VALU_DEP_2) | instskip(NEXT) | instid1(VALU_DEP_1)
	v_clz_i32_u32_e32 v96, v36
	v_min_u32_e32 v96, 32, v96
	s_delay_alu instid0(VALU_DEP_1) | instskip(NEXT) | instid1(VALU_DEP_1)
	v_subrev_nc_u32_e32 v97, 28, v96
	v_lshlrev_b64_e32 v[98:99], v97, v[36:37]
	s_delay_alu instid0(VALU_DEP_1)
	v_dual_sub_nc_u32 v96, 29, v96 :: v_dual_bitop2_b32 v36, 7, v98 bitop3:0x40
; %bb.214:                              ;   in Loop: Header=BB181_12 Depth=1
	s_or_b32 exec_lo, exec_lo, s46
	s_delay_alu instid0(VALU_DEP_1) | instskip(NEXT) | instid1(VALU_DEP_2)
	v_dual_lshlrev_b32 v97, 24, v39 :: v_dual_lshlrev_b32 v36, 20, v36
	v_lshl_add_u32 v96, v96, 23, 0x3c000000
	s_delay_alu instid0(VALU_DEP_2) | instskip(NEXT) | instid1(VALU_DEP_1)
	v_and_b32_e32 v97, 0x80000000, v97
	v_or3_b32 v36, v36, v97, v96
	s_delay_alu instid0(VALU_DEP_1)
	v_mov_b64_e32 v[96:97], v[36:37]
.LBB181_215:                            ;   in Loop: Header=BB181_12 Depth=1
	s_or_b32 exec_lo, exec_lo, s45
.LBB181_216:                            ;   in Loop: Header=BB181_12 Depth=1
	s_delay_alu instid0(SALU_CYCLE_1)
	s_or_b32 exec_lo, exec_lo, s44
.LBB181_217:                            ;   in Loop: Header=BB181_12 Depth=1
	s_delay_alu instid0(SALU_CYCLE_1) | instskip(NEXT) | instid1(VALU_DEP_2)
	s_or_b32 exec_lo, exec_lo, s43
	v_lshrrev_b16 v36, 8, v39
	s_mov_b32 s43, exec_lo
	s_delay_alu instid0(VALU_DEP_1)
	v_cmpx_ne_u16_e32 0, v36
	s_cbranch_execz .LBB181_225
; %bb.218:                              ;   in Loop: Header=BB181_12 Depth=1
	v_mov_b64_e32 v[94:95], 0x8000000000000000
	s_mov_b32 s44, exec_lo
	v_cmpx_ne_u16_e32 0x80, v36
	s_cbranch_execz .LBB181_224
; %bb.219:                              ;   in Loop: Header=BB181_12 Depth=1
	v_and_b32_e32 v36, 0xffff, v36
	v_mov_b64_e32 v[94:95], 0x7f80000100000000
	s_mov_b32 s45, exec_lo
	s_delay_alu instid0(VALU_DEP_2) | instskip(NEXT) | instid1(VALU_DEP_1)
	v_and_b32_e32 v98, 0x7f, v36
	v_cmpx_ne_u32_e32 0x7f, v98
	s_cbranch_execz .LBB181_223
; %bb.220:                              ;   in Loop: Header=BB181_12 Depth=1
	v_dual_lshrrev_b32 v94, 3, v98 :: v_dual_bitop2_b32 v36, 7, v36 bitop3:0x40
	s_mov_b32 s46, exec_lo
	v_cmpx_gt_u32_e32 8, v98
; %bb.221:                              ;   in Loop: Header=BB181_12 Depth=1
	s_delay_alu instid0(VALU_DEP_2) | instskip(NEXT) | instid1(VALU_DEP_1)
	v_clz_i32_u32_e32 v94, v36
	v_min_u32_e32 v94, 32, v94
	s_delay_alu instid0(VALU_DEP_1) | instskip(SKIP_1) | instid1(VALU_DEP_2)
	v_subrev_nc_u32_e32 v95, 28, v94
	v_sub_nc_u32_e32 v94, 29, v94
	v_lshlrev_b64_e32 v[98:99], v95, v[36:37]
	s_delay_alu instid0(VALU_DEP_1)
	v_and_b32_e32 v36, 7, v98
; %bb.222:                              ;   in Loop: Header=BB181_12 Depth=1
	s_or_b32 exec_lo, exec_lo, s46
	s_delay_alu instid0(VALU_DEP_1) | instskip(SKIP_1) | instid1(VALU_DEP_2)
	v_dual_lshlrev_b32 v39, 16, v39 :: v_dual_lshlrev_b32 v36, 20, v36
	v_lshl_add_u32 v94, v94, 23, 0x3c000000
	v_and_b32_e32 v39, 0x80000000, v39
	s_delay_alu instid0(VALU_DEP_1)
	v_or3_b32 v95, v36, v39, v94
	v_mov_b32_e32 v94, v37
.LBB181_223:                            ;   in Loop: Header=BB181_12 Depth=1
	s_or_b32 exec_lo, exec_lo, s45
.LBB181_224:                            ;   in Loop: Header=BB181_12 Depth=1
	s_delay_alu instid0(SALU_CYCLE_1)
	s_or_b32 exec_lo, exec_lo, s44
.LBB181_225:                            ;   in Loop: Header=BB181_12 Depth=1
	s_delay_alu instid0(SALU_CYCLE_1)
	s_or_b32 exec_lo, exec_lo, s43
	global_load_u16 v36, v[52:53], off offset:772
	v_mov_b64_e32 v[98:99], 0
	v_mov_b64_e32 v[100:101], 0
	s_mov_b32 s43, exec_lo
	s_wait_loadcnt 0x0
	v_and_b32_e32 v102, 0xff, v36
	v_and_b32_e32 v39, 0xffff, v36
	s_delay_alu instid0(VALU_DEP_2)
	v_cmpx_ne_u16_e32 0, v102
	s_cbranch_execz .LBB181_233
; %bb.226:                              ;   in Loop: Header=BB181_12 Depth=1
	v_mov_b64_e32 v[100:101], 0x80000000
	s_delay_alu instid0(VALU_DEP_3) | instskip(SKIP_1) | instid1(VALU_DEP_1)
	v_and_b32_e32 v36, 0xff, v39
	s_mov_b32 s44, exec_lo
	v_cmpx_ne_u16_e32 0x80, v36
	s_cbranch_execz .LBB181_232
; %bb.227:                              ;   in Loop: Header=BB181_12 Depth=1
	v_mov_b64_e32 v[100:101], 0x7f800001
	v_and_b32_e32 v102, 0x7f, v39
	s_mov_b32 s45, exec_lo
	s_delay_alu instid0(VALU_DEP_1)
	v_cmpx_ne_u32_e32 0x7f, v102
	s_cbranch_execz .LBB181_231
; %bb.228:                              ;   in Loop: Header=BB181_12 Depth=1
	v_dual_lshrrev_b32 v100, 3, v102 :: v_dual_bitop2_b32 v36, 7, v39 bitop3:0x40
	s_mov_b32 s46, exec_lo
	v_cmpx_gt_u32_e32 8, v102
; %bb.229:                              ;   in Loop: Header=BB181_12 Depth=1
	s_delay_alu instid0(VALU_DEP_2) | instskip(NEXT) | instid1(VALU_DEP_1)
	v_clz_i32_u32_e32 v100, v36
	v_min_u32_e32 v100, 32, v100
	s_delay_alu instid0(VALU_DEP_1) | instskip(NEXT) | instid1(VALU_DEP_1)
	v_subrev_nc_u32_e32 v101, 28, v100
	v_lshlrev_b64_e32 v[102:103], v101, v[36:37]
	s_delay_alu instid0(VALU_DEP_1)
	v_dual_sub_nc_u32 v100, 29, v100 :: v_dual_bitop2_b32 v36, 7, v102 bitop3:0x40
; %bb.230:                              ;   in Loop: Header=BB181_12 Depth=1
	s_or_b32 exec_lo, exec_lo, s46
	s_delay_alu instid0(VALU_DEP_1) | instskip(NEXT) | instid1(VALU_DEP_2)
	v_dual_lshlrev_b32 v101, 24, v39 :: v_dual_lshlrev_b32 v36, 20, v36
	v_lshl_add_u32 v100, v100, 23, 0x3c000000
	s_delay_alu instid0(VALU_DEP_2) | instskip(NEXT) | instid1(VALU_DEP_1)
	v_and_b32_e32 v101, 0x80000000, v101
	v_or3_b32 v36, v36, v101, v100
	s_delay_alu instid0(VALU_DEP_1)
	v_mov_b64_e32 v[100:101], v[36:37]
.LBB181_231:                            ;   in Loop: Header=BB181_12 Depth=1
	s_or_b32 exec_lo, exec_lo, s45
.LBB181_232:                            ;   in Loop: Header=BB181_12 Depth=1
	s_delay_alu instid0(SALU_CYCLE_1)
	s_or_b32 exec_lo, exec_lo, s44
.LBB181_233:                            ;   in Loop: Header=BB181_12 Depth=1
	s_delay_alu instid0(SALU_CYCLE_1) | instskip(NEXT) | instid1(VALU_DEP_2)
	s_or_b32 exec_lo, exec_lo, s43
	v_lshrrev_b16 v36, 8, v39
	s_mov_b32 s43, exec_lo
	s_delay_alu instid0(VALU_DEP_1)
	v_cmpx_ne_u16_e32 0, v36
	s_cbranch_execz .LBB181_241
; %bb.234:                              ;   in Loop: Header=BB181_12 Depth=1
	v_mov_b64_e32 v[98:99], 0x8000000000000000
	s_mov_b32 s44, exec_lo
	v_cmpx_ne_u16_e32 0x80, v36
	s_cbranch_execz .LBB181_240
; %bb.235:                              ;   in Loop: Header=BB181_12 Depth=1
	v_and_b32_e32 v36, 0xffff, v36
	v_mov_b64_e32 v[98:99], 0x7f80000100000000
	s_mov_b32 s45, exec_lo
	s_delay_alu instid0(VALU_DEP_2) | instskip(NEXT) | instid1(VALU_DEP_1)
	v_and_b32_e32 v102, 0x7f, v36
	v_cmpx_ne_u32_e32 0x7f, v102
	s_cbranch_execz .LBB181_239
; %bb.236:                              ;   in Loop: Header=BB181_12 Depth=1
	v_dual_lshrrev_b32 v98, 3, v102 :: v_dual_bitop2_b32 v36, 7, v36 bitop3:0x40
	s_mov_b32 s46, exec_lo
	v_cmpx_gt_u32_e32 8, v102
; %bb.237:                              ;   in Loop: Header=BB181_12 Depth=1
	s_delay_alu instid0(VALU_DEP_2) | instskip(NEXT) | instid1(VALU_DEP_1)
	v_clz_i32_u32_e32 v98, v36
	v_min_u32_e32 v98, 32, v98
	s_delay_alu instid0(VALU_DEP_1) | instskip(SKIP_1) | instid1(VALU_DEP_2)
	v_subrev_nc_u32_e32 v99, 28, v98
	v_sub_nc_u32_e32 v98, 29, v98
	v_lshlrev_b64_e32 v[102:103], v99, v[36:37]
	s_delay_alu instid0(VALU_DEP_1)
	v_and_b32_e32 v36, 7, v102
; %bb.238:                              ;   in Loop: Header=BB181_12 Depth=1
	s_or_b32 exec_lo, exec_lo, s46
	s_delay_alu instid0(VALU_DEP_1) | instskip(SKIP_1) | instid1(VALU_DEP_2)
	v_dual_lshlrev_b32 v39, 16, v39 :: v_dual_lshlrev_b32 v36, 20, v36
	v_lshl_add_u32 v98, v98, 23, 0x3c000000
	v_and_b32_e32 v39, 0x80000000, v39
	s_delay_alu instid0(VALU_DEP_1)
	v_or3_b32 v99, v36, v39, v98
	v_mov_b32_e32 v98, v37
.LBB181_239:                            ;   in Loop: Header=BB181_12 Depth=1
	s_or_b32 exec_lo, exec_lo, s45
.LBB181_240:                            ;   in Loop: Header=BB181_12 Depth=1
	s_delay_alu instid0(SALU_CYCLE_1)
	s_or_b32 exec_lo, exec_lo, s44
.LBB181_241:                            ;   in Loop: Header=BB181_12 Depth=1
	s_delay_alu instid0(SALU_CYCLE_1)
	s_or_b32 exec_lo, exec_lo, s43
	global_load_u16 v36, v[52:53], off offset:776
	v_mov_b64_e32 v[102:103], 0
	v_mov_b64_e32 v[104:105], 0
	s_mov_b32 s43, exec_lo
	s_wait_loadcnt 0x0
	v_and_b32_e32 v106, 0xff, v36
	v_and_b32_e32 v39, 0xffff, v36
	s_delay_alu instid0(VALU_DEP_2)
	v_cmpx_ne_u16_e32 0, v106
	s_cbranch_execz .LBB181_249
; %bb.242:                              ;   in Loop: Header=BB181_12 Depth=1
	v_mov_b64_e32 v[104:105], 0x80000000
	s_delay_alu instid0(VALU_DEP_3) | instskip(SKIP_1) | instid1(VALU_DEP_1)
	v_and_b32_e32 v36, 0xff, v39
	s_mov_b32 s44, exec_lo
	v_cmpx_ne_u16_e32 0x80, v36
	s_cbranch_execz .LBB181_248
; %bb.243:                              ;   in Loop: Header=BB181_12 Depth=1
	v_mov_b64_e32 v[104:105], 0x7f800001
	v_and_b32_e32 v106, 0x7f, v39
	s_mov_b32 s45, exec_lo
	s_delay_alu instid0(VALU_DEP_1)
	v_cmpx_ne_u32_e32 0x7f, v106
	s_cbranch_execz .LBB181_247
; %bb.244:                              ;   in Loop: Header=BB181_12 Depth=1
	v_dual_lshrrev_b32 v104, 3, v106 :: v_dual_bitop2_b32 v36, 7, v39 bitop3:0x40
	s_mov_b32 s46, exec_lo
	v_cmpx_gt_u32_e32 8, v106
; %bb.245:                              ;   in Loop: Header=BB181_12 Depth=1
	s_delay_alu instid0(VALU_DEP_2) | instskip(NEXT) | instid1(VALU_DEP_1)
	v_clz_i32_u32_e32 v104, v36
	v_min_u32_e32 v104, 32, v104
	s_delay_alu instid0(VALU_DEP_1) | instskip(NEXT) | instid1(VALU_DEP_1)
	v_subrev_nc_u32_e32 v105, 28, v104
	v_lshlrev_b64_e32 v[106:107], v105, v[36:37]
	s_delay_alu instid0(VALU_DEP_1)
	v_dual_sub_nc_u32 v104, 29, v104 :: v_dual_bitop2_b32 v36, 7, v106 bitop3:0x40
; %bb.246:                              ;   in Loop: Header=BB181_12 Depth=1
	s_or_b32 exec_lo, exec_lo, s46
	s_delay_alu instid0(VALU_DEP_1) | instskip(NEXT) | instid1(VALU_DEP_2)
	v_dual_lshlrev_b32 v105, 24, v39 :: v_dual_lshlrev_b32 v36, 20, v36
	v_lshl_add_u32 v104, v104, 23, 0x3c000000
	s_delay_alu instid0(VALU_DEP_2) | instskip(NEXT) | instid1(VALU_DEP_1)
	v_and_b32_e32 v105, 0x80000000, v105
	v_or3_b32 v36, v36, v105, v104
	s_delay_alu instid0(VALU_DEP_1)
	v_mov_b64_e32 v[104:105], v[36:37]
.LBB181_247:                            ;   in Loop: Header=BB181_12 Depth=1
	s_or_b32 exec_lo, exec_lo, s45
.LBB181_248:                            ;   in Loop: Header=BB181_12 Depth=1
	s_delay_alu instid0(SALU_CYCLE_1)
	s_or_b32 exec_lo, exec_lo, s44
.LBB181_249:                            ;   in Loop: Header=BB181_12 Depth=1
	s_delay_alu instid0(SALU_CYCLE_1) | instskip(NEXT) | instid1(VALU_DEP_2)
	s_or_b32 exec_lo, exec_lo, s43
	v_lshrrev_b16 v36, 8, v39
	s_mov_b32 s43, exec_lo
	s_delay_alu instid0(VALU_DEP_1)
	v_cmpx_ne_u16_e32 0, v36
	s_cbranch_execz .LBB181_257
; %bb.250:                              ;   in Loop: Header=BB181_12 Depth=1
	v_mov_b64_e32 v[102:103], 0x8000000000000000
	s_mov_b32 s44, exec_lo
	v_cmpx_ne_u16_e32 0x80, v36
	s_cbranch_execz .LBB181_256
; %bb.251:                              ;   in Loop: Header=BB181_12 Depth=1
	v_and_b32_e32 v36, 0xffff, v36
	v_mov_b64_e32 v[102:103], 0x7f80000100000000
	s_mov_b32 s45, exec_lo
	s_delay_alu instid0(VALU_DEP_2) | instskip(NEXT) | instid1(VALU_DEP_1)
	v_and_b32_e32 v106, 0x7f, v36
	v_cmpx_ne_u32_e32 0x7f, v106
	s_cbranch_execz .LBB181_255
; %bb.252:                              ;   in Loop: Header=BB181_12 Depth=1
	v_dual_lshrrev_b32 v102, 3, v106 :: v_dual_bitop2_b32 v36, 7, v36 bitop3:0x40
	s_mov_b32 s46, exec_lo
	v_cmpx_gt_u32_e32 8, v106
; %bb.253:                              ;   in Loop: Header=BB181_12 Depth=1
	s_delay_alu instid0(VALU_DEP_2) | instskip(NEXT) | instid1(VALU_DEP_1)
	v_clz_i32_u32_e32 v102, v36
	v_min_u32_e32 v102, 32, v102
	s_delay_alu instid0(VALU_DEP_1) | instskip(SKIP_1) | instid1(VALU_DEP_2)
	v_subrev_nc_u32_e32 v103, 28, v102
	v_sub_nc_u32_e32 v102, 29, v102
	v_lshlrev_b64_e32 v[106:107], v103, v[36:37]
	s_delay_alu instid0(VALU_DEP_1)
	v_and_b32_e32 v36, 7, v106
; %bb.254:                              ;   in Loop: Header=BB181_12 Depth=1
	s_or_b32 exec_lo, exec_lo, s46
	s_delay_alu instid0(VALU_DEP_1) | instskip(SKIP_1) | instid1(VALU_DEP_2)
	v_dual_lshlrev_b32 v39, 16, v39 :: v_dual_lshlrev_b32 v36, 20, v36
	v_lshl_add_u32 v102, v102, 23, 0x3c000000
	v_and_b32_e32 v39, 0x80000000, v39
	s_delay_alu instid0(VALU_DEP_1)
	v_or3_b32 v103, v36, v39, v102
	v_mov_b32_e32 v102, v37
.LBB181_255:                            ;   in Loop: Header=BB181_12 Depth=1
	s_or_b32 exec_lo, exec_lo, s45
.LBB181_256:                            ;   in Loop: Header=BB181_12 Depth=1
	s_delay_alu instid0(SALU_CYCLE_1)
	s_or_b32 exec_lo, exec_lo, s44
.LBB181_257:                            ;   in Loop: Header=BB181_12 Depth=1
	s_delay_alu instid0(SALU_CYCLE_1)
	s_or_b32 exec_lo, exec_lo, s43
	global_load_u16 v36, v[52:53], off offset:780
	s_wait_xcnt 0x0
	v_mov_b64_e32 v[52:53], 0
	v_mov_b64_e32 v[106:107], 0
	s_mov_b32 s43, exec_lo
	s_wait_loadcnt 0x0
	v_and_b32_e32 v117, 0xff, v36
	v_and_b32_e32 v39, 0xffff, v36
	s_delay_alu instid0(VALU_DEP_2)
	v_cmpx_ne_u16_e32 0, v117
	s_cbranch_execz .LBB181_265
; %bb.258:                              ;   in Loop: Header=BB181_12 Depth=1
	v_mov_b64_e32 v[106:107], 0x80000000
	s_delay_alu instid0(VALU_DEP_3) | instskip(SKIP_1) | instid1(VALU_DEP_1)
	v_and_b32_e32 v36, 0xff, v39
	s_mov_b32 s44, exec_lo
	v_cmpx_ne_u16_e32 0x80, v36
	s_cbranch_execz .LBB181_264
; %bb.259:                              ;   in Loop: Header=BB181_12 Depth=1
	v_mov_b64_e32 v[106:107], 0x7f800001
	v_and_b32_e32 v117, 0x7f, v39
	s_mov_b32 s45, exec_lo
	s_delay_alu instid0(VALU_DEP_1)
	v_cmpx_ne_u32_e32 0x7f, v117
	s_cbranch_execz .LBB181_263
; %bb.260:                              ;   in Loop: Header=BB181_12 Depth=1
	v_dual_lshrrev_b32 v106, 3, v117 :: v_dual_bitop2_b32 v36, 7, v39 bitop3:0x40
	s_mov_b32 s46, exec_lo
	v_cmpx_gt_u32_e32 8, v117
; %bb.261:                              ;   in Loop: Header=BB181_12 Depth=1
	s_delay_alu instid0(VALU_DEP_2) | instskip(NEXT) | instid1(VALU_DEP_1)
	v_clz_i32_u32_e32 v106, v36
	v_min_u32_e32 v106, 32, v106
	s_delay_alu instid0(VALU_DEP_1) | instskip(SKIP_1) | instid1(VALU_DEP_2)
	v_subrev_nc_u32_e32 v107, 28, v106
	v_sub_nc_u32_e32 v106, 29, v106
	v_lshlrev_b64_e32 v[118:119], v107, v[36:37]
	s_delay_alu instid0(VALU_DEP_1)
	v_and_b32_e32 v36, 7, v118
; %bb.262:                              ;   in Loop: Header=BB181_12 Depth=1
	s_or_b32 exec_lo, exec_lo, s46
	s_delay_alu instid0(VALU_DEP_1) | instskip(SKIP_1) | instid1(VALU_DEP_2)
	v_dual_lshlrev_b32 v107, 24, v39 :: v_dual_lshlrev_b32 v36, 20, v36
	v_lshl_add_u32 v106, v106, 23, 0x3c000000
	v_and_b32_e32 v107, 0x80000000, v107
	s_delay_alu instid0(VALU_DEP_1) | instskip(NEXT) | instid1(VALU_DEP_1)
	v_or3_b32 v36, v36, v107, v106
	v_mov_b64_e32 v[106:107], v[36:37]
.LBB181_263:                            ;   in Loop: Header=BB181_12 Depth=1
	s_or_b32 exec_lo, exec_lo, s45
.LBB181_264:                            ;   in Loop: Header=BB181_12 Depth=1
	s_delay_alu instid0(SALU_CYCLE_1)
	s_or_b32 exec_lo, exec_lo, s44
.LBB181_265:                            ;   in Loop: Header=BB181_12 Depth=1
	s_delay_alu instid0(SALU_CYCLE_1) | instskip(NEXT) | instid1(VALU_DEP_2)
	s_or_b32 exec_lo, exec_lo, s43
	v_lshrrev_b16 v36, 8, v39
	s_mov_b32 s43, exec_lo
	s_delay_alu instid0(VALU_DEP_1)
	v_cmpx_ne_u16_e32 0, v36
	s_cbranch_execz .LBB181_273
; %bb.266:                              ;   in Loop: Header=BB181_12 Depth=1
	v_mov_b64_e32 v[52:53], 0x8000000000000000
	s_mov_b32 s44, exec_lo
	v_cmpx_ne_u16_e32 0x80, v36
	s_cbranch_execz .LBB181_272
; %bb.267:                              ;   in Loop: Header=BB181_12 Depth=1
	v_and_b32_e32 v36, 0xffff, v36
	v_mov_b64_e32 v[52:53], 0x7f80000100000000
	s_mov_b32 s45, exec_lo
	s_delay_alu instid0(VALU_DEP_2) | instskip(NEXT) | instid1(VALU_DEP_1)
	v_and_b32_e32 v117, 0x7f, v36
	v_cmpx_ne_u32_e32 0x7f, v117
	s_cbranch_execz .LBB181_271
; %bb.268:                              ;   in Loop: Header=BB181_12 Depth=1
	v_dual_lshrrev_b32 v52, 3, v117 :: v_dual_bitop2_b32 v36, 7, v36 bitop3:0x40
	s_mov_b32 s46, exec_lo
	v_cmpx_gt_u32_e32 8, v117
; %bb.269:                              ;   in Loop: Header=BB181_12 Depth=1
	s_delay_alu instid0(VALU_DEP_2) | instskip(NEXT) | instid1(VALU_DEP_1)
	v_clz_i32_u32_e32 v52, v36
	v_min_u32_e32 v52, 32, v52
	s_delay_alu instid0(VALU_DEP_1) | instskip(NEXT) | instid1(VALU_DEP_1)
	v_subrev_nc_u32_e32 v53, 28, v52
	v_lshlrev_b64_e32 v[118:119], v53, v[36:37]
	s_delay_alu instid0(VALU_DEP_1)
	v_dual_sub_nc_u32 v52, 29, v52 :: v_dual_bitop2_b32 v36, 7, v118 bitop3:0x40
; %bb.270:                              ;   in Loop: Header=BB181_12 Depth=1
	s_or_b32 exec_lo, exec_lo, s46
	s_delay_alu instid0(VALU_DEP_1) | instskip(NEXT) | instid1(VALU_DEP_2)
	v_dual_lshlrev_b32 v39, 16, v39 :: v_dual_lshlrev_b32 v36, 20, v36
	v_lshl_add_u32 v52, v52, 23, 0x3c000000
	s_delay_alu instid0(VALU_DEP_2) | instskip(NEXT) | instid1(VALU_DEP_1)
	v_and_b32_e32 v39, 0x80000000, v39
	v_or3_b32 v53, v36, v39, v52
	v_mov_b32_e32 v52, v37
.LBB181_271:                            ;   in Loop: Header=BB181_12 Depth=1
	s_or_b32 exec_lo, exec_lo, s45
.LBB181_272:                            ;   in Loop: Header=BB181_12 Depth=1
	s_delay_alu instid0(SALU_CYCLE_1)
	s_or_b32 exec_lo, exec_lo, s44
.LBB181_273:                            ;   in Loop: Header=BB181_12 Depth=1
	s_delay_alu instid0(SALU_CYCLE_1)
	s_or_b32 exec_lo, exec_lo, s43
	v_or_b32_e32 v49, v49, v51
	v_or_b32_e32 v48, v48, v50
	;; [unrolled: 1-line block ×4, first 2 shown]
	s_wait_kmcnt 0x0
	s_delay_alu instid0(VALU_DEP_3) | instskip(NEXT) | instid1(VALU_DEP_2)
	v_pk_mul_f32 v[46:47], s[6:7], v[48:49] op_sel_hi:[0,1]
	v_pk_mul_f32 v[44:45], s[6:7], v[44:45] op_sel_hi:[0,1]
	s_wait_dscnt 0x7
	s_delay_alu instid0(VALU_DEP_2) | instskip(NEXT) | instid1(VALU_DEP_1)
	v_dual_mul_f32 v36, v32, v46 :: v_dual_mul_f32 v39, v33, v47
	v_dual_fmac_f32 v36, v30, v44 :: v_dual_bitop2_b32 v49, v55, v57 bitop3:0x54
	s_delay_alu instid0(VALU_DEP_2) | instskip(NEXT) | instid1(VALU_DEP_1)
	v_dual_fmac_f32 v39, v31, v45 :: v_dual_bitop2_b32 v48, v54, v56 bitop3:0x54
	v_pk_mul_f32 v[46:47], s[6:7], v[48:49] op_sel_hi:[0,1]
	s_wait_dscnt 0x6
	s_delay_alu instid0(VALU_DEP_1) | instskip(NEXT) | instid1(VALU_DEP_2)
	v_dual_fmac_f32 v36, v26, v46 :: v_dual_bitop2_b32 v33, v59, v61 bitop3:0x54
	v_dual_fmac_f32 v39, v27, v47 :: v_dual_bitop2_b32 v32, v58, v60 bitop3:0x54
	s_delay_alu instid0(VALU_DEP_1) | instskip(NEXT) | instid1(VALU_DEP_1)
	v_pk_mul_f32 v[32:33], s[6:7], v[32:33] op_sel_hi:[0,1]
	v_dual_fmac_f32 v36, v28, v32 :: v_dual_bitop2_b32 v31, v63, v65 bitop3:0x54
	s_delay_alu instid0(VALU_DEP_2) | instskip(NEXT) | instid1(VALU_DEP_1)
	v_dual_fmac_f32 v39, v29, v33 :: v_dual_bitop2_b32 v30, v62, v64 bitop3:0x54
	v_pk_mul_f32 v[30:31], s[6:7], v[30:31] op_sel_hi:[0,1]
	s_wait_dscnt 0x5
	s_delay_alu instid0(VALU_DEP_1) | instskip(NEXT) | instid1(VALU_DEP_2)
	v_dual_fmac_f32 v36, v22, v30 :: v_dual_bitop2_b32 v27, v67, v69 bitop3:0x54
	v_dual_fmac_f32 v39, v23, v31 :: v_dual_bitop2_b32 v26, v66, v68 bitop3:0x54
	s_delay_alu instid0(VALU_DEP_1) | instskip(NEXT) | instid1(VALU_DEP_1)
	v_pk_mul_f32 v[26:27], s[6:7], v[26:27] op_sel_hi:[0,1]
	;; [unrolled: 10-line block ×6, first 2 shown]
	v_dual_fmac_f32 v36, v8, v10 :: v_dual_bitop2_b32 v13, v103, v105 bitop3:0x54
	s_delay_alu instid0(VALU_DEP_2) | instskip(NEXT) | instid1(VALU_DEP_1)
	v_dual_fmac_f32 v39, v9, v11 :: v_dual_bitop2_b32 v12, v102, v104 bitop3:0x54
	v_pk_mul_f32 v[12:13], s[6:7], v[12:13] op_sel_hi:[0,1]
	s_wait_dscnt 0x0
	s_delay_alu instid0(VALU_DEP_1) | instskip(NEXT) | instid1(VALU_DEP_2)
	v_fmac_f32_e32 v39, v3, v13
	v_dual_fmac_f32 v36, v2, v12 :: v_dual_bitop2_b32 v8, 1, v109 bitop3:0x14
	v_or_b32_e32 v7, v53, v107
	s_delay_alu instid0(VALU_DEP_2) | instskip(NEXT) | instid1(VALU_DEP_1)
	v_cmp_gt_i32_e64 s5, 32, v8
	v_dual_cndmask_b32 v2, v109, v8, s5 :: v_dual_bitop2_b32 v6, v52, v106 bitop3:0x54
	s_delay_alu instid0(VALU_DEP_1) | instskip(NEXT) | instid1(VALU_DEP_1)
	v_pk_mul_f32 v[6:7], s[6:7], v[6:7] op_sel_hi:[0,1]
	v_dual_fmac_f32 v36, v4, v6 :: v_dual_fmac_f32 v39, v5, v7
	s_delay_alu instid0(VALU_DEP_1)
	v_dual_add_f32 v2, v36, v39 :: v_dual_lshlrev_b32 v3, 2, v2
	ds_bpermute_b32 v3, v3, v2
	s_and_saveexec_b32 s6, s4
	s_cbranch_execz .LBB181_10
; %bb.274:                              ;   in Loop: Header=BB181_12 Depth=1
	s_wait_dscnt 0x0
	v_dual_add_nc_u32 v4, v113, v38 :: v_dual_add_f32 v2, v2, v3
	s_delay_alu instid0(VALU_DEP_1) | instskip(NEXT) | instid1(VALU_DEP_1)
	v_cvt_f32_i32_e32 v4, v4
	v_mul_f32_e32 v4, s37, v4
	s_delay_alu instid0(VALU_DEP_1) | instskip(NEXT) | instid1(VALU_DEP_1)
	v_cndmask_b32_e32 v3, 0, v4, vcc_lo
	v_fmac_f32_e32 v3, s7, v2
	v_add_nc_u32_e32 v2, v110, v38
	s_delay_alu instid0(VALU_DEP_1) | instskip(NEXT) | instid1(VALU_DEP_1)
	v_cmp_gt_i32_e64 s5, s34, v2
	v_dual_max_num_f32 v4, v112, v112 :: v_dual_cndmask_b32 v2, 0, v3, s5
	s_delay_alu instid0(VALU_DEP_1)
	v_max_num_f32_e32 v4, v4, v3
	ds_store_b32 v114, v2
	v_cndmask_b32_e64 v112, v112, v4, s5
	s_branch .LBB181_10
.LBB181_275:
	s_or_b32 exec_lo, exec_lo, s41
.LBB181_276:
	s_delay_alu instid0(SALU_CYCLE_1)
	s_or_b32 exec_lo, exec_lo, s38
	v_dual_max_num_f32 v5, v112, v112 :: v_dual_bitop2_b32 v2, 16, v109 bitop3:0x14
	s_clause 0x1
	s_load_b64 s[6:7], s[0:1], 0x0
	s_load_b64 s[8:9], s[0:1], 0x18
	v_xor_b32_e32 v4, 8, v109
	v_and_b32_e32 v58, 31, v0
	v_cmp_gt_i32_e32 vcc_lo, 32, v2
	v_cndmask_b32_e32 v2, v109, v2, vcc_lo
	s_delay_alu instid0(VALU_DEP_4) | instskip(NEXT) | instid1(VALU_DEP_2)
	v_cmp_gt_i32_e32 vcc_lo, 32, v4
	v_dual_lshlrev_b32 v2, 2, v2 :: v_dual_cndmask_b32 v4, v109, v4, vcc_lo
	s_wait_dscnt 0x0
	ds_bpermute_b32 v3, v2, v112
	s_wait_dscnt 0x0
	v_dual_max_num_f32 v6, v3, v3 :: v_dual_lshlrev_b32 v3, 2, v4
	s_delay_alu instid0(VALU_DEP_1) | instskip(SKIP_4) | instid1(VALU_DEP_1)
	v_dual_max_num_f32 v5, v5, v6 :: v_dual_bitop2_b32 v6, 4, v109 bitop3:0x14
	ds_bpermute_b32 v4, v3, v5
	v_cmp_gt_i32_e32 vcc_lo, 32, v6
	s_wait_dscnt 0x0
	v_dual_cndmask_b32 v6, v109, v6 :: v_dual_max_num_f32 v7, v4, v4
	v_dual_max_num_f32 v5, v5, v7 :: v_dual_lshlrev_b32 v4, 2, v6
	ds_bpermute_b32 v6, v4, v5
	s_wait_dscnt 0x0
	v_dual_max_num_f32 v6, v6, v6 :: v_dual_bitop2_b32 v7, 2, v109 bitop3:0x14
	s_delay_alu instid0(VALU_DEP_1) | instskip(SKIP_1) | instid1(VALU_DEP_3)
	v_cmp_gt_i32_e32 vcc_lo, 32, v7
	v_cndmask_b32_e32 v7, v109, v7, vcc_lo
	v_dual_max_num_f32 v6, v5, v6 :: v_dual_lshlrev_b32 v5, 2, v1
	v_cmp_eq_u32_e32 vcc_lo, 0, v58
	s_delay_alu instid0(VALU_DEP_3)
	v_lshlrev_b32_e32 v59, 2, v7
	ds_bpermute_b32 v7, v59, v6
	s_wait_xcnt 0x0
	s_and_saveexec_b32 s0, vcc_lo
	s_cbranch_execz .LBB181_278
; %bb.277:
	s_wait_dscnt 0x0
	v_dual_max_num_f32 v7, v7, v7 :: v_dual_max_num_f32 v6, v6, v6
	s_delay_alu instid0(VALU_DEP_1)
	v_max_num_f32_e32 v6, v6, v7
	ds_store_b32 v5, v6 offset:256
.LBB181_278:
	s_or_b32 exec_lo, exec_lo, s0
	v_cmp_gt_u32_e64 s0, 4, v58
	s_wait_dscnt 0x0
	v_dual_mov_b32 v7, 0xff7fffff :: v_dual_lshlrev_b32 v6, 2, v58
	s_barrier_signal -1
	s_barrier_wait -1
	s_and_saveexec_b32 s1, s0
; %bb.279:
	ds_load_b32 v7, v6 offset:256
; %bb.280:
	s_or_b32 exec_lo, exec_lo, s1
	s_wait_dscnt 0x0
	ds_bpermute_b32 v8, v59, v7
	v_dual_max_num_f32 v7, v7, v7 :: v_dual_bitop2_b32 v9, 1, v109 bitop3:0x14
	s_delay_alu instid0(VALU_DEP_1) | instskip(NEXT) | instid1(VALU_DEP_1)
	v_cmp_gt_i32_e64 s1, 32, v9
	v_cndmask_b32_e64 v9, v109, v9, s1
	s_lshl_b32 s1, s35, 4
	s_delay_alu instid0(SALU_CYCLE_1) | instskip(NEXT) | instid1(SALU_CYCLE_1)
	s_min_i32 s5, s1, s34
	v_cmp_gt_i32_e64 s1, s5, v0
	s_wait_dscnt 0x0
	v_dual_max_num_f32 v8, v8, v8 :: v_dual_lshlrev_b32 v60, 2, v9
	s_delay_alu instid0(VALU_DEP_1) | instskip(SKIP_3) | instid1(VALU_DEP_1)
	v_max_num_f32_e32 v7, v7, v8
	ds_bpermute_b32 v8, v60, v7
	s_wait_dscnt 0x0
	v_max_num_f32_e32 v8, v8, v8
	v_dual_max_num_f32 v8, v7, v8 :: v_dual_mov_b32 v7, 0
	ds_bpermute_b32 v8, v7, v8
	s_and_saveexec_b32 s19, s1
	s_cbranch_execz .LBB181_284
; %bb.281:
	v_lshl_add_u32 v9, v0, 2, 0x120
	v_dual_mov_b32 v7, 0 :: v_dual_mov_b32 v10, v0
	s_mov_b32 s28, 0
.LBB181_282:                            ; =>This Inner Loop Header: Depth=1
	ds_load_b32 v11, v9
	v_add_nc_u32_e32 v10, 0x80, v10
	s_delay_alu instid0(VALU_DEP_1) | instskip(SKIP_3) | instid1(VALU_DEP_1)
	v_cmp_le_i32_e64 s4, s5, v10
	s_or_b32 s28, s4, s28
	s_wait_dscnt 0x0
	v_sub_f32_e32 v11, v11, v8
	v_mul_f32_e32 v11, 0x3fb8aa3b, v11
	s_delay_alu instid0(VALU_DEP_1)
	v_exp_f32_e32 v11, v11
	ds_store_b32 v9, v11
	v_nop
	v_add_f32_e32 v7, v7, v11
	v_add_nc_u32_e32 v9, 0x200, v9
	s_and_not1_b32 exec_lo, exec_lo, s28
	s_cbranch_execnz .LBB181_282
; %bb.283:
	s_or_b32 exec_lo, exec_lo, s28
.LBB181_284:
	s_delay_alu instid0(SALU_CYCLE_1)
	s_or_b32 exec_lo, exec_lo, s19
	ds_bpermute_b32 v2, v2, v7
	s_wait_dscnt 0x0
	v_add_f32_e32 v2, v7, v2
	ds_bpermute_b32 v3, v3, v2
	s_wait_dscnt 0x0
	v_add_f32_e32 v2, v2, v3
	ds_bpermute_b32 v3, v4, v2
	s_wait_dscnt 0x0
	v_add_f32_e32 v2, v2, v3
	ds_bpermute_b32 v3, v59, v2
	s_wait_dscnt 0x0
	v_add_f32_e32 v2, v2, v3
	ds_bpermute_b32 v3, v60, v2
	s_wait_dscnt 0x0
	v_add_f32_e32 v2, v2, v3
	s_and_saveexec_b32 s4, vcc_lo
; %bb.285:
	ds_store_b32 v5, v2 offset:272
; %bb.286:
	s_or_b32 exec_lo, exec_lo, s4
	s_wait_dscnt 0x0
	s_barrier_signal -1
	s_barrier_wait -1
	s_and_saveexec_b32 s4, s0
; %bb.287:
	ds_load_b32 v2, v6 offset:272
; %bb.288:
	s_or_b32 exec_lo, exec_lo, s4
	s_wait_dscnt 0x0
	ds_bpermute_b32 v3, v59, v2
	s_wait_dscnt 0x0
	v_dual_mov_b32 v7, 0 :: v_dual_add_f32 v2, v2, v3
	ds_bpermute_b32 v3, v60, v2
	s_wait_dscnt 0x0
	v_add_f32_e32 v2, v2, v3
	ds_bpermute_b32 v2, v7, v2
	s_and_saveexec_b32 s0, s1
	s_cbranch_execz .LBB181_301
; %bb.289:
	s_wait_dscnt 0x0
	v_add_f32_e32 v2, 0x358637bd, v2
	s_mov_b32 s4, -1
	s_mov_b32 s1, exec_lo
	s_delay_alu instid0(VALU_DEP_1) | instskip(NEXT) | instid1(VALU_DEP_1)
	v_div_scale_f32 v3, null, v2, v2, 1.0
	v_rcp_f32_e32 v5, v3
	v_nop
	s_delay_alu instid0(TRANS32_DEP_1) | instskip(NEXT) | instid1(VALU_DEP_1)
	v_fma_f32 v4, -v3, v5, 1.0
	v_fmac_f32_e32 v5, v4, v5
	v_div_scale_f32 v6, vcc_lo, 1.0, v2, 1.0
	s_delay_alu instid0(VALU_DEP_1) | instskip(NEXT) | instid1(VALU_DEP_1)
	v_mul_f32_e32 v8, v6, v5
	v_fma_f32 v4, -v3, v8, v6
	s_delay_alu instid0(VALU_DEP_1) | instskip(SKIP_1) | instid1(VALU_DEP_2)
	v_fmac_f32_e32 v8, v4, v5
	v_xad_u32 v4, v0, -1, s5
	v_fma_f32 v3, -v3, v8, v6
	s_delay_alu instid0(VALU_DEP_1) | instskip(NEXT) | instid1(VALU_DEP_1)
	v_div_fmas_f32 v3, v3, v5, v8
	v_div_fixup_f32 v2, v3, v2, 1.0
	v_mov_b32_e32 v3, v0
	v_cmpx_lt_u32_e32 0x7f, v4
	s_cbranch_execz .LBB181_298
; %bb.290:
	s_delay_alu instid0(VALU_DEP_3) | instskip(NEXT) | instid1(VALU_DEP_1)
	v_dual_mov_b32 v3, v2 :: v_dual_lshrrev_b32 v4, 7, v4
	v_dual_mov_b32 v9, 0 :: v_dual_add_nc_u32 v5, -1, v4
	s_delay_alu instid0(VALU_DEP_1) | instskip(SKIP_1) | instid1(VALU_DEP_2)
	v_lshrrev_b32_e32 v6, 1, v5
	v_cmp_lt_u32_e32 vcc_lo, 13, v5
	v_add_nc_u32_e32 v5, 1, v6
	s_and_saveexec_b32 s4, vcc_lo
	s_cbranch_execz .LBB181_294
; %bb.291:
	s_delay_alu instid0(VALU_DEP_1)
	v_and_b32_e32 v6, -8, v5
	v_lshl_add_u32 v8, v0, 2, 0x120
	s_mov_b32 s19, 0
	s_mov_b32 s28, 0
.LBB181_292:                            ; =>This Inner Loop Header: Depth=1
	ds_load_2addr_stride64_b32 v[10:11], v8 offset1:2
	ds_load_2addr_stride64_b32 v[12:13], v8 offset0:4 offset1:6
	ds_load_2addr_stride64_b32 v[14:15], v8 offset0:8 offset1:10
	ds_load_2addr_stride64_b32 v[16:17], v8 offset0:12 offset1:14
	ds_load_2addr_stride64_b32 v[18:19], v8 offset0:16 offset1:18
	ds_load_2addr_stride64_b32 v[20:21], v8 offset0:20 offset1:22
	ds_load_2addr_stride64_b32 v[22:23], v8 offset0:24 offset1:26
	ds_load_2addr_stride64_b32 v[24:25], v8 offset0:28 offset1:30
	s_add_co_i32 s28, s28, 16
	s_delay_alu instid0(SALU_CYCLE_1) | instskip(NEXT) | instid1(VALU_DEP_1)
	v_dual_mov_b32 v9, s28 :: v_dual_add_nc_u32 v6, -8, v6
	v_cmp_eq_u32_e32 vcc_lo, 0, v6
	s_or_b32 s19, vcc_lo, s19
	s_wait_dscnt 0x7
	v_pk_mul_f32 v[10:11], v[2:3], v[10:11]
	s_wait_dscnt 0x6
	v_pk_mul_f32 v[12:13], v[2:3], v[12:13]
	;; [unrolled: 2-line block ×8, first 2 shown]
	ds_store_2addr_stride64_b32 v8, v10, v11 offset1:2
	ds_store_2addr_stride64_b32 v8, v12, v13 offset0:4 offset1:6
	ds_store_2addr_stride64_b32 v8, v14, v15 offset0:8 offset1:10
	;; [unrolled: 1-line block ×7, first 2 shown]
	v_add_nc_u32_e32 v8, 0x2000, v8
	s_and_not1_b32 exec_lo, exec_lo, s19
	s_cbranch_execnz .LBB181_292
; %bb.293:
	s_or_b32 exec_lo, exec_lo, s19
.LBB181_294:
	s_delay_alu instid0(SALU_CYCLE_1) | instskip(NEXT) | instid1(VALU_DEP_1)
	s_or_b32 exec_lo, exec_lo, s4
	v_and_b32_e32 v5, 7, v5
	s_mov_b32 s19, 0
	s_mov_b32 s4, exec_lo
	s_delay_alu instid0(VALU_DEP_1)
	v_cmpx_ne_u32_e32 0, v5
	s_cbranch_execz .LBB181_297
; %bb.295:
	v_lshlrev_b32_e32 v6, 9, v9
	s_delay_alu instid0(VALU_DEP_1)
	v_add3_u32 v6, v6, v35, 0x120
.LBB181_296:                            ; =>This Inner Loop Header: Depth=1
	ds_load_2addr_stride64_b32 v[8:9], v6 offset1:2
	v_add_nc_u32_e32 v5, -1, v5
	s_delay_alu instid0(VALU_DEP_1)
	v_cmp_eq_u32_e32 vcc_lo, 0, v5
	s_or_b32 s19, vcc_lo, s19
	s_wait_dscnt 0x0
	v_pk_mul_f32 v[8:9], v[2:3], v[8:9]
	ds_store_2addr_stride64_b32 v6, v8, v9 offset1:2
	v_add_nc_u32_e32 v6, 0x400, v6
	s_and_not1_b32 exec_lo, exec_lo, s19
	s_cbranch_execnz .LBB181_296
.LBB181_297:
	s_or_b32 exec_lo, exec_lo, s4
	v_add_nc_u32_e32 v3, 1, v4
	s_delay_alu instid0(VALU_DEP_1) | instskip(NEXT) | instid1(VALU_DEP_1)
	v_and_b32_e32 v4, 0x3fffffe, v3
	v_cmp_ne_u32_e32 vcc_lo, v3, v4
	v_lshl_add_u32 v3, v4, 7, v0
	s_or_not1_b32 s4, vcc_lo, exec_lo
.LBB181_298:
	s_or_b32 exec_lo, exec_lo, s1
	s_delay_alu instid0(SALU_CYCLE_1)
	s_and_b32 exec_lo, exec_lo, s4
	s_cbranch_execz .LBB181_301
; %bb.299:
	v_lshl_add_u32 v4, v3, 2, 0x120
	s_mov_b32 s1, 0
.LBB181_300:                            ; =>This Inner Loop Header: Depth=1
	ds_load_b32 v5, v4
	v_add_nc_u32_e32 v3, 0x80, v3
	s_delay_alu instid0(VALU_DEP_1)
	v_cmp_le_i32_e32 vcc_lo, s5, v3
	s_or_b32 s1, vcc_lo, s1
	s_wait_dscnt 0x0
	v_mul_f32_e32 v5, v2, v5
	ds_store_b32 v4, v5
	v_add_nc_u32_e32 v4, 0x200, v4
	s_and_not1_b32 exec_lo, exec_lo, s1
	s_cbranch_execnz .LBB181_300
.LBB181_301:
	s_or_b32 exec_lo, exec_lo, s0
	v_dual_mov_b32 v6, 0 :: v_dual_bitop2_b32 v61, 3, v0 bitop3:0x40
	v_dual_mov_b32 v11, 0 :: v_dual_mov_b32 v10, 0
	v_dual_mov_b32 v13, 0 :: v_dual_mov_b32 v12, 0
	;; [unrolled: 1-line block ×3, first 2 shown]
	s_wait_dscnt 0x0
	s_barrier_signal -1
	s_barrier_wait -1
	s_and_saveexec_b32 s1, s3
	s_cbranch_execz .LBB181_579
; %bb.302:
	s_abs_i32 s3, s14
	v_dual_mov_b32 v15, 0 :: v_dual_bitop2_b32 v62, 12, v35 bitop3:0x40
	s_cvt_f32_u32 s0, s3
	v_and_b32_e32 v14, 0x7c, v35
	s_ashr_i32 s19, s18, 31
	v_dual_lshlrev_b32 v3, 4, v61 :: v_dual_mov_b32 v63, v1
	v_rcp_iflag_f32_e32 v2, s0
	s_wait_kmcnt 0x0
	s_add_nc_u64 s[8:9], s[8:9], s[18:19]
	s_lshl_b64 s[26:27], s[26:27], 2
	v_add_nc_u64_e32 v[16:17], s[8:9], v[14:15]
	v_and_b32_e32 v14, 0x7c, v108
	s_add_nc_u64 s[8:9], s[24:25], s[26:27]
	s_sub_co_i32 s4, 0, s3
	v_readfirstlane_b32 s0, v2
	v_lshl_or_b32 v2, v1, 6, v3
	v_add_nc_u64_e32 v[18:19], s[8:9], v[14:15]
	v_dual_mov_b32 v8, 0 :: v_dual_mov_b32 v9, 0
	s_mul_f32 s0, s0, 0x4f7ffffe
	s_delay_alu instid0(VALU_DEP_3) | instskip(SKIP_1) | instid1(SALU_CYCLE_1)
	v_dual_mov_b32 v13, 0 :: v_dual_add_nc_u32 v64, 0x120, v2
	v_dual_mov_b32 v12, 0 :: v_dual_mov_b32 v10, 0
	s_cvt_u32_f32 s0, s0
	v_dual_mov_b32 v11, 0 :: v_dual_mov_b32 v6, 0
	v_mov_b32_e32 v7, 0
	s_delay_alu instid0(SALU_CYCLE_1)
	s_mul_i32 s4, s4, s0
	s_mov_b32 s5, 0
	s_mul_hi_u32 s4, s0, s4
	s_sub_co_i32 s13, s36, s13
	s_mov_b32 s14, s17
	s_add_co_i32 s17, s35, -1
	s_mov_b32 s18, s34
	s_add_co_i32 s4, s0, s4
	s_mov_b32 s19, s5
	s_branch .LBB181_305
.LBB181_303:                            ;   in Loop: Header=BB181_305 Depth=1
	s_or_b32 exec_lo, exec_lo, s0
	s_wait_dscnt 0x0
	v_mul_f32_e32 v35, v2, v46
	v_mul_f32_e32 v14, v2, v50
	v_dual_mul_f32 v42, v2, v42 :: v_dual_mul_f32 v32, v2, v32
	s_delay_alu instid0(VALU_DEP_3) | instskip(NEXT) | instid1(VALU_DEP_3)
	v_dual_mul_f32 v38, v2, v38 :: v_dual_fmac_f32 v35, v3, v47
	v_fmac_f32_e32 v14, v3, v51
	s_delay_alu instid0(VALU_DEP_3) | instskip(NEXT) | instid1(VALU_DEP_2)
	v_dual_fmac_f32 v42, v3, v43 :: v_dual_mul_f32 v22, v2, v22
	v_dual_fmac_f32 v32, v3, v33 :: v_dual_fmac_f32 v14, v4, v48
	s_delay_alu instid0(VALU_DEP_2) | instskip(NEXT) | instid1(VALU_DEP_2)
	v_dual_fmac_f32 v35, v4, v44 :: v_dual_fmac_f32 v22, v3, v23
	v_dual_fmac_f32 v32, v4, v30 :: v_dual_fmac_f32 v14, v5, v49
	s_delay_alu instid0(VALU_DEP_2) | instskip(SKIP_1) | instid1(VALU_DEP_2)
	v_dual_fmac_f32 v42, v4, v40 :: v_dual_fmac_f32 v35, v5, v45
	v_dual_mul_f32 v28, v2, v28 :: v_dual_fmac_f32 v38, v3, v39
	v_dual_add_f32 v6, v6, v14 :: v_dual_fmac_f32 v42, v5, v41
	v_pk_mul_f32 v[40:41], v[2:3], v[52:53]
	s_delay_alu instid0(VALU_DEP_3) | instskip(SKIP_3) | instid1(VALU_DEP_4)
	v_fmac_f32_e32 v28, v3, v29
	v_pk_mul_f32 v[2:3], v[4:5], v[24:25]
	v_fmac_f32_e32 v38, v4, v36
	v_fmac_f32_e32 v22, v4, v20
	v_dual_add_f32 v14, v41, v40 :: v_dual_fmac_f32 v28, v4, v26
	s_delay_alu instid0(VALU_DEP_3) | instskip(NEXT) | instid1(VALU_DEP_2)
	v_dual_fmac_f32 v32, v5, v31 :: v_dual_fmac_f32 v38, v5, v37
	v_dual_fmac_f32 v22, v5, v21 :: v_dual_add_f32 v2, v2, v14
	s_delay_alu instid0(VALU_DEP_3) | instskip(SKIP_1) | instid1(VALU_DEP_4)
	v_fmac_f32_e32 v28, v5, v27
	v_dual_add_f32 v11, v11, v35 :: v_dual_add_f32 v10, v10, v42
	v_dual_add_f32 v13, v13, v38 :: v_dual_add_f32 v12, v12, v32
	s_delay_alu instid0(VALU_DEP_3) | instskip(SKIP_1) | instid1(VALU_DEP_2)
	v_dual_add_f32 v2, v3, v2 :: v_dual_add_f32 v9, v9, v28
	v_add_f32_e32 v8, v8, v22
	v_add_f32_e32 v7, v7, v2
.LBB181_304:                            ;   in Loop: Header=BB181_305 Depth=1
	s_or_b32 exec_lo, exec_lo, s24
	v_dual_add_nc_u32 v63, 4, v63 :: v_dual_add_nc_u32 v34, 64, v34
	v_add_nc_u64_e32 v[18:19], 16, v[18:19]
	v_add_nc_u32_e32 v64, 0x100, v64
	s_delay_alu instid0(VALU_DEP_3) | instskip(SKIP_1) | instid1(SALU_CYCLE_1)
	v_cmp_le_i32_e32 vcc_lo, s35, v63
	s_or_b32 s19, vcc_lo, s19
	s_and_not1_b32 exec_lo, exec_lo, s19
	s_cbranch_execz .LBB181_578
.LBB181_305:                            ; =>This Inner Loop Header: Depth=1
	v_mov_b32_e32 v35, v15
	s_delay_alu instid0(VALU_DEP_1) | instskip(NEXT) | instid1(VALU_DEP_1)
	v_mul_u64_e32 v[2:3], s[22:23], v[34:35]
	v_mul_lo_u32 v2, v3, s16
	s_delay_alu instid0(VALU_DEP_1) | instskip(NEXT) | instid1(VALU_DEP_1)
	v_sub_nc_u32_e32 v2, v34, v2
	v_subrev_nc_u32_e32 v5, s16, v2
	v_cmp_le_u32_e32 vcc_lo, s16, v2
	s_delay_alu instid0(VALU_DEP_2) | instskip(NEXT) | instid1(VALU_DEP_1)
	v_dual_add_nc_u32 v4, 1, v3 :: v_dual_cndmask_b32 v2, v2, v5, vcc_lo
	v_cndmask_b32_e32 v3, v3, v4, vcc_lo
	s_delay_alu instid0(VALU_DEP_2) | instskip(NEXT) | instid1(VALU_DEP_2)
	v_cmp_le_u32_e32 vcc_lo, s16, v2
	v_add_nc_u32_e32 v4, 1, v3
	s_delay_alu instid0(VALU_DEP_1) | instskip(NEXT) | instid1(VALU_DEP_1)
	v_cndmask_b32_e32 v2, v3, v4, vcc_lo
	v_xor_b32_e32 v2, s15, v2
	s_delay_alu instid0(VALU_DEP_1) | instskip(NEXT) | instid1(VALU_DEP_1)
	v_subrev_nc_u32_e32 v4, s15, v2
	v_add_nc_u32_e32 v5, s21, v4
	v_cmp_lt_i32_e64 s0, s13, v4
	s_delay_alu instid0(VALU_DEP_2) | instskip(NEXT) | instid1(VALU_DEP_1)
	v_sub_nc_u32_e32 v2, 0, v5
	v_dual_ashrrev_i32 v5, 31, v5 :: v_dual_max_i32 v14, v5, v2
	s_delay_alu instid0(VALU_DEP_1) | instskip(NEXT) | instid1(VALU_DEP_1)
	v_mul_u64_e32 v[2:3], s[4:5], v[14:15]
	v_mul_lo_u32 v2, v3, s3
	s_delay_alu instid0(VALU_DEP_1) | instskip(NEXT) | instid1(VALU_DEP_1)
	v_sub_nc_u32_e32 v2, v14, v2
	v_subrev_nc_u32_e32 v3, s3, v2
	v_cmp_le_u32_e32 vcc_lo, s3, v2
	s_delay_alu instid0(VALU_DEP_2) | instskip(NEXT) | instid1(VALU_DEP_1)
	v_cndmask_b32_e32 v2, v2, v3, vcc_lo
	v_subrev_nc_u32_e32 v3, s3, v2
	v_cmp_le_u32_e32 vcc_lo, s3, v2
	s_delay_alu instid0(VALU_DEP_2) | instskip(NEXT) | instid1(VALU_DEP_1)
	v_cndmask_b32_e32 v2, v2, v3, vcc_lo
	v_xor_b32_e32 v2, v2, v5
	s_delay_alu instid0(VALU_DEP_1) | instskip(NEXT) | instid1(VALU_DEP_1)
	v_sub_nc_u32_e32 v2, v2, v5
	v_cmp_eq_u32_e32 vcc_lo, 0, v2
	s_or_b32 s0, vcc_lo, s0
	s_delay_alu instid0(SALU_CYCLE_1)
	s_and_saveexec_b32 s24, s0
	s_cbranch_execz .LBB181_304
; %bb.306:                              ;   in Loop: Header=BB181_305 Depth=1
	global_load_b32 v2, v[18:19], off
	s_load_b32 s8, s[10:11], 0x0
	v_mov_b64_e32 v[20:21], 0
	v_mov_b64_e32 v[22:23], 0
	s_mov_b32 s0, exec_lo
	s_wait_loadcnt 0x0
	v_mad_nc_i64_i32 v[24:25], v2, s14, v[16:17]
	ds_load_b128 v[2:5], v64
	global_load_b32 v30, v[24:25], off
	s_wait_loadcnt 0x0
	v_and_b32_e32 v14, 0xff, v30
	s_delay_alu instid0(VALU_DEP_1)
	v_cmpx_ne_u16_e32 0, v14
	s_cbranch_execz .LBB181_314
; %bb.307:                              ;   in Loop: Header=BB181_305 Depth=1
	v_mov_b64_e32 v[22:23], 0x80000000
	s_mov_b32 s9, exec_lo
	v_cmpx_ne_u16_e32 0x80, v14
	s_cbranch_execz .LBB181_313
; %bb.308:                              ;   in Loop: Header=BB181_305 Depth=1
	v_mov_b64_e32 v[22:23], 0x7f800001
	v_and_b32_e32 v26, 0x7f, v30
	s_mov_b32 s25, exec_lo
	s_delay_alu instid0(VALU_DEP_1)
	v_cmpx_ne_u32_e32 0x7f, v26
	s_cbranch_execz .LBB181_312
; %bb.309:                              ;   in Loop: Header=BB181_305 Depth=1
	v_and_b32_e32 v14, 7, v30
	v_lshrrev_b32_e32 v22, 3, v26
	s_mov_b32 s26, exec_lo
	v_cmpx_gt_u32_e32 8, v26
; %bb.310:                              ;   in Loop: Header=BB181_305 Depth=1
	s_delay_alu instid0(VALU_DEP_3) | instskip(NEXT) | instid1(VALU_DEP_1)
	v_clz_i32_u32_e32 v22, v14
	v_min_u32_e32 v22, 32, v22
	s_delay_alu instid0(VALU_DEP_1) | instskip(SKIP_1) | instid1(VALU_DEP_2)
	v_subrev_nc_u32_e32 v23, 28, v22
	v_sub_nc_u32_e32 v22, 29, v22
	v_lshlrev_b64_e32 v[26:27], v23, v[14:15]
	s_delay_alu instid0(VALU_DEP_1)
	v_and_b32_e32 v14, 7, v26
; %bb.311:                              ;   in Loop: Header=BB181_305 Depth=1
	s_or_b32 exec_lo, exec_lo, s26
	v_lshlrev_b32_e32 v23, 24, v30
	s_delay_alu instid0(VALU_DEP_2) | instskip(SKIP_1) | instid1(VALU_DEP_3)
	v_lshlrev_b32_e32 v14, 20, v14
	v_lshl_add_u32 v22, v22, 23, 0x3c000000
	v_and_b32_e32 v23, 0x80000000, v23
	s_delay_alu instid0(VALU_DEP_1) | instskip(NEXT) | instid1(VALU_DEP_1)
	v_or3_b32 v14, v14, v23, v22
	v_mov_b64_e32 v[22:23], v[14:15]
.LBB181_312:                            ;   in Loop: Header=BB181_305 Depth=1
	s_or_b32 exec_lo, exec_lo, s25
.LBB181_313:                            ;   in Loop: Header=BB181_305 Depth=1
	s_delay_alu instid0(SALU_CYCLE_1)
	s_or_b32 exec_lo, exec_lo, s9
.LBB181_314:                            ;   in Loop: Header=BB181_305 Depth=1
	s_delay_alu instid0(SALU_CYCLE_1) | instskip(SKIP_2) | instid1(VALU_DEP_1)
	s_or_b32 exec_lo, exec_lo, s0
	v_lshrrev_b16 v14, 8, v30
	s_mov_b32 s0, exec_lo
	v_cmpx_ne_u16_e32 0, v14
	s_cbranch_execz .LBB181_322
; %bb.315:                              ;   in Loop: Header=BB181_305 Depth=1
	v_mov_b64_e32 v[20:21], 0x8000000000000000
	s_mov_b32 s9, exec_lo
	v_cmpx_ne_u16_e32 0x80, v14
	s_cbranch_execz .LBB181_321
; %bb.316:                              ;   in Loop: Header=BB181_305 Depth=1
	v_and_b32_e32 v14, 0xffff, v14
	v_mov_b64_e32 v[20:21], 0x7f80000100000000
	s_mov_b32 s25, exec_lo
	s_delay_alu instid0(VALU_DEP_2) | instskip(NEXT) | instid1(VALU_DEP_1)
	v_and_b32_e32 v26, 0x7f, v14
	v_cmpx_ne_u32_e32 0x7f, v26
	s_cbranch_execz .LBB181_320
; %bb.317:                              ;   in Loop: Header=BB181_305 Depth=1
	v_and_b32_e32 v14, 7, v14
	v_lshrrev_b32_e32 v20, 3, v26
	s_mov_b32 s26, exec_lo
	v_cmpx_gt_u32_e32 8, v26
; %bb.318:                              ;   in Loop: Header=BB181_305 Depth=1
	s_delay_alu instid0(VALU_DEP_3) | instskip(NEXT) | instid1(VALU_DEP_1)
	v_clz_i32_u32_e32 v20, v14
	v_min_u32_e32 v20, 32, v20
	s_delay_alu instid0(VALU_DEP_1) | instskip(NEXT) | instid1(VALU_DEP_1)
	v_subrev_nc_u32_e32 v21, 28, v20
	v_lshlrev_b64_e32 v[26:27], v21, v[14:15]
	s_delay_alu instid0(VALU_DEP_1)
	v_dual_sub_nc_u32 v20, 29, v20 :: v_dual_bitop2_b32 v14, 7, v26 bitop3:0x40
; %bb.319:                              ;   in Loop: Header=BB181_305 Depth=1
	s_or_b32 exec_lo, exec_lo, s26
	v_lshlrev_b32_e32 v21, 16, v30
	s_delay_alu instid0(VALU_DEP_2) | instskip(NEXT) | instid1(VALU_DEP_3)
	v_lshlrev_b32_e32 v14, 20, v14
	v_lshl_add_u32 v20, v20, 23, 0x3c000000
	s_delay_alu instid0(VALU_DEP_3) | instskip(NEXT) | instid1(VALU_DEP_1)
	v_and_b32_e32 v21, 0x80000000, v21
	v_or3_b32 v21, v14, v21, v20
	v_mov_b32_e32 v20, v15
.LBB181_320:                            ;   in Loop: Header=BB181_305 Depth=1
	s_or_b32 exec_lo, exec_lo, s25
.LBB181_321:                            ;   in Loop: Header=BB181_305 Depth=1
	s_delay_alu instid0(SALU_CYCLE_1)
	s_or_b32 exec_lo, exec_lo, s9
.LBB181_322:                            ;   in Loop: Header=BB181_305 Depth=1
	s_delay_alu instid0(SALU_CYCLE_1) | instskip(SKIP_4) | instid1(VALU_DEP_3)
	s_or_b32 exec_lo, exec_lo, s0
	v_lshrrev_b32_e32 v31, 16, v30
	v_mov_b64_e32 v[26:27], 0
	v_mov_b64_e32 v[28:29], 0
	s_mov_b32 s0, exec_lo
	v_and_b32_e32 v14, 0xff, v31
	s_delay_alu instid0(VALU_DEP_1)
	v_cmpx_ne_u16_e32 0, v14
	s_cbranch_execz .LBB181_330
; %bb.323:                              ;   in Loop: Header=BB181_305 Depth=1
	v_mov_b64_e32 v[28:29], 0x80000000
	s_mov_b32 s9, exec_lo
	v_cmpx_ne_u16_e32 0x80, v14
	s_cbranch_execz .LBB181_329
; %bb.324:                              ;   in Loop: Header=BB181_305 Depth=1
	v_mov_b64_e32 v[28:29], 0x7f800001
	v_bfe_u32 v32, v30, 16, 7
	s_mov_b32 s25, exec_lo
	s_delay_alu instid0(VALU_DEP_1)
	v_cmpx_ne_u32_e32 0x7f, v32
	s_cbranch_execz .LBB181_328
; %bb.325:                              ;   in Loop: Header=BB181_305 Depth=1
	v_dual_lshrrev_b32 v28, 3, v32 :: v_dual_bitop2_b32 v14, 7, v31 bitop3:0x40
	s_mov_b32 s26, exec_lo
	v_cmpx_gt_u32_e32 8, v32
; %bb.326:                              ;   in Loop: Header=BB181_305 Depth=1
	s_delay_alu instid0(VALU_DEP_2) | instskip(NEXT) | instid1(VALU_DEP_1)
	v_clz_i32_u32_e32 v28, v14
	v_min_u32_e32 v28, 32, v28
	s_delay_alu instid0(VALU_DEP_1) | instskip(SKIP_1) | instid1(VALU_DEP_2)
	v_subrev_nc_u32_e32 v29, 28, v28
	v_sub_nc_u32_e32 v28, 29, v28
	v_lshlrev_b64_e32 v[32:33], v29, v[14:15]
	s_delay_alu instid0(VALU_DEP_1)
	v_and_b32_e32 v14, 7, v32
; %bb.327:                              ;   in Loop: Header=BB181_305 Depth=1
	s_or_b32 exec_lo, exec_lo, s26
	s_delay_alu instid0(VALU_DEP_1) | instskip(SKIP_1) | instid1(VALU_DEP_2)
	v_dual_lshlrev_b32 v29, 24, v31 :: v_dual_lshlrev_b32 v14, 20, v14
	v_lshl_add_u32 v28, v28, 23, 0x3c000000
	v_and_b32_e32 v29, 0x80000000, v29
	s_delay_alu instid0(VALU_DEP_1) | instskip(NEXT) | instid1(VALU_DEP_1)
	v_or3_b32 v14, v14, v29, v28
	v_mov_b64_e32 v[28:29], v[14:15]
.LBB181_328:                            ;   in Loop: Header=BB181_305 Depth=1
	s_or_b32 exec_lo, exec_lo, s25
.LBB181_329:                            ;   in Loop: Header=BB181_305 Depth=1
	s_delay_alu instid0(SALU_CYCLE_1)
	s_or_b32 exec_lo, exec_lo, s9
.LBB181_330:                            ;   in Loop: Header=BB181_305 Depth=1
	s_delay_alu instid0(SALU_CYCLE_1) | instskip(NEXT) | instid1(SALU_CYCLE_1)
	s_or_b32 exec_lo, exec_lo, s0
	s_mov_b32 s0, exec_lo
	v_cmpx_lt_u32_e32 0xffffff, v30
	s_cbranch_execz .LBB181_338
; %bb.331:                              ;   in Loop: Header=BB181_305 Depth=1
	v_mov_b64_e32 v[26:27], 0x8000000000000000
	v_lshrrev_b32_e32 v31, 24, v30
	s_mov_b32 s9, exec_lo
	s_delay_alu instid0(VALU_DEP_1)
	v_cmpx_ne_u32_e32 0x80, v31
	s_cbranch_execz .LBB181_337
; %bb.332:                              ;   in Loop: Header=BB181_305 Depth=1
	v_mov_b64_e32 v[26:27], 0x7f80000100000000
	v_bfe_u32 v30, v30, 24, 7
	s_mov_b32 s25, exec_lo
	s_delay_alu instid0(VALU_DEP_1)
	v_cmpx_ne_u32_e32 0x7f, v30
	s_cbranch_execz .LBB181_336
; %bb.333:                              ;   in Loop: Header=BB181_305 Depth=1
	v_dual_lshrrev_b32 v26, 3, v30 :: v_dual_bitop2_b32 v14, 7, v31 bitop3:0x40
	s_mov_b32 s26, exec_lo
	v_cmpx_gt_u32_e32 8, v30
; %bb.334:                              ;   in Loop: Header=BB181_305 Depth=1
	s_delay_alu instid0(VALU_DEP_2) | instskip(NEXT) | instid1(VALU_DEP_1)
	v_clz_i32_u32_e32 v26, v14
	v_min_u32_e32 v26, 32, v26
	s_delay_alu instid0(VALU_DEP_1) | instskip(NEXT) | instid1(VALU_DEP_1)
	v_subrev_nc_u32_e32 v27, 28, v26
	v_lshlrev_b64_e32 v[32:33], v27, v[14:15]
	s_delay_alu instid0(VALU_DEP_1)
	v_dual_sub_nc_u32 v26, 29, v26 :: v_dual_bitop2_b32 v14, 7, v32 bitop3:0x40
; %bb.335:                              ;   in Loop: Header=BB181_305 Depth=1
	s_or_b32 exec_lo, exec_lo, s26
	s_delay_alu instid0(VALU_DEP_1) | instskip(NEXT) | instid1(VALU_DEP_2)
	v_dual_lshlrev_b32 v27, 24, v31 :: v_dual_lshlrev_b32 v14, 20, v14
	v_lshl_add_u32 v26, v26, 23, 0x3c000000
	s_delay_alu instid0(VALU_DEP_2) | instskip(NEXT) | instid1(VALU_DEP_1)
	v_and_b32_e32 v27, 0x80000000, v27
	v_or3_b32 v27, v14, v27, v26
	v_mov_b32_e32 v26, v15
.LBB181_336:                            ;   in Loop: Header=BB181_305 Depth=1
	s_or_b32 exec_lo, exec_lo, s25
.LBB181_337:                            ;   in Loop: Header=BB181_305 Depth=1
	s_delay_alu instid0(SALU_CYCLE_1)
	s_or_b32 exec_lo, exec_lo, s9
.LBB181_338:                            ;   in Loop: Header=BB181_305 Depth=1
	s_delay_alu instid0(SALU_CYCLE_1)
	s_or_b32 exec_lo, exec_lo, s0
	v_dual_add_nc_u32 v35, v62, v34 :: v_dual_bitop2_b32 v21, v21, v23 bitop3:0x54
	v_or_b32_e32 v20, v20, v22
	v_or_b32_e32 v27, v27, v29
	;; [unrolled: 1-line block ×3, first 2 shown]
	v_cmp_eq_u32_e32 vcc_lo, s17, v63
	v_add_nc_u32_e32 v65, 1, v35
	s_wait_kmcnt 0x0
	v_pk_mul_f32 v[22:23], s[8:9], v[20:21] op_sel_hi:[0,1]
	v_dual_add_nc_u32 v57, 2, v35 :: v_dual_add_nc_u32 v56, 3, v35
	v_pk_mul_f32 v[20:21], s[8:9], v[26:27] op_sel_hi:[0,1]
	s_and_saveexec_b32 s9, vcc_lo
	s_cbranch_execz .LBB181_340
; %bb.339:                              ;   in Loop: Header=BB181_305 Depth=1
	v_cmp_gt_i32_e64 s0, s34, v35
	s_delay_alu instid0(VALU_DEP_1) | instskip(SKIP_1) | instid1(VALU_DEP_1)
	v_cndmask_b32_e64 v22, 0, v22, s0
	v_cmp_gt_i32_e64 s0, s34, v65
	v_cndmask_b32_e64 v23, 0, v23, s0
	v_cmp_gt_i32_e64 s0, s34, v57
	s_delay_alu instid0(VALU_DEP_1) | instskip(SKIP_1) | instid1(VALU_DEP_1)
	v_cndmask_b32_e64 v20, 0, v20, s0
	v_cmp_gt_i32_e64 s0, s34, v56
	v_cndmask_b32_e64 v21, 0, v21, s0
.LBB181_340:                            ;   in Loop: Header=BB181_305 Depth=1
	s_or_b32 exec_lo, exec_lo, s9
	global_load_b32 v36, v[24:25], off offset:128
	v_mov_b64_e32 v[26:27], 0
	v_mov_b64_e32 v[28:29], 0
	s_mov_b32 s9, exec_lo
	s_wait_loadcnt 0x0
	v_and_b32_e32 v14, 0xff, v36
	s_delay_alu instid0(VALU_DEP_1)
	v_cmpx_ne_u16_e32 0, v14
	s_cbranch_execz .LBB181_348
; %bb.341:                              ;   in Loop: Header=BB181_305 Depth=1
	v_mov_b64_e32 v[28:29], 0x80000000
	s_mov_b32 s25, exec_lo
	v_cmpx_ne_u16_e32 0x80, v14
	s_cbranch_execz .LBB181_347
; %bb.342:                              ;   in Loop: Header=BB181_305 Depth=1
	v_mov_b64_e32 v[28:29], 0x7f800001
	v_and_b32_e32 v30, 0x7f, v36
	s_mov_b32 s26, exec_lo
	s_delay_alu instid0(VALU_DEP_1)
	v_cmpx_ne_u32_e32 0x7f, v30
	s_cbranch_execz .LBB181_346
; %bb.343:                              ;   in Loop: Header=BB181_305 Depth=1
	v_dual_lshrrev_b32 v28, 3, v30 :: v_dual_bitop2_b32 v14, 7, v36 bitop3:0x40
	s_mov_b32 s27, exec_lo
	v_cmpx_gt_u32_e32 8, v30
; %bb.344:                              ;   in Loop: Header=BB181_305 Depth=1
	s_delay_alu instid0(VALU_DEP_2) | instskip(NEXT) | instid1(VALU_DEP_1)
	v_clz_i32_u32_e32 v28, v14
	v_min_u32_e32 v28, 32, v28
	s_delay_alu instid0(VALU_DEP_1) | instskip(NEXT) | instid1(VALU_DEP_1)
	v_subrev_nc_u32_e32 v29, 28, v28
	v_lshlrev_b64_e32 v[30:31], v29, v[14:15]
	s_delay_alu instid0(VALU_DEP_1)
	v_dual_sub_nc_u32 v28, 29, v28 :: v_dual_bitop2_b32 v14, 7, v30 bitop3:0x40
; %bb.345:                              ;   in Loop: Header=BB181_305 Depth=1
	s_or_b32 exec_lo, exec_lo, s27
	s_delay_alu instid0(VALU_DEP_1) | instskip(NEXT) | instid1(VALU_DEP_2)
	v_dual_lshlrev_b32 v29, 24, v36 :: v_dual_lshlrev_b32 v14, 20, v14
	v_lshl_add_u32 v28, v28, 23, 0x3c000000
	s_delay_alu instid0(VALU_DEP_2) | instskip(NEXT) | instid1(VALU_DEP_1)
	v_and_b32_e32 v29, 0x80000000, v29
	v_or3_b32 v14, v14, v29, v28
	s_delay_alu instid0(VALU_DEP_1)
	v_mov_b64_e32 v[28:29], v[14:15]
.LBB181_346:                            ;   in Loop: Header=BB181_305 Depth=1
	s_or_b32 exec_lo, exec_lo, s26
.LBB181_347:                            ;   in Loop: Header=BB181_305 Depth=1
	s_delay_alu instid0(SALU_CYCLE_1)
	s_or_b32 exec_lo, exec_lo, s25
.LBB181_348:                            ;   in Loop: Header=BB181_305 Depth=1
	s_delay_alu instid0(SALU_CYCLE_1) | instskip(SKIP_2) | instid1(VALU_DEP_1)
	s_or_b32 exec_lo, exec_lo, s9
	v_lshrrev_b16 v14, 8, v36
	s_mov_b32 s9, exec_lo
	v_cmpx_ne_u16_e32 0, v14
	s_cbranch_execz .LBB181_356
; %bb.349:                              ;   in Loop: Header=BB181_305 Depth=1
	v_mov_b64_e32 v[26:27], 0x8000000000000000
	s_mov_b32 s25, exec_lo
	v_cmpx_ne_u16_e32 0x80, v14
	s_cbranch_execz .LBB181_355
; %bb.350:                              ;   in Loop: Header=BB181_305 Depth=1
	v_and_b32_e32 v14, 0xffff, v14
	v_mov_b64_e32 v[26:27], 0x7f80000100000000
	s_mov_b32 s26, exec_lo
	s_delay_alu instid0(VALU_DEP_2) | instskip(NEXT) | instid1(VALU_DEP_1)
	v_and_b32_e32 v30, 0x7f, v14
	v_cmpx_ne_u32_e32 0x7f, v30
	s_cbranch_execz .LBB181_354
; %bb.351:                              ;   in Loop: Header=BB181_305 Depth=1
	v_and_b32_e32 v14, 7, v14
	v_lshrrev_b32_e32 v26, 3, v30
	s_mov_b32 s27, exec_lo
	v_cmpx_gt_u32_e32 8, v30
; %bb.352:                              ;   in Loop: Header=BB181_305 Depth=1
	s_delay_alu instid0(VALU_DEP_3) | instskip(NEXT) | instid1(VALU_DEP_1)
	v_clz_i32_u32_e32 v26, v14
	v_min_u32_e32 v26, 32, v26
	s_delay_alu instid0(VALU_DEP_1) | instskip(SKIP_1) | instid1(VALU_DEP_2)
	v_subrev_nc_u32_e32 v27, 28, v26
	v_sub_nc_u32_e32 v26, 29, v26
	v_lshlrev_b64_e32 v[30:31], v27, v[14:15]
	s_delay_alu instid0(VALU_DEP_1)
	v_and_b32_e32 v14, 7, v30
; %bb.353:                              ;   in Loop: Header=BB181_305 Depth=1
	s_or_b32 exec_lo, exec_lo, s27
	s_delay_alu instid0(VALU_DEP_1) | instskip(SKIP_1) | instid1(VALU_DEP_2)
	v_dual_lshlrev_b32 v27, 16, v36 :: v_dual_lshlrev_b32 v14, 20, v14
	v_lshl_add_u32 v26, v26, 23, 0x3c000000
	v_and_b32_e32 v27, 0x80000000, v27
	s_delay_alu instid0(VALU_DEP_1)
	v_or3_b32 v27, v14, v27, v26
	v_mov_b32_e32 v26, v15
.LBB181_354:                            ;   in Loop: Header=BB181_305 Depth=1
	s_or_b32 exec_lo, exec_lo, s26
.LBB181_355:                            ;   in Loop: Header=BB181_305 Depth=1
	s_delay_alu instid0(SALU_CYCLE_1)
	s_or_b32 exec_lo, exec_lo, s25
.LBB181_356:                            ;   in Loop: Header=BB181_305 Depth=1
	s_delay_alu instid0(SALU_CYCLE_1) | instskip(SKIP_4) | instid1(VALU_DEP_3)
	s_or_b32 exec_lo, exec_lo, s9
	v_lshrrev_b32_e32 v37, 16, v36
	v_mov_b64_e32 v[30:31], 0
	v_mov_b64_e32 v[32:33], 0
	s_mov_b32 s9, exec_lo
	v_and_b32_e32 v14, 0xff, v37
	s_delay_alu instid0(VALU_DEP_1)
	v_cmpx_ne_u16_e32 0, v14
	s_cbranch_execz .LBB181_364
; %bb.357:                              ;   in Loop: Header=BB181_305 Depth=1
	v_mov_b64_e32 v[32:33], 0x80000000
	s_mov_b32 s25, exec_lo
	v_cmpx_ne_u16_e32 0x80, v14
	s_cbranch_execz .LBB181_363
; %bb.358:                              ;   in Loop: Header=BB181_305 Depth=1
	v_mov_b64_e32 v[32:33], 0x7f800001
	v_bfe_u32 v38, v36, 16, 7
	s_mov_b32 s26, exec_lo
	s_delay_alu instid0(VALU_DEP_1)
	v_cmpx_ne_u32_e32 0x7f, v38
	s_cbranch_execz .LBB181_362
; %bb.359:                              ;   in Loop: Header=BB181_305 Depth=1
	v_dual_lshrrev_b32 v32, 3, v38 :: v_dual_bitop2_b32 v14, 7, v37 bitop3:0x40
	s_mov_b32 s27, exec_lo
	v_cmpx_gt_u32_e32 8, v38
; %bb.360:                              ;   in Loop: Header=BB181_305 Depth=1
	s_delay_alu instid0(VALU_DEP_2) | instskip(NEXT) | instid1(VALU_DEP_1)
	v_clz_i32_u32_e32 v32, v14
	v_min_u32_e32 v32, 32, v32
	s_delay_alu instid0(VALU_DEP_1) | instskip(NEXT) | instid1(VALU_DEP_1)
	v_subrev_nc_u32_e32 v33, 28, v32
	v_lshlrev_b64_e32 v[38:39], v33, v[14:15]
	s_delay_alu instid0(VALU_DEP_1)
	v_dual_sub_nc_u32 v32, 29, v32 :: v_dual_bitop2_b32 v14, 7, v38 bitop3:0x40
; %bb.361:                              ;   in Loop: Header=BB181_305 Depth=1
	s_or_b32 exec_lo, exec_lo, s27
	s_delay_alu instid0(VALU_DEP_1) | instskip(NEXT) | instid1(VALU_DEP_2)
	v_dual_lshlrev_b32 v33, 24, v37 :: v_dual_lshlrev_b32 v14, 20, v14
	v_lshl_add_u32 v32, v32, 23, 0x3c000000
	s_delay_alu instid0(VALU_DEP_2) | instskip(NEXT) | instid1(VALU_DEP_1)
	v_and_b32_e32 v33, 0x80000000, v33
	v_or3_b32 v14, v14, v33, v32
	s_delay_alu instid0(VALU_DEP_1)
	v_mov_b64_e32 v[32:33], v[14:15]
.LBB181_362:                            ;   in Loop: Header=BB181_305 Depth=1
	s_or_b32 exec_lo, exec_lo, s26
.LBB181_363:                            ;   in Loop: Header=BB181_305 Depth=1
	s_delay_alu instid0(SALU_CYCLE_1)
	s_or_b32 exec_lo, exec_lo, s25
.LBB181_364:                            ;   in Loop: Header=BB181_305 Depth=1
	s_delay_alu instid0(SALU_CYCLE_1) | instskip(NEXT) | instid1(SALU_CYCLE_1)
	s_or_b32 exec_lo, exec_lo, s9
	s_mov_b32 s9, exec_lo
	v_cmpx_lt_u32_e32 0xffffff, v36
	s_cbranch_execz .LBB181_372
; %bb.365:                              ;   in Loop: Header=BB181_305 Depth=1
	v_mov_b64_e32 v[30:31], 0x8000000000000000
	v_lshrrev_b32_e32 v37, 24, v36
	s_mov_b32 s25, exec_lo
	s_delay_alu instid0(VALU_DEP_1)
	v_cmpx_ne_u32_e32 0x80, v37
	s_cbranch_execz .LBB181_371
; %bb.366:                              ;   in Loop: Header=BB181_305 Depth=1
	v_mov_b64_e32 v[30:31], 0x7f80000100000000
	v_bfe_u32 v36, v36, 24, 7
	s_mov_b32 s26, exec_lo
	s_delay_alu instid0(VALU_DEP_1)
	v_cmpx_ne_u32_e32 0x7f, v36
	s_cbranch_execz .LBB181_370
; %bb.367:                              ;   in Loop: Header=BB181_305 Depth=1
	v_dual_lshrrev_b32 v30, 3, v36 :: v_dual_bitop2_b32 v14, 7, v37 bitop3:0x40
	s_mov_b32 s27, exec_lo
	v_cmpx_gt_u32_e32 8, v36
; %bb.368:                              ;   in Loop: Header=BB181_305 Depth=1
	s_delay_alu instid0(VALU_DEP_2) | instskip(NEXT) | instid1(VALU_DEP_1)
	v_clz_i32_u32_e32 v30, v14
	v_min_u32_e32 v30, 32, v30
	s_delay_alu instid0(VALU_DEP_1) | instskip(SKIP_1) | instid1(VALU_DEP_2)
	v_subrev_nc_u32_e32 v31, 28, v30
	v_sub_nc_u32_e32 v30, 29, v30
	v_lshlrev_b64_e32 v[38:39], v31, v[14:15]
	s_delay_alu instid0(VALU_DEP_1)
	v_and_b32_e32 v14, 7, v38
; %bb.369:                              ;   in Loop: Header=BB181_305 Depth=1
	s_or_b32 exec_lo, exec_lo, s27
	s_delay_alu instid0(VALU_DEP_1) | instskip(SKIP_1) | instid1(VALU_DEP_2)
	v_dual_lshlrev_b32 v31, 24, v37 :: v_dual_lshlrev_b32 v14, 20, v14
	v_lshl_add_u32 v30, v30, 23, 0x3c000000
	v_and_b32_e32 v31, 0x80000000, v31
	s_delay_alu instid0(VALU_DEP_1)
	v_or3_b32 v31, v14, v31, v30
	v_mov_b32_e32 v30, v15
.LBB181_370:                            ;   in Loop: Header=BB181_305 Depth=1
	s_or_b32 exec_lo, exec_lo, s26
.LBB181_371:                            ;   in Loop: Header=BB181_305 Depth=1
	s_delay_alu instid0(SALU_CYCLE_1)
	s_or_b32 exec_lo, exec_lo, s25
.LBB181_372:                            ;   in Loop: Header=BB181_305 Depth=1
	s_delay_alu instid0(SALU_CYCLE_1)
	s_or_b32 exec_lo, exec_lo, s9
	s_mov_b32 s9, s8
	v_or_b32_e32 v27, v27, v29
	v_mov_b64_e32 v[36:37], s[8:9]
	v_or_b32_e32 v26, v26, v28
	v_or_b32_e32 v31, v31, v33
	v_or_b32_e32 v30, v30, v32
	s_delay_alu instid0(VALU_DEP_3) | instskip(NEXT) | instid1(VALU_DEP_2)
	v_pk_mul_f32 v[28:29], v[36:37], v[26:27]
	v_pk_mul_f32 v[26:27], v[36:37], v[30:31]
	s_and_saveexec_b32 s25, vcc_lo
	s_cbranch_execz .LBB181_374
; %bb.373:                              ;   in Loop: Header=BB181_305 Depth=1
	v_cmp_gt_i32_e64 s0, s34, v35
	s_delay_alu instid0(VALU_DEP_1) | instskip(SKIP_1) | instid1(VALU_DEP_1)
	v_cndmask_b32_e64 v28, 0, v28, s0
	v_cmp_gt_i32_e64 s0, s34, v65
	v_cndmask_b32_e64 v29, 0, v29, s0
	v_cmp_gt_i32_e64 s0, s34, v57
	s_delay_alu instid0(VALU_DEP_1) | instskip(SKIP_1) | instid1(VALU_DEP_1)
	v_cndmask_b32_e64 v26, 0, v26, s0
	v_cmp_gt_i32_e64 s0, s34, v56
	v_cndmask_b32_e64 v27, 0, v27, s0
.LBB181_374:                            ;   in Loop: Header=BB181_305 Depth=1
	s_or_b32 exec_lo, exec_lo, s25
	global_load_b32 v40, v[24:25], off offset:256
	v_mov_b64_e32 v[30:31], 0
	v_mov_b64_e32 v[32:33], 0
	s_mov_b32 s25, exec_lo
	s_wait_loadcnt 0x0
	v_and_b32_e32 v14, 0xff, v40
	s_delay_alu instid0(VALU_DEP_1)
	v_cmpx_ne_u16_e32 0, v14
	s_cbranch_execz .LBB181_382
; %bb.375:                              ;   in Loop: Header=BB181_305 Depth=1
	v_mov_b64_e32 v[32:33], 0x80000000
	s_mov_b32 s26, exec_lo
	v_cmpx_ne_u16_e32 0x80, v14
	s_cbranch_execz .LBB181_381
; %bb.376:                              ;   in Loop: Header=BB181_305 Depth=1
	v_mov_b64_e32 v[32:33], 0x7f800001
	v_and_b32_e32 v36, 0x7f, v40
	s_mov_b32 s27, exec_lo
	s_delay_alu instid0(VALU_DEP_1)
	v_cmpx_ne_u32_e32 0x7f, v36
	s_cbranch_execz .LBB181_380
; %bb.377:                              ;   in Loop: Header=BB181_305 Depth=1
	v_and_b32_e32 v14, 7, v40
	v_lshrrev_b32_e32 v32, 3, v36
	s_mov_b32 s28, exec_lo
	v_cmpx_gt_u32_e32 8, v36
; %bb.378:                              ;   in Loop: Header=BB181_305 Depth=1
	s_delay_alu instid0(VALU_DEP_3) | instskip(NEXT) | instid1(VALU_DEP_1)
	v_clz_i32_u32_e32 v32, v14
	v_min_u32_e32 v32, 32, v32
	s_delay_alu instid0(VALU_DEP_1) | instskip(SKIP_1) | instid1(VALU_DEP_2)
	v_subrev_nc_u32_e32 v33, 28, v32
	v_sub_nc_u32_e32 v32, 29, v32
	v_lshlrev_b64_e32 v[36:37], v33, v[14:15]
	s_delay_alu instid0(VALU_DEP_1)
	v_and_b32_e32 v14, 7, v36
; %bb.379:                              ;   in Loop: Header=BB181_305 Depth=1
	s_or_b32 exec_lo, exec_lo, s28
	s_delay_alu instid0(VALU_DEP_1) | instskip(SKIP_1) | instid1(VALU_DEP_2)
	v_dual_lshlrev_b32 v33, 24, v40 :: v_dual_lshlrev_b32 v14, 20, v14
	v_lshl_add_u32 v32, v32, 23, 0x3c000000
	v_and_b32_e32 v33, 0x80000000, v33
	s_delay_alu instid0(VALU_DEP_1) | instskip(NEXT) | instid1(VALU_DEP_1)
	v_or3_b32 v14, v14, v33, v32
	v_mov_b64_e32 v[32:33], v[14:15]
.LBB181_380:                            ;   in Loop: Header=BB181_305 Depth=1
	s_or_b32 exec_lo, exec_lo, s27
.LBB181_381:                            ;   in Loop: Header=BB181_305 Depth=1
	s_delay_alu instid0(SALU_CYCLE_1)
	s_or_b32 exec_lo, exec_lo, s26
.LBB181_382:                            ;   in Loop: Header=BB181_305 Depth=1
	s_delay_alu instid0(SALU_CYCLE_1) | instskip(SKIP_2) | instid1(VALU_DEP_1)
	s_or_b32 exec_lo, exec_lo, s25
	v_lshrrev_b16 v14, 8, v40
	s_mov_b32 s25, exec_lo
	v_cmpx_ne_u16_e32 0, v14
	s_cbranch_execz .LBB181_390
; %bb.383:                              ;   in Loop: Header=BB181_305 Depth=1
	v_mov_b64_e32 v[30:31], 0x8000000000000000
	s_mov_b32 s26, exec_lo
	v_cmpx_ne_u16_e32 0x80, v14
	s_cbranch_execz .LBB181_389
; %bb.384:                              ;   in Loop: Header=BB181_305 Depth=1
	v_and_b32_e32 v14, 0xffff, v14
	v_mov_b64_e32 v[30:31], 0x7f80000100000000
	s_mov_b32 s27, exec_lo
	s_delay_alu instid0(VALU_DEP_2) | instskip(NEXT) | instid1(VALU_DEP_1)
	v_and_b32_e32 v36, 0x7f, v14
	v_cmpx_ne_u32_e32 0x7f, v36
	s_cbranch_execz .LBB181_388
; %bb.385:                              ;   in Loop: Header=BB181_305 Depth=1
	v_dual_lshrrev_b32 v30, 3, v36 :: v_dual_bitop2_b32 v14, 7, v14 bitop3:0x40
	s_mov_b32 s28, exec_lo
	v_cmpx_gt_u32_e32 8, v36
; %bb.386:                              ;   in Loop: Header=BB181_305 Depth=1
	s_delay_alu instid0(VALU_DEP_2) | instskip(NEXT) | instid1(VALU_DEP_1)
	v_clz_i32_u32_e32 v30, v14
	v_min_u32_e32 v30, 32, v30
	s_delay_alu instid0(VALU_DEP_1) | instskip(NEXT) | instid1(VALU_DEP_1)
	v_subrev_nc_u32_e32 v31, 28, v30
	v_lshlrev_b64_e32 v[36:37], v31, v[14:15]
	s_delay_alu instid0(VALU_DEP_1)
	v_dual_sub_nc_u32 v30, 29, v30 :: v_dual_bitop2_b32 v14, 7, v36 bitop3:0x40
; %bb.387:                              ;   in Loop: Header=BB181_305 Depth=1
	s_or_b32 exec_lo, exec_lo, s28
	s_delay_alu instid0(VALU_DEP_1) | instskip(NEXT) | instid1(VALU_DEP_2)
	v_dual_lshlrev_b32 v31, 16, v40 :: v_dual_lshlrev_b32 v14, 20, v14
	v_lshl_add_u32 v30, v30, 23, 0x3c000000
	s_delay_alu instid0(VALU_DEP_2) | instskip(NEXT) | instid1(VALU_DEP_1)
	v_and_b32_e32 v31, 0x80000000, v31
	v_or3_b32 v31, v14, v31, v30
	v_mov_b32_e32 v30, v15
.LBB181_388:                            ;   in Loop: Header=BB181_305 Depth=1
	s_or_b32 exec_lo, exec_lo, s27
.LBB181_389:                            ;   in Loop: Header=BB181_305 Depth=1
	s_delay_alu instid0(SALU_CYCLE_1)
	s_or_b32 exec_lo, exec_lo, s26
.LBB181_390:                            ;   in Loop: Header=BB181_305 Depth=1
	s_delay_alu instid0(SALU_CYCLE_1) | instskip(SKIP_4) | instid1(VALU_DEP_3)
	s_or_b32 exec_lo, exec_lo, s25
	v_lshrrev_b32_e32 v41, 16, v40
	v_mov_b64_e32 v[36:37], 0
	v_mov_b64_e32 v[38:39], 0
	s_mov_b32 s25, exec_lo
	v_and_b32_e32 v14, 0xff, v41
	s_delay_alu instid0(VALU_DEP_1)
	v_cmpx_ne_u16_e32 0, v14
	s_cbranch_execz .LBB181_398
; %bb.391:                              ;   in Loop: Header=BB181_305 Depth=1
	v_mov_b64_e32 v[38:39], 0x80000000
	s_mov_b32 s26, exec_lo
	v_cmpx_ne_u16_e32 0x80, v14
	s_cbranch_execz .LBB181_397
; %bb.392:                              ;   in Loop: Header=BB181_305 Depth=1
	v_mov_b64_e32 v[38:39], 0x7f800001
	v_bfe_u32 v42, v40, 16, 7
	s_mov_b32 s27, exec_lo
	s_delay_alu instid0(VALU_DEP_1)
	v_cmpx_ne_u32_e32 0x7f, v42
	s_cbranch_execz .LBB181_396
; %bb.393:                              ;   in Loop: Header=BB181_305 Depth=1
	v_dual_lshrrev_b32 v38, 3, v42 :: v_dual_bitop2_b32 v14, 7, v41 bitop3:0x40
	s_mov_b32 s28, exec_lo
	v_cmpx_gt_u32_e32 8, v42
; %bb.394:                              ;   in Loop: Header=BB181_305 Depth=1
	s_delay_alu instid0(VALU_DEP_2) | instskip(NEXT) | instid1(VALU_DEP_1)
	v_clz_i32_u32_e32 v38, v14
	v_min_u32_e32 v38, 32, v38
	s_delay_alu instid0(VALU_DEP_1) | instskip(SKIP_1) | instid1(VALU_DEP_2)
	v_subrev_nc_u32_e32 v39, 28, v38
	v_sub_nc_u32_e32 v38, 29, v38
	v_lshlrev_b64_e32 v[42:43], v39, v[14:15]
	s_delay_alu instid0(VALU_DEP_1)
	v_and_b32_e32 v14, 7, v42
; %bb.395:                              ;   in Loop: Header=BB181_305 Depth=1
	s_or_b32 exec_lo, exec_lo, s28
	s_delay_alu instid0(VALU_DEP_1) | instskip(SKIP_1) | instid1(VALU_DEP_2)
	v_dual_lshlrev_b32 v39, 24, v41 :: v_dual_lshlrev_b32 v14, 20, v14
	v_lshl_add_u32 v38, v38, 23, 0x3c000000
	v_and_b32_e32 v39, 0x80000000, v39
	s_delay_alu instid0(VALU_DEP_1) | instskip(NEXT) | instid1(VALU_DEP_1)
	v_or3_b32 v14, v14, v39, v38
	v_mov_b64_e32 v[38:39], v[14:15]
.LBB181_396:                            ;   in Loop: Header=BB181_305 Depth=1
	s_or_b32 exec_lo, exec_lo, s27
.LBB181_397:                            ;   in Loop: Header=BB181_305 Depth=1
	s_delay_alu instid0(SALU_CYCLE_1)
	s_or_b32 exec_lo, exec_lo, s26
.LBB181_398:                            ;   in Loop: Header=BB181_305 Depth=1
	s_delay_alu instid0(SALU_CYCLE_1) | instskip(NEXT) | instid1(SALU_CYCLE_1)
	s_or_b32 exec_lo, exec_lo, s25
	s_mov_b32 s25, exec_lo
	v_cmpx_lt_u32_e32 0xffffff, v40
	s_cbranch_execz .LBB181_406
; %bb.399:                              ;   in Loop: Header=BB181_305 Depth=1
	v_mov_b64_e32 v[36:37], 0x8000000000000000
	v_lshrrev_b32_e32 v41, 24, v40
	s_mov_b32 s26, exec_lo
	s_delay_alu instid0(VALU_DEP_1)
	v_cmpx_ne_u32_e32 0x80, v41
	s_cbranch_execz .LBB181_405
; %bb.400:                              ;   in Loop: Header=BB181_305 Depth=1
	v_mov_b64_e32 v[36:37], 0x7f80000100000000
	v_bfe_u32 v40, v40, 24, 7
	s_mov_b32 s27, exec_lo
	s_delay_alu instid0(VALU_DEP_1)
	v_cmpx_ne_u32_e32 0x7f, v40
	s_cbranch_execz .LBB181_404
; %bb.401:                              ;   in Loop: Header=BB181_305 Depth=1
	v_dual_lshrrev_b32 v36, 3, v40 :: v_dual_bitop2_b32 v14, 7, v41 bitop3:0x40
	s_mov_b32 s28, exec_lo
	v_cmpx_gt_u32_e32 8, v40
; %bb.402:                              ;   in Loop: Header=BB181_305 Depth=1
	s_delay_alu instid0(VALU_DEP_2) | instskip(NEXT) | instid1(VALU_DEP_1)
	v_clz_i32_u32_e32 v36, v14
	v_min_u32_e32 v36, 32, v36
	s_delay_alu instid0(VALU_DEP_1) | instskip(NEXT) | instid1(VALU_DEP_1)
	v_subrev_nc_u32_e32 v37, 28, v36
	v_lshlrev_b64_e32 v[42:43], v37, v[14:15]
	s_delay_alu instid0(VALU_DEP_1)
	v_dual_sub_nc_u32 v36, 29, v36 :: v_dual_bitop2_b32 v14, 7, v42 bitop3:0x40
; %bb.403:                              ;   in Loop: Header=BB181_305 Depth=1
	s_or_b32 exec_lo, exec_lo, s28
	s_delay_alu instid0(VALU_DEP_1) | instskip(NEXT) | instid1(VALU_DEP_2)
	v_dual_lshlrev_b32 v37, 24, v41 :: v_dual_lshlrev_b32 v14, 20, v14
	v_lshl_add_u32 v36, v36, 23, 0x3c000000
	s_delay_alu instid0(VALU_DEP_2) | instskip(NEXT) | instid1(VALU_DEP_1)
	v_and_b32_e32 v37, 0x80000000, v37
	v_or3_b32 v37, v14, v37, v36
	v_mov_b32_e32 v36, v15
.LBB181_404:                            ;   in Loop: Header=BB181_305 Depth=1
	s_or_b32 exec_lo, exec_lo, s27
.LBB181_405:                            ;   in Loop: Header=BB181_305 Depth=1
	s_delay_alu instid0(SALU_CYCLE_1)
	s_or_b32 exec_lo, exec_lo, s26
.LBB181_406:                            ;   in Loop: Header=BB181_305 Depth=1
	s_delay_alu instid0(SALU_CYCLE_1)
	s_or_b32 exec_lo, exec_lo, s25
	v_mov_b64_e32 v[40:41], s[8:9]
	v_or_b32_e32 v31, v31, v33
	v_or_b32_e32 v30, v30, v32
	;; [unrolled: 1-line block ×4, first 2 shown]
	s_delay_alu instid0(VALU_DEP_3) | instskip(NEXT) | instid1(VALU_DEP_2)
	v_pk_mul_f32 v[32:33], v[40:41], v[30:31]
	v_pk_mul_f32 v[30:31], v[40:41], v[36:37]
	s_and_saveexec_b32 s25, vcc_lo
	s_cbranch_execz .LBB181_408
; %bb.407:                              ;   in Loop: Header=BB181_305 Depth=1
	v_cmp_gt_i32_e64 s0, s34, v35
	s_delay_alu instid0(VALU_DEP_1) | instskip(SKIP_1) | instid1(VALU_DEP_1)
	v_cndmask_b32_e64 v32, 0, v32, s0
	v_cmp_gt_i32_e64 s0, s34, v65
	v_cndmask_b32_e64 v33, 0, v33, s0
	v_cmp_gt_i32_e64 s0, s34, v57
	s_delay_alu instid0(VALU_DEP_1) | instskip(SKIP_1) | instid1(VALU_DEP_1)
	v_cndmask_b32_e64 v30, 0, v30, s0
	v_cmp_gt_i32_e64 s0, s34, v56
	v_cndmask_b32_e64 v31, 0, v31, s0
.LBB181_408:                            ;   in Loop: Header=BB181_305 Depth=1
	s_or_b32 exec_lo, exec_lo, s25
	global_load_b32 v44, v[24:25], off offset:384
	v_mov_b64_e32 v[36:37], 0
	v_mov_b64_e32 v[38:39], 0
	s_mov_b32 s25, exec_lo
	s_wait_loadcnt 0x0
	v_and_b32_e32 v14, 0xff, v44
	s_delay_alu instid0(VALU_DEP_1)
	v_cmpx_ne_u16_e32 0, v14
	s_cbranch_execz .LBB181_416
; %bb.409:                              ;   in Loop: Header=BB181_305 Depth=1
	v_mov_b64_e32 v[38:39], 0x80000000
	s_mov_b32 s26, exec_lo
	v_cmpx_ne_u16_e32 0x80, v14
	s_cbranch_execz .LBB181_415
; %bb.410:                              ;   in Loop: Header=BB181_305 Depth=1
	v_mov_b64_e32 v[38:39], 0x7f800001
	v_and_b32_e32 v40, 0x7f, v44
	s_mov_b32 s27, exec_lo
	s_delay_alu instid0(VALU_DEP_1)
	v_cmpx_ne_u32_e32 0x7f, v40
	s_cbranch_execz .LBB181_414
; %bb.411:                              ;   in Loop: Header=BB181_305 Depth=1
	v_and_b32_e32 v14, 7, v44
	v_lshrrev_b32_e32 v38, 3, v40
	s_mov_b32 s28, exec_lo
	v_cmpx_gt_u32_e32 8, v40
; %bb.412:                              ;   in Loop: Header=BB181_305 Depth=1
	s_delay_alu instid0(VALU_DEP_3) | instskip(NEXT) | instid1(VALU_DEP_1)
	v_clz_i32_u32_e32 v38, v14
	v_min_u32_e32 v38, 32, v38
	s_delay_alu instid0(VALU_DEP_1) | instskip(NEXT) | instid1(VALU_DEP_1)
	v_subrev_nc_u32_e32 v39, 28, v38
	v_lshlrev_b64_e32 v[40:41], v39, v[14:15]
	s_delay_alu instid0(VALU_DEP_1)
	v_dual_sub_nc_u32 v38, 29, v38 :: v_dual_bitop2_b32 v14, 7, v40 bitop3:0x40
; %bb.413:                              ;   in Loop: Header=BB181_305 Depth=1
	s_or_b32 exec_lo, exec_lo, s28
	s_delay_alu instid0(VALU_DEP_1) | instskip(NEXT) | instid1(VALU_DEP_2)
	v_dual_lshlrev_b32 v39, 24, v44 :: v_dual_lshlrev_b32 v14, 20, v14
	v_lshl_add_u32 v38, v38, 23, 0x3c000000
	s_delay_alu instid0(VALU_DEP_2) | instskip(NEXT) | instid1(VALU_DEP_1)
	v_and_b32_e32 v39, 0x80000000, v39
	v_or3_b32 v14, v14, v39, v38
	s_delay_alu instid0(VALU_DEP_1)
	v_mov_b64_e32 v[38:39], v[14:15]
.LBB181_414:                            ;   in Loop: Header=BB181_305 Depth=1
	s_or_b32 exec_lo, exec_lo, s27
.LBB181_415:                            ;   in Loop: Header=BB181_305 Depth=1
	s_delay_alu instid0(SALU_CYCLE_1)
	s_or_b32 exec_lo, exec_lo, s26
.LBB181_416:                            ;   in Loop: Header=BB181_305 Depth=1
	s_delay_alu instid0(SALU_CYCLE_1) | instskip(SKIP_2) | instid1(VALU_DEP_1)
	s_or_b32 exec_lo, exec_lo, s25
	v_lshrrev_b16 v14, 8, v44
	s_mov_b32 s25, exec_lo
	v_cmpx_ne_u16_e32 0, v14
	s_cbranch_execz .LBB181_424
; %bb.417:                              ;   in Loop: Header=BB181_305 Depth=1
	v_mov_b64_e32 v[36:37], 0x8000000000000000
	s_mov_b32 s26, exec_lo
	v_cmpx_ne_u16_e32 0x80, v14
	s_cbranch_execz .LBB181_423
; %bb.418:                              ;   in Loop: Header=BB181_305 Depth=1
	v_and_b32_e32 v14, 0xffff, v14
	v_mov_b64_e32 v[36:37], 0x7f80000100000000
	s_mov_b32 s27, exec_lo
	s_delay_alu instid0(VALU_DEP_2) | instskip(NEXT) | instid1(VALU_DEP_1)
	v_and_b32_e32 v40, 0x7f, v14
	v_cmpx_ne_u32_e32 0x7f, v40
	s_cbranch_execz .LBB181_422
; %bb.419:                              ;   in Loop: Header=BB181_305 Depth=1
	v_dual_lshrrev_b32 v36, 3, v40 :: v_dual_bitop2_b32 v14, 7, v14 bitop3:0x40
	s_mov_b32 s28, exec_lo
	v_cmpx_gt_u32_e32 8, v40
; %bb.420:                              ;   in Loop: Header=BB181_305 Depth=1
	s_delay_alu instid0(VALU_DEP_2) | instskip(NEXT) | instid1(VALU_DEP_1)
	v_clz_i32_u32_e32 v36, v14
	v_min_u32_e32 v36, 32, v36
	s_delay_alu instid0(VALU_DEP_1) | instskip(SKIP_1) | instid1(VALU_DEP_2)
	v_subrev_nc_u32_e32 v37, 28, v36
	v_sub_nc_u32_e32 v36, 29, v36
	v_lshlrev_b64_e32 v[40:41], v37, v[14:15]
	s_delay_alu instid0(VALU_DEP_1)
	v_and_b32_e32 v14, 7, v40
; %bb.421:                              ;   in Loop: Header=BB181_305 Depth=1
	s_or_b32 exec_lo, exec_lo, s28
	s_delay_alu instid0(VALU_DEP_1) | instskip(SKIP_1) | instid1(VALU_DEP_2)
	v_dual_lshlrev_b32 v37, 16, v44 :: v_dual_lshlrev_b32 v14, 20, v14
	v_lshl_add_u32 v36, v36, 23, 0x3c000000
	v_and_b32_e32 v37, 0x80000000, v37
	s_delay_alu instid0(VALU_DEP_1)
	v_or3_b32 v37, v14, v37, v36
	v_mov_b32_e32 v36, v15
.LBB181_422:                            ;   in Loop: Header=BB181_305 Depth=1
	s_or_b32 exec_lo, exec_lo, s27
.LBB181_423:                            ;   in Loop: Header=BB181_305 Depth=1
	s_delay_alu instid0(SALU_CYCLE_1)
	s_or_b32 exec_lo, exec_lo, s26
.LBB181_424:                            ;   in Loop: Header=BB181_305 Depth=1
	s_delay_alu instid0(SALU_CYCLE_1) | instskip(SKIP_4) | instid1(VALU_DEP_3)
	s_or_b32 exec_lo, exec_lo, s25
	v_lshrrev_b32_e32 v45, 16, v44
	v_mov_b64_e32 v[40:41], 0
	v_mov_b64_e32 v[42:43], 0
	s_mov_b32 s25, exec_lo
	v_and_b32_e32 v14, 0xff, v45
	s_delay_alu instid0(VALU_DEP_1)
	v_cmpx_ne_u16_e32 0, v14
	s_cbranch_execz .LBB181_432
; %bb.425:                              ;   in Loop: Header=BB181_305 Depth=1
	v_mov_b64_e32 v[42:43], 0x80000000
	s_mov_b32 s26, exec_lo
	v_cmpx_ne_u16_e32 0x80, v14
	s_cbranch_execz .LBB181_431
; %bb.426:                              ;   in Loop: Header=BB181_305 Depth=1
	v_mov_b64_e32 v[42:43], 0x7f800001
	v_bfe_u32 v46, v44, 16, 7
	s_mov_b32 s27, exec_lo
	s_delay_alu instid0(VALU_DEP_1)
	v_cmpx_ne_u32_e32 0x7f, v46
	s_cbranch_execz .LBB181_430
; %bb.427:                              ;   in Loop: Header=BB181_305 Depth=1
	v_dual_lshrrev_b32 v42, 3, v46 :: v_dual_bitop2_b32 v14, 7, v45 bitop3:0x40
	s_mov_b32 s28, exec_lo
	v_cmpx_gt_u32_e32 8, v46
; %bb.428:                              ;   in Loop: Header=BB181_305 Depth=1
	s_delay_alu instid0(VALU_DEP_2) | instskip(NEXT) | instid1(VALU_DEP_1)
	v_clz_i32_u32_e32 v42, v14
	v_min_u32_e32 v42, 32, v42
	s_delay_alu instid0(VALU_DEP_1) | instskip(SKIP_1) | instid1(VALU_DEP_2)
	v_subrev_nc_u32_e32 v43, 28, v42
	v_sub_nc_u32_e32 v42, 29, v42
	v_lshlrev_b64_e32 v[46:47], v43, v[14:15]
	s_delay_alu instid0(VALU_DEP_1)
	v_and_b32_e32 v14, 7, v46
; %bb.429:                              ;   in Loop: Header=BB181_305 Depth=1
	s_or_b32 exec_lo, exec_lo, s28
	s_delay_alu instid0(VALU_DEP_1) | instskip(SKIP_1) | instid1(VALU_DEP_2)
	v_dual_lshlrev_b32 v43, 24, v45 :: v_dual_lshlrev_b32 v14, 20, v14
	v_lshl_add_u32 v42, v42, 23, 0x3c000000
	v_and_b32_e32 v43, 0x80000000, v43
	s_delay_alu instid0(VALU_DEP_1) | instskip(NEXT) | instid1(VALU_DEP_1)
	v_or3_b32 v14, v14, v43, v42
	v_mov_b64_e32 v[42:43], v[14:15]
.LBB181_430:                            ;   in Loop: Header=BB181_305 Depth=1
	s_or_b32 exec_lo, exec_lo, s27
.LBB181_431:                            ;   in Loop: Header=BB181_305 Depth=1
	s_delay_alu instid0(SALU_CYCLE_1)
	s_or_b32 exec_lo, exec_lo, s26
.LBB181_432:                            ;   in Loop: Header=BB181_305 Depth=1
	s_delay_alu instid0(SALU_CYCLE_1) | instskip(NEXT) | instid1(SALU_CYCLE_1)
	s_or_b32 exec_lo, exec_lo, s25
	s_mov_b32 s25, exec_lo
	v_cmpx_lt_u32_e32 0xffffff, v44
	s_cbranch_execz .LBB181_440
; %bb.433:                              ;   in Loop: Header=BB181_305 Depth=1
	v_mov_b64_e32 v[40:41], 0x8000000000000000
	v_lshrrev_b32_e32 v45, 24, v44
	s_mov_b32 s26, exec_lo
	s_delay_alu instid0(VALU_DEP_1)
	v_cmpx_ne_u32_e32 0x80, v45
	s_cbranch_execz .LBB181_439
; %bb.434:                              ;   in Loop: Header=BB181_305 Depth=1
	v_mov_b64_e32 v[40:41], 0x7f80000100000000
	v_bfe_u32 v44, v44, 24, 7
	s_mov_b32 s27, exec_lo
	s_delay_alu instid0(VALU_DEP_1)
	v_cmpx_ne_u32_e32 0x7f, v44
	s_cbranch_execz .LBB181_438
; %bb.435:                              ;   in Loop: Header=BB181_305 Depth=1
	v_dual_lshrrev_b32 v40, 3, v44 :: v_dual_bitop2_b32 v14, 7, v45 bitop3:0x40
	s_mov_b32 s28, exec_lo
	v_cmpx_gt_u32_e32 8, v44
; %bb.436:                              ;   in Loop: Header=BB181_305 Depth=1
	s_delay_alu instid0(VALU_DEP_2) | instskip(NEXT) | instid1(VALU_DEP_1)
	v_clz_i32_u32_e32 v40, v14
	v_min_u32_e32 v40, 32, v40
	s_delay_alu instid0(VALU_DEP_1) | instskip(NEXT) | instid1(VALU_DEP_1)
	v_subrev_nc_u32_e32 v41, 28, v40
	v_lshlrev_b64_e32 v[46:47], v41, v[14:15]
	s_delay_alu instid0(VALU_DEP_1)
	v_dual_sub_nc_u32 v40, 29, v40 :: v_dual_bitop2_b32 v14, 7, v46 bitop3:0x40
; %bb.437:                              ;   in Loop: Header=BB181_305 Depth=1
	s_or_b32 exec_lo, exec_lo, s28
	s_delay_alu instid0(VALU_DEP_1) | instskip(NEXT) | instid1(VALU_DEP_2)
	v_dual_lshlrev_b32 v41, 24, v45 :: v_dual_lshlrev_b32 v14, 20, v14
	v_lshl_add_u32 v40, v40, 23, 0x3c000000
	s_delay_alu instid0(VALU_DEP_2) | instskip(NEXT) | instid1(VALU_DEP_1)
	v_and_b32_e32 v41, 0x80000000, v41
	v_or3_b32 v41, v14, v41, v40
	v_mov_b32_e32 v40, v15
.LBB181_438:                            ;   in Loop: Header=BB181_305 Depth=1
	s_or_b32 exec_lo, exec_lo, s27
.LBB181_439:                            ;   in Loop: Header=BB181_305 Depth=1
	s_delay_alu instid0(SALU_CYCLE_1)
	s_or_b32 exec_lo, exec_lo, s26
.LBB181_440:                            ;   in Loop: Header=BB181_305 Depth=1
	s_delay_alu instid0(SALU_CYCLE_1)
	s_or_b32 exec_lo, exec_lo, s25
	v_mov_b64_e32 v[44:45], s[8:9]
	v_or_b32_e32 v37, v37, v39
	v_or_b32_e32 v36, v36, v38
	;; [unrolled: 1-line block ×4, first 2 shown]
	s_delay_alu instid0(VALU_DEP_3) | instskip(NEXT) | instid1(VALU_DEP_2)
	v_pk_mul_f32 v[38:39], v[44:45], v[36:37]
	v_pk_mul_f32 v[36:37], v[44:45], v[40:41]
	s_and_saveexec_b32 s25, vcc_lo
	s_cbranch_execz .LBB181_442
; %bb.441:                              ;   in Loop: Header=BB181_305 Depth=1
	v_cmp_gt_i32_e64 s0, s34, v35
	s_delay_alu instid0(VALU_DEP_1) | instskip(SKIP_1) | instid1(VALU_DEP_1)
	v_cndmask_b32_e64 v38, 0, v38, s0
	v_cmp_gt_i32_e64 s0, s34, v65
	v_cndmask_b32_e64 v39, 0, v39, s0
	v_cmp_gt_i32_e64 s0, s34, v57
	s_delay_alu instid0(VALU_DEP_1) | instskip(SKIP_1) | instid1(VALU_DEP_1)
	v_cndmask_b32_e64 v36, 0, v36, s0
	v_cmp_gt_i32_e64 s0, s34, v56
	v_cndmask_b32_e64 v37, 0, v37, s0
.LBB181_442:                            ;   in Loop: Header=BB181_305 Depth=1
	s_or_b32 exec_lo, exec_lo, s25
	global_load_b32 v48, v[24:25], off offset:512
	v_mov_b64_e32 v[40:41], 0
	v_mov_b64_e32 v[42:43], 0
	s_mov_b32 s25, exec_lo
	s_wait_loadcnt 0x0
	v_and_b32_e32 v14, 0xff, v48
	s_delay_alu instid0(VALU_DEP_1)
	v_cmpx_ne_u16_e32 0, v14
	s_cbranch_execz .LBB181_450
; %bb.443:                              ;   in Loop: Header=BB181_305 Depth=1
	v_mov_b64_e32 v[42:43], 0x80000000
	s_mov_b32 s26, exec_lo
	v_cmpx_ne_u16_e32 0x80, v14
	s_cbranch_execz .LBB181_449
; %bb.444:                              ;   in Loop: Header=BB181_305 Depth=1
	v_mov_b64_e32 v[42:43], 0x7f800001
	v_and_b32_e32 v44, 0x7f, v48
	s_mov_b32 s27, exec_lo
	s_delay_alu instid0(VALU_DEP_1)
	v_cmpx_ne_u32_e32 0x7f, v44
	s_cbranch_execz .LBB181_448
; %bb.445:                              ;   in Loop: Header=BB181_305 Depth=1
	v_and_b32_e32 v14, 7, v48
	v_lshrrev_b32_e32 v42, 3, v44
	s_mov_b32 s28, exec_lo
	v_cmpx_gt_u32_e32 8, v44
; %bb.446:                              ;   in Loop: Header=BB181_305 Depth=1
	s_delay_alu instid0(VALU_DEP_3) | instskip(NEXT) | instid1(VALU_DEP_1)
	v_clz_i32_u32_e32 v42, v14
	v_min_u32_e32 v42, 32, v42
	s_delay_alu instid0(VALU_DEP_1) | instskip(NEXT) | instid1(VALU_DEP_1)
	v_subrev_nc_u32_e32 v43, 28, v42
	v_lshlrev_b64_e32 v[44:45], v43, v[14:15]
	s_delay_alu instid0(VALU_DEP_1)
	v_dual_sub_nc_u32 v42, 29, v42 :: v_dual_bitop2_b32 v14, 7, v44 bitop3:0x40
; %bb.447:                              ;   in Loop: Header=BB181_305 Depth=1
	s_or_b32 exec_lo, exec_lo, s28
	s_delay_alu instid0(VALU_DEP_1) | instskip(NEXT) | instid1(VALU_DEP_2)
	v_dual_lshlrev_b32 v43, 24, v48 :: v_dual_lshlrev_b32 v14, 20, v14
	v_lshl_add_u32 v42, v42, 23, 0x3c000000
	s_delay_alu instid0(VALU_DEP_2) | instskip(NEXT) | instid1(VALU_DEP_1)
	v_and_b32_e32 v43, 0x80000000, v43
	v_or3_b32 v14, v14, v43, v42
	s_delay_alu instid0(VALU_DEP_1)
	v_mov_b64_e32 v[42:43], v[14:15]
.LBB181_448:                            ;   in Loop: Header=BB181_305 Depth=1
	s_or_b32 exec_lo, exec_lo, s27
.LBB181_449:                            ;   in Loop: Header=BB181_305 Depth=1
	s_delay_alu instid0(SALU_CYCLE_1)
	s_or_b32 exec_lo, exec_lo, s26
.LBB181_450:                            ;   in Loop: Header=BB181_305 Depth=1
	s_delay_alu instid0(SALU_CYCLE_1) | instskip(SKIP_2) | instid1(VALU_DEP_1)
	s_or_b32 exec_lo, exec_lo, s25
	v_lshrrev_b16 v14, 8, v48
	s_mov_b32 s25, exec_lo
	v_cmpx_ne_u16_e32 0, v14
	s_cbranch_execz .LBB181_458
; %bb.451:                              ;   in Loop: Header=BB181_305 Depth=1
	v_mov_b64_e32 v[40:41], 0x8000000000000000
	s_mov_b32 s26, exec_lo
	v_cmpx_ne_u16_e32 0x80, v14
	s_cbranch_execz .LBB181_457
; %bb.452:                              ;   in Loop: Header=BB181_305 Depth=1
	v_and_b32_e32 v14, 0xffff, v14
	v_mov_b64_e32 v[40:41], 0x7f80000100000000
	s_mov_b32 s27, exec_lo
	s_delay_alu instid0(VALU_DEP_2) | instskip(NEXT) | instid1(VALU_DEP_1)
	v_and_b32_e32 v44, 0x7f, v14
	v_cmpx_ne_u32_e32 0x7f, v44
	s_cbranch_execz .LBB181_456
; %bb.453:                              ;   in Loop: Header=BB181_305 Depth=1
	v_dual_lshrrev_b32 v40, 3, v44 :: v_dual_bitop2_b32 v14, 7, v14 bitop3:0x40
	s_mov_b32 s28, exec_lo
	v_cmpx_gt_u32_e32 8, v44
; %bb.454:                              ;   in Loop: Header=BB181_305 Depth=1
	s_delay_alu instid0(VALU_DEP_2) | instskip(NEXT) | instid1(VALU_DEP_1)
	v_clz_i32_u32_e32 v40, v14
	v_min_u32_e32 v40, 32, v40
	s_delay_alu instid0(VALU_DEP_1) | instskip(SKIP_1) | instid1(VALU_DEP_2)
	v_subrev_nc_u32_e32 v41, 28, v40
	v_sub_nc_u32_e32 v40, 29, v40
	v_lshlrev_b64_e32 v[44:45], v41, v[14:15]
	s_delay_alu instid0(VALU_DEP_1)
	v_and_b32_e32 v14, 7, v44
; %bb.455:                              ;   in Loop: Header=BB181_305 Depth=1
	s_or_b32 exec_lo, exec_lo, s28
	s_delay_alu instid0(VALU_DEP_1) | instskip(SKIP_1) | instid1(VALU_DEP_2)
	v_dual_lshlrev_b32 v41, 16, v48 :: v_dual_lshlrev_b32 v14, 20, v14
	v_lshl_add_u32 v40, v40, 23, 0x3c000000
	v_and_b32_e32 v41, 0x80000000, v41
	s_delay_alu instid0(VALU_DEP_1)
	v_or3_b32 v41, v14, v41, v40
	v_mov_b32_e32 v40, v15
.LBB181_456:                            ;   in Loop: Header=BB181_305 Depth=1
	s_or_b32 exec_lo, exec_lo, s27
.LBB181_457:                            ;   in Loop: Header=BB181_305 Depth=1
	s_delay_alu instid0(SALU_CYCLE_1)
	s_or_b32 exec_lo, exec_lo, s26
.LBB181_458:                            ;   in Loop: Header=BB181_305 Depth=1
	s_delay_alu instid0(SALU_CYCLE_1) | instskip(SKIP_4) | instid1(VALU_DEP_3)
	s_or_b32 exec_lo, exec_lo, s25
	v_lshrrev_b32_e32 v49, 16, v48
	v_mov_b64_e32 v[44:45], 0
	v_mov_b64_e32 v[46:47], 0
	s_mov_b32 s25, exec_lo
	v_and_b32_e32 v14, 0xff, v49
	s_delay_alu instid0(VALU_DEP_1)
	v_cmpx_ne_u16_e32 0, v14
	s_cbranch_execz .LBB181_466
; %bb.459:                              ;   in Loop: Header=BB181_305 Depth=1
	v_mov_b64_e32 v[46:47], 0x80000000
	s_mov_b32 s26, exec_lo
	v_cmpx_ne_u16_e32 0x80, v14
	s_cbranch_execz .LBB181_465
; %bb.460:                              ;   in Loop: Header=BB181_305 Depth=1
	v_mov_b64_e32 v[46:47], 0x7f800001
	v_bfe_u32 v50, v48, 16, 7
	s_mov_b32 s27, exec_lo
	s_delay_alu instid0(VALU_DEP_1)
	v_cmpx_ne_u32_e32 0x7f, v50
	s_cbranch_execz .LBB181_464
; %bb.461:                              ;   in Loop: Header=BB181_305 Depth=1
	v_dual_lshrrev_b32 v46, 3, v50 :: v_dual_bitop2_b32 v14, 7, v49 bitop3:0x40
	s_mov_b32 s28, exec_lo
	v_cmpx_gt_u32_e32 8, v50
; %bb.462:                              ;   in Loop: Header=BB181_305 Depth=1
	s_delay_alu instid0(VALU_DEP_2) | instskip(NEXT) | instid1(VALU_DEP_1)
	v_clz_i32_u32_e32 v46, v14
	v_min_u32_e32 v46, 32, v46
	s_delay_alu instid0(VALU_DEP_1) | instskip(SKIP_1) | instid1(VALU_DEP_2)
	v_subrev_nc_u32_e32 v47, 28, v46
	v_sub_nc_u32_e32 v46, 29, v46
	v_lshlrev_b64_e32 v[50:51], v47, v[14:15]
	s_delay_alu instid0(VALU_DEP_1)
	v_and_b32_e32 v14, 7, v50
; %bb.463:                              ;   in Loop: Header=BB181_305 Depth=1
	s_or_b32 exec_lo, exec_lo, s28
	s_delay_alu instid0(VALU_DEP_1) | instskip(SKIP_1) | instid1(VALU_DEP_2)
	v_dual_lshlrev_b32 v47, 24, v49 :: v_dual_lshlrev_b32 v14, 20, v14
	v_lshl_add_u32 v46, v46, 23, 0x3c000000
	v_and_b32_e32 v47, 0x80000000, v47
	s_delay_alu instid0(VALU_DEP_1) | instskip(NEXT) | instid1(VALU_DEP_1)
	v_or3_b32 v14, v14, v47, v46
	v_mov_b64_e32 v[46:47], v[14:15]
.LBB181_464:                            ;   in Loop: Header=BB181_305 Depth=1
	s_or_b32 exec_lo, exec_lo, s27
.LBB181_465:                            ;   in Loop: Header=BB181_305 Depth=1
	s_delay_alu instid0(SALU_CYCLE_1)
	s_or_b32 exec_lo, exec_lo, s26
.LBB181_466:                            ;   in Loop: Header=BB181_305 Depth=1
	s_delay_alu instid0(SALU_CYCLE_1) | instskip(NEXT) | instid1(SALU_CYCLE_1)
	s_or_b32 exec_lo, exec_lo, s25
	s_mov_b32 s25, exec_lo
	v_cmpx_lt_u32_e32 0xffffff, v48
	s_cbranch_execz .LBB181_474
; %bb.467:                              ;   in Loop: Header=BB181_305 Depth=1
	v_mov_b64_e32 v[44:45], 0x8000000000000000
	v_lshrrev_b32_e32 v49, 24, v48
	s_mov_b32 s26, exec_lo
	s_delay_alu instid0(VALU_DEP_1)
	v_cmpx_ne_u32_e32 0x80, v49
	s_cbranch_execz .LBB181_473
; %bb.468:                              ;   in Loop: Header=BB181_305 Depth=1
	v_mov_b64_e32 v[44:45], 0x7f80000100000000
	v_bfe_u32 v48, v48, 24, 7
	s_mov_b32 s27, exec_lo
	s_delay_alu instid0(VALU_DEP_1)
	v_cmpx_ne_u32_e32 0x7f, v48
	s_cbranch_execz .LBB181_472
; %bb.469:                              ;   in Loop: Header=BB181_305 Depth=1
	v_dual_lshrrev_b32 v44, 3, v48 :: v_dual_bitop2_b32 v14, 7, v49 bitop3:0x40
	s_mov_b32 s28, exec_lo
	v_cmpx_gt_u32_e32 8, v48
; %bb.470:                              ;   in Loop: Header=BB181_305 Depth=1
	s_delay_alu instid0(VALU_DEP_2) | instskip(NEXT) | instid1(VALU_DEP_1)
	v_clz_i32_u32_e32 v44, v14
	v_min_u32_e32 v44, 32, v44
	s_delay_alu instid0(VALU_DEP_1) | instskip(NEXT) | instid1(VALU_DEP_1)
	v_subrev_nc_u32_e32 v45, 28, v44
	v_lshlrev_b64_e32 v[50:51], v45, v[14:15]
	s_delay_alu instid0(VALU_DEP_1)
	v_dual_sub_nc_u32 v44, 29, v44 :: v_dual_bitop2_b32 v14, 7, v50 bitop3:0x40
; %bb.471:                              ;   in Loop: Header=BB181_305 Depth=1
	s_or_b32 exec_lo, exec_lo, s28
	s_delay_alu instid0(VALU_DEP_1) | instskip(NEXT) | instid1(VALU_DEP_2)
	v_dual_lshlrev_b32 v45, 24, v49 :: v_dual_lshlrev_b32 v14, 20, v14
	v_lshl_add_u32 v44, v44, 23, 0x3c000000
	s_delay_alu instid0(VALU_DEP_2) | instskip(NEXT) | instid1(VALU_DEP_1)
	v_and_b32_e32 v45, 0x80000000, v45
	v_or3_b32 v45, v14, v45, v44
	v_mov_b32_e32 v44, v15
.LBB181_472:                            ;   in Loop: Header=BB181_305 Depth=1
	s_or_b32 exec_lo, exec_lo, s27
.LBB181_473:                            ;   in Loop: Header=BB181_305 Depth=1
	s_delay_alu instid0(SALU_CYCLE_1)
	s_or_b32 exec_lo, exec_lo, s26
.LBB181_474:                            ;   in Loop: Header=BB181_305 Depth=1
	s_delay_alu instid0(SALU_CYCLE_1)
	s_or_b32 exec_lo, exec_lo, s25
	v_mov_b64_e32 v[48:49], s[8:9]
	v_or_b32_e32 v41, v41, v43
	v_or_b32_e32 v40, v40, v42
	;; [unrolled: 1-line block ×4, first 2 shown]
	s_delay_alu instid0(VALU_DEP_3) | instskip(NEXT) | instid1(VALU_DEP_2)
	v_pk_mul_f32 v[42:43], v[48:49], v[40:41]
	v_pk_mul_f32 v[40:41], v[48:49], v[44:45]
	s_and_saveexec_b32 s25, vcc_lo
	s_cbranch_execz .LBB181_476
; %bb.475:                              ;   in Loop: Header=BB181_305 Depth=1
	v_cmp_gt_i32_e64 s0, s34, v35
	s_delay_alu instid0(VALU_DEP_1) | instskip(SKIP_1) | instid1(VALU_DEP_1)
	v_cndmask_b32_e64 v42, 0, v42, s0
	v_cmp_gt_i32_e64 s0, s34, v65
	v_cndmask_b32_e64 v43, 0, v43, s0
	v_cmp_gt_i32_e64 s0, s34, v57
	s_delay_alu instid0(VALU_DEP_1) | instskip(SKIP_1) | instid1(VALU_DEP_1)
	v_cndmask_b32_e64 v40, 0, v40, s0
	v_cmp_gt_i32_e64 s0, s34, v56
	v_cndmask_b32_e64 v41, 0, v41, s0
.LBB181_476:                            ;   in Loop: Header=BB181_305 Depth=1
	s_or_b32 exec_lo, exec_lo, s25
	global_load_b32 v52, v[24:25], off offset:640
	v_mov_b64_e32 v[44:45], 0
	v_mov_b64_e32 v[46:47], 0
	s_mov_b32 s25, exec_lo
	s_wait_loadcnt 0x0
	v_and_b32_e32 v14, 0xff, v52
	s_delay_alu instid0(VALU_DEP_1)
	v_cmpx_ne_u16_e32 0, v14
	s_cbranch_execz .LBB181_484
; %bb.477:                              ;   in Loop: Header=BB181_305 Depth=1
	v_mov_b64_e32 v[46:47], 0x80000000
	s_mov_b32 s26, exec_lo
	v_cmpx_ne_u16_e32 0x80, v14
	s_cbranch_execz .LBB181_483
; %bb.478:                              ;   in Loop: Header=BB181_305 Depth=1
	v_mov_b64_e32 v[46:47], 0x7f800001
	v_and_b32_e32 v48, 0x7f, v52
	s_mov_b32 s27, exec_lo
	s_delay_alu instid0(VALU_DEP_1)
	v_cmpx_ne_u32_e32 0x7f, v48
	s_cbranch_execz .LBB181_482
; %bb.479:                              ;   in Loop: Header=BB181_305 Depth=1
	v_and_b32_e32 v14, 7, v52
	v_lshrrev_b32_e32 v46, 3, v48
	s_mov_b32 s28, exec_lo
	v_cmpx_gt_u32_e32 8, v48
; %bb.480:                              ;   in Loop: Header=BB181_305 Depth=1
	s_delay_alu instid0(VALU_DEP_3) | instskip(NEXT) | instid1(VALU_DEP_1)
	v_clz_i32_u32_e32 v46, v14
	v_min_u32_e32 v46, 32, v46
	s_delay_alu instid0(VALU_DEP_1) | instskip(NEXT) | instid1(VALU_DEP_1)
	v_subrev_nc_u32_e32 v47, 28, v46
	v_lshlrev_b64_e32 v[48:49], v47, v[14:15]
	s_delay_alu instid0(VALU_DEP_1)
	v_dual_sub_nc_u32 v46, 29, v46 :: v_dual_bitop2_b32 v14, 7, v48 bitop3:0x40
; %bb.481:                              ;   in Loop: Header=BB181_305 Depth=1
	s_or_b32 exec_lo, exec_lo, s28
	s_delay_alu instid0(VALU_DEP_1) | instskip(NEXT) | instid1(VALU_DEP_2)
	v_dual_lshlrev_b32 v47, 24, v52 :: v_dual_lshlrev_b32 v14, 20, v14
	v_lshl_add_u32 v46, v46, 23, 0x3c000000
	s_delay_alu instid0(VALU_DEP_2) | instskip(NEXT) | instid1(VALU_DEP_1)
	v_and_b32_e32 v47, 0x80000000, v47
	v_or3_b32 v14, v14, v47, v46
	s_delay_alu instid0(VALU_DEP_1)
	v_mov_b64_e32 v[46:47], v[14:15]
.LBB181_482:                            ;   in Loop: Header=BB181_305 Depth=1
	s_or_b32 exec_lo, exec_lo, s27
.LBB181_483:                            ;   in Loop: Header=BB181_305 Depth=1
	s_delay_alu instid0(SALU_CYCLE_1)
	s_or_b32 exec_lo, exec_lo, s26
.LBB181_484:                            ;   in Loop: Header=BB181_305 Depth=1
	s_delay_alu instid0(SALU_CYCLE_1) | instskip(SKIP_2) | instid1(VALU_DEP_1)
	s_or_b32 exec_lo, exec_lo, s25
	v_lshrrev_b16 v14, 8, v52
	s_mov_b32 s25, exec_lo
	v_cmpx_ne_u16_e32 0, v14
	s_cbranch_execz .LBB181_492
; %bb.485:                              ;   in Loop: Header=BB181_305 Depth=1
	v_mov_b64_e32 v[44:45], 0x8000000000000000
	s_mov_b32 s26, exec_lo
	v_cmpx_ne_u16_e32 0x80, v14
	s_cbranch_execz .LBB181_491
; %bb.486:                              ;   in Loop: Header=BB181_305 Depth=1
	v_and_b32_e32 v14, 0xffff, v14
	v_mov_b64_e32 v[44:45], 0x7f80000100000000
	s_mov_b32 s27, exec_lo
	s_delay_alu instid0(VALU_DEP_2) | instskip(NEXT) | instid1(VALU_DEP_1)
	v_and_b32_e32 v48, 0x7f, v14
	v_cmpx_ne_u32_e32 0x7f, v48
	s_cbranch_execz .LBB181_490
; %bb.487:                              ;   in Loop: Header=BB181_305 Depth=1
	v_dual_lshrrev_b32 v44, 3, v48 :: v_dual_bitop2_b32 v14, 7, v14 bitop3:0x40
	s_mov_b32 s28, exec_lo
	v_cmpx_gt_u32_e32 8, v48
; %bb.488:                              ;   in Loop: Header=BB181_305 Depth=1
	s_delay_alu instid0(VALU_DEP_2) | instskip(NEXT) | instid1(VALU_DEP_1)
	v_clz_i32_u32_e32 v44, v14
	v_min_u32_e32 v44, 32, v44
	s_delay_alu instid0(VALU_DEP_1) | instskip(SKIP_1) | instid1(VALU_DEP_2)
	v_subrev_nc_u32_e32 v45, 28, v44
	v_sub_nc_u32_e32 v44, 29, v44
	v_lshlrev_b64_e32 v[48:49], v45, v[14:15]
	s_delay_alu instid0(VALU_DEP_1)
	v_and_b32_e32 v14, 7, v48
; %bb.489:                              ;   in Loop: Header=BB181_305 Depth=1
	s_or_b32 exec_lo, exec_lo, s28
	s_delay_alu instid0(VALU_DEP_1) | instskip(SKIP_1) | instid1(VALU_DEP_2)
	v_dual_lshlrev_b32 v45, 16, v52 :: v_dual_lshlrev_b32 v14, 20, v14
	v_lshl_add_u32 v44, v44, 23, 0x3c000000
	v_and_b32_e32 v45, 0x80000000, v45
	s_delay_alu instid0(VALU_DEP_1)
	v_or3_b32 v45, v14, v45, v44
	v_mov_b32_e32 v44, v15
.LBB181_490:                            ;   in Loop: Header=BB181_305 Depth=1
	s_or_b32 exec_lo, exec_lo, s27
.LBB181_491:                            ;   in Loop: Header=BB181_305 Depth=1
	s_delay_alu instid0(SALU_CYCLE_1)
	s_or_b32 exec_lo, exec_lo, s26
.LBB181_492:                            ;   in Loop: Header=BB181_305 Depth=1
	s_delay_alu instid0(SALU_CYCLE_1) | instskip(SKIP_4) | instid1(VALU_DEP_3)
	s_or_b32 exec_lo, exec_lo, s25
	v_lshrrev_b32_e32 v53, 16, v52
	v_mov_b64_e32 v[48:49], 0
	v_mov_b64_e32 v[50:51], 0
	s_mov_b32 s25, exec_lo
	v_and_b32_e32 v14, 0xff, v53
	s_delay_alu instid0(VALU_DEP_1)
	v_cmpx_ne_u16_e32 0, v14
	s_cbranch_execz .LBB181_500
; %bb.493:                              ;   in Loop: Header=BB181_305 Depth=1
	v_mov_b64_e32 v[50:51], 0x80000000
	s_mov_b32 s26, exec_lo
	v_cmpx_ne_u16_e32 0x80, v14
	s_cbranch_execz .LBB181_499
; %bb.494:                              ;   in Loop: Header=BB181_305 Depth=1
	v_mov_b64_e32 v[50:51], 0x7f800001
	v_bfe_u32 v54, v52, 16, 7
	s_mov_b32 s27, exec_lo
	s_delay_alu instid0(VALU_DEP_1)
	v_cmpx_ne_u32_e32 0x7f, v54
	s_cbranch_execz .LBB181_498
; %bb.495:                              ;   in Loop: Header=BB181_305 Depth=1
	v_dual_lshrrev_b32 v50, 3, v54 :: v_dual_bitop2_b32 v14, 7, v53 bitop3:0x40
	s_mov_b32 s28, exec_lo
	v_cmpx_gt_u32_e32 8, v54
; %bb.496:                              ;   in Loop: Header=BB181_305 Depth=1
	s_delay_alu instid0(VALU_DEP_2) | instskip(NEXT) | instid1(VALU_DEP_1)
	v_clz_i32_u32_e32 v50, v14
	v_min_u32_e32 v50, 32, v50
	s_delay_alu instid0(VALU_DEP_1) | instskip(SKIP_1) | instid1(VALU_DEP_2)
	v_subrev_nc_u32_e32 v51, 28, v50
	v_sub_nc_u32_e32 v50, 29, v50
	v_lshlrev_b64_e32 v[54:55], v51, v[14:15]
	s_delay_alu instid0(VALU_DEP_1)
	v_and_b32_e32 v14, 7, v54
; %bb.497:                              ;   in Loop: Header=BB181_305 Depth=1
	s_or_b32 exec_lo, exec_lo, s28
	s_delay_alu instid0(VALU_DEP_1) | instskip(SKIP_1) | instid1(VALU_DEP_2)
	v_dual_lshlrev_b32 v51, 24, v53 :: v_dual_lshlrev_b32 v14, 20, v14
	v_lshl_add_u32 v50, v50, 23, 0x3c000000
	v_and_b32_e32 v51, 0x80000000, v51
	s_delay_alu instid0(VALU_DEP_1) | instskip(NEXT) | instid1(VALU_DEP_1)
	v_or3_b32 v14, v14, v51, v50
	v_mov_b64_e32 v[50:51], v[14:15]
.LBB181_498:                            ;   in Loop: Header=BB181_305 Depth=1
	s_or_b32 exec_lo, exec_lo, s27
.LBB181_499:                            ;   in Loop: Header=BB181_305 Depth=1
	s_delay_alu instid0(SALU_CYCLE_1)
	s_or_b32 exec_lo, exec_lo, s26
.LBB181_500:                            ;   in Loop: Header=BB181_305 Depth=1
	s_delay_alu instid0(SALU_CYCLE_1) | instskip(NEXT) | instid1(SALU_CYCLE_1)
	s_or_b32 exec_lo, exec_lo, s25
	s_mov_b32 s25, exec_lo
	v_cmpx_lt_u32_e32 0xffffff, v52
	s_cbranch_execz .LBB181_508
; %bb.501:                              ;   in Loop: Header=BB181_305 Depth=1
	v_mov_b64_e32 v[48:49], 0x8000000000000000
	v_lshrrev_b32_e32 v53, 24, v52
	s_mov_b32 s26, exec_lo
	s_delay_alu instid0(VALU_DEP_1)
	v_cmpx_ne_u32_e32 0x80, v53
	s_cbranch_execz .LBB181_507
; %bb.502:                              ;   in Loop: Header=BB181_305 Depth=1
	v_mov_b64_e32 v[48:49], 0x7f80000100000000
	v_bfe_u32 v52, v52, 24, 7
	s_mov_b32 s27, exec_lo
	s_delay_alu instid0(VALU_DEP_1)
	v_cmpx_ne_u32_e32 0x7f, v52
	s_cbranch_execz .LBB181_506
; %bb.503:                              ;   in Loop: Header=BB181_305 Depth=1
	v_dual_lshrrev_b32 v48, 3, v52 :: v_dual_bitop2_b32 v14, 7, v53 bitop3:0x40
	s_mov_b32 s28, exec_lo
	v_cmpx_gt_u32_e32 8, v52
; %bb.504:                              ;   in Loop: Header=BB181_305 Depth=1
	s_delay_alu instid0(VALU_DEP_2) | instskip(NEXT) | instid1(VALU_DEP_1)
	v_clz_i32_u32_e32 v48, v14
	v_min_u32_e32 v48, 32, v48
	s_delay_alu instid0(VALU_DEP_1) | instskip(NEXT) | instid1(VALU_DEP_1)
	v_subrev_nc_u32_e32 v49, 28, v48
	v_lshlrev_b64_e32 v[54:55], v49, v[14:15]
	s_delay_alu instid0(VALU_DEP_1)
	v_dual_sub_nc_u32 v48, 29, v48 :: v_dual_bitop2_b32 v14, 7, v54 bitop3:0x40
; %bb.505:                              ;   in Loop: Header=BB181_305 Depth=1
	s_or_b32 exec_lo, exec_lo, s28
	s_delay_alu instid0(VALU_DEP_1) | instskip(NEXT) | instid1(VALU_DEP_2)
	v_dual_lshlrev_b32 v49, 24, v53 :: v_dual_lshlrev_b32 v14, 20, v14
	v_lshl_add_u32 v48, v48, 23, 0x3c000000
	s_delay_alu instid0(VALU_DEP_2) | instskip(NEXT) | instid1(VALU_DEP_1)
	v_and_b32_e32 v49, 0x80000000, v49
	v_or3_b32 v49, v14, v49, v48
	v_mov_b32_e32 v48, v15
.LBB181_506:                            ;   in Loop: Header=BB181_305 Depth=1
	s_or_b32 exec_lo, exec_lo, s27
.LBB181_507:                            ;   in Loop: Header=BB181_305 Depth=1
	s_delay_alu instid0(SALU_CYCLE_1)
	s_or_b32 exec_lo, exec_lo, s26
.LBB181_508:                            ;   in Loop: Header=BB181_305 Depth=1
	s_delay_alu instid0(SALU_CYCLE_1)
	s_or_b32 exec_lo, exec_lo, s25
	v_mov_b64_e32 v[52:53], s[8:9]
	v_or_b32_e32 v45, v45, v47
	v_or_b32_e32 v44, v44, v46
	;; [unrolled: 1-line block ×4, first 2 shown]
	s_delay_alu instid0(VALU_DEP_3) | instskip(NEXT) | instid1(VALU_DEP_2)
	v_pk_mul_f32 v[46:47], v[52:53], v[44:45]
	v_pk_mul_f32 v[44:45], v[52:53], v[48:49]
	s_and_saveexec_b32 s25, vcc_lo
	s_cbranch_execz .LBB181_510
; %bb.509:                              ;   in Loop: Header=BB181_305 Depth=1
	v_cmp_gt_i32_e64 s0, s34, v35
	s_delay_alu instid0(VALU_DEP_1) | instskip(SKIP_1) | instid1(VALU_DEP_1)
	v_cndmask_b32_e64 v46, 0, v46, s0
	v_cmp_gt_i32_e64 s0, s34, v65
	v_cndmask_b32_e64 v47, 0, v47, s0
	v_cmp_gt_i32_e64 s0, s34, v57
	s_delay_alu instid0(VALU_DEP_1) | instskip(SKIP_1) | instid1(VALU_DEP_1)
	v_cndmask_b32_e64 v44, 0, v44, s0
	v_cmp_gt_i32_e64 s0, s34, v56
	v_cndmask_b32_e64 v45, 0, v45, s0
.LBB181_510:                            ;   in Loop: Header=BB181_305 Depth=1
	s_or_b32 exec_lo, exec_lo, s25
	global_load_b32 v66, v[24:25], off offset:768
	v_mov_b64_e32 v[48:49], 0
	v_mov_b64_e32 v[50:51], 0
	s_mov_b32 s25, exec_lo
	s_wait_loadcnt 0x0
	v_and_b32_e32 v14, 0xff, v66
	s_delay_alu instid0(VALU_DEP_1)
	v_cmpx_ne_u16_e32 0, v14
	s_cbranch_execz .LBB181_518
; %bb.511:                              ;   in Loop: Header=BB181_305 Depth=1
	v_mov_b64_e32 v[50:51], 0x80000000
	s_mov_b32 s26, exec_lo
	v_cmpx_ne_u16_e32 0x80, v14
	s_cbranch_execz .LBB181_517
; %bb.512:                              ;   in Loop: Header=BB181_305 Depth=1
	v_mov_b64_e32 v[50:51], 0x7f800001
	v_and_b32_e32 v52, 0x7f, v66
	s_mov_b32 s27, exec_lo
	s_delay_alu instid0(VALU_DEP_1)
	v_cmpx_ne_u32_e32 0x7f, v52
	s_cbranch_execz .LBB181_516
; %bb.513:                              ;   in Loop: Header=BB181_305 Depth=1
	v_dual_lshrrev_b32 v50, 3, v52 :: v_dual_bitop2_b32 v14, 7, v66 bitop3:0x40
	s_mov_b32 s28, exec_lo
	v_cmpx_gt_u32_e32 8, v52
; %bb.514:                              ;   in Loop: Header=BB181_305 Depth=1
	s_delay_alu instid0(VALU_DEP_2) | instskip(NEXT) | instid1(VALU_DEP_1)
	v_clz_i32_u32_e32 v50, v14
	v_min_u32_e32 v50, 32, v50
	s_delay_alu instid0(VALU_DEP_1) | instskip(NEXT) | instid1(VALU_DEP_1)
	v_subrev_nc_u32_e32 v51, 28, v50
	v_lshlrev_b64_e32 v[52:53], v51, v[14:15]
	s_delay_alu instid0(VALU_DEP_1)
	v_dual_sub_nc_u32 v50, 29, v50 :: v_dual_bitop2_b32 v14, 7, v52 bitop3:0x40
; %bb.515:                              ;   in Loop: Header=BB181_305 Depth=1
	s_or_b32 exec_lo, exec_lo, s28
	v_lshlrev_b32_e32 v51, 24, v66
	s_delay_alu instid0(VALU_DEP_2) | instskip(NEXT) | instid1(VALU_DEP_3)
	v_lshlrev_b32_e32 v14, 20, v14
	v_lshl_add_u32 v50, v50, 23, 0x3c000000
	s_delay_alu instid0(VALU_DEP_3) | instskip(NEXT) | instid1(VALU_DEP_1)
	v_and_b32_e32 v51, 0x80000000, v51
	v_or3_b32 v14, v14, v51, v50
	s_delay_alu instid0(VALU_DEP_1)
	v_mov_b64_e32 v[50:51], v[14:15]
.LBB181_516:                            ;   in Loop: Header=BB181_305 Depth=1
	s_or_b32 exec_lo, exec_lo, s27
.LBB181_517:                            ;   in Loop: Header=BB181_305 Depth=1
	s_delay_alu instid0(SALU_CYCLE_1)
	s_or_b32 exec_lo, exec_lo, s26
.LBB181_518:                            ;   in Loop: Header=BB181_305 Depth=1
	s_delay_alu instid0(SALU_CYCLE_1) | instskip(SKIP_2) | instid1(VALU_DEP_1)
	s_or_b32 exec_lo, exec_lo, s25
	v_lshrrev_b16 v14, 8, v66
	s_mov_b32 s25, exec_lo
	v_cmpx_ne_u16_e32 0, v14
	s_cbranch_execz .LBB181_526
; %bb.519:                              ;   in Loop: Header=BB181_305 Depth=1
	v_mov_b64_e32 v[48:49], 0x8000000000000000
	s_mov_b32 s26, exec_lo
	v_cmpx_ne_u16_e32 0x80, v14
	s_cbranch_execz .LBB181_525
; %bb.520:                              ;   in Loop: Header=BB181_305 Depth=1
	v_and_b32_e32 v14, 0xffff, v14
	v_mov_b64_e32 v[48:49], 0x7f80000100000000
	s_mov_b32 s27, exec_lo
	s_delay_alu instid0(VALU_DEP_2) | instskip(NEXT) | instid1(VALU_DEP_1)
	v_and_b32_e32 v52, 0x7f, v14
	v_cmpx_ne_u32_e32 0x7f, v52
	s_cbranch_execz .LBB181_524
; %bb.521:                              ;   in Loop: Header=BB181_305 Depth=1
	v_dual_lshrrev_b32 v48, 3, v52 :: v_dual_bitop2_b32 v14, 7, v14 bitop3:0x40
	s_mov_b32 s28, exec_lo
	v_cmpx_gt_u32_e32 8, v52
; %bb.522:                              ;   in Loop: Header=BB181_305 Depth=1
	s_delay_alu instid0(VALU_DEP_2) | instskip(NEXT) | instid1(VALU_DEP_1)
	v_clz_i32_u32_e32 v48, v14
	v_min_u32_e32 v48, 32, v48
	s_delay_alu instid0(VALU_DEP_1) | instskip(SKIP_1) | instid1(VALU_DEP_2)
	v_subrev_nc_u32_e32 v49, 28, v48
	v_sub_nc_u32_e32 v48, 29, v48
	v_lshlrev_b64_e32 v[52:53], v49, v[14:15]
	s_delay_alu instid0(VALU_DEP_1)
	v_and_b32_e32 v14, 7, v52
; %bb.523:                              ;   in Loop: Header=BB181_305 Depth=1
	s_or_b32 exec_lo, exec_lo, s28
	v_lshlrev_b32_e32 v49, 16, v66
	s_delay_alu instid0(VALU_DEP_2) | instskip(SKIP_1) | instid1(VALU_DEP_3)
	v_lshlrev_b32_e32 v14, 20, v14
	v_lshl_add_u32 v48, v48, 23, 0x3c000000
	v_and_b32_e32 v49, 0x80000000, v49
	s_delay_alu instid0(VALU_DEP_1)
	v_or3_b32 v49, v14, v49, v48
	v_mov_b32_e32 v48, v15
.LBB181_524:                            ;   in Loop: Header=BB181_305 Depth=1
	s_or_b32 exec_lo, exec_lo, s27
.LBB181_525:                            ;   in Loop: Header=BB181_305 Depth=1
	s_delay_alu instid0(SALU_CYCLE_1)
	s_or_b32 exec_lo, exec_lo, s26
.LBB181_526:                            ;   in Loop: Header=BB181_305 Depth=1
	s_delay_alu instid0(SALU_CYCLE_1) | instskip(SKIP_4) | instid1(VALU_DEP_3)
	s_or_b32 exec_lo, exec_lo, s25
	v_lshrrev_b32_e32 v67, 16, v66
	v_mov_b64_e32 v[52:53], 0
	v_mov_b64_e32 v[54:55], 0
	s_mov_b32 s25, exec_lo
	v_and_b32_e32 v14, 0xff, v67
	s_delay_alu instid0(VALU_DEP_1)
	v_cmpx_ne_u16_e32 0, v14
	s_cbranch_execz .LBB181_534
; %bb.527:                              ;   in Loop: Header=BB181_305 Depth=1
	v_mov_b64_e32 v[54:55], 0x80000000
	s_mov_b32 s26, exec_lo
	v_cmpx_ne_u16_e32 0x80, v14
	s_cbranch_execz .LBB181_533
; %bb.528:                              ;   in Loop: Header=BB181_305 Depth=1
	v_mov_b64_e32 v[54:55], 0x7f800001
	v_bfe_u32 v68, v66, 16, 7
	s_mov_b32 s27, exec_lo
	s_delay_alu instid0(VALU_DEP_1)
	v_cmpx_ne_u32_e32 0x7f, v68
	s_cbranch_execz .LBB181_532
; %bb.529:                              ;   in Loop: Header=BB181_305 Depth=1
	v_dual_lshrrev_b32 v54, 3, v68 :: v_dual_bitop2_b32 v14, 7, v67 bitop3:0x40
	s_mov_b32 s28, exec_lo
	v_cmpx_gt_u32_e32 8, v68
; %bb.530:                              ;   in Loop: Header=BB181_305 Depth=1
	s_delay_alu instid0(VALU_DEP_2) | instskip(NEXT) | instid1(VALU_DEP_1)
	v_clz_i32_u32_e32 v54, v14
	v_min_u32_e32 v54, 32, v54
	s_delay_alu instid0(VALU_DEP_1) | instskip(NEXT) | instid1(VALU_DEP_1)
	v_subrev_nc_u32_e32 v55, 28, v54
	v_lshlrev_b64_e32 v[68:69], v55, v[14:15]
	s_delay_alu instid0(VALU_DEP_1)
	v_dual_sub_nc_u32 v54, 29, v54 :: v_dual_bitop2_b32 v14, 7, v68 bitop3:0x40
; %bb.531:                              ;   in Loop: Header=BB181_305 Depth=1
	s_or_b32 exec_lo, exec_lo, s28
	s_delay_alu instid0(VALU_DEP_1) | instskip(NEXT) | instid1(VALU_DEP_2)
	v_dual_lshlrev_b32 v55, 24, v67 :: v_dual_lshlrev_b32 v14, 20, v14
	v_lshl_add_u32 v54, v54, 23, 0x3c000000
	s_delay_alu instid0(VALU_DEP_2) | instskip(NEXT) | instid1(VALU_DEP_1)
	v_and_b32_e32 v55, 0x80000000, v55
	v_or3_b32 v14, v14, v55, v54
	s_delay_alu instid0(VALU_DEP_1)
	v_mov_b64_e32 v[54:55], v[14:15]
.LBB181_532:                            ;   in Loop: Header=BB181_305 Depth=1
	s_or_b32 exec_lo, exec_lo, s27
.LBB181_533:                            ;   in Loop: Header=BB181_305 Depth=1
	s_delay_alu instid0(SALU_CYCLE_1)
	s_or_b32 exec_lo, exec_lo, s26
.LBB181_534:                            ;   in Loop: Header=BB181_305 Depth=1
	s_delay_alu instid0(SALU_CYCLE_1) | instskip(NEXT) | instid1(SALU_CYCLE_1)
	s_or_b32 exec_lo, exec_lo, s25
	s_mov_b32 s25, exec_lo
	v_cmpx_lt_u32_e32 0xffffff, v66
	s_cbranch_execz .LBB181_542
; %bb.535:                              ;   in Loop: Header=BB181_305 Depth=1
	v_mov_b64_e32 v[52:53], 0x8000000000000000
	v_lshrrev_b32_e32 v67, 24, v66
	s_mov_b32 s26, exec_lo
	s_delay_alu instid0(VALU_DEP_1)
	v_cmpx_ne_u32_e32 0x80, v67
	s_cbranch_execz .LBB181_541
; %bb.536:                              ;   in Loop: Header=BB181_305 Depth=1
	v_mov_b64_e32 v[52:53], 0x7f80000100000000
	v_bfe_u32 v66, v66, 24, 7
	s_mov_b32 s27, exec_lo
	s_delay_alu instid0(VALU_DEP_1)
	v_cmpx_ne_u32_e32 0x7f, v66
	s_cbranch_execz .LBB181_540
; %bb.537:                              ;   in Loop: Header=BB181_305 Depth=1
	v_dual_lshrrev_b32 v52, 3, v66 :: v_dual_bitop2_b32 v14, 7, v67 bitop3:0x40
	s_mov_b32 s28, exec_lo
	v_cmpx_gt_u32_e32 8, v66
; %bb.538:                              ;   in Loop: Header=BB181_305 Depth=1
	s_delay_alu instid0(VALU_DEP_2) | instskip(NEXT) | instid1(VALU_DEP_1)
	v_clz_i32_u32_e32 v52, v14
	v_min_u32_e32 v52, 32, v52
	s_delay_alu instid0(VALU_DEP_1) | instskip(SKIP_1) | instid1(VALU_DEP_2)
	v_subrev_nc_u32_e32 v53, 28, v52
	v_sub_nc_u32_e32 v52, 29, v52
	v_lshlrev_b64_e32 v[68:69], v53, v[14:15]
	s_delay_alu instid0(VALU_DEP_1)
	v_and_b32_e32 v14, 7, v68
; %bb.539:                              ;   in Loop: Header=BB181_305 Depth=1
	s_or_b32 exec_lo, exec_lo, s28
	s_delay_alu instid0(VALU_DEP_1) | instskip(SKIP_1) | instid1(VALU_DEP_2)
	v_dual_lshlrev_b32 v53, 24, v67 :: v_dual_lshlrev_b32 v14, 20, v14
	v_lshl_add_u32 v52, v52, 23, 0x3c000000
	v_and_b32_e32 v53, 0x80000000, v53
	s_delay_alu instid0(VALU_DEP_1)
	v_or3_b32 v53, v14, v53, v52
	v_mov_b32_e32 v52, v15
.LBB181_540:                            ;   in Loop: Header=BB181_305 Depth=1
	s_or_b32 exec_lo, exec_lo, s27
.LBB181_541:                            ;   in Loop: Header=BB181_305 Depth=1
	s_delay_alu instid0(SALU_CYCLE_1)
	s_or_b32 exec_lo, exec_lo, s26
.LBB181_542:                            ;   in Loop: Header=BB181_305 Depth=1
	s_delay_alu instid0(SALU_CYCLE_1)
	s_or_b32 exec_lo, exec_lo, s25
	v_mov_b64_e32 v[66:67], s[8:9]
	v_or_b32_e32 v49, v49, v51
	v_or_b32_e32 v48, v48, v50
	;; [unrolled: 1-line block ×4, first 2 shown]
	s_delay_alu instid0(VALU_DEP_3) | instskip(NEXT) | instid1(VALU_DEP_2)
	v_pk_mul_f32 v[50:51], v[66:67], v[48:49]
	v_pk_mul_f32 v[48:49], v[66:67], v[52:53]
	s_and_saveexec_b32 s25, vcc_lo
	s_cbranch_execz .LBB181_544
; %bb.543:                              ;   in Loop: Header=BB181_305 Depth=1
	v_cmp_gt_i32_e64 s0, s34, v35
	s_delay_alu instid0(VALU_DEP_1) | instskip(SKIP_1) | instid1(VALU_DEP_1)
	v_cndmask_b32_e64 v50, 0, v50, s0
	v_cmp_gt_i32_e64 s0, s34, v65
	v_cndmask_b32_e64 v51, 0, v51, s0
	v_cmp_gt_i32_e64 s0, s34, v57
	s_delay_alu instid0(VALU_DEP_1) | instskip(SKIP_1) | instid1(VALU_DEP_1)
	v_cndmask_b32_e64 v48, 0, v48, s0
	v_cmp_gt_i32_e64 s0, s34, v56
	v_cndmask_b32_e64 v49, 0, v49, s0
.LBB181_544:                            ;   in Loop: Header=BB181_305 Depth=1
	s_or_b32 exec_lo, exec_lo, s25
	global_load_b32 v66, v[24:25], off offset:896
	s_wait_xcnt 0x0
	v_mov_b64_e32 v[24:25], 0
	v_mov_b64_e32 v[52:53], 0
	s_mov_b32 s25, exec_lo
	s_wait_loadcnt 0x0
	v_and_b32_e32 v14, 0xff, v66
	s_delay_alu instid0(VALU_DEP_1)
	v_cmpx_ne_u16_e32 0, v14
	s_cbranch_execz .LBB181_552
; %bb.545:                              ;   in Loop: Header=BB181_305 Depth=1
	v_mov_b64_e32 v[52:53], 0x80000000
	s_mov_b32 s26, exec_lo
	v_cmpx_ne_u16_e32 0x80, v14
	s_cbranch_execz .LBB181_551
; %bb.546:                              ;   in Loop: Header=BB181_305 Depth=1
	v_mov_b64_e32 v[52:53], 0x7f800001
	v_and_b32_e32 v54, 0x7f, v66
	s_mov_b32 s27, exec_lo
	s_delay_alu instid0(VALU_DEP_1)
	v_cmpx_ne_u32_e32 0x7f, v54
	s_cbranch_execz .LBB181_550
; %bb.547:                              ;   in Loop: Header=BB181_305 Depth=1
	v_and_b32_e32 v14, 7, v66
	v_lshrrev_b32_e32 v52, 3, v54
	s_mov_b32 s28, exec_lo
	v_cmpx_gt_u32_e32 8, v54
; %bb.548:                              ;   in Loop: Header=BB181_305 Depth=1
	s_delay_alu instid0(VALU_DEP_3) | instskip(NEXT) | instid1(VALU_DEP_1)
	v_clz_i32_u32_e32 v52, v14
	v_min_u32_e32 v52, 32, v52
	s_delay_alu instid0(VALU_DEP_1) | instskip(NEXT) | instid1(VALU_DEP_1)
	v_subrev_nc_u32_e32 v53, 28, v52
	v_lshlrev_b64_e32 v[54:55], v53, v[14:15]
	s_delay_alu instid0(VALU_DEP_1)
	v_dual_sub_nc_u32 v52, 29, v52 :: v_dual_bitop2_b32 v14, 7, v54 bitop3:0x40
; %bb.549:                              ;   in Loop: Header=BB181_305 Depth=1
	s_or_b32 exec_lo, exec_lo, s28
	v_lshlrev_b32_e32 v53, 24, v66
	s_delay_alu instid0(VALU_DEP_2) | instskip(NEXT) | instid1(VALU_DEP_3)
	v_lshlrev_b32_e32 v14, 20, v14
	v_lshl_add_u32 v52, v52, 23, 0x3c000000
	s_delay_alu instid0(VALU_DEP_3) | instskip(NEXT) | instid1(VALU_DEP_1)
	v_and_b32_e32 v53, 0x80000000, v53
	v_or3_b32 v14, v14, v53, v52
	s_delay_alu instid0(VALU_DEP_1)
	v_mov_b64_e32 v[52:53], v[14:15]
.LBB181_550:                            ;   in Loop: Header=BB181_305 Depth=1
	s_or_b32 exec_lo, exec_lo, s27
.LBB181_551:                            ;   in Loop: Header=BB181_305 Depth=1
	s_delay_alu instid0(SALU_CYCLE_1)
	s_or_b32 exec_lo, exec_lo, s26
.LBB181_552:                            ;   in Loop: Header=BB181_305 Depth=1
	s_delay_alu instid0(SALU_CYCLE_1) | instskip(SKIP_2) | instid1(VALU_DEP_1)
	s_or_b32 exec_lo, exec_lo, s25
	v_lshrrev_b16 v14, 8, v66
	s_mov_b32 s25, exec_lo
	v_cmpx_ne_u16_e32 0, v14
	s_cbranch_execz .LBB181_560
; %bb.553:                              ;   in Loop: Header=BB181_305 Depth=1
	v_mov_b64_e32 v[24:25], 0x8000000000000000
	s_mov_b32 s26, exec_lo
	v_cmpx_ne_u16_e32 0x80, v14
	s_cbranch_execz .LBB181_559
; %bb.554:                              ;   in Loop: Header=BB181_305 Depth=1
	v_and_b32_e32 v14, 0xffff, v14
	v_mov_b64_e32 v[24:25], 0x7f80000100000000
	s_mov_b32 s27, exec_lo
	s_delay_alu instid0(VALU_DEP_2) | instskip(NEXT) | instid1(VALU_DEP_1)
	v_and_b32_e32 v54, 0x7f, v14
	v_cmpx_ne_u32_e32 0x7f, v54
	s_cbranch_execz .LBB181_558
; %bb.555:                              ;   in Loop: Header=BB181_305 Depth=1
	v_and_b32_e32 v14, 7, v14
	v_lshrrev_b32_e32 v24, 3, v54
	s_mov_b32 s28, exec_lo
	v_cmpx_gt_u32_e32 8, v54
; %bb.556:                              ;   in Loop: Header=BB181_305 Depth=1
	s_delay_alu instid0(VALU_DEP_3) | instskip(NEXT) | instid1(VALU_DEP_1)
	v_clz_i32_u32_e32 v24, v14
	v_min_u32_e32 v24, 32, v24
	s_delay_alu instid0(VALU_DEP_1) | instskip(NEXT) | instid1(VALU_DEP_1)
	v_subrev_nc_u32_e32 v25, 28, v24
	v_lshlrev_b64_e32 v[54:55], v25, v[14:15]
	s_delay_alu instid0(VALU_DEP_1)
	v_dual_sub_nc_u32 v24, 29, v24 :: v_dual_bitop2_b32 v14, 7, v54 bitop3:0x40
; %bb.557:                              ;   in Loop: Header=BB181_305 Depth=1
	s_or_b32 exec_lo, exec_lo, s28
	v_lshlrev_b32_e32 v25, 16, v66
	s_delay_alu instid0(VALU_DEP_2) | instskip(NEXT) | instid1(VALU_DEP_3)
	v_lshlrev_b32_e32 v14, 20, v14
	v_lshl_add_u32 v24, v24, 23, 0x3c000000
	s_delay_alu instid0(VALU_DEP_3) | instskip(NEXT) | instid1(VALU_DEP_1)
	v_and_b32_e32 v25, 0x80000000, v25
	v_or3_b32 v25, v14, v25, v24
	v_mov_b32_e32 v24, v15
.LBB181_558:                            ;   in Loop: Header=BB181_305 Depth=1
	s_or_b32 exec_lo, exec_lo, s27
.LBB181_559:                            ;   in Loop: Header=BB181_305 Depth=1
	s_delay_alu instid0(SALU_CYCLE_1)
	s_or_b32 exec_lo, exec_lo, s26
.LBB181_560:                            ;   in Loop: Header=BB181_305 Depth=1
	s_delay_alu instid0(SALU_CYCLE_1) | instskip(SKIP_4) | instid1(VALU_DEP_3)
	s_or_b32 exec_lo, exec_lo, s25
	v_lshrrev_b32_e32 v67, 16, v66
	v_mov_b64_e32 v[54:55], 0
	v_mov_b64_e32 v[56:57], 0
	s_mov_b32 s25, exec_lo
	v_and_b32_e32 v14, 0xff, v67
	s_delay_alu instid0(VALU_DEP_1)
	v_cmpx_ne_u16_e32 0, v14
	s_cbranch_execz .LBB181_568
; %bb.561:                              ;   in Loop: Header=BB181_305 Depth=1
	v_mov_b64_e32 v[56:57], 0x80000000
	s_mov_b32 s26, exec_lo
	v_cmpx_ne_u16_e32 0x80, v14
	s_cbranch_execz .LBB181_567
; %bb.562:                              ;   in Loop: Header=BB181_305 Depth=1
	v_mov_b64_e32 v[56:57], 0x7f800001
	v_bfe_u32 v68, v66, 16, 7
	s_mov_b32 s27, exec_lo
	s_delay_alu instid0(VALU_DEP_1)
	v_cmpx_ne_u32_e32 0x7f, v68
	s_cbranch_execz .LBB181_566
; %bb.563:                              ;   in Loop: Header=BB181_305 Depth=1
	v_dual_lshrrev_b32 v56, 3, v68 :: v_dual_bitop2_b32 v14, 7, v67 bitop3:0x40
	s_mov_b32 s28, exec_lo
	v_cmpx_gt_u32_e32 8, v68
; %bb.564:                              ;   in Loop: Header=BB181_305 Depth=1
	s_delay_alu instid0(VALU_DEP_2) | instskip(NEXT) | instid1(VALU_DEP_1)
	v_clz_i32_u32_e32 v56, v14
	v_min_u32_e32 v56, 32, v56
	s_delay_alu instid0(VALU_DEP_1) | instskip(SKIP_1) | instid1(VALU_DEP_2)
	v_subrev_nc_u32_e32 v57, 28, v56
	v_sub_nc_u32_e32 v56, 29, v56
	v_lshlrev_b64_e32 v[68:69], v57, v[14:15]
	s_delay_alu instid0(VALU_DEP_1)
	v_and_b32_e32 v14, 7, v68
; %bb.565:                              ;   in Loop: Header=BB181_305 Depth=1
	s_or_b32 exec_lo, exec_lo, s28
	s_delay_alu instid0(VALU_DEP_1) | instskip(SKIP_1) | instid1(VALU_DEP_2)
	v_dual_lshlrev_b32 v57, 24, v67 :: v_dual_lshlrev_b32 v14, 20, v14
	v_lshl_add_u32 v56, v56, 23, 0x3c000000
	v_and_b32_e32 v57, 0x80000000, v57
	s_delay_alu instid0(VALU_DEP_1) | instskip(NEXT) | instid1(VALU_DEP_1)
	v_or3_b32 v14, v14, v57, v56
	v_mov_b64_e32 v[56:57], v[14:15]
.LBB181_566:                            ;   in Loop: Header=BB181_305 Depth=1
	s_or_b32 exec_lo, exec_lo, s27
.LBB181_567:                            ;   in Loop: Header=BB181_305 Depth=1
	s_delay_alu instid0(SALU_CYCLE_1)
	s_or_b32 exec_lo, exec_lo, s26
.LBB181_568:                            ;   in Loop: Header=BB181_305 Depth=1
	s_delay_alu instid0(SALU_CYCLE_1) | instskip(NEXT) | instid1(SALU_CYCLE_1)
	s_or_b32 exec_lo, exec_lo, s25
	s_mov_b32 s25, exec_lo
	v_cmpx_lt_u32_e32 0xffffff, v66
	s_cbranch_execz .LBB181_576
; %bb.569:                              ;   in Loop: Header=BB181_305 Depth=1
	v_mov_b64_e32 v[54:55], 0x8000000000000000
	v_lshrrev_b32_e32 v67, 24, v66
	s_mov_b32 s26, exec_lo
	s_delay_alu instid0(VALU_DEP_1)
	v_cmpx_ne_u32_e32 0x80, v67
	s_cbranch_execz .LBB181_575
; %bb.570:                              ;   in Loop: Header=BB181_305 Depth=1
	v_mov_b64_e32 v[54:55], 0x7f80000100000000
	v_bfe_u32 v66, v66, 24, 7
	s_mov_b32 s27, exec_lo
	s_delay_alu instid0(VALU_DEP_1)
	v_cmpx_ne_u32_e32 0x7f, v66
	s_cbranch_execz .LBB181_574
; %bb.571:                              ;   in Loop: Header=BB181_305 Depth=1
	v_dual_lshrrev_b32 v54, 3, v66 :: v_dual_bitop2_b32 v14, 7, v67 bitop3:0x40
	s_mov_b32 s28, exec_lo
	v_cmpx_gt_u32_e32 8, v66
; %bb.572:                              ;   in Loop: Header=BB181_305 Depth=1
	s_delay_alu instid0(VALU_DEP_2) | instskip(NEXT) | instid1(VALU_DEP_1)
	v_clz_i32_u32_e32 v54, v14
	v_min_u32_e32 v54, 32, v54
	s_delay_alu instid0(VALU_DEP_1) | instskip(NEXT) | instid1(VALU_DEP_1)
	v_subrev_nc_u32_e32 v55, 28, v54
	v_lshlrev_b64_e32 v[68:69], v55, v[14:15]
	s_delay_alu instid0(VALU_DEP_1)
	v_dual_sub_nc_u32 v54, 29, v54 :: v_dual_bitop2_b32 v14, 7, v68 bitop3:0x40
; %bb.573:                              ;   in Loop: Header=BB181_305 Depth=1
	s_or_b32 exec_lo, exec_lo, s28
	s_delay_alu instid0(VALU_DEP_1) | instskip(NEXT) | instid1(VALU_DEP_2)
	v_dual_lshlrev_b32 v55, 24, v67 :: v_dual_lshlrev_b32 v14, 20, v14
	v_lshl_add_u32 v54, v54, 23, 0x3c000000
	s_delay_alu instid0(VALU_DEP_2) | instskip(NEXT) | instid1(VALU_DEP_1)
	v_and_b32_e32 v55, 0x80000000, v55
	v_or3_b32 v55, v14, v55, v54
	v_mov_b32_e32 v54, v15
.LBB181_574:                            ;   in Loop: Header=BB181_305 Depth=1
	s_or_b32 exec_lo, exec_lo, s27
.LBB181_575:                            ;   in Loop: Header=BB181_305 Depth=1
	s_delay_alu instid0(SALU_CYCLE_1)
	s_or_b32 exec_lo, exec_lo, s26
.LBB181_576:                            ;   in Loop: Header=BB181_305 Depth=1
	s_delay_alu instid0(SALU_CYCLE_1)
	s_or_b32 exec_lo, exec_lo, s25
	v_mov_b64_e32 v[66:67], s[8:9]
	v_or_b32_e32 v25, v25, v53
	v_or_b32_e32 v24, v24, v52
	;; [unrolled: 1-line block ×4, first 2 shown]
	s_delay_alu instid0(VALU_DEP_3) | instskip(NEXT) | instid1(VALU_DEP_2)
	v_pk_mul_f32 v[52:53], v[66:67], v[24:25]
	v_pk_mul_f32 v[24:25], v[66:67], v[54:55]
	s_and_saveexec_b32 s0, vcc_lo
	s_cbranch_execz .LBB181_303
; %bb.577:                              ;   in Loop: Header=BB181_305 Depth=1
	v_cmp_gt_i32_e32 vcc_lo, s18, v65
	v_dual_cndmask_b32 v53, 0, v53, vcc_lo :: v_dual_bitop2_b32 v14, 3, v35 bitop3:0x54
	v_cmp_gt_i32_e32 vcc_lo, s34, v35
	v_dual_cndmask_b32 v52, 0, v52, vcc_lo :: v_dual_bitop2_b32 v54, 2, v35 bitop3:0x54
	s_delay_alu instid0(VALU_DEP_3) | instskip(SKIP_1) | instid1(VALU_DEP_3)
	v_cmp_gt_i32_e32 vcc_lo, s18, v14
	v_cndmask_b32_e32 v25, 0, v25, vcc_lo
	v_cmp_gt_i32_e32 vcc_lo, s34, v54
	v_cndmask_b32_e32 v24, 0, v24, vcc_lo
	s_branch .LBB181_303
.LBB181_578:
	s_or_b32 exec_lo, exec_lo, s19
.LBB181_579:
	s_delay_alu instid0(SALU_CYCLE_1)
	s_or_b32 exec_lo, exec_lo, s1
	ds_bpermute_b32 v2, v59, v8
	ds_bpermute_b32 v3, v59, v9
	;; [unrolled: 1-line block ×8, first 2 shown]
	s_mov_b32 s0, exec_lo
	s_wait_dscnt 0x0
	s_barrier_signal -1
	s_barrier_wait -1
	v_pk_add_f32 v[2:3], v[8:9], v[2:3]
	v_pk_add_f32 v[4:5], v[12:13], v[4:5]
	v_and_b32_e32 v13, 0x3c3, v0
	v_pk_add_f32 v[14:15], v[10:11], v[14:15]
	v_and_b32_e32 v12, 28, v58
	v_pk_add_f32 v[8:9], v[6:7], v[16:17]
	ds_bpermute_b32 v6, v60, v2
	ds_bpermute_b32 v7, v60, v3
	;; [unrolled: 1-line block ×8, first 2 shown]
	s_wait_dscnt 0x6
	v_pk_add_f32 v[6:7], v[2:3], v[6:7]
	s_wait_dscnt 0x4
	v_pk_add_f32 v[4:5], v[4:5], v[16:17]
	;; [unrolled: 2-line block ×3, first 2 shown]
	v_cmpx_ne_u32_e32 64, v13
	s_xor_b32 s0, exec_lo, s0
	s_delay_alu instid0(SALU_CYCLE_1)
	s_or_saveexec_b32 s0, s0
	s_wait_dscnt 0x0
	v_pk_add_f32 v[8:9], v[8:9], v[10:11]
	v_dual_lshrrev_b32 v11, 2, v58 :: v_dual_lshlrev_b32 v1, 8, v1
	v_add_nc_u32_e32 v10, 0x120, v12
	s_xor_b32 exec_lo, exec_lo, s0
	s_cbranch_execz .LBB181_581
; %bb.580:
	s_delay_alu instid0(VALU_DEP_1) | instskip(NEXT) | instid1(VALU_DEP_1)
	v_add_nc_u32_e32 v12, v10, v1
	v_add_nc_u32_e32 v13, 0xfffffe00, v12
	;; [unrolled: 1-line block ×9, first 2 shown]
	ds_store_b32 v13, v6
	ds_store_b32 v14, v7
	;; [unrolled: 1-line block ×8, first 2 shown]
.LBB181_581:
	s_or_b32 exec_lo, exec_lo, s0
	v_lshlrev_b32_e32 v11, 2, v11
	s_mov_b32 s1, exec_lo
	v_cmp_eq_u32_e32 vcc_lo, 0, v61
	s_wait_dscnt 0x0
	s_barrier_signal -1
	v_add3_u32 v1, 0x120, v1, v11
	s_barrier_wait -1
	v_cmpx_gt_u32_e32 64, v0
	s_cbranch_execz .LBB181_592
; %bb.582:
	s_and_saveexec_b32 s0, vcc_lo
	s_cbranch_execnz .LBB181_608
; %bb.583:
	s_or_b32 exec_lo, exec_lo, s0
	s_and_saveexec_b32 s0, vcc_lo
	s_cbranch_execnz .LBB181_609
.LBB181_584:
	s_or_b32 exec_lo, exec_lo, s0
	s_and_saveexec_b32 s0, vcc_lo
	s_cbranch_execnz .LBB181_610
.LBB181_585:
	s_or_b32 exec_lo, exec_lo, s0
	s_and_saveexec_b32 s0, vcc_lo
	s_cbranch_execnz .LBB181_611
.LBB181_586:
	s_or_b32 exec_lo, exec_lo, s0
	s_and_saveexec_b32 s0, vcc_lo
	s_cbranch_execnz .LBB181_612
.LBB181_587:
	s_or_b32 exec_lo, exec_lo, s0
	s_and_saveexec_b32 s0, vcc_lo
	s_cbranch_execnz .LBB181_613
.LBB181_588:
	s_or_b32 exec_lo, exec_lo, s0
	s_and_saveexec_b32 s0, vcc_lo
	s_cbranch_execnz .LBB181_614
.LBB181_589:
	s_or_b32 exec_lo, exec_lo, s0
	s_and_saveexec_b32 s0, vcc_lo
	s_cbranch_execz .LBB181_591
.LBB181_590:
	ds_load_b32 v11, v1 offset:224
	s_wait_dscnt 0x0
	v_add_f32_e32 v9, v9, v11
.LBB181_591:
	s_or_b32 exec_lo, exec_lo, s0
.LBB181_592:
	s_delay_alu instid0(SALU_CYCLE_1) | instskip(SKIP_4) | instid1(VALU_DEP_1)
	s_or_b32 exec_lo, exec_lo, s1
	v_and_b32_e32 v11, 0x3e3, v0
	s_mov_b32 s1, exec_lo
	s_barrier_signal -1
	s_barrier_wait -1
	v_cmpx_eq_u32_e32 32, v11
	s_cbranch_execz .LBB181_594
; %bb.593:
	ds_store_2addr_b32 v10, v6, v7 offset1:8
	ds_store_2addr_b32 v10, v4, v5 offset0:16 offset1:24
	ds_store_2addr_b32 v10, v2, v3 offset0:32 offset1:40
	;; [unrolled: 1-line block ×3, first 2 shown]
.LBB181_594:
	s_or_b32 exec_lo, exec_lo, s1
	s_wait_dscnt 0x0
	s_barrier_signal -1
	s_barrier_wait -1
	s_and_saveexec_b32 s0, s2
	s_cbranch_execz .LBB181_605
; %bb.595:
	s_and_saveexec_b32 s1, vcc_lo
	s_cbranch_execnz .LBB181_615
; %bb.596:
	s_or_b32 exec_lo, exec_lo, s1
	s_and_saveexec_b32 s1, vcc_lo
	s_cbranch_execnz .LBB181_616
.LBB181_597:
	s_or_b32 exec_lo, exec_lo, s1
	s_and_saveexec_b32 s1, vcc_lo
	s_cbranch_execnz .LBB181_617
.LBB181_598:
	s_or_b32 exec_lo, exec_lo, s1
	s_and_saveexec_b32 s1, vcc_lo
	s_cbranch_execnz .LBB181_618
.LBB181_599:
	s_or_b32 exec_lo, exec_lo, s1
	s_and_saveexec_b32 s1, vcc_lo
	s_cbranch_execnz .LBB181_619
.LBB181_600:
	s_or_b32 exec_lo, exec_lo, s1
	s_and_saveexec_b32 s1, vcc_lo
	s_cbranch_execnz .LBB181_620
.LBB181_601:
	s_or_b32 exec_lo, exec_lo, s1
	s_and_saveexec_b32 s1, vcc_lo
	s_cbranch_execnz .LBB181_621
.LBB181_602:
	s_or_b32 exec_lo, exec_lo, s1
	s_and_saveexec_b32 s1, vcc_lo
	s_cbranch_execz .LBB181_604
.LBB181_603:
	ds_load_b32 v1, v1 offset:224
	s_wait_dscnt 0x0
	v_add_f32_e32 v9, v9, v1
.LBB181_604:
	s_or_b32 exec_lo, exec_lo, s1
.LBB181_605:
	s_delay_alu instid0(SALU_CYCLE_1)
	s_or_b32 exec_lo, exec_lo, s0
	s_mov_b32 s1, 0
	s_barrier_signal -1
	s_barrier_wait -1
	s_mov_b32 s0, exec_lo
	v_cmpx_eq_u32_e32 0, v11
	s_cbranch_execz .LBB181_607
; %bb.606:
	s_mul_i32 s0, s33, s12
	s_mul_i32 s2, s12, s20
	;; [unrolled: 1-line block ×3, first 2 shown]
	s_wait_kmcnt 0x0
	s_lshr_b32 s8, ttmp7, 16
	s_lshl_b32 s4, s0, 6
	s_bfe_u32 s0, ttmp6, 0x40014
	s_ashr_i32 s5, s4, 31
	s_add_co_i32 s0, s0, 1
	s_ashr_i32 s3, s2, 31
	s_mul_i32 s0, s8, s0
	s_bfe_u32 s9, ttmp6, 0x40008
	s_lshl_b64 s[4:5], s[4:5], 2
	s_lshl_b64 s[2:3], s[2:3], 2
	s_add_co_i32 s9, s9, s0
	s_cmp_eq_u32 s30, 0
	s_add_nc_u64 s[4:5], s[6:7], s[4:5]
	s_cselect_b32 s0, s8, s9
	s_add_nc_u64 s[2:3], s[4:5], s[2:3]
	s_lshl_b32 s0, s0, 8
	s_delay_alu instid0(SALU_CYCLE_1)
	s_add_nc_u64 s[0:1], s[2:3], s[0:1]
	s_clause 0x7
	global_store_b32 v0, v6, s[0:1]
	global_store_b32 v0, v7, s[0:1] offset:32
	global_store_b32 v0, v4, s[0:1] offset:64
	global_store_b32 v0, v5, s[0:1] offset:96
	global_store_b32 v0, v2, s[0:1] offset:128
	global_store_b32 v0, v3, s[0:1] offset:160
	global_store_b32 v0, v8, s[0:1] offset:192
	global_store_b32 v0, v9, s[0:1] offset:224
.LBB181_607:
	s_sendmsg sendmsg(MSG_DEALLOC_VGPRS)
	s_endpgm
.LBB181_608:
	ds_load_b32 v11, v1
	s_wait_dscnt 0x0
	v_add_f32_e32 v6, v6, v11
	s_or_b32 exec_lo, exec_lo, s0
	s_and_saveexec_b32 s0, vcc_lo
	s_cbranch_execz .LBB181_584
.LBB181_609:
	ds_load_b32 v11, v1 offset:32
	s_wait_dscnt 0x0
	v_add_f32_e32 v7, v7, v11
	s_or_b32 exec_lo, exec_lo, s0
	s_and_saveexec_b32 s0, vcc_lo
	s_cbranch_execz .LBB181_585
.LBB181_610:
	ds_load_b32 v11, v1 offset:64
	s_wait_dscnt 0x0
	v_add_f32_e32 v4, v4, v11
	s_or_b32 exec_lo, exec_lo, s0
	s_and_saveexec_b32 s0, vcc_lo
	s_cbranch_execz .LBB181_586
.LBB181_611:
	ds_load_b32 v11, v1 offset:96
	s_wait_dscnt 0x0
	v_add_f32_e32 v5, v5, v11
	s_or_b32 exec_lo, exec_lo, s0
	s_and_saveexec_b32 s0, vcc_lo
	s_cbranch_execz .LBB181_587
.LBB181_612:
	ds_load_b32 v11, v1 offset:128
	s_wait_dscnt 0x0
	v_add_f32_e32 v2, v2, v11
	s_or_b32 exec_lo, exec_lo, s0
	s_and_saveexec_b32 s0, vcc_lo
	s_cbranch_execz .LBB181_588
.LBB181_613:
	ds_load_b32 v11, v1 offset:160
	s_wait_dscnt 0x0
	v_add_f32_e32 v3, v3, v11
	s_or_b32 exec_lo, exec_lo, s0
	s_and_saveexec_b32 s0, vcc_lo
	s_cbranch_execz .LBB181_589
.LBB181_614:
	ds_load_b32 v11, v1 offset:192
	s_wait_dscnt 0x0
	v_add_f32_e32 v8, v8, v11
	s_or_b32 exec_lo, exec_lo, s0
	s_and_saveexec_b32 s0, vcc_lo
	s_cbranch_execnz .LBB181_590
	s_branch .LBB181_591
.LBB181_615:
	ds_load_b32 v10, v1
	s_wait_dscnt 0x0
	v_add_f32_e32 v6, v6, v10
	s_or_b32 exec_lo, exec_lo, s1
	s_and_saveexec_b32 s1, vcc_lo
	s_cbranch_execz .LBB181_597
.LBB181_616:
	ds_load_b32 v10, v1 offset:32
	s_wait_dscnt 0x0
	v_add_f32_e32 v7, v7, v10
	s_or_b32 exec_lo, exec_lo, s1
	s_and_saveexec_b32 s1, vcc_lo
	s_cbranch_execz .LBB181_598
.LBB181_617:
	ds_load_b32 v10, v1 offset:64
	s_wait_dscnt 0x0
	v_add_f32_e32 v4, v4, v10
	s_or_b32 exec_lo, exec_lo, s1
	s_and_saveexec_b32 s1, vcc_lo
	s_cbranch_execz .LBB181_599
.LBB181_618:
	ds_load_b32 v10, v1 offset:96
	s_wait_dscnt 0x0
	v_add_f32_e32 v5, v5, v10
	s_or_b32 exec_lo, exec_lo, s1
	s_and_saveexec_b32 s1, vcc_lo
	s_cbranch_execz .LBB181_600
.LBB181_619:
	ds_load_b32 v10, v1 offset:128
	s_wait_dscnt 0x0
	v_add_f32_e32 v2, v2, v10
	s_or_b32 exec_lo, exec_lo, s1
	s_and_saveexec_b32 s1, vcc_lo
	s_cbranch_execz .LBB181_601
.LBB181_620:
	ds_load_b32 v10, v1 offset:160
	s_wait_dscnt 0x0
	v_add_f32_e32 v3, v3, v10
	s_or_b32 exec_lo, exec_lo, s1
	s_and_saveexec_b32 s1, vcc_lo
	s_cbranch_execz .LBB181_602
.LBB181_621:
	ds_load_b32 v10, v1 offset:192
	s_wait_dscnt 0x0
	v_add_f32_e32 v8, v8, v10
	s_or_b32 exec_lo, exec_lo, s1
	s_and_saveexec_b32 s1, vcc_lo
	s_cbranch_execnz .LBB181_603
	s_branch .LBB181_604
	.section	.rodata,"a",@progbits
	.p2align	6, 0x0
	.amdhsa_kernel _ZN4vllm25paged_attention_v1_kernelIfhLi64ELi16ELi128ELNS_18Fp8KVCacheDataTypeE1ELb1EEEvPT_PKS2_PKT0_S8_ifPKiSA_iPKfiiiSC_SC_iiiii
		.amdhsa_group_segment_fixed_size 288
		.amdhsa_private_segment_fixed_size 0
		.amdhsa_kernarg_size 384
		.amdhsa_user_sgpr_count 2
		.amdhsa_user_sgpr_dispatch_ptr 0
		.amdhsa_user_sgpr_queue_ptr 0
		.amdhsa_user_sgpr_kernarg_segment_ptr 1
		.amdhsa_user_sgpr_dispatch_id 0
		.amdhsa_user_sgpr_kernarg_preload_length 0
		.amdhsa_user_sgpr_kernarg_preload_offset 0
		.amdhsa_user_sgpr_private_segment_size 0
		.amdhsa_wavefront_size32 1
		.amdhsa_uses_dynamic_stack 0
		.amdhsa_enable_private_segment 0
		.amdhsa_system_sgpr_workgroup_id_x 1
		.amdhsa_system_sgpr_workgroup_id_y 1
		.amdhsa_system_sgpr_workgroup_id_z 1
		.amdhsa_system_sgpr_workgroup_info 0
		.amdhsa_system_vgpr_workitem_id 0
		.amdhsa_next_free_vgpr 120
		.amdhsa_next_free_sgpr 47
		.amdhsa_named_barrier_count 0
		.amdhsa_reserve_vcc 1
		.amdhsa_float_round_mode_32 0
		.amdhsa_float_round_mode_16_64 0
		.amdhsa_float_denorm_mode_32 3
		.amdhsa_float_denorm_mode_16_64 3
		.amdhsa_fp16_overflow 0
		.amdhsa_memory_ordered 1
		.amdhsa_forward_progress 1
		.amdhsa_inst_pref_size 176
		.amdhsa_round_robin_scheduling 0
		.amdhsa_exception_fp_ieee_invalid_op 0
		.amdhsa_exception_fp_denorm_src 0
		.amdhsa_exception_fp_ieee_div_zero 0
		.amdhsa_exception_fp_ieee_overflow 0
		.amdhsa_exception_fp_ieee_underflow 0
		.amdhsa_exception_fp_ieee_inexact 0
		.amdhsa_exception_int_div_zero 0
	.end_amdhsa_kernel
	.section	.text._ZN4vllm25paged_attention_v1_kernelIfhLi64ELi16ELi128ELNS_18Fp8KVCacheDataTypeE1ELb1EEEvPT_PKS2_PKT0_S8_ifPKiSA_iPKfiiiSC_SC_iiiii,"axG",@progbits,_ZN4vllm25paged_attention_v1_kernelIfhLi64ELi16ELi128ELNS_18Fp8KVCacheDataTypeE1ELb1EEEvPT_PKS2_PKT0_S8_ifPKiSA_iPKfiiiSC_SC_iiiii,comdat
.Lfunc_end181:
	.size	_ZN4vllm25paged_attention_v1_kernelIfhLi64ELi16ELi128ELNS_18Fp8KVCacheDataTypeE1ELb1EEEvPT_PKS2_PKT0_S8_ifPKiSA_iPKfiiiSC_SC_iiiii, .Lfunc_end181-_ZN4vllm25paged_attention_v1_kernelIfhLi64ELi16ELi128ELNS_18Fp8KVCacheDataTypeE1ELb1EEEvPT_PKS2_PKT0_S8_ifPKiSA_iPKfiiiSC_SC_iiiii
                                        ; -- End function
	.set _ZN4vllm25paged_attention_v1_kernelIfhLi64ELi16ELi128ELNS_18Fp8KVCacheDataTypeE1ELb1EEEvPT_PKS2_PKT0_S8_ifPKiSA_iPKfiiiSC_SC_iiiii.num_vgpr, 120
	.set _ZN4vllm25paged_attention_v1_kernelIfhLi64ELi16ELi128ELNS_18Fp8KVCacheDataTypeE1ELb1EEEvPT_PKS2_PKT0_S8_ifPKiSA_iPKfiiiSC_SC_iiiii.num_agpr, 0
	.set _ZN4vllm25paged_attention_v1_kernelIfhLi64ELi16ELi128ELNS_18Fp8KVCacheDataTypeE1ELb1EEEvPT_PKS2_PKT0_S8_ifPKiSA_iPKfiiiSC_SC_iiiii.numbered_sgpr, 47
	.set _ZN4vllm25paged_attention_v1_kernelIfhLi64ELi16ELi128ELNS_18Fp8KVCacheDataTypeE1ELb1EEEvPT_PKS2_PKT0_S8_ifPKiSA_iPKfiiiSC_SC_iiiii.num_named_barrier, 0
	.set _ZN4vllm25paged_attention_v1_kernelIfhLi64ELi16ELi128ELNS_18Fp8KVCacheDataTypeE1ELb1EEEvPT_PKS2_PKT0_S8_ifPKiSA_iPKfiiiSC_SC_iiiii.private_seg_size, 0
	.set _ZN4vllm25paged_attention_v1_kernelIfhLi64ELi16ELi128ELNS_18Fp8KVCacheDataTypeE1ELb1EEEvPT_PKS2_PKT0_S8_ifPKiSA_iPKfiiiSC_SC_iiiii.uses_vcc, 1
	.set _ZN4vllm25paged_attention_v1_kernelIfhLi64ELi16ELi128ELNS_18Fp8KVCacheDataTypeE1ELb1EEEvPT_PKS2_PKT0_S8_ifPKiSA_iPKfiiiSC_SC_iiiii.uses_flat_scratch, 0
	.set _ZN4vllm25paged_attention_v1_kernelIfhLi64ELi16ELi128ELNS_18Fp8KVCacheDataTypeE1ELb1EEEvPT_PKS2_PKT0_S8_ifPKiSA_iPKfiiiSC_SC_iiiii.has_dyn_sized_stack, 0
	.set _ZN4vllm25paged_attention_v1_kernelIfhLi64ELi16ELi128ELNS_18Fp8KVCacheDataTypeE1ELb1EEEvPT_PKS2_PKT0_S8_ifPKiSA_iPKfiiiSC_SC_iiiii.has_recursion, 0
	.set _ZN4vllm25paged_attention_v1_kernelIfhLi64ELi16ELi128ELNS_18Fp8KVCacheDataTypeE1ELb1EEEvPT_PKS2_PKT0_S8_ifPKiSA_iPKfiiiSC_SC_iiiii.has_indirect_call, 0
	.section	.AMDGPU.csdata,"",@progbits
; Kernel info:
; codeLenInByte = 22456
; TotalNumSgprs: 49
; NumVgprs: 120
; ScratchSize: 0
; MemoryBound: 0
; FloatMode: 240
; IeeeMode: 1
; LDSByteSize: 288 bytes/workgroup (compile time only)
; SGPRBlocks: 0
; VGPRBlocks: 7
; NumSGPRsForWavesPerEU: 49
; NumVGPRsForWavesPerEU: 120
; NamedBarCnt: 0
; Occupancy: 8
; WaveLimiterHint : 1
; COMPUTE_PGM_RSRC2:SCRATCH_EN: 0
; COMPUTE_PGM_RSRC2:USER_SGPR: 2
; COMPUTE_PGM_RSRC2:TRAP_HANDLER: 0
; COMPUTE_PGM_RSRC2:TGID_X_EN: 1
; COMPUTE_PGM_RSRC2:TGID_Y_EN: 1
; COMPUTE_PGM_RSRC2:TGID_Z_EN: 1
; COMPUTE_PGM_RSRC2:TIDIG_COMP_CNT: 0
	.section	.text._ZN4vllm25paged_attention_v1_kernelIfhLi80ELi16ELi128ELNS_18Fp8KVCacheDataTypeE1ELb1EEEvPT_PKS2_PKT0_S8_ifPKiSA_iPKfiiiSC_SC_iiiii,"axG",@progbits,_ZN4vllm25paged_attention_v1_kernelIfhLi80ELi16ELi128ELNS_18Fp8KVCacheDataTypeE1ELb1EEEvPT_PKS2_PKT0_S8_ifPKiSA_iPKfiiiSC_SC_iiiii,comdat
	.protected	_ZN4vllm25paged_attention_v1_kernelIfhLi80ELi16ELi128ELNS_18Fp8KVCacheDataTypeE1ELb1EEEvPT_PKS2_PKT0_S8_ifPKiSA_iPKfiiiSC_SC_iiiii ; -- Begin function _ZN4vllm25paged_attention_v1_kernelIfhLi80ELi16ELi128ELNS_18Fp8KVCacheDataTypeE1ELb1EEEvPT_PKS2_PKT0_S8_ifPKiSA_iPKfiiiSC_SC_iiiii
	.globl	_ZN4vllm25paged_attention_v1_kernelIfhLi80ELi16ELi128ELNS_18Fp8KVCacheDataTypeE1ELb1EEEvPT_PKS2_PKT0_S8_ifPKiSA_iPKfiiiSC_SC_iiiii
	.p2align	8
	.type	_ZN4vllm25paged_attention_v1_kernelIfhLi80ELi16ELi128ELNS_18Fp8KVCacheDataTypeE1ELb1EEEvPT_PKS2_PKT0_S8_ifPKiSA_iPKfiiiSC_SC_iiiii,@function
_ZN4vllm25paged_attention_v1_kernelIfhLi80ELi16ELi128ELNS_18Fp8KVCacheDataTypeE1ELb1EEEvPT_PKS2_PKT0_S8_ifPKiSA_iPKfiiiSC_SC_iiiii: ; @_ZN4vllm25paged_attention_v1_kernelIfhLi80ELi16ELi128ELNS_18Fp8KVCacheDataTypeE1ELb1EEEvPT_PKS2_PKT0_S8_ifPKiSA_iPKfiiiSC_SC_iiiii
; %bb.0:
	s_load_b64 s[26:27], s[0:1], 0x20
	s_bfe_u32 s3, ttmp6, 0x4000c
	s_bfe_u32 s4, ttmp6, 0x40010
	s_and_b32 s6, ttmp7, 0xffff
	s_add_co_i32 s3, s3, 1
	s_add_co_i32 s4, s4, 1
	s_and_b32 s2, ttmp6, 15
	s_bfe_u32 s5, ttmp6, 0x40004
	s_mul_i32 s3, ttmp9, s3
	s_mul_i32 s4, s6, s4
	s_getreg_b32 s30, hwreg(HW_REG_IB_STS2, 6, 4)
	s_add_co_i32 s2, s2, s3
	s_add_co_i32 s3, s5, s4
	s_cmp_eq_u32 s30, 0
	v_mov_b32_e32 v24, v0
	s_cselect_b32 s33, s6, s3
	s_cselect_b32 s2, ttmp9, s2
	s_clause 0x1
	s_load_b32 s31, s[0:1], 0x80
	s_load_b64 s[4:5], s[0:1], 0x30
	s_wait_kmcnt 0x0
	s_abs_i32 s3, s26
	s_delay_alu instid0(SALU_CYCLE_1) | instskip(SKIP_1) | instid1(SALU_CYCLE_2)
	s_cvt_f32_u32 s6, s3
	s_sub_co_i32 s7, 0, s3
	v_rcp_iflag_f32_e32 v0, s6
	v_nop
	s_delay_alu instid0(TRANS32_DEP_1) | instskip(SKIP_2) | instid1(SALU_CYCLE_3)
	v_readfirstlane_b32 s6, v0
	s_abs_i32 s8, s31
	s_mul_f32 s6, s6, 0x4f7ffffe
	s_cvt_u32_f32 s6, s6
	s_delay_alu instid0(SALU_CYCLE_3) | instskip(NEXT) | instid1(SALU_CYCLE_1)
	s_mul_i32 s7, s7, s6
	s_mul_hi_u32 s7, s6, s7
	s_delay_alu instid0(SALU_CYCLE_1) | instskip(SKIP_4) | instid1(SALU_CYCLE_1)
	s_add_co_i32 s6, s6, s7
	s_xor_b32 s7, s31, s26
	s_mul_hi_u32 s6, s8, s6
	s_ashr_i32 s7, s7, 31
	s_mul_i32 s9, s6, s3
	s_sub_co_i32 s8, s8, s9
	s_add_co_i32 s9, s6, 1
	s_sub_co_i32 s10, s8, s3
	s_cmp_ge_u32 s8, s3
	s_cselect_b32 s6, s9, s6
	s_cselect_b32 s8, s10, s8
	s_add_co_i32 s9, s6, 1
	s_cmp_ge_u32 s8, s3
	s_load_b64 s[10:11], s[0:1], 0x40
	s_cselect_b32 s3, s9, s6
	s_mov_b32 s9, 0
	s_xor_b32 s3, s3, s7
	s_abs_i32 s8, s2
	s_sub_co_i32 s12, s3, s7
	s_mov_b32 s7, s9
	s_abs_i32 s19, s12
	s_mov_b32 s37, s9
	s_cvt_f32_u32 s3, s19
	s_sub_co_i32 s6, 0, s19
	s_delay_alu instid0(SALU_CYCLE_2) | instskip(SKIP_1) | instid1(TRANS32_DEP_1)
	v_rcp_iflag_f32_e32 v0, s3
	v_nop
	v_readfirstlane_b32 s3, v0
	s_mul_f32 s3, s3, 0x4f7ffffe
	s_delay_alu instid0(SALU_CYCLE_3) | instskip(NEXT) | instid1(SALU_CYCLE_3)
	s_cvt_u32_f32 s3, s3
	s_mul_i32 s6, s6, s3
	s_delay_alu instid0(SALU_CYCLE_1) | instskip(NEXT) | instid1(SALU_CYCLE_1)
	s_mul_hi_u32 s6, s3, s6
	s_add_co_i32 s6, s3, s6
	s_wait_kmcnt 0x0
	s_cmp_eq_u64 s[10:11], 0
	s_cbranch_scc1 .LBB182_2
; %bb.1:
	s_ashr_i32 s3, s2, 31
	s_delay_alu instid0(SALU_CYCLE_1) | instskip(NEXT) | instid1(SALU_CYCLE_1)
	s_lshl_b64 s[14:15], s[2:3], 2
	s_add_nc_u64 s[10:11], s[10:11], s[14:15]
	s_load_b32 s37, s[10:11], 0x0
.LBB182_2:
	s_load_b32 s34, s[4:5], s33 offset:0x0 scale_offset
	s_load_b96 s[16:18], s[0:1], 0x48
	v_dual_lshlrev_b32 v25, 2, v24 :: v_dual_bitop2_b32 v1, 1, v24 bitop3:0x40
	s_wait_xcnt 0x0
	s_mul_u64 s[4:5], s[8:9], s[6:7]
	s_ashr_i32 s3, s2, 31
	s_ashr_i32 s10, s12, 31
	s_mul_i32 s6, s2, 0x50
	s_mov_b32 s4, exec_lo
	v_cmpx_gt_u32_e32 40, v24
	s_cbranch_execz .LBB182_4
; %bb.3:
	s_load_b64 s[12:13], s[0:1], 0x8
	s_wait_kmcnt 0x0
	s_mul_i32 s14, s16, s33
	s_ashr_i32 s7, s6, 31
	s_ashr_i32 s15, s14, 31
	v_and_b32_e32 v0, 0xff8, v25
	s_lshl_b64 s[14:15], s[14:15], 2
	s_delay_alu instid0(VALU_DEP_1) | instskip(SKIP_2) | instid1(SALU_CYCLE_1)
	v_mad_u32_u24 v0, 0xa0, v1, v0
	s_add_nc_u64 s[12:13], s[12:13], s[14:15]
	s_lshl_b64 s[14:15], s[6:7], 2
	s_add_nc_u64 s[12:13], s[12:13], s[14:15]
	global_load_b64 v[2:3], v24, s[12:13] scale_offset
	s_wait_loadcnt 0x0
	ds_store_b64 v0, v[2:3]
.LBB182_4:
	s_or_b32 exec_lo, exec_lo, s4
	s_load_b128 s[12:15], s[0:1], 0x68
	s_mul_i32 s4, s5, s19
	s_xor_b32 s3, s3, s10
	s_sub_co_i32 s4, s8, s4
	s_add_co_i32 s7, s5, 1
	s_sub_co_i32 s8, s4, s19
	s_cmp_ge_u32 s4, s19
	s_mov_b32 s9, -1
	s_cselect_b32 s5, s7, s5
	s_cselect_b32 s4, s8, s4
	s_add_co_i32 s8, s5, 1
	s_cmp_ge_u32 s4, s19
	s_load_b32 s7, s[0:1], 0x78
	s_cselect_b32 s4, s8, s5
	s_wait_kmcnt 0x0
	s_add_co_i32 s8, s34, -1
	s_xor_b32 s4, s4, s3
	s_wait_dscnt 0x0
	s_sub_co_i32 s3, s4, s3
	s_barrier_signal -1
	s_barrier_wait -1
	s_abs_i32 s16, s15
	s_delay_alu instid0(SALU_CYCLE_1) | instskip(NEXT) | instid1(SALU_CYCLE_3)
	s_cvt_f32_u32 s5, s16
                                        ; implicit-def: $sgpr35
	v_rcp_iflag_f32_e32 v0, s5
	v_nop
	s_delay_alu instid0(TRANS32_DEP_1) | instskip(SKIP_1) | instid1(SALU_CYCLE_3)
	v_readfirstlane_b32 s5, v0
	s_mul_f32 s4, s5, 0x4f7ffffe
	s_cvt_u32_f32 s10, s4
	s_sub_co_i32 s4, 0, s16
	s_delay_alu instid0(SALU_CYCLE_2)
	s_mul_i32 s5, s4, s10
	s_abs_i32 s4, s8
	s_mul_hi_u32 s11, s10, s5
	s_mov_b32 s5, 0
	s_add_co_i32 s20, s10, s11
	s_cmp_lt_i32 s7, 0
	s_mov_b32 s21, s5
	s_cbranch_scc0 .LBB182_6
; %bb.5:
	s_mul_i32 s9, s12, s26
	s_delay_alu instid0(SALU_CYCLE_1) | instskip(NEXT) | instid1(SALU_CYCLE_1)
	s_add_co_i32 s9, s3, s9
	s_mul_i32 s9, s9, s7
	s_delay_alu instid0(SALU_CYCLE_1)
	s_sub_co_i32 s35, 1, s9
	s_mov_b32 s9, s5
.LBB182_6:
	s_ashr_i32 s8, s8, 31
	s_ashr_i32 s15, s15, 31
	s_and_not1_b32 vcc_lo, exec_lo, s9
	s_mul_u64 s[28:29], s[4:5], s[20:21]
	s_cbranch_vccnz .LBB182_8
; %bb.7:
	s_mul_i32 s5, s31, s12
	s_delay_alu instid0(SALU_CYCLE_1) | instskip(NEXT) | instid1(SALU_CYCLE_1)
	s_add_co_i32 s2, s5, s2
	s_mul_i32 s2, s2, s7
	s_delay_alu instid0(SALU_CYCLE_1)
	s_add_co_i32 s35, s2, 1
.LBB182_8:
	s_clause 0x1
	s_load_b32 s2, s[0:1], 0x38
	s_load_b64 s[22:23], s[0:1], 0x28
	s_mul_i32 s7, s29, s16
	s_xor_b32 s5, s8, s15
	s_sub_co_i32 s4, s4, s7
	s_add_co_i32 s12, s29, 1
	s_clause 0x1
	s_load_b32 s7, s[0:1], 0x88
	s_load_b128 s[8:11], s[0:1], 0x58
	v_dual_lshrrev_b32 v59, 5, v24 :: v_dual_lshrrev_b32 v26, 3, v24
	v_mov_b32_e32 v3, 0xff7fffff
	s_mul_i32 s18, s3, s18
	s_delay_alu instid0(VALU_DEP_2)
	v_lshlrev_b32_e32 v42, 4, v59
	s_wait_kmcnt 0x0
	s_mul_i32 s24, s2, s33
	s_sub_co_i32 s2, s4, s16
	s_ashr_i32 s25, s24, 31
	s_cmp_ge_u32 s4, s16
	s_cselect_b32 s12, s12, s29
	s_cselect_b32 s2, s2, s4
	s_add_co_i32 s4, s12, 1
	s_cmp_ge_u32 s2, s16
	s_cselect_b32 s2, s4, s12
	s_add_co_i32 s4, s34, 15
	s_delay_alu instid0(SALU_CYCLE_1) | instskip(NEXT) | instid1(SALU_CYCLE_1)
	s_ashr_i32 s12, s4, 31
	s_lshr_b32 s12, s12, 28
	s_delay_alu instid0(SALU_CYCLE_1) | instskip(NEXT) | instid1(SALU_CYCLE_1)
	s_add_co_i32 s4, s4, s12
	s_ashr_i32 s26, s4, 4
	s_xor_b32 s4, s2, s5
	v_cmp_gt_i32_e64 s2, s26, v59
	s_sub_co_i32 s36, s4, s5
	s_and_saveexec_b32 s38, s2
	s_cbranch_execz .LBB182_340
; %bb.9:
	s_load_b64 s[4:5], s[0:1], 0x10
	s_sub_co_i32 s39, s36, s13
	s_ashr_i32 s19, s18, 31
	s_cmp_neq_f32 s37, 0
	v_bfe_u32 v3, v24, 1, 4
	v_dual_mov_b32 v47, 0 :: v_dual_lshlrev_b32 v0, 4, v59
	s_cselect_b32 vcc_lo, -1, 0
	s_abs_i32 s40, s14
	s_delay_alu instid0(VALU_DEP_2)
	v_dual_lshlrev_b32 v46, 4, v3 :: v_dual_lshlrev_b32 v5, 2, v3
	s_cvt_f32_u32 s12, s40
	s_clause 0x2
	scratch_store_b32 off, v25, off offset:44
	scratch_store_b32 off, v24, off offset:36
	;; [unrolled: 1-line block ×3, first 2 shown]
	v_rcp_iflag_f32_e32 v2, s12
	v_subrev_nc_u32_e32 v4, s34, v3
	s_lshl_b64 s[42:43], s[24:25], 2
	v_cmp_eq_u32_e64 s3, 0, v1
	v_mul_u32_u24_e32 v43, 0xa0, v1
	s_wait_kmcnt 0x0
	s_add_nc_u64 s[4:5], s[4:5], s[18:19]
	s_sub_co_i32 s19, 0, s40
	v_readfirstlane_b32 s12, v2
	s_wait_xcnt 0x0
	v_add_nc_u64_e32 v[2:3], s[4:5], v[46:47]
	v_lshlrev_b32_e32 v46, 1, v1
	v_lshl_or_b32 v1, v59, 6, v5
	s_add_nc_u64 s[4:5], s[22:23], s[42:43]
	s_mul_f32 s12, s12, 0x4f7ffffe
	s_mov_b32 s29, 0
	s_delay_alu instid0(VALU_DEP_3)
	v_add_nc_u64_e32 v[2:3], v[2:3], v[46:47]
	v_and_b32_e32 v46, 0x7c, v26
	s_cvt_u32_f32 s12, s12
	v_add_nc_u32_e32 v58, 0x160, v1
	v_mov_b32_e32 v1, 0xff7fffff
	s_mov_b32 s41, s29
	v_add_nc_u64_e32 v[50:51], s[4:5], v[46:47]
	s_mul_i32 s19, s19, s12
	s_clause 0x1
	scratch_store_b64 off, v[2:3], off offset:20
	scratch_store_b32 off, v26, off offset:48
	s_wait_xcnt 0x1
	v_add_nc_u32_e32 v2, 1, v4
	s_mul_hi_u32 s28, s12, s19
	s_mov_b32 s19, s17
	s_add_co_i32 s28, s12, s28
	s_clause 0x2
	scratch_store_b32 off, v2, off offset:32
	scratch_store_b32 off, v1, off offset:16
	;; [unrolled: 1-line block ×3, first 2 shown]
	s_branch .LBB182_12
.LBB182_10:                             ;   in Loop: Header=BB182_12 Depth=1
	s_wait_xcnt 0x0
	s_or_b32 exec_lo, exec_lo, s12
.LBB182_11:                             ;   in Loop: Header=BB182_12 Depth=1
	s_delay_alu instid0(SALU_CYCLE_1) | instskip(SKIP_3) | instid1(VALU_DEP_3)
	s_or_b32 exec_lo, exec_lo, s5
	v_dual_add_nc_u32 v59, 4, v59 :: v_dual_add_nc_u32 v0, 64, v0
	v_add_nc_u64_e32 v[50:51], 16, v[50:51]
	v_add_nc_u32_e32 v58, 0x100, v58
	v_cmp_le_i32_e64 s4, s26, v59
	s_or_b32 s41, s4, s41
	s_delay_alu instid0(SALU_CYCLE_1)
	s_and_not1_b32 exec_lo, exec_lo, s41
	s_cbranch_execz .LBB182_339
.LBB182_12:                             ; =>This Inner Loop Header: Depth=1
	s_wait_xcnt 0x1
	s_wait_dscnt 0x0
	v_mov_b32_e32 v1, v47
	s_delay_alu instid0(VALU_DEP_1) | instskip(NEXT) | instid1(VALU_DEP_1)
	v_mul_u64_e32 v[2:3], s[20:21], v[0:1]
	v_mul_lo_u32 v1, v3, s16
	s_delay_alu instid0(VALU_DEP_1) | instskip(NEXT) | instid1(VALU_DEP_1)
	v_dual_add_nc_u32 v2, 1, v3 :: v_dual_sub_nc_u32 v1, v0, v1
	v_cmp_le_u32_e64 s4, s16, v1
	s_delay_alu instid0(VALU_DEP_1) | instskip(SKIP_1) | instid1(VALU_DEP_1)
	v_cndmask_b32_e64 v2, v3, v2, s4
	v_subrev_nc_u32_e32 v4, s16, v1
	v_dual_add_nc_u32 v3, 1, v2 :: v_dual_cndmask_b32 v1, v1, v4, s4
	s_delay_alu instid0(VALU_DEP_1) | instskip(NEXT) | instid1(VALU_DEP_1)
	v_cmp_le_u32_e64 s4, s16, v1
	v_cndmask_b32_e64 v1, v2, v3, s4
	s_delay_alu instid0(VALU_DEP_1) | instskip(NEXT) | instid1(VALU_DEP_1)
	v_xor_b32_e32 v1, s15, v1
	v_subrev_nc_u32_e32 v1, s15, v1
	s_delay_alu instid0(VALU_DEP_1) | instskip(SKIP_1) | instid1(VALU_DEP_2)
	v_add_nc_u32_e32 v4, s35, v1
	v_cmp_ge_i32_e64 s5, s39, v1
	v_sub_nc_u32_e32 v2, 0, v4
	s_delay_alu instid0(VALU_DEP_1) | instskip(NEXT) | instid1(VALU_DEP_1)
	v_max_i32_e32 v46, v4, v2
	v_mul_u64_e32 v[2:3], s[28:29], v[46:47]
	s_delay_alu instid0(VALU_DEP_1) | instskip(NEXT) | instid1(VALU_DEP_1)
	v_mul_lo_u32 v2, v3, s40
	v_sub_nc_u32_e32 v2, v46, v2
	s_delay_alu instid0(VALU_DEP_1) | instskip(SKIP_1) | instid1(VALU_DEP_1)
	v_subrev_nc_u32_e32 v3, s40, v2
	v_cmp_le_u32_e64 s4, s40, v2
	v_dual_cndmask_b32 v2, v2, v3, s4 :: v_dual_ashrrev_i32 v4, 31, v4
	s_delay_alu instid0(VALU_DEP_1) | instskip(SKIP_1) | instid1(VALU_DEP_1)
	v_subrev_nc_u32_e32 v3, s40, v2
	v_cmp_le_u32_e64 s4, s40, v2
	v_cndmask_b32_e64 v2, v2, v3, s4
	s_delay_alu instid0(VALU_DEP_1) | instskip(NEXT) | instid1(VALU_DEP_1)
	v_xor_b32_e32 v2, v2, v4
	v_sub_nc_u32_e32 v2, v2, v4
	s_delay_alu instid0(VALU_DEP_1) | instskip(SKIP_3) | instid1(SALU_CYCLE_1)
	v_cmp_ne_u32_e64 s4, 0, v2
	s_and_b32 s4, s4, s5
	s_wait_xcnt 0x0
	s_and_saveexec_b32 s5, s4
	s_xor_b32 s4, exec_lo, s5
	s_cbranch_execz .LBB182_16
; %bb.13:                               ;   in Loop: Header=BB182_12 Depth=1
	s_and_saveexec_b32 s5, s3
; %bb.14:                               ;   in Loop: Header=BB182_12 Depth=1
	v_mov_b32_e32 v1, 0xff7fffff
	ds_store_b32 v58, v1
; %bb.15:                               ;   in Loop: Header=BB182_12 Depth=1
	s_or_b32 exec_lo, exec_lo, s5
.LBB182_16:                             ;   in Loop: Header=BB182_12 Depth=1
	s_and_not1_saveexec_b32 s5, s4
	s_cbranch_execz .LBB182_11
; %bb.17:                               ;   in Loop: Header=BB182_12 Depth=1
	global_load_b32 v1, v[50:51], off
	scratch_load_b64 v[2:3], off, off offset:20 ; 8-byte Folded Reload
	v_mov_b64_e32 v[52:53], 0
	v_mov_b64_e32 v[48:49], 0
	s_mov_b32 s42, exec_lo
	s_wait_loadcnt 0x0
	v_mad_nc_i64_i32 v[60:61], v1, s19, v[2:3]
	global_load_u16 v1, v[60:61], off
	ds_load_b128 v[38:41], v43
	ds_load_b128 v[34:37], v43 offset:16
	ds_load_b128 v[30:33], v43 offset:32
	;; [unrolled: 1-line block ×9, first 2 shown]
	s_load_b32 s12, s[8:9], 0x0
	scratch_store_b64 off, v[48:49], off    ; 8-byte Folded Spill
	s_wait_loadcnt 0x0
	v_and_b32_e32 v44, 0xff, v1
	v_and_b32_e32 v1, 0xffff, v1
	s_wait_xcnt 0x0
	s_delay_alu instid0(VALU_DEP_2)
	v_cmpx_ne_u16_e32 0, v44
	s_cbranch_execz .LBB182_25
; %bb.18:                               ;   in Loop: Header=BB182_12 Depth=1
	v_mov_b64_e32 v[48:49], 0x80000000
	v_and_b32_e32 v44, 0xff, v1
	s_mov_b32 s43, exec_lo
	scratch_store_b64 off, v[48:49], off    ; 8-byte Folded Spill
	s_wait_xcnt 0x0
	v_cmpx_ne_u16_e32 0x80, v44
	s_cbranch_execz .LBB182_24
; %bb.19:                               ;   in Loop: Header=BB182_12 Depth=1
	v_mov_b64_e32 v[48:49], 0x7f800001
	v_and_b32_e32 v45, 0x7f, v1
	s_mov_b32 s44, exec_lo
	scratch_store_b64 off, v[48:49], off    ; 8-byte Folded Spill
	s_wait_xcnt 0x0
	v_cmpx_ne_u32_e32 0x7f, v45
	s_cbranch_execz .LBB182_23
; %bb.20:                               ;   in Loop: Header=BB182_12 Depth=1
	v_and_b32_e32 v46, 7, v1
	v_lshrrev_b32_e32 v44, 3, v45
	s_mov_b32 s45, exec_lo
	v_cmpx_gt_u32_e32 8, v45
; %bb.21:                               ;   in Loop: Header=BB182_12 Depth=1
	s_delay_alu instid0(VALU_DEP_3) | instskip(NEXT) | instid1(VALU_DEP_1)
	v_clz_i32_u32_e32 v44, v46
	v_min_u32_e32 v44, 32, v44
	s_delay_alu instid0(VALU_DEP_1) | instskip(SKIP_1) | instid1(VALU_DEP_2)
	v_subrev_nc_u32_e32 v45, 28, v44
	v_sub_nc_u32_e32 v44, 29, v44
	v_lshlrev_b64_e32 v[48:49], v45, v[46:47]
	s_delay_alu instid0(VALU_DEP_1)
	v_and_b32_e32 v46, 7, v48
; %bb.22:                               ;   in Loop: Header=BB182_12 Depth=1
	s_or_b32 exec_lo, exec_lo, s45
	s_delay_alu instid0(VALU_DEP_1) | instskip(SKIP_1) | instid1(VALU_DEP_2)
	v_dual_lshlrev_b32 v45, 24, v1 :: v_dual_lshlrev_b32 v46, 20, v46
	v_lshl_add_u32 v44, v44, 23, 0x3c000000
	v_and_b32_e32 v45, 0x80000000, v45
	s_delay_alu instid0(VALU_DEP_1)
	v_or3_b32 v46, v46, v45, v44
	scratch_store_b64 off, v[46:47], off    ; 8-byte Folded Spill
.LBB182_23:                             ;   in Loop: Header=BB182_12 Depth=1
	s_wait_xcnt 0x0
	s_or_b32 exec_lo, exec_lo, s44
.LBB182_24:                             ;   in Loop: Header=BB182_12 Depth=1
	s_delay_alu instid0(SALU_CYCLE_1)
	s_or_b32 exec_lo, exec_lo, s43
.LBB182_25:                             ;   in Loop: Header=BB182_12 Depth=1
	s_delay_alu instid0(SALU_CYCLE_1) | instskip(SKIP_2) | instid1(VALU_DEP_1)
	s_or_b32 exec_lo, exec_lo, s42
	v_lshrrev_b16 v44, 8, v1
	s_mov_b32 s42, exec_lo
	v_cmpx_ne_u16_e32 0, v44
	s_cbranch_execz .LBB182_33
; %bb.26:                               ;   in Loop: Header=BB182_12 Depth=1
	v_mov_b64_e32 v[52:53], 0x8000000000000000
	s_mov_b32 s43, exec_lo
	v_cmpx_ne_u16_e32 0x80, v44
	s_cbranch_execz .LBB182_32
; %bb.27:                               ;   in Loop: Header=BB182_12 Depth=1
	v_and_b32_e32 v44, 0xffff, v44
	v_mov_b64_e32 v[52:53], 0x7f80000100000000
	s_mov_b32 s44, exec_lo
	s_delay_alu instid0(VALU_DEP_2) | instskip(NEXT) | instid1(VALU_DEP_1)
	v_and_b32_e32 v45, 0x7f, v44
	v_cmpx_ne_u32_e32 0x7f, v45
	s_cbranch_execz .LBB182_31
; %bb.28:                               ;   in Loop: Header=BB182_12 Depth=1
	v_dual_lshrrev_b32 v44, 3, v45 :: v_dual_bitop2_b32 v46, 7, v44 bitop3:0x40
	s_mov_b32 s45, exec_lo
	v_cmpx_gt_u32_e32 8, v45
; %bb.29:                               ;   in Loop: Header=BB182_12 Depth=1
	s_delay_alu instid0(VALU_DEP_2) | instskip(NEXT) | instid1(VALU_DEP_1)
	v_clz_i32_u32_e32 v44, v46
	v_min_u32_e32 v44, 32, v44
	s_delay_alu instid0(VALU_DEP_1) | instskip(SKIP_1) | instid1(VALU_DEP_2)
	v_subrev_nc_u32_e32 v45, 28, v44
	v_sub_nc_u32_e32 v44, 29, v44
	v_lshlrev_b64_e32 v[48:49], v45, v[46:47]
	s_delay_alu instid0(VALU_DEP_1)
	v_and_b32_e32 v46, 7, v48
; %bb.30:                               ;   in Loop: Header=BB182_12 Depth=1
	s_or_b32 exec_lo, exec_lo, s45
	s_delay_alu instid0(VALU_DEP_1) | instskip(SKIP_2) | instid1(VALU_DEP_3)
	v_dual_lshlrev_b32 v1, 16, v1 :: v_dual_lshlrev_b32 v45, 20, v46
	v_lshl_add_u32 v44, v44, 23, 0x3c000000
	v_mov_b32_e32 v52, v47
	v_and_b32_e32 v1, 0x80000000, v1
	s_delay_alu instid0(VALU_DEP_1)
	v_or3_b32 v53, v45, v1, v44
.LBB182_31:                             ;   in Loop: Header=BB182_12 Depth=1
	s_or_b32 exec_lo, exec_lo, s44
.LBB182_32:                             ;   in Loop: Header=BB182_12 Depth=1
	s_delay_alu instid0(SALU_CYCLE_1)
	s_or_b32 exec_lo, exec_lo, s43
.LBB182_33:                             ;   in Loop: Header=BB182_12 Depth=1
	s_delay_alu instid0(SALU_CYCLE_1)
	s_or_b32 exec_lo, exec_lo, s42
	global_load_u16 v1, v[60:61], off offset:4
	v_mov_b64_e32 v[56:57], 0
	v_mov_b64_e32 v[48:49], 0
	s_mov_b32 s42, exec_lo
	scratch_store_b64 off, v[48:49], off offset:8 ; 8-byte Folded Spill
	s_wait_loadcnt 0x0
	v_and_b32_e32 v44, 0xff, v1
	v_and_b32_e32 v1, 0xffff, v1
	s_wait_xcnt 0x0
	s_delay_alu instid0(VALU_DEP_2)
	v_cmpx_ne_u16_e32 0, v44
	s_cbranch_execz .LBB182_41
; %bb.34:                               ;   in Loop: Header=BB182_12 Depth=1
	v_mov_b64_e32 v[48:49], 0x80000000
	v_and_b32_e32 v44, 0xff, v1
	s_mov_b32 s43, exec_lo
	scratch_store_b64 off, v[48:49], off offset:8 ; 8-byte Folded Spill
	s_wait_xcnt 0x0
	v_cmpx_ne_u16_e32 0x80, v44
	s_cbranch_execz .LBB182_40
; %bb.35:                               ;   in Loop: Header=BB182_12 Depth=1
	v_mov_b64_e32 v[48:49], 0x7f800001
	v_and_b32_e32 v45, 0x7f, v1
	s_mov_b32 s44, exec_lo
	scratch_store_b64 off, v[48:49], off offset:8 ; 8-byte Folded Spill
	s_wait_xcnt 0x0
	v_cmpx_ne_u32_e32 0x7f, v45
	s_cbranch_execz .LBB182_39
; %bb.36:                               ;   in Loop: Header=BB182_12 Depth=1
	v_and_b32_e32 v46, 7, v1
	v_lshrrev_b32_e32 v44, 3, v45
	s_mov_b32 s45, exec_lo
	v_cmpx_gt_u32_e32 8, v45
; %bb.37:                               ;   in Loop: Header=BB182_12 Depth=1
	s_delay_alu instid0(VALU_DEP_3) | instskip(NEXT) | instid1(VALU_DEP_1)
	v_clz_i32_u32_e32 v44, v46
	v_min_u32_e32 v44, 32, v44
	s_delay_alu instid0(VALU_DEP_1) | instskip(SKIP_1) | instid1(VALU_DEP_2)
	v_subrev_nc_u32_e32 v45, 28, v44
	v_sub_nc_u32_e32 v44, 29, v44
	v_lshlrev_b64_e32 v[48:49], v45, v[46:47]
	s_delay_alu instid0(VALU_DEP_1)
	v_and_b32_e32 v46, 7, v48
; %bb.38:                               ;   in Loop: Header=BB182_12 Depth=1
	s_or_b32 exec_lo, exec_lo, s45
	s_delay_alu instid0(VALU_DEP_1) | instskip(SKIP_1) | instid1(VALU_DEP_2)
	v_dual_lshlrev_b32 v45, 24, v1 :: v_dual_lshlrev_b32 v46, 20, v46
	v_lshl_add_u32 v44, v44, 23, 0x3c000000
	v_and_b32_e32 v45, 0x80000000, v45
	s_delay_alu instid0(VALU_DEP_1)
	v_or3_b32 v46, v46, v45, v44
	scratch_store_b64 off, v[46:47], off offset:8 ; 8-byte Folded Spill
.LBB182_39:                             ;   in Loop: Header=BB182_12 Depth=1
	s_wait_xcnt 0x0
	s_or_b32 exec_lo, exec_lo, s44
.LBB182_40:                             ;   in Loop: Header=BB182_12 Depth=1
	s_delay_alu instid0(SALU_CYCLE_1)
	s_or_b32 exec_lo, exec_lo, s43
.LBB182_41:                             ;   in Loop: Header=BB182_12 Depth=1
	s_delay_alu instid0(SALU_CYCLE_1) | instskip(SKIP_2) | instid1(VALU_DEP_1)
	s_or_b32 exec_lo, exec_lo, s42
	v_lshrrev_b16 v44, 8, v1
	s_mov_b32 s42, exec_lo
	v_cmpx_ne_u16_e32 0, v44
	s_cbranch_execz .LBB182_49
; %bb.42:                               ;   in Loop: Header=BB182_12 Depth=1
	v_mov_b64_e32 v[56:57], 0x8000000000000000
	s_mov_b32 s43, exec_lo
	v_cmpx_ne_u16_e32 0x80, v44
	s_cbranch_execz .LBB182_48
; %bb.43:                               ;   in Loop: Header=BB182_12 Depth=1
	v_and_b32_e32 v44, 0xffff, v44
	v_mov_b64_e32 v[56:57], 0x7f80000100000000
	s_mov_b32 s44, exec_lo
	s_delay_alu instid0(VALU_DEP_2) | instskip(NEXT) | instid1(VALU_DEP_1)
	v_and_b32_e32 v45, 0x7f, v44
	v_cmpx_ne_u32_e32 0x7f, v45
	s_cbranch_execz .LBB182_47
; %bb.44:                               ;   in Loop: Header=BB182_12 Depth=1
	v_dual_lshrrev_b32 v44, 3, v45 :: v_dual_bitop2_b32 v46, 7, v44 bitop3:0x40
	s_mov_b32 s45, exec_lo
	v_cmpx_gt_u32_e32 8, v45
; %bb.45:                               ;   in Loop: Header=BB182_12 Depth=1
	s_delay_alu instid0(VALU_DEP_2) | instskip(NEXT) | instid1(VALU_DEP_1)
	v_clz_i32_u32_e32 v44, v46
	v_min_u32_e32 v44, 32, v44
	s_delay_alu instid0(VALU_DEP_1) | instskip(SKIP_1) | instid1(VALU_DEP_2)
	v_subrev_nc_u32_e32 v45, 28, v44
	v_sub_nc_u32_e32 v44, 29, v44
	v_lshlrev_b64_e32 v[48:49], v45, v[46:47]
	s_delay_alu instid0(VALU_DEP_1)
	v_and_b32_e32 v46, 7, v48
; %bb.46:                               ;   in Loop: Header=BB182_12 Depth=1
	s_or_b32 exec_lo, exec_lo, s45
	s_delay_alu instid0(VALU_DEP_1) | instskip(SKIP_2) | instid1(VALU_DEP_3)
	v_dual_lshlrev_b32 v1, 16, v1 :: v_dual_lshlrev_b32 v45, 20, v46
	v_lshl_add_u32 v44, v44, 23, 0x3c000000
	v_mov_b32_e32 v56, v47
	v_and_b32_e32 v1, 0x80000000, v1
	s_delay_alu instid0(VALU_DEP_1)
	v_or3_b32 v57, v45, v1, v44
.LBB182_47:                             ;   in Loop: Header=BB182_12 Depth=1
	s_or_b32 exec_lo, exec_lo, s44
.LBB182_48:                             ;   in Loop: Header=BB182_12 Depth=1
	s_delay_alu instid0(SALU_CYCLE_1)
	s_or_b32 exec_lo, exec_lo, s43
.LBB182_49:                             ;   in Loop: Header=BB182_12 Depth=1
	s_delay_alu instid0(SALU_CYCLE_1)
	s_or_b32 exec_lo, exec_lo, s42
	global_load_u16 v1, v[60:61], off offset:8
	v_mov_b64_e32 v[62:63], 0
	v_mov_b64_e32 v[64:65], 0
	s_mov_b32 s42, exec_lo
	s_wait_loadcnt 0x0
	v_and_b32_e32 v44, 0xff, v1
	v_and_b32_e32 v1, 0xffff, v1
	s_wait_xcnt 0x0
	s_delay_alu instid0(VALU_DEP_2)
	v_cmpx_ne_u16_e32 0, v44
	s_cbranch_execz .LBB182_57
; %bb.50:                               ;   in Loop: Header=BB182_12 Depth=1
	v_mov_b64_e32 v[64:65], 0x80000000
	v_and_b32_e32 v44, 0xff, v1
	s_mov_b32 s43, exec_lo
	s_delay_alu instid0(VALU_DEP_1)
	v_cmpx_ne_u16_e32 0x80, v44
	s_cbranch_execz .LBB182_56
; %bb.51:                               ;   in Loop: Header=BB182_12 Depth=1
	v_mov_b64_e32 v[64:65], 0x7f800001
	v_and_b32_e32 v45, 0x7f, v1
	s_mov_b32 s44, exec_lo
	s_delay_alu instid0(VALU_DEP_1)
	v_cmpx_ne_u32_e32 0x7f, v45
	s_cbranch_execz .LBB182_55
; %bb.52:                               ;   in Loop: Header=BB182_12 Depth=1
	v_and_b32_e32 v46, 7, v1
	v_lshrrev_b32_e32 v44, 3, v45
	s_mov_b32 s45, exec_lo
	v_cmpx_gt_u32_e32 8, v45
; %bb.53:                               ;   in Loop: Header=BB182_12 Depth=1
	s_delay_alu instid0(VALU_DEP_3) | instskip(NEXT) | instid1(VALU_DEP_1)
	v_clz_i32_u32_e32 v44, v46
	v_min_u32_e32 v44, 32, v44
	s_delay_alu instid0(VALU_DEP_1) | instskip(SKIP_1) | instid1(VALU_DEP_2)
	v_subrev_nc_u32_e32 v45, 28, v44
	v_sub_nc_u32_e32 v44, 29, v44
	v_lshlrev_b64_e32 v[48:49], v45, v[46:47]
	s_delay_alu instid0(VALU_DEP_1)
	v_and_b32_e32 v46, 7, v48
; %bb.54:                               ;   in Loop: Header=BB182_12 Depth=1
	s_or_b32 exec_lo, exec_lo, s45
	s_delay_alu instid0(VALU_DEP_1) | instskip(SKIP_1) | instid1(VALU_DEP_2)
	v_dual_lshlrev_b32 v45, 24, v1 :: v_dual_lshlrev_b32 v46, 20, v46
	v_lshl_add_u32 v44, v44, 23, 0x3c000000
	v_and_b32_e32 v45, 0x80000000, v45
	s_delay_alu instid0(VALU_DEP_1) | instskip(NEXT) | instid1(VALU_DEP_1)
	v_or3_b32 v46, v46, v45, v44
	v_mov_b64_e32 v[64:65], v[46:47]
.LBB182_55:                             ;   in Loop: Header=BB182_12 Depth=1
	s_or_b32 exec_lo, exec_lo, s44
.LBB182_56:                             ;   in Loop: Header=BB182_12 Depth=1
	s_delay_alu instid0(SALU_CYCLE_1)
	s_or_b32 exec_lo, exec_lo, s43
.LBB182_57:                             ;   in Loop: Header=BB182_12 Depth=1
	s_delay_alu instid0(SALU_CYCLE_1) | instskip(SKIP_2) | instid1(VALU_DEP_1)
	s_or_b32 exec_lo, exec_lo, s42
	v_lshrrev_b16 v44, 8, v1
	s_mov_b32 s42, exec_lo
	v_cmpx_ne_u16_e32 0, v44
	s_cbranch_execz .LBB182_65
; %bb.58:                               ;   in Loop: Header=BB182_12 Depth=1
	v_mov_b64_e32 v[62:63], 0x8000000000000000
	s_mov_b32 s43, exec_lo
	v_cmpx_ne_u16_e32 0x80, v44
	s_cbranch_execz .LBB182_64
; %bb.59:                               ;   in Loop: Header=BB182_12 Depth=1
	v_and_b32_e32 v44, 0xffff, v44
	v_mov_b64_e32 v[62:63], 0x7f80000100000000
	s_mov_b32 s44, exec_lo
	s_delay_alu instid0(VALU_DEP_2) | instskip(NEXT) | instid1(VALU_DEP_1)
	v_and_b32_e32 v45, 0x7f, v44
	v_cmpx_ne_u32_e32 0x7f, v45
	s_cbranch_execz .LBB182_63
; %bb.60:                               ;   in Loop: Header=BB182_12 Depth=1
	v_dual_lshrrev_b32 v44, 3, v45 :: v_dual_bitop2_b32 v46, 7, v44 bitop3:0x40
	s_mov_b32 s45, exec_lo
	v_cmpx_gt_u32_e32 8, v45
; %bb.61:                               ;   in Loop: Header=BB182_12 Depth=1
	s_delay_alu instid0(VALU_DEP_2) | instskip(NEXT) | instid1(VALU_DEP_1)
	v_clz_i32_u32_e32 v44, v46
	v_min_u32_e32 v44, 32, v44
	s_delay_alu instid0(VALU_DEP_1) | instskip(SKIP_1) | instid1(VALU_DEP_2)
	v_subrev_nc_u32_e32 v45, 28, v44
	v_sub_nc_u32_e32 v44, 29, v44
	v_lshlrev_b64_e32 v[48:49], v45, v[46:47]
	s_delay_alu instid0(VALU_DEP_1)
	v_and_b32_e32 v46, 7, v48
; %bb.62:                               ;   in Loop: Header=BB182_12 Depth=1
	s_or_b32 exec_lo, exec_lo, s45
	s_delay_alu instid0(VALU_DEP_1) | instskip(SKIP_2) | instid1(VALU_DEP_3)
	v_dual_lshlrev_b32 v1, 16, v1 :: v_dual_lshlrev_b32 v45, 20, v46
	v_lshl_add_u32 v44, v44, 23, 0x3c000000
	v_mov_b32_e32 v62, v47
	v_and_b32_e32 v1, 0x80000000, v1
	s_delay_alu instid0(VALU_DEP_1)
	v_or3_b32 v63, v45, v1, v44
.LBB182_63:                             ;   in Loop: Header=BB182_12 Depth=1
	s_or_b32 exec_lo, exec_lo, s44
.LBB182_64:                             ;   in Loop: Header=BB182_12 Depth=1
	s_delay_alu instid0(SALU_CYCLE_1)
	s_or_b32 exec_lo, exec_lo, s43
.LBB182_65:                             ;   in Loop: Header=BB182_12 Depth=1
	s_delay_alu instid0(SALU_CYCLE_1)
	s_or_b32 exec_lo, exec_lo, s42
	global_load_u16 v1, v[60:61], off offset:12
	v_mov_b64_e32 v[66:67], 0
	v_mov_b64_e32 v[68:69], 0
	s_mov_b32 s42, exec_lo
	s_wait_loadcnt 0x0
	v_and_b32_e32 v44, 0xff, v1
	v_and_b32_e32 v1, 0xffff, v1
	s_wait_xcnt 0x0
	s_delay_alu instid0(VALU_DEP_2)
	v_cmpx_ne_u16_e32 0, v44
	s_cbranch_execz .LBB182_73
; %bb.66:                               ;   in Loop: Header=BB182_12 Depth=1
	v_mov_b64_e32 v[68:69], 0x80000000
	v_and_b32_e32 v44, 0xff, v1
	s_mov_b32 s43, exec_lo
	s_delay_alu instid0(VALU_DEP_1)
	v_cmpx_ne_u16_e32 0x80, v44
	s_cbranch_execz .LBB182_72
; %bb.67:                               ;   in Loop: Header=BB182_12 Depth=1
	v_mov_b64_e32 v[68:69], 0x7f800001
	v_and_b32_e32 v45, 0x7f, v1
	s_mov_b32 s44, exec_lo
	s_delay_alu instid0(VALU_DEP_1)
	v_cmpx_ne_u32_e32 0x7f, v45
	s_cbranch_execz .LBB182_71
; %bb.68:                               ;   in Loop: Header=BB182_12 Depth=1
	v_and_b32_e32 v46, 7, v1
	v_lshrrev_b32_e32 v44, 3, v45
	s_mov_b32 s45, exec_lo
	v_cmpx_gt_u32_e32 8, v45
; %bb.69:                               ;   in Loop: Header=BB182_12 Depth=1
	s_delay_alu instid0(VALU_DEP_3) | instskip(NEXT) | instid1(VALU_DEP_1)
	v_clz_i32_u32_e32 v44, v46
	v_min_u32_e32 v44, 32, v44
	s_delay_alu instid0(VALU_DEP_1) | instskip(SKIP_1) | instid1(VALU_DEP_2)
	v_subrev_nc_u32_e32 v45, 28, v44
	v_sub_nc_u32_e32 v44, 29, v44
	v_lshlrev_b64_e32 v[48:49], v45, v[46:47]
	s_delay_alu instid0(VALU_DEP_1)
	v_and_b32_e32 v46, 7, v48
; %bb.70:                               ;   in Loop: Header=BB182_12 Depth=1
	s_or_b32 exec_lo, exec_lo, s45
	s_delay_alu instid0(VALU_DEP_1) | instskip(SKIP_1) | instid1(VALU_DEP_2)
	v_dual_lshlrev_b32 v45, 24, v1 :: v_dual_lshlrev_b32 v46, 20, v46
	v_lshl_add_u32 v44, v44, 23, 0x3c000000
	v_and_b32_e32 v45, 0x80000000, v45
	s_delay_alu instid0(VALU_DEP_1) | instskip(NEXT) | instid1(VALU_DEP_1)
	v_or3_b32 v46, v46, v45, v44
	v_mov_b64_e32 v[68:69], v[46:47]
.LBB182_71:                             ;   in Loop: Header=BB182_12 Depth=1
	s_or_b32 exec_lo, exec_lo, s44
.LBB182_72:                             ;   in Loop: Header=BB182_12 Depth=1
	s_delay_alu instid0(SALU_CYCLE_1)
	s_or_b32 exec_lo, exec_lo, s43
.LBB182_73:                             ;   in Loop: Header=BB182_12 Depth=1
	s_delay_alu instid0(SALU_CYCLE_1) | instskip(SKIP_2) | instid1(VALU_DEP_1)
	s_or_b32 exec_lo, exec_lo, s42
	v_lshrrev_b16 v44, 8, v1
	s_mov_b32 s42, exec_lo
	v_cmpx_ne_u16_e32 0, v44
	s_cbranch_execz .LBB182_81
; %bb.74:                               ;   in Loop: Header=BB182_12 Depth=1
	v_mov_b64_e32 v[66:67], 0x8000000000000000
	s_mov_b32 s43, exec_lo
	v_cmpx_ne_u16_e32 0x80, v44
	s_cbranch_execz .LBB182_80
; %bb.75:                               ;   in Loop: Header=BB182_12 Depth=1
	v_and_b32_e32 v44, 0xffff, v44
	v_mov_b64_e32 v[66:67], 0x7f80000100000000
	s_mov_b32 s44, exec_lo
	s_delay_alu instid0(VALU_DEP_2) | instskip(NEXT) | instid1(VALU_DEP_1)
	v_and_b32_e32 v45, 0x7f, v44
	v_cmpx_ne_u32_e32 0x7f, v45
	s_cbranch_execz .LBB182_79
; %bb.76:                               ;   in Loop: Header=BB182_12 Depth=1
	v_dual_lshrrev_b32 v44, 3, v45 :: v_dual_bitop2_b32 v46, 7, v44 bitop3:0x40
	s_mov_b32 s45, exec_lo
	v_cmpx_gt_u32_e32 8, v45
; %bb.77:                               ;   in Loop: Header=BB182_12 Depth=1
	s_delay_alu instid0(VALU_DEP_2) | instskip(NEXT) | instid1(VALU_DEP_1)
	v_clz_i32_u32_e32 v44, v46
	v_min_u32_e32 v44, 32, v44
	s_delay_alu instid0(VALU_DEP_1) | instskip(SKIP_1) | instid1(VALU_DEP_2)
	v_subrev_nc_u32_e32 v45, 28, v44
	v_sub_nc_u32_e32 v44, 29, v44
	v_lshlrev_b64_e32 v[48:49], v45, v[46:47]
	s_delay_alu instid0(VALU_DEP_1)
	v_and_b32_e32 v46, 7, v48
; %bb.78:                               ;   in Loop: Header=BB182_12 Depth=1
	s_or_b32 exec_lo, exec_lo, s45
	s_delay_alu instid0(VALU_DEP_1) | instskip(SKIP_2) | instid1(VALU_DEP_3)
	v_dual_lshlrev_b32 v1, 16, v1 :: v_dual_lshlrev_b32 v45, 20, v46
	v_lshl_add_u32 v44, v44, 23, 0x3c000000
	v_mov_b32_e32 v66, v47
	v_and_b32_e32 v1, 0x80000000, v1
	s_delay_alu instid0(VALU_DEP_1)
	v_or3_b32 v67, v45, v1, v44
.LBB182_79:                             ;   in Loop: Header=BB182_12 Depth=1
	s_or_b32 exec_lo, exec_lo, s44
.LBB182_80:                             ;   in Loop: Header=BB182_12 Depth=1
	s_delay_alu instid0(SALU_CYCLE_1)
	s_or_b32 exec_lo, exec_lo, s43
.LBB182_81:                             ;   in Loop: Header=BB182_12 Depth=1
	s_delay_alu instid0(SALU_CYCLE_1)
	s_or_b32 exec_lo, exec_lo, s42
	global_load_u16 v1, v[60:61], off offset:256
	v_mov_b64_e32 v[70:71], 0
	v_mov_b64_e32 v[72:73], 0
	s_mov_b32 s42, exec_lo
	s_wait_loadcnt 0x0
	v_and_b32_e32 v44, 0xff, v1
	v_and_b32_e32 v1, 0xffff, v1
	s_wait_xcnt 0x0
	s_delay_alu instid0(VALU_DEP_2)
	v_cmpx_ne_u16_e32 0, v44
	s_cbranch_execz .LBB182_89
; %bb.82:                               ;   in Loop: Header=BB182_12 Depth=1
	v_mov_b64_e32 v[72:73], 0x80000000
	v_and_b32_e32 v44, 0xff, v1
	s_mov_b32 s43, exec_lo
	s_delay_alu instid0(VALU_DEP_1)
	v_cmpx_ne_u16_e32 0x80, v44
	s_cbranch_execz .LBB182_88
; %bb.83:                               ;   in Loop: Header=BB182_12 Depth=1
	v_mov_b64_e32 v[72:73], 0x7f800001
	v_and_b32_e32 v45, 0x7f, v1
	s_mov_b32 s44, exec_lo
	s_delay_alu instid0(VALU_DEP_1)
	v_cmpx_ne_u32_e32 0x7f, v45
	s_cbranch_execz .LBB182_87
; %bb.84:                               ;   in Loop: Header=BB182_12 Depth=1
	v_and_b32_e32 v46, 7, v1
	v_lshrrev_b32_e32 v44, 3, v45
	s_mov_b32 s45, exec_lo
	v_cmpx_gt_u32_e32 8, v45
; %bb.85:                               ;   in Loop: Header=BB182_12 Depth=1
	s_delay_alu instid0(VALU_DEP_3) | instskip(NEXT) | instid1(VALU_DEP_1)
	v_clz_i32_u32_e32 v44, v46
	v_min_u32_e32 v44, 32, v44
	s_delay_alu instid0(VALU_DEP_1) | instskip(SKIP_1) | instid1(VALU_DEP_2)
	v_subrev_nc_u32_e32 v45, 28, v44
	v_sub_nc_u32_e32 v44, 29, v44
	v_lshlrev_b64_e32 v[48:49], v45, v[46:47]
	s_delay_alu instid0(VALU_DEP_1)
	v_and_b32_e32 v46, 7, v48
; %bb.86:                               ;   in Loop: Header=BB182_12 Depth=1
	s_or_b32 exec_lo, exec_lo, s45
	s_delay_alu instid0(VALU_DEP_1) | instskip(SKIP_1) | instid1(VALU_DEP_2)
	v_dual_lshlrev_b32 v45, 24, v1 :: v_dual_lshlrev_b32 v46, 20, v46
	v_lshl_add_u32 v44, v44, 23, 0x3c000000
	v_and_b32_e32 v45, 0x80000000, v45
	s_delay_alu instid0(VALU_DEP_1) | instskip(NEXT) | instid1(VALU_DEP_1)
	v_or3_b32 v46, v46, v45, v44
	v_mov_b64_e32 v[72:73], v[46:47]
.LBB182_87:                             ;   in Loop: Header=BB182_12 Depth=1
	s_or_b32 exec_lo, exec_lo, s44
.LBB182_88:                             ;   in Loop: Header=BB182_12 Depth=1
	s_delay_alu instid0(SALU_CYCLE_1)
	s_or_b32 exec_lo, exec_lo, s43
.LBB182_89:                             ;   in Loop: Header=BB182_12 Depth=1
	s_delay_alu instid0(SALU_CYCLE_1) | instskip(SKIP_2) | instid1(VALU_DEP_1)
	s_or_b32 exec_lo, exec_lo, s42
	v_lshrrev_b16 v44, 8, v1
	s_mov_b32 s42, exec_lo
	v_cmpx_ne_u16_e32 0, v44
	s_cbranch_execz .LBB182_97
; %bb.90:                               ;   in Loop: Header=BB182_12 Depth=1
	v_mov_b64_e32 v[70:71], 0x8000000000000000
	s_mov_b32 s43, exec_lo
	v_cmpx_ne_u16_e32 0x80, v44
	s_cbranch_execz .LBB182_96
; %bb.91:                               ;   in Loop: Header=BB182_12 Depth=1
	v_and_b32_e32 v44, 0xffff, v44
	v_mov_b64_e32 v[70:71], 0x7f80000100000000
	s_mov_b32 s44, exec_lo
	s_delay_alu instid0(VALU_DEP_2) | instskip(NEXT) | instid1(VALU_DEP_1)
	v_and_b32_e32 v45, 0x7f, v44
	v_cmpx_ne_u32_e32 0x7f, v45
	s_cbranch_execz .LBB182_95
; %bb.92:                               ;   in Loop: Header=BB182_12 Depth=1
	v_dual_lshrrev_b32 v44, 3, v45 :: v_dual_bitop2_b32 v46, 7, v44 bitop3:0x40
	s_mov_b32 s45, exec_lo
	v_cmpx_gt_u32_e32 8, v45
; %bb.93:                               ;   in Loop: Header=BB182_12 Depth=1
	s_delay_alu instid0(VALU_DEP_2) | instskip(NEXT) | instid1(VALU_DEP_1)
	v_clz_i32_u32_e32 v44, v46
	v_min_u32_e32 v44, 32, v44
	s_delay_alu instid0(VALU_DEP_1) | instskip(SKIP_1) | instid1(VALU_DEP_2)
	v_subrev_nc_u32_e32 v45, 28, v44
	v_sub_nc_u32_e32 v44, 29, v44
	v_lshlrev_b64_e32 v[48:49], v45, v[46:47]
	s_delay_alu instid0(VALU_DEP_1)
	v_and_b32_e32 v46, 7, v48
; %bb.94:                               ;   in Loop: Header=BB182_12 Depth=1
	s_or_b32 exec_lo, exec_lo, s45
	s_delay_alu instid0(VALU_DEP_1) | instskip(SKIP_2) | instid1(VALU_DEP_3)
	v_dual_lshlrev_b32 v1, 16, v1 :: v_dual_lshlrev_b32 v45, 20, v46
	v_lshl_add_u32 v44, v44, 23, 0x3c000000
	v_mov_b32_e32 v70, v47
	v_and_b32_e32 v1, 0x80000000, v1
	s_delay_alu instid0(VALU_DEP_1)
	v_or3_b32 v71, v45, v1, v44
.LBB182_95:                             ;   in Loop: Header=BB182_12 Depth=1
	s_or_b32 exec_lo, exec_lo, s44
.LBB182_96:                             ;   in Loop: Header=BB182_12 Depth=1
	s_delay_alu instid0(SALU_CYCLE_1)
	s_or_b32 exec_lo, exec_lo, s43
.LBB182_97:                             ;   in Loop: Header=BB182_12 Depth=1
	s_delay_alu instid0(SALU_CYCLE_1)
	s_or_b32 exec_lo, exec_lo, s42
	global_load_u16 v1, v[60:61], off offset:260
	v_mov_b64_e32 v[74:75], 0
	v_mov_b64_e32 v[76:77], 0
	s_mov_b32 s42, exec_lo
	s_wait_loadcnt 0x0
	v_and_b32_e32 v44, 0xff, v1
	v_and_b32_e32 v1, 0xffff, v1
	s_wait_xcnt 0x0
	s_delay_alu instid0(VALU_DEP_2)
	v_cmpx_ne_u16_e32 0, v44
	s_cbranch_execz .LBB182_105
; %bb.98:                               ;   in Loop: Header=BB182_12 Depth=1
	v_mov_b64_e32 v[76:77], 0x80000000
	v_and_b32_e32 v44, 0xff, v1
	s_mov_b32 s43, exec_lo
	s_delay_alu instid0(VALU_DEP_1)
	v_cmpx_ne_u16_e32 0x80, v44
	s_cbranch_execz .LBB182_104
; %bb.99:                               ;   in Loop: Header=BB182_12 Depth=1
	v_mov_b64_e32 v[76:77], 0x7f800001
	v_and_b32_e32 v45, 0x7f, v1
	s_mov_b32 s44, exec_lo
	s_delay_alu instid0(VALU_DEP_1)
	v_cmpx_ne_u32_e32 0x7f, v45
	s_cbranch_execz .LBB182_103
; %bb.100:                              ;   in Loop: Header=BB182_12 Depth=1
	v_and_b32_e32 v46, 7, v1
	v_lshrrev_b32_e32 v44, 3, v45
	s_mov_b32 s45, exec_lo
	v_cmpx_gt_u32_e32 8, v45
; %bb.101:                              ;   in Loop: Header=BB182_12 Depth=1
	s_delay_alu instid0(VALU_DEP_3) | instskip(NEXT) | instid1(VALU_DEP_1)
	v_clz_i32_u32_e32 v44, v46
	v_min_u32_e32 v44, 32, v44
	s_delay_alu instid0(VALU_DEP_1) | instskip(SKIP_1) | instid1(VALU_DEP_2)
	v_subrev_nc_u32_e32 v45, 28, v44
	v_sub_nc_u32_e32 v44, 29, v44
	v_lshlrev_b64_e32 v[48:49], v45, v[46:47]
	s_delay_alu instid0(VALU_DEP_1)
	v_and_b32_e32 v46, 7, v48
; %bb.102:                              ;   in Loop: Header=BB182_12 Depth=1
	s_or_b32 exec_lo, exec_lo, s45
	s_delay_alu instid0(VALU_DEP_1) | instskip(SKIP_1) | instid1(VALU_DEP_2)
	v_dual_lshlrev_b32 v45, 24, v1 :: v_dual_lshlrev_b32 v46, 20, v46
	v_lshl_add_u32 v44, v44, 23, 0x3c000000
	v_and_b32_e32 v45, 0x80000000, v45
	s_delay_alu instid0(VALU_DEP_1) | instskip(NEXT) | instid1(VALU_DEP_1)
	v_or3_b32 v46, v46, v45, v44
	v_mov_b64_e32 v[76:77], v[46:47]
.LBB182_103:                            ;   in Loop: Header=BB182_12 Depth=1
	s_or_b32 exec_lo, exec_lo, s44
.LBB182_104:                            ;   in Loop: Header=BB182_12 Depth=1
	s_delay_alu instid0(SALU_CYCLE_1)
	s_or_b32 exec_lo, exec_lo, s43
.LBB182_105:                            ;   in Loop: Header=BB182_12 Depth=1
	s_delay_alu instid0(SALU_CYCLE_1) | instskip(SKIP_2) | instid1(VALU_DEP_1)
	s_or_b32 exec_lo, exec_lo, s42
	v_lshrrev_b16 v44, 8, v1
	s_mov_b32 s42, exec_lo
	v_cmpx_ne_u16_e32 0, v44
	s_cbranch_execz .LBB182_113
; %bb.106:                              ;   in Loop: Header=BB182_12 Depth=1
	v_mov_b64_e32 v[74:75], 0x8000000000000000
	s_mov_b32 s43, exec_lo
	v_cmpx_ne_u16_e32 0x80, v44
	s_cbranch_execz .LBB182_112
; %bb.107:                              ;   in Loop: Header=BB182_12 Depth=1
	v_and_b32_e32 v44, 0xffff, v44
	v_mov_b64_e32 v[74:75], 0x7f80000100000000
	s_mov_b32 s44, exec_lo
	s_delay_alu instid0(VALU_DEP_2) | instskip(NEXT) | instid1(VALU_DEP_1)
	v_and_b32_e32 v45, 0x7f, v44
	v_cmpx_ne_u32_e32 0x7f, v45
	s_cbranch_execz .LBB182_111
; %bb.108:                              ;   in Loop: Header=BB182_12 Depth=1
	v_dual_lshrrev_b32 v44, 3, v45 :: v_dual_bitop2_b32 v46, 7, v44 bitop3:0x40
	s_mov_b32 s45, exec_lo
	v_cmpx_gt_u32_e32 8, v45
; %bb.109:                              ;   in Loop: Header=BB182_12 Depth=1
	s_delay_alu instid0(VALU_DEP_2) | instskip(NEXT) | instid1(VALU_DEP_1)
	v_clz_i32_u32_e32 v44, v46
	v_min_u32_e32 v44, 32, v44
	s_delay_alu instid0(VALU_DEP_1) | instskip(SKIP_1) | instid1(VALU_DEP_2)
	v_subrev_nc_u32_e32 v45, 28, v44
	v_sub_nc_u32_e32 v44, 29, v44
	v_lshlrev_b64_e32 v[48:49], v45, v[46:47]
	s_delay_alu instid0(VALU_DEP_1)
	v_and_b32_e32 v46, 7, v48
; %bb.110:                              ;   in Loop: Header=BB182_12 Depth=1
	s_or_b32 exec_lo, exec_lo, s45
	s_delay_alu instid0(VALU_DEP_1) | instskip(SKIP_2) | instid1(VALU_DEP_3)
	v_dual_lshlrev_b32 v1, 16, v1 :: v_dual_lshlrev_b32 v45, 20, v46
	v_lshl_add_u32 v44, v44, 23, 0x3c000000
	v_mov_b32_e32 v74, v47
	v_and_b32_e32 v1, 0x80000000, v1
	s_delay_alu instid0(VALU_DEP_1)
	v_or3_b32 v75, v45, v1, v44
.LBB182_111:                            ;   in Loop: Header=BB182_12 Depth=1
	s_or_b32 exec_lo, exec_lo, s44
.LBB182_112:                            ;   in Loop: Header=BB182_12 Depth=1
	s_delay_alu instid0(SALU_CYCLE_1)
	s_or_b32 exec_lo, exec_lo, s43
.LBB182_113:                            ;   in Loop: Header=BB182_12 Depth=1
	s_delay_alu instid0(SALU_CYCLE_1)
	s_or_b32 exec_lo, exec_lo, s42
	global_load_u16 v1, v[60:61], off offset:264
	v_mov_b64_e32 v[78:79], 0
	v_mov_b64_e32 v[80:81], 0
	s_mov_b32 s42, exec_lo
	s_wait_loadcnt 0x0
	v_and_b32_e32 v44, 0xff, v1
	v_and_b32_e32 v1, 0xffff, v1
	s_wait_xcnt 0x0
	s_delay_alu instid0(VALU_DEP_2)
	v_cmpx_ne_u16_e32 0, v44
	s_cbranch_execz .LBB182_121
; %bb.114:                              ;   in Loop: Header=BB182_12 Depth=1
	v_mov_b64_e32 v[80:81], 0x80000000
	v_and_b32_e32 v44, 0xff, v1
	s_mov_b32 s43, exec_lo
	s_delay_alu instid0(VALU_DEP_1)
	v_cmpx_ne_u16_e32 0x80, v44
	s_cbranch_execz .LBB182_120
; %bb.115:                              ;   in Loop: Header=BB182_12 Depth=1
	v_mov_b64_e32 v[80:81], 0x7f800001
	v_and_b32_e32 v45, 0x7f, v1
	s_mov_b32 s44, exec_lo
	s_delay_alu instid0(VALU_DEP_1)
	v_cmpx_ne_u32_e32 0x7f, v45
	s_cbranch_execz .LBB182_119
; %bb.116:                              ;   in Loop: Header=BB182_12 Depth=1
	v_and_b32_e32 v46, 7, v1
	v_lshrrev_b32_e32 v44, 3, v45
	s_mov_b32 s45, exec_lo
	v_cmpx_gt_u32_e32 8, v45
; %bb.117:                              ;   in Loop: Header=BB182_12 Depth=1
	s_delay_alu instid0(VALU_DEP_3) | instskip(NEXT) | instid1(VALU_DEP_1)
	v_clz_i32_u32_e32 v44, v46
	v_min_u32_e32 v44, 32, v44
	s_delay_alu instid0(VALU_DEP_1) | instskip(SKIP_1) | instid1(VALU_DEP_2)
	v_subrev_nc_u32_e32 v45, 28, v44
	v_sub_nc_u32_e32 v44, 29, v44
	v_lshlrev_b64_e32 v[48:49], v45, v[46:47]
	s_delay_alu instid0(VALU_DEP_1)
	v_and_b32_e32 v46, 7, v48
; %bb.118:                              ;   in Loop: Header=BB182_12 Depth=1
	s_or_b32 exec_lo, exec_lo, s45
	s_delay_alu instid0(VALU_DEP_1) | instskip(SKIP_1) | instid1(VALU_DEP_2)
	v_dual_lshlrev_b32 v45, 24, v1 :: v_dual_lshlrev_b32 v46, 20, v46
	v_lshl_add_u32 v44, v44, 23, 0x3c000000
	v_and_b32_e32 v45, 0x80000000, v45
	s_delay_alu instid0(VALU_DEP_1) | instskip(NEXT) | instid1(VALU_DEP_1)
	v_or3_b32 v46, v46, v45, v44
	v_mov_b64_e32 v[80:81], v[46:47]
.LBB182_119:                            ;   in Loop: Header=BB182_12 Depth=1
	s_or_b32 exec_lo, exec_lo, s44
.LBB182_120:                            ;   in Loop: Header=BB182_12 Depth=1
	s_delay_alu instid0(SALU_CYCLE_1)
	s_or_b32 exec_lo, exec_lo, s43
.LBB182_121:                            ;   in Loop: Header=BB182_12 Depth=1
	s_delay_alu instid0(SALU_CYCLE_1) | instskip(SKIP_2) | instid1(VALU_DEP_1)
	s_or_b32 exec_lo, exec_lo, s42
	v_lshrrev_b16 v44, 8, v1
	s_mov_b32 s42, exec_lo
	v_cmpx_ne_u16_e32 0, v44
	s_cbranch_execz .LBB182_129
; %bb.122:                              ;   in Loop: Header=BB182_12 Depth=1
	v_mov_b64_e32 v[78:79], 0x8000000000000000
	s_mov_b32 s43, exec_lo
	v_cmpx_ne_u16_e32 0x80, v44
	s_cbranch_execz .LBB182_128
; %bb.123:                              ;   in Loop: Header=BB182_12 Depth=1
	v_and_b32_e32 v44, 0xffff, v44
	v_mov_b64_e32 v[78:79], 0x7f80000100000000
	s_mov_b32 s44, exec_lo
	s_delay_alu instid0(VALU_DEP_2) | instskip(NEXT) | instid1(VALU_DEP_1)
	v_and_b32_e32 v45, 0x7f, v44
	v_cmpx_ne_u32_e32 0x7f, v45
	s_cbranch_execz .LBB182_127
; %bb.124:                              ;   in Loop: Header=BB182_12 Depth=1
	v_dual_lshrrev_b32 v44, 3, v45 :: v_dual_bitop2_b32 v46, 7, v44 bitop3:0x40
	s_mov_b32 s45, exec_lo
	v_cmpx_gt_u32_e32 8, v45
; %bb.125:                              ;   in Loop: Header=BB182_12 Depth=1
	s_delay_alu instid0(VALU_DEP_2) | instskip(NEXT) | instid1(VALU_DEP_1)
	v_clz_i32_u32_e32 v44, v46
	v_min_u32_e32 v44, 32, v44
	s_delay_alu instid0(VALU_DEP_1) | instskip(SKIP_1) | instid1(VALU_DEP_2)
	v_subrev_nc_u32_e32 v45, 28, v44
	v_sub_nc_u32_e32 v44, 29, v44
	v_lshlrev_b64_e32 v[48:49], v45, v[46:47]
	s_delay_alu instid0(VALU_DEP_1)
	v_and_b32_e32 v46, 7, v48
; %bb.126:                              ;   in Loop: Header=BB182_12 Depth=1
	s_or_b32 exec_lo, exec_lo, s45
	s_delay_alu instid0(VALU_DEP_1) | instskip(SKIP_2) | instid1(VALU_DEP_3)
	v_dual_lshlrev_b32 v1, 16, v1 :: v_dual_lshlrev_b32 v45, 20, v46
	v_lshl_add_u32 v44, v44, 23, 0x3c000000
	v_mov_b32_e32 v78, v47
	v_and_b32_e32 v1, 0x80000000, v1
	s_delay_alu instid0(VALU_DEP_1)
	v_or3_b32 v79, v45, v1, v44
.LBB182_127:                            ;   in Loop: Header=BB182_12 Depth=1
	s_or_b32 exec_lo, exec_lo, s44
.LBB182_128:                            ;   in Loop: Header=BB182_12 Depth=1
	s_delay_alu instid0(SALU_CYCLE_1)
	s_or_b32 exec_lo, exec_lo, s43
.LBB182_129:                            ;   in Loop: Header=BB182_12 Depth=1
	s_delay_alu instid0(SALU_CYCLE_1)
	s_or_b32 exec_lo, exec_lo, s42
	global_load_u16 v1, v[60:61], off offset:268
	v_mov_b64_e32 v[82:83], 0
	v_mov_b64_e32 v[84:85], 0
	s_mov_b32 s42, exec_lo
	s_wait_loadcnt 0x0
	v_and_b32_e32 v44, 0xff, v1
	v_and_b32_e32 v1, 0xffff, v1
	s_wait_xcnt 0x0
	s_delay_alu instid0(VALU_DEP_2)
	v_cmpx_ne_u16_e32 0, v44
	s_cbranch_execz .LBB182_137
; %bb.130:                              ;   in Loop: Header=BB182_12 Depth=1
	v_mov_b64_e32 v[84:85], 0x80000000
	v_and_b32_e32 v44, 0xff, v1
	s_mov_b32 s43, exec_lo
	s_delay_alu instid0(VALU_DEP_1)
	v_cmpx_ne_u16_e32 0x80, v44
	s_cbranch_execz .LBB182_136
; %bb.131:                              ;   in Loop: Header=BB182_12 Depth=1
	v_mov_b64_e32 v[84:85], 0x7f800001
	v_and_b32_e32 v45, 0x7f, v1
	s_mov_b32 s44, exec_lo
	s_delay_alu instid0(VALU_DEP_1)
	v_cmpx_ne_u32_e32 0x7f, v45
	s_cbranch_execz .LBB182_135
; %bb.132:                              ;   in Loop: Header=BB182_12 Depth=1
	v_and_b32_e32 v46, 7, v1
	v_lshrrev_b32_e32 v44, 3, v45
	s_mov_b32 s45, exec_lo
	v_cmpx_gt_u32_e32 8, v45
; %bb.133:                              ;   in Loop: Header=BB182_12 Depth=1
	s_delay_alu instid0(VALU_DEP_3) | instskip(NEXT) | instid1(VALU_DEP_1)
	v_clz_i32_u32_e32 v44, v46
	v_min_u32_e32 v44, 32, v44
	s_delay_alu instid0(VALU_DEP_1) | instskip(SKIP_1) | instid1(VALU_DEP_2)
	v_subrev_nc_u32_e32 v45, 28, v44
	v_sub_nc_u32_e32 v44, 29, v44
	v_lshlrev_b64_e32 v[48:49], v45, v[46:47]
	s_delay_alu instid0(VALU_DEP_1)
	v_and_b32_e32 v46, 7, v48
; %bb.134:                              ;   in Loop: Header=BB182_12 Depth=1
	s_or_b32 exec_lo, exec_lo, s45
	s_delay_alu instid0(VALU_DEP_1) | instskip(SKIP_1) | instid1(VALU_DEP_2)
	v_dual_lshlrev_b32 v45, 24, v1 :: v_dual_lshlrev_b32 v46, 20, v46
	v_lshl_add_u32 v44, v44, 23, 0x3c000000
	v_and_b32_e32 v45, 0x80000000, v45
	s_delay_alu instid0(VALU_DEP_1) | instskip(NEXT) | instid1(VALU_DEP_1)
	v_or3_b32 v46, v46, v45, v44
	v_mov_b64_e32 v[84:85], v[46:47]
.LBB182_135:                            ;   in Loop: Header=BB182_12 Depth=1
	s_or_b32 exec_lo, exec_lo, s44
.LBB182_136:                            ;   in Loop: Header=BB182_12 Depth=1
	s_delay_alu instid0(SALU_CYCLE_1)
	s_or_b32 exec_lo, exec_lo, s43
.LBB182_137:                            ;   in Loop: Header=BB182_12 Depth=1
	s_delay_alu instid0(SALU_CYCLE_1) | instskip(SKIP_2) | instid1(VALU_DEP_1)
	s_or_b32 exec_lo, exec_lo, s42
	v_lshrrev_b16 v44, 8, v1
	s_mov_b32 s42, exec_lo
	v_cmpx_ne_u16_e32 0, v44
	s_cbranch_execz .LBB182_145
; %bb.138:                              ;   in Loop: Header=BB182_12 Depth=1
	v_mov_b64_e32 v[82:83], 0x8000000000000000
	s_mov_b32 s43, exec_lo
	v_cmpx_ne_u16_e32 0x80, v44
	s_cbranch_execz .LBB182_144
; %bb.139:                              ;   in Loop: Header=BB182_12 Depth=1
	v_and_b32_e32 v44, 0xffff, v44
	v_mov_b64_e32 v[82:83], 0x7f80000100000000
	s_mov_b32 s44, exec_lo
	s_delay_alu instid0(VALU_DEP_2) | instskip(NEXT) | instid1(VALU_DEP_1)
	v_and_b32_e32 v45, 0x7f, v44
	v_cmpx_ne_u32_e32 0x7f, v45
	s_cbranch_execz .LBB182_143
; %bb.140:                              ;   in Loop: Header=BB182_12 Depth=1
	v_dual_lshrrev_b32 v44, 3, v45 :: v_dual_bitop2_b32 v46, 7, v44 bitop3:0x40
	s_mov_b32 s45, exec_lo
	v_cmpx_gt_u32_e32 8, v45
; %bb.141:                              ;   in Loop: Header=BB182_12 Depth=1
	s_delay_alu instid0(VALU_DEP_2) | instskip(NEXT) | instid1(VALU_DEP_1)
	v_clz_i32_u32_e32 v44, v46
	v_min_u32_e32 v44, 32, v44
	s_delay_alu instid0(VALU_DEP_1) | instskip(SKIP_1) | instid1(VALU_DEP_2)
	v_subrev_nc_u32_e32 v45, 28, v44
	v_sub_nc_u32_e32 v44, 29, v44
	v_lshlrev_b64_e32 v[48:49], v45, v[46:47]
	s_delay_alu instid0(VALU_DEP_1)
	v_and_b32_e32 v46, 7, v48
; %bb.142:                              ;   in Loop: Header=BB182_12 Depth=1
	s_or_b32 exec_lo, exec_lo, s45
	s_delay_alu instid0(VALU_DEP_1) | instskip(SKIP_2) | instid1(VALU_DEP_3)
	v_dual_lshlrev_b32 v1, 16, v1 :: v_dual_lshlrev_b32 v45, 20, v46
	v_lshl_add_u32 v44, v44, 23, 0x3c000000
	v_mov_b32_e32 v82, v47
	v_and_b32_e32 v1, 0x80000000, v1
	s_delay_alu instid0(VALU_DEP_1)
	v_or3_b32 v83, v45, v1, v44
.LBB182_143:                            ;   in Loop: Header=BB182_12 Depth=1
	s_or_b32 exec_lo, exec_lo, s44
.LBB182_144:                            ;   in Loop: Header=BB182_12 Depth=1
	s_delay_alu instid0(SALU_CYCLE_1)
	s_or_b32 exec_lo, exec_lo, s43
.LBB182_145:                            ;   in Loop: Header=BB182_12 Depth=1
	s_delay_alu instid0(SALU_CYCLE_1)
	s_or_b32 exec_lo, exec_lo, s42
	global_load_u16 v1, v[60:61], off offset:512
	v_mov_b64_e32 v[86:87], 0
	v_mov_b64_e32 v[88:89], 0
	s_mov_b32 s42, exec_lo
	s_wait_loadcnt 0x0
	v_and_b32_e32 v44, 0xff, v1
	v_and_b32_e32 v1, 0xffff, v1
	s_wait_xcnt 0x0
	s_delay_alu instid0(VALU_DEP_2)
	v_cmpx_ne_u16_e32 0, v44
	s_cbranch_execz .LBB182_153
; %bb.146:                              ;   in Loop: Header=BB182_12 Depth=1
	v_mov_b64_e32 v[88:89], 0x80000000
	v_and_b32_e32 v44, 0xff, v1
	s_mov_b32 s43, exec_lo
	s_delay_alu instid0(VALU_DEP_1)
	v_cmpx_ne_u16_e32 0x80, v44
	s_cbranch_execz .LBB182_152
; %bb.147:                              ;   in Loop: Header=BB182_12 Depth=1
	v_mov_b64_e32 v[88:89], 0x7f800001
	v_and_b32_e32 v45, 0x7f, v1
	s_mov_b32 s44, exec_lo
	s_delay_alu instid0(VALU_DEP_1)
	v_cmpx_ne_u32_e32 0x7f, v45
	s_cbranch_execz .LBB182_151
; %bb.148:                              ;   in Loop: Header=BB182_12 Depth=1
	v_and_b32_e32 v46, 7, v1
	v_lshrrev_b32_e32 v44, 3, v45
	s_mov_b32 s45, exec_lo
	v_cmpx_gt_u32_e32 8, v45
; %bb.149:                              ;   in Loop: Header=BB182_12 Depth=1
	s_delay_alu instid0(VALU_DEP_3) | instskip(NEXT) | instid1(VALU_DEP_1)
	v_clz_i32_u32_e32 v44, v46
	v_min_u32_e32 v44, 32, v44
	s_delay_alu instid0(VALU_DEP_1) | instskip(SKIP_1) | instid1(VALU_DEP_2)
	v_subrev_nc_u32_e32 v45, 28, v44
	v_sub_nc_u32_e32 v44, 29, v44
	v_lshlrev_b64_e32 v[48:49], v45, v[46:47]
	s_delay_alu instid0(VALU_DEP_1)
	v_and_b32_e32 v46, 7, v48
; %bb.150:                              ;   in Loop: Header=BB182_12 Depth=1
	s_or_b32 exec_lo, exec_lo, s45
	s_delay_alu instid0(VALU_DEP_1) | instskip(SKIP_1) | instid1(VALU_DEP_2)
	v_dual_lshlrev_b32 v45, 24, v1 :: v_dual_lshlrev_b32 v46, 20, v46
	v_lshl_add_u32 v44, v44, 23, 0x3c000000
	v_and_b32_e32 v45, 0x80000000, v45
	s_delay_alu instid0(VALU_DEP_1) | instskip(NEXT) | instid1(VALU_DEP_1)
	v_or3_b32 v46, v46, v45, v44
	v_mov_b64_e32 v[88:89], v[46:47]
.LBB182_151:                            ;   in Loop: Header=BB182_12 Depth=1
	s_or_b32 exec_lo, exec_lo, s44
.LBB182_152:                            ;   in Loop: Header=BB182_12 Depth=1
	s_delay_alu instid0(SALU_CYCLE_1)
	s_or_b32 exec_lo, exec_lo, s43
.LBB182_153:                            ;   in Loop: Header=BB182_12 Depth=1
	s_delay_alu instid0(SALU_CYCLE_1) | instskip(SKIP_2) | instid1(VALU_DEP_1)
	s_or_b32 exec_lo, exec_lo, s42
	v_lshrrev_b16 v44, 8, v1
	s_mov_b32 s42, exec_lo
	v_cmpx_ne_u16_e32 0, v44
	s_cbranch_execz .LBB182_161
; %bb.154:                              ;   in Loop: Header=BB182_12 Depth=1
	v_mov_b64_e32 v[86:87], 0x8000000000000000
	s_mov_b32 s43, exec_lo
	v_cmpx_ne_u16_e32 0x80, v44
	s_cbranch_execz .LBB182_160
; %bb.155:                              ;   in Loop: Header=BB182_12 Depth=1
	v_and_b32_e32 v44, 0xffff, v44
	v_mov_b64_e32 v[86:87], 0x7f80000100000000
	s_mov_b32 s44, exec_lo
	s_delay_alu instid0(VALU_DEP_2) | instskip(NEXT) | instid1(VALU_DEP_1)
	v_and_b32_e32 v45, 0x7f, v44
	v_cmpx_ne_u32_e32 0x7f, v45
	s_cbranch_execz .LBB182_159
; %bb.156:                              ;   in Loop: Header=BB182_12 Depth=1
	v_dual_lshrrev_b32 v44, 3, v45 :: v_dual_bitop2_b32 v46, 7, v44 bitop3:0x40
	s_mov_b32 s45, exec_lo
	v_cmpx_gt_u32_e32 8, v45
; %bb.157:                              ;   in Loop: Header=BB182_12 Depth=1
	s_delay_alu instid0(VALU_DEP_2) | instskip(NEXT) | instid1(VALU_DEP_1)
	v_clz_i32_u32_e32 v44, v46
	v_min_u32_e32 v44, 32, v44
	s_delay_alu instid0(VALU_DEP_1) | instskip(SKIP_1) | instid1(VALU_DEP_2)
	v_subrev_nc_u32_e32 v45, 28, v44
	v_sub_nc_u32_e32 v44, 29, v44
	v_lshlrev_b64_e32 v[48:49], v45, v[46:47]
	s_delay_alu instid0(VALU_DEP_1)
	v_and_b32_e32 v46, 7, v48
; %bb.158:                              ;   in Loop: Header=BB182_12 Depth=1
	s_or_b32 exec_lo, exec_lo, s45
	s_delay_alu instid0(VALU_DEP_1) | instskip(SKIP_2) | instid1(VALU_DEP_3)
	v_dual_lshlrev_b32 v1, 16, v1 :: v_dual_lshlrev_b32 v45, 20, v46
	v_lshl_add_u32 v44, v44, 23, 0x3c000000
	v_mov_b32_e32 v86, v47
	v_and_b32_e32 v1, 0x80000000, v1
	s_delay_alu instid0(VALU_DEP_1)
	v_or3_b32 v87, v45, v1, v44
.LBB182_159:                            ;   in Loop: Header=BB182_12 Depth=1
	s_or_b32 exec_lo, exec_lo, s44
.LBB182_160:                            ;   in Loop: Header=BB182_12 Depth=1
	s_delay_alu instid0(SALU_CYCLE_1)
	s_or_b32 exec_lo, exec_lo, s43
.LBB182_161:                            ;   in Loop: Header=BB182_12 Depth=1
	s_delay_alu instid0(SALU_CYCLE_1)
	s_or_b32 exec_lo, exec_lo, s42
	global_load_u16 v1, v[60:61], off offset:516
	v_mov_b64_e32 v[90:91], 0
	v_mov_b64_e32 v[92:93], 0
	s_mov_b32 s42, exec_lo
	s_wait_loadcnt 0x0
	v_and_b32_e32 v44, 0xff, v1
	v_and_b32_e32 v1, 0xffff, v1
	s_wait_xcnt 0x0
	s_delay_alu instid0(VALU_DEP_2)
	v_cmpx_ne_u16_e32 0, v44
	s_cbranch_execz .LBB182_169
; %bb.162:                              ;   in Loop: Header=BB182_12 Depth=1
	v_mov_b64_e32 v[92:93], 0x80000000
	v_and_b32_e32 v44, 0xff, v1
	s_mov_b32 s43, exec_lo
	s_delay_alu instid0(VALU_DEP_1)
	v_cmpx_ne_u16_e32 0x80, v44
	s_cbranch_execz .LBB182_168
; %bb.163:                              ;   in Loop: Header=BB182_12 Depth=1
	v_mov_b64_e32 v[92:93], 0x7f800001
	v_and_b32_e32 v45, 0x7f, v1
	s_mov_b32 s44, exec_lo
	s_delay_alu instid0(VALU_DEP_1)
	v_cmpx_ne_u32_e32 0x7f, v45
	s_cbranch_execz .LBB182_167
; %bb.164:                              ;   in Loop: Header=BB182_12 Depth=1
	v_and_b32_e32 v46, 7, v1
	v_lshrrev_b32_e32 v44, 3, v45
	s_mov_b32 s45, exec_lo
	v_cmpx_gt_u32_e32 8, v45
; %bb.165:                              ;   in Loop: Header=BB182_12 Depth=1
	s_delay_alu instid0(VALU_DEP_3) | instskip(NEXT) | instid1(VALU_DEP_1)
	v_clz_i32_u32_e32 v44, v46
	v_min_u32_e32 v44, 32, v44
	s_delay_alu instid0(VALU_DEP_1) | instskip(SKIP_1) | instid1(VALU_DEP_2)
	v_subrev_nc_u32_e32 v45, 28, v44
	v_sub_nc_u32_e32 v44, 29, v44
	v_lshlrev_b64_e32 v[48:49], v45, v[46:47]
	s_delay_alu instid0(VALU_DEP_1)
	v_and_b32_e32 v46, 7, v48
; %bb.166:                              ;   in Loop: Header=BB182_12 Depth=1
	s_or_b32 exec_lo, exec_lo, s45
	s_delay_alu instid0(VALU_DEP_1) | instskip(SKIP_1) | instid1(VALU_DEP_2)
	v_dual_lshlrev_b32 v45, 24, v1 :: v_dual_lshlrev_b32 v46, 20, v46
	v_lshl_add_u32 v44, v44, 23, 0x3c000000
	v_and_b32_e32 v45, 0x80000000, v45
	s_delay_alu instid0(VALU_DEP_1) | instskip(NEXT) | instid1(VALU_DEP_1)
	v_or3_b32 v46, v46, v45, v44
	v_mov_b64_e32 v[92:93], v[46:47]
.LBB182_167:                            ;   in Loop: Header=BB182_12 Depth=1
	s_or_b32 exec_lo, exec_lo, s44
.LBB182_168:                            ;   in Loop: Header=BB182_12 Depth=1
	s_delay_alu instid0(SALU_CYCLE_1)
	s_or_b32 exec_lo, exec_lo, s43
.LBB182_169:                            ;   in Loop: Header=BB182_12 Depth=1
	s_delay_alu instid0(SALU_CYCLE_1) | instskip(SKIP_2) | instid1(VALU_DEP_1)
	s_or_b32 exec_lo, exec_lo, s42
	v_lshrrev_b16 v44, 8, v1
	s_mov_b32 s42, exec_lo
	v_cmpx_ne_u16_e32 0, v44
	s_cbranch_execz .LBB182_177
; %bb.170:                              ;   in Loop: Header=BB182_12 Depth=1
	v_mov_b64_e32 v[90:91], 0x8000000000000000
	s_mov_b32 s43, exec_lo
	v_cmpx_ne_u16_e32 0x80, v44
	s_cbranch_execz .LBB182_176
; %bb.171:                              ;   in Loop: Header=BB182_12 Depth=1
	v_and_b32_e32 v44, 0xffff, v44
	v_mov_b64_e32 v[90:91], 0x7f80000100000000
	s_mov_b32 s44, exec_lo
	s_delay_alu instid0(VALU_DEP_2) | instskip(NEXT) | instid1(VALU_DEP_1)
	v_and_b32_e32 v45, 0x7f, v44
	v_cmpx_ne_u32_e32 0x7f, v45
	s_cbranch_execz .LBB182_175
; %bb.172:                              ;   in Loop: Header=BB182_12 Depth=1
	v_dual_lshrrev_b32 v44, 3, v45 :: v_dual_bitop2_b32 v46, 7, v44 bitop3:0x40
	s_mov_b32 s45, exec_lo
	v_cmpx_gt_u32_e32 8, v45
; %bb.173:                              ;   in Loop: Header=BB182_12 Depth=1
	s_delay_alu instid0(VALU_DEP_2) | instskip(NEXT) | instid1(VALU_DEP_1)
	v_clz_i32_u32_e32 v44, v46
	v_min_u32_e32 v44, 32, v44
	s_delay_alu instid0(VALU_DEP_1) | instskip(SKIP_1) | instid1(VALU_DEP_2)
	v_subrev_nc_u32_e32 v45, 28, v44
	v_sub_nc_u32_e32 v44, 29, v44
	v_lshlrev_b64_e32 v[48:49], v45, v[46:47]
	s_delay_alu instid0(VALU_DEP_1)
	v_and_b32_e32 v46, 7, v48
; %bb.174:                              ;   in Loop: Header=BB182_12 Depth=1
	s_or_b32 exec_lo, exec_lo, s45
	s_delay_alu instid0(VALU_DEP_1) | instskip(SKIP_2) | instid1(VALU_DEP_3)
	v_dual_lshlrev_b32 v1, 16, v1 :: v_dual_lshlrev_b32 v45, 20, v46
	v_lshl_add_u32 v44, v44, 23, 0x3c000000
	v_mov_b32_e32 v90, v47
	v_and_b32_e32 v1, 0x80000000, v1
	s_delay_alu instid0(VALU_DEP_1)
	v_or3_b32 v91, v45, v1, v44
.LBB182_175:                            ;   in Loop: Header=BB182_12 Depth=1
	s_or_b32 exec_lo, exec_lo, s44
.LBB182_176:                            ;   in Loop: Header=BB182_12 Depth=1
	s_delay_alu instid0(SALU_CYCLE_1)
	s_or_b32 exec_lo, exec_lo, s43
.LBB182_177:                            ;   in Loop: Header=BB182_12 Depth=1
	s_delay_alu instid0(SALU_CYCLE_1)
	s_or_b32 exec_lo, exec_lo, s42
	global_load_u16 v1, v[60:61], off offset:520
	v_mov_b64_e32 v[94:95], 0
	v_mov_b64_e32 v[96:97], 0
	s_mov_b32 s42, exec_lo
	s_wait_loadcnt 0x0
	v_and_b32_e32 v44, 0xff, v1
	v_and_b32_e32 v1, 0xffff, v1
	s_wait_xcnt 0x0
	s_delay_alu instid0(VALU_DEP_2)
	v_cmpx_ne_u16_e32 0, v44
	s_cbranch_execz .LBB182_185
; %bb.178:                              ;   in Loop: Header=BB182_12 Depth=1
	v_mov_b64_e32 v[96:97], 0x80000000
	v_and_b32_e32 v44, 0xff, v1
	s_mov_b32 s43, exec_lo
	s_delay_alu instid0(VALU_DEP_1)
	v_cmpx_ne_u16_e32 0x80, v44
	s_cbranch_execz .LBB182_184
; %bb.179:                              ;   in Loop: Header=BB182_12 Depth=1
	v_mov_b64_e32 v[96:97], 0x7f800001
	v_and_b32_e32 v45, 0x7f, v1
	s_mov_b32 s44, exec_lo
	s_delay_alu instid0(VALU_DEP_1)
	v_cmpx_ne_u32_e32 0x7f, v45
	s_cbranch_execz .LBB182_183
; %bb.180:                              ;   in Loop: Header=BB182_12 Depth=1
	v_and_b32_e32 v46, 7, v1
	v_lshrrev_b32_e32 v44, 3, v45
	s_mov_b32 s45, exec_lo
	v_cmpx_gt_u32_e32 8, v45
; %bb.181:                              ;   in Loop: Header=BB182_12 Depth=1
	s_delay_alu instid0(VALU_DEP_3) | instskip(NEXT) | instid1(VALU_DEP_1)
	v_clz_i32_u32_e32 v44, v46
	v_min_u32_e32 v44, 32, v44
	s_delay_alu instid0(VALU_DEP_1) | instskip(SKIP_1) | instid1(VALU_DEP_2)
	v_subrev_nc_u32_e32 v45, 28, v44
	v_sub_nc_u32_e32 v44, 29, v44
	v_lshlrev_b64_e32 v[48:49], v45, v[46:47]
	s_delay_alu instid0(VALU_DEP_1)
	v_and_b32_e32 v46, 7, v48
; %bb.182:                              ;   in Loop: Header=BB182_12 Depth=1
	s_or_b32 exec_lo, exec_lo, s45
	s_delay_alu instid0(VALU_DEP_1) | instskip(SKIP_1) | instid1(VALU_DEP_2)
	v_dual_lshlrev_b32 v45, 24, v1 :: v_dual_lshlrev_b32 v46, 20, v46
	v_lshl_add_u32 v44, v44, 23, 0x3c000000
	v_and_b32_e32 v45, 0x80000000, v45
	s_delay_alu instid0(VALU_DEP_1) | instskip(NEXT) | instid1(VALU_DEP_1)
	v_or3_b32 v46, v46, v45, v44
	v_mov_b64_e32 v[96:97], v[46:47]
.LBB182_183:                            ;   in Loop: Header=BB182_12 Depth=1
	s_or_b32 exec_lo, exec_lo, s44
.LBB182_184:                            ;   in Loop: Header=BB182_12 Depth=1
	s_delay_alu instid0(SALU_CYCLE_1)
	s_or_b32 exec_lo, exec_lo, s43
.LBB182_185:                            ;   in Loop: Header=BB182_12 Depth=1
	s_delay_alu instid0(SALU_CYCLE_1) | instskip(SKIP_2) | instid1(VALU_DEP_1)
	s_or_b32 exec_lo, exec_lo, s42
	v_lshrrev_b16 v44, 8, v1
	s_mov_b32 s42, exec_lo
	v_cmpx_ne_u16_e32 0, v44
	s_cbranch_execz .LBB182_193
; %bb.186:                              ;   in Loop: Header=BB182_12 Depth=1
	v_mov_b64_e32 v[94:95], 0x8000000000000000
	s_mov_b32 s43, exec_lo
	v_cmpx_ne_u16_e32 0x80, v44
	s_cbranch_execz .LBB182_192
; %bb.187:                              ;   in Loop: Header=BB182_12 Depth=1
	v_and_b32_e32 v44, 0xffff, v44
	v_mov_b64_e32 v[94:95], 0x7f80000100000000
	s_mov_b32 s44, exec_lo
	s_delay_alu instid0(VALU_DEP_2) | instskip(NEXT) | instid1(VALU_DEP_1)
	v_and_b32_e32 v45, 0x7f, v44
	v_cmpx_ne_u32_e32 0x7f, v45
	s_cbranch_execz .LBB182_191
; %bb.188:                              ;   in Loop: Header=BB182_12 Depth=1
	v_dual_lshrrev_b32 v44, 3, v45 :: v_dual_bitop2_b32 v46, 7, v44 bitop3:0x40
	s_mov_b32 s45, exec_lo
	v_cmpx_gt_u32_e32 8, v45
; %bb.189:                              ;   in Loop: Header=BB182_12 Depth=1
	s_delay_alu instid0(VALU_DEP_2) | instskip(NEXT) | instid1(VALU_DEP_1)
	v_clz_i32_u32_e32 v44, v46
	v_min_u32_e32 v44, 32, v44
	s_delay_alu instid0(VALU_DEP_1) | instskip(SKIP_1) | instid1(VALU_DEP_2)
	v_subrev_nc_u32_e32 v45, 28, v44
	v_sub_nc_u32_e32 v44, 29, v44
	v_lshlrev_b64_e32 v[48:49], v45, v[46:47]
	s_delay_alu instid0(VALU_DEP_1)
	v_and_b32_e32 v46, 7, v48
; %bb.190:                              ;   in Loop: Header=BB182_12 Depth=1
	s_or_b32 exec_lo, exec_lo, s45
	s_delay_alu instid0(VALU_DEP_1) | instskip(SKIP_2) | instid1(VALU_DEP_3)
	v_dual_lshlrev_b32 v1, 16, v1 :: v_dual_lshlrev_b32 v45, 20, v46
	v_lshl_add_u32 v44, v44, 23, 0x3c000000
	v_mov_b32_e32 v94, v47
	v_and_b32_e32 v1, 0x80000000, v1
	s_delay_alu instid0(VALU_DEP_1)
	v_or3_b32 v95, v45, v1, v44
.LBB182_191:                            ;   in Loop: Header=BB182_12 Depth=1
	s_or_b32 exec_lo, exec_lo, s44
.LBB182_192:                            ;   in Loop: Header=BB182_12 Depth=1
	s_delay_alu instid0(SALU_CYCLE_1)
	s_or_b32 exec_lo, exec_lo, s43
.LBB182_193:                            ;   in Loop: Header=BB182_12 Depth=1
	s_delay_alu instid0(SALU_CYCLE_1)
	s_or_b32 exec_lo, exec_lo, s42
	global_load_u16 v1, v[60:61], off offset:524
	v_mov_b64_e32 v[98:99], 0
	v_mov_b64_e32 v[100:101], 0
	s_mov_b32 s42, exec_lo
	s_wait_loadcnt 0x0
	v_and_b32_e32 v44, 0xff, v1
	v_and_b32_e32 v1, 0xffff, v1
	s_wait_xcnt 0x0
	s_delay_alu instid0(VALU_DEP_2)
	v_cmpx_ne_u16_e32 0, v44
	s_cbranch_execz .LBB182_201
; %bb.194:                              ;   in Loop: Header=BB182_12 Depth=1
	v_mov_b64_e32 v[100:101], 0x80000000
	v_and_b32_e32 v44, 0xff, v1
	s_mov_b32 s43, exec_lo
	s_delay_alu instid0(VALU_DEP_1)
	v_cmpx_ne_u16_e32 0x80, v44
	s_cbranch_execz .LBB182_200
; %bb.195:                              ;   in Loop: Header=BB182_12 Depth=1
	v_mov_b64_e32 v[100:101], 0x7f800001
	v_and_b32_e32 v45, 0x7f, v1
	s_mov_b32 s44, exec_lo
	s_delay_alu instid0(VALU_DEP_1)
	v_cmpx_ne_u32_e32 0x7f, v45
	s_cbranch_execz .LBB182_199
; %bb.196:                              ;   in Loop: Header=BB182_12 Depth=1
	v_and_b32_e32 v46, 7, v1
	v_lshrrev_b32_e32 v44, 3, v45
	s_mov_b32 s45, exec_lo
	v_cmpx_gt_u32_e32 8, v45
; %bb.197:                              ;   in Loop: Header=BB182_12 Depth=1
	s_delay_alu instid0(VALU_DEP_3) | instskip(NEXT) | instid1(VALU_DEP_1)
	v_clz_i32_u32_e32 v44, v46
	v_min_u32_e32 v44, 32, v44
	s_delay_alu instid0(VALU_DEP_1) | instskip(SKIP_1) | instid1(VALU_DEP_2)
	v_subrev_nc_u32_e32 v45, 28, v44
	v_sub_nc_u32_e32 v44, 29, v44
	v_lshlrev_b64_e32 v[48:49], v45, v[46:47]
	s_delay_alu instid0(VALU_DEP_1)
	v_and_b32_e32 v46, 7, v48
; %bb.198:                              ;   in Loop: Header=BB182_12 Depth=1
	s_or_b32 exec_lo, exec_lo, s45
	s_delay_alu instid0(VALU_DEP_1) | instskip(SKIP_1) | instid1(VALU_DEP_2)
	v_dual_lshlrev_b32 v45, 24, v1 :: v_dual_lshlrev_b32 v46, 20, v46
	v_lshl_add_u32 v44, v44, 23, 0x3c000000
	v_and_b32_e32 v45, 0x80000000, v45
	s_delay_alu instid0(VALU_DEP_1) | instskip(NEXT) | instid1(VALU_DEP_1)
	v_or3_b32 v46, v46, v45, v44
	v_mov_b64_e32 v[100:101], v[46:47]
.LBB182_199:                            ;   in Loop: Header=BB182_12 Depth=1
	s_or_b32 exec_lo, exec_lo, s44
.LBB182_200:                            ;   in Loop: Header=BB182_12 Depth=1
	s_delay_alu instid0(SALU_CYCLE_1)
	s_or_b32 exec_lo, exec_lo, s43
.LBB182_201:                            ;   in Loop: Header=BB182_12 Depth=1
	s_delay_alu instid0(SALU_CYCLE_1) | instskip(SKIP_2) | instid1(VALU_DEP_1)
	s_or_b32 exec_lo, exec_lo, s42
	v_lshrrev_b16 v44, 8, v1
	s_mov_b32 s42, exec_lo
	v_cmpx_ne_u16_e32 0, v44
	s_cbranch_execz .LBB182_209
; %bb.202:                              ;   in Loop: Header=BB182_12 Depth=1
	v_mov_b64_e32 v[98:99], 0x8000000000000000
	s_mov_b32 s43, exec_lo
	v_cmpx_ne_u16_e32 0x80, v44
	s_cbranch_execz .LBB182_208
; %bb.203:                              ;   in Loop: Header=BB182_12 Depth=1
	v_and_b32_e32 v44, 0xffff, v44
	v_mov_b64_e32 v[98:99], 0x7f80000100000000
	s_mov_b32 s44, exec_lo
	s_delay_alu instid0(VALU_DEP_2) | instskip(NEXT) | instid1(VALU_DEP_1)
	v_and_b32_e32 v45, 0x7f, v44
	v_cmpx_ne_u32_e32 0x7f, v45
	s_cbranch_execz .LBB182_207
; %bb.204:                              ;   in Loop: Header=BB182_12 Depth=1
	v_dual_lshrrev_b32 v44, 3, v45 :: v_dual_bitop2_b32 v46, 7, v44 bitop3:0x40
	s_mov_b32 s45, exec_lo
	v_cmpx_gt_u32_e32 8, v45
; %bb.205:                              ;   in Loop: Header=BB182_12 Depth=1
	s_delay_alu instid0(VALU_DEP_2) | instskip(NEXT) | instid1(VALU_DEP_1)
	v_clz_i32_u32_e32 v44, v46
	v_min_u32_e32 v44, 32, v44
	s_delay_alu instid0(VALU_DEP_1) | instskip(SKIP_1) | instid1(VALU_DEP_2)
	v_subrev_nc_u32_e32 v45, 28, v44
	v_sub_nc_u32_e32 v44, 29, v44
	v_lshlrev_b64_e32 v[48:49], v45, v[46:47]
	s_delay_alu instid0(VALU_DEP_1)
	v_and_b32_e32 v46, 7, v48
; %bb.206:                              ;   in Loop: Header=BB182_12 Depth=1
	s_or_b32 exec_lo, exec_lo, s45
	s_delay_alu instid0(VALU_DEP_1) | instskip(SKIP_2) | instid1(VALU_DEP_3)
	v_dual_lshlrev_b32 v1, 16, v1 :: v_dual_lshlrev_b32 v45, 20, v46
	v_lshl_add_u32 v44, v44, 23, 0x3c000000
	v_mov_b32_e32 v98, v47
	v_and_b32_e32 v1, 0x80000000, v1
	s_delay_alu instid0(VALU_DEP_1)
	v_or3_b32 v99, v45, v1, v44
.LBB182_207:                            ;   in Loop: Header=BB182_12 Depth=1
	s_or_b32 exec_lo, exec_lo, s44
.LBB182_208:                            ;   in Loop: Header=BB182_12 Depth=1
	s_delay_alu instid0(SALU_CYCLE_1)
	s_or_b32 exec_lo, exec_lo, s43
.LBB182_209:                            ;   in Loop: Header=BB182_12 Depth=1
	s_delay_alu instid0(SALU_CYCLE_1)
	s_or_b32 exec_lo, exec_lo, s42
	global_load_u16 v1, v[60:61], off offset:768
	v_mov_b64_e32 v[102:103], 0
	v_mov_b64_e32 v[104:105], 0
	s_mov_b32 s42, exec_lo
	s_wait_loadcnt 0x0
	v_and_b32_e32 v44, 0xff, v1
	v_and_b32_e32 v1, 0xffff, v1
	s_wait_xcnt 0x0
	s_delay_alu instid0(VALU_DEP_2)
	v_cmpx_ne_u16_e32 0, v44
	s_cbranch_execz .LBB182_217
; %bb.210:                              ;   in Loop: Header=BB182_12 Depth=1
	v_mov_b64_e32 v[104:105], 0x80000000
	v_and_b32_e32 v44, 0xff, v1
	s_mov_b32 s43, exec_lo
	s_delay_alu instid0(VALU_DEP_1)
	v_cmpx_ne_u16_e32 0x80, v44
	s_cbranch_execz .LBB182_216
; %bb.211:                              ;   in Loop: Header=BB182_12 Depth=1
	v_mov_b64_e32 v[104:105], 0x7f800001
	v_and_b32_e32 v45, 0x7f, v1
	s_mov_b32 s44, exec_lo
	s_delay_alu instid0(VALU_DEP_1)
	v_cmpx_ne_u32_e32 0x7f, v45
	s_cbranch_execz .LBB182_215
; %bb.212:                              ;   in Loop: Header=BB182_12 Depth=1
	v_and_b32_e32 v46, 7, v1
	v_lshrrev_b32_e32 v44, 3, v45
	s_mov_b32 s45, exec_lo
	v_cmpx_gt_u32_e32 8, v45
; %bb.213:                              ;   in Loop: Header=BB182_12 Depth=1
	s_delay_alu instid0(VALU_DEP_3) | instskip(NEXT) | instid1(VALU_DEP_1)
	v_clz_i32_u32_e32 v44, v46
	v_min_u32_e32 v44, 32, v44
	s_delay_alu instid0(VALU_DEP_1) | instskip(SKIP_1) | instid1(VALU_DEP_2)
	v_subrev_nc_u32_e32 v45, 28, v44
	v_sub_nc_u32_e32 v44, 29, v44
	v_lshlrev_b64_e32 v[48:49], v45, v[46:47]
	s_delay_alu instid0(VALU_DEP_1)
	v_and_b32_e32 v46, 7, v48
; %bb.214:                              ;   in Loop: Header=BB182_12 Depth=1
	s_or_b32 exec_lo, exec_lo, s45
	s_delay_alu instid0(VALU_DEP_1) | instskip(SKIP_1) | instid1(VALU_DEP_2)
	v_dual_lshlrev_b32 v45, 24, v1 :: v_dual_lshlrev_b32 v46, 20, v46
	v_lshl_add_u32 v44, v44, 23, 0x3c000000
	v_and_b32_e32 v45, 0x80000000, v45
	s_delay_alu instid0(VALU_DEP_1) | instskip(NEXT) | instid1(VALU_DEP_1)
	v_or3_b32 v46, v46, v45, v44
	v_mov_b64_e32 v[104:105], v[46:47]
.LBB182_215:                            ;   in Loop: Header=BB182_12 Depth=1
	s_or_b32 exec_lo, exec_lo, s44
.LBB182_216:                            ;   in Loop: Header=BB182_12 Depth=1
	s_delay_alu instid0(SALU_CYCLE_1)
	s_or_b32 exec_lo, exec_lo, s43
.LBB182_217:                            ;   in Loop: Header=BB182_12 Depth=1
	s_delay_alu instid0(SALU_CYCLE_1) | instskip(SKIP_2) | instid1(VALU_DEP_1)
	s_or_b32 exec_lo, exec_lo, s42
	v_lshrrev_b16 v44, 8, v1
	s_mov_b32 s42, exec_lo
	v_cmpx_ne_u16_e32 0, v44
	s_cbranch_execz .LBB182_225
; %bb.218:                              ;   in Loop: Header=BB182_12 Depth=1
	v_mov_b64_e32 v[102:103], 0x8000000000000000
	s_mov_b32 s43, exec_lo
	v_cmpx_ne_u16_e32 0x80, v44
	s_cbranch_execz .LBB182_224
; %bb.219:                              ;   in Loop: Header=BB182_12 Depth=1
	v_and_b32_e32 v44, 0xffff, v44
	v_mov_b64_e32 v[102:103], 0x7f80000100000000
	s_mov_b32 s44, exec_lo
	s_delay_alu instid0(VALU_DEP_2) | instskip(NEXT) | instid1(VALU_DEP_1)
	v_and_b32_e32 v45, 0x7f, v44
	v_cmpx_ne_u32_e32 0x7f, v45
	s_cbranch_execz .LBB182_223
; %bb.220:                              ;   in Loop: Header=BB182_12 Depth=1
	v_dual_lshrrev_b32 v44, 3, v45 :: v_dual_bitop2_b32 v46, 7, v44 bitop3:0x40
	s_mov_b32 s45, exec_lo
	v_cmpx_gt_u32_e32 8, v45
; %bb.221:                              ;   in Loop: Header=BB182_12 Depth=1
	s_delay_alu instid0(VALU_DEP_2) | instskip(NEXT) | instid1(VALU_DEP_1)
	v_clz_i32_u32_e32 v44, v46
	v_min_u32_e32 v44, 32, v44
	s_delay_alu instid0(VALU_DEP_1) | instskip(SKIP_1) | instid1(VALU_DEP_2)
	v_subrev_nc_u32_e32 v45, 28, v44
	v_sub_nc_u32_e32 v44, 29, v44
	v_lshlrev_b64_e32 v[48:49], v45, v[46:47]
	s_delay_alu instid0(VALU_DEP_1)
	v_and_b32_e32 v46, 7, v48
; %bb.222:                              ;   in Loop: Header=BB182_12 Depth=1
	s_or_b32 exec_lo, exec_lo, s45
	s_delay_alu instid0(VALU_DEP_1) | instskip(SKIP_2) | instid1(VALU_DEP_3)
	v_dual_lshlrev_b32 v1, 16, v1 :: v_dual_lshlrev_b32 v45, 20, v46
	v_lshl_add_u32 v44, v44, 23, 0x3c000000
	v_mov_b32_e32 v102, v47
	v_and_b32_e32 v1, 0x80000000, v1
	s_delay_alu instid0(VALU_DEP_1)
	v_or3_b32 v103, v45, v1, v44
.LBB182_223:                            ;   in Loop: Header=BB182_12 Depth=1
	s_or_b32 exec_lo, exec_lo, s44
.LBB182_224:                            ;   in Loop: Header=BB182_12 Depth=1
	s_delay_alu instid0(SALU_CYCLE_1)
	s_or_b32 exec_lo, exec_lo, s43
.LBB182_225:                            ;   in Loop: Header=BB182_12 Depth=1
	s_delay_alu instid0(SALU_CYCLE_1)
	s_or_b32 exec_lo, exec_lo, s42
	global_load_u16 v1, v[60:61], off offset:772
	v_mov_b64_e32 v[106:107], 0
	v_mov_b64_e32 v[108:109], 0
	s_mov_b32 s42, exec_lo
	s_wait_loadcnt 0x0
	v_and_b32_e32 v44, 0xff, v1
	v_and_b32_e32 v1, 0xffff, v1
	s_wait_xcnt 0x0
	s_delay_alu instid0(VALU_DEP_2)
	v_cmpx_ne_u16_e32 0, v44
	s_cbranch_execz .LBB182_233
; %bb.226:                              ;   in Loop: Header=BB182_12 Depth=1
	v_mov_b64_e32 v[108:109], 0x80000000
	v_and_b32_e32 v44, 0xff, v1
	s_mov_b32 s43, exec_lo
	s_delay_alu instid0(VALU_DEP_1)
	v_cmpx_ne_u16_e32 0x80, v44
	s_cbranch_execz .LBB182_232
; %bb.227:                              ;   in Loop: Header=BB182_12 Depth=1
	v_mov_b64_e32 v[108:109], 0x7f800001
	v_and_b32_e32 v45, 0x7f, v1
	s_mov_b32 s44, exec_lo
	s_delay_alu instid0(VALU_DEP_1)
	v_cmpx_ne_u32_e32 0x7f, v45
	s_cbranch_execz .LBB182_231
; %bb.228:                              ;   in Loop: Header=BB182_12 Depth=1
	v_and_b32_e32 v46, 7, v1
	v_lshrrev_b32_e32 v44, 3, v45
	s_mov_b32 s45, exec_lo
	v_cmpx_gt_u32_e32 8, v45
; %bb.229:                              ;   in Loop: Header=BB182_12 Depth=1
	s_delay_alu instid0(VALU_DEP_3) | instskip(NEXT) | instid1(VALU_DEP_1)
	v_clz_i32_u32_e32 v44, v46
	v_min_u32_e32 v44, 32, v44
	s_delay_alu instid0(VALU_DEP_1) | instskip(SKIP_1) | instid1(VALU_DEP_2)
	v_subrev_nc_u32_e32 v45, 28, v44
	v_sub_nc_u32_e32 v44, 29, v44
	v_lshlrev_b64_e32 v[48:49], v45, v[46:47]
	s_delay_alu instid0(VALU_DEP_1)
	v_and_b32_e32 v46, 7, v48
; %bb.230:                              ;   in Loop: Header=BB182_12 Depth=1
	s_or_b32 exec_lo, exec_lo, s45
	s_delay_alu instid0(VALU_DEP_1) | instskip(SKIP_1) | instid1(VALU_DEP_2)
	v_dual_lshlrev_b32 v45, 24, v1 :: v_dual_lshlrev_b32 v46, 20, v46
	v_lshl_add_u32 v44, v44, 23, 0x3c000000
	v_and_b32_e32 v45, 0x80000000, v45
	s_delay_alu instid0(VALU_DEP_1) | instskip(NEXT) | instid1(VALU_DEP_1)
	v_or3_b32 v46, v46, v45, v44
	v_mov_b64_e32 v[108:109], v[46:47]
.LBB182_231:                            ;   in Loop: Header=BB182_12 Depth=1
	s_or_b32 exec_lo, exec_lo, s44
.LBB182_232:                            ;   in Loop: Header=BB182_12 Depth=1
	s_delay_alu instid0(SALU_CYCLE_1)
	s_or_b32 exec_lo, exec_lo, s43
.LBB182_233:                            ;   in Loop: Header=BB182_12 Depth=1
	s_delay_alu instid0(SALU_CYCLE_1) | instskip(SKIP_2) | instid1(VALU_DEP_1)
	s_or_b32 exec_lo, exec_lo, s42
	v_lshrrev_b16 v44, 8, v1
	s_mov_b32 s42, exec_lo
	v_cmpx_ne_u16_e32 0, v44
	s_cbranch_execz .LBB182_241
; %bb.234:                              ;   in Loop: Header=BB182_12 Depth=1
	v_mov_b64_e32 v[106:107], 0x8000000000000000
	s_mov_b32 s43, exec_lo
	v_cmpx_ne_u16_e32 0x80, v44
	s_cbranch_execz .LBB182_240
; %bb.235:                              ;   in Loop: Header=BB182_12 Depth=1
	v_and_b32_e32 v44, 0xffff, v44
	v_mov_b64_e32 v[106:107], 0x7f80000100000000
	s_mov_b32 s44, exec_lo
	s_delay_alu instid0(VALU_DEP_2) | instskip(NEXT) | instid1(VALU_DEP_1)
	v_and_b32_e32 v45, 0x7f, v44
	v_cmpx_ne_u32_e32 0x7f, v45
	s_cbranch_execz .LBB182_239
; %bb.236:                              ;   in Loop: Header=BB182_12 Depth=1
	v_dual_lshrrev_b32 v44, 3, v45 :: v_dual_bitop2_b32 v46, 7, v44 bitop3:0x40
	s_mov_b32 s45, exec_lo
	v_cmpx_gt_u32_e32 8, v45
; %bb.237:                              ;   in Loop: Header=BB182_12 Depth=1
	s_delay_alu instid0(VALU_DEP_2) | instskip(NEXT) | instid1(VALU_DEP_1)
	v_clz_i32_u32_e32 v44, v46
	v_min_u32_e32 v44, 32, v44
	s_delay_alu instid0(VALU_DEP_1) | instskip(SKIP_1) | instid1(VALU_DEP_2)
	v_subrev_nc_u32_e32 v45, 28, v44
	v_sub_nc_u32_e32 v44, 29, v44
	v_lshlrev_b64_e32 v[48:49], v45, v[46:47]
	s_delay_alu instid0(VALU_DEP_1)
	v_and_b32_e32 v46, 7, v48
; %bb.238:                              ;   in Loop: Header=BB182_12 Depth=1
	s_or_b32 exec_lo, exec_lo, s45
	s_delay_alu instid0(VALU_DEP_1) | instskip(SKIP_2) | instid1(VALU_DEP_3)
	v_dual_lshlrev_b32 v1, 16, v1 :: v_dual_lshlrev_b32 v45, 20, v46
	v_lshl_add_u32 v44, v44, 23, 0x3c000000
	v_mov_b32_e32 v106, v47
	v_and_b32_e32 v1, 0x80000000, v1
	s_delay_alu instid0(VALU_DEP_1)
	v_or3_b32 v107, v45, v1, v44
.LBB182_239:                            ;   in Loop: Header=BB182_12 Depth=1
	s_or_b32 exec_lo, exec_lo, s44
.LBB182_240:                            ;   in Loop: Header=BB182_12 Depth=1
	s_delay_alu instid0(SALU_CYCLE_1)
	s_or_b32 exec_lo, exec_lo, s43
.LBB182_241:                            ;   in Loop: Header=BB182_12 Depth=1
	s_delay_alu instid0(SALU_CYCLE_1)
	s_or_b32 exec_lo, exec_lo, s42
	global_load_u16 v1, v[60:61], off offset:776
	v_mov_b64_e32 v[110:111], 0
	v_mov_b64_e32 v[112:113], 0
	s_mov_b32 s42, exec_lo
	s_wait_loadcnt 0x0
	v_and_b32_e32 v44, 0xff, v1
	v_and_b32_e32 v1, 0xffff, v1
	s_wait_xcnt 0x0
	s_delay_alu instid0(VALU_DEP_2)
	v_cmpx_ne_u16_e32 0, v44
	s_cbranch_execz .LBB182_249
; %bb.242:                              ;   in Loop: Header=BB182_12 Depth=1
	v_mov_b64_e32 v[112:113], 0x80000000
	v_and_b32_e32 v44, 0xff, v1
	s_mov_b32 s43, exec_lo
	s_delay_alu instid0(VALU_DEP_1)
	v_cmpx_ne_u16_e32 0x80, v44
	s_cbranch_execz .LBB182_248
; %bb.243:                              ;   in Loop: Header=BB182_12 Depth=1
	v_mov_b64_e32 v[112:113], 0x7f800001
	v_and_b32_e32 v45, 0x7f, v1
	s_mov_b32 s44, exec_lo
	s_delay_alu instid0(VALU_DEP_1)
	v_cmpx_ne_u32_e32 0x7f, v45
	s_cbranch_execz .LBB182_247
; %bb.244:                              ;   in Loop: Header=BB182_12 Depth=1
	v_and_b32_e32 v46, 7, v1
	v_lshrrev_b32_e32 v44, 3, v45
	s_mov_b32 s45, exec_lo
	v_cmpx_gt_u32_e32 8, v45
; %bb.245:                              ;   in Loop: Header=BB182_12 Depth=1
	s_delay_alu instid0(VALU_DEP_3) | instskip(NEXT) | instid1(VALU_DEP_1)
	v_clz_i32_u32_e32 v44, v46
	v_min_u32_e32 v44, 32, v44
	s_delay_alu instid0(VALU_DEP_1) | instskip(SKIP_1) | instid1(VALU_DEP_2)
	v_subrev_nc_u32_e32 v45, 28, v44
	v_sub_nc_u32_e32 v44, 29, v44
	v_lshlrev_b64_e32 v[48:49], v45, v[46:47]
	s_delay_alu instid0(VALU_DEP_1)
	v_and_b32_e32 v46, 7, v48
; %bb.246:                              ;   in Loop: Header=BB182_12 Depth=1
	s_or_b32 exec_lo, exec_lo, s45
	s_delay_alu instid0(VALU_DEP_1) | instskip(SKIP_1) | instid1(VALU_DEP_2)
	v_dual_lshlrev_b32 v45, 24, v1 :: v_dual_lshlrev_b32 v46, 20, v46
	v_lshl_add_u32 v44, v44, 23, 0x3c000000
	v_and_b32_e32 v45, 0x80000000, v45
	s_delay_alu instid0(VALU_DEP_1) | instskip(NEXT) | instid1(VALU_DEP_1)
	v_or3_b32 v46, v46, v45, v44
	v_mov_b64_e32 v[112:113], v[46:47]
.LBB182_247:                            ;   in Loop: Header=BB182_12 Depth=1
	s_or_b32 exec_lo, exec_lo, s44
.LBB182_248:                            ;   in Loop: Header=BB182_12 Depth=1
	s_delay_alu instid0(SALU_CYCLE_1)
	s_or_b32 exec_lo, exec_lo, s43
.LBB182_249:                            ;   in Loop: Header=BB182_12 Depth=1
	s_delay_alu instid0(SALU_CYCLE_1) | instskip(SKIP_2) | instid1(VALU_DEP_1)
	s_or_b32 exec_lo, exec_lo, s42
	v_lshrrev_b16 v44, 8, v1
	s_mov_b32 s42, exec_lo
	v_cmpx_ne_u16_e32 0, v44
	s_cbranch_execz .LBB182_257
; %bb.250:                              ;   in Loop: Header=BB182_12 Depth=1
	v_mov_b64_e32 v[110:111], 0x8000000000000000
	s_mov_b32 s43, exec_lo
	v_cmpx_ne_u16_e32 0x80, v44
	s_cbranch_execz .LBB182_256
; %bb.251:                              ;   in Loop: Header=BB182_12 Depth=1
	v_and_b32_e32 v44, 0xffff, v44
	v_mov_b64_e32 v[110:111], 0x7f80000100000000
	s_mov_b32 s44, exec_lo
	s_delay_alu instid0(VALU_DEP_2) | instskip(NEXT) | instid1(VALU_DEP_1)
	v_and_b32_e32 v45, 0x7f, v44
	v_cmpx_ne_u32_e32 0x7f, v45
	s_cbranch_execz .LBB182_255
; %bb.252:                              ;   in Loop: Header=BB182_12 Depth=1
	v_dual_lshrrev_b32 v44, 3, v45 :: v_dual_bitop2_b32 v46, 7, v44 bitop3:0x40
	s_mov_b32 s45, exec_lo
	v_cmpx_gt_u32_e32 8, v45
; %bb.253:                              ;   in Loop: Header=BB182_12 Depth=1
	s_delay_alu instid0(VALU_DEP_2) | instskip(NEXT) | instid1(VALU_DEP_1)
	v_clz_i32_u32_e32 v44, v46
	v_min_u32_e32 v44, 32, v44
	s_delay_alu instid0(VALU_DEP_1) | instskip(SKIP_1) | instid1(VALU_DEP_2)
	v_subrev_nc_u32_e32 v45, 28, v44
	v_sub_nc_u32_e32 v44, 29, v44
	v_lshlrev_b64_e32 v[48:49], v45, v[46:47]
	s_delay_alu instid0(VALU_DEP_1)
	v_and_b32_e32 v46, 7, v48
; %bb.254:                              ;   in Loop: Header=BB182_12 Depth=1
	s_or_b32 exec_lo, exec_lo, s45
	s_delay_alu instid0(VALU_DEP_1) | instskip(SKIP_2) | instid1(VALU_DEP_3)
	v_dual_lshlrev_b32 v1, 16, v1 :: v_dual_lshlrev_b32 v45, 20, v46
	v_lshl_add_u32 v44, v44, 23, 0x3c000000
	v_mov_b32_e32 v110, v47
	v_and_b32_e32 v1, 0x80000000, v1
	s_delay_alu instid0(VALU_DEP_1)
	v_or3_b32 v111, v45, v1, v44
.LBB182_255:                            ;   in Loop: Header=BB182_12 Depth=1
	s_or_b32 exec_lo, exec_lo, s44
.LBB182_256:                            ;   in Loop: Header=BB182_12 Depth=1
	s_delay_alu instid0(SALU_CYCLE_1)
	s_or_b32 exec_lo, exec_lo, s43
.LBB182_257:                            ;   in Loop: Header=BB182_12 Depth=1
	s_delay_alu instid0(SALU_CYCLE_1)
	s_or_b32 exec_lo, exec_lo, s42
	global_load_u16 v1, v[60:61], off offset:780
	v_mov_b64_e32 v[114:115], 0
	v_mov_b64_e32 v[116:117], 0
	s_mov_b32 s42, exec_lo
	s_wait_loadcnt 0x0
	v_and_b32_e32 v44, 0xff, v1
	v_and_b32_e32 v1, 0xffff, v1
	s_wait_xcnt 0x0
	s_delay_alu instid0(VALU_DEP_2)
	v_cmpx_ne_u16_e32 0, v44
	s_cbranch_execz .LBB182_265
; %bb.258:                              ;   in Loop: Header=BB182_12 Depth=1
	v_mov_b64_e32 v[116:117], 0x80000000
	v_and_b32_e32 v44, 0xff, v1
	s_mov_b32 s43, exec_lo
	s_delay_alu instid0(VALU_DEP_1)
	v_cmpx_ne_u16_e32 0x80, v44
	s_cbranch_execz .LBB182_264
; %bb.259:                              ;   in Loop: Header=BB182_12 Depth=1
	v_mov_b64_e32 v[116:117], 0x7f800001
	v_and_b32_e32 v45, 0x7f, v1
	s_mov_b32 s44, exec_lo
	s_delay_alu instid0(VALU_DEP_1)
	v_cmpx_ne_u32_e32 0x7f, v45
	s_cbranch_execz .LBB182_263
; %bb.260:                              ;   in Loop: Header=BB182_12 Depth=1
	v_and_b32_e32 v46, 7, v1
	v_lshrrev_b32_e32 v44, 3, v45
	s_mov_b32 s45, exec_lo
	v_cmpx_gt_u32_e32 8, v45
; %bb.261:                              ;   in Loop: Header=BB182_12 Depth=1
	s_delay_alu instid0(VALU_DEP_3) | instskip(NEXT) | instid1(VALU_DEP_1)
	v_clz_i32_u32_e32 v44, v46
	v_min_u32_e32 v44, 32, v44
	s_delay_alu instid0(VALU_DEP_1) | instskip(SKIP_1) | instid1(VALU_DEP_2)
	v_subrev_nc_u32_e32 v45, 28, v44
	v_sub_nc_u32_e32 v44, 29, v44
	v_lshlrev_b64_e32 v[48:49], v45, v[46:47]
	s_delay_alu instid0(VALU_DEP_1)
	v_and_b32_e32 v46, 7, v48
; %bb.262:                              ;   in Loop: Header=BB182_12 Depth=1
	s_or_b32 exec_lo, exec_lo, s45
	s_delay_alu instid0(VALU_DEP_1) | instskip(SKIP_1) | instid1(VALU_DEP_2)
	v_dual_lshlrev_b32 v45, 24, v1 :: v_dual_lshlrev_b32 v46, 20, v46
	v_lshl_add_u32 v44, v44, 23, 0x3c000000
	v_and_b32_e32 v45, 0x80000000, v45
	s_delay_alu instid0(VALU_DEP_1) | instskip(NEXT) | instid1(VALU_DEP_1)
	v_or3_b32 v46, v46, v45, v44
	v_mov_b64_e32 v[116:117], v[46:47]
.LBB182_263:                            ;   in Loop: Header=BB182_12 Depth=1
	s_or_b32 exec_lo, exec_lo, s44
.LBB182_264:                            ;   in Loop: Header=BB182_12 Depth=1
	s_delay_alu instid0(SALU_CYCLE_1)
	s_or_b32 exec_lo, exec_lo, s43
.LBB182_265:                            ;   in Loop: Header=BB182_12 Depth=1
	s_delay_alu instid0(SALU_CYCLE_1) | instskip(SKIP_2) | instid1(VALU_DEP_1)
	s_or_b32 exec_lo, exec_lo, s42
	v_lshrrev_b16 v44, 8, v1
	s_mov_b32 s42, exec_lo
	v_cmpx_ne_u16_e32 0, v44
	s_cbranch_execz .LBB182_273
; %bb.266:                              ;   in Loop: Header=BB182_12 Depth=1
	v_mov_b64_e32 v[114:115], 0x8000000000000000
	s_mov_b32 s43, exec_lo
	v_cmpx_ne_u16_e32 0x80, v44
	s_cbranch_execz .LBB182_272
; %bb.267:                              ;   in Loop: Header=BB182_12 Depth=1
	v_and_b32_e32 v44, 0xffff, v44
	v_mov_b64_e32 v[114:115], 0x7f80000100000000
	s_mov_b32 s44, exec_lo
	s_delay_alu instid0(VALU_DEP_2) | instskip(NEXT) | instid1(VALU_DEP_1)
	v_and_b32_e32 v45, 0x7f, v44
	v_cmpx_ne_u32_e32 0x7f, v45
	s_cbranch_execz .LBB182_271
; %bb.268:                              ;   in Loop: Header=BB182_12 Depth=1
	v_dual_lshrrev_b32 v44, 3, v45 :: v_dual_bitop2_b32 v46, 7, v44 bitop3:0x40
	s_mov_b32 s45, exec_lo
	v_cmpx_gt_u32_e32 8, v45
; %bb.269:                              ;   in Loop: Header=BB182_12 Depth=1
	s_delay_alu instid0(VALU_DEP_2) | instskip(NEXT) | instid1(VALU_DEP_1)
	v_clz_i32_u32_e32 v44, v46
	v_min_u32_e32 v44, 32, v44
	s_delay_alu instid0(VALU_DEP_1) | instskip(SKIP_1) | instid1(VALU_DEP_2)
	v_subrev_nc_u32_e32 v45, 28, v44
	v_sub_nc_u32_e32 v44, 29, v44
	v_lshlrev_b64_e32 v[48:49], v45, v[46:47]
	s_delay_alu instid0(VALU_DEP_1)
	v_and_b32_e32 v46, 7, v48
; %bb.270:                              ;   in Loop: Header=BB182_12 Depth=1
	s_or_b32 exec_lo, exec_lo, s45
	s_delay_alu instid0(VALU_DEP_1) | instskip(SKIP_2) | instid1(VALU_DEP_3)
	v_dual_lshlrev_b32 v1, 16, v1 :: v_dual_lshlrev_b32 v45, 20, v46
	v_lshl_add_u32 v44, v44, 23, 0x3c000000
	v_mov_b32_e32 v114, v47
	v_and_b32_e32 v1, 0x80000000, v1
	s_delay_alu instid0(VALU_DEP_1)
	v_or3_b32 v115, v45, v1, v44
.LBB182_271:                            ;   in Loop: Header=BB182_12 Depth=1
	s_or_b32 exec_lo, exec_lo, s44
.LBB182_272:                            ;   in Loop: Header=BB182_12 Depth=1
	s_delay_alu instid0(SALU_CYCLE_1)
	s_or_b32 exec_lo, exec_lo, s43
.LBB182_273:                            ;   in Loop: Header=BB182_12 Depth=1
	s_delay_alu instid0(SALU_CYCLE_1)
	s_or_b32 exec_lo, exec_lo, s42
	global_load_u16 v44, v[60:61], off offset:1024
	v_mov_b64_e32 v[118:119], 0
	v_mov_b64_e32 v[120:121], 0
	s_mov_b32 s42, exec_lo
	s_wait_loadcnt 0x0
	v_and_b32_e32 v1, 0xffff, v44
	v_and_b32_e32 v44, 0xff, v44
	s_wait_xcnt 0x0
	s_delay_alu instid0(VALU_DEP_1)
	v_cmpx_ne_u16_e32 0, v44
	s_cbranch_execz .LBB182_281
; %bb.274:                              ;   in Loop: Header=BB182_12 Depth=1
	v_mov_b64_e32 v[120:121], 0x80000000
	v_and_b32_e32 v44, 0xff, v1
	s_mov_b32 s43, exec_lo
	s_delay_alu instid0(VALU_DEP_1)
	v_cmpx_ne_u16_e32 0x80, v44
	s_cbranch_execz .LBB182_280
; %bb.275:                              ;   in Loop: Header=BB182_12 Depth=1
	v_mov_b64_e32 v[120:121], 0x7f800001
	v_and_b32_e32 v45, 0x7f, v1
	s_mov_b32 s44, exec_lo
	s_delay_alu instid0(VALU_DEP_1)
	v_cmpx_ne_u32_e32 0x7f, v45
	s_cbranch_execz .LBB182_279
; %bb.276:                              ;   in Loop: Header=BB182_12 Depth=1
	v_and_b32_e32 v46, 7, v1
	v_lshrrev_b32_e32 v44, 3, v45
	s_mov_b32 s45, exec_lo
	v_cmpx_gt_u32_e32 8, v45
; %bb.277:                              ;   in Loop: Header=BB182_12 Depth=1
	s_delay_alu instid0(VALU_DEP_3) | instskip(NEXT) | instid1(VALU_DEP_1)
	v_clz_i32_u32_e32 v44, v46
	v_min_u32_e32 v44, 32, v44
	s_delay_alu instid0(VALU_DEP_1) | instskip(SKIP_1) | instid1(VALU_DEP_2)
	v_subrev_nc_u32_e32 v45, 28, v44
	v_sub_nc_u32_e32 v44, 29, v44
	v_lshlrev_b64_e32 v[48:49], v45, v[46:47]
	s_delay_alu instid0(VALU_DEP_1)
	v_and_b32_e32 v46, 7, v48
; %bb.278:                              ;   in Loop: Header=BB182_12 Depth=1
	s_or_b32 exec_lo, exec_lo, s45
	s_delay_alu instid0(VALU_DEP_1) | instskip(SKIP_1) | instid1(VALU_DEP_2)
	v_dual_lshlrev_b32 v45, 24, v1 :: v_dual_lshlrev_b32 v46, 20, v46
	v_lshl_add_u32 v44, v44, 23, 0x3c000000
	v_and_b32_e32 v45, 0x80000000, v45
	s_delay_alu instid0(VALU_DEP_1) | instskip(NEXT) | instid1(VALU_DEP_1)
	v_or3_b32 v46, v46, v45, v44
	v_mov_b64_e32 v[120:121], v[46:47]
.LBB182_279:                            ;   in Loop: Header=BB182_12 Depth=1
	s_or_b32 exec_lo, exec_lo, s44
.LBB182_280:                            ;   in Loop: Header=BB182_12 Depth=1
	s_delay_alu instid0(SALU_CYCLE_1)
	s_or_b32 exec_lo, exec_lo, s43
.LBB182_281:                            ;   in Loop: Header=BB182_12 Depth=1
	s_delay_alu instid0(SALU_CYCLE_1) | instskip(SKIP_2) | instid1(VALU_DEP_1)
	s_or_b32 exec_lo, exec_lo, s42
	v_lshrrev_b16 v44, 8, v1
	s_mov_b32 s42, exec_lo
	v_cmpx_ne_u16_e32 0, v44
	s_cbranch_execz .LBB182_289
; %bb.282:                              ;   in Loop: Header=BB182_12 Depth=1
	v_mov_b64_e32 v[118:119], 0x8000000000000000
	s_mov_b32 s43, exec_lo
	v_cmpx_ne_u16_e32 0x80, v44
	s_cbranch_execz .LBB182_288
; %bb.283:                              ;   in Loop: Header=BB182_12 Depth=1
	v_and_b32_e32 v44, 0xffff, v44
	v_mov_b64_e32 v[118:119], 0x7f80000100000000
	s_mov_b32 s44, exec_lo
	s_delay_alu instid0(VALU_DEP_2) | instskip(NEXT) | instid1(VALU_DEP_1)
	v_and_b32_e32 v45, 0x7f, v44
	v_cmpx_ne_u32_e32 0x7f, v45
	s_cbranch_execz .LBB182_287
; %bb.284:                              ;   in Loop: Header=BB182_12 Depth=1
	v_dual_lshrrev_b32 v44, 3, v45 :: v_dual_bitop2_b32 v46, 7, v44 bitop3:0x40
	s_mov_b32 s45, exec_lo
	v_cmpx_gt_u32_e32 8, v45
; %bb.285:                              ;   in Loop: Header=BB182_12 Depth=1
	s_delay_alu instid0(VALU_DEP_2) | instskip(NEXT) | instid1(VALU_DEP_1)
	v_clz_i32_u32_e32 v44, v46
	v_min_u32_e32 v44, 32, v44
	s_delay_alu instid0(VALU_DEP_1) | instskip(SKIP_1) | instid1(VALU_DEP_2)
	v_subrev_nc_u32_e32 v45, 28, v44
	v_sub_nc_u32_e32 v44, 29, v44
	v_lshlrev_b64_e32 v[48:49], v45, v[46:47]
	s_delay_alu instid0(VALU_DEP_1)
	v_and_b32_e32 v46, 7, v48
; %bb.286:                              ;   in Loop: Header=BB182_12 Depth=1
	s_or_b32 exec_lo, exec_lo, s45
	s_delay_alu instid0(VALU_DEP_1) | instskip(SKIP_2) | instid1(VALU_DEP_3)
	v_dual_lshlrev_b32 v1, 16, v1 :: v_dual_lshlrev_b32 v45, 20, v46
	v_lshl_add_u32 v44, v44, 23, 0x3c000000
	v_mov_b32_e32 v118, v47
	v_and_b32_e32 v1, 0x80000000, v1
	s_delay_alu instid0(VALU_DEP_1)
	v_or3_b32 v119, v45, v1, v44
.LBB182_287:                            ;   in Loop: Header=BB182_12 Depth=1
	s_or_b32 exec_lo, exec_lo, s44
.LBB182_288:                            ;   in Loop: Header=BB182_12 Depth=1
	s_delay_alu instid0(SALU_CYCLE_1)
	s_or_b32 exec_lo, exec_lo, s43
.LBB182_289:                            ;   in Loop: Header=BB182_12 Depth=1
	s_delay_alu instid0(SALU_CYCLE_1)
	s_or_b32 exec_lo, exec_lo, s42
	global_load_u16 v44, v[60:61], off offset:1028
	v_mov_b64_e32 v[122:123], 0
	v_mov_b64_e32 v[124:125], 0
	s_mov_b32 s42, exec_lo
	s_wait_loadcnt 0x0
	v_and_b32_e32 v1, 0xffff, v44
	v_and_b32_e32 v44, 0xff, v44
	s_wait_xcnt 0x0
	s_delay_alu instid0(VALU_DEP_1)
	v_cmpx_ne_u16_e32 0, v44
	s_cbranch_execz .LBB182_297
; %bb.290:                              ;   in Loop: Header=BB182_12 Depth=1
	v_mov_b64_e32 v[124:125], 0x80000000
	v_and_b32_e32 v44, 0xff, v1
	s_mov_b32 s43, exec_lo
	s_delay_alu instid0(VALU_DEP_1)
	v_cmpx_ne_u16_e32 0x80, v44
	s_cbranch_execz .LBB182_296
; %bb.291:                              ;   in Loop: Header=BB182_12 Depth=1
	v_mov_b64_e32 v[124:125], 0x7f800001
	v_and_b32_e32 v45, 0x7f, v1
	s_mov_b32 s44, exec_lo
	s_delay_alu instid0(VALU_DEP_1)
	v_cmpx_ne_u32_e32 0x7f, v45
	s_cbranch_execz .LBB182_295
; %bb.292:                              ;   in Loop: Header=BB182_12 Depth=1
	v_and_b32_e32 v46, 7, v1
	v_lshrrev_b32_e32 v44, 3, v45
	s_mov_b32 s45, exec_lo
	v_cmpx_gt_u32_e32 8, v45
; %bb.293:                              ;   in Loop: Header=BB182_12 Depth=1
	s_delay_alu instid0(VALU_DEP_3) | instskip(NEXT) | instid1(VALU_DEP_1)
	v_clz_i32_u32_e32 v44, v46
	v_min_u32_e32 v44, 32, v44
	s_delay_alu instid0(VALU_DEP_1) | instskip(SKIP_1) | instid1(VALU_DEP_2)
	v_subrev_nc_u32_e32 v45, 28, v44
	v_sub_nc_u32_e32 v44, 29, v44
	v_lshlrev_b64_e32 v[48:49], v45, v[46:47]
	s_delay_alu instid0(VALU_DEP_1)
	v_and_b32_e32 v46, 7, v48
; %bb.294:                              ;   in Loop: Header=BB182_12 Depth=1
	s_or_b32 exec_lo, exec_lo, s45
	s_delay_alu instid0(VALU_DEP_1) | instskip(SKIP_1) | instid1(VALU_DEP_2)
	v_dual_lshlrev_b32 v45, 24, v1 :: v_dual_lshlrev_b32 v46, 20, v46
	v_lshl_add_u32 v44, v44, 23, 0x3c000000
	v_and_b32_e32 v45, 0x80000000, v45
	s_delay_alu instid0(VALU_DEP_1) | instskip(NEXT) | instid1(VALU_DEP_1)
	v_or3_b32 v46, v46, v45, v44
	v_mov_b64_e32 v[124:125], v[46:47]
.LBB182_295:                            ;   in Loop: Header=BB182_12 Depth=1
	s_or_b32 exec_lo, exec_lo, s44
.LBB182_296:                            ;   in Loop: Header=BB182_12 Depth=1
	s_delay_alu instid0(SALU_CYCLE_1)
	s_or_b32 exec_lo, exec_lo, s43
.LBB182_297:                            ;   in Loop: Header=BB182_12 Depth=1
	s_delay_alu instid0(SALU_CYCLE_1) | instskip(SKIP_2) | instid1(VALU_DEP_1)
	s_or_b32 exec_lo, exec_lo, s42
	v_lshrrev_b16 v44, 8, v1
	s_mov_b32 s42, exec_lo
	v_cmpx_ne_u16_e32 0, v44
	s_cbranch_execz .LBB182_305
; %bb.298:                              ;   in Loop: Header=BB182_12 Depth=1
	v_mov_b64_e32 v[122:123], 0x8000000000000000
	s_mov_b32 s43, exec_lo
	v_cmpx_ne_u16_e32 0x80, v44
	s_cbranch_execz .LBB182_304
; %bb.299:                              ;   in Loop: Header=BB182_12 Depth=1
	v_and_b32_e32 v44, 0xffff, v44
	v_mov_b64_e32 v[122:123], 0x7f80000100000000
	s_mov_b32 s44, exec_lo
	s_delay_alu instid0(VALU_DEP_2) | instskip(NEXT) | instid1(VALU_DEP_1)
	v_and_b32_e32 v45, 0x7f, v44
	v_cmpx_ne_u32_e32 0x7f, v45
	s_cbranch_execz .LBB182_303
; %bb.300:                              ;   in Loop: Header=BB182_12 Depth=1
	v_dual_lshrrev_b32 v44, 3, v45 :: v_dual_bitop2_b32 v46, 7, v44 bitop3:0x40
	s_mov_b32 s45, exec_lo
	v_cmpx_gt_u32_e32 8, v45
; %bb.301:                              ;   in Loop: Header=BB182_12 Depth=1
	s_delay_alu instid0(VALU_DEP_2) | instskip(NEXT) | instid1(VALU_DEP_1)
	v_clz_i32_u32_e32 v44, v46
	v_min_u32_e32 v44, 32, v44
	s_delay_alu instid0(VALU_DEP_1) | instskip(SKIP_1) | instid1(VALU_DEP_2)
	v_subrev_nc_u32_e32 v45, 28, v44
	v_sub_nc_u32_e32 v44, 29, v44
	v_lshlrev_b64_e32 v[48:49], v45, v[46:47]
	s_delay_alu instid0(VALU_DEP_1)
	v_and_b32_e32 v46, 7, v48
; %bb.302:                              ;   in Loop: Header=BB182_12 Depth=1
	s_or_b32 exec_lo, exec_lo, s45
	s_delay_alu instid0(VALU_DEP_1) | instskip(SKIP_2) | instid1(VALU_DEP_3)
	v_dual_lshlrev_b32 v1, 16, v1 :: v_dual_lshlrev_b32 v45, 20, v46
	v_lshl_add_u32 v44, v44, 23, 0x3c000000
	v_mov_b32_e32 v122, v47
	v_and_b32_e32 v1, 0x80000000, v1
	s_delay_alu instid0(VALU_DEP_1)
	v_or3_b32 v123, v45, v1, v44
.LBB182_303:                            ;   in Loop: Header=BB182_12 Depth=1
	s_or_b32 exec_lo, exec_lo, s44
.LBB182_304:                            ;   in Loop: Header=BB182_12 Depth=1
	s_delay_alu instid0(SALU_CYCLE_1)
	s_or_b32 exec_lo, exec_lo, s43
.LBB182_305:                            ;   in Loop: Header=BB182_12 Depth=1
	s_delay_alu instid0(SALU_CYCLE_1)
	s_or_b32 exec_lo, exec_lo, s42
	global_load_u16 v44, v[60:61], off offset:1032
	v_mov_b64_e32 v[54:55], 0
	s_wait_loadcnt 0x0
	v_and_b32_e32 v1, 0xffff, v44
	v_and_b32_e32 v44, 0xff, v44
	s_delay_alu instid0(VALU_DEP_1)
	v_cmp_ne_u16_e64 s4, 0, v44
	v_mov_b64_e32 v[44:45], 0
	s_wait_xcnt 0x0
	s_and_saveexec_b32 s42, s4
	s_cbranch_execz .LBB182_313
; %bb.306:                              ;   in Loop: Header=BB182_12 Depth=1
	v_and_b32_e32 v44, 0xff, v1
	s_delay_alu instid0(VALU_DEP_1)
	v_cmp_ne_u16_e64 s4, 0x80, v44
	v_mov_b64_e32 v[44:45], 0x80000000
	s_and_saveexec_b32 s43, s4
	s_cbranch_execz .LBB182_312
; %bb.307:                              ;   in Loop: Header=BB182_12 Depth=1
	v_mov_b64_e32 v[44:45], 0x7f800001
	v_and_b32_e32 v48, 0x7f, v1
	s_mov_b32 s44, exec_lo
	s_delay_alu instid0(VALU_DEP_1)
	v_cmpx_ne_u32_e32 0x7f, v48
	s_cbranch_execz .LBB182_311
; %bb.308:                              ;   in Loop: Header=BB182_12 Depth=1
	v_dual_lshrrev_b32 v44, 3, v48 :: v_dual_bitop2_b32 v46, 7, v1 bitop3:0x40
	s_mov_b32 s45, exec_lo
	v_cmpx_gt_u32_e32 8, v48
; %bb.309:                              ;   in Loop: Header=BB182_12 Depth=1
	s_delay_alu instid0(VALU_DEP_2) | instskip(NEXT) | instid1(VALU_DEP_1)
	v_clz_i32_u32_e32 v44, v46
	v_min_u32_e32 v44, 32, v44
	s_delay_alu instid0(VALU_DEP_1) | instskip(SKIP_1) | instid1(VALU_DEP_2)
	v_subrev_nc_u32_e32 v45, 28, v44
	v_sub_nc_u32_e32 v44, 29, v44
	v_lshlrev_b64_e32 v[48:49], v45, v[46:47]
	s_delay_alu instid0(VALU_DEP_1)
	v_and_b32_e32 v46, 7, v48
; %bb.310:                              ;   in Loop: Header=BB182_12 Depth=1
	s_or_b32 exec_lo, exec_lo, s45
	s_delay_alu instid0(VALU_DEP_1) | instskip(SKIP_1) | instid1(VALU_DEP_2)
	v_dual_lshlrev_b32 v45, 24, v1 :: v_dual_lshlrev_b32 v46, 20, v46
	v_lshl_add_u32 v44, v44, 23, 0x3c000000
	v_and_b32_e32 v45, 0x80000000, v45
	s_delay_alu instid0(VALU_DEP_1) | instskip(NEXT) | instid1(VALU_DEP_1)
	v_or3_b32 v46, v46, v45, v44
	v_mov_b64_e32 v[44:45], v[46:47]
.LBB182_311:                            ;   in Loop: Header=BB182_12 Depth=1
	s_or_b32 exec_lo, exec_lo, s44
.LBB182_312:                            ;   in Loop: Header=BB182_12 Depth=1
	s_delay_alu instid0(SALU_CYCLE_1)
	s_or_b32 exec_lo, exec_lo, s43
.LBB182_313:                            ;   in Loop: Header=BB182_12 Depth=1
	s_delay_alu instid0(SALU_CYCLE_1) | instskip(SKIP_2) | instid1(VALU_DEP_1)
	s_or_b32 exec_lo, exec_lo, s42
	v_lshrrev_b16 v46, 8, v1
	s_mov_b32 s42, exec_lo
	v_cmpx_ne_u16_e32 0, v46
	s_cbranch_execz .LBB182_321
; %bb.314:                              ;   in Loop: Header=BB182_12 Depth=1
	v_mov_b64_e32 v[54:55], 0x8000000000000000
	s_mov_b32 s43, exec_lo
	v_cmpx_ne_u16_e32 0x80, v46
	s_cbranch_execz .LBB182_320
; %bb.315:                              ;   in Loop: Header=BB182_12 Depth=1
	v_and_b32_e32 v46, 0xffff, v46
	v_mov_b64_e32 v[54:55], 0x7f80000100000000
	s_mov_b32 s44, exec_lo
	s_delay_alu instid0(VALU_DEP_2) | instskip(NEXT) | instid1(VALU_DEP_1)
	v_and_b32_e32 v49, 0x7f, v46
	v_cmpx_ne_u32_e32 0x7f, v49
	s_cbranch_execz .LBB182_319
; %bb.316:                              ;   in Loop: Header=BB182_12 Depth=1
	v_dual_lshrrev_b32 v48, 3, v49 :: v_dual_bitop2_b32 v46, 7, v46 bitop3:0x40
	s_mov_b32 s45, exec_lo
	v_cmpx_gt_u32_e32 8, v49
; %bb.317:                              ;   in Loop: Header=BB182_12 Depth=1
	s_delay_alu instid0(VALU_DEP_2) | instskip(NEXT) | instid1(VALU_DEP_1)
	v_clz_i32_u32_e32 v48, v46
	v_min_u32_e32 v48, 32, v48
	s_delay_alu instid0(VALU_DEP_1) | instskip(NEXT) | instid1(VALU_DEP_1)
	v_subrev_nc_u32_e32 v49, 28, v48
	v_lshlrev_b64_e32 v[54:55], v49, v[46:47]
	s_delay_alu instid0(VALU_DEP_1)
	v_dual_sub_nc_u32 v48, 29, v48 :: v_dual_bitop2_b32 v46, 7, v54 bitop3:0x40
; %bb.318:                              ;   in Loop: Header=BB182_12 Depth=1
	s_or_b32 exec_lo, exec_lo, s45
	s_delay_alu instid0(VALU_DEP_1) | instskip(NEXT) | instid1(VALU_DEP_2)
	v_dual_lshlrev_b32 v1, 16, v1 :: v_dual_lshlrev_b32 v46, 20, v46
	v_lshl_add_u32 v48, v48, 23, 0x3c000000
	v_mov_b32_e32 v54, v47
	s_delay_alu instid0(VALU_DEP_3) | instskip(NEXT) | instid1(VALU_DEP_1)
	v_and_b32_e32 v1, 0x80000000, v1
	v_or3_b32 v55, v46, v1, v48
.LBB182_319:                            ;   in Loop: Header=BB182_12 Depth=1
	s_or_b32 exec_lo, exec_lo, s44
.LBB182_320:                            ;   in Loop: Header=BB182_12 Depth=1
	s_delay_alu instid0(SALU_CYCLE_1)
	s_or_b32 exec_lo, exec_lo, s43
.LBB182_321:                            ;   in Loop: Header=BB182_12 Depth=1
	s_delay_alu instid0(SALU_CYCLE_1)
	s_or_b32 exec_lo, exec_lo, s42
	global_load_u16 v46, v[60:61], off offset:1036
	v_mov_b64_e32 v[126:127], 0
	v_mov_b64_e32 v[48:49], 0
	s_mov_b32 s42, exec_lo
	s_wait_loadcnt 0x0
	v_and_b32_e32 v1, 0xffff, v46
	v_and_b32_e32 v46, 0xff, v46
	s_wait_xcnt 0x0
	s_delay_alu instid0(VALU_DEP_1)
	v_cmpx_ne_u16_e32 0, v46
	s_cbranch_execz .LBB182_329
; %bb.322:                              ;   in Loop: Header=BB182_12 Depth=1
	v_mov_b64_e32 v[48:49], 0x80000000
	v_and_b32_e32 v46, 0xff, v1
	s_mov_b32 s43, exec_lo
	s_delay_alu instid0(VALU_DEP_1)
	v_cmpx_ne_u16_e32 0x80, v46
	s_cbranch_execz .LBB182_328
; %bb.323:                              ;   in Loop: Header=BB182_12 Depth=1
	v_mov_b64_e32 v[48:49], 0x7f800001
	v_and_b32_e32 v60, 0x7f, v1
	s_mov_b32 s44, exec_lo
	s_delay_alu instid0(VALU_DEP_1)
	v_cmpx_ne_u32_e32 0x7f, v60
	s_cbranch_execz .LBB182_327
; %bb.324:                              ;   in Loop: Header=BB182_12 Depth=1
	v_dual_lshrrev_b32 v48, 3, v60 :: v_dual_bitop2_b32 v46, 7, v1 bitop3:0x40
	s_mov_b32 s45, exec_lo
	v_cmpx_gt_u32_e32 8, v60
; %bb.325:                              ;   in Loop: Header=BB182_12 Depth=1
	s_delay_alu instid0(VALU_DEP_2) | instskip(NEXT) | instid1(VALU_DEP_1)
	v_clz_i32_u32_e32 v48, v46
	v_min_u32_e32 v48, 32, v48
	s_delay_alu instid0(VALU_DEP_1) | instskip(SKIP_1) | instid1(VALU_DEP_2)
	v_subrev_nc_u32_e32 v49, 28, v48
	v_sub_nc_u32_e32 v48, 29, v48
	v_lshlrev_b64_e32 v[60:61], v49, v[46:47]
	s_delay_alu instid0(VALU_DEP_1)
	v_and_b32_e32 v46, 7, v60
; %bb.326:                              ;   in Loop: Header=BB182_12 Depth=1
	s_or_b32 exec_lo, exec_lo, s45
	s_delay_alu instid0(VALU_DEP_1) | instskip(SKIP_1) | instid1(VALU_DEP_2)
	v_dual_lshlrev_b32 v49, 24, v1 :: v_dual_lshlrev_b32 v46, 20, v46
	v_lshl_add_u32 v48, v48, 23, 0x3c000000
	v_and_b32_e32 v49, 0x80000000, v49
	s_delay_alu instid0(VALU_DEP_1) | instskip(NEXT) | instid1(VALU_DEP_1)
	v_or3_b32 v46, v46, v49, v48
	v_mov_b64_e32 v[48:49], v[46:47]
.LBB182_327:                            ;   in Loop: Header=BB182_12 Depth=1
	s_or_b32 exec_lo, exec_lo, s44
.LBB182_328:                            ;   in Loop: Header=BB182_12 Depth=1
	s_delay_alu instid0(SALU_CYCLE_1)
	s_or_b32 exec_lo, exec_lo, s43
.LBB182_329:                            ;   in Loop: Header=BB182_12 Depth=1
	s_delay_alu instid0(SALU_CYCLE_1) | instskip(SKIP_2) | instid1(VALU_DEP_1)
	s_or_b32 exec_lo, exec_lo, s42
	v_lshrrev_b16 v46, 8, v1
	s_mov_b32 s42, exec_lo
	v_cmpx_ne_u16_e32 0, v46
	s_cbranch_execz .LBB182_337
; %bb.330:                              ;   in Loop: Header=BB182_12 Depth=1
	v_mov_b64_e32 v[126:127], 0x8000000000000000
	s_mov_b32 s43, exec_lo
	v_cmpx_ne_u16_e32 0x80, v46
	s_cbranch_execz .LBB182_336
; %bb.331:                              ;   in Loop: Header=BB182_12 Depth=1
	v_and_b32_e32 v46, 0xffff, v46
	v_mov_b64_e32 v[126:127], 0x7f80000100000000
	s_mov_b32 s44, exec_lo
	s_delay_alu instid0(VALU_DEP_2) | instskip(NEXT) | instid1(VALU_DEP_1)
	v_and_b32_e32 v61, 0x7f, v46
	v_cmpx_ne_u32_e32 0x7f, v61
	s_cbranch_execz .LBB182_335
; %bb.332:                              ;   in Loop: Header=BB182_12 Depth=1
	v_dual_lshrrev_b32 v60, 3, v61 :: v_dual_bitop2_b32 v46, 7, v46 bitop3:0x40
	s_mov_b32 s45, exec_lo
	v_cmpx_gt_u32_e32 8, v61
; %bb.333:                              ;   in Loop: Header=BB182_12 Depth=1
	s_delay_alu instid0(VALU_DEP_2) | instskip(NEXT) | instid1(VALU_DEP_1)
	v_clz_i32_u32_e32 v60, v46
	v_min_u32_e32 v60, 32, v60
	s_delay_alu instid0(VALU_DEP_1) | instskip(NEXT) | instid1(VALU_DEP_1)
	v_subrev_nc_u32_e32 v61, 28, v60
	v_lshlrev_b64_e32 v[126:127], v61, v[46:47]
	s_delay_alu instid0(VALU_DEP_1)
	v_dual_sub_nc_u32 v60, 29, v60 :: v_dual_bitop2_b32 v46, 7, v126 bitop3:0x40
; %bb.334:                              ;   in Loop: Header=BB182_12 Depth=1
	s_or_b32 exec_lo, exec_lo, s45
	s_delay_alu instid0(VALU_DEP_1) | instskip(NEXT) | instid1(VALU_DEP_2)
	v_dual_lshlrev_b32 v1, 16, v1 :: v_dual_lshlrev_b32 v46, 20, v46
	v_lshl_add_u32 v60, v60, 23, 0x3c000000
	v_mov_b32_e32 v126, v47
	s_delay_alu instid0(VALU_DEP_3) | instskip(NEXT) | instid1(VALU_DEP_1)
	v_and_b32_e32 v1, 0x80000000, v1
	v_or3_b32 v127, v46, v1, v60
.LBB182_335:                            ;   in Loop: Header=BB182_12 Depth=1
	s_or_b32 exec_lo, exec_lo, s44
.LBB182_336:                            ;   in Loop: Header=BB182_12 Depth=1
	s_delay_alu instid0(SALU_CYCLE_1)
	s_or_b32 exec_lo, exec_lo, s43
.LBB182_337:                            ;   in Loop: Header=BB182_12 Depth=1
	s_delay_alu instid0(SALU_CYCLE_1) | instskip(SKIP_4) | instid1(VALU_DEP_4)
	s_or_b32 exec_lo, exec_lo, s42
	v_mbcnt_lo_u32_b32 v46, -1, 0
	v_or_b32_e32 v49, v127, v49
	v_or_b32_e32 v48, v126, v48
	;; [unrolled: 1-line block ×3, first 2 shown]
	v_xor_b32_e32 v1, 1, v46
	s_wait_kmcnt 0x0
	s_delay_alu instid0(VALU_DEP_3) | instskip(NEXT) | instid1(VALU_DEP_2)
	v_pk_mul_f32 v[48:49], s[12:13], v[48:49] op_sel_hi:[0,1]
	v_cmp_gt_i32_e64 s4, 32, v1
	s_delay_alu instid0(VALU_DEP_1)
	v_cndmask_b32_e64 v1, v46, v1, s4
	v_or_b32_e32 v44, v54, v44
	scratch_load_b64 v[54:55], off, off th:TH_LOAD_LU ; 8-byte Folded Reload
	v_lshlrev_b32_e32 v1, 2, v1
	v_pk_mul_f32 v[60:61], s[12:13], v[44:45] op_sel_hi:[0,1]
	v_or_b32_e32 v45, v123, v125
	v_or_b32_e32 v44, v122, v124
	s_delay_alu instid0(VALU_DEP_1) | instskip(SKIP_2) | instid1(VALU_DEP_1)
	v_pk_mul_f32 v[122:123], s[12:13], v[44:45] op_sel_hi:[0,1]
	v_or_b32_e32 v45, v119, v121
	v_or_b32_e32 v44, v118, v120
	v_pk_mul_f32 v[118:119], s[12:13], v[44:45] op_sel_hi:[0,1]
	v_or_b32_e32 v45, v115, v117
	v_or_b32_e32 v44, v114, v116
	s_delay_alu instid0(VALU_DEP_1) | instskip(SKIP_2) | instid1(VALU_DEP_1)
	v_pk_mul_f32 v[114:115], s[12:13], v[44:45] op_sel_hi:[0,1]
	v_or_b32_e32 v45, v111, v113
	v_or_b32_e32 v44, v110, v112
	;; [unrolled: 7-line block ×8, first 2 shown]
	v_pk_mul_f32 v[62:63], s[12:13], v[44:45] op_sel_hi:[0,1]
	scratch_load_b64 v[44:45], off, off offset:8 th:TH_LOAD_LU ; 8-byte Folded Reload
	s_wait_loadcnt 0x1
	v_or_b32_e32 v53, v53, v55
	v_or_b32_e32 v52, v52, v54
	s_delay_alu instid0(VALU_DEP_1) | instskip(SKIP_3) | instid1(VALU_DEP_1)
	v_pk_mul_f32 v[52:53], s[12:13], v[52:53] op_sel_hi:[0,1]
	s_wait_loadcnt 0x0
	v_or_b32_e32 v45, v57, v45
	v_or_b32_e32 v44, v56, v44
	v_pk_mul_f32 v[44:45], s[12:13], v[44:45] op_sel_hi:[0,1]
	s_wait_dscnt 0x9
	s_delay_alu instid0(VALU_DEP_1) | instskip(NEXT) | instid1(VALU_DEP_1)
	v_mul_f32_e32 v40, v40, v44
	v_dual_fmac_f32 v40, v38, v52 :: v_dual_mul_f32 v38, v41, v45
	s_wait_dscnt 0x8
	s_delay_alu instid0(VALU_DEP_1) | instskip(NEXT) | instid1(VALU_DEP_1)
	v_dual_fmac_f32 v40, v34, v62 :: v_dual_fmac_f32 v38, v39, v53
	v_dual_fmac_f32 v40, v36, v66 :: v_dual_fmac_f32 v38, v35, v63
	s_wait_dscnt 0x7
	s_delay_alu instid0(VALU_DEP_1) | instskip(NEXT) | instid1(VALU_DEP_1)
	v_dual_fmac_f32 v40, v30, v70 :: v_dual_fmac_f32 v38, v37, v67
	v_dual_fmac_f32 v40, v32, v74 :: v_dual_fmac_f32 v38, v31, v71
	;; [unrolled: 4-line block ×9, first 2 shown]
	s_delay_alu instid0(VALU_DEP_1) | instskip(NEXT) | instid1(VALU_DEP_1)
	v_fmac_f32_e32 v38, v5, v49
	v_add_f32_e32 v2, v40, v38
	ds_bpermute_b32 v1, v1, v2
	s_wait_xcnt 0x0
	s_and_saveexec_b32 s12, s3
	s_cbranch_execz .LBB182_10
; %bb.338:                              ;   in Loop: Header=BB182_12 Depth=1
	s_clause 0x1
	scratch_load_b32 v3, off, off offset:32
	scratch_load_b32 v4, off, off offset:16
	s_wait_loadcnt_dscnt 0x100
	v_dual_add_f32 v1, v2, v1 :: v_dual_add_nc_u32 v3, v3, v0
	s_delay_alu instid0(VALU_DEP_1) | instskip(NEXT) | instid1(VALU_DEP_1)
	v_cvt_f32_i32_e32 v3, v3
	v_mul_f32_e32 v3, s37, v3
	s_delay_alu instid0(VALU_DEP_1) | instskip(NEXT) | instid1(VALU_DEP_1)
	v_cndmask_b32_e32 v2, 0, v3, vcc_lo
	v_fmac_f32_e32 v2, s27, v1
	scratch_load_b32 v1, off, off offset:28 ; 4-byte Folded Reload
	s_wait_loadcnt 0x1
	v_max_num_f32_e32 v3, v4, v4
	s_wait_loadcnt 0x0
	s_delay_alu instid0(VALU_DEP_1) | instskip(NEXT) | instid1(VALU_DEP_1)
	v_dual_max_num_f32 v3, v3, v2 :: v_dual_add_nc_u32 v1, v1, v0
	v_cmp_gt_i32_e64 s4, s34, v1
	s_delay_alu instid0(VALU_DEP_1)
	v_dual_cndmask_b32 v1, 0, v2, s4 :: v_dual_cndmask_b32 v4, v4, v3, s4
	ds_store_b32 v58, v1
	scratch_store_b32 off, v4, off offset:16 ; 4-byte Folded Spill
	s_branch .LBB182_10
.LBB182_339:
	s_or_b32 exec_lo, exec_lo, s41
	s_clause 0x4
	scratch_load_b32 v24, off, off offset:36
	scratch_load_b32 v59, off, off offset:40
	;; [unrolled: 1-line block ×5, first 2 shown]
.LBB182_340:
	s_wait_xcnt 0x0
	s_or_b32 exec_lo, exec_lo, s38
	v_mbcnt_lo_u32_b32 v6, -1, 0
	s_clause 0x1
	s_load_b64 s[4:5], s[0:1], 0x0
	s_load_b64 s[8:9], s[0:1], 0x18
	s_wait_loadcnt 0x4
	v_and_b32_e32 v66, 31, v24
	v_xor_b32_e32 v0, 16, v6
	v_xor_b32_e32 v2, 8, v6
	s_delay_alu instid0(VALU_DEP_2) | instskip(SKIP_1) | instid1(VALU_DEP_3)
	v_cmp_gt_i32_e32 vcc_lo, 32, v0
	v_cndmask_b32_e32 v0, v6, v0, vcc_lo
	v_cmp_gt_i32_e32 vcc_lo, 32, v2
	s_delay_alu instid0(VALU_DEP_2) | instskip(SKIP_4) | instid1(VALU_DEP_1)
	v_dual_lshlrev_b32 v0, 2, v0 :: v_dual_cndmask_b32 v2, v6, v2, vcc_lo
	s_wait_loadcnt_dscnt 0x0
	ds_bpermute_b32 v1, v0, v3
	s_wait_dscnt 0x0
	v_dual_max_num_f32 v3, v3, v3 :: v_dual_max_num_f32 v4, v1, v1
	v_dual_lshlrev_b32 v1, 2, v2 :: v_dual_max_num_f32 v3, v3, v4
	v_xor_b32_e32 v4, 4, v6
	ds_bpermute_b32 v2, v1, v3
	v_cmp_gt_i32_e32 vcc_lo, 32, v4
	s_wait_dscnt 0x0
	v_max_num_f32_e32 v5, v2, v2
	s_delay_alu instid0(VALU_DEP_1) | instskip(NEXT) | instid1(VALU_DEP_1)
	v_dual_cndmask_b32 v4, v6, v4 :: v_dual_max_num_f32 v3, v3, v5
	v_lshlrev_b32_e32 v2, 2, v4
	ds_bpermute_b32 v4, v2, v3
	s_wait_dscnt 0x0
	v_dual_max_num_f32 v4, v4, v4 :: v_dual_bitop2_b32 v5, 2, v6 bitop3:0x14
	s_delay_alu instid0(VALU_DEP_1) | instskip(NEXT) | instid1(VALU_DEP_2)
	v_cmp_gt_i32_e32 vcc_lo, 32, v5
	v_dual_max_num_f32 v4, v3, v4 :: v_dual_cndmask_b32 v5, v6, v5
	v_lshlrev_b32_e32 v3, 2, v59
	v_cmp_eq_u32_e32 vcc_lo, 0, v66
	s_delay_alu instid0(VALU_DEP_3)
	v_lshlrev_b32_e32 v67, 2, v5
	ds_bpermute_b32 v5, v67, v4
	s_wait_xcnt 0x0
	s_and_saveexec_b32 s0, vcc_lo
	s_cbranch_execz .LBB182_342
; %bb.341:
	s_wait_dscnt 0x0
	v_dual_max_num_f32 v5, v5, v5 :: v_dual_max_num_f32 v4, v4, v4
	s_delay_alu instid0(VALU_DEP_1)
	v_max_num_f32_e32 v4, v4, v5
	ds_store_b32 v3, v4 offset:320
.LBB182_342:
	s_or_b32 exec_lo, exec_lo, s0
	v_cmp_gt_u32_e64 s0, 4, v66
	s_wait_dscnt 0x0
	v_dual_mov_b32 v5, 0xff7fffff :: v_dual_lshlrev_b32 v4, 2, v66
	s_wait_storecnt 0x0
	s_barrier_signal -1
	s_barrier_wait -1
	s_and_saveexec_b32 s1, s0
; %bb.343:
	ds_load_b32 v5, v4 offset:320
; %bb.344:
	s_or_b32 exec_lo, exec_lo, s1
	s_wait_dscnt 0x0
	ds_bpermute_b32 v6, v67, v5
	v_mbcnt_lo_u32_b32 v8, -1, 0
	s_delay_alu instid0(VALU_DEP_1) | instskip(NEXT) | instid1(VALU_DEP_1)
	v_dual_max_num_f32 v5, v5, v5 :: v_dual_bitop2_b32 v7, 1, v8 bitop3:0x14
	v_cmp_gt_i32_e64 s1, 32, v7
	s_delay_alu instid0(VALU_DEP_1) | instskip(SKIP_1) | instid1(SALU_CYCLE_1)
	v_cndmask_b32_e64 v7, v8, v7, s1
	s_lshl_b32 s1, s26, 4
	s_min_i32 s12, s1, s34
	s_wait_dscnt 0x0
	s_delay_alu instid0(VALU_DEP_1) | instskip(SKIP_1) | instid1(VALU_DEP_2)
	v_dual_max_num_f32 v6, v6, v6 :: v_dual_lshlrev_b32 v68, 2, v7
	v_cmp_gt_i32_e64 s1, s12, v24
	v_max_num_f32_e32 v5, v5, v6
	ds_bpermute_b32 v6, v68, v5
	s_wait_dscnt 0x0
	v_max_num_f32_e32 v6, v6, v6
	s_delay_alu instid0(VALU_DEP_1)
	v_dual_max_num_f32 v6, v5, v6 :: v_dual_mov_b32 v5, 0
	ds_bpermute_b32 v6, v5, v6
	s_and_saveexec_b32 s19, s1
	s_cbranch_execz .LBB182_348
; %bb.345:
	v_lshl_add_u32 v7, v24, 2, 0x160
	v_dual_mov_b32 v5, 0 :: v_dual_mov_b32 v8, v24
	s_mov_b32 s27, 0
.LBB182_346:                            ; =>This Inner Loop Header: Depth=1
	ds_load_b32 v9, v7
	v_add_nc_u32_e32 v8, 0x80, v8
	s_delay_alu instid0(VALU_DEP_1) | instskip(SKIP_3) | instid1(VALU_DEP_1)
	v_cmp_le_i32_e64 s3, s12, v8
	s_or_b32 s27, s3, s27
	s_wait_dscnt 0x0
	v_sub_f32_e32 v9, v9, v6
	v_mul_f32_e32 v9, 0x3fb8aa3b, v9
	s_delay_alu instid0(VALU_DEP_1)
	v_exp_f32_e32 v9, v9
	ds_store_b32 v7, v9
	v_nop
	v_add_f32_e32 v5, v5, v9
	v_add_nc_u32_e32 v7, 0x200, v7
	s_and_not1_b32 exec_lo, exec_lo, s27
	s_cbranch_execnz .LBB182_346
; %bb.347:
	s_or_b32 exec_lo, exec_lo, s27
.LBB182_348:
	s_delay_alu instid0(SALU_CYCLE_1)
	s_or_b32 exec_lo, exec_lo, s19
	ds_bpermute_b32 v0, v0, v5
	s_wait_dscnt 0x0
	v_add_f32_e32 v0, v5, v0
	ds_bpermute_b32 v1, v1, v0
	s_wait_dscnt 0x0
	v_add_f32_e32 v0, v0, v1
	;; [unrolled: 3-line block ×5, first 2 shown]
	s_and_saveexec_b32 s3, vcc_lo
; %bb.349:
	ds_store_b32 v3, v0 offset:336
; %bb.350:
	s_or_b32 exec_lo, exec_lo, s3
	s_wait_dscnt 0x0
	s_barrier_signal -1
	s_barrier_wait -1
	s_and_saveexec_b32 s3, s0
; %bb.351:
	ds_load_b32 v0, v4 offset:336
; %bb.352:
	s_or_b32 exec_lo, exec_lo, s3
	s_wait_dscnt 0x0
	ds_bpermute_b32 v1, v67, v0
	s_wait_dscnt 0x0
	v_dual_mov_b32 v7, 0 :: v_dual_add_f32 v0, v0, v1
	ds_bpermute_b32 v1, v68, v0
	s_wait_dscnt 0x0
	v_add_f32_e32 v0, v0, v1
	ds_bpermute_b32 v0, v7, v0
	s_and_saveexec_b32 s0, s1
	s_cbranch_execz .LBB182_365
; %bb.353:
	s_wait_dscnt 0x0
	v_add_f32_e32 v0, 0x358637bd, v0
	s_mov_b32 s3, -1
	s_mov_b32 s1, exec_lo
	s_delay_alu instid0(VALU_DEP_1) | instskip(NEXT) | instid1(VALU_DEP_1)
	v_div_scale_f32 v1, null, v0, v0, 1.0
	v_rcp_f32_e32 v3, v1
	v_nop
	s_delay_alu instid0(TRANS32_DEP_1) | instskip(NEXT) | instid1(VALU_DEP_1)
	v_fma_f32 v2, -v1, v3, 1.0
	v_fmac_f32_e32 v3, v2, v3
	v_div_scale_f32 v4, vcc_lo, 1.0, v0, 1.0
	s_delay_alu instid0(VALU_DEP_1) | instskip(NEXT) | instid1(VALU_DEP_1)
	v_mul_f32_e32 v5, v4, v3
	v_fma_f32 v2, -v1, v5, v4
	s_delay_alu instid0(VALU_DEP_1) | instskip(SKIP_1) | instid1(VALU_DEP_2)
	v_fmac_f32_e32 v5, v2, v3
	v_xad_u32 v2, v24, -1, s12
	v_fma_f32 v1, -v1, v5, v4
	s_delay_alu instid0(VALU_DEP_1) | instskip(NEXT) | instid1(VALU_DEP_1)
	v_div_fmas_f32 v1, v1, v3, v5
	v_div_fixup_f32 v0, v1, v0, 1.0
	v_mov_b32_e32 v1, v24
	v_cmpx_lt_u32_e32 0x7f, v2
	s_cbranch_execz .LBB182_362
; %bb.354:
	s_delay_alu instid0(VALU_DEP_3) | instskip(NEXT) | instid1(VALU_DEP_1)
	v_dual_mov_b32 v1, v0 :: v_dual_lshrrev_b32 v2, 7, v2
	v_dual_mov_b32 v6, 0 :: v_dual_add_nc_u32 v3, -1, v2
	s_delay_alu instid0(VALU_DEP_1) | instskip(SKIP_1) | instid1(VALU_DEP_2)
	v_lshrrev_b32_e32 v4, 1, v3
	v_cmp_lt_u32_e32 vcc_lo, 13, v3
	v_add_nc_u32_e32 v3, 1, v4
	s_and_saveexec_b32 s3, vcc_lo
	s_cbranch_execz .LBB182_358
; %bb.355:
	s_delay_alu instid0(VALU_DEP_1)
	v_and_b32_e32 v4, -8, v3
	v_lshl_add_u32 v5, v24, 2, 0x160
	s_mov_b32 s19, 0
	s_mov_b32 s27, 0
.LBB182_356:                            ; =>This Inner Loop Header: Depth=1
	ds_load_2addr_stride64_b32 v[8:9], v5 offset1:2
	ds_load_2addr_stride64_b32 v[10:11], v5 offset0:4 offset1:6
	ds_load_2addr_stride64_b32 v[12:13], v5 offset0:8 offset1:10
	ds_load_2addr_stride64_b32 v[14:15], v5 offset0:12 offset1:14
	ds_load_2addr_stride64_b32 v[16:17], v5 offset0:16 offset1:18
	ds_load_2addr_stride64_b32 v[18:19], v5 offset0:20 offset1:22
	ds_load_2addr_stride64_b32 v[20:21], v5 offset0:24 offset1:26
	ds_load_2addr_stride64_b32 v[22:23], v5 offset0:28 offset1:30
	s_add_co_i32 s27, s27, 16
	s_delay_alu instid0(SALU_CYCLE_1) | instskip(NEXT) | instid1(VALU_DEP_1)
	v_dual_add_nc_u32 v4, -8, v4 :: v_dual_mov_b32 v6, s27
	v_cmp_eq_u32_e32 vcc_lo, 0, v4
	s_or_b32 s19, vcc_lo, s19
	s_wait_dscnt 0x7
	v_pk_mul_f32 v[8:9], v[0:1], v[8:9]
	s_wait_dscnt 0x6
	v_pk_mul_f32 v[10:11], v[0:1], v[10:11]
	;; [unrolled: 2-line block ×8, first 2 shown]
	ds_store_2addr_stride64_b32 v5, v8, v9 offset1:2
	ds_store_2addr_stride64_b32 v5, v10, v11 offset0:4 offset1:6
	ds_store_2addr_stride64_b32 v5, v12, v13 offset0:8 offset1:10
	;; [unrolled: 1-line block ×7, first 2 shown]
	v_add_nc_u32_e32 v5, 0x2000, v5
	s_and_not1_b32 exec_lo, exec_lo, s19
	s_cbranch_execnz .LBB182_356
; %bb.357:
	s_or_b32 exec_lo, exec_lo, s19
.LBB182_358:
	s_delay_alu instid0(SALU_CYCLE_1) | instskip(NEXT) | instid1(VALU_DEP_1)
	s_or_b32 exec_lo, exec_lo, s3
	v_and_b32_e32 v3, 7, v3
	s_mov_b32 s19, 0
	s_mov_b32 s3, exec_lo
	s_delay_alu instid0(VALU_DEP_1)
	v_cmpx_ne_u32_e32 0, v3
	s_cbranch_execz .LBB182_361
; %bb.359:
	v_lshlrev_b32_e32 v4, 9, v6
	s_delay_alu instid0(VALU_DEP_1)
	v_add3_u32 v4, v4, v25, 0x160
.LBB182_360:                            ; =>This Inner Loop Header: Depth=1
	ds_load_2addr_stride64_b32 v[8:9], v4 offset1:2
	v_add_nc_u32_e32 v3, -1, v3
	s_delay_alu instid0(VALU_DEP_1)
	v_cmp_eq_u32_e32 vcc_lo, 0, v3
	s_or_b32 s19, vcc_lo, s19
	s_wait_dscnt 0x0
	v_pk_mul_f32 v[8:9], v[0:1], v[8:9]
	ds_store_2addr_stride64_b32 v4, v8, v9 offset1:2
	v_add_nc_u32_e32 v4, 0x400, v4
	s_and_not1_b32 exec_lo, exec_lo, s19
	s_cbranch_execnz .LBB182_360
.LBB182_361:
	s_or_b32 exec_lo, exec_lo, s3
	v_add_nc_u32_e32 v1, 1, v2
	s_delay_alu instid0(VALU_DEP_1) | instskip(NEXT) | instid1(VALU_DEP_1)
	v_and_b32_e32 v2, 0x3fffffe, v1
	v_cmp_ne_u32_e32 vcc_lo, v1, v2
	v_lshl_add_u32 v1, v2, 7, v24
	s_or_not1_b32 s3, vcc_lo, exec_lo
.LBB182_362:
	s_or_b32 exec_lo, exec_lo, s1
	s_delay_alu instid0(SALU_CYCLE_1)
	s_and_b32 exec_lo, exec_lo, s3
	s_cbranch_execz .LBB182_365
; %bb.363:
	v_lshl_add_u32 v2, v1, 2, 0x160
	s_mov_b32 s1, 0
.LBB182_364:                            ; =>This Inner Loop Header: Depth=1
	ds_load_b32 v3, v2
	v_add_nc_u32_e32 v1, 0x80, v1
	s_delay_alu instid0(VALU_DEP_1)
	v_cmp_le_i32_e32 vcc_lo, s12, v1
	s_or_b32 s1, vcc_lo, s1
	s_wait_dscnt 0x0
	v_mul_f32_e32 v3, v0, v3
	ds_store_b32 v2, v3
	v_add_nc_u32_e32 v2, 0x200, v2
	s_and_not1_b32 exec_lo, exec_lo, s1
	s_cbranch_execnz .LBB182_364
.LBB182_365:
	s_or_b32 exec_lo, exec_lo, s0
	v_dual_mov_b32 v6, 0 :: v_dual_bitop2_b32 v69, 3, v24 bitop3:0x40
	v_dual_mov_b32 v11, 0 :: v_dual_mov_b32 v10, 0
	v_dual_mov_b32 v13, 0 :: v_dual_mov_b32 v12, 0
	;; [unrolled: 1-line block ×4, first 2 shown]
	s_wait_dscnt 0x0
	s_barrier_signal -1
	s_barrier_wait -1
	s_and_saveexec_b32 s1, s2
	s_cbranch_execz .LBB182_711
; %bb.366:
	s_abs_i32 s12, s14
	v_and_b32_e32 v16, 0x7c, v25
	s_cvt_f32_u32 s0, s12
	v_dual_mov_b32 v17, 0 :: v_dual_lshlrev_b32 v1, 4, v69
	s_ashr_i32 s19, s18, 31
	s_delay_alu instid0(SALU_CYCLE_1)
	v_rcp_iflag_f32_e32 v0, s0
	s_wait_kmcnt 0x0
	s_add_nc_u64 s[8:9], s[8:9], s[18:19]
	s_lshl_b64 s[24:25], s[24:25], 2
	v_add_nc_u64_e32 v[18:19], s[8:9], v[16:17]
	v_and_b32_e32 v16, 0x7c, v26
	s_add_nc_u64 s[8:9], s[22:23], s[24:25]
	s_sub_co_i32 s2, 0, s12
	v_readfirstlane_b32 s0, v0
	v_lshl_or_b32 v0, v59, 6, v1
	v_add_nc_u64_e32 v[20:21], s[8:9], v[16:17]
	v_dual_mov_b32 v78, v24 :: v_dual_bitop2_b32 v70, 12, v25 bitop3:0x40
	s_mul_f32 s0, s0, 0x4f7ffffe
	v_dual_mov_b32 v71, v59 :: v_dual_mov_b32 v8, 0
	v_dual_mov_b32 v9, 0 :: v_dual_mov_b32 v79, v59
	s_delay_alu instid0(SALU_CYCLE_1) | instskip(SKIP_2) | instid1(SALU_CYCLE_1)
	s_cvt_u32_f32 s0, s0
	v_dual_mov_b32 v15, 0 :: v_dual_add_nc_u32 v72, 0x160, v0
	v_dual_mov_b32 v14, 0 :: v_dual_mov_b32 v12, 0
	s_mul_i32 s2, s2, s0
	v_dual_mov_b32 v13, 0 :: v_dual_mov_b32 v10, 0
	v_dual_mov_b32 v11, 0 :: v_dual_mov_b32 v6, 0
	v_mov_b32_e32 v7, 0
	s_mov_b32 s3, 0
	s_mul_hi_u32 s2, s0, s2
	s_sub_co_i32 s13, s36, s13
	s_mov_b32 s14, s17
	s_add_co_i32 s17, s26, -1
	s_mov_b32 s18, s34
	s_add_co_i32 s2, s0, s2
	s_mov_b32 s19, s3
	s_branch .LBB182_369
.LBB182_367:                            ;   in Loop: Header=BB182_369 Depth=1
	s_or_b32 exec_lo, exec_lo, s0
	s_wait_dscnt 0x0
	v_mul_f32_e32 v43, v2, v56
	v_mul_f32_e32 v16, v2, v60
	v_mul_f32_e32 v48, v2, v48
	v_mul_f32_e32 v52, v2, v52
	v_pk_mul_f32 v[26:27], v[2:3], v[26:27]
	v_fmac_f32_e32 v43, v3, v57
	v_dual_fmac_f32 v16, v3, v61 :: v_dual_mul_f32 v44, v2, v44
	v_fmac_f32_e32 v48, v3, v49
	s_delay_alu instid0(VALU_DEP_3) | instskip(NEXT) | instid1(VALU_DEP_3)
	v_dual_fmac_f32 v52, v3, v53 :: v_dual_fmac_f32 v43, v4, v54
	v_fmac_f32_e32 v16, v4, v58
	s_delay_alu instid0(VALU_DEP_4) | instskip(SKIP_1) | instid1(VALU_DEP_4)
	v_fmac_f32_e32 v44, v3, v45
	v_pk_mul_f32 v[0:1], v[4:5], v[0:1]
	v_dual_fmac_f32 v52, v4, v50 :: v_dual_fmac_f32 v43, v5, v55
	s_delay_alu instid0(VALU_DEP_3) | instskip(NEXT) | instid1(VALU_DEP_2)
	v_dual_mul_f32 v34, v2, v34 :: v_dual_fmac_f32 v44, v4, v40
	v_dual_mul_f32 v30, v2, v30 :: v_dual_fmac_f32 v52, v5, v51
	v_fmac_f32_e32 v16, v5, v59
	s_delay_alu instid0(VALU_DEP_3) | instskip(NEXT) | instid1(VALU_DEP_3)
	v_dual_add_f32 v11, v11, v43 :: v_dual_fmac_f32 v44, v5, v41
	v_dual_add_f32 v10, v10, v52 :: v_dual_fmac_f32 v48, v4, v46
	s_delay_alu instid0(VALU_DEP_3) | instskip(NEXT) | instid1(VALU_DEP_3)
	v_add_f32_e32 v6, v6, v16
	v_dual_mul_f32 v16, v2, v38 :: v_dual_add_f32 v12, v12, v44
	s_delay_alu instid0(VALU_DEP_3) | instskip(NEXT) | instid1(VALU_DEP_2)
	v_dual_mul_f32 v24, v2, v24 :: v_dual_fmac_f32 v48, v5, v47
	v_fmac_f32_e32 v16, v3, v39
	s_delay_alu instid0(VALU_DEP_2) | instskip(NEXT) | instid1(VALU_DEP_3)
	v_dual_fmac_f32 v34, v3, v35 :: v_dual_fmac_f32 v24, v3, v25
	v_dual_add_f32 v13, v13, v48 :: v_dual_fmac_f32 v30, v3, v31
	s_delay_alu instid0(VALU_DEP_3) | instskip(NEXT) | instid1(VALU_DEP_3)
	v_dual_fmac_f32 v16, v4, v36 :: v_dual_add_f32 v2, v27, v26
	v_dual_fmac_f32 v34, v4, v32 :: v_dual_fmac_f32 v24, v4, v22
	s_delay_alu instid0(VALU_DEP_2) | instskip(NEXT) | instid1(VALU_DEP_2)
	v_dual_fmac_f32 v30, v4, v28 :: v_dual_fmac_f32 v16, v5, v37
	v_dual_add_f32 v0, v0, v2 :: v_dual_fmac_f32 v34, v5, v33
	s_delay_alu instid0(VALU_DEP_2) | instskip(NEXT) | instid1(VALU_DEP_3)
	v_dual_fmac_f32 v24, v5, v23 :: v_dual_fmac_f32 v30, v5, v29
	v_add_f32_e32 v15, v15, v16
	s_delay_alu instid0(VALU_DEP_3) | instskip(NEXT) | instid1(VALU_DEP_3)
	v_dual_add_f32 v0, v1, v0 :: v_dual_add_f32 v14, v14, v34
	v_dual_add_f32 v8, v8, v24 :: v_dual_add_f32 v9, v9, v30
	s_delay_alu instid0(VALU_DEP_2)
	v_add_f32_e32 v7, v7, v0
.LBB182_368:                            ;   in Loop: Header=BB182_369 Depth=1
	s_or_b32 exec_lo, exec_lo, s22
	v_dual_add_nc_u32 v71, 4, v71 :: v_dual_add_nc_u32 v42, 64, v42
	v_add_nc_u64_e32 v[20:21], 16, v[20:21]
	v_add_nc_u32_e32 v72, 0x100, v72
	s_delay_alu instid0(VALU_DEP_3) | instskip(SKIP_1) | instid1(SALU_CYCLE_1)
	v_cmp_le_i32_e32 vcc_lo, s26, v71
	s_or_b32 s19, vcc_lo, s19
	s_and_not1_b32 exec_lo, exec_lo, s19
	s_cbranch_execz .LBB182_710
.LBB182_369:                            ; =>This Inner Loop Header: Depth=1
	v_mov_b32_e32 v43, v17
	s_delay_alu instid0(VALU_DEP_1) | instskip(NEXT) | instid1(VALU_DEP_1)
	v_mul_u64_e32 v[0:1], s[20:21], v[42:43]
	v_mul_lo_u32 v0, v1, s16
	s_delay_alu instid0(VALU_DEP_1) | instskip(NEXT) | instid1(VALU_DEP_1)
	v_sub_nc_u32_e32 v0, v42, v0
	v_subrev_nc_u32_e32 v3, s16, v0
	v_cmp_le_u32_e32 vcc_lo, s16, v0
	s_delay_alu instid0(VALU_DEP_2) | instskip(NEXT) | instid1(VALU_DEP_1)
	v_dual_add_nc_u32 v2, 1, v1 :: v_dual_cndmask_b32 v0, v0, v3, vcc_lo
	v_cndmask_b32_e32 v1, v1, v2, vcc_lo
	s_delay_alu instid0(VALU_DEP_2) | instskip(NEXT) | instid1(VALU_DEP_2)
	v_cmp_le_u32_e32 vcc_lo, s16, v0
	v_add_nc_u32_e32 v2, 1, v1
	s_delay_alu instid0(VALU_DEP_1) | instskip(NEXT) | instid1(VALU_DEP_1)
	v_cndmask_b32_e32 v0, v1, v2, vcc_lo
	v_xor_b32_e32 v0, s15, v0
	s_delay_alu instid0(VALU_DEP_1) | instskip(NEXT) | instid1(VALU_DEP_1)
	v_subrev_nc_u32_e32 v2, s15, v0
	v_add_nc_u32_e32 v3, s35, v2
	v_cmp_lt_i32_e64 s0, s13, v2
	s_delay_alu instid0(VALU_DEP_2) | instskip(NEXT) | instid1(VALU_DEP_1)
	v_sub_nc_u32_e32 v0, 0, v3
	v_dual_ashrrev_i32 v3, 31, v3 :: v_dual_max_i32 v16, v3, v0
	s_delay_alu instid0(VALU_DEP_1) | instskip(NEXT) | instid1(VALU_DEP_1)
	v_mul_u64_e32 v[0:1], s[2:3], v[16:17]
	v_mul_lo_u32 v0, v1, s12
	s_delay_alu instid0(VALU_DEP_1) | instskip(NEXT) | instid1(VALU_DEP_1)
	v_sub_nc_u32_e32 v0, v16, v0
	v_subrev_nc_u32_e32 v1, s12, v0
	v_cmp_le_u32_e32 vcc_lo, s12, v0
	s_delay_alu instid0(VALU_DEP_2) | instskip(NEXT) | instid1(VALU_DEP_1)
	v_cndmask_b32_e32 v0, v0, v1, vcc_lo
	v_subrev_nc_u32_e32 v1, s12, v0
	v_cmp_le_u32_e32 vcc_lo, s12, v0
	s_delay_alu instid0(VALU_DEP_2) | instskip(NEXT) | instid1(VALU_DEP_1)
	v_cndmask_b32_e32 v0, v0, v1, vcc_lo
	v_xor_b32_e32 v0, v0, v3
	s_delay_alu instid0(VALU_DEP_1) | instskip(NEXT) | instid1(VALU_DEP_1)
	v_sub_nc_u32_e32 v0, v0, v3
	v_cmp_eq_u32_e32 vcc_lo, 0, v0
	s_or_b32 s0, vcc_lo, s0
	s_delay_alu instid0(SALU_CYCLE_1)
	s_and_saveexec_b32 s22, s0
	s_cbranch_execz .LBB182_368
; %bb.370:                              ;   in Loop: Header=BB182_369 Depth=1
	global_load_b32 v0, v[20:21], off
	ds_load_b128 v[2:5], v72
	s_load_b32 s8, s[10:11], 0x0
	v_mov_b64_e32 v[22:23], 0
	s_mov_b32 s0, exec_lo
	s_wait_loadcnt 0x0
	v_mad_nc_i64_i32 v[26:27], v0, s14, v[18:19]
	v_mov_b64_e32 v[0:1], 0
	global_load_b32 v30, v[26:27], off
	s_wait_loadcnt 0x0
	v_and_b32_e32 v16, 0xff, v30
	s_delay_alu instid0(VALU_DEP_1)
	v_cmpx_ne_u16_e32 0, v16
	s_cbranch_execz .LBB182_378
; %bb.371:                              ;   in Loop: Header=BB182_369 Depth=1
	v_mov_b64_e32 v[22:23], 0x80000000
	s_mov_b32 s9, exec_lo
	v_cmpx_ne_u16_e32 0x80, v16
	s_cbranch_execz .LBB182_377
; %bb.372:                              ;   in Loop: Header=BB182_369 Depth=1
	v_mov_b64_e32 v[22:23], 0x7f800001
	v_and_b32_e32 v24, 0x7f, v30
	s_mov_b32 s23, exec_lo
	s_delay_alu instid0(VALU_DEP_1)
	v_cmpx_ne_u32_e32 0x7f, v24
	s_cbranch_execz .LBB182_376
; %bb.373:                              ;   in Loop: Header=BB182_369 Depth=1
	v_dual_lshrrev_b32 v22, 3, v24 :: v_dual_bitop2_b32 v16, 7, v30 bitop3:0x40
	s_mov_b32 s24, exec_lo
	v_cmpx_gt_u32_e32 8, v24
; %bb.374:                              ;   in Loop: Header=BB182_369 Depth=1
	s_delay_alu instid0(VALU_DEP_2) | instskip(NEXT) | instid1(VALU_DEP_1)
	v_clz_i32_u32_e32 v22, v16
	v_min_u32_e32 v22, 32, v22
	s_delay_alu instid0(VALU_DEP_1) | instskip(NEXT) | instid1(VALU_DEP_1)
	v_subrev_nc_u32_e32 v23, 28, v22
	v_lshlrev_b64_e32 v[24:25], v23, v[16:17]
	s_delay_alu instid0(VALU_DEP_1)
	v_dual_sub_nc_u32 v22, 29, v22 :: v_dual_bitop2_b32 v16, 7, v24 bitop3:0x40
; %bb.375:                              ;   in Loop: Header=BB182_369 Depth=1
	s_or_b32 exec_lo, exec_lo, s24
	s_delay_alu instid0(VALU_DEP_1) | instskip(NEXT) | instid1(VALU_DEP_2)
	v_dual_lshlrev_b32 v23, 24, v30 :: v_dual_lshlrev_b32 v16, 20, v16
	v_lshl_add_u32 v22, v22, 23, 0x3c000000
	s_delay_alu instid0(VALU_DEP_2) | instskip(NEXT) | instid1(VALU_DEP_1)
	v_and_b32_e32 v23, 0x80000000, v23
	v_or3_b32 v16, v16, v23, v22
	s_delay_alu instid0(VALU_DEP_1)
	v_mov_b64_e32 v[22:23], v[16:17]
.LBB182_376:                            ;   in Loop: Header=BB182_369 Depth=1
	s_or_b32 exec_lo, exec_lo, s23
.LBB182_377:                            ;   in Loop: Header=BB182_369 Depth=1
	s_delay_alu instid0(SALU_CYCLE_1)
	s_or_b32 exec_lo, exec_lo, s9
.LBB182_378:                            ;   in Loop: Header=BB182_369 Depth=1
	s_delay_alu instid0(SALU_CYCLE_1) | instskip(SKIP_2) | instid1(VALU_DEP_1)
	s_or_b32 exec_lo, exec_lo, s0
	v_lshrrev_b16 v16, 8, v30
	s_mov_b32 s0, exec_lo
	v_cmpx_ne_u16_e32 0, v16
	s_cbranch_execz .LBB182_386
; %bb.379:                              ;   in Loop: Header=BB182_369 Depth=1
	v_mov_b64_e32 v[0:1], 0x8000000000000000
	s_mov_b32 s9, exec_lo
	v_cmpx_ne_u16_e32 0x80, v16
	s_cbranch_execz .LBB182_385
; %bb.380:                              ;   in Loop: Header=BB182_369 Depth=1
	v_and_b32_e32 v16, 0xffff, v16
	v_mov_b64_e32 v[0:1], 0x7f80000100000000
	s_mov_b32 s23, exec_lo
	s_delay_alu instid0(VALU_DEP_2) | instskip(NEXT) | instid1(VALU_DEP_1)
	v_and_b32_e32 v24, 0x7f, v16
	v_cmpx_ne_u32_e32 0x7f, v24
	s_cbranch_execz .LBB182_384
; %bb.381:                              ;   in Loop: Header=BB182_369 Depth=1
	v_and_b32_e32 v16, 7, v16
	v_lshrrev_b32_e32 v0, 3, v24
	s_mov_b32 s24, exec_lo
	v_cmpx_gt_u32_e32 8, v24
; %bb.382:                              ;   in Loop: Header=BB182_369 Depth=1
	s_delay_alu instid0(VALU_DEP_3) | instskip(NEXT) | instid1(VALU_DEP_1)
	v_clz_i32_u32_e32 v0, v16
	v_min_u32_e32 v0, 32, v0
	s_delay_alu instid0(VALU_DEP_1) | instskip(SKIP_1) | instid1(VALU_DEP_2)
	v_subrev_nc_u32_e32 v1, 28, v0
	v_sub_nc_u32_e32 v0, 29, v0
	v_lshlrev_b64_e32 v[24:25], v1, v[16:17]
	s_delay_alu instid0(VALU_DEP_1)
	v_and_b32_e32 v16, 7, v24
; %bb.383:                              ;   in Loop: Header=BB182_369 Depth=1
	s_or_b32 exec_lo, exec_lo, s24
	s_delay_alu instid0(VALU_DEP_1) | instskip(SKIP_1) | instid1(VALU_DEP_2)
	v_dual_lshlrev_b32 v1, 16, v30 :: v_dual_lshlrev_b32 v16, 20, v16
	v_lshl_add_u32 v0, v0, 23, 0x3c000000
	v_and_b32_e32 v1, 0x80000000, v1
	s_delay_alu instid0(VALU_DEP_1)
	v_or3_b32 v1, v16, v1, v0
	v_mov_b32_e32 v0, v17
.LBB182_384:                            ;   in Loop: Header=BB182_369 Depth=1
	s_or_b32 exec_lo, exec_lo, s23
.LBB182_385:                            ;   in Loop: Header=BB182_369 Depth=1
	s_delay_alu instid0(SALU_CYCLE_1)
	s_or_b32 exec_lo, exec_lo, s9
.LBB182_386:                            ;   in Loop: Header=BB182_369 Depth=1
	s_delay_alu instid0(SALU_CYCLE_1) | instskip(SKIP_4) | instid1(VALU_DEP_3)
	s_or_b32 exec_lo, exec_lo, s0
	v_lshrrev_b32_e32 v31, 16, v30
	v_mov_b64_e32 v[24:25], 0
	v_mov_b64_e32 v[28:29], 0
	s_mov_b32 s0, exec_lo
	v_and_b32_e32 v16, 0xff, v31
	s_delay_alu instid0(VALU_DEP_1)
	v_cmpx_ne_u16_e32 0, v16
	s_cbranch_execz .LBB182_394
; %bb.387:                              ;   in Loop: Header=BB182_369 Depth=1
	v_mov_b64_e32 v[28:29], 0x80000000
	s_mov_b32 s9, exec_lo
	v_cmpx_ne_u16_e32 0x80, v16
	s_cbranch_execz .LBB182_393
; %bb.388:                              ;   in Loop: Header=BB182_369 Depth=1
	v_mov_b64_e32 v[28:29], 0x7f800001
	v_bfe_u32 v32, v30, 16, 7
	s_mov_b32 s23, exec_lo
	s_delay_alu instid0(VALU_DEP_1)
	v_cmpx_ne_u32_e32 0x7f, v32
	s_cbranch_execz .LBB182_392
; %bb.389:                              ;   in Loop: Header=BB182_369 Depth=1
	v_dual_lshrrev_b32 v28, 3, v32 :: v_dual_bitop2_b32 v16, 7, v31 bitop3:0x40
	s_mov_b32 s24, exec_lo
	v_cmpx_gt_u32_e32 8, v32
; %bb.390:                              ;   in Loop: Header=BB182_369 Depth=1
	s_delay_alu instid0(VALU_DEP_2) | instskip(NEXT) | instid1(VALU_DEP_1)
	v_clz_i32_u32_e32 v28, v16
	v_min_u32_e32 v28, 32, v28
	s_delay_alu instid0(VALU_DEP_1) | instskip(SKIP_1) | instid1(VALU_DEP_2)
	v_subrev_nc_u32_e32 v29, 28, v28
	v_sub_nc_u32_e32 v28, 29, v28
	v_lshlrev_b64_e32 v[32:33], v29, v[16:17]
	s_delay_alu instid0(VALU_DEP_1)
	v_and_b32_e32 v16, 7, v32
; %bb.391:                              ;   in Loop: Header=BB182_369 Depth=1
	s_or_b32 exec_lo, exec_lo, s24
	s_delay_alu instid0(VALU_DEP_1) | instskip(SKIP_1) | instid1(VALU_DEP_2)
	v_dual_lshlrev_b32 v29, 24, v31 :: v_dual_lshlrev_b32 v16, 20, v16
	v_lshl_add_u32 v28, v28, 23, 0x3c000000
	v_and_b32_e32 v29, 0x80000000, v29
	s_delay_alu instid0(VALU_DEP_1) | instskip(NEXT) | instid1(VALU_DEP_1)
	v_or3_b32 v16, v16, v29, v28
	v_mov_b64_e32 v[28:29], v[16:17]
.LBB182_392:                            ;   in Loop: Header=BB182_369 Depth=1
	s_or_b32 exec_lo, exec_lo, s23
.LBB182_393:                            ;   in Loop: Header=BB182_369 Depth=1
	s_delay_alu instid0(SALU_CYCLE_1)
	s_or_b32 exec_lo, exec_lo, s9
.LBB182_394:                            ;   in Loop: Header=BB182_369 Depth=1
	s_delay_alu instid0(SALU_CYCLE_1) | instskip(NEXT) | instid1(SALU_CYCLE_1)
	s_or_b32 exec_lo, exec_lo, s0
	s_mov_b32 s0, exec_lo
	v_cmpx_lt_u32_e32 0xffffff, v30
	s_cbranch_execz .LBB182_402
; %bb.395:                              ;   in Loop: Header=BB182_369 Depth=1
	v_mov_b64_e32 v[24:25], 0x8000000000000000
	v_lshrrev_b32_e32 v31, 24, v30
	s_mov_b32 s9, exec_lo
	s_delay_alu instid0(VALU_DEP_1)
	v_cmpx_ne_u32_e32 0x80, v31
	s_cbranch_execz .LBB182_401
; %bb.396:                              ;   in Loop: Header=BB182_369 Depth=1
	v_mov_b64_e32 v[24:25], 0x7f80000100000000
	v_bfe_u32 v30, v30, 24, 7
	s_mov_b32 s23, exec_lo
	s_delay_alu instid0(VALU_DEP_1)
	v_cmpx_ne_u32_e32 0x7f, v30
	s_cbranch_execz .LBB182_400
; %bb.397:                              ;   in Loop: Header=BB182_369 Depth=1
	v_dual_lshrrev_b32 v24, 3, v30 :: v_dual_bitop2_b32 v16, 7, v31 bitop3:0x40
	s_mov_b32 s24, exec_lo
	v_cmpx_gt_u32_e32 8, v30
; %bb.398:                              ;   in Loop: Header=BB182_369 Depth=1
	s_delay_alu instid0(VALU_DEP_2) | instskip(NEXT) | instid1(VALU_DEP_1)
	v_clz_i32_u32_e32 v24, v16
	v_min_u32_e32 v24, 32, v24
	s_delay_alu instid0(VALU_DEP_1) | instskip(SKIP_1) | instid1(VALU_DEP_2)
	v_subrev_nc_u32_e32 v25, 28, v24
	v_sub_nc_u32_e32 v24, 29, v24
	v_lshlrev_b64_e32 v[32:33], v25, v[16:17]
	s_delay_alu instid0(VALU_DEP_1)
	v_and_b32_e32 v16, 7, v32
; %bb.399:                              ;   in Loop: Header=BB182_369 Depth=1
	s_or_b32 exec_lo, exec_lo, s24
	s_delay_alu instid0(VALU_DEP_1) | instskip(SKIP_1) | instid1(VALU_DEP_2)
	v_dual_lshlrev_b32 v25, 24, v31 :: v_dual_lshlrev_b32 v16, 20, v16
	v_lshl_add_u32 v24, v24, 23, 0x3c000000
	v_and_b32_e32 v25, 0x80000000, v25
	s_delay_alu instid0(VALU_DEP_1)
	v_or3_b32 v25, v16, v25, v24
	v_mov_b32_e32 v24, v17
.LBB182_400:                            ;   in Loop: Header=BB182_369 Depth=1
	s_or_b32 exec_lo, exec_lo, s23
.LBB182_401:                            ;   in Loop: Header=BB182_369 Depth=1
	s_delay_alu instid0(SALU_CYCLE_1)
	s_or_b32 exec_lo, exec_lo, s9
.LBB182_402:                            ;   in Loop: Header=BB182_369 Depth=1
	s_delay_alu instid0(SALU_CYCLE_1)
	s_or_b32 exec_lo, exec_lo, s0
	v_dual_add_nc_u32 v43, v70, v42 :: v_dual_bitop2_b32 v1, v1, v23 bitop3:0x54
	v_or_b32_e32 v0, v0, v22
	v_or_b32_e32 v23, v25, v29
	v_or_b32_e32 v22, v24, v28
	v_cmp_eq_u32_e32 vcc_lo, s17, v71
	v_add_nc_u32_e32 v73, 1, v43
	s_wait_kmcnt 0x0
	v_pk_mul_f32 v[24:25], s[8:9], v[0:1] op_sel_hi:[0,1]
	v_dual_add_nc_u32 v65, 2, v43 :: v_dual_add_nc_u32 v64, 3, v43
	v_pk_mul_f32 v[22:23], s[8:9], v[22:23] op_sel_hi:[0,1]
	s_and_saveexec_b32 s9, vcc_lo
	s_cbranch_execz .LBB182_404
; %bb.403:                              ;   in Loop: Header=BB182_369 Depth=1
	v_cmp_gt_i32_e64 s0, s34, v43
	s_delay_alu instid0(VALU_DEP_1) | instskip(SKIP_1) | instid1(VALU_DEP_1)
	v_cndmask_b32_e64 v24, 0, v24, s0
	v_cmp_gt_i32_e64 s0, s34, v73
	v_cndmask_b32_e64 v25, 0, v25, s0
	v_cmp_gt_i32_e64 s0, s34, v65
	s_delay_alu instid0(VALU_DEP_1) | instskip(SKIP_1) | instid1(VALU_DEP_1)
	v_cndmask_b32_e64 v22, 0, v22, s0
	v_cmp_gt_i32_e64 s0, s34, v64
	v_cndmask_b32_e64 v23, 0, v23, s0
.LBB182_404:                            ;   in Loop: Header=BB182_369 Depth=1
	s_or_b32 exec_lo, exec_lo, s9
	global_load_b32 v34, v[26:27], off offset:128
	v_mov_b64_e32 v[0:1], 0
	v_mov_b64_e32 v[28:29], 0
	s_mov_b32 s9, exec_lo
	s_wait_loadcnt 0x0
	v_and_b32_e32 v16, 0xff, v34
	s_delay_alu instid0(VALU_DEP_1)
	v_cmpx_ne_u16_e32 0, v16
	s_cbranch_execz .LBB182_412
; %bb.405:                              ;   in Loop: Header=BB182_369 Depth=1
	v_mov_b64_e32 v[28:29], 0x80000000
	s_mov_b32 s23, exec_lo
	v_cmpx_ne_u16_e32 0x80, v16
	s_cbranch_execz .LBB182_411
; %bb.406:                              ;   in Loop: Header=BB182_369 Depth=1
	v_mov_b64_e32 v[28:29], 0x7f800001
	v_and_b32_e32 v30, 0x7f, v34
	s_mov_b32 s24, exec_lo
	s_delay_alu instid0(VALU_DEP_1)
	v_cmpx_ne_u32_e32 0x7f, v30
	s_cbranch_execz .LBB182_410
; %bb.407:                              ;   in Loop: Header=BB182_369 Depth=1
	v_and_b32_e32 v16, 7, v34
	v_lshrrev_b32_e32 v28, 3, v30
	s_mov_b32 s25, exec_lo
	v_cmpx_gt_u32_e32 8, v30
; %bb.408:                              ;   in Loop: Header=BB182_369 Depth=1
	s_delay_alu instid0(VALU_DEP_3) | instskip(NEXT) | instid1(VALU_DEP_1)
	v_clz_i32_u32_e32 v28, v16
	v_min_u32_e32 v28, 32, v28
	s_delay_alu instid0(VALU_DEP_1) | instskip(NEXT) | instid1(VALU_DEP_1)
	v_subrev_nc_u32_e32 v29, 28, v28
	v_lshlrev_b64_e32 v[30:31], v29, v[16:17]
	s_delay_alu instid0(VALU_DEP_1)
	v_dual_sub_nc_u32 v28, 29, v28 :: v_dual_bitop2_b32 v16, 7, v30 bitop3:0x40
; %bb.409:                              ;   in Loop: Header=BB182_369 Depth=1
	s_or_b32 exec_lo, exec_lo, s25
	s_delay_alu instid0(VALU_DEP_1) | instskip(NEXT) | instid1(VALU_DEP_2)
	v_dual_lshlrev_b32 v29, 24, v34 :: v_dual_lshlrev_b32 v16, 20, v16
	v_lshl_add_u32 v28, v28, 23, 0x3c000000
	s_delay_alu instid0(VALU_DEP_2) | instskip(NEXT) | instid1(VALU_DEP_1)
	v_and_b32_e32 v29, 0x80000000, v29
	v_or3_b32 v16, v16, v29, v28
	s_delay_alu instid0(VALU_DEP_1)
	v_mov_b64_e32 v[28:29], v[16:17]
.LBB182_410:                            ;   in Loop: Header=BB182_369 Depth=1
	s_or_b32 exec_lo, exec_lo, s24
.LBB182_411:                            ;   in Loop: Header=BB182_369 Depth=1
	s_delay_alu instid0(SALU_CYCLE_1)
	s_or_b32 exec_lo, exec_lo, s23
.LBB182_412:                            ;   in Loop: Header=BB182_369 Depth=1
	s_delay_alu instid0(SALU_CYCLE_1) | instskip(SKIP_2) | instid1(VALU_DEP_1)
	s_or_b32 exec_lo, exec_lo, s9
	v_lshrrev_b16 v16, 8, v34
	s_mov_b32 s9, exec_lo
	v_cmpx_ne_u16_e32 0, v16
	s_cbranch_execz .LBB182_420
; %bb.413:                              ;   in Loop: Header=BB182_369 Depth=1
	v_mov_b64_e32 v[0:1], 0x8000000000000000
	s_mov_b32 s23, exec_lo
	v_cmpx_ne_u16_e32 0x80, v16
	s_cbranch_execz .LBB182_419
; %bb.414:                              ;   in Loop: Header=BB182_369 Depth=1
	v_and_b32_e32 v16, 0xffff, v16
	v_mov_b64_e32 v[0:1], 0x7f80000100000000
	s_mov_b32 s24, exec_lo
	s_delay_alu instid0(VALU_DEP_2) | instskip(NEXT) | instid1(VALU_DEP_1)
	v_and_b32_e32 v30, 0x7f, v16
	v_cmpx_ne_u32_e32 0x7f, v30
	s_cbranch_execz .LBB182_418
; %bb.415:                              ;   in Loop: Header=BB182_369 Depth=1
	v_dual_lshrrev_b32 v0, 3, v30 :: v_dual_bitop2_b32 v16, 7, v16 bitop3:0x40
	s_mov_b32 s25, exec_lo
	v_cmpx_gt_u32_e32 8, v30
; %bb.416:                              ;   in Loop: Header=BB182_369 Depth=1
	s_delay_alu instid0(VALU_DEP_2) | instskip(NEXT) | instid1(VALU_DEP_1)
	v_clz_i32_u32_e32 v0, v16
	v_min_u32_e32 v0, 32, v0
	s_delay_alu instid0(VALU_DEP_1) | instskip(NEXT) | instid1(VALU_DEP_1)
	v_subrev_nc_u32_e32 v1, 28, v0
	v_lshlrev_b64_e32 v[30:31], v1, v[16:17]
	s_delay_alu instid0(VALU_DEP_1)
	v_dual_sub_nc_u32 v0, 29, v0 :: v_dual_bitop2_b32 v16, 7, v30 bitop3:0x40
; %bb.417:                              ;   in Loop: Header=BB182_369 Depth=1
	s_or_b32 exec_lo, exec_lo, s25
	s_delay_alu instid0(VALU_DEP_1) | instskip(NEXT) | instid1(VALU_DEP_2)
	v_dual_lshlrev_b32 v1, 16, v34 :: v_dual_lshlrev_b32 v16, 20, v16
	v_lshl_add_u32 v0, v0, 23, 0x3c000000
	s_delay_alu instid0(VALU_DEP_2) | instskip(NEXT) | instid1(VALU_DEP_1)
	v_and_b32_e32 v1, 0x80000000, v1
	v_or3_b32 v1, v16, v1, v0
	v_mov_b32_e32 v0, v17
.LBB182_418:                            ;   in Loop: Header=BB182_369 Depth=1
	s_or_b32 exec_lo, exec_lo, s24
.LBB182_419:                            ;   in Loop: Header=BB182_369 Depth=1
	s_delay_alu instid0(SALU_CYCLE_1)
	s_or_b32 exec_lo, exec_lo, s23
.LBB182_420:                            ;   in Loop: Header=BB182_369 Depth=1
	s_delay_alu instid0(SALU_CYCLE_1) | instskip(SKIP_4) | instid1(VALU_DEP_3)
	s_or_b32 exec_lo, exec_lo, s9
	v_lshrrev_b32_e32 v35, 16, v34
	v_mov_b64_e32 v[30:31], 0
	v_mov_b64_e32 v[32:33], 0
	s_mov_b32 s9, exec_lo
	v_and_b32_e32 v16, 0xff, v35
	s_delay_alu instid0(VALU_DEP_1)
	v_cmpx_ne_u16_e32 0, v16
	s_cbranch_execz .LBB182_428
; %bb.421:                              ;   in Loop: Header=BB182_369 Depth=1
	v_mov_b64_e32 v[32:33], 0x80000000
	s_mov_b32 s23, exec_lo
	v_cmpx_ne_u16_e32 0x80, v16
	s_cbranch_execz .LBB182_427
; %bb.422:                              ;   in Loop: Header=BB182_369 Depth=1
	v_mov_b64_e32 v[32:33], 0x7f800001
	v_bfe_u32 v36, v34, 16, 7
	s_mov_b32 s24, exec_lo
	s_delay_alu instid0(VALU_DEP_1)
	v_cmpx_ne_u32_e32 0x7f, v36
	s_cbranch_execz .LBB182_426
; %bb.423:                              ;   in Loop: Header=BB182_369 Depth=1
	v_dual_lshrrev_b32 v32, 3, v36 :: v_dual_bitop2_b32 v16, 7, v35 bitop3:0x40
	s_mov_b32 s25, exec_lo
	v_cmpx_gt_u32_e32 8, v36
; %bb.424:                              ;   in Loop: Header=BB182_369 Depth=1
	s_delay_alu instid0(VALU_DEP_2) | instskip(NEXT) | instid1(VALU_DEP_1)
	v_clz_i32_u32_e32 v32, v16
	v_min_u32_e32 v32, 32, v32
	s_delay_alu instid0(VALU_DEP_1) | instskip(SKIP_1) | instid1(VALU_DEP_2)
	v_subrev_nc_u32_e32 v33, 28, v32
	v_sub_nc_u32_e32 v32, 29, v32
	v_lshlrev_b64_e32 v[36:37], v33, v[16:17]
	s_delay_alu instid0(VALU_DEP_1)
	v_and_b32_e32 v16, 7, v36
; %bb.425:                              ;   in Loop: Header=BB182_369 Depth=1
	s_or_b32 exec_lo, exec_lo, s25
	s_delay_alu instid0(VALU_DEP_1) | instskip(SKIP_1) | instid1(VALU_DEP_2)
	v_dual_lshlrev_b32 v33, 24, v35 :: v_dual_lshlrev_b32 v16, 20, v16
	v_lshl_add_u32 v32, v32, 23, 0x3c000000
	v_and_b32_e32 v33, 0x80000000, v33
	s_delay_alu instid0(VALU_DEP_1) | instskip(NEXT) | instid1(VALU_DEP_1)
	v_or3_b32 v16, v16, v33, v32
	v_mov_b64_e32 v[32:33], v[16:17]
.LBB182_426:                            ;   in Loop: Header=BB182_369 Depth=1
	s_or_b32 exec_lo, exec_lo, s24
.LBB182_427:                            ;   in Loop: Header=BB182_369 Depth=1
	s_delay_alu instid0(SALU_CYCLE_1)
	s_or_b32 exec_lo, exec_lo, s23
.LBB182_428:                            ;   in Loop: Header=BB182_369 Depth=1
	s_delay_alu instid0(SALU_CYCLE_1) | instskip(NEXT) | instid1(SALU_CYCLE_1)
	s_or_b32 exec_lo, exec_lo, s9
	s_mov_b32 s9, exec_lo
	v_cmpx_lt_u32_e32 0xffffff, v34
	s_cbranch_execz .LBB182_436
; %bb.429:                              ;   in Loop: Header=BB182_369 Depth=1
	v_mov_b64_e32 v[30:31], 0x8000000000000000
	v_lshrrev_b32_e32 v35, 24, v34
	s_mov_b32 s23, exec_lo
	s_delay_alu instid0(VALU_DEP_1)
	v_cmpx_ne_u32_e32 0x80, v35
	s_cbranch_execz .LBB182_435
; %bb.430:                              ;   in Loop: Header=BB182_369 Depth=1
	v_mov_b64_e32 v[30:31], 0x7f80000100000000
	v_bfe_u32 v34, v34, 24, 7
	s_mov_b32 s24, exec_lo
	s_delay_alu instid0(VALU_DEP_1)
	v_cmpx_ne_u32_e32 0x7f, v34
	s_cbranch_execz .LBB182_434
; %bb.431:                              ;   in Loop: Header=BB182_369 Depth=1
	v_dual_lshrrev_b32 v30, 3, v34 :: v_dual_bitop2_b32 v16, 7, v35 bitop3:0x40
	s_mov_b32 s25, exec_lo
	v_cmpx_gt_u32_e32 8, v34
; %bb.432:                              ;   in Loop: Header=BB182_369 Depth=1
	s_delay_alu instid0(VALU_DEP_2) | instskip(NEXT) | instid1(VALU_DEP_1)
	v_clz_i32_u32_e32 v30, v16
	v_min_u32_e32 v30, 32, v30
	s_delay_alu instid0(VALU_DEP_1) | instskip(NEXT) | instid1(VALU_DEP_1)
	v_subrev_nc_u32_e32 v31, 28, v30
	v_lshlrev_b64_e32 v[36:37], v31, v[16:17]
	s_delay_alu instid0(VALU_DEP_1)
	v_dual_sub_nc_u32 v30, 29, v30 :: v_dual_bitop2_b32 v16, 7, v36 bitop3:0x40
; %bb.433:                              ;   in Loop: Header=BB182_369 Depth=1
	s_or_b32 exec_lo, exec_lo, s25
	s_delay_alu instid0(VALU_DEP_1) | instskip(NEXT) | instid1(VALU_DEP_2)
	v_dual_lshlrev_b32 v31, 24, v35 :: v_dual_lshlrev_b32 v16, 20, v16
	v_lshl_add_u32 v30, v30, 23, 0x3c000000
	s_delay_alu instid0(VALU_DEP_2) | instskip(NEXT) | instid1(VALU_DEP_1)
	v_and_b32_e32 v31, 0x80000000, v31
	v_or3_b32 v31, v16, v31, v30
	v_mov_b32_e32 v30, v17
.LBB182_434:                            ;   in Loop: Header=BB182_369 Depth=1
	s_or_b32 exec_lo, exec_lo, s24
.LBB182_435:                            ;   in Loop: Header=BB182_369 Depth=1
	s_delay_alu instid0(SALU_CYCLE_1)
	s_or_b32 exec_lo, exec_lo, s23
.LBB182_436:                            ;   in Loop: Header=BB182_369 Depth=1
	s_delay_alu instid0(SALU_CYCLE_1)
	s_or_b32 exec_lo, exec_lo, s9
	s_mov_b32 s9, s8
	v_or_b32_e32 v1, v1, v29
	v_or_b32_e32 v0, v0, v28
	v_mov_b64_e32 v[28:29], s[8:9]
	v_or_b32_e32 v33, v31, v33
	v_or_b32_e32 v32, v30, v32
	s_delay_alu instid0(VALU_DEP_3) | instskip(NEXT) | instid1(VALU_DEP_2)
	v_pk_mul_f32 v[30:31], v[28:29], v[0:1]
	v_pk_mul_f32 v[28:29], v[28:29], v[32:33]
	s_and_saveexec_b32 s23, vcc_lo
	s_cbranch_execz .LBB182_438
; %bb.437:                              ;   in Loop: Header=BB182_369 Depth=1
	v_cmp_gt_i32_e64 s0, s34, v43
	s_delay_alu instid0(VALU_DEP_1) | instskip(SKIP_1) | instid1(VALU_DEP_1)
	v_cndmask_b32_e64 v30, 0, v30, s0
	v_cmp_gt_i32_e64 s0, s34, v73
	v_cndmask_b32_e64 v31, 0, v31, s0
	v_cmp_gt_i32_e64 s0, s34, v65
	s_delay_alu instid0(VALU_DEP_1) | instskip(SKIP_1) | instid1(VALU_DEP_1)
	v_cndmask_b32_e64 v28, 0, v28, s0
	v_cmp_gt_i32_e64 s0, s34, v64
	v_cndmask_b32_e64 v29, 0, v29, s0
.LBB182_438:                            ;   in Loop: Header=BB182_369 Depth=1
	s_or_b32 exec_lo, exec_lo, s23
	global_load_b32 v38, v[26:27], off offset:256
	v_mov_b64_e32 v[0:1], 0
	v_mov_b64_e32 v[32:33], 0
	s_mov_b32 s23, exec_lo
	s_wait_loadcnt 0x0
	v_and_b32_e32 v16, 0xff, v38
	s_delay_alu instid0(VALU_DEP_1)
	v_cmpx_ne_u16_e32 0, v16
	s_cbranch_execz .LBB182_446
; %bb.439:                              ;   in Loop: Header=BB182_369 Depth=1
	v_mov_b64_e32 v[32:33], 0x80000000
	s_mov_b32 s24, exec_lo
	v_cmpx_ne_u16_e32 0x80, v16
	s_cbranch_execz .LBB182_445
; %bb.440:                              ;   in Loop: Header=BB182_369 Depth=1
	v_mov_b64_e32 v[32:33], 0x7f800001
	v_and_b32_e32 v34, 0x7f, v38
	s_mov_b32 s25, exec_lo
	s_delay_alu instid0(VALU_DEP_1)
	v_cmpx_ne_u32_e32 0x7f, v34
	s_cbranch_execz .LBB182_444
; %bb.441:                              ;   in Loop: Header=BB182_369 Depth=1
	v_and_b32_e32 v16, 7, v38
	v_lshrrev_b32_e32 v32, 3, v34
	s_mov_b32 s27, exec_lo
	v_cmpx_gt_u32_e32 8, v34
; %bb.442:                              ;   in Loop: Header=BB182_369 Depth=1
	s_delay_alu instid0(VALU_DEP_3) | instskip(NEXT) | instid1(VALU_DEP_1)
	v_clz_i32_u32_e32 v32, v16
	v_min_u32_e32 v32, 32, v32
	s_delay_alu instid0(VALU_DEP_1) | instskip(NEXT) | instid1(VALU_DEP_1)
	v_subrev_nc_u32_e32 v33, 28, v32
	v_lshlrev_b64_e32 v[34:35], v33, v[16:17]
	s_delay_alu instid0(VALU_DEP_1)
	v_dual_sub_nc_u32 v32, 29, v32 :: v_dual_bitop2_b32 v16, 7, v34 bitop3:0x40
; %bb.443:                              ;   in Loop: Header=BB182_369 Depth=1
	s_or_b32 exec_lo, exec_lo, s27
	s_delay_alu instid0(VALU_DEP_1) | instskip(NEXT) | instid1(VALU_DEP_2)
	v_dual_lshlrev_b32 v33, 24, v38 :: v_dual_lshlrev_b32 v16, 20, v16
	v_lshl_add_u32 v32, v32, 23, 0x3c000000
	s_delay_alu instid0(VALU_DEP_2) | instskip(NEXT) | instid1(VALU_DEP_1)
	v_and_b32_e32 v33, 0x80000000, v33
	v_or3_b32 v16, v16, v33, v32
	s_delay_alu instid0(VALU_DEP_1)
	v_mov_b64_e32 v[32:33], v[16:17]
.LBB182_444:                            ;   in Loop: Header=BB182_369 Depth=1
	s_or_b32 exec_lo, exec_lo, s25
.LBB182_445:                            ;   in Loop: Header=BB182_369 Depth=1
	s_delay_alu instid0(SALU_CYCLE_1)
	s_or_b32 exec_lo, exec_lo, s24
.LBB182_446:                            ;   in Loop: Header=BB182_369 Depth=1
	s_delay_alu instid0(SALU_CYCLE_1) | instskip(SKIP_2) | instid1(VALU_DEP_1)
	s_or_b32 exec_lo, exec_lo, s23
	v_lshrrev_b16 v16, 8, v38
	s_mov_b32 s23, exec_lo
	v_cmpx_ne_u16_e32 0, v16
	s_cbranch_execz .LBB182_454
; %bb.447:                              ;   in Loop: Header=BB182_369 Depth=1
	v_mov_b64_e32 v[0:1], 0x8000000000000000
	s_mov_b32 s24, exec_lo
	v_cmpx_ne_u16_e32 0x80, v16
	s_cbranch_execz .LBB182_453
; %bb.448:                              ;   in Loop: Header=BB182_369 Depth=1
	v_and_b32_e32 v16, 0xffff, v16
	v_mov_b64_e32 v[0:1], 0x7f80000100000000
	s_mov_b32 s25, exec_lo
	s_delay_alu instid0(VALU_DEP_2) | instskip(NEXT) | instid1(VALU_DEP_1)
	v_and_b32_e32 v34, 0x7f, v16
	v_cmpx_ne_u32_e32 0x7f, v34
	s_cbranch_execz .LBB182_452
; %bb.449:                              ;   in Loop: Header=BB182_369 Depth=1
	v_dual_lshrrev_b32 v0, 3, v34 :: v_dual_bitop2_b32 v16, 7, v16 bitop3:0x40
	s_mov_b32 s27, exec_lo
	v_cmpx_gt_u32_e32 8, v34
; %bb.450:                              ;   in Loop: Header=BB182_369 Depth=1
	s_delay_alu instid0(VALU_DEP_2) | instskip(NEXT) | instid1(VALU_DEP_1)
	v_clz_i32_u32_e32 v0, v16
	v_min_u32_e32 v0, 32, v0
	s_delay_alu instid0(VALU_DEP_1) | instskip(NEXT) | instid1(VALU_DEP_1)
	v_subrev_nc_u32_e32 v1, 28, v0
	v_lshlrev_b64_e32 v[34:35], v1, v[16:17]
	s_delay_alu instid0(VALU_DEP_1)
	v_dual_sub_nc_u32 v0, 29, v0 :: v_dual_bitop2_b32 v16, 7, v34 bitop3:0x40
; %bb.451:                              ;   in Loop: Header=BB182_369 Depth=1
	s_or_b32 exec_lo, exec_lo, s27
	s_delay_alu instid0(VALU_DEP_1) | instskip(NEXT) | instid1(VALU_DEP_2)
	v_dual_lshlrev_b32 v1, 16, v38 :: v_dual_lshlrev_b32 v16, 20, v16
	v_lshl_add_u32 v0, v0, 23, 0x3c000000
	s_delay_alu instid0(VALU_DEP_2) | instskip(NEXT) | instid1(VALU_DEP_1)
	v_and_b32_e32 v1, 0x80000000, v1
	v_or3_b32 v1, v16, v1, v0
	v_mov_b32_e32 v0, v17
.LBB182_452:                            ;   in Loop: Header=BB182_369 Depth=1
	s_or_b32 exec_lo, exec_lo, s25
.LBB182_453:                            ;   in Loop: Header=BB182_369 Depth=1
	s_delay_alu instid0(SALU_CYCLE_1)
	s_or_b32 exec_lo, exec_lo, s24
.LBB182_454:                            ;   in Loop: Header=BB182_369 Depth=1
	s_delay_alu instid0(SALU_CYCLE_1) | instskip(SKIP_4) | instid1(VALU_DEP_3)
	s_or_b32 exec_lo, exec_lo, s23
	v_lshrrev_b32_e32 v39, 16, v38
	v_mov_b64_e32 v[34:35], 0
	v_mov_b64_e32 v[36:37], 0
	s_mov_b32 s23, exec_lo
	v_and_b32_e32 v16, 0xff, v39
	s_delay_alu instid0(VALU_DEP_1)
	v_cmpx_ne_u16_e32 0, v16
	s_cbranch_execz .LBB182_462
; %bb.455:                              ;   in Loop: Header=BB182_369 Depth=1
	v_mov_b64_e32 v[36:37], 0x80000000
	s_mov_b32 s24, exec_lo
	v_cmpx_ne_u16_e32 0x80, v16
	s_cbranch_execz .LBB182_461
; %bb.456:                              ;   in Loop: Header=BB182_369 Depth=1
	v_mov_b64_e32 v[36:37], 0x7f800001
	v_bfe_u32 v40, v38, 16, 7
	s_mov_b32 s25, exec_lo
	s_delay_alu instid0(VALU_DEP_1)
	v_cmpx_ne_u32_e32 0x7f, v40
	s_cbranch_execz .LBB182_460
; %bb.457:                              ;   in Loop: Header=BB182_369 Depth=1
	v_dual_lshrrev_b32 v36, 3, v40 :: v_dual_bitop2_b32 v16, 7, v39 bitop3:0x40
	s_mov_b32 s27, exec_lo
	v_cmpx_gt_u32_e32 8, v40
; %bb.458:                              ;   in Loop: Header=BB182_369 Depth=1
	s_delay_alu instid0(VALU_DEP_2) | instskip(NEXT) | instid1(VALU_DEP_1)
	v_clz_i32_u32_e32 v36, v16
	v_min_u32_e32 v36, 32, v36
	s_delay_alu instid0(VALU_DEP_1) | instskip(SKIP_1) | instid1(VALU_DEP_2)
	v_subrev_nc_u32_e32 v37, 28, v36
	v_sub_nc_u32_e32 v36, 29, v36
	v_lshlrev_b64_e32 v[40:41], v37, v[16:17]
	s_delay_alu instid0(VALU_DEP_1)
	v_and_b32_e32 v16, 7, v40
; %bb.459:                              ;   in Loop: Header=BB182_369 Depth=1
	s_or_b32 exec_lo, exec_lo, s27
	s_delay_alu instid0(VALU_DEP_1) | instskip(SKIP_1) | instid1(VALU_DEP_2)
	v_dual_lshlrev_b32 v37, 24, v39 :: v_dual_lshlrev_b32 v16, 20, v16
	v_lshl_add_u32 v36, v36, 23, 0x3c000000
	v_and_b32_e32 v37, 0x80000000, v37
	s_delay_alu instid0(VALU_DEP_1) | instskip(NEXT) | instid1(VALU_DEP_1)
	v_or3_b32 v16, v16, v37, v36
	v_mov_b64_e32 v[36:37], v[16:17]
.LBB182_460:                            ;   in Loop: Header=BB182_369 Depth=1
	s_or_b32 exec_lo, exec_lo, s25
.LBB182_461:                            ;   in Loop: Header=BB182_369 Depth=1
	s_delay_alu instid0(SALU_CYCLE_1)
	s_or_b32 exec_lo, exec_lo, s24
.LBB182_462:                            ;   in Loop: Header=BB182_369 Depth=1
	s_delay_alu instid0(SALU_CYCLE_1) | instskip(NEXT) | instid1(SALU_CYCLE_1)
	s_or_b32 exec_lo, exec_lo, s23
	s_mov_b32 s23, exec_lo
	v_cmpx_lt_u32_e32 0xffffff, v38
	s_cbranch_execz .LBB182_470
; %bb.463:                              ;   in Loop: Header=BB182_369 Depth=1
	v_mov_b64_e32 v[34:35], 0x8000000000000000
	v_lshrrev_b32_e32 v39, 24, v38
	s_mov_b32 s24, exec_lo
	s_delay_alu instid0(VALU_DEP_1)
	v_cmpx_ne_u32_e32 0x80, v39
	s_cbranch_execz .LBB182_469
; %bb.464:                              ;   in Loop: Header=BB182_369 Depth=1
	v_mov_b64_e32 v[34:35], 0x7f80000100000000
	v_bfe_u32 v38, v38, 24, 7
	s_mov_b32 s25, exec_lo
	s_delay_alu instid0(VALU_DEP_1)
	v_cmpx_ne_u32_e32 0x7f, v38
	s_cbranch_execz .LBB182_468
; %bb.465:                              ;   in Loop: Header=BB182_369 Depth=1
	v_dual_lshrrev_b32 v34, 3, v38 :: v_dual_bitop2_b32 v16, 7, v39 bitop3:0x40
	s_mov_b32 s27, exec_lo
	v_cmpx_gt_u32_e32 8, v38
; %bb.466:                              ;   in Loop: Header=BB182_369 Depth=1
	s_delay_alu instid0(VALU_DEP_2) | instskip(NEXT) | instid1(VALU_DEP_1)
	v_clz_i32_u32_e32 v34, v16
	v_min_u32_e32 v34, 32, v34
	s_delay_alu instid0(VALU_DEP_1) | instskip(NEXT) | instid1(VALU_DEP_1)
	v_subrev_nc_u32_e32 v35, 28, v34
	v_lshlrev_b64_e32 v[40:41], v35, v[16:17]
	s_delay_alu instid0(VALU_DEP_1)
	v_dual_sub_nc_u32 v34, 29, v34 :: v_dual_bitop2_b32 v16, 7, v40 bitop3:0x40
; %bb.467:                              ;   in Loop: Header=BB182_369 Depth=1
	s_or_b32 exec_lo, exec_lo, s27
	s_delay_alu instid0(VALU_DEP_1) | instskip(NEXT) | instid1(VALU_DEP_2)
	v_dual_lshlrev_b32 v35, 24, v39 :: v_dual_lshlrev_b32 v16, 20, v16
	v_lshl_add_u32 v34, v34, 23, 0x3c000000
	s_delay_alu instid0(VALU_DEP_2) | instskip(NEXT) | instid1(VALU_DEP_1)
	v_and_b32_e32 v35, 0x80000000, v35
	v_or3_b32 v35, v16, v35, v34
	v_mov_b32_e32 v34, v17
.LBB182_468:                            ;   in Loop: Header=BB182_369 Depth=1
	s_or_b32 exec_lo, exec_lo, s25
.LBB182_469:                            ;   in Loop: Header=BB182_369 Depth=1
	s_delay_alu instid0(SALU_CYCLE_1)
	s_or_b32 exec_lo, exec_lo, s24
.LBB182_470:                            ;   in Loop: Header=BB182_369 Depth=1
	s_delay_alu instid0(SALU_CYCLE_1)
	s_or_b32 exec_lo, exec_lo, s23
	v_or_b32_e32 v1, v1, v33
	v_or_b32_e32 v0, v0, v32
	v_mov_b64_e32 v[32:33], s[8:9]
	v_or_b32_e32 v37, v35, v37
	v_or_b32_e32 v36, v34, v36
	s_delay_alu instid0(VALU_DEP_3) | instskip(NEXT) | instid1(VALU_DEP_2)
	v_pk_mul_f32 v[34:35], v[32:33], v[0:1]
	v_pk_mul_f32 v[32:33], v[32:33], v[36:37]
	s_and_saveexec_b32 s23, vcc_lo
	s_cbranch_execz .LBB182_472
; %bb.471:                              ;   in Loop: Header=BB182_369 Depth=1
	v_cmp_gt_i32_e64 s0, s34, v43
	s_delay_alu instid0(VALU_DEP_1) | instskip(SKIP_1) | instid1(VALU_DEP_1)
	v_cndmask_b32_e64 v34, 0, v34, s0
	v_cmp_gt_i32_e64 s0, s34, v73
	v_cndmask_b32_e64 v35, 0, v35, s0
	v_cmp_gt_i32_e64 s0, s34, v65
	s_delay_alu instid0(VALU_DEP_1) | instskip(SKIP_1) | instid1(VALU_DEP_1)
	v_cndmask_b32_e64 v32, 0, v32, s0
	v_cmp_gt_i32_e64 s0, s34, v64
	v_cndmask_b32_e64 v33, 0, v33, s0
.LBB182_472:                            ;   in Loop: Header=BB182_369 Depth=1
	s_or_b32 exec_lo, exec_lo, s23
	global_load_b32 v44, v[26:27], off offset:384
	v_mov_b64_e32 v[0:1], 0
	v_mov_b64_e32 v[36:37], 0
	s_mov_b32 s23, exec_lo
	s_wait_loadcnt 0x0
	v_and_b32_e32 v16, 0xff, v44
	s_delay_alu instid0(VALU_DEP_1)
	v_cmpx_ne_u16_e32 0, v16
	s_cbranch_execz .LBB182_480
; %bb.473:                              ;   in Loop: Header=BB182_369 Depth=1
	v_mov_b64_e32 v[36:37], 0x80000000
	s_mov_b32 s24, exec_lo
	v_cmpx_ne_u16_e32 0x80, v16
	s_cbranch_execz .LBB182_479
; %bb.474:                              ;   in Loop: Header=BB182_369 Depth=1
	v_mov_b64_e32 v[36:37], 0x7f800001
	v_and_b32_e32 v38, 0x7f, v44
	s_mov_b32 s25, exec_lo
	s_delay_alu instid0(VALU_DEP_1)
	v_cmpx_ne_u32_e32 0x7f, v38
	s_cbranch_execz .LBB182_478
; %bb.475:                              ;   in Loop: Header=BB182_369 Depth=1
	v_dual_lshrrev_b32 v36, 3, v38 :: v_dual_bitop2_b32 v16, 7, v44 bitop3:0x40
	s_mov_b32 s27, exec_lo
	v_cmpx_gt_u32_e32 8, v38
; %bb.476:                              ;   in Loop: Header=BB182_369 Depth=1
	s_delay_alu instid0(VALU_DEP_2) | instskip(NEXT) | instid1(VALU_DEP_1)
	v_clz_i32_u32_e32 v36, v16
	v_min_u32_e32 v36, 32, v36
	s_delay_alu instid0(VALU_DEP_1) | instskip(NEXT) | instid1(VALU_DEP_1)
	v_subrev_nc_u32_e32 v37, 28, v36
	v_lshlrev_b64_e32 v[38:39], v37, v[16:17]
	s_delay_alu instid0(VALU_DEP_1)
	v_dual_sub_nc_u32 v36, 29, v36 :: v_dual_bitop2_b32 v16, 7, v38 bitop3:0x40
; %bb.477:                              ;   in Loop: Header=BB182_369 Depth=1
	s_or_b32 exec_lo, exec_lo, s27
	v_lshlrev_b32_e32 v37, 24, v44
	s_delay_alu instid0(VALU_DEP_2) | instskip(NEXT) | instid1(VALU_DEP_3)
	v_lshlrev_b32_e32 v16, 20, v16
	v_lshl_add_u32 v36, v36, 23, 0x3c000000
	s_delay_alu instid0(VALU_DEP_3) | instskip(NEXT) | instid1(VALU_DEP_1)
	v_and_b32_e32 v37, 0x80000000, v37
	v_or3_b32 v16, v16, v37, v36
	s_delay_alu instid0(VALU_DEP_1)
	v_mov_b64_e32 v[36:37], v[16:17]
.LBB182_478:                            ;   in Loop: Header=BB182_369 Depth=1
	s_or_b32 exec_lo, exec_lo, s25
.LBB182_479:                            ;   in Loop: Header=BB182_369 Depth=1
	s_delay_alu instid0(SALU_CYCLE_1)
	s_or_b32 exec_lo, exec_lo, s24
.LBB182_480:                            ;   in Loop: Header=BB182_369 Depth=1
	s_delay_alu instid0(SALU_CYCLE_1) | instskip(SKIP_2) | instid1(VALU_DEP_1)
	s_or_b32 exec_lo, exec_lo, s23
	v_lshrrev_b16 v16, 8, v44
	s_mov_b32 s23, exec_lo
	v_cmpx_ne_u16_e32 0, v16
	s_cbranch_execz .LBB182_488
; %bb.481:                              ;   in Loop: Header=BB182_369 Depth=1
	v_mov_b64_e32 v[0:1], 0x8000000000000000
	s_mov_b32 s24, exec_lo
	v_cmpx_ne_u16_e32 0x80, v16
	s_cbranch_execz .LBB182_487
; %bb.482:                              ;   in Loop: Header=BB182_369 Depth=1
	v_and_b32_e32 v16, 0xffff, v16
	v_mov_b64_e32 v[0:1], 0x7f80000100000000
	s_mov_b32 s25, exec_lo
	s_delay_alu instid0(VALU_DEP_2) | instskip(NEXT) | instid1(VALU_DEP_1)
	v_and_b32_e32 v38, 0x7f, v16
	v_cmpx_ne_u32_e32 0x7f, v38
	s_cbranch_execz .LBB182_486
; %bb.483:                              ;   in Loop: Header=BB182_369 Depth=1
	v_dual_lshrrev_b32 v0, 3, v38 :: v_dual_bitop2_b32 v16, 7, v16 bitop3:0x40
	s_mov_b32 s27, exec_lo
	v_cmpx_gt_u32_e32 8, v38
; %bb.484:                              ;   in Loop: Header=BB182_369 Depth=1
	s_delay_alu instid0(VALU_DEP_2) | instskip(NEXT) | instid1(VALU_DEP_1)
	v_clz_i32_u32_e32 v0, v16
	v_min_u32_e32 v0, 32, v0
	s_delay_alu instid0(VALU_DEP_1) | instskip(NEXT) | instid1(VALU_DEP_1)
	v_subrev_nc_u32_e32 v1, 28, v0
	v_lshlrev_b64_e32 v[38:39], v1, v[16:17]
	s_delay_alu instid0(VALU_DEP_1)
	v_dual_sub_nc_u32 v0, 29, v0 :: v_dual_bitop2_b32 v16, 7, v38 bitop3:0x40
; %bb.485:                              ;   in Loop: Header=BB182_369 Depth=1
	s_or_b32 exec_lo, exec_lo, s27
	v_lshlrev_b32_e32 v1, 16, v44
	s_delay_alu instid0(VALU_DEP_2) | instskip(NEXT) | instid1(VALU_DEP_3)
	v_lshlrev_b32_e32 v16, 20, v16
	v_lshl_add_u32 v0, v0, 23, 0x3c000000
	s_delay_alu instid0(VALU_DEP_3) | instskip(NEXT) | instid1(VALU_DEP_1)
	v_and_b32_e32 v1, 0x80000000, v1
	v_or3_b32 v1, v16, v1, v0
	v_mov_b32_e32 v0, v17
.LBB182_486:                            ;   in Loop: Header=BB182_369 Depth=1
	s_or_b32 exec_lo, exec_lo, s25
.LBB182_487:                            ;   in Loop: Header=BB182_369 Depth=1
	s_delay_alu instid0(SALU_CYCLE_1)
	s_or_b32 exec_lo, exec_lo, s24
.LBB182_488:                            ;   in Loop: Header=BB182_369 Depth=1
	s_delay_alu instid0(SALU_CYCLE_1) | instskip(SKIP_4) | instid1(VALU_DEP_3)
	s_or_b32 exec_lo, exec_lo, s23
	v_lshrrev_b32_e32 v45, 16, v44
	v_mov_b64_e32 v[38:39], 0
	v_mov_b64_e32 v[40:41], 0
	s_mov_b32 s23, exec_lo
	v_and_b32_e32 v16, 0xff, v45
	s_delay_alu instid0(VALU_DEP_1)
	v_cmpx_ne_u16_e32 0, v16
	s_cbranch_execz .LBB182_496
; %bb.489:                              ;   in Loop: Header=BB182_369 Depth=1
	v_mov_b64_e32 v[40:41], 0x80000000
	s_mov_b32 s24, exec_lo
	v_cmpx_ne_u16_e32 0x80, v16
	s_cbranch_execz .LBB182_495
; %bb.490:                              ;   in Loop: Header=BB182_369 Depth=1
	v_mov_b64_e32 v[40:41], 0x7f800001
	v_bfe_u32 v46, v44, 16, 7
	s_mov_b32 s25, exec_lo
	s_delay_alu instid0(VALU_DEP_1)
	v_cmpx_ne_u32_e32 0x7f, v46
	s_cbranch_execz .LBB182_494
; %bb.491:                              ;   in Loop: Header=BB182_369 Depth=1
	v_dual_lshrrev_b32 v40, 3, v46 :: v_dual_bitop2_b32 v16, 7, v45 bitop3:0x40
	s_mov_b32 s27, exec_lo
	v_cmpx_gt_u32_e32 8, v46
; %bb.492:                              ;   in Loop: Header=BB182_369 Depth=1
	s_delay_alu instid0(VALU_DEP_2) | instskip(NEXT) | instid1(VALU_DEP_1)
	v_clz_i32_u32_e32 v40, v16
	v_min_u32_e32 v40, 32, v40
	s_delay_alu instid0(VALU_DEP_1) | instskip(NEXT) | instid1(VALU_DEP_1)
	v_subrev_nc_u32_e32 v41, 28, v40
	v_lshlrev_b64_e32 v[46:47], v41, v[16:17]
	s_delay_alu instid0(VALU_DEP_1)
	v_dual_sub_nc_u32 v40, 29, v40 :: v_dual_bitop2_b32 v16, 7, v46 bitop3:0x40
; %bb.493:                              ;   in Loop: Header=BB182_369 Depth=1
	s_or_b32 exec_lo, exec_lo, s27
	s_delay_alu instid0(VALU_DEP_1) | instskip(NEXT) | instid1(VALU_DEP_2)
	v_dual_lshlrev_b32 v41, 24, v45 :: v_dual_lshlrev_b32 v16, 20, v16
	v_lshl_add_u32 v40, v40, 23, 0x3c000000
	s_delay_alu instid0(VALU_DEP_2) | instskip(NEXT) | instid1(VALU_DEP_1)
	v_and_b32_e32 v41, 0x80000000, v41
	v_or3_b32 v16, v16, v41, v40
	s_delay_alu instid0(VALU_DEP_1)
	v_mov_b64_e32 v[40:41], v[16:17]
.LBB182_494:                            ;   in Loop: Header=BB182_369 Depth=1
	s_or_b32 exec_lo, exec_lo, s25
.LBB182_495:                            ;   in Loop: Header=BB182_369 Depth=1
	s_delay_alu instid0(SALU_CYCLE_1)
	s_or_b32 exec_lo, exec_lo, s24
.LBB182_496:                            ;   in Loop: Header=BB182_369 Depth=1
	s_delay_alu instid0(SALU_CYCLE_1) | instskip(NEXT) | instid1(SALU_CYCLE_1)
	s_or_b32 exec_lo, exec_lo, s23
	s_mov_b32 s23, exec_lo
	v_cmpx_lt_u32_e32 0xffffff, v44
	s_cbranch_execz .LBB182_504
; %bb.497:                              ;   in Loop: Header=BB182_369 Depth=1
	v_mov_b64_e32 v[38:39], 0x8000000000000000
	v_lshrrev_b32_e32 v45, 24, v44
	s_mov_b32 s24, exec_lo
	s_delay_alu instid0(VALU_DEP_1)
	v_cmpx_ne_u32_e32 0x80, v45
	s_cbranch_execz .LBB182_503
; %bb.498:                              ;   in Loop: Header=BB182_369 Depth=1
	v_mov_b64_e32 v[38:39], 0x7f80000100000000
	v_bfe_u32 v44, v44, 24, 7
	s_mov_b32 s25, exec_lo
	s_delay_alu instid0(VALU_DEP_1)
	v_cmpx_ne_u32_e32 0x7f, v44
	s_cbranch_execz .LBB182_502
; %bb.499:                              ;   in Loop: Header=BB182_369 Depth=1
	v_dual_lshrrev_b32 v38, 3, v44 :: v_dual_bitop2_b32 v16, 7, v45 bitop3:0x40
	s_mov_b32 s27, exec_lo
	v_cmpx_gt_u32_e32 8, v44
; %bb.500:                              ;   in Loop: Header=BB182_369 Depth=1
	s_delay_alu instid0(VALU_DEP_2) | instskip(NEXT) | instid1(VALU_DEP_1)
	v_clz_i32_u32_e32 v38, v16
	v_min_u32_e32 v38, 32, v38
	s_delay_alu instid0(VALU_DEP_1) | instskip(SKIP_1) | instid1(VALU_DEP_2)
	v_subrev_nc_u32_e32 v39, 28, v38
	v_sub_nc_u32_e32 v38, 29, v38
	v_lshlrev_b64_e32 v[46:47], v39, v[16:17]
	s_delay_alu instid0(VALU_DEP_1)
	v_and_b32_e32 v16, 7, v46
; %bb.501:                              ;   in Loop: Header=BB182_369 Depth=1
	s_or_b32 exec_lo, exec_lo, s27
	s_delay_alu instid0(VALU_DEP_1) | instskip(SKIP_1) | instid1(VALU_DEP_2)
	v_dual_lshlrev_b32 v39, 24, v45 :: v_dual_lshlrev_b32 v16, 20, v16
	v_lshl_add_u32 v38, v38, 23, 0x3c000000
	v_and_b32_e32 v39, 0x80000000, v39
	s_delay_alu instid0(VALU_DEP_1)
	v_or3_b32 v39, v16, v39, v38
	v_mov_b32_e32 v38, v17
.LBB182_502:                            ;   in Loop: Header=BB182_369 Depth=1
	s_or_b32 exec_lo, exec_lo, s25
.LBB182_503:                            ;   in Loop: Header=BB182_369 Depth=1
	s_delay_alu instid0(SALU_CYCLE_1)
	s_or_b32 exec_lo, exec_lo, s24
.LBB182_504:                            ;   in Loop: Header=BB182_369 Depth=1
	s_delay_alu instid0(SALU_CYCLE_1)
	s_or_b32 exec_lo, exec_lo, s23
	v_or_b32_e32 v1, v1, v37
	v_or_b32_e32 v0, v0, v36
	v_mov_b64_e32 v[36:37], s[8:9]
	v_or_b32_e32 v41, v39, v41
	v_or_b32_e32 v40, v38, v40
	s_delay_alu instid0(VALU_DEP_3) | instskip(NEXT) | instid1(VALU_DEP_2)
	v_pk_mul_f32 v[38:39], v[36:37], v[0:1]
	v_pk_mul_f32 v[36:37], v[36:37], v[40:41]
	s_and_saveexec_b32 s23, vcc_lo
	s_cbranch_execz .LBB182_506
; %bb.505:                              ;   in Loop: Header=BB182_369 Depth=1
	v_cmp_gt_i32_e64 s0, s34, v43
	s_delay_alu instid0(VALU_DEP_1) | instskip(SKIP_1) | instid1(VALU_DEP_1)
	v_cndmask_b32_e64 v38, 0, v38, s0
	v_cmp_gt_i32_e64 s0, s34, v73
	v_cndmask_b32_e64 v39, 0, v39, s0
	v_cmp_gt_i32_e64 s0, s34, v65
	s_delay_alu instid0(VALU_DEP_1) | instskip(SKIP_1) | instid1(VALU_DEP_1)
	v_cndmask_b32_e64 v36, 0, v36, s0
	v_cmp_gt_i32_e64 s0, s34, v64
	v_cndmask_b32_e64 v37, 0, v37, s0
.LBB182_506:                            ;   in Loop: Header=BB182_369 Depth=1
	s_or_b32 exec_lo, exec_lo, s23
	global_load_b32 v48, v[26:27], off offset:512
	v_mov_b64_e32 v[0:1], 0
	v_mov_b64_e32 v[40:41], 0
	s_mov_b32 s23, exec_lo
	s_wait_loadcnt 0x0
	v_and_b32_e32 v16, 0xff, v48
	s_delay_alu instid0(VALU_DEP_1)
	v_cmpx_ne_u16_e32 0, v16
	s_cbranch_execz .LBB182_514
; %bb.507:                              ;   in Loop: Header=BB182_369 Depth=1
	v_mov_b64_e32 v[40:41], 0x80000000
	s_mov_b32 s24, exec_lo
	v_cmpx_ne_u16_e32 0x80, v16
	s_cbranch_execz .LBB182_513
; %bb.508:                              ;   in Loop: Header=BB182_369 Depth=1
	v_mov_b64_e32 v[40:41], 0x7f800001
	v_and_b32_e32 v44, 0x7f, v48
	s_mov_b32 s25, exec_lo
	s_delay_alu instid0(VALU_DEP_1)
	v_cmpx_ne_u32_e32 0x7f, v44
	s_cbranch_execz .LBB182_512
; %bb.509:                              ;   in Loop: Header=BB182_369 Depth=1
	v_and_b32_e32 v16, 7, v48
	v_lshrrev_b32_e32 v40, 3, v44
	s_mov_b32 s27, exec_lo
	v_cmpx_gt_u32_e32 8, v44
; %bb.510:                              ;   in Loop: Header=BB182_369 Depth=1
	s_delay_alu instid0(VALU_DEP_3) | instskip(NEXT) | instid1(VALU_DEP_1)
	v_clz_i32_u32_e32 v40, v16
	v_min_u32_e32 v40, 32, v40
	s_delay_alu instid0(VALU_DEP_1) | instskip(SKIP_1) | instid1(VALU_DEP_2)
	v_subrev_nc_u32_e32 v41, 28, v40
	v_sub_nc_u32_e32 v40, 29, v40
	v_lshlrev_b64_e32 v[44:45], v41, v[16:17]
	s_delay_alu instid0(VALU_DEP_1)
	v_and_b32_e32 v16, 7, v44
; %bb.511:                              ;   in Loop: Header=BB182_369 Depth=1
	s_or_b32 exec_lo, exec_lo, s27
	v_lshlrev_b32_e32 v41, 24, v48
	s_delay_alu instid0(VALU_DEP_2) | instskip(SKIP_1) | instid1(VALU_DEP_3)
	v_lshlrev_b32_e32 v16, 20, v16
	v_lshl_add_u32 v40, v40, 23, 0x3c000000
	v_and_b32_e32 v41, 0x80000000, v41
	s_delay_alu instid0(VALU_DEP_1) | instskip(NEXT) | instid1(VALU_DEP_1)
	v_or3_b32 v16, v16, v41, v40
	v_mov_b64_e32 v[40:41], v[16:17]
.LBB182_512:                            ;   in Loop: Header=BB182_369 Depth=1
	s_or_b32 exec_lo, exec_lo, s25
.LBB182_513:                            ;   in Loop: Header=BB182_369 Depth=1
	s_delay_alu instid0(SALU_CYCLE_1)
	s_or_b32 exec_lo, exec_lo, s24
.LBB182_514:                            ;   in Loop: Header=BB182_369 Depth=1
	s_delay_alu instid0(SALU_CYCLE_1) | instskip(SKIP_2) | instid1(VALU_DEP_1)
	s_or_b32 exec_lo, exec_lo, s23
	v_lshrrev_b16 v16, 8, v48
	s_mov_b32 s23, exec_lo
	v_cmpx_ne_u16_e32 0, v16
	s_cbranch_execz .LBB182_522
; %bb.515:                              ;   in Loop: Header=BB182_369 Depth=1
	v_mov_b64_e32 v[0:1], 0x8000000000000000
	s_mov_b32 s24, exec_lo
	v_cmpx_ne_u16_e32 0x80, v16
	s_cbranch_execz .LBB182_521
; %bb.516:                              ;   in Loop: Header=BB182_369 Depth=1
	v_and_b32_e32 v16, 0xffff, v16
	v_mov_b64_e32 v[0:1], 0x7f80000100000000
	s_mov_b32 s25, exec_lo
	s_delay_alu instid0(VALU_DEP_2) | instskip(NEXT) | instid1(VALU_DEP_1)
	v_and_b32_e32 v44, 0x7f, v16
	v_cmpx_ne_u32_e32 0x7f, v44
	s_cbranch_execz .LBB182_520
; %bb.517:                              ;   in Loop: Header=BB182_369 Depth=1
	v_and_b32_e32 v16, 7, v16
	v_lshrrev_b32_e32 v0, 3, v44
	s_mov_b32 s27, exec_lo
	v_cmpx_gt_u32_e32 8, v44
; %bb.518:                              ;   in Loop: Header=BB182_369 Depth=1
	s_delay_alu instid0(VALU_DEP_3) | instskip(NEXT) | instid1(VALU_DEP_1)
	v_clz_i32_u32_e32 v0, v16
	v_min_u32_e32 v0, 32, v0
	s_delay_alu instid0(VALU_DEP_1) | instskip(SKIP_1) | instid1(VALU_DEP_2)
	v_subrev_nc_u32_e32 v1, 28, v0
	v_sub_nc_u32_e32 v0, 29, v0
	v_lshlrev_b64_e32 v[44:45], v1, v[16:17]
	s_delay_alu instid0(VALU_DEP_1)
	v_and_b32_e32 v16, 7, v44
; %bb.519:                              ;   in Loop: Header=BB182_369 Depth=1
	s_or_b32 exec_lo, exec_lo, s27
	v_lshlrev_b32_e32 v1, 16, v48
	s_delay_alu instid0(VALU_DEP_2) | instskip(SKIP_1) | instid1(VALU_DEP_3)
	v_lshlrev_b32_e32 v16, 20, v16
	v_lshl_add_u32 v0, v0, 23, 0x3c000000
	v_and_b32_e32 v1, 0x80000000, v1
	s_delay_alu instid0(VALU_DEP_1)
	v_or3_b32 v1, v16, v1, v0
	v_mov_b32_e32 v0, v17
.LBB182_520:                            ;   in Loop: Header=BB182_369 Depth=1
	s_or_b32 exec_lo, exec_lo, s25
.LBB182_521:                            ;   in Loop: Header=BB182_369 Depth=1
	s_delay_alu instid0(SALU_CYCLE_1)
	s_or_b32 exec_lo, exec_lo, s24
.LBB182_522:                            ;   in Loop: Header=BB182_369 Depth=1
	s_delay_alu instid0(SALU_CYCLE_1) | instskip(SKIP_4) | instid1(VALU_DEP_3)
	s_or_b32 exec_lo, exec_lo, s23
	v_lshrrev_b32_e32 v49, 16, v48
	v_mov_b64_e32 v[44:45], 0
	v_mov_b64_e32 v[46:47], 0
	s_mov_b32 s23, exec_lo
	v_and_b32_e32 v16, 0xff, v49
	s_delay_alu instid0(VALU_DEP_1)
	v_cmpx_ne_u16_e32 0, v16
	s_cbranch_execz .LBB182_530
; %bb.523:                              ;   in Loop: Header=BB182_369 Depth=1
	v_mov_b64_e32 v[46:47], 0x80000000
	s_mov_b32 s24, exec_lo
	v_cmpx_ne_u16_e32 0x80, v16
	s_cbranch_execz .LBB182_529
; %bb.524:                              ;   in Loop: Header=BB182_369 Depth=1
	v_mov_b64_e32 v[46:47], 0x7f800001
	v_bfe_u32 v50, v48, 16, 7
	s_mov_b32 s25, exec_lo
	s_delay_alu instid0(VALU_DEP_1)
	v_cmpx_ne_u32_e32 0x7f, v50
	s_cbranch_execz .LBB182_528
; %bb.525:                              ;   in Loop: Header=BB182_369 Depth=1
	v_dual_lshrrev_b32 v46, 3, v50 :: v_dual_bitop2_b32 v16, 7, v49 bitop3:0x40
	s_mov_b32 s27, exec_lo
	v_cmpx_gt_u32_e32 8, v50
; %bb.526:                              ;   in Loop: Header=BB182_369 Depth=1
	s_delay_alu instid0(VALU_DEP_2) | instskip(NEXT) | instid1(VALU_DEP_1)
	v_clz_i32_u32_e32 v46, v16
	v_min_u32_e32 v46, 32, v46
	s_delay_alu instid0(VALU_DEP_1) | instskip(SKIP_1) | instid1(VALU_DEP_2)
	v_subrev_nc_u32_e32 v47, 28, v46
	v_sub_nc_u32_e32 v46, 29, v46
	v_lshlrev_b64_e32 v[50:51], v47, v[16:17]
	s_delay_alu instid0(VALU_DEP_1)
	v_and_b32_e32 v16, 7, v50
; %bb.527:                              ;   in Loop: Header=BB182_369 Depth=1
	s_or_b32 exec_lo, exec_lo, s27
	s_delay_alu instid0(VALU_DEP_1) | instskip(SKIP_1) | instid1(VALU_DEP_2)
	v_dual_lshlrev_b32 v47, 24, v49 :: v_dual_lshlrev_b32 v16, 20, v16
	v_lshl_add_u32 v46, v46, 23, 0x3c000000
	v_and_b32_e32 v47, 0x80000000, v47
	s_delay_alu instid0(VALU_DEP_1) | instskip(NEXT) | instid1(VALU_DEP_1)
	v_or3_b32 v16, v16, v47, v46
	v_mov_b64_e32 v[46:47], v[16:17]
.LBB182_528:                            ;   in Loop: Header=BB182_369 Depth=1
	s_or_b32 exec_lo, exec_lo, s25
.LBB182_529:                            ;   in Loop: Header=BB182_369 Depth=1
	s_delay_alu instid0(SALU_CYCLE_1)
	s_or_b32 exec_lo, exec_lo, s24
.LBB182_530:                            ;   in Loop: Header=BB182_369 Depth=1
	s_delay_alu instid0(SALU_CYCLE_1) | instskip(NEXT) | instid1(SALU_CYCLE_1)
	s_or_b32 exec_lo, exec_lo, s23
	s_mov_b32 s23, exec_lo
	v_cmpx_lt_u32_e32 0xffffff, v48
	s_cbranch_execz .LBB182_538
; %bb.531:                              ;   in Loop: Header=BB182_369 Depth=1
	v_mov_b64_e32 v[44:45], 0x8000000000000000
	v_lshrrev_b32_e32 v49, 24, v48
	s_mov_b32 s24, exec_lo
	s_delay_alu instid0(VALU_DEP_1)
	v_cmpx_ne_u32_e32 0x80, v49
	s_cbranch_execz .LBB182_537
; %bb.532:                              ;   in Loop: Header=BB182_369 Depth=1
	v_mov_b64_e32 v[44:45], 0x7f80000100000000
	v_bfe_u32 v48, v48, 24, 7
	s_mov_b32 s25, exec_lo
	s_delay_alu instid0(VALU_DEP_1)
	v_cmpx_ne_u32_e32 0x7f, v48
	s_cbranch_execz .LBB182_536
; %bb.533:                              ;   in Loop: Header=BB182_369 Depth=1
	v_dual_lshrrev_b32 v44, 3, v48 :: v_dual_bitop2_b32 v16, 7, v49 bitop3:0x40
	s_mov_b32 s27, exec_lo
	v_cmpx_gt_u32_e32 8, v48
; %bb.534:                              ;   in Loop: Header=BB182_369 Depth=1
	s_delay_alu instid0(VALU_DEP_2) | instskip(NEXT) | instid1(VALU_DEP_1)
	v_clz_i32_u32_e32 v44, v16
	v_min_u32_e32 v44, 32, v44
	s_delay_alu instid0(VALU_DEP_1) | instskip(NEXT) | instid1(VALU_DEP_1)
	v_subrev_nc_u32_e32 v45, 28, v44
	v_lshlrev_b64_e32 v[50:51], v45, v[16:17]
	s_delay_alu instid0(VALU_DEP_1)
	v_dual_sub_nc_u32 v44, 29, v44 :: v_dual_bitop2_b32 v16, 7, v50 bitop3:0x40
; %bb.535:                              ;   in Loop: Header=BB182_369 Depth=1
	s_or_b32 exec_lo, exec_lo, s27
	s_delay_alu instid0(VALU_DEP_1) | instskip(NEXT) | instid1(VALU_DEP_2)
	v_dual_lshlrev_b32 v45, 24, v49 :: v_dual_lshlrev_b32 v16, 20, v16
	v_lshl_add_u32 v44, v44, 23, 0x3c000000
	s_delay_alu instid0(VALU_DEP_2) | instskip(NEXT) | instid1(VALU_DEP_1)
	v_and_b32_e32 v45, 0x80000000, v45
	v_or3_b32 v45, v16, v45, v44
	v_mov_b32_e32 v44, v17
.LBB182_536:                            ;   in Loop: Header=BB182_369 Depth=1
	s_or_b32 exec_lo, exec_lo, s25
.LBB182_537:                            ;   in Loop: Header=BB182_369 Depth=1
	s_delay_alu instid0(SALU_CYCLE_1)
	s_or_b32 exec_lo, exec_lo, s24
.LBB182_538:                            ;   in Loop: Header=BB182_369 Depth=1
	s_delay_alu instid0(SALU_CYCLE_1)
	s_or_b32 exec_lo, exec_lo, s23
	v_or_b32_e32 v1, v1, v41
	v_or_b32_e32 v0, v0, v40
	v_mov_b64_e32 v[40:41], s[8:9]
	v_or_b32_e32 v47, v45, v47
	v_or_b32_e32 v46, v44, v46
	s_delay_alu instid0(VALU_DEP_3) | instskip(NEXT) | instid1(VALU_DEP_2)
	v_pk_mul_f32 v[44:45], v[40:41], v[0:1]
	v_pk_mul_f32 v[40:41], v[40:41], v[46:47]
	s_and_saveexec_b32 s23, vcc_lo
	s_cbranch_execz .LBB182_540
; %bb.539:                              ;   in Loop: Header=BB182_369 Depth=1
	v_cmp_gt_i32_e64 s0, s34, v43
	s_delay_alu instid0(VALU_DEP_1) | instskip(SKIP_1) | instid1(VALU_DEP_1)
	v_cndmask_b32_e64 v44, 0, v44, s0
	v_cmp_gt_i32_e64 s0, s34, v73
	v_cndmask_b32_e64 v45, 0, v45, s0
	v_cmp_gt_i32_e64 s0, s34, v65
	s_delay_alu instid0(VALU_DEP_1) | instskip(SKIP_1) | instid1(VALU_DEP_1)
	v_cndmask_b32_e64 v40, 0, v40, s0
	v_cmp_gt_i32_e64 s0, s34, v64
	v_cndmask_b32_e64 v41, 0, v41, s0
.LBB182_540:                            ;   in Loop: Header=BB182_369 Depth=1
	s_or_b32 exec_lo, exec_lo, s23
	global_load_b32 v52, v[26:27], off offset:640
	v_mov_b64_e32 v[0:1], 0
	v_mov_b64_e32 v[46:47], 0
	s_mov_b32 s23, exec_lo
	s_wait_loadcnt 0x0
	v_and_b32_e32 v16, 0xff, v52
	s_delay_alu instid0(VALU_DEP_1)
	v_cmpx_ne_u16_e32 0, v16
	s_cbranch_execz .LBB182_548
; %bb.541:                              ;   in Loop: Header=BB182_369 Depth=1
	v_mov_b64_e32 v[46:47], 0x80000000
	s_mov_b32 s24, exec_lo
	v_cmpx_ne_u16_e32 0x80, v16
	s_cbranch_execz .LBB182_547
; %bb.542:                              ;   in Loop: Header=BB182_369 Depth=1
	v_mov_b64_e32 v[46:47], 0x7f800001
	v_and_b32_e32 v48, 0x7f, v52
	s_mov_b32 s25, exec_lo
	s_delay_alu instid0(VALU_DEP_1)
	v_cmpx_ne_u32_e32 0x7f, v48
	s_cbranch_execz .LBB182_546
; %bb.543:                              ;   in Loop: Header=BB182_369 Depth=1
	v_and_b32_e32 v16, 7, v52
	v_lshrrev_b32_e32 v46, 3, v48
	s_mov_b32 s27, exec_lo
	v_cmpx_gt_u32_e32 8, v48
; %bb.544:                              ;   in Loop: Header=BB182_369 Depth=1
	s_delay_alu instid0(VALU_DEP_3) | instskip(NEXT) | instid1(VALU_DEP_1)
	v_clz_i32_u32_e32 v46, v16
	v_min_u32_e32 v46, 32, v46
	s_delay_alu instid0(VALU_DEP_1) | instskip(NEXT) | instid1(VALU_DEP_1)
	v_subrev_nc_u32_e32 v47, 28, v46
	v_lshlrev_b64_e32 v[48:49], v47, v[16:17]
	s_delay_alu instid0(VALU_DEP_1)
	v_dual_sub_nc_u32 v46, 29, v46 :: v_dual_bitop2_b32 v16, 7, v48 bitop3:0x40
; %bb.545:                              ;   in Loop: Header=BB182_369 Depth=1
	s_or_b32 exec_lo, exec_lo, s27
	v_lshlrev_b32_e32 v47, 24, v52
	s_delay_alu instid0(VALU_DEP_2) | instskip(NEXT) | instid1(VALU_DEP_3)
	v_lshlrev_b32_e32 v16, 20, v16
	v_lshl_add_u32 v46, v46, 23, 0x3c000000
	s_delay_alu instid0(VALU_DEP_3) | instskip(NEXT) | instid1(VALU_DEP_1)
	v_and_b32_e32 v47, 0x80000000, v47
	v_or3_b32 v16, v16, v47, v46
	s_delay_alu instid0(VALU_DEP_1)
	v_mov_b64_e32 v[46:47], v[16:17]
.LBB182_546:                            ;   in Loop: Header=BB182_369 Depth=1
	s_or_b32 exec_lo, exec_lo, s25
.LBB182_547:                            ;   in Loop: Header=BB182_369 Depth=1
	s_delay_alu instid0(SALU_CYCLE_1)
	s_or_b32 exec_lo, exec_lo, s24
.LBB182_548:                            ;   in Loop: Header=BB182_369 Depth=1
	s_delay_alu instid0(SALU_CYCLE_1) | instskip(SKIP_2) | instid1(VALU_DEP_1)
	s_or_b32 exec_lo, exec_lo, s23
	v_lshrrev_b16 v16, 8, v52
	s_mov_b32 s23, exec_lo
	v_cmpx_ne_u16_e32 0, v16
	s_cbranch_execz .LBB182_556
; %bb.549:                              ;   in Loop: Header=BB182_369 Depth=1
	v_mov_b64_e32 v[0:1], 0x8000000000000000
	s_mov_b32 s24, exec_lo
	v_cmpx_ne_u16_e32 0x80, v16
	s_cbranch_execz .LBB182_555
; %bb.550:                              ;   in Loop: Header=BB182_369 Depth=1
	v_and_b32_e32 v16, 0xffff, v16
	v_mov_b64_e32 v[0:1], 0x7f80000100000000
	s_mov_b32 s25, exec_lo
	s_delay_alu instid0(VALU_DEP_2) | instskip(NEXT) | instid1(VALU_DEP_1)
	v_and_b32_e32 v48, 0x7f, v16
	v_cmpx_ne_u32_e32 0x7f, v48
	s_cbranch_execz .LBB182_554
; %bb.551:                              ;   in Loop: Header=BB182_369 Depth=1
	v_and_b32_e32 v16, 7, v16
	v_lshrrev_b32_e32 v0, 3, v48
	s_mov_b32 s27, exec_lo
	v_cmpx_gt_u32_e32 8, v48
; %bb.552:                              ;   in Loop: Header=BB182_369 Depth=1
	s_delay_alu instid0(VALU_DEP_3) | instskip(NEXT) | instid1(VALU_DEP_1)
	v_clz_i32_u32_e32 v0, v16
	v_min_u32_e32 v0, 32, v0
	s_delay_alu instid0(VALU_DEP_1) | instskip(SKIP_1) | instid1(VALU_DEP_2)
	v_subrev_nc_u32_e32 v1, 28, v0
	v_sub_nc_u32_e32 v0, 29, v0
	v_lshlrev_b64_e32 v[48:49], v1, v[16:17]
	s_delay_alu instid0(VALU_DEP_1)
	v_and_b32_e32 v16, 7, v48
; %bb.553:                              ;   in Loop: Header=BB182_369 Depth=1
	s_or_b32 exec_lo, exec_lo, s27
	v_lshlrev_b32_e32 v1, 16, v52
	s_delay_alu instid0(VALU_DEP_2) | instskip(SKIP_1) | instid1(VALU_DEP_3)
	v_lshlrev_b32_e32 v16, 20, v16
	v_lshl_add_u32 v0, v0, 23, 0x3c000000
	v_and_b32_e32 v1, 0x80000000, v1
	s_delay_alu instid0(VALU_DEP_1)
	v_or3_b32 v1, v16, v1, v0
	v_mov_b32_e32 v0, v17
.LBB182_554:                            ;   in Loop: Header=BB182_369 Depth=1
	s_or_b32 exec_lo, exec_lo, s25
.LBB182_555:                            ;   in Loop: Header=BB182_369 Depth=1
	s_delay_alu instid0(SALU_CYCLE_1)
	s_or_b32 exec_lo, exec_lo, s24
.LBB182_556:                            ;   in Loop: Header=BB182_369 Depth=1
	s_delay_alu instid0(SALU_CYCLE_1) | instskip(SKIP_4) | instid1(VALU_DEP_3)
	s_or_b32 exec_lo, exec_lo, s23
	v_lshrrev_b32_e32 v53, 16, v52
	v_mov_b64_e32 v[48:49], 0
	v_mov_b64_e32 v[50:51], 0
	s_mov_b32 s23, exec_lo
	v_and_b32_e32 v16, 0xff, v53
	s_delay_alu instid0(VALU_DEP_1)
	v_cmpx_ne_u16_e32 0, v16
	s_cbranch_execz .LBB182_564
; %bb.557:                              ;   in Loop: Header=BB182_369 Depth=1
	v_mov_b64_e32 v[50:51], 0x80000000
	s_mov_b32 s24, exec_lo
	v_cmpx_ne_u16_e32 0x80, v16
	s_cbranch_execz .LBB182_563
; %bb.558:                              ;   in Loop: Header=BB182_369 Depth=1
	v_mov_b64_e32 v[50:51], 0x7f800001
	v_bfe_u32 v54, v52, 16, 7
	s_mov_b32 s25, exec_lo
	s_delay_alu instid0(VALU_DEP_1)
	v_cmpx_ne_u32_e32 0x7f, v54
	s_cbranch_execz .LBB182_562
; %bb.559:                              ;   in Loop: Header=BB182_369 Depth=1
	v_dual_lshrrev_b32 v50, 3, v54 :: v_dual_bitop2_b32 v16, 7, v53 bitop3:0x40
	s_mov_b32 s27, exec_lo
	v_cmpx_gt_u32_e32 8, v54
; %bb.560:                              ;   in Loop: Header=BB182_369 Depth=1
	s_delay_alu instid0(VALU_DEP_2) | instskip(NEXT) | instid1(VALU_DEP_1)
	v_clz_i32_u32_e32 v50, v16
	v_min_u32_e32 v50, 32, v50
	s_delay_alu instid0(VALU_DEP_1) | instskip(SKIP_1) | instid1(VALU_DEP_2)
	v_subrev_nc_u32_e32 v51, 28, v50
	v_sub_nc_u32_e32 v50, 29, v50
	v_lshlrev_b64_e32 v[54:55], v51, v[16:17]
	s_delay_alu instid0(VALU_DEP_1)
	v_and_b32_e32 v16, 7, v54
; %bb.561:                              ;   in Loop: Header=BB182_369 Depth=1
	s_or_b32 exec_lo, exec_lo, s27
	s_delay_alu instid0(VALU_DEP_1) | instskip(SKIP_1) | instid1(VALU_DEP_2)
	v_dual_lshlrev_b32 v51, 24, v53 :: v_dual_lshlrev_b32 v16, 20, v16
	v_lshl_add_u32 v50, v50, 23, 0x3c000000
	v_and_b32_e32 v51, 0x80000000, v51
	s_delay_alu instid0(VALU_DEP_1) | instskip(NEXT) | instid1(VALU_DEP_1)
	v_or3_b32 v16, v16, v51, v50
	v_mov_b64_e32 v[50:51], v[16:17]
.LBB182_562:                            ;   in Loop: Header=BB182_369 Depth=1
	s_or_b32 exec_lo, exec_lo, s25
.LBB182_563:                            ;   in Loop: Header=BB182_369 Depth=1
	s_delay_alu instid0(SALU_CYCLE_1)
	s_or_b32 exec_lo, exec_lo, s24
.LBB182_564:                            ;   in Loop: Header=BB182_369 Depth=1
	s_delay_alu instid0(SALU_CYCLE_1) | instskip(NEXT) | instid1(SALU_CYCLE_1)
	s_or_b32 exec_lo, exec_lo, s23
	s_mov_b32 s23, exec_lo
	v_cmpx_lt_u32_e32 0xffffff, v52
	s_cbranch_execz .LBB182_572
; %bb.565:                              ;   in Loop: Header=BB182_369 Depth=1
	v_mov_b64_e32 v[48:49], 0x8000000000000000
	v_lshrrev_b32_e32 v53, 24, v52
	s_mov_b32 s24, exec_lo
	s_delay_alu instid0(VALU_DEP_1)
	v_cmpx_ne_u32_e32 0x80, v53
	s_cbranch_execz .LBB182_571
; %bb.566:                              ;   in Loop: Header=BB182_369 Depth=1
	v_mov_b64_e32 v[48:49], 0x7f80000100000000
	v_bfe_u32 v52, v52, 24, 7
	s_mov_b32 s25, exec_lo
	s_delay_alu instid0(VALU_DEP_1)
	v_cmpx_ne_u32_e32 0x7f, v52
	s_cbranch_execz .LBB182_570
; %bb.567:                              ;   in Loop: Header=BB182_369 Depth=1
	v_dual_lshrrev_b32 v48, 3, v52 :: v_dual_bitop2_b32 v16, 7, v53 bitop3:0x40
	s_mov_b32 s27, exec_lo
	v_cmpx_gt_u32_e32 8, v52
; %bb.568:                              ;   in Loop: Header=BB182_369 Depth=1
	s_delay_alu instid0(VALU_DEP_2) | instskip(NEXT) | instid1(VALU_DEP_1)
	v_clz_i32_u32_e32 v48, v16
	v_min_u32_e32 v48, 32, v48
	s_delay_alu instid0(VALU_DEP_1) | instskip(NEXT) | instid1(VALU_DEP_1)
	v_subrev_nc_u32_e32 v49, 28, v48
	v_lshlrev_b64_e32 v[54:55], v49, v[16:17]
	s_delay_alu instid0(VALU_DEP_1)
	v_dual_sub_nc_u32 v48, 29, v48 :: v_dual_bitop2_b32 v16, 7, v54 bitop3:0x40
; %bb.569:                              ;   in Loop: Header=BB182_369 Depth=1
	s_or_b32 exec_lo, exec_lo, s27
	s_delay_alu instid0(VALU_DEP_1) | instskip(NEXT) | instid1(VALU_DEP_2)
	v_dual_lshlrev_b32 v49, 24, v53 :: v_dual_lshlrev_b32 v16, 20, v16
	v_lshl_add_u32 v48, v48, 23, 0x3c000000
	s_delay_alu instid0(VALU_DEP_2) | instskip(NEXT) | instid1(VALU_DEP_1)
	v_and_b32_e32 v49, 0x80000000, v49
	v_or3_b32 v49, v16, v49, v48
	v_mov_b32_e32 v48, v17
.LBB182_570:                            ;   in Loop: Header=BB182_369 Depth=1
	s_or_b32 exec_lo, exec_lo, s25
.LBB182_571:                            ;   in Loop: Header=BB182_369 Depth=1
	s_delay_alu instid0(SALU_CYCLE_1)
	s_or_b32 exec_lo, exec_lo, s24
.LBB182_572:                            ;   in Loop: Header=BB182_369 Depth=1
	s_delay_alu instid0(SALU_CYCLE_1)
	s_or_b32 exec_lo, exec_lo, s23
	v_or_b32_e32 v1, v1, v47
	v_or_b32_e32 v0, v0, v46
	v_mov_b64_e32 v[46:47], s[8:9]
	v_or_b32_e32 v51, v49, v51
	v_or_b32_e32 v50, v48, v50
	s_delay_alu instid0(VALU_DEP_3) | instskip(NEXT) | instid1(VALU_DEP_2)
	v_pk_mul_f32 v[48:49], v[46:47], v[0:1]
	v_pk_mul_f32 v[46:47], v[46:47], v[50:51]
	s_and_saveexec_b32 s23, vcc_lo
	s_cbranch_execz .LBB182_574
; %bb.573:                              ;   in Loop: Header=BB182_369 Depth=1
	v_cmp_gt_i32_e64 s0, s34, v43
	s_delay_alu instid0(VALU_DEP_1) | instskip(SKIP_1) | instid1(VALU_DEP_1)
	v_cndmask_b32_e64 v48, 0, v48, s0
	v_cmp_gt_i32_e64 s0, s34, v73
	v_cndmask_b32_e64 v49, 0, v49, s0
	v_cmp_gt_i32_e64 s0, s34, v65
	s_delay_alu instid0(VALU_DEP_1) | instskip(SKIP_1) | instid1(VALU_DEP_1)
	v_cndmask_b32_e64 v46, 0, v46, s0
	v_cmp_gt_i32_e64 s0, s34, v64
	v_cndmask_b32_e64 v47, 0, v47, s0
.LBB182_574:                            ;   in Loop: Header=BB182_369 Depth=1
	s_or_b32 exec_lo, exec_lo, s23
	global_load_b32 v56, v[26:27], off offset:768
	v_mov_b64_e32 v[0:1], 0
	v_mov_b64_e32 v[50:51], 0
	s_mov_b32 s23, exec_lo
	s_wait_loadcnt 0x0
	v_and_b32_e32 v16, 0xff, v56
	s_delay_alu instid0(VALU_DEP_1)
	v_cmpx_ne_u16_e32 0, v16
	s_cbranch_execz .LBB182_582
; %bb.575:                              ;   in Loop: Header=BB182_369 Depth=1
	v_mov_b64_e32 v[50:51], 0x80000000
	s_mov_b32 s24, exec_lo
	v_cmpx_ne_u16_e32 0x80, v16
	s_cbranch_execz .LBB182_581
; %bb.576:                              ;   in Loop: Header=BB182_369 Depth=1
	v_mov_b64_e32 v[50:51], 0x7f800001
	v_and_b32_e32 v52, 0x7f, v56
	s_mov_b32 s25, exec_lo
	s_delay_alu instid0(VALU_DEP_1)
	v_cmpx_ne_u32_e32 0x7f, v52
	s_cbranch_execz .LBB182_580
; %bb.577:                              ;   in Loop: Header=BB182_369 Depth=1
	v_and_b32_e32 v16, 7, v56
	v_lshrrev_b32_e32 v50, 3, v52
	s_mov_b32 s27, exec_lo
	v_cmpx_gt_u32_e32 8, v52
; %bb.578:                              ;   in Loop: Header=BB182_369 Depth=1
	s_delay_alu instid0(VALU_DEP_3) | instskip(NEXT) | instid1(VALU_DEP_1)
	v_clz_i32_u32_e32 v50, v16
	v_min_u32_e32 v50, 32, v50
	s_delay_alu instid0(VALU_DEP_1) | instskip(NEXT) | instid1(VALU_DEP_1)
	v_subrev_nc_u32_e32 v51, 28, v50
	v_lshlrev_b64_e32 v[52:53], v51, v[16:17]
	s_delay_alu instid0(VALU_DEP_1)
	v_dual_sub_nc_u32 v50, 29, v50 :: v_dual_bitop2_b32 v16, 7, v52 bitop3:0x40
; %bb.579:                              ;   in Loop: Header=BB182_369 Depth=1
	s_or_b32 exec_lo, exec_lo, s27
	v_lshlrev_b32_e32 v51, 24, v56
	s_delay_alu instid0(VALU_DEP_2) | instskip(NEXT) | instid1(VALU_DEP_3)
	v_lshlrev_b32_e32 v16, 20, v16
	v_lshl_add_u32 v50, v50, 23, 0x3c000000
	s_delay_alu instid0(VALU_DEP_3) | instskip(NEXT) | instid1(VALU_DEP_1)
	v_and_b32_e32 v51, 0x80000000, v51
	v_or3_b32 v16, v16, v51, v50
	s_delay_alu instid0(VALU_DEP_1)
	v_mov_b64_e32 v[50:51], v[16:17]
.LBB182_580:                            ;   in Loop: Header=BB182_369 Depth=1
	s_or_b32 exec_lo, exec_lo, s25
.LBB182_581:                            ;   in Loop: Header=BB182_369 Depth=1
	s_delay_alu instid0(SALU_CYCLE_1)
	s_or_b32 exec_lo, exec_lo, s24
.LBB182_582:                            ;   in Loop: Header=BB182_369 Depth=1
	s_delay_alu instid0(SALU_CYCLE_1) | instskip(SKIP_2) | instid1(VALU_DEP_1)
	s_or_b32 exec_lo, exec_lo, s23
	v_lshrrev_b16 v16, 8, v56
	s_mov_b32 s23, exec_lo
	v_cmpx_ne_u16_e32 0, v16
	s_cbranch_execz .LBB182_590
; %bb.583:                              ;   in Loop: Header=BB182_369 Depth=1
	v_mov_b64_e32 v[0:1], 0x8000000000000000
	s_mov_b32 s24, exec_lo
	v_cmpx_ne_u16_e32 0x80, v16
	s_cbranch_execz .LBB182_589
; %bb.584:                              ;   in Loop: Header=BB182_369 Depth=1
	v_and_b32_e32 v16, 0xffff, v16
	v_mov_b64_e32 v[0:1], 0x7f80000100000000
	s_mov_b32 s25, exec_lo
	s_delay_alu instid0(VALU_DEP_2) | instskip(NEXT) | instid1(VALU_DEP_1)
	v_and_b32_e32 v52, 0x7f, v16
	v_cmpx_ne_u32_e32 0x7f, v52
	s_cbranch_execz .LBB182_588
; %bb.585:                              ;   in Loop: Header=BB182_369 Depth=1
	v_and_b32_e32 v16, 7, v16
	v_lshrrev_b32_e32 v0, 3, v52
	s_mov_b32 s27, exec_lo
	v_cmpx_gt_u32_e32 8, v52
; %bb.586:                              ;   in Loop: Header=BB182_369 Depth=1
	s_delay_alu instid0(VALU_DEP_3) | instskip(NEXT) | instid1(VALU_DEP_1)
	v_clz_i32_u32_e32 v0, v16
	v_min_u32_e32 v0, 32, v0
	s_delay_alu instid0(VALU_DEP_1) | instskip(SKIP_1) | instid1(VALU_DEP_2)
	v_subrev_nc_u32_e32 v1, 28, v0
	v_sub_nc_u32_e32 v0, 29, v0
	v_lshlrev_b64_e32 v[52:53], v1, v[16:17]
	s_delay_alu instid0(VALU_DEP_1)
	v_and_b32_e32 v16, 7, v52
; %bb.587:                              ;   in Loop: Header=BB182_369 Depth=1
	s_or_b32 exec_lo, exec_lo, s27
	v_lshlrev_b32_e32 v1, 16, v56
	s_delay_alu instid0(VALU_DEP_2) | instskip(SKIP_1) | instid1(VALU_DEP_3)
	v_lshlrev_b32_e32 v16, 20, v16
	v_lshl_add_u32 v0, v0, 23, 0x3c000000
	v_and_b32_e32 v1, 0x80000000, v1
	s_delay_alu instid0(VALU_DEP_1)
	v_or3_b32 v1, v16, v1, v0
	v_mov_b32_e32 v0, v17
.LBB182_588:                            ;   in Loop: Header=BB182_369 Depth=1
	s_or_b32 exec_lo, exec_lo, s25
.LBB182_589:                            ;   in Loop: Header=BB182_369 Depth=1
	s_delay_alu instid0(SALU_CYCLE_1)
	s_or_b32 exec_lo, exec_lo, s24
.LBB182_590:                            ;   in Loop: Header=BB182_369 Depth=1
	s_delay_alu instid0(SALU_CYCLE_1) | instskip(SKIP_4) | instid1(VALU_DEP_3)
	s_or_b32 exec_lo, exec_lo, s23
	v_lshrrev_b32_e32 v57, 16, v56
	v_mov_b64_e32 v[52:53], 0
	v_mov_b64_e32 v[54:55], 0
	s_mov_b32 s23, exec_lo
	v_and_b32_e32 v16, 0xff, v57
	s_delay_alu instid0(VALU_DEP_1)
	v_cmpx_ne_u16_e32 0, v16
	s_cbranch_execz .LBB182_598
; %bb.591:                              ;   in Loop: Header=BB182_369 Depth=1
	v_mov_b64_e32 v[54:55], 0x80000000
	s_mov_b32 s24, exec_lo
	v_cmpx_ne_u16_e32 0x80, v16
	s_cbranch_execz .LBB182_597
; %bb.592:                              ;   in Loop: Header=BB182_369 Depth=1
	v_mov_b64_e32 v[54:55], 0x7f800001
	v_bfe_u32 v58, v56, 16, 7
	s_mov_b32 s25, exec_lo
	s_delay_alu instid0(VALU_DEP_1)
	v_cmpx_ne_u32_e32 0x7f, v58
	s_cbranch_execz .LBB182_596
; %bb.593:                              ;   in Loop: Header=BB182_369 Depth=1
	v_dual_lshrrev_b32 v54, 3, v58 :: v_dual_bitop2_b32 v16, 7, v57 bitop3:0x40
	s_mov_b32 s27, exec_lo
	v_cmpx_gt_u32_e32 8, v58
; %bb.594:                              ;   in Loop: Header=BB182_369 Depth=1
	s_delay_alu instid0(VALU_DEP_2) | instskip(NEXT) | instid1(VALU_DEP_1)
	v_clz_i32_u32_e32 v54, v16
	v_min_u32_e32 v54, 32, v54
	s_delay_alu instid0(VALU_DEP_1) | instskip(SKIP_1) | instid1(VALU_DEP_2)
	v_subrev_nc_u32_e32 v55, 28, v54
	v_sub_nc_u32_e32 v54, 29, v54
	v_lshlrev_b64_e32 v[58:59], v55, v[16:17]
	s_delay_alu instid0(VALU_DEP_1)
	v_and_b32_e32 v16, 7, v58
; %bb.595:                              ;   in Loop: Header=BB182_369 Depth=1
	s_or_b32 exec_lo, exec_lo, s27
	s_delay_alu instid0(VALU_DEP_1) | instskip(SKIP_1) | instid1(VALU_DEP_2)
	v_dual_lshlrev_b32 v55, 24, v57 :: v_dual_lshlrev_b32 v16, 20, v16
	v_lshl_add_u32 v54, v54, 23, 0x3c000000
	v_and_b32_e32 v55, 0x80000000, v55
	s_delay_alu instid0(VALU_DEP_1) | instskip(NEXT) | instid1(VALU_DEP_1)
	v_or3_b32 v16, v16, v55, v54
	v_mov_b64_e32 v[54:55], v[16:17]
.LBB182_596:                            ;   in Loop: Header=BB182_369 Depth=1
	s_or_b32 exec_lo, exec_lo, s25
.LBB182_597:                            ;   in Loop: Header=BB182_369 Depth=1
	s_delay_alu instid0(SALU_CYCLE_1)
	s_or_b32 exec_lo, exec_lo, s24
.LBB182_598:                            ;   in Loop: Header=BB182_369 Depth=1
	s_delay_alu instid0(SALU_CYCLE_1) | instskip(NEXT) | instid1(SALU_CYCLE_1)
	s_or_b32 exec_lo, exec_lo, s23
	s_mov_b32 s23, exec_lo
	v_cmpx_lt_u32_e32 0xffffff, v56
	s_cbranch_execz .LBB182_606
; %bb.599:                              ;   in Loop: Header=BB182_369 Depth=1
	v_mov_b64_e32 v[52:53], 0x8000000000000000
	v_lshrrev_b32_e32 v57, 24, v56
	s_mov_b32 s24, exec_lo
	s_delay_alu instid0(VALU_DEP_1)
	v_cmpx_ne_u32_e32 0x80, v57
	s_cbranch_execz .LBB182_605
; %bb.600:                              ;   in Loop: Header=BB182_369 Depth=1
	v_mov_b64_e32 v[52:53], 0x7f80000100000000
	v_bfe_u32 v56, v56, 24, 7
	s_mov_b32 s25, exec_lo
	s_delay_alu instid0(VALU_DEP_1)
	v_cmpx_ne_u32_e32 0x7f, v56
	s_cbranch_execz .LBB182_604
; %bb.601:                              ;   in Loop: Header=BB182_369 Depth=1
	v_dual_lshrrev_b32 v52, 3, v56 :: v_dual_bitop2_b32 v16, 7, v57 bitop3:0x40
	s_mov_b32 s27, exec_lo
	v_cmpx_gt_u32_e32 8, v56
; %bb.602:                              ;   in Loop: Header=BB182_369 Depth=1
	s_delay_alu instid0(VALU_DEP_2) | instskip(NEXT) | instid1(VALU_DEP_1)
	v_clz_i32_u32_e32 v52, v16
	v_min_u32_e32 v52, 32, v52
	s_delay_alu instid0(VALU_DEP_1) | instskip(NEXT) | instid1(VALU_DEP_1)
	v_subrev_nc_u32_e32 v53, 28, v52
	v_lshlrev_b64_e32 v[58:59], v53, v[16:17]
	s_delay_alu instid0(VALU_DEP_1)
	v_dual_sub_nc_u32 v52, 29, v52 :: v_dual_bitop2_b32 v16, 7, v58 bitop3:0x40
; %bb.603:                              ;   in Loop: Header=BB182_369 Depth=1
	s_or_b32 exec_lo, exec_lo, s27
	s_delay_alu instid0(VALU_DEP_1) | instskip(NEXT) | instid1(VALU_DEP_2)
	v_dual_lshlrev_b32 v53, 24, v57 :: v_dual_lshlrev_b32 v16, 20, v16
	v_lshl_add_u32 v52, v52, 23, 0x3c000000
	s_delay_alu instid0(VALU_DEP_2) | instskip(NEXT) | instid1(VALU_DEP_1)
	v_and_b32_e32 v53, 0x80000000, v53
	v_or3_b32 v53, v16, v53, v52
	v_mov_b32_e32 v52, v17
.LBB182_604:                            ;   in Loop: Header=BB182_369 Depth=1
	s_or_b32 exec_lo, exec_lo, s25
.LBB182_605:                            ;   in Loop: Header=BB182_369 Depth=1
	s_delay_alu instid0(SALU_CYCLE_1)
	s_or_b32 exec_lo, exec_lo, s24
.LBB182_606:                            ;   in Loop: Header=BB182_369 Depth=1
	s_delay_alu instid0(SALU_CYCLE_1)
	s_or_b32 exec_lo, exec_lo, s23
	v_or_b32_e32 v1, v1, v51
	v_or_b32_e32 v0, v0, v50
	v_mov_b64_e32 v[50:51], s[8:9]
	v_or_b32_e32 v55, v53, v55
	v_or_b32_e32 v54, v52, v54
	s_delay_alu instid0(VALU_DEP_3) | instskip(NEXT) | instid1(VALU_DEP_2)
	v_pk_mul_f32 v[52:53], v[50:51], v[0:1]
	v_pk_mul_f32 v[50:51], v[50:51], v[54:55]
	s_and_saveexec_b32 s23, vcc_lo
	s_cbranch_execz .LBB182_608
; %bb.607:                              ;   in Loop: Header=BB182_369 Depth=1
	v_cmp_gt_i32_e64 s0, s34, v43
	s_delay_alu instid0(VALU_DEP_1) | instskip(SKIP_1) | instid1(VALU_DEP_1)
	v_cndmask_b32_e64 v52, 0, v52, s0
	v_cmp_gt_i32_e64 s0, s34, v73
	v_cndmask_b32_e64 v53, 0, v53, s0
	v_cmp_gt_i32_e64 s0, s34, v65
	s_delay_alu instid0(VALU_DEP_1) | instskip(SKIP_1) | instid1(VALU_DEP_1)
	v_cndmask_b32_e64 v50, 0, v50, s0
	v_cmp_gt_i32_e64 s0, s34, v64
	v_cndmask_b32_e64 v51, 0, v51, s0
.LBB182_608:                            ;   in Loop: Header=BB182_369 Depth=1
	s_or_b32 exec_lo, exec_lo, s23
	global_load_b32 v60, v[26:27], off offset:896
	v_mov_b64_e32 v[0:1], 0
	v_mov_b64_e32 v[54:55], 0
	s_mov_b32 s23, exec_lo
	s_wait_loadcnt 0x0
	v_and_b32_e32 v16, 0xff, v60
	s_delay_alu instid0(VALU_DEP_1)
	v_cmpx_ne_u16_e32 0, v16
	s_cbranch_execz .LBB182_616
; %bb.609:                              ;   in Loop: Header=BB182_369 Depth=1
	v_mov_b64_e32 v[54:55], 0x80000000
	s_mov_b32 s24, exec_lo
	v_cmpx_ne_u16_e32 0x80, v16
	s_cbranch_execz .LBB182_615
; %bb.610:                              ;   in Loop: Header=BB182_369 Depth=1
	v_mov_b64_e32 v[54:55], 0x7f800001
	v_and_b32_e32 v56, 0x7f, v60
	s_mov_b32 s25, exec_lo
	s_delay_alu instid0(VALU_DEP_1)
	v_cmpx_ne_u32_e32 0x7f, v56
	s_cbranch_execz .LBB182_614
; %bb.611:                              ;   in Loop: Header=BB182_369 Depth=1
	v_and_b32_e32 v16, 7, v60
	v_lshrrev_b32_e32 v54, 3, v56
	s_mov_b32 s27, exec_lo
	v_cmpx_gt_u32_e32 8, v56
; %bb.612:                              ;   in Loop: Header=BB182_369 Depth=1
	s_delay_alu instid0(VALU_DEP_3) | instskip(NEXT) | instid1(VALU_DEP_1)
	v_clz_i32_u32_e32 v54, v16
	v_min_u32_e32 v54, 32, v54
	s_delay_alu instid0(VALU_DEP_1) | instskip(NEXT) | instid1(VALU_DEP_1)
	v_subrev_nc_u32_e32 v55, 28, v54
	v_lshlrev_b64_e32 v[56:57], v55, v[16:17]
	s_delay_alu instid0(VALU_DEP_1)
	v_dual_sub_nc_u32 v54, 29, v54 :: v_dual_bitop2_b32 v16, 7, v56 bitop3:0x40
; %bb.613:                              ;   in Loop: Header=BB182_369 Depth=1
	s_or_b32 exec_lo, exec_lo, s27
	v_lshlrev_b32_e32 v55, 24, v60
	s_delay_alu instid0(VALU_DEP_2) | instskip(NEXT) | instid1(VALU_DEP_3)
	v_lshlrev_b32_e32 v16, 20, v16
	v_lshl_add_u32 v54, v54, 23, 0x3c000000
	s_delay_alu instid0(VALU_DEP_3) | instskip(NEXT) | instid1(VALU_DEP_1)
	v_and_b32_e32 v55, 0x80000000, v55
	v_or3_b32 v16, v16, v55, v54
	s_delay_alu instid0(VALU_DEP_1)
	v_mov_b64_e32 v[54:55], v[16:17]
.LBB182_614:                            ;   in Loop: Header=BB182_369 Depth=1
	s_or_b32 exec_lo, exec_lo, s25
.LBB182_615:                            ;   in Loop: Header=BB182_369 Depth=1
	s_delay_alu instid0(SALU_CYCLE_1)
	s_or_b32 exec_lo, exec_lo, s24
.LBB182_616:                            ;   in Loop: Header=BB182_369 Depth=1
	s_delay_alu instid0(SALU_CYCLE_1) | instskip(SKIP_2) | instid1(VALU_DEP_1)
	s_or_b32 exec_lo, exec_lo, s23
	v_lshrrev_b16 v16, 8, v60
	s_mov_b32 s23, exec_lo
	v_cmpx_ne_u16_e32 0, v16
	s_cbranch_execz .LBB182_624
; %bb.617:                              ;   in Loop: Header=BB182_369 Depth=1
	v_mov_b64_e32 v[0:1], 0x8000000000000000
	s_mov_b32 s24, exec_lo
	v_cmpx_ne_u16_e32 0x80, v16
	s_cbranch_execz .LBB182_623
; %bb.618:                              ;   in Loop: Header=BB182_369 Depth=1
	v_and_b32_e32 v16, 0xffff, v16
	v_mov_b64_e32 v[0:1], 0x7f80000100000000
	s_mov_b32 s25, exec_lo
	s_delay_alu instid0(VALU_DEP_2) | instskip(NEXT) | instid1(VALU_DEP_1)
	v_and_b32_e32 v56, 0x7f, v16
	v_cmpx_ne_u32_e32 0x7f, v56
	s_cbranch_execz .LBB182_622
; %bb.619:                              ;   in Loop: Header=BB182_369 Depth=1
	v_and_b32_e32 v16, 7, v16
	v_lshrrev_b32_e32 v0, 3, v56
	s_mov_b32 s27, exec_lo
	v_cmpx_gt_u32_e32 8, v56
; %bb.620:                              ;   in Loop: Header=BB182_369 Depth=1
	s_delay_alu instid0(VALU_DEP_3) | instskip(NEXT) | instid1(VALU_DEP_1)
	v_clz_i32_u32_e32 v0, v16
	v_min_u32_e32 v0, 32, v0
	s_delay_alu instid0(VALU_DEP_1) | instskip(SKIP_1) | instid1(VALU_DEP_2)
	v_subrev_nc_u32_e32 v1, 28, v0
	v_sub_nc_u32_e32 v0, 29, v0
	v_lshlrev_b64_e32 v[56:57], v1, v[16:17]
	s_delay_alu instid0(VALU_DEP_1)
	v_and_b32_e32 v16, 7, v56
; %bb.621:                              ;   in Loop: Header=BB182_369 Depth=1
	s_or_b32 exec_lo, exec_lo, s27
	v_lshlrev_b32_e32 v1, 16, v60
	s_delay_alu instid0(VALU_DEP_2) | instskip(SKIP_1) | instid1(VALU_DEP_3)
	v_lshlrev_b32_e32 v16, 20, v16
	v_lshl_add_u32 v0, v0, 23, 0x3c000000
	v_and_b32_e32 v1, 0x80000000, v1
	s_delay_alu instid0(VALU_DEP_1)
	v_or3_b32 v1, v16, v1, v0
	v_mov_b32_e32 v0, v17
.LBB182_622:                            ;   in Loop: Header=BB182_369 Depth=1
	s_or_b32 exec_lo, exec_lo, s25
.LBB182_623:                            ;   in Loop: Header=BB182_369 Depth=1
	s_delay_alu instid0(SALU_CYCLE_1)
	s_or_b32 exec_lo, exec_lo, s24
.LBB182_624:                            ;   in Loop: Header=BB182_369 Depth=1
	s_delay_alu instid0(SALU_CYCLE_1) | instskip(SKIP_4) | instid1(VALU_DEP_3)
	s_or_b32 exec_lo, exec_lo, s23
	v_lshrrev_b32_e32 v61, 16, v60
	v_mov_b64_e32 v[56:57], 0
	v_mov_b64_e32 v[58:59], 0
	s_mov_b32 s23, exec_lo
	v_and_b32_e32 v16, 0xff, v61
	s_delay_alu instid0(VALU_DEP_1)
	v_cmpx_ne_u16_e32 0, v16
	s_cbranch_execz .LBB182_632
; %bb.625:                              ;   in Loop: Header=BB182_369 Depth=1
	v_mov_b64_e32 v[58:59], 0x80000000
	s_mov_b32 s24, exec_lo
	v_cmpx_ne_u16_e32 0x80, v16
	s_cbranch_execz .LBB182_631
; %bb.626:                              ;   in Loop: Header=BB182_369 Depth=1
	v_mov_b64_e32 v[58:59], 0x7f800001
	v_bfe_u32 v62, v60, 16, 7
	s_mov_b32 s25, exec_lo
	s_delay_alu instid0(VALU_DEP_1)
	v_cmpx_ne_u32_e32 0x7f, v62
	s_cbranch_execz .LBB182_630
; %bb.627:                              ;   in Loop: Header=BB182_369 Depth=1
	v_dual_lshrrev_b32 v58, 3, v62 :: v_dual_bitop2_b32 v16, 7, v61 bitop3:0x40
	s_mov_b32 s27, exec_lo
	v_cmpx_gt_u32_e32 8, v62
; %bb.628:                              ;   in Loop: Header=BB182_369 Depth=1
	s_delay_alu instid0(VALU_DEP_2) | instskip(NEXT) | instid1(VALU_DEP_1)
	v_clz_i32_u32_e32 v58, v16
	v_min_u32_e32 v58, 32, v58
	s_delay_alu instid0(VALU_DEP_1) | instskip(SKIP_1) | instid1(VALU_DEP_2)
	v_subrev_nc_u32_e32 v59, 28, v58
	v_sub_nc_u32_e32 v58, 29, v58
	v_lshlrev_b64_e32 v[62:63], v59, v[16:17]
	s_delay_alu instid0(VALU_DEP_1)
	v_and_b32_e32 v16, 7, v62
; %bb.629:                              ;   in Loop: Header=BB182_369 Depth=1
	s_or_b32 exec_lo, exec_lo, s27
	s_delay_alu instid0(VALU_DEP_1) | instskip(SKIP_1) | instid1(VALU_DEP_2)
	v_dual_lshlrev_b32 v59, 24, v61 :: v_dual_lshlrev_b32 v16, 20, v16
	v_lshl_add_u32 v58, v58, 23, 0x3c000000
	v_and_b32_e32 v59, 0x80000000, v59
	s_delay_alu instid0(VALU_DEP_1) | instskip(NEXT) | instid1(VALU_DEP_1)
	v_or3_b32 v16, v16, v59, v58
	v_mov_b64_e32 v[58:59], v[16:17]
.LBB182_630:                            ;   in Loop: Header=BB182_369 Depth=1
	s_or_b32 exec_lo, exec_lo, s25
.LBB182_631:                            ;   in Loop: Header=BB182_369 Depth=1
	s_delay_alu instid0(SALU_CYCLE_1)
	s_or_b32 exec_lo, exec_lo, s24
.LBB182_632:                            ;   in Loop: Header=BB182_369 Depth=1
	s_delay_alu instid0(SALU_CYCLE_1) | instskip(NEXT) | instid1(SALU_CYCLE_1)
	s_or_b32 exec_lo, exec_lo, s23
	s_mov_b32 s23, exec_lo
	v_cmpx_lt_u32_e32 0xffffff, v60
	s_cbranch_execz .LBB182_640
; %bb.633:                              ;   in Loop: Header=BB182_369 Depth=1
	v_mov_b64_e32 v[56:57], 0x8000000000000000
	v_lshrrev_b32_e32 v61, 24, v60
	s_mov_b32 s24, exec_lo
	s_delay_alu instid0(VALU_DEP_1)
	v_cmpx_ne_u32_e32 0x80, v61
	s_cbranch_execz .LBB182_639
; %bb.634:                              ;   in Loop: Header=BB182_369 Depth=1
	v_mov_b64_e32 v[56:57], 0x7f80000100000000
	v_bfe_u32 v60, v60, 24, 7
	s_mov_b32 s25, exec_lo
	s_delay_alu instid0(VALU_DEP_1)
	v_cmpx_ne_u32_e32 0x7f, v60
	s_cbranch_execz .LBB182_638
; %bb.635:                              ;   in Loop: Header=BB182_369 Depth=1
	v_dual_lshrrev_b32 v56, 3, v60 :: v_dual_bitop2_b32 v16, 7, v61 bitop3:0x40
	s_mov_b32 s27, exec_lo
	v_cmpx_gt_u32_e32 8, v60
; %bb.636:                              ;   in Loop: Header=BB182_369 Depth=1
	s_delay_alu instid0(VALU_DEP_2) | instskip(NEXT) | instid1(VALU_DEP_1)
	v_clz_i32_u32_e32 v56, v16
	v_min_u32_e32 v56, 32, v56
	s_delay_alu instid0(VALU_DEP_1) | instskip(NEXT) | instid1(VALU_DEP_1)
	v_subrev_nc_u32_e32 v57, 28, v56
	v_lshlrev_b64_e32 v[62:63], v57, v[16:17]
	s_delay_alu instid0(VALU_DEP_1)
	v_dual_sub_nc_u32 v56, 29, v56 :: v_dual_bitop2_b32 v16, 7, v62 bitop3:0x40
; %bb.637:                              ;   in Loop: Header=BB182_369 Depth=1
	s_or_b32 exec_lo, exec_lo, s27
	s_delay_alu instid0(VALU_DEP_1) | instskip(NEXT) | instid1(VALU_DEP_2)
	v_dual_lshlrev_b32 v57, 24, v61 :: v_dual_lshlrev_b32 v16, 20, v16
	v_lshl_add_u32 v56, v56, 23, 0x3c000000
	s_delay_alu instid0(VALU_DEP_2) | instskip(NEXT) | instid1(VALU_DEP_1)
	v_and_b32_e32 v57, 0x80000000, v57
	v_or3_b32 v57, v16, v57, v56
	v_mov_b32_e32 v56, v17
.LBB182_638:                            ;   in Loop: Header=BB182_369 Depth=1
	s_or_b32 exec_lo, exec_lo, s25
.LBB182_639:                            ;   in Loop: Header=BB182_369 Depth=1
	s_delay_alu instid0(SALU_CYCLE_1)
	s_or_b32 exec_lo, exec_lo, s24
.LBB182_640:                            ;   in Loop: Header=BB182_369 Depth=1
	s_delay_alu instid0(SALU_CYCLE_1)
	s_or_b32 exec_lo, exec_lo, s23
	v_or_b32_e32 v1, v1, v55
	v_or_b32_e32 v0, v0, v54
	v_mov_b64_e32 v[54:55], s[8:9]
	v_or_b32_e32 v59, v57, v59
	v_or_b32_e32 v58, v56, v58
	s_delay_alu instid0(VALU_DEP_3) | instskip(NEXT) | instid1(VALU_DEP_2)
	v_pk_mul_f32 v[56:57], v[54:55], v[0:1]
	v_pk_mul_f32 v[54:55], v[54:55], v[58:59]
	s_and_saveexec_b32 s23, vcc_lo
	s_cbranch_execz .LBB182_642
; %bb.641:                              ;   in Loop: Header=BB182_369 Depth=1
	v_cmp_gt_i32_e64 s0, s34, v43
	s_delay_alu instid0(VALU_DEP_1) | instskip(SKIP_1) | instid1(VALU_DEP_1)
	v_cndmask_b32_e64 v56, 0, v56, s0
	v_cmp_gt_i32_e64 s0, s34, v73
	v_cndmask_b32_e64 v57, 0, v57, s0
	v_cmp_gt_i32_e64 s0, s34, v65
	s_delay_alu instid0(VALU_DEP_1) | instskip(SKIP_1) | instid1(VALU_DEP_1)
	v_cndmask_b32_e64 v54, 0, v54, s0
	v_cmp_gt_i32_e64 s0, s34, v64
	v_cndmask_b32_e64 v55, 0, v55, s0
.LBB182_642:                            ;   in Loop: Header=BB182_369 Depth=1
	s_or_b32 exec_lo, exec_lo, s23
	global_load_b32 v74, v[26:27], off offset:1024
	v_mov_b64_e32 v[0:1], 0
	v_mov_b64_e32 v[58:59], 0
	s_mov_b32 s23, exec_lo
	s_wait_loadcnt 0x0
	v_and_b32_e32 v16, 0xff, v74
	s_delay_alu instid0(VALU_DEP_1)
	v_cmpx_ne_u16_e32 0, v16
	s_cbranch_execz .LBB182_650
; %bb.643:                              ;   in Loop: Header=BB182_369 Depth=1
	v_mov_b64_e32 v[58:59], 0x80000000
	s_mov_b32 s24, exec_lo
	v_cmpx_ne_u16_e32 0x80, v16
	s_cbranch_execz .LBB182_649
; %bb.644:                              ;   in Loop: Header=BB182_369 Depth=1
	v_mov_b64_e32 v[58:59], 0x7f800001
	v_and_b32_e32 v60, 0x7f, v74
	s_mov_b32 s25, exec_lo
	s_delay_alu instid0(VALU_DEP_1)
	v_cmpx_ne_u32_e32 0x7f, v60
	s_cbranch_execz .LBB182_648
; %bb.645:                              ;   in Loop: Header=BB182_369 Depth=1
	v_dual_lshrrev_b32 v58, 3, v60 :: v_dual_bitop2_b32 v16, 7, v74 bitop3:0x40
	s_mov_b32 s27, exec_lo
	v_cmpx_gt_u32_e32 8, v60
; %bb.646:                              ;   in Loop: Header=BB182_369 Depth=1
	s_delay_alu instid0(VALU_DEP_2) | instskip(NEXT) | instid1(VALU_DEP_1)
	v_clz_i32_u32_e32 v58, v16
	v_min_u32_e32 v58, 32, v58
	s_delay_alu instid0(VALU_DEP_1) | instskip(NEXT) | instid1(VALU_DEP_1)
	v_subrev_nc_u32_e32 v59, 28, v58
	v_lshlrev_b64_e32 v[60:61], v59, v[16:17]
	s_delay_alu instid0(VALU_DEP_1)
	v_dual_sub_nc_u32 v58, 29, v58 :: v_dual_bitop2_b32 v16, 7, v60 bitop3:0x40
; %bb.647:                              ;   in Loop: Header=BB182_369 Depth=1
	s_or_b32 exec_lo, exec_lo, s27
	s_delay_alu instid0(VALU_DEP_1) | instskip(NEXT) | instid1(VALU_DEP_2)
	v_dual_lshlrev_b32 v59, 24, v74 :: v_dual_lshlrev_b32 v16, 20, v16
	v_lshl_add_u32 v58, v58, 23, 0x3c000000
	s_delay_alu instid0(VALU_DEP_2) | instskip(NEXT) | instid1(VALU_DEP_1)
	v_and_b32_e32 v59, 0x80000000, v59
	v_or3_b32 v16, v16, v59, v58
	s_delay_alu instid0(VALU_DEP_1)
	v_mov_b64_e32 v[58:59], v[16:17]
.LBB182_648:                            ;   in Loop: Header=BB182_369 Depth=1
	s_or_b32 exec_lo, exec_lo, s25
.LBB182_649:                            ;   in Loop: Header=BB182_369 Depth=1
	s_delay_alu instid0(SALU_CYCLE_1)
	s_or_b32 exec_lo, exec_lo, s24
.LBB182_650:                            ;   in Loop: Header=BB182_369 Depth=1
	s_delay_alu instid0(SALU_CYCLE_1) | instskip(SKIP_2) | instid1(VALU_DEP_1)
	s_or_b32 exec_lo, exec_lo, s23
	v_lshrrev_b16 v16, 8, v74
	s_mov_b32 s23, exec_lo
	v_cmpx_ne_u16_e32 0, v16
	s_cbranch_execz .LBB182_658
; %bb.651:                              ;   in Loop: Header=BB182_369 Depth=1
	v_mov_b64_e32 v[0:1], 0x8000000000000000
	s_mov_b32 s24, exec_lo
	v_cmpx_ne_u16_e32 0x80, v16
	s_cbranch_execz .LBB182_657
; %bb.652:                              ;   in Loop: Header=BB182_369 Depth=1
	v_and_b32_e32 v16, 0xffff, v16
	v_mov_b64_e32 v[0:1], 0x7f80000100000000
	s_mov_b32 s25, exec_lo
	s_delay_alu instid0(VALU_DEP_2) | instskip(NEXT) | instid1(VALU_DEP_1)
	v_and_b32_e32 v60, 0x7f, v16
	v_cmpx_ne_u32_e32 0x7f, v60
	s_cbranch_execz .LBB182_656
; %bb.653:                              ;   in Loop: Header=BB182_369 Depth=1
	v_and_b32_e32 v16, 7, v16
	v_lshrrev_b32_e32 v0, 3, v60
	s_mov_b32 s27, exec_lo
	v_cmpx_gt_u32_e32 8, v60
; %bb.654:                              ;   in Loop: Header=BB182_369 Depth=1
	s_delay_alu instid0(VALU_DEP_3) | instskip(NEXT) | instid1(VALU_DEP_1)
	v_clz_i32_u32_e32 v0, v16
	v_min_u32_e32 v0, 32, v0
	s_delay_alu instid0(VALU_DEP_1) | instskip(SKIP_1) | instid1(VALU_DEP_2)
	v_subrev_nc_u32_e32 v1, 28, v0
	v_sub_nc_u32_e32 v0, 29, v0
	v_lshlrev_b64_e32 v[60:61], v1, v[16:17]
	s_delay_alu instid0(VALU_DEP_1)
	v_and_b32_e32 v16, 7, v60
; %bb.655:                              ;   in Loop: Header=BB182_369 Depth=1
	s_or_b32 exec_lo, exec_lo, s27
	s_delay_alu instid0(VALU_DEP_1) | instskip(SKIP_1) | instid1(VALU_DEP_2)
	v_dual_lshlrev_b32 v1, 16, v74 :: v_dual_lshlrev_b32 v16, 20, v16
	v_lshl_add_u32 v0, v0, 23, 0x3c000000
	v_and_b32_e32 v1, 0x80000000, v1
	s_delay_alu instid0(VALU_DEP_1)
	v_or3_b32 v1, v16, v1, v0
	v_mov_b32_e32 v0, v17
.LBB182_656:                            ;   in Loop: Header=BB182_369 Depth=1
	s_or_b32 exec_lo, exec_lo, s25
.LBB182_657:                            ;   in Loop: Header=BB182_369 Depth=1
	s_delay_alu instid0(SALU_CYCLE_1)
	s_or_b32 exec_lo, exec_lo, s24
.LBB182_658:                            ;   in Loop: Header=BB182_369 Depth=1
	s_delay_alu instid0(SALU_CYCLE_1) | instskip(SKIP_4) | instid1(VALU_DEP_3)
	s_or_b32 exec_lo, exec_lo, s23
	v_lshrrev_b32_e32 v75, 16, v74
	v_mov_b64_e32 v[60:61], 0
	v_mov_b64_e32 v[62:63], 0
	s_mov_b32 s23, exec_lo
	v_and_b32_e32 v16, 0xff, v75
	s_delay_alu instid0(VALU_DEP_1)
	v_cmpx_ne_u16_e32 0, v16
	s_cbranch_execz .LBB182_666
; %bb.659:                              ;   in Loop: Header=BB182_369 Depth=1
	v_mov_b64_e32 v[62:63], 0x80000000
	s_mov_b32 s24, exec_lo
	v_cmpx_ne_u16_e32 0x80, v16
	s_cbranch_execz .LBB182_665
; %bb.660:                              ;   in Loop: Header=BB182_369 Depth=1
	v_mov_b64_e32 v[62:63], 0x7f800001
	v_bfe_u32 v76, v74, 16, 7
	s_mov_b32 s25, exec_lo
	s_delay_alu instid0(VALU_DEP_1)
	v_cmpx_ne_u32_e32 0x7f, v76
	s_cbranch_execz .LBB182_664
; %bb.661:                              ;   in Loop: Header=BB182_369 Depth=1
	v_dual_lshrrev_b32 v62, 3, v76 :: v_dual_bitop2_b32 v16, 7, v75 bitop3:0x40
	s_mov_b32 s27, exec_lo
	v_cmpx_gt_u32_e32 8, v76
; %bb.662:                              ;   in Loop: Header=BB182_369 Depth=1
	s_delay_alu instid0(VALU_DEP_2) | instskip(NEXT) | instid1(VALU_DEP_1)
	v_clz_i32_u32_e32 v62, v16
	v_min_u32_e32 v62, 32, v62
	s_delay_alu instid0(VALU_DEP_1) | instskip(NEXT) | instid1(VALU_DEP_1)
	v_subrev_nc_u32_e32 v63, 28, v62
	v_lshlrev_b64_e32 v[76:77], v63, v[16:17]
	s_delay_alu instid0(VALU_DEP_1)
	v_dual_sub_nc_u32 v62, 29, v62 :: v_dual_bitop2_b32 v16, 7, v76 bitop3:0x40
; %bb.663:                              ;   in Loop: Header=BB182_369 Depth=1
	s_or_b32 exec_lo, exec_lo, s27
	s_delay_alu instid0(VALU_DEP_1) | instskip(NEXT) | instid1(VALU_DEP_2)
	v_dual_lshlrev_b32 v63, 24, v75 :: v_dual_lshlrev_b32 v16, 20, v16
	v_lshl_add_u32 v62, v62, 23, 0x3c000000
	s_delay_alu instid0(VALU_DEP_2) | instskip(NEXT) | instid1(VALU_DEP_1)
	v_and_b32_e32 v63, 0x80000000, v63
	v_or3_b32 v16, v16, v63, v62
	s_delay_alu instid0(VALU_DEP_1)
	v_mov_b64_e32 v[62:63], v[16:17]
.LBB182_664:                            ;   in Loop: Header=BB182_369 Depth=1
	s_or_b32 exec_lo, exec_lo, s25
.LBB182_665:                            ;   in Loop: Header=BB182_369 Depth=1
	s_delay_alu instid0(SALU_CYCLE_1)
	s_or_b32 exec_lo, exec_lo, s24
.LBB182_666:                            ;   in Loop: Header=BB182_369 Depth=1
	s_delay_alu instid0(SALU_CYCLE_1) | instskip(NEXT) | instid1(SALU_CYCLE_1)
	s_or_b32 exec_lo, exec_lo, s23
	s_mov_b32 s23, exec_lo
	v_cmpx_lt_u32_e32 0xffffff, v74
	s_cbranch_execz .LBB182_674
; %bb.667:                              ;   in Loop: Header=BB182_369 Depth=1
	v_mov_b64_e32 v[60:61], 0x8000000000000000
	v_lshrrev_b32_e32 v75, 24, v74
	s_mov_b32 s24, exec_lo
	s_delay_alu instid0(VALU_DEP_1)
	v_cmpx_ne_u32_e32 0x80, v75
	s_cbranch_execz .LBB182_673
; %bb.668:                              ;   in Loop: Header=BB182_369 Depth=1
	v_mov_b64_e32 v[60:61], 0x7f80000100000000
	v_bfe_u32 v74, v74, 24, 7
	s_mov_b32 s25, exec_lo
	s_delay_alu instid0(VALU_DEP_1)
	v_cmpx_ne_u32_e32 0x7f, v74
	s_cbranch_execz .LBB182_672
; %bb.669:                              ;   in Loop: Header=BB182_369 Depth=1
	v_dual_lshrrev_b32 v60, 3, v74 :: v_dual_bitop2_b32 v16, 7, v75 bitop3:0x40
	s_mov_b32 s27, exec_lo
	v_cmpx_gt_u32_e32 8, v74
; %bb.670:                              ;   in Loop: Header=BB182_369 Depth=1
	s_delay_alu instid0(VALU_DEP_2) | instskip(NEXT) | instid1(VALU_DEP_1)
	v_clz_i32_u32_e32 v60, v16
	v_min_u32_e32 v60, 32, v60
	s_delay_alu instid0(VALU_DEP_1) | instskip(SKIP_1) | instid1(VALU_DEP_2)
	v_subrev_nc_u32_e32 v61, 28, v60
	v_sub_nc_u32_e32 v60, 29, v60
	v_lshlrev_b64_e32 v[76:77], v61, v[16:17]
	s_delay_alu instid0(VALU_DEP_1)
	v_and_b32_e32 v16, 7, v76
; %bb.671:                              ;   in Loop: Header=BB182_369 Depth=1
	s_or_b32 exec_lo, exec_lo, s27
	s_delay_alu instid0(VALU_DEP_1) | instskip(SKIP_1) | instid1(VALU_DEP_2)
	v_dual_lshlrev_b32 v61, 24, v75 :: v_dual_lshlrev_b32 v16, 20, v16
	v_lshl_add_u32 v60, v60, 23, 0x3c000000
	v_and_b32_e32 v61, 0x80000000, v61
	s_delay_alu instid0(VALU_DEP_1)
	v_or3_b32 v61, v16, v61, v60
	v_mov_b32_e32 v60, v17
.LBB182_672:                            ;   in Loop: Header=BB182_369 Depth=1
	s_or_b32 exec_lo, exec_lo, s25
.LBB182_673:                            ;   in Loop: Header=BB182_369 Depth=1
	s_delay_alu instid0(SALU_CYCLE_1)
	s_or_b32 exec_lo, exec_lo, s24
.LBB182_674:                            ;   in Loop: Header=BB182_369 Depth=1
	s_delay_alu instid0(SALU_CYCLE_1)
	s_or_b32 exec_lo, exec_lo, s23
	v_or_b32_e32 v1, v1, v59
	v_or_b32_e32 v0, v0, v58
	v_mov_b64_e32 v[58:59], s[8:9]
	v_or_b32_e32 v63, v61, v63
	v_or_b32_e32 v62, v60, v62
	s_delay_alu instid0(VALU_DEP_3) | instskip(NEXT) | instid1(VALU_DEP_2)
	v_pk_mul_f32 v[60:61], v[58:59], v[0:1]
	v_pk_mul_f32 v[58:59], v[58:59], v[62:63]
	s_and_saveexec_b32 s23, vcc_lo
	s_cbranch_execz .LBB182_676
; %bb.675:                              ;   in Loop: Header=BB182_369 Depth=1
	v_cmp_gt_i32_e64 s0, s34, v43
	s_delay_alu instid0(VALU_DEP_1) | instskip(SKIP_1) | instid1(VALU_DEP_1)
	v_cndmask_b32_e64 v60, 0, v60, s0
	v_cmp_gt_i32_e64 s0, s34, v73
	v_cndmask_b32_e64 v61, 0, v61, s0
	v_cmp_gt_i32_e64 s0, s34, v65
	s_delay_alu instid0(VALU_DEP_1) | instskip(SKIP_1) | instid1(VALU_DEP_1)
	v_cndmask_b32_e64 v58, 0, v58, s0
	v_cmp_gt_i32_e64 s0, s34, v64
	v_cndmask_b32_e64 v59, 0, v59, s0
.LBB182_676:                            ;   in Loop: Header=BB182_369 Depth=1
	s_or_b32 exec_lo, exec_lo, s23
	global_load_b32 v74, v[26:27], off offset:1152
	v_mov_b64_e32 v[0:1], 0
	s_wait_xcnt 0x0
	v_mov_b64_e32 v[26:27], 0
	s_mov_b32 s23, exec_lo
	s_wait_loadcnt 0x0
	v_and_b32_e32 v16, 0xff, v74
	s_delay_alu instid0(VALU_DEP_1)
	v_cmpx_ne_u16_e32 0, v16
	s_cbranch_execz .LBB182_684
; %bb.677:                              ;   in Loop: Header=BB182_369 Depth=1
	v_mov_b64_e32 v[26:27], 0x80000000
	s_mov_b32 s24, exec_lo
	v_cmpx_ne_u16_e32 0x80, v16
	s_cbranch_execz .LBB182_683
; %bb.678:                              ;   in Loop: Header=BB182_369 Depth=1
	v_mov_b64_e32 v[26:27], 0x7f800001
	v_and_b32_e32 v62, 0x7f, v74
	s_mov_b32 s25, exec_lo
	s_delay_alu instid0(VALU_DEP_1)
	v_cmpx_ne_u32_e32 0x7f, v62
	s_cbranch_execz .LBB182_682
; %bb.679:                              ;   in Loop: Header=BB182_369 Depth=1
	v_and_b32_e32 v16, 7, v74
	v_lshrrev_b32_e32 v26, 3, v62
	s_mov_b32 s27, exec_lo
	v_cmpx_gt_u32_e32 8, v62
; %bb.680:                              ;   in Loop: Header=BB182_369 Depth=1
	s_delay_alu instid0(VALU_DEP_3) | instskip(NEXT) | instid1(VALU_DEP_1)
	v_clz_i32_u32_e32 v26, v16
	v_min_u32_e32 v26, 32, v26
	s_delay_alu instid0(VALU_DEP_1) | instskip(SKIP_1) | instid1(VALU_DEP_2)
	v_subrev_nc_u32_e32 v27, 28, v26
	v_sub_nc_u32_e32 v26, 29, v26
	v_lshlrev_b64_e32 v[62:63], v27, v[16:17]
	s_delay_alu instid0(VALU_DEP_1)
	v_and_b32_e32 v16, 7, v62
; %bb.681:                              ;   in Loop: Header=BB182_369 Depth=1
	s_or_b32 exec_lo, exec_lo, s27
	s_delay_alu instid0(VALU_DEP_1) | instskip(SKIP_1) | instid1(VALU_DEP_2)
	v_dual_lshlrev_b32 v27, 24, v74 :: v_dual_lshlrev_b32 v16, 20, v16
	v_lshl_add_u32 v26, v26, 23, 0x3c000000
	v_and_b32_e32 v27, 0x80000000, v27
	s_delay_alu instid0(VALU_DEP_1) | instskip(NEXT) | instid1(VALU_DEP_1)
	v_or3_b32 v16, v16, v27, v26
	v_mov_b64_e32 v[26:27], v[16:17]
.LBB182_682:                            ;   in Loop: Header=BB182_369 Depth=1
	s_or_b32 exec_lo, exec_lo, s25
.LBB182_683:                            ;   in Loop: Header=BB182_369 Depth=1
	s_delay_alu instid0(SALU_CYCLE_1)
	s_or_b32 exec_lo, exec_lo, s24
.LBB182_684:                            ;   in Loop: Header=BB182_369 Depth=1
	s_delay_alu instid0(SALU_CYCLE_1) | instskip(SKIP_2) | instid1(VALU_DEP_1)
	s_or_b32 exec_lo, exec_lo, s23
	v_lshrrev_b16 v16, 8, v74
	s_mov_b32 s23, exec_lo
	v_cmpx_ne_u16_e32 0, v16
	s_cbranch_execz .LBB182_692
; %bb.685:                              ;   in Loop: Header=BB182_369 Depth=1
	v_mov_b64_e32 v[0:1], 0x8000000000000000
	s_mov_b32 s24, exec_lo
	v_cmpx_ne_u16_e32 0x80, v16
	s_cbranch_execz .LBB182_691
; %bb.686:                              ;   in Loop: Header=BB182_369 Depth=1
	v_and_b32_e32 v16, 0xffff, v16
	v_mov_b64_e32 v[0:1], 0x7f80000100000000
	s_mov_b32 s25, exec_lo
	s_delay_alu instid0(VALU_DEP_2) | instskip(NEXT) | instid1(VALU_DEP_1)
	v_and_b32_e32 v62, 0x7f, v16
	v_cmpx_ne_u32_e32 0x7f, v62
	s_cbranch_execz .LBB182_690
; %bb.687:                              ;   in Loop: Header=BB182_369 Depth=1
	v_dual_lshrrev_b32 v0, 3, v62 :: v_dual_bitop2_b32 v16, 7, v16 bitop3:0x40
	s_mov_b32 s27, exec_lo
	v_cmpx_gt_u32_e32 8, v62
; %bb.688:                              ;   in Loop: Header=BB182_369 Depth=1
	s_delay_alu instid0(VALU_DEP_2) | instskip(NEXT) | instid1(VALU_DEP_1)
	v_clz_i32_u32_e32 v0, v16
	v_min_u32_e32 v0, 32, v0
	s_delay_alu instid0(VALU_DEP_1) | instskip(NEXT) | instid1(VALU_DEP_1)
	v_subrev_nc_u32_e32 v1, 28, v0
	v_lshlrev_b64_e32 v[62:63], v1, v[16:17]
	s_delay_alu instid0(VALU_DEP_1)
	v_dual_sub_nc_u32 v0, 29, v0 :: v_dual_bitop2_b32 v16, 7, v62 bitop3:0x40
; %bb.689:                              ;   in Loop: Header=BB182_369 Depth=1
	s_or_b32 exec_lo, exec_lo, s27
	s_delay_alu instid0(VALU_DEP_1) | instskip(NEXT) | instid1(VALU_DEP_2)
	v_dual_lshlrev_b32 v1, 16, v74 :: v_dual_lshlrev_b32 v16, 20, v16
	v_lshl_add_u32 v0, v0, 23, 0x3c000000
	s_delay_alu instid0(VALU_DEP_2) | instskip(NEXT) | instid1(VALU_DEP_1)
	v_and_b32_e32 v1, 0x80000000, v1
	v_or3_b32 v1, v16, v1, v0
	v_mov_b32_e32 v0, v17
.LBB182_690:                            ;   in Loop: Header=BB182_369 Depth=1
	s_or_b32 exec_lo, exec_lo, s25
.LBB182_691:                            ;   in Loop: Header=BB182_369 Depth=1
	s_delay_alu instid0(SALU_CYCLE_1)
	s_or_b32 exec_lo, exec_lo, s24
.LBB182_692:                            ;   in Loop: Header=BB182_369 Depth=1
	s_delay_alu instid0(SALU_CYCLE_1) | instskip(SKIP_4) | instid1(VALU_DEP_3)
	s_or_b32 exec_lo, exec_lo, s23
	v_lshrrev_b32_e32 v75, 16, v74
	v_mov_b64_e32 v[62:63], 0
	v_mov_b64_e32 v[64:65], 0
	s_mov_b32 s23, exec_lo
	v_and_b32_e32 v16, 0xff, v75
	s_delay_alu instid0(VALU_DEP_1)
	v_cmpx_ne_u16_e32 0, v16
	s_cbranch_execz .LBB182_700
; %bb.693:                              ;   in Loop: Header=BB182_369 Depth=1
	v_mov_b64_e32 v[64:65], 0x80000000
	s_mov_b32 s24, exec_lo
	v_cmpx_ne_u16_e32 0x80, v16
	s_cbranch_execz .LBB182_699
; %bb.694:                              ;   in Loop: Header=BB182_369 Depth=1
	v_mov_b64_e32 v[64:65], 0x7f800001
	v_bfe_u32 v76, v74, 16, 7
	s_mov_b32 s25, exec_lo
	s_delay_alu instid0(VALU_DEP_1)
	v_cmpx_ne_u32_e32 0x7f, v76
	s_cbranch_execz .LBB182_698
; %bb.695:                              ;   in Loop: Header=BB182_369 Depth=1
	v_dual_lshrrev_b32 v64, 3, v76 :: v_dual_bitop2_b32 v16, 7, v75 bitop3:0x40
	s_mov_b32 s27, exec_lo
	v_cmpx_gt_u32_e32 8, v76
; %bb.696:                              ;   in Loop: Header=BB182_369 Depth=1
	s_delay_alu instid0(VALU_DEP_2) | instskip(NEXT) | instid1(VALU_DEP_1)
	v_clz_i32_u32_e32 v64, v16
	v_min_u32_e32 v64, 32, v64
	s_delay_alu instid0(VALU_DEP_1) | instskip(SKIP_1) | instid1(VALU_DEP_2)
	v_subrev_nc_u32_e32 v65, 28, v64
	v_sub_nc_u32_e32 v64, 29, v64
	v_lshlrev_b64_e32 v[76:77], v65, v[16:17]
	s_delay_alu instid0(VALU_DEP_1)
	v_and_b32_e32 v16, 7, v76
; %bb.697:                              ;   in Loop: Header=BB182_369 Depth=1
	s_or_b32 exec_lo, exec_lo, s27
	s_delay_alu instid0(VALU_DEP_1) | instskip(SKIP_1) | instid1(VALU_DEP_2)
	v_dual_lshlrev_b32 v65, 24, v75 :: v_dual_lshlrev_b32 v16, 20, v16
	v_lshl_add_u32 v64, v64, 23, 0x3c000000
	v_and_b32_e32 v65, 0x80000000, v65
	s_delay_alu instid0(VALU_DEP_1) | instskip(NEXT) | instid1(VALU_DEP_1)
	v_or3_b32 v16, v16, v65, v64
	v_mov_b64_e32 v[64:65], v[16:17]
.LBB182_698:                            ;   in Loop: Header=BB182_369 Depth=1
	s_or_b32 exec_lo, exec_lo, s25
.LBB182_699:                            ;   in Loop: Header=BB182_369 Depth=1
	s_delay_alu instid0(SALU_CYCLE_1)
	s_or_b32 exec_lo, exec_lo, s24
.LBB182_700:                            ;   in Loop: Header=BB182_369 Depth=1
	s_delay_alu instid0(SALU_CYCLE_1) | instskip(NEXT) | instid1(SALU_CYCLE_1)
	s_or_b32 exec_lo, exec_lo, s23
	s_mov_b32 s23, exec_lo
	v_cmpx_lt_u32_e32 0xffffff, v74
	s_cbranch_execz .LBB182_708
; %bb.701:                              ;   in Loop: Header=BB182_369 Depth=1
	v_mov_b64_e32 v[62:63], 0x8000000000000000
	v_lshrrev_b32_e32 v75, 24, v74
	s_mov_b32 s24, exec_lo
	s_delay_alu instid0(VALU_DEP_1)
	v_cmpx_ne_u32_e32 0x80, v75
	s_cbranch_execz .LBB182_707
; %bb.702:                              ;   in Loop: Header=BB182_369 Depth=1
	v_mov_b64_e32 v[62:63], 0x7f80000100000000
	v_bfe_u32 v74, v74, 24, 7
	s_mov_b32 s25, exec_lo
	s_delay_alu instid0(VALU_DEP_1)
	v_cmpx_ne_u32_e32 0x7f, v74
	s_cbranch_execz .LBB182_706
; %bb.703:                              ;   in Loop: Header=BB182_369 Depth=1
	v_dual_lshrrev_b32 v62, 3, v74 :: v_dual_bitop2_b32 v16, 7, v75 bitop3:0x40
	s_mov_b32 s27, exec_lo
	v_cmpx_gt_u32_e32 8, v74
; %bb.704:                              ;   in Loop: Header=BB182_369 Depth=1
	s_delay_alu instid0(VALU_DEP_2) | instskip(NEXT) | instid1(VALU_DEP_1)
	v_clz_i32_u32_e32 v62, v16
	v_min_u32_e32 v62, 32, v62
	s_delay_alu instid0(VALU_DEP_1) | instskip(NEXT) | instid1(VALU_DEP_1)
	v_subrev_nc_u32_e32 v63, 28, v62
	v_lshlrev_b64_e32 v[76:77], v63, v[16:17]
	s_delay_alu instid0(VALU_DEP_1)
	v_dual_sub_nc_u32 v62, 29, v62 :: v_dual_bitop2_b32 v16, 7, v76 bitop3:0x40
; %bb.705:                              ;   in Loop: Header=BB182_369 Depth=1
	s_or_b32 exec_lo, exec_lo, s27
	s_delay_alu instid0(VALU_DEP_1) | instskip(NEXT) | instid1(VALU_DEP_2)
	v_dual_lshlrev_b32 v63, 24, v75 :: v_dual_lshlrev_b32 v16, 20, v16
	v_lshl_add_u32 v62, v62, 23, 0x3c000000
	s_delay_alu instid0(VALU_DEP_2) | instskip(NEXT) | instid1(VALU_DEP_1)
	v_and_b32_e32 v63, 0x80000000, v63
	v_or3_b32 v63, v16, v63, v62
	v_mov_b32_e32 v62, v17
.LBB182_706:                            ;   in Loop: Header=BB182_369 Depth=1
	s_or_b32 exec_lo, exec_lo, s25
.LBB182_707:                            ;   in Loop: Header=BB182_369 Depth=1
	s_delay_alu instid0(SALU_CYCLE_1)
	s_or_b32 exec_lo, exec_lo, s24
.LBB182_708:                            ;   in Loop: Header=BB182_369 Depth=1
	s_delay_alu instid0(SALU_CYCLE_1)
	s_or_b32 exec_lo, exec_lo, s23
	v_mov_b64_e32 v[74:75], s[8:9]
	v_or_b32_e32 v1, v1, v27
	v_or_b32_e32 v0, v0, v26
	;; [unrolled: 1-line block ×4, first 2 shown]
	s_delay_alu instid0(VALU_DEP_3) | instskip(NEXT) | instid1(VALU_DEP_2)
	v_pk_mul_f32 v[26:27], v[74:75], v[0:1]
	v_pk_mul_f32 v[0:1], v[74:75], v[62:63]
	s_and_saveexec_b32 s0, vcc_lo
	s_cbranch_execz .LBB182_367
; %bb.709:                              ;   in Loop: Header=BB182_369 Depth=1
	v_cmp_gt_i32_e32 vcc_lo, s18, v73
	v_or_b32_e32 v62, 2, v43
	v_cndmask_b32_e32 v27, 0, v27, vcc_lo
	v_cmp_gt_i32_e32 vcc_lo, s34, v43
	v_dual_cndmask_b32 v26, 0, v26, vcc_lo :: v_dual_bitop2_b32 v16, 3, v43 bitop3:0x54
	s_delay_alu instid0(VALU_DEP_1)
	v_cmp_gt_i32_e32 vcc_lo, s18, v16
	v_cndmask_b32_e32 v1, 0, v1, vcc_lo
	v_cmp_gt_i32_e32 vcc_lo, s34, v62
	v_cndmask_b32_e32 v0, 0, v0, vcc_lo
	s_branch .LBB182_367
.LBB182_710:
	s_or_b32 exec_lo, exec_lo, s19
	v_dual_mov_b32 v24, v78 :: v_dual_mov_b32 v59, v79
.LBB182_711:
	s_or_b32 exec_lo, exec_lo, s1
	ds_bpermute_b32 v0, v67, v8
	ds_bpermute_b32 v1, v67, v9
	;; [unrolled: 1-line block ×10, first 2 shown]
	s_mov_b32 s0, exec_lo
	s_wait_dscnt 0x0
	s_barrier_signal -1
	s_barrier_wait -1
	v_pk_add_f32 v[8:9], v[8:9], v[0:1]
	v_pk_add_f32 v[2:3], v[14:15], v[2:3]
	;; [unrolled: 1-line block ×3, first 2 shown]
	v_and_b32_e32 v12, 28, v66
	v_pk_add_f32 v[14:15], v[10:11], v[16:17]
	ds_bpermute_b32 v16, v68, v2
	v_pk_add_f32 v[0:1], v[6:7], v[18:19]
	ds_bpermute_b32 v6, v68, v8
	ds_bpermute_b32 v7, v68, v9
	;; [unrolled: 1-line block ×9, first 2 shown]
	v_and_b32_e32 v13, 0x3c3, v24
	s_wait_dscnt 0x7
	v_pk_add_f32 v[8:9], v[8:9], v[6:7]
	s_wait_dscnt 0x6
	v_pk_add_f32 v[6:7], v[2:3], v[16:17]
	;; [unrolled: 2-line block ×4, first 2 shown]
	v_cmpx_ne_u32_e32 64, v13
	s_xor_b32 s0, exec_lo, s0
	s_delay_alu instid0(SALU_CYCLE_1)
	s_or_saveexec_b32 s0, s0
	s_wait_dscnt 0x0
	v_pk_add_f32 v[10:11], v[0:1], v[10:11]
	v_lshrrev_b32_e32 v0, 2, v66
	v_add_nc_u32_e32 v1, 0x160, v12
	v_mul_u32_u24_e32 v12, 0x140, v59
	s_xor_b32 exec_lo, exec_lo, s0
	s_cbranch_execz .LBB182_713
; %bb.712:
	s_delay_alu instid0(VALU_DEP_1) | instskip(NEXT) | instid1(VALU_DEP_1)
	v_add_nc_u32_e32 v13, v1, v12
	v_add_nc_u32_e32 v14, 0xfffffd80, v13
	;; [unrolled: 1-line block ×11, first 2 shown]
	ds_store_b32 v14, v8
	ds_store_b32 v15, v9
	;; [unrolled: 1-line block ×10, first 2 shown]
.LBB182_713:
	s_or_b32 exec_lo, exec_lo, s0
	v_lshlrev_b32_e32 v0, 2, v0
	s_mov_b32 s1, exec_lo
	v_cmp_eq_u32_e32 vcc_lo, 0, v69
	s_wait_dscnt 0x0
	s_barrier_signal -1
	v_add3_u32 v0, 0x160, v12, v0
	s_barrier_wait -1
	v_cmpx_gt_u32_e32 64, v24
	s_cbranch_execz .LBB182_726
; %bb.714:
	s_and_saveexec_b32 s0, vcc_lo
	s_cbranch_execnz .LBB182_744
; %bb.715:
	s_or_b32 exec_lo, exec_lo, s0
	s_and_saveexec_b32 s0, vcc_lo
	s_cbranch_execnz .LBB182_745
.LBB182_716:
	s_or_b32 exec_lo, exec_lo, s0
	s_and_saveexec_b32 s0, vcc_lo
	s_cbranch_execnz .LBB182_746
.LBB182_717:
	s_or_b32 exec_lo, exec_lo, s0
	s_and_saveexec_b32 s0, vcc_lo
	s_cbranch_execnz .LBB182_747
.LBB182_718:
	s_or_b32 exec_lo, exec_lo, s0
	s_and_saveexec_b32 s0, vcc_lo
	s_cbranch_execnz .LBB182_748
.LBB182_719:
	s_or_b32 exec_lo, exec_lo, s0
	s_and_saveexec_b32 s0, vcc_lo
	s_cbranch_execnz .LBB182_749
.LBB182_720:
	s_or_b32 exec_lo, exec_lo, s0
	s_and_saveexec_b32 s0, vcc_lo
	s_cbranch_execnz .LBB182_750
.LBB182_721:
	s_or_b32 exec_lo, exec_lo, s0
	s_and_saveexec_b32 s0, vcc_lo
	s_cbranch_execnz .LBB182_751
.LBB182_722:
	s_or_b32 exec_lo, exec_lo, s0
	s_and_saveexec_b32 s0, vcc_lo
	s_cbranch_execnz .LBB182_752
.LBB182_723:
	s_or_b32 exec_lo, exec_lo, s0
	s_and_saveexec_b32 s0, vcc_lo
	s_cbranch_execz .LBB182_725
.LBB182_724:
	ds_load_b32 v12, v0 offset:288
	s_wait_dscnt 0x0
	v_add_f32_e32 v11, v11, v12
.LBB182_725:
	s_or_b32 exec_lo, exec_lo, s0
.LBB182_726:
	s_delay_alu instid0(SALU_CYCLE_1) | instskip(SKIP_4) | instid1(VALU_DEP_1)
	s_or_b32 exec_lo, exec_lo, s1
	v_and_b32_e32 v12, 0x3e3, v24
	s_mov_b32 s1, exec_lo
	s_barrier_signal -1
	s_barrier_wait -1
	v_cmpx_eq_u32_e32 32, v12
	s_cbranch_execz .LBB182_728
; %bb.727:
	ds_store_2addr_b32 v1, v8, v9 offset1:8
	ds_store_2addr_b32 v1, v6, v7 offset0:16 offset1:24
	ds_store_2addr_b32 v1, v4, v5 offset0:32 offset1:40
	;; [unrolled: 1-line block ×4, first 2 shown]
.LBB182_728:
	s_or_b32 exec_lo, exec_lo, s1
	s_delay_alu instid0(SALU_CYCLE_1)
	s_mov_b32 s1, exec_lo
	s_wait_dscnt 0x0
	s_barrier_signal -1
	s_barrier_wait -1
	v_cmpx_gt_u32_e32 32, v24
	s_cbranch_execz .LBB182_741
; %bb.729:
	s_and_saveexec_b32 s0, vcc_lo
	s_cbranch_execnz .LBB182_753
; %bb.730:
	s_or_b32 exec_lo, exec_lo, s0
	s_and_saveexec_b32 s0, vcc_lo
	s_cbranch_execnz .LBB182_754
.LBB182_731:
	s_or_b32 exec_lo, exec_lo, s0
	s_and_saveexec_b32 s0, vcc_lo
	s_cbranch_execnz .LBB182_755
.LBB182_732:
	s_or_b32 exec_lo, exec_lo, s0
	s_and_saveexec_b32 s0, vcc_lo
	s_cbranch_execnz .LBB182_756
.LBB182_733:
	s_or_b32 exec_lo, exec_lo, s0
	s_and_saveexec_b32 s0, vcc_lo
	s_cbranch_execnz .LBB182_757
.LBB182_734:
	s_or_b32 exec_lo, exec_lo, s0
	s_and_saveexec_b32 s0, vcc_lo
	s_cbranch_execnz .LBB182_758
.LBB182_735:
	s_or_b32 exec_lo, exec_lo, s0
	s_and_saveexec_b32 s0, vcc_lo
	s_cbranch_execnz .LBB182_759
.LBB182_736:
	s_or_b32 exec_lo, exec_lo, s0
	s_and_saveexec_b32 s0, vcc_lo
	s_cbranch_execnz .LBB182_760
.LBB182_737:
	s_or_b32 exec_lo, exec_lo, s0
	s_and_saveexec_b32 s0, vcc_lo
	s_cbranch_execnz .LBB182_761
.LBB182_738:
	s_or_b32 exec_lo, exec_lo, s0
	s_and_saveexec_b32 s0, vcc_lo
	s_cbranch_execz .LBB182_740
.LBB182_739:
	ds_load_b32 v0, v0 offset:288
	s_wait_dscnt 0x0
	v_add_f32_e32 v11, v11, v0
.LBB182_740:
	s_or_b32 exec_lo, exec_lo, s0
.LBB182_741:
	s_delay_alu instid0(SALU_CYCLE_1)
	s_or_b32 exec_lo, exec_lo, s1
	s_mov_b32 s1, 0
	s_barrier_signal -1
	s_barrier_wait -1
	s_mov_b32 s0, exec_lo
	v_cmpx_eq_u32_e32 0, v12
	s_cbranch_execz .LBB182_743
; %bb.742:
	s_mul_i32 s0, s33, s7
	s_mul_i32 s2, s7, s6
	;; [unrolled: 1-line block ×3, first 2 shown]
	s_wait_kmcnt 0x0
	s_lshr_b32 s8, ttmp7, 16
	s_mul_i32 s6, s0, 0x50
	s_bfe_u32 s0, ttmp6, 0x40014
	s_ashr_i32 s7, s6, 31
	s_add_co_i32 s0, s0, 1
	s_ashr_i32 s3, s2, 31
	s_mul_i32 s0, s8, s0
	s_bfe_u32 s9, ttmp6, 0x40008
	s_lshl_b64 s[6:7], s[6:7], 2
	s_lshl_b64 s[2:3], s[2:3], 2
	s_add_co_i32 s9, s9, s0
	s_cmp_eq_u32 s30, 0
	s_add_nc_u64 s[4:5], s[4:5], s[6:7]
	s_cselect_b32 s0, s8, s9
	s_add_nc_u64 s[2:3], s[4:5], s[2:3]
	s_mulk_i32 s0, 0x140
	s_delay_alu instid0(SALU_CYCLE_1)
	s_add_nc_u64 s[0:1], s[2:3], s[0:1]
	s_clause 0x9
	global_store_b32 v24, v8, s[0:1]
	global_store_b32 v24, v9, s[0:1] offset:32
	global_store_b32 v24, v6, s[0:1] offset:64
	;; [unrolled: 1-line block ×9, first 2 shown]
.LBB182_743:
	s_sendmsg sendmsg(MSG_DEALLOC_VGPRS)
	s_endpgm
.LBB182_744:
	ds_load_b32 v12, v0
	s_wait_dscnt 0x0
	v_add_f32_e32 v8, v8, v12
	s_or_b32 exec_lo, exec_lo, s0
	s_and_saveexec_b32 s0, vcc_lo
	s_cbranch_execz .LBB182_716
.LBB182_745:
	ds_load_b32 v12, v0 offset:32
	s_wait_dscnt 0x0
	v_add_f32_e32 v9, v9, v12
	s_or_b32 exec_lo, exec_lo, s0
	s_and_saveexec_b32 s0, vcc_lo
	s_cbranch_execz .LBB182_717
.LBB182_746:
	ds_load_b32 v12, v0 offset:64
	s_wait_dscnt 0x0
	v_add_f32_e32 v6, v6, v12
	s_or_b32 exec_lo, exec_lo, s0
	s_and_saveexec_b32 s0, vcc_lo
	s_cbranch_execz .LBB182_718
.LBB182_747:
	ds_load_b32 v12, v0 offset:96
	s_wait_dscnt 0x0
	v_add_f32_e32 v7, v7, v12
	s_or_b32 exec_lo, exec_lo, s0
	s_and_saveexec_b32 s0, vcc_lo
	s_cbranch_execz .LBB182_719
.LBB182_748:
	ds_load_b32 v12, v0 offset:128
	s_wait_dscnt 0x0
	v_add_f32_e32 v4, v4, v12
	s_or_b32 exec_lo, exec_lo, s0
	s_and_saveexec_b32 s0, vcc_lo
	s_cbranch_execz .LBB182_720
.LBB182_749:
	ds_load_b32 v12, v0 offset:160
	s_wait_dscnt 0x0
	v_add_f32_e32 v5, v5, v12
	s_or_b32 exec_lo, exec_lo, s0
	s_and_saveexec_b32 s0, vcc_lo
	s_cbranch_execz .LBB182_721
.LBB182_750:
	ds_load_b32 v12, v0 offset:192
	s_wait_dscnt 0x0
	v_add_f32_e32 v2, v2, v12
	s_or_b32 exec_lo, exec_lo, s0
	s_and_saveexec_b32 s0, vcc_lo
	s_cbranch_execz .LBB182_722
.LBB182_751:
	ds_load_b32 v12, v0 offset:224
	s_wait_dscnt 0x0
	v_add_f32_e32 v3, v3, v12
	s_or_b32 exec_lo, exec_lo, s0
	s_and_saveexec_b32 s0, vcc_lo
	s_cbranch_execz .LBB182_723
.LBB182_752:
	ds_load_b32 v12, v0 offset:256
	s_wait_dscnt 0x0
	v_add_f32_e32 v10, v10, v12
	s_or_b32 exec_lo, exec_lo, s0
	s_and_saveexec_b32 s0, vcc_lo
	s_cbranch_execnz .LBB182_724
	s_branch .LBB182_725
.LBB182_753:
	ds_load_b32 v1, v0
	s_wait_dscnt 0x0
	v_add_f32_e32 v8, v8, v1
	s_or_b32 exec_lo, exec_lo, s0
	s_and_saveexec_b32 s0, vcc_lo
	s_cbranch_execz .LBB182_731
.LBB182_754:
	ds_load_b32 v1, v0 offset:32
	s_wait_dscnt 0x0
	v_add_f32_e32 v9, v9, v1
	s_or_b32 exec_lo, exec_lo, s0
	s_and_saveexec_b32 s0, vcc_lo
	s_cbranch_execz .LBB182_732
.LBB182_755:
	ds_load_b32 v1, v0 offset:64
	s_wait_dscnt 0x0
	v_add_f32_e32 v6, v6, v1
	s_or_b32 exec_lo, exec_lo, s0
	s_and_saveexec_b32 s0, vcc_lo
	s_cbranch_execz .LBB182_733
.LBB182_756:
	ds_load_b32 v1, v0 offset:96
	s_wait_dscnt 0x0
	v_add_f32_e32 v7, v7, v1
	s_or_b32 exec_lo, exec_lo, s0
	s_and_saveexec_b32 s0, vcc_lo
	s_cbranch_execz .LBB182_734
.LBB182_757:
	ds_load_b32 v1, v0 offset:128
	s_wait_dscnt 0x0
	v_add_f32_e32 v4, v4, v1
	s_or_b32 exec_lo, exec_lo, s0
	s_and_saveexec_b32 s0, vcc_lo
	s_cbranch_execz .LBB182_735
.LBB182_758:
	ds_load_b32 v1, v0 offset:160
	s_wait_dscnt 0x0
	v_add_f32_e32 v5, v5, v1
	s_or_b32 exec_lo, exec_lo, s0
	s_and_saveexec_b32 s0, vcc_lo
	s_cbranch_execz .LBB182_736
.LBB182_759:
	ds_load_b32 v1, v0 offset:192
	s_wait_dscnt 0x0
	v_add_f32_e32 v2, v2, v1
	s_or_b32 exec_lo, exec_lo, s0
	s_and_saveexec_b32 s0, vcc_lo
	s_cbranch_execz .LBB182_737
.LBB182_760:
	ds_load_b32 v1, v0 offset:224
	s_wait_dscnt 0x0
	v_add_f32_e32 v3, v3, v1
	s_or_b32 exec_lo, exec_lo, s0
	s_and_saveexec_b32 s0, vcc_lo
	s_cbranch_execz .LBB182_738
.LBB182_761:
	ds_load_b32 v1, v0 offset:256
	s_wait_dscnt 0x0
	v_add_f32_e32 v10, v10, v1
	s_or_b32 exec_lo, exec_lo, s0
	s_and_saveexec_b32 s0, vcc_lo
	s_cbranch_execnz .LBB182_739
	s_branch .LBB182_740
	.section	.rodata,"a",@progbits
	.p2align	6, 0x0
	.amdhsa_kernel _ZN4vllm25paged_attention_v1_kernelIfhLi80ELi16ELi128ELNS_18Fp8KVCacheDataTypeE1ELb1EEEvPT_PKS2_PKT0_S8_ifPKiSA_iPKfiiiSC_SC_iiiii
		.amdhsa_group_segment_fixed_size 352
		.amdhsa_private_segment_fixed_size 56
		.amdhsa_kernarg_size 384
		.amdhsa_user_sgpr_count 2
		.amdhsa_user_sgpr_dispatch_ptr 0
		.amdhsa_user_sgpr_queue_ptr 0
		.amdhsa_user_sgpr_kernarg_segment_ptr 1
		.amdhsa_user_sgpr_dispatch_id 0
		.amdhsa_user_sgpr_kernarg_preload_length 0
		.amdhsa_user_sgpr_kernarg_preload_offset 0
		.amdhsa_user_sgpr_private_segment_size 0
		.amdhsa_wavefront_size32 1
		.amdhsa_uses_dynamic_stack 0
		.amdhsa_enable_private_segment 1
		.amdhsa_system_sgpr_workgroup_id_x 1
		.amdhsa_system_sgpr_workgroup_id_y 1
		.amdhsa_system_sgpr_workgroup_id_z 1
		.amdhsa_system_sgpr_workgroup_info 0
		.amdhsa_system_vgpr_workitem_id 0
		.amdhsa_next_free_vgpr 128
		.amdhsa_next_free_sgpr 46
		.amdhsa_named_barrier_count 0
		.amdhsa_reserve_vcc 1
		.amdhsa_float_round_mode_32 0
		.amdhsa_float_round_mode_16_64 0
		.amdhsa_float_denorm_mode_32 3
		.amdhsa_float_denorm_mode_16_64 3
		.amdhsa_fp16_overflow 0
		.amdhsa_memory_ordered 1
		.amdhsa_forward_progress 1
		.amdhsa_inst_pref_size 213
		.amdhsa_round_robin_scheduling 0
		.amdhsa_exception_fp_ieee_invalid_op 0
		.amdhsa_exception_fp_denorm_src 0
		.amdhsa_exception_fp_ieee_div_zero 0
		.amdhsa_exception_fp_ieee_overflow 0
		.amdhsa_exception_fp_ieee_underflow 0
		.amdhsa_exception_fp_ieee_inexact 0
		.amdhsa_exception_int_div_zero 0
	.end_amdhsa_kernel
	.section	.text._ZN4vllm25paged_attention_v1_kernelIfhLi80ELi16ELi128ELNS_18Fp8KVCacheDataTypeE1ELb1EEEvPT_PKS2_PKT0_S8_ifPKiSA_iPKfiiiSC_SC_iiiii,"axG",@progbits,_ZN4vllm25paged_attention_v1_kernelIfhLi80ELi16ELi128ELNS_18Fp8KVCacheDataTypeE1ELb1EEEvPT_PKS2_PKT0_S8_ifPKiSA_iPKfiiiSC_SC_iiiii,comdat
.Lfunc_end182:
	.size	_ZN4vllm25paged_attention_v1_kernelIfhLi80ELi16ELi128ELNS_18Fp8KVCacheDataTypeE1ELb1EEEvPT_PKS2_PKT0_S8_ifPKiSA_iPKfiiiSC_SC_iiiii, .Lfunc_end182-_ZN4vllm25paged_attention_v1_kernelIfhLi80ELi16ELi128ELNS_18Fp8KVCacheDataTypeE1ELb1EEEvPT_PKS2_PKT0_S8_ifPKiSA_iPKfiiiSC_SC_iiiii
                                        ; -- End function
	.set _ZN4vllm25paged_attention_v1_kernelIfhLi80ELi16ELi128ELNS_18Fp8KVCacheDataTypeE1ELb1EEEvPT_PKS2_PKT0_S8_ifPKiSA_iPKfiiiSC_SC_iiiii.num_vgpr, 128
	.set _ZN4vllm25paged_attention_v1_kernelIfhLi80ELi16ELi128ELNS_18Fp8KVCacheDataTypeE1ELb1EEEvPT_PKS2_PKT0_S8_ifPKiSA_iPKfiiiSC_SC_iiiii.num_agpr, 0
	.set _ZN4vllm25paged_attention_v1_kernelIfhLi80ELi16ELi128ELNS_18Fp8KVCacheDataTypeE1ELb1EEEvPT_PKS2_PKT0_S8_ifPKiSA_iPKfiiiSC_SC_iiiii.numbered_sgpr, 46
	.set _ZN4vllm25paged_attention_v1_kernelIfhLi80ELi16ELi128ELNS_18Fp8KVCacheDataTypeE1ELb1EEEvPT_PKS2_PKT0_S8_ifPKiSA_iPKfiiiSC_SC_iiiii.num_named_barrier, 0
	.set _ZN4vllm25paged_attention_v1_kernelIfhLi80ELi16ELi128ELNS_18Fp8KVCacheDataTypeE1ELb1EEEvPT_PKS2_PKT0_S8_ifPKiSA_iPKfiiiSC_SC_iiiii.private_seg_size, 56
	.set _ZN4vllm25paged_attention_v1_kernelIfhLi80ELi16ELi128ELNS_18Fp8KVCacheDataTypeE1ELb1EEEvPT_PKS2_PKT0_S8_ifPKiSA_iPKfiiiSC_SC_iiiii.uses_vcc, 1
	.set _ZN4vllm25paged_attention_v1_kernelIfhLi80ELi16ELi128ELNS_18Fp8KVCacheDataTypeE1ELb1EEEvPT_PKS2_PKT0_S8_ifPKiSA_iPKfiiiSC_SC_iiiii.uses_flat_scratch, 1
	.set _ZN4vllm25paged_attention_v1_kernelIfhLi80ELi16ELi128ELNS_18Fp8KVCacheDataTypeE1ELb1EEEvPT_PKS2_PKT0_S8_ifPKiSA_iPKfiiiSC_SC_iiiii.has_dyn_sized_stack, 0
	.set _ZN4vllm25paged_attention_v1_kernelIfhLi80ELi16ELi128ELNS_18Fp8KVCacheDataTypeE1ELb1EEEvPT_PKS2_PKT0_S8_ifPKiSA_iPKfiiiSC_SC_iiiii.has_recursion, 0
	.set _ZN4vllm25paged_attention_v1_kernelIfhLi80ELi16ELi128ELNS_18Fp8KVCacheDataTypeE1ELb1EEEvPT_PKS2_PKT0_S8_ifPKiSA_iPKfiiiSC_SC_iiiii.has_indirect_call, 0
	.section	.AMDGPU.csdata,"",@progbits
; Kernel info:
; codeLenInByte = 27212
; TotalNumSgprs: 48
; NumVgprs: 128
; ScratchSize: 56
; MemoryBound: 0
; FloatMode: 240
; IeeeMode: 1
; LDSByteSize: 352 bytes/workgroup (compile time only)
; SGPRBlocks: 0
; VGPRBlocks: 7
; NumSGPRsForWavesPerEU: 48
; NumVGPRsForWavesPerEU: 128
; NamedBarCnt: 0
; Occupancy: 8
; WaveLimiterHint : 1
; COMPUTE_PGM_RSRC2:SCRATCH_EN: 1
; COMPUTE_PGM_RSRC2:USER_SGPR: 2
; COMPUTE_PGM_RSRC2:TRAP_HANDLER: 0
; COMPUTE_PGM_RSRC2:TGID_X_EN: 1
; COMPUTE_PGM_RSRC2:TGID_Y_EN: 1
; COMPUTE_PGM_RSRC2:TGID_Z_EN: 1
; COMPUTE_PGM_RSRC2:TIDIG_COMP_CNT: 0
	.section	.text._ZN4vllm25paged_attention_v1_kernelIfhLi96ELi16ELi128ELNS_18Fp8KVCacheDataTypeE1ELb1EEEvPT_PKS2_PKT0_S8_ifPKiSA_iPKfiiiSC_SC_iiiii,"axG",@progbits,_ZN4vllm25paged_attention_v1_kernelIfhLi96ELi16ELi128ELNS_18Fp8KVCacheDataTypeE1ELb1EEEvPT_PKS2_PKT0_S8_ifPKiSA_iPKfiiiSC_SC_iiiii,comdat
	.protected	_ZN4vllm25paged_attention_v1_kernelIfhLi96ELi16ELi128ELNS_18Fp8KVCacheDataTypeE1ELb1EEEvPT_PKS2_PKT0_S8_ifPKiSA_iPKfiiiSC_SC_iiiii ; -- Begin function _ZN4vllm25paged_attention_v1_kernelIfhLi96ELi16ELi128ELNS_18Fp8KVCacheDataTypeE1ELb1EEEvPT_PKS2_PKT0_S8_ifPKiSA_iPKfiiiSC_SC_iiiii
	.globl	_ZN4vllm25paged_attention_v1_kernelIfhLi96ELi16ELi128ELNS_18Fp8KVCacheDataTypeE1ELb1EEEvPT_PKS2_PKT0_S8_ifPKiSA_iPKfiiiSC_SC_iiiii
	.p2align	8
	.type	_ZN4vllm25paged_attention_v1_kernelIfhLi96ELi16ELi128ELNS_18Fp8KVCacheDataTypeE1ELb1EEEvPT_PKS2_PKT0_S8_ifPKiSA_iPKfiiiSC_SC_iiiii,@function
_ZN4vllm25paged_attention_v1_kernelIfhLi96ELi16ELi128ELNS_18Fp8KVCacheDataTypeE1ELb1EEEvPT_PKS2_PKT0_S8_ifPKiSA_iPKfiiiSC_SC_iiiii: ; @_ZN4vllm25paged_attention_v1_kernelIfhLi96ELi16ELi128ELNS_18Fp8KVCacheDataTypeE1ELb1EEEvPT_PKS2_PKT0_S8_ifPKiSA_iPKfiiiSC_SC_iiiii
; %bb.0:
	s_load_b64 s[26:27], s[0:1], 0x20
	s_bfe_u32 s3, ttmp6, 0x4000c
	s_bfe_u32 s4, ttmp6, 0x40010
	s_and_b32 s6, ttmp7, 0xffff
	s_add_co_i32 s3, s3, 1
	s_add_co_i32 s4, s4, 1
	s_and_b32 s2, ttmp6, 15
	s_bfe_u32 s5, ttmp6, 0x40004
	s_mul_i32 s3, ttmp9, s3
	s_mul_i32 s4, s6, s4
	s_getreg_b32 s30, hwreg(HW_REG_IB_STS2, 6, 4)
	s_add_co_i32 s2, s2, s3
	s_add_co_i32 s3, s5, s4
	s_cmp_eq_u32 s30, 0
	v_mov_b32_e32 v28, v0
	s_cselect_b32 s33, s6, s3
	s_cselect_b32 s2, ttmp9, s2
	s_clause 0x1
	s_load_b32 s31, s[0:1], 0x80
	s_load_b64 s[4:5], s[0:1], 0x30
	s_wait_kmcnt 0x0
	s_abs_i32 s3, s26
	s_delay_alu instid0(SALU_CYCLE_1) | instskip(SKIP_1) | instid1(SALU_CYCLE_2)
	s_cvt_f32_u32 s6, s3
	s_sub_co_i32 s7, 0, s3
	v_rcp_iflag_f32_e32 v0, s6
	v_nop
	s_delay_alu instid0(TRANS32_DEP_1) | instskip(SKIP_2) | instid1(SALU_CYCLE_3)
	v_readfirstlane_b32 s6, v0
	s_abs_i32 s8, s31
	s_mul_f32 s6, s6, 0x4f7ffffe
	s_cvt_u32_f32 s6, s6
	s_delay_alu instid0(SALU_CYCLE_3) | instskip(NEXT) | instid1(SALU_CYCLE_1)
	s_mul_i32 s7, s7, s6
	s_mul_hi_u32 s7, s6, s7
	s_delay_alu instid0(SALU_CYCLE_1) | instskip(SKIP_4) | instid1(SALU_CYCLE_1)
	s_add_co_i32 s6, s6, s7
	s_xor_b32 s7, s31, s26
	s_mul_hi_u32 s6, s8, s6
	s_ashr_i32 s7, s7, 31
	s_mul_i32 s9, s6, s3
	s_sub_co_i32 s8, s8, s9
	s_add_co_i32 s9, s6, 1
	s_sub_co_i32 s10, s8, s3
	s_cmp_ge_u32 s8, s3
	s_cselect_b32 s6, s9, s6
	s_cselect_b32 s8, s10, s8
	s_add_co_i32 s9, s6, 1
	s_cmp_ge_u32 s8, s3
	s_load_b64 s[10:11], s[0:1], 0x40
	s_cselect_b32 s3, s9, s6
	s_mov_b32 s9, 0
	s_xor_b32 s3, s3, s7
	s_abs_i32 s8, s2
	s_sub_co_i32 s12, s3, s7
	s_mov_b32 s7, s9
	s_abs_i32 s19, s12
	s_mov_b32 s37, s9
	s_cvt_f32_u32 s3, s19
	s_sub_co_i32 s6, 0, s19
	s_delay_alu instid0(SALU_CYCLE_2) | instskip(SKIP_1) | instid1(TRANS32_DEP_1)
	v_rcp_iflag_f32_e32 v0, s3
	v_nop
	v_readfirstlane_b32 s3, v0
	s_mul_f32 s3, s3, 0x4f7ffffe
	s_delay_alu instid0(SALU_CYCLE_3) | instskip(NEXT) | instid1(SALU_CYCLE_3)
	s_cvt_u32_f32 s3, s3
	s_mul_i32 s6, s6, s3
	s_delay_alu instid0(SALU_CYCLE_1) | instskip(NEXT) | instid1(SALU_CYCLE_1)
	s_mul_hi_u32 s6, s3, s6
	s_add_co_i32 s6, s3, s6
	s_wait_kmcnt 0x0
	s_cmp_eq_u64 s[10:11], 0
	s_cbranch_scc1 .LBB183_2
; %bb.1:
	s_ashr_i32 s3, s2, 31
	s_delay_alu instid0(SALU_CYCLE_1) | instskip(NEXT) | instid1(SALU_CYCLE_1)
	s_lshl_b64 s[14:15], s[2:3], 2
	s_add_nc_u64 s[10:11], s[10:11], s[14:15]
	s_load_b32 s37, s[10:11], 0x0
.LBB183_2:
	s_load_b32 s34, s[4:5], s33 offset:0x0 scale_offset
	s_load_b96 s[16:18], s[0:1], 0x48
	v_dual_lshlrev_b32 v24, 2, v28 :: v_dual_bitop2_b32 v0, 1, v28 bitop3:0x40
	s_wait_xcnt 0x0
	s_mul_u64 s[4:5], s[8:9], s[6:7]
	s_ashr_i32 s3, s2, 31
	s_ashr_i32 s10, s12, 31
	s_mul_i32 s6, s2, 0x60
	s_mov_b32 s4, exec_lo
	v_cmpx_gt_u32_e32 48, v28
	s_cbranch_execz .LBB183_4
; %bb.3:
	s_load_b64 s[12:13], s[0:1], 0x8
	s_wait_kmcnt 0x0
	s_mul_i32 s14, s16, s33
	s_ashr_i32 s7, s6, 31
	s_ashr_i32 s15, s14, 31
	v_and_b32_e32 v1, 0xff8, v24
	s_lshl_b64 s[14:15], s[14:15], 2
	s_delay_alu instid0(VALU_DEP_1) | instskip(SKIP_2) | instid1(SALU_CYCLE_1)
	v_mad_u32_u24 v1, 0xc0, v0, v1
	s_add_nc_u64 s[12:13], s[12:13], s[14:15]
	s_lshl_b64 s[14:15], s[6:7], 2
	s_add_nc_u64 s[12:13], s[12:13], s[14:15]
	global_load_b64 v[2:3], v28, s[12:13] scale_offset
	s_wait_loadcnt 0x0
	ds_store_b64 v1, v[2:3]
.LBB183_4:
	s_or_b32 exec_lo, exec_lo, s4
	s_load_b128 s[12:15], s[0:1], 0x68
	s_mul_i32 s4, s5, s19
	s_xor_b32 s3, s3, s10
	s_sub_co_i32 s4, s8, s4
	s_add_co_i32 s7, s5, 1
	s_sub_co_i32 s8, s4, s19
	s_cmp_ge_u32 s4, s19
	s_mov_b32 s9, -1
	s_cselect_b32 s5, s7, s5
	s_cselect_b32 s4, s8, s4
	s_add_co_i32 s8, s5, 1
	s_cmp_ge_u32 s4, s19
	s_load_b32 s7, s[0:1], 0x78
	s_cselect_b32 s4, s8, s5
	s_wait_kmcnt 0x0
	s_add_co_i32 s8, s34, -1
	s_xor_b32 s4, s4, s3
	s_wait_dscnt 0x0
	s_sub_co_i32 s3, s4, s3
	s_barrier_signal -1
	s_barrier_wait -1
	s_abs_i32 s16, s15
	s_delay_alu instid0(SALU_CYCLE_1) | instskip(NEXT) | instid1(SALU_CYCLE_3)
	s_cvt_f32_u32 s5, s16
                                        ; implicit-def: $sgpr35
	v_rcp_iflag_f32_e32 v1, s5
	v_nop
	s_delay_alu instid0(TRANS32_DEP_1) | instskip(SKIP_1) | instid1(SALU_CYCLE_3)
	v_readfirstlane_b32 s5, v1
	s_mul_f32 s4, s5, 0x4f7ffffe
	s_cvt_u32_f32 s10, s4
	s_sub_co_i32 s4, 0, s16
	s_delay_alu instid0(SALU_CYCLE_2)
	s_mul_i32 s5, s4, s10
	s_abs_i32 s4, s8
	s_mul_hi_u32 s11, s10, s5
	s_mov_b32 s5, 0
	s_add_co_i32 s20, s10, s11
	s_cmp_lt_i32 s7, 0
	s_mov_b32 s21, s5
	s_cbranch_scc0 .LBB183_6
; %bb.5:
	s_mul_i32 s9, s12, s26
	s_delay_alu instid0(SALU_CYCLE_1) | instskip(NEXT) | instid1(SALU_CYCLE_1)
	s_add_co_i32 s9, s3, s9
	s_mul_i32 s9, s9, s7
	s_delay_alu instid0(SALU_CYCLE_1)
	s_sub_co_i32 s35, 1, s9
	s_mov_b32 s9, s5
.LBB183_6:
	s_ashr_i32 s8, s8, 31
	s_ashr_i32 s15, s15, 31
	s_and_not1_b32 vcc_lo, exec_lo, s9
	s_mul_u64 s[28:29], s[4:5], s[20:21]
	s_cbranch_vccnz .LBB183_8
; %bb.7:
	s_mul_i32 s5, s31, s12
	s_delay_alu instid0(SALU_CYCLE_1) | instskip(NEXT) | instid1(SALU_CYCLE_1)
	s_add_co_i32 s2, s5, s2
	s_mul_i32 s2, s2, s7
	s_delay_alu instid0(SALU_CYCLE_1)
	s_add_co_i32 s35, s2, 1
.LBB183_8:
	s_clause 0x1
	s_load_b32 s2, s[0:1], 0x38
	s_load_b64 s[22:23], s[0:1], 0x28
	s_mul_i32 s7, s29, s16
	s_xor_b32 s5, s8, s15
	s_sub_co_i32 s4, s4, s7
	s_add_co_i32 s12, s29, 1
	s_clause 0x1
	s_load_b32 s7, s[0:1], 0x88
	s_load_b128 s[8:11], s[0:1], 0x58
	v_dual_lshrrev_b32 v29, 5, v28 :: v_dual_lshrrev_b32 v25, 3, v28
	v_mov_b32_e32 v3, 0xff7fffff
	s_mul_i32 s18, s3, s18
	s_delay_alu instid0(VALU_DEP_2)
	v_lshlrev_b32_e32 v50, 4, v29
	s_wait_kmcnt 0x0
	s_mul_i32 s24, s2, s33
	s_sub_co_i32 s2, s4, s16
	s_ashr_i32 s25, s24, 31
	s_cmp_ge_u32 s4, s16
	s_cselect_b32 s12, s12, s29
	s_cselect_b32 s2, s2, s4
	s_add_co_i32 s4, s12, 1
	s_cmp_ge_u32 s2, s16
	s_cselect_b32 s2, s4, s12
	s_add_co_i32 s4, s34, 15
	s_delay_alu instid0(SALU_CYCLE_1) | instskip(NEXT) | instid1(SALU_CYCLE_1)
	s_ashr_i32 s12, s4, 31
	s_lshr_b32 s12, s12, 28
	s_delay_alu instid0(SALU_CYCLE_1) | instskip(NEXT) | instid1(SALU_CYCLE_1)
	s_add_co_i32 s4, s4, s12
	s_ashr_i32 s26, s4, 4
	s_xor_b32 s4, s2, s5
	v_cmp_gt_i32_e64 s2, s26, v29
	s_sub_co_i32 s36, s4, s5
	s_and_saveexec_b32 s38, s2
	s_cbranch_execz .LBB183_404
; %bb.9:
	s_load_b64 s[4:5], s[0:1], 0x10
	s_sub_co_i32 s39, s36, s13
	s_ashr_i32 s19, s18, 31
	s_cmp_neq_f32 s37, 0
	v_bfe_u32 v2, v28, 1, 4
	v_dual_mov_b32 v53, 0 :: v_dual_mov_b32 v19, v29
	s_cselect_b32 vcc_lo, -1, 0
	s_abs_i32 s40, s14
	s_delay_alu instid0(VALU_DEP_2)
	v_lshlrev_b32_e32 v52, 4, v2
	s_cvt_f32_u32 s12, s40
	v_lshlrev_b32_e32 v54, 4, v19
	s_clause 0x2
	scratch_store_b32 off, v24, off offset:148
	scratch_store_b32 off, v28, off offset:140
	;; [unrolled: 1-line block ×3, first 2 shown]
	v_rcp_iflag_f32_e32 v1, s12
	v_subrev_nc_u32_e32 v4, s34, v2
	s_lshl_b64 s[42:43], s[24:25], 2
	v_cmp_eq_u32_e64 s3, 0, v0
	v_mul_u32_u24_e32 v51, 0xc0, v0
	s_wait_kmcnt 0x0
	s_add_nc_u64 s[4:5], s[4:5], s[18:19]
	s_sub_co_i32 s19, 0, s40
	v_readfirstlane_b32 s12, v1
	v_lshlrev_b32_e32 v1, 2, v2
	s_wait_xcnt 0x0
	v_add_nc_u64_e32 v[2:3], s[4:5], v[52:53]
	v_lshlrev_b32_e32 v52, 1, v0
	s_add_nc_u64 s[4:5], s[22:23], s[42:43]
	s_mul_f32 s12, s12, 0x4f7ffffe
	v_lshl_or_b32 v0, v19, 6, v1
	v_add_nc_u32_e32 v1, 1, v4
	s_mov_b32 s29, 0
	v_add_nc_u64_e32 v[2:3], v[2:3], v[52:53]
	v_and_b32_e32 v52, 0x7c, v25
	s_cvt_u32_f32 s12, s12
	v_add_nc_u32_e32 v18, 0x1a0, v0
	v_mov_b32_e32 v0, 0xff7fffff
	s_mov_b32 s41, s29
	v_add_nc_u64_e32 v[58:59], s[4:5], v[52:53]
	s_mul_i32 s19, s19, s12
	s_clause 0x1
	scratch_store_b64 off, v[2:3], off offset:124
	scratch_store_b32 off, v25, off offset:152
	s_mul_hi_u32 s28, s12, s19
	s_mov_b32 s19, s17
	s_add_co_i32 s28, s12, s28
	s_clause 0x2
	scratch_store_b32 off, v1, off offset:136
	scratch_store_b32 off, v0, off offset:120
	scratch_store_b32 off, v19, off offset:144
	s_branch .LBB183_12
.LBB183_10:                             ;   in Loop: Header=BB183_12 Depth=1
	s_wait_xcnt 0x0
	s_or_b32 exec_lo, exec_lo, s12
.LBB183_11:                             ;   in Loop: Header=BB183_12 Depth=1
	s_delay_alu instid0(SALU_CYCLE_1) | instskip(SKIP_3) | instid1(VALU_DEP_3)
	s_or_b32 exec_lo, exec_lo, s5
	v_dual_add_nc_u32 v19, 4, v19 :: v_dual_add_nc_u32 v54, 64, v54
	v_add_nc_u64_e32 v[58:59], 16, v[58:59]
	v_add_nc_u32_e32 v18, 0x100, v18
	v_cmp_le_i32_e64 s4, s26, v19
	s_or_b32 s41, s4, s41
	s_delay_alu instid0(SALU_CYCLE_1)
	s_and_not1_b32 exec_lo, exec_lo, s41
	s_cbranch_execz .LBB183_403
.LBB183_12:                             ; =>This Inner Loop Header: Depth=1
	v_mov_b32_e32 v55, v53
	s_wait_xcnt 0x1
	s_wait_dscnt 0x0
	s_delay_alu instid0(VALU_DEP_1) | instskip(NEXT) | instid1(VALU_DEP_1)
	v_mul_u64_e32 v[0:1], s[20:21], v[54:55]
	v_mul_lo_u32 v0, v1, s16
	s_delay_alu instid0(VALU_DEP_1) | instskip(NEXT) | instid1(VALU_DEP_1)
	v_sub_nc_u32_e32 v0, v54, v0
	v_subrev_nc_u32_e32 v3, s16, v0
	v_cmp_le_u32_e64 s4, s16, v0
	s_delay_alu instid0(VALU_DEP_1) | instskip(NEXT) | instid1(VALU_DEP_1)
	v_dual_add_nc_u32 v2, 1, v1 :: v_dual_cndmask_b32 v0, v0, v3, s4
	v_cndmask_b32_e64 v1, v1, v2, s4
	s_delay_alu instid0(VALU_DEP_2) | instskip(NEXT) | instid1(VALU_DEP_2)
	v_cmp_le_u32_e64 s4, s16, v0
	v_add_nc_u32_e32 v2, 1, v1
	s_delay_alu instid0(VALU_DEP_1) | instskip(NEXT) | instid1(VALU_DEP_1)
	v_cndmask_b32_e64 v0, v1, v2, s4
	v_xor_b32_e32 v0, s15, v0
	s_delay_alu instid0(VALU_DEP_1) | instskip(NEXT) | instid1(VALU_DEP_1)
	v_subrev_nc_u32_e32 v2, s15, v0
	v_add_nc_u32_e32 v3, s35, v2
	v_cmp_ge_i32_e64 s5, s39, v2
	s_delay_alu instid0(VALU_DEP_2) | instskip(NEXT) | instid1(VALU_DEP_1)
	v_sub_nc_u32_e32 v0, 0, v3
	v_dual_ashrrev_i32 v3, 31, v3 :: v_dual_max_i32 v52, v3, v0
	s_delay_alu instid0(VALU_DEP_1) | instskip(NEXT) | instid1(VALU_DEP_1)
	v_mul_u64_e32 v[0:1], s[28:29], v[52:53]
	v_mul_lo_u32 v0, v1, s40
	s_delay_alu instid0(VALU_DEP_1) | instskip(NEXT) | instid1(VALU_DEP_1)
	v_sub_nc_u32_e32 v0, v52, v0
	v_subrev_nc_u32_e32 v1, s40, v0
	v_cmp_le_u32_e64 s4, s40, v0
	s_delay_alu instid0(VALU_DEP_1) | instskip(NEXT) | instid1(VALU_DEP_1)
	v_cndmask_b32_e64 v0, v0, v1, s4
	v_subrev_nc_u32_e32 v1, s40, v0
	v_cmp_le_u32_e64 s4, s40, v0
	s_delay_alu instid0(VALU_DEP_1) | instskip(NEXT) | instid1(VALU_DEP_1)
	v_cndmask_b32_e64 v0, v0, v1, s4
	v_xor_b32_e32 v0, v0, v3
	s_delay_alu instid0(VALU_DEP_1) | instskip(NEXT) | instid1(VALU_DEP_1)
	v_sub_nc_u32_e32 v0, v0, v3
	v_cmp_ne_u32_e64 s4, 0, v0
	s_and_b32 s4, s4, s5
	s_wait_xcnt 0x0
	s_and_saveexec_b32 s5, s4
	s_delay_alu instid0(SALU_CYCLE_1)
	s_xor_b32 s4, exec_lo, s5
	s_cbranch_execz .LBB183_16
; %bb.13:                               ;   in Loop: Header=BB183_12 Depth=1
	s_and_saveexec_b32 s5, s3
; %bb.14:                               ;   in Loop: Header=BB183_12 Depth=1
	v_mov_b32_e32 v0, 0xff7fffff
	ds_store_b32 v18, v0
; %bb.15:                               ;   in Loop: Header=BB183_12 Depth=1
	s_or_b32 exec_lo, exec_lo, s5
.LBB183_16:                             ;   in Loop: Header=BB183_12 Depth=1
	s_and_not1_saveexec_b32 s5, s4
	s_cbranch_execz .LBB183_11
; %bb.17:                               ;   in Loop: Header=BB183_12 Depth=1
	global_load_b32 v0, v[58:59], off
	scratch_load_b64 v[2:3], off, off offset:124 ; 8-byte Folded Reload
	s_mov_b32 s42, exec_lo
	s_wait_loadcnt 0x0
	v_mad_nc_i64_i32 v[68:69], v0, s19, v[2:3]
	global_load_u16 v0, v[68:69], off
	ds_load_b128 v[46:49], v51
	ds_load_b128 v[42:45], v51 offset:16
	ds_load_b128 v[38:41], v51 offset:32
	;; [unrolled: 1-line block ×7, first 2 shown]
	s_load_b32 s12, s[8:9], 0x0
	s_wait_dscnt 0x0
	scratch_store_b128 off, v[2:5], off offset:104 ; 16-byte Folded Spill
	s_wait_xcnt 0x0
	ds_load_b128 v[2:5], v51 offset:128
	s_wait_dscnt 0x0
	scratch_store_b128 off, v[2:5], off offset:88 ; 16-byte Folded Spill
	s_wait_xcnt 0x0
	ds_load_b128 v[2:5], v51 offset:144
	;; [unrolled: 4-line block ×4, first 2 shown]
	s_wait_dscnt 0x0
	scratch_store_b128 off, v[2:5], off offset:40 ; 16-byte Folded Spill
	s_wait_xcnt 0x0
	v_mov_b64_e32 v[2:3], 0
	scratch_store_b64 off, v[2:3], off      ; 8-byte Folded Spill
	s_wait_xcnt 0x0
	v_mov_b64_e32 v[2:3], 0
	scratch_store_b64 off, v[2:3], off offset:8 ; 8-byte Folded Spill
	s_wait_loadcnt 0x0
	v_and_b32_e32 v1, 0xff, v0
	v_and_b32_e32 v0, 0xffff, v0
	s_wait_xcnt 0x0
	s_delay_alu instid0(VALU_DEP_2)
	v_cmpx_ne_u16_e32 0, v1
	s_cbranch_execz .LBB183_25
; %bb.18:                               ;   in Loop: Header=BB183_12 Depth=1
	v_mov_b64_e32 v[2:3], 0x80000000
	v_and_b32_e32 v1, 0xff, v0
	s_mov_b32 s43, exec_lo
	scratch_store_b64 off, v[2:3], off offset:8 ; 8-byte Folded Spill
	s_wait_xcnt 0x0
	v_cmpx_ne_u16_e32 0x80, v1
	s_cbranch_execz .LBB183_24
; %bb.19:                               ;   in Loop: Header=BB183_12 Depth=1
	v_mov_b64_e32 v[4:5], 0x7f800001
	v_and_b32_e32 v2, 0x7f, v0
	s_mov_b32 s44, exec_lo
	scratch_store_b64 off, v[4:5], off offset:8 ; 8-byte Folded Spill
	s_wait_xcnt 0x0
	v_cmpx_ne_u32_e32 0x7f, v2
	s_cbranch_execz .LBB183_23
; %bb.20:                               ;   in Loop: Header=BB183_12 Depth=1
	v_dual_lshrrev_b32 v1, 3, v2 :: v_dual_bitop2_b32 v52, 7, v0 bitop3:0x40
	s_mov_b32 s45, exec_lo
	v_cmpx_gt_u32_e32 8, v2
; %bb.21:                               ;   in Loop: Header=BB183_12 Depth=1
	s_delay_alu instid0(VALU_DEP_2) | instskip(NEXT) | instid1(VALU_DEP_1)
	v_clz_i32_u32_e32 v1, v52
	v_min_u32_e32 v1, 32, v1
	s_delay_alu instid0(VALU_DEP_1) | instskip(NEXT) | instid1(VALU_DEP_1)
	v_subrev_nc_u32_e32 v2, 28, v1
	v_lshlrev_b64_e32 v[2:3], v2, v[52:53]
	s_delay_alu instid0(VALU_DEP_1)
	v_dual_sub_nc_u32 v1, 29, v1 :: v_dual_bitop2_b32 v52, 7, v2 bitop3:0x40
; %bb.22:                               ;   in Loop: Header=BB183_12 Depth=1
	s_or_b32 exec_lo, exec_lo, s45
	v_lshlrev_b32_e32 v2, 24, v0
	s_delay_alu instid0(VALU_DEP_2) | instskip(NEXT) | instid1(VALU_DEP_3)
	v_lshlrev_b32_e32 v3, 20, v52
	v_lshl_add_u32 v1, v1, 23, 0x3c000000
	s_delay_alu instid0(VALU_DEP_3) | instskip(NEXT) | instid1(VALU_DEP_1)
	v_and_b32_e32 v2, 0x80000000, v2
	v_or3_b32 v52, v3, v2, v1
	scratch_store_b64 off, v[52:53], off offset:8 ; 8-byte Folded Spill
.LBB183_23:                             ;   in Loop: Header=BB183_12 Depth=1
	s_wait_xcnt 0x0
	s_or_b32 exec_lo, exec_lo, s44
.LBB183_24:                             ;   in Loop: Header=BB183_12 Depth=1
	s_delay_alu instid0(SALU_CYCLE_1)
	s_or_b32 exec_lo, exec_lo, s43
.LBB183_25:                             ;   in Loop: Header=BB183_12 Depth=1
	s_delay_alu instid0(SALU_CYCLE_1) | instskip(SKIP_2) | instid1(VALU_DEP_1)
	s_or_b32 exec_lo, exec_lo, s42
	v_lshrrev_b16 v1, 8, v0
	s_mov_b32 s42, exec_lo
	v_cmpx_ne_u16_e32 0, v1
	s_cbranch_execz .LBB183_33
; %bb.26:                               ;   in Loop: Header=BB183_12 Depth=1
	v_mov_b64_e32 v[2:3], 0x8000000000000000
	s_mov_b32 s43, exec_lo
	scratch_store_b64 off, v[2:3], off      ; 8-byte Folded Spill
	s_wait_xcnt 0x0
	v_cmpx_ne_u16_e32 0x80, v1
	s_cbranch_execz .LBB183_32
; %bb.27:                               ;   in Loop: Header=BB183_12 Depth=1
	v_and_b32_e32 v1, 0xffff, v1
	v_mov_b64_e32 v[4:5], 0x7f80000100000000
	s_mov_b32 s44, exec_lo
	s_delay_alu instid0(VALU_DEP_2)
	v_and_b32_e32 v2, 0x7f, v1
	scratch_store_b64 off, v[4:5], off      ; 8-byte Folded Spill
	s_wait_xcnt 0x0
	v_cmpx_ne_u32_e32 0x7f, v2
	s_cbranch_execz .LBB183_31
; %bb.28:                               ;   in Loop: Header=BB183_12 Depth=1
	v_dual_lshrrev_b32 v1, 3, v2 :: v_dual_bitop2_b32 v52, 7, v1 bitop3:0x40
	s_mov_b32 s45, exec_lo
	v_cmpx_gt_u32_e32 8, v2
; %bb.29:                               ;   in Loop: Header=BB183_12 Depth=1
	s_delay_alu instid0(VALU_DEP_2) | instskip(NEXT) | instid1(VALU_DEP_1)
	v_clz_i32_u32_e32 v1, v52
	v_min_u32_e32 v1, 32, v1
	s_delay_alu instid0(VALU_DEP_1) | instskip(NEXT) | instid1(VALU_DEP_1)
	v_subrev_nc_u32_e32 v2, 28, v1
	v_lshlrev_b64_e32 v[2:3], v2, v[52:53]
	s_delay_alu instid0(VALU_DEP_1)
	v_dual_sub_nc_u32 v1, 29, v1 :: v_dual_bitop2_b32 v52, 7, v2 bitop3:0x40
; %bb.30:                               ;   in Loop: Header=BB183_12 Depth=1
	s_or_b32 exec_lo, exec_lo, s45
	v_lshlrev_b32_e32 v0, 16, v0
	s_delay_alu instid0(VALU_DEP_2) | instskip(NEXT) | instid1(VALU_DEP_3)
	v_lshlrev_b32_e32 v2, 20, v52
	v_lshl_add_u32 v1, v1, 23, 0x3c000000
	s_delay_alu instid0(VALU_DEP_3) | instskip(NEXT) | instid1(VALU_DEP_1)
	v_and_b32_e32 v0, 0x80000000, v0
	v_or3_b32 v1, v2, v0, v1
	v_mov_b32_e32 v0, v53
	scratch_store_b64 off, v[0:1], off      ; 8-byte Folded Spill
.LBB183_31:                             ;   in Loop: Header=BB183_12 Depth=1
	s_wait_xcnt 0x0
	s_or_b32 exec_lo, exec_lo, s44
.LBB183_32:                             ;   in Loop: Header=BB183_12 Depth=1
	s_delay_alu instid0(SALU_CYCLE_1)
	s_or_b32 exec_lo, exec_lo, s43
.LBB183_33:                             ;   in Loop: Header=BB183_12 Depth=1
	s_delay_alu instid0(SALU_CYCLE_1)
	s_or_b32 exec_lo, exec_lo, s42
	global_load_u16 v0, v[68:69], off offset:4
	v_mov_b64_e32 v[2:3], 0
	s_mov_b32 s42, exec_lo
	scratch_store_b64 off, v[2:3], off offset:16 ; 8-byte Folded Spill
	s_wait_xcnt 0x0
	v_mov_b64_e32 v[2:3], 0
	scratch_store_b64 off, v[2:3], off offset:24 ; 8-byte Folded Spill
	s_wait_loadcnt 0x0
	v_and_b32_e32 v1, 0xff, v0
	v_and_b32_e32 v0, 0xffff, v0
	s_wait_xcnt 0x0
	s_delay_alu instid0(VALU_DEP_2)
	v_cmpx_ne_u16_e32 0, v1
	s_cbranch_execz .LBB183_41
; %bb.34:                               ;   in Loop: Header=BB183_12 Depth=1
	v_mov_b64_e32 v[2:3], 0x80000000
	v_and_b32_e32 v1, 0xff, v0
	s_mov_b32 s43, exec_lo
	scratch_store_b64 off, v[2:3], off offset:24 ; 8-byte Folded Spill
	s_wait_xcnt 0x0
	v_cmpx_ne_u16_e32 0x80, v1
	s_cbranch_execz .LBB183_40
; %bb.35:                               ;   in Loop: Header=BB183_12 Depth=1
	v_mov_b64_e32 v[4:5], 0x7f800001
	v_and_b32_e32 v2, 0x7f, v0
	s_mov_b32 s44, exec_lo
	scratch_store_b64 off, v[4:5], off offset:24 ; 8-byte Folded Spill
	s_wait_xcnt 0x0
	v_cmpx_ne_u32_e32 0x7f, v2
	s_cbranch_execz .LBB183_39
; %bb.36:                               ;   in Loop: Header=BB183_12 Depth=1
	v_dual_lshrrev_b32 v1, 3, v2 :: v_dual_bitop2_b32 v52, 7, v0 bitop3:0x40
	s_mov_b32 s45, exec_lo
	v_cmpx_gt_u32_e32 8, v2
; %bb.37:                               ;   in Loop: Header=BB183_12 Depth=1
	s_delay_alu instid0(VALU_DEP_2) | instskip(NEXT) | instid1(VALU_DEP_1)
	v_clz_i32_u32_e32 v1, v52
	v_min_u32_e32 v1, 32, v1
	s_delay_alu instid0(VALU_DEP_1) | instskip(NEXT) | instid1(VALU_DEP_1)
	v_subrev_nc_u32_e32 v2, 28, v1
	v_lshlrev_b64_e32 v[2:3], v2, v[52:53]
	s_delay_alu instid0(VALU_DEP_1)
	v_dual_sub_nc_u32 v1, 29, v1 :: v_dual_bitop2_b32 v52, 7, v2 bitop3:0x40
; %bb.38:                               ;   in Loop: Header=BB183_12 Depth=1
	s_or_b32 exec_lo, exec_lo, s45
	v_lshlrev_b32_e32 v2, 24, v0
	s_delay_alu instid0(VALU_DEP_2) | instskip(NEXT) | instid1(VALU_DEP_3)
	v_lshlrev_b32_e32 v3, 20, v52
	v_lshl_add_u32 v1, v1, 23, 0x3c000000
	s_delay_alu instid0(VALU_DEP_3) | instskip(NEXT) | instid1(VALU_DEP_1)
	v_and_b32_e32 v2, 0x80000000, v2
	v_or3_b32 v52, v3, v2, v1
	scratch_store_b64 off, v[52:53], off offset:24 ; 8-byte Folded Spill
.LBB183_39:                             ;   in Loop: Header=BB183_12 Depth=1
	s_wait_xcnt 0x0
	s_or_b32 exec_lo, exec_lo, s44
.LBB183_40:                             ;   in Loop: Header=BB183_12 Depth=1
	s_delay_alu instid0(SALU_CYCLE_1)
	s_or_b32 exec_lo, exec_lo, s43
.LBB183_41:                             ;   in Loop: Header=BB183_12 Depth=1
	s_delay_alu instid0(SALU_CYCLE_1) | instskip(SKIP_2) | instid1(VALU_DEP_1)
	s_or_b32 exec_lo, exec_lo, s42
	v_lshrrev_b16 v1, 8, v0
	s_mov_b32 s42, exec_lo
	v_cmpx_ne_u16_e32 0, v1
	s_cbranch_execz .LBB183_49
; %bb.42:                               ;   in Loop: Header=BB183_12 Depth=1
	v_mov_b64_e32 v[2:3], 0x8000000000000000
	s_mov_b32 s43, exec_lo
	scratch_store_b64 off, v[2:3], off offset:16 ; 8-byte Folded Spill
	s_wait_xcnt 0x0
	v_cmpx_ne_u16_e32 0x80, v1
	s_cbranch_execz .LBB183_48
; %bb.43:                               ;   in Loop: Header=BB183_12 Depth=1
	v_and_b32_e32 v1, 0xffff, v1
	v_mov_b64_e32 v[4:5], 0x7f80000100000000
	s_mov_b32 s44, exec_lo
	s_delay_alu instid0(VALU_DEP_2)
	v_and_b32_e32 v2, 0x7f, v1
	scratch_store_b64 off, v[4:5], off offset:16 ; 8-byte Folded Spill
	s_wait_xcnt 0x0
	v_cmpx_ne_u32_e32 0x7f, v2
	s_cbranch_execz .LBB183_47
; %bb.44:                               ;   in Loop: Header=BB183_12 Depth=1
	v_dual_lshrrev_b32 v1, 3, v2 :: v_dual_bitop2_b32 v52, 7, v1 bitop3:0x40
	s_mov_b32 s45, exec_lo
	v_cmpx_gt_u32_e32 8, v2
; %bb.45:                               ;   in Loop: Header=BB183_12 Depth=1
	s_delay_alu instid0(VALU_DEP_2) | instskip(NEXT) | instid1(VALU_DEP_1)
	v_clz_i32_u32_e32 v1, v52
	v_min_u32_e32 v1, 32, v1
	s_delay_alu instid0(VALU_DEP_1) | instskip(NEXT) | instid1(VALU_DEP_1)
	v_subrev_nc_u32_e32 v2, 28, v1
	v_lshlrev_b64_e32 v[2:3], v2, v[52:53]
	s_delay_alu instid0(VALU_DEP_1)
	v_dual_sub_nc_u32 v1, 29, v1 :: v_dual_bitop2_b32 v52, 7, v2 bitop3:0x40
; %bb.46:                               ;   in Loop: Header=BB183_12 Depth=1
	s_or_b32 exec_lo, exec_lo, s45
	v_lshlrev_b32_e32 v0, 16, v0
	s_delay_alu instid0(VALU_DEP_2) | instskip(NEXT) | instid1(VALU_DEP_3)
	v_lshlrev_b32_e32 v2, 20, v52
	v_lshl_add_u32 v1, v1, 23, 0x3c000000
	s_delay_alu instid0(VALU_DEP_3) | instskip(NEXT) | instid1(VALU_DEP_1)
	v_and_b32_e32 v0, 0x80000000, v0
	v_or3_b32 v1, v2, v0, v1
	v_mov_b32_e32 v0, v53
	scratch_store_b64 off, v[0:1], off offset:16 ; 8-byte Folded Spill
.LBB183_47:                             ;   in Loop: Header=BB183_12 Depth=1
	s_wait_xcnt 0x0
	s_or_b32 exec_lo, exec_lo, s44
.LBB183_48:                             ;   in Loop: Header=BB183_12 Depth=1
	s_delay_alu instid0(SALU_CYCLE_1)
	s_or_b32 exec_lo, exec_lo, s43
.LBB183_49:                             ;   in Loop: Header=BB183_12 Depth=1
	s_delay_alu instid0(SALU_CYCLE_1)
	s_or_b32 exec_lo, exec_lo, s42
	global_load_u16 v0, v[68:69], off offset:8
	v_mov_b64_e32 v[70:71], 0
	v_mov_b64_e32 v[2:3], 0
	s_mov_b32 s42, exec_lo
	scratch_store_b64 off, v[2:3], off offset:32 ; 8-byte Folded Spill
	s_wait_loadcnt 0x0
	v_and_b32_e32 v1, 0xff, v0
	v_and_b32_e32 v0, 0xffff, v0
	s_wait_xcnt 0x0
	s_delay_alu instid0(VALU_DEP_2)
	v_cmpx_ne_u16_e32 0, v1
	s_cbranch_execz .LBB183_57
; %bb.50:                               ;   in Loop: Header=BB183_12 Depth=1
	v_mov_b64_e32 v[2:3], 0x80000000
	v_and_b32_e32 v1, 0xff, v0
	s_mov_b32 s43, exec_lo
	scratch_store_b64 off, v[2:3], off offset:32 ; 8-byte Folded Spill
	s_wait_xcnt 0x0
	v_cmpx_ne_u16_e32 0x80, v1
	s_cbranch_execz .LBB183_56
; %bb.51:                               ;   in Loop: Header=BB183_12 Depth=1
	v_mov_b64_e32 v[4:5], 0x7f800001
	v_and_b32_e32 v2, 0x7f, v0
	s_mov_b32 s44, exec_lo
	scratch_store_b64 off, v[4:5], off offset:32 ; 8-byte Folded Spill
	s_wait_xcnt 0x0
	v_cmpx_ne_u32_e32 0x7f, v2
	s_cbranch_execz .LBB183_55
; %bb.52:                               ;   in Loop: Header=BB183_12 Depth=1
	v_dual_lshrrev_b32 v1, 3, v2 :: v_dual_bitop2_b32 v52, 7, v0 bitop3:0x40
	s_mov_b32 s45, exec_lo
	v_cmpx_gt_u32_e32 8, v2
; %bb.53:                               ;   in Loop: Header=BB183_12 Depth=1
	s_delay_alu instid0(VALU_DEP_2) | instskip(NEXT) | instid1(VALU_DEP_1)
	v_clz_i32_u32_e32 v1, v52
	v_min_u32_e32 v1, 32, v1
	s_delay_alu instid0(VALU_DEP_1) | instskip(NEXT) | instid1(VALU_DEP_1)
	v_subrev_nc_u32_e32 v2, 28, v1
	v_lshlrev_b64_e32 v[2:3], v2, v[52:53]
	s_delay_alu instid0(VALU_DEP_1)
	v_dual_sub_nc_u32 v1, 29, v1 :: v_dual_bitop2_b32 v52, 7, v2 bitop3:0x40
; %bb.54:                               ;   in Loop: Header=BB183_12 Depth=1
	s_or_b32 exec_lo, exec_lo, s45
	v_lshlrev_b32_e32 v2, 24, v0
	s_delay_alu instid0(VALU_DEP_2) | instskip(NEXT) | instid1(VALU_DEP_3)
	v_lshlrev_b32_e32 v3, 20, v52
	v_lshl_add_u32 v1, v1, 23, 0x3c000000
	s_delay_alu instid0(VALU_DEP_3) | instskip(NEXT) | instid1(VALU_DEP_1)
	v_and_b32_e32 v2, 0x80000000, v2
	v_or3_b32 v52, v3, v2, v1
	scratch_store_b64 off, v[52:53], off offset:32 ; 8-byte Folded Spill
.LBB183_55:                             ;   in Loop: Header=BB183_12 Depth=1
	s_wait_xcnt 0x0
	s_or_b32 exec_lo, exec_lo, s44
.LBB183_56:                             ;   in Loop: Header=BB183_12 Depth=1
	s_delay_alu instid0(SALU_CYCLE_1)
	s_or_b32 exec_lo, exec_lo, s43
.LBB183_57:                             ;   in Loop: Header=BB183_12 Depth=1
	s_delay_alu instid0(SALU_CYCLE_1) | instskip(SKIP_2) | instid1(VALU_DEP_1)
	s_or_b32 exec_lo, exec_lo, s42
	v_lshrrev_b16 v1, 8, v0
	s_mov_b32 s42, exec_lo
	v_cmpx_ne_u16_e32 0, v1
	s_cbranch_execz .LBB183_65
; %bb.58:                               ;   in Loop: Header=BB183_12 Depth=1
	v_mov_b64_e32 v[70:71], 0x8000000000000000
	s_mov_b32 s43, exec_lo
	v_cmpx_ne_u16_e32 0x80, v1
	s_cbranch_execz .LBB183_64
; %bb.59:                               ;   in Loop: Header=BB183_12 Depth=1
	v_and_b32_e32 v1, 0xffff, v1
	v_mov_b64_e32 v[70:71], 0x7f80000100000000
	s_mov_b32 s44, exec_lo
	s_delay_alu instid0(VALU_DEP_2) | instskip(NEXT) | instid1(VALU_DEP_1)
	v_and_b32_e32 v2, 0x7f, v1
	v_cmpx_ne_u32_e32 0x7f, v2
	s_cbranch_execz .LBB183_63
; %bb.60:                               ;   in Loop: Header=BB183_12 Depth=1
	v_dual_lshrrev_b32 v1, 3, v2 :: v_dual_bitop2_b32 v52, 7, v1 bitop3:0x40
	s_mov_b32 s45, exec_lo
	v_cmpx_gt_u32_e32 8, v2
; %bb.61:                               ;   in Loop: Header=BB183_12 Depth=1
	s_delay_alu instid0(VALU_DEP_2) | instskip(NEXT) | instid1(VALU_DEP_1)
	v_clz_i32_u32_e32 v1, v52
	v_min_u32_e32 v1, 32, v1
	s_delay_alu instid0(VALU_DEP_1) | instskip(NEXT) | instid1(VALU_DEP_1)
	v_subrev_nc_u32_e32 v2, 28, v1
	v_lshlrev_b64_e32 v[2:3], v2, v[52:53]
	s_delay_alu instid0(VALU_DEP_1)
	v_dual_sub_nc_u32 v1, 29, v1 :: v_dual_bitop2_b32 v52, 7, v2 bitop3:0x40
; %bb.62:                               ;   in Loop: Header=BB183_12 Depth=1
	s_or_b32 exec_lo, exec_lo, s45
	v_dual_lshlrev_b32 v0, 16, v0 :: v_dual_mov_b32 v70, v53
	s_delay_alu instid0(VALU_DEP_2) | instskip(NEXT) | instid1(VALU_DEP_3)
	v_lshlrev_b32_e32 v2, 20, v52
	v_lshl_add_u32 v1, v1, 23, 0x3c000000
	s_delay_alu instid0(VALU_DEP_3) | instskip(NEXT) | instid1(VALU_DEP_1)
	v_and_b32_e32 v0, 0x80000000, v0
	v_or3_b32 v71, v2, v0, v1
.LBB183_63:                             ;   in Loop: Header=BB183_12 Depth=1
	s_or_b32 exec_lo, exec_lo, s44
.LBB183_64:                             ;   in Loop: Header=BB183_12 Depth=1
	s_delay_alu instid0(SALU_CYCLE_1)
	s_or_b32 exec_lo, exec_lo, s43
.LBB183_65:                             ;   in Loop: Header=BB183_12 Depth=1
	s_delay_alu instid0(SALU_CYCLE_1)
	s_or_b32 exec_lo, exec_lo, s42
	global_load_u16 v0, v[68:69], off offset:12
	v_mov_b64_e32 v[74:75], 0
	v_mov_b64_e32 v[76:77], 0
	s_mov_b32 s42, exec_lo
	s_wait_loadcnt 0x0
	v_and_b32_e32 v1, 0xff, v0
	v_and_b32_e32 v0, 0xffff, v0
	s_wait_xcnt 0x0
	s_delay_alu instid0(VALU_DEP_2)
	v_cmpx_ne_u16_e32 0, v1
	s_cbranch_execz .LBB183_73
; %bb.66:                               ;   in Loop: Header=BB183_12 Depth=1
	v_mov_b64_e32 v[76:77], 0x80000000
	v_and_b32_e32 v1, 0xff, v0
	s_mov_b32 s43, exec_lo
	s_delay_alu instid0(VALU_DEP_1)
	v_cmpx_ne_u16_e32 0x80, v1
	s_cbranch_execz .LBB183_72
; %bb.67:                               ;   in Loop: Header=BB183_12 Depth=1
	v_mov_b64_e32 v[76:77], 0x7f800001
	v_and_b32_e32 v2, 0x7f, v0
	s_mov_b32 s44, exec_lo
	s_delay_alu instid0(VALU_DEP_1)
	v_cmpx_ne_u32_e32 0x7f, v2
	s_cbranch_execz .LBB183_71
; %bb.68:                               ;   in Loop: Header=BB183_12 Depth=1
	v_dual_lshrrev_b32 v1, 3, v2 :: v_dual_bitop2_b32 v52, 7, v0 bitop3:0x40
	s_mov_b32 s45, exec_lo
	v_cmpx_gt_u32_e32 8, v2
; %bb.69:                               ;   in Loop: Header=BB183_12 Depth=1
	s_delay_alu instid0(VALU_DEP_2) | instskip(NEXT) | instid1(VALU_DEP_1)
	v_clz_i32_u32_e32 v1, v52
	v_min_u32_e32 v1, 32, v1
	s_delay_alu instid0(VALU_DEP_1) | instskip(NEXT) | instid1(VALU_DEP_1)
	v_subrev_nc_u32_e32 v2, 28, v1
	v_lshlrev_b64_e32 v[2:3], v2, v[52:53]
	s_delay_alu instid0(VALU_DEP_1)
	v_dual_sub_nc_u32 v1, 29, v1 :: v_dual_bitop2_b32 v52, 7, v2 bitop3:0x40
; %bb.70:                               ;   in Loop: Header=BB183_12 Depth=1
	s_or_b32 exec_lo, exec_lo, s45
	v_lshlrev_b32_e32 v2, 24, v0
	s_delay_alu instid0(VALU_DEP_2) | instskip(NEXT) | instid1(VALU_DEP_3)
	v_lshlrev_b32_e32 v3, 20, v52
	v_lshl_add_u32 v1, v1, 23, 0x3c000000
	s_delay_alu instid0(VALU_DEP_3) | instskip(NEXT) | instid1(VALU_DEP_1)
	v_and_b32_e32 v2, 0x80000000, v2
	v_or3_b32 v52, v3, v2, v1
	s_delay_alu instid0(VALU_DEP_1)
	v_mov_b64_e32 v[76:77], v[52:53]
.LBB183_71:                             ;   in Loop: Header=BB183_12 Depth=1
	s_or_b32 exec_lo, exec_lo, s44
.LBB183_72:                             ;   in Loop: Header=BB183_12 Depth=1
	s_delay_alu instid0(SALU_CYCLE_1)
	s_or_b32 exec_lo, exec_lo, s43
.LBB183_73:                             ;   in Loop: Header=BB183_12 Depth=1
	s_delay_alu instid0(SALU_CYCLE_1) | instskip(SKIP_2) | instid1(VALU_DEP_1)
	s_or_b32 exec_lo, exec_lo, s42
	v_lshrrev_b16 v1, 8, v0
	s_mov_b32 s42, exec_lo
	v_cmpx_ne_u16_e32 0, v1
	s_cbranch_execz .LBB183_81
; %bb.74:                               ;   in Loop: Header=BB183_12 Depth=1
	v_mov_b64_e32 v[74:75], 0x8000000000000000
	s_mov_b32 s43, exec_lo
	v_cmpx_ne_u16_e32 0x80, v1
	s_cbranch_execz .LBB183_80
; %bb.75:                               ;   in Loop: Header=BB183_12 Depth=1
	v_and_b32_e32 v1, 0xffff, v1
	v_mov_b64_e32 v[74:75], 0x7f80000100000000
	s_mov_b32 s44, exec_lo
	s_delay_alu instid0(VALU_DEP_2) | instskip(NEXT) | instid1(VALU_DEP_1)
	v_and_b32_e32 v2, 0x7f, v1
	v_cmpx_ne_u32_e32 0x7f, v2
	s_cbranch_execz .LBB183_79
; %bb.76:                               ;   in Loop: Header=BB183_12 Depth=1
	v_dual_lshrrev_b32 v1, 3, v2 :: v_dual_bitop2_b32 v52, 7, v1 bitop3:0x40
	s_mov_b32 s45, exec_lo
	v_cmpx_gt_u32_e32 8, v2
; %bb.77:                               ;   in Loop: Header=BB183_12 Depth=1
	s_delay_alu instid0(VALU_DEP_2) | instskip(NEXT) | instid1(VALU_DEP_1)
	v_clz_i32_u32_e32 v1, v52
	v_min_u32_e32 v1, 32, v1
	s_delay_alu instid0(VALU_DEP_1) | instskip(NEXT) | instid1(VALU_DEP_1)
	v_subrev_nc_u32_e32 v2, 28, v1
	v_lshlrev_b64_e32 v[2:3], v2, v[52:53]
	s_delay_alu instid0(VALU_DEP_1)
	v_dual_sub_nc_u32 v1, 29, v1 :: v_dual_bitop2_b32 v52, 7, v2 bitop3:0x40
; %bb.78:                               ;   in Loop: Header=BB183_12 Depth=1
	s_or_b32 exec_lo, exec_lo, s45
	v_dual_lshlrev_b32 v0, 16, v0 :: v_dual_mov_b32 v74, v53
	s_delay_alu instid0(VALU_DEP_2) | instskip(NEXT) | instid1(VALU_DEP_3)
	v_lshlrev_b32_e32 v2, 20, v52
	v_lshl_add_u32 v1, v1, 23, 0x3c000000
	s_delay_alu instid0(VALU_DEP_3) | instskip(NEXT) | instid1(VALU_DEP_1)
	v_and_b32_e32 v0, 0x80000000, v0
	v_or3_b32 v75, v2, v0, v1
.LBB183_79:                             ;   in Loop: Header=BB183_12 Depth=1
	s_or_b32 exec_lo, exec_lo, s44
.LBB183_80:                             ;   in Loop: Header=BB183_12 Depth=1
	s_delay_alu instid0(SALU_CYCLE_1)
	s_or_b32 exec_lo, exec_lo, s43
.LBB183_81:                             ;   in Loop: Header=BB183_12 Depth=1
	s_delay_alu instid0(SALU_CYCLE_1)
	s_or_b32 exec_lo, exec_lo, s42
	global_load_u16 v0, v[68:69], off offset:256
	v_mov_b64_e32 v[78:79], 0
	v_mov_b64_e32 v[80:81], 0
	s_mov_b32 s42, exec_lo
	s_wait_loadcnt 0x0
	v_and_b32_e32 v1, 0xff, v0
	v_and_b32_e32 v0, 0xffff, v0
	s_wait_xcnt 0x0
	s_delay_alu instid0(VALU_DEP_2)
	v_cmpx_ne_u16_e32 0, v1
	s_cbranch_execz .LBB183_89
; %bb.82:                               ;   in Loop: Header=BB183_12 Depth=1
	v_mov_b64_e32 v[80:81], 0x80000000
	v_and_b32_e32 v1, 0xff, v0
	s_mov_b32 s43, exec_lo
	s_delay_alu instid0(VALU_DEP_1)
	v_cmpx_ne_u16_e32 0x80, v1
	s_cbranch_execz .LBB183_88
; %bb.83:                               ;   in Loop: Header=BB183_12 Depth=1
	v_mov_b64_e32 v[80:81], 0x7f800001
	v_and_b32_e32 v2, 0x7f, v0
	s_mov_b32 s44, exec_lo
	s_delay_alu instid0(VALU_DEP_1)
	v_cmpx_ne_u32_e32 0x7f, v2
	s_cbranch_execz .LBB183_87
; %bb.84:                               ;   in Loop: Header=BB183_12 Depth=1
	v_dual_lshrrev_b32 v1, 3, v2 :: v_dual_bitop2_b32 v52, 7, v0 bitop3:0x40
	s_mov_b32 s45, exec_lo
	v_cmpx_gt_u32_e32 8, v2
; %bb.85:                               ;   in Loop: Header=BB183_12 Depth=1
	s_delay_alu instid0(VALU_DEP_2) | instskip(NEXT) | instid1(VALU_DEP_1)
	v_clz_i32_u32_e32 v1, v52
	v_min_u32_e32 v1, 32, v1
	s_delay_alu instid0(VALU_DEP_1) | instskip(NEXT) | instid1(VALU_DEP_1)
	v_subrev_nc_u32_e32 v2, 28, v1
	v_lshlrev_b64_e32 v[2:3], v2, v[52:53]
	s_delay_alu instid0(VALU_DEP_1)
	v_dual_sub_nc_u32 v1, 29, v1 :: v_dual_bitop2_b32 v52, 7, v2 bitop3:0x40
; %bb.86:                               ;   in Loop: Header=BB183_12 Depth=1
	s_or_b32 exec_lo, exec_lo, s45
	v_lshlrev_b32_e32 v2, 24, v0
	s_delay_alu instid0(VALU_DEP_2) | instskip(NEXT) | instid1(VALU_DEP_3)
	v_lshlrev_b32_e32 v3, 20, v52
	v_lshl_add_u32 v1, v1, 23, 0x3c000000
	s_delay_alu instid0(VALU_DEP_3) | instskip(NEXT) | instid1(VALU_DEP_1)
	v_and_b32_e32 v2, 0x80000000, v2
	v_or3_b32 v52, v3, v2, v1
	s_delay_alu instid0(VALU_DEP_1)
	v_mov_b64_e32 v[80:81], v[52:53]
.LBB183_87:                             ;   in Loop: Header=BB183_12 Depth=1
	s_or_b32 exec_lo, exec_lo, s44
.LBB183_88:                             ;   in Loop: Header=BB183_12 Depth=1
	s_delay_alu instid0(SALU_CYCLE_1)
	s_or_b32 exec_lo, exec_lo, s43
.LBB183_89:                             ;   in Loop: Header=BB183_12 Depth=1
	s_delay_alu instid0(SALU_CYCLE_1) | instskip(SKIP_2) | instid1(VALU_DEP_1)
	s_or_b32 exec_lo, exec_lo, s42
	v_lshrrev_b16 v1, 8, v0
	s_mov_b32 s42, exec_lo
	v_cmpx_ne_u16_e32 0, v1
	s_cbranch_execz .LBB183_97
; %bb.90:                               ;   in Loop: Header=BB183_12 Depth=1
	v_mov_b64_e32 v[78:79], 0x8000000000000000
	s_mov_b32 s43, exec_lo
	v_cmpx_ne_u16_e32 0x80, v1
	s_cbranch_execz .LBB183_96
; %bb.91:                               ;   in Loop: Header=BB183_12 Depth=1
	v_and_b32_e32 v1, 0xffff, v1
	v_mov_b64_e32 v[78:79], 0x7f80000100000000
	s_mov_b32 s44, exec_lo
	s_delay_alu instid0(VALU_DEP_2) | instskip(NEXT) | instid1(VALU_DEP_1)
	v_and_b32_e32 v2, 0x7f, v1
	v_cmpx_ne_u32_e32 0x7f, v2
	s_cbranch_execz .LBB183_95
; %bb.92:                               ;   in Loop: Header=BB183_12 Depth=1
	v_dual_lshrrev_b32 v1, 3, v2 :: v_dual_bitop2_b32 v52, 7, v1 bitop3:0x40
	s_mov_b32 s45, exec_lo
	v_cmpx_gt_u32_e32 8, v2
; %bb.93:                               ;   in Loop: Header=BB183_12 Depth=1
	s_delay_alu instid0(VALU_DEP_2) | instskip(NEXT) | instid1(VALU_DEP_1)
	v_clz_i32_u32_e32 v1, v52
	v_min_u32_e32 v1, 32, v1
	s_delay_alu instid0(VALU_DEP_1) | instskip(NEXT) | instid1(VALU_DEP_1)
	v_subrev_nc_u32_e32 v2, 28, v1
	v_lshlrev_b64_e32 v[2:3], v2, v[52:53]
	s_delay_alu instid0(VALU_DEP_1)
	v_dual_sub_nc_u32 v1, 29, v1 :: v_dual_bitop2_b32 v52, 7, v2 bitop3:0x40
; %bb.94:                               ;   in Loop: Header=BB183_12 Depth=1
	s_or_b32 exec_lo, exec_lo, s45
	v_dual_lshlrev_b32 v0, 16, v0 :: v_dual_mov_b32 v78, v53
	s_delay_alu instid0(VALU_DEP_2) | instskip(NEXT) | instid1(VALU_DEP_3)
	v_lshlrev_b32_e32 v2, 20, v52
	v_lshl_add_u32 v1, v1, 23, 0x3c000000
	s_delay_alu instid0(VALU_DEP_3) | instskip(NEXT) | instid1(VALU_DEP_1)
	v_and_b32_e32 v0, 0x80000000, v0
	v_or3_b32 v79, v2, v0, v1
.LBB183_95:                             ;   in Loop: Header=BB183_12 Depth=1
	s_or_b32 exec_lo, exec_lo, s44
.LBB183_96:                             ;   in Loop: Header=BB183_12 Depth=1
	s_delay_alu instid0(SALU_CYCLE_1)
	s_or_b32 exec_lo, exec_lo, s43
.LBB183_97:                             ;   in Loop: Header=BB183_12 Depth=1
	s_delay_alu instid0(SALU_CYCLE_1)
	s_or_b32 exec_lo, exec_lo, s42
	global_load_u16 v0, v[68:69], off offset:260
	v_mov_b64_e32 v[82:83], 0
	v_mov_b64_e32 v[84:85], 0
	s_mov_b32 s42, exec_lo
	s_wait_loadcnt 0x0
	v_and_b32_e32 v1, 0xff, v0
	v_and_b32_e32 v0, 0xffff, v0
	s_wait_xcnt 0x0
	s_delay_alu instid0(VALU_DEP_2)
	v_cmpx_ne_u16_e32 0, v1
	s_cbranch_execz .LBB183_105
; %bb.98:                               ;   in Loop: Header=BB183_12 Depth=1
	v_mov_b64_e32 v[84:85], 0x80000000
	v_and_b32_e32 v1, 0xff, v0
	s_mov_b32 s43, exec_lo
	s_delay_alu instid0(VALU_DEP_1)
	v_cmpx_ne_u16_e32 0x80, v1
	s_cbranch_execz .LBB183_104
; %bb.99:                               ;   in Loop: Header=BB183_12 Depth=1
	v_mov_b64_e32 v[84:85], 0x7f800001
	v_and_b32_e32 v2, 0x7f, v0
	s_mov_b32 s44, exec_lo
	s_delay_alu instid0(VALU_DEP_1)
	v_cmpx_ne_u32_e32 0x7f, v2
	s_cbranch_execz .LBB183_103
; %bb.100:                              ;   in Loop: Header=BB183_12 Depth=1
	v_dual_lshrrev_b32 v1, 3, v2 :: v_dual_bitop2_b32 v52, 7, v0 bitop3:0x40
	s_mov_b32 s45, exec_lo
	v_cmpx_gt_u32_e32 8, v2
; %bb.101:                              ;   in Loop: Header=BB183_12 Depth=1
	s_delay_alu instid0(VALU_DEP_2) | instskip(NEXT) | instid1(VALU_DEP_1)
	v_clz_i32_u32_e32 v1, v52
	v_min_u32_e32 v1, 32, v1
	s_delay_alu instid0(VALU_DEP_1) | instskip(NEXT) | instid1(VALU_DEP_1)
	v_subrev_nc_u32_e32 v2, 28, v1
	v_lshlrev_b64_e32 v[2:3], v2, v[52:53]
	s_delay_alu instid0(VALU_DEP_1)
	v_dual_sub_nc_u32 v1, 29, v1 :: v_dual_bitop2_b32 v52, 7, v2 bitop3:0x40
; %bb.102:                              ;   in Loop: Header=BB183_12 Depth=1
	s_or_b32 exec_lo, exec_lo, s45
	v_lshlrev_b32_e32 v2, 24, v0
	s_delay_alu instid0(VALU_DEP_2) | instskip(NEXT) | instid1(VALU_DEP_3)
	v_lshlrev_b32_e32 v3, 20, v52
	v_lshl_add_u32 v1, v1, 23, 0x3c000000
	s_delay_alu instid0(VALU_DEP_3) | instskip(NEXT) | instid1(VALU_DEP_1)
	v_and_b32_e32 v2, 0x80000000, v2
	v_or3_b32 v52, v3, v2, v1
	s_delay_alu instid0(VALU_DEP_1)
	v_mov_b64_e32 v[84:85], v[52:53]
.LBB183_103:                            ;   in Loop: Header=BB183_12 Depth=1
	s_or_b32 exec_lo, exec_lo, s44
.LBB183_104:                            ;   in Loop: Header=BB183_12 Depth=1
	s_delay_alu instid0(SALU_CYCLE_1)
	s_or_b32 exec_lo, exec_lo, s43
.LBB183_105:                            ;   in Loop: Header=BB183_12 Depth=1
	s_delay_alu instid0(SALU_CYCLE_1) | instskip(SKIP_2) | instid1(VALU_DEP_1)
	s_or_b32 exec_lo, exec_lo, s42
	v_lshrrev_b16 v1, 8, v0
	s_mov_b32 s42, exec_lo
	v_cmpx_ne_u16_e32 0, v1
	s_cbranch_execz .LBB183_113
; %bb.106:                              ;   in Loop: Header=BB183_12 Depth=1
	v_mov_b64_e32 v[82:83], 0x8000000000000000
	s_mov_b32 s43, exec_lo
	v_cmpx_ne_u16_e32 0x80, v1
	s_cbranch_execz .LBB183_112
; %bb.107:                              ;   in Loop: Header=BB183_12 Depth=1
	v_and_b32_e32 v1, 0xffff, v1
	v_mov_b64_e32 v[82:83], 0x7f80000100000000
	s_mov_b32 s44, exec_lo
	s_delay_alu instid0(VALU_DEP_2) | instskip(NEXT) | instid1(VALU_DEP_1)
	v_and_b32_e32 v2, 0x7f, v1
	v_cmpx_ne_u32_e32 0x7f, v2
	s_cbranch_execz .LBB183_111
; %bb.108:                              ;   in Loop: Header=BB183_12 Depth=1
	v_dual_lshrrev_b32 v1, 3, v2 :: v_dual_bitop2_b32 v52, 7, v1 bitop3:0x40
	s_mov_b32 s45, exec_lo
	v_cmpx_gt_u32_e32 8, v2
; %bb.109:                              ;   in Loop: Header=BB183_12 Depth=1
	s_delay_alu instid0(VALU_DEP_2) | instskip(NEXT) | instid1(VALU_DEP_1)
	v_clz_i32_u32_e32 v1, v52
	v_min_u32_e32 v1, 32, v1
	s_delay_alu instid0(VALU_DEP_1) | instskip(NEXT) | instid1(VALU_DEP_1)
	v_subrev_nc_u32_e32 v2, 28, v1
	v_lshlrev_b64_e32 v[2:3], v2, v[52:53]
	s_delay_alu instid0(VALU_DEP_1)
	v_dual_sub_nc_u32 v1, 29, v1 :: v_dual_bitop2_b32 v52, 7, v2 bitop3:0x40
; %bb.110:                              ;   in Loop: Header=BB183_12 Depth=1
	s_or_b32 exec_lo, exec_lo, s45
	v_dual_lshlrev_b32 v0, 16, v0 :: v_dual_mov_b32 v82, v53
	s_delay_alu instid0(VALU_DEP_2) | instskip(NEXT) | instid1(VALU_DEP_3)
	v_lshlrev_b32_e32 v2, 20, v52
	v_lshl_add_u32 v1, v1, 23, 0x3c000000
	s_delay_alu instid0(VALU_DEP_3) | instskip(NEXT) | instid1(VALU_DEP_1)
	v_and_b32_e32 v0, 0x80000000, v0
	v_or3_b32 v83, v2, v0, v1
.LBB183_111:                            ;   in Loop: Header=BB183_12 Depth=1
	s_or_b32 exec_lo, exec_lo, s44
.LBB183_112:                            ;   in Loop: Header=BB183_12 Depth=1
	s_delay_alu instid0(SALU_CYCLE_1)
	s_or_b32 exec_lo, exec_lo, s43
.LBB183_113:                            ;   in Loop: Header=BB183_12 Depth=1
	s_delay_alu instid0(SALU_CYCLE_1)
	s_or_b32 exec_lo, exec_lo, s42
	global_load_u16 v0, v[68:69], off offset:264
	v_mov_b64_e32 v[86:87], 0
	v_mov_b64_e32 v[88:89], 0
	s_mov_b32 s42, exec_lo
	s_wait_loadcnt 0x0
	v_and_b32_e32 v1, 0xff, v0
	v_and_b32_e32 v0, 0xffff, v0
	s_wait_xcnt 0x0
	s_delay_alu instid0(VALU_DEP_2)
	v_cmpx_ne_u16_e32 0, v1
	s_cbranch_execz .LBB183_121
; %bb.114:                              ;   in Loop: Header=BB183_12 Depth=1
	v_mov_b64_e32 v[88:89], 0x80000000
	v_and_b32_e32 v1, 0xff, v0
	s_mov_b32 s43, exec_lo
	s_delay_alu instid0(VALU_DEP_1)
	v_cmpx_ne_u16_e32 0x80, v1
	s_cbranch_execz .LBB183_120
; %bb.115:                              ;   in Loop: Header=BB183_12 Depth=1
	v_mov_b64_e32 v[88:89], 0x7f800001
	v_and_b32_e32 v2, 0x7f, v0
	s_mov_b32 s44, exec_lo
	s_delay_alu instid0(VALU_DEP_1)
	v_cmpx_ne_u32_e32 0x7f, v2
	s_cbranch_execz .LBB183_119
; %bb.116:                              ;   in Loop: Header=BB183_12 Depth=1
	v_dual_lshrrev_b32 v1, 3, v2 :: v_dual_bitop2_b32 v52, 7, v0 bitop3:0x40
	s_mov_b32 s45, exec_lo
	v_cmpx_gt_u32_e32 8, v2
; %bb.117:                              ;   in Loop: Header=BB183_12 Depth=1
	s_delay_alu instid0(VALU_DEP_2) | instskip(NEXT) | instid1(VALU_DEP_1)
	v_clz_i32_u32_e32 v1, v52
	v_min_u32_e32 v1, 32, v1
	s_delay_alu instid0(VALU_DEP_1) | instskip(NEXT) | instid1(VALU_DEP_1)
	v_subrev_nc_u32_e32 v2, 28, v1
	v_lshlrev_b64_e32 v[2:3], v2, v[52:53]
	s_delay_alu instid0(VALU_DEP_1)
	v_dual_sub_nc_u32 v1, 29, v1 :: v_dual_bitop2_b32 v52, 7, v2 bitop3:0x40
; %bb.118:                              ;   in Loop: Header=BB183_12 Depth=1
	s_or_b32 exec_lo, exec_lo, s45
	v_lshlrev_b32_e32 v2, 24, v0
	s_delay_alu instid0(VALU_DEP_2) | instskip(NEXT) | instid1(VALU_DEP_3)
	v_lshlrev_b32_e32 v3, 20, v52
	v_lshl_add_u32 v1, v1, 23, 0x3c000000
	s_delay_alu instid0(VALU_DEP_3) | instskip(NEXT) | instid1(VALU_DEP_1)
	v_and_b32_e32 v2, 0x80000000, v2
	v_or3_b32 v52, v3, v2, v1
	s_delay_alu instid0(VALU_DEP_1)
	v_mov_b64_e32 v[88:89], v[52:53]
.LBB183_119:                            ;   in Loop: Header=BB183_12 Depth=1
	s_or_b32 exec_lo, exec_lo, s44
.LBB183_120:                            ;   in Loop: Header=BB183_12 Depth=1
	s_delay_alu instid0(SALU_CYCLE_1)
	s_or_b32 exec_lo, exec_lo, s43
.LBB183_121:                            ;   in Loop: Header=BB183_12 Depth=1
	s_delay_alu instid0(SALU_CYCLE_1) | instskip(SKIP_2) | instid1(VALU_DEP_1)
	s_or_b32 exec_lo, exec_lo, s42
	v_lshrrev_b16 v1, 8, v0
	s_mov_b32 s42, exec_lo
	v_cmpx_ne_u16_e32 0, v1
	s_cbranch_execz .LBB183_129
; %bb.122:                              ;   in Loop: Header=BB183_12 Depth=1
	v_mov_b64_e32 v[86:87], 0x8000000000000000
	s_mov_b32 s43, exec_lo
	v_cmpx_ne_u16_e32 0x80, v1
	s_cbranch_execz .LBB183_128
; %bb.123:                              ;   in Loop: Header=BB183_12 Depth=1
	v_and_b32_e32 v1, 0xffff, v1
	v_mov_b64_e32 v[86:87], 0x7f80000100000000
	s_mov_b32 s44, exec_lo
	s_delay_alu instid0(VALU_DEP_2) | instskip(NEXT) | instid1(VALU_DEP_1)
	v_and_b32_e32 v2, 0x7f, v1
	v_cmpx_ne_u32_e32 0x7f, v2
	s_cbranch_execz .LBB183_127
; %bb.124:                              ;   in Loop: Header=BB183_12 Depth=1
	v_dual_lshrrev_b32 v1, 3, v2 :: v_dual_bitop2_b32 v52, 7, v1 bitop3:0x40
	s_mov_b32 s45, exec_lo
	v_cmpx_gt_u32_e32 8, v2
; %bb.125:                              ;   in Loop: Header=BB183_12 Depth=1
	s_delay_alu instid0(VALU_DEP_2) | instskip(NEXT) | instid1(VALU_DEP_1)
	v_clz_i32_u32_e32 v1, v52
	v_min_u32_e32 v1, 32, v1
	s_delay_alu instid0(VALU_DEP_1) | instskip(NEXT) | instid1(VALU_DEP_1)
	v_subrev_nc_u32_e32 v2, 28, v1
	v_lshlrev_b64_e32 v[2:3], v2, v[52:53]
	s_delay_alu instid0(VALU_DEP_1)
	v_dual_sub_nc_u32 v1, 29, v1 :: v_dual_bitop2_b32 v52, 7, v2 bitop3:0x40
; %bb.126:                              ;   in Loop: Header=BB183_12 Depth=1
	s_or_b32 exec_lo, exec_lo, s45
	v_dual_lshlrev_b32 v0, 16, v0 :: v_dual_mov_b32 v86, v53
	s_delay_alu instid0(VALU_DEP_2) | instskip(NEXT) | instid1(VALU_DEP_3)
	v_lshlrev_b32_e32 v2, 20, v52
	v_lshl_add_u32 v1, v1, 23, 0x3c000000
	s_delay_alu instid0(VALU_DEP_3) | instskip(NEXT) | instid1(VALU_DEP_1)
	v_and_b32_e32 v0, 0x80000000, v0
	v_or3_b32 v87, v2, v0, v1
.LBB183_127:                            ;   in Loop: Header=BB183_12 Depth=1
	s_or_b32 exec_lo, exec_lo, s44
.LBB183_128:                            ;   in Loop: Header=BB183_12 Depth=1
	s_delay_alu instid0(SALU_CYCLE_1)
	s_or_b32 exec_lo, exec_lo, s43
.LBB183_129:                            ;   in Loop: Header=BB183_12 Depth=1
	s_delay_alu instid0(SALU_CYCLE_1)
	s_or_b32 exec_lo, exec_lo, s42
	global_load_u16 v0, v[68:69], off offset:268
	v_mov_b64_e32 v[90:91], 0
	v_mov_b64_e32 v[92:93], 0
	s_mov_b32 s42, exec_lo
	s_wait_loadcnt 0x0
	v_and_b32_e32 v1, 0xff, v0
	v_and_b32_e32 v0, 0xffff, v0
	s_wait_xcnt 0x0
	s_delay_alu instid0(VALU_DEP_2)
	v_cmpx_ne_u16_e32 0, v1
	s_cbranch_execz .LBB183_137
; %bb.130:                              ;   in Loop: Header=BB183_12 Depth=1
	v_mov_b64_e32 v[92:93], 0x80000000
	v_and_b32_e32 v1, 0xff, v0
	s_mov_b32 s43, exec_lo
	s_delay_alu instid0(VALU_DEP_1)
	v_cmpx_ne_u16_e32 0x80, v1
	s_cbranch_execz .LBB183_136
; %bb.131:                              ;   in Loop: Header=BB183_12 Depth=1
	v_mov_b64_e32 v[92:93], 0x7f800001
	v_and_b32_e32 v2, 0x7f, v0
	s_mov_b32 s44, exec_lo
	s_delay_alu instid0(VALU_DEP_1)
	v_cmpx_ne_u32_e32 0x7f, v2
	s_cbranch_execz .LBB183_135
; %bb.132:                              ;   in Loop: Header=BB183_12 Depth=1
	v_dual_lshrrev_b32 v1, 3, v2 :: v_dual_bitop2_b32 v52, 7, v0 bitop3:0x40
	s_mov_b32 s45, exec_lo
	v_cmpx_gt_u32_e32 8, v2
; %bb.133:                              ;   in Loop: Header=BB183_12 Depth=1
	s_delay_alu instid0(VALU_DEP_2) | instskip(NEXT) | instid1(VALU_DEP_1)
	v_clz_i32_u32_e32 v1, v52
	v_min_u32_e32 v1, 32, v1
	s_delay_alu instid0(VALU_DEP_1) | instskip(NEXT) | instid1(VALU_DEP_1)
	v_subrev_nc_u32_e32 v2, 28, v1
	v_lshlrev_b64_e32 v[2:3], v2, v[52:53]
	s_delay_alu instid0(VALU_DEP_1)
	v_dual_sub_nc_u32 v1, 29, v1 :: v_dual_bitop2_b32 v52, 7, v2 bitop3:0x40
; %bb.134:                              ;   in Loop: Header=BB183_12 Depth=1
	s_or_b32 exec_lo, exec_lo, s45
	v_lshlrev_b32_e32 v2, 24, v0
	s_delay_alu instid0(VALU_DEP_2) | instskip(NEXT) | instid1(VALU_DEP_3)
	v_lshlrev_b32_e32 v3, 20, v52
	v_lshl_add_u32 v1, v1, 23, 0x3c000000
	s_delay_alu instid0(VALU_DEP_3) | instskip(NEXT) | instid1(VALU_DEP_1)
	v_and_b32_e32 v2, 0x80000000, v2
	v_or3_b32 v52, v3, v2, v1
	s_delay_alu instid0(VALU_DEP_1)
	v_mov_b64_e32 v[92:93], v[52:53]
.LBB183_135:                            ;   in Loop: Header=BB183_12 Depth=1
	s_or_b32 exec_lo, exec_lo, s44
.LBB183_136:                            ;   in Loop: Header=BB183_12 Depth=1
	s_delay_alu instid0(SALU_CYCLE_1)
	s_or_b32 exec_lo, exec_lo, s43
.LBB183_137:                            ;   in Loop: Header=BB183_12 Depth=1
	s_delay_alu instid0(SALU_CYCLE_1) | instskip(SKIP_2) | instid1(VALU_DEP_1)
	s_or_b32 exec_lo, exec_lo, s42
	v_lshrrev_b16 v1, 8, v0
	s_mov_b32 s42, exec_lo
	v_cmpx_ne_u16_e32 0, v1
	s_cbranch_execz .LBB183_145
; %bb.138:                              ;   in Loop: Header=BB183_12 Depth=1
	v_mov_b64_e32 v[90:91], 0x8000000000000000
	s_mov_b32 s43, exec_lo
	v_cmpx_ne_u16_e32 0x80, v1
	s_cbranch_execz .LBB183_144
; %bb.139:                              ;   in Loop: Header=BB183_12 Depth=1
	v_and_b32_e32 v1, 0xffff, v1
	v_mov_b64_e32 v[90:91], 0x7f80000100000000
	s_mov_b32 s44, exec_lo
	s_delay_alu instid0(VALU_DEP_2) | instskip(NEXT) | instid1(VALU_DEP_1)
	v_and_b32_e32 v2, 0x7f, v1
	v_cmpx_ne_u32_e32 0x7f, v2
	s_cbranch_execz .LBB183_143
; %bb.140:                              ;   in Loop: Header=BB183_12 Depth=1
	v_dual_lshrrev_b32 v1, 3, v2 :: v_dual_bitop2_b32 v52, 7, v1 bitop3:0x40
	s_mov_b32 s45, exec_lo
	v_cmpx_gt_u32_e32 8, v2
; %bb.141:                              ;   in Loop: Header=BB183_12 Depth=1
	s_delay_alu instid0(VALU_DEP_2) | instskip(NEXT) | instid1(VALU_DEP_1)
	v_clz_i32_u32_e32 v1, v52
	v_min_u32_e32 v1, 32, v1
	s_delay_alu instid0(VALU_DEP_1) | instskip(NEXT) | instid1(VALU_DEP_1)
	v_subrev_nc_u32_e32 v2, 28, v1
	v_lshlrev_b64_e32 v[2:3], v2, v[52:53]
	s_delay_alu instid0(VALU_DEP_1)
	v_dual_sub_nc_u32 v1, 29, v1 :: v_dual_bitop2_b32 v52, 7, v2 bitop3:0x40
; %bb.142:                              ;   in Loop: Header=BB183_12 Depth=1
	s_or_b32 exec_lo, exec_lo, s45
	v_dual_lshlrev_b32 v0, 16, v0 :: v_dual_mov_b32 v90, v53
	s_delay_alu instid0(VALU_DEP_2) | instskip(NEXT) | instid1(VALU_DEP_3)
	v_lshlrev_b32_e32 v2, 20, v52
	v_lshl_add_u32 v1, v1, 23, 0x3c000000
	s_delay_alu instid0(VALU_DEP_3) | instskip(NEXT) | instid1(VALU_DEP_1)
	v_and_b32_e32 v0, 0x80000000, v0
	v_or3_b32 v91, v2, v0, v1
.LBB183_143:                            ;   in Loop: Header=BB183_12 Depth=1
	s_or_b32 exec_lo, exec_lo, s44
.LBB183_144:                            ;   in Loop: Header=BB183_12 Depth=1
	s_delay_alu instid0(SALU_CYCLE_1)
	s_or_b32 exec_lo, exec_lo, s43
.LBB183_145:                            ;   in Loop: Header=BB183_12 Depth=1
	s_delay_alu instid0(SALU_CYCLE_1)
	s_or_b32 exec_lo, exec_lo, s42
	global_load_u16 v0, v[68:69], off offset:512
	v_mov_b64_e32 v[94:95], 0
	v_mov_b64_e32 v[96:97], 0
	s_mov_b32 s42, exec_lo
	s_wait_loadcnt 0x0
	v_and_b32_e32 v1, 0xff, v0
	v_and_b32_e32 v0, 0xffff, v0
	s_wait_xcnt 0x0
	s_delay_alu instid0(VALU_DEP_2)
	v_cmpx_ne_u16_e32 0, v1
	s_cbranch_execz .LBB183_153
; %bb.146:                              ;   in Loop: Header=BB183_12 Depth=1
	v_mov_b64_e32 v[96:97], 0x80000000
	v_and_b32_e32 v1, 0xff, v0
	s_mov_b32 s43, exec_lo
	s_delay_alu instid0(VALU_DEP_1)
	v_cmpx_ne_u16_e32 0x80, v1
	s_cbranch_execz .LBB183_152
; %bb.147:                              ;   in Loop: Header=BB183_12 Depth=1
	v_mov_b64_e32 v[96:97], 0x7f800001
	v_and_b32_e32 v2, 0x7f, v0
	s_mov_b32 s44, exec_lo
	s_delay_alu instid0(VALU_DEP_1)
	v_cmpx_ne_u32_e32 0x7f, v2
	s_cbranch_execz .LBB183_151
; %bb.148:                              ;   in Loop: Header=BB183_12 Depth=1
	v_dual_lshrrev_b32 v1, 3, v2 :: v_dual_bitop2_b32 v52, 7, v0 bitop3:0x40
	s_mov_b32 s45, exec_lo
	v_cmpx_gt_u32_e32 8, v2
; %bb.149:                              ;   in Loop: Header=BB183_12 Depth=1
	s_delay_alu instid0(VALU_DEP_2) | instskip(NEXT) | instid1(VALU_DEP_1)
	v_clz_i32_u32_e32 v1, v52
	v_min_u32_e32 v1, 32, v1
	s_delay_alu instid0(VALU_DEP_1) | instskip(NEXT) | instid1(VALU_DEP_1)
	v_subrev_nc_u32_e32 v2, 28, v1
	v_lshlrev_b64_e32 v[2:3], v2, v[52:53]
	s_delay_alu instid0(VALU_DEP_1)
	v_dual_sub_nc_u32 v1, 29, v1 :: v_dual_bitop2_b32 v52, 7, v2 bitop3:0x40
; %bb.150:                              ;   in Loop: Header=BB183_12 Depth=1
	s_or_b32 exec_lo, exec_lo, s45
	v_lshlrev_b32_e32 v2, 24, v0
	s_delay_alu instid0(VALU_DEP_2) | instskip(NEXT) | instid1(VALU_DEP_3)
	v_lshlrev_b32_e32 v3, 20, v52
	v_lshl_add_u32 v1, v1, 23, 0x3c000000
	s_delay_alu instid0(VALU_DEP_3) | instskip(NEXT) | instid1(VALU_DEP_1)
	v_and_b32_e32 v2, 0x80000000, v2
	v_or3_b32 v52, v3, v2, v1
	s_delay_alu instid0(VALU_DEP_1)
	v_mov_b64_e32 v[96:97], v[52:53]
.LBB183_151:                            ;   in Loop: Header=BB183_12 Depth=1
	s_or_b32 exec_lo, exec_lo, s44
.LBB183_152:                            ;   in Loop: Header=BB183_12 Depth=1
	s_delay_alu instid0(SALU_CYCLE_1)
	s_or_b32 exec_lo, exec_lo, s43
.LBB183_153:                            ;   in Loop: Header=BB183_12 Depth=1
	s_delay_alu instid0(SALU_CYCLE_1) | instskip(SKIP_2) | instid1(VALU_DEP_1)
	s_or_b32 exec_lo, exec_lo, s42
	v_lshrrev_b16 v1, 8, v0
	s_mov_b32 s42, exec_lo
	v_cmpx_ne_u16_e32 0, v1
	s_cbranch_execz .LBB183_161
; %bb.154:                              ;   in Loop: Header=BB183_12 Depth=1
	v_mov_b64_e32 v[94:95], 0x8000000000000000
	s_mov_b32 s43, exec_lo
	v_cmpx_ne_u16_e32 0x80, v1
	s_cbranch_execz .LBB183_160
; %bb.155:                              ;   in Loop: Header=BB183_12 Depth=1
	v_and_b32_e32 v1, 0xffff, v1
	v_mov_b64_e32 v[94:95], 0x7f80000100000000
	s_mov_b32 s44, exec_lo
	s_delay_alu instid0(VALU_DEP_2) | instskip(NEXT) | instid1(VALU_DEP_1)
	v_and_b32_e32 v2, 0x7f, v1
	v_cmpx_ne_u32_e32 0x7f, v2
	s_cbranch_execz .LBB183_159
; %bb.156:                              ;   in Loop: Header=BB183_12 Depth=1
	v_dual_lshrrev_b32 v1, 3, v2 :: v_dual_bitop2_b32 v52, 7, v1 bitop3:0x40
	s_mov_b32 s45, exec_lo
	v_cmpx_gt_u32_e32 8, v2
; %bb.157:                              ;   in Loop: Header=BB183_12 Depth=1
	s_delay_alu instid0(VALU_DEP_2) | instskip(NEXT) | instid1(VALU_DEP_1)
	v_clz_i32_u32_e32 v1, v52
	v_min_u32_e32 v1, 32, v1
	s_delay_alu instid0(VALU_DEP_1) | instskip(NEXT) | instid1(VALU_DEP_1)
	v_subrev_nc_u32_e32 v2, 28, v1
	v_lshlrev_b64_e32 v[2:3], v2, v[52:53]
	s_delay_alu instid0(VALU_DEP_1)
	v_dual_sub_nc_u32 v1, 29, v1 :: v_dual_bitop2_b32 v52, 7, v2 bitop3:0x40
; %bb.158:                              ;   in Loop: Header=BB183_12 Depth=1
	s_or_b32 exec_lo, exec_lo, s45
	v_dual_lshlrev_b32 v0, 16, v0 :: v_dual_mov_b32 v94, v53
	s_delay_alu instid0(VALU_DEP_2) | instskip(NEXT) | instid1(VALU_DEP_3)
	v_lshlrev_b32_e32 v2, 20, v52
	v_lshl_add_u32 v1, v1, 23, 0x3c000000
	s_delay_alu instid0(VALU_DEP_3) | instskip(NEXT) | instid1(VALU_DEP_1)
	v_and_b32_e32 v0, 0x80000000, v0
	v_or3_b32 v95, v2, v0, v1
.LBB183_159:                            ;   in Loop: Header=BB183_12 Depth=1
	s_or_b32 exec_lo, exec_lo, s44
.LBB183_160:                            ;   in Loop: Header=BB183_12 Depth=1
	s_delay_alu instid0(SALU_CYCLE_1)
	s_or_b32 exec_lo, exec_lo, s43
.LBB183_161:                            ;   in Loop: Header=BB183_12 Depth=1
	s_delay_alu instid0(SALU_CYCLE_1)
	s_or_b32 exec_lo, exec_lo, s42
	global_load_u16 v0, v[68:69], off offset:516
	v_mov_b64_e32 v[98:99], 0
	v_mov_b64_e32 v[100:101], 0
	s_mov_b32 s42, exec_lo
	s_wait_loadcnt 0x0
	v_and_b32_e32 v1, 0xff, v0
	v_and_b32_e32 v0, 0xffff, v0
	s_wait_xcnt 0x0
	s_delay_alu instid0(VALU_DEP_2)
	v_cmpx_ne_u16_e32 0, v1
	s_cbranch_execz .LBB183_169
; %bb.162:                              ;   in Loop: Header=BB183_12 Depth=1
	v_mov_b64_e32 v[100:101], 0x80000000
	v_and_b32_e32 v1, 0xff, v0
	s_mov_b32 s43, exec_lo
	s_delay_alu instid0(VALU_DEP_1)
	v_cmpx_ne_u16_e32 0x80, v1
	s_cbranch_execz .LBB183_168
; %bb.163:                              ;   in Loop: Header=BB183_12 Depth=1
	v_mov_b64_e32 v[100:101], 0x7f800001
	v_and_b32_e32 v2, 0x7f, v0
	s_mov_b32 s44, exec_lo
	s_delay_alu instid0(VALU_DEP_1)
	v_cmpx_ne_u32_e32 0x7f, v2
	s_cbranch_execz .LBB183_167
; %bb.164:                              ;   in Loop: Header=BB183_12 Depth=1
	v_dual_lshrrev_b32 v1, 3, v2 :: v_dual_bitop2_b32 v52, 7, v0 bitop3:0x40
	s_mov_b32 s45, exec_lo
	v_cmpx_gt_u32_e32 8, v2
; %bb.165:                              ;   in Loop: Header=BB183_12 Depth=1
	s_delay_alu instid0(VALU_DEP_2) | instskip(NEXT) | instid1(VALU_DEP_1)
	v_clz_i32_u32_e32 v1, v52
	v_min_u32_e32 v1, 32, v1
	s_delay_alu instid0(VALU_DEP_1) | instskip(NEXT) | instid1(VALU_DEP_1)
	v_subrev_nc_u32_e32 v2, 28, v1
	v_lshlrev_b64_e32 v[2:3], v2, v[52:53]
	s_delay_alu instid0(VALU_DEP_1)
	v_dual_sub_nc_u32 v1, 29, v1 :: v_dual_bitop2_b32 v52, 7, v2 bitop3:0x40
; %bb.166:                              ;   in Loop: Header=BB183_12 Depth=1
	s_or_b32 exec_lo, exec_lo, s45
	v_lshlrev_b32_e32 v2, 24, v0
	s_delay_alu instid0(VALU_DEP_2) | instskip(NEXT) | instid1(VALU_DEP_3)
	v_lshlrev_b32_e32 v3, 20, v52
	v_lshl_add_u32 v1, v1, 23, 0x3c000000
	s_delay_alu instid0(VALU_DEP_3) | instskip(NEXT) | instid1(VALU_DEP_1)
	v_and_b32_e32 v2, 0x80000000, v2
	v_or3_b32 v52, v3, v2, v1
	s_delay_alu instid0(VALU_DEP_1)
	v_mov_b64_e32 v[100:101], v[52:53]
.LBB183_167:                            ;   in Loop: Header=BB183_12 Depth=1
	s_or_b32 exec_lo, exec_lo, s44
.LBB183_168:                            ;   in Loop: Header=BB183_12 Depth=1
	s_delay_alu instid0(SALU_CYCLE_1)
	s_or_b32 exec_lo, exec_lo, s43
.LBB183_169:                            ;   in Loop: Header=BB183_12 Depth=1
	s_delay_alu instid0(SALU_CYCLE_1) | instskip(SKIP_2) | instid1(VALU_DEP_1)
	s_or_b32 exec_lo, exec_lo, s42
	v_lshrrev_b16 v1, 8, v0
	s_mov_b32 s42, exec_lo
	v_cmpx_ne_u16_e32 0, v1
	s_cbranch_execz .LBB183_177
; %bb.170:                              ;   in Loop: Header=BB183_12 Depth=1
	v_mov_b64_e32 v[98:99], 0x8000000000000000
	s_mov_b32 s43, exec_lo
	v_cmpx_ne_u16_e32 0x80, v1
	s_cbranch_execz .LBB183_176
; %bb.171:                              ;   in Loop: Header=BB183_12 Depth=1
	v_and_b32_e32 v1, 0xffff, v1
	v_mov_b64_e32 v[98:99], 0x7f80000100000000
	s_mov_b32 s44, exec_lo
	s_delay_alu instid0(VALU_DEP_2) | instskip(NEXT) | instid1(VALU_DEP_1)
	v_and_b32_e32 v2, 0x7f, v1
	v_cmpx_ne_u32_e32 0x7f, v2
	s_cbranch_execz .LBB183_175
; %bb.172:                              ;   in Loop: Header=BB183_12 Depth=1
	v_dual_lshrrev_b32 v1, 3, v2 :: v_dual_bitop2_b32 v52, 7, v1 bitop3:0x40
	s_mov_b32 s45, exec_lo
	v_cmpx_gt_u32_e32 8, v2
; %bb.173:                              ;   in Loop: Header=BB183_12 Depth=1
	s_delay_alu instid0(VALU_DEP_2) | instskip(NEXT) | instid1(VALU_DEP_1)
	v_clz_i32_u32_e32 v1, v52
	v_min_u32_e32 v1, 32, v1
	s_delay_alu instid0(VALU_DEP_1) | instskip(NEXT) | instid1(VALU_DEP_1)
	v_subrev_nc_u32_e32 v2, 28, v1
	v_lshlrev_b64_e32 v[2:3], v2, v[52:53]
	s_delay_alu instid0(VALU_DEP_1)
	v_dual_sub_nc_u32 v1, 29, v1 :: v_dual_bitop2_b32 v52, 7, v2 bitop3:0x40
; %bb.174:                              ;   in Loop: Header=BB183_12 Depth=1
	s_or_b32 exec_lo, exec_lo, s45
	v_dual_lshlrev_b32 v0, 16, v0 :: v_dual_mov_b32 v98, v53
	s_delay_alu instid0(VALU_DEP_2) | instskip(NEXT) | instid1(VALU_DEP_3)
	v_lshlrev_b32_e32 v2, 20, v52
	v_lshl_add_u32 v1, v1, 23, 0x3c000000
	s_delay_alu instid0(VALU_DEP_3) | instskip(NEXT) | instid1(VALU_DEP_1)
	v_and_b32_e32 v0, 0x80000000, v0
	v_or3_b32 v99, v2, v0, v1
.LBB183_175:                            ;   in Loop: Header=BB183_12 Depth=1
	s_or_b32 exec_lo, exec_lo, s44
.LBB183_176:                            ;   in Loop: Header=BB183_12 Depth=1
	s_delay_alu instid0(SALU_CYCLE_1)
	s_or_b32 exec_lo, exec_lo, s43
.LBB183_177:                            ;   in Loop: Header=BB183_12 Depth=1
	s_delay_alu instid0(SALU_CYCLE_1)
	s_or_b32 exec_lo, exec_lo, s42
	global_load_u16 v0, v[68:69], off offset:520
	v_mov_b64_e32 v[102:103], 0
	v_mov_b64_e32 v[104:105], 0
	s_mov_b32 s42, exec_lo
	s_wait_loadcnt 0x0
	v_and_b32_e32 v1, 0xff, v0
	v_and_b32_e32 v0, 0xffff, v0
	s_wait_xcnt 0x0
	s_delay_alu instid0(VALU_DEP_2)
	v_cmpx_ne_u16_e32 0, v1
	s_cbranch_execz .LBB183_185
; %bb.178:                              ;   in Loop: Header=BB183_12 Depth=1
	v_mov_b64_e32 v[104:105], 0x80000000
	v_and_b32_e32 v1, 0xff, v0
	s_mov_b32 s43, exec_lo
	s_delay_alu instid0(VALU_DEP_1)
	v_cmpx_ne_u16_e32 0x80, v1
	s_cbranch_execz .LBB183_184
; %bb.179:                              ;   in Loop: Header=BB183_12 Depth=1
	v_mov_b64_e32 v[104:105], 0x7f800001
	v_and_b32_e32 v2, 0x7f, v0
	s_mov_b32 s44, exec_lo
	s_delay_alu instid0(VALU_DEP_1)
	v_cmpx_ne_u32_e32 0x7f, v2
	s_cbranch_execz .LBB183_183
; %bb.180:                              ;   in Loop: Header=BB183_12 Depth=1
	v_dual_lshrrev_b32 v1, 3, v2 :: v_dual_bitop2_b32 v52, 7, v0 bitop3:0x40
	s_mov_b32 s45, exec_lo
	v_cmpx_gt_u32_e32 8, v2
; %bb.181:                              ;   in Loop: Header=BB183_12 Depth=1
	s_delay_alu instid0(VALU_DEP_2) | instskip(NEXT) | instid1(VALU_DEP_1)
	v_clz_i32_u32_e32 v1, v52
	v_min_u32_e32 v1, 32, v1
	s_delay_alu instid0(VALU_DEP_1) | instskip(NEXT) | instid1(VALU_DEP_1)
	v_subrev_nc_u32_e32 v2, 28, v1
	v_lshlrev_b64_e32 v[2:3], v2, v[52:53]
	s_delay_alu instid0(VALU_DEP_1)
	v_dual_sub_nc_u32 v1, 29, v1 :: v_dual_bitop2_b32 v52, 7, v2 bitop3:0x40
; %bb.182:                              ;   in Loop: Header=BB183_12 Depth=1
	s_or_b32 exec_lo, exec_lo, s45
	v_lshlrev_b32_e32 v2, 24, v0
	s_delay_alu instid0(VALU_DEP_2) | instskip(NEXT) | instid1(VALU_DEP_3)
	v_lshlrev_b32_e32 v3, 20, v52
	v_lshl_add_u32 v1, v1, 23, 0x3c000000
	s_delay_alu instid0(VALU_DEP_3) | instskip(NEXT) | instid1(VALU_DEP_1)
	v_and_b32_e32 v2, 0x80000000, v2
	v_or3_b32 v52, v3, v2, v1
	s_delay_alu instid0(VALU_DEP_1)
	v_mov_b64_e32 v[104:105], v[52:53]
.LBB183_183:                            ;   in Loop: Header=BB183_12 Depth=1
	s_or_b32 exec_lo, exec_lo, s44
.LBB183_184:                            ;   in Loop: Header=BB183_12 Depth=1
	s_delay_alu instid0(SALU_CYCLE_1)
	s_or_b32 exec_lo, exec_lo, s43
.LBB183_185:                            ;   in Loop: Header=BB183_12 Depth=1
	s_delay_alu instid0(SALU_CYCLE_1) | instskip(SKIP_2) | instid1(VALU_DEP_1)
	s_or_b32 exec_lo, exec_lo, s42
	v_lshrrev_b16 v1, 8, v0
	s_mov_b32 s42, exec_lo
	v_cmpx_ne_u16_e32 0, v1
	s_cbranch_execz .LBB183_193
; %bb.186:                              ;   in Loop: Header=BB183_12 Depth=1
	v_mov_b64_e32 v[102:103], 0x8000000000000000
	s_mov_b32 s43, exec_lo
	v_cmpx_ne_u16_e32 0x80, v1
	s_cbranch_execz .LBB183_192
; %bb.187:                              ;   in Loop: Header=BB183_12 Depth=1
	v_and_b32_e32 v1, 0xffff, v1
	v_mov_b64_e32 v[102:103], 0x7f80000100000000
	s_mov_b32 s44, exec_lo
	s_delay_alu instid0(VALU_DEP_2) | instskip(NEXT) | instid1(VALU_DEP_1)
	v_and_b32_e32 v2, 0x7f, v1
	v_cmpx_ne_u32_e32 0x7f, v2
	s_cbranch_execz .LBB183_191
; %bb.188:                              ;   in Loop: Header=BB183_12 Depth=1
	v_dual_lshrrev_b32 v1, 3, v2 :: v_dual_bitop2_b32 v52, 7, v1 bitop3:0x40
	s_mov_b32 s45, exec_lo
	v_cmpx_gt_u32_e32 8, v2
; %bb.189:                              ;   in Loop: Header=BB183_12 Depth=1
	s_delay_alu instid0(VALU_DEP_2) | instskip(NEXT) | instid1(VALU_DEP_1)
	v_clz_i32_u32_e32 v1, v52
	v_min_u32_e32 v1, 32, v1
	s_delay_alu instid0(VALU_DEP_1) | instskip(NEXT) | instid1(VALU_DEP_1)
	v_subrev_nc_u32_e32 v2, 28, v1
	v_lshlrev_b64_e32 v[2:3], v2, v[52:53]
	s_delay_alu instid0(VALU_DEP_1)
	v_dual_sub_nc_u32 v1, 29, v1 :: v_dual_bitop2_b32 v52, 7, v2 bitop3:0x40
; %bb.190:                              ;   in Loop: Header=BB183_12 Depth=1
	s_or_b32 exec_lo, exec_lo, s45
	v_dual_lshlrev_b32 v0, 16, v0 :: v_dual_mov_b32 v102, v53
	s_delay_alu instid0(VALU_DEP_2) | instskip(NEXT) | instid1(VALU_DEP_3)
	v_lshlrev_b32_e32 v2, 20, v52
	v_lshl_add_u32 v1, v1, 23, 0x3c000000
	s_delay_alu instid0(VALU_DEP_3) | instskip(NEXT) | instid1(VALU_DEP_1)
	v_and_b32_e32 v0, 0x80000000, v0
	v_or3_b32 v103, v2, v0, v1
.LBB183_191:                            ;   in Loop: Header=BB183_12 Depth=1
	s_or_b32 exec_lo, exec_lo, s44
.LBB183_192:                            ;   in Loop: Header=BB183_12 Depth=1
	s_delay_alu instid0(SALU_CYCLE_1)
	s_or_b32 exec_lo, exec_lo, s43
.LBB183_193:                            ;   in Loop: Header=BB183_12 Depth=1
	s_delay_alu instid0(SALU_CYCLE_1)
	s_or_b32 exec_lo, exec_lo, s42
	global_load_u16 v0, v[68:69], off offset:524
	v_mov_b64_e32 v[106:107], 0
	v_mov_b64_e32 v[108:109], 0
	s_mov_b32 s42, exec_lo
	s_wait_loadcnt 0x0
	v_and_b32_e32 v1, 0xff, v0
	v_and_b32_e32 v0, 0xffff, v0
	s_wait_xcnt 0x0
	s_delay_alu instid0(VALU_DEP_2)
	v_cmpx_ne_u16_e32 0, v1
	s_cbranch_execz .LBB183_201
; %bb.194:                              ;   in Loop: Header=BB183_12 Depth=1
	v_mov_b64_e32 v[108:109], 0x80000000
	v_and_b32_e32 v1, 0xff, v0
	s_mov_b32 s43, exec_lo
	s_delay_alu instid0(VALU_DEP_1)
	v_cmpx_ne_u16_e32 0x80, v1
	s_cbranch_execz .LBB183_200
; %bb.195:                              ;   in Loop: Header=BB183_12 Depth=1
	v_mov_b64_e32 v[108:109], 0x7f800001
	v_and_b32_e32 v2, 0x7f, v0
	s_mov_b32 s44, exec_lo
	s_delay_alu instid0(VALU_DEP_1)
	v_cmpx_ne_u32_e32 0x7f, v2
	s_cbranch_execz .LBB183_199
; %bb.196:                              ;   in Loop: Header=BB183_12 Depth=1
	v_dual_lshrrev_b32 v1, 3, v2 :: v_dual_bitop2_b32 v52, 7, v0 bitop3:0x40
	s_mov_b32 s45, exec_lo
	v_cmpx_gt_u32_e32 8, v2
; %bb.197:                              ;   in Loop: Header=BB183_12 Depth=1
	s_delay_alu instid0(VALU_DEP_2) | instskip(NEXT) | instid1(VALU_DEP_1)
	v_clz_i32_u32_e32 v1, v52
	v_min_u32_e32 v1, 32, v1
	s_delay_alu instid0(VALU_DEP_1) | instskip(NEXT) | instid1(VALU_DEP_1)
	v_subrev_nc_u32_e32 v2, 28, v1
	v_lshlrev_b64_e32 v[2:3], v2, v[52:53]
	s_delay_alu instid0(VALU_DEP_1)
	v_dual_sub_nc_u32 v1, 29, v1 :: v_dual_bitop2_b32 v52, 7, v2 bitop3:0x40
; %bb.198:                              ;   in Loop: Header=BB183_12 Depth=1
	s_or_b32 exec_lo, exec_lo, s45
	v_lshlrev_b32_e32 v2, 24, v0
	s_delay_alu instid0(VALU_DEP_2) | instskip(NEXT) | instid1(VALU_DEP_3)
	v_lshlrev_b32_e32 v3, 20, v52
	v_lshl_add_u32 v1, v1, 23, 0x3c000000
	s_delay_alu instid0(VALU_DEP_3) | instskip(NEXT) | instid1(VALU_DEP_1)
	v_and_b32_e32 v2, 0x80000000, v2
	v_or3_b32 v52, v3, v2, v1
	s_delay_alu instid0(VALU_DEP_1)
	v_mov_b64_e32 v[108:109], v[52:53]
.LBB183_199:                            ;   in Loop: Header=BB183_12 Depth=1
	s_or_b32 exec_lo, exec_lo, s44
.LBB183_200:                            ;   in Loop: Header=BB183_12 Depth=1
	s_delay_alu instid0(SALU_CYCLE_1)
	s_or_b32 exec_lo, exec_lo, s43
.LBB183_201:                            ;   in Loop: Header=BB183_12 Depth=1
	s_delay_alu instid0(SALU_CYCLE_1) | instskip(SKIP_2) | instid1(VALU_DEP_1)
	s_or_b32 exec_lo, exec_lo, s42
	v_lshrrev_b16 v1, 8, v0
	s_mov_b32 s42, exec_lo
	v_cmpx_ne_u16_e32 0, v1
	s_cbranch_execz .LBB183_209
; %bb.202:                              ;   in Loop: Header=BB183_12 Depth=1
	v_mov_b64_e32 v[106:107], 0x8000000000000000
	s_mov_b32 s43, exec_lo
	v_cmpx_ne_u16_e32 0x80, v1
	s_cbranch_execz .LBB183_208
; %bb.203:                              ;   in Loop: Header=BB183_12 Depth=1
	v_and_b32_e32 v1, 0xffff, v1
	v_mov_b64_e32 v[106:107], 0x7f80000100000000
	s_mov_b32 s44, exec_lo
	s_delay_alu instid0(VALU_DEP_2) | instskip(NEXT) | instid1(VALU_DEP_1)
	v_and_b32_e32 v2, 0x7f, v1
	v_cmpx_ne_u32_e32 0x7f, v2
	s_cbranch_execz .LBB183_207
; %bb.204:                              ;   in Loop: Header=BB183_12 Depth=1
	v_dual_lshrrev_b32 v1, 3, v2 :: v_dual_bitop2_b32 v52, 7, v1 bitop3:0x40
	s_mov_b32 s45, exec_lo
	v_cmpx_gt_u32_e32 8, v2
; %bb.205:                              ;   in Loop: Header=BB183_12 Depth=1
	s_delay_alu instid0(VALU_DEP_2) | instskip(NEXT) | instid1(VALU_DEP_1)
	v_clz_i32_u32_e32 v1, v52
	v_min_u32_e32 v1, 32, v1
	s_delay_alu instid0(VALU_DEP_1) | instskip(NEXT) | instid1(VALU_DEP_1)
	v_subrev_nc_u32_e32 v2, 28, v1
	v_lshlrev_b64_e32 v[2:3], v2, v[52:53]
	s_delay_alu instid0(VALU_DEP_1)
	v_dual_sub_nc_u32 v1, 29, v1 :: v_dual_bitop2_b32 v52, 7, v2 bitop3:0x40
; %bb.206:                              ;   in Loop: Header=BB183_12 Depth=1
	s_or_b32 exec_lo, exec_lo, s45
	v_dual_lshlrev_b32 v0, 16, v0 :: v_dual_mov_b32 v106, v53
	s_delay_alu instid0(VALU_DEP_2) | instskip(NEXT) | instid1(VALU_DEP_3)
	v_lshlrev_b32_e32 v2, 20, v52
	v_lshl_add_u32 v1, v1, 23, 0x3c000000
	s_delay_alu instid0(VALU_DEP_3) | instskip(NEXT) | instid1(VALU_DEP_1)
	v_and_b32_e32 v0, 0x80000000, v0
	v_or3_b32 v107, v2, v0, v1
.LBB183_207:                            ;   in Loop: Header=BB183_12 Depth=1
	s_or_b32 exec_lo, exec_lo, s44
.LBB183_208:                            ;   in Loop: Header=BB183_12 Depth=1
	s_delay_alu instid0(SALU_CYCLE_1)
	s_or_b32 exec_lo, exec_lo, s43
.LBB183_209:                            ;   in Loop: Header=BB183_12 Depth=1
	s_delay_alu instid0(SALU_CYCLE_1)
	s_or_b32 exec_lo, exec_lo, s42
	global_load_u16 v0, v[68:69], off offset:768
	v_mov_b64_e32 v[110:111], 0
	v_mov_b64_e32 v[112:113], 0
	s_mov_b32 s42, exec_lo
	s_wait_loadcnt 0x0
	v_and_b32_e32 v1, 0xff, v0
	v_and_b32_e32 v0, 0xffff, v0
	s_wait_xcnt 0x0
	s_delay_alu instid0(VALU_DEP_2)
	v_cmpx_ne_u16_e32 0, v1
	s_cbranch_execz .LBB183_217
; %bb.210:                              ;   in Loop: Header=BB183_12 Depth=1
	v_mov_b64_e32 v[112:113], 0x80000000
	v_and_b32_e32 v1, 0xff, v0
	s_mov_b32 s43, exec_lo
	s_delay_alu instid0(VALU_DEP_1)
	v_cmpx_ne_u16_e32 0x80, v1
	s_cbranch_execz .LBB183_216
; %bb.211:                              ;   in Loop: Header=BB183_12 Depth=1
	v_mov_b64_e32 v[112:113], 0x7f800001
	v_and_b32_e32 v2, 0x7f, v0
	s_mov_b32 s44, exec_lo
	s_delay_alu instid0(VALU_DEP_1)
	v_cmpx_ne_u32_e32 0x7f, v2
	s_cbranch_execz .LBB183_215
; %bb.212:                              ;   in Loop: Header=BB183_12 Depth=1
	v_dual_lshrrev_b32 v1, 3, v2 :: v_dual_bitop2_b32 v52, 7, v0 bitop3:0x40
	s_mov_b32 s45, exec_lo
	v_cmpx_gt_u32_e32 8, v2
; %bb.213:                              ;   in Loop: Header=BB183_12 Depth=1
	s_delay_alu instid0(VALU_DEP_2) | instskip(NEXT) | instid1(VALU_DEP_1)
	v_clz_i32_u32_e32 v1, v52
	v_min_u32_e32 v1, 32, v1
	s_delay_alu instid0(VALU_DEP_1) | instskip(NEXT) | instid1(VALU_DEP_1)
	v_subrev_nc_u32_e32 v2, 28, v1
	v_lshlrev_b64_e32 v[2:3], v2, v[52:53]
	s_delay_alu instid0(VALU_DEP_1)
	v_dual_sub_nc_u32 v1, 29, v1 :: v_dual_bitop2_b32 v52, 7, v2 bitop3:0x40
; %bb.214:                              ;   in Loop: Header=BB183_12 Depth=1
	s_or_b32 exec_lo, exec_lo, s45
	v_lshlrev_b32_e32 v2, 24, v0
	s_delay_alu instid0(VALU_DEP_2) | instskip(NEXT) | instid1(VALU_DEP_3)
	v_lshlrev_b32_e32 v3, 20, v52
	v_lshl_add_u32 v1, v1, 23, 0x3c000000
	s_delay_alu instid0(VALU_DEP_3) | instskip(NEXT) | instid1(VALU_DEP_1)
	v_and_b32_e32 v2, 0x80000000, v2
	v_or3_b32 v52, v3, v2, v1
	s_delay_alu instid0(VALU_DEP_1)
	v_mov_b64_e32 v[112:113], v[52:53]
.LBB183_215:                            ;   in Loop: Header=BB183_12 Depth=1
	s_or_b32 exec_lo, exec_lo, s44
.LBB183_216:                            ;   in Loop: Header=BB183_12 Depth=1
	s_delay_alu instid0(SALU_CYCLE_1)
	s_or_b32 exec_lo, exec_lo, s43
.LBB183_217:                            ;   in Loop: Header=BB183_12 Depth=1
	s_delay_alu instid0(SALU_CYCLE_1) | instskip(SKIP_2) | instid1(VALU_DEP_1)
	s_or_b32 exec_lo, exec_lo, s42
	v_lshrrev_b16 v1, 8, v0
	s_mov_b32 s42, exec_lo
	v_cmpx_ne_u16_e32 0, v1
	s_cbranch_execz .LBB183_225
; %bb.218:                              ;   in Loop: Header=BB183_12 Depth=1
	v_mov_b64_e32 v[110:111], 0x8000000000000000
	s_mov_b32 s43, exec_lo
	v_cmpx_ne_u16_e32 0x80, v1
	s_cbranch_execz .LBB183_224
; %bb.219:                              ;   in Loop: Header=BB183_12 Depth=1
	v_and_b32_e32 v1, 0xffff, v1
	v_mov_b64_e32 v[110:111], 0x7f80000100000000
	s_mov_b32 s44, exec_lo
	s_delay_alu instid0(VALU_DEP_2) | instskip(NEXT) | instid1(VALU_DEP_1)
	v_and_b32_e32 v2, 0x7f, v1
	v_cmpx_ne_u32_e32 0x7f, v2
	s_cbranch_execz .LBB183_223
; %bb.220:                              ;   in Loop: Header=BB183_12 Depth=1
	v_dual_lshrrev_b32 v1, 3, v2 :: v_dual_bitop2_b32 v52, 7, v1 bitop3:0x40
	s_mov_b32 s45, exec_lo
	v_cmpx_gt_u32_e32 8, v2
; %bb.221:                              ;   in Loop: Header=BB183_12 Depth=1
	s_delay_alu instid0(VALU_DEP_2) | instskip(NEXT) | instid1(VALU_DEP_1)
	v_clz_i32_u32_e32 v1, v52
	v_min_u32_e32 v1, 32, v1
	s_delay_alu instid0(VALU_DEP_1) | instskip(NEXT) | instid1(VALU_DEP_1)
	v_subrev_nc_u32_e32 v2, 28, v1
	v_lshlrev_b64_e32 v[2:3], v2, v[52:53]
	s_delay_alu instid0(VALU_DEP_1)
	v_dual_sub_nc_u32 v1, 29, v1 :: v_dual_bitop2_b32 v52, 7, v2 bitop3:0x40
; %bb.222:                              ;   in Loop: Header=BB183_12 Depth=1
	s_or_b32 exec_lo, exec_lo, s45
	v_dual_lshlrev_b32 v0, 16, v0 :: v_dual_mov_b32 v110, v53
	s_delay_alu instid0(VALU_DEP_2) | instskip(NEXT) | instid1(VALU_DEP_3)
	v_lshlrev_b32_e32 v2, 20, v52
	v_lshl_add_u32 v1, v1, 23, 0x3c000000
	s_delay_alu instid0(VALU_DEP_3) | instskip(NEXT) | instid1(VALU_DEP_1)
	v_and_b32_e32 v0, 0x80000000, v0
	v_or3_b32 v111, v2, v0, v1
.LBB183_223:                            ;   in Loop: Header=BB183_12 Depth=1
	s_or_b32 exec_lo, exec_lo, s44
.LBB183_224:                            ;   in Loop: Header=BB183_12 Depth=1
	s_delay_alu instid0(SALU_CYCLE_1)
	s_or_b32 exec_lo, exec_lo, s43
.LBB183_225:                            ;   in Loop: Header=BB183_12 Depth=1
	s_delay_alu instid0(SALU_CYCLE_1)
	s_or_b32 exec_lo, exec_lo, s42
	global_load_u16 v0, v[68:69], off offset:772
	v_mov_b64_e32 v[114:115], 0
	v_mov_b64_e32 v[116:117], 0
	s_mov_b32 s42, exec_lo
	s_wait_loadcnt 0x0
	v_and_b32_e32 v1, 0xff, v0
	v_and_b32_e32 v0, 0xffff, v0
	s_wait_xcnt 0x0
	s_delay_alu instid0(VALU_DEP_2)
	v_cmpx_ne_u16_e32 0, v1
	s_cbranch_execz .LBB183_233
; %bb.226:                              ;   in Loop: Header=BB183_12 Depth=1
	v_mov_b64_e32 v[116:117], 0x80000000
	v_and_b32_e32 v1, 0xff, v0
	s_mov_b32 s43, exec_lo
	s_delay_alu instid0(VALU_DEP_1)
	v_cmpx_ne_u16_e32 0x80, v1
	s_cbranch_execz .LBB183_232
; %bb.227:                              ;   in Loop: Header=BB183_12 Depth=1
	v_mov_b64_e32 v[116:117], 0x7f800001
	v_and_b32_e32 v2, 0x7f, v0
	s_mov_b32 s44, exec_lo
	s_delay_alu instid0(VALU_DEP_1)
	v_cmpx_ne_u32_e32 0x7f, v2
	s_cbranch_execz .LBB183_231
; %bb.228:                              ;   in Loop: Header=BB183_12 Depth=1
	v_dual_lshrrev_b32 v1, 3, v2 :: v_dual_bitop2_b32 v52, 7, v0 bitop3:0x40
	s_mov_b32 s45, exec_lo
	v_cmpx_gt_u32_e32 8, v2
; %bb.229:                              ;   in Loop: Header=BB183_12 Depth=1
	s_delay_alu instid0(VALU_DEP_2) | instskip(NEXT) | instid1(VALU_DEP_1)
	v_clz_i32_u32_e32 v1, v52
	v_min_u32_e32 v1, 32, v1
	s_delay_alu instid0(VALU_DEP_1) | instskip(NEXT) | instid1(VALU_DEP_1)
	v_subrev_nc_u32_e32 v2, 28, v1
	v_lshlrev_b64_e32 v[2:3], v2, v[52:53]
	s_delay_alu instid0(VALU_DEP_1)
	v_dual_sub_nc_u32 v1, 29, v1 :: v_dual_bitop2_b32 v52, 7, v2 bitop3:0x40
; %bb.230:                              ;   in Loop: Header=BB183_12 Depth=1
	s_or_b32 exec_lo, exec_lo, s45
	v_lshlrev_b32_e32 v2, 24, v0
	s_delay_alu instid0(VALU_DEP_2) | instskip(NEXT) | instid1(VALU_DEP_3)
	v_lshlrev_b32_e32 v3, 20, v52
	v_lshl_add_u32 v1, v1, 23, 0x3c000000
	s_delay_alu instid0(VALU_DEP_3) | instskip(NEXT) | instid1(VALU_DEP_1)
	v_and_b32_e32 v2, 0x80000000, v2
	v_or3_b32 v52, v3, v2, v1
	s_delay_alu instid0(VALU_DEP_1)
	v_mov_b64_e32 v[116:117], v[52:53]
.LBB183_231:                            ;   in Loop: Header=BB183_12 Depth=1
	s_or_b32 exec_lo, exec_lo, s44
.LBB183_232:                            ;   in Loop: Header=BB183_12 Depth=1
	s_delay_alu instid0(SALU_CYCLE_1)
	s_or_b32 exec_lo, exec_lo, s43
.LBB183_233:                            ;   in Loop: Header=BB183_12 Depth=1
	s_delay_alu instid0(SALU_CYCLE_1) | instskip(SKIP_2) | instid1(VALU_DEP_1)
	s_or_b32 exec_lo, exec_lo, s42
	v_lshrrev_b16 v1, 8, v0
	s_mov_b32 s42, exec_lo
	v_cmpx_ne_u16_e32 0, v1
	s_cbranch_execz .LBB183_241
; %bb.234:                              ;   in Loop: Header=BB183_12 Depth=1
	v_mov_b64_e32 v[114:115], 0x8000000000000000
	s_mov_b32 s43, exec_lo
	v_cmpx_ne_u16_e32 0x80, v1
	s_cbranch_execz .LBB183_240
; %bb.235:                              ;   in Loop: Header=BB183_12 Depth=1
	v_and_b32_e32 v1, 0xffff, v1
	v_mov_b64_e32 v[114:115], 0x7f80000100000000
	s_mov_b32 s44, exec_lo
	s_delay_alu instid0(VALU_DEP_2) | instskip(NEXT) | instid1(VALU_DEP_1)
	v_and_b32_e32 v2, 0x7f, v1
	v_cmpx_ne_u32_e32 0x7f, v2
	s_cbranch_execz .LBB183_239
; %bb.236:                              ;   in Loop: Header=BB183_12 Depth=1
	v_dual_lshrrev_b32 v1, 3, v2 :: v_dual_bitop2_b32 v52, 7, v1 bitop3:0x40
	s_mov_b32 s45, exec_lo
	v_cmpx_gt_u32_e32 8, v2
; %bb.237:                              ;   in Loop: Header=BB183_12 Depth=1
	s_delay_alu instid0(VALU_DEP_2) | instskip(NEXT) | instid1(VALU_DEP_1)
	v_clz_i32_u32_e32 v1, v52
	v_min_u32_e32 v1, 32, v1
	s_delay_alu instid0(VALU_DEP_1) | instskip(NEXT) | instid1(VALU_DEP_1)
	v_subrev_nc_u32_e32 v2, 28, v1
	v_lshlrev_b64_e32 v[2:3], v2, v[52:53]
	s_delay_alu instid0(VALU_DEP_1)
	v_dual_sub_nc_u32 v1, 29, v1 :: v_dual_bitop2_b32 v52, 7, v2 bitop3:0x40
; %bb.238:                              ;   in Loop: Header=BB183_12 Depth=1
	s_or_b32 exec_lo, exec_lo, s45
	v_dual_lshlrev_b32 v0, 16, v0 :: v_dual_mov_b32 v114, v53
	s_delay_alu instid0(VALU_DEP_2) | instskip(NEXT) | instid1(VALU_DEP_3)
	v_lshlrev_b32_e32 v2, 20, v52
	v_lshl_add_u32 v1, v1, 23, 0x3c000000
	s_delay_alu instid0(VALU_DEP_3) | instskip(NEXT) | instid1(VALU_DEP_1)
	v_and_b32_e32 v0, 0x80000000, v0
	v_or3_b32 v115, v2, v0, v1
.LBB183_239:                            ;   in Loop: Header=BB183_12 Depth=1
	s_or_b32 exec_lo, exec_lo, s44
.LBB183_240:                            ;   in Loop: Header=BB183_12 Depth=1
	s_delay_alu instid0(SALU_CYCLE_1)
	s_or_b32 exec_lo, exec_lo, s43
.LBB183_241:                            ;   in Loop: Header=BB183_12 Depth=1
	s_delay_alu instid0(SALU_CYCLE_1)
	s_or_b32 exec_lo, exec_lo, s42
	global_load_u16 v1, v[68:69], off offset:776
	v_mov_b64_e32 v[118:119], 0
	v_mov_b64_e32 v[120:121], 0
	s_mov_b32 s42, exec_lo
	s_wait_loadcnt 0x0
	v_and_b32_e32 v0, 0xffff, v1
	v_and_b32_e32 v1, 0xff, v1
	s_wait_xcnt 0x0
	s_delay_alu instid0(VALU_DEP_1)
	v_cmpx_ne_u16_e32 0, v1
	s_cbranch_execz .LBB183_249
; %bb.242:                              ;   in Loop: Header=BB183_12 Depth=1
	v_mov_b64_e32 v[120:121], 0x80000000
	v_and_b32_e32 v1, 0xff, v0
	s_mov_b32 s43, exec_lo
	s_delay_alu instid0(VALU_DEP_1)
	v_cmpx_ne_u16_e32 0x80, v1
	s_cbranch_execz .LBB183_248
; %bb.243:                              ;   in Loop: Header=BB183_12 Depth=1
	v_mov_b64_e32 v[120:121], 0x7f800001
	v_and_b32_e32 v2, 0x7f, v0
	s_mov_b32 s44, exec_lo
	s_delay_alu instid0(VALU_DEP_1)
	v_cmpx_ne_u32_e32 0x7f, v2
	s_cbranch_execz .LBB183_247
; %bb.244:                              ;   in Loop: Header=BB183_12 Depth=1
	v_dual_lshrrev_b32 v1, 3, v2 :: v_dual_bitop2_b32 v52, 7, v0 bitop3:0x40
	s_mov_b32 s45, exec_lo
	v_cmpx_gt_u32_e32 8, v2
; %bb.245:                              ;   in Loop: Header=BB183_12 Depth=1
	s_delay_alu instid0(VALU_DEP_2) | instskip(NEXT) | instid1(VALU_DEP_1)
	v_clz_i32_u32_e32 v1, v52
	v_min_u32_e32 v1, 32, v1
	s_delay_alu instid0(VALU_DEP_1) | instskip(NEXT) | instid1(VALU_DEP_1)
	v_subrev_nc_u32_e32 v2, 28, v1
	v_lshlrev_b64_e32 v[2:3], v2, v[52:53]
	s_delay_alu instid0(VALU_DEP_1)
	v_dual_sub_nc_u32 v1, 29, v1 :: v_dual_bitop2_b32 v52, 7, v2 bitop3:0x40
; %bb.246:                              ;   in Loop: Header=BB183_12 Depth=1
	s_or_b32 exec_lo, exec_lo, s45
	v_lshlrev_b32_e32 v2, 24, v0
	s_delay_alu instid0(VALU_DEP_2) | instskip(NEXT) | instid1(VALU_DEP_3)
	v_lshlrev_b32_e32 v3, 20, v52
	v_lshl_add_u32 v1, v1, 23, 0x3c000000
	s_delay_alu instid0(VALU_DEP_3) | instskip(NEXT) | instid1(VALU_DEP_1)
	v_and_b32_e32 v2, 0x80000000, v2
	v_or3_b32 v52, v3, v2, v1
	s_delay_alu instid0(VALU_DEP_1)
	v_mov_b64_e32 v[120:121], v[52:53]
.LBB183_247:                            ;   in Loop: Header=BB183_12 Depth=1
	s_or_b32 exec_lo, exec_lo, s44
.LBB183_248:                            ;   in Loop: Header=BB183_12 Depth=1
	s_delay_alu instid0(SALU_CYCLE_1)
	s_or_b32 exec_lo, exec_lo, s43
.LBB183_249:                            ;   in Loop: Header=BB183_12 Depth=1
	s_delay_alu instid0(SALU_CYCLE_1) | instskip(SKIP_2) | instid1(VALU_DEP_1)
	s_or_b32 exec_lo, exec_lo, s42
	v_lshrrev_b16 v1, 8, v0
	s_mov_b32 s42, exec_lo
	v_cmpx_ne_u16_e32 0, v1
	s_cbranch_execz .LBB183_257
; %bb.250:                              ;   in Loop: Header=BB183_12 Depth=1
	v_mov_b64_e32 v[118:119], 0x8000000000000000
	s_mov_b32 s43, exec_lo
	v_cmpx_ne_u16_e32 0x80, v1
	s_cbranch_execz .LBB183_256
; %bb.251:                              ;   in Loop: Header=BB183_12 Depth=1
	v_and_b32_e32 v1, 0xffff, v1
	v_mov_b64_e32 v[118:119], 0x7f80000100000000
	s_mov_b32 s44, exec_lo
	s_delay_alu instid0(VALU_DEP_2) | instskip(NEXT) | instid1(VALU_DEP_1)
	v_and_b32_e32 v2, 0x7f, v1
	v_cmpx_ne_u32_e32 0x7f, v2
	s_cbranch_execz .LBB183_255
; %bb.252:                              ;   in Loop: Header=BB183_12 Depth=1
	v_dual_lshrrev_b32 v1, 3, v2 :: v_dual_bitop2_b32 v52, 7, v1 bitop3:0x40
	s_mov_b32 s45, exec_lo
	v_cmpx_gt_u32_e32 8, v2
; %bb.253:                              ;   in Loop: Header=BB183_12 Depth=1
	s_delay_alu instid0(VALU_DEP_2) | instskip(NEXT) | instid1(VALU_DEP_1)
	v_clz_i32_u32_e32 v1, v52
	v_min_u32_e32 v1, 32, v1
	s_delay_alu instid0(VALU_DEP_1) | instskip(NEXT) | instid1(VALU_DEP_1)
	v_subrev_nc_u32_e32 v2, 28, v1
	v_lshlrev_b64_e32 v[2:3], v2, v[52:53]
	s_delay_alu instid0(VALU_DEP_1)
	v_dual_sub_nc_u32 v1, 29, v1 :: v_dual_bitop2_b32 v52, 7, v2 bitop3:0x40
; %bb.254:                              ;   in Loop: Header=BB183_12 Depth=1
	s_or_b32 exec_lo, exec_lo, s45
	v_dual_lshlrev_b32 v0, 16, v0 :: v_dual_mov_b32 v118, v53
	s_delay_alu instid0(VALU_DEP_2) | instskip(NEXT) | instid1(VALU_DEP_3)
	v_lshlrev_b32_e32 v2, 20, v52
	v_lshl_add_u32 v1, v1, 23, 0x3c000000
	s_delay_alu instid0(VALU_DEP_3) | instskip(NEXT) | instid1(VALU_DEP_1)
	v_and_b32_e32 v0, 0x80000000, v0
	v_or3_b32 v119, v2, v0, v1
.LBB183_255:                            ;   in Loop: Header=BB183_12 Depth=1
	s_or_b32 exec_lo, exec_lo, s44
.LBB183_256:                            ;   in Loop: Header=BB183_12 Depth=1
	s_delay_alu instid0(SALU_CYCLE_1)
	s_or_b32 exec_lo, exec_lo, s43
.LBB183_257:                            ;   in Loop: Header=BB183_12 Depth=1
	s_delay_alu instid0(SALU_CYCLE_1)
	s_or_b32 exec_lo, exec_lo, s42
	global_load_u16 v1, v[68:69], off offset:780
	v_mov_b64_e32 v[122:123], 0
	v_mov_b64_e32 v[124:125], 0
	s_mov_b32 s42, exec_lo
	s_wait_loadcnt 0x0
	v_and_b32_e32 v0, 0xffff, v1
	v_and_b32_e32 v1, 0xff, v1
	s_wait_xcnt 0x0
	s_delay_alu instid0(VALU_DEP_1)
	v_cmpx_ne_u16_e32 0, v1
	s_cbranch_execz .LBB183_265
; %bb.258:                              ;   in Loop: Header=BB183_12 Depth=1
	v_mov_b64_e32 v[124:125], 0x80000000
	v_and_b32_e32 v1, 0xff, v0
	s_mov_b32 s43, exec_lo
	s_delay_alu instid0(VALU_DEP_1)
	v_cmpx_ne_u16_e32 0x80, v1
	s_cbranch_execz .LBB183_264
; %bb.259:                              ;   in Loop: Header=BB183_12 Depth=1
	v_mov_b64_e32 v[124:125], 0x7f800001
	v_and_b32_e32 v2, 0x7f, v0
	s_mov_b32 s44, exec_lo
	s_delay_alu instid0(VALU_DEP_1)
	v_cmpx_ne_u32_e32 0x7f, v2
	s_cbranch_execz .LBB183_263
; %bb.260:                              ;   in Loop: Header=BB183_12 Depth=1
	v_dual_lshrrev_b32 v1, 3, v2 :: v_dual_bitop2_b32 v52, 7, v0 bitop3:0x40
	s_mov_b32 s45, exec_lo
	v_cmpx_gt_u32_e32 8, v2
; %bb.261:                              ;   in Loop: Header=BB183_12 Depth=1
	s_delay_alu instid0(VALU_DEP_2) | instskip(NEXT) | instid1(VALU_DEP_1)
	v_clz_i32_u32_e32 v1, v52
	v_min_u32_e32 v1, 32, v1
	s_delay_alu instid0(VALU_DEP_1) | instskip(NEXT) | instid1(VALU_DEP_1)
	v_subrev_nc_u32_e32 v2, 28, v1
	v_lshlrev_b64_e32 v[2:3], v2, v[52:53]
	s_delay_alu instid0(VALU_DEP_1)
	v_dual_sub_nc_u32 v1, 29, v1 :: v_dual_bitop2_b32 v52, 7, v2 bitop3:0x40
; %bb.262:                              ;   in Loop: Header=BB183_12 Depth=1
	s_or_b32 exec_lo, exec_lo, s45
	v_lshlrev_b32_e32 v2, 24, v0
	s_delay_alu instid0(VALU_DEP_2) | instskip(NEXT) | instid1(VALU_DEP_3)
	v_lshlrev_b32_e32 v3, 20, v52
	v_lshl_add_u32 v1, v1, 23, 0x3c000000
	s_delay_alu instid0(VALU_DEP_3) | instskip(NEXT) | instid1(VALU_DEP_1)
	v_and_b32_e32 v2, 0x80000000, v2
	v_or3_b32 v52, v3, v2, v1
	s_delay_alu instid0(VALU_DEP_1)
	v_mov_b64_e32 v[124:125], v[52:53]
.LBB183_263:                            ;   in Loop: Header=BB183_12 Depth=1
	s_or_b32 exec_lo, exec_lo, s44
.LBB183_264:                            ;   in Loop: Header=BB183_12 Depth=1
	s_delay_alu instid0(SALU_CYCLE_1)
	s_or_b32 exec_lo, exec_lo, s43
.LBB183_265:                            ;   in Loop: Header=BB183_12 Depth=1
	s_delay_alu instid0(SALU_CYCLE_1) | instskip(SKIP_2) | instid1(VALU_DEP_1)
	s_or_b32 exec_lo, exec_lo, s42
	v_lshrrev_b16 v1, 8, v0
	s_mov_b32 s42, exec_lo
	v_cmpx_ne_u16_e32 0, v1
	s_cbranch_execz .LBB183_273
; %bb.266:                              ;   in Loop: Header=BB183_12 Depth=1
	v_mov_b64_e32 v[122:123], 0x8000000000000000
	s_mov_b32 s43, exec_lo
	v_cmpx_ne_u16_e32 0x80, v1
	s_cbranch_execz .LBB183_272
; %bb.267:                              ;   in Loop: Header=BB183_12 Depth=1
	v_and_b32_e32 v1, 0xffff, v1
	v_mov_b64_e32 v[122:123], 0x7f80000100000000
	s_mov_b32 s44, exec_lo
	s_delay_alu instid0(VALU_DEP_2) | instskip(NEXT) | instid1(VALU_DEP_1)
	v_and_b32_e32 v2, 0x7f, v1
	v_cmpx_ne_u32_e32 0x7f, v2
	s_cbranch_execz .LBB183_271
; %bb.268:                              ;   in Loop: Header=BB183_12 Depth=1
	v_dual_lshrrev_b32 v1, 3, v2 :: v_dual_bitop2_b32 v52, 7, v1 bitop3:0x40
	s_mov_b32 s45, exec_lo
	v_cmpx_gt_u32_e32 8, v2
; %bb.269:                              ;   in Loop: Header=BB183_12 Depth=1
	s_delay_alu instid0(VALU_DEP_2) | instskip(NEXT) | instid1(VALU_DEP_1)
	v_clz_i32_u32_e32 v1, v52
	v_min_u32_e32 v1, 32, v1
	s_delay_alu instid0(VALU_DEP_1) | instskip(NEXT) | instid1(VALU_DEP_1)
	v_subrev_nc_u32_e32 v2, 28, v1
	v_lshlrev_b64_e32 v[2:3], v2, v[52:53]
	s_delay_alu instid0(VALU_DEP_1)
	v_dual_sub_nc_u32 v1, 29, v1 :: v_dual_bitop2_b32 v52, 7, v2 bitop3:0x40
; %bb.270:                              ;   in Loop: Header=BB183_12 Depth=1
	s_or_b32 exec_lo, exec_lo, s45
	v_dual_lshlrev_b32 v0, 16, v0 :: v_dual_mov_b32 v122, v53
	s_delay_alu instid0(VALU_DEP_2) | instskip(NEXT) | instid1(VALU_DEP_3)
	v_lshlrev_b32_e32 v2, 20, v52
	v_lshl_add_u32 v1, v1, 23, 0x3c000000
	s_delay_alu instid0(VALU_DEP_3) | instskip(NEXT) | instid1(VALU_DEP_1)
	v_and_b32_e32 v0, 0x80000000, v0
	v_or3_b32 v123, v2, v0, v1
.LBB183_271:                            ;   in Loop: Header=BB183_12 Depth=1
	s_or_b32 exec_lo, exec_lo, s44
.LBB183_272:                            ;   in Loop: Header=BB183_12 Depth=1
	s_delay_alu instid0(SALU_CYCLE_1)
	s_or_b32 exec_lo, exec_lo, s43
.LBB183_273:                            ;   in Loop: Header=BB183_12 Depth=1
	s_delay_alu instid0(SALU_CYCLE_1)
	s_or_b32 exec_lo, exec_lo, s42
	global_load_u16 v1, v[68:69], off offset:1024
	v_mov_b64_e32 v[126:127], 0
	v_mov_b64_e32 v[56:57], 0
	s_mov_b32 s42, exec_lo
	s_wait_loadcnt 0x0
	v_and_b32_e32 v0, 0xffff, v1
	v_and_b32_e32 v1, 0xff, v1
	s_wait_xcnt 0x0
	s_delay_alu instid0(VALU_DEP_1)
	v_cmpx_ne_u16_e32 0, v1
	s_cbranch_execz .LBB183_281
; %bb.274:                              ;   in Loop: Header=BB183_12 Depth=1
	v_mov_b64_e32 v[56:57], 0x80000000
	v_and_b32_e32 v1, 0xff, v0
	s_mov_b32 s43, exec_lo
	s_delay_alu instid0(VALU_DEP_1)
	v_cmpx_ne_u16_e32 0x80, v1
	s_cbranch_execz .LBB183_280
; %bb.275:                              ;   in Loop: Header=BB183_12 Depth=1
	v_mov_b64_e32 v[56:57], 0x7f800001
	v_and_b32_e32 v2, 0x7f, v0
	s_mov_b32 s44, exec_lo
	s_delay_alu instid0(VALU_DEP_1)
	v_cmpx_ne_u32_e32 0x7f, v2
	s_cbranch_execz .LBB183_279
; %bb.276:                              ;   in Loop: Header=BB183_12 Depth=1
	v_dual_lshrrev_b32 v1, 3, v2 :: v_dual_bitop2_b32 v52, 7, v0 bitop3:0x40
	s_mov_b32 s45, exec_lo
	v_cmpx_gt_u32_e32 8, v2
; %bb.277:                              ;   in Loop: Header=BB183_12 Depth=1
	s_delay_alu instid0(VALU_DEP_2) | instskip(NEXT) | instid1(VALU_DEP_1)
	v_clz_i32_u32_e32 v1, v52
	v_min_u32_e32 v1, 32, v1
	s_delay_alu instid0(VALU_DEP_1) | instskip(NEXT) | instid1(VALU_DEP_1)
	v_subrev_nc_u32_e32 v2, 28, v1
	v_lshlrev_b64_e32 v[2:3], v2, v[52:53]
	s_delay_alu instid0(VALU_DEP_1)
	v_dual_sub_nc_u32 v1, 29, v1 :: v_dual_bitop2_b32 v52, 7, v2 bitop3:0x40
; %bb.278:                              ;   in Loop: Header=BB183_12 Depth=1
	s_or_b32 exec_lo, exec_lo, s45
	v_lshlrev_b32_e32 v2, 24, v0
	s_delay_alu instid0(VALU_DEP_2) | instskip(NEXT) | instid1(VALU_DEP_3)
	v_lshlrev_b32_e32 v3, 20, v52
	v_lshl_add_u32 v1, v1, 23, 0x3c000000
	s_delay_alu instid0(VALU_DEP_3) | instskip(NEXT) | instid1(VALU_DEP_1)
	v_and_b32_e32 v2, 0x80000000, v2
	v_or3_b32 v52, v3, v2, v1
	s_delay_alu instid0(VALU_DEP_1)
	v_mov_b64_e32 v[56:57], v[52:53]
.LBB183_279:                            ;   in Loop: Header=BB183_12 Depth=1
	s_or_b32 exec_lo, exec_lo, s44
.LBB183_280:                            ;   in Loop: Header=BB183_12 Depth=1
	s_delay_alu instid0(SALU_CYCLE_1)
	s_or_b32 exec_lo, exec_lo, s43
.LBB183_281:                            ;   in Loop: Header=BB183_12 Depth=1
	s_delay_alu instid0(SALU_CYCLE_1) | instskip(SKIP_2) | instid1(VALU_DEP_1)
	s_or_b32 exec_lo, exec_lo, s42
	v_lshrrev_b16 v1, 8, v0
	s_mov_b32 s42, exec_lo
	v_cmpx_ne_u16_e32 0, v1
	s_cbranch_execz .LBB183_289
; %bb.282:                              ;   in Loop: Header=BB183_12 Depth=1
	v_mov_b64_e32 v[126:127], 0x8000000000000000
	s_mov_b32 s43, exec_lo
	v_cmpx_ne_u16_e32 0x80, v1
	s_cbranch_execz .LBB183_288
; %bb.283:                              ;   in Loop: Header=BB183_12 Depth=1
	v_and_b32_e32 v1, 0xffff, v1
	v_mov_b64_e32 v[126:127], 0x7f80000100000000
	s_mov_b32 s44, exec_lo
	s_delay_alu instid0(VALU_DEP_2) | instskip(NEXT) | instid1(VALU_DEP_1)
	v_and_b32_e32 v2, 0x7f, v1
	v_cmpx_ne_u32_e32 0x7f, v2
	s_cbranch_execz .LBB183_287
; %bb.284:                              ;   in Loop: Header=BB183_12 Depth=1
	v_dual_lshrrev_b32 v1, 3, v2 :: v_dual_bitop2_b32 v52, 7, v1 bitop3:0x40
	s_mov_b32 s45, exec_lo
	v_cmpx_gt_u32_e32 8, v2
; %bb.285:                              ;   in Loop: Header=BB183_12 Depth=1
	s_delay_alu instid0(VALU_DEP_2) | instskip(NEXT) | instid1(VALU_DEP_1)
	v_clz_i32_u32_e32 v1, v52
	v_min_u32_e32 v1, 32, v1
	s_delay_alu instid0(VALU_DEP_1) | instskip(NEXT) | instid1(VALU_DEP_1)
	v_subrev_nc_u32_e32 v2, 28, v1
	v_lshlrev_b64_e32 v[2:3], v2, v[52:53]
	s_delay_alu instid0(VALU_DEP_1)
	v_dual_sub_nc_u32 v1, 29, v1 :: v_dual_bitop2_b32 v52, 7, v2 bitop3:0x40
; %bb.286:                              ;   in Loop: Header=BB183_12 Depth=1
	s_or_b32 exec_lo, exec_lo, s45
	v_dual_lshlrev_b32 v0, 16, v0 :: v_dual_mov_b32 v126, v53
	s_delay_alu instid0(VALU_DEP_2) | instskip(NEXT) | instid1(VALU_DEP_3)
	v_lshlrev_b32_e32 v2, 20, v52
	v_lshl_add_u32 v1, v1, 23, 0x3c000000
	s_delay_alu instid0(VALU_DEP_3) | instskip(NEXT) | instid1(VALU_DEP_1)
	v_and_b32_e32 v0, 0x80000000, v0
	v_or3_b32 v127, v2, v0, v1
.LBB183_287:                            ;   in Loop: Header=BB183_12 Depth=1
	s_or_b32 exec_lo, exec_lo, s44
.LBB183_288:                            ;   in Loop: Header=BB183_12 Depth=1
	s_delay_alu instid0(SALU_CYCLE_1)
	s_or_b32 exec_lo, exec_lo, s43
.LBB183_289:                            ;   in Loop: Header=BB183_12 Depth=1
	s_delay_alu instid0(SALU_CYCLE_1)
	s_or_b32 exec_lo, exec_lo, s42
	global_load_u16 v0, v[68:69], off offset:1028
	v_mov_b64_e32 v[62:63], 0
	s_wait_loadcnt 0x0
	v_and_b32_e32 v2, 0xffff, v0
	v_and_b32_e32 v0, 0xff, v0
	s_delay_alu instid0(VALU_DEP_1)
	v_cmp_ne_u16_e64 s4, 0, v0
	v_mov_b64_e32 v[0:1], 0
	s_wait_xcnt 0x0
	s_and_saveexec_b32 s42, s4
	s_cbranch_execz .LBB183_297
; %bb.290:                              ;   in Loop: Header=BB183_12 Depth=1
	v_and_b32_e32 v0, 0xff, v2
	s_delay_alu instid0(VALU_DEP_1)
	v_cmp_ne_u16_e64 s4, 0x80, v0
	v_mov_b64_e32 v[0:1], 0x80000000
	s_and_saveexec_b32 s43, s4
	s_cbranch_execz .LBB183_296
; %bb.291:                              ;   in Loop: Header=BB183_12 Depth=1
	v_mov_b64_e32 v[0:1], 0x7f800001
	v_and_b32_e32 v3, 0x7f, v2
	s_mov_b32 s44, exec_lo
	s_delay_alu instid0(VALU_DEP_1)
	v_cmpx_ne_u32_e32 0x7f, v3
	s_cbranch_execz .LBB183_295
; %bb.292:                              ;   in Loop: Header=BB183_12 Depth=1
	v_dual_lshrrev_b32 v0, 3, v3 :: v_dual_bitop2_b32 v52, 7, v2 bitop3:0x40
	s_mov_b32 s45, exec_lo
	v_cmpx_gt_u32_e32 8, v3
; %bb.293:                              ;   in Loop: Header=BB183_12 Depth=1
	s_delay_alu instid0(VALU_DEP_2) | instskip(NEXT) | instid1(VALU_DEP_1)
	v_clz_i32_u32_e32 v0, v52
	v_min_u32_e32 v0, 32, v0
	s_delay_alu instid0(VALU_DEP_1) | instskip(SKIP_1) | instid1(VALU_DEP_2)
	v_subrev_nc_u32_e32 v1, 28, v0
	v_sub_nc_u32_e32 v0, 29, v0
	v_lshlrev_b64_e32 v[4:5], v1, v[52:53]
	s_delay_alu instid0(VALU_DEP_1)
	v_and_b32_e32 v52, 7, v4
; %bb.294:                              ;   in Loop: Header=BB183_12 Depth=1
	s_or_b32 exec_lo, exec_lo, s45
	s_delay_alu instid0(VALU_DEP_1) | instskip(SKIP_1) | instid1(VALU_DEP_2)
	v_dual_lshlrev_b32 v1, 24, v2 :: v_dual_lshlrev_b32 v3, 20, v52
	v_lshl_add_u32 v0, v0, 23, 0x3c000000
	v_and_b32_e32 v1, 0x80000000, v1
	s_delay_alu instid0(VALU_DEP_1) | instskip(NEXT) | instid1(VALU_DEP_1)
	v_or3_b32 v52, v3, v1, v0
	v_mov_b64_e32 v[0:1], v[52:53]
.LBB183_295:                            ;   in Loop: Header=BB183_12 Depth=1
	s_or_b32 exec_lo, exec_lo, s44
.LBB183_296:                            ;   in Loop: Header=BB183_12 Depth=1
	s_delay_alu instid0(SALU_CYCLE_1)
	s_or_b32 exec_lo, exec_lo, s43
.LBB183_297:                            ;   in Loop: Header=BB183_12 Depth=1
	s_delay_alu instid0(SALU_CYCLE_1) | instskip(SKIP_2) | instid1(VALU_DEP_1)
	s_or_b32 exec_lo, exec_lo, s42
	v_lshrrev_b16 v3, 8, v2
	s_mov_b32 s42, exec_lo
	v_cmpx_ne_u16_e32 0, v3
	s_cbranch_execz .LBB183_305
; %bb.298:                              ;   in Loop: Header=BB183_12 Depth=1
	v_mov_b64_e32 v[62:63], 0x8000000000000000
	s_mov_b32 s43, exec_lo
	v_cmpx_ne_u16_e32 0x80, v3
	s_cbranch_execz .LBB183_304
; %bb.299:                              ;   in Loop: Header=BB183_12 Depth=1
	v_and_b32_e32 v3, 0xffff, v3
	v_mov_b64_e32 v[62:63], 0x7f80000100000000
	s_mov_b32 s44, exec_lo
	s_delay_alu instid0(VALU_DEP_2) | instskip(NEXT) | instid1(VALU_DEP_1)
	v_and_b32_e32 v4, 0x7f, v3
	v_cmpx_ne_u32_e32 0x7f, v4
	s_cbranch_execz .LBB183_303
; %bb.300:                              ;   in Loop: Header=BB183_12 Depth=1
	v_dual_lshrrev_b32 v3, 3, v4 :: v_dual_bitop2_b32 v52, 7, v3 bitop3:0x40
	s_mov_b32 s45, exec_lo
	v_cmpx_gt_u32_e32 8, v4
; %bb.301:                              ;   in Loop: Header=BB183_12 Depth=1
	s_delay_alu instid0(VALU_DEP_2) | instskip(NEXT) | instid1(VALU_DEP_1)
	v_clz_i32_u32_e32 v3, v52
	v_min_u32_e32 v3, 32, v3
	s_delay_alu instid0(VALU_DEP_1) | instskip(NEXT) | instid1(VALU_DEP_1)
	v_subrev_nc_u32_e32 v4, 28, v3
	v_lshlrev_b64_e32 v[4:5], v4, v[52:53]
	s_delay_alu instid0(VALU_DEP_1)
	v_dual_sub_nc_u32 v3, 29, v3 :: v_dual_bitop2_b32 v52, 7, v4 bitop3:0x40
; %bb.302:                              ;   in Loop: Header=BB183_12 Depth=1
	s_or_b32 exec_lo, exec_lo, s45
	s_delay_alu instid0(VALU_DEP_1) | instskip(NEXT) | instid1(VALU_DEP_2)
	v_dual_lshlrev_b32 v2, 16, v2 :: v_dual_lshlrev_b32 v4, 20, v52
	v_lshl_add_u32 v3, v3, 23, 0x3c000000
	v_mov_b32_e32 v62, v53
	s_delay_alu instid0(VALU_DEP_3) | instskip(NEXT) | instid1(VALU_DEP_1)
	v_and_b32_e32 v2, 0x80000000, v2
	v_or3_b32 v63, v4, v2, v3
.LBB183_303:                            ;   in Loop: Header=BB183_12 Depth=1
	s_or_b32 exec_lo, exec_lo, s44
.LBB183_304:                            ;   in Loop: Header=BB183_12 Depth=1
	s_delay_alu instid0(SALU_CYCLE_1)
	s_or_b32 exec_lo, exec_lo, s43
.LBB183_305:                            ;   in Loop: Header=BB183_12 Depth=1
	s_delay_alu instid0(SALU_CYCLE_1)
	s_or_b32 exec_lo, exec_lo, s42
	global_load_u16 v3, v[68:69], off offset:1032
	v_mov_b64_e32 v[66:67], 0
	v_mov_b64_e32 v[60:61], 0
	s_mov_b32 s42, exec_lo
	s_wait_loadcnt 0x0
	v_and_b32_e32 v2, 0xffff, v3
	v_and_b32_e32 v3, 0xff, v3
	s_wait_xcnt 0x0
	s_delay_alu instid0(VALU_DEP_1)
	v_cmpx_ne_u16_e32 0, v3
	s_cbranch_execz .LBB183_313
; %bb.306:                              ;   in Loop: Header=BB183_12 Depth=1
	v_mov_b64_e32 v[60:61], 0x80000000
	v_and_b32_e32 v3, 0xff, v2
	s_mov_b32 s43, exec_lo
	s_delay_alu instid0(VALU_DEP_1)
	v_cmpx_ne_u16_e32 0x80, v3
	s_cbranch_execz .LBB183_312
; %bb.307:                              ;   in Loop: Header=BB183_12 Depth=1
	v_mov_b64_e32 v[60:61], 0x7f800001
	v_and_b32_e32 v4, 0x7f, v2
	s_mov_b32 s44, exec_lo
	s_delay_alu instid0(VALU_DEP_1)
	v_cmpx_ne_u32_e32 0x7f, v4
	s_cbranch_execz .LBB183_311
; %bb.308:                              ;   in Loop: Header=BB183_12 Depth=1
	v_dual_lshrrev_b32 v3, 3, v4 :: v_dual_bitop2_b32 v52, 7, v2 bitop3:0x40
	s_mov_b32 s45, exec_lo
	v_cmpx_gt_u32_e32 8, v4
; %bb.309:                              ;   in Loop: Header=BB183_12 Depth=1
	s_delay_alu instid0(VALU_DEP_2) | instskip(NEXT) | instid1(VALU_DEP_1)
	v_clz_i32_u32_e32 v3, v52
	v_min_u32_e32 v3, 32, v3
	s_delay_alu instid0(VALU_DEP_1) | instskip(NEXT) | instid1(VALU_DEP_1)
	v_subrev_nc_u32_e32 v4, 28, v3
	v_lshlrev_b64_e32 v[4:5], v4, v[52:53]
	s_delay_alu instid0(VALU_DEP_1)
	v_dual_sub_nc_u32 v3, 29, v3 :: v_dual_bitop2_b32 v52, 7, v4 bitop3:0x40
; %bb.310:                              ;   in Loop: Header=BB183_12 Depth=1
	s_or_b32 exec_lo, exec_lo, s45
	s_delay_alu instid0(VALU_DEP_1) | instskip(NEXT) | instid1(VALU_DEP_2)
	v_dual_lshlrev_b32 v4, 24, v2 :: v_dual_lshlrev_b32 v5, 20, v52
	v_lshl_add_u32 v3, v3, 23, 0x3c000000
	s_delay_alu instid0(VALU_DEP_2) | instskip(NEXT) | instid1(VALU_DEP_1)
	v_and_b32_e32 v4, 0x80000000, v4
	v_or3_b32 v52, v5, v4, v3
	s_delay_alu instid0(VALU_DEP_1)
	v_mov_b64_e32 v[60:61], v[52:53]
.LBB183_311:                            ;   in Loop: Header=BB183_12 Depth=1
	s_or_b32 exec_lo, exec_lo, s44
.LBB183_312:                            ;   in Loop: Header=BB183_12 Depth=1
	s_delay_alu instid0(SALU_CYCLE_1)
	s_or_b32 exec_lo, exec_lo, s43
.LBB183_313:                            ;   in Loop: Header=BB183_12 Depth=1
	s_delay_alu instid0(SALU_CYCLE_1) | instskip(SKIP_2) | instid1(VALU_DEP_1)
	s_or_b32 exec_lo, exec_lo, s42
	v_lshrrev_b16 v3, 8, v2
	s_mov_b32 s42, exec_lo
	v_cmpx_ne_u16_e32 0, v3
	s_cbranch_execz .LBB183_321
; %bb.314:                              ;   in Loop: Header=BB183_12 Depth=1
	v_mov_b64_e32 v[66:67], 0x8000000000000000
	s_mov_b32 s43, exec_lo
	v_cmpx_ne_u16_e32 0x80, v3
	s_cbranch_execz .LBB183_320
; %bb.315:                              ;   in Loop: Header=BB183_12 Depth=1
	v_and_b32_e32 v3, 0xffff, v3
	v_mov_b64_e32 v[66:67], 0x7f80000100000000
	s_mov_b32 s44, exec_lo
	s_delay_alu instid0(VALU_DEP_2) | instskip(NEXT) | instid1(VALU_DEP_1)
	v_and_b32_e32 v4, 0x7f, v3
	v_cmpx_ne_u32_e32 0x7f, v4
	s_cbranch_execz .LBB183_319
; %bb.316:                              ;   in Loop: Header=BB183_12 Depth=1
	v_dual_lshrrev_b32 v3, 3, v4 :: v_dual_bitop2_b32 v52, 7, v3 bitop3:0x40
	s_mov_b32 s45, exec_lo
	v_cmpx_gt_u32_e32 8, v4
; %bb.317:                              ;   in Loop: Header=BB183_12 Depth=1
	s_delay_alu instid0(VALU_DEP_2) | instskip(NEXT) | instid1(VALU_DEP_1)
	v_clz_i32_u32_e32 v3, v52
	v_min_u32_e32 v3, 32, v3
	s_delay_alu instid0(VALU_DEP_1) | instskip(NEXT) | instid1(VALU_DEP_1)
	v_subrev_nc_u32_e32 v4, 28, v3
	v_lshlrev_b64_e32 v[4:5], v4, v[52:53]
	s_delay_alu instid0(VALU_DEP_1)
	v_dual_sub_nc_u32 v3, 29, v3 :: v_dual_bitop2_b32 v52, 7, v4 bitop3:0x40
; %bb.318:                              ;   in Loop: Header=BB183_12 Depth=1
	s_or_b32 exec_lo, exec_lo, s45
	s_delay_alu instid0(VALU_DEP_1) | instskip(NEXT) | instid1(VALU_DEP_2)
	v_dual_lshlrev_b32 v2, 16, v2 :: v_dual_lshlrev_b32 v4, 20, v52
	v_lshl_add_u32 v3, v3, 23, 0x3c000000
	v_mov_b32_e32 v66, v53
	s_delay_alu instid0(VALU_DEP_3) | instskip(NEXT) | instid1(VALU_DEP_1)
	v_and_b32_e32 v2, 0x80000000, v2
	v_or3_b32 v67, v4, v2, v3
.LBB183_319:                            ;   in Loop: Header=BB183_12 Depth=1
	s_or_b32 exec_lo, exec_lo, s44
.LBB183_320:                            ;   in Loop: Header=BB183_12 Depth=1
	s_delay_alu instid0(SALU_CYCLE_1)
	s_or_b32 exec_lo, exec_lo, s43
.LBB183_321:                            ;   in Loop: Header=BB183_12 Depth=1
	s_delay_alu instid0(SALU_CYCLE_1)
	s_or_b32 exec_lo, exec_lo, s42
	global_load_u16 v2, v[68:69], off offset:1036
	v_mov_b64_e32 v[64:65], 0
	s_wait_loadcnt 0x0
	v_and_b32_e32 v4, 0xffff, v2
	v_and_b32_e32 v2, 0xff, v2
	s_delay_alu instid0(VALU_DEP_1)
	v_cmp_ne_u16_e64 s4, 0, v2
	v_mov_b64_e32 v[2:3], 0
	s_wait_xcnt 0x0
	s_and_saveexec_b32 s42, s4
	s_cbranch_execz .LBB183_329
; %bb.322:                              ;   in Loop: Header=BB183_12 Depth=1
	v_and_b32_e32 v2, 0xff, v4
	s_delay_alu instid0(VALU_DEP_1)
	v_cmp_ne_u16_e64 s4, 0x80, v2
	v_mov_b64_e32 v[2:3], 0x80000000
	s_and_saveexec_b32 s43, s4
	s_cbranch_execz .LBB183_328
; %bb.323:                              ;   in Loop: Header=BB183_12 Depth=1
	v_mov_b64_e32 v[2:3], 0x7f800001
	v_and_b32_e32 v5, 0x7f, v4
	s_mov_b32 s44, exec_lo
	s_delay_alu instid0(VALU_DEP_1)
	v_cmpx_ne_u32_e32 0x7f, v5
	s_cbranch_execz .LBB183_327
; %bb.324:                              ;   in Loop: Header=BB183_12 Depth=1
	v_dual_lshrrev_b32 v2, 3, v5 :: v_dual_bitop2_b32 v52, 7, v4 bitop3:0x40
	s_mov_b32 s45, exec_lo
	v_cmpx_gt_u32_e32 8, v5
; %bb.325:                              ;   in Loop: Header=BB183_12 Depth=1
	s_delay_alu instid0(VALU_DEP_2) | instskip(NEXT) | instid1(VALU_DEP_1)
	v_clz_i32_u32_e32 v2, v52
	v_min_u32_e32 v2, 32, v2
	s_delay_alu instid0(VALU_DEP_1) | instskip(SKIP_1) | instid1(VALU_DEP_2)
	v_subrev_nc_u32_e32 v3, 28, v2
	v_sub_nc_u32_e32 v2, 29, v2
	v_lshlrev_b64_e32 v[6:7], v3, v[52:53]
	s_delay_alu instid0(VALU_DEP_1)
	v_and_b32_e32 v52, 7, v6
; %bb.326:                              ;   in Loop: Header=BB183_12 Depth=1
	s_or_b32 exec_lo, exec_lo, s45
	v_lshlrev_b32_e32 v3, 24, v4
	s_delay_alu instid0(VALU_DEP_2) | instskip(SKIP_1) | instid1(VALU_DEP_3)
	v_lshlrev_b32_e32 v5, 20, v52
	v_lshl_add_u32 v2, v2, 23, 0x3c000000
	v_and_b32_e32 v3, 0x80000000, v3
	s_delay_alu instid0(VALU_DEP_1) | instskip(NEXT) | instid1(VALU_DEP_1)
	v_or3_b32 v52, v5, v3, v2
	v_mov_b64_e32 v[2:3], v[52:53]
.LBB183_327:                            ;   in Loop: Header=BB183_12 Depth=1
	s_or_b32 exec_lo, exec_lo, s44
.LBB183_328:                            ;   in Loop: Header=BB183_12 Depth=1
	s_delay_alu instid0(SALU_CYCLE_1)
	s_or_b32 exec_lo, exec_lo, s43
.LBB183_329:                            ;   in Loop: Header=BB183_12 Depth=1
	s_delay_alu instid0(SALU_CYCLE_1) | instskip(SKIP_2) | instid1(VALU_DEP_1)
	s_or_b32 exec_lo, exec_lo, s42
	v_lshrrev_b16 v5, 8, v4
	s_mov_b32 s42, exec_lo
	v_cmpx_ne_u16_e32 0, v5
	s_cbranch_execz .LBB183_337
; %bb.330:                              ;   in Loop: Header=BB183_12 Depth=1
	v_mov_b64_e32 v[64:65], 0x8000000000000000
	s_mov_b32 s43, exec_lo
	v_cmpx_ne_u16_e32 0x80, v5
	s_cbranch_execz .LBB183_336
; %bb.331:                              ;   in Loop: Header=BB183_12 Depth=1
	v_and_b32_e32 v5, 0xffff, v5
	v_mov_b64_e32 v[64:65], 0x7f80000100000000
	s_mov_b32 s44, exec_lo
	s_delay_alu instid0(VALU_DEP_2) | instskip(NEXT) | instid1(VALU_DEP_1)
	v_and_b32_e32 v6, 0x7f, v5
	v_cmpx_ne_u32_e32 0x7f, v6
	s_cbranch_execz .LBB183_335
; %bb.332:                              ;   in Loop: Header=BB183_12 Depth=1
	v_dual_lshrrev_b32 v5, 3, v6 :: v_dual_bitop2_b32 v52, 7, v5 bitop3:0x40
	s_mov_b32 s45, exec_lo
	v_cmpx_gt_u32_e32 8, v6
; %bb.333:                              ;   in Loop: Header=BB183_12 Depth=1
	s_delay_alu instid0(VALU_DEP_2) | instskip(NEXT) | instid1(VALU_DEP_1)
	v_clz_i32_u32_e32 v5, v52
	v_min_u32_e32 v5, 32, v5
	s_delay_alu instid0(VALU_DEP_1) | instskip(NEXT) | instid1(VALU_DEP_1)
	v_subrev_nc_u32_e32 v6, 28, v5
	v_lshlrev_b64_e32 v[6:7], v6, v[52:53]
	s_delay_alu instid0(VALU_DEP_1)
	v_dual_sub_nc_u32 v5, 29, v5 :: v_dual_bitop2_b32 v52, 7, v6 bitop3:0x40
; %bb.334:                              ;   in Loop: Header=BB183_12 Depth=1
	s_or_b32 exec_lo, exec_lo, s45
	v_dual_lshlrev_b32 v4, 16, v4 :: v_dual_mov_b32 v64, v53
	s_delay_alu instid0(VALU_DEP_2) | instskip(NEXT) | instid1(VALU_DEP_3)
	v_lshlrev_b32_e32 v6, 20, v52
	v_lshl_add_u32 v5, v5, 23, 0x3c000000
	s_delay_alu instid0(VALU_DEP_3) | instskip(NEXT) | instid1(VALU_DEP_1)
	v_and_b32_e32 v4, 0x80000000, v4
	v_or3_b32 v65, v6, v4, v5
.LBB183_335:                            ;   in Loop: Header=BB183_12 Depth=1
	s_or_b32 exec_lo, exec_lo, s44
.LBB183_336:                            ;   in Loop: Header=BB183_12 Depth=1
	s_delay_alu instid0(SALU_CYCLE_1)
	s_or_b32 exec_lo, exec_lo, s43
.LBB183_337:                            ;   in Loop: Header=BB183_12 Depth=1
	s_delay_alu instid0(SALU_CYCLE_1)
	s_or_b32 exec_lo, exec_lo, s42
	global_load_u16 v5, v[68:69], off offset:1280
	v_mov_b64_e32 v[72:73], 0
	v_mov_b64_e32 v[6:7], 0
	s_mov_b32 s42, exec_lo
	s_wait_loadcnt 0x0
	v_and_b32_e32 v4, 0xffff, v5
	v_and_b32_e32 v5, 0xff, v5
	s_wait_xcnt 0x0
	s_delay_alu instid0(VALU_DEP_1)
	v_cmpx_ne_u16_e32 0, v5
	s_cbranch_execz .LBB183_345
; %bb.338:                              ;   in Loop: Header=BB183_12 Depth=1
	v_mov_b64_e32 v[6:7], 0x80000000
	v_and_b32_e32 v5, 0xff, v4
	s_mov_b32 s43, exec_lo
	s_delay_alu instid0(VALU_DEP_1)
	v_cmpx_ne_u16_e32 0x80, v5
	s_cbranch_execz .LBB183_344
; %bb.339:                              ;   in Loop: Header=BB183_12 Depth=1
	v_mov_b64_e32 v[6:7], 0x7f800001
	v_and_b32_e32 v8, 0x7f, v4
	s_mov_b32 s44, exec_lo
	s_delay_alu instid0(VALU_DEP_1)
	v_cmpx_ne_u32_e32 0x7f, v8
	s_cbranch_execz .LBB183_343
; %bb.340:                              ;   in Loop: Header=BB183_12 Depth=1
	v_and_b32_e32 v52, 7, v4
	v_lshrrev_b32_e32 v5, 3, v8
	s_mov_b32 s45, exec_lo
	v_cmpx_gt_u32_e32 8, v8
; %bb.341:                              ;   in Loop: Header=BB183_12 Depth=1
	s_delay_alu instid0(VALU_DEP_3) | instskip(NEXT) | instid1(VALU_DEP_1)
	v_clz_i32_u32_e32 v5, v52
	v_min_u32_e32 v5, 32, v5
	s_delay_alu instid0(VALU_DEP_1) | instskip(NEXT) | instid1(VALU_DEP_1)
	v_subrev_nc_u32_e32 v6, 28, v5
	v_lshlrev_b64_e32 v[6:7], v6, v[52:53]
	s_delay_alu instid0(VALU_DEP_1)
	v_dual_sub_nc_u32 v5, 29, v5 :: v_dual_bitop2_b32 v52, 7, v6 bitop3:0x40
; %bb.342:                              ;   in Loop: Header=BB183_12 Depth=1
	s_or_b32 exec_lo, exec_lo, s45
	v_lshlrev_b32_e32 v6, 24, v4
	s_delay_alu instid0(VALU_DEP_2) | instskip(NEXT) | instid1(VALU_DEP_3)
	v_lshlrev_b32_e32 v7, 20, v52
	v_lshl_add_u32 v5, v5, 23, 0x3c000000
	s_delay_alu instid0(VALU_DEP_3) | instskip(NEXT) | instid1(VALU_DEP_1)
	v_and_b32_e32 v6, 0x80000000, v6
	v_or3_b32 v52, v7, v6, v5
	s_delay_alu instid0(VALU_DEP_1)
	v_mov_b64_e32 v[6:7], v[52:53]
.LBB183_343:                            ;   in Loop: Header=BB183_12 Depth=1
	s_or_b32 exec_lo, exec_lo, s44
.LBB183_344:                            ;   in Loop: Header=BB183_12 Depth=1
	s_delay_alu instid0(SALU_CYCLE_1)
	s_or_b32 exec_lo, exec_lo, s43
.LBB183_345:                            ;   in Loop: Header=BB183_12 Depth=1
	s_delay_alu instid0(SALU_CYCLE_1) | instskip(SKIP_2) | instid1(VALU_DEP_1)
	s_or_b32 exec_lo, exec_lo, s42
	v_lshrrev_b16 v5, 8, v4
	s_mov_b32 s42, exec_lo
	v_cmpx_ne_u16_e32 0, v5
	s_cbranch_execz .LBB183_353
; %bb.346:                              ;   in Loop: Header=BB183_12 Depth=1
	v_mov_b64_e32 v[72:73], 0x8000000000000000
	s_mov_b32 s43, exec_lo
	v_cmpx_ne_u16_e32 0x80, v5
	s_cbranch_execz .LBB183_352
; %bb.347:                              ;   in Loop: Header=BB183_12 Depth=1
	v_and_b32_e32 v5, 0xffff, v5
	v_mov_b64_e32 v[72:73], 0x7f80000100000000
	s_mov_b32 s44, exec_lo
	s_delay_alu instid0(VALU_DEP_2) | instskip(NEXT) | instid1(VALU_DEP_1)
	v_and_b32_e32 v8, 0x7f, v5
	v_cmpx_ne_u32_e32 0x7f, v8
	s_cbranch_execz .LBB183_351
; %bb.348:                              ;   in Loop: Header=BB183_12 Depth=1
	v_dual_lshrrev_b32 v5, 3, v8 :: v_dual_bitop2_b32 v52, 7, v5 bitop3:0x40
	s_mov_b32 s45, exec_lo
	v_cmpx_gt_u32_e32 8, v8
; %bb.349:                              ;   in Loop: Header=BB183_12 Depth=1
	s_delay_alu instid0(VALU_DEP_2) | instskip(NEXT) | instid1(VALU_DEP_1)
	v_clz_i32_u32_e32 v5, v52
	v_min_u32_e32 v5, 32, v5
	s_delay_alu instid0(VALU_DEP_1) | instskip(NEXT) | instid1(VALU_DEP_1)
	v_subrev_nc_u32_e32 v8, 28, v5
	v_lshlrev_b64_e32 v[8:9], v8, v[52:53]
	s_delay_alu instid0(VALU_DEP_1)
	v_dual_sub_nc_u32 v5, 29, v5 :: v_dual_bitop2_b32 v52, 7, v8 bitop3:0x40
; %bb.350:                              ;   in Loop: Header=BB183_12 Depth=1
	s_or_b32 exec_lo, exec_lo, s45
	v_dual_lshlrev_b32 v4, 16, v4 :: v_dual_mov_b32 v72, v53
	s_delay_alu instid0(VALU_DEP_2) | instskip(NEXT) | instid1(VALU_DEP_3)
	v_lshlrev_b32_e32 v8, 20, v52
	v_lshl_add_u32 v5, v5, 23, 0x3c000000
	s_delay_alu instid0(VALU_DEP_3) | instskip(NEXT) | instid1(VALU_DEP_1)
	v_and_b32_e32 v4, 0x80000000, v4
	v_or3_b32 v73, v8, v4, v5
.LBB183_351:                            ;   in Loop: Header=BB183_12 Depth=1
	s_or_b32 exec_lo, exec_lo, s44
.LBB183_352:                            ;   in Loop: Header=BB183_12 Depth=1
	s_delay_alu instid0(SALU_CYCLE_1)
	s_or_b32 exec_lo, exec_lo, s43
.LBB183_353:                            ;   in Loop: Header=BB183_12 Depth=1
	s_delay_alu instid0(SALU_CYCLE_1)
	s_or_b32 exec_lo, exec_lo, s42
	global_load_u16 v5, v[68:69], off offset:1284
	v_mov_b64_e32 v[8:9], 0
	v_mov_b64_e32 v[10:11], 0
	s_mov_b32 s42, exec_lo
	s_wait_loadcnt 0x0
	v_and_b32_e32 v4, 0xffff, v5
	v_and_b32_e32 v5, 0xff, v5
	s_wait_xcnt 0x0
	s_delay_alu instid0(VALU_DEP_1)
	v_cmpx_ne_u16_e32 0, v5
	s_cbranch_execz .LBB183_361
; %bb.354:                              ;   in Loop: Header=BB183_12 Depth=1
	v_mov_b64_e32 v[10:11], 0x80000000
	v_and_b32_e32 v5, 0xff, v4
	s_mov_b32 s43, exec_lo
	s_delay_alu instid0(VALU_DEP_1)
	v_cmpx_ne_u16_e32 0x80, v5
	s_cbranch_execz .LBB183_360
; %bb.355:                              ;   in Loop: Header=BB183_12 Depth=1
	v_mov_b64_e32 v[10:11], 0x7f800001
	v_and_b32_e32 v12, 0x7f, v4
	s_mov_b32 s44, exec_lo
	s_delay_alu instid0(VALU_DEP_1)
	v_cmpx_ne_u32_e32 0x7f, v12
	s_cbranch_execz .LBB183_359
; %bb.356:                              ;   in Loop: Header=BB183_12 Depth=1
	v_and_b32_e32 v52, 7, v4
	v_lshrrev_b32_e32 v5, 3, v12
	s_mov_b32 s45, exec_lo
	v_cmpx_gt_u32_e32 8, v12
; %bb.357:                              ;   in Loop: Header=BB183_12 Depth=1
	s_delay_alu instid0(VALU_DEP_3) | instskip(NEXT) | instid1(VALU_DEP_1)
	v_clz_i32_u32_e32 v5, v52
	v_min_u32_e32 v5, 32, v5
	s_delay_alu instid0(VALU_DEP_1) | instskip(NEXT) | instid1(VALU_DEP_1)
	v_subrev_nc_u32_e32 v10, 28, v5
	v_lshlrev_b64_e32 v[10:11], v10, v[52:53]
	s_delay_alu instid0(VALU_DEP_1)
	v_dual_sub_nc_u32 v5, 29, v5 :: v_dual_bitop2_b32 v52, 7, v10 bitop3:0x40
; %bb.358:                              ;   in Loop: Header=BB183_12 Depth=1
	s_or_b32 exec_lo, exec_lo, s45
	v_lshlrev_b32_e32 v10, 24, v4
	s_delay_alu instid0(VALU_DEP_2) | instskip(NEXT) | instid1(VALU_DEP_3)
	v_lshlrev_b32_e32 v11, 20, v52
	v_lshl_add_u32 v5, v5, 23, 0x3c000000
	s_delay_alu instid0(VALU_DEP_3) | instskip(NEXT) | instid1(VALU_DEP_1)
	v_and_b32_e32 v10, 0x80000000, v10
	v_or3_b32 v52, v11, v10, v5
	s_delay_alu instid0(VALU_DEP_1)
	v_mov_b64_e32 v[10:11], v[52:53]
.LBB183_359:                            ;   in Loop: Header=BB183_12 Depth=1
	s_or_b32 exec_lo, exec_lo, s44
.LBB183_360:                            ;   in Loop: Header=BB183_12 Depth=1
	s_delay_alu instid0(SALU_CYCLE_1)
	s_or_b32 exec_lo, exec_lo, s43
.LBB183_361:                            ;   in Loop: Header=BB183_12 Depth=1
	s_delay_alu instid0(SALU_CYCLE_1) | instskip(SKIP_2) | instid1(VALU_DEP_1)
	s_or_b32 exec_lo, exec_lo, s42
	v_lshrrev_b16 v5, 8, v4
	s_mov_b32 s42, exec_lo
	v_cmpx_ne_u16_e32 0, v5
	s_cbranch_execz .LBB183_369
; %bb.362:                              ;   in Loop: Header=BB183_12 Depth=1
	v_mov_b64_e32 v[8:9], 0x8000000000000000
	s_mov_b32 s43, exec_lo
	v_cmpx_ne_u16_e32 0x80, v5
	s_cbranch_execz .LBB183_368
; %bb.363:                              ;   in Loop: Header=BB183_12 Depth=1
	v_and_b32_e32 v5, 0xffff, v5
	v_mov_b64_e32 v[8:9], 0x7f80000100000000
	s_mov_b32 s44, exec_lo
	s_delay_alu instid0(VALU_DEP_2) | instskip(NEXT) | instid1(VALU_DEP_1)
	v_and_b32_e32 v12, 0x7f, v5
	v_cmpx_ne_u32_e32 0x7f, v12
	s_cbranch_execz .LBB183_367
; %bb.364:                              ;   in Loop: Header=BB183_12 Depth=1
	v_dual_lshrrev_b32 v5, 3, v12 :: v_dual_bitop2_b32 v52, 7, v5 bitop3:0x40
	s_mov_b32 s45, exec_lo
	v_cmpx_gt_u32_e32 8, v12
; %bb.365:                              ;   in Loop: Header=BB183_12 Depth=1
	s_delay_alu instid0(VALU_DEP_2) | instskip(NEXT) | instid1(VALU_DEP_1)
	v_clz_i32_u32_e32 v5, v52
	v_min_u32_e32 v5, 32, v5
	s_delay_alu instid0(VALU_DEP_1) | instskip(NEXT) | instid1(VALU_DEP_1)
	v_subrev_nc_u32_e32 v8, 28, v5
	v_lshlrev_b64_e32 v[8:9], v8, v[52:53]
	s_delay_alu instid0(VALU_DEP_1)
	v_dual_sub_nc_u32 v5, 29, v5 :: v_dual_bitop2_b32 v52, 7, v8 bitop3:0x40
; %bb.366:                              ;   in Loop: Header=BB183_12 Depth=1
	s_or_b32 exec_lo, exec_lo, s45
	v_lshlrev_b32_e32 v4, 16, v4
	s_delay_alu instid0(VALU_DEP_2) | instskip(NEXT) | instid1(VALU_DEP_3)
	v_lshlrev_b32_e32 v8, 20, v52
	v_lshl_add_u32 v5, v5, 23, 0x3c000000
	s_delay_alu instid0(VALU_DEP_3) | instskip(NEXT) | instid1(VALU_DEP_1)
	v_and_b32_e32 v4, 0x80000000, v4
	v_or3_b32 v9, v8, v4, v5
	v_mov_b32_e32 v8, v53
.LBB183_367:                            ;   in Loop: Header=BB183_12 Depth=1
	s_or_b32 exec_lo, exec_lo, s44
.LBB183_368:                            ;   in Loop: Header=BB183_12 Depth=1
	s_delay_alu instid0(SALU_CYCLE_1)
	s_or_b32 exec_lo, exec_lo, s43
.LBB183_369:                            ;   in Loop: Header=BB183_12 Depth=1
	s_delay_alu instid0(SALU_CYCLE_1)
	s_or_b32 exec_lo, exec_lo, s42
	global_load_u16 v4, v[68:69], off offset:1288
	v_mov_b64_e32 v[16:17], 0
	s_wait_loadcnt 0x0
	v_and_b32_e32 v12, 0xffff, v4
	v_and_b32_e32 v4, 0xff, v4
	s_delay_alu instid0(VALU_DEP_1)
	v_cmp_ne_u16_e64 s4, 0, v4
	v_mov_b64_e32 v[4:5], 0
	s_wait_xcnt 0x0
	s_and_saveexec_b32 s42, s4
	s_cbranch_execz .LBB183_377
; %bb.370:                              ;   in Loop: Header=BB183_12 Depth=1
	v_mov_b64_e32 v[16:17], 0x80000000
	v_and_b32_e32 v13, 0xff, v12
	s_mov_b32 s43, exec_lo
	s_delay_alu instid0(VALU_DEP_1)
	v_cmpx_ne_u16_e32 0x80, v13
	s_cbranch_execz .LBB183_376
; %bb.371:                              ;   in Loop: Header=BB183_12 Depth=1
	v_mov_b64_e32 v[16:17], 0x7f800001
	v_and_b32_e32 v14, 0x7f, v12
	s_mov_b32 s44, exec_lo
	s_delay_alu instid0(VALU_DEP_1)
	v_cmpx_ne_u32_e32 0x7f, v14
	s_cbranch_execz .LBB183_375
; %bb.372:                              ;   in Loop: Header=BB183_12 Depth=1
	v_dual_lshrrev_b32 v13, 3, v14 :: v_dual_bitop2_b32 v52, 7, v12 bitop3:0x40
	s_mov_b32 s45, exec_lo
	v_cmpx_gt_u32_e32 8, v14
; %bb.373:                              ;   in Loop: Header=BB183_12 Depth=1
	s_delay_alu instid0(VALU_DEP_2) | instskip(NEXT) | instid1(VALU_DEP_1)
	v_clz_i32_u32_e32 v13, v52
	v_min_u32_e32 v13, 32, v13
	s_delay_alu instid0(VALU_DEP_1) | instskip(NEXT) | instid1(VALU_DEP_1)
	v_subrev_nc_u32_e32 v14, 28, v13
	v_lshlrev_b64_e32 v[14:15], v14, v[52:53]
	s_delay_alu instid0(VALU_DEP_1)
	v_dual_sub_nc_u32 v13, 29, v13 :: v_dual_bitop2_b32 v52, 7, v14 bitop3:0x40
; %bb.374:                              ;   in Loop: Header=BB183_12 Depth=1
	s_or_b32 exec_lo, exec_lo, s45
	v_lshlrev_b32_e32 v14, 24, v12
	s_delay_alu instid0(VALU_DEP_2) | instskip(NEXT) | instid1(VALU_DEP_3)
	v_lshlrev_b32_e32 v15, 20, v52
	v_lshl_add_u32 v13, v13, 23, 0x3c000000
	s_delay_alu instid0(VALU_DEP_3) | instskip(NEXT) | instid1(VALU_DEP_1)
	v_and_b32_e32 v14, 0x80000000, v14
	v_or3_b32 v52, v15, v14, v13
	s_delay_alu instid0(VALU_DEP_1)
	v_mov_b64_e32 v[16:17], v[52:53]
.LBB183_375:                            ;   in Loop: Header=BB183_12 Depth=1
	s_or_b32 exec_lo, exec_lo, s44
.LBB183_376:                            ;   in Loop: Header=BB183_12 Depth=1
	s_delay_alu instid0(SALU_CYCLE_1)
	s_or_b32 exec_lo, exec_lo, s43
.LBB183_377:                            ;   in Loop: Header=BB183_12 Depth=1
	s_delay_alu instid0(SALU_CYCLE_1) | instskip(SKIP_2) | instid1(VALU_DEP_1)
	s_or_b32 exec_lo, exec_lo, s42
	v_lshrrev_b16 v13, 8, v12
	s_mov_b32 s42, exec_lo
	v_cmpx_ne_u16_e32 0, v13
	s_cbranch_execz .LBB183_385
; %bb.378:                              ;   in Loop: Header=BB183_12 Depth=1
	v_mov_b64_e32 v[4:5], 0x8000000000000000
	s_mov_b32 s43, exec_lo
	v_cmpx_ne_u16_e32 0x80, v13
	s_cbranch_execz .LBB183_384
; %bb.379:                              ;   in Loop: Header=BB183_12 Depth=1
	v_and_b32_e32 v14, 0xffff, v13
	v_mov_b64_e32 v[4:5], 0x7f80000100000000
	s_mov_b32 s44, exec_lo
	s_delay_alu instid0(VALU_DEP_2) | instskip(NEXT) | instid1(VALU_DEP_1)
	v_and_b32_e32 v13, 0x7f, v14
	v_cmpx_ne_u32_e32 0x7f, v13
	s_cbranch_execz .LBB183_383
; %bb.380:                              ;   in Loop: Header=BB183_12 Depth=1
	v_dual_lshrrev_b32 v4, 3, v13 :: v_dual_bitop2_b32 v52, 7, v14 bitop3:0x40
	s_mov_b32 s45, exec_lo
	v_cmpx_gt_u32_e32 8, v13
; %bb.381:                              ;   in Loop: Header=BB183_12 Depth=1
	s_delay_alu instid0(VALU_DEP_2) | instskip(NEXT) | instid1(VALU_DEP_1)
	v_clz_i32_u32_e32 v4, v52
	v_min_u32_e32 v4, 32, v4
	s_delay_alu instid0(VALU_DEP_1) | instskip(NEXT) | instid1(VALU_DEP_1)
	v_subrev_nc_u32_e32 v5, 28, v4
	v_lshlrev_b64_e32 v[14:15], v5, v[52:53]
	s_delay_alu instid0(VALU_DEP_1)
	v_dual_sub_nc_u32 v4, 29, v4 :: v_dual_bitop2_b32 v52, 7, v14 bitop3:0x40
; %bb.382:                              ;   in Loop: Header=BB183_12 Depth=1
	s_or_b32 exec_lo, exec_lo, s45
	v_lshlrev_b32_e32 v5, 16, v12
	s_delay_alu instid0(VALU_DEP_2) | instskip(NEXT) | instid1(VALU_DEP_3)
	v_lshlrev_b32_e32 v12, 20, v52
	v_lshl_add_u32 v4, v4, 23, 0x3c000000
	s_delay_alu instid0(VALU_DEP_3) | instskip(NEXT) | instid1(VALU_DEP_1)
	v_and_b32_e32 v5, 0x80000000, v5
	v_or3_b32 v5, v12, v5, v4
	v_mov_b32_e32 v4, v53
.LBB183_383:                            ;   in Loop: Header=BB183_12 Depth=1
	s_or_b32 exec_lo, exec_lo, s44
.LBB183_384:                            ;   in Loop: Header=BB183_12 Depth=1
	s_delay_alu instid0(SALU_CYCLE_1)
	s_or_b32 exec_lo, exec_lo, s43
.LBB183_385:                            ;   in Loop: Header=BB183_12 Depth=1
	s_delay_alu instid0(SALU_CYCLE_1)
	s_or_b32 exec_lo, exec_lo, s42
	global_load_u16 v12, v[68:69], off offset:1292
	v_mov_b64_e32 v[14:15], 0
	s_wait_loadcnt 0x0
	v_and_b32_e32 v20, 0xffff, v12
	v_and_b32_e32 v12, 0xff, v12
	s_delay_alu instid0(VALU_DEP_1)
	v_cmp_ne_u16_e64 s4, 0, v12
	v_mov_b64_e32 v[12:13], 0
	s_wait_xcnt 0x0
	s_and_saveexec_b32 s42, s4
	s_cbranch_execz .LBB183_393
; %bb.386:                              ;   in Loop: Header=BB183_12 Depth=1
	v_and_b32_e32 v14, 0xff, v20
	s_delay_alu instid0(VALU_DEP_1)
	v_cmp_ne_u16_e64 s4, 0x80, v14
	v_mov_b64_e32 v[14:15], 0x80000000
	s_and_saveexec_b32 s43, s4
	s_cbranch_execz .LBB183_392
; %bb.387:                              ;   in Loop: Header=BB183_12 Depth=1
	v_mov_b64_e32 v[14:15], 0x7f800001
	v_and_b32_e32 v21, 0x7f, v20
	s_mov_b32 s44, exec_lo
	s_delay_alu instid0(VALU_DEP_1)
	v_cmpx_ne_u32_e32 0x7f, v21
	s_cbranch_execz .LBB183_391
; %bb.388:                              ;   in Loop: Header=BB183_12 Depth=1
	v_dual_lshrrev_b32 v14, 3, v21 :: v_dual_bitop2_b32 v52, 7, v20 bitop3:0x40
	s_mov_b32 s45, exec_lo
	v_cmpx_gt_u32_e32 8, v21
; %bb.389:                              ;   in Loop: Header=BB183_12 Depth=1
	s_delay_alu instid0(VALU_DEP_2) | instskip(NEXT) | instid1(VALU_DEP_1)
	v_clz_i32_u32_e32 v14, v52
	v_min_u32_e32 v14, 32, v14
	s_delay_alu instid0(VALU_DEP_1) | instskip(NEXT) | instid1(VALU_DEP_1)
	v_subrev_nc_u32_e32 v15, 28, v14
	v_lshlrev_b64_e32 v[68:69], v15, v[52:53]
	s_delay_alu instid0(VALU_DEP_1)
	v_dual_sub_nc_u32 v14, 29, v14 :: v_dual_bitop2_b32 v52, 7, v68 bitop3:0x40
; %bb.390:                              ;   in Loop: Header=BB183_12 Depth=1
	s_or_b32 exec_lo, exec_lo, s45
	v_lshlrev_b32_e32 v15, 24, v20
	s_delay_alu instid0(VALU_DEP_2) | instskip(NEXT) | instid1(VALU_DEP_3)
	v_lshlrev_b32_e32 v21, 20, v52
	v_lshl_add_u32 v14, v14, 23, 0x3c000000
	s_delay_alu instid0(VALU_DEP_3) | instskip(NEXT) | instid1(VALU_DEP_1)
	v_and_b32_e32 v15, 0x80000000, v15
	v_or3_b32 v52, v21, v15, v14
	s_delay_alu instid0(VALU_DEP_1)
	v_mov_b64_e32 v[14:15], v[52:53]
.LBB183_391:                            ;   in Loop: Header=BB183_12 Depth=1
	s_or_b32 exec_lo, exec_lo, s44
.LBB183_392:                            ;   in Loop: Header=BB183_12 Depth=1
	s_delay_alu instid0(SALU_CYCLE_1)
	s_or_b32 exec_lo, exec_lo, s43
.LBB183_393:                            ;   in Loop: Header=BB183_12 Depth=1
	s_delay_alu instid0(SALU_CYCLE_1) | instskip(SKIP_2) | instid1(VALU_DEP_1)
	s_or_b32 exec_lo, exec_lo, s42
	v_lshrrev_b16 v21, 8, v20
	s_mov_b32 s42, exec_lo
	v_cmpx_ne_u16_e32 0, v21
	s_cbranch_execz .LBB183_401
; %bb.394:                              ;   in Loop: Header=BB183_12 Depth=1
	v_mov_b64_e32 v[12:13], 0x8000000000000000
	s_mov_b32 s43, exec_lo
	v_cmpx_ne_u16_e32 0x80, v21
	s_cbranch_execz .LBB183_400
; %bb.395:                              ;   in Loop: Header=BB183_12 Depth=1
	v_and_b32_e32 v52, 0xffff, v21
	v_mov_b64_e32 v[12:13], 0x7f80000100000000
	s_mov_b32 s44, exec_lo
	s_delay_alu instid0(VALU_DEP_2) | instskip(NEXT) | instid1(VALU_DEP_1)
	v_and_b32_e32 v21, 0x7f, v52
	v_cmpx_ne_u32_e32 0x7f, v21
	s_cbranch_execz .LBB183_399
; %bb.396:                              ;   in Loop: Header=BB183_12 Depth=1
	v_dual_lshrrev_b32 v12, 3, v21 :: v_dual_bitop2_b32 v52, 7, v52 bitop3:0x40
	s_mov_b32 s45, exec_lo
	v_cmpx_gt_u32_e32 8, v21
; %bb.397:                              ;   in Loop: Header=BB183_12 Depth=1
	s_delay_alu instid0(VALU_DEP_2) | instskip(NEXT) | instid1(VALU_DEP_1)
	v_clz_i32_u32_e32 v12, v52
	v_min_u32_e32 v12, 32, v12
	s_delay_alu instid0(VALU_DEP_1) | instskip(SKIP_1) | instid1(VALU_DEP_2)
	v_subrev_nc_u32_e32 v13, 28, v12
	v_sub_nc_u32_e32 v12, 29, v12
	v_lshlrev_b64_e32 v[68:69], v13, v[52:53]
	s_delay_alu instid0(VALU_DEP_1)
	v_and_b32_e32 v52, 7, v68
; %bb.398:                              ;   in Loop: Header=BB183_12 Depth=1
	s_or_b32 exec_lo, exec_lo, s45
	v_lshlrev_b32_e32 v13, 16, v20
	s_delay_alu instid0(VALU_DEP_2) | instskip(SKIP_1) | instid1(VALU_DEP_3)
	v_lshlrev_b32_e32 v20, 20, v52
	v_lshl_add_u32 v12, v12, 23, 0x3c000000
	v_and_b32_e32 v13, 0x80000000, v13
	s_delay_alu instid0(VALU_DEP_1)
	v_or3_b32 v13, v20, v13, v12
	v_mov_b32_e32 v12, v53
.LBB183_399:                            ;   in Loop: Header=BB183_12 Depth=1
	s_or_b32 exec_lo, exec_lo, s44
.LBB183_400:                            ;   in Loop: Header=BB183_12 Depth=1
	s_delay_alu instid0(SALU_CYCLE_1)
	s_or_b32 exec_lo, exec_lo, s43
.LBB183_401:                            ;   in Loop: Header=BB183_12 Depth=1
	s_delay_alu instid0(SALU_CYCLE_1)
	s_or_b32 exec_lo, exec_lo, s42
	v_or_b32_e32 v21, v83, v85
	v_or_b32_e32 v20, v82, v84
	;; [unrolled: 1-line block ×3, first 2 shown]
	v_mbcnt_lo_u32_b32 v55, -1, 0
	s_wait_kmcnt 0x0
	s_delay_alu instid0(VALU_DEP_3) | instskip(SKIP_2) | instid1(VALU_DEP_1)
	v_pk_mul_f32 v[82:83], s[12:13], v[20:21] op_sel_hi:[0,1]
	v_or_b32_e32 v21, v79, v81
	v_or_b32_e32 v20, v78, v80
	v_pk_mul_f32 v[78:79], s[12:13], v[20:21] op_sel_hi:[0,1]
	v_or_b32_e32 v21, v75, v77
	v_or_b32_e32 v20, v74, v76
	s_delay_alu instid0(VALU_DEP_1) | instskip(SKIP_4) | instid1(VALU_DEP_1)
	v_pk_mul_f32 v[74:75], s[12:13], v[20:21] op_sel_hi:[0,1]
	scratch_load_b64 v[20:21], off, off offset:32 th:TH_LOAD_LU ; 8-byte Folded Reload
	s_wait_loadcnt 0x0
	v_or_b32_e32 v21, v71, v21
	v_or_b32_e32 v20, v70, v20
	v_pk_mul_f32 v[70:71], s[12:13], v[20:21] op_sel_hi:[0,1]
	s_clause 0x1
	scratch_load_b64 v[20:21], off, off offset:16 th:TH_LOAD_LU
	scratch_load_b64 v[76:77], off, off offset:24 th:TH_LOAD_LU
	s_wait_loadcnt 0x0
	v_or_b32_e32 v21, v21, v77
	v_or_b32_e32 v20, v20, v76
	s_clause 0x1
	scratch_load_b64 v[76:77], off, off th:TH_LOAD_LU
	scratch_load_b64 v[80:81], off, off offset:8 th:TH_LOAD_LU
	v_pk_mul_f32 v[20:21], s[12:13], v[20:21] op_sel_hi:[0,1]
	v_or_b32_e32 v4, v4, v16
	v_or_b32_e32 v7, v73, v7
	;; [unrolled: 1-line block ×3, first 2 shown]
	s_delay_alu instid0(VALU_DEP_4) | instskip(SKIP_3) | instid1(VALU_DEP_1)
	v_dual_mul_f32 v15, v48, v20 :: v_dual_mul_f32 v20, v49, v21
	s_wait_loadcnt 0x0
	v_or_b32_e32 v77, v77, v81
	v_or_b32_e32 v76, v76, v80
	v_pk_mul_f32 v[76:77], s[12:13], v[76:77] op_sel_hi:[0,1]
	v_or_b32_e32 v8, v8, v10
	s_delay_alu instid0(VALU_DEP_2) | instskip(NEXT) | instid1(VALU_DEP_3)
	v_dual_fmac_f32 v20, v47, v77 :: v_dual_bitop2_b32 v6, v72, v6 bitop3:0x54
	v_dual_fmac_f32 v15, v46, v76 :: v_dual_bitop2_b32 v3, v65, v3 bitop3:0x54
	v_or_b32_e32 v2, v64, v2
	s_delay_alu instid0(VALU_DEP_3) | instskip(NEXT) | instid1(VALU_DEP_3)
	v_pk_mul_f32 v[72:73], s[12:13], v[6:7] op_sel_hi:[0,1]
	v_dual_fmac_f32 v20, v43, v71 :: v_dual_fmac_f32 v15, v42, v70
	v_or_b32_e32 v7, v67, v61
	v_or_b32_e32 v6, v66, v60
	s_delay_alu instid0(VALU_DEP_3) | instskip(NEXT) | instid1(VALU_DEP_4)
	v_dual_fmac_f32 v20, v45, v75 :: v_dual_bitop2_b32 v12, v12, v14 bitop3:0x54
	v_dual_fmac_f32 v15, v44, v74 :: v_dual_bitop2_b32 v0, v62, v0 bitop3:0x54
	v_or_b32_e32 v1, v63, v1
	s_delay_alu instid0(VALU_DEP_4) | instskip(NEXT) | instid1(VALU_DEP_4)
	v_pk_mul_f32 v[6:7], s[12:13], v[6:7] op_sel_hi:[0,1]
	v_fmac_f32_e32 v20, v39, v79
	v_pk_mul_f32 v[2:3], s[12:13], v[2:3] op_sel_hi:[0,1]
	v_fmac_f32_e32 v15, v38, v78
	v_pk_mul_f32 v[0:1], s[12:13], v[0:1] op_sel_hi:[0,1]
	v_xor_b32_e32 v52, 1, v55
	s_delay_alu instid0(VALU_DEP_3) | instskip(NEXT) | instid1(VALU_DEP_2)
	v_dual_fmac_f32 v20, v41, v83 :: v_dual_fmac_f32 v15, v40, v82
	v_cmp_gt_i32_e64 s4, 32, v52
	v_or_b32_e32 v5, v5, v17
	v_or_b32_e32 v17, v87, v89
	s_delay_alu instid0(VALU_DEP_3) | instskip(NEXT) | instid1(VALU_DEP_2)
	v_dual_cndmask_b32 v52, v55, v52, s4 :: v_dual_bitop2_b32 v9, v9, v11 bitop3:0x54
	v_pk_mul_f32 v[16:17], s[12:13], v[16:17] op_sel_hi:[0,1]
	v_or_b32_e32 v11, v123, v125
	v_or_b32_e32 v10, v122, v124
	s_delay_alu instid0(VALU_DEP_4)
	v_lshlrev_b32_e32 v14, 2, v52
	v_pk_mul_f32 v[68:69], s[12:13], v[8:9] op_sel_hi:[0,1]
	v_or_b32_e32 v9, v127, v57
	v_or_b32_e32 v8, v126, v56
	v_dual_fmac_f32 v15, v34, v16 :: v_dual_fmac_f32 v20, v35, v17
	v_pk_mul_f32 v[56:57], s[12:13], v[10:11] op_sel_hi:[0,1]
	v_or_b32_e32 v11, v119, v121
	v_or_b32_e32 v10, v118, v120
	v_pk_mul_f32 v[8:9], s[12:13], v[8:9] op_sel_hi:[0,1]
	v_pk_mul_f32 v[4:5], s[12:13], v[4:5] op_sel_hi:[0,1]
	s_delay_alu instid0(VALU_DEP_3) | instskip(SKIP_2) | instid1(VALU_DEP_1)
	v_pk_mul_f32 v[60:61], s[12:13], v[10:11] op_sel_hi:[0,1]
	v_or_b32_e32 v11, v115, v117
	v_or_b32_e32 v10, v114, v116
	v_pk_mul_f32 v[62:63], s[12:13], v[10:11] op_sel_hi:[0,1]
	v_or_b32_e32 v11, v111, v113
	v_or_b32_e32 v10, v110, v112
	s_delay_alu instid0(VALU_DEP_1) | instskip(SKIP_2) | instid1(VALU_DEP_1)
	v_pk_mul_f32 v[64:65], s[12:13], v[10:11] op_sel_hi:[0,1]
	v_or_b32_e32 v11, v107, v109
	v_or_b32_e32 v10, v106, v108
	v_pk_mul_f32 v[66:67], s[12:13], v[10:11] op_sel_hi:[0,1]
	v_or_b32_e32 v11, v103, v105
	v_or_b32_e32 v10, v102, v104
	s_delay_alu instid0(VALU_DEP_1) | instskip(SKIP_2) | instid1(VALU_DEP_1)
	;; [unrolled: 7-line block ×3, first 2 shown]
	v_pk_mul_f32 v[94:95], s[12:13], v[10:11] op_sel_hi:[0,1]
	v_or_b32_e32 v11, v91, v93
	v_or_b32_e32 v10, v90, v92
	v_pk_mul_f32 v[10:11], s[12:13], v[10:11] op_sel_hi:[0,1]
	s_delay_alu instid0(VALU_DEP_1) | instskip(NEXT) | instid1(VALU_DEP_1)
	v_dual_fmac_f32 v15, v36, v10 :: v_dual_fmac_f32 v20, v37, v11
	v_dual_fmac_f32 v15, v30, v94 :: v_dual_fmac_f32 v20, v31, v95
	s_delay_alu instid0(VALU_DEP_1) | instskip(NEXT) | instid1(VALU_DEP_1)
	v_dual_fmac_f32 v15, v32, v98 :: v_dual_fmac_f32 v20, v33, v99
	v_dual_fmac_f32 v15, v26, v102 :: v_dual_fmac_f32 v20, v27, v103
	;; [unrolled: 3-line block ×3, first 2 shown]
	s_delay_alu instid0(VALU_DEP_1) | instskip(SKIP_3) | instid1(VALU_DEP_1)
	v_dual_fmac_f32 v15, v24, v62 :: v_dual_fmac_f32 v20, v25, v63
	scratch_load_b128 v[22:25], off, off offset:104 th:TH_LOAD_LU ; 16-byte Folded Reload
	s_wait_loadcnt 0x0
	v_dual_fmac_f32 v15, v22, v60 :: v_dual_fmac_f32 v20, v23, v61
	v_dual_fmac_f32 v15, v24, v56 :: v_dual_fmac_f32 v20, v25, v57
	scratch_load_b128 v[22:25], off, off offset:88 th:TH_LOAD_LU ; 16-byte Folded Reload
	s_wait_loadcnt 0x0
	v_dual_fmac_f32 v15, v22, v8 :: v_dual_fmac_f32 v20, v23, v9
	scratch_load_b128 v[8:11], off, off offset:72 th:TH_LOAD_LU ; 16-byte Folded Reload
	v_dual_fmac_f32 v15, v24, v0 :: v_dual_fmac_f32 v20, v25, v1
	s_wait_loadcnt 0x0
	s_delay_alu instid0(VALU_DEP_1) | instskip(NEXT) | instid1(VALU_DEP_1)
	v_dual_fmac_f32 v15, v8, v6 :: v_dual_fmac_f32 v20, v9, v7
	v_dual_fmac_f32 v15, v10, v2 :: v_dual_fmac_f32 v20, v11, v3
	scratch_load_b128 v[0:3], off, off offset:56 th:TH_LOAD_LU ; 16-byte Folded Reload
	s_wait_loadcnt 0x0
	v_dual_fmac_f32 v15, v0, v72 :: v_dual_fmac_f32 v20, v1, v73
	s_delay_alu instid0(VALU_DEP_1) | instskip(SKIP_4) | instid1(VALU_DEP_1)
	v_dual_fmac_f32 v15, v2, v68 :: v_dual_fmac_f32 v20, v3, v69
	scratch_load_b128 v[0:3], off, off offset:40 th:TH_LOAD_LU ; 16-byte Folded Reload
	v_pk_mul_f32 v[12:13], s[12:13], v[12:13] op_sel_hi:[0,1]
	s_wait_loadcnt 0x0
	v_dual_fmac_f32 v15, v0, v4 :: v_dual_fmac_f32 v20, v1, v5
	v_dual_fmac_f32 v15, v2, v12 :: v_dual_fmac_f32 v20, v3, v13
	s_delay_alu instid0(VALU_DEP_1)
	v_add_f32_e32 v0, v15, v20
	ds_bpermute_b32 v1, v14, v0
	s_wait_xcnt 0x0
	s_and_saveexec_b32 s12, s3
	s_cbranch_execz .LBB183_10
; %bb.402:                              ;   in Loop: Header=BB183_12 Depth=1
	s_clause 0x1
	scratch_load_b32 v2, off, off offset:136
	scratch_load_b32 v3, off, off offset:120
	s_wait_loadcnt_dscnt 0x100
	v_dual_add_f32 v0, v0, v1 :: v_dual_add_nc_u32 v2, v2, v54
	s_delay_alu instid0(VALU_DEP_1) | instskip(NEXT) | instid1(VALU_DEP_1)
	v_cvt_f32_i32_e32 v2, v2
	v_mul_f32_e32 v2, s37, v2
	s_delay_alu instid0(VALU_DEP_1) | instskip(NEXT) | instid1(VALU_DEP_1)
	v_cndmask_b32_e32 v1, 0, v2, vcc_lo
	v_fmac_f32_e32 v1, s27, v0
	scratch_load_b32 v0, off, off offset:132 ; 4-byte Folded Reload
	s_wait_loadcnt 0x1
	v_max_num_f32_e32 v2, v3, v3
	s_wait_loadcnt 0x0
	s_delay_alu instid0(VALU_DEP_1) | instskip(NEXT) | instid1(VALU_DEP_1)
	v_dual_max_num_f32 v2, v2, v1 :: v_dual_add_nc_u32 v0, v0, v54
	v_cmp_gt_i32_e64 s4, s34, v0
	s_delay_alu instid0(VALU_DEP_1)
	v_dual_cndmask_b32 v0, 0, v1, s4 :: v_dual_cndmask_b32 v3, v3, v2, s4
	ds_store_b32 v18, v0
	scratch_store_b32 off, v3, off offset:120 ; 4-byte Folded Spill
	s_branch .LBB183_10
.LBB183_403:
	s_or_b32 exec_lo, exec_lo, s41
	s_clause 0x4
	scratch_load_b32 v28, off, off offset:140
	scratch_load_b32 v29, off, off offset:144
	;; [unrolled: 1-line block ×5, first 2 shown]
.LBB183_404:
	s_wait_xcnt 0x0
	s_or_b32 exec_lo, exec_lo, s38
	v_mbcnt_lo_u32_b32 v6, -1, 0
	s_clause 0x1
	s_load_b64 s[4:5], s[0:1], 0x0
	s_load_b64 s[8:9], s[0:1], 0x18
	s_wait_loadcnt 0x4
	v_and_b32_e32 v76, 31, v28
	v_xor_b32_e32 v0, 16, v6
	v_xor_b32_e32 v2, 8, v6
	s_delay_alu instid0(VALU_DEP_2) | instskip(SKIP_1) | instid1(VALU_DEP_3)
	v_cmp_gt_i32_e32 vcc_lo, 32, v0
	v_cndmask_b32_e32 v0, v6, v0, vcc_lo
	v_cmp_gt_i32_e32 vcc_lo, 32, v2
	s_delay_alu instid0(VALU_DEP_2) | instskip(SKIP_4) | instid1(VALU_DEP_1)
	v_dual_lshlrev_b32 v0, 2, v0 :: v_dual_cndmask_b32 v2, v6, v2, vcc_lo
	s_wait_loadcnt_dscnt 0x0
	ds_bpermute_b32 v1, v0, v3
	s_wait_dscnt 0x0
	v_dual_max_num_f32 v3, v3, v3 :: v_dual_max_num_f32 v4, v1, v1
	v_dual_lshlrev_b32 v1, 2, v2 :: v_dual_max_num_f32 v3, v3, v4
	v_xor_b32_e32 v4, 4, v6
	ds_bpermute_b32 v2, v1, v3
	v_cmp_gt_i32_e32 vcc_lo, 32, v4
	s_wait_dscnt 0x0
	v_max_num_f32_e32 v5, v2, v2
	s_delay_alu instid0(VALU_DEP_1) | instskip(NEXT) | instid1(VALU_DEP_1)
	v_dual_cndmask_b32 v4, v6, v4 :: v_dual_max_num_f32 v3, v3, v5
	v_lshlrev_b32_e32 v2, 2, v4
	ds_bpermute_b32 v4, v2, v3
	s_wait_dscnt 0x0
	v_dual_max_num_f32 v4, v4, v4 :: v_dual_bitop2_b32 v5, 2, v6 bitop3:0x14
	s_delay_alu instid0(VALU_DEP_1) | instskip(NEXT) | instid1(VALU_DEP_2)
	v_cmp_gt_i32_e32 vcc_lo, 32, v5
	v_dual_max_num_f32 v4, v3, v4 :: v_dual_cndmask_b32 v5, v6, v5
	v_lshlrev_b32_e32 v3, 2, v29
	v_cmp_eq_u32_e32 vcc_lo, 0, v76
	s_delay_alu instid0(VALU_DEP_3)
	v_lshlrev_b32_e32 v77, 2, v5
	ds_bpermute_b32 v5, v77, v4
	s_wait_xcnt 0x0
	s_and_saveexec_b32 s0, vcc_lo
	s_cbranch_execz .LBB183_406
; %bb.405:
	s_wait_dscnt 0x0
	v_dual_max_num_f32 v5, v5, v5 :: v_dual_max_num_f32 v4, v4, v4
	s_delay_alu instid0(VALU_DEP_1)
	v_max_num_f32_e32 v4, v4, v5
	ds_store_b32 v3, v4 offset:384
.LBB183_406:
	s_or_b32 exec_lo, exec_lo, s0
	v_cmp_gt_u32_e64 s0, 4, v76
	s_wait_dscnt 0x0
	v_dual_mov_b32 v5, 0xff7fffff :: v_dual_lshlrev_b32 v4, 2, v76
	s_wait_storecnt 0x0
	s_barrier_signal -1
	s_barrier_wait -1
	s_and_saveexec_b32 s1, s0
; %bb.407:
	ds_load_b32 v5, v4 offset:384
; %bb.408:
	s_or_b32 exec_lo, exec_lo, s1
	s_wait_dscnt 0x0
	ds_bpermute_b32 v6, v77, v5
	v_mbcnt_lo_u32_b32 v8, -1, 0
	s_delay_alu instid0(VALU_DEP_1) | instskip(NEXT) | instid1(VALU_DEP_1)
	v_dual_max_num_f32 v5, v5, v5 :: v_dual_bitop2_b32 v7, 1, v8 bitop3:0x14
	v_cmp_gt_i32_e64 s1, 32, v7
	s_delay_alu instid0(VALU_DEP_1) | instskip(SKIP_1) | instid1(SALU_CYCLE_1)
	v_cndmask_b32_e64 v7, v8, v7, s1
	s_lshl_b32 s1, s26, 4
	s_min_i32 s12, s1, s34
	s_wait_dscnt 0x0
	s_delay_alu instid0(VALU_DEP_1) | instskip(SKIP_1) | instid1(VALU_DEP_2)
	v_dual_max_num_f32 v6, v6, v6 :: v_dual_lshlrev_b32 v78, 2, v7
	v_cmp_gt_i32_e64 s1, s12, v28
	v_max_num_f32_e32 v5, v5, v6
	ds_bpermute_b32 v6, v78, v5
	s_wait_dscnt 0x0
	v_max_num_f32_e32 v6, v6, v6
	s_delay_alu instid0(VALU_DEP_1)
	v_dual_max_num_f32 v6, v5, v6 :: v_dual_mov_b32 v5, 0
	ds_bpermute_b32 v6, v5, v6
	s_and_saveexec_b32 s19, s1
	s_cbranch_execz .LBB183_412
; %bb.409:
	v_lshl_add_u32 v7, v28, 2, 0x1a0
	v_dual_mov_b32 v5, 0 :: v_dual_mov_b32 v8, v28
	s_mov_b32 s27, 0
.LBB183_410:                            ; =>This Inner Loop Header: Depth=1
	ds_load_b32 v9, v7
	v_add_nc_u32_e32 v8, 0x80, v8
	s_delay_alu instid0(VALU_DEP_1) | instskip(SKIP_3) | instid1(VALU_DEP_1)
	v_cmp_le_i32_e64 s3, s12, v8
	s_or_b32 s27, s3, s27
	s_wait_dscnt 0x0
	v_sub_f32_e32 v9, v9, v6
	v_mul_f32_e32 v9, 0x3fb8aa3b, v9
	s_delay_alu instid0(VALU_DEP_1)
	v_exp_f32_e32 v9, v9
	ds_store_b32 v7, v9
	v_nop
	v_add_f32_e32 v5, v5, v9
	v_add_nc_u32_e32 v7, 0x200, v7
	s_and_not1_b32 exec_lo, exec_lo, s27
	s_cbranch_execnz .LBB183_410
; %bb.411:
	s_or_b32 exec_lo, exec_lo, s27
.LBB183_412:
	s_delay_alu instid0(SALU_CYCLE_1)
	s_or_b32 exec_lo, exec_lo, s19
	ds_bpermute_b32 v0, v0, v5
	s_wait_dscnt 0x0
	v_add_f32_e32 v0, v5, v0
	ds_bpermute_b32 v1, v1, v0
	s_wait_dscnt 0x0
	v_add_f32_e32 v0, v0, v1
	;; [unrolled: 3-line block ×5, first 2 shown]
	s_and_saveexec_b32 s3, vcc_lo
; %bb.413:
	ds_store_b32 v3, v0 offset:400
; %bb.414:
	s_or_b32 exec_lo, exec_lo, s3
	s_wait_dscnt 0x0
	s_barrier_signal -1
	s_barrier_wait -1
	s_and_saveexec_b32 s3, s0
; %bb.415:
	ds_load_b32 v0, v4 offset:400
; %bb.416:
	s_or_b32 exec_lo, exec_lo, s3
	s_wait_dscnt 0x0
	ds_bpermute_b32 v1, v77, v0
	s_wait_dscnt 0x0
	v_dual_mov_b32 v7, 0 :: v_dual_add_f32 v0, v0, v1
	ds_bpermute_b32 v1, v78, v0
	s_wait_dscnt 0x0
	v_add_f32_e32 v0, v0, v1
	ds_bpermute_b32 v0, v7, v0
	s_and_saveexec_b32 s0, s1
	s_cbranch_execz .LBB183_429
; %bb.417:
	s_wait_dscnt 0x0
	v_add_f32_e32 v0, 0x358637bd, v0
	s_mov_b32 s3, -1
	s_mov_b32 s1, exec_lo
	s_delay_alu instid0(VALU_DEP_1) | instskip(NEXT) | instid1(VALU_DEP_1)
	v_div_scale_f32 v1, null, v0, v0, 1.0
	v_rcp_f32_e32 v3, v1
	v_nop
	s_delay_alu instid0(TRANS32_DEP_1) | instskip(NEXT) | instid1(VALU_DEP_1)
	v_fma_f32 v2, -v1, v3, 1.0
	v_fmac_f32_e32 v3, v2, v3
	v_div_scale_f32 v4, vcc_lo, 1.0, v0, 1.0
	s_delay_alu instid0(VALU_DEP_1) | instskip(NEXT) | instid1(VALU_DEP_1)
	v_mul_f32_e32 v5, v4, v3
	v_fma_f32 v2, -v1, v5, v4
	s_delay_alu instid0(VALU_DEP_1) | instskip(SKIP_1) | instid1(VALU_DEP_2)
	v_fmac_f32_e32 v5, v2, v3
	v_xad_u32 v2, v28, -1, s12
	v_fma_f32 v1, -v1, v5, v4
	s_delay_alu instid0(VALU_DEP_1) | instskip(NEXT) | instid1(VALU_DEP_1)
	v_div_fmas_f32 v1, v1, v3, v5
	v_div_fixup_f32 v0, v1, v0, 1.0
	v_mov_b32_e32 v1, v28
	v_cmpx_lt_u32_e32 0x7f, v2
	s_cbranch_execz .LBB183_426
; %bb.418:
	s_delay_alu instid0(VALU_DEP_3) | instskip(NEXT) | instid1(VALU_DEP_1)
	v_dual_mov_b32 v1, v0 :: v_dual_lshrrev_b32 v2, 7, v2
	v_dual_mov_b32 v6, 0 :: v_dual_add_nc_u32 v3, -1, v2
	s_delay_alu instid0(VALU_DEP_1) | instskip(SKIP_1) | instid1(VALU_DEP_2)
	v_lshrrev_b32_e32 v4, 1, v3
	v_cmp_lt_u32_e32 vcc_lo, 13, v3
	v_add_nc_u32_e32 v3, 1, v4
	s_and_saveexec_b32 s3, vcc_lo
	s_cbranch_execz .LBB183_422
; %bb.419:
	s_delay_alu instid0(VALU_DEP_1)
	v_and_b32_e32 v4, -8, v3
	v_lshl_add_u32 v5, v28, 2, 0x1a0
	s_mov_b32 s19, 0
	s_mov_b32 s27, 0
.LBB183_420:                            ; =>This Inner Loop Header: Depth=1
	ds_load_2addr_stride64_b32 v[8:9], v5 offset1:2
	ds_load_2addr_stride64_b32 v[10:11], v5 offset0:4 offset1:6
	ds_load_2addr_stride64_b32 v[12:13], v5 offset0:8 offset1:10
	;; [unrolled: 1-line block ×7, first 2 shown]
	s_add_co_i32 s27, s27, 16
	s_delay_alu instid0(SALU_CYCLE_1) | instskip(NEXT) | instid1(VALU_DEP_1)
	v_dual_add_nc_u32 v4, -8, v4 :: v_dual_mov_b32 v6, s27
	v_cmp_eq_u32_e32 vcc_lo, 0, v4
	s_or_b32 s19, vcc_lo, s19
	s_wait_dscnt 0x7
	v_pk_mul_f32 v[8:9], v[0:1], v[8:9]
	s_wait_dscnt 0x6
	v_pk_mul_f32 v[10:11], v[0:1], v[10:11]
	;; [unrolled: 2-line block ×8, first 2 shown]
	ds_store_2addr_stride64_b32 v5, v8, v9 offset1:2
	ds_store_2addr_stride64_b32 v5, v10, v11 offset0:4 offset1:6
	ds_store_2addr_stride64_b32 v5, v12, v13 offset0:8 offset1:10
	;; [unrolled: 1-line block ×7, first 2 shown]
	v_add_nc_u32_e32 v5, 0x2000, v5
	s_and_not1_b32 exec_lo, exec_lo, s19
	s_cbranch_execnz .LBB183_420
; %bb.421:
	s_or_b32 exec_lo, exec_lo, s19
.LBB183_422:
	s_delay_alu instid0(SALU_CYCLE_1) | instskip(NEXT) | instid1(VALU_DEP_1)
	s_or_b32 exec_lo, exec_lo, s3
	v_and_b32_e32 v3, 7, v3
	s_mov_b32 s19, 0
	s_mov_b32 s3, exec_lo
	s_delay_alu instid0(VALU_DEP_1)
	v_cmpx_ne_u32_e32 0, v3
	s_cbranch_execz .LBB183_425
; %bb.423:
	v_lshlrev_b32_e32 v4, 9, v6
	s_delay_alu instid0(VALU_DEP_1)
	v_add3_u32 v4, v4, v24, 0x1a0
.LBB183_424:                            ; =>This Inner Loop Header: Depth=1
	ds_load_2addr_stride64_b32 v[8:9], v4 offset1:2
	v_add_nc_u32_e32 v3, -1, v3
	s_delay_alu instid0(VALU_DEP_1)
	v_cmp_eq_u32_e32 vcc_lo, 0, v3
	s_or_b32 s19, vcc_lo, s19
	s_wait_dscnt 0x0
	v_pk_mul_f32 v[8:9], v[0:1], v[8:9]
	ds_store_2addr_stride64_b32 v4, v8, v9 offset1:2
	v_add_nc_u32_e32 v4, 0x400, v4
	s_and_not1_b32 exec_lo, exec_lo, s19
	s_cbranch_execnz .LBB183_424
.LBB183_425:
	s_or_b32 exec_lo, exec_lo, s3
	v_add_nc_u32_e32 v1, 1, v2
	s_delay_alu instid0(VALU_DEP_1) | instskip(NEXT) | instid1(VALU_DEP_1)
	v_and_b32_e32 v2, 0x3fffffe, v1
	v_cmp_ne_u32_e32 vcc_lo, v1, v2
	v_lshl_add_u32 v1, v2, 7, v28
	s_or_not1_b32 s3, vcc_lo, exec_lo
.LBB183_426:
	s_or_b32 exec_lo, exec_lo, s1
	s_delay_alu instid0(SALU_CYCLE_1)
	s_and_b32 exec_lo, exec_lo, s3
	s_cbranch_execz .LBB183_429
; %bb.427:
	v_lshl_add_u32 v2, v1, 2, 0x1a0
	s_mov_b32 s1, 0
.LBB183_428:                            ; =>This Inner Loop Header: Depth=1
	ds_load_b32 v3, v2
	v_add_nc_u32_e32 v1, 0x80, v1
	s_delay_alu instid0(VALU_DEP_1)
	v_cmp_le_i32_e32 vcc_lo, s12, v1
	s_or_b32 s1, vcc_lo, s1
	s_wait_dscnt 0x0
	v_mul_f32_e32 v3, v0, v3
	ds_store_b32 v2, v3
	v_add_nc_u32_e32 v2, 0x200, v2
	s_and_not1_b32 exec_lo, exec_lo, s1
	s_cbranch_execnz .LBB183_428
.LBB183_429:
	s_or_b32 exec_lo, exec_lo, s0
	v_dual_mov_b32 v6, 0 :: v_dual_bitop2_b32 v79, 3, v28 bitop3:0x40
	v_dual_mov_b32 v11, 0 :: v_dual_mov_b32 v10, 0
	v_dual_mov_b32 v13, 0 :: v_dual_mov_b32 v12, 0
	v_dual_mov_b32 v15, 0 :: v_dual_mov_b32 v14, 0
	v_dual_mov_b32 v17, 0 :: v_dual_mov_b32 v16, 0
	v_dual_mov_b32 v9, 0 :: v_dual_mov_b32 v8, 0
	s_wait_dscnt 0x0
	s_barrier_signal -1
	s_barrier_wait -1
	s_and_saveexec_b32 s1, s2
	s_cbranch_execz .LBB183_843
; %bb.430:
	s_abs_i32 s12, s14
	v_and_b32_e32 v18, 0x7c, v24
	s_cvt_f32_u32 s0, s12
	v_dual_mov_b32 v19, 0 :: v_dual_lshlrev_b32 v1, 4, v79
	s_ashr_i32 s19, s18, 31
	s_delay_alu instid0(SALU_CYCLE_1)
	v_rcp_iflag_f32_e32 v0, s0
	s_wait_kmcnt 0x0
	s_add_nc_u64 s[8:9], s[8:9], s[18:19]
	s_lshl_b64 s[24:25], s[24:25], 2
	v_add_nc_u64_e32 v[20:21], s[8:9], v[18:19]
	v_and_b32_e32 v18, 0x7c, v25
	s_add_nc_u64 s[8:9], s[22:23], s[24:25]
	s_sub_co_i32 s2, 0, s12
	v_readfirstlane_b32 s0, v0
	v_lshl_or_b32 v0, v29, 6, v1
	v_add_nc_u64_e32 v[22:23], s[8:9], v[18:19]
	v_dual_mov_b32 v88, v28 :: v_dual_bitop2_b32 v80, 12, v24 bitop3:0x40
	s_mul_f32 s0, s0, 0x4f7ffffe
	v_dual_mov_b32 v81, v29 :: v_dual_mov_b32 v8, 0
	v_dual_mov_b32 v9, 0 :: v_dual_mov_b32 v89, v29
	s_delay_alu instid0(SALU_CYCLE_1) | instskip(SKIP_2) | instid1(SALU_CYCLE_1)
	s_cvt_u32_f32 s0, s0
	v_dual_mov_b32 v17, 0 :: v_dual_add_nc_u32 v82, 0x1a0, v0
	v_dual_mov_b32 v16, 0 :: v_dual_mov_b32 v14, 0
	s_mul_i32 s2, s2, s0
	v_dual_mov_b32 v15, 0 :: v_dual_mov_b32 v12, 0
	v_dual_mov_b32 v13, 0 :: v_dual_mov_b32 v10, 0
	;; [unrolled: 1-line block ×3, first 2 shown]
	v_mov_b32_e32 v7, 0
	s_mov_b32 s3, 0
	s_mul_hi_u32 s2, s0, s2
	s_sub_co_i32 s13, s36, s13
	s_mov_b32 s14, s17
	s_add_co_i32 s17, s26, -1
	s_mov_b32 s18, s34
	s_add_co_i32 s2, s0, s2
	s_mov_b32 s19, s3
	s_branch .LBB183_433
.LBB183_431:                            ;   in Loop: Header=BB183_433 Depth=1
	s_or_b32 exec_lo, exec_lo, s0
	s_wait_dscnt 0x0
	v_dual_mul_f32 v18, v2, v68 :: v_dual_mul_f32 v58, v2, v58
	v_dual_mul_f32 v51, v2, v64 :: v_dual_mul_f32 v54, v2, v54
	s_delay_alu instid0(VALU_DEP_2) | instskip(NEXT) | instid1(VALU_DEP_2)
	v_dual_mul_f32 v48, v2, v48 :: v_dual_fmac_f32 v18, v3, v69
	v_dual_mul_f32 v60, v2, v60 :: v_dual_fmac_f32 v51, v3, v65
	s_delay_alu instid0(VALU_DEP_4) | instskip(NEXT) | instid1(VALU_DEP_3)
	v_dual_mul_f32 v44, v2, v44 :: v_dual_fmac_f32 v58, v3, v59
	v_dual_fmac_f32 v48, v3, v49 :: v_dual_fmac_f32 v18, v4, v66
	s_delay_alu instid0(VALU_DEP_3) | instskip(NEXT) | instid1(VALU_DEP_3)
	v_dual_fmac_f32 v51, v4, v62 :: v_dual_fmac_f32 v60, v3, v61
	v_dual_fmac_f32 v54, v3, v55 :: v_dual_fmac_f32 v44, v3, v45
	s_delay_alu instid0(VALU_DEP_3) | instskip(NEXT) | instid1(VALU_DEP_3)
	v_dual_fmac_f32 v18, v5, v67 :: v_dual_fmac_f32 v48, v4, v46
	v_dual_fmac_f32 v60, v4, v0 :: v_dual_fmac_f32 v51, v5, v63
	s_delay_alu instid0(VALU_DEP_2) | instskip(NEXT) | instid1(VALU_DEP_4)
	v_dual_fmac_f32 v54, v4, v52 :: v_dual_add_f32 v6, v6, v18
	v_dual_fmac_f32 v58, v4, v56 :: v_dual_fmac_f32 v44, v4, v42
	s_delay_alu instid0(VALU_DEP_2) | instskip(SKIP_2) | instid1(VALU_DEP_4)
	v_dual_add_f32 v11, v11, v51 :: v_dual_fmac_f32 v54, v5, v53
	v_fmac_f32_e32 v48, v5, v47
	v_fmac_f32_e32 v60, v5, v1
	v_dual_fmac_f32 v58, v5, v57 :: v_dual_fmac_f32 v44, v5, v43
	s_delay_alu instid0(VALU_DEP_4) | instskip(SKIP_1) | instid1(VALU_DEP_4)
	v_dual_add_f32 v12, v12, v54 :: v_dual_mul_f32 v18, v2, v40
	v_mul_f32_e32 v26, v2, v26
	v_add_f32_e32 v10, v10, v60
	v_mul_f32_e32 v32, v2, v32
	v_mul_f32_e32 v36, v2, v36
	v_pk_mul_f32 v[0:1], v[2:3], v[70:71]
	v_dual_add_f32 v14, v14, v44 :: v_dual_fmac_f32 v18, v3, v41
	s_delay_alu instid0(VALU_DEP_4) | instskip(NEXT) | instid1(VALU_DEP_4)
	v_fmac_f32_e32 v32, v3, v33
	v_dual_fmac_f32 v36, v3, v37 :: v_dual_fmac_f32 v26, v3, v27
	s_delay_alu instid0(VALU_DEP_4) | instskip(SKIP_2) | instid1(VALU_DEP_4)
	v_add_f32_e32 v0, v1, v0
	v_pk_mul_f32 v[2:3], v[4:5], v[28:29]
	v_fmac_f32_e32 v18, v4, v38
	v_dual_fmac_f32 v36, v4, v34 :: v_dual_fmac_f32 v26, v4, v24
	v_dual_add_f32 v13, v13, v58 :: v_dual_add_f32 v15, v15, v48
	s_delay_alu instid0(VALU_DEP_4) | instskip(NEXT) | instid1(VALU_DEP_4)
	v_dual_add_f32 v0, v2, v0 :: v_dual_fmac_f32 v32, v4, v30
	v_fmac_f32_e32 v18, v5, v39
	s_delay_alu instid0(VALU_DEP_4) | instskip(NEXT) | instid1(VALU_DEP_3)
	v_dual_fmac_f32 v36, v5, v35 :: v_dual_fmac_f32 v26, v5, v25
	v_dual_add_f32 v0, v3, v0 :: v_dual_fmac_f32 v32, v5, v31
	s_delay_alu instid0(VALU_DEP_2) | instskip(NEXT) | instid1(VALU_DEP_2)
	v_dual_add_f32 v17, v17, v18 :: v_dual_add_f32 v16, v16, v36
	v_dual_add_f32 v8, v8, v26 :: v_dual_add_f32 v7, v7, v0
	s_delay_alu instid0(VALU_DEP_3)
	v_add_f32_e32 v9, v9, v32
.LBB183_432:                            ;   in Loop: Header=BB183_433 Depth=1
	s_or_b32 exec_lo, exec_lo, s22
	v_dual_add_nc_u32 v81, 4, v81 :: v_dual_add_nc_u32 v50, 64, v50
	v_add_nc_u64_e32 v[22:23], 16, v[22:23]
	v_add_nc_u32_e32 v82, 0x100, v82
	s_delay_alu instid0(VALU_DEP_3) | instskip(SKIP_1) | instid1(SALU_CYCLE_1)
	v_cmp_le_i32_e32 vcc_lo, s26, v81
	s_or_b32 s19, vcc_lo, s19
	s_and_not1_b32 exec_lo, exec_lo, s19
	s_cbranch_execz .LBB183_842
.LBB183_433:                            ; =>This Inner Loop Header: Depth=1
	v_mov_b32_e32 v51, v19
	s_delay_alu instid0(VALU_DEP_1) | instskip(NEXT) | instid1(VALU_DEP_1)
	v_mul_u64_e32 v[0:1], s[20:21], v[50:51]
	v_mul_lo_u32 v0, v1, s16
	s_delay_alu instid0(VALU_DEP_1) | instskip(NEXT) | instid1(VALU_DEP_1)
	v_sub_nc_u32_e32 v0, v50, v0
	v_subrev_nc_u32_e32 v3, s16, v0
	v_cmp_le_u32_e32 vcc_lo, s16, v0
	s_delay_alu instid0(VALU_DEP_2) | instskip(NEXT) | instid1(VALU_DEP_1)
	v_dual_add_nc_u32 v2, 1, v1 :: v_dual_cndmask_b32 v0, v0, v3, vcc_lo
	v_cndmask_b32_e32 v1, v1, v2, vcc_lo
	s_delay_alu instid0(VALU_DEP_2) | instskip(NEXT) | instid1(VALU_DEP_2)
	v_cmp_le_u32_e32 vcc_lo, s16, v0
	v_add_nc_u32_e32 v2, 1, v1
	s_delay_alu instid0(VALU_DEP_1) | instskip(NEXT) | instid1(VALU_DEP_1)
	v_cndmask_b32_e32 v0, v1, v2, vcc_lo
	v_xor_b32_e32 v0, s15, v0
	s_delay_alu instid0(VALU_DEP_1) | instskip(NEXT) | instid1(VALU_DEP_1)
	v_subrev_nc_u32_e32 v2, s15, v0
	v_add_nc_u32_e32 v3, s35, v2
	v_cmp_lt_i32_e64 s0, s13, v2
	s_delay_alu instid0(VALU_DEP_2) | instskip(NEXT) | instid1(VALU_DEP_1)
	v_sub_nc_u32_e32 v0, 0, v3
	v_dual_ashrrev_i32 v3, 31, v3 :: v_dual_max_i32 v18, v3, v0
	s_delay_alu instid0(VALU_DEP_1) | instskip(NEXT) | instid1(VALU_DEP_1)
	v_mul_u64_e32 v[0:1], s[2:3], v[18:19]
	v_mul_lo_u32 v0, v1, s12
	s_delay_alu instid0(VALU_DEP_1) | instskip(NEXT) | instid1(VALU_DEP_1)
	v_sub_nc_u32_e32 v0, v18, v0
	v_subrev_nc_u32_e32 v1, s12, v0
	v_cmp_le_u32_e32 vcc_lo, s12, v0
	s_delay_alu instid0(VALU_DEP_2) | instskip(NEXT) | instid1(VALU_DEP_1)
	v_cndmask_b32_e32 v0, v0, v1, vcc_lo
	v_subrev_nc_u32_e32 v1, s12, v0
	v_cmp_le_u32_e32 vcc_lo, s12, v0
	s_delay_alu instid0(VALU_DEP_2) | instskip(NEXT) | instid1(VALU_DEP_1)
	v_cndmask_b32_e32 v0, v0, v1, vcc_lo
	v_xor_b32_e32 v0, v0, v3
	s_delay_alu instid0(VALU_DEP_1) | instskip(NEXT) | instid1(VALU_DEP_1)
	v_sub_nc_u32_e32 v0, v0, v3
	v_cmp_eq_u32_e32 vcc_lo, 0, v0
	s_or_b32 s0, vcc_lo, s0
	s_delay_alu instid0(SALU_CYCLE_1)
	s_and_saveexec_b32 s22, s0
	s_cbranch_execz .LBB183_432
; %bb.434:                              ;   in Loop: Header=BB183_433 Depth=1
	global_load_b32 v0, v[22:23], off
	ds_load_b128 v[2:5], v82
	s_load_b32 s8, s[10:11], 0x0
	v_mov_b64_e32 v[24:25], 0
	s_mov_b32 s0, exec_lo
	s_wait_loadcnt 0x0
	v_mad_nc_i64_i32 v[28:29], v0, s14, v[20:21]
	v_mov_b64_e32 v[0:1], 0
	global_load_b32 v32, v[28:29], off
	s_wait_loadcnt 0x0
	v_and_b32_e32 v18, 0xff, v32
	s_delay_alu instid0(VALU_DEP_1)
	v_cmpx_ne_u16_e32 0, v18
	s_cbranch_execz .LBB183_442
; %bb.435:                              ;   in Loop: Header=BB183_433 Depth=1
	v_mov_b64_e32 v[24:25], 0x80000000
	s_mov_b32 s9, exec_lo
	v_cmpx_ne_u16_e32 0x80, v18
	s_cbranch_execz .LBB183_441
; %bb.436:                              ;   in Loop: Header=BB183_433 Depth=1
	v_mov_b64_e32 v[24:25], 0x7f800001
	v_and_b32_e32 v26, 0x7f, v32
	s_mov_b32 s23, exec_lo
	s_delay_alu instid0(VALU_DEP_1)
	v_cmpx_ne_u32_e32 0x7f, v26
	s_cbranch_execz .LBB183_440
; %bb.437:                              ;   in Loop: Header=BB183_433 Depth=1
	v_dual_lshrrev_b32 v24, 3, v26 :: v_dual_bitop2_b32 v18, 7, v32 bitop3:0x40
	s_mov_b32 s24, exec_lo
	v_cmpx_gt_u32_e32 8, v26
; %bb.438:                              ;   in Loop: Header=BB183_433 Depth=1
	s_delay_alu instid0(VALU_DEP_2) | instskip(NEXT) | instid1(VALU_DEP_1)
	v_clz_i32_u32_e32 v24, v18
	v_min_u32_e32 v24, 32, v24
	s_delay_alu instid0(VALU_DEP_1) | instskip(NEXT) | instid1(VALU_DEP_1)
	v_subrev_nc_u32_e32 v25, 28, v24
	v_lshlrev_b64_e32 v[26:27], v25, v[18:19]
	s_delay_alu instid0(VALU_DEP_1)
	v_dual_sub_nc_u32 v24, 29, v24 :: v_dual_bitop2_b32 v18, 7, v26 bitop3:0x40
; %bb.439:                              ;   in Loop: Header=BB183_433 Depth=1
	s_or_b32 exec_lo, exec_lo, s24
	s_delay_alu instid0(VALU_DEP_1) | instskip(NEXT) | instid1(VALU_DEP_2)
	v_dual_lshlrev_b32 v25, 24, v32 :: v_dual_lshlrev_b32 v18, 20, v18
	v_lshl_add_u32 v24, v24, 23, 0x3c000000
	s_delay_alu instid0(VALU_DEP_2) | instskip(NEXT) | instid1(VALU_DEP_1)
	v_and_b32_e32 v25, 0x80000000, v25
	v_or3_b32 v18, v18, v25, v24
	s_delay_alu instid0(VALU_DEP_1)
	v_mov_b64_e32 v[24:25], v[18:19]
.LBB183_440:                            ;   in Loop: Header=BB183_433 Depth=1
	s_or_b32 exec_lo, exec_lo, s23
.LBB183_441:                            ;   in Loop: Header=BB183_433 Depth=1
	s_delay_alu instid0(SALU_CYCLE_1)
	s_or_b32 exec_lo, exec_lo, s9
.LBB183_442:                            ;   in Loop: Header=BB183_433 Depth=1
	s_delay_alu instid0(SALU_CYCLE_1) | instskip(SKIP_2) | instid1(VALU_DEP_1)
	s_or_b32 exec_lo, exec_lo, s0
	v_lshrrev_b16 v18, 8, v32
	s_mov_b32 s0, exec_lo
	v_cmpx_ne_u16_e32 0, v18
	s_cbranch_execz .LBB183_450
; %bb.443:                              ;   in Loop: Header=BB183_433 Depth=1
	v_mov_b64_e32 v[0:1], 0x8000000000000000
	s_mov_b32 s9, exec_lo
	v_cmpx_ne_u16_e32 0x80, v18
	s_cbranch_execz .LBB183_449
; %bb.444:                              ;   in Loop: Header=BB183_433 Depth=1
	v_and_b32_e32 v18, 0xffff, v18
	v_mov_b64_e32 v[0:1], 0x7f80000100000000
	s_mov_b32 s23, exec_lo
	s_delay_alu instid0(VALU_DEP_2) | instskip(NEXT) | instid1(VALU_DEP_1)
	v_and_b32_e32 v26, 0x7f, v18
	v_cmpx_ne_u32_e32 0x7f, v26
	s_cbranch_execz .LBB183_448
; %bb.445:                              ;   in Loop: Header=BB183_433 Depth=1
	v_and_b32_e32 v18, 7, v18
	v_lshrrev_b32_e32 v0, 3, v26
	s_mov_b32 s24, exec_lo
	v_cmpx_gt_u32_e32 8, v26
; %bb.446:                              ;   in Loop: Header=BB183_433 Depth=1
	s_delay_alu instid0(VALU_DEP_3) | instskip(NEXT) | instid1(VALU_DEP_1)
	v_clz_i32_u32_e32 v0, v18
	v_min_u32_e32 v0, 32, v0
	s_delay_alu instid0(VALU_DEP_1) | instskip(NEXT) | instid1(VALU_DEP_1)
	v_subrev_nc_u32_e32 v1, 28, v0
	v_lshlrev_b64_e32 v[26:27], v1, v[18:19]
	s_delay_alu instid0(VALU_DEP_1)
	v_dual_sub_nc_u32 v0, 29, v0 :: v_dual_bitop2_b32 v18, 7, v26 bitop3:0x40
; %bb.447:                              ;   in Loop: Header=BB183_433 Depth=1
	s_or_b32 exec_lo, exec_lo, s24
	s_delay_alu instid0(VALU_DEP_1) | instskip(NEXT) | instid1(VALU_DEP_2)
	v_dual_lshlrev_b32 v1, 16, v32 :: v_dual_lshlrev_b32 v18, 20, v18
	v_lshl_add_u32 v0, v0, 23, 0x3c000000
	s_delay_alu instid0(VALU_DEP_2) | instskip(NEXT) | instid1(VALU_DEP_1)
	v_and_b32_e32 v1, 0x80000000, v1
	v_or3_b32 v1, v18, v1, v0
	v_mov_b32_e32 v0, v19
.LBB183_448:                            ;   in Loop: Header=BB183_433 Depth=1
	s_or_b32 exec_lo, exec_lo, s23
.LBB183_449:                            ;   in Loop: Header=BB183_433 Depth=1
	s_delay_alu instid0(SALU_CYCLE_1)
	s_or_b32 exec_lo, exec_lo, s9
.LBB183_450:                            ;   in Loop: Header=BB183_433 Depth=1
	s_delay_alu instid0(SALU_CYCLE_1) | instskip(SKIP_4) | instid1(VALU_DEP_3)
	s_or_b32 exec_lo, exec_lo, s0
	v_lshrrev_b32_e32 v33, 16, v32
	v_mov_b64_e32 v[26:27], 0
	v_mov_b64_e32 v[30:31], 0
	s_mov_b32 s0, exec_lo
	v_and_b32_e32 v18, 0xff, v33
	s_delay_alu instid0(VALU_DEP_1)
	v_cmpx_ne_u16_e32 0, v18
	s_cbranch_execz .LBB183_458
; %bb.451:                              ;   in Loop: Header=BB183_433 Depth=1
	v_mov_b64_e32 v[30:31], 0x80000000
	s_mov_b32 s9, exec_lo
	v_cmpx_ne_u16_e32 0x80, v18
	s_cbranch_execz .LBB183_457
; %bb.452:                              ;   in Loop: Header=BB183_433 Depth=1
	v_mov_b64_e32 v[30:31], 0x7f800001
	v_bfe_u32 v34, v32, 16, 7
	s_mov_b32 s23, exec_lo
	s_delay_alu instid0(VALU_DEP_1)
	v_cmpx_ne_u32_e32 0x7f, v34
	s_cbranch_execz .LBB183_456
; %bb.453:                              ;   in Loop: Header=BB183_433 Depth=1
	v_dual_lshrrev_b32 v30, 3, v34 :: v_dual_bitop2_b32 v18, 7, v33 bitop3:0x40
	s_mov_b32 s24, exec_lo
	v_cmpx_gt_u32_e32 8, v34
; %bb.454:                              ;   in Loop: Header=BB183_433 Depth=1
	s_delay_alu instid0(VALU_DEP_2) | instskip(NEXT) | instid1(VALU_DEP_1)
	v_clz_i32_u32_e32 v30, v18
	v_min_u32_e32 v30, 32, v30
	s_delay_alu instid0(VALU_DEP_1) | instskip(SKIP_1) | instid1(VALU_DEP_2)
	v_subrev_nc_u32_e32 v31, 28, v30
	v_sub_nc_u32_e32 v30, 29, v30
	v_lshlrev_b64_e32 v[34:35], v31, v[18:19]
	s_delay_alu instid0(VALU_DEP_1)
	v_and_b32_e32 v18, 7, v34
; %bb.455:                              ;   in Loop: Header=BB183_433 Depth=1
	s_or_b32 exec_lo, exec_lo, s24
	s_delay_alu instid0(VALU_DEP_1) | instskip(SKIP_1) | instid1(VALU_DEP_2)
	v_dual_lshlrev_b32 v31, 24, v33 :: v_dual_lshlrev_b32 v18, 20, v18
	v_lshl_add_u32 v30, v30, 23, 0x3c000000
	v_and_b32_e32 v31, 0x80000000, v31
	s_delay_alu instid0(VALU_DEP_1) | instskip(NEXT) | instid1(VALU_DEP_1)
	v_or3_b32 v18, v18, v31, v30
	v_mov_b64_e32 v[30:31], v[18:19]
.LBB183_456:                            ;   in Loop: Header=BB183_433 Depth=1
	s_or_b32 exec_lo, exec_lo, s23
.LBB183_457:                            ;   in Loop: Header=BB183_433 Depth=1
	s_delay_alu instid0(SALU_CYCLE_1)
	s_or_b32 exec_lo, exec_lo, s9
.LBB183_458:                            ;   in Loop: Header=BB183_433 Depth=1
	s_delay_alu instid0(SALU_CYCLE_1) | instskip(NEXT) | instid1(SALU_CYCLE_1)
	s_or_b32 exec_lo, exec_lo, s0
	s_mov_b32 s0, exec_lo
	v_cmpx_lt_u32_e32 0xffffff, v32
	s_cbranch_execz .LBB183_466
; %bb.459:                              ;   in Loop: Header=BB183_433 Depth=1
	v_mov_b64_e32 v[26:27], 0x8000000000000000
	v_lshrrev_b32_e32 v33, 24, v32
	s_mov_b32 s9, exec_lo
	s_delay_alu instid0(VALU_DEP_1)
	v_cmpx_ne_u32_e32 0x80, v33
	s_cbranch_execz .LBB183_465
; %bb.460:                              ;   in Loop: Header=BB183_433 Depth=1
	v_mov_b64_e32 v[26:27], 0x7f80000100000000
	v_bfe_u32 v32, v32, 24, 7
	s_mov_b32 s23, exec_lo
	s_delay_alu instid0(VALU_DEP_1)
	v_cmpx_ne_u32_e32 0x7f, v32
	s_cbranch_execz .LBB183_464
; %bb.461:                              ;   in Loop: Header=BB183_433 Depth=1
	v_dual_lshrrev_b32 v26, 3, v32 :: v_dual_bitop2_b32 v18, 7, v33 bitop3:0x40
	s_mov_b32 s24, exec_lo
	v_cmpx_gt_u32_e32 8, v32
; %bb.462:                              ;   in Loop: Header=BB183_433 Depth=1
	s_delay_alu instid0(VALU_DEP_2) | instskip(NEXT) | instid1(VALU_DEP_1)
	v_clz_i32_u32_e32 v26, v18
	v_min_u32_e32 v26, 32, v26
	s_delay_alu instid0(VALU_DEP_1) | instskip(SKIP_1) | instid1(VALU_DEP_2)
	v_subrev_nc_u32_e32 v27, 28, v26
	v_sub_nc_u32_e32 v26, 29, v26
	v_lshlrev_b64_e32 v[34:35], v27, v[18:19]
	s_delay_alu instid0(VALU_DEP_1)
	v_and_b32_e32 v18, 7, v34
; %bb.463:                              ;   in Loop: Header=BB183_433 Depth=1
	s_or_b32 exec_lo, exec_lo, s24
	s_delay_alu instid0(VALU_DEP_1) | instskip(SKIP_1) | instid1(VALU_DEP_2)
	v_dual_lshlrev_b32 v27, 24, v33 :: v_dual_lshlrev_b32 v18, 20, v18
	v_lshl_add_u32 v26, v26, 23, 0x3c000000
	v_and_b32_e32 v27, 0x80000000, v27
	s_delay_alu instid0(VALU_DEP_1)
	v_or3_b32 v27, v18, v27, v26
	v_mov_b32_e32 v26, v19
.LBB183_464:                            ;   in Loop: Header=BB183_433 Depth=1
	s_or_b32 exec_lo, exec_lo, s23
.LBB183_465:                            ;   in Loop: Header=BB183_433 Depth=1
	s_delay_alu instid0(SALU_CYCLE_1)
	s_or_b32 exec_lo, exec_lo, s9
.LBB183_466:                            ;   in Loop: Header=BB183_433 Depth=1
	s_delay_alu instid0(SALU_CYCLE_1)
	s_or_b32 exec_lo, exec_lo, s0
	v_dual_add_nc_u32 v51, v80, v50 :: v_dual_bitop2_b32 v1, v1, v25 bitop3:0x54
	v_or_b32_e32 v0, v0, v24
	v_or_b32_e32 v25, v27, v31
	;; [unrolled: 1-line block ×3, first 2 shown]
	v_cmp_eq_u32_e32 vcc_lo, s17, v81
	v_add_nc_u32_e32 v83, 1, v51
	s_wait_kmcnt 0x0
	v_pk_mul_f32 v[26:27], s[8:9], v[0:1] op_sel_hi:[0,1]
	v_add_nc_u32_e32 v75, 2, v51
	v_pk_mul_f32 v[24:25], s[8:9], v[24:25] op_sel_hi:[0,1]
	v_add_nc_u32_e32 v74, 3, v51
	s_and_saveexec_b32 s9, vcc_lo
	s_cbranch_execz .LBB183_468
; %bb.467:                              ;   in Loop: Header=BB183_433 Depth=1
	v_cmp_gt_i32_e64 s0, s34, v51
	s_delay_alu instid0(VALU_DEP_1) | instskip(SKIP_1) | instid1(VALU_DEP_1)
	v_cndmask_b32_e64 v26, 0, v26, s0
	v_cmp_gt_i32_e64 s0, s34, v83
	v_cndmask_b32_e64 v27, 0, v27, s0
	v_cmp_gt_i32_e64 s0, s34, v75
	s_delay_alu instid0(VALU_DEP_1) | instskip(SKIP_1) | instid1(VALU_DEP_1)
	v_cndmask_b32_e64 v24, 0, v24, s0
	v_cmp_gt_i32_e64 s0, s34, v74
	v_cndmask_b32_e64 v25, 0, v25, s0
.LBB183_468:                            ;   in Loop: Header=BB183_433 Depth=1
	s_or_b32 exec_lo, exec_lo, s9
	global_load_b32 v36, v[28:29], off offset:128
	v_mov_b64_e32 v[0:1], 0
	v_mov_b64_e32 v[30:31], 0
	s_mov_b32 s9, exec_lo
	s_wait_loadcnt 0x0
	v_and_b32_e32 v18, 0xff, v36
	s_delay_alu instid0(VALU_DEP_1)
	v_cmpx_ne_u16_e32 0, v18
	s_cbranch_execz .LBB183_476
; %bb.469:                              ;   in Loop: Header=BB183_433 Depth=1
	v_mov_b64_e32 v[30:31], 0x80000000
	s_mov_b32 s23, exec_lo
	v_cmpx_ne_u16_e32 0x80, v18
	s_cbranch_execz .LBB183_475
; %bb.470:                              ;   in Loop: Header=BB183_433 Depth=1
	v_mov_b64_e32 v[30:31], 0x7f800001
	v_and_b32_e32 v32, 0x7f, v36
	s_mov_b32 s24, exec_lo
	s_delay_alu instid0(VALU_DEP_1)
	v_cmpx_ne_u32_e32 0x7f, v32
	s_cbranch_execz .LBB183_474
; %bb.471:                              ;   in Loop: Header=BB183_433 Depth=1
	v_and_b32_e32 v18, 7, v36
	v_lshrrev_b32_e32 v30, 3, v32
	s_mov_b32 s25, exec_lo
	v_cmpx_gt_u32_e32 8, v32
; %bb.472:                              ;   in Loop: Header=BB183_433 Depth=1
	s_delay_alu instid0(VALU_DEP_3) | instskip(NEXT) | instid1(VALU_DEP_1)
	v_clz_i32_u32_e32 v30, v18
	v_min_u32_e32 v30, 32, v30
	s_delay_alu instid0(VALU_DEP_1) | instskip(NEXT) | instid1(VALU_DEP_1)
	v_subrev_nc_u32_e32 v31, 28, v30
	v_lshlrev_b64_e32 v[32:33], v31, v[18:19]
	s_delay_alu instid0(VALU_DEP_1)
	v_dual_sub_nc_u32 v30, 29, v30 :: v_dual_bitop2_b32 v18, 7, v32 bitop3:0x40
; %bb.473:                              ;   in Loop: Header=BB183_433 Depth=1
	s_or_b32 exec_lo, exec_lo, s25
	s_delay_alu instid0(VALU_DEP_1) | instskip(NEXT) | instid1(VALU_DEP_2)
	v_dual_lshlrev_b32 v31, 24, v36 :: v_dual_lshlrev_b32 v18, 20, v18
	v_lshl_add_u32 v30, v30, 23, 0x3c000000
	s_delay_alu instid0(VALU_DEP_2) | instskip(NEXT) | instid1(VALU_DEP_1)
	v_and_b32_e32 v31, 0x80000000, v31
	v_or3_b32 v18, v18, v31, v30
	s_delay_alu instid0(VALU_DEP_1)
	v_mov_b64_e32 v[30:31], v[18:19]
.LBB183_474:                            ;   in Loop: Header=BB183_433 Depth=1
	s_or_b32 exec_lo, exec_lo, s24
.LBB183_475:                            ;   in Loop: Header=BB183_433 Depth=1
	s_delay_alu instid0(SALU_CYCLE_1)
	s_or_b32 exec_lo, exec_lo, s23
.LBB183_476:                            ;   in Loop: Header=BB183_433 Depth=1
	s_delay_alu instid0(SALU_CYCLE_1) | instskip(SKIP_2) | instid1(VALU_DEP_1)
	s_or_b32 exec_lo, exec_lo, s9
	v_lshrrev_b16 v18, 8, v36
	s_mov_b32 s9, exec_lo
	v_cmpx_ne_u16_e32 0, v18
	s_cbranch_execz .LBB183_484
; %bb.477:                              ;   in Loop: Header=BB183_433 Depth=1
	v_mov_b64_e32 v[0:1], 0x8000000000000000
	s_mov_b32 s23, exec_lo
	v_cmpx_ne_u16_e32 0x80, v18
	s_cbranch_execz .LBB183_483
; %bb.478:                              ;   in Loop: Header=BB183_433 Depth=1
	v_and_b32_e32 v18, 0xffff, v18
	v_mov_b64_e32 v[0:1], 0x7f80000100000000
	s_mov_b32 s24, exec_lo
	s_delay_alu instid0(VALU_DEP_2) | instskip(NEXT) | instid1(VALU_DEP_1)
	v_and_b32_e32 v32, 0x7f, v18
	v_cmpx_ne_u32_e32 0x7f, v32
	s_cbranch_execz .LBB183_482
; %bb.479:                              ;   in Loop: Header=BB183_433 Depth=1
	v_dual_lshrrev_b32 v0, 3, v32 :: v_dual_bitop2_b32 v18, 7, v18 bitop3:0x40
	s_mov_b32 s25, exec_lo
	v_cmpx_gt_u32_e32 8, v32
; %bb.480:                              ;   in Loop: Header=BB183_433 Depth=1
	s_delay_alu instid0(VALU_DEP_2) | instskip(NEXT) | instid1(VALU_DEP_1)
	v_clz_i32_u32_e32 v0, v18
	v_min_u32_e32 v0, 32, v0
	s_delay_alu instid0(VALU_DEP_1) | instskip(SKIP_1) | instid1(VALU_DEP_2)
	v_subrev_nc_u32_e32 v1, 28, v0
	v_sub_nc_u32_e32 v0, 29, v0
	v_lshlrev_b64_e32 v[32:33], v1, v[18:19]
	s_delay_alu instid0(VALU_DEP_1)
	v_and_b32_e32 v18, 7, v32
; %bb.481:                              ;   in Loop: Header=BB183_433 Depth=1
	s_or_b32 exec_lo, exec_lo, s25
	s_delay_alu instid0(VALU_DEP_1) | instskip(SKIP_1) | instid1(VALU_DEP_2)
	v_dual_lshlrev_b32 v1, 16, v36 :: v_dual_lshlrev_b32 v18, 20, v18
	v_lshl_add_u32 v0, v0, 23, 0x3c000000
	v_and_b32_e32 v1, 0x80000000, v1
	s_delay_alu instid0(VALU_DEP_1)
	v_or3_b32 v1, v18, v1, v0
	v_mov_b32_e32 v0, v19
.LBB183_482:                            ;   in Loop: Header=BB183_433 Depth=1
	s_or_b32 exec_lo, exec_lo, s24
.LBB183_483:                            ;   in Loop: Header=BB183_433 Depth=1
	s_delay_alu instid0(SALU_CYCLE_1)
	s_or_b32 exec_lo, exec_lo, s23
.LBB183_484:                            ;   in Loop: Header=BB183_433 Depth=1
	s_delay_alu instid0(SALU_CYCLE_1) | instskip(SKIP_4) | instid1(VALU_DEP_3)
	s_or_b32 exec_lo, exec_lo, s9
	v_lshrrev_b32_e32 v37, 16, v36
	v_mov_b64_e32 v[32:33], 0
	v_mov_b64_e32 v[34:35], 0
	s_mov_b32 s9, exec_lo
	v_and_b32_e32 v18, 0xff, v37
	s_delay_alu instid0(VALU_DEP_1)
	v_cmpx_ne_u16_e32 0, v18
	s_cbranch_execz .LBB183_492
; %bb.485:                              ;   in Loop: Header=BB183_433 Depth=1
	v_mov_b64_e32 v[34:35], 0x80000000
	s_mov_b32 s23, exec_lo
	v_cmpx_ne_u16_e32 0x80, v18
	s_cbranch_execz .LBB183_491
; %bb.486:                              ;   in Loop: Header=BB183_433 Depth=1
	v_mov_b64_e32 v[34:35], 0x7f800001
	v_bfe_u32 v38, v36, 16, 7
	s_mov_b32 s24, exec_lo
	s_delay_alu instid0(VALU_DEP_1)
	v_cmpx_ne_u32_e32 0x7f, v38
	s_cbranch_execz .LBB183_490
; %bb.487:                              ;   in Loop: Header=BB183_433 Depth=1
	v_dual_lshrrev_b32 v34, 3, v38 :: v_dual_bitop2_b32 v18, 7, v37 bitop3:0x40
	s_mov_b32 s25, exec_lo
	v_cmpx_gt_u32_e32 8, v38
; %bb.488:                              ;   in Loop: Header=BB183_433 Depth=1
	s_delay_alu instid0(VALU_DEP_2) | instskip(NEXT) | instid1(VALU_DEP_1)
	v_clz_i32_u32_e32 v34, v18
	v_min_u32_e32 v34, 32, v34
	s_delay_alu instid0(VALU_DEP_1) | instskip(SKIP_1) | instid1(VALU_DEP_2)
	v_subrev_nc_u32_e32 v35, 28, v34
	v_sub_nc_u32_e32 v34, 29, v34
	v_lshlrev_b64_e32 v[38:39], v35, v[18:19]
	s_delay_alu instid0(VALU_DEP_1)
	v_and_b32_e32 v18, 7, v38
; %bb.489:                              ;   in Loop: Header=BB183_433 Depth=1
	s_or_b32 exec_lo, exec_lo, s25
	s_delay_alu instid0(VALU_DEP_1) | instskip(SKIP_1) | instid1(VALU_DEP_2)
	v_dual_lshlrev_b32 v35, 24, v37 :: v_dual_lshlrev_b32 v18, 20, v18
	v_lshl_add_u32 v34, v34, 23, 0x3c000000
	v_and_b32_e32 v35, 0x80000000, v35
	s_delay_alu instid0(VALU_DEP_1) | instskip(NEXT) | instid1(VALU_DEP_1)
	v_or3_b32 v18, v18, v35, v34
	v_mov_b64_e32 v[34:35], v[18:19]
.LBB183_490:                            ;   in Loop: Header=BB183_433 Depth=1
	s_or_b32 exec_lo, exec_lo, s24
.LBB183_491:                            ;   in Loop: Header=BB183_433 Depth=1
	s_delay_alu instid0(SALU_CYCLE_1)
	s_or_b32 exec_lo, exec_lo, s23
.LBB183_492:                            ;   in Loop: Header=BB183_433 Depth=1
	s_delay_alu instid0(SALU_CYCLE_1) | instskip(NEXT) | instid1(SALU_CYCLE_1)
	s_or_b32 exec_lo, exec_lo, s9
	s_mov_b32 s9, exec_lo
	v_cmpx_lt_u32_e32 0xffffff, v36
	s_cbranch_execz .LBB183_500
; %bb.493:                              ;   in Loop: Header=BB183_433 Depth=1
	v_mov_b64_e32 v[32:33], 0x8000000000000000
	v_lshrrev_b32_e32 v37, 24, v36
	s_mov_b32 s23, exec_lo
	s_delay_alu instid0(VALU_DEP_1)
	v_cmpx_ne_u32_e32 0x80, v37
	s_cbranch_execz .LBB183_499
; %bb.494:                              ;   in Loop: Header=BB183_433 Depth=1
	v_mov_b64_e32 v[32:33], 0x7f80000100000000
	v_bfe_u32 v36, v36, 24, 7
	s_mov_b32 s24, exec_lo
	s_delay_alu instid0(VALU_DEP_1)
	v_cmpx_ne_u32_e32 0x7f, v36
	s_cbranch_execz .LBB183_498
; %bb.495:                              ;   in Loop: Header=BB183_433 Depth=1
	v_dual_lshrrev_b32 v32, 3, v36 :: v_dual_bitop2_b32 v18, 7, v37 bitop3:0x40
	s_mov_b32 s25, exec_lo
	v_cmpx_gt_u32_e32 8, v36
; %bb.496:                              ;   in Loop: Header=BB183_433 Depth=1
	s_delay_alu instid0(VALU_DEP_2) | instskip(NEXT) | instid1(VALU_DEP_1)
	v_clz_i32_u32_e32 v32, v18
	v_min_u32_e32 v32, 32, v32
	s_delay_alu instid0(VALU_DEP_1) | instskip(NEXT) | instid1(VALU_DEP_1)
	v_subrev_nc_u32_e32 v33, 28, v32
	v_lshlrev_b64_e32 v[38:39], v33, v[18:19]
	s_delay_alu instid0(VALU_DEP_1)
	v_dual_sub_nc_u32 v32, 29, v32 :: v_dual_bitop2_b32 v18, 7, v38 bitop3:0x40
; %bb.497:                              ;   in Loop: Header=BB183_433 Depth=1
	s_or_b32 exec_lo, exec_lo, s25
	s_delay_alu instid0(VALU_DEP_1) | instskip(NEXT) | instid1(VALU_DEP_2)
	v_dual_lshlrev_b32 v33, 24, v37 :: v_dual_lshlrev_b32 v18, 20, v18
	v_lshl_add_u32 v32, v32, 23, 0x3c000000
	s_delay_alu instid0(VALU_DEP_2) | instskip(NEXT) | instid1(VALU_DEP_1)
	v_and_b32_e32 v33, 0x80000000, v33
	v_or3_b32 v33, v18, v33, v32
	v_mov_b32_e32 v32, v19
.LBB183_498:                            ;   in Loop: Header=BB183_433 Depth=1
	s_or_b32 exec_lo, exec_lo, s24
.LBB183_499:                            ;   in Loop: Header=BB183_433 Depth=1
	s_delay_alu instid0(SALU_CYCLE_1)
	s_or_b32 exec_lo, exec_lo, s23
.LBB183_500:                            ;   in Loop: Header=BB183_433 Depth=1
	s_delay_alu instid0(SALU_CYCLE_1)
	s_or_b32 exec_lo, exec_lo, s9
	s_mov_b32 s9, s8
	v_or_b32_e32 v1, v1, v31
	v_or_b32_e32 v0, v0, v30
	v_mov_b64_e32 v[30:31], s[8:9]
	v_or_b32_e32 v35, v33, v35
	v_or_b32_e32 v34, v32, v34
	s_delay_alu instid0(VALU_DEP_3) | instskip(NEXT) | instid1(VALU_DEP_2)
	v_pk_mul_f32 v[32:33], v[30:31], v[0:1]
	v_pk_mul_f32 v[30:31], v[30:31], v[34:35]
	s_and_saveexec_b32 s23, vcc_lo
	s_cbranch_execz .LBB183_502
; %bb.501:                              ;   in Loop: Header=BB183_433 Depth=1
	v_cmp_gt_i32_e64 s0, s34, v51
	s_delay_alu instid0(VALU_DEP_1) | instskip(SKIP_1) | instid1(VALU_DEP_1)
	v_cndmask_b32_e64 v32, 0, v32, s0
	v_cmp_gt_i32_e64 s0, s34, v83
	v_cndmask_b32_e64 v33, 0, v33, s0
	v_cmp_gt_i32_e64 s0, s34, v75
	s_delay_alu instid0(VALU_DEP_1) | instskip(SKIP_1) | instid1(VALU_DEP_1)
	v_cndmask_b32_e64 v30, 0, v30, s0
	v_cmp_gt_i32_e64 s0, s34, v74
	v_cndmask_b32_e64 v31, 0, v31, s0
.LBB183_502:                            ;   in Loop: Header=BB183_433 Depth=1
	s_or_b32 exec_lo, exec_lo, s23
	global_load_b32 v40, v[28:29], off offset:256
	v_mov_b64_e32 v[0:1], 0
	v_mov_b64_e32 v[34:35], 0
	s_mov_b32 s23, exec_lo
	s_wait_loadcnt 0x0
	v_and_b32_e32 v18, 0xff, v40
	s_delay_alu instid0(VALU_DEP_1)
	v_cmpx_ne_u16_e32 0, v18
	s_cbranch_execz .LBB183_510
; %bb.503:                              ;   in Loop: Header=BB183_433 Depth=1
	v_mov_b64_e32 v[34:35], 0x80000000
	s_mov_b32 s24, exec_lo
	v_cmpx_ne_u16_e32 0x80, v18
	s_cbranch_execz .LBB183_509
; %bb.504:                              ;   in Loop: Header=BB183_433 Depth=1
	v_mov_b64_e32 v[34:35], 0x7f800001
	v_and_b32_e32 v36, 0x7f, v40
	s_mov_b32 s25, exec_lo
	s_delay_alu instid0(VALU_DEP_1)
	v_cmpx_ne_u32_e32 0x7f, v36
	s_cbranch_execz .LBB183_508
; %bb.505:                              ;   in Loop: Header=BB183_433 Depth=1
	v_and_b32_e32 v18, 7, v40
	v_lshrrev_b32_e32 v34, 3, v36
	s_mov_b32 s27, exec_lo
	v_cmpx_gt_u32_e32 8, v36
; %bb.506:                              ;   in Loop: Header=BB183_433 Depth=1
	s_delay_alu instid0(VALU_DEP_3) | instskip(NEXT) | instid1(VALU_DEP_1)
	v_clz_i32_u32_e32 v34, v18
	v_min_u32_e32 v34, 32, v34
	s_delay_alu instid0(VALU_DEP_1) | instskip(NEXT) | instid1(VALU_DEP_1)
	v_subrev_nc_u32_e32 v35, 28, v34
	v_lshlrev_b64_e32 v[36:37], v35, v[18:19]
	s_delay_alu instid0(VALU_DEP_1)
	v_dual_sub_nc_u32 v34, 29, v34 :: v_dual_bitop2_b32 v18, 7, v36 bitop3:0x40
; %bb.507:                              ;   in Loop: Header=BB183_433 Depth=1
	s_or_b32 exec_lo, exec_lo, s27
	s_delay_alu instid0(VALU_DEP_1) | instskip(NEXT) | instid1(VALU_DEP_2)
	v_dual_lshlrev_b32 v35, 24, v40 :: v_dual_lshlrev_b32 v18, 20, v18
	v_lshl_add_u32 v34, v34, 23, 0x3c000000
	s_delay_alu instid0(VALU_DEP_2) | instskip(NEXT) | instid1(VALU_DEP_1)
	v_and_b32_e32 v35, 0x80000000, v35
	v_or3_b32 v18, v18, v35, v34
	s_delay_alu instid0(VALU_DEP_1)
	v_mov_b64_e32 v[34:35], v[18:19]
.LBB183_508:                            ;   in Loop: Header=BB183_433 Depth=1
	s_or_b32 exec_lo, exec_lo, s25
.LBB183_509:                            ;   in Loop: Header=BB183_433 Depth=1
	s_delay_alu instid0(SALU_CYCLE_1)
	s_or_b32 exec_lo, exec_lo, s24
.LBB183_510:                            ;   in Loop: Header=BB183_433 Depth=1
	s_delay_alu instid0(SALU_CYCLE_1) | instskip(SKIP_2) | instid1(VALU_DEP_1)
	s_or_b32 exec_lo, exec_lo, s23
	v_lshrrev_b16 v18, 8, v40
	s_mov_b32 s23, exec_lo
	v_cmpx_ne_u16_e32 0, v18
	s_cbranch_execz .LBB183_518
; %bb.511:                              ;   in Loop: Header=BB183_433 Depth=1
	v_mov_b64_e32 v[0:1], 0x8000000000000000
	s_mov_b32 s24, exec_lo
	v_cmpx_ne_u16_e32 0x80, v18
	s_cbranch_execz .LBB183_517
; %bb.512:                              ;   in Loop: Header=BB183_433 Depth=1
	v_and_b32_e32 v18, 0xffff, v18
	v_mov_b64_e32 v[0:1], 0x7f80000100000000
	s_mov_b32 s25, exec_lo
	s_delay_alu instid0(VALU_DEP_2) | instskip(NEXT) | instid1(VALU_DEP_1)
	v_and_b32_e32 v36, 0x7f, v18
	v_cmpx_ne_u32_e32 0x7f, v36
	s_cbranch_execz .LBB183_516
; %bb.513:                              ;   in Loop: Header=BB183_433 Depth=1
	v_dual_lshrrev_b32 v0, 3, v36 :: v_dual_bitop2_b32 v18, 7, v18 bitop3:0x40
	s_mov_b32 s27, exec_lo
	v_cmpx_gt_u32_e32 8, v36
; %bb.514:                              ;   in Loop: Header=BB183_433 Depth=1
	s_delay_alu instid0(VALU_DEP_2) | instskip(NEXT) | instid1(VALU_DEP_1)
	v_clz_i32_u32_e32 v0, v18
	v_min_u32_e32 v0, 32, v0
	s_delay_alu instid0(VALU_DEP_1) | instskip(SKIP_1) | instid1(VALU_DEP_2)
	v_subrev_nc_u32_e32 v1, 28, v0
	v_sub_nc_u32_e32 v0, 29, v0
	v_lshlrev_b64_e32 v[36:37], v1, v[18:19]
	s_delay_alu instid0(VALU_DEP_1)
	v_and_b32_e32 v18, 7, v36
; %bb.515:                              ;   in Loop: Header=BB183_433 Depth=1
	s_or_b32 exec_lo, exec_lo, s27
	s_delay_alu instid0(VALU_DEP_1) | instskip(SKIP_1) | instid1(VALU_DEP_2)
	v_dual_lshlrev_b32 v1, 16, v40 :: v_dual_lshlrev_b32 v18, 20, v18
	v_lshl_add_u32 v0, v0, 23, 0x3c000000
	v_and_b32_e32 v1, 0x80000000, v1
	s_delay_alu instid0(VALU_DEP_1)
	v_or3_b32 v1, v18, v1, v0
	v_mov_b32_e32 v0, v19
.LBB183_516:                            ;   in Loop: Header=BB183_433 Depth=1
	s_or_b32 exec_lo, exec_lo, s25
.LBB183_517:                            ;   in Loop: Header=BB183_433 Depth=1
	s_delay_alu instid0(SALU_CYCLE_1)
	s_or_b32 exec_lo, exec_lo, s24
.LBB183_518:                            ;   in Loop: Header=BB183_433 Depth=1
	s_delay_alu instid0(SALU_CYCLE_1) | instskip(SKIP_4) | instid1(VALU_DEP_3)
	s_or_b32 exec_lo, exec_lo, s23
	v_lshrrev_b32_e32 v41, 16, v40
	v_mov_b64_e32 v[36:37], 0
	v_mov_b64_e32 v[38:39], 0
	s_mov_b32 s23, exec_lo
	v_and_b32_e32 v18, 0xff, v41
	s_delay_alu instid0(VALU_DEP_1)
	v_cmpx_ne_u16_e32 0, v18
	s_cbranch_execz .LBB183_526
; %bb.519:                              ;   in Loop: Header=BB183_433 Depth=1
	v_mov_b64_e32 v[38:39], 0x80000000
	s_mov_b32 s24, exec_lo
	v_cmpx_ne_u16_e32 0x80, v18
	s_cbranch_execz .LBB183_525
; %bb.520:                              ;   in Loop: Header=BB183_433 Depth=1
	v_mov_b64_e32 v[38:39], 0x7f800001
	v_bfe_u32 v42, v40, 16, 7
	s_mov_b32 s25, exec_lo
	s_delay_alu instid0(VALU_DEP_1)
	v_cmpx_ne_u32_e32 0x7f, v42
	s_cbranch_execz .LBB183_524
; %bb.521:                              ;   in Loop: Header=BB183_433 Depth=1
	v_dual_lshrrev_b32 v38, 3, v42 :: v_dual_bitop2_b32 v18, 7, v41 bitop3:0x40
	s_mov_b32 s27, exec_lo
	v_cmpx_gt_u32_e32 8, v42
; %bb.522:                              ;   in Loop: Header=BB183_433 Depth=1
	s_delay_alu instid0(VALU_DEP_2) | instskip(NEXT) | instid1(VALU_DEP_1)
	v_clz_i32_u32_e32 v38, v18
	v_min_u32_e32 v38, 32, v38
	s_delay_alu instid0(VALU_DEP_1) | instskip(SKIP_1) | instid1(VALU_DEP_2)
	v_subrev_nc_u32_e32 v39, 28, v38
	v_sub_nc_u32_e32 v38, 29, v38
	v_lshlrev_b64_e32 v[42:43], v39, v[18:19]
	s_delay_alu instid0(VALU_DEP_1)
	v_and_b32_e32 v18, 7, v42
; %bb.523:                              ;   in Loop: Header=BB183_433 Depth=1
	s_or_b32 exec_lo, exec_lo, s27
	s_delay_alu instid0(VALU_DEP_1) | instskip(SKIP_1) | instid1(VALU_DEP_2)
	v_dual_lshlrev_b32 v39, 24, v41 :: v_dual_lshlrev_b32 v18, 20, v18
	v_lshl_add_u32 v38, v38, 23, 0x3c000000
	v_and_b32_e32 v39, 0x80000000, v39
	s_delay_alu instid0(VALU_DEP_1) | instskip(NEXT) | instid1(VALU_DEP_1)
	v_or3_b32 v18, v18, v39, v38
	v_mov_b64_e32 v[38:39], v[18:19]
.LBB183_524:                            ;   in Loop: Header=BB183_433 Depth=1
	s_or_b32 exec_lo, exec_lo, s25
.LBB183_525:                            ;   in Loop: Header=BB183_433 Depth=1
	s_delay_alu instid0(SALU_CYCLE_1)
	s_or_b32 exec_lo, exec_lo, s24
.LBB183_526:                            ;   in Loop: Header=BB183_433 Depth=1
	s_delay_alu instid0(SALU_CYCLE_1) | instskip(NEXT) | instid1(SALU_CYCLE_1)
	s_or_b32 exec_lo, exec_lo, s23
	s_mov_b32 s23, exec_lo
	v_cmpx_lt_u32_e32 0xffffff, v40
	s_cbranch_execz .LBB183_534
; %bb.527:                              ;   in Loop: Header=BB183_433 Depth=1
	v_mov_b64_e32 v[36:37], 0x8000000000000000
	v_lshrrev_b32_e32 v41, 24, v40
	s_mov_b32 s24, exec_lo
	s_delay_alu instid0(VALU_DEP_1)
	v_cmpx_ne_u32_e32 0x80, v41
	s_cbranch_execz .LBB183_533
; %bb.528:                              ;   in Loop: Header=BB183_433 Depth=1
	v_mov_b64_e32 v[36:37], 0x7f80000100000000
	v_bfe_u32 v40, v40, 24, 7
	s_mov_b32 s25, exec_lo
	s_delay_alu instid0(VALU_DEP_1)
	v_cmpx_ne_u32_e32 0x7f, v40
	s_cbranch_execz .LBB183_532
; %bb.529:                              ;   in Loop: Header=BB183_433 Depth=1
	v_dual_lshrrev_b32 v36, 3, v40 :: v_dual_bitop2_b32 v18, 7, v41 bitop3:0x40
	s_mov_b32 s27, exec_lo
	v_cmpx_gt_u32_e32 8, v40
; %bb.530:                              ;   in Loop: Header=BB183_433 Depth=1
	s_delay_alu instid0(VALU_DEP_2) | instskip(NEXT) | instid1(VALU_DEP_1)
	v_clz_i32_u32_e32 v36, v18
	v_min_u32_e32 v36, 32, v36
	s_delay_alu instid0(VALU_DEP_1) | instskip(NEXT) | instid1(VALU_DEP_1)
	v_subrev_nc_u32_e32 v37, 28, v36
	v_lshlrev_b64_e32 v[42:43], v37, v[18:19]
	s_delay_alu instid0(VALU_DEP_1)
	v_dual_sub_nc_u32 v36, 29, v36 :: v_dual_bitop2_b32 v18, 7, v42 bitop3:0x40
; %bb.531:                              ;   in Loop: Header=BB183_433 Depth=1
	s_or_b32 exec_lo, exec_lo, s27
	s_delay_alu instid0(VALU_DEP_1) | instskip(NEXT) | instid1(VALU_DEP_2)
	v_dual_lshlrev_b32 v37, 24, v41 :: v_dual_lshlrev_b32 v18, 20, v18
	v_lshl_add_u32 v36, v36, 23, 0x3c000000
	s_delay_alu instid0(VALU_DEP_2) | instskip(NEXT) | instid1(VALU_DEP_1)
	v_and_b32_e32 v37, 0x80000000, v37
	v_or3_b32 v37, v18, v37, v36
	v_mov_b32_e32 v36, v19
.LBB183_532:                            ;   in Loop: Header=BB183_433 Depth=1
	s_or_b32 exec_lo, exec_lo, s25
.LBB183_533:                            ;   in Loop: Header=BB183_433 Depth=1
	s_delay_alu instid0(SALU_CYCLE_1)
	s_or_b32 exec_lo, exec_lo, s24
.LBB183_534:                            ;   in Loop: Header=BB183_433 Depth=1
	s_delay_alu instid0(SALU_CYCLE_1)
	s_or_b32 exec_lo, exec_lo, s23
	v_or_b32_e32 v1, v1, v35
	v_or_b32_e32 v0, v0, v34
	v_mov_b64_e32 v[34:35], s[8:9]
	v_or_b32_e32 v39, v37, v39
	v_or_b32_e32 v38, v36, v38
	s_delay_alu instid0(VALU_DEP_3) | instskip(NEXT) | instid1(VALU_DEP_2)
	v_pk_mul_f32 v[36:37], v[34:35], v[0:1]
	v_pk_mul_f32 v[34:35], v[34:35], v[38:39]
	s_and_saveexec_b32 s23, vcc_lo
	s_cbranch_execz .LBB183_536
; %bb.535:                              ;   in Loop: Header=BB183_433 Depth=1
	v_cmp_gt_i32_e64 s0, s34, v51
	s_delay_alu instid0(VALU_DEP_1) | instskip(SKIP_1) | instid1(VALU_DEP_1)
	v_cndmask_b32_e64 v36, 0, v36, s0
	v_cmp_gt_i32_e64 s0, s34, v83
	v_cndmask_b32_e64 v37, 0, v37, s0
	v_cmp_gt_i32_e64 s0, s34, v75
	s_delay_alu instid0(VALU_DEP_1) | instskip(SKIP_1) | instid1(VALU_DEP_1)
	v_cndmask_b32_e64 v34, 0, v34, s0
	v_cmp_gt_i32_e64 s0, s34, v74
	v_cndmask_b32_e64 v35, 0, v35, s0
.LBB183_536:                            ;   in Loop: Header=BB183_433 Depth=1
	s_or_b32 exec_lo, exec_lo, s23
	global_load_b32 v44, v[28:29], off offset:384
	v_mov_b64_e32 v[0:1], 0
	v_mov_b64_e32 v[38:39], 0
	s_mov_b32 s23, exec_lo
	s_wait_loadcnt 0x0
	v_and_b32_e32 v18, 0xff, v44
	s_delay_alu instid0(VALU_DEP_1)
	v_cmpx_ne_u16_e32 0, v18
	s_cbranch_execz .LBB183_544
; %bb.537:                              ;   in Loop: Header=BB183_433 Depth=1
	v_mov_b64_e32 v[38:39], 0x80000000
	s_mov_b32 s24, exec_lo
	v_cmpx_ne_u16_e32 0x80, v18
	s_cbranch_execz .LBB183_543
; %bb.538:                              ;   in Loop: Header=BB183_433 Depth=1
	v_mov_b64_e32 v[38:39], 0x7f800001
	v_and_b32_e32 v40, 0x7f, v44
	s_mov_b32 s25, exec_lo
	s_delay_alu instid0(VALU_DEP_1)
	v_cmpx_ne_u32_e32 0x7f, v40
	s_cbranch_execz .LBB183_542
; %bb.539:                              ;   in Loop: Header=BB183_433 Depth=1
	v_and_b32_e32 v18, 7, v44
	v_lshrrev_b32_e32 v38, 3, v40
	s_mov_b32 s27, exec_lo
	v_cmpx_gt_u32_e32 8, v40
; %bb.540:                              ;   in Loop: Header=BB183_433 Depth=1
	s_delay_alu instid0(VALU_DEP_3) | instskip(NEXT) | instid1(VALU_DEP_1)
	v_clz_i32_u32_e32 v38, v18
	v_min_u32_e32 v38, 32, v38
	s_delay_alu instid0(VALU_DEP_1) | instskip(NEXT) | instid1(VALU_DEP_1)
	v_subrev_nc_u32_e32 v39, 28, v38
	v_lshlrev_b64_e32 v[40:41], v39, v[18:19]
	s_delay_alu instid0(VALU_DEP_1)
	v_dual_sub_nc_u32 v38, 29, v38 :: v_dual_bitop2_b32 v18, 7, v40 bitop3:0x40
; %bb.541:                              ;   in Loop: Header=BB183_433 Depth=1
	s_or_b32 exec_lo, exec_lo, s27
	s_delay_alu instid0(VALU_DEP_1) | instskip(NEXT) | instid1(VALU_DEP_2)
	v_dual_lshlrev_b32 v39, 24, v44 :: v_dual_lshlrev_b32 v18, 20, v18
	v_lshl_add_u32 v38, v38, 23, 0x3c000000
	s_delay_alu instid0(VALU_DEP_2) | instskip(NEXT) | instid1(VALU_DEP_1)
	v_and_b32_e32 v39, 0x80000000, v39
	v_or3_b32 v18, v18, v39, v38
	s_delay_alu instid0(VALU_DEP_1)
	v_mov_b64_e32 v[38:39], v[18:19]
.LBB183_542:                            ;   in Loop: Header=BB183_433 Depth=1
	s_or_b32 exec_lo, exec_lo, s25
.LBB183_543:                            ;   in Loop: Header=BB183_433 Depth=1
	s_delay_alu instid0(SALU_CYCLE_1)
	s_or_b32 exec_lo, exec_lo, s24
.LBB183_544:                            ;   in Loop: Header=BB183_433 Depth=1
	s_delay_alu instid0(SALU_CYCLE_1) | instskip(SKIP_2) | instid1(VALU_DEP_1)
	s_or_b32 exec_lo, exec_lo, s23
	v_lshrrev_b16 v18, 8, v44
	s_mov_b32 s23, exec_lo
	v_cmpx_ne_u16_e32 0, v18
	s_cbranch_execz .LBB183_552
; %bb.545:                              ;   in Loop: Header=BB183_433 Depth=1
	v_mov_b64_e32 v[0:1], 0x8000000000000000
	s_mov_b32 s24, exec_lo
	v_cmpx_ne_u16_e32 0x80, v18
	s_cbranch_execz .LBB183_551
; %bb.546:                              ;   in Loop: Header=BB183_433 Depth=1
	v_and_b32_e32 v18, 0xffff, v18
	v_mov_b64_e32 v[0:1], 0x7f80000100000000
	s_mov_b32 s25, exec_lo
	s_delay_alu instid0(VALU_DEP_2) | instskip(NEXT) | instid1(VALU_DEP_1)
	v_and_b32_e32 v40, 0x7f, v18
	v_cmpx_ne_u32_e32 0x7f, v40
	s_cbranch_execz .LBB183_550
; %bb.547:                              ;   in Loop: Header=BB183_433 Depth=1
	v_dual_lshrrev_b32 v0, 3, v40 :: v_dual_bitop2_b32 v18, 7, v18 bitop3:0x40
	s_mov_b32 s27, exec_lo
	v_cmpx_gt_u32_e32 8, v40
; %bb.548:                              ;   in Loop: Header=BB183_433 Depth=1
	s_delay_alu instid0(VALU_DEP_2) | instskip(NEXT) | instid1(VALU_DEP_1)
	v_clz_i32_u32_e32 v0, v18
	v_min_u32_e32 v0, 32, v0
	s_delay_alu instid0(VALU_DEP_1) | instskip(SKIP_1) | instid1(VALU_DEP_2)
	v_subrev_nc_u32_e32 v1, 28, v0
	v_sub_nc_u32_e32 v0, 29, v0
	v_lshlrev_b64_e32 v[40:41], v1, v[18:19]
	s_delay_alu instid0(VALU_DEP_1)
	v_and_b32_e32 v18, 7, v40
; %bb.549:                              ;   in Loop: Header=BB183_433 Depth=1
	s_or_b32 exec_lo, exec_lo, s27
	s_delay_alu instid0(VALU_DEP_1) | instskip(SKIP_1) | instid1(VALU_DEP_2)
	v_dual_lshlrev_b32 v1, 16, v44 :: v_dual_lshlrev_b32 v18, 20, v18
	v_lshl_add_u32 v0, v0, 23, 0x3c000000
	v_and_b32_e32 v1, 0x80000000, v1
	s_delay_alu instid0(VALU_DEP_1)
	v_or3_b32 v1, v18, v1, v0
	v_mov_b32_e32 v0, v19
.LBB183_550:                            ;   in Loop: Header=BB183_433 Depth=1
	s_or_b32 exec_lo, exec_lo, s25
.LBB183_551:                            ;   in Loop: Header=BB183_433 Depth=1
	s_delay_alu instid0(SALU_CYCLE_1)
	s_or_b32 exec_lo, exec_lo, s24
.LBB183_552:                            ;   in Loop: Header=BB183_433 Depth=1
	s_delay_alu instid0(SALU_CYCLE_1) | instskip(SKIP_4) | instid1(VALU_DEP_3)
	s_or_b32 exec_lo, exec_lo, s23
	v_lshrrev_b32_e32 v45, 16, v44
	v_mov_b64_e32 v[40:41], 0
	v_mov_b64_e32 v[42:43], 0
	s_mov_b32 s23, exec_lo
	v_and_b32_e32 v18, 0xff, v45
	s_delay_alu instid0(VALU_DEP_1)
	v_cmpx_ne_u16_e32 0, v18
	s_cbranch_execz .LBB183_560
; %bb.553:                              ;   in Loop: Header=BB183_433 Depth=1
	v_mov_b64_e32 v[42:43], 0x80000000
	s_mov_b32 s24, exec_lo
	v_cmpx_ne_u16_e32 0x80, v18
	s_cbranch_execz .LBB183_559
; %bb.554:                              ;   in Loop: Header=BB183_433 Depth=1
	v_mov_b64_e32 v[42:43], 0x7f800001
	v_bfe_u32 v46, v44, 16, 7
	s_mov_b32 s25, exec_lo
	s_delay_alu instid0(VALU_DEP_1)
	v_cmpx_ne_u32_e32 0x7f, v46
	s_cbranch_execz .LBB183_558
; %bb.555:                              ;   in Loop: Header=BB183_433 Depth=1
	v_dual_lshrrev_b32 v42, 3, v46 :: v_dual_bitop2_b32 v18, 7, v45 bitop3:0x40
	s_mov_b32 s27, exec_lo
	v_cmpx_gt_u32_e32 8, v46
; %bb.556:                              ;   in Loop: Header=BB183_433 Depth=1
	s_delay_alu instid0(VALU_DEP_2) | instskip(NEXT) | instid1(VALU_DEP_1)
	v_clz_i32_u32_e32 v42, v18
	v_min_u32_e32 v42, 32, v42
	s_delay_alu instid0(VALU_DEP_1) | instskip(SKIP_1) | instid1(VALU_DEP_2)
	v_subrev_nc_u32_e32 v43, 28, v42
	v_sub_nc_u32_e32 v42, 29, v42
	v_lshlrev_b64_e32 v[46:47], v43, v[18:19]
	s_delay_alu instid0(VALU_DEP_1)
	v_and_b32_e32 v18, 7, v46
; %bb.557:                              ;   in Loop: Header=BB183_433 Depth=1
	s_or_b32 exec_lo, exec_lo, s27
	s_delay_alu instid0(VALU_DEP_1) | instskip(SKIP_1) | instid1(VALU_DEP_2)
	v_dual_lshlrev_b32 v43, 24, v45 :: v_dual_lshlrev_b32 v18, 20, v18
	v_lshl_add_u32 v42, v42, 23, 0x3c000000
	v_and_b32_e32 v43, 0x80000000, v43
	s_delay_alu instid0(VALU_DEP_1) | instskip(NEXT) | instid1(VALU_DEP_1)
	v_or3_b32 v18, v18, v43, v42
	v_mov_b64_e32 v[42:43], v[18:19]
.LBB183_558:                            ;   in Loop: Header=BB183_433 Depth=1
	s_or_b32 exec_lo, exec_lo, s25
.LBB183_559:                            ;   in Loop: Header=BB183_433 Depth=1
	s_delay_alu instid0(SALU_CYCLE_1)
	s_or_b32 exec_lo, exec_lo, s24
.LBB183_560:                            ;   in Loop: Header=BB183_433 Depth=1
	s_delay_alu instid0(SALU_CYCLE_1) | instskip(NEXT) | instid1(SALU_CYCLE_1)
	s_or_b32 exec_lo, exec_lo, s23
	s_mov_b32 s23, exec_lo
	v_cmpx_lt_u32_e32 0xffffff, v44
	s_cbranch_execz .LBB183_568
; %bb.561:                              ;   in Loop: Header=BB183_433 Depth=1
	v_mov_b64_e32 v[40:41], 0x8000000000000000
	v_lshrrev_b32_e32 v45, 24, v44
	s_mov_b32 s24, exec_lo
	s_delay_alu instid0(VALU_DEP_1)
	v_cmpx_ne_u32_e32 0x80, v45
	s_cbranch_execz .LBB183_567
; %bb.562:                              ;   in Loop: Header=BB183_433 Depth=1
	v_mov_b64_e32 v[40:41], 0x7f80000100000000
	v_bfe_u32 v44, v44, 24, 7
	s_mov_b32 s25, exec_lo
	s_delay_alu instid0(VALU_DEP_1)
	v_cmpx_ne_u32_e32 0x7f, v44
	s_cbranch_execz .LBB183_566
; %bb.563:                              ;   in Loop: Header=BB183_433 Depth=1
	v_dual_lshrrev_b32 v40, 3, v44 :: v_dual_bitop2_b32 v18, 7, v45 bitop3:0x40
	s_mov_b32 s27, exec_lo
	v_cmpx_gt_u32_e32 8, v44
; %bb.564:                              ;   in Loop: Header=BB183_433 Depth=1
	s_delay_alu instid0(VALU_DEP_2) | instskip(NEXT) | instid1(VALU_DEP_1)
	v_clz_i32_u32_e32 v40, v18
	v_min_u32_e32 v40, 32, v40
	s_delay_alu instid0(VALU_DEP_1) | instskip(NEXT) | instid1(VALU_DEP_1)
	v_subrev_nc_u32_e32 v41, 28, v40
	v_lshlrev_b64_e32 v[46:47], v41, v[18:19]
	s_delay_alu instid0(VALU_DEP_1)
	v_dual_sub_nc_u32 v40, 29, v40 :: v_dual_bitop2_b32 v18, 7, v46 bitop3:0x40
; %bb.565:                              ;   in Loop: Header=BB183_433 Depth=1
	s_or_b32 exec_lo, exec_lo, s27
	s_delay_alu instid0(VALU_DEP_1) | instskip(NEXT) | instid1(VALU_DEP_2)
	v_dual_lshlrev_b32 v41, 24, v45 :: v_dual_lshlrev_b32 v18, 20, v18
	v_lshl_add_u32 v40, v40, 23, 0x3c000000
	s_delay_alu instid0(VALU_DEP_2) | instskip(NEXT) | instid1(VALU_DEP_1)
	v_and_b32_e32 v41, 0x80000000, v41
	v_or3_b32 v41, v18, v41, v40
	v_mov_b32_e32 v40, v19
.LBB183_566:                            ;   in Loop: Header=BB183_433 Depth=1
	s_or_b32 exec_lo, exec_lo, s25
.LBB183_567:                            ;   in Loop: Header=BB183_433 Depth=1
	s_delay_alu instid0(SALU_CYCLE_1)
	s_or_b32 exec_lo, exec_lo, s24
.LBB183_568:                            ;   in Loop: Header=BB183_433 Depth=1
	s_delay_alu instid0(SALU_CYCLE_1)
	s_or_b32 exec_lo, exec_lo, s23
	v_or_b32_e32 v1, v1, v39
	v_or_b32_e32 v0, v0, v38
	v_mov_b64_e32 v[38:39], s[8:9]
	v_or_b32_e32 v43, v41, v43
	v_or_b32_e32 v42, v40, v42
	s_delay_alu instid0(VALU_DEP_3) | instskip(NEXT) | instid1(VALU_DEP_2)
	v_pk_mul_f32 v[40:41], v[38:39], v[0:1]
	v_pk_mul_f32 v[38:39], v[38:39], v[42:43]
	s_and_saveexec_b32 s23, vcc_lo
	s_cbranch_execz .LBB183_570
; %bb.569:                              ;   in Loop: Header=BB183_433 Depth=1
	v_cmp_gt_i32_e64 s0, s34, v51
	s_delay_alu instid0(VALU_DEP_1) | instskip(SKIP_1) | instid1(VALU_DEP_1)
	v_cndmask_b32_e64 v40, 0, v40, s0
	v_cmp_gt_i32_e64 s0, s34, v83
	v_cndmask_b32_e64 v41, 0, v41, s0
	v_cmp_gt_i32_e64 s0, s34, v75
	s_delay_alu instid0(VALU_DEP_1) | instskip(SKIP_1) | instid1(VALU_DEP_1)
	v_cndmask_b32_e64 v38, 0, v38, s0
	v_cmp_gt_i32_e64 s0, s34, v74
	v_cndmask_b32_e64 v39, 0, v39, s0
.LBB183_570:                            ;   in Loop: Header=BB183_433 Depth=1
	s_or_b32 exec_lo, exec_lo, s23
	global_load_b32 v48, v[28:29], off offset:512
	v_mov_b64_e32 v[0:1], 0
	v_mov_b64_e32 v[42:43], 0
	s_mov_b32 s23, exec_lo
	s_wait_loadcnt 0x0
	v_and_b32_e32 v18, 0xff, v48
	s_delay_alu instid0(VALU_DEP_1)
	v_cmpx_ne_u16_e32 0, v18
	s_cbranch_execz .LBB183_578
; %bb.571:                              ;   in Loop: Header=BB183_433 Depth=1
	v_mov_b64_e32 v[42:43], 0x80000000
	s_mov_b32 s24, exec_lo
	v_cmpx_ne_u16_e32 0x80, v18
	s_cbranch_execz .LBB183_577
; %bb.572:                              ;   in Loop: Header=BB183_433 Depth=1
	v_mov_b64_e32 v[42:43], 0x7f800001
	v_and_b32_e32 v44, 0x7f, v48
	s_mov_b32 s25, exec_lo
	s_delay_alu instid0(VALU_DEP_1)
	v_cmpx_ne_u32_e32 0x7f, v44
	s_cbranch_execz .LBB183_576
; %bb.573:                              ;   in Loop: Header=BB183_433 Depth=1
	v_and_b32_e32 v18, 7, v48
	v_lshrrev_b32_e32 v42, 3, v44
	s_mov_b32 s27, exec_lo
	v_cmpx_gt_u32_e32 8, v44
; %bb.574:                              ;   in Loop: Header=BB183_433 Depth=1
	s_delay_alu instid0(VALU_DEP_3) | instskip(NEXT) | instid1(VALU_DEP_1)
	v_clz_i32_u32_e32 v42, v18
	v_min_u32_e32 v42, 32, v42
	s_delay_alu instid0(VALU_DEP_1) | instskip(NEXT) | instid1(VALU_DEP_1)
	v_subrev_nc_u32_e32 v43, 28, v42
	v_lshlrev_b64_e32 v[44:45], v43, v[18:19]
	s_delay_alu instid0(VALU_DEP_1)
	v_dual_sub_nc_u32 v42, 29, v42 :: v_dual_bitop2_b32 v18, 7, v44 bitop3:0x40
; %bb.575:                              ;   in Loop: Header=BB183_433 Depth=1
	s_or_b32 exec_lo, exec_lo, s27
	s_delay_alu instid0(VALU_DEP_1) | instskip(NEXT) | instid1(VALU_DEP_2)
	v_dual_lshlrev_b32 v43, 24, v48 :: v_dual_lshlrev_b32 v18, 20, v18
	v_lshl_add_u32 v42, v42, 23, 0x3c000000
	s_delay_alu instid0(VALU_DEP_2) | instskip(NEXT) | instid1(VALU_DEP_1)
	v_and_b32_e32 v43, 0x80000000, v43
	v_or3_b32 v18, v18, v43, v42
	s_delay_alu instid0(VALU_DEP_1)
	v_mov_b64_e32 v[42:43], v[18:19]
.LBB183_576:                            ;   in Loop: Header=BB183_433 Depth=1
	s_or_b32 exec_lo, exec_lo, s25
.LBB183_577:                            ;   in Loop: Header=BB183_433 Depth=1
	s_delay_alu instid0(SALU_CYCLE_1)
	s_or_b32 exec_lo, exec_lo, s24
.LBB183_578:                            ;   in Loop: Header=BB183_433 Depth=1
	s_delay_alu instid0(SALU_CYCLE_1) | instskip(SKIP_2) | instid1(VALU_DEP_1)
	s_or_b32 exec_lo, exec_lo, s23
	v_lshrrev_b16 v18, 8, v48
	s_mov_b32 s23, exec_lo
	v_cmpx_ne_u16_e32 0, v18
	s_cbranch_execz .LBB183_586
; %bb.579:                              ;   in Loop: Header=BB183_433 Depth=1
	v_mov_b64_e32 v[0:1], 0x8000000000000000
	s_mov_b32 s24, exec_lo
	v_cmpx_ne_u16_e32 0x80, v18
	s_cbranch_execz .LBB183_585
; %bb.580:                              ;   in Loop: Header=BB183_433 Depth=1
	v_and_b32_e32 v18, 0xffff, v18
	v_mov_b64_e32 v[0:1], 0x7f80000100000000
	s_mov_b32 s25, exec_lo
	s_delay_alu instid0(VALU_DEP_2) | instskip(NEXT) | instid1(VALU_DEP_1)
	v_and_b32_e32 v44, 0x7f, v18
	v_cmpx_ne_u32_e32 0x7f, v44
	s_cbranch_execz .LBB183_584
; %bb.581:                              ;   in Loop: Header=BB183_433 Depth=1
	v_dual_lshrrev_b32 v0, 3, v44 :: v_dual_bitop2_b32 v18, 7, v18 bitop3:0x40
	s_mov_b32 s27, exec_lo
	v_cmpx_gt_u32_e32 8, v44
; %bb.582:                              ;   in Loop: Header=BB183_433 Depth=1
	s_delay_alu instid0(VALU_DEP_2) | instskip(NEXT) | instid1(VALU_DEP_1)
	v_clz_i32_u32_e32 v0, v18
	v_min_u32_e32 v0, 32, v0
	s_delay_alu instid0(VALU_DEP_1) | instskip(SKIP_1) | instid1(VALU_DEP_2)
	v_subrev_nc_u32_e32 v1, 28, v0
	v_sub_nc_u32_e32 v0, 29, v0
	v_lshlrev_b64_e32 v[44:45], v1, v[18:19]
	s_delay_alu instid0(VALU_DEP_1)
	v_and_b32_e32 v18, 7, v44
; %bb.583:                              ;   in Loop: Header=BB183_433 Depth=1
	s_or_b32 exec_lo, exec_lo, s27
	s_delay_alu instid0(VALU_DEP_1) | instskip(SKIP_1) | instid1(VALU_DEP_2)
	v_dual_lshlrev_b32 v1, 16, v48 :: v_dual_lshlrev_b32 v18, 20, v18
	v_lshl_add_u32 v0, v0, 23, 0x3c000000
	v_and_b32_e32 v1, 0x80000000, v1
	s_delay_alu instid0(VALU_DEP_1)
	v_or3_b32 v1, v18, v1, v0
	v_mov_b32_e32 v0, v19
.LBB183_584:                            ;   in Loop: Header=BB183_433 Depth=1
	s_or_b32 exec_lo, exec_lo, s25
.LBB183_585:                            ;   in Loop: Header=BB183_433 Depth=1
	s_delay_alu instid0(SALU_CYCLE_1)
	s_or_b32 exec_lo, exec_lo, s24
.LBB183_586:                            ;   in Loop: Header=BB183_433 Depth=1
	s_delay_alu instid0(SALU_CYCLE_1) | instskip(SKIP_4) | instid1(VALU_DEP_3)
	s_or_b32 exec_lo, exec_lo, s23
	v_lshrrev_b32_e32 v49, 16, v48
	v_mov_b64_e32 v[44:45], 0
	v_mov_b64_e32 v[46:47], 0
	s_mov_b32 s23, exec_lo
	v_and_b32_e32 v18, 0xff, v49
	s_delay_alu instid0(VALU_DEP_1)
	v_cmpx_ne_u16_e32 0, v18
	s_cbranch_execz .LBB183_594
; %bb.587:                              ;   in Loop: Header=BB183_433 Depth=1
	v_mov_b64_e32 v[46:47], 0x80000000
	s_mov_b32 s24, exec_lo
	v_cmpx_ne_u16_e32 0x80, v18
	s_cbranch_execz .LBB183_593
; %bb.588:                              ;   in Loop: Header=BB183_433 Depth=1
	v_mov_b64_e32 v[46:47], 0x7f800001
	v_bfe_u32 v52, v48, 16, 7
	s_mov_b32 s25, exec_lo
	s_delay_alu instid0(VALU_DEP_1)
	v_cmpx_ne_u32_e32 0x7f, v52
	s_cbranch_execz .LBB183_592
; %bb.589:                              ;   in Loop: Header=BB183_433 Depth=1
	v_dual_lshrrev_b32 v46, 3, v52 :: v_dual_bitop2_b32 v18, 7, v49 bitop3:0x40
	s_mov_b32 s27, exec_lo
	v_cmpx_gt_u32_e32 8, v52
; %bb.590:                              ;   in Loop: Header=BB183_433 Depth=1
	s_delay_alu instid0(VALU_DEP_2) | instskip(NEXT) | instid1(VALU_DEP_1)
	v_clz_i32_u32_e32 v46, v18
	v_min_u32_e32 v46, 32, v46
	s_delay_alu instid0(VALU_DEP_1) | instskip(NEXT) | instid1(VALU_DEP_1)
	v_subrev_nc_u32_e32 v47, 28, v46
	v_lshlrev_b64_e32 v[52:53], v47, v[18:19]
	s_delay_alu instid0(VALU_DEP_1)
	v_dual_sub_nc_u32 v46, 29, v46 :: v_dual_bitop2_b32 v18, 7, v52 bitop3:0x40
; %bb.591:                              ;   in Loop: Header=BB183_433 Depth=1
	s_or_b32 exec_lo, exec_lo, s27
	s_delay_alu instid0(VALU_DEP_1) | instskip(NEXT) | instid1(VALU_DEP_2)
	v_dual_lshlrev_b32 v47, 24, v49 :: v_dual_lshlrev_b32 v18, 20, v18
	v_lshl_add_u32 v46, v46, 23, 0x3c000000
	s_delay_alu instid0(VALU_DEP_2) | instskip(NEXT) | instid1(VALU_DEP_1)
	v_and_b32_e32 v47, 0x80000000, v47
	v_or3_b32 v18, v18, v47, v46
	s_delay_alu instid0(VALU_DEP_1)
	v_mov_b64_e32 v[46:47], v[18:19]
.LBB183_592:                            ;   in Loop: Header=BB183_433 Depth=1
	s_or_b32 exec_lo, exec_lo, s25
.LBB183_593:                            ;   in Loop: Header=BB183_433 Depth=1
	s_delay_alu instid0(SALU_CYCLE_1)
	s_or_b32 exec_lo, exec_lo, s24
.LBB183_594:                            ;   in Loop: Header=BB183_433 Depth=1
	s_delay_alu instid0(SALU_CYCLE_1) | instskip(NEXT) | instid1(SALU_CYCLE_1)
	s_or_b32 exec_lo, exec_lo, s23
	s_mov_b32 s23, exec_lo
	v_cmpx_lt_u32_e32 0xffffff, v48
	s_cbranch_execz .LBB183_602
; %bb.595:                              ;   in Loop: Header=BB183_433 Depth=1
	v_mov_b64_e32 v[44:45], 0x8000000000000000
	v_lshrrev_b32_e32 v49, 24, v48
	s_mov_b32 s24, exec_lo
	s_delay_alu instid0(VALU_DEP_1)
	v_cmpx_ne_u32_e32 0x80, v49
	s_cbranch_execz .LBB183_601
; %bb.596:                              ;   in Loop: Header=BB183_433 Depth=1
	v_mov_b64_e32 v[44:45], 0x7f80000100000000
	v_bfe_u32 v48, v48, 24, 7
	s_mov_b32 s25, exec_lo
	s_delay_alu instid0(VALU_DEP_1)
	v_cmpx_ne_u32_e32 0x7f, v48
	s_cbranch_execz .LBB183_600
; %bb.597:                              ;   in Loop: Header=BB183_433 Depth=1
	v_dual_lshrrev_b32 v44, 3, v48 :: v_dual_bitop2_b32 v18, 7, v49 bitop3:0x40
	s_mov_b32 s27, exec_lo
	v_cmpx_gt_u32_e32 8, v48
; %bb.598:                              ;   in Loop: Header=BB183_433 Depth=1
	s_delay_alu instid0(VALU_DEP_2) | instskip(NEXT) | instid1(VALU_DEP_1)
	v_clz_i32_u32_e32 v44, v18
	v_min_u32_e32 v44, 32, v44
	s_delay_alu instid0(VALU_DEP_1) | instskip(SKIP_1) | instid1(VALU_DEP_2)
	v_subrev_nc_u32_e32 v45, 28, v44
	v_sub_nc_u32_e32 v44, 29, v44
	v_lshlrev_b64_e32 v[52:53], v45, v[18:19]
	s_delay_alu instid0(VALU_DEP_1)
	v_and_b32_e32 v18, 7, v52
; %bb.599:                              ;   in Loop: Header=BB183_433 Depth=1
	s_or_b32 exec_lo, exec_lo, s27
	s_delay_alu instid0(VALU_DEP_1) | instskip(SKIP_1) | instid1(VALU_DEP_2)
	v_dual_lshlrev_b32 v45, 24, v49 :: v_dual_lshlrev_b32 v18, 20, v18
	v_lshl_add_u32 v44, v44, 23, 0x3c000000
	v_and_b32_e32 v45, 0x80000000, v45
	s_delay_alu instid0(VALU_DEP_1)
	v_or3_b32 v45, v18, v45, v44
	v_mov_b32_e32 v44, v19
.LBB183_600:                            ;   in Loop: Header=BB183_433 Depth=1
	s_or_b32 exec_lo, exec_lo, s25
.LBB183_601:                            ;   in Loop: Header=BB183_433 Depth=1
	s_delay_alu instid0(SALU_CYCLE_1)
	s_or_b32 exec_lo, exec_lo, s24
.LBB183_602:                            ;   in Loop: Header=BB183_433 Depth=1
	s_delay_alu instid0(SALU_CYCLE_1)
	s_or_b32 exec_lo, exec_lo, s23
	v_or_b32_e32 v1, v1, v43
	v_or_b32_e32 v0, v0, v42
	v_mov_b64_e32 v[42:43], s[8:9]
	v_or_b32_e32 v47, v45, v47
	v_or_b32_e32 v46, v44, v46
	s_delay_alu instid0(VALU_DEP_3) | instskip(NEXT) | instid1(VALU_DEP_2)
	v_pk_mul_f32 v[44:45], v[42:43], v[0:1]
	v_pk_mul_f32 v[42:43], v[42:43], v[46:47]
	s_and_saveexec_b32 s23, vcc_lo
	s_cbranch_execz .LBB183_604
; %bb.603:                              ;   in Loop: Header=BB183_433 Depth=1
	v_cmp_gt_i32_e64 s0, s34, v51
	s_delay_alu instid0(VALU_DEP_1) | instskip(SKIP_1) | instid1(VALU_DEP_1)
	v_cndmask_b32_e64 v44, 0, v44, s0
	v_cmp_gt_i32_e64 s0, s34, v83
	v_cndmask_b32_e64 v45, 0, v45, s0
	v_cmp_gt_i32_e64 s0, s34, v75
	s_delay_alu instid0(VALU_DEP_1) | instskip(SKIP_1) | instid1(VALU_DEP_1)
	v_cndmask_b32_e64 v42, 0, v42, s0
	v_cmp_gt_i32_e64 s0, s34, v74
	v_cndmask_b32_e64 v43, 0, v43, s0
.LBB183_604:                            ;   in Loop: Header=BB183_433 Depth=1
	s_or_b32 exec_lo, exec_lo, s23
	global_load_b32 v54, v[28:29], off offset:640
	v_mov_b64_e32 v[0:1], 0
	v_mov_b64_e32 v[46:47], 0
	s_mov_b32 s23, exec_lo
	s_wait_loadcnt 0x0
	v_and_b32_e32 v18, 0xff, v54
	s_delay_alu instid0(VALU_DEP_1)
	v_cmpx_ne_u16_e32 0, v18
	s_cbranch_execz .LBB183_612
; %bb.605:                              ;   in Loop: Header=BB183_433 Depth=1
	v_mov_b64_e32 v[46:47], 0x80000000
	s_mov_b32 s24, exec_lo
	v_cmpx_ne_u16_e32 0x80, v18
	s_cbranch_execz .LBB183_611
; %bb.606:                              ;   in Loop: Header=BB183_433 Depth=1
	v_mov_b64_e32 v[46:47], 0x7f800001
	v_and_b32_e32 v48, 0x7f, v54
	s_mov_b32 s25, exec_lo
	s_delay_alu instid0(VALU_DEP_1)
	v_cmpx_ne_u32_e32 0x7f, v48
	s_cbranch_execz .LBB183_610
; %bb.607:                              ;   in Loop: Header=BB183_433 Depth=1
	v_dual_lshrrev_b32 v46, 3, v48 :: v_dual_bitop2_b32 v18, 7, v54 bitop3:0x40
	s_mov_b32 s27, exec_lo
	v_cmpx_gt_u32_e32 8, v48
; %bb.608:                              ;   in Loop: Header=BB183_433 Depth=1
	s_delay_alu instid0(VALU_DEP_2) | instskip(NEXT) | instid1(VALU_DEP_1)
	v_clz_i32_u32_e32 v46, v18
	v_min_u32_e32 v46, 32, v46
	s_delay_alu instid0(VALU_DEP_1) | instskip(NEXT) | instid1(VALU_DEP_1)
	v_subrev_nc_u32_e32 v47, 28, v46
	v_lshlrev_b64_e32 v[48:49], v47, v[18:19]
	s_delay_alu instid0(VALU_DEP_1)
	v_dual_sub_nc_u32 v46, 29, v46 :: v_dual_bitop2_b32 v18, 7, v48 bitop3:0x40
; %bb.609:                              ;   in Loop: Header=BB183_433 Depth=1
	s_or_b32 exec_lo, exec_lo, s27
	v_lshlrev_b32_e32 v47, 24, v54
	s_delay_alu instid0(VALU_DEP_2) | instskip(NEXT) | instid1(VALU_DEP_3)
	v_lshlrev_b32_e32 v18, 20, v18
	v_lshl_add_u32 v46, v46, 23, 0x3c000000
	s_delay_alu instid0(VALU_DEP_3) | instskip(NEXT) | instid1(VALU_DEP_1)
	v_and_b32_e32 v47, 0x80000000, v47
	v_or3_b32 v18, v18, v47, v46
	s_delay_alu instid0(VALU_DEP_1)
	v_mov_b64_e32 v[46:47], v[18:19]
.LBB183_610:                            ;   in Loop: Header=BB183_433 Depth=1
	s_or_b32 exec_lo, exec_lo, s25
.LBB183_611:                            ;   in Loop: Header=BB183_433 Depth=1
	s_delay_alu instid0(SALU_CYCLE_1)
	s_or_b32 exec_lo, exec_lo, s24
.LBB183_612:                            ;   in Loop: Header=BB183_433 Depth=1
	s_delay_alu instid0(SALU_CYCLE_1) | instskip(SKIP_2) | instid1(VALU_DEP_1)
	s_or_b32 exec_lo, exec_lo, s23
	v_lshrrev_b16 v18, 8, v54
	s_mov_b32 s23, exec_lo
	v_cmpx_ne_u16_e32 0, v18
	s_cbranch_execz .LBB183_620
; %bb.613:                              ;   in Loop: Header=BB183_433 Depth=1
	v_mov_b64_e32 v[0:1], 0x8000000000000000
	s_mov_b32 s24, exec_lo
	v_cmpx_ne_u16_e32 0x80, v18
	s_cbranch_execz .LBB183_619
; %bb.614:                              ;   in Loop: Header=BB183_433 Depth=1
	v_and_b32_e32 v18, 0xffff, v18
	v_mov_b64_e32 v[0:1], 0x7f80000100000000
	s_mov_b32 s25, exec_lo
	s_delay_alu instid0(VALU_DEP_2) | instskip(NEXT) | instid1(VALU_DEP_1)
	v_and_b32_e32 v48, 0x7f, v18
	v_cmpx_ne_u32_e32 0x7f, v48
	s_cbranch_execz .LBB183_618
; %bb.615:                              ;   in Loop: Header=BB183_433 Depth=1
	v_dual_lshrrev_b32 v0, 3, v48 :: v_dual_bitop2_b32 v18, 7, v18 bitop3:0x40
	s_mov_b32 s27, exec_lo
	v_cmpx_gt_u32_e32 8, v48
; %bb.616:                              ;   in Loop: Header=BB183_433 Depth=1
	s_delay_alu instid0(VALU_DEP_2) | instskip(NEXT) | instid1(VALU_DEP_1)
	v_clz_i32_u32_e32 v0, v18
	v_min_u32_e32 v0, 32, v0
	s_delay_alu instid0(VALU_DEP_1) | instskip(SKIP_1) | instid1(VALU_DEP_2)
	v_subrev_nc_u32_e32 v1, 28, v0
	v_sub_nc_u32_e32 v0, 29, v0
	v_lshlrev_b64_e32 v[48:49], v1, v[18:19]
	s_delay_alu instid0(VALU_DEP_1)
	v_and_b32_e32 v18, 7, v48
; %bb.617:                              ;   in Loop: Header=BB183_433 Depth=1
	s_or_b32 exec_lo, exec_lo, s27
	v_lshlrev_b32_e32 v1, 16, v54
	s_delay_alu instid0(VALU_DEP_2) | instskip(SKIP_1) | instid1(VALU_DEP_3)
	v_lshlrev_b32_e32 v18, 20, v18
	v_lshl_add_u32 v0, v0, 23, 0x3c000000
	v_and_b32_e32 v1, 0x80000000, v1
	s_delay_alu instid0(VALU_DEP_1)
	v_or3_b32 v1, v18, v1, v0
	v_mov_b32_e32 v0, v19
.LBB183_618:                            ;   in Loop: Header=BB183_433 Depth=1
	s_or_b32 exec_lo, exec_lo, s25
.LBB183_619:                            ;   in Loop: Header=BB183_433 Depth=1
	s_delay_alu instid0(SALU_CYCLE_1)
	s_or_b32 exec_lo, exec_lo, s24
.LBB183_620:                            ;   in Loop: Header=BB183_433 Depth=1
	s_delay_alu instid0(SALU_CYCLE_1) | instskip(SKIP_4) | instid1(VALU_DEP_3)
	s_or_b32 exec_lo, exec_lo, s23
	v_lshrrev_b32_e32 v55, 16, v54
	v_mov_b64_e32 v[48:49], 0
	v_mov_b64_e32 v[52:53], 0
	s_mov_b32 s23, exec_lo
	v_and_b32_e32 v18, 0xff, v55
	s_delay_alu instid0(VALU_DEP_1)
	v_cmpx_ne_u16_e32 0, v18
	s_cbranch_execz .LBB183_628
; %bb.621:                              ;   in Loop: Header=BB183_433 Depth=1
	v_mov_b64_e32 v[52:53], 0x80000000
	s_mov_b32 s24, exec_lo
	v_cmpx_ne_u16_e32 0x80, v18
	s_cbranch_execz .LBB183_627
; %bb.622:                              ;   in Loop: Header=BB183_433 Depth=1
	v_mov_b64_e32 v[52:53], 0x7f800001
	v_bfe_u32 v56, v54, 16, 7
	s_mov_b32 s25, exec_lo
	s_delay_alu instid0(VALU_DEP_1)
	v_cmpx_ne_u32_e32 0x7f, v56
	s_cbranch_execz .LBB183_626
; %bb.623:                              ;   in Loop: Header=BB183_433 Depth=1
	v_dual_lshrrev_b32 v52, 3, v56 :: v_dual_bitop2_b32 v18, 7, v55 bitop3:0x40
	s_mov_b32 s27, exec_lo
	v_cmpx_gt_u32_e32 8, v56
; %bb.624:                              ;   in Loop: Header=BB183_433 Depth=1
	s_delay_alu instid0(VALU_DEP_2) | instskip(NEXT) | instid1(VALU_DEP_1)
	v_clz_i32_u32_e32 v52, v18
	v_min_u32_e32 v52, 32, v52
	s_delay_alu instid0(VALU_DEP_1) | instskip(SKIP_1) | instid1(VALU_DEP_2)
	v_subrev_nc_u32_e32 v53, 28, v52
	v_sub_nc_u32_e32 v52, 29, v52
	v_lshlrev_b64_e32 v[56:57], v53, v[18:19]
	s_delay_alu instid0(VALU_DEP_1)
	v_and_b32_e32 v18, 7, v56
; %bb.625:                              ;   in Loop: Header=BB183_433 Depth=1
	s_or_b32 exec_lo, exec_lo, s27
	s_delay_alu instid0(VALU_DEP_1) | instskip(SKIP_1) | instid1(VALU_DEP_2)
	v_dual_lshlrev_b32 v53, 24, v55 :: v_dual_lshlrev_b32 v18, 20, v18
	v_lshl_add_u32 v52, v52, 23, 0x3c000000
	v_and_b32_e32 v53, 0x80000000, v53
	s_delay_alu instid0(VALU_DEP_1) | instskip(NEXT) | instid1(VALU_DEP_1)
	v_or3_b32 v18, v18, v53, v52
	v_mov_b64_e32 v[52:53], v[18:19]
.LBB183_626:                            ;   in Loop: Header=BB183_433 Depth=1
	s_or_b32 exec_lo, exec_lo, s25
.LBB183_627:                            ;   in Loop: Header=BB183_433 Depth=1
	s_delay_alu instid0(SALU_CYCLE_1)
	s_or_b32 exec_lo, exec_lo, s24
.LBB183_628:                            ;   in Loop: Header=BB183_433 Depth=1
	s_delay_alu instid0(SALU_CYCLE_1) | instskip(NEXT) | instid1(SALU_CYCLE_1)
	s_or_b32 exec_lo, exec_lo, s23
	s_mov_b32 s23, exec_lo
	v_cmpx_lt_u32_e32 0xffffff, v54
	s_cbranch_execz .LBB183_636
; %bb.629:                              ;   in Loop: Header=BB183_433 Depth=1
	v_mov_b64_e32 v[48:49], 0x8000000000000000
	v_lshrrev_b32_e32 v55, 24, v54
	s_mov_b32 s24, exec_lo
	s_delay_alu instid0(VALU_DEP_1)
	v_cmpx_ne_u32_e32 0x80, v55
	s_cbranch_execz .LBB183_635
; %bb.630:                              ;   in Loop: Header=BB183_433 Depth=1
	v_mov_b64_e32 v[48:49], 0x7f80000100000000
	v_bfe_u32 v54, v54, 24, 7
	s_mov_b32 s25, exec_lo
	s_delay_alu instid0(VALU_DEP_1)
	v_cmpx_ne_u32_e32 0x7f, v54
	s_cbranch_execz .LBB183_634
; %bb.631:                              ;   in Loop: Header=BB183_433 Depth=1
	v_dual_lshrrev_b32 v48, 3, v54 :: v_dual_bitop2_b32 v18, 7, v55 bitop3:0x40
	s_mov_b32 s27, exec_lo
	v_cmpx_gt_u32_e32 8, v54
; %bb.632:                              ;   in Loop: Header=BB183_433 Depth=1
	s_delay_alu instid0(VALU_DEP_2) | instskip(NEXT) | instid1(VALU_DEP_1)
	v_clz_i32_u32_e32 v48, v18
	v_min_u32_e32 v48, 32, v48
	s_delay_alu instid0(VALU_DEP_1) | instskip(SKIP_1) | instid1(VALU_DEP_2)
	v_subrev_nc_u32_e32 v49, 28, v48
	v_sub_nc_u32_e32 v48, 29, v48
	v_lshlrev_b64_e32 v[56:57], v49, v[18:19]
	s_delay_alu instid0(VALU_DEP_1)
	v_and_b32_e32 v18, 7, v56
; %bb.633:                              ;   in Loop: Header=BB183_433 Depth=1
	s_or_b32 exec_lo, exec_lo, s27
	s_delay_alu instid0(VALU_DEP_1) | instskip(SKIP_1) | instid1(VALU_DEP_2)
	v_dual_lshlrev_b32 v49, 24, v55 :: v_dual_lshlrev_b32 v18, 20, v18
	v_lshl_add_u32 v48, v48, 23, 0x3c000000
	v_and_b32_e32 v49, 0x80000000, v49
	s_delay_alu instid0(VALU_DEP_1)
	v_or3_b32 v49, v18, v49, v48
	v_mov_b32_e32 v48, v19
.LBB183_634:                            ;   in Loop: Header=BB183_433 Depth=1
	s_or_b32 exec_lo, exec_lo, s25
.LBB183_635:                            ;   in Loop: Header=BB183_433 Depth=1
	s_delay_alu instid0(SALU_CYCLE_1)
	s_or_b32 exec_lo, exec_lo, s24
.LBB183_636:                            ;   in Loop: Header=BB183_433 Depth=1
	s_delay_alu instid0(SALU_CYCLE_1)
	s_or_b32 exec_lo, exec_lo, s23
	v_or_b32_e32 v1, v1, v47
	v_or_b32_e32 v0, v0, v46
	v_mov_b64_e32 v[46:47], s[8:9]
	v_or_b32_e32 v53, v49, v53
	v_or_b32_e32 v52, v48, v52
	s_delay_alu instid0(VALU_DEP_3) | instskip(NEXT) | instid1(VALU_DEP_2)
	v_pk_mul_f32 v[48:49], v[46:47], v[0:1]
	v_pk_mul_f32 v[46:47], v[46:47], v[52:53]
	s_and_saveexec_b32 s23, vcc_lo
	s_cbranch_execz .LBB183_638
; %bb.637:                              ;   in Loop: Header=BB183_433 Depth=1
	v_cmp_gt_i32_e64 s0, s34, v51
	s_delay_alu instid0(VALU_DEP_1) | instskip(SKIP_1) | instid1(VALU_DEP_1)
	v_cndmask_b32_e64 v48, 0, v48, s0
	v_cmp_gt_i32_e64 s0, s34, v83
	v_cndmask_b32_e64 v49, 0, v49, s0
	v_cmp_gt_i32_e64 s0, s34, v75
	s_delay_alu instid0(VALU_DEP_1) | instskip(SKIP_1) | instid1(VALU_DEP_1)
	v_cndmask_b32_e64 v46, 0, v46, s0
	v_cmp_gt_i32_e64 s0, s34, v74
	v_cndmask_b32_e64 v47, 0, v47, s0
.LBB183_638:                            ;   in Loop: Header=BB183_433 Depth=1
	s_or_b32 exec_lo, exec_lo, s23
	global_load_b32 v58, v[28:29], off offset:768
	v_mov_b64_e32 v[0:1], 0
	v_mov_b64_e32 v[52:53], 0
	s_mov_b32 s23, exec_lo
	s_wait_loadcnt 0x0
	v_and_b32_e32 v18, 0xff, v58
	s_delay_alu instid0(VALU_DEP_1)
	v_cmpx_ne_u16_e32 0, v18
	s_cbranch_execz .LBB183_646
; %bb.639:                              ;   in Loop: Header=BB183_433 Depth=1
	v_mov_b64_e32 v[52:53], 0x80000000
	s_mov_b32 s24, exec_lo
	v_cmpx_ne_u16_e32 0x80, v18
	s_cbranch_execz .LBB183_645
; %bb.640:                              ;   in Loop: Header=BB183_433 Depth=1
	v_mov_b64_e32 v[52:53], 0x7f800001
	v_and_b32_e32 v54, 0x7f, v58
	s_mov_b32 s25, exec_lo
	s_delay_alu instid0(VALU_DEP_1)
	v_cmpx_ne_u32_e32 0x7f, v54
	s_cbranch_execz .LBB183_644
; %bb.641:                              ;   in Loop: Header=BB183_433 Depth=1
	v_and_b32_e32 v18, 7, v58
	v_lshrrev_b32_e32 v52, 3, v54
	s_mov_b32 s27, exec_lo
	v_cmpx_gt_u32_e32 8, v54
; %bb.642:                              ;   in Loop: Header=BB183_433 Depth=1
	s_delay_alu instid0(VALU_DEP_3) | instskip(NEXT) | instid1(VALU_DEP_1)
	v_clz_i32_u32_e32 v52, v18
	v_min_u32_e32 v52, 32, v52
	s_delay_alu instid0(VALU_DEP_1) | instskip(NEXT) | instid1(VALU_DEP_1)
	v_subrev_nc_u32_e32 v53, 28, v52
	v_lshlrev_b64_e32 v[54:55], v53, v[18:19]
	s_delay_alu instid0(VALU_DEP_1)
	v_dual_sub_nc_u32 v52, 29, v52 :: v_dual_bitop2_b32 v18, 7, v54 bitop3:0x40
; %bb.643:                              ;   in Loop: Header=BB183_433 Depth=1
	s_or_b32 exec_lo, exec_lo, s27
	v_lshlrev_b32_e32 v53, 24, v58
	s_delay_alu instid0(VALU_DEP_2) | instskip(NEXT) | instid1(VALU_DEP_3)
	v_lshlrev_b32_e32 v18, 20, v18
	v_lshl_add_u32 v52, v52, 23, 0x3c000000
	s_delay_alu instid0(VALU_DEP_3) | instskip(NEXT) | instid1(VALU_DEP_1)
	v_and_b32_e32 v53, 0x80000000, v53
	v_or3_b32 v18, v18, v53, v52
	s_delay_alu instid0(VALU_DEP_1)
	v_mov_b64_e32 v[52:53], v[18:19]
.LBB183_644:                            ;   in Loop: Header=BB183_433 Depth=1
	s_or_b32 exec_lo, exec_lo, s25
.LBB183_645:                            ;   in Loop: Header=BB183_433 Depth=1
	s_delay_alu instid0(SALU_CYCLE_1)
	s_or_b32 exec_lo, exec_lo, s24
.LBB183_646:                            ;   in Loop: Header=BB183_433 Depth=1
	s_delay_alu instid0(SALU_CYCLE_1) | instskip(SKIP_2) | instid1(VALU_DEP_1)
	s_or_b32 exec_lo, exec_lo, s23
	v_lshrrev_b16 v18, 8, v58
	s_mov_b32 s23, exec_lo
	v_cmpx_ne_u16_e32 0, v18
	s_cbranch_execz .LBB183_654
; %bb.647:                              ;   in Loop: Header=BB183_433 Depth=1
	v_mov_b64_e32 v[0:1], 0x8000000000000000
	s_mov_b32 s24, exec_lo
	v_cmpx_ne_u16_e32 0x80, v18
	s_cbranch_execz .LBB183_653
; %bb.648:                              ;   in Loop: Header=BB183_433 Depth=1
	v_and_b32_e32 v18, 0xffff, v18
	v_mov_b64_e32 v[0:1], 0x7f80000100000000
	s_mov_b32 s25, exec_lo
	s_delay_alu instid0(VALU_DEP_2) | instskip(NEXT) | instid1(VALU_DEP_1)
	v_and_b32_e32 v54, 0x7f, v18
	v_cmpx_ne_u32_e32 0x7f, v54
	s_cbranch_execz .LBB183_652
; %bb.649:                              ;   in Loop: Header=BB183_433 Depth=1
	v_and_b32_e32 v18, 7, v18
	v_lshrrev_b32_e32 v0, 3, v54
	s_mov_b32 s27, exec_lo
	v_cmpx_gt_u32_e32 8, v54
; %bb.650:                              ;   in Loop: Header=BB183_433 Depth=1
	s_delay_alu instid0(VALU_DEP_3) | instskip(NEXT) | instid1(VALU_DEP_1)
	v_clz_i32_u32_e32 v0, v18
	v_min_u32_e32 v0, 32, v0
	s_delay_alu instid0(VALU_DEP_1) | instskip(NEXT) | instid1(VALU_DEP_1)
	v_subrev_nc_u32_e32 v1, 28, v0
	v_lshlrev_b64_e32 v[54:55], v1, v[18:19]
	s_delay_alu instid0(VALU_DEP_1)
	v_dual_sub_nc_u32 v0, 29, v0 :: v_dual_bitop2_b32 v18, 7, v54 bitop3:0x40
; %bb.651:                              ;   in Loop: Header=BB183_433 Depth=1
	s_or_b32 exec_lo, exec_lo, s27
	v_lshlrev_b32_e32 v1, 16, v58
	s_delay_alu instid0(VALU_DEP_2) | instskip(NEXT) | instid1(VALU_DEP_3)
	v_lshlrev_b32_e32 v18, 20, v18
	v_lshl_add_u32 v0, v0, 23, 0x3c000000
	s_delay_alu instid0(VALU_DEP_3) | instskip(NEXT) | instid1(VALU_DEP_1)
	v_and_b32_e32 v1, 0x80000000, v1
	v_or3_b32 v1, v18, v1, v0
	v_mov_b32_e32 v0, v19
.LBB183_652:                            ;   in Loop: Header=BB183_433 Depth=1
	s_or_b32 exec_lo, exec_lo, s25
.LBB183_653:                            ;   in Loop: Header=BB183_433 Depth=1
	s_delay_alu instid0(SALU_CYCLE_1)
	s_or_b32 exec_lo, exec_lo, s24
.LBB183_654:                            ;   in Loop: Header=BB183_433 Depth=1
	s_delay_alu instid0(SALU_CYCLE_1) | instskip(SKIP_4) | instid1(VALU_DEP_3)
	s_or_b32 exec_lo, exec_lo, s23
	v_lshrrev_b32_e32 v59, 16, v58
	v_mov_b64_e32 v[54:55], 0
	v_mov_b64_e32 v[56:57], 0
	s_mov_b32 s23, exec_lo
	v_and_b32_e32 v18, 0xff, v59
	s_delay_alu instid0(VALU_DEP_1)
	v_cmpx_ne_u16_e32 0, v18
	s_cbranch_execz .LBB183_662
; %bb.655:                              ;   in Loop: Header=BB183_433 Depth=1
	v_mov_b64_e32 v[56:57], 0x80000000
	s_mov_b32 s24, exec_lo
	v_cmpx_ne_u16_e32 0x80, v18
	s_cbranch_execz .LBB183_661
; %bb.656:                              ;   in Loop: Header=BB183_433 Depth=1
	v_mov_b64_e32 v[56:57], 0x7f800001
	v_bfe_u32 v60, v58, 16, 7
	s_mov_b32 s25, exec_lo
	s_delay_alu instid0(VALU_DEP_1)
	v_cmpx_ne_u32_e32 0x7f, v60
	s_cbranch_execz .LBB183_660
; %bb.657:                              ;   in Loop: Header=BB183_433 Depth=1
	v_dual_lshrrev_b32 v56, 3, v60 :: v_dual_bitop2_b32 v18, 7, v59 bitop3:0x40
	s_mov_b32 s27, exec_lo
	v_cmpx_gt_u32_e32 8, v60
; %bb.658:                              ;   in Loop: Header=BB183_433 Depth=1
	s_delay_alu instid0(VALU_DEP_2) | instskip(NEXT) | instid1(VALU_DEP_1)
	v_clz_i32_u32_e32 v56, v18
	v_min_u32_e32 v56, 32, v56
	s_delay_alu instid0(VALU_DEP_1) | instskip(SKIP_1) | instid1(VALU_DEP_2)
	v_subrev_nc_u32_e32 v57, 28, v56
	v_sub_nc_u32_e32 v56, 29, v56
	v_lshlrev_b64_e32 v[60:61], v57, v[18:19]
	s_delay_alu instid0(VALU_DEP_1)
	v_and_b32_e32 v18, 7, v60
; %bb.659:                              ;   in Loop: Header=BB183_433 Depth=1
	s_or_b32 exec_lo, exec_lo, s27
	s_delay_alu instid0(VALU_DEP_1) | instskip(SKIP_1) | instid1(VALU_DEP_2)
	v_dual_lshlrev_b32 v57, 24, v59 :: v_dual_lshlrev_b32 v18, 20, v18
	v_lshl_add_u32 v56, v56, 23, 0x3c000000
	v_and_b32_e32 v57, 0x80000000, v57
	s_delay_alu instid0(VALU_DEP_1) | instskip(NEXT) | instid1(VALU_DEP_1)
	v_or3_b32 v18, v18, v57, v56
	v_mov_b64_e32 v[56:57], v[18:19]
.LBB183_660:                            ;   in Loop: Header=BB183_433 Depth=1
	s_or_b32 exec_lo, exec_lo, s25
.LBB183_661:                            ;   in Loop: Header=BB183_433 Depth=1
	s_delay_alu instid0(SALU_CYCLE_1)
	s_or_b32 exec_lo, exec_lo, s24
.LBB183_662:                            ;   in Loop: Header=BB183_433 Depth=1
	s_delay_alu instid0(SALU_CYCLE_1) | instskip(NEXT) | instid1(SALU_CYCLE_1)
	s_or_b32 exec_lo, exec_lo, s23
	s_mov_b32 s23, exec_lo
	v_cmpx_lt_u32_e32 0xffffff, v58
	s_cbranch_execz .LBB183_670
; %bb.663:                              ;   in Loop: Header=BB183_433 Depth=1
	v_mov_b64_e32 v[54:55], 0x8000000000000000
	v_lshrrev_b32_e32 v59, 24, v58
	s_mov_b32 s24, exec_lo
	s_delay_alu instid0(VALU_DEP_1)
	v_cmpx_ne_u32_e32 0x80, v59
	s_cbranch_execz .LBB183_669
; %bb.664:                              ;   in Loop: Header=BB183_433 Depth=1
	v_mov_b64_e32 v[54:55], 0x7f80000100000000
	v_bfe_u32 v58, v58, 24, 7
	s_mov_b32 s25, exec_lo
	s_delay_alu instid0(VALU_DEP_1)
	v_cmpx_ne_u32_e32 0x7f, v58
	s_cbranch_execz .LBB183_668
; %bb.665:                              ;   in Loop: Header=BB183_433 Depth=1
	v_dual_lshrrev_b32 v54, 3, v58 :: v_dual_bitop2_b32 v18, 7, v59 bitop3:0x40
	s_mov_b32 s27, exec_lo
	v_cmpx_gt_u32_e32 8, v58
; %bb.666:                              ;   in Loop: Header=BB183_433 Depth=1
	s_delay_alu instid0(VALU_DEP_2) | instskip(NEXT) | instid1(VALU_DEP_1)
	v_clz_i32_u32_e32 v54, v18
	v_min_u32_e32 v54, 32, v54
	s_delay_alu instid0(VALU_DEP_1) | instskip(NEXT) | instid1(VALU_DEP_1)
	v_subrev_nc_u32_e32 v55, 28, v54
	v_lshlrev_b64_e32 v[60:61], v55, v[18:19]
	s_delay_alu instid0(VALU_DEP_1)
	v_dual_sub_nc_u32 v54, 29, v54 :: v_dual_bitop2_b32 v18, 7, v60 bitop3:0x40
; %bb.667:                              ;   in Loop: Header=BB183_433 Depth=1
	s_or_b32 exec_lo, exec_lo, s27
	s_delay_alu instid0(VALU_DEP_1) | instskip(NEXT) | instid1(VALU_DEP_2)
	v_dual_lshlrev_b32 v55, 24, v59 :: v_dual_lshlrev_b32 v18, 20, v18
	v_lshl_add_u32 v54, v54, 23, 0x3c000000
	s_delay_alu instid0(VALU_DEP_2) | instskip(NEXT) | instid1(VALU_DEP_1)
	v_and_b32_e32 v55, 0x80000000, v55
	v_or3_b32 v55, v18, v55, v54
	v_mov_b32_e32 v54, v19
.LBB183_668:                            ;   in Loop: Header=BB183_433 Depth=1
	s_or_b32 exec_lo, exec_lo, s25
.LBB183_669:                            ;   in Loop: Header=BB183_433 Depth=1
	s_delay_alu instid0(SALU_CYCLE_1)
	s_or_b32 exec_lo, exec_lo, s24
.LBB183_670:                            ;   in Loop: Header=BB183_433 Depth=1
	s_delay_alu instid0(SALU_CYCLE_1)
	s_or_b32 exec_lo, exec_lo, s23
	v_or_b32_e32 v1, v1, v53
	v_or_b32_e32 v0, v0, v52
	v_mov_b64_e32 v[52:53], s[8:9]
	v_or_b32_e32 v57, v55, v57
	v_or_b32_e32 v56, v54, v56
	s_delay_alu instid0(VALU_DEP_3) | instskip(NEXT) | instid1(VALU_DEP_2)
	v_pk_mul_f32 v[54:55], v[52:53], v[0:1]
	v_pk_mul_f32 v[52:53], v[52:53], v[56:57]
	s_and_saveexec_b32 s23, vcc_lo
	s_cbranch_execz .LBB183_672
; %bb.671:                              ;   in Loop: Header=BB183_433 Depth=1
	v_cmp_gt_i32_e64 s0, s34, v51
	s_delay_alu instid0(VALU_DEP_1) | instskip(SKIP_1) | instid1(VALU_DEP_1)
	v_cndmask_b32_e64 v54, 0, v54, s0
	v_cmp_gt_i32_e64 s0, s34, v83
	v_cndmask_b32_e64 v55, 0, v55, s0
	v_cmp_gt_i32_e64 s0, s34, v75
	s_delay_alu instid0(VALU_DEP_1) | instskip(SKIP_1) | instid1(VALU_DEP_1)
	v_cndmask_b32_e64 v52, 0, v52, s0
	v_cmp_gt_i32_e64 s0, s34, v74
	v_cndmask_b32_e64 v53, 0, v53, s0
.LBB183_672:                            ;   in Loop: Header=BB183_433 Depth=1
	s_or_b32 exec_lo, exec_lo, s23
	global_load_b32 v62, v[28:29], off offset:896
	v_mov_b64_e32 v[0:1], 0
	v_mov_b64_e32 v[56:57], 0
	s_mov_b32 s23, exec_lo
	s_wait_loadcnt 0x0
	v_and_b32_e32 v18, 0xff, v62
	s_delay_alu instid0(VALU_DEP_1)
	v_cmpx_ne_u16_e32 0, v18
	s_cbranch_execz .LBB183_680
; %bb.673:                              ;   in Loop: Header=BB183_433 Depth=1
	v_mov_b64_e32 v[56:57], 0x80000000
	s_mov_b32 s24, exec_lo
	v_cmpx_ne_u16_e32 0x80, v18
	s_cbranch_execz .LBB183_679
; %bb.674:                              ;   in Loop: Header=BB183_433 Depth=1
	v_mov_b64_e32 v[56:57], 0x7f800001
	v_and_b32_e32 v58, 0x7f, v62
	s_mov_b32 s25, exec_lo
	s_delay_alu instid0(VALU_DEP_1)
	v_cmpx_ne_u32_e32 0x7f, v58
	s_cbranch_execz .LBB183_678
; %bb.675:                              ;   in Loop: Header=BB183_433 Depth=1
	v_and_b32_e32 v18, 7, v62
	v_lshrrev_b32_e32 v56, 3, v58
	s_mov_b32 s27, exec_lo
	v_cmpx_gt_u32_e32 8, v58
; %bb.676:                              ;   in Loop: Header=BB183_433 Depth=1
	s_delay_alu instid0(VALU_DEP_3) | instskip(NEXT) | instid1(VALU_DEP_1)
	v_clz_i32_u32_e32 v56, v18
	v_min_u32_e32 v56, 32, v56
	s_delay_alu instid0(VALU_DEP_1) | instskip(NEXT) | instid1(VALU_DEP_1)
	v_subrev_nc_u32_e32 v57, 28, v56
	v_lshlrev_b64_e32 v[58:59], v57, v[18:19]
	s_delay_alu instid0(VALU_DEP_1)
	v_dual_sub_nc_u32 v56, 29, v56 :: v_dual_bitop2_b32 v18, 7, v58 bitop3:0x40
; %bb.677:                              ;   in Loop: Header=BB183_433 Depth=1
	s_or_b32 exec_lo, exec_lo, s27
	v_lshlrev_b32_e32 v57, 24, v62
	s_delay_alu instid0(VALU_DEP_2) | instskip(NEXT) | instid1(VALU_DEP_3)
	v_lshlrev_b32_e32 v18, 20, v18
	v_lshl_add_u32 v56, v56, 23, 0x3c000000
	s_delay_alu instid0(VALU_DEP_3) | instskip(NEXT) | instid1(VALU_DEP_1)
	v_and_b32_e32 v57, 0x80000000, v57
	v_or3_b32 v18, v18, v57, v56
	s_delay_alu instid0(VALU_DEP_1)
	v_mov_b64_e32 v[56:57], v[18:19]
.LBB183_678:                            ;   in Loop: Header=BB183_433 Depth=1
	s_or_b32 exec_lo, exec_lo, s25
.LBB183_679:                            ;   in Loop: Header=BB183_433 Depth=1
	s_delay_alu instid0(SALU_CYCLE_1)
	s_or_b32 exec_lo, exec_lo, s24
.LBB183_680:                            ;   in Loop: Header=BB183_433 Depth=1
	s_delay_alu instid0(SALU_CYCLE_1) | instskip(SKIP_2) | instid1(VALU_DEP_1)
	s_or_b32 exec_lo, exec_lo, s23
	v_lshrrev_b16 v18, 8, v62
	s_mov_b32 s23, exec_lo
	v_cmpx_ne_u16_e32 0, v18
	s_cbranch_execz .LBB183_688
; %bb.681:                              ;   in Loop: Header=BB183_433 Depth=1
	v_mov_b64_e32 v[0:1], 0x8000000000000000
	s_mov_b32 s24, exec_lo
	v_cmpx_ne_u16_e32 0x80, v18
	s_cbranch_execz .LBB183_687
; %bb.682:                              ;   in Loop: Header=BB183_433 Depth=1
	v_and_b32_e32 v18, 0xffff, v18
	v_mov_b64_e32 v[0:1], 0x7f80000100000000
	s_mov_b32 s25, exec_lo
	s_delay_alu instid0(VALU_DEP_2) | instskip(NEXT) | instid1(VALU_DEP_1)
	v_and_b32_e32 v58, 0x7f, v18
	v_cmpx_ne_u32_e32 0x7f, v58
	s_cbranch_execz .LBB183_686
; %bb.683:                              ;   in Loop: Header=BB183_433 Depth=1
	v_and_b32_e32 v18, 7, v18
	v_lshrrev_b32_e32 v0, 3, v58
	s_mov_b32 s27, exec_lo
	v_cmpx_gt_u32_e32 8, v58
; %bb.684:                              ;   in Loop: Header=BB183_433 Depth=1
	s_delay_alu instid0(VALU_DEP_3) | instskip(NEXT) | instid1(VALU_DEP_1)
	v_clz_i32_u32_e32 v0, v18
	v_min_u32_e32 v0, 32, v0
	s_delay_alu instid0(VALU_DEP_1) | instskip(NEXT) | instid1(VALU_DEP_1)
	v_subrev_nc_u32_e32 v1, 28, v0
	v_lshlrev_b64_e32 v[58:59], v1, v[18:19]
	s_delay_alu instid0(VALU_DEP_1)
	v_dual_sub_nc_u32 v0, 29, v0 :: v_dual_bitop2_b32 v18, 7, v58 bitop3:0x40
; %bb.685:                              ;   in Loop: Header=BB183_433 Depth=1
	s_or_b32 exec_lo, exec_lo, s27
	v_lshlrev_b32_e32 v1, 16, v62
	s_delay_alu instid0(VALU_DEP_2) | instskip(NEXT) | instid1(VALU_DEP_3)
	v_lshlrev_b32_e32 v18, 20, v18
	v_lshl_add_u32 v0, v0, 23, 0x3c000000
	s_delay_alu instid0(VALU_DEP_3) | instskip(NEXT) | instid1(VALU_DEP_1)
	v_and_b32_e32 v1, 0x80000000, v1
	v_or3_b32 v1, v18, v1, v0
	v_mov_b32_e32 v0, v19
.LBB183_686:                            ;   in Loop: Header=BB183_433 Depth=1
	s_or_b32 exec_lo, exec_lo, s25
.LBB183_687:                            ;   in Loop: Header=BB183_433 Depth=1
	s_delay_alu instid0(SALU_CYCLE_1)
	s_or_b32 exec_lo, exec_lo, s24
.LBB183_688:                            ;   in Loop: Header=BB183_433 Depth=1
	s_delay_alu instid0(SALU_CYCLE_1) | instskip(SKIP_4) | instid1(VALU_DEP_3)
	s_or_b32 exec_lo, exec_lo, s23
	v_lshrrev_b32_e32 v63, 16, v62
	v_mov_b64_e32 v[58:59], 0
	v_mov_b64_e32 v[60:61], 0
	s_mov_b32 s23, exec_lo
	v_and_b32_e32 v18, 0xff, v63
	s_delay_alu instid0(VALU_DEP_1)
	v_cmpx_ne_u16_e32 0, v18
	s_cbranch_execz .LBB183_696
; %bb.689:                              ;   in Loop: Header=BB183_433 Depth=1
	v_mov_b64_e32 v[60:61], 0x80000000
	s_mov_b32 s24, exec_lo
	v_cmpx_ne_u16_e32 0x80, v18
	s_cbranch_execz .LBB183_695
; %bb.690:                              ;   in Loop: Header=BB183_433 Depth=1
	v_mov_b64_e32 v[60:61], 0x7f800001
	v_bfe_u32 v64, v62, 16, 7
	s_mov_b32 s25, exec_lo
	s_delay_alu instid0(VALU_DEP_1)
	v_cmpx_ne_u32_e32 0x7f, v64
	s_cbranch_execz .LBB183_694
; %bb.691:                              ;   in Loop: Header=BB183_433 Depth=1
	v_dual_lshrrev_b32 v60, 3, v64 :: v_dual_bitop2_b32 v18, 7, v63 bitop3:0x40
	s_mov_b32 s27, exec_lo
	v_cmpx_gt_u32_e32 8, v64
; %bb.692:                              ;   in Loop: Header=BB183_433 Depth=1
	s_delay_alu instid0(VALU_DEP_2) | instskip(NEXT) | instid1(VALU_DEP_1)
	v_clz_i32_u32_e32 v60, v18
	v_min_u32_e32 v60, 32, v60
	s_delay_alu instid0(VALU_DEP_1) | instskip(SKIP_1) | instid1(VALU_DEP_2)
	v_subrev_nc_u32_e32 v61, 28, v60
	v_sub_nc_u32_e32 v60, 29, v60
	v_lshlrev_b64_e32 v[64:65], v61, v[18:19]
	s_delay_alu instid0(VALU_DEP_1)
	v_and_b32_e32 v18, 7, v64
; %bb.693:                              ;   in Loop: Header=BB183_433 Depth=1
	s_or_b32 exec_lo, exec_lo, s27
	s_delay_alu instid0(VALU_DEP_1) | instskip(SKIP_1) | instid1(VALU_DEP_2)
	v_dual_lshlrev_b32 v61, 24, v63 :: v_dual_lshlrev_b32 v18, 20, v18
	v_lshl_add_u32 v60, v60, 23, 0x3c000000
	v_and_b32_e32 v61, 0x80000000, v61
	s_delay_alu instid0(VALU_DEP_1) | instskip(NEXT) | instid1(VALU_DEP_1)
	v_or3_b32 v18, v18, v61, v60
	v_mov_b64_e32 v[60:61], v[18:19]
.LBB183_694:                            ;   in Loop: Header=BB183_433 Depth=1
	s_or_b32 exec_lo, exec_lo, s25
.LBB183_695:                            ;   in Loop: Header=BB183_433 Depth=1
	s_delay_alu instid0(SALU_CYCLE_1)
	s_or_b32 exec_lo, exec_lo, s24
.LBB183_696:                            ;   in Loop: Header=BB183_433 Depth=1
	s_delay_alu instid0(SALU_CYCLE_1) | instskip(NEXT) | instid1(SALU_CYCLE_1)
	s_or_b32 exec_lo, exec_lo, s23
	s_mov_b32 s23, exec_lo
	v_cmpx_lt_u32_e32 0xffffff, v62
	s_cbranch_execz .LBB183_704
; %bb.697:                              ;   in Loop: Header=BB183_433 Depth=1
	v_mov_b64_e32 v[58:59], 0x8000000000000000
	v_lshrrev_b32_e32 v63, 24, v62
	s_mov_b32 s24, exec_lo
	s_delay_alu instid0(VALU_DEP_1)
	v_cmpx_ne_u32_e32 0x80, v63
	s_cbranch_execz .LBB183_703
; %bb.698:                              ;   in Loop: Header=BB183_433 Depth=1
	v_mov_b64_e32 v[58:59], 0x7f80000100000000
	v_bfe_u32 v62, v62, 24, 7
	s_mov_b32 s25, exec_lo
	s_delay_alu instid0(VALU_DEP_1)
	v_cmpx_ne_u32_e32 0x7f, v62
	s_cbranch_execz .LBB183_702
; %bb.699:                              ;   in Loop: Header=BB183_433 Depth=1
	v_dual_lshrrev_b32 v58, 3, v62 :: v_dual_bitop2_b32 v18, 7, v63 bitop3:0x40
	s_mov_b32 s27, exec_lo
	v_cmpx_gt_u32_e32 8, v62
; %bb.700:                              ;   in Loop: Header=BB183_433 Depth=1
	s_delay_alu instid0(VALU_DEP_2) | instskip(NEXT) | instid1(VALU_DEP_1)
	v_clz_i32_u32_e32 v58, v18
	v_min_u32_e32 v58, 32, v58
	s_delay_alu instid0(VALU_DEP_1) | instskip(NEXT) | instid1(VALU_DEP_1)
	v_subrev_nc_u32_e32 v59, 28, v58
	v_lshlrev_b64_e32 v[64:65], v59, v[18:19]
	s_delay_alu instid0(VALU_DEP_1)
	v_dual_sub_nc_u32 v58, 29, v58 :: v_dual_bitop2_b32 v18, 7, v64 bitop3:0x40
; %bb.701:                              ;   in Loop: Header=BB183_433 Depth=1
	s_or_b32 exec_lo, exec_lo, s27
	s_delay_alu instid0(VALU_DEP_1) | instskip(NEXT) | instid1(VALU_DEP_2)
	v_dual_lshlrev_b32 v59, 24, v63 :: v_dual_lshlrev_b32 v18, 20, v18
	v_lshl_add_u32 v58, v58, 23, 0x3c000000
	s_delay_alu instid0(VALU_DEP_2) | instskip(NEXT) | instid1(VALU_DEP_1)
	v_and_b32_e32 v59, 0x80000000, v59
	v_or3_b32 v59, v18, v59, v58
	v_mov_b32_e32 v58, v19
.LBB183_702:                            ;   in Loop: Header=BB183_433 Depth=1
	s_or_b32 exec_lo, exec_lo, s25
.LBB183_703:                            ;   in Loop: Header=BB183_433 Depth=1
	s_delay_alu instid0(SALU_CYCLE_1)
	s_or_b32 exec_lo, exec_lo, s24
.LBB183_704:                            ;   in Loop: Header=BB183_433 Depth=1
	s_delay_alu instid0(SALU_CYCLE_1)
	s_or_b32 exec_lo, exec_lo, s23
	v_or_b32_e32 v1, v1, v57
	v_or_b32_e32 v0, v0, v56
	v_mov_b64_e32 v[56:57], s[8:9]
	v_or_b32_e32 v61, v59, v61
	v_or_b32_e32 v60, v58, v60
	s_delay_alu instid0(VALU_DEP_3) | instskip(NEXT) | instid1(VALU_DEP_2)
	v_pk_mul_f32 v[58:59], v[56:57], v[0:1]
	v_pk_mul_f32 v[56:57], v[56:57], v[60:61]
	s_and_saveexec_b32 s23, vcc_lo
	s_cbranch_execz .LBB183_706
; %bb.705:                              ;   in Loop: Header=BB183_433 Depth=1
	v_cmp_gt_i32_e64 s0, s34, v51
	s_delay_alu instid0(VALU_DEP_1) | instskip(SKIP_1) | instid1(VALU_DEP_1)
	v_cndmask_b32_e64 v58, 0, v58, s0
	v_cmp_gt_i32_e64 s0, s34, v83
	v_cndmask_b32_e64 v59, 0, v59, s0
	v_cmp_gt_i32_e64 s0, s34, v75
	s_delay_alu instid0(VALU_DEP_1) | instskip(SKIP_1) | instid1(VALU_DEP_1)
	v_cndmask_b32_e64 v56, 0, v56, s0
	v_cmp_gt_i32_e64 s0, s34, v74
	v_cndmask_b32_e64 v57, 0, v57, s0
.LBB183_706:                            ;   in Loop: Header=BB183_433 Depth=1
	s_or_b32 exec_lo, exec_lo, s23
	global_load_b32 v66, v[28:29], off offset:1024
	v_mov_b64_e32 v[0:1], 0
	v_mov_b64_e32 v[60:61], 0
	s_mov_b32 s23, exec_lo
	s_wait_loadcnt 0x0
	v_and_b32_e32 v18, 0xff, v66
	s_delay_alu instid0(VALU_DEP_1)
	v_cmpx_ne_u16_e32 0, v18
	s_cbranch_execz .LBB183_714
; %bb.707:                              ;   in Loop: Header=BB183_433 Depth=1
	v_mov_b64_e32 v[60:61], 0x80000000
	s_mov_b32 s24, exec_lo
	v_cmpx_ne_u16_e32 0x80, v18
	s_cbranch_execz .LBB183_713
; %bb.708:                              ;   in Loop: Header=BB183_433 Depth=1
	v_mov_b64_e32 v[60:61], 0x7f800001
	v_and_b32_e32 v62, 0x7f, v66
	s_mov_b32 s25, exec_lo
	s_delay_alu instid0(VALU_DEP_1)
	v_cmpx_ne_u32_e32 0x7f, v62
	s_cbranch_execz .LBB183_712
; %bb.709:                              ;   in Loop: Header=BB183_433 Depth=1
	v_and_b32_e32 v18, 7, v66
	v_lshrrev_b32_e32 v60, 3, v62
	s_mov_b32 s27, exec_lo
	v_cmpx_gt_u32_e32 8, v62
; %bb.710:                              ;   in Loop: Header=BB183_433 Depth=1
	s_delay_alu instid0(VALU_DEP_3) | instskip(NEXT) | instid1(VALU_DEP_1)
	v_clz_i32_u32_e32 v60, v18
	v_min_u32_e32 v60, 32, v60
	s_delay_alu instid0(VALU_DEP_1) | instskip(NEXT) | instid1(VALU_DEP_1)
	v_subrev_nc_u32_e32 v61, 28, v60
	v_lshlrev_b64_e32 v[62:63], v61, v[18:19]
	s_delay_alu instid0(VALU_DEP_1)
	v_dual_sub_nc_u32 v60, 29, v60 :: v_dual_bitop2_b32 v18, 7, v62 bitop3:0x40
; %bb.711:                              ;   in Loop: Header=BB183_433 Depth=1
	s_or_b32 exec_lo, exec_lo, s27
	v_lshlrev_b32_e32 v61, 24, v66
	s_delay_alu instid0(VALU_DEP_2) | instskip(NEXT) | instid1(VALU_DEP_3)
	v_lshlrev_b32_e32 v18, 20, v18
	v_lshl_add_u32 v60, v60, 23, 0x3c000000
	s_delay_alu instid0(VALU_DEP_3) | instskip(NEXT) | instid1(VALU_DEP_1)
	v_and_b32_e32 v61, 0x80000000, v61
	v_or3_b32 v18, v18, v61, v60
	s_delay_alu instid0(VALU_DEP_1)
	v_mov_b64_e32 v[60:61], v[18:19]
.LBB183_712:                            ;   in Loop: Header=BB183_433 Depth=1
	s_or_b32 exec_lo, exec_lo, s25
.LBB183_713:                            ;   in Loop: Header=BB183_433 Depth=1
	s_delay_alu instid0(SALU_CYCLE_1)
	s_or_b32 exec_lo, exec_lo, s24
.LBB183_714:                            ;   in Loop: Header=BB183_433 Depth=1
	s_delay_alu instid0(SALU_CYCLE_1) | instskip(SKIP_2) | instid1(VALU_DEP_1)
	s_or_b32 exec_lo, exec_lo, s23
	v_lshrrev_b16 v18, 8, v66
	s_mov_b32 s23, exec_lo
	v_cmpx_ne_u16_e32 0, v18
	s_cbranch_execz .LBB183_722
; %bb.715:                              ;   in Loop: Header=BB183_433 Depth=1
	v_mov_b64_e32 v[0:1], 0x8000000000000000
	s_mov_b32 s24, exec_lo
	v_cmpx_ne_u16_e32 0x80, v18
	s_cbranch_execz .LBB183_721
; %bb.716:                              ;   in Loop: Header=BB183_433 Depth=1
	v_and_b32_e32 v18, 0xffff, v18
	v_mov_b64_e32 v[0:1], 0x7f80000100000000
	s_mov_b32 s25, exec_lo
	s_delay_alu instid0(VALU_DEP_2) | instskip(NEXT) | instid1(VALU_DEP_1)
	v_and_b32_e32 v62, 0x7f, v18
	v_cmpx_ne_u32_e32 0x7f, v62
	s_cbranch_execz .LBB183_720
; %bb.717:                              ;   in Loop: Header=BB183_433 Depth=1
	v_and_b32_e32 v18, 7, v18
	v_lshrrev_b32_e32 v0, 3, v62
	s_mov_b32 s27, exec_lo
	v_cmpx_gt_u32_e32 8, v62
; %bb.718:                              ;   in Loop: Header=BB183_433 Depth=1
	s_delay_alu instid0(VALU_DEP_3) | instskip(NEXT) | instid1(VALU_DEP_1)
	v_clz_i32_u32_e32 v0, v18
	v_min_u32_e32 v0, 32, v0
	s_delay_alu instid0(VALU_DEP_1) | instskip(NEXT) | instid1(VALU_DEP_1)
	v_subrev_nc_u32_e32 v1, 28, v0
	v_lshlrev_b64_e32 v[62:63], v1, v[18:19]
	s_delay_alu instid0(VALU_DEP_1)
	v_dual_sub_nc_u32 v0, 29, v0 :: v_dual_bitop2_b32 v18, 7, v62 bitop3:0x40
; %bb.719:                              ;   in Loop: Header=BB183_433 Depth=1
	s_or_b32 exec_lo, exec_lo, s27
	v_lshlrev_b32_e32 v1, 16, v66
	s_delay_alu instid0(VALU_DEP_2) | instskip(NEXT) | instid1(VALU_DEP_3)
	v_lshlrev_b32_e32 v18, 20, v18
	v_lshl_add_u32 v0, v0, 23, 0x3c000000
	s_delay_alu instid0(VALU_DEP_3) | instskip(NEXT) | instid1(VALU_DEP_1)
	v_and_b32_e32 v1, 0x80000000, v1
	v_or3_b32 v1, v18, v1, v0
	v_mov_b32_e32 v0, v19
.LBB183_720:                            ;   in Loop: Header=BB183_433 Depth=1
	s_or_b32 exec_lo, exec_lo, s25
.LBB183_721:                            ;   in Loop: Header=BB183_433 Depth=1
	s_delay_alu instid0(SALU_CYCLE_1)
	s_or_b32 exec_lo, exec_lo, s24
.LBB183_722:                            ;   in Loop: Header=BB183_433 Depth=1
	s_delay_alu instid0(SALU_CYCLE_1) | instskip(SKIP_4) | instid1(VALU_DEP_3)
	s_or_b32 exec_lo, exec_lo, s23
	v_lshrrev_b32_e32 v67, 16, v66
	v_mov_b64_e32 v[62:63], 0
	v_mov_b64_e32 v[64:65], 0
	s_mov_b32 s23, exec_lo
	v_and_b32_e32 v18, 0xff, v67
	s_delay_alu instid0(VALU_DEP_1)
	v_cmpx_ne_u16_e32 0, v18
	s_cbranch_execz .LBB183_730
; %bb.723:                              ;   in Loop: Header=BB183_433 Depth=1
	v_mov_b64_e32 v[64:65], 0x80000000
	s_mov_b32 s24, exec_lo
	v_cmpx_ne_u16_e32 0x80, v18
	s_cbranch_execz .LBB183_729
; %bb.724:                              ;   in Loop: Header=BB183_433 Depth=1
	v_mov_b64_e32 v[64:65], 0x7f800001
	v_bfe_u32 v68, v66, 16, 7
	s_mov_b32 s25, exec_lo
	s_delay_alu instid0(VALU_DEP_1)
	v_cmpx_ne_u32_e32 0x7f, v68
	s_cbranch_execz .LBB183_728
; %bb.725:                              ;   in Loop: Header=BB183_433 Depth=1
	v_dual_lshrrev_b32 v64, 3, v68 :: v_dual_bitop2_b32 v18, 7, v67 bitop3:0x40
	s_mov_b32 s27, exec_lo
	v_cmpx_gt_u32_e32 8, v68
; %bb.726:                              ;   in Loop: Header=BB183_433 Depth=1
	s_delay_alu instid0(VALU_DEP_2) | instskip(NEXT) | instid1(VALU_DEP_1)
	v_clz_i32_u32_e32 v64, v18
	v_min_u32_e32 v64, 32, v64
	s_delay_alu instid0(VALU_DEP_1) | instskip(SKIP_1) | instid1(VALU_DEP_2)
	v_subrev_nc_u32_e32 v65, 28, v64
	v_sub_nc_u32_e32 v64, 29, v64
	v_lshlrev_b64_e32 v[68:69], v65, v[18:19]
	s_delay_alu instid0(VALU_DEP_1)
	v_and_b32_e32 v18, 7, v68
; %bb.727:                              ;   in Loop: Header=BB183_433 Depth=1
	s_or_b32 exec_lo, exec_lo, s27
	s_delay_alu instid0(VALU_DEP_1) | instskip(SKIP_1) | instid1(VALU_DEP_2)
	v_dual_lshlrev_b32 v65, 24, v67 :: v_dual_lshlrev_b32 v18, 20, v18
	v_lshl_add_u32 v64, v64, 23, 0x3c000000
	v_and_b32_e32 v65, 0x80000000, v65
	s_delay_alu instid0(VALU_DEP_1) | instskip(NEXT) | instid1(VALU_DEP_1)
	v_or3_b32 v18, v18, v65, v64
	v_mov_b64_e32 v[64:65], v[18:19]
.LBB183_728:                            ;   in Loop: Header=BB183_433 Depth=1
	s_or_b32 exec_lo, exec_lo, s25
.LBB183_729:                            ;   in Loop: Header=BB183_433 Depth=1
	s_delay_alu instid0(SALU_CYCLE_1)
	s_or_b32 exec_lo, exec_lo, s24
.LBB183_730:                            ;   in Loop: Header=BB183_433 Depth=1
	s_delay_alu instid0(SALU_CYCLE_1) | instskip(NEXT) | instid1(SALU_CYCLE_1)
	s_or_b32 exec_lo, exec_lo, s23
	s_mov_b32 s23, exec_lo
	v_cmpx_lt_u32_e32 0xffffff, v66
	s_cbranch_execz .LBB183_738
; %bb.731:                              ;   in Loop: Header=BB183_433 Depth=1
	v_mov_b64_e32 v[62:63], 0x8000000000000000
	v_lshrrev_b32_e32 v67, 24, v66
	s_mov_b32 s24, exec_lo
	s_delay_alu instid0(VALU_DEP_1)
	v_cmpx_ne_u32_e32 0x80, v67
	s_cbranch_execz .LBB183_737
; %bb.732:                              ;   in Loop: Header=BB183_433 Depth=1
	v_mov_b64_e32 v[62:63], 0x7f80000100000000
	v_bfe_u32 v66, v66, 24, 7
	s_mov_b32 s25, exec_lo
	s_delay_alu instid0(VALU_DEP_1)
	v_cmpx_ne_u32_e32 0x7f, v66
	s_cbranch_execz .LBB183_736
; %bb.733:                              ;   in Loop: Header=BB183_433 Depth=1
	v_dual_lshrrev_b32 v62, 3, v66 :: v_dual_bitop2_b32 v18, 7, v67 bitop3:0x40
	s_mov_b32 s27, exec_lo
	v_cmpx_gt_u32_e32 8, v66
; %bb.734:                              ;   in Loop: Header=BB183_433 Depth=1
	s_delay_alu instid0(VALU_DEP_2) | instskip(NEXT) | instid1(VALU_DEP_1)
	v_clz_i32_u32_e32 v62, v18
	v_min_u32_e32 v62, 32, v62
	s_delay_alu instid0(VALU_DEP_1) | instskip(NEXT) | instid1(VALU_DEP_1)
	v_subrev_nc_u32_e32 v63, 28, v62
	v_lshlrev_b64_e32 v[68:69], v63, v[18:19]
	s_delay_alu instid0(VALU_DEP_1)
	v_dual_sub_nc_u32 v62, 29, v62 :: v_dual_bitop2_b32 v18, 7, v68 bitop3:0x40
; %bb.735:                              ;   in Loop: Header=BB183_433 Depth=1
	s_or_b32 exec_lo, exec_lo, s27
	s_delay_alu instid0(VALU_DEP_1) | instskip(NEXT) | instid1(VALU_DEP_2)
	v_dual_lshlrev_b32 v63, 24, v67 :: v_dual_lshlrev_b32 v18, 20, v18
	v_lshl_add_u32 v62, v62, 23, 0x3c000000
	s_delay_alu instid0(VALU_DEP_2) | instskip(NEXT) | instid1(VALU_DEP_1)
	v_and_b32_e32 v63, 0x80000000, v63
	v_or3_b32 v63, v18, v63, v62
	v_mov_b32_e32 v62, v19
.LBB183_736:                            ;   in Loop: Header=BB183_433 Depth=1
	s_or_b32 exec_lo, exec_lo, s25
.LBB183_737:                            ;   in Loop: Header=BB183_433 Depth=1
	s_delay_alu instid0(SALU_CYCLE_1)
	s_or_b32 exec_lo, exec_lo, s24
.LBB183_738:                            ;   in Loop: Header=BB183_433 Depth=1
	s_delay_alu instid0(SALU_CYCLE_1)
	s_or_b32 exec_lo, exec_lo, s23
	v_mov_b64_e32 v[66:67], s[8:9]
	v_or_b32_e32 v1, v1, v61
	v_or_b32_e32 v0, v0, v60
	;; [unrolled: 1-line block ×4, first 2 shown]
	s_delay_alu instid0(VALU_DEP_3) | instskip(NEXT) | instid1(VALU_DEP_2)
	v_pk_mul_f32 v[60:61], v[66:67], v[0:1]
	v_pk_mul_f32 v[0:1], v[66:67], v[62:63]
	s_and_saveexec_b32 s23, vcc_lo
	s_cbranch_execz .LBB183_740
; %bb.739:                              ;   in Loop: Header=BB183_433 Depth=1
	v_cmp_gt_i32_e64 s0, s34, v51
	s_delay_alu instid0(VALU_DEP_1) | instskip(SKIP_1) | instid1(VALU_DEP_1)
	v_cndmask_b32_e64 v60, 0, v60, s0
	v_cmp_gt_i32_e64 s0, s34, v83
	v_cndmask_b32_e64 v61, 0, v61, s0
	v_cmp_gt_i32_e64 s0, s34, v75
	s_delay_alu instid0(VALU_DEP_1) | instskip(SKIP_1) | instid1(VALU_DEP_1)
	v_cndmask_b32_e64 v0, 0, v0, s0
	v_cmp_gt_i32_e64 s0, s34, v74
	v_cndmask_b32_e64 v1, 0, v1, s0
.LBB183_740:                            ;   in Loop: Header=BB183_433 Depth=1
	s_or_b32 exec_lo, exec_lo, s23
	global_load_b32 v70, v[28:29], off offset:1152
	v_mov_b64_e32 v[62:63], 0
	v_mov_b64_e32 v[64:65], 0
	s_mov_b32 s23, exec_lo
	s_wait_loadcnt 0x0
	v_and_b32_e32 v18, 0xff, v70
	s_delay_alu instid0(VALU_DEP_1)
	v_cmpx_ne_u16_e32 0, v18
	s_cbranch_execz .LBB183_748
; %bb.741:                              ;   in Loop: Header=BB183_433 Depth=1
	v_mov_b64_e32 v[64:65], 0x80000000
	s_mov_b32 s24, exec_lo
	v_cmpx_ne_u16_e32 0x80, v18
	s_cbranch_execz .LBB183_747
; %bb.742:                              ;   in Loop: Header=BB183_433 Depth=1
	v_mov_b64_e32 v[64:65], 0x7f800001
	v_and_b32_e32 v66, 0x7f, v70
	s_mov_b32 s25, exec_lo
	s_delay_alu instid0(VALU_DEP_1)
	v_cmpx_ne_u32_e32 0x7f, v66
	s_cbranch_execz .LBB183_746
; %bb.743:                              ;   in Loop: Header=BB183_433 Depth=1
	v_and_b32_e32 v18, 7, v70
	v_lshrrev_b32_e32 v64, 3, v66
	s_mov_b32 s27, exec_lo
	v_cmpx_gt_u32_e32 8, v66
; %bb.744:                              ;   in Loop: Header=BB183_433 Depth=1
	s_delay_alu instid0(VALU_DEP_3) | instskip(NEXT) | instid1(VALU_DEP_1)
	v_clz_i32_u32_e32 v64, v18
	v_min_u32_e32 v64, 32, v64
	s_delay_alu instid0(VALU_DEP_1) | instskip(NEXT) | instid1(VALU_DEP_1)
	v_subrev_nc_u32_e32 v65, 28, v64
	v_lshlrev_b64_e32 v[66:67], v65, v[18:19]
	s_delay_alu instid0(VALU_DEP_1)
	v_dual_sub_nc_u32 v64, 29, v64 :: v_dual_bitop2_b32 v18, 7, v66 bitop3:0x40
; %bb.745:                              ;   in Loop: Header=BB183_433 Depth=1
	s_or_b32 exec_lo, exec_lo, s27
	v_lshlrev_b32_e32 v65, 24, v70
	s_delay_alu instid0(VALU_DEP_2) | instskip(NEXT) | instid1(VALU_DEP_3)
	v_lshlrev_b32_e32 v18, 20, v18
	v_lshl_add_u32 v64, v64, 23, 0x3c000000
	s_delay_alu instid0(VALU_DEP_3) | instskip(NEXT) | instid1(VALU_DEP_1)
	v_and_b32_e32 v65, 0x80000000, v65
	v_or3_b32 v18, v18, v65, v64
	s_delay_alu instid0(VALU_DEP_1)
	v_mov_b64_e32 v[64:65], v[18:19]
.LBB183_746:                            ;   in Loop: Header=BB183_433 Depth=1
	s_or_b32 exec_lo, exec_lo, s25
.LBB183_747:                            ;   in Loop: Header=BB183_433 Depth=1
	s_delay_alu instid0(SALU_CYCLE_1)
	s_or_b32 exec_lo, exec_lo, s24
.LBB183_748:                            ;   in Loop: Header=BB183_433 Depth=1
	s_delay_alu instid0(SALU_CYCLE_1) | instskip(SKIP_2) | instid1(VALU_DEP_1)
	s_or_b32 exec_lo, exec_lo, s23
	v_lshrrev_b16 v18, 8, v70
	s_mov_b32 s23, exec_lo
	v_cmpx_ne_u16_e32 0, v18
	s_cbranch_execz .LBB183_756
; %bb.749:                              ;   in Loop: Header=BB183_433 Depth=1
	v_mov_b64_e32 v[62:63], 0x8000000000000000
	s_mov_b32 s24, exec_lo
	v_cmpx_ne_u16_e32 0x80, v18
	s_cbranch_execz .LBB183_755
; %bb.750:                              ;   in Loop: Header=BB183_433 Depth=1
	v_and_b32_e32 v18, 0xffff, v18
	v_mov_b64_e32 v[62:63], 0x7f80000100000000
	s_mov_b32 s25, exec_lo
	s_delay_alu instid0(VALU_DEP_2) | instskip(NEXT) | instid1(VALU_DEP_1)
	v_and_b32_e32 v66, 0x7f, v18
	v_cmpx_ne_u32_e32 0x7f, v66
	s_cbranch_execz .LBB183_754
; %bb.751:                              ;   in Loop: Header=BB183_433 Depth=1
	v_and_b32_e32 v18, 7, v18
	v_lshrrev_b32_e32 v62, 3, v66
	s_mov_b32 s27, exec_lo
	v_cmpx_gt_u32_e32 8, v66
; %bb.752:                              ;   in Loop: Header=BB183_433 Depth=1
	s_delay_alu instid0(VALU_DEP_3) | instskip(NEXT) | instid1(VALU_DEP_1)
	v_clz_i32_u32_e32 v62, v18
	v_min_u32_e32 v62, 32, v62
	s_delay_alu instid0(VALU_DEP_1) | instskip(SKIP_1) | instid1(VALU_DEP_2)
	v_subrev_nc_u32_e32 v63, 28, v62
	v_sub_nc_u32_e32 v62, 29, v62
	v_lshlrev_b64_e32 v[66:67], v63, v[18:19]
	s_delay_alu instid0(VALU_DEP_1)
	v_and_b32_e32 v18, 7, v66
; %bb.753:                              ;   in Loop: Header=BB183_433 Depth=1
	s_or_b32 exec_lo, exec_lo, s27
	v_lshlrev_b32_e32 v63, 16, v70
	s_delay_alu instid0(VALU_DEP_2) | instskip(SKIP_1) | instid1(VALU_DEP_3)
	v_lshlrev_b32_e32 v18, 20, v18
	v_lshl_add_u32 v62, v62, 23, 0x3c000000
	v_and_b32_e32 v63, 0x80000000, v63
	s_delay_alu instid0(VALU_DEP_1)
	v_or3_b32 v63, v18, v63, v62
	v_mov_b32_e32 v62, v19
.LBB183_754:                            ;   in Loop: Header=BB183_433 Depth=1
	s_or_b32 exec_lo, exec_lo, s25
.LBB183_755:                            ;   in Loop: Header=BB183_433 Depth=1
	s_delay_alu instid0(SALU_CYCLE_1)
	s_or_b32 exec_lo, exec_lo, s24
.LBB183_756:                            ;   in Loop: Header=BB183_433 Depth=1
	s_delay_alu instid0(SALU_CYCLE_1) | instskip(SKIP_4) | instid1(VALU_DEP_3)
	s_or_b32 exec_lo, exec_lo, s23
	v_lshrrev_b32_e32 v71, 16, v70
	v_mov_b64_e32 v[66:67], 0
	v_mov_b64_e32 v[68:69], 0
	s_mov_b32 s23, exec_lo
	v_and_b32_e32 v18, 0xff, v71
	s_delay_alu instid0(VALU_DEP_1)
	v_cmpx_ne_u16_e32 0, v18
	s_cbranch_execz .LBB183_764
; %bb.757:                              ;   in Loop: Header=BB183_433 Depth=1
	v_mov_b64_e32 v[68:69], 0x80000000
	s_mov_b32 s24, exec_lo
	v_cmpx_ne_u16_e32 0x80, v18
	s_cbranch_execz .LBB183_763
; %bb.758:                              ;   in Loop: Header=BB183_433 Depth=1
	v_mov_b64_e32 v[68:69], 0x7f800001
	v_bfe_u32 v72, v70, 16, 7
	s_mov_b32 s25, exec_lo
	s_delay_alu instid0(VALU_DEP_1)
	v_cmpx_ne_u32_e32 0x7f, v72
	s_cbranch_execz .LBB183_762
; %bb.759:                              ;   in Loop: Header=BB183_433 Depth=1
	v_dual_lshrrev_b32 v68, 3, v72 :: v_dual_bitop2_b32 v18, 7, v71 bitop3:0x40
	s_mov_b32 s27, exec_lo
	v_cmpx_gt_u32_e32 8, v72
; %bb.760:                              ;   in Loop: Header=BB183_433 Depth=1
	s_delay_alu instid0(VALU_DEP_2) | instskip(NEXT) | instid1(VALU_DEP_1)
	v_clz_i32_u32_e32 v68, v18
	v_min_u32_e32 v68, 32, v68
	s_delay_alu instid0(VALU_DEP_1) | instskip(SKIP_1) | instid1(VALU_DEP_2)
	v_subrev_nc_u32_e32 v69, 28, v68
	v_sub_nc_u32_e32 v68, 29, v68
	v_lshlrev_b64_e32 v[72:73], v69, v[18:19]
	s_delay_alu instid0(VALU_DEP_1)
	v_and_b32_e32 v18, 7, v72
; %bb.761:                              ;   in Loop: Header=BB183_433 Depth=1
	s_or_b32 exec_lo, exec_lo, s27
	s_delay_alu instid0(VALU_DEP_1) | instskip(SKIP_1) | instid1(VALU_DEP_2)
	v_dual_lshlrev_b32 v69, 24, v71 :: v_dual_lshlrev_b32 v18, 20, v18
	v_lshl_add_u32 v68, v68, 23, 0x3c000000
	v_and_b32_e32 v69, 0x80000000, v69
	s_delay_alu instid0(VALU_DEP_1) | instskip(NEXT) | instid1(VALU_DEP_1)
	v_or3_b32 v18, v18, v69, v68
	v_mov_b64_e32 v[68:69], v[18:19]
.LBB183_762:                            ;   in Loop: Header=BB183_433 Depth=1
	s_or_b32 exec_lo, exec_lo, s25
.LBB183_763:                            ;   in Loop: Header=BB183_433 Depth=1
	s_delay_alu instid0(SALU_CYCLE_1)
	s_or_b32 exec_lo, exec_lo, s24
.LBB183_764:                            ;   in Loop: Header=BB183_433 Depth=1
	s_delay_alu instid0(SALU_CYCLE_1) | instskip(NEXT) | instid1(SALU_CYCLE_1)
	s_or_b32 exec_lo, exec_lo, s23
	s_mov_b32 s23, exec_lo
	v_cmpx_lt_u32_e32 0xffffff, v70
	s_cbranch_execz .LBB183_772
; %bb.765:                              ;   in Loop: Header=BB183_433 Depth=1
	v_mov_b64_e32 v[66:67], 0x8000000000000000
	v_lshrrev_b32_e32 v71, 24, v70
	s_mov_b32 s24, exec_lo
	s_delay_alu instid0(VALU_DEP_1)
	v_cmpx_ne_u32_e32 0x80, v71
	s_cbranch_execz .LBB183_771
; %bb.766:                              ;   in Loop: Header=BB183_433 Depth=1
	v_mov_b64_e32 v[66:67], 0x7f80000100000000
	v_bfe_u32 v70, v70, 24, 7
	s_mov_b32 s25, exec_lo
	s_delay_alu instid0(VALU_DEP_1)
	v_cmpx_ne_u32_e32 0x7f, v70
	s_cbranch_execz .LBB183_770
; %bb.767:                              ;   in Loop: Header=BB183_433 Depth=1
	v_dual_lshrrev_b32 v66, 3, v70 :: v_dual_bitop2_b32 v18, 7, v71 bitop3:0x40
	s_mov_b32 s27, exec_lo
	v_cmpx_gt_u32_e32 8, v70
; %bb.768:                              ;   in Loop: Header=BB183_433 Depth=1
	s_delay_alu instid0(VALU_DEP_2) | instskip(NEXT) | instid1(VALU_DEP_1)
	v_clz_i32_u32_e32 v66, v18
	v_min_u32_e32 v66, 32, v66
	s_delay_alu instid0(VALU_DEP_1) | instskip(NEXT) | instid1(VALU_DEP_1)
	v_subrev_nc_u32_e32 v67, 28, v66
	v_lshlrev_b64_e32 v[72:73], v67, v[18:19]
	s_delay_alu instid0(VALU_DEP_1)
	v_dual_sub_nc_u32 v66, 29, v66 :: v_dual_bitop2_b32 v18, 7, v72 bitop3:0x40
; %bb.769:                              ;   in Loop: Header=BB183_433 Depth=1
	s_or_b32 exec_lo, exec_lo, s27
	s_delay_alu instid0(VALU_DEP_1) | instskip(NEXT) | instid1(VALU_DEP_2)
	v_dual_lshlrev_b32 v67, 24, v71 :: v_dual_lshlrev_b32 v18, 20, v18
	v_lshl_add_u32 v66, v66, 23, 0x3c000000
	s_delay_alu instid0(VALU_DEP_2) | instskip(NEXT) | instid1(VALU_DEP_1)
	v_and_b32_e32 v67, 0x80000000, v67
	v_or3_b32 v67, v18, v67, v66
	v_mov_b32_e32 v66, v19
.LBB183_770:                            ;   in Loop: Header=BB183_433 Depth=1
	s_or_b32 exec_lo, exec_lo, s25
.LBB183_771:                            ;   in Loop: Header=BB183_433 Depth=1
	s_delay_alu instid0(SALU_CYCLE_1)
	s_or_b32 exec_lo, exec_lo, s24
.LBB183_772:                            ;   in Loop: Header=BB183_433 Depth=1
	s_delay_alu instid0(SALU_CYCLE_1)
	s_or_b32 exec_lo, exec_lo, s23
	v_mov_b64_e32 v[70:71], s[8:9]
	v_or_b32_e32 v63, v63, v65
	v_or_b32_e32 v62, v62, v64
	;; [unrolled: 1-line block ×4, first 2 shown]
	s_delay_alu instid0(VALU_DEP_3) | instskip(NEXT) | instid1(VALU_DEP_2)
	v_pk_mul_f32 v[64:65], v[70:71], v[62:63]
	v_pk_mul_f32 v[62:63], v[70:71], v[66:67]
	s_and_saveexec_b32 s23, vcc_lo
	s_cbranch_execz .LBB183_774
; %bb.773:                              ;   in Loop: Header=BB183_433 Depth=1
	v_cmp_gt_i32_e64 s0, s34, v51
	s_delay_alu instid0(VALU_DEP_1) | instskip(SKIP_1) | instid1(VALU_DEP_1)
	v_cndmask_b32_e64 v64, 0, v64, s0
	v_cmp_gt_i32_e64 s0, s34, v83
	v_cndmask_b32_e64 v65, 0, v65, s0
	v_cmp_gt_i32_e64 s0, s34, v75
	s_delay_alu instid0(VALU_DEP_1) | instskip(SKIP_1) | instid1(VALU_DEP_1)
	v_cndmask_b32_e64 v62, 0, v62, s0
	v_cmp_gt_i32_e64 s0, s34, v74
	v_cndmask_b32_e64 v63, 0, v63, s0
.LBB183_774:                            ;   in Loop: Header=BB183_433 Depth=1
	s_or_b32 exec_lo, exec_lo, s23
	global_load_b32 v84, v[28:29], off offset:1280
	v_mov_b64_e32 v[66:67], 0
	v_mov_b64_e32 v[68:69], 0
	s_mov_b32 s23, exec_lo
	s_wait_loadcnt 0x0
	v_and_b32_e32 v18, 0xff, v84
	s_delay_alu instid0(VALU_DEP_1)
	v_cmpx_ne_u16_e32 0, v18
	s_cbranch_execz .LBB183_782
; %bb.775:                              ;   in Loop: Header=BB183_433 Depth=1
	v_mov_b64_e32 v[68:69], 0x80000000
	s_mov_b32 s24, exec_lo
	v_cmpx_ne_u16_e32 0x80, v18
	s_cbranch_execz .LBB183_781
; %bb.776:                              ;   in Loop: Header=BB183_433 Depth=1
	v_mov_b64_e32 v[68:69], 0x7f800001
	v_and_b32_e32 v70, 0x7f, v84
	s_mov_b32 s25, exec_lo
	s_delay_alu instid0(VALU_DEP_1)
	v_cmpx_ne_u32_e32 0x7f, v70
	s_cbranch_execz .LBB183_780
; %bb.777:                              ;   in Loop: Header=BB183_433 Depth=1
	v_dual_lshrrev_b32 v68, 3, v70 :: v_dual_bitop2_b32 v18, 7, v84 bitop3:0x40
	s_mov_b32 s27, exec_lo
	v_cmpx_gt_u32_e32 8, v70
; %bb.778:                              ;   in Loop: Header=BB183_433 Depth=1
	s_delay_alu instid0(VALU_DEP_2) | instskip(NEXT) | instid1(VALU_DEP_1)
	v_clz_i32_u32_e32 v68, v18
	v_min_u32_e32 v68, 32, v68
	s_delay_alu instid0(VALU_DEP_1) | instskip(NEXT) | instid1(VALU_DEP_1)
	v_subrev_nc_u32_e32 v69, 28, v68
	v_lshlrev_b64_e32 v[70:71], v69, v[18:19]
	s_delay_alu instid0(VALU_DEP_1)
	v_dual_sub_nc_u32 v68, 29, v68 :: v_dual_bitop2_b32 v18, 7, v70 bitop3:0x40
; %bb.779:                              ;   in Loop: Header=BB183_433 Depth=1
	s_or_b32 exec_lo, exec_lo, s27
	s_delay_alu instid0(VALU_DEP_1) | instskip(NEXT) | instid1(VALU_DEP_2)
	v_dual_lshlrev_b32 v69, 24, v84 :: v_dual_lshlrev_b32 v18, 20, v18
	v_lshl_add_u32 v68, v68, 23, 0x3c000000
	s_delay_alu instid0(VALU_DEP_2) | instskip(NEXT) | instid1(VALU_DEP_1)
	v_and_b32_e32 v69, 0x80000000, v69
	v_or3_b32 v18, v18, v69, v68
	s_delay_alu instid0(VALU_DEP_1)
	v_mov_b64_e32 v[68:69], v[18:19]
.LBB183_780:                            ;   in Loop: Header=BB183_433 Depth=1
	s_or_b32 exec_lo, exec_lo, s25
.LBB183_781:                            ;   in Loop: Header=BB183_433 Depth=1
	s_delay_alu instid0(SALU_CYCLE_1)
	s_or_b32 exec_lo, exec_lo, s24
.LBB183_782:                            ;   in Loop: Header=BB183_433 Depth=1
	s_delay_alu instid0(SALU_CYCLE_1) | instskip(SKIP_2) | instid1(VALU_DEP_1)
	s_or_b32 exec_lo, exec_lo, s23
	v_lshrrev_b16 v18, 8, v84
	s_mov_b32 s23, exec_lo
	v_cmpx_ne_u16_e32 0, v18
	s_cbranch_execz .LBB183_790
; %bb.783:                              ;   in Loop: Header=BB183_433 Depth=1
	v_mov_b64_e32 v[66:67], 0x8000000000000000
	s_mov_b32 s24, exec_lo
	v_cmpx_ne_u16_e32 0x80, v18
	s_cbranch_execz .LBB183_789
; %bb.784:                              ;   in Loop: Header=BB183_433 Depth=1
	v_and_b32_e32 v18, 0xffff, v18
	v_mov_b64_e32 v[66:67], 0x7f80000100000000
	s_mov_b32 s25, exec_lo
	s_delay_alu instid0(VALU_DEP_2) | instskip(NEXT) | instid1(VALU_DEP_1)
	v_and_b32_e32 v70, 0x7f, v18
	v_cmpx_ne_u32_e32 0x7f, v70
	s_cbranch_execz .LBB183_788
; %bb.785:                              ;   in Loop: Header=BB183_433 Depth=1
	v_and_b32_e32 v18, 7, v18
	v_lshrrev_b32_e32 v66, 3, v70
	s_mov_b32 s27, exec_lo
	v_cmpx_gt_u32_e32 8, v70
; %bb.786:                              ;   in Loop: Header=BB183_433 Depth=1
	s_delay_alu instid0(VALU_DEP_3) | instskip(NEXT) | instid1(VALU_DEP_1)
	v_clz_i32_u32_e32 v66, v18
	v_min_u32_e32 v66, 32, v66
	s_delay_alu instid0(VALU_DEP_1) | instskip(SKIP_1) | instid1(VALU_DEP_2)
	v_subrev_nc_u32_e32 v67, 28, v66
	v_sub_nc_u32_e32 v66, 29, v66
	v_lshlrev_b64_e32 v[70:71], v67, v[18:19]
	s_delay_alu instid0(VALU_DEP_1)
	v_and_b32_e32 v18, 7, v70
; %bb.787:                              ;   in Loop: Header=BB183_433 Depth=1
	s_or_b32 exec_lo, exec_lo, s27
	s_delay_alu instid0(VALU_DEP_1) | instskip(SKIP_1) | instid1(VALU_DEP_2)
	v_dual_lshlrev_b32 v67, 16, v84 :: v_dual_lshlrev_b32 v18, 20, v18
	v_lshl_add_u32 v66, v66, 23, 0x3c000000
	v_and_b32_e32 v67, 0x80000000, v67
	s_delay_alu instid0(VALU_DEP_1)
	v_or3_b32 v67, v18, v67, v66
	v_mov_b32_e32 v66, v19
.LBB183_788:                            ;   in Loop: Header=BB183_433 Depth=1
	s_or_b32 exec_lo, exec_lo, s25
.LBB183_789:                            ;   in Loop: Header=BB183_433 Depth=1
	s_delay_alu instid0(SALU_CYCLE_1)
	s_or_b32 exec_lo, exec_lo, s24
.LBB183_790:                            ;   in Loop: Header=BB183_433 Depth=1
	s_delay_alu instid0(SALU_CYCLE_1) | instskip(SKIP_4) | instid1(VALU_DEP_3)
	s_or_b32 exec_lo, exec_lo, s23
	v_lshrrev_b32_e32 v85, 16, v84
	v_mov_b64_e32 v[70:71], 0
	v_mov_b64_e32 v[72:73], 0
	s_mov_b32 s23, exec_lo
	v_and_b32_e32 v18, 0xff, v85
	s_delay_alu instid0(VALU_DEP_1)
	v_cmpx_ne_u16_e32 0, v18
	s_cbranch_execz .LBB183_798
; %bb.791:                              ;   in Loop: Header=BB183_433 Depth=1
	v_mov_b64_e32 v[72:73], 0x80000000
	s_mov_b32 s24, exec_lo
	v_cmpx_ne_u16_e32 0x80, v18
	s_cbranch_execz .LBB183_797
; %bb.792:                              ;   in Loop: Header=BB183_433 Depth=1
	v_mov_b64_e32 v[72:73], 0x7f800001
	v_bfe_u32 v86, v84, 16, 7
	s_mov_b32 s25, exec_lo
	s_delay_alu instid0(VALU_DEP_1)
	v_cmpx_ne_u32_e32 0x7f, v86
	s_cbranch_execz .LBB183_796
; %bb.793:                              ;   in Loop: Header=BB183_433 Depth=1
	v_dual_lshrrev_b32 v72, 3, v86 :: v_dual_bitop2_b32 v18, 7, v85 bitop3:0x40
	s_mov_b32 s27, exec_lo
	v_cmpx_gt_u32_e32 8, v86
; %bb.794:                              ;   in Loop: Header=BB183_433 Depth=1
	s_delay_alu instid0(VALU_DEP_2) | instskip(NEXT) | instid1(VALU_DEP_1)
	v_clz_i32_u32_e32 v72, v18
	v_min_u32_e32 v72, 32, v72
	s_delay_alu instid0(VALU_DEP_1) | instskip(NEXT) | instid1(VALU_DEP_1)
	v_subrev_nc_u32_e32 v73, 28, v72
	v_lshlrev_b64_e32 v[86:87], v73, v[18:19]
	s_delay_alu instid0(VALU_DEP_1)
	v_dual_sub_nc_u32 v72, 29, v72 :: v_dual_bitop2_b32 v18, 7, v86 bitop3:0x40
; %bb.795:                              ;   in Loop: Header=BB183_433 Depth=1
	s_or_b32 exec_lo, exec_lo, s27
	s_delay_alu instid0(VALU_DEP_1) | instskip(NEXT) | instid1(VALU_DEP_2)
	v_dual_lshlrev_b32 v73, 24, v85 :: v_dual_lshlrev_b32 v18, 20, v18
	v_lshl_add_u32 v72, v72, 23, 0x3c000000
	s_delay_alu instid0(VALU_DEP_2) | instskip(NEXT) | instid1(VALU_DEP_1)
	v_and_b32_e32 v73, 0x80000000, v73
	v_or3_b32 v18, v18, v73, v72
	s_delay_alu instid0(VALU_DEP_1)
	v_mov_b64_e32 v[72:73], v[18:19]
.LBB183_796:                            ;   in Loop: Header=BB183_433 Depth=1
	s_or_b32 exec_lo, exec_lo, s25
.LBB183_797:                            ;   in Loop: Header=BB183_433 Depth=1
	s_delay_alu instid0(SALU_CYCLE_1)
	s_or_b32 exec_lo, exec_lo, s24
.LBB183_798:                            ;   in Loop: Header=BB183_433 Depth=1
	s_delay_alu instid0(SALU_CYCLE_1) | instskip(NEXT) | instid1(SALU_CYCLE_1)
	s_or_b32 exec_lo, exec_lo, s23
	s_mov_b32 s23, exec_lo
	v_cmpx_lt_u32_e32 0xffffff, v84
	s_cbranch_execz .LBB183_806
; %bb.799:                              ;   in Loop: Header=BB183_433 Depth=1
	v_mov_b64_e32 v[70:71], 0x8000000000000000
	v_lshrrev_b32_e32 v85, 24, v84
	s_mov_b32 s24, exec_lo
	s_delay_alu instid0(VALU_DEP_1)
	v_cmpx_ne_u32_e32 0x80, v85
	s_cbranch_execz .LBB183_805
; %bb.800:                              ;   in Loop: Header=BB183_433 Depth=1
	v_mov_b64_e32 v[70:71], 0x7f80000100000000
	v_bfe_u32 v84, v84, 24, 7
	s_mov_b32 s25, exec_lo
	s_delay_alu instid0(VALU_DEP_1)
	v_cmpx_ne_u32_e32 0x7f, v84
	s_cbranch_execz .LBB183_804
; %bb.801:                              ;   in Loop: Header=BB183_433 Depth=1
	v_dual_lshrrev_b32 v70, 3, v84 :: v_dual_bitop2_b32 v18, 7, v85 bitop3:0x40
	s_mov_b32 s27, exec_lo
	v_cmpx_gt_u32_e32 8, v84
; %bb.802:                              ;   in Loop: Header=BB183_433 Depth=1
	s_delay_alu instid0(VALU_DEP_2) | instskip(NEXT) | instid1(VALU_DEP_1)
	v_clz_i32_u32_e32 v70, v18
	v_min_u32_e32 v70, 32, v70
	s_delay_alu instid0(VALU_DEP_1) | instskip(SKIP_1) | instid1(VALU_DEP_2)
	v_subrev_nc_u32_e32 v71, 28, v70
	v_sub_nc_u32_e32 v70, 29, v70
	v_lshlrev_b64_e32 v[86:87], v71, v[18:19]
	s_delay_alu instid0(VALU_DEP_1)
	v_and_b32_e32 v18, 7, v86
; %bb.803:                              ;   in Loop: Header=BB183_433 Depth=1
	s_or_b32 exec_lo, exec_lo, s27
	s_delay_alu instid0(VALU_DEP_1) | instskip(SKIP_1) | instid1(VALU_DEP_2)
	v_dual_lshlrev_b32 v71, 24, v85 :: v_dual_lshlrev_b32 v18, 20, v18
	v_lshl_add_u32 v70, v70, 23, 0x3c000000
	v_and_b32_e32 v71, 0x80000000, v71
	s_delay_alu instid0(VALU_DEP_1)
	v_or3_b32 v71, v18, v71, v70
	v_mov_b32_e32 v70, v19
.LBB183_804:                            ;   in Loop: Header=BB183_433 Depth=1
	s_or_b32 exec_lo, exec_lo, s25
.LBB183_805:                            ;   in Loop: Header=BB183_433 Depth=1
	s_delay_alu instid0(SALU_CYCLE_1)
	s_or_b32 exec_lo, exec_lo, s24
.LBB183_806:                            ;   in Loop: Header=BB183_433 Depth=1
	s_delay_alu instid0(SALU_CYCLE_1)
	s_or_b32 exec_lo, exec_lo, s23
	v_mov_b64_e32 v[84:85], s[8:9]
	v_or_b32_e32 v67, v67, v69
	v_or_b32_e32 v66, v66, v68
	;; [unrolled: 1-line block ×4, first 2 shown]
	s_delay_alu instid0(VALU_DEP_3) | instskip(NEXT) | instid1(VALU_DEP_2)
	v_pk_mul_f32 v[68:69], v[84:85], v[66:67]
	v_pk_mul_f32 v[66:67], v[84:85], v[70:71]
	s_and_saveexec_b32 s23, vcc_lo
	s_cbranch_execz .LBB183_808
; %bb.807:                              ;   in Loop: Header=BB183_433 Depth=1
	v_cmp_gt_i32_e64 s0, s34, v51
	s_delay_alu instid0(VALU_DEP_1) | instskip(SKIP_1) | instid1(VALU_DEP_1)
	v_cndmask_b32_e64 v68, 0, v68, s0
	v_cmp_gt_i32_e64 s0, s34, v83
	v_cndmask_b32_e64 v69, 0, v69, s0
	v_cmp_gt_i32_e64 s0, s34, v75
	s_delay_alu instid0(VALU_DEP_1) | instskip(SKIP_1) | instid1(VALU_DEP_1)
	v_cndmask_b32_e64 v66, 0, v66, s0
	v_cmp_gt_i32_e64 s0, s34, v74
	v_cndmask_b32_e64 v67, 0, v67, s0
.LBB183_808:                            ;   in Loop: Header=BB183_433 Depth=1
	s_or_b32 exec_lo, exec_lo, s23
	global_load_b32 v84, v[28:29], off offset:1408
	s_wait_xcnt 0x0
	v_mov_b64_e32 v[28:29], 0
	v_mov_b64_e32 v[70:71], 0
	s_mov_b32 s23, exec_lo
	s_wait_loadcnt 0x0
	v_and_b32_e32 v18, 0xff, v84
	s_delay_alu instid0(VALU_DEP_1)
	v_cmpx_ne_u16_e32 0, v18
	s_cbranch_execz .LBB183_816
; %bb.809:                              ;   in Loop: Header=BB183_433 Depth=1
	v_mov_b64_e32 v[70:71], 0x80000000
	s_mov_b32 s24, exec_lo
	v_cmpx_ne_u16_e32 0x80, v18
	s_cbranch_execz .LBB183_815
; %bb.810:                              ;   in Loop: Header=BB183_433 Depth=1
	v_mov_b64_e32 v[70:71], 0x7f800001
	v_and_b32_e32 v72, 0x7f, v84
	s_mov_b32 s25, exec_lo
	s_delay_alu instid0(VALU_DEP_1)
	v_cmpx_ne_u32_e32 0x7f, v72
	s_cbranch_execz .LBB183_814
; %bb.811:                              ;   in Loop: Header=BB183_433 Depth=1
	v_and_b32_e32 v18, 7, v84
	v_lshrrev_b32_e32 v70, 3, v72
	s_mov_b32 s27, exec_lo
	v_cmpx_gt_u32_e32 8, v72
; %bb.812:                              ;   in Loop: Header=BB183_433 Depth=1
	s_delay_alu instid0(VALU_DEP_3) | instskip(NEXT) | instid1(VALU_DEP_1)
	v_clz_i32_u32_e32 v70, v18
	v_min_u32_e32 v70, 32, v70
	s_delay_alu instid0(VALU_DEP_1) | instskip(NEXT) | instid1(VALU_DEP_1)
	v_subrev_nc_u32_e32 v71, 28, v70
	v_lshlrev_b64_e32 v[72:73], v71, v[18:19]
	s_delay_alu instid0(VALU_DEP_1)
	v_dual_sub_nc_u32 v70, 29, v70 :: v_dual_bitop2_b32 v18, 7, v72 bitop3:0x40
; %bb.813:                              ;   in Loop: Header=BB183_433 Depth=1
	s_or_b32 exec_lo, exec_lo, s27
	s_delay_alu instid0(VALU_DEP_1) | instskip(NEXT) | instid1(VALU_DEP_2)
	v_dual_lshlrev_b32 v71, 24, v84 :: v_dual_lshlrev_b32 v18, 20, v18
	v_lshl_add_u32 v70, v70, 23, 0x3c000000
	s_delay_alu instid0(VALU_DEP_2) | instskip(NEXT) | instid1(VALU_DEP_1)
	v_and_b32_e32 v71, 0x80000000, v71
	v_or3_b32 v18, v18, v71, v70
	s_delay_alu instid0(VALU_DEP_1)
	v_mov_b64_e32 v[70:71], v[18:19]
.LBB183_814:                            ;   in Loop: Header=BB183_433 Depth=1
	s_or_b32 exec_lo, exec_lo, s25
.LBB183_815:                            ;   in Loop: Header=BB183_433 Depth=1
	s_delay_alu instid0(SALU_CYCLE_1)
	s_or_b32 exec_lo, exec_lo, s24
.LBB183_816:                            ;   in Loop: Header=BB183_433 Depth=1
	s_delay_alu instid0(SALU_CYCLE_1) | instskip(SKIP_2) | instid1(VALU_DEP_1)
	s_or_b32 exec_lo, exec_lo, s23
	v_lshrrev_b16 v18, 8, v84
	s_mov_b32 s23, exec_lo
	v_cmpx_ne_u16_e32 0, v18
	s_cbranch_execz .LBB183_824
; %bb.817:                              ;   in Loop: Header=BB183_433 Depth=1
	v_mov_b64_e32 v[28:29], 0x8000000000000000
	s_mov_b32 s24, exec_lo
	v_cmpx_ne_u16_e32 0x80, v18
	s_cbranch_execz .LBB183_823
; %bb.818:                              ;   in Loop: Header=BB183_433 Depth=1
	v_and_b32_e32 v18, 0xffff, v18
	v_mov_b64_e32 v[28:29], 0x7f80000100000000
	s_mov_b32 s25, exec_lo
	s_delay_alu instid0(VALU_DEP_2) | instskip(NEXT) | instid1(VALU_DEP_1)
	v_and_b32_e32 v72, 0x7f, v18
	v_cmpx_ne_u32_e32 0x7f, v72
	s_cbranch_execz .LBB183_822
; %bb.819:                              ;   in Loop: Header=BB183_433 Depth=1
	v_dual_lshrrev_b32 v28, 3, v72 :: v_dual_bitop2_b32 v18, 7, v18 bitop3:0x40
	s_mov_b32 s27, exec_lo
	v_cmpx_gt_u32_e32 8, v72
; %bb.820:                              ;   in Loop: Header=BB183_433 Depth=1
	s_delay_alu instid0(VALU_DEP_2) | instskip(NEXT) | instid1(VALU_DEP_1)
	v_clz_i32_u32_e32 v28, v18
	v_min_u32_e32 v28, 32, v28
	s_delay_alu instid0(VALU_DEP_1) | instskip(SKIP_1) | instid1(VALU_DEP_2)
	v_subrev_nc_u32_e32 v29, 28, v28
	v_sub_nc_u32_e32 v28, 29, v28
	v_lshlrev_b64_e32 v[72:73], v29, v[18:19]
	s_delay_alu instid0(VALU_DEP_1)
	v_and_b32_e32 v18, 7, v72
; %bb.821:                              ;   in Loop: Header=BB183_433 Depth=1
	s_or_b32 exec_lo, exec_lo, s27
	s_delay_alu instid0(VALU_DEP_1) | instskip(SKIP_1) | instid1(VALU_DEP_2)
	v_dual_lshlrev_b32 v29, 16, v84 :: v_dual_lshlrev_b32 v18, 20, v18
	v_lshl_add_u32 v28, v28, 23, 0x3c000000
	v_and_b32_e32 v29, 0x80000000, v29
	s_delay_alu instid0(VALU_DEP_1)
	v_or3_b32 v29, v18, v29, v28
	v_mov_b32_e32 v28, v19
.LBB183_822:                            ;   in Loop: Header=BB183_433 Depth=1
	s_or_b32 exec_lo, exec_lo, s25
.LBB183_823:                            ;   in Loop: Header=BB183_433 Depth=1
	s_delay_alu instid0(SALU_CYCLE_1)
	s_or_b32 exec_lo, exec_lo, s24
.LBB183_824:                            ;   in Loop: Header=BB183_433 Depth=1
	s_delay_alu instid0(SALU_CYCLE_1) | instskip(SKIP_4) | instid1(VALU_DEP_3)
	s_or_b32 exec_lo, exec_lo, s23
	v_lshrrev_b32_e32 v85, 16, v84
	v_mov_b64_e32 v[72:73], 0
	v_mov_b64_e32 v[74:75], 0
	s_mov_b32 s23, exec_lo
	v_and_b32_e32 v18, 0xff, v85
	s_delay_alu instid0(VALU_DEP_1)
	v_cmpx_ne_u16_e32 0, v18
	s_cbranch_execz .LBB183_832
; %bb.825:                              ;   in Loop: Header=BB183_433 Depth=1
	v_mov_b64_e32 v[74:75], 0x80000000
	s_mov_b32 s24, exec_lo
	v_cmpx_ne_u16_e32 0x80, v18
	s_cbranch_execz .LBB183_831
; %bb.826:                              ;   in Loop: Header=BB183_433 Depth=1
	v_mov_b64_e32 v[74:75], 0x7f800001
	v_bfe_u32 v86, v84, 16, 7
	s_mov_b32 s25, exec_lo
	s_delay_alu instid0(VALU_DEP_1)
	v_cmpx_ne_u32_e32 0x7f, v86
	s_cbranch_execz .LBB183_830
; %bb.827:                              ;   in Loop: Header=BB183_433 Depth=1
	v_dual_lshrrev_b32 v74, 3, v86 :: v_dual_bitop2_b32 v18, 7, v85 bitop3:0x40
	s_mov_b32 s27, exec_lo
	v_cmpx_gt_u32_e32 8, v86
; %bb.828:                              ;   in Loop: Header=BB183_433 Depth=1
	s_delay_alu instid0(VALU_DEP_2) | instskip(NEXT) | instid1(VALU_DEP_1)
	v_clz_i32_u32_e32 v74, v18
	v_min_u32_e32 v74, 32, v74
	s_delay_alu instid0(VALU_DEP_1) | instskip(SKIP_1) | instid1(VALU_DEP_2)
	v_subrev_nc_u32_e32 v75, 28, v74
	v_sub_nc_u32_e32 v74, 29, v74
	v_lshlrev_b64_e32 v[86:87], v75, v[18:19]
	s_delay_alu instid0(VALU_DEP_1)
	v_and_b32_e32 v18, 7, v86
; %bb.829:                              ;   in Loop: Header=BB183_433 Depth=1
	s_or_b32 exec_lo, exec_lo, s27
	s_delay_alu instid0(VALU_DEP_1) | instskip(SKIP_1) | instid1(VALU_DEP_2)
	v_dual_lshlrev_b32 v75, 24, v85 :: v_dual_lshlrev_b32 v18, 20, v18
	v_lshl_add_u32 v74, v74, 23, 0x3c000000
	v_and_b32_e32 v75, 0x80000000, v75
	s_delay_alu instid0(VALU_DEP_1) | instskip(NEXT) | instid1(VALU_DEP_1)
	v_or3_b32 v18, v18, v75, v74
	v_mov_b64_e32 v[74:75], v[18:19]
.LBB183_830:                            ;   in Loop: Header=BB183_433 Depth=1
	s_or_b32 exec_lo, exec_lo, s25
.LBB183_831:                            ;   in Loop: Header=BB183_433 Depth=1
	s_delay_alu instid0(SALU_CYCLE_1)
	s_or_b32 exec_lo, exec_lo, s24
.LBB183_832:                            ;   in Loop: Header=BB183_433 Depth=1
	s_delay_alu instid0(SALU_CYCLE_1) | instskip(NEXT) | instid1(SALU_CYCLE_1)
	s_or_b32 exec_lo, exec_lo, s23
	s_mov_b32 s23, exec_lo
	v_cmpx_lt_u32_e32 0xffffff, v84
	s_cbranch_execz .LBB183_840
; %bb.833:                              ;   in Loop: Header=BB183_433 Depth=1
	v_mov_b64_e32 v[72:73], 0x8000000000000000
	v_lshrrev_b32_e32 v85, 24, v84
	s_mov_b32 s24, exec_lo
	s_delay_alu instid0(VALU_DEP_1)
	v_cmpx_ne_u32_e32 0x80, v85
	s_cbranch_execz .LBB183_839
; %bb.834:                              ;   in Loop: Header=BB183_433 Depth=1
	v_mov_b64_e32 v[72:73], 0x7f80000100000000
	v_bfe_u32 v84, v84, 24, 7
	s_mov_b32 s25, exec_lo
	s_delay_alu instid0(VALU_DEP_1)
	v_cmpx_ne_u32_e32 0x7f, v84
	s_cbranch_execz .LBB183_838
; %bb.835:                              ;   in Loop: Header=BB183_433 Depth=1
	v_dual_lshrrev_b32 v72, 3, v84 :: v_dual_bitop2_b32 v18, 7, v85 bitop3:0x40
	s_mov_b32 s27, exec_lo
	v_cmpx_gt_u32_e32 8, v84
; %bb.836:                              ;   in Loop: Header=BB183_433 Depth=1
	s_delay_alu instid0(VALU_DEP_2) | instskip(NEXT) | instid1(VALU_DEP_1)
	v_clz_i32_u32_e32 v72, v18
	v_min_u32_e32 v72, 32, v72
	s_delay_alu instid0(VALU_DEP_1) | instskip(NEXT) | instid1(VALU_DEP_1)
	v_subrev_nc_u32_e32 v73, 28, v72
	v_lshlrev_b64_e32 v[86:87], v73, v[18:19]
	s_delay_alu instid0(VALU_DEP_1)
	v_dual_sub_nc_u32 v72, 29, v72 :: v_dual_bitop2_b32 v18, 7, v86 bitop3:0x40
; %bb.837:                              ;   in Loop: Header=BB183_433 Depth=1
	s_or_b32 exec_lo, exec_lo, s27
	s_delay_alu instid0(VALU_DEP_1) | instskip(NEXT) | instid1(VALU_DEP_2)
	v_dual_lshlrev_b32 v73, 24, v85 :: v_dual_lshlrev_b32 v18, 20, v18
	v_lshl_add_u32 v72, v72, 23, 0x3c000000
	s_delay_alu instid0(VALU_DEP_2) | instskip(NEXT) | instid1(VALU_DEP_1)
	v_and_b32_e32 v73, 0x80000000, v73
	v_or3_b32 v73, v18, v73, v72
	v_mov_b32_e32 v72, v19
.LBB183_838:                            ;   in Loop: Header=BB183_433 Depth=1
	s_or_b32 exec_lo, exec_lo, s25
.LBB183_839:                            ;   in Loop: Header=BB183_433 Depth=1
	s_delay_alu instid0(SALU_CYCLE_1)
	s_or_b32 exec_lo, exec_lo, s24
.LBB183_840:                            ;   in Loop: Header=BB183_433 Depth=1
	s_delay_alu instid0(SALU_CYCLE_1)
	s_or_b32 exec_lo, exec_lo, s23
	v_mov_b64_e32 v[84:85], s[8:9]
	v_or_b32_e32 v29, v29, v71
	v_or_b32_e32 v28, v28, v70
	;; [unrolled: 1-line block ×4, first 2 shown]
	s_delay_alu instid0(VALU_DEP_3) | instskip(NEXT) | instid1(VALU_DEP_2)
	v_pk_mul_f32 v[70:71], v[84:85], v[28:29]
	v_pk_mul_f32 v[28:29], v[84:85], v[72:73]
	s_and_saveexec_b32 s0, vcc_lo
	s_cbranch_execz .LBB183_431
; %bb.841:                              ;   in Loop: Header=BB183_433 Depth=1
	v_cmp_gt_i32_e32 vcc_lo, s18, v83
	v_or_b32_e32 v72, 2, v51
	v_cndmask_b32_e32 v71, 0, v71, vcc_lo
	v_cmp_gt_i32_e32 vcc_lo, s34, v51
	v_dual_cndmask_b32 v70, 0, v70, vcc_lo :: v_dual_bitop2_b32 v18, 3, v51 bitop3:0x54
	s_delay_alu instid0(VALU_DEP_1)
	v_cmp_gt_i32_e32 vcc_lo, s18, v18
	v_cndmask_b32_e32 v29, 0, v29, vcc_lo
	v_cmp_gt_i32_e32 vcc_lo, s34, v72
	v_cndmask_b32_e32 v28, 0, v28, vcc_lo
	s_branch .LBB183_431
.LBB183_842:
	s_or_b32 exec_lo, exec_lo, s19
	v_dual_mov_b32 v28, v88 :: v_dual_mov_b32 v29, v89
.LBB183_843:
	s_or_b32 exec_lo, exec_lo, s1
	ds_bpermute_b32 v0, v77, v8
	ds_bpermute_b32 v1, v77, v9
	ds_bpermute_b32 v2, v77, v16
	ds_bpermute_b32 v3, v77, v17
	ds_bpermute_b32 v4, v77, v14
	ds_bpermute_b32 v5, v77, v15
	ds_bpermute_b32 v18, v77, v12
	ds_bpermute_b32 v19, v77, v13
	ds_bpermute_b32 v20, v77, v10
	ds_bpermute_b32 v21, v77, v11
	ds_bpermute_b32 v22, v77, v6
	ds_bpermute_b32 v23, v77, v7
	s_mov_b32 s0, exec_lo
	s_wait_dscnt 0x0
	s_barrier_signal -1
	s_barrier_wait -1
	v_pk_add_f32 v[0:1], v[8:9], v[0:1]
	v_pk_add_f32 v[2:3], v[16:17], v[2:3]
	;; [unrolled: 1-line block ×3, first 2 shown]
	v_and_b32_e32 v14, 28, v76
	v_pk_add_f32 v[16:17], v[12:13], v[18:19]
	v_and_b32_e32 v15, 0x3c3, v28
	v_pk_add_f32 v[18:19], v[10:11], v[20:21]
	ds_bpermute_b32 v20, v78, v2
	v_pk_add_f32 v[10:11], v[6:7], v[22:23]
	ds_bpermute_b32 v6, v78, v0
	ds_bpermute_b32 v7, v78, v1
	;; [unrolled: 1-line block ×11, first 2 shown]
	s_wait_dscnt 0x9
	v_pk_add_f32 v[8:9], v[0:1], v[6:7]
	s_wait_dscnt 0x8
	v_pk_add_f32 v[6:7], v[2:3], v[20:21]
	s_wait_dscnt 0x6
	v_pk_add_f32 v[4:5], v[4:5], v[22:23]
	s_wait_dscnt 0x4
	v_pk_add_f32 v[2:3], v[16:17], v[24:25]
	s_wait_dscnt 0x2
	v_pk_add_f32 v[0:1], v[18:19], v[26:27]
	v_cmpx_ne_u32_e32 64, v15
	s_xor_b32 s0, exec_lo, s0
	s_delay_alu instid0(SALU_CYCLE_1)
	s_or_saveexec_b32 s0, s0
	s_wait_dscnt 0x0
	v_pk_add_f32 v[10:11], v[10:11], v[12:13]
	v_lshrrev_b32_e32 v12, 2, v76
	v_add_nc_u32_e32 v13, 0x1a0, v14
	v_mul_u32_u24_e32 v14, 0x180, v29
	s_xor_b32 exec_lo, exec_lo, s0
	s_cbranch_execz .LBB183_845
; %bb.844:
	s_delay_alu instid0(VALU_DEP_1) | instskip(NEXT) | instid1(VALU_DEP_1)
	v_add_nc_u32_e32 v15, v13, v14
	v_add_nc_u32_e32 v16, 0xfffffd00, v15
	;; [unrolled: 1-line block ×13, first 2 shown]
	ds_store_b32 v16, v8
	ds_store_b32 v17, v9
	;; [unrolled: 1-line block ×12, first 2 shown]
.LBB183_845:
	s_or_b32 exec_lo, exec_lo, s0
	v_lshlrev_b32_e32 v12, 2, v12
	s_mov_b32 s1, exec_lo
	v_cmp_eq_u32_e32 vcc_lo, 0, v79
	s_wait_dscnt 0x0
	s_barrier_signal -1
	v_add3_u32 v12, 0x1a0, v14, v12
	s_barrier_wait -1
	v_cmpx_gt_u32_e32 64, v28
	s_cbranch_execz .LBB183_860
; %bb.846:
	s_and_saveexec_b32 s0, vcc_lo
	s_cbranch_execnz .LBB183_880
; %bb.847:
	s_or_b32 exec_lo, exec_lo, s0
	s_and_saveexec_b32 s0, vcc_lo
	s_cbranch_execnz .LBB183_881
.LBB183_848:
	s_or_b32 exec_lo, exec_lo, s0
	s_and_saveexec_b32 s0, vcc_lo
	s_cbranch_execnz .LBB183_882
.LBB183_849:
	s_or_b32 exec_lo, exec_lo, s0
	s_and_saveexec_b32 s0, vcc_lo
	s_cbranch_execnz .LBB183_883
.LBB183_850:
	s_or_b32 exec_lo, exec_lo, s0
	s_and_saveexec_b32 s0, vcc_lo
	s_cbranch_execnz .LBB183_884
.LBB183_851:
	s_or_b32 exec_lo, exec_lo, s0
	s_and_saveexec_b32 s0, vcc_lo
	s_cbranch_execnz .LBB183_885
.LBB183_852:
	s_or_b32 exec_lo, exec_lo, s0
	s_and_saveexec_b32 s0, vcc_lo
	s_cbranch_execnz .LBB183_886
.LBB183_853:
	s_or_b32 exec_lo, exec_lo, s0
	s_and_saveexec_b32 s0, vcc_lo
	s_cbranch_execnz .LBB183_887
.LBB183_854:
	s_or_b32 exec_lo, exec_lo, s0
	s_and_saveexec_b32 s0, vcc_lo
	s_cbranch_execnz .LBB183_888
.LBB183_855:
	s_or_b32 exec_lo, exec_lo, s0
	s_and_saveexec_b32 s0, vcc_lo
	s_cbranch_execnz .LBB183_889
.LBB183_856:
	s_or_b32 exec_lo, exec_lo, s0
	s_and_saveexec_b32 s0, vcc_lo
	s_cbranch_execnz .LBB183_890
.LBB183_857:
	s_or_b32 exec_lo, exec_lo, s0
	s_and_saveexec_b32 s0, vcc_lo
	s_cbranch_execz .LBB183_859
.LBB183_858:
	ds_load_b32 v14, v12 offset:352
	s_wait_dscnt 0x0
	v_add_f32_e32 v11, v11, v14
.LBB183_859:
	s_or_b32 exec_lo, exec_lo, s0
.LBB183_860:
	s_delay_alu instid0(SALU_CYCLE_1) | instskip(SKIP_4) | instid1(VALU_DEP_1)
	s_or_b32 exec_lo, exec_lo, s1
	v_and_b32_e32 v14, 0x3e3, v28
	s_mov_b32 s1, exec_lo
	s_barrier_signal -1
	s_barrier_wait -1
	v_cmpx_eq_u32_e32 32, v14
	s_cbranch_execz .LBB183_862
; %bb.861:
	ds_store_2addr_b32 v13, v8, v9 offset1:8
	ds_store_2addr_b32 v13, v6, v7 offset0:16 offset1:24
	ds_store_2addr_b32 v13, v4, v5 offset0:32 offset1:40
	;; [unrolled: 1-line block ×5, first 2 shown]
.LBB183_862:
	s_or_b32 exec_lo, exec_lo, s1
	s_delay_alu instid0(SALU_CYCLE_1)
	s_mov_b32 s1, exec_lo
	s_wait_dscnt 0x0
	s_barrier_signal -1
	s_barrier_wait -1
	v_cmpx_gt_u32_e32 32, v28
	s_cbranch_execz .LBB183_877
; %bb.863:
	s_and_saveexec_b32 s0, vcc_lo
	s_cbranch_execnz .LBB183_891
; %bb.864:
	s_or_b32 exec_lo, exec_lo, s0
	s_and_saveexec_b32 s0, vcc_lo
	s_cbranch_execnz .LBB183_892
.LBB183_865:
	s_or_b32 exec_lo, exec_lo, s0
	s_and_saveexec_b32 s0, vcc_lo
	s_cbranch_execnz .LBB183_893
.LBB183_866:
	s_or_b32 exec_lo, exec_lo, s0
	s_and_saveexec_b32 s0, vcc_lo
	s_cbranch_execnz .LBB183_894
.LBB183_867:
	s_or_b32 exec_lo, exec_lo, s0
	s_and_saveexec_b32 s0, vcc_lo
	s_cbranch_execnz .LBB183_895
.LBB183_868:
	s_or_b32 exec_lo, exec_lo, s0
	s_and_saveexec_b32 s0, vcc_lo
	s_cbranch_execnz .LBB183_896
.LBB183_869:
	s_or_b32 exec_lo, exec_lo, s0
	s_and_saveexec_b32 s0, vcc_lo
	s_cbranch_execnz .LBB183_897
.LBB183_870:
	s_or_b32 exec_lo, exec_lo, s0
	s_and_saveexec_b32 s0, vcc_lo
	s_cbranch_execnz .LBB183_898
.LBB183_871:
	s_or_b32 exec_lo, exec_lo, s0
	s_and_saveexec_b32 s0, vcc_lo
	s_cbranch_execnz .LBB183_899
.LBB183_872:
	s_or_b32 exec_lo, exec_lo, s0
	s_and_saveexec_b32 s0, vcc_lo
	s_cbranch_execnz .LBB183_900
.LBB183_873:
	s_or_b32 exec_lo, exec_lo, s0
	s_and_saveexec_b32 s0, vcc_lo
	s_cbranch_execnz .LBB183_901
.LBB183_874:
	s_or_b32 exec_lo, exec_lo, s0
	s_and_saveexec_b32 s0, vcc_lo
	s_cbranch_execz .LBB183_876
.LBB183_875:
	ds_load_b32 v12, v12 offset:352
	s_wait_dscnt 0x0
	v_add_f32_e32 v11, v11, v12
.LBB183_876:
	s_or_b32 exec_lo, exec_lo, s0
.LBB183_877:
	s_delay_alu instid0(SALU_CYCLE_1)
	s_or_b32 exec_lo, exec_lo, s1
	s_mov_b32 s1, 0
	s_barrier_signal -1
	s_barrier_wait -1
	s_mov_b32 s0, exec_lo
	v_cmpx_eq_u32_e32 0, v14
	s_cbranch_execz .LBB183_879
; %bb.878:
	s_mul_i32 s0, s33, s7
	s_mul_i32 s2, s7, s6
	;; [unrolled: 1-line block ×3, first 2 shown]
	s_wait_kmcnt 0x0
	s_lshr_b32 s8, ttmp7, 16
	s_mul_i32 s6, s0, 0x60
	s_bfe_u32 s0, ttmp6, 0x40014
	s_ashr_i32 s7, s6, 31
	s_add_co_i32 s0, s0, 1
	s_ashr_i32 s3, s2, 31
	s_mul_i32 s0, s8, s0
	s_bfe_u32 s9, ttmp6, 0x40008
	s_lshl_b64 s[6:7], s[6:7], 2
	s_lshl_b64 s[2:3], s[2:3], 2
	s_add_co_i32 s9, s9, s0
	s_cmp_eq_u32 s30, 0
	s_add_nc_u64 s[4:5], s[4:5], s[6:7]
	s_cselect_b32 s0, s8, s9
	s_add_nc_u64 s[2:3], s[4:5], s[2:3]
	s_mulk_i32 s0, 0x180
	s_delay_alu instid0(SALU_CYCLE_1)
	s_add_nc_u64 s[0:1], s[2:3], s[0:1]
	s_clause 0xb
	global_store_b32 v28, v8, s[0:1]
	global_store_b32 v28, v9, s[0:1] offset:32
	global_store_b32 v28, v6, s[0:1] offset:64
	;; [unrolled: 1-line block ×11, first 2 shown]
.LBB183_879:
	s_sendmsg sendmsg(MSG_DEALLOC_VGPRS)
	s_endpgm
.LBB183_880:
	ds_load_b32 v14, v12
	s_wait_dscnt 0x0
	v_add_f32_e32 v8, v8, v14
	s_or_b32 exec_lo, exec_lo, s0
	s_and_saveexec_b32 s0, vcc_lo
	s_cbranch_execz .LBB183_848
.LBB183_881:
	ds_load_b32 v14, v12 offset:32
	s_wait_dscnt 0x0
	v_add_f32_e32 v9, v9, v14
	s_or_b32 exec_lo, exec_lo, s0
	s_and_saveexec_b32 s0, vcc_lo
	s_cbranch_execz .LBB183_849
.LBB183_882:
	ds_load_b32 v14, v12 offset:64
	s_wait_dscnt 0x0
	v_add_f32_e32 v6, v6, v14
	s_or_b32 exec_lo, exec_lo, s0
	s_and_saveexec_b32 s0, vcc_lo
	s_cbranch_execz .LBB183_850
.LBB183_883:
	ds_load_b32 v14, v12 offset:96
	s_wait_dscnt 0x0
	v_add_f32_e32 v7, v7, v14
	s_or_b32 exec_lo, exec_lo, s0
	s_and_saveexec_b32 s0, vcc_lo
	s_cbranch_execz .LBB183_851
.LBB183_884:
	ds_load_b32 v14, v12 offset:128
	s_wait_dscnt 0x0
	v_add_f32_e32 v4, v4, v14
	s_or_b32 exec_lo, exec_lo, s0
	s_and_saveexec_b32 s0, vcc_lo
	s_cbranch_execz .LBB183_852
.LBB183_885:
	ds_load_b32 v14, v12 offset:160
	s_wait_dscnt 0x0
	v_add_f32_e32 v5, v5, v14
	s_or_b32 exec_lo, exec_lo, s0
	s_and_saveexec_b32 s0, vcc_lo
	s_cbranch_execz .LBB183_853
.LBB183_886:
	ds_load_b32 v14, v12 offset:192
	s_wait_dscnt 0x0
	v_add_f32_e32 v2, v2, v14
	s_or_b32 exec_lo, exec_lo, s0
	s_and_saveexec_b32 s0, vcc_lo
	s_cbranch_execz .LBB183_854
.LBB183_887:
	ds_load_b32 v14, v12 offset:224
	s_wait_dscnt 0x0
	v_add_f32_e32 v3, v3, v14
	s_or_b32 exec_lo, exec_lo, s0
	s_and_saveexec_b32 s0, vcc_lo
	s_cbranch_execz .LBB183_855
.LBB183_888:
	ds_load_b32 v14, v12 offset:256
	s_wait_dscnt 0x0
	v_add_f32_e32 v0, v0, v14
	s_or_b32 exec_lo, exec_lo, s0
	s_and_saveexec_b32 s0, vcc_lo
	s_cbranch_execz .LBB183_856
.LBB183_889:
	ds_load_b32 v14, v12 offset:288
	s_wait_dscnt 0x0
	v_add_f32_e32 v1, v1, v14
	s_or_b32 exec_lo, exec_lo, s0
	s_and_saveexec_b32 s0, vcc_lo
	s_cbranch_execz .LBB183_857
.LBB183_890:
	ds_load_b32 v14, v12 offset:320
	s_wait_dscnt 0x0
	v_add_f32_e32 v10, v10, v14
	s_or_b32 exec_lo, exec_lo, s0
	s_and_saveexec_b32 s0, vcc_lo
	s_cbranch_execnz .LBB183_858
	s_branch .LBB183_859
.LBB183_891:
	ds_load_b32 v13, v12
	s_wait_dscnt 0x0
	v_add_f32_e32 v8, v8, v13
	s_or_b32 exec_lo, exec_lo, s0
	s_and_saveexec_b32 s0, vcc_lo
	s_cbranch_execz .LBB183_865
.LBB183_892:
	ds_load_b32 v13, v12 offset:32
	s_wait_dscnt 0x0
	v_add_f32_e32 v9, v9, v13
	s_or_b32 exec_lo, exec_lo, s0
	s_and_saveexec_b32 s0, vcc_lo
	s_cbranch_execz .LBB183_866
.LBB183_893:
	ds_load_b32 v13, v12 offset:64
	s_wait_dscnt 0x0
	v_add_f32_e32 v6, v6, v13
	s_or_b32 exec_lo, exec_lo, s0
	s_and_saveexec_b32 s0, vcc_lo
	s_cbranch_execz .LBB183_867
.LBB183_894:
	ds_load_b32 v13, v12 offset:96
	s_wait_dscnt 0x0
	v_add_f32_e32 v7, v7, v13
	s_or_b32 exec_lo, exec_lo, s0
	s_and_saveexec_b32 s0, vcc_lo
	s_cbranch_execz .LBB183_868
.LBB183_895:
	ds_load_b32 v13, v12 offset:128
	s_wait_dscnt 0x0
	v_add_f32_e32 v4, v4, v13
	s_or_b32 exec_lo, exec_lo, s0
	s_and_saveexec_b32 s0, vcc_lo
	s_cbranch_execz .LBB183_869
.LBB183_896:
	ds_load_b32 v13, v12 offset:160
	s_wait_dscnt 0x0
	v_add_f32_e32 v5, v5, v13
	s_or_b32 exec_lo, exec_lo, s0
	s_and_saveexec_b32 s0, vcc_lo
	s_cbranch_execz .LBB183_870
.LBB183_897:
	ds_load_b32 v13, v12 offset:192
	s_wait_dscnt 0x0
	v_add_f32_e32 v2, v2, v13
	s_or_b32 exec_lo, exec_lo, s0
	s_and_saveexec_b32 s0, vcc_lo
	s_cbranch_execz .LBB183_871
.LBB183_898:
	ds_load_b32 v13, v12 offset:224
	s_wait_dscnt 0x0
	v_add_f32_e32 v3, v3, v13
	s_or_b32 exec_lo, exec_lo, s0
	s_and_saveexec_b32 s0, vcc_lo
	s_cbranch_execz .LBB183_872
.LBB183_899:
	ds_load_b32 v13, v12 offset:256
	s_wait_dscnt 0x0
	v_add_f32_e32 v0, v0, v13
	s_or_b32 exec_lo, exec_lo, s0
	s_and_saveexec_b32 s0, vcc_lo
	s_cbranch_execz .LBB183_873
.LBB183_900:
	ds_load_b32 v13, v12 offset:288
	s_wait_dscnt 0x0
	v_add_f32_e32 v1, v1, v13
	s_or_b32 exec_lo, exec_lo, s0
	s_and_saveexec_b32 s0, vcc_lo
	s_cbranch_execz .LBB183_874
.LBB183_901:
	ds_load_b32 v13, v12 offset:320
	s_wait_dscnt 0x0
	v_add_f32_e32 v10, v10, v13
	s_or_b32 exec_lo, exec_lo, s0
	s_and_saveexec_b32 s0, vcc_lo
	s_cbranch_execnz .LBB183_875
	s_branch .LBB183_876
	.section	.rodata,"a",@progbits
	.p2align	6, 0x0
	.amdhsa_kernel _ZN4vllm25paged_attention_v1_kernelIfhLi96ELi16ELi128ELNS_18Fp8KVCacheDataTypeE1ELb1EEEvPT_PKS2_PKT0_S8_ifPKiSA_iPKfiiiSC_SC_iiiii
		.amdhsa_group_segment_fixed_size 416
		.amdhsa_private_segment_fixed_size 160
		.amdhsa_kernarg_size 384
		.amdhsa_user_sgpr_count 2
		.amdhsa_user_sgpr_dispatch_ptr 0
		.amdhsa_user_sgpr_queue_ptr 0
		.amdhsa_user_sgpr_kernarg_segment_ptr 1
		.amdhsa_user_sgpr_dispatch_id 0
		.amdhsa_user_sgpr_kernarg_preload_length 0
		.amdhsa_user_sgpr_kernarg_preload_offset 0
		.amdhsa_user_sgpr_private_segment_size 0
		.amdhsa_wavefront_size32 1
		.amdhsa_uses_dynamic_stack 0
		.amdhsa_enable_private_segment 1
		.amdhsa_system_sgpr_workgroup_id_x 1
		.amdhsa_system_sgpr_workgroup_id_y 1
		.amdhsa_system_sgpr_workgroup_id_z 1
		.amdhsa_system_sgpr_workgroup_info 0
		.amdhsa_system_vgpr_workitem_id 0
		.amdhsa_next_free_vgpr 128
		.amdhsa_next_free_sgpr 46
		.amdhsa_named_barrier_count 0
		.amdhsa_reserve_vcc 1
		.amdhsa_float_round_mode_32 0
		.amdhsa_float_round_mode_16_64 0
		.amdhsa_float_denorm_mode_32 3
		.amdhsa_float_denorm_mode_16_64 3
		.amdhsa_fp16_overflow 0
		.amdhsa_memory_ordered 1
		.amdhsa_forward_progress 1
		.amdhsa_inst_pref_size 253
		.amdhsa_round_robin_scheduling 0
		.amdhsa_exception_fp_ieee_invalid_op 0
		.amdhsa_exception_fp_denorm_src 0
		.amdhsa_exception_fp_ieee_div_zero 0
		.amdhsa_exception_fp_ieee_overflow 0
		.amdhsa_exception_fp_ieee_underflow 0
		.amdhsa_exception_fp_ieee_inexact 0
		.amdhsa_exception_int_div_zero 0
	.end_amdhsa_kernel
	.section	.text._ZN4vllm25paged_attention_v1_kernelIfhLi96ELi16ELi128ELNS_18Fp8KVCacheDataTypeE1ELb1EEEvPT_PKS2_PKT0_S8_ifPKiSA_iPKfiiiSC_SC_iiiii,"axG",@progbits,_ZN4vllm25paged_attention_v1_kernelIfhLi96ELi16ELi128ELNS_18Fp8KVCacheDataTypeE1ELb1EEEvPT_PKS2_PKT0_S8_ifPKiSA_iPKfiiiSC_SC_iiiii,comdat
.Lfunc_end183:
	.size	_ZN4vllm25paged_attention_v1_kernelIfhLi96ELi16ELi128ELNS_18Fp8KVCacheDataTypeE1ELb1EEEvPT_PKS2_PKT0_S8_ifPKiSA_iPKfiiiSC_SC_iiiii, .Lfunc_end183-_ZN4vllm25paged_attention_v1_kernelIfhLi96ELi16ELi128ELNS_18Fp8KVCacheDataTypeE1ELb1EEEvPT_PKS2_PKT0_S8_ifPKiSA_iPKfiiiSC_SC_iiiii
                                        ; -- End function
	.set _ZN4vllm25paged_attention_v1_kernelIfhLi96ELi16ELi128ELNS_18Fp8KVCacheDataTypeE1ELb1EEEvPT_PKS2_PKT0_S8_ifPKiSA_iPKfiiiSC_SC_iiiii.num_vgpr, 128
	.set _ZN4vllm25paged_attention_v1_kernelIfhLi96ELi16ELi128ELNS_18Fp8KVCacheDataTypeE1ELb1EEEvPT_PKS2_PKT0_S8_ifPKiSA_iPKfiiiSC_SC_iiiii.num_agpr, 0
	.set _ZN4vllm25paged_attention_v1_kernelIfhLi96ELi16ELi128ELNS_18Fp8KVCacheDataTypeE1ELb1EEEvPT_PKS2_PKT0_S8_ifPKiSA_iPKfiiiSC_SC_iiiii.numbered_sgpr, 46
	.set _ZN4vllm25paged_attention_v1_kernelIfhLi96ELi16ELi128ELNS_18Fp8KVCacheDataTypeE1ELb1EEEvPT_PKS2_PKT0_S8_ifPKiSA_iPKfiiiSC_SC_iiiii.num_named_barrier, 0
	.set _ZN4vllm25paged_attention_v1_kernelIfhLi96ELi16ELi128ELNS_18Fp8KVCacheDataTypeE1ELb1EEEvPT_PKS2_PKT0_S8_ifPKiSA_iPKfiiiSC_SC_iiiii.private_seg_size, 160
	.set _ZN4vllm25paged_attention_v1_kernelIfhLi96ELi16ELi128ELNS_18Fp8KVCacheDataTypeE1ELb1EEEvPT_PKS2_PKT0_S8_ifPKiSA_iPKfiiiSC_SC_iiiii.uses_vcc, 1
	.set _ZN4vllm25paged_attention_v1_kernelIfhLi96ELi16ELi128ELNS_18Fp8KVCacheDataTypeE1ELb1EEEvPT_PKS2_PKT0_S8_ifPKiSA_iPKfiiiSC_SC_iiiii.uses_flat_scratch, 1
	.set _ZN4vllm25paged_attention_v1_kernelIfhLi96ELi16ELi128ELNS_18Fp8KVCacheDataTypeE1ELb1EEEvPT_PKS2_PKT0_S8_ifPKiSA_iPKfiiiSC_SC_iiiii.has_dyn_sized_stack, 0
	.set _ZN4vllm25paged_attention_v1_kernelIfhLi96ELi16ELi128ELNS_18Fp8KVCacheDataTypeE1ELb1EEEvPT_PKS2_PKT0_S8_ifPKiSA_iPKfiiiSC_SC_iiiii.has_recursion, 0
	.set _ZN4vllm25paged_attention_v1_kernelIfhLi96ELi16ELi128ELNS_18Fp8KVCacheDataTypeE1ELb1EEEvPT_PKS2_PKT0_S8_ifPKiSA_iPKfiiiSC_SC_iiiii.has_indirect_call, 0
	.section	.AMDGPU.csdata,"",@progbits
; Kernel info:
; codeLenInByte = 32280
; TotalNumSgprs: 48
; NumVgprs: 128
; ScratchSize: 160
; MemoryBound: 0
; FloatMode: 240
; IeeeMode: 1
; LDSByteSize: 416 bytes/workgroup (compile time only)
; SGPRBlocks: 0
; VGPRBlocks: 7
; NumSGPRsForWavesPerEU: 48
; NumVGPRsForWavesPerEU: 128
; NamedBarCnt: 0
; Occupancy: 8
; WaveLimiterHint : 1
; COMPUTE_PGM_RSRC2:SCRATCH_EN: 1
; COMPUTE_PGM_RSRC2:USER_SGPR: 2
; COMPUTE_PGM_RSRC2:TRAP_HANDLER: 0
; COMPUTE_PGM_RSRC2:TGID_X_EN: 1
; COMPUTE_PGM_RSRC2:TGID_Y_EN: 1
; COMPUTE_PGM_RSRC2:TGID_Z_EN: 1
; COMPUTE_PGM_RSRC2:TIDIG_COMP_CNT: 0
	.section	.text._ZN4vllm25paged_attention_v1_kernelIfhLi112ELi16ELi128ELNS_18Fp8KVCacheDataTypeE1ELb1EEEvPT_PKS2_PKT0_S8_ifPKiSA_iPKfiiiSC_SC_iiiii,"axG",@progbits,_ZN4vllm25paged_attention_v1_kernelIfhLi112ELi16ELi128ELNS_18Fp8KVCacheDataTypeE1ELb1EEEvPT_PKS2_PKT0_S8_ifPKiSA_iPKfiiiSC_SC_iiiii,comdat
	.protected	_ZN4vllm25paged_attention_v1_kernelIfhLi112ELi16ELi128ELNS_18Fp8KVCacheDataTypeE1ELb1EEEvPT_PKS2_PKT0_S8_ifPKiSA_iPKfiiiSC_SC_iiiii ; -- Begin function _ZN4vllm25paged_attention_v1_kernelIfhLi112ELi16ELi128ELNS_18Fp8KVCacheDataTypeE1ELb1EEEvPT_PKS2_PKT0_S8_ifPKiSA_iPKfiiiSC_SC_iiiii
	.globl	_ZN4vllm25paged_attention_v1_kernelIfhLi112ELi16ELi128ELNS_18Fp8KVCacheDataTypeE1ELb1EEEvPT_PKS2_PKT0_S8_ifPKiSA_iPKfiiiSC_SC_iiiii
	.p2align	8
	.type	_ZN4vllm25paged_attention_v1_kernelIfhLi112ELi16ELi128ELNS_18Fp8KVCacheDataTypeE1ELb1EEEvPT_PKS2_PKT0_S8_ifPKiSA_iPKfiiiSC_SC_iiiii,@function
_ZN4vllm25paged_attention_v1_kernelIfhLi112ELi16ELi128ELNS_18Fp8KVCacheDataTypeE1ELb1EEEvPT_PKS2_PKT0_S8_ifPKiSA_iPKfiiiSC_SC_iiiii: ; @_ZN4vllm25paged_attention_v1_kernelIfhLi112ELi16ELi128ELNS_18Fp8KVCacheDataTypeE1ELb1EEEvPT_PKS2_PKT0_S8_ifPKiSA_iPKfiiiSC_SC_iiiii
; %bb.0:
	s_load_b64 s[26:27], s[0:1], 0x20
	s_bfe_u32 s3, ttmp6, 0x4000c
	s_bfe_u32 s4, ttmp6, 0x40010
	s_and_b32 s6, ttmp7, 0xffff
	s_add_co_i32 s3, s3, 1
	s_add_co_i32 s4, s4, 1
	s_and_b32 s2, ttmp6, 15
	s_bfe_u32 s5, ttmp6, 0x40004
	s_mul_i32 s3, ttmp9, s3
	s_mul_i32 s4, s6, s4
	s_getreg_b32 s30, hwreg(HW_REG_IB_STS2, 6, 4)
	s_add_co_i32 s2, s2, s3
	s_add_co_i32 s3, s5, s4
	s_cmp_eq_u32 s30, 0
	v_mov_b32_e32 v36, v0
	s_cselect_b32 s33, s6, s3
	s_cselect_b32 s2, ttmp9, s2
	s_clause 0x1
	s_load_b32 s31, s[0:1], 0x80
	s_load_b64 s[4:5], s[0:1], 0x30
	s_wait_kmcnt 0x0
	s_abs_i32 s3, s26
	s_delay_alu instid0(SALU_CYCLE_1) | instskip(SKIP_1) | instid1(SALU_CYCLE_2)
	s_cvt_f32_u32 s6, s3
	s_sub_co_i32 s7, 0, s3
	v_rcp_iflag_f32_e32 v0, s6
	v_nop
	s_delay_alu instid0(TRANS32_DEP_1) | instskip(SKIP_2) | instid1(SALU_CYCLE_3)
	v_readfirstlane_b32 s6, v0
	s_abs_i32 s8, s31
	s_mul_f32 s6, s6, 0x4f7ffffe
	s_cvt_u32_f32 s6, s6
	s_delay_alu instid0(SALU_CYCLE_3) | instskip(NEXT) | instid1(SALU_CYCLE_1)
	s_mul_i32 s7, s7, s6
	s_mul_hi_u32 s7, s6, s7
	s_delay_alu instid0(SALU_CYCLE_1) | instskip(SKIP_4) | instid1(SALU_CYCLE_1)
	s_add_co_i32 s6, s6, s7
	s_xor_b32 s7, s31, s26
	s_mul_hi_u32 s6, s8, s6
	s_ashr_i32 s7, s7, 31
	s_mul_i32 s9, s6, s3
	s_sub_co_i32 s8, s8, s9
	s_add_co_i32 s9, s6, 1
	s_sub_co_i32 s10, s8, s3
	s_cmp_ge_u32 s8, s3
	s_cselect_b32 s6, s9, s6
	s_cselect_b32 s8, s10, s8
	s_add_co_i32 s9, s6, 1
	s_cmp_ge_u32 s8, s3
	s_load_b64 s[10:11], s[0:1], 0x40
	s_cselect_b32 s3, s9, s6
	s_mov_b32 s9, 0
	s_xor_b32 s3, s3, s7
	s_abs_i32 s8, s2
	s_sub_co_i32 s12, s3, s7
	s_mov_b32 s7, s9
	s_abs_i32 s19, s12
	s_mov_b32 s37, s9
	s_cvt_f32_u32 s3, s19
	s_sub_co_i32 s6, 0, s19
	s_delay_alu instid0(SALU_CYCLE_2) | instskip(SKIP_1) | instid1(TRANS32_DEP_1)
	v_rcp_iflag_f32_e32 v0, s3
	v_nop
	v_readfirstlane_b32 s3, v0
	s_mul_f32 s3, s3, 0x4f7ffffe
	s_delay_alu instid0(SALU_CYCLE_3) | instskip(NEXT) | instid1(SALU_CYCLE_3)
	s_cvt_u32_f32 s3, s3
	s_mul_i32 s6, s6, s3
	s_delay_alu instid0(SALU_CYCLE_1) | instskip(NEXT) | instid1(SALU_CYCLE_1)
	s_mul_hi_u32 s6, s3, s6
	s_add_co_i32 s6, s3, s6
	s_wait_kmcnt 0x0
	s_cmp_eq_u64 s[10:11], 0
	s_cbranch_scc1 .LBB184_2
; %bb.1:
	s_ashr_i32 s3, s2, 31
	s_delay_alu instid0(SALU_CYCLE_1) | instskip(NEXT) | instid1(SALU_CYCLE_1)
	s_lshl_b64 s[14:15], s[2:3], 2
	s_add_nc_u64 s[10:11], s[10:11], s[14:15]
	s_load_b32 s37, s[10:11], 0x0
.LBB184_2:
	s_load_b32 s34, s[4:5], s33 offset:0x0 scale_offset
	s_load_b96 s[16:18], s[0:1], 0x48
	v_dual_lshlrev_b32 v24, 2, v36 :: v_dual_bitop2_b32 v0, 1, v36 bitop3:0x40
	s_wait_xcnt 0x0
	s_mul_u64 s[4:5], s[8:9], s[6:7]
	s_ashr_i32 s3, s2, 31
	s_ashr_i32 s10, s12, 31
	s_mul_i32 s6, s2, 0x70
	s_mov_b32 s4, exec_lo
	v_cmpx_gt_u32_e32 56, v36
	s_cbranch_execz .LBB184_4
; %bb.3:
	s_load_b64 s[12:13], s[0:1], 0x8
	s_wait_kmcnt 0x0
	s_mul_i32 s14, s16, s33
	s_ashr_i32 s7, s6, 31
	s_ashr_i32 s15, s14, 31
	v_and_b32_e32 v1, 0xff8, v24
	s_lshl_b64 s[14:15], s[14:15], 2
	s_delay_alu instid0(VALU_DEP_1) | instskip(SKIP_2) | instid1(SALU_CYCLE_1)
	v_mad_u32_u24 v1, 0xe0, v0, v1
	s_add_nc_u64 s[12:13], s[12:13], s[14:15]
	s_lshl_b64 s[14:15], s[6:7], 2
	s_add_nc_u64 s[12:13], s[12:13], s[14:15]
	global_load_b64 v[2:3], v36, s[12:13] scale_offset
	s_wait_loadcnt 0x0
	ds_store_b64 v1, v[2:3]
.LBB184_4:
	s_or_b32 exec_lo, exec_lo, s4
	s_load_b128 s[12:15], s[0:1], 0x68
	s_mul_i32 s4, s5, s19
	s_xor_b32 s3, s3, s10
	s_sub_co_i32 s4, s8, s4
	s_add_co_i32 s7, s5, 1
	s_sub_co_i32 s8, s4, s19
	s_cmp_ge_u32 s4, s19
	s_mov_b32 s9, -1
	s_cselect_b32 s5, s7, s5
	s_cselect_b32 s4, s8, s4
	s_add_co_i32 s8, s5, 1
	s_cmp_ge_u32 s4, s19
	s_load_b32 s7, s[0:1], 0x78
	s_cselect_b32 s4, s8, s5
	s_wait_kmcnt 0x0
	s_add_co_i32 s8, s34, -1
	s_xor_b32 s4, s4, s3
	s_wait_dscnt 0x0
	s_sub_co_i32 s3, s4, s3
	s_barrier_signal -1
	s_barrier_wait -1
	s_abs_i32 s16, s15
	s_delay_alu instid0(SALU_CYCLE_1) | instskip(NEXT) | instid1(SALU_CYCLE_3)
	s_cvt_f32_u32 s5, s16
                                        ; implicit-def: $sgpr35
	v_rcp_iflag_f32_e32 v1, s5
	v_nop
	s_delay_alu instid0(TRANS32_DEP_1) | instskip(SKIP_1) | instid1(SALU_CYCLE_3)
	v_readfirstlane_b32 s5, v1
	s_mul_f32 s4, s5, 0x4f7ffffe
	s_cvt_u32_f32 s10, s4
	s_sub_co_i32 s4, 0, s16
	s_delay_alu instid0(SALU_CYCLE_2)
	s_mul_i32 s5, s4, s10
	s_abs_i32 s4, s8
	s_mul_hi_u32 s11, s10, s5
	s_mov_b32 s5, 0
	s_add_co_i32 s20, s10, s11
	s_cmp_lt_i32 s7, 0
	s_mov_b32 s21, s5
	s_cbranch_scc0 .LBB184_6
; %bb.5:
	s_mul_i32 s9, s12, s26
	s_delay_alu instid0(SALU_CYCLE_1) | instskip(NEXT) | instid1(SALU_CYCLE_1)
	s_add_co_i32 s9, s3, s9
	s_mul_i32 s9, s9, s7
	s_delay_alu instid0(SALU_CYCLE_1)
	s_sub_co_i32 s35, 1, s9
	s_mov_b32 s9, s5
.LBB184_6:
	s_ashr_i32 s8, s8, 31
	s_ashr_i32 s15, s15, 31
	s_and_not1_b32 vcc_lo, exec_lo, s9
	s_mul_u64 s[28:29], s[4:5], s[20:21]
	s_cbranch_vccnz .LBB184_8
; %bb.7:
	s_mul_i32 s5, s31, s12
	s_delay_alu instid0(SALU_CYCLE_1) | instskip(NEXT) | instid1(SALU_CYCLE_1)
	s_add_co_i32 s2, s5, s2
	s_mul_i32 s2, s2, s7
	s_delay_alu instid0(SALU_CYCLE_1)
	s_add_co_i32 s35, s2, 1
.LBB184_8:
	s_clause 0x1
	s_load_b32 s2, s[0:1], 0x38
	s_load_b64 s[22:23], s[0:1], 0x28
	s_mul_i32 s7, s29, s16
	s_xor_b32 s5, s8, s15
	s_sub_co_i32 s4, s4, s7
	s_add_co_i32 s12, s29, 1
	s_clause 0x1
	s_load_b32 s7, s[0:1], 0x88
	s_load_b128 s[8:11], s[0:1], 0x58
	v_dual_lshrrev_b32 v37, 5, v36 :: v_dual_lshrrev_b32 v25, 3, v36
	v_mov_b32_e32 v3, 0xff7fffff
	s_mul_i32 s18, s3, s18
	s_delay_alu instid0(VALU_DEP_2)
	v_lshlrev_b32_e32 v50, 4, v37
	s_wait_kmcnt 0x0
	s_mul_i32 s24, s2, s33
	s_sub_co_i32 s2, s4, s16
	s_ashr_i32 s25, s24, 31
	s_cmp_ge_u32 s4, s16
	s_cselect_b32 s12, s12, s29
	s_cselect_b32 s2, s2, s4
	s_add_co_i32 s4, s12, 1
	s_cmp_ge_u32 s2, s16
	s_cselect_b32 s2, s4, s12
	s_add_co_i32 s4, s34, 15
	s_delay_alu instid0(SALU_CYCLE_1) | instskip(NEXT) | instid1(SALU_CYCLE_1)
	s_ashr_i32 s12, s4, 31
	s_lshr_b32 s12, s12, 28
	s_delay_alu instid0(SALU_CYCLE_1) | instskip(NEXT) | instid1(SALU_CYCLE_1)
	s_add_co_i32 s4, s4, s12
	s_ashr_i32 s26, s4, 4
	s_xor_b32 s4, s2, s5
	v_cmp_gt_i32_e64 s2, s26, v37
	s_sub_co_i32 s36, s4, s5
	s_and_saveexec_b32 s38, s2
	s_cbranch_execz .LBB184_468
; %bb.9:
	s_load_b64 s[4:5], s[0:1], 0x10
	s_sub_co_i32 s39, s36, s13
	s_ashr_i32 s19, s18, 31
	s_cmp_neq_f32 s37, 0
	v_bfe_u32 v2, v36, 1, 4
	v_dual_mov_b32 v53, 0 :: v_dual_mov_b32 v31, v37
	s_cselect_b32 vcc_lo, -1, 0
	s_abs_i32 s40, s14
	s_delay_alu instid0(VALU_DEP_2)
	v_lshlrev_b32_e32 v52, 4, v2
	s_cvt_f32_u32 s12, s40
	v_lshlrev_b32_e32 v54, 4, v31
	s_clause 0x2
	scratch_store_b32 off, v24, off offset:220
	scratch_store_b32 off, v36, off offset:212
	;; [unrolled: 1-line block ×3, first 2 shown]
	v_rcp_iflag_f32_e32 v1, s12
	v_subrev_nc_u32_e32 v4, s34, v2
	s_lshl_b64 s[42:43], s[24:25], 2
	v_cmp_eq_u32_e64 s3, 0, v0
	v_mul_u32_u24_e32 v51, 0xe0, v0
	s_wait_kmcnt 0x0
	s_add_nc_u64 s[4:5], s[4:5], s[18:19]
	s_sub_co_i32 s19, 0, s40
	v_readfirstlane_b32 s12, v1
	v_lshlrev_b32_e32 v1, 2, v2
	s_wait_xcnt 0x0
	v_add_nc_u64_e32 v[2:3], s[4:5], v[52:53]
	v_lshlrev_b32_e32 v52, 1, v0
	s_add_nc_u64 s[4:5], s[22:23], s[42:43]
	s_mul_f32 s12, s12, 0x4f7ffffe
	v_lshl_or_b32 v0, v31, 6, v1
	v_add_nc_u32_e32 v1, 1, v4
	s_mov_b32 s29, 0
	v_add_nc_u64_e32 v[2:3], v[2:3], v[52:53]
	v_and_b32_e32 v52, 0x7c, v25
	s_cvt_u32_f32 s12, s12
	v_add_nc_u32_e32 v30, 0x1e0, v0
	v_mov_b32_e32 v0, 0xff7fffff
	s_mov_b32 s41, s29
	v_add_nc_u64_e32 v[58:59], s[4:5], v[52:53]
	s_mul_i32 s19, s19, s12
	s_clause 0x1
	scratch_store_b64 off, v[2:3], off offset:196
	scratch_store_b32 off, v25, off offset:224
	s_mul_hi_u32 s28, s12, s19
	s_mov_b32 s19, s17
	s_add_co_i32 s28, s12, s28
	s_clause 0x2
	scratch_store_b32 off, v1, off offset:208
	scratch_store_b32 off, v0, off offset:192
	;; [unrolled: 1-line block ×3, first 2 shown]
	s_branch .LBB184_12
.LBB184_10:                             ;   in Loop: Header=BB184_12 Depth=1
	s_wait_xcnt 0x0
	s_or_b32 exec_lo, exec_lo, s12
.LBB184_11:                             ;   in Loop: Header=BB184_12 Depth=1
	s_delay_alu instid0(SALU_CYCLE_1) | instskip(SKIP_3) | instid1(VALU_DEP_3)
	s_or_b32 exec_lo, exec_lo, s5
	v_dual_add_nc_u32 v31, 4, v31 :: v_dual_add_nc_u32 v54, 64, v54
	v_add_nc_u64_e32 v[58:59], 16, v[58:59]
	v_add_nc_u32_e32 v30, 0x100, v30
	v_cmp_le_i32_e64 s4, s26, v31
	s_or_b32 s41, s4, s41
	s_delay_alu instid0(SALU_CYCLE_1)
	s_and_not1_b32 exec_lo, exec_lo, s41
	s_cbranch_execz .LBB184_467
.LBB184_12:                             ; =>This Inner Loop Header: Depth=1
	v_mov_b32_e32 v55, v53
	s_wait_xcnt 0x1
	s_wait_dscnt 0x0
	s_delay_alu instid0(VALU_DEP_1) | instskip(NEXT) | instid1(VALU_DEP_1)
	v_mul_u64_e32 v[0:1], s[20:21], v[54:55]
	v_mul_lo_u32 v0, v1, s16
	s_delay_alu instid0(VALU_DEP_1) | instskip(NEXT) | instid1(VALU_DEP_1)
	v_sub_nc_u32_e32 v0, v54, v0
	v_subrev_nc_u32_e32 v3, s16, v0
	v_cmp_le_u32_e64 s4, s16, v0
	s_delay_alu instid0(VALU_DEP_1) | instskip(NEXT) | instid1(VALU_DEP_1)
	v_dual_add_nc_u32 v2, 1, v1 :: v_dual_cndmask_b32 v0, v0, v3, s4
	v_cndmask_b32_e64 v1, v1, v2, s4
	s_delay_alu instid0(VALU_DEP_2) | instskip(NEXT) | instid1(VALU_DEP_2)
	v_cmp_le_u32_e64 s4, s16, v0
	v_add_nc_u32_e32 v2, 1, v1
	s_delay_alu instid0(VALU_DEP_1) | instskip(NEXT) | instid1(VALU_DEP_1)
	v_cndmask_b32_e64 v0, v1, v2, s4
	v_xor_b32_e32 v0, s15, v0
	s_delay_alu instid0(VALU_DEP_1) | instskip(NEXT) | instid1(VALU_DEP_1)
	v_subrev_nc_u32_e32 v2, s15, v0
	v_add_nc_u32_e32 v3, s35, v2
	v_cmp_ge_i32_e64 s5, s39, v2
	s_delay_alu instid0(VALU_DEP_2) | instskip(NEXT) | instid1(VALU_DEP_1)
	v_sub_nc_u32_e32 v0, 0, v3
	v_dual_ashrrev_i32 v3, 31, v3 :: v_dual_max_i32 v52, v3, v0
	s_delay_alu instid0(VALU_DEP_1) | instskip(NEXT) | instid1(VALU_DEP_1)
	v_mul_u64_e32 v[0:1], s[28:29], v[52:53]
	v_mul_lo_u32 v0, v1, s40
	s_delay_alu instid0(VALU_DEP_1) | instskip(NEXT) | instid1(VALU_DEP_1)
	v_sub_nc_u32_e32 v0, v52, v0
	v_subrev_nc_u32_e32 v1, s40, v0
	v_cmp_le_u32_e64 s4, s40, v0
	s_delay_alu instid0(VALU_DEP_1) | instskip(NEXT) | instid1(VALU_DEP_1)
	v_cndmask_b32_e64 v0, v0, v1, s4
	v_subrev_nc_u32_e32 v1, s40, v0
	v_cmp_le_u32_e64 s4, s40, v0
	s_delay_alu instid0(VALU_DEP_1) | instskip(NEXT) | instid1(VALU_DEP_1)
	v_cndmask_b32_e64 v0, v0, v1, s4
	v_xor_b32_e32 v0, v0, v3
	s_delay_alu instid0(VALU_DEP_1) | instskip(NEXT) | instid1(VALU_DEP_1)
	v_sub_nc_u32_e32 v0, v0, v3
	v_cmp_ne_u32_e64 s4, 0, v0
	s_and_b32 s4, s4, s5
	s_wait_xcnt 0x0
	s_and_saveexec_b32 s5, s4
	s_delay_alu instid0(SALU_CYCLE_1)
	s_xor_b32 s4, exec_lo, s5
	s_cbranch_execz .LBB184_16
; %bb.13:                               ;   in Loop: Header=BB184_12 Depth=1
	s_and_saveexec_b32 s5, s3
; %bb.14:                               ;   in Loop: Header=BB184_12 Depth=1
	v_mov_b32_e32 v0, 0xff7fffff
	ds_store_b32 v30, v0
; %bb.15:                               ;   in Loop: Header=BB184_12 Depth=1
	s_or_b32 exec_lo, exec_lo, s5
.LBB184_16:                             ;   in Loop: Header=BB184_12 Depth=1
	s_and_not1_saveexec_b32 s5, s4
	s_cbranch_execz .LBB184_11
; %bb.17:                               ;   in Loop: Header=BB184_12 Depth=1
	global_load_b32 v0, v[58:59], off
	scratch_load_b64 v[2:3], off, off offset:196 ; 8-byte Folded Reload
	s_mov_b32 s42, exec_lo
	s_wait_loadcnt 0x0
	v_mad_nc_i64_i32 v[70:71], v0, s19, v[2:3]
	global_load_u16 v0, v[70:71], off
	ds_load_b128 v[46:49], v51
	ds_load_b128 v[42:45], v51 offset:16
	ds_load_b128 v[38:41], v51 offset:32
	;; [unrolled: 1-line block ×4, first 2 shown]
	s_load_b32 s12, s[8:9], 0x0
	s_wait_dscnt 0x0
	scratch_store_b128 off, v[2:5], off offset:176 ; 16-byte Folded Spill
	s_wait_xcnt 0x0
	ds_load_b128 v[2:5], v51 offset:80
	s_wait_dscnt 0x0
	scratch_store_b128 off, v[2:5], off offset:160 ; 16-byte Folded Spill
	s_wait_xcnt 0x0
	ds_load_b128 v[2:5], v51 offset:96
	;; [unrolled: 4-line block ×7, first 2 shown]
	s_wait_dscnt 0x0
	scratch_store_b128 off, v[2:5], off offset:64 ; 16-byte Folded Spill
	s_wait_xcnt 0x0
	ds_load_b64 v[2:3], v51 offset:192
	s_wait_dscnt 0x0
	scratch_store_b64 off, v[2:3], off offset:56 ; 8-byte Folded Spill
	s_wait_xcnt 0x0
	v_mov_b64_e32 v[2:3], 0
	scratch_store_b64 off, v[2:3], off      ; 8-byte Folded Spill
	s_wait_xcnt 0x0
	v_mov_b64_e32 v[2:3], 0
	scratch_store_b64 off, v[2:3], off offset:8 ; 8-byte Folded Spill
	s_wait_loadcnt 0x0
	v_and_b32_e32 v1, 0xff, v0
	v_and_b32_e32 v0, 0xffff, v0
	s_wait_xcnt 0x0
	s_delay_alu instid0(VALU_DEP_2)
	v_cmpx_ne_u16_e32 0, v1
	s_cbranch_execz .LBB184_25
; %bb.18:                               ;   in Loop: Header=BB184_12 Depth=1
	v_mov_b64_e32 v[2:3], 0x80000000
	v_and_b32_e32 v1, 0xff, v0
	s_mov_b32 s43, exec_lo
	scratch_store_b64 off, v[2:3], off offset:8 ; 8-byte Folded Spill
	s_wait_xcnt 0x0
	v_cmpx_ne_u16_e32 0x80, v1
	s_cbranch_execz .LBB184_24
; %bb.19:                               ;   in Loop: Header=BB184_12 Depth=1
	v_mov_b64_e32 v[4:5], 0x7f800001
	v_and_b32_e32 v2, 0x7f, v0
	s_mov_b32 s44, exec_lo
	scratch_store_b64 off, v[4:5], off offset:8 ; 8-byte Folded Spill
	s_wait_xcnt 0x0
	v_cmpx_ne_u32_e32 0x7f, v2
	s_cbranch_execz .LBB184_23
; %bb.20:                               ;   in Loop: Header=BB184_12 Depth=1
	v_dual_lshrrev_b32 v1, 3, v2 :: v_dual_bitop2_b32 v52, 7, v0 bitop3:0x40
	s_mov_b32 s45, exec_lo
	v_cmpx_gt_u32_e32 8, v2
; %bb.21:                               ;   in Loop: Header=BB184_12 Depth=1
	s_delay_alu instid0(VALU_DEP_2) | instskip(NEXT) | instid1(VALU_DEP_1)
	v_clz_i32_u32_e32 v1, v52
	v_min_u32_e32 v1, 32, v1
	s_delay_alu instid0(VALU_DEP_1) | instskip(NEXT) | instid1(VALU_DEP_1)
	v_subrev_nc_u32_e32 v2, 28, v1
	v_lshlrev_b64_e32 v[2:3], v2, v[52:53]
	s_delay_alu instid0(VALU_DEP_1)
	v_dual_sub_nc_u32 v1, 29, v1 :: v_dual_bitop2_b32 v52, 7, v2 bitop3:0x40
; %bb.22:                               ;   in Loop: Header=BB184_12 Depth=1
	s_or_b32 exec_lo, exec_lo, s45
	v_lshlrev_b32_e32 v2, 24, v0
	s_delay_alu instid0(VALU_DEP_2) | instskip(NEXT) | instid1(VALU_DEP_3)
	v_lshlrev_b32_e32 v3, 20, v52
	v_lshl_add_u32 v1, v1, 23, 0x3c000000
	s_delay_alu instid0(VALU_DEP_3) | instskip(NEXT) | instid1(VALU_DEP_1)
	v_and_b32_e32 v2, 0x80000000, v2
	v_or3_b32 v52, v3, v2, v1
	scratch_store_b64 off, v[52:53], off offset:8 ; 8-byte Folded Spill
.LBB184_23:                             ;   in Loop: Header=BB184_12 Depth=1
	s_wait_xcnt 0x0
	s_or_b32 exec_lo, exec_lo, s44
.LBB184_24:                             ;   in Loop: Header=BB184_12 Depth=1
	s_delay_alu instid0(SALU_CYCLE_1)
	s_or_b32 exec_lo, exec_lo, s43
.LBB184_25:                             ;   in Loop: Header=BB184_12 Depth=1
	s_delay_alu instid0(SALU_CYCLE_1) | instskip(SKIP_2) | instid1(VALU_DEP_1)
	s_or_b32 exec_lo, exec_lo, s42
	v_lshrrev_b16 v1, 8, v0
	s_mov_b32 s42, exec_lo
	v_cmpx_ne_u16_e32 0, v1
	s_cbranch_execz .LBB184_33
; %bb.26:                               ;   in Loop: Header=BB184_12 Depth=1
	v_mov_b64_e32 v[2:3], 0x8000000000000000
	s_mov_b32 s43, exec_lo
	scratch_store_b64 off, v[2:3], off      ; 8-byte Folded Spill
	s_wait_xcnt 0x0
	v_cmpx_ne_u16_e32 0x80, v1
	s_cbranch_execz .LBB184_32
; %bb.27:                               ;   in Loop: Header=BB184_12 Depth=1
	v_and_b32_e32 v1, 0xffff, v1
	v_mov_b64_e32 v[4:5], 0x7f80000100000000
	s_mov_b32 s44, exec_lo
	s_delay_alu instid0(VALU_DEP_2)
	v_and_b32_e32 v2, 0x7f, v1
	scratch_store_b64 off, v[4:5], off      ; 8-byte Folded Spill
	s_wait_xcnt 0x0
	v_cmpx_ne_u32_e32 0x7f, v2
	s_cbranch_execz .LBB184_31
; %bb.28:                               ;   in Loop: Header=BB184_12 Depth=1
	v_dual_lshrrev_b32 v1, 3, v2 :: v_dual_bitop2_b32 v52, 7, v1 bitop3:0x40
	s_mov_b32 s45, exec_lo
	v_cmpx_gt_u32_e32 8, v2
; %bb.29:                               ;   in Loop: Header=BB184_12 Depth=1
	s_delay_alu instid0(VALU_DEP_2) | instskip(NEXT) | instid1(VALU_DEP_1)
	v_clz_i32_u32_e32 v1, v52
	v_min_u32_e32 v1, 32, v1
	s_delay_alu instid0(VALU_DEP_1) | instskip(NEXT) | instid1(VALU_DEP_1)
	v_subrev_nc_u32_e32 v2, 28, v1
	v_lshlrev_b64_e32 v[2:3], v2, v[52:53]
	s_delay_alu instid0(VALU_DEP_1)
	v_dual_sub_nc_u32 v1, 29, v1 :: v_dual_bitop2_b32 v52, 7, v2 bitop3:0x40
; %bb.30:                               ;   in Loop: Header=BB184_12 Depth=1
	s_or_b32 exec_lo, exec_lo, s45
	v_lshlrev_b32_e32 v0, 16, v0
	s_delay_alu instid0(VALU_DEP_2) | instskip(NEXT) | instid1(VALU_DEP_3)
	v_lshlrev_b32_e32 v2, 20, v52
	v_lshl_add_u32 v1, v1, 23, 0x3c000000
	s_delay_alu instid0(VALU_DEP_3) | instskip(NEXT) | instid1(VALU_DEP_1)
	v_and_b32_e32 v0, 0x80000000, v0
	v_or3_b32 v1, v2, v0, v1
	v_mov_b32_e32 v0, v53
	scratch_store_b64 off, v[0:1], off      ; 8-byte Folded Spill
.LBB184_31:                             ;   in Loop: Header=BB184_12 Depth=1
	s_wait_xcnt 0x0
	s_or_b32 exec_lo, exec_lo, s44
.LBB184_32:                             ;   in Loop: Header=BB184_12 Depth=1
	s_delay_alu instid0(SALU_CYCLE_1)
	s_or_b32 exec_lo, exec_lo, s43
.LBB184_33:                             ;   in Loop: Header=BB184_12 Depth=1
	s_delay_alu instid0(SALU_CYCLE_1)
	s_or_b32 exec_lo, exec_lo, s42
	global_load_u16 v0, v[70:71], off offset:4
	v_mov_b64_e32 v[2:3], 0
	s_mov_b32 s42, exec_lo
	scratch_store_b64 off, v[2:3], off offset:16 ; 8-byte Folded Spill
	s_wait_xcnt 0x0
	v_mov_b64_e32 v[2:3], 0
	scratch_store_b64 off, v[2:3], off offset:24 ; 8-byte Folded Spill
	s_wait_loadcnt 0x0
	v_and_b32_e32 v1, 0xff, v0
	v_and_b32_e32 v0, 0xffff, v0
	s_wait_xcnt 0x0
	s_delay_alu instid0(VALU_DEP_2)
	v_cmpx_ne_u16_e32 0, v1
	s_cbranch_execz .LBB184_41
; %bb.34:                               ;   in Loop: Header=BB184_12 Depth=1
	v_mov_b64_e32 v[2:3], 0x80000000
	v_and_b32_e32 v1, 0xff, v0
	s_mov_b32 s43, exec_lo
	scratch_store_b64 off, v[2:3], off offset:24 ; 8-byte Folded Spill
	s_wait_xcnt 0x0
	v_cmpx_ne_u16_e32 0x80, v1
	s_cbranch_execz .LBB184_40
; %bb.35:                               ;   in Loop: Header=BB184_12 Depth=1
	v_mov_b64_e32 v[4:5], 0x7f800001
	v_and_b32_e32 v2, 0x7f, v0
	s_mov_b32 s44, exec_lo
	scratch_store_b64 off, v[4:5], off offset:24 ; 8-byte Folded Spill
	s_wait_xcnt 0x0
	v_cmpx_ne_u32_e32 0x7f, v2
	s_cbranch_execz .LBB184_39
; %bb.36:                               ;   in Loop: Header=BB184_12 Depth=1
	v_dual_lshrrev_b32 v1, 3, v2 :: v_dual_bitop2_b32 v52, 7, v0 bitop3:0x40
	s_mov_b32 s45, exec_lo
	v_cmpx_gt_u32_e32 8, v2
; %bb.37:                               ;   in Loop: Header=BB184_12 Depth=1
	s_delay_alu instid0(VALU_DEP_2) | instskip(NEXT) | instid1(VALU_DEP_1)
	v_clz_i32_u32_e32 v1, v52
	v_min_u32_e32 v1, 32, v1
	s_delay_alu instid0(VALU_DEP_1) | instskip(NEXT) | instid1(VALU_DEP_1)
	v_subrev_nc_u32_e32 v2, 28, v1
	v_lshlrev_b64_e32 v[2:3], v2, v[52:53]
	s_delay_alu instid0(VALU_DEP_1)
	v_dual_sub_nc_u32 v1, 29, v1 :: v_dual_bitop2_b32 v52, 7, v2 bitop3:0x40
; %bb.38:                               ;   in Loop: Header=BB184_12 Depth=1
	s_or_b32 exec_lo, exec_lo, s45
	v_lshlrev_b32_e32 v2, 24, v0
	s_delay_alu instid0(VALU_DEP_2) | instskip(NEXT) | instid1(VALU_DEP_3)
	v_lshlrev_b32_e32 v3, 20, v52
	v_lshl_add_u32 v1, v1, 23, 0x3c000000
	s_delay_alu instid0(VALU_DEP_3) | instskip(NEXT) | instid1(VALU_DEP_1)
	v_and_b32_e32 v2, 0x80000000, v2
	v_or3_b32 v52, v3, v2, v1
	scratch_store_b64 off, v[52:53], off offset:24 ; 8-byte Folded Spill
.LBB184_39:                             ;   in Loop: Header=BB184_12 Depth=1
	s_wait_xcnt 0x0
	s_or_b32 exec_lo, exec_lo, s44
.LBB184_40:                             ;   in Loop: Header=BB184_12 Depth=1
	s_delay_alu instid0(SALU_CYCLE_1)
	s_or_b32 exec_lo, exec_lo, s43
.LBB184_41:                             ;   in Loop: Header=BB184_12 Depth=1
	s_delay_alu instid0(SALU_CYCLE_1) | instskip(SKIP_2) | instid1(VALU_DEP_1)
	s_or_b32 exec_lo, exec_lo, s42
	v_lshrrev_b16 v1, 8, v0
	s_mov_b32 s42, exec_lo
	v_cmpx_ne_u16_e32 0, v1
	s_cbranch_execz .LBB184_49
; %bb.42:                               ;   in Loop: Header=BB184_12 Depth=1
	v_mov_b64_e32 v[2:3], 0x8000000000000000
	s_mov_b32 s43, exec_lo
	scratch_store_b64 off, v[2:3], off offset:16 ; 8-byte Folded Spill
	s_wait_xcnt 0x0
	v_cmpx_ne_u16_e32 0x80, v1
	s_cbranch_execz .LBB184_48
; %bb.43:                               ;   in Loop: Header=BB184_12 Depth=1
	v_and_b32_e32 v1, 0xffff, v1
	v_mov_b64_e32 v[4:5], 0x7f80000100000000
	s_mov_b32 s44, exec_lo
	s_delay_alu instid0(VALU_DEP_2)
	v_and_b32_e32 v2, 0x7f, v1
	scratch_store_b64 off, v[4:5], off offset:16 ; 8-byte Folded Spill
	s_wait_xcnt 0x0
	v_cmpx_ne_u32_e32 0x7f, v2
	s_cbranch_execz .LBB184_47
; %bb.44:                               ;   in Loop: Header=BB184_12 Depth=1
	v_dual_lshrrev_b32 v1, 3, v2 :: v_dual_bitop2_b32 v52, 7, v1 bitop3:0x40
	s_mov_b32 s45, exec_lo
	v_cmpx_gt_u32_e32 8, v2
; %bb.45:                               ;   in Loop: Header=BB184_12 Depth=1
	s_delay_alu instid0(VALU_DEP_2) | instskip(NEXT) | instid1(VALU_DEP_1)
	v_clz_i32_u32_e32 v1, v52
	v_min_u32_e32 v1, 32, v1
	s_delay_alu instid0(VALU_DEP_1) | instskip(NEXT) | instid1(VALU_DEP_1)
	v_subrev_nc_u32_e32 v2, 28, v1
	v_lshlrev_b64_e32 v[2:3], v2, v[52:53]
	s_delay_alu instid0(VALU_DEP_1)
	v_dual_sub_nc_u32 v1, 29, v1 :: v_dual_bitop2_b32 v52, 7, v2 bitop3:0x40
; %bb.46:                               ;   in Loop: Header=BB184_12 Depth=1
	s_or_b32 exec_lo, exec_lo, s45
	v_lshlrev_b32_e32 v0, 16, v0
	s_delay_alu instid0(VALU_DEP_2) | instskip(NEXT) | instid1(VALU_DEP_3)
	v_lshlrev_b32_e32 v2, 20, v52
	v_lshl_add_u32 v1, v1, 23, 0x3c000000
	s_delay_alu instid0(VALU_DEP_3) | instskip(NEXT) | instid1(VALU_DEP_1)
	v_and_b32_e32 v0, 0x80000000, v0
	v_or3_b32 v1, v2, v0, v1
	v_mov_b32_e32 v0, v53
	scratch_store_b64 off, v[0:1], off offset:16 ; 8-byte Folded Spill
.LBB184_47:                             ;   in Loop: Header=BB184_12 Depth=1
	s_wait_xcnt 0x0
	s_or_b32 exec_lo, exec_lo, s44
.LBB184_48:                             ;   in Loop: Header=BB184_12 Depth=1
	s_delay_alu instid0(SALU_CYCLE_1)
	s_or_b32 exec_lo, exec_lo, s43
.LBB184_49:                             ;   in Loop: Header=BB184_12 Depth=1
	s_delay_alu instid0(SALU_CYCLE_1)
	s_or_b32 exec_lo, exec_lo, s42
	global_load_u16 v0, v[70:71], off offset:8
	v_mov_b64_e32 v[2:3], 0
	s_mov_b32 s42, exec_lo
	scratch_store_b64 off, v[2:3], off offset:32 ; 8-byte Folded Spill
	s_wait_xcnt 0x0
	v_mov_b64_e32 v[2:3], 0
	scratch_store_b64 off, v[2:3], off offset:40 ; 8-byte Folded Spill
	s_wait_loadcnt 0x0
	v_and_b32_e32 v1, 0xff, v0
	v_and_b32_e32 v0, 0xffff, v0
	s_wait_xcnt 0x0
	s_delay_alu instid0(VALU_DEP_2)
	v_cmpx_ne_u16_e32 0, v1
	s_cbranch_execz .LBB184_57
; %bb.50:                               ;   in Loop: Header=BB184_12 Depth=1
	v_mov_b64_e32 v[2:3], 0x80000000
	v_and_b32_e32 v1, 0xff, v0
	s_mov_b32 s43, exec_lo
	scratch_store_b64 off, v[2:3], off offset:40 ; 8-byte Folded Spill
	s_wait_xcnt 0x0
	v_cmpx_ne_u16_e32 0x80, v1
	s_cbranch_execz .LBB184_56
; %bb.51:                               ;   in Loop: Header=BB184_12 Depth=1
	v_mov_b64_e32 v[4:5], 0x7f800001
	v_and_b32_e32 v2, 0x7f, v0
	s_mov_b32 s44, exec_lo
	scratch_store_b64 off, v[4:5], off offset:40 ; 8-byte Folded Spill
	s_wait_xcnt 0x0
	v_cmpx_ne_u32_e32 0x7f, v2
	s_cbranch_execz .LBB184_55
; %bb.52:                               ;   in Loop: Header=BB184_12 Depth=1
	v_dual_lshrrev_b32 v1, 3, v2 :: v_dual_bitop2_b32 v52, 7, v0 bitop3:0x40
	s_mov_b32 s45, exec_lo
	v_cmpx_gt_u32_e32 8, v2
; %bb.53:                               ;   in Loop: Header=BB184_12 Depth=1
	s_delay_alu instid0(VALU_DEP_2) | instskip(NEXT) | instid1(VALU_DEP_1)
	v_clz_i32_u32_e32 v1, v52
	v_min_u32_e32 v1, 32, v1
	s_delay_alu instid0(VALU_DEP_1) | instskip(NEXT) | instid1(VALU_DEP_1)
	v_subrev_nc_u32_e32 v2, 28, v1
	v_lshlrev_b64_e32 v[2:3], v2, v[52:53]
	s_delay_alu instid0(VALU_DEP_1)
	v_dual_sub_nc_u32 v1, 29, v1 :: v_dual_bitop2_b32 v52, 7, v2 bitop3:0x40
; %bb.54:                               ;   in Loop: Header=BB184_12 Depth=1
	s_or_b32 exec_lo, exec_lo, s45
	v_lshlrev_b32_e32 v2, 24, v0
	s_delay_alu instid0(VALU_DEP_2) | instskip(NEXT) | instid1(VALU_DEP_3)
	v_lshlrev_b32_e32 v3, 20, v52
	v_lshl_add_u32 v1, v1, 23, 0x3c000000
	s_delay_alu instid0(VALU_DEP_3) | instskip(NEXT) | instid1(VALU_DEP_1)
	v_and_b32_e32 v2, 0x80000000, v2
	v_or3_b32 v52, v3, v2, v1
	scratch_store_b64 off, v[52:53], off offset:40 ; 8-byte Folded Spill
.LBB184_55:                             ;   in Loop: Header=BB184_12 Depth=1
	s_wait_xcnt 0x0
	s_or_b32 exec_lo, exec_lo, s44
.LBB184_56:                             ;   in Loop: Header=BB184_12 Depth=1
	s_delay_alu instid0(SALU_CYCLE_1)
	s_or_b32 exec_lo, exec_lo, s43
.LBB184_57:                             ;   in Loop: Header=BB184_12 Depth=1
	s_delay_alu instid0(SALU_CYCLE_1) | instskip(SKIP_2) | instid1(VALU_DEP_1)
	s_or_b32 exec_lo, exec_lo, s42
	v_lshrrev_b16 v1, 8, v0
	s_mov_b32 s42, exec_lo
	v_cmpx_ne_u16_e32 0, v1
	s_cbranch_execz .LBB184_65
; %bb.58:                               ;   in Loop: Header=BB184_12 Depth=1
	v_mov_b64_e32 v[2:3], 0x8000000000000000
	s_mov_b32 s43, exec_lo
	scratch_store_b64 off, v[2:3], off offset:32 ; 8-byte Folded Spill
	s_wait_xcnt 0x0
	v_cmpx_ne_u16_e32 0x80, v1
	s_cbranch_execz .LBB184_64
; %bb.59:                               ;   in Loop: Header=BB184_12 Depth=1
	v_and_b32_e32 v1, 0xffff, v1
	v_mov_b64_e32 v[4:5], 0x7f80000100000000
	s_mov_b32 s44, exec_lo
	s_delay_alu instid0(VALU_DEP_2)
	v_and_b32_e32 v2, 0x7f, v1
	scratch_store_b64 off, v[4:5], off offset:32 ; 8-byte Folded Spill
	s_wait_xcnt 0x0
	v_cmpx_ne_u32_e32 0x7f, v2
	s_cbranch_execz .LBB184_63
; %bb.60:                               ;   in Loop: Header=BB184_12 Depth=1
	v_dual_lshrrev_b32 v1, 3, v2 :: v_dual_bitop2_b32 v52, 7, v1 bitop3:0x40
	s_mov_b32 s45, exec_lo
	v_cmpx_gt_u32_e32 8, v2
; %bb.61:                               ;   in Loop: Header=BB184_12 Depth=1
	s_delay_alu instid0(VALU_DEP_2) | instskip(NEXT) | instid1(VALU_DEP_1)
	v_clz_i32_u32_e32 v1, v52
	v_min_u32_e32 v1, 32, v1
	s_delay_alu instid0(VALU_DEP_1) | instskip(NEXT) | instid1(VALU_DEP_1)
	v_subrev_nc_u32_e32 v2, 28, v1
	v_lshlrev_b64_e32 v[2:3], v2, v[52:53]
	s_delay_alu instid0(VALU_DEP_1)
	v_dual_sub_nc_u32 v1, 29, v1 :: v_dual_bitop2_b32 v52, 7, v2 bitop3:0x40
; %bb.62:                               ;   in Loop: Header=BB184_12 Depth=1
	s_or_b32 exec_lo, exec_lo, s45
	v_lshlrev_b32_e32 v0, 16, v0
	s_delay_alu instid0(VALU_DEP_2) | instskip(NEXT) | instid1(VALU_DEP_3)
	v_lshlrev_b32_e32 v2, 20, v52
	v_lshl_add_u32 v1, v1, 23, 0x3c000000
	s_delay_alu instid0(VALU_DEP_3) | instskip(NEXT) | instid1(VALU_DEP_1)
	v_and_b32_e32 v0, 0x80000000, v0
	v_or3_b32 v1, v2, v0, v1
	v_mov_b32_e32 v0, v53
	scratch_store_b64 off, v[0:1], off offset:32 ; 8-byte Folded Spill
.LBB184_63:                             ;   in Loop: Header=BB184_12 Depth=1
	s_wait_xcnt 0x0
	s_or_b32 exec_lo, exec_lo, s44
.LBB184_64:                             ;   in Loop: Header=BB184_12 Depth=1
	s_delay_alu instid0(SALU_CYCLE_1)
	s_or_b32 exec_lo, exec_lo, s43
.LBB184_65:                             ;   in Loop: Header=BB184_12 Depth=1
	s_delay_alu instid0(SALU_CYCLE_1)
	s_or_b32 exec_lo, exec_lo, s42
	global_load_u16 v0, v[70:71], off offset:12
	v_mov_b64_e32 v[76:77], 0
	v_mov_b64_e32 v[2:3], 0
	s_mov_b32 s42, exec_lo
	scratch_store_b64 off, v[2:3], off offset:48 ; 8-byte Folded Spill
	s_wait_loadcnt 0x0
	v_and_b32_e32 v1, 0xff, v0
	v_and_b32_e32 v0, 0xffff, v0
	s_wait_xcnt 0x0
	s_delay_alu instid0(VALU_DEP_2)
	v_cmpx_ne_u16_e32 0, v1
	s_cbranch_execz .LBB184_73
; %bb.66:                               ;   in Loop: Header=BB184_12 Depth=1
	v_mov_b64_e32 v[2:3], 0x80000000
	v_and_b32_e32 v1, 0xff, v0
	s_mov_b32 s43, exec_lo
	scratch_store_b64 off, v[2:3], off offset:48 ; 8-byte Folded Spill
	s_wait_xcnt 0x0
	v_cmpx_ne_u16_e32 0x80, v1
	s_cbranch_execz .LBB184_72
; %bb.67:                               ;   in Loop: Header=BB184_12 Depth=1
	v_mov_b64_e32 v[4:5], 0x7f800001
	v_and_b32_e32 v2, 0x7f, v0
	s_mov_b32 s44, exec_lo
	scratch_store_b64 off, v[4:5], off offset:48 ; 8-byte Folded Spill
	s_wait_xcnt 0x0
	v_cmpx_ne_u32_e32 0x7f, v2
	s_cbranch_execz .LBB184_71
; %bb.68:                               ;   in Loop: Header=BB184_12 Depth=1
	v_dual_lshrrev_b32 v1, 3, v2 :: v_dual_bitop2_b32 v52, 7, v0 bitop3:0x40
	s_mov_b32 s45, exec_lo
	v_cmpx_gt_u32_e32 8, v2
; %bb.69:                               ;   in Loop: Header=BB184_12 Depth=1
	s_delay_alu instid0(VALU_DEP_2) | instskip(NEXT) | instid1(VALU_DEP_1)
	v_clz_i32_u32_e32 v1, v52
	v_min_u32_e32 v1, 32, v1
	s_delay_alu instid0(VALU_DEP_1) | instskip(NEXT) | instid1(VALU_DEP_1)
	v_subrev_nc_u32_e32 v2, 28, v1
	v_lshlrev_b64_e32 v[2:3], v2, v[52:53]
	s_delay_alu instid0(VALU_DEP_1)
	v_dual_sub_nc_u32 v1, 29, v1 :: v_dual_bitop2_b32 v52, 7, v2 bitop3:0x40
; %bb.70:                               ;   in Loop: Header=BB184_12 Depth=1
	s_or_b32 exec_lo, exec_lo, s45
	v_lshlrev_b32_e32 v2, 24, v0
	s_delay_alu instid0(VALU_DEP_2) | instskip(NEXT) | instid1(VALU_DEP_3)
	v_lshlrev_b32_e32 v3, 20, v52
	v_lshl_add_u32 v1, v1, 23, 0x3c000000
	s_delay_alu instid0(VALU_DEP_3) | instskip(NEXT) | instid1(VALU_DEP_1)
	v_and_b32_e32 v2, 0x80000000, v2
	v_or3_b32 v52, v3, v2, v1
	scratch_store_b64 off, v[52:53], off offset:48 ; 8-byte Folded Spill
.LBB184_71:                             ;   in Loop: Header=BB184_12 Depth=1
	s_wait_xcnt 0x0
	s_or_b32 exec_lo, exec_lo, s44
.LBB184_72:                             ;   in Loop: Header=BB184_12 Depth=1
	s_delay_alu instid0(SALU_CYCLE_1)
	s_or_b32 exec_lo, exec_lo, s43
.LBB184_73:                             ;   in Loop: Header=BB184_12 Depth=1
	s_delay_alu instid0(SALU_CYCLE_1) | instskip(SKIP_2) | instid1(VALU_DEP_1)
	s_or_b32 exec_lo, exec_lo, s42
	v_lshrrev_b16 v1, 8, v0
	s_mov_b32 s42, exec_lo
	v_cmpx_ne_u16_e32 0, v1
	s_cbranch_execz .LBB184_81
; %bb.74:                               ;   in Loop: Header=BB184_12 Depth=1
	v_mov_b64_e32 v[76:77], 0x8000000000000000
	s_mov_b32 s43, exec_lo
	v_cmpx_ne_u16_e32 0x80, v1
	s_cbranch_execz .LBB184_80
; %bb.75:                               ;   in Loop: Header=BB184_12 Depth=1
	v_and_b32_e32 v1, 0xffff, v1
	v_mov_b64_e32 v[76:77], 0x7f80000100000000
	s_mov_b32 s44, exec_lo
	s_delay_alu instid0(VALU_DEP_2) | instskip(NEXT) | instid1(VALU_DEP_1)
	v_and_b32_e32 v2, 0x7f, v1
	v_cmpx_ne_u32_e32 0x7f, v2
	s_cbranch_execz .LBB184_79
; %bb.76:                               ;   in Loop: Header=BB184_12 Depth=1
	v_dual_lshrrev_b32 v1, 3, v2 :: v_dual_bitop2_b32 v52, 7, v1 bitop3:0x40
	s_mov_b32 s45, exec_lo
	v_cmpx_gt_u32_e32 8, v2
; %bb.77:                               ;   in Loop: Header=BB184_12 Depth=1
	s_delay_alu instid0(VALU_DEP_2) | instskip(NEXT) | instid1(VALU_DEP_1)
	v_clz_i32_u32_e32 v1, v52
	v_min_u32_e32 v1, 32, v1
	s_delay_alu instid0(VALU_DEP_1) | instskip(NEXT) | instid1(VALU_DEP_1)
	v_subrev_nc_u32_e32 v2, 28, v1
	v_lshlrev_b64_e32 v[2:3], v2, v[52:53]
	s_delay_alu instid0(VALU_DEP_1)
	v_dual_sub_nc_u32 v1, 29, v1 :: v_dual_bitop2_b32 v52, 7, v2 bitop3:0x40
; %bb.78:                               ;   in Loop: Header=BB184_12 Depth=1
	s_or_b32 exec_lo, exec_lo, s45
	v_dual_lshlrev_b32 v0, 16, v0 :: v_dual_mov_b32 v76, v53
	s_delay_alu instid0(VALU_DEP_2) | instskip(NEXT) | instid1(VALU_DEP_3)
	v_lshlrev_b32_e32 v2, 20, v52
	v_lshl_add_u32 v1, v1, 23, 0x3c000000
	s_delay_alu instid0(VALU_DEP_3) | instskip(NEXT) | instid1(VALU_DEP_1)
	v_and_b32_e32 v0, 0x80000000, v0
	v_or3_b32 v77, v2, v0, v1
.LBB184_79:                             ;   in Loop: Header=BB184_12 Depth=1
	s_or_b32 exec_lo, exec_lo, s44
.LBB184_80:                             ;   in Loop: Header=BB184_12 Depth=1
	s_delay_alu instid0(SALU_CYCLE_1)
	s_or_b32 exec_lo, exec_lo, s43
.LBB184_81:                             ;   in Loop: Header=BB184_12 Depth=1
	s_delay_alu instid0(SALU_CYCLE_1)
	s_or_b32 exec_lo, exec_lo, s42
	global_load_u16 v0, v[70:71], off offset:256
	v_mov_b64_e32 v[80:81], 0
	v_mov_b64_e32 v[82:83], 0
	s_mov_b32 s42, exec_lo
	s_wait_loadcnt 0x0
	v_and_b32_e32 v1, 0xff, v0
	v_and_b32_e32 v0, 0xffff, v0
	s_wait_xcnt 0x0
	s_delay_alu instid0(VALU_DEP_2)
	v_cmpx_ne_u16_e32 0, v1
	s_cbranch_execz .LBB184_89
; %bb.82:                               ;   in Loop: Header=BB184_12 Depth=1
	v_mov_b64_e32 v[82:83], 0x80000000
	v_and_b32_e32 v1, 0xff, v0
	s_mov_b32 s43, exec_lo
	s_delay_alu instid0(VALU_DEP_1)
	v_cmpx_ne_u16_e32 0x80, v1
	s_cbranch_execz .LBB184_88
; %bb.83:                               ;   in Loop: Header=BB184_12 Depth=1
	v_mov_b64_e32 v[82:83], 0x7f800001
	v_and_b32_e32 v2, 0x7f, v0
	s_mov_b32 s44, exec_lo
	s_delay_alu instid0(VALU_DEP_1)
	v_cmpx_ne_u32_e32 0x7f, v2
	s_cbranch_execz .LBB184_87
; %bb.84:                               ;   in Loop: Header=BB184_12 Depth=1
	v_dual_lshrrev_b32 v1, 3, v2 :: v_dual_bitop2_b32 v52, 7, v0 bitop3:0x40
	s_mov_b32 s45, exec_lo
	v_cmpx_gt_u32_e32 8, v2
; %bb.85:                               ;   in Loop: Header=BB184_12 Depth=1
	s_delay_alu instid0(VALU_DEP_2) | instskip(NEXT) | instid1(VALU_DEP_1)
	v_clz_i32_u32_e32 v1, v52
	v_min_u32_e32 v1, 32, v1
	s_delay_alu instid0(VALU_DEP_1) | instskip(NEXT) | instid1(VALU_DEP_1)
	v_subrev_nc_u32_e32 v2, 28, v1
	v_lshlrev_b64_e32 v[2:3], v2, v[52:53]
	s_delay_alu instid0(VALU_DEP_1)
	v_dual_sub_nc_u32 v1, 29, v1 :: v_dual_bitop2_b32 v52, 7, v2 bitop3:0x40
; %bb.86:                               ;   in Loop: Header=BB184_12 Depth=1
	s_or_b32 exec_lo, exec_lo, s45
	v_lshlrev_b32_e32 v2, 24, v0
	s_delay_alu instid0(VALU_DEP_2) | instskip(NEXT) | instid1(VALU_DEP_3)
	v_lshlrev_b32_e32 v3, 20, v52
	v_lshl_add_u32 v1, v1, 23, 0x3c000000
	s_delay_alu instid0(VALU_DEP_3) | instskip(NEXT) | instid1(VALU_DEP_1)
	v_and_b32_e32 v2, 0x80000000, v2
	v_or3_b32 v52, v3, v2, v1
	s_delay_alu instid0(VALU_DEP_1)
	v_mov_b64_e32 v[82:83], v[52:53]
.LBB184_87:                             ;   in Loop: Header=BB184_12 Depth=1
	s_or_b32 exec_lo, exec_lo, s44
.LBB184_88:                             ;   in Loop: Header=BB184_12 Depth=1
	s_delay_alu instid0(SALU_CYCLE_1)
	s_or_b32 exec_lo, exec_lo, s43
.LBB184_89:                             ;   in Loop: Header=BB184_12 Depth=1
	s_delay_alu instid0(SALU_CYCLE_1) | instskip(SKIP_2) | instid1(VALU_DEP_1)
	s_or_b32 exec_lo, exec_lo, s42
	v_lshrrev_b16 v1, 8, v0
	s_mov_b32 s42, exec_lo
	v_cmpx_ne_u16_e32 0, v1
	s_cbranch_execz .LBB184_97
; %bb.90:                               ;   in Loop: Header=BB184_12 Depth=1
	v_mov_b64_e32 v[80:81], 0x8000000000000000
	s_mov_b32 s43, exec_lo
	v_cmpx_ne_u16_e32 0x80, v1
	s_cbranch_execz .LBB184_96
; %bb.91:                               ;   in Loop: Header=BB184_12 Depth=1
	v_and_b32_e32 v1, 0xffff, v1
	v_mov_b64_e32 v[80:81], 0x7f80000100000000
	s_mov_b32 s44, exec_lo
	s_delay_alu instid0(VALU_DEP_2) | instskip(NEXT) | instid1(VALU_DEP_1)
	v_and_b32_e32 v2, 0x7f, v1
	v_cmpx_ne_u32_e32 0x7f, v2
	s_cbranch_execz .LBB184_95
; %bb.92:                               ;   in Loop: Header=BB184_12 Depth=1
	v_dual_lshrrev_b32 v1, 3, v2 :: v_dual_bitop2_b32 v52, 7, v1 bitop3:0x40
	s_mov_b32 s45, exec_lo
	v_cmpx_gt_u32_e32 8, v2
; %bb.93:                               ;   in Loop: Header=BB184_12 Depth=1
	s_delay_alu instid0(VALU_DEP_2) | instskip(NEXT) | instid1(VALU_DEP_1)
	v_clz_i32_u32_e32 v1, v52
	v_min_u32_e32 v1, 32, v1
	s_delay_alu instid0(VALU_DEP_1) | instskip(NEXT) | instid1(VALU_DEP_1)
	v_subrev_nc_u32_e32 v2, 28, v1
	v_lshlrev_b64_e32 v[2:3], v2, v[52:53]
	s_delay_alu instid0(VALU_DEP_1)
	v_dual_sub_nc_u32 v1, 29, v1 :: v_dual_bitop2_b32 v52, 7, v2 bitop3:0x40
; %bb.94:                               ;   in Loop: Header=BB184_12 Depth=1
	s_or_b32 exec_lo, exec_lo, s45
	v_dual_lshlrev_b32 v0, 16, v0 :: v_dual_mov_b32 v80, v53
	s_delay_alu instid0(VALU_DEP_2) | instskip(NEXT) | instid1(VALU_DEP_3)
	v_lshlrev_b32_e32 v2, 20, v52
	v_lshl_add_u32 v1, v1, 23, 0x3c000000
	s_delay_alu instid0(VALU_DEP_3) | instskip(NEXT) | instid1(VALU_DEP_1)
	v_and_b32_e32 v0, 0x80000000, v0
	v_or3_b32 v81, v2, v0, v1
.LBB184_95:                             ;   in Loop: Header=BB184_12 Depth=1
	s_or_b32 exec_lo, exec_lo, s44
.LBB184_96:                             ;   in Loop: Header=BB184_12 Depth=1
	s_delay_alu instid0(SALU_CYCLE_1)
	s_or_b32 exec_lo, exec_lo, s43
.LBB184_97:                             ;   in Loop: Header=BB184_12 Depth=1
	s_delay_alu instid0(SALU_CYCLE_1)
	s_or_b32 exec_lo, exec_lo, s42
	global_load_u16 v0, v[70:71], off offset:260
	v_mov_b64_e32 v[84:85], 0
	v_mov_b64_e32 v[86:87], 0
	s_mov_b32 s42, exec_lo
	s_wait_loadcnt 0x0
	v_and_b32_e32 v1, 0xff, v0
	v_and_b32_e32 v0, 0xffff, v0
	s_wait_xcnt 0x0
	s_delay_alu instid0(VALU_DEP_2)
	v_cmpx_ne_u16_e32 0, v1
	s_cbranch_execz .LBB184_105
; %bb.98:                               ;   in Loop: Header=BB184_12 Depth=1
	v_mov_b64_e32 v[86:87], 0x80000000
	v_and_b32_e32 v1, 0xff, v0
	s_mov_b32 s43, exec_lo
	s_delay_alu instid0(VALU_DEP_1)
	v_cmpx_ne_u16_e32 0x80, v1
	s_cbranch_execz .LBB184_104
; %bb.99:                               ;   in Loop: Header=BB184_12 Depth=1
	v_mov_b64_e32 v[86:87], 0x7f800001
	v_and_b32_e32 v2, 0x7f, v0
	s_mov_b32 s44, exec_lo
	s_delay_alu instid0(VALU_DEP_1)
	v_cmpx_ne_u32_e32 0x7f, v2
	s_cbranch_execz .LBB184_103
; %bb.100:                              ;   in Loop: Header=BB184_12 Depth=1
	v_dual_lshrrev_b32 v1, 3, v2 :: v_dual_bitop2_b32 v52, 7, v0 bitop3:0x40
	s_mov_b32 s45, exec_lo
	v_cmpx_gt_u32_e32 8, v2
; %bb.101:                              ;   in Loop: Header=BB184_12 Depth=1
	s_delay_alu instid0(VALU_DEP_2) | instskip(NEXT) | instid1(VALU_DEP_1)
	v_clz_i32_u32_e32 v1, v52
	v_min_u32_e32 v1, 32, v1
	s_delay_alu instid0(VALU_DEP_1) | instskip(NEXT) | instid1(VALU_DEP_1)
	v_subrev_nc_u32_e32 v2, 28, v1
	v_lshlrev_b64_e32 v[2:3], v2, v[52:53]
	s_delay_alu instid0(VALU_DEP_1)
	v_dual_sub_nc_u32 v1, 29, v1 :: v_dual_bitop2_b32 v52, 7, v2 bitop3:0x40
; %bb.102:                              ;   in Loop: Header=BB184_12 Depth=1
	s_or_b32 exec_lo, exec_lo, s45
	v_lshlrev_b32_e32 v2, 24, v0
	s_delay_alu instid0(VALU_DEP_2) | instskip(NEXT) | instid1(VALU_DEP_3)
	v_lshlrev_b32_e32 v3, 20, v52
	v_lshl_add_u32 v1, v1, 23, 0x3c000000
	s_delay_alu instid0(VALU_DEP_3) | instskip(NEXT) | instid1(VALU_DEP_1)
	v_and_b32_e32 v2, 0x80000000, v2
	v_or3_b32 v52, v3, v2, v1
	s_delay_alu instid0(VALU_DEP_1)
	v_mov_b64_e32 v[86:87], v[52:53]
.LBB184_103:                            ;   in Loop: Header=BB184_12 Depth=1
	s_or_b32 exec_lo, exec_lo, s44
.LBB184_104:                            ;   in Loop: Header=BB184_12 Depth=1
	s_delay_alu instid0(SALU_CYCLE_1)
	s_or_b32 exec_lo, exec_lo, s43
.LBB184_105:                            ;   in Loop: Header=BB184_12 Depth=1
	s_delay_alu instid0(SALU_CYCLE_1) | instskip(SKIP_2) | instid1(VALU_DEP_1)
	s_or_b32 exec_lo, exec_lo, s42
	v_lshrrev_b16 v1, 8, v0
	s_mov_b32 s42, exec_lo
	v_cmpx_ne_u16_e32 0, v1
	s_cbranch_execz .LBB184_113
; %bb.106:                              ;   in Loop: Header=BB184_12 Depth=1
	v_mov_b64_e32 v[84:85], 0x8000000000000000
	s_mov_b32 s43, exec_lo
	v_cmpx_ne_u16_e32 0x80, v1
	s_cbranch_execz .LBB184_112
; %bb.107:                              ;   in Loop: Header=BB184_12 Depth=1
	v_and_b32_e32 v1, 0xffff, v1
	v_mov_b64_e32 v[84:85], 0x7f80000100000000
	s_mov_b32 s44, exec_lo
	s_delay_alu instid0(VALU_DEP_2) | instskip(NEXT) | instid1(VALU_DEP_1)
	v_and_b32_e32 v2, 0x7f, v1
	v_cmpx_ne_u32_e32 0x7f, v2
	s_cbranch_execz .LBB184_111
; %bb.108:                              ;   in Loop: Header=BB184_12 Depth=1
	v_dual_lshrrev_b32 v1, 3, v2 :: v_dual_bitop2_b32 v52, 7, v1 bitop3:0x40
	s_mov_b32 s45, exec_lo
	v_cmpx_gt_u32_e32 8, v2
; %bb.109:                              ;   in Loop: Header=BB184_12 Depth=1
	s_delay_alu instid0(VALU_DEP_2) | instskip(NEXT) | instid1(VALU_DEP_1)
	v_clz_i32_u32_e32 v1, v52
	v_min_u32_e32 v1, 32, v1
	s_delay_alu instid0(VALU_DEP_1) | instskip(NEXT) | instid1(VALU_DEP_1)
	v_subrev_nc_u32_e32 v2, 28, v1
	v_lshlrev_b64_e32 v[2:3], v2, v[52:53]
	s_delay_alu instid0(VALU_DEP_1)
	v_dual_sub_nc_u32 v1, 29, v1 :: v_dual_bitop2_b32 v52, 7, v2 bitop3:0x40
; %bb.110:                              ;   in Loop: Header=BB184_12 Depth=1
	s_or_b32 exec_lo, exec_lo, s45
	v_dual_lshlrev_b32 v0, 16, v0 :: v_dual_mov_b32 v84, v53
	s_delay_alu instid0(VALU_DEP_2) | instskip(NEXT) | instid1(VALU_DEP_3)
	v_lshlrev_b32_e32 v2, 20, v52
	v_lshl_add_u32 v1, v1, 23, 0x3c000000
	s_delay_alu instid0(VALU_DEP_3) | instskip(NEXT) | instid1(VALU_DEP_1)
	v_and_b32_e32 v0, 0x80000000, v0
	v_or3_b32 v85, v2, v0, v1
.LBB184_111:                            ;   in Loop: Header=BB184_12 Depth=1
	s_or_b32 exec_lo, exec_lo, s44
.LBB184_112:                            ;   in Loop: Header=BB184_12 Depth=1
	s_delay_alu instid0(SALU_CYCLE_1)
	s_or_b32 exec_lo, exec_lo, s43
.LBB184_113:                            ;   in Loop: Header=BB184_12 Depth=1
	s_delay_alu instid0(SALU_CYCLE_1)
	s_or_b32 exec_lo, exec_lo, s42
	global_load_u16 v0, v[70:71], off offset:264
	v_mov_b64_e32 v[88:89], 0
	v_mov_b64_e32 v[90:91], 0
	s_mov_b32 s42, exec_lo
	s_wait_loadcnt 0x0
	v_and_b32_e32 v1, 0xff, v0
	v_and_b32_e32 v0, 0xffff, v0
	s_wait_xcnt 0x0
	s_delay_alu instid0(VALU_DEP_2)
	v_cmpx_ne_u16_e32 0, v1
	s_cbranch_execz .LBB184_121
; %bb.114:                              ;   in Loop: Header=BB184_12 Depth=1
	v_mov_b64_e32 v[90:91], 0x80000000
	v_and_b32_e32 v1, 0xff, v0
	s_mov_b32 s43, exec_lo
	s_delay_alu instid0(VALU_DEP_1)
	v_cmpx_ne_u16_e32 0x80, v1
	s_cbranch_execz .LBB184_120
; %bb.115:                              ;   in Loop: Header=BB184_12 Depth=1
	v_mov_b64_e32 v[90:91], 0x7f800001
	v_and_b32_e32 v2, 0x7f, v0
	s_mov_b32 s44, exec_lo
	s_delay_alu instid0(VALU_DEP_1)
	v_cmpx_ne_u32_e32 0x7f, v2
	s_cbranch_execz .LBB184_119
; %bb.116:                              ;   in Loop: Header=BB184_12 Depth=1
	v_dual_lshrrev_b32 v1, 3, v2 :: v_dual_bitop2_b32 v52, 7, v0 bitop3:0x40
	s_mov_b32 s45, exec_lo
	v_cmpx_gt_u32_e32 8, v2
; %bb.117:                              ;   in Loop: Header=BB184_12 Depth=1
	s_delay_alu instid0(VALU_DEP_2) | instskip(NEXT) | instid1(VALU_DEP_1)
	v_clz_i32_u32_e32 v1, v52
	v_min_u32_e32 v1, 32, v1
	s_delay_alu instid0(VALU_DEP_1) | instskip(NEXT) | instid1(VALU_DEP_1)
	v_subrev_nc_u32_e32 v2, 28, v1
	v_lshlrev_b64_e32 v[2:3], v2, v[52:53]
	s_delay_alu instid0(VALU_DEP_1)
	v_dual_sub_nc_u32 v1, 29, v1 :: v_dual_bitop2_b32 v52, 7, v2 bitop3:0x40
; %bb.118:                              ;   in Loop: Header=BB184_12 Depth=1
	s_or_b32 exec_lo, exec_lo, s45
	v_lshlrev_b32_e32 v2, 24, v0
	s_delay_alu instid0(VALU_DEP_2) | instskip(NEXT) | instid1(VALU_DEP_3)
	v_lshlrev_b32_e32 v3, 20, v52
	v_lshl_add_u32 v1, v1, 23, 0x3c000000
	s_delay_alu instid0(VALU_DEP_3) | instskip(NEXT) | instid1(VALU_DEP_1)
	v_and_b32_e32 v2, 0x80000000, v2
	v_or3_b32 v52, v3, v2, v1
	s_delay_alu instid0(VALU_DEP_1)
	v_mov_b64_e32 v[90:91], v[52:53]
.LBB184_119:                            ;   in Loop: Header=BB184_12 Depth=1
	s_or_b32 exec_lo, exec_lo, s44
.LBB184_120:                            ;   in Loop: Header=BB184_12 Depth=1
	s_delay_alu instid0(SALU_CYCLE_1)
	s_or_b32 exec_lo, exec_lo, s43
.LBB184_121:                            ;   in Loop: Header=BB184_12 Depth=1
	s_delay_alu instid0(SALU_CYCLE_1) | instskip(SKIP_2) | instid1(VALU_DEP_1)
	s_or_b32 exec_lo, exec_lo, s42
	v_lshrrev_b16 v1, 8, v0
	s_mov_b32 s42, exec_lo
	v_cmpx_ne_u16_e32 0, v1
	s_cbranch_execz .LBB184_129
; %bb.122:                              ;   in Loop: Header=BB184_12 Depth=1
	v_mov_b64_e32 v[88:89], 0x8000000000000000
	s_mov_b32 s43, exec_lo
	v_cmpx_ne_u16_e32 0x80, v1
	s_cbranch_execz .LBB184_128
; %bb.123:                              ;   in Loop: Header=BB184_12 Depth=1
	v_and_b32_e32 v1, 0xffff, v1
	v_mov_b64_e32 v[88:89], 0x7f80000100000000
	s_mov_b32 s44, exec_lo
	s_delay_alu instid0(VALU_DEP_2) | instskip(NEXT) | instid1(VALU_DEP_1)
	v_and_b32_e32 v2, 0x7f, v1
	v_cmpx_ne_u32_e32 0x7f, v2
	s_cbranch_execz .LBB184_127
; %bb.124:                              ;   in Loop: Header=BB184_12 Depth=1
	v_dual_lshrrev_b32 v1, 3, v2 :: v_dual_bitop2_b32 v52, 7, v1 bitop3:0x40
	s_mov_b32 s45, exec_lo
	v_cmpx_gt_u32_e32 8, v2
; %bb.125:                              ;   in Loop: Header=BB184_12 Depth=1
	s_delay_alu instid0(VALU_DEP_2) | instskip(NEXT) | instid1(VALU_DEP_1)
	v_clz_i32_u32_e32 v1, v52
	v_min_u32_e32 v1, 32, v1
	s_delay_alu instid0(VALU_DEP_1) | instskip(NEXT) | instid1(VALU_DEP_1)
	v_subrev_nc_u32_e32 v2, 28, v1
	v_lshlrev_b64_e32 v[2:3], v2, v[52:53]
	s_delay_alu instid0(VALU_DEP_1)
	v_dual_sub_nc_u32 v1, 29, v1 :: v_dual_bitop2_b32 v52, 7, v2 bitop3:0x40
; %bb.126:                              ;   in Loop: Header=BB184_12 Depth=1
	s_or_b32 exec_lo, exec_lo, s45
	v_dual_lshlrev_b32 v0, 16, v0 :: v_dual_mov_b32 v88, v53
	s_delay_alu instid0(VALU_DEP_2) | instskip(NEXT) | instid1(VALU_DEP_3)
	v_lshlrev_b32_e32 v2, 20, v52
	v_lshl_add_u32 v1, v1, 23, 0x3c000000
	s_delay_alu instid0(VALU_DEP_3) | instskip(NEXT) | instid1(VALU_DEP_1)
	v_and_b32_e32 v0, 0x80000000, v0
	v_or3_b32 v89, v2, v0, v1
.LBB184_127:                            ;   in Loop: Header=BB184_12 Depth=1
	s_or_b32 exec_lo, exec_lo, s44
.LBB184_128:                            ;   in Loop: Header=BB184_12 Depth=1
	s_delay_alu instid0(SALU_CYCLE_1)
	s_or_b32 exec_lo, exec_lo, s43
.LBB184_129:                            ;   in Loop: Header=BB184_12 Depth=1
	s_delay_alu instid0(SALU_CYCLE_1)
	s_or_b32 exec_lo, exec_lo, s42
	global_load_u16 v0, v[70:71], off offset:268
	v_mov_b64_e32 v[92:93], 0
	v_mov_b64_e32 v[94:95], 0
	s_mov_b32 s42, exec_lo
	s_wait_loadcnt 0x0
	v_and_b32_e32 v1, 0xff, v0
	v_and_b32_e32 v0, 0xffff, v0
	s_wait_xcnt 0x0
	s_delay_alu instid0(VALU_DEP_2)
	v_cmpx_ne_u16_e32 0, v1
	s_cbranch_execz .LBB184_137
; %bb.130:                              ;   in Loop: Header=BB184_12 Depth=1
	v_mov_b64_e32 v[94:95], 0x80000000
	v_and_b32_e32 v1, 0xff, v0
	s_mov_b32 s43, exec_lo
	s_delay_alu instid0(VALU_DEP_1)
	v_cmpx_ne_u16_e32 0x80, v1
	s_cbranch_execz .LBB184_136
; %bb.131:                              ;   in Loop: Header=BB184_12 Depth=1
	v_mov_b64_e32 v[94:95], 0x7f800001
	v_and_b32_e32 v2, 0x7f, v0
	s_mov_b32 s44, exec_lo
	s_delay_alu instid0(VALU_DEP_1)
	v_cmpx_ne_u32_e32 0x7f, v2
	s_cbranch_execz .LBB184_135
; %bb.132:                              ;   in Loop: Header=BB184_12 Depth=1
	v_dual_lshrrev_b32 v1, 3, v2 :: v_dual_bitop2_b32 v52, 7, v0 bitop3:0x40
	s_mov_b32 s45, exec_lo
	v_cmpx_gt_u32_e32 8, v2
; %bb.133:                              ;   in Loop: Header=BB184_12 Depth=1
	s_delay_alu instid0(VALU_DEP_2) | instskip(NEXT) | instid1(VALU_DEP_1)
	v_clz_i32_u32_e32 v1, v52
	v_min_u32_e32 v1, 32, v1
	s_delay_alu instid0(VALU_DEP_1) | instskip(NEXT) | instid1(VALU_DEP_1)
	v_subrev_nc_u32_e32 v2, 28, v1
	v_lshlrev_b64_e32 v[2:3], v2, v[52:53]
	s_delay_alu instid0(VALU_DEP_1)
	v_dual_sub_nc_u32 v1, 29, v1 :: v_dual_bitop2_b32 v52, 7, v2 bitop3:0x40
; %bb.134:                              ;   in Loop: Header=BB184_12 Depth=1
	s_or_b32 exec_lo, exec_lo, s45
	v_lshlrev_b32_e32 v2, 24, v0
	s_delay_alu instid0(VALU_DEP_2) | instskip(NEXT) | instid1(VALU_DEP_3)
	v_lshlrev_b32_e32 v3, 20, v52
	v_lshl_add_u32 v1, v1, 23, 0x3c000000
	s_delay_alu instid0(VALU_DEP_3) | instskip(NEXT) | instid1(VALU_DEP_1)
	v_and_b32_e32 v2, 0x80000000, v2
	v_or3_b32 v52, v3, v2, v1
	s_delay_alu instid0(VALU_DEP_1)
	v_mov_b64_e32 v[94:95], v[52:53]
.LBB184_135:                            ;   in Loop: Header=BB184_12 Depth=1
	s_or_b32 exec_lo, exec_lo, s44
.LBB184_136:                            ;   in Loop: Header=BB184_12 Depth=1
	s_delay_alu instid0(SALU_CYCLE_1)
	s_or_b32 exec_lo, exec_lo, s43
.LBB184_137:                            ;   in Loop: Header=BB184_12 Depth=1
	s_delay_alu instid0(SALU_CYCLE_1) | instskip(SKIP_2) | instid1(VALU_DEP_1)
	s_or_b32 exec_lo, exec_lo, s42
	v_lshrrev_b16 v1, 8, v0
	s_mov_b32 s42, exec_lo
	v_cmpx_ne_u16_e32 0, v1
	s_cbranch_execz .LBB184_145
; %bb.138:                              ;   in Loop: Header=BB184_12 Depth=1
	v_mov_b64_e32 v[92:93], 0x8000000000000000
	s_mov_b32 s43, exec_lo
	v_cmpx_ne_u16_e32 0x80, v1
	s_cbranch_execz .LBB184_144
; %bb.139:                              ;   in Loop: Header=BB184_12 Depth=1
	v_and_b32_e32 v1, 0xffff, v1
	v_mov_b64_e32 v[92:93], 0x7f80000100000000
	s_mov_b32 s44, exec_lo
	s_delay_alu instid0(VALU_DEP_2) | instskip(NEXT) | instid1(VALU_DEP_1)
	v_and_b32_e32 v2, 0x7f, v1
	v_cmpx_ne_u32_e32 0x7f, v2
	s_cbranch_execz .LBB184_143
; %bb.140:                              ;   in Loop: Header=BB184_12 Depth=1
	v_dual_lshrrev_b32 v1, 3, v2 :: v_dual_bitop2_b32 v52, 7, v1 bitop3:0x40
	s_mov_b32 s45, exec_lo
	v_cmpx_gt_u32_e32 8, v2
; %bb.141:                              ;   in Loop: Header=BB184_12 Depth=1
	s_delay_alu instid0(VALU_DEP_2) | instskip(NEXT) | instid1(VALU_DEP_1)
	v_clz_i32_u32_e32 v1, v52
	v_min_u32_e32 v1, 32, v1
	s_delay_alu instid0(VALU_DEP_1) | instskip(NEXT) | instid1(VALU_DEP_1)
	v_subrev_nc_u32_e32 v2, 28, v1
	v_lshlrev_b64_e32 v[2:3], v2, v[52:53]
	s_delay_alu instid0(VALU_DEP_1)
	v_dual_sub_nc_u32 v1, 29, v1 :: v_dual_bitop2_b32 v52, 7, v2 bitop3:0x40
; %bb.142:                              ;   in Loop: Header=BB184_12 Depth=1
	s_or_b32 exec_lo, exec_lo, s45
	v_dual_lshlrev_b32 v0, 16, v0 :: v_dual_mov_b32 v92, v53
	s_delay_alu instid0(VALU_DEP_2) | instskip(NEXT) | instid1(VALU_DEP_3)
	v_lshlrev_b32_e32 v2, 20, v52
	v_lshl_add_u32 v1, v1, 23, 0x3c000000
	s_delay_alu instid0(VALU_DEP_3) | instskip(NEXT) | instid1(VALU_DEP_1)
	v_and_b32_e32 v0, 0x80000000, v0
	v_or3_b32 v93, v2, v0, v1
.LBB184_143:                            ;   in Loop: Header=BB184_12 Depth=1
	s_or_b32 exec_lo, exec_lo, s44
.LBB184_144:                            ;   in Loop: Header=BB184_12 Depth=1
	s_delay_alu instid0(SALU_CYCLE_1)
	s_or_b32 exec_lo, exec_lo, s43
.LBB184_145:                            ;   in Loop: Header=BB184_12 Depth=1
	s_delay_alu instid0(SALU_CYCLE_1)
	s_or_b32 exec_lo, exec_lo, s42
	global_load_u16 v0, v[70:71], off offset:512
	v_mov_b64_e32 v[96:97], 0
	v_mov_b64_e32 v[98:99], 0
	s_mov_b32 s42, exec_lo
	s_wait_loadcnt 0x0
	v_and_b32_e32 v1, 0xff, v0
	v_and_b32_e32 v0, 0xffff, v0
	s_wait_xcnt 0x0
	s_delay_alu instid0(VALU_DEP_2)
	v_cmpx_ne_u16_e32 0, v1
	s_cbranch_execz .LBB184_153
; %bb.146:                              ;   in Loop: Header=BB184_12 Depth=1
	v_mov_b64_e32 v[98:99], 0x80000000
	v_and_b32_e32 v1, 0xff, v0
	s_mov_b32 s43, exec_lo
	s_delay_alu instid0(VALU_DEP_1)
	v_cmpx_ne_u16_e32 0x80, v1
	s_cbranch_execz .LBB184_152
; %bb.147:                              ;   in Loop: Header=BB184_12 Depth=1
	v_mov_b64_e32 v[98:99], 0x7f800001
	v_and_b32_e32 v2, 0x7f, v0
	s_mov_b32 s44, exec_lo
	s_delay_alu instid0(VALU_DEP_1)
	v_cmpx_ne_u32_e32 0x7f, v2
	s_cbranch_execz .LBB184_151
; %bb.148:                              ;   in Loop: Header=BB184_12 Depth=1
	v_dual_lshrrev_b32 v1, 3, v2 :: v_dual_bitop2_b32 v52, 7, v0 bitop3:0x40
	s_mov_b32 s45, exec_lo
	v_cmpx_gt_u32_e32 8, v2
; %bb.149:                              ;   in Loop: Header=BB184_12 Depth=1
	s_delay_alu instid0(VALU_DEP_2) | instskip(NEXT) | instid1(VALU_DEP_1)
	v_clz_i32_u32_e32 v1, v52
	v_min_u32_e32 v1, 32, v1
	s_delay_alu instid0(VALU_DEP_1) | instskip(NEXT) | instid1(VALU_DEP_1)
	v_subrev_nc_u32_e32 v2, 28, v1
	v_lshlrev_b64_e32 v[2:3], v2, v[52:53]
	s_delay_alu instid0(VALU_DEP_1)
	v_dual_sub_nc_u32 v1, 29, v1 :: v_dual_bitop2_b32 v52, 7, v2 bitop3:0x40
; %bb.150:                              ;   in Loop: Header=BB184_12 Depth=1
	s_or_b32 exec_lo, exec_lo, s45
	v_lshlrev_b32_e32 v2, 24, v0
	s_delay_alu instid0(VALU_DEP_2) | instskip(NEXT) | instid1(VALU_DEP_3)
	v_lshlrev_b32_e32 v3, 20, v52
	v_lshl_add_u32 v1, v1, 23, 0x3c000000
	s_delay_alu instid0(VALU_DEP_3) | instskip(NEXT) | instid1(VALU_DEP_1)
	v_and_b32_e32 v2, 0x80000000, v2
	v_or3_b32 v52, v3, v2, v1
	s_delay_alu instid0(VALU_DEP_1)
	v_mov_b64_e32 v[98:99], v[52:53]
.LBB184_151:                            ;   in Loop: Header=BB184_12 Depth=1
	s_or_b32 exec_lo, exec_lo, s44
.LBB184_152:                            ;   in Loop: Header=BB184_12 Depth=1
	s_delay_alu instid0(SALU_CYCLE_1)
	s_or_b32 exec_lo, exec_lo, s43
.LBB184_153:                            ;   in Loop: Header=BB184_12 Depth=1
	s_delay_alu instid0(SALU_CYCLE_1) | instskip(SKIP_2) | instid1(VALU_DEP_1)
	s_or_b32 exec_lo, exec_lo, s42
	v_lshrrev_b16 v1, 8, v0
	s_mov_b32 s42, exec_lo
	v_cmpx_ne_u16_e32 0, v1
	s_cbranch_execz .LBB184_161
; %bb.154:                              ;   in Loop: Header=BB184_12 Depth=1
	v_mov_b64_e32 v[96:97], 0x8000000000000000
	s_mov_b32 s43, exec_lo
	v_cmpx_ne_u16_e32 0x80, v1
	s_cbranch_execz .LBB184_160
; %bb.155:                              ;   in Loop: Header=BB184_12 Depth=1
	v_and_b32_e32 v1, 0xffff, v1
	v_mov_b64_e32 v[96:97], 0x7f80000100000000
	s_mov_b32 s44, exec_lo
	s_delay_alu instid0(VALU_DEP_2) | instskip(NEXT) | instid1(VALU_DEP_1)
	v_and_b32_e32 v2, 0x7f, v1
	v_cmpx_ne_u32_e32 0x7f, v2
	s_cbranch_execz .LBB184_159
; %bb.156:                              ;   in Loop: Header=BB184_12 Depth=1
	v_dual_lshrrev_b32 v1, 3, v2 :: v_dual_bitop2_b32 v52, 7, v1 bitop3:0x40
	s_mov_b32 s45, exec_lo
	v_cmpx_gt_u32_e32 8, v2
; %bb.157:                              ;   in Loop: Header=BB184_12 Depth=1
	s_delay_alu instid0(VALU_DEP_2) | instskip(NEXT) | instid1(VALU_DEP_1)
	v_clz_i32_u32_e32 v1, v52
	v_min_u32_e32 v1, 32, v1
	s_delay_alu instid0(VALU_DEP_1) | instskip(NEXT) | instid1(VALU_DEP_1)
	v_subrev_nc_u32_e32 v2, 28, v1
	v_lshlrev_b64_e32 v[2:3], v2, v[52:53]
	s_delay_alu instid0(VALU_DEP_1)
	v_dual_sub_nc_u32 v1, 29, v1 :: v_dual_bitop2_b32 v52, 7, v2 bitop3:0x40
; %bb.158:                              ;   in Loop: Header=BB184_12 Depth=1
	s_or_b32 exec_lo, exec_lo, s45
	v_dual_lshlrev_b32 v0, 16, v0 :: v_dual_mov_b32 v96, v53
	s_delay_alu instid0(VALU_DEP_2) | instskip(NEXT) | instid1(VALU_DEP_3)
	v_lshlrev_b32_e32 v2, 20, v52
	v_lshl_add_u32 v1, v1, 23, 0x3c000000
	s_delay_alu instid0(VALU_DEP_3) | instskip(NEXT) | instid1(VALU_DEP_1)
	v_and_b32_e32 v0, 0x80000000, v0
	v_or3_b32 v97, v2, v0, v1
.LBB184_159:                            ;   in Loop: Header=BB184_12 Depth=1
	s_or_b32 exec_lo, exec_lo, s44
.LBB184_160:                            ;   in Loop: Header=BB184_12 Depth=1
	s_delay_alu instid0(SALU_CYCLE_1)
	s_or_b32 exec_lo, exec_lo, s43
.LBB184_161:                            ;   in Loop: Header=BB184_12 Depth=1
	s_delay_alu instid0(SALU_CYCLE_1)
	s_or_b32 exec_lo, exec_lo, s42
	global_load_u16 v0, v[70:71], off offset:516
	v_mov_b64_e32 v[100:101], 0
	v_mov_b64_e32 v[102:103], 0
	s_mov_b32 s42, exec_lo
	s_wait_loadcnt 0x0
	v_and_b32_e32 v1, 0xff, v0
	v_and_b32_e32 v0, 0xffff, v0
	s_wait_xcnt 0x0
	s_delay_alu instid0(VALU_DEP_2)
	v_cmpx_ne_u16_e32 0, v1
	s_cbranch_execz .LBB184_169
; %bb.162:                              ;   in Loop: Header=BB184_12 Depth=1
	v_mov_b64_e32 v[102:103], 0x80000000
	v_and_b32_e32 v1, 0xff, v0
	s_mov_b32 s43, exec_lo
	s_delay_alu instid0(VALU_DEP_1)
	v_cmpx_ne_u16_e32 0x80, v1
	s_cbranch_execz .LBB184_168
; %bb.163:                              ;   in Loop: Header=BB184_12 Depth=1
	v_mov_b64_e32 v[102:103], 0x7f800001
	v_and_b32_e32 v2, 0x7f, v0
	s_mov_b32 s44, exec_lo
	s_delay_alu instid0(VALU_DEP_1)
	v_cmpx_ne_u32_e32 0x7f, v2
	s_cbranch_execz .LBB184_167
; %bb.164:                              ;   in Loop: Header=BB184_12 Depth=1
	v_dual_lshrrev_b32 v1, 3, v2 :: v_dual_bitop2_b32 v52, 7, v0 bitop3:0x40
	s_mov_b32 s45, exec_lo
	v_cmpx_gt_u32_e32 8, v2
; %bb.165:                              ;   in Loop: Header=BB184_12 Depth=1
	s_delay_alu instid0(VALU_DEP_2) | instskip(NEXT) | instid1(VALU_DEP_1)
	v_clz_i32_u32_e32 v1, v52
	v_min_u32_e32 v1, 32, v1
	s_delay_alu instid0(VALU_DEP_1) | instskip(NEXT) | instid1(VALU_DEP_1)
	v_subrev_nc_u32_e32 v2, 28, v1
	v_lshlrev_b64_e32 v[2:3], v2, v[52:53]
	s_delay_alu instid0(VALU_DEP_1)
	v_dual_sub_nc_u32 v1, 29, v1 :: v_dual_bitop2_b32 v52, 7, v2 bitop3:0x40
; %bb.166:                              ;   in Loop: Header=BB184_12 Depth=1
	s_or_b32 exec_lo, exec_lo, s45
	v_lshlrev_b32_e32 v2, 24, v0
	s_delay_alu instid0(VALU_DEP_2) | instskip(NEXT) | instid1(VALU_DEP_3)
	v_lshlrev_b32_e32 v3, 20, v52
	v_lshl_add_u32 v1, v1, 23, 0x3c000000
	s_delay_alu instid0(VALU_DEP_3) | instskip(NEXT) | instid1(VALU_DEP_1)
	v_and_b32_e32 v2, 0x80000000, v2
	v_or3_b32 v52, v3, v2, v1
	s_delay_alu instid0(VALU_DEP_1)
	v_mov_b64_e32 v[102:103], v[52:53]
.LBB184_167:                            ;   in Loop: Header=BB184_12 Depth=1
	s_or_b32 exec_lo, exec_lo, s44
.LBB184_168:                            ;   in Loop: Header=BB184_12 Depth=1
	s_delay_alu instid0(SALU_CYCLE_1)
	s_or_b32 exec_lo, exec_lo, s43
.LBB184_169:                            ;   in Loop: Header=BB184_12 Depth=1
	s_delay_alu instid0(SALU_CYCLE_1) | instskip(SKIP_2) | instid1(VALU_DEP_1)
	s_or_b32 exec_lo, exec_lo, s42
	v_lshrrev_b16 v1, 8, v0
	s_mov_b32 s42, exec_lo
	v_cmpx_ne_u16_e32 0, v1
	s_cbranch_execz .LBB184_177
; %bb.170:                              ;   in Loop: Header=BB184_12 Depth=1
	v_mov_b64_e32 v[100:101], 0x8000000000000000
	s_mov_b32 s43, exec_lo
	v_cmpx_ne_u16_e32 0x80, v1
	s_cbranch_execz .LBB184_176
; %bb.171:                              ;   in Loop: Header=BB184_12 Depth=1
	v_and_b32_e32 v1, 0xffff, v1
	v_mov_b64_e32 v[100:101], 0x7f80000100000000
	s_mov_b32 s44, exec_lo
	s_delay_alu instid0(VALU_DEP_2) | instskip(NEXT) | instid1(VALU_DEP_1)
	v_and_b32_e32 v2, 0x7f, v1
	v_cmpx_ne_u32_e32 0x7f, v2
	s_cbranch_execz .LBB184_175
; %bb.172:                              ;   in Loop: Header=BB184_12 Depth=1
	v_dual_lshrrev_b32 v1, 3, v2 :: v_dual_bitop2_b32 v52, 7, v1 bitop3:0x40
	s_mov_b32 s45, exec_lo
	v_cmpx_gt_u32_e32 8, v2
; %bb.173:                              ;   in Loop: Header=BB184_12 Depth=1
	s_delay_alu instid0(VALU_DEP_2) | instskip(NEXT) | instid1(VALU_DEP_1)
	v_clz_i32_u32_e32 v1, v52
	v_min_u32_e32 v1, 32, v1
	s_delay_alu instid0(VALU_DEP_1) | instskip(NEXT) | instid1(VALU_DEP_1)
	v_subrev_nc_u32_e32 v2, 28, v1
	v_lshlrev_b64_e32 v[2:3], v2, v[52:53]
	s_delay_alu instid0(VALU_DEP_1)
	v_dual_sub_nc_u32 v1, 29, v1 :: v_dual_bitop2_b32 v52, 7, v2 bitop3:0x40
; %bb.174:                              ;   in Loop: Header=BB184_12 Depth=1
	s_or_b32 exec_lo, exec_lo, s45
	v_dual_lshlrev_b32 v0, 16, v0 :: v_dual_mov_b32 v100, v53
	s_delay_alu instid0(VALU_DEP_2) | instskip(NEXT) | instid1(VALU_DEP_3)
	v_lshlrev_b32_e32 v2, 20, v52
	v_lshl_add_u32 v1, v1, 23, 0x3c000000
	s_delay_alu instid0(VALU_DEP_3) | instskip(NEXT) | instid1(VALU_DEP_1)
	v_and_b32_e32 v0, 0x80000000, v0
	v_or3_b32 v101, v2, v0, v1
.LBB184_175:                            ;   in Loop: Header=BB184_12 Depth=1
	s_or_b32 exec_lo, exec_lo, s44
.LBB184_176:                            ;   in Loop: Header=BB184_12 Depth=1
	s_delay_alu instid0(SALU_CYCLE_1)
	s_or_b32 exec_lo, exec_lo, s43
.LBB184_177:                            ;   in Loop: Header=BB184_12 Depth=1
	s_delay_alu instid0(SALU_CYCLE_1)
	s_or_b32 exec_lo, exec_lo, s42
	global_load_u16 v0, v[70:71], off offset:520
	v_mov_b64_e32 v[104:105], 0
	v_mov_b64_e32 v[106:107], 0
	s_mov_b32 s42, exec_lo
	s_wait_loadcnt 0x0
	v_and_b32_e32 v1, 0xff, v0
	v_and_b32_e32 v0, 0xffff, v0
	s_wait_xcnt 0x0
	s_delay_alu instid0(VALU_DEP_2)
	v_cmpx_ne_u16_e32 0, v1
	s_cbranch_execz .LBB184_185
; %bb.178:                              ;   in Loop: Header=BB184_12 Depth=1
	v_mov_b64_e32 v[106:107], 0x80000000
	v_and_b32_e32 v1, 0xff, v0
	s_mov_b32 s43, exec_lo
	s_delay_alu instid0(VALU_DEP_1)
	v_cmpx_ne_u16_e32 0x80, v1
	s_cbranch_execz .LBB184_184
; %bb.179:                              ;   in Loop: Header=BB184_12 Depth=1
	v_mov_b64_e32 v[106:107], 0x7f800001
	v_and_b32_e32 v2, 0x7f, v0
	s_mov_b32 s44, exec_lo
	s_delay_alu instid0(VALU_DEP_1)
	v_cmpx_ne_u32_e32 0x7f, v2
	s_cbranch_execz .LBB184_183
; %bb.180:                              ;   in Loop: Header=BB184_12 Depth=1
	v_dual_lshrrev_b32 v1, 3, v2 :: v_dual_bitop2_b32 v52, 7, v0 bitop3:0x40
	s_mov_b32 s45, exec_lo
	v_cmpx_gt_u32_e32 8, v2
; %bb.181:                              ;   in Loop: Header=BB184_12 Depth=1
	s_delay_alu instid0(VALU_DEP_2) | instskip(NEXT) | instid1(VALU_DEP_1)
	v_clz_i32_u32_e32 v1, v52
	v_min_u32_e32 v1, 32, v1
	s_delay_alu instid0(VALU_DEP_1) | instskip(NEXT) | instid1(VALU_DEP_1)
	v_subrev_nc_u32_e32 v2, 28, v1
	v_lshlrev_b64_e32 v[2:3], v2, v[52:53]
	s_delay_alu instid0(VALU_DEP_1)
	v_dual_sub_nc_u32 v1, 29, v1 :: v_dual_bitop2_b32 v52, 7, v2 bitop3:0x40
; %bb.182:                              ;   in Loop: Header=BB184_12 Depth=1
	s_or_b32 exec_lo, exec_lo, s45
	v_lshlrev_b32_e32 v2, 24, v0
	s_delay_alu instid0(VALU_DEP_2) | instskip(NEXT) | instid1(VALU_DEP_3)
	v_lshlrev_b32_e32 v3, 20, v52
	v_lshl_add_u32 v1, v1, 23, 0x3c000000
	s_delay_alu instid0(VALU_DEP_3) | instskip(NEXT) | instid1(VALU_DEP_1)
	v_and_b32_e32 v2, 0x80000000, v2
	v_or3_b32 v52, v3, v2, v1
	s_delay_alu instid0(VALU_DEP_1)
	v_mov_b64_e32 v[106:107], v[52:53]
.LBB184_183:                            ;   in Loop: Header=BB184_12 Depth=1
	s_or_b32 exec_lo, exec_lo, s44
.LBB184_184:                            ;   in Loop: Header=BB184_12 Depth=1
	s_delay_alu instid0(SALU_CYCLE_1)
	s_or_b32 exec_lo, exec_lo, s43
.LBB184_185:                            ;   in Loop: Header=BB184_12 Depth=1
	s_delay_alu instid0(SALU_CYCLE_1) | instskip(SKIP_2) | instid1(VALU_DEP_1)
	s_or_b32 exec_lo, exec_lo, s42
	v_lshrrev_b16 v1, 8, v0
	s_mov_b32 s42, exec_lo
	v_cmpx_ne_u16_e32 0, v1
	s_cbranch_execz .LBB184_193
; %bb.186:                              ;   in Loop: Header=BB184_12 Depth=1
	v_mov_b64_e32 v[104:105], 0x8000000000000000
	s_mov_b32 s43, exec_lo
	v_cmpx_ne_u16_e32 0x80, v1
	s_cbranch_execz .LBB184_192
; %bb.187:                              ;   in Loop: Header=BB184_12 Depth=1
	v_and_b32_e32 v1, 0xffff, v1
	v_mov_b64_e32 v[104:105], 0x7f80000100000000
	s_mov_b32 s44, exec_lo
	s_delay_alu instid0(VALU_DEP_2) | instskip(NEXT) | instid1(VALU_DEP_1)
	v_and_b32_e32 v2, 0x7f, v1
	v_cmpx_ne_u32_e32 0x7f, v2
	s_cbranch_execz .LBB184_191
; %bb.188:                              ;   in Loop: Header=BB184_12 Depth=1
	v_dual_lshrrev_b32 v1, 3, v2 :: v_dual_bitop2_b32 v52, 7, v1 bitop3:0x40
	s_mov_b32 s45, exec_lo
	v_cmpx_gt_u32_e32 8, v2
; %bb.189:                              ;   in Loop: Header=BB184_12 Depth=1
	s_delay_alu instid0(VALU_DEP_2) | instskip(NEXT) | instid1(VALU_DEP_1)
	v_clz_i32_u32_e32 v1, v52
	v_min_u32_e32 v1, 32, v1
	s_delay_alu instid0(VALU_DEP_1) | instskip(NEXT) | instid1(VALU_DEP_1)
	v_subrev_nc_u32_e32 v2, 28, v1
	v_lshlrev_b64_e32 v[2:3], v2, v[52:53]
	s_delay_alu instid0(VALU_DEP_1)
	v_dual_sub_nc_u32 v1, 29, v1 :: v_dual_bitop2_b32 v52, 7, v2 bitop3:0x40
; %bb.190:                              ;   in Loop: Header=BB184_12 Depth=1
	s_or_b32 exec_lo, exec_lo, s45
	v_dual_lshlrev_b32 v0, 16, v0 :: v_dual_mov_b32 v104, v53
	s_delay_alu instid0(VALU_DEP_2) | instskip(NEXT) | instid1(VALU_DEP_3)
	v_lshlrev_b32_e32 v2, 20, v52
	v_lshl_add_u32 v1, v1, 23, 0x3c000000
	s_delay_alu instid0(VALU_DEP_3) | instskip(NEXT) | instid1(VALU_DEP_1)
	v_and_b32_e32 v0, 0x80000000, v0
	v_or3_b32 v105, v2, v0, v1
.LBB184_191:                            ;   in Loop: Header=BB184_12 Depth=1
	s_or_b32 exec_lo, exec_lo, s44
.LBB184_192:                            ;   in Loop: Header=BB184_12 Depth=1
	s_delay_alu instid0(SALU_CYCLE_1)
	s_or_b32 exec_lo, exec_lo, s43
.LBB184_193:                            ;   in Loop: Header=BB184_12 Depth=1
	s_delay_alu instid0(SALU_CYCLE_1)
	s_or_b32 exec_lo, exec_lo, s42
	global_load_u16 v0, v[70:71], off offset:524
	v_mov_b64_e32 v[108:109], 0
	v_mov_b64_e32 v[110:111], 0
	s_mov_b32 s42, exec_lo
	s_wait_loadcnt 0x0
	v_and_b32_e32 v1, 0xff, v0
	v_and_b32_e32 v0, 0xffff, v0
	s_wait_xcnt 0x0
	s_delay_alu instid0(VALU_DEP_2)
	v_cmpx_ne_u16_e32 0, v1
	s_cbranch_execz .LBB184_201
; %bb.194:                              ;   in Loop: Header=BB184_12 Depth=1
	v_mov_b64_e32 v[110:111], 0x80000000
	v_and_b32_e32 v1, 0xff, v0
	s_mov_b32 s43, exec_lo
	s_delay_alu instid0(VALU_DEP_1)
	v_cmpx_ne_u16_e32 0x80, v1
	s_cbranch_execz .LBB184_200
; %bb.195:                              ;   in Loop: Header=BB184_12 Depth=1
	v_mov_b64_e32 v[110:111], 0x7f800001
	v_and_b32_e32 v2, 0x7f, v0
	s_mov_b32 s44, exec_lo
	s_delay_alu instid0(VALU_DEP_1)
	v_cmpx_ne_u32_e32 0x7f, v2
	s_cbranch_execz .LBB184_199
; %bb.196:                              ;   in Loop: Header=BB184_12 Depth=1
	v_dual_lshrrev_b32 v1, 3, v2 :: v_dual_bitop2_b32 v52, 7, v0 bitop3:0x40
	s_mov_b32 s45, exec_lo
	v_cmpx_gt_u32_e32 8, v2
; %bb.197:                              ;   in Loop: Header=BB184_12 Depth=1
	s_delay_alu instid0(VALU_DEP_2) | instskip(NEXT) | instid1(VALU_DEP_1)
	v_clz_i32_u32_e32 v1, v52
	v_min_u32_e32 v1, 32, v1
	s_delay_alu instid0(VALU_DEP_1) | instskip(NEXT) | instid1(VALU_DEP_1)
	v_subrev_nc_u32_e32 v2, 28, v1
	v_lshlrev_b64_e32 v[2:3], v2, v[52:53]
	s_delay_alu instid0(VALU_DEP_1)
	v_dual_sub_nc_u32 v1, 29, v1 :: v_dual_bitop2_b32 v52, 7, v2 bitop3:0x40
; %bb.198:                              ;   in Loop: Header=BB184_12 Depth=1
	s_or_b32 exec_lo, exec_lo, s45
	v_lshlrev_b32_e32 v2, 24, v0
	s_delay_alu instid0(VALU_DEP_2) | instskip(NEXT) | instid1(VALU_DEP_3)
	v_lshlrev_b32_e32 v3, 20, v52
	v_lshl_add_u32 v1, v1, 23, 0x3c000000
	s_delay_alu instid0(VALU_DEP_3) | instskip(NEXT) | instid1(VALU_DEP_1)
	v_and_b32_e32 v2, 0x80000000, v2
	v_or3_b32 v52, v3, v2, v1
	s_delay_alu instid0(VALU_DEP_1)
	v_mov_b64_e32 v[110:111], v[52:53]
.LBB184_199:                            ;   in Loop: Header=BB184_12 Depth=1
	s_or_b32 exec_lo, exec_lo, s44
.LBB184_200:                            ;   in Loop: Header=BB184_12 Depth=1
	s_delay_alu instid0(SALU_CYCLE_1)
	s_or_b32 exec_lo, exec_lo, s43
.LBB184_201:                            ;   in Loop: Header=BB184_12 Depth=1
	s_delay_alu instid0(SALU_CYCLE_1) | instskip(SKIP_2) | instid1(VALU_DEP_1)
	s_or_b32 exec_lo, exec_lo, s42
	v_lshrrev_b16 v1, 8, v0
	s_mov_b32 s42, exec_lo
	v_cmpx_ne_u16_e32 0, v1
	s_cbranch_execz .LBB184_209
; %bb.202:                              ;   in Loop: Header=BB184_12 Depth=1
	v_mov_b64_e32 v[108:109], 0x8000000000000000
	s_mov_b32 s43, exec_lo
	v_cmpx_ne_u16_e32 0x80, v1
	s_cbranch_execz .LBB184_208
; %bb.203:                              ;   in Loop: Header=BB184_12 Depth=1
	v_and_b32_e32 v1, 0xffff, v1
	v_mov_b64_e32 v[108:109], 0x7f80000100000000
	s_mov_b32 s44, exec_lo
	s_delay_alu instid0(VALU_DEP_2) | instskip(NEXT) | instid1(VALU_DEP_1)
	v_and_b32_e32 v2, 0x7f, v1
	v_cmpx_ne_u32_e32 0x7f, v2
	s_cbranch_execz .LBB184_207
; %bb.204:                              ;   in Loop: Header=BB184_12 Depth=1
	v_dual_lshrrev_b32 v1, 3, v2 :: v_dual_bitop2_b32 v52, 7, v1 bitop3:0x40
	s_mov_b32 s45, exec_lo
	v_cmpx_gt_u32_e32 8, v2
; %bb.205:                              ;   in Loop: Header=BB184_12 Depth=1
	s_delay_alu instid0(VALU_DEP_2) | instskip(NEXT) | instid1(VALU_DEP_1)
	v_clz_i32_u32_e32 v1, v52
	v_min_u32_e32 v1, 32, v1
	s_delay_alu instid0(VALU_DEP_1) | instskip(NEXT) | instid1(VALU_DEP_1)
	v_subrev_nc_u32_e32 v2, 28, v1
	v_lshlrev_b64_e32 v[2:3], v2, v[52:53]
	s_delay_alu instid0(VALU_DEP_1)
	v_dual_sub_nc_u32 v1, 29, v1 :: v_dual_bitop2_b32 v52, 7, v2 bitop3:0x40
; %bb.206:                              ;   in Loop: Header=BB184_12 Depth=1
	s_or_b32 exec_lo, exec_lo, s45
	v_dual_lshlrev_b32 v0, 16, v0 :: v_dual_mov_b32 v108, v53
	s_delay_alu instid0(VALU_DEP_2) | instskip(NEXT) | instid1(VALU_DEP_3)
	v_lshlrev_b32_e32 v2, 20, v52
	v_lshl_add_u32 v1, v1, 23, 0x3c000000
	s_delay_alu instid0(VALU_DEP_3) | instskip(NEXT) | instid1(VALU_DEP_1)
	v_and_b32_e32 v0, 0x80000000, v0
	v_or3_b32 v109, v2, v0, v1
.LBB184_207:                            ;   in Loop: Header=BB184_12 Depth=1
	s_or_b32 exec_lo, exec_lo, s44
.LBB184_208:                            ;   in Loop: Header=BB184_12 Depth=1
	s_delay_alu instid0(SALU_CYCLE_1)
	s_or_b32 exec_lo, exec_lo, s43
.LBB184_209:                            ;   in Loop: Header=BB184_12 Depth=1
	s_delay_alu instid0(SALU_CYCLE_1)
	s_or_b32 exec_lo, exec_lo, s42
	global_load_u16 v0, v[70:71], off offset:768
	v_mov_b64_e32 v[112:113], 0
	v_mov_b64_e32 v[114:115], 0
	s_mov_b32 s42, exec_lo
	s_wait_loadcnt 0x0
	v_and_b32_e32 v1, 0xff, v0
	v_and_b32_e32 v0, 0xffff, v0
	s_wait_xcnt 0x0
	s_delay_alu instid0(VALU_DEP_2)
	v_cmpx_ne_u16_e32 0, v1
	s_cbranch_execz .LBB184_217
; %bb.210:                              ;   in Loop: Header=BB184_12 Depth=1
	v_mov_b64_e32 v[114:115], 0x80000000
	v_and_b32_e32 v1, 0xff, v0
	s_mov_b32 s43, exec_lo
	s_delay_alu instid0(VALU_DEP_1)
	v_cmpx_ne_u16_e32 0x80, v1
	s_cbranch_execz .LBB184_216
; %bb.211:                              ;   in Loop: Header=BB184_12 Depth=1
	v_mov_b64_e32 v[114:115], 0x7f800001
	v_and_b32_e32 v2, 0x7f, v0
	s_mov_b32 s44, exec_lo
	s_delay_alu instid0(VALU_DEP_1)
	v_cmpx_ne_u32_e32 0x7f, v2
	s_cbranch_execz .LBB184_215
; %bb.212:                              ;   in Loop: Header=BB184_12 Depth=1
	v_dual_lshrrev_b32 v1, 3, v2 :: v_dual_bitop2_b32 v52, 7, v0 bitop3:0x40
	s_mov_b32 s45, exec_lo
	v_cmpx_gt_u32_e32 8, v2
; %bb.213:                              ;   in Loop: Header=BB184_12 Depth=1
	s_delay_alu instid0(VALU_DEP_2) | instskip(NEXT) | instid1(VALU_DEP_1)
	v_clz_i32_u32_e32 v1, v52
	v_min_u32_e32 v1, 32, v1
	s_delay_alu instid0(VALU_DEP_1) | instskip(NEXT) | instid1(VALU_DEP_1)
	v_subrev_nc_u32_e32 v2, 28, v1
	v_lshlrev_b64_e32 v[2:3], v2, v[52:53]
	s_delay_alu instid0(VALU_DEP_1)
	v_dual_sub_nc_u32 v1, 29, v1 :: v_dual_bitop2_b32 v52, 7, v2 bitop3:0x40
; %bb.214:                              ;   in Loop: Header=BB184_12 Depth=1
	s_or_b32 exec_lo, exec_lo, s45
	v_lshlrev_b32_e32 v2, 24, v0
	s_delay_alu instid0(VALU_DEP_2) | instskip(NEXT) | instid1(VALU_DEP_3)
	v_lshlrev_b32_e32 v3, 20, v52
	v_lshl_add_u32 v1, v1, 23, 0x3c000000
	s_delay_alu instid0(VALU_DEP_3) | instskip(NEXT) | instid1(VALU_DEP_1)
	v_and_b32_e32 v2, 0x80000000, v2
	v_or3_b32 v52, v3, v2, v1
	s_delay_alu instid0(VALU_DEP_1)
	v_mov_b64_e32 v[114:115], v[52:53]
.LBB184_215:                            ;   in Loop: Header=BB184_12 Depth=1
	s_or_b32 exec_lo, exec_lo, s44
.LBB184_216:                            ;   in Loop: Header=BB184_12 Depth=1
	s_delay_alu instid0(SALU_CYCLE_1)
	s_or_b32 exec_lo, exec_lo, s43
.LBB184_217:                            ;   in Loop: Header=BB184_12 Depth=1
	s_delay_alu instid0(SALU_CYCLE_1) | instskip(SKIP_2) | instid1(VALU_DEP_1)
	s_or_b32 exec_lo, exec_lo, s42
	v_lshrrev_b16 v1, 8, v0
	s_mov_b32 s42, exec_lo
	v_cmpx_ne_u16_e32 0, v1
	s_cbranch_execz .LBB184_225
; %bb.218:                              ;   in Loop: Header=BB184_12 Depth=1
	v_mov_b64_e32 v[112:113], 0x8000000000000000
	s_mov_b32 s43, exec_lo
	v_cmpx_ne_u16_e32 0x80, v1
	s_cbranch_execz .LBB184_224
; %bb.219:                              ;   in Loop: Header=BB184_12 Depth=1
	v_and_b32_e32 v1, 0xffff, v1
	v_mov_b64_e32 v[112:113], 0x7f80000100000000
	s_mov_b32 s44, exec_lo
	s_delay_alu instid0(VALU_DEP_2) | instskip(NEXT) | instid1(VALU_DEP_1)
	v_and_b32_e32 v2, 0x7f, v1
	v_cmpx_ne_u32_e32 0x7f, v2
	s_cbranch_execz .LBB184_223
; %bb.220:                              ;   in Loop: Header=BB184_12 Depth=1
	v_dual_lshrrev_b32 v1, 3, v2 :: v_dual_bitop2_b32 v52, 7, v1 bitop3:0x40
	s_mov_b32 s45, exec_lo
	v_cmpx_gt_u32_e32 8, v2
; %bb.221:                              ;   in Loop: Header=BB184_12 Depth=1
	s_delay_alu instid0(VALU_DEP_2) | instskip(NEXT) | instid1(VALU_DEP_1)
	v_clz_i32_u32_e32 v1, v52
	v_min_u32_e32 v1, 32, v1
	s_delay_alu instid0(VALU_DEP_1) | instskip(NEXT) | instid1(VALU_DEP_1)
	v_subrev_nc_u32_e32 v2, 28, v1
	v_lshlrev_b64_e32 v[2:3], v2, v[52:53]
	s_delay_alu instid0(VALU_DEP_1)
	v_dual_sub_nc_u32 v1, 29, v1 :: v_dual_bitop2_b32 v52, 7, v2 bitop3:0x40
; %bb.222:                              ;   in Loop: Header=BB184_12 Depth=1
	s_or_b32 exec_lo, exec_lo, s45
	v_dual_lshlrev_b32 v0, 16, v0 :: v_dual_mov_b32 v112, v53
	s_delay_alu instid0(VALU_DEP_2) | instskip(NEXT) | instid1(VALU_DEP_3)
	v_lshlrev_b32_e32 v2, 20, v52
	v_lshl_add_u32 v1, v1, 23, 0x3c000000
	s_delay_alu instid0(VALU_DEP_3) | instskip(NEXT) | instid1(VALU_DEP_1)
	v_and_b32_e32 v0, 0x80000000, v0
	v_or3_b32 v113, v2, v0, v1
.LBB184_223:                            ;   in Loop: Header=BB184_12 Depth=1
	s_or_b32 exec_lo, exec_lo, s44
.LBB184_224:                            ;   in Loop: Header=BB184_12 Depth=1
	s_delay_alu instid0(SALU_CYCLE_1)
	s_or_b32 exec_lo, exec_lo, s43
.LBB184_225:                            ;   in Loop: Header=BB184_12 Depth=1
	s_delay_alu instid0(SALU_CYCLE_1)
	s_or_b32 exec_lo, exec_lo, s42
	global_load_u16 v1, v[70:71], off offset:772
	v_mov_b64_e32 v[116:117], 0
	v_mov_b64_e32 v[118:119], 0
	s_mov_b32 s42, exec_lo
	s_wait_loadcnt 0x0
	v_and_b32_e32 v0, 0xffff, v1
	v_and_b32_e32 v1, 0xff, v1
	s_wait_xcnt 0x0
	s_delay_alu instid0(VALU_DEP_1)
	v_cmpx_ne_u16_e32 0, v1
	s_cbranch_execz .LBB184_233
; %bb.226:                              ;   in Loop: Header=BB184_12 Depth=1
	v_mov_b64_e32 v[118:119], 0x80000000
	v_and_b32_e32 v1, 0xff, v0
	s_mov_b32 s43, exec_lo
	s_delay_alu instid0(VALU_DEP_1)
	v_cmpx_ne_u16_e32 0x80, v1
	s_cbranch_execz .LBB184_232
; %bb.227:                              ;   in Loop: Header=BB184_12 Depth=1
	v_mov_b64_e32 v[118:119], 0x7f800001
	v_and_b32_e32 v2, 0x7f, v0
	s_mov_b32 s44, exec_lo
	s_delay_alu instid0(VALU_DEP_1)
	v_cmpx_ne_u32_e32 0x7f, v2
	s_cbranch_execz .LBB184_231
; %bb.228:                              ;   in Loop: Header=BB184_12 Depth=1
	v_dual_lshrrev_b32 v1, 3, v2 :: v_dual_bitop2_b32 v52, 7, v0 bitop3:0x40
	s_mov_b32 s45, exec_lo
	v_cmpx_gt_u32_e32 8, v2
; %bb.229:                              ;   in Loop: Header=BB184_12 Depth=1
	s_delay_alu instid0(VALU_DEP_2) | instskip(NEXT) | instid1(VALU_DEP_1)
	v_clz_i32_u32_e32 v1, v52
	v_min_u32_e32 v1, 32, v1
	s_delay_alu instid0(VALU_DEP_1) | instskip(NEXT) | instid1(VALU_DEP_1)
	v_subrev_nc_u32_e32 v2, 28, v1
	v_lshlrev_b64_e32 v[2:3], v2, v[52:53]
	s_delay_alu instid0(VALU_DEP_1)
	v_dual_sub_nc_u32 v1, 29, v1 :: v_dual_bitop2_b32 v52, 7, v2 bitop3:0x40
; %bb.230:                              ;   in Loop: Header=BB184_12 Depth=1
	s_or_b32 exec_lo, exec_lo, s45
	v_lshlrev_b32_e32 v2, 24, v0
	s_delay_alu instid0(VALU_DEP_2) | instskip(NEXT) | instid1(VALU_DEP_3)
	v_lshlrev_b32_e32 v3, 20, v52
	v_lshl_add_u32 v1, v1, 23, 0x3c000000
	s_delay_alu instid0(VALU_DEP_3) | instskip(NEXT) | instid1(VALU_DEP_1)
	v_and_b32_e32 v2, 0x80000000, v2
	v_or3_b32 v52, v3, v2, v1
	s_delay_alu instid0(VALU_DEP_1)
	v_mov_b64_e32 v[118:119], v[52:53]
.LBB184_231:                            ;   in Loop: Header=BB184_12 Depth=1
	s_or_b32 exec_lo, exec_lo, s44
.LBB184_232:                            ;   in Loop: Header=BB184_12 Depth=1
	s_delay_alu instid0(SALU_CYCLE_1)
	s_or_b32 exec_lo, exec_lo, s43
.LBB184_233:                            ;   in Loop: Header=BB184_12 Depth=1
	s_delay_alu instid0(SALU_CYCLE_1) | instskip(SKIP_2) | instid1(VALU_DEP_1)
	s_or_b32 exec_lo, exec_lo, s42
	v_lshrrev_b16 v1, 8, v0
	s_mov_b32 s42, exec_lo
	v_cmpx_ne_u16_e32 0, v1
	s_cbranch_execz .LBB184_241
; %bb.234:                              ;   in Loop: Header=BB184_12 Depth=1
	v_mov_b64_e32 v[116:117], 0x8000000000000000
	s_mov_b32 s43, exec_lo
	v_cmpx_ne_u16_e32 0x80, v1
	s_cbranch_execz .LBB184_240
; %bb.235:                              ;   in Loop: Header=BB184_12 Depth=1
	v_and_b32_e32 v1, 0xffff, v1
	v_mov_b64_e32 v[116:117], 0x7f80000100000000
	s_mov_b32 s44, exec_lo
	s_delay_alu instid0(VALU_DEP_2) | instskip(NEXT) | instid1(VALU_DEP_1)
	v_and_b32_e32 v2, 0x7f, v1
	v_cmpx_ne_u32_e32 0x7f, v2
	s_cbranch_execz .LBB184_239
; %bb.236:                              ;   in Loop: Header=BB184_12 Depth=1
	v_dual_lshrrev_b32 v1, 3, v2 :: v_dual_bitop2_b32 v52, 7, v1 bitop3:0x40
	s_mov_b32 s45, exec_lo
	v_cmpx_gt_u32_e32 8, v2
; %bb.237:                              ;   in Loop: Header=BB184_12 Depth=1
	s_delay_alu instid0(VALU_DEP_2) | instskip(NEXT) | instid1(VALU_DEP_1)
	v_clz_i32_u32_e32 v1, v52
	v_min_u32_e32 v1, 32, v1
	s_delay_alu instid0(VALU_DEP_1) | instskip(NEXT) | instid1(VALU_DEP_1)
	v_subrev_nc_u32_e32 v2, 28, v1
	v_lshlrev_b64_e32 v[2:3], v2, v[52:53]
	s_delay_alu instid0(VALU_DEP_1)
	v_dual_sub_nc_u32 v1, 29, v1 :: v_dual_bitop2_b32 v52, 7, v2 bitop3:0x40
; %bb.238:                              ;   in Loop: Header=BB184_12 Depth=1
	s_or_b32 exec_lo, exec_lo, s45
	v_dual_lshlrev_b32 v0, 16, v0 :: v_dual_mov_b32 v116, v53
	s_delay_alu instid0(VALU_DEP_2) | instskip(NEXT) | instid1(VALU_DEP_3)
	v_lshlrev_b32_e32 v2, 20, v52
	v_lshl_add_u32 v1, v1, 23, 0x3c000000
	s_delay_alu instid0(VALU_DEP_3) | instskip(NEXT) | instid1(VALU_DEP_1)
	v_and_b32_e32 v0, 0x80000000, v0
	v_or3_b32 v117, v2, v0, v1
.LBB184_239:                            ;   in Loop: Header=BB184_12 Depth=1
	s_or_b32 exec_lo, exec_lo, s44
.LBB184_240:                            ;   in Loop: Header=BB184_12 Depth=1
	s_delay_alu instid0(SALU_CYCLE_1)
	s_or_b32 exec_lo, exec_lo, s43
.LBB184_241:                            ;   in Loop: Header=BB184_12 Depth=1
	s_delay_alu instid0(SALU_CYCLE_1)
	s_or_b32 exec_lo, exec_lo, s42
	global_load_u16 v1, v[70:71], off offset:776
	v_mov_b64_e32 v[120:121], 0
	v_mov_b64_e32 v[122:123], 0
	s_mov_b32 s42, exec_lo
	s_wait_loadcnt 0x0
	v_and_b32_e32 v0, 0xffff, v1
	v_and_b32_e32 v1, 0xff, v1
	s_wait_xcnt 0x0
	s_delay_alu instid0(VALU_DEP_1)
	v_cmpx_ne_u16_e32 0, v1
	s_cbranch_execz .LBB184_249
; %bb.242:                              ;   in Loop: Header=BB184_12 Depth=1
	v_mov_b64_e32 v[122:123], 0x80000000
	v_and_b32_e32 v1, 0xff, v0
	s_mov_b32 s43, exec_lo
	s_delay_alu instid0(VALU_DEP_1)
	v_cmpx_ne_u16_e32 0x80, v1
	s_cbranch_execz .LBB184_248
; %bb.243:                              ;   in Loop: Header=BB184_12 Depth=1
	v_mov_b64_e32 v[122:123], 0x7f800001
	v_and_b32_e32 v2, 0x7f, v0
	s_mov_b32 s44, exec_lo
	s_delay_alu instid0(VALU_DEP_1)
	v_cmpx_ne_u32_e32 0x7f, v2
	s_cbranch_execz .LBB184_247
; %bb.244:                              ;   in Loop: Header=BB184_12 Depth=1
	v_dual_lshrrev_b32 v1, 3, v2 :: v_dual_bitop2_b32 v52, 7, v0 bitop3:0x40
	s_mov_b32 s45, exec_lo
	v_cmpx_gt_u32_e32 8, v2
; %bb.245:                              ;   in Loop: Header=BB184_12 Depth=1
	s_delay_alu instid0(VALU_DEP_2) | instskip(NEXT) | instid1(VALU_DEP_1)
	v_clz_i32_u32_e32 v1, v52
	v_min_u32_e32 v1, 32, v1
	s_delay_alu instid0(VALU_DEP_1) | instskip(NEXT) | instid1(VALU_DEP_1)
	v_subrev_nc_u32_e32 v2, 28, v1
	v_lshlrev_b64_e32 v[2:3], v2, v[52:53]
	s_delay_alu instid0(VALU_DEP_1)
	v_dual_sub_nc_u32 v1, 29, v1 :: v_dual_bitop2_b32 v52, 7, v2 bitop3:0x40
; %bb.246:                              ;   in Loop: Header=BB184_12 Depth=1
	s_or_b32 exec_lo, exec_lo, s45
	v_lshlrev_b32_e32 v2, 24, v0
	s_delay_alu instid0(VALU_DEP_2) | instskip(NEXT) | instid1(VALU_DEP_3)
	v_lshlrev_b32_e32 v3, 20, v52
	v_lshl_add_u32 v1, v1, 23, 0x3c000000
	s_delay_alu instid0(VALU_DEP_3) | instskip(NEXT) | instid1(VALU_DEP_1)
	v_and_b32_e32 v2, 0x80000000, v2
	v_or3_b32 v52, v3, v2, v1
	s_delay_alu instid0(VALU_DEP_1)
	v_mov_b64_e32 v[122:123], v[52:53]
.LBB184_247:                            ;   in Loop: Header=BB184_12 Depth=1
	s_or_b32 exec_lo, exec_lo, s44
.LBB184_248:                            ;   in Loop: Header=BB184_12 Depth=1
	s_delay_alu instid0(SALU_CYCLE_1)
	s_or_b32 exec_lo, exec_lo, s43
.LBB184_249:                            ;   in Loop: Header=BB184_12 Depth=1
	s_delay_alu instid0(SALU_CYCLE_1) | instskip(SKIP_2) | instid1(VALU_DEP_1)
	s_or_b32 exec_lo, exec_lo, s42
	v_lshrrev_b16 v1, 8, v0
	s_mov_b32 s42, exec_lo
	v_cmpx_ne_u16_e32 0, v1
	s_cbranch_execz .LBB184_257
; %bb.250:                              ;   in Loop: Header=BB184_12 Depth=1
	v_mov_b64_e32 v[120:121], 0x8000000000000000
	s_mov_b32 s43, exec_lo
	v_cmpx_ne_u16_e32 0x80, v1
	s_cbranch_execz .LBB184_256
; %bb.251:                              ;   in Loop: Header=BB184_12 Depth=1
	v_and_b32_e32 v1, 0xffff, v1
	v_mov_b64_e32 v[120:121], 0x7f80000100000000
	s_mov_b32 s44, exec_lo
	s_delay_alu instid0(VALU_DEP_2) | instskip(NEXT) | instid1(VALU_DEP_1)
	v_and_b32_e32 v2, 0x7f, v1
	v_cmpx_ne_u32_e32 0x7f, v2
	s_cbranch_execz .LBB184_255
; %bb.252:                              ;   in Loop: Header=BB184_12 Depth=1
	v_dual_lshrrev_b32 v1, 3, v2 :: v_dual_bitop2_b32 v52, 7, v1 bitop3:0x40
	s_mov_b32 s45, exec_lo
	v_cmpx_gt_u32_e32 8, v2
; %bb.253:                              ;   in Loop: Header=BB184_12 Depth=1
	s_delay_alu instid0(VALU_DEP_2) | instskip(NEXT) | instid1(VALU_DEP_1)
	v_clz_i32_u32_e32 v1, v52
	v_min_u32_e32 v1, 32, v1
	s_delay_alu instid0(VALU_DEP_1) | instskip(NEXT) | instid1(VALU_DEP_1)
	v_subrev_nc_u32_e32 v2, 28, v1
	v_lshlrev_b64_e32 v[2:3], v2, v[52:53]
	s_delay_alu instid0(VALU_DEP_1)
	v_dual_sub_nc_u32 v1, 29, v1 :: v_dual_bitop2_b32 v52, 7, v2 bitop3:0x40
; %bb.254:                              ;   in Loop: Header=BB184_12 Depth=1
	s_or_b32 exec_lo, exec_lo, s45
	v_dual_lshlrev_b32 v0, 16, v0 :: v_dual_mov_b32 v120, v53
	s_delay_alu instid0(VALU_DEP_2) | instskip(NEXT) | instid1(VALU_DEP_3)
	v_lshlrev_b32_e32 v2, 20, v52
	v_lshl_add_u32 v1, v1, 23, 0x3c000000
	s_delay_alu instid0(VALU_DEP_3) | instskip(NEXT) | instid1(VALU_DEP_1)
	v_and_b32_e32 v0, 0x80000000, v0
	v_or3_b32 v121, v2, v0, v1
.LBB184_255:                            ;   in Loop: Header=BB184_12 Depth=1
	s_or_b32 exec_lo, exec_lo, s44
.LBB184_256:                            ;   in Loop: Header=BB184_12 Depth=1
	s_delay_alu instid0(SALU_CYCLE_1)
	s_or_b32 exec_lo, exec_lo, s43
.LBB184_257:                            ;   in Loop: Header=BB184_12 Depth=1
	s_delay_alu instid0(SALU_CYCLE_1)
	s_or_b32 exec_lo, exec_lo, s42
	global_load_u16 v1, v[70:71], off offset:780
	v_mov_b64_e32 v[124:125], 0
	v_mov_b64_e32 v[126:127], 0
	s_mov_b32 s42, exec_lo
	s_wait_loadcnt 0x0
	v_and_b32_e32 v0, 0xffff, v1
	v_and_b32_e32 v1, 0xff, v1
	s_wait_xcnt 0x0
	s_delay_alu instid0(VALU_DEP_1)
	v_cmpx_ne_u16_e32 0, v1
	s_cbranch_execz .LBB184_265
; %bb.258:                              ;   in Loop: Header=BB184_12 Depth=1
	v_mov_b64_e32 v[126:127], 0x80000000
	v_and_b32_e32 v1, 0xff, v0
	s_mov_b32 s43, exec_lo
	s_delay_alu instid0(VALU_DEP_1)
	v_cmpx_ne_u16_e32 0x80, v1
	s_cbranch_execz .LBB184_264
; %bb.259:                              ;   in Loop: Header=BB184_12 Depth=1
	v_mov_b64_e32 v[126:127], 0x7f800001
	v_and_b32_e32 v2, 0x7f, v0
	s_mov_b32 s44, exec_lo
	s_delay_alu instid0(VALU_DEP_1)
	v_cmpx_ne_u32_e32 0x7f, v2
	s_cbranch_execz .LBB184_263
; %bb.260:                              ;   in Loop: Header=BB184_12 Depth=1
	v_dual_lshrrev_b32 v1, 3, v2 :: v_dual_bitop2_b32 v52, 7, v0 bitop3:0x40
	s_mov_b32 s45, exec_lo
	v_cmpx_gt_u32_e32 8, v2
; %bb.261:                              ;   in Loop: Header=BB184_12 Depth=1
	s_delay_alu instid0(VALU_DEP_2) | instskip(NEXT) | instid1(VALU_DEP_1)
	v_clz_i32_u32_e32 v1, v52
	v_min_u32_e32 v1, 32, v1
	s_delay_alu instid0(VALU_DEP_1) | instskip(NEXT) | instid1(VALU_DEP_1)
	v_subrev_nc_u32_e32 v2, 28, v1
	v_lshlrev_b64_e32 v[2:3], v2, v[52:53]
	s_delay_alu instid0(VALU_DEP_1)
	v_dual_sub_nc_u32 v1, 29, v1 :: v_dual_bitop2_b32 v52, 7, v2 bitop3:0x40
; %bb.262:                              ;   in Loop: Header=BB184_12 Depth=1
	s_or_b32 exec_lo, exec_lo, s45
	v_lshlrev_b32_e32 v2, 24, v0
	s_delay_alu instid0(VALU_DEP_2) | instskip(NEXT) | instid1(VALU_DEP_3)
	v_lshlrev_b32_e32 v3, 20, v52
	v_lshl_add_u32 v1, v1, 23, 0x3c000000
	s_delay_alu instid0(VALU_DEP_3) | instskip(NEXT) | instid1(VALU_DEP_1)
	v_and_b32_e32 v2, 0x80000000, v2
	v_or3_b32 v52, v3, v2, v1
	s_delay_alu instid0(VALU_DEP_1)
	v_mov_b64_e32 v[126:127], v[52:53]
.LBB184_263:                            ;   in Loop: Header=BB184_12 Depth=1
	s_or_b32 exec_lo, exec_lo, s44
.LBB184_264:                            ;   in Loop: Header=BB184_12 Depth=1
	s_delay_alu instid0(SALU_CYCLE_1)
	s_or_b32 exec_lo, exec_lo, s43
.LBB184_265:                            ;   in Loop: Header=BB184_12 Depth=1
	s_delay_alu instid0(SALU_CYCLE_1) | instskip(SKIP_2) | instid1(VALU_DEP_1)
	s_or_b32 exec_lo, exec_lo, s42
	v_lshrrev_b16 v1, 8, v0
	s_mov_b32 s42, exec_lo
	v_cmpx_ne_u16_e32 0, v1
	s_cbranch_execz .LBB184_273
; %bb.266:                              ;   in Loop: Header=BB184_12 Depth=1
	v_mov_b64_e32 v[124:125], 0x8000000000000000
	s_mov_b32 s43, exec_lo
	v_cmpx_ne_u16_e32 0x80, v1
	s_cbranch_execz .LBB184_272
; %bb.267:                              ;   in Loop: Header=BB184_12 Depth=1
	v_and_b32_e32 v1, 0xffff, v1
	v_mov_b64_e32 v[124:125], 0x7f80000100000000
	s_mov_b32 s44, exec_lo
	s_delay_alu instid0(VALU_DEP_2) | instskip(NEXT) | instid1(VALU_DEP_1)
	v_and_b32_e32 v2, 0x7f, v1
	v_cmpx_ne_u32_e32 0x7f, v2
	s_cbranch_execz .LBB184_271
; %bb.268:                              ;   in Loop: Header=BB184_12 Depth=1
	v_dual_lshrrev_b32 v1, 3, v2 :: v_dual_bitop2_b32 v52, 7, v1 bitop3:0x40
	s_mov_b32 s45, exec_lo
	v_cmpx_gt_u32_e32 8, v2
; %bb.269:                              ;   in Loop: Header=BB184_12 Depth=1
	s_delay_alu instid0(VALU_DEP_2) | instskip(NEXT) | instid1(VALU_DEP_1)
	v_clz_i32_u32_e32 v1, v52
	v_min_u32_e32 v1, 32, v1
	s_delay_alu instid0(VALU_DEP_1) | instskip(NEXT) | instid1(VALU_DEP_1)
	v_subrev_nc_u32_e32 v2, 28, v1
	v_lshlrev_b64_e32 v[2:3], v2, v[52:53]
	s_delay_alu instid0(VALU_DEP_1)
	v_dual_sub_nc_u32 v1, 29, v1 :: v_dual_bitop2_b32 v52, 7, v2 bitop3:0x40
; %bb.270:                              ;   in Loop: Header=BB184_12 Depth=1
	s_or_b32 exec_lo, exec_lo, s45
	v_dual_lshlrev_b32 v0, 16, v0 :: v_dual_mov_b32 v124, v53
	s_delay_alu instid0(VALU_DEP_2) | instskip(NEXT) | instid1(VALU_DEP_3)
	v_lshlrev_b32_e32 v2, 20, v52
	v_lshl_add_u32 v1, v1, 23, 0x3c000000
	s_delay_alu instid0(VALU_DEP_3) | instskip(NEXT) | instid1(VALU_DEP_1)
	v_and_b32_e32 v0, 0x80000000, v0
	v_or3_b32 v125, v2, v0, v1
.LBB184_271:                            ;   in Loop: Header=BB184_12 Depth=1
	s_or_b32 exec_lo, exec_lo, s44
.LBB184_272:                            ;   in Loop: Header=BB184_12 Depth=1
	s_delay_alu instid0(SALU_CYCLE_1)
	s_or_b32 exec_lo, exec_lo, s43
.LBB184_273:                            ;   in Loop: Header=BB184_12 Depth=1
	s_delay_alu instid0(SALU_CYCLE_1)
	s_or_b32 exec_lo, exec_lo, s42
	global_load_u16 v1, v[70:71], off offset:1024
	v_mov_b64_e32 v[56:57], 0
	v_mov_b64_e32 v[60:61], 0
	s_mov_b32 s42, exec_lo
	s_wait_loadcnt 0x0
	v_and_b32_e32 v0, 0xffff, v1
	v_and_b32_e32 v1, 0xff, v1
	s_wait_xcnt 0x0
	s_delay_alu instid0(VALU_DEP_1)
	v_cmpx_ne_u16_e32 0, v1
	s_cbranch_execz .LBB184_281
; %bb.274:                              ;   in Loop: Header=BB184_12 Depth=1
	v_mov_b64_e32 v[60:61], 0x80000000
	v_and_b32_e32 v1, 0xff, v0
	s_mov_b32 s43, exec_lo
	s_delay_alu instid0(VALU_DEP_1)
	v_cmpx_ne_u16_e32 0x80, v1
	s_cbranch_execz .LBB184_280
; %bb.275:                              ;   in Loop: Header=BB184_12 Depth=1
	v_mov_b64_e32 v[60:61], 0x7f800001
	v_and_b32_e32 v2, 0x7f, v0
	s_mov_b32 s44, exec_lo
	s_delay_alu instid0(VALU_DEP_1)
	v_cmpx_ne_u32_e32 0x7f, v2
	s_cbranch_execz .LBB184_279
; %bb.276:                              ;   in Loop: Header=BB184_12 Depth=1
	v_dual_lshrrev_b32 v1, 3, v2 :: v_dual_bitop2_b32 v52, 7, v0 bitop3:0x40
	s_mov_b32 s45, exec_lo
	v_cmpx_gt_u32_e32 8, v2
; %bb.277:                              ;   in Loop: Header=BB184_12 Depth=1
	s_delay_alu instid0(VALU_DEP_2) | instskip(NEXT) | instid1(VALU_DEP_1)
	v_clz_i32_u32_e32 v1, v52
	v_min_u32_e32 v1, 32, v1
	s_delay_alu instid0(VALU_DEP_1) | instskip(NEXT) | instid1(VALU_DEP_1)
	v_subrev_nc_u32_e32 v2, 28, v1
	v_lshlrev_b64_e32 v[2:3], v2, v[52:53]
	s_delay_alu instid0(VALU_DEP_1)
	v_dual_sub_nc_u32 v1, 29, v1 :: v_dual_bitop2_b32 v52, 7, v2 bitop3:0x40
; %bb.278:                              ;   in Loop: Header=BB184_12 Depth=1
	s_or_b32 exec_lo, exec_lo, s45
	v_lshlrev_b32_e32 v2, 24, v0
	s_delay_alu instid0(VALU_DEP_2) | instskip(NEXT) | instid1(VALU_DEP_3)
	v_lshlrev_b32_e32 v3, 20, v52
	v_lshl_add_u32 v1, v1, 23, 0x3c000000
	s_delay_alu instid0(VALU_DEP_3) | instskip(NEXT) | instid1(VALU_DEP_1)
	v_and_b32_e32 v2, 0x80000000, v2
	v_or3_b32 v52, v3, v2, v1
	s_delay_alu instid0(VALU_DEP_1)
	v_mov_b64_e32 v[60:61], v[52:53]
.LBB184_279:                            ;   in Loop: Header=BB184_12 Depth=1
	s_or_b32 exec_lo, exec_lo, s44
.LBB184_280:                            ;   in Loop: Header=BB184_12 Depth=1
	s_delay_alu instid0(SALU_CYCLE_1)
	s_or_b32 exec_lo, exec_lo, s43
.LBB184_281:                            ;   in Loop: Header=BB184_12 Depth=1
	s_delay_alu instid0(SALU_CYCLE_1) | instskip(SKIP_2) | instid1(VALU_DEP_1)
	s_or_b32 exec_lo, exec_lo, s42
	v_lshrrev_b16 v1, 8, v0
	s_mov_b32 s42, exec_lo
	v_cmpx_ne_u16_e32 0, v1
	s_cbranch_execz .LBB184_289
; %bb.282:                              ;   in Loop: Header=BB184_12 Depth=1
	v_mov_b64_e32 v[56:57], 0x8000000000000000
	s_mov_b32 s43, exec_lo
	v_cmpx_ne_u16_e32 0x80, v1
	s_cbranch_execz .LBB184_288
; %bb.283:                              ;   in Loop: Header=BB184_12 Depth=1
	v_and_b32_e32 v1, 0xffff, v1
	v_mov_b64_e32 v[56:57], 0x7f80000100000000
	s_mov_b32 s44, exec_lo
	s_delay_alu instid0(VALU_DEP_2) | instskip(NEXT) | instid1(VALU_DEP_1)
	v_and_b32_e32 v2, 0x7f, v1
	v_cmpx_ne_u32_e32 0x7f, v2
	s_cbranch_execz .LBB184_287
; %bb.284:                              ;   in Loop: Header=BB184_12 Depth=1
	v_dual_lshrrev_b32 v1, 3, v2 :: v_dual_bitop2_b32 v52, 7, v1 bitop3:0x40
	s_mov_b32 s45, exec_lo
	v_cmpx_gt_u32_e32 8, v2
; %bb.285:                              ;   in Loop: Header=BB184_12 Depth=1
	s_delay_alu instid0(VALU_DEP_2) | instskip(NEXT) | instid1(VALU_DEP_1)
	v_clz_i32_u32_e32 v1, v52
	v_min_u32_e32 v1, 32, v1
	s_delay_alu instid0(VALU_DEP_1) | instskip(NEXT) | instid1(VALU_DEP_1)
	v_subrev_nc_u32_e32 v2, 28, v1
	v_lshlrev_b64_e32 v[2:3], v2, v[52:53]
	s_delay_alu instid0(VALU_DEP_1)
	v_dual_sub_nc_u32 v1, 29, v1 :: v_dual_bitop2_b32 v52, 7, v2 bitop3:0x40
; %bb.286:                              ;   in Loop: Header=BB184_12 Depth=1
	s_or_b32 exec_lo, exec_lo, s45
	v_dual_lshlrev_b32 v0, 16, v0 :: v_dual_mov_b32 v56, v53
	s_delay_alu instid0(VALU_DEP_2) | instskip(NEXT) | instid1(VALU_DEP_3)
	v_lshlrev_b32_e32 v2, 20, v52
	v_lshl_add_u32 v1, v1, 23, 0x3c000000
	s_delay_alu instid0(VALU_DEP_3) | instskip(NEXT) | instid1(VALU_DEP_1)
	v_and_b32_e32 v0, 0x80000000, v0
	v_or3_b32 v57, v2, v0, v1
.LBB184_287:                            ;   in Loop: Header=BB184_12 Depth=1
	s_or_b32 exec_lo, exec_lo, s44
.LBB184_288:                            ;   in Loop: Header=BB184_12 Depth=1
	s_delay_alu instid0(SALU_CYCLE_1)
	s_or_b32 exec_lo, exec_lo, s43
.LBB184_289:                            ;   in Loop: Header=BB184_12 Depth=1
	s_delay_alu instid0(SALU_CYCLE_1)
	s_or_b32 exec_lo, exec_lo, s42
	global_load_u16 v0, v[70:71], off offset:1028
	v_mov_b64_e32 v[64:65], 0
	s_wait_loadcnt 0x0
	v_and_b32_e32 v2, 0xffff, v0
	v_and_b32_e32 v0, 0xff, v0
	s_delay_alu instid0(VALU_DEP_1)
	v_cmp_ne_u16_e64 s4, 0, v0
	v_mov_b64_e32 v[0:1], 0
	s_wait_xcnt 0x0
	s_and_saveexec_b32 s42, s4
	s_cbranch_execz .LBB184_297
; %bb.290:                              ;   in Loop: Header=BB184_12 Depth=1
	v_mov_b64_e32 v[64:65], 0x80000000
	v_and_b32_e32 v3, 0xff, v2
	s_mov_b32 s43, exec_lo
	s_delay_alu instid0(VALU_DEP_1)
	v_cmpx_ne_u16_e32 0x80, v3
	s_cbranch_execz .LBB184_296
; %bb.291:                              ;   in Loop: Header=BB184_12 Depth=1
	v_mov_b64_e32 v[64:65], 0x7f800001
	v_and_b32_e32 v4, 0x7f, v2
	s_mov_b32 s44, exec_lo
	s_delay_alu instid0(VALU_DEP_1)
	v_cmpx_ne_u32_e32 0x7f, v4
	s_cbranch_execz .LBB184_295
; %bb.292:                              ;   in Loop: Header=BB184_12 Depth=1
	v_dual_lshrrev_b32 v3, 3, v4 :: v_dual_bitop2_b32 v52, 7, v2 bitop3:0x40
	s_mov_b32 s45, exec_lo
	v_cmpx_gt_u32_e32 8, v4
; %bb.293:                              ;   in Loop: Header=BB184_12 Depth=1
	s_delay_alu instid0(VALU_DEP_2) | instskip(NEXT) | instid1(VALU_DEP_1)
	v_clz_i32_u32_e32 v3, v52
	v_min_u32_e32 v3, 32, v3
	s_delay_alu instid0(VALU_DEP_1) | instskip(NEXT) | instid1(VALU_DEP_1)
	v_subrev_nc_u32_e32 v4, 28, v3
	v_lshlrev_b64_e32 v[4:5], v4, v[52:53]
	s_delay_alu instid0(VALU_DEP_1)
	v_dual_sub_nc_u32 v3, 29, v3 :: v_dual_bitop2_b32 v52, 7, v4 bitop3:0x40
; %bb.294:                              ;   in Loop: Header=BB184_12 Depth=1
	s_or_b32 exec_lo, exec_lo, s45
	s_delay_alu instid0(VALU_DEP_1) | instskip(NEXT) | instid1(VALU_DEP_2)
	v_dual_lshlrev_b32 v4, 24, v2 :: v_dual_lshlrev_b32 v5, 20, v52
	v_lshl_add_u32 v3, v3, 23, 0x3c000000
	s_delay_alu instid0(VALU_DEP_2) | instskip(NEXT) | instid1(VALU_DEP_1)
	v_and_b32_e32 v4, 0x80000000, v4
	v_or3_b32 v52, v5, v4, v3
	s_delay_alu instid0(VALU_DEP_1)
	v_mov_b64_e32 v[64:65], v[52:53]
.LBB184_295:                            ;   in Loop: Header=BB184_12 Depth=1
	s_or_b32 exec_lo, exec_lo, s44
.LBB184_296:                            ;   in Loop: Header=BB184_12 Depth=1
	s_delay_alu instid0(SALU_CYCLE_1)
	s_or_b32 exec_lo, exec_lo, s43
.LBB184_297:                            ;   in Loop: Header=BB184_12 Depth=1
	s_delay_alu instid0(SALU_CYCLE_1) | instskip(SKIP_2) | instid1(VALU_DEP_1)
	s_or_b32 exec_lo, exec_lo, s42
	v_lshrrev_b16 v3, 8, v2
	s_mov_b32 s42, exec_lo
	v_cmpx_ne_u16_e32 0, v3
	s_cbranch_execz .LBB184_305
; %bb.298:                              ;   in Loop: Header=BB184_12 Depth=1
	v_mov_b64_e32 v[0:1], 0x8000000000000000
	s_mov_b32 s43, exec_lo
	v_cmpx_ne_u16_e32 0x80, v3
	s_cbranch_execz .LBB184_304
; %bb.299:                              ;   in Loop: Header=BB184_12 Depth=1
	v_and_b32_e32 v4, 0xffff, v3
	v_mov_b64_e32 v[0:1], 0x7f80000100000000
	s_mov_b32 s44, exec_lo
	s_delay_alu instid0(VALU_DEP_2) | instskip(NEXT) | instid1(VALU_DEP_1)
	v_and_b32_e32 v3, 0x7f, v4
	v_cmpx_ne_u32_e32 0x7f, v3
	s_cbranch_execz .LBB184_303
; %bb.300:                              ;   in Loop: Header=BB184_12 Depth=1
	v_dual_lshrrev_b32 v0, 3, v3 :: v_dual_bitop2_b32 v52, 7, v4 bitop3:0x40
	s_mov_b32 s45, exec_lo
	v_cmpx_gt_u32_e32 8, v3
; %bb.301:                              ;   in Loop: Header=BB184_12 Depth=1
	s_delay_alu instid0(VALU_DEP_2) | instskip(NEXT) | instid1(VALU_DEP_1)
	v_clz_i32_u32_e32 v0, v52
	v_min_u32_e32 v0, 32, v0
	s_delay_alu instid0(VALU_DEP_1) | instskip(SKIP_1) | instid1(VALU_DEP_2)
	v_subrev_nc_u32_e32 v1, 28, v0
	v_sub_nc_u32_e32 v0, 29, v0
	v_lshlrev_b64_e32 v[4:5], v1, v[52:53]
	s_delay_alu instid0(VALU_DEP_1)
	v_and_b32_e32 v52, 7, v4
; %bb.302:                              ;   in Loop: Header=BB184_12 Depth=1
	s_or_b32 exec_lo, exec_lo, s45
	s_delay_alu instid0(VALU_DEP_1) | instskip(SKIP_1) | instid1(VALU_DEP_2)
	v_dual_lshlrev_b32 v1, 16, v2 :: v_dual_lshlrev_b32 v2, 20, v52
	v_lshl_add_u32 v0, v0, 23, 0x3c000000
	v_and_b32_e32 v1, 0x80000000, v1
	s_delay_alu instid0(VALU_DEP_1)
	v_or3_b32 v1, v2, v1, v0
	v_mov_b32_e32 v0, v53
.LBB184_303:                            ;   in Loop: Header=BB184_12 Depth=1
	s_or_b32 exec_lo, exec_lo, s44
.LBB184_304:                            ;   in Loop: Header=BB184_12 Depth=1
	s_delay_alu instid0(SALU_CYCLE_1)
	s_or_b32 exec_lo, exec_lo, s43
.LBB184_305:                            ;   in Loop: Header=BB184_12 Depth=1
	s_delay_alu instid0(SALU_CYCLE_1)
	s_or_b32 exec_lo, exec_lo, s42
	global_load_u16 v3, v[70:71], off offset:1032
	v_mov_b64_e32 v[68:69], 0
	v_mov_b64_e32 v[62:63], 0
	s_mov_b32 s42, exec_lo
	s_wait_loadcnt 0x0
	v_and_b32_e32 v2, 0xffff, v3
	v_and_b32_e32 v3, 0xff, v3
	s_wait_xcnt 0x0
	s_delay_alu instid0(VALU_DEP_1)
	v_cmpx_ne_u16_e32 0, v3
	s_cbranch_execz .LBB184_313
; %bb.306:                              ;   in Loop: Header=BB184_12 Depth=1
	v_mov_b64_e32 v[62:63], 0x80000000
	v_and_b32_e32 v3, 0xff, v2
	s_mov_b32 s43, exec_lo
	s_delay_alu instid0(VALU_DEP_1)
	v_cmpx_ne_u16_e32 0x80, v3
	s_cbranch_execz .LBB184_312
; %bb.307:                              ;   in Loop: Header=BB184_12 Depth=1
	v_mov_b64_e32 v[62:63], 0x7f800001
	v_and_b32_e32 v4, 0x7f, v2
	s_mov_b32 s44, exec_lo
	s_delay_alu instid0(VALU_DEP_1)
	v_cmpx_ne_u32_e32 0x7f, v4
	s_cbranch_execz .LBB184_311
; %bb.308:                              ;   in Loop: Header=BB184_12 Depth=1
	v_dual_lshrrev_b32 v3, 3, v4 :: v_dual_bitop2_b32 v52, 7, v2 bitop3:0x40
	s_mov_b32 s45, exec_lo
	v_cmpx_gt_u32_e32 8, v4
; %bb.309:                              ;   in Loop: Header=BB184_12 Depth=1
	s_delay_alu instid0(VALU_DEP_2) | instskip(NEXT) | instid1(VALU_DEP_1)
	v_clz_i32_u32_e32 v3, v52
	v_min_u32_e32 v3, 32, v3
	s_delay_alu instid0(VALU_DEP_1) | instskip(NEXT) | instid1(VALU_DEP_1)
	v_subrev_nc_u32_e32 v4, 28, v3
	v_lshlrev_b64_e32 v[4:5], v4, v[52:53]
	s_delay_alu instid0(VALU_DEP_1)
	v_dual_sub_nc_u32 v3, 29, v3 :: v_dual_bitop2_b32 v52, 7, v4 bitop3:0x40
; %bb.310:                              ;   in Loop: Header=BB184_12 Depth=1
	s_or_b32 exec_lo, exec_lo, s45
	s_delay_alu instid0(VALU_DEP_1) | instskip(NEXT) | instid1(VALU_DEP_2)
	v_dual_lshlrev_b32 v4, 24, v2 :: v_dual_lshlrev_b32 v5, 20, v52
	v_lshl_add_u32 v3, v3, 23, 0x3c000000
	s_delay_alu instid0(VALU_DEP_2) | instskip(NEXT) | instid1(VALU_DEP_1)
	v_and_b32_e32 v4, 0x80000000, v4
	v_or3_b32 v52, v5, v4, v3
	s_delay_alu instid0(VALU_DEP_1)
	v_mov_b64_e32 v[62:63], v[52:53]
.LBB184_311:                            ;   in Loop: Header=BB184_12 Depth=1
	s_or_b32 exec_lo, exec_lo, s44
.LBB184_312:                            ;   in Loop: Header=BB184_12 Depth=1
	s_delay_alu instid0(SALU_CYCLE_1)
	s_or_b32 exec_lo, exec_lo, s43
.LBB184_313:                            ;   in Loop: Header=BB184_12 Depth=1
	s_delay_alu instid0(SALU_CYCLE_1) | instskip(SKIP_2) | instid1(VALU_DEP_1)
	s_or_b32 exec_lo, exec_lo, s42
	v_lshrrev_b16 v3, 8, v2
	s_mov_b32 s42, exec_lo
	v_cmpx_ne_u16_e32 0, v3
	s_cbranch_execz .LBB184_321
; %bb.314:                              ;   in Loop: Header=BB184_12 Depth=1
	v_mov_b64_e32 v[68:69], 0x8000000000000000
	s_mov_b32 s43, exec_lo
	v_cmpx_ne_u16_e32 0x80, v3
	s_cbranch_execz .LBB184_320
; %bb.315:                              ;   in Loop: Header=BB184_12 Depth=1
	v_and_b32_e32 v3, 0xffff, v3
	v_mov_b64_e32 v[68:69], 0x7f80000100000000
	s_mov_b32 s44, exec_lo
	s_delay_alu instid0(VALU_DEP_2) | instskip(NEXT) | instid1(VALU_DEP_1)
	v_and_b32_e32 v4, 0x7f, v3
	v_cmpx_ne_u32_e32 0x7f, v4
	s_cbranch_execz .LBB184_319
; %bb.316:                              ;   in Loop: Header=BB184_12 Depth=1
	v_dual_lshrrev_b32 v3, 3, v4 :: v_dual_bitop2_b32 v52, 7, v3 bitop3:0x40
	s_mov_b32 s45, exec_lo
	v_cmpx_gt_u32_e32 8, v4
; %bb.317:                              ;   in Loop: Header=BB184_12 Depth=1
	s_delay_alu instid0(VALU_DEP_2) | instskip(NEXT) | instid1(VALU_DEP_1)
	v_clz_i32_u32_e32 v3, v52
	v_min_u32_e32 v3, 32, v3
	s_delay_alu instid0(VALU_DEP_1) | instskip(NEXT) | instid1(VALU_DEP_1)
	v_subrev_nc_u32_e32 v4, 28, v3
	v_lshlrev_b64_e32 v[4:5], v4, v[52:53]
	s_delay_alu instid0(VALU_DEP_1)
	v_dual_sub_nc_u32 v3, 29, v3 :: v_dual_bitop2_b32 v52, 7, v4 bitop3:0x40
; %bb.318:                              ;   in Loop: Header=BB184_12 Depth=1
	s_or_b32 exec_lo, exec_lo, s45
	s_delay_alu instid0(VALU_DEP_1) | instskip(NEXT) | instid1(VALU_DEP_2)
	v_dual_lshlrev_b32 v2, 16, v2 :: v_dual_lshlrev_b32 v4, 20, v52
	v_lshl_add_u32 v3, v3, 23, 0x3c000000
	v_mov_b32_e32 v68, v53
	s_delay_alu instid0(VALU_DEP_3) | instskip(NEXT) | instid1(VALU_DEP_1)
	v_and_b32_e32 v2, 0x80000000, v2
	v_or3_b32 v69, v4, v2, v3
.LBB184_319:                            ;   in Loop: Header=BB184_12 Depth=1
	s_or_b32 exec_lo, exec_lo, s44
.LBB184_320:                            ;   in Loop: Header=BB184_12 Depth=1
	s_delay_alu instid0(SALU_CYCLE_1)
	s_or_b32 exec_lo, exec_lo, s43
.LBB184_321:                            ;   in Loop: Header=BB184_12 Depth=1
	s_delay_alu instid0(SALU_CYCLE_1)
	s_or_b32 exec_lo, exec_lo, s42
	global_load_u16 v3, v[70:71], off offset:1036
	v_mov_b64_e32 v[66:67], 0
	v_mov_b64_e32 v[74:75], 0
	s_mov_b32 s42, exec_lo
	s_wait_loadcnt 0x0
	v_and_b32_e32 v2, 0xffff, v3
	v_and_b32_e32 v3, 0xff, v3
	s_wait_xcnt 0x0
	s_delay_alu instid0(VALU_DEP_1)
	v_cmpx_ne_u16_e32 0, v3
	s_cbranch_execz .LBB184_329
; %bb.322:                              ;   in Loop: Header=BB184_12 Depth=1
	v_mov_b64_e32 v[74:75], 0x80000000
	v_and_b32_e32 v3, 0xff, v2
	s_mov_b32 s43, exec_lo
	s_delay_alu instid0(VALU_DEP_1)
	v_cmpx_ne_u16_e32 0x80, v3
	s_cbranch_execz .LBB184_328
; %bb.323:                              ;   in Loop: Header=BB184_12 Depth=1
	v_mov_b64_e32 v[74:75], 0x7f800001
	v_and_b32_e32 v4, 0x7f, v2
	s_mov_b32 s44, exec_lo
	s_delay_alu instid0(VALU_DEP_1)
	v_cmpx_ne_u32_e32 0x7f, v4
	s_cbranch_execz .LBB184_327
; %bb.324:                              ;   in Loop: Header=BB184_12 Depth=1
	v_dual_lshrrev_b32 v3, 3, v4 :: v_dual_bitop2_b32 v52, 7, v2 bitop3:0x40
	s_mov_b32 s45, exec_lo
	v_cmpx_gt_u32_e32 8, v4
; %bb.325:                              ;   in Loop: Header=BB184_12 Depth=1
	s_delay_alu instid0(VALU_DEP_2) | instskip(NEXT) | instid1(VALU_DEP_1)
	v_clz_i32_u32_e32 v3, v52
	v_min_u32_e32 v3, 32, v3
	s_delay_alu instid0(VALU_DEP_1) | instskip(NEXT) | instid1(VALU_DEP_1)
	v_subrev_nc_u32_e32 v4, 28, v3
	v_lshlrev_b64_e32 v[4:5], v4, v[52:53]
	s_delay_alu instid0(VALU_DEP_1)
	v_dual_sub_nc_u32 v3, 29, v3 :: v_dual_bitop2_b32 v52, 7, v4 bitop3:0x40
; %bb.326:                              ;   in Loop: Header=BB184_12 Depth=1
	s_or_b32 exec_lo, exec_lo, s45
	s_delay_alu instid0(VALU_DEP_1) | instskip(NEXT) | instid1(VALU_DEP_2)
	v_dual_lshlrev_b32 v4, 24, v2 :: v_dual_lshlrev_b32 v5, 20, v52
	v_lshl_add_u32 v3, v3, 23, 0x3c000000
	s_delay_alu instid0(VALU_DEP_2) | instskip(NEXT) | instid1(VALU_DEP_1)
	v_and_b32_e32 v4, 0x80000000, v4
	v_or3_b32 v52, v5, v4, v3
	s_delay_alu instid0(VALU_DEP_1)
	v_mov_b64_e32 v[74:75], v[52:53]
.LBB184_327:                            ;   in Loop: Header=BB184_12 Depth=1
	s_or_b32 exec_lo, exec_lo, s44
.LBB184_328:                            ;   in Loop: Header=BB184_12 Depth=1
	s_delay_alu instid0(SALU_CYCLE_1)
	s_or_b32 exec_lo, exec_lo, s43
.LBB184_329:                            ;   in Loop: Header=BB184_12 Depth=1
	s_delay_alu instid0(SALU_CYCLE_1) | instskip(SKIP_2) | instid1(VALU_DEP_1)
	s_or_b32 exec_lo, exec_lo, s42
	v_lshrrev_b16 v3, 8, v2
	s_mov_b32 s42, exec_lo
	v_cmpx_ne_u16_e32 0, v3
	s_cbranch_execz .LBB184_337
; %bb.330:                              ;   in Loop: Header=BB184_12 Depth=1
	v_mov_b64_e32 v[66:67], 0x8000000000000000
	s_mov_b32 s43, exec_lo
	v_cmpx_ne_u16_e32 0x80, v3
	s_cbranch_execz .LBB184_336
; %bb.331:                              ;   in Loop: Header=BB184_12 Depth=1
	v_and_b32_e32 v3, 0xffff, v3
	v_mov_b64_e32 v[66:67], 0x7f80000100000000
	s_mov_b32 s44, exec_lo
	s_delay_alu instid0(VALU_DEP_2) | instskip(NEXT) | instid1(VALU_DEP_1)
	v_and_b32_e32 v4, 0x7f, v3
	v_cmpx_ne_u32_e32 0x7f, v4
	s_cbranch_execz .LBB184_335
; %bb.332:                              ;   in Loop: Header=BB184_12 Depth=1
	v_dual_lshrrev_b32 v3, 3, v4 :: v_dual_bitop2_b32 v52, 7, v3 bitop3:0x40
	s_mov_b32 s45, exec_lo
	v_cmpx_gt_u32_e32 8, v4
; %bb.333:                              ;   in Loop: Header=BB184_12 Depth=1
	s_delay_alu instid0(VALU_DEP_2) | instskip(NEXT) | instid1(VALU_DEP_1)
	v_clz_i32_u32_e32 v3, v52
	v_min_u32_e32 v3, 32, v3
	s_delay_alu instid0(VALU_DEP_1) | instskip(NEXT) | instid1(VALU_DEP_1)
	v_subrev_nc_u32_e32 v4, 28, v3
	v_lshlrev_b64_e32 v[4:5], v4, v[52:53]
	s_delay_alu instid0(VALU_DEP_1)
	v_dual_sub_nc_u32 v3, 29, v3 :: v_dual_bitop2_b32 v52, 7, v4 bitop3:0x40
; %bb.334:                              ;   in Loop: Header=BB184_12 Depth=1
	s_or_b32 exec_lo, exec_lo, s45
	s_delay_alu instid0(VALU_DEP_1) | instskip(NEXT) | instid1(VALU_DEP_2)
	v_dual_lshlrev_b32 v2, 16, v2 :: v_dual_lshlrev_b32 v4, 20, v52
	v_lshl_add_u32 v3, v3, 23, 0x3c000000
	v_mov_b32_e32 v66, v53
	s_delay_alu instid0(VALU_DEP_3) | instskip(NEXT) | instid1(VALU_DEP_1)
	v_and_b32_e32 v2, 0x80000000, v2
	v_or3_b32 v67, v4, v2, v3
.LBB184_335:                            ;   in Loop: Header=BB184_12 Depth=1
	s_or_b32 exec_lo, exec_lo, s44
.LBB184_336:                            ;   in Loop: Header=BB184_12 Depth=1
	s_delay_alu instid0(SALU_CYCLE_1)
	s_or_b32 exec_lo, exec_lo, s43
.LBB184_337:                            ;   in Loop: Header=BB184_12 Depth=1
	s_delay_alu instid0(SALU_CYCLE_1)
	s_or_b32 exec_lo, exec_lo, s42
	global_load_u16 v2, v[70:71], off offset:1280
	v_mov_b64_e32 v[4:5], 0
	s_wait_loadcnt 0x0
	v_and_b32_e32 v6, 0xffff, v2
	v_and_b32_e32 v2, 0xff, v2
	s_delay_alu instid0(VALU_DEP_1)
	v_cmp_ne_u16_e64 s4, 0, v2
	v_mov_b64_e32 v[2:3], 0
	s_wait_xcnt 0x0
	s_and_saveexec_b32 s42, s4
	s_cbranch_execz .LBB184_345
; %bb.338:                              ;   in Loop: Header=BB184_12 Depth=1
	v_and_b32_e32 v4, 0xff, v6
	s_delay_alu instid0(VALU_DEP_1)
	v_cmp_ne_u16_e64 s4, 0x80, v4
	v_mov_b64_e32 v[4:5], 0x80000000
	s_and_saveexec_b32 s43, s4
	s_cbranch_execz .LBB184_344
; %bb.339:                              ;   in Loop: Header=BB184_12 Depth=1
	v_mov_b64_e32 v[4:5], 0x7f800001
	v_and_b32_e32 v7, 0x7f, v6
	s_mov_b32 s44, exec_lo
	s_delay_alu instid0(VALU_DEP_1)
	v_cmpx_ne_u32_e32 0x7f, v7
	s_cbranch_execz .LBB184_343
; %bb.340:                              ;   in Loop: Header=BB184_12 Depth=1
	v_dual_lshrrev_b32 v4, 3, v7 :: v_dual_bitop2_b32 v52, 7, v6 bitop3:0x40
	s_mov_b32 s45, exec_lo
	v_cmpx_gt_u32_e32 8, v7
; %bb.341:                              ;   in Loop: Header=BB184_12 Depth=1
	s_delay_alu instid0(VALU_DEP_2) | instskip(NEXT) | instid1(VALU_DEP_1)
	v_clz_i32_u32_e32 v4, v52
	v_min_u32_e32 v4, 32, v4
	s_delay_alu instid0(VALU_DEP_1) | instskip(SKIP_1) | instid1(VALU_DEP_2)
	v_subrev_nc_u32_e32 v5, 28, v4
	v_sub_nc_u32_e32 v4, 29, v4
	v_lshlrev_b64_e32 v[8:9], v5, v[52:53]
	s_delay_alu instid0(VALU_DEP_1)
	v_and_b32_e32 v52, 7, v8
; %bb.342:                              ;   in Loop: Header=BB184_12 Depth=1
	s_or_b32 exec_lo, exec_lo, s45
	s_delay_alu instid0(VALU_DEP_1) | instskip(SKIP_1) | instid1(VALU_DEP_2)
	v_dual_lshlrev_b32 v5, 24, v6 :: v_dual_lshlrev_b32 v7, 20, v52
	v_lshl_add_u32 v4, v4, 23, 0x3c000000
	v_and_b32_e32 v5, 0x80000000, v5
	s_delay_alu instid0(VALU_DEP_1) | instskip(NEXT) | instid1(VALU_DEP_1)
	v_or3_b32 v52, v7, v5, v4
	v_mov_b64_e32 v[4:5], v[52:53]
.LBB184_343:                            ;   in Loop: Header=BB184_12 Depth=1
	s_or_b32 exec_lo, exec_lo, s44
.LBB184_344:                            ;   in Loop: Header=BB184_12 Depth=1
	s_delay_alu instid0(SALU_CYCLE_1)
	s_or_b32 exec_lo, exec_lo, s43
.LBB184_345:                            ;   in Loop: Header=BB184_12 Depth=1
	s_delay_alu instid0(SALU_CYCLE_1) | instskip(SKIP_2) | instid1(VALU_DEP_1)
	s_or_b32 exec_lo, exec_lo, s42
	v_lshrrev_b16 v7, 8, v6
	s_mov_b32 s42, exec_lo
	v_cmpx_ne_u16_e32 0, v7
	s_cbranch_execz .LBB184_353
; %bb.346:                              ;   in Loop: Header=BB184_12 Depth=1
	v_mov_b64_e32 v[2:3], 0x8000000000000000
	s_mov_b32 s43, exec_lo
	v_cmpx_ne_u16_e32 0x80, v7
	s_cbranch_execz .LBB184_352
; %bb.347:                              ;   in Loop: Header=BB184_12 Depth=1
	v_and_b32_e32 v8, 0xffff, v7
	v_mov_b64_e32 v[2:3], 0x7f80000100000000
	s_mov_b32 s44, exec_lo
	s_delay_alu instid0(VALU_DEP_2) | instskip(NEXT) | instid1(VALU_DEP_1)
	v_and_b32_e32 v7, 0x7f, v8
	v_cmpx_ne_u32_e32 0x7f, v7
	s_cbranch_execz .LBB184_351
; %bb.348:                              ;   in Loop: Header=BB184_12 Depth=1
	v_dual_lshrrev_b32 v2, 3, v7 :: v_dual_bitop2_b32 v52, 7, v8 bitop3:0x40
	s_mov_b32 s45, exec_lo
	v_cmpx_gt_u32_e32 8, v7
; %bb.349:                              ;   in Loop: Header=BB184_12 Depth=1
	s_delay_alu instid0(VALU_DEP_2) | instskip(NEXT) | instid1(VALU_DEP_1)
	v_clz_i32_u32_e32 v2, v52
	v_min_u32_e32 v2, 32, v2
	s_delay_alu instid0(VALU_DEP_1) | instskip(NEXT) | instid1(VALU_DEP_1)
	v_subrev_nc_u32_e32 v3, 28, v2
	v_lshlrev_b64_e32 v[8:9], v3, v[52:53]
	s_delay_alu instid0(VALU_DEP_1)
	v_dual_sub_nc_u32 v2, 29, v2 :: v_dual_bitop2_b32 v52, 7, v8 bitop3:0x40
; %bb.350:                              ;   in Loop: Header=BB184_12 Depth=1
	s_or_b32 exec_lo, exec_lo, s45
	s_delay_alu instid0(VALU_DEP_1) | instskip(NEXT) | instid1(VALU_DEP_2)
	v_dual_lshlrev_b32 v3, 16, v6 :: v_dual_lshlrev_b32 v6, 20, v52
	v_lshl_add_u32 v2, v2, 23, 0x3c000000
	s_delay_alu instid0(VALU_DEP_2) | instskip(NEXT) | instid1(VALU_DEP_1)
	v_and_b32_e32 v3, 0x80000000, v3
	v_or3_b32 v3, v6, v3, v2
	v_mov_b32_e32 v2, v53
.LBB184_351:                            ;   in Loop: Header=BB184_12 Depth=1
	s_or_b32 exec_lo, exec_lo, s44
.LBB184_352:                            ;   in Loop: Header=BB184_12 Depth=1
	s_delay_alu instid0(SALU_CYCLE_1)
	s_or_b32 exec_lo, exec_lo, s43
.LBB184_353:                            ;   in Loop: Header=BB184_12 Depth=1
	s_delay_alu instid0(SALU_CYCLE_1)
	s_or_b32 exec_lo, exec_lo, s42
	global_load_u16 v6, v[70:71], off offset:1284
	v_mov_b64_e32 v[8:9], 0
	s_wait_loadcnt 0x0
	v_and_b32_e32 v10, 0xffff, v6
	v_and_b32_e32 v6, 0xff, v6
	s_delay_alu instid0(VALU_DEP_1)
	v_cmp_ne_u16_e64 s4, 0, v6
	v_mov_b64_e32 v[6:7], 0
	s_wait_xcnt 0x0
	s_and_saveexec_b32 s42, s4
	s_cbranch_execz .LBB184_361
; %bb.354:                              ;   in Loop: Header=BB184_12 Depth=1
	v_and_b32_e32 v8, 0xff, v10
	s_delay_alu instid0(VALU_DEP_1)
	v_cmp_ne_u16_e64 s4, 0x80, v8
	v_mov_b64_e32 v[8:9], 0x80000000
	s_and_saveexec_b32 s43, s4
	s_cbranch_execz .LBB184_360
; %bb.355:                              ;   in Loop: Header=BB184_12 Depth=1
	v_mov_b64_e32 v[8:9], 0x7f800001
	v_and_b32_e32 v11, 0x7f, v10
	s_mov_b32 s44, exec_lo
	s_delay_alu instid0(VALU_DEP_1)
	v_cmpx_ne_u32_e32 0x7f, v11
	s_cbranch_execz .LBB184_359
; %bb.356:                              ;   in Loop: Header=BB184_12 Depth=1
	v_dual_lshrrev_b32 v8, 3, v11 :: v_dual_bitop2_b32 v52, 7, v10 bitop3:0x40
	s_mov_b32 s45, exec_lo
	v_cmpx_gt_u32_e32 8, v11
; %bb.357:                              ;   in Loop: Header=BB184_12 Depth=1
	s_delay_alu instid0(VALU_DEP_2) | instskip(NEXT) | instid1(VALU_DEP_1)
	v_clz_i32_u32_e32 v8, v52
	v_min_u32_e32 v8, 32, v8
	s_delay_alu instid0(VALU_DEP_1) | instskip(SKIP_1) | instid1(VALU_DEP_2)
	v_subrev_nc_u32_e32 v9, 28, v8
	v_sub_nc_u32_e32 v8, 29, v8
	v_lshlrev_b64_e32 v[12:13], v9, v[52:53]
	s_delay_alu instid0(VALU_DEP_1)
	v_and_b32_e32 v52, 7, v12
; %bb.358:                              ;   in Loop: Header=BB184_12 Depth=1
	s_or_b32 exec_lo, exec_lo, s45
	s_delay_alu instid0(VALU_DEP_1) | instskip(SKIP_1) | instid1(VALU_DEP_2)
	v_dual_lshlrev_b32 v9, 24, v10 :: v_dual_lshlrev_b32 v11, 20, v52
	v_lshl_add_u32 v8, v8, 23, 0x3c000000
	v_and_b32_e32 v9, 0x80000000, v9
	s_delay_alu instid0(VALU_DEP_1) | instskip(NEXT) | instid1(VALU_DEP_1)
	v_or3_b32 v52, v11, v9, v8
	v_mov_b64_e32 v[8:9], v[52:53]
.LBB184_359:                            ;   in Loop: Header=BB184_12 Depth=1
	s_or_b32 exec_lo, exec_lo, s44
.LBB184_360:                            ;   in Loop: Header=BB184_12 Depth=1
	s_delay_alu instid0(SALU_CYCLE_1)
	s_or_b32 exec_lo, exec_lo, s43
.LBB184_361:                            ;   in Loop: Header=BB184_12 Depth=1
	s_delay_alu instid0(SALU_CYCLE_1) | instskip(SKIP_2) | instid1(VALU_DEP_1)
	s_or_b32 exec_lo, exec_lo, s42
	v_lshrrev_b16 v11, 8, v10
	s_mov_b32 s42, exec_lo
	v_cmpx_ne_u16_e32 0, v11
	s_cbranch_execz .LBB184_369
; %bb.362:                              ;   in Loop: Header=BB184_12 Depth=1
	v_mov_b64_e32 v[6:7], 0x8000000000000000
	s_mov_b32 s43, exec_lo
	v_cmpx_ne_u16_e32 0x80, v11
	s_cbranch_execz .LBB184_368
; %bb.363:                              ;   in Loop: Header=BB184_12 Depth=1
	v_and_b32_e32 v12, 0xffff, v11
	v_mov_b64_e32 v[6:7], 0x7f80000100000000
	s_mov_b32 s44, exec_lo
	s_delay_alu instid0(VALU_DEP_2) | instskip(NEXT) | instid1(VALU_DEP_1)
	v_and_b32_e32 v11, 0x7f, v12
	v_cmpx_ne_u32_e32 0x7f, v11
	s_cbranch_execz .LBB184_367
; %bb.364:                              ;   in Loop: Header=BB184_12 Depth=1
	v_dual_lshrrev_b32 v6, 3, v11 :: v_dual_bitop2_b32 v52, 7, v12 bitop3:0x40
	s_mov_b32 s45, exec_lo
	v_cmpx_gt_u32_e32 8, v11
; %bb.365:                              ;   in Loop: Header=BB184_12 Depth=1
	s_delay_alu instid0(VALU_DEP_2) | instskip(NEXT) | instid1(VALU_DEP_1)
	v_clz_i32_u32_e32 v6, v52
	v_min_u32_e32 v6, 32, v6
	s_delay_alu instid0(VALU_DEP_1) | instskip(NEXT) | instid1(VALU_DEP_1)
	v_subrev_nc_u32_e32 v7, 28, v6
	v_lshlrev_b64_e32 v[12:13], v7, v[52:53]
	s_delay_alu instid0(VALU_DEP_1)
	v_dual_sub_nc_u32 v6, 29, v6 :: v_dual_bitop2_b32 v52, 7, v12 bitop3:0x40
; %bb.366:                              ;   in Loop: Header=BB184_12 Depth=1
	s_or_b32 exec_lo, exec_lo, s45
	s_delay_alu instid0(VALU_DEP_1) | instskip(NEXT) | instid1(VALU_DEP_2)
	v_dual_lshlrev_b32 v7, 16, v10 :: v_dual_lshlrev_b32 v10, 20, v52
	v_lshl_add_u32 v6, v6, 23, 0x3c000000
	s_delay_alu instid0(VALU_DEP_2) | instskip(NEXT) | instid1(VALU_DEP_1)
	v_and_b32_e32 v7, 0x80000000, v7
	v_or3_b32 v7, v10, v7, v6
	v_mov_b32_e32 v6, v53
.LBB184_367:                            ;   in Loop: Header=BB184_12 Depth=1
	s_or_b32 exec_lo, exec_lo, s44
.LBB184_368:                            ;   in Loop: Header=BB184_12 Depth=1
	s_delay_alu instid0(SALU_CYCLE_1)
	s_or_b32 exec_lo, exec_lo, s43
.LBB184_369:                            ;   in Loop: Header=BB184_12 Depth=1
	s_delay_alu instid0(SALU_CYCLE_1)
	s_or_b32 exec_lo, exec_lo, s42
	global_load_u16 v10, v[70:71], off offset:1288
	v_mov_b64_e32 v[12:13], 0
	s_wait_loadcnt 0x0
	v_and_b32_e32 v14, 0xffff, v10
	v_and_b32_e32 v10, 0xff, v10
	s_delay_alu instid0(VALU_DEP_1)
	v_cmp_ne_u16_e64 s4, 0, v10
	v_mov_b64_e32 v[10:11], 0
	s_wait_xcnt 0x0
	s_and_saveexec_b32 s42, s4
	s_cbranch_execz .LBB184_377
; %bb.370:                              ;   in Loop: Header=BB184_12 Depth=1
	v_and_b32_e32 v12, 0xff, v14
	s_delay_alu instid0(VALU_DEP_1)
	v_cmp_ne_u16_e64 s4, 0x80, v12
	v_mov_b64_e32 v[12:13], 0x80000000
	s_and_saveexec_b32 s43, s4
	s_cbranch_execz .LBB184_376
; %bb.371:                              ;   in Loop: Header=BB184_12 Depth=1
	v_mov_b64_e32 v[12:13], 0x7f800001
	v_and_b32_e32 v15, 0x7f, v14
	s_mov_b32 s44, exec_lo
	s_delay_alu instid0(VALU_DEP_1)
	v_cmpx_ne_u32_e32 0x7f, v15
	s_cbranch_execz .LBB184_375
; %bb.372:                              ;   in Loop: Header=BB184_12 Depth=1
	v_dual_lshrrev_b32 v12, 3, v15 :: v_dual_bitop2_b32 v52, 7, v14 bitop3:0x40
	s_mov_b32 s45, exec_lo
	v_cmpx_gt_u32_e32 8, v15
; %bb.373:                              ;   in Loop: Header=BB184_12 Depth=1
	s_delay_alu instid0(VALU_DEP_2) | instskip(NEXT) | instid1(VALU_DEP_1)
	v_clz_i32_u32_e32 v12, v52
	v_min_u32_e32 v12, 32, v12
	s_delay_alu instid0(VALU_DEP_1) | instskip(SKIP_1) | instid1(VALU_DEP_2)
	v_subrev_nc_u32_e32 v13, 28, v12
	v_sub_nc_u32_e32 v12, 29, v12
	v_lshlrev_b64_e32 v[16:17], v13, v[52:53]
	s_delay_alu instid0(VALU_DEP_1)
	v_and_b32_e32 v52, 7, v16
; %bb.374:                              ;   in Loop: Header=BB184_12 Depth=1
	s_or_b32 exec_lo, exec_lo, s45
	s_delay_alu instid0(VALU_DEP_1) | instskip(SKIP_1) | instid1(VALU_DEP_2)
	v_dual_lshlrev_b32 v13, 24, v14 :: v_dual_lshlrev_b32 v15, 20, v52
	v_lshl_add_u32 v12, v12, 23, 0x3c000000
	v_and_b32_e32 v13, 0x80000000, v13
	s_delay_alu instid0(VALU_DEP_1) | instskip(NEXT) | instid1(VALU_DEP_1)
	v_or3_b32 v52, v15, v13, v12
	v_mov_b64_e32 v[12:13], v[52:53]
.LBB184_375:                            ;   in Loop: Header=BB184_12 Depth=1
	s_or_b32 exec_lo, exec_lo, s44
.LBB184_376:                            ;   in Loop: Header=BB184_12 Depth=1
	s_delay_alu instid0(SALU_CYCLE_1)
	s_or_b32 exec_lo, exec_lo, s43
.LBB184_377:                            ;   in Loop: Header=BB184_12 Depth=1
	s_delay_alu instid0(SALU_CYCLE_1) | instskip(SKIP_2) | instid1(VALU_DEP_1)
	s_or_b32 exec_lo, exec_lo, s42
	v_lshrrev_b16 v15, 8, v14
	s_mov_b32 s42, exec_lo
	v_cmpx_ne_u16_e32 0, v15
	s_cbranch_execz .LBB184_385
; %bb.378:                              ;   in Loop: Header=BB184_12 Depth=1
	v_mov_b64_e32 v[10:11], 0x8000000000000000
	s_mov_b32 s43, exec_lo
	v_cmpx_ne_u16_e32 0x80, v15
	s_cbranch_execz .LBB184_384
; %bb.379:                              ;   in Loop: Header=BB184_12 Depth=1
	v_and_b32_e32 v16, 0xffff, v15
	v_mov_b64_e32 v[10:11], 0x7f80000100000000
	s_mov_b32 s44, exec_lo
	s_delay_alu instid0(VALU_DEP_2) | instskip(NEXT) | instid1(VALU_DEP_1)
	v_and_b32_e32 v15, 0x7f, v16
	v_cmpx_ne_u32_e32 0x7f, v15
	s_cbranch_execz .LBB184_383
; %bb.380:                              ;   in Loop: Header=BB184_12 Depth=1
	v_dual_lshrrev_b32 v10, 3, v15 :: v_dual_bitop2_b32 v52, 7, v16 bitop3:0x40
	s_mov_b32 s45, exec_lo
	v_cmpx_gt_u32_e32 8, v15
; %bb.381:                              ;   in Loop: Header=BB184_12 Depth=1
	s_delay_alu instid0(VALU_DEP_2) | instskip(NEXT) | instid1(VALU_DEP_1)
	v_clz_i32_u32_e32 v10, v52
	v_min_u32_e32 v10, 32, v10
	s_delay_alu instid0(VALU_DEP_1) | instskip(NEXT) | instid1(VALU_DEP_1)
	v_subrev_nc_u32_e32 v11, 28, v10
	v_lshlrev_b64_e32 v[16:17], v11, v[52:53]
	s_delay_alu instid0(VALU_DEP_1)
	v_dual_sub_nc_u32 v10, 29, v10 :: v_dual_bitop2_b32 v52, 7, v16 bitop3:0x40
; %bb.382:                              ;   in Loop: Header=BB184_12 Depth=1
	s_or_b32 exec_lo, exec_lo, s45
	s_delay_alu instid0(VALU_DEP_1) | instskip(NEXT) | instid1(VALU_DEP_2)
	v_dual_lshlrev_b32 v11, 16, v14 :: v_dual_lshlrev_b32 v14, 20, v52
	v_lshl_add_u32 v10, v10, 23, 0x3c000000
	s_delay_alu instid0(VALU_DEP_2) | instskip(NEXT) | instid1(VALU_DEP_1)
	v_and_b32_e32 v11, 0x80000000, v11
	v_or3_b32 v11, v14, v11, v10
	v_mov_b32_e32 v10, v53
.LBB184_383:                            ;   in Loop: Header=BB184_12 Depth=1
	s_or_b32 exec_lo, exec_lo, s44
.LBB184_384:                            ;   in Loop: Header=BB184_12 Depth=1
	s_delay_alu instid0(SALU_CYCLE_1)
	s_or_b32 exec_lo, exec_lo, s43
.LBB184_385:                            ;   in Loop: Header=BB184_12 Depth=1
	s_delay_alu instid0(SALU_CYCLE_1)
	s_or_b32 exec_lo, exec_lo, s42
	global_load_u16 v14, v[70:71], off offset:1292
	v_mov_b64_e32 v[16:17], 0
	s_wait_loadcnt 0x0
	v_and_b32_e32 v18, 0xffff, v14
	v_and_b32_e32 v14, 0xff, v14
	s_delay_alu instid0(VALU_DEP_1)
	v_cmp_ne_u16_e64 s4, 0, v14
	v_mov_b64_e32 v[14:15], 0
	s_wait_xcnt 0x0
	s_and_saveexec_b32 s42, s4
	s_cbranch_execz .LBB184_393
; %bb.386:                              ;   in Loop: Header=BB184_12 Depth=1
	v_and_b32_e32 v16, 0xff, v18
	s_delay_alu instid0(VALU_DEP_1)
	v_cmp_ne_u16_e64 s4, 0x80, v16
	v_mov_b64_e32 v[16:17], 0x80000000
	s_and_saveexec_b32 s43, s4
	s_cbranch_execz .LBB184_392
; %bb.387:                              ;   in Loop: Header=BB184_12 Depth=1
	v_mov_b64_e32 v[16:17], 0x7f800001
	v_and_b32_e32 v19, 0x7f, v18
	s_mov_b32 s44, exec_lo
	s_delay_alu instid0(VALU_DEP_1)
	v_cmpx_ne_u32_e32 0x7f, v19
	s_cbranch_execz .LBB184_391
; %bb.388:                              ;   in Loop: Header=BB184_12 Depth=1
	v_dual_lshrrev_b32 v16, 3, v19 :: v_dual_bitop2_b32 v52, 7, v18 bitop3:0x40
	s_mov_b32 s45, exec_lo
	v_cmpx_gt_u32_e32 8, v19
; %bb.389:                              ;   in Loop: Header=BB184_12 Depth=1
	s_delay_alu instid0(VALU_DEP_2) | instskip(NEXT) | instid1(VALU_DEP_1)
	v_clz_i32_u32_e32 v16, v52
	v_min_u32_e32 v16, 32, v16
	s_delay_alu instid0(VALU_DEP_1) | instskip(SKIP_1) | instid1(VALU_DEP_2)
	v_subrev_nc_u32_e32 v17, 28, v16
	v_sub_nc_u32_e32 v16, 29, v16
	v_lshlrev_b64_e32 v[20:21], v17, v[52:53]
	s_delay_alu instid0(VALU_DEP_1)
	v_and_b32_e32 v52, 7, v20
; %bb.390:                              ;   in Loop: Header=BB184_12 Depth=1
	s_or_b32 exec_lo, exec_lo, s45
	s_delay_alu instid0(VALU_DEP_1) | instskip(SKIP_1) | instid1(VALU_DEP_2)
	v_dual_lshlrev_b32 v17, 24, v18 :: v_dual_lshlrev_b32 v19, 20, v52
	v_lshl_add_u32 v16, v16, 23, 0x3c000000
	v_and_b32_e32 v17, 0x80000000, v17
	s_delay_alu instid0(VALU_DEP_1) | instskip(NEXT) | instid1(VALU_DEP_1)
	v_or3_b32 v52, v19, v17, v16
	v_mov_b64_e32 v[16:17], v[52:53]
.LBB184_391:                            ;   in Loop: Header=BB184_12 Depth=1
	s_or_b32 exec_lo, exec_lo, s44
.LBB184_392:                            ;   in Loop: Header=BB184_12 Depth=1
	s_delay_alu instid0(SALU_CYCLE_1)
	s_or_b32 exec_lo, exec_lo, s43
.LBB184_393:                            ;   in Loop: Header=BB184_12 Depth=1
	s_delay_alu instid0(SALU_CYCLE_1) | instskip(SKIP_2) | instid1(VALU_DEP_1)
	s_or_b32 exec_lo, exec_lo, s42
	v_lshrrev_b16 v19, 8, v18
	s_mov_b32 s42, exec_lo
	v_cmpx_ne_u16_e32 0, v19
	s_cbranch_execz .LBB184_401
; %bb.394:                              ;   in Loop: Header=BB184_12 Depth=1
	v_mov_b64_e32 v[14:15], 0x8000000000000000
	s_mov_b32 s43, exec_lo
	v_cmpx_ne_u16_e32 0x80, v19
	s_cbranch_execz .LBB184_400
; %bb.395:                              ;   in Loop: Header=BB184_12 Depth=1
	v_and_b32_e32 v20, 0xffff, v19
	v_mov_b64_e32 v[14:15], 0x7f80000100000000
	s_mov_b32 s44, exec_lo
	s_delay_alu instid0(VALU_DEP_2) | instskip(NEXT) | instid1(VALU_DEP_1)
	v_and_b32_e32 v19, 0x7f, v20
	v_cmpx_ne_u32_e32 0x7f, v19
	s_cbranch_execz .LBB184_399
; %bb.396:                              ;   in Loop: Header=BB184_12 Depth=1
	v_dual_lshrrev_b32 v14, 3, v19 :: v_dual_bitop2_b32 v52, 7, v20 bitop3:0x40
	s_mov_b32 s45, exec_lo
	v_cmpx_gt_u32_e32 8, v19
; %bb.397:                              ;   in Loop: Header=BB184_12 Depth=1
	s_delay_alu instid0(VALU_DEP_2) | instskip(NEXT) | instid1(VALU_DEP_1)
	v_clz_i32_u32_e32 v14, v52
	v_min_u32_e32 v14, 32, v14
	s_delay_alu instid0(VALU_DEP_1) | instskip(NEXT) | instid1(VALU_DEP_1)
	v_subrev_nc_u32_e32 v15, 28, v14
	v_lshlrev_b64_e32 v[20:21], v15, v[52:53]
	s_delay_alu instid0(VALU_DEP_1)
	v_dual_sub_nc_u32 v14, 29, v14 :: v_dual_bitop2_b32 v52, 7, v20 bitop3:0x40
; %bb.398:                              ;   in Loop: Header=BB184_12 Depth=1
	s_or_b32 exec_lo, exec_lo, s45
	s_delay_alu instid0(VALU_DEP_1) | instskip(NEXT) | instid1(VALU_DEP_2)
	v_dual_lshlrev_b32 v15, 16, v18 :: v_dual_lshlrev_b32 v18, 20, v52
	v_lshl_add_u32 v14, v14, 23, 0x3c000000
	s_delay_alu instid0(VALU_DEP_2) | instskip(NEXT) | instid1(VALU_DEP_1)
	v_and_b32_e32 v15, 0x80000000, v15
	v_or3_b32 v15, v18, v15, v14
	v_mov_b32_e32 v14, v53
.LBB184_399:                            ;   in Loop: Header=BB184_12 Depth=1
	s_or_b32 exec_lo, exec_lo, s44
.LBB184_400:                            ;   in Loop: Header=BB184_12 Depth=1
	s_delay_alu instid0(SALU_CYCLE_1)
	s_or_b32 exec_lo, exec_lo, s43
.LBB184_401:                            ;   in Loop: Header=BB184_12 Depth=1
	s_delay_alu instid0(SALU_CYCLE_1)
	s_or_b32 exec_lo, exec_lo, s42
	global_load_u16 v18, v[70:71], off offset:1536
	v_mov_b64_e32 v[20:21], 0
	s_wait_loadcnt 0x0
	v_and_b32_e32 v22, 0xffff, v18
	v_and_b32_e32 v18, 0xff, v18
	s_delay_alu instid0(VALU_DEP_1)
	v_cmp_ne_u16_e64 s4, 0, v18
	v_mov_b64_e32 v[18:19], 0
	s_wait_xcnt 0x0
	s_and_saveexec_b32 s42, s4
	s_cbranch_execz .LBB184_409
; %bb.402:                              ;   in Loop: Header=BB184_12 Depth=1
	v_and_b32_e32 v20, 0xff, v22
	s_delay_alu instid0(VALU_DEP_1)
	v_cmp_ne_u16_e64 s4, 0x80, v20
	v_mov_b64_e32 v[20:21], 0x80000000
	s_and_saveexec_b32 s43, s4
	s_cbranch_execz .LBB184_408
; %bb.403:                              ;   in Loop: Header=BB184_12 Depth=1
	v_mov_b64_e32 v[20:21], 0x7f800001
	v_and_b32_e32 v23, 0x7f, v22
	s_mov_b32 s44, exec_lo
	s_delay_alu instid0(VALU_DEP_1)
	v_cmpx_ne_u32_e32 0x7f, v23
	s_cbranch_execz .LBB184_407
; %bb.404:                              ;   in Loop: Header=BB184_12 Depth=1
	v_dual_lshrrev_b32 v20, 3, v23 :: v_dual_bitop2_b32 v52, 7, v22 bitop3:0x40
	s_mov_b32 s45, exec_lo
	v_cmpx_gt_u32_e32 8, v23
; %bb.405:                              ;   in Loop: Header=BB184_12 Depth=1
	s_delay_alu instid0(VALU_DEP_2) | instskip(NEXT) | instid1(VALU_DEP_1)
	v_clz_i32_u32_e32 v20, v52
	v_min_u32_e32 v20, 32, v20
	s_delay_alu instid0(VALU_DEP_1) | instskip(SKIP_1) | instid1(VALU_DEP_2)
	v_subrev_nc_u32_e32 v21, 28, v20
	v_sub_nc_u32_e32 v20, 29, v20
	v_lshlrev_b64_e32 v[24:25], v21, v[52:53]
	s_delay_alu instid0(VALU_DEP_1)
	v_and_b32_e32 v52, 7, v24
; %bb.406:                              ;   in Loop: Header=BB184_12 Depth=1
	s_or_b32 exec_lo, exec_lo, s45
	s_delay_alu instid0(VALU_DEP_1) | instskip(SKIP_1) | instid1(VALU_DEP_2)
	v_dual_lshlrev_b32 v21, 24, v22 :: v_dual_lshlrev_b32 v23, 20, v52
	v_lshl_add_u32 v20, v20, 23, 0x3c000000
	v_and_b32_e32 v21, 0x80000000, v21
	s_delay_alu instid0(VALU_DEP_1) | instskip(NEXT) | instid1(VALU_DEP_1)
	v_or3_b32 v52, v23, v21, v20
	v_mov_b64_e32 v[20:21], v[52:53]
.LBB184_407:                            ;   in Loop: Header=BB184_12 Depth=1
	s_or_b32 exec_lo, exec_lo, s44
.LBB184_408:                            ;   in Loop: Header=BB184_12 Depth=1
	s_delay_alu instid0(SALU_CYCLE_1)
	s_or_b32 exec_lo, exec_lo, s43
.LBB184_409:                            ;   in Loop: Header=BB184_12 Depth=1
	s_delay_alu instid0(SALU_CYCLE_1) | instskip(SKIP_2) | instid1(VALU_DEP_1)
	s_or_b32 exec_lo, exec_lo, s42
	v_lshrrev_b16 v23, 8, v22
	s_mov_b32 s42, exec_lo
	v_cmpx_ne_u16_e32 0, v23
	s_cbranch_execz .LBB184_417
; %bb.410:                              ;   in Loop: Header=BB184_12 Depth=1
	v_mov_b64_e32 v[18:19], 0x8000000000000000
	s_mov_b32 s43, exec_lo
	v_cmpx_ne_u16_e32 0x80, v23
	s_cbranch_execz .LBB184_416
; %bb.411:                              ;   in Loop: Header=BB184_12 Depth=1
	v_and_b32_e32 v24, 0xffff, v23
	v_mov_b64_e32 v[18:19], 0x7f80000100000000
	s_mov_b32 s44, exec_lo
	s_delay_alu instid0(VALU_DEP_2) | instskip(NEXT) | instid1(VALU_DEP_1)
	v_and_b32_e32 v23, 0x7f, v24
	v_cmpx_ne_u32_e32 0x7f, v23
	s_cbranch_execz .LBB184_415
; %bb.412:                              ;   in Loop: Header=BB184_12 Depth=1
	v_dual_lshrrev_b32 v18, 3, v23 :: v_dual_bitop2_b32 v52, 7, v24 bitop3:0x40
	s_mov_b32 s45, exec_lo
	v_cmpx_gt_u32_e32 8, v23
; %bb.413:                              ;   in Loop: Header=BB184_12 Depth=1
	s_delay_alu instid0(VALU_DEP_2) | instskip(NEXT) | instid1(VALU_DEP_1)
	v_clz_i32_u32_e32 v18, v52
	v_min_u32_e32 v18, 32, v18
	s_delay_alu instid0(VALU_DEP_1) | instskip(NEXT) | instid1(VALU_DEP_1)
	v_subrev_nc_u32_e32 v19, 28, v18
	v_lshlrev_b64_e32 v[24:25], v19, v[52:53]
	s_delay_alu instid0(VALU_DEP_1)
	v_dual_sub_nc_u32 v18, 29, v18 :: v_dual_bitop2_b32 v52, 7, v24 bitop3:0x40
; %bb.414:                              ;   in Loop: Header=BB184_12 Depth=1
	s_or_b32 exec_lo, exec_lo, s45
	s_delay_alu instid0(VALU_DEP_1) | instskip(NEXT) | instid1(VALU_DEP_2)
	v_dual_lshlrev_b32 v19, 16, v22 :: v_dual_lshlrev_b32 v22, 20, v52
	v_lshl_add_u32 v18, v18, 23, 0x3c000000
	s_delay_alu instid0(VALU_DEP_2) | instskip(NEXT) | instid1(VALU_DEP_1)
	v_and_b32_e32 v19, 0x80000000, v19
	v_or3_b32 v19, v22, v19, v18
	v_mov_b32_e32 v18, v53
.LBB184_415:                            ;   in Loop: Header=BB184_12 Depth=1
	s_or_b32 exec_lo, exec_lo, s44
.LBB184_416:                            ;   in Loop: Header=BB184_12 Depth=1
	s_delay_alu instid0(SALU_CYCLE_1)
	s_or_b32 exec_lo, exec_lo, s43
.LBB184_417:                            ;   in Loop: Header=BB184_12 Depth=1
	s_delay_alu instid0(SALU_CYCLE_1)
	s_or_b32 exec_lo, exec_lo, s42
	global_load_u16 v23, v[70:71], off offset:1540
	v_mov_b64_e32 v[78:79], 0
	v_mov_b64_e32 v[72:73], 0
	s_mov_b32 s42, exec_lo
	s_wait_loadcnt 0x0
	v_and_b32_e32 v22, 0xffff, v23
	v_and_b32_e32 v23, 0xff, v23
	s_wait_xcnt 0x0
	s_delay_alu instid0(VALU_DEP_1)
	v_cmpx_ne_u16_e32 0, v23
	s_cbranch_execz .LBB184_425
; %bb.418:                              ;   in Loop: Header=BB184_12 Depth=1
	v_mov_b64_e32 v[72:73], 0x80000000
	v_and_b32_e32 v23, 0xff, v22
	s_mov_b32 s43, exec_lo
	s_delay_alu instid0(VALU_DEP_1)
	v_cmpx_ne_u16_e32 0x80, v23
	s_cbranch_execz .LBB184_424
; %bb.419:                              ;   in Loop: Header=BB184_12 Depth=1
	v_mov_b64_e32 v[72:73], 0x7f800001
	v_and_b32_e32 v24, 0x7f, v22
	s_mov_b32 s44, exec_lo
	s_delay_alu instid0(VALU_DEP_1)
	v_cmpx_ne_u32_e32 0x7f, v24
	s_cbranch_execz .LBB184_423
; %bb.420:                              ;   in Loop: Header=BB184_12 Depth=1
	v_dual_lshrrev_b32 v23, 3, v24 :: v_dual_bitop2_b32 v52, 7, v22 bitop3:0x40
	s_mov_b32 s45, exec_lo
	v_cmpx_gt_u32_e32 8, v24
; %bb.421:                              ;   in Loop: Header=BB184_12 Depth=1
	s_delay_alu instid0(VALU_DEP_2) | instskip(NEXT) | instid1(VALU_DEP_1)
	v_clz_i32_u32_e32 v23, v52
	v_min_u32_e32 v23, 32, v23
	s_delay_alu instid0(VALU_DEP_1) | instskip(NEXT) | instid1(VALU_DEP_1)
	v_subrev_nc_u32_e32 v24, 28, v23
	v_lshlrev_b64_e32 v[24:25], v24, v[52:53]
	s_delay_alu instid0(VALU_DEP_1)
	v_dual_sub_nc_u32 v23, 29, v23 :: v_dual_bitop2_b32 v52, 7, v24 bitop3:0x40
; %bb.422:                              ;   in Loop: Header=BB184_12 Depth=1
	s_or_b32 exec_lo, exec_lo, s45
	s_delay_alu instid0(VALU_DEP_1) | instskip(NEXT) | instid1(VALU_DEP_2)
	v_dual_lshlrev_b32 v24, 24, v22 :: v_dual_lshlrev_b32 v25, 20, v52
	v_lshl_add_u32 v23, v23, 23, 0x3c000000
	s_delay_alu instid0(VALU_DEP_2) | instskip(NEXT) | instid1(VALU_DEP_1)
	v_and_b32_e32 v24, 0x80000000, v24
	v_or3_b32 v52, v25, v24, v23
	s_delay_alu instid0(VALU_DEP_1)
	v_mov_b64_e32 v[72:73], v[52:53]
.LBB184_423:                            ;   in Loop: Header=BB184_12 Depth=1
	s_or_b32 exec_lo, exec_lo, s44
.LBB184_424:                            ;   in Loop: Header=BB184_12 Depth=1
	s_delay_alu instid0(SALU_CYCLE_1)
	s_or_b32 exec_lo, exec_lo, s43
.LBB184_425:                            ;   in Loop: Header=BB184_12 Depth=1
	s_delay_alu instid0(SALU_CYCLE_1) | instskip(SKIP_2) | instid1(VALU_DEP_1)
	s_or_b32 exec_lo, exec_lo, s42
	v_lshrrev_b16 v23, 8, v22
	s_mov_b32 s42, exec_lo
	v_cmpx_ne_u16_e32 0, v23
	s_cbranch_execz .LBB184_433
; %bb.426:                              ;   in Loop: Header=BB184_12 Depth=1
	v_mov_b64_e32 v[78:79], 0x8000000000000000
	s_mov_b32 s43, exec_lo
	v_cmpx_ne_u16_e32 0x80, v23
	s_cbranch_execz .LBB184_432
; %bb.427:                              ;   in Loop: Header=BB184_12 Depth=1
	v_and_b32_e32 v23, 0xffff, v23
	v_mov_b64_e32 v[78:79], 0x7f80000100000000
	s_mov_b32 s44, exec_lo
	s_delay_alu instid0(VALU_DEP_2) | instskip(NEXT) | instid1(VALU_DEP_1)
	v_and_b32_e32 v24, 0x7f, v23
	v_cmpx_ne_u32_e32 0x7f, v24
	s_cbranch_execz .LBB184_431
; %bb.428:                              ;   in Loop: Header=BB184_12 Depth=1
	v_dual_lshrrev_b32 v23, 3, v24 :: v_dual_bitop2_b32 v52, 7, v23 bitop3:0x40
	s_mov_b32 s45, exec_lo
	v_cmpx_gt_u32_e32 8, v24
; %bb.429:                              ;   in Loop: Header=BB184_12 Depth=1
	s_delay_alu instid0(VALU_DEP_2) | instskip(NEXT) | instid1(VALU_DEP_1)
	v_clz_i32_u32_e32 v23, v52
	v_min_u32_e32 v23, 32, v23
	s_delay_alu instid0(VALU_DEP_1) | instskip(NEXT) | instid1(VALU_DEP_1)
	v_subrev_nc_u32_e32 v24, 28, v23
	v_lshlrev_b64_e32 v[24:25], v24, v[52:53]
	s_delay_alu instid0(VALU_DEP_1)
	v_dual_sub_nc_u32 v23, 29, v23 :: v_dual_bitop2_b32 v52, 7, v24 bitop3:0x40
; %bb.430:                              ;   in Loop: Header=BB184_12 Depth=1
	s_or_b32 exec_lo, exec_lo, s45
	s_delay_alu instid0(VALU_DEP_1) | instskip(NEXT) | instid1(VALU_DEP_2)
	v_dual_lshlrev_b32 v22, 16, v22 :: v_dual_lshlrev_b32 v24, 20, v52
	v_lshl_add_u32 v23, v23, 23, 0x3c000000
	v_mov_b32_e32 v78, v53
	s_delay_alu instid0(VALU_DEP_3) | instskip(NEXT) | instid1(VALU_DEP_1)
	v_and_b32_e32 v22, 0x80000000, v22
	v_or3_b32 v79, v24, v22, v23
.LBB184_431:                            ;   in Loop: Header=BB184_12 Depth=1
	s_or_b32 exec_lo, exec_lo, s44
.LBB184_432:                            ;   in Loop: Header=BB184_12 Depth=1
	s_delay_alu instid0(SALU_CYCLE_1)
	s_or_b32 exec_lo, exec_lo, s43
.LBB184_433:                            ;   in Loop: Header=BB184_12 Depth=1
	s_delay_alu instid0(SALU_CYCLE_1)
	s_or_b32 exec_lo, exec_lo, s42
	global_load_u16 v23, v[70:71], off offset:1544
	v_mov_b64_e32 v[26:27], 0
	v_mov_b64_e32 v[28:29], 0
	s_mov_b32 s42, exec_lo
	s_wait_loadcnt 0x0
	v_and_b32_e32 v22, 0xffff, v23
	v_and_b32_e32 v23, 0xff, v23
	s_wait_xcnt 0x0
	s_delay_alu instid0(VALU_DEP_1)
	v_cmpx_ne_u16_e32 0, v23
	s_cbranch_execz .LBB184_441
; %bb.434:                              ;   in Loop: Header=BB184_12 Depth=1
	v_mov_b64_e32 v[28:29], 0x80000000
	v_and_b32_e32 v23, 0xff, v22
	s_mov_b32 s43, exec_lo
	s_delay_alu instid0(VALU_DEP_1)
	v_cmpx_ne_u16_e32 0x80, v23
	s_cbranch_execz .LBB184_440
; %bb.435:                              ;   in Loop: Header=BB184_12 Depth=1
	v_mov_b64_e32 v[28:29], 0x7f800001
	v_and_b32_e32 v24, 0x7f, v22
	s_mov_b32 s44, exec_lo
	s_delay_alu instid0(VALU_DEP_1)
	v_cmpx_ne_u32_e32 0x7f, v24
	s_cbranch_execz .LBB184_439
; %bb.436:                              ;   in Loop: Header=BB184_12 Depth=1
	v_dual_lshrrev_b32 v23, 3, v24 :: v_dual_bitop2_b32 v52, 7, v22 bitop3:0x40
	s_mov_b32 s45, exec_lo
	v_cmpx_gt_u32_e32 8, v24
; %bb.437:                              ;   in Loop: Header=BB184_12 Depth=1
	s_delay_alu instid0(VALU_DEP_2) | instskip(NEXT) | instid1(VALU_DEP_1)
	v_clz_i32_u32_e32 v23, v52
	v_min_u32_e32 v23, 32, v23
	s_delay_alu instid0(VALU_DEP_1) | instskip(NEXT) | instid1(VALU_DEP_1)
	v_subrev_nc_u32_e32 v24, 28, v23
	v_lshlrev_b64_e32 v[24:25], v24, v[52:53]
	s_delay_alu instid0(VALU_DEP_1)
	v_dual_sub_nc_u32 v23, 29, v23 :: v_dual_bitop2_b32 v52, 7, v24 bitop3:0x40
; %bb.438:                              ;   in Loop: Header=BB184_12 Depth=1
	s_or_b32 exec_lo, exec_lo, s45
	s_delay_alu instid0(VALU_DEP_1) | instskip(NEXT) | instid1(VALU_DEP_2)
	v_dual_lshlrev_b32 v24, 24, v22 :: v_dual_lshlrev_b32 v25, 20, v52
	v_lshl_add_u32 v23, v23, 23, 0x3c000000
	s_delay_alu instid0(VALU_DEP_2) | instskip(NEXT) | instid1(VALU_DEP_1)
	v_and_b32_e32 v24, 0x80000000, v24
	v_or3_b32 v52, v25, v24, v23
	s_delay_alu instid0(VALU_DEP_1)
	v_mov_b64_e32 v[28:29], v[52:53]
.LBB184_439:                            ;   in Loop: Header=BB184_12 Depth=1
	s_or_b32 exec_lo, exec_lo, s44
.LBB184_440:                            ;   in Loop: Header=BB184_12 Depth=1
	s_delay_alu instid0(SALU_CYCLE_1)
	s_or_b32 exec_lo, exec_lo, s43
.LBB184_441:                            ;   in Loop: Header=BB184_12 Depth=1
	s_delay_alu instid0(SALU_CYCLE_1) | instskip(SKIP_2) | instid1(VALU_DEP_1)
	s_or_b32 exec_lo, exec_lo, s42
	v_lshrrev_b16 v23, 8, v22
	s_mov_b32 s42, exec_lo
	v_cmpx_ne_u16_e32 0, v23
	s_cbranch_execz .LBB184_449
; %bb.442:                              ;   in Loop: Header=BB184_12 Depth=1
	v_mov_b64_e32 v[26:27], 0x8000000000000000
	s_mov_b32 s43, exec_lo
	v_cmpx_ne_u16_e32 0x80, v23
	s_cbranch_execz .LBB184_448
; %bb.443:                              ;   in Loop: Header=BB184_12 Depth=1
	v_and_b32_e32 v23, 0xffff, v23
	v_mov_b64_e32 v[26:27], 0x7f80000100000000
	s_mov_b32 s44, exec_lo
	s_delay_alu instid0(VALU_DEP_2) | instskip(NEXT) | instid1(VALU_DEP_1)
	v_and_b32_e32 v24, 0x7f, v23
	v_cmpx_ne_u32_e32 0x7f, v24
	s_cbranch_execz .LBB184_447
; %bb.444:                              ;   in Loop: Header=BB184_12 Depth=1
	v_dual_lshrrev_b32 v23, 3, v24 :: v_dual_bitop2_b32 v52, 7, v23 bitop3:0x40
	s_mov_b32 s45, exec_lo
	v_cmpx_gt_u32_e32 8, v24
; %bb.445:                              ;   in Loop: Header=BB184_12 Depth=1
	s_delay_alu instid0(VALU_DEP_2) | instskip(NEXT) | instid1(VALU_DEP_1)
	v_clz_i32_u32_e32 v23, v52
	v_min_u32_e32 v23, 32, v23
	s_delay_alu instid0(VALU_DEP_1) | instskip(NEXT) | instid1(VALU_DEP_1)
	v_subrev_nc_u32_e32 v24, 28, v23
	v_lshlrev_b64_e32 v[24:25], v24, v[52:53]
	s_delay_alu instid0(VALU_DEP_1)
	v_dual_sub_nc_u32 v23, 29, v23 :: v_dual_bitop2_b32 v52, 7, v24 bitop3:0x40
; %bb.446:                              ;   in Loop: Header=BB184_12 Depth=1
	s_or_b32 exec_lo, exec_lo, s45
	s_delay_alu instid0(VALU_DEP_1) | instskip(NEXT) | instid1(VALU_DEP_2)
	v_dual_lshlrev_b32 v22, 16, v22 :: v_dual_lshlrev_b32 v24, 20, v52
	v_lshl_add_u32 v23, v23, 23, 0x3c000000
	v_mov_b32_e32 v26, v53
	s_delay_alu instid0(VALU_DEP_3) | instskip(NEXT) | instid1(VALU_DEP_1)
	v_and_b32_e32 v22, 0x80000000, v22
	v_or3_b32 v27, v24, v22, v23
.LBB184_447:                            ;   in Loop: Header=BB184_12 Depth=1
	s_or_b32 exec_lo, exec_lo, s44
.LBB184_448:                            ;   in Loop: Header=BB184_12 Depth=1
	s_delay_alu instid0(SALU_CYCLE_1)
	s_or_b32 exec_lo, exec_lo, s43
.LBB184_449:                            ;   in Loop: Header=BB184_12 Depth=1
	s_delay_alu instid0(SALU_CYCLE_1)
	s_or_b32 exec_lo, exec_lo, s42
	global_load_u16 v22, v[70:71], off offset:1548
	v_mov_b64_e32 v[24:25], 0
	s_wait_loadcnt 0x0
	v_and_b32_e32 v32, 0xffff, v22
	v_and_b32_e32 v22, 0xff, v22
	s_delay_alu instid0(VALU_DEP_1)
	v_cmp_ne_u16_e64 s4, 0, v22
	v_mov_b64_e32 v[22:23], 0
	s_wait_xcnt 0x0
	s_and_saveexec_b32 s42, s4
	s_cbranch_execz .LBB184_457
; %bb.450:                              ;   in Loop: Header=BB184_12 Depth=1
	v_and_b32_e32 v24, 0xff, v32
	s_delay_alu instid0(VALU_DEP_1)
	v_cmp_ne_u16_e64 s4, 0x80, v24
	v_mov_b64_e32 v[24:25], 0x80000000
	s_and_saveexec_b32 s43, s4
	s_cbranch_execz .LBB184_456
; %bb.451:                              ;   in Loop: Header=BB184_12 Depth=1
	v_mov_b64_e32 v[24:25], 0x7f800001
	v_and_b32_e32 v33, 0x7f, v32
	s_mov_b32 s44, exec_lo
	s_delay_alu instid0(VALU_DEP_1)
	v_cmpx_ne_u32_e32 0x7f, v33
	s_cbranch_execz .LBB184_455
; %bb.452:                              ;   in Loop: Header=BB184_12 Depth=1
	v_dual_lshrrev_b32 v24, 3, v33 :: v_dual_bitop2_b32 v52, 7, v32 bitop3:0x40
	s_mov_b32 s45, exec_lo
	v_cmpx_gt_u32_e32 8, v33
; %bb.453:                              ;   in Loop: Header=BB184_12 Depth=1
	s_delay_alu instid0(VALU_DEP_2) | instskip(NEXT) | instid1(VALU_DEP_1)
	v_clz_i32_u32_e32 v24, v52
	v_min_u32_e32 v24, 32, v24
	s_delay_alu instid0(VALU_DEP_1) | instskip(NEXT) | instid1(VALU_DEP_1)
	v_subrev_nc_u32_e32 v25, 28, v24
	v_lshlrev_b64_e32 v[70:71], v25, v[52:53]
	s_delay_alu instid0(VALU_DEP_1)
	v_dual_sub_nc_u32 v24, 29, v24 :: v_dual_bitop2_b32 v52, 7, v70 bitop3:0x40
; %bb.454:                              ;   in Loop: Header=BB184_12 Depth=1
	s_or_b32 exec_lo, exec_lo, s45
	v_lshlrev_b32_e32 v25, 24, v32
	s_delay_alu instid0(VALU_DEP_2) | instskip(NEXT) | instid1(VALU_DEP_3)
	v_lshlrev_b32_e32 v33, 20, v52
	v_lshl_add_u32 v24, v24, 23, 0x3c000000
	s_delay_alu instid0(VALU_DEP_3) | instskip(NEXT) | instid1(VALU_DEP_1)
	v_and_b32_e32 v25, 0x80000000, v25
	v_or3_b32 v52, v33, v25, v24
	s_delay_alu instid0(VALU_DEP_1)
	v_mov_b64_e32 v[24:25], v[52:53]
.LBB184_455:                            ;   in Loop: Header=BB184_12 Depth=1
	s_or_b32 exec_lo, exec_lo, s44
.LBB184_456:                            ;   in Loop: Header=BB184_12 Depth=1
	s_delay_alu instid0(SALU_CYCLE_1)
	s_or_b32 exec_lo, exec_lo, s43
.LBB184_457:                            ;   in Loop: Header=BB184_12 Depth=1
	s_delay_alu instid0(SALU_CYCLE_1) | instskip(SKIP_2) | instid1(VALU_DEP_1)
	s_or_b32 exec_lo, exec_lo, s42
	v_lshrrev_b16 v33, 8, v32
	s_mov_b32 s42, exec_lo
	v_cmpx_ne_u16_e32 0, v33
	s_cbranch_execz .LBB184_465
; %bb.458:                              ;   in Loop: Header=BB184_12 Depth=1
	v_mov_b64_e32 v[22:23], 0x8000000000000000
	s_mov_b32 s43, exec_lo
	v_cmpx_ne_u16_e32 0x80, v33
	s_cbranch_execz .LBB184_464
; %bb.459:                              ;   in Loop: Header=BB184_12 Depth=1
	v_and_b32_e32 v52, 0xffff, v33
	v_mov_b64_e32 v[22:23], 0x7f80000100000000
	s_mov_b32 s44, exec_lo
	s_delay_alu instid0(VALU_DEP_2) | instskip(NEXT) | instid1(VALU_DEP_1)
	v_and_b32_e32 v33, 0x7f, v52
	v_cmpx_ne_u32_e32 0x7f, v33
	s_cbranch_execz .LBB184_463
; %bb.460:                              ;   in Loop: Header=BB184_12 Depth=1
	v_dual_lshrrev_b32 v22, 3, v33 :: v_dual_bitop2_b32 v52, 7, v52 bitop3:0x40
	s_mov_b32 s45, exec_lo
	v_cmpx_gt_u32_e32 8, v33
; %bb.461:                              ;   in Loop: Header=BB184_12 Depth=1
	s_delay_alu instid0(VALU_DEP_2) | instskip(NEXT) | instid1(VALU_DEP_1)
	v_clz_i32_u32_e32 v22, v52
	v_min_u32_e32 v22, 32, v22
	s_delay_alu instid0(VALU_DEP_1) | instskip(SKIP_1) | instid1(VALU_DEP_2)
	v_subrev_nc_u32_e32 v23, 28, v22
	v_sub_nc_u32_e32 v22, 29, v22
	v_lshlrev_b64_e32 v[70:71], v23, v[52:53]
	s_delay_alu instid0(VALU_DEP_1)
	v_and_b32_e32 v52, 7, v70
; %bb.462:                              ;   in Loop: Header=BB184_12 Depth=1
	s_or_b32 exec_lo, exec_lo, s45
	v_lshlrev_b32_e32 v23, 16, v32
	s_delay_alu instid0(VALU_DEP_2) | instskip(SKIP_1) | instid1(VALU_DEP_3)
	v_lshlrev_b32_e32 v32, 20, v52
	v_lshl_add_u32 v22, v22, 23, 0x3c000000
	v_and_b32_e32 v23, 0x80000000, v23
	s_delay_alu instid0(VALU_DEP_1)
	v_or3_b32 v23, v32, v23, v22
	v_mov_b32_e32 v22, v53
.LBB184_463:                            ;   in Loop: Header=BB184_12 Depth=1
	s_or_b32 exec_lo, exec_lo, s44
.LBB184_464:                            ;   in Loop: Header=BB184_12 Depth=1
	s_delay_alu instid0(SALU_CYCLE_1)
	s_or_b32 exec_lo, exec_lo, s43
.LBB184_465:                            ;   in Loop: Header=BB184_12 Depth=1
	s_delay_alu instid0(SALU_CYCLE_1)
	s_or_b32 exec_lo, exec_lo, s42
	v_or_b32_e32 v27, v27, v29
	v_or_b32_e32 v26, v26, v28
	;; [unrolled: 1-line block ×6, first 2 shown]
	s_wait_kmcnt 0x0
	v_pk_mul_f32 v[70:71], s[12:13], v[26:27] op_sel_hi:[0,1]
	v_or_b32_e32 v27, v79, v73
	v_or_b32_e32 v26, v78, v72
	v_or_b32_e32 v7, v7, v9
	v_or_b32_e32 v6, v6, v8
	v_or_b32_e32 v9, v69, v63
	v_or_b32_e32 v8, v68, v62
	v_pk_mul_f32 v[78:79], s[12:13], v[26:27] op_sel_hi:[0,1]
	v_or_b32_e32 v27, v117, v119
	v_or_b32_e32 v26, v116, v118
	v_or_b32_e32 v1, v1, v65
	v_or_b32_e32 v0, v0, v64
	v_or_b32_e32 v3, v3, v5
	v_or_b32_e32 v2, v2, v4
	v_pk_mul_f32 v[56:57], s[12:13], v[26:27] op_sel_hi:[0,1]
	v_or_b32_e32 v27, v113, v115
	v_or_b32_e32 v26, v112, v114
	v_or_b32_e32 v5, v67, v75
	v_or_b32_e32 v4, v66, v74
	v_or_b32_e32 v23, v23, v25
	v_or_b32_e32 v22, v22, v24
	v_pk_mul_f32 v[60:61], s[12:13], v[26:27] op_sel_hi:[0,1]
	v_or_b32_e32 v27, v109, v111
	v_or_b32_e32 v26, v108, v110
	s_delay_alu instid0(VALU_DEP_4) | instskip(NEXT) | instid1(VALU_DEP_2)
	v_pk_mul_f32 v[72:73], s[12:13], v[22:23] op_sel_hi:[0,1]
	v_pk_mul_f32 v[62:63], s[12:13], v[26:27] op_sel_hi:[0,1]
	v_or_b32_e32 v27, v105, v107
	v_or_b32_e32 v26, v104, v106
	s_delay_alu instid0(VALU_DEP_1) | instskip(SKIP_2) | instid1(VALU_DEP_1)
	v_pk_mul_f32 v[64:65], s[12:13], v[26:27] op_sel_hi:[0,1]
	v_or_b32_e32 v27, v101, v103
	v_or_b32_e32 v26, v100, v102
	v_pk_mul_f32 v[66:67], s[12:13], v[26:27] op_sel_hi:[0,1]
	v_or_b32_e32 v27, v97, v99
	v_or_b32_e32 v26, v96, v98
	s_delay_alu instid0(VALU_DEP_1) | instskip(SKIP_2) | instid1(VALU_DEP_1)
	v_pk_mul_f32 v[68:69], s[12:13], v[26:27] op_sel_hi:[0,1]
	v_or_b32_e32 v27, v93, v95
	v_or_b32_e32 v26, v92, v94
	;; [unrolled: 7-line block ×3, first 2 shown]
	v_pk_mul_f32 v[84:85], s[12:13], v[26:27] op_sel_hi:[0,1]
	v_or_b32_e32 v27, v81, v83
	v_or_b32_e32 v26, v80, v82
	s_delay_alu instid0(VALU_DEP_1) | instskip(SKIP_4) | instid1(VALU_DEP_1)
	v_pk_mul_f32 v[80:81], s[12:13], v[26:27] op_sel_hi:[0,1]
	scratch_load_b64 v[26:27], off, off offset:48 th:TH_LOAD_LU ; 8-byte Folded Reload
	s_wait_loadcnt 0x0
	v_or_b32_e32 v27, v77, v27
	v_or_b32_e32 v26, v76, v26
	v_pk_mul_f32 v[76:77], s[12:13], v[26:27] op_sel_hi:[0,1]
	s_clause 0x1
	scratch_load_b64 v[26:27], off, off offset:32 th:TH_LOAD_LU
	scratch_load_b64 v[28:29], off, off offset:40 th:TH_LOAD_LU
	s_wait_loadcnt 0x0
	v_or_b32_e32 v27, v27, v29
	v_or_b32_e32 v26, v26, v28
	s_delay_alu instid0(VALU_DEP_1)
	v_pk_mul_f32 v[82:83], s[12:13], v[26:27] op_sel_hi:[0,1]
	s_clause 0x1
	scratch_load_b64 v[26:27], off, off offset:16 th:TH_LOAD_LU
	scratch_load_b64 v[28:29], off, off offset:24 th:TH_LOAD_LU
	s_wait_loadcnt 0x0
	v_or_b32_e32 v27, v27, v29
	v_or_b32_e32 v26, v26, v28
	s_clause 0x1
	scratch_load_b64 v[28:29], off, off th:TH_LOAD_LU
	scratch_load_b64 v[32:33], off, off offset:8 th:TH_LOAD_LU
	v_pk_mul_f32 v[26:27], s[12:13], v[26:27] op_sel_hi:[0,1]
	s_delay_alu instid0(VALU_DEP_1) | instskip(NEXT) | instid1(VALU_DEP_2)
	v_dual_mul_f32 v23, v48, v26 :: v_dual_bitop2_b32 v19, v19, v21 bitop3:0x54
	v_mul_f32_e32 v24, v49, v27
	s_wait_loadcnt 0x0
	v_or_b32_e32 v29, v29, v33
	v_or_b32_e32 v28, v28, v32
	v_mbcnt_lo_u32_b32 v33, -1, 0
	s_delay_alu instid0(VALU_DEP_2) | instskip(NEXT) | instid1(VALU_DEP_1)
	v_pk_mul_f32 v[28:29], s[12:13], v[28:29] op_sel_hi:[0,1]
	v_dual_fmac_f32 v23, v46, v28 :: v_dual_bitop2_b32 v15, v15, v17 bitop3:0x54
	s_delay_alu instid0(VALU_DEP_2) | instskip(SKIP_4) | instid1(VALU_DEP_3)
	v_fmac_f32_e32 v24, v47, v29
	scratch_load_b128 v[26:29], off, off offset:176 th:TH_LOAD_LU ; 16-byte Folded Reload
	v_or_b32_e32 v18, v18, v20
	v_dual_fmac_f32 v23, v42, v82 :: v_dual_fmac_f32 v24, v43, v83
	v_or_b32_e32 v14, v14, v16
	v_pk_mul_f32 v[18:19], s[12:13], v[18:19] op_sel_hi:[0,1]
	s_delay_alu instid0(VALU_DEP_3) | instskip(NEXT) | instid1(VALU_DEP_3)
	v_dual_fmac_f32 v23, v44, v76 :: v_dual_fmac_f32 v24, v45, v77
	v_pk_mul_f32 v[14:15], s[12:13], v[14:15] op_sel_hi:[0,1]
	s_delay_alu instid0(VALU_DEP_2) | instskip(SKIP_1) | instid1(VALU_DEP_2)
	v_dual_fmac_f32 v23, v38, v80 :: v_dual_fmac_f32 v24, v39, v81
	v_pk_mul_f32 v[10:11], s[12:13], v[10:11] op_sel_hi:[0,1]
	v_dual_fmac_f32 v23, v40, v84 :: v_dual_fmac_f32 v24, v41, v85
	v_pk_mul_f32 v[6:7], s[12:13], v[6:7] op_sel_hi:[0,1]
	s_delay_alu instid0(VALU_DEP_2) | instskip(SKIP_1) | instid1(VALU_DEP_2)
	v_dual_fmac_f32 v23, v34, v88 :: v_dual_fmac_f32 v24, v35, v89
	v_pk_mul_f32 v[2:3], s[12:13], v[2:3] op_sel_hi:[0,1]
	v_dual_fmac_f32 v23, v36, v74 :: v_dual_fmac_f32 v24, v37, v75
	v_pk_mul_f32 v[8:9], s[12:13], v[8:9] op_sel_hi:[0,1]
	v_pk_mul_f32 v[4:5], s[12:13], v[4:5] op_sel_hi:[0,1]
	s_wait_loadcnt 0x0
	s_delay_alu instid0(VALU_DEP_3) | instskip(SKIP_1) | instid1(VALU_DEP_2)
	v_dual_fmac_f32 v23, v26, v68 :: v_dual_fmac_f32 v24, v27, v69
	v_pk_mul_f32 v[0:1], s[12:13], v[0:1] op_sel_hi:[0,1]
	v_dual_fmac_f32 v23, v28, v66 :: v_dual_fmac_f32 v24, v29, v67
	scratch_load_b128 v[26:29], off, off offset:160 th:TH_LOAD_LU ; 16-byte Folded Reload
	v_or_b32_e32 v17, v125, v127
	v_or_b32_e32 v16, v124, v126
	v_pk_mul_f32 v[12:13], s[12:13], v[12:13] op_sel_hi:[0,1]
	s_wait_loadcnt 0x0
	v_dual_fmac_f32 v23, v26, v64 :: v_dual_fmac_f32 v24, v27, v65
	v_or_b32_e32 v21, v121, v123
	v_or_b32_e32 v20, v120, v122
	v_pk_mul_f32 v[16:17], s[12:13], v[16:17] op_sel_hi:[0,1]
	s_delay_alu instid0(VALU_DEP_4) | instskip(SKIP_4) | instid1(VALU_DEP_1)
	v_dual_fmac_f32 v23, v28, v62 :: v_dual_fmac_f32 v24, v29, v63
	scratch_load_b128 v[26:29], off, off offset:144 th:TH_LOAD_LU ; 16-byte Folded Reload
	v_pk_mul_f32 v[20:21], s[12:13], v[20:21] op_sel_hi:[0,1]
	s_wait_loadcnt 0x0
	v_dual_fmac_f32 v23, v26, v60 :: v_dual_fmac_f32 v24, v27, v61
	v_dual_fmac_f32 v23, v28, v56 :: v_dual_fmac_f32 v24, v29, v57
	scratch_load_b128 v[26:29], off, off offset:128 th:TH_LOAD_LU ; 16-byte Folded Reload
	s_wait_loadcnt 0x0
	v_dual_fmac_f32 v23, v26, v20 :: v_dual_fmac_f32 v24, v27, v21
	s_delay_alu instid0(VALU_DEP_1) | instskip(SKIP_3) | instid1(VALU_DEP_1)
	v_dual_fmac_f32 v23, v28, v16 :: v_dual_fmac_f32 v24, v29, v17
	scratch_load_b128 v[26:29], off, off offset:112 th:TH_LOAD_LU ; 16-byte Folded Reload
	s_wait_loadcnt 0x0
	v_dual_fmac_f32 v23, v26, v12 :: v_dual_fmac_f32 v24, v27, v13
	v_dual_fmac_f32 v23, v28, v0 :: v_dual_fmac_f32 v24, v29, v1
	scratch_load_b128 v[26:29], off, off offset:96 th:TH_LOAD_LU ; 16-byte Folded Reload
	s_wait_loadcnt 0x0
	v_dual_fmac_f32 v23, v26, v8 :: v_dual_fmac_f32 v24, v27, v9
	s_delay_alu instid0(VALU_DEP_1)
	v_dual_fmac_f32 v23, v28, v4 :: v_dual_fmac_f32 v24, v29, v5
	scratch_load_b128 v[26:29], off, off offset:80 th:TH_LOAD_LU ; 16-byte Folded Reload
	s_wait_loadcnt 0x0
	v_dual_fmac_f32 v23, v26, v2 :: v_dual_fmac_f32 v24, v27, v3
	scratch_load_b128 v[0:3], off, off offset:64 th:TH_LOAD_LU ; 16-byte Folded Reload
	v_dual_fmac_f32 v23, v28, v6 :: v_dual_fmac_f32 v24, v29, v7
	s_wait_loadcnt 0x0
	s_delay_alu instid0(VALU_DEP_1) | instskip(SKIP_3) | instid1(VALU_DEP_1)
	v_dual_fmac_f32 v23, v0, v10 :: v_dual_fmac_f32 v24, v1, v11
	scratch_load_b64 v[0:1], off, off offset:56 th:TH_LOAD_LU ; 8-byte Folded Reload
	v_dual_fmac_f32 v23, v2, v14 :: v_dual_fmac_f32 v24, v3, v15
	s_wait_loadcnt 0x0
	v_dual_fmac_f32 v23, v0, v18 :: v_dual_fmac_f32 v24, v1, v19
	ds_load_2addr_b64 v[0:3], v51 offset0:25 offset1:26
	s_wait_dscnt 0x0
	v_dual_fmac_f32 v23, v78, v0 :: v_dual_fmac_f32 v24, v79, v1
	ds_load_b64 v[0:1], v51 offset:216
	v_dual_fmac_f32 v23, v70, v2 :: v_dual_bitop2_b32 v32, 1, v33 bitop3:0x14
	v_fmac_f32_e32 v24, v71, v3
	s_delay_alu instid0(VALU_DEP_2) | instskip(NEXT) | instid1(VALU_DEP_1)
	v_cmp_gt_i32_e64 s4, 32, v32
	v_cndmask_b32_e64 v32, v33, v32, s4
	s_delay_alu instid0(VALU_DEP_1) | instskip(SKIP_2) | instid1(VALU_DEP_1)
	v_lshlrev_b32_e32 v22, 2, v32
	s_wait_dscnt 0x0
	v_dual_fmac_f32 v23, v72, v0 :: v_dual_fmac_f32 v24, v73, v1
	v_add_f32_e32 v0, v23, v24
	ds_bpermute_b32 v1, v22, v0
	s_wait_xcnt 0x0
	s_and_saveexec_b32 s12, s3
	s_cbranch_execz .LBB184_10
; %bb.466:                              ;   in Loop: Header=BB184_12 Depth=1
	s_clause 0x1
	scratch_load_b32 v2, off, off offset:208
	scratch_load_b32 v3, off, off offset:192
	s_wait_loadcnt_dscnt 0x100
	v_dual_add_f32 v0, v0, v1 :: v_dual_add_nc_u32 v2, v2, v54
	s_delay_alu instid0(VALU_DEP_1) | instskip(NEXT) | instid1(VALU_DEP_1)
	v_cvt_f32_i32_e32 v2, v2
	v_mul_f32_e32 v2, s37, v2
	s_delay_alu instid0(VALU_DEP_1) | instskip(NEXT) | instid1(VALU_DEP_1)
	v_cndmask_b32_e32 v1, 0, v2, vcc_lo
	v_fmac_f32_e32 v1, s27, v0
	scratch_load_b32 v0, off, off offset:204 ; 4-byte Folded Reload
	s_wait_loadcnt 0x1
	v_max_num_f32_e32 v2, v3, v3
	s_wait_loadcnt 0x0
	s_delay_alu instid0(VALU_DEP_1) | instskip(NEXT) | instid1(VALU_DEP_1)
	v_dual_max_num_f32 v2, v2, v1 :: v_dual_add_nc_u32 v0, v0, v54
	v_cmp_gt_i32_e64 s4, s34, v0
	s_delay_alu instid0(VALU_DEP_1)
	v_dual_cndmask_b32 v0, 0, v1, s4 :: v_dual_cndmask_b32 v3, v3, v2, s4
	ds_store_b32 v30, v0
	scratch_store_b32 off, v3, off offset:192 ; 4-byte Folded Spill
	s_branch .LBB184_10
.LBB184_467:
	s_or_b32 exec_lo, exec_lo, s41
	s_clause 0x4
	scratch_load_b32 v36, off, off offset:212
	scratch_load_b32 v37, off, off offset:216
	;; [unrolled: 1-line block ×5, first 2 shown]
.LBB184_468:
	s_wait_xcnt 0x0
	s_or_b32 exec_lo, exec_lo, s38
	v_mbcnt_lo_u32_b32 v6, -1, 0
	s_clause 0x1
	s_load_b64 s[4:5], s[0:1], 0x0
	s_load_b64 s[8:9], s[0:1], 0x18
	s_wait_loadcnt 0x4
	v_and_b32_e32 v86, 31, v36
	v_xor_b32_e32 v0, 16, v6
	v_xor_b32_e32 v2, 8, v6
	s_delay_alu instid0(VALU_DEP_2) | instskip(SKIP_1) | instid1(VALU_DEP_3)
	v_cmp_gt_i32_e32 vcc_lo, 32, v0
	v_cndmask_b32_e32 v0, v6, v0, vcc_lo
	v_cmp_gt_i32_e32 vcc_lo, 32, v2
	s_delay_alu instid0(VALU_DEP_2) | instskip(SKIP_4) | instid1(VALU_DEP_1)
	v_dual_lshlrev_b32 v0, 2, v0 :: v_dual_cndmask_b32 v2, v6, v2, vcc_lo
	s_wait_loadcnt_dscnt 0x0
	ds_bpermute_b32 v1, v0, v3
	s_wait_dscnt 0x0
	v_dual_max_num_f32 v3, v3, v3 :: v_dual_max_num_f32 v4, v1, v1
	v_dual_lshlrev_b32 v1, 2, v2 :: v_dual_max_num_f32 v3, v3, v4
	v_xor_b32_e32 v4, 4, v6
	ds_bpermute_b32 v2, v1, v3
	v_cmp_gt_i32_e32 vcc_lo, 32, v4
	s_wait_dscnt 0x0
	v_max_num_f32_e32 v5, v2, v2
	s_delay_alu instid0(VALU_DEP_1) | instskip(NEXT) | instid1(VALU_DEP_1)
	v_dual_cndmask_b32 v4, v6, v4 :: v_dual_max_num_f32 v3, v3, v5
	v_lshlrev_b32_e32 v2, 2, v4
	ds_bpermute_b32 v4, v2, v3
	s_wait_dscnt 0x0
	v_dual_max_num_f32 v4, v4, v4 :: v_dual_bitop2_b32 v5, 2, v6 bitop3:0x14
	s_delay_alu instid0(VALU_DEP_1) | instskip(NEXT) | instid1(VALU_DEP_2)
	v_cmp_gt_i32_e32 vcc_lo, 32, v5
	v_dual_max_num_f32 v4, v3, v4 :: v_dual_cndmask_b32 v5, v6, v5
	v_lshlrev_b32_e32 v3, 2, v37
	v_cmp_eq_u32_e32 vcc_lo, 0, v86
	s_delay_alu instid0(VALU_DEP_3)
	v_lshlrev_b32_e32 v87, 2, v5
	ds_bpermute_b32 v5, v87, v4
	s_wait_xcnt 0x0
	s_and_saveexec_b32 s0, vcc_lo
	s_cbranch_execz .LBB184_470
; %bb.469:
	s_wait_dscnt 0x0
	v_dual_max_num_f32 v5, v5, v5 :: v_dual_max_num_f32 v4, v4, v4
	s_delay_alu instid0(VALU_DEP_1)
	v_max_num_f32_e32 v4, v4, v5
	ds_store_b32 v3, v4 offset:448
.LBB184_470:
	s_or_b32 exec_lo, exec_lo, s0
	v_cmp_gt_u32_e64 s0, 4, v86
	s_wait_dscnt 0x0
	v_dual_mov_b32 v5, 0xff7fffff :: v_dual_lshlrev_b32 v4, 2, v86
	s_wait_storecnt 0x0
	s_barrier_signal -1
	s_barrier_wait -1
	s_and_saveexec_b32 s1, s0
; %bb.471:
	ds_load_b32 v5, v4 offset:448
; %bb.472:
	s_or_b32 exec_lo, exec_lo, s1
	s_wait_dscnt 0x0
	ds_bpermute_b32 v6, v87, v5
	v_mbcnt_lo_u32_b32 v8, -1, 0
	s_delay_alu instid0(VALU_DEP_1) | instskip(NEXT) | instid1(VALU_DEP_1)
	v_dual_max_num_f32 v5, v5, v5 :: v_dual_bitop2_b32 v7, 1, v8 bitop3:0x14
	v_cmp_gt_i32_e64 s1, 32, v7
	s_delay_alu instid0(VALU_DEP_1) | instskip(SKIP_1) | instid1(SALU_CYCLE_1)
	v_cndmask_b32_e64 v7, v8, v7, s1
	s_lshl_b32 s1, s26, 4
	s_min_i32 s12, s1, s34
	s_wait_dscnt 0x0
	s_delay_alu instid0(VALU_DEP_1) | instskip(SKIP_1) | instid1(VALU_DEP_2)
	v_dual_max_num_f32 v6, v6, v6 :: v_dual_lshlrev_b32 v88, 2, v7
	v_cmp_gt_i32_e64 s1, s12, v36
	v_max_num_f32_e32 v5, v5, v6
	ds_bpermute_b32 v6, v88, v5
	s_wait_dscnt 0x0
	v_max_num_f32_e32 v6, v6, v6
	s_delay_alu instid0(VALU_DEP_1)
	v_dual_max_num_f32 v6, v5, v6 :: v_dual_mov_b32 v5, 0
	ds_bpermute_b32 v6, v5, v6
	s_and_saveexec_b32 s19, s1
	s_cbranch_execz .LBB184_476
; %bb.473:
	v_lshl_add_u32 v7, v36, 2, 0x1e0
	v_dual_mov_b32 v5, 0 :: v_dual_mov_b32 v8, v36
	s_mov_b32 s27, 0
.LBB184_474:                            ; =>This Inner Loop Header: Depth=1
	ds_load_b32 v9, v7
	v_add_nc_u32_e32 v8, 0x80, v8
	s_delay_alu instid0(VALU_DEP_1) | instskip(SKIP_3) | instid1(VALU_DEP_1)
	v_cmp_le_i32_e64 s3, s12, v8
	s_or_b32 s27, s3, s27
	s_wait_dscnt 0x0
	v_sub_f32_e32 v9, v9, v6
	v_mul_f32_e32 v9, 0x3fb8aa3b, v9
	s_delay_alu instid0(VALU_DEP_1)
	v_exp_f32_e32 v9, v9
	ds_store_b32 v7, v9
	v_nop
	v_add_f32_e32 v5, v5, v9
	v_add_nc_u32_e32 v7, 0x200, v7
	s_and_not1_b32 exec_lo, exec_lo, s27
	s_cbranch_execnz .LBB184_474
; %bb.475:
	s_or_b32 exec_lo, exec_lo, s27
.LBB184_476:
	s_delay_alu instid0(SALU_CYCLE_1)
	s_or_b32 exec_lo, exec_lo, s19
	ds_bpermute_b32 v0, v0, v5
	s_wait_dscnt 0x0
	v_add_f32_e32 v0, v5, v0
	ds_bpermute_b32 v1, v1, v0
	s_wait_dscnt 0x0
	v_add_f32_e32 v0, v0, v1
	;; [unrolled: 3-line block ×5, first 2 shown]
	s_and_saveexec_b32 s3, vcc_lo
; %bb.477:
	ds_store_b32 v3, v0 offset:464
; %bb.478:
	s_or_b32 exec_lo, exec_lo, s3
	s_wait_dscnt 0x0
	s_barrier_signal -1
	s_barrier_wait -1
	s_and_saveexec_b32 s3, s0
; %bb.479:
	ds_load_b32 v0, v4 offset:464
; %bb.480:
	s_or_b32 exec_lo, exec_lo, s3
	s_wait_dscnt 0x0
	ds_bpermute_b32 v1, v87, v0
	s_wait_dscnt 0x0
	v_dual_mov_b32 v7, 0 :: v_dual_add_f32 v0, v0, v1
	ds_bpermute_b32 v1, v88, v0
	s_wait_dscnt 0x0
	v_add_f32_e32 v0, v0, v1
	ds_bpermute_b32 v0, v7, v0
	s_and_saveexec_b32 s0, s1
	s_cbranch_execz .LBB184_493
; %bb.481:
	s_wait_dscnt 0x0
	v_add_f32_e32 v0, 0x358637bd, v0
	s_mov_b32 s3, -1
	s_mov_b32 s1, exec_lo
	s_delay_alu instid0(VALU_DEP_1) | instskip(NEXT) | instid1(VALU_DEP_1)
	v_div_scale_f32 v1, null, v0, v0, 1.0
	v_rcp_f32_e32 v3, v1
	v_nop
	s_delay_alu instid0(TRANS32_DEP_1) | instskip(NEXT) | instid1(VALU_DEP_1)
	v_fma_f32 v2, -v1, v3, 1.0
	v_fmac_f32_e32 v3, v2, v3
	v_div_scale_f32 v4, vcc_lo, 1.0, v0, 1.0
	s_delay_alu instid0(VALU_DEP_1) | instskip(NEXT) | instid1(VALU_DEP_1)
	v_mul_f32_e32 v5, v4, v3
	v_fma_f32 v2, -v1, v5, v4
	s_delay_alu instid0(VALU_DEP_1) | instskip(SKIP_1) | instid1(VALU_DEP_2)
	v_fmac_f32_e32 v5, v2, v3
	v_xad_u32 v2, v36, -1, s12
	v_fma_f32 v1, -v1, v5, v4
	s_delay_alu instid0(VALU_DEP_1) | instskip(NEXT) | instid1(VALU_DEP_1)
	v_div_fmas_f32 v1, v1, v3, v5
	v_div_fixup_f32 v0, v1, v0, 1.0
	v_mov_b32_e32 v1, v36
	v_cmpx_lt_u32_e32 0x7f, v2
	s_cbranch_execz .LBB184_490
; %bb.482:
	s_delay_alu instid0(VALU_DEP_3) | instskip(NEXT) | instid1(VALU_DEP_1)
	v_dual_mov_b32 v1, v0 :: v_dual_lshrrev_b32 v2, 7, v2
	v_dual_mov_b32 v6, 0 :: v_dual_add_nc_u32 v3, -1, v2
	s_delay_alu instid0(VALU_DEP_1) | instskip(SKIP_1) | instid1(VALU_DEP_2)
	v_lshrrev_b32_e32 v4, 1, v3
	v_cmp_lt_u32_e32 vcc_lo, 13, v3
	v_add_nc_u32_e32 v3, 1, v4
	s_and_saveexec_b32 s3, vcc_lo
	s_cbranch_execz .LBB184_486
; %bb.483:
	s_delay_alu instid0(VALU_DEP_1)
	v_and_b32_e32 v4, -8, v3
	v_lshl_add_u32 v5, v36, 2, 0x1e0
	s_mov_b32 s19, 0
	s_mov_b32 s27, 0
.LBB184_484:                            ; =>This Inner Loop Header: Depth=1
	ds_load_2addr_stride64_b32 v[8:9], v5 offset1:2
	ds_load_2addr_stride64_b32 v[10:11], v5 offset0:4 offset1:6
	ds_load_2addr_stride64_b32 v[12:13], v5 offset0:8 offset1:10
	;; [unrolled: 1-line block ×7, first 2 shown]
	s_add_co_i32 s27, s27, 16
	s_delay_alu instid0(SALU_CYCLE_1) | instskip(NEXT) | instid1(VALU_DEP_1)
	v_dual_add_nc_u32 v4, -8, v4 :: v_dual_mov_b32 v6, s27
	v_cmp_eq_u32_e32 vcc_lo, 0, v4
	s_or_b32 s19, vcc_lo, s19
	s_wait_dscnt 0x7
	v_pk_mul_f32 v[8:9], v[0:1], v[8:9]
	s_wait_dscnt 0x6
	v_pk_mul_f32 v[10:11], v[0:1], v[10:11]
	;; [unrolled: 2-line block ×8, first 2 shown]
	ds_store_2addr_stride64_b32 v5, v8, v9 offset1:2
	ds_store_2addr_stride64_b32 v5, v10, v11 offset0:4 offset1:6
	ds_store_2addr_stride64_b32 v5, v12, v13 offset0:8 offset1:10
	;; [unrolled: 1-line block ×7, first 2 shown]
	v_add_nc_u32_e32 v5, 0x2000, v5
	s_and_not1_b32 exec_lo, exec_lo, s19
	s_cbranch_execnz .LBB184_484
; %bb.485:
	s_or_b32 exec_lo, exec_lo, s19
.LBB184_486:
	s_delay_alu instid0(SALU_CYCLE_1) | instskip(NEXT) | instid1(VALU_DEP_1)
	s_or_b32 exec_lo, exec_lo, s3
	v_and_b32_e32 v3, 7, v3
	s_mov_b32 s19, 0
	s_mov_b32 s3, exec_lo
	s_delay_alu instid0(VALU_DEP_1)
	v_cmpx_ne_u32_e32 0, v3
	s_cbranch_execz .LBB184_489
; %bb.487:
	v_lshlrev_b32_e32 v4, 9, v6
	s_delay_alu instid0(VALU_DEP_1)
	v_add3_u32 v4, v4, v24, 0x1e0
.LBB184_488:                            ; =>This Inner Loop Header: Depth=1
	ds_load_2addr_stride64_b32 v[8:9], v4 offset1:2
	v_add_nc_u32_e32 v3, -1, v3
	s_delay_alu instid0(VALU_DEP_1)
	v_cmp_eq_u32_e32 vcc_lo, 0, v3
	s_or_b32 s19, vcc_lo, s19
	s_wait_dscnt 0x0
	v_pk_mul_f32 v[8:9], v[0:1], v[8:9]
	ds_store_2addr_stride64_b32 v4, v8, v9 offset1:2
	v_add_nc_u32_e32 v4, 0x400, v4
	s_and_not1_b32 exec_lo, exec_lo, s19
	s_cbranch_execnz .LBB184_488
.LBB184_489:
	s_or_b32 exec_lo, exec_lo, s3
	v_add_nc_u32_e32 v1, 1, v2
	s_delay_alu instid0(VALU_DEP_1) | instskip(NEXT) | instid1(VALU_DEP_1)
	v_and_b32_e32 v2, 0x3fffffe, v1
	v_cmp_ne_u32_e32 vcc_lo, v1, v2
	v_lshl_add_u32 v1, v2, 7, v36
	s_or_not1_b32 s3, vcc_lo, exec_lo
.LBB184_490:
	s_or_b32 exec_lo, exec_lo, s1
	s_delay_alu instid0(SALU_CYCLE_1)
	s_and_b32 exec_lo, exec_lo, s3
	s_cbranch_execz .LBB184_493
; %bb.491:
	v_lshl_add_u32 v2, v1, 2, 0x1e0
	s_mov_b32 s1, 0
.LBB184_492:                            ; =>This Inner Loop Header: Depth=1
	ds_load_b32 v3, v2
	v_add_nc_u32_e32 v1, 0x80, v1
	s_delay_alu instid0(VALU_DEP_1)
	v_cmp_le_i32_e32 vcc_lo, s12, v1
	s_or_b32 s1, vcc_lo, s1
	s_wait_dscnt 0x0
	v_mul_f32_e32 v3, v0, v3
	ds_store_b32 v2, v3
	v_add_nc_u32_e32 v2, 0x200, v2
	s_and_not1_b32 exec_lo, exec_lo, s1
	s_cbranch_execnz .LBB184_492
.LBB184_493:
	s_or_b32 exec_lo, exec_lo, s0
	v_dual_mov_b32 v6, 0 :: v_dual_bitop2_b32 v89, 3, v36 bitop3:0x40
	v_dual_mov_b32 v11, 0 :: v_dual_mov_b32 v10, 0
	v_dual_mov_b32 v13, 0 :: v_dual_mov_b32 v12, 0
	v_dual_mov_b32 v15, 0 :: v_dual_mov_b32 v14, 0
	v_dual_mov_b32 v17, 0 :: v_dual_mov_b32 v16, 0
	v_dual_mov_b32 v19, 0 :: v_dual_mov_b32 v18, 0
	v_dual_mov_b32 v9, 0 :: v_dual_mov_b32 v8, 0
	s_wait_dscnt 0x0
	s_barrier_signal -1
	s_barrier_wait -1
	s_and_saveexec_b32 s1, s2
	s_cbranch_execz .LBB184_975
; %bb.494:
	s_abs_i32 s12, s14
	v_and_b32_e32 v20, 0x7c, v24
	s_cvt_f32_u32 s0, s12
	v_dual_mov_b32 v21, 0 :: v_dual_lshlrev_b32 v1, 4, v89
	s_ashr_i32 s19, s18, 31
	s_delay_alu instid0(SALU_CYCLE_1)
	v_rcp_iflag_f32_e32 v0, s0
	s_wait_kmcnt 0x0
	s_add_nc_u64 s[8:9], s[8:9], s[18:19]
	s_lshl_b64 s[24:25], s[24:25], 2
	v_add_nc_u64_e32 v[22:23], s[8:9], v[20:21]
	v_and_b32_e32 v20, 0x7c, v25
	s_add_nc_u64 s[8:9], s[22:23], s[24:25]
	s_sub_co_i32 s2, 0, s12
	v_readfirstlane_b32 s0, v0
	v_lshl_or_b32 v0, v37, 6, v1
	v_dual_mov_b32 v98, v36 :: v_dual_bitop2_b32 v90, 12, v24 bitop3:0x40
	v_add_nc_u64_e32 v[24:25], s[8:9], v[20:21]
	s_mul_f32 s0, s0, 0x4f7ffffe
	v_dual_mov_b32 v91, v37 :: v_dual_mov_b32 v8, 0
	v_dual_mov_b32 v9, 0 :: v_dual_mov_b32 v99, v37
	s_delay_alu instid0(SALU_CYCLE_1) | instskip(SKIP_2) | instid1(SALU_CYCLE_1)
	s_cvt_u32_f32 s0, s0
	v_dual_mov_b32 v19, 0 :: v_dual_add_nc_u32 v92, 0x1e0, v0
	v_dual_mov_b32 v18, 0 :: v_dual_mov_b32 v16, 0
	s_mul_i32 s2, s2, s0
	v_dual_mov_b32 v17, 0 :: v_dual_mov_b32 v14, 0
	v_dual_mov_b32 v15, 0 :: v_dual_mov_b32 v12, 0
	v_dual_mov_b32 v13, 0 :: v_dual_mov_b32 v10, 0
	v_dual_mov_b32 v11, 0 :: v_dual_mov_b32 v6, 0
	v_mov_b32_e32 v7, 0
	s_mov_b32 s3, 0
	s_mul_hi_u32 s2, s0, s2
	s_sub_co_i32 s13, s36, s13
	s_mov_b32 s14, s17
	s_add_co_i32 s17, s26, -1
	s_mov_b32 s18, s34
	s_add_co_i32 s2, s0, s2
	s_mov_b32 s19, s3
	s_branch .LBB184_497
.LBB184_495:                            ;   in Loop: Header=BB184_497 Depth=1
	s_or_b32 exec_lo, exec_lo, s0
	s_wait_dscnt 0x0
	v_mul_f32_e32 v51, v2, v74
	v_mul_f32_e32 v20, v2, v78
	;; [unrolled: 1-line block ×3, first 2 shown]
	v_dual_mul_f32 v70, v2, v70 :: v_dual_mul_f32 v52, v2, v52
	s_delay_alu instid0(VALU_DEP_4) | instskip(NEXT) | instid1(VALU_DEP_4)
	v_dual_mul_f32 v46, v2, v46 :: v_dual_fmac_f32 v51, v3, v75
	v_fmac_f32_e32 v20, v3, v79
	s_delay_alu instid0(VALU_DEP_4) | instskip(NEXT) | instid1(VALU_DEP_4)
	v_fmac_f32_e32 v66, v3, v67
	v_dual_fmac_f32 v70, v3, v71 :: v_dual_mul_f32 v62, v2, v62
	s_delay_alu instid0(VALU_DEP_4) | instskip(NEXT) | instid1(VALU_DEP_4)
	v_fmac_f32_e32 v51, v4, v72
	v_dual_fmac_f32 v20, v4, v76 :: v_dual_mul_f32 v34, v2, v34
	s_delay_alu instid0(VALU_DEP_3) | instskip(NEXT) | instid1(VALU_DEP_3)
	v_dual_fmac_f32 v70, v4, v68 :: v_dual_mul_f32 v38, v2, v38
	v_dual_fmac_f32 v51, v5, v73 :: v_dual_fmac_f32 v66, v4, v64
	s_delay_alu instid0(VALU_DEP_3) | instskip(NEXT) | instid1(VALU_DEP_3)
	v_fmac_f32_e32 v20, v5, v77
	v_fmac_f32_e32 v70, v5, v69
	;; [unrolled: 1-line block ×3, first 2 shown]
	s_delay_alu instid0(VALU_DEP_4) | instskip(NEXT) | instid1(VALU_DEP_4)
	v_dual_add_f32 v11, v11, v51 :: v_dual_mul_f32 v51, v2, v56
	v_dual_add_f32 v6, v6, v20 :: v_dual_fmac_f32 v66, v5, v65
	s_delay_alu instid0(VALU_DEP_4) | instskip(NEXT) | instid1(VALU_DEP_3)
	v_add_f32_e32 v10, v10, v70
	v_dual_mul_f32 v20, v2, v60 :: v_dual_fmac_f32 v51, v3, v57
	s_delay_alu instid0(VALU_DEP_3) | instskip(NEXT) | instid1(VALU_DEP_2)
	v_dual_fmac_f32 v46, v3, v47 :: v_dual_add_f32 v13, v13, v66
	v_dual_fmac_f32 v62, v4, v0 :: v_dual_fmac_f32 v20, v3, v61
	v_fmac_f32_e32 v34, v3, v35
	v_dual_fmac_f32 v38, v3, v39 :: v_dual_fmac_f32 v52, v3, v53
	v_fmac_f32_e32 v51, v4, v54
	s_delay_alu instid0(VALU_DEP_4) | instskip(SKIP_2) | instid1(VALU_DEP_4)
	v_dual_fmac_f32 v20, v4, v58 :: v_dual_fmac_f32 v62, v5, v1
	v_fmac_f32_e32 v46, v4, v44
	v_pk_mul_f32 v[0:1], v[2:3], v[80:81]
	v_dual_fmac_f32 v52, v4, v48 :: v_dual_fmac_f32 v51, v5, v55
	s_delay_alu instid0(VALU_DEP_3) | instskip(NEXT) | instid1(VALU_DEP_2)
	v_dual_fmac_f32 v20, v5, v59 :: v_dual_fmac_f32 v46, v5, v45
	v_dual_add_f32 v12, v12, v62 :: v_dual_fmac_f32 v52, v5, v49
	v_mul_f32_e32 v28, v2, v28
	s_delay_alu instid0(VALU_DEP_3) | instskip(NEXT) | instid1(VALU_DEP_4)
	v_dual_add_f32 v15, v15, v20 :: v_dual_mul_f32 v20, v2, v42
	v_dual_add_f32 v16, v16, v46 :: v_dual_add_f32 v0, v1, v0
	s_delay_alu instid0(VALU_DEP_3) | instskip(NEXT) | instid1(VALU_DEP_3)
	v_dual_fmac_f32 v28, v3, v29 :: v_dual_fmac_f32 v38, v4, v36
	v_fmac_f32_e32 v20, v3, v43
	v_pk_mul_f32 v[2:3], v[4:5], v[30:31]
	v_dual_add_f32 v14, v14, v51 :: v_dual_add_f32 v17, v17, v52
	s_delay_alu instid0(VALU_DEP_4) | instskip(NEXT) | instid1(VALU_DEP_4)
	v_fmac_f32_e32 v28, v4, v26
	v_dual_fmac_f32 v20, v4, v40 :: v_dual_fmac_f32 v38, v5, v37
	s_delay_alu instid0(VALU_DEP_1) | instskip(NEXT) | instid1(VALU_DEP_1)
	v_dual_fmac_f32 v34, v4, v32 :: v_dual_fmac_f32 v20, v5, v41
	v_dual_add_f32 v0, v2, v0 :: v_dual_fmac_f32 v34, v5, v33
	s_delay_alu instid0(VALU_DEP_3) | instskip(NEXT) | instid1(VALU_DEP_3)
	v_dual_fmac_f32 v28, v5, v27 :: v_dual_add_f32 v18, v18, v38
	v_add_f32_e32 v19, v19, v20
	s_delay_alu instid0(VALU_DEP_3) | instskip(NEXT) | instid1(VALU_DEP_3)
	v_dual_add_f32 v0, v3, v0 :: v_dual_add_f32 v9, v9, v34
	v_add_f32_e32 v8, v8, v28
	s_delay_alu instid0(VALU_DEP_2)
	v_add_f32_e32 v7, v7, v0
.LBB184_496:                            ;   in Loop: Header=BB184_497 Depth=1
	s_or_b32 exec_lo, exec_lo, s22
	v_dual_add_nc_u32 v91, 4, v91 :: v_dual_add_nc_u32 v50, 64, v50
	v_add_nc_u64_e32 v[24:25], 16, v[24:25]
	v_add_nc_u32_e32 v92, 0x100, v92
	s_delay_alu instid0(VALU_DEP_3) | instskip(SKIP_1) | instid1(SALU_CYCLE_1)
	v_cmp_le_i32_e32 vcc_lo, s26, v91
	s_or_b32 s19, vcc_lo, s19
	s_and_not1_b32 exec_lo, exec_lo, s19
	s_cbranch_execz .LBB184_974
.LBB184_497:                            ; =>This Inner Loop Header: Depth=1
	v_mov_b32_e32 v51, v21
	s_delay_alu instid0(VALU_DEP_1) | instskip(NEXT) | instid1(VALU_DEP_1)
	v_mul_u64_e32 v[0:1], s[20:21], v[50:51]
	v_mul_lo_u32 v0, v1, s16
	s_delay_alu instid0(VALU_DEP_1) | instskip(NEXT) | instid1(VALU_DEP_1)
	v_sub_nc_u32_e32 v0, v50, v0
	v_subrev_nc_u32_e32 v3, s16, v0
	v_cmp_le_u32_e32 vcc_lo, s16, v0
	s_delay_alu instid0(VALU_DEP_2) | instskip(NEXT) | instid1(VALU_DEP_1)
	v_dual_add_nc_u32 v2, 1, v1 :: v_dual_cndmask_b32 v0, v0, v3, vcc_lo
	v_cndmask_b32_e32 v1, v1, v2, vcc_lo
	s_delay_alu instid0(VALU_DEP_2) | instskip(NEXT) | instid1(VALU_DEP_2)
	v_cmp_le_u32_e32 vcc_lo, s16, v0
	v_add_nc_u32_e32 v2, 1, v1
	s_delay_alu instid0(VALU_DEP_1) | instskip(NEXT) | instid1(VALU_DEP_1)
	v_cndmask_b32_e32 v0, v1, v2, vcc_lo
	v_xor_b32_e32 v0, s15, v0
	s_delay_alu instid0(VALU_DEP_1) | instskip(NEXT) | instid1(VALU_DEP_1)
	v_subrev_nc_u32_e32 v2, s15, v0
	v_add_nc_u32_e32 v3, s35, v2
	v_cmp_lt_i32_e64 s0, s13, v2
	s_delay_alu instid0(VALU_DEP_2) | instskip(NEXT) | instid1(VALU_DEP_1)
	v_sub_nc_u32_e32 v0, 0, v3
	v_dual_ashrrev_i32 v3, 31, v3 :: v_dual_max_i32 v20, v3, v0
	s_delay_alu instid0(VALU_DEP_1) | instskip(NEXT) | instid1(VALU_DEP_1)
	v_mul_u64_e32 v[0:1], s[2:3], v[20:21]
	v_mul_lo_u32 v0, v1, s12
	s_delay_alu instid0(VALU_DEP_1) | instskip(NEXT) | instid1(VALU_DEP_1)
	v_sub_nc_u32_e32 v0, v20, v0
	v_subrev_nc_u32_e32 v1, s12, v0
	v_cmp_le_u32_e32 vcc_lo, s12, v0
	s_delay_alu instid0(VALU_DEP_2) | instskip(NEXT) | instid1(VALU_DEP_1)
	v_cndmask_b32_e32 v0, v0, v1, vcc_lo
	v_subrev_nc_u32_e32 v1, s12, v0
	v_cmp_le_u32_e32 vcc_lo, s12, v0
	s_delay_alu instid0(VALU_DEP_2) | instskip(NEXT) | instid1(VALU_DEP_1)
	v_cndmask_b32_e32 v0, v0, v1, vcc_lo
	v_xor_b32_e32 v0, v0, v3
	s_delay_alu instid0(VALU_DEP_1) | instskip(NEXT) | instid1(VALU_DEP_1)
	v_sub_nc_u32_e32 v0, v0, v3
	v_cmp_eq_u32_e32 vcc_lo, 0, v0
	s_or_b32 s0, vcc_lo, s0
	s_delay_alu instid0(SALU_CYCLE_1)
	s_and_saveexec_b32 s22, s0
	s_cbranch_execz .LBB184_496
; %bb.498:                              ;   in Loop: Header=BB184_497 Depth=1
	global_load_b32 v0, v[24:25], off
	ds_load_b128 v[2:5], v92
	s_load_b32 s8, s[10:11], 0x0
	v_mov_b64_e32 v[26:27], 0
	s_mov_b32 s0, exec_lo
	s_wait_loadcnt 0x0
	v_mad_nc_i64_i32 v[30:31], v0, s14, v[22:23]
	v_mov_b64_e32 v[0:1], 0
	global_load_b32 v34, v[30:31], off
	s_wait_loadcnt 0x0
	v_and_b32_e32 v20, 0xff, v34
	s_delay_alu instid0(VALU_DEP_1)
	v_cmpx_ne_u16_e32 0, v20
	s_cbranch_execz .LBB184_506
; %bb.499:                              ;   in Loop: Header=BB184_497 Depth=1
	v_mov_b64_e32 v[26:27], 0x80000000
	s_mov_b32 s9, exec_lo
	v_cmpx_ne_u16_e32 0x80, v20
	s_cbranch_execz .LBB184_505
; %bb.500:                              ;   in Loop: Header=BB184_497 Depth=1
	v_mov_b64_e32 v[26:27], 0x7f800001
	v_and_b32_e32 v28, 0x7f, v34
	s_mov_b32 s23, exec_lo
	s_delay_alu instid0(VALU_DEP_1)
	v_cmpx_ne_u32_e32 0x7f, v28
	s_cbranch_execz .LBB184_504
; %bb.501:                              ;   in Loop: Header=BB184_497 Depth=1
	v_dual_lshrrev_b32 v26, 3, v28 :: v_dual_bitop2_b32 v20, 7, v34 bitop3:0x40
	s_mov_b32 s24, exec_lo
	v_cmpx_gt_u32_e32 8, v28
; %bb.502:                              ;   in Loop: Header=BB184_497 Depth=1
	s_delay_alu instid0(VALU_DEP_2) | instskip(NEXT) | instid1(VALU_DEP_1)
	v_clz_i32_u32_e32 v26, v20
	v_min_u32_e32 v26, 32, v26
	s_delay_alu instid0(VALU_DEP_1) | instskip(NEXT) | instid1(VALU_DEP_1)
	v_subrev_nc_u32_e32 v27, 28, v26
	v_lshlrev_b64_e32 v[28:29], v27, v[20:21]
	s_delay_alu instid0(VALU_DEP_1)
	v_dual_sub_nc_u32 v26, 29, v26 :: v_dual_bitop2_b32 v20, 7, v28 bitop3:0x40
; %bb.503:                              ;   in Loop: Header=BB184_497 Depth=1
	s_or_b32 exec_lo, exec_lo, s24
	s_delay_alu instid0(VALU_DEP_1) | instskip(NEXT) | instid1(VALU_DEP_2)
	v_dual_lshlrev_b32 v27, 24, v34 :: v_dual_lshlrev_b32 v20, 20, v20
	v_lshl_add_u32 v26, v26, 23, 0x3c000000
	s_delay_alu instid0(VALU_DEP_2) | instskip(NEXT) | instid1(VALU_DEP_1)
	v_and_b32_e32 v27, 0x80000000, v27
	v_or3_b32 v20, v20, v27, v26
	s_delay_alu instid0(VALU_DEP_1)
	v_mov_b64_e32 v[26:27], v[20:21]
.LBB184_504:                            ;   in Loop: Header=BB184_497 Depth=1
	s_or_b32 exec_lo, exec_lo, s23
.LBB184_505:                            ;   in Loop: Header=BB184_497 Depth=1
	s_delay_alu instid0(SALU_CYCLE_1)
	s_or_b32 exec_lo, exec_lo, s9
.LBB184_506:                            ;   in Loop: Header=BB184_497 Depth=1
	s_delay_alu instid0(SALU_CYCLE_1) | instskip(SKIP_2) | instid1(VALU_DEP_1)
	s_or_b32 exec_lo, exec_lo, s0
	v_lshrrev_b16 v20, 8, v34
	s_mov_b32 s0, exec_lo
	v_cmpx_ne_u16_e32 0, v20
	s_cbranch_execz .LBB184_514
; %bb.507:                              ;   in Loop: Header=BB184_497 Depth=1
	v_mov_b64_e32 v[0:1], 0x8000000000000000
	s_mov_b32 s9, exec_lo
	v_cmpx_ne_u16_e32 0x80, v20
	s_cbranch_execz .LBB184_513
; %bb.508:                              ;   in Loop: Header=BB184_497 Depth=1
	v_and_b32_e32 v20, 0xffff, v20
	v_mov_b64_e32 v[0:1], 0x7f80000100000000
	s_mov_b32 s23, exec_lo
	s_delay_alu instid0(VALU_DEP_2) | instskip(NEXT) | instid1(VALU_DEP_1)
	v_and_b32_e32 v28, 0x7f, v20
	v_cmpx_ne_u32_e32 0x7f, v28
	s_cbranch_execz .LBB184_512
; %bb.509:                              ;   in Loop: Header=BB184_497 Depth=1
	v_and_b32_e32 v20, 7, v20
	v_lshrrev_b32_e32 v0, 3, v28
	s_mov_b32 s24, exec_lo
	v_cmpx_gt_u32_e32 8, v28
; %bb.510:                              ;   in Loop: Header=BB184_497 Depth=1
	s_delay_alu instid0(VALU_DEP_3) | instskip(NEXT) | instid1(VALU_DEP_1)
	v_clz_i32_u32_e32 v0, v20
	v_min_u32_e32 v0, 32, v0
	s_delay_alu instid0(VALU_DEP_1) | instskip(SKIP_1) | instid1(VALU_DEP_2)
	v_subrev_nc_u32_e32 v1, 28, v0
	v_sub_nc_u32_e32 v0, 29, v0
	v_lshlrev_b64_e32 v[28:29], v1, v[20:21]
	s_delay_alu instid0(VALU_DEP_1)
	v_and_b32_e32 v20, 7, v28
; %bb.511:                              ;   in Loop: Header=BB184_497 Depth=1
	s_or_b32 exec_lo, exec_lo, s24
	s_delay_alu instid0(VALU_DEP_1) | instskip(SKIP_1) | instid1(VALU_DEP_2)
	v_dual_lshlrev_b32 v1, 16, v34 :: v_dual_lshlrev_b32 v20, 20, v20
	v_lshl_add_u32 v0, v0, 23, 0x3c000000
	v_and_b32_e32 v1, 0x80000000, v1
	s_delay_alu instid0(VALU_DEP_1)
	v_or3_b32 v1, v20, v1, v0
	v_mov_b32_e32 v0, v21
.LBB184_512:                            ;   in Loop: Header=BB184_497 Depth=1
	s_or_b32 exec_lo, exec_lo, s23
.LBB184_513:                            ;   in Loop: Header=BB184_497 Depth=1
	s_delay_alu instid0(SALU_CYCLE_1)
	s_or_b32 exec_lo, exec_lo, s9
.LBB184_514:                            ;   in Loop: Header=BB184_497 Depth=1
	s_delay_alu instid0(SALU_CYCLE_1) | instskip(SKIP_4) | instid1(VALU_DEP_3)
	s_or_b32 exec_lo, exec_lo, s0
	v_lshrrev_b32_e32 v35, 16, v34
	v_mov_b64_e32 v[28:29], 0
	v_mov_b64_e32 v[32:33], 0
	s_mov_b32 s0, exec_lo
	v_and_b32_e32 v20, 0xff, v35
	s_delay_alu instid0(VALU_DEP_1)
	v_cmpx_ne_u16_e32 0, v20
	s_cbranch_execz .LBB184_522
; %bb.515:                              ;   in Loop: Header=BB184_497 Depth=1
	v_mov_b64_e32 v[32:33], 0x80000000
	s_mov_b32 s9, exec_lo
	v_cmpx_ne_u16_e32 0x80, v20
	s_cbranch_execz .LBB184_521
; %bb.516:                              ;   in Loop: Header=BB184_497 Depth=1
	v_mov_b64_e32 v[32:33], 0x7f800001
	v_bfe_u32 v36, v34, 16, 7
	s_mov_b32 s23, exec_lo
	s_delay_alu instid0(VALU_DEP_1)
	v_cmpx_ne_u32_e32 0x7f, v36
	s_cbranch_execz .LBB184_520
; %bb.517:                              ;   in Loop: Header=BB184_497 Depth=1
	v_dual_lshrrev_b32 v32, 3, v36 :: v_dual_bitop2_b32 v20, 7, v35 bitop3:0x40
	s_mov_b32 s24, exec_lo
	v_cmpx_gt_u32_e32 8, v36
; %bb.518:                              ;   in Loop: Header=BB184_497 Depth=1
	s_delay_alu instid0(VALU_DEP_2) | instskip(NEXT) | instid1(VALU_DEP_1)
	v_clz_i32_u32_e32 v32, v20
	v_min_u32_e32 v32, 32, v32
	s_delay_alu instid0(VALU_DEP_1) | instskip(SKIP_1) | instid1(VALU_DEP_2)
	v_subrev_nc_u32_e32 v33, 28, v32
	v_sub_nc_u32_e32 v32, 29, v32
	v_lshlrev_b64_e32 v[36:37], v33, v[20:21]
	s_delay_alu instid0(VALU_DEP_1)
	v_and_b32_e32 v20, 7, v36
; %bb.519:                              ;   in Loop: Header=BB184_497 Depth=1
	s_or_b32 exec_lo, exec_lo, s24
	s_delay_alu instid0(VALU_DEP_1) | instskip(SKIP_1) | instid1(VALU_DEP_2)
	v_dual_lshlrev_b32 v33, 24, v35 :: v_dual_lshlrev_b32 v20, 20, v20
	v_lshl_add_u32 v32, v32, 23, 0x3c000000
	v_and_b32_e32 v33, 0x80000000, v33
	s_delay_alu instid0(VALU_DEP_1) | instskip(NEXT) | instid1(VALU_DEP_1)
	v_or3_b32 v20, v20, v33, v32
	v_mov_b64_e32 v[32:33], v[20:21]
.LBB184_520:                            ;   in Loop: Header=BB184_497 Depth=1
	s_or_b32 exec_lo, exec_lo, s23
.LBB184_521:                            ;   in Loop: Header=BB184_497 Depth=1
	s_delay_alu instid0(SALU_CYCLE_1)
	s_or_b32 exec_lo, exec_lo, s9
.LBB184_522:                            ;   in Loop: Header=BB184_497 Depth=1
	s_delay_alu instid0(SALU_CYCLE_1) | instskip(NEXT) | instid1(SALU_CYCLE_1)
	s_or_b32 exec_lo, exec_lo, s0
	s_mov_b32 s0, exec_lo
	v_cmpx_lt_u32_e32 0xffffff, v34
	s_cbranch_execz .LBB184_530
; %bb.523:                              ;   in Loop: Header=BB184_497 Depth=1
	v_mov_b64_e32 v[28:29], 0x8000000000000000
	v_lshrrev_b32_e32 v35, 24, v34
	s_mov_b32 s9, exec_lo
	s_delay_alu instid0(VALU_DEP_1)
	v_cmpx_ne_u32_e32 0x80, v35
	s_cbranch_execz .LBB184_529
; %bb.524:                              ;   in Loop: Header=BB184_497 Depth=1
	v_mov_b64_e32 v[28:29], 0x7f80000100000000
	v_bfe_u32 v34, v34, 24, 7
	s_mov_b32 s23, exec_lo
	s_delay_alu instid0(VALU_DEP_1)
	v_cmpx_ne_u32_e32 0x7f, v34
	s_cbranch_execz .LBB184_528
; %bb.525:                              ;   in Loop: Header=BB184_497 Depth=1
	v_dual_lshrrev_b32 v28, 3, v34 :: v_dual_bitop2_b32 v20, 7, v35 bitop3:0x40
	s_mov_b32 s24, exec_lo
	v_cmpx_gt_u32_e32 8, v34
; %bb.526:                              ;   in Loop: Header=BB184_497 Depth=1
	s_delay_alu instid0(VALU_DEP_2) | instskip(NEXT) | instid1(VALU_DEP_1)
	v_clz_i32_u32_e32 v28, v20
	v_min_u32_e32 v28, 32, v28
	s_delay_alu instid0(VALU_DEP_1) | instskip(SKIP_1) | instid1(VALU_DEP_2)
	v_subrev_nc_u32_e32 v29, 28, v28
	v_sub_nc_u32_e32 v28, 29, v28
	v_lshlrev_b64_e32 v[36:37], v29, v[20:21]
	s_delay_alu instid0(VALU_DEP_1)
	v_and_b32_e32 v20, 7, v36
; %bb.527:                              ;   in Loop: Header=BB184_497 Depth=1
	s_or_b32 exec_lo, exec_lo, s24
	s_delay_alu instid0(VALU_DEP_1) | instskip(SKIP_1) | instid1(VALU_DEP_2)
	v_dual_lshlrev_b32 v29, 24, v35 :: v_dual_lshlrev_b32 v20, 20, v20
	v_lshl_add_u32 v28, v28, 23, 0x3c000000
	v_and_b32_e32 v29, 0x80000000, v29
	s_delay_alu instid0(VALU_DEP_1)
	v_or3_b32 v29, v20, v29, v28
	v_mov_b32_e32 v28, v21
.LBB184_528:                            ;   in Loop: Header=BB184_497 Depth=1
	s_or_b32 exec_lo, exec_lo, s23
.LBB184_529:                            ;   in Loop: Header=BB184_497 Depth=1
	s_delay_alu instid0(SALU_CYCLE_1)
	s_or_b32 exec_lo, exec_lo, s9
.LBB184_530:                            ;   in Loop: Header=BB184_497 Depth=1
	s_delay_alu instid0(SALU_CYCLE_1)
	s_or_b32 exec_lo, exec_lo, s0
	v_dual_add_nc_u32 v51, v90, v50 :: v_dual_bitop2_b32 v1, v1, v27 bitop3:0x54
	v_or_b32_e32 v0, v0, v26
	v_or_b32_e32 v27, v29, v33
	;; [unrolled: 1-line block ×3, first 2 shown]
	v_cmp_eq_u32_e32 vcc_lo, s17, v91
	v_add_nc_u32_e32 v93, 1, v51
	s_wait_kmcnt 0x0
	v_pk_mul_f32 v[28:29], s[8:9], v[0:1] op_sel_hi:[0,1]
	v_dual_add_nc_u32 v85, 2, v51 :: v_dual_add_nc_u32 v84, 3, v51
	v_pk_mul_f32 v[26:27], s[8:9], v[26:27] op_sel_hi:[0,1]
	s_and_saveexec_b32 s9, vcc_lo
	s_cbranch_execz .LBB184_532
; %bb.531:                              ;   in Loop: Header=BB184_497 Depth=1
	v_cmp_gt_i32_e64 s0, s34, v51
	s_delay_alu instid0(VALU_DEP_1) | instskip(SKIP_1) | instid1(VALU_DEP_1)
	v_cndmask_b32_e64 v28, 0, v28, s0
	v_cmp_gt_i32_e64 s0, s34, v93
	v_cndmask_b32_e64 v29, 0, v29, s0
	v_cmp_gt_i32_e64 s0, s34, v85
	s_delay_alu instid0(VALU_DEP_1) | instskip(SKIP_1) | instid1(VALU_DEP_1)
	v_cndmask_b32_e64 v26, 0, v26, s0
	v_cmp_gt_i32_e64 s0, s34, v84
	v_cndmask_b32_e64 v27, 0, v27, s0
.LBB184_532:                            ;   in Loop: Header=BB184_497 Depth=1
	s_or_b32 exec_lo, exec_lo, s9
	global_load_b32 v38, v[30:31], off offset:128
	v_mov_b64_e32 v[0:1], 0
	v_mov_b64_e32 v[32:33], 0
	s_mov_b32 s9, exec_lo
	s_wait_loadcnt 0x0
	v_and_b32_e32 v20, 0xff, v38
	s_delay_alu instid0(VALU_DEP_1)
	v_cmpx_ne_u16_e32 0, v20
	s_cbranch_execz .LBB184_540
; %bb.533:                              ;   in Loop: Header=BB184_497 Depth=1
	v_mov_b64_e32 v[32:33], 0x80000000
	s_mov_b32 s23, exec_lo
	v_cmpx_ne_u16_e32 0x80, v20
	s_cbranch_execz .LBB184_539
; %bb.534:                              ;   in Loop: Header=BB184_497 Depth=1
	v_mov_b64_e32 v[32:33], 0x7f800001
	v_and_b32_e32 v34, 0x7f, v38
	s_mov_b32 s24, exec_lo
	s_delay_alu instid0(VALU_DEP_1)
	v_cmpx_ne_u32_e32 0x7f, v34
	s_cbranch_execz .LBB184_538
; %bb.535:                              ;   in Loop: Header=BB184_497 Depth=1
	v_and_b32_e32 v20, 7, v38
	v_lshrrev_b32_e32 v32, 3, v34
	s_mov_b32 s25, exec_lo
	v_cmpx_gt_u32_e32 8, v34
; %bb.536:                              ;   in Loop: Header=BB184_497 Depth=1
	s_delay_alu instid0(VALU_DEP_3) | instskip(NEXT) | instid1(VALU_DEP_1)
	v_clz_i32_u32_e32 v32, v20
	v_min_u32_e32 v32, 32, v32
	s_delay_alu instid0(VALU_DEP_1) | instskip(NEXT) | instid1(VALU_DEP_1)
	v_subrev_nc_u32_e32 v33, 28, v32
	v_lshlrev_b64_e32 v[34:35], v33, v[20:21]
	s_delay_alu instid0(VALU_DEP_1)
	v_dual_sub_nc_u32 v32, 29, v32 :: v_dual_bitop2_b32 v20, 7, v34 bitop3:0x40
; %bb.537:                              ;   in Loop: Header=BB184_497 Depth=1
	s_or_b32 exec_lo, exec_lo, s25
	s_delay_alu instid0(VALU_DEP_1) | instskip(NEXT) | instid1(VALU_DEP_2)
	v_dual_lshlrev_b32 v33, 24, v38 :: v_dual_lshlrev_b32 v20, 20, v20
	v_lshl_add_u32 v32, v32, 23, 0x3c000000
	s_delay_alu instid0(VALU_DEP_2) | instskip(NEXT) | instid1(VALU_DEP_1)
	v_and_b32_e32 v33, 0x80000000, v33
	v_or3_b32 v20, v20, v33, v32
	s_delay_alu instid0(VALU_DEP_1)
	v_mov_b64_e32 v[32:33], v[20:21]
.LBB184_538:                            ;   in Loop: Header=BB184_497 Depth=1
	s_or_b32 exec_lo, exec_lo, s24
.LBB184_539:                            ;   in Loop: Header=BB184_497 Depth=1
	s_delay_alu instid0(SALU_CYCLE_1)
	s_or_b32 exec_lo, exec_lo, s23
.LBB184_540:                            ;   in Loop: Header=BB184_497 Depth=1
	s_delay_alu instid0(SALU_CYCLE_1) | instskip(SKIP_2) | instid1(VALU_DEP_1)
	s_or_b32 exec_lo, exec_lo, s9
	v_lshrrev_b16 v20, 8, v38
	s_mov_b32 s9, exec_lo
	v_cmpx_ne_u16_e32 0, v20
	s_cbranch_execz .LBB184_548
; %bb.541:                              ;   in Loop: Header=BB184_497 Depth=1
	v_mov_b64_e32 v[0:1], 0x8000000000000000
	s_mov_b32 s23, exec_lo
	v_cmpx_ne_u16_e32 0x80, v20
	s_cbranch_execz .LBB184_547
; %bb.542:                              ;   in Loop: Header=BB184_497 Depth=1
	v_and_b32_e32 v20, 0xffff, v20
	v_mov_b64_e32 v[0:1], 0x7f80000100000000
	s_mov_b32 s24, exec_lo
	s_delay_alu instid0(VALU_DEP_2) | instskip(NEXT) | instid1(VALU_DEP_1)
	v_and_b32_e32 v34, 0x7f, v20
	v_cmpx_ne_u32_e32 0x7f, v34
	s_cbranch_execz .LBB184_546
; %bb.543:                              ;   in Loop: Header=BB184_497 Depth=1
	v_dual_lshrrev_b32 v0, 3, v34 :: v_dual_bitop2_b32 v20, 7, v20 bitop3:0x40
	s_mov_b32 s25, exec_lo
	v_cmpx_gt_u32_e32 8, v34
; %bb.544:                              ;   in Loop: Header=BB184_497 Depth=1
	s_delay_alu instid0(VALU_DEP_2) | instskip(NEXT) | instid1(VALU_DEP_1)
	v_clz_i32_u32_e32 v0, v20
	v_min_u32_e32 v0, 32, v0
	s_delay_alu instid0(VALU_DEP_1) | instskip(NEXT) | instid1(VALU_DEP_1)
	v_subrev_nc_u32_e32 v1, 28, v0
	v_lshlrev_b64_e32 v[34:35], v1, v[20:21]
	s_delay_alu instid0(VALU_DEP_1)
	v_dual_sub_nc_u32 v0, 29, v0 :: v_dual_bitop2_b32 v20, 7, v34 bitop3:0x40
; %bb.545:                              ;   in Loop: Header=BB184_497 Depth=1
	s_or_b32 exec_lo, exec_lo, s25
	s_delay_alu instid0(VALU_DEP_1) | instskip(NEXT) | instid1(VALU_DEP_2)
	v_dual_lshlrev_b32 v1, 16, v38 :: v_dual_lshlrev_b32 v20, 20, v20
	v_lshl_add_u32 v0, v0, 23, 0x3c000000
	s_delay_alu instid0(VALU_DEP_2) | instskip(NEXT) | instid1(VALU_DEP_1)
	v_and_b32_e32 v1, 0x80000000, v1
	v_or3_b32 v1, v20, v1, v0
	v_mov_b32_e32 v0, v21
.LBB184_546:                            ;   in Loop: Header=BB184_497 Depth=1
	s_or_b32 exec_lo, exec_lo, s24
.LBB184_547:                            ;   in Loop: Header=BB184_497 Depth=1
	s_delay_alu instid0(SALU_CYCLE_1)
	s_or_b32 exec_lo, exec_lo, s23
.LBB184_548:                            ;   in Loop: Header=BB184_497 Depth=1
	s_delay_alu instid0(SALU_CYCLE_1) | instskip(SKIP_4) | instid1(VALU_DEP_3)
	s_or_b32 exec_lo, exec_lo, s9
	v_lshrrev_b32_e32 v39, 16, v38
	v_mov_b64_e32 v[34:35], 0
	v_mov_b64_e32 v[36:37], 0
	s_mov_b32 s9, exec_lo
	v_and_b32_e32 v20, 0xff, v39
	s_delay_alu instid0(VALU_DEP_1)
	v_cmpx_ne_u16_e32 0, v20
	s_cbranch_execz .LBB184_556
; %bb.549:                              ;   in Loop: Header=BB184_497 Depth=1
	v_mov_b64_e32 v[36:37], 0x80000000
	s_mov_b32 s23, exec_lo
	v_cmpx_ne_u16_e32 0x80, v20
	s_cbranch_execz .LBB184_555
; %bb.550:                              ;   in Loop: Header=BB184_497 Depth=1
	v_mov_b64_e32 v[36:37], 0x7f800001
	v_bfe_u32 v40, v38, 16, 7
	s_mov_b32 s24, exec_lo
	s_delay_alu instid0(VALU_DEP_1)
	v_cmpx_ne_u32_e32 0x7f, v40
	s_cbranch_execz .LBB184_554
; %bb.551:                              ;   in Loop: Header=BB184_497 Depth=1
	v_dual_lshrrev_b32 v36, 3, v40 :: v_dual_bitop2_b32 v20, 7, v39 bitop3:0x40
	s_mov_b32 s25, exec_lo
	v_cmpx_gt_u32_e32 8, v40
; %bb.552:                              ;   in Loop: Header=BB184_497 Depth=1
	s_delay_alu instid0(VALU_DEP_2) | instskip(NEXT) | instid1(VALU_DEP_1)
	v_clz_i32_u32_e32 v36, v20
	v_min_u32_e32 v36, 32, v36
	s_delay_alu instid0(VALU_DEP_1) | instskip(SKIP_1) | instid1(VALU_DEP_2)
	v_subrev_nc_u32_e32 v37, 28, v36
	v_sub_nc_u32_e32 v36, 29, v36
	v_lshlrev_b64_e32 v[40:41], v37, v[20:21]
	s_delay_alu instid0(VALU_DEP_1)
	v_and_b32_e32 v20, 7, v40
; %bb.553:                              ;   in Loop: Header=BB184_497 Depth=1
	s_or_b32 exec_lo, exec_lo, s25
	s_delay_alu instid0(VALU_DEP_1) | instskip(SKIP_1) | instid1(VALU_DEP_2)
	v_dual_lshlrev_b32 v37, 24, v39 :: v_dual_lshlrev_b32 v20, 20, v20
	v_lshl_add_u32 v36, v36, 23, 0x3c000000
	v_and_b32_e32 v37, 0x80000000, v37
	s_delay_alu instid0(VALU_DEP_1) | instskip(NEXT) | instid1(VALU_DEP_1)
	v_or3_b32 v20, v20, v37, v36
	v_mov_b64_e32 v[36:37], v[20:21]
.LBB184_554:                            ;   in Loop: Header=BB184_497 Depth=1
	s_or_b32 exec_lo, exec_lo, s24
.LBB184_555:                            ;   in Loop: Header=BB184_497 Depth=1
	s_delay_alu instid0(SALU_CYCLE_1)
	s_or_b32 exec_lo, exec_lo, s23
.LBB184_556:                            ;   in Loop: Header=BB184_497 Depth=1
	s_delay_alu instid0(SALU_CYCLE_1) | instskip(NEXT) | instid1(SALU_CYCLE_1)
	s_or_b32 exec_lo, exec_lo, s9
	s_mov_b32 s9, exec_lo
	v_cmpx_lt_u32_e32 0xffffff, v38
	s_cbranch_execz .LBB184_564
; %bb.557:                              ;   in Loop: Header=BB184_497 Depth=1
	v_mov_b64_e32 v[34:35], 0x8000000000000000
	v_lshrrev_b32_e32 v39, 24, v38
	s_mov_b32 s23, exec_lo
	s_delay_alu instid0(VALU_DEP_1)
	v_cmpx_ne_u32_e32 0x80, v39
	s_cbranch_execz .LBB184_563
; %bb.558:                              ;   in Loop: Header=BB184_497 Depth=1
	v_mov_b64_e32 v[34:35], 0x7f80000100000000
	v_bfe_u32 v38, v38, 24, 7
	s_mov_b32 s24, exec_lo
	s_delay_alu instid0(VALU_DEP_1)
	v_cmpx_ne_u32_e32 0x7f, v38
	s_cbranch_execz .LBB184_562
; %bb.559:                              ;   in Loop: Header=BB184_497 Depth=1
	v_dual_lshrrev_b32 v34, 3, v38 :: v_dual_bitop2_b32 v20, 7, v39 bitop3:0x40
	s_mov_b32 s25, exec_lo
	v_cmpx_gt_u32_e32 8, v38
; %bb.560:                              ;   in Loop: Header=BB184_497 Depth=1
	s_delay_alu instid0(VALU_DEP_2) | instskip(NEXT) | instid1(VALU_DEP_1)
	v_clz_i32_u32_e32 v34, v20
	v_min_u32_e32 v34, 32, v34
	s_delay_alu instid0(VALU_DEP_1) | instskip(NEXT) | instid1(VALU_DEP_1)
	v_subrev_nc_u32_e32 v35, 28, v34
	v_lshlrev_b64_e32 v[40:41], v35, v[20:21]
	s_delay_alu instid0(VALU_DEP_1)
	v_dual_sub_nc_u32 v34, 29, v34 :: v_dual_bitop2_b32 v20, 7, v40 bitop3:0x40
; %bb.561:                              ;   in Loop: Header=BB184_497 Depth=1
	s_or_b32 exec_lo, exec_lo, s25
	s_delay_alu instid0(VALU_DEP_1) | instskip(NEXT) | instid1(VALU_DEP_2)
	v_dual_lshlrev_b32 v35, 24, v39 :: v_dual_lshlrev_b32 v20, 20, v20
	v_lshl_add_u32 v34, v34, 23, 0x3c000000
	s_delay_alu instid0(VALU_DEP_2) | instskip(NEXT) | instid1(VALU_DEP_1)
	v_and_b32_e32 v35, 0x80000000, v35
	v_or3_b32 v35, v20, v35, v34
	v_mov_b32_e32 v34, v21
.LBB184_562:                            ;   in Loop: Header=BB184_497 Depth=1
	s_or_b32 exec_lo, exec_lo, s24
.LBB184_563:                            ;   in Loop: Header=BB184_497 Depth=1
	s_delay_alu instid0(SALU_CYCLE_1)
	s_or_b32 exec_lo, exec_lo, s23
.LBB184_564:                            ;   in Loop: Header=BB184_497 Depth=1
	s_delay_alu instid0(SALU_CYCLE_1)
	s_or_b32 exec_lo, exec_lo, s9
	s_mov_b32 s9, s8
	v_or_b32_e32 v1, v1, v33
	v_or_b32_e32 v0, v0, v32
	v_mov_b64_e32 v[32:33], s[8:9]
	v_or_b32_e32 v37, v35, v37
	v_or_b32_e32 v36, v34, v36
	s_delay_alu instid0(VALU_DEP_3) | instskip(NEXT) | instid1(VALU_DEP_2)
	v_pk_mul_f32 v[34:35], v[32:33], v[0:1]
	v_pk_mul_f32 v[32:33], v[32:33], v[36:37]
	s_and_saveexec_b32 s23, vcc_lo
	s_cbranch_execz .LBB184_566
; %bb.565:                              ;   in Loop: Header=BB184_497 Depth=1
	v_cmp_gt_i32_e64 s0, s34, v51
	s_delay_alu instid0(VALU_DEP_1) | instskip(SKIP_1) | instid1(VALU_DEP_1)
	v_cndmask_b32_e64 v34, 0, v34, s0
	v_cmp_gt_i32_e64 s0, s34, v93
	v_cndmask_b32_e64 v35, 0, v35, s0
	v_cmp_gt_i32_e64 s0, s34, v85
	s_delay_alu instid0(VALU_DEP_1) | instskip(SKIP_1) | instid1(VALU_DEP_1)
	v_cndmask_b32_e64 v32, 0, v32, s0
	v_cmp_gt_i32_e64 s0, s34, v84
	v_cndmask_b32_e64 v33, 0, v33, s0
.LBB184_566:                            ;   in Loop: Header=BB184_497 Depth=1
	s_or_b32 exec_lo, exec_lo, s23
	global_load_b32 v42, v[30:31], off offset:256
	v_mov_b64_e32 v[0:1], 0
	v_mov_b64_e32 v[36:37], 0
	s_mov_b32 s23, exec_lo
	s_wait_loadcnt 0x0
	v_and_b32_e32 v20, 0xff, v42
	s_delay_alu instid0(VALU_DEP_1)
	v_cmpx_ne_u16_e32 0, v20
	s_cbranch_execz .LBB184_574
; %bb.567:                              ;   in Loop: Header=BB184_497 Depth=1
	v_mov_b64_e32 v[36:37], 0x80000000
	s_mov_b32 s24, exec_lo
	v_cmpx_ne_u16_e32 0x80, v20
	s_cbranch_execz .LBB184_573
; %bb.568:                              ;   in Loop: Header=BB184_497 Depth=1
	v_mov_b64_e32 v[36:37], 0x7f800001
	v_and_b32_e32 v38, 0x7f, v42
	s_mov_b32 s25, exec_lo
	s_delay_alu instid0(VALU_DEP_1)
	v_cmpx_ne_u32_e32 0x7f, v38
	s_cbranch_execz .LBB184_572
; %bb.569:                              ;   in Loop: Header=BB184_497 Depth=1
	v_and_b32_e32 v20, 7, v42
	v_lshrrev_b32_e32 v36, 3, v38
	s_mov_b32 s27, exec_lo
	v_cmpx_gt_u32_e32 8, v38
; %bb.570:                              ;   in Loop: Header=BB184_497 Depth=1
	s_delay_alu instid0(VALU_DEP_3) | instskip(NEXT) | instid1(VALU_DEP_1)
	v_clz_i32_u32_e32 v36, v20
	v_min_u32_e32 v36, 32, v36
	s_delay_alu instid0(VALU_DEP_1) | instskip(NEXT) | instid1(VALU_DEP_1)
	v_subrev_nc_u32_e32 v37, 28, v36
	v_lshlrev_b64_e32 v[38:39], v37, v[20:21]
	s_delay_alu instid0(VALU_DEP_1)
	v_dual_sub_nc_u32 v36, 29, v36 :: v_dual_bitop2_b32 v20, 7, v38 bitop3:0x40
; %bb.571:                              ;   in Loop: Header=BB184_497 Depth=1
	s_or_b32 exec_lo, exec_lo, s27
	s_delay_alu instid0(VALU_DEP_1) | instskip(NEXT) | instid1(VALU_DEP_2)
	v_dual_lshlrev_b32 v37, 24, v42 :: v_dual_lshlrev_b32 v20, 20, v20
	v_lshl_add_u32 v36, v36, 23, 0x3c000000
	s_delay_alu instid0(VALU_DEP_2) | instskip(NEXT) | instid1(VALU_DEP_1)
	v_and_b32_e32 v37, 0x80000000, v37
	v_or3_b32 v20, v20, v37, v36
	s_delay_alu instid0(VALU_DEP_1)
	v_mov_b64_e32 v[36:37], v[20:21]
.LBB184_572:                            ;   in Loop: Header=BB184_497 Depth=1
	s_or_b32 exec_lo, exec_lo, s25
.LBB184_573:                            ;   in Loop: Header=BB184_497 Depth=1
	s_delay_alu instid0(SALU_CYCLE_1)
	s_or_b32 exec_lo, exec_lo, s24
.LBB184_574:                            ;   in Loop: Header=BB184_497 Depth=1
	s_delay_alu instid0(SALU_CYCLE_1) | instskip(SKIP_2) | instid1(VALU_DEP_1)
	s_or_b32 exec_lo, exec_lo, s23
	v_lshrrev_b16 v20, 8, v42
	s_mov_b32 s23, exec_lo
	v_cmpx_ne_u16_e32 0, v20
	s_cbranch_execz .LBB184_582
; %bb.575:                              ;   in Loop: Header=BB184_497 Depth=1
	v_mov_b64_e32 v[0:1], 0x8000000000000000
	s_mov_b32 s24, exec_lo
	v_cmpx_ne_u16_e32 0x80, v20
	s_cbranch_execz .LBB184_581
; %bb.576:                              ;   in Loop: Header=BB184_497 Depth=1
	v_and_b32_e32 v20, 0xffff, v20
	v_mov_b64_e32 v[0:1], 0x7f80000100000000
	s_mov_b32 s25, exec_lo
	s_delay_alu instid0(VALU_DEP_2) | instskip(NEXT) | instid1(VALU_DEP_1)
	v_and_b32_e32 v38, 0x7f, v20
	v_cmpx_ne_u32_e32 0x7f, v38
	s_cbranch_execz .LBB184_580
; %bb.577:                              ;   in Loop: Header=BB184_497 Depth=1
	v_dual_lshrrev_b32 v0, 3, v38 :: v_dual_bitop2_b32 v20, 7, v20 bitop3:0x40
	s_mov_b32 s27, exec_lo
	v_cmpx_gt_u32_e32 8, v38
; %bb.578:                              ;   in Loop: Header=BB184_497 Depth=1
	s_delay_alu instid0(VALU_DEP_2) | instskip(NEXT) | instid1(VALU_DEP_1)
	v_clz_i32_u32_e32 v0, v20
	v_min_u32_e32 v0, 32, v0
	s_delay_alu instid0(VALU_DEP_1) | instskip(NEXT) | instid1(VALU_DEP_1)
	v_subrev_nc_u32_e32 v1, 28, v0
	v_lshlrev_b64_e32 v[38:39], v1, v[20:21]
	s_delay_alu instid0(VALU_DEP_1)
	v_dual_sub_nc_u32 v0, 29, v0 :: v_dual_bitop2_b32 v20, 7, v38 bitop3:0x40
; %bb.579:                              ;   in Loop: Header=BB184_497 Depth=1
	s_or_b32 exec_lo, exec_lo, s27
	s_delay_alu instid0(VALU_DEP_1) | instskip(NEXT) | instid1(VALU_DEP_2)
	v_dual_lshlrev_b32 v1, 16, v42 :: v_dual_lshlrev_b32 v20, 20, v20
	v_lshl_add_u32 v0, v0, 23, 0x3c000000
	s_delay_alu instid0(VALU_DEP_2) | instskip(NEXT) | instid1(VALU_DEP_1)
	v_and_b32_e32 v1, 0x80000000, v1
	v_or3_b32 v1, v20, v1, v0
	v_mov_b32_e32 v0, v21
.LBB184_580:                            ;   in Loop: Header=BB184_497 Depth=1
	s_or_b32 exec_lo, exec_lo, s25
.LBB184_581:                            ;   in Loop: Header=BB184_497 Depth=1
	s_delay_alu instid0(SALU_CYCLE_1)
	s_or_b32 exec_lo, exec_lo, s24
.LBB184_582:                            ;   in Loop: Header=BB184_497 Depth=1
	s_delay_alu instid0(SALU_CYCLE_1) | instskip(SKIP_4) | instid1(VALU_DEP_3)
	s_or_b32 exec_lo, exec_lo, s23
	v_lshrrev_b32_e32 v43, 16, v42
	v_mov_b64_e32 v[38:39], 0
	v_mov_b64_e32 v[40:41], 0
	s_mov_b32 s23, exec_lo
	v_and_b32_e32 v20, 0xff, v43
	s_delay_alu instid0(VALU_DEP_1)
	v_cmpx_ne_u16_e32 0, v20
	s_cbranch_execz .LBB184_590
; %bb.583:                              ;   in Loop: Header=BB184_497 Depth=1
	v_mov_b64_e32 v[40:41], 0x80000000
	s_mov_b32 s24, exec_lo
	v_cmpx_ne_u16_e32 0x80, v20
	s_cbranch_execz .LBB184_589
; %bb.584:                              ;   in Loop: Header=BB184_497 Depth=1
	v_mov_b64_e32 v[40:41], 0x7f800001
	v_bfe_u32 v44, v42, 16, 7
	s_mov_b32 s25, exec_lo
	s_delay_alu instid0(VALU_DEP_1)
	v_cmpx_ne_u32_e32 0x7f, v44
	s_cbranch_execz .LBB184_588
; %bb.585:                              ;   in Loop: Header=BB184_497 Depth=1
	v_dual_lshrrev_b32 v40, 3, v44 :: v_dual_bitop2_b32 v20, 7, v43 bitop3:0x40
	s_mov_b32 s27, exec_lo
	v_cmpx_gt_u32_e32 8, v44
; %bb.586:                              ;   in Loop: Header=BB184_497 Depth=1
	s_delay_alu instid0(VALU_DEP_2) | instskip(NEXT) | instid1(VALU_DEP_1)
	v_clz_i32_u32_e32 v40, v20
	v_min_u32_e32 v40, 32, v40
	s_delay_alu instid0(VALU_DEP_1) | instskip(SKIP_1) | instid1(VALU_DEP_2)
	v_subrev_nc_u32_e32 v41, 28, v40
	v_sub_nc_u32_e32 v40, 29, v40
	v_lshlrev_b64_e32 v[44:45], v41, v[20:21]
	s_delay_alu instid0(VALU_DEP_1)
	v_and_b32_e32 v20, 7, v44
; %bb.587:                              ;   in Loop: Header=BB184_497 Depth=1
	s_or_b32 exec_lo, exec_lo, s27
	s_delay_alu instid0(VALU_DEP_1) | instskip(SKIP_1) | instid1(VALU_DEP_2)
	v_dual_lshlrev_b32 v41, 24, v43 :: v_dual_lshlrev_b32 v20, 20, v20
	v_lshl_add_u32 v40, v40, 23, 0x3c000000
	v_and_b32_e32 v41, 0x80000000, v41
	s_delay_alu instid0(VALU_DEP_1) | instskip(NEXT) | instid1(VALU_DEP_1)
	v_or3_b32 v20, v20, v41, v40
	v_mov_b64_e32 v[40:41], v[20:21]
.LBB184_588:                            ;   in Loop: Header=BB184_497 Depth=1
	s_or_b32 exec_lo, exec_lo, s25
.LBB184_589:                            ;   in Loop: Header=BB184_497 Depth=1
	s_delay_alu instid0(SALU_CYCLE_1)
	s_or_b32 exec_lo, exec_lo, s24
.LBB184_590:                            ;   in Loop: Header=BB184_497 Depth=1
	s_delay_alu instid0(SALU_CYCLE_1) | instskip(NEXT) | instid1(SALU_CYCLE_1)
	s_or_b32 exec_lo, exec_lo, s23
	s_mov_b32 s23, exec_lo
	v_cmpx_lt_u32_e32 0xffffff, v42
	s_cbranch_execz .LBB184_598
; %bb.591:                              ;   in Loop: Header=BB184_497 Depth=1
	v_mov_b64_e32 v[38:39], 0x8000000000000000
	v_lshrrev_b32_e32 v43, 24, v42
	s_mov_b32 s24, exec_lo
	s_delay_alu instid0(VALU_DEP_1)
	v_cmpx_ne_u32_e32 0x80, v43
	s_cbranch_execz .LBB184_597
; %bb.592:                              ;   in Loop: Header=BB184_497 Depth=1
	v_mov_b64_e32 v[38:39], 0x7f80000100000000
	v_bfe_u32 v42, v42, 24, 7
	s_mov_b32 s25, exec_lo
	s_delay_alu instid0(VALU_DEP_1)
	v_cmpx_ne_u32_e32 0x7f, v42
	s_cbranch_execz .LBB184_596
; %bb.593:                              ;   in Loop: Header=BB184_497 Depth=1
	v_dual_lshrrev_b32 v38, 3, v42 :: v_dual_bitop2_b32 v20, 7, v43 bitop3:0x40
	s_mov_b32 s27, exec_lo
	v_cmpx_gt_u32_e32 8, v42
; %bb.594:                              ;   in Loop: Header=BB184_497 Depth=1
	s_delay_alu instid0(VALU_DEP_2) | instskip(NEXT) | instid1(VALU_DEP_1)
	v_clz_i32_u32_e32 v38, v20
	v_min_u32_e32 v38, 32, v38
	s_delay_alu instid0(VALU_DEP_1) | instskip(NEXT) | instid1(VALU_DEP_1)
	v_subrev_nc_u32_e32 v39, 28, v38
	v_lshlrev_b64_e32 v[44:45], v39, v[20:21]
	s_delay_alu instid0(VALU_DEP_1)
	v_dual_sub_nc_u32 v38, 29, v38 :: v_dual_bitop2_b32 v20, 7, v44 bitop3:0x40
; %bb.595:                              ;   in Loop: Header=BB184_497 Depth=1
	s_or_b32 exec_lo, exec_lo, s27
	s_delay_alu instid0(VALU_DEP_1) | instskip(NEXT) | instid1(VALU_DEP_2)
	v_dual_lshlrev_b32 v39, 24, v43 :: v_dual_lshlrev_b32 v20, 20, v20
	v_lshl_add_u32 v38, v38, 23, 0x3c000000
	s_delay_alu instid0(VALU_DEP_2) | instskip(NEXT) | instid1(VALU_DEP_1)
	v_and_b32_e32 v39, 0x80000000, v39
	v_or3_b32 v39, v20, v39, v38
	v_mov_b32_e32 v38, v21
.LBB184_596:                            ;   in Loop: Header=BB184_497 Depth=1
	s_or_b32 exec_lo, exec_lo, s25
.LBB184_597:                            ;   in Loop: Header=BB184_497 Depth=1
	s_delay_alu instid0(SALU_CYCLE_1)
	s_or_b32 exec_lo, exec_lo, s24
.LBB184_598:                            ;   in Loop: Header=BB184_497 Depth=1
	s_delay_alu instid0(SALU_CYCLE_1)
	s_or_b32 exec_lo, exec_lo, s23
	v_or_b32_e32 v1, v1, v37
	v_or_b32_e32 v0, v0, v36
	v_mov_b64_e32 v[36:37], s[8:9]
	v_or_b32_e32 v41, v39, v41
	v_or_b32_e32 v40, v38, v40
	s_delay_alu instid0(VALU_DEP_3) | instskip(NEXT) | instid1(VALU_DEP_2)
	v_pk_mul_f32 v[38:39], v[36:37], v[0:1]
	v_pk_mul_f32 v[36:37], v[36:37], v[40:41]
	s_and_saveexec_b32 s23, vcc_lo
	s_cbranch_execz .LBB184_600
; %bb.599:                              ;   in Loop: Header=BB184_497 Depth=1
	v_cmp_gt_i32_e64 s0, s34, v51
	s_delay_alu instid0(VALU_DEP_1) | instskip(SKIP_1) | instid1(VALU_DEP_1)
	v_cndmask_b32_e64 v38, 0, v38, s0
	v_cmp_gt_i32_e64 s0, s34, v93
	v_cndmask_b32_e64 v39, 0, v39, s0
	v_cmp_gt_i32_e64 s0, s34, v85
	s_delay_alu instid0(VALU_DEP_1) | instskip(SKIP_1) | instid1(VALU_DEP_1)
	v_cndmask_b32_e64 v36, 0, v36, s0
	v_cmp_gt_i32_e64 s0, s34, v84
	v_cndmask_b32_e64 v37, 0, v37, s0
.LBB184_600:                            ;   in Loop: Header=BB184_497 Depth=1
	s_or_b32 exec_lo, exec_lo, s23
	global_load_b32 v46, v[30:31], off offset:384
	v_mov_b64_e32 v[0:1], 0
	v_mov_b64_e32 v[40:41], 0
	s_mov_b32 s23, exec_lo
	s_wait_loadcnt 0x0
	v_and_b32_e32 v20, 0xff, v46
	s_delay_alu instid0(VALU_DEP_1)
	v_cmpx_ne_u16_e32 0, v20
	s_cbranch_execz .LBB184_608
; %bb.601:                              ;   in Loop: Header=BB184_497 Depth=1
	v_mov_b64_e32 v[40:41], 0x80000000
	s_mov_b32 s24, exec_lo
	v_cmpx_ne_u16_e32 0x80, v20
	s_cbranch_execz .LBB184_607
; %bb.602:                              ;   in Loop: Header=BB184_497 Depth=1
	v_mov_b64_e32 v[40:41], 0x7f800001
	v_and_b32_e32 v42, 0x7f, v46
	s_mov_b32 s25, exec_lo
	s_delay_alu instid0(VALU_DEP_1)
	v_cmpx_ne_u32_e32 0x7f, v42
	s_cbranch_execz .LBB184_606
; %bb.603:                              ;   in Loop: Header=BB184_497 Depth=1
	v_and_b32_e32 v20, 7, v46
	v_lshrrev_b32_e32 v40, 3, v42
	s_mov_b32 s27, exec_lo
	v_cmpx_gt_u32_e32 8, v42
; %bb.604:                              ;   in Loop: Header=BB184_497 Depth=1
	s_delay_alu instid0(VALU_DEP_3) | instskip(NEXT) | instid1(VALU_DEP_1)
	v_clz_i32_u32_e32 v40, v20
	v_min_u32_e32 v40, 32, v40
	s_delay_alu instid0(VALU_DEP_1) | instskip(NEXT) | instid1(VALU_DEP_1)
	v_subrev_nc_u32_e32 v41, 28, v40
	v_lshlrev_b64_e32 v[42:43], v41, v[20:21]
	s_delay_alu instid0(VALU_DEP_1)
	v_dual_sub_nc_u32 v40, 29, v40 :: v_dual_bitop2_b32 v20, 7, v42 bitop3:0x40
; %bb.605:                              ;   in Loop: Header=BB184_497 Depth=1
	s_or_b32 exec_lo, exec_lo, s27
	s_delay_alu instid0(VALU_DEP_1) | instskip(NEXT) | instid1(VALU_DEP_2)
	v_dual_lshlrev_b32 v41, 24, v46 :: v_dual_lshlrev_b32 v20, 20, v20
	v_lshl_add_u32 v40, v40, 23, 0x3c000000
	s_delay_alu instid0(VALU_DEP_2) | instskip(NEXT) | instid1(VALU_DEP_1)
	v_and_b32_e32 v41, 0x80000000, v41
	v_or3_b32 v20, v20, v41, v40
	s_delay_alu instid0(VALU_DEP_1)
	v_mov_b64_e32 v[40:41], v[20:21]
.LBB184_606:                            ;   in Loop: Header=BB184_497 Depth=1
	s_or_b32 exec_lo, exec_lo, s25
.LBB184_607:                            ;   in Loop: Header=BB184_497 Depth=1
	s_delay_alu instid0(SALU_CYCLE_1)
	s_or_b32 exec_lo, exec_lo, s24
.LBB184_608:                            ;   in Loop: Header=BB184_497 Depth=1
	s_delay_alu instid0(SALU_CYCLE_1) | instskip(SKIP_2) | instid1(VALU_DEP_1)
	s_or_b32 exec_lo, exec_lo, s23
	v_lshrrev_b16 v20, 8, v46
	s_mov_b32 s23, exec_lo
	v_cmpx_ne_u16_e32 0, v20
	s_cbranch_execz .LBB184_616
; %bb.609:                              ;   in Loop: Header=BB184_497 Depth=1
	v_mov_b64_e32 v[0:1], 0x8000000000000000
	s_mov_b32 s24, exec_lo
	v_cmpx_ne_u16_e32 0x80, v20
	s_cbranch_execz .LBB184_615
; %bb.610:                              ;   in Loop: Header=BB184_497 Depth=1
	v_and_b32_e32 v20, 0xffff, v20
	v_mov_b64_e32 v[0:1], 0x7f80000100000000
	s_mov_b32 s25, exec_lo
	s_delay_alu instid0(VALU_DEP_2) | instskip(NEXT) | instid1(VALU_DEP_1)
	v_and_b32_e32 v42, 0x7f, v20
	v_cmpx_ne_u32_e32 0x7f, v42
	s_cbranch_execz .LBB184_614
; %bb.611:                              ;   in Loop: Header=BB184_497 Depth=1
	v_dual_lshrrev_b32 v0, 3, v42 :: v_dual_bitop2_b32 v20, 7, v20 bitop3:0x40
	s_mov_b32 s27, exec_lo
	v_cmpx_gt_u32_e32 8, v42
; %bb.612:                              ;   in Loop: Header=BB184_497 Depth=1
	s_delay_alu instid0(VALU_DEP_2) | instskip(NEXT) | instid1(VALU_DEP_1)
	v_clz_i32_u32_e32 v0, v20
	v_min_u32_e32 v0, 32, v0
	s_delay_alu instid0(VALU_DEP_1) | instskip(NEXT) | instid1(VALU_DEP_1)
	v_subrev_nc_u32_e32 v1, 28, v0
	v_lshlrev_b64_e32 v[42:43], v1, v[20:21]
	s_delay_alu instid0(VALU_DEP_1)
	v_dual_sub_nc_u32 v0, 29, v0 :: v_dual_bitop2_b32 v20, 7, v42 bitop3:0x40
; %bb.613:                              ;   in Loop: Header=BB184_497 Depth=1
	s_or_b32 exec_lo, exec_lo, s27
	s_delay_alu instid0(VALU_DEP_1) | instskip(NEXT) | instid1(VALU_DEP_2)
	v_dual_lshlrev_b32 v1, 16, v46 :: v_dual_lshlrev_b32 v20, 20, v20
	v_lshl_add_u32 v0, v0, 23, 0x3c000000
	s_delay_alu instid0(VALU_DEP_2) | instskip(NEXT) | instid1(VALU_DEP_1)
	v_and_b32_e32 v1, 0x80000000, v1
	v_or3_b32 v1, v20, v1, v0
	v_mov_b32_e32 v0, v21
.LBB184_614:                            ;   in Loop: Header=BB184_497 Depth=1
	s_or_b32 exec_lo, exec_lo, s25
.LBB184_615:                            ;   in Loop: Header=BB184_497 Depth=1
	s_delay_alu instid0(SALU_CYCLE_1)
	s_or_b32 exec_lo, exec_lo, s24
.LBB184_616:                            ;   in Loop: Header=BB184_497 Depth=1
	s_delay_alu instid0(SALU_CYCLE_1) | instskip(SKIP_4) | instid1(VALU_DEP_3)
	s_or_b32 exec_lo, exec_lo, s23
	v_lshrrev_b32_e32 v47, 16, v46
	v_mov_b64_e32 v[42:43], 0
	v_mov_b64_e32 v[44:45], 0
	s_mov_b32 s23, exec_lo
	v_and_b32_e32 v20, 0xff, v47
	s_delay_alu instid0(VALU_DEP_1)
	v_cmpx_ne_u16_e32 0, v20
	s_cbranch_execz .LBB184_624
; %bb.617:                              ;   in Loop: Header=BB184_497 Depth=1
	v_mov_b64_e32 v[44:45], 0x80000000
	s_mov_b32 s24, exec_lo
	v_cmpx_ne_u16_e32 0x80, v20
	s_cbranch_execz .LBB184_623
; %bb.618:                              ;   in Loop: Header=BB184_497 Depth=1
	v_mov_b64_e32 v[44:45], 0x7f800001
	v_bfe_u32 v48, v46, 16, 7
	s_mov_b32 s25, exec_lo
	s_delay_alu instid0(VALU_DEP_1)
	v_cmpx_ne_u32_e32 0x7f, v48
	s_cbranch_execz .LBB184_622
; %bb.619:                              ;   in Loop: Header=BB184_497 Depth=1
	v_dual_lshrrev_b32 v44, 3, v48 :: v_dual_bitop2_b32 v20, 7, v47 bitop3:0x40
	s_mov_b32 s27, exec_lo
	v_cmpx_gt_u32_e32 8, v48
; %bb.620:                              ;   in Loop: Header=BB184_497 Depth=1
	s_delay_alu instid0(VALU_DEP_2) | instskip(NEXT) | instid1(VALU_DEP_1)
	v_clz_i32_u32_e32 v44, v20
	v_min_u32_e32 v44, 32, v44
	s_delay_alu instid0(VALU_DEP_1) | instskip(SKIP_1) | instid1(VALU_DEP_2)
	v_subrev_nc_u32_e32 v45, 28, v44
	v_sub_nc_u32_e32 v44, 29, v44
	v_lshlrev_b64_e32 v[48:49], v45, v[20:21]
	s_delay_alu instid0(VALU_DEP_1)
	v_and_b32_e32 v20, 7, v48
; %bb.621:                              ;   in Loop: Header=BB184_497 Depth=1
	s_or_b32 exec_lo, exec_lo, s27
	s_delay_alu instid0(VALU_DEP_1) | instskip(SKIP_1) | instid1(VALU_DEP_2)
	v_dual_lshlrev_b32 v45, 24, v47 :: v_dual_lshlrev_b32 v20, 20, v20
	v_lshl_add_u32 v44, v44, 23, 0x3c000000
	v_and_b32_e32 v45, 0x80000000, v45
	s_delay_alu instid0(VALU_DEP_1) | instskip(NEXT) | instid1(VALU_DEP_1)
	v_or3_b32 v20, v20, v45, v44
	v_mov_b64_e32 v[44:45], v[20:21]
.LBB184_622:                            ;   in Loop: Header=BB184_497 Depth=1
	s_or_b32 exec_lo, exec_lo, s25
.LBB184_623:                            ;   in Loop: Header=BB184_497 Depth=1
	s_delay_alu instid0(SALU_CYCLE_1)
	s_or_b32 exec_lo, exec_lo, s24
.LBB184_624:                            ;   in Loop: Header=BB184_497 Depth=1
	s_delay_alu instid0(SALU_CYCLE_1) | instskip(NEXT) | instid1(SALU_CYCLE_1)
	s_or_b32 exec_lo, exec_lo, s23
	s_mov_b32 s23, exec_lo
	v_cmpx_lt_u32_e32 0xffffff, v46
	s_cbranch_execz .LBB184_632
; %bb.625:                              ;   in Loop: Header=BB184_497 Depth=1
	v_mov_b64_e32 v[42:43], 0x8000000000000000
	v_lshrrev_b32_e32 v47, 24, v46
	s_mov_b32 s24, exec_lo
	s_delay_alu instid0(VALU_DEP_1)
	v_cmpx_ne_u32_e32 0x80, v47
	s_cbranch_execz .LBB184_631
; %bb.626:                              ;   in Loop: Header=BB184_497 Depth=1
	v_mov_b64_e32 v[42:43], 0x7f80000100000000
	v_bfe_u32 v46, v46, 24, 7
	s_mov_b32 s25, exec_lo
	s_delay_alu instid0(VALU_DEP_1)
	v_cmpx_ne_u32_e32 0x7f, v46
	s_cbranch_execz .LBB184_630
; %bb.627:                              ;   in Loop: Header=BB184_497 Depth=1
	v_dual_lshrrev_b32 v42, 3, v46 :: v_dual_bitop2_b32 v20, 7, v47 bitop3:0x40
	s_mov_b32 s27, exec_lo
	v_cmpx_gt_u32_e32 8, v46
; %bb.628:                              ;   in Loop: Header=BB184_497 Depth=1
	s_delay_alu instid0(VALU_DEP_2) | instskip(NEXT) | instid1(VALU_DEP_1)
	v_clz_i32_u32_e32 v42, v20
	v_min_u32_e32 v42, 32, v42
	s_delay_alu instid0(VALU_DEP_1) | instskip(NEXT) | instid1(VALU_DEP_1)
	v_subrev_nc_u32_e32 v43, 28, v42
	v_lshlrev_b64_e32 v[48:49], v43, v[20:21]
	s_delay_alu instid0(VALU_DEP_1)
	v_dual_sub_nc_u32 v42, 29, v42 :: v_dual_bitop2_b32 v20, 7, v48 bitop3:0x40
; %bb.629:                              ;   in Loop: Header=BB184_497 Depth=1
	s_or_b32 exec_lo, exec_lo, s27
	s_delay_alu instid0(VALU_DEP_1) | instskip(NEXT) | instid1(VALU_DEP_2)
	v_dual_lshlrev_b32 v43, 24, v47 :: v_dual_lshlrev_b32 v20, 20, v20
	v_lshl_add_u32 v42, v42, 23, 0x3c000000
	s_delay_alu instid0(VALU_DEP_2) | instskip(NEXT) | instid1(VALU_DEP_1)
	v_and_b32_e32 v43, 0x80000000, v43
	v_or3_b32 v43, v20, v43, v42
	v_mov_b32_e32 v42, v21
.LBB184_630:                            ;   in Loop: Header=BB184_497 Depth=1
	s_or_b32 exec_lo, exec_lo, s25
.LBB184_631:                            ;   in Loop: Header=BB184_497 Depth=1
	s_delay_alu instid0(SALU_CYCLE_1)
	s_or_b32 exec_lo, exec_lo, s24
.LBB184_632:                            ;   in Loop: Header=BB184_497 Depth=1
	s_delay_alu instid0(SALU_CYCLE_1)
	s_or_b32 exec_lo, exec_lo, s23
	v_or_b32_e32 v1, v1, v41
	v_or_b32_e32 v0, v0, v40
	v_mov_b64_e32 v[40:41], s[8:9]
	v_or_b32_e32 v45, v43, v45
	v_or_b32_e32 v44, v42, v44
	s_delay_alu instid0(VALU_DEP_3) | instskip(NEXT) | instid1(VALU_DEP_2)
	v_pk_mul_f32 v[42:43], v[40:41], v[0:1]
	v_pk_mul_f32 v[40:41], v[40:41], v[44:45]
	s_and_saveexec_b32 s23, vcc_lo
	s_cbranch_execz .LBB184_634
; %bb.633:                              ;   in Loop: Header=BB184_497 Depth=1
	v_cmp_gt_i32_e64 s0, s34, v51
	s_delay_alu instid0(VALU_DEP_1) | instskip(SKIP_1) | instid1(VALU_DEP_1)
	v_cndmask_b32_e64 v42, 0, v42, s0
	v_cmp_gt_i32_e64 s0, s34, v93
	v_cndmask_b32_e64 v43, 0, v43, s0
	v_cmp_gt_i32_e64 s0, s34, v85
	s_delay_alu instid0(VALU_DEP_1) | instskip(SKIP_1) | instid1(VALU_DEP_1)
	v_cndmask_b32_e64 v40, 0, v40, s0
	v_cmp_gt_i32_e64 s0, s34, v84
	v_cndmask_b32_e64 v41, 0, v41, s0
.LBB184_634:                            ;   in Loop: Header=BB184_497 Depth=1
	s_or_b32 exec_lo, exec_lo, s23
	global_load_b32 v52, v[30:31], off offset:512
	v_mov_b64_e32 v[0:1], 0
	v_mov_b64_e32 v[44:45], 0
	s_mov_b32 s23, exec_lo
	s_wait_loadcnt 0x0
	v_and_b32_e32 v20, 0xff, v52
	s_delay_alu instid0(VALU_DEP_1)
	v_cmpx_ne_u16_e32 0, v20
	s_cbranch_execz .LBB184_642
; %bb.635:                              ;   in Loop: Header=BB184_497 Depth=1
	v_mov_b64_e32 v[44:45], 0x80000000
	s_mov_b32 s24, exec_lo
	v_cmpx_ne_u16_e32 0x80, v20
	s_cbranch_execz .LBB184_641
; %bb.636:                              ;   in Loop: Header=BB184_497 Depth=1
	v_mov_b64_e32 v[44:45], 0x7f800001
	v_and_b32_e32 v46, 0x7f, v52
	s_mov_b32 s25, exec_lo
	s_delay_alu instid0(VALU_DEP_1)
	v_cmpx_ne_u32_e32 0x7f, v46
	s_cbranch_execz .LBB184_640
; %bb.637:                              ;   in Loop: Header=BB184_497 Depth=1
	v_dual_lshrrev_b32 v44, 3, v46 :: v_dual_bitop2_b32 v20, 7, v52 bitop3:0x40
	s_mov_b32 s27, exec_lo
	v_cmpx_gt_u32_e32 8, v46
; %bb.638:                              ;   in Loop: Header=BB184_497 Depth=1
	s_delay_alu instid0(VALU_DEP_2) | instskip(NEXT) | instid1(VALU_DEP_1)
	v_clz_i32_u32_e32 v44, v20
	v_min_u32_e32 v44, 32, v44
	s_delay_alu instid0(VALU_DEP_1) | instskip(NEXT) | instid1(VALU_DEP_1)
	v_subrev_nc_u32_e32 v45, 28, v44
	v_lshlrev_b64_e32 v[46:47], v45, v[20:21]
	s_delay_alu instid0(VALU_DEP_1)
	v_dual_sub_nc_u32 v44, 29, v44 :: v_dual_bitop2_b32 v20, 7, v46 bitop3:0x40
; %bb.639:                              ;   in Loop: Header=BB184_497 Depth=1
	s_or_b32 exec_lo, exec_lo, s27
	v_lshlrev_b32_e32 v45, 24, v52
	s_delay_alu instid0(VALU_DEP_2) | instskip(NEXT) | instid1(VALU_DEP_3)
	v_lshlrev_b32_e32 v20, 20, v20
	v_lshl_add_u32 v44, v44, 23, 0x3c000000
	s_delay_alu instid0(VALU_DEP_3) | instskip(NEXT) | instid1(VALU_DEP_1)
	v_and_b32_e32 v45, 0x80000000, v45
	v_or3_b32 v20, v20, v45, v44
	s_delay_alu instid0(VALU_DEP_1)
	v_mov_b64_e32 v[44:45], v[20:21]
.LBB184_640:                            ;   in Loop: Header=BB184_497 Depth=1
	s_or_b32 exec_lo, exec_lo, s25
.LBB184_641:                            ;   in Loop: Header=BB184_497 Depth=1
	s_delay_alu instid0(SALU_CYCLE_1)
	s_or_b32 exec_lo, exec_lo, s24
.LBB184_642:                            ;   in Loop: Header=BB184_497 Depth=1
	s_delay_alu instid0(SALU_CYCLE_1) | instskip(SKIP_2) | instid1(VALU_DEP_1)
	s_or_b32 exec_lo, exec_lo, s23
	v_lshrrev_b16 v20, 8, v52
	s_mov_b32 s23, exec_lo
	v_cmpx_ne_u16_e32 0, v20
	s_cbranch_execz .LBB184_650
; %bb.643:                              ;   in Loop: Header=BB184_497 Depth=1
	v_mov_b64_e32 v[0:1], 0x8000000000000000
	s_mov_b32 s24, exec_lo
	v_cmpx_ne_u16_e32 0x80, v20
	s_cbranch_execz .LBB184_649
; %bb.644:                              ;   in Loop: Header=BB184_497 Depth=1
	v_and_b32_e32 v20, 0xffff, v20
	v_mov_b64_e32 v[0:1], 0x7f80000100000000
	s_mov_b32 s25, exec_lo
	s_delay_alu instid0(VALU_DEP_2) | instskip(NEXT) | instid1(VALU_DEP_1)
	v_and_b32_e32 v46, 0x7f, v20
	v_cmpx_ne_u32_e32 0x7f, v46
	s_cbranch_execz .LBB184_648
; %bb.645:                              ;   in Loop: Header=BB184_497 Depth=1
	v_dual_lshrrev_b32 v0, 3, v46 :: v_dual_bitop2_b32 v20, 7, v20 bitop3:0x40
	s_mov_b32 s27, exec_lo
	v_cmpx_gt_u32_e32 8, v46
; %bb.646:                              ;   in Loop: Header=BB184_497 Depth=1
	s_delay_alu instid0(VALU_DEP_2) | instskip(NEXT) | instid1(VALU_DEP_1)
	v_clz_i32_u32_e32 v0, v20
	v_min_u32_e32 v0, 32, v0
	s_delay_alu instid0(VALU_DEP_1) | instskip(NEXT) | instid1(VALU_DEP_1)
	v_subrev_nc_u32_e32 v1, 28, v0
	v_lshlrev_b64_e32 v[46:47], v1, v[20:21]
	s_delay_alu instid0(VALU_DEP_1)
	v_dual_sub_nc_u32 v0, 29, v0 :: v_dual_bitop2_b32 v20, 7, v46 bitop3:0x40
; %bb.647:                              ;   in Loop: Header=BB184_497 Depth=1
	s_or_b32 exec_lo, exec_lo, s27
	v_lshlrev_b32_e32 v1, 16, v52
	s_delay_alu instid0(VALU_DEP_2) | instskip(NEXT) | instid1(VALU_DEP_3)
	v_lshlrev_b32_e32 v20, 20, v20
	v_lshl_add_u32 v0, v0, 23, 0x3c000000
	s_delay_alu instid0(VALU_DEP_3) | instskip(NEXT) | instid1(VALU_DEP_1)
	v_and_b32_e32 v1, 0x80000000, v1
	v_or3_b32 v1, v20, v1, v0
	v_mov_b32_e32 v0, v21
.LBB184_648:                            ;   in Loop: Header=BB184_497 Depth=1
	s_or_b32 exec_lo, exec_lo, s25
.LBB184_649:                            ;   in Loop: Header=BB184_497 Depth=1
	s_delay_alu instid0(SALU_CYCLE_1)
	s_or_b32 exec_lo, exec_lo, s24
.LBB184_650:                            ;   in Loop: Header=BB184_497 Depth=1
	s_delay_alu instid0(SALU_CYCLE_1) | instskip(SKIP_4) | instid1(VALU_DEP_3)
	s_or_b32 exec_lo, exec_lo, s23
	v_lshrrev_b32_e32 v53, 16, v52
	v_mov_b64_e32 v[46:47], 0
	v_mov_b64_e32 v[48:49], 0
	s_mov_b32 s23, exec_lo
	v_and_b32_e32 v20, 0xff, v53
	s_delay_alu instid0(VALU_DEP_1)
	v_cmpx_ne_u16_e32 0, v20
	s_cbranch_execz .LBB184_658
; %bb.651:                              ;   in Loop: Header=BB184_497 Depth=1
	v_mov_b64_e32 v[48:49], 0x80000000
	s_mov_b32 s24, exec_lo
	v_cmpx_ne_u16_e32 0x80, v20
	s_cbranch_execz .LBB184_657
; %bb.652:                              ;   in Loop: Header=BB184_497 Depth=1
	v_mov_b64_e32 v[48:49], 0x7f800001
	v_bfe_u32 v54, v52, 16, 7
	s_mov_b32 s25, exec_lo
	s_delay_alu instid0(VALU_DEP_1)
	v_cmpx_ne_u32_e32 0x7f, v54
	s_cbranch_execz .LBB184_656
; %bb.653:                              ;   in Loop: Header=BB184_497 Depth=1
	v_dual_lshrrev_b32 v48, 3, v54 :: v_dual_bitop2_b32 v20, 7, v53 bitop3:0x40
	s_mov_b32 s27, exec_lo
	v_cmpx_gt_u32_e32 8, v54
; %bb.654:                              ;   in Loop: Header=BB184_497 Depth=1
	s_delay_alu instid0(VALU_DEP_2) | instskip(NEXT) | instid1(VALU_DEP_1)
	v_clz_i32_u32_e32 v48, v20
	v_min_u32_e32 v48, 32, v48
	s_delay_alu instid0(VALU_DEP_1) | instskip(NEXT) | instid1(VALU_DEP_1)
	v_subrev_nc_u32_e32 v49, 28, v48
	v_lshlrev_b64_e32 v[54:55], v49, v[20:21]
	s_delay_alu instid0(VALU_DEP_1)
	v_dual_sub_nc_u32 v48, 29, v48 :: v_dual_bitop2_b32 v20, 7, v54 bitop3:0x40
; %bb.655:                              ;   in Loop: Header=BB184_497 Depth=1
	s_or_b32 exec_lo, exec_lo, s27
	s_delay_alu instid0(VALU_DEP_1) | instskip(NEXT) | instid1(VALU_DEP_2)
	v_dual_lshlrev_b32 v49, 24, v53 :: v_dual_lshlrev_b32 v20, 20, v20
	v_lshl_add_u32 v48, v48, 23, 0x3c000000
	s_delay_alu instid0(VALU_DEP_2) | instskip(NEXT) | instid1(VALU_DEP_1)
	v_and_b32_e32 v49, 0x80000000, v49
	v_or3_b32 v20, v20, v49, v48
	s_delay_alu instid0(VALU_DEP_1)
	v_mov_b64_e32 v[48:49], v[20:21]
.LBB184_656:                            ;   in Loop: Header=BB184_497 Depth=1
	s_or_b32 exec_lo, exec_lo, s25
.LBB184_657:                            ;   in Loop: Header=BB184_497 Depth=1
	s_delay_alu instid0(SALU_CYCLE_1)
	s_or_b32 exec_lo, exec_lo, s24
.LBB184_658:                            ;   in Loop: Header=BB184_497 Depth=1
	s_delay_alu instid0(SALU_CYCLE_1) | instskip(NEXT) | instid1(SALU_CYCLE_1)
	s_or_b32 exec_lo, exec_lo, s23
	s_mov_b32 s23, exec_lo
	v_cmpx_lt_u32_e32 0xffffff, v52
	s_cbranch_execz .LBB184_666
; %bb.659:                              ;   in Loop: Header=BB184_497 Depth=1
	v_mov_b64_e32 v[46:47], 0x8000000000000000
	v_lshrrev_b32_e32 v53, 24, v52
	s_mov_b32 s24, exec_lo
	s_delay_alu instid0(VALU_DEP_1)
	v_cmpx_ne_u32_e32 0x80, v53
	s_cbranch_execz .LBB184_665
; %bb.660:                              ;   in Loop: Header=BB184_497 Depth=1
	v_mov_b64_e32 v[46:47], 0x7f80000100000000
	v_bfe_u32 v52, v52, 24, 7
	s_mov_b32 s25, exec_lo
	s_delay_alu instid0(VALU_DEP_1)
	v_cmpx_ne_u32_e32 0x7f, v52
	s_cbranch_execz .LBB184_664
; %bb.661:                              ;   in Loop: Header=BB184_497 Depth=1
	v_dual_lshrrev_b32 v46, 3, v52 :: v_dual_bitop2_b32 v20, 7, v53 bitop3:0x40
	s_mov_b32 s27, exec_lo
	v_cmpx_gt_u32_e32 8, v52
; %bb.662:                              ;   in Loop: Header=BB184_497 Depth=1
	s_delay_alu instid0(VALU_DEP_2) | instskip(NEXT) | instid1(VALU_DEP_1)
	v_clz_i32_u32_e32 v46, v20
	v_min_u32_e32 v46, 32, v46
	s_delay_alu instid0(VALU_DEP_1) | instskip(SKIP_1) | instid1(VALU_DEP_2)
	v_subrev_nc_u32_e32 v47, 28, v46
	v_sub_nc_u32_e32 v46, 29, v46
	v_lshlrev_b64_e32 v[54:55], v47, v[20:21]
	s_delay_alu instid0(VALU_DEP_1)
	v_and_b32_e32 v20, 7, v54
; %bb.663:                              ;   in Loop: Header=BB184_497 Depth=1
	s_or_b32 exec_lo, exec_lo, s27
	s_delay_alu instid0(VALU_DEP_1) | instskip(SKIP_1) | instid1(VALU_DEP_2)
	v_dual_lshlrev_b32 v47, 24, v53 :: v_dual_lshlrev_b32 v20, 20, v20
	v_lshl_add_u32 v46, v46, 23, 0x3c000000
	v_and_b32_e32 v47, 0x80000000, v47
	s_delay_alu instid0(VALU_DEP_1)
	v_or3_b32 v47, v20, v47, v46
	v_mov_b32_e32 v46, v21
.LBB184_664:                            ;   in Loop: Header=BB184_497 Depth=1
	s_or_b32 exec_lo, exec_lo, s25
.LBB184_665:                            ;   in Loop: Header=BB184_497 Depth=1
	s_delay_alu instid0(SALU_CYCLE_1)
	s_or_b32 exec_lo, exec_lo, s24
.LBB184_666:                            ;   in Loop: Header=BB184_497 Depth=1
	s_delay_alu instid0(SALU_CYCLE_1)
	s_or_b32 exec_lo, exec_lo, s23
	v_or_b32_e32 v1, v1, v45
	v_or_b32_e32 v0, v0, v44
	v_mov_b64_e32 v[44:45], s[8:9]
	v_or_b32_e32 v49, v47, v49
	v_or_b32_e32 v48, v46, v48
	s_delay_alu instid0(VALU_DEP_3) | instskip(NEXT) | instid1(VALU_DEP_2)
	v_pk_mul_f32 v[46:47], v[44:45], v[0:1]
	v_pk_mul_f32 v[44:45], v[44:45], v[48:49]
	s_and_saveexec_b32 s23, vcc_lo
	s_cbranch_execz .LBB184_668
; %bb.667:                              ;   in Loop: Header=BB184_497 Depth=1
	v_cmp_gt_i32_e64 s0, s34, v51
	s_delay_alu instid0(VALU_DEP_1) | instskip(SKIP_1) | instid1(VALU_DEP_1)
	v_cndmask_b32_e64 v46, 0, v46, s0
	v_cmp_gt_i32_e64 s0, s34, v93
	v_cndmask_b32_e64 v47, 0, v47, s0
	v_cmp_gt_i32_e64 s0, s34, v85
	s_delay_alu instid0(VALU_DEP_1) | instskip(SKIP_1) | instid1(VALU_DEP_1)
	v_cndmask_b32_e64 v44, 0, v44, s0
	v_cmp_gt_i32_e64 s0, s34, v84
	v_cndmask_b32_e64 v45, 0, v45, s0
.LBB184_668:                            ;   in Loop: Header=BB184_497 Depth=1
	s_or_b32 exec_lo, exec_lo, s23
	global_load_b32 v56, v[30:31], off offset:640
	v_mov_b64_e32 v[0:1], 0
	v_mov_b64_e32 v[48:49], 0
	s_mov_b32 s23, exec_lo
	s_wait_loadcnt 0x0
	v_and_b32_e32 v20, 0xff, v56
	s_delay_alu instid0(VALU_DEP_1)
	v_cmpx_ne_u16_e32 0, v20
	s_cbranch_execz .LBB184_676
; %bb.669:                              ;   in Loop: Header=BB184_497 Depth=1
	v_mov_b64_e32 v[48:49], 0x80000000
	s_mov_b32 s24, exec_lo
	v_cmpx_ne_u16_e32 0x80, v20
	s_cbranch_execz .LBB184_675
; %bb.670:                              ;   in Loop: Header=BB184_497 Depth=1
	v_mov_b64_e32 v[48:49], 0x7f800001
	v_and_b32_e32 v52, 0x7f, v56
	s_mov_b32 s25, exec_lo
	s_delay_alu instid0(VALU_DEP_1)
	v_cmpx_ne_u32_e32 0x7f, v52
	s_cbranch_execz .LBB184_674
; %bb.671:                              ;   in Loop: Header=BB184_497 Depth=1
	v_and_b32_e32 v20, 7, v56
	v_lshrrev_b32_e32 v48, 3, v52
	s_mov_b32 s27, exec_lo
	v_cmpx_gt_u32_e32 8, v52
; %bb.672:                              ;   in Loop: Header=BB184_497 Depth=1
	s_delay_alu instid0(VALU_DEP_3) | instskip(NEXT) | instid1(VALU_DEP_1)
	v_clz_i32_u32_e32 v48, v20
	v_min_u32_e32 v48, 32, v48
	s_delay_alu instid0(VALU_DEP_1) | instskip(SKIP_1) | instid1(VALU_DEP_2)
	v_subrev_nc_u32_e32 v49, 28, v48
	v_sub_nc_u32_e32 v48, 29, v48
	v_lshlrev_b64_e32 v[52:53], v49, v[20:21]
	s_delay_alu instid0(VALU_DEP_1)
	v_and_b32_e32 v20, 7, v52
; %bb.673:                              ;   in Loop: Header=BB184_497 Depth=1
	s_or_b32 exec_lo, exec_lo, s27
	v_lshlrev_b32_e32 v49, 24, v56
	s_delay_alu instid0(VALU_DEP_2) | instskip(SKIP_1) | instid1(VALU_DEP_3)
	v_lshlrev_b32_e32 v20, 20, v20
	v_lshl_add_u32 v48, v48, 23, 0x3c000000
	v_and_b32_e32 v49, 0x80000000, v49
	s_delay_alu instid0(VALU_DEP_1) | instskip(NEXT) | instid1(VALU_DEP_1)
	v_or3_b32 v20, v20, v49, v48
	v_mov_b64_e32 v[48:49], v[20:21]
.LBB184_674:                            ;   in Loop: Header=BB184_497 Depth=1
	s_or_b32 exec_lo, exec_lo, s25
.LBB184_675:                            ;   in Loop: Header=BB184_497 Depth=1
	s_delay_alu instid0(SALU_CYCLE_1)
	s_or_b32 exec_lo, exec_lo, s24
.LBB184_676:                            ;   in Loop: Header=BB184_497 Depth=1
	s_delay_alu instid0(SALU_CYCLE_1) | instskip(SKIP_2) | instid1(VALU_DEP_1)
	s_or_b32 exec_lo, exec_lo, s23
	v_lshrrev_b16 v20, 8, v56
	s_mov_b32 s23, exec_lo
	v_cmpx_ne_u16_e32 0, v20
	s_cbranch_execz .LBB184_684
; %bb.677:                              ;   in Loop: Header=BB184_497 Depth=1
	v_mov_b64_e32 v[0:1], 0x8000000000000000
	s_mov_b32 s24, exec_lo
	v_cmpx_ne_u16_e32 0x80, v20
	s_cbranch_execz .LBB184_683
; %bb.678:                              ;   in Loop: Header=BB184_497 Depth=1
	v_and_b32_e32 v20, 0xffff, v20
	v_mov_b64_e32 v[0:1], 0x7f80000100000000
	s_mov_b32 s25, exec_lo
	s_delay_alu instid0(VALU_DEP_2) | instskip(NEXT) | instid1(VALU_DEP_1)
	v_and_b32_e32 v52, 0x7f, v20
	v_cmpx_ne_u32_e32 0x7f, v52
	s_cbranch_execz .LBB184_682
; %bb.679:                              ;   in Loop: Header=BB184_497 Depth=1
	v_and_b32_e32 v20, 7, v20
	v_lshrrev_b32_e32 v0, 3, v52
	s_mov_b32 s27, exec_lo
	v_cmpx_gt_u32_e32 8, v52
; %bb.680:                              ;   in Loop: Header=BB184_497 Depth=1
	s_delay_alu instid0(VALU_DEP_3) | instskip(NEXT) | instid1(VALU_DEP_1)
	v_clz_i32_u32_e32 v0, v20
	v_min_u32_e32 v0, 32, v0
	s_delay_alu instid0(VALU_DEP_1) | instskip(SKIP_1) | instid1(VALU_DEP_2)
	v_subrev_nc_u32_e32 v1, 28, v0
	v_sub_nc_u32_e32 v0, 29, v0
	v_lshlrev_b64_e32 v[52:53], v1, v[20:21]
	s_delay_alu instid0(VALU_DEP_1)
	v_and_b32_e32 v20, 7, v52
; %bb.681:                              ;   in Loop: Header=BB184_497 Depth=1
	s_or_b32 exec_lo, exec_lo, s27
	v_lshlrev_b32_e32 v1, 16, v56
	s_delay_alu instid0(VALU_DEP_2) | instskip(SKIP_1) | instid1(VALU_DEP_3)
	v_lshlrev_b32_e32 v20, 20, v20
	v_lshl_add_u32 v0, v0, 23, 0x3c000000
	v_and_b32_e32 v1, 0x80000000, v1
	s_delay_alu instid0(VALU_DEP_1)
	v_or3_b32 v1, v20, v1, v0
	v_mov_b32_e32 v0, v21
.LBB184_682:                            ;   in Loop: Header=BB184_497 Depth=1
	s_or_b32 exec_lo, exec_lo, s25
.LBB184_683:                            ;   in Loop: Header=BB184_497 Depth=1
	s_delay_alu instid0(SALU_CYCLE_1)
	s_or_b32 exec_lo, exec_lo, s24
.LBB184_684:                            ;   in Loop: Header=BB184_497 Depth=1
	s_delay_alu instid0(SALU_CYCLE_1) | instskip(SKIP_4) | instid1(VALU_DEP_3)
	s_or_b32 exec_lo, exec_lo, s23
	v_lshrrev_b32_e32 v57, 16, v56
	v_mov_b64_e32 v[52:53], 0
	v_mov_b64_e32 v[54:55], 0
	s_mov_b32 s23, exec_lo
	v_and_b32_e32 v20, 0xff, v57
	s_delay_alu instid0(VALU_DEP_1)
	v_cmpx_ne_u16_e32 0, v20
	s_cbranch_execz .LBB184_692
; %bb.685:                              ;   in Loop: Header=BB184_497 Depth=1
	v_mov_b64_e32 v[54:55], 0x80000000
	s_mov_b32 s24, exec_lo
	v_cmpx_ne_u16_e32 0x80, v20
	s_cbranch_execz .LBB184_691
; %bb.686:                              ;   in Loop: Header=BB184_497 Depth=1
	v_mov_b64_e32 v[54:55], 0x7f800001
	v_bfe_u32 v58, v56, 16, 7
	s_mov_b32 s25, exec_lo
	s_delay_alu instid0(VALU_DEP_1)
	v_cmpx_ne_u32_e32 0x7f, v58
	s_cbranch_execz .LBB184_690
; %bb.687:                              ;   in Loop: Header=BB184_497 Depth=1
	v_dual_lshrrev_b32 v54, 3, v58 :: v_dual_bitop2_b32 v20, 7, v57 bitop3:0x40
	s_mov_b32 s27, exec_lo
	v_cmpx_gt_u32_e32 8, v58
; %bb.688:                              ;   in Loop: Header=BB184_497 Depth=1
	s_delay_alu instid0(VALU_DEP_2) | instskip(NEXT) | instid1(VALU_DEP_1)
	v_clz_i32_u32_e32 v54, v20
	v_min_u32_e32 v54, 32, v54
	s_delay_alu instid0(VALU_DEP_1) | instskip(SKIP_1) | instid1(VALU_DEP_2)
	v_subrev_nc_u32_e32 v55, 28, v54
	v_sub_nc_u32_e32 v54, 29, v54
	v_lshlrev_b64_e32 v[58:59], v55, v[20:21]
	s_delay_alu instid0(VALU_DEP_1)
	v_and_b32_e32 v20, 7, v58
; %bb.689:                              ;   in Loop: Header=BB184_497 Depth=1
	s_or_b32 exec_lo, exec_lo, s27
	s_delay_alu instid0(VALU_DEP_1) | instskip(SKIP_1) | instid1(VALU_DEP_2)
	v_dual_lshlrev_b32 v55, 24, v57 :: v_dual_lshlrev_b32 v20, 20, v20
	v_lshl_add_u32 v54, v54, 23, 0x3c000000
	v_and_b32_e32 v55, 0x80000000, v55
	s_delay_alu instid0(VALU_DEP_1) | instskip(NEXT) | instid1(VALU_DEP_1)
	v_or3_b32 v20, v20, v55, v54
	v_mov_b64_e32 v[54:55], v[20:21]
.LBB184_690:                            ;   in Loop: Header=BB184_497 Depth=1
	s_or_b32 exec_lo, exec_lo, s25
.LBB184_691:                            ;   in Loop: Header=BB184_497 Depth=1
	s_delay_alu instid0(SALU_CYCLE_1)
	s_or_b32 exec_lo, exec_lo, s24
.LBB184_692:                            ;   in Loop: Header=BB184_497 Depth=1
	s_delay_alu instid0(SALU_CYCLE_1) | instskip(NEXT) | instid1(SALU_CYCLE_1)
	s_or_b32 exec_lo, exec_lo, s23
	s_mov_b32 s23, exec_lo
	v_cmpx_lt_u32_e32 0xffffff, v56
	s_cbranch_execz .LBB184_700
; %bb.693:                              ;   in Loop: Header=BB184_497 Depth=1
	v_mov_b64_e32 v[52:53], 0x8000000000000000
	v_lshrrev_b32_e32 v57, 24, v56
	s_mov_b32 s24, exec_lo
	s_delay_alu instid0(VALU_DEP_1)
	v_cmpx_ne_u32_e32 0x80, v57
	s_cbranch_execz .LBB184_699
; %bb.694:                              ;   in Loop: Header=BB184_497 Depth=1
	v_mov_b64_e32 v[52:53], 0x7f80000100000000
	v_bfe_u32 v56, v56, 24, 7
	s_mov_b32 s25, exec_lo
	s_delay_alu instid0(VALU_DEP_1)
	v_cmpx_ne_u32_e32 0x7f, v56
	s_cbranch_execz .LBB184_698
; %bb.695:                              ;   in Loop: Header=BB184_497 Depth=1
	v_dual_lshrrev_b32 v52, 3, v56 :: v_dual_bitop2_b32 v20, 7, v57 bitop3:0x40
	s_mov_b32 s27, exec_lo
	v_cmpx_gt_u32_e32 8, v56
; %bb.696:                              ;   in Loop: Header=BB184_497 Depth=1
	s_delay_alu instid0(VALU_DEP_2) | instskip(NEXT) | instid1(VALU_DEP_1)
	v_clz_i32_u32_e32 v52, v20
	v_min_u32_e32 v52, 32, v52
	s_delay_alu instid0(VALU_DEP_1) | instskip(NEXT) | instid1(VALU_DEP_1)
	v_subrev_nc_u32_e32 v53, 28, v52
	v_lshlrev_b64_e32 v[58:59], v53, v[20:21]
	s_delay_alu instid0(VALU_DEP_1)
	v_dual_sub_nc_u32 v52, 29, v52 :: v_dual_bitop2_b32 v20, 7, v58 bitop3:0x40
; %bb.697:                              ;   in Loop: Header=BB184_497 Depth=1
	s_or_b32 exec_lo, exec_lo, s27
	s_delay_alu instid0(VALU_DEP_1) | instskip(NEXT) | instid1(VALU_DEP_2)
	v_dual_lshlrev_b32 v53, 24, v57 :: v_dual_lshlrev_b32 v20, 20, v20
	v_lshl_add_u32 v52, v52, 23, 0x3c000000
	s_delay_alu instid0(VALU_DEP_2) | instskip(NEXT) | instid1(VALU_DEP_1)
	v_and_b32_e32 v53, 0x80000000, v53
	v_or3_b32 v53, v20, v53, v52
	v_mov_b32_e32 v52, v21
.LBB184_698:                            ;   in Loop: Header=BB184_497 Depth=1
	s_or_b32 exec_lo, exec_lo, s25
.LBB184_699:                            ;   in Loop: Header=BB184_497 Depth=1
	s_delay_alu instid0(SALU_CYCLE_1)
	s_or_b32 exec_lo, exec_lo, s24
.LBB184_700:                            ;   in Loop: Header=BB184_497 Depth=1
	s_delay_alu instid0(SALU_CYCLE_1)
	s_or_b32 exec_lo, exec_lo, s23
	v_or_b32_e32 v1, v1, v49
	v_or_b32_e32 v0, v0, v48
	v_mov_b64_e32 v[48:49], s[8:9]
	v_or_b32_e32 v55, v53, v55
	v_or_b32_e32 v54, v52, v54
	s_delay_alu instid0(VALU_DEP_3) | instskip(NEXT) | instid1(VALU_DEP_2)
	v_pk_mul_f32 v[52:53], v[48:49], v[0:1]
	v_pk_mul_f32 v[48:49], v[48:49], v[54:55]
	s_and_saveexec_b32 s23, vcc_lo
	s_cbranch_execz .LBB184_702
; %bb.701:                              ;   in Loop: Header=BB184_497 Depth=1
	v_cmp_gt_i32_e64 s0, s34, v51
	s_delay_alu instid0(VALU_DEP_1) | instskip(SKIP_1) | instid1(VALU_DEP_1)
	v_cndmask_b32_e64 v52, 0, v52, s0
	v_cmp_gt_i32_e64 s0, s34, v93
	v_cndmask_b32_e64 v53, 0, v53, s0
	v_cmp_gt_i32_e64 s0, s34, v85
	s_delay_alu instid0(VALU_DEP_1) | instskip(SKIP_1) | instid1(VALU_DEP_1)
	v_cndmask_b32_e64 v48, 0, v48, s0
	v_cmp_gt_i32_e64 s0, s34, v84
	v_cndmask_b32_e64 v49, 0, v49, s0
.LBB184_702:                            ;   in Loop: Header=BB184_497 Depth=1
	s_or_b32 exec_lo, exec_lo, s23
	global_load_b32 v60, v[30:31], off offset:768
	v_mov_b64_e32 v[0:1], 0
	v_mov_b64_e32 v[54:55], 0
	s_mov_b32 s23, exec_lo
	s_wait_loadcnt 0x0
	v_and_b32_e32 v20, 0xff, v60
	s_delay_alu instid0(VALU_DEP_1)
	v_cmpx_ne_u16_e32 0, v20
	s_cbranch_execz .LBB184_710
; %bb.703:                              ;   in Loop: Header=BB184_497 Depth=1
	v_mov_b64_e32 v[54:55], 0x80000000
	s_mov_b32 s24, exec_lo
	v_cmpx_ne_u16_e32 0x80, v20
	s_cbranch_execz .LBB184_709
; %bb.704:                              ;   in Loop: Header=BB184_497 Depth=1
	v_mov_b64_e32 v[54:55], 0x7f800001
	v_and_b32_e32 v56, 0x7f, v60
	s_mov_b32 s25, exec_lo
	s_delay_alu instid0(VALU_DEP_1)
	v_cmpx_ne_u32_e32 0x7f, v56
	s_cbranch_execz .LBB184_708
; %bb.705:                              ;   in Loop: Header=BB184_497 Depth=1
	v_and_b32_e32 v20, 7, v60
	v_lshrrev_b32_e32 v54, 3, v56
	s_mov_b32 s27, exec_lo
	v_cmpx_gt_u32_e32 8, v56
; %bb.706:                              ;   in Loop: Header=BB184_497 Depth=1
	s_delay_alu instid0(VALU_DEP_3) | instskip(NEXT) | instid1(VALU_DEP_1)
	v_clz_i32_u32_e32 v54, v20
	v_min_u32_e32 v54, 32, v54
	s_delay_alu instid0(VALU_DEP_1) | instskip(NEXT) | instid1(VALU_DEP_1)
	v_subrev_nc_u32_e32 v55, 28, v54
	v_lshlrev_b64_e32 v[56:57], v55, v[20:21]
	s_delay_alu instid0(VALU_DEP_1)
	v_dual_sub_nc_u32 v54, 29, v54 :: v_dual_bitop2_b32 v20, 7, v56 bitop3:0x40
; %bb.707:                              ;   in Loop: Header=BB184_497 Depth=1
	s_or_b32 exec_lo, exec_lo, s27
	v_lshlrev_b32_e32 v55, 24, v60
	s_delay_alu instid0(VALU_DEP_2) | instskip(NEXT) | instid1(VALU_DEP_3)
	v_lshlrev_b32_e32 v20, 20, v20
	v_lshl_add_u32 v54, v54, 23, 0x3c000000
	s_delay_alu instid0(VALU_DEP_3) | instskip(NEXT) | instid1(VALU_DEP_1)
	v_and_b32_e32 v55, 0x80000000, v55
	v_or3_b32 v20, v20, v55, v54
	s_delay_alu instid0(VALU_DEP_1)
	v_mov_b64_e32 v[54:55], v[20:21]
.LBB184_708:                            ;   in Loop: Header=BB184_497 Depth=1
	s_or_b32 exec_lo, exec_lo, s25
.LBB184_709:                            ;   in Loop: Header=BB184_497 Depth=1
	s_delay_alu instid0(SALU_CYCLE_1)
	s_or_b32 exec_lo, exec_lo, s24
.LBB184_710:                            ;   in Loop: Header=BB184_497 Depth=1
	s_delay_alu instid0(SALU_CYCLE_1) | instskip(SKIP_2) | instid1(VALU_DEP_1)
	s_or_b32 exec_lo, exec_lo, s23
	v_lshrrev_b16 v20, 8, v60
	s_mov_b32 s23, exec_lo
	v_cmpx_ne_u16_e32 0, v20
	s_cbranch_execz .LBB184_718
; %bb.711:                              ;   in Loop: Header=BB184_497 Depth=1
	v_mov_b64_e32 v[0:1], 0x8000000000000000
	s_mov_b32 s24, exec_lo
	v_cmpx_ne_u16_e32 0x80, v20
	s_cbranch_execz .LBB184_717
; %bb.712:                              ;   in Loop: Header=BB184_497 Depth=1
	v_and_b32_e32 v20, 0xffff, v20
	v_mov_b64_e32 v[0:1], 0x7f80000100000000
	s_mov_b32 s25, exec_lo
	s_delay_alu instid0(VALU_DEP_2) | instskip(NEXT) | instid1(VALU_DEP_1)
	v_and_b32_e32 v56, 0x7f, v20
	v_cmpx_ne_u32_e32 0x7f, v56
	s_cbranch_execz .LBB184_716
; %bb.713:                              ;   in Loop: Header=BB184_497 Depth=1
	v_and_b32_e32 v20, 7, v20
	v_lshrrev_b32_e32 v0, 3, v56
	s_mov_b32 s27, exec_lo
	v_cmpx_gt_u32_e32 8, v56
; %bb.714:                              ;   in Loop: Header=BB184_497 Depth=1
	s_delay_alu instid0(VALU_DEP_3) | instskip(NEXT) | instid1(VALU_DEP_1)
	v_clz_i32_u32_e32 v0, v20
	v_min_u32_e32 v0, 32, v0
	s_delay_alu instid0(VALU_DEP_1) | instskip(SKIP_1) | instid1(VALU_DEP_2)
	v_subrev_nc_u32_e32 v1, 28, v0
	v_sub_nc_u32_e32 v0, 29, v0
	v_lshlrev_b64_e32 v[56:57], v1, v[20:21]
	s_delay_alu instid0(VALU_DEP_1)
	v_and_b32_e32 v20, 7, v56
; %bb.715:                              ;   in Loop: Header=BB184_497 Depth=1
	s_or_b32 exec_lo, exec_lo, s27
	v_lshlrev_b32_e32 v1, 16, v60
	s_delay_alu instid0(VALU_DEP_2) | instskip(SKIP_1) | instid1(VALU_DEP_3)
	v_lshlrev_b32_e32 v20, 20, v20
	v_lshl_add_u32 v0, v0, 23, 0x3c000000
	v_and_b32_e32 v1, 0x80000000, v1
	s_delay_alu instid0(VALU_DEP_1)
	v_or3_b32 v1, v20, v1, v0
	v_mov_b32_e32 v0, v21
.LBB184_716:                            ;   in Loop: Header=BB184_497 Depth=1
	s_or_b32 exec_lo, exec_lo, s25
.LBB184_717:                            ;   in Loop: Header=BB184_497 Depth=1
	s_delay_alu instid0(SALU_CYCLE_1)
	s_or_b32 exec_lo, exec_lo, s24
.LBB184_718:                            ;   in Loop: Header=BB184_497 Depth=1
	s_delay_alu instid0(SALU_CYCLE_1) | instskip(SKIP_4) | instid1(VALU_DEP_3)
	s_or_b32 exec_lo, exec_lo, s23
	v_lshrrev_b32_e32 v61, 16, v60
	v_mov_b64_e32 v[56:57], 0
	v_mov_b64_e32 v[58:59], 0
	s_mov_b32 s23, exec_lo
	v_and_b32_e32 v20, 0xff, v61
	s_delay_alu instid0(VALU_DEP_1)
	v_cmpx_ne_u16_e32 0, v20
	s_cbranch_execz .LBB184_726
; %bb.719:                              ;   in Loop: Header=BB184_497 Depth=1
	v_mov_b64_e32 v[58:59], 0x80000000
	s_mov_b32 s24, exec_lo
	v_cmpx_ne_u16_e32 0x80, v20
	s_cbranch_execz .LBB184_725
; %bb.720:                              ;   in Loop: Header=BB184_497 Depth=1
	v_mov_b64_e32 v[58:59], 0x7f800001
	v_bfe_u32 v62, v60, 16, 7
	s_mov_b32 s25, exec_lo
	s_delay_alu instid0(VALU_DEP_1)
	v_cmpx_ne_u32_e32 0x7f, v62
	s_cbranch_execz .LBB184_724
; %bb.721:                              ;   in Loop: Header=BB184_497 Depth=1
	v_dual_lshrrev_b32 v58, 3, v62 :: v_dual_bitop2_b32 v20, 7, v61 bitop3:0x40
	s_mov_b32 s27, exec_lo
	v_cmpx_gt_u32_e32 8, v62
; %bb.722:                              ;   in Loop: Header=BB184_497 Depth=1
	s_delay_alu instid0(VALU_DEP_2) | instskip(NEXT) | instid1(VALU_DEP_1)
	v_clz_i32_u32_e32 v58, v20
	v_min_u32_e32 v58, 32, v58
	s_delay_alu instid0(VALU_DEP_1) | instskip(SKIP_1) | instid1(VALU_DEP_2)
	v_subrev_nc_u32_e32 v59, 28, v58
	v_sub_nc_u32_e32 v58, 29, v58
	v_lshlrev_b64_e32 v[62:63], v59, v[20:21]
	s_delay_alu instid0(VALU_DEP_1)
	v_and_b32_e32 v20, 7, v62
; %bb.723:                              ;   in Loop: Header=BB184_497 Depth=1
	s_or_b32 exec_lo, exec_lo, s27
	s_delay_alu instid0(VALU_DEP_1) | instskip(SKIP_1) | instid1(VALU_DEP_2)
	v_dual_lshlrev_b32 v59, 24, v61 :: v_dual_lshlrev_b32 v20, 20, v20
	v_lshl_add_u32 v58, v58, 23, 0x3c000000
	v_and_b32_e32 v59, 0x80000000, v59
	s_delay_alu instid0(VALU_DEP_1) | instskip(NEXT) | instid1(VALU_DEP_1)
	v_or3_b32 v20, v20, v59, v58
	v_mov_b64_e32 v[58:59], v[20:21]
.LBB184_724:                            ;   in Loop: Header=BB184_497 Depth=1
	s_or_b32 exec_lo, exec_lo, s25
.LBB184_725:                            ;   in Loop: Header=BB184_497 Depth=1
	s_delay_alu instid0(SALU_CYCLE_1)
	s_or_b32 exec_lo, exec_lo, s24
.LBB184_726:                            ;   in Loop: Header=BB184_497 Depth=1
	s_delay_alu instid0(SALU_CYCLE_1) | instskip(NEXT) | instid1(SALU_CYCLE_1)
	s_or_b32 exec_lo, exec_lo, s23
	s_mov_b32 s23, exec_lo
	v_cmpx_lt_u32_e32 0xffffff, v60
	s_cbranch_execz .LBB184_734
; %bb.727:                              ;   in Loop: Header=BB184_497 Depth=1
	v_mov_b64_e32 v[56:57], 0x8000000000000000
	v_lshrrev_b32_e32 v61, 24, v60
	s_mov_b32 s24, exec_lo
	s_delay_alu instid0(VALU_DEP_1)
	v_cmpx_ne_u32_e32 0x80, v61
	s_cbranch_execz .LBB184_733
; %bb.728:                              ;   in Loop: Header=BB184_497 Depth=1
	v_mov_b64_e32 v[56:57], 0x7f80000100000000
	v_bfe_u32 v60, v60, 24, 7
	s_mov_b32 s25, exec_lo
	s_delay_alu instid0(VALU_DEP_1)
	v_cmpx_ne_u32_e32 0x7f, v60
	s_cbranch_execz .LBB184_732
; %bb.729:                              ;   in Loop: Header=BB184_497 Depth=1
	v_dual_lshrrev_b32 v56, 3, v60 :: v_dual_bitop2_b32 v20, 7, v61 bitop3:0x40
	s_mov_b32 s27, exec_lo
	v_cmpx_gt_u32_e32 8, v60
; %bb.730:                              ;   in Loop: Header=BB184_497 Depth=1
	s_delay_alu instid0(VALU_DEP_2) | instskip(NEXT) | instid1(VALU_DEP_1)
	v_clz_i32_u32_e32 v56, v20
	v_min_u32_e32 v56, 32, v56
	s_delay_alu instid0(VALU_DEP_1) | instskip(NEXT) | instid1(VALU_DEP_1)
	v_subrev_nc_u32_e32 v57, 28, v56
	v_lshlrev_b64_e32 v[62:63], v57, v[20:21]
	s_delay_alu instid0(VALU_DEP_1)
	v_dual_sub_nc_u32 v56, 29, v56 :: v_dual_bitop2_b32 v20, 7, v62 bitop3:0x40
; %bb.731:                              ;   in Loop: Header=BB184_497 Depth=1
	s_or_b32 exec_lo, exec_lo, s27
	s_delay_alu instid0(VALU_DEP_1) | instskip(NEXT) | instid1(VALU_DEP_2)
	v_dual_lshlrev_b32 v57, 24, v61 :: v_dual_lshlrev_b32 v20, 20, v20
	v_lshl_add_u32 v56, v56, 23, 0x3c000000
	s_delay_alu instid0(VALU_DEP_2) | instskip(NEXT) | instid1(VALU_DEP_1)
	v_and_b32_e32 v57, 0x80000000, v57
	v_or3_b32 v57, v20, v57, v56
	v_mov_b32_e32 v56, v21
.LBB184_732:                            ;   in Loop: Header=BB184_497 Depth=1
	s_or_b32 exec_lo, exec_lo, s25
.LBB184_733:                            ;   in Loop: Header=BB184_497 Depth=1
	s_delay_alu instid0(SALU_CYCLE_1)
	s_or_b32 exec_lo, exec_lo, s24
.LBB184_734:                            ;   in Loop: Header=BB184_497 Depth=1
	s_delay_alu instid0(SALU_CYCLE_1)
	s_or_b32 exec_lo, exec_lo, s23
	v_or_b32_e32 v1, v1, v55
	v_or_b32_e32 v0, v0, v54
	v_mov_b64_e32 v[54:55], s[8:9]
	v_or_b32_e32 v59, v57, v59
	v_or_b32_e32 v58, v56, v58
	s_delay_alu instid0(VALU_DEP_3) | instskip(NEXT) | instid1(VALU_DEP_2)
	v_pk_mul_f32 v[56:57], v[54:55], v[0:1]
	v_pk_mul_f32 v[54:55], v[54:55], v[58:59]
	s_and_saveexec_b32 s23, vcc_lo
	s_cbranch_execz .LBB184_736
; %bb.735:                              ;   in Loop: Header=BB184_497 Depth=1
	v_cmp_gt_i32_e64 s0, s34, v51
	s_delay_alu instid0(VALU_DEP_1) | instskip(SKIP_1) | instid1(VALU_DEP_1)
	v_cndmask_b32_e64 v56, 0, v56, s0
	v_cmp_gt_i32_e64 s0, s34, v93
	v_cndmask_b32_e64 v57, 0, v57, s0
	v_cmp_gt_i32_e64 s0, s34, v85
	s_delay_alu instid0(VALU_DEP_1) | instskip(SKIP_1) | instid1(VALU_DEP_1)
	v_cndmask_b32_e64 v54, 0, v54, s0
	v_cmp_gt_i32_e64 s0, s34, v84
	v_cndmask_b32_e64 v55, 0, v55, s0
.LBB184_736:                            ;   in Loop: Header=BB184_497 Depth=1
	s_or_b32 exec_lo, exec_lo, s23
	global_load_b32 v64, v[30:31], off offset:896
	v_mov_b64_e32 v[0:1], 0
	v_mov_b64_e32 v[58:59], 0
	s_mov_b32 s23, exec_lo
	s_wait_loadcnt 0x0
	v_and_b32_e32 v20, 0xff, v64
	s_delay_alu instid0(VALU_DEP_1)
	v_cmpx_ne_u16_e32 0, v20
	s_cbranch_execz .LBB184_744
; %bb.737:                              ;   in Loop: Header=BB184_497 Depth=1
	v_mov_b64_e32 v[58:59], 0x80000000
	s_mov_b32 s24, exec_lo
	v_cmpx_ne_u16_e32 0x80, v20
	s_cbranch_execz .LBB184_743
; %bb.738:                              ;   in Loop: Header=BB184_497 Depth=1
	v_mov_b64_e32 v[58:59], 0x7f800001
	v_and_b32_e32 v60, 0x7f, v64
	s_mov_b32 s25, exec_lo
	s_delay_alu instid0(VALU_DEP_1)
	v_cmpx_ne_u32_e32 0x7f, v60
	s_cbranch_execz .LBB184_742
; %bb.739:                              ;   in Loop: Header=BB184_497 Depth=1
	v_and_b32_e32 v20, 7, v64
	v_lshrrev_b32_e32 v58, 3, v60
	s_mov_b32 s27, exec_lo
	v_cmpx_gt_u32_e32 8, v60
; %bb.740:                              ;   in Loop: Header=BB184_497 Depth=1
	s_delay_alu instid0(VALU_DEP_3) | instskip(NEXT) | instid1(VALU_DEP_1)
	v_clz_i32_u32_e32 v58, v20
	v_min_u32_e32 v58, 32, v58
	s_delay_alu instid0(VALU_DEP_1) | instskip(NEXT) | instid1(VALU_DEP_1)
	v_subrev_nc_u32_e32 v59, 28, v58
	v_lshlrev_b64_e32 v[60:61], v59, v[20:21]
	s_delay_alu instid0(VALU_DEP_1)
	v_dual_sub_nc_u32 v58, 29, v58 :: v_dual_bitop2_b32 v20, 7, v60 bitop3:0x40
; %bb.741:                              ;   in Loop: Header=BB184_497 Depth=1
	s_or_b32 exec_lo, exec_lo, s27
	v_lshlrev_b32_e32 v59, 24, v64
	s_delay_alu instid0(VALU_DEP_2) | instskip(NEXT) | instid1(VALU_DEP_3)
	v_lshlrev_b32_e32 v20, 20, v20
	v_lshl_add_u32 v58, v58, 23, 0x3c000000
	s_delay_alu instid0(VALU_DEP_3) | instskip(NEXT) | instid1(VALU_DEP_1)
	v_and_b32_e32 v59, 0x80000000, v59
	v_or3_b32 v20, v20, v59, v58
	s_delay_alu instid0(VALU_DEP_1)
	v_mov_b64_e32 v[58:59], v[20:21]
.LBB184_742:                            ;   in Loop: Header=BB184_497 Depth=1
	s_or_b32 exec_lo, exec_lo, s25
.LBB184_743:                            ;   in Loop: Header=BB184_497 Depth=1
	s_delay_alu instid0(SALU_CYCLE_1)
	s_or_b32 exec_lo, exec_lo, s24
.LBB184_744:                            ;   in Loop: Header=BB184_497 Depth=1
	s_delay_alu instid0(SALU_CYCLE_1) | instskip(SKIP_2) | instid1(VALU_DEP_1)
	s_or_b32 exec_lo, exec_lo, s23
	v_lshrrev_b16 v20, 8, v64
	s_mov_b32 s23, exec_lo
	v_cmpx_ne_u16_e32 0, v20
	s_cbranch_execz .LBB184_752
; %bb.745:                              ;   in Loop: Header=BB184_497 Depth=1
	v_mov_b64_e32 v[0:1], 0x8000000000000000
	s_mov_b32 s24, exec_lo
	v_cmpx_ne_u16_e32 0x80, v20
	s_cbranch_execz .LBB184_751
; %bb.746:                              ;   in Loop: Header=BB184_497 Depth=1
	v_and_b32_e32 v20, 0xffff, v20
	v_mov_b64_e32 v[0:1], 0x7f80000100000000
	s_mov_b32 s25, exec_lo
	s_delay_alu instid0(VALU_DEP_2) | instskip(NEXT) | instid1(VALU_DEP_1)
	v_and_b32_e32 v60, 0x7f, v20
	v_cmpx_ne_u32_e32 0x7f, v60
	s_cbranch_execz .LBB184_750
; %bb.747:                              ;   in Loop: Header=BB184_497 Depth=1
	v_and_b32_e32 v20, 7, v20
	v_lshrrev_b32_e32 v0, 3, v60
	s_mov_b32 s27, exec_lo
	v_cmpx_gt_u32_e32 8, v60
; %bb.748:                              ;   in Loop: Header=BB184_497 Depth=1
	s_delay_alu instid0(VALU_DEP_3) | instskip(NEXT) | instid1(VALU_DEP_1)
	v_clz_i32_u32_e32 v0, v20
	v_min_u32_e32 v0, 32, v0
	s_delay_alu instid0(VALU_DEP_1) | instskip(SKIP_1) | instid1(VALU_DEP_2)
	v_subrev_nc_u32_e32 v1, 28, v0
	v_sub_nc_u32_e32 v0, 29, v0
	v_lshlrev_b64_e32 v[60:61], v1, v[20:21]
	s_delay_alu instid0(VALU_DEP_1)
	v_and_b32_e32 v20, 7, v60
; %bb.749:                              ;   in Loop: Header=BB184_497 Depth=1
	s_or_b32 exec_lo, exec_lo, s27
	v_lshlrev_b32_e32 v1, 16, v64
	s_delay_alu instid0(VALU_DEP_2) | instskip(SKIP_1) | instid1(VALU_DEP_3)
	v_lshlrev_b32_e32 v20, 20, v20
	v_lshl_add_u32 v0, v0, 23, 0x3c000000
	v_and_b32_e32 v1, 0x80000000, v1
	s_delay_alu instid0(VALU_DEP_1)
	v_or3_b32 v1, v20, v1, v0
	v_mov_b32_e32 v0, v21
.LBB184_750:                            ;   in Loop: Header=BB184_497 Depth=1
	s_or_b32 exec_lo, exec_lo, s25
.LBB184_751:                            ;   in Loop: Header=BB184_497 Depth=1
	s_delay_alu instid0(SALU_CYCLE_1)
	s_or_b32 exec_lo, exec_lo, s24
.LBB184_752:                            ;   in Loop: Header=BB184_497 Depth=1
	s_delay_alu instid0(SALU_CYCLE_1) | instskip(SKIP_4) | instid1(VALU_DEP_3)
	s_or_b32 exec_lo, exec_lo, s23
	v_lshrrev_b32_e32 v65, 16, v64
	v_mov_b64_e32 v[60:61], 0
	v_mov_b64_e32 v[62:63], 0
	s_mov_b32 s23, exec_lo
	v_and_b32_e32 v20, 0xff, v65
	s_delay_alu instid0(VALU_DEP_1)
	v_cmpx_ne_u16_e32 0, v20
	s_cbranch_execz .LBB184_760
; %bb.753:                              ;   in Loop: Header=BB184_497 Depth=1
	v_mov_b64_e32 v[62:63], 0x80000000
	s_mov_b32 s24, exec_lo
	v_cmpx_ne_u16_e32 0x80, v20
	s_cbranch_execz .LBB184_759
; %bb.754:                              ;   in Loop: Header=BB184_497 Depth=1
	v_mov_b64_e32 v[62:63], 0x7f800001
	v_bfe_u32 v66, v64, 16, 7
	s_mov_b32 s25, exec_lo
	s_delay_alu instid0(VALU_DEP_1)
	v_cmpx_ne_u32_e32 0x7f, v66
	s_cbranch_execz .LBB184_758
; %bb.755:                              ;   in Loop: Header=BB184_497 Depth=1
	v_dual_lshrrev_b32 v62, 3, v66 :: v_dual_bitop2_b32 v20, 7, v65 bitop3:0x40
	s_mov_b32 s27, exec_lo
	v_cmpx_gt_u32_e32 8, v66
; %bb.756:                              ;   in Loop: Header=BB184_497 Depth=1
	s_delay_alu instid0(VALU_DEP_2) | instskip(NEXT) | instid1(VALU_DEP_1)
	v_clz_i32_u32_e32 v62, v20
	v_min_u32_e32 v62, 32, v62
	s_delay_alu instid0(VALU_DEP_1) | instskip(SKIP_1) | instid1(VALU_DEP_2)
	v_subrev_nc_u32_e32 v63, 28, v62
	v_sub_nc_u32_e32 v62, 29, v62
	v_lshlrev_b64_e32 v[66:67], v63, v[20:21]
	s_delay_alu instid0(VALU_DEP_1)
	v_and_b32_e32 v20, 7, v66
; %bb.757:                              ;   in Loop: Header=BB184_497 Depth=1
	s_or_b32 exec_lo, exec_lo, s27
	s_delay_alu instid0(VALU_DEP_1) | instskip(SKIP_1) | instid1(VALU_DEP_2)
	v_dual_lshlrev_b32 v63, 24, v65 :: v_dual_lshlrev_b32 v20, 20, v20
	v_lshl_add_u32 v62, v62, 23, 0x3c000000
	v_and_b32_e32 v63, 0x80000000, v63
	s_delay_alu instid0(VALU_DEP_1) | instskip(NEXT) | instid1(VALU_DEP_1)
	v_or3_b32 v20, v20, v63, v62
	v_mov_b64_e32 v[62:63], v[20:21]
.LBB184_758:                            ;   in Loop: Header=BB184_497 Depth=1
	s_or_b32 exec_lo, exec_lo, s25
.LBB184_759:                            ;   in Loop: Header=BB184_497 Depth=1
	s_delay_alu instid0(SALU_CYCLE_1)
	s_or_b32 exec_lo, exec_lo, s24
.LBB184_760:                            ;   in Loop: Header=BB184_497 Depth=1
	s_delay_alu instid0(SALU_CYCLE_1) | instskip(NEXT) | instid1(SALU_CYCLE_1)
	s_or_b32 exec_lo, exec_lo, s23
	s_mov_b32 s23, exec_lo
	v_cmpx_lt_u32_e32 0xffffff, v64
	s_cbranch_execz .LBB184_768
; %bb.761:                              ;   in Loop: Header=BB184_497 Depth=1
	v_mov_b64_e32 v[60:61], 0x8000000000000000
	v_lshrrev_b32_e32 v65, 24, v64
	s_mov_b32 s24, exec_lo
	s_delay_alu instid0(VALU_DEP_1)
	v_cmpx_ne_u32_e32 0x80, v65
	s_cbranch_execz .LBB184_767
; %bb.762:                              ;   in Loop: Header=BB184_497 Depth=1
	v_mov_b64_e32 v[60:61], 0x7f80000100000000
	v_bfe_u32 v64, v64, 24, 7
	s_mov_b32 s25, exec_lo
	s_delay_alu instid0(VALU_DEP_1)
	v_cmpx_ne_u32_e32 0x7f, v64
	s_cbranch_execz .LBB184_766
; %bb.763:                              ;   in Loop: Header=BB184_497 Depth=1
	v_dual_lshrrev_b32 v60, 3, v64 :: v_dual_bitop2_b32 v20, 7, v65 bitop3:0x40
	s_mov_b32 s27, exec_lo
	v_cmpx_gt_u32_e32 8, v64
; %bb.764:                              ;   in Loop: Header=BB184_497 Depth=1
	s_delay_alu instid0(VALU_DEP_2) | instskip(NEXT) | instid1(VALU_DEP_1)
	v_clz_i32_u32_e32 v60, v20
	v_min_u32_e32 v60, 32, v60
	s_delay_alu instid0(VALU_DEP_1) | instskip(NEXT) | instid1(VALU_DEP_1)
	v_subrev_nc_u32_e32 v61, 28, v60
	v_lshlrev_b64_e32 v[66:67], v61, v[20:21]
	s_delay_alu instid0(VALU_DEP_1)
	v_dual_sub_nc_u32 v60, 29, v60 :: v_dual_bitop2_b32 v20, 7, v66 bitop3:0x40
; %bb.765:                              ;   in Loop: Header=BB184_497 Depth=1
	s_or_b32 exec_lo, exec_lo, s27
	s_delay_alu instid0(VALU_DEP_1) | instskip(NEXT) | instid1(VALU_DEP_2)
	v_dual_lshlrev_b32 v61, 24, v65 :: v_dual_lshlrev_b32 v20, 20, v20
	v_lshl_add_u32 v60, v60, 23, 0x3c000000
	s_delay_alu instid0(VALU_DEP_2) | instskip(NEXT) | instid1(VALU_DEP_1)
	v_and_b32_e32 v61, 0x80000000, v61
	v_or3_b32 v61, v20, v61, v60
	v_mov_b32_e32 v60, v21
.LBB184_766:                            ;   in Loop: Header=BB184_497 Depth=1
	s_or_b32 exec_lo, exec_lo, s25
.LBB184_767:                            ;   in Loop: Header=BB184_497 Depth=1
	s_delay_alu instid0(SALU_CYCLE_1)
	s_or_b32 exec_lo, exec_lo, s24
.LBB184_768:                            ;   in Loop: Header=BB184_497 Depth=1
	s_delay_alu instid0(SALU_CYCLE_1)
	s_or_b32 exec_lo, exec_lo, s23
	v_or_b32_e32 v1, v1, v59
	v_or_b32_e32 v0, v0, v58
	v_mov_b64_e32 v[58:59], s[8:9]
	v_or_b32_e32 v63, v61, v63
	v_or_b32_e32 v62, v60, v62
	s_delay_alu instid0(VALU_DEP_3) | instskip(NEXT) | instid1(VALU_DEP_2)
	v_pk_mul_f32 v[60:61], v[58:59], v[0:1]
	v_pk_mul_f32 v[58:59], v[58:59], v[62:63]
	s_and_saveexec_b32 s23, vcc_lo
	s_cbranch_execz .LBB184_770
; %bb.769:                              ;   in Loop: Header=BB184_497 Depth=1
	v_cmp_gt_i32_e64 s0, s34, v51
	s_delay_alu instid0(VALU_DEP_1) | instskip(SKIP_1) | instid1(VALU_DEP_1)
	v_cndmask_b32_e64 v60, 0, v60, s0
	v_cmp_gt_i32_e64 s0, s34, v93
	v_cndmask_b32_e64 v61, 0, v61, s0
	v_cmp_gt_i32_e64 s0, s34, v85
	s_delay_alu instid0(VALU_DEP_1) | instskip(SKIP_1) | instid1(VALU_DEP_1)
	v_cndmask_b32_e64 v58, 0, v58, s0
	v_cmp_gt_i32_e64 s0, s34, v84
	v_cndmask_b32_e64 v59, 0, v59, s0
.LBB184_770:                            ;   in Loop: Header=BB184_497 Depth=1
	s_or_b32 exec_lo, exec_lo, s23
	global_load_b32 v68, v[30:31], off offset:1024
	v_mov_b64_e32 v[0:1], 0
	v_mov_b64_e32 v[62:63], 0
	s_mov_b32 s23, exec_lo
	s_wait_loadcnt 0x0
	v_and_b32_e32 v20, 0xff, v68
	s_delay_alu instid0(VALU_DEP_1)
	v_cmpx_ne_u16_e32 0, v20
	s_cbranch_execz .LBB184_778
; %bb.771:                              ;   in Loop: Header=BB184_497 Depth=1
	v_mov_b64_e32 v[62:63], 0x80000000
	s_mov_b32 s24, exec_lo
	v_cmpx_ne_u16_e32 0x80, v20
	s_cbranch_execz .LBB184_777
; %bb.772:                              ;   in Loop: Header=BB184_497 Depth=1
	v_mov_b64_e32 v[62:63], 0x7f800001
	v_and_b32_e32 v64, 0x7f, v68
	s_mov_b32 s25, exec_lo
	s_delay_alu instid0(VALU_DEP_1)
	v_cmpx_ne_u32_e32 0x7f, v64
	s_cbranch_execz .LBB184_776
; %bb.773:                              ;   in Loop: Header=BB184_497 Depth=1
	v_and_b32_e32 v20, 7, v68
	v_lshrrev_b32_e32 v62, 3, v64
	s_mov_b32 s27, exec_lo
	v_cmpx_gt_u32_e32 8, v64
; %bb.774:                              ;   in Loop: Header=BB184_497 Depth=1
	s_delay_alu instid0(VALU_DEP_3) | instskip(NEXT) | instid1(VALU_DEP_1)
	v_clz_i32_u32_e32 v62, v20
	v_min_u32_e32 v62, 32, v62
	s_delay_alu instid0(VALU_DEP_1) | instskip(NEXT) | instid1(VALU_DEP_1)
	v_subrev_nc_u32_e32 v63, 28, v62
	v_lshlrev_b64_e32 v[64:65], v63, v[20:21]
	s_delay_alu instid0(VALU_DEP_1)
	v_dual_sub_nc_u32 v62, 29, v62 :: v_dual_bitop2_b32 v20, 7, v64 bitop3:0x40
; %bb.775:                              ;   in Loop: Header=BB184_497 Depth=1
	s_or_b32 exec_lo, exec_lo, s27
	v_lshlrev_b32_e32 v63, 24, v68
	s_delay_alu instid0(VALU_DEP_2) | instskip(NEXT) | instid1(VALU_DEP_3)
	v_lshlrev_b32_e32 v20, 20, v20
	v_lshl_add_u32 v62, v62, 23, 0x3c000000
	s_delay_alu instid0(VALU_DEP_3) | instskip(NEXT) | instid1(VALU_DEP_1)
	v_and_b32_e32 v63, 0x80000000, v63
	v_or3_b32 v20, v20, v63, v62
	s_delay_alu instid0(VALU_DEP_1)
	v_mov_b64_e32 v[62:63], v[20:21]
.LBB184_776:                            ;   in Loop: Header=BB184_497 Depth=1
	s_or_b32 exec_lo, exec_lo, s25
.LBB184_777:                            ;   in Loop: Header=BB184_497 Depth=1
	s_delay_alu instid0(SALU_CYCLE_1)
	s_or_b32 exec_lo, exec_lo, s24
.LBB184_778:                            ;   in Loop: Header=BB184_497 Depth=1
	s_delay_alu instid0(SALU_CYCLE_1) | instskip(SKIP_2) | instid1(VALU_DEP_1)
	s_or_b32 exec_lo, exec_lo, s23
	v_lshrrev_b16 v20, 8, v68
	s_mov_b32 s23, exec_lo
	v_cmpx_ne_u16_e32 0, v20
	s_cbranch_execz .LBB184_786
; %bb.779:                              ;   in Loop: Header=BB184_497 Depth=1
	v_mov_b64_e32 v[0:1], 0x8000000000000000
	s_mov_b32 s24, exec_lo
	v_cmpx_ne_u16_e32 0x80, v20
	s_cbranch_execz .LBB184_785
; %bb.780:                              ;   in Loop: Header=BB184_497 Depth=1
	v_and_b32_e32 v20, 0xffff, v20
	v_mov_b64_e32 v[0:1], 0x7f80000100000000
	s_mov_b32 s25, exec_lo
	s_delay_alu instid0(VALU_DEP_2) | instskip(NEXT) | instid1(VALU_DEP_1)
	v_and_b32_e32 v64, 0x7f, v20
	v_cmpx_ne_u32_e32 0x7f, v64
	s_cbranch_execz .LBB184_784
; %bb.781:                              ;   in Loop: Header=BB184_497 Depth=1
	v_and_b32_e32 v20, 7, v20
	v_lshrrev_b32_e32 v0, 3, v64
	s_mov_b32 s27, exec_lo
	v_cmpx_gt_u32_e32 8, v64
; %bb.782:                              ;   in Loop: Header=BB184_497 Depth=1
	s_delay_alu instid0(VALU_DEP_3) | instskip(NEXT) | instid1(VALU_DEP_1)
	v_clz_i32_u32_e32 v0, v20
	v_min_u32_e32 v0, 32, v0
	s_delay_alu instid0(VALU_DEP_1) | instskip(SKIP_1) | instid1(VALU_DEP_2)
	v_subrev_nc_u32_e32 v1, 28, v0
	v_sub_nc_u32_e32 v0, 29, v0
	v_lshlrev_b64_e32 v[64:65], v1, v[20:21]
	s_delay_alu instid0(VALU_DEP_1)
	v_and_b32_e32 v20, 7, v64
; %bb.783:                              ;   in Loop: Header=BB184_497 Depth=1
	s_or_b32 exec_lo, exec_lo, s27
	v_lshlrev_b32_e32 v1, 16, v68
	s_delay_alu instid0(VALU_DEP_2) | instskip(SKIP_1) | instid1(VALU_DEP_3)
	v_lshlrev_b32_e32 v20, 20, v20
	v_lshl_add_u32 v0, v0, 23, 0x3c000000
	v_and_b32_e32 v1, 0x80000000, v1
	s_delay_alu instid0(VALU_DEP_1)
	v_or3_b32 v1, v20, v1, v0
	v_mov_b32_e32 v0, v21
.LBB184_784:                            ;   in Loop: Header=BB184_497 Depth=1
	s_or_b32 exec_lo, exec_lo, s25
.LBB184_785:                            ;   in Loop: Header=BB184_497 Depth=1
	s_delay_alu instid0(SALU_CYCLE_1)
	s_or_b32 exec_lo, exec_lo, s24
.LBB184_786:                            ;   in Loop: Header=BB184_497 Depth=1
	s_delay_alu instid0(SALU_CYCLE_1) | instskip(SKIP_4) | instid1(VALU_DEP_3)
	s_or_b32 exec_lo, exec_lo, s23
	v_lshrrev_b32_e32 v69, 16, v68
	v_mov_b64_e32 v[64:65], 0
	v_mov_b64_e32 v[66:67], 0
	s_mov_b32 s23, exec_lo
	v_and_b32_e32 v20, 0xff, v69
	s_delay_alu instid0(VALU_DEP_1)
	v_cmpx_ne_u16_e32 0, v20
	s_cbranch_execz .LBB184_794
; %bb.787:                              ;   in Loop: Header=BB184_497 Depth=1
	v_mov_b64_e32 v[66:67], 0x80000000
	s_mov_b32 s24, exec_lo
	v_cmpx_ne_u16_e32 0x80, v20
	s_cbranch_execz .LBB184_793
; %bb.788:                              ;   in Loop: Header=BB184_497 Depth=1
	v_mov_b64_e32 v[66:67], 0x7f800001
	v_bfe_u32 v70, v68, 16, 7
	s_mov_b32 s25, exec_lo
	s_delay_alu instid0(VALU_DEP_1)
	v_cmpx_ne_u32_e32 0x7f, v70
	s_cbranch_execz .LBB184_792
; %bb.789:                              ;   in Loop: Header=BB184_497 Depth=1
	v_dual_lshrrev_b32 v66, 3, v70 :: v_dual_bitop2_b32 v20, 7, v69 bitop3:0x40
	s_mov_b32 s27, exec_lo
	v_cmpx_gt_u32_e32 8, v70
; %bb.790:                              ;   in Loop: Header=BB184_497 Depth=1
	s_delay_alu instid0(VALU_DEP_2) | instskip(NEXT) | instid1(VALU_DEP_1)
	v_clz_i32_u32_e32 v66, v20
	v_min_u32_e32 v66, 32, v66
	s_delay_alu instid0(VALU_DEP_1) | instskip(SKIP_1) | instid1(VALU_DEP_2)
	v_subrev_nc_u32_e32 v67, 28, v66
	v_sub_nc_u32_e32 v66, 29, v66
	v_lshlrev_b64_e32 v[70:71], v67, v[20:21]
	s_delay_alu instid0(VALU_DEP_1)
	v_and_b32_e32 v20, 7, v70
; %bb.791:                              ;   in Loop: Header=BB184_497 Depth=1
	s_or_b32 exec_lo, exec_lo, s27
	s_delay_alu instid0(VALU_DEP_1) | instskip(SKIP_1) | instid1(VALU_DEP_2)
	v_dual_lshlrev_b32 v67, 24, v69 :: v_dual_lshlrev_b32 v20, 20, v20
	v_lshl_add_u32 v66, v66, 23, 0x3c000000
	v_and_b32_e32 v67, 0x80000000, v67
	s_delay_alu instid0(VALU_DEP_1) | instskip(NEXT) | instid1(VALU_DEP_1)
	v_or3_b32 v20, v20, v67, v66
	v_mov_b64_e32 v[66:67], v[20:21]
.LBB184_792:                            ;   in Loop: Header=BB184_497 Depth=1
	s_or_b32 exec_lo, exec_lo, s25
.LBB184_793:                            ;   in Loop: Header=BB184_497 Depth=1
	s_delay_alu instid0(SALU_CYCLE_1)
	s_or_b32 exec_lo, exec_lo, s24
.LBB184_794:                            ;   in Loop: Header=BB184_497 Depth=1
	s_delay_alu instid0(SALU_CYCLE_1) | instskip(NEXT) | instid1(SALU_CYCLE_1)
	s_or_b32 exec_lo, exec_lo, s23
	s_mov_b32 s23, exec_lo
	v_cmpx_lt_u32_e32 0xffffff, v68
	s_cbranch_execz .LBB184_802
; %bb.795:                              ;   in Loop: Header=BB184_497 Depth=1
	v_mov_b64_e32 v[64:65], 0x8000000000000000
	v_lshrrev_b32_e32 v69, 24, v68
	s_mov_b32 s24, exec_lo
	s_delay_alu instid0(VALU_DEP_1)
	v_cmpx_ne_u32_e32 0x80, v69
	s_cbranch_execz .LBB184_801
; %bb.796:                              ;   in Loop: Header=BB184_497 Depth=1
	v_mov_b64_e32 v[64:65], 0x7f80000100000000
	v_bfe_u32 v68, v68, 24, 7
	s_mov_b32 s25, exec_lo
	s_delay_alu instid0(VALU_DEP_1)
	v_cmpx_ne_u32_e32 0x7f, v68
	s_cbranch_execz .LBB184_800
; %bb.797:                              ;   in Loop: Header=BB184_497 Depth=1
	v_dual_lshrrev_b32 v64, 3, v68 :: v_dual_bitop2_b32 v20, 7, v69 bitop3:0x40
	s_mov_b32 s27, exec_lo
	v_cmpx_gt_u32_e32 8, v68
; %bb.798:                              ;   in Loop: Header=BB184_497 Depth=1
	s_delay_alu instid0(VALU_DEP_2) | instskip(NEXT) | instid1(VALU_DEP_1)
	v_clz_i32_u32_e32 v64, v20
	v_min_u32_e32 v64, 32, v64
	s_delay_alu instid0(VALU_DEP_1) | instskip(NEXT) | instid1(VALU_DEP_1)
	v_subrev_nc_u32_e32 v65, 28, v64
	v_lshlrev_b64_e32 v[70:71], v65, v[20:21]
	s_delay_alu instid0(VALU_DEP_1)
	v_dual_sub_nc_u32 v64, 29, v64 :: v_dual_bitop2_b32 v20, 7, v70 bitop3:0x40
; %bb.799:                              ;   in Loop: Header=BB184_497 Depth=1
	s_or_b32 exec_lo, exec_lo, s27
	s_delay_alu instid0(VALU_DEP_1) | instskip(NEXT) | instid1(VALU_DEP_2)
	v_dual_lshlrev_b32 v65, 24, v69 :: v_dual_lshlrev_b32 v20, 20, v20
	v_lshl_add_u32 v64, v64, 23, 0x3c000000
	s_delay_alu instid0(VALU_DEP_2) | instskip(NEXT) | instid1(VALU_DEP_1)
	v_and_b32_e32 v65, 0x80000000, v65
	v_or3_b32 v65, v20, v65, v64
	v_mov_b32_e32 v64, v21
.LBB184_800:                            ;   in Loop: Header=BB184_497 Depth=1
	s_or_b32 exec_lo, exec_lo, s25
.LBB184_801:                            ;   in Loop: Header=BB184_497 Depth=1
	s_delay_alu instid0(SALU_CYCLE_1)
	s_or_b32 exec_lo, exec_lo, s24
.LBB184_802:                            ;   in Loop: Header=BB184_497 Depth=1
	s_delay_alu instid0(SALU_CYCLE_1)
	s_or_b32 exec_lo, exec_lo, s23
	v_mov_b64_e32 v[68:69], s[8:9]
	v_or_b32_e32 v1, v1, v63
	v_or_b32_e32 v0, v0, v62
	;; [unrolled: 1-line block ×4, first 2 shown]
	s_delay_alu instid0(VALU_DEP_3) | instskip(NEXT) | instid1(VALU_DEP_2)
	v_pk_mul_f32 v[62:63], v[68:69], v[0:1]
	v_pk_mul_f32 v[0:1], v[68:69], v[64:65]
	s_and_saveexec_b32 s23, vcc_lo
	s_cbranch_execz .LBB184_804
; %bb.803:                              ;   in Loop: Header=BB184_497 Depth=1
	v_cmp_gt_i32_e64 s0, s34, v51
	s_delay_alu instid0(VALU_DEP_1) | instskip(SKIP_1) | instid1(VALU_DEP_1)
	v_cndmask_b32_e64 v62, 0, v62, s0
	v_cmp_gt_i32_e64 s0, s34, v93
	v_cndmask_b32_e64 v63, 0, v63, s0
	v_cmp_gt_i32_e64 s0, s34, v85
	s_delay_alu instid0(VALU_DEP_1) | instskip(SKIP_1) | instid1(VALU_DEP_1)
	v_cndmask_b32_e64 v0, 0, v0, s0
	v_cmp_gt_i32_e64 s0, s34, v84
	v_cndmask_b32_e64 v1, 0, v1, s0
.LBB184_804:                            ;   in Loop: Header=BB184_497 Depth=1
	s_or_b32 exec_lo, exec_lo, s23
	global_load_b32 v72, v[30:31], off offset:1152
	v_mov_b64_e32 v[64:65], 0
	v_mov_b64_e32 v[66:67], 0
	s_mov_b32 s23, exec_lo
	s_wait_loadcnt 0x0
	v_and_b32_e32 v20, 0xff, v72
	s_delay_alu instid0(VALU_DEP_1)
	v_cmpx_ne_u16_e32 0, v20
	s_cbranch_execz .LBB184_812
; %bb.805:                              ;   in Loop: Header=BB184_497 Depth=1
	v_mov_b64_e32 v[66:67], 0x80000000
	s_mov_b32 s24, exec_lo
	v_cmpx_ne_u16_e32 0x80, v20
	s_cbranch_execz .LBB184_811
; %bb.806:                              ;   in Loop: Header=BB184_497 Depth=1
	v_mov_b64_e32 v[66:67], 0x7f800001
	v_and_b32_e32 v68, 0x7f, v72
	s_mov_b32 s25, exec_lo
	s_delay_alu instid0(VALU_DEP_1)
	v_cmpx_ne_u32_e32 0x7f, v68
	s_cbranch_execz .LBB184_810
; %bb.807:                              ;   in Loop: Header=BB184_497 Depth=1
	v_and_b32_e32 v20, 7, v72
	v_lshrrev_b32_e32 v66, 3, v68
	s_mov_b32 s27, exec_lo
	v_cmpx_gt_u32_e32 8, v68
; %bb.808:                              ;   in Loop: Header=BB184_497 Depth=1
	s_delay_alu instid0(VALU_DEP_3) | instskip(NEXT) | instid1(VALU_DEP_1)
	v_clz_i32_u32_e32 v66, v20
	v_min_u32_e32 v66, 32, v66
	s_delay_alu instid0(VALU_DEP_1) | instskip(NEXT) | instid1(VALU_DEP_1)
	v_subrev_nc_u32_e32 v67, 28, v66
	v_lshlrev_b64_e32 v[68:69], v67, v[20:21]
	s_delay_alu instid0(VALU_DEP_1)
	v_dual_sub_nc_u32 v66, 29, v66 :: v_dual_bitop2_b32 v20, 7, v68 bitop3:0x40
; %bb.809:                              ;   in Loop: Header=BB184_497 Depth=1
	s_or_b32 exec_lo, exec_lo, s27
	v_lshlrev_b32_e32 v67, 24, v72
	s_delay_alu instid0(VALU_DEP_2) | instskip(NEXT) | instid1(VALU_DEP_3)
	v_lshlrev_b32_e32 v20, 20, v20
	v_lshl_add_u32 v66, v66, 23, 0x3c000000
	s_delay_alu instid0(VALU_DEP_3) | instskip(NEXT) | instid1(VALU_DEP_1)
	v_and_b32_e32 v67, 0x80000000, v67
	v_or3_b32 v20, v20, v67, v66
	s_delay_alu instid0(VALU_DEP_1)
	v_mov_b64_e32 v[66:67], v[20:21]
.LBB184_810:                            ;   in Loop: Header=BB184_497 Depth=1
	s_or_b32 exec_lo, exec_lo, s25
.LBB184_811:                            ;   in Loop: Header=BB184_497 Depth=1
	s_delay_alu instid0(SALU_CYCLE_1)
	s_or_b32 exec_lo, exec_lo, s24
.LBB184_812:                            ;   in Loop: Header=BB184_497 Depth=1
	s_delay_alu instid0(SALU_CYCLE_1) | instskip(SKIP_2) | instid1(VALU_DEP_1)
	s_or_b32 exec_lo, exec_lo, s23
	v_lshrrev_b16 v20, 8, v72
	s_mov_b32 s23, exec_lo
	v_cmpx_ne_u16_e32 0, v20
	s_cbranch_execz .LBB184_820
; %bb.813:                              ;   in Loop: Header=BB184_497 Depth=1
	v_mov_b64_e32 v[64:65], 0x8000000000000000
	s_mov_b32 s24, exec_lo
	v_cmpx_ne_u16_e32 0x80, v20
	s_cbranch_execz .LBB184_819
; %bb.814:                              ;   in Loop: Header=BB184_497 Depth=1
	v_and_b32_e32 v20, 0xffff, v20
	v_mov_b64_e32 v[64:65], 0x7f80000100000000
	s_mov_b32 s25, exec_lo
	s_delay_alu instid0(VALU_DEP_2) | instskip(NEXT) | instid1(VALU_DEP_1)
	v_and_b32_e32 v68, 0x7f, v20
	v_cmpx_ne_u32_e32 0x7f, v68
	s_cbranch_execz .LBB184_818
; %bb.815:                              ;   in Loop: Header=BB184_497 Depth=1
	v_and_b32_e32 v20, 7, v20
	v_lshrrev_b32_e32 v64, 3, v68
	s_mov_b32 s27, exec_lo
	v_cmpx_gt_u32_e32 8, v68
; %bb.816:                              ;   in Loop: Header=BB184_497 Depth=1
	s_delay_alu instid0(VALU_DEP_3) | instskip(NEXT) | instid1(VALU_DEP_1)
	v_clz_i32_u32_e32 v64, v20
	v_min_u32_e32 v64, 32, v64
	s_delay_alu instid0(VALU_DEP_1) | instskip(SKIP_1) | instid1(VALU_DEP_2)
	v_subrev_nc_u32_e32 v65, 28, v64
	v_sub_nc_u32_e32 v64, 29, v64
	v_lshlrev_b64_e32 v[68:69], v65, v[20:21]
	s_delay_alu instid0(VALU_DEP_1)
	v_and_b32_e32 v20, 7, v68
; %bb.817:                              ;   in Loop: Header=BB184_497 Depth=1
	s_or_b32 exec_lo, exec_lo, s27
	v_lshlrev_b32_e32 v65, 16, v72
	s_delay_alu instid0(VALU_DEP_2) | instskip(SKIP_1) | instid1(VALU_DEP_3)
	v_lshlrev_b32_e32 v20, 20, v20
	v_lshl_add_u32 v64, v64, 23, 0x3c000000
	v_and_b32_e32 v65, 0x80000000, v65
	s_delay_alu instid0(VALU_DEP_1)
	v_or3_b32 v65, v20, v65, v64
	v_mov_b32_e32 v64, v21
.LBB184_818:                            ;   in Loop: Header=BB184_497 Depth=1
	s_or_b32 exec_lo, exec_lo, s25
.LBB184_819:                            ;   in Loop: Header=BB184_497 Depth=1
	s_delay_alu instid0(SALU_CYCLE_1)
	s_or_b32 exec_lo, exec_lo, s24
.LBB184_820:                            ;   in Loop: Header=BB184_497 Depth=1
	s_delay_alu instid0(SALU_CYCLE_1) | instskip(SKIP_4) | instid1(VALU_DEP_3)
	s_or_b32 exec_lo, exec_lo, s23
	v_lshrrev_b32_e32 v73, 16, v72
	v_mov_b64_e32 v[68:69], 0
	v_mov_b64_e32 v[70:71], 0
	s_mov_b32 s23, exec_lo
	v_and_b32_e32 v20, 0xff, v73
	s_delay_alu instid0(VALU_DEP_1)
	v_cmpx_ne_u16_e32 0, v20
	s_cbranch_execz .LBB184_828
; %bb.821:                              ;   in Loop: Header=BB184_497 Depth=1
	v_mov_b64_e32 v[70:71], 0x80000000
	s_mov_b32 s24, exec_lo
	v_cmpx_ne_u16_e32 0x80, v20
	s_cbranch_execz .LBB184_827
; %bb.822:                              ;   in Loop: Header=BB184_497 Depth=1
	v_mov_b64_e32 v[70:71], 0x7f800001
	v_bfe_u32 v74, v72, 16, 7
	s_mov_b32 s25, exec_lo
	s_delay_alu instid0(VALU_DEP_1)
	v_cmpx_ne_u32_e32 0x7f, v74
	s_cbranch_execz .LBB184_826
; %bb.823:                              ;   in Loop: Header=BB184_497 Depth=1
	v_dual_lshrrev_b32 v70, 3, v74 :: v_dual_bitop2_b32 v20, 7, v73 bitop3:0x40
	s_mov_b32 s27, exec_lo
	v_cmpx_gt_u32_e32 8, v74
; %bb.824:                              ;   in Loop: Header=BB184_497 Depth=1
	s_delay_alu instid0(VALU_DEP_2) | instskip(NEXT) | instid1(VALU_DEP_1)
	v_clz_i32_u32_e32 v70, v20
	v_min_u32_e32 v70, 32, v70
	s_delay_alu instid0(VALU_DEP_1) | instskip(SKIP_1) | instid1(VALU_DEP_2)
	v_subrev_nc_u32_e32 v71, 28, v70
	v_sub_nc_u32_e32 v70, 29, v70
	v_lshlrev_b64_e32 v[74:75], v71, v[20:21]
	s_delay_alu instid0(VALU_DEP_1)
	v_and_b32_e32 v20, 7, v74
; %bb.825:                              ;   in Loop: Header=BB184_497 Depth=1
	s_or_b32 exec_lo, exec_lo, s27
	s_delay_alu instid0(VALU_DEP_1) | instskip(SKIP_1) | instid1(VALU_DEP_2)
	v_dual_lshlrev_b32 v71, 24, v73 :: v_dual_lshlrev_b32 v20, 20, v20
	v_lshl_add_u32 v70, v70, 23, 0x3c000000
	v_and_b32_e32 v71, 0x80000000, v71
	s_delay_alu instid0(VALU_DEP_1) | instskip(NEXT) | instid1(VALU_DEP_1)
	v_or3_b32 v20, v20, v71, v70
	v_mov_b64_e32 v[70:71], v[20:21]
.LBB184_826:                            ;   in Loop: Header=BB184_497 Depth=1
	s_or_b32 exec_lo, exec_lo, s25
.LBB184_827:                            ;   in Loop: Header=BB184_497 Depth=1
	s_delay_alu instid0(SALU_CYCLE_1)
	s_or_b32 exec_lo, exec_lo, s24
.LBB184_828:                            ;   in Loop: Header=BB184_497 Depth=1
	s_delay_alu instid0(SALU_CYCLE_1) | instskip(NEXT) | instid1(SALU_CYCLE_1)
	s_or_b32 exec_lo, exec_lo, s23
	s_mov_b32 s23, exec_lo
	v_cmpx_lt_u32_e32 0xffffff, v72
	s_cbranch_execz .LBB184_836
; %bb.829:                              ;   in Loop: Header=BB184_497 Depth=1
	v_mov_b64_e32 v[68:69], 0x8000000000000000
	v_lshrrev_b32_e32 v73, 24, v72
	s_mov_b32 s24, exec_lo
	s_delay_alu instid0(VALU_DEP_1)
	v_cmpx_ne_u32_e32 0x80, v73
	s_cbranch_execz .LBB184_835
; %bb.830:                              ;   in Loop: Header=BB184_497 Depth=1
	v_mov_b64_e32 v[68:69], 0x7f80000100000000
	v_bfe_u32 v72, v72, 24, 7
	s_mov_b32 s25, exec_lo
	s_delay_alu instid0(VALU_DEP_1)
	v_cmpx_ne_u32_e32 0x7f, v72
	s_cbranch_execz .LBB184_834
; %bb.831:                              ;   in Loop: Header=BB184_497 Depth=1
	v_dual_lshrrev_b32 v68, 3, v72 :: v_dual_bitop2_b32 v20, 7, v73 bitop3:0x40
	s_mov_b32 s27, exec_lo
	v_cmpx_gt_u32_e32 8, v72
; %bb.832:                              ;   in Loop: Header=BB184_497 Depth=1
	s_delay_alu instid0(VALU_DEP_2) | instskip(NEXT) | instid1(VALU_DEP_1)
	v_clz_i32_u32_e32 v68, v20
	v_min_u32_e32 v68, 32, v68
	s_delay_alu instid0(VALU_DEP_1) | instskip(NEXT) | instid1(VALU_DEP_1)
	v_subrev_nc_u32_e32 v69, 28, v68
	v_lshlrev_b64_e32 v[74:75], v69, v[20:21]
	s_delay_alu instid0(VALU_DEP_1)
	v_dual_sub_nc_u32 v68, 29, v68 :: v_dual_bitop2_b32 v20, 7, v74 bitop3:0x40
; %bb.833:                              ;   in Loop: Header=BB184_497 Depth=1
	s_or_b32 exec_lo, exec_lo, s27
	s_delay_alu instid0(VALU_DEP_1) | instskip(NEXT) | instid1(VALU_DEP_2)
	v_dual_lshlrev_b32 v69, 24, v73 :: v_dual_lshlrev_b32 v20, 20, v20
	v_lshl_add_u32 v68, v68, 23, 0x3c000000
	s_delay_alu instid0(VALU_DEP_2) | instskip(NEXT) | instid1(VALU_DEP_1)
	v_and_b32_e32 v69, 0x80000000, v69
	v_or3_b32 v69, v20, v69, v68
	v_mov_b32_e32 v68, v21
.LBB184_834:                            ;   in Loop: Header=BB184_497 Depth=1
	s_or_b32 exec_lo, exec_lo, s25
.LBB184_835:                            ;   in Loop: Header=BB184_497 Depth=1
	s_delay_alu instid0(SALU_CYCLE_1)
	s_or_b32 exec_lo, exec_lo, s24
.LBB184_836:                            ;   in Loop: Header=BB184_497 Depth=1
	s_delay_alu instid0(SALU_CYCLE_1)
	s_or_b32 exec_lo, exec_lo, s23
	v_mov_b64_e32 v[72:73], s[8:9]
	v_or_b32_e32 v65, v65, v67
	v_or_b32_e32 v64, v64, v66
	v_or_b32_e32 v69, v69, v71
	v_or_b32_e32 v68, v68, v70
	s_delay_alu instid0(VALU_DEP_3) | instskip(NEXT) | instid1(VALU_DEP_2)
	v_pk_mul_f32 v[66:67], v[72:73], v[64:65]
	v_pk_mul_f32 v[64:65], v[72:73], v[68:69]
	s_and_saveexec_b32 s23, vcc_lo
	s_cbranch_execz .LBB184_838
; %bb.837:                              ;   in Loop: Header=BB184_497 Depth=1
	v_cmp_gt_i32_e64 s0, s34, v51
	s_delay_alu instid0(VALU_DEP_1) | instskip(SKIP_1) | instid1(VALU_DEP_1)
	v_cndmask_b32_e64 v66, 0, v66, s0
	v_cmp_gt_i32_e64 s0, s34, v93
	v_cndmask_b32_e64 v67, 0, v67, s0
	v_cmp_gt_i32_e64 s0, s34, v85
	s_delay_alu instid0(VALU_DEP_1) | instskip(SKIP_1) | instid1(VALU_DEP_1)
	v_cndmask_b32_e64 v64, 0, v64, s0
	v_cmp_gt_i32_e64 s0, s34, v84
	v_cndmask_b32_e64 v65, 0, v65, s0
.LBB184_838:                            ;   in Loop: Header=BB184_497 Depth=1
	s_or_b32 exec_lo, exec_lo, s23
	global_load_b32 v76, v[30:31], off offset:1280
	v_mov_b64_e32 v[68:69], 0
	v_mov_b64_e32 v[70:71], 0
	s_mov_b32 s23, exec_lo
	s_wait_loadcnt 0x0
	v_and_b32_e32 v20, 0xff, v76
	s_delay_alu instid0(VALU_DEP_1)
	v_cmpx_ne_u16_e32 0, v20
	s_cbranch_execz .LBB184_846
; %bb.839:                              ;   in Loop: Header=BB184_497 Depth=1
	v_mov_b64_e32 v[70:71], 0x80000000
	s_mov_b32 s24, exec_lo
	v_cmpx_ne_u16_e32 0x80, v20
	s_cbranch_execz .LBB184_845
; %bb.840:                              ;   in Loop: Header=BB184_497 Depth=1
	v_mov_b64_e32 v[70:71], 0x7f800001
	v_and_b32_e32 v72, 0x7f, v76
	s_mov_b32 s25, exec_lo
	s_delay_alu instid0(VALU_DEP_1)
	v_cmpx_ne_u32_e32 0x7f, v72
	s_cbranch_execz .LBB184_844
; %bb.841:                              ;   in Loop: Header=BB184_497 Depth=1
	v_and_b32_e32 v20, 7, v76
	v_lshrrev_b32_e32 v70, 3, v72
	s_mov_b32 s27, exec_lo
	v_cmpx_gt_u32_e32 8, v72
; %bb.842:                              ;   in Loop: Header=BB184_497 Depth=1
	s_delay_alu instid0(VALU_DEP_3) | instskip(NEXT) | instid1(VALU_DEP_1)
	v_clz_i32_u32_e32 v70, v20
	v_min_u32_e32 v70, 32, v70
	s_delay_alu instid0(VALU_DEP_1) | instskip(NEXT) | instid1(VALU_DEP_1)
	v_subrev_nc_u32_e32 v71, 28, v70
	v_lshlrev_b64_e32 v[72:73], v71, v[20:21]
	s_delay_alu instid0(VALU_DEP_1)
	v_dual_sub_nc_u32 v70, 29, v70 :: v_dual_bitop2_b32 v20, 7, v72 bitop3:0x40
; %bb.843:                              ;   in Loop: Header=BB184_497 Depth=1
	s_or_b32 exec_lo, exec_lo, s27
	v_lshlrev_b32_e32 v71, 24, v76
	s_delay_alu instid0(VALU_DEP_2) | instskip(NEXT) | instid1(VALU_DEP_3)
	v_lshlrev_b32_e32 v20, 20, v20
	v_lshl_add_u32 v70, v70, 23, 0x3c000000
	s_delay_alu instid0(VALU_DEP_3) | instskip(NEXT) | instid1(VALU_DEP_1)
	v_and_b32_e32 v71, 0x80000000, v71
	v_or3_b32 v20, v20, v71, v70
	s_delay_alu instid0(VALU_DEP_1)
	v_mov_b64_e32 v[70:71], v[20:21]
.LBB184_844:                            ;   in Loop: Header=BB184_497 Depth=1
	s_or_b32 exec_lo, exec_lo, s25
.LBB184_845:                            ;   in Loop: Header=BB184_497 Depth=1
	s_delay_alu instid0(SALU_CYCLE_1)
	s_or_b32 exec_lo, exec_lo, s24
.LBB184_846:                            ;   in Loop: Header=BB184_497 Depth=1
	s_delay_alu instid0(SALU_CYCLE_1) | instskip(SKIP_2) | instid1(VALU_DEP_1)
	s_or_b32 exec_lo, exec_lo, s23
	v_lshrrev_b16 v20, 8, v76
	s_mov_b32 s23, exec_lo
	v_cmpx_ne_u16_e32 0, v20
	s_cbranch_execz .LBB184_854
; %bb.847:                              ;   in Loop: Header=BB184_497 Depth=1
	v_mov_b64_e32 v[68:69], 0x8000000000000000
	s_mov_b32 s24, exec_lo
	v_cmpx_ne_u16_e32 0x80, v20
	s_cbranch_execz .LBB184_853
; %bb.848:                              ;   in Loop: Header=BB184_497 Depth=1
	v_and_b32_e32 v20, 0xffff, v20
	v_mov_b64_e32 v[68:69], 0x7f80000100000000
	s_mov_b32 s25, exec_lo
	s_delay_alu instid0(VALU_DEP_2) | instskip(NEXT) | instid1(VALU_DEP_1)
	v_and_b32_e32 v72, 0x7f, v20
	v_cmpx_ne_u32_e32 0x7f, v72
	s_cbranch_execz .LBB184_852
; %bb.849:                              ;   in Loop: Header=BB184_497 Depth=1
	v_and_b32_e32 v20, 7, v20
	v_lshrrev_b32_e32 v68, 3, v72
	s_mov_b32 s27, exec_lo
	v_cmpx_gt_u32_e32 8, v72
; %bb.850:                              ;   in Loop: Header=BB184_497 Depth=1
	s_delay_alu instid0(VALU_DEP_3) | instskip(NEXT) | instid1(VALU_DEP_1)
	v_clz_i32_u32_e32 v68, v20
	v_min_u32_e32 v68, 32, v68
	s_delay_alu instid0(VALU_DEP_1) | instskip(SKIP_1) | instid1(VALU_DEP_2)
	v_subrev_nc_u32_e32 v69, 28, v68
	v_sub_nc_u32_e32 v68, 29, v68
	v_lshlrev_b64_e32 v[72:73], v69, v[20:21]
	s_delay_alu instid0(VALU_DEP_1)
	v_and_b32_e32 v20, 7, v72
; %bb.851:                              ;   in Loop: Header=BB184_497 Depth=1
	s_or_b32 exec_lo, exec_lo, s27
	v_lshlrev_b32_e32 v69, 16, v76
	s_delay_alu instid0(VALU_DEP_2) | instskip(SKIP_1) | instid1(VALU_DEP_3)
	v_lshlrev_b32_e32 v20, 20, v20
	v_lshl_add_u32 v68, v68, 23, 0x3c000000
	v_and_b32_e32 v69, 0x80000000, v69
	s_delay_alu instid0(VALU_DEP_1)
	v_or3_b32 v69, v20, v69, v68
	v_mov_b32_e32 v68, v21
.LBB184_852:                            ;   in Loop: Header=BB184_497 Depth=1
	s_or_b32 exec_lo, exec_lo, s25
.LBB184_853:                            ;   in Loop: Header=BB184_497 Depth=1
	s_delay_alu instid0(SALU_CYCLE_1)
	s_or_b32 exec_lo, exec_lo, s24
.LBB184_854:                            ;   in Loop: Header=BB184_497 Depth=1
	s_delay_alu instid0(SALU_CYCLE_1) | instskip(SKIP_4) | instid1(VALU_DEP_3)
	s_or_b32 exec_lo, exec_lo, s23
	v_lshrrev_b32_e32 v77, 16, v76
	v_mov_b64_e32 v[72:73], 0
	v_mov_b64_e32 v[74:75], 0
	s_mov_b32 s23, exec_lo
	v_and_b32_e32 v20, 0xff, v77
	s_delay_alu instid0(VALU_DEP_1)
	v_cmpx_ne_u16_e32 0, v20
	s_cbranch_execz .LBB184_862
; %bb.855:                              ;   in Loop: Header=BB184_497 Depth=1
	v_mov_b64_e32 v[74:75], 0x80000000
	s_mov_b32 s24, exec_lo
	v_cmpx_ne_u16_e32 0x80, v20
	s_cbranch_execz .LBB184_861
; %bb.856:                              ;   in Loop: Header=BB184_497 Depth=1
	v_mov_b64_e32 v[74:75], 0x7f800001
	v_bfe_u32 v78, v76, 16, 7
	s_mov_b32 s25, exec_lo
	s_delay_alu instid0(VALU_DEP_1)
	v_cmpx_ne_u32_e32 0x7f, v78
	s_cbranch_execz .LBB184_860
; %bb.857:                              ;   in Loop: Header=BB184_497 Depth=1
	v_dual_lshrrev_b32 v74, 3, v78 :: v_dual_bitop2_b32 v20, 7, v77 bitop3:0x40
	s_mov_b32 s27, exec_lo
	v_cmpx_gt_u32_e32 8, v78
; %bb.858:                              ;   in Loop: Header=BB184_497 Depth=1
	s_delay_alu instid0(VALU_DEP_2) | instskip(NEXT) | instid1(VALU_DEP_1)
	v_clz_i32_u32_e32 v74, v20
	v_min_u32_e32 v74, 32, v74
	s_delay_alu instid0(VALU_DEP_1) | instskip(SKIP_1) | instid1(VALU_DEP_2)
	v_subrev_nc_u32_e32 v75, 28, v74
	v_sub_nc_u32_e32 v74, 29, v74
	v_lshlrev_b64_e32 v[78:79], v75, v[20:21]
	s_delay_alu instid0(VALU_DEP_1)
	v_and_b32_e32 v20, 7, v78
; %bb.859:                              ;   in Loop: Header=BB184_497 Depth=1
	s_or_b32 exec_lo, exec_lo, s27
	s_delay_alu instid0(VALU_DEP_1) | instskip(SKIP_1) | instid1(VALU_DEP_2)
	v_dual_lshlrev_b32 v75, 24, v77 :: v_dual_lshlrev_b32 v20, 20, v20
	v_lshl_add_u32 v74, v74, 23, 0x3c000000
	v_and_b32_e32 v75, 0x80000000, v75
	s_delay_alu instid0(VALU_DEP_1) | instskip(NEXT) | instid1(VALU_DEP_1)
	v_or3_b32 v20, v20, v75, v74
	v_mov_b64_e32 v[74:75], v[20:21]
.LBB184_860:                            ;   in Loop: Header=BB184_497 Depth=1
	s_or_b32 exec_lo, exec_lo, s25
.LBB184_861:                            ;   in Loop: Header=BB184_497 Depth=1
	s_delay_alu instid0(SALU_CYCLE_1)
	s_or_b32 exec_lo, exec_lo, s24
.LBB184_862:                            ;   in Loop: Header=BB184_497 Depth=1
	s_delay_alu instid0(SALU_CYCLE_1) | instskip(NEXT) | instid1(SALU_CYCLE_1)
	s_or_b32 exec_lo, exec_lo, s23
	s_mov_b32 s23, exec_lo
	v_cmpx_lt_u32_e32 0xffffff, v76
	s_cbranch_execz .LBB184_870
; %bb.863:                              ;   in Loop: Header=BB184_497 Depth=1
	v_mov_b64_e32 v[72:73], 0x8000000000000000
	v_lshrrev_b32_e32 v77, 24, v76
	s_mov_b32 s24, exec_lo
	s_delay_alu instid0(VALU_DEP_1)
	v_cmpx_ne_u32_e32 0x80, v77
	s_cbranch_execz .LBB184_869
; %bb.864:                              ;   in Loop: Header=BB184_497 Depth=1
	v_mov_b64_e32 v[72:73], 0x7f80000100000000
	v_bfe_u32 v76, v76, 24, 7
	s_mov_b32 s25, exec_lo
	s_delay_alu instid0(VALU_DEP_1)
	v_cmpx_ne_u32_e32 0x7f, v76
	s_cbranch_execz .LBB184_868
; %bb.865:                              ;   in Loop: Header=BB184_497 Depth=1
	v_dual_lshrrev_b32 v72, 3, v76 :: v_dual_bitop2_b32 v20, 7, v77 bitop3:0x40
	s_mov_b32 s27, exec_lo
	v_cmpx_gt_u32_e32 8, v76
; %bb.866:                              ;   in Loop: Header=BB184_497 Depth=1
	s_delay_alu instid0(VALU_DEP_2) | instskip(NEXT) | instid1(VALU_DEP_1)
	v_clz_i32_u32_e32 v72, v20
	v_min_u32_e32 v72, 32, v72
	s_delay_alu instid0(VALU_DEP_1) | instskip(NEXT) | instid1(VALU_DEP_1)
	v_subrev_nc_u32_e32 v73, 28, v72
	v_lshlrev_b64_e32 v[78:79], v73, v[20:21]
	s_delay_alu instid0(VALU_DEP_1)
	v_dual_sub_nc_u32 v72, 29, v72 :: v_dual_bitop2_b32 v20, 7, v78 bitop3:0x40
; %bb.867:                              ;   in Loop: Header=BB184_497 Depth=1
	s_or_b32 exec_lo, exec_lo, s27
	s_delay_alu instid0(VALU_DEP_1) | instskip(NEXT) | instid1(VALU_DEP_2)
	v_dual_lshlrev_b32 v73, 24, v77 :: v_dual_lshlrev_b32 v20, 20, v20
	v_lshl_add_u32 v72, v72, 23, 0x3c000000
	s_delay_alu instid0(VALU_DEP_2) | instskip(NEXT) | instid1(VALU_DEP_1)
	v_and_b32_e32 v73, 0x80000000, v73
	v_or3_b32 v73, v20, v73, v72
	v_mov_b32_e32 v72, v21
.LBB184_868:                            ;   in Loop: Header=BB184_497 Depth=1
	s_or_b32 exec_lo, exec_lo, s25
.LBB184_869:                            ;   in Loop: Header=BB184_497 Depth=1
	s_delay_alu instid0(SALU_CYCLE_1)
	s_or_b32 exec_lo, exec_lo, s24
.LBB184_870:                            ;   in Loop: Header=BB184_497 Depth=1
	s_delay_alu instid0(SALU_CYCLE_1)
	s_or_b32 exec_lo, exec_lo, s23
	v_mov_b64_e32 v[76:77], s[8:9]
	v_or_b32_e32 v69, v69, v71
	v_or_b32_e32 v68, v68, v70
	;; [unrolled: 1-line block ×4, first 2 shown]
	s_delay_alu instid0(VALU_DEP_3) | instskip(NEXT) | instid1(VALU_DEP_2)
	v_pk_mul_f32 v[70:71], v[76:77], v[68:69]
	v_pk_mul_f32 v[68:69], v[76:77], v[72:73]
	s_and_saveexec_b32 s23, vcc_lo
	s_cbranch_execz .LBB184_872
; %bb.871:                              ;   in Loop: Header=BB184_497 Depth=1
	v_cmp_gt_i32_e64 s0, s34, v51
	s_delay_alu instid0(VALU_DEP_1) | instskip(SKIP_1) | instid1(VALU_DEP_1)
	v_cndmask_b32_e64 v70, 0, v70, s0
	v_cmp_gt_i32_e64 s0, s34, v93
	v_cndmask_b32_e64 v71, 0, v71, s0
	v_cmp_gt_i32_e64 s0, s34, v85
	s_delay_alu instid0(VALU_DEP_1) | instskip(SKIP_1) | instid1(VALU_DEP_1)
	v_cndmask_b32_e64 v68, 0, v68, s0
	v_cmp_gt_i32_e64 s0, s34, v84
	v_cndmask_b32_e64 v69, 0, v69, s0
.LBB184_872:                            ;   in Loop: Header=BB184_497 Depth=1
	s_or_b32 exec_lo, exec_lo, s23
	global_load_b32 v80, v[30:31], off offset:1408
	v_mov_b64_e32 v[72:73], 0
	v_mov_b64_e32 v[74:75], 0
	s_mov_b32 s23, exec_lo
	s_wait_loadcnt 0x0
	v_and_b32_e32 v20, 0xff, v80
	s_delay_alu instid0(VALU_DEP_1)
	v_cmpx_ne_u16_e32 0, v20
	s_cbranch_execz .LBB184_880
; %bb.873:                              ;   in Loop: Header=BB184_497 Depth=1
	v_mov_b64_e32 v[74:75], 0x80000000
	s_mov_b32 s24, exec_lo
	v_cmpx_ne_u16_e32 0x80, v20
	s_cbranch_execz .LBB184_879
; %bb.874:                              ;   in Loop: Header=BB184_497 Depth=1
	v_mov_b64_e32 v[74:75], 0x7f800001
	v_and_b32_e32 v76, 0x7f, v80
	s_mov_b32 s25, exec_lo
	s_delay_alu instid0(VALU_DEP_1)
	v_cmpx_ne_u32_e32 0x7f, v76
	s_cbranch_execz .LBB184_878
; %bb.875:                              ;   in Loop: Header=BB184_497 Depth=1
	v_and_b32_e32 v20, 7, v80
	v_lshrrev_b32_e32 v74, 3, v76
	s_mov_b32 s27, exec_lo
	v_cmpx_gt_u32_e32 8, v76
; %bb.876:                              ;   in Loop: Header=BB184_497 Depth=1
	s_delay_alu instid0(VALU_DEP_3) | instskip(NEXT) | instid1(VALU_DEP_1)
	v_clz_i32_u32_e32 v74, v20
	v_min_u32_e32 v74, 32, v74
	s_delay_alu instid0(VALU_DEP_1) | instskip(NEXT) | instid1(VALU_DEP_1)
	v_subrev_nc_u32_e32 v75, 28, v74
	v_lshlrev_b64_e32 v[76:77], v75, v[20:21]
	s_delay_alu instid0(VALU_DEP_1)
	v_dual_sub_nc_u32 v74, 29, v74 :: v_dual_bitop2_b32 v20, 7, v76 bitop3:0x40
; %bb.877:                              ;   in Loop: Header=BB184_497 Depth=1
	s_or_b32 exec_lo, exec_lo, s27
	v_lshlrev_b32_e32 v75, 24, v80
	s_delay_alu instid0(VALU_DEP_2) | instskip(NEXT) | instid1(VALU_DEP_3)
	v_lshlrev_b32_e32 v20, 20, v20
	v_lshl_add_u32 v74, v74, 23, 0x3c000000
	s_delay_alu instid0(VALU_DEP_3) | instskip(NEXT) | instid1(VALU_DEP_1)
	v_and_b32_e32 v75, 0x80000000, v75
	v_or3_b32 v20, v20, v75, v74
	s_delay_alu instid0(VALU_DEP_1)
	v_mov_b64_e32 v[74:75], v[20:21]
.LBB184_878:                            ;   in Loop: Header=BB184_497 Depth=1
	s_or_b32 exec_lo, exec_lo, s25
.LBB184_879:                            ;   in Loop: Header=BB184_497 Depth=1
	s_delay_alu instid0(SALU_CYCLE_1)
	s_or_b32 exec_lo, exec_lo, s24
.LBB184_880:                            ;   in Loop: Header=BB184_497 Depth=1
	s_delay_alu instid0(SALU_CYCLE_1) | instskip(SKIP_2) | instid1(VALU_DEP_1)
	s_or_b32 exec_lo, exec_lo, s23
	v_lshrrev_b16 v20, 8, v80
	s_mov_b32 s23, exec_lo
	v_cmpx_ne_u16_e32 0, v20
	s_cbranch_execz .LBB184_888
; %bb.881:                              ;   in Loop: Header=BB184_497 Depth=1
	v_mov_b64_e32 v[72:73], 0x8000000000000000
	s_mov_b32 s24, exec_lo
	v_cmpx_ne_u16_e32 0x80, v20
	s_cbranch_execz .LBB184_887
; %bb.882:                              ;   in Loop: Header=BB184_497 Depth=1
	v_and_b32_e32 v20, 0xffff, v20
	v_mov_b64_e32 v[72:73], 0x7f80000100000000
	s_mov_b32 s25, exec_lo
	s_delay_alu instid0(VALU_DEP_2) | instskip(NEXT) | instid1(VALU_DEP_1)
	v_and_b32_e32 v76, 0x7f, v20
	v_cmpx_ne_u32_e32 0x7f, v76
	s_cbranch_execz .LBB184_886
; %bb.883:                              ;   in Loop: Header=BB184_497 Depth=1
	v_and_b32_e32 v20, 7, v20
	v_lshrrev_b32_e32 v72, 3, v76
	s_mov_b32 s27, exec_lo
	v_cmpx_gt_u32_e32 8, v76
; %bb.884:                              ;   in Loop: Header=BB184_497 Depth=1
	s_delay_alu instid0(VALU_DEP_3) | instskip(NEXT) | instid1(VALU_DEP_1)
	v_clz_i32_u32_e32 v72, v20
	v_min_u32_e32 v72, 32, v72
	s_delay_alu instid0(VALU_DEP_1) | instskip(SKIP_1) | instid1(VALU_DEP_2)
	v_subrev_nc_u32_e32 v73, 28, v72
	v_sub_nc_u32_e32 v72, 29, v72
	v_lshlrev_b64_e32 v[76:77], v73, v[20:21]
	s_delay_alu instid0(VALU_DEP_1)
	v_and_b32_e32 v20, 7, v76
; %bb.885:                              ;   in Loop: Header=BB184_497 Depth=1
	s_or_b32 exec_lo, exec_lo, s27
	v_lshlrev_b32_e32 v73, 16, v80
	s_delay_alu instid0(VALU_DEP_2) | instskip(SKIP_1) | instid1(VALU_DEP_3)
	v_lshlrev_b32_e32 v20, 20, v20
	v_lshl_add_u32 v72, v72, 23, 0x3c000000
	v_and_b32_e32 v73, 0x80000000, v73
	s_delay_alu instid0(VALU_DEP_1)
	v_or3_b32 v73, v20, v73, v72
	v_mov_b32_e32 v72, v21
.LBB184_886:                            ;   in Loop: Header=BB184_497 Depth=1
	s_or_b32 exec_lo, exec_lo, s25
.LBB184_887:                            ;   in Loop: Header=BB184_497 Depth=1
	s_delay_alu instid0(SALU_CYCLE_1)
	s_or_b32 exec_lo, exec_lo, s24
.LBB184_888:                            ;   in Loop: Header=BB184_497 Depth=1
	s_delay_alu instid0(SALU_CYCLE_1) | instskip(SKIP_4) | instid1(VALU_DEP_3)
	s_or_b32 exec_lo, exec_lo, s23
	v_lshrrev_b32_e32 v81, 16, v80
	v_mov_b64_e32 v[76:77], 0
	v_mov_b64_e32 v[78:79], 0
	s_mov_b32 s23, exec_lo
	v_and_b32_e32 v20, 0xff, v81
	s_delay_alu instid0(VALU_DEP_1)
	v_cmpx_ne_u16_e32 0, v20
	s_cbranch_execz .LBB184_896
; %bb.889:                              ;   in Loop: Header=BB184_497 Depth=1
	v_mov_b64_e32 v[78:79], 0x80000000
	s_mov_b32 s24, exec_lo
	v_cmpx_ne_u16_e32 0x80, v20
	s_cbranch_execz .LBB184_895
; %bb.890:                              ;   in Loop: Header=BB184_497 Depth=1
	v_mov_b64_e32 v[78:79], 0x7f800001
	v_bfe_u32 v82, v80, 16, 7
	s_mov_b32 s25, exec_lo
	s_delay_alu instid0(VALU_DEP_1)
	v_cmpx_ne_u32_e32 0x7f, v82
	s_cbranch_execz .LBB184_894
; %bb.891:                              ;   in Loop: Header=BB184_497 Depth=1
	v_dual_lshrrev_b32 v78, 3, v82 :: v_dual_bitop2_b32 v20, 7, v81 bitop3:0x40
	s_mov_b32 s27, exec_lo
	v_cmpx_gt_u32_e32 8, v82
; %bb.892:                              ;   in Loop: Header=BB184_497 Depth=1
	s_delay_alu instid0(VALU_DEP_2) | instskip(NEXT) | instid1(VALU_DEP_1)
	v_clz_i32_u32_e32 v78, v20
	v_min_u32_e32 v78, 32, v78
	s_delay_alu instid0(VALU_DEP_1) | instskip(SKIP_1) | instid1(VALU_DEP_2)
	v_subrev_nc_u32_e32 v79, 28, v78
	v_sub_nc_u32_e32 v78, 29, v78
	v_lshlrev_b64_e32 v[82:83], v79, v[20:21]
	s_delay_alu instid0(VALU_DEP_1)
	v_and_b32_e32 v20, 7, v82
; %bb.893:                              ;   in Loop: Header=BB184_497 Depth=1
	s_or_b32 exec_lo, exec_lo, s27
	s_delay_alu instid0(VALU_DEP_1) | instskip(SKIP_1) | instid1(VALU_DEP_2)
	v_dual_lshlrev_b32 v79, 24, v81 :: v_dual_lshlrev_b32 v20, 20, v20
	v_lshl_add_u32 v78, v78, 23, 0x3c000000
	v_and_b32_e32 v79, 0x80000000, v79
	s_delay_alu instid0(VALU_DEP_1) | instskip(NEXT) | instid1(VALU_DEP_1)
	v_or3_b32 v20, v20, v79, v78
	v_mov_b64_e32 v[78:79], v[20:21]
.LBB184_894:                            ;   in Loop: Header=BB184_497 Depth=1
	s_or_b32 exec_lo, exec_lo, s25
.LBB184_895:                            ;   in Loop: Header=BB184_497 Depth=1
	s_delay_alu instid0(SALU_CYCLE_1)
	s_or_b32 exec_lo, exec_lo, s24
.LBB184_896:                            ;   in Loop: Header=BB184_497 Depth=1
	s_delay_alu instid0(SALU_CYCLE_1) | instskip(NEXT) | instid1(SALU_CYCLE_1)
	s_or_b32 exec_lo, exec_lo, s23
	s_mov_b32 s23, exec_lo
	v_cmpx_lt_u32_e32 0xffffff, v80
	s_cbranch_execz .LBB184_904
; %bb.897:                              ;   in Loop: Header=BB184_497 Depth=1
	v_mov_b64_e32 v[76:77], 0x8000000000000000
	v_lshrrev_b32_e32 v81, 24, v80
	s_mov_b32 s24, exec_lo
	s_delay_alu instid0(VALU_DEP_1)
	v_cmpx_ne_u32_e32 0x80, v81
	s_cbranch_execz .LBB184_903
; %bb.898:                              ;   in Loop: Header=BB184_497 Depth=1
	v_mov_b64_e32 v[76:77], 0x7f80000100000000
	v_bfe_u32 v80, v80, 24, 7
	s_mov_b32 s25, exec_lo
	s_delay_alu instid0(VALU_DEP_1)
	v_cmpx_ne_u32_e32 0x7f, v80
	s_cbranch_execz .LBB184_902
; %bb.899:                              ;   in Loop: Header=BB184_497 Depth=1
	v_dual_lshrrev_b32 v76, 3, v80 :: v_dual_bitop2_b32 v20, 7, v81 bitop3:0x40
	s_mov_b32 s27, exec_lo
	v_cmpx_gt_u32_e32 8, v80
; %bb.900:                              ;   in Loop: Header=BB184_497 Depth=1
	s_delay_alu instid0(VALU_DEP_2) | instskip(NEXT) | instid1(VALU_DEP_1)
	v_clz_i32_u32_e32 v76, v20
	v_min_u32_e32 v76, 32, v76
	s_delay_alu instid0(VALU_DEP_1) | instskip(NEXT) | instid1(VALU_DEP_1)
	v_subrev_nc_u32_e32 v77, 28, v76
	v_lshlrev_b64_e32 v[82:83], v77, v[20:21]
	s_delay_alu instid0(VALU_DEP_1)
	v_dual_sub_nc_u32 v76, 29, v76 :: v_dual_bitop2_b32 v20, 7, v82 bitop3:0x40
; %bb.901:                              ;   in Loop: Header=BB184_497 Depth=1
	s_or_b32 exec_lo, exec_lo, s27
	s_delay_alu instid0(VALU_DEP_1) | instskip(NEXT) | instid1(VALU_DEP_2)
	v_dual_lshlrev_b32 v77, 24, v81 :: v_dual_lshlrev_b32 v20, 20, v20
	v_lshl_add_u32 v76, v76, 23, 0x3c000000
	s_delay_alu instid0(VALU_DEP_2) | instskip(NEXT) | instid1(VALU_DEP_1)
	v_and_b32_e32 v77, 0x80000000, v77
	v_or3_b32 v77, v20, v77, v76
	v_mov_b32_e32 v76, v21
.LBB184_902:                            ;   in Loop: Header=BB184_497 Depth=1
	s_or_b32 exec_lo, exec_lo, s25
.LBB184_903:                            ;   in Loop: Header=BB184_497 Depth=1
	s_delay_alu instid0(SALU_CYCLE_1)
	s_or_b32 exec_lo, exec_lo, s24
.LBB184_904:                            ;   in Loop: Header=BB184_497 Depth=1
	s_delay_alu instid0(SALU_CYCLE_1)
	s_or_b32 exec_lo, exec_lo, s23
	v_mov_b64_e32 v[80:81], s[8:9]
	v_or_b32_e32 v73, v73, v75
	v_or_b32_e32 v72, v72, v74
	;; [unrolled: 1-line block ×4, first 2 shown]
	s_delay_alu instid0(VALU_DEP_3) | instskip(NEXT) | instid1(VALU_DEP_2)
	v_pk_mul_f32 v[74:75], v[80:81], v[72:73]
	v_pk_mul_f32 v[72:73], v[80:81], v[76:77]
	s_and_saveexec_b32 s23, vcc_lo
	s_cbranch_execz .LBB184_906
; %bb.905:                              ;   in Loop: Header=BB184_497 Depth=1
	v_cmp_gt_i32_e64 s0, s34, v51
	s_delay_alu instid0(VALU_DEP_1) | instskip(SKIP_1) | instid1(VALU_DEP_1)
	v_cndmask_b32_e64 v74, 0, v74, s0
	v_cmp_gt_i32_e64 s0, s34, v93
	v_cndmask_b32_e64 v75, 0, v75, s0
	v_cmp_gt_i32_e64 s0, s34, v85
	s_delay_alu instid0(VALU_DEP_1) | instskip(SKIP_1) | instid1(VALU_DEP_1)
	v_cndmask_b32_e64 v72, 0, v72, s0
	v_cmp_gt_i32_e64 s0, s34, v84
	v_cndmask_b32_e64 v73, 0, v73, s0
.LBB184_906:                            ;   in Loop: Header=BB184_497 Depth=1
	s_or_b32 exec_lo, exec_lo, s23
	global_load_b32 v94, v[30:31], off offset:1536
	v_mov_b64_e32 v[76:77], 0
	v_mov_b64_e32 v[78:79], 0
	s_mov_b32 s23, exec_lo
	s_wait_loadcnt 0x0
	v_and_b32_e32 v20, 0xff, v94
	s_delay_alu instid0(VALU_DEP_1)
	v_cmpx_ne_u16_e32 0, v20
	s_cbranch_execz .LBB184_914
; %bb.907:                              ;   in Loop: Header=BB184_497 Depth=1
	v_mov_b64_e32 v[78:79], 0x80000000
	s_mov_b32 s24, exec_lo
	v_cmpx_ne_u16_e32 0x80, v20
	s_cbranch_execz .LBB184_913
; %bb.908:                              ;   in Loop: Header=BB184_497 Depth=1
	v_mov_b64_e32 v[78:79], 0x7f800001
	v_and_b32_e32 v80, 0x7f, v94
	s_mov_b32 s25, exec_lo
	s_delay_alu instid0(VALU_DEP_1)
	v_cmpx_ne_u32_e32 0x7f, v80
	s_cbranch_execz .LBB184_912
; %bb.909:                              ;   in Loop: Header=BB184_497 Depth=1
	v_dual_lshrrev_b32 v78, 3, v80 :: v_dual_bitop2_b32 v20, 7, v94 bitop3:0x40
	s_mov_b32 s27, exec_lo
	v_cmpx_gt_u32_e32 8, v80
; %bb.910:                              ;   in Loop: Header=BB184_497 Depth=1
	s_delay_alu instid0(VALU_DEP_2) | instskip(NEXT) | instid1(VALU_DEP_1)
	v_clz_i32_u32_e32 v78, v20
	v_min_u32_e32 v78, 32, v78
	s_delay_alu instid0(VALU_DEP_1) | instskip(NEXT) | instid1(VALU_DEP_1)
	v_subrev_nc_u32_e32 v79, 28, v78
	v_lshlrev_b64_e32 v[80:81], v79, v[20:21]
	s_delay_alu instid0(VALU_DEP_1)
	v_dual_sub_nc_u32 v78, 29, v78 :: v_dual_bitop2_b32 v20, 7, v80 bitop3:0x40
; %bb.911:                              ;   in Loop: Header=BB184_497 Depth=1
	s_or_b32 exec_lo, exec_lo, s27
	s_delay_alu instid0(VALU_DEP_1) | instskip(NEXT) | instid1(VALU_DEP_2)
	v_dual_lshlrev_b32 v79, 24, v94 :: v_dual_lshlrev_b32 v20, 20, v20
	v_lshl_add_u32 v78, v78, 23, 0x3c000000
	s_delay_alu instid0(VALU_DEP_2) | instskip(NEXT) | instid1(VALU_DEP_1)
	v_and_b32_e32 v79, 0x80000000, v79
	v_or3_b32 v20, v20, v79, v78
	s_delay_alu instid0(VALU_DEP_1)
	v_mov_b64_e32 v[78:79], v[20:21]
.LBB184_912:                            ;   in Loop: Header=BB184_497 Depth=1
	s_or_b32 exec_lo, exec_lo, s25
.LBB184_913:                            ;   in Loop: Header=BB184_497 Depth=1
	s_delay_alu instid0(SALU_CYCLE_1)
	s_or_b32 exec_lo, exec_lo, s24
.LBB184_914:                            ;   in Loop: Header=BB184_497 Depth=1
	s_delay_alu instid0(SALU_CYCLE_1) | instskip(SKIP_2) | instid1(VALU_DEP_1)
	s_or_b32 exec_lo, exec_lo, s23
	v_lshrrev_b16 v20, 8, v94
	s_mov_b32 s23, exec_lo
	v_cmpx_ne_u16_e32 0, v20
	s_cbranch_execz .LBB184_922
; %bb.915:                              ;   in Loop: Header=BB184_497 Depth=1
	v_mov_b64_e32 v[76:77], 0x8000000000000000
	s_mov_b32 s24, exec_lo
	v_cmpx_ne_u16_e32 0x80, v20
	s_cbranch_execz .LBB184_921
; %bb.916:                              ;   in Loop: Header=BB184_497 Depth=1
	v_and_b32_e32 v20, 0xffff, v20
	v_mov_b64_e32 v[76:77], 0x7f80000100000000
	s_mov_b32 s25, exec_lo
	s_delay_alu instid0(VALU_DEP_2) | instskip(NEXT) | instid1(VALU_DEP_1)
	v_and_b32_e32 v80, 0x7f, v20
	v_cmpx_ne_u32_e32 0x7f, v80
	s_cbranch_execz .LBB184_920
; %bb.917:                              ;   in Loop: Header=BB184_497 Depth=1
	v_and_b32_e32 v20, 7, v20
	v_lshrrev_b32_e32 v76, 3, v80
	s_mov_b32 s27, exec_lo
	v_cmpx_gt_u32_e32 8, v80
; %bb.918:                              ;   in Loop: Header=BB184_497 Depth=1
	s_delay_alu instid0(VALU_DEP_3) | instskip(NEXT) | instid1(VALU_DEP_1)
	v_clz_i32_u32_e32 v76, v20
	v_min_u32_e32 v76, 32, v76
	s_delay_alu instid0(VALU_DEP_1) | instskip(SKIP_1) | instid1(VALU_DEP_2)
	v_subrev_nc_u32_e32 v77, 28, v76
	v_sub_nc_u32_e32 v76, 29, v76
	v_lshlrev_b64_e32 v[80:81], v77, v[20:21]
	s_delay_alu instid0(VALU_DEP_1)
	v_and_b32_e32 v20, 7, v80
; %bb.919:                              ;   in Loop: Header=BB184_497 Depth=1
	s_or_b32 exec_lo, exec_lo, s27
	s_delay_alu instid0(VALU_DEP_1) | instskip(SKIP_1) | instid1(VALU_DEP_2)
	v_dual_lshlrev_b32 v77, 16, v94 :: v_dual_lshlrev_b32 v20, 20, v20
	v_lshl_add_u32 v76, v76, 23, 0x3c000000
	v_and_b32_e32 v77, 0x80000000, v77
	s_delay_alu instid0(VALU_DEP_1)
	v_or3_b32 v77, v20, v77, v76
	v_mov_b32_e32 v76, v21
.LBB184_920:                            ;   in Loop: Header=BB184_497 Depth=1
	s_or_b32 exec_lo, exec_lo, s25
.LBB184_921:                            ;   in Loop: Header=BB184_497 Depth=1
	s_delay_alu instid0(SALU_CYCLE_1)
	s_or_b32 exec_lo, exec_lo, s24
.LBB184_922:                            ;   in Loop: Header=BB184_497 Depth=1
	s_delay_alu instid0(SALU_CYCLE_1) | instskip(SKIP_4) | instid1(VALU_DEP_3)
	s_or_b32 exec_lo, exec_lo, s23
	v_lshrrev_b32_e32 v95, 16, v94
	v_mov_b64_e32 v[80:81], 0
	v_mov_b64_e32 v[82:83], 0
	s_mov_b32 s23, exec_lo
	v_and_b32_e32 v20, 0xff, v95
	s_delay_alu instid0(VALU_DEP_1)
	v_cmpx_ne_u16_e32 0, v20
	s_cbranch_execz .LBB184_930
; %bb.923:                              ;   in Loop: Header=BB184_497 Depth=1
	v_mov_b64_e32 v[82:83], 0x80000000
	s_mov_b32 s24, exec_lo
	v_cmpx_ne_u16_e32 0x80, v20
	s_cbranch_execz .LBB184_929
; %bb.924:                              ;   in Loop: Header=BB184_497 Depth=1
	v_mov_b64_e32 v[82:83], 0x7f800001
	v_bfe_u32 v96, v94, 16, 7
	s_mov_b32 s25, exec_lo
	s_delay_alu instid0(VALU_DEP_1)
	v_cmpx_ne_u32_e32 0x7f, v96
	s_cbranch_execz .LBB184_928
; %bb.925:                              ;   in Loop: Header=BB184_497 Depth=1
	v_dual_lshrrev_b32 v82, 3, v96 :: v_dual_bitop2_b32 v20, 7, v95 bitop3:0x40
	s_mov_b32 s27, exec_lo
	v_cmpx_gt_u32_e32 8, v96
; %bb.926:                              ;   in Loop: Header=BB184_497 Depth=1
	s_delay_alu instid0(VALU_DEP_2) | instskip(NEXT) | instid1(VALU_DEP_1)
	v_clz_i32_u32_e32 v82, v20
	v_min_u32_e32 v82, 32, v82
	s_delay_alu instid0(VALU_DEP_1) | instskip(NEXT) | instid1(VALU_DEP_1)
	v_subrev_nc_u32_e32 v83, 28, v82
	v_lshlrev_b64_e32 v[96:97], v83, v[20:21]
	s_delay_alu instid0(VALU_DEP_1)
	v_dual_sub_nc_u32 v82, 29, v82 :: v_dual_bitop2_b32 v20, 7, v96 bitop3:0x40
; %bb.927:                              ;   in Loop: Header=BB184_497 Depth=1
	s_or_b32 exec_lo, exec_lo, s27
	s_delay_alu instid0(VALU_DEP_1) | instskip(NEXT) | instid1(VALU_DEP_2)
	v_dual_lshlrev_b32 v83, 24, v95 :: v_dual_lshlrev_b32 v20, 20, v20
	v_lshl_add_u32 v82, v82, 23, 0x3c000000
	s_delay_alu instid0(VALU_DEP_2) | instskip(NEXT) | instid1(VALU_DEP_1)
	v_and_b32_e32 v83, 0x80000000, v83
	v_or3_b32 v20, v20, v83, v82
	s_delay_alu instid0(VALU_DEP_1)
	v_mov_b64_e32 v[82:83], v[20:21]
.LBB184_928:                            ;   in Loop: Header=BB184_497 Depth=1
	s_or_b32 exec_lo, exec_lo, s25
.LBB184_929:                            ;   in Loop: Header=BB184_497 Depth=1
	s_delay_alu instid0(SALU_CYCLE_1)
	s_or_b32 exec_lo, exec_lo, s24
.LBB184_930:                            ;   in Loop: Header=BB184_497 Depth=1
	s_delay_alu instid0(SALU_CYCLE_1) | instskip(NEXT) | instid1(SALU_CYCLE_1)
	s_or_b32 exec_lo, exec_lo, s23
	s_mov_b32 s23, exec_lo
	v_cmpx_lt_u32_e32 0xffffff, v94
	s_cbranch_execz .LBB184_938
; %bb.931:                              ;   in Loop: Header=BB184_497 Depth=1
	v_mov_b64_e32 v[80:81], 0x8000000000000000
	v_lshrrev_b32_e32 v95, 24, v94
	s_mov_b32 s24, exec_lo
	s_delay_alu instid0(VALU_DEP_1)
	v_cmpx_ne_u32_e32 0x80, v95
	s_cbranch_execz .LBB184_937
; %bb.932:                              ;   in Loop: Header=BB184_497 Depth=1
	v_mov_b64_e32 v[80:81], 0x7f80000100000000
	v_bfe_u32 v94, v94, 24, 7
	s_mov_b32 s25, exec_lo
	s_delay_alu instid0(VALU_DEP_1)
	v_cmpx_ne_u32_e32 0x7f, v94
	s_cbranch_execz .LBB184_936
; %bb.933:                              ;   in Loop: Header=BB184_497 Depth=1
	v_dual_lshrrev_b32 v80, 3, v94 :: v_dual_bitop2_b32 v20, 7, v95 bitop3:0x40
	s_mov_b32 s27, exec_lo
	v_cmpx_gt_u32_e32 8, v94
; %bb.934:                              ;   in Loop: Header=BB184_497 Depth=1
	s_delay_alu instid0(VALU_DEP_2) | instskip(NEXT) | instid1(VALU_DEP_1)
	v_clz_i32_u32_e32 v80, v20
	v_min_u32_e32 v80, 32, v80
	s_delay_alu instid0(VALU_DEP_1) | instskip(SKIP_1) | instid1(VALU_DEP_2)
	v_subrev_nc_u32_e32 v81, 28, v80
	v_sub_nc_u32_e32 v80, 29, v80
	v_lshlrev_b64_e32 v[96:97], v81, v[20:21]
	s_delay_alu instid0(VALU_DEP_1)
	v_and_b32_e32 v20, 7, v96
; %bb.935:                              ;   in Loop: Header=BB184_497 Depth=1
	s_or_b32 exec_lo, exec_lo, s27
	s_delay_alu instid0(VALU_DEP_1) | instskip(SKIP_1) | instid1(VALU_DEP_2)
	v_dual_lshlrev_b32 v81, 24, v95 :: v_dual_lshlrev_b32 v20, 20, v20
	v_lshl_add_u32 v80, v80, 23, 0x3c000000
	v_and_b32_e32 v81, 0x80000000, v81
	s_delay_alu instid0(VALU_DEP_1)
	v_or3_b32 v81, v20, v81, v80
	v_mov_b32_e32 v80, v21
.LBB184_936:                            ;   in Loop: Header=BB184_497 Depth=1
	s_or_b32 exec_lo, exec_lo, s25
.LBB184_937:                            ;   in Loop: Header=BB184_497 Depth=1
	s_delay_alu instid0(SALU_CYCLE_1)
	s_or_b32 exec_lo, exec_lo, s24
.LBB184_938:                            ;   in Loop: Header=BB184_497 Depth=1
	s_delay_alu instid0(SALU_CYCLE_1)
	s_or_b32 exec_lo, exec_lo, s23
	v_mov_b64_e32 v[94:95], s[8:9]
	v_or_b32_e32 v77, v77, v79
	v_or_b32_e32 v76, v76, v78
	v_or_b32_e32 v81, v81, v83
	v_or_b32_e32 v80, v80, v82
	s_delay_alu instid0(VALU_DEP_3) | instskip(NEXT) | instid1(VALU_DEP_2)
	v_pk_mul_f32 v[78:79], v[94:95], v[76:77]
	v_pk_mul_f32 v[76:77], v[94:95], v[80:81]
	s_and_saveexec_b32 s23, vcc_lo
	s_cbranch_execz .LBB184_940
; %bb.939:                              ;   in Loop: Header=BB184_497 Depth=1
	v_cmp_gt_i32_e64 s0, s34, v51
	s_delay_alu instid0(VALU_DEP_1) | instskip(SKIP_1) | instid1(VALU_DEP_1)
	v_cndmask_b32_e64 v78, 0, v78, s0
	v_cmp_gt_i32_e64 s0, s34, v93
	v_cndmask_b32_e64 v79, 0, v79, s0
	v_cmp_gt_i32_e64 s0, s34, v85
	s_delay_alu instid0(VALU_DEP_1) | instskip(SKIP_1) | instid1(VALU_DEP_1)
	v_cndmask_b32_e64 v76, 0, v76, s0
	v_cmp_gt_i32_e64 s0, s34, v84
	v_cndmask_b32_e64 v77, 0, v77, s0
.LBB184_940:                            ;   in Loop: Header=BB184_497 Depth=1
	s_or_b32 exec_lo, exec_lo, s23
	global_load_b32 v94, v[30:31], off offset:1664
	s_wait_xcnt 0x0
	v_mov_b64_e32 v[30:31], 0
	v_mov_b64_e32 v[80:81], 0
	s_mov_b32 s23, exec_lo
	s_wait_loadcnt 0x0
	v_and_b32_e32 v20, 0xff, v94
	s_delay_alu instid0(VALU_DEP_1)
	v_cmpx_ne_u16_e32 0, v20
	s_cbranch_execz .LBB184_948
; %bb.941:                              ;   in Loop: Header=BB184_497 Depth=1
	v_mov_b64_e32 v[80:81], 0x80000000
	s_mov_b32 s24, exec_lo
	v_cmpx_ne_u16_e32 0x80, v20
	s_cbranch_execz .LBB184_947
; %bb.942:                              ;   in Loop: Header=BB184_497 Depth=1
	v_mov_b64_e32 v[80:81], 0x7f800001
	v_and_b32_e32 v82, 0x7f, v94
	s_mov_b32 s25, exec_lo
	s_delay_alu instid0(VALU_DEP_1)
	v_cmpx_ne_u32_e32 0x7f, v82
	s_cbranch_execz .LBB184_946
; %bb.943:                              ;   in Loop: Header=BB184_497 Depth=1
	v_and_b32_e32 v20, 7, v94
	v_lshrrev_b32_e32 v80, 3, v82
	s_mov_b32 s27, exec_lo
	v_cmpx_gt_u32_e32 8, v82
; %bb.944:                              ;   in Loop: Header=BB184_497 Depth=1
	s_delay_alu instid0(VALU_DEP_3) | instskip(NEXT) | instid1(VALU_DEP_1)
	v_clz_i32_u32_e32 v80, v20
	v_min_u32_e32 v80, 32, v80
	s_delay_alu instid0(VALU_DEP_1) | instskip(NEXT) | instid1(VALU_DEP_1)
	v_subrev_nc_u32_e32 v81, 28, v80
	v_lshlrev_b64_e32 v[82:83], v81, v[20:21]
	s_delay_alu instid0(VALU_DEP_1)
	v_dual_sub_nc_u32 v80, 29, v80 :: v_dual_bitop2_b32 v20, 7, v82 bitop3:0x40
; %bb.945:                              ;   in Loop: Header=BB184_497 Depth=1
	s_or_b32 exec_lo, exec_lo, s27
	s_delay_alu instid0(VALU_DEP_1) | instskip(NEXT) | instid1(VALU_DEP_2)
	v_dual_lshlrev_b32 v81, 24, v94 :: v_dual_lshlrev_b32 v20, 20, v20
	v_lshl_add_u32 v80, v80, 23, 0x3c000000
	s_delay_alu instid0(VALU_DEP_2) | instskip(NEXT) | instid1(VALU_DEP_1)
	v_and_b32_e32 v81, 0x80000000, v81
	v_or3_b32 v20, v20, v81, v80
	s_delay_alu instid0(VALU_DEP_1)
	v_mov_b64_e32 v[80:81], v[20:21]
.LBB184_946:                            ;   in Loop: Header=BB184_497 Depth=1
	s_or_b32 exec_lo, exec_lo, s25
.LBB184_947:                            ;   in Loop: Header=BB184_497 Depth=1
	s_delay_alu instid0(SALU_CYCLE_1)
	s_or_b32 exec_lo, exec_lo, s24
.LBB184_948:                            ;   in Loop: Header=BB184_497 Depth=1
	s_delay_alu instid0(SALU_CYCLE_1) | instskip(SKIP_2) | instid1(VALU_DEP_1)
	s_or_b32 exec_lo, exec_lo, s23
	v_lshrrev_b16 v20, 8, v94
	s_mov_b32 s23, exec_lo
	v_cmpx_ne_u16_e32 0, v20
	s_cbranch_execz .LBB184_956
; %bb.949:                              ;   in Loop: Header=BB184_497 Depth=1
	v_mov_b64_e32 v[30:31], 0x8000000000000000
	s_mov_b32 s24, exec_lo
	v_cmpx_ne_u16_e32 0x80, v20
	s_cbranch_execz .LBB184_955
; %bb.950:                              ;   in Loop: Header=BB184_497 Depth=1
	v_and_b32_e32 v20, 0xffff, v20
	v_mov_b64_e32 v[30:31], 0x7f80000100000000
	s_mov_b32 s25, exec_lo
	s_delay_alu instid0(VALU_DEP_2) | instskip(NEXT) | instid1(VALU_DEP_1)
	v_and_b32_e32 v82, 0x7f, v20
	v_cmpx_ne_u32_e32 0x7f, v82
	s_cbranch_execz .LBB184_954
; %bb.951:                              ;   in Loop: Header=BB184_497 Depth=1
	v_dual_lshrrev_b32 v30, 3, v82 :: v_dual_bitop2_b32 v20, 7, v20 bitop3:0x40
	s_mov_b32 s27, exec_lo
	v_cmpx_gt_u32_e32 8, v82
; %bb.952:                              ;   in Loop: Header=BB184_497 Depth=1
	s_delay_alu instid0(VALU_DEP_2) | instskip(NEXT) | instid1(VALU_DEP_1)
	v_clz_i32_u32_e32 v30, v20
	v_min_u32_e32 v30, 32, v30
	s_delay_alu instid0(VALU_DEP_1) | instskip(SKIP_1) | instid1(VALU_DEP_2)
	v_subrev_nc_u32_e32 v31, 28, v30
	v_sub_nc_u32_e32 v30, 29, v30
	v_lshlrev_b64_e32 v[82:83], v31, v[20:21]
	s_delay_alu instid0(VALU_DEP_1)
	v_and_b32_e32 v20, 7, v82
; %bb.953:                              ;   in Loop: Header=BB184_497 Depth=1
	s_or_b32 exec_lo, exec_lo, s27
	s_delay_alu instid0(VALU_DEP_1) | instskip(SKIP_1) | instid1(VALU_DEP_2)
	v_dual_lshlrev_b32 v31, 16, v94 :: v_dual_lshlrev_b32 v20, 20, v20
	v_lshl_add_u32 v30, v30, 23, 0x3c000000
	v_and_b32_e32 v31, 0x80000000, v31
	s_delay_alu instid0(VALU_DEP_1)
	v_or3_b32 v31, v20, v31, v30
	v_mov_b32_e32 v30, v21
.LBB184_954:                            ;   in Loop: Header=BB184_497 Depth=1
	s_or_b32 exec_lo, exec_lo, s25
.LBB184_955:                            ;   in Loop: Header=BB184_497 Depth=1
	s_delay_alu instid0(SALU_CYCLE_1)
	s_or_b32 exec_lo, exec_lo, s24
.LBB184_956:                            ;   in Loop: Header=BB184_497 Depth=1
	s_delay_alu instid0(SALU_CYCLE_1) | instskip(SKIP_4) | instid1(VALU_DEP_3)
	s_or_b32 exec_lo, exec_lo, s23
	v_lshrrev_b32_e32 v95, 16, v94
	v_mov_b64_e32 v[82:83], 0
	v_mov_b64_e32 v[84:85], 0
	s_mov_b32 s23, exec_lo
	v_and_b32_e32 v20, 0xff, v95
	s_delay_alu instid0(VALU_DEP_1)
	v_cmpx_ne_u16_e32 0, v20
	s_cbranch_execz .LBB184_964
; %bb.957:                              ;   in Loop: Header=BB184_497 Depth=1
	v_mov_b64_e32 v[84:85], 0x80000000
	s_mov_b32 s24, exec_lo
	v_cmpx_ne_u16_e32 0x80, v20
	s_cbranch_execz .LBB184_963
; %bb.958:                              ;   in Loop: Header=BB184_497 Depth=1
	v_mov_b64_e32 v[84:85], 0x7f800001
	v_bfe_u32 v96, v94, 16, 7
	s_mov_b32 s25, exec_lo
	s_delay_alu instid0(VALU_DEP_1)
	v_cmpx_ne_u32_e32 0x7f, v96
	s_cbranch_execz .LBB184_962
; %bb.959:                              ;   in Loop: Header=BB184_497 Depth=1
	v_dual_lshrrev_b32 v84, 3, v96 :: v_dual_bitop2_b32 v20, 7, v95 bitop3:0x40
	s_mov_b32 s27, exec_lo
	v_cmpx_gt_u32_e32 8, v96
; %bb.960:                              ;   in Loop: Header=BB184_497 Depth=1
	s_delay_alu instid0(VALU_DEP_2) | instskip(NEXT) | instid1(VALU_DEP_1)
	v_clz_i32_u32_e32 v84, v20
	v_min_u32_e32 v84, 32, v84
	s_delay_alu instid0(VALU_DEP_1) | instskip(SKIP_1) | instid1(VALU_DEP_2)
	v_subrev_nc_u32_e32 v85, 28, v84
	v_sub_nc_u32_e32 v84, 29, v84
	v_lshlrev_b64_e32 v[96:97], v85, v[20:21]
	s_delay_alu instid0(VALU_DEP_1)
	v_and_b32_e32 v20, 7, v96
; %bb.961:                              ;   in Loop: Header=BB184_497 Depth=1
	s_or_b32 exec_lo, exec_lo, s27
	s_delay_alu instid0(VALU_DEP_1) | instskip(SKIP_1) | instid1(VALU_DEP_2)
	v_dual_lshlrev_b32 v85, 24, v95 :: v_dual_lshlrev_b32 v20, 20, v20
	v_lshl_add_u32 v84, v84, 23, 0x3c000000
	v_and_b32_e32 v85, 0x80000000, v85
	s_delay_alu instid0(VALU_DEP_1) | instskip(NEXT) | instid1(VALU_DEP_1)
	v_or3_b32 v20, v20, v85, v84
	v_mov_b64_e32 v[84:85], v[20:21]
.LBB184_962:                            ;   in Loop: Header=BB184_497 Depth=1
	s_or_b32 exec_lo, exec_lo, s25
.LBB184_963:                            ;   in Loop: Header=BB184_497 Depth=1
	s_delay_alu instid0(SALU_CYCLE_1)
	s_or_b32 exec_lo, exec_lo, s24
.LBB184_964:                            ;   in Loop: Header=BB184_497 Depth=1
	s_delay_alu instid0(SALU_CYCLE_1) | instskip(NEXT) | instid1(SALU_CYCLE_1)
	s_or_b32 exec_lo, exec_lo, s23
	s_mov_b32 s23, exec_lo
	v_cmpx_lt_u32_e32 0xffffff, v94
	s_cbranch_execz .LBB184_972
; %bb.965:                              ;   in Loop: Header=BB184_497 Depth=1
	v_mov_b64_e32 v[82:83], 0x8000000000000000
	v_lshrrev_b32_e32 v95, 24, v94
	s_mov_b32 s24, exec_lo
	s_delay_alu instid0(VALU_DEP_1)
	v_cmpx_ne_u32_e32 0x80, v95
	s_cbranch_execz .LBB184_971
; %bb.966:                              ;   in Loop: Header=BB184_497 Depth=1
	v_mov_b64_e32 v[82:83], 0x7f80000100000000
	v_bfe_u32 v94, v94, 24, 7
	s_mov_b32 s25, exec_lo
	s_delay_alu instid0(VALU_DEP_1)
	v_cmpx_ne_u32_e32 0x7f, v94
	s_cbranch_execz .LBB184_970
; %bb.967:                              ;   in Loop: Header=BB184_497 Depth=1
	v_dual_lshrrev_b32 v82, 3, v94 :: v_dual_bitop2_b32 v20, 7, v95 bitop3:0x40
	s_mov_b32 s27, exec_lo
	v_cmpx_gt_u32_e32 8, v94
; %bb.968:                              ;   in Loop: Header=BB184_497 Depth=1
	s_delay_alu instid0(VALU_DEP_2) | instskip(NEXT) | instid1(VALU_DEP_1)
	v_clz_i32_u32_e32 v82, v20
	v_min_u32_e32 v82, 32, v82
	s_delay_alu instid0(VALU_DEP_1) | instskip(NEXT) | instid1(VALU_DEP_1)
	v_subrev_nc_u32_e32 v83, 28, v82
	v_lshlrev_b64_e32 v[96:97], v83, v[20:21]
	s_delay_alu instid0(VALU_DEP_1)
	v_dual_sub_nc_u32 v82, 29, v82 :: v_dual_bitop2_b32 v20, 7, v96 bitop3:0x40
; %bb.969:                              ;   in Loop: Header=BB184_497 Depth=1
	s_or_b32 exec_lo, exec_lo, s27
	s_delay_alu instid0(VALU_DEP_1) | instskip(NEXT) | instid1(VALU_DEP_2)
	v_dual_lshlrev_b32 v83, 24, v95 :: v_dual_lshlrev_b32 v20, 20, v20
	v_lshl_add_u32 v82, v82, 23, 0x3c000000
	s_delay_alu instid0(VALU_DEP_2) | instskip(NEXT) | instid1(VALU_DEP_1)
	v_and_b32_e32 v83, 0x80000000, v83
	v_or3_b32 v83, v20, v83, v82
	v_mov_b32_e32 v82, v21
.LBB184_970:                            ;   in Loop: Header=BB184_497 Depth=1
	s_or_b32 exec_lo, exec_lo, s25
.LBB184_971:                            ;   in Loop: Header=BB184_497 Depth=1
	s_delay_alu instid0(SALU_CYCLE_1)
	s_or_b32 exec_lo, exec_lo, s24
.LBB184_972:                            ;   in Loop: Header=BB184_497 Depth=1
	s_delay_alu instid0(SALU_CYCLE_1)
	s_or_b32 exec_lo, exec_lo, s23
	v_mov_b64_e32 v[94:95], s[8:9]
	v_or_b32_e32 v31, v31, v81
	v_or_b32_e32 v30, v30, v80
	;; [unrolled: 1-line block ×4, first 2 shown]
	s_delay_alu instid0(VALU_DEP_3) | instskip(NEXT) | instid1(VALU_DEP_2)
	v_pk_mul_f32 v[80:81], v[94:95], v[30:31]
	v_pk_mul_f32 v[30:31], v[94:95], v[82:83]
	s_and_saveexec_b32 s0, vcc_lo
	s_cbranch_execz .LBB184_495
; %bb.973:                              ;   in Loop: Header=BB184_497 Depth=1
	v_cmp_gt_i32_e32 vcc_lo, s18, v93
	v_dual_cndmask_b32 v81, 0, v81, vcc_lo :: v_dual_bitop2_b32 v20, 3, v51 bitop3:0x54
	v_cmp_gt_i32_e32 vcc_lo, s34, v51
	v_dual_cndmask_b32 v80, 0, v80, vcc_lo :: v_dual_bitop2_b32 v82, 2, v51 bitop3:0x54
	s_delay_alu instid0(VALU_DEP_3) | instskip(SKIP_1) | instid1(VALU_DEP_3)
	v_cmp_gt_i32_e32 vcc_lo, s18, v20
	v_cndmask_b32_e32 v31, 0, v31, vcc_lo
	v_cmp_gt_i32_e32 vcc_lo, s34, v82
	v_cndmask_b32_e32 v30, 0, v30, vcc_lo
	s_branch .LBB184_495
.LBB184_974:
	s_or_b32 exec_lo, exec_lo, s19
	v_dual_mov_b32 v36, v98 :: v_dual_mov_b32 v37, v99
.LBB184_975:
	s_or_b32 exec_lo, exec_lo, s1
	ds_bpermute_b32 v0, v87, v8
	ds_bpermute_b32 v1, v87, v9
	;; [unrolled: 1-line block ×14, first 2 shown]
	s_mov_b32 s0, exec_lo
	s_wait_dscnt 0x0
	s_barrier_signal -1
	s_barrier_wait -1
	v_pk_add_f32 v[0:1], v[8:9], v[0:1]
	v_pk_add_f32 v[2:3], v[18:19], v[2:3]
	v_pk_add_f32 v[4:5], v[16:17], v[4:5]
	ds_bpermute_b32 v8, v88, v0
	v_pk_add_f32 v[18:19], v[14:15], v[20:21]
	ds_bpermute_b32 v9, v88, v1
	v_pk_add_f32 v[20:21], v[12:13], v[22:23]
	;; [unrolled: 2-line block ×3, first 2 shown]
	ds_bpermute_b32 v24, v88, v2
	ds_bpermute_b32 v25, v88, v3
	;; [unrolled: 1-line block ×8, first 2 shown]
	v_pk_add_f32 v[12:13], v[6:7], v[26:27]
	ds_bpermute_b32 v35, v88, v23
	v_and_b32_e32 v16, 28, v86
	v_and_b32_e32 v17, 0x3c3, v36
	ds_bpermute_b32 v14, v88, v12
	ds_bpermute_b32 v15, v88, v13
	s_wait_dscnt 0xc
	v_pk_add_f32 v[10:11], v[0:1], v[8:9]
	s_wait_dscnt 0x9
	v_pk_add_f32 v[8:9], v[2:3], v[24:25]
	;; [unrolled: 2-line block ×6, first 2 shown]
	v_cmpx_ne_u32_e32 64, v17
	s_xor_b32 s0, exec_lo, s0
	s_delay_alu instid0(SALU_CYCLE_1)
	s_or_saveexec_b32 s0, s0
	s_wait_dscnt 0x0
	v_pk_add_f32 v[12:13], v[12:13], v[14:15]
	v_lshrrev_b32_e32 v14, 2, v86
	v_add_nc_u32_e32 v15, 0x1e0, v16
	v_mul_u32_u24_e32 v16, 0x1c0, v37
	s_xor_b32 exec_lo, exec_lo, s0
	s_cbranch_execz .LBB184_977
; %bb.976:
	s_delay_alu instid0(VALU_DEP_1) | instskip(NEXT) | instid1(VALU_DEP_1)
	v_add_nc_u32_e32 v17, v15, v16
	v_add_nc_u32_e32 v18, 0xfffffc80, v17
	;; [unrolled: 1-line block ×9, first 2 shown]
	ds_store_b32 v18, v10
	ds_store_b32 v19, v11
	;; [unrolled: 1-line block ×8, first 2 shown]
	v_add_nc_u32_e32 v18, 0xfffffd80, v17
	v_add_nc_u32_e32 v19, 0xfffffda0, v17
	;; [unrolled: 1-line block ×6, first 2 shown]
	ds_store_b32 v18, v2
	ds_store_b32 v19, v3
	;; [unrolled: 1-line block ×6, first 2 shown]
.LBB184_977:
	s_or_b32 exec_lo, exec_lo, s0
	v_lshlrev_b32_e32 v14, 2, v14
	s_mov_b32 s1, exec_lo
	v_cmp_eq_u32_e32 vcc_lo, 0, v89
	s_wait_dscnt 0x0
	s_barrier_signal -1
	v_add3_u32 v14, 0x1e0, v16, v14
	s_barrier_wait -1
	v_cmpx_gt_u32_e32 64, v36
	s_cbranch_execz .LBB184_994
; %bb.978:
	s_and_saveexec_b32 s0, vcc_lo
	s_cbranch_execnz .LBB184_1016
; %bb.979:
	s_or_b32 exec_lo, exec_lo, s0
	s_and_saveexec_b32 s0, vcc_lo
	s_cbranch_execnz .LBB184_1017
.LBB184_980:
	s_or_b32 exec_lo, exec_lo, s0
	s_and_saveexec_b32 s0, vcc_lo
	s_cbranch_execnz .LBB184_1018
.LBB184_981:
	s_or_b32 exec_lo, exec_lo, s0
	s_and_saveexec_b32 s0, vcc_lo
	s_cbranch_execnz .LBB184_1019
.LBB184_982:
	s_or_b32 exec_lo, exec_lo, s0
	s_and_saveexec_b32 s0, vcc_lo
	s_cbranch_execnz .LBB184_1020
.LBB184_983:
	s_or_b32 exec_lo, exec_lo, s0
	s_and_saveexec_b32 s0, vcc_lo
	s_cbranch_execnz .LBB184_1021
.LBB184_984:
	s_or_b32 exec_lo, exec_lo, s0
	s_and_saveexec_b32 s0, vcc_lo
	s_cbranch_execnz .LBB184_1022
.LBB184_985:
	s_or_b32 exec_lo, exec_lo, s0
	s_and_saveexec_b32 s0, vcc_lo
	s_cbranch_execnz .LBB184_1023
.LBB184_986:
	s_or_b32 exec_lo, exec_lo, s0
	s_and_saveexec_b32 s0, vcc_lo
	s_cbranch_execnz .LBB184_1024
.LBB184_987:
	s_or_b32 exec_lo, exec_lo, s0
	s_and_saveexec_b32 s0, vcc_lo
	s_cbranch_execnz .LBB184_1025
.LBB184_988:
	s_or_b32 exec_lo, exec_lo, s0
	s_and_saveexec_b32 s0, vcc_lo
	s_cbranch_execnz .LBB184_1026
.LBB184_989:
	s_or_b32 exec_lo, exec_lo, s0
	s_and_saveexec_b32 s0, vcc_lo
	s_cbranch_execnz .LBB184_1027
.LBB184_990:
	s_or_b32 exec_lo, exec_lo, s0
	s_and_saveexec_b32 s0, vcc_lo
	s_cbranch_execnz .LBB184_1028
.LBB184_991:
	s_or_b32 exec_lo, exec_lo, s0
	s_and_saveexec_b32 s0, vcc_lo
	s_cbranch_execz .LBB184_993
.LBB184_992:
	ds_load_b32 v16, v14 offset:416
	s_wait_dscnt 0x0
	v_add_f32_e32 v13, v13, v16
.LBB184_993:
	s_or_b32 exec_lo, exec_lo, s0
.LBB184_994:
	s_delay_alu instid0(SALU_CYCLE_1) | instskip(SKIP_4) | instid1(VALU_DEP_1)
	s_or_b32 exec_lo, exec_lo, s1
	v_and_b32_e32 v16, 0x3e3, v36
	s_mov_b32 s1, exec_lo
	s_barrier_signal -1
	s_barrier_wait -1
	v_cmpx_eq_u32_e32 32, v16
	s_cbranch_execz .LBB184_996
; %bb.995:
	ds_store_2addr_b32 v15, v10, v11 offset1:8
	ds_store_2addr_b32 v15, v8, v9 offset0:16 offset1:24
	ds_store_2addr_b32 v15, v6, v7 offset0:32 offset1:40
	;; [unrolled: 1-line block ×6, first 2 shown]
.LBB184_996:
	s_or_b32 exec_lo, exec_lo, s1
	s_delay_alu instid0(SALU_CYCLE_1)
	s_mov_b32 s1, exec_lo
	s_wait_dscnt 0x0
	s_barrier_signal -1
	s_barrier_wait -1
	v_cmpx_gt_u32_e32 32, v36
	s_cbranch_execz .LBB184_1013
; %bb.997:
	s_and_saveexec_b32 s0, vcc_lo
	s_cbranch_execnz .LBB184_1029
; %bb.998:
	s_or_b32 exec_lo, exec_lo, s0
	s_and_saveexec_b32 s0, vcc_lo
	s_cbranch_execnz .LBB184_1030
.LBB184_999:
	s_or_b32 exec_lo, exec_lo, s0
	s_and_saveexec_b32 s0, vcc_lo
	s_cbranch_execnz .LBB184_1031
.LBB184_1000:
	s_or_b32 exec_lo, exec_lo, s0
	s_and_saveexec_b32 s0, vcc_lo
	s_cbranch_execnz .LBB184_1032
.LBB184_1001:
	s_or_b32 exec_lo, exec_lo, s0
	s_and_saveexec_b32 s0, vcc_lo
	s_cbranch_execnz .LBB184_1033
.LBB184_1002:
	s_or_b32 exec_lo, exec_lo, s0
	s_and_saveexec_b32 s0, vcc_lo
	s_cbranch_execnz .LBB184_1034
.LBB184_1003:
	s_or_b32 exec_lo, exec_lo, s0
	s_and_saveexec_b32 s0, vcc_lo
	s_cbranch_execnz .LBB184_1035
.LBB184_1004:
	s_or_b32 exec_lo, exec_lo, s0
	s_and_saveexec_b32 s0, vcc_lo
	s_cbranch_execnz .LBB184_1036
.LBB184_1005:
	s_or_b32 exec_lo, exec_lo, s0
	s_and_saveexec_b32 s0, vcc_lo
	s_cbranch_execnz .LBB184_1037
.LBB184_1006:
	s_or_b32 exec_lo, exec_lo, s0
	s_and_saveexec_b32 s0, vcc_lo
	s_cbranch_execnz .LBB184_1038
.LBB184_1007:
	s_or_b32 exec_lo, exec_lo, s0
	s_and_saveexec_b32 s0, vcc_lo
	s_cbranch_execnz .LBB184_1039
.LBB184_1008:
	s_or_b32 exec_lo, exec_lo, s0
	s_and_saveexec_b32 s0, vcc_lo
	s_cbranch_execnz .LBB184_1040
.LBB184_1009:
	s_or_b32 exec_lo, exec_lo, s0
	s_and_saveexec_b32 s0, vcc_lo
	s_cbranch_execnz .LBB184_1041
.LBB184_1010:
	s_or_b32 exec_lo, exec_lo, s0
	s_and_saveexec_b32 s0, vcc_lo
	s_cbranch_execz .LBB184_1012
.LBB184_1011:
	ds_load_b32 v14, v14 offset:416
	s_wait_dscnt 0x0
	v_add_f32_e32 v13, v13, v14
.LBB184_1012:
	s_or_b32 exec_lo, exec_lo, s0
.LBB184_1013:
	s_delay_alu instid0(SALU_CYCLE_1)
	s_or_b32 exec_lo, exec_lo, s1
	s_mov_b32 s1, 0
	s_barrier_signal -1
	s_barrier_wait -1
	s_mov_b32 s0, exec_lo
	v_cmpx_eq_u32_e32 0, v16
	s_cbranch_execz .LBB184_1015
; %bb.1014:
	s_mul_i32 s0, s33, s7
	s_mul_i32 s2, s7, s6
	;; [unrolled: 1-line block ×3, first 2 shown]
	s_wait_kmcnt 0x0
	s_lshr_b32 s8, ttmp7, 16
	s_mul_i32 s6, s0, 0x70
	s_bfe_u32 s0, ttmp6, 0x40014
	s_ashr_i32 s7, s6, 31
	s_add_co_i32 s0, s0, 1
	s_ashr_i32 s3, s2, 31
	s_mul_i32 s0, s8, s0
	s_bfe_u32 s9, ttmp6, 0x40008
	s_lshl_b64 s[6:7], s[6:7], 2
	s_lshl_b64 s[2:3], s[2:3], 2
	s_add_co_i32 s9, s9, s0
	s_cmp_eq_u32 s30, 0
	s_add_nc_u64 s[4:5], s[4:5], s[6:7]
	s_cselect_b32 s0, s8, s9
	s_add_nc_u64 s[2:3], s[4:5], s[2:3]
	s_mulk_i32 s0, 0x1c0
	s_delay_alu instid0(SALU_CYCLE_1)
	s_add_nc_u64 s[0:1], s[2:3], s[0:1]
	s_clause 0xd
	global_store_b32 v36, v10, s[0:1]
	global_store_b32 v36, v11, s[0:1] offset:32
	global_store_b32 v36, v8, s[0:1] offset:64
	;; [unrolled: 1-line block ×13, first 2 shown]
.LBB184_1015:
	s_sendmsg sendmsg(MSG_DEALLOC_VGPRS)
	s_endpgm
.LBB184_1016:
	ds_load_b32 v16, v14
	s_wait_dscnt 0x0
	v_add_f32_e32 v10, v10, v16
	s_or_b32 exec_lo, exec_lo, s0
	s_and_saveexec_b32 s0, vcc_lo
	s_cbranch_execz .LBB184_980
.LBB184_1017:
	ds_load_b32 v16, v14 offset:32
	s_wait_dscnt 0x0
	v_add_f32_e32 v11, v11, v16
	s_or_b32 exec_lo, exec_lo, s0
	s_and_saveexec_b32 s0, vcc_lo
	s_cbranch_execz .LBB184_981
.LBB184_1018:
	ds_load_b32 v16, v14 offset:64
	s_wait_dscnt 0x0
	v_add_f32_e32 v8, v8, v16
	s_or_b32 exec_lo, exec_lo, s0
	s_and_saveexec_b32 s0, vcc_lo
	s_cbranch_execz .LBB184_982
.LBB184_1019:
	ds_load_b32 v16, v14 offset:96
	s_wait_dscnt 0x0
	v_add_f32_e32 v9, v9, v16
	s_or_b32 exec_lo, exec_lo, s0
	s_and_saveexec_b32 s0, vcc_lo
	s_cbranch_execz .LBB184_983
.LBB184_1020:
	ds_load_b32 v16, v14 offset:128
	s_wait_dscnt 0x0
	v_add_f32_e32 v6, v6, v16
	s_or_b32 exec_lo, exec_lo, s0
	s_and_saveexec_b32 s0, vcc_lo
	s_cbranch_execz .LBB184_984
.LBB184_1021:
	ds_load_b32 v16, v14 offset:160
	s_wait_dscnt 0x0
	v_add_f32_e32 v7, v7, v16
	s_or_b32 exec_lo, exec_lo, s0
	s_and_saveexec_b32 s0, vcc_lo
	s_cbranch_execz .LBB184_985
.LBB184_1022:
	ds_load_b32 v16, v14 offset:192
	s_wait_dscnt 0x0
	v_add_f32_e32 v4, v4, v16
	s_or_b32 exec_lo, exec_lo, s0
	s_and_saveexec_b32 s0, vcc_lo
	s_cbranch_execz .LBB184_986
.LBB184_1023:
	ds_load_b32 v16, v14 offset:224
	s_wait_dscnt 0x0
	v_add_f32_e32 v5, v5, v16
	s_or_b32 exec_lo, exec_lo, s0
	s_and_saveexec_b32 s0, vcc_lo
	s_cbranch_execz .LBB184_987
.LBB184_1024:
	ds_load_b32 v16, v14 offset:256
	s_wait_dscnt 0x0
	v_add_f32_e32 v2, v2, v16
	s_or_b32 exec_lo, exec_lo, s0
	s_and_saveexec_b32 s0, vcc_lo
	s_cbranch_execz .LBB184_988
.LBB184_1025:
	ds_load_b32 v16, v14 offset:288
	s_wait_dscnt 0x0
	v_add_f32_e32 v3, v3, v16
	s_or_b32 exec_lo, exec_lo, s0
	s_and_saveexec_b32 s0, vcc_lo
	s_cbranch_execz .LBB184_989
.LBB184_1026:
	ds_load_b32 v16, v14 offset:320
	s_wait_dscnt 0x0
	v_add_f32_e32 v0, v0, v16
	s_or_b32 exec_lo, exec_lo, s0
	s_and_saveexec_b32 s0, vcc_lo
	s_cbranch_execz .LBB184_990
.LBB184_1027:
	ds_load_b32 v16, v14 offset:352
	s_wait_dscnt 0x0
	v_add_f32_e32 v1, v1, v16
	s_or_b32 exec_lo, exec_lo, s0
	s_and_saveexec_b32 s0, vcc_lo
	s_cbranch_execz .LBB184_991
.LBB184_1028:
	ds_load_b32 v16, v14 offset:384
	s_wait_dscnt 0x0
	v_add_f32_e32 v12, v12, v16
	s_or_b32 exec_lo, exec_lo, s0
	s_and_saveexec_b32 s0, vcc_lo
	s_cbranch_execnz .LBB184_992
	s_branch .LBB184_993
.LBB184_1029:
	ds_load_b32 v15, v14
	s_wait_dscnt 0x0
	v_add_f32_e32 v10, v10, v15
	s_or_b32 exec_lo, exec_lo, s0
	s_and_saveexec_b32 s0, vcc_lo
	s_cbranch_execz .LBB184_999
.LBB184_1030:
	ds_load_b32 v15, v14 offset:32
	s_wait_dscnt 0x0
	v_add_f32_e32 v11, v11, v15
	s_or_b32 exec_lo, exec_lo, s0
	s_and_saveexec_b32 s0, vcc_lo
	s_cbranch_execz .LBB184_1000
.LBB184_1031:
	ds_load_b32 v15, v14 offset:64
	s_wait_dscnt 0x0
	v_add_f32_e32 v8, v8, v15
	s_or_b32 exec_lo, exec_lo, s0
	s_and_saveexec_b32 s0, vcc_lo
	s_cbranch_execz .LBB184_1001
.LBB184_1032:
	ds_load_b32 v15, v14 offset:96
	s_wait_dscnt 0x0
	v_add_f32_e32 v9, v9, v15
	s_or_b32 exec_lo, exec_lo, s0
	s_and_saveexec_b32 s0, vcc_lo
	s_cbranch_execz .LBB184_1002
.LBB184_1033:
	ds_load_b32 v15, v14 offset:128
	s_wait_dscnt 0x0
	v_add_f32_e32 v6, v6, v15
	s_or_b32 exec_lo, exec_lo, s0
	s_and_saveexec_b32 s0, vcc_lo
	s_cbranch_execz .LBB184_1003
.LBB184_1034:
	ds_load_b32 v15, v14 offset:160
	s_wait_dscnt 0x0
	v_add_f32_e32 v7, v7, v15
	s_or_b32 exec_lo, exec_lo, s0
	s_and_saveexec_b32 s0, vcc_lo
	s_cbranch_execz .LBB184_1004
.LBB184_1035:
	ds_load_b32 v15, v14 offset:192
	s_wait_dscnt 0x0
	v_add_f32_e32 v4, v4, v15
	s_or_b32 exec_lo, exec_lo, s0
	s_and_saveexec_b32 s0, vcc_lo
	s_cbranch_execz .LBB184_1005
.LBB184_1036:
	ds_load_b32 v15, v14 offset:224
	s_wait_dscnt 0x0
	v_add_f32_e32 v5, v5, v15
	s_or_b32 exec_lo, exec_lo, s0
	s_and_saveexec_b32 s0, vcc_lo
	s_cbranch_execz .LBB184_1006
.LBB184_1037:
	ds_load_b32 v15, v14 offset:256
	s_wait_dscnt 0x0
	v_add_f32_e32 v2, v2, v15
	s_or_b32 exec_lo, exec_lo, s0
	s_and_saveexec_b32 s0, vcc_lo
	s_cbranch_execz .LBB184_1007
.LBB184_1038:
	ds_load_b32 v15, v14 offset:288
	s_wait_dscnt 0x0
	v_add_f32_e32 v3, v3, v15
	s_or_b32 exec_lo, exec_lo, s0
	s_and_saveexec_b32 s0, vcc_lo
	s_cbranch_execz .LBB184_1008
.LBB184_1039:
	ds_load_b32 v15, v14 offset:320
	s_wait_dscnt 0x0
	v_add_f32_e32 v0, v0, v15
	s_or_b32 exec_lo, exec_lo, s0
	s_and_saveexec_b32 s0, vcc_lo
	s_cbranch_execz .LBB184_1009
.LBB184_1040:
	ds_load_b32 v15, v14 offset:352
	s_wait_dscnt 0x0
	v_add_f32_e32 v1, v1, v15
	s_or_b32 exec_lo, exec_lo, s0
	s_and_saveexec_b32 s0, vcc_lo
	s_cbranch_execz .LBB184_1010
.LBB184_1041:
	ds_load_b32 v15, v14 offset:384
	s_wait_dscnt 0x0
	v_add_f32_e32 v12, v12, v15
	s_or_b32 exec_lo, exec_lo, s0
	s_and_saveexec_b32 s0, vcc_lo
	s_cbranch_execnz .LBB184_1011
	s_branch .LBB184_1012
	.section	.rodata,"a",@progbits
	.p2align	6, 0x0
	.amdhsa_kernel _ZN4vllm25paged_attention_v1_kernelIfhLi112ELi16ELi128ELNS_18Fp8KVCacheDataTypeE1ELb1EEEvPT_PKS2_PKT0_S8_ifPKiSA_iPKfiiiSC_SC_iiiii
		.amdhsa_group_segment_fixed_size 480
		.amdhsa_private_segment_fixed_size 232
		.amdhsa_kernarg_size 384
		.amdhsa_user_sgpr_count 2
		.amdhsa_user_sgpr_dispatch_ptr 0
		.amdhsa_user_sgpr_queue_ptr 0
		.amdhsa_user_sgpr_kernarg_segment_ptr 1
		.amdhsa_user_sgpr_dispatch_id 0
		.amdhsa_user_sgpr_kernarg_preload_length 0
		.amdhsa_user_sgpr_kernarg_preload_offset 0
		.amdhsa_user_sgpr_private_segment_size 0
		.amdhsa_wavefront_size32 1
		.amdhsa_uses_dynamic_stack 0
		.amdhsa_enable_private_segment 1
		.amdhsa_system_sgpr_workgroup_id_x 1
		.amdhsa_system_sgpr_workgroup_id_y 1
		.amdhsa_system_sgpr_workgroup_id_z 1
		.amdhsa_system_sgpr_workgroup_info 0
		.amdhsa_system_vgpr_workitem_id 0
		.amdhsa_next_free_vgpr 128
		.amdhsa_next_free_sgpr 46
		.amdhsa_named_barrier_count 0
		.amdhsa_reserve_vcc 1
		.amdhsa_float_round_mode_32 0
		.amdhsa_float_round_mode_16_64 0
		.amdhsa_float_denorm_mode_32 3
		.amdhsa_float_denorm_mode_16_64 3
		.amdhsa_fp16_overflow 0
		.amdhsa_memory_ordered 1
		.amdhsa_forward_progress 1
		.amdhsa_inst_pref_size 255
		.amdhsa_round_robin_scheduling 0
		.amdhsa_exception_fp_ieee_invalid_op 0
		.amdhsa_exception_fp_denorm_src 0
		.amdhsa_exception_fp_ieee_div_zero 0
		.amdhsa_exception_fp_ieee_overflow 0
		.amdhsa_exception_fp_ieee_underflow 0
		.amdhsa_exception_fp_ieee_inexact 0
		.amdhsa_exception_int_div_zero 0
	.end_amdhsa_kernel
	.section	.text._ZN4vllm25paged_attention_v1_kernelIfhLi112ELi16ELi128ELNS_18Fp8KVCacheDataTypeE1ELb1EEEvPT_PKS2_PKT0_S8_ifPKiSA_iPKfiiiSC_SC_iiiii,"axG",@progbits,_ZN4vllm25paged_attention_v1_kernelIfhLi112ELi16ELi128ELNS_18Fp8KVCacheDataTypeE1ELb1EEEvPT_PKS2_PKT0_S8_ifPKiSA_iPKfiiiSC_SC_iiiii,comdat
.Lfunc_end184:
	.size	_ZN4vllm25paged_attention_v1_kernelIfhLi112ELi16ELi128ELNS_18Fp8KVCacheDataTypeE1ELb1EEEvPT_PKS2_PKT0_S8_ifPKiSA_iPKfiiiSC_SC_iiiii, .Lfunc_end184-_ZN4vllm25paged_attention_v1_kernelIfhLi112ELi16ELi128ELNS_18Fp8KVCacheDataTypeE1ELb1EEEvPT_PKS2_PKT0_S8_ifPKiSA_iPKfiiiSC_SC_iiiii
                                        ; -- End function
	.set _ZN4vllm25paged_attention_v1_kernelIfhLi112ELi16ELi128ELNS_18Fp8KVCacheDataTypeE1ELb1EEEvPT_PKS2_PKT0_S8_ifPKiSA_iPKfiiiSC_SC_iiiii.num_vgpr, 128
	.set _ZN4vllm25paged_attention_v1_kernelIfhLi112ELi16ELi128ELNS_18Fp8KVCacheDataTypeE1ELb1EEEvPT_PKS2_PKT0_S8_ifPKiSA_iPKfiiiSC_SC_iiiii.num_agpr, 0
	.set _ZN4vllm25paged_attention_v1_kernelIfhLi112ELi16ELi128ELNS_18Fp8KVCacheDataTypeE1ELb1EEEvPT_PKS2_PKT0_S8_ifPKiSA_iPKfiiiSC_SC_iiiii.numbered_sgpr, 46
	.set _ZN4vllm25paged_attention_v1_kernelIfhLi112ELi16ELi128ELNS_18Fp8KVCacheDataTypeE1ELb1EEEvPT_PKS2_PKT0_S8_ifPKiSA_iPKfiiiSC_SC_iiiii.num_named_barrier, 0
	.set _ZN4vllm25paged_attention_v1_kernelIfhLi112ELi16ELi128ELNS_18Fp8KVCacheDataTypeE1ELb1EEEvPT_PKS2_PKT0_S8_ifPKiSA_iPKfiiiSC_SC_iiiii.private_seg_size, 232
	.set _ZN4vllm25paged_attention_v1_kernelIfhLi112ELi16ELi128ELNS_18Fp8KVCacheDataTypeE1ELb1EEEvPT_PKS2_PKT0_S8_ifPKiSA_iPKfiiiSC_SC_iiiii.uses_vcc, 1
	.set _ZN4vllm25paged_attention_v1_kernelIfhLi112ELi16ELi128ELNS_18Fp8KVCacheDataTypeE1ELb1EEEvPT_PKS2_PKT0_S8_ifPKiSA_iPKfiiiSC_SC_iiiii.uses_flat_scratch, 1
	.set _ZN4vllm25paged_attention_v1_kernelIfhLi112ELi16ELi128ELNS_18Fp8KVCacheDataTypeE1ELb1EEEvPT_PKS2_PKT0_S8_ifPKiSA_iPKfiiiSC_SC_iiiii.has_dyn_sized_stack, 0
	.set _ZN4vllm25paged_attention_v1_kernelIfhLi112ELi16ELi128ELNS_18Fp8KVCacheDataTypeE1ELb1EEEvPT_PKS2_PKT0_S8_ifPKiSA_iPKfiiiSC_SC_iiiii.has_recursion, 0
	.set _ZN4vllm25paged_attention_v1_kernelIfhLi112ELi16ELi128ELNS_18Fp8KVCacheDataTypeE1ELb1EEEvPT_PKS2_PKT0_S8_ifPKiSA_iPKfiiiSC_SC_iiiii.has_indirect_call, 0
	.section	.AMDGPU.csdata,"",@progbits
; Kernel info:
; codeLenInByte = 37140
; TotalNumSgprs: 48
; NumVgprs: 128
; ScratchSize: 232
; MemoryBound: 0
; FloatMode: 240
; IeeeMode: 1
; LDSByteSize: 480 bytes/workgroup (compile time only)
; SGPRBlocks: 0
; VGPRBlocks: 7
; NumSGPRsForWavesPerEU: 48
; NumVGPRsForWavesPerEU: 128
; NamedBarCnt: 0
; Occupancy: 8
; WaveLimiterHint : 1
; COMPUTE_PGM_RSRC2:SCRATCH_EN: 1
; COMPUTE_PGM_RSRC2:USER_SGPR: 2
; COMPUTE_PGM_RSRC2:TRAP_HANDLER: 0
; COMPUTE_PGM_RSRC2:TGID_X_EN: 1
; COMPUTE_PGM_RSRC2:TGID_Y_EN: 1
; COMPUTE_PGM_RSRC2:TGID_Z_EN: 1
; COMPUTE_PGM_RSRC2:TIDIG_COMP_CNT: 0
	.section	.text._ZN4vllm25paged_attention_v1_kernelIfhLi120ELi16ELi128ELNS_18Fp8KVCacheDataTypeE1ELb1EEEvPT_PKS2_PKT0_S8_ifPKiSA_iPKfiiiSC_SC_iiiii,"axG",@progbits,_ZN4vllm25paged_attention_v1_kernelIfhLi120ELi16ELi128ELNS_18Fp8KVCacheDataTypeE1ELb1EEEvPT_PKS2_PKT0_S8_ifPKiSA_iPKfiiiSC_SC_iiiii,comdat
	.protected	_ZN4vllm25paged_attention_v1_kernelIfhLi120ELi16ELi128ELNS_18Fp8KVCacheDataTypeE1ELb1EEEvPT_PKS2_PKT0_S8_ifPKiSA_iPKfiiiSC_SC_iiiii ; -- Begin function _ZN4vllm25paged_attention_v1_kernelIfhLi120ELi16ELi128ELNS_18Fp8KVCacheDataTypeE1ELb1EEEvPT_PKS2_PKT0_S8_ifPKiSA_iPKfiiiSC_SC_iiiii
	.globl	_ZN4vllm25paged_attention_v1_kernelIfhLi120ELi16ELi128ELNS_18Fp8KVCacheDataTypeE1ELb1EEEvPT_PKS2_PKT0_S8_ifPKiSA_iPKfiiiSC_SC_iiiii
	.p2align	8
	.type	_ZN4vllm25paged_attention_v1_kernelIfhLi120ELi16ELi128ELNS_18Fp8KVCacheDataTypeE1ELb1EEEvPT_PKS2_PKT0_S8_ifPKiSA_iPKfiiiSC_SC_iiiii,@function
_ZN4vllm25paged_attention_v1_kernelIfhLi120ELi16ELi128ELNS_18Fp8KVCacheDataTypeE1ELb1EEEvPT_PKS2_PKT0_S8_ifPKiSA_iPKfiiiSC_SC_iiiii: ; @_ZN4vllm25paged_attention_v1_kernelIfhLi120ELi16ELi128ELNS_18Fp8KVCacheDataTypeE1ELb1EEEvPT_PKS2_PKT0_S8_ifPKiSA_iPKfiiiSC_SC_iiiii
; %bb.0:
	s_load_b64 s[26:27], s[0:1], 0x20
	s_bfe_u32 s3, ttmp6, 0x4000c
	s_bfe_u32 s4, ttmp6, 0x40010
	s_and_b32 s6, ttmp7, 0xffff
	s_add_co_i32 s3, s3, 1
	s_add_co_i32 s4, s4, 1
	s_and_b32 s2, ttmp6, 15
	s_bfe_u32 s5, ttmp6, 0x40004
	s_mul_i32 s3, ttmp9, s3
	s_mul_i32 s4, s6, s4
	s_getreg_b32 s30, hwreg(HW_REG_IB_STS2, 6, 4)
	s_add_co_i32 s2, s2, s3
	s_add_co_i32 s3, s5, s4
	s_cmp_eq_u32 s30, 0
	v_mov_b32_e32 v37, v0
	s_cselect_b32 s33, s6, s3
	s_cselect_b32 s2, ttmp9, s2
	s_clause 0x1
	s_load_b32 s31, s[0:1], 0x80
	s_load_b64 s[4:5], s[0:1], 0x30
	s_wait_kmcnt 0x0
	s_abs_i32 s3, s26
	s_delay_alu instid0(SALU_CYCLE_1) | instskip(SKIP_1) | instid1(SALU_CYCLE_2)
	s_cvt_f32_u32 s6, s3
	s_sub_co_i32 s7, 0, s3
	v_rcp_iflag_f32_e32 v0, s6
	v_nop
	s_delay_alu instid0(TRANS32_DEP_1) | instskip(SKIP_2) | instid1(SALU_CYCLE_3)
	v_readfirstlane_b32 s6, v0
	s_abs_i32 s8, s31
	s_mul_f32 s6, s6, 0x4f7ffffe
	s_cvt_u32_f32 s6, s6
	s_delay_alu instid0(SALU_CYCLE_3) | instskip(NEXT) | instid1(SALU_CYCLE_1)
	s_mul_i32 s7, s7, s6
	s_mul_hi_u32 s7, s6, s7
	s_delay_alu instid0(SALU_CYCLE_1) | instskip(SKIP_4) | instid1(SALU_CYCLE_1)
	s_add_co_i32 s6, s6, s7
	s_xor_b32 s7, s31, s26
	s_mul_hi_u32 s6, s8, s6
	s_ashr_i32 s7, s7, 31
	s_mul_i32 s9, s6, s3
	s_sub_co_i32 s8, s8, s9
	s_add_co_i32 s9, s6, 1
	s_sub_co_i32 s10, s8, s3
	s_cmp_ge_u32 s8, s3
	s_cselect_b32 s6, s9, s6
	s_cselect_b32 s8, s10, s8
	s_add_co_i32 s9, s6, 1
	s_cmp_ge_u32 s8, s3
	s_load_b64 s[10:11], s[0:1], 0x40
	s_cselect_b32 s3, s9, s6
	s_mov_b32 s9, 0
	s_xor_b32 s3, s3, s7
	s_abs_i32 s8, s2
	s_sub_co_i32 s12, s3, s7
	s_mov_b32 s7, s9
	s_abs_i32 s19, s12
	s_mov_b32 s37, s9
	s_cvt_f32_u32 s3, s19
	s_sub_co_i32 s6, 0, s19
	s_delay_alu instid0(SALU_CYCLE_2) | instskip(SKIP_1) | instid1(TRANS32_DEP_1)
	v_rcp_iflag_f32_e32 v0, s3
	v_nop
	v_readfirstlane_b32 s3, v0
	s_mul_f32 s3, s3, 0x4f7ffffe
	s_delay_alu instid0(SALU_CYCLE_3) | instskip(NEXT) | instid1(SALU_CYCLE_3)
	s_cvt_u32_f32 s3, s3
	s_mul_i32 s6, s6, s3
	s_delay_alu instid0(SALU_CYCLE_1) | instskip(NEXT) | instid1(SALU_CYCLE_1)
	s_mul_hi_u32 s6, s3, s6
	s_add_co_i32 s6, s3, s6
	s_wait_kmcnt 0x0
	s_cmp_eq_u64 s[10:11], 0
	s_cbranch_scc1 .LBB185_2
; %bb.1:
	s_ashr_i32 s3, s2, 31
	s_delay_alu instid0(SALU_CYCLE_1) | instskip(NEXT) | instid1(SALU_CYCLE_1)
	s_lshl_b64 s[14:15], s[2:3], 2
	s_add_nc_u64 s[10:11], s[10:11], s[14:15]
	s_load_b32 s37, s[10:11], 0x0
.LBB185_2:
	s_load_b32 s34, s[4:5], s33 offset:0x0 scale_offset
	s_load_b96 s[16:18], s[0:1], 0x48
	v_dual_lshlrev_b32 v24, 2, v37 :: v_dual_bitop2_b32 v0, 1, v37 bitop3:0x40
	s_wait_xcnt 0x0
	s_mul_u64 s[4:5], s[8:9], s[6:7]
	s_ashr_i32 s3, s2, 31
	s_ashr_i32 s10, s12, 31
	s_mul_i32 s6, s2, 0x78
	s_mov_b32 s4, exec_lo
	v_cmpx_gt_u32_e32 60, v37
	s_cbranch_execz .LBB185_4
; %bb.3:
	s_load_b64 s[12:13], s[0:1], 0x8
	s_wait_kmcnt 0x0
	s_mul_i32 s14, s16, s33
	s_ashr_i32 s7, s6, 31
	s_ashr_i32 s15, s14, 31
	v_and_b32_e32 v1, 0xff8, v24
	s_lshl_b64 s[14:15], s[14:15], 2
	s_delay_alu instid0(VALU_DEP_1) | instskip(SKIP_2) | instid1(SALU_CYCLE_1)
	v_mad_u32_u24 v1, 0xf0, v0, v1
	s_add_nc_u64 s[12:13], s[12:13], s[14:15]
	s_lshl_b64 s[14:15], s[6:7], 2
	s_add_nc_u64 s[12:13], s[12:13], s[14:15]
	global_load_b64 v[2:3], v37, s[12:13] scale_offset
	s_wait_loadcnt 0x0
	ds_store_b64 v1, v[2:3]
.LBB185_4:
	s_or_b32 exec_lo, exec_lo, s4
	s_load_b128 s[12:15], s[0:1], 0x68
	s_mul_i32 s4, s5, s19
	s_xor_b32 s3, s3, s10
	s_sub_co_i32 s4, s8, s4
	s_add_co_i32 s7, s5, 1
	s_sub_co_i32 s8, s4, s19
	s_cmp_ge_u32 s4, s19
	s_mov_b32 s9, -1
	s_cselect_b32 s5, s7, s5
	s_cselect_b32 s4, s8, s4
	s_add_co_i32 s8, s5, 1
	s_cmp_ge_u32 s4, s19
	s_load_b32 s7, s[0:1], 0x78
	s_cselect_b32 s4, s8, s5
	s_wait_kmcnt 0x0
	s_add_co_i32 s8, s34, -1
	s_xor_b32 s4, s4, s3
	s_wait_dscnt 0x0
	s_sub_co_i32 s3, s4, s3
	s_barrier_signal -1
	s_barrier_wait -1
	s_abs_i32 s16, s15
	s_delay_alu instid0(SALU_CYCLE_1) | instskip(NEXT) | instid1(SALU_CYCLE_3)
	s_cvt_f32_u32 s5, s16
                                        ; implicit-def: $sgpr35
	v_rcp_iflag_f32_e32 v1, s5
	v_nop
	s_delay_alu instid0(TRANS32_DEP_1) | instskip(SKIP_1) | instid1(SALU_CYCLE_3)
	v_readfirstlane_b32 s5, v1
	s_mul_f32 s4, s5, 0x4f7ffffe
	s_cvt_u32_f32 s10, s4
	s_sub_co_i32 s4, 0, s16
	s_delay_alu instid0(SALU_CYCLE_2)
	s_mul_i32 s5, s4, s10
	s_abs_i32 s4, s8
	s_mul_hi_u32 s11, s10, s5
	s_mov_b32 s5, 0
	s_add_co_i32 s20, s10, s11
	s_cmp_lt_i32 s7, 0
	s_mov_b32 s21, s5
	s_cbranch_scc0 .LBB185_6
; %bb.5:
	s_mul_i32 s9, s12, s26
	s_delay_alu instid0(SALU_CYCLE_1) | instskip(NEXT) | instid1(SALU_CYCLE_1)
	s_add_co_i32 s9, s3, s9
	s_mul_i32 s9, s9, s7
	s_delay_alu instid0(SALU_CYCLE_1)
	s_sub_co_i32 s35, 1, s9
	s_mov_b32 s9, s5
.LBB185_6:
	s_ashr_i32 s8, s8, 31
	s_ashr_i32 s15, s15, 31
	s_and_not1_b32 vcc_lo, exec_lo, s9
	s_mul_u64 s[28:29], s[4:5], s[20:21]
	s_cbranch_vccnz .LBB185_8
; %bb.7:
	s_mul_i32 s5, s31, s12
	s_delay_alu instid0(SALU_CYCLE_1) | instskip(NEXT) | instid1(SALU_CYCLE_1)
	s_add_co_i32 s2, s5, s2
	s_mul_i32 s2, s2, s7
	s_delay_alu instid0(SALU_CYCLE_1)
	s_add_co_i32 s35, s2, 1
.LBB185_8:
	s_clause 0x1
	s_load_b32 s2, s[0:1], 0x38
	s_load_b64 s[22:23], s[0:1], 0x28
	s_mul_i32 s7, s29, s16
	s_xor_b32 s5, s8, s15
	s_sub_co_i32 s4, s4, s7
	s_add_co_i32 s12, s29, 1
	s_clause 0x1
	s_load_b32 s7, s[0:1], 0x88
	s_load_b128 s[8:11], s[0:1], 0x58
	v_dual_mov_b32 v3, 0xff7fffff :: v_dual_lshrrev_b32 v38, 5, v37
	v_lshrrev_b32_e32 v25, 3, v37
	s_mul_i32 s18, s3, s18
	s_delay_alu instid0(VALU_DEP_2)
	v_lshlrev_b32_e32 v50, 4, v38
	s_wait_kmcnt 0x0
	s_mul_i32 s24, s2, s33
	s_sub_co_i32 s2, s4, s16
	s_ashr_i32 s25, s24, 31
	s_cmp_ge_u32 s4, s16
	s_cselect_b32 s12, s12, s29
	s_cselect_b32 s2, s2, s4
	s_add_co_i32 s4, s12, 1
	s_cmp_ge_u32 s2, s16
	s_cselect_b32 s2, s4, s12
	s_add_co_i32 s4, s34, 15
	s_delay_alu instid0(SALU_CYCLE_1) | instskip(NEXT) | instid1(SALU_CYCLE_1)
	s_ashr_i32 s12, s4, 31
	s_lshr_b32 s12, s12, 28
	s_delay_alu instid0(SALU_CYCLE_1) | instskip(NEXT) | instid1(SALU_CYCLE_1)
	s_add_co_i32 s4, s4, s12
	s_ashr_i32 s26, s4, 4
	s_xor_b32 s4, s2, s5
	v_cmp_gt_i32_e64 s2, s26, v38
	s_sub_co_i32 s36, s4, s5
	s_and_saveexec_b32 s38, s2
	s_cbranch_execz .LBB185_500
; %bb.9:
	s_load_b64 s[4:5], s[0:1], 0x10
	s_sub_co_i32 s39, s36, s13
	s_ashr_i32 s19, s18, 31
	s_cmp_neq_f32 s37, 0
	v_bfe_u32 v2, v37, 1, 4
	v_dual_mov_b32 v55, 0 :: v_dual_lshlrev_b32 v34, 4, v38
	s_cselect_b32 vcc_lo, -1, 0
	s_abs_i32 s40, s14
	s_delay_alu instid0(VALU_DEP_2)
	v_lshlrev_b32_e32 v54, 4, v2
	s_cvt_f32_u32 s12, s40
	s_clause 0x2
	scratch_store_b32 off, v24, off offset:244
	scratch_store_b32 off, v37, off offset:236
	scratch_store_b32 off, v2, off offset:228
	v_rcp_iflag_f32_e32 v1, s12
	v_subrev_nc_u32_e32 v4, s34, v2
	s_lshl_b64 s[42:43], s[24:25], 2
	v_cmp_eq_u32_e64 s3, 0, v0
	v_mul_u32_u24_e32 v36, 0xf0, v0
	s_mov_b32 s29, 0
	s_wait_kmcnt 0x0
	s_add_nc_u64 s[4:5], s[4:5], s[18:19]
	v_readfirstlane_b32 s12, v1
	v_lshlrev_b32_e32 v1, 2, v2
	s_wait_xcnt 0x0
	v_add_nc_u64_e32 v[2:3], s[4:5], v[54:55]
	v_dual_mov_b32 v37, v38 :: v_dual_lshlrev_b32 v54, 1, v0
	s_mul_f32 s12, s12, 0x4f7ffffe
	v_lshl_or_b32 v0, v38, 6, v1
	s_add_nc_u64 s[4:5], s[22:23], s[42:43]
	s_sub_co_i32 s19, 0, s40
	s_delay_alu instid0(VALU_DEP_3)
	v_add_nc_u64_e32 v[2:3], v[2:3], v[54:55]
	v_and_b32_e32 v54, 0x7c, v25
	s_cvt_u32_f32 s12, s12
	v_add_nc_u32_e32 v1, 1, v4
	v_add_nc_u32_e32 v51, 0x200, v0
	v_mov_b32_e32 v0, 0xff7fffff
	v_add_nc_u64_e32 v[58:59], s[4:5], v[54:55]
	s_mul_i32 s19, s19, s12
	s_mov_b32 s41, s29
	s_mul_hi_u32 s28, s12, s19
	s_mov_b32 s19, s17
	s_add_co_i32 s28, s12, s28
	s_clause 0x4
	scratch_store_b64 off, v[2:3], off offset:220
	scratch_store_b32 off, v25, off offset:248
	scratch_store_b32 off, v1, off offset:232
	;; [unrolled: 1-line block ×4, first 2 shown]
	s_branch .LBB185_12
.LBB185_10:                             ;   in Loop: Header=BB185_12 Depth=1
	s_wait_xcnt 0x0
	s_or_b32 exec_lo, exec_lo, s12
.LBB185_11:                             ;   in Loop: Header=BB185_12 Depth=1
	s_delay_alu instid0(SALU_CYCLE_1) | instskip(SKIP_3) | instid1(VALU_DEP_3)
	s_or_b32 exec_lo, exec_lo, s5
	v_dual_add_nc_u32 v37, 4, v37 :: v_dual_add_nc_u32 v34, 64, v34
	v_add_nc_u64_e32 v[58:59], 16, v[58:59]
	v_add_nc_u32_e32 v51, 0x100, v51
	v_cmp_le_i32_e64 s4, s26, v37
	s_or_b32 s41, s4, s41
	s_delay_alu instid0(SALU_CYCLE_1)
	s_and_not1_b32 exec_lo, exec_lo, s41
	s_cbranch_execz .LBB185_499
.LBB185_12:                             ; =>This Inner Loop Header: Depth=1
	v_mov_b32_e32 v35, v55
	s_wait_xcnt 0x1
	s_wait_dscnt 0x0
	s_delay_alu instid0(VALU_DEP_1) | instskip(NEXT) | instid1(VALU_DEP_1)
	v_mul_u64_e32 v[0:1], s[20:21], v[34:35]
	v_mul_lo_u32 v0, v1, s16
	s_delay_alu instid0(VALU_DEP_1) | instskip(NEXT) | instid1(VALU_DEP_1)
	v_sub_nc_u32_e32 v0, v34, v0
	v_subrev_nc_u32_e32 v3, s16, v0
	v_cmp_le_u32_e64 s4, s16, v0
	s_delay_alu instid0(VALU_DEP_1) | instskip(NEXT) | instid1(VALU_DEP_1)
	v_dual_add_nc_u32 v2, 1, v1 :: v_dual_cndmask_b32 v0, v0, v3, s4
	v_cndmask_b32_e64 v1, v1, v2, s4
	s_delay_alu instid0(VALU_DEP_2) | instskip(NEXT) | instid1(VALU_DEP_2)
	v_cmp_le_u32_e64 s4, s16, v0
	v_add_nc_u32_e32 v2, 1, v1
	s_delay_alu instid0(VALU_DEP_1) | instskip(NEXT) | instid1(VALU_DEP_1)
	v_cndmask_b32_e64 v0, v1, v2, s4
	v_xor_b32_e32 v0, s15, v0
	s_delay_alu instid0(VALU_DEP_1) | instskip(NEXT) | instid1(VALU_DEP_1)
	v_subrev_nc_u32_e32 v2, s15, v0
	v_add_nc_u32_e32 v3, s35, v2
	v_cmp_ge_i32_e64 s5, s39, v2
	s_delay_alu instid0(VALU_DEP_2) | instskip(NEXT) | instid1(VALU_DEP_1)
	v_sub_nc_u32_e32 v0, 0, v3
	v_dual_ashrrev_i32 v3, 31, v3 :: v_dual_max_i32 v54, v3, v0
	s_delay_alu instid0(VALU_DEP_1) | instskip(NEXT) | instid1(VALU_DEP_1)
	v_mul_u64_e32 v[0:1], s[28:29], v[54:55]
	v_mul_lo_u32 v0, v1, s40
	s_delay_alu instid0(VALU_DEP_1) | instskip(NEXT) | instid1(VALU_DEP_1)
	v_sub_nc_u32_e32 v0, v54, v0
	v_subrev_nc_u32_e32 v1, s40, v0
	v_cmp_le_u32_e64 s4, s40, v0
	s_delay_alu instid0(VALU_DEP_1) | instskip(NEXT) | instid1(VALU_DEP_1)
	v_cndmask_b32_e64 v0, v0, v1, s4
	v_subrev_nc_u32_e32 v1, s40, v0
	v_cmp_le_u32_e64 s4, s40, v0
	s_delay_alu instid0(VALU_DEP_1) | instskip(NEXT) | instid1(VALU_DEP_1)
	v_cndmask_b32_e64 v0, v0, v1, s4
	v_xor_b32_e32 v0, v0, v3
	s_delay_alu instid0(VALU_DEP_1) | instskip(NEXT) | instid1(VALU_DEP_1)
	v_sub_nc_u32_e32 v0, v0, v3
	v_cmp_ne_u32_e64 s4, 0, v0
	s_and_b32 s4, s4, s5
	s_wait_xcnt 0x0
	s_and_saveexec_b32 s5, s4
	s_delay_alu instid0(SALU_CYCLE_1)
	s_xor_b32 s4, exec_lo, s5
	s_cbranch_execz .LBB185_16
; %bb.13:                               ;   in Loop: Header=BB185_12 Depth=1
	s_and_saveexec_b32 s5, s3
; %bb.14:                               ;   in Loop: Header=BB185_12 Depth=1
	v_mov_b32_e32 v0, 0xff7fffff
	ds_store_b32 v51, v0
; %bb.15:                               ;   in Loop: Header=BB185_12 Depth=1
	s_or_b32 exec_lo, exec_lo, s5
.LBB185_16:                             ;   in Loop: Header=BB185_12 Depth=1
	s_and_not1_saveexec_b32 s5, s4
	s_cbranch_execz .LBB185_11
; %bb.17:                               ;   in Loop: Header=BB185_12 Depth=1
	global_load_b32 v0, v[58:59], off
	scratch_load_b64 v[2:3], off, off offset:220 ; 8-byte Folded Reload
	s_mov_b32 s42, exec_lo
	s_wait_loadcnt 0x0
	v_mad_nc_i64_i32 v[70:71], v0, s19, v[2:3]
	global_load_u16 v0, v[70:71], off
	ds_load_b128 v[46:49], v36
	ds_load_b128 v[42:45], v36 offset:16
	ds_load_b128 v[38:41], v36 offset:32
	;; [unrolled: 1-line block ×3, first 2 shown]
	s_load_b32 s12, s[8:9], 0x0
	s_wait_dscnt 0x0
	scratch_store_b128 off, v[2:5], off offset:200 ; 16-byte Folded Spill
	s_wait_xcnt 0x0
	ds_load_b128 v[2:5], v36 offset:64
	s_wait_dscnt 0x0
	scratch_store_b128 off, v[2:5], off offset:184 ; 16-byte Folded Spill
	s_wait_xcnt 0x0
	ds_load_b128 v[2:5], v36 offset:80
	;; [unrolled: 4-line block ×8, first 2 shown]
	s_wait_dscnt 0x0
	scratch_store_b128 off, v[2:5], off offset:72 ; 16-byte Folded Spill
	s_wait_xcnt 0x0
	ds_load_b64 v[2:3], v36 offset:192
	s_wait_dscnt 0x0
	scratch_store_b64 off, v[2:3], off offset:64 ; 8-byte Folded Spill
	s_wait_xcnt 0x0
	v_mov_b64_e32 v[2:3], 0
	scratch_store_b64 off, v[2:3], off      ; 8-byte Folded Spill
	s_wait_xcnt 0x0
	v_mov_b64_e32 v[2:3], 0
	scratch_store_b64 off, v[2:3], off offset:8 ; 8-byte Folded Spill
	s_wait_loadcnt 0x0
	v_and_b32_e32 v1, 0xff, v0
	v_and_b32_e32 v0, 0xffff, v0
	s_wait_xcnt 0x0
	s_delay_alu instid0(VALU_DEP_2)
	v_cmpx_ne_u16_e32 0, v1
	s_cbranch_execz .LBB185_25
; %bb.18:                               ;   in Loop: Header=BB185_12 Depth=1
	v_mov_b64_e32 v[2:3], 0x80000000
	v_and_b32_e32 v1, 0xff, v0
	s_mov_b32 s43, exec_lo
	scratch_store_b64 off, v[2:3], off offset:8 ; 8-byte Folded Spill
	s_wait_xcnt 0x0
	v_cmpx_ne_u16_e32 0x80, v1
	s_cbranch_execz .LBB185_24
; %bb.19:                               ;   in Loop: Header=BB185_12 Depth=1
	v_mov_b64_e32 v[4:5], 0x7f800001
	v_and_b32_e32 v2, 0x7f, v0
	s_mov_b32 s44, exec_lo
	scratch_store_b64 off, v[4:5], off offset:8 ; 8-byte Folded Spill
	s_wait_xcnt 0x0
	v_cmpx_ne_u32_e32 0x7f, v2
	s_cbranch_execz .LBB185_23
; %bb.20:                               ;   in Loop: Header=BB185_12 Depth=1
	v_dual_lshrrev_b32 v1, 3, v2 :: v_dual_bitop2_b32 v54, 7, v0 bitop3:0x40
	s_mov_b32 s45, exec_lo
	v_cmpx_gt_u32_e32 8, v2
; %bb.21:                               ;   in Loop: Header=BB185_12 Depth=1
	s_delay_alu instid0(VALU_DEP_2) | instskip(NEXT) | instid1(VALU_DEP_1)
	v_clz_i32_u32_e32 v1, v54
	v_min_u32_e32 v1, 32, v1
	s_delay_alu instid0(VALU_DEP_1) | instskip(NEXT) | instid1(VALU_DEP_1)
	v_subrev_nc_u32_e32 v2, 28, v1
	v_lshlrev_b64_e32 v[2:3], v2, v[54:55]
	s_delay_alu instid0(VALU_DEP_1)
	v_dual_sub_nc_u32 v1, 29, v1 :: v_dual_bitop2_b32 v54, 7, v2 bitop3:0x40
; %bb.22:                               ;   in Loop: Header=BB185_12 Depth=1
	s_or_b32 exec_lo, exec_lo, s45
	s_delay_alu instid0(VALU_DEP_1) | instskip(NEXT) | instid1(VALU_DEP_2)
	v_dual_lshlrev_b32 v2, 24, v0 :: v_dual_lshlrev_b32 v3, 20, v54
	v_lshl_add_u32 v1, v1, 23, 0x3c000000
	s_delay_alu instid0(VALU_DEP_2) | instskip(NEXT) | instid1(VALU_DEP_1)
	v_and_b32_e32 v2, 0x80000000, v2
	v_or3_b32 v54, v3, v2, v1
	scratch_store_b64 off, v[54:55], off offset:8 ; 8-byte Folded Spill
.LBB185_23:                             ;   in Loop: Header=BB185_12 Depth=1
	s_wait_xcnt 0x0
	s_or_b32 exec_lo, exec_lo, s44
.LBB185_24:                             ;   in Loop: Header=BB185_12 Depth=1
	s_delay_alu instid0(SALU_CYCLE_1)
	s_or_b32 exec_lo, exec_lo, s43
.LBB185_25:                             ;   in Loop: Header=BB185_12 Depth=1
	s_delay_alu instid0(SALU_CYCLE_1) | instskip(SKIP_2) | instid1(VALU_DEP_1)
	s_or_b32 exec_lo, exec_lo, s42
	v_lshrrev_b16 v1, 8, v0
	s_mov_b32 s42, exec_lo
	v_cmpx_ne_u16_e32 0, v1
	s_cbranch_execz .LBB185_33
; %bb.26:                               ;   in Loop: Header=BB185_12 Depth=1
	v_mov_b64_e32 v[2:3], 0x8000000000000000
	s_mov_b32 s43, exec_lo
	scratch_store_b64 off, v[2:3], off      ; 8-byte Folded Spill
	s_wait_xcnt 0x0
	v_cmpx_ne_u16_e32 0x80, v1
	s_cbranch_execz .LBB185_32
; %bb.27:                               ;   in Loop: Header=BB185_12 Depth=1
	v_and_b32_e32 v1, 0xffff, v1
	v_mov_b64_e32 v[4:5], 0x7f80000100000000
	s_mov_b32 s44, exec_lo
	s_delay_alu instid0(VALU_DEP_2)
	v_and_b32_e32 v2, 0x7f, v1
	scratch_store_b64 off, v[4:5], off      ; 8-byte Folded Spill
	s_wait_xcnt 0x0
	v_cmpx_ne_u32_e32 0x7f, v2
	s_cbranch_execz .LBB185_31
; %bb.28:                               ;   in Loop: Header=BB185_12 Depth=1
	v_dual_lshrrev_b32 v1, 3, v2 :: v_dual_bitop2_b32 v54, 7, v1 bitop3:0x40
	s_mov_b32 s45, exec_lo
	v_cmpx_gt_u32_e32 8, v2
; %bb.29:                               ;   in Loop: Header=BB185_12 Depth=1
	s_delay_alu instid0(VALU_DEP_2) | instskip(NEXT) | instid1(VALU_DEP_1)
	v_clz_i32_u32_e32 v1, v54
	v_min_u32_e32 v1, 32, v1
	s_delay_alu instid0(VALU_DEP_1) | instskip(NEXT) | instid1(VALU_DEP_1)
	v_subrev_nc_u32_e32 v2, 28, v1
	v_lshlrev_b64_e32 v[2:3], v2, v[54:55]
	s_delay_alu instid0(VALU_DEP_1)
	v_dual_sub_nc_u32 v1, 29, v1 :: v_dual_bitop2_b32 v54, 7, v2 bitop3:0x40
; %bb.30:                               ;   in Loop: Header=BB185_12 Depth=1
	s_or_b32 exec_lo, exec_lo, s45
	s_delay_alu instid0(VALU_DEP_1) | instskip(NEXT) | instid1(VALU_DEP_2)
	v_dual_lshlrev_b32 v0, 16, v0 :: v_dual_lshlrev_b32 v2, 20, v54
	v_lshl_add_u32 v1, v1, 23, 0x3c000000
	s_delay_alu instid0(VALU_DEP_2) | instskip(NEXT) | instid1(VALU_DEP_1)
	v_and_b32_e32 v0, 0x80000000, v0
	v_or3_b32 v1, v2, v0, v1
	v_mov_b32_e32 v0, v55
	scratch_store_b64 off, v[0:1], off      ; 8-byte Folded Spill
.LBB185_31:                             ;   in Loop: Header=BB185_12 Depth=1
	s_wait_xcnt 0x0
	s_or_b32 exec_lo, exec_lo, s44
.LBB185_32:                             ;   in Loop: Header=BB185_12 Depth=1
	s_delay_alu instid0(SALU_CYCLE_1)
	s_or_b32 exec_lo, exec_lo, s43
.LBB185_33:                             ;   in Loop: Header=BB185_12 Depth=1
	s_delay_alu instid0(SALU_CYCLE_1)
	s_or_b32 exec_lo, exec_lo, s42
	global_load_u16 v0, v[70:71], off offset:4
	v_mov_b64_e32 v[2:3], 0
	s_mov_b32 s42, exec_lo
	scratch_store_b64 off, v[2:3], off offset:16 ; 8-byte Folded Spill
	s_wait_xcnt 0x0
	v_mov_b64_e32 v[2:3], 0
	scratch_store_b64 off, v[2:3], off offset:24 ; 8-byte Folded Spill
	s_wait_loadcnt 0x0
	v_and_b32_e32 v1, 0xff, v0
	v_and_b32_e32 v0, 0xffff, v0
	s_wait_xcnt 0x0
	s_delay_alu instid0(VALU_DEP_2)
	v_cmpx_ne_u16_e32 0, v1
	s_cbranch_execz .LBB185_41
; %bb.34:                               ;   in Loop: Header=BB185_12 Depth=1
	v_mov_b64_e32 v[2:3], 0x80000000
	v_and_b32_e32 v1, 0xff, v0
	s_mov_b32 s43, exec_lo
	scratch_store_b64 off, v[2:3], off offset:24 ; 8-byte Folded Spill
	s_wait_xcnt 0x0
	v_cmpx_ne_u16_e32 0x80, v1
	s_cbranch_execz .LBB185_40
; %bb.35:                               ;   in Loop: Header=BB185_12 Depth=1
	v_mov_b64_e32 v[4:5], 0x7f800001
	v_and_b32_e32 v2, 0x7f, v0
	s_mov_b32 s44, exec_lo
	scratch_store_b64 off, v[4:5], off offset:24 ; 8-byte Folded Spill
	s_wait_xcnt 0x0
	v_cmpx_ne_u32_e32 0x7f, v2
	s_cbranch_execz .LBB185_39
; %bb.36:                               ;   in Loop: Header=BB185_12 Depth=1
	v_dual_lshrrev_b32 v1, 3, v2 :: v_dual_bitop2_b32 v54, 7, v0 bitop3:0x40
	s_mov_b32 s45, exec_lo
	v_cmpx_gt_u32_e32 8, v2
; %bb.37:                               ;   in Loop: Header=BB185_12 Depth=1
	s_delay_alu instid0(VALU_DEP_2) | instskip(NEXT) | instid1(VALU_DEP_1)
	v_clz_i32_u32_e32 v1, v54
	v_min_u32_e32 v1, 32, v1
	s_delay_alu instid0(VALU_DEP_1) | instskip(NEXT) | instid1(VALU_DEP_1)
	v_subrev_nc_u32_e32 v2, 28, v1
	v_lshlrev_b64_e32 v[2:3], v2, v[54:55]
	s_delay_alu instid0(VALU_DEP_1)
	v_dual_sub_nc_u32 v1, 29, v1 :: v_dual_bitop2_b32 v54, 7, v2 bitop3:0x40
; %bb.38:                               ;   in Loop: Header=BB185_12 Depth=1
	s_or_b32 exec_lo, exec_lo, s45
	s_delay_alu instid0(VALU_DEP_1) | instskip(NEXT) | instid1(VALU_DEP_2)
	v_dual_lshlrev_b32 v2, 24, v0 :: v_dual_lshlrev_b32 v3, 20, v54
	v_lshl_add_u32 v1, v1, 23, 0x3c000000
	s_delay_alu instid0(VALU_DEP_2) | instskip(NEXT) | instid1(VALU_DEP_1)
	v_and_b32_e32 v2, 0x80000000, v2
	v_or3_b32 v54, v3, v2, v1
	scratch_store_b64 off, v[54:55], off offset:24 ; 8-byte Folded Spill
.LBB185_39:                             ;   in Loop: Header=BB185_12 Depth=1
	s_wait_xcnt 0x0
	s_or_b32 exec_lo, exec_lo, s44
.LBB185_40:                             ;   in Loop: Header=BB185_12 Depth=1
	s_delay_alu instid0(SALU_CYCLE_1)
	s_or_b32 exec_lo, exec_lo, s43
.LBB185_41:                             ;   in Loop: Header=BB185_12 Depth=1
	s_delay_alu instid0(SALU_CYCLE_1) | instskip(SKIP_2) | instid1(VALU_DEP_1)
	s_or_b32 exec_lo, exec_lo, s42
	v_lshrrev_b16 v1, 8, v0
	s_mov_b32 s42, exec_lo
	v_cmpx_ne_u16_e32 0, v1
	s_cbranch_execz .LBB185_49
; %bb.42:                               ;   in Loop: Header=BB185_12 Depth=1
	v_mov_b64_e32 v[2:3], 0x8000000000000000
	s_mov_b32 s43, exec_lo
	scratch_store_b64 off, v[2:3], off offset:16 ; 8-byte Folded Spill
	s_wait_xcnt 0x0
	v_cmpx_ne_u16_e32 0x80, v1
	s_cbranch_execz .LBB185_48
; %bb.43:                               ;   in Loop: Header=BB185_12 Depth=1
	v_and_b32_e32 v1, 0xffff, v1
	v_mov_b64_e32 v[4:5], 0x7f80000100000000
	s_mov_b32 s44, exec_lo
	s_delay_alu instid0(VALU_DEP_2)
	v_and_b32_e32 v2, 0x7f, v1
	scratch_store_b64 off, v[4:5], off offset:16 ; 8-byte Folded Spill
	s_wait_xcnt 0x0
	v_cmpx_ne_u32_e32 0x7f, v2
	s_cbranch_execz .LBB185_47
; %bb.44:                               ;   in Loop: Header=BB185_12 Depth=1
	v_dual_lshrrev_b32 v1, 3, v2 :: v_dual_bitop2_b32 v54, 7, v1 bitop3:0x40
	s_mov_b32 s45, exec_lo
	v_cmpx_gt_u32_e32 8, v2
; %bb.45:                               ;   in Loop: Header=BB185_12 Depth=1
	s_delay_alu instid0(VALU_DEP_2) | instskip(NEXT) | instid1(VALU_DEP_1)
	v_clz_i32_u32_e32 v1, v54
	v_min_u32_e32 v1, 32, v1
	s_delay_alu instid0(VALU_DEP_1) | instskip(NEXT) | instid1(VALU_DEP_1)
	v_subrev_nc_u32_e32 v2, 28, v1
	v_lshlrev_b64_e32 v[2:3], v2, v[54:55]
	s_delay_alu instid0(VALU_DEP_1)
	v_dual_sub_nc_u32 v1, 29, v1 :: v_dual_bitop2_b32 v54, 7, v2 bitop3:0x40
; %bb.46:                               ;   in Loop: Header=BB185_12 Depth=1
	s_or_b32 exec_lo, exec_lo, s45
	s_delay_alu instid0(VALU_DEP_1) | instskip(NEXT) | instid1(VALU_DEP_2)
	v_dual_lshlrev_b32 v0, 16, v0 :: v_dual_lshlrev_b32 v2, 20, v54
	v_lshl_add_u32 v1, v1, 23, 0x3c000000
	s_delay_alu instid0(VALU_DEP_2) | instskip(NEXT) | instid1(VALU_DEP_1)
	v_and_b32_e32 v0, 0x80000000, v0
	v_or3_b32 v1, v2, v0, v1
	v_mov_b32_e32 v0, v55
	scratch_store_b64 off, v[0:1], off offset:16 ; 8-byte Folded Spill
.LBB185_47:                             ;   in Loop: Header=BB185_12 Depth=1
	s_wait_xcnt 0x0
	s_or_b32 exec_lo, exec_lo, s44
.LBB185_48:                             ;   in Loop: Header=BB185_12 Depth=1
	s_delay_alu instid0(SALU_CYCLE_1)
	s_or_b32 exec_lo, exec_lo, s43
.LBB185_49:                             ;   in Loop: Header=BB185_12 Depth=1
	s_delay_alu instid0(SALU_CYCLE_1)
	s_or_b32 exec_lo, exec_lo, s42
	global_load_u16 v0, v[70:71], off offset:8
	v_mov_b64_e32 v[2:3], 0
	s_mov_b32 s42, exec_lo
	scratch_store_b64 off, v[2:3], off offset:32 ; 8-byte Folded Spill
	s_wait_xcnt 0x0
	v_mov_b64_e32 v[2:3], 0
	scratch_store_b64 off, v[2:3], off offset:40 ; 8-byte Folded Spill
	s_wait_loadcnt 0x0
	v_and_b32_e32 v1, 0xff, v0
	v_and_b32_e32 v0, 0xffff, v0
	s_wait_xcnt 0x0
	s_delay_alu instid0(VALU_DEP_2)
	v_cmpx_ne_u16_e32 0, v1
	s_cbranch_execz .LBB185_57
; %bb.50:                               ;   in Loop: Header=BB185_12 Depth=1
	v_mov_b64_e32 v[2:3], 0x80000000
	v_and_b32_e32 v1, 0xff, v0
	s_mov_b32 s43, exec_lo
	scratch_store_b64 off, v[2:3], off offset:40 ; 8-byte Folded Spill
	s_wait_xcnt 0x0
	v_cmpx_ne_u16_e32 0x80, v1
	s_cbranch_execz .LBB185_56
; %bb.51:                               ;   in Loop: Header=BB185_12 Depth=1
	v_mov_b64_e32 v[4:5], 0x7f800001
	v_and_b32_e32 v2, 0x7f, v0
	s_mov_b32 s44, exec_lo
	scratch_store_b64 off, v[4:5], off offset:40 ; 8-byte Folded Spill
	s_wait_xcnt 0x0
	v_cmpx_ne_u32_e32 0x7f, v2
	s_cbranch_execz .LBB185_55
; %bb.52:                               ;   in Loop: Header=BB185_12 Depth=1
	v_dual_lshrrev_b32 v1, 3, v2 :: v_dual_bitop2_b32 v54, 7, v0 bitop3:0x40
	s_mov_b32 s45, exec_lo
	v_cmpx_gt_u32_e32 8, v2
; %bb.53:                               ;   in Loop: Header=BB185_12 Depth=1
	s_delay_alu instid0(VALU_DEP_2) | instskip(NEXT) | instid1(VALU_DEP_1)
	v_clz_i32_u32_e32 v1, v54
	v_min_u32_e32 v1, 32, v1
	s_delay_alu instid0(VALU_DEP_1) | instskip(NEXT) | instid1(VALU_DEP_1)
	v_subrev_nc_u32_e32 v2, 28, v1
	v_lshlrev_b64_e32 v[2:3], v2, v[54:55]
	s_delay_alu instid0(VALU_DEP_1)
	v_dual_sub_nc_u32 v1, 29, v1 :: v_dual_bitop2_b32 v54, 7, v2 bitop3:0x40
; %bb.54:                               ;   in Loop: Header=BB185_12 Depth=1
	s_or_b32 exec_lo, exec_lo, s45
	s_delay_alu instid0(VALU_DEP_1) | instskip(NEXT) | instid1(VALU_DEP_2)
	v_dual_lshlrev_b32 v2, 24, v0 :: v_dual_lshlrev_b32 v3, 20, v54
	v_lshl_add_u32 v1, v1, 23, 0x3c000000
	s_delay_alu instid0(VALU_DEP_2) | instskip(NEXT) | instid1(VALU_DEP_1)
	v_and_b32_e32 v2, 0x80000000, v2
	v_or3_b32 v54, v3, v2, v1
	scratch_store_b64 off, v[54:55], off offset:40 ; 8-byte Folded Spill
.LBB185_55:                             ;   in Loop: Header=BB185_12 Depth=1
	s_wait_xcnt 0x0
	s_or_b32 exec_lo, exec_lo, s44
.LBB185_56:                             ;   in Loop: Header=BB185_12 Depth=1
	s_delay_alu instid0(SALU_CYCLE_1)
	s_or_b32 exec_lo, exec_lo, s43
.LBB185_57:                             ;   in Loop: Header=BB185_12 Depth=1
	s_delay_alu instid0(SALU_CYCLE_1) | instskip(SKIP_2) | instid1(VALU_DEP_1)
	s_or_b32 exec_lo, exec_lo, s42
	v_lshrrev_b16 v1, 8, v0
	s_mov_b32 s42, exec_lo
	v_cmpx_ne_u16_e32 0, v1
	s_cbranch_execz .LBB185_65
; %bb.58:                               ;   in Loop: Header=BB185_12 Depth=1
	v_mov_b64_e32 v[2:3], 0x8000000000000000
	s_mov_b32 s43, exec_lo
	scratch_store_b64 off, v[2:3], off offset:32 ; 8-byte Folded Spill
	s_wait_xcnt 0x0
	v_cmpx_ne_u16_e32 0x80, v1
	s_cbranch_execz .LBB185_64
; %bb.59:                               ;   in Loop: Header=BB185_12 Depth=1
	v_and_b32_e32 v1, 0xffff, v1
	v_mov_b64_e32 v[4:5], 0x7f80000100000000
	s_mov_b32 s44, exec_lo
	s_delay_alu instid0(VALU_DEP_2)
	v_and_b32_e32 v2, 0x7f, v1
	scratch_store_b64 off, v[4:5], off offset:32 ; 8-byte Folded Spill
	s_wait_xcnt 0x0
	v_cmpx_ne_u32_e32 0x7f, v2
	s_cbranch_execz .LBB185_63
; %bb.60:                               ;   in Loop: Header=BB185_12 Depth=1
	v_dual_lshrrev_b32 v1, 3, v2 :: v_dual_bitop2_b32 v54, 7, v1 bitop3:0x40
	s_mov_b32 s45, exec_lo
	v_cmpx_gt_u32_e32 8, v2
; %bb.61:                               ;   in Loop: Header=BB185_12 Depth=1
	s_delay_alu instid0(VALU_DEP_2) | instskip(NEXT) | instid1(VALU_DEP_1)
	v_clz_i32_u32_e32 v1, v54
	v_min_u32_e32 v1, 32, v1
	s_delay_alu instid0(VALU_DEP_1) | instskip(NEXT) | instid1(VALU_DEP_1)
	v_subrev_nc_u32_e32 v2, 28, v1
	v_lshlrev_b64_e32 v[2:3], v2, v[54:55]
	s_delay_alu instid0(VALU_DEP_1)
	v_dual_sub_nc_u32 v1, 29, v1 :: v_dual_bitop2_b32 v54, 7, v2 bitop3:0x40
; %bb.62:                               ;   in Loop: Header=BB185_12 Depth=1
	s_or_b32 exec_lo, exec_lo, s45
	s_delay_alu instid0(VALU_DEP_1) | instskip(NEXT) | instid1(VALU_DEP_2)
	v_dual_lshlrev_b32 v0, 16, v0 :: v_dual_lshlrev_b32 v2, 20, v54
	v_lshl_add_u32 v1, v1, 23, 0x3c000000
	s_delay_alu instid0(VALU_DEP_2) | instskip(NEXT) | instid1(VALU_DEP_1)
	v_and_b32_e32 v0, 0x80000000, v0
	v_or3_b32 v1, v2, v0, v1
	v_mov_b32_e32 v0, v55
	scratch_store_b64 off, v[0:1], off offset:32 ; 8-byte Folded Spill
.LBB185_63:                             ;   in Loop: Header=BB185_12 Depth=1
	s_wait_xcnt 0x0
	s_or_b32 exec_lo, exec_lo, s44
.LBB185_64:                             ;   in Loop: Header=BB185_12 Depth=1
	s_delay_alu instid0(SALU_CYCLE_1)
	s_or_b32 exec_lo, exec_lo, s43
.LBB185_65:                             ;   in Loop: Header=BB185_12 Depth=1
	s_delay_alu instid0(SALU_CYCLE_1)
	s_or_b32 exec_lo, exec_lo, s42
	global_load_u16 v0, v[70:71], off offset:12
	v_mov_b64_e32 v[76:77], 0
	v_mov_b64_e32 v[2:3], 0
	s_mov_b32 s42, exec_lo
	scratch_store_b64 off, v[2:3], off offset:48 ; 8-byte Folded Spill
	s_wait_loadcnt 0x0
	v_and_b32_e32 v1, 0xff, v0
	v_and_b32_e32 v0, 0xffff, v0
	s_wait_xcnt 0x0
	s_delay_alu instid0(VALU_DEP_2)
	v_cmpx_ne_u16_e32 0, v1
	s_cbranch_execz .LBB185_73
; %bb.66:                               ;   in Loop: Header=BB185_12 Depth=1
	v_mov_b64_e32 v[2:3], 0x80000000
	v_and_b32_e32 v1, 0xff, v0
	s_mov_b32 s43, exec_lo
	scratch_store_b64 off, v[2:3], off offset:48 ; 8-byte Folded Spill
	s_wait_xcnt 0x0
	v_cmpx_ne_u16_e32 0x80, v1
	s_cbranch_execz .LBB185_72
; %bb.67:                               ;   in Loop: Header=BB185_12 Depth=1
	v_mov_b64_e32 v[4:5], 0x7f800001
	v_and_b32_e32 v2, 0x7f, v0
	s_mov_b32 s44, exec_lo
	scratch_store_b64 off, v[4:5], off offset:48 ; 8-byte Folded Spill
	s_wait_xcnt 0x0
	v_cmpx_ne_u32_e32 0x7f, v2
	s_cbranch_execz .LBB185_71
; %bb.68:                               ;   in Loop: Header=BB185_12 Depth=1
	v_dual_lshrrev_b32 v1, 3, v2 :: v_dual_bitop2_b32 v54, 7, v0 bitop3:0x40
	s_mov_b32 s45, exec_lo
	v_cmpx_gt_u32_e32 8, v2
; %bb.69:                               ;   in Loop: Header=BB185_12 Depth=1
	s_delay_alu instid0(VALU_DEP_2) | instskip(NEXT) | instid1(VALU_DEP_1)
	v_clz_i32_u32_e32 v1, v54
	v_min_u32_e32 v1, 32, v1
	s_delay_alu instid0(VALU_DEP_1) | instskip(NEXT) | instid1(VALU_DEP_1)
	v_subrev_nc_u32_e32 v2, 28, v1
	v_lshlrev_b64_e32 v[2:3], v2, v[54:55]
	s_delay_alu instid0(VALU_DEP_1)
	v_dual_sub_nc_u32 v1, 29, v1 :: v_dual_bitop2_b32 v54, 7, v2 bitop3:0x40
; %bb.70:                               ;   in Loop: Header=BB185_12 Depth=1
	s_or_b32 exec_lo, exec_lo, s45
	s_delay_alu instid0(VALU_DEP_1) | instskip(NEXT) | instid1(VALU_DEP_2)
	v_dual_lshlrev_b32 v2, 24, v0 :: v_dual_lshlrev_b32 v3, 20, v54
	v_lshl_add_u32 v1, v1, 23, 0x3c000000
	s_delay_alu instid0(VALU_DEP_2) | instskip(NEXT) | instid1(VALU_DEP_1)
	v_and_b32_e32 v2, 0x80000000, v2
	v_or3_b32 v54, v3, v2, v1
	scratch_store_b64 off, v[54:55], off offset:48 ; 8-byte Folded Spill
.LBB185_71:                             ;   in Loop: Header=BB185_12 Depth=1
	s_wait_xcnt 0x0
	s_or_b32 exec_lo, exec_lo, s44
.LBB185_72:                             ;   in Loop: Header=BB185_12 Depth=1
	s_delay_alu instid0(SALU_CYCLE_1)
	s_or_b32 exec_lo, exec_lo, s43
.LBB185_73:                             ;   in Loop: Header=BB185_12 Depth=1
	s_delay_alu instid0(SALU_CYCLE_1) | instskip(SKIP_2) | instid1(VALU_DEP_1)
	s_or_b32 exec_lo, exec_lo, s42
	v_lshrrev_b16 v1, 8, v0
	s_mov_b32 s42, exec_lo
	v_cmpx_ne_u16_e32 0, v1
	s_cbranch_execz .LBB185_81
; %bb.74:                               ;   in Loop: Header=BB185_12 Depth=1
	v_mov_b64_e32 v[76:77], 0x8000000000000000
	s_mov_b32 s43, exec_lo
	v_cmpx_ne_u16_e32 0x80, v1
	s_cbranch_execz .LBB185_80
; %bb.75:                               ;   in Loop: Header=BB185_12 Depth=1
	v_and_b32_e32 v1, 0xffff, v1
	v_mov_b64_e32 v[76:77], 0x7f80000100000000
	s_mov_b32 s44, exec_lo
	s_delay_alu instid0(VALU_DEP_2) | instskip(NEXT) | instid1(VALU_DEP_1)
	v_and_b32_e32 v2, 0x7f, v1
	v_cmpx_ne_u32_e32 0x7f, v2
	s_cbranch_execz .LBB185_79
; %bb.76:                               ;   in Loop: Header=BB185_12 Depth=1
	v_dual_lshrrev_b32 v1, 3, v2 :: v_dual_bitop2_b32 v54, 7, v1 bitop3:0x40
	s_mov_b32 s45, exec_lo
	v_cmpx_gt_u32_e32 8, v2
; %bb.77:                               ;   in Loop: Header=BB185_12 Depth=1
	s_delay_alu instid0(VALU_DEP_2) | instskip(NEXT) | instid1(VALU_DEP_1)
	v_clz_i32_u32_e32 v1, v54
	v_min_u32_e32 v1, 32, v1
	s_delay_alu instid0(VALU_DEP_1) | instskip(NEXT) | instid1(VALU_DEP_1)
	v_subrev_nc_u32_e32 v2, 28, v1
	v_lshlrev_b64_e32 v[2:3], v2, v[54:55]
	s_delay_alu instid0(VALU_DEP_1)
	v_dual_sub_nc_u32 v1, 29, v1 :: v_dual_bitop2_b32 v54, 7, v2 bitop3:0x40
; %bb.78:                               ;   in Loop: Header=BB185_12 Depth=1
	s_or_b32 exec_lo, exec_lo, s45
	s_delay_alu instid0(VALU_DEP_1) | instskip(NEXT) | instid1(VALU_DEP_2)
	v_dual_lshlrev_b32 v0, 16, v0 :: v_dual_lshlrev_b32 v2, 20, v54
	v_lshl_add_u32 v1, v1, 23, 0x3c000000
	v_mov_b32_e32 v76, v55
	s_delay_alu instid0(VALU_DEP_3) | instskip(NEXT) | instid1(VALU_DEP_1)
	v_and_b32_e32 v0, 0x80000000, v0
	v_or3_b32 v77, v2, v0, v1
.LBB185_79:                             ;   in Loop: Header=BB185_12 Depth=1
	s_or_b32 exec_lo, exec_lo, s44
.LBB185_80:                             ;   in Loop: Header=BB185_12 Depth=1
	s_delay_alu instid0(SALU_CYCLE_1)
	s_or_b32 exec_lo, exec_lo, s43
.LBB185_81:                             ;   in Loop: Header=BB185_12 Depth=1
	s_delay_alu instid0(SALU_CYCLE_1)
	s_or_b32 exec_lo, exec_lo, s42
	global_load_u16 v0, v[70:71], off offset:256
	v_mov_b64_e32 v[80:81], 0
	v_mov_b64_e32 v[2:3], 0
	s_mov_b32 s42, exec_lo
	scratch_store_b64 off, v[2:3], off offset:56 ; 8-byte Folded Spill
	s_wait_loadcnt 0x0
	v_and_b32_e32 v1, 0xff, v0
	v_and_b32_e32 v0, 0xffff, v0
	s_wait_xcnt 0x0
	s_delay_alu instid0(VALU_DEP_2)
	v_cmpx_ne_u16_e32 0, v1
	s_cbranch_execz .LBB185_89
; %bb.82:                               ;   in Loop: Header=BB185_12 Depth=1
	v_mov_b64_e32 v[2:3], 0x80000000
	v_and_b32_e32 v1, 0xff, v0
	s_mov_b32 s43, exec_lo
	scratch_store_b64 off, v[2:3], off offset:56 ; 8-byte Folded Spill
	s_wait_xcnt 0x0
	v_cmpx_ne_u16_e32 0x80, v1
	s_cbranch_execz .LBB185_88
; %bb.83:                               ;   in Loop: Header=BB185_12 Depth=1
	v_mov_b64_e32 v[4:5], 0x7f800001
	v_and_b32_e32 v2, 0x7f, v0
	s_mov_b32 s44, exec_lo
	scratch_store_b64 off, v[4:5], off offset:56 ; 8-byte Folded Spill
	s_wait_xcnt 0x0
	v_cmpx_ne_u32_e32 0x7f, v2
	s_cbranch_execz .LBB185_87
; %bb.84:                               ;   in Loop: Header=BB185_12 Depth=1
	v_dual_lshrrev_b32 v1, 3, v2 :: v_dual_bitop2_b32 v54, 7, v0 bitop3:0x40
	s_mov_b32 s45, exec_lo
	v_cmpx_gt_u32_e32 8, v2
; %bb.85:                               ;   in Loop: Header=BB185_12 Depth=1
	s_delay_alu instid0(VALU_DEP_2) | instskip(NEXT) | instid1(VALU_DEP_1)
	v_clz_i32_u32_e32 v1, v54
	v_min_u32_e32 v1, 32, v1
	s_delay_alu instid0(VALU_DEP_1) | instskip(NEXT) | instid1(VALU_DEP_1)
	v_subrev_nc_u32_e32 v2, 28, v1
	v_lshlrev_b64_e32 v[2:3], v2, v[54:55]
	s_delay_alu instid0(VALU_DEP_1)
	v_dual_sub_nc_u32 v1, 29, v1 :: v_dual_bitop2_b32 v54, 7, v2 bitop3:0x40
; %bb.86:                               ;   in Loop: Header=BB185_12 Depth=1
	s_or_b32 exec_lo, exec_lo, s45
	s_delay_alu instid0(VALU_DEP_1) | instskip(NEXT) | instid1(VALU_DEP_2)
	v_dual_lshlrev_b32 v2, 24, v0 :: v_dual_lshlrev_b32 v3, 20, v54
	v_lshl_add_u32 v1, v1, 23, 0x3c000000
	s_delay_alu instid0(VALU_DEP_2) | instskip(NEXT) | instid1(VALU_DEP_1)
	v_and_b32_e32 v2, 0x80000000, v2
	v_or3_b32 v54, v3, v2, v1
	scratch_store_b64 off, v[54:55], off offset:56 ; 8-byte Folded Spill
.LBB185_87:                             ;   in Loop: Header=BB185_12 Depth=1
	s_wait_xcnt 0x0
	s_or_b32 exec_lo, exec_lo, s44
.LBB185_88:                             ;   in Loop: Header=BB185_12 Depth=1
	s_delay_alu instid0(SALU_CYCLE_1)
	s_or_b32 exec_lo, exec_lo, s43
.LBB185_89:                             ;   in Loop: Header=BB185_12 Depth=1
	s_delay_alu instid0(SALU_CYCLE_1) | instskip(SKIP_2) | instid1(VALU_DEP_1)
	s_or_b32 exec_lo, exec_lo, s42
	v_lshrrev_b16 v1, 8, v0
	s_mov_b32 s42, exec_lo
	v_cmpx_ne_u16_e32 0, v1
	s_cbranch_execz .LBB185_97
; %bb.90:                               ;   in Loop: Header=BB185_12 Depth=1
	v_mov_b64_e32 v[80:81], 0x8000000000000000
	s_mov_b32 s43, exec_lo
	v_cmpx_ne_u16_e32 0x80, v1
	s_cbranch_execz .LBB185_96
; %bb.91:                               ;   in Loop: Header=BB185_12 Depth=1
	v_and_b32_e32 v1, 0xffff, v1
	v_mov_b64_e32 v[80:81], 0x7f80000100000000
	s_mov_b32 s44, exec_lo
	s_delay_alu instid0(VALU_DEP_2) | instskip(NEXT) | instid1(VALU_DEP_1)
	v_and_b32_e32 v2, 0x7f, v1
	v_cmpx_ne_u32_e32 0x7f, v2
	s_cbranch_execz .LBB185_95
; %bb.92:                               ;   in Loop: Header=BB185_12 Depth=1
	v_dual_lshrrev_b32 v1, 3, v2 :: v_dual_bitop2_b32 v54, 7, v1 bitop3:0x40
	s_mov_b32 s45, exec_lo
	v_cmpx_gt_u32_e32 8, v2
; %bb.93:                               ;   in Loop: Header=BB185_12 Depth=1
	s_delay_alu instid0(VALU_DEP_2) | instskip(NEXT) | instid1(VALU_DEP_1)
	v_clz_i32_u32_e32 v1, v54
	v_min_u32_e32 v1, 32, v1
	s_delay_alu instid0(VALU_DEP_1) | instskip(NEXT) | instid1(VALU_DEP_1)
	v_subrev_nc_u32_e32 v2, 28, v1
	v_lshlrev_b64_e32 v[2:3], v2, v[54:55]
	s_delay_alu instid0(VALU_DEP_1)
	v_dual_sub_nc_u32 v1, 29, v1 :: v_dual_bitop2_b32 v54, 7, v2 bitop3:0x40
; %bb.94:                               ;   in Loop: Header=BB185_12 Depth=1
	s_or_b32 exec_lo, exec_lo, s45
	s_delay_alu instid0(VALU_DEP_1) | instskip(NEXT) | instid1(VALU_DEP_2)
	v_dual_lshlrev_b32 v0, 16, v0 :: v_dual_lshlrev_b32 v2, 20, v54
	v_lshl_add_u32 v1, v1, 23, 0x3c000000
	v_mov_b32_e32 v80, v55
	s_delay_alu instid0(VALU_DEP_3) | instskip(NEXT) | instid1(VALU_DEP_1)
	v_and_b32_e32 v0, 0x80000000, v0
	v_or3_b32 v81, v2, v0, v1
.LBB185_95:                             ;   in Loop: Header=BB185_12 Depth=1
	s_or_b32 exec_lo, exec_lo, s44
.LBB185_96:                             ;   in Loop: Header=BB185_12 Depth=1
	s_delay_alu instid0(SALU_CYCLE_1)
	s_or_b32 exec_lo, exec_lo, s43
.LBB185_97:                             ;   in Loop: Header=BB185_12 Depth=1
	s_delay_alu instid0(SALU_CYCLE_1)
	s_or_b32 exec_lo, exec_lo, s42
	global_load_u16 v0, v[70:71], off offset:260
	v_mov_b64_e32 v[84:85], 0
	v_mov_b64_e32 v[86:87], 0
	s_mov_b32 s42, exec_lo
	s_wait_loadcnt 0x0
	v_and_b32_e32 v1, 0xff, v0
	v_and_b32_e32 v0, 0xffff, v0
	s_wait_xcnt 0x0
	s_delay_alu instid0(VALU_DEP_2)
	v_cmpx_ne_u16_e32 0, v1
	s_cbranch_execz .LBB185_105
; %bb.98:                               ;   in Loop: Header=BB185_12 Depth=1
	v_mov_b64_e32 v[86:87], 0x80000000
	v_and_b32_e32 v1, 0xff, v0
	s_mov_b32 s43, exec_lo
	s_delay_alu instid0(VALU_DEP_1)
	v_cmpx_ne_u16_e32 0x80, v1
	s_cbranch_execz .LBB185_104
; %bb.99:                               ;   in Loop: Header=BB185_12 Depth=1
	v_mov_b64_e32 v[86:87], 0x7f800001
	v_and_b32_e32 v2, 0x7f, v0
	s_mov_b32 s44, exec_lo
	s_delay_alu instid0(VALU_DEP_1)
	v_cmpx_ne_u32_e32 0x7f, v2
	s_cbranch_execz .LBB185_103
; %bb.100:                              ;   in Loop: Header=BB185_12 Depth=1
	v_dual_lshrrev_b32 v1, 3, v2 :: v_dual_bitop2_b32 v54, 7, v0 bitop3:0x40
	s_mov_b32 s45, exec_lo
	v_cmpx_gt_u32_e32 8, v2
; %bb.101:                              ;   in Loop: Header=BB185_12 Depth=1
	s_delay_alu instid0(VALU_DEP_2) | instskip(NEXT) | instid1(VALU_DEP_1)
	v_clz_i32_u32_e32 v1, v54
	v_min_u32_e32 v1, 32, v1
	s_delay_alu instid0(VALU_DEP_1) | instskip(NEXT) | instid1(VALU_DEP_1)
	v_subrev_nc_u32_e32 v2, 28, v1
	v_lshlrev_b64_e32 v[2:3], v2, v[54:55]
	s_delay_alu instid0(VALU_DEP_1)
	v_dual_sub_nc_u32 v1, 29, v1 :: v_dual_bitop2_b32 v54, 7, v2 bitop3:0x40
; %bb.102:                              ;   in Loop: Header=BB185_12 Depth=1
	s_or_b32 exec_lo, exec_lo, s45
	s_delay_alu instid0(VALU_DEP_1) | instskip(NEXT) | instid1(VALU_DEP_2)
	v_dual_lshlrev_b32 v2, 24, v0 :: v_dual_lshlrev_b32 v3, 20, v54
	v_lshl_add_u32 v1, v1, 23, 0x3c000000
	s_delay_alu instid0(VALU_DEP_2) | instskip(NEXT) | instid1(VALU_DEP_1)
	v_and_b32_e32 v2, 0x80000000, v2
	v_or3_b32 v54, v3, v2, v1
	s_delay_alu instid0(VALU_DEP_1)
	v_mov_b64_e32 v[86:87], v[54:55]
.LBB185_103:                            ;   in Loop: Header=BB185_12 Depth=1
	s_or_b32 exec_lo, exec_lo, s44
.LBB185_104:                            ;   in Loop: Header=BB185_12 Depth=1
	s_delay_alu instid0(SALU_CYCLE_1)
	s_or_b32 exec_lo, exec_lo, s43
.LBB185_105:                            ;   in Loop: Header=BB185_12 Depth=1
	s_delay_alu instid0(SALU_CYCLE_1) | instskip(SKIP_2) | instid1(VALU_DEP_1)
	s_or_b32 exec_lo, exec_lo, s42
	v_lshrrev_b16 v1, 8, v0
	s_mov_b32 s42, exec_lo
	v_cmpx_ne_u16_e32 0, v1
	s_cbranch_execz .LBB185_113
; %bb.106:                              ;   in Loop: Header=BB185_12 Depth=1
	v_mov_b64_e32 v[84:85], 0x8000000000000000
	s_mov_b32 s43, exec_lo
	v_cmpx_ne_u16_e32 0x80, v1
	s_cbranch_execz .LBB185_112
; %bb.107:                              ;   in Loop: Header=BB185_12 Depth=1
	v_and_b32_e32 v1, 0xffff, v1
	v_mov_b64_e32 v[84:85], 0x7f80000100000000
	s_mov_b32 s44, exec_lo
	s_delay_alu instid0(VALU_DEP_2) | instskip(NEXT) | instid1(VALU_DEP_1)
	v_and_b32_e32 v2, 0x7f, v1
	v_cmpx_ne_u32_e32 0x7f, v2
	s_cbranch_execz .LBB185_111
; %bb.108:                              ;   in Loop: Header=BB185_12 Depth=1
	v_dual_lshrrev_b32 v1, 3, v2 :: v_dual_bitop2_b32 v54, 7, v1 bitop3:0x40
	s_mov_b32 s45, exec_lo
	v_cmpx_gt_u32_e32 8, v2
; %bb.109:                              ;   in Loop: Header=BB185_12 Depth=1
	s_delay_alu instid0(VALU_DEP_2) | instskip(NEXT) | instid1(VALU_DEP_1)
	v_clz_i32_u32_e32 v1, v54
	v_min_u32_e32 v1, 32, v1
	s_delay_alu instid0(VALU_DEP_1) | instskip(NEXT) | instid1(VALU_DEP_1)
	v_subrev_nc_u32_e32 v2, 28, v1
	v_lshlrev_b64_e32 v[2:3], v2, v[54:55]
	s_delay_alu instid0(VALU_DEP_1)
	v_dual_sub_nc_u32 v1, 29, v1 :: v_dual_bitop2_b32 v54, 7, v2 bitop3:0x40
; %bb.110:                              ;   in Loop: Header=BB185_12 Depth=1
	s_or_b32 exec_lo, exec_lo, s45
	s_delay_alu instid0(VALU_DEP_1) | instskip(NEXT) | instid1(VALU_DEP_2)
	v_dual_lshlrev_b32 v0, 16, v0 :: v_dual_lshlrev_b32 v2, 20, v54
	v_lshl_add_u32 v1, v1, 23, 0x3c000000
	v_mov_b32_e32 v84, v55
	s_delay_alu instid0(VALU_DEP_3) | instskip(NEXT) | instid1(VALU_DEP_1)
	v_and_b32_e32 v0, 0x80000000, v0
	v_or3_b32 v85, v2, v0, v1
.LBB185_111:                            ;   in Loop: Header=BB185_12 Depth=1
	s_or_b32 exec_lo, exec_lo, s44
.LBB185_112:                            ;   in Loop: Header=BB185_12 Depth=1
	s_delay_alu instid0(SALU_CYCLE_1)
	s_or_b32 exec_lo, exec_lo, s43
.LBB185_113:                            ;   in Loop: Header=BB185_12 Depth=1
	s_delay_alu instid0(SALU_CYCLE_1)
	s_or_b32 exec_lo, exec_lo, s42
	global_load_u16 v0, v[70:71], off offset:264
	v_mov_b64_e32 v[88:89], 0
	v_mov_b64_e32 v[90:91], 0
	s_mov_b32 s42, exec_lo
	s_wait_loadcnt 0x0
	v_and_b32_e32 v1, 0xff, v0
	v_and_b32_e32 v0, 0xffff, v0
	s_wait_xcnt 0x0
	s_delay_alu instid0(VALU_DEP_2)
	v_cmpx_ne_u16_e32 0, v1
	s_cbranch_execz .LBB185_121
; %bb.114:                              ;   in Loop: Header=BB185_12 Depth=1
	v_mov_b64_e32 v[90:91], 0x80000000
	v_and_b32_e32 v1, 0xff, v0
	s_mov_b32 s43, exec_lo
	s_delay_alu instid0(VALU_DEP_1)
	v_cmpx_ne_u16_e32 0x80, v1
	s_cbranch_execz .LBB185_120
; %bb.115:                              ;   in Loop: Header=BB185_12 Depth=1
	v_mov_b64_e32 v[90:91], 0x7f800001
	v_and_b32_e32 v2, 0x7f, v0
	s_mov_b32 s44, exec_lo
	s_delay_alu instid0(VALU_DEP_1)
	v_cmpx_ne_u32_e32 0x7f, v2
	s_cbranch_execz .LBB185_119
; %bb.116:                              ;   in Loop: Header=BB185_12 Depth=1
	v_dual_lshrrev_b32 v1, 3, v2 :: v_dual_bitop2_b32 v54, 7, v0 bitop3:0x40
	s_mov_b32 s45, exec_lo
	v_cmpx_gt_u32_e32 8, v2
; %bb.117:                              ;   in Loop: Header=BB185_12 Depth=1
	s_delay_alu instid0(VALU_DEP_2) | instskip(NEXT) | instid1(VALU_DEP_1)
	v_clz_i32_u32_e32 v1, v54
	v_min_u32_e32 v1, 32, v1
	s_delay_alu instid0(VALU_DEP_1) | instskip(NEXT) | instid1(VALU_DEP_1)
	v_subrev_nc_u32_e32 v2, 28, v1
	v_lshlrev_b64_e32 v[2:3], v2, v[54:55]
	s_delay_alu instid0(VALU_DEP_1)
	v_dual_sub_nc_u32 v1, 29, v1 :: v_dual_bitop2_b32 v54, 7, v2 bitop3:0x40
; %bb.118:                              ;   in Loop: Header=BB185_12 Depth=1
	s_or_b32 exec_lo, exec_lo, s45
	s_delay_alu instid0(VALU_DEP_1) | instskip(NEXT) | instid1(VALU_DEP_2)
	v_dual_lshlrev_b32 v2, 24, v0 :: v_dual_lshlrev_b32 v3, 20, v54
	v_lshl_add_u32 v1, v1, 23, 0x3c000000
	s_delay_alu instid0(VALU_DEP_2) | instskip(NEXT) | instid1(VALU_DEP_1)
	v_and_b32_e32 v2, 0x80000000, v2
	v_or3_b32 v54, v3, v2, v1
	s_delay_alu instid0(VALU_DEP_1)
	v_mov_b64_e32 v[90:91], v[54:55]
.LBB185_119:                            ;   in Loop: Header=BB185_12 Depth=1
	s_or_b32 exec_lo, exec_lo, s44
.LBB185_120:                            ;   in Loop: Header=BB185_12 Depth=1
	s_delay_alu instid0(SALU_CYCLE_1)
	s_or_b32 exec_lo, exec_lo, s43
.LBB185_121:                            ;   in Loop: Header=BB185_12 Depth=1
	s_delay_alu instid0(SALU_CYCLE_1) | instskip(SKIP_2) | instid1(VALU_DEP_1)
	s_or_b32 exec_lo, exec_lo, s42
	v_lshrrev_b16 v1, 8, v0
	s_mov_b32 s42, exec_lo
	v_cmpx_ne_u16_e32 0, v1
	s_cbranch_execz .LBB185_129
; %bb.122:                              ;   in Loop: Header=BB185_12 Depth=1
	v_mov_b64_e32 v[88:89], 0x8000000000000000
	s_mov_b32 s43, exec_lo
	v_cmpx_ne_u16_e32 0x80, v1
	s_cbranch_execz .LBB185_128
; %bb.123:                              ;   in Loop: Header=BB185_12 Depth=1
	v_and_b32_e32 v1, 0xffff, v1
	v_mov_b64_e32 v[88:89], 0x7f80000100000000
	s_mov_b32 s44, exec_lo
	s_delay_alu instid0(VALU_DEP_2) | instskip(NEXT) | instid1(VALU_DEP_1)
	v_and_b32_e32 v2, 0x7f, v1
	v_cmpx_ne_u32_e32 0x7f, v2
	s_cbranch_execz .LBB185_127
; %bb.124:                              ;   in Loop: Header=BB185_12 Depth=1
	v_dual_lshrrev_b32 v1, 3, v2 :: v_dual_bitop2_b32 v54, 7, v1 bitop3:0x40
	s_mov_b32 s45, exec_lo
	v_cmpx_gt_u32_e32 8, v2
; %bb.125:                              ;   in Loop: Header=BB185_12 Depth=1
	s_delay_alu instid0(VALU_DEP_2) | instskip(NEXT) | instid1(VALU_DEP_1)
	v_clz_i32_u32_e32 v1, v54
	v_min_u32_e32 v1, 32, v1
	s_delay_alu instid0(VALU_DEP_1) | instskip(NEXT) | instid1(VALU_DEP_1)
	v_subrev_nc_u32_e32 v2, 28, v1
	v_lshlrev_b64_e32 v[2:3], v2, v[54:55]
	s_delay_alu instid0(VALU_DEP_1)
	v_dual_sub_nc_u32 v1, 29, v1 :: v_dual_bitop2_b32 v54, 7, v2 bitop3:0x40
; %bb.126:                              ;   in Loop: Header=BB185_12 Depth=1
	s_or_b32 exec_lo, exec_lo, s45
	s_delay_alu instid0(VALU_DEP_1) | instskip(NEXT) | instid1(VALU_DEP_2)
	v_dual_lshlrev_b32 v0, 16, v0 :: v_dual_lshlrev_b32 v2, 20, v54
	v_lshl_add_u32 v1, v1, 23, 0x3c000000
	v_mov_b32_e32 v88, v55
	s_delay_alu instid0(VALU_DEP_3) | instskip(NEXT) | instid1(VALU_DEP_1)
	v_and_b32_e32 v0, 0x80000000, v0
	v_or3_b32 v89, v2, v0, v1
.LBB185_127:                            ;   in Loop: Header=BB185_12 Depth=1
	s_or_b32 exec_lo, exec_lo, s44
.LBB185_128:                            ;   in Loop: Header=BB185_12 Depth=1
	s_delay_alu instid0(SALU_CYCLE_1)
	s_or_b32 exec_lo, exec_lo, s43
.LBB185_129:                            ;   in Loop: Header=BB185_12 Depth=1
	s_delay_alu instid0(SALU_CYCLE_1)
	s_or_b32 exec_lo, exec_lo, s42
	global_load_u16 v0, v[70:71], off offset:268
	v_mov_b64_e32 v[92:93], 0
	v_mov_b64_e32 v[94:95], 0
	s_mov_b32 s42, exec_lo
	s_wait_loadcnt 0x0
	v_and_b32_e32 v1, 0xff, v0
	v_and_b32_e32 v0, 0xffff, v0
	s_wait_xcnt 0x0
	s_delay_alu instid0(VALU_DEP_2)
	v_cmpx_ne_u16_e32 0, v1
	s_cbranch_execz .LBB185_137
; %bb.130:                              ;   in Loop: Header=BB185_12 Depth=1
	v_mov_b64_e32 v[94:95], 0x80000000
	v_and_b32_e32 v1, 0xff, v0
	s_mov_b32 s43, exec_lo
	s_delay_alu instid0(VALU_DEP_1)
	v_cmpx_ne_u16_e32 0x80, v1
	s_cbranch_execz .LBB185_136
; %bb.131:                              ;   in Loop: Header=BB185_12 Depth=1
	v_mov_b64_e32 v[94:95], 0x7f800001
	v_and_b32_e32 v2, 0x7f, v0
	s_mov_b32 s44, exec_lo
	s_delay_alu instid0(VALU_DEP_1)
	v_cmpx_ne_u32_e32 0x7f, v2
	s_cbranch_execz .LBB185_135
; %bb.132:                              ;   in Loop: Header=BB185_12 Depth=1
	v_dual_lshrrev_b32 v1, 3, v2 :: v_dual_bitop2_b32 v54, 7, v0 bitop3:0x40
	s_mov_b32 s45, exec_lo
	v_cmpx_gt_u32_e32 8, v2
; %bb.133:                              ;   in Loop: Header=BB185_12 Depth=1
	s_delay_alu instid0(VALU_DEP_2) | instskip(NEXT) | instid1(VALU_DEP_1)
	v_clz_i32_u32_e32 v1, v54
	v_min_u32_e32 v1, 32, v1
	s_delay_alu instid0(VALU_DEP_1) | instskip(NEXT) | instid1(VALU_DEP_1)
	v_subrev_nc_u32_e32 v2, 28, v1
	v_lshlrev_b64_e32 v[2:3], v2, v[54:55]
	s_delay_alu instid0(VALU_DEP_1)
	v_dual_sub_nc_u32 v1, 29, v1 :: v_dual_bitop2_b32 v54, 7, v2 bitop3:0x40
; %bb.134:                              ;   in Loop: Header=BB185_12 Depth=1
	s_or_b32 exec_lo, exec_lo, s45
	s_delay_alu instid0(VALU_DEP_1) | instskip(NEXT) | instid1(VALU_DEP_2)
	v_dual_lshlrev_b32 v2, 24, v0 :: v_dual_lshlrev_b32 v3, 20, v54
	v_lshl_add_u32 v1, v1, 23, 0x3c000000
	s_delay_alu instid0(VALU_DEP_2) | instskip(NEXT) | instid1(VALU_DEP_1)
	v_and_b32_e32 v2, 0x80000000, v2
	v_or3_b32 v54, v3, v2, v1
	s_delay_alu instid0(VALU_DEP_1)
	v_mov_b64_e32 v[94:95], v[54:55]
.LBB185_135:                            ;   in Loop: Header=BB185_12 Depth=1
	s_or_b32 exec_lo, exec_lo, s44
.LBB185_136:                            ;   in Loop: Header=BB185_12 Depth=1
	s_delay_alu instid0(SALU_CYCLE_1)
	s_or_b32 exec_lo, exec_lo, s43
.LBB185_137:                            ;   in Loop: Header=BB185_12 Depth=1
	s_delay_alu instid0(SALU_CYCLE_1) | instskip(SKIP_2) | instid1(VALU_DEP_1)
	s_or_b32 exec_lo, exec_lo, s42
	v_lshrrev_b16 v1, 8, v0
	s_mov_b32 s42, exec_lo
	v_cmpx_ne_u16_e32 0, v1
	s_cbranch_execz .LBB185_145
; %bb.138:                              ;   in Loop: Header=BB185_12 Depth=1
	v_mov_b64_e32 v[92:93], 0x8000000000000000
	s_mov_b32 s43, exec_lo
	v_cmpx_ne_u16_e32 0x80, v1
	s_cbranch_execz .LBB185_144
; %bb.139:                              ;   in Loop: Header=BB185_12 Depth=1
	v_and_b32_e32 v1, 0xffff, v1
	v_mov_b64_e32 v[92:93], 0x7f80000100000000
	s_mov_b32 s44, exec_lo
	s_delay_alu instid0(VALU_DEP_2) | instskip(NEXT) | instid1(VALU_DEP_1)
	v_and_b32_e32 v2, 0x7f, v1
	v_cmpx_ne_u32_e32 0x7f, v2
	s_cbranch_execz .LBB185_143
; %bb.140:                              ;   in Loop: Header=BB185_12 Depth=1
	v_dual_lshrrev_b32 v1, 3, v2 :: v_dual_bitop2_b32 v54, 7, v1 bitop3:0x40
	s_mov_b32 s45, exec_lo
	v_cmpx_gt_u32_e32 8, v2
; %bb.141:                              ;   in Loop: Header=BB185_12 Depth=1
	s_delay_alu instid0(VALU_DEP_2) | instskip(NEXT) | instid1(VALU_DEP_1)
	v_clz_i32_u32_e32 v1, v54
	v_min_u32_e32 v1, 32, v1
	s_delay_alu instid0(VALU_DEP_1) | instskip(NEXT) | instid1(VALU_DEP_1)
	v_subrev_nc_u32_e32 v2, 28, v1
	v_lshlrev_b64_e32 v[2:3], v2, v[54:55]
	s_delay_alu instid0(VALU_DEP_1)
	v_dual_sub_nc_u32 v1, 29, v1 :: v_dual_bitop2_b32 v54, 7, v2 bitop3:0x40
; %bb.142:                              ;   in Loop: Header=BB185_12 Depth=1
	s_or_b32 exec_lo, exec_lo, s45
	s_delay_alu instid0(VALU_DEP_1) | instskip(NEXT) | instid1(VALU_DEP_2)
	v_dual_lshlrev_b32 v0, 16, v0 :: v_dual_lshlrev_b32 v2, 20, v54
	v_lshl_add_u32 v1, v1, 23, 0x3c000000
	v_mov_b32_e32 v92, v55
	s_delay_alu instid0(VALU_DEP_3) | instskip(NEXT) | instid1(VALU_DEP_1)
	v_and_b32_e32 v0, 0x80000000, v0
	v_or3_b32 v93, v2, v0, v1
.LBB185_143:                            ;   in Loop: Header=BB185_12 Depth=1
	s_or_b32 exec_lo, exec_lo, s44
.LBB185_144:                            ;   in Loop: Header=BB185_12 Depth=1
	s_delay_alu instid0(SALU_CYCLE_1)
	s_or_b32 exec_lo, exec_lo, s43
.LBB185_145:                            ;   in Loop: Header=BB185_12 Depth=1
	s_delay_alu instid0(SALU_CYCLE_1)
	s_or_b32 exec_lo, exec_lo, s42
	global_load_u16 v0, v[70:71], off offset:512
	v_mov_b64_e32 v[96:97], 0
	v_mov_b64_e32 v[98:99], 0
	s_mov_b32 s42, exec_lo
	s_wait_loadcnt 0x0
	v_and_b32_e32 v1, 0xff, v0
	v_and_b32_e32 v0, 0xffff, v0
	s_wait_xcnt 0x0
	s_delay_alu instid0(VALU_DEP_2)
	v_cmpx_ne_u16_e32 0, v1
	s_cbranch_execz .LBB185_153
; %bb.146:                              ;   in Loop: Header=BB185_12 Depth=1
	v_mov_b64_e32 v[98:99], 0x80000000
	v_and_b32_e32 v1, 0xff, v0
	s_mov_b32 s43, exec_lo
	s_delay_alu instid0(VALU_DEP_1)
	v_cmpx_ne_u16_e32 0x80, v1
	s_cbranch_execz .LBB185_152
; %bb.147:                              ;   in Loop: Header=BB185_12 Depth=1
	v_mov_b64_e32 v[98:99], 0x7f800001
	v_and_b32_e32 v2, 0x7f, v0
	s_mov_b32 s44, exec_lo
	s_delay_alu instid0(VALU_DEP_1)
	v_cmpx_ne_u32_e32 0x7f, v2
	s_cbranch_execz .LBB185_151
; %bb.148:                              ;   in Loop: Header=BB185_12 Depth=1
	v_dual_lshrrev_b32 v1, 3, v2 :: v_dual_bitop2_b32 v54, 7, v0 bitop3:0x40
	s_mov_b32 s45, exec_lo
	v_cmpx_gt_u32_e32 8, v2
; %bb.149:                              ;   in Loop: Header=BB185_12 Depth=1
	s_delay_alu instid0(VALU_DEP_2) | instskip(NEXT) | instid1(VALU_DEP_1)
	v_clz_i32_u32_e32 v1, v54
	v_min_u32_e32 v1, 32, v1
	s_delay_alu instid0(VALU_DEP_1) | instskip(NEXT) | instid1(VALU_DEP_1)
	v_subrev_nc_u32_e32 v2, 28, v1
	v_lshlrev_b64_e32 v[2:3], v2, v[54:55]
	s_delay_alu instid0(VALU_DEP_1)
	v_dual_sub_nc_u32 v1, 29, v1 :: v_dual_bitop2_b32 v54, 7, v2 bitop3:0x40
; %bb.150:                              ;   in Loop: Header=BB185_12 Depth=1
	s_or_b32 exec_lo, exec_lo, s45
	s_delay_alu instid0(VALU_DEP_1) | instskip(NEXT) | instid1(VALU_DEP_2)
	v_dual_lshlrev_b32 v2, 24, v0 :: v_dual_lshlrev_b32 v3, 20, v54
	v_lshl_add_u32 v1, v1, 23, 0x3c000000
	s_delay_alu instid0(VALU_DEP_2) | instskip(NEXT) | instid1(VALU_DEP_1)
	v_and_b32_e32 v2, 0x80000000, v2
	v_or3_b32 v54, v3, v2, v1
	s_delay_alu instid0(VALU_DEP_1)
	v_mov_b64_e32 v[98:99], v[54:55]
.LBB185_151:                            ;   in Loop: Header=BB185_12 Depth=1
	s_or_b32 exec_lo, exec_lo, s44
.LBB185_152:                            ;   in Loop: Header=BB185_12 Depth=1
	s_delay_alu instid0(SALU_CYCLE_1)
	s_or_b32 exec_lo, exec_lo, s43
.LBB185_153:                            ;   in Loop: Header=BB185_12 Depth=1
	s_delay_alu instid0(SALU_CYCLE_1) | instskip(SKIP_2) | instid1(VALU_DEP_1)
	s_or_b32 exec_lo, exec_lo, s42
	v_lshrrev_b16 v1, 8, v0
	s_mov_b32 s42, exec_lo
	v_cmpx_ne_u16_e32 0, v1
	s_cbranch_execz .LBB185_161
; %bb.154:                              ;   in Loop: Header=BB185_12 Depth=1
	v_mov_b64_e32 v[96:97], 0x8000000000000000
	s_mov_b32 s43, exec_lo
	v_cmpx_ne_u16_e32 0x80, v1
	s_cbranch_execz .LBB185_160
; %bb.155:                              ;   in Loop: Header=BB185_12 Depth=1
	v_and_b32_e32 v1, 0xffff, v1
	v_mov_b64_e32 v[96:97], 0x7f80000100000000
	s_mov_b32 s44, exec_lo
	s_delay_alu instid0(VALU_DEP_2) | instskip(NEXT) | instid1(VALU_DEP_1)
	v_and_b32_e32 v2, 0x7f, v1
	v_cmpx_ne_u32_e32 0x7f, v2
	s_cbranch_execz .LBB185_159
; %bb.156:                              ;   in Loop: Header=BB185_12 Depth=1
	v_dual_lshrrev_b32 v1, 3, v2 :: v_dual_bitop2_b32 v54, 7, v1 bitop3:0x40
	s_mov_b32 s45, exec_lo
	v_cmpx_gt_u32_e32 8, v2
; %bb.157:                              ;   in Loop: Header=BB185_12 Depth=1
	s_delay_alu instid0(VALU_DEP_2) | instskip(NEXT) | instid1(VALU_DEP_1)
	v_clz_i32_u32_e32 v1, v54
	v_min_u32_e32 v1, 32, v1
	s_delay_alu instid0(VALU_DEP_1) | instskip(NEXT) | instid1(VALU_DEP_1)
	v_subrev_nc_u32_e32 v2, 28, v1
	v_lshlrev_b64_e32 v[2:3], v2, v[54:55]
	s_delay_alu instid0(VALU_DEP_1)
	v_dual_sub_nc_u32 v1, 29, v1 :: v_dual_bitop2_b32 v54, 7, v2 bitop3:0x40
; %bb.158:                              ;   in Loop: Header=BB185_12 Depth=1
	s_or_b32 exec_lo, exec_lo, s45
	s_delay_alu instid0(VALU_DEP_1) | instskip(NEXT) | instid1(VALU_DEP_2)
	v_dual_lshlrev_b32 v0, 16, v0 :: v_dual_lshlrev_b32 v2, 20, v54
	v_lshl_add_u32 v1, v1, 23, 0x3c000000
	v_mov_b32_e32 v96, v55
	s_delay_alu instid0(VALU_DEP_3) | instskip(NEXT) | instid1(VALU_DEP_1)
	v_and_b32_e32 v0, 0x80000000, v0
	v_or3_b32 v97, v2, v0, v1
.LBB185_159:                            ;   in Loop: Header=BB185_12 Depth=1
	s_or_b32 exec_lo, exec_lo, s44
.LBB185_160:                            ;   in Loop: Header=BB185_12 Depth=1
	s_delay_alu instid0(SALU_CYCLE_1)
	s_or_b32 exec_lo, exec_lo, s43
.LBB185_161:                            ;   in Loop: Header=BB185_12 Depth=1
	s_delay_alu instid0(SALU_CYCLE_1)
	s_or_b32 exec_lo, exec_lo, s42
	global_load_u16 v0, v[70:71], off offset:516
	v_mov_b64_e32 v[100:101], 0
	v_mov_b64_e32 v[102:103], 0
	s_mov_b32 s42, exec_lo
	s_wait_loadcnt 0x0
	v_and_b32_e32 v1, 0xff, v0
	v_and_b32_e32 v0, 0xffff, v0
	s_wait_xcnt 0x0
	s_delay_alu instid0(VALU_DEP_2)
	v_cmpx_ne_u16_e32 0, v1
	s_cbranch_execz .LBB185_169
; %bb.162:                              ;   in Loop: Header=BB185_12 Depth=1
	v_mov_b64_e32 v[102:103], 0x80000000
	v_and_b32_e32 v1, 0xff, v0
	s_mov_b32 s43, exec_lo
	s_delay_alu instid0(VALU_DEP_1)
	v_cmpx_ne_u16_e32 0x80, v1
	s_cbranch_execz .LBB185_168
; %bb.163:                              ;   in Loop: Header=BB185_12 Depth=1
	v_mov_b64_e32 v[102:103], 0x7f800001
	v_and_b32_e32 v2, 0x7f, v0
	s_mov_b32 s44, exec_lo
	s_delay_alu instid0(VALU_DEP_1)
	v_cmpx_ne_u32_e32 0x7f, v2
	s_cbranch_execz .LBB185_167
; %bb.164:                              ;   in Loop: Header=BB185_12 Depth=1
	v_dual_lshrrev_b32 v1, 3, v2 :: v_dual_bitop2_b32 v54, 7, v0 bitop3:0x40
	s_mov_b32 s45, exec_lo
	v_cmpx_gt_u32_e32 8, v2
; %bb.165:                              ;   in Loop: Header=BB185_12 Depth=1
	s_delay_alu instid0(VALU_DEP_2) | instskip(NEXT) | instid1(VALU_DEP_1)
	v_clz_i32_u32_e32 v1, v54
	v_min_u32_e32 v1, 32, v1
	s_delay_alu instid0(VALU_DEP_1) | instskip(NEXT) | instid1(VALU_DEP_1)
	v_subrev_nc_u32_e32 v2, 28, v1
	v_lshlrev_b64_e32 v[2:3], v2, v[54:55]
	s_delay_alu instid0(VALU_DEP_1)
	v_dual_sub_nc_u32 v1, 29, v1 :: v_dual_bitop2_b32 v54, 7, v2 bitop3:0x40
; %bb.166:                              ;   in Loop: Header=BB185_12 Depth=1
	s_or_b32 exec_lo, exec_lo, s45
	s_delay_alu instid0(VALU_DEP_1) | instskip(NEXT) | instid1(VALU_DEP_2)
	v_dual_lshlrev_b32 v2, 24, v0 :: v_dual_lshlrev_b32 v3, 20, v54
	v_lshl_add_u32 v1, v1, 23, 0x3c000000
	s_delay_alu instid0(VALU_DEP_2) | instskip(NEXT) | instid1(VALU_DEP_1)
	v_and_b32_e32 v2, 0x80000000, v2
	v_or3_b32 v54, v3, v2, v1
	s_delay_alu instid0(VALU_DEP_1)
	v_mov_b64_e32 v[102:103], v[54:55]
.LBB185_167:                            ;   in Loop: Header=BB185_12 Depth=1
	s_or_b32 exec_lo, exec_lo, s44
.LBB185_168:                            ;   in Loop: Header=BB185_12 Depth=1
	s_delay_alu instid0(SALU_CYCLE_1)
	s_or_b32 exec_lo, exec_lo, s43
.LBB185_169:                            ;   in Loop: Header=BB185_12 Depth=1
	s_delay_alu instid0(SALU_CYCLE_1) | instskip(SKIP_2) | instid1(VALU_DEP_1)
	s_or_b32 exec_lo, exec_lo, s42
	v_lshrrev_b16 v1, 8, v0
	s_mov_b32 s42, exec_lo
	v_cmpx_ne_u16_e32 0, v1
	s_cbranch_execz .LBB185_177
; %bb.170:                              ;   in Loop: Header=BB185_12 Depth=1
	v_mov_b64_e32 v[100:101], 0x8000000000000000
	s_mov_b32 s43, exec_lo
	v_cmpx_ne_u16_e32 0x80, v1
	s_cbranch_execz .LBB185_176
; %bb.171:                              ;   in Loop: Header=BB185_12 Depth=1
	v_and_b32_e32 v1, 0xffff, v1
	v_mov_b64_e32 v[100:101], 0x7f80000100000000
	s_mov_b32 s44, exec_lo
	s_delay_alu instid0(VALU_DEP_2) | instskip(NEXT) | instid1(VALU_DEP_1)
	v_and_b32_e32 v2, 0x7f, v1
	v_cmpx_ne_u32_e32 0x7f, v2
	s_cbranch_execz .LBB185_175
; %bb.172:                              ;   in Loop: Header=BB185_12 Depth=1
	v_dual_lshrrev_b32 v1, 3, v2 :: v_dual_bitop2_b32 v54, 7, v1 bitop3:0x40
	s_mov_b32 s45, exec_lo
	v_cmpx_gt_u32_e32 8, v2
; %bb.173:                              ;   in Loop: Header=BB185_12 Depth=1
	s_delay_alu instid0(VALU_DEP_2) | instskip(NEXT) | instid1(VALU_DEP_1)
	v_clz_i32_u32_e32 v1, v54
	v_min_u32_e32 v1, 32, v1
	s_delay_alu instid0(VALU_DEP_1) | instskip(NEXT) | instid1(VALU_DEP_1)
	v_subrev_nc_u32_e32 v2, 28, v1
	v_lshlrev_b64_e32 v[2:3], v2, v[54:55]
	s_delay_alu instid0(VALU_DEP_1)
	v_dual_sub_nc_u32 v1, 29, v1 :: v_dual_bitop2_b32 v54, 7, v2 bitop3:0x40
; %bb.174:                              ;   in Loop: Header=BB185_12 Depth=1
	s_or_b32 exec_lo, exec_lo, s45
	s_delay_alu instid0(VALU_DEP_1) | instskip(NEXT) | instid1(VALU_DEP_2)
	v_dual_lshlrev_b32 v0, 16, v0 :: v_dual_lshlrev_b32 v2, 20, v54
	v_lshl_add_u32 v1, v1, 23, 0x3c000000
	v_mov_b32_e32 v100, v55
	s_delay_alu instid0(VALU_DEP_3) | instskip(NEXT) | instid1(VALU_DEP_1)
	v_and_b32_e32 v0, 0x80000000, v0
	v_or3_b32 v101, v2, v0, v1
.LBB185_175:                            ;   in Loop: Header=BB185_12 Depth=1
	s_or_b32 exec_lo, exec_lo, s44
.LBB185_176:                            ;   in Loop: Header=BB185_12 Depth=1
	s_delay_alu instid0(SALU_CYCLE_1)
	s_or_b32 exec_lo, exec_lo, s43
.LBB185_177:                            ;   in Loop: Header=BB185_12 Depth=1
	s_delay_alu instid0(SALU_CYCLE_1)
	s_or_b32 exec_lo, exec_lo, s42
	global_load_u16 v0, v[70:71], off offset:520
	v_mov_b64_e32 v[104:105], 0
	v_mov_b64_e32 v[106:107], 0
	s_mov_b32 s42, exec_lo
	s_wait_loadcnt 0x0
	v_and_b32_e32 v1, 0xff, v0
	v_and_b32_e32 v0, 0xffff, v0
	s_wait_xcnt 0x0
	s_delay_alu instid0(VALU_DEP_2)
	v_cmpx_ne_u16_e32 0, v1
	s_cbranch_execz .LBB185_185
; %bb.178:                              ;   in Loop: Header=BB185_12 Depth=1
	v_mov_b64_e32 v[106:107], 0x80000000
	v_and_b32_e32 v1, 0xff, v0
	s_mov_b32 s43, exec_lo
	s_delay_alu instid0(VALU_DEP_1)
	v_cmpx_ne_u16_e32 0x80, v1
	s_cbranch_execz .LBB185_184
; %bb.179:                              ;   in Loop: Header=BB185_12 Depth=1
	v_mov_b64_e32 v[106:107], 0x7f800001
	v_and_b32_e32 v2, 0x7f, v0
	s_mov_b32 s44, exec_lo
	s_delay_alu instid0(VALU_DEP_1)
	v_cmpx_ne_u32_e32 0x7f, v2
	s_cbranch_execz .LBB185_183
; %bb.180:                              ;   in Loop: Header=BB185_12 Depth=1
	v_dual_lshrrev_b32 v1, 3, v2 :: v_dual_bitop2_b32 v54, 7, v0 bitop3:0x40
	s_mov_b32 s45, exec_lo
	v_cmpx_gt_u32_e32 8, v2
; %bb.181:                              ;   in Loop: Header=BB185_12 Depth=1
	s_delay_alu instid0(VALU_DEP_2) | instskip(NEXT) | instid1(VALU_DEP_1)
	v_clz_i32_u32_e32 v1, v54
	v_min_u32_e32 v1, 32, v1
	s_delay_alu instid0(VALU_DEP_1) | instskip(NEXT) | instid1(VALU_DEP_1)
	v_subrev_nc_u32_e32 v2, 28, v1
	v_lshlrev_b64_e32 v[2:3], v2, v[54:55]
	s_delay_alu instid0(VALU_DEP_1)
	v_dual_sub_nc_u32 v1, 29, v1 :: v_dual_bitop2_b32 v54, 7, v2 bitop3:0x40
; %bb.182:                              ;   in Loop: Header=BB185_12 Depth=1
	s_or_b32 exec_lo, exec_lo, s45
	s_delay_alu instid0(VALU_DEP_1) | instskip(NEXT) | instid1(VALU_DEP_2)
	v_dual_lshlrev_b32 v2, 24, v0 :: v_dual_lshlrev_b32 v3, 20, v54
	v_lshl_add_u32 v1, v1, 23, 0x3c000000
	s_delay_alu instid0(VALU_DEP_2) | instskip(NEXT) | instid1(VALU_DEP_1)
	v_and_b32_e32 v2, 0x80000000, v2
	v_or3_b32 v54, v3, v2, v1
	s_delay_alu instid0(VALU_DEP_1)
	v_mov_b64_e32 v[106:107], v[54:55]
.LBB185_183:                            ;   in Loop: Header=BB185_12 Depth=1
	s_or_b32 exec_lo, exec_lo, s44
.LBB185_184:                            ;   in Loop: Header=BB185_12 Depth=1
	s_delay_alu instid0(SALU_CYCLE_1)
	s_or_b32 exec_lo, exec_lo, s43
.LBB185_185:                            ;   in Loop: Header=BB185_12 Depth=1
	s_delay_alu instid0(SALU_CYCLE_1) | instskip(SKIP_2) | instid1(VALU_DEP_1)
	s_or_b32 exec_lo, exec_lo, s42
	v_lshrrev_b16 v1, 8, v0
	s_mov_b32 s42, exec_lo
	v_cmpx_ne_u16_e32 0, v1
	s_cbranch_execz .LBB185_193
; %bb.186:                              ;   in Loop: Header=BB185_12 Depth=1
	v_mov_b64_e32 v[104:105], 0x8000000000000000
	s_mov_b32 s43, exec_lo
	v_cmpx_ne_u16_e32 0x80, v1
	s_cbranch_execz .LBB185_192
; %bb.187:                              ;   in Loop: Header=BB185_12 Depth=1
	v_and_b32_e32 v1, 0xffff, v1
	v_mov_b64_e32 v[104:105], 0x7f80000100000000
	s_mov_b32 s44, exec_lo
	s_delay_alu instid0(VALU_DEP_2) | instskip(NEXT) | instid1(VALU_DEP_1)
	v_and_b32_e32 v2, 0x7f, v1
	v_cmpx_ne_u32_e32 0x7f, v2
	s_cbranch_execz .LBB185_191
; %bb.188:                              ;   in Loop: Header=BB185_12 Depth=1
	v_dual_lshrrev_b32 v1, 3, v2 :: v_dual_bitop2_b32 v54, 7, v1 bitop3:0x40
	s_mov_b32 s45, exec_lo
	v_cmpx_gt_u32_e32 8, v2
; %bb.189:                              ;   in Loop: Header=BB185_12 Depth=1
	s_delay_alu instid0(VALU_DEP_2) | instskip(NEXT) | instid1(VALU_DEP_1)
	v_clz_i32_u32_e32 v1, v54
	v_min_u32_e32 v1, 32, v1
	s_delay_alu instid0(VALU_DEP_1) | instskip(NEXT) | instid1(VALU_DEP_1)
	v_subrev_nc_u32_e32 v2, 28, v1
	v_lshlrev_b64_e32 v[2:3], v2, v[54:55]
	s_delay_alu instid0(VALU_DEP_1)
	v_dual_sub_nc_u32 v1, 29, v1 :: v_dual_bitop2_b32 v54, 7, v2 bitop3:0x40
; %bb.190:                              ;   in Loop: Header=BB185_12 Depth=1
	s_or_b32 exec_lo, exec_lo, s45
	s_delay_alu instid0(VALU_DEP_1) | instskip(NEXT) | instid1(VALU_DEP_2)
	v_dual_lshlrev_b32 v0, 16, v0 :: v_dual_lshlrev_b32 v2, 20, v54
	v_lshl_add_u32 v1, v1, 23, 0x3c000000
	v_mov_b32_e32 v104, v55
	s_delay_alu instid0(VALU_DEP_3) | instskip(NEXT) | instid1(VALU_DEP_1)
	v_and_b32_e32 v0, 0x80000000, v0
	v_or3_b32 v105, v2, v0, v1
.LBB185_191:                            ;   in Loop: Header=BB185_12 Depth=1
	s_or_b32 exec_lo, exec_lo, s44
.LBB185_192:                            ;   in Loop: Header=BB185_12 Depth=1
	s_delay_alu instid0(SALU_CYCLE_1)
	s_or_b32 exec_lo, exec_lo, s43
.LBB185_193:                            ;   in Loop: Header=BB185_12 Depth=1
	s_delay_alu instid0(SALU_CYCLE_1)
	s_or_b32 exec_lo, exec_lo, s42
	global_load_u16 v0, v[70:71], off offset:524
	v_mov_b64_e32 v[108:109], 0
	v_mov_b64_e32 v[110:111], 0
	s_mov_b32 s42, exec_lo
	s_wait_loadcnt 0x0
	v_and_b32_e32 v1, 0xff, v0
	v_and_b32_e32 v0, 0xffff, v0
	s_wait_xcnt 0x0
	s_delay_alu instid0(VALU_DEP_2)
	v_cmpx_ne_u16_e32 0, v1
	s_cbranch_execz .LBB185_201
; %bb.194:                              ;   in Loop: Header=BB185_12 Depth=1
	v_mov_b64_e32 v[110:111], 0x80000000
	v_and_b32_e32 v1, 0xff, v0
	s_mov_b32 s43, exec_lo
	s_delay_alu instid0(VALU_DEP_1)
	v_cmpx_ne_u16_e32 0x80, v1
	s_cbranch_execz .LBB185_200
; %bb.195:                              ;   in Loop: Header=BB185_12 Depth=1
	v_mov_b64_e32 v[110:111], 0x7f800001
	v_and_b32_e32 v2, 0x7f, v0
	s_mov_b32 s44, exec_lo
	s_delay_alu instid0(VALU_DEP_1)
	v_cmpx_ne_u32_e32 0x7f, v2
	s_cbranch_execz .LBB185_199
; %bb.196:                              ;   in Loop: Header=BB185_12 Depth=1
	v_dual_lshrrev_b32 v1, 3, v2 :: v_dual_bitop2_b32 v54, 7, v0 bitop3:0x40
	s_mov_b32 s45, exec_lo
	v_cmpx_gt_u32_e32 8, v2
; %bb.197:                              ;   in Loop: Header=BB185_12 Depth=1
	s_delay_alu instid0(VALU_DEP_2) | instskip(NEXT) | instid1(VALU_DEP_1)
	v_clz_i32_u32_e32 v1, v54
	v_min_u32_e32 v1, 32, v1
	s_delay_alu instid0(VALU_DEP_1) | instskip(NEXT) | instid1(VALU_DEP_1)
	v_subrev_nc_u32_e32 v2, 28, v1
	v_lshlrev_b64_e32 v[2:3], v2, v[54:55]
	s_delay_alu instid0(VALU_DEP_1)
	v_dual_sub_nc_u32 v1, 29, v1 :: v_dual_bitop2_b32 v54, 7, v2 bitop3:0x40
; %bb.198:                              ;   in Loop: Header=BB185_12 Depth=1
	s_or_b32 exec_lo, exec_lo, s45
	s_delay_alu instid0(VALU_DEP_1) | instskip(NEXT) | instid1(VALU_DEP_2)
	v_dual_lshlrev_b32 v2, 24, v0 :: v_dual_lshlrev_b32 v3, 20, v54
	v_lshl_add_u32 v1, v1, 23, 0x3c000000
	s_delay_alu instid0(VALU_DEP_2) | instskip(NEXT) | instid1(VALU_DEP_1)
	v_and_b32_e32 v2, 0x80000000, v2
	v_or3_b32 v54, v3, v2, v1
	s_delay_alu instid0(VALU_DEP_1)
	v_mov_b64_e32 v[110:111], v[54:55]
.LBB185_199:                            ;   in Loop: Header=BB185_12 Depth=1
	s_or_b32 exec_lo, exec_lo, s44
.LBB185_200:                            ;   in Loop: Header=BB185_12 Depth=1
	s_delay_alu instid0(SALU_CYCLE_1)
	s_or_b32 exec_lo, exec_lo, s43
.LBB185_201:                            ;   in Loop: Header=BB185_12 Depth=1
	s_delay_alu instid0(SALU_CYCLE_1) | instskip(SKIP_2) | instid1(VALU_DEP_1)
	s_or_b32 exec_lo, exec_lo, s42
	v_lshrrev_b16 v1, 8, v0
	s_mov_b32 s42, exec_lo
	v_cmpx_ne_u16_e32 0, v1
	s_cbranch_execz .LBB185_209
; %bb.202:                              ;   in Loop: Header=BB185_12 Depth=1
	v_mov_b64_e32 v[108:109], 0x8000000000000000
	s_mov_b32 s43, exec_lo
	v_cmpx_ne_u16_e32 0x80, v1
	s_cbranch_execz .LBB185_208
; %bb.203:                              ;   in Loop: Header=BB185_12 Depth=1
	v_and_b32_e32 v1, 0xffff, v1
	v_mov_b64_e32 v[108:109], 0x7f80000100000000
	s_mov_b32 s44, exec_lo
	s_delay_alu instid0(VALU_DEP_2) | instskip(NEXT) | instid1(VALU_DEP_1)
	v_and_b32_e32 v2, 0x7f, v1
	v_cmpx_ne_u32_e32 0x7f, v2
	s_cbranch_execz .LBB185_207
; %bb.204:                              ;   in Loop: Header=BB185_12 Depth=1
	v_dual_lshrrev_b32 v1, 3, v2 :: v_dual_bitop2_b32 v54, 7, v1 bitop3:0x40
	s_mov_b32 s45, exec_lo
	v_cmpx_gt_u32_e32 8, v2
; %bb.205:                              ;   in Loop: Header=BB185_12 Depth=1
	s_delay_alu instid0(VALU_DEP_2) | instskip(NEXT) | instid1(VALU_DEP_1)
	v_clz_i32_u32_e32 v1, v54
	v_min_u32_e32 v1, 32, v1
	s_delay_alu instid0(VALU_DEP_1) | instskip(NEXT) | instid1(VALU_DEP_1)
	v_subrev_nc_u32_e32 v2, 28, v1
	v_lshlrev_b64_e32 v[2:3], v2, v[54:55]
	s_delay_alu instid0(VALU_DEP_1)
	v_dual_sub_nc_u32 v1, 29, v1 :: v_dual_bitop2_b32 v54, 7, v2 bitop3:0x40
; %bb.206:                              ;   in Loop: Header=BB185_12 Depth=1
	s_or_b32 exec_lo, exec_lo, s45
	s_delay_alu instid0(VALU_DEP_1) | instskip(NEXT) | instid1(VALU_DEP_2)
	v_dual_lshlrev_b32 v0, 16, v0 :: v_dual_lshlrev_b32 v2, 20, v54
	v_lshl_add_u32 v1, v1, 23, 0x3c000000
	v_mov_b32_e32 v108, v55
	s_delay_alu instid0(VALU_DEP_3) | instskip(NEXT) | instid1(VALU_DEP_1)
	v_and_b32_e32 v0, 0x80000000, v0
	v_or3_b32 v109, v2, v0, v1
.LBB185_207:                            ;   in Loop: Header=BB185_12 Depth=1
	s_or_b32 exec_lo, exec_lo, s44
.LBB185_208:                            ;   in Loop: Header=BB185_12 Depth=1
	s_delay_alu instid0(SALU_CYCLE_1)
	s_or_b32 exec_lo, exec_lo, s43
.LBB185_209:                            ;   in Loop: Header=BB185_12 Depth=1
	s_delay_alu instid0(SALU_CYCLE_1)
	s_or_b32 exec_lo, exec_lo, s42
	global_load_u16 v0, v[70:71], off offset:768
	v_mov_b64_e32 v[112:113], 0
	v_mov_b64_e32 v[114:115], 0
	s_mov_b32 s42, exec_lo
	s_wait_loadcnt 0x0
	v_and_b32_e32 v1, 0xff, v0
	v_and_b32_e32 v0, 0xffff, v0
	s_wait_xcnt 0x0
	s_delay_alu instid0(VALU_DEP_2)
	v_cmpx_ne_u16_e32 0, v1
	s_cbranch_execz .LBB185_217
; %bb.210:                              ;   in Loop: Header=BB185_12 Depth=1
	v_mov_b64_e32 v[114:115], 0x80000000
	v_and_b32_e32 v1, 0xff, v0
	s_mov_b32 s43, exec_lo
	s_delay_alu instid0(VALU_DEP_1)
	v_cmpx_ne_u16_e32 0x80, v1
	s_cbranch_execz .LBB185_216
; %bb.211:                              ;   in Loop: Header=BB185_12 Depth=1
	v_mov_b64_e32 v[114:115], 0x7f800001
	v_and_b32_e32 v2, 0x7f, v0
	s_mov_b32 s44, exec_lo
	s_delay_alu instid0(VALU_DEP_1)
	v_cmpx_ne_u32_e32 0x7f, v2
	s_cbranch_execz .LBB185_215
; %bb.212:                              ;   in Loop: Header=BB185_12 Depth=1
	v_dual_lshrrev_b32 v1, 3, v2 :: v_dual_bitop2_b32 v54, 7, v0 bitop3:0x40
	s_mov_b32 s45, exec_lo
	v_cmpx_gt_u32_e32 8, v2
; %bb.213:                              ;   in Loop: Header=BB185_12 Depth=1
	s_delay_alu instid0(VALU_DEP_2) | instskip(NEXT) | instid1(VALU_DEP_1)
	v_clz_i32_u32_e32 v1, v54
	v_min_u32_e32 v1, 32, v1
	s_delay_alu instid0(VALU_DEP_1) | instskip(NEXT) | instid1(VALU_DEP_1)
	v_subrev_nc_u32_e32 v2, 28, v1
	v_lshlrev_b64_e32 v[2:3], v2, v[54:55]
	s_delay_alu instid0(VALU_DEP_1)
	v_dual_sub_nc_u32 v1, 29, v1 :: v_dual_bitop2_b32 v54, 7, v2 bitop3:0x40
; %bb.214:                              ;   in Loop: Header=BB185_12 Depth=1
	s_or_b32 exec_lo, exec_lo, s45
	s_delay_alu instid0(VALU_DEP_1) | instskip(NEXT) | instid1(VALU_DEP_2)
	v_dual_lshlrev_b32 v2, 24, v0 :: v_dual_lshlrev_b32 v3, 20, v54
	v_lshl_add_u32 v1, v1, 23, 0x3c000000
	s_delay_alu instid0(VALU_DEP_2) | instskip(NEXT) | instid1(VALU_DEP_1)
	v_and_b32_e32 v2, 0x80000000, v2
	v_or3_b32 v54, v3, v2, v1
	s_delay_alu instid0(VALU_DEP_1)
	v_mov_b64_e32 v[114:115], v[54:55]
.LBB185_215:                            ;   in Loop: Header=BB185_12 Depth=1
	s_or_b32 exec_lo, exec_lo, s44
.LBB185_216:                            ;   in Loop: Header=BB185_12 Depth=1
	s_delay_alu instid0(SALU_CYCLE_1)
	s_or_b32 exec_lo, exec_lo, s43
.LBB185_217:                            ;   in Loop: Header=BB185_12 Depth=1
	s_delay_alu instid0(SALU_CYCLE_1) | instskip(SKIP_2) | instid1(VALU_DEP_1)
	s_or_b32 exec_lo, exec_lo, s42
	v_lshrrev_b16 v1, 8, v0
	s_mov_b32 s42, exec_lo
	v_cmpx_ne_u16_e32 0, v1
	s_cbranch_execz .LBB185_225
; %bb.218:                              ;   in Loop: Header=BB185_12 Depth=1
	v_mov_b64_e32 v[112:113], 0x8000000000000000
	s_mov_b32 s43, exec_lo
	v_cmpx_ne_u16_e32 0x80, v1
	s_cbranch_execz .LBB185_224
; %bb.219:                              ;   in Loop: Header=BB185_12 Depth=1
	v_and_b32_e32 v1, 0xffff, v1
	v_mov_b64_e32 v[112:113], 0x7f80000100000000
	s_mov_b32 s44, exec_lo
	s_delay_alu instid0(VALU_DEP_2) | instskip(NEXT) | instid1(VALU_DEP_1)
	v_and_b32_e32 v2, 0x7f, v1
	v_cmpx_ne_u32_e32 0x7f, v2
	s_cbranch_execz .LBB185_223
; %bb.220:                              ;   in Loop: Header=BB185_12 Depth=1
	v_dual_lshrrev_b32 v1, 3, v2 :: v_dual_bitop2_b32 v54, 7, v1 bitop3:0x40
	s_mov_b32 s45, exec_lo
	v_cmpx_gt_u32_e32 8, v2
; %bb.221:                              ;   in Loop: Header=BB185_12 Depth=1
	s_delay_alu instid0(VALU_DEP_2) | instskip(NEXT) | instid1(VALU_DEP_1)
	v_clz_i32_u32_e32 v1, v54
	v_min_u32_e32 v1, 32, v1
	s_delay_alu instid0(VALU_DEP_1) | instskip(NEXT) | instid1(VALU_DEP_1)
	v_subrev_nc_u32_e32 v2, 28, v1
	v_lshlrev_b64_e32 v[2:3], v2, v[54:55]
	s_delay_alu instid0(VALU_DEP_1)
	v_dual_sub_nc_u32 v1, 29, v1 :: v_dual_bitop2_b32 v54, 7, v2 bitop3:0x40
; %bb.222:                              ;   in Loop: Header=BB185_12 Depth=1
	s_or_b32 exec_lo, exec_lo, s45
	s_delay_alu instid0(VALU_DEP_1) | instskip(NEXT) | instid1(VALU_DEP_2)
	v_dual_lshlrev_b32 v0, 16, v0 :: v_dual_lshlrev_b32 v2, 20, v54
	v_lshl_add_u32 v1, v1, 23, 0x3c000000
	v_mov_b32_e32 v112, v55
	s_delay_alu instid0(VALU_DEP_3) | instskip(NEXT) | instid1(VALU_DEP_1)
	v_and_b32_e32 v0, 0x80000000, v0
	v_or3_b32 v113, v2, v0, v1
.LBB185_223:                            ;   in Loop: Header=BB185_12 Depth=1
	s_or_b32 exec_lo, exec_lo, s44
.LBB185_224:                            ;   in Loop: Header=BB185_12 Depth=1
	s_delay_alu instid0(SALU_CYCLE_1)
	s_or_b32 exec_lo, exec_lo, s43
.LBB185_225:                            ;   in Loop: Header=BB185_12 Depth=1
	s_delay_alu instid0(SALU_CYCLE_1)
	s_or_b32 exec_lo, exec_lo, s42
	global_load_u16 v1, v[70:71], off offset:772
	v_mov_b64_e32 v[116:117], 0
	v_mov_b64_e32 v[118:119], 0
	s_mov_b32 s42, exec_lo
	s_wait_loadcnt 0x0
	v_and_b32_e32 v0, 0xffff, v1
	v_and_b32_e32 v1, 0xff, v1
	s_wait_xcnt 0x0
	s_delay_alu instid0(VALU_DEP_1)
	v_cmpx_ne_u16_e32 0, v1
	s_cbranch_execz .LBB185_233
; %bb.226:                              ;   in Loop: Header=BB185_12 Depth=1
	v_mov_b64_e32 v[118:119], 0x80000000
	v_and_b32_e32 v1, 0xff, v0
	s_mov_b32 s43, exec_lo
	s_delay_alu instid0(VALU_DEP_1)
	v_cmpx_ne_u16_e32 0x80, v1
	s_cbranch_execz .LBB185_232
; %bb.227:                              ;   in Loop: Header=BB185_12 Depth=1
	v_mov_b64_e32 v[118:119], 0x7f800001
	v_and_b32_e32 v2, 0x7f, v0
	s_mov_b32 s44, exec_lo
	s_delay_alu instid0(VALU_DEP_1)
	v_cmpx_ne_u32_e32 0x7f, v2
	s_cbranch_execz .LBB185_231
; %bb.228:                              ;   in Loop: Header=BB185_12 Depth=1
	v_dual_lshrrev_b32 v1, 3, v2 :: v_dual_bitop2_b32 v54, 7, v0 bitop3:0x40
	s_mov_b32 s45, exec_lo
	v_cmpx_gt_u32_e32 8, v2
; %bb.229:                              ;   in Loop: Header=BB185_12 Depth=1
	s_delay_alu instid0(VALU_DEP_2) | instskip(NEXT) | instid1(VALU_DEP_1)
	v_clz_i32_u32_e32 v1, v54
	v_min_u32_e32 v1, 32, v1
	s_delay_alu instid0(VALU_DEP_1) | instskip(NEXT) | instid1(VALU_DEP_1)
	v_subrev_nc_u32_e32 v2, 28, v1
	v_lshlrev_b64_e32 v[2:3], v2, v[54:55]
	s_delay_alu instid0(VALU_DEP_1)
	v_dual_sub_nc_u32 v1, 29, v1 :: v_dual_bitop2_b32 v54, 7, v2 bitop3:0x40
; %bb.230:                              ;   in Loop: Header=BB185_12 Depth=1
	s_or_b32 exec_lo, exec_lo, s45
	s_delay_alu instid0(VALU_DEP_1) | instskip(NEXT) | instid1(VALU_DEP_2)
	v_dual_lshlrev_b32 v2, 24, v0 :: v_dual_lshlrev_b32 v3, 20, v54
	v_lshl_add_u32 v1, v1, 23, 0x3c000000
	s_delay_alu instid0(VALU_DEP_2) | instskip(NEXT) | instid1(VALU_DEP_1)
	v_and_b32_e32 v2, 0x80000000, v2
	v_or3_b32 v54, v3, v2, v1
	s_delay_alu instid0(VALU_DEP_1)
	v_mov_b64_e32 v[118:119], v[54:55]
.LBB185_231:                            ;   in Loop: Header=BB185_12 Depth=1
	s_or_b32 exec_lo, exec_lo, s44
.LBB185_232:                            ;   in Loop: Header=BB185_12 Depth=1
	s_delay_alu instid0(SALU_CYCLE_1)
	s_or_b32 exec_lo, exec_lo, s43
.LBB185_233:                            ;   in Loop: Header=BB185_12 Depth=1
	s_delay_alu instid0(SALU_CYCLE_1) | instskip(SKIP_2) | instid1(VALU_DEP_1)
	s_or_b32 exec_lo, exec_lo, s42
	v_lshrrev_b16 v1, 8, v0
	s_mov_b32 s42, exec_lo
	v_cmpx_ne_u16_e32 0, v1
	s_cbranch_execz .LBB185_241
; %bb.234:                              ;   in Loop: Header=BB185_12 Depth=1
	v_mov_b64_e32 v[116:117], 0x8000000000000000
	s_mov_b32 s43, exec_lo
	v_cmpx_ne_u16_e32 0x80, v1
	s_cbranch_execz .LBB185_240
; %bb.235:                              ;   in Loop: Header=BB185_12 Depth=1
	v_and_b32_e32 v1, 0xffff, v1
	v_mov_b64_e32 v[116:117], 0x7f80000100000000
	s_mov_b32 s44, exec_lo
	s_delay_alu instid0(VALU_DEP_2) | instskip(NEXT) | instid1(VALU_DEP_1)
	v_and_b32_e32 v2, 0x7f, v1
	v_cmpx_ne_u32_e32 0x7f, v2
	s_cbranch_execz .LBB185_239
; %bb.236:                              ;   in Loop: Header=BB185_12 Depth=1
	v_dual_lshrrev_b32 v1, 3, v2 :: v_dual_bitop2_b32 v54, 7, v1 bitop3:0x40
	s_mov_b32 s45, exec_lo
	v_cmpx_gt_u32_e32 8, v2
; %bb.237:                              ;   in Loop: Header=BB185_12 Depth=1
	s_delay_alu instid0(VALU_DEP_2) | instskip(NEXT) | instid1(VALU_DEP_1)
	v_clz_i32_u32_e32 v1, v54
	v_min_u32_e32 v1, 32, v1
	s_delay_alu instid0(VALU_DEP_1) | instskip(NEXT) | instid1(VALU_DEP_1)
	v_subrev_nc_u32_e32 v2, 28, v1
	v_lshlrev_b64_e32 v[2:3], v2, v[54:55]
	s_delay_alu instid0(VALU_DEP_1)
	v_dual_sub_nc_u32 v1, 29, v1 :: v_dual_bitop2_b32 v54, 7, v2 bitop3:0x40
; %bb.238:                              ;   in Loop: Header=BB185_12 Depth=1
	s_or_b32 exec_lo, exec_lo, s45
	s_delay_alu instid0(VALU_DEP_1) | instskip(NEXT) | instid1(VALU_DEP_2)
	v_dual_lshlrev_b32 v0, 16, v0 :: v_dual_lshlrev_b32 v2, 20, v54
	v_lshl_add_u32 v1, v1, 23, 0x3c000000
	v_mov_b32_e32 v116, v55
	s_delay_alu instid0(VALU_DEP_3) | instskip(NEXT) | instid1(VALU_DEP_1)
	v_and_b32_e32 v0, 0x80000000, v0
	v_or3_b32 v117, v2, v0, v1
.LBB185_239:                            ;   in Loop: Header=BB185_12 Depth=1
	s_or_b32 exec_lo, exec_lo, s44
.LBB185_240:                            ;   in Loop: Header=BB185_12 Depth=1
	s_delay_alu instid0(SALU_CYCLE_1)
	s_or_b32 exec_lo, exec_lo, s43
.LBB185_241:                            ;   in Loop: Header=BB185_12 Depth=1
	s_delay_alu instid0(SALU_CYCLE_1)
	s_or_b32 exec_lo, exec_lo, s42
	global_load_u16 v1, v[70:71], off offset:776
	v_mov_b64_e32 v[120:121], 0
	v_mov_b64_e32 v[122:123], 0
	s_mov_b32 s42, exec_lo
	s_wait_loadcnt 0x0
	v_and_b32_e32 v0, 0xffff, v1
	v_and_b32_e32 v1, 0xff, v1
	s_wait_xcnt 0x0
	s_delay_alu instid0(VALU_DEP_1)
	v_cmpx_ne_u16_e32 0, v1
	s_cbranch_execz .LBB185_249
; %bb.242:                              ;   in Loop: Header=BB185_12 Depth=1
	v_mov_b64_e32 v[122:123], 0x80000000
	v_and_b32_e32 v1, 0xff, v0
	s_mov_b32 s43, exec_lo
	s_delay_alu instid0(VALU_DEP_1)
	v_cmpx_ne_u16_e32 0x80, v1
	s_cbranch_execz .LBB185_248
; %bb.243:                              ;   in Loop: Header=BB185_12 Depth=1
	v_mov_b64_e32 v[122:123], 0x7f800001
	v_and_b32_e32 v2, 0x7f, v0
	s_mov_b32 s44, exec_lo
	s_delay_alu instid0(VALU_DEP_1)
	v_cmpx_ne_u32_e32 0x7f, v2
	s_cbranch_execz .LBB185_247
; %bb.244:                              ;   in Loop: Header=BB185_12 Depth=1
	v_dual_lshrrev_b32 v1, 3, v2 :: v_dual_bitop2_b32 v54, 7, v0 bitop3:0x40
	s_mov_b32 s45, exec_lo
	v_cmpx_gt_u32_e32 8, v2
; %bb.245:                              ;   in Loop: Header=BB185_12 Depth=1
	s_delay_alu instid0(VALU_DEP_2) | instskip(NEXT) | instid1(VALU_DEP_1)
	v_clz_i32_u32_e32 v1, v54
	v_min_u32_e32 v1, 32, v1
	s_delay_alu instid0(VALU_DEP_1) | instskip(NEXT) | instid1(VALU_DEP_1)
	v_subrev_nc_u32_e32 v2, 28, v1
	v_lshlrev_b64_e32 v[2:3], v2, v[54:55]
	s_delay_alu instid0(VALU_DEP_1)
	v_dual_sub_nc_u32 v1, 29, v1 :: v_dual_bitop2_b32 v54, 7, v2 bitop3:0x40
; %bb.246:                              ;   in Loop: Header=BB185_12 Depth=1
	s_or_b32 exec_lo, exec_lo, s45
	s_delay_alu instid0(VALU_DEP_1) | instskip(NEXT) | instid1(VALU_DEP_2)
	v_dual_lshlrev_b32 v2, 24, v0 :: v_dual_lshlrev_b32 v3, 20, v54
	v_lshl_add_u32 v1, v1, 23, 0x3c000000
	s_delay_alu instid0(VALU_DEP_2) | instskip(NEXT) | instid1(VALU_DEP_1)
	v_and_b32_e32 v2, 0x80000000, v2
	v_or3_b32 v54, v3, v2, v1
	s_delay_alu instid0(VALU_DEP_1)
	v_mov_b64_e32 v[122:123], v[54:55]
.LBB185_247:                            ;   in Loop: Header=BB185_12 Depth=1
	s_or_b32 exec_lo, exec_lo, s44
.LBB185_248:                            ;   in Loop: Header=BB185_12 Depth=1
	s_delay_alu instid0(SALU_CYCLE_1)
	s_or_b32 exec_lo, exec_lo, s43
.LBB185_249:                            ;   in Loop: Header=BB185_12 Depth=1
	s_delay_alu instid0(SALU_CYCLE_1) | instskip(SKIP_2) | instid1(VALU_DEP_1)
	s_or_b32 exec_lo, exec_lo, s42
	v_lshrrev_b16 v1, 8, v0
	s_mov_b32 s42, exec_lo
	v_cmpx_ne_u16_e32 0, v1
	s_cbranch_execz .LBB185_257
; %bb.250:                              ;   in Loop: Header=BB185_12 Depth=1
	v_mov_b64_e32 v[120:121], 0x8000000000000000
	s_mov_b32 s43, exec_lo
	v_cmpx_ne_u16_e32 0x80, v1
	s_cbranch_execz .LBB185_256
; %bb.251:                              ;   in Loop: Header=BB185_12 Depth=1
	v_and_b32_e32 v1, 0xffff, v1
	v_mov_b64_e32 v[120:121], 0x7f80000100000000
	s_mov_b32 s44, exec_lo
	s_delay_alu instid0(VALU_DEP_2) | instskip(NEXT) | instid1(VALU_DEP_1)
	v_and_b32_e32 v2, 0x7f, v1
	v_cmpx_ne_u32_e32 0x7f, v2
	s_cbranch_execz .LBB185_255
; %bb.252:                              ;   in Loop: Header=BB185_12 Depth=1
	v_dual_lshrrev_b32 v1, 3, v2 :: v_dual_bitop2_b32 v54, 7, v1 bitop3:0x40
	s_mov_b32 s45, exec_lo
	v_cmpx_gt_u32_e32 8, v2
; %bb.253:                              ;   in Loop: Header=BB185_12 Depth=1
	s_delay_alu instid0(VALU_DEP_2) | instskip(NEXT) | instid1(VALU_DEP_1)
	v_clz_i32_u32_e32 v1, v54
	v_min_u32_e32 v1, 32, v1
	s_delay_alu instid0(VALU_DEP_1) | instskip(NEXT) | instid1(VALU_DEP_1)
	v_subrev_nc_u32_e32 v2, 28, v1
	v_lshlrev_b64_e32 v[2:3], v2, v[54:55]
	s_delay_alu instid0(VALU_DEP_1)
	v_dual_sub_nc_u32 v1, 29, v1 :: v_dual_bitop2_b32 v54, 7, v2 bitop3:0x40
; %bb.254:                              ;   in Loop: Header=BB185_12 Depth=1
	s_or_b32 exec_lo, exec_lo, s45
	s_delay_alu instid0(VALU_DEP_1) | instskip(NEXT) | instid1(VALU_DEP_2)
	v_dual_lshlrev_b32 v0, 16, v0 :: v_dual_lshlrev_b32 v2, 20, v54
	v_lshl_add_u32 v1, v1, 23, 0x3c000000
	v_mov_b32_e32 v120, v55
	s_delay_alu instid0(VALU_DEP_3) | instskip(NEXT) | instid1(VALU_DEP_1)
	v_and_b32_e32 v0, 0x80000000, v0
	v_or3_b32 v121, v2, v0, v1
.LBB185_255:                            ;   in Loop: Header=BB185_12 Depth=1
	s_or_b32 exec_lo, exec_lo, s44
.LBB185_256:                            ;   in Loop: Header=BB185_12 Depth=1
	s_delay_alu instid0(SALU_CYCLE_1)
	s_or_b32 exec_lo, exec_lo, s43
.LBB185_257:                            ;   in Loop: Header=BB185_12 Depth=1
	s_delay_alu instid0(SALU_CYCLE_1)
	s_or_b32 exec_lo, exec_lo, s42
	global_load_u16 v1, v[70:71], off offset:780
	v_mov_b64_e32 v[124:125], 0
	v_mov_b64_e32 v[126:127], 0
	s_mov_b32 s42, exec_lo
	s_wait_loadcnt 0x0
	v_and_b32_e32 v0, 0xffff, v1
	v_and_b32_e32 v1, 0xff, v1
	s_wait_xcnt 0x0
	s_delay_alu instid0(VALU_DEP_1)
	v_cmpx_ne_u16_e32 0, v1
	s_cbranch_execz .LBB185_265
; %bb.258:                              ;   in Loop: Header=BB185_12 Depth=1
	v_mov_b64_e32 v[126:127], 0x80000000
	v_and_b32_e32 v1, 0xff, v0
	s_mov_b32 s43, exec_lo
	s_delay_alu instid0(VALU_DEP_1)
	v_cmpx_ne_u16_e32 0x80, v1
	s_cbranch_execz .LBB185_264
; %bb.259:                              ;   in Loop: Header=BB185_12 Depth=1
	v_mov_b64_e32 v[126:127], 0x7f800001
	v_and_b32_e32 v2, 0x7f, v0
	s_mov_b32 s44, exec_lo
	s_delay_alu instid0(VALU_DEP_1)
	v_cmpx_ne_u32_e32 0x7f, v2
	s_cbranch_execz .LBB185_263
; %bb.260:                              ;   in Loop: Header=BB185_12 Depth=1
	v_dual_lshrrev_b32 v1, 3, v2 :: v_dual_bitop2_b32 v54, 7, v0 bitop3:0x40
	s_mov_b32 s45, exec_lo
	v_cmpx_gt_u32_e32 8, v2
; %bb.261:                              ;   in Loop: Header=BB185_12 Depth=1
	s_delay_alu instid0(VALU_DEP_2) | instskip(NEXT) | instid1(VALU_DEP_1)
	v_clz_i32_u32_e32 v1, v54
	v_min_u32_e32 v1, 32, v1
	s_delay_alu instid0(VALU_DEP_1) | instskip(NEXT) | instid1(VALU_DEP_1)
	v_subrev_nc_u32_e32 v2, 28, v1
	v_lshlrev_b64_e32 v[2:3], v2, v[54:55]
	s_delay_alu instid0(VALU_DEP_1)
	v_dual_sub_nc_u32 v1, 29, v1 :: v_dual_bitop2_b32 v54, 7, v2 bitop3:0x40
; %bb.262:                              ;   in Loop: Header=BB185_12 Depth=1
	s_or_b32 exec_lo, exec_lo, s45
	s_delay_alu instid0(VALU_DEP_1) | instskip(NEXT) | instid1(VALU_DEP_2)
	v_dual_lshlrev_b32 v2, 24, v0 :: v_dual_lshlrev_b32 v3, 20, v54
	v_lshl_add_u32 v1, v1, 23, 0x3c000000
	s_delay_alu instid0(VALU_DEP_2) | instskip(NEXT) | instid1(VALU_DEP_1)
	v_and_b32_e32 v2, 0x80000000, v2
	v_or3_b32 v54, v3, v2, v1
	s_delay_alu instid0(VALU_DEP_1)
	v_mov_b64_e32 v[126:127], v[54:55]
.LBB185_263:                            ;   in Loop: Header=BB185_12 Depth=1
	s_or_b32 exec_lo, exec_lo, s44
.LBB185_264:                            ;   in Loop: Header=BB185_12 Depth=1
	s_delay_alu instid0(SALU_CYCLE_1)
	s_or_b32 exec_lo, exec_lo, s43
.LBB185_265:                            ;   in Loop: Header=BB185_12 Depth=1
	s_delay_alu instid0(SALU_CYCLE_1) | instskip(SKIP_2) | instid1(VALU_DEP_1)
	s_or_b32 exec_lo, exec_lo, s42
	v_lshrrev_b16 v1, 8, v0
	s_mov_b32 s42, exec_lo
	v_cmpx_ne_u16_e32 0, v1
	s_cbranch_execz .LBB185_273
; %bb.266:                              ;   in Loop: Header=BB185_12 Depth=1
	v_mov_b64_e32 v[124:125], 0x8000000000000000
	s_mov_b32 s43, exec_lo
	v_cmpx_ne_u16_e32 0x80, v1
	s_cbranch_execz .LBB185_272
; %bb.267:                              ;   in Loop: Header=BB185_12 Depth=1
	v_and_b32_e32 v1, 0xffff, v1
	v_mov_b64_e32 v[124:125], 0x7f80000100000000
	s_mov_b32 s44, exec_lo
	s_delay_alu instid0(VALU_DEP_2) | instskip(NEXT) | instid1(VALU_DEP_1)
	v_and_b32_e32 v2, 0x7f, v1
	v_cmpx_ne_u32_e32 0x7f, v2
	s_cbranch_execz .LBB185_271
; %bb.268:                              ;   in Loop: Header=BB185_12 Depth=1
	v_dual_lshrrev_b32 v1, 3, v2 :: v_dual_bitop2_b32 v54, 7, v1 bitop3:0x40
	s_mov_b32 s45, exec_lo
	v_cmpx_gt_u32_e32 8, v2
; %bb.269:                              ;   in Loop: Header=BB185_12 Depth=1
	s_delay_alu instid0(VALU_DEP_2) | instskip(NEXT) | instid1(VALU_DEP_1)
	v_clz_i32_u32_e32 v1, v54
	v_min_u32_e32 v1, 32, v1
	s_delay_alu instid0(VALU_DEP_1) | instskip(NEXT) | instid1(VALU_DEP_1)
	v_subrev_nc_u32_e32 v2, 28, v1
	v_lshlrev_b64_e32 v[2:3], v2, v[54:55]
	s_delay_alu instid0(VALU_DEP_1)
	v_dual_sub_nc_u32 v1, 29, v1 :: v_dual_bitop2_b32 v54, 7, v2 bitop3:0x40
; %bb.270:                              ;   in Loop: Header=BB185_12 Depth=1
	s_or_b32 exec_lo, exec_lo, s45
	s_delay_alu instid0(VALU_DEP_1) | instskip(NEXT) | instid1(VALU_DEP_2)
	v_dual_lshlrev_b32 v0, 16, v0 :: v_dual_lshlrev_b32 v2, 20, v54
	v_lshl_add_u32 v1, v1, 23, 0x3c000000
	v_mov_b32_e32 v124, v55
	s_delay_alu instid0(VALU_DEP_3) | instskip(NEXT) | instid1(VALU_DEP_1)
	v_and_b32_e32 v0, 0x80000000, v0
	v_or3_b32 v125, v2, v0, v1
.LBB185_271:                            ;   in Loop: Header=BB185_12 Depth=1
	s_or_b32 exec_lo, exec_lo, s44
.LBB185_272:                            ;   in Loop: Header=BB185_12 Depth=1
	s_delay_alu instid0(SALU_CYCLE_1)
	s_or_b32 exec_lo, exec_lo, s43
.LBB185_273:                            ;   in Loop: Header=BB185_12 Depth=1
	s_delay_alu instid0(SALU_CYCLE_1)
	s_or_b32 exec_lo, exec_lo, s42
	global_load_u16 v1, v[70:71], off offset:1024
	v_mov_b64_e32 v[56:57], 0
	v_mov_b64_e32 v[60:61], 0
	s_mov_b32 s42, exec_lo
	s_wait_loadcnt 0x0
	v_and_b32_e32 v0, 0xffff, v1
	v_and_b32_e32 v1, 0xff, v1
	s_wait_xcnt 0x0
	s_delay_alu instid0(VALU_DEP_1)
	v_cmpx_ne_u16_e32 0, v1
	s_cbranch_execz .LBB185_281
; %bb.274:                              ;   in Loop: Header=BB185_12 Depth=1
	v_mov_b64_e32 v[60:61], 0x80000000
	v_and_b32_e32 v1, 0xff, v0
	s_mov_b32 s43, exec_lo
	s_delay_alu instid0(VALU_DEP_1)
	v_cmpx_ne_u16_e32 0x80, v1
	s_cbranch_execz .LBB185_280
; %bb.275:                              ;   in Loop: Header=BB185_12 Depth=1
	v_mov_b64_e32 v[60:61], 0x7f800001
	v_and_b32_e32 v2, 0x7f, v0
	s_mov_b32 s44, exec_lo
	s_delay_alu instid0(VALU_DEP_1)
	v_cmpx_ne_u32_e32 0x7f, v2
	s_cbranch_execz .LBB185_279
; %bb.276:                              ;   in Loop: Header=BB185_12 Depth=1
	v_dual_lshrrev_b32 v1, 3, v2 :: v_dual_bitop2_b32 v54, 7, v0 bitop3:0x40
	s_mov_b32 s45, exec_lo
	v_cmpx_gt_u32_e32 8, v2
; %bb.277:                              ;   in Loop: Header=BB185_12 Depth=1
	s_delay_alu instid0(VALU_DEP_2) | instskip(NEXT) | instid1(VALU_DEP_1)
	v_clz_i32_u32_e32 v1, v54
	v_min_u32_e32 v1, 32, v1
	s_delay_alu instid0(VALU_DEP_1) | instskip(NEXT) | instid1(VALU_DEP_1)
	v_subrev_nc_u32_e32 v2, 28, v1
	v_lshlrev_b64_e32 v[2:3], v2, v[54:55]
	s_delay_alu instid0(VALU_DEP_1)
	v_dual_sub_nc_u32 v1, 29, v1 :: v_dual_bitop2_b32 v54, 7, v2 bitop3:0x40
; %bb.278:                              ;   in Loop: Header=BB185_12 Depth=1
	s_or_b32 exec_lo, exec_lo, s45
	s_delay_alu instid0(VALU_DEP_1) | instskip(NEXT) | instid1(VALU_DEP_2)
	v_dual_lshlrev_b32 v2, 24, v0 :: v_dual_lshlrev_b32 v3, 20, v54
	v_lshl_add_u32 v1, v1, 23, 0x3c000000
	s_delay_alu instid0(VALU_DEP_2) | instskip(NEXT) | instid1(VALU_DEP_1)
	v_and_b32_e32 v2, 0x80000000, v2
	v_or3_b32 v54, v3, v2, v1
	s_delay_alu instid0(VALU_DEP_1)
	v_mov_b64_e32 v[60:61], v[54:55]
.LBB185_279:                            ;   in Loop: Header=BB185_12 Depth=1
	s_or_b32 exec_lo, exec_lo, s44
.LBB185_280:                            ;   in Loop: Header=BB185_12 Depth=1
	s_delay_alu instid0(SALU_CYCLE_1)
	s_or_b32 exec_lo, exec_lo, s43
.LBB185_281:                            ;   in Loop: Header=BB185_12 Depth=1
	s_delay_alu instid0(SALU_CYCLE_1) | instskip(SKIP_2) | instid1(VALU_DEP_1)
	s_or_b32 exec_lo, exec_lo, s42
	v_lshrrev_b16 v1, 8, v0
	s_mov_b32 s42, exec_lo
	v_cmpx_ne_u16_e32 0, v1
	s_cbranch_execz .LBB185_289
; %bb.282:                              ;   in Loop: Header=BB185_12 Depth=1
	v_mov_b64_e32 v[56:57], 0x8000000000000000
	s_mov_b32 s43, exec_lo
	v_cmpx_ne_u16_e32 0x80, v1
	s_cbranch_execz .LBB185_288
; %bb.283:                              ;   in Loop: Header=BB185_12 Depth=1
	v_and_b32_e32 v1, 0xffff, v1
	v_mov_b64_e32 v[56:57], 0x7f80000100000000
	s_mov_b32 s44, exec_lo
	s_delay_alu instid0(VALU_DEP_2) | instskip(NEXT) | instid1(VALU_DEP_1)
	v_and_b32_e32 v2, 0x7f, v1
	v_cmpx_ne_u32_e32 0x7f, v2
	s_cbranch_execz .LBB185_287
; %bb.284:                              ;   in Loop: Header=BB185_12 Depth=1
	v_dual_lshrrev_b32 v1, 3, v2 :: v_dual_bitop2_b32 v54, 7, v1 bitop3:0x40
	s_mov_b32 s45, exec_lo
	v_cmpx_gt_u32_e32 8, v2
; %bb.285:                              ;   in Loop: Header=BB185_12 Depth=1
	s_delay_alu instid0(VALU_DEP_2) | instskip(NEXT) | instid1(VALU_DEP_1)
	v_clz_i32_u32_e32 v1, v54
	v_min_u32_e32 v1, 32, v1
	s_delay_alu instid0(VALU_DEP_1) | instskip(NEXT) | instid1(VALU_DEP_1)
	v_subrev_nc_u32_e32 v2, 28, v1
	v_lshlrev_b64_e32 v[2:3], v2, v[54:55]
	s_delay_alu instid0(VALU_DEP_1)
	v_dual_sub_nc_u32 v1, 29, v1 :: v_dual_bitop2_b32 v54, 7, v2 bitop3:0x40
; %bb.286:                              ;   in Loop: Header=BB185_12 Depth=1
	s_or_b32 exec_lo, exec_lo, s45
	s_delay_alu instid0(VALU_DEP_1) | instskip(NEXT) | instid1(VALU_DEP_2)
	v_dual_lshlrev_b32 v0, 16, v0 :: v_dual_lshlrev_b32 v2, 20, v54
	v_lshl_add_u32 v1, v1, 23, 0x3c000000
	v_mov_b32_e32 v56, v55
	s_delay_alu instid0(VALU_DEP_3) | instskip(NEXT) | instid1(VALU_DEP_1)
	v_and_b32_e32 v0, 0x80000000, v0
	v_or3_b32 v57, v2, v0, v1
.LBB185_287:                            ;   in Loop: Header=BB185_12 Depth=1
	s_or_b32 exec_lo, exec_lo, s44
.LBB185_288:                            ;   in Loop: Header=BB185_12 Depth=1
	s_delay_alu instid0(SALU_CYCLE_1)
	s_or_b32 exec_lo, exec_lo, s43
.LBB185_289:                            ;   in Loop: Header=BB185_12 Depth=1
	s_delay_alu instid0(SALU_CYCLE_1)
	s_or_b32 exec_lo, exec_lo, s42
	global_load_u16 v0, v[70:71], off offset:1028
	v_mov_b64_e32 v[64:65], 0
	s_wait_loadcnt 0x0
	v_and_b32_e32 v2, 0xffff, v0
	v_and_b32_e32 v0, 0xff, v0
	s_delay_alu instid0(VALU_DEP_1)
	v_cmp_ne_u16_e64 s4, 0, v0
	v_mov_b64_e32 v[0:1], 0
	s_wait_xcnt 0x0
	s_and_saveexec_b32 s42, s4
	s_cbranch_execz .LBB185_297
; %bb.290:                              ;   in Loop: Header=BB185_12 Depth=1
	v_mov_b64_e32 v[64:65], 0x80000000
	v_and_b32_e32 v3, 0xff, v2
	s_mov_b32 s43, exec_lo
	s_delay_alu instid0(VALU_DEP_1)
	v_cmpx_ne_u16_e32 0x80, v3
	s_cbranch_execz .LBB185_296
; %bb.291:                              ;   in Loop: Header=BB185_12 Depth=1
	v_mov_b64_e32 v[64:65], 0x7f800001
	v_and_b32_e32 v4, 0x7f, v2
	s_mov_b32 s44, exec_lo
	s_delay_alu instid0(VALU_DEP_1)
	v_cmpx_ne_u32_e32 0x7f, v4
	s_cbranch_execz .LBB185_295
; %bb.292:                              ;   in Loop: Header=BB185_12 Depth=1
	v_dual_lshrrev_b32 v3, 3, v4 :: v_dual_bitop2_b32 v54, 7, v2 bitop3:0x40
	s_mov_b32 s45, exec_lo
	v_cmpx_gt_u32_e32 8, v4
; %bb.293:                              ;   in Loop: Header=BB185_12 Depth=1
	s_delay_alu instid0(VALU_DEP_2) | instskip(NEXT) | instid1(VALU_DEP_1)
	v_clz_i32_u32_e32 v3, v54
	v_min_u32_e32 v3, 32, v3
	s_delay_alu instid0(VALU_DEP_1) | instskip(NEXT) | instid1(VALU_DEP_1)
	v_subrev_nc_u32_e32 v4, 28, v3
	v_lshlrev_b64_e32 v[4:5], v4, v[54:55]
	s_delay_alu instid0(VALU_DEP_1)
	v_dual_sub_nc_u32 v3, 29, v3 :: v_dual_bitop2_b32 v54, 7, v4 bitop3:0x40
; %bb.294:                              ;   in Loop: Header=BB185_12 Depth=1
	s_or_b32 exec_lo, exec_lo, s45
	v_lshlrev_b32_e32 v4, 24, v2
	s_delay_alu instid0(VALU_DEP_2) | instskip(NEXT) | instid1(VALU_DEP_3)
	v_lshlrev_b32_e32 v5, 20, v54
	v_lshl_add_u32 v3, v3, 23, 0x3c000000
	s_delay_alu instid0(VALU_DEP_3) | instskip(NEXT) | instid1(VALU_DEP_1)
	v_and_b32_e32 v4, 0x80000000, v4
	v_or3_b32 v54, v5, v4, v3
	s_delay_alu instid0(VALU_DEP_1)
	v_mov_b64_e32 v[64:65], v[54:55]
.LBB185_295:                            ;   in Loop: Header=BB185_12 Depth=1
	s_or_b32 exec_lo, exec_lo, s44
.LBB185_296:                            ;   in Loop: Header=BB185_12 Depth=1
	s_delay_alu instid0(SALU_CYCLE_1)
	s_or_b32 exec_lo, exec_lo, s43
.LBB185_297:                            ;   in Loop: Header=BB185_12 Depth=1
	s_delay_alu instid0(SALU_CYCLE_1) | instskip(SKIP_2) | instid1(VALU_DEP_1)
	s_or_b32 exec_lo, exec_lo, s42
	v_lshrrev_b16 v3, 8, v2
	s_mov_b32 s42, exec_lo
	v_cmpx_ne_u16_e32 0, v3
	s_cbranch_execz .LBB185_305
; %bb.298:                              ;   in Loop: Header=BB185_12 Depth=1
	v_mov_b64_e32 v[0:1], 0x8000000000000000
	s_mov_b32 s43, exec_lo
	v_cmpx_ne_u16_e32 0x80, v3
	s_cbranch_execz .LBB185_304
; %bb.299:                              ;   in Loop: Header=BB185_12 Depth=1
	v_and_b32_e32 v4, 0xffff, v3
	v_mov_b64_e32 v[0:1], 0x7f80000100000000
	s_mov_b32 s44, exec_lo
	s_delay_alu instid0(VALU_DEP_2) | instskip(NEXT) | instid1(VALU_DEP_1)
	v_and_b32_e32 v3, 0x7f, v4
	v_cmpx_ne_u32_e32 0x7f, v3
	s_cbranch_execz .LBB185_303
; %bb.300:                              ;   in Loop: Header=BB185_12 Depth=1
	v_dual_lshrrev_b32 v0, 3, v3 :: v_dual_bitop2_b32 v54, 7, v4 bitop3:0x40
	s_mov_b32 s45, exec_lo
	v_cmpx_gt_u32_e32 8, v3
; %bb.301:                              ;   in Loop: Header=BB185_12 Depth=1
	s_delay_alu instid0(VALU_DEP_2) | instskip(NEXT) | instid1(VALU_DEP_1)
	v_clz_i32_u32_e32 v0, v54
	v_min_u32_e32 v0, 32, v0
	s_delay_alu instid0(VALU_DEP_1) | instskip(SKIP_1) | instid1(VALU_DEP_2)
	v_subrev_nc_u32_e32 v1, 28, v0
	v_sub_nc_u32_e32 v0, 29, v0
	v_lshlrev_b64_e32 v[4:5], v1, v[54:55]
	s_delay_alu instid0(VALU_DEP_1)
	v_and_b32_e32 v54, 7, v4
; %bb.302:                              ;   in Loop: Header=BB185_12 Depth=1
	s_or_b32 exec_lo, exec_lo, s45
	v_lshlrev_b32_e32 v1, 16, v2
	s_delay_alu instid0(VALU_DEP_2) | instskip(SKIP_1) | instid1(VALU_DEP_3)
	v_lshlrev_b32_e32 v2, 20, v54
	v_lshl_add_u32 v0, v0, 23, 0x3c000000
	v_and_b32_e32 v1, 0x80000000, v1
	s_delay_alu instid0(VALU_DEP_1)
	v_or3_b32 v1, v2, v1, v0
	v_mov_b32_e32 v0, v55
.LBB185_303:                            ;   in Loop: Header=BB185_12 Depth=1
	s_or_b32 exec_lo, exec_lo, s44
.LBB185_304:                            ;   in Loop: Header=BB185_12 Depth=1
	s_delay_alu instid0(SALU_CYCLE_1)
	s_or_b32 exec_lo, exec_lo, s43
.LBB185_305:                            ;   in Loop: Header=BB185_12 Depth=1
	s_delay_alu instid0(SALU_CYCLE_1)
	s_or_b32 exec_lo, exec_lo, s42
	global_load_u16 v3, v[70:71], off offset:1032
	v_mov_b64_e32 v[68:69], 0
	v_mov_b64_e32 v[62:63], 0
	s_mov_b32 s42, exec_lo
	s_wait_loadcnt 0x0
	v_and_b32_e32 v2, 0xffff, v3
	v_and_b32_e32 v3, 0xff, v3
	s_wait_xcnt 0x0
	s_delay_alu instid0(VALU_DEP_1)
	v_cmpx_ne_u16_e32 0, v3
	s_cbranch_execz .LBB185_313
; %bb.306:                              ;   in Loop: Header=BB185_12 Depth=1
	v_mov_b64_e32 v[62:63], 0x80000000
	v_and_b32_e32 v3, 0xff, v2
	s_mov_b32 s43, exec_lo
	s_delay_alu instid0(VALU_DEP_1)
	v_cmpx_ne_u16_e32 0x80, v3
	s_cbranch_execz .LBB185_312
; %bb.307:                              ;   in Loop: Header=BB185_12 Depth=1
	v_mov_b64_e32 v[62:63], 0x7f800001
	v_and_b32_e32 v4, 0x7f, v2
	s_mov_b32 s44, exec_lo
	s_delay_alu instid0(VALU_DEP_1)
	v_cmpx_ne_u32_e32 0x7f, v4
	s_cbranch_execz .LBB185_311
; %bb.308:                              ;   in Loop: Header=BB185_12 Depth=1
	v_dual_lshrrev_b32 v3, 3, v4 :: v_dual_bitop2_b32 v54, 7, v2 bitop3:0x40
	s_mov_b32 s45, exec_lo
	v_cmpx_gt_u32_e32 8, v4
; %bb.309:                              ;   in Loop: Header=BB185_12 Depth=1
	s_delay_alu instid0(VALU_DEP_2) | instskip(NEXT) | instid1(VALU_DEP_1)
	v_clz_i32_u32_e32 v3, v54
	v_min_u32_e32 v3, 32, v3
	s_delay_alu instid0(VALU_DEP_1) | instskip(NEXT) | instid1(VALU_DEP_1)
	v_subrev_nc_u32_e32 v4, 28, v3
	v_lshlrev_b64_e32 v[4:5], v4, v[54:55]
	s_delay_alu instid0(VALU_DEP_1)
	v_dual_sub_nc_u32 v3, 29, v3 :: v_dual_bitop2_b32 v54, 7, v4 bitop3:0x40
; %bb.310:                              ;   in Loop: Header=BB185_12 Depth=1
	s_or_b32 exec_lo, exec_lo, s45
	v_lshlrev_b32_e32 v4, 24, v2
	s_delay_alu instid0(VALU_DEP_2) | instskip(NEXT) | instid1(VALU_DEP_3)
	v_lshlrev_b32_e32 v5, 20, v54
	v_lshl_add_u32 v3, v3, 23, 0x3c000000
	s_delay_alu instid0(VALU_DEP_3) | instskip(NEXT) | instid1(VALU_DEP_1)
	v_and_b32_e32 v4, 0x80000000, v4
	v_or3_b32 v54, v5, v4, v3
	s_delay_alu instid0(VALU_DEP_1)
	v_mov_b64_e32 v[62:63], v[54:55]
.LBB185_311:                            ;   in Loop: Header=BB185_12 Depth=1
	s_or_b32 exec_lo, exec_lo, s44
.LBB185_312:                            ;   in Loop: Header=BB185_12 Depth=1
	s_delay_alu instid0(SALU_CYCLE_1)
	s_or_b32 exec_lo, exec_lo, s43
.LBB185_313:                            ;   in Loop: Header=BB185_12 Depth=1
	s_delay_alu instid0(SALU_CYCLE_1) | instskip(SKIP_2) | instid1(VALU_DEP_1)
	s_or_b32 exec_lo, exec_lo, s42
	v_lshrrev_b16 v3, 8, v2
	s_mov_b32 s42, exec_lo
	v_cmpx_ne_u16_e32 0, v3
	s_cbranch_execz .LBB185_321
; %bb.314:                              ;   in Loop: Header=BB185_12 Depth=1
	v_mov_b64_e32 v[68:69], 0x8000000000000000
	s_mov_b32 s43, exec_lo
	v_cmpx_ne_u16_e32 0x80, v3
	s_cbranch_execz .LBB185_320
; %bb.315:                              ;   in Loop: Header=BB185_12 Depth=1
	v_and_b32_e32 v3, 0xffff, v3
	v_mov_b64_e32 v[68:69], 0x7f80000100000000
	s_mov_b32 s44, exec_lo
	s_delay_alu instid0(VALU_DEP_2) | instskip(NEXT) | instid1(VALU_DEP_1)
	v_and_b32_e32 v4, 0x7f, v3
	v_cmpx_ne_u32_e32 0x7f, v4
	s_cbranch_execz .LBB185_319
; %bb.316:                              ;   in Loop: Header=BB185_12 Depth=1
	v_dual_lshrrev_b32 v3, 3, v4 :: v_dual_bitop2_b32 v54, 7, v3 bitop3:0x40
	s_mov_b32 s45, exec_lo
	v_cmpx_gt_u32_e32 8, v4
; %bb.317:                              ;   in Loop: Header=BB185_12 Depth=1
	s_delay_alu instid0(VALU_DEP_2) | instskip(NEXT) | instid1(VALU_DEP_1)
	v_clz_i32_u32_e32 v3, v54
	v_min_u32_e32 v3, 32, v3
	s_delay_alu instid0(VALU_DEP_1) | instskip(NEXT) | instid1(VALU_DEP_1)
	v_subrev_nc_u32_e32 v4, 28, v3
	v_lshlrev_b64_e32 v[4:5], v4, v[54:55]
	s_delay_alu instid0(VALU_DEP_1)
	v_dual_sub_nc_u32 v3, 29, v3 :: v_dual_bitop2_b32 v54, 7, v4 bitop3:0x40
; %bb.318:                              ;   in Loop: Header=BB185_12 Depth=1
	s_or_b32 exec_lo, exec_lo, s45
	v_dual_lshlrev_b32 v2, 16, v2 :: v_dual_mov_b32 v68, v55
	s_delay_alu instid0(VALU_DEP_2) | instskip(NEXT) | instid1(VALU_DEP_3)
	v_lshlrev_b32_e32 v4, 20, v54
	v_lshl_add_u32 v3, v3, 23, 0x3c000000
	s_delay_alu instid0(VALU_DEP_3) | instskip(NEXT) | instid1(VALU_DEP_1)
	v_and_b32_e32 v2, 0x80000000, v2
	v_or3_b32 v69, v4, v2, v3
.LBB185_319:                            ;   in Loop: Header=BB185_12 Depth=1
	s_or_b32 exec_lo, exec_lo, s44
.LBB185_320:                            ;   in Loop: Header=BB185_12 Depth=1
	s_delay_alu instid0(SALU_CYCLE_1)
	s_or_b32 exec_lo, exec_lo, s43
.LBB185_321:                            ;   in Loop: Header=BB185_12 Depth=1
	s_delay_alu instid0(SALU_CYCLE_1)
	s_or_b32 exec_lo, exec_lo, s42
	global_load_u16 v3, v[70:71], off offset:1036
	v_mov_b64_e32 v[66:67], 0
	v_mov_b64_e32 v[74:75], 0
	s_mov_b32 s42, exec_lo
	s_wait_loadcnt 0x0
	v_and_b32_e32 v2, 0xffff, v3
	v_and_b32_e32 v3, 0xff, v3
	s_wait_xcnt 0x0
	s_delay_alu instid0(VALU_DEP_1)
	v_cmpx_ne_u16_e32 0, v3
	s_cbranch_execz .LBB185_329
; %bb.322:                              ;   in Loop: Header=BB185_12 Depth=1
	v_mov_b64_e32 v[74:75], 0x80000000
	v_and_b32_e32 v3, 0xff, v2
	s_mov_b32 s43, exec_lo
	s_delay_alu instid0(VALU_DEP_1)
	v_cmpx_ne_u16_e32 0x80, v3
	s_cbranch_execz .LBB185_328
; %bb.323:                              ;   in Loop: Header=BB185_12 Depth=1
	v_mov_b64_e32 v[74:75], 0x7f800001
	v_and_b32_e32 v4, 0x7f, v2
	s_mov_b32 s44, exec_lo
	s_delay_alu instid0(VALU_DEP_1)
	v_cmpx_ne_u32_e32 0x7f, v4
	s_cbranch_execz .LBB185_327
; %bb.324:                              ;   in Loop: Header=BB185_12 Depth=1
	v_dual_lshrrev_b32 v3, 3, v4 :: v_dual_bitop2_b32 v54, 7, v2 bitop3:0x40
	s_mov_b32 s45, exec_lo
	v_cmpx_gt_u32_e32 8, v4
; %bb.325:                              ;   in Loop: Header=BB185_12 Depth=1
	s_delay_alu instid0(VALU_DEP_2) | instskip(NEXT) | instid1(VALU_DEP_1)
	v_clz_i32_u32_e32 v3, v54
	v_min_u32_e32 v3, 32, v3
	s_delay_alu instid0(VALU_DEP_1) | instskip(NEXT) | instid1(VALU_DEP_1)
	v_subrev_nc_u32_e32 v4, 28, v3
	v_lshlrev_b64_e32 v[4:5], v4, v[54:55]
	s_delay_alu instid0(VALU_DEP_1)
	v_dual_sub_nc_u32 v3, 29, v3 :: v_dual_bitop2_b32 v54, 7, v4 bitop3:0x40
; %bb.326:                              ;   in Loop: Header=BB185_12 Depth=1
	s_or_b32 exec_lo, exec_lo, s45
	v_lshlrev_b32_e32 v4, 24, v2
	s_delay_alu instid0(VALU_DEP_2) | instskip(NEXT) | instid1(VALU_DEP_3)
	v_lshlrev_b32_e32 v5, 20, v54
	v_lshl_add_u32 v3, v3, 23, 0x3c000000
	s_delay_alu instid0(VALU_DEP_3) | instskip(NEXT) | instid1(VALU_DEP_1)
	v_and_b32_e32 v4, 0x80000000, v4
	v_or3_b32 v54, v5, v4, v3
	s_delay_alu instid0(VALU_DEP_1)
	v_mov_b64_e32 v[74:75], v[54:55]
.LBB185_327:                            ;   in Loop: Header=BB185_12 Depth=1
	s_or_b32 exec_lo, exec_lo, s44
.LBB185_328:                            ;   in Loop: Header=BB185_12 Depth=1
	s_delay_alu instid0(SALU_CYCLE_1)
	s_or_b32 exec_lo, exec_lo, s43
.LBB185_329:                            ;   in Loop: Header=BB185_12 Depth=1
	s_delay_alu instid0(SALU_CYCLE_1) | instskip(SKIP_2) | instid1(VALU_DEP_1)
	s_or_b32 exec_lo, exec_lo, s42
	v_lshrrev_b16 v3, 8, v2
	s_mov_b32 s42, exec_lo
	v_cmpx_ne_u16_e32 0, v3
	s_cbranch_execz .LBB185_337
; %bb.330:                              ;   in Loop: Header=BB185_12 Depth=1
	v_mov_b64_e32 v[66:67], 0x8000000000000000
	s_mov_b32 s43, exec_lo
	v_cmpx_ne_u16_e32 0x80, v3
	s_cbranch_execz .LBB185_336
; %bb.331:                              ;   in Loop: Header=BB185_12 Depth=1
	v_and_b32_e32 v3, 0xffff, v3
	v_mov_b64_e32 v[66:67], 0x7f80000100000000
	s_mov_b32 s44, exec_lo
	s_delay_alu instid0(VALU_DEP_2) | instskip(NEXT) | instid1(VALU_DEP_1)
	v_and_b32_e32 v4, 0x7f, v3
	v_cmpx_ne_u32_e32 0x7f, v4
	s_cbranch_execz .LBB185_335
; %bb.332:                              ;   in Loop: Header=BB185_12 Depth=1
	v_dual_lshrrev_b32 v3, 3, v4 :: v_dual_bitop2_b32 v54, 7, v3 bitop3:0x40
	s_mov_b32 s45, exec_lo
	v_cmpx_gt_u32_e32 8, v4
; %bb.333:                              ;   in Loop: Header=BB185_12 Depth=1
	s_delay_alu instid0(VALU_DEP_2) | instskip(NEXT) | instid1(VALU_DEP_1)
	v_clz_i32_u32_e32 v3, v54
	v_min_u32_e32 v3, 32, v3
	s_delay_alu instid0(VALU_DEP_1) | instskip(NEXT) | instid1(VALU_DEP_1)
	v_subrev_nc_u32_e32 v4, 28, v3
	v_lshlrev_b64_e32 v[4:5], v4, v[54:55]
	s_delay_alu instid0(VALU_DEP_1)
	v_dual_sub_nc_u32 v3, 29, v3 :: v_dual_bitop2_b32 v54, 7, v4 bitop3:0x40
; %bb.334:                              ;   in Loop: Header=BB185_12 Depth=1
	s_or_b32 exec_lo, exec_lo, s45
	v_dual_lshlrev_b32 v2, 16, v2 :: v_dual_mov_b32 v66, v55
	s_delay_alu instid0(VALU_DEP_2) | instskip(NEXT) | instid1(VALU_DEP_3)
	v_lshlrev_b32_e32 v4, 20, v54
	v_lshl_add_u32 v3, v3, 23, 0x3c000000
	s_delay_alu instid0(VALU_DEP_3) | instskip(NEXT) | instid1(VALU_DEP_1)
	v_and_b32_e32 v2, 0x80000000, v2
	v_or3_b32 v67, v4, v2, v3
.LBB185_335:                            ;   in Loop: Header=BB185_12 Depth=1
	s_or_b32 exec_lo, exec_lo, s44
.LBB185_336:                            ;   in Loop: Header=BB185_12 Depth=1
	s_delay_alu instid0(SALU_CYCLE_1)
	s_or_b32 exec_lo, exec_lo, s43
.LBB185_337:                            ;   in Loop: Header=BB185_12 Depth=1
	s_delay_alu instid0(SALU_CYCLE_1)
	s_or_b32 exec_lo, exec_lo, s42
	global_load_u16 v2, v[70:71], off offset:1280
	v_mov_b64_e32 v[78:79], 0
	s_wait_loadcnt 0x0
	v_and_b32_e32 v4, 0xffff, v2
	v_and_b32_e32 v2, 0xff, v2
	s_delay_alu instid0(VALU_DEP_1)
	v_cmp_ne_u16_e64 s4, 0, v2
	v_mov_b64_e32 v[2:3], 0
	s_wait_xcnt 0x0
	s_and_saveexec_b32 s42, s4
	s_cbranch_execz .LBB185_345
; %bb.338:                              ;   in Loop: Header=BB185_12 Depth=1
	v_and_b32_e32 v2, 0xff, v4
	s_delay_alu instid0(VALU_DEP_1)
	v_cmp_ne_u16_e64 s4, 0x80, v2
	v_mov_b64_e32 v[2:3], 0x80000000
	s_and_saveexec_b32 s43, s4
	s_cbranch_execz .LBB185_344
; %bb.339:                              ;   in Loop: Header=BB185_12 Depth=1
	v_mov_b64_e32 v[2:3], 0x7f800001
	v_and_b32_e32 v5, 0x7f, v4
	s_mov_b32 s44, exec_lo
	s_delay_alu instid0(VALU_DEP_1)
	v_cmpx_ne_u32_e32 0x7f, v5
	s_cbranch_execz .LBB185_343
; %bb.340:                              ;   in Loop: Header=BB185_12 Depth=1
	v_dual_lshrrev_b32 v2, 3, v5 :: v_dual_bitop2_b32 v54, 7, v4 bitop3:0x40
	s_mov_b32 s45, exec_lo
	v_cmpx_gt_u32_e32 8, v5
; %bb.341:                              ;   in Loop: Header=BB185_12 Depth=1
	s_delay_alu instid0(VALU_DEP_2) | instskip(NEXT) | instid1(VALU_DEP_1)
	v_clz_i32_u32_e32 v2, v54
	v_min_u32_e32 v2, 32, v2
	s_delay_alu instid0(VALU_DEP_1) | instskip(SKIP_1) | instid1(VALU_DEP_2)
	v_subrev_nc_u32_e32 v3, 28, v2
	v_sub_nc_u32_e32 v2, 29, v2
	v_lshlrev_b64_e32 v[6:7], v3, v[54:55]
	s_delay_alu instid0(VALU_DEP_1)
	v_and_b32_e32 v54, 7, v6
; %bb.342:                              ;   in Loop: Header=BB185_12 Depth=1
	s_or_b32 exec_lo, exec_lo, s45
	s_delay_alu instid0(VALU_DEP_1) | instskip(SKIP_1) | instid1(VALU_DEP_2)
	v_dual_lshlrev_b32 v3, 24, v4 :: v_dual_lshlrev_b32 v5, 20, v54
	v_lshl_add_u32 v2, v2, 23, 0x3c000000
	v_and_b32_e32 v3, 0x80000000, v3
	s_delay_alu instid0(VALU_DEP_1) | instskip(NEXT) | instid1(VALU_DEP_1)
	v_or3_b32 v54, v5, v3, v2
	v_mov_b64_e32 v[2:3], v[54:55]
.LBB185_343:                            ;   in Loop: Header=BB185_12 Depth=1
	s_or_b32 exec_lo, exec_lo, s44
.LBB185_344:                            ;   in Loop: Header=BB185_12 Depth=1
	s_delay_alu instid0(SALU_CYCLE_1)
	s_or_b32 exec_lo, exec_lo, s43
.LBB185_345:                            ;   in Loop: Header=BB185_12 Depth=1
	s_delay_alu instid0(SALU_CYCLE_1) | instskip(SKIP_2) | instid1(VALU_DEP_1)
	s_or_b32 exec_lo, exec_lo, s42
	v_lshrrev_b16 v5, 8, v4
	s_mov_b32 s42, exec_lo
	v_cmpx_ne_u16_e32 0, v5
	s_cbranch_execz .LBB185_353
; %bb.346:                              ;   in Loop: Header=BB185_12 Depth=1
	v_mov_b64_e32 v[78:79], 0x8000000000000000
	s_mov_b32 s43, exec_lo
	v_cmpx_ne_u16_e32 0x80, v5
	s_cbranch_execz .LBB185_352
; %bb.347:                              ;   in Loop: Header=BB185_12 Depth=1
	v_and_b32_e32 v5, 0xffff, v5
	v_mov_b64_e32 v[78:79], 0x7f80000100000000
	s_mov_b32 s44, exec_lo
	s_delay_alu instid0(VALU_DEP_2) | instskip(NEXT) | instid1(VALU_DEP_1)
	v_and_b32_e32 v6, 0x7f, v5
	v_cmpx_ne_u32_e32 0x7f, v6
	s_cbranch_execz .LBB185_351
; %bb.348:                              ;   in Loop: Header=BB185_12 Depth=1
	v_dual_lshrrev_b32 v5, 3, v6 :: v_dual_bitop2_b32 v54, 7, v5 bitop3:0x40
	s_mov_b32 s45, exec_lo
	v_cmpx_gt_u32_e32 8, v6
; %bb.349:                              ;   in Loop: Header=BB185_12 Depth=1
	s_delay_alu instid0(VALU_DEP_2) | instskip(NEXT) | instid1(VALU_DEP_1)
	v_clz_i32_u32_e32 v5, v54
	v_min_u32_e32 v5, 32, v5
	s_delay_alu instid0(VALU_DEP_1) | instskip(NEXT) | instid1(VALU_DEP_1)
	v_subrev_nc_u32_e32 v6, 28, v5
	v_lshlrev_b64_e32 v[6:7], v6, v[54:55]
	s_delay_alu instid0(VALU_DEP_1)
	v_dual_sub_nc_u32 v5, 29, v5 :: v_dual_bitop2_b32 v54, 7, v6 bitop3:0x40
; %bb.350:                              ;   in Loop: Header=BB185_12 Depth=1
	s_or_b32 exec_lo, exec_lo, s45
	s_delay_alu instid0(VALU_DEP_1) | instskip(NEXT) | instid1(VALU_DEP_2)
	v_dual_lshlrev_b32 v4, 16, v4 :: v_dual_lshlrev_b32 v6, 20, v54
	v_lshl_add_u32 v5, v5, 23, 0x3c000000
	v_mov_b32_e32 v78, v55
	s_delay_alu instid0(VALU_DEP_3) | instskip(NEXT) | instid1(VALU_DEP_1)
	v_and_b32_e32 v4, 0x80000000, v4
	v_or3_b32 v79, v6, v4, v5
.LBB185_351:                            ;   in Loop: Header=BB185_12 Depth=1
	s_or_b32 exec_lo, exec_lo, s44
.LBB185_352:                            ;   in Loop: Header=BB185_12 Depth=1
	s_delay_alu instid0(SALU_CYCLE_1)
	s_or_b32 exec_lo, exec_lo, s43
.LBB185_353:                            ;   in Loop: Header=BB185_12 Depth=1
	s_delay_alu instid0(SALU_CYCLE_1)
	s_or_b32 exec_lo, exec_lo, s42
	global_load_u16 v4, v[70:71], off offset:1284
	v_mov_b64_e32 v[6:7], 0
	s_wait_loadcnt 0x0
	v_and_b32_e32 v8, 0xffff, v4
	v_and_b32_e32 v4, 0xff, v4
	s_delay_alu instid0(VALU_DEP_1)
	v_cmp_ne_u16_e64 s4, 0, v4
	v_mov_b64_e32 v[4:5], 0
	s_wait_xcnt 0x0
	s_and_saveexec_b32 s42, s4
	s_cbranch_execz .LBB185_361
; %bb.354:                              ;   in Loop: Header=BB185_12 Depth=1
	v_and_b32_e32 v6, 0xff, v8
	s_delay_alu instid0(VALU_DEP_1)
	v_cmp_ne_u16_e64 s4, 0x80, v6
	v_mov_b64_e32 v[6:7], 0x80000000
	s_and_saveexec_b32 s43, s4
	s_cbranch_execz .LBB185_360
; %bb.355:                              ;   in Loop: Header=BB185_12 Depth=1
	v_mov_b64_e32 v[6:7], 0x7f800001
	v_and_b32_e32 v9, 0x7f, v8
	s_mov_b32 s44, exec_lo
	s_delay_alu instid0(VALU_DEP_1)
	v_cmpx_ne_u32_e32 0x7f, v9
	s_cbranch_execz .LBB185_359
; %bb.356:                              ;   in Loop: Header=BB185_12 Depth=1
	v_dual_lshrrev_b32 v6, 3, v9 :: v_dual_bitop2_b32 v54, 7, v8 bitop3:0x40
	s_mov_b32 s45, exec_lo
	v_cmpx_gt_u32_e32 8, v9
; %bb.357:                              ;   in Loop: Header=BB185_12 Depth=1
	s_delay_alu instid0(VALU_DEP_2) | instskip(NEXT) | instid1(VALU_DEP_1)
	v_clz_i32_u32_e32 v6, v54
	v_min_u32_e32 v6, 32, v6
	s_delay_alu instid0(VALU_DEP_1) | instskip(SKIP_1) | instid1(VALU_DEP_2)
	v_subrev_nc_u32_e32 v7, 28, v6
	v_sub_nc_u32_e32 v6, 29, v6
	v_lshlrev_b64_e32 v[10:11], v7, v[54:55]
	s_delay_alu instid0(VALU_DEP_1)
	v_and_b32_e32 v54, 7, v10
; %bb.358:                              ;   in Loop: Header=BB185_12 Depth=1
	s_or_b32 exec_lo, exec_lo, s45
	s_delay_alu instid0(VALU_DEP_1) | instskip(SKIP_1) | instid1(VALU_DEP_2)
	v_dual_lshlrev_b32 v7, 24, v8 :: v_dual_lshlrev_b32 v9, 20, v54
	v_lshl_add_u32 v6, v6, 23, 0x3c000000
	v_and_b32_e32 v7, 0x80000000, v7
	s_delay_alu instid0(VALU_DEP_1) | instskip(NEXT) | instid1(VALU_DEP_1)
	v_or3_b32 v54, v9, v7, v6
	v_mov_b64_e32 v[6:7], v[54:55]
.LBB185_359:                            ;   in Loop: Header=BB185_12 Depth=1
	s_or_b32 exec_lo, exec_lo, s44
.LBB185_360:                            ;   in Loop: Header=BB185_12 Depth=1
	s_delay_alu instid0(SALU_CYCLE_1)
	s_or_b32 exec_lo, exec_lo, s43
.LBB185_361:                            ;   in Loop: Header=BB185_12 Depth=1
	s_delay_alu instid0(SALU_CYCLE_1) | instskip(SKIP_2) | instid1(VALU_DEP_1)
	s_or_b32 exec_lo, exec_lo, s42
	v_lshrrev_b16 v9, 8, v8
	s_mov_b32 s42, exec_lo
	v_cmpx_ne_u16_e32 0, v9
	s_cbranch_execz .LBB185_369
; %bb.362:                              ;   in Loop: Header=BB185_12 Depth=1
	v_mov_b64_e32 v[4:5], 0x8000000000000000
	s_mov_b32 s43, exec_lo
	v_cmpx_ne_u16_e32 0x80, v9
	s_cbranch_execz .LBB185_368
; %bb.363:                              ;   in Loop: Header=BB185_12 Depth=1
	v_and_b32_e32 v10, 0xffff, v9
	v_mov_b64_e32 v[4:5], 0x7f80000100000000
	s_mov_b32 s44, exec_lo
	s_delay_alu instid0(VALU_DEP_2) | instskip(NEXT) | instid1(VALU_DEP_1)
	v_and_b32_e32 v9, 0x7f, v10
	v_cmpx_ne_u32_e32 0x7f, v9
	s_cbranch_execz .LBB185_367
; %bb.364:                              ;   in Loop: Header=BB185_12 Depth=1
	v_dual_lshrrev_b32 v4, 3, v9 :: v_dual_bitop2_b32 v54, 7, v10 bitop3:0x40
	s_mov_b32 s45, exec_lo
	v_cmpx_gt_u32_e32 8, v9
; %bb.365:                              ;   in Loop: Header=BB185_12 Depth=1
	s_delay_alu instid0(VALU_DEP_2) | instskip(NEXT) | instid1(VALU_DEP_1)
	v_clz_i32_u32_e32 v4, v54
	v_min_u32_e32 v4, 32, v4
	s_delay_alu instid0(VALU_DEP_1) | instskip(NEXT) | instid1(VALU_DEP_1)
	v_subrev_nc_u32_e32 v5, 28, v4
	v_lshlrev_b64_e32 v[10:11], v5, v[54:55]
	s_delay_alu instid0(VALU_DEP_1)
	v_dual_sub_nc_u32 v4, 29, v4 :: v_dual_bitop2_b32 v54, 7, v10 bitop3:0x40
; %bb.366:                              ;   in Loop: Header=BB185_12 Depth=1
	s_or_b32 exec_lo, exec_lo, s45
	s_delay_alu instid0(VALU_DEP_1) | instskip(NEXT) | instid1(VALU_DEP_2)
	v_dual_lshlrev_b32 v5, 16, v8 :: v_dual_lshlrev_b32 v8, 20, v54
	v_lshl_add_u32 v4, v4, 23, 0x3c000000
	s_delay_alu instid0(VALU_DEP_2) | instskip(NEXT) | instid1(VALU_DEP_1)
	v_and_b32_e32 v5, 0x80000000, v5
	v_or3_b32 v5, v8, v5, v4
	v_mov_b32_e32 v4, v55
.LBB185_367:                            ;   in Loop: Header=BB185_12 Depth=1
	s_or_b32 exec_lo, exec_lo, s44
.LBB185_368:                            ;   in Loop: Header=BB185_12 Depth=1
	s_delay_alu instid0(SALU_CYCLE_1)
	s_or_b32 exec_lo, exec_lo, s43
.LBB185_369:                            ;   in Loop: Header=BB185_12 Depth=1
	s_delay_alu instid0(SALU_CYCLE_1)
	s_or_b32 exec_lo, exec_lo, s42
	global_load_u16 v8, v[70:71], off offset:1288
	v_mov_b64_e32 v[10:11], 0
	s_wait_loadcnt 0x0
	v_and_b32_e32 v12, 0xffff, v8
	v_and_b32_e32 v8, 0xff, v8
	s_delay_alu instid0(VALU_DEP_1)
	v_cmp_ne_u16_e64 s4, 0, v8
	v_mov_b64_e32 v[8:9], 0
	s_wait_xcnt 0x0
	s_and_saveexec_b32 s42, s4
	s_cbranch_execz .LBB185_377
; %bb.370:                              ;   in Loop: Header=BB185_12 Depth=1
	v_and_b32_e32 v10, 0xff, v12
	s_delay_alu instid0(VALU_DEP_1)
	v_cmp_ne_u16_e64 s4, 0x80, v10
	v_mov_b64_e32 v[10:11], 0x80000000
	s_and_saveexec_b32 s43, s4
	s_cbranch_execz .LBB185_376
; %bb.371:                              ;   in Loop: Header=BB185_12 Depth=1
	v_mov_b64_e32 v[10:11], 0x7f800001
	v_and_b32_e32 v13, 0x7f, v12
	s_mov_b32 s44, exec_lo
	s_delay_alu instid0(VALU_DEP_1)
	v_cmpx_ne_u32_e32 0x7f, v13
	s_cbranch_execz .LBB185_375
; %bb.372:                              ;   in Loop: Header=BB185_12 Depth=1
	v_dual_lshrrev_b32 v10, 3, v13 :: v_dual_bitop2_b32 v54, 7, v12 bitop3:0x40
	s_mov_b32 s45, exec_lo
	v_cmpx_gt_u32_e32 8, v13
; %bb.373:                              ;   in Loop: Header=BB185_12 Depth=1
	s_delay_alu instid0(VALU_DEP_2) | instskip(NEXT) | instid1(VALU_DEP_1)
	v_clz_i32_u32_e32 v10, v54
	v_min_u32_e32 v10, 32, v10
	s_delay_alu instid0(VALU_DEP_1) | instskip(SKIP_1) | instid1(VALU_DEP_2)
	v_subrev_nc_u32_e32 v11, 28, v10
	v_sub_nc_u32_e32 v10, 29, v10
	v_lshlrev_b64_e32 v[14:15], v11, v[54:55]
	s_delay_alu instid0(VALU_DEP_1)
	v_and_b32_e32 v54, 7, v14
; %bb.374:                              ;   in Loop: Header=BB185_12 Depth=1
	s_or_b32 exec_lo, exec_lo, s45
	s_delay_alu instid0(VALU_DEP_1) | instskip(SKIP_1) | instid1(VALU_DEP_2)
	v_dual_lshlrev_b32 v11, 24, v12 :: v_dual_lshlrev_b32 v13, 20, v54
	v_lshl_add_u32 v10, v10, 23, 0x3c000000
	v_and_b32_e32 v11, 0x80000000, v11
	s_delay_alu instid0(VALU_DEP_1) | instskip(NEXT) | instid1(VALU_DEP_1)
	v_or3_b32 v54, v13, v11, v10
	v_mov_b64_e32 v[10:11], v[54:55]
.LBB185_375:                            ;   in Loop: Header=BB185_12 Depth=1
	s_or_b32 exec_lo, exec_lo, s44
.LBB185_376:                            ;   in Loop: Header=BB185_12 Depth=1
	s_delay_alu instid0(SALU_CYCLE_1)
	s_or_b32 exec_lo, exec_lo, s43
.LBB185_377:                            ;   in Loop: Header=BB185_12 Depth=1
	s_delay_alu instid0(SALU_CYCLE_1) | instskip(SKIP_2) | instid1(VALU_DEP_1)
	s_or_b32 exec_lo, exec_lo, s42
	v_lshrrev_b16 v13, 8, v12
	s_mov_b32 s42, exec_lo
	v_cmpx_ne_u16_e32 0, v13
	s_cbranch_execz .LBB185_385
; %bb.378:                              ;   in Loop: Header=BB185_12 Depth=1
	v_mov_b64_e32 v[8:9], 0x8000000000000000
	s_mov_b32 s43, exec_lo
	v_cmpx_ne_u16_e32 0x80, v13
	s_cbranch_execz .LBB185_384
; %bb.379:                              ;   in Loop: Header=BB185_12 Depth=1
	v_and_b32_e32 v14, 0xffff, v13
	v_mov_b64_e32 v[8:9], 0x7f80000100000000
	s_mov_b32 s44, exec_lo
	s_delay_alu instid0(VALU_DEP_2) | instskip(NEXT) | instid1(VALU_DEP_1)
	v_and_b32_e32 v13, 0x7f, v14
	v_cmpx_ne_u32_e32 0x7f, v13
	s_cbranch_execz .LBB185_383
; %bb.380:                              ;   in Loop: Header=BB185_12 Depth=1
	v_dual_lshrrev_b32 v8, 3, v13 :: v_dual_bitop2_b32 v54, 7, v14 bitop3:0x40
	s_mov_b32 s45, exec_lo
	v_cmpx_gt_u32_e32 8, v13
; %bb.381:                              ;   in Loop: Header=BB185_12 Depth=1
	s_delay_alu instid0(VALU_DEP_2) | instskip(NEXT) | instid1(VALU_DEP_1)
	v_clz_i32_u32_e32 v8, v54
	v_min_u32_e32 v8, 32, v8
	s_delay_alu instid0(VALU_DEP_1) | instskip(NEXT) | instid1(VALU_DEP_1)
	v_subrev_nc_u32_e32 v9, 28, v8
	v_lshlrev_b64_e32 v[14:15], v9, v[54:55]
	s_delay_alu instid0(VALU_DEP_1)
	v_dual_sub_nc_u32 v8, 29, v8 :: v_dual_bitop2_b32 v54, 7, v14 bitop3:0x40
; %bb.382:                              ;   in Loop: Header=BB185_12 Depth=1
	s_or_b32 exec_lo, exec_lo, s45
	s_delay_alu instid0(VALU_DEP_1) | instskip(NEXT) | instid1(VALU_DEP_2)
	v_dual_lshlrev_b32 v9, 16, v12 :: v_dual_lshlrev_b32 v12, 20, v54
	v_lshl_add_u32 v8, v8, 23, 0x3c000000
	s_delay_alu instid0(VALU_DEP_2) | instskip(NEXT) | instid1(VALU_DEP_1)
	v_and_b32_e32 v9, 0x80000000, v9
	v_or3_b32 v9, v12, v9, v8
	v_mov_b32_e32 v8, v55
.LBB185_383:                            ;   in Loop: Header=BB185_12 Depth=1
	s_or_b32 exec_lo, exec_lo, s44
.LBB185_384:                            ;   in Loop: Header=BB185_12 Depth=1
	s_delay_alu instid0(SALU_CYCLE_1)
	s_or_b32 exec_lo, exec_lo, s43
.LBB185_385:                            ;   in Loop: Header=BB185_12 Depth=1
	s_delay_alu instid0(SALU_CYCLE_1)
	s_or_b32 exec_lo, exec_lo, s42
	global_load_u16 v12, v[70:71], off offset:1292
	v_mov_b64_e32 v[14:15], 0
	s_wait_loadcnt 0x0
	v_and_b32_e32 v16, 0xffff, v12
	v_and_b32_e32 v12, 0xff, v12
	s_delay_alu instid0(VALU_DEP_1)
	v_cmp_ne_u16_e64 s4, 0, v12
	v_mov_b64_e32 v[12:13], 0
	s_wait_xcnt 0x0
	s_and_saveexec_b32 s42, s4
	s_cbranch_execz .LBB185_393
; %bb.386:                              ;   in Loop: Header=BB185_12 Depth=1
	v_and_b32_e32 v14, 0xff, v16
	s_delay_alu instid0(VALU_DEP_1)
	v_cmp_ne_u16_e64 s4, 0x80, v14
	v_mov_b64_e32 v[14:15], 0x80000000
	s_and_saveexec_b32 s43, s4
	s_cbranch_execz .LBB185_392
; %bb.387:                              ;   in Loop: Header=BB185_12 Depth=1
	v_mov_b64_e32 v[14:15], 0x7f800001
	v_and_b32_e32 v17, 0x7f, v16
	s_mov_b32 s44, exec_lo
	s_delay_alu instid0(VALU_DEP_1)
	v_cmpx_ne_u32_e32 0x7f, v17
	s_cbranch_execz .LBB185_391
; %bb.388:                              ;   in Loop: Header=BB185_12 Depth=1
	v_dual_lshrrev_b32 v14, 3, v17 :: v_dual_bitop2_b32 v54, 7, v16 bitop3:0x40
	s_mov_b32 s45, exec_lo
	v_cmpx_gt_u32_e32 8, v17
; %bb.389:                              ;   in Loop: Header=BB185_12 Depth=1
	s_delay_alu instid0(VALU_DEP_2) | instskip(NEXT) | instid1(VALU_DEP_1)
	v_clz_i32_u32_e32 v14, v54
	v_min_u32_e32 v14, 32, v14
	s_delay_alu instid0(VALU_DEP_1) | instskip(SKIP_1) | instid1(VALU_DEP_2)
	v_subrev_nc_u32_e32 v15, 28, v14
	v_sub_nc_u32_e32 v14, 29, v14
	v_lshlrev_b64_e32 v[18:19], v15, v[54:55]
	s_delay_alu instid0(VALU_DEP_1)
	v_and_b32_e32 v54, 7, v18
; %bb.390:                              ;   in Loop: Header=BB185_12 Depth=1
	s_or_b32 exec_lo, exec_lo, s45
	s_delay_alu instid0(VALU_DEP_1) | instskip(SKIP_1) | instid1(VALU_DEP_2)
	v_dual_lshlrev_b32 v15, 24, v16 :: v_dual_lshlrev_b32 v17, 20, v54
	v_lshl_add_u32 v14, v14, 23, 0x3c000000
	v_and_b32_e32 v15, 0x80000000, v15
	s_delay_alu instid0(VALU_DEP_1) | instskip(NEXT) | instid1(VALU_DEP_1)
	v_or3_b32 v54, v17, v15, v14
	v_mov_b64_e32 v[14:15], v[54:55]
.LBB185_391:                            ;   in Loop: Header=BB185_12 Depth=1
	s_or_b32 exec_lo, exec_lo, s44
.LBB185_392:                            ;   in Loop: Header=BB185_12 Depth=1
	s_delay_alu instid0(SALU_CYCLE_1)
	s_or_b32 exec_lo, exec_lo, s43
.LBB185_393:                            ;   in Loop: Header=BB185_12 Depth=1
	s_delay_alu instid0(SALU_CYCLE_1) | instskip(SKIP_2) | instid1(VALU_DEP_1)
	s_or_b32 exec_lo, exec_lo, s42
	v_lshrrev_b16 v17, 8, v16
	s_mov_b32 s42, exec_lo
	v_cmpx_ne_u16_e32 0, v17
	s_cbranch_execz .LBB185_401
; %bb.394:                              ;   in Loop: Header=BB185_12 Depth=1
	v_mov_b64_e32 v[12:13], 0x8000000000000000
	s_mov_b32 s43, exec_lo
	v_cmpx_ne_u16_e32 0x80, v17
	s_cbranch_execz .LBB185_400
; %bb.395:                              ;   in Loop: Header=BB185_12 Depth=1
	v_and_b32_e32 v18, 0xffff, v17
	v_mov_b64_e32 v[12:13], 0x7f80000100000000
	s_mov_b32 s44, exec_lo
	s_delay_alu instid0(VALU_DEP_2) | instskip(NEXT) | instid1(VALU_DEP_1)
	v_and_b32_e32 v17, 0x7f, v18
	v_cmpx_ne_u32_e32 0x7f, v17
	s_cbranch_execz .LBB185_399
; %bb.396:                              ;   in Loop: Header=BB185_12 Depth=1
	v_dual_lshrrev_b32 v12, 3, v17 :: v_dual_bitop2_b32 v54, 7, v18 bitop3:0x40
	s_mov_b32 s45, exec_lo
	v_cmpx_gt_u32_e32 8, v17
; %bb.397:                              ;   in Loop: Header=BB185_12 Depth=1
	s_delay_alu instid0(VALU_DEP_2) | instskip(NEXT) | instid1(VALU_DEP_1)
	v_clz_i32_u32_e32 v12, v54
	v_min_u32_e32 v12, 32, v12
	s_delay_alu instid0(VALU_DEP_1) | instskip(NEXT) | instid1(VALU_DEP_1)
	v_subrev_nc_u32_e32 v13, 28, v12
	v_lshlrev_b64_e32 v[18:19], v13, v[54:55]
	s_delay_alu instid0(VALU_DEP_1)
	v_dual_sub_nc_u32 v12, 29, v12 :: v_dual_bitop2_b32 v54, 7, v18 bitop3:0x40
; %bb.398:                              ;   in Loop: Header=BB185_12 Depth=1
	s_or_b32 exec_lo, exec_lo, s45
	s_delay_alu instid0(VALU_DEP_1) | instskip(NEXT) | instid1(VALU_DEP_2)
	v_dual_lshlrev_b32 v13, 16, v16 :: v_dual_lshlrev_b32 v16, 20, v54
	v_lshl_add_u32 v12, v12, 23, 0x3c000000
	s_delay_alu instid0(VALU_DEP_2) | instskip(NEXT) | instid1(VALU_DEP_1)
	v_and_b32_e32 v13, 0x80000000, v13
	v_or3_b32 v13, v16, v13, v12
	v_mov_b32_e32 v12, v55
.LBB185_399:                            ;   in Loop: Header=BB185_12 Depth=1
	s_or_b32 exec_lo, exec_lo, s44
.LBB185_400:                            ;   in Loop: Header=BB185_12 Depth=1
	s_delay_alu instid0(SALU_CYCLE_1)
	s_or_b32 exec_lo, exec_lo, s43
.LBB185_401:                            ;   in Loop: Header=BB185_12 Depth=1
	s_delay_alu instid0(SALU_CYCLE_1)
	s_or_b32 exec_lo, exec_lo, s42
	global_load_u16 v16, v[70:71], off offset:1536
	v_mov_b64_e32 v[18:19], 0
	s_wait_loadcnt 0x0
	v_and_b32_e32 v20, 0xffff, v16
	v_and_b32_e32 v16, 0xff, v16
	s_delay_alu instid0(VALU_DEP_1)
	v_cmp_ne_u16_e64 s4, 0, v16
	v_mov_b64_e32 v[16:17], 0
	s_wait_xcnt 0x0
	s_and_saveexec_b32 s42, s4
	s_cbranch_execz .LBB185_409
; %bb.402:                              ;   in Loop: Header=BB185_12 Depth=1
	v_and_b32_e32 v18, 0xff, v20
	s_delay_alu instid0(VALU_DEP_1)
	v_cmp_ne_u16_e64 s4, 0x80, v18
	v_mov_b64_e32 v[18:19], 0x80000000
	s_and_saveexec_b32 s43, s4
	s_cbranch_execz .LBB185_408
; %bb.403:                              ;   in Loop: Header=BB185_12 Depth=1
	v_mov_b64_e32 v[18:19], 0x7f800001
	v_and_b32_e32 v21, 0x7f, v20
	s_mov_b32 s44, exec_lo
	s_delay_alu instid0(VALU_DEP_1)
	v_cmpx_ne_u32_e32 0x7f, v21
	s_cbranch_execz .LBB185_407
; %bb.404:                              ;   in Loop: Header=BB185_12 Depth=1
	v_dual_lshrrev_b32 v18, 3, v21 :: v_dual_bitop2_b32 v54, 7, v20 bitop3:0x40
	s_mov_b32 s45, exec_lo
	v_cmpx_gt_u32_e32 8, v21
; %bb.405:                              ;   in Loop: Header=BB185_12 Depth=1
	s_delay_alu instid0(VALU_DEP_2) | instskip(NEXT) | instid1(VALU_DEP_1)
	v_clz_i32_u32_e32 v18, v54
	v_min_u32_e32 v18, 32, v18
	s_delay_alu instid0(VALU_DEP_1) | instskip(SKIP_1) | instid1(VALU_DEP_2)
	v_subrev_nc_u32_e32 v19, 28, v18
	v_sub_nc_u32_e32 v18, 29, v18
	v_lshlrev_b64_e32 v[22:23], v19, v[54:55]
	s_delay_alu instid0(VALU_DEP_1)
	v_and_b32_e32 v54, 7, v22
; %bb.406:                              ;   in Loop: Header=BB185_12 Depth=1
	s_or_b32 exec_lo, exec_lo, s45
	s_delay_alu instid0(VALU_DEP_1) | instskip(SKIP_1) | instid1(VALU_DEP_2)
	v_dual_lshlrev_b32 v19, 24, v20 :: v_dual_lshlrev_b32 v21, 20, v54
	v_lshl_add_u32 v18, v18, 23, 0x3c000000
	v_and_b32_e32 v19, 0x80000000, v19
	s_delay_alu instid0(VALU_DEP_1) | instskip(NEXT) | instid1(VALU_DEP_1)
	v_or3_b32 v54, v21, v19, v18
	v_mov_b64_e32 v[18:19], v[54:55]
.LBB185_407:                            ;   in Loop: Header=BB185_12 Depth=1
	s_or_b32 exec_lo, exec_lo, s44
.LBB185_408:                            ;   in Loop: Header=BB185_12 Depth=1
	s_delay_alu instid0(SALU_CYCLE_1)
	s_or_b32 exec_lo, exec_lo, s43
.LBB185_409:                            ;   in Loop: Header=BB185_12 Depth=1
	s_delay_alu instid0(SALU_CYCLE_1) | instskip(SKIP_2) | instid1(VALU_DEP_1)
	s_or_b32 exec_lo, exec_lo, s42
	v_lshrrev_b16 v21, 8, v20
	s_mov_b32 s42, exec_lo
	v_cmpx_ne_u16_e32 0, v21
	s_cbranch_execz .LBB185_417
; %bb.410:                              ;   in Loop: Header=BB185_12 Depth=1
	v_mov_b64_e32 v[16:17], 0x8000000000000000
	s_mov_b32 s43, exec_lo
	v_cmpx_ne_u16_e32 0x80, v21
	s_cbranch_execz .LBB185_416
; %bb.411:                              ;   in Loop: Header=BB185_12 Depth=1
	v_and_b32_e32 v22, 0xffff, v21
	v_mov_b64_e32 v[16:17], 0x7f80000100000000
	s_mov_b32 s44, exec_lo
	s_delay_alu instid0(VALU_DEP_2) | instskip(NEXT) | instid1(VALU_DEP_1)
	v_and_b32_e32 v21, 0x7f, v22
	v_cmpx_ne_u32_e32 0x7f, v21
	s_cbranch_execz .LBB185_415
; %bb.412:                              ;   in Loop: Header=BB185_12 Depth=1
	v_dual_lshrrev_b32 v16, 3, v21 :: v_dual_bitop2_b32 v54, 7, v22 bitop3:0x40
	s_mov_b32 s45, exec_lo
	v_cmpx_gt_u32_e32 8, v21
; %bb.413:                              ;   in Loop: Header=BB185_12 Depth=1
	s_delay_alu instid0(VALU_DEP_2) | instskip(NEXT) | instid1(VALU_DEP_1)
	v_clz_i32_u32_e32 v16, v54
	v_min_u32_e32 v16, 32, v16
	s_delay_alu instid0(VALU_DEP_1) | instskip(NEXT) | instid1(VALU_DEP_1)
	v_subrev_nc_u32_e32 v17, 28, v16
	v_lshlrev_b64_e32 v[22:23], v17, v[54:55]
	s_delay_alu instid0(VALU_DEP_1)
	v_dual_sub_nc_u32 v16, 29, v16 :: v_dual_bitop2_b32 v54, 7, v22 bitop3:0x40
; %bb.414:                              ;   in Loop: Header=BB185_12 Depth=1
	s_or_b32 exec_lo, exec_lo, s45
	s_delay_alu instid0(VALU_DEP_1) | instskip(NEXT) | instid1(VALU_DEP_2)
	v_dual_lshlrev_b32 v17, 16, v20 :: v_dual_lshlrev_b32 v20, 20, v54
	v_lshl_add_u32 v16, v16, 23, 0x3c000000
	s_delay_alu instid0(VALU_DEP_2) | instskip(NEXT) | instid1(VALU_DEP_1)
	v_and_b32_e32 v17, 0x80000000, v17
	v_or3_b32 v17, v20, v17, v16
	v_mov_b32_e32 v16, v55
.LBB185_415:                            ;   in Loop: Header=BB185_12 Depth=1
	s_or_b32 exec_lo, exec_lo, s44
.LBB185_416:                            ;   in Loop: Header=BB185_12 Depth=1
	s_delay_alu instid0(SALU_CYCLE_1)
	s_or_b32 exec_lo, exec_lo, s43
.LBB185_417:                            ;   in Loop: Header=BB185_12 Depth=1
	s_delay_alu instid0(SALU_CYCLE_1)
	s_or_b32 exec_lo, exec_lo, s42
	global_load_u16 v21, v[70:71], off offset:1540
	v_mov_b64_e32 v[22:23], 0
	v_mov_b64_e32 v[24:25], 0
	s_mov_b32 s42, exec_lo
	s_wait_loadcnt 0x0
	v_and_b32_e32 v20, 0xffff, v21
	v_and_b32_e32 v21, 0xff, v21
	s_wait_xcnt 0x0
	s_delay_alu instid0(VALU_DEP_1)
	v_cmpx_ne_u16_e32 0, v21
	s_cbranch_execz .LBB185_425
; %bb.418:                              ;   in Loop: Header=BB185_12 Depth=1
	v_mov_b64_e32 v[24:25], 0x80000000
	v_and_b32_e32 v21, 0xff, v20
	s_mov_b32 s43, exec_lo
	s_delay_alu instid0(VALU_DEP_1)
	v_cmpx_ne_u16_e32 0x80, v21
	s_cbranch_execz .LBB185_424
; %bb.419:                              ;   in Loop: Header=BB185_12 Depth=1
	v_mov_b64_e32 v[24:25], 0x7f800001
	v_and_b32_e32 v26, 0x7f, v20
	s_mov_b32 s44, exec_lo
	s_delay_alu instid0(VALU_DEP_1)
	v_cmpx_ne_u32_e32 0x7f, v26
	s_cbranch_execz .LBB185_423
; %bb.420:                              ;   in Loop: Header=BB185_12 Depth=1
	v_dual_lshrrev_b32 v21, 3, v26 :: v_dual_bitop2_b32 v54, 7, v20 bitop3:0x40
	s_mov_b32 s45, exec_lo
	v_cmpx_gt_u32_e32 8, v26
; %bb.421:                              ;   in Loop: Header=BB185_12 Depth=1
	s_delay_alu instid0(VALU_DEP_2) | instskip(NEXT) | instid1(VALU_DEP_1)
	v_clz_i32_u32_e32 v21, v54
	v_min_u32_e32 v21, 32, v21
	s_delay_alu instid0(VALU_DEP_1) | instskip(NEXT) | instid1(VALU_DEP_1)
	v_subrev_nc_u32_e32 v24, 28, v21
	v_lshlrev_b64_e32 v[24:25], v24, v[54:55]
	s_delay_alu instid0(VALU_DEP_1)
	v_dual_sub_nc_u32 v21, 29, v21 :: v_dual_bitop2_b32 v54, 7, v24 bitop3:0x40
; %bb.422:                              ;   in Loop: Header=BB185_12 Depth=1
	s_or_b32 exec_lo, exec_lo, s45
	s_delay_alu instid0(VALU_DEP_1) | instskip(NEXT) | instid1(VALU_DEP_2)
	v_dual_lshlrev_b32 v24, 24, v20 :: v_dual_lshlrev_b32 v25, 20, v54
	v_lshl_add_u32 v21, v21, 23, 0x3c000000
	s_delay_alu instid0(VALU_DEP_2) | instskip(NEXT) | instid1(VALU_DEP_1)
	v_and_b32_e32 v24, 0x80000000, v24
	v_or3_b32 v54, v25, v24, v21
	s_delay_alu instid0(VALU_DEP_1)
	v_mov_b64_e32 v[24:25], v[54:55]
.LBB185_423:                            ;   in Loop: Header=BB185_12 Depth=1
	s_or_b32 exec_lo, exec_lo, s44
.LBB185_424:                            ;   in Loop: Header=BB185_12 Depth=1
	s_delay_alu instid0(SALU_CYCLE_1)
	s_or_b32 exec_lo, exec_lo, s43
.LBB185_425:                            ;   in Loop: Header=BB185_12 Depth=1
	s_delay_alu instid0(SALU_CYCLE_1) | instskip(SKIP_2) | instid1(VALU_DEP_1)
	s_or_b32 exec_lo, exec_lo, s42
	v_lshrrev_b16 v21, 8, v20
	s_mov_b32 s42, exec_lo
	v_cmpx_ne_u16_e32 0, v21
	s_cbranch_execz .LBB185_433
; %bb.426:                              ;   in Loop: Header=BB185_12 Depth=1
	v_mov_b64_e32 v[22:23], 0x8000000000000000
	s_mov_b32 s43, exec_lo
	v_cmpx_ne_u16_e32 0x80, v21
	s_cbranch_execz .LBB185_432
; %bb.427:                              ;   in Loop: Header=BB185_12 Depth=1
	v_and_b32_e32 v21, 0xffff, v21
	v_mov_b64_e32 v[22:23], 0x7f80000100000000
	s_mov_b32 s44, exec_lo
	s_delay_alu instid0(VALU_DEP_2) | instskip(NEXT) | instid1(VALU_DEP_1)
	v_and_b32_e32 v26, 0x7f, v21
	v_cmpx_ne_u32_e32 0x7f, v26
	s_cbranch_execz .LBB185_431
; %bb.428:                              ;   in Loop: Header=BB185_12 Depth=1
	v_dual_lshrrev_b32 v21, 3, v26 :: v_dual_bitop2_b32 v54, 7, v21 bitop3:0x40
	s_mov_b32 s45, exec_lo
	v_cmpx_gt_u32_e32 8, v26
; %bb.429:                              ;   in Loop: Header=BB185_12 Depth=1
	s_delay_alu instid0(VALU_DEP_2) | instskip(NEXT) | instid1(VALU_DEP_1)
	v_clz_i32_u32_e32 v21, v54
	v_min_u32_e32 v21, 32, v21
	s_delay_alu instid0(VALU_DEP_1) | instskip(NEXT) | instid1(VALU_DEP_1)
	v_subrev_nc_u32_e32 v22, 28, v21
	v_lshlrev_b64_e32 v[22:23], v22, v[54:55]
	s_delay_alu instid0(VALU_DEP_1)
	v_dual_sub_nc_u32 v21, 29, v21 :: v_dual_bitop2_b32 v54, 7, v22 bitop3:0x40
; %bb.430:                              ;   in Loop: Header=BB185_12 Depth=1
	s_or_b32 exec_lo, exec_lo, s45
	s_delay_alu instid0(VALU_DEP_1) | instskip(NEXT) | instid1(VALU_DEP_2)
	v_dual_lshlrev_b32 v20, 16, v20 :: v_dual_lshlrev_b32 v22, 20, v54
	v_lshl_add_u32 v21, v21, 23, 0x3c000000
	s_delay_alu instid0(VALU_DEP_2) | instskip(NEXT) | instid1(VALU_DEP_1)
	v_and_b32_e32 v20, 0x80000000, v20
	v_or3_b32 v23, v22, v20, v21
	v_mov_b32_e32 v22, v55
.LBB185_431:                            ;   in Loop: Header=BB185_12 Depth=1
	s_or_b32 exec_lo, exec_lo, s44
.LBB185_432:                            ;   in Loop: Header=BB185_12 Depth=1
	s_delay_alu instid0(SALU_CYCLE_1)
	s_or_b32 exec_lo, exec_lo, s43
.LBB185_433:                            ;   in Loop: Header=BB185_12 Depth=1
	s_delay_alu instid0(SALU_CYCLE_1)
	s_or_b32 exec_lo, exec_lo, s42
	global_load_u16 v21, v[70:71], off offset:1544
	v_mov_b64_e32 v[72:73], 0
	v_mov_b64_e32 v[26:27], 0
	s_mov_b32 s42, exec_lo
	s_wait_loadcnt 0x0
	v_and_b32_e32 v20, 0xffff, v21
	v_and_b32_e32 v21, 0xff, v21
	s_wait_xcnt 0x0
	s_delay_alu instid0(VALU_DEP_1)
	v_cmpx_ne_u16_e32 0, v21
	s_cbranch_execz .LBB185_441
; %bb.434:                              ;   in Loop: Header=BB185_12 Depth=1
	v_mov_b64_e32 v[26:27], 0x80000000
	v_and_b32_e32 v21, 0xff, v20
	s_mov_b32 s43, exec_lo
	s_delay_alu instid0(VALU_DEP_1)
	v_cmpx_ne_u16_e32 0x80, v21
	s_cbranch_execz .LBB185_440
; %bb.435:                              ;   in Loop: Header=BB185_12 Depth=1
	v_mov_b64_e32 v[26:27], 0x7f800001
	v_and_b32_e32 v28, 0x7f, v20
	s_mov_b32 s44, exec_lo
	s_delay_alu instid0(VALU_DEP_1)
	v_cmpx_ne_u32_e32 0x7f, v28
	s_cbranch_execz .LBB185_439
; %bb.436:                              ;   in Loop: Header=BB185_12 Depth=1
	v_and_b32_e32 v54, 7, v20
	v_lshrrev_b32_e32 v21, 3, v28
	s_mov_b32 s45, exec_lo
	v_cmpx_gt_u32_e32 8, v28
; %bb.437:                              ;   in Loop: Header=BB185_12 Depth=1
	s_delay_alu instid0(VALU_DEP_3) | instskip(NEXT) | instid1(VALU_DEP_1)
	v_clz_i32_u32_e32 v21, v54
	v_min_u32_e32 v21, 32, v21
	s_delay_alu instid0(VALU_DEP_1) | instskip(NEXT) | instid1(VALU_DEP_1)
	v_subrev_nc_u32_e32 v26, 28, v21
	v_lshlrev_b64_e32 v[26:27], v26, v[54:55]
	s_delay_alu instid0(VALU_DEP_1)
	v_dual_sub_nc_u32 v21, 29, v21 :: v_dual_bitop2_b32 v54, 7, v26 bitop3:0x40
; %bb.438:                              ;   in Loop: Header=BB185_12 Depth=1
	s_or_b32 exec_lo, exec_lo, s45
	s_delay_alu instid0(VALU_DEP_1) | instskip(NEXT) | instid1(VALU_DEP_2)
	v_dual_lshlrev_b32 v26, 24, v20 :: v_dual_lshlrev_b32 v27, 20, v54
	v_lshl_add_u32 v21, v21, 23, 0x3c000000
	s_delay_alu instid0(VALU_DEP_2) | instskip(NEXT) | instid1(VALU_DEP_1)
	v_and_b32_e32 v26, 0x80000000, v26
	v_or3_b32 v54, v27, v26, v21
	s_delay_alu instid0(VALU_DEP_1)
	v_mov_b64_e32 v[26:27], v[54:55]
.LBB185_439:                            ;   in Loop: Header=BB185_12 Depth=1
	s_or_b32 exec_lo, exec_lo, s44
.LBB185_440:                            ;   in Loop: Header=BB185_12 Depth=1
	s_delay_alu instid0(SALU_CYCLE_1)
	s_or_b32 exec_lo, exec_lo, s43
.LBB185_441:                            ;   in Loop: Header=BB185_12 Depth=1
	s_delay_alu instid0(SALU_CYCLE_1) | instskip(SKIP_2) | instid1(VALU_DEP_1)
	s_or_b32 exec_lo, exec_lo, s42
	v_lshrrev_b16 v21, 8, v20
	s_mov_b32 s42, exec_lo
	v_cmpx_ne_u16_e32 0, v21
	s_cbranch_execz .LBB185_449
; %bb.442:                              ;   in Loop: Header=BB185_12 Depth=1
	v_mov_b64_e32 v[72:73], 0x8000000000000000
	s_mov_b32 s43, exec_lo
	v_cmpx_ne_u16_e32 0x80, v21
	s_cbranch_execz .LBB185_448
; %bb.443:                              ;   in Loop: Header=BB185_12 Depth=1
	v_and_b32_e32 v21, 0xffff, v21
	v_mov_b64_e32 v[72:73], 0x7f80000100000000
	s_mov_b32 s44, exec_lo
	s_delay_alu instid0(VALU_DEP_2) | instskip(NEXT) | instid1(VALU_DEP_1)
	v_and_b32_e32 v28, 0x7f, v21
	v_cmpx_ne_u32_e32 0x7f, v28
	s_cbranch_execz .LBB185_447
; %bb.444:                              ;   in Loop: Header=BB185_12 Depth=1
	v_dual_lshrrev_b32 v21, 3, v28 :: v_dual_bitop2_b32 v54, 7, v21 bitop3:0x40
	s_mov_b32 s45, exec_lo
	v_cmpx_gt_u32_e32 8, v28
; %bb.445:                              ;   in Loop: Header=BB185_12 Depth=1
	s_delay_alu instid0(VALU_DEP_2) | instskip(NEXT) | instid1(VALU_DEP_1)
	v_clz_i32_u32_e32 v21, v54
	v_min_u32_e32 v21, 32, v21
	s_delay_alu instid0(VALU_DEP_1) | instskip(NEXT) | instid1(VALU_DEP_1)
	v_subrev_nc_u32_e32 v28, 28, v21
	v_lshlrev_b64_e32 v[28:29], v28, v[54:55]
	s_delay_alu instid0(VALU_DEP_1)
	v_dual_sub_nc_u32 v21, 29, v21 :: v_dual_bitop2_b32 v54, 7, v28 bitop3:0x40
; %bb.446:                              ;   in Loop: Header=BB185_12 Depth=1
	s_or_b32 exec_lo, exec_lo, s45
	s_delay_alu instid0(VALU_DEP_1) | instskip(NEXT) | instid1(VALU_DEP_2)
	v_dual_lshlrev_b32 v20, 16, v20 :: v_dual_lshlrev_b32 v28, 20, v54
	v_lshl_add_u32 v21, v21, 23, 0x3c000000
	v_mov_b32_e32 v72, v55
	s_delay_alu instid0(VALU_DEP_3) | instskip(NEXT) | instid1(VALU_DEP_1)
	v_and_b32_e32 v20, 0x80000000, v20
	v_or3_b32 v73, v28, v20, v21
.LBB185_447:                            ;   in Loop: Header=BB185_12 Depth=1
	s_or_b32 exec_lo, exec_lo, s44
.LBB185_448:                            ;   in Loop: Header=BB185_12 Depth=1
	s_delay_alu instid0(SALU_CYCLE_1)
	s_or_b32 exec_lo, exec_lo, s43
.LBB185_449:                            ;   in Loop: Header=BB185_12 Depth=1
	s_delay_alu instid0(SALU_CYCLE_1)
	s_or_b32 exec_lo, exec_lo, s42
	global_load_u16 v21, v[70:71], off offset:1548
	v_mov_b64_e32 v[28:29], 0
	v_mov_b64_e32 v[82:83], 0
	s_mov_b32 s42, exec_lo
	s_wait_loadcnt 0x0
	v_and_b32_e32 v20, 0xffff, v21
	v_and_b32_e32 v21, 0xff, v21
	s_wait_xcnt 0x0
	s_delay_alu instid0(VALU_DEP_1)
	v_cmpx_ne_u16_e32 0, v21
	s_cbranch_execz .LBB185_457
; %bb.450:                              ;   in Loop: Header=BB185_12 Depth=1
	v_mov_b64_e32 v[82:83], 0x80000000
	v_and_b32_e32 v21, 0xff, v20
	s_mov_b32 s43, exec_lo
	s_delay_alu instid0(VALU_DEP_1)
	v_cmpx_ne_u16_e32 0x80, v21
	s_cbranch_execz .LBB185_456
; %bb.451:                              ;   in Loop: Header=BB185_12 Depth=1
	v_mov_b64_e32 v[82:83], 0x7f800001
	v_and_b32_e32 v30, 0x7f, v20
	s_mov_b32 s44, exec_lo
	s_delay_alu instid0(VALU_DEP_1)
	v_cmpx_ne_u32_e32 0x7f, v30
	s_cbranch_execz .LBB185_455
; %bb.452:                              ;   in Loop: Header=BB185_12 Depth=1
	v_dual_lshrrev_b32 v21, 3, v30 :: v_dual_bitop2_b32 v54, 7, v20 bitop3:0x40
	s_mov_b32 s45, exec_lo
	v_cmpx_gt_u32_e32 8, v30
; %bb.453:                              ;   in Loop: Header=BB185_12 Depth=1
	s_delay_alu instid0(VALU_DEP_2) | instskip(NEXT) | instid1(VALU_DEP_1)
	v_clz_i32_u32_e32 v21, v54
	v_min_u32_e32 v21, 32, v21
	s_delay_alu instid0(VALU_DEP_1) | instskip(NEXT) | instid1(VALU_DEP_1)
	v_subrev_nc_u32_e32 v30, 28, v21
	v_lshlrev_b64_e32 v[30:31], v30, v[54:55]
	s_delay_alu instid0(VALU_DEP_1)
	v_dual_sub_nc_u32 v21, 29, v21 :: v_dual_bitop2_b32 v54, 7, v30 bitop3:0x40
; %bb.454:                              ;   in Loop: Header=BB185_12 Depth=1
	s_or_b32 exec_lo, exec_lo, s45
	s_delay_alu instid0(VALU_DEP_1) | instskip(NEXT) | instid1(VALU_DEP_2)
	v_dual_lshlrev_b32 v30, 24, v20 :: v_dual_lshlrev_b32 v31, 20, v54
	v_lshl_add_u32 v21, v21, 23, 0x3c000000
	s_delay_alu instid0(VALU_DEP_2) | instskip(NEXT) | instid1(VALU_DEP_1)
	v_and_b32_e32 v30, 0x80000000, v30
	v_or3_b32 v54, v31, v30, v21
	s_delay_alu instid0(VALU_DEP_1)
	v_mov_b64_e32 v[82:83], v[54:55]
.LBB185_455:                            ;   in Loop: Header=BB185_12 Depth=1
	s_or_b32 exec_lo, exec_lo, s44
.LBB185_456:                            ;   in Loop: Header=BB185_12 Depth=1
	s_delay_alu instid0(SALU_CYCLE_1)
	s_or_b32 exec_lo, exec_lo, s43
.LBB185_457:                            ;   in Loop: Header=BB185_12 Depth=1
	s_delay_alu instid0(SALU_CYCLE_1) | instskip(SKIP_2) | instid1(VALU_DEP_1)
	s_or_b32 exec_lo, exec_lo, s42
	v_lshrrev_b16 v21, 8, v20
	s_mov_b32 s42, exec_lo
	v_cmpx_ne_u16_e32 0, v21
	s_cbranch_execz .LBB185_465
; %bb.458:                              ;   in Loop: Header=BB185_12 Depth=1
	v_mov_b64_e32 v[28:29], 0x8000000000000000
	s_mov_b32 s43, exec_lo
	v_cmpx_ne_u16_e32 0x80, v21
	s_cbranch_execz .LBB185_464
; %bb.459:                              ;   in Loop: Header=BB185_12 Depth=1
	v_and_b32_e32 v21, 0xffff, v21
	v_mov_b64_e32 v[28:29], 0x7f80000100000000
	s_mov_b32 s44, exec_lo
	s_delay_alu instid0(VALU_DEP_2) | instskip(NEXT) | instid1(VALU_DEP_1)
	v_and_b32_e32 v30, 0x7f, v21
	v_cmpx_ne_u32_e32 0x7f, v30
	s_cbranch_execz .LBB185_463
; %bb.460:                              ;   in Loop: Header=BB185_12 Depth=1
	v_dual_lshrrev_b32 v21, 3, v30 :: v_dual_bitop2_b32 v54, 7, v21 bitop3:0x40
	s_mov_b32 s45, exec_lo
	v_cmpx_gt_u32_e32 8, v30
; %bb.461:                              ;   in Loop: Header=BB185_12 Depth=1
	s_delay_alu instid0(VALU_DEP_2) | instskip(NEXT) | instid1(VALU_DEP_1)
	v_clz_i32_u32_e32 v21, v54
	v_min_u32_e32 v21, 32, v21
	s_delay_alu instid0(VALU_DEP_1) | instskip(NEXT) | instid1(VALU_DEP_1)
	v_subrev_nc_u32_e32 v28, 28, v21
	v_lshlrev_b64_e32 v[28:29], v28, v[54:55]
	s_delay_alu instid0(VALU_DEP_1)
	v_dual_sub_nc_u32 v21, 29, v21 :: v_dual_bitop2_b32 v54, 7, v28 bitop3:0x40
; %bb.462:                              ;   in Loop: Header=BB185_12 Depth=1
	s_or_b32 exec_lo, exec_lo, s45
	s_delay_alu instid0(VALU_DEP_1) | instskip(NEXT) | instid1(VALU_DEP_2)
	v_dual_lshlrev_b32 v20, 16, v20 :: v_dual_lshlrev_b32 v28, 20, v54
	v_lshl_add_u32 v21, v21, 23, 0x3c000000
	s_delay_alu instid0(VALU_DEP_2) | instskip(NEXT) | instid1(VALU_DEP_1)
	v_and_b32_e32 v20, 0x80000000, v20
	v_or3_b32 v29, v28, v20, v21
	v_mov_b32_e32 v28, v55
.LBB185_463:                            ;   in Loop: Header=BB185_12 Depth=1
	s_or_b32 exec_lo, exec_lo, s44
.LBB185_464:                            ;   in Loop: Header=BB185_12 Depth=1
	s_delay_alu instid0(SALU_CYCLE_1)
	s_or_b32 exec_lo, exec_lo, s43
.LBB185_465:                            ;   in Loop: Header=BB185_12 Depth=1
	s_delay_alu instid0(SALU_CYCLE_1)
	s_or_b32 exec_lo, exec_lo, s42
	global_load_u16 v20, v[70:71], off offset:1792
	v_mov_b64_e32 v[52:53], 0
	s_wait_loadcnt 0x0
	v_and_b32_e32 v30, 0xffff, v20
	v_and_b32_e32 v20, 0xff, v20
	s_delay_alu instid0(VALU_DEP_1)
	v_cmp_ne_u16_e64 s4, 0, v20
	v_mov_b64_e32 v[20:21], 0
	s_wait_xcnt 0x0
	s_and_saveexec_b32 s42, s4
	s_cbranch_execz .LBB185_473
; %bb.466:                              ;   in Loop: Header=BB185_12 Depth=1
	v_mov_b64_e32 v[52:53], 0x80000000
	v_and_b32_e32 v31, 0xff, v30
	s_mov_b32 s43, exec_lo
	s_delay_alu instid0(VALU_DEP_1)
	v_cmpx_ne_u16_e32 0x80, v31
	s_cbranch_execz .LBB185_472
; %bb.467:                              ;   in Loop: Header=BB185_12 Depth=1
	v_mov_b64_e32 v[52:53], 0x7f800001
	v_and_b32_e32 v32, 0x7f, v30
	s_mov_b32 s44, exec_lo
	s_delay_alu instid0(VALU_DEP_1)
	v_cmpx_ne_u32_e32 0x7f, v32
	s_cbranch_execz .LBB185_471
; %bb.468:                              ;   in Loop: Header=BB185_12 Depth=1
	v_dual_lshrrev_b32 v31, 3, v32 :: v_dual_bitop2_b32 v54, 7, v30 bitop3:0x40
	s_mov_b32 s45, exec_lo
	v_cmpx_gt_u32_e32 8, v32
; %bb.469:                              ;   in Loop: Header=BB185_12 Depth=1
	s_delay_alu instid0(VALU_DEP_2) | instskip(NEXT) | instid1(VALU_DEP_1)
	v_clz_i32_u32_e32 v31, v54
	v_min_u32_e32 v31, 32, v31
	s_delay_alu instid0(VALU_DEP_1) | instskip(NEXT) | instid1(VALU_DEP_1)
	v_subrev_nc_u32_e32 v32, 28, v31
	v_lshlrev_b64_e32 v[32:33], v32, v[54:55]
	s_delay_alu instid0(VALU_DEP_1)
	v_dual_sub_nc_u32 v31, 29, v31 :: v_dual_bitop2_b32 v54, 7, v32 bitop3:0x40
; %bb.470:                              ;   in Loop: Header=BB185_12 Depth=1
	s_or_b32 exec_lo, exec_lo, s45
	v_lshlrev_b32_e32 v32, 24, v30
	s_delay_alu instid0(VALU_DEP_2) | instskip(NEXT) | instid1(VALU_DEP_3)
	v_lshlrev_b32_e32 v33, 20, v54
	v_lshl_add_u32 v31, v31, 23, 0x3c000000
	s_delay_alu instid0(VALU_DEP_3) | instskip(NEXT) | instid1(VALU_DEP_1)
	v_and_b32_e32 v32, 0x80000000, v32
	v_or3_b32 v54, v33, v32, v31
	s_delay_alu instid0(VALU_DEP_1)
	v_mov_b64_e32 v[52:53], v[54:55]
.LBB185_471:                            ;   in Loop: Header=BB185_12 Depth=1
	s_or_b32 exec_lo, exec_lo, s44
.LBB185_472:                            ;   in Loop: Header=BB185_12 Depth=1
	s_delay_alu instid0(SALU_CYCLE_1)
	s_or_b32 exec_lo, exec_lo, s43
.LBB185_473:                            ;   in Loop: Header=BB185_12 Depth=1
	s_delay_alu instid0(SALU_CYCLE_1) | instskip(SKIP_2) | instid1(VALU_DEP_1)
	s_or_b32 exec_lo, exec_lo, s42
	v_lshrrev_b16 v31, 8, v30
	s_mov_b32 s42, exec_lo
	v_cmpx_ne_u16_e32 0, v31
	s_cbranch_execz .LBB185_481
; %bb.474:                              ;   in Loop: Header=BB185_12 Depth=1
	v_mov_b64_e32 v[20:21], 0x8000000000000000
	s_mov_b32 s43, exec_lo
	v_cmpx_ne_u16_e32 0x80, v31
	s_cbranch_execz .LBB185_480
; %bb.475:                              ;   in Loop: Header=BB185_12 Depth=1
	v_and_b32_e32 v32, 0xffff, v31
	v_mov_b64_e32 v[20:21], 0x7f80000100000000
	s_mov_b32 s44, exec_lo
	s_delay_alu instid0(VALU_DEP_2) | instskip(NEXT) | instid1(VALU_DEP_1)
	v_and_b32_e32 v31, 0x7f, v32
	v_cmpx_ne_u32_e32 0x7f, v31
	s_cbranch_execz .LBB185_479
; %bb.476:                              ;   in Loop: Header=BB185_12 Depth=1
	v_dual_lshrrev_b32 v20, 3, v31 :: v_dual_bitop2_b32 v54, 7, v32 bitop3:0x40
	s_mov_b32 s45, exec_lo
	v_cmpx_gt_u32_e32 8, v31
; %bb.477:                              ;   in Loop: Header=BB185_12 Depth=1
	s_delay_alu instid0(VALU_DEP_2) | instskip(NEXT) | instid1(VALU_DEP_1)
	v_clz_i32_u32_e32 v20, v54
	v_min_u32_e32 v20, 32, v20
	s_delay_alu instid0(VALU_DEP_1) | instskip(SKIP_1) | instid1(VALU_DEP_2)
	v_subrev_nc_u32_e32 v21, 28, v20
	v_sub_nc_u32_e32 v20, 29, v20
	v_lshlrev_b64_e32 v[32:33], v21, v[54:55]
	s_delay_alu instid0(VALU_DEP_1)
	v_and_b32_e32 v54, 7, v32
; %bb.478:                              ;   in Loop: Header=BB185_12 Depth=1
	s_or_b32 exec_lo, exec_lo, s45
	v_lshlrev_b32_e32 v21, 16, v30
	s_delay_alu instid0(VALU_DEP_2) | instskip(SKIP_1) | instid1(VALU_DEP_3)
	v_lshlrev_b32_e32 v30, 20, v54
	v_lshl_add_u32 v20, v20, 23, 0x3c000000
	v_and_b32_e32 v21, 0x80000000, v21
	s_delay_alu instid0(VALU_DEP_1)
	v_or3_b32 v21, v30, v21, v20
	v_mov_b32_e32 v20, v55
.LBB185_479:                            ;   in Loop: Header=BB185_12 Depth=1
	s_or_b32 exec_lo, exec_lo, s44
.LBB185_480:                            ;   in Loop: Header=BB185_12 Depth=1
	s_delay_alu instid0(SALU_CYCLE_1)
	s_or_b32 exec_lo, exec_lo, s43
.LBB185_481:                            ;   in Loop: Header=BB185_12 Depth=1
	s_delay_alu instid0(SALU_CYCLE_1)
	s_or_b32 exec_lo, exec_lo, s42
	global_load_u16 v30, v[70:71], off offset:1796
	v_mov_b64_e32 v[32:33], 0
	s_wait_loadcnt 0x0
	v_and_b32_e32 v35, 0xffff, v30
	v_and_b32_e32 v30, 0xff, v30
	s_delay_alu instid0(VALU_DEP_1)
	v_cmp_ne_u16_e64 s4, 0, v30
	v_mov_b64_e32 v[30:31], 0
	s_wait_xcnt 0x0
	s_and_saveexec_b32 s42, s4
	s_cbranch_execz .LBB185_489
; %bb.482:                              ;   in Loop: Header=BB185_12 Depth=1
	v_and_b32_e32 v32, 0xff, v35
	s_delay_alu instid0(VALU_DEP_1)
	v_cmp_ne_u16_e64 s4, 0x80, v32
	v_mov_b64_e32 v[32:33], 0x80000000
	s_and_saveexec_b32 s43, s4
	s_cbranch_execz .LBB185_488
; %bb.483:                              ;   in Loop: Header=BB185_12 Depth=1
	v_mov_b64_e32 v[32:33], 0x7f800001
	v_and_b32_e32 v70, 0x7f, v35
	s_mov_b32 s44, exec_lo
	s_delay_alu instid0(VALU_DEP_1)
	v_cmpx_ne_u32_e32 0x7f, v70
	s_cbranch_execz .LBB185_487
; %bb.484:                              ;   in Loop: Header=BB185_12 Depth=1
	v_dual_lshrrev_b32 v32, 3, v70 :: v_dual_bitop2_b32 v54, 7, v35 bitop3:0x40
	s_mov_b32 s45, exec_lo
	v_cmpx_gt_u32_e32 8, v70
; %bb.485:                              ;   in Loop: Header=BB185_12 Depth=1
	s_delay_alu instid0(VALU_DEP_2) | instskip(NEXT) | instid1(VALU_DEP_1)
	v_clz_i32_u32_e32 v32, v54
	v_min_u32_e32 v32, 32, v32
	s_delay_alu instid0(VALU_DEP_1) | instskip(NEXT) | instid1(VALU_DEP_1)
	v_subrev_nc_u32_e32 v33, 28, v32
	v_lshlrev_b64_e32 v[70:71], v33, v[54:55]
	s_delay_alu instid0(VALU_DEP_1)
	v_dual_sub_nc_u32 v32, 29, v32 :: v_dual_bitop2_b32 v54, 7, v70 bitop3:0x40
; %bb.486:                              ;   in Loop: Header=BB185_12 Depth=1
	s_or_b32 exec_lo, exec_lo, s45
	s_delay_alu instid0(VALU_DEP_1) | instskip(NEXT) | instid1(VALU_DEP_2)
	v_dual_lshlrev_b32 v33, 24, v35 :: v_dual_lshlrev_b32 v54, 20, v54
	v_lshl_add_u32 v32, v32, 23, 0x3c000000
	s_delay_alu instid0(VALU_DEP_2) | instskip(NEXT) | instid1(VALU_DEP_1)
	v_and_b32_e32 v33, 0x80000000, v33
	v_or3_b32 v54, v54, v33, v32
	s_delay_alu instid0(VALU_DEP_1)
	v_mov_b64_e32 v[32:33], v[54:55]
.LBB185_487:                            ;   in Loop: Header=BB185_12 Depth=1
	s_or_b32 exec_lo, exec_lo, s44
.LBB185_488:                            ;   in Loop: Header=BB185_12 Depth=1
	s_delay_alu instid0(SALU_CYCLE_1)
	s_or_b32 exec_lo, exec_lo, s43
.LBB185_489:                            ;   in Loop: Header=BB185_12 Depth=1
	s_delay_alu instid0(SALU_CYCLE_1) | instskip(SKIP_2) | instid1(VALU_DEP_1)
	s_or_b32 exec_lo, exec_lo, s42
	v_lshrrev_b16 v54, 8, v35
	s_mov_b32 s42, exec_lo
	v_cmpx_ne_u16_e32 0, v54
	s_cbranch_execz .LBB185_497
; %bb.490:                              ;   in Loop: Header=BB185_12 Depth=1
	v_mov_b64_e32 v[30:31], 0x8000000000000000
	s_mov_b32 s43, exec_lo
	v_cmpx_ne_u16_e32 0x80, v54
	s_cbranch_execz .LBB185_496
; %bb.491:                              ;   in Loop: Header=BB185_12 Depth=1
	v_and_b32_e32 v54, 0xffff, v54
	v_mov_b64_e32 v[30:31], 0x7f80000100000000
	s_mov_b32 s44, exec_lo
	s_delay_alu instid0(VALU_DEP_2) | instskip(NEXT) | instid1(VALU_DEP_1)
	v_and_b32_e32 v70, 0x7f, v54
	v_cmpx_ne_u32_e32 0x7f, v70
	s_cbranch_execz .LBB185_495
; %bb.492:                              ;   in Loop: Header=BB185_12 Depth=1
	v_and_b32_e32 v54, 7, v54
	v_lshrrev_b32_e32 v30, 3, v70
	s_mov_b32 s45, exec_lo
	v_cmpx_gt_u32_e32 8, v70
; %bb.493:                              ;   in Loop: Header=BB185_12 Depth=1
	s_delay_alu instid0(VALU_DEP_3) | instskip(NEXT) | instid1(VALU_DEP_1)
	v_clz_i32_u32_e32 v30, v54
	v_min_u32_e32 v30, 32, v30
	s_delay_alu instid0(VALU_DEP_1) | instskip(SKIP_1) | instid1(VALU_DEP_2)
	v_subrev_nc_u32_e32 v31, 28, v30
	v_sub_nc_u32_e32 v30, 29, v30
	v_lshlrev_b64_e32 v[70:71], v31, v[54:55]
	s_delay_alu instid0(VALU_DEP_1)
	v_and_b32_e32 v54, 7, v70
; %bb.494:                              ;   in Loop: Header=BB185_12 Depth=1
	s_or_b32 exec_lo, exec_lo, s45
	s_delay_alu instid0(VALU_DEP_1) | instskip(SKIP_1) | instid1(VALU_DEP_2)
	v_dual_lshlrev_b32 v31, 16, v35 :: v_dual_lshlrev_b32 v35, 20, v54
	v_lshl_add_u32 v30, v30, 23, 0x3c000000
	v_and_b32_e32 v31, 0x80000000, v31
	s_delay_alu instid0(VALU_DEP_1)
	v_or3_b32 v31, v35, v31, v30
	v_mov_b32_e32 v30, v55
.LBB185_495:                            ;   in Loop: Header=BB185_12 Depth=1
	s_or_b32 exec_lo, exec_lo, s44
.LBB185_496:                            ;   in Loop: Header=BB185_12 Depth=1
	s_delay_alu instid0(SALU_CYCLE_1)
	s_or_b32 exec_lo, exec_lo, s43
.LBB185_497:                            ;   in Loop: Header=BB185_12 Depth=1
	s_delay_alu instid0(SALU_CYCLE_1)
	s_or_b32 exec_lo, exec_lo, s42
	v_mbcnt_lo_u32_b32 v54, -1, 0
	v_or_b32_e32 v13, v13, v15
	v_or_b32_e32 v12, v12, v14
	;; [unrolled: 1-line block ×4, first 2 shown]
	v_xor_b32_e32 v35, 1, v54
	v_or_b32_e32 v9, v9, v11
	v_or_b32_e32 v8, v8, v10
	;; [unrolled: 1-line block ×4, first 2 shown]
	v_cmp_gt_i32_e64 s4, 32, v35
	v_or_b32_e32 v21, v21, v53
	v_or_b32_e32 v53, v105, v107
	;; [unrolled: 1-line block ×3, first 2 shown]
	s_delay_alu instid0(VALU_DEP_4)
	v_dual_cndmask_b32 v35, v54, v35, s4 :: v_dual_bitop2_b32 v4, v4, v6 bitop3:0x54
	v_or_b32_e32 v20, v20, v52
	v_or_b32_e32 v52, v104, v106
	;; [unrolled: 1-line block ×6, first 2 shown]
	s_wait_kmcnt 0x0
	v_pk_mul_f32 v[60:61], s[12:13], v[52:53] op_sel_hi:[0,1]
	v_or_b32_e32 v53, v101, v103
	v_or_b32_e32 v52, v100, v102
	;; [unrolled: 1-line block ×6, first 2 shown]
	v_pk_mul_f32 v[62:63], s[12:13], v[52:53] op_sel_hi:[0,1]
	v_or_b32_e32 v53, v97, v99
	v_or_b32_e32 v52, v96, v98
	s_delay_alu instid0(VALU_DEP_1) | instskip(SKIP_2) | instid1(VALU_DEP_1)
	v_pk_mul_f32 v[66:67], s[12:13], v[52:53] op_sel_hi:[0,1]
	v_or_b32_e32 v53, v93, v95
	v_or_b32_e32 v52, v92, v94
	v_pk_mul_f32 v[68:69], s[12:13], v[52:53] op_sel_hi:[0,1]
	v_or_b32_e32 v53, v89, v91
	v_or_b32_e32 v52, v88, v90
	v_or_b32_e32 v3, v79, v3
	v_or_b32_e32 v2, v78, v2
	s_delay_alu instid0(VALU_DEP_3) | instskip(SKIP_2) | instid1(VALU_DEP_1)
	v_pk_mul_f32 v[74:75], s[12:13], v[52:53] op_sel_hi:[0,1]
	v_or_b32_e32 v53, v85, v87
	v_or_b32_e32 v52, v84, v86
	v_pk_mul_f32 v[78:79], s[12:13], v[52:53] op_sel_hi:[0,1]
	scratch_load_b64 v[52:53], off, off offset:56 th:TH_LOAD_LU ; 8-byte Folded Reload
	s_wait_loadcnt 0x0
	v_or_b32_e32 v53, v81, v53
	v_or_b32_e32 v52, v80, v52
	s_delay_alu instid0(VALU_DEP_1) | instskip(SKIP_4) | instid1(VALU_DEP_1)
	v_pk_mul_f32 v[80:81], s[12:13], v[52:53] op_sel_hi:[0,1]
	scratch_load_b64 v[52:53], off, off offset:48 th:TH_LOAD_LU ; 8-byte Folded Reload
	s_wait_loadcnt 0x0
	v_or_b32_e32 v53, v77, v53
	v_or_b32_e32 v52, v76, v52
	v_pk_mul_f32 v[76:77], s[12:13], v[52:53] op_sel_hi:[0,1]
	s_clause 0x1
	scratch_load_b64 v[52:53], off, off offset:32 th:TH_LOAD_LU
	scratch_load_b64 v[64:65], off, off offset:40 th:TH_LOAD_LU
	s_wait_loadcnt 0x0
	v_or_b32_e32 v53, v53, v65
	v_or_b32_e32 v52, v52, v64
	s_delay_alu instid0(VALU_DEP_1)
	v_pk_mul_f32 v[82:83], s[12:13], v[52:53] op_sel_hi:[0,1]
	s_clause 0x1
	scratch_load_b64 v[52:53], off, off offset:16 th:TH_LOAD_LU
	scratch_load_b64 v[64:65], off, off offset:24 th:TH_LOAD_LU
	s_wait_loadcnt 0x0
	v_or_b32_e32 v53, v53, v65
	v_or_b32_e32 v52, v52, v64
	s_clause 0x1
	scratch_load_b64 v[64:65], off, off th:TH_LOAD_LU
	scratch_load_b64 v[84:85], off, off offset:8 th:TH_LOAD_LU
	v_pk_mul_f32 v[52:53], s[12:13], v[52:53] op_sel_hi:[0,1]
	s_delay_alu instid0(VALU_DEP_1) | instskip(SKIP_3) | instid1(VALU_DEP_1)
	v_dual_mul_f32 v32, v49, v53 :: v_dual_bitop2_b32 v26, v72, v26 bitop3:0x54
	s_wait_loadcnt 0x0
	v_or_b32_e32 v65, v65, v85
	v_or_b32_e32 v64, v64, v84
	v_pk_mul_f32 v[84:85], s[12:13], v[64:65] op_sel_hi:[0,1]
	v_pk_mul_f32 v[64:65], s[12:13], v[30:31] op_sel_hi:[0,1]
	v_dual_mul_f32 v31, v48, v52 :: v_dual_bitop2_b32 v27, v73, v27 bitop3:0x54
	s_delay_alu instid0(VALU_DEP_3) | instskip(SKIP_1) | instid1(VALU_DEP_3)
	v_dual_lshlrev_b32 v30, 2, v35 :: v_dual_fmac_f32 v32, v47, v85
	v_or_b32_e32 v22, v22, v24
	v_dual_fmac_f32 v31, v46, v84 :: v_dual_bitop2_b32 v23, v23, v25 bitop3:0x54
	v_pk_mul_f32 v[70:71], s[12:13], v[28:29] op_sel_hi:[0,1]
	s_delay_alu instid0(VALU_DEP_4) | instskip(NEXT) | instid1(VALU_DEP_3)
	v_dual_fmac_f32 v32, v43, v83 :: v_dual_bitop2_b32 v16, v16, v18 bitop3:0x54
	v_dual_fmac_f32 v31, v42, v82 :: v_dual_bitop2_b32 v17, v17, v19 bitop3:0x54
	v_or_b32_e32 v29, v109, v111
	s_delay_alu instid0(VALU_DEP_3) | instskip(NEXT) | instid1(VALU_DEP_3)
	v_dual_fmac_f32 v32, v45, v77 :: v_dual_bitop2_b32 v28, v108, v110 bitop3:0x54
	v_fmac_f32_e32 v31, v44, v76
	v_pk_mul_f32 v[72:73], s[12:13], v[26:27] op_sel_hi:[0,1]
	s_delay_alu instid0(VALU_DEP_3) | instskip(NEXT) | instid1(VALU_DEP_4)
	v_dual_fmac_f32 v32, v39, v81 :: v_dual_bitop2_b32 v27, v117, v119 bitop3:0x54
	v_pk_mul_f32 v[28:29], s[12:13], v[28:29] op_sel_hi:[0,1]
	s_delay_alu instid0(VALU_DEP_4) | instskip(SKIP_1) | instid1(VALU_DEP_4)
	v_dual_fmac_f32 v31, v38, v80 :: v_dual_bitop2_b32 v26, v116, v118 bitop3:0x54
	v_pk_mul_f32 v[12:13], s[12:13], v[12:13] op_sel_hi:[0,1]
	v_fmac_f32_e32 v32, v41, v79
	v_pk_mul_f32 v[16:17], s[12:13], v[16:17] op_sel_hi:[0,1]
	s_delay_alu instid0(VALU_DEP_4)
	v_fmac_f32_e32 v31, v40, v78
	scratch_load_b128 v[38:41], off, off offset:200 th:TH_LOAD_LU ; 16-byte Folded Reload
	v_pk_mul_f32 v[56:57], s[12:13], v[26:27] op_sel_hi:[0,1]
	v_or_b32_e32 v27, v113, v115
	v_or_b32_e32 v26, v112, v114
	v_pk_mul_f32 v[8:9], s[12:13], v[8:9] op_sel_hi:[0,1]
	v_pk_mul_f32 v[22:23], s[12:13], v[22:23] op_sel_hi:[0,1]
	;; [unrolled: 1-line block ×3, first 2 shown]
	s_delay_alu instid0(VALU_DEP_4) | instskip(SKIP_3) | instid1(VALU_DEP_2)
	v_pk_mul_f32 v[26:27], s[12:13], v[26:27] op_sel_hi:[0,1]
	s_wait_loadcnt 0x0
	v_dual_fmac_f32 v31, v38, v74 :: v_dual_fmac_f32 v32, v39, v75
	v_pk_mul_f32 v[4:5], s[12:13], v[4:5] op_sel_hi:[0,1]
	v_dual_fmac_f32 v31, v40, v68 :: v_dual_fmac_f32 v32, v41, v69
	scratch_load_b128 v[38:41], off, off offset:184 th:TH_LOAD_LU ; 16-byte Folded Reload
	v_pk_mul_f32 v[2:3], s[12:13], v[2:3] op_sel_hi:[0,1]
	s_wait_loadcnt 0x0
	v_dual_fmac_f32 v31, v38, v66 :: v_dual_fmac_f32 v32, v39, v67
	v_pk_mul_f32 v[6:7], s[12:13], v[6:7] op_sel_hi:[0,1]
	s_delay_alu instid0(VALU_DEP_2)
	v_dual_fmac_f32 v31, v40, v62 :: v_dual_fmac_f32 v32, v41, v63
	scratch_load_b128 v[38:41], off, off offset:168 th:TH_LOAD_LU ; 16-byte Folded Reload
	v_pk_mul_f32 v[10:11], s[12:13], v[10:11] op_sel_hi:[0,1]
	s_wait_loadcnt 0x0
	v_dual_fmac_f32 v31, v38, v60 :: v_dual_fmac_f32 v32, v39, v61
	v_pk_mul_f32 v[0:1], s[12:13], v[0:1] op_sel_hi:[0,1]
	s_delay_alu instid0(VALU_DEP_2)
	v_dual_fmac_f32 v31, v40, v28 :: v_dual_fmac_f32 v32, v41, v29
	scratch_load_b128 v[38:41], off, off offset:152 th:TH_LOAD_LU ; 16-byte Folded Reload
	v_or_b32_e32 v19, v125, v127
	v_or_b32_e32 v18, v124, v126
	v_pk_mul_f32 v[14:15], s[12:13], v[14:15] op_sel_hi:[0,1]
	s_wait_loadcnt 0x0
	v_dual_fmac_f32 v31, v38, v26 :: v_dual_fmac_f32 v32, v39, v27
	scratch_load_b128 v[26:29], off, off offset:136 th:TH_LOAD_LU ; 16-byte Folded Reload
	v_or_b32_e32 v25, v121, v123
	v_or_b32_e32 v24, v120, v122
	v_dual_fmac_f32 v31, v40, v56 :: v_dual_fmac_f32 v32, v41, v57
	v_pk_mul_f32 v[18:19], s[12:13], v[18:19] op_sel_hi:[0,1]
	s_delay_alu instid0(VALU_DEP_3) | instskip(SKIP_1) | instid1(VALU_DEP_1)
	v_pk_mul_f32 v[24:25], s[12:13], v[24:25] op_sel_hi:[0,1]
	s_wait_loadcnt 0x0
	v_dual_fmac_f32 v31, v26, v24 :: v_dual_fmac_f32 v32, v27, v25
	scratch_load_b128 v[24:27], off, off offset:120 th:TH_LOAD_LU ; 16-byte Folded Reload
	v_dual_fmac_f32 v31, v28, v18 :: v_dual_fmac_f32 v32, v29, v19
	s_wait_loadcnt 0x0
	s_delay_alu instid0(VALU_DEP_1) | instskip(NEXT) | instid1(VALU_DEP_1)
	v_dual_fmac_f32 v31, v24, v14 :: v_dual_fmac_f32 v32, v25, v15
	v_dual_fmac_f32 v31, v26, v0 :: v_dual_fmac_f32 v32, v27, v1
	scratch_load_b128 v[24:27], off, off offset:104 th:TH_LOAD_LU ; 16-byte Folded Reload
	s_wait_loadcnt 0x0
	v_dual_fmac_f32 v31, v24, v10 :: v_dual_fmac_f32 v32, v25, v11
	s_delay_alu instid0(VALU_DEP_1)
	v_dual_fmac_f32 v31, v26, v6 :: v_dual_fmac_f32 v32, v27, v7
	scratch_load_b128 v[24:27], off, off offset:88 th:TH_LOAD_LU ; 16-byte Folded Reload
	s_wait_loadcnt 0x0
	v_dual_fmac_f32 v31, v24, v2 :: v_dual_fmac_f32 v32, v25, v3
	scratch_load_b128 v[0:3], off, off offset:72 th:TH_LOAD_LU ; 16-byte Folded Reload
	v_dual_fmac_f32 v31, v26, v4 :: v_dual_fmac_f32 v32, v27, v5
	s_wait_loadcnt 0x0
	s_delay_alu instid0(VALU_DEP_1) | instskip(SKIP_3) | instid1(VALU_DEP_1)
	v_dual_fmac_f32 v31, v0, v8 :: v_dual_fmac_f32 v32, v1, v9
	scratch_load_b64 v[0:1], off, off offset:64 th:TH_LOAD_LU ; 8-byte Folded Reload
	v_dual_fmac_f32 v31, v2, v12 :: v_dual_fmac_f32 v32, v3, v13
	s_wait_loadcnt 0x0
	v_dual_fmac_f32 v31, v0, v16 :: v_dual_fmac_f32 v32, v1, v17
	ds_load_2addr_b64 v[0:3], v36 offset0:25 offset1:26
	s_wait_dscnt 0x0
	v_dual_fmac_f32 v31, v22, v0 :: v_dual_fmac_f32 v32, v23, v1
	s_delay_alu instid0(VALU_DEP_1)
	v_dual_fmac_f32 v31, v72, v2 :: v_dual_fmac_f32 v32, v73, v3
	ds_load_2addr_b64 v[0:3], v36 offset0:27 offset1:28
	s_wait_dscnt 0x0
	v_dual_fmac_f32 v31, v70, v0 :: v_dual_fmac_f32 v32, v71, v1
	ds_load_b64 v[0:1], v36 offset:232
	v_dual_fmac_f32 v31, v20, v2 :: v_dual_fmac_f32 v32, v21, v3
	s_wait_dscnt 0x0
	s_delay_alu instid0(VALU_DEP_1) | instskip(NEXT) | instid1(VALU_DEP_1)
	v_dual_fmac_f32 v31, v64, v0 :: v_dual_fmac_f32 v32, v65, v1
	v_add_f32_e32 v0, v31, v32
	ds_bpermute_b32 v1, v30, v0
	s_wait_xcnt 0x0
	s_and_saveexec_b32 s12, s3
	s_cbranch_execz .LBB185_10
; %bb.498:                              ;   in Loop: Header=BB185_12 Depth=1
	s_clause 0x1
	scratch_load_b32 v2, off, off offset:232
	scratch_load_b32 v3, off, off offset:216
	s_wait_loadcnt_dscnt 0x100
	v_dual_add_f32 v0, v0, v1 :: v_dual_add_nc_u32 v2, v2, v34
	s_delay_alu instid0(VALU_DEP_1) | instskip(NEXT) | instid1(VALU_DEP_1)
	v_cvt_f32_i32_e32 v2, v2
	v_mul_f32_e32 v2, s37, v2
	s_delay_alu instid0(VALU_DEP_1) | instskip(NEXT) | instid1(VALU_DEP_1)
	v_cndmask_b32_e32 v1, 0, v2, vcc_lo
	v_fmac_f32_e32 v1, s27, v0
	scratch_load_b32 v0, off, off offset:228 ; 4-byte Folded Reload
	s_wait_loadcnt 0x1
	v_max_num_f32_e32 v2, v3, v3
	s_wait_loadcnt 0x0
	s_delay_alu instid0(VALU_DEP_1) | instskip(NEXT) | instid1(VALU_DEP_1)
	v_dual_max_num_f32 v2, v2, v1 :: v_dual_add_nc_u32 v0, v0, v34
	v_cmp_gt_i32_e64 s4, s34, v0
	s_delay_alu instid0(VALU_DEP_1)
	v_dual_cndmask_b32 v0, 0, v1, s4 :: v_dual_cndmask_b32 v3, v3, v2, s4
	ds_store_b32 v51, v0
	scratch_store_b32 off, v3, off offset:216 ; 4-byte Folded Spill
	s_branch .LBB185_10
.LBB185_499:
	s_or_b32 exec_lo, exec_lo, s41
	s_clause 0x4
	scratch_load_b32 v37, off, off offset:236
	scratch_load_b32 v38, off, off offset:240
	;; [unrolled: 1-line block ×5, first 2 shown]
.LBB185_500:
	s_wait_xcnt 0x0
	s_or_b32 exec_lo, exec_lo, s38
	v_mbcnt_lo_u32_b32 v6, -1, 0
	s_clause 0x1
	s_load_b64 s[4:5], s[0:1], 0x0
	s_load_b64 s[8:9], s[0:1], 0x18
	s_wait_loadcnt 0x4
	v_and_b32_e32 v90, 31, v37
	v_xor_b32_e32 v0, 16, v6
	v_xor_b32_e32 v2, 8, v6
	s_delay_alu instid0(VALU_DEP_2) | instskip(SKIP_1) | instid1(VALU_DEP_3)
	v_cmp_gt_i32_e32 vcc_lo, 32, v0
	v_cndmask_b32_e32 v0, v6, v0, vcc_lo
	v_cmp_gt_i32_e32 vcc_lo, 32, v2
	s_delay_alu instid0(VALU_DEP_2) | instskip(SKIP_4) | instid1(VALU_DEP_1)
	v_dual_lshlrev_b32 v0, 2, v0 :: v_dual_cndmask_b32 v2, v6, v2, vcc_lo
	s_wait_loadcnt_dscnt 0x0
	ds_bpermute_b32 v1, v0, v3
	s_wait_dscnt 0x0
	v_dual_max_num_f32 v3, v3, v3 :: v_dual_max_num_f32 v4, v1, v1
	v_dual_lshlrev_b32 v1, 2, v2 :: v_dual_max_num_f32 v3, v3, v4
	v_xor_b32_e32 v4, 4, v6
	ds_bpermute_b32 v2, v1, v3
	v_cmp_gt_i32_e32 vcc_lo, 32, v4
	s_wait_dscnt 0x0
	v_max_num_f32_e32 v5, v2, v2
	s_delay_alu instid0(VALU_DEP_1) | instskip(NEXT) | instid1(VALU_DEP_1)
	v_dual_cndmask_b32 v4, v6, v4 :: v_dual_max_num_f32 v3, v3, v5
	v_lshlrev_b32_e32 v2, 2, v4
	ds_bpermute_b32 v4, v2, v3
	s_wait_dscnt 0x0
	v_dual_max_num_f32 v4, v4, v4 :: v_dual_bitop2_b32 v5, 2, v6 bitop3:0x14
	s_delay_alu instid0(VALU_DEP_1) | instskip(NEXT) | instid1(VALU_DEP_2)
	v_cmp_gt_i32_e32 vcc_lo, 32, v5
	v_dual_max_num_f32 v4, v3, v4 :: v_dual_cndmask_b32 v5, v6, v5
	v_cmp_eq_u32_e32 vcc_lo, 0, v90
	s_delay_alu instid0(VALU_DEP_2)
	v_dual_lshlrev_b32 v3, 2, v38 :: v_dual_lshlrev_b32 v91, 2, v5
	ds_bpermute_b32 v5, v91, v4
	s_wait_xcnt 0x0
	s_and_saveexec_b32 s0, vcc_lo
	s_cbranch_execz .LBB185_502
; %bb.501:
	s_wait_dscnt 0x0
	v_dual_max_num_f32 v5, v5, v5 :: v_dual_max_num_f32 v4, v4, v4
	s_delay_alu instid0(VALU_DEP_1)
	v_max_num_f32_e32 v4, v4, v5
	ds_store_b32 v3, v4 offset:480
.LBB185_502:
	s_or_b32 exec_lo, exec_lo, s0
	v_cmp_gt_u32_e64 s0, 4, v90
	s_wait_dscnt 0x0
	v_dual_mov_b32 v5, 0xff7fffff :: v_dual_lshlrev_b32 v4, 2, v90
	s_wait_storecnt 0x0
	s_barrier_signal -1
	s_barrier_wait -1
	s_and_saveexec_b32 s1, s0
; %bb.503:
	ds_load_b32 v5, v4 offset:480
; %bb.504:
	s_or_b32 exec_lo, exec_lo, s1
	s_wait_dscnt 0x0
	ds_bpermute_b32 v6, v91, v5
	v_mbcnt_lo_u32_b32 v8, -1, 0
	s_delay_alu instid0(VALU_DEP_1) | instskip(NEXT) | instid1(VALU_DEP_1)
	v_dual_max_num_f32 v5, v5, v5 :: v_dual_bitop2_b32 v7, 1, v8 bitop3:0x14
	v_cmp_gt_i32_e64 s1, 32, v7
	s_delay_alu instid0(VALU_DEP_1) | instskip(SKIP_1) | instid1(SALU_CYCLE_1)
	v_cndmask_b32_e64 v7, v8, v7, s1
	s_lshl_b32 s1, s26, 4
	s_min_i32 s12, s1, s34
	s_wait_dscnt 0x0
	s_delay_alu instid0(VALU_DEP_1) | instskip(SKIP_1) | instid1(VALU_DEP_2)
	v_dual_max_num_f32 v6, v6, v6 :: v_dual_lshlrev_b32 v92, 2, v7
	v_cmp_gt_i32_e64 s1, s12, v37
	v_max_num_f32_e32 v5, v5, v6
	ds_bpermute_b32 v6, v92, v5
	s_wait_dscnt 0x0
	v_max_num_f32_e32 v6, v6, v6
	s_delay_alu instid0(VALU_DEP_1)
	v_dual_max_num_f32 v6, v5, v6 :: v_dual_mov_b32 v5, 0
	ds_bpermute_b32 v6, v5, v6
	s_and_saveexec_b32 s19, s1
	s_cbranch_execz .LBB185_508
; %bb.505:
	v_lshl_add_u32 v7, v37, 2, 0x200
	v_dual_mov_b32 v5, 0 :: v_dual_mov_b32 v8, v37
	s_mov_b32 s27, 0
.LBB185_506:                            ; =>This Inner Loop Header: Depth=1
	ds_load_b32 v9, v7
	v_add_nc_u32_e32 v8, 0x80, v8
	s_delay_alu instid0(VALU_DEP_1) | instskip(SKIP_3) | instid1(VALU_DEP_1)
	v_cmp_le_i32_e64 s3, s12, v8
	s_or_b32 s27, s3, s27
	s_wait_dscnt 0x0
	v_sub_f32_e32 v9, v9, v6
	v_mul_f32_e32 v9, 0x3fb8aa3b, v9
	s_delay_alu instid0(VALU_DEP_1)
	v_exp_f32_e32 v9, v9
	ds_store_b32 v7, v9
	v_nop
	v_add_f32_e32 v5, v5, v9
	v_add_nc_u32_e32 v7, 0x200, v7
	s_and_not1_b32 exec_lo, exec_lo, s27
	s_cbranch_execnz .LBB185_506
; %bb.507:
	s_or_b32 exec_lo, exec_lo, s27
.LBB185_508:
	s_delay_alu instid0(SALU_CYCLE_1)
	s_or_b32 exec_lo, exec_lo, s19
	ds_bpermute_b32 v0, v0, v5
	s_wait_dscnt 0x0
	v_add_f32_e32 v0, v5, v0
	ds_bpermute_b32 v1, v1, v0
	s_wait_dscnt 0x0
	v_add_f32_e32 v0, v0, v1
	;; [unrolled: 3-line block ×5, first 2 shown]
	s_and_saveexec_b32 s3, vcc_lo
; %bb.509:
	ds_store_b32 v3, v0 offset:496
; %bb.510:
	s_or_b32 exec_lo, exec_lo, s3
	s_wait_dscnt 0x0
	s_barrier_signal -1
	s_barrier_wait -1
	s_and_saveexec_b32 s3, s0
; %bb.511:
	ds_load_b32 v0, v4 offset:496
; %bb.512:
	s_or_b32 exec_lo, exec_lo, s3
	s_wait_dscnt 0x0
	ds_bpermute_b32 v1, v91, v0
	s_wait_dscnt 0x0
	v_dual_mov_b32 v7, 0 :: v_dual_add_f32 v0, v0, v1
	ds_bpermute_b32 v1, v92, v0
	s_wait_dscnt 0x0
	v_add_f32_e32 v0, v0, v1
	ds_bpermute_b32 v0, v7, v0
	s_and_saveexec_b32 s0, s1
	s_cbranch_execz .LBB185_525
; %bb.513:
	s_wait_dscnt 0x0
	v_add_f32_e32 v0, 0x358637bd, v0
	s_mov_b32 s3, -1
	s_mov_b32 s1, exec_lo
	s_delay_alu instid0(VALU_DEP_1) | instskip(NEXT) | instid1(VALU_DEP_1)
	v_div_scale_f32 v1, null, v0, v0, 1.0
	v_rcp_f32_e32 v3, v1
	v_nop
	s_delay_alu instid0(TRANS32_DEP_1) | instskip(NEXT) | instid1(VALU_DEP_1)
	v_fma_f32 v2, -v1, v3, 1.0
	v_fmac_f32_e32 v3, v2, v3
	v_div_scale_f32 v4, vcc_lo, 1.0, v0, 1.0
	s_delay_alu instid0(VALU_DEP_1) | instskip(NEXT) | instid1(VALU_DEP_1)
	v_mul_f32_e32 v5, v4, v3
	v_fma_f32 v2, -v1, v5, v4
	s_delay_alu instid0(VALU_DEP_1) | instskip(SKIP_1) | instid1(VALU_DEP_2)
	v_fmac_f32_e32 v5, v2, v3
	v_xad_u32 v2, v37, -1, s12
	v_fma_f32 v1, -v1, v5, v4
	s_delay_alu instid0(VALU_DEP_1) | instskip(NEXT) | instid1(VALU_DEP_1)
	v_div_fmas_f32 v1, v1, v3, v5
	v_div_fixup_f32 v0, v1, v0, 1.0
	v_mov_b32_e32 v1, v37
	v_cmpx_lt_u32_e32 0x7f, v2
	s_cbranch_execz .LBB185_522
; %bb.514:
	s_delay_alu instid0(VALU_DEP_3) | instskip(NEXT) | instid1(VALU_DEP_1)
	v_dual_mov_b32 v1, v0 :: v_dual_lshrrev_b32 v2, 7, v2
	v_dual_mov_b32 v6, 0 :: v_dual_add_nc_u32 v3, -1, v2
	s_delay_alu instid0(VALU_DEP_1) | instskip(SKIP_1) | instid1(VALU_DEP_2)
	v_lshrrev_b32_e32 v4, 1, v3
	v_cmp_lt_u32_e32 vcc_lo, 13, v3
	v_add_nc_u32_e32 v3, 1, v4
	s_and_saveexec_b32 s3, vcc_lo
	s_cbranch_execz .LBB185_518
; %bb.515:
	s_delay_alu instid0(VALU_DEP_1)
	v_and_b32_e32 v4, -8, v3
	v_lshl_add_u32 v5, v37, 2, 0x200
	s_mov_b32 s19, 0
	s_mov_b32 s27, 0
.LBB185_516:                            ; =>This Inner Loop Header: Depth=1
	ds_load_2addr_stride64_b32 v[8:9], v5 offset1:2
	ds_load_2addr_stride64_b32 v[10:11], v5 offset0:4 offset1:6
	ds_load_2addr_stride64_b32 v[12:13], v5 offset0:8 offset1:10
	;; [unrolled: 1-line block ×7, first 2 shown]
	s_add_co_i32 s27, s27, 16
	s_delay_alu instid0(SALU_CYCLE_1) | instskip(NEXT) | instid1(VALU_DEP_1)
	v_dual_add_nc_u32 v4, -8, v4 :: v_dual_mov_b32 v6, s27
	v_cmp_eq_u32_e32 vcc_lo, 0, v4
	s_or_b32 s19, vcc_lo, s19
	s_wait_dscnt 0x7
	v_pk_mul_f32 v[8:9], v[0:1], v[8:9]
	s_wait_dscnt 0x6
	v_pk_mul_f32 v[10:11], v[0:1], v[10:11]
	;; [unrolled: 2-line block ×8, first 2 shown]
	ds_store_2addr_stride64_b32 v5, v8, v9 offset1:2
	ds_store_2addr_stride64_b32 v5, v10, v11 offset0:4 offset1:6
	ds_store_2addr_stride64_b32 v5, v12, v13 offset0:8 offset1:10
	;; [unrolled: 1-line block ×7, first 2 shown]
	v_add_nc_u32_e32 v5, 0x2000, v5
	s_and_not1_b32 exec_lo, exec_lo, s19
	s_cbranch_execnz .LBB185_516
; %bb.517:
	s_or_b32 exec_lo, exec_lo, s19
.LBB185_518:
	s_delay_alu instid0(SALU_CYCLE_1) | instskip(NEXT) | instid1(VALU_DEP_1)
	s_or_b32 exec_lo, exec_lo, s3
	v_and_b32_e32 v3, 7, v3
	s_mov_b32 s19, 0
	s_mov_b32 s3, exec_lo
	s_delay_alu instid0(VALU_DEP_1)
	v_cmpx_ne_u32_e32 0, v3
	s_cbranch_execz .LBB185_521
; %bb.519:
	v_lshlrev_b32_e32 v4, 9, v6
	s_delay_alu instid0(VALU_DEP_1)
	v_add3_u32 v4, v4, v24, 0x200
.LBB185_520:                            ; =>This Inner Loop Header: Depth=1
	ds_load_2addr_stride64_b32 v[8:9], v4 offset1:2
	v_add_nc_u32_e32 v3, -1, v3
	s_delay_alu instid0(VALU_DEP_1)
	v_cmp_eq_u32_e32 vcc_lo, 0, v3
	s_or_b32 s19, vcc_lo, s19
	s_wait_dscnt 0x0
	v_pk_mul_f32 v[8:9], v[0:1], v[8:9]
	ds_store_2addr_stride64_b32 v4, v8, v9 offset1:2
	v_add_nc_u32_e32 v4, 0x400, v4
	s_and_not1_b32 exec_lo, exec_lo, s19
	s_cbranch_execnz .LBB185_520
.LBB185_521:
	s_or_b32 exec_lo, exec_lo, s3
	v_add_nc_u32_e32 v1, 1, v2
	s_delay_alu instid0(VALU_DEP_1) | instskip(NEXT) | instid1(VALU_DEP_1)
	v_and_b32_e32 v2, 0x3fffffe, v1
	v_cmp_ne_u32_e32 vcc_lo, v1, v2
	v_lshl_add_u32 v1, v2, 7, v37
	s_or_not1_b32 s3, vcc_lo, exec_lo
.LBB185_522:
	s_or_b32 exec_lo, exec_lo, s1
	s_delay_alu instid0(SALU_CYCLE_1)
	s_and_b32 exec_lo, exec_lo, s3
	s_cbranch_execz .LBB185_525
; %bb.523:
	v_lshl_add_u32 v2, v1, 2, 0x200
	s_mov_b32 s1, 0
.LBB185_524:                            ; =>This Inner Loop Header: Depth=1
	ds_load_b32 v3, v2
	v_add_nc_u32_e32 v1, 0x80, v1
	s_delay_alu instid0(VALU_DEP_1)
	v_cmp_le_i32_e32 vcc_lo, s12, v1
	s_or_b32 s1, vcc_lo, s1
	s_wait_dscnt 0x0
	v_mul_f32_e32 v3, v0, v3
	ds_store_b32 v2, v3
	v_add_nc_u32_e32 v2, 0x200, v2
	s_and_not1_b32 exec_lo, exec_lo, s1
	s_cbranch_execnz .LBB185_524
.LBB185_525:
	s_or_b32 exec_lo, exec_lo, s0
	v_dual_mov_b32 v6, 0 :: v_dual_bitop2_b32 v93, 3, v37 bitop3:0x40
	v_dual_mov_b32 v11, 0 :: v_dual_mov_b32 v10, 0
	v_dual_mov_b32 v13, 0 :: v_dual_mov_b32 v12, 0
	;; [unrolled: 1-line block ×6, first 2 shown]
	v_mov_b32_e32 v94, 0
	s_wait_dscnt 0x0
	s_barrier_signal -1
	s_barrier_wait -1
	s_and_saveexec_b32 s1, s2
	s_cbranch_execz .LBB185_1041
; %bb.526:
	s_abs_i32 s12, s14
	v_and_b32_e32 v20, 0x7c, v24
	s_cvt_f32_u32 s0, s12
	v_dual_mov_b32 v21, 0 :: v_dual_lshlrev_b32 v1, 4, v93
	s_ashr_i32 s19, s18, 31
	s_delay_alu instid0(SALU_CYCLE_1)
	v_rcp_iflag_f32_e32 v0, s0
	s_wait_kmcnt 0x0
	s_add_nc_u64 s[8:9], s[8:9], s[18:19]
	s_lshl_b64 s[24:25], s[24:25], 2
	v_add_nc_u64_e32 v[22:23], s[8:9], v[20:21]
	v_and_b32_e32 v20, 0x7c, v25
	s_add_nc_u64 s[8:9], s[22:23], s[24:25]
	s_sub_co_i32 s2, 0, s12
	v_readfirstlane_b32 s0, v0
	v_lshl_or_b32 v0, v38, 6, v1
	v_dual_mov_b32 v104, v37 :: v_dual_bitop2_b32 v95, 12, v24 bitop3:0x40
	v_add_nc_u64_e32 v[24:25], s[8:9], v[20:21]
	s_mul_f32 s0, s0, 0x4f7ffffe
	v_dual_mov_b32 v94, 0 :: v_dual_mov_b32 v96, v38
	v_dual_mov_b32 v8, 0 :: v_dual_mov_b32 v105, v38
	s_delay_alu instid0(SALU_CYCLE_1) | instskip(SKIP_2) | instid1(SALU_CYCLE_1)
	s_cvt_u32_f32 s0, s0
	v_dual_mov_b32 v18, 0 :: v_dual_add_nc_u32 v97, 0x200, v0
	v_dual_mov_b32 v9, 0 :: v_dual_mov_b32 v19, 0
	s_mul_i32 s2, s2, s0
	v_dual_mov_b32 v16, 0 :: v_dual_mov_b32 v17, 0
	v_dual_mov_b32 v14, 0 :: v_dual_mov_b32 v15, 0
	;; [unrolled: 1-line block ×5, first 2 shown]
	s_mov_b32 s3, 0
	s_mul_hi_u32 s2, s0, s2
	s_sub_co_i32 s13, s36, s13
	s_mov_b32 s14, s17
	s_add_co_i32 s17, s26, -1
	s_mov_b32 s18, s34
	s_add_co_i32 s2, s0, s2
	s_mov_b32 s19, s3
	s_branch .LBB185_529
.LBB185_527:                            ;   in Loop: Header=BB185_529 Depth=1
	s_or_b32 exec_lo, exec_lo, s0
	s_wait_dscnt 0x0
	v_mul_f32_e32 v51, v2, v78
	v_mul_f32_e32 v20, v2, v82
	;; [unrolled: 1-line block ×3, first 2 shown]
	v_dual_mul_f32 v74, v2, v74 :: v_dual_mul_f32 v56, v2, v56
	s_delay_alu instid0(VALU_DEP_4) | instskip(NEXT) | instid1(VALU_DEP_4)
	v_fmac_f32_e32 v51, v3, v79
	v_dual_fmac_f32 v20, v3, v83 :: v_dual_mul_f32 v66, v2, v66
	s_delay_alu instid0(VALU_DEP_4) | instskip(NEXT) | instid1(VALU_DEP_3)
	v_fmac_f32_e32 v70, v3, v71
	v_dual_fmac_f32 v74, v3, v75 :: v_dual_fmac_f32 v51, v4, v76
	s_delay_alu instid0(VALU_DEP_3) | instskip(NEXT) | instid1(VALU_DEP_3)
	v_dual_fmac_f32 v20, v4, v80 :: v_dual_fmac_f32 v66, v3, v67
	v_fmac_f32_e32 v70, v4, v68
	s_delay_alu instid0(VALU_DEP_3) | instskip(NEXT) | instid1(VALU_DEP_3)
	v_dual_fmac_f32 v74, v4, v72 :: v_dual_fmac_f32 v51, v5, v77
	v_dual_fmac_f32 v20, v5, v81 :: v_dual_fmac_f32 v66, v4, v64
	s_delay_alu instid0(VALU_DEP_2) | instskip(NEXT) | instid1(VALU_DEP_2)
	v_dual_mul_f32 v28, v2, v28 :: v_dual_fmac_f32 v74, v5, v73
	v_dual_add_f32 v6, v6, v51 :: v_dual_add_f32 v7, v7, v20
	v_dual_fmac_f32 v70, v5, v69 :: v_dual_mul_f32 v20, v2, v62
	s_delay_alu instid0(VALU_DEP_3) | instskip(NEXT) | instid1(VALU_DEP_2)
	v_dual_mul_f32 v51, v2, v60 :: v_dual_add_f32 v11, v11, v74
	v_dual_fmac_f32 v66, v5, v65 :: v_dual_add_f32 v10, v10, v70
	s_delay_alu instid0(VALU_DEP_3) | instskip(NEXT) | instid1(VALU_DEP_3)
	v_dual_mul_f32 v52, v2, v52 :: v_dual_fmac_f32 v20, v3, v63
	v_dual_mul_f32 v46, v2, v46 :: v_dual_fmac_f32 v51, v3, v61
	s_delay_alu instid0(VALU_DEP_3) | instskip(NEXT) | instid1(VALU_DEP_2)
	v_dual_add_f32 v13, v13, v66 :: v_dual_fmac_f32 v56, v3, v57
	v_dual_fmac_f32 v52, v3, v53 :: v_dual_fmac_f32 v46, v3, v47
	s_delay_alu instid0(VALU_DEP_3) | instskip(NEXT) | instid1(VALU_DEP_3)
	v_dual_fmac_f32 v51, v4, v58 :: v_dual_fmac_f32 v20, v4, v0
	v_fmac_f32_e32 v56, v4, v54
	s_delay_alu instid0(VALU_DEP_3) | instskip(NEXT) | instid1(VALU_DEP_3)
	v_dual_fmac_f32 v28, v3, v29 :: v_dual_fmac_f32 v46, v4, v44
	v_dual_fmac_f32 v52, v4, v48 :: v_dual_fmac_f32 v51, v5, v59
	s_delay_alu instid0(VALU_DEP_4) | instskip(SKIP_1) | instid1(VALU_DEP_4)
	v_fmac_f32_e32 v20, v5, v1
	v_pk_mul_f32 v[0:1], v[2:3], v[84:85]
	v_dual_fmac_f32 v46, v5, v45 :: v_dual_fmac_f32 v28, v4, v26
	s_delay_alu instid0(VALU_DEP_4) | instskip(NEXT) | instid1(VALU_DEP_4)
	v_add_f32_e32 v15, v15, v51
	v_dual_fmac_f32 v56, v5, v55 :: v_dual_add_f32 v12, v12, v20
	v_dual_fmac_f32 v52, v5, v49 :: v_dual_mul_f32 v20, v2, v42
	s_delay_alu instid0(VALU_DEP_2) | instskip(NEXT) | instid1(VALU_DEP_2)
	v_dual_add_f32 v16, v16, v46 :: v_dual_add_f32 v14, v14, v56
	v_dual_mul_f32 v38, v2, v38 :: v_dual_add_f32 v17, v17, v52
	s_delay_alu instid0(VALU_DEP_3) | instskip(NEXT) | instid1(VALU_DEP_2)
	v_dual_fmac_f32 v20, v3, v43 :: v_dual_mul_f32 v34, v2, v34
	v_dual_add_f32 v0, v1, v0 :: v_dual_fmac_f32 v38, v3, v39
	v_fmac_f32_e32 v28, v5, v27
	s_delay_alu instid0(VALU_DEP_3) | instskip(SKIP_1) | instid1(VALU_DEP_4)
	v_fmac_f32_e32 v34, v3, v35
	v_pk_mul_f32 v[2:3], v[4:5], v[30:31]
	v_fmac_f32_e32 v38, v4, v36
	v_fmac_f32_e32 v20, v4, v40
	v_add_f32_e32 v8, v8, v28
	v_fmac_f32_e32 v34, v4, v32
	s_delay_alu instid0(VALU_DEP_4) | instskip(NEXT) | instid1(VALU_DEP_4)
	v_dual_add_f32 v0, v2, v0 :: v_dual_fmac_f32 v38, v5, v37
	v_fmac_f32_e32 v20, v5, v41
	s_delay_alu instid0(VALU_DEP_2) | instskip(NEXT) | instid1(VALU_DEP_2)
	v_dual_fmac_f32 v34, v5, v33 :: v_dual_add_f32 v0, v3, v0
	v_dual_add_f32 v18, v18, v38 :: v_dual_add_f32 v19, v19, v20
	s_delay_alu instid0(VALU_DEP_2)
	v_dual_add_f32 v9, v9, v34 :: v_dual_add_f32 v94, v94, v0
.LBB185_528:                            ;   in Loop: Header=BB185_529 Depth=1
	s_or_b32 exec_lo, exec_lo, s22
	v_dual_add_nc_u32 v96, 4, v96 :: v_dual_add_nc_u32 v50, 64, v50
	v_add_nc_u64_e32 v[24:25], 16, v[24:25]
	v_add_nc_u32_e32 v97, 0x100, v97
	s_delay_alu instid0(VALU_DEP_3) | instskip(SKIP_1) | instid1(SALU_CYCLE_1)
	v_cmp_le_i32_e32 vcc_lo, s26, v96
	s_or_b32 s19, vcc_lo, s19
	s_and_not1_b32 exec_lo, exec_lo, s19
	s_cbranch_execz .LBB185_1040
.LBB185_529:                            ; =>This Inner Loop Header: Depth=1
	v_mov_b32_e32 v51, v21
	s_delay_alu instid0(VALU_DEP_1) | instskip(NEXT) | instid1(VALU_DEP_1)
	v_mul_u64_e32 v[0:1], s[20:21], v[50:51]
	v_mul_lo_u32 v0, v1, s16
	s_delay_alu instid0(VALU_DEP_1) | instskip(NEXT) | instid1(VALU_DEP_1)
	v_sub_nc_u32_e32 v0, v50, v0
	v_subrev_nc_u32_e32 v3, s16, v0
	v_cmp_le_u32_e32 vcc_lo, s16, v0
	s_delay_alu instid0(VALU_DEP_2) | instskip(NEXT) | instid1(VALU_DEP_1)
	v_dual_add_nc_u32 v2, 1, v1 :: v_dual_cndmask_b32 v0, v0, v3, vcc_lo
	v_cndmask_b32_e32 v1, v1, v2, vcc_lo
	s_delay_alu instid0(VALU_DEP_2) | instskip(NEXT) | instid1(VALU_DEP_2)
	v_cmp_le_u32_e32 vcc_lo, s16, v0
	v_add_nc_u32_e32 v2, 1, v1
	s_delay_alu instid0(VALU_DEP_1) | instskip(NEXT) | instid1(VALU_DEP_1)
	v_cndmask_b32_e32 v0, v1, v2, vcc_lo
	v_xor_b32_e32 v0, s15, v0
	s_delay_alu instid0(VALU_DEP_1) | instskip(NEXT) | instid1(VALU_DEP_1)
	v_subrev_nc_u32_e32 v2, s15, v0
	v_add_nc_u32_e32 v3, s35, v2
	v_cmp_lt_i32_e64 s0, s13, v2
	s_delay_alu instid0(VALU_DEP_2) | instskip(NEXT) | instid1(VALU_DEP_1)
	v_sub_nc_u32_e32 v0, 0, v3
	v_dual_ashrrev_i32 v3, 31, v3 :: v_dual_max_i32 v20, v3, v0
	s_delay_alu instid0(VALU_DEP_1) | instskip(NEXT) | instid1(VALU_DEP_1)
	v_mul_u64_e32 v[0:1], s[2:3], v[20:21]
	v_mul_lo_u32 v0, v1, s12
	s_delay_alu instid0(VALU_DEP_1) | instskip(NEXT) | instid1(VALU_DEP_1)
	v_sub_nc_u32_e32 v0, v20, v0
	v_subrev_nc_u32_e32 v1, s12, v0
	v_cmp_le_u32_e32 vcc_lo, s12, v0
	s_delay_alu instid0(VALU_DEP_2) | instskip(NEXT) | instid1(VALU_DEP_1)
	v_cndmask_b32_e32 v0, v0, v1, vcc_lo
	v_subrev_nc_u32_e32 v1, s12, v0
	v_cmp_le_u32_e32 vcc_lo, s12, v0
	s_delay_alu instid0(VALU_DEP_2) | instskip(NEXT) | instid1(VALU_DEP_1)
	v_cndmask_b32_e32 v0, v0, v1, vcc_lo
	v_xor_b32_e32 v0, v0, v3
	s_delay_alu instid0(VALU_DEP_1) | instskip(NEXT) | instid1(VALU_DEP_1)
	v_sub_nc_u32_e32 v0, v0, v3
	v_cmp_eq_u32_e32 vcc_lo, 0, v0
	s_or_b32 s0, vcc_lo, s0
	s_delay_alu instid0(SALU_CYCLE_1)
	s_and_saveexec_b32 s22, s0
	s_cbranch_execz .LBB185_528
; %bb.530:                              ;   in Loop: Header=BB185_529 Depth=1
	global_load_b32 v0, v[24:25], off
	ds_load_b128 v[2:5], v97
	s_load_b32 s8, s[10:11], 0x0
	v_mov_b64_e32 v[26:27], 0
	s_mov_b32 s0, exec_lo
	s_wait_loadcnt 0x0
	v_mad_nc_i64_i32 v[30:31], v0, s14, v[22:23]
	v_mov_b64_e32 v[0:1], 0
	global_load_b32 v34, v[30:31], off
	s_wait_loadcnt 0x0
	v_and_b32_e32 v20, 0xff, v34
	s_delay_alu instid0(VALU_DEP_1)
	v_cmpx_ne_u16_e32 0, v20
	s_cbranch_execz .LBB185_538
; %bb.531:                              ;   in Loop: Header=BB185_529 Depth=1
	v_mov_b64_e32 v[26:27], 0x80000000
	s_mov_b32 s9, exec_lo
	v_cmpx_ne_u16_e32 0x80, v20
	s_cbranch_execz .LBB185_537
; %bb.532:                              ;   in Loop: Header=BB185_529 Depth=1
	v_mov_b64_e32 v[26:27], 0x7f800001
	v_and_b32_e32 v28, 0x7f, v34
	s_mov_b32 s23, exec_lo
	s_delay_alu instid0(VALU_DEP_1)
	v_cmpx_ne_u32_e32 0x7f, v28
	s_cbranch_execz .LBB185_536
; %bb.533:                              ;   in Loop: Header=BB185_529 Depth=1
	v_dual_lshrrev_b32 v26, 3, v28 :: v_dual_bitop2_b32 v20, 7, v34 bitop3:0x40
	s_mov_b32 s24, exec_lo
	v_cmpx_gt_u32_e32 8, v28
; %bb.534:                              ;   in Loop: Header=BB185_529 Depth=1
	s_delay_alu instid0(VALU_DEP_2) | instskip(NEXT) | instid1(VALU_DEP_1)
	v_clz_i32_u32_e32 v26, v20
	v_min_u32_e32 v26, 32, v26
	s_delay_alu instid0(VALU_DEP_1) | instskip(NEXT) | instid1(VALU_DEP_1)
	v_subrev_nc_u32_e32 v27, 28, v26
	v_lshlrev_b64_e32 v[28:29], v27, v[20:21]
	s_delay_alu instid0(VALU_DEP_1)
	v_dual_sub_nc_u32 v26, 29, v26 :: v_dual_bitop2_b32 v20, 7, v28 bitop3:0x40
; %bb.535:                              ;   in Loop: Header=BB185_529 Depth=1
	s_or_b32 exec_lo, exec_lo, s24
	s_delay_alu instid0(VALU_DEP_1) | instskip(NEXT) | instid1(VALU_DEP_2)
	v_dual_lshlrev_b32 v27, 24, v34 :: v_dual_lshlrev_b32 v20, 20, v20
	v_lshl_add_u32 v26, v26, 23, 0x3c000000
	s_delay_alu instid0(VALU_DEP_2) | instskip(NEXT) | instid1(VALU_DEP_1)
	v_and_b32_e32 v27, 0x80000000, v27
	v_or3_b32 v20, v20, v27, v26
	s_delay_alu instid0(VALU_DEP_1)
	v_mov_b64_e32 v[26:27], v[20:21]
.LBB185_536:                            ;   in Loop: Header=BB185_529 Depth=1
	s_or_b32 exec_lo, exec_lo, s23
.LBB185_537:                            ;   in Loop: Header=BB185_529 Depth=1
	s_delay_alu instid0(SALU_CYCLE_1)
	s_or_b32 exec_lo, exec_lo, s9
.LBB185_538:                            ;   in Loop: Header=BB185_529 Depth=1
	s_delay_alu instid0(SALU_CYCLE_1) | instskip(SKIP_2) | instid1(VALU_DEP_1)
	s_or_b32 exec_lo, exec_lo, s0
	v_lshrrev_b16 v20, 8, v34
	s_mov_b32 s0, exec_lo
	v_cmpx_ne_u16_e32 0, v20
	s_cbranch_execz .LBB185_546
; %bb.539:                              ;   in Loop: Header=BB185_529 Depth=1
	v_mov_b64_e32 v[0:1], 0x8000000000000000
	s_mov_b32 s9, exec_lo
	v_cmpx_ne_u16_e32 0x80, v20
	s_cbranch_execz .LBB185_545
; %bb.540:                              ;   in Loop: Header=BB185_529 Depth=1
	v_and_b32_e32 v20, 0xffff, v20
	v_mov_b64_e32 v[0:1], 0x7f80000100000000
	s_mov_b32 s23, exec_lo
	s_delay_alu instid0(VALU_DEP_2) | instskip(NEXT) | instid1(VALU_DEP_1)
	v_and_b32_e32 v28, 0x7f, v20
	v_cmpx_ne_u32_e32 0x7f, v28
	s_cbranch_execz .LBB185_544
; %bb.541:                              ;   in Loop: Header=BB185_529 Depth=1
	v_and_b32_e32 v20, 7, v20
	v_lshrrev_b32_e32 v0, 3, v28
	s_mov_b32 s24, exec_lo
	v_cmpx_gt_u32_e32 8, v28
; %bb.542:                              ;   in Loop: Header=BB185_529 Depth=1
	s_delay_alu instid0(VALU_DEP_3) | instskip(NEXT) | instid1(VALU_DEP_1)
	v_clz_i32_u32_e32 v0, v20
	v_min_u32_e32 v0, 32, v0
	s_delay_alu instid0(VALU_DEP_1) | instskip(SKIP_1) | instid1(VALU_DEP_2)
	v_subrev_nc_u32_e32 v1, 28, v0
	v_sub_nc_u32_e32 v0, 29, v0
	v_lshlrev_b64_e32 v[28:29], v1, v[20:21]
	s_delay_alu instid0(VALU_DEP_1)
	v_and_b32_e32 v20, 7, v28
; %bb.543:                              ;   in Loop: Header=BB185_529 Depth=1
	s_or_b32 exec_lo, exec_lo, s24
	s_delay_alu instid0(VALU_DEP_1) | instskip(SKIP_1) | instid1(VALU_DEP_2)
	v_dual_lshlrev_b32 v1, 16, v34 :: v_dual_lshlrev_b32 v20, 20, v20
	v_lshl_add_u32 v0, v0, 23, 0x3c000000
	v_and_b32_e32 v1, 0x80000000, v1
	s_delay_alu instid0(VALU_DEP_1)
	v_or3_b32 v1, v20, v1, v0
	v_mov_b32_e32 v0, v21
.LBB185_544:                            ;   in Loop: Header=BB185_529 Depth=1
	s_or_b32 exec_lo, exec_lo, s23
.LBB185_545:                            ;   in Loop: Header=BB185_529 Depth=1
	s_delay_alu instid0(SALU_CYCLE_1)
	s_or_b32 exec_lo, exec_lo, s9
.LBB185_546:                            ;   in Loop: Header=BB185_529 Depth=1
	s_delay_alu instid0(SALU_CYCLE_1) | instskip(SKIP_4) | instid1(VALU_DEP_3)
	s_or_b32 exec_lo, exec_lo, s0
	v_lshrrev_b32_e32 v35, 16, v34
	v_mov_b64_e32 v[28:29], 0
	v_mov_b64_e32 v[32:33], 0
	s_mov_b32 s0, exec_lo
	v_and_b32_e32 v20, 0xff, v35
	s_delay_alu instid0(VALU_DEP_1)
	v_cmpx_ne_u16_e32 0, v20
	s_cbranch_execz .LBB185_554
; %bb.547:                              ;   in Loop: Header=BB185_529 Depth=1
	v_mov_b64_e32 v[32:33], 0x80000000
	s_mov_b32 s9, exec_lo
	v_cmpx_ne_u16_e32 0x80, v20
	s_cbranch_execz .LBB185_553
; %bb.548:                              ;   in Loop: Header=BB185_529 Depth=1
	v_mov_b64_e32 v[32:33], 0x7f800001
	v_bfe_u32 v36, v34, 16, 7
	s_mov_b32 s23, exec_lo
	s_delay_alu instid0(VALU_DEP_1)
	v_cmpx_ne_u32_e32 0x7f, v36
	s_cbranch_execz .LBB185_552
; %bb.549:                              ;   in Loop: Header=BB185_529 Depth=1
	v_dual_lshrrev_b32 v32, 3, v36 :: v_dual_bitop2_b32 v20, 7, v35 bitop3:0x40
	s_mov_b32 s24, exec_lo
	v_cmpx_gt_u32_e32 8, v36
; %bb.550:                              ;   in Loop: Header=BB185_529 Depth=1
	s_delay_alu instid0(VALU_DEP_2) | instskip(NEXT) | instid1(VALU_DEP_1)
	v_clz_i32_u32_e32 v32, v20
	v_min_u32_e32 v32, 32, v32
	s_delay_alu instid0(VALU_DEP_1) | instskip(SKIP_1) | instid1(VALU_DEP_2)
	v_subrev_nc_u32_e32 v33, 28, v32
	v_sub_nc_u32_e32 v32, 29, v32
	v_lshlrev_b64_e32 v[36:37], v33, v[20:21]
	s_delay_alu instid0(VALU_DEP_1)
	v_and_b32_e32 v20, 7, v36
; %bb.551:                              ;   in Loop: Header=BB185_529 Depth=1
	s_or_b32 exec_lo, exec_lo, s24
	s_delay_alu instid0(VALU_DEP_1) | instskip(SKIP_1) | instid1(VALU_DEP_2)
	v_dual_lshlrev_b32 v33, 24, v35 :: v_dual_lshlrev_b32 v20, 20, v20
	v_lshl_add_u32 v32, v32, 23, 0x3c000000
	v_and_b32_e32 v33, 0x80000000, v33
	s_delay_alu instid0(VALU_DEP_1) | instskip(NEXT) | instid1(VALU_DEP_1)
	v_or3_b32 v20, v20, v33, v32
	v_mov_b64_e32 v[32:33], v[20:21]
.LBB185_552:                            ;   in Loop: Header=BB185_529 Depth=1
	s_or_b32 exec_lo, exec_lo, s23
.LBB185_553:                            ;   in Loop: Header=BB185_529 Depth=1
	s_delay_alu instid0(SALU_CYCLE_1)
	s_or_b32 exec_lo, exec_lo, s9
.LBB185_554:                            ;   in Loop: Header=BB185_529 Depth=1
	s_delay_alu instid0(SALU_CYCLE_1) | instskip(NEXT) | instid1(SALU_CYCLE_1)
	s_or_b32 exec_lo, exec_lo, s0
	s_mov_b32 s0, exec_lo
	v_cmpx_lt_u32_e32 0xffffff, v34
	s_cbranch_execz .LBB185_562
; %bb.555:                              ;   in Loop: Header=BB185_529 Depth=1
	v_mov_b64_e32 v[28:29], 0x8000000000000000
	v_lshrrev_b32_e32 v35, 24, v34
	s_mov_b32 s9, exec_lo
	s_delay_alu instid0(VALU_DEP_1)
	v_cmpx_ne_u32_e32 0x80, v35
	s_cbranch_execz .LBB185_561
; %bb.556:                              ;   in Loop: Header=BB185_529 Depth=1
	v_mov_b64_e32 v[28:29], 0x7f80000100000000
	v_bfe_u32 v34, v34, 24, 7
	s_mov_b32 s23, exec_lo
	s_delay_alu instid0(VALU_DEP_1)
	v_cmpx_ne_u32_e32 0x7f, v34
	s_cbranch_execz .LBB185_560
; %bb.557:                              ;   in Loop: Header=BB185_529 Depth=1
	v_dual_lshrrev_b32 v28, 3, v34 :: v_dual_bitop2_b32 v20, 7, v35 bitop3:0x40
	s_mov_b32 s24, exec_lo
	v_cmpx_gt_u32_e32 8, v34
; %bb.558:                              ;   in Loop: Header=BB185_529 Depth=1
	s_delay_alu instid0(VALU_DEP_2) | instskip(NEXT) | instid1(VALU_DEP_1)
	v_clz_i32_u32_e32 v28, v20
	v_min_u32_e32 v28, 32, v28
	s_delay_alu instid0(VALU_DEP_1) | instskip(SKIP_1) | instid1(VALU_DEP_2)
	v_subrev_nc_u32_e32 v29, 28, v28
	v_sub_nc_u32_e32 v28, 29, v28
	v_lshlrev_b64_e32 v[36:37], v29, v[20:21]
	s_delay_alu instid0(VALU_DEP_1)
	v_and_b32_e32 v20, 7, v36
; %bb.559:                              ;   in Loop: Header=BB185_529 Depth=1
	s_or_b32 exec_lo, exec_lo, s24
	s_delay_alu instid0(VALU_DEP_1) | instskip(SKIP_1) | instid1(VALU_DEP_2)
	v_dual_lshlrev_b32 v29, 24, v35 :: v_dual_lshlrev_b32 v20, 20, v20
	v_lshl_add_u32 v28, v28, 23, 0x3c000000
	v_and_b32_e32 v29, 0x80000000, v29
	s_delay_alu instid0(VALU_DEP_1)
	v_or3_b32 v29, v20, v29, v28
	v_mov_b32_e32 v28, v21
.LBB185_560:                            ;   in Loop: Header=BB185_529 Depth=1
	s_or_b32 exec_lo, exec_lo, s23
.LBB185_561:                            ;   in Loop: Header=BB185_529 Depth=1
	s_delay_alu instid0(SALU_CYCLE_1)
	s_or_b32 exec_lo, exec_lo, s9
.LBB185_562:                            ;   in Loop: Header=BB185_529 Depth=1
	s_delay_alu instid0(SALU_CYCLE_1)
	s_or_b32 exec_lo, exec_lo, s0
	v_dual_add_nc_u32 v51, v95, v50 :: v_dual_bitop2_b32 v1, v1, v27 bitop3:0x54
	v_or_b32_e32 v0, v0, v26
	v_or_b32_e32 v27, v29, v33
	v_or_b32_e32 v26, v28, v32
	v_cmp_eq_u32_e32 vcc_lo, s17, v96
	v_add_nc_u32_e32 v98, 1, v51
	s_wait_kmcnt 0x0
	v_pk_mul_f32 v[28:29], s[8:9], v[0:1] op_sel_hi:[0,1]
	v_dual_add_nc_u32 v89, 2, v51 :: v_dual_add_nc_u32 v88, 3, v51
	v_pk_mul_f32 v[26:27], s[8:9], v[26:27] op_sel_hi:[0,1]
	s_and_saveexec_b32 s9, vcc_lo
	s_cbranch_execz .LBB185_564
; %bb.563:                              ;   in Loop: Header=BB185_529 Depth=1
	v_cmp_gt_i32_e64 s0, s34, v51
	s_delay_alu instid0(VALU_DEP_1) | instskip(SKIP_1) | instid1(VALU_DEP_1)
	v_cndmask_b32_e64 v28, 0, v28, s0
	v_cmp_gt_i32_e64 s0, s34, v98
	v_cndmask_b32_e64 v29, 0, v29, s0
	v_cmp_gt_i32_e64 s0, s34, v89
	s_delay_alu instid0(VALU_DEP_1) | instskip(SKIP_1) | instid1(VALU_DEP_1)
	v_cndmask_b32_e64 v26, 0, v26, s0
	v_cmp_gt_i32_e64 s0, s34, v88
	v_cndmask_b32_e64 v27, 0, v27, s0
.LBB185_564:                            ;   in Loop: Header=BB185_529 Depth=1
	s_or_b32 exec_lo, exec_lo, s9
	global_load_b32 v38, v[30:31], off offset:128
	v_mov_b64_e32 v[0:1], 0
	v_mov_b64_e32 v[32:33], 0
	s_mov_b32 s9, exec_lo
	s_wait_loadcnt 0x0
	v_and_b32_e32 v20, 0xff, v38
	s_delay_alu instid0(VALU_DEP_1)
	v_cmpx_ne_u16_e32 0, v20
	s_cbranch_execz .LBB185_572
; %bb.565:                              ;   in Loop: Header=BB185_529 Depth=1
	v_mov_b64_e32 v[32:33], 0x80000000
	s_mov_b32 s23, exec_lo
	v_cmpx_ne_u16_e32 0x80, v20
	s_cbranch_execz .LBB185_571
; %bb.566:                              ;   in Loop: Header=BB185_529 Depth=1
	v_mov_b64_e32 v[32:33], 0x7f800001
	v_and_b32_e32 v34, 0x7f, v38
	s_mov_b32 s24, exec_lo
	s_delay_alu instid0(VALU_DEP_1)
	v_cmpx_ne_u32_e32 0x7f, v34
	s_cbranch_execz .LBB185_570
; %bb.567:                              ;   in Loop: Header=BB185_529 Depth=1
	v_and_b32_e32 v20, 7, v38
	v_lshrrev_b32_e32 v32, 3, v34
	s_mov_b32 s25, exec_lo
	v_cmpx_gt_u32_e32 8, v34
; %bb.568:                              ;   in Loop: Header=BB185_529 Depth=1
	s_delay_alu instid0(VALU_DEP_3) | instskip(NEXT) | instid1(VALU_DEP_1)
	v_clz_i32_u32_e32 v32, v20
	v_min_u32_e32 v32, 32, v32
	s_delay_alu instid0(VALU_DEP_1) | instskip(NEXT) | instid1(VALU_DEP_1)
	v_subrev_nc_u32_e32 v33, 28, v32
	v_lshlrev_b64_e32 v[34:35], v33, v[20:21]
	s_delay_alu instid0(VALU_DEP_1)
	v_dual_sub_nc_u32 v32, 29, v32 :: v_dual_bitop2_b32 v20, 7, v34 bitop3:0x40
; %bb.569:                              ;   in Loop: Header=BB185_529 Depth=1
	s_or_b32 exec_lo, exec_lo, s25
	s_delay_alu instid0(VALU_DEP_1) | instskip(NEXT) | instid1(VALU_DEP_2)
	v_dual_lshlrev_b32 v33, 24, v38 :: v_dual_lshlrev_b32 v20, 20, v20
	v_lshl_add_u32 v32, v32, 23, 0x3c000000
	s_delay_alu instid0(VALU_DEP_2) | instskip(NEXT) | instid1(VALU_DEP_1)
	v_and_b32_e32 v33, 0x80000000, v33
	v_or3_b32 v20, v20, v33, v32
	s_delay_alu instid0(VALU_DEP_1)
	v_mov_b64_e32 v[32:33], v[20:21]
.LBB185_570:                            ;   in Loop: Header=BB185_529 Depth=1
	s_or_b32 exec_lo, exec_lo, s24
.LBB185_571:                            ;   in Loop: Header=BB185_529 Depth=1
	s_delay_alu instid0(SALU_CYCLE_1)
	s_or_b32 exec_lo, exec_lo, s23
.LBB185_572:                            ;   in Loop: Header=BB185_529 Depth=1
	s_delay_alu instid0(SALU_CYCLE_1) | instskip(SKIP_2) | instid1(VALU_DEP_1)
	s_or_b32 exec_lo, exec_lo, s9
	v_lshrrev_b16 v20, 8, v38
	s_mov_b32 s9, exec_lo
	v_cmpx_ne_u16_e32 0, v20
	s_cbranch_execz .LBB185_580
; %bb.573:                              ;   in Loop: Header=BB185_529 Depth=1
	v_mov_b64_e32 v[0:1], 0x8000000000000000
	s_mov_b32 s23, exec_lo
	v_cmpx_ne_u16_e32 0x80, v20
	s_cbranch_execz .LBB185_579
; %bb.574:                              ;   in Loop: Header=BB185_529 Depth=1
	v_and_b32_e32 v20, 0xffff, v20
	v_mov_b64_e32 v[0:1], 0x7f80000100000000
	s_mov_b32 s24, exec_lo
	s_delay_alu instid0(VALU_DEP_2) | instskip(NEXT) | instid1(VALU_DEP_1)
	v_and_b32_e32 v34, 0x7f, v20
	v_cmpx_ne_u32_e32 0x7f, v34
	s_cbranch_execz .LBB185_578
; %bb.575:                              ;   in Loop: Header=BB185_529 Depth=1
	v_dual_lshrrev_b32 v0, 3, v34 :: v_dual_bitop2_b32 v20, 7, v20 bitop3:0x40
	s_mov_b32 s25, exec_lo
	v_cmpx_gt_u32_e32 8, v34
; %bb.576:                              ;   in Loop: Header=BB185_529 Depth=1
	s_delay_alu instid0(VALU_DEP_2) | instskip(NEXT) | instid1(VALU_DEP_1)
	v_clz_i32_u32_e32 v0, v20
	v_min_u32_e32 v0, 32, v0
	s_delay_alu instid0(VALU_DEP_1) | instskip(NEXT) | instid1(VALU_DEP_1)
	v_subrev_nc_u32_e32 v1, 28, v0
	v_lshlrev_b64_e32 v[34:35], v1, v[20:21]
	s_delay_alu instid0(VALU_DEP_1)
	v_dual_sub_nc_u32 v0, 29, v0 :: v_dual_bitop2_b32 v20, 7, v34 bitop3:0x40
; %bb.577:                              ;   in Loop: Header=BB185_529 Depth=1
	s_or_b32 exec_lo, exec_lo, s25
	s_delay_alu instid0(VALU_DEP_1) | instskip(NEXT) | instid1(VALU_DEP_2)
	v_dual_lshlrev_b32 v1, 16, v38 :: v_dual_lshlrev_b32 v20, 20, v20
	v_lshl_add_u32 v0, v0, 23, 0x3c000000
	s_delay_alu instid0(VALU_DEP_2) | instskip(NEXT) | instid1(VALU_DEP_1)
	v_and_b32_e32 v1, 0x80000000, v1
	v_or3_b32 v1, v20, v1, v0
	v_mov_b32_e32 v0, v21
.LBB185_578:                            ;   in Loop: Header=BB185_529 Depth=1
	s_or_b32 exec_lo, exec_lo, s24
.LBB185_579:                            ;   in Loop: Header=BB185_529 Depth=1
	s_delay_alu instid0(SALU_CYCLE_1)
	s_or_b32 exec_lo, exec_lo, s23
.LBB185_580:                            ;   in Loop: Header=BB185_529 Depth=1
	s_delay_alu instid0(SALU_CYCLE_1) | instskip(SKIP_4) | instid1(VALU_DEP_3)
	s_or_b32 exec_lo, exec_lo, s9
	v_lshrrev_b32_e32 v39, 16, v38
	v_mov_b64_e32 v[34:35], 0
	v_mov_b64_e32 v[36:37], 0
	s_mov_b32 s9, exec_lo
	v_and_b32_e32 v20, 0xff, v39
	s_delay_alu instid0(VALU_DEP_1)
	v_cmpx_ne_u16_e32 0, v20
	s_cbranch_execz .LBB185_588
; %bb.581:                              ;   in Loop: Header=BB185_529 Depth=1
	v_mov_b64_e32 v[36:37], 0x80000000
	s_mov_b32 s23, exec_lo
	v_cmpx_ne_u16_e32 0x80, v20
	s_cbranch_execz .LBB185_587
; %bb.582:                              ;   in Loop: Header=BB185_529 Depth=1
	v_mov_b64_e32 v[36:37], 0x7f800001
	v_bfe_u32 v40, v38, 16, 7
	s_mov_b32 s24, exec_lo
	s_delay_alu instid0(VALU_DEP_1)
	v_cmpx_ne_u32_e32 0x7f, v40
	s_cbranch_execz .LBB185_586
; %bb.583:                              ;   in Loop: Header=BB185_529 Depth=1
	v_dual_lshrrev_b32 v36, 3, v40 :: v_dual_bitop2_b32 v20, 7, v39 bitop3:0x40
	s_mov_b32 s25, exec_lo
	v_cmpx_gt_u32_e32 8, v40
; %bb.584:                              ;   in Loop: Header=BB185_529 Depth=1
	s_delay_alu instid0(VALU_DEP_2) | instskip(NEXT) | instid1(VALU_DEP_1)
	v_clz_i32_u32_e32 v36, v20
	v_min_u32_e32 v36, 32, v36
	s_delay_alu instid0(VALU_DEP_1) | instskip(SKIP_1) | instid1(VALU_DEP_2)
	v_subrev_nc_u32_e32 v37, 28, v36
	v_sub_nc_u32_e32 v36, 29, v36
	v_lshlrev_b64_e32 v[40:41], v37, v[20:21]
	s_delay_alu instid0(VALU_DEP_1)
	v_and_b32_e32 v20, 7, v40
; %bb.585:                              ;   in Loop: Header=BB185_529 Depth=1
	s_or_b32 exec_lo, exec_lo, s25
	s_delay_alu instid0(VALU_DEP_1) | instskip(SKIP_1) | instid1(VALU_DEP_2)
	v_dual_lshlrev_b32 v37, 24, v39 :: v_dual_lshlrev_b32 v20, 20, v20
	v_lshl_add_u32 v36, v36, 23, 0x3c000000
	v_and_b32_e32 v37, 0x80000000, v37
	s_delay_alu instid0(VALU_DEP_1) | instskip(NEXT) | instid1(VALU_DEP_1)
	v_or3_b32 v20, v20, v37, v36
	v_mov_b64_e32 v[36:37], v[20:21]
.LBB185_586:                            ;   in Loop: Header=BB185_529 Depth=1
	s_or_b32 exec_lo, exec_lo, s24
.LBB185_587:                            ;   in Loop: Header=BB185_529 Depth=1
	s_delay_alu instid0(SALU_CYCLE_1)
	s_or_b32 exec_lo, exec_lo, s23
.LBB185_588:                            ;   in Loop: Header=BB185_529 Depth=1
	s_delay_alu instid0(SALU_CYCLE_1) | instskip(NEXT) | instid1(SALU_CYCLE_1)
	s_or_b32 exec_lo, exec_lo, s9
	s_mov_b32 s9, exec_lo
	v_cmpx_lt_u32_e32 0xffffff, v38
	s_cbranch_execz .LBB185_596
; %bb.589:                              ;   in Loop: Header=BB185_529 Depth=1
	v_mov_b64_e32 v[34:35], 0x8000000000000000
	v_lshrrev_b32_e32 v39, 24, v38
	s_mov_b32 s23, exec_lo
	s_delay_alu instid0(VALU_DEP_1)
	v_cmpx_ne_u32_e32 0x80, v39
	s_cbranch_execz .LBB185_595
; %bb.590:                              ;   in Loop: Header=BB185_529 Depth=1
	v_mov_b64_e32 v[34:35], 0x7f80000100000000
	v_bfe_u32 v38, v38, 24, 7
	s_mov_b32 s24, exec_lo
	s_delay_alu instid0(VALU_DEP_1)
	v_cmpx_ne_u32_e32 0x7f, v38
	s_cbranch_execz .LBB185_594
; %bb.591:                              ;   in Loop: Header=BB185_529 Depth=1
	v_dual_lshrrev_b32 v34, 3, v38 :: v_dual_bitop2_b32 v20, 7, v39 bitop3:0x40
	s_mov_b32 s25, exec_lo
	v_cmpx_gt_u32_e32 8, v38
; %bb.592:                              ;   in Loop: Header=BB185_529 Depth=1
	s_delay_alu instid0(VALU_DEP_2) | instskip(NEXT) | instid1(VALU_DEP_1)
	v_clz_i32_u32_e32 v34, v20
	v_min_u32_e32 v34, 32, v34
	s_delay_alu instid0(VALU_DEP_1) | instskip(NEXT) | instid1(VALU_DEP_1)
	v_subrev_nc_u32_e32 v35, 28, v34
	v_lshlrev_b64_e32 v[40:41], v35, v[20:21]
	s_delay_alu instid0(VALU_DEP_1)
	v_dual_sub_nc_u32 v34, 29, v34 :: v_dual_bitop2_b32 v20, 7, v40 bitop3:0x40
; %bb.593:                              ;   in Loop: Header=BB185_529 Depth=1
	s_or_b32 exec_lo, exec_lo, s25
	s_delay_alu instid0(VALU_DEP_1) | instskip(NEXT) | instid1(VALU_DEP_2)
	v_dual_lshlrev_b32 v35, 24, v39 :: v_dual_lshlrev_b32 v20, 20, v20
	v_lshl_add_u32 v34, v34, 23, 0x3c000000
	s_delay_alu instid0(VALU_DEP_2) | instskip(NEXT) | instid1(VALU_DEP_1)
	v_and_b32_e32 v35, 0x80000000, v35
	v_or3_b32 v35, v20, v35, v34
	v_mov_b32_e32 v34, v21
.LBB185_594:                            ;   in Loop: Header=BB185_529 Depth=1
	s_or_b32 exec_lo, exec_lo, s24
.LBB185_595:                            ;   in Loop: Header=BB185_529 Depth=1
	s_delay_alu instid0(SALU_CYCLE_1)
	s_or_b32 exec_lo, exec_lo, s23
.LBB185_596:                            ;   in Loop: Header=BB185_529 Depth=1
	s_delay_alu instid0(SALU_CYCLE_1)
	s_or_b32 exec_lo, exec_lo, s9
	s_mov_b32 s9, s8
	v_or_b32_e32 v1, v1, v33
	v_or_b32_e32 v0, v0, v32
	v_mov_b64_e32 v[32:33], s[8:9]
	v_or_b32_e32 v37, v35, v37
	v_or_b32_e32 v36, v34, v36
	s_delay_alu instid0(VALU_DEP_3) | instskip(NEXT) | instid1(VALU_DEP_2)
	v_pk_mul_f32 v[34:35], v[32:33], v[0:1]
	v_pk_mul_f32 v[32:33], v[32:33], v[36:37]
	s_and_saveexec_b32 s23, vcc_lo
	s_cbranch_execz .LBB185_598
; %bb.597:                              ;   in Loop: Header=BB185_529 Depth=1
	v_cmp_gt_i32_e64 s0, s34, v51
	s_delay_alu instid0(VALU_DEP_1) | instskip(SKIP_1) | instid1(VALU_DEP_1)
	v_cndmask_b32_e64 v34, 0, v34, s0
	v_cmp_gt_i32_e64 s0, s34, v98
	v_cndmask_b32_e64 v35, 0, v35, s0
	v_cmp_gt_i32_e64 s0, s34, v89
	s_delay_alu instid0(VALU_DEP_1) | instskip(SKIP_1) | instid1(VALU_DEP_1)
	v_cndmask_b32_e64 v32, 0, v32, s0
	v_cmp_gt_i32_e64 s0, s34, v88
	v_cndmask_b32_e64 v33, 0, v33, s0
.LBB185_598:                            ;   in Loop: Header=BB185_529 Depth=1
	s_or_b32 exec_lo, exec_lo, s23
	global_load_b32 v42, v[30:31], off offset:256
	v_mov_b64_e32 v[0:1], 0
	v_mov_b64_e32 v[36:37], 0
	s_mov_b32 s23, exec_lo
	s_wait_loadcnt 0x0
	v_and_b32_e32 v20, 0xff, v42
	s_delay_alu instid0(VALU_DEP_1)
	v_cmpx_ne_u16_e32 0, v20
	s_cbranch_execz .LBB185_606
; %bb.599:                              ;   in Loop: Header=BB185_529 Depth=1
	v_mov_b64_e32 v[36:37], 0x80000000
	s_mov_b32 s24, exec_lo
	v_cmpx_ne_u16_e32 0x80, v20
	s_cbranch_execz .LBB185_605
; %bb.600:                              ;   in Loop: Header=BB185_529 Depth=1
	v_mov_b64_e32 v[36:37], 0x7f800001
	v_and_b32_e32 v38, 0x7f, v42
	s_mov_b32 s25, exec_lo
	s_delay_alu instid0(VALU_DEP_1)
	v_cmpx_ne_u32_e32 0x7f, v38
	s_cbranch_execz .LBB185_604
; %bb.601:                              ;   in Loop: Header=BB185_529 Depth=1
	v_and_b32_e32 v20, 7, v42
	v_lshrrev_b32_e32 v36, 3, v38
	s_mov_b32 s27, exec_lo
	v_cmpx_gt_u32_e32 8, v38
; %bb.602:                              ;   in Loop: Header=BB185_529 Depth=1
	s_delay_alu instid0(VALU_DEP_3) | instskip(NEXT) | instid1(VALU_DEP_1)
	v_clz_i32_u32_e32 v36, v20
	v_min_u32_e32 v36, 32, v36
	s_delay_alu instid0(VALU_DEP_1) | instskip(NEXT) | instid1(VALU_DEP_1)
	v_subrev_nc_u32_e32 v37, 28, v36
	v_lshlrev_b64_e32 v[38:39], v37, v[20:21]
	s_delay_alu instid0(VALU_DEP_1)
	v_dual_sub_nc_u32 v36, 29, v36 :: v_dual_bitop2_b32 v20, 7, v38 bitop3:0x40
; %bb.603:                              ;   in Loop: Header=BB185_529 Depth=1
	s_or_b32 exec_lo, exec_lo, s27
	s_delay_alu instid0(VALU_DEP_1) | instskip(NEXT) | instid1(VALU_DEP_2)
	v_dual_lshlrev_b32 v37, 24, v42 :: v_dual_lshlrev_b32 v20, 20, v20
	v_lshl_add_u32 v36, v36, 23, 0x3c000000
	s_delay_alu instid0(VALU_DEP_2) | instskip(NEXT) | instid1(VALU_DEP_1)
	v_and_b32_e32 v37, 0x80000000, v37
	v_or3_b32 v20, v20, v37, v36
	s_delay_alu instid0(VALU_DEP_1)
	v_mov_b64_e32 v[36:37], v[20:21]
.LBB185_604:                            ;   in Loop: Header=BB185_529 Depth=1
	s_or_b32 exec_lo, exec_lo, s25
.LBB185_605:                            ;   in Loop: Header=BB185_529 Depth=1
	s_delay_alu instid0(SALU_CYCLE_1)
	s_or_b32 exec_lo, exec_lo, s24
.LBB185_606:                            ;   in Loop: Header=BB185_529 Depth=1
	s_delay_alu instid0(SALU_CYCLE_1) | instskip(SKIP_2) | instid1(VALU_DEP_1)
	s_or_b32 exec_lo, exec_lo, s23
	v_lshrrev_b16 v20, 8, v42
	s_mov_b32 s23, exec_lo
	v_cmpx_ne_u16_e32 0, v20
	s_cbranch_execz .LBB185_614
; %bb.607:                              ;   in Loop: Header=BB185_529 Depth=1
	v_mov_b64_e32 v[0:1], 0x8000000000000000
	s_mov_b32 s24, exec_lo
	v_cmpx_ne_u16_e32 0x80, v20
	s_cbranch_execz .LBB185_613
; %bb.608:                              ;   in Loop: Header=BB185_529 Depth=1
	v_and_b32_e32 v20, 0xffff, v20
	v_mov_b64_e32 v[0:1], 0x7f80000100000000
	s_mov_b32 s25, exec_lo
	s_delay_alu instid0(VALU_DEP_2) | instskip(NEXT) | instid1(VALU_DEP_1)
	v_and_b32_e32 v38, 0x7f, v20
	v_cmpx_ne_u32_e32 0x7f, v38
	s_cbranch_execz .LBB185_612
; %bb.609:                              ;   in Loop: Header=BB185_529 Depth=1
	v_dual_lshrrev_b32 v0, 3, v38 :: v_dual_bitop2_b32 v20, 7, v20 bitop3:0x40
	s_mov_b32 s27, exec_lo
	v_cmpx_gt_u32_e32 8, v38
; %bb.610:                              ;   in Loop: Header=BB185_529 Depth=1
	s_delay_alu instid0(VALU_DEP_2) | instskip(NEXT) | instid1(VALU_DEP_1)
	v_clz_i32_u32_e32 v0, v20
	v_min_u32_e32 v0, 32, v0
	s_delay_alu instid0(VALU_DEP_1) | instskip(NEXT) | instid1(VALU_DEP_1)
	v_subrev_nc_u32_e32 v1, 28, v0
	v_lshlrev_b64_e32 v[38:39], v1, v[20:21]
	s_delay_alu instid0(VALU_DEP_1)
	v_dual_sub_nc_u32 v0, 29, v0 :: v_dual_bitop2_b32 v20, 7, v38 bitop3:0x40
; %bb.611:                              ;   in Loop: Header=BB185_529 Depth=1
	s_or_b32 exec_lo, exec_lo, s27
	s_delay_alu instid0(VALU_DEP_1) | instskip(NEXT) | instid1(VALU_DEP_2)
	v_dual_lshlrev_b32 v1, 16, v42 :: v_dual_lshlrev_b32 v20, 20, v20
	v_lshl_add_u32 v0, v0, 23, 0x3c000000
	s_delay_alu instid0(VALU_DEP_2) | instskip(NEXT) | instid1(VALU_DEP_1)
	v_and_b32_e32 v1, 0x80000000, v1
	v_or3_b32 v1, v20, v1, v0
	v_mov_b32_e32 v0, v21
.LBB185_612:                            ;   in Loop: Header=BB185_529 Depth=1
	s_or_b32 exec_lo, exec_lo, s25
.LBB185_613:                            ;   in Loop: Header=BB185_529 Depth=1
	s_delay_alu instid0(SALU_CYCLE_1)
	s_or_b32 exec_lo, exec_lo, s24
.LBB185_614:                            ;   in Loop: Header=BB185_529 Depth=1
	s_delay_alu instid0(SALU_CYCLE_1) | instskip(SKIP_4) | instid1(VALU_DEP_3)
	s_or_b32 exec_lo, exec_lo, s23
	v_lshrrev_b32_e32 v43, 16, v42
	v_mov_b64_e32 v[38:39], 0
	v_mov_b64_e32 v[40:41], 0
	s_mov_b32 s23, exec_lo
	v_and_b32_e32 v20, 0xff, v43
	s_delay_alu instid0(VALU_DEP_1)
	v_cmpx_ne_u16_e32 0, v20
	s_cbranch_execz .LBB185_622
; %bb.615:                              ;   in Loop: Header=BB185_529 Depth=1
	v_mov_b64_e32 v[40:41], 0x80000000
	s_mov_b32 s24, exec_lo
	v_cmpx_ne_u16_e32 0x80, v20
	s_cbranch_execz .LBB185_621
; %bb.616:                              ;   in Loop: Header=BB185_529 Depth=1
	v_mov_b64_e32 v[40:41], 0x7f800001
	v_bfe_u32 v44, v42, 16, 7
	s_mov_b32 s25, exec_lo
	s_delay_alu instid0(VALU_DEP_1)
	v_cmpx_ne_u32_e32 0x7f, v44
	s_cbranch_execz .LBB185_620
; %bb.617:                              ;   in Loop: Header=BB185_529 Depth=1
	v_dual_lshrrev_b32 v40, 3, v44 :: v_dual_bitop2_b32 v20, 7, v43 bitop3:0x40
	s_mov_b32 s27, exec_lo
	v_cmpx_gt_u32_e32 8, v44
; %bb.618:                              ;   in Loop: Header=BB185_529 Depth=1
	s_delay_alu instid0(VALU_DEP_2) | instskip(NEXT) | instid1(VALU_DEP_1)
	v_clz_i32_u32_e32 v40, v20
	v_min_u32_e32 v40, 32, v40
	s_delay_alu instid0(VALU_DEP_1) | instskip(SKIP_1) | instid1(VALU_DEP_2)
	v_subrev_nc_u32_e32 v41, 28, v40
	v_sub_nc_u32_e32 v40, 29, v40
	v_lshlrev_b64_e32 v[44:45], v41, v[20:21]
	s_delay_alu instid0(VALU_DEP_1)
	v_and_b32_e32 v20, 7, v44
; %bb.619:                              ;   in Loop: Header=BB185_529 Depth=1
	s_or_b32 exec_lo, exec_lo, s27
	s_delay_alu instid0(VALU_DEP_1) | instskip(SKIP_1) | instid1(VALU_DEP_2)
	v_dual_lshlrev_b32 v41, 24, v43 :: v_dual_lshlrev_b32 v20, 20, v20
	v_lshl_add_u32 v40, v40, 23, 0x3c000000
	v_and_b32_e32 v41, 0x80000000, v41
	s_delay_alu instid0(VALU_DEP_1) | instskip(NEXT) | instid1(VALU_DEP_1)
	v_or3_b32 v20, v20, v41, v40
	v_mov_b64_e32 v[40:41], v[20:21]
.LBB185_620:                            ;   in Loop: Header=BB185_529 Depth=1
	s_or_b32 exec_lo, exec_lo, s25
.LBB185_621:                            ;   in Loop: Header=BB185_529 Depth=1
	s_delay_alu instid0(SALU_CYCLE_1)
	s_or_b32 exec_lo, exec_lo, s24
.LBB185_622:                            ;   in Loop: Header=BB185_529 Depth=1
	s_delay_alu instid0(SALU_CYCLE_1) | instskip(NEXT) | instid1(SALU_CYCLE_1)
	s_or_b32 exec_lo, exec_lo, s23
	s_mov_b32 s23, exec_lo
	v_cmpx_lt_u32_e32 0xffffff, v42
	s_cbranch_execz .LBB185_630
; %bb.623:                              ;   in Loop: Header=BB185_529 Depth=1
	v_mov_b64_e32 v[38:39], 0x8000000000000000
	v_lshrrev_b32_e32 v43, 24, v42
	s_mov_b32 s24, exec_lo
	s_delay_alu instid0(VALU_DEP_1)
	v_cmpx_ne_u32_e32 0x80, v43
	s_cbranch_execz .LBB185_629
; %bb.624:                              ;   in Loop: Header=BB185_529 Depth=1
	v_mov_b64_e32 v[38:39], 0x7f80000100000000
	v_bfe_u32 v42, v42, 24, 7
	s_mov_b32 s25, exec_lo
	s_delay_alu instid0(VALU_DEP_1)
	v_cmpx_ne_u32_e32 0x7f, v42
	s_cbranch_execz .LBB185_628
; %bb.625:                              ;   in Loop: Header=BB185_529 Depth=1
	v_dual_lshrrev_b32 v38, 3, v42 :: v_dual_bitop2_b32 v20, 7, v43 bitop3:0x40
	s_mov_b32 s27, exec_lo
	v_cmpx_gt_u32_e32 8, v42
; %bb.626:                              ;   in Loop: Header=BB185_529 Depth=1
	s_delay_alu instid0(VALU_DEP_2) | instskip(NEXT) | instid1(VALU_DEP_1)
	v_clz_i32_u32_e32 v38, v20
	v_min_u32_e32 v38, 32, v38
	s_delay_alu instid0(VALU_DEP_1) | instskip(NEXT) | instid1(VALU_DEP_1)
	v_subrev_nc_u32_e32 v39, 28, v38
	v_lshlrev_b64_e32 v[44:45], v39, v[20:21]
	s_delay_alu instid0(VALU_DEP_1)
	v_dual_sub_nc_u32 v38, 29, v38 :: v_dual_bitop2_b32 v20, 7, v44 bitop3:0x40
; %bb.627:                              ;   in Loop: Header=BB185_529 Depth=1
	s_or_b32 exec_lo, exec_lo, s27
	s_delay_alu instid0(VALU_DEP_1) | instskip(NEXT) | instid1(VALU_DEP_2)
	v_dual_lshlrev_b32 v39, 24, v43 :: v_dual_lshlrev_b32 v20, 20, v20
	v_lshl_add_u32 v38, v38, 23, 0x3c000000
	s_delay_alu instid0(VALU_DEP_2) | instskip(NEXT) | instid1(VALU_DEP_1)
	v_and_b32_e32 v39, 0x80000000, v39
	v_or3_b32 v39, v20, v39, v38
	v_mov_b32_e32 v38, v21
.LBB185_628:                            ;   in Loop: Header=BB185_529 Depth=1
	s_or_b32 exec_lo, exec_lo, s25
.LBB185_629:                            ;   in Loop: Header=BB185_529 Depth=1
	s_delay_alu instid0(SALU_CYCLE_1)
	s_or_b32 exec_lo, exec_lo, s24
.LBB185_630:                            ;   in Loop: Header=BB185_529 Depth=1
	s_delay_alu instid0(SALU_CYCLE_1)
	s_or_b32 exec_lo, exec_lo, s23
	v_or_b32_e32 v1, v1, v37
	v_or_b32_e32 v0, v0, v36
	v_mov_b64_e32 v[36:37], s[8:9]
	v_or_b32_e32 v41, v39, v41
	v_or_b32_e32 v40, v38, v40
	s_delay_alu instid0(VALU_DEP_3) | instskip(NEXT) | instid1(VALU_DEP_2)
	v_pk_mul_f32 v[38:39], v[36:37], v[0:1]
	v_pk_mul_f32 v[36:37], v[36:37], v[40:41]
	s_and_saveexec_b32 s23, vcc_lo
	s_cbranch_execz .LBB185_632
; %bb.631:                              ;   in Loop: Header=BB185_529 Depth=1
	v_cmp_gt_i32_e64 s0, s34, v51
	s_delay_alu instid0(VALU_DEP_1) | instskip(SKIP_1) | instid1(VALU_DEP_1)
	v_cndmask_b32_e64 v38, 0, v38, s0
	v_cmp_gt_i32_e64 s0, s34, v98
	v_cndmask_b32_e64 v39, 0, v39, s0
	v_cmp_gt_i32_e64 s0, s34, v89
	s_delay_alu instid0(VALU_DEP_1) | instskip(SKIP_1) | instid1(VALU_DEP_1)
	v_cndmask_b32_e64 v36, 0, v36, s0
	v_cmp_gt_i32_e64 s0, s34, v88
	v_cndmask_b32_e64 v37, 0, v37, s0
.LBB185_632:                            ;   in Loop: Header=BB185_529 Depth=1
	s_or_b32 exec_lo, exec_lo, s23
	global_load_b32 v46, v[30:31], off offset:384
	v_mov_b64_e32 v[0:1], 0
	v_mov_b64_e32 v[40:41], 0
	s_mov_b32 s23, exec_lo
	s_wait_loadcnt 0x0
	v_and_b32_e32 v20, 0xff, v46
	s_delay_alu instid0(VALU_DEP_1)
	v_cmpx_ne_u16_e32 0, v20
	s_cbranch_execz .LBB185_640
; %bb.633:                              ;   in Loop: Header=BB185_529 Depth=1
	v_mov_b64_e32 v[40:41], 0x80000000
	s_mov_b32 s24, exec_lo
	v_cmpx_ne_u16_e32 0x80, v20
	s_cbranch_execz .LBB185_639
; %bb.634:                              ;   in Loop: Header=BB185_529 Depth=1
	v_mov_b64_e32 v[40:41], 0x7f800001
	v_and_b32_e32 v42, 0x7f, v46
	s_mov_b32 s25, exec_lo
	s_delay_alu instid0(VALU_DEP_1)
	v_cmpx_ne_u32_e32 0x7f, v42
	s_cbranch_execz .LBB185_638
; %bb.635:                              ;   in Loop: Header=BB185_529 Depth=1
	v_and_b32_e32 v20, 7, v46
	v_lshrrev_b32_e32 v40, 3, v42
	s_mov_b32 s27, exec_lo
	v_cmpx_gt_u32_e32 8, v42
; %bb.636:                              ;   in Loop: Header=BB185_529 Depth=1
	s_delay_alu instid0(VALU_DEP_3) | instskip(NEXT) | instid1(VALU_DEP_1)
	v_clz_i32_u32_e32 v40, v20
	v_min_u32_e32 v40, 32, v40
	s_delay_alu instid0(VALU_DEP_1) | instskip(NEXT) | instid1(VALU_DEP_1)
	v_subrev_nc_u32_e32 v41, 28, v40
	v_lshlrev_b64_e32 v[42:43], v41, v[20:21]
	s_delay_alu instid0(VALU_DEP_1)
	v_dual_sub_nc_u32 v40, 29, v40 :: v_dual_bitop2_b32 v20, 7, v42 bitop3:0x40
; %bb.637:                              ;   in Loop: Header=BB185_529 Depth=1
	s_or_b32 exec_lo, exec_lo, s27
	s_delay_alu instid0(VALU_DEP_1) | instskip(NEXT) | instid1(VALU_DEP_2)
	v_dual_lshlrev_b32 v41, 24, v46 :: v_dual_lshlrev_b32 v20, 20, v20
	v_lshl_add_u32 v40, v40, 23, 0x3c000000
	s_delay_alu instid0(VALU_DEP_2) | instskip(NEXT) | instid1(VALU_DEP_1)
	v_and_b32_e32 v41, 0x80000000, v41
	v_or3_b32 v20, v20, v41, v40
	s_delay_alu instid0(VALU_DEP_1)
	v_mov_b64_e32 v[40:41], v[20:21]
.LBB185_638:                            ;   in Loop: Header=BB185_529 Depth=1
	s_or_b32 exec_lo, exec_lo, s25
.LBB185_639:                            ;   in Loop: Header=BB185_529 Depth=1
	s_delay_alu instid0(SALU_CYCLE_1)
	s_or_b32 exec_lo, exec_lo, s24
.LBB185_640:                            ;   in Loop: Header=BB185_529 Depth=1
	s_delay_alu instid0(SALU_CYCLE_1) | instskip(SKIP_2) | instid1(VALU_DEP_1)
	s_or_b32 exec_lo, exec_lo, s23
	v_lshrrev_b16 v20, 8, v46
	s_mov_b32 s23, exec_lo
	v_cmpx_ne_u16_e32 0, v20
	s_cbranch_execz .LBB185_648
; %bb.641:                              ;   in Loop: Header=BB185_529 Depth=1
	v_mov_b64_e32 v[0:1], 0x8000000000000000
	s_mov_b32 s24, exec_lo
	v_cmpx_ne_u16_e32 0x80, v20
	s_cbranch_execz .LBB185_647
; %bb.642:                              ;   in Loop: Header=BB185_529 Depth=1
	v_and_b32_e32 v20, 0xffff, v20
	v_mov_b64_e32 v[0:1], 0x7f80000100000000
	s_mov_b32 s25, exec_lo
	s_delay_alu instid0(VALU_DEP_2) | instskip(NEXT) | instid1(VALU_DEP_1)
	v_and_b32_e32 v42, 0x7f, v20
	v_cmpx_ne_u32_e32 0x7f, v42
	s_cbranch_execz .LBB185_646
; %bb.643:                              ;   in Loop: Header=BB185_529 Depth=1
	v_dual_lshrrev_b32 v0, 3, v42 :: v_dual_bitop2_b32 v20, 7, v20 bitop3:0x40
	s_mov_b32 s27, exec_lo
	v_cmpx_gt_u32_e32 8, v42
; %bb.644:                              ;   in Loop: Header=BB185_529 Depth=1
	s_delay_alu instid0(VALU_DEP_2) | instskip(NEXT) | instid1(VALU_DEP_1)
	v_clz_i32_u32_e32 v0, v20
	v_min_u32_e32 v0, 32, v0
	s_delay_alu instid0(VALU_DEP_1) | instskip(NEXT) | instid1(VALU_DEP_1)
	v_subrev_nc_u32_e32 v1, 28, v0
	v_lshlrev_b64_e32 v[42:43], v1, v[20:21]
	s_delay_alu instid0(VALU_DEP_1)
	v_dual_sub_nc_u32 v0, 29, v0 :: v_dual_bitop2_b32 v20, 7, v42 bitop3:0x40
; %bb.645:                              ;   in Loop: Header=BB185_529 Depth=1
	s_or_b32 exec_lo, exec_lo, s27
	s_delay_alu instid0(VALU_DEP_1) | instskip(NEXT) | instid1(VALU_DEP_2)
	v_dual_lshlrev_b32 v1, 16, v46 :: v_dual_lshlrev_b32 v20, 20, v20
	v_lshl_add_u32 v0, v0, 23, 0x3c000000
	s_delay_alu instid0(VALU_DEP_2) | instskip(NEXT) | instid1(VALU_DEP_1)
	v_and_b32_e32 v1, 0x80000000, v1
	v_or3_b32 v1, v20, v1, v0
	v_mov_b32_e32 v0, v21
.LBB185_646:                            ;   in Loop: Header=BB185_529 Depth=1
	s_or_b32 exec_lo, exec_lo, s25
.LBB185_647:                            ;   in Loop: Header=BB185_529 Depth=1
	s_delay_alu instid0(SALU_CYCLE_1)
	s_or_b32 exec_lo, exec_lo, s24
.LBB185_648:                            ;   in Loop: Header=BB185_529 Depth=1
	s_delay_alu instid0(SALU_CYCLE_1) | instskip(SKIP_4) | instid1(VALU_DEP_3)
	s_or_b32 exec_lo, exec_lo, s23
	v_lshrrev_b32_e32 v47, 16, v46
	v_mov_b64_e32 v[42:43], 0
	v_mov_b64_e32 v[44:45], 0
	s_mov_b32 s23, exec_lo
	v_and_b32_e32 v20, 0xff, v47
	s_delay_alu instid0(VALU_DEP_1)
	v_cmpx_ne_u16_e32 0, v20
	s_cbranch_execz .LBB185_656
; %bb.649:                              ;   in Loop: Header=BB185_529 Depth=1
	v_mov_b64_e32 v[44:45], 0x80000000
	s_mov_b32 s24, exec_lo
	v_cmpx_ne_u16_e32 0x80, v20
	s_cbranch_execz .LBB185_655
; %bb.650:                              ;   in Loop: Header=BB185_529 Depth=1
	v_mov_b64_e32 v[44:45], 0x7f800001
	v_bfe_u32 v48, v46, 16, 7
	s_mov_b32 s25, exec_lo
	s_delay_alu instid0(VALU_DEP_1)
	v_cmpx_ne_u32_e32 0x7f, v48
	s_cbranch_execz .LBB185_654
; %bb.651:                              ;   in Loop: Header=BB185_529 Depth=1
	v_dual_lshrrev_b32 v44, 3, v48 :: v_dual_bitop2_b32 v20, 7, v47 bitop3:0x40
	s_mov_b32 s27, exec_lo
	v_cmpx_gt_u32_e32 8, v48
; %bb.652:                              ;   in Loop: Header=BB185_529 Depth=1
	s_delay_alu instid0(VALU_DEP_2) | instskip(NEXT) | instid1(VALU_DEP_1)
	v_clz_i32_u32_e32 v44, v20
	v_min_u32_e32 v44, 32, v44
	s_delay_alu instid0(VALU_DEP_1) | instskip(SKIP_1) | instid1(VALU_DEP_2)
	v_subrev_nc_u32_e32 v45, 28, v44
	v_sub_nc_u32_e32 v44, 29, v44
	v_lshlrev_b64_e32 v[48:49], v45, v[20:21]
	s_delay_alu instid0(VALU_DEP_1)
	v_and_b32_e32 v20, 7, v48
; %bb.653:                              ;   in Loop: Header=BB185_529 Depth=1
	s_or_b32 exec_lo, exec_lo, s27
	s_delay_alu instid0(VALU_DEP_1) | instskip(SKIP_1) | instid1(VALU_DEP_2)
	v_dual_lshlrev_b32 v45, 24, v47 :: v_dual_lshlrev_b32 v20, 20, v20
	v_lshl_add_u32 v44, v44, 23, 0x3c000000
	v_and_b32_e32 v45, 0x80000000, v45
	s_delay_alu instid0(VALU_DEP_1) | instskip(NEXT) | instid1(VALU_DEP_1)
	v_or3_b32 v20, v20, v45, v44
	v_mov_b64_e32 v[44:45], v[20:21]
.LBB185_654:                            ;   in Loop: Header=BB185_529 Depth=1
	s_or_b32 exec_lo, exec_lo, s25
.LBB185_655:                            ;   in Loop: Header=BB185_529 Depth=1
	s_delay_alu instid0(SALU_CYCLE_1)
	s_or_b32 exec_lo, exec_lo, s24
.LBB185_656:                            ;   in Loop: Header=BB185_529 Depth=1
	s_delay_alu instid0(SALU_CYCLE_1) | instskip(NEXT) | instid1(SALU_CYCLE_1)
	s_or_b32 exec_lo, exec_lo, s23
	s_mov_b32 s23, exec_lo
	v_cmpx_lt_u32_e32 0xffffff, v46
	s_cbranch_execz .LBB185_664
; %bb.657:                              ;   in Loop: Header=BB185_529 Depth=1
	v_mov_b64_e32 v[42:43], 0x8000000000000000
	v_lshrrev_b32_e32 v47, 24, v46
	s_mov_b32 s24, exec_lo
	s_delay_alu instid0(VALU_DEP_1)
	v_cmpx_ne_u32_e32 0x80, v47
	s_cbranch_execz .LBB185_663
; %bb.658:                              ;   in Loop: Header=BB185_529 Depth=1
	v_mov_b64_e32 v[42:43], 0x7f80000100000000
	v_bfe_u32 v46, v46, 24, 7
	s_mov_b32 s25, exec_lo
	s_delay_alu instid0(VALU_DEP_1)
	v_cmpx_ne_u32_e32 0x7f, v46
	s_cbranch_execz .LBB185_662
; %bb.659:                              ;   in Loop: Header=BB185_529 Depth=1
	v_dual_lshrrev_b32 v42, 3, v46 :: v_dual_bitop2_b32 v20, 7, v47 bitop3:0x40
	s_mov_b32 s27, exec_lo
	v_cmpx_gt_u32_e32 8, v46
; %bb.660:                              ;   in Loop: Header=BB185_529 Depth=1
	s_delay_alu instid0(VALU_DEP_2) | instskip(NEXT) | instid1(VALU_DEP_1)
	v_clz_i32_u32_e32 v42, v20
	v_min_u32_e32 v42, 32, v42
	s_delay_alu instid0(VALU_DEP_1) | instskip(NEXT) | instid1(VALU_DEP_1)
	v_subrev_nc_u32_e32 v43, 28, v42
	v_lshlrev_b64_e32 v[48:49], v43, v[20:21]
	s_delay_alu instid0(VALU_DEP_1)
	v_dual_sub_nc_u32 v42, 29, v42 :: v_dual_bitop2_b32 v20, 7, v48 bitop3:0x40
; %bb.661:                              ;   in Loop: Header=BB185_529 Depth=1
	s_or_b32 exec_lo, exec_lo, s27
	s_delay_alu instid0(VALU_DEP_1) | instskip(NEXT) | instid1(VALU_DEP_2)
	v_dual_lshlrev_b32 v43, 24, v47 :: v_dual_lshlrev_b32 v20, 20, v20
	v_lshl_add_u32 v42, v42, 23, 0x3c000000
	s_delay_alu instid0(VALU_DEP_2) | instskip(NEXT) | instid1(VALU_DEP_1)
	v_and_b32_e32 v43, 0x80000000, v43
	v_or3_b32 v43, v20, v43, v42
	v_mov_b32_e32 v42, v21
.LBB185_662:                            ;   in Loop: Header=BB185_529 Depth=1
	s_or_b32 exec_lo, exec_lo, s25
.LBB185_663:                            ;   in Loop: Header=BB185_529 Depth=1
	s_delay_alu instid0(SALU_CYCLE_1)
	s_or_b32 exec_lo, exec_lo, s24
.LBB185_664:                            ;   in Loop: Header=BB185_529 Depth=1
	s_delay_alu instid0(SALU_CYCLE_1)
	s_or_b32 exec_lo, exec_lo, s23
	v_or_b32_e32 v1, v1, v41
	v_or_b32_e32 v0, v0, v40
	v_mov_b64_e32 v[40:41], s[8:9]
	v_or_b32_e32 v45, v43, v45
	v_or_b32_e32 v44, v42, v44
	s_delay_alu instid0(VALU_DEP_3) | instskip(NEXT) | instid1(VALU_DEP_2)
	v_pk_mul_f32 v[42:43], v[40:41], v[0:1]
	v_pk_mul_f32 v[40:41], v[40:41], v[44:45]
	s_and_saveexec_b32 s23, vcc_lo
	s_cbranch_execz .LBB185_666
; %bb.665:                              ;   in Loop: Header=BB185_529 Depth=1
	v_cmp_gt_i32_e64 s0, s34, v51
	s_delay_alu instid0(VALU_DEP_1) | instskip(SKIP_1) | instid1(VALU_DEP_1)
	v_cndmask_b32_e64 v42, 0, v42, s0
	v_cmp_gt_i32_e64 s0, s34, v98
	v_cndmask_b32_e64 v43, 0, v43, s0
	v_cmp_gt_i32_e64 s0, s34, v89
	s_delay_alu instid0(VALU_DEP_1) | instskip(SKIP_1) | instid1(VALU_DEP_1)
	v_cndmask_b32_e64 v40, 0, v40, s0
	v_cmp_gt_i32_e64 s0, s34, v88
	v_cndmask_b32_e64 v41, 0, v41, s0
.LBB185_666:                            ;   in Loop: Header=BB185_529 Depth=1
	s_or_b32 exec_lo, exec_lo, s23
	global_load_b32 v52, v[30:31], off offset:512
	v_mov_b64_e32 v[0:1], 0
	v_mov_b64_e32 v[44:45], 0
	s_mov_b32 s23, exec_lo
	s_wait_loadcnt 0x0
	v_and_b32_e32 v20, 0xff, v52
	s_delay_alu instid0(VALU_DEP_1)
	v_cmpx_ne_u16_e32 0, v20
	s_cbranch_execz .LBB185_674
; %bb.667:                              ;   in Loop: Header=BB185_529 Depth=1
	v_mov_b64_e32 v[44:45], 0x80000000
	s_mov_b32 s24, exec_lo
	v_cmpx_ne_u16_e32 0x80, v20
	s_cbranch_execz .LBB185_673
; %bb.668:                              ;   in Loop: Header=BB185_529 Depth=1
	v_mov_b64_e32 v[44:45], 0x7f800001
	v_and_b32_e32 v46, 0x7f, v52
	s_mov_b32 s25, exec_lo
	s_delay_alu instid0(VALU_DEP_1)
	v_cmpx_ne_u32_e32 0x7f, v46
	s_cbranch_execz .LBB185_672
; %bb.669:                              ;   in Loop: Header=BB185_529 Depth=1
	v_dual_lshrrev_b32 v44, 3, v46 :: v_dual_bitop2_b32 v20, 7, v52 bitop3:0x40
	s_mov_b32 s27, exec_lo
	v_cmpx_gt_u32_e32 8, v46
; %bb.670:                              ;   in Loop: Header=BB185_529 Depth=1
	s_delay_alu instid0(VALU_DEP_2) | instskip(NEXT) | instid1(VALU_DEP_1)
	v_clz_i32_u32_e32 v44, v20
	v_min_u32_e32 v44, 32, v44
	s_delay_alu instid0(VALU_DEP_1) | instskip(NEXT) | instid1(VALU_DEP_1)
	v_subrev_nc_u32_e32 v45, 28, v44
	v_lshlrev_b64_e32 v[46:47], v45, v[20:21]
	s_delay_alu instid0(VALU_DEP_1)
	v_dual_sub_nc_u32 v44, 29, v44 :: v_dual_bitop2_b32 v20, 7, v46 bitop3:0x40
; %bb.671:                              ;   in Loop: Header=BB185_529 Depth=1
	s_or_b32 exec_lo, exec_lo, s27
	v_lshlrev_b32_e32 v45, 24, v52
	s_delay_alu instid0(VALU_DEP_2) | instskip(NEXT) | instid1(VALU_DEP_3)
	v_lshlrev_b32_e32 v20, 20, v20
	v_lshl_add_u32 v44, v44, 23, 0x3c000000
	s_delay_alu instid0(VALU_DEP_3) | instskip(NEXT) | instid1(VALU_DEP_1)
	v_and_b32_e32 v45, 0x80000000, v45
	v_or3_b32 v20, v20, v45, v44
	s_delay_alu instid0(VALU_DEP_1)
	v_mov_b64_e32 v[44:45], v[20:21]
.LBB185_672:                            ;   in Loop: Header=BB185_529 Depth=1
	s_or_b32 exec_lo, exec_lo, s25
.LBB185_673:                            ;   in Loop: Header=BB185_529 Depth=1
	s_delay_alu instid0(SALU_CYCLE_1)
	s_or_b32 exec_lo, exec_lo, s24
.LBB185_674:                            ;   in Loop: Header=BB185_529 Depth=1
	s_delay_alu instid0(SALU_CYCLE_1) | instskip(SKIP_2) | instid1(VALU_DEP_1)
	s_or_b32 exec_lo, exec_lo, s23
	v_lshrrev_b16 v20, 8, v52
	s_mov_b32 s23, exec_lo
	v_cmpx_ne_u16_e32 0, v20
	s_cbranch_execz .LBB185_682
; %bb.675:                              ;   in Loop: Header=BB185_529 Depth=1
	v_mov_b64_e32 v[0:1], 0x8000000000000000
	s_mov_b32 s24, exec_lo
	v_cmpx_ne_u16_e32 0x80, v20
	s_cbranch_execz .LBB185_681
; %bb.676:                              ;   in Loop: Header=BB185_529 Depth=1
	v_and_b32_e32 v20, 0xffff, v20
	v_mov_b64_e32 v[0:1], 0x7f80000100000000
	s_mov_b32 s25, exec_lo
	s_delay_alu instid0(VALU_DEP_2) | instskip(NEXT) | instid1(VALU_DEP_1)
	v_and_b32_e32 v46, 0x7f, v20
	v_cmpx_ne_u32_e32 0x7f, v46
	s_cbranch_execz .LBB185_680
; %bb.677:                              ;   in Loop: Header=BB185_529 Depth=1
	v_dual_lshrrev_b32 v0, 3, v46 :: v_dual_bitop2_b32 v20, 7, v20 bitop3:0x40
	s_mov_b32 s27, exec_lo
	v_cmpx_gt_u32_e32 8, v46
; %bb.678:                              ;   in Loop: Header=BB185_529 Depth=1
	s_delay_alu instid0(VALU_DEP_2) | instskip(NEXT) | instid1(VALU_DEP_1)
	v_clz_i32_u32_e32 v0, v20
	v_min_u32_e32 v0, 32, v0
	s_delay_alu instid0(VALU_DEP_1) | instskip(NEXT) | instid1(VALU_DEP_1)
	v_subrev_nc_u32_e32 v1, 28, v0
	v_lshlrev_b64_e32 v[46:47], v1, v[20:21]
	s_delay_alu instid0(VALU_DEP_1)
	v_dual_sub_nc_u32 v0, 29, v0 :: v_dual_bitop2_b32 v20, 7, v46 bitop3:0x40
; %bb.679:                              ;   in Loop: Header=BB185_529 Depth=1
	s_or_b32 exec_lo, exec_lo, s27
	v_lshlrev_b32_e32 v1, 16, v52
	s_delay_alu instid0(VALU_DEP_2) | instskip(NEXT) | instid1(VALU_DEP_3)
	v_lshlrev_b32_e32 v20, 20, v20
	v_lshl_add_u32 v0, v0, 23, 0x3c000000
	s_delay_alu instid0(VALU_DEP_3) | instskip(NEXT) | instid1(VALU_DEP_1)
	v_and_b32_e32 v1, 0x80000000, v1
	v_or3_b32 v1, v20, v1, v0
	v_mov_b32_e32 v0, v21
.LBB185_680:                            ;   in Loop: Header=BB185_529 Depth=1
	s_or_b32 exec_lo, exec_lo, s25
.LBB185_681:                            ;   in Loop: Header=BB185_529 Depth=1
	s_delay_alu instid0(SALU_CYCLE_1)
	s_or_b32 exec_lo, exec_lo, s24
.LBB185_682:                            ;   in Loop: Header=BB185_529 Depth=1
	s_delay_alu instid0(SALU_CYCLE_1) | instskip(SKIP_4) | instid1(VALU_DEP_3)
	s_or_b32 exec_lo, exec_lo, s23
	v_lshrrev_b32_e32 v53, 16, v52
	v_mov_b64_e32 v[46:47], 0
	v_mov_b64_e32 v[48:49], 0
	s_mov_b32 s23, exec_lo
	v_and_b32_e32 v20, 0xff, v53
	s_delay_alu instid0(VALU_DEP_1)
	v_cmpx_ne_u16_e32 0, v20
	s_cbranch_execz .LBB185_690
; %bb.683:                              ;   in Loop: Header=BB185_529 Depth=1
	v_mov_b64_e32 v[48:49], 0x80000000
	s_mov_b32 s24, exec_lo
	v_cmpx_ne_u16_e32 0x80, v20
	s_cbranch_execz .LBB185_689
; %bb.684:                              ;   in Loop: Header=BB185_529 Depth=1
	v_mov_b64_e32 v[48:49], 0x7f800001
	v_bfe_u32 v54, v52, 16, 7
	s_mov_b32 s25, exec_lo
	s_delay_alu instid0(VALU_DEP_1)
	v_cmpx_ne_u32_e32 0x7f, v54
	s_cbranch_execz .LBB185_688
; %bb.685:                              ;   in Loop: Header=BB185_529 Depth=1
	v_dual_lshrrev_b32 v48, 3, v54 :: v_dual_bitop2_b32 v20, 7, v53 bitop3:0x40
	s_mov_b32 s27, exec_lo
	v_cmpx_gt_u32_e32 8, v54
; %bb.686:                              ;   in Loop: Header=BB185_529 Depth=1
	s_delay_alu instid0(VALU_DEP_2) | instskip(NEXT) | instid1(VALU_DEP_1)
	v_clz_i32_u32_e32 v48, v20
	v_min_u32_e32 v48, 32, v48
	s_delay_alu instid0(VALU_DEP_1) | instskip(NEXT) | instid1(VALU_DEP_1)
	v_subrev_nc_u32_e32 v49, 28, v48
	v_lshlrev_b64_e32 v[54:55], v49, v[20:21]
	s_delay_alu instid0(VALU_DEP_1)
	v_dual_sub_nc_u32 v48, 29, v48 :: v_dual_bitop2_b32 v20, 7, v54 bitop3:0x40
; %bb.687:                              ;   in Loop: Header=BB185_529 Depth=1
	s_or_b32 exec_lo, exec_lo, s27
	s_delay_alu instid0(VALU_DEP_1) | instskip(NEXT) | instid1(VALU_DEP_2)
	v_dual_lshlrev_b32 v49, 24, v53 :: v_dual_lshlrev_b32 v20, 20, v20
	v_lshl_add_u32 v48, v48, 23, 0x3c000000
	s_delay_alu instid0(VALU_DEP_2) | instskip(NEXT) | instid1(VALU_DEP_1)
	v_and_b32_e32 v49, 0x80000000, v49
	v_or3_b32 v20, v20, v49, v48
	s_delay_alu instid0(VALU_DEP_1)
	v_mov_b64_e32 v[48:49], v[20:21]
.LBB185_688:                            ;   in Loop: Header=BB185_529 Depth=1
	s_or_b32 exec_lo, exec_lo, s25
.LBB185_689:                            ;   in Loop: Header=BB185_529 Depth=1
	s_delay_alu instid0(SALU_CYCLE_1)
	s_or_b32 exec_lo, exec_lo, s24
.LBB185_690:                            ;   in Loop: Header=BB185_529 Depth=1
	s_delay_alu instid0(SALU_CYCLE_1) | instskip(NEXT) | instid1(SALU_CYCLE_1)
	s_or_b32 exec_lo, exec_lo, s23
	s_mov_b32 s23, exec_lo
	v_cmpx_lt_u32_e32 0xffffff, v52
	s_cbranch_execz .LBB185_698
; %bb.691:                              ;   in Loop: Header=BB185_529 Depth=1
	v_mov_b64_e32 v[46:47], 0x8000000000000000
	v_lshrrev_b32_e32 v53, 24, v52
	s_mov_b32 s24, exec_lo
	s_delay_alu instid0(VALU_DEP_1)
	v_cmpx_ne_u32_e32 0x80, v53
	s_cbranch_execz .LBB185_697
; %bb.692:                              ;   in Loop: Header=BB185_529 Depth=1
	v_mov_b64_e32 v[46:47], 0x7f80000100000000
	v_bfe_u32 v52, v52, 24, 7
	s_mov_b32 s25, exec_lo
	s_delay_alu instid0(VALU_DEP_1)
	v_cmpx_ne_u32_e32 0x7f, v52
	s_cbranch_execz .LBB185_696
; %bb.693:                              ;   in Loop: Header=BB185_529 Depth=1
	v_dual_lshrrev_b32 v46, 3, v52 :: v_dual_bitop2_b32 v20, 7, v53 bitop3:0x40
	s_mov_b32 s27, exec_lo
	v_cmpx_gt_u32_e32 8, v52
; %bb.694:                              ;   in Loop: Header=BB185_529 Depth=1
	s_delay_alu instid0(VALU_DEP_2) | instskip(NEXT) | instid1(VALU_DEP_1)
	v_clz_i32_u32_e32 v46, v20
	v_min_u32_e32 v46, 32, v46
	s_delay_alu instid0(VALU_DEP_1) | instskip(SKIP_1) | instid1(VALU_DEP_2)
	v_subrev_nc_u32_e32 v47, 28, v46
	v_sub_nc_u32_e32 v46, 29, v46
	v_lshlrev_b64_e32 v[54:55], v47, v[20:21]
	s_delay_alu instid0(VALU_DEP_1)
	v_and_b32_e32 v20, 7, v54
; %bb.695:                              ;   in Loop: Header=BB185_529 Depth=1
	s_or_b32 exec_lo, exec_lo, s27
	s_delay_alu instid0(VALU_DEP_1) | instskip(SKIP_1) | instid1(VALU_DEP_2)
	v_dual_lshlrev_b32 v47, 24, v53 :: v_dual_lshlrev_b32 v20, 20, v20
	v_lshl_add_u32 v46, v46, 23, 0x3c000000
	v_and_b32_e32 v47, 0x80000000, v47
	s_delay_alu instid0(VALU_DEP_1)
	v_or3_b32 v47, v20, v47, v46
	v_mov_b32_e32 v46, v21
.LBB185_696:                            ;   in Loop: Header=BB185_529 Depth=1
	s_or_b32 exec_lo, exec_lo, s25
.LBB185_697:                            ;   in Loop: Header=BB185_529 Depth=1
	s_delay_alu instid0(SALU_CYCLE_1)
	s_or_b32 exec_lo, exec_lo, s24
.LBB185_698:                            ;   in Loop: Header=BB185_529 Depth=1
	s_delay_alu instid0(SALU_CYCLE_1)
	s_or_b32 exec_lo, exec_lo, s23
	v_or_b32_e32 v1, v1, v45
	v_or_b32_e32 v0, v0, v44
	v_mov_b64_e32 v[44:45], s[8:9]
	v_or_b32_e32 v49, v47, v49
	v_or_b32_e32 v48, v46, v48
	s_delay_alu instid0(VALU_DEP_3) | instskip(NEXT) | instid1(VALU_DEP_2)
	v_pk_mul_f32 v[46:47], v[44:45], v[0:1]
	v_pk_mul_f32 v[44:45], v[44:45], v[48:49]
	s_and_saveexec_b32 s23, vcc_lo
	s_cbranch_execz .LBB185_700
; %bb.699:                              ;   in Loop: Header=BB185_529 Depth=1
	v_cmp_gt_i32_e64 s0, s34, v51
	s_delay_alu instid0(VALU_DEP_1) | instskip(SKIP_1) | instid1(VALU_DEP_1)
	v_cndmask_b32_e64 v46, 0, v46, s0
	v_cmp_gt_i32_e64 s0, s34, v98
	v_cndmask_b32_e64 v47, 0, v47, s0
	v_cmp_gt_i32_e64 s0, s34, v89
	s_delay_alu instid0(VALU_DEP_1) | instskip(SKIP_1) | instid1(VALU_DEP_1)
	v_cndmask_b32_e64 v44, 0, v44, s0
	v_cmp_gt_i32_e64 s0, s34, v88
	v_cndmask_b32_e64 v45, 0, v45, s0
.LBB185_700:                            ;   in Loop: Header=BB185_529 Depth=1
	s_or_b32 exec_lo, exec_lo, s23
	global_load_b32 v56, v[30:31], off offset:640
	v_mov_b64_e32 v[0:1], 0
	v_mov_b64_e32 v[48:49], 0
	s_mov_b32 s23, exec_lo
	s_wait_loadcnt 0x0
	v_and_b32_e32 v20, 0xff, v56
	s_delay_alu instid0(VALU_DEP_1)
	v_cmpx_ne_u16_e32 0, v20
	s_cbranch_execz .LBB185_708
; %bb.701:                              ;   in Loop: Header=BB185_529 Depth=1
	v_mov_b64_e32 v[48:49], 0x80000000
	s_mov_b32 s24, exec_lo
	v_cmpx_ne_u16_e32 0x80, v20
	s_cbranch_execz .LBB185_707
; %bb.702:                              ;   in Loop: Header=BB185_529 Depth=1
	v_mov_b64_e32 v[48:49], 0x7f800001
	v_and_b32_e32 v52, 0x7f, v56
	s_mov_b32 s25, exec_lo
	s_delay_alu instid0(VALU_DEP_1)
	v_cmpx_ne_u32_e32 0x7f, v52
	s_cbranch_execz .LBB185_706
; %bb.703:                              ;   in Loop: Header=BB185_529 Depth=1
	v_and_b32_e32 v20, 7, v56
	v_lshrrev_b32_e32 v48, 3, v52
	s_mov_b32 s27, exec_lo
	v_cmpx_gt_u32_e32 8, v52
; %bb.704:                              ;   in Loop: Header=BB185_529 Depth=1
	s_delay_alu instid0(VALU_DEP_3) | instskip(NEXT) | instid1(VALU_DEP_1)
	v_clz_i32_u32_e32 v48, v20
	v_min_u32_e32 v48, 32, v48
	s_delay_alu instid0(VALU_DEP_1) | instskip(SKIP_1) | instid1(VALU_DEP_2)
	v_subrev_nc_u32_e32 v49, 28, v48
	v_sub_nc_u32_e32 v48, 29, v48
	v_lshlrev_b64_e32 v[52:53], v49, v[20:21]
	s_delay_alu instid0(VALU_DEP_1)
	v_and_b32_e32 v20, 7, v52
; %bb.705:                              ;   in Loop: Header=BB185_529 Depth=1
	s_or_b32 exec_lo, exec_lo, s27
	v_lshlrev_b32_e32 v49, 24, v56
	s_delay_alu instid0(VALU_DEP_2) | instskip(SKIP_1) | instid1(VALU_DEP_3)
	v_lshlrev_b32_e32 v20, 20, v20
	v_lshl_add_u32 v48, v48, 23, 0x3c000000
	v_and_b32_e32 v49, 0x80000000, v49
	s_delay_alu instid0(VALU_DEP_1) | instskip(NEXT) | instid1(VALU_DEP_1)
	v_or3_b32 v20, v20, v49, v48
	v_mov_b64_e32 v[48:49], v[20:21]
.LBB185_706:                            ;   in Loop: Header=BB185_529 Depth=1
	s_or_b32 exec_lo, exec_lo, s25
.LBB185_707:                            ;   in Loop: Header=BB185_529 Depth=1
	s_delay_alu instid0(SALU_CYCLE_1)
	s_or_b32 exec_lo, exec_lo, s24
.LBB185_708:                            ;   in Loop: Header=BB185_529 Depth=1
	s_delay_alu instid0(SALU_CYCLE_1) | instskip(SKIP_2) | instid1(VALU_DEP_1)
	s_or_b32 exec_lo, exec_lo, s23
	v_lshrrev_b16 v20, 8, v56
	s_mov_b32 s23, exec_lo
	v_cmpx_ne_u16_e32 0, v20
	s_cbranch_execz .LBB185_716
; %bb.709:                              ;   in Loop: Header=BB185_529 Depth=1
	v_mov_b64_e32 v[0:1], 0x8000000000000000
	s_mov_b32 s24, exec_lo
	v_cmpx_ne_u16_e32 0x80, v20
	s_cbranch_execz .LBB185_715
; %bb.710:                              ;   in Loop: Header=BB185_529 Depth=1
	v_and_b32_e32 v20, 0xffff, v20
	v_mov_b64_e32 v[0:1], 0x7f80000100000000
	s_mov_b32 s25, exec_lo
	s_delay_alu instid0(VALU_DEP_2) | instskip(NEXT) | instid1(VALU_DEP_1)
	v_and_b32_e32 v52, 0x7f, v20
	v_cmpx_ne_u32_e32 0x7f, v52
	s_cbranch_execz .LBB185_714
; %bb.711:                              ;   in Loop: Header=BB185_529 Depth=1
	v_and_b32_e32 v20, 7, v20
	v_lshrrev_b32_e32 v0, 3, v52
	s_mov_b32 s27, exec_lo
	v_cmpx_gt_u32_e32 8, v52
; %bb.712:                              ;   in Loop: Header=BB185_529 Depth=1
	s_delay_alu instid0(VALU_DEP_3) | instskip(NEXT) | instid1(VALU_DEP_1)
	v_clz_i32_u32_e32 v0, v20
	v_min_u32_e32 v0, 32, v0
	s_delay_alu instid0(VALU_DEP_1) | instskip(SKIP_1) | instid1(VALU_DEP_2)
	v_subrev_nc_u32_e32 v1, 28, v0
	v_sub_nc_u32_e32 v0, 29, v0
	v_lshlrev_b64_e32 v[52:53], v1, v[20:21]
	s_delay_alu instid0(VALU_DEP_1)
	v_and_b32_e32 v20, 7, v52
; %bb.713:                              ;   in Loop: Header=BB185_529 Depth=1
	s_or_b32 exec_lo, exec_lo, s27
	v_lshlrev_b32_e32 v1, 16, v56
	s_delay_alu instid0(VALU_DEP_2) | instskip(SKIP_1) | instid1(VALU_DEP_3)
	v_lshlrev_b32_e32 v20, 20, v20
	v_lshl_add_u32 v0, v0, 23, 0x3c000000
	v_and_b32_e32 v1, 0x80000000, v1
	s_delay_alu instid0(VALU_DEP_1)
	v_or3_b32 v1, v20, v1, v0
	v_mov_b32_e32 v0, v21
.LBB185_714:                            ;   in Loop: Header=BB185_529 Depth=1
	s_or_b32 exec_lo, exec_lo, s25
.LBB185_715:                            ;   in Loop: Header=BB185_529 Depth=1
	s_delay_alu instid0(SALU_CYCLE_1)
	s_or_b32 exec_lo, exec_lo, s24
.LBB185_716:                            ;   in Loop: Header=BB185_529 Depth=1
	s_delay_alu instid0(SALU_CYCLE_1) | instskip(SKIP_4) | instid1(VALU_DEP_3)
	s_or_b32 exec_lo, exec_lo, s23
	v_lshrrev_b32_e32 v57, 16, v56
	v_mov_b64_e32 v[52:53], 0
	v_mov_b64_e32 v[54:55], 0
	s_mov_b32 s23, exec_lo
	v_and_b32_e32 v20, 0xff, v57
	s_delay_alu instid0(VALU_DEP_1)
	v_cmpx_ne_u16_e32 0, v20
	s_cbranch_execz .LBB185_724
; %bb.717:                              ;   in Loop: Header=BB185_529 Depth=1
	v_mov_b64_e32 v[54:55], 0x80000000
	s_mov_b32 s24, exec_lo
	v_cmpx_ne_u16_e32 0x80, v20
	s_cbranch_execz .LBB185_723
; %bb.718:                              ;   in Loop: Header=BB185_529 Depth=1
	v_mov_b64_e32 v[54:55], 0x7f800001
	v_bfe_u32 v58, v56, 16, 7
	s_mov_b32 s25, exec_lo
	s_delay_alu instid0(VALU_DEP_1)
	v_cmpx_ne_u32_e32 0x7f, v58
	s_cbranch_execz .LBB185_722
; %bb.719:                              ;   in Loop: Header=BB185_529 Depth=1
	v_dual_lshrrev_b32 v54, 3, v58 :: v_dual_bitop2_b32 v20, 7, v57 bitop3:0x40
	s_mov_b32 s27, exec_lo
	v_cmpx_gt_u32_e32 8, v58
; %bb.720:                              ;   in Loop: Header=BB185_529 Depth=1
	s_delay_alu instid0(VALU_DEP_2) | instskip(NEXT) | instid1(VALU_DEP_1)
	v_clz_i32_u32_e32 v54, v20
	v_min_u32_e32 v54, 32, v54
	s_delay_alu instid0(VALU_DEP_1) | instskip(SKIP_1) | instid1(VALU_DEP_2)
	v_subrev_nc_u32_e32 v55, 28, v54
	v_sub_nc_u32_e32 v54, 29, v54
	v_lshlrev_b64_e32 v[58:59], v55, v[20:21]
	s_delay_alu instid0(VALU_DEP_1)
	v_and_b32_e32 v20, 7, v58
; %bb.721:                              ;   in Loop: Header=BB185_529 Depth=1
	s_or_b32 exec_lo, exec_lo, s27
	s_delay_alu instid0(VALU_DEP_1) | instskip(SKIP_1) | instid1(VALU_DEP_2)
	v_dual_lshlrev_b32 v55, 24, v57 :: v_dual_lshlrev_b32 v20, 20, v20
	v_lshl_add_u32 v54, v54, 23, 0x3c000000
	v_and_b32_e32 v55, 0x80000000, v55
	s_delay_alu instid0(VALU_DEP_1) | instskip(NEXT) | instid1(VALU_DEP_1)
	v_or3_b32 v20, v20, v55, v54
	v_mov_b64_e32 v[54:55], v[20:21]
.LBB185_722:                            ;   in Loop: Header=BB185_529 Depth=1
	s_or_b32 exec_lo, exec_lo, s25
.LBB185_723:                            ;   in Loop: Header=BB185_529 Depth=1
	s_delay_alu instid0(SALU_CYCLE_1)
	s_or_b32 exec_lo, exec_lo, s24
.LBB185_724:                            ;   in Loop: Header=BB185_529 Depth=1
	s_delay_alu instid0(SALU_CYCLE_1) | instskip(NEXT) | instid1(SALU_CYCLE_1)
	s_or_b32 exec_lo, exec_lo, s23
	s_mov_b32 s23, exec_lo
	v_cmpx_lt_u32_e32 0xffffff, v56
	s_cbranch_execz .LBB185_732
; %bb.725:                              ;   in Loop: Header=BB185_529 Depth=1
	v_mov_b64_e32 v[52:53], 0x8000000000000000
	v_lshrrev_b32_e32 v57, 24, v56
	s_mov_b32 s24, exec_lo
	s_delay_alu instid0(VALU_DEP_1)
	v_cmpx_ne_u32_e32 0x80, v57
	s_cbranch_execz .LBB185_731
; %bb.726:                              ;   in Loop: Header=BB185_529 Depth=1
	v_mov_b64_e32 v[52:53], 0x7f80000100000000
	v_bfe_u32 v56, v56, 24, 7
	s_mov_b32 s25, exec_lo
	s_delay_alu instid0(VALU_DEP_1)
	v_cmpx_ne_u32_e32 0x7f, v56
	s_cbranch_execz .LBB185_730
; %bb.727:                              ;   in Loop: Header=BB185_529 Depth=1
	v_dual_lshrrev_b32 v52, 3, v56 :: v_dual_bitop2_b32 v20, 7, v57 bitop3:0x40
	s_mov_b32 s27, exec_lo
	v_cmpx_gt_u32_e32 8, v56
; %bb.728:                              ;   in Loop: Header=BB185_529 Depth=1
	s_delay_alu instid0(VALU_DEP_2) | instskip(NEXT) | instid1(VALU_DEP_1)
	v_clz_i32_u32_e32 v52, v20
	v_min_u32_e32 v52, 32, v52
	s_delay_alu instid0(VALU_DEP_1) | instskip(NEXT) | instid1(VALU_DEP_1)
	v_subrev_nc_u32_e32 v53, 28, v52
	v_lshlrev_b64_e32 v[58:59], v53, v[20:21]
	s_delay_alu instid0(VALU_DEP_1)
	v_dual_sub_nc_u32 v52, 29, v52 :: v_dual_bitop2_b32 v20, 7, v58 bitop3:0x40
; %bb.729:                              ;   in Loop: Header=BB185_529 Depth=1
	s_or_b32 exec_lo, exec_lo, s27
	s_delay_alu instid0(VALU_DEP_1) | instskip(NEXT) | instid1(VALU_DEP_2)
	v_dual_lshlrev_b32 v53, 24, v57 :: v_dual_lshlrev_b32 v20, 20, v20
	v_lshl_add_u32 v52, v52, 23, 0x3c000000
	s_delay_alu instid0(VALU_DEP_2) | instskip(NEXT) | instid1(VALU_DEP_1)
	v_and_b32_e32 v53, 0x80000000, v53
	v_or3_b32 v53, v20, v53, v52
	v_mov_b32_e32 v52, v21
.LBB185_730:                            ;   in Loop: Header=BB185_529 Depth=1
	s_or_b32 exec_lo, exec_lo, s25
.LBB185_731:                            ;   in Loop: Header=BB185_529 Depth=1
	s_delay_alu instid0(SALU_CYCLE_1)
	s_or_b32 exec_lo, exec_lo, s24
.LBB185_732:                            ;   in Loop: Header=BB185_529 Depth=1
	s_delay_alu instid0(SALU_CYCLE_1)
	s_or_b32 exec_lo, exec_lo, s23
	v_or_b32_e32 v1, v1, v49
	v_or_b32_e32 v0, v0, v48
	v_mov_b64_e32 v[48:49], s[8:9]
	v_or_b32_e32 v55, v53, v55
	v_or_b32_e32 v54, v52, v54
	s_delay_alu instid0(VALU_DEP_3) | instskip(NEXT) | instid1(VALU_DEP_2)
	v_pk_mul_f32 v[52:53], v[48:49], v[0:1]
	v_pk_mul_f32 v[48:49], v[48:49], v[54:55]
	s_and_saveexec_b32 s23, vcc_lo
	s_cbranch_execz .LBB185_734
; %bb.733:                              ;   in Loop: Header=BB185_529 Depth=1
	v_cmp_gt_i32_e64 s0, s34, v51
	s_delay_alu instid0(VALU_DEP_1) | instskip(SKIP_1) | instid1(VALU_DEP_1)
	v_cndmask_b32_e64 v52, 0, v52, s0
	v_cmp_gt_i32_e64 s0, s34, v98
	v_cndmask_b32_e64 v53, 0, v53, s0
	v_cmp_gt_i32_e64 s0, s34, v89
	s_delay_alu instid0(VALU_DEP_1) | instskip(SKIP_1) | instid1(VALU_DEP_1)
	v_cndmask_b32_e64 v48, 0, v48, s0
	v_cmp_gt_i32_e64 s0, s34, v88
	v_cndmask_b32_e64 v49, 0, v49, s0
.LBB185_734:                            ;   in Loop: Header=BB185_529 Depth=1
	s_or_b32 exec_lo, exec_lo, s23
	global_load_b32 v60, v[30:31], off offset:768
	v_mov_b64_e32 v[0:1], 0
	v_mov_b64_e32 v[54:55], 0
	s_mov_b32 s23, exec_lo
	s_wait_loadcnt 0x0
	v_and_b32_e32 v20, 0xff, v60
	s_delay_alu instid0(VALU_DEP_1)
	v_cmpx_ne_u16_e32 0, v20
	s_cbranch_execz .LBB185_742
; %bb.735:                              ;   in Loop: Header=BB185_529 Depth=1
	v_mov_b64_e32 v[54:55], 0x80000000
	s_mov_b32 s24, exec_lo
	v_cmpx_ne_u16_e32 0x80, v20
	s_cbranch_execz .LBB185_741
; %bb.736:                              ;   in Loop: Header=BB185_529 Depth=1
	v_mov_b64_e32 v[54:55], 0x7f800001
	v_and_b32_e32 v56, 0x7f, v60
	s_mov_b32 s25, exec_lo
	s_delay_alu instid0(VALU_DEP_1)
	v_cmpx_ne_u32_e32 0x7f, v56
	s_cbranch_execz .LBB185_740
; %bb.737:                              ;   in Loop: Header=BB185_529 Depth=1
	v_and_b32_e32 v20, 7, v60
	v_lshrrev_b32_e32 v54, 3, v56
	s_mov_b32 s27, exec_lo
	v_cmpx_gt_u32_e32 8, v56
; %bb.738:                              ;   in Loop: Header=BB185_529 Depth=1
	s_delay_alu instid0(VALU_DEP_3) | instskip(NEXT) | instid1(VALU_DEP_1)
	v_clz_i32_u32_e32 v54, v20
	v_min_u32_e32 v54, 32, v54
	s_delay_alu instid0(VALU_DEP_1) | instskip(NEXT) | instid1(VALU_DEP_1)
	v_subrev_nc_u32_e32 v55, 28, v54
	v_lshlrev_b64_e32 v[56:57], v55, v[20:21]
	s_delay_alu instid0(VALU_DEP_1)
	v_dual_sub_nc_u32 v54, 29, v54 :: v_dual_bitop2_b32 v20, 7, v56 bitop3:0x40
; %bb.739:                              ;   in Loop: Header=BB185_529 Depth=1
	s_or_b32 exec_lo, exec_lo, s27
	v_lshlrev_b32_e32 v55, 24, v60
	s_delay_alu instid0(VALU_DEP_2) | instskip(NEXT) | instid1(VALU_DEP_3)
	v_lshlrev_b32_e32 v20, 20, v20
	v_lshl_add_u32 v54, v54, 23, 0x3c000000
	s_delay_alu instid0(VALU_DEP_3) | instskip(NEXT) | instid1(VALU_DEP_1)
	v_and_b32_e32 v55, 0x80000000, v55
	v_or3_b32 v20, v20, v55, v54
	s_delay_alu instid0(VALU_DEP_1)
	v_mov_b64_e32 v[54:55], v[20:21]
.LBB185_740:                            ;   in Loop: Header=BB185_529 Depth=1
	s_or_b32 exec_lo, exec_lo, s25
.LBB185_741:                            ;   in Loop: Header=BB185_529 Depth=1
	s_delay_alu instid0(SALU_CYCLE_1)
	s_or_b32 exec_lo, exec_lo, s24
.LBB185_742:                            ;   in Loop: Header=BB185_529 Depth=1
	s_delay_alu instid0(SALU_CYCLE_1) | instskip(SKIP_2) | instid1(VALU_DEP_1)
	s_or_b32 exec_lo, exec_lo, s23
	v_lshrrev_b16 v20, 8, v60
	s_mov_b32 s23, exec_lo
	v_cmpx_ne_u16_e32 0, v20
	s_cbranch_execz .LBB185_750
; %bb.743:                              ;   in Loop: Header=BB185_529 Depth=1
	v_mov_b64_e32 v[0:1], 0x8000000000000000
	s_mov_b32 s24, exec_lo
	v_cmpx_ne_u16_e32 0x80, v20
	s_cbranch_execz .LBB185_749
; %bb.744:                              ;   in Loop: Header=BB185_529 Depth=1
	v_and_b32_e32 v20, 0xffff, v20
	v_mov_b64_e32 v[0:1], 0x7f80000100000000
	s_mov_b32 s25, exec_lo
	s_delay_alu instid0(VALU_DEP_2) | instskip(NEXT) | instid1(VALU_DEP_1)
	v_and_b32_e32 v56, 0x7f, v20
	v_cmpx_ne_u32_e32 0x7f, v56
	s_cbranch_execz .LBB185_748
; %bb.745:                              ;   in Loop: Header=BB185_529 Depth=1
	v_and_b32_e32 v20, 7, v20
	v_lshrrev_b32_e32 v0, 3, v56
	s_mov_b32 s27, exec_lo
	v_cmpx_gt_u32_e32 8, v56
; %bb.746:                              ;   in Loop: Header=BB185_529 Depth=1
	s_delay_alu instid0(VALU_DEP_3) | instskip(NEXT) | instid1(VALU_DEP_1)
	v_clz_i32_u32_e32 v0, v20
	v_min_u32_e32 v0, 32, v0
	s_delay_alu instid0(VALU_DEP_1) | instskip(SKIP_1) | instid1(VALU_DEP_2)
	v_subrev_nc_u32_e32 v1, 28, v0
	v_sub_nc_u32_e32 v0, 29, v0
	v_lshlrev_b64_e32 v[56:57], v1, v[20:21]
	s_delay_alu instid0(VALU_DEP_1)
	v_and_b32_e32 v20, 7, v56
; %bb.747:                              ;   in Loop: Header=BB185_529 Depth=1
	s_or_b32 exec_lo, exec_lo, s27
	v_lshlrev_b32_e32 v1, 16, v60
	s_delay_alu instid0(VALU_DEP_2) | instskip(SKIP_1) | instid1(VALU_DEP_3)
	v_lshlrev_b32_e32 v20, 20, v20
	v_lshl_add_u32 v0, v0, 23, 0x3c000000
	v_and_b32_e32 v1, 0x80000000, v1
	s_delay_alu instid0(VALU_DEP_1)
	v_or3_b32 v1, v20, v1, v0
	v_mov_b32_e32 v0, v21
.LBB185_748:                            ;   in Loop: Header=BB185_529 Depth=1
	s_or_b32 exec_lo, exec_lo, s25
.LBB185_749:                            ;   in Loop: Header=BB185_529 Depth=1
	s_delay_alu instid0(SALU_CYCLE_1)
	s_or_b32 exec_lo, exec_lo, s24
.LBB185_750:                            ;   in Loop: Header=BB185_529 Depth=1
	s_delay_alu instid0(SALU_CYCLE_1) | instskip(SKIP_4) | instid1(VALU_DEP_3)
	s_or_b32 exec_lo, exec_lo, s23
	v_lshrrev_b32_e32 v61, 16, v60
	v_mov_b64_e32 v[56:57], 0
	v_mov_b64_e32 v[58:59], 0
	s_mov_b32 s23, exec_lo
	v_and_b32_e32 v20, 0xff, v61
	s_delay_alu instid0(VALU_DEP_1)
	v_cmpx_ne_u16_e32 0, v20
	s_cbranch_execz .LBB185_758
; %bb.751:                              ;   in Loop: Header=BB185_529 Depth=1
	v_mov_b64_e32 v[58:59], 0x80000000
	s_mov_b32 s24, exec_lo
	v_cmpx_ne_u16_e32 0x80, v20
	s_cbranch_execz .LBB185_757
; %bb.752:                              ;   in Loop: Header=BB185_529 Depth=1
	v_mov_b64_e32 v[58:59], 0x7f800001
	v_bfe_u32 v62, v60, 16, 7
	s_mov_b32 s25, exec_lo
	s_delay_alu instid0(VALU_DEP_1)
	v_cmpx_ne_u32_e32 0x7f, v62
	s_cbranch_execz .LBB185_756
; %bb.753:                              ;   in Loop: Header=BB185_529 Depth=1
	v_dual_lshrrev_b32 v58, 3, v62 :: v_dual_bitop2_b32 v20, 7, v61 bitop3:0x40
	s_mov_b32 s27, exec_lo
	v_cmpx_gt_u32_e32 8, v62
; %bb.754:                              ;   in Loop: Header=BB185_529 Depth=1
	s_delay_alu instid0(VALU_DEP_2) | instskip(NEXT) | instid1(VALU_DEP_1)
	v_clz_i32_u32_e32 v58, v20
	v_min_u32_e32 v58, 32, v58
	s_delay_alu instid0(VALU_DEP_1) | instskip(SKIP_1) | instid1(VALU_DEP_2)
	v_subrev_nc_u32_e32 v59, 28, v58
	v_sub_nc_u32_e32 v58, 29, v58
	v_lshlrev_b64_e32 v[62:63], v59, v[20:21]
	s_delay_alu instid0(VALU_DEP_1)
	v_and_b32_e32 v20, 7, v62
; %bb.755:                              ;   in Loop: Header=BB185_529 Depth=1
	s_or_b32 exec_lo, exec_lo, s27
	s_delay_alu instid0(VALU_DEP_1) | instskip(SKIP_1) | instid1(VALU_DEP_2)
	v_dual_lshlrev_b32 v59, 24, v61 :: v_dual_lshlrev_b32 v20, 20, v20
	v_lshl_add_u32 v58, v58, 23, 0x3c000000
	v_and_b32_e32 v59, 0x80000000, v59
	s_delay_alu instid0(VALU_DEP_1) | instskip(NEXT) | instid1(VALU_DEP_1)
	v_or3_b32 v20, v20, v59, v58
	v_mov_b64_e32 v[58:59], v[20:21]
.LBB185_756:                            ;   in Loop: Header=BB185_529 Depth=1
	s_or_b32 exec_lo, exec_lo, s25
.LBB185_757:                            ;   in Loop: Header=BB185_529 Depth=1
	s_delay_alu instid0(SALU_CYCLE_1)
	s_or_b32 exec_lo, exec_lo, s24
.LBB185_758:                            ;   in Loop: Header=BB185_529 Depth=1
	s_delay_alu instid0(SALU_CYCLE_1) | instskip(NEXT) | instid1(SALU_CYCLE_1)
	s_or_b32 exec_lo, exec_lo, s23
	s_mov_b32 s23, exec_lo
	v_cmpx_lt_u32_e32 0xffffff, v60
	s_cbranch_execz .LBB185_766
; %bb.759:                              ;   in Loop: Header=BB185_529 Depth=1
	v_mov_b64_e32 v[56:57], 0x8000000000000000
	v_lshrrev_b32_e32 v61, 24, v60
	s_mov_b32 s24, exec_lo
	s_delay_alu instid0(VALU_DEP_1)
	v_cmpx_ne_u32_e32 0x80, v61
	s_cbranch_execz .LBB185_765
; %bb.760:                              ;   in Loop: Header=BB185_529 Depth=1
	v_mov_b64_e32 v[56:57], 0x7f80000100000000
	v_bfe_u32 v60, v60, 24, 7
	s_mov_b32 s25, exec_lo
	s_delay_alu instid0(VALU_DEP_1)
	v_cmpx_ne_u32_e32 0x7f, v60
	s_cbranch_execz .LBB185_764
; %bb.761:                              ;   in Loop: Header=BB185_529 Depth=1
	v_dual_lshrrev_b32 v56, 3, v60 :: v_dual_bitop2_b32 v20, 7, v61 bitop3:0x40
	s_mov_b32 s27, exec_lo
	v_cmpx_gt_u32_e32 8, v60
; %bb.762:                              ;   in Loop: Header=BB185_529 Depth=1
	s_delay_alu instid0(VALU_DEP_2) | instskip(NEXT) | instid1(VALU_DEP_1)
	v_clz_i32_u32_e32 v56, v20
	v_min_u32_e32 v56, 32, v56
	s_delay_alu instid0(VALU_DEP_1) | instskip(NEXT) | instid1(VALU_DEP_1)
	v_subrev_nc_u32_e32 v57, 28, v56
	v_lshlrev_b64_e32 v[62:63], v57, v[20:21]
	s_delay_alu instid0(VALU_DEP_1)
	v_dual_sub_nc_u32 v56, 29, v56 :: v_dual_bitop2_b32 v20, 7, v62 bitop3:0x40
; %bb.763:                              ;   in Loop: Header=BB185_529 Depth=1
	s_or_b32 exec_lo, exec_lo, s27
	s_delay_alu instid0(VALU_DEP_1) | instskip(NEXT) | instid1(VALU_DEP_2)
	v_dual_lshlrev_b32 v57, 24, v61 :: v_dual_lshlrev_b32 v20, 20, v20
	v_lshl_add_u32 v56, v56, 23, 0x3c000000
	s_delay_alu instid0(VALU_DEP_2) | instskip(NEXT) | instid1(VALU_DEP_1)
	v_and_b32_e32 v57, 0x80000000, v57
	v_or3_b32 v57, v20, v57, v56
	v_mov_b32_e32 v56, v21
.LBB185_764:                            ;   in Loop: Header=BB185_529 Depth=1
	s_or_b32 exec_lo, exec_lo, s25
.LBB185_765:                            ;   in Loop: Header=BB185_529 Depth=1
	s_delay_alu instid0(SALU_CYCLE_1)
	s_or_b32 exec_lo, exec_lo, s24
.LBB185_766:                            ;   in Loop: Header=BB185_529 Depth=1
	s_delay_alu instid0(SALU_CYCLE_1)
	s_or_b32 exec_lo, exec_lo, s23
	v_or_b32_e32 v1, v1, v55
	v_or_b32_e32 v0, v0, v54
	v_mov_b64_e32 v[54:55], s[8:9]
	v_or_b32_e32 v59, v57, v59
	v_or_b32_e32 v58, v56, v58
	s_delay_alu instid0(VALU_DEP_3) | instskip(NEXT) | instid1(VALU_DEP_2)
	v_pk_mul_f32 v[56:57], v[54:55], v[0:1]
	v_pk_mul_f32 v[54:55], v[54:55], v[58:59]
	s_and_saveexec_b32 s23, vcc_lo
	s_cbranch_execz .LBB185_768
; %bb.767:                              ;   in Loop: Header=BB185_529 Depth=1
	v_cmp_gt_i32_e64 s0, s34, v51
	s_delay_alu instid0(VALU_DEP_1) | instskip(SKIP_1) | instid1(VALU_DEP_1)
	v_cndmask_b32_e64 v56, 0, v56, s0
	v_cmp_gt_i32_e64 s0, s34, v98
	v_cndmask_b32_e64 v57, 0, v57, s0
	v_cmp_gt_i32_e64 s0, s34, v89
	s_delay_alu instid0(VALU_DEP_1) | instskip(SKIP_1) | instid1(VALU_DEP_1)
	v_cndmask_b32_e64 v54, 0, v54, s0
	v_cmp_gt_i32_e64 s0, s34, v88
	v_cndmask_b32_e64 v55, 0, v55, s0
.LBB185_768:                            ;   in Loop: Header=BB185_529 Depth=1
	s_or_b32 exec_lo, exec_lo, s23
	global_load_b32 v64, v[30:31], off offset:896
	v_mov_b64_e32 v[0:1], 0
	v_mov_b64_e32 v[58:59], 0
	s_mov_b32 s23, exec_lo
	s_wait_loadcnt 0x0
	v_and_b32_e32 v20, 0xff, v64
	s_delay_alu instid0(VALU_DEP_1)
	v_cmpx_ne_u16_e32 0, v20
	s_cbranch_execz .LBB185_776
; %bb.769:                              ;   in Loop: Header=BB185_529 Depth=1
	v_mov_b64_e32 v[58:59], 0x80000000
	s_mov_b32 s24, exec_lo
	v_cmpx_ne_u16_e32 0x80, v20
	s_cbranch_execz .LBB185_775
; %bb.770:                              ;   in Loop: Header=BB185_529 Depth=1
	v_mov_b64_e32 v[58:59], 0x7f800001
	v_and_b32_e32 v60, 0x7f, v64
	s_mov_b32 s25, exec_lo
	s_delay_alu instid0(VALU_DEP_1)
	v_cmpx_ne_u32_e32 0x7f, v60
	s_cbranch_execz .LBB185_774
; %bb.771:                              ;   in Loop: Header=BB185_529 Depth=1
	v_and_b32_e32 v20, 7, v64
	v_lshrrev_b32_e32 v58, 3, v60
	s_mov_b32 s27, exec_lo
	v_cmpx_gt_u32_e32 8, v60
; %bb.772:                              ;   in Loop: Header=BB185_529 Depth=1
	s_delay_alu instid0(VALU_DEP_3) | instskip(NEXT) | instid1(VALU_DEP_1)
	v_clz_i32_u32_e32 v58, v20
	v_min_u32_e32 v58, 32, v58
	s_delay_alu instid0(VALU_DEP_1) | instskip(NEXT) | instid1(VALU_DEP_1)
	v_subrev_nc_u32_e32 v59, 28, v58
	v_lshlrev_b64_e32 v[60:61], v59, v[20:21]
	s_delay_alu instid0(VALU_DEP_1)
	v_dual_sub_nc_u32 v58, 29, v58 :: v_dual_bitop2_b32 v20, 7, v60 bitop3:0x40
; %bb.773:                              ;   in Loop: Header=BB185_529 Depth=1
	s_or_b32 exec_lo, exec_lo, s27
	v_lshlrev_b32_e32 v59, 24, v64
	s_delay_alu instid0(VALU_DEP_2) | instskip(NEXT) | instid1(VALU_DEP_3)
	v_lshlrev_b32_e32 v20, 20, v20
	v_lshl_add_u32 v58, v58, 23, 0x3c000000
	s_delay_alu instid0(VALU_DEP_3) | instskip(NEXT) | instid1(VALU_DEP_1)
	v_and_b32_e32 v59, 0x80000000, v59
	v_or3_b32 v20, v20, v59, v58
	s_delay_alu instid0(VALU_DEP_1)
	v_mov_b64_e32 v[58:59], v[20:21]
.LBB185_774:                            ;   in Loop: Header=BB185_529 Depth=1
	s_or_b32 exec_lo, exec_lo, s25
.LBB185_775:                            ;   in Loop: Header=BB185_529 Depth=1
	s_delay_alu instid0(SALU_CYCLE_1)
	s_or_b32 exec_lo, exec_lo, s24
.LBB185_776:                            ;   in Loop: Header=BB185_529 Depth=1
	s_delay_alu instid0(SALU_CYCLE_1) | instskip(SKIP_2) | instid1(VALU_DEP_1)
	s_or_b32 exec_lo, exec_lo, s23
	v_lshrrev_b16 v20, 8, v64
	s_mov_b32 s23, exec_lo
	v_cmpx_ne_u16_e32 0, v20
	s_cbranch_execz .LBB185_784
; %bb.777:                              ;   in Loop: Header=BB185_529 Depth=1
	v_mov_b64_e32 v[0:1], 0x8000000000000000
	s_mov_b32 s24, exec_lo
	v_cmpx_ne_u16_e32 0x80, v20
	s_cbranch_execz .LBB185_783
; %bb.778:                              ;   in Loop: Header=BB185_529 Depth=1
	v_and_b32_e32 v20, 0xffff, v20
	v_mov_b64_e32 v[0:1], 0x7f80000100000000
	s_mov_b32 s25, exec_lo
	s_delay_alu instid0(VALU_DEP_2) | instskip(NEXT) | instid1(VALU_DEP_1)
	v_and_b32_e32 v60, 0x7f, v20
	v_cmpx_ne_u32_e32 0x7f, v60
	s_cbranch_execz .LBB185_782
; %bb.779:                              ;   in Loop: Header=BB185_529 Depth=1
	v_and_b32_e32 v20, 7, v20
	v_lshrrev_b32_e32 v0, 3, v60
	s_mov_b32 s27, exec_lo
	v_cmpx_gt_u32_e32 8, v60
; %bb.780:                              ;   in Loop: Header=BB185_529 Depth=1
	s_delay_alu instid0(VALU_DEP_3) | instskip(NEXT) | instid1(VALU_DEP_1)
	v_clz_i32_u32_e32 v0, v20
	v_min_u32_e32 v0, 32, v0
	s_delay_alu instid0(VALU_DEP_1) | instskip(SKIP_1) | instid1(VALU_DEP_2)
	v_subrev_nc_u32_e32 v1, 28, v0
	v_sub_nc_u32_e32 v0, 29, v0
	v_lshlrev_b64_e32 v[60:61], v1, v[20:21]
	s_delay_alu instid0(VALU_DEP_1)
	v_and_b32_e32 v20, 7, v60
; %bb.781:                              ;   in Loop: Header=BB185_529 Depth=1
	s_or_b32 exec_lo, exec_lo, s27
	v_lshlrev_b32_e32 v1, 16, v64
	s_delay_alu instid0(VALU_DEP_2) | instskip(SKIP_1) | instid1(VALU_DEP_3)
	v_lshlrev_b32_e32 v20, 20, v20
	v_lshl_add_u32 v0, v0, 23, 0x3c000000
	v_and_b32_e32 v1, 0x80000000, v1
	s_delay_alu instid0(VALU_DEP_1)
	v_or3_b32 v1, v20, v1, v0
	v_mov_b32_e32 v0, v21
.LBB185_782:                            ;   in Loop: Header=BB185_529 Depth=1
	s_or_b32 exec_lo, exec_lo, s25
.LBB185_783:                            ;   in Loop: Header=BB185_529 Depth=1
	s_delay_alu instid0(SALU_CYCLE_1)
	s_or_b32 exec_lo, exec_lo, s24
.LBB185_784:                            ;   in Loop: Header=BB185_529 Depth=1
	s_delay_alu instid0(SALU_CYCLE_1) | instskip(SKIP_4) | instid1(VALU_DEP_3)
	s_or_b32 exec_lo, exec_lo, s23
	v_lshrrev_b32_e32 v65, 16, v64
	v_mov_b64_e32 v[60:61], 0
	v_mov_b64_e32 v[62:63], 0
	s_mov_b32 s23, exec_lo
	v_and_b32_e32 v20, 0xff, v65
	s_delay_alu instid0(VALU_DEP_1)
	v_cmpx_ne_u16_e32 0, v20
	s_cbranch_execz .LBB185_792
; %bb.785:                              ;   in Loop: Header=BB185_529 Depth=1
	v_mov_b64_e32 v[62:63], 0x80000000
	s_mov_b32 s24, exec_lo
	v_cmpx_ne_u16_e32 0x80, v20
	s_cbranch_execz .LBB185_791
; %bb.786:                              ;   in Loop: Header=BB185_529 Depth=1
	v_mov_b64_e32 v[62:63], 0x7f800001
	v_bfe_u32 v66, v64, 16, 7
	s_mov_b32 s25, exec_lo
	s_delay_alu instid0(VALU_DEP_1)
	v_cmpx_ne_u32_e32 0x7f, v66
	s_cbranch_execz .LBB185_790
; %bb.787:                              ;   in Loop: Header=BB185_529 Depth=1
	v_dual_lshrrev_b32 v62, 3, v66 :: v_dual_bitop2_b32 v20, 7, v65 bitop3:0x40
	s_mov_b32 s27, exec_lo
	v_cmpx_gt_u32_e32 8, v66
; %bb.788:                              ;   in Loop: Header=BB185_529 Depth=1
	s_delay_alu instid0(VALU_DEP_2) | instskip(NEXT) | instid1(VALU_DEP_1)
	v_clz_i32_u32_e32 v62, v20
	v_min_u32_e32 v62, 32, v62
	s_delay_alu instid0(VALU_DEP_1) | instskip(SKIP_1) | instid1(VALU_DEP_2)
	v_subrev_nc_u32_e32 v63, 28, v62
	v_sub_nc_u32_e32 v62, 29, v62
	v_lshlrev_b64_e32 v[66:67], v63, v[20:21]
	s_delay_alu instid0(VALU_DEP_1)
	v_and_b32_e32 v20, 7, v66
; %bb.789:                              ;   in Loop: Header=BB185_529 Depth=1
	s_or_b32 exec_lo, exec_lo, s27
	s_delay_alu instid0(VALU_DEP_1) | instskip(SKIP_1) | instid1(VALU_DEP_2)
	v_dual_lshlrev_b32 v63, 24, v65 :: v_dual_lshlrev_b32 v20, 20, v20
	v_lshl_add_u32 v62, v62, 23, 0x3c000000
	v_and_b32_e32 v63, 0x80000000, v63
	s_delay_alu instid0(VALU_DEP_1) | instskip(NEXT) | instid1(VALU_DEP_1)
	v_or3_b32 v20, v20, v63, v62
	v_mov_b64_e32 v[62:63], v[20:21]
.LBB185_790:                            ;   in Loop: Header=BB185_529 Depth=1
	s_or_b32 exec_lo, exec_lo, s25
.LBB185_791:                            ;   in Loop: Header=BB185_529 Depth=1
	s_delay_alu instid0(SALU_CYCLE_1)
	s_or_b32 exec_lo, exec_lo, s24
.LBB185_792:                            ;   in Loop: Header=BB185_529 Depth=1
	s_delay_alu instid0(SALU_CYCLE_1) | instskip(NEXT) | instid1(SALU_CYCLE_1)
	s_or_b32 exec_lo, exec_lo, s23
	s_mov_b32 s23, exec_lo
	v_cmpx_lt_u32_e32 0xffffff, v64
	s_cbranch_execz .LBB185_800
; %bb.793:                              ;   in Loop: Header=BB185_529 Depth=1
	v_mov_b64_e32 v[60:61], 0x8000000000000000
	v_lshrrev_b32_e32 v65, 24, v64
	s_mov_b32 s24, exec_lo
	s_delay_alu instid0(VALU_DEP_1)
	v_cmpx_ne_u32_e32 0x80, v65
	s_cbranch_execz .LBB185_799
; %bb.794:                              ;   in Loop: Header=BB185_529 Depth=1
	v_mov_b64_e32 v[60:61], 0x7f80000100000000
	v_bfe_u32 v64, v64, 24, 7
	s_mov_b32 s25, exec_lo
	s_delay_alu instid0(VALU_DEP_1)
	v_cmpx_ne_u32_e32 0x7f, v64
	s_cbranch_execz .LBB185_798
; %bb.795:                              ;   in Loop: Header=BB185_529 Depth=1
	v_dual_lshrrev_b32 v60, 3, v64 :: v_dual_bitop2_b32 v20, 7, v65 bitop3:0x40
	s_mov_b32 s27, exec_lo
	v_cmpx_gt_u32_e32 8, v64
; %bb.796:                              ;   in Loop: Header=BB185_529 Depth=1
	s_delay_alu instid0(VALU_DEP_2) | instskip(NEXT) | instid1(VALU_DEP_1)
	v_clz_i32_u32_e32 v60, v20
	v_min_u32_e32 v60, 32, v60
	s_delay_alu instid0(VALU_DEP_1) | instskip(NEXT) | instid1(VALU_DEP_1)
	v_subrev_nc_u32_e32 v61, 28, v60
	v_lshlrev_b64_e32 v[66:67], v61, v[20:21]
	s_delay_alu instid0(VALU_DEP_1)
	v_dual_sub_nc_u32 v60, 29, v60 :: v_dual_bitop2_b32 v20, 7, v66 bitop3:0x40
; %bb.797:                              ;   in Loop: Header=BB185_529 Depth=1
	s_or_b32 exec_lo, exec_lo, s27
	s_delay_alu instid0(VALU_DEP_1) | instskip(NEXT) | instid1(VALU_DEP_2)
	v_dual_lshlrev_b32 v61, 24, v65 :: v_dual_lshlrev_b32 v20, 20, v20
	v_lshl_add_u32 v60, v60, 23, 0x3c000000
	s_delay_alu instid0(VALU_DEP_2) | instskip(NEXT) | instid1(VALU_DEP_1)
	v_and_b32_e32 v61, 0x80000000, v61
	v_or3_b32 v61, v20, v61, v60
	v_mov_b32_e32 v60, v21
.LBB185_798:                            ;   in Loop: Header=BB185_529 Depth=1
	s_or_b32 exec_lo, exec_lo, s25
.LBB185_799:                            ;   in Loop: Header=BB185_529 Depth=1
	s_delay_alu instid0(SALU_CYCLE_1)
	s_or_b32 exec_lo, exec_lo, s24
.LBB185_800:                            ;   in Loop: Header=BB185_529 Depth=1
	s_delay_alu instid0(SALU_CYCLE_1)
	s_or_b32 exec_lo, exec_lo, s23
	v_or_b32_e32 v1, v1, v59
	v_or_b32_e32 v0, v0, v58
	v_mov_b64_e32 v[58:59], s[8:9]
	v_or_b32_e32 v63, v61, v63
	v_or_b32_e32 v62, v60, v62
	s_delay_alu instid0(VALU_DEP_3) | instskip(NEXT) | instid1(VALU_DEP_2)
	v_pk_mul_f32 v[60:61], v[58:59], v[0:1]
	v_pk_mul_f32 v[58:59], v[58:59], v[62:63]
	s_and_saveexec_b32 s23, vcc_lo
	s_cbranch_execz .LBB185_802
; %bb.801:                              ;   in Loop: Header=BB185_529 Depth=1
	v_cmp_gt_i32_e64 s0, s34, v51
	s_delay_alu instid0(VALU_DEP_1) | instskip(SKIP_1) | instid1(VALU_DEP_1)
	v_cndmask_b32_e64 v60, 0, v60, s0
	v_cmp_gt_i32_e64 s0, s34, v98
	v_cndmask_b32_e64 v61, 0, v61, s0
	v_cmp_gt_i32_e64 s0, s34, v89
	s_delay_alu instid0(VALU_DEP_1) | instskip(SKIP_1) | instid1(VALU_DEP_1)
	v_cndmask_b32_e64 v58, 0, v58, s0
	v_cmp_gt_i32_e64 s0, s34, v88
	v_cndmask_b32_e64 v59, 0, v59, s0
.LBB185_802:                            ;   in Loop: Header=BB185_529 Depth=1
	s_or_b32 exec_lo, exec_lo, s23
	global_load_b32 v68, v[30:31], off offset:1024
	v_mov_b64_e32 v[0:1], 0
	v_mov_b64_e32 v[62:63], 0
	s_mov_b32 s23, exec_lo
	s_wait_loadcnt 0x0
	v_and_b32_e32 v20, 0xff, v68
	s_delay_alu instid0(VALU_DEP_1)
	v_cmpx_ne_u16_e32 0, v20
	s_cbranch_execz .LBB185_810
; %bb.803:                              ;   in Loop: Header=BB185_529 Depth=1
	v_mov_b64_e32 v[62:63], 0x80000000
	s_mov_b32 s24, exec_lo
	v_cmpx_ne_u16_e32 0x80, v20
	s_cbranch_execz .LBB185_809
; %bb.804:                              ;   in Loop: Header=BB185_529 Depth=1
	v_mov_b64_e32 v[62:63], 0x7f800001
	v_and_b32_e32 v64, 0x7f, v68
	s_mov_b32 s25, exec_lo
	s_delay_alu instid0(VALU_DEP_1)
	v_cmpx_ne_u32_e32 0x7f, v64
	s_cbranch_execz .LBB185_808
; %bb.805:                              ;   in Loop: Header=BB185_529 Depth=1
	v_and_b32_e32 v20, 7, v68
	v_lshrrev_b32_e32 v62, 3, v64
	s_mov_b32 s27, exec_lo
	v_cmpx_gt_u32_e32 8, v64
; %bb.806:                              ;   in Loop: Header=BB185_529 Depth=1
	s_delay_alu instid0(VALU_DEP_3) | instskip(NEXT) | instid1(VALU_DEP_1)
	v_clz_i32_u32_e32 v62, v20
	v_min_u32_e32 v62, 32, v62
	s_delay_alu instid0(VALU_DEP_1) | instskip(NEXT) | instid1(VALU_DEP_1)
	v_subrev_nc_u32_e32 v63, 28, v62
	v_lshlrev_b64_e32 v[64:65], v63, v[20:21]
	s_delay_alu instid0(VALU_DEP_1)
	v_dual_sub_nc_u32 v62, 29, v62 :: v_dual_bitop2_b32 v20, 7, v64 bitop3:0x40
; %bb.807:                              ;   in Loop: Header=BB185_529 Depth=1
	s_or_b32 exec_lo, exec_lo, s27
	v_lshlrev_b32_e32 v63, 24, v68
	s_delay_alu instid0(VALU_DEP_2) | instskip(NEXT) | instid1(VALU_DEP_3)
	v_lshlrev_b32_e32 v20, 20, v20
	v_lshl_add_u32 v62, v62, 23, 0x3c000000
	s_delay_alu instid0(VALU_DEP_3) | instskip(NEXT) | instid1(VALU_DEP_1)
	v_and_b32_e32 v63, 0x80000000, v63
	v_or3_b32 v20, v20, v63, v62
	s_delay_alu instid0(VALU_DEP_1)
	v_mov_b64_e32 v[62:63], v[20:21]
.LBB185_808:                            ;   in Loop: Header=BB185_529 Depth=1
	s_or_b32 exec_lo, exec_lo, s25
.LBB185_809:                            ;   in Loop: Header=BB185_529 Depth=1
	s_delay_alu instid0(SALU_CYCLE_1)
	s_or_b32 exec_lo, exec_lo, s24
.LBB185_810:                            ;   in Loop: Header=BB185_529 Depth=1
	s_delay_alu instid0(SALU_CYCLE_1) | instskip(SKIP_2) | instid1(VALU_DEP_1)
	s_or_b32 exec_lo, exec_lo, s23
	v_lshrrev_b16 v20, 8, v68
	s_mov_b32 s23, exec_lo
	v_cmpx_ne_u16_e32 0, v20
	s_cbranch_execz .LBB185_818
; %bb.811:                              ;   in Loop: Header=BB185_529 Depth=1
	v_mov_b64_e32 v[0:1], 0x8000000000000000
	s_mov_b32 s24, exec_lo
	v_cmpx_ne_u16_e32 0x80, v20
	s_cbranch_execz .LBB185_817
; %bb.812:                              ;   in Loop: Header=BB185_529 Depth=1
	v_and_b32_e32 v20, 0xffff, v20
	v_mov_b64_e32 v[0:1], 0x7f80000100000000
	s_mov_b32 s25, exec_lo
	s_delay_alu instid0(VALU_DEP_2) | instskip(NEXT) | instid1(VALU_DEP_1)
	v_and_b32_e32 v64, 0x7f, v20
	v_cmpx_ne_u32_e32 0x7f, v64
	s_cbranch_execz .LBB185_816
; %bb.813:                              ;   in Loop: Header=BB185_529 Depth=1
	v_and_b32_e32 v20, 7, v20
	v_lshrrev_b32_e32 v0, 3, v64
	s_mov_b32 s27, exec_lo
	v_cmpx_gt_u32_e32 8, v64
; %bb.814:                              ;   in Loop: Header=BB185_529 Depth=1
	s_delay_alu instid0(VALU_DEP_3) | instskip(NEXT) | instid1(VALU_DEP_1)
	v_clz_i32_u32_e32 v0, v20
	v_min_u32_e32 v0, 32, v0
	s_delay_alu instid0(VALU_DEP_1) | instskip(SKIP_1) | instid1(VALU_DEP_2)
	v_subrev_nc_u32_e32 v1, 28, v0
	v_sub_nc_u32_e32 v0, 29, v0
	v_lshlrev_b64_e32 v[64:65], v1, v[20:21]
	s_delay_alu instid0(VALU_DEP_1)
	v_and_b32_e32 v20, 7, v64
; %bb.815:                              ;   in Loop: Header=BB185_529 Depth=1
	s_or_b32 exec_lo, exec_lo, s27
	v_lshlrev_b32_e32 v1, 16, v68
	s_delay_alu instid0(VALU_DEP_2) | instskip(SKIP_1) | instid1(VALU_DEP_3)
	v_lshlrev_b32_e32 v20, 20, v20
	v_lshl_add_u32 v0, v0, 23, 0x3c000000
	v_and_b32_e32 v1, 0x80000000, v1
	s_delay_alu instid0(VALU_DEP_1)
	v_or3_b32 v1, v20, v1, v0
	v_mov_b32_e32 v0, v21
.LBB185_816:                            ;   in Loop: Header=BB185_529 Depth=1
	s_or_b32 exec_lo, exec_lo, s25
.LBB185_817:                            ;   in Loop: Header=BB185_529 Depth=1
	s_delay_alu instid0(SALU_CYCLE_1)
	s_or_b32 exec_lo, exec_lo, s24
.LBB185_818:                            ;   in Loop: Header=BB185_529 Depth=1
	s_delay_alu instid0(SALU_CYCLE_1) | instskip(SKIP_4) | instid1(VALU_DEP_3)
	s_or_b32 exec_lo, exec_lo, s23
	v_lshrrev_b32_e32 v69, 16, v68
	v_mov_b64_e32 v[64:65], 0
	v_mov_b64_e32 v[66:67], 0
	s_mov_b32 s23, exec_lo
	v_and_b32_e32 v20, 0xff, v69
	s_delay_alu instid0(VALU_DEP_1)
	v_cmpx_ne_u16_e32 0, v20
	s_cbranch_execz .LBB185_826
; %bb.819:                              ;   in Loop: Header=BB185_529 Depth=1
	v_mov_b64_e32 v[66:67], 0x80000000
	s_mov_b32 s24, exec_lo
	v_cmpx_ne_u16_e32 0x80, v20
	s_cbranch_execz .LBB185_825
; %bb.820:                              ;   in Loop: Header=BB185_529 Depth=1
	v_mov_b64_e32 v[66:67], 0x7f800001
	v_bfe_u32 v70, v68, 16, 7
	s_mov_b32 s25, exec_lo
	s_delay_alu instid0(VALU_DEP_1)
	v_cmpx_ne_u32_e32 0x7f, v70
	s_cbranch_execz .LBB185_824
; %bb.821:                              ;   in Loop: Header=BB185_529 Depth=1
	v_dual_lshrrev_b32 v66, 3, v70 :: v_dual_bitop2_b32 v20, 7, v69 bitop3:0x40
	s_mov_b32 s27, exec_lo
	v_cmpx_gt_u32_e32 8, v70
; %bb.822:                              ;   in Loop: Header=BB185_529 Depth=1
	s_delay_alu instid0(VALU_DEP_2) | instskip(NEXT) | instid1(VALU_DEP_1)
	v_clz_i32_u32_e32 v66, v20
	v_min_u32_e32 v66, 32, v66
	s_delay_alu instid0(VALU_DEP_1) | instskip(SKIP_1) | instid1(VALU_DEP_2)
	v_subrev_nc_u32_e32 v67, 28, v66
	v_sub_nc_u32_e32 v66, 29, v66
	v_lshlrev_b64_e32 v[70:71], v67, v[20:21]
	s_delay_alu instid0(VALU_DEP_1)
	v_and_b32_e32 v20, 7, v70
; %bb.823:                              ;   in Loop: Header=BB185_529 Depth=1
	s_or_b32 exec_lo, exec_lo, s27
	s_delay_alu instid0(VALU_DEP_1) | instskip(SKIP_1) | instid1(VALU_DEP_2)
	v_dual_lshlrev_b32 v67, 24, v69 :: v_dual_lshlrev_b32 v20, 20, v20
	v_lshl_add_u32 v66, v66, 23, 0x3c000000
	v_and_b32_e32 v67, 0x80000000, v67
	s_delay_alu instid0(VALU_DEP_1) | instskip(NEXT) | instid1(VALU_DEP_1)
	v_or3_b32 v20, v20, v67, v66
	v_mov_b64_e32 v[66:67], v[20:21]
.LBB185_824:                            ;   in Loop: Header=BB185_529 Depth=1
	s_or_b32 exec_lo, exec_lo, s25
.LBB185_825:                            ;   in Loop: Header=BB185_529 Depth=1
	s_delay_alu instid0(SALU_CYCLE_1)
	s_or_b32 exec_lo, exec_lo, s24
.LBB185_826:                            ;   in Loop: Header=BB185_529 Depth=1
	s_delay_alu instid0(SALU_CYCLE_1) | instskip(NEXT) | instid1(SALU_CYCLE_1)
	s_or_b32 exec_lo, exec_lo, s23
	s_mov_b32 s23, exec_lo
	v_cmpx_lt_u32_e32 0xffffff, v68
	s_cbranch_execz .LBB185_834
; %bb.827:                              ;   in Loop: Header=BB185_529 Depth=1
	v_mov_b64_e32 v[64:65], 0x8000000000000000
	v_lshrrev_b32_e32 v69, 24, v68
	s_mov_b32 s24, exec_lo
	s_delay_alu instid0(VALU_DEP_1)
	v_cmpx_ne_u32_e32 0x80, v69
	s_cbranch_execz .LBB185_833
; %bb.828:                              ;   in Loop: Header=BB185_529 Depth=1
	v_mov_b64_e32 v[64:65], 0x7f80000100000000
	v_bfe_u32 v68, v68, 24, 7
	s_mov_b32 s25, exec_lo
	s_delay_alu instid0(VALU_DEP_1)
	v_cmpx_ne_u32_e32 0x7f, v68
	s_cbranch_execz .LBB185_832
; %bb.829:                              ;   in Loop: Header=BB185_529 Depth=1
	v_dual_lshrrev_b32 v64, 3, v68 :: v_dual_bitop2_b32 v20, 7, v69 bitop3:0x40
	s_mov_b32 s27, exec_lo
	v_cmpx_gt_u32_e32 8, v68
; %bb.830:                              ;   in Loop: Header=BB185_529 Depth=1
	s_delay_alu instid0(VALU_DEP_2) | instskip(NEXT) | instid1(VALU_DEP_1)
	v_clz_i32_u32_e32 v64, v20
	v_min_u32_e32 v64, 32, v64
	s_delay_alu instid0(VALU_DEP_1) | instskip(NEXT) | instid1(VALU_DEP_1)
	v_subrev_nc_u32_e32 v65, 28, v64
	v_lshlrev_b64_e32 v[70:71], v65, v[20:21]
	s_delay_alu instid0(VALU_DEP_1)
	v_dual_sub_nc_u32 v64, 29, v64 :: v_dual_bitop2_b32 v20, 7, v70 bitop3:0x40
; %bb.831:                              ;   in Loop: Header=BB185_529 Depth=1
	s_or_b32 exec_lo, exec_lo, s27
	s_delay_alu instid0(VALU_DEP_1) | instskip(NEXT) | instid1(VALU_DEP_2)
	v_dual_lshlrev_b32 v65, 24, v69 :: v_dual_lshlrev_b32 v20, 20, v20
	v_lshl_add_u32 v64, v64, 23, 0x3c000000
	s_delay_alu instid0(VALU_DEP_2) | instskip(NEXT) | instid1(VALU_DEP_1)
	v_and_b32_e32 v65, 0x80000000, v65
	v_or3_b32 v65, v20, v65, v64
	v_mov_b32_e32 v64, v21
.LBB185_832:                            ;   in Loop: Header=BB185_529 Depth=1
	s_or_b32 exec_lo, exec_lo, s25
.LBB185_833:                            ;   in Loop: Header=BB185_529 Depth=1
	s_delay_alu instid0(SALU_CYCLE_1)
	s_or_b32 exec_lo, exec_lo, s24
.LBB185_834:                            ;   in Loop: Header=BB185_529 Depth=1
	s_delay_alu instid0(SALU_CYCLE_1)
	s_or_b32 exec_lo, exec_lo, s23
	v_mov_b64_e32 v[68:69], s[8:9]
	v_or_b32_e32 v1, v1, v63
	v_or_b32_e32 v0, v0, v62
	;; [unrolled: 1-line block ×4, first 2 shown]
	s_delay_alu instid0(VALU_DEP_3) | instskip(NEXT) | instid1(VALU_DEP_2)
	v_pk_mul_f32 v[62:63], v[68:69], v[0:1]
	v_pk_mul_f32 v[0:1], v[68:69], v[64:65]
	s_and_saveexec_b32 s23, vcc_lo
	s_cbranch_execz .LBB185_836
; %bb.835:                              ;   in Loop: Header=BB185_529 Depth=1
	v_cmp_gt_i32_e64 s0, s34, v51
	s_delay_alu instid0(VALU_DEP_1) | instskip(SKIP_1) | instid1(VALU_DEP_1)
	v_cndmask_b32_e64 v62, 0, v62, s0
	v_cmp_gt_i32_e64 s0, s34, v98
	v_cndmask_b32_e64 v63, 0, v63, s0
	v_cmp_gt_i32_e64 s0, s34, v89
	s_delay_alu instid0(VALU_DEP_1) | instskip(SKIP_1) | instid1(VALU_DEP_1)
	v_cndmask_b32_e64 v0, 0, v0, s0
	v_cmp_gt_i32_e64 s0, s34, v88
	v_cndmask_b32_e64 v1, 0, v1, s0
.LBB185_836:                            ;   in Loop: Header=BB185_529 Depth=1
	s_or_b32 exec_lo, exec_lo, s23
	global_load_b32 v72, v[30:31], off offset:1152
	v_mov_b64_e32 v[64:65], 0
	v_mov_b64_e32 v[66:67], 0
	s_mov_b32 s23, exec_lo
	s_wait_loadcnt 0x0
	v_and_b32_e32 v20, 0xff, v72
	s_delay_alu instid0(VALU_DEP_1)
	v_cmpx_ne_u16_e32 0, v20
	s_cbranch_execz .LBB185_844
; %bb.837:                              ;   in Loop: Header=BB185_529 Depth=1
	v_mov_b64_e32 v[66:67], 0x80000000
	s_mov_b32 s24, exec_lo
	v_cmpx_ne_u16_e32 0x80, v20
	s_cbranch_execz .LBB185_843
; %bb.838:                              ;   in Loop: Header=BB185_529 Depth=1
	v_mov_b64_e32 v[66:67], 0x7f800001
	v_and_b32_e32 v68, 0x7f, v72
	s_mov_b32 s25, exec_lo
	s_delay_alu instid0(VALU_DEP_1)
	v_cmpx_ne_u32_e32 0x7f, v68
	s_cbranch_execz .LBB185_842
; %bb.839:                              ;   in Loop: Header=BB185_529 Depth=1
	v_and_b32_e32 v20, 7, v72
	v_lshrrev_b32_e32 v66, 3, v68
	s_mov_b32 s27, exec_lo
	v_cmpx_gt_u32_e32 8, v68
; %bb.840:                              ;   in Loop: Header=BB185_529 Depth=1
	s_delay_alu instid0(VALU_DEP_3) | instskip(NEXT) | instid1(VALU_DEP_1)
	v_clz_i32_u32_e32 v66, v20
	v_min_u32_e32 v66, 32, v66
	s_delay_alu instid0(VALU_DEP_1) | instskip(NEXT) | instid1(VALU_DEP_1)
	v_subrev_nc_u32_e32 v67, 28, v66
	v_lshlrev_b64_e32 v[68:69], v67, v[20:21]
	s_delay_alu instid0(VALU_DEP_1)
	v_dual_sub_nc_u32 v66, 29, v66 :: v_dual_bitop2_b32 v20, 7, v68 bitop3:0x40
; %bb.841:                              ;   in Loop: Header=BB185_529 Depth=1
	s_or_b32 exec_lo, exec_lo, s27
	v_lshlrev_b32_e32 v67, 24, v72
	s_delay_alu instid0(VALU_DEP_2) | instskip(NEXT) | instid1(VALU_DEP_3)
	v_lshlrev_b32_e32 v20, 20, v20
	v_lshl_add_u32 v66, v66, 23, 0x3c000000
	s_delay_alu instid0(VALU_DEP_3) | instskip(NEXT) | instid1(VALU_DEP_1)
	v_and_b32_e32 v67, 0x80000000, v67
	v_or3_b32 v20, v20, v67, v66
	s_delay_alu instid0(VALU_DEP_1)
	v_mov_b64_e32 v[66:67], v[20:21]
.LBB185_842:                            ;   in Loop: Header=BB185_529 Depth=1
	s_or_b32 exec_lo, exec_lo, s25
.LBB185_843:                            ;   in Loop: Header=BB185_529 Depth=1
	s_delay_alu instid0(SALU_CYCLE_1)
	s_or_b32 exec_lo, exec_lo, s24
.LBB185_844:                            ;   in Loop: Header=BB185_529 Depth=1
	s_delay_alu instid0(SALU_CYCLE_1) | instskip(SKIP_2) | instid1(VALU_DEP_1)
	s_or_b32 exec_lo, exec_lo, s23
	v_lshrrev_b16 v20, 8, v72
	s_mov_b32 s23, exec_lo
	v_cmpx_ne_u16_e32 0, v20
	s_cbranch_execz .LBB185_852
; %bb.845:                              ;   in Loop: Header=BB185_529 Depth=1
	v_mov_b64_e32 v[64:65], 0x8000000000000000
	s_mov_b32 s24, exec_lo
	v_cmpx_ne_u16_e32 0x80, v20
	s_cbranch_execz .LBB185_851
; %bb.846:                              ;   in Loop: Header=BB185_529 Depth=1
	v_and_b32_e32 v20, 0xffff, v20
	v_mov_b64_e32 v[64:65], 0x7f80000100000000
	s_mov_b32 s25, exec_lo
	s_delay_alu instid0(VALU_DEP_2) | instskip(NEXT) | instid1(VALU_DEP_1)
	v_and_b32_e32 v68, 0x7f, v20
	v_cmpx_ne_u32_e32 0x7f, v68
	s_cbranch_execz .LBB185_850
; %bb.847:                              ;   in Loop: Header=BB185_529 Depth=1
	v_and_b32_e32 v20, 7, v20
	v_lshrrev_b32_e32 v64, 3, v68
	s_mov_b32 s27, exec_lo
	v_cmpx_gt_u32_e32 8, v68
; %bb.848:                              ;   in Loop: Header=BB185_529 Depth=1
	s_delay_alu instid0(VALU_DEP_3) | instskip(NEXT) | instid1(VALU_DEP_1)
	v_clz_i32_u32_e32 v64, v20
	v_min_u32_e32 v64, 32, v64
	s_delay_alu instid0(VALU_DEP_1) | instskip(SKIP_1) | instid1(VALU_DEP_2)
	v_subrev_nc_u32_e32 v65, 28, v64
	v_sub_nc_u32_e32 v64, 29, v64
	v_lshlrev_b64_e32 v[68:69], v65, v[20:21]
	s_delay_alu instid0(VALU_DEP_1)
	v_and_b32_e32 v20, 7, v68
; %bb.849:                              ;   in Loop: Header=BB185_529 Depth=1
	s_or_b32 exec_lo, exec_lo, s27
	v_lshlrev_b32_e32 v65, 16, v72
	s_delay_alu instid0(VALU_DEP_2) | instskip(SKIP_1) | instid1(VALU_DEP_3)
	v_lshlrev_b32_e32 v20, 20, v20
	v_lshl_add_u32 v64, v64, 23, 0x3c000000
	v_and_b32_e32 v65, 0x80000000, v65
	s_delay_alu instid0(VALU_DEP_1)
	v_or3_b32 v65, v20, v65, v64
	v_mov_b32_e32 v64, v21
.LBB185_850:                            ;   in Loop: Header=BB185_529 Depth=1
	s_or_b32 exec_lo, exec_lo, s25
.LBB185_851:                            ;   in Loop: Header=BB185_529 Depth=1
	s_delay_alu instid0(SALU_CYCLE_1)
	s_or_b32 exec_lo, exec_lo, s24
.LBB185_852:                            ;   in Loop: Header=BB185_529 Depth=1
	s_delay_alu instid0(SALU_CYCLE_1) | instskip(SKIP_4) | instid1(VALU_DEP_3)
	s_or_b32 exec_lo, exec_lo, s23
	v_lshrrev_b32_e32 v73, 16, v72
	v_mov_b64_e32 v[68:69], 0
	v_mov_b64_e32 v[70:71], 0
	s_mov_b32 s23, exec_lo
	v_and_b32_e32 v20, 0xff, v73
	s_delay_alu instid0(VALU_DEP_1)
	v_cmpx_ne_u16_e32 0, v20
	s_cbranch_execz .LBB185_860
; %bb.853:                              ;   in Loop: Header=BB185_529 Depth=1
	v_mov_b64_e32 v[70:71], 0x80000000
	s_mov_b32 s24, exec_lo
	v_cmpx_ne_u16_e32 0x80, v20
	s_cbranch_execz .LBB185_859
; %bb.854:                              ;   in Loop: Header=BB185_529 Depth=1
	v_mov_b64_e32 v[70:71], 0x7f800001
	v_bfe_u32 v74, v72, 16, 7
	s_mov_b32 s25, exec_lo
	s_delay_alu instid0(VALU_DEP_1)
	v_cmpx_ne_u32_e32 0x7f, v74
	s_cbranch_execz .LBB185_858
; %bb.855:                              ;   in Loop: Header=BB185_529 Depth=1
	v_dual_lshrrev_b32 v70, 3, v74 :: v_dual_bitop2_b32 v20, 7, v73 bitop3:0x40
	s_mov_b32 s27, exec_lo
	v_cmpx_gt_u32_e32 8, v74
; %bb.856:                              ;   in Loop: Header=BB185_529 Depth=1
	s_delay_alu instid0(VALU_DEP_2) | instskip(NEXT) | instid1(VALU_DEP_1)
	v_clz_i32_u32_e32 v70, v20
	v_min_u32_e32 v70, 32, v70
	s_delay_alu instid0(VALU_DEP_1) | instskip(SKIP_1) | instid1(VALU_DEP_2)
	v_subrev_nc_u32_e32 v71, 28, v70
	v_sub_nc_u32_e32 v70, 29, v70
	v_lshlrev_b64_e32 v[74:75], v71, v[20:21]
	s_delay_alu instid0(VALU_DEP_1)
	v_and_b32_e32 v20, 7, v74
; %bb.857:                              ;   in Loop: Header=BB185_529 Depth=1
	s_or_b32 exec_lo, exec_lo, s27
	s_delay_alu instid0(VALU_DEP_1) | instskip(SKIP_1) | instid1(VALU_DEP_2)
	v_dual_lshlrev_b32 v71, 24, v73 :: v_dual_lshlrev_b32 v20, 20, v20
	v_lshl_add_u32 v70, v70, 23, 0x3c000000
	v_and_b32_e32 v71, 0x80000000, v71
	s_delay_alu instid0(VALU_DEP_1) | instskip(NEXT) | instid1(VALU_DEP_1)
	v_or3_b32 v20, v20, v71, v70
	v_mov_b64_e32 v[70:71], v[20:21]
.LBB185_858:                            ;   in Loop: Header=BB185_529 Depth=1
	s_or_b32 exec_lo, exec_lo, s25
.LBB185_859:                            ;   in Loop: Header=BB185_529 Depth=1
	s_delay_alu instid0(SALU_CYCLE_1)
	s_or_b32 exec_lo, exec_lo, s24
.LBB185_860:                            ;   in Loop: Header=BB185_529 Depth=1
	s_delay_alu instid0(SALU_CYCLE_1) | instskip(NEXT) | instid1(SALU_CYCLE_1)
	s_or_b32 exec_lo, exec_lo, s23
	s_mov_b32 s23, exec_lo
	v_cmpx_lt_u32_e32 0xffffff, v72
	s_cbranch_execz .LBB185_868
; %bb.861:                              ;   in Loop: Header=BB185_529 Depth=1
	v_mov_b64_e32 v[68:69], 0x8000000000000000
	v_lshrrev_b32_e32 v73, 24, v72
	s_mov_b32 s24, exec_lo
	s_delay_alu instid0(VALU_DEP_1)
	v_cmpx_ne_u32_e32 0x80, v73
	s_cbranch_execz .LBB185_867
; %bb.862:                              ;   in Loop: Header=BB185_529 Depth=1
	v_mov_b64_e32 v[68:69], 0x7f80000100000000
	v_bfe_u32 v72, v72, 24, 7
	s_mov_b32 s25, exec_lo
	s_delay_alu instid0(VALU_DEP_1)
	v_cmpx_ne_u32_e32 0x7f, v72
	s_cbranch_execz .LBB185_866
; %bb.863:                              ;   in Loop: Header=BB185_529 Depth=1
	v_dual_lshrrev_b32 v68, 3, v72 :: v_dual_bitop2_b32 v20, 7, v73 bitop3:0x40
	s_mov_b32 s27, exec_lo
	v_cmpx_gt_u32_e32 8, v72
; %bb.864:                              ;   in Loop: Header=BB185_529 Depth=1
	s_delay_alu instid0(VALU_DEP_2) | instskip(NEXT) | instid1(VALU_DEP_1)
	v_clz_i32_u32_e32 v68, v20
	v_min_u32_e32 v68, 32, v68
	s_delay_alu instid0(VALU_DEP_1) | instskip(NEXT) | instid1(VALU_DEP_1)
	v_subrev_nc_u32_e32 v69, 28, v68
	v_lshlrev_b64_e32 v[74:75], v69, v[20:21]
	s_delay_alu instid0(VALU_DEP_1)
	v_dual_sub_nc_u32 v68, 29, v68 :: v_dual_bitop2_b32 v20, 7, v74 bitop3:0x40
; %bb.865:                              ;   in Loop: Header=BB185_529 Depth=1
	s_or_b32 exec_lo, exec_lo, s27
	s_delay_alu instid0(VALU_DEP_1) | instskip(NEXT) | instid1(VALU_DEP_2)
	v_dual_lshlrev_b32 v69, 24, v73 :: v_dual_lshlrev_b32 v20, 20, v20
	v_lshl_add_u32 v68, v68, 23, 0x3c000000
	s_delay_alu instid0(VALU_DEP_2) | instskip(NEXT) | instid1(VALU_DEP_1)
	v_and_b32_e32 v69, 0x80000000, v69
	v_or3_b32 v69, v20, v69, v68
	v_mov_b32_e32 v68, v21
.LBB185_866:                            ;   in Loop: Header=BB185_529 Depth=1
	s_or_b32 exec_lo, exec_lo, s25
.LBB185_867:                            ;   in Loop: Header=BB185_529 Depth=1
	s_delay_alu instid0(SALU_CYCLE_1)
	s_or_b32 exec_lo, exec_lo, s24
.LBB185_868:                            ;   in Loop: Header=BB185_529 Depth=1
	s_delay_alu instid0(SALU_CYCLE_1)
	s_or_b32 exec_lo, exec_lo, s23
	v_mov_b64_e32 v[72:73], s[8:9]
	v_or_b32_e32 v65, v65, v67
	v_or_b32_e32 v64, v64, v66
	;; [unrolled: 1-line block ×4, first 2 shown]
	s_delay_alu instid0(VALU_DEP_3) | instskip(NEXT) | instid1(VALU_DEP_2)
	v_pk_mul_f32 v[66:67], v[72:73], v[64:65]
	v_pk_mul_f32 v[64:65], v[72:73], v[68:69]
	s_and_saveexec_b32 s23, vcc_lo
	s_cbranch_execz .LBB185_870
; %bb.869:                              ;   in Loop: Header=BB185_529 Depth=1
	v_cmp_gt_i32_e64 s0, s34, v51
	s_delay_alu instid0(VALU_DEP_1) | instskip(SKIP_1) | instid1(VALU_DEP_1)
	v_cndmask_b32_e64 v66, 0, v66, s0
	v_cmp_gt_i32_e64 s0, s34, v98
	v_cndmask_b32_e64 v67, 0, v67, s0
	v_cmp_gt_i32_e64 s0, s34, v89
	s_delay_alu instid0(VALU_DEP_1) | instskip(SKIP_1) | instid1(VALU_DEP_1)
	v_cndmask_b32_e64 v64, 0, v64, s0
	v_cmp_gt_i32_e64 s0, s34, v88
	v_cndmask_b32_e64 v65, 0, v65, s0
.LBB185_870:                            ;   in Loop: Header=BB185_529 Depth=1
	s_or_b32 exec_lo, exec_lo, s23
	global_load_b32 v76, v[30:31], off offset:1280
	v_mov_b64_e32 v[68:69], 0
	v_mov_b64_e32 v[70:71], 0
	s_mov_b32 s23, exec_lo
	s_wait_loadcnt 0x0
	v_and_b32_e32 v20, 0xff, v76
	s_delay_alu instid0(VALU_DEP_1)
	v_cmpx_ne_u16_e32 0, v20
	s_cbranch_execz .LBB185_878
; %bb.871:                              ;   in Loop: Header=BB185_529 Depth=1
	v_mov_b64_e32 v[70:71], 0x80000000
	s_mov_b32 s24, exec_lo
	v_cmpx_ne_u16_e32 0x80, v20
	s_cbranch_execz .LBB185_877
; %bb.872:                              ;   in Loop: Header=BB185_529 Depth=1
	v_mov_b64_e32 v[70:71], 0x7f800001
	v_and_b32_e32 v72, 0x7f, v76
	s_mov_b32 s25, exec_lo
	s_delay_alu instid0(VALU_DEP_1)
	v_cmpx_ne_u32_e32 0x7f, v72
	s_cbranch_execz .LBB185_876
; %bb.873:                              ;   in Loop: Header=BB185_529 Depth=1
	v_and_b32_e32 v20, 7, v76
	v_lshrrev_b32_e32 v70, 3, v72
	s_mov_b32 s27, exec_lo
	v_cmpx_gt_u32_e32 8, v72
; %bb.874:                              ;   in Loop: Header=BB185_529 Depth=1
	s_delay_alu instid0(VALU_DEP_3) | instskip(NEXT) | instid1(VALU_DEP_1)
	v_clz_i32_u32_e32 v70, v20
	v_min_u32_e32 v70, 32, v70
	s_delay_alu instid0(VALU_DEP_1) | instskip(NEXT) | instid1(VALU_DEP_1)
	v_subrev_nc_u32_e32 v71, 28, v70
	v_lshlrev_b64_e32 v[72:73], v71, v[20:21]
	s_delay_alu instid0(VALU_DEP_1)
	v_dual_sub_nc_u32 v70, 29, v70 :: v_dual_bitop2_b32 v20, 7, v72 bitop3:0x40
; %bb.875:                              ;   in Loop: Header=BB185_529 Depth=1
	s_or_b32 exec_lo, exec_lo, s27
	v_lshlrev_b32_e32 v71, 24, v76
	s_delay_alu instid0(VALU_DEP_2) | instskip(NEXT) | instid1(VALU_DEP_3)
	v_lshlrev_b32_e32 v20, 20, v20
	v_lshl_add_u32 v70, v70, 23, 0x3c000000
	s_delay_alu instid0(VALU_DEP_3) | instskip(NEXT) | instid1(VALU_DEP_1)
	v_and_b32_e32 v71, 0x80000000, v71
	v_or3_b32 v20, v20, v71, v70
	s_delay_alu instid0(VALU_DEP_1)
	v_mov_b64_e32 v[70:71], v[20:21]
.LBB185_876:                            ;   in Loop: Header=BB185_529 Depth=1
	s_or_b32 exec_lo, exec_lo, s25
.LBB185_877:                            ;   in Loop: Header=BB185_529 Depth=1
	s_delay_alu instid0(SALU_CYCLE_1)
	s_or_b32 exec_lo, exec_lo, s24
.LBB185_878:                            ;   in Loop: Header=BB185_529 Depth=1
	s_delay_alu instid0(SALU_CYCLE_1) | instskip(SKIP_2) | instid1(VALU_DEP_1)
	s_or_b32 exec_lo, exec_lo, s23
	v_lshrrev_b16 v20, 8, v76
	s_mov_b32 s23, exec_lo
	v_cmpx_ne_u16_e32 0, v20
	s_cbranch_execz .LBB185_886
; %bb.879:                              ;   in Loop: Header=BB185_529 Depth=1
	v_mov_b64_e32 v[68:69], 0x8000000000000000
	s_mov_b32 s24, exec_lo
	v_cmpx_ne_u16_e32 0x80, v20
	s_cbranch_execz .LBB185_885
; %bb.880:                              ;   in Loop: Header=BB185_529 Depth=1
	v_and_b32_e32 v20, 0xffff, v20
	v_mov_b64_e32 v[68:69], 0x7f80000100000000
	s_mov_b32 s25, exec_lo
	s_delay_alu instid0(VALU_DEP_2) | instskip(NEXT) | instid1(VALU_DEP_1)
	v_and_b32_e32 v72, 0x7f, v20
	v_cmpx_ne_u32_e32 0x7f, v72
	s_cbranch_execz .LBB185_884
; %bb.881:                              ;   in Loop: Header=BB185_529 Depth=1
	v_and_b32_e32 v20, 7, v20
	v_lshrrev_b32_e32 v68, 3, v72
	s_mov_b32 s27, exec_lo
	v_cmpx_gt_u32_e32 8, v72
; %bb.882:                              ;   in Loop: Header=BB185_529 Depth=1
	s_delay_alu instid0(VALU_DEP_3) | instskip(NEXT) | instid1(VALU_DEP_1)
	v_clz_i32_u32_e32 v68, v20
	v_min_u32_e32 v68, 32, v68
	s_delay_alu instid0(VALU_DEP_1) | instskip(SKIP_1) | instid1(VALU_DEP_2)
	v_subrev_nc_u32_e32 v69, 28, v68
	v_sub_nc_u32_e32 v68, 29, v68
	v_lshlrev_b64_e32 v[72:73], v69, v[20:21]
	s_delay_alu instid0(VALU_DEP_1)
	v_and_b32_e32 v20, 7, v72
; %bb.883:                              ;   in Loop: Header=BB185_529 Depth=1
	s_or_b32 exec_lo, exec_lo, s27
	v_lshlrev_b32_e32 v69, 16, v76
	s_delay_alu instid0(VALU_DEP_2) | instskip(SKIP_1) | instid1(VALU_DEP_3)
	v_lshlrev_b32_e32 v20, 20, v20
	v_lshl_add_u32 v68, v68, 23, 0x3c000000
	v_and_b32_e32 v69, 0x80000000, v69
	s_delay_alu instid0(VALU_DEP_1)
	v_or3_b32 v69, v20, v69, v68
	v_mov_b32_e32 v68, v21
.LBB185_884:                            ;   in Loop: Header=BB185_529 Depth=1
	s_or_b32 exec_lo, exec_lo, s25
.LBB185_885:                            ;   in Loop: Header=BB185_529 Depth=1
	s_delay_alu instid0(SALU_CYCLE_1)
	s_or_b32 exec_lo, exec_lo, s24
.LBB185_886:                            ;   in Loop: Header=BB185_529 Depth=1
	s_delay_alu instid0(SALU_CYCLE_1) | instskip(SKIP_4) | instid1(VALU_DEP_3)
	s_or_b32 exec_lo, exec_lo, s23
	v_lshrrev_b32_e32 v77, 16, v76
	v_mov_b64_e32 v[72:73], 0
	v_mov_b64_e32 v[74:75], 0
	s_mov_b32 s23, exec_lo
	v_and_b32_e32 v20, 0xff, v77
	s_delay_alu instid0(VALU_DEP_1)
	v_cmpx_ne_u16_e32 0, v20
	s_cbranch_execz .LBB185_894
; %bb.887:                              ;   in Loop: Header=BB185_529 Depth=1
	v_mov_b64_e32 v[74:75], 0x80000000
	s_mov_b32 s24, exec_lo
	v_cmpx_ne_u16_e32 0x80, v20
	s_cbranch_execz .LBB185_893
; %bb.888:                              ;   in Loop: Header=BB185_529 Depth=1
	v_mov_b64_e32 v[74:75], 0x7f800001
	v_bfe_u32 v78, v76, 16, 7
	s_mov_b32 s25, exec_lo
	s_delay_alu instid0(VALU_DEP_1)
	v_cmpx_ne_u32_e32 0x7f, v78
	s_cbranch_execz .LBB185_892
; %bb.889:                              ;   in Loop: Header=BB185_529 Depth=1
	v_dual_lshrrev_b32 v74, 3, v78 :: v_dual_bitop2_b32 v20, 7, v77 bitop3:0x40
	s_mov_b32 s27, exec_lo
	v_cmpx_gt_u32_e32 8, v78
; %bb.890:                              ;   in Loop: Header=BB185_529 Depth=1
	s_delay_alu instid0(VALU_DEP_2) | instskip(NEXT) | instid1(VALU_DEP_1)
	v_clz_i32_u32_e32 v74, v20
	v_min_u32_e32 v74, 32, v74
	s_delay_alu instid0(VALU_DEP_1) | instskip(SKIP_1) | instid1(VALU_DEP_2)
	v_subrev_nc_u32_e32 v75, 28, v74
	v_sub_nc_u32_e32 v74, 29, v74
	v_lshlrev_b64_e32 v[78:79], v75, v[20:21]
	s_delay_alu instid0(VALU_DEP_1)
	v_and_b32_e32 v20, 7, v78
; %bb.891:                              ;   in Loop: Header=BB185_529 Depth=1
	s_or_b32 exec_lo, exec_lo, s27
	s_delay_alu instid0(VALU_DEP_1) | instskip(SKIP_1) | instid1(VALU_DEP_2)
	v_dual_lshlrev_b32 v75, 24, v77 :: v_dual_lshlrev_b32 v20, 20, v20
	v_lshl_add_u32 v74, v74, 23, 0x3c000000
	v_and_b32_e32 v75, 0x80000000, v75
	s_delay_alu instid0(VALU_DEP_1) | instskip(NEXT) | instid1(VALU_DEP_1)
	v_or3_b32 v20, v20, v75, v74
	v_mov_b64_e32 v[74:75], v[20:21]
.LBB185_892:                            ;   in Loop: Header=BB185_529 Depth=1
	s_or_b32 exec_lo, exec_lo, s25
.LBB185_893:                            ;   in Loop: Header=BB185_529 Depth=1
	s_delay_alu instid0(SALU_CYCLE_1)
	s_or_b32 exec_lo, exec_lo, s24
.LBB185_894:                            ;   in Loop: Header=BB185_529 Depth=1
	s_delay_alu instid0(SALU_CYCLE_1) | instskip(NEXT) | instid1(SALU_CYCLE_1)
	s_or_b32 exec_lo, exec_lo, s23
	s_mov_b32 s23, exec_lo
	v_cmpx_lt_u32_e32 0xffffff, v76
	s_cbranch_execz .LBB185_902
; %bb.895:                              ;   in Loop: Header=BB185_529 Depth=1
	v_mov_b64_e32 v[72:73], 0x8000000000000000
	v_lshrrev_b32_e32 v77, 24, v76
	s_mov_b32 s24, exec_lo
	s_delay_alu instid0(VALU_DEP_1)
	v_cmpx_ne_u32_e32 0x80, v77
	s_cbranch_execz .LBB185_901
; %bb.896:                              ;   in Loop: Header=BB185_529 Depth=1
	v_mov_b64_e32 v[72:73], 0x7f80000100000000
	v_bfe_u32 v76, v76, 24, 7
	s_mov_b32 s25, exec_lo
	s_delay_alu instid0(VALU_DEP_1)
	v_cmpx_ne_u32_e32 0x7f, v76
	s_cbranch_execz .LBB185_900
; %bb.897:                              ;   in Loop: Header=BB185_529 Depth=1
	v_dual_lshrrev_b32 v72, 3, v76 :: v_dual_bitop2_b32 v20, 7, v77 bitop3:0x40
	s_mov_b32 s27, exec_lo
	v_cmpx_gt_u32_e32 8, v76
; %bb.898:                              ;   in Loop: Header=BB185_529 Depth=1
	s_delay_alu instid0(VALU_DEP_2) | instskip(NEXT) | instid1(VALU_DEP_1)
	v_clz_i32_u32_e32 v72, v20
	v_min_u32_e32 v72, 32, v72
	s_delay_alu instid0(VALU_DEP_1) | instskip(NEXT) | instid1(VALU_DEP_1)
	v_subrev_nc_u32_e32 v73, 28, v72
	v_lshlrev_b64_e32 v[78:79], v73, v[20:21]
	s_delay_alu instid0(VALU_DEP_1)
	v_dual_sub_nc_u32 v72, 29, v72 :: v_dual_bitop2_b32 v20, 7, v78 bitop3:0x40
; %bb.899:                              ;   in Loop: Header=BB185_529 Depth=1
	s_or_b32 exec_lo, exec_lo, s27
	s_delay_alu instid0(VALU_DEP_1) | instskip(NEXT) | instid1(VALU_DEP_2)
	v_dual_lshlrev_b32 v73, 24, v77 :: v_dual_lshlrev_b32 v20, 20, v20
	v_lshl_add_u32 v72, v72, 23, 0x3c000000
	s_delay_alu instid0(VALU_DEP_2) | instskip(NEXT) | instid1(VALU_DEP_1)
	v_and_b32_e32 v73, 0x80000000, v73
	v_or3_b32 v73, v20, v73, v72
	v_mov_b32_e32 v72, v21
.LBB185_900:                            ;   in Loop: Header=BB185_529 Depth=1
	s_or_b32 exec_lo, exec_lo, s25
.LBB185_901:                            ;   in Loop: Header=BB185_529 Depth=1
	s_delay_alu instid0(SALU_CYCLE_1)
	s_or_b32 exec_lo, exec_lo, s24
.LBB185_902:                            ;   in Loop: Header=BB185_529 Depth=1
	s_delay_alu instid0(SALU_CYCLE_1)
	s_or_b32 exec_lo, exec_lo, s23
	v_mov_b64_e32 v[76:77], s[8:9]
	v_or_b32_e32 v69, v69, v71
	v_or_b32_e32 v68, v68, v70
	;; [unrolled: 1-line block ×4, first 2 shown]
	s_delay_alu instid0(VALU_DEP_3) | instskip(NEXT) | instid1(VALU_DEP_2)
	v_pk_mul_f32 v[70:71], v[76:77], v[68:69]
	v_pk_mul_f32 v[68:69], v[76:77], v[72:73]
	s_and_saveexec_b32 s23, vcc_lo
	s_cbranch_execz .LBB185_904
; %bb.903:                              ;   in Loop: Header=BB185_529 Depth=1
	v_cmp_gt_i32_e64 s0, s34, v51
	s_delay_alu instid0(VALU_DEP_1) | instskip(SKIP_1) | instid1(VALU_DEP_1)
	v_cndmask_b32_e64 v70, 0, v70, s0
	v_cmp_gt_i32_e64 s0, s34, v98
	v_cndmask_b32_e64 v71, 0, v71, s0
	v_cmp_gt_i32_e64 s0, s34, v89
	s_delay_alu instid0(VALU_DEP_1) | instskip(SKIP_1) | instid1(VALU_DEP_1)
	v_cndmask_b32_e64 v68, 0, v68, s0
	v_cmp_gt_i32_e64 s0, s34, v88
	v_cndmask_b32_e64 v69, 0, v69, s0
.LBB185_904:                            ;   in Loop: Header=BB185_529 Depth=1
	s_or_b32 exec_lo, exec_lo, s23
	global_load_b32 v80, v[30:31], off offset:1408
	v_mov_b64_e32 v[72:73], 0
	v_mov_b64_e32 v[74:75], 0
	s_mov_b32 s23, exec_lo
	s_wait_loadcnt 0x0
	v_and_b32_e32 v20, 0xff, v80
	s_delay_alu instid0(VALU_DEP_1)
	v_cmpx_ne_u16_e32 0, v20
	s_cbranch_execz .LBB185_912
; %bb.905:                              ;   in Loop: Header=BB185_529 Depth=1
	v_mov_b64_e32 v[74:75], 0x80000000
	s_mov_b32 s24, exec_lo
	v_cmpx_ne_u16_e32 0x80, v20
	s_cbranch_execz .LBB185_911
; %bb.906:                              ;   in Loop: Header=BB185_529 Depth=1
	v_mov_b64_e32 v[74:75], 0x7f800001
	v_and_b32_e32 v76, 0x7f, v80
	s_mov_b32 s25, exec_lo
	s_delay_alu instid0(VALU_DEP_1)
	v_cmpx_ne_u32_e32 0x7f, v76
	s_cbranch_execz .LBB185_910
; %bb.907:                              ;   in Loop: Header=BB185_529 Depth=1
	v_and_b32_e32 v20, 7, v80
	v_lshrrev_b32_e32 v74, 3, v76
	s_mov_b32 s27, exec_lo
	v_cmpx_gt_u32_e32 8, v76
; %bb.908:                              ;   in Loop: Header=BB185_529 Depth=1
	s_delay_alu instid0(VALU_DEP_3) | instskip(NEXT) | instid1(VALU_DEP_1)
	v_clz_i32_u32_e32 v74, v20
	v_min_u32_e32 v74, 32, v74
	s_delay_alu instid0(VALU_DEP_1) | instskip(NEXT) | instid1(VALU_DEP_1)
	v_subrev_nc_u32_e32 v75, 28, v74
	v_lshlrev_b64_e32 v[76:77], v75, v[20:21]
	s_delay_alu instid0(VALU_DEP_1)
	v_dual_sub_nc_u32 v74, 29, v74 :: v_dual_bitop2_b32 v20, 7, v76 bitop3:0x40
; %bb.909:                              ;   in Loop: Header=BB185_529 Depth=1
	s_or_b32 exec_lo, exec_lo, s27
	v_lshlrev_b32_e32 v75, 24, v80
	s_delay_alu instid0(VALU_DEP_2) | instskip(NEXT) | instid1(VALU_DEP_3)
	v_lshlrev_b32_e32 v20, 20, v20
	v_lshl_add_u32 v74, v74, 23, 0x3c000000
	s_delay_alu instid0(VALU_DEP_3) | instskip(NEXT) | instid1(VALU_DEP_1)
	v_and_b32_e32 v75, 0x80000000, v75
	v_or3_b32 v20, v20, v75, v74
	s_delay_alu instid0(VALU_DEP_1)
	v_mov_b64_e32 v[74:75], v[20:21]
.LBB185_910:                            ;   in Loop: Header=BB185_529 Depth=1
	s_or_b32 exec_lo, exec_lo, s25
.LBB185_911:                            ;   in Loop: Header=BB185_529 Depth=1
	s_delay_alu instid0(SALU_CYCLE_1)
	s_or_b32 exec_lo, exec_lo, s24
.LBB185_912:                            ;   in Loop: Header=BB185_529 Depth=1
	s_delay_alu instid0(SALU_CYCLE_1) | instskip(SKIP_2) | instid1(VALU_DEP_1)
	s_or_b32 exec_lo, exec_lo, s23
	v_lshrrev_b16 v20, 8, v80
	s_mov_b32 s23, exec_lo
	v_cmpx_ne_u16_e32 0, v20
	s_cbranch_execz .LBB185_920
; %bb.913:                              ;   in Loop: Header=BB185_529 Depth=1
	v_mov_b64_e32 v[72:73], 0x8000000000000000
	s_mov_b32 s24, exec_lo
	v_cmpx_ne_u16_e32 0x80, v20
	s_cbranch_execz .LBB185_919
; %bb.914:                              ;   in Loop: Header=BB185_529 Depth=1
	v_and_b32_e32 v20, 0xffff, v20
	v_mov_b64_e32 v[72:73], 0x7f80000100000000
	s_mov_b32 s25, exec_lo
	s_delay_alu instid0(VALU_DEP_2) | instskip(NEXT) | instid1(VALU_DEP_1)
	v_and_b32_e32 v76, 0x7f, v20
	v_cmpx_ne_u32_e32 0x7f, v76
	s_cbranch_execz .LBB185_918
; %bb.915:                              ;   in Loop: Header=BB185_529 Depth=1
	v_and_b32_e32 v20, 7, v20
	v_lshrrev_b32_e32 v72, 3, v76
	s_mov_b32 s27, exec_lo
	v_cmpx_gt_u32_e32 8, v76
; %bb.916:                              ;   in Loop: Header=BB185_529 Depth=1
	s_delay_alu instid0(VALU_DEP_3) | instskip(NEXT) | instid1(VALU_DEP_1)
	v_clz_i32_u32_e32 v72, v20
	v_min_u32_e32 v72, 32, v72
	s_delay_alu instid0(VALU_DEP_1) | instskip(SKIP_1) | instid1(VALU_DEP_2)
	v_subrev_nc_u32_e32 v73, 28, v72
	v_sub_nc_u32_e32 v72, 29, v72
	v_lshlrev_b64_e32 v[76:77], v73, v[20:21]
	s_delay_alu instid0(VALU_DEP_1)
	v_and_b32_e32 v20, 7, v76
; %bb.917:                              ;   in Loop: Header=BB185_529 Depth=1
	s_or_b32 exec_lo, exec_lo, s27
	v_lshlrev_b32_e32 v73, 16, v80
	s_delay_alu instid0(VALU_DEP_2) | instskip(SKIP_1) | instid1(VALU_DEP_3)
	v_lshlrev_b32_e32 v20, 20, v20
	v_lshl_add_u32 v72, v72, 23, 0x3c000000
	v_and_b32_e32 v73, 0x80000000, v73
	s_delay_alu instid0(VALU_DEP_1)
	v_or3_b32 v73, v20, v73, v72
	v_mov_b32_e32 v72, v21
.LBB185_918:                            ;   in Loop: Header=BB185_529 Depth=1
	s_or_b32 exec_lo, exec_lo, s25
.LBB185_919:                            ;   in Loop: Header=BB185_529 Depth=1
	s_delay_alu instid0(SALU_CYCLE_1)
	s_or_b32 exec_lo, exec_lo, s24
.LBB185_920:                            ;   in Loop: Header=BB185_529 Depth=1
	s_delay_alu instid0(SALU_CYCLE_1) | instskip(SKIP_4) | instid1(VALU_DEP_3)
	s_or_b32 exec_lo, exec_lo, s23
	v_lshrrev_b32_e32 v81, 16, v80
	v_mov_b64_e32 v[76:77], 0
	v_mov_b64_e32 v[78:79], 0
	s_mov_b32 s23, exec_lo
	v_and_b32_e32 v20, 0xff, v81
	s_delay_alu instid0(VALU_DEP_1)
	v_cmpx_ne_u16_e32 0, v20
	s_cbranch_execz .LBB185_928
; %bb.921:                              ;   in Loop: Header=BB185_529 Depth=1
	v_mov_b64_e32 v[78:79], 0x80000000
	s_mov_b32 s24, exec_lo
	v_cmpx_ne_u16_e32 0x80, v20
	s_cbranch_execz .LBB185_927
; %bb.922:                              ;   in Loop: Header=BB185_529 Depth=1
	v_mov_b64_e32 v[78:79], 0x7f800001
	v_bfe_u32 v82, v80, 16, 7
	s_mov_b32 s25, exec_lo
	s_delay_alu instid0(VALU_DEP_1)
	v_cmpx_ne_u32_e32 0x7f, v82
	s_cbranch_execz .LBB185_926
; %bb.923:                              ;   in Loop: Header=BB185_529 Depth=1
	v_dual_lshrrev_b32 v78, 3, v82 :: v_dual_bitop2_b32 v20, 7, v81 bitop3:0x40
	s_mov_b32 s27, exec_lo
	v_cmpx_gt_u32_e32 8, v82
; %bb.924:                              ;   in Loop: Header=BB185_529 Depth=1
	s_delay_alu instid0(VALU_DEP_2) | instskip(NEXT) | instid1(VALU_DEP_1)
	v_clz_i32_u32_e32 v78, v20
	v_min_u32_e32 v78, 32, v78
	s_delay_alu instid0(VALU_DEP_1) | instskip(SKIP_1) | instid1(VALU_DEP_2)
	v_subrev_nc_u32_e32 v79, 28, v78
	v_sub_nc_u32_e32 v78, 29, v78
	v_lshlrev_b64_e32 v[82:83], v79, v[20:21]
	s_delay_alu instid0(VALU_DEP_1)
	v_and_b32_e32 v20, 7, v82
; %bb.925:                              ;   in Loop: Header=BB185_529 Depth=1
	s_or_b32 exec_lo, exec_lo, s27
	s_delay_alu instid0(VALU_DEP_1) | instskip(SKIP_1) | instid1(VALU_DEP_2)
	v_dual_lshlrev_b32 v79, 24, v81 :: v_dual_lshlrev_b32 v20, 20, v20
	v_lshl_add_u32 v78, v78, 23, 0x3c000000
	v_and_b32_e32 v79, 0x80000000, v79
	s_delay_alu instid0(VALU_DEP_1) | instskip(NEXT) | instid1(VALU_DEP_1)
	v_or3_b32 v20, v20, v79, v78
	v_mov_b64_e32 v[78:79], v[20:21]
.LBB185_926:                            ;   in Loop: Header=BB185_529 Depth=1
	s_or_b32 exec_lo, exec_lo, s25
.LBB185_927:                            ;   in Loop: Header=BB185_529 Depth=1
	s_delay_alu instid0(SALU_CYCLE_1)
	s_or_b32 exec_lo, exec_lo, s24
.LBB185_928:                            ;   in Loop: Header=BB185_529 Depth=1
	s_delay_alu instid0(SALU_CYCLE_1) | instskip(NEXT) | instid1(SALU_CYCLE_1)
	s_or_b32 exec_lo, exec_lo, s23
	s_mov_b32 s23, exec_lo
	v_cmpx_lt_u32_e32 0xffffff, v80
	s_cbranch_execz .LBB185_936
; %bb.929:                              ;   in Loop: Header=BB185_529 Depth=1
	v_mov_b64_e32 v[76:77], 0x8000000000000000
	v_lshrrev_b32_e32 v81, 24, v80
	s_mov_b32 s24, exec_lo
	s_delay_alu instid0(VALU_DEP_1)
	v_cmpx_ne_u32_e32 0x80, v81
	s_cbranch_execz .LBB185_935
; %bb.930:                              ;   in Loop: Header=BB185_529 Depth=1
	v_mov_b64_e32 v[76:77], 0x7f80000100000000
	v_bfe_u32 v80, v80, 24, 7
	s_mov_b32 s25, exec_lo
	s_delay_alu instid0(VALU_DEP_1)
	v_cmpx_ne_u32_e32 0x7f, v80
	s_cbranch_execz .LBB185_934
; %bb.931:                              ;   in Loop: Header=BB185_529 Depth=1
	v_dual_lshrrev_b32 v76, 3, v80 :: v_dual_bitop2_b32 v20, 7, v81 bitop3:0x40
	s_mov_b32 s27, exec_lo
	v_cmpx_gt_u32_e32 8, v80
; %bb.932:                              ;   in Loop: Header=BB185_529 Depth=1
	s_delay_alu instid0(VALU_DEP_2) | instskip(NEXT) | instid1(VALU_DEP_1)
	v_clz_i32_u32_e32 v76, v20
	v_min_u32_e32 v76, 32, v76
	s_delay_alu instid0(VALU_DEP_1) | instskip(NEXT) | instid1(VALU_DEP_1)
	v_subrev_nc_u32_e32 v77, 28, v76
	v_lshlrev_b64_e32 v[82:83], v77, v[20:21]
	s_delay_alu instid0(VALU_DEP_1)
	v_dual_sub_nc_u32 v76, 29, v76 :: v_dual_bitop2_b32 v20, 7, v82 bitop3:0x40
; %bb.933:                              ;   in Loop: Header=BB185_529 Depth=1
	s_or_b32 exec_lo, exec_lo, s27
	s_delay_alu instid0(VALU_DEP_1) | instskip(NEXT) | instid1(VALU_DEP_2)
	v_dual_lshlrev_b32 v77, 24, v81 :: v_dual_lshlrev_b32 v20, 20, v20
	v_lshl_add_u32 v76, v76, 23, 0x3c000000
	s_delay_alu instid0(VALU_DEP_2) | instskip(NEXT) | instid1(VALU_DEP_1)
	v_and_b32_e32 v77, 0x80000000, v77
	v_or3_b32 v77, v20, v77, v76
	v_mov_b32_e32 v76, v21
.LBB185_934:                            ;   in Loop: Header=BB185_529 Depth=1
	s_or_b32 exec_lo, exec_lo, s25
.LBB185_935:                            ;   in Loop: Header=BB185_529 Depth=1
	s_delay_alu instid0(SALU_CYCLE_1)
	s_or_b32 exec_lo, exec_lo, s24
.LBB185_936:                            ;   in Loop: Header=BB185_529 Depth=1
	s_delay_alu instid0(SALU_CYCLE_1)
	s_or_b32 exec_lo, exec_lo, s23
	v_mov_b64_e32 v[80:81], s[8:9]
	v_or_b32_e32 v73, v73, v75
	v_or_b32_e32 v72, v72, v74
	;; [unrolled: 1-line block ×4, first 2 shown]
	s_delay_alu instid0(VALU_DEP_3) | instskip(NEXT) | instid1(VALU_DEP_2)
	v_pk_mul_f32 v[74:75], v[80:81], v[72:73]
	v_pk_mul_f32 v[72:73], v[80:81], v[76:77]
	s_and_saveexec_b32 s23, vcc_lo
	s_cbranch_execz .LBB185_938
; %bb.937:                              ;   in Loop: Header=BB185_529 Depth=1
	v_cmp_gt_i32_e64 s0, s34, v51
	s_delay_alu instid0(VALU_DEP_1) | instskip(SKIP_1) | instid1(VALU_DEP_1)
	v_cndmask_b32_e64 v74, 0, v74, s0
	v_cmp_gt_i32_e64 s0, s34, v98
	v_cndmask_b32_e64 v75, 0, v75, s0
	v_cmp_gt_i32_e64 s0, s34, v89
	s_delay_alu instid0(VALU_DEP_1) | instskip(SKIP_1) | instid1(VALU_DEP_1)
	v_cndmask_b32_e64 v72, 0, v72, s0
	v_cmp_gt_i32_e64 s0, s34, v88
	v_cndmask_b32_e64 v73, 0, v73, s0
.LBB185_938:                            ;   in Loop: Header=BB185_529 Depth=1
	s_or_b32 exec_lo, exec_lo, s23
	global_load_b32 v84, v[30:31], off offset:1536
	v_mov_b64_e32 v[76:77], 0
	v_mov_b64_e32 v[78:79], 0
	s_mov_b32 s23, exec_lo
	s_wait_loadcnt 0x0
	v_and_b32_e32 v20, 0xff, v84
	s_delay_alu instid0(VALU_DEP_1)
	v_cmpx_ne_u16_e32 0, v20
	s_cbranch_execz .LBB185_946
; %bb.939:                              ;   in Loop: Header=BB185_529 Depth=1
	v_mov_b64_e32 v[78:79], 0x80000000
	s_mov_b32 s24, exec_lo
	v_cmpx_ne_u16_e32 0x80, v20
	s_cbranch_execz .LBB185_945
; %bb.940:                              ;   in Loop: Header=BB185_529 Depth=1
	v_mov_b64_e32 v[78:79], 0x7f800001
	v_and_b32_e32 v80, 0x7f, v84
	s_mov_b32 s25, exec_lo
	s_delay_alu instid0(VALU_DEP_1)
	v_cmpx_ne_u32_e32 0x7f, v80
	s_cbranch_execz .LBB185_944
; %bb.941:                              ;   in Loop: Header=BB185_529 Depth=1
	v_and_b32_e32 v20, 7, v84
	v_lshrrev_b32_e32 v78, 3, v80
	s_mov_b32 s27, exec_lo
	v_cmpx_gt_u32_e32 8, v80
; %bb.942:                              ;   in Loop: Header=BB185_529 Depth=1
	s_delay_alu instid0(VALU_DEP_3) | instskip(NEXT) | instid1(VALU_DEP_1)
	v_clz_i32_u32_e32 v78, v20
	v_min_u32_e32 v78, 32, v78
	s_delay_alu instid0(VALU_DEP_1) | instskip(NEXT) | instid1(VALU_DEP_1)
	v_subrev_nc_u32_e32 v79, 28, v78
	v_lshlrev_b64_e32 v[80:81], v79, v[20:21]
	s_delay_alu instid0(VALU_DEP_1)
	v_dual_sub_nc_u32 v78, 29, v78 :: v_dual_bitop2_b32 v20, 7, v80 bitop3:0x40
; %bb.943:                              ;   in Loop: Header=BB185_529 Depth=1
	s_or_b32 exec_lo, exec_lo, s27
	v_lshlrev_b32_e32 v79, 24, v84
	s_delay_alu instid0(VALU_DEP_2) | instskip(NEXT) | instid1(VALU_DEP_3)
	v_lshlrev_b32_e32 v20, 20, v20
	v_lshl_add_u32 v78, v78, 23, 0x3c000000
	s_delay_alu instid0(VALU_DEP_3) | instskip(NEXT) | instid1(VALU_DEP_1)
	v_and_b32_e32 v79, 0x80000000, v79
	v_or3_b32 v20, v20, v79, v78
	s_delay_alu instid0(VALU_DEP_1)
	v_mov_b64_e32 v[78:79], v[20:21]
.LBB185_944:                            ;   in Loop: Header=BB185_529 Depth=1
	s_or_b32 exec_lo, exec_lo, s25
.LBB185_945:                            ;   in Loop: Header=BB185_529 Depth=1
	s_delay_alu instid0(SALU_CYCLE_1)
	s_or_b32 exec_lo, exec_lo, s24
.LBB185_946:                            ;   in Loop: Header=BB185_529 Depth=1
	s_delay_alu instid0(SALU_CYCLE_1) | instskip(SKIP_2) | instid1(VALU_DEP_1)
	s_or_b32 exec_lo, exec_lo, s23
	v_lshrrev_b16 v20, 8, v84
	s_mov_b32 s23, exec_lo
	v_cmpx_ne_u16_e32 0, v20
	s_cbranch_execz .LBB185_954
; %bb.947:                              ;   in Loop: Header=BB185_529 Depth=1
	v_mov_b64_e32 v[76:77], 0x8000000000000000
	s_mov_b32 s24, exec_lo
	v_cmpx_ne_u16_e32 0x80, v20
	s_cbranch_execz .LBB185_953
; %bb.948:                              ;   in Loop: Header=BB185_529 Depth=1
	v_and_b32_e32 v20, 0xffff, v20
	v_mov_b64_e32 v[76:77], 0x7f80000100000000
	s_mov_b32 s25, exec_lo
	s_delay_alu instid0(VALU_DEP_2) | instskip(NEXT) | instid1(VALU_DEP_1)
	v_and_b32_e32 v80, 0x7f, v20
	v_cmpx_ne_u32_e32 0x7f, v80
	s_cbranch_execz .LBB185_952
; %bb.949:                              ;   in Loop: Header=BB185_529 Depth=1
	v_and_b32_e32 v20, 7, v20
	v_lshrrev_b32_e32 v76, 3, v80
	s_mov_b32 s27, exec_lo
	v_cmpx_gt_u32_e32 8, v80
; %bb.950:                              ;   in Loop: Header=BB185_529 Depth=1
	s_delay_alu instid0(VALU_DEP_3) | instskip(NEXT) | instid1(VALU_DEP_1)
	v_clz_i32_u32_e32 v76, v20
	v_min_u32_e32 v76, 32, v76
	s_delay_alu instid0(VALU_DEP_1) | instskip(SKIP_1) | instid1(VALU_DEP_2)
	v_subrev_nc_u32_e32 v77, 28, v76
	v_sub_nc_u32_e32 v76, 29, v76
	v_lshlrev_b64_e32 v[80:81], v77, v[20:21]
	s_delay_alu instid0(VALU_DEP_1)
	v_and_b32_e32 v20, 7, v80
; %bb.951:                              ;   in Loop: Header=BB185_529 Depth=1
	s_or_b32 exec_lo, exec_lo, s27
	v_lshlrev_b32_e32 v77, 16, v84
	s_delay_alu instid0(VALU_DEP_2) | instskip(SKIP_1) | instid1(VALU_DEP_3)
	v_lshlrev_b32_e32 v20, 20, v20
	v_lshl_add_u32 v76, v76, 23, 0x3c000000
	v_and_b32_e32 v77, 0x80000000, v77
	s_delay_alu instid0(VALU_DEP_1)
	v_or3_b32 v77, v20, v77, v76
	v_mov_b32_e32 v76, v21
.LBB185_952:                            ;   in Loop: Header=BB185_529 Depth=1
	s_or_b32 exec_lo, exec_lo, s25
.LBB185_953:                            ;   in Loop: Header=BB185_529 Depth=1
	s_delay_alu instid0(SALU_CYCLE_1)
	s_or_b32 exec_lo, exec_lo, s24
.LBB185_954:                            ;   in Loop: Header=BB185_529 Depth=1
	s_delay_alu instid0(SALU_CYCLE_1) | instskip(SKIP_4) | instid1(VALU_DEP_3)
	s_or_b32 exec_lo, exec_lo, s23
	v_lshrrev_b32_e32 v85, 16, v84
	v_mov_b64_e32 v[80:81], 0
	v_mov_b64_e32 v[82:83], 0
	s_mov_b32 s23, exec_lo
	v_and_b32_e32 v20, 0xff, v85
	s_delay_alu instid0(VALU_DEP_1)
	v_cmpx_ne_u16_e32 0, v20
	s_cbranch_execz .LBB185_962
; %bb.955:                              ;   in Loop: Header=BB185_529 Depth=1
	v_mov_b64_e32 v[82:83], 0x80000000
	s_mov_b32 s24, exec_lo
	v_cmpx_ne_u16_e32 0x80, v20
	s_cbranch_execz .LBB185_961
; %bb.956:                              ;   in Loop: Header=BB185_529 Depth=1
	v_mov_b64_e32 v[82:83], 0x7f800001
	v_bfe_u32 v86, v84, 16, 7
	s_mov_b32 s25, exec_lo
	s_delay_alu instid0(VALU_DEP_1)
	v_cmpx_ne_u32_e32 0x7f, v86
	s_cbranch_execz .LBB185_960
; %bb.957:                              ;   in Loop: Header=BB185_529 Depth=1
	v_dual_lshrrev_b32 v82, 3, v86 :: v_dual_bitop2_b32 v20, 7, v85 bitop3:0x40
	s_mov_b32 s27, exec_lo
	v_cmpx_gt_u32_e32 8, v86
; %bb.958:                              ;   in Loop: Header=BB185_529 Depth=1
	s_delay_alu instid0(VALU_DEP_2) | instskip(NEXT) | instid1(VALU_DEP_1)
	v_clz_i32_u32_e32 v82, v20
	v_min_u32_e32 v82, 32, v82
	s_delay_alu instid0(VALU_DEP_1) | instskip(SKIP_1) | instid1(VALU_DEP_2)
	v_subrev_nc_u32_e32 v83, 28, v82
	v_sub_nc_u32_e32 v82, 29, v82
	v_lshlrev_b64_e32 v[86:87], v83, v[20:21]
	s_delay_alu instid0(VALU_DEP_1)
	v_and_b32_e32 v20, 7, v86
; %bb.959:                              ;   in Loop: Header=BB185_529 Depth=1
	s_or_b32 exec_lo, exec_lo, s27
	s_delay_alu instid0(VALU_DEP_1) | instskip(SKIP_1) | instid1(VALU_DEP_2)
	v_dual_lshlrev_b32 v83, 24, v85 :: v_dual_lshlrev_b32 v20, 20, v20
	v_lshl_add_u32 v82, v82, 23, 0x3c000000
	v_and_b32_e32 v83, 0x80000000, v83
	s_delay_alu instid0(VALU_DEP_1) | instskip(NEXT) | instid1(VALU_DEP_1)
	v_or3_b32 v20, v20, v83, v82
	v_mov_b64_e32 v[82:83], v[20:21]
.LBB185_960:                            ;   in Loop: Header=BB185_529 Depth=1
	s_or_b32 exec_lo, exec_lo, s25
.LBB185_961:                            ;   in Loop: Header=BB185_529 Depth=1
	s_delay_alu instid0(SALU_CYCLE_1)
	s_or_b32 exec_lo, exec_lo, s24
.LBB185_962:                            ;   in Loop: Header=BB185_529 Depth=1
	s_delay_alu instid0(SALU_CYCLE_1) | instskip(NEXT) | instid1(SALU_CYCLE_1)
	s_or_b32 exec_lo, exec_lo, s23
	s_mov_b32 s23, exec_lo
	v_cmpx_lt_u32_e32 0xffffff, v84
	s_cbranch_execz .LBB185_970
; %bb.963:                              ;   in Loop: Header=BB185_529 Depth=1
	v_mov_b64_e32 v[80:81], 0x8000000000000000
	v_lshrrev_b32_e32 v85, 24, v84
	s_mov_b32 s24, exec_lo
	s_delay_alu instid0(VALU_DEP_1)
	v_cmpx_ne_u32_e32 0x80, v85
	s_cbranch_execz .LBB185_969
; %bb.964:                              ;   in Loop: Header=BB185_529 Depth=1
	v_mov_b64_e32 v[80:81], 0x7f80000100000000
	v_bfe_u32 v84, v84, 24, 7
	s_mov_b32 s25, exec_lo
	s_delay_alu instid0(VALU_DEP_1)
	v_cmpx_ne_u32_e32 0x7f, v84
	s_cbranch_execz .LBB185_968
; %bb.965:                              ;   in Loop: Header=BB185_529 Depth=1
	v_dual_lshrrev_b32 v80, 3, v84 :: v_dual_bitop2_b32 v20, 7, v85 bitop3:0x40
	s_mov_b32 s27, exec_lo
	v_cmpx_gt_u32_e32 8, v84
; %bb.966:                              ;   in Loop: Header=BB185_529 Depth=1
	s_delay_alu instid0(VALU_DEP_2) | instskip(NEXT) | instid1(VALU_DEP_1)
	v_clz_i32_u32_e32 v80, v20
	v_min_u32_e32 v80, 32, v80
	s_delay_alu instid0(VALU_DEP_1) | instskip(NEXT) | instid1(VALU_DEP_1)
	v_subrev_nc_u32_e32 v81, 28, v80
	v_lshlrev_b64_e32 v[86:87], v81, v[20:21]
	s_delay_alu instid0(VALU_DEP_1)
	v_dual_sub_nc_u32 v80, 29, v80 :: v_dual_bitop2_b32 v20, 7, v86 bitop3:0x40
; %bb.967:                              ;   in Loop: Header=BB185_529 Depth=1
	s_or_b32 exec_lo, exec_lo, s27
	s_delay_alu instid0(VALU_DEP_1) | instskip(NEXT) | instid1(VALU_DEP_2)
	v_dual_lshlrev_b32 v81, 24, v85 :: v_dual_lshlrev_b32 v20, 20, v20
	v_lshl_add_u32 v80, v80, 23, 0x3c000000
	s_delay_alu instid0(VALU_DEP_2) | instskip(NEXT) | instid1(VALU_DEP_1)
	v_and_b32_e32 v81, 0x80000000, v81
	v_or3_b32 v81, v20, v81, v80
	v_mov_b32_e32 v80, v21
.LBB185_968:                            ;   in Loop: Header=BB185_529 Depth=1
	s_or_b32 exec_lo, exec_lo, s25
.LBB185_969:                            ;   in Loop: Header=BB185_529 Depth=1
	s_delay_alu instid0(SALU_CYCLE_1)
	s_or_b32 exec_lo, exec_lo, s24
.LBB185_970:                            ;   in Loop: Header=BB185_529 Depth=1
	s_delay_alu instid0(SALU_CYCLE_1)
	s_or_b32 exec_lo, exec_lo, s23
	v_mov_b64_e32 v[84:85], s[8:9]
	v_or_b32_e32 v77, v77, v79
	v_or_b32_e32 v76, v76, v78
	;; [unrolled: 1-line block ×4, first 2 shown]
	s_delay_alu instid0(VALU_DEP_3) | instskip(NEXT) | instid1(VALU_DEP_2)
	v_pk_mul_f32 v[78:79], v[84:85], v[76:77]
	v_pk_mul_f32 v[76:77], v[84:85], v[80:81]
	s_and_saveexec_b32 s23, vcc_lo
	s_cbranch_execz .LBB185_972
; %bb.971:                              ;   in Loop: Header=BB185_529 Depth=1
	v_cmp_gt_i32_e64 s0, s34, v51
	s_delay_alu instid0(VALU_DEP_1) | instskip(SKIP_1) | instid1(VALU_DEP_1)
	v_cndmask_b32_e64 v78, 0, v78, s0
	v_cmp_gt_i32_e64 s0, s34, v98
	v_cndmask_b32_e64 v79, 0, v79, s0
	v_cmp_gt_i32_e64 s0, s34, v89
	s_delay_alu instid0(VALU_DEP_1) | instskip(SKIP_1) | instid1(VALU_DEP_1)
	v_cndmask_b32_e64 v76, 0, v76, s0
	v_cmp_gt_i32_e64 s0, s34, v88
	v_cndmask_b32_e64 v77, 0, v77, s0
.LBB185_972:                            ;   in Loop: Header=BB185_529 Depth=1
	s_or_b32 exec_lo, exec_lo, s23
	global_load_b32 v99, v[30:31], off offset:1664
	v_mov_b64_e32 v[80:81], 0
	v_mov_b64_e32 v[82:83], 0
	s_mov_b32 s23, exec_lo
	s_wait_loadcnt 0x0
	v_and_b32_e32 v20, 0xff, v99
	s_delay_alu instid0(VALU_DEP_1)
	v_cmpx_ne_u16_e32 0, v20
	s_cbranch_execz .LBB185_980
; %bb.973:                              ;   in Loop: Header=BB185_529 Depth=1
	v_mov_b64_e32 v[82:83], 0x80000000
	s_mov_b32 s24, exec_lo
	v_cmpx_ne_u16_e32 0x80, v20
	s_cbranch_execz .LBB185_979
; %bb.974:                              ;   in Loop: Header=BB185_529 Depth=1
	v_mov_b64_e32 v[82:83], 0x7f800001
	v_and_b32_e32 v84, 0x7f, v99
	s_mov_b32 s25, exec_lo
	s_delay_alu instid0(VALU_DEP_1)
	v_cmpx_ne_u32_e32 0x7f, v84
	s_cbranch_execz .LBB185_978
; %bb.975:                              ;   in Loop: Header=BB185_529 Depth=1
	v_dual_lshrrev_b32 v82, 3, v84 :: v_dual_bitop2_b32 v20, 7, v99 bitop3:0x40
	s_mov_b32 s27, exec_lo
	v_cmpx_gt_u32_e32 8, v84
; %bb.976:                              ;   in Loop: Header=BB185_529 Depth=1
	s_delay_alu instid0(VALU_DEP_2) | instskip(NEXT) | instid1(VALU_DEP_1)
	v_clz_i32_u32_e32 v82, v20
	v_min_u32_e32 v82, 32, v82
	s_delay_alu instid0(VALU_DEP_1) | instskip(NEXT) | instid1(VALU_DEP_1)
	v_subrev_nc_u32_e32 v83, 28, v82
	v_lshlrev_b64_e32 v[84:85], v83, v[20:21]
	s_delay_alu instid0(VALU_DEP_1)
	v_dual_sub_nc_u32 v82, 29, v82 :: v_dual_bitop2_b32 v20, 7, v84 bitop3:0x40
; %bb.977:                              ;   in Loop: Header=BB185_529 Depth=1
	s_or_b32 exec_lo, exec_lo, s27
	s_delay_alu instid0(VALU_DEP_1) | instskip(NEXT) | instid1(VALU_DEP_2)
	v_dual_lshlrev_b32 v83, 24, v99 :: v_dual_lshlrev_b32 v20, 20, v20
	v_lshl_add_u32 v82, v82, 23, 0x3c000000
	s_delay_alu instid0(VALU_DEP_2) | instskip(NEXT) | instid1(VALU_DEP_1)
	v_and_b32_e32 v83, 0x80000000, v83
	v_or3_b32 v20, v20, v83, v82
	s_delay_alu instid0(VALU_DEP_1)
	v_mov_b64_e32 v[82:83], v[20:21]
.LBB185_978:                            ;   in Loop: Header=BB185_529 Depth=1
	s_or_b32 exec_lo, exec_lo, s25
.LBB185_979:                            ;   in Loop: Header=BB185_529 Depth=1
	s_delay_alu instid0(SALU_CYCLE_1)
	s_or_b32 exec_lo, exec_lo, s24
.LBB185_980:                            ;   in Loop: Header=BB185_529 Depth=1
	s_delay_alu instid0(SALU_CYCLE_1) | instskip(SKIP_2) | instid1(VALU_DEP_1)
	s_or_b32 exec_lo, exec_lo, s23
	v_lshrrev_b16 v20, 8, v99
	s_mov_b32 s23, exec_lo
	v_cmpx_ne_u16_e32 0, v20
	s_cbranch_execz .LBB185_988
; %bb.981:                              ;   in Loop: Header=BB185_529 Depth=1
	v_mov_b64_e32 v[80:81], 0x8000000000000000
	s_mov_b32 s24, exec_lo
	v_cmpx_ne_u16_e32 0x80, v20
	s_cbranch_execz .LBB185_987
; %bb.982:                              ;   in Loop: Header=BB185_529 Depth=1
	v_and_b32_e32 v20, 0xffff, v20
	v_mov_b64_e32 v[80:81], 0x7f80000100000000
	s_mov_b32 s25, exec_lo
	s_delay_alu instid0(VALU_DEP_2) | instskip(NEXT) | instid1(VALU_DEP_1)
	v_and_b32_e32 v84, 0x7f, v20
	v_cmpx_ne_u32_e32 0x7f, v84
	s_cbranch_execz .LBB185_986
; %bb.983:                              ;   in Loop: Header=BB185_529 Depth=1
	v_and_b32_e32 v20, 7, v20
	v_lshrrev_b32_e32 v80, 3, v84
	s_mov_b32 s27, exec_lo
	v_cmpx_gt_u32_e32 8, v84
; %bb.984:                              ;   in Loop: Header=BB185_529 Depth=1
	s_delay_alu instid0(VALU_DEP_3) | instskip(NEXT) | instid1(VALU_DEP_1)
	v_clz_i32_u32_e32 v80, v20
	v_min_u32_e32 v80, 32, v80
	s_delay_alu instid0(VALU_DEP_1) | instskip(SKIP_1) | instid1(VALU_DEP_2)
	v_subrev_nc_u32_e32 v81, 28, v80
	v_sub_nc_u32_e32 v80, 29, v80
	v_lshlrev_b64_e32 v[84:85], v81, v[20:21]
	s_delay_alu instid0(VALU_DEP_1)
	v_and_b32_e32 v20, 7, v84
; %bb.985:                              ;   in Loop: Header=BB185_529 Depth=1
	s_or_b32 exec_lo, exec_lo, s27
	s_delay_alu instid0(VALU_DEP_1) | instskip(SKIP_1) | instid1(VALU_DEP_2)
	v_dual_lshlrev_b32 v81, 16, v99 :: v_dual_lshlrev_b32 v20, 20, v20
	v_lshl_add_u32 v80, v80, 23, 0x3c000000
	v_and_b32_e32 v81, 0x80000000, v81
	s_delay_alu instid0(VALU_DEP_1)
	v_or3_b32 v81, v20, v81, v80
	v_mov_b32_e32 v80, v21
.LBB185_986:                            ;   in Loop: Header=BB185_529 Depth=1
	s_or_b32 exec_lo, exec_lo, s25
.LBB185_987:                            ;   in Loop: Header=BB185_529 Depth=1
	s_delay_alu instid0(SALU_CYCLE_1)
	s_or_b32 exec_lo, exec_lo, s24
.LBB185_988:                            ;   in Loop: Header=BB185_529 Depth=1
	s_delay_alu instid0(SALU_CYCLE_1) | instskip(SKIP_4) | instid1(VALU_DEP_3)
	s_or_b32 exec_lo, exec_lo, s23
	v_lshrrev_b32_e32 v100, 16, v99
	v_mov_b64_e32 v[84:85], 0
	v_mov_b64_e32 v[86:87], 0
	s_mov_b32 s23, exec_lo
	v_and_b32_e32 v20, 0xff, v100
	s_delay_alu instid0(VALU_DEP_1)
	v_cmpx_ne_u16_e32 0, v20
	s_cbranch_execz .LBB185_996
; %bb.989:                              ;   in Loop: Header=BB185_529 Depth=1
	v_mov_b64_e32 v[86:87], 0x80000000
	s_mov_b32 s24, exec_lo
	v_cmpx_ne_u16_e32 0x80, v20
	s_cbranch_execz .LBB185_995
; %bb.990:                              ;   in Loop: Header=BB185_529 Depth=1
	v_mov_b64_e32 v[86:87], 0x7f800001
	v_bfe_u32 v101, v99, 16, 7
	s_mov_b32 s25, exec_lo
	s_delay_alu instid0(VALU_DEP_1)
	v_cmpx_ne_u32_e32 0x7f, v101
	s_cbranch_execz .LBB185_994
; %bb.991:                              ;   in Loop: Header=BB185_529 Depth=1
	v_dual_lshrrev_b32 v86, 3, v101 :: v_dual_bitop2_b32 v20, 7, v100 bitop3:0x40
	s_mov_b32 s27, exec_lo
	v_cmpx_gt_u32_e32 8, v101
; %bb.992:                              ;   in Loop: Header=BB185_529 Depth=1
	s_delay_alu instid0(VALU_DEP_2) | instskip(NEXT) | instid1(VALU_DEP_1)
	v_clz_i32_u32_e32 v86, v20
	v_min_u32_e32 v86, 32, v86
	s_delay_alu instid0(VALU_DEP_1) | instskip(SKIP_1) | instid1(VALU_DEP_2)
	v_subrev_nc_u32_e32 v87, 28, v86
	v_sub_nc_u32_e32 v86, 29, v86
	v_lshlrev_b64_e32 v[102:103], v87, v[20:21]
	s_delay_alu instid0(VALU_DEP_1)
	v_and_b32_e32 v20, 7, v102
; %bb.993:                              ;   in Loop: Header=BB185_529 Depth=1
	s_or_b32 exec_lo, exec_lo, s27
	v_lshlrev_b32_e32 v87, 24, v100
	s_delay_alu instid0(VALU_DEP_2) | instskip(SKIP_1) | instid1(VALU_DEP_3)
	v_lshlrev_b32_e32 v20, 20, v20
	v_lshl_add_u32 v86, v86, 23, 0x3c000000
	v_and_b32_e32 v87, 0x80000000, v87
	s_delay_alu instid0(VALU_DEP_1) | instskip(NEXT) | instid1(VALU_DEP_1)
	v_or3_b32 v20, v20, v87, v86
	v_mov_b64_e32 v[86:87], v[20:21]
.LBB185_994:                            ;   in Loop: Header=BB185_529 Depth=1
	s_or_b32 exec_lo, exec_lo, s25
.LBB185_995:                            ;   in Loop: Header=BB185_529 Depth=1
	s_delay_alu instid0(SALU_CYCLE_1)
	s_or_b32 exec_lo, exec_lo, s24
.LBB185_996:                            ;   in Loop: Header=BB185_529 Depth=1
	s_delay_alu instid0(SALU_CYCLE_1) | instskip(NEXT) | instid1(SALU_CYCLE_1)
	s_or_b32 exec_lo, exec_lo, s23
	s_mov_b32 s23, exec_lo
	v_cmpx_lt_u32_e32 0xffffff, v99
	s_cbranch_execz .LBB185_1004
; %bb.997:                              ;   in Loop: Header=BB185_529 Depth=1
	v_mov_b64_e32 v[84:85], 0x8000000000000000
	v_lshrrev_b32_e32 v100, 24, v99
	s_mov_b32 s24, exec_lo
	s_delay_alu instid0(VALU_DEP_1)
	v_cmpx_ne_u32_e32 0x80, v100
	s_cbranch_execz .LBB185_1003
; %bb.998:                              ;   in Loop: Header=BB185_529 Depth=1
	v_mov_b64_e32 v[84:85], 0x7f80000100000000
	v_bfe_u32 v99, v99, 24, 7
	s_mov_b32 s25, exec_lo
	s_delay_alu instid0(VALU_DEP_1)
	v_cmpx_ne_u32_e32 0x7f, v99
	s_cbranch_execz .LBB185_1002
; %bb.999:                              ;   in Loop: Header=BB185_529 Depth=1
	v_dual_lshrrev_b32 v84, 3, v99 :: v_dual_bitop2_b32 v20, 7, v100 bitop3:0x40
	s_mov_b32 s27, exec_lo
	v_cmpx_gt_u32_e32 8, v99
; %bb.1000:                             ;   in Loop: Header=BB185_529 Depth=1
	s_delay_alu instid0(VALU_DEP_2) | instskip(NEXT) | instid1(VALU_DEP_1)
	v_clz_i32_u32_e32 v84, v20
	v_min_u32_e32 v84, 32, v84
	s_delay_alu instid0(VALU_DEP_1) | instskip(NEXT) | instid1(VALU_DEP_1)
	v_subrev_nc_u32_e32 v85, 28, v84
	v_lshlrev_b64_e32 v[102:103], v85, v[20:21]
	s_delay_alu instid0(VALU_DEP_1)
	v_dual_sub_nc_u32 v84, 29, v84 :: v_dual_bitop2_b32 v20, 7, v102 bitop3:0x40
; %bb.1001:                             ;   in Loop: Header=BB185_529 Depth=1
	s_or_b32 exec_lo, exec_lo, s27
	v_lshlrev_b32_e32 v85, 24, v100
	s_delay_alu instid0(VALU_DEP_2) | instskip(NEXT) | instid1(VALU_DEP_3)
	v_lshlrev_b32_e32 v20, 20, v20
	v_lshl_add_u32 v84, v84, 23, 0x3c000000
	s_delay_alu instid0(VALU_DEP_3) | instskip(NEXT) | instid1(VALU_DEP_1)
	v_and_b32_e32 v85, 0x80000000, v85
	v_or3_b32 v85, v20, v85, v84
	v_mov_b32_e32 v84, v21
.LBB185_1002:                           ;   in Loop: Header=BB185_529 Depth=1
	s_or_b32 exec_lo, exec_lo, s25
.LBB185_1003:                           ;   in Loop: Header=BB185_529 Depth=1
	s_delay_alu instid0(SALU_CYCLE_1)
	s_or_b32 exec_lo, exec_lo, s24
.LBB185_1004:                           ;   in Loop: Header=BB185_529 Depth=1
	s_delay_alu instid0(SALU_CYCLE_1)
	s_or_b32 exec_lo, exec_lo, s23
	v_mov_b64_e32 v[100:101], s[8:9]
	v_or_b32_e32 v81, v81, v83
	v_or_b32_e32 v80, v80, v82
	;; [unrolled: 1-line block ×4, first 2 shown]
	s_delay_alu instid0(VALU_DEP_3) | instskip(NEXT) | instid1(VALU_DEP_2)
	v_pk_mul_f32 v[82:83], v[100:101], v[80:81]
	v_pk_mul_f32 v[80:81], v[100:101], v[84:85]
	s_and_saveexec_b32 s23, vcc_lo
	s_cbranch_execz .LBB185_1006
; %bb.1005:                             ;   in Loop: Header=BB185_529 Depth=1
	v_cmp_gt_i32_e64 s0, s34, v51
	s_delay_alu instid0(VALU_DEP_1) | instskip(SKIP_1) | instid1(VALU_DEP_1)
	v_cndmask_b32_e64 v82, 0, v82, s0
	v_cmp_gt_i32_e64 s0, s34, v98
	v_cndmask_b32_e64 v83, 0, v83, s0
	v_cmp_gt_i32_e64 s0, s34, v89
	s_delay_alu instid0(VALU_DEP_1) | instskip(SKIP_1) | instid1(VALU_DEP_1)
	v_cndmask_b32_e64 v80, 0, v80, s0
	v_cmp_gt_i32_e64 s0, s34, v88
	v_cndmask_b32_e64 v81, 0, v81, s0
.LBB185_1006:                           ;   in Loop: Header=BB185_529 Depth=1
	s_or_b32 exec_lo, exec_lo, s23
	global_load_b32 v99, v[30:31], off offset:1792
	s_wait_xcnt 0x0
	v_mov_b64_e32 v[30:31], 0
	v_mov_b64_e32 v[84:85], 0
	s_mov_b32 s23, exec_lo
	s_wait_loadcnt 0x0
	v_and_b32_e32 v20, 0xff, v99
	s_delay_alu instid0(VALU_DEP_1)
	v_cmpx_ne_u16_e32 0, v20
	s_cbranch_execz .LBB185_1014
; %bb.1007:                             ;   in Loop: Header=BB185_529 Depth=1
	v_mov_b64_e32 v[84:85], 0x80000000
	s_mov_b32 s24, exec_lo
	v_cmpx_ne_u16_e32 0x80, v20
	s_cbranch_execz .LBB185_1013
; %bb.1008:                             ;   in Loop: Header=BB185_529 Depth=1
	v_mov_b64_e32 v[84:85], 0x7f800001
	v_and_b32_e32 v86, 0x7f, v99
	s_mov_b32 s25, exec_lo
	s_delay_alu instid0(VALU_DEP_1)
	v_cmpx_ne_u32_e32 0x7f, v86
	s_cbranch_execz .LBB185_1012
; %bb.1009:                             ;   in Loop: Header=BB185_529 Depth=1
	v_dual_lshrrev_b32 v84, 3, v86 :: v_dual_bitop2_b32 v20, 7, v99 bitop3:0x40
	s_mov_b32 s27, exec_lo
	v_cmpx_gt_u32_e32 8, v86
; %bb.1010:                             ;   in Loop: Header=BB185_529 Depth=1
	s_delay_alu instid0(VALU_DEP_2) | instskip(NEXT) | instid1(VALU_DEP_1)
	v_clz_i32_u32_e32 v84, v20
	v_min_u32_e32 v84, 32, v84
	s_delay_alu instid0(VALU_DEP_1) | instskip(NEXT) | instid1(VALU_DEP_1)
	v_subrev_nc_u32_e32 v85, 28, v84
	v_lshlrev_b64_e32 v[86:87], v85, v[20:21]
	s_delay_alu instid0(VALU_DEP_1)
	v_dual_sub_nc_u32 v84, 29, v84 :: v_dual_bitop2_b32 v20, 7, v86 bitop3:0x40
; %bb.1011:                             ;   in Loop: Header=BB185_529 Depth=1
	s_or_b32 exec_lo, exec_lo, s27
	s_delay_alu instid0(VALU_DEP_1) | instskip(NEXT) | instid1(VALU_DEP_2)
	v_dual_lshlrev_b32 v85, 24, v99 :: v_dual_lshlrev_b32 v20, 20, v20
	v_lshl_add_u32 v84, v84, 23, 0x3c000000
	s_delay_alu instid0(VALU_DEP_2) | instskip(NEXT) | instid1(VALU_DEP_1)
	v_and_b32_e32 v85, 0x80000000, v85
	v_or3_b32 v20, v20, v85, v84
	s_delay_alu instid0(VALU_DEP_1)
	v_mov_b64_e32 v[84:85], v[20:21]
.LBB185_1012:                           ;   in Loop: Header=BB185_529 Depth=1
	s_or_b32 exec_lo, exec_lo, s25
.LBB185_1013:                           ;   in Loop: Header=BB185_529 Depth=1
	s_delay_alu instid0(SALU_CYCLE_1)
	s_or_b32 exec_lo, exec_lo, s24
.LBB185_1014:                           ;   in Loop: Header=BB185_529 Depth=1
	s_delay_alu instid0(SALU_CYCLE_1) | instskip(SKIP_2) | instid1(VALU_DEP_1)
	s_or_b32 exec_lo, exec_lo, s23
	v_lshrrev_b16 v20, 8, v99
	s_mov_b32 s23, exec_lo
	v_cmpx_ne_u16_e32 0, v20
	s_cbranch_execz .LBB185_1022
; %bb.1015:                             ;   in Loop: Header=BB185_529 Depth=1
	v_mov_b64_e32 v[30:31], 0x8000000000000000
	s_mov_b32 s24, exec_lo
	v_cmpx_ne_u16_e32 0x80, v20
	s_cbranch_execz .LBB185_1021
; %bb.1016:                             ;   in Loop: Header=BB185_529 Depth=1
	v_and_b32_e32 v20, 0xffff, v20
	v_mov_b64_e32 v[30:31], 0x7f80000100000000
	s_mov_b32 s25, exec_lo
	s_delay_alu instid0(VALU_DEP_2) | instskip(NEXT) | instid1(VALU_DEP_1)
	v_and_b32_e32 v86, 0x7f, v20
	v_cmpx_ne_u32_e32 0x7f, v86
	s_cbranch_execz .LBB185_1020
; %bb.1017:                             ;   in Loop: Header=BB185_529 Depth=1
	v_dual_lshrrev_b32 v30, 3, v86 :: v_dual_bitop2_b32 v20, 7, v20 bitop3:0x40
	s_mov_b32 s27, exec_lo
	v_cmpx_gt_u32_e32 8, v86
; %bb.1018:                             ;   in Loop: Header=BB185_529 Depth=1
	s_delay_alu instid0(VALU_DEP_2) | instskip(NEXT) | instid1(VALU_DEP_1)
	v_clz_i32_u32_e32 v30, v20
	v_min_u32_e32 v30, 32, v30
	s_delay_alu instid0(VALU_DEP_1) | instskip(SKIP_1) | instid1(VALU_DEP_2)
	v_subrev_nc_u32_e32 v31, 28, v30
	v_sub_nc_u32_e32 v30, 29, v30
	v_lshlrev_b64_e32 v[86:87], v31, v[20:21]
	s_delay_alu instid0(VALU_DEP_1)
	v_and_b32_e32 v20, 7, v86
; %bb.1019:                             ;   in Loop: Header=BB185_529 Depth=1
	s_or_b32 exec_lo, exec_lo, s27
	s_delay_alu instid0(VALU_DEP_1) | instskip(SKIP_1) | instid1(VALU_DEP_2)
	v_dual_lshlrev_b32 v31, 16, v99 :: v_dual_lshlrev_b32 v20, 20, v20
	v_lshl_add_u32 v30, v30, 23, 0x3c000000
	v_and_b32_e32 v31, 0x80000000, v31
	s_delay_alu instid0(VALU_DEP_1)
	v_or3_b32 v31, v20, v31, v30
	v_mov_b32_e32 v30, v21
.LBB185_1020:                           ;   in Loop: Header=BB185_529 Depth=1
	s_or_b32 exec_lo, exec_lo, s25
.LBB185_1021:                           ;   in Loop: Header=BB185_529 Depth=1
	s_delay_alu instid0(SALU_CYCLE_1)
	s_or_b32 exec_lo, exec_lo, s24
.LBB185_1022:                           ;   in Loop: Header=BB185_529 Depth=1
	s_delay_alu instid0(SALU_CYCLE_1) | instskip(SKIP_4) | instid1(VALU_DEP_3)
	s_or_b32 exec_lo, exec_lo, s23
	v_lshrrev_b32_e32 v100, 16, v99
	v_mov_b64_e32 v[86:87], 0
	v_mov_b64_e32 v[88:89], 0
	s_mov_b32 s23, exec_lo
	v_and_b32_e32 v20, 0xff, v100
	s_delay_alu instid0(VALU_DEP_1)
	v_cmpx_ne_u16_e32 0, v20
	s_cbranch_execz .LBB185_1030
; %bb.1023:                             ;   in Loop: Header=BB185_529 Depth=1
	v_mov_b64_e32 v[88:89], 0x80000000
	s_mov_b32 s24, exec_lo
	v_cmpx_ne_u16_e32 0x80, v20
	s_cbranch_execz .LBB185_1029
; %bb.1024:                             ;   in Loop: Header=BB185_529 Depth=1
	v_mov_b64_e32 v[88:89], 0x7f800001
	v_bfe_u32 v101, v99, 16, 7
	s_mov_b32 s25, exec_lo
	s_delay_alu instid0(VALU_DEP_1)
	v_cmpx_ne_u32_e32 0x7f, v101
	s_cbranch_execz .LBB185_1028
; %bb.1025:                             ;   in Loop: Header=BB185_529 Depth=1
	v_dual_lshrrev_b32 v88, 3, v101 :: v_dual_bitop2_b32 v20, 7, v100 bitop3:0x40
	s_mov_b32 s27, exec_lo
	v_cmpx_gt_u32_e32 8, v101
; %bb.1026:                             ;   in Loop: Header=BB185_529 Depth=1
	s_delay_alu instid0(VALU_DEP_2) | instskip(NEXT) | instid1(VALU_DEP_1)
	v_clz_i32_u32_e32 v88, v20
	v_min_u32_e32 v88, 32, v88
	s_delay_alu instid0(VALU_DEP_1) | instskip(NEXT) | instid1(VALU_DEP_1)
	v_subrev_nc_u32_e32 v89, 28, v88
	v_lshlrev_b64_e32 v[102:103], v89, v[20:21]
	s_delay_alu instid0(VALU_DEP_1)
	v_dual_sub_nc_u32 v88, 29, v88 :: v_dual_bitop2_b32 v20, 7, v102 bitop3:0x40
; %bb.1027:                             ;   in Loop: Header=BB185_529 Depth=1
	s_or_b32 exec_lo, exec_lo, s27
	v_lshlrev_b32_e32 v89, 24, v100
	s_delay_alu instid0(VALU_DEP_2) | instskip(NEXT) | instid1(VALU_DEP_3)
	v_lshlrev_b32_e32 v20, 20, v20
	v_lshl_add_u32 v88, v88, 23, 0x3c000000
	s_delay_alu instid0(VALU_DEP_3) | instskip(NEXT) | instid1(VALU_DEP_1)
	v_and_b32_e32 v89, 0x80000000, v89
	v_or3_b32 v20, v20, v89, v88
	s_delay_alu instid0(VALU_DEP_1)
	v_mov_b64_e32 v[88:89], v[20:21]
.LBB185_1028:                           ;   in Loop: Header=BB185_529 Depth=1
	s_or_b32 exec_lo, exec_lo, s25
.LBB185_1029:                           ;   in Loop: Header=BB185_529 Depth=1
	s_delay_alu instid0(SALU_CYCLE_1)
	s_or_b32 exec_lo, exec_lo, s24
.LBB185_1030:                           ;   in Loop: Header=BB185_529 Depth=1
	s_delay_alu instid0(SALU_CYCLE_1) | instskip(NEXT) | instid1(SALU_CYCLE_1)
	s_or_b32 exec_lo, exec_lo, s23
	s_mov_b32 s23, exec_lo
	v_cmpx_lt_u32_e32 0xffffff, v99
	s_cbranch_execz .LBB185_1038
; %bb.1031:                             ;   in Loop: Header=BB185_529 Depth=1
	v_mov_b64_e32 v[86:87], 0x8000000000000000
	v_lshrrev_b32_e32 v100, 24, v99
	s_mov_b32 s24, exec_lo
	s_delay_alu instid0(VALU_DEP_1)
	v_cmpx_ne_u32_e32 0x80, v100
	s_cbranch_execz .LBB185_1037
; %bb.1032:                             ;   in Loop: Header=BB185_529 Depth=1
	v_mov_b64_e32 v[86:87], 0x7f80000100000000
	v_bfe_u32 v99, v99, 24, 7
	s_mov_b32 s25, exec_lo
	s_delay_alu instid0(VALU_DEP_1)
	v_cmpx_ne_u32_e32 0x7f, v99
	s_cbranch_execz .LBB185_1036
; %bb.1033:                             ;   in Loop: Header=BB185_529 Depth=1
	v_dual_lshrrev_b32 v86, 3, v99 :: v_dual_bitop2_b32 v20, 7, v100 bitop3:0x40
	s_mov_b32 s27, exec_lo
	v_cmpx_gt_u32_e32 8, v99
; %bb.1034:                             ;   in Loop: Header=BB185_529 Depth=1
	s_delay_alu instid0(VALU_DEP_2) | instskip(NEXT) | instid1(VALU_DEP_1)
	v_clz_i32_u32_e32 v86, v20
	v_min_u32_e32 v86, 32, v86
	s_delay_alu instid0(VALU_DEP_1) | instskip(SKIP_1) | instid1(VALU_DEP_2)
	v_subrev_nc_u32_e32 v87, 28, v86
	v_sub_nc_u32_e32 v86, 29, v86
	v_lshlrev_b64_e32 v[102:103], v87, v[20:21]
	s_delay_alu instid0(VALU_DEP_1)
	v_and_b32_e32 v20, 7, v102
; %bb.1035:                             ;   in Loop: Header=BB185_529 Depth=1
	s_or_b32 exec_lo, exec_lo, s27
	v_lshlrev_b32_e32 v87, 24, v100
	s_delay_alu instid0(VALU_DEP_2) | instskip(SKIP_1) | instid1(VALU_DEP_3)
	v_lshlrev_b32_e32 v20, 20, v20
	v_lshl_add_u32 v86, v86, 23, 0x3c000000
	v_and_b32_e32 v87, 0x80000000, v87
	s_delay_alu instid0(VALU_DEP_1)
	v_or3_b32 v87, v20, v87, v86
	v_mov_b32_e32 v86, v21
.LBB185_1036:                           ;   in Loop: Header=BB185_529 Depth=1
	s_or_b32 exec_lo, exec_lo, s25
.LBB185_1037:                           ;   in Loop: Header=BB185_529 Depth=1
	s_delay_alu instid0(SALU_CYCLE_1)
	s_or_b32 exec_lo, exec_lo, s24
.LBB185_1038:                           ;   in Loop: Header=BB185_529 Depth=1
	s_delay_alu instid0(SALU_CYCLE_1)
	s_or_b32 exec_lo, exec_lo, s23
	v_mov_b64_e32 v[100:101], s[8:9]
	v_or_b32_e32 v31, v31, v85
	v_or_b32_e32 v30, v30, v84
	;; [unrolled: 1-line block ×4, first 2 shown]
	s_delay_alu instid0(VALU_DEP_3) | instskip(NEXT) | instid1(VALU_DEP_2)
	v_pk_mul_f32 v[84:85], v[100:101], v[30:31]
	v_pk_mul_f32 v[30:31], v[100:101], v[86:87]
	s_and_saveexec_b32 s0, vcc_lo
	s_cbranch_execz .LBB185_527
; %bb.1039:                             ;   in Loop: Header=BB185_529 Depth=1
	v_cmp_gt_i32_e32 vcc_lo, s18, v98
	v_dual_cndmask_b32 v85, 0, v85, vcc_lo :: v_dual_bitop2_b32 v20, 3, v51 bitop3:0x54
	v_cmp_gt_i32_e32 vcc_lo, s34, v51
	v_dual_cndmask_b32 v84, 0, v84, vcc_lo :: v_dual_bitop2_b32 v86, 2, v51 bitop3:0x54
	s_delay_alu instid0(VALU_DEP_3) | instskip(SKIP_1) | instid1(VALU_DEP_3)
	v_cmp_gt_i32_e32 vcc_lo, s18, v20
	v_cndmask_b32_e32 v31, 0, v31, vcc_lo
	v_cmp_gt_i32_e32 vcc_lo, s34, v86
	v_cndmask_b32_e32 v30, 0, v30, vcc_lo
	s_branch .LBB185_527
.LBB185_1040:
	s_or_b32 exec_lo, exec_lo, s19
	v_dual_mov_b32 v37, v104 :: v_dual_mov_b32 v38, v105
.LBB185_1041:
	s_or_b32 exec_lo, exec_lo, s1
	ds_bpermute_b32 v4, v91, v16
	ds_bpermute_b32 v5, v91, v17
	;; [unrolled: 1-line block ×15, first 2 shown]
	s_mov_b32 s0, exec_lo
	s_wait_dscnt 0x0
	s_barrier_signal -1
	s_barrier_wait -1
	v_pk_add_f32 v[4:5], v[16:17], v[4:5]
	v_pk_add_f32 v[16:17], v[14:15], v[20:21]
	;; [unrolled: 1-line block ×4, first 2 shown]
	ds_bpermute_b32 v28, v92, v16
	ds_bpermute_b32 v29, v92, v17
	v_pk_add_f32 v[18:19], v[12:13], v[22:23]
	v_pk_add_f32 v[24:25], v[10:11], v[24:25]
	ds_bpermute_b32 v8, v92, v0
	v_pk_add_f32 v[26:27], v[6:7], v[26:27]
	ds_bpermute_b32 v9, v92, v1
	ds_bpermute_b32 v20, v92, v2
	;; [unrolled: 1-line block ×11, first 2 shown]
	v_add_f32_e32 v14, v94, v36
	v_and_b32_e32 v36, 0x3c3, v37
	s_wait_dscnt 0xc
	v_pk_add_f32 v[6:7], v[16:17], v[28:29]
	v_and_b32_e32 v16, 28, v90
	ds_bpermute_b32 v15, v92, v14
	s_wait_dscnt 0xb
	v_pk_add_f32 v[12:13], v[0:1], v[8:9]
	s_wait_dscnt 0x9
	v_pk_add_f32 v[10:11], v[2:3], v[20:21]
	s_wait_dscnt 0x7
	v_pk_add_f32 v[8:9], v[4:5], v[22:23]
	s_wait_dscnt 0x5
	v_pk_add_f32 v[4:5], v[18:19], v[30:31]
	s_wait_dscnt 0x3
	v_pk_add_f32 v[2:3], v[24:25], v[32:33]
	s_wait_dscnt 0x1
	v_pk_add_f32 v[0:1], v[26:27], v[34:35]
	v_cmpx_ne_u32_e32 64, v36
	s_xor_b32 s0, exec_lo, s0
	s_delay_alu instid0(SALU_CYCLE_1)
	s_or_saveexec_b32 s0, s0
	s_wait_dscnt 0x0
	v_dual_add_f32 v14, v14, v15 :: v_dual_lshrrev_b32 v15, 2, v90
	v_add_nc_u32_e32 v16, 0x200, v16
	v_mul_u32_u24_e32 v17, 0x1e0, v38
	s_xor_b32 exec_lo, exec_lo, s0
	s_cbranch_execz .LBB185_1043
; %bb.1042:
	s_delay_alu instid0(VALU_DEP_1) | instskip(NEXT) | instid1(VALU_DEP_1)
	v_add_nc_u32_e32 v18, v16, v17
	v_add_nc_u32_e32 v19, 0xfffffc40, v18
	;; [unrolled: 1-line block ×9, first 2 shown]
	ds_store_b32 v19, v12
	ds_store_b32 v20, v13
	;; [unrolled: 1-line block ×8, first 2 shown]
	v_add_nc_u32_e32 v19, 0xfffffd40, v18
	v_add_nc_u32_e32 v20, 0xfffffd60, v18
	;; [unrolled: 1-line block ×7, first 2 shown]
	ds_store_b32 v19, v4
	ds_store_b32 v20, v5
	ds_store_b32 v21, v2
	ds_store_b32 v22, v3
	ds_store_b32 v23, v0
	ds_store_b32 v24, v1
	ds_store_b32 v18, v14
.LBB185_1043:
	s_or_b32 exec_lo, exec_lo, s0
	v_lshlrev_b32_e32 v15, 2, v15
	s_mov_b32 s1, exec_lo
	v_cmp_eq_u32_e32 vcc_lo, 0, v93
	s_wait_dscnt 0x0
	s_barrier_signal -1
	v_add3_u32 v15, 0x200, v17, v15
	s_barrier_wait -1
	v_cmpx_gt_u32_e32 64, v37
	s_cbranch_execz .LBB185_1061
; %bb.1044:
	s_and_saveexec_b32 s0, vcc_lo
	s_cbranch_execnz .LBB185_1084
; %bb.1045:
	s_or_b32 exec_lo, exec_lo, s0
	s_and_saveexec_b32 s0, vcc_lo
	s_cbranch_execnz .LBB185_1085
.LBB185_1046:
	s_or_b32 exec_lo, exec_lo, s0
	s_and_saveexec_b32 s0, vcc_lo
	s_cbranch_execnz .LBB185_1086
.LBB185_1047:
	s_or_b32 exec_lo, exec_lo, s0
	s_and_saveexec_b32 s0, vcc_lo
	s_cbranch_execnz .LBB185_1087
.LBB185_1048:
	s_or_b32 exec_lo, exec_lo, s0
	s_and_saveexec_b32 s0, vcc_lo
	s_cbranch_execnz .LBB185_1088
.LBB185_1049:
	s_or_b32 exec_lo, exec_lo, s0
	s_and_saveexec_b32 s0, vcc_lo
	s_cbranch_execnz .LBB185_1089
.LBB185_1050:
	s_or_b32 exec_lo, exec_lo, s0
	s_and_saveexec_b32 s0, vcc_lo
	s_cbranch_execnz .LBB185_1090
.LBB185_1051:
	s_or_b32 exec_lo, exec_lo, s0
	s_and_saveexec_b32 s0, vcc_lo
	s_cbranch_execnz .LBB185_1091
.LBB185_1052:
	s_or_b32 exec_lo, exec_lo, s0
	s_and_saveexec_b32 s0, vcc_lo
	s_cbranch_execnz .LBB185_1092
.LBB185_1053:
	s_or_b32 exec_lo, exec_lo, s0
	s_and_saveexec_b32 s0, vcc_lo
	s_cbranch_execnz .LBB185_1093
.LBB185_1054:
	s_or_b32 exec_lo, exec_lo, s0
	s_and_saveexec_b32 s0, vcc_lo
	s_cbranch_execnz .LBB185_1094
.LBB185_1055:
	s_or_b32 exec_lo, exec_lo, s0
	s_and_saveexec_b32 s0, vcc_lo
	s_cbranch_execnz .LBB185_1095
.LBB185_1056:
	s_or_b32 exec_lo, exec_lo, s0
	s_and_saveexec_b32 s0, vcc_lo
	s_cbranch_execnz .LBB185_1096
.LBB185_1057:
	s_or_b32 exec_lo, exec_lo, s0
	s_and_saveexec_b32 s0, vcc_lo
	s_cbranch_execnz .LBB185_1097
.LBB185_1058:
	s_or_b32 exec_lo, exec_lo, s0
	s_and_saveexec_b32 s0, vcc_lo
	s_cbranch_execz .LBB185_1060
.LBB185_1059:
	ds_load_b32 v17, v15 offset:448
	s_wait_dscnt 0x0
	v_add_f32_e32 v14, v14, v17
.LBB185_1060:
	s_or_b32 exec_lo, exec_lo, s0
.LBB185_1061:
	s_delay_alu instid0(SALU_CYCLE_1) | instskip(SKIP_4) | instid1(VALU_DEP_1)
	s_or_b32 exec_lo, exec_lo, s1
	v_and_b32_e32 v17, 0x3e3, v37
	s_mov_b32 s1, exec_lo
	s_barrier_signal -1
	s_barrier_wait -1
	v_cmpx_eq_u32_e32 32, v17
	s_cbranch_execz .LBB185_1063
; %bb.1062:
	ds_store_2addr_b32 v16, v12, v13 offset1:8
	ds_store_2addr_b32 v16, v10, v11 offset0:16 offset1:24
	ds_store_2addr_b32 v16, v8, v9 offset0:32 offset1:40
	ds_store_2addr_b32 v16, v6, v7 offset0:48 offset1:56
	ds_store_2addr_b32 v16, v4, v5 offset0:64 offset1:72
	ds_store_2addr_b32 v16, v2, v3 offset0:80 offset1:88
	ds_store_2addr_b32 v16, v0, v1 offset0:96 offset1:104
	ds_store_b32 v16, v14 offset:448
.LBB185_1063:
	s_or_b32 exec_lo, exec_lo, s1
	s_delay_alu instid0(SALU_CYCLE_1)
	s_mov_b32 s1, exec_lo
	s_wait_dscnt 0x0
	s_barrier_signal -1
	s_barrier_wait -1
	v_cmpx_gt_u32_e32 32, v37
	s_cbranch_execz .LBB185_1081
; %bb.1064:
	s_and_saveexec_b32 s0, vcc_lo
	s_cbranch_execnz .LBB185_1098
; %bb.1065:
	s_or_b32 exec_lo, exec_lo, s0
	s_and_saveexec_b32 s0, vcc_lo
	s_cbranch_execnz .LBB185_1099
.LBB185_1066:
	s_or_b32 exec_lo, exec_lo, s0
	s_and_saveexec_b32 s0, vcc_lo
	s_cbranch_execnz .LBB185_1100
.LBB185_1067:
	s_or_b32 exec_lo, exec_lo, s0
	s_and_saveexec_b32 s0, vcc_lo
	s_cbranch_execnz .LBB185_1101
.LBB185_1068:
	s_or_b32 exec_lo, exec_lo, s0
	s_and_saveexec_b32 s0, vcc_lo
	s_cbranch_execnz .LBB185_1102
.LBB185_1069:
	s_or_b32 exec_lo, exec_lo, s0
	s_and_saveexec_b32 s0, vcc_lo
	s_cbranch_execnz .LBB185_1103
.LBB185_1070:
	s_or_b32 exec_lo, exec_lo, s0
	s_and_saveexec_b32 s0, vcc_lo
	s_cbranch_execnz .LBB185_1104
.LBB185_1071:
	s_or_b32 exec_lo, exec_lo, s0
	s_and_saveexec_b32 s0, vcc_lo
	s_cbranch_execnz .LBB185_1105
.LBB185_1072:
	s_or_b32 exec_lo, exec_lo, s0
	s_and_saveexec_b32 s0, vcc_lo
	s_cbranch_execnz .LBB185_1106
.LBB185_1073:
	s_or_b32 exec_lo, exec_lo, s0
	s_and_saveexec_b32 s0, vcc_lo
	s_cbranch_execnz .LBB185_1107
.LBB185_1074:
	s_or_b32 exec_lo, exec_lo, s0
	s_and_saveexec_b32 s0, vcc_lo
	s_cbranch_execnz .LBB185_1108
.LBB185_1075:
	s_or_b32 exec_lo, exec_lo, s0
	s_and_saveexec_b32 s0, vcc_lo
	s_cbranch_execnz .LBB185_1109
.LBB185_1076:
	s_or_b32 exec_lo, exec_lo, s0
	s_and_saveexec_b32 s0, vcc_lo
	s_cbranch_execnz .LBB185_1110
.LBB185_1077:
	s_or_b32 exec_lo, exec_lo, s0
	s_and_saveexec_b32 s0, vcc_lo
	s_cbranch_execnz .LBB185_1111
.LBB185_1078:
	s_or_b32 exec_lo, exec_lo, s0
	s_and_saveexec_b32 s0, vcc_lo
	s_cbranch_execz .LBB185_1080
.LBB185_1079:
	ds_load_b32 v15, v15 offset:448
	s_wait_dscnt 0x0
	v_add_f32_e32 v14, v14, v15
.LBB185_1080:
	s_or_b32 exec_lo, exec_lo, s0
.LBB185_1081:
	s_delay_alu instid0(SALU_CYCLE_1)
	s_or_b32 exec_lo, exec_lo, s1
	s_mov_b32 s1, 0
	s_barrier_signal -1
	s_barrier_wait -1
	s_mov_b32 s0, exec_lo
	v_cmpx_eq_u32_e32 0, v17
	s_cbranch_execz .LBB185_1083
; %bb.1082:
	s_mul_i32 s0, s33, s7
	s_mul_i32 s2, s7, s6
	s_mul_i32 s0, s0, s31
	s_wait_kmcnt 0x0
	s_lshr_b32 s8, ttmp7, 16
	s_mul_i32 s6, s0, 0x78
	s_bfe_u32 s0, ttmp6, 0x40014
	s_ashr_i32 s7, s6, 31
	s_add_co_i32 s0, s0, 1
	s_ashr_i32 s3, s2, 31
	s_mul_i32 s0, s8, s0
	s_bfe_u32 s9, ttmp6, 0x40008
	s_lshl_b64 s[6:7], s[6:7], 2
	s_lshl_b64 s[2:3], s[2:3], 2
	s_add_co_i32 s9, s9, s0
	s_cmp_eq_u32 s30, 0
	s_add_nc_u64 s[4:5], s[4:5], s[6:7]
	s_cselect_b32 s0, s8, s9
	s_add_nc_u64 s[2:3], s[4:5], s[2:3]
	s_mulk_i32 s0, 0x1e0
	s_delay_alu instid0(SALU_CYCLE_1)
	s_add_nc_u64 s[0:1], s[2:3], s[0:1]
	s_clause 0xe
	global_store_b32 v37, v12, s[0:1]
	global_store_b32 v37, v13, s[0:1] offset:32
	global_store_b32 v37, v10, s[0:1] offset:64
	;; [unrolled: 1-line block ×14, first 2 shown]
.LBB185_1083:
	s_sendmsg sendmsg(MSG_DEALLOC_VGPRS)
	s_endpgm
.LBB185_1084:
	ds_load_b32 v17, v15
	s_wait_dscnt 0x0
	v_add_f32_e32 v12, v12, v17
	s_or_b32 exec_lo, exec_lo, s0
	s_and_saveexec_b32 s0, vcc_lo
	s_cbranch_execz .LBB185_1046
.LBB185_1085:
	ds_load_b32 v17, v15 offset:32
	s_wait_dscnt 0x0
	v_add_f32_e32 v13, v13, v17
	s_or_b32 exec_lo, exec_lo, s0
	s_and_saveexec_b32 s0, vcc_lo
	s_cbranch_execz .LBB185_1047
.LBB185_1086:
	ds_load_b32 v17, v15 offset:64
	s_wait_dscnt 0x0
	v_add_f32_e32 v10, v10, v17
	s_or_b32 exec_lo, exec_lo, s0
	s_and_saveexec_b32 s0, vcc_lo
	s_cbranch_execz .LBB185_1048
.LBB185_1087:
	ds_load_b32 v17, v15 offset:96
	s_wait_dscnt 0x0
	v_add_f32_e32 v11, v11, v17
	s_or_b32 exec_lo, exec_lo, s0
	s_and_saveexec_b32 s0, vcc_lo
	s_cbranch_execz .LBB185_1049
.LBB185_1088:
	ds_load_b32 v17, v15 offset:128
	s_wait_dscnt 0x0
	v_add_f32_e32 v8, v8, v17
	s_or_b32 exec_lo, exec_lo, s0
	s_and_saveexec_b32 s0, vcc_lo
	s_cbranch_execz .LBB185_1050
.LBB185_1089:
	ds_load_b32 v17, v15 offset:160
	s_wait_dscnt 0x0
	v_add_f32_e32 v9, v9, v17
	s_or_b32 exec_lo, exec_lo, s0
	s_and_saveexec_b32 s0, vcc_lo
	s_cbranch_execz .LBB185_1051
.LBB185_1090:
	ds_load_b32 v17, v15 offset:192
	s_wait_dscnt 0x0
	v_add_f32_e32 v6, v6, v17
	s_or_b32 exec_lo, exec_lo, s0
	s_and_saveexec_b32 s0, vcc_lo
	s_cbranch_execz .LBB185_1052
.LBB185_1091:
	ds_load_b32 v17, v15 offset:224
	s_wait_dscnt 0x0
	v_add_f32_e32 v7, v7, v17
	s_or_b32 exec_lo, exec_lo, s0
	s_and_saveexec_b32 s0, vcc_lo
	s_cbranch_execz .LBB185_1053
.LBB185_1092:
	ds_load_b32 v17, v15 offset:256
	s_wait_dscnt 0x0
	v_add_f32_e32 v4, v4, v17
	s_or_b32 exec_lo, exec_lo, s0
	s_and_saveexec_b32 s0, vcc_lo
	s_cbranch_execz .LBB185_1054
.LBB185_1093:
	ds_load_b32 v17, v15 offset:288
	s_wait_dscnt 0x0
	v_add_f32_e32 v5, v5, v17
	s_or_b32 exec_lo, exec_lo, s0
	s_and_saveexec_b32 s0, vcc_lo
	s_cbranch_execz .LBB185_1055
.LBB185_1094:
	ds_load_b32 v17, v15 offset:320
	s_wait_dscnt 0x0
	v_add_f32_e32 v2, v2, v17
	s_or_b32 exec_lo, exec_lo, s0
	s_and_saveexec_b32 s0, vcc_lo
	s_cbranch_execz .LBB185_1056
.LBB185_1095:
	ds_load_b32 v17, v15 offset:352
	s_wait_dscnt 0x0
	v_add_f32_e32 v3, v3, v17
	s_or_b32 exec_lo, exec_lo, s0
	s_and_saveexec_b32 s0, vcc_lo
	s_cbranch_execz .LBB185_1057
.LBB185_1096:
	ds_load_b32 v17, v15 offset:384
	s_wait_dscnt 0x0
	v_add_f32_e32 v0, v0, v17
	s_or_b32 exec_lo, exec_lo, s0
	s_and_saveexec_b32 s0, vcc_lo
	s_cbranch_execz .LBB185_1058
.LBB185_1097:
	ds_load_b32 v17, v15 offset:416
	s_wait_dscnt 0x0
	v_add_f32_e32 v1, v1, v17
	s_or_b32 exec_lo, exec_lo, s0
	s_and_saveexec_b32 s0, vcc_lo
	s_cbranch_execnz .LBB185_1059
	s_branch .LBB185_1060
.LBB185_1098:
	ds_load_b32 v16, v15
	s_wait_dscnt 0x0
	v_add_f32_e32 v12, v12, v16
	s_or_b32 exec_lo, exec_lo, s0
	s_and_saveexec_b32 s0, vcc_lo
	s_cbranch_execz .LBB185_1066
.LBB185_1099:
	ds_load_b32 v16, v15 offset:32
	s_wait_dscnt 0x0
	v_add_f32_e32 v13, v13, v16
	s_or_b32 exec_lo, exec_lo, s0
	s_and_saveexec_b32 s0, vcc_lo
	s_cbranch_execz .LBB185_1067
.LBB185_1100:
	ds_load_b32 v16, v15 offset:64
	s_wait_dscnt 0x0
	v_add_f32_e32 v10, v10, v16
	s_or_b32 exec_lo, exec_lo, s0
	s_and_saveexec_b32 s0, vcc_lo
	s_cbranch_execz .LBB185_1068
.LBB185_1101:
	ds_load_b32 v16, v15 offset:96
	s_wait_dscnt 0x0
	v_add_f32_e32 v11, v11, v16
	s_or_b32 exec_lo, exec_lo, s0
	s_and_saveexec_b32 s0, vcc_lo
	s_cbranch_execz .LBB185_1069
.LBB185_1102:
	ds_load_b32 v16, v15 offset:128
	s_wait_dscnt 0x0
	v_add_f32_e32 v8, v8, v16
	s_or_b32 exec_lo, exec_lo, s0
	s_and_saveexec_b32 s0, vcc_lo
	s_cbranch_execz .LBB185_1070
.LBB185_1103:
	ds_load_b32 v16, v15 offset:160
	s_wait_dscnt 0x0
	v_add_f32_e32 v9, v9, v16
	s_or_b32 exec_lo, exec_lo, s0
	s_and_saveexec_b32 s0, vcc_lo
	s_cbranch_execz .LBB185_1071
.LBB185_1104:
	ds_load_b32 v16, v15 offset:192
	s_wait_dscnt 0x0
	v_add_f32_e32 v6, v6, v16
	s_or_b32 exec_lo, exec_lo, s0
	s_and_saveexec_b32 s0, vcc_lo
	s_cbranch_execz .LBB185_1072
.LBB185_1105:
	ds_load_b32 v16, v15 offset:224
	s_wait_dscnt 0x0
	v_add_f32_e32 v7, v7, v16
	s_or_b32 exec_lo, exec_lo, s0
	s_and_saveexec_b32 s0, vcc_lo
	s_cbranch_execz .LBB185_1073
.LBB185_1106:
	ds_load_b32 v16, v15 offset:256
	s_wait_dscnt 0x0
	v_add_f32_e32 v4, v4, v16
	s_or_b32 exec_lo, exec_lo, s0
	s_and_saveexec_b32 s0, vcc_lo
	s_cbranch_execz .LBB185_1074
.LBB185_1107:
	ds_load_b32 v16, v15 offset:288
	s_wait_dscnt 0x0
	v_add_f32_e32 v5, v5, v16
	s_or_b32 exec_lo, exec_lo, s0
	s_and_saveexec_b32 s0, vcc_lo
	s_cbranch_execz .LBB185_1075
.LBB185_1108:
	ds_load_b32 v16, v15 offset:320
	s_wait_dscnt 0x0
	v_add_f32_e32 v2, v2, v16
	s_or_b32 exec_lo, exec_lo, s0
	s_and_saveexec_b32 s0, vcc_lo
	s_cbranch_execz .LBB185_1076
.LBB185_1109:
	ds_load_b32 v16, v15 offset:352
	s_wait_dscnt 0x0
	v_add_f32_e32 v3, v3, v16
	s_or_b32 exec_lo, exec_lo, s0
	s_and_saveexec_b32 s0, vcc_lo
	s_cbranch_execz .LBB185_1077
.LBB185_1110:
	ds_load_b32 v16, v15 offset:384
	s_wait_dscnt 0x0
	v_add_f32_e32 v0, v0, v16
	s_or_b32 exec_lo, exec_lo, s0
	s_and_saveexec_b32 s0, vcc_lo
	s_cbranch_execz .LBB185_1078
.LBB185_1111:
	ds_load_b32 v16, v15 offset:416
	s_wait_dscnt 0x0
	v_add_f32_e32 v1, v1, v16
	s_or_b32 exec_lo, exec_lo, s0
	s_and_saveexec_b32 s0, vcc_lo
	s_cbranch_execnz .LBB185_1079
	s_branch .LBB185_1080
	.section	.rodata,"a",@progbits
	.p2align	6, 0x0
	.amdhsa_kernel _ZN4vllm25paged_attention_v1_kernelIfhLi120ELi16ELi128ELNS_18Fp8KVCacheDataTypeE1ELb1EEEvPT_PKS2_PKT0_S8_ifPKiSA_iPKfiiiSC_SC_iiiii
		.amdhsa_group_segment_fixed_size 512
		.amdhsa_private_segment_fixed_size 256
		.amdhsa_kernarg_size 384
		.amdhsa_user_sgpr_count 2
		.amdhsa_user_sgpr_dispatch_ptr 0
		.amdhsa_user_sgpr_queue_ptr 0
		.amdhsa_user_sgpr_kernarg_segment_ptr 1
		.amdhsa_user_sgpr_dispatch_id 0
		.amdhsa_user_sgpr_kernarg_preload_length 0
		.amdhsa_user_sgpr_kernarg_preload_offset 0
		.amdhsa_user_sgpr_private_segment_size 0
		.amdhsa_wavefront_size32 1
		.amdhsa_uses_dynamic_stack 0
		.amdhsa_enable_private_segment 1
		.amdhsa_system_sgpr_workgroup_id_x 1
		.amdhsa_system_sgpr_workgroup_id_y 1
		.amdhsa_system_sgpr_workgroup_id_z 1
		.amdhsa_system_sgpr_workgroup_info 0
		.amdhsa_system_vgpr_workitem_id 0
		.amdhsa_next_free_vgpr 128
		.amdhsa_next_free_sgpr 46
		.amdhsa_named_barrier_count 0
		.amdhsa_reserve_vcc 1
		.amdhsa_float_round_mode_32 0
		.amdhsa_float_round_mode_16_64 0
		.amdhsa_float_denorm_mode_32 3
		.amdhsa_float_denorm_mode_16_64 3
		.amdhsa_fp16_overflow 0
		.amdhsa_memory_ordered 1
		.amdhsa_forward_progress 1
		.amdhsa_inst_pref_size 255
		.amdhsa_round_robin_scheduling 0
		.amdhsa_exception_fp_ieee_invalid_op 0
		.amdhsa_exception_fp_denorm_src 0
		.amdhsa_exception_fp_ieee_div_zero 0
		.amdhsa_exception_fp_ieee_overflow 0
		.amdhsa_exception_fp_ieee_underflow 0
		.amdhsa_exception_fp_ieee_inexact 0
		.amdhsa_exception_int_div_zero 0
	.end_amdhsa_kernel
	.section	.text._ZN4vllm25paged_attention_v1_kernelIfhLi120ELi16ELi128ELNS_18Fp8KVCacheDataTypeE1ELb1EEEvPT_PKS2_PKT0_S8_ifPKiSA_iPKfiiiSC_SC_iiiii,"axG",@progbits,_ZN4vllm25paged_attention_v1_kernelIfhLi120ELi16ELi128ELNS_18Fp8KVCacheDataTypeE1ELb1EEEvPT_PKS2_PKT0_S8_ifPKiSA_iPKfiiiSC_SC_iiiii,comdat
.Lfunc_end185:
	.size	_ZN4vllm25paged_attention_v1_kernelIfhLi120ELi16ELi128ELNS_18Fp8KVCacheDataTypeE1ELb1EEEvPT_PKS2_PKT0_S8_ifPKiSA_iPKfiiiSC_SC_iiiii, .Lfunc_end185-_ZN4vllm25paged_attention_v1_kernelIfhLi120ELi16ELi128ELNS_18Fp8KVCacheDataTypeE1ELb1EEEvPT_PKS2_PKT0_S8_ifPKiSA_iPKfiiiSC_SC_iiiii
                                        ; -- End function
	.set _ZN4vllm25paged_attention_v1_kernelIfhLi120ELi16ELi128ELNS_18Fp8KVCacheDataTypeE1ELb1EEEvPT_PKS2_PKT0_S8_ifPKiSA_iPKfiiiSC_SC_iiiii.num_vgpr, 128
	.set _ZN4vllm25paged_attention_v1_kernelIfhLi120ELi16ELi128ELNS_18Fp8KVCacheDataTypeE1ELb1EEEvPT_PKS2_PKT0_S8_ifPKiSA_iPKfiiiSC_SC_iiiii.num_agpr, 0
	.set _ZN4vllm25paged_attention_v1_kernelIfhLi120ELi16ELi128ELNS_18Fp8KVCacheDataTypeE1ELb1EEEvPT_PKS2_PKT0_S8_ifPKiSA_iPKfiiiSC_SC_iiiii.numbered_sgpr, 46
	.set _ZN4vllm25paged_attention_v1_kernelIfhLi120ELi16ELi128ELNS_18Fp8KVCacheDataTypeE1ELb1EEEvPT_PKS2_PKT0_S8_ifPKiSA_iPKfiiiSC_SC_iiiii.num_named_barrier, 0
	.set _ZN4vllm25paged_attention_v1_kernelIfhLi120ELi16ELi128ELNS_18Fp8KVCacheDataTypeE1ELb1EEEvPT_PKS2_PKT0_S8_ifPKiSA_iPKfiiiSC_SC_iiiii.private_seg_size, 256
	.set _ZN4vllm25paged_attention_v1_kernelIfhLi120ELi16ELi128ELNS_18Fp8KVCacheDataTypeE1ELb1EEEvPT_PKS2_PKT0_S8_ifPKiSA_iPKfiiiSC_SC_iiiii.uses_vcc, 1
	.set _ZN4vllm25paged_attention_v1_kernelIfhLi120ELi16ELi128ELNS_18Fp8KVCacheDataTypeE1ELb1EEEvPT_PKS2_PKT0_S8_ifPKiSA_iPKfiiiSC_SC_iiiii.uses_flat_scratch, 1
	.set _ZN4vllm25paged_attention_v1_kernelIfhLi120ELi16ELi128ELNS_18Fp8KVCacheDataTypeE1ELb1EEEvPT_PKS2_PKT0_S8_ifPKiSA_iPKfiiiSC_SC_iiiii.has_dyn_sized_stack, 0
	.set _ZN4vllm25paged_attention_v1_kernelIfhLi120ELi16ELi128ELNS_18Fp8KVCacheDataTypeE1ELb1EEEvPT_PKS2_PKT0_S8_ifPKiSA_iPKfiiiSC_SC_iiiii.has_recursion, 0
	.set _ZN4vllm25paged_attention_v1_kernelIfhLi120ELi16ELi128ELNS_18Fp8KVCacheDataTypeE1ELb1EEEvPT_PKS2_PKT0_S8_ifPKiSA_iPKfiiiSC_SC_iiiii.has_indirect_call, 0
	.section	.AMDGPU.csdata,"",@progbits
; Kernel info:
; codeLenInByte = 39600
; TotalNumSgprs: 48
; NumVgprs: 128
; ScratchSize: 256
; MemoryBound: 0
; FloatMode: 240
; IeeeMode: 1
; LDSByteSize: 512 bytes/workgroup (compile time only)
; SGPRBlocks: 0
; VGPRBlocks: 7
; NumSGPRsForWavesPerEU: 48
; NumVGPRsForWavesPerEU: 128
; NamedBarCnt: 0
; Occupancy: 8
; WaveLimiterHint : 1
; COMPUTE_PGM_RSRC2:SCRATCH_EN: 1
; COMPUTE_PGM_RSRC2:USER_SGPR: 2
; COMPUTE_PGM_RSRC2:TRAP_HANDLER: 0
; COMPUTE_PGM_RSRC2:TGID_X_EN: 1
; COMPUTE_PGM_RSRC2:TGID_Y_EN: 1
; COMPUTE_PGM_RSRC2:TGID_Z_EN: 1
; COMPUTE_PGM_RSRC2:TIDIG_COMP_CNT: 0
	.section	.text._ZN4vllm25paged_attention_v1_kernelIfhLi128ELi16ELi128ELNS_18Fp8KVCacheDataTypeE1ELb1EEEvPT_PKS2_PKT0_S8_ifPKiSA_iPKfiiiSC_SC_iiiii,"axG",@progbits,_ZN4vllm25paged_attention_v1_kernelIfhLi128ELi16ELi128ELNS_18Fp8KVCacheDataTypeE1ELb1EEEvPT_PKS2_PKT0_S8_ifPKiSA_iPKfiiiSC_SC_iiiii,comdat
	.protected	_ZN4vllm25paged_attention_v1_kernelIfhLi128ELi16ELi128ELNS_18Fp8KVCacheDataTypeE1ELb1EEEvPT_PKS2_PKT0_S8_ifPKiSA_iPKfiiiSC_SC_iiiii ; -- Begin function _ZN4vllm25paged_attention_v1_kernelIfhLi128ELi16ELi128ELNS_18Fp8KVCacheDataTypeE1ELb1EEEvPT_PKS2_PKT0_S8_ifPKiSA_iPKfiiiSC_SC_iiiii
	.globl	_ZN4vllm25paged_attention_v1_kernelIfhLi128ELi16ELi128ELNS_18Fp8KVCacheDataTypeE1ELb1EEEvPT_PKS2_PKT0_S8_ifPKiSA_iPKfiiiSC_SC_iiiii
	.p2align	8
	.type	_ZN4vllm25paged_attention_v1_kernelIfhLi128ELi16ELi128ELNS_18Fp8KVCacheDataTypeE1ELb1EEEvPT_PKS2_PKT0_S8_ifPKiSA_iPKfiiiSC_SC_iiiii,@function
_ZN4vllm25paged_attention_v1_kernelIfhLi128ELi16ELi128ELNS_18Fp8KVCacheDataTypeE1ELb1EEEvPT_PKS2_PKT0_S8_ifPKiSA_iPKfiiiSC_SC_iiiii: ; @_ZN4vllm25paged_attention_v1_kernelIfhLi128ELi16ELi128ELNS_18Fp8KVCacheDataTypeE1ELb1EEEvPT_PKS2_PKT0_S8_ifPKiSA_iPKfiiiSC_SC_iiiii
; %bb.0:
	s_load_b64 s[6:7], s[0:1], 0x20
	s_bfe_u32 s3, ttmp6, 0x4000c
	s_bfe_u32 s5, ttmp6, 0x40010
	s_and_b32 s4, ttmp7, 0xffff
	s_add_co_i32 s3, s3, 1
	s_add_co_i32 s5, s5, 1
	s_and_b32 s2, ttmp6, 15
	s_bfe_u32 s8, ttmp6, 0x40004
	s_mul_i32 s3, ttmp9, s3
	s_mul_i32 s5, s4, s5
	s_getreg_b32 s30, hwreg(HW_REG_IB_STS2, 6, 4)
	s_add_co_i32 s9, s2, s3
	s_add_co_i32 s8, s8, s5
	s_cmp_eq_u32 s30, 0
	v_mov_b32_e32 v40, v0
	s_cselect_b32 s33, s4, s8
	s_cselect_b32 s4, ttmp9, s9
	s_clause 0x1
	s_load_b32 s31, s[0:1], 0x80
	s_load_b64 s[2:3], s[0:1], 0x30
	s_wait_kmcnt 0x0
	s_abs_i32 s5, s6
	s_delay_alu instid0(SALU_CYCLE_1) | instskip(SKIP_1) | instid1(SALU_CYCLE_2)
	s_cvt_f32_u32 s8, s5
	s_sub_co_i32 s9, 0, s5
	v_rcp_iflag_f32_e32 v0, s8
	v_nop
	s_delay_alu instid0(TRANS32_DEP_1) | instskip(SKIP_2) | instid1(SALU_CYCLE_3)
	v_readfirstlane_b32 s8, v0
	s_abs_i32 s10, s31
	s_mul_f32 s8, s8, 0x4f7ffffe
	s_cvt_u32_f32 s8, s8
	s_delay_alu instid0(SALU_CYCLE_3) | instskip(NEXT) | instid1(SALU_CYCLE_1)
	s_mul_i32 s9, s9, s8
	s_mul_hi_u32 s9, s8, s9
	s_delay_alu instid0(SALU_CYCLE_1) | instskip(SKIP_4) | instid1(SALU_CYCLE_1)
	s_add_co_i32 s8, s8, s9
	s_xor_b32 s9, s31, s6
	s_mul_hi_u32 s8, s10, s8
	s_ashr_i32 s9, s9, 31
	s_mul_i32 s11, s8, s5
	s_sub_co_i32 s10, s10, s11
	s_add_co_i32 s11, s8, 1
	s_sub_co_i32 s12, s10, s5
	s_cmp_ge_u32 s10, s5
	s_cselect_b32 s8, s11, s8
	s_cselect_b32 s10, s12, s10
	s_add_co_i32 s11, s8, 1
	s_cmp_ge_u32 s10, s5
	s_load_b64 s[12:13], s[0:1], 0x40
	s_cselect_b32 s5, s11, s8
	s_delay_alu instid0(SALU_CYCLE_1) | instskip(NEXT) | instid1(SALU_CYCLE_1)
	s_xor_b32 s5, s5, s9
	s_sub_co_i32 s14, s5, s9
	s_mov_b32 s9, 0
	s_abs_i32 s19, s14
	s_mov_b32 s11, s9
	s_cvt_f32_u32 s5, s19
	s_sub_co_i32 s8, 0, s19
	s_mov_b32 s37, s9
	s_delay_alu instid0(SALU_CYCLE_1) | instskip(SKIP_1) | instid1(TRANS32_DEP_1)
	v_rcp_iflag_f32_e32 v0, s5
	v_nop
	v_readfirstlane_b32 s5, v0
	s_mul_f32 s5, s5, 0x4f7ffffe
	s_delay_alu instid0(SALU_CYCLE_3) | instskip(NEXT) | instid1(SALU_CYCLE_3)
	s_cvt_u32_f32 s5, s5
	s_mul_i32 s8, s8, s5
	s_delay_alu instid0(SALU_CYCLE_1)
	s_mul_hi_u32 s10, s5, s8
	s_abs_i32 s8, s4
	s_add_co_i32 s10, s5, s10
	s_wait_kmcnt 0x0
	s_cmp_eq_u64 s[12:13], 0
	s_cbranch_scc1 .LBB186_2
; %bb.1:
	s_ashr_i32 s5, s4, 31
	s_delay_alu instid0(SALU_CYCLE_1) | instskip(NEXT) | instid1(SALU_CYCLE_1)
	s_lshl_b64 s[16:17], s[4:5], 2
	s_add_nc_u64 s[12:13], s[12:13], s[16:17]
	s_load_b32 s37, s[12:13], 0x0
.LBB186_2:
	s_load_b32 s34, s[2:3], s33 offset:0x0 scale_offset
	s_load_b96 s[16:18], s[0:1], 0x48
	v_dual_lshlrev_b32 v24, 2, v40 :: v_dual_bitop2_b32 v0, 1, v40 bitop3:0x40
	s_wait_xcnt 0x0
	v_cmp_gt_u32_e64 s2, 64, v40
	s_ashr_i32 s3, s4, 31
	s_ashr_i32 s5, s14, 31
	s_mul_u64 s[10:11], s[8:9], s[10:11]
	s_lshl_b32 s20, s4, 7
	s_and_saveexec_b32 s9, s2
	s_cbranch_execz .LBB186_4
; %bb.3:
	s_load_b64 s[12:13], s[0:1], 0x8
	s_wait_kmcnt 0x0
	s_mul_i32 s14, s16, s33
	s_ashr_i32 s21, s20, 31
	s_ashr_i32 s15, s14, 31
	v_and_b32_e32 v1, 0xff8, v24
	s_lshl_b64 s[14:15], s[14:15], 2
	s_delay_alu instid0(VALU_DEP_1) | instskip(SKIP_2) | instid1(SALU_CYCLE_1)
	v_lshl_add_u32 v1, v0, 8, v1
	s_add_nc_u64 s[12:13], s[12:13], s[14:15]
	s_lshl_b64 s[14:15], s[20:21], 2
	s_add_nc_u64 s[12:13], s[12:13], s[14:15]
	global_load_b64 v[2:3], v40, s[12:13] scale_offset
	s_wait_loadcnt 0x0
	ds_store_b64 v1, v[2:3]
.LBB186_4:
	s_or_b32 exec_lo, exec_lo, s9
	s_load_b128 s[12:15], s[0:1], 0x68
	s_mul_i32 s9, s11, s19
	s_xor_b32 s5, s3, s5
	s_sub_co_i32 s3, s8, s9
	s_add_co_i32 s8, s11, 1
	s_sub_co_i32 s9, s3, s19
	s_cmp_ge_u32 s3, s19
	s_wait_dscnt 0x0
	s_cselect_b32 s8, s8, s11
	s_cselect_b32 s3, s9, s3
	s_add_co_i32 s9, s8, 1
	s_cmp_ge_u32 s3, s19
	s_load_b32 s3, s[0:1], 0x78
	s_cselect_b32 s8, s9, s8
	s_wait_kmcnt 0x0
	s_add_co_i32 s10, s34, -1
	s_xor_b32 s8, s8, s5
	s_mov_b32 s11, -1
	s_sub_co_i32 s5, s8, s5
	s_barrier_signal -1
	s_barrier_wait -1
	s_abs_i32 s16, s15
	s_delay_alu instid0(SALU_CYCLE_1) | instskip(NEXT) | instid1(SALU_CYCLE_3)
	s_cvt_f32_u32 s9, s16
	v_rcp_iflag_f32_e32 v1, s9
	v_nop
	s_delay_alu instid0(TRANS32_DEP_1) | instskip(SKIP_1) | instid1(SALU_CYCLE_3)
	v_readfirstlane_b32 s9, v1
	s_mul_f32 s8, s9, 0x4f7ffffe
	s_cvt_u32_f32 s19, s8
	s_sub_co_i32 s8, 0, s16
	s_delay_alu instid0(SALU_CYCLE_2)
	s_mul_i32 s9, s8, s19
	s_abs_i32 s8, s10
	s_mul_hi_u32 s21, s19, s9
	s_mov_b32 s9, 0
	s_add_co_i32 s22, s19, s21
	s_cmp_lt_i32 s3, 0
	s_mov_b32 s23, s9
                                        ; implicit-def: $sgpr21
	s_cbranch_scc0 .LBB186_6
; %bb.5:
	s_mul_i32 s6, s12, s6
	s_mov_b32 s11, s9
	s_add_co_i32 s6, s5, s6
	s_delay_alu instid0(SALU_CYCLE_1) | instskip(NEXT) | instid1(SALU_CYCLE_1)
	s_mul_i32 s6, s6, s3
	s_sub_co_i32 s21, 1, s6
.LBB186_6:
	s_ashr_i32 s6, s10, 31
	s_ashr_i32 s15, s15, 31
	s_and_not1_b32 vcc_lo, exec_lo, s11
	s_mul_u64 s[28:29], s[8:9], s[22:23]
	s_cbranch_vccnz .LBB186_8
; %bb.7:
	s_mul_i32 s9, s31, s12
	s_delay_alu instid0(SALU_CYCLE_1) | instskip(NEXT) | instid1(SALU_CYCLE_1)
	s_add_co_i32 s4, s9, s4
	s_mul_i32 s3, s4, s3
	s_delay_alu instid0(SALU_CYCLE_1)
	s_add_co_i32 s21, s3, 1
.LBB186_8:
	s_clause 0x1
	s_load_b32 s3, s[0:1], 0x38
	s_load_b64 s[24:25], s[0:1], 0x28
	s_xor_b32 s4, s6, s15
	s_mul_i32 s6, s29, s16
	s_add_co_i32 s19, s29, 1
	s_sub_co_i32 s6, s8, s6
	s_clause 0x1
	s_load_b32 s12, s[0:1], 0x88
	s_load_b128 s[8:11], s[0:1], 0x58
	v_dual_lshrrev_b32 v43, 5, v40 :: v_dual_lshrrev_b32 v26, 3, v40
	v_mov_b32_e32 v3, 0xff7fffff
	s_mul_i32 s18, s5, s18
	s_delay_alu instid0(VALU_DEP_2)
	v_lshlrev_b32_e32 v50, 4, v43
	s_wait_kmcnt 0x0
	s_mul_i32 s26, s3, s33
	s_sub_co_i32 s3, s6, s16
	s_ashr_i32 s27, s26, 31
	s_cmp_ge_u32 s6, s16
	s_cselect_b32 s19, s19, s29
	s_cselect_b32 s3, s3, s6
	s_add_co_i32 s6, s19, 1
	s_cmp_ge_u32 s3, s16
	s_cselect_b32 s3, s6, s19
	s_add_co_i32 s6, s34, 15
	s_delay_alu instid0(SALU_CYCLE_1) | instskip(NEXT) | instid1(SALU_CYCLE_1)
	s_ashr_i32 s19, s6, 31
	s_lshr_b32 s19, s19, 28
	s_delay_alu instid0(SALU_CYCLE_1) | instskip(NEXT) | instid1(SALU_CYCLE_1)
	s_add_co_i32 s6, s6, s19
	s_ashr_i32 s35, s6, 4
	s_xor_b32 s6, s3, s4
	v_cmp_gt_i32_e64 s3, s35, v43
	s_sub_co_i32 s36, s6, s4
	s_and_saveexec_b32 s38, s3
	s_cbranch_execz .LBB186_532
; %bb.9:
	s_load_b64 s[42:43], s[0:1], 0x10
	s_sub_co_i32 s39, s36, s13
	s_ashr_i32 s19, s18, 31
	s_cmp_neq_f32 s37, 0
	v_bfe_u32 v2, v40, 1, 4
	v_dual_mov_b32 v53, 0 :: v_dual_lshlrev_b32 v51, 8, v0
	s_cselect_b32 vcc_lo, -1, 0
	s_abs_i32 s40, s14
	s_delay_alu instid0(VALU_DEP_2)
	v_dual_lshlrev_b32 v54, 4, v43 :: v_dual_lshlrev_b32 v52, 4, v2
	s_cvt_f32_u32 s5, s40
	s_clause 0x2
	scratch_store_b32 off, v24, off offset:284
	scratch_store_b32 off, v40, off offset:276
	scratch_store_b32 off, v2, off offset:268
	v_rcp_iflag_f32_e32 v1, s5
	v_subrev_nc_u32_e32 v4, s34, v2
	s_lshl_b64 s[44:45], s[26:27], 2
	v_cmp_eq_u32_e64 s4, 0, v0
	s_sub_co_i32 s6, 0, s40
	s_wait_kmcnt 0x0
	s_add_nc_u64 s[42:43], s[42:43], s[18:19]
	s_mov_b32 s29, 0
	v_readfirstlane_b32 s5, v1
	v_lshlrev_b32_e32 v1, 2, v2
	s_wait_xcnt 0x0
	v_add_nc_u64_e32 v[2:3], s[42:43], v[52:53]
	v_lshlrev_b32_e32 v52, 1, v0
	s_add_nc_u64 s[42:43], s[24:25], s[44:45]
	s_mul_f32 s5, s5, 0x4f7ffffe
	v_lshl_or_b32 v0, v43, 6, v1
	v_add_nc_u32_e32 v1, 1, v4
	s_mov_b32 s19, s17
	v_add_nc_u64_e32 v[2:3], v[2:3], v[52:53]
	v_and_b32_e32 v52, 0x7c, v26
	s_cvt_u32_f32 s5, s5
	v_add_nc_u32_e32 v42, 0x220, v0
	v_mov_b32_e32 v0, 0xff7fffff
	s_mov_b32 s41, s29
	v_add_nc_u64_e32 v[58:59], s[42:43], v[52:53]
	s_mul_i32 s6, s6, s5
	s_clause 0x1
	scratch_store_b64 off, v[2:3], off offset:260
	scratch_store_b32 off, v26, off offset:288
	s_mul_hi_u32 s6, s5, s6
	scratch_store_b32 off, v1, off offset:272 ; 4-byte Folded Spill
	s_add_co_i32 s28, s5, s6
	s_clause 0x1
	scratch_store_b32 off, v0, off offset:256
	scratch_store_b32 off, v43, off offset:280
	s_branch .LBB186_12
.LBB186_10:                             ;   in Loop: Header=BB186_12 Depth=1
	s_wait_xcnt 0x0
	s_or_b32 exec_lo, exec_lo, s6
.LBB186_11:                             ;   in Loop: Header=BB186_12 Depth=1
	s_delay_alu instid0(SALU_CYCLE_1) | instskip(SKIP_3) | instid1(VALU_DEP_3)
	s_or_b32 exec_lo, exec_lo, s42
	v_dual_add_nc_u32 v43, 4, v43 :: v_dual_add_nc_u32 v54, 64, v54
	v_add_nc_u64_e32 v[58:59], 16, v[58:59]
	v_add_nc_u32_e32 v42, 0x100, v42
	v_cmp_le_i32_e64 s5, s35, v43
	s_or_b32 s41, s5, s41
	s_delay_alu instid0(SALU_CYCLE_1)
	s_and_not1_b32 exec_lo, exec_lo, s41
	s_cbranch_execz .LBB186_531
.LBB186_12:                             ; =>This Inner Loop Header: Depth=1
	v_mov_b32_e32 v55, v53
	s_wait_xcnt 0x1
	s_wait_dscnt 0x0
	s_delay_alu instid0(VALU_DEP_1) | instskip(NEXT) | instid1(VALU_DEP_1)
	v_mul_u64_e32 v[0:1], s[22:23], v[54:55]
	v_mul_lo_u32 v0, v1, s16
	s_delay_alu instid0(VALU_DEP_1) | instskip(NEXT) | instid1(VALU_DEP_1)
	v_sub_nc_u32_e32 v0, v54, v0
	v_subrev_nc_u32_e32 v3, s16, v0
	v_cmp_le_u32_e64 s5, s16, v0
	s_delay_alu instid0(VALU_DEP_1) | instskip(NEXT) | instid1(VALU_DEP_1)
	v_dual_add_nc_u32 v2, 1, v1 :: v_dual_cndmask_b32 v0, v0, v3, s5
	v_cndmask_b32_e64 v1, v1, v2, s5
	s_delay_alu instid0(VALU_DEP_2) | instskip(NEXT) | instid1(VALU_DEP_2)
	v_cmp_le_u32_e64 s5, s16, v0
	v_add_nc_u32_e32 v2, 1, v1
	s_delay_alu instid0(VALU_DEP_1) | instskip(NEXT) | instid1(VALU_DEP_1)
	v_cndmask_b32_e64 v0, v1, v2, s5
	v_xor_b32_e32 v0, s15, v0
	s_delay_alu instid0(VALU_DEP_1) | instskip(NEXT) | instid1(VALU_DEP_1)
	v_subrev_nc_u32_e32 v2, s15, v0
	v_add_nc_u32_e32 v3, s21, v2
	v_cmp_ge_i32_e64 s6, s39, v2
	s_delay_alu instid0(VALU_DEP_2) | instskip(NEXT) | instid1(VALU_DEP_1)
	v_sub_nc_u32_e32 v0, 0, v3
	v_dual_ashrrev_i32 v3, 31, v3 :: v_dual_max_i32 v52, v3, v0
	s_delay_alu instid0(VALU_DEP_1) | instskip(NEXT) | instid1(VALU_DEP_1)
	v_mul_u64_e32 v[0:1], s[28:29], v[52:53]
	v_mul_lo_u32 v0, v1, s40
	s_delay_alu instid0(VALU_DEP_1) | instskip(NEXT) | instid1(VALU_DEP_1)
	v_sub_nc_u32_e32 v0, v52, v0
	v_subrev_nc_u32_e32 v1, s40, v0
	v_cmp_le_u32_e64 s5, s40, v0
	s_delay_alu instid0(VALU_DEP_1) | instskip(NEXT) | instid1(VALU_DEP_1)
	v_cndmask_b32_e64 v0, v0, v1, s5
	v_subrev_nc_u32_e32 v1, s40, v0
	v_cmp_le_u32_e64 s5, s40, v0
	s_delay_alu instid0(VALU_DEP_1) | instskip(NEXT) | instid1(VALU_DEP_1)
	v_cndmask_b32_e64 v0, v0, v1, s5
	v_xor_b32_e32 v0, v0, v3
	s_delay_alu instid0(VALU_DEP_1) | instskip(NEXT) | instid1(VALU_DEP_1)
	v_sub_nc_u32_e32 v0, v0, v3
	v_cmp_ne_u32_e64 s5, 0, v0
	s_and_b32 s5, s5, s6
	s_wait_xcnt 0x0
	s_and_saveexec_b32 s6, s5
	s_delay_alu instid0(SALU_CYCLE_1)
	s_xor_b32 s5, exec_lo, s6
	s_cbranch_execz .LBB186_16
; %bb.13:                               ;   in Loop: Header=BB186_12 Depth=1
	s_and_saveexec_b32 s6, s4
; %bb.14:                               ;   in Loop: Header=BB186_12 Depth=1
	v_mov_b32_e32 v0, 0xff7fffff
	ds_store_b32 v42, v0
; %bb.15:                               ;   in Loop: Header=BB186_12 Depth=1
	s_or_b32 exec_lo, exec_lo, s6
.LBB186_16:                             ;   in Loop: Header=BB186_12 Depth=1
	s_and_not1_saveexec_b32 s42, s5
	s_cbranch_execz .LBB186_11
; %bb.17:                               ;   in Loop: Header=BB186_12 Depth=1
	global_load_b32 v0, v[58:59], off
	scratch_load_b64 v[2:3], off, off offset:260 ; 8-byte Folded Reload
	s_mov_b32 s43, exec_lo
	s_wait_loadcnt 0x0
	v_mad_nc_i64_i32 v[70:71], v0, s19, v[2:3]
	global_load_u16 v0, v[70:71], off
	ds_load_b128 v[46:49], v51
	ds_load_b128 v[2:5], v51 offset:16
	s_load_b32 s6, s[8:9], 0x0
	s_wait_dscnt 0x0
	scratch_store_b128 off, v[2:5], off offset:240 ; 16-byte Folded Spill
	s_wait_xcnt 0x0
	ds_load_b128 v[2:5], v51 offset:32
	s_wait_dscnt 0x0
	scratch_store_b128 off, v[2:5], off offset:224 ; 16-byte Folded Spill
	s_wait_xcnt 0x0
	ds_load_b128 v[2:5], v51 offset:48
	;; [unrolled: 4-line block ×10, first 2 shown]
	s_wait_dscnt 0x0
	scratch_store_b128 off, v[2:5], off offset:80 ; 16-byte Folded Spill
	s_wait_xcnt 0x0
	ds_load_b64 v[2:3], v51 offset:192
	s_wait_dscnt 0x0
	scratch_store_b64 off, v[2:3], off offset:72 ; 8-byte Folded Spill
	s_wait_xcnt 0x0
	v_mov_b64_e32 v[2:3], 0
	scratch_store_b64 off, v[2:3], off      ; 8-byte Folded Spill
	s_wait_xcnt 0x0
	v_mov_b64_e32 v[2:3], 0
	scratch_store_b64 off, v[2:3], off offset:8 ; 8-byte Folded Spill
	s_wait_loadcnt 0x0
	v_and_b32_e32 v1, 0xff, v0
	v_and_b32_e32 v0, 0xffff, v0
	s_wait_xcnt 0x0
	s_delay_alu instid0(VALU_DEP_2)
	v_cmpx_ne_u16_e32 0, v1
	s_cbranch_execz .LBB186_25
; %bb.18:                               ;   in Loop: Header=BB186_12 Depth=1
	v_mov_b64_e32 v[2:3], 0x80000000
	v_and_b32_e32 v1, 0xff, v0
	s_mov_b32 s44, exec_lo
	scratch_store_b64 off, v[2:3], off offset:8 ; 8-byte Folded Spill
	s_wait_xcnt 0x0
	v_cmpx_ne_u16_e32 0x80, v1
	s_cbranch_execz .LBB186_24
; %bb.19:                               ;   in Loop: Header=BB186_12 Depth=1
	v_mov_b64_e32 v[4:5], 0x7f800001
	v_and_b32_e32 v2, 0x7f, v0
	s_mov_b32 s45, exec_lo
	scratch_store_b64 off, v[4:5], off offset:8 ; 8-byte Folded Spill
	s_wait_xcnt 0x0
	v_cmpx_ne_u32_e32 0x7f, v2
	s_cbranch_execz .LBB186_23
; %bb.20:                               ;   in Loop: Header=BB186_12 Depth=1
	v_dual_lshrrev_b32 v1, 3, v2 :: v_dual_bitop2_b32 v52, 7, v0 bitop3:0x40
	s_mov_b32 s46, exec_lo
	v_cmpx_gt_u32_e32 8, v2
; %bb.21:                               ;   in Loop: Header=BB186_12 Depth=1
	s_delay_alu instid0(VALU_DEP_2) | instskip(NEXT) | instid1(VALU_DEP_1)
	v_clz_i32_u32_e32 v1, v52
	v_min_u32_e32 v1, 32, v1
	s_delay_alu instid0(VALU_DEP_1) | instskip(NEXT) | instid1(VALU_DEP_1)
	v_subrev_nc_u32_e32 v2, 28, v1
	v_lshlrev_b64_e32 v[2:3], v2, v[52:53]
	s_delay_alu instid0(VALU_DEP_1)
	v_dual_sub_nc_u32 v1, 29, v1 :: v_dual_bitop2_b32 v52, 7, v2 bitop3:0x40
; %bb.22:                               ;   in Loop: Header=BB186_12 Depth=1
	s_or_b32 exec_lo, exec_lo, s46
	v_lshlrev_b32_e32 v2, 24, v0
	s_delay_alu instid0(VALU_DEP_2) | instskip(NEXT) | instid1(VALU_DEP_3)
	v_lshlrev_b32_e32 v3, 20, v52
	v_lshl_add_u32 v1, v1, 23, 0x3c000000
	s_delay_alu instid0(VALU_DEP_3) | instskip(NEXT) | instid1(VALU_DEP_1)
	v_and_b32_e32 v2, 0x80000000, v2
	v_or3_b32 v52, v3, v2, v1
	scratch_store_b64 off, v[52:53], off offset:8 ; 8-byte Folded Spill
.LBB186_23:                             ;   in Loop: Header=BB186_12 Depth=1
	s_wait_xcnt 0x0
	s_or_b32 exec_lo, exec_lo, s45
.LBB186_24:                             ;   in Loop: Header=BB186_12 Depth=1
	s_delay_alu instid0(SALU_CYCLE_1)
	s_or_b32 exec_lo, exec_lo, s44
.LBB186_25:                             ;   in Loop: Header=BB186_12 Depth=1
	s_delay_alu instid0(SALU_CYCLE_1) | instskip(SKIP_2) | instid1(VALU_DEP_1)
	s_or_b32 exec_lo, exec_lo, s43
	v_lshrrev_b16 v1, 8, v0
	s_mov_b32 s43, exec_lo
	v_cmpx_ne_u16_e32 0, v1
	s_cbranch_execz .LBB186_33
; %bb.26:                               ;   in Loop: Header=BB186_12 Depth=1
	v_mov_b64_e32 v[2:3], 0x8000000000000000
	s_mov_b32 s44, exec_lo
	scratch_store_b64 off, v[2:3], off      ; 8-byte Folded Spill
	s_wait_xcnt 0x0
	v_cmpx_ne_u16_e32 0x80, v1
	s_cbranch_execz .LBB186_32
; %bb.27:                               ;   in Loop: Header=BB186_12 Depth=1
	v_and_b32_e32 v1, 0xffff, v1
	v_mov_b64_e32 v[4:5], 0x7f80000100000000
	s_mov_b32 s45, exec_lo
	s_delay_alu instid0(VALU_DEP_2)
	v_and_b32_e32 v2, 0x7f, v1
	scratch_store_b64 off, v[4:5], off      ; 8-byte Folded Spill
	s_wait_xcnt 0x0
	v_cmpx_ne_u32_e32 0x7f, v2
	s_cbranch_execz .LBB186_31
; %bb.28:                               ;   in Loop: Header=BB186_12 Depth=1
	v_dual_lshrrev_b32 v1, 3, v2 :: v_dual_bitop2_b32 v52, 7, v1 bitop3:0x40
	s_mov_b32 s46, exec_lo
	v_cmpx_gt_u32_e32 8, v2
; %bb.29:                               ;   in Loop: Header=BB186_12 Depth=1
	s_delay_alu instid0(VALU_DEP_2) | instskip(NEXT) | instid1(VALU_DEP_1)
	v_clz_i32_u32_e32 v1, v52
	v_min_u32_e32 v1, 32, v1
	s_delay_alu instid0(VALU_DEP_1) | instskip(NEXT) | instid1(VALU_DEP_1)
	v_subrev_nc_u32_e32 v2, 28, v1
	v_lshlrev_b64_e32 v[2:3], v2, v[52:53]
	s_delay_alu instid0(VALU_DEP_1)
	v_dual_sub_nc_u32 v1, 29, v1 :: v_dual_bitop2_b32 v52, 7, v2 bitop3:0x40
; %bb.30:                               ;   in Loop: Header=BB186_12 Depth=1
	s_or_b32 exec_lo, exec_lo, s46
	v_lshlrev_b32_e32 v0, 16, v0
	s_delay_alu instid0(VALU_DEP_2) | instskip(NEXT) | instid1(VALU_DEP_3)
	v_lshlrev_b32_e32 v2, 20, v52
	v_lshl_add_u32 v1, v1, 23, 0x3c000000
	s_delay_alu instid0(VALU_DEP_3) | instskip(NEXT) | instid1(VALU_DEP_1)
	v_and_b32_e32 v0, 0x80000000, v0
	v_or3_b32 v1, v2, v0, v1
	v_mov_b32_e32 v0, v53
	scratch_store_b64 off, v[0:1], off      ; 8-byte Folded Spill
.LBB186_31:                             ;   in Loop: Header=BB186_12 Depth=1
	s_wait_xcnt 0x0
	s_or_b32 exec_lo, exec_lo, s45
.LBB186_32:                             ;   in Loop: Header=BB186_12 Depth=1
	s_delay_alu instid0(SALU_CYCLE_1)
	s_or_b32 exec_lo, exec_lo, s44
.LBB186_33:                             ;   in Loop: Header=BB186_12 Depth=1
	s_delay_alu instid0(SALU_CYCLE_1)
	s_or_b32 exec_lo, exec_lo, s43
	global_load_u16 v0, v[70:71], off offset:4
	v_mov_b64_e32 v[2:3], 0
	s_mov_b32 s43, exec_lo
	scratch_store_b64 off, v[2:3], off offset:16 ; 8-byte Folded Spill
	s_wait_xcnt 0x0
	v_mov_b64_e32 v[2:3], 0
	scratch_store_b64 off, v[2:3], off offset:24 ; 8-byte Folded Spill
	s_wait_loadcnt 0x0
	v_and_b32_e32 v1, 0xff, v0
	v_and_b32_e32 v0, 0xffff, v0
	s_wait_xcnt 0x0
	s_delay_alu instid0(VALU_DEP_2)
	v_cmpx_ne_u16_e32 0, v1
	s_cbranch_execz .LBB186_41
; %bb.34:                               ;   in Loop: Header=BB186_12 Depth=1
	v_mov_b64_e32 v[2:3], 0x80000000
	v_and_b32_e32 v1, 0xff, v0
	s_mov_b32 s44, exec_lo
	scratch_store_b64 off, v[2:3], off offset:24 ; 8-byte Folded Spill
	s_wait_xcnt 0x0
	v_cmpx_ne_u16_e32 0x80, v1
	s_cbranch_execz .LBB186_40
; %bb.35:                               ;   in Loop: Header=BB186_12 Depth=1
	v_mov_b64_e32 v[4:5], 0x7f800001
	v_and_b32_e32 v2, 0x7f, v0
	s_mov_b32 s45, exec_lo
	scratch_store_b64 off, v[4:5], off offset:24 ; 8-byte Folded Spill
	s_wait_xcnt 0x0
	v_cmpx_ne_u32_e32 0x7f, v2
	s_cbranch_execz .LBB186_39
; %bb.36:                               ;   in Loop: Header=BB186_12 Depth=1
	v_dual_lshrrev_b32 v1, 3, v2 :: v_dual_bitop2_b32 v52, 7, v0 bitop3:0x40
	s_mov_b32 s46, exec_lo
	v_cmpx_gt_u32_e32 8, v2
; %bb.37:                               ;   in Loop: Header=BB186_12 Depth=1
	s_delay_alu instid0(VALU_DEP_2) | instskip(NEXT) | instid1(VALU_DEP_1)
	v_clz_i32_u32_e32 v1, v52
	v_min_u32_e32 v1, 32, v1
	s_delay_alu instid0(VALU_DEP_1) | instskip(NEXT) | instid1(VALU_DEP_1)
	v_subrev_nc_u32_e32 v2, 28, v1
	v_lshlrev_b64_e32 v[2:3], v2, v[52:53]
	s_delay_alu instid0(VALU_DEP_1)
	v_dual_sub_nc_u32 v1, 29, v1 :: v_dual_bitop2_b32 v52, 7, v2 bitop3:0x40
; %bb.38:                               ;   in Loop: Header=BB186_12 Depth=1
	s_or_b32 exec_lo, exec_lo, s46
	v_lshlrev_b32_e32 v2, 24, v0
	s_delay_alu instid0(VALU_DEP_2) | instskip(NEXT) | instid1(VALU_DEP_3)
	v_lshlrev_b32_e32 v3, 20, v52
	v_lshl_add_u32 v1, v1, 23, 0x3c000000
	s_delay_alu instid0(VALU_DEP_3) | instskip(NEXT) | instid1(VALU_DEP_1)
	v_and_b32_e32 v2, 0x80000000, v2
	v_or3_b32 v52, v3, v2, v1
	scratch_store_b64 off, v[52:53], off offset:24 ; 8-byte Folded Spill
.LBB186_39:                             ;   in Loop: Header=BB186_12 Depth=1
	s_wait_xcnt 0x0
	s_or_b32 exec_lo, exec_lo, s45
.LBB186_40:                             ;   in Loop: Header=BB186_12 Depth=1
	s_delay_alu instid0(SALU_CYCLE_1)
	s_or_b32 exec_lo, exec_lo, s44
.LBB186_41:                             ;   in Loop: Header=BB186_12 Depth=1
	s_delay_alu instid0(SALU_CYCLE_1) | instskip(SKIP_2) | instid1(VALU_DEP_1)
	s_or_b32 exec_lo, exec_lo, s43
	v_lshrrev_b16 v1, 8, v0
	s_mov_b32 s43, exec_lo
	v_cmpx_ne_u16_e32 0, v1
	s_cbranch_execz .LBB186_49
; %bb.42:                               ;   in Loop: Header=BB186_12 Depth=1
	v_mov_b64_e32 v[2:3], 0x8000000000000000
	s_mov_b32 s44, exec_lo
	scratch_store_b64 off, v[2:3], off offset:16 ; 8-byte Folded Spill
	s_wait_xcnt 0x0
	v_cmpx_ne_u16_e32 0x80, v1
	s_cbranch_execz .LBB186_48
; %bb.43:                               ;   in Loop: Header=BB186_12 Depth=1
	v_and_b32_e32 v1, 0xffff, v1
	v_mov_b64_e32 v[4:5], 0x7f80000100000000
	s_mov_b32 s45, exec_lo
	s_delay_alu instid0(VALU_DEP_2)
	v_and_b32_e32 v2, 0x7f, v1
	scratch_store_b64 off, v[4:5], off offset:16 ; 8-byte Folded Spill
	s_wait_xcnt 0x0
	v_cmpx_ne_u32_e32 0x7f, v2
	s_cbranch_execz .LBB186_47
; %bb.44:                               ;   in Loop: Header=BB186_12 Depth=1
	v_dual_lshrrev_b32 v1, 3, v2 :: v_dual_bitop2_b32 v52, 7, v1 bitop3:0x40
	s_mov_b32 s46, exec_lo
	v_cmpx_gt_u32_e32 8, v2
; %bb.45:                               ;   in Loop: Header=BB186_12 Depth=1
	s_delay_alu instid0(VALU_DEP_2) | instskip(NEXT) | instid1(VALU_DEP_1)
	v_clz_i32_u32_e32 v1, v52
	v_min_u32_e32 v1, 32, v1
	s_delay_alu instid0(VALU_DEP_1) | instskip(NEXT) | instid1(VALU_DEP_1)
	v_subrev_nc_u32_e32 v2, 28, v1
	v_lshlrev_b64_e32 v[2:3], v2, v[52:53]
	s_delay_alu instid0(VALU_DEP_1)
	v_dual_sub_nc_u32 v1, 29, v1 :: v_dual_bitop2_b32 v52, 7, v2 bitop3:0x40
; %bb.46:                               ;   in Loop: Header=BB186_12 Depth=1
	s_or_b32 exec_lo, exec_lo, s46
	v_lshlrev_b32_e32 v0, 16, v0
	s_delay_alu instid0(VALU_DEP_2) | instskip(NEXT) | instid1(VALU_DEP_3)
	v_lshlrev_b32_e32 v2, 20, v52
	v_lshl_add_u32 v1, v1, 23, 0x3c000000
	s_delay_alu instid0(VALU_DEP_3) | instskip(NEXT) | instid1(VALU_DEP_1)
	v_and_b32_e32 v0, 0x80000000, v0
	v_or3_b32 v1, v2, v0, v1
	v_mov_b32_e32 v0, v53
	scratch_store_b64 off, v[0:1], off offset:16 ; 8-byte Folded Spill
.LBB186_47:                             ;   in Loop: Header=BB186_12 Depth=1
	s_wait_xcnt 0x0
	s_or_b32 exec_lo, exec_lo, s45
.LBB186_48:                             ;   in Loop: Header=BB186_12 Depth=1
	s_delay_alu instid0(SALU_CYCLE_1)
	s_or_b32 exec_lo, exec_lo, s44
.LBB186_49:                             ;   in Loop: Header=BB186_12 Depth=1
	s_delay_alu instid0(SALU_CYCLE_1)
	s_or_b32 exec_lo, exec_lo, s43
	global_load_u16 v0, v[70:71], off offset:8
	v_mov_b64_e32 v[2:3], 0
	s_mov_b32 s43, exec_lo
	scratch_store_b64 off, v[2:3], off offset:32 ; 8-byte Folded Spill
	s_wait_xcnt 0x0
	v_mov_b64_e32 v[2:3], 0
	scratch_store_b64 off, v[2:3], off offset:40 ; 8-byte Folded Spill
	s_wait_loadcnt 0x0
	v_and_b32_e32 v1, 0xff, v0
	v_and_b32_e32 v0, 0xffff, v0
	s_wait_xcnt 0x0
	s_delay_alu instid0(VALU_DEP_2)
	v_cmpx_ne_u16_e32 0, v1
	s_cbranch_execz .LBB186_57
; %bb.50:                               ;   in Loop: Header=BB186_12 Depth=1
	v_mov_b64_e32 v[2:3], 0x80000000
	v_and_b32_e32 v1, 0xff, v0
	s_mov_b32 s44, exec_lo
	scratch_store_b64 off, v[2:3], off offset:40 ; 8-byte Folded Spill
	s_wait_xcnt 0x0
	v_cmpx_ne_u16_e32 0x80, v1
	s_cbranch_execz .LBB186_56
; %bb.51:                               ;   in Loop: Header=BB186_12 Depth=1
	v_mov_b64_e32 v[4:5], 0x7f800001
	v_and_b32_e32 v2, 0x7f, v0
	s_mov_b32 s45, exec_lo
	scratch_store_b64 off, v[4:5], off offset:40 ; 8-byte Folded Spill
	s_wait_xcnt 0x0
	v_cmpx_ne_u32_e32 0x7f, v2
	s_cbranch_execz .LBB186_55
; %bb.52:                               ;   in Loop: Header=BB186_12 Depth=1
	v_dual_lshrrev_b32 v1, 3, v2 :: v_dual_bitop2_b32 v52, 7, v0 bitop3:0x40
	s_mov_b32 s46, exec_lo
	v_cmpx_gt_u32_e32 8, v2
; %bb.53:                               ;   in Loop: Header=BB186_12 Depth=1
	s_delay_alu instid0(VALU_DEP_2) | instskip(NEXT) | instid1(VALU_DEP_1)
	v_clz_i32_u32_e32 v1, v52
	v_min_u32_e32 v1, 32, v1
	s_delay_alu instid0(VALU_DEP_1) | instskip(NEXT) | instid1(VALU_DEP_1)
	v_subrev_nc_u32_e32 v2, 28, v1
	v_lshlrev_b64_e32 v[2:3], v2, v[52:53]
	s_delay_alu instid0(VALU_DEP_1)
	v_dual_sub_nc_u32 v1, 29, v1 :: v_dual_bitop2_b32 v52, 7, v2 bitop3:0x40
; %bb.54:                               ;   in Loop: Header=BB186_12 Depth=1
	s_or_b32 exec_lo, exec_lo, s46
	v_lshlrev_b32_e32 v2, 24, v0
	s_delay_alu instid0(VALU_DEP_2) | instskip(NEXT) | instid1(VALU_DEP_3)
	v_lshlrev_b32_e32 v3, 20, v52
	v_lshl_add_u32 v1, v1, 23, 0x3c000000
	s_delay_alu instid0(VALU_DEP_3) | instskip(NEXT) | instid1(VALU_DEP_1)
	v_and_b32_e32 v2, 0x80000000, v2
	v_or3_b32 v52, v3, v2, v1
	scratch_store_b64 off, v[52:53], off offset:40 ; 8-byte Folded Spill
.LBB186_55:                             ;   in Loop: Header=BB186_12 Depth=1
	s_wait_xcnt 0x0
	s_or_b32 exec_lo, exec_lo, s45
.LBB186_56:                             ;   in Loop: Header=BB186_12 Depth=1
	s_delay_alu instid0(SALU_CYCLE_1)
	s_or_b32 exec_lo, exec_lo, s44
.LBB186_57:                             ;   in Loop: Header=BB186_12 Depth=1
	s_delay_alu instid0(SALU_CYCLE_1) | instskip(SKIP_2) | instid1(VALU_DEP_1)
	s_or_b32 exec_lo, exec_lo, s43
	v_lshrrev_b16 v1, 8, v0
	s_mov_b32 s43, exec_lo
	v_cmpx_ne_u16_e32 0, v1
	s_cbranch_execz .LBB186_65
; %bb.58:                               ;   in Loop: Header=BB186_12 Depth=1
	v_mov_b64_e32 v[2:3], 0x8000000000000000
	s_mov_b32 s44, exec_lo
	scratch_store_b64 off, v[2:3], off offset:32 ; 8-byte Folded Spill
	s_wait_xcnt 0x0
	v_cmpx_ne_u16_e32 0x80, v1
	s_cbranch_execz .LBB186_64
; %bb.59:                               ;   in Loop: Header=BB186_12 Depth=1
	v_and_b32_e32 v1, 0xffff, v1
	v_mov_b64_e32 v[4:5], 0x7f80000100000000
	s_mov_b32 s45, exec_lo
	s_delay_alu instid0(VALU_DEP_2)
	v_and_b32_e32 v2, 0x7f, v1
	scratch_store_b64 off, v[4:5], off offset:32 ; 8-byte Folded Spill
	s_wait_xcnt 0x0
	v_cmpx_ne_u32_e32 0x7f, v2
	s_cbranch_execz .LBB186_63
; %bb.60:                               ;   in Loop: Header=BB186_12 Depth=1
	v_dual_lshrrev_b32 v1, 3, v2 :: v_dual_bitop2_b32 v52, 7, v1 bitop3:0x40
	s_mov_b32 s46, exec_lo
	v_cmpx_gt_u32_e32 8, v2
; %bb.61:                               ;   in Loop: Header=BB186_12 Depth=1
	s_delay_alu instid0(VALU_DEP_2) | instskip(NEXT) | instid1(VALU_DEP_1)
	v_clz_i32_u32_e32 v1, v52
	v_min_u32_e32 v1, 32, v1
	s_delay_alu instid0(VALU_DEP_1) | instskip(NEXT) | instid1(VALU_DEP_1)
	v_subrev_nc_u32_e32 v2, 28, v1
	v_lshlrev_b64_e32 v[2:3], v2, v[52:53]
	s_delay_alu instid0(VALU_DEP_1)
	v_dual_sub_nc_u32 v1, 29, v1 :: v_dual_bitop2_b32 v52, 7, v2 bitop3:0x40
; %bb.62:                               ;   in Loop: Header=BB186_12 Depth=1
	s_or_b32 exec_lo, exec_lo, s46
	v_lshlrev_b32_e32 v0, 16, v0
	s_delay_alu instid0(VALU_DEP_2) | instskip(NEXT) | instid1(VALU_DEP_3)
	v_lshlrev_b32_e32 v2, 20, v52
	v_lshl_add_u32 v1, v1, 23, 0x3c000000
	s_delay_alu instid0(VALU_DEP_3) | instskip(NEXT) | instid1(VALU_DEP_1)
	v_and_b32_e32 v0, 0x80000000, v0
	v_or3_b32 v1, v2, v0, v1
	v_mov_b32_e32 v0, v53
	scratch_store_b64 off, v[0:1], off offset:32 ; 8-byte Folded Spill
.LBB186_63:                             ;   in Loop: Header=BB186_12 Depth=1
	s_wait_xcnt 0x0
	s_or_b32 exec_lo, exec_lo, s45
.LBB186_64:                             ;   in Loop: Header=BB186_12 Depth=1
	s_delay_alu instid0(SALU_CYCLE_1)
	s_or_b32 exec_lo, exec_lo, s44
.LBB186_65:                             ;   in Loop: Header=BB186_12 Depth=1
	s_delay_alu instid0(SALU_CYCLE_1)
	s_or_b32 exec_lo, exec_lo, s43
	global_load_u16 v0, v[70:71], off offset:12
	v_mov_b64_e32 v[2:3], 0
	s_mov_b32 s43, exec_lo
	scratch_store_b64 off, v[2:3], off offset:48 ; 8-byte Folded Spill
	s_wait_xcnt 0x0
	v_mov_b64_e32 v[2:3], 0
	scratch_store_b64 off, v[2:3], off offset:56 ; 8-byte Folded Spill
	s_wait_loadcnt 0x0
	v_and_b32_e32 v1, 0xff, v0
	v_and_b32_e32 v0, 0xffff, v0
	s_wait_xcnt 0x0
	s_delay_alu instid0(VALU_DEP_2)
	v_cmpx_ne_u16_e32 0, v1
	s_cbranch_execz .LBB186_73
; %bb.66:                               ;   in Loop: Header=BB186_12 Depth=1
	v_mov_b64_e32 v[2:3], 0x80000000
	v_and_b32_e32 v1, 0xff, v0
	s_mov_b32 s44, exec_lo
	scratch_store_b64 off, v[2:3], off offset:56 ; 8-byte Folded Spill
	s_wait_xcnt 0x0
	v_cmpx_ne_u16_e32 0x80, v1
	s_cbranch_execz .LBB186_72
; %bb.67:                               ;   in Loop: Header=BB186_12 Depth=1
	v_mov_b64_e32 v[4:5], 0x7f800001
	v_and_b32_e32 v2, 0x7f, v0
	s_mov_b32 s45, exec_lo
	scratch_store_b64 off, v[4:5], off offset:56 ; 8-byte Folded Spill
	s_wait_xcnt 0x0
	v_cmpx_ne_u32_e32 0x7f, v2
	s_cbranch_execz .LBB186_71
; %bb.68:                               ;   in Loop: Header=BB186_12 Depth=1
	v_dual_lshrrev_b32 v1, 3, v2 :: v_dual_bitop2_b32 v52, 7, v0 bitop3:0x40
	s_mov_b32 s46, exec_lo
	v_cmpx_gt_u32_e32 8, v2
; %bb.69:                               ;   in Loop: Header=BB186_12 Depth=1
	s_delay_alu instid0(VALU_DEP_2) | instskip(NEXT) | instid1(VALU_DEP_1)
	v_clz_i32_u32_e32 v1, v52
	v_min_u32_e32 v1, 32, v1
	s_delay_alu instid0(VALU_DEP_1) | instskip(NEXT) | instid1(VALU_DEP_1)
	v_subrev_nc_u32_e32 v2, 28, v1
	v_lshlrev_b64_e32 v[2:3], v2, v[52:53]
	s_delay_alu instid0(VALU_DEP_1)
	v_dual_sub_nc_u32 v1, 29, v1 :: v_dual_bitop2_b32 v52, 7, v2 bitop3:0x40
; %bb.70:                               ;   in Loop: Header=BB186_12 Depth=1
	s_or_b32 exec_lo, exec_lo, s46
	v_lshlrev_b32_e32 v2, 24, v0
	s_delay_alu instid0(VALU_DEP_2) | instskip(NEXT) | instid1(VALU_DEP_3)
	v_lshlrev_b32_e32 v3, 20, v52
	v_lshl_add_u32 v1, v1, 23, 0x3c000000
	s_delay_alu instid0(VALU_DEP_3) | instskip(NEXT) | instid1(VALU_DEP_1)
	v_and_b32_e32 v2, 0x80000000, v2
	v_or3_b32 v52, v3, v2, v1
	scratch_store_b64 off, v[52:53], off offset:56 ; 8-byte Folded Spill
.LBB186_71:                             ;   in Loop: Header=BB186_12 Depth=1
	s_wait_xcnt 0x0
	s_or_b32 exec_lo, exec_lo, s45
.LBB186_72:                             ;   in Loop: Header=BB186_12 Depth=1
	s_delay_alu instid0(SALU_CYCLE_1)
	s_or_b32 exec_lo, exec_lo, s44
.LBB186_73:                             ;   in Loop: Header=BB186_12 Depth=1
	s_delay_alu instid0(SALU_CYCLE_1) | instskip(SKIP_2) | instid1(VALU_DEP_1)
	s_or_b32 exec_lo, exec_lo, s43
	v_lshrrev_b16 v1, 8, v0
	s_mov_b32 s43, exec_lo
	v_cmpx_ne_u16_e32 0, v1
	s_cbranch_execz .LBB186_81
; %bb.74:                               ;   in Loop: Header=BB186_12 Depth=1
	v_mov_b64_e32 v[2:3], 0x8000000000000000
	s_mov_b32 s44, exec_lo
	scratch_store_b64 off, v[2:3], off offset:48 ; 8-byte Folded Spill
	s_wait_xcnt 0x0
	v_cmpx_ne_u16_e32 0x80, v1
	s_cbranch_execz .LBB186_80
; %bb.75:                               ;   in Loop: Header=BB186_12 Depth=1
	v_and_b32_e32 v1, 0xffff, v1
	v_mov_b64_e32 v[4:5], 0x7f80000100000000
	s_mov_b32 s45, exec_lo
	s_delay_alu instid0(VALU_DEP_2)
	v_and_b32_e32 v2, 0x7f, v1
	scratch_store_b64 off, v[4:5], off offset:48 ; 8-byte Folded Spill
	s_wait_xcnt 0x0
	v_cmpx_ne_u32_e32 0x7f, v2
	s_cbranch_execz .LBB186_79
; %bb.76:                               ;   in Loop: Header=BB186_12 Depth=1
	v_dual_lshrrev_b32 v1, 3, v2 :: v_dual_bitop2_b32 v52, 7, v1 bitop3:0x40
	s_mov_b32 s46, exec_lo
	v_cmpx_gt_u32_e32 8, v2
; %bb.77:                               ;   in Loop: Header=BB186_12 Depth=1
	s_delay_alu instid0(VALU_DEP_2) | instskip(NEXT) | instid1(VALU_DEP_1)
	v_clz_i32_u32_e32 v1, v52
	v_min_u32_e32 v1, 32, v1
	s_delay_alu instid0(VALU_DEP_1) | instskip(NEXT) | instid1(VALU_DEP_1)
	v_subrev_nc_u32_e32 v2, 28, v1
	v_lshlrev_b64_e32 v[2:3], v2, v[52:53]
	s_delay_alu instid0(VALU_DEP_1)
	v_dual_sub_nc_u32 v1, 29, v1 :: v_dual_bitop2_b32 v52, 7, v2 bitop3:0x40
; %bb.78:                               ;   in Loop: Header=BB186_12 Depth=1
	s_or_b32 exec_lo, exec_lo, s46
	v_lshlrev_b32_e32 v0, 16, v0
	s_delay_alu instid0(VALU_DEP_2) | instskip(NEXT) | instid1(VALU_DEP_3)
	v_lshlrev_b32_e32 v2, 20, v52
	v_lshl_add_u32 v1, v1, 23, 0x3c000000
	s_delay_alu instid0(VALU_DEP_3) | instskip(NEXT) | instid1(VALU_DEP_1)
	v_and_b32_e32 v0, 0x80000000, v0
	v_or3_b32 v1, v2, v0, v1
	v_mov_b32_e32 v0, v53
	scratch_store_b64 off, v[0:1], off offset:48 ; 8-byte Folded Spill
.LBB186_79:                             ;   in Loop: Header=BB186_12 Depth=1
	s_wait_xcnt 0x0
	s_or_b32 exec_lo, exec_lo, s45
.LBB186_80:                             ;   in Loop: Header=BB186_12 Depth=1
	s_delay_alu instid0(SALU_CYCLE_1)
	s_or_b32 exec_lo, exec_lo, s44
.LBB186_81:                             ;   in Loop: Header=BB186_12 Depth=1
	s_delay_alu instid0(SALU_CYCLE_1)
	s_or_b32 exec_lo, exec_lo, s43
	global_load_u16 v0, v[70:71], off offset:256
	v_mov_b64_e32 v[80:81], 0
	v_mov_b64_e32 v[2:3], 0
	s_mov_b32 s43, exec_lo
	scratch_store_b64 off, v[2:3], off offset:64 ; 8-byte Folded Spill
	s_wait_loadcnt 0x0
	v_and_b32_e32 v1, 0xff, v0
	v_and_b32_e32 v0, 0xffff, v0
	s_wait_xcnt 0x0
	s_delay_alu instid0(VALU_DEP_2)
	v_cmpx_ne_u16_e32 0, v1
	s_cbranch_execz .LBB186_89
; %bb.82:                               ;   in Loop: Header=BB186_12 Depth=1
	v_mov_b64_e32 v[2:3], 0x80000000
	v_and_b32_e32 v1, 0xff, v0
	s_mov_b32 s44, exec_lo
	scratch_store_b64 off, v[2:3], off offset:64 ; 8-byte Folded Spill
	s_wait_xcnt 0x0
	v_cmpx_ne_u16_e32 0x80, v1
	s_cbranch_execz .LBB186_88
; %bb.83:                               ;   in Loop: Header=BB186_12 Depth=1
	v_mov_b64_e32 v[4:5], 0x7f800001
	v_and_b32_e32 v2, 0x7f, v0
	s_mov_b32 s45, exec_lo
	scratch_store_b64 off, v[4:5], off offset:64 ; 8-byte Folded Spill
	s_wait_xcnt 0x0
	v_cmpx_ne_u32_e32 0x7f, v2
	s_cbranch_execz .LBB186_87
; %bb.84:                               ;   in Loop: Header=BB186_12 Depth=1
	v_dual_lshrrev_b32 v1, 3, v2 :: v_dual_bitop2_b32 v52, 7, v0 bitop3:0x40
	s_mov_b32 s46, exec_lo
	v_cmpx_gt_u32_e32 8, v2
; %bb.85:                               ;   in Loop: Header=BB186_12 Depth=1
	s_delay_alu instid0(VALU_DEP_2) | instskip(NEXT) | instid1(VALU_DEP_1)
	v_clz_i32_u32_e32 v1, v52
	v_min_u32_e32 v1, 32, v1
	s_delay_alu instid0(VALU_DEP_1) | instskip(NEXT) | instid1(VALU_DEP_1)
	v_subrev_nc_u32_e32 v2, 28, v1
	v_lshlrev_b64_e32 v[2:3], v2, v[52:53]
	s_delay_alu instid0(VALU_DEP_1)
	v_dual_sub_nc_u32 v1, 29, v1 :: v_dual_bitop2_b32 v52, 7, v2 bitop3:0x40
; %bb.86:                               ;   in Loop: Header=BB186_12 Depth=1
	s_or_b32 exec_lo, exec_lo, s46
	v_lshlrev_b32_e32 v2, 24, v0
	s_delay_alu instid0(VALU_DEP_2) | instskip(NEXT) | instid1(VALU_DEP_3)
	v_lshlrev_b32_e32 v3, 20, v52
	v_lshl_add_u32 v1, v1, 23, 0x3c000000
	s_delay_alu instid0(VALU_DEP_3) | instskip(NEXT) | instid1(VALU_DEP_1)
	v_and_b32_e32 v2, 0x80000000, v2
	v_or3_b32 v52, v3, v2, v1
	scratch_store_b64 off, v[52:53], off offset:64 ; 8-byte Folded Spill
.LBB186_87:                             ;   in Loop: Header=BB186_12 Depth=1
	s_wait_xcnt 0x0
	s_or_b32 exec_lo, exec_lo, s45
.LBB186_88:                             ;   in Loop: Header=BB186_12 Depth=1
	s_delay_alu instid0(SALU_CYCLE_1)
	s_or_b32 exec_lo, exec_lo, s44
.LBB186_89:                             ;   in Loop: Header=BB186_12 Depth=1
	s_delay_alu instid0(SALU_CYCLE_1) | instskip(SKIP_2) | instid1(VALU_DEP_1)
	s_or_b32 exec_lo, exec_lo, s43
	v_lshrrev_b16 v1, 8, v0
	s_mov_b32 s43, exec_lo
	v_cmpx_ne_u16_e32 0, v1
	s_cbranch_execz .LBB186_97
; %bb.90:                               ;   in Loop: Header=BB186_12 Depth=1
	v_mov_b64_e32 v[80:81], 0x8000000000000000
	s_mov_b32 s44, exec_lo
	v_cmpx_ne_u16_e32 0x80, v1
	s_cbranch_execz .LBB186_96
; %bb.91:                               ;   in Loop: Header=BB186_12 Depth=1
	v_and_b32_e32 v1, 0xffff, v1
	v_mov_b64_e32 v[80:81], 0x7f80000100000000
	s_mov_b32 s45, exec_lo
	s_delay_alu instid0(VALU_DEP_2) | instskip(NEXT) | instid1(VALU_DEP_1)
	v_and_b32_e32 v2, 0x7f, v1
	v_cmpx_ne_u32_e32 0x7f, v2
	s_cbranch_execz .LBB186_95
; %bb.92:                               ;   in Loop: Header=BB186_12 Depth=1
	v_dual_lshrrev_b32 v1, 3, v2 :: v_dual_bitop2_b32 v52, 7, v1 bitop3:0x40
	s_mov_b32 s46, exec_lo
	v_cmpx_gt_u32_e32 8, v2
; %bb.93:                               ;   in Loop: Header=BB186_12 Depth=1
	s_delay_alu instid0(VALU_DEP_2) | instskip(NEXT) | instid1(VALU_DEP_1)
	v_clz_i32_u32_e32 v1, v52
	v_min_u32_e32 v1, 32, v1
	s_delay_alu instid0(VALU_DEP_1) | instskip(NEXT) | instid1(VALU_DEP_1)
	v_subrev_nc_u32_e32 v2, 28, v1
	v_lshlrev_b64_e32 v[2:3], v2, v[52:53]
	s_delay_alu instid0(VALU_DEP_1)
	v_dual_sub_nc_u32 v1, 29, v1 :: v_dual_bitop2_b32 v52, 7, v2 bitop3:0x40
; %bb.94:                               ;   in Loop: Header=BB186_12 Depth=1
	s_or_b32 exec_lo, exec_lo, s46
	v_dual_lshlrev_b32 v0, 16, v0 :: v_dual_mov_b32 v80, v53
	s_delay_alu instid0(VALU_DEP_2) | instskip(NEXT) | instid1(VALU_DEP_3)
	v_lshlrev_b32_e32 v2, 20, v52
	v_lshl_add_u32 v1, v1, 23, 0x3c000000
	s_delay_alu instid0(VALU_DEP_3) | instskip(NEXT) | instid1(VALU_DEP_1)
	v_and_b32_e32 v0, 0x80000000, v0
	v_or3_b32 v81, v2, v0, v1
.LBB186_95:                             ;   in Loop: Header=BB186_12 Depth=1
	s_or_b32 exec_lo, exec_lo, s45
.LBB186_96:                             ;   in Loop: Header=BB186_12 Depth=1
	s_delay_alu instid0(SALU_CYCLE_1)
	s_or_b32 exec_lo, exec_lo, s44
.LBB186_97:                             ;   in Loop: Header=BB186_12 Depth=1
	s_delay_alu instid0(SALU_CYCLE_1)
	s_or_b32 exec_lo, exec_lo, s43
	global_load_u16 v0, v[70:71], off offset:260
	v_mov_b64_e32 v[84:85], 0
	v_mov_b64_e32 v[86:87], 0
	s_mov_b32 s43, exec_lo
	s_wait_loadcnt 0x0
	v_and_b32_e32 v1, 0xff, v0
	v_and_b32_e32 v0, 0xffff, v0
	s_wait_xcnt 0x0
	s_delay_alu instid0(VALU_DEP_2)
	v_cmpx_ne_u16_e32 0, v1
	s_cbranch_execz .LBB186_105
; %bb.98:                               ;   in Loop: Header=BB186_12 Depth=1
	v_mov_b64_e32 v[86:87], 0x80000000
	v_and_b32_e32 v1, 0xff, v0
	s_mov_b32 s44, exec_lo
	s_delay_alu instid0(VALU_DEP_1)
	v_cmpx_ne_u16_e32 0x80, v1
	s_cbranch_execz .LBB186_104
; %bb.99:                               ;   in Loop: Header=BB186_12 Depth=1
	v_mov_b64_e32 v[86:87], 0x7f800001
	v_and_b32_e32 v2, 0x7f, v0
	s_mov_b32 s45, exec_lo
	s_delay_alu instid0(VALU_DEP_1)
	v_cmpx_ne_u32_e32 0x7f, v2
	s_cbranch_execz .LBB186_103
; %bb.100:                              ;   in Loop: Header=BB186_12 Depth=1
	v_dual_lshrrev_b32 v1, 3, v2 :: v_dual_bitop2_b32 v52, 7, v0 bitop3:0x40
	s_mov_b32 s46, exec_lo
	v_cmpx_gt_u32_e32 8, v2
; %bb.101:                              ;   in Loop: Header=BB186_12 Depth=1
	s_delay_alu instid0(VALU_DEP_2) | instskip(NEXT) | instid1(VALU_DEP_1)
	v_clz_i32_u32_e32 v1, v52
	v_min_u32_e32 v1, 32, v1
	s_delay_alu instid0(VALU_DEP_1) | instskip(NEXT) | instid1(VALU_DEP_1)
	v_subrev_nc_u32_e32 v2, 28, v1
	v_lshlrev_b64_e32 v[2:3], v2, v[52:53]
	s_delay_alu instid0(VALU_DEP_1)
	v_dual_sub_nc_u32 v1, 29, v1 :: v_dual_bitop2_b32 v52, 7, v2 bitop3:0x40
; %bb.102:                              ;   in Loop: Header=BB186_12 Depth=1
	s_or_b32 exec_lo, exec_lo, s46
	v_lshlrev_b32_e32 v2, 24, v0
	s_delay_alu instid0(VALU_DEP_2) | instskip(NEXT) | instid1(VALU_DEP_3)
	v_lshlrev_b32_e32 v3, 20, v52
	v_lshl_add_u32 v1, v1, 23, 0x3c000000
	s_delay_alu instid0(VALU_DEP_3) | instskip(NEXT) | instid1(VALU_DEP_1)
	v_and_b32_e32 v2, 0x80000000, v2
	v_or3_b32 v52, v3, v2, v1
	s_delay_alu instid0(VALU_DEP_1)
	v_mov_b64_e32 v[86:87], v[52:53]
.LBB186_103:                            ;   in Loop: Header=BB186_12 Depth=1
	s_or_b32 exec_lo, exec_lo, s45
.LBB186_104:                            ;   in Loop: Header=BB186_12 Depth=1
	s_delay_alu instid0(SALU_CYCLE_1)
	s_or_b32 exec_lo, exec_lo, s44
.LBB186_105:                            ;   in Loop: Header=BB186_12 Depth=1
	s_delay_alu instid0(SALU_CYCLE_1) | instskip(SKIP_2) | instid1(VALU_DEP_1)
	s_or_b32 exec_lo, exec_lo, s43
	v_lshrrev_b16 v1, 8, v0
	s_mov_b32 s43, exec_lo
	v_cmpx_ne_u16_e32 0, v1
	s_cbranch_execz .LBB186_113
; %bb.106:                              ;   in Loop: Header=BB186_12 Depth=1
	v_mov_b64_e32 v[84:85], 0x8000000000000000
	s_mov_b32 s44, exec_lo
	v_cmpx_ne_u16_e32 0x80, v1
	s_cbranch_execz .LBB186_112
; %bb.107:                              ;   in Loop: Header=BB186_12 Depth=1
	v_and_b32_e32 v1, 0xffff, v1
	v_mov_b64_e32 v[84:85], 0x7f80000100000000
	s_mov_b32 s45, exec_lo
	s_delay_alu instid0(VALU_DEP_2) | instskip(NEXT) | instid1(VALU_DEP_1)
	v_and_b32_e32 v2, 0x7f, v1
	v_cmpx_ne_u32_e32 0x7f, v2
	s_cbranch_execz .LBB186_111
; %bb.108:                              ;   in Loop: Header=BB186_12 Depth=1
	v_dual_lshrrev_b32 v1, 3, v2 :: v_dual_bitop2_b32 v52, 7, v1 bitop3:0x40
	s_mov_b32 s46, exec_lo
	v_cmpx_gt_u32_e32 8, v2
; %bb.109:                              ;   in Loop: Header=BB186_12 Depth=1
	s_delay_alu instid0(VALU_DEP_2) | instskip(NEXT) | instid1(VALU_DEP_1)
	v_clz_i32_u32_e32 v1, v52
	v_min_u32_e32 v1, 32, v1
	s_delay_alu instid0(VALU_DEP_1) | instskip(NEXT) | instid1(VALU_DEP_1)
	v_subrev_nc_u32_e32 v2, 28, v1
	v_lshlrev_b64_e32 v[2:3], v2, v[52:53]
	s_delay_alu instid0(VALU_DEP_1)
	v_dual_sub_nc_u32 v1, 29, v1 :: v_dual_bitop2_b32 v52, 7, v2 bitop3:0x40
; %bb.110:                              ;   in Loop: Header=BB186_12 Depth=1
	s_or_b32 exec_lo, exec_lo, s46
	v_dual_lshlrev_b32 v0, 16, v0 :: v_dual_mov_b32 v84, v53
	s_delay_alu instid0(VALU_DEP_2) | instskip(NEXT) | instid1(VALU_DEP_3)
	v_lshlrev_b32_e32 v2, 20, v52
	v_lshl_add_u32 v1, v1, 23, 0x3c000000
	s_delay_alu instid0(VALU_DEP_3) | instskip(NEXT) | instid1(VALU_DEP_1)
	v_and_b32_e32 v0, 0x80000000, v0
	v_or3_b32 v85, v2, v0, v1
.LBB186_111:                            ;   in Loop: Header=BB186_12 Depth=1
	s_or_b32 exec_lo, exec_lo, s45
.LBB186_112:                            ;   in Loop: Header=BB186_12 Depth=1
	s_delay_alu instid0(SALU_CYCLE_1)
	s_or_b32 exec_lo, exec_lo, s44
.LBB186_113:                            ;   in Loop: Header=BB186_12 Depth=1
	s_delay_alu instid0(SALU_CYCLE_1)
	s_or_b32 exec_lo, exec_lo, s43
	global_load_u16 v0, v[70:71], off offset:264
	v_mov_b64_e32 v[88:89], 0
	v_mov_b64_e32 v[90:91], 0
	s_mov_b32 s43, exec_lo
	s_wait_loadcnt 0x0
	v_and_b32_e32 v1, 0xff, v0
	v_and_b32_e32 v0, 0xffff, v0
	s_wait_xcnt 0x0
	s_delay_alu instid0(VALU_DEP_2)
	v_cmpx_ne_u16_e32 0, v1
	s_cbranch_execz .LBB186_121
; %bb.114:                              ;   in Loop: Header=BB186_12 Depth=1
	v_mov_b64_e32 v[90:91], 0x80000000
	v_and_b32_e32 v1, 0xff, v0
	s_mov_b32 s44, exec_lo
	s_delay_alu instid0(VALU_DEP_1)
	v_cmpx_ne_u16_e32 0x80, v1
	s_cbranch_execz .LBB186_120
; %bb.115:                              ;   in Loop: Header=BB186_12 Depth=1
	v_mov_b64_e32 v[90:91], 0x7f800001
	v_and_b32_e32 v2, 0x7f, v0
	s_mov_b32 s45, exec_lo
	s_delay_alu instid0(VALU_DEP_1)
	v_cmpx_ne_u32_e32 0x7f, v2
	s_cbranch_execz .LBB186_119
; %bb.116:                              ;   in Loop: Header=BB186_12 Depth=1
	v_dual_lshrrev_b32 v1, 3, v2 :: v_dual_bitop2_b32 v52, 7, v0 bitop3:0x40
	s_mov_b32 s46, exec_lo
	v_cmpx_gt_u32_e32 8, v2
; %bb.117:                              ;   in Loop: Header=BB186_12 Depth=1
	s_delay_alu instid0(VALU_DEP_2) | instskip(NEXT) | instid1(VALU_DEP_1)
	v_clz_i32_u32_e32 v1, v52
	v_min_u32_e32 v1, 32, v1
	s_delay_alu instid0(VALU_DEP_1) | instskip(NEXT) | instid1(VALU_DEP_1)
	v_subrev_nc_u32_e32 v2, 28, v1
	v_lshlrev_b64_e32 v[2:3], v2, v[52:53]
	s_delay_alu instid0(VALU_DEP_1)
	v_dual_sub_nc_u32 v1, 29, v1 :: v_dual_bitop2_b32 v52, 7, v2 bitop3:0x40
; %bb.118:                              ;   in Loop: Header=BB186_12 Depth=1
	s_or_b32 exec_lo, exec_lo, s46
	v_lshlrev_b32_e32 v2, 24, v0
	s_delay_alu instid0(VALU_DEP_2) | instskip(NEXT) | instid1(VALU_DEP_3)
	v_lshlrev_b32_e32 v3, 20, v52
	v_lshl_add_u32 v1, v1, 23, 0x3c000000
	s_delay_alu instid0(VALU_DEP_3) | instskip(NEXT) | instid1(VALU_DEP_1)
	v_and_b32_e32 v2, 0x80000000, v2
	v_or3_b32 v52, v3, v2, v1
	s_delay_alu instid0(VALU_DEP_1)
	v_mov_b64_e32 v[90:91], v[52:53]
.LBB186_119:                            ;   in Loop: Header=BB186_12 Depth=1
	s_or_b32 exec_lo, exec_lo, s45
.LBB186_120:                            ;   in Loop: Header=BB186_12 Depth=1
	s_delay_alu instid0(SALU_CYCLE_1)
	s_or_b32 exec_lo, exec_lo, s44
.LBB186_121:                            ;   in Loop: Header=BB186_12 Depth=1
	s_delay_alu instid0(SALU_CYCLE_1) | instskip(SKIP_2) | instid1(VALU_DEP_1)
	s_or_b32 exec_lo, exec_lo, s43
	v_lshrrev_b16 v1, 8, v0
	s_mov_b32 s43, exec_lo
	v_cmpx_ne_u16_e32 0, v1
	s_cbranch_execz .LBB186_129
; %bb.122:                              ;   in Loop: Header=BB186_12 Depth=1
	v_mov_b64_e32 v[88:89], 0x8000000000000000
	s_mov_b32 s44, exec_lo
	v_cmpx_ne_u16_e32 0x80, v1
	s_cbranch_execz .LBB186_128
; %bb.123:                              ;   in Loop: Header=BB186_12 Depth=1
	v_and_b32_e32 v1, 0xffff, v1
	v_mov_b64_e32 v[88:89], 0x7f80000100000000
	s_mov_b32 s45, exec_lo
	s_delay_alu instid0(VALU_DEP_2) | instskip(NEXT) | instid1(VALU_DEP_1)
	v_and_b32_e32 v2, 0x7f, v1
	v_cmpx_ne_u32_e32 0x7f, v2
	s_cbranch_execz .LBB186_127
; %bb.124:                              ;   in Loop: Header=BB186_12 Depth=1
	v_dual_lshrrev_b32 v1, 3, v2 :: v_dual_bitop2_b32 v52, 7, v1 bitop3:0x40
	s_mov_b32 s46, exec_lo
	v_cmpx_gt_u32_e32 8, v2
; %bb.125:                              ;   in Loop: Header=BB186_12 Depth=1
	s_delay_alu instid0(VALU_DEP_2) | instskip(NEXT) | instid1(VALU_DEP_1)
	v_clz_i32_u32_e32 v1, v52
	v_min_u32_e32 v1, 32, v1
	s_delay_alu instid0(VALU_DEP_1) | instskip(NEXT) | instid1(VALU_DEP_1)
	v_subrev_nc_u32_e32 v2, 28, v1
	v_lshlrev_b64_e32 v[2:3], v2, v[52:53]
	s_delay_alu instid0(VALU_DEP_1)
	v_dual_sub_nc_u32 v1, 29, v1 :: v_dual_bitop2_b32 v52, 7, v2 bitop3:0x40
; %bb.126:                              ;   in Loop: Header=BB186_12 Depth=1
	s_or_b32 exec_lo, exec_lo, s46
	v_dual_lshlrev_b32 v0, 16, v0 :: v_dual_mov_b32 v88, v53
	s_delay_alu instid0(VALU_DEP_2) | instskip(NEXT) | instid1(VALU_DEP_3)
	v_lshlrev_b32_e32 v2, 20, v52
	v_lshl_add_u32 v1, v1, 23, 0x3c000000
	s_delay_alu instid0(VALU_DEP_3) | instskip(NEXT) | instid1(VALU_DEP_1)
	v_and_b32_e32 v0, 0x80000000, v0
	v_or3_b32 v89, v2, v0, v1
.LBB186_127:                            ;   in Loop: Header=BB186_12 Depth=1
	s_or_b32 exec_lo, exec_lo, s45
.LBB186_128:                            ;   in Loop: Header=BB186_12 Depth=1
	s_delay_alu instid0(SALU_CYCLE_1)
	s_or_b32 exec_lo, exec_lo, s44
.LBB186_129:                            ;   in Loop: Header=BB186_12 Depth=1
	s_delay_alu instid0(SALU_CYCLE_1)
	s_or_b32 exec_lo, exec_lo, s43
	global_load_u16 v0, v[70:71], off offset:268
	v_mov_b64_e32 v[92:93], 0
	v_mov_b64_e32 v[94:95], 0
	s_mov_b32 s43, exec_lo
	s_wait_loadcnt 0x0
	v_and_b32_e32 v1, 0xff, v0
	v_and_b32_e32 v0, 0xffff, v0
	s_wait_xcnt 0x0
	s_delay_alu instid0(VALU_DEP_2)
	v_cmpx_ne_u16_e32 0, v1
	s_cbranch_execz .LBB186_137
; %bb.130:                              ;   in Loop: Header=BB186_12 Depth=1
	v_mov_b64_e32 v[94:95], 0x80000000
	v_and_b32_e32 v1, 0xff, v0
	s_mov_b32 s44, exec_lo
	s_delay_alu instid0(VALU_DEP_1)
	v_cmpx_ne_u16_e32 0x80, v1
	s_cbranch_execz .LBB186_136
; %bb.131:                              ;   in Loop: Header=BB186_12 Depth=1
	v_mov_b64_e32 v[94:95], 0x7f800001
	v_and_b32_e32 v2, 0x7f, v0
	s_mov_b32 s45, exec_lo
	s_delay_alu instid0(VALU_DEP_1)
	v_cmpx_ne_u32_e32 0x7f, v2
	s_cbranch_execz .LBB186_135
; %bb.132:                              ;   in Loop: Header=BB186_12 Depth=1
	v_dual_lshrrev_b32 v1, 3, v2 :: v_dual_bitop2_b32 v52, 7, v0 bitop3:0x40
	s_mov_b32 s46, exec_lo
	v_cmpx_gt_u32_e32 8, v2
; %bb.133:                              ;   in Loop: Header=BB186_12 Depth=1
	s_delay_alu instid0(VALU_DEP_2) | instskip(NEXT) | instid1(VALU_DEP_1)
	v_clz_i32_u32_e32 v1, v52
	v_min_u32_e32 v1, 32, v1
	s_delay_alu instid0(VALU_DEP_1) | instskip(NEXT) | instid1(VALU_DEP_1)
	v_subrev_nc_u32_e32 v2, 28, v1
	v_lshlrev_b64_e32 v[2:3], v2, v[52:53]
	s_delay_alu instid0(VALU_DEP_1)
	v_dual_sub_nc_u32 v1, 29, v1 :: v_dual_bitop2_b32 v52, 7, v2 bitop3:0x40
; %bb.134:                              ;   in Loop: Header=BB186_12 Depth=1
	s_or_b32 exec_lo, exec_lo, s46
	v_lshlrev_b32_e32 v2, 24, v0
	s_delay_alu instid0(VALU_DEP_2) | instskip(NEXT) | instid1(VALU_DEP_3)
	v_lshlrev_b32_e32 v3, 20, v52
	v_lshl_add_u32 v1, v1, 23, 0x3c000000
	s_delay_alu instid0(VALU_DEP_3) | instskip(NEXT) | instid1(VALU_DEP_1)
	v_and_b32_e32 v2, 0x80000000, v2
	v_or3_b32 v52, v3, v2, v1
	s_delay_alu instid0(VALU_DEP_1)
	v_mov_b64_e32 v[94:95], v[52:53]
.LBB186_135:                            ;   in Loop: Header=BB186_12 Depth=1
	s_or_b32 exec_lo, exec_lo, s45
.LBB186_136:                            ;   in Loop: Header=BB186_12 Depth=1
	s_delay_alu instid0(SALU_CYCLE_1)
	s_or_b32 exec_lo, exec_lo, s44
.LBB186_137:                            ;   in Loop: Header=BB186_12 Depth=1
	s_delay_alu instid0(SALU_CYCLE_1) | instskip(SKIP_2) | instid1(VALU_DEP_1)
	s_or_b32 exec_lo, exec_lo, s43
	v_lshrrev_b16 v1, 8, v0
	s_mov_b32 s43, exec_lo
	v_cmpx_ne_u16_e32 0, v1
	s_cbranch_execz .LBB186_145
; %bb.138:                              ;   in Loop: Header=BB186_12 Depth=1
	v_mov_b64_e32 v[92:93], 0x8000000000000000
	s_mov_b32 s44, exec_lo
	v_cmpx_ne_u16_e32 0x80, v1
	s_cbranch_execz .LBB186_144
; %bb.139:                              ;   in Loop: Header=BB186_12 Depth=1
	v_and_b32_e32 v1, 0xffff, v1
	v_mov_b64_e32 v[92:93], 0x7f80000100000000
	s_mov_b32 s45, exec_lo
	s_delay_alu instid0(VALU_DEP_2) | instskip(NEXT) | instid1(VALU_DEP_1)
	v_and_b32_e32 v2, 0x7f, v1
	v_cmpx_ne_u32_e32 0x7f, v2
	s_cbranch_execz .LBB186_143
; %bb.140:                              ;   in Loop: Header=BB186_12 Depth=1
	v_dual_lshrrev_b32 v1, 3, v2 :: v_dual_bitop2_b32 v52, 7, v1 bitop3:0x40
	s_mov_b32 s46, exec_lo
	v_cmpx_gt_u32_e32 8, v2
; %bb.141:                              ;   in Loop: Header=BB186_12 Depth=1
	s_delay_alu instid0(VALU_DEP_2) | instskip(NEXT) | instid1(VALU_DEP_1)
	v_clz_i32_u32_e32 v1, v52
	v_min_u32_e32 v1, 32, v1
	s_delay_alu instid0(VALU_DEP_1) | instskip(NEXT) | instid1(VALU_DEP_1)
	v_subrev_nc_u32_e32 v2, 28, v1
	v_lshlrev_b64_e32 v[2:3], v2, v[52:53]
	s_delay_alu instid0(VALU_DEP_1)
	v_dual_sub_nc_u32 v1, 29, v1 :: v_dual_bitop2_b32 v52, 7, v2 bitop3:0x40
; %bb.142:                              ;   in Loop: Header=BB186_12 Depth=1
	s_or_b32 exec_lo, exec_lo, s46
	v_dual_lshlrev_b32 v0, 16, v0 :: v_dual_mov_b32 v92, v53
	s_delay_alu instid0(VALU_DEP_2) | instskip(NEXT) | instid1(VALU_DEP_3)
	v_lshlrev_b32_e32 v2, 20, v52
	v_lshl_add_u32 v1, v1, 23, 0x3c000000
	s_delay_alu instid0(VALU_DEP_3) | instskip(NEXT) | instid1(VALU_DEP_1)
	v_and_b32_e32 v0, 0x80000000, v0
	v_or3_b32 v93, v2, v0, v1
.LBB186_143:                            ;   in Loop: Header=BB186_12 Depth=1
	s_or_b32 exec_lo, exec_lo, s45
.LBB186_144:                            ;   in Loop: Header=BB186_12 Depth=1
	s_delay_alu instid0(SALU_CYCLE_1)
	s_or_b32 exec_lo, exec_lo, s44
.LBB186_145:                            ;   in Loop: Header=BB186_12 Depth=1
	s_delay_alu instid0(SALU_CYCLE_1)
	s_or_b32 exec_lo, exec_lo, s43
	global_load_u16 v0, v[70:71], off offset:512
	v_mov_b64_e32 v[96:97], 0
	v_mov_b64_e32 v[98:99], 0
	s_mov_b32 s43, exec_lo
	s_wait_loadcnt 0x0
	v_and_b32_e32 v1, 0xff, v0
	v_and_b32_e32 v0, 0xffff, v0
	s_wait_xcnt 0x0
	s_delay_alu instid0(VALU_DEP_2)
	v_cmpx_ne_u16_e32 0, v1
	s_cbranch_execz .LBB186_153
; %bb.146:                              ;   in Loop: Header=BB186_12 Depth=1
	v_mov_b64_e32 v[98:99], 0x80000000
	v_and_b32_e32 v1, 0xff, v0
	s_mov_b32 s44, exec_lo
	s_delay_alu instid0(VALU_DEP_1)
	v_cmpx_ne_u16_e32 0x80, v1
	s_cbranch_execz .LBB186_152
; %bb.147:                              ;   in Loop: Header=BB186_12 Depth=1
	v_mov_b64_e32 v[98:99], 0x7f800001
	v_and_b32_e32 v2, 0x7f, v0
	s_mov_b32 s45, exec_lo
	s_delay_alu instid0(VALU_DEP_1)
	v_cmpx_ne_u32_e32 0x7f, v2
	s_cbranch_execz .LBB186_151
; %bb.148:                              ;   in Loop: Header=BB186_12 Depth=1
	v_dual_lshrrev_b32 v1, 3, v2 :: v_dual_bitop2_b32 v52, 7, v0 bitop3:0x40
	s_mov_b32 s46, exec_lo
	v_cmpx_gt_u32_e32 8, v2
; %bb.149:                              ;   in Loop: Header=BB186_12 Depth=1
	s_delay_alu instid0(VALU_DEP_2) | instskip(NEXT) | instid1(VALU_DEP_1)
	v_clz_i32_u32_e32 v1, v52
	v_min_u32_e32 v1, 32, v1
	s_delay_alu instid0(VALU_DEP_1) | instskip(NEXT) | instid1(VALU_DEP_1)
	v_subrev_nc_u32_e32 v2, 28, v1
	v_lshlrev_b64_e32 v[2:3], v2, v[52:53]
	s_delay_alu instid0(VALU_DEP_1)
	v_dual_sub_nc_u32 v1, 29, v1 :: v_dual_bitop2_b32 v52, 7, v2 bitop3:0x40
; %bb.150:                              ;   in Loop: Header=BB186_12 Depth=1
	s_or_b32 exec_lo, exec_lo, s46
	v_lshlrev_b32_e32 v2, 24, v0
	s_delay_alu instid0(VALU_DEP_2) | instskip(NEXT) | instid1(VALU_DEP_3)
	v_lshlrev_b32_e32 v3, 20, v52
	v_lshl_add_u32 v1, v1, 23, 0x3c000000
	s_delay_alu instid0(VALU_DEP_3) | instskip(NEXT) | instid1(VALU_DEP_1)
	v_and_b32_e32 v2, 0x80000000, v2
	v_or3_b32 v52, v3, v2, v1
	s_delay_alu instid0(VALU_DEP_1)
	v_mov_b64_e32 v[98:99], v[52:53]
.LBB186_151:                            ;   in Loop: Header=BB186_12 Depth=1
	s_or_b32 exec_lo, exec_lo, s45
.LBB186_152:                            ;   in Loop: Header=BB186_12 Depth=1
	s_delay_alu instid0(SALU_CYCLE_1)
	s_or_b32 exec_lo, exec_lo, s44
.LBB186_153:                            ;   in Loop: Header=BB186_12 Depth=1
	s_delay_alu instid0(SALU_CYCLE_1) | instskip(SKIP_2) | instid1(VALU_DEP_1)
	s_or_b32 exec_lo, exec_lo, s43
	v_lshrrev_b16 v1, 8, v0
	s_mov_b32 s43, exec_lo
	v_cmpx_ne_u16_e32 0, v1
	s_cbranch_execz .LBB186_161
; %bb.154:                              ;   in Loop: Header=BB186_12 Depth=1
	v_mov_b64_e32 v[96:97], 0x8000000000000000
	s_mov_b32 s44, exec_lo
	v_cmpx_ne_u16_e32 0x80, v1
	s_cbranch_execz .LBB186_160
; %bb.155:                              ;   in Loop: Header=BB186_12 Depth=1
	v_and_b32_e32 v1, 0xffff, v1
	v_mov_b64_e32 v[96:97], 0x7f80000100000000
	s_mov_b32 s45, exec_lo
	s_delay_alu instid0(VALU_DEP_2) | instskip(NEXT) | instid1(VALU_DEP_1)
	v_and_b32_e32 v2, 0x7f, v1
	v_cmpx_ne_u32_e32 0x7f, v2
	s_cbranch_execz .LBB186_159
; %bb.156:                              ;   in Loop: Header=BB186_12 Depth=1
	v_dual_lshrrev_b32 v1, 3, v2 :: v_dual_bitop2_b32 v52, 7, v1 bitop3:0x40
	s_mov_b32 s46, exec_lo
	v_cmpx_gt_u32_e32 8, v2
; %bb.157:                              ;   in Loop: Header=BB186_12 Depth=1
	s_delay_alu instid0(VALU_DEP_2) | instskip(NEXT) | instid1(VALU_DEP_1)
	v_clz_i32_u32_e32 v1, v52
	v_min_u32_e32 v1, 32, v1
	s_delay_alu instid0(VALU_DEP_1) | instskip(NEXT) | instid1(VALU_DEP_1)
	v_subrev_nc_u32_e32 v2, 28, v1
	v_lshlrev_b64_e32 v[2:3], v2, v[52:53]
	s_delay_alu instid0(VALU_DEP_1)
	v_dual_sub_nc_u32 v1, 29, v1 :: v_dual_bitop2_b32 v52, 7, v2 bitop3:0x40
; %bb.158:                              ;   in Loop: Header=BB186_12 Depth=1
	s_or_b32 exec_lo, exec_lo, s46
	v_dual_lshlrev_b32 v0, 16, v0 :: v_dual_mov_b32 v96, v53
	s_delay_alu instid0(VALU_DEP_2) | instskip(NEXT) | instid1(VALU_DEP_3)
	v_lshlrev_b32_e32 v2, 20, v52
	v_lshl_add_u32 v1, v1, 23, 0x3c000000
	s_delay_alu instid0(VALU_DEP_3) | instskip(NEXT) | instid1(VALU_DEP_1)
	v_and_b32_e32 v0, 0x80000000, v0
	v_or3_b32 v97, v2, v0, v1
.LBB186_159:                            ;   in Loop: Header=BB186_12 Depth=1
	s_or_b32 exec_lo, exec_lo, s45
.LBB186_160:                            ;   in Loop: Header=BB186_12 Depth=1
	s_delay_alu instid0(SALU_CYCLE_1)
	s_or_b32 exec_lo, exec_lo, s44
.LBB186_161:                            ;   in Loop: Header=BB186_12 Depth=1
	s_delay_alu instid0(SALU_CYCLE_1)
	s_or_b32 exec_lo, exec_lo, s43
	global_load_u16 v0, v[70:71], off offset:516
	v_mov_b64_e32 v[100:101], 0
	v_mov_b64_e32 v[102:103], 0
	s_mov_b32 s43, exec_lo
	s_wait_loadcnt 0x0
	v_and_b32_e32 v1, 0xff, v0
	v_and_b32_e32 v0, 0xffff, v0
	s_wait_xcnt 0x0
	s_delay_alu instid0(VALU_DEP_2)
	v_cmpx_ne_u16_e32 0, v1
	s_cbranch_execz .LBB186_169
; %bb.162:                              ;   in Loop: Header=BB186_12 Depth=1
	v_mov_b64_e32 v[102:103], 0x80000000
	v_and_b32_e32 v1, 0xff, v0
	s_mov_b32 s44, exec_lo
	s_delay_alu instid0(VALU_DEP_1)
	v_cmpx_ne_u16_e32 0x80, v1
	s_cbranch_execz .LBB186_168
; %bb.163:                              ;   in Loop: Header=BB186_12 Depth=1
	v_mov_b64_e32 v[102:103], 0x7f800001
	v_and_b32_e32 v2, 0x7f, v0
	s_mov_b32 s45, exec_lo
	s_delay_alu instid0(VALU_DEP_1)
	v_cmpx_ne_u32_e32 0x7f, v2
	s_cbranch_execz .LBB186_167
; %bb.164:                              ;   in Loop: Header=BB186_12 Depth=1
	v_dual_lshrrev_b32 v1, 3, v2 :: v_dual_bitop2_b32 v52, 7, v0 bitop3:0x40
	s_mov_b32 s46, exec_lo
	v_cmpx_gt_u32_e32 8, v2
; %bb.165:                              ;   in Loop: Header=BB186_12 Depth=1
	s_delay_alu instid0(VALU_DEP_2) | instskip(NEXT) | instid1(VALU_DEP_1)
	v_clz_i32_u32_e32 v1, v52
	v_min_u32_e32 v1, 32, v1
	s_delay_alu instid0(VALU_DEP_1) | instskip(NEXT) | instid1(VALU_DEP_1)
	v_subrev_nc_u32_e32 v2, 28, v1
	v_lshlrev_b64_e32 v[2:3], v2, v[52:53]
	s_delay_alu instid0(VALU_DEP_1)
	v_dual_sub_nc_u32 v1, 29, v1 :: v_dual_bitop2_b32 v52, 7, v2 bitop3:0x40
; %bb.166:                              ;   in Loop: Header=BB186_12 Depth=1
	s_or_b32 exec_lo, exec_lo, s46
	v_lshlrev_b32_e32 v2, 24, v0
	s_delay_alu instid0(VALU_DEP_2) | instskip(NEXT) | instid1(VALU_DEP_3)
	v_lshlrev_b32_e32 v3, 20, v52
	v_lshl_add_u32 v1, v1, 23, 0x3c000000
	s_delay_alu instid0(VALU_DEP_3) | instskip(NEXT) | instid1(VALU_DEP_1)
	v_and_b32_e32 v2, 0x80000000, v2
	v_or3_b32 v52, v3, v2, v1
	s_delay_alu instid0(VALU_DEP_1)
	v_mov_b64_e32 v[102:103], v[52:53]
.LBB186_167:                            ;   in Loop: Header=BB186_12 Depth=1
	s_or_b32 exec_lo, exec_lo, s45
.LBB186_168:                            ;   in Loop: Header=BB186_12 Depth=1
	s_delay_alu instid0(SALU_CYCLE_1)
	s_or_b32 exec_lo, exec_lo, s44
.LBB186_169:                            ;   in Loop: Header=BB186_12 Depth=1
	s_delay_alu instid0(SALU_CYCLE_1) | instskip(SKIP_2) | instid1(VALU_DEP_1)
	s_or_b32 exec_lo, exec_lo, s43
	v_lshrrev_b16 v1, 8, v0
	s_mov_b32 s43, exec_lo
	v_cmpx_ne_u16_e32 0, v1
	s_cbranch_execz .LBB186_177
; %bb.170:                              ;   in Loop: Header=BB186_12 Depth=1
	v_mov_b64_e32 v[100:101], 0x8000000000000000
	s_mov_b32 s44, exec_lo
	v_cmpx_ne_u16_e32 0x80, v1
	s_cbranch_execz .LBB186_176
; %bb.171:                              ;   in Loop: Header=BB186_12 Depth=1
	v_and_b32_e32 v1, 0xffff, v1
	v_mov_b64_e32 v[100:101], 0x7f80000100000000
	s_mov_b32 s45, exec_lo
	s_delay_alu instid0(VALU_DEP_2) | instskip(NEXT) | instid1(VALU_DEP_1)
	v_and_b32_e32 v2, 0x7f, v1
	v_cmpx_ne_u32_e32 0x7f, v2
	s_cbranch_execz .LBB186_175
; %bb.172:                              ;   in Loop: Header=BB186_12 Depth=1
	v_dual_lshrrev_b32 v1, 3, v2 :: v_dual_bitop2_b32 v52, 7, v1 bitop3:0x40
	s_mov_b32 s46, exec_lo
	v_cmpx_gt_u32_e32 8, v2
; %bb.173:                              ;   in Loop: Header=BB186_12 Depth=1
	s_delay_alu instid0(VALU_DEP_2) | instskip(NEXT) | instid1(VALU_DEP_1)
	v_clz_i32_u32_e32 v1, v52
	v_min_u32_e32 v1, 32, v1
	s_delay_alu instid0(VALU_DEP_1) | instskip(NEXT) | instid1(VALU_DEP_1)
	v_subrev_nc_u32_e32 v2, 28, v1
	v_lshlrev_b64_e32 v[2:3], v2, v[52:53]
	s_delay_alu instid0(VALU_DEP_1)
	v_dual_sub_nc_u32 v1, 29, v1 :: v_dual_bitop2_b32 v52, 7, v2 bitop3:0x40
; %bb.174:                              ;   in Loop: Header=BB186_12 Depth=1
	s_or_b32 exec_lo, exec_lo, s46
	v_dual_lshlrev_b32 v0, 16, v0 :: v_dual_mov_b32 v100, v53
	s_delay_alu instid0(VALU_DEP_2) | instskip(NEXT) | instid1(VALU_DEP_3)
	v_lshlrev_b32_e32 v2, 20, v52
	v_lshl_add_u32 v1, v1, 23, 0x3c000000
	s_delay_alu instid0(VALU_DEP_3) | instskip(NEXT) | instid1(VALU_DEP_1)
	v_and_b32_e32 v0, 0x80000000, v0
	v_or3_b32 v101, v2, v0, v1
.LBB186_175:                            ;   in Loop: Header=BB186_12 Depth=1
	s_or_b32 exec_lo, exec_lo, s45
.LBB186_176:                            ;   in Loop: Header=BB186_12 Depth=1
	s_delay_alu instid0(SALU_CYCLE_1)
	s_or_b32 exec_lo, exec_lo, s44
.LBB186_177:                            ;   in Loop: Header=BB186_12 Depth=1
	s_delay_alu instid0(SALU_CYCLE_1)
	s_or_b32 exec_lo, exec_lo, s43
	global_load_u16 v0, v[70:71], off offset:520
	v_mov_b64_e32 v[104:105], 0
	v_mov_b64_e32 v[106:107], 0
	s_mov_b32 s43, exec_lo
	s_wait_loadcnt 0x0
	v_and_b32_e32 v1, 0xff, v0
	v_and_b32_e32 v0, 0xffff, v0
	s_wait_xcnt 0x0
	s_delay_alu instid0(VALU_DEP_2)
	v_cmpx_ne_u16_e32 0, v1
	s_cbranch_execz .LBB186_185
; %bb.178:                              ;   in Loop: Header=BB186_12 Depth=1
	v_mov_b64_e32 v[106:107], 0x80000000
	v_and_b32_e32 v1, 0xff, v0
	s_mov_b32 s44, exec_lo
	s_delay_alu instid0(VALU_DEP_1)
	v_cmpx_ne_u16_e32 0x80, v1
	s_cbranch_execz .LBB186_184
; %bb.179:                              ;   in Loop: Header=BB186_12 Depth=1
	v_mov_b64_e32 v[106:107], 0x7f800001
	v_and_b32_e32 v2, 0x7f, v0
	s_mov_b32 s45, exec_lo
	s_delay_alu instid0(VALU_DEP_1)
	v_cmpx_ne_u32_e32 0x7f, v2
	s_cbranch_execz .LBB186_183
; %bb.180:                              ;   in Loop: Header=BB186_12 Depth=1
	v_dual_lshrrev_b32 v1, 3, v2 :: v_dual_bitop2_b32 v52, 7, v0 bitop3:0x40
	s_mov_b32 s46, exec_lo
	v_cmpx_gt_u32_e32 8, v2
; %bb.181:                              ;   in Loop: Header=BB186_12 Depth=1
	s_delay_alu instid0(VALU_DEP_2) | instskip(NEXT) | instid1(VALU_DEP_1)
	v_clz_i32_u32_e32 v1, v52
	v_min_u32_e32 v1, 32, v1
	s_delay_alu instid0(VALU_DEP_1) | instskip(NEXT) | instid1(VALU_DEP_1)
	v_subrev_nc_u32_e32 v2, 28, v1
	v_lshlrev_b64_e32 v[2:3], v2, v[52:53]
	s_delay_alu instid0(VALU_DEP_1)
	v_dual_sub_nc_u32 v1, 29, v1 :: v_dual_bitop2_b32 v52, 7, v2 bitop3:0x40
; %bb.182:                              ;   in Loop: Header=BB186_12 Depth=1
	s_or_b32 exec_lo, exec_lo, s46
	v_lshlrev_b32_e32 v2, 24, v0
	s_delay_alu instid0(VALU_DEP_2) | instskip(NEXT) | instid1(VALU_DEP_3)
	v_lshlrev_b32_e32 v3, 20, v52
	v_lshl_add_u32 v1, v1, 23, 0x3c000000
	s_delay_alu instid0(VALU_DEP_3) | instskip(NEXT) | instid1(VALU_DEP_1)
	v_and_b32_e32 v2, 0x80000000, v2
	v_or3_b32 v52, v3, v2, v1
	s_delay_alu instid0(VALU_DEP_1)
	v_mov_b64_e32 v[106:107], v[52:53]
.LBB186_183:                            ;   in Loop: Header=BB186_12 Depth=1
	s_or_b32 exec_lo, exec_lo, s45
.LBB186_184:                            ;   in Loop: Header=BB186_12 Depth=1
	s_delay_alu instid0(SALU_CYCLE_1)
	s_or_b32 exec_lo, exec_lo, s44
.LBB186_185:                            ;   in Loop: Header=BB186_12 Depth=1
	s_delay_alu instid0(SALU_CYCLE_1) | instskip(SKIP_2) | instid1(VALU_DEP_1)
	s_or_b32 exec_lo, exec_lo, s43
	v_lshrrev_b16 v1, 8, v0
	s_mov_b32 s43, exec_lo
	v_cmpx_ne_u16_e32 0, v1
	s_cbranch_execz .LBB186_193
; %bb.186:                              ;   in Loop: Header=BB186_12 Depth=1
	v_mov_b64_e32 v[104:105], 0x8000000000000000
	s_mov_b32 s44, exec_lo
	v_cmpx_ne_u16_e32 0x80, v1
	s_cbranch_execz .LBB186_192
; %bb.187:                              ;   in Loop: Header=BB186_12 Depth=1
	v_and_b32_e32 v1, 0xffff, v1
	v_mov_b64_e32 v[104:105], 0x7f80000100000000
	s_mov_b32 s45, exec_lo
	s_delay_alu instid0(VALU_DEP_2) | instskip(NEXT) | instid1(VALU_DEP_1)
	v_and_b32_e32 v2, 0x7f, v1
	v_cmpx_ne_u32_e32 0x7f, v2
	s_cbranch_execz .LBB186_191
; %bb.188:                              ;   in Loop: Header=BB186_12 Depth=1
	v_dual_lshrrev_b32 v1, 3, v2 :: v_dual_bitop2_b32 v52, 7, v1 bitop3:0x40
	s_mov_b32 s46, exec_lo
	v_cmpx_gt_u32_e32 8, v2
; %bb.189:                              ;   in Loop: Header=BB186_12 Depth=1
	s_delay_alu instid0(VALU_DEP_2) | instskip(NEXT) | instid1(VALU_DEP_1)
	v_clz_i32_u32_e32 v1, v52
	v_min_u32_e32 v1, 32, v1
	s_delay_alu instid0(VALU_DEP_1) | instskip(NEXT) | instid1(VALU_DEP_1)
	v_subrev_nc_u32_e32 v2, 28, v1
	v_lshlrev_b64_e32 v[2:3], v2, v[52:53]
	s_delay_alu instid0(VALU_DEP_1)
	v_dual_sub_nc_u32 v1, 29, v1 :: v_dual_bitop2_b32 v52, 7, v2 bitop3:0x40
; %bb.190:                              ;   in Loop: Header=BB186_12 Depth=1
	s_or_b32 exec_lo, exec_lo, s46
	v_dual_lshlrev_b32 v0, 16, v0 :: v_dual_mov_b32 v104, v53
	s_delay_alu instid0(VALU_DEP_2) | instskip(NEXT) | instid1(VALU_DEP_3)
	v_lshlrev_b32_e32 v2, 20, v52
	v_lshl_add_u32 v1, v1, 23, 0x3c000000
	s_delay_alu instid0(VALU_DEP_3) | instskip(NEXT) | instid1(VALU_DEP_1)
	v_and_b32_e32 v0, 0x80000000, v0
	v_or3_b32 v105, v2, v0, v1
.LBB186_191:                            ;   in Loop: Header=BB186_12 Depth=1
	s_or_b32 exec_lo, exec_lo, s45
.LBB186_192:                            ;   in Loop: Header=BB186_12 Depth=1
	s_delay_alu instid0(SALU_CYCLE_1)
	s_or_b32 exec_lo, exec_lo, s44
.LBB186_193:                            ;   in Loop: Header=BB186_12 Depth=1
	s_delay_alu instid0(SALU_CYCLE_1)
	s_or_b32 exec_lo, exec_lo, s43
	global_load_u16 v0, v[70:71], off offset:524
	v_mov_b64_e32 v[108:109], 0
	v_mov_b64_e32 v[110:111], 0
	s_mov_b32 s43, exec_lo
	s_wait_loadcnt 0x0
	v_and_b32_e32 v1, 0xff, v0
	v_and_b32_e32 v0, 0xffff, v0
	s_wait_xcnt 0x0
	s_delay_alu instid0(VALU_DEP_2)
	v_cmpx_ne_u16_e32 0, v1
	s_cbranch_execz .LBB186_201
; %bb.194:                              ;   in Loop: Header=BB186_12 Depth=1
	v_mov_b64_e32 v[110:111], 0x80000000
	v_and_b32_e32 v1, 0xff, v0
	s_mov_b32 s44, exec_lo
	s_delay_alu instid0(VALU_DEP_1)
	v_cmpx_ne_u16_e32 0x80, v1
	s_cbranch_execz .LBB186_200
; %bb.195:                              ;   in Loop: Header=BB186_12 Depth=1
	v_mov_b64_e32 v[110:111], 0x7f800001
	v_and_b32_e32 v2, 0x7f, v0
	s_mov_b32 s45, exec_lo
	s_delay_alu instid0(VALU_DEP_1)
	v_cmpx_ne_u32_e32 0x7f, v2
	s_cbranch_execz .LBB186_199
; %bb.196:                              ;   in Loop: Header=BB186_12 Depth=1
	v_dual_lshrrev_b32 v1, 3, v2 :: v_dual_bitop2_b32 v52, 7, v0 bitop3:0x40
	s_mov_b32 s46, exec_lo
	v_cmpx_gt_u32_e32 8, v2
; %bb.197:                              ;   in Loop: Header=BB186_12 Depth=1
	s_delay_alu instid0(VALU_DEP_2) | instskip(NEXT) | instid1(VALU_DEP_1)
	v_clz_i32_u32_e32 v1, v52
	v_min_u32_e32 v1, 32, v1
	s_delay_alu instid0(VALU_DEP_1) | instskip(NEXT) | instid1(VALU_DEP_1)
	v_subrev_nc_u32_e32 v2, 28, v1
	v_lshlrev_b64_e32 v[2:3], v2, v[52:53]
	s_delay_alu instid0(VALU_DEP_1)
	v_dual_sub_nc_u32 v1, 29, v1 :: v_dual_bitop2_b32 v52, 7, v2 bitop3:0x40
; %bb.198:                              ;   in Loop: Header=BB186_12 Depth=1
	s_or_b32 exec_lo, exec_lo, s46
	v_lshlrev_b32_e32 v2, 24, v0
	s_delay_alu instid0(VALU_DEP_2) | instskip(NEXT) | instid1(VALU_DEP_3)
	v_lshlrev_b32_e32 v3, 20, v52
	v_lshl_add_u32 v1, v1, 23, 0x3c000000
	s_delay_alu instid0(VALU_DEP_3) | instskip(NEXT) | instid1(VALU_DEP_1)
	v_and_b32_e32 v2, 0x80000000, v2
	v_or3_b32 v52, v3, v2, v1
	s_delay_alu instid0(VALU_DEP_1)
	v_mov_b64_e32 v[110:111], v[52:53]
.LBB186_199:                            ;   in Loop: Header=BB186_12 Depth=1
	s_or_b32 exec_lo, exec_lo, s45
.LBB186_200:                            ;   in Loop: Header=BB186_12 Depth=1
	s_delay_alu instid0(SALU_CYCLE_1)
	s_or_b32 exec_lo, exec_lo, s44
.LBB186_201:                            ;   in Loop: Header=BB186_12 Depth=1
	s_delay_alu instid0(SALU_CYCLE_1) | instskip(SKIP_2) | instid1(VALU_DEP_1)
	s_or_b32 exec_lo, exec_lo, s43
	v_lshrrev_b16 v1, 8, v0
	s_mov_b32 s43, exec_lo
	v_cmpx_ne_u16_e32 0, v1
	s_cbranch_execz .LBB186_209
; %bb.202:                              ;   in Loop: Header=BB186_12 Depth=1
	v_mov_b64_e32 v[108:109], 0x8000000000000000
	s_mov_b32 s44, exec_lo
	v_cmpx_ne_u16_e32 0x80, v1
	s_cbranch_execz .LBB186_208
; %bb.203:                              ;   in Loop: Header=BB186_12 Depth=1
	v_and_b32_e32 v1, 0xffff, v1
	v_mov_b64_e32 v[108:109], 0x7f80000100000000
	s_mov_b32 s45, exec_lo
	s_delay_alu instid0(VALU_DEP_2) | instskip(NEXT) | instid1(VALU_DEP_1)
	v_and_b32_e32 v2, 0x7f, v1
	v_cmpx_ne_u32_e32 0x7f, v2
	s_cbranch_execz .LBB186_207
; %bb.204:                              ;   in Loop: Header=BB186_12 Depth=1
	v_dual_lshrrev_b32 v1, 3, v2 :: v_dual_bitop2_b32 v52, 7, v1 bitop3:0x40
	s_mov_b32 s46, exec_lo
	v_cmpx_gt_u32_e32 8, v2
; %bb.205:                              ;   in Loop: Header=BB186_12 Depth=1
	s_delay_alu instid0(VALU_DEP_2) | instskip(NEXT) | instid1(VALU_DEP_1)
	v_clz_i32_u32_e32 v1, v52
	v_min_u32_e32 v1, 32, v1
	s_delay_alu instid0(VALU_DEP_1) | instskip(NEXT) | instid1(VALU_DEP_1)
	v_subrev_nc_u32_e32 v2, 28, v1
	v_lshlrev_b64_e32 v[2:3], v2, v[52:53]
	s_delay_alu instid0(VALU_DEP_1)
	v_dual_sub_nc_u32 v1, 29, v1 :: v_dual_bitop2_b32 v52, 7, v2 bitop3:0x40
; %bb.206:                              ;   in Loop: Header=BB186_12 Depth=1
	s_or_b32 exec_lo, exec_lo, s46
	v_dual_lshlrev_b32 v0, 16, v0 :: v_dual_mov_b32 v108, v53
	s_delay_alu instid0(VALU_DEP_2) | instskip(NEXT) | instid1(VALU_DEP_3)
	v_lshlrev_b32_e32 v2, 20, v52
	v_lshl_add_u32 v1, v1, 23, 0x3c000000
	s_delay_alu instid0(VALU_DEP_3) | instskip(NEXT) | instid1(VALU_DEP_1)
	v_and_b32_e32 v0, 0x80000000, v0
	v_or3_b32 v109, v2, v0, v1
.LBB186_207:                            ;   in Loop: Header=BB186_12 Depth=1
	s_or_b32 exec_lo, exec_lo, s45
.LBB186_208:                            ;   in Loop: Header=BB186_12 Depth=1
	s_delay_alu instid0(SALU_CYCLE_1)
	s_or_b32 exec_lo, exec_lo, s44
.LBB186_209:                            ;   in Loop: Header=BB186_12 Depth=1
	s_delay_alu instid0(SALU_CYCLE_1)
	s_or_b32 exec_lo, exec_lo, s43
	global_load_u16 v0, v[70:71], off offset:768
	v_mov_b64_e32 v[112:113], 0
	v_mov_b64_e32 v[114:115], 0
	s_mov_b32 s43, exec_lo
	s_wait_loadcnt 0x0
	v_and_b32_e32 v1, 0xff, v0
	v_and_b32_e32 v0, 0xffff, v0
	s_wait_xcnt 0x0
	s_delay_alu instid0(VALU_DEP_2)
	v_cmpx_ne_u16_e32 0, v1
	s_cbranch_execz .LBB186_217
; %bb.210:                              ;   in Loop: Header=BB186_12 Depth=1
	v_mov_b64_e32 v[114:115], 0x80000000
	v_and_b32_e32 v1, 0xff, v0
	s_mov_b32 s44, exec_lo
	s_delay_alu instid0(VALU_DEP_1)
	v_cmpx_ne_u16_e32 0x80, v1
	s_cbranch_execz .LBB186_216
; %bb.211:                              ;   in Loop: Header=BB186_12 Depth=1
	v_mov_b64_e32 v[114:115], 0x7f800001
	v_and_b32_e32 v2, 0x7f, v0
	s_mov_b32 s45, exec_lo
	s_delay_alu instid0(VALU_DEP_1)
	v_cmpx_ne_u32_e32 0x7f, v2
	s_cbranch_execz .LBB186_215
; %bb.212:                              ;   in Loop: Header=BB186_12 Depth=1
	v_dual_lshrrev_b32 v1, 3, v2 :: v_dual_bitop2_b32 v52, 7, v0 bitop3:0x40
	s_mov_b32 s46, exec_lo
	v_cmpx_gt_u32_e32 8, v2
; %bb.213:                              ;   in Loop: Header=BB186_12 Depth=1
	s_delay_alu instid0(VALU_DEP_2) | instskip(NEXT) | instid1(VALU_DEP_1)
	v_clz_i32_u32_e32 v1, v52
	v_min_u32_e32 v1, 32, v1
	s_delay_alu instid0(VALU_DEP_1) | instskip(NEXT) | instid1(VALU_DEP_1)
	v_subrev_nc_u32_e32 v2, 28, v1
	v_lshlrev_b64_e32 v[2:3], v2, v[52:53]
	s_delay_alu instid0(VALU_DEP_1)
	v_dual_sub_nc_u32 v1, 29, v1 :: v_dual_bitop2_b32 v52, 7, v2 bitop3:0x40
; %bb.214:                              ;   in Loop: Header=BB186_12 Depth=1
	s_or_b32 exec_lo, exec_lo, s46
	v_lshlrev_b32_e32 v2, 24, v0
	s_delay_alu instid0(VALU_DEP_2) | instskip(NEXT) | instid1(VALU_DEP_3)
	v_lshlrev_b32_e32 v3, 20, v52
	v_lshl_add_u32 v1, v1, 23, 0x3c000000
	s_delay_alu instid0(VALU_DEP_3) | instskip(NEXT) | instid1(VALU_DEP_1)
	v_and_b32_e32 v2, 0x80000000, v2
	v_or3_b32 v52, v3, v2, v1
	s_delay_alu instid0(VALU_DEP_1)
	v_mov_b64_e32 v[114:115], v[52:53]
.LBB186_215:                            ;   in Loop: Header=BB186_12 Depth=1
	s_or_b32 exec_lo, exec_lo, s45
.LBB186_216:                            ;   in Loop: Header=BB186_12 Depth=1
	s_delay_alu instid0(SALU_CYCLE_1)
	s_or_b32 exec_lo, exec_lo, s44
.LBB186_217:                            ;   in Loop: Header=BB186_12 Depth=1
	s_delay_alu instid0(SALU_CYCLE_1) | instskip(SKIP_2) | instid1(VALU_DEP_1)
	s_or_b32 exec_lo, exec_lo, s43
	v_lshrrev_b16 v1, 8, v0
	s_mov_b32 s43, exec_lo
	v_cmpx_ne_u16_e32 0, v1
	s_cbranch_execz .LBB186_225
; %bb.218:                              ;   in Loop: Header=BB186_12 Depth=1
	v_mov_b64_e32 v[112:113], 0x8000000000000000
	s_mov_b32 s44, exec_lo
	v_cmpx_ne_u16_e32 0x80, v1
	s_cbranch_execz .LBB186_224
; %bb.219:                              ;   in Loop: Header=BB186_12 Depth=1
	v_and_b32_e32 v1, 0xffff, v1
	v_mov_b64_e32 v[112:113], 0x7f80000100000000
	s_mov_b32 s45, exec_lo
	s_delay_alu instid0(VALU_DEP_2) | instskip(NEXT) | instid1(VALU_DEP_1)
	v_and_b32_e32 v2, 0x7f, v1
	v_cmpx_ne_u32_e32 0x7f, v2
	s_cbranch_execz .LBB186_223
; %bb.220:                              ;   in Loop: Header=BB186_12 Depth=1
	v_dual_lshrrev_b32 v1, 3, v2 :: v_dual_bitop2_b32 v52, 7, v1 bitop3:0x40
	s_mov_b32 s46, exec_lo
	v_cmpx_gt_u32_e32 8, v2
; %bb.221:                              ;   in Loop: Header=BB186_12 Depth=1
	s_delay_alu instid0(VALU_DEP_2) | instskip(NEXT) | instid1(VALU_DEP_1)
	v_clz_i32_u32_e32 v1, v52
	v_min_u32_e32 v1, 32, v1
	s_delay_alu instid0(VALU_DEP_1) | instskip(NEXT) | instid1(VALU_DEP_1)
	v_subrev_nc_u32_e32 v2, 28, v1
	v_lshlrev_b64_e32 v[2:3], v2, v[52:53]
	s_delay_alu instid0(VALU_DEP_1)
	v_dual_sub_nc_u32 v1, 29, v1 :: v_dual_bitop2_b32 v52, 7, v2 bitop3:0x40
; %bb.222:                              ;   in Loop: Header=BB186_12 Depth=1
	s_or_b32 exec_lo, exec_lo, s46
	v_dual_lshlrev_b32 v0, 16, v0 :: v_dual_mov_b32 v112, v53
	s_delay_alu instid0(VALU_DEP_2) | instskip(NEXT) | instid1(VALU_DEP_3)
	v_lshlrev_b32_e32 v2, 20, v52
	v_lshl_add_u32 v1, v1, 23, 0x3c000000
	s_delay_alu instid0(VALU_DEP_3) | instskip(NEXT) | instid1(VALU_DEP_1)
	v_and_b32_e32 v0, 0x80000000, v0
	v_or3_b32 v113, v2, v0, v1
.LBB186_223:                            ;   in Loop: Header=BB186_12 Depth=1
	s_or_b32 exec_lo, exec_lo, s45
.LBB186_224:                            ;   in Loop: Header=BB186_12 Depth=1
	s_delay_alu instid0(SALU_CYCLE_1)
	s_or_b32 exec_lo, exec_lo, s44
.LBB186_225:                            ;   in Loop: Header=BB186_12 Depth=1
	s_delay_alu instid0(SALU_CYCLE_1)
	s_or_b32 exec_lo, exec_lo, s43
	global_load_u16 v1, v[70:71], off offset:772
	v_mov_b64_e32 v[116:117], 0
	v_mov_b64_e32 v[118:119], 0
	s_mov_b32 s43, exec_lo
	s_wait_loadcnt 0x0
	v_and_b32_e32 v0, 0xffff, v1
	v_and_b32_e32 v1, 0xff, v1
	s_wait_xcnt 0x0
	s_delay_alu instid0(VALU_DEP_1)
	v_cmpx_ne_u16_e32 0, v1
	s_cbranch_execz .LBB186_233
; %bb.226:                              ;   in Loop: Header=BB186_12 Depth=1
	v_mov_b64_e32 v[118:119], 0x80000000
	v_and_b32_e32 v1, 0xff, v0
	s_mov_b32 s44, exec_lo
	s_delay_alu instid0(VALU_DEP_1)
	v_cmpx_ne_u16_e32 0x80, v1
	s_cbranch_execz .LBB186_232
; %bb.227:                              ;   in Loop: Header=BB186_12 Depth=1
	v_mov_b64_e32 v[118:119], 0x7f800001
	v_and_b32_e32 v2, 0x7f, v0
	s_mov_b32 s45, exec_lo
	s_delay_alu instid0(VALU_DEP_1)
	v_cmpx_ne_u32_e32 0x7f, v2
	s_cbranch_execz .LBB186_231
; %bb.228:                              ;   in Loop: Header=BB186_12 Depth=1
	v_dual_lshrrev_b32 v1, 3, v2 :: v_dual_bitop2_b32 v52, 7, v0 bitop3:0x40
	s_mov_b32 s46, exec_lo
	v_cmpx_gt_u32_e32 8, v2
; %bb.229:                              ;   in Loop: Header=BB186_12 Depth=1
	s_delay_alu instid0(VALU_DEP_2) | instskip(NEXT) | instid1(VALU_DEP_1)
	v_clz_i32_u32_e32 v1, v52
	v_min_u32_e32 v1, 32, v1
	s_delay_alu instid0(VALU_DEP_1) | instskip(NEXT) | instid1(VALU_DEP_1)
	v_subrev_nc_u32_e32 v2, 28, v1
	v_lshlrev_b64_e32 v[2:3], v2, v[52:53]
	s_delay_alu instid0(VALU_DEP_1)
	v_dual_sub_nc_u32 v1, 29, v1 :: v_dual_bitop2_b32 v52, 7, v2 bitop3:0x40
; %bb.230:                              ;   in Loop: Header=BB186_12 Depth=1
	s_or_b32 exec_lo, exec_lo, s46
	v_lshlrev_b32_e32 v2, 24, v0
	s_delay_alu instid0(VALU_DEP_2) | instskip(NEXT) | instid1(VALU_DEP_3)
	v_lshlrev_b32_e32 v3, 20, v52
	v_lshl_add_u32 v1, v1, 23, 0x3c000000
	s_delay_alu instid0(VALU_DEP_3) | instskip(NEXT) | instid1(VALU_DEP_1)
	v_and_b32_e32 v2, 0x80000000, v2
	v_or3_b32 v52, v3, v2, v1
	s_delay_alu instid0(VALU_DEP_1)
	v_mov_b64_e32 v[118:119], v[52:53]
.LBB186_231:                            ;   in Loop: Header=BB186_12 Depth=1
	s_or_b32 exec_lo, exec_lo, s45
.LBB186_232:                            ;   in Loop: Header=BB186_12 Depth=1
	s_delay_alu instid0(SALU_CYCLE_1)
	s_or_b32 exec_lo, exec_lo, s44
.LBB186_233:                            ;   in Loop: Header=BB186_12 Depth=1
	s_delay_alu instid0(SALU_CYCLE_1) | instskip(SKIP_2) | instid1(VALU_DEP_1)
	s_or_b32 exec_lo, exec_lo, s43
	v_lshrrev_b16 v1, 8, v0
	s_mov_b32 s43, exec_lo
	v_cmpx_ne_u16_e32 0, v1
	s_cbranch_execz .LBB186_241
; %bb.234:                              ;   in Loop: Header=BB186_12 Depth=1
	v_mov_b64_e32 v[116:117], 0x8000000000000000
	s_mov_b32 s44, exec_lo
	v_cmpx_ne_u16_e32 0x80, v1
	s_cbranch_execz .LBB186_240
; %bb.235:                              ;   in Loop: Header=BB186_12 Depth=1
	v_and_b32_e32 v1, 0xffff, v1
	v_mov_b64_e32 v[116:117], 0x7f80000100000000
	s_mov_b32 s45, exec_lo
	s_delay_alu instid0(VALU_DEP_2) | instskip(NEXT) | instid1(VALU_DEP_1)
	v_and_b32_e32 v2, 0x7f, v1
	v_cmpx_ne_u32_e32 0x7f, v2
	s_cbranch_execz .LBB186_239
; %bb.236:                              ;   in Loop: Header=BB186_12 Depth=1
	v_dual_lshrrev_b32 v1, 3, v2 :: v_dual_bitop2_b32 v52, 7, v1 bitop3:0x40
	s_mov_b32 s46, exec_lo
	v_cmpx_gt_u32_e32 8, v2
; %bb.237:                              ;   in Loop: Header=BB186_12 Depth=1
	s_delay_alu instid0(VALU_DEP_2) | instskip(NEXT) | instid1(VALU_DEP_1)
	v_clz_i32_u32_e32 v1, v52
	v_min_u32_e32 v1, 32, v1
	s_delay_alu instid0(VALU_DEP_1) | instskip(NEXT) | instid1(VALU_DEP_1)
	v_subrev_nc_u32_e32 v2, 28, v1
	v_lshlrev_b64_e32 v[2:3], v2, v[52:53]
	s_delay_alu instid0(VALU_DEP_1)
	v_dual_sub_nc_u32 v1, 29, v1 :: v_dual_bitop2_b32 v52, 7, v2 bitop3:0x40
; %bb.238:                              ;   in Loop: Header=BB186_12 Depth=1
	s_or_b32 exec_lo, exec_lo, s46
	v_dual_lshlrev_b32 v0, 16, v0 :: v_dual_mov_b32 v116, v53
	s_delay_alu instid0(VALU_DEP_2) | instskip(NEXT) | instid1(VALU_DEP_3)
	v_lshlrev_b32_e32 v2, 20, v52
	v_lshl_add_u32 v1, v1, 23, 0x3c000000
	s_delay_alu instid0(VALU_DEP_3) | instskip(NEXT) | instid1(VALU_DEP_1)
	v_and_b32_e32 v0, 0x80000000, v0
	v_or3_b32 v117, v2, v0, v1
.LBB186_239:                            ;   in Loop: Header=BB186_12 Depth=1
	s_or_b32 exec_lo, exec_lo, s45
.LBB186_240:                            ;   in Loop: Header=BB186_12 Depth=1
	s_delay_alu instid0(SALU_CYCLE_1)
	s_or_b32 exec_lo, exec_lo, s44
.LBB186_241:                            ;   in Loop: Header=BB186_12 Depth=1
	s_delay_alu instid0(SALU_CYCLE_1)
	s_or_b32 exec_lo, exec_lo, s43
	global_load_u16 v1, v[70:71], off offset:776
	v_mov_b64_e32 v[120:121], 0
	v_mov_b64_e32 v[122:123], 0
	s_mov_b32 s43, exec_lo
	s_wait_loadcnt 0x0
	v_and_b32_e32 v0, 0xffff, v1
	v_and_b32_e32 v1, 0xff, v1
	s_wait_xcnt 0x0
	s_delay_alu instid0(VALU_DEP_1)
	v_cmpx_ne_u16_e32 0, v1
	s_cbranch_execz .LBB186_249
; %bb.242:                              ;   in Loop: Header=BB186_12 Depth=1
	v_mov_b64_e32 v[122:123], 0x80000000
	v_and_b32_e32 v1, 0xff, v0
	s_mov_b32 s44, exec_lo
	s_delay_alu instid0(VALU_DEP_1)
	v_cmpx_ne_u16_e32 0x80, v1
	s_cbranch_execz .LBB186_248
; %bb.243:                              ;   in Loop: Header=BB186_12 Depth=1
	v_mov_b64_e32 v[122:123], 0x7f800001
	v_and_b32_e32 v2, 0x7f, v0
	s_mov_b32 s45, exec_lo
	s_delay_alu instid0(VALU_DEP_1)
	v_cmpx_ne_u32_e32 0x7f, v2
	s_cbranch_execz .LBB186_247
; %bb.244:                              ;   in Loop: Header=BB186_12 Depth=1
	v_dual_lshrrev_b32 v1, 3, v2 :: v_dual_bitop2_b32 v52, 7, v0 bitop3:0x40
	s_mov_b32 s46, exec_lo
	v_cmpx_gt_u32_e32 8, v2
; %bb.245:                              ;   in Loop: Header=BB186_12 Depth=1
	s_delay_alu instid0(VALU_DEP_2) | instskip(NEXT) | instid1(VALU_DEP_1)
	v_clz_i32_u32_e32 v1, v52
	v_min_u32_e32 v1, 32, v1
	s_delay_alu instid0(VALU_DEP_1) | instskip(NEXT) | instid1(VALU_DEP_1)
	v_subrev_nc_u32_e32 v2, 28, v1
	v_lshlrev_b64_e32 v[2:3], v2, v[52:53]
	s_delay_alu instid0(VALU_DEP_1)
	v_dual_sub_nc_u32 v1, 29, v1 :: v_dual_bitop2_b32 v52, 7, v2 bitop3:0x40
; %bb.246:                              ;   in Loop: Header=BB186_12 Depth=1
	s_or_b32 exec_lo, exec_lo, s46
	v_lshlrev_b32_e32 v2, 24, v0
	s_delay_alu instid0(VALU_DEP_2) | instskip(NEXT) | instid1(VALU_DEP_3)
	v_lshlrev_b32_e32 v3, 20, v52
	v_lshl_add_u32 v1, v1, 23, 0x3c000000
	s_delay_alu instid0(VALU_DEP_3) | instskip(NEXT) | instid1(VALU_DEP_1)
	v_and_b32_e32 v2, 0x80000000, v2
	v_or3_b32 v52, v3, v2, v1
	s_delay_alu instid0(VALU_DEP_1)
	v_mov_b64_e32 v[122:123], v[52:53]
.LBB186_247:                            ;   in Loop: Header=BB186_12 Depth=1
	s_or_b32 exec_lo, exec_lo, s45
.LBB186_248:                            ;   in Loop: Header=BB186_12 Depth=1
	s_delay_alu instid0(SALU_CYCLE_1)
	s_or_b32 exec_lo, exec_lo, s44
.LBB186_249:                            ;   in Loop: Header=BB186_12 Depth=1
	s_delay_alu instid0(SALU_CYCLE_1) | instskip(SKIP_2) | instid1(VALU_DEP_1)
	s_or_b32 exec_lo, exec_lo, s43
	v_lshrrev_b16 v1, 8, v0
	s_mov_b32 s43, exec_lo
	v_cmpx_ne_u16_e32 0, v1
	s_cbranch_execz .LBB186_257
; %bb.250:                              ;   in Loop: Header=BB186_12 Depth=1
	v_mov_b64_e32 v[120:121], 0x8000000000000000
	s_mov_b32 s44, exec_lo
	v_cmpx_ne_u16_e32 0x80, v1
	s_cbranch_execz .LBB186_256
; %bb.251:                              ;   in Loop: Header=BB186_12 Depth=1
	v_and_b32_e32 v1, 0xffff, v1
	v_mov_b64_e32 v[120:121], 0x7f80000100000000
	s_mov_b32 s45, exec_lo
	s_delay_alu instid0(VALU_DEP_2) | instskip(NEXT) | instid1(VALU_DEP_1)
	v_and_b32_e32 v2, 0x7f, v1
	v_cmpx_ne_u32_e32 0x7f, v2
	s_cbranch_execz .LBB186_255
; %bb.252:                              ;   in Loop: Header=BB186_12 Depth=1
	v_dual_lshrrev_b32 v1, 3, v2 :: v_dual_bitop2_b32 v52, 7, v1 bitop3:0x40
	s_mov_b32 s46, exec_lo
	v_cmpx_gt_u32_e32 8, v2
; %bb.253:                              ;   in Loop: Header=BB186_12 Depth=1
	s_delay_alu instid0(VALU_DEP_2) | instskip(NEXT) | instid1(VALU_DEP_1)
	v_clz_i32_u32_e32 v1, v52
	v_min_u32_e32 v1, 32, v1
	s_delay_alu instid0(VALU_DEP_1) | instskip(NEXT) | instid1(VALU_DEP_1)
	v_subrev_nc_u32_e32 v2, 28, v1
	v_lshlrev_b64_e32 v[2:3], v2, v[52:53]
	s_delay_alu instid0(VALU_DEP_1)
	v_dual_sub_nc_u32 v1, 29, v1 :: v_dual_bitop2_b32 v52, 7, v2 bitop3:0x40
; %bb.254:                              ;   in Loop: Header=BB186_12 Depth=1
	s_or_b32 exec_lo, exec_lo, s46
	v_dual_lshlrev_b32 v0, 16, v0 :: v_dual_mov_b32 v120, v53
	s_delay_alu instid0(VALU_DEP_2) | instskip(NEXT) | instid1(VALU_DEP_3)
	v_lshlrev_b32_e32 v2, 20, v52
	v_lshl_add_u32 v1, v1, 23, 0x3c000000
	s_delay_alu instid0(VALU_DEP_3) | instskip(NEXT) | instid1(VALU_DEP_1)
	v_and_b32_e32 v0, 0x80000000, v0
	v_or3_b32 v121, v2, v0, v1
.LBB186_255:                            ;   in Loop: Header=BB186_12 Depth=1
	s_or_b32 exec_lo, exec_lo, s45
.LBB186_256:                            ;   in Loop: Header=BB186_12 Depth=1
	s_delay_alu instid0(SALU_CYCLE_1)
	s_or_b32 exec_lo, exec_lo, s44
.LBB186_257:                            ;   in Loop: Header=BB186_12 Depth=1
	s_delay_alu instid0(SALU_CYCLE_1)
	s_or_b32 exec_lo, exec_lo, s43
	global_load_u16 v1, v[70:71], off offset:780
	v_mov_b64_e32 v[124:125], 0
	v_mov_b64_e32 v[126:127], 0
	s_mov_b32 s43, exec_lo
	s_wait_loadcnt 0x0
	v_and_b32_e32 v0, 0xffff, v1
	v_and_b32_e32 v1, 0xff, v1
	s_wait_xcnt 0x0
	s_delay_alu instid0(VALU_DEP_1)
	v_cmpx_ne_u16_e32 0, v1
	s_cbranch_execz .LBB186_265
; %bb.258:                              ;   in Loop: Header=BB186_12 Depth=1
	v_mov_b64_e32 v[126:127], 0x80000000
	v_and_b32_e32 v1, 0xff, v0
	s_mov_b32 s44, exec_lo
	s_delay_alu instid0(VALU_DEP_1)
	v_cmpx_ne_u16_e32 0x80, v1
	s_cbranch_execz .LBB186_264
; %bb.259:                              ;   in Loop: Header=BB186_12 Depth=1
	v_mov_b64_e32 v[126:127], 0x7f800001
	v_and_b32_e32 v2, 0x7f, v0
	s_mov_b32 s45, exec_lo
	s_delay_alu instid0(VALU_DEP_1)
	v_cmpx_ne_u32_e32 0x7f, v2
	s_cbranch_execz .LBB186_263
; %bb.260:                              ;   in Loop: Header=BB186_12 Depth=1
	v_dual_lshrrev_b32 v1, 3, v2 :: v_dual_bitop2_b32 v52, 7, v0 bitop3:0x40
	s_mov_b32 s46, exec_lo
	v_cmpx_gt_u32_e32 8, v2
; %bb.261:                              ;   in Loop: Header=BB186_12 Depth=1
	s_delay_alu instid0(VALU_DEP_2) | instskip(NEXT) | instid1(VALU_DEP_1)
	v_clz_i32_u32_e32 v1, v52
	v_min_u32_e32 v1, 32, v1
	s_delay_alu instid0(VALU_DEP_1) | instskip(NEXT) | instid1(VALU_DEP_1)
	v_subrev_nc_u32_e32 v2, 28, v1
	v_lshlrev_b64_e32 v[2:3], v2, v[52:53]
	s_delay_alu instid0(VALU_DEP_1)
	v_dual_sub_nc_u32 v1, 29, v1 :: v_dual_bitop2_b32 v52, 7, v2 bitop3:0x40
; %bb.262:                              ;   in Loop: Header=BB186_12 Depth=1
	s_or_b32 exec_lo, exec_lo, s46
	v_lshlrev_b32_e32 v2, 24, v0
	s_delay_alu instid0(VALU_DEP_2) | instskip(NEXT) | instid1(VALU_DEP_3)
	v_lshlrev_b32_e32 v3, 20, v52
	v_lshl_add_u32 v1, v1, 23, 0x3c000000
	s_delay_alu instid0(VALU_DEP_3) | instskip(NEXT) | instid1(VALU_DEP_1)
	v_and_b32_e32 v2, 0x80000000, v2
	v_or3_b32 v52, v3, v2, v1
	s_delay_alu instid0(VALU_DEP_1)
	v_mov_b64_e32 v[126:127], v[52:53]
.LBB186_263:                            ;   in Loop: Header=BB186_12 Depth=1
	s_or_b32 exec_lo, exec_lo, s45
.LBB186_264:                            ;   in Loop: Header=BB186_12 Depth=1
	s_delay_alu instid0(SALU_CYCLE_1)
	s_or_b32 exec_lo, exec_lo, s44
.LBB186_265:                            ;   in Loop: Header=BB186_12 Depth=1
	s_delay_alu instid0(SALU_CYCLE_1) | instskip(SKIP_2) | instid1(VALU_DEP_1)
	s_or_b32 exec_lo, exec_lo, s43
	v_lshrrev_b16 v1, 8, v0
	s_mov_b32 s43, exec_lo
	v_cmpx_ne_u16_e32 0, v1
	s_cbranch_execz .LBB186_273
; %bb.266:                              ;   in Loop: Header=BB186_12 Depth=1
	v_mov_b64_e32 v[124:125], 0x8000000000000000
	s_mov_b32 s44, exec_lo
	v_cmpx_ne_u16_e32 0x80, v1
	s_cbranch_execz .LBB186_272
; %bb.267:                              ;   in Loop: Header=BB186_12 Depth=1
	v_and_b32_e32 v1, 0xffff, v1
	v_mov_b64_e32 v[124:125], 0x7f80000100000000
	s_mov_b32 s45, exec_lo
	s_delay_alu instid0(VALU_DEP_2) | instskip(NEXT) | instid1(VALU_DEP_1)
	v_and_b32_e32 v2, 0x7f, v1
	v_cmpx_ne_u32_e32 0x7f, v2
	s_cbranch_execz .LBB186_271
; %bb.268:                              ;   in Loop: Header=BB186_12 Depth=1
	v_dual_lshrrev_b32 v1, 3, v2 :: v_dual_bitop2_b32 v52, 7, v1 bitop3:0x40
	s_mov_b32 s46, exec_lo
	v_cmpx_gt_u32_e32 8, v2
; %bb.269:                              ;   in Loop: Header=BB186_12 Depth=1
	s_delay_alu instid0(VALU_DEP_2) | instskip(NEXT) | instid1(VALU_DEP_1)
	v_clz_i32_u32_e32 v1, v52
	v_min_u32_e32 v1, 32, v1
	s_delay_alu instid0(VALU_DEP_1) | instskip(NEXT) | instid1(VALU_DEP_1)
	v_subrev_nc_u32_e32 v2, 28, v1
	v_lshlrev_b64_e32 v[2:3], v2, v[52:53]
	s_delay_alu instid0(VALU_DEP_1)
	v_dual_sub_nc_u32 v1, 29, v1 :: v_dual_bitop2_b32 v52, 7, v2 bitop3:0x40
; %bb.270:                              ;   in Loop: Header=BB186_12 Depth=1
	s_or_b32 exec_lo, exec_lo, s46
	v_dual_lshlrev_b32 v0, 16, v0 :: v_dual_mov_b32 v124, v53
	s_delay_alu instid0(VALU_DEP_2) | instskip(NEXT) | instid1(VALU_DEP_3)
	v_lshlrev_b32_e32 v2, 20, v52
	v_lshl_add_u32 v1, v1, 23, 0x3c000000
	s_delay_alu instid0(VALU_DEP_3) | instskip(NEXT) | instid1(VALU_DEP_1)
	v_and_b32_e32 v0, 0x80000000, v0
	v_or3_b32 v125, v2, v0, v1
.LBB186_271:                            ;   in Loop: Header=BB186_12 Depth=1
	s_or_b32 exec_lo, exec_lo, s45
.LBB186_272:                            ;   in Loop: Header=BB186_12 Depth=1
	s_delay_alu instid0(SALU_CYCLE_1)
	s_or_b32 exec_lo, exec_lo, s44
.LBB186_273:                            ;   in Loop: Header=BB186_12 Depth=1
	s_delay_alu instid0(SALU_CYCLE_1)
	s_or_b32 exec_lo, exec_lo, s43
	global_load_u16 v1, v[70:71], off offset:1024
	v_mov_b64_e32 v[56:57], 0
	v_mov_b64_e32 v[60:61], 0
	s_mov_b32 s43, exec_lo
	s_wait_loadcnt 0x0
	v_and_b32_e32 v0, 0xffff, v1
	v_and_b32_e32 v1, 0xff, v1
	s_wait_xcnt 0x0
	s_delay_alu instid0(VALU_DEP_1)
	v_cmpx_ne_u16_e32 0, v1
	s_cbranch_execz .LBB186_281
; %bb.274:                              ;   in Loop: Header=BB186_12 Depth=1
	v_mov_b64_e32 v[60:61], 0x80000000
	v_and_b32_e32 v1, 0xff, v0
	s_mov_b32 s44, exec_lo
	s_delay_alu instid0(VALU_DEP_1)
	v_cmpx_ne_u16_e32 0x80, v1
	s_cbranch_execz .LBB186_280
; %bb.275:                              ;   in Loop: Header=BB186_12 Depth=1
	v_mov_b64_e32 v[60:61], 0x7f800001
	v_and_b32_e32 v2, 0x7f, v0
	s_mov_b32 s45, exec_lo
	s_delay_alu instid0(VALU_DEP_1)
	v_cmpx_ne_u32_e32 0x7f, v2
	s_cbranch_execz .LBB186_279
; %bb.276:                              ;   in Loop: Header=BB186_12 Depth=1
	v_dual_lshrrev_b32 v1, 3, v2 :: v_dual_bitop2_b32 v52, 7, v0 bitop3:0x40
	s_mov_b32 s46, exec_lo
	v_cmpx_gt_u32_e32 8, v2
; %bb.277:                              ;   in Loop: Header=BB186_12 Depth=1
	s_delay_alu instid0(VALU_DEP_2) | instskip(NEXT) | instid1(VALU_DEP_1)
	v_clz_i32_u32_e32 v1, v52
	v_min_u32_e32 v1, 32, v1
	s_delay_alu instid0(VALU_DEP_1) | instskip(NEXT) | instid1(VALU_DEP_1)
	v_subrev_nc_u32_e32 v2, 28, v1
	v_lshlrev_b64_e32 v[2:3], v2, v[52:53]
	s_delay_alu instid0(VALU_DEP_1)
	v_dual_sub_nc_u32 v1, 29, v1 :: v_dual_bitop2_b32 v52, 7, v2 bitop3:0x40
; %bb.278:                              ;   in Loop: Header=BB186_12 Depth=1
	s_or_b32 exec_lo, exec_lo, s46
	v_lshlrev_b32_e32 v2, 24, v0
	s_delay_alu instid0(VALU_DEP_2) | instskip(NEXT) | instid1(VALU_DEP_3)
	v_lshlrev_b32_e32 v3, 20, v52
	v_lshl_add_u32 v1, v1, 23, 0x3c000000
	s_delay_alu instid0(VALU_DEP_3) | instskip(NEXT) | instid1(VALU_DEP_1)
	v_and_b32_e32 v2, 0x80000000, v2
	v_or3_b32 v52, v3, v2, v1
	s_delay_alu instid0(VALU_DEP_1)
	v_mov_b64_e32 v[60:61], v[52:53]
.LBB186_279:                            ;   in Loop: Header=BB186_12 Depth=1
	s_or_b32 exec_lo, exec_lo, s45
.LBB186_280:                            ;   in Loop: Header=BB186_12 Depth=1
	s_delay_alu instid0(SALU_CYCLE_1)
	s_or_b32 exec_lo, exec_lo, s44
.LBB186_281:                            ;   in Loop: Header=BB186_12 Depth=1
	s_delay_alu instid0(SALU_CYCLE_1) | instskip(SKIP_2) | instid1(VALU_DEP_1)
	s_or_b32 exec_lo, exec_lo, s43
	v_lshrrev_b16 v1, 8, v0
	s_mov_b32 s43, exec_lo
	v_cmpx_ne_u16_e32 0, v1
	s_cbranch_execz .LBB186_289
; %bb.282:                              ;   in Loop: Header=BB186_12 Depth=1
	v_mov_b64_e32 v[56:57], 0x8000000000000000
	s_mov_b32 s44, exec_lo
	v_cmpx_ne_u16_e32 0x80, v1
	s_cbranch_execz .LBB186_288
; %bb.283:                              ;   in Loop: Header=BB186_12 Depth=1
	v_and_b32_e32 v1, 0xffff, v1
	v_mov_b64_e32 v[56:57], 0x7f80000100000000
	s_mov_b32 s45, exec_lo
	s_delay_alu instid0(VALU_DEP_2) | instskip(NEXT) | instid1(VALU_DEP_1)
	v_and_b32_e32 v2, 0x7f, v1
	v_cmpx_ne_u32_e32 0x7f, v2
	s_cbranch_execz .LBB186_287
; %bb.284:                              ;   in Loop: Header=BB186_12 Depth=1
	v_dual_lshrrev_b32 v1, 3, v2 :: v_dual_bitop2_b32 v52, 7, v1 bitop3:0x40
	s_mov_b32 s46, exec_lo
	v_cmpx_gt_u32_e32 8, v2
; %bb.285:                              ;   in Loop: Header=BB186_12 Depth=1
	s_delay_alu instid0(VALU_DEP_2) | instskip(NEXT) | instid1(VALU_DEP_1)
	v_clz_i32_u32_e32 v1, v52
	v_min_u32_e32 v1, 32, v1
	s_delay_alu instid0(VALU_DEP_1) | instskip(NEXT) | instid1(VALU_DEP_1)
	v_subrev_nc_u32_e32 v2, 28, v1
	v_lshlrev_b64_e32 v[2:3], v2, v[52:53]
	s_delay_alu instid0(VALU_DEP_1)
	v_dual_sub_nc_u32 v1, 29, v1 :: v_dual_bitop2_b32 v52, 7, v2 bitop3:0x40
; %bb.286:                              ;   in Loop: Header=BB186_12 Depth=1
	s_or_b32 exec_lo, exec_lo, s46
	v_dual_lshlrev_b32 v0, 16, v0 :: v_dual_mov_b32 v56, v53
	s_delay_alu instid0(VALU_DEP_2) | instskip(NEXT) | instid1(VALU_DEP_3)
	v_lshlrev_b32_e32 v2, 20, v52
	v_lshl_add_u32 v1, v1, 23, 0x3c000000
	s_delay_alu instid0(VALU_DEP_3) | instskip(NEXT) | instid1(VALU_DEP_1)
	v_and_b32_e32 v0, 0x80000000, v0
	v_or3_b32 v57, v2, v0, v1
.LBB186_287:                            ;   in Loop: Header=BB186_12 Depth=1
	s_or_b32 exec_lo, exec_lo, s45
.LBB186_288:                            ;   in Loop: Header=BB186_12 Depth=1
	s_delay_alu instid0(SALU_CYCLE_1)
	s_or_b32 exec_lo, exec_lo, s44
.LBB186_289:                            ;   in Loop: Header=BB186_12 Depth=1
	s_delay_alu instid0(SALU_CYCLE_1)
	s_or_b32 exec_lo, exec_lo, s43
	global_load_u16 v0, v[70:71], off offset:1028
	v_mov_b64_e32 v[64:65], 0
	s_wait_loadcnt 0x0
	v_and_b32_e32 v2, 0xffff, v0
	v_and_b32_e32 v0, 0xff, v0
	s_delay_alu instid0(VALU_DEP_1)
	v_cmp_ne_u16_e64 s5, 0, v0
	v_mov_b64_e32 v[0:1], 0
	s_wait_xcnt 0x0
	s_and_saveexec_b32 s43, s5
	s_cbranch_execz .LBB186_297
; %bb.290:                              ;   in Loop: Header=BB186_12 Depth=1
	v_mov_b64_e32 v[64:65], 0x80000000
	v_and_b32_e32 v3, 0xff, v2
	s_mov_b32 s44, exec_lo
	s_delay_alu instid0(VALU_DEP_1)
	v_cmpx_ne_u16_e32 0x80, v3
	s_cbranch_execz .LBB186_296
; %bb.291:                              ;   in Loop: Header=BB186_12 Depth=1
	v_mov_b64_e32 v[64:65], 0x7f800001
	v_and_b32_e32 v4, 0x7f, v2
	s_mov_b32 s45, exec_lo
	s_delay_alu instid0(VALU_DEP_1)
	v_cmpx_ne_u32_e32 0x7f, v4
	s_cbranch_execz .LBB186_295
; %bb.292:                              ;   in Loop: Header=BB186_12 Depth=1
	v_dual_lshrrev_b32 v3, 3, v4 :: v_dual_bitop2_b32 v52, 7, v2 bitop3:0x40
	s_mov_b32 s46, exec_lo
	v_cmpx_gt_u32_e32 8, v4
; %bb.293:                              ;   in Loop: Header=BB186_12 Depth=1
	s_delay_alu instid0(VALU_DEP_2) | instskip(NEXT) | instid1(VALU_DEP_1)
	v_clz_i32_u32_e32 v3, v52
	v_min_u32_e32 v3, 32, v3
	s_delay_alu instid0(VALU_DEP_1) | instskip(NEXT) | instid1(VALU_DEP_1)
	v_subrev_nc_u32_e32 v4, 28, v3
	v_lshlrev_b64_e32 v[4:5], v4, v[52:53]
	s_delay_alu instid0(VALU_DEP_1)
	v_dual_sub_nc_u32 v3, 29, v3 :: v_dual_bitop2_b32 v52, 7, v4 bitop3:0x40
; %bb.294:                              ;   in Loop: Header=BB186_12 Depth=1
	s_or_b32 exec_lo, exec_lo, s46
	s_delay_alu instid0(VALU_DEP_1) | instskip(NEXT) | instid1(VALU_DEP_2)
	v_dual_lshlrev_b32 v4, 24, v2 :: v_dual_lshlrev_b32 v5, 20, v52
	v_lshl_add_u32 v3, v3, 23, 0x3c000000
	s_delay_alu instid0(VALU_DEP_2) | instskip(NEXT) | instid1(VALU_DEP_1)
	v_and_b32_e32 v4, 0x80000000, v4
	v_or3_b32 v52, v5, v4, v3
	s_delay_alu instid0(VALU_DEP_1)
	v_mov_b64_e32 v[64:65], v[52:53]
.LBB186_295:                            ;   in Loop: Header=BB186_12 Depth=1
	s_or_b32 exec_lo, exec_lo, s45
.LBB186_296:                            ;   in Loop: Header=BB186_12 Depth=1
	s_delay_alu instid0(SALU_CYCLE_1)
	s_or_b32 exec_lo, exec_lo, s44
.LBB186_297:                            ;   in Loop: Header=BB186_12 Depth=1
	s_delay_alu instid0(SALU_CYCLE_1) | instskip(SKIP_2) | instid1(VALU_DEP_1)
	s_or_b32 exec_lo, exec_lo, s43
	v_lshrrev_b16 v3, 8, v2
	s_mov_b32 s43, exec_lo
	v_cmpx_ne_u16_e32 0, v3
	s_cbranch_execz .LBB186_305
; %bb.298:                              ;   in Loop: Header=BB186_12 Depth=1
	v_mov_b64_e32 v[0:1], 0x8000000000000000
	s_mov_b32 s44, exec_lo
	v_cmpx_ne_u16_e32 0x80, v3
	s_cbranch_execz .LBB186_304
; %bb.299:                              ;   in Loop: Header=BB186_12 Depth=1
	v_and_b32_e32 v4, 0xffff, v3
	v_mov_b64_e32 v[0:1], 0x7f80000100000000
	s_mov_b32 s45, exec_lo
	s_delay_alu instid0(VALU_DEP_2) | instskip(NEXT) | instid1(VALU_DEP_1)
	v_and_b32_e32 v3, 0x7f, v4
	v_cmpx_ne_u32_e32 0x7f, v3
	s_cbranch_execz .LBB186_303
; %bb.300:                              ;   in Loop: Header=BB186_12 Depth=1
	v_dual_lshrrev_b32 v0, 3, v3 :: v_dual_bitop2_b32 v52, 7, v4 bitop3:0x40
	s_mov_b32 s46, exec_lo
	v_cmpx_gt_u32_e32 8, v3
; %bb.301:                              ;   in Loop: Header=BB186_12 Depth=1
	s_delay_alu instid0(VALU_DEP_2) | instskip(NEXT) | instid1(VALU_DEP_1)
	v_clz_i32_u32_e32 v0, v52
	v_min_u32_e32 v0, 32, v0
	s_delay_alu instid0(VALU_DEP_1) | instskip(SKIP_1) | instid1(VALU_DEP_2)
	v_subrev_nc_u32_e32 v1, 28, v0
	v_sub_nc_u32_e32 v0, 29, v0
	v_lshlrev_b64_e32 v[4:5], v1, v[52:53]
	s_delay_alu instid0(VALU_DEP_1)
	v_and_b32_e32 v52, 7, v4
; %bb.302:                              ;   in Loop: Header=BB186_12 Depth=1
	s_or_b32 exec_lo, exec_lo, s46
	s_delay_alu instid0(VALU_DEP_1) | instskip(SKIP_1) | instid1(VALU_DEP_2)
	v_dual_lshlrev_b32 v1, 16, v2 :: v_dual_lshlrev_b32 v2, 20, v52
	v_lshl_add_u32 v0, v0, 23, 0x3c000000
	v_and_b32_e32 v1, 0x80000000, v1
	s_delay_alu instid0(VALU_DEP_1)
	v_or3_b32 v1, v2, v1, v0
	v_mov_b32_e32 v0, v53
.LBB186_303:                            ;   in Loop: Header=BB186_12 Depth=1
	s_or_b32 exec_lo, exec_lo, s45
.LBB186_304:                            ;   in Loop: Header=BB186_12 Depth=1
	s_delay_alu instid0(SALU_CYCLE_1)
	s_or_b32 exec_lo, exec_lo, s44
.LBB186_305:                            ;   in Loop: Header=BB186_12 Depth=1
	s_delay_alu instid0(SALU_CYCLE_1)
	s_or_b32 exec_lo, exec_lo, s43
	global_load_u16 v3, v[70:71], off offset:1032
	v_mov_b64_e32 v[68:69], 0
	v_mov_b64_e32 v[62:63], 0
	s_mov_b32 s43, exec_lo
	s_wait_loadcnt 0x0
	v_and_b32_e32 v2, 0xffff, v3
	v_and_b32_e32 v3, 0xff, v3
	s_wait_xcnt 0x0
	s_delay_alu instid0(VALU_DEP_1)
	v_cmpx_ne_u16_e32 0, v3
	s_cbranch_execz .LBB186_313
; %bb.306:                              ;   in Loop: Header=BB186_12 Depth=1
	v_mov_b64_e32 v[62:63], 0x80000000
	v_and_b32_e32 v3, 0xff, v2
	s_mov_b32 s44, exec_lo
	s_delay_alu instid0(VALU_DEP_1)
	v_cmpx_ne_u16_e32 0x80, v3
	s_cbranch_execz .LBB186_312
; %bb.307:                              ;   in Loop: Header=BB186_12 Depth=1
	v_mov_b64_e32 v[62:63], 0x7f800001
	v_and_b32_e32 v4, 0x7f, v2
	s_mov_b32 s45, exec_lo
	s_delay_alu instid0(VALU_DEP_1)
	v_cmpx_ne_u32_e32 0x7f, v4
	s_cbranch_execz .LBB186_311
; %bb.308:                              ;   in Loop: Header=BB186_12 Depth=1
	v_dual_lshrrev_b32 v3, 3, v4 :: v_dual_bitop2_b32 v52, 7, v2 bitop3:0x40
	s_mov_b32 s46, exec_lo
	v_cmpx_gt_u32_e32 8, v4
; %bb.309:                              ;   in Loop: Header=BB186_12 Depth=1
	s_delay_alu instid0(VALU_DEP_2) | instskip(NEXT) | instid1(VALU_DEP_1)
	v_clz_i32_u32_e32 v3, v52
	v_min_u32_e32 v3, 32, v3
	s_delay_alu instid0(VALU_DEP_1) | instskip(NEXT) | instid1(VALU_DEP_1)
	v_subrev_nc_u32_e32 v4, 28, v3
	v_lshlrev_b64_e32 v[4:5], v4, v[52:53]
	s_delay_alu instid0(VALU_DEP_1)
	v_dual_sub_nc_u32 v3, 29, v3 :: v_dual_bitop2_b32 v52, 7, v4 bitop3:0x40
; %bb.310:                              ;   in Loop: Header=BB186_12 Depth=1
	s_or_b32 exec_lo, exec_lo, s46
	s_delay_alu instid0(VALU_DEP_1) | instskip(NEXT) | instid1(VALU_DEP_2)
	v_dual_lshlrev_b32 v4, 24, v2 :: v_dual_lshlrev_b32 v5, 20, v52
	v_lshl_add_u32 v3, v3, 23, 0x3c000000
	s_delay_alu instid0(VALU_DEP_2) | instskip(NEXT) | instid1(VALU_DEP_1)
	v_and_b32_e32 v4, 0x80000000, v4
	v_or3_b32 v52, v5, v4, v3
	s_delay_alu instid0(VALU_DEP_1)
	v_mov_b64_e32 v[62:63], v[52:53]
.LBB186_311:                            ;   in Loop: Header=BB186_12 Depth=1
	s_or_b32 exec_lo, exec_lo, s45
.LBB186_312:                            ;   in Loop: Header=BB186_12 Depth=1
	s_delay_alu instid0(SALU_CYCLE_1)
	s_or_b32 exec_lo, exec_lo, s44
.LBB186_313:                            ;   in Loop: Header=BB186_12 Depth=1
	s_delay_alu instid0(SALU_CYCLE_1) | instskip(SKIP_2) | instid1(VALU_DEP_1)
	s_or_b32 exec_lo, exec_lo, s43
	v_lshrrev_b16 v3, 8, v2
	s_mov_b32 s43, exec_lo
	v_cmpx_ne_u16_e32 0, v3
	s_cbranch_execz .LBB186_321
; %bb.314:                              ;   in Loop: Header=BB186_12 Depth=1
	v_mov_b64_e32 v[68:69], 0x8000000000000000
	s_mov_b32 s44, exec_lo
	v_cmpx_ne_u16_e32 0x80, v3
	s_cbranch_execz .LBB186_320
; %bb.315:                              ;   in Loop: Header=BB186_12 Depth=1
	v_and_b32_e32 v3, 0xffff, v3
	v_mov_b64_e32 v[68:69], 0x7f80000100000000
	s_mov_b32 s45, exec_lo
	s_delay_alu instid0(VALU_DEP_2) | instskip(NEXT) | instid1(VALU_DEP_1)
	v_and_b32_e32 v4, 0x7f, v3
	v_cmpx_ne_u32_e32 0x7f, v4
	s_cbranch_execz .LBB186_319
; %bb.316:                              ;   in Loop: Header=BB186_12 Depth=1
	v_dual_lshrrev_b32 v3, 3, v4 :: v_dual_bitop2_b32 v52, 7, v3 bitop3:0x40
	s_mov_b32 s46, exec_lo
	v_cmpx_gt_u32_e32 8, v4
; %bb.317:                              ;   in Loop: Header=BB186_12 Depth=1
	s_delay_alu instid0(VALU_DEP_2) | instskip(NEXT) | instid1(VALU_DEP_1)
	v_clz_i32_u32_e32 v3, v52
	v_min_u32_e32 v3, 32, v3
	s_delay_alu instid0(VALU_DEP_1) | instskip(NEXT) | instid1(VALU_DEP_1)
	v_subrev_nc_u32_e32 v4, 28, v3
	v_lshlrev_b64_e32 v[4:5], v4, v[52:53]
	s_delay_alu instid0(VALU_DEP_1)
	v_dual_sub_nc_u32 v3, 29, v3 :: v_dual_bitop2_b32 v52, 7, v4 bitop3:0x40
; %bb.318:                              ;   in Loop: Header=BB186_12 Depth=1
	s_or_b32 exec_lo, exec_lo, s46
	s_delay_alu instid0(VALU_DEP_1) | instskip(NEXT) | instid1(VALU_DEP_2)
	v_dual_lshlrev_b32 v2, 16, v2 :: v_dual_lshlrev_b32 v4, 20, v52
	v_lshl_add_u32 v3, v3, 23, 0x3c000000
	v_mov_b32_e32 v68, v53
	s_delay_alu instid0(VALU_DEP_3) | instskip(NEXT) | instid1(VALU_DEP_1)
	v_and_b32_e32 v2, 0x80000000, v2
	v_or3_b32 v69, v4, v2, v3
.LBB186_319:                            ;   in Loop: Header=BB186_12 Depth=1
	s_or_b32 exec_lo, exec_lo, s45
.LBB186_320:                            ;   in Loop: Header=BB186_12 Depth=1
	s_delay_alu instid0(SALU_CYCLE_1)
	s_or_b32 exec_lo, exec_lo, s44
.LBB186_321:                            ;   in Loop: Header=BB186_12 Depth=1
	s_delay_alu instid0(SALU_CYCLE_1)
	s_or_b32 exec_lo, exec_lo, s43
	global_load_u16 v3, v[70:71], off offset:1036
	v_mov_b64_e32 v[66:67], 0
	v_mov_b64_e32 v[74:75], 0
	s_mov_b32 s43, exec_lo
	s_wait_loadcnt 0x0
	v_and_b32_e32 v2, 0xffff, v3
	v_and_b32_e32 v3, 0xff, v3
	s_wait_xcnt 0x0
	s_delay_alu instid0(VALU_DEP_1)
	v_cmpx_ne_u16_e32 0, v3
	s_cbranch_execz .LBB186_329
; %bb.322:                              ;   in Loop: Header=BB186_12 Depth=1
	v_mov_b64_e32 v[74:75], 0x80000000
	v_and_b32_e32 v3, 0xff, v2
	s_mov_b32 s44, exec_lo
	s_delay_alu instid0(VALU_DEP_1)
	v_cmpx_ne_u16_e32 0x80, v3
	s_cbranch_execz .LBB186_328
; %bb.323:                              ;   in Loop: Header=BB186_12 Depth=1
	v_mov_b64_e32 v[74:75], 0x7f800001
	v_and_b32_e32 v4, 0x7f, v2
	s_mov_b32 s45, exec_lo
	s_delay_alu instid0(VALU_DEP_1)
	v_cmpx_ne_u32_e32 0x7f, v4
	s_cbranch_execz .LBB186_327
; %bb.324:                              ;   in Loop: Header=BB186_12 Depth=1
	v_dual_lshrrev_b32 v3, 3, v4 :: v_dual_bitop2_b32 v52, 7, v2 bitop3:0x40
	s_mov_b32 s46, exec_lo
	v_cmpx_gt_u32_e32 8, v4
; %bb.325:                              ;   in Loop: Header=BB186_12 Depth=1
	s_delay_alu instid0(VALU_DEP_2) | instskip(NEXT) | instid1(VALU_DEP_1)
	v_clz_i32_u32_e32 v3, v52
	v_min_u32_e32 v3, 32, v3
	s_delay_alu instid0(VALU_DEP_1) | instskip(NEXT) | instid1(VALU_DEP_1)
	v_subrev_nc_u32_e32 v4, 28, v3
	v_lshlrev_b64_e32 v[4:5], v4, v[52:53]
	s_delay_alu instid0(VALU_DEP_1)
	v_dual_sub_nc_u32 v3, 29, v3 :: v_dual_bitop2_b32 v52, 7, v4 bitop3:0x40
; %bb.326:                              ;   in Loop: Header=BB186_12 Depth=1
	s_or_b32 exec_lo, exec_lo, s46
	s_delay_alu instid0(VALU_DEP_1) | instskip(NEXT) | instid1(VALU_DEP_2)
	v_dual_lshlrev_b32 v4, 24, v2 :: v_dual_lshlrev_b32 v5, 20, v52
	v_lshl_add_u32 v3, v3, 23, 0x3c000000
	s_delay_alu instid0(VALU_DEP_2) | instskip(NEXT) | instid1(VALU_DEP_1)
	v_and_b32_e32 v4, 0x80000000, v4
	v_or3_b32 v52, v5, v4, v3
	s_delay_alu instid0(VALU_DEP_1)
	v_mov_b64_e32 v[74:75], v[52:53]
.LBB186_327:                            ;   in Loop: Header=BB186_12 Depth=1
	s_or_b32 exec_lo, exec_lo, s45
.LBB186_328:                            ;   in Loop: Header=BB186_12 Depth=1
	s_delay_alu instid0(SALU_CYCLE_1)
	s_or_b32 exec_lo, exec_lo, s44
.LBB186_329:                            ;   in Loop: Header=BB186_12 Depth=1
	s_delay_alu instid0(SALU_CYCLE_1) | instskip(SKIP_2) | instid1(VALU_DEP_1)
	s_or_b32 exec_lo, exec_lo, s43
	v_lshrrev_b16 v3, 8, v2
	s_mov_b32 s43, exec_lo
	v_cmpx_ne_u16_e32 0, v3
	s_cbranch_execz .LBB186_337
; %bb.330:                              ;   in Loop: Header=BB186_12 Depth=1
	v_mov_b64_e32 v[66:67], 0x8000000000000000
	s_mov_b32 s44, exec_lo
	v_cmpx_ne_u16_e32 0x80, v3
	s_cbranch_execz .LBB186_336
; %bb.331:                              ;   in Loop: Header=BB186_12 Depth=1
	v_and_b32_e32 v3, 0xffff, v3
	v_mov_b64_e32 v[66:67], 0x7f80000100000000
	s_mov_b32 s45, exec_lo
	s_delay_alu instid0(VALU_DEP_2) | instskip(NEXT) | instid1(VALU_DEP_1)
	v_and_b32_e32 v4, 0x7f, v3
	v_cmpx_ne_u32_e32 0x7f, v4
	s_cbranch_execz .LBB186_335
; %bb.332:                              ;   in Loop: Header=BB186_12 Depth=1
	v_dual_lshrrev_b32 v3, 3, v4 :: v_dual_bitop2_b32 v52, 7, v3 bitop3:0x40
	s_mov_b32 s46, exec_lo
	v_cmpx_gt_u32_e32 8, v4
; %bb.333:                              ;   in Loop: Header=BB186_12 Depth=1
	s_delay_alu instid0(VALU_DEP_2) | instskip(NEXT) | instid1(VALU_DEP_1)
	v_clz_i32_u32_e32 v3, v52
	v_min_u32_e32 v3, 32, v3
	s_delay_alu instid0(VALU_DEP_1) | instskip(NEXT) | instid1(VALU_DEP_1)
	v_subrev_nc_u32_e32 v4, 28, v3
	v_lshlrev_b64_e32 v[4:5], v4, v[52:53]
	s_delay_alu instid0(VALU_DEP_1)
	v_dual_sub_nc_u32 v3, 29, v3 :: v_dual_bitop2_b32 v52, 7, v4 bitop3:0x40
; %bb.334:                              ;   in Loop: Header=BB186_12 Depth=1
	s_or_b32 exec_lo, exec_lo, s46
	s_delay_alu instid0(VALU_DEP_1) | instskip(NEXT) | instid1(VALU_DEP_2)
	v_dual_lshlrev_b32 v2, 16, v2 :: v_dual_lshlrev_b32 v4, 20, v52
	v_lshl_add_u32 v3, v3, 23, 0x3c000000
	v_mov_b32_e32 v66, v53
	s_delay_alu instid0(VALU_DEP_3) | instskip(NEXT) | instid1(VALU_DEP_1)
	v_and_b32_e32 v2, 0x80000000, v2
	v_or3_b32 v67, v4, v2, v3
.LBB186_335:                            ;   in Loop: Header=BB186_12 Depth=1
	s_or_b32 exec_lo, exec_lo, s45
.LBB186_336:                            ;   in Loop: Header=BB186_12 Depth=1
	s_delay_alu instid0(SALU_CYCLE_1)
	s_or_b32 exec_lo, exec_lo, s44
.LBB186_337:                            ;   in Loop: Header=BB186_12 Depth=1
	s_delay_alu instid0(SALU_CYCLE_1)
	s_or_b32 exec_lo, exec_lo, s43
	global_load_u16 v2, v[70:71], off offset:1280
	v_mov_b64_e32 v[78:79], 0
	s_wait_loadcnt 0x0
	v_and_b32_e32 v4, 0xffff, v2
	v_and_b32_e32 v2, 0xff, v2
	s_delay_alu instid0(VALU_DEP_1)
	v_cmp_ne_u16_e64 s5, 0, v2
	v_mov_b64_e32 v[2:3], 0
	s_wait_xcnt 0x0
	s_and_saveexec_b32 s43, s5
	s_cbranch_execz .LBB186_345
; %bb.338:                              ;   in Loop: Header=BB186_12 Depth=1
	v_and_b32_e32 v2, 0xff, v4
	s_delay_alu instid0(VALU_DEP_1)
	v_cmp_ne_u16_e64 s5, 0x80, v2
	v_mov_b64_e32 v[2:3], 0x80000000
	s_and_saveexec_b32 s44, s5
	s_cbranch_execz .LBB186_344
; %bb.339:                              ;   in Loop: Header=BB186_12 Depth=1
	v_mov_b64_e32 v[2:3], 0x7f800001
	v_and_b32_e32 v5, 0x7f, v4
	s_mov_b32 s45, exec_lo
	s_delay_alu instid0(VALU_DEP_1)
	v_cmpx_ne_u32_e32 0x7f, v5
	s_cbranch_execz .LBB186_343
; %bb.340:                              ;   in Loop: Header=BB186_12 Depth=1
	v_dual_lshrrev_b32 v2, 3, v5 :: v_dual_bitop2_b32 v52, 7, v4 bitop3:0x40
	s_mov_b32 s46, exec_lo
	v_cmpx_gt_u32_e32 8, v5
; %bb.341:                              ;   in Loop: Header=BB186_12 Depth=1
	s_delay_alu instid0(VALU_DEP_2) | instskip(NEXT) | instid1(VALU_DEP_1)
	v_clz_i32_u32_e32 v2, v52
	v_min_u32_e32 v2, 32, v2
	s_delay_alu instid0(VALU_DEP_1) | instskip(SKIP_1) | instid1(VALU_DEP_2)
	v_subrev_nc_u32_e32 v3, 28, v2
	v_sub_nc_u32_e32 v2, 29, v2
	v_lshlrev_b64_e32 v[6:7], v3, v[52:53]
	s_delay_alu instid0(VALU_DEP_1)
	v_and_b32_e32 v52, 7, v6
; %bb.342:                              ;   in Loop: Header=BB186_12 Depth=1
	s_or_b32 exec_lo, exec_lo, s46
	v_lshlrev_b32_e32 v3, 24, v4
	s_delay_alu instid0(VALU_DEP_2) | instskip(SKIP_1) | instid1(VALU_DEP_3)
	v_lshlrev_b32_e32 v5, 20, v52
	v_lshl_add_u32 v2, v2, 23, 0x3c000000
	v_and_b32_e32 v3, 0x80000000, v3
	s_delay_alu instid0(VALU_DEP_1) | instskip(NEXT) | instid1(VALU_DEP_1)
	v_or3_b32 v52, v5, v3, v2
	v_mov_b64_e32 v[2:3], v[52:53]
.LBB186_343:                            ;   in Loop: Header=BB186_12 Depth=1
	s_or_b32 exec_lo, exec_lo, s45
.LBB186_344:                            ;   in Loop: Header=BB186_12 Depth=1
	s_delay_alu instid0(SALU_CYCLE_1)
	s_or_b32 exec_lo, exec_lo, s44
.LBB186_345:                            ;   in Loop: Header=BB186_12 Depth=1
	s_delay_alu instid0(SALU_CYCLE_1) | instskip(SKIP_2) | instid1(VALU_DEP_1)
	s_or_b32 exec_lo, exec_lo, s43
	v_lshrrev_b16 v5, 8, v4
	s_mov_b32 s43, exec_lo
	v_cmpx_ne_u16_e32 0, v5
	s_cbranch_execz .LBB186_353
; %bb.346:                              ;   in Loop: Header=BB186_12 Depth=1
	v_mov_b64_e32 v[78:79], 0x8000000000000000
	s_mov_b32 s44, exec_lo
	v_cmpx_ne_u16_e32 0x80, v5
	s_cbranch_execz .LBB186_352
; %bb.347:                              ;   in Loop: Header=BB186_12 Depth=1
	v_and_b32_e32 v5, 0xffff, v5
	v_mov_b64_e32 v[78:79], 0x7f80000100000000
	s_mov_b32 s45, exec_lo
	s_delay_alu instid0(VALU_DEP_2) | instskip(NEXT) | instid1(VALU_DEP_1)
	v_and_b32_e32 v6, 0x7f, v5
	v_cmpx_ne_u32_e32 0x7f, v6
	s_cbranch_execz .LBB186_351
; %bb.348:                              ;   in Loop: Header=BB186_12 Depth=1
	v_dual_lshrrev_b32 v5, 3, v6 :: v_dual_bitop2_b32 v52, 7, v5 bitop3:0x40
	s_mov_b32 s46, exec_lo
	v_cmpx_gt_u32_e32 8, v6
; %bb.349:                              ;   in Loop: Header=BB186_12 Depth=1
	s_delay_alu instid0(VALU_DEP_2) | instskip(NEXT) | instid1(VALU_DEP_1)
	v_clz_i32_u32_e32 v5, v52
	v_min_u32_e32 v5, 32, v5
	s_delay_alu instid0(VALU_DEP_1) | instskip(NEXT) | instid1(VALU_DEP_1)
	v_subrev_nc_u32_e32 v6, 28, v5
	v_lshlrev_b64_e32 v[6:7], v6, v[52:53]
	s_delay_alu instid0(VALU_DEP_1)
	v_dual_sub_nc_u32 v5, 29, v5 :: v_dual_bitop2_b32 v52, 7, v6 bitop3:0x40
; %bb.350:                              ;   in Loop: Header=BB186_12 Depth=1
	s_or_b32 exec_lo, exec_lo, s46
	v_dual_lshlrev_b32 v4, 16, v4 :: v_dual_mov_b32 v78, v53
	s_delay_alu instid0(VALU_DEP_2) | instskip(NEXT) | instid1(VALU_DEP_3)
	v_lshlrev_b32_e32 v6, 20, v52
	v_lshl_add_u32 v5, v5, 23, 0x3c000000
	s_delay_alu instid0(VALU_DEP_3) | instskip(NEXT) | instid1(VALU_DEP_1)
	v_and_b32_e32 v4, 0x80000000, v4
	v_or3_b32 v79, v6, v4, v5
.LBB186_351:                            ;   in Loop: Header=BB186_12 Depth=1
	s_or_b32 exec_lo, exec_lo, s45
.LBB186_352:                            ;   in Loop: Header=BB186_12 Depth=1
	s_delay_alu instid0(SALU_CYCLE_1)
	s_or_b32 exec_lo, exec_lo, s44
.LBB186_353:                            ;   in Loop: Header=BB186_12 Depth=1
	s_delay_alu instid0(SALU_CYCLE_1)
	s_or_b32 exec_lo, exec_lo, s43
	global_load_u16 v4, v[70:71], off offset:1284
	v_mov_b64_e32 v[6:7], 0
	s_wait_loadcnt 0x0
	v_and_b32_e32 v8, 0xffff, v4
	v_and_b32_e32 v4, 0xff, v4
	s_delay_alu instid0(VALU_DEP_1)
	v_cmp_ne_u16_e64 s5, 0, v4
	v_mov_b64_e32 v[4:5], 0
	s_wait_xcnt 0x0
	s_and_saveexec_b32 s43, s5
	s_cbranch_execz .LBB186_361
; %bb.354:                              ;   in Loop: Header=BB186_12 Depth=1
	v_and_b32_e32 v6, 0xff, v8
	s_delay_alu instid0(VALU_DEP_1)
	v_cmp_ne_u16_e64 s5, 0x80, v6
	v_mov_b64_e32 v[6:7], 0x80000000
	s_and_saveexec_b32 s44, s5
	s_cbranch_execz .LBB186_360
; %bb.355:                              ;   in Loop: Header=BB186_12 Depth=1
	v_mov_b64_e32 v[6:7], 0x7f800001
	v_and_b32_e32 v9, 0x7f, v8
	s_mov_b32 s45, exec_lo
	s_delay_alu instid0(VALU_DEP_1)
	v_cmpx_ne_u32_e32 0x7f, v9
	s_cbranch_execz .LBB186_359
; %bb.356:                              ;   in Loop: Header=BB186_12 Depth=1
	v_dual_lshrrev_b32 v6, 3, v9 :: v_dual_bitop2_b32 v52, 7, v8 bitop3:0x40
	s_mov_b32 s46, exec_lo
	v_cmpx_gt_u32_e32 8, v9
; %bb.357:                              ;   in Loop: Header=BB186_12 Depth=1
	s_delay_alu instid0(VALU_DEP_2) | instskip(NEXT) | instid1(VALU_DEP_1)
	v_clz_i32_u32_e32 v6, v52
	v_min_u32_e32 v6, 32, v6
	s_delay_alu instid0(VALU_DEP_1) | instskip(SKIP_1) | instid1(VALU_DEP_2)
	v_subrev_nc_u32_e32 v7, 28, v6
	v_sub_nc_u32_e32 v6, 29, v6
	v_lshlrev_b64_e32 v[10:11], v7, v[52:53]
	s_delay_alu instid0(VALU_DEP_1)
	v_and_b32_e32 v52, 7, v10
; %bb.358:                              ;   in Loop: Header=BB186_12 Depth=1
	s_or_b32 exec_lo, exec_lo, s46
	v_lshlrev_b32_e32 v7, 24, v8
	s_delay_alu instid0(VALU_DEP_2) | instskip(SKIP_1) | instid1(VALU_DEP_3)
	v_lshlrev_b32_e32 v9, 20, v52
	v_lshl_add_u32 v6, v6, 23, 0x3c000000
	v_and_b32_e32 v7, 0x80000000, v7
	s_delay_alu instid0(VALU_DEP_1) | instskip(NEXT) | instid1(VALU_DEP_1)
	v_or3_b32 v52, v9, v7, v6
	v_mov_b64_e32 v[6:7], v[52:53]
.LBB186_359:                            ;   in Loop: Header=BB186_12 Depth=1
	s_or_b32 exec_lo, exec_lo, s45
.LBB186_360:                            ;   in Loop: Header=BB186_12 Depth=1
	s_delay_alu instid0(SALU_CYCLE_1)
	s_or_b32 exec_lo, exec_lo, s44
.LBB186_361:                            ;   in Loop: Header=BB186_12 Depth=1
	s_delay_alu instid0(SALU_CYCLE_1) | instskip(SKIP_2) | instid1(VALU_DEP_1)
	s_or_b32 exec_lo, exec_lo, s43
	v_lshrrev_b16 v9, 8, v8
	s_mov_b32 s43, exec_lo
	v_cmpx_ne_u16_e32 0, v9
	s_cbranch_execz .LBB186_369
; %bb.362:                              ;   in Loop: Header=BB186_12 Depth=1
	v_mov_b64_e32 v[4:5], 0x8000000000000000
	s_mov_b32 s44, exec_lo
	v_cmpx_ne_u16_e32 0x80, v9
	s_cbranch_execz .LBB186_368
; %bb.363:                              ;   in Loop: Header=BB186_12 Depth=1
	v_and_b32_e32 v10, 0xffff, v9
	v_mov_b64_e32 v[4:5], 0x7f80000100000000
	s_mov_b32 s45, exec_lo
	s_delay_alu instid0(VALU_DEP_2) | instskip(NEXT) | instid1(VALU_DEP_1)
	v_and_b32_e32 v9, 0x7f, v10
	v_cmpx_ne_u32_e32 0x7f, v9
	s_cbranch_execz .LBB186_367
; %bb.364:                              ;   in Loop: Header=BB186_12 Depth=1
	v_dual_lshrrev_b32 v4, 3, v9 :: v_dual_bitop2_b32 v52, 7, v10 bitop3:0x40
	s_mov_b32 s46, exec_lo
	v_cmpx_gt_u32_e32 8, v9
; %bb.365:                              ;   in Loop: Header=BB186_12 Depth=1
	s_delay_alu instid0(VALU_DEP_2) | instskip(NEXT) | instid1(VALU_DEP_1)
	v_clz_i32_u32_e32 v4, v52
	v_min_u32_e32 v4, 32, v4
	s_delay_alu instid0(VALU_DEP_1) | instskip(NEXT) | instid1(VALU_DEP_1)
	v_subrev_nc_u32_e32 v5, 28, v4
	v_lshlrev_b64_e32 v[10:11], v5, v[52:53]
	s_delay_alu instid0(VALU_DEP_1)
	v_dual_sub_nc_u32 v4, 29, v4 :: v_dual_bitop2_b32 v52, 7, v10 bitop3:0x40
; %bb.366:                              ;   in Loop: Header=BB186_12 Depth=1
	s_or_b32 exec_lo, exec_lo, s46
	v_lshlrev_b32_e32 v5, 16, v8
	s_delay_alu instid0(VALU_DEP_2) | instskip(NEXT) | instid1(VALU_DEP_3)
	v_lshlrev_b32_e32 v8, 20, v52
	v_lshl_add_u32 v4, v4, 23, 0x3c000000
	s_delay_alu instid0(VALU_DEP_3) | instskip(NEXT) | instid1(VALU_DEP_1)
	v_and_b32_e32 v5, 0x80000000, v5
	v_or3_b32 v5, v8, v5, v4
	v_mov_b32_e32 v4, v53
.LBB186_367:                            ;   in Loop: Header=BB186_12 Depth=1
	s_or_b32 exec_lo, exec_lo, s45
.LBB186_368:                            ;   in Loop: Header=BB186_12 Depth=1
	s_delay_alu instid0(SALU_CYCLE_1)
	s_or_b32 exec_lo, exec_lo, s44
.LBB186_369:                            ;   in Loop: Header=BB186_12 Depth=1
	s_delay_alu instid0(SALU_CYCLE_1)
	s_or_b32 exec_lo, exec_lo, s43
	global_load_u16 v8, v[70:71], off offset:1288
	v_mov_b64_e32 v[10:11], 0
	s_wait_loadcnt 0x0
	v_and_b32_e32 v12, 0xffff, v8
	v_and_b32_e32 v8, 0xff, v8
	s_delay_alu instid0(VALU_DEP_1)
	v_cmp_ne_u16_e64 s5, 0, v8
	v_mov_b64_e32 v[8:9], 0
	s_wait_xcnt 0x0
	s_and_saveexec_b32 s43, s5
	s_cbranch_execz .LBB186_377
; %bb.370:                              ;   in Loop: Header=BB186_12 Depth=1
	v_and_b32_e32 v10, 0xff, v12
	s_delay_alu instid0(VALU_DEP_1)
	v_cmp_ne_u16_e64 s5, 0x80, v10
	v_mov_b64_e32 v[10:11], 0x80000000
	s_and_saveexec_b32 s44, s5
	s_cbranch_execz .LBB186_376
; %bb.371:                              ;   in Loop: Header=BB186_12 Depth=1
	v_mov_b64_e32 v[10:11], 0x7f800001
	v_and_b32_e32 v13, 0x7f, v12
	s_mov_b32 s45, exec_lo
	s_delay_alu instid0(VALU_DEP_1)
	v_cmpx_ne_u32_e32 0x7f, v13
	s_cbranch_execz .LBB186_375
; %bb.372:                              ;   in Loop: Header=BB186_12 Depth=1
	v_dual_lshrrev_b32 v10, 3, v13 :: v_dual_bitop2_b32 v52, 7, v12 bitop3:0x40
	s_mov_b32 s46, exec_lo
	v_cmpx_gt_u32_e32 8, v13
; %bb.373:                              ;   in Loop: Header=BB186_12 Depth=1
	s_delay_alu instid0(VALU_DEP_2) | instskip(NEXT) | instid1(VALU_DEP_1)
	v_clz_i32_u32_e32 v10, v52
	v_min_u32_e32 v10, 32, v10
	s_delay_alu instid0(VALU_DEP_1) | instskip(SKIP_1) | instid1(VALU_DEP_2)
	v_subrev_nc_u32_e32 v11, 28, v10
	v_sub_nc_u32_e32 v10, 29, v10
	v_lshlrev_b64_e32 v[14:15], v11, v[52:53]
	s_delay_alu instid0(VALU_DEP_1)
	v_and_b32_e32 v52, 7, v14
; %bb.374:                              ;   in Loop: Header=BB186_12 Depth=1
	s_or_b32 exec_lo, exec_lo, s46
	v_lshlrev_b32_e32 v11, 24, v12
	s_delay_alu instid0(VALU_DEP_2) | instskip(SKIP_1) | instid1(VALU_DEP_3)
	v_lshlrev_b32_e32 v13, 20, v52
	v_lshl_add_u32 v10, v10, 23, 0x3c000000
	v_and_b32_e32 v11, 0x80000000, v11
	s_delay_alu instid0(VALU_DEP_1) | instskip(NEXT) | instid1(VALU_DEP_1)
	v_or3_b32 v52, v13, v11, v10
	v_mov_b64_e32 v[10:11], v[52:53]
.LBB186_375:                            ;   in Loop: Header=BB186_12 Depth=1
	s_or_b32 exec_lo, exec_lo, s45
.LBB186_376:                            ;   in Loop: Header=BB186_12 Depth=1
	s_delay_alu instid0(SALU_CYCLE_1)
	s_or_b32 exec_lo, exec_lo, s44
.LBB186_377:                            ;   in Loop: Header=BB186_12 Depth=1
	s_delay_alu instid0(SALU_CYCLE_1) | instskip(SKIP_2) | instid1(VALU_DEP_1)
	s_or_b32 exec_lo, exec_lo, s43
	v_lshrrev_b16 v13, 8, v12
	s_mov_b32 s43, exec_lo
	v_cmpx_ne_u16_e32 0, v13
	s_cbranch_execz .LBB186_385
; %bb.378:                              ;   in Loop: Header=BB186_12 Depth=1
	v_mov_b64_e32 v[8:9], 0x8000000000000000
	s_mov_b32 s44, exec_lo
	v_cmpx_ne_u16_e32 0x80, v13
	s_cbranch_execz .LBB186_384
; %bb.379:                              ;   in Loop: Header=BB186_12 Depth=1
	v_and_b32_e32 v14, 0xffff, v13
	v_mov_b64_e32 v[8:9], 0x7f80000100000000
	s_mov_b32 s45, exec_lo
	s_delay_alu instid0(VALU_DEP_2) | instskip(NEXT) | instid1(VALU_DEP_1)
	v_and_b32_e32 v13, 0x7f, v14
	v_cmpx_ne_u32_e32 0x7f, v13
	s_cbranch_execz .LBB186_383
; %bb.380:                              ;   in Loop: Header=BB186_12 Depth=1
	v_dual_lshrrev_b32 v8, 3, v13 :: v_dual_bitop2_b32 v52, 7, v14 bitop3:0x40
	s_mov_b32 s46, exec_lo
	v_cmpx_gt_u32_e32 8, v13
; %bb.381:                              ;   in Loop: Header=BB186_12 Depth=1
	s_delay_alu instid0(VALU_DEP_2) | instskip(NEXT) | instid1(VALU_DEP_1)
	v_clz_i32_u32_e32 v8, v52
	v_min_u32_e32 v8, 32, v8
	s_delay_alu instid0(VALU_DEP_1) | instskip(NEXT) | instid1(VALU_DEP_1)
	v_subrev_nc_u32_e32 v9, 28, v8
	v_lshlrev_b64_e32 v[14:15], v9, v[52:53]
	s_delay_alu instid0(VALU_DEP_1)
	v_dual_sub_nc_u32 v8, 29, v8 :: v_dual_bitop2_b32 v52, 7, v14 bitop3:0x40
; %bb.382:                              ;   in Loop: Header=BB186_12 Depth=1
	s_or_b32 exec_lo, exec_lo, s46
	v_lshlrev_b32_e32 v9, 16, v12
	s_delay_alu instid0(VALU_DEP_2) | instskip(NEXT) | instid1(VALU_DEP_3)
	v_lshlrev_b32_e32 v12, 20, v52
	v_lshl_add_u32 v8, v8, 23, 0x3c000000
	s_delay_alu instid0(VALU_DEP_3) | instskip(NEXT) | instid1(VALU_DEP_1)
	v_and_b32_e32 v9, 0x80000000, v9
	v_or3_b32 v9, v12, v9, v8
	v_mov_b32_e32 v8, v53
.LBB186_383:                            ;   in Loop: Header=BB186_12 Depth=1
	s_or_b32 exec_lo, exec_lo, s45
.LBB186_384:                            ;   in Loop: Header=BB186_12 Depth=1
	s_delay_alu instid0(SALU_CYCLE_1)
	s_or_b32 exec_lo, exec_lo, s44
.LBB186_385:                            ;   in Loop: Header=BB186_12 Depth=1
	s_delay_alu instid0(SALU_CYCLE_1)
	s_or_b32 exec_lo, exec_lo, s43
	global_load_u16 v12, v[70:71], off offset:1292
	v_mov_b64_e32 v[72:73], 0
	s_wait_loadcnt 0x0
	v_and_b32_e32 v14, 0xffff, v12
	v_and_b32_e32 v12, 0xff, v12
	s_delay_alu instid0(VALU_DEP_1)
	v_cmp_ne_u16_e64 s5, 0, v12
	v_mov_b64_e32 v[12:13], 0
	s_wait_xcnt 0x0
	s_and_saveexec_b32 s43, s5
	s_cbranch_execz .LBB186_393
; %bb.386:                              ;   in Loop: Header=BB186_12 Depth=1
	v_mov_b64_e32 v[72:73], 0x80000000
	v_and_b32_e32 v15, 0xff, v14
	s_mov_b32 s44, exec_lo
	s_delay_alu instid0(VALU_DEP_1)
	v_cmpx_ne_u16_e32 0x80, v15
	s_cbranch_execz .LBB186_392
; %bb.387:                              ;   in Loop: Header=BB186_12 Depth=1
	v_mov_b64_e32 v[72:73], 0x7f800001
	v_and_b32_e32 v16, 0x7f, v14
	s_mov_b32 s45, exec_lo
	s_delay_alu instid0(VALU_DEP_1)
	v_cmpx_ne_u32_e32 0x7f, v16
	s_cbranch_execz .LBB186_391
; %bb.388:                              ;   in Loop: Header=BB186_12 Depth=1
	v_dual_lshrrev_b32 v15, 3, v16 :: v_dual_bitop2_b32 v52, 7, v14 bitop3:0x40
	s_mov_b32 s46, exec_lo
	v_cmpx_gt_u32_e32 8, v16
; %bb.389:                              ;   in Loop: Header=BB186_12 Depth=1
	s_delay_alu instid0(VALU_DEP_2) | instskip(NEXT) | instid1(VALU_DEP_1)
	v_clz_i32_u32_e32 v15, v52
	v_min_u32_e32 v15, 32, v15
	s_delay_alu instid0(VALU_DEP_1) | instskip(NEXT) | instid1(VALU_DEP_1)
	v_subrev_nc_u32_e32 v16, 28, v15
	v_lshlrev_b64_e32 v[16:17], v16, v[52:53]
	s_delay_alu instid0(VALU_DEP_1)
	v_dual_sub_nc_u32 v15, 29, v15 :: v_dual_bitop2_b32 v52, 7, v16 bitop3:0x40
; %bb.390:                              ;   in Loop: Header=BB186_12 Depth=1
	s_or_b32 exec_lo, exec_lo, s46
	s_delay_alu instid0(VALU_DEP_1) | instskip(NEXT) | instid1(VALU_DEP_2)
	v_dual_lshlrev_b32 v16, 24, v14 :: v_dual_lshlrev_b32 v17, 20, v52
	v_lshl_add_u32 v15, v15, 23, 0x3c000000
	s_delay_alu instid0(VALU_DEP_2) | instskip(NEXT) | instid1(VALU_DEP_1)
	v_and_b32_e32 v16, 0x80000000, v16
	v_or3_b32 v52, v17, v16, v15
	s_delay_alu instid0(VALU_DEP_1)
	v_mov_b64_e32 v[72:73], v[52:53]
.LBB186_391:                            ;   in Loop: Header=BB186_12 Depth=1
	s_or_b32 exec_lo, exec_lo, s45
.LBB186_392:                            ;   in Loop: Header=BB186_12 Depth=1
	s_delay_alu instid0(SALU_CYCLE_1)
	s_or_b32 exec_lo, exec_lo, s44
.LBB186_393:                            ;   in Loop: Header=BB186_12 Depth=1
	s_delay_alu instid0(SALU_CYCLE_1) | instskip(SKIP_2) | instid1(VALU_DEP_1)
	s_or_b32 exec_lo, exec_lo, s43
	v_lshrrev_b16 v15, 8, v14
	s_mov_b32 s43, exec_lo
	v_cmpx_ne_u16_e32 0, v15
	s_cbranch_execz .LBB186_401
; %bb.394:                              ;   in Loop: Header=BB186_12 Depth=1
	v_mov_b64_e32 v[12:13], 0x8000000000000000
	s_mov_b32 s44, exec_lo
	v_cmpx_ne_u16_e32 0x80, v15
	s_cbranch_execz .LBB186_400
; %bb.395:                              ;   in Loop: Header=BB186_12 Depth=1
	v_and_b32_e32 v16, 0xffff, v15
	v_mov_b64_e32 v[12:13], 0x7f80000100000000
	s_mov_b32 s45, exec_lo
	s_delay_alu instid0(VALU_DEP_2) | instskip(NEXT) | instid1(VALU_DEP_1)
	v_and_b32_e32 v15, 0x7f, v16
	v_cmpx_ne_u32_e32 0x7f, v15
	s_cbranch_execz .LBB186_399
; %bb.396:                              ;   in Loop: Header=BB186_12 Depth=1
	v_dual_lshrrev_b32 v12, 3, v15 :: v_dual_bitop2_b32 v52, 7, v16 bitop3:0x40
	s_mov_b32 s46, exec_lo
	v_cmpx_gt_u32_e32 8, v15
; %bb.397:                              ;   in Loop: Header=BB186_12 Depth=1
	s_delay_alu instid0(VALU_DEP_2) | instskip(NEXT) | instid1(VALU_DEP_1)
	v_clz_i32_u32_e32 v12, v52
	v_min_u32_e32 v12, 32, v12
	s_delay_alu instid0(VALU_DEP_1) | instskip(SKIP_1) | instid1(VALU_DEP_2)
	v_subrev_nc_u32_e32 v13, 28, v12
	v_sub_nc_u32_e32 v12, 29, v12
	v_lshlrev_b64_e32 v[16:17], v13, v[52:53]
	s_delay_alu instid0(VALU_DEP_1)
	v_and_b32_e32 v52, 7, v16
; %bb.398:                              ;   in Loop: Header=BB186_12 Depth=1
	s_or_b32 exec_lo, exec_lo, s46
	s_delay_alu instid0(VALU_DEP_1) | instskip(SKIP_1) | instid1(VALU_DEP_2)
	v_dual_lshlrev_b32 v13, 16, v14 :: v_dual_lshlrev_b32 v14, 20, v52
	v_lshl_add_u32 v12, v12, 23, 0x3c000000
	v_and_b32_e32 v13, 0x80000000, v13
	s_delay_alu instid0(VALU_DEP_1)
	v_or3_b32 v13, v14, v13, v12
	v_mov_b32_e32 v12, v53
.LBB186_399:                            ;   in Loop: Header=BB186_12 Depth=1
	s_or_b32 exec_lo, exec_lo, s45
.LBB186_400:                            ;   in Loop: Header=BB186_12 Depth=1
	s_delay_alu instid0(SALU_CYCLE_1)
	s_or_b32 exec_lo, exec_lo, s44
.LBB186_401:                            ;   in Loop: Header=BB186_12 Depth=1
	s_delay_alu instid0(SALU_CYCLE_1)
	s_or_b32 exec_lo, exec_lo, s43
	global_load_u16 v14, v[70:71], off offset:1536
	v_mov_b64_e32 v[16:17], 0
	s_wait_loadcnt 0x0
	v_and_b32_e32 v18, 0xffff, v14
	v_and_b32_e32 v14, 0xff, v14
	s_delay_alu instid0(VALU_DEP_1)
	v_cmp_ne_u16_e64 s5, 0, v14
	v_mov_b64_e32 v[14:15], 0
	s_wait_xcnt 0x0
	s_and_saveexec_b32 s43, s5
	s_cbranch_execz .LBB186_409
; %bb.402:                              ;   in Loop: Header=BB186_12 Depth=1
	v_and_b32_e32 v16, 0xff, v18
	s_delay_alu instid0(VALU_DEP_1)
	v_cmp_ne_u16_e64 s5, 0x80, v16
	v_mov_b64_e32 v[16:17], 0x80000000
	s_and_saveexec_b32 s44, s5
	s_cbranch_execz .LBB186_408
; %bb.403:                              ;   in Loop: Header=BB186_12 Depth=1
	v_mov_b64_e32 v[16:17], 0x7f800001
	v_and_b32_e32 v19, 0x7f, v18
	s_mov_b32 s45, exec_lo
	s_delay_alu instid0(VALU_DEP_1)
	v_cmpx_ne_u32_e32 0x7f, v19
	s_cbranch_execz .LBB186_407
; %bb.404:                              ;   in Loop: Header=BB186_12 Depth=1
	v_dual_lshrrev_b32 v16, 3, v19 :: v_dual_bitop2_b32 v52, 7, v18 bitop3:0x40
	s_mov_b32 s46, exec_lo
	v_cmpx_gt_u32_e32 8, v19
; %bb.405:                              ;   in Loop: Header=BB186_12 Depth=1
	s_delay_alu instid0(VALU_DEP_2) | instskip(NEXT) | instid1(VALU_DEP_1)
	v_clz_i32_u32_e32 v16, v52
	v_min_u32_e32 v16, 32, v16
	s_delay_alu instid0(VALU_DEP_1) | instskip(SKIP_1) | instid1(VALU_DEP_2)
	v_subrev_nc_u32_e32 v17, 28, v16
	v_sub_nc_u32_e32 v16, 29, v16
	v_lshlrev_b64_e32 v[20:21], v17, v[52:53]
	s_delay_alu instid0(VALU_DEP_1)
	v_and_b32_e32 v52, 7, v20
; %bb.406:                              ;   in Loop: Header=BB186_12 Depth=1
	s_or_b32 exec_lo, exec_lo, s46
	s_delay_alu instid0(VALU_DEP_1) | instskip(SKIP_1) | instid1(VALU_DEP_2)
	v_dual_lshlrev_b32 v17, 24, v18 :: v_dual_lshlrev_b32 v19, 20, v52
	v_lshl_add_u32 v16, v16, 23, 0x3c000000
	v_and_b32_e32 v17, 0x80000000, v17
	s_delay_alu instid0(VALU_DEP_1) | instskip(NEXT) | instid1(VALU_DEP_1)
	v_or3_b32 v52, v19, v17, v16
	v_mov_b64_e32 v[16:17], v[52:53]
.LBB186_407:                            ;   in Loop: Header=BB186_12 Depth=1
	s_or_b32 exec_lo, exec_lo, s45
.LBB186_408:                            ;   in Loop: Header=BB186_12 Depth=1
	s_delay_alu instid0(SALU_CYCLE_1)
	s_or_b32 exec_lo, exec_lo, s44
.LBB186_409:                            ;   in Loop: Header=BB186_12 Depth=1
	s_delay_alu instid0(SALU_CYCLE_1) | instskip(SKIP_2) | instid1(VALU_DEP_1)
	s_or_b32 exec_lo, exec_lo, s43
	v_lshrrev_b16 v19, 8, v18
	s_mov_b32 s43, exec_lo
	v_cmpx_ne_u16_e32 0, v19
	s_cbranch_execz .LBB186_417
; %bb.410:                              ;   in Loop: Header=BB186_12 Depth=1
	v_mov_b64_e32 v[14:15], 0x8000000000000000
	s_mov_b32 s44, exec_lo
	v_cmpx_ne_u16_e32 0x80, v19
	s_cbranch_execz .LBB186_416
; %bb.411:                              ;   in Loop: Header=BB186_12 Depth=1
	v_and_b32_e32 v20, 0xffff, v19
	v_mov_b64_e32 v[14:15], 0x7f80000100000000
	s_mov_b32 s45, exec_lo
	s_delay_alu instid0(VALU_DEP_2) | instskip(NEXT) | instid1(VALU_DEP_1)
	v_and_b32_e32 v19, 0x7f, v20
	v_cmpx_ne_u32_e32 0x7f, v19
	s_cbranch_execz .LBB186_415
; %bb.412:                              ;   in Loop: Header=BB186_12 Depth=1
	v_dual_lshrrev_b32 v14, 3, v19 :: v_dual_bitop2_b32 v52, 7, v20 bitop3:0x40
	s_mov_b32 s46, exec_lo
	v_cmpx_gt_u32_e32 8, v19
; %bb.413:                              ;   in Loop: Header=BB186_12 Depth=1
	s_delay_alu instid0(VALU_DEP_2) | instskip(NEXT) | instid1(VALU_DEP_1)
	v_clz_i32_u32_e32 v14, v52
	v_min_u32_e32 v14, 32, v14
	s_delay_alu instid0(VALU_DEP_1) | instskip(NEXT) | instid1(VALU_DEP_1)
	v_subrev_nc_u32_e32 v15, 28, v14
	v_lshlrev_b64_e32 v[20:21], v15, v[52:53]
	s_delay_alu instid0(VALU_DEP_1)
	v_dual_sub_nc_u32 v14, 29, v14 :: v_dual_bitop2_b32 v52, 7, v20 bitop3:0x40
; %bb.414:                              ;   in Loop: Header=BB186_12 Depth=1
	s_or_b32 exec_lo, exec_lo, s46
	s_delay_alu instid0(VALU_DEP_1) | instskip(NEXT) | instid1(VALU_DEP_2)
	v_dual_lshlrev_b32 v15, 16, v18 :: v_dual_lshlrev_b32 v18, 20, v52
	v_lshl_add_u32 v14, v14, 23, 0x3c000000
	s_delay_alu instid0(VALU_DEP_2) | instskip(NEXT) | instid1(VALU_DEP_1)
	v_and_b32_e32 v15, 0x80000000, v15
	v_or3_b32 v15, v18, v15, v14
	v_mov_b32_e32 v14, v53
.LBB186_415:                            ;   in Loop: Header=BB186_12 Depth=1
	s_or_b32 exec_lo, exec_lo, s45
.LBB186_416:                            ;   in Loop: Header=BB186_12 Depth=1
	s_delay_alu instid0(SALU_CYCLE_1)
	s_or_b32 exec_lo, exec_lo, s44
.LBB186_417:                            ;   in Loop: Header=BB186_12 Depth=1
	s_delay_alu instid0(SALU_CYCLE_1)
	s_or_b32 exec_lo, exec_lo, s43
	global_load_u16 v18, v[70:71], off offset:1540
	v_mov_b64_e32 v[20:21], 0
	s_wait_loadcnt 0x0
	v_and_b32_e32 v22, 0xffff, v18
	v_and_b32_e32 v18, 0xff, v18
	s_delay_alu instid0(VALU_DEP_1)
	v_cmp_ne_u16_e64 s5, 0, v18
	v_mov_b64_e32 v[18:19], 0
	s_wait_xcnt 0x0
	s_and_saveexec_b32 s43, s5
	s_cbranch_execz .LBB186_425
; %bb.418:                              ;   in Loop: Header=BB186_12 Depth=1
	v_and_b32_e32 v20, 0xff, v22
	s_delay_alu instid0(VALU_DEP_1)
	v_cmp_ne_u16_e64 s5, 0x80, v20
	v_mov_b64_e32 v[20:21], 0x80000000
	s_and_saveexec_b32 s44, s5
	s_cbranch_execz .LBB186_424
; %bb.419:                              ;   in Loop: Header=BB186_12 Depth=1
	v_mov_b64_e32 v[20:21], 0x7f800001
	v_and_b32_e32 v23, 0x7f, v22
	s_mov_b32 s45, exec_lo
	s_delay_alu instid0(VALU_DEP_1)
	v_cmpx_ne_u32_e32 0x7f, v23
	s_cbranch_execz .LBB186_423
; %bb.420:                              ;   in Loop: Header=BB186_12 Depth=1
	v_dual_lshrrev_b32 v20, 3, v23 :: v_dual_bitop2_b32 v52, 7, v22 bitop3:0x40
	s_mov_b32 s46, exec_lo
	v_cmpx_gt_u32_e32 8, v23
; %bb.421:                              ;   in Loop: Header=BB186_12 Depth=1
	s_delay_alu instid0(VALU_DEP_2) | instskip(NEXT) | instid1(VALU_DEP_1)
	v_clz_i32_u32_e32 v20, v52
	v_min_u32_e32 v20, 32, v20
	s_delay_alu instid0(VALU_DEP_1) | instskip(SKIP_1) | instid1(VALU_DEP_2)
	v_subrev_nc_u32_e32 v21, 28, v20
	v_sub_nc_u32_e32 v20, 29, v20
	v_lshlrev_b64_e32 v[24:25], v21, v[52:53]
	s_delay_alu instid0(VALU_DEP_1)
	v_and_b32_e32 v52, 7, v24
; %bb.422:                              ;   in Loop: Header=BB186_12 Depth=1
	s_or_b32 exec_lo, exec_lo, s46
	s_delay_alu instid0(VALU_DEP_1) | instskip(SKIP_1) | instid1(VALU_DEP_2)
	v_dual_lshlrev_b32 v21, 24, v22 :: v_dual_lshlrev_b32 v23, 20, v52
	v_lshl_add_u32 v20, v20, 23, 0x3c000000
	v_and_b32_e32 v21, 0x80000000, v21
	s_delay_alu instid0(VALU_DEP_1) | instskip(NEXT) | instid1(VALU_DEP_1)
	v_or3_b32 v52, v23, v21, v20
	v_mov_b64_e32 v[20:21], v[52:53]
.LBB186_423:                            ;   in Loop: Header=BB186_12 Depth=1
	s_or_b32 exec_lo, exec_lo, s45
.LBB186_424:                            ;   in Loop: Header=BB186_12 Depth=1
	s_delay_alu instid0(SALU_CYCLE_1)
	s_or_b32 exec_lo, exec_lo, s44
.LBB186_425:                            ;   in Loop: Header=BB186_12 Depth=1
	s_delay_alu instid0(SALU_CYCLE_1) | instskip(SKIP_2) | instid1(VALU_DEP_1)
	s_or_b32 exec_lo, exec_lo, s43
	v_lshrrev_b16 v23, 8, v22
	s_mov_b32 s43, exec_lo
	v_cmpx_ne_u16_e32 0, v23
	s_cbranch_execz .LBB186_433
; %bb.426:                              ;   in Loop: Header=BB186_12 Depth=1
	v_mov_b64_e32 v[18:19], 0x8000000000000000
	s_mov_b32 s44, exec_lo
	v_cmpx_ne_u16_e32 0x80, v23
	s_cbranch_execz .LBB186_432
; %bb.427:                              ;   in Loop: Header=BB186_12 Depth=1
	v_and_b32_e32 v24, 0xffff, v23
	v_mov_b64_e32 v[18:19], 0x7f80000100000000
	s_mov_b32 s45, exec_lo
	s_delay_alu instid0(VALU_DEP_2) | instskip(NEXT) | instid1(VALU_DEP_1)
	v_and_b32_e32 v23, 0x7f, v24
	v_cmpx_ne_u32_e32 0x7f, v23
	s_cbranch_execz .LBB186_431
; %bb.428:                              ;   in Loop: Header=BB186_12 Depth=1
	v_dual_lshrrev_b32 v18, 3, v23 :: v_dual_bitop2_b32 v52, 7, v24 bitop3:0x40
	s_mov_b32 s46, exec_lo
	v_cmpx_gt_u32_e32 8, v23
; %bb.429:                              ;   in Loop: Header=BB186_12 Depth=1
	s_delay_alu instid0(VALU_DEP_2) | instskip(NEXT) | instid1(VALU_DEP_1)
	v_clz_i32_u32_e32 v18, v52
	v_min_u32_e32 v18, 32, v18
	s_delay_alu instid0(VALU_DEP_1) | instskip(NEXT) | instid1(VALU_DEP_1)
	v_subrev_nc_u32_e32 v19, 28, v18
	v_lshlrev_b64_e32 v[24:25], v19, v[52:53]
	s_delay_alu instid0(VALU_DEP_1)
	v_dual_sub_nc_u32 v18, 29, v18 :: v_dual_bitop2_b32 v52, 7, v24 bitop3:0x40
; %bb.430:                              ;   in Loop: Header=BB186_12 Depth=1
	s_or_b32 exec_lo, exec_lo, s46
	s_delay_alu instid0(VALU_DEP_1) | instskip(NEXT) | instid1(VALU_DEP_2)
	v_dual_lshlrev_b32 v19, 16, v22 :: v_dual_lshlrev_b32 v22, 20, v52
	v_lshl_add_u32 v18, v18, 23, 0x3c000000
	s_delay_alu instid0(VALU_DEP_2) | instskip(NEXT) | instid1(VALU_DEP_1)
	v_and_b32_e32 v19, 0x80000000, v19
	v_or3_b32 v19, v22, v19, v18
	v_mov_b32_e32 v18, v53
.LBB186_431:                            ;   in Loop: Header=BB186_12 Depth=1
	s_or_b32 exec_lo, exec_lo, s45
.LBB186_432:                            ;   in Loop: Header=BB186_12 Depth=1
	s_delay_alu instid0(SALU_CYCLE_1)
	s_or_b32 exec_lo, exec_lo, s44
.LBB186_433:                            ;   in Loop: Header=BB186_12 Depth=1
	s_delay_alu instid0(SALU_CYCLE_1)
	s_or_b32 exec_lo, exec_lo, s43
	global_load_u16 v22, v[70:71], off offset:1544
	v_mov_b64_e32 v[24:25], 0
	s_wait_loadcnt 0x0
	v_and_b32_e32 v26, 0xffff, v22
	v_and_b32_e32 v22, 0xff, v22
	s_delay_alu instid0(VALU_DEP_1)
	v_cmp_ne_u16_e64 s5, 0, v22
	v_mov_b64_e32 v[22:23], 0
	s_wait_xcnt 0x0
	s_and_saveexec_b32 s43, s5
	s_cbranch_execz .LBB186_441
; %bb.434:                              ;   in Loop: Header=BB186_12 Depth=1
	v_and_b32_e32 v24, 0xff, v26
	s_delay_alu instid0(VALU_DEP_1)
	v_cmp_ne_u16_e64 s5, 0x80, v24
	v_mov_b64_e32 v[24:25], 0x80000000
	s_and_saveexec_b32 s44, s5
	s_cbranch_execz .LBB186_440
; %bb.435:                              ;   in Loop: Header=BB186_12 Depth=1
	v_mov_b64_e32 v[24:25], 0x7f800001
	v_and_b32_e32 v27, 0x7f, v26
	s_mov_b32 s45, exec_lo
	s_delay_alu instid0(VALU_DEP_1)
	v_cmpx_ne_u32_e32 0x7f, v27
	s_cbranch_execz .LBB186_439
; %bb.436:                              ;   in Loop: Header=BB186_12 Depth=1
	v_dual_lshrrev_b32 v24, 3, v27 :: v_dual_bitop2_b32 v52, 7, v26 bitop3:0x40
	s_mov_b32 s46, exec_lo
	v_cmpx_gt_u32_e32 8, v27
; %bb.437:                              ;   in Loop: Header=BB186_12 Depth=1
	s_delay_alu instid0(VALU_DEP_2) | instskip(NEXT) | instid1(VALU_DEP_1)
	v_clz_i32_u32_e32 v24, v52
	v_min_u32_e32 v24, 32, v24
	s_delay_alu instid0(VALU_DEP_1) | instskip(SKIP_1) | instid1(VALU_DEP_2)
	v_subrev_nc_u32_e32 v25, 28, v24
	v_sub_nc_u32_e32 v24, 29, v24
	v_lshlrev_b64_e32 v[28:29], v25, v[52:53]
	s_delay_alu instid0(VALU_DEP_1)
	v_and_b32_e32 v52, 7, v28
; %bb.438:                              ;   in Loop: Header=BB186_12 Depth=1
	s_or_b32 exec_lo, exec_lo, s46
	s_delay_alu instid0(VALU_DEP_1) | instskip(SKIP_1) | instid1(VALU_DEP_2)
	v_dual_lshlrev_b32 v25, 24, v26 :: v_dual_lshlrev_b32 v27, 20, v52
	v_lshl_add_u32 v24, v24, 23, 0x3c000000
	v_and_b32_e32 v25, 0x80000000, v25
	s_delay_alu instid0(VALU_DEP_1) | instskip(NEXT) | instid1(VALU_DEP_1)
	v_or3_b32 v52, v27, v25, v24
	v_mov_b64_e32 v[24:25], v[52:53]
.LBB186_439:                            ;   in Loop: Header=BB186_12 Depth=1
	s_or_b32 exec_lo, exec_lo, s45
.LBB186_440:                            ;   in Loop: Header=BB186_12 Depth=1
	s_delay_alu instid0(SALU_CYCLE_1)
	s_or_b32 exec_lo, exec_lo, s44
.LBB186_441:                            ;   in Loop: Header=BB186_12 Depth=1
	s_delay_alu instid0(SALU_CYCLE_1) | instskip(SKIP_2) | instid1(VALU_DEP_1)
	s_or_b32 exec_lo, exec_lo, s43
	v_lshrrev_b16 v27, 8, v26
	s_mov_b32 s43, exec_lo
	v_cmpx_ne_u16_e32 0, v27
	s_cbranch_execz .LBB186_449
; %bb.442:                              ;   in Loop: Header=BB186_12 Depth=1
	v_mov_b64_e32 v[22:23], 0x8000000000000000
	s_mov_b32 s44, exec_lo
	v_cmpx_ne_u16_e32 0x80, v27
	s_cbranch_execz .LBB186_448
; %bb.443:                              ;   in Loop: Header=BB186_12 Depth=1
	v_and_b32_e32 v28, 0xffff, v27
	v_mov_b64_e32 v[22:23], 0x7f80000100000000
	s_mov_b32 s45, exec_lo
	s_delay_alu instid0(VALU_DEP_2) | instskip(NEXT) | instid1(VALU_DEP_1)
	v_and_b32_e32 v27, 0x7f, v28
	v_cmpx_ne_u32_e32 0x7f, v27
	s_cbranch_execz .LBB186_447
; %bb.444:                              ;   in Loop: Header=BB186_12 Depth=1
	v_dual_lshrrev_b32 v22, 3, v27 :: v_dual_bitop2_b32 v52, 7, v28 bitop3:0x40
	s_mov_b32 s46, exec_lo
	v_cmpx_gt_u32_e32 8, v27
; %bb.445:                              ;   in Loop: Header=BB186_12 Depth=1
	s_delay_alu instid0(VALU_DEP_2) | instskip(NEXT) | instid1(VALU_DEP_1)
	v_clz_i32_u32_e32 v22, v52
	v_min_u32_e32 v22, 32, v22
	s_delay_alu instid0(VALU_DEP_1) | instskip(NEXT) | instid1(VALU_DEP_1)
	v_subrev_nc_u32_e32 v23, 28, v22
	v_lshlrev_b64_e32 v[28:29], v23, v[52:53]
	s_delay_alu instid0(VALU_DEP_1)
	v_dual_sub_nc_u32 v22, 29, v22 :: v_dual_bitop2_b32 v52, 7, v28 bitop3:0x40
; %bb.446:                              ;   in Loop: Header=BB186_12 Depth=1
	s_or_b32 exec_lo, exec_lo, s46
	s_delay_alu instid0(VALU_DEP_1) | instskip(NEXT) | instid1(VALU_DEP_2)
	v_dual_lshlrev_b32 v23, 16, v26 :: v_dual_lshlrev_b32 v26, 20, v52
	v_lshl_add_u32 v22, v22, 23, 0x3c000000
	s_delay_alu instid0(VALU_DEP_2) | instskip(NEXT) | instid1(VALU_DEP_1)
	v_and_b32_e32 v23, 0x80000000, v23
	v_or3_b32 v23, v26, v23, v22
	v_mov_b32_e32 v22, v53
.LBB186_447:                            ;   in Loop: Header=BB186_12 Depth=1
	s_or_b32 exec_lo, exec_lo, s45
.LBB186_448:                            ;   in Loop: Header=BB186_12 Depth=1
	s_delay_alu instid0(SALU_CYCLE_1)
	s_or_b32 exec_lo, exec_lo, s44
.LBB186_449:                            ;   in Loop: Header=BB186_12 Depth=1
	s_delay_alu instid0(SALU_CYCLE_1)
	s_or_b32 exec_lo, exec_lo, s43
	global_load_u16 v27, v[70:71], off offset:1548
	v_mov_b64_e32 v[28:29], 0
	v_mov_b64_e32 v[30:31], 0
	s_mov_b32 s43, exec_lo
	s_wait_loadcnt 0x0
	v_and_b32_e32 v26, 0xffff, v27
	v_and_b32_e32 v27, 0xff, v27
	s_wait_xcnt 0x0
	s_delay_alu instid0(VALU_DEP_1)
	v_cmpx_ne_u16_e32 0, v27
	s_cbranch_execz .LBB186_457
; %bb.450:                              ;   in Loop: Header=BB186_12 Depth=1
	v_mov_b64_e32 v[30:31], 0x80000000
	v_and_b32_e32 v27, 0xff, v26
	s_mov_b32 s44, exec_lo
	s_delay_alu instid0(VALU_DEP_1)
	v_cmpx_ne_u16_e32 0x80, v27
	s_cbranch_execz .LBB186_456
; %bb.451:                              ;   in Loop: Header=BB186_12 Depth=1
	v_mov_b64_e32 v[30:31], 0x7f800001
	v_and_b32_e32 v32, 0x7f, v26
	s_mov_b32 s45, exec_lo
	s_delay_alu instid0(VALU_DEP_1)
	v_cmpx_ne_u32_e32 0x7f, v32
	s_cbranch_execz .LBB186_455
; %bb.452:                              ;   in Loop: Header=BB186_12 Depth=1
	v_dual_lshrrev_b32 v27, 3, v32 :: v_dual_bitop2_b32 v52, 7, v26 bitop3:0x40
	s_mov_b32 s46, exec_lo
	v_cmpx_gt_u32_e32 8, v32
; %bb.453:                              ;   in Loop: Header=BB186_12 Depth=1
	s_delay_alu instid0(VALU_DEP_2) | instskip(NEXT) | instid1(VALU_DEP_1)
	v_clz_i32_u32_e32 v27, v52
	v_min_u32_e32 v27, 32, v27
	s_delay_alu instid0(VALU_DEP_1) | instskip(NEXT) | instid1(VALU_DEP_1)
	v_subrev_nc_u32_e32 v30, 28, v27
	v_lshlrev_b64_e32 v[30:31], v30, v[52:53]
	s_delay_alu instid0(VALU_DEP_1)
	v_dual_sub_nc_u32 v27, 29, v27 :: v_dual_bitop2_b32 v52, 7, v30 bitop3:0x40
; %bb.454:                              ;   in Loop: Header=BB186_12 Depth=1
	s_or_b32 exec_lo, exec_lo, s46
	s_delay_alu instid0(VALU_DEP_1) | instskip(NEXT) | instid1(VALU_DEP_2)
	v_dual_lshlrev_b32 v30, 24, v26 :: v_dual_lshlrev_b32 v31, 20, v52
	v_lshl_add_u32 v27, v27, 23, 0x3c000000
	s_delay_alu instid0(VALU_DEP_2) | instskip(NEXT) | instid1(VALU_DEP_1)
	v_and_b32_e32 v30, 0x80000000, v30
	v_or3_b32 v52, v31, v30, v27
	s_delay_alu instid0(VALU_DEP_1)
	v_mov_b64_e32 v[30:31], v[52:53]
.LBB186_455:                            ;   in Loop: Header=BB186_12 Depth=1
	s_or_b32 exec_lo, exec_lo, s45
.LBB186_456:                            ;   in Loop: Header=BB186_12 Depth=1
	s_delay_alu instid0(SALU_CYCLE_1)
	s_or_b32 exec_lo, exec_lo, s44
.LBB186_457:                            ;   in Loop: Header=BB186_12 Depth=1
	s_delay_alu instid0(SALU_CYCLE_1) | instskip(SKIP_2) | instid1(VALU_DEP_1)
	s_or_b32 exec_lo, exec_lo, s43
	v_lshrrev_b16 v27, 8, v26
	s_mov_b32 s43, exec_lo
	v_cmpx_ne_u16_e32 0, v27
	s_cbranch_execz .LBB186_465
; %bb.458:                              ;   in Loop: Header=BB186_12 Depth=1
	v_mov_b64_e32 v[28:29], 0x8000000000000000
	s_mov_b32 s44, exec_lo
	v_cmpx_ne_u16_e32 0x80, v27
	s_cbranch_execz .LBB186_464
; %bb.459:                              ;   in Loop: Header=BB186_12 Depth=1
	v_and_b32_e32 v27, 0xffff, v27
	v_mov_b64_e32 v[28:29], 0x7f80000100000000
	s_mov_b32 s45, exec_lo
	s_delay_alu instid0(VALU_DEP_2) | instskip(NEXT) | instid1(VALU_DEP_1)
	v_and_b32_e32 v32, 0x7f, v27
	v_cmpx_ne_u32_e32 0x7f, v32
	s_cbranch_execz .LBB186_463
; %bb.460:                              ;   in Loop: Header=BB186_12 Depth=1
	v_dual_lshrrev_b32 v27, 3, v32 :: v_dual_bitop2_b32 v52, 7, v27 bitop3:0x40
	s_mov_b32 s46, exec_lo
	v_cmpx_gt_u32_e32 8, v32
; %bb.461:                              ;   in Loop: Header=BB186_12 Depth=1
	s_delay_alu instid0(VALU_DEP_2) | instskip(NEXT) | instid1(VALU_DEP_1)
	v_clz_i32_u32_e32 v27, v52
	v_min_u32_e32 v27, 32, v27
	s_delay_alu instid0(VALU_DEP_1) | instskip(NEXT) | instid1(VALU_DEP_1)
	v_subrev_nc_u32_e32 v28, 28, v27
	v_lshlrev_b64_e32 v[28:29], v28, v[52:53]
	s_delay_alu instid0(VALU_DEP_1)
	v_dual_sub_nc_u32 v27, 29, v27 :: v_dual_bitop2_b32 v52, 7, v28 bitop3:0x40
; %bb.462:                              ;   in Loop: Header=BB186_12 Depth=1
	s_or_b32 exec_lo, exec_lo, s46
	s_delay_alu instid0(VALU_DEP_1) | instskip(NEXT) | instid1(VALU_DEP_2)
	v_dual_lshlrev_b32 v26, 16, v26 :: v_dual_lshlrev_b32 v28, 20, v52
	v_lshl_add_u32 v27, v27, 23, 0x3c000000
	s_delay_alu instid0(VALU_DEP_2) | instskip(NEXT) | instid1(VALU_DEP_1)
	v_and_b32_e32 v26, 0x80000000, v26
	v_or3_b32 v29, v28, v26, v27
	v_mov_b32_e32 v28, v53
.LBB186_463:                            ;   in Loop: Header=BB186_12 Depth=1
	s_or_b32 exec_lo, exec_lo, s45
.LBB186_464:                            ;   in Loop: Header=BB186_12 Depth=1
	s_delay_alu instid0(SALU_CYCLE_1)
	s_or_b32 exec_lo, exec_lo, s44
.LBB186_465:                            ;   in Loop: Header=BB186_12 Depth=1
	s_delay_alu instid0(SALU_CYCLE_1)
	s_or_b32 exec_lo, exec_lo, s43
	global_load_u16 v26, v[70:71], off offset:1792
	v_mov_b64_e32 v[32:33], 0
	s_wait_loadcnt 0x0
	v_and_b32_e32 v34, 0xffff, v26
	v_and_b32_e32 v26, 0xff, v26
	s_delay_alu instid0(VALU_DEP_1)
	v_cmp_ne_u16_e64 s5, 0, v26
	v_mov_b64_e32 v[26:27], 0
	s_wait_xcnt 0x0
	s_and_saveexec_b32 s43, s5
	s_cbranch_execz .LBB186_473
; %bb.466:                              ;   in Loop: Header=BB186_12 Depth=1
	v_and_b32_e32 v32, 0xff, v34
	s_delay_alu instid0(VALU_DEP_1)
	v_cmp_ne_u16_e64 s5, 0x80, v32
	v_mov_b64_e32 v[32:33], 0x80000000
	s_and_saveexec_b32 s44, s5
	s_cbranch_execz .LBB186_472
; %bb.467:                              ;   in Loop: Header=BB186_12 Depth=1
	v_mov_b64_e32 v[32:33], 0x7f800001
	v_and_b32_e32 v35, 0x7f, v34
	s_mov_b32 s45, exec_lo
	s_delay_alu instid0(VALU_DEP_1)
	v_cmpx_ne_u32_e32 0x7f, v35
	s_cbranch_execz .LBB186_471
; %bb.468:                              ;   in Loop: Header=BB186_12 Depth=1
	v_dual_lshrrev_b32 v32, 3, v35 :: v_dual_bitop2_b32 v52, 7, v34 bitop3:0x40
	s_mov_b32 s46, exec_lo
	v_cmpx_gt_u32_e32 8, v35
; %bb.469:                              ;   in Loop: Header=BB186_12 Depth=1
	s_delay_alu instid0(VALU_DEP_2) | instskip(NEXT) | instid1(VALU_DEP_1)
	v_clz_i32_u32_e32 v32, v52
	v_min_u32_e32 v32, 32, v32
	s_delay_alu instid0(VALU_DEP_1) | instskip(SKIP_1) | instid1(VALU_DEP_2)
	v_subrev_nc_u32_e32 v33, 28, v32
	v_sub_nc_u32_e32 v32, 29, v32
	v_lshlrev_b64_e32 v[36:37], v33, v[52:53]
	s_delay_alu instid0(VALU_DEP_1)
	v_and_b32_e32 v52, 7, v36
; %bb.470:                              ;   in Loop: Header=BB186_12 Depth=1
	s_or_b32 exec_lo, exec_lo, s46
	s_delay_alu instid0(VALU_DEP_1) | instskip(SKIP_1) | instid1(VALU_DEP_2)
	v_dual_lshlrev_b32 v33, 24, v34 :: v_dual_lshlrev_b32 v35, 20, v52
	v_lshl_add_u32 v32, v32, 23, 0x3c000000
	v_and_b32_e32 v33, 0x80000000, v33
	s_delay_alu instid0(VALU_DEP_1) | instskip(NEXT) | instid1(VALU_DEP_1)
	v_or3_b32 v52, v35, v33, v32
	v_mov_b64_e32 v[32:33], v[52:53]
.LBB186_471:                            ;   in Loop: Header=BB186_12 Depth=1
	s_or_b32 exec_lo, exec_lo, s45
.LBB186_472:                            ;   in Loop: Header=BB186_12 Depth=1
	s_delay_alu instid0(SALU_CYCLE_1)
	s_or_b32 exec_lo, exec_lo, s44
.LBB186_473:                            ;   in Loop: Header=BB186_12 Depth=1
	s_delay_alu instid0(SALU_CYCLE_1) | instskip(SKIP_2) | instid1(VALU_DEP_1)
	s_or_b32 exec_lo, exec_lo, s43
	v_lshrrev_b16 v35, 8, v34
	s_mov_b32 s43, exec_lo
	v_cmpx_ne_u16_e32 0, v35
	s_cbranch_execz .LBB186_481
; %bb.474:                              ;   in Loop: Header=BB186_12 Depth=1
	v_mov_b64_e32 v[26:27], 0x8000000000000000
	s_mov_b32 s44, exec_lo
	v_cmpx_ne_u16_e32 0x80, v35
	s_cbranch_execz .LBB186_480
; %bb.475:                              ;   in Loop: Header=BB186_12 Depth=1
	v_and_b32_e32 v36, 0xffff, v35
	v_mov_b64_e32 v[26:27], 0x7f80000100000000
	s_mov_b32 s45, exec_lo
	s_delay_alu instid0(VALU_DEP_2) | instskip(NEXT) | instid1(VALU_DEP_1)
	v_and_b32_e32 v35, 0x7f, v36
	v_cmpx_ne_u32_e32 0x7f, v35
	s_cbranch_execz .LBB186_479
; %bb.476:                              ;   in Loop: Header=BB186_12 Depth=1
	v_dual_lshrrev_b32 v26, 3, v35 :: v_dual_bitop2_b32 v52, 7, v36 bitop3:0x40
	s_mov_b32 s46, exec_lo
	v_cmpx_gt_u32_e32 8, v35
; %bb.477:                              ;   in Loop: Header=BB186_12 Depth=1
	s_delay_alu instid0(VALU_DEP_2) | instskip(NEXT) | instid1(VALU_DEP_1)
	v_clz_i32_u32_e32 v26, v52
	v_min_u32_e32 v26, 32, v26
	s_delay_alu instid0(VALU_DEP_1) | instskip(NEXT) | instid1(VALU_DEP_1)
	v_subrev_nc_u32_e32 v27, 28, v26
	v_lshlrev_b64_e32 v[36:37], v27, v[52:53]
	s_delay_alu instid0(VALU_DEP_1)
	v_dual_sub_nc_u32 v26, 29, v26 :: v_dual_bitop2_b32 v52, 7, v36 bitop3:0x40
; %bb.478:                              ;   in Loop: Header=BB186_12 Depth=1
	s_or_b32 exec_lo, exec_lo, s46
	s_delay_alu instid0(VALU_DEP_1) | instskip(NEXT) | instid1(VALU_DEP_2)
	v_dual_lshlrev_b32 v27, 16, v34 :: v_dual_lshlrev_b32 v34, 20, v52
	v_lshl_add_u32 v26, v26, 23, 0x3c000000
	s_delay_alu instid0(VALU_DEP_2) | instskip(NEXT) | instid1(VALU_DEP_1)
	v_and_b32_e32 v27, 0x80000000, v27
	v_or3_b32 v27, v34, v27, v26
	v_mov_b32_e32 v26, v53
.LBB186_479:                            ;   in Loop: Header=BB186_12 Depth=1
	s_or_b32 exec_lo, exec_lo, s45
.LBB186_480:                            ;   in Loop: Header=BB186_12 Depth=1
	s_delay_alu instid0(SALU_CYCLE_1)
	s_or_b32 exec_lo, exec_lo, s44
.LBB186_481:                            ;   in Loop: Header=BB186_12 Depth=1
	s_delay_alu instid0(SALU_CYCLE_1)
	s_or_b32 exec_lo, exec_lo, s43
	global_load_u16 v35, v[70:71], off offset:1796
	v_mov_b64_e32 v[82:83], 0
	v_mov_b64_e32 v[76:77], 0
	s_mov_b32 s43, exec_lo
	s_wait_loadcnt 0x0
	v_and_b32_e32 v34, 0xffff, v35
	v_and_b32_e32 v35, 0xff, v35
	s_wait_xcnt 0x0
	s_delay_alu instid0(VALU_DEP_1)
	v_cmpx_ne_u16_e32 0, v35
	s_cbranch_execz .LBB186_489
; %bb.482:                              ;   in Loop: Header=BB186_12 Depth=1
	v_mov_b64_e32 v[76:77], 0x80000000
	v_and_b32_e32 v35, 0xff, v34
	s_mov_b32 s44, exec_lo
	s_delay_alu instid0(VALU_DEP_1)
	v_cmpx_ne_u16_e32 0x80, v35
	s_cbranch_execz .LBB186_488
; %bb.483:                              ;   in Loop: Header=BB186_12 Depth=1
	v_mov_b64_e32 v[76:77], 0x7f800001
	v_and_b32_e32 v36, 0x7f, v34
	s_mov_b32 s45, exec_lo
	s_delay_alu instid0(VALU_DEP_1)
	v_cmpx_ne_u32_e32 0x7f, v36
	s_cbranch_execz .LBB186_487
; %bb.484:                              ;   in Loop: Header=BB186_12 Depth=1
	v_dual_lshrrev_b32 v35, 3, v36 :: v_dual_bitop2_b32 v52, 7, v34 bitop3:0x40
	s_mov_b32 s46, exec_lo
	v_cmpx_gt_u32_e32 8, v36
; %bb.485:                              ;   in Loop: Header=BB186_12 Depth=1
	s_delay_alu instid0(VALU_DEP_2) | instskip(NEXT) | instid1(VALU_DEP_1)
	v_clz_i32_u32_e32 v35, v52
	v_min_u32_e32 v35, 32, v35
	s_delay_alu instid0(VALU_DEP_1) | instskip(NEXT) | instid1(VALU_DEP_1)
	v_subrev_nc_u32_e32 v36, 28, v35
	v_lshlrev_b64_e32 v[36:37], v36, v[52:53]
	s_delay_alu instid0(VALU_DEP_1)
	v_dual_sub_nc_u32 v35, 29, v35 :: v_dual_bitop2_b32 v52, 7, v36 bitop3:0x40
; %bb.486:                              ;   in Loop: Header=BB186_12 Depth=1
	s_or_b32 exec_lo, exec_lo, s46
	s_delay_alu instid0(VALU_DEP_1) | instskip(NEXT) | instid1(VALU_DEP_2)
	v_dual_lshlrev_b32 v36, 24, v34 :: v_dual_lshlrev_b32 v37, 20, v52
	v_lshl_add_u32 v35, v35, 23, 0x3c000000
	s_delay_alu instid0(VALU_DEP_2) | instskip(NEXT) | instid1(VALU_DEP_1)
	v_and_b32_e32 v36, 0x80000000, v36
	v_or3_b32 v52, v37, v36, v35
	s_delay_alu instid0(VALU_DEP_1)
	v_mov_b64_e32 v[76:77], v[52:53]
.LBB186_487:                            ;   in Loop: Header=BB186_12 Depth=1
	s_or_b32 exec_lo, exec_lo, s45
.LBB186_488:                            ;   in Loop: Header=BB186_12 Depth=1
	s_delay_alu instid0(SALU_CYCLE_1)
	s_or_b32 exec_lo, exec_lo, s44
.LBB186_489:                            ;   in Loop: Header=BB186_12 Depth=1
	s_delay_alu instid0(SALU_CYCLE_1) | instskip(SKIP_2) | instid1(VALU_DEP_1)
	s_or_b32 exec_lo, exec_lo, s43
	v_lshrrev_b16 v35, 8, v34
	s_mov_b32 s43, exec_lo
	v_cmpx_ne_u16_e32 0, v35
	s_cbranch_execz .LBB186_497
; %bb.490:                              ;   in Loop: Header=BB186_12 Depth=1
	v_mov_b64_e32 v[82:83], 0x8000000000000000
	s_mov_b32 s44, exec_lo
	v_cmpx_ne_u16_e32 0x80, v35
	s_cbranch_execz .LBB186_496
; %bb.491:                              ;   in Loop: Header=BB186_12 Depth=1
	v_and_b32_e32 v35, 0xffff, v35
	v_mov_b64_e32 v[82:83], 0x7f80000100000000
	s_mov_b32 s45, exec_lo
	s_delay_alu instid0(VALU_DEP_2) | instskip(NEXT) | instid1(VALU_DEP_1)
	v_and_b32_e32 v36, 0x7f, v35
	v_cmpx_ne_u32_e32 0x7f, v36
	s_cbranch_execz .LBB186_495
; %bb.492:                              ;   in Loop: Header=BB186_12 Depth=1
	v_dual_lshrrev_b32 v35, 3, v36 :: v_dual_bitop2_b32 v52, 7, v35 bitop3:0x40
	s_mov_b32 s46, exec_lo
	v_cmpx_gt_u32_e32 8, v36
; %bb.493:                              ;   in Loop: Header=BB186_12 Depth=1
	s_delay_alu instid0(VALU_DEP_2) | instskip(NEXT) | instid1(VALU_DEP_1)
	v_clz_i32_u32_e32 v35, v52
	v_min_u32_e32 v35, 32, v35
	s_delay_alu instid0(VALU_DEP_1) | instskip(NEXT) | instid1(VALU_DEP_1)
	v_subrev_nc_u32_e32 v36, 28, v35
	v_lshlrev_b64_e32 v[36:37], v36, v[52:53]
	s_delay_alu instid0(VALU_DEP_1)
	v_dual_sub_nc_u32 v35, 29, v35 :: v_dual_bitop2_b32 v52, 7, v36 bitop3:0x40
; %bb.494:                              ;   in Loop: Header=BB186_12 Depth=1
	s_or_b32 exec_lo, exec_lo, s46
	s_delay_alu instid0(VALU_DEP_1) | instskip(NEXT) | instid1(VALU_DEP_2)
	v_dual_lshlrev_b32 v34, 16, v34 :: v_dual_lshlrev_b32 v36, 20, v52
	v_lshl_add_u32 v35, v35, 23, 0x3c000000
	v_mov_b32_e32 v82, v53
	s_delay_alu instid0(VALU_DEP_3) | instskip(NEXT) | instid1(VALU_DEP_1)
	v_and_b32_e32 v34, 0x80000000, v34
	v_or3_b32 v83, v36, v34, v35
.LBB186_495:                            ;   in Loop: Header=BB186_12 Depth=1
	s_or_b32 exec_lo, exec_lo, s45
.LBB186_496:                            ;   in Loop: Header=BB186_12 Depth=1
	s_delay_alu instid0(SALU_CYCLE_1)
	s_or_b32 exec_lo, exec_lo, s44
.LBB186_497:                            ;   in Loop: Header=BB186_12 Depth=1
	s_delay_alu instid0(SALU_CYCLE_1)
	s_or_b32 exec_lo, exec_lo, s43
	global_load_u16 v35, v[70:71], off offset:1800
	v_mov_b64_e32 v[38:39], 0
	v_mov_b64_e32 v[40:41], 0
	s_mov_b32 s43, exec_lo
	s_wait_loadcnt 0x0
	v_and_b32_e32 v34, 0xffff, v35
	v_and_b32_e32 v35, 0xff, v35
	s_wait_xcnt 0x0
	s_delay_alu instid0(VALU_DEP_1)
	v_cmpx_ne_u16_e32 0, v35
	s_cbranch_execz .LBB186_505
; %bb.498:                              ;   in Loop: Header=BB186_12 Depth=1
	v_mov_b64_e32 v[40:41], 0x80000000
	v_and_b32_e32 v35, 0xff, v34
	s_mov_b32 s44, exec_lo
	s_delay_alu instid0(VALU_DEP_1)
	v_cmpx_ne_u16_e32 0x80, v35
	s_cbranch_execz .LBB186_504
; %bb.499:                              ;   in Loop: Header=BB186_12 Depth=1
	v_mov_b64_e32 v[40:41], 0x7f800001
	v_and_b32_e32 v36, 0x7f, v34
	s_mov_b32 s45, exec_lo
	s_delay_alu instid0(VALU_DEP_1)
	v_cmpx_ne_u32_e32 0x7f, v36
	s_cbranch_execz .LBB186_503
; %bb.500:                              ;   in Loop: Header=BB186_12 Depth=1
	v_dual_lshrrev_b32 v35, 3, v36 :: v_dual_bitop2_b32 v52, 7, v34 bitop3:0x40
	s_mov_b32 s46, exec_lo
	v_cmpx_gt_u32_e32 8, v36
; %bb.501:                              ;   in Loop: Header=BB186_12 Depth=1
	s_delay_alu instid0(VALU_DEP_2) | instskip(NEXT) | instid1(VALU_DEP_1)
	v_clz_i32_u32_e32 v35, v52
	v_min_u32_e32 v35, 32, v35
	s_delay_alu instid0(VALU_DEP_1) | instskip(NEXT) | instid1(VALU_DEP_1)
	v_subrev_nc_u32_e32 v36, 28, v35
	v_lshlrev_b64_e32 v[36:37], v36, v[52:53]
	s_delay_alu instid0(VALU_DEP_1)
	v_dual_sub_nc_u32 v35, 29, v35 :: v_dual_bitop2_b32 v52, 7, v36 bitop3:0x40
; %bb.502:                              ;   in Loop: Header=BB186_12 Depth=1
	s_or_b32 exec_lo, exec_lo, s46
	s_delay_alu instid0(VALU_DEP_1) | instskip(NEXT) | instid1(VALU_DEP_2)
	v_dual_lshlrev_b32 v36, 24, v34 :: v_dual_lshlrev_b32 v37, 20, v52
	v_lshl_add_u32 v35, v35, 23, 0x3c000000
	s_delay_alu instid0(VALU_DEP_2) | instskip(NEXT) | instid1(VALU_DEP_1)
	v_and_b32_e32 v36, 0x80000000, v36
	v_or3_b32 v52, v37, v36, v35
	s_delay_alu instid0(VALU_DEP_1)
	v_mov_b64_e32 v[40:41], v[52:53]
.LBB186_503:                            ;   in Loop: Header=BB186_12 Depth=1
	s_or_b32 exec_lo, exec_lo, s45
.LBB186_504:                            ;   in Loop: Header=BB186_12 Depth=1
	s_delay_alu instid0(SALU_CYCLE_1)
	s_or_b32 exec_lo, exec_lo, s44
.LBB186_505:                            ;   in Loop: Header=BB186_12 Depth=1
	s_delay_alu instid0(SALU_CYCLE_1) | instskip(SKIP_2) | instid1(VALU_DEP_1)
	s_or_b32 exec_lo, exec_lo, s43
	v_lshrrev_b16 v35, 8, v34
	s_mov_b32 s43, exec_lo
	v_cmpx_ne_u16_e32 0, v35
	s_cbranch_execz .LBB186_513
; %bb.506:                              ;   in Loop: Header=BB186_12 Depth=1
	v_mov_b64_e32 v[38:39], 0x8000000000000000
	s_mov_b32 s44, exec_lo
	v_cmpx_ne_u16_e32 0x80, v35
	s_cbranch_execz .LBB186_512
; %bb.507:                              ;   in Loop: Header=BB186_12 Depth=1
	v_and_b32_e32 v35, 0xffff, v35
	v_mov_b64_e32 v[38:39], 0x7f80000100000000
	s_mov_b32 s45, exec_lo
	s_delay_alu instid0(VALU_DEP_2) | instskip(NEXT) | instid1(VALU_DEP_1)
	v_and_b32_e32 v36, 0x7f, v35
	v_cmpx_ne_u32_e32 0x7f, v36
	s_cbranch_execz .LBB186_511
; %bb.508:                              ;   in Loop: Header=BB186_12 Depth=1
	v_dual_lshrrev_b32 v35, 3, v36 :: v_dual_bitop2_b32 v52, 7, v35 bitop3:0x40
	s_mov_b32 s46, exec_lo
	v_cmpx_gt_u32_e32 8, v36
; %bb.509:                              ;   in Loop: Header=BB186_12 Depth=1
	s_delay_alu instid0(VALU_DEP_2) | instskip(NEXT) | instid1(VALU_DEP_1)
	v_clz_i32_u32_e32 v35, v52
	v_min_u32_e32 v35, 32, v35
	s_delay_alu instid0(VALU_DEP_1) | instskip(NEXT) | instid1(VALU_DEP_1)
	v_subrev_nc_u32_e32 v36, 28, v35
	v_lshlrev_b64_e32 v[36:37], v36, v[52:53]
	s_delay_alu instid0(VALU_DEP_1)
	v_dual_sub_nc_u32 v35, 29, v35 :: v_dual_bitop2_b32 v52, 7, v36 bitop3:0x40
; %bb.510:                              ;   in Loop: Header=BB186_12 Depth=1
	s_or_b32 exec_lo, exec_lo, s46
	s_delay_alu instid0(VALU_DEP_1) | instskip(NEXT) | instid1(VALU_DEP_2)
	v_dual_lshlrev_b32 v34, 16, v34 :: v_dual_lshlrev_b32 v36, 20, v52
	v_lshl_add_u32 v35, v35, 23, 0x3c000000
	v_mov_b32_e32 v38, v53
	s_delay_alu instid0(VALU_DEP_3) | instskip(NEXT) | instid1(VALU_DEP_1)
	v_and_b32_e32 v34, 0x80000000, v34
	v_or3_b32 v39, v36, v34, v35
.LBB186_511:                            ;   in Loop: Header=BB186_12 Depth=1
	s_or_b32 exec_lo, exec_lo, s45
.LBB186_512:                            ;   in Loop: Header=BB186_12 Depth=1
	s_delay_alu instid0(SALU_CYCLE_1)
	s_or_b32 exec_lo, exec_lo, s44
.LBB186_513:                            ;   in Loop: Header=BB186_12 Depth=1
	s_delay_alu instid0(SALU_CYCLE_1)
	s_or_b32 exec_lo, exec_lo, s43
	global_load_u16 v34, v[70:71], off offset:1804
	v_mov_b64_e32 v[36:37], 0
	s_wait_loadcnt 0x0
	v_and_b32_e32 v44, 0xffff, v34
	v_and_b32_e32 v34, 0xff, v34
	s_delay_alu instid0(VALU_DEP_1)
	v_cmp_ne_u16_e64 s5, 0, v34
	v_mov_b64_e32 v[34:35], 0
	s_wait_xcnt 0x0
	s_and_saveexec_b32 s43, s5
	s_cbranch_execz .LBB186_521
; %bb.514:                              ;   in Loop: Header=BB186_12 Depth=1
	v_and_b32_e32 v36, 0xff, v44
	s_delay_alu instid0(VALU_DEP_1)
	v_cmp_ne_u16_e64 s5, 0x80, v36
	v_mov_b64_e32 v[36:37], 0x80000000
	s_and_saveexec_b32 s44, s5
	s_cbranch_execz .LBB186_520
; %bb.515:                              ;   in Loop: Header=BB186_12 Depth=1
	v_mov_b64_e32 v[36:37], 0x7f800001
	v_and_b32_e32 v45, 0x7f, v44
	s_mov_b32 s45, exec_lo
	s_delay_alu instid0(VALU_DEP_1)
	v_cmpx_ne_u32_e32 0x7f, v45
	s_cbranch_execz .LBB186_519
; %bb.516:                              ;   in Loop: Header=BB186_12 Depth=1
	v_dual_lshrrev_b32 v36, 3, v45 :: v_dual_bitop2_b32 v52, 7, v44 bitop3:0x40
	s_mov_b32 s46, exec_lo
	v_cmpx_gt_u32_e32 8, v45
; %bb.517:                              ;   in Loop: Header=BB186_12 Depth=1
	s_delay_alu instid0(VALU_DEP_2) | instskip(NEXT) | instid1(VALU_DEP_1)
	v_clz_i32_u32_e32 v36, v52
	v_min_u32_e32 v36, 32, v36
	s_delay_alu instid0(VALU_DEP_1) | instskip(NEXT) | instid1(VALU_DEP_1)
	v_subrev_nc_u32_e32 v37, 28, v36
	v_lshlrev_b64_e32 v[70:71], v37, v[52:53]
	s_delay_alu instid0(VALU_DEP_1)
	v_dual_sub_nc_u32 v36, 29, v36 :: v_dual_bitop2_b32 v52, 7, v70 bitop3:0x40
; %bb.518:                              ;   in Loop: Header=BB186_12 Depth=1
	s_or_b32 exec_lo, exec_lo, s46
	v_lshlrev_b32_e32 v37, 24, v44
	s_delay_alu instid0(VALU_DEP_2) | instskip(NEXT) | instid1(VALU_DEP_3)
	v_lshlrev_b32_e32 v45, 20, v52
	v_lshl_add_u32 v36, v36, 23, 0x3c000000
	s_delay_alu instid0(VALU_DEP_3) | instskip(NEXT) | instid1(VALU_DEP_1)
	v_and_b32_e32 v37, 0x80000000, v37
	v_or3_b32 v52, v45, v37, v36
	s_delay_alu instid0(VALU_DEP_1)
	v_mov_b64_e32 v[36:37], v[52:53]
.LBB186_519:                            ;   in Loop: Header=BB186_12 Depth=1
	s_or_b32 exec_lo, exec_lo, s45
.LBB186_520:                            ;   in Loop: Header=BB186_12 Depth=1
	s_delay_alu instid0(SALU_CYCLE_1)
	s_or_b32 exec_lo, exec_lo, s44
.LBB186_521:                            ;   in Loop: Header=BB186_12 Depth=1
	s_delay_alu instid0(SALU_CYCLE_1) | instskip(SKIP_2) | instid1(VALU_DEP_1)
	s_or_b32 exec_lo, exec_lo, s43
	v_lshrrev_b16 v45, 8, v44
	s_mov_b32 s43, exec_lo
	v_cmpx_ne_u16_e32 0, v45
	s_cbranch_execz .LBB186_529
; %bb.522:                              ;   in Loop: Header=BB186_12 Depth=1
	v_mov_b64_e32 v[34:35], 0x8000000000000000
	s_mov_b32 s44, exec_lo
	v_cmpx_ne_u16_e32 0x80, v45
	s_cbranch_execz .LBB186_528
; %bb.523:                              ;   in Loop: Header=BB186_12 Depth=1
	v_and_b32_e32 v52, 0xffff, v45
	v_mov_b64_e32 v[34:35], 0x7f80000100000000
	s_mov_b32 s45, exec_lo
	s_delay_alu instid0(VALU_DEP_2) | instskip(NEXT) | instid1(VALU_DEP_1)
	v_and_b32_e32 v45, 0x7f, v52
	v_cmpx_ne_u32_e32 0x7f, v45
	s_cbranch_execz .LBB186_527
; %bb.524:                              ;   in Loop: Header=BB186_12 Depth=1
	v_dual_lshrrev_b32 v34, 3, v45 :: v_dual_bitop2_b32 v52, 7, v52 bitop3:0x40
	s_mov_b32 s46, exec_lo
	v_cmpx_gt_u32_e32 8, v45
; %bb.525:                              ;   in Loop: Header=BB186_12 Depth=1
	s_delay_alu instid0(VALU_DEP_2) | instskip(NEXT) | instid1(VALU_DEP_1)
	v_clz_i32_u32_e32 v34, v52
	v_min_u32_e32 v34, 32, v34
	s_delay_alu instid0(VALU_DEP_1) | instskip(SKIP_1) | instid1(VALU_DEP_2)
	v_subrev_nc_u32_e32 v35, 28, v34
	v_sub_nc_u32_e32 v34, 29, v34
	v_lshlrev_b64_e32 v[70:71], v35, v[52:53]
	s_delay_alu instid0(VALU_DEP_1)
	v_and_b32_e32 v52, 7, v70
; %bb.526:                              ;   in Loop: Header=BB186_12 Depth=1
	s_or_b32 exec_lo, exec_lo, s46
	v_lshlrev_b32_e32 v35, 16, v44
	s_delay_alu instid0(VALU_DEP_2) | instskip(SKIP_1) | instid1(VALU_DEP_3)
	v_lshlrev_b32_e32 v44, 20, v52
	v_lshl_add_u32 v34, v34, 23, 0x3c000000
	v_and_b32_e32 v35, 0x80000000, v35
	s_delay_alu instid0(VALU_DEP_1)
	v_or3_b32 v35, v44, v35, v34
	v_mov_b32_e32 v34, v53
.LBB186_527:                            ;   in Loop: Header=BB186_12 Depth=1
	s_or_b32 exec_lo, exec_lo, s45
.LBB186_528:                            ;   in Loop: Header=BB186_12 Depth=1
	s_delay_alu instid0(SALU_CYCLE_1)
	s_or_b32 exec_lo, exec_lo, s44
.LBB186_529:                            ;   in Loop: Header=BB186_12 Depth=1
	s_delay_alu instid0(SALU_CYCLE_1)
	s_or_b32 exec_lo, exec_lo, s43
	v_or_b32_e32 v39, v39, v41
	v_or_b32_e32 v38, v38, v40
	;; [unrolled: 1-line block ×6, first 2 shown]
	s_wait_kmcnt 0x0
	v_pk_mul_f32 v[70:71], s[6:7], v[38:39] op_sel_hi:[0,1]
	v_or_b32_e32 v39, v83, v77
	v_or_b32_e32 v38, v82, v76
	v_or_b32_e32 v9, v9, v11
	v_or_b32_e32 v8, v8, v10
	v_or_b32_e32 v1, v1, v65
	v_or_b32_e32 v0, v0, v64
	v_pk_mul_f32 v[82:83], s[6:7], v[38:39] op_sel_hi:[0,1]
	v_or_b32_e32 v39, v109, v111
	v_or_b32_e32 v38, v108, v110
	v_or_b32_e32 v5, v5, v7
	v_or_b32_e32 v4, v4, v6
	v_or_b32_e32 v13, v13, v73
	v_or_b32_e32 v12, v12, v72
	;; [unrolled: 7-line block ×3, first 2 shown]
	v_pk_mul_f32 v[62:63], s[6:7], v[38:39] op_sel_hi:[0,1]
	v_or_b32_e32 v39, v101, v103
	v_or_b32_e32 v38, v100, v102
	;; [unrolled: 1-line block ×4, first 2 shown]
	v_pk_mul_f32 v[60:61], s[6:7], v[34:35] op_sel_hi:[0,1]
	s_delay_alu instid0(VALU_DEP_4) | instskip(SKIP_4) | instid1(VALU_DEP_3)
	v_pk_mul_f32 v[64:65], s[6:7], v[38:39] op_sel_hi:[0,1]
	v_or_b32_e32 v39, v97, v99
	v_or_b32_e32 v38, v96, v98
	;; [unrolled: 1-line block ×4, first 2 shown]
	v_pk_mul_f32 v[66:67], s[6:7], v[38:39] op_sel_hi:[0,1]
	v_or_b32_e32 v39, v93, v95
	v_or_b32_e32 v38, v92, v94
	s_delay_alu instid0(VALU_DEP_1) | instskip(SKIP_2) | instid1(VALU_DEP_1)
	v_pk_mul_f32 v[68:69], s[6:7], v[38:39] op_sel_hi:[0,1]
	v_or_b32_e32 v39, v89, v91
	v_or_b32_e32 v38, v88, v90
	v_pk_mul_f32 v[72:73], s[6:7], v[38:39] op_sel_hi:[0,1]
	v_or_b32_e32 v39, v85, v87
	v_or_b32_e32 v38, v84, v86
	s_delay_alu instid0(VALU_DEP_1) | instskip(SKIP_4) | instid1(VALU_DEP_1)
	v_pk_mul_f32 v[74:75], s[6:7], v[38:39] op_sel_hi:[0,1]
	scratch_load_b64 v[38:39], off, off offset:64 th:TH_LOAD_LU ; 8-byte Folded Reload
	s_wait_loadcnt 0x0
	v_or_b32_e32 v39, v81, v39
	v_or_b32_e32 v38, v80, v38
	v_pk_mul_f32 v[78:79], s[6:7], v[38:39] op_sel_hi:[0,1]
	s_clause 0x1
	scratch_load_b64 v[38:39], off, off offset:48 th:TH_LOAD_LU
	scratch_load_b64 v[40:41], off, off offset:56 th:TH_LOAD_LU
	s_wait_loadcnt 0x0
	v_or_b32_e32 v39, v39, v41
	v_or_b32_e32 v38, v38, v40
	s_delay_alu instid0(VALU_DEP_1)
	v_pk_mul_f32 v[76:77], s[6:7], v[38:39] op_sel_hi:[0,1]
	s_clause 0x1
	scratch_load_b64 v[38:39], off, off offset:32 th:TH_LOAD_LU
	scratch_load_b64 v[40:41], off, off offset:40 th:TH_LOAD_LU
	s_wait_loadcnt 0x0
	v_or_b32_e32 v39, v39, v41
	v_or_b32_e32 v38, v38, v40
	s_delay_alu instid0(VALU_DEP_1)
	v_pk_mul_f32 v[80:81], s[6:7], v[38:39] op_sel_hi:[0,1]
	s_clause 0x1
	scratch_load_b64 v[38:39], off, off offset:16 th:TH_LOAD_LU
	scratch_load_b64 v[40:41], off, off offset:24 th:TH_LOAD_LU
	s_wait_loadcnt 0x0
	v_or_b32_e32 v39, v39, v41
	v_or_b32_e32 v38, v38, v40
	s_clause 0x1
	scratch_load_b64 v[40:41], off, off th:TH_LOAD_LU
	scratch_load_b64 v[44:45], off, off offset:8 th:TH_LOAD_LU
	v_pk_mul_f32 v[38:39], s[6:7], v[38:39] op_sel_hi:[0,1]
	v_or_b32_e32 v27, v27, v33
	s_delay_alu instid0(VALU_DEP_2) | instskip(NEXT) | instid1(VALU_DEP_3)
	v_dual_mul_f32 v35, v48, v38 :: v_dual_bitop2_b32 v33, v113, v115 bitop3:0x54
	v_mul_f32_e32 v36, v49, v39
	s_wait_loadcnt 0x0
	v_or_b32_e32 v41, v41, v45
	v_or_b32_e32 v40, v40, v44
	v_mbcnt_lo_u32_b32 v45, -1, 0
	s_delay_alu instid0(VALU_DEP_2) | instskip(SKIP_1) | instid1(VALU_DEP_2)
	v_pk_mul_f32 v[40:41], s[6:7], v[40:41] op_sel_hi:[0,1]
	v_or_b32_e32 v29, v29, v31
	v_dual_fmac_f32 v35, v46, v40 :: v_dual_bitop2_b32 v31, v117, v119 bitop3:0x54
	s_delay_alu instid0(VALU_DEP_3)
	v_fmac_f32_e32 v36, v47, v41
	scratch_load_b128 v[38:41], off, off offset:240 th:TH_LOAD_LU ; 16-byte Folded Reload
	v_or_b32_e32 v26, v26, v32
	v_or_b32_e32 v28, v28, v30
	;; [unrolled: 1-line block ×4, first 2 shown]
	s_delay_alu instid0(VALU_DEP_2) | instskip(NEXT) | instid1(VALU_DEP_2)
	v_pk_mul_f32 v[32:33], s[6:7], v[32:33] op_sel_hi:[0,1]
	v_pk_mul_f32 v[30:31], s[6:7], v[30:31] op_sel_hi:[0,1]
	s_wait_loadcnt 0x0
	v_dual_fmac_f32 v35, v38, v80 :: v_dual_fmac_f32 v36, v39, v81
	v_or_b32_e32 v23, v23, v25
	v_or_b32_e32 v22, v22, v24
	v_pk_mul_f32 v[28:29], s[6:7], v[28:29] op_sel_hi:[0,1]
	s_delay_alu instid0(VALU_DEP_4)
	v_dual_fmac_f32 v35, v40, v76 :: v_dual_fmac_f32 v36, v41, v77
	scratch_load_b128 v[38:41], off, off offset:224 th:TH_LOAD_LU ; 16-byte Folded Reload
	v_or_b32_e32 v19, v19, v21
	v_or_b32_e32 v18, v18, v20
	v_pk_mul_f32 v[22:23], s[6:7], v[22:23] op_sel_hi:[0,1]
	v_pk_mul_f32 v[26:27], s[6:7], v[26:27] op_sel_hi:[0,1]
	s_wait_loadcnt 0x0
	v_dual_fmac_f32 v35, v38, v78 :: v_dual_fmac_f32 v36, v39, v79
	v_pk_mul_f32 v[18:19], s[6:7], v[18:19] op_sel_hi:[0,1]
	s_delay_alu instid0(VALU_DEP_2)
	v_dual_fmac_f32 v35, v40, v74 :: v_dual_fmac_f32 v36, v41, v75
	scratch_load_b128 v[38:41], off, off offset:208 th:TH_LOAD_LU ; 16-byte Folded Reload
	v_pk_mul_f32 v[14:15], s[6:7], v[14:15] op_sel_hi:[0,1]
	s_wait_loadcnt 0x0
	v_dual_fmac_f32 v35, v38, v72 :: v_dual_fmac_f32 v36, v39, v73
	v_pk_mul_f32 v[12:13], s[6:7], v[12:13] op_sel_hi:[0,1]
	s_delay_alu instid0(VALU_DEP_2)
	v_dual_fmac_f32 v35, v40, v68 :: v_dual_fmac_f32 v36, v41, v69
	scratch_load_b128 v[38:41], off, off offset:192 th:TH_LOAD_LU ; 16-byte Folded Reload
	;; [unrolled: 7-line block ×4, first 2 shown]
	v_pk_mul_f32 v[10:11], s[6:7], v[10:11] op_sel_hi:[0,1]
	s_wait_loadcnt 0x0
	v_dual_fmac_f32 v35, v38, v32 :: v_dual_fmac_f32 v36, v39, v33
	v_pk_mul_f32 v[0:1], s[6:7], v[0:1] op_sel_hi:[0,1]
	s_delay_alu instid0(VALU_DEP_2) | instskip(SKIP_4) | instid1(VALU_DEP_2)
	v_dual_fmac_f32 v35, v40, v30 :: v_dual_fmac_f32 v36, v41, v31
	scratch_load_b128 v[30:33], off, off offset:144 th:TH_LOAD_LU ; 16-byte Folded Reload
	v_or_b32_e32 v25, v121, v123
	v_or_b32_e32 v24, v120, v122
	v_pk_mul_f32 v[16:17], s[6:7], v[16:17] op_sel_hi:[0,1]
	v_pk_mul_f32 v[24:25], s[6:7], v[24:25] op_sel_hi:[0,1]
	v_or_b32_e32 v21, v125, v127
	s_wait_loadcnt 0x0
	s_delay_alu instid0(VALU_DEP_2) | instskip(NEXT) | instid1(VALU_DEP_3)
	v_dual_fmac_f32 v36, v31, v25 :: v_dual_bitop2_b32 v20, v124, v126 bitop3:0x54
	v_fmac_f32_e32 v35, v30, v24
	s_delay_alu instid0(VALU_DEP_2) | instskip(NEXT) | instid1(VALU_DEP_1)
	v_pk_mul_f32 v[20:21], s[6:7], v[20:21] op_sel_hi:[0,1]
	v_dual_fmac_f32 v35, v32, v20 :: v_dual_fmac_f32 v36, v33, v21
	scratch_load_b128 v[30:33], off, off offset:128 th:TH_LOAD_LU ; 16-byte Folded Reload
	s_wait_loadcnt 0x0
	v_dual_fmac_f32 v35, v30, v16 :: v_dual_fmac_f32 v36, v31, v17
	s_delay_alu instid0(VALU_DEP_1) | instskip(SKIP_3) | instid1(VALU_DEP_1)
	v_dual_fmac_f32 v35, v32, v0 :: v_dual_fmac_f32 v36, v33, v1
	scratch_load_b128 v[30:33], off, off offset:112 th:TH_LOAD_LU ; 16-byte Folded Reload
	s_wait_loadcnt 0x0
	v_dual_fmac_f32 v35, v30, v10 :: v_dual_fmac_f32 v36, v31, v11
	v_dual_fmac_f32 v35, v32, v6 :: v_dual_fmac_f32 v36, v33, v7
	scratch_load_b128 v[30:33], off, off offset:96 th:TH_LOAD_LU ; 16-byte Folded Reload
	s_wait_loadcnt 0x0
	v_dual_fmac_f32 v35, v30, v2 :: v_dual_fmac_f32 v36, v31, v3
	scratch_load_b128 v[0:3], off, off offset:80 th:TH_LOAD_LU ; 16-byte Folded Reload
	v_dual_fmac_f32 v35, v32, v4 :: v_dual_fmac_f32 v36, v33, v5
	s_wait_loadcnt 0x0
	s_delay_alu instid0(VALU_DEP_1) | instskip(SKIP_3) | instid1(VALU_DEP_1)
	v_dual_fmac_f32 v35, v0, v8 :: v_dual_fmac_f32 v36, v1, v9
	scratch_load_b64 v[0:1], off, off offset:72 th:TH_LOAD_LU ; 8-byte Folded Reload
	v_dual_fmac_f32 v35, v2, v12 :: v_dual_fmac_f32 v36, v3, v13
	s_wait_loadcnt 0x0
	v_dual_fmac_f32 v35, v0, v14 :: v_dual_fmac_f32 v36, v1, v15
	ds_load_2addr_b64 v[0:3], v51 offset0:25 offset1:26
	s_wait_dscnt 0x0
	v_dual_fmac_f32 v35, v18, v0 :: v_dual_fmac_f32 v36, v19, v1
	s_delay_alu instid0(VALU_DEP_1) | instskip(SKIP_3) | instid1(VALU_DEP_1)
	v_dual_fmac_f32 v35, v22, v2 :: v_dual_fmac_f32 v36, v23, v3
	ds_load_2addr_b64 v[0:3], v51 offset0:27 offset1:28
	s_wait_dscnt 0x0
	v_dual_fmac_f32 v35, v28, v0 :: v_dual_fmac_f32 v36, v29, v1
	v_dual_fmac_f32 v35, v26, v2 :: v_dual_fmac_f32 v36, v27, v3
	ds_load_2addr_b64 v[0:3], v51 offset0:29 offset1:30
	s_wait_dscnt 0x0
	v_dual_fmac_f32 v35, v82, v0 :: v_dual_fmac_f32 v36, v83, v1
	ds_load_b64 v[0:1], v51 offset:248
	v_dual_fmac_f32 v35, v70, v2 :: v_dual_bitop2_b32 v44, 1, v45 bitop3:0x14
	v_fmac_f32_e32 v36, v71, v3
	s_delay_alu instid0(VALU_DEP_2) | instskip(NEXT) | instid1(VALU_DEP_1)
	v_cmp_gt_i32_e64 s5, 32, v44
	v_cndmask_b32_e64 v44, v45, v44, s5
	s_delay_alu instid0(VALU_DEP_1) | instskip(SKIP_2) | instid1(VALU_DEP_1)
	v_lshlrev_b32_e32 v34, 2, v44
	s_wait_dscnt 0x0
	v_dual_fmac_f32 v35, v60, v0 :: v_dual_fmac_f32 v36, v61, v1
	v_add_f32_e32 v0, v35, v36
	ds_bpermute_b32 v1, v34, v0
	s_wait_xcnt 0x0
	s_and_saveexec_b32 s6, s4
	s_cbranch_execz .LBB186_10
; %bb.530:                              ;   in Loop: Header=BB186_12 Depth=1
	s_clause 0x1
	scratch_load_b32 v2, off, off offset:272
	scratch_load_b32 v3, off, off offset:256
	s_wait_loadcnt_dscnt 0x100
	v_dual_add_f32 v0, v0, v1 :: v_dual_add_nc_u32 v2, v2, v54
	s_delay_alu instid0(VALU_DEP_1) | instskip(NEXT) | instid1(VALU_DEP_1)
	v_cvt_f32_i32_e32 v2, v2
	v_mul_f32_e32 v2, s37, v2
	s_delay_alu instid0(VALU_DEP_1) | instskip(NEXT) | instid1(VALU_DEP_1)
	v_cndmask_b32_e32 v1, 0, v2, vcc_lo
	v_fmac_f32_e32 v1, s7, v0
	scratch_load_b32 v0, off, off offset:268 ; 4-byte Folded Reload
	s_wait_loadcnt 0x1
	v_max_num_f32_e32 v2, v3, v3
	s_wait_loadcnt 0x0
	s_delay_alu instid0(VALU_DEP_1) | instskip(NEXT) | instid1(VALU_DEP_1)
	v_dual_max_num_f32 v2, v2, v1 :: v_dual_add_nc_u32 v0, v0, v54
	v_cmp_gt_i32_e64 s5, s34, v0
	s_delay_alu instid0(VALU_DEP_1)
	v_dual_cndmask_b32 v0, 0, v1, s5 :: v_dual_cndmask_b32 v3, v3, v2, s5
	ds_store_b32 v42, v0
	scratch_store_b32 off, v3, off offset:256 ; 4-byte Folded Spill
	s_branch .LBB186_10
.LBB186_531:
	s_or_b32 exec_lo, exec_lo, s41
	s_clause 0x4
	scratch_load_b32 v40, off, off offset:276
	scratch_load_b32 v43, off, off offset:280
	;; [unrolled: 1-line block ×5, first 2 shown]
.LBB186_532:
	s_wait_xcnt 0x0
	s_or_b32 exec_lo, exec_lo, s38
	v_mbcnt_lo_u32_b32 v6, -1, 0
	s_clause 0x1
	s_load_b64 s[6:7], s[0:1], 0x0
	s_load_b64 s[8:9], s[0:1], 0x18
	s_wait_loadcnt 0x4
	v_and_b32_e32 v96, 31, v40
	v_xor_b32_e32 v0, 16, v6
	v_xor_b32_e32 v2, 8, v6
	s_delay_alu instid0(VALU_DEP_2) | instskip(SKIP_1) | instid1(VALU_DEP_3)
	v_cmp_gt_i32_e32 vcc_lo, 32, v0
	v_cndmask_b32_e32 v0, v6, v0, vcc_lo
	v_cmp_gt_i32_e32 vcc_lo, 32, v2
	s_delay_alu instid0(VALU_DEP_2) | instskip(SKIP_4) | instid1(VALU_DEP_1)
	v_dual_lshlrev_b32 v0, 2, v0 :: v_dual_cndmask_b32 v2, v6, v2, vcc_lo
	s_wait_loadcnt_dscnt 0x0
	ds_bpermute_b32 v1, v0, v3
	s_wait_dscnt 0x0
	v_dual_max_num_f32 v3, v3, v3 :: v_dual_max_num_f32 v4, v1, v1
	v_dual_lshlrev_b32 v1, 2, v2 :: v_dual_max_num_f32 v3, v3, v4
	v_xor_b32_e32 v4, 4, v6
	ds_bpermute_b32 v2, v1, v3
	v_cmp_gt_i32_e32 vcc_lo, 32, v4
	s_wait_dscnt 0x0
	v_max_num_f32_e32 v5, v2, v2
	s_delay_alu instid0(VALU_DEP_1) | instskip(NEXT) | instid1(VALU_DEP_1)
	v_dual_cndmask_b32 v4, v6, v4 :: v_dual_max_num_f32 v3, v3, v5
	v_lshlrev_b32_e32 v2, 2, v4
	ds_bpermute_b32 v4, v2, v3
	s_wait_dscnt 0x0
	v_dual_max_num_f32 v4, v4, v4 :: v_dual_bitop2_b32 v5, 2, v6 bitop3:0x14
	s_delay_alu instid0(VALU_DEP_1) | instskip(NEXT) | instid1(VALU_DEP_2)
	v_cmp_gt_i32_e32 vcc_lo, 32, v5
	v_dual_max_num_f32 v4, v3, v4 :: v_dual_cndmask_b32 v5, v6, v5
	v_lshlrev_b32_e32 v3, 2, v43
	v_cmp_eq_u32_e32 vcc_lo, 0, v96
	s_delay_alu instid0(VALU_DEP_3)
	v_lshlrev_b32_e32 v97, 2, v5
	ds_bpermute_b32 v5, v97, v4
	s_wait_xcnt 0x0
	s_and_saveexec_b32 s0, vcc_lo
	s_cbranch_execz .LBB186_534
; %bb.533:
	s_wait_dscnt 0x0
	v_dual_max_num_f32 v5, v5, v5 :: v_dual_max_num_f32 v4, v4, v4
	s_delay_alu instid0(VALU_DEP_1)
	v_max_num_f32_e32 v4, v4, v5
	ds_store_b32 v3, v4 offset:512
.LBB186_534:
	s_or_b32 exec_lo, exec_lo, s0
	v_cmp_gt_u32_e64 s0, 4, v96
	s_wait_dscnt 0x0
	v_dual_mov_b32 v5, 0xff7fffff :: v_dual_lshlrev_b32 v4, 2, v96
	s_wait_storecnt 0x0
	s_barrier_signal -1
	s_barrier_wait -1
	s_and_saveexec_b32 s1, s0
; %bb.535:
	ds_load_b32 v5, v4 offset:512
; %bb.536:
	s_or_b32 exec_lo, exec_lo, s1
	s_wait_dscnt 0x0
	ds_bpermute_b32 v6, v97, v5
	v_mbcnt_lo_u32_b32 v8, -1, 0
	s_delay_alu instid0(VALU_DEP_1) | instskip(NEXT) | instid1(VALU_DEP_1)
	v_dual_max_num_f32 v5, v5, v5 :: v_dual_bitop2_b32 v7, 1, v8 bitop3:0x14
	v_cmp_gt_i32_e64 s1, 32, v7
	s_delay_alu instid0(VALU_DEP_1) | instskip(SKIP_1) | instid1(SALU_CYCLE_1)
	v_cndmask_b32_e64 v7, v8, v7, s1
	s_lshl_b32 s1, s35, 4
	s_min_i32 s5, s1, s34
	s_wait_dscnt 0x0
	s_delay_alu instid0(VALU_DEP_1) | instskip(SKIP_1) | instid1(VALU_DEP_2)
	v_dual_max_num_f32 v6, v6, v6 :: v_dual_lshlrev_b32 v98, 2, v7
	v_cmp_gt_i32_e64 s1, s5, v40
	v_max_num_f32_e32 v5, v5, v6
	ds_bpermute_b32 v6, v98, v5
	s_wait_dscnt 0x0
	v_max_num_f32_e32 v6, v6, v6
	s_delay_alu instid0(VALU_DEP_1)
	v_dual_max_num_f32 v6, v5, v6 :: v_dual_mov_b32 v5, 0
	ds_bpermute_b32 v6, v5, v6
	s_and_saveexec_b32 s19, s1
	s_cbranch_execz .LBB186_540
; %bb.537:
	v_lshl_add_u32 v7, v40, 2, 0x220
	v_dual_mov_b32 v5, 0 :: v_dual_mov_b32 v8, v40
	s_mov_b32 s28, 0
.LBB186_538:                            ; =>This Inner Loop Header: Depth=1
	ds_load_b32 v9, v7
	v_add_nc_u32_e32 v8, 0x80, v8
	s_delay_alu instid0(VALU_DEP_1) | instskip(SKIP_3) | instid1(VALU_DEP_1)
	v_cmp_le_i32_e64 s4, s5, v8
	s_or_b32 s28, s4, s28
	s_wait_dscnt 0x0
	v_sub_f32_e32 v9, v9, v6
	v_mul_f32_e32 v9, 0x3fb8aa3b, v9
	s_delay_alu instid0(VALU_DEP_1)
	v_exp_f32_e32 v9, v9
	ds_store_b32 v7, v9
	v_nop
	v_add_f32_e32 v5, v5, v9
	v_add_nc_u32_e32 v7, 0x200, v7
	s_and_not1_b32 exec_lo, exec_lo, s28
	s_cbranch_execnz .LBB186_538
; %bb.539:
	s_or_b32 exec_lo, exec_lo, s28
.LBB186_540:
	s_delay_alu instid0(SALU_CYCLE_1)
	s_or_b32 exec_lo, exec_lo, s19
	ds_bpermute_b32 v0, v0, v5
	s_wait_dscnt 0x0
	v_add_f32_e32 v0, v5, v0
	ds_bpermute_b32 v1, v1, v0
	s_wait_dscnt 0x0
	v_add_f32_e32 v0, v0, v1
	;; [unrolled: 3-line block ×5, first 2 shown]
	s_and_saveexec_b32 s4, vcc_lo
; %bb.541:
	ds_store_b32 v3, v0 offset:528
; %bb.542:
	s_or_b32 exec_lo, exec_lo, s4
	s_wait_dscnt 0x0
	s_barrier_signal -1
	s_barrier_wait -1
	s_and_saveexec_b32 s4, s0
; %bb.543:
	ds_load_b32 v0, v4 offset:528
; %bb.544:
	s_or_b32 exec_lo, exec_lo, s4
	s_wait_dscnt 0x0
	ds_bpermute_b32 v1, v97, v0
	s_wait_dscnt 0x0
	v_dual_mov_b32 v7, 0 :: v_dual_add_f32 v0, v0, v1
	ds_bpermute_b32 v1, v98, v0
	s_wait_dscnt 0x0
	v_add_f32_e32 v0, v0, v1
	ds_bpermute_b32 v0, v7, v0
	s_and_saveexec_b32 s0, s1
	s_cbranch_execz .LBB186_557
; %bb.545:
	s_wait_dscnt 0x0
	v_add_f32_e32 v0, 0x358637bd, v0
	s_mov_b32 s4, -1
	s_mov_b32 s1, exec_lo
	s_delay_alu instid0(VALU_DEP_1) | instskip(NEXT) | instid1(VALU_DEP_1)
	v_div_scale_f32 v1, null, v0, v0, 1.0
	v_rcp_f32_e32 v3, v1
	v_nop
	s_delay_alu instid0(TRANS32_DEP_1) | instskip(NEXT) | instid1(VALU_DEP_1)
	v_fma_f32 v2, -v1, v3, 1.0
	v_fmac_f32_e32 v3, v2, v3
	v_div_scale_f32 v4, vcc_lo, 1.0, v0, 1.0
	s_delay_alu instid0(VALU_DEP_1) | instskip(NEXT) | instid1(VALU_DEP_1)
	v_mul_f32_e32 v5, v4, v3
	v_fma_f32 v2, -v1, v5, v4
	s_delay_alu instid0(VALU_DEP_1) | instskip(SKIP_1) | instid1(VALU_DEP_2)
	v_fmac_f32_e32 v5, v2, v3
	v_xad_u32 v2, v40, -1, s5
	v_fma_f32 v1, -v1, v5, v4
	s_delay_alu instid0(VALU_DEP_1) | instskip(NEXT) | instid1(VALU_DEP_1)
	v_div_fmas_f32 v1, v1, v3, v5
	v_div_fixup_f32 v0, v1, v0, 1.0
	v_mov_b32_e32 v1, v40
	v_cmpx_lt_u32_e32 0x7f, v2
	s_cbranch_execz .LBB186_554
; %bb.546:
	s_delay_alu instid0(VALU_DEP_3) | instskip(NEXT) | instid1(VALU_DEP_1)
	v_dual_mov_b32 v1, v0 :: v_dual_lshrrev_b32 v2, 7, v2
	v_dual_mov_b32 v6, 0 :: v_dual_add_nc_u32 v3, -1, v2
	s_delay_alu instid0(VALU_DEP_1) | instskip(SKIP_1) | instid1(VALU_DEP_2)
	v_lshrrev_b32_e32 v4, 1, v3
	v_cmp_lt_u32_e32 vcc_lo, 13, v3
	v_add_nc_u32_e32 v3, 1, v4
	s_and_saveexec_b32 s4, vcc_lo
	s_cbranch_execz .LBB186_550
; %bb.547:
	s_delay_alu instid0(VALU_DEP_1)
	v_and_b32_e32 v4, -8, v3
	v_lshl_add_u32 v5, v40, 2, 0x220
	s_mov_b32 s19, 0
	s_mov_b32 s28, 0
.LBB186_548:                            ; =>This Inner Loop Header: Depth=1
	ds_load_2addr_stride64_b32 v[8:9], v5 offset1:2
	ds_load_2addr_stride64_b32 v[10:11], v5 offset0:4 offset1:6
	ds_load_2addr_stride64_b32 v[12:13], v5 offset0:8 offset1:10
	;; [unrolled: 1-line block ×7, first 2 shown]
	s_add_co_i32 s28, s28, 16
	s_delay_alu instid0(SALU_CYCLE_1) | instskip(NEXT) | instid1(VALU_DEP_1)
	v_dual_add_nc_u32 v4, -8, v4 :: v_dual_mov_b32 v6, s28
	v_cmp_eq_u32_e32 vcc_lo, 0, v4
	s_or_b32 s19, vcc_lo, s19
	s_wait_dscnt 0x7
	v_pk_mul_f32 v[8:9], v[0:1], v[8:9]
	s_wait_dscnt 0x6
	v_pk_mul_f32 v[10:11], v[0:1], v[10:11]
	;; [unrolled: 2-line block ×8, first 2 shown]
	ds_store_2addr_stride64_b32 v5, v8, v9 offset1:2
	ds_store_2addr_stride64_b32 v5, v10, v11 offset0:4 offset1:6
	ds_store_2addr_stride64_b32 v5, v12, v13 offset0:8 offset1:10
	;; [unrolled: 1-line block ×7, first 2 shown]
	v_add_nc_u32_e32 v5, 0x2000, v5
	s_and_not1_b32 exec_lo, exec_lo, s19
	s_cbranch_execnz .LBB186_548
; %bb.549:
	s_or_b32 exec_lo, exec_lo, s19
.LBB186_550:
	s_delay_alu instid0(SALU_CYCLE_1) | instskip(NEXT) | instid1(VALU_DEP_1)
	s_or_b32 exec_lo, exec_lo, s4
	v_and_b32_e32 v3, 7, v3
	s_mov_b32 s19, 0
	s_mov_b32 s4, exec_lo
	s_delay_alu instid0(VALU_DEP_1)
	v_cmpx_ne_u32_e32 0, v3
	s_cbranch_execz .LBB186_553
; %bb.551:
	v_lshlrev_b32_e32 v4, 9, v6
	s_delay_alu instid0(VALU_DEP_1)
	v_add3_u32 v4, v4, v24, 0x220
.LBB186_552:                            ; =>This Inner Loop Header: Depth=1
	ds_load_2addr_stride64_b32 v[8:9], v4 offset1:2
	v_add_nc_u32_e32 v3, -1, v3
	s_delay_alu instid0(VALU_DEP_1)
	v_cmp_eq_u32_e32 vcc_lo, 0, v3
	s_or_b32 s19, vcc_lo, s19
	s_wait_dscnt 0x0
	v_pk_mul_f32 v[8:9], v[0:1], v[8:9]
	ds_store_2addr_stride64_b32 v4, v8, v9 offset1:2
	v_add_nc_u32_e32 v4, 0x400, v4
	s_and_not1_b32 exec_lo, exec_lo, s19
	s_cbranch_execnz .LBB186_552
.LBB186_553:
	s_or_b32 exec_lo, exec_lo, s4
	v_add_nc_u32_e32 v1, 1, v2
	s_delay_alu instid0(VALU_DEP_1) | instskip(NEXT) | instid1(VALU_DEP_1)
	v_and_b32_e32 v2, 0x3fffffe, v1
	v_cmp_ne_u32_e32 vcc_lo, v1, v2
	v_lshl_add_u32 v1, v2, 7, v40
	s_or_not1_b32 s4, vcc_lo, exec_lo
.LBB186_554:
	s_or_b32 exec_lo, exec_lo, s1
	s_delay_alu instid0(SALU_CYCLE_1)
	s_and_b32 exec_lo, exec_lo, s4
	s_cbranch_execz .LBB186_557
; %bb.555:
	v_lshl_add_u32 v2, v1, 2, 0x220
	s_mov_b32 s1, 0
.LBB186_556:                            ; =>This Inner Loop Header: Depth=1
	ds_load_b32 v3, v2
	v_add_nc_u32_e32 v1, 0x80, v1
	s_delay_alu instid0(VALU_DEP_1)
	v_cmp_le_i32_e32 vcc_lo, s5, v1
	s_or_b32 s1, vcc_lo, s1
	s_wait_dscnt 0x0
	v_mul_f32_e32 v3, v0, v3
	ds_store_b32 v2, v3
	v_add_nc_u32_e32 v2, 0x200, v2
	s_and_not1_b32 exec_lo, exec_lo, s1
	s_cbranch_execnz .LBB186_556
.LBB186_557:
	s_or_b32 exec_lo, exec_lo, s0
	v_dual_mov_b32 v6, 0 :: v_dual_bitop2_b32 v99, 3, v40 bitop3:0x40
	v_dual_mov_b32 v9, 0 :: v_dual_mov_b32 v8, 0
	v_dual_mov_b32 v11, 0 :: v_dual_mov_b32 v10, 0
	;; [unrolled: 1-line block ×7, first 2 shown]
	s_wait_dscnt 0x0
	s_barrier_signal -1
	s_barrier_wait -1
	s_and_saveexec_b32 s1, s3
	s_cbranch_execz .LBB186_1107
; %bb.558:
	s_abs_i32 s3, s14
	v_and_b32_e32 v22, 0x7c, v24
	s_cvt_f32_u32 s0, s3
	v_dual_mov_b32 v23, 0 :: v_dual_lshlrev_b32 v1, 4, v99
	s_ashr_i32 s19, s18, 31
	s_delay_alu instid0(SALU_CYCLE_1)
	v_rcp_iflag_f32_e32 v0, s0
	s_wait_kmcnt 0x0
	s_add_nc_u64 s[8:9], s[8:9], s[18:19]
	v_dual_mov_b32 v108, v40 :: v_dual_bitop2_b32 v100, 12, v24 bitop3:0x40
	v_add_nc_u64_e32 v[24:25], s[8:9], v[22:23]
	v_and_b32_e32 v22, 0x7c, v26
	s_lshl_b64 s[26:27], s[26:27], 2
	v_readfirstlane_b32 s0, v0
	v_lshl_or_b32 v0, v43, 6, v1
	s_add_nc_u64 s[8:9], s[24:25], s[26:27]
	s_sub_co_i32 s4, 0, s3
	v_add_nc_u64_e32 v[26:27], s[8:9], v[22:23]
	s_mul_f32 s0, s0, 0x4f7ffffe
	v_dual_mov_b32 v101, v43 :: v_dual_mov_b32 v12, 0
	v_dual_mov_b32 v13, 0 :: v_dual_mov_b32 v109, v43
	s_delay_alu instid0(SALU_CYCLE_1) | instskip(SKIP_2) | instid1(SALU_CYCLE_1)
	s_cvt_u32_f32 s0, s0
	v_dual_mov_b32 v21, 0 :: v_dual_add_nc_u32 v102, 0x220, v0
	v_dual_mov_b32 v20, 0 :: v_dual_mov_b32 v18, 0
	s_mul_i32 s4, s4, s0
	v_dual_mov_b32 v19, 0 :: v_dual_mov_b32 v16, 0
	v_dual_mov_b32 v17, 0 :: v_dual_mov_b32 v14, 0
	;; [unrolled: 1-line block ×5, first 2 shown]
	v_mov_b32_e32 v7, 0
	s_mov_b32 s5, 0
	s_mul_hi_u32 s4, s0, s4
	s_sub_co_i32 s13, s36, s13
	s_mov_b32 s14, s17
	s_add_co_i32 s17, s35, -1
	s_mov_b32 s18, s34
	s_add_co_i32 s4, s0, s4
	s_mov_b32 s19, s5
	s_branch .LBB186_561
.LBB186_559:                            ;   in Loop: Header=BB186_561 Depth=1
	s_or_b32 exec_lo, exec_lo, s0
	s_wait_dscnt 0x0
	v_mul_f32_e32 v51, v2, v84
	v_mul_f32_e32 v22, v2, v88
	;; [unrolled: 1-line block ×3, first 2 shown]
	v_dual_mul_f32 v80, v2, v80 :: v_dual_mul_f32 v54, v2, v54
	s_delay_alu instid0(VALU_DEP_4) | instskip(NEXT) | instid1(VALU_DEP_4)
	v_dual_mul_f32 v48, v2, v48 :: v_dual_fmac_f32 v51, v3, v85
	v_dual_fmac_f32 v22, v3, v89 :: v_dual_mul_f32 v72, v2, v72
	s_delay_alu instid0(VALU_DEP_4) | instskip(NEXT) | instid1(VALU_DEP_4)
	v_fmac_f32_e32 v76, v3, v77
	v_dual_fmac_f32 v80, v3, v81 :: v_dual_mul_f32 v36, v2, v36
	s_delay_alu instid0(VALU_DEP_3) | instskip(NEXT) | instid1(VALU_DEP_4)
	v_dual_fmac_f32 v22, v4, v86 :: v_dual_mul_f32 v68, v2, v68
	v_fmac_f32_e32 v72, v3, v73
	s_delay_alu instid0(VALU_DEP_3) | instskip(NEXT) | instid1(VALU_DEP_3)
	v_fmac_f32_e32 v80, v4, v78
	v_dual_fmac_f32 v51, v4, v82 :: v_dual_fmac_f32 v22, v5, v87
	s_delay_alu instid0(VALU_DEP_4) | instskip(SKIP_1) | instid1(VALU_DEP_4)
	v_fmac_f32_e32 v68, v3, v69
	v_fmac_f32_e32 v76, v4, v74
	;; [unrolled: 1-line block ×3, first 2 shown]
	s_delay_alu instid0(VALU_DEP_4) | instskip(SKIP_1) | instid1(VALU_DEP_3)
	v_dual_fmac_f32 v51, v5, v83 :: v_dual_add_f32 v6, v6, v22
	v_fmac_f32_e32 v72, v4, v70
	v_dual_fmac_f32 v76, v5, v75 :: v_dual_add_f32 v8, v8, v80
	s_delay_alu instid0(VALU_DEP_3) | instskip(NEXT) | instid1(VALU_DEP_3)
	v_dual_fmac_f32 v68, v4, v66 :: v_dual_add_f32 v9, v9, v51
	v_dual_fmac_f32 v72, v5, v71 :: v_dual_mul_f32 v22, v2, v64
	s_delay_alu instid0(VALU_DEP_2) | instskip(SKIP_1) | instid1(VALU_DEP_3)
	v_dual_add_f32 v11, v11, v76 :: v_dual_fmac_f32 v68, v5, v67
	v_mul_f32_e32 v58, v2, v58
	v_dual_add_f32 v10, v10, v72 :: v_dual_fmac_f32 v22, v3, v65
	s_delay_alu instid0(VALU_DEP_3) | instskip(NEXT) | instid1(VALU_DEP_3)
	v_dual_mul_f32 v51, v2, v62 :: v_dual_add_f32 v15, v15, v68
	v_dual_fmac_f32 v58, v3, v59 :: v_dual_fmac_f32 v48, v3, v49
	v_dual_mul_f32 v40, v2, v40 :: v_dual_fmac_f32 v36, v3, v37
	s_delay_alu instid0(VALU_DEP_3) | instskip(NEXT) | instid1(VALU_DEP_3)
	v_dual_fmac_f32 v51, v3, v63 :: v_dual_fmac_f32 v22, v4, v0
	v_dual_fmac_f32 v58, v4, v56 :: v_dual_fmac_f32 v48, v4, v46
	s_delay_alu instid0(VALU_DEP_2) | instskip(NEXT) | instid1(VALU_DEP_3)
	v_dual_fmac_f32 v54, v3, v55 :: v_dual_fmac_f32 v51, v4, v60
	v_fmac_f32_e32 v22, v5, v1
	v_pk_mul_f32 v[0:1], v[2:3], v[90:91]
	s_delay_alu instid0(VALU_DEP_4) | instskip(SKIP_1) | instid1(VALU_DEP_4)
	v_dual_fmac_f32 v48, v5, v47 :: v_dual_fmac_f32 v58, v5, v57
	v_mul_f32_e32 v30, v2, v30
	v_add_f32_e32 v14, v14, v22
	v_mul_f32_e32 v22, v2, v44
	s_delay_alu instid0(VALU_DEP_4) | instskip(NEXT) | instid1(VALU_DEP_4)
	v_dual_add_f32 v18, v18, v48 :: v_dual_fmac_f32 v40, v3, v41
	v_dual_fmac_f32 v30, v3, v31 :: v_dual_add_f32 v0, v1, v0
	s_delay_alu instid0(VALU_DEP_3) | instskip(SKIP_2) | instid1(VALU_DEP_4)
	v_fmac_f32_e32 v22, v3, v45
	v_pk_mul_f32 v[2:3], v[4:5], v[32:33]
	v_dual_fmac_f32 v54, v4, v52 :: v_dual_fmac_f32 v51, v5, v61
	v_dual_fmac_f32 v40, v4, v38 :: v_dual_fmac_f32 v30, v4, v28
	s_delay_alu instid0(VALU_DEP_3) | instskip(NEXT) | instid1(VALU_DEP_3)
	v_dual_fmac_f32 v22, v4, v42 :: v_dual_add_f32 v0, v2, v0
	v_dual_fmac_f32 v36, v4, v34 :: v_dual_fmac_f32 v54, v5, v53
	s_delay_alu instid0(VALU_DEP_2) | instskip(NEXT) | instid1(VALU_DEP_4)
	v_dual_add_f32 v16, v16, v58 :: v_dual_fmac_f32 v22, v5, v43
	v_dual_fmac_f32 v40, v5, v39 :: v_dual_fmac_f32 v30, v5, v29
	s_delay_alu instid0(VALU_DEP_3) | instskip(NEXT) | instid1(VALU_DEP_4)
	v_dual_fmac_f32 v36, v5, v35 :: v_dual_add_f32 v0, v3, v0
	v_dual_add_f32 v17, v17, v51 :: v_dual_add_f32 v19, v19, v54
	s_delay_alu instid0(VALU_DEP_3) | instskip(NEXT) | instid1(VALU_DEP_3)
	v_dual_add_f32 v21, v21, v22 :: v_dual_add_f32 v20, v20, v40
	v_dual_add_f32 v13, v13, v36 :: v_dual_add_f32 v12, v12, v30
	s_delay_alu instid0(VALU_DEP_4)
	v_add_f32_e32 v7, v7, v0
.LBB186_560:                            ;   in Loop: Header=BB186_561 Depth=1
	s_or_b32 exec_lo, exec_lo, s24
	v_dual_add_nc_u32 v101, 4, v101 :: v_dual_add_nc_u32 v50, 64, v50
	v_add_nc_u64_e32 v[26:27], 16, v[26:27]
	v_add_nc_u32_e32 v102, 0x100, v102
	s_delay_alu instid0(VALU_DEP_3) | instskip(SKIP_1) | instid1(SALU_CYCLE_1)
	v_cmp_le_i32_e32 vcc_lo, s35, v101
	s_or_b32 s19, vcc_lo, s19
	s_and_not1_b32 exec_lo, exec_lo, s19
	s_cbranch_execz .LBB186_1106
.LBB186_561:                            ; =>This Inner Loop Header: Depth=1
	v_mov_b32_e32 v51, v23
	s_delay_alu instid0(VALU_DEP_1) | instskip(NEXT) | instid1(VALU_DEP_1)
	v_mul_u64_e32 v[0:1], s[22:23], v[50:51]
	v_mul_lo_u32 v0, v1, s16
	s_delay_alu instid0(VALU_DEP_1) | instskip(NEXT) | instid1(VALU_DEP_1)
	v_sub_nc_u32_e32 v0, v50, v0
	v_subrev_nc_u32_e32 v3, s16, v0
	v_cmp_le_u32_e32 vcc_lo, s16, v0
	s_delay_alu instid0(VALU_DEP_2) | instskip(NEXT) | instid1(VALU_DEP_1)
	v_dual_add_nc_u32 v2, 1, v1 :: v_dual_cndmask_b32 v0, v0, v3, vcc_lo
	v_cndmask_b32_e32 v1, v1, v2, vcc_lo
	s_delay_alu instid0(VALU_DEP_2) | instskip(NEXT) | instid1(VALU_DEP_2)
	v_cmp_le_u32_e32 vcc_lo, s16, v0
	v_add_nc_u32_e32 v2, 1, v1
	s_delay_alu instid0(VALU_DEP_1) | instskip(NEXT) | instid1(VALU_DEP_1)
	v_cndmask_b32_e32 v0, v1, v2, vcc_lo
	v_xor_b32_e32 v0, s15, v0
	s_delay_alu instid0(VALU_DEP_1) | instskip(NEXT) | instid1(VALU_DEP_1)
	v_subrev_nc_u32_e32 v2, s15, v0
	v_add_nc_u32_e32 v3, s21, v2
	v_cmp_lt_i32_e64 s0, s13, v2
	s_delay_alu instid0(VALU_DEP_2) | instskip(NEXT) | instid1(VALU_DEP_1)
	v_sub_nc_u32_e32 v0, 0, v3
	v_dual_ashrrev_i32 v3, 31, v3 :: v_dual_max_i32 v22, v3, v0
	s_delay_alu instid0(VALU_DEP_1) | instskip(NEXT) | instid1(VALU_DEP_1)
	v_mul_u64_e32 v[0:1], s[4:5], v[22:23]
	v_mul_lo_u32 v0, v1, s3
	s_delay_alu instid0(VALU_DEP_1) | instskip(NEXT) | instid1(VALU_DEP_1)
	v_sub_nc_u32_e32 v0, v22, v0
	v_subrev_nc_u32_e32 v1, s3, v0
	v_cmp_le_u32_e32 vcc_lo, s3, v0
	s_delay_alu instid0(VALU_DEP_2) | instskip(NEXT) | instid1(VALU_DEP_1)
	v_cndmask_b32_e32 v0, v0, v1, vcc_lo
	v_subrev_nc_u32_e32 v1, s3, v0
	v_cmp_le_u32_e32 vcc_lo, s3, v0
	s_delay_alu instid0(VALU_DEP_2) | instskip(NEXT) | instid1(VALU_DEP_1)
	v_cndmask_b32_e32 v0, v0, v1, vcc_lo
	v_xor_b32_e32 v0, v0, v3
	s_delay_alu instid0(VALU_DEP_1) | instskip(NEXT) | instid1(VALU_DEP_1)
	v_sub_nc_u32_e32 v0, v0, v3
	v_cmp_eq_u32_e32 vcc_lo, 0, v0
	s_or_b32 s0, vcc_lo, s0
	s_delay_alu instid0(SALU_CYCLE_1)
	s_and_saveexec_b32 s24, s0
	s_cbranch_execz .LBB186_560
; %bb.562:                              ;   in Loop: Header=BB186_561 Depth=1
	global_load_b32 v0, v[26:27], off
	ds_load_b128 v[2:5], v102
	s_load_b32 s8, s[10:11], 0x0
	v_mov_b64_e32 v[28:29], 0
	s_mov_b32 s0, exec_lo
	s_wait_loadcnt 0x0
	v_mad_nc_i64_i32 v[32:33], v0, s14, v[24:25]
	v_mov_b64_e32 v[0:1], 0
	global_load_b32 v36, v[32:33], off
	s_wait_loadcnt 0x0
	v_and_b32_e32 v22, 0xff, v36
	s_delay_alu instid0(VALU_DEP_1)
	v_cmpx_ne_u16_e32 0, v22
	s_cbranch_execz .LBB186_570
; %bb.563:                              ;   in Loop: Header=BB186_561 Depth=1
	v_mov_b64_e32 v[28:29], 0x80000000
	s_mov_b32 s9, exec_lo
	v_cmpx_ne_u16_e32 0x80, v22
	s_cbranch_execz .LBB186_569
; %bb.564:                              ;   in Loop: Header=BB186_561 Depth=1
	v_mov_b64_e32 v[28:29], 0x7f800001
	v_and_b32_e32 v30, 0x7f, v36
	s_mov_b32 s25, exec_lo
	s_delay_alu instid0(VALU_DEP_1)
	v_cmpx_ne_u32_e32 0x7f, v30
	s_cbranch_execz .LBB186_568
; %bb.565:                              ;   in Loop: Header=BB186_561 Depth=1
	v_dual_lshrrev_b32 v28, 3, v30 :: v_dual_bitop2_b32 v22, 7, v36 bitop3:0x40
	s_mov_b32 s26, exec_lo
	v_cmpx_gt_u32_e32 8, v30
; %bb.566:                              ;   in Loop: Header=BB186_561 Depth=1
	s_delay_alu instid0(VALU_DEP_2) | instskip(NEXT) | instid1(VALU_DEP_1)
	v_clz_i32_u32_e32 v28, v22
	v_min_u32_e32 v28, 32, v28
	s_delay_alu instid0(VALU_DEP_1) | instskip(NEXT) | instid1(VALU_DEP_1)
	v_subrev_nc_u32_e32 v29, 28, v28
	v_lshlrev_b64_e32 v[30:31], v29, v[22:23]
	s_delay_alu instid0(VALU_DEP_1)
	v_dual_sub_nc_u32 v28, 29, v28 :: v_dual_bitop2_b32 v22, 7, v30 bitop3:0x40
; %bb.567:                              ;   in Loop: Header=BB186_561 Depth=1
	s_or_b32 exec_lo, exec_lo, s26
	s_delay_alu instid0(VALU_DEP_1) | instskip(NEXT) | instid1(VALU_DEP_2)
	v_dual_lshlrev_b32 v29, 24, v36 :: v_dual_lshlrev_b32 v22, 20, v22
	v_lshl_add_u32 v28, v28, 23, 0x3c000000
	s_delay_alu instid0(VALU_DEP_2) | instskip(NEXT) | instid1(VALU_DEP_1)
	v_and_b32_e32 v29, 0x80000000, v29
	v_or3_b32 v22, v22, v29, v28
	s_delay_alu instid0(VALU_DEP_1)
	v_mov_b64_e32 v[28:29], v[22:23]
.LBB186_568:                            ;   in Loop: Header=BB186_561 Depth=1
	s_or_b32 exec_lo, exec_lo, s25
.LBB186_569:                            ;   in Loop: Header=BB186_561 Depth=1
	s_delay_alu instid0(SALU_CYCLE_1)
	s_or_b32 exec_lo, exec_lo, s9
.LBB186_570:                            ;   in Loop: Header=BB186_561 Depth=1
	s_delay_alu instid0(SALU_CYCLE_1) | instskip(SKIP_2) | instid1(VALU_DEP_1)
	s_or_b32 exec_lo, exec_lo, s0
	v_lshrrev_b16 v22, 8, v36
	s_mov_b32 s0, exec_lo
	v_cmpx_ne_u16_e32 0, v22
	s_cbranch_execz .LBB186_578
; %bb.571:                              ;   in Loop: Header=BB186_561 Depth=1
	v_mov_b64_e32 v[0:1], 0x8000000000000000
	s_mov_b32 s9, exec_lo
	v_cmpx_ne_u16_e32 0x80, v22
	s_cbranch_execz .LBB186_577
; %bb.572:                              ;   in Loop: Header=BB186_561 Depth=1
	v_and_b32_e32 v22, 0xffff, v22
	v_mov_b64_e32 v[0:1], 0x7f80000100000000
	s_mov_b32 s25, exec_lo
	s_delay_alu instid0(VALU_DEP_2) | instskip(NEXT) | instid1(VALU_DEP_1)
	v_and_b32_e32 v30, 0x7f, v22
	v_cmpx_ne_u32_e32 0x7f, v30
	s_cbranch_execz .LBB186_576
; %bb.573:                              ;   in Loop: Header=BB186_561 Depth=1
	v_and_b32_e32 v22, 7, v22
	v_lshrrev_b32_e32 v0, 3, v30
	s_mov_b32 s26, exec_lo
	v_cmpx_gt_u32_e32 8, v30
; %bb.574:                              ;   in Loop: Header=BB186_561 Depth=1
	s_delay_alu instid0(VALU_DEP_3) | instskip(NEXT) | instid1(VALU_DEP_1)
	v_clz_i32_u32_e32 v0, v22
	v_min_u32_e32 v0, 32, v0
	s_delay_alu instid0(VALU_DEP_1) | instskip(NEXT) | instid1(VALU_DEP_1)
	v_subrev_nc_u32_e32 v1, 28, v0
	v_lshlrev_b64_e32 v[30:31], v1, v[22:23]
	s_delay_alu instid0(VALU_DEP_1)
	v_dual_sub_nc_u32 v0, 29, v0 :: v_dual_bitop2_b32 v22, 7, v30 bitop3:0x40
; %bb.575:                              ;   in Loop: Header=BB186_561 Depth=1
	s_or_b32 exec_lo, exec_lo, s26
	s_delay_alu instid0(VALU_DEP_1) | instskip(NEXT) | instid1(VALU_DEP_2)
	v_dual_lshlrev_b32 v1, 16, v36 :: v_dual_lshlrev_b32 v22, 20, v22
	v_lshl_add_u32 v0, v0, 23, 0x3c000000
	s_delay_alu instid0(VALU_DEP_2) | instskip(NEXT) | instid1(VALU_DEP_1)
	v_and_b32_e32 v1, 0x80000000, v1
	v_or3_b32 v1, v22, v1, v0
	v_mov_b32_e32 v0, v23
.LBB186_576:                            ;   in Loop: Header=BB186_561 Depth=1
	s_or_b32 exec_lo, exec_lo, s25
.LBB186_577:                            ;   in Loop: Header=BB186_561 Depth=1
	s_delay_alu instid0(SALU_CYCLE_1)
	s_or_b32 exec_lo, exec_lo, s9
.LBB186_578:                            ;   in Loop: Header=BB186_561 Depth=1
	s_delay_alu instid0(SALU_CYCLE_1) | instskip(SKIP_4) | instid1(VALU_DEP_3)
	s_or_b32 exec_lo, exec_lo, s0
	v_lshrrev_b32_e32 v37, 16, v36
	v_mov_b64_e32 v[30:31], 0
	v_mov_b64_e32 v[34:35], 0
	s_mov_b32 s0, exec_lo
	v_and_b32_e32 v22, 0xff, v37
	s_delay_alu instid0(VALU_DEP_1)
	v_cmpx_ne_u16_e32 0, v22
	s_cbranch_execz .LBB186_586
; %bb.579:                              ;   in Loop: Header=BB186_561 Depth=1
	v_mov_b64_e32 v[34:35], 0x80000000
	s_mov_b32 s9, exec_lo
	v_cmpx_ne_u16_e32 0x80, v22
	s_cbranch_execz .LBB186_585
; %bb.580:                              ;   in Loop: Header=BB186_561 Depth=1
	v_mov_b64_e32 v[34:35], 0x7f800001
	v_bfe_u32 v38, v36, 16, 7
	s_mov_b32 s25, exec_lo
	s_delay_alu instid0(VALU_DEP_1)
	v_cmpx_ne_u32_e32 0x7f, v38
	s_cbranch_execz .LBB186_584
; %bb.581:                              ;   in Loop: Header=BB186_561 Depth=1
	v_dual_lshrrev_b32 v34, 3, v38 :: v_dual_bitop2_b32 v22, 7, v37 bitop3:0x40
	s_mov_b32 s26, exec_lo
	v_cmpx_gt_u32_e32 8, v38
; %bb.582:                              ;   in Loop: Header=BB186_561 Depth=1
	s_delay_alu instid0(VALU_DEP_2) | instskip(NEXT) | instid1(VALU_DEP_1)
	v_clz_i32_u32_e32 v34, v22
	v_min_u32_e32 v34, 32, v34
	s_delay_alu instid0(VALU_DEP_1) | instskip(SKIP_1) | instid1(VALU_DEP_2)
	v_subrev_nc_u32_e32 v35, 28, v34
	v_sub_nc_u32_e32 v34, 29, v34
	v_lshlrev_b64_e32 v[38:39], v35, v[22:23]
	s_delay_alu instid0(VALU_DEP_1)
	v_and_b32_e32 v22, 7, v38
; %bb.583:                              ;   in Loop: Header=BB186_561 Depth=1
	s_or_b32 exec_lo, exec_lo, s26
	s_delay_alu instid0(VALU_DEP_1) | instskip(SKIP_1) | instid1(VALU_DEP_2)
	v_dual_lshlrev_b32 v35, 24, v37 :: v_dual_lshlrev_b32 v22, 20, v22
	v_lshl_add_u32 v34, v34, 23, 0x3c000000
	v_and_b32_e32 v35, 0x80000000, v35
	s_delay_alu instid0(VALU_DEP_1) | instskip(NEXT) | instid1(VALU_DEP_1)
	v_or3_b32 v22, v22, v35, v34
	v_mov_b64_e32 v[34:35], v[22:23]
.LBB186_584:                            ;   in Loop: Header=BB186_561 Depth=1
	s_or_b32 exec_lo, exec_lo, s25
.LBB186_585:                            ;   in Loop: Header=BB186_561 Depth=1
	s_delay_alu instid0(SALU_CYCLE_1)
	s_or_b32 exec_lo, exec_lo, s9
.LBB186_586:                            ;   in Loop: Header=BB186_561 Depth=1
	s_delay_alu instid0(SALU_CYCLE_1) | instskip(NEXT) | instid1(SALU_CYCLE_1)
	s_or_b32 exec_lo, exec_lo, s0
	s_mov_b32 s0, exec_lo
	v_cmpx_lt_u32_e32 0xffffff, v36
	s_cbranch_execz .LBB186_594
; %bb.587:                              ;   in Loop: Header=BB186_561 Depth=1
	v_mov_b64_e32 v[30:31], 0x8000000000000000
	v_lshrrev_b32_e32 v37, 24, v36
	s_mov_b32 s9, exec_lo
	s_delay_alu instid0(VALU_DEP_1)
	v_cmpx_ne_u32_e32 0x80, v37
	s_cbranch_execz .LBB186_593
; %bb.588:                              ;   in Loop: Header=BB186_561 Depth=1
	v_mov_b64_e32 v[30:31], 0x7f80000100000000
	v_bfe_u32 v36, v36, 24, 7
	s_mov_b32 s25, exec_lo
	s_delay_alu instid0(VALU_DEP_1)
	v_cmpx_ne_u32_e32 0x7f, v36
	s_cbranch_execz .LBB186_592
; %bb.589:                              ;   in Loop: Header=BB186_561 Depth=1
	v_dual_lshrrev_b32 v30, 3, v36 :: v_dual_bitop2_b32 v22, 7, v37 bitop3:0x40
	s_mov_b32 s26, exec_lo
	v_cmpx_gt_u32_e32 8, v36
; %bb.590:                              ;   in Loop: Header=BB186_561 Depth=1
	s_delay_alu instid0(VALU_DEP_2) | instskip(NEXT) | instid1(VALU_DEP_1)
	v_clz_i32_u32_e32 v30, v22
	v_min_u32_e32 v30, 32, v30
	s_delay_alu instid0(VALU_DEP_1) | instskip(SKIP_1) | instid1(VALU_DEP_2)
	v_subrev_nc_u32_e32 v31, 28, v30
	v_sub_nc_u32_e32 v30, 29, v30
	v_lshlrev_b64_e32 v[38:39], v31, v[22:23]
	s_delay_alu instid0(VALU_DEP_1)
	v_and_b32_e32 v22, 7, v38
; %bb.591:                              ;   in Loop: Header=BB186_561 Depth=1
	s_or_b32 exec_lo, exec_lo, s26
	s_delay_alu instid0(VALU_DEP_1) | instskip(SKIP_1) | instid1(VALU_DEP_2)
	v_dual_lshlrev_b32 v31, 24, v37 :: v_dual_lshlrev_b32 v22, 20, v22
	v_lshl_add_u32 v30, v30, 23, 0x3c000000
	v_and_b32_e32 v31, 0x80000000, v31
	s_delay_alu instid0(VALU_DEP_1)
	v_or3_b32 v31, v22, v31, v30
	v_mov_b32_e32 v30, v23
.LBB186_592:                            ;   in Loop: Header=BB186_561 Depth=1
	s_or_b32 exec_lo, exec_lo, s25
.LBB186_593:                            ;   in Loop: Header=BB186_561 Depth=1
	s_delay_alu instid0(SALU_CYCLE_1)
	s_or_b32 exec_lo, exec_lo, s9
.LBB186_594:                            ;   in Loop: Header=BB186_561 Depth=1
	s_delay_alu instid0(SALU_CYCLE_1)
	s_or_b32 exec_lo, exec_lo, s0
	v_dual_add_nc_u32 v51, v100, v50 :: v_dual_bitop2_b32 v1, v1, v29 bitop3:0x54
	v_or_b32_e32 v0, v0, v28
	v_or_b32_e32 v29, v31, v35
	;; [unrolled: 1-line block ×3, first 2 shown]
	v_cmp_eq_u32_e32 vcc_lo, s17, v101
	v_add_nc_u32_e32 v103, 1, v51
	s_wait_kmcnt 0x0
	v_pk_mul_f32 v[30:31], s[8:9], v[0:1] op_sel_hi:[0,1]
	v_add_nc_u32_e32 v95, 2, v51
	v_pk_mul_f32 v[28:29], s[8:9], v[28:29] op_sel_hi:[0,1]
	v_add_nc_u32_e32 v94, 3, v51
	s_and_saveexec_b32 s9, vcc_lo
	s_cbranch_execz .LBB186_596
; %bb.595:                              ;   in Loop: Header=BB186_561 Depth=1
	v_cmp_gt_i32_e64 s0, s34, v51
	s_delay_alu instid0(VALU_DEP_1) | instskip(SKIP_1) | instid1(VALU_DEP_1)
	v_cndmask_b32_e64 v30, 0, v30, s0
	v_cmp_gt_i32_e64 s0, s34, v103
	v_cndmask_b32_e64 v31, 0, v31, s0
	v_cmp_gt_i32_e64 s0, s34, v95
	s_delay_alu instid0(VALU_DEP_1) | instskip(SKIP_1) | instid1(VALU_DEP_1)
	v_cndmask_b32_e64 v28, 0, v28, s0
	v_cmp_gt_i32_e64 s0, s34, v94
	v_cndmask_b32_e64 v29, 0, v29, s0
.LBB186_596:                            ;   in Loop: Header=BB186_561 Depth=1
	s_or_b32 exec_lo, exec_lo, s9
	global_load_b32 v40, v[32:33], off offset:128
	v_mov_b64_e32 v[0:1], 0
	v_mov_b64_e32 v[34:35], 0
	s_mov_b32 s9, exec_lo
	s_wait_loadcnt 0x0
	v_and_b32_e32 v22, 0xff, v40
	s_delay_alu instid0(VALU_DEP_1)
	v_cmpx_ne_u16_e32 0, v22
	s_cbranch_execz .LBB186_604
; %bb.597:                              ;   in Loop: Header=BB186_561 Depth=1
	v_mov_b64_e32 v[34:35], 0x80000000
	s_mov_b32 s25, exec_lo
	v_cmpx_ne_u16_e32 0x80, v22
	s_cbranch_execz .LBB186_603
; %bb.598:                              ;   in Loop: Header=BB186_561 Depth=1
	v_mov_b64_e32 v[34:35], 0x7f800001
	v_and_b32_e32 v36, 0x7f, v40
	s_mov_b32 s26, exec_lo
	s_delay_alu instid0(VALU_DEP_1)
	v_cmpx_ne_u32_e32 0x7f, v36
	s_cbranch_execz .LBB186_602
; %bb.599:                              ;   in Loop: Header=BB186_561 Depth=1
	v_and_b32_e32 v22, 7, v40
	v_lshrrev_b32_e32 v34, 3, v36
	s_mov_b32 s27, exec_lo
	v_cmpx_gt_u32_e32 8, v36
; %bb.600:                              ;   in Loop: Header=BB186_561 Depth=1
	s_delay_alu instid0(VALU_DEP_3) | instskip(NEXT) | instid1(VALU_DEP_1)
	v_clz_i32_u32_e32 v34, v22
	v_min_u32_e32 v34, 32, v34
	s_delay_alu instid0(VALU_DEP_1) | instskip(NEXT) | instid1(VALU_DEP_1)
	v_subrev_nc_u32_e32 v35, 28, v34
	v_lshlrev_b64_e32 v[36:37], v35, v[22:23]
	s_delay_alu instid0(VALU_DEP_1)
	v_dual_sub_nc_u32 v34, 29, v34 :: v_dual_bitop2_b32 v22, 7, v36 bitop3:0x40
; %bb.601:                              ;   in Loop: Header=BB186_561 Depth=1
	s_or_b32 exec_lo, exec_lo, s27
	s_delay_alu instid0(VALU_DEP_1) | instskip(NEXT) | instid1(VALU_DEP_2)
	v_dual_lshlrev_b32 v35, 24, v40 :: v_dual_lshlrev_b32 v22, 20, v22
	v_lshl_add_u32 v34, v34, 23, 0x3c000000
	s_delay_alu instid0(VALU_DEP_2) | instskip(NEXT) | instid1(VALU_DEP_1)
	v_and_b32_e32 v35, 0x80000000, v35
	v_or3_b32 v22, v22, v35, v34
	s_delay_alu instid0(VALU_DEP_1)
	v_mov_b64_e32 v[34:35], v[22:23]
.LBB186_602:                            ;   in Loop: Header=BB186_561 Depth=1
	s_or_b32 exec_lo, exec_lo, s26
.LBB186_603:                            ;   in Loop: Header=BB186_561 Depth=1
	s_delay_alu instid0(SALU_CYCLE_1)
	s_or_b32 exec_lo, exec_lo, s25
.LBB186_604:                            ;   in Loop: Header=BB186_561 Depth=1
	s_delay_alu instid0(SALU_CYCLE_1) | instskip(SKIP_2) | instid1(VALU_DEP_1)
	s_or_b32 exec_lo, exec_lo, s9
	v_lshrrev_b16 v22, 8, v40
	s_mov_b32 s9, exec_lo
	v_cmpx_ne_u16_e32 0, v22
	s_cbranch_execz .LBB186_612
; %bb.605:                              ;   in Loop: Header=BB186_561 Depth=1
	v_mov_b64_e32 v[0:1], 0x8000000000000000
	s_mov_b32 s25, exec_lo
	v_cmpx_ne_u16_e32 0x80, v22
	s_cbranch_execz .LBB186_611
; %bb.606:                              ;   in Loop: Header=BB186_561 Depth=1
	v_and_b32_e32 v22, 0xffff, v22
	v_mov_b64_e32 v[0:1], 0x7f80000100000000
	s_mov_b32 s26, exec_lo
	s_delay_alu instid0(VALU_DEP_2) | instskip(NEXT) | instid1(VALU_DEP_1)
	v_and_b32_e32 v36, 0x7f, v22
	v_cmpx_ne_u32_e32 0x7f, v36
	s_cbranch_execz .LBB186_610
; %bb.607:                              ;   in Loop: Header=BB186_561 Depth=1
	v_dual_lshrrev_b32 v0, 3, v36 :: v_dual_bitop2_b32 v22, 7, v22 bitop3:0x40
	s_mov_b32 s27, exec_lo
	v_cmpx_gt_u32_e32 8, v36
; %bb.608:                              ;   in Loop: Header=BB186_561 Depth=1
	s_delay_alu instid0(VALU_DEP_2) | instskip(NEXT) | instid1(VALU_DEP_1)
	v_clz_i32_u32_e32 v0, v22
	v_min_u32_e32 v0, 32, v0
	s_delay_alu instid0(VALU_DEP_1) | instskip(SKIP_1) | instid1(VALU_DEP_2)
	v_subrev_nc_u32_e32 v1, 28, v0
	v_sub_nc_u32_e32 v0, 29, v0
	v_lshlrev_b64_e32 v[36:37], v1, v[22:23]
	s_delay_alu instid0(VALU_DEP_1)
	v_and_b32_e32 v22, 7, v36
; %bb.609:                              ;   in Loop: Header=BB186_561 Depth=1
	s_or_b32 exec_lo, exec_lo, s27
	s_delay_alu instid0(VALU_DEP_1) | instskip(SKIP_1) | instid1(VALU_DEP_2)
	v_dual_lshlrev_b32 v1, 16, v40 :: v_dual_lshlrev_b32 v22, 20, v22
	v_lshl_add_u32 v0, v0, 23, 0x3c000000
	v_and_b32_e32 v1, 0x80000000, v1
	s_delay_alu instid0(VALU_DEP_1)
	v_or3_b32 v1, v22, v1, v0
	v_mov_b32_e32 v0, v23
.LBB186_610:                            ;   in Loop: Header=BB186_561 Depth=1
	s_or_b32 exec_lo, exec_lo, s26
.LBB186_611:                            ;   in Loop: Header=BB186_561 Depth=1
	s_delay_alu instid0(SALU_CYCLE_1)
	s_or_b32 exec_lo, exec_lo, s25
.LBB186_612:                            ;   in Loop: Header=BB186_561 Depth=1
	s_delay_alu instid0(SALU_CYCLE_1) | instskip(SKIP_4) | instid1(VALU_DEP_3)
	s_or_b32 exec_lo, exec_lo, s9
	v_lshrrev_b32_e32 v41, 16, v40
	v_mov_b64_e32 v[36:37], 0
	v_mov_b64_e32 v[38:39], 0
	s_mov_b32 s9, exec_lo
	v_and_b32_e32 v22, 0xff, v41
	s_delay_alu instid0(VALU_DEP_1)
	v_cmpx_ne_u16_e32 0, v22
	s_cbranch_execz .LBB186_620
; %bb.613:                              ;   in Loop: Header=BB186_561 Depth=1
	v_mov_b64_e32 v[38:39], 0x80000000
	s_mov_b32 s25, exec_lo
	v_cmpx_ne_u16_e32 0x80, v22
	s_cbranch_execz .LBB186_619
; %bb.614:                              ;   in Loop: Header=BB186_561 Depth=1
	v_mov_b64_e32 v[38:39], 0x7f800001
	v_bfe_u32 v42, v40, 16, 7
	s_mov_b32 s26, exec_lo
	s_delay_alu instid0(VALU_DEP_1)
	v_cmpx_ne_u32_e32 0x7f, v42
	s_cbranch_execz .LBB186_618
; %bb.615:                              ;   in Loop: Header=BB186_561 Depth=1
	v_dual_lshrrev_b32 v38, 3, v42 :: v_dual_bitop2_b32 v22, 7, v41 bitop3:0x40
	s_mov_b32 s27, exec_lo
	v_cmpx_gt_u32_e32 8, v42
; %bb.616:                              ;   in Loop: Header=BB186_561 Depth=1
	s_delay_alu instid0(VALU_DEP_2) | instskip(NEXT) | instid1(VALU_DEP_1)
	v_clz_i32_u32_e32 v38, v22
	v_min_u32_e32 v38, 32, v38
	s_delay_alu instid0(VALU_DEP_1) | instskip(SKIP_1) | instid1(VALU_DEP_2)
	v_subrev_nc_u32_e32 v39, 28, v38
	v_sub_nc_u32_e32 v38, 29, v38
	v_lshlrev_b64_e32 v[42:43], v39, v[22:23]
	s_delay_alu instid0(VALU_DEP_1)
	v_and_b32_e32 v22, 7, v42
; %bb.617:                              ;   in Loop: Header=BB186_561 Depth=1
	s_or_b32 exec_lo, exec_lo, s27
	s_delay_alu instid0(VALU_DEP_1) | instskip(SKIP_1) | instid1(VALU_DEP_2)
	v_dual_lshlrev_b32 v39, 24, v41 :: v_dual_lshlrev_b32 v22, 20, v22
	v_lshl_add_u32 v38, v38, 23, 0x3c000000
	v_and_b32_e32 v39, 0x80000000, v39
	s_delay_alu instid0(VALU_DEP_1) | instskip(NEXT) | instid1(VALU_DEP_1)
	v_or3_b32 v22, v22, v39, v38
	v_mov_b64_e32 v[38:39], v[22:23]
.LBB186_618:                            ;   in Loop: Header=BB186_561 Depth=1
	s_or_b32 exec_lo, exec_lo, s26
.LBB186_619:                            ;   in Loop: Header=BB186_561 Depth=1
	s_delay_alu instid0(SALU_CYCLE_1)
	s_or_b32 exec_lo, exec_lo, s25
.LBB186_620:                            ;   in Loop: Header=BB186_561 Depth=1
	s_delay_alu instid0(SALU_CYCLE_1) | instskip(NEXT) | instid1(SALU_CYCLE_1)
	s_or_b32 exec_lo, exec_lo, s9
	s_mov_b32 s9, exec_lo
	v_cmpx_lt_u32_e32 0xffffff, v40
	s_cbranch_execz .LBB186_628
; %bb.621:                              ;   in Loop: Header=BB186_561 Depth=1
	v_mov_b64_e32 v[36:37], 0x8000000000000000
	v_lshrrev_b32_e32 v41, 24, v40
	s_mov_b32 s25, exec_lo
	s_delay_alu instid0(VALU_DEP_1)
	v_cmpx_ne_u32_e32 0x80, v41
	s_cbranch_execz .LBB186_627
; %bb.622:                              ;   in Loop: Header=BB186_561 Depth=1
	v_mov_b64_e32 v[36:37], 0x7f80000100000000
	v_bfe_u32 v40, v40, 24, 7
	s_mov_b32 s26, exec_lo
	s_delay_alu instid0(VALU_DEP_1)
	v_cmpx_ne_u32_e32 0x7f, v40
	s_cbranch_execz .LBB186_626
; %bb.623:                              ;   in Loop: Header=BB186_561 Depth=1
	v_dual_lshrrev_b32 v36, 3, v40 :: v_dual_bitop2_b32 v22, 7, v41 bitop3:0x40
	s_mov_b32 s27, exec_lo
	v_cmpx_gt_u32_e32 8, v40
; %bb.624:                              ;   in Loop: Header=BB186_561 Depth=1
	s_delay_alu instid0(VALU_DEP_2) | instskip(NEXT) | instid1(VALU_DEP_1)
	v_clz_i32_u32_e32 v36, v22
	v_min_u32_e32 v36, 32, v36
	s_delay_alu instid0(VALU_DEP_1) | instskip(NEXT) | instid1(VALU_DEP_1)
	v_subrev_nc_u32_e32 v37, 28, v36
	v_lshlrev_b64_e32 v[42:43], v37, v[22:23]
	s_delay_alu instid0(VALU_DEP_1)
	v_dual_sub_nc_u32 v36, 29, v36 :: v_dual_bitop2_b32 v22, 7, v42 bitop3:0x40
; %bb.625:                              ;   in Loop: Header=BB186_561 Depth=1
	s_or_b32 exec_lo, exec_lo, s27
	s_delay_alu instid0(VALU_DEP_1) | instskip(NEXT) | instid1(VALU_DEP_2)
	v_dual_lshlrev_b32 v37, 24, v41 :: v_dual_lshlrev_b32 v22, 20, v22
	v_lshl_add_u32 v36, v36, 23, 0x3c000000
	s_delay_alu instid0(VALU_DEP_2) | instskip(NEXT) | instid1(VALU_DEP_1)
	v_and_b32_e32 v37, 0x80000000, v37
	v_or3_b32 v37, v22, v37, v36
	v_mov_b32_e32 v36, v23
.LBB186_626:                            ;   in Loop: Header=BB186_561 Depth=1
	s_or_b32 exec_lo, exec_lo, s26
.LBB186_627:                            ;   in Loop: Header=BB186_561 Depth=1
	s_delay_alu instid0(SALU_CYCLE_1)
	s_or_b32 exec_lo, exec_lo, s25
.LBB186_628:                            ;   in Loop: Header=BB186_561 Depth=1
	s_delay_alu instid0(SALU_CYCLE_1)
	s_or_b32 exec_lo, exec_lo, s9
	s_mov_b32 s9, s8
	v_or_b32_e32 v1, v1, v35
	v_or_b32_e32 v0, v0, v34
	v_mov_b64_e32 v[34:35], s[8:9]
	v_or_b32_e32 v39, v37, v39
	v_or_b32_e32 v38, v36, v38
	s_delay_alu instid0(VALU_DEP_3) | instskip(NEXT) | instid1(VALU_DEP_2)
	v_pk_mul_f32 v[36:37], v[34:35], v[0:1]
	v_pk_mul_f32 v[34:35], v[34:35], v[38:39]
	s_and_saveexec_b32 s25, vcc_lo
	s_cbranch_execz .LBB186_630
; %bb.629:                              ;   in Loop: Header=BB186_561 Depth=1
	v_cmp_gt_i32_e64 s0, s34, v51
	s_delay_alu instid0(VALU_DEP_1) | instskip(SKIP_1) | instid1(VALU_DEP_1)
	v_cndmask_b32_e64 v36, 0, v36, s0
	v_cmp_gt_i32_e64 s0, s34, v103
	v_cndmask_b32_e64 v37, 0, v37, s0
	v_cmp_gt_i32_e64 s0, s34, v95
	s_delay_alu instid0(VALU_DEP_1) | instskip(SKIP_1) | instid1(VALU_DEP_1)
	v_cndmask_b32_e64 v34, 0, v34, s0
	v_cmp_gt_i32_e64 s0, s34, v94
	v_cndmask_b32_e64 v35, 0, v35, s0
.LBB186_630:                            ;   in Loop: Header=BB186_561 Depth=1
	s_or_b32 exec_lo, exec_lo, s25
	global_load_b32 v44, v[32:33], off offset:256
	v_mov_b64_e32 v[0:1], 0
	v_mov_b64_e32 v[38:39], 0
	s_mov_b32 s25, exec_lo
	s_wait_loadcnt 0x0
	v_and_b32_e32 v22, 0xff, v44
	s_delay_alu instid0(VALU_DEP_1)
	v_cmpx_ne_u16_e32 0, v22
	s_cbranch_execz .LBB186_638
; %bb.631:                              ;   in Loop: Header=BB186_561 Depth=1
	v_mov_b64_e32 v[38:39], 0x80000000
	s_mov_b32 s26, exec_lo
	v_cmpx_ne_u16_e32 0x80, v22
	s_cbranch_execz .LBB186_637
; %bb.632:                              ;   in Loop: Header=BB186_561 Depth=1
	v_mov_b64_e32 v[38:39], 0x7f800001
	v_and_b32_e32 v40, 0x7f, v44
	s_mov_b32 s27, exec_lo
	s_delay_alu instid0(VALU_DEP_1)
	v_cmpx_ne_u32_e32 0x7f, v40
	s_cbranch_execz .LBB186_636
; %bb.633:                              ;   in Loop: Header=BB186_561 Depth=1
	v_and_b32_e32 v22, 7, v44
	v_lshrrev_b32_e32 v38, 3, v40
	s_mov_b32 s28, exec_lo
	v_cmpx_gt_u32_e32 8, v40
; %bb.634:                              ;   in Loop: Header=BB186_561 Depth=1
	s_delay_alu instid0(VALU_DEP_3) | instskip(NEXT) | instid1(VALU_DEP_1)
	v_clz_i32_u32_e32 v38, v22
	v_min_u32_e32 v38, 32, v38
	s_delay_alu instid0(VALU_DEP_1) | instskip(NEXT) | instid1(VALU_DEP_1)
	v_subrev_nc_u32_e32 v39, 28, v38
	v_lshlrev_b64_e32 v[40:41], v39, v[22:23]
	s_delay_alu instid0(VALU_DEP_1)
	v_dual_sub_nc_u32 v38, 29, v38 :: v_dual_bitop2_b32 v22, 7, v40 bitop3:0x40
; %bb.635:                              ;   in Loop: Header=BB186_561 Depth=1
	s_or_b32 exec_lo, exec_lo, s28
	s_delay_alu instid0(VALU_DEP_1) | instskip(NEXT) | instid1(VALU_DEP_2)
	v_dual_lshlrev_b32 v39, 24, v44 :: v_dual_lshlrev_b32 v22, 20, v22
	v_lshl_add_u32 v38, v38, 23, 0x3c000000
	s_delay_alu instid0(VALU_DEP_2) | instskip(NEXT) | instid1(VALU_DEP_1)
	v_and_b32_e32 v39, 0x80000000, v39
	v_or3_b32 v22, v22, v39, v38
	s_delay_alu instid0(VALU_DEP_1)
	v_mov_b64_e32 v[38:39], v[22:23]
.LBB186_636:                            ;   in Loop: Header=BB186_561 Depth=1
	s_or_b32 exec_lo, exec_lo, s27
.LBB186_637:                            ;   in Loop: Header=BB186_561 Depth=1
	s_delay_alu instid0(SALU_CYCLE_1)
	s_or_b32 exec_lo, exec_lo, s26
.LBB186_638:                            ;   in Loop: Header=BB186_561 Depth=1
	s_delay_alu instid0(SALU_CYCLE_1) | instskip(SKIP_2) | instid1(VALU_DEP_1)
	s_or_b32 exec_lo, exec_lo, s25
	v_lshrrev_b16 v22, 8, v44
	s_mov_b32 s25, exec_lo
	v_cmpx_ne_u16_e32 0, v22
	s_cbranch_execz .LBB186_646
; %bb.639:                              ;   in Loop: Header=BB186_561 Depth=1
	v_mov_b64_e32 v[0:1], 0x8000000000000000
	s_mov_b32 s26, exec_lo
	v_cmpx_ne_u16_e32 0x80, v22
	s_cbranch_execz .LBB186_645
; %bb.640:                              ;   in Loop: Header=BB186_561 Depth=1
	v_and_b32_e32 v22, 0xffff, v22
	v_mov_b64_e32 v[0:1], 0x7f80000100000000
	s_mov_b32 s27, exec_lo
	s_delay_alu instid0(VALU_DEP_2) | instskip(NEXT) | instid1(VALU_DEP_1)
	v_and_b32_e32 v40, 0x7f, v22
	v_cmpx_ne_u32_e32 0x7f, v40
	s_cbranch_execz .LBB186_644
; %bb.641:                              ;   in Loop: Header=BB186_561 Depth=1
	v_dual_lshrrev_b32 v0, 3, v40 :: v_dual_bitop2_b32 v22, 7, v22 bitop3:0x40
	s_mov_b32 s28, exec_lo
	v_cmpx_gt_u32_e32 8, v40
; %bb.642:                              ;   in Loop: Header=BB186_561 Depth=1
	s_delay_alu instid0(VALU_DEP_2) | instskip(NEXT) | instid1(VALU_DEP_1)
	v_clz_i32_u32_e32 v0, v22
	v_min_u32_e32 v0, 32, v0
	s_delay_alu instid0(VALU_DEP_1) | instskip(SKIP_1) | instid1(VALU_DEP_2)
	v_subrev_nc_u32_e32 v1, 28, v0
	v_sub_nc_u32_e32 v0, 29, v0
	v_lshlrev_b64_e32 v[40:41], v1, v[22:23]
	s_delay_alu instid0(VALU_DEP_1)
	v_and_b32_e32 v22, 7, v40
; %bb.643:                              ;   in Loop: Header=BB186_561 Depth=1
	s_or_b32 exec_lo, exec_lo, s28
	s_delay_alu instid0(VALU_DEP_1) | instskip(SKIP_1) | instid1(VALU_DEP_2)
	v_dual_lshlrev_b32 v1, 16, v44 :: v_dual_lshlrev_b32 v22, 20, v22
	v_lshl_add_u32 v0, v0, 23, 0x3c000000
	v_and_b32_e32 v1, 0x80000000, v1
	s_delay_alu instid0(VALU_DEP_1)
	v_or3_b32 v1, v22, v1, v0
	v_mov_b32_e32 v0, v23
.LBB186_644:                            ;   in Loop: Header=BB186_561 Depth=1
	s_or_b32 exec_lo, exec_lo, s27
.LBB186_645:                            ;   in Loop: Header=BB186_561 Depth=1
	s_delay_alu instid0(SALU_CYCLE_1)
	s_or_b32 exec_lo, exec_lo, s26
.LBB186_646:                            ;   in Loop: Header=BB186_561 Depth=1
	s_delay_alu instid0(SALU_CYCLE_1) | instskip(SKIP_4) | instid1(VALU_DEP_3)
	s_or_b32 exec_lo, exec_lo, s25
	v_lshrrev_b32_e32 v45, 16, v44
	v_mov_b64_e32 v[40:41], 0
	v_mov_b64_e32 v[42:43], 0
	s_mov_b32 s25, exec_lo
	v_and_b32_e32 v22, 0xff, v45
	s_delay_alu instid0(VALU_DEP_1)
	v_cmpx_ne_u16_e32 0, v22
	s_cbranch_execz .LBB186_654
; %bb.647:                              ;   in Loop: Header=BB186_561 Depth=1
	v_mov_b64_e32 v[42:43], 0x80000000
	s_mov_b32 s26, exec_lo
	v_cmpx_ne_u16_e32 0x80, v22
	s_cbranch_execz .LBB186_653
; %bb.648:                              ;   in Loop: Header=BB186_561 Depth=1
	v_mov_b64_e32 v[42:43], 0x7f800001
	v_bfe_u32 v46, v44, 16, 7
	s_mov_b32 s27, exec_lo
	s_delay_alu instid0(VALU_DEP_1)
	v_cmpx_ne_u32_e32 0x7f, v46
	s_cbranch_execz .LBB186_652
; %bb.649:                              ;   in Loop: Header=BB186_561 Depth=1
	v_dual_lshrrev_b32 v42, 3, v46 :: v_dual_bitop2_b32 v22, 7, v45 bitop3:0x40
	s_mov_b32 s28, exec_lo
	v_cmpx_gt_u32_e32 8, v46
; %bb.650:                              ;   in Loop: Header=BB186_561 Depth=1
	s_delay_alu instid0(VALU_DEP_2) | instskip(NEXT) | instid1(VALU_DEP_1)
	v_clz_i32_u32_e32 v42, v22
	v_min_u32_e32 v42, 32, v42
	s_delay_alu instid0(VALU_DEP_1) | instskip(SKIP_1) | instid1(VALU_DEP_2)
	v_subrev_nc_u32_e32 v43, 28, v42
	v_sub_nc_u32_e32 v42, 29, v42
	v_lshlrev_b64_e32 v[46:47], v43, v[22:23]
	s_delay_alu instid0(VALU_DEP_1)
	v_and_b32_e32 v22, 7, v46
; %bb.651:                              ;   in Loop: Header=BB186_561 Depth=1
	s_or_b32 exec_lo, exec_lo, s28
	s_delay_alu instid0(VALU_DEP_1) | instskip(SKIP_1) | instid1(VALU_DEP_2)
	v_dual_lshlrev_b32 v43, 24, v45 :: v_dual_lshlrev_b32 v22, 20, v22
	v_lshl_add_u32 v42, v42, 23, 0x3c000000
	v_and_b32_e32 v43, 0x80000000, v43
	s_delay_alu instid0(VALU_DEP_1) | instskip(NEXT) | instid1(VALU_DEP_1)
	v_or3_b32 v22, v22, v43, v42
	v_mov_b64_e32 v[42:43], v[22:23]
.LBB186_652:                            ;   in Loop: Header=BB186_561 Depth=1
	s_or_b32 exec_lo, exec_lo, s27
.LBB186_653:                            ;   in Loop: Header=BB186_561 Depth=1
	s_delay_alu instid0(SALU_CYCLE_1)
	s_or_b32 exec_lo, exec_lo, s26
.LBB186_654:                            ;   in Loop: Header=BB186_561 Depth=1
	s_delay_alu instid0(SALU_CYCLE_1) | instskip(NEXT) | instid1(SALU_CYCLE_1)
	s_or_b32 exec_lo, exec_lo, s25
	s_mov_b32 s25, exec_lo
	v_cmpx_lt_u32_e32 0xffffff, v44
	s_cbranch_execz .LBB186_662
; %bb.655:                              ;   in Loop: Header=BB186_561 Depth=1
	v_mov_b64_e32 v[40:41], 0x8000000000000000
	v_lshrrev_b32_e32 v45, 24, v44
	s_mov_b32 s26, exec_lo
	s_delay_alu instid0(VALU_DEP_1)
	v_cmpx_ne_u32_e32 0x80, v45
	s_cbranch_execz .LBB186_661
; %bb.656:                              ;   in Loop: Header=BB186_561 Depth=1
	v_mov_b64_e32 v[40:41], 0x7f80000100000000
	v_bfe_u32 v44, v44, 24, 7
	s_mov_b32 s27, exec_lo
	s_delay_alu instid0(VALU_DEP_1)
	v_cmpx_ne_u32_e32 0x7f, v44
	s_cbranch_execz .LBB186_660
; %bb.657:                              ;   in Loop: Header=BB186_561 Depth=1
	v_dual_lshrrev_b32 v40, 3, v44 :: v_dual_bitop2_b32 v22, 7, v45 bitop3:0x40
	s_mov_b32 s28, exec_lo
	v_cmpx_gt_u32_e32 8, v44
; %bb.658:                              ;   in Loop: Header=BB186_561 Depth=1
	s_delay_alu instid0(VALU_DEP_2) | instskip(NEXT) | instid1(VALU_DEP_1)
	v_clz_i32_u32_e32 v40, v22
	v_min_u32_e32 v40, 32, v40
	s_delay_alu instid0(VALU_DEP_1) | instskip(NEXT) | instid1(VALU_DEP_1)
	v_subrev_nc_u32_e32 v41, 28, v40
	v_lshlrev_b64_e32 v[46:47], v41, v[22:23]
	s_delay_alu instid0(VALU_DEP_1)
	v_dual_sub_nc_u32 v40, 29, v40 :: v_dual_bitop2_b32 v22, 7, v46 bitop3:0x40
; %bb.659:                              ;   in Loop: Header=BB186_561 Depth=1
	s_or_b32 exec_lo, exec_lo, s28
	s_delay_alu instid0(VALU_DEP_1) | instskip(NEXT) | instid1(VALU_DEP_2)
	v_dual_lshlrev_b32 v41, 24, v45 :: v_dual_lshlrev_b32 v22, 20, v22
	v_lshl_add_u32 v40, v40, 23, 0x3c000000
	s_delay_alu instid0(VALU_DEP_2) | instskip(NEXT) | instid1(VALU_DEP_1)
	v_and_b32_e32 v41, 0x80000000, v41
	v_or3_b32 v41, v22, v41, v40
	v_mov_b32_e32 v40, v23
.LBB186_660:                            ;   in Loop: Header=BB186_561 Depth=1
	s_or_b32 exec_lo, exec_lo, s27
.LBB186_661:                            ;   in Loop: Header=BB186_561 Depth=1
	s_delay_alu instid0(SALU_CYCLE_1)
	s_or_b32 exec_lo, exec_lo, s26
.LBB186_662:                            ;   in Loop: Header=BB186_561 Depth=1
	s_delay_alu instid0(SALU_CYCLE_1)
	s_or_b32 exec_lo, exec_lo, s25
	v_or_b32_e32 v1, v1, v39
	v_or_b32_e32 v0, v0, v38
	v_mov_b64_e32 v[38:39], s[8:9]
	v_or_b32_e32 v43, v41, v43
	v_or_b32_e32 v42, v40, v42
	s_delay_alu instid0(VALU_DEP_3) | instskip(NEXT) | instid1(VALU_DEP_2)
	v_pk_mul_f32 v[40:41], v[38:39], v[0:1]
	v_pk_mul_f32 v[38:39], v[38:39], v[42:43]
	s_and_saveexec_b32 s25, vcc_lo
	s_cbranch_execz .LBB186_664
; %bb.663:                              ;   in Loop: Header=BB186_561 Depth=1
	v_cmp_gt_i32_e64 s0, s34, v51
	s_delay_alu instid0(VALU_DEP_1) | instskip(SKIP_1) | instid1(VALU_DEP_1)
	v_cndmask_b32_e64 v40, 0, v40, s0
	v_cmp_gt_i32_e64 s0, s34, v103
	v_cndmask_b32_e64 v41, 0, v41, s0
	v_cmp_gt_i32_e64 s0, s34, v95
	s_delay_alu instid0(VALU_DEP_1) | instskip(SKIP_1) | instid1(VALU_DEP_1)
	v_cndmask_b32_e64 v38, 0, v38, s0
	v_cmp_gt_i32_e64 s0, s34, v94
	v_cndmask_b32_e64 v39, 0, v39, s0
.LBB186_664:                            ;   in Loop: Header=BB186_561 Depth=1
	s_or_b32 exec_lo, exec_lo, s25
	global_load_b32 v48, v[32:33], off offset:384
	v_mov_b64_e32 v[0:1], 0
	v_mov_b64_e32 v[42:43], 0
	s_mov_b32 s25, exec_lo
	s_wait_loadcnt 0x0
	v_and_b32_e32 v22, 0xff, v48
	s_delay_alu instid0(VALU_DEP_1)
	v_cmpx_ne_u16_e32 0, v22
	s_cbranch_execz .LBB186_672
; %bb.665:                              ;   in Loop: Header=BB186_561 Depth=1
	v_mov_b64_e32 v[42:43], 0x80000000
	s_mov_b32 s26, exec_lo
	v_cmpx_ne_u16_e32 0x80, v22
	s_cbranch_execz .LBB186_671
; %bb.666:                              ;   in Loop: Header=BB186_561 Depth=1
	v_mov_b64_e32 v[42:43], 0x7f800001
	v_and_b32_e32 v44, 0x7f, v48
	s_mov_b32 s27, exec_lo
	s_delay_alu instid0(VALU_DEP_1)
	v_cmpx_ne_u32_e32 0x7f, v44
	s_cbranch_execz .LBB186_670
; %bb.667:                              ;   in Loop: Header=BB186_561 Depth=1
	v_and_b32_e32 v22, 7, v48
	v_lshrrev_b32_e32 v42, 3, v44
	s_mov_b32 s28, exec_lo
	v_cmpx_gt_u32_e32 8, v44
; %bb.668:                              ;   in Loop: Header=BB186_561 Depth=1
	s_delay_alu instid0(VALU_DEP_3) | instskip(NEXT) | instid1(VALU_DEP_1)
	v_clz_i32_u32_e32 v42, v22
	v_min_u32_e32 v42, 32, v42
	s_delay_alu instid0(VALU_DEP_1) | instskip(NEXT) | instid1(VALU_DEP_1)
	v_subrev_nc_u32_e32 v43, 28, v42
	v_lshlrev_b64_e32 v[44:45], v43, v[22:23]
	s_delay_alu instid0(VALU_DEP_1)
	v_dual_sub_nc_u32 v42, 29, v42 :: v_dual_bitop2_b32 v22, 7, v44 bitop3:0x40
; %bb.669:                              ;   in Loop: Header=BB186_561 Depth=1
	s_or_b32 exec_lo, exec_lo, s28
	s_delay_alu instid0(VALU_DEP_1) | instskip(NEXT) | instid1(VALU_DEP_2)
	v_dual_lshlrev_b32 v43, 24, v48 :: v_dual_lshlrev_b32 v22, 20, v22
	v_lshl_add_u32 v42, v42, 23, 0x3c000000
	s_delay_alu instid0(VALU_DEP_2) | instskip(NEXT) | instid1(VALU_DEP_1)
	v_and_b32_e32 v43, 0x80000000, v43
	v_or3_b32 v22, v22, v43, v42
	s_delay_alu instid0(VALU_DEP_1)
	v_mov_b64_e32 v[42:43], v[22:23]
.LBB186_670:                            ;   in Loop: Header=BB186_561 Depth=1
	s_or_b32 exec_lo, exec_lo, s27
.LBB186_671:                            ;   in Loop: Header=BB186_561 Depth=1
	s_delay_alu instid0(SALU_CYCLE_1)
	s_or_b32 exec_lo, exec_lo, s26
.LBB186_672:                            ;   in Loop: Header=BB186_561 Depth=1
	s_delay_alu instid0(SALU_CYCLE_1) | instskip(SKIP_2) | instid1(VALU_DEP_1)
	s_or_b32 exec_lo, exec_lo, s25
	v_lshrrev_b16 v22, 8, v48
	s_mov_b32 s25, exec_lo
	v_cmpx_ne_u16_e32 0, v22
	s_cbranch_execz .LBB186_680
; %bb.673:                              ;   in Loop: Header=BB186_561 Depth=1
	v_mov_b64_e32 v[0:1], 0x8000000000000000
	s_mov_b32 s26, exec_lo
	v_cmpx_ne_u16_e32 0x80, v22
	s_cbranch_execz .LBB186_679
; %bb.674:                              ;   in Loop: Header=BB186_561 Depth=1
	v_and_b32_e32 v22, 0xffff, v22
	v_mov_b64_e32 v[0:1], 0x7f80000100000000
	s_mov_b32 s27, exec_lo
	s_delay_alu instid0(VALU_DEP_2) | instskip(NEXT) | instid1(VALU_DEP_1)
	v_and_b32_e32 v44, 0x7f, v22
	v_cmpx_ne_u32_e32 0x7f, v44
	s_cbranch_execz .LBB186_678
; %bb.675:                              ;   in Loop: Header=BB186_561 Depth=1
	v_dual_lshrrev_b32 v0, 3, v44 :: v_dual_bitop2_b32 v22, 7, v22 bitop3:0x40
	s_mov_b32 s28, exec_lo
	v_cmpx_gt_u32_e32 8, v44
; %bb.676:                              ;   in Loop: Header=BB186_561 Depth=1
	s_delay_alu instid0(VALU_DEP_2) | instskip(NEXT) | instid1(VALU_DEP_1)
	v_clz_i32_u32_e32 v0, v22
	v_min_u32_e32 v0, 32, v0
	s_delay_alu instid0(VALU_DEP_1) | instskip(SKIP_1) | instid1(VALU_DEP_2)
	v_subrev_nc_u32_e32 v1, 28, v0
	v_sub_nc_u32_e32 v0, 29, v0
	v_lshlrev_b64_e32 v[44:45], v1, v[22:23]
	s_delay_alu instid0(VALU_DEP_1)
	v_and_b32_e32 v22, 7, v44
; %bb.677:                              ;   in Loop: Header=BB186_561 Depth=1
	s_or_b32 exec_lo, exec_lo, s28
	s_delay_alu instid0(VALU_DEP_1) | instskip(SKIP_1) | instid1(VALU_DEP_2)
	v_dual_lshlrev_b32 v1, 16, v48 :: v_dual_lshlrev_b32 v22, 20, v22
	v_lshl_add_u32 v0, v0, 23, 0x3c000000
	v_and_b32_e32 v1, 0x80000000, v1
	s_delay_alu instid0(VALU_DEP_1)
	v_or3_b32 v1, v22, v1, v0
	v_mov_b32_e32 v0, v23
.LBB186_678:                            ;   in Loop: Header=BB186_561 Depth=1
	s_or_b32 exec_lo, exec_lo, s27
.LBB186_679:                            ;   in Loop: Header=BB186_561 Depth=1
	s_delay_alu instid0(SALU_CYCLE_1)
	s_or_b32 exec_lo, exec_lo, s26
.LBB186_680:                            ;   in Loop: Header=BB186_561 Depth=1
	s_delay_alu instid0(SALU_CYCLE_1) | instskip(SKIP_4) | instid1(VALU_DEP_3)
	s_or_b32 exec_lo, exec_lo, s25
	v_lshrrev_b32_e32 v49, 16, v48
	v_mov_b64_e32 v[44:45], 0
	v_mov_b64_e32 v[46:47], 0
	s_mov_b32 s25, exec_lo
	v_and_b32_e32 v22, 0xff, v49
	s_delay_alu instid0(VALU_DEP_1)
	v_cmpx_ne_u16_e32 0, v22
	s_cbranch_execz .LBB186_688
; %bb.681:                              ;   in Loop: Header=BB186_561 Depth=1
	v_mov_b64_e32 v[46:47], 0x80000000
	s_mov_b32 s26, exec_lo
	v_cmpx_ne_u16_e32 0x80, v22
	s_cbranch_execz .LBB186_687
; %bb.682:                              ;   in Loop: Header=BB186_561 Depth=1
	v_mov_b64_e32 v[46:47], 0x7f800001
	v_bfe_u32 v52, v48, 16, 7
	s_mov_b32 s27, exec_lo
	s_delay_alu instid0(VALU_DEP_1)
	v_cmpx_ne_u32_e32 0x7f, v52
	s_cbranch_execz .LBB186_686
; %bb.683:                              ;   in Loop: Header=BB186_561 Depth=1
	v_dual_lshrrev_b32 v46, 3, v52 :: v_dual_bitop2_b32 v22, 7, v49 bitop3:0x40
	s_mov_b32 s28, exec_lo
	v_cmpx_gt_u32_e32 8, v52
; %bb.684:                              ;   in Loop: Header=BB186_561 Depth=1
	s_delay_alu instid0(VALU_DEP_2) | instskip(NEXT) | instid1(VALU_DEP_1)
	v_clz_i32_u32_e32 v46, v22
	v_min_u32_e32 v46, 32, v46
	s_delay_alu instid0(VALU_DEP_1) | instskip(NEXT) | instid1(VALU_DEP_1)
	v_subrev_nc_u32_e32 v47, 28, v46
	v_lshlrev_b64_e32 v[52:53], v47, v[22:23]
	s_delay_alu instid0(VALU_DEP_1)
	v_dual_sub_nc_u32 v46, 29, v46 :: v_dual_bitop2_b32 v22, 7, v52 bitop3:0x40
; %bb.685:                              ;   in Loop: Header=BB186_561 Depth=1
	s_or_b32 exec_lo, exec_lo, s28
	s_delay_alu instid0(VALU_DEP_1) | instskip(NEXT) | instid1(VALU_DEP_2)
	v_dual_lshlrev_b32 v47, 24, v49 :: v_dual_lshlrev_b32 v22, 20, v22
	v_lshl_add_u32 v46, v46, 23, 0x3c000000
	s_delay_alu instid0(VALU_DEP_2) | instskip(NEXT) | instid1(VALU_DEP_1)
	v_and_b32_e32 v47, 0x80000000, v47
	v_or3_b32 v22, v22, v47, v46
	s_delay_alu instid0(VALU_DEP_1)
	v_mov_b64_e32 v[46:47], v[22:23]
.LBB186_686:                            ;   in Loop: Header=BB186_561 Depth=1
	s_or_b32 exec_lo, exec_lo, s27
.LBB186_687:                            ;   in Loop: Header=BB186_561 Depth=1
	s_delay_alu instid0(SALU_CYCLE_1)
	s_or_b32 exec_lo, exec_lo, s26
.LBB186_688:                            ;   in Loop: Header=BB186_561 Depth=1
	s_delay_alu instid0(SALU_CYCLE_1) | instskip(NEXT) | instid1(SALU_CYCLE_1)
	s_or_b32 exec_lo, exec_lo, s25
	s_mov_b32 s25, exec_lo
	v_cmpx_lt_u32_e32 0xffffff, v48
	s_cbranch_execz .LBB186_696
; %bb.689:                              ;   in Loop: Header=BB186_561 Depth=1
	v_mov_b64_e32 v[44:45], 0x8000000000000000
	v_lshrrev_b32_e32 v49, 24, v48
	s_mov_b32 s26, exec_lo
	s_delay_alu instid0(VALU_DEP_1)
	v_cmpx_ne_u32_e32 0x80, v49
	s_cbranch_execz .LBB186_695
; %bb.690:                              ;   in Loop: Header=BB186_561 Depth=1
	v_mov_b64_e32 v[44:45], 0x7f80000100000000
	v_bfe_u32 v48, v48, 24, 7
	s_mov_b32 s27, exec_lo
	s_delay_alu instid0(VALU_DEP_1)
	v_cmpx_ne_u32_e32 0x7f, v48
	s_cbranch_execz .LBB186_694
; %bb.691:                              ;   in Loop: Header=BB186_561 Depth=1
	v_dual_lshrrev_b32 v44, 3, v48 :: v_dual_bitop2_b32 v22, 7, v49 bitop3:0x40
	s_mov_b32 s28, exec_lo
	v_cmpx_gt_u32_e32 8, v48
; %bb.692:                              ;   in Loop: Header=BB186_561 Depth=1
	s_delay_alu instid0(VALU_DEP_2) | instskip(NEXT) | instid1(VALU_DEP_1)
	v_clz_i32_u32_e32 v44, v22
	v_min_u32_e32 v44, 32, v44
	s_delay_alu instid0(VALU_DEP_1) | instskip(SKIP_1) | instid1(VALU_DEP_2)
	v_subrev_nc_u32_e32 v45, 28, v44
	v_sub_nc_u32_e32 v44, 29, v44
	v_lshlrev_b64_e32 v[52:53], v45, v[22:23]
	s_delay_alu instid0(VALU_DEP_1)
	v_and_b32_e32 v22, 7, v52
; %bb.693:                              ;   in Loop: Header=BB186_561 Depth=1
	s_or_b32 exec_lo, exec_lo, s28
	s_delay_alu instid0(VALU_DEP_1) | instskip(SKIP_1) | instid1(VALU_DEP_2)
	v_dual_lshlrev_b32 v45, 24, v49 :: v_dual_lshlrev_b32 v22, 20, v22
	v_lshl_add_u32 v44, v44, 23, 0x3c000000
	v_and_b32_e32 v45, 0x80000000, v45
	s_delay_alu instid0(VALU_DEP_1)
	v_or3_b32 v45, v22, v45, v44
	v_mov_b32_e32 v44, v23
.LBB186_694:                            ;   in Loop: Header=BB186_561 Depth=1
	s_or_b32 exec_lo, exec_lo, s27
.LBB186_695:                            ;   in Loop: Header=BB186_561 Depth=1
	s_delay_alu instid0(SALU_CYCLE_1)
	s_or_b32 exec_lo, exec_lo, s26
.LBB186_696:                            ;   in Loop: Header=BB186_561 Depth=1
	s_delay_alu instid0(SALU_CYCLE_1)
	s_or_b32 exec_lo, exec_lo, s25
	v_or_b32_e32 v1, v1, v43
	v_or_b32_e32 v0, v0, v42
	v_mov_b64_e32 v[42:43], s[8:9]
	v_or_b32_e32 v47, v45, v47
	v_or_b32_e32 v46, v44, v46
	s_delay_alu instid0(VALU_DEP_3) | instskip(NEXT) | instid1(VALU_DEP_2)
	v_pk_mul_f32 v[44:45], v[42:43], v[0:1]
	v_pk_mul_f32 v[42:43], v[42:43], v[46:47]
	s_and_saveexec_b32 s25, vcc_lo
	s_cbranch_execz .LBB186_698
; %bb.697:                              ;   in Loop: Header=BB186_561 Depth=1
	v_cmp_gt_i32_e64 s0, s34, v51
	s_delay_alu instid0(VALU_DEP_1) | instskip(SKIP_1) | instid1(VALU_DEP_1)
	v_cndmask_b32_e64 v44, 0, v44, s0
	v_cmp_gt_i32_e64 s0, s34, v103
	v_cndmask_b32_e64 v45, 0, v45, s0
	v_cmp_gt_i32_e64 s0, s34, v95
	s_delay_alu instid0(VALU_DEP_1) | instskip(SKIP_1) | instid1(VALU_DEP_1)
	v_cndmask_b32_e64 v42, 0, v42, s0
	v_cmp_gt_i32_e64 s0, s34, v94
	v_cndmask_b32_e64 v43, 0, v43, s0
.LBB186_698:                            ;   in Loop: Header=BB186_561 Depth=1
	s_or_b32 exec_lo, exec_lo, s25
	global_load_b32 v54, v[32:33], off offset:512
	v_mov_b64_e32 v[0:1], 0
	v_mov_b64_e32 v[46:47], 0
	s_mov_b32 s25, exec_lo
	s_wait_loadcnt 0x0
	v_and_b32_e32 v22, 0xff, v54
	s_delay_alu instid0(VALU_DEP_1)
	v_cmpx_ne_u16_e32 0, v22
	s_cbranch_execz .LBB186_706
; %bb.699:                              ;   in Loop: Header=BB186_561 Depth=1
	v_mov_b64_e32 v[46:47], 0x80000000
	s_mov_b32 s26, exec_lo
	v_cmpx_ne_u16_e32 0x80, v22
	s_cbranch_execz .LBB186_705
; %bb.700:                              ;   in Loop: Header=BB186_561 Depth=1
	v_mov_b64_e32 v[46:47], 0x7f800001
	v_and_b32_e32 v48, 0x7f, v54
	s_mov_b32 s27, exec_lo
	s_delay_alu instid0(VALU_DEP_1)
	v_cmpx_ne_u32_e32 0x7f, v48
	s_cbranch_execz .LBB186_704
; %bb.701:                              ;   in Loop: Header=BB186_561 Depth=1
	v_dual_lshrrev_b32 v46, 3, v48 :: v_dual_bitop2_b32 v22, 7, v54 bitop3:0x40
	s_mov_b32 s28, exec_lo
	v_cmpx_gt_u32_e32 8, v48
; %bb.702:                              ;   in Loop: Header=BB186_561 Depth=1
	s_delay_alu instid0(VALU_DEP_2) | instskip(NEXT) | instid1(VALU_DEP_1)
	v_clz_i32_u32_e32 v46, v22
	v_min_u32_e32 v46, 32, v46
	s_delay_alu instid0(VALU_DEP_1) | instskip(NEXT) | instid1(VALU_DEP_1)
	v_subrev_nc_u32_e32 v47, 28, v46
	v_lshlrev_b64_e32 v[48:49], v47, v[22:23]
	s_delay_alu instid0(VALU_DEP_1)
	v_dual_sub_nc_u32 v46, 29, v46 :: v_dual_bitop2_b32 v22, 7, v48 bitop3:0x40
; %bb.703:                              ;   in Loop: Header=BB186_561 Depth=1
	s_or_b32 exec_lo, exec_lo, s28
	v_lshlrev_b32_e32 v47, 24, v54
	s_delay_alu instid0(VALU_DEP_2) | instskip(NEXT) | instid1(VALU_DEP_3)
	v_lshlrev_b32_e32 v22, 20, v22
	v_lshl_add_u32 v46, v46, 23, 0x3c000000
	s_delay_alu instid0(VALU_DEP_3) | instskip(NEXT) | instid1(VALU_DEP_1)
	v_and_b32_e32 v47, 0x80000000, v47
	v_or3_b32 v22, v22, v47, v46
	s_delay_alu instid0(VALU_DEP_1)
	v_mov_b64_e32 v[46:47], v[22:23]
.LBB186_704:                            ;   in Loop: Header=BB186_561 Depth=1
	s_or_b32 exec_lo, exec_lo, s27
.LBB186_705:                            ;   in Loop: Header=BB186_561 Depth=1
	s_delay_alu instid0(SALU_CYCLE_1)
	s_or_b32 exec_lo, exec_lo, s26
.LBB186_706:                            ;   in Loop: Header=BB186_561 Depth=1
	s_delay_alu instid0(SALU_CYCLE_1) | instskip(SKIP_2) | instid1(VALU_DEP_1)
	s_or_b32 exec_lo, exec_lo, s25
	v_lshrrev_b16 v22, 8, v54
	s_mov_b32 s25, exec_lo
	v_cmpx_ne_u16_e32 0, v22
	s_cbranch_execz .LBB186_714
; %bb.707:                              ;   in Loop: Header=BB186_561 Depth=1
	v_mov_b64_e32 v[0:1], 0x8000000000000000
	s_mov_b32 s26, exec_lo
	v_cmpx_ne_u16_e32 0x80, v22
	s_cbranch_execz .LBB186_713
; %bb.708:                              ;   in Loop: Header=BB186_561 Depth=1
	v_and_b32_e32 v22, 0xffff, v22
	v_mov_b64_e32 v[0:1], 0x7f80000100000000
	s_mov_b32 s27, exec_lo
	s_delay_alu instid0(VALU_DEP_2) | instskip(NEXT) | instid1(VALU_DEP_1)
	v_and_b32_e32 v48, 0x7f, v22
	v_cmpx_ne_u32_e32 0x7f, v48
	s_cbranch_execz .LBB186_712
; %bb.709:                              ;   in Loop: Header=BB186_561 Depth=1
	v_dual_lshrrev_b32 v0, 3, v48 :: v_dual_bitop2_b32 v22, 7, v22 bitop3:0x40
	s_mov_b32 s28, exec_lo
	v_cmpx_gt_u32_e32 8, v48
; %bb.710:                              ;   in Loop: Header=BB186_561 Depth=1
	s_delay_alu instid0(VALU_DEP_2) | instskip(NEXT) | instid1(VALU_DEP_1)
	v_clz_i32_u32_e32 v0, v22
	v_min_u32_e32 v0, 32, v0
	s_delay_alu instid0(VALU_DEP_1) | instskip(SKIP_1) | instid1(VALU_DEP_2)
	v_subrev_nc_u32_e32 v1, 28, v0
	v_sub_nc_u32_e32 v0, 29, v0
	v_lshlrev_b64_e32 v[48:49], v1, v[22:23]
	s_delay_alu instid0(VALU_DEP_1)
	v_and_b32_e32 v22, 7, v48
; %bb.711:                              ;   in Loop: Header=BB186_561 Depth=1
	s_or_b32 exec_lo, exec_lo, s28
	v_lshlrev_b32_e32 v1, 16, v54
	s_delay_alu instid0(VALU_DEP_2) | instskip(SKIP_1) | instid1(VALU_DEP_3)
	v_lshlrev_b32_e32 v22, 20, v22
	v_lshl_add_u32 v0, v0, 23, 0x3c000000
	v_and_b32_e32 v1, 0x80000000, v1
	s_delay_alu instid0(VALU_DEP_1)
	v_or3_b32 v1, v22, v1, v0
	v_mov_b32_e32 v0, v23
.LBB186_712:                            ;   in Loop: Header=BB186_561 Depth=1
	s_or_b32 exec_lo, exec_lo, s27
.LBB186_713:                            ;   in Loop: Header=BB186_561 Depth=1
	s_delay_alu instid0(SALU_CYCLE_1)
	s_or_b32 exec_lo, exec_lo, s26
.LBB186_714:                            ;   in Loop: Header=BB186_561 Depth=1
	s_delay_alu instid0(SALU_CYCLE_1) | instskip(SKIP_4) | instid1(VALU_DEP_3)
	s_or_b32 exec_lo, exec_lo, s25
	v_lshrrev_b32_e32 v55, 16, v54
	v_mov_b64_e32 v[48:49], 0
	v_mov_b64_e32 v[52:53], 0
	s_mov_b32 s25, exec_lo
	v_and_b32_e32 v22, 0xff, v55
	s_delay_alu instid0(VALU_DEP_1)
	v_cmpx_ne_u16_e32 0, v22
	s_cbranch_execz .LBB186_722
; %bb.715:                              ;   in Loop: Header=BB186_561 Depth=1
	v_mov_b64_e32 v[52:53], 0x80000000
	s_mov_b32 s26, exec_lo
	v_cmpx_ne_u16_e32 0x80, v22
	s_cbranch_execz .LBB186_721
; %bb.716:                              ;   in Loop: Header=BB186_561 Depth=1
	v_mov_b64_e32 v[52:53], 0x7f800001
	v_bfe_u32 v56, v54, 16, 7
	s_mov_b32 s27, exec_lo
	s_delay_alu instid0(VALU_DEP_1)
	v_cmpx_ne_u32_e32 0x7f, v56
	s_cbranch_execz .LBB186_720
; %bb.717:                              ;   in Loop: Header=BB186_561 Depth=1
	v_dual_lshrrev_b32 v52, 3, v56 :: v_dual_bitop2_b32 v22, 7, v55 bitop3:0x40
	s_mov_b32 s28, exec_lo
	v_cmpx_gt_u32_e32 8, v56
; %bb.718:                              ;   in Loop: Header=BB186_561 Depth=1
	s_delay_alu instid0(VALU_DEP_2) | instskip(NEXT) | instid1(VALU_DEP_1)
	v_clz_i32_u32_e32 v52, v22
	v_min_u32_e32 v52, 32, v52
	s_delay_alu instid0(VALU_DEP_1) | instskip(SKIP_1) | instid1(VALU_DEP_2)
	v_subrev_nc_u32_e32 v53, 28, v52
	v_sub_nc_u32_e32 v52, 29, v52
	v_lshlrev_b64_e32 v[56:57], v53, v[22:23]
	s_delay_alu instid0(VALU_DEP_1)
	v_and_b32_e32 v22, 7, v56
; %bb.719:                              ;   in Loop: Header=BB186_561 Depth=1
	s_or_b32 exec_lo, exec_lo, s28
	s_delay_alu instid0(VALU_DEP_1) | instskip(SKIP_1) | instid1(VALU_DEP_2)
	v_dual_lshlrev_b32 v53, 24, v55 :: v_dual_lshlrev_b32 v22, 20, v22
	v_lshl_add_u32 v52, v52, 23, 0x3c000000
	v_and_b32_e32 v53, 0x80000000, v53
	s_delay_alu instid0(VALU_DEP_1) | instskip(NEXT) | instid1(VALU_DEP_1)
	v_or3_b32 v22, v22, v53, v52
	v_mov_b64_e32 v[52:53], v[22:23]
.LBB186_720:                            ;   in Loop: Header=BB186_561 Depth=1
	s_or_b32 exec_lo, exec_lo, s27
.LBB186_721:                            ;   in Loop: Header=BB186_561 Depth=1
	s_delay_alu instid0(SALU_CYCLE_1)
	s_or_b32 exec_lo, exec_lo, s26
.LBB186_722:                            ;   in Loop: Header=BB186_561 Depth=1
	s_delay_alu instid0(SALU_CYCLE_1) | instskip(NEXT) | instid1(SALU_CYCLE_1)
	s_or_b32 exec_lo, exec_lo, s25
	s_mov_b32 s25, exec_lo
	v_cmpx_lt_u32_e32 0xffffff, v54
	s_cbranch_execz .LBB186_730
; %bb.723:                              ;   in Loop: Header=BB186_561 Depth=1
	v_mov_b64_e32 v[48:49], 0x8000000000000000
	v_lshrrev_b32_e32 v55, 24, v54
	s_mov_b32 s26, exec_lo
	s_delay_alu instid0(VALU_DEP_1)
	v_cmpx_ne_u32_e32 0x80, v55
	s_cbranch_execz .LBB186_729
; %bb.724:                              ;   in Loop: Header=BB186_561 Depth=1
	v_mov_b64_e32 v[48:49], 0x7f80000100000000
	v_bfe_u32 v54, v54, 24, 7
	s_mov_b32 s27, exec_lo
	s_delay_alu instid0(VALU_DEP_1)
	v_cmpx_ne_u32_e32 0x7f, v54
	s_cbranch_execz .LBB186_728
; %bb.725:                              ;   in Loop: Header=BB186_561 Depth=1
	v_dual_lshrrev_b32 v48, 3, v54 :: v_dual_bitop2_b32 v22, 7, v55 bitop3:0x40
	s_mov_b32 s28, exec_lo
	v_cmpx_gt_u32_e32 8, v54
; %bb.726:                              ;   in Loop: Header=BB186_561 Depth=1
	s_delay_alu instid0(VALU_DEP_2) | instskip(NEXT) | instid1(VALU_DEP_1)
	v_clz_i32_u32_e32 v48, v22
	v_min_u32_e32 v48, 32, v48
	s_delay_alu instid0(VALU_DEP_1) | instskip(SKIP_1) | instid1(VALU_DEP_2)
	v_subrev_nc_u32_e32 v49, 28, v48
	v_sub_nc_u32_e32 v48, 29, v48
	v_lshlrev_b64_e32 v[56:57], v49, v[22:23]
	s_delay_alu instid0(VALU_DEP_1)
	v_and_b32_e32 v22, 7, v56
; %bb.727:                              ;   in Loop: Header=BB186_561 Depth=1
	s_or_b32 exec_lo, exec_lo, s28
	s_delay_alu instid0(VALU_DEP_1) | instskip(SKIP_1) | instid1(VALU_DEP_2)
	v_dual_lshlrev_b32 v49, 24, v55 :: v_dual_lshlrev_b32 v22, 20, v22
	v_lshl_add_u32 v48, v48, 23, 0x3c000000
	v_and_b32_e32 v49, 0x80000000, v49
	s_delay_alu instid0(VALU_DEP_1)
	v_or3_b32 v49, v22, v49, v48
	v_mov_b32_e32 v48, v23
.LBB186_728:                            ;   in Loop: Header=BB186_561 Depth=1
	s_or_b32 exec_lo, exec_lo, s27
.LBB186_729:                            ;   in Loop: Header=BB186_561 Depth=1
	s_delay_alu instid0(SALU_CYCLE_1)
	s_or_b32 exec_lo, exec_lo, s26
.LBB186_730:                            ;   in Loop: Header=BB186_561 Depth=1
	s_delay_alu instid0(SALU_CYCLE_1)
	s_or_b32 exec_lo, exec_lo, s25
	v_or_b32_e32 v1, v1, v47
	v_or_b32_e32 v0, v0, v46
	v_mov_b64_e32 v[46:47], s[8:9]
	v_or_b32_e32 v53, v49, v53
	v_or_b32_e32 v52, v48, v52
	s_delay_alu instid0(VALU_DEP_3) | instskip(NEXT) | instid1(VALU_DEP_2)
	v_pk_mul_f32 v[48:49], v[46:47], v[0:1]
	v_pk_mul_f32 v[46:47], v[46:47], v[52:53]
	s_and_saveexec_b32 s25, vcc_lo
	s_cbranch_execz .LBB186_732
; %bb.731:                              ;   in Loop: Header=BB186_561 Depth=1
	v_cmp_gt_i32_e64 s0, s34, v51
	s_delay_alu instid0(VALU_DEP_1) | instskip(SKIP_1) | instid1(VALU_DEP_1)
	v_cndmask_b32_e64 v48, 0, v48, s0
	v_cmp_gt_i32_e64 s0, s34, v103
	v_cndmask_b32_e64 v49, 0, v49, s0
	v_cmp_gt_i32_e64 s0, s34, v95
	s_delay_alu instid0(VALU_DEP_1) | instskip(SKIP_1) | instid1(VALU_DEP_1)
	v_cndmask_b32_e64 v46, 0, v46, s0
	v_cmp_gt_i32_e64 s0, s34, v94
	v_cndmask_b32_e64 v47, 0, v47, s0
.LBB186_732:                            ;   in Loop: Header=BB186_561 Depth=1
	s_or_b32 exec_lo, exec_lo, s25
	global_load_b32 v58, v[32:33], off offset:640
	v_mov_b64_e32 v[0:1], 0
	v_mov_b64_e32 v[52:53], 0
	s_mov_b32 s25, exec_lo
	s_wait_loadcnt 0x0
	v_and_b32_e32 v22, 0xff, v58
	s_delay_alu instid0(VALU_DEP_1)
	v_cmpx_ne_u16_e32 0, v22
	s_cbranch_execz .LBB186_740
; %bb.733:                              ;   in Loop: Header=BB186_561 Depth=1
	v_mov_b64_e32 v[52:53], 0x80000000
	s_mov_b32 s26, exec_lo
	v_cmpx_ne_u16_e32 0x80, v22
	s_cbranch_execz .LBB186_739
; %bb.734:                              ;   in Loop: Header=BB186_561 Depth=1
	v_mov_b64_e32 v[52:53], 0x7f800001
	v_and_b32_e32 v54, 0x7f, v58
	s_mov_b32 s27, exec_lo
	s_delay_alu instid0(VALU_DEP_1)
	v_cmpx_ne_u32_e32 0x7f, v54
	s_cbranch_execz .LBB186_738
; %bb.735:                              ;   in Loop: Header=BB186_561 Depth=1
	v_and_b32_e32 v22, 7, v58
	v_lshrrev_b32_e32 v52, 3, v54
	s_mov_b32 s28, exec_lo
	v_cmpx_gt_u32_e32 8, v54
; %bb.736:                              ;   in Loop: Header=BB186_561 Depth=1
	s_delay_alu instid0(VALU_DEP_3) | instskip(NEXT) | instid1(VALU_DEP_1)
	v_clz_i32_u32_e32 v52, v22
	v_min_u32_e32 v52, 32, v52
	s_delay_alu instid0(VALU_DEP_1) | instskip(NEXT) | instid1(VALU_DEP_1)
	v_subrev_nc_u32_e32 v53, 28, v52
	v_lshlrev_b64_e32 v[54:55], v53, v[22:23]
	s_delay_alu instid0(VALU_DEP_1)
	v_dual_sub_nc_u32 v52, 29, v52 :: v_dual_bitop2_b32 v22, 7, v54 bitop3:0x40
; %bb.737:                              ;   in Loop: Header=BB186_561 Depth=1
	s_or_b32 exec_lo, exec_lo, s28
	v_lshlrev_b32_e32 v53, 24, v58
	s_delay_alu instid0(VALU_DEP_2) | instskip(NEXT) | instid1(VALU_DEP_3)
	v_lshlrev_b32_e32 v22, 20, v22
	v_lshl_add_u32 v52, v52, 23, 0x3c000000
	s_delay_alu instid0(VALU_DEP_3) | instskip(NEXT) | instid1(VALU_DEP_1)
	v_and_b32_e32 v53, 0x80000000, v53
	v_or3_b32 v22, v22, v53, v52
	s_delay_alu instid0(VALU_DEP_1)
	v_mov_b64_e32 v[52:53], v[22:23]
.LBB186_738:                            ;   in Loop: Header=BB186_561 Depth=1
	s_or_b32 exec_lo, exec_lo, s27
.LBB186_739:                            ;   in Loop: Header=BB186_561 Depth=1
	s_delay_alu instid0(SALU_CYCLE_1)
	s_or_b32 exec_lo, exec_lo, s26
.LBB186_740:                            ;   in Loop: Header=BB186_561 Depth=1
	s_delay_alu instid0(SALU_CYCLE_1) | instskip(SKIP_2) | instid1(VALU_DEP_1)
	s_or_b32 exec_lo, exec_lo, s25
	v_lshrrev_b16 v22, 8, v58
	s_mov_b32 s25, exec_lo
	v_cmpx_ne_u16_e32 0, v22
	s_cbranch_execz .LBB186_748
; %bb.741:                              ;   in Loop: Header=BB186_561 Depth=1
	v_mov_b64_e32 v[0:1], 0x8000000000000000
	s_mov_b32 s26, exec_lo
	v_cmpx_ne_u16_e32 0x80, v22
	s_cbranch_execz .LBB186_747
; %bb.742:                              ;   in Loop: Header=BB186_561 Depth=1
	v_and_b32_e32 v22, 0xffff, v22
	v_mov_b64_e32 v[0:1], 0x7f80000100000000
	s_mov_b32 s27, exec_lo
	s_delay_alu instid0(VALU_DEP_2) | instskip(NEXT) | instid1(VALU_DEP_1)
	v_and_b32_e32 v54, 0x7f, v22
	v_cmpx_ne_u32_e32 0x7f, v54
	s_cbranch_execz .LBB186_746
; %bb.743:                              ;   in Loop: Header=BB186_561 Depth=1
	v_and_b32_e32 v22, 7, v22
	v_lshrrev_b32_e32 v0, 3, v54
	s_mov_b32 s28, exec_lo
	v_cmpx_gt_u32_e32 8, v54
; %bb.744:                              ;   in Loop: Header=BB186_561 Depth=1
	s_delay_alu instid0(VALU_DEP_3) | instskip(NEXT) | instid1(VALU_DEP_1)
	v_clz_i32_u32_e32 v0, v22
	v_min_u32_e32 v0, 32, v0
	s_delay_alu instid0(VALU_DEP_1) | instskip(NEXT) | instid1(VALU_DEP_1)
	v_subrev_nc_u32_e32 v1, 28, v0
	v_lshlrev_b64_e32 v[54:55], v1, v[22:23]
	s_delay_alu instid0(VALU_DEP_1)
	v_dual_sub_nc_u32 v0, 29, v0 :: v_dual_bitop2_b32 v22, 7, v54 bitop3:0x40
; %bb.745:                              ;   in Loop: Header=BB186_561 Depth=1
	s_or_b32 exec_lo, exec_lo, s28
	v_lshlrev_b32_e32 v1, 16, v58
	s_delay_alu instid0(VALU_DEP_2) | instskip(NEXT) | instid1(VALU_DEP_3)
	v_lshlrev_b32_e32 v22, 20, v22
	v_lshl_add_u32 v0, v0, 23, 0x3c000000
	s_delay_alu instid0(VALU_DEP_3) | instskip(NEXT) | instid1(VALU_DEP_1)
	v_and_b32_e32 v1, 0x80000000, v1
	v_or3_b32 v1, v22, v1, v0
	v_mov_b32_e32 v0, v23
.LBB186_746:                            ;   in Loop: Header=BB186_561 Depth=1
	s_or_b32 exec_lo, exec_lo, s27
.LBB186_747:                            ;   in Loop: Header=BB186_561 Depth=1
	s_delay_alu instid0(SALU_CYCLE_1)
	s_or_b32 exec_lo, exec_lo, s26
.LBB186_748:                            ;   in Loop: Header=BB186_561 Depth=1
	s_delay_alu instid0(SALU_CYCLE_1) | instskip(SKIP_4) | instid1(VALU_DEP_3)
	s_or_b32 exec_lo, exec_lo, s25
	v_lshrrev_b32_e32 v59, 16, v58
	v_mov_b64_e32 v[54:55], 0
	v_mov_b64_e32 v[56:57], 0
	s_mov_b32 s25, exec_lo
	v_and_b32_e32 v22, 0xff, v59
	s_delay_alu instid0(VALU_DEP_1)
	v_cmpx_ne_u16_e32 0, v22
	s_cbranch_execz .LBB186_756
; %bb.749:                              ;   in Loop: Header=BB186_561 Depth=1
	v_mov_b64_e32 v[56:57], 0x80000000
	s_mov_b32 s26, exec_lo
	v_cmpx_ne_u16_e32 0x80, v22
	s_cbranch_execz .LBB186_755
; %bb.750:                              ;   in Loop: Header=BB186_561 Depth=1
	v_mov_b64_e32 v[56:57], 0x7f800001
	v_bfe_u32 v60, v58, 16, 7
	s_mov_b32 s27, exec_lo
	s_delay_alu instid0(VALU_DEP_1)
	v_cmpx_ne_u32_e32 0x7f, v60
	s_cbranch_execz .LBB186_754
; %bb.751:                              ;   in Loop: Header=BB186_561 Depth=1
	v_dual_lshrrev_b32 v56, 3, v60 :: v_dual_bitop2_b32 v22, 7, v59 bitop3:0x40
	s_mov_b32 s28, exec_lo
	v_cmpx_gt_u32_e32 8, v60
; %bb.752:                              ;   in Loop: Header=BB186_561 Depth=1
	s_delay_alu instid0(VALU_DEP_2) | instskip(NEXT) | instid1(VALU_DEP_1)
	v_clz_i32_u32_e32 v56, v22
	v_min_u32_e32 v56, 32, v56
	s_delay_alu instid0(VALU_DEP_1) | instskip(SKIP_1) | instid1(VALU_DEP_2)
	v_subrev_nc_u32_e32 v57, 28, v56
	v_sub_nc_u32_e32 v56, 29, v56
	v_lshlrev_b64_e32 v[60:61], v57, v[22:23]
	s_delay_alu instid0(VALU_DEP_1)
	v_and_b32_e32 v22, 7, v60
; %bb.753:                              ;   in Loop: Header=BB186_561 Depth=1
	s_or_b32 exec_lo, exec_lo, s28
	s_delay_alu instid0(VALU_DEP_1) | instskip(SKIP_1) | instid1(VALU_DEP_2)
	v_dual_lshlrev_b32 v57, 24, v59 :: v_dual_lshlrev_b32 v22, 20, v22
	v_lshl_add_u32 v56, v56, 23, 0x3c000000
	v_and_b32_e32 v57, 0x80000000, v57
	s_delay_alu instid0(VALU_DEP_1) | instskip(NEXT) | instid1(VALU_DEP_1)
	v_or3_b32 v22, v22, v57, v56
	v_mov_b64_e32 v[56:57], v[22:23]
.LBB186_754:                            ;   in Loop: Header=BB186_561 Depth=1
	s_or_b32 exec_lo, exec_lo, s27
.LBB186_755:                            ;   in Loop: Header=BB186_561 Depth=1
	s_delay_alu instid0(SALU_CYCLE_1)
	s_or_b32 exec_lo, exec_lo, s26
.LBB186_756:                            ;   in Loop: Header=BB186_561 Depth=1
	s_delay_alu instid0(SALU_CYCLE_1) | instskip(NEXT) | instid1(SALU_CYCLE_1)
	s_or_b32 exec_lo, exec_lo, s25
	s_mov_b32 s25, exec_lo
	v_cmpx_lt_u32_e32 0xffffff, v58
	s_cbranch_execz .LBB186_764
; %bb.757:                              ;   in Loop: Header=BB186_561 Depth=1
	v_mov_b64_e32 v[54:55], 0x8000000000000000
	v_lshrrev_b32_e32 v59, 24, v58
	s_mov_b32 s26, exec_lo
	s_delay_alu instid0(VALU_DEP_1)
	v_cmpx_ne_u32_e32 0x80, v59
	s_cbranch_execz .LBB186_763
; %bb.758:                              ;   in Loop: Header=BB186_561 Depth=1
	v_mov_b64_e32 v[54:55], 0x7f80000100000000
	v_bfe_u32 v58, v58, 24, 7
	s_mov_b32 s27, exec_lo
	s_delay_alu instid0(VALU_DEP_1)
	v_cmpx_ne_u32_e32 0x7f, v58
	s_cbranch_execz .LBB186_762
; %bb.759:                              ;   in Loop: Header=BB186_561 Depth=1
	v_dual_lshrrev_b32 v54, 3, v58 :: v_dual_bitop2_b32 v22, 7, v59 bitop3:0x40
	s_mov_b32 s28, exec_lo
	v_cmpx_gt_u32_e32 8, v58
; %bb.760:                              ;   in Loop: Header=BB186_561 Depth=1
	s_delay_alu instid0(VALU_DEP_2) | instskip(NEXT) | instid1(VALU_DEP_1)
	v_clz_i32_u32_e32 v54, v22
	v_min_u32_e32 v54, 32, v54
	s_delay_alu instid0(VALU_DEP_1) | instskip(NEXT) | instid1(VALU_DEP_1)
	v_subrev_nc_u32_e32 v55, 28, v54
	v_lshlrev_b64_e32 v[60:61], v55, v[22:23]
	s_delay_alu instid0(VALU_DEP_1)
	v_dual_sub_nc_u32 v54, 29, v54 :: v_dual_bitop2_b32 v22, 7, v60 bitop3:0x40
; %bb.761:                              ;   in Loop: Header=BB186_561 Depth=1
	s_or_b32 exec_lo, exec_lo, s28
	s_delay_alu instid0(VALU_DEP_1) | instskip(NEXT) | instid1(VALU_DEP_2)
	v_dual_lshlrev_b32 v55, 24, v59 :: v_dual_lshlrev_b32 v22, 20, v22
	v_lshl_add_u32 v54, v54, 23, 0x3c000000
	s_delay_alu instid0(VALU_DEP_2) | instskip(NEXT) | instid1(VALU_DEP_1)
	v_and_b32_e32 v55, 0x80000000, v55
	v_or3_b32 v55, v22, v55, v54
	v_mov_b32_e32 v54, v23
.LBB186_762:                            ;   in Loop: Header=BB186_561 Depth=1
	s_or_b32 exec_lo, exec_lo, s27
.LBB186_763:                            ;   in Loop: Header=BB186_561 Depth=1
	s_delay_alu instid0(SALU_CYCLE_1)
	s_or_b32 exec_lo, exec_lo, s26
.LBB186_764:                            ;   in Loop: Header=BB186_561 Depth=1
	s_delay_alu instid0(SALU_CYCLE_1)
	s_or_b32 exec_lo, exec_lo, s25
	v_or_b32_e32 v1, v1, v53
	v_or_b32_e32 v0, v0, v52
	v_mov_b64_e32 v[52:53], s[8:9]
	v_or_b32_e32 v57, v55, v57
	v_or_b32_e32 v56, v54, v56
	s_delay_alu instid0(VALU_DEP_3) | instskip(NEXT) | instid1(VALU_DEP_2)
	v_pk_mul_f32 v[54:55], v[52:53], v[0:1]
	v_pk_mul_f32 v[52:53], v[52:53], v[56:57]
	s_and_saveexec_b32 s25, vcc_lo
	s_cbranch_execz .LBB186_766
; %bb.765:                              ;   in Loop: Header=BB186_561 Depth=1
	v_cmp_gt_i32_e64 s0, s34, v51
	s_delay_alu instid0(VALU_DEP_1) | instskip(SKIP_1) | instid1(VALU_DEP_1)
	v_cndmask_b32_e64 v54, 0, v54, s0
	v_cmp_gt_i32_e64 s0, s34, v103
	v_cndmask_b32_e64 v55, 0, v55, s0
	v_cmp_gt_i32_e64 s0, s34, v95
	s_delay_alu instid0(VALU_DEP_1) | instskip(SKIP_1) | instid1(VALU_DEP_1)
	v_cndmask_b32_e64 v52, 0, v52, s0
	v_cmp_gt_i32_e64 s0, s34, v94
	v_cndmask_b32_e64 v53, 0, v53, s0
.LBB186_766:                            ;   in Loop: Header=BB186_561 Depth=1
	s_or_b32 exec_lo, exec_lo, s25
	global_load_b32 v62, v[32:33], off offset:768
	v_mov_b64_e32 v[0:1], 0
	v_mov_b64_e32 v[56:57], 0
	s_mov_b32 s25, exec_lo
	s_wait_loadcnt 0x0
	v_and_b32_e32 v22, 0xff, v62
	s_delay_alu instid0(VALU_DEP_1)
	v_cmpx_ne_u16_e32 0, v22
	s_cbranch_execz .LBB186_774
; %bb.767:                              ;   in Loop: Header=BB186_561 Depth=1
	v_mov_b64_e32 v[56:57], 0x80000000
	s_mov_b32 s26, exec_lo
	v_cmpx_ne_u16_e32 0x80, v22
	s_cbranch_execz .LBB186_773
; %bb.768:                              ;   in Loop: Header=BB186_561 Depth=1
	v_mov_b64_e32 v[56:57], 0x7f800001
	v_and_b32_e32 v58, 0x7f, v62
	s_mov_b32 s27, exec_lo
	s_delay_alu instid0(VALU_DEP_1)
	v_cmpx_ne_u32_e32 0x7f, v58
	s_cbranch_execz .LBB186_772
; %bb.769:                              ;   in Loop: Header=BB186_561 Depth=1
	v_and_b32_e32 v22, 7, v62
	v_lshrrev_b32_e32 v56, 3, v58
	s_mov_b32 s28, exec_lo
	v_cmpx_gt_u32_e32 8, v58
; %bb.770:                              ;   in Loop: Header=BB186_561 Depth=1
	s_delay_alu instid0(VALU_DEP_3) | instskip(NEXT) | instid1(VALU_DEP_1)
	v_clz_i32_u32_e32 v56, v22
	v_min_u32_e32 v56, 32, v56
	s_delay_alu instid0(VALU_DEP_1) | instskip(NEXT) | instid1(VALU_DEP_1)
	v_subrev_nc_u32_e32 v57, 28, v56
	v_lshlrev_b64_e32 v[58:59], v57, v[22:23]
	s_delay_alu instid0(VALU_DEP_1)
	v_dual_sub_nc_u32 v56, 29, v56 :: v_dual_bitop2_b32 v22, 7, v58 bitop3:0x40
; %bb.771:                              ;   in Loop: Header=BB186_561 Depth=1
	s_or_b32 exec_lo, exec_lo, s28
	v_lshlrev_b32_e32 v57, 24, v62
	s_delay_alu instid0(VALU_DEP_2) | instskip(NEXT) | instid1(VALU_DEP_3)
	v_lshlrev_b32_e32 v22, 20, v22
	v_lshl_add_u32 v56, v56, 23, 0x3c000000
	s_delay_alu instid0(VALU_DEP_3) | instskip(NEXT) | instid1(VALU_DEP_1)
	v_and_b32_e32 v57, 0x80000000, v57
	v_or3_b32 v22, v22, v57, v56
	s_delay_alu instid0(VALU_DEP_1)
	v_mov_b64_e32 v[56:57], v[22:23]
.LBB186_772:                            ;   in Loop: Header=BB186_561 Depth=1
	s_or_b32 exec_lo, exec_lo, s27
.LBB186_773:                            ;   in Loop: Header=BB186_561 Depth=1
	s_delay_alu instid0(SALU_CYCLE_1)
	s_or_b32 exec_lo, exec_lo, s26
.LBB186_774:                            ;   in Loop: Header=BB186_561 Depth=1
	s_delay_alu instid0(SALU_CYCLE_1) | instskip(SKIP_2) | instid1(VALU_DEP_1)
	s_or_b32 exec_lo, exec_lo, s25
	v_lshrrev_b16 v22, 8, v62
	s_mov_b32 s25, exec_lo
	v_cmpx_ne_u16_e32 0, v22
	s_cbranch_execz .LBB186_782
; %bb.775:                              ;   in Loop: Header=BB186_561 Depth=1
	v_mov_b64_e32 v[0:1], 0x8000000000000000
	s_mov_b32 s26, exec_lo
	v_cmpx_ne_u16_e32 0x80, v22
	s_cbranch_execz .LBB186_781
; %bb.776:                              ;   in Loop: Header=BB186_561 Depth=1
	v_and_b32_e32 v22, 0xffff, v22
	v_mov_b64_e32 v[0:1], 0x7f80000100000000
	s_mov_b32 s27, exec_lo
	s_delay_alu instid0(VALU_DEP_2) | instskip(NEXT) | instid1(VALU_DEP_1)
	v_and_b32_e32 v58, 0x7f, v22
	v_cmpx_ne_u32_e32 0x7f, v58
	s_cbranch_execz .LBB186_780
; %bb.777:                              ;   in Loop: Header=BB186_561 Depth=1
	v_and_b32_e32 v22, 7, v22
	v_lshrrev_b32_e32 v0, 3, v58
	s_mov_b32 s28, exec_lo
	v_cmpx_gt_u32_e32 8, v58
; %bb.778:                              ;   in Loop: Header=BB186_561 Depth=1
	s_delay_alu instid0(VALU_DEP_3) | instskip(NEXT) | instid1(VALU_DEP_1)
	v_clz_i32_u32_e32 v0, v22
	v_min_u32_e32 v0, 32, v0
	s_delay_alu instid0(VALU_DEP_1) | instskip(NEXT) | instid1(VALU_DEP_1)
	v_subrev_nc_u32_e32 v1, 28, v0
	v_lshlrev_b64_e32 v[58:59], v1, v[22:23]
	s_delay_alu instid0(VALU_DEP_1)
	v_dual_sub_nc_u32 v0, 29, v0 :: v_dual_bitop2_b32 v22, 7, v58 bitop3:0x40
; %bb.779:                              ;   in Loop: Header=BB186_561 Depth=1
	s_or_b32 exec_lo, exec_lo, s28
	v_lshlrev_b32_e32 v1, 16, v62
	s_delay_alu instid0(VALU_DEP_2) | instskip(NEXT) | instid1(VALU_DEP_3)
	v_lshlrev_b32_e32 v22, 20, v22
	v_lshl_add_u32 v0, v0, 23, 0x3c000000
	s_delay_alu instid0(VALU_DEP_3) | instskip(NEXT) | instid1(VALU_DEP_1)
	v_and_b32_e32 v1, 0x80000000, v1
	v_or3_b32 v1, v22, v1, v0
	v_mov_b32_e32 v0, v23
.LBB186_780:                            ;   in Loop: Header=BB186_561 Depth=1
	s_or_b32 exec_lo, exec_lo, s27
.LBB186_781:                            ;   in Loop: Header=BB186_561 Depth=1
	s_delay_alu instid0(SALU_CYCLE_1)
	s_or_b32 exec_lo, exec_lo, s26
.LBB186_782:                            ;   in Loop: Header=BB186_561 Depth=1
	s_delay_alu instid0(SALU_CYCLE_1) | instskip(SKIP_4) | instid1(VALU_DEP_3)
	s_or_b32 exec_lo, exec_lo, s25
	v_lshrrev_b32_e32 v63, 16, v62
	v_mov_b64_e32 v[58:59], 0
	v_mov_b64_e32 v[60:61], 0
	s_mov_b32 s25, exec_lo
	v_and_b32_e32 v22, 0xff, v63
	s_delay_alu instid0(VALU_DEP_1)
	v_cmpx_ne_u16_e32 0, v22
	s_cbranch_execz .LBB186_790
; %bb.783:                              ;   in Loop: Header=BB186_561 Depth=1
	v_mov_b64_e32 v[60:61], 0x80000000
	s_mov_b32 s26, exec_lo
	v_cmpx_ne_u16_e32 0x80, v22
	s_cbranch_execz .LBB186_789
; %bb.784:                              ;   in Loop: Header=BB186_561 Depth=1
	v_mov_b64_e32 v[60:61], 0x7f800001
	v_bfe_u32 v64, v62, 16, 7
	s_mov_b32 s27, exec_lo
	s_delay_alu instid0(VALU_DEP_1)
	v_cmpx_ne_u32_e32 0x7f, v64
	s_cbranch_execz .LBB186_788
; %bb.785:                              ;   in Loop: Header=BB186_561 Depth=1
	v_dual_lshrrev_b32 v60, 3, v64 :: v_dual_bitop2_b32 v22, 7, v63 bitop3:0x40
	s_mov_b32 s28, exec_lo
	v_cmpx_gt_u32_e32 8, v64
; %bb.786:                              ;   in Loop: Header=BB186_561 Depth=1
	s_delay_alu instid0(VALU_DEP_2) | instskip(NEXT) | instid1(VALU_DEP_1)
	v_clz_i32_u32_e32 v60, v22
	v_min_u32_e32 v60, 32, v60
	s_delay_alu instid0(VALU_DEP_1) | instskip(SKIP_1) | instid1(VALU_DEP_2)
	v_subrev_nc_u32_e32 v61, 28, v60
	v_sub_nc_u32_e32 v60, 29, v60
	v_lshlrev_b64_e32 v[64:65], v61, v[22:23]
	s_delay_alu instid0(VALU_DEP_1)
	v_and_b32_e32 v22, 7, v64
; %bb.787:                              ;   in Loop: Header=BB186_561 Depth=1
	s_or_b32 exec_lo, exec_lo, s28
	s_delay_alu instid0(VALU_DEP_1) | instskip(SKIP_1) | instid1(VALU_DEP_2)
	v_dual_lshlrev_b32 v61, 24, v63 :: v_dual_lshlrev_b32 v22, 20, v22
	v_lshl_add_u32 v60, v60, 23, 0x3c000000
	v_and_b32_e32 v61, 0x80000000, v61
	s_delay_alu instid0(VALU_DEP_1) | instskip(NEXT) | instid1(VALU_DEP_1)
	v_or3_b32 v22, v22, v61, v60
	v_mov_b64_e32 v[60:61], v[22:23]
.LBB186_788:                            ;   in Loop: Header=BB186_561 Depth=1
	s_or_b32 exec_lo, exec_lo, s27
.LBB186_789:                            ;   in Loop: Header=BB186_561 Depth=1
	s_delay_alu instid0(SALU_CYCLE_1)
	s_or_b32 exec_lo, exec_lo, s26
.LBB186_790:                            ;   in Loop: Header=BB186_561 Depth=1
	s_delay_alu instid0(SALU_CYCLE_1) | instskip(NEXT) | instid1(SALU_CYCLE_1)
	s_or_b32 exec_lo, exec_lo, s25
	s_mov_b32 s25, exec_lo
	v_cmpx_lt_u32_e32 0xffffff, v62
	s_cbranch_execz .LBB186_798
; %bb.791:                              ;   in Loop: Header=BB186_561 Depth=1
	v_mov_b64_e32 v[58:59], 0x8000000000000000
	v_lshrrev_b32_e32 v63, 24, v62
	s_mov_b32 s26, exec_lo
	s_delay_alu instid0(VALU_DEP_1)
	v_cmpx_ne_u32_e32 0x80, v63
	s_cbranch_execz .LBB186_797
; %bb.792:                              ;   in Loop: Header=BB186_561 Depth=1
	v_mov_b64_e32 v[58:59], 0x7f80000100000000
	v_bfe_u32 v62, v62, 24, 7
	s_mov_b32 s27, exec_lo
	s_delay_alu instid0(VALU_DEP_1)
	v_cmpx_ne_u32_e32 0x7f, v62
	s_cbranch_execz .LBB186_796
; %bb.793:                              ;   in Loop: Header=BB186_561 Depth=1
	v_dual_lshrrev_b32 v58, 3, v62 :: v_dual_bitop2_b32 v22, 7, v63 bitop3:0x40
	s_mov_b32 s28, exec_lo
	v_cmpx_gt_u32_e32 8, v62
; %bb.794:                              ;   in Loop: Header=BB186_561 Depth=1
	s_delay_alu instid0(VALU_DEP_2) | instskip(NEXT) | instid1(VALU_DEP_1)
	v_clz_i32_u32_e32 v58, v22
	v_min_u32_e32 v58, 32, v58
	s_delay_alu instid0(VALU_DEP_1) | instskip(NEXT) | instid1(VALU_DEP_1)
	v_subrev_nc_u32_e32 v59, 28, v58
	v_lshlrev_b64_e32 v[64:65], v59, v[22:23]
	s_delay_alu instid0(VALU_DEP_1)
	v_dual_sub_nc_u32 v58, 29, v58 :: v_dual_bitop2_b32 v22, 7, v64 bitop3:0x40
; %bb.795:                              ;   in Loop: Header=BB186_561 Depth=1
	s_or_b32 exec_lo, exec_lo, s28
	s_delay_alu instid0(VALU_DEP_1) | instskip(NEXT) | instid1(VALU_DEP_2)
	v_dual_lshlrev_b32 v59, 24, v63 :: v_dual_lshlrev_b32 v22, 20, v22
	v_lshl_add_u32 v58, v58, 23, 0x3c000000
	s_delay_alu instid0(VALU_DEP_2) | instskip(NEXT) | instid1(VALU_DEP_1)
	v_and_b32_e32 v59, 0x80000000, v59
	v_or3_b32 v59, v22, v59, v58
	v_mov_b32_e32 v58, v23
.LBB186_796:                            ;   in Loop: Header=BB186_561 Depth=1
	s_or_b32 exec_lo, exec_lo, s27
.LBB186_797:                            ;   in Loop: Header=BB186_561 Depth=1
	s_delay_alu instid0(SALU_CYCLE_1)
	s_or_b32 exec_lo, exec_lo, s26
.LBB186_798:                            ;   in Loop: Header=BB186_561 Depth=1
	s_delay_alu instid0(SALU_CYCLE_1)
	s_or_b32 exec_lo, exec_lo, s25
	v_or_b32_e32 v1, v1, v57
	v_or_b32_e32 v0, v0, v56
	v_mov_b64_e32 v[56:57], s[8:9]
	v_or_b32_e32 v61, v59, v61
	v_or_b32_e32 v60, v58, v60
	s_delay_alu instid0(VALU_DEP_3) | instskip(NEXT) | instid1(VALU_DEP_2)
	v_pk_mul_f32 v[58:59], v[56:57], v[0:1]
	v_pk_mul_f32 v[56:57], v[56:57], v[60:61]
	s_and_saveexec_b32 s25, vcc_lo
	s_cbranch_execz .LBB186_800
; %bb.799:                              ;   in Loop: Header=BB186_561 Depth=1
	v_cmp_gt_i32_e64 s0, s34, v51
	s_delay_alu instid0(VALU_DEP_1) | instskip(SKIP_1) | instid1(VALU_DEP_1)
	v_cndmask_b32_e64 v58, 0, v58, s0
	v_cmp_gt_i32_e64 s0, s34, v103
	v_cndmask_b32_e64 v59, 0, v59, s0
	v_cmp_gt_i32_e64 s0, s34, v95
	s_delay_alu instid0(VALU_DEP_1) | instskip(SKIP_1) | instid1(VALU_DEP_1)
	v_cndmask_b32_e64 v56, 0, v56, s0
	v_cmp_gt_i32_e64 s0, s34, v94
	v_cndmask_b32_e64 v57, 0, v57, s0
.LBB186_800:                            ;   in Loop: Header=BB186_561 Depth=1
	s_or_b32 exec_lo, exec_lo, s25
	global_load_b32 v66, v[32:33], off offset:896
	v_mov_b64_e32 v[0:1], 0
	v_mov_b64_e32 v[60:61], 0
	s_mov_b32 s25, exec_lo
	s_wait_loadcnt 0x0
	v_and_b32_e32 v22, 0xff, v66
	s_delay_alu instid0(VALU_DEP_1)
	v_cmpx_ne_u16_e32 0, v22
	s_cbranch_execz .LBB186_808
; %bb.801:                              ;   in Loop: Header=BB186_561 Depth=1
	v_mov_b64_e32 v[60:61], 0x80000000
	s_mov_b32 s26, exec_lo
	v_cmpx_ne_u16_e32 0x80, v22
	s_cbranch_execz .LBB186_807
; %bb.802:                              ;   in Loop: Header=BB186_561 Depth=1
	v_mov_b64_e32 v[60:61], 0x7f800001
	v_and_b32_e32 v62, 0x7f, v66
	s_mov_b32 s27, exec_lo
	s_delay_alu instid0(VALU_DEP_1)
	v_cmpx_ne_u32_e32 0x7f, v62
	s_cbranch_execz .LBB186_806
; %bb.803:                              ;   in Loop: Header=BB186_561 Depth=1
	v_and_b32_e32 v22, 7, v66
	v_lshrrev_b32_e32 v60, 3, v62
	s_mov_b32 s28, exec_lo
	v_cmpx_gt_u32_e32 8, v62
; %bb.804:                              ;   in Loop: Header=BB186_561 Depth=1
	s_delay_alu instid0(VALU_DEP_3) | instskip(NEXT) | instid1(VALU_DEP_1)
	v_clz_i32_u32_e32 v60, v22
	v_min_u32_e32 v60, 32, v60
	s_delay_alu instid0(VALU_DEP_1) | instskip(NEXT) | instid1(VALU_DEP_1)
	v_subrev_nc_u32_e32 v61, 28, v60
	v_lshlrev_b64_e32 v[62:63], v61, v[22:23]
	s_delay_alu instid0(VALU_DEP_1)
	v_dual_sub_nc_u32 v60, 29, v60 :: v_dual_bitop2_b32 v22, 7, v62 bitop3:0x40
; %bb.805:                              ;   in Loop: Header=BB186_561 Depth=1
	s_or_b32 exec_lo, exec_lo, s28
	v_lshlrev_b32_e32 v61, 24, v66
	s_delay_alu instid0(VALU_DEP_2) | instskip(NEXT) | instid1(VALU_DEP_3)
	v_lshlrev_b32_e32 v22, 20, v22
	v_lshl_add_u32 v60, v60, 23, 0x3c000000
	s_delay_alu instid0(VALU_DEP_3) | instskip(NEXT) | instid1(VALU_DEP_1)
	v_and_b32_e32 v61, 0x80000000, v61
	v_or3_b32 v22, v22, v61, v60
	s_delay_alu instid0(VALU_DEP_1)
	v_mov_b64_e32 v[60:61], v[22:23]
.LBB186_806:                            ;   in Loop: Header=BB186_561 Depth=1
	s_or_b32 exec_lo, exec_lo, s27
.LBB186_807:                            ;   in Loop: Header=BB186_561 Depth=1
	s_delay_alu instid0(SALU_CYCLE_1)
	s_or_b32 exec_lo, exec_lo, s26
.LBB186_808:                            ;   in Loop: Header=BB186_561 Depth=1
	s_delay_alu instid0(SALU_CYCLE_1) | instskip(SKIP_2) | instid1(VALU_DEP_1)
	s_or_b32 exec_lo, exec_lo, s25
	v_lshrrev_b16 v22, 8, v66
	s_mov_b32 s25, exec_lo
	v_cmpx_ne_u16_e32 0, v22
	s_cbranch_execz .LBB186_816
; %bb.809:                              ;   in Loop: Header=BB186_561 Depth=1
	v_mov_b64_e32 v[0:1], 0x8000000000000000
	s_mov_b32 s26, exec_lo
	v_cmpx_ne_u16_e32 0x80, v22
	s_cbranch_execz .LBB186_815
; %bb.810:                              ;   in Loop: Header=BB186_561 Depth=1
	v_and_b32_e32 v22, 0xffff, v22
	v_mov_b64_e32 v[0:1], 0x7f80000100000000
	s_mov_b32 s27, exec_lo
	s_delay_alu instid0(VALU_DEP_2) | instskip(NEXT) | instid1(VALU_DEP_1)
	v_and_b32_e32 v62, 0x7f, v22
	v_cmpx_ne_u32_e32 0x7f, v62
	s_cbranch_execz .LBB186_814
; %bb.811:                              ;   in Loop: Header=BB186_561 Depth=1
	v_and_b32_e32 v22, 7, v22
	v_lshrrev_b32_e32 v0, 3, v62
	s_mov_b32 s28, exec_lo
	v_cmpx_gt_u32_e32 8, v62
; %bb.812:                              ;   in Loop: Header=BB186_561 Depth=1
	s_delay_alu instid0(VALU_DEP_3) | instskip(NEXT) | instid1(VALU_DEP_1)
	v_clz_i32_u32_e32 v0, v22
	v_min_u32_e32 v0, 32, v0
	s_delay_alu instid0(VALU_DEP_1) | instskip(NEXT) | instid1(VALU_DEP_1)
	v_subrev_nc_u32_e32 v1, 28, v0
	v_lshlrev_b64_e32 v[62:63], v1, v[22:23]
	s_delay_alu instid0(VALU_DEP_1)
	v_dual_sub_nc_u32 v0, 29, v0 :: v_dual_bitop2_b32 v22, 7, v62 bitop3:0x40
; %bb.813:                              ;   in Loop: Header=BB186_561 Depth=1
	s_or_b32 exec_lo, exec_lo, s28
	v_lshlrev_b32_e32 v1, 16, v66
	s_delay_alu instid0(VALU_DEP_2) | instskip(NEXT) | instid1(VALU_DEP_3)
	v_lshlrev_b32_e32 v22, 20, v22
	v_lshl_add_u32 v0, v0, 23, 0x3c000000
	s_delay_alu instid0(VALU_DEP_3) | instskip(NEXT) | instid1(VALU_DEP_1)
	v_and_b32_e32 v1, 0x80000000, v1
	v_or3_b32 v1, v22, v1, v0
	v_mov_b32_e32 v0, v23
.LBB186_814:                            ;   in Loop: Header=BB186_561 Depth=1
	s_or_b32 exec_lo, exec_lo, s27
.LBB186_815:                            ;   in Loop: Header=BB186_561 Depth=1
	s_delay_alu instid0(SALU_CYCLE_1)
	s_or_b32 exec_lo, exec_lo, s26
.LBB186_816:                            ;   in Loop: Header=BB186_561 Depth=1
	s_delay_alu instid0(SALU_CYCLE_1) | instskip(SKIP_4) | instid1(VALU_DEP_3)
	s_or_b32 exec_lo, exec_lo, s25
	v_lshrrev_b32_e32 v67, 16, v66
	v_mov_b64_e32 v[62:63], 0
	v_mov_b64_e32 v[64:65], 0
	s_mov_b32 s25, exec_lo
	v_and_b32_e32 v22, 0xff, v67
	s_delay_alu instid0(VALU_DEP_1)
	v_cmpx_ne_u16_e32 0, v22
	s_cbranch_execz .LBB186_824
; %bb.817:                              ;   in Loop: Header=BB186_561 Depth=1
	v_mov_b64_e32 v[64:65], 0x80000000
	s_mov_b32 s26, exec_lo
	v_cmpx_ne_u16_e32 0x80, v22
	s_cbranch_execz .LBB186_823
; %bb.818:                              ;   in Loop: Header=BB186_561 Depth=1
	v_mov_b64_e32 v[64:65], 0x7f800001
	v_bfe_u32 v68, v66, 16, 7
	s_mov_b32 s27, exec_lo
	s_delay_alu instid0(VALU_DEP_1)
	v_cmpx_ne_u32_e32 0x7f, v68
	s_cbranch_execz .LBB186_822
; %bb.819:                              ;   in Loop: Header=BB186_561 Depth=1
	v_dual_lshrrev_b32 v64, 3, v68 :: v_dual_bitop2_b32 v22, 7, v67 bitop3:0x40
	s_mov_b32 s28, exec_lo
	v_cmpx_gt_u32_e32 8, v68
; %bb.820:                              ;   in Loop: Header=BB186_561 Depth=1
	s_delay_alu instid0(VALU_DEP_2) | instskip(NEXT) | instid1(VALU_DEP_1)
	v_clz_i32_u32_e32 v64, v22
	v_min_u32_e32 v64, 32, v64
	s_delay_alu instid0(VALU_DEP_1) | instskip(SKIP_1) | instid1(VALU_DEP_2)
	v_subrev_nc_u32_e32 v65, 28, v64
	v_sub_nc_u32_e32 v64, 29, v64
	v_lshlrev_b64_e32 v[68:69], v65, v[22:23]
	s_delay_alu instid0(VALU_DEP_1)
	v_and_b32_e32 v22, 7, v68
; %bb.821:                              ;   in Loop: Header=BB186_561 Depth=1
	s_or_b32 exec_lo, exec_lo, s28
	s_delay_alu instid0(VALU_DEP_1) | instskip(SKIP_1) | instid1(VALU_DEP_2)
	v_dual_lshlrev_b32 v65, 24, v67 :: v_dual_lshlrev_b32 v22, 20, v22
	v_lshl_add_u32 v64, v64, 23, 0x3c000000
	v_and_b32_e32 v65, 0x80000000, v65
	s_delay_alu instid0(VALU_DEP_1) | instskip(NEXT) | instid1(VALU_DEP_1)
	v_or3_b32 v22, v22, v65, v64
	v_mov_b64_e32 v[64:65], v[22:23]
.LBB186_822:                            ;   in Loop: Header=BB186_561 Depth=1
	s_or_b32 exec_lo, exec_lo, s27
.LBB186_823:                            ;   in Loop: Header=BB186_561 Depth=1
	s_delay_alu instid0(SALU_CYCLE_1)
	s_or_b32 exec_lo, exec_lo, s26
.LBB186_824:                            ;   in Loop: Header=BB186_561 Depth=1
	s_delay_alu instid0(SALU_CYCLE_1) | instskip(NEXT) | instid1(SALU_CYCLE_1)
	s_or_b32 exec_lo, exec_lo, s25
	s_mov_b32 s25, exec_lo
	v_cmpx_lt_u32_e32 0xffffff, v66
	s_cbranch_execz .LBB186_832
; %bb.825:                              ;   in Loop: Header=BB186_561 Depth=1
	v_mov_b64_e32 v[62:63], 0x8000000000000000
	v_lshrrev_b32_e32 v67, 24, v66
	s_mov_b32 s26, exec_lo
	s_delay_alu instid0(VALU_DEP_1)
	v_cmpx_ne_u32_e32 0x80, v67
	s_cbranch_execz .LBB186_831
; %bb.826:                              ;   in Loop: Header=BB186_561 Depth=1
	v_mov_b64_e32 v[62:63], 0x7f80000100000000
	v_bfe_u32 v66, v66, 24, 7
	s_mov_b32 s27, exec_lo
	s_delay_alu instid0(VALU_DEP_1)
	v_cmpx_ne_u32_e32 0x7f, v66
	s_cbranch_execz .LBB186_830
; %bb.827:                              ;   in Loop: Header=BB186_561 Depth=1
	v_dual_lshrrev_b32 v62, 3, v66 :: v_dual_bitop2_b32 v22, 7, v67 bitop3:0x40
	s_mov_b32 s28, exec_lo
	v_cmpx_gt_u32_e32 8, v66
; %bb.828:                              ;   in Loop: Header=BB186_561 Depth=1
	s_delay_alu instid0(VALU_DEP_2) | instskip(NEXT) | instid1(VALU_DEP_1)
	v_clz_i32_u32_e32 v62, v22
	v_min_u32_e32 v62, 32, v62
	s_delay_alu instid0(VALU_DEP_1) | instskip(NEXT) | instid1(VALU_DEP_1)
	v_subrev_nc_u32_e32 v63, 28, v62
	v_lshlrev_b64_e32 v[68:69], v63, v[22:23]
	s_delay_alu instid0(VALU_DEP_1)
	v_dual_sub_nc_u32 v62, 29, v62 :: v_dual_bitop2_b32 v22, 7, v68 bitop3:0x40
; %bb.829:                              ;   in Loop: Header=BB186_561 Depth=1
	s_or_b32 exec_lo, exec_lo, s28
	s_delay_alu instid0(VALU_DEP_1) | instskip(NEXT) | instid1(VALU_DEP_2)
	v_dual_lshlrev_b32 v63, 24, v67 :: v_dual_lshlrev_b32 v22, 20, v22
	v_lshl_add_u32 v62, v62, 23, 0x3c000000
	s_delay_alu instid0(VALU_DEP_2) | instskip(NEXT) | instid1(VALU_DEP_1)
	v_and_b32_e32 v63, 0x80000000, v63
	v_or3_b32 v63, v22, v63, v62
	v_mov_b32_e32 v62, v23
.LBB186_830:                            ;   in Loop: Header=BB186_561 Depth=1
	s_or_b32 exec_lo, exec_lo, s27
.LBB186_831:                            ;   in Loop: Header=BB186_561 Depth=1
	s_delay_alu instid0(SALU_CYCLE_1)
	s_or_b32 exec_lo, exec_lo, s26
.LBB186_832:                            ;   in Loop: Header=BB186_561 Depth=1
	s_delay_alu instid0(SALU_CYCLE_1)
	s_or_b32 exec_lo, exec_lo, s25
	v_or_b32_e32 v1, v1, v61
	v_or_b32_e32 v0, v0, v60
	v_mov_b64_e32 v[60:61], s[8:9]
	v_or_b32_e32 v65, v63, v65
	v_or_b32_e32 v64, v62, v64
	s_delay_alu instid0(VALU_DEP_3) | instskip(NEXT) | instid1(VALU_DEP_2)
	v_pk_mul_f32 v[62:63], v[60:61], v[0:1]
	v_pk_mul_f32 v[60:61], v[60:61], v[64:65]
	s_and_saveexec_b32 s25, vcc_lo
	s_cbranch_execz .LBB186_834
; %bb.833:                              ;   in Loop: Header=BB186_561 Depth=1
	v_cmp_gt_i32_e64 s0, s34, v51
	s_delay_alu instid0(VALU_DEP_1) | instskip(SKIP_1) | instid1(VALU_DEP_1)
	v_cndmask_b32_e64 v62, 0, v62, s0
	v_cmp_gt_i32_e64 s0, s34, v103
	v_cndmask_b32_e64 v63, 0, v63, s0
	v_cmp_gt_i32_e64 s0, s34, v95
	s_delay_alu instid0(VALU_DEP_1) | instskip(SKIP_1) | instid1(VALU_DEP_1)
	v_cndmask_b32_e64 v60, 0, v60, s0
	v_cmp_gt_i32_e64 s0, s34, v94
	v_cndmask_b32_e64 v61, 0, v61, s0
.LBB186_834:                            ;   in Loop: Header=BB186_561 Depth=1
	s_or_b32 exec_lo, exec_lo, s25
	global_load_b32 v70, v[32:33], off offset:1024
	v_mov_b64_e32 v[0:1], 0
	v_mov_b64_e32 v[64:65], 0
	s_mov_b32 s25, exec_lo
	s_wait_loadcnt 0x0
	v_and_b32_e32 v22, 0xff, v70
	s_delay_alu instid0(VALU_DEP_1)
	v_cmpx_ne_u16_e32 0, v22
	s_cbranch_execz .LBB186_842
; %bb.835:                              ;   in Loop: Header=BB186_561 Depth=1
	v_mov_b64_e32 v[64:65], 0x80000000
	s_mov_b32 s26, exec_lo
	v_cmpx_ne_u16_e32 0x80, v22
	s_cbranch_execz .LBB186_841
; %bb.836:                              ;   in Loop: Header=BB186_561 Depth=1
	v_mov_b64_e32 v[64:65], 0x7f800001
	v_and_b32_e32 v66, 0x7f, v70
	s_mov_b32 s27, exec_lo
	s_delay_alu instid0(VALU_DEP_1)
	v_cmpx_ne_u32_e32 0x7f, v66
	s_cbranch_execz .LBB186_840
; %bb.837:                              ;   in Loop: Header=BB186_561 Depth=1
	v_and_b32_e32 v22, 7, v70
	v_lshrrev_b32_e32 v64, 3, v66
	s_mov_b32 s28, exec_lo
	v_cmpx_gt_u32_e32 8, v66
; %bb.838:                              ;   in Loop: Header=BB186_561 Depth=1
	s_delay_alu instid0(VALU_DEP_3) | instskip(NEXT) | instid1(VALU_DEP_1)
	v_clz_i32_u32_e32 v64, v22
	v_min_u32_e32 v64, 32, v64
	s_delay_alu instid0(VALU_DEP_1) | instskip(NEXT) | instid1(VALU_DEP_1)
	v_subrev_nc_u32_e32 v65, 28, v64
	v_lshlrev_b64_e32 v[66:67], v65, v[22:23]
	s_delay_alu instid0(VALU_DEP_1)
	v_dual_sub_nc_u32 v64, 29, v64 :: v_dual_bitop2_b32 v22, 7, v66 bitop3:0x40
; %bb.839:                              ;   in Loop: Header=BB186_561 Depth=1
	s_or_b32 exec_lo, exec_lo, s28
	v_lshlrev_b32_e32 v65, 24, v70
	s_delay_alu instid0(VALU_DEP_2) | instskip(NEXT) | instid1(VALU_DEP_3)
	v_lshlrev_b32_e32 v22, 20, v22
	v_lshl_add_u32 v64, v64, 23, 0x3c000000
	s_delay_alu instid0(VALU_DEP_3) | instskip(NEXT) | instid1(VALU_DEP_1)
	v_and_b32_e32 v65, 0x80000000, v65
	v_or3_b32 v22, v22, v65, v64
	s_delay_alu instid0(VALU_DEP_1)
	v_mov_b64_e32 v[64:65], v[22:23]
.LBB186_840:                            ;   in Loop: Header=BB186_561 Depth=1
	s_or_b32 exec_lo, exec_lo, s27
.LBB186_841:                            ;   in Loop: Header=BB186_561 Depth=1
	s_delay_alu instid0(SALU_CYCLE_1)
	s_or_b32 exec_lo, exec_lo, s26
.LBB186_842:                            ;   in Loop: Header=BB186_561 Depth=1
	s_delay_alu instid0(SALU_CYCLE_1) | instskip(SKIP_2) | instid1(VALU_DEP_1)
	s_or_b32 exec_lo, exec_lo, s25
	v_lshrrev_b16 v22, 8, v70
	s_mov_b32 s25, exec_lo
	v_cmpx_ne_u16_e32 0, v22
	s_cbranch_execz .LBB186_850
; %bb.843:                              ;   in Loop: Header=BB186_561 Depth=1
	v_mov_b64_e32 v[0:1], 0x8000000000000000
	s_mov_b32 s26, exec_lo
	v_cmpx_ne_u16_e32 0x80, v22
	s_cbranch_execz .LBB186_849
; %bb.844:                              ;   in Loop: Header=BB186_561 Depth=1
	v_and_b32_e32 v22, 0xffff, v22
	v_mov_b64_e32 v[0:1], 0x7f80000100000000
	s_mov_b32 s27, exec_lo
	s_delay_alu instid0(VALU_DEP_2) | instskip(NEXT) | instid1(VALU_DEP_1)
	v_and_b32_e32 v66, 0x7f, v22
	v_cmpx_ne_u32_e32 0x7f, v66
	s_cbranch_execz .LBB186_848
; %bb.845:                              ;   in Loop: Header=BB186_561 Depth=1
	v_and_b32_e32 v22, 7, v22
	v_lshrrev_b32_e32 v0, 3, v66
	s_mov_b32 s28, exec_lo
	v_cmpx_gt_u32_e32 8, v66
; %bb.846:                              ;   in Loop: Header=BB186_561 Depth=1
	s_delay_alu instid0(VALU_DEP_3) | instskip(NEXT) | instid1(VALU_DEP_1)
	v_clz_i32_u32_e32 v0, v22
	v_min_u32_e32 v0, 32, v0
	s_delay_alu instid0(VALU_DEP_1) | instskip(NEXT) | instid1(VALU_DEP_1)
	v_subrev_nc_u32_e32 v1, 28, v0
	v_lshlrev_b64_e32 v[66:67], v1, v[22:23]
	s_delay_alu instid0(VALU_DEP_1)
	v_dual_sub_nc_u32 v0, 29, v0 :: v_dual_bitop2_b32 v22, 7, v66 bitop3:0x40
; %bb.847:                              ;   in Loop: Header=BB186_561 Depth=1
	s_or_b32 exec_lo, exec_lo, s28
	v_lshlrev_b32_e32 v1, 16, v70
	s_delay_alu instid0(VALU_DEP_2) | instskip(NEXT) | instid1(VALU_DEP_3)
	v_lshlrev_b32_e32 v22, 20, v22
	v_lshl_add_u32 v0, v0, 23, 0x3c000000
	s_delay_alu instid0(VALU_DEP_3) | instskip(NEXT) | instid1(VALU_DEP_1)
	v_and_b32_e32 v1, 0x80000000, v1
	v_or3_b32 v1, v22, v1, v0
	v_mov_b32_e32 v0, v23
.LBB186_848:                            ;   in Loop: Header=BB186_561 Depth=1
	s_or_b32 exec_lo, exec_lo, s27
.LBB186_849:                            ;   in Loop: Header=BB186_561 Depth=1
	s_delay_alu instid0(SALU_CYCLE_1)
	s_or_b32 exec_lo, exec_lo, s26
.LBB186_850:                            ;   in Loop: Header=BB186_561 Depth=1
	s_delay_alu instid0(SALU_CYCLE_1) | instskip(SKIP_4) | instid1(VALU_DEP_3)
	s_or_b32 exec_lo, exec_lo, s25
	v_lshrrev_b32_e32 v71, 16, v70
	v_mov_b64_e32 v[66:67], 0
	v_mov_b64_e32 v[68:69], 0
	s_mov_b32 s25, exec_lo
	v_and_b32_e32 v22, 0xff, v71
	s_delay_alu instid0(VALU_DEP_1)
	v_cmpx_ne_u16_e32 0, v22
	s_cbranch_execz .LBB186_858
; %bb.851:                              ;   in Loop: Header=BB186_561 Depth=1
	v_mov_b64_e32 v[68:69], 0x80000000
	s_mov_b32 s26, exec_lo
	v_cmpx_ne_u16_e32 0x80, v22
	s_cbranch_execz .LBB186_857
; %bb.852:                              ;   in Loop: Header=BB186_561 Depth=1
	v_mov_b64_e32 v[68:69], 0x7f800001
	v_bfe_u32 v72, v70, 16, 7
	s_mov_b32 s27, exec_lo
	s_delay_alu instid0(VALU_DEP_1)
	v_cmpx_ne_u32_e32 0x7f, v72
	s_cbranch_execz .LBB186_856
; %bb.853:                              ;   in Loop: Header=BB186_561 Depth=1
	v_dual_lshrrev_b32 v68, 3, v72 :: v_dual_bitop2_b32 v22, 7, v71 bitop3:0x40
	s_mov_b32 s28, exec_lo
	v_cmpx_gt_u32_e32 8, v72
; %bb.854:                              ;   in Loop: Header=BB186_561 Depth=1
	s_delay_alu instid0(VALU_DEP_2) | instskip(NEXT) | instid1(VALU_DEP_1)
	v_clz_i32_u32_e32 v68, v22
	v_min_u32_e32 v68, 32, v68
	s_delay_alu instid0(VALU_DEP_1) | instskip(SKIP_1) | instid1(VALU_DEP_2)
	v_subrev_nc_u32_e32 v69, 28, v68
	v_sub_nc_u32_e32 v68, 29, v68
	v_lshlrev_b64_e32 v[72:73], v69, v[22:23]
	s_delay_alu instid0(VALU_DEP_1)
	v_and_b32_e32 v22, 7, v72
; %bb.855:                              ;   in Loop: Header=BB186_561 Depth=1
	s_or_b32 exec_lo, exec_lo, s28
	s_delay_alu instid0(VALU_DEP_1) | instskip(SKIP_1) | instid1(VALU_DEP_2)
	v_dual_lshlrev_b32 v69, 24, v71 :: v_dual_lshlrev_b32 v22, 20, v22
	v_lshl_add_u32 v68, v68, 23, 0x3c000000
	v_and_b32_e32 v69, 0x80000000, v69
	s_delay_alu instid0(VALU_DEP_1) | instskip(NEXT) | instid1(VALU_DEP_1)
	v_or3_b32 v22, v22, v69, v68
	v_mov_b64_e32 v[68:69], v[22:23]
.LBB186_856:                            ;   in Loop: Header=BB186_561 Depth=1
	s_or_b32 exec_lo, exec_lo, s27
.LBB186_857:                            ;   in Loop: Header=BB186_561 Depth=1
	s_delay_alu instid0(SALU_CYCLE_1)
	s_or_b32 exec_lo, exec_lo, s26
.LBB186_858:                            ;   in Loop: Header=BB186_561 Depth=1
	s_delay_alu instid0(SALU_CYCLE_1) | instskip(NEXT) | instid1(SALU_CYCLE_1)
	s_or_b32 exec_lo, exec_lo, s25
	s_mov_b32 s25, exec_lo
	v_cmpx_lt_u32_e32 0xffffff, v70
	s_cbranch_execz .LBB186_866
; %bb.859:                              ;   in Loop: Header=BB186_561 Depth=1
	v_mov_b64_e32 v[66:67], 0x8000000000000000
	v_lshrrev_b32_e32 v71, 24, v70
	s_mov_b32 s26, exec_lo
	s_delay_alu instid0(VALU_DEP_1)
	v_cmpx_ne_u32_e32 0x80, v71
	s_cbranch_execz .LBB186_865
; %bb.860:                              ;   in Loop: Header=BB186_561 Depth=1
	v_mov_b64_e32 v[66:67], 0x7f80000100000000
	v_bfe_u32 v70, v70, 24, 7
	s_mov_b32 s27, exec_lo
	s_delay_alu instid0(VALU_DEP_1)
	v_cmpx_ne_u32_e32 0x7f, v70
	s_cbranch_execz .LBB186_864
; %bb.861:                              ;   in Loop: Header=BB186_561 Depth=1
	v_dual_lshrrev_b32 v66, 3, v70 :: v_dual_bitop2_b32 v22, 7, v71 bitop3:0x40
	s_mov_b32 s28, exec_lo
	v_cmpx_gt_u32_e32 8, v70
; %bb.862:                              ;   in Loop: Header=BB186_561 Depth=1
	s_delay_alu instid0(VALU_DEP_2) | instskip(NEXT) | instid1(VALU_DEP_1)
	v_clz_i32_u32_e32 v66, v22
	v_min_u32_e32 v66, 32, v66
	s_delay_alu instid0(VALU_DEP_1) | instskip(NEXT) | instid1(VALU_DEP_1)
	v_subrev_nc_u32_e32 v67, 28, v66
	v_lshlrev_b64_e32 v[72:73], v67, v[22:23]
	s_delay_alu instid0(VALU_DEP_1)
	v_dual_sub_nc_u32 v66, 29, v66 :: v_dual_bitop2_b32 v22, 7, v72 bitop3:0x40
; %bb.863:                              ;   in Loop: Header=BB186_561 Depth=1
	s_or_b32 exec_lo, exec_lo, s28
	s_delay_alu instid0(VALU_DEP_1) | instskip(NEXT) | instid1(VALU_DEP_2)
	v_dual_lshlrev_b32 v67, 24, v71 :: v_dual_lshlrev_b32 v22, 20, v22
	v_lshl_add_u32 v66, v66, 23, 0x3c000000
	s_delay_alu instid0(VALU_DEP_2) | instskip(NEXT) | instid1(VALU_DEP_1)
	v_and_b32_e32 v67, 0x80000000, v67
	v_or3_b32 v67, v22, v67, v66
	v_mov_b32_e32 v66, v23
.LBB186_864:                            ;   in Loop: Header=BB186_561 Depth=1
	s_or_b32 exec_lo, exec_lo, s27
.LBB186_865:                            ;   in Loop: Header=BB186_561 Depth=1
	s_delay_alu instid0(SALU_CYCLE_1)
	s_or_b32 exec_lo, exec_lo, s26
.LBB186_866:                            ;   in Loop: Header=BB186_561 Depth=1
	s_delay_alu instid0(SALU_CYCLE_1)
	s_or_b32 exec_lo, exec_lo, s25
	v_mov_b64_e32 v[70:71], s[8:9]
	v_or_b32_e32 v1, v1, v65
	v_or_b32_e32 v0, v0, v64
	;; [unrolled: 1-line block ×4, first 2 shown]
	s_delay_alu instid0(VALU_DEP_3) | instskip(NEXT) | instid1(VALU_DEP_2)
	v_pk_mul_f32 v[64:65], v[70:71], v[0:1]
	v_pk_mul_f32 v[0:1], v[70:71], v[66:67]
	s_and_saveexec_b32 s25, vcc_lo
	s_cbranch_execz .LBB186_868
; %bb.867:                              ;   in Loop: Header=BB186_561 Depth=1
	v_cmp_gt_i32_e64 s0, s34, v51
	s_delay_alu instid0(VALU_DEP_1) | instskip(SKIP_1) | instid1(VALU_DEP_1)
	v_cndmask_b32_e64 v64, 0, v64, s0
	v_cmp_gt_i32_e64 s0, s34, v103
	v_cndmask_b32_e64 v65, 0, v65, s0
	v_cmp_gt_i32_e64 s0, s34, v95
	s_delay_alu instid0(VALU_DEP_1) | instskip(SKIP_1) | instid1(VALU_DEP_1)
	v_cndmask_b32_e64 v0, 0, v0, s0
	v_cmp_gt_i32_e64 s0, s34, v94
	v_cndmask_b32_e64 v1, 0, v1, s0
.LBB186_868:                            ;   in Loop: Header=BB186_561 Depth=1
	s_or_b32 exec_lo, exec_lo, s25
	global_load_b32 v74, v[32:33], off offset:1152
	v_mov_b64_e32 v[66:67], 0
	v_mov_b64_e32 v[68:69], 0
	s_mov_b32 s25, exec_lo
	s_wait_loadcnt 0x0
	v_and_b32_e32 v22, 0xff, v74
	s_delay_alu instid0(VALU_DEP_1)
	v_cmpx_ne_u16_e32 0, v22
	s_cbranch_execz .LBB186_876
; %bb.869:                              ;   in Loop: Header=BB186_561 Depth=1
	v_mov_b64_e32 v[68:69], 0x80000000
	s_mov_b32 s26, exec_lo
	v_cmpx_ne_u16_e32 0x80, v22
	s_cbranch_execz .LBB186_875
; %bb.870:                              ;   in Loop: Header=BB186_561 Depth=1
	v_mov_b64_e32 v[68:69], 0x7f800001
	v_and_b32_e32 v70, 0x7f, v74
	s_mov_b32 s27, exec_lo
	s_delay_alu instid0(VALU_DEP_1)
	v_cmpx_ne_u32_e32 0x7f, v70
	s_cbranch_execz .LBB186_874
; %bb.871:                              ;   in Loop: Header=BB186_561 Depth=1
	v_and_b32_e32 v22, 7, v74
	v_lshrrev_b32_e32 v68, 3, v70
	s_mov_b32 s28, exec_lo
	v_cmpx_gt_u32_e32 8, v70
; %bb.872:                              ;   in Loop: Header=BB186_561 Depth=1
	s_delay_alu instid0(VALU_DEP_3) | instskip(NEXT) | instid1(VALU_DEP_1)
	v_clz_i32_u32_e32 v68, v22
	v_min_u32_e32 v68, 32, v68
	s_delay_alu instid0(VALU_DEP_1) | instskip(NEXT) | instid1(VALU_DEP_1)
	v_subrev_nc_u32_e32 v69, 28, v68
	v_lshlrev_b64_e32 v[70:71], v69, v[22:23]
	s_delay_alu instid0(VALU_DEP_1)
	v_dual_sub_nc_u32 v68, 29, v68 :: v_dual_bitop2_b32 v22, 7, v70 bitop3:0x40
; %bb.873:                              ;   in Loop: Header=BB186_561 Depth=1
	s_or_b32 exec_lo, exec_lo, s28
	v_lshlrev_b32_e32 v69, 24, v74
	s_delay_alu instid0(VALU_DEP_2) | instskip(NEXT) | instid1(VALU_DEP_3)
	v_lshlrev_b32_e32 v22, 20, v22
	v_lshl_add_u32 v68, v68, 23, 0x3c000000
	s_delay_alu instid0(VALU_DEP_3) | instskip(NEXT) | instid1(VALU_DEP_1)
	v_and_b32_e32 v69, 0x80000000, v69
	v_or3_b32 v22, v22, v69, v68
	s_delay_alu instid0(VALU_DEP_1)
	v_mov_b64_e32 v[68:69], v[22:23]
.LBB186_874:                            ;   in Loop: Header=BB186_561 Depth=1
	s_or_b32 exec_lo, exec_lo, s27
.LBB186_875:                            ;   in Loop: Header=BB186_561 Depth=1
	s_delay_alu instid0(SALU_CYCLE_1)
	s_or_b32 exec_lo, exec_lo, s26
.LBB186_876:                            ;   in Loop: Header=BB186_561 Depth=1
	s_delay_alu instid0(SALU_CYCLE_1) | instskip(SKIP_2) | instid1(VALU_DEP_1)
	s_or_b32 exec_lo, exec_lo, s25
	v_lshrrev_b16 v22, 8, v74
	s_mov_b32 s25, exec_lo
	v_cmpx_ne_u16_e32 0, v22
	s_cbranch_execz .LBB186_884
; %bb.877:                              ;   in Loop: Header=BB186_561 Depth=1
	v_mov_b64_e32 v[66:67], 0x8000000000000000
	s_mov_b32 s26, exec_lo
	v_cmpx_ne_u16_e32 0x80, v22
	s_cbranch_execz .LBB186_883
; %bb.878:                              ;   in Loop: Header=BB186_561 Depth=1
	v_and_b32_e32 v22, 0xffff, v22
	v_mov_b64_e32 v[66:67], 0x7f80000100000000
	s_mov_b32 s27, exec_lo
	s_delay_alu instid0(VALU_DEP_2) | instskip(NEXT) | instid1(VALU_DEP_1)
	v_and_b32_e32 v70, 0x7f, v22
	v_cmpx_ne_u32_e32 0x7f, v70
	s_cbranch_execz .LBB186_882
; %bb.879:                              ;   in Loop: Header=BB186_561 Depth=1
	v_and_b32_e32 v22, 7, v22
	v_lshrrev_b32_e32 v66, 3, v70
	s_mov_b32 s28, exec_lo
	v_cmpx_gt_u32_e32 8, v70
; %bb.880:                              ;   in Loop: Header=BB186_561 Depth=1
	s_delay_alu instid0(VALU_DEP_3) | instskip(NEXT) | instid1(VALU_DEP_1)
	v_clz_i32_u32_e32 v66, v22
	v_min_u32_e32 v66, 32, v66
	s_delay_alu instid0(VALU_DEP_1) | instskip(SKIP_1) | instid1(VALU_DEP_2)
	v_subrev_nc_u32_e32 v67, 28, v66
	v_sub_nc_u32_e32 v66, 29, v66
	v_lshlrev_b64_e32 v[70:71], v67, v[22:23]
	s_delay_alu instid0(VALU_DEP_1)
	v_and_b32_e32 v22, 7, v70
; %bb.881:                              ;   in Loop: Header=BB186_561 Depth=1
	s_or_b32 exec_lo, exec_lo, s28
	v_lshlrev_b32_e32 v67, 16, v74
	s_delay_alu instid0(VALU_DEP_2) | instskip(SKIP_1) | instid1(VALU_DEP_3)
	v_lshlrev_b32_e32 v22, 20, v22
	v_lshl_add_u32 v66, v66, 23, 0x3c000000
	v_and_b32_e32 v67, 0x80000000, v67
	s_delay_alu instid0(VALU_DEP_1)
	v_or3_b32 v67, v22, v67, v66
	v_mov_b32_e32 v66, v23
.LBB186_882:                            ;   in Loop: Header=BB186_561 Depth=1
	s_or_b32 exec_lo, exec_lo, s27
.LBB186_883:                            ;   in Loop: Header=BB186_561 Depth=1
	s_delay_alu instid0(SALU_CYCLE_1)
	s_or_b32 exec_lo, exec_lo, s26
.LBB186_884:                            ;   in Loop: Header=BB186_561 Depth=1
	s_delay_alu instid0(SALU_CYCLE_1) | instskip(SKIP_4) | instid1(VALU_DEP_3)
	s_or_b32 exec_lo, exec_lo, s25
	v_lshrrev_b32_e32 v75, 16, v74
	v_mov_b64_e32 v[70:71], 0
	v_mov_b64_e32 v[72:73], 0
	s_mov_b32 s25, exec_lo
	v_and_b32_e32 v22, 0xff, v75
	s_delay_alu instid0(VALU_DEP_1)
	v_cmpx_ne_u16_e32 0, v22
	s_cbranch_execz .LBB186_892
; %bb.885:                              ;   in Loop: Header=BB186_561 Depth=1
	v_mov_b64_e32 v[72:73], 0x80000000
	s_mov_b32 s26, exec_lo
	v_cmpx_ne_u16_e32 0x80, v22
	s_cbranch_execz .LBB186_891
; %bb.886:                              ;   in Loop: Header=BB186_561 Depth=1
	v_mov_b64_e32 v[72:73], 0x7f800001
	v_bfe_u32 v76, v74, 16, 7
	s_mov_b32 s27, exec_lo
	s_delay_alu instid0(VALU_DEP_1)
	v_cmpx_ne_u32_e32 0x7f, v76
	s_cbranch_execz .LBB186_890
; %bb.887:                              ;   in Loop: Header=BB186_561 Depth=1
	v_dual_lshrrev_b32 v72, 3, v76 :: v_dual_bitop2_b32 v22, 7, v75 bitop3:0x40
	s_mov_b32 s28, exec_lo
	v_cmpx_gt_u32_e32 8, v76
; %bb.888:                              ;   in Loop: Header=BB186_561 Depth=1
	s_delay_alu instid0(VALU_DEP_2) | instskip(NEXT) | instid1(VALU_DEP_1)
	v_clz_i32_u32_e32 v72, v22
	v_min_u32_e32 v72, 32, v72
	s_delay_alu instid0(VALU_DEP_1) | instskip(SKIP_1) | instid1(VALU_DEP_2)
	v_subrev_nc_u32_e32 v73, 28, v72
	v_sub_nc_u32_e32 v72, 29, v72
	v_lshlrev_b64_e32 v[76:77], v73, v[22:23]
	s_delay_alu instid0(VALU_DEP_1)
	v_and_b32_e32 v22, 7, v76
; %bb.889:                              ;   in Loop: Header=BB186_561 Depth=1
	s_or_b32 exec_lo, exec_lo, s28
	s_delay_alu instid0(VALU_DEP_1) | instskip(SKIP_1) | instid1(VALU_DEP_2)
	v_dual_lshlrev_b32 v73, 24, v75 :: v_dual_lshlrev_b32 v22, 20, v22
	v_lshl_add_u32 v72, v72, 23, 0x3c000000
	v_and_b32_e32 v73, 0x80000000, v73
	s_delay_alu instid0(VALU_DEP_1) | instskip(NEXT) | instid1(VALU_DEP_1)
	v_or3_b32 v22, v22, v73, v72
	v_mov_b64_e32 v[72:73], v[22:23]
.LBB186_890:                            ;   in Loop: Header=BB186_561 Depth=1
	s_or_b32 exec_lo, exec_lo, s27
.LBB186_891:                            ;   in Loop: Header=BB186_561 Depth=1
	s_delay_alu instid0(SALU_CYCLE_1)
	s_or_b32 exec_lo, exec_lo, s26
.LBB186_892:                            ;   in Loop: Header=BB186_561 Depth=1
	s_delay_alu instid0(SALU_CYCLE_1) | instskip(NEXT) | instid1(SALU_CYCLE_1)
	s_or_b32 exec_lo, exec_lo, s25
	s_mov_b32 s25, exec_lo
	v_cmpx_lt_u32_e32 0xffffff, v74
	s_cbranch_execz .LBB186_900
; %bb.893:                              ;   in Loop: Header=BB186_561 Depth=1
	v_mov_b64_e32 v[70:71], 0x8000000000000000
	v_lshrrev_b32_e32 v75, 24, v74
	s_mov_b32 s26, exec_lo
	s_delay_alu instid0(VALU_DEP_1)
	v_cmpx_ne_u32_e32 0x80, v75
	s_cbranch_execz .LBB186_899
; %bb.894:                              ;   in Loop: Header=BB186_561 Depth=1
	v_mov_b64_e32 v[70:71], 0x7f80000100000000
	v_bfe_u32 v74, v74, 24, 7
	s_mov_b32 s27, exec_lo
	s_delay_alu instid0(VALU_DEP_1)
	v_cmpx_ne_u32_e32 0x7f, v74
	s_cbranch_execz .LBB186_898
; %bb.895:                              ;   in Loop: Header=BB186_561 Depth=1
	v_dual_lshrrev_b32 v70, 3, v74 :: v_dual_bitop2_b32 v22, 7, v75 bitop3:0x40
	s_mov_b32 s28, exec_lo
	v_cmpx_gt_u32_e32 8, v74
; %bb.896:                              ;   in Loop: Header=BB186_561 Depth=1
	s_delay_alu instid0(VALU_DEP_2) | instskip(NEXT) | instid1(VALU_DEP_1)
	v_clz_i32_u32_e32 v70, v22
	v_min_u32_e32 v70, 32, v70
	s_delay_alu instid0(VALU_DEP_1) | instskip(NEXT) | instid1(VALU_DEP_1)
	v_subrev_nc_u32_e32 v71, 28, v70
	v_lshlrev_b64_e32 v[76:77], v71, v[22:23]
	s_delay_alu instid0(VALU_DEP_1)
	v_dual_sub_nc_u32 v70, 29, v70 :: v_dual_bitop2_b32 v22, 7, v76 bitop3:0x40
; %bb.897:                              ;   in Loop: Header=BB186_561 Depth=1
	s_or_b32 exec_lo, exec_lo, s28
	s_delay_alu instid0(VALU_DEP_1) | instskip(NEXT) | instid1(VALU_DEP_2)
	v_dual_lshlrev_b32 v71, 24, v75 :: v_dual_lshlrev_b32 v22, 20, v22
	v_lshl_add_u32 v70, v70, 23, 0x3c000000
	s_delay_alu instid0(VALU_DEP_2) | instskip(NEXT) | instid1(VALU_DEP_1)
	v_and_b32_e32 v71, 0x80000000, v71
	v_or3_b32 v71, v22, v71, v70
	v_mov_b32_e32 v70, v23
.LBB186_898:                            ;   in Loop: Header=BB186_561 Depth=1
	s_or_b32 exec_lo, exec_lo, s27
.LBB186_899:                            ;   in Loop: Header=BB186_561 Depth=1
	s_delay_alu instid0(SALU_CYCLE_1)
	s_or_b32 exec_lo, exec_lo, s26
.LBB186_900:                            ;   in Loop: Header=BB186_561 Depth=1
	s_delay_alu instid0(SALU_CYCLE_1)
	s_or_b32 exec_lo, exec_lo, s25
	v_mov_b64_e32 v[74:75], s[8:9]
	v_or_b32_e32 v67, v67, v69
	v_or_b32_e32 v66, v66, v68
	;; [unrolled: 1-line block ×4, first 2 shown]
	s_delay_alu instid0(VALU_DEP_3) | instskip(NEXT) | instid1(VALU_DEP_2)
	v_pk_mul_f32 v[68:69], v[74:75], v[66:67]
	v_pk_mul_f32 v[66:67], v[74:75], v[70:71]
	s_and_saveexec_b32 s25, vcc_lo
	s_cbranch_execz .LBB186_902
; %bb.901:                              ;   in Loop: Header=BB186_561 Depth=1
	v_cmp_gt_i32_e64 s0, s34, v51
	s_delay_alu instid0(VALU_DEP_1) | instskip(SKIP_1) | instid1(VALU_DEP_1)
	v_cndmask_b32_e64 v68, 0, v68, s0
	v_cmp_gt_i32_e64 s0, s34, v103
	v_cndmask_b32_e64 v69, 0, v69, s0
	v_cmp_gt_i32_e64 s0, s34, v95
	s_delay_alu instid0(VALU_DEP_1) | instskip(SKIP_1) | instid1(VALU_DEP_1)
	v_cndmask_b32_e64 v66, 0, v66, s0
	v_cmp_gt_i32_e64 s0, s34, v94
	v_cndmask_b32_e64 v67, 0, v67, s0
.LBB186_902:                            ;   in Loop: Header=BB186_561 Depth=1
	s_or_b32 exec_lo, exec_lo, s25
	global_load_b32 v78, v[32:33], off offset:1280
	v_mov_b64_e32 v[70:71], 0
	v_mov_b64_e32 v[72:73], 0
	s_mov_b32 s25, exec_lo
	s_wait_loadcnt 0x0
	v_and_b32_e32 v22, 0xff, v78
	s_delay_alu instid0(VALU_DEP_1)
	v_cmpx_ne_u16_e32 0, v22
	s_cbranch_execz .LBB186_910
; %bb.903:                              ;   in Loop: Header=BB186_561 Depth=1
	v_mov_b64_e32 v[72:73], 0x80000000
	s_mov_b32 s26, exec_lo
	v_cmpx_ne_u16_e32 0x80, v22
	s_cbranch_execz .LBB186_909
; %bb.904:                              ;   in Loop: Header=BB186_561 Depth=1
	v_mov_b64_e32 v[72:73], 0x7f800001
	v_and_b32_e32 v74, 0x7f, v78
	s_mov_b32 s27, exec_lo
	s_delay_alu instid0(VALU_DEP_1)
	v_cmpx_ne_u32_e32 0x7f, v74
	s_cbranch_execz .LBB186_908
; %bb.905:                              ;   in Loop: Header=BB186_561 Depth=1
	v_and_b32_e32 v22, 7, v78
	v_lshrrev_b32_e32 v72, 3, v74
	s_mov_b32 s28, exec_lo
	v_cmpx_gt_u32_e32 8, v74
; %bb.906:                              ;   in Loop: Header=BB186_561 Depth=1
	s_delay_alu instid0(VALU_DEP_3) | instskip(NEXT) | instid1(VALU_DEP_1)
	v_clz_i32_u32_e32 v72, v22
	v_min_u32_e32 v72, 32, v72
	s_delay_alu instid0(VALU_DEP_1) | instskip(NEXT) | instid1(VALU_DEP_1)
	v_subrev_nc_u32_e32 v73, 28, v72
	v_lshlrev_b64_e32 v[74:75], v73, v[22:23]
	s_delay_alu instid0(VALU_DEP_1)
	v_dual_sub_nc_u32 v72, 29, v72 :: v_dual_bitop2_b32 v22, 7, v74 bitop3:0x40
; %bb.907:                              ;   in Loop: Header=BB186_561 Depth=1
	s_or_b32 exec_lo, exec_lo, s28
	v_lshlrev_b32_e32 v73, 24, v78
	s_delay_alu instid0(VALU_DEP_2) | instskip(NEXT) | instid1(VALU_DEP_3)
	v_lshlrev_b32_e32 v22, 20, v22
	v_lshl_add_u32 v72, v72, 23, 0x3c000000
	s_delay_alu instid0(VALU_DEP_3) | instskip(NEXT) | instid1(VALU_DEP_1)
	v_and_b32_e32 v73, 0x80000000, v73
	v_or3_b32 v22, v22, v73, v72
	s_delay_alu instid0(VALU_DEP_1)
	v_mov_b64_e32 v[72:73], v[22:23]
.LBB186_908:                            ;   in Loop: Header=BB186_561 Depth=1
	s_or_b32 exec_lo, exec_lo, s27
.LBB186_909:                            ;   in Loop: Header=BB186_561 Depth=1
	s_delay_alu instid0(SALU_CYCLE_1)
	s_or_b32 exec_lo, exec_lo, s26
.LBB186_910:                            ;   in Loop: Header=BB186_561 Depth=1
	s_delay_alu instid0(SALU_CYCLE_1) | instskip(SKIP_2) | instid1(VALU_DEP_1)
	s_or_b32 exec_lo, exec_lo, s25
	v_lshrrev_b16 v22, 8, v78
	s_mov_b32 s25, exec_lo
	v_cmpx_ne_u16_e32 0, v22
	s_cbranch_execz .LBB186_918
; %bb.911:                              ;   in Loop: Header=BB186_561 Depth=1
	v_mov_b64_e32 v[70:71], 0x8000000000000000
	s_mov_b32 s26, exec_lo
	v_cmpx_ne_u16_e32 0x80, v22
	s_cbranch_execz .LBB186_917
; %bb.912:                              ;   in Loop: Header=BB186_561 Depth=1
	v_and_b32_e32 v22, 0xffff, v22
	v_mov_b64_e32 v[70:71], 0x7f80000100000000
	s_mov_b32 s27, exec_lo
	s_delay_alu instid0(VALU_DEP_2) | instskip(NEXT) | instid1(VALU_DEP_1)
	v_and_b32_e32 v74, 0x7f, v22
	v_cmpx_ne_u32_e32 0x7f, v74
	s_cbranch_execz .LBB186_916
; %bb.913:                              ;   in Loop: Header=BB186_561 Depth=1
	v_and_b32_e32 v22, 7, v22
	v_lshrrev_b32_e32 v70, 3, v74
	s_mov_b32 s28, exec_lo
	v_cmpx_gt_u32_e32 8, v74
; %bb.914:                              ;   in Loop: Header=BB186_561 Depth=1
	s_delay_alu instid0(VALU_DEP_3) | instskip(NEXT) | instid1(VALU_DEP_1)
	v_clz_i32_u32_e32 v70, v22
	v_min_u32_e32 v70, 32, v70
	s_delay_alu instid0(VALU_DEP_1) | instskip(SKIP_1) | instid1(VALU_DEP_2)
	v_subrev_nc_u32_e32 v71, 28, v70
	v_sub_nc_u32_e32 v70, 29, v70
	v_lshlrev_b64_e32 v[74:75], v71, v[22:23]
	s_delay_alu instid0(VALU_DEP_1)
	v_and_b32_e32 v22, 7, v74
; %bb.915:                              ;   in Loop: Header=BB186_561 Depth=1
	s_or_b32 exec_lo, exec_lo, s28
	v_lshlrev_b32_e32 v71, 16, v78
	s_delay_alu instid0(VALU_DEP_2) | instskip(SKIP_1) | instid1(VALU_DEP_3)
	v_lshlrev_b32_e32 v22, 20, v22
	v_lshl_add_u32 v70, v70, 23, 0x3c000000
	v_and_b32_e32 v71, 0x80000000, v71
	s_delay_alu instid0(VALU_DEP_1)
	v_or3_b32 v71, v22, v71, v70
	v_mov_b32_e32 v70, v23
.LBB186_916:                            ;   in Loop: Header=BB186_561 Depth=1
	s_or_b32 exec_lo, exec_lo, s27
.LBB186_917:                            ;   in Loop: Header=BB186_561 Depth=1
	s_delay_alu instid0(SALU_CYCLE_1)
	s_or_b32 exec_lo, exec_lo, s26
.LBB186_918:                            ;   in Loop: Header=BB186_561 Depth=1
	s_delay_alu instid0(SALU_CYCLE_1) | instskip(SKIP_4) | instid1(VALU_DEP_3)
	s_or_b32 exec_lo, exec_lo, s25
	v_lshrrev_b32_e32 v79, 16, v78
	v_mov_b64_e32 v[74:75], 0
	v_mov_b64_e32 v[76:77], 0
	s_mov_b32 s25, exec_lo
	v_and_b32_e32 v22, 0xff, v79
	s_delay_alu instid0(VALU_DEP_1)
	v_cmpx_ne_u16_e32 0, v22
	s_cbranch_execz .LBB186_926
; %bb.919:                              ;   in Loop: Header=BB186_561 Depth=1
	v_mov_b64_e32 v[76:77], 0x80000000
	s_mov_b32 s26, exec_lo
	v_cmpx_ne_u16_e32 0x80, v22
	s_cbranch_execz .LBB186_925
; %bb.920:                              ;   in Loop: Header=BB186_561 Depth=1
	v_mov_b64_e32 v[76:77], 0x7f800001
	v_bfe_u32 v80, v78, 16, 7
	s_mov_b32 s27, exec_lo
	s_delay_alu instid0(VALU_DEP_1)
	v_cmpx_ne_u32_e32 0x7f, v80
	s_cbranch_execz .LBB186_924
; %bb.921:                              ;   in Loop: Header=BB186_561 Depth=1
	v_dual_lshrrev_b32 v76, 3, v80 :: v_dual_bitop2_b32 v22, 7, v79 bitop3:0x40
	s_mov_b32 s28, exec_lo
	v_cmpx_gt_u32_e32 8, v80
; %bb.922:                              ;   in Loop: Header=BB186_561 Depth=1
	s_delay_alu instid0(VALU_DEP_2) | instskip(NEXT) | instid1(VALU_DEP_1)
	v_clz_i32_u32_e32 v76, v22
	v_min_u32_e32 v76, 32, v76
	s_delay_alu instid0(VALU_DEP_1) | instskip(SKIP_1) | instid1(VALU_DEP_2)
	v_subrev_nc_u32_e32 v77, 28, v76
	v_sub_nc_u32_e32 v76, 29, v76
	v_lshlrev_b64_e32 v[80:81], v77, v[22:23]
	s_delay_alu instid0(VALU_DEP_1)
	v_and_b32_e32 v22, 7, v80
; %bb.923:                              ;   in Loop: Header=BB186_561 Depth=1
	s_or_b32 exec_lo, exec_lo, s28
	s_delay_alu instid0(VALU_DEP_1) | instskip(SKIP_1) | instid1(VALU_DEP_2)
	v_dual_lshlrev_b32 v77, 24, v79 :: v_dual_lshlrev_b32 v22, 20, v22
	v_lshl_add_u32 v76, v76, 23, 0x3c000000
	v_and_b32_e32 v77, 0x80000000, v77
	s_delay_alu instid0(VALU_DEP_1) | instskip(NEXT) | instid1(VALU_DEP_1)
	v_or3_b32 v22, v22, v77, v76
	v_mov_b64_e32 v[76:77], v[22:23]
.LBB186_924:                            ;   in Loop: Header=BB186_561 Depth=1
	s_or_b32 exec_lo, exec_lo, s27
.LBB186_925:                            ;   in Loop: Header=BB186_561 Depth=1
	s_delay_alu instid0(SALU_CYCLE_1)
	s_or_b32 exec_lo, exec_lo, s26
.LBB186_926:                            ;   in Loop: Header=BB186_561 Depth=1
	s_delay_alu instid0(SALU_CYCLE_1) | instskip(NEXT) | instid1(SALU_CYCLE_1)
	s_or_b32 exec_lo, exec_lo, s25
	s_mov_b32 s25, exec_lo
	v_cmpx_lt_u32_e32 0xffffff, v78
	s_cbranch_execz .LBB186_934
; %bb.927:                              ;   in Loop: Header=BB186_561 Depth=1
	v_mov_b64_e32 v[74:75], 0x8000000000000000
	v_lshrrev_b32_e32 v79, 24, v78
	s_mov_b32 s26, exec_lo
	s_delay_alu instid0(VALU_DEP_1)
	v_cmpx_ne_u32_e32 0x80, v79
	s_cbranch_execz .LBB186_933
; %bb.928:                              ;   in Loop: Header=BB186_561 Depth=1
	v_mov_b64_e32 v[74:75], 0x7f80000100000000
	v_bfe_u32 v78, v78, 24, 7
	s_mov_b32 s27, exec_lo
	s_delay_alu instid0(VALU_DEP_1)
	v_cmpx_ne_u32_e32 0x7f, v78
	s_cbranch_execz .LBB186_932
; %bb.929:                              ;   in Loop: Header=BB186_561 Depth=1
	v_dual_lshrrev_b32 v74, 3, v78 :: v_dual_bitop2_b32 v22, 7, v79 bitop3:0x40
	s_mov_b32 s28, exec_lo
	v_cmpx_gt_u32_e32 8, v78
; %bb.930:                              ;   in Loop: Header=BB186_561 Depth=1
	s_delay_alu instid0(VALU_DEP_2) | instskip(NEXT) | instid1(VALU_DEP_1)
	v_clz_i32_u32_e32 v74, v22
	v_min_u32_e32 v74, 32, v74
	s_delay_alu instid0(VALU_DEP_1) | instskip(NEXT) | instid1(VALU_DEP_1)
	v_subrev_nc_u32_e32 v75, 28, v74
	v_lshlrev_b64_e32 v[80:81], v75, v[22:23]
	s_delay_alu instid0(VALU_DEP_1)
	v_dual_sub_nc_u32 v74, 29, v74 :: v_dual_bitop2_b32 v22, 7, v80 bitop3:0x40
; %bb.931:                              ;   in Loop: Header=BB186_561 Depth=1
	s_or_b32 exec_lo, exec_lo, s28
	s_delay_alu instid0(VALU_DEP_1) | instskip(NEXT) | instid1(VALU_DEP_2)
	v_dual_lshlrev_b32 v75, 24, v79 :: v_dual_lshlrev_b32 v22, 20, v22
	v_lshl_add_u32 v74, v74, 23, 0x3c000000
	s_delay_alu instid0(VALU_DEP_2) | instskip(NEXT) | instid1(VALU_DEP_1)
	v_and_b32_e32 v75, 0x80000000, v75
	v_or3_b32 v75, v22, v75, v74
	v_mov_b32_e32 v74, v23
.LBB186_932:                            ;   in Loop: Header=BB186_561 Depth=1
	s_or_b32 exec_lo, exec_lo, s27
.LBB186_933:                            ;   in Loop: Header=BB186_561 Depth=1
	s_delay_alu instid0(SALU_CYCLE_1)
	s_or_b32 exec_lo, exec_lo, s26
.LBB186_934:                            ;   in Loop: Header=BB186_561 Depth=1
	s_delay_alu instid0(SALU_CYCLE_1)
	s_or_b32 exec_lo, exec_lo, s25
	v_mov_b64_e32 v[78:79], s[8:9]
	v_or_b32_e32 v71, v71, v73
	v_or_b32_e32 v70, v70, v72
	;; [unrolled: 1-line block ×4, first 2 shown]
	s_delay_alu instid0(VALU_DEP_3) | instskip(NEXT) | instid1(VALU_DEP_2)
	v_pk_mul_f32 v[72:73], v[78:79], v[70:71]
	v_pk_mul_f32 v[70:71], v[78:79], v[74:75]
	s_and_saveexec_b32 s25, vcc_lo
	s_cbranch_execz .LBB186_936
; %bb.935:                              ;   in Loop: Header=BB186_561 Depth=1
	v_cmp_gt_i32_e64 s0, s34, v51
	s_delay_alu instid0(VALU_DEP_1) | instskip(SKIP_1) | instid1(VALU_DEP_1)
	v_cndmask_b32_e64 v72, 0, v72, s0
	v_cmp_gt_i32_e64 s0, s34, v103
	v_cndmask_b32_e64 v73, 0, v73, s0
	v_cmp_gt_i32_e64 s0, s34, v95
	s_delay_alu instid0(VALU_DEP_1) | instskip(SKIP_1) | instid1(VALU_DEP_1)
	v_cndmask_b32_e64 v70, 0, v70, s0
	v_cmp_gt_i32_e64 s0, s34, v94
	v_cndmask_b32_e64 v71, 0, v71, s0
.LBB186_936:                            ;   in Loop: Header=BB186_561 Depth=1
	s_or_b32 exec_lo, exec_lo, s25
	global_load_b32 v82, v[32:33], off offset:1408
	v_mov_b64_e32 v[74:75], 0
	v_mov_b64_e32 v[76:77], 0
	s_mov_b32 s25, exec_lo
	s_wait_loadcnt 0x0
	v_and_b32_e32 v22, 0xff, v82
	s_delay_alu instid0(VALU_DEP_1)
	v_cmpx_ne_u16_e32 0, v22
	s_cbranch_execz .LBB186_944
; %bb.937:                              ;   in Loop: Header=BB186_561 Depth=1
	v_mov_b64_e32 v[76:77], 0x80000000
	s_mov_b32 s26, exec_lo
	v_cmpx_ne_u16_e32 0x80, v22
	s_cbranch_execz .LBB186_943
; %bb.938:                              ;   in Loop: Header=BB186_561 Depth=1
	v_mov_b64_e32 v[76:77], 0x7f800001
	v_and_b32_e32 v78, 0x7f, v82
	s_mov_b32 s27, exec_lo
	s_delay_alu instid0(VALU_DEP_1)
	v_cmpx_ne_u32_e32 0x7f, v78
	s_cbranch_execz .LBB186_942
; %bb.939:                              ;   in Loop: Header=BB186_561 Depth=1
	v_and_b32_e32 v22, 7, v82
	v_lshrrev_b32_e32 v76, 3, v78
	s_mov_b32 s28, exec_lo
	v_cmpx_gt_u32_e32 8, v78
; %bb.940:                              ;   in Loop: Header=BB186_561 Depth=1
	s_delay_alu instid0(VALU_DEP_3) | instskip(NEXT) | instid1(VALU_DEP_1)
	v_clz_i32_u32_e32 v76, v22
	v_min_u32_e32 v76, 32, v76
	s_delay_alu instid0(VALU_DEP_1) | instskip(NEXT) | instid1(VALU_DEP_1)
	v_subrev_nc_u32_e32 v77, 28, v76
	v_lshlrev_b64_e32 v[78:79], v77, v[22:23]
	s_delay_alu instid0(VALU_DEP_1)
	v_dual_sub_nc_u32 v76, 29, v76 :: v_dual_bitop2_b32 v22, 7, v78 bitop3:0x40
; %bb.941:                              ;   in Loop: Header=BB186_561 Depth=1
	s_or_b32 exec_lo, exec_lo, s28
	v_lshlrev_b32_e32 v77, 24, v82
	s_delay_alu instid0(VALU_DEP_2) | instskip(NEXT) | instid1(VALU_DEP_3)
	v_lshlrev_b32_e32 v22, 20, v22
	v_lshl_add_u32 v76, v76, 23, 0x3c000000
	s_delay_alu instid0(VALU_DEP_3) | instskip(NEXT) | instid1(VALU_DEP_1)
	v_and_b32_e32 v77, 0x80000000, v77
	v_or3_b32 v22, v22, v77, v76
	s_delay_alu instid0(VALU_DEP_1)
	v_mov_b64_e32 v[76:77], v[22:23]
.LBB186_942:                            ;   in Loop: Header=BB186_561 Depth=1
	s_or_b32 exec_lo, exec_lo, s27
.LBB186_943:                            ;   in Loop: Header=BB186_561 Depth=1
	s_delay_alu instid0(SALU_CYCLE_1)
	s_or_b32 exec_lo, exec_lo, s26
.LBB186_944:                            ;   in Loop: Header=BB186_561 Depth=1
	s_delay_alu instid0(SALU_CYCLE_1) | instskip(SKIP_2) | instid1(VALU_DEP_1)
	s_or_b32 exec_lo, exec_lo, s25
	v_lshrrev_b16 v22, 8, v82
	s_mov_b32 s25, exec_lo
	v_cmpx_ne_u16_e32 0, v22
	s_cbranch_execz .LBB186_952
; %bb.945:                              ;   in Loop: Header=BB186_561 Depth=1
	v_mov_b64_e32 v[74:75], 0x8000000000000000
	s_mov_b32 s26, exec_lo
	v_cmpx_ne_u16_e32 0x80, v22
	s_cbranch_execz .LBB186_951
; %bb.946:                              ;   in Loop: Header=BB186_561 Depth=1
	v_and_b32_e32 v22, 0xffff, v22
	v_mov_b64_e32 v[74:75], 0x7f80000100000000
	s_mov_b32 s27, exec_lo
	s_delay_alu instid0(VALU_DEP_2) | instskip(NEXT) | instid1(VALU_DEP_1)
	v_and_b32_e32 v78, 0x7f, v22
	v_cmpx_ne_u32_e32 0x7f, v78
	s_cbranch_execz .LBB186_950
; %bb.947:                              ;   in Loop: Header=BB186_561 Depth=1
	v_and_b32_e32 v22, 7, v22
	v_lshrrev_b32_e32 v74, 3, v78
	s_mov_b32 s28, exec_lo
	v_cmpx_gt_u32_e32 8, v78
; %bb.948:                              ;   in Loop: Header=BB186_561 Depth=1
	s_delay_alu instid0(VALU_DEP_3) | instskip(NEXT) | instid1(VALU_DEP_1)
	v_clz_i32_u32_e32 v74, v22
	v_min_u32_e32 v74, 32, v74
	s_delay_alu instid0(VALU_DEP_1) | instskip(SKIP_1) | instid1(VALU_DEP_2)
	v_subrev_nc_u32_e32 v75, 28, v74
	v_sub_nc_u32_e32 v74, 29, v74
	v_lshlrev_b64_e32 v[78:79], v75, v[22:23]
	s_delay_alu instid0(VALU_DEP_1)
	v_and_b32_e32 v22, 7, v78
; %bb.949:                              ;   in Loop: Header=BB186_561 Depth=1
	s_or_b32 exec_lo, exec_lo, s28
	v_lshlrev_b32_e32 v75, 16, v82
	s_delay_alu instid0(VALU_DEP_2) | instskip(SKIP_1) | instid1(VALU_DEP_3)
	v_lshlrev_b32_e32 v22, 20, v22
	v_lshl_add_u32 v74, v74, 23, 0x3c000000
	v_and_b32_e32 v75, 0x80000000, v75
	s_delay_alu instid0(VALU_DEP_1)
	v_or3_b32 v75, v22, v75, v74
	v_mov_b32_e32 v74, v23
.LBB186_950:                            ;   in Loop: Header=BB186_561 Depth=1
	s_or_b32 exec_lo, exec_lo, s27
.LBB186_951:                            ;   in Loop: Header=BB186_561 Depth=1
	s_delay_alu instid0(SALU_CYCLE_1)
	s_or_b32 exec_lo, exec_lo, s26
.LBB186_952:                            ;   in Loop: Header=BB186_561 Depth=1
	s_delay_alu instid0(SALU_CYCLE_1) | instskip(SKIP_4) | instid1(VALU_DEP_3)
	s_or_b32 exec_lo, exec_lo, s25
	v_lshrrev_b32_e32 v83, 16, v82
	v_mov_b64_e32 v[78:79], 0
	v_mov_b64_e32 v[80:81], 0
	s_mov_b32 s25, exec_lo
	v_and_b32_e32 v22, 0xff, v83
	s_delay_alu instid0(VALU_DEP_1)
	v_cmpx_ne_u16_e32 0, v22
	s_cbranch_execz .LBB186_960
; %bb.953:                              ;   in Loop: Header=BB186_561 Depth=1
	v_mov_b64_e32 v[80:81], 0x80000000
	s_mov_b32 s26, exec_lo
	v_cmpx_ne_u16_e32 0x80, v22
	s_cbranch_execz .LBB186_959
; %bb.954:                              ;   in Loop: Header=BB186_561 Depth=1
	v_mov_b64_e32 v[80:81], 0x7f800001
	v_bfe_u32 v84, v82, 16, 7
	s_mov_b32 s27, exec_lo
	s_delay_alu instid0(VALU_DEP_1)
	v_cmpx_ne_u32_e32 0x7f, v84
	s_cbranch_execz .LBB186_958
; %bb.955:                              ;   in Loop: Header=BB186_561 Depth=1
	v_dual_lshrrev_b32 v80, 3, v84 :: v_dual_bitop2_b32 v22, 7, v83 bitop3:0x40
	s_mov_b32 s28, exec_lo
	v_cmpx_gt_u32_e32 8, v84
; %bb.956:                              ;   in Loop: Header=BB186_561 Depth=1
	s_delay_alu instid0(VALU_DEP_2) | instskip(NEXT) | instid1(VALU_DEP_1)
	v_clz_i32_u32_e32 v80, v22
	v_min_u32_e32 v80, 32, v80
	s_delay_alu instid0(VALU_DEP_1) | instskip(SKIP_1) | instid1(VALU_DEP_2)
	v_subrev_nc_u32_e32 v81, 28, v80
	v_sub_nc_u32_e32 v80, 29, v80
	v_lshlrev_b64_e32 v[84:85], v81, v[22:23]
	s_delay_alu instid0(VALU_DEP_1)
	v_and_b32_e32 v22, 7, v84
; %bb.957:                              ;   in Loop: Header=BB186_561 Depth=1
	s_or_b32 exec_lo, exec_lo, s28
	s_delay_alu instid0(VALU_DEP_1) | instskip(SKIP_1) | instid1(VALU_DEP_2)
	v_dual_lshlrev_b32 v81, 24, v83 :: v_dual_lshlrev_b32 v22, 20, v22
	v_lshl_add_u32 v80, v80, 23, 0x3c000000
	v_and_b32_e32 v81, 0x80000000, v81
	s_delay_alu instid0(VALU_DEP_1) | instskip(NEXT) | instid1(VALU_DEP_1)
	v_or3_b32 v22, v22, v81, v80
	v_mov_b64_e32 v[80:81], v[22:23]
.LBB186_958:                            ;   in Loop: Header=BB186_561 Depth=1
	s_or_b32 exec_lo, exec_lo, s27
.LBB186_959:                            ;   in Loop: Header=BB186_561 Depth=1
	s_delay_alu instid0(SALU_CYCLE_1)
	s_or_b32 exec_lo, exec_lo, s26
.LBB186_960:                            ;   in Loop: Header=BB186_561 Depth=1
	s_delay_alu instid0(SALU_CYCLE_1) | instskip(NEXT) | instid1(SALU_CYCLE_1)
	s_or_b32 exec_lo, exec_lo, s25
	s_mov_b32 s25, exec_lo
	v_cmpx_lt_u32_e32 0xffffff, v82
	s_cbranch_execz .LBB186_968
; %bb.961:                              ;   in Loop: Header=BB186_561 Depth=1
	v_mov_b64_e32 v[78:79], 0x8000000000000000
	v_lshrrev_b32_e32 v83, 24, v82
	s_mov_b32 s26, exec_lo
	s_delay_alu instid0(VALU_DEP_1)
	v_cmpx_ne_u32_e32 0x80, v83
	s_cbranch_execz .LBB186_967
; %bb.962:                              ;   in Loop: Header=BB186_561 Depth=1
	v_mov_b64_e32 v[78:79], 0x7f80000100000000
	v_bfe_u32 v82, v82, 24, 7
	s_mov_b32 s27, exec_lo
	s_delay_alu instid0(VALU_DEP_1)
	v_cmpx_ne_u32_e32 0x7f, v82
	s_cbranch_execz .LBB186_966
; %bb.963:                              ;   in Loop: Header=BB186_561 Depth=1
	v_dual_lshrrev_b32 v78, 3, v82 :: v_dual_bitop2_b32 v22, 7, v83 bitop3:0x40
	s_mov_b32 s28, exec_lo
	v_cmpx_gt_u32_e32 8, v82
; %bb.964:                              ;   in Loop: Header=BB186_561 Depth=1
	s_delay_alu instid0(VALU_DEP_2) | instskip(NEXT) | instid1(VALU_DEP_1)
	v_clz_i32_u32_e32 v78, v22
	v_min_u32_e32 v78, 32, v78
	s_delay_alu instid0(VALU_DEP_1) | instskip(NEXT) | instid1(VALU_DEP_1)
	v_subrev_nc_u32_e32 v79, 28, v78
	v_lshlrev_b64_e32 v[84:85], v79, v[22:23]
	s_delay_alu instid0(VALU_DEP_1)
	v_dual_sub_nc_u32 v78, 29, v78 :: v_dual_bitop2_b32 v22, 7, v84 bitop3:0x40
; %bb.965:                              ;   in Loop: Header=BB186_561 Depth=1
	s_or_b32 exec_lo, exec_lo, s28
	s_delay_alu instid0(VALU_DEP_1) | instskip(NEXT) | instid1(VALU_DEP_2)
	v_dual_lshlrev_b32 v79, 24, v83 :: v_dual_lshlrev_b32 v22, 20, v22
	v_lshl_add_u32 v78, v78, 23, 0x3c000000
	s_delay_alu instid0(VALU_DEP_2) | instskip(NEXT) | instid1(VALU_DEP_1)
	v_and_b32_e32 v79, 0x80000000, v79
	v_or3_b32 v79, v22, v79, v78
	v_mov_b32_e32 v78, v23
.LBB186_966:                            ;   in Loop: Header=BB186_561 Depth=1
	s_or_b32 exec_lo, exec_lo, s27
.LBB186_967:                            ;   in Loop: Header=BB186_561 Depth=1
	s_delay_alu instid0(SALU_CYCLE_1)
	s_or_b32 exec_lo, exec_lo, s26
.LBB186_968:                            ;   in Loop: Header=BB186_561 Depth=1
	s_delay_alu instid0(SALU_CYCLE_1)
	s_or_b32 exec_lo, exec_lo, s25
	v_mov_b64_e32 v[82:83], s[8:9]
	v_or_b32_e32 v75, v75, v77
	v_or_b32_e32 v74, v74, v76
	;; [unrolled: 1-line block ×4, first 2 shown]
	s_delay_alu instid0(VALU_DEP_3) | instskip(NEXT) | instid1(VALU_DEP_2)
	v_pk_mul_f32 v[76:77], v[82:83], v[74:75]
	v_pk_mul_f32 v[74:75], v[82:83], v[78:79]
	s_and_saveexec_b32 s25, vcc_lo
	s_cbranch_execz .LBB186_970
; %bb.969:                              ;   in Loop: Header=BB186_561 Depth=1
	v_cmp_gt_i32_e64 s0, s34, v51
	s_delay_alu instid0(VALU_DEP_1) | instskip(SKIP_1) | instid1(VALU_DEP_1)
	v_cndmask_b32_e64 v76, 0, v76, s0
	v_cmp_gt_i32_e64 s0, s34, v103
	v_cndmask_b32_e64 v77, 0, v77, s0
	v_cmp_gt_i32_e64 s0, s34, v95
	s_delay_alu instid0(VALU_DEP_1) | instskip(SKIP_1) | instid1(VALU_DEP_1)
	v_cndmask_b32_e64 v74, 0, v74, s0
	v_cmp_gt_i32_e64 s0, s34, v94
	v_cndmask_b32_e64 v75, 0, v75, s0
.LBB186_970:                            ;   in Loop: Header=BB186_561 Depth=1
	s_or_b32 exec_lo, exec_lo, s25
	global_load_b32 v86, v[32:33], off offset:1536
	v_mov_b64_e32 v[78:79], 0
	v_mov_b64_e32 v[80:81], 0
	s_mov_b32 s25, exec_lo
	s_wait_loadcnt 0x0
	v_and_b32_e32 v22, 0xff, v86
	s_delay_alu instid0(VALU_DEP_1)
	v_cmpx_ne_u16_e32 0, v22
	s_cbranch_execz .LBB186_978
; %bb.971:                              ;   in Loop: Header=BB186_561 Depth=1
	v_mov_b64_e32 v[80:81], 0x80000000
	s_mov_b32 s26, exec_lo
	v_cmpx_ne_u16_e32 0x80, v22
	s_cbranch_execz .LBB186_977
; %bb.972:                              ;   in Loop: Header=BB186_561 Depth=1
	v_mov_b64_e32 v[80:81], 0x7f800001
	v_and_b32_e32 v82, 0x7f, v86
	s_mov_b32 s27, exec_lo
	s_delay_alu instid0(VALU_DEP_1)
	v_cmpx_ne_u32_e32 0x7f, v82
	s_cbranch_execz .LBB186_976
; %bb.973:                              ;   in Loop: Header=BB186_561 Depth=1
	v_and_b32_e32 v22, 7, v86
	v_lshrrev_b32_e32 v80, 3, v82
	s_mov_b32 s28, exec_lo
	v_cmpx_gt_u32_e32 8, v82
; %bb.974:                              ;   in Loop: Header=BB186_561 Depth=1
	s_delay_alu instid0(VALU_DEP_3) | instskip(NEXT) | instid1(VALU_DEP_1)
	v_clz_i32_u32_e32 v80, v22
	v_min_u32_e32 v80, 32, v80
	s_delay_alu instid0(VALU_DEP_1) | instskip(NEXT) | instid1(VALU_DEP_1)
	v_subrev_nc_u32_e32 v81, 28, v80
	v_lshlrev_b64_e32 v[82:83], v81, v[22:23]
	s_delay_alu instid0(VALU_DEP_1)
	v_dual_sub_nc_u32 v80, 29, v80 :: v_dual_bitop2_b32 v22, 7, v82 bitop3:0x40
; %bb.975:                              ;   in Loop: Header=BB186_561 Depth=1
	s_or_b32 exec_lo, exec_lo, s28
	v_lshlrev_b32_e32 v81, 24, v86
	s_delay_alu instid0(VALU_DEP_2) | instskip(NEXT) | instid1(VALU_DEP_3)
	v_lshlrev_b32_e32 v22, 20, v22
	v_lshl_add_u32 v80, v80, 23, 0x3c000000
	s_delay_alu instid0(VALU_DEP_3) | instskip(NEXT) | instid1(VALU_DEP_1)
	v_and_b32_e32 v81, 0x80000000, v81
	v_or3_b32 v22, v22, v81, v80
	s_delay_alu instid0(VALU_DEP_1)
	v_mov_b64_e32 v[80:81], v[22:23]
.LBB186_976:                            ;   in Loop: Header=BB186_561 Depth=1
	s_or_b32 exec_lo, exec_lo, s27
.LBB186_977:                            ;   in Loop: Header=BB186_561 Depth=1
	s_delay_alu instid0(SALU_CYCLE_1)
	s_or_b32 exec_lo, exec_lo, s26
.LBB186_978:                            ;   in Loop: Header=BB186_561 Depth=1
	s_delay_alu instid0(SALU_CYCLE_1) | instskip(SKIP_2) | instid1(VALU_DEP_1)
	s_or_b32 exec_lo, exec_lo, s25
	v_lshrrev_b16 v22, 8, v86
	s_mov_b32 s25, exec_lo
	v_cmpx_ne_u16_e32 0, v22
	s_cbranch_execz .LBB186_986
; %bb.979:                              ;   in Loop: Header=BB186_561 Depth=1
	v_mov_b64_e32 v[78:79], 0x8000000000000000
	s_mov_b32 s26, exec_lo
	v_cmpx_ne_u16_e32 0x80, v22
	s_cbranch_execz .LBB186_985
; %bb.980:                              ;   in Loop: Header=BB186_561 Depth=1
	v_and_b32_e32 v22, 0xffff, v22
	v_mov_b64_e32 v[78:79], 0x7f80000100000000
	s_mov_b32 s27, exec_lo
	s_delay_alu instid0(VALU_DEP_2) | instskip(NEXT) | instid1(VALU_DEP_1)
	v_and_b32_e32 v82, 0x7f, v22
	v_cmpx_ne_u32_e32 0x7f, v82
	s_cbranch_execz .LBB186_984
; %bb.981:                              ;   in Loop: Header=BB186_561 Depth=1
	v_and_b32_e32 v22, 7, v22
	v_lshrrev_b32_e32 v78, 3, v82
	s_mov_b32 s28, exec_lo
	v_cmpx_gt_u32_e32 8, v82
; %bb.982:                              ;   in Loop: Header=BB186_561 Depth=1
	s_delay_alu instid0(VALU_DEP_3) | instskip(NEXT) | instid1(VALU_DEP_1)
	v_clz_i32_u32_e32 v78, v22
	v_min_u32_e32 v78, 32, v78
	s_delay_alu instid0(VALU_DEP_1) | instskip(SKIP_1) | instid1(VALU_DEP_2)
	v_subrev_nc_u32_e32 v79, 28, v78
	v_sub_nc_u32_e32 v78, 29, v78
	v_lshlrev_b64_e32 v[82:83], v79, v[22:23]
	s_delay_alu instid0(VALU_DEP_1)
	v_and_b32_e32 v22, 7, v82
; %bb.983:                              ;   in Loop: Header=BB186_561 Depth=1
	s_or_b32 exec_lo, exec_lo, s28
	v_lshlrev_b32_e32 v79, 16, v86
	s_delay_alu instid0(VALU_DEP_2) | instskip(SKIP_1) | instid1(VALU_DEP_3)
	v_lshlrev_b32_e32 v22, 20, v22
	v_lshl_add_u32 v78, v78, 23, 0x3c000000
	v_and_b32_e32 v79, 0x80000000, v79
	s_delay_alu instid0(VALU_DEP_1)
	v_or3_b32 v79, v22, v79, v78
	v_mov_b32_e32 v78, v23
.LBB186_984:                            ;   in Loop: Header=BB186_561 Depth=1
	s_or_b32 exec_lo, exec_lo, s27
.LBB186_985:                            ;   in Loop: Header=BB186_561 Depth=1
	s_delay_alu instid0(SALU_CYCLE_1)
	s_or_b32 exec_lo, exec_lo, s26
.LBB186_986:                            ;   in Loop: Header=BB186_561 Depth=1
	s_delay_alu instid0(SALU_CYCLE_1) | instskip(SKIP_4) | instid1(VALU_DEP_3)
	s_or_b32 exec_lo, exec_lo, s25
	v_lshrrev_b32_e32 v87, 16, v86
	v_mov_b64_e32 v[82:83], 0
	v_mov_b64_e32 v[84:85], 0
	s_mov_b32 s25, exec_lo
	v_and_b32_e32 v22, 0xff, v87
	s_delay_alu instid0(VALU_DEP_1)
	v_cmpx_ne_u16_e32 0, v22
	s_cbranch_execz .LBB186_994
; %bb.987:                              ;   in Loop: Header=BB186_561 Depth=1
	v_mov_b64_e32 v[84:85], 0x80000000
	s_mov_b32 s26, exec_lo
	v_cmpx_ne_u16_e32 0x80, v22
	s_cbranch_execz .LBB186_993
; %bb.988:                              ;   in Loop: Header=BB186_561 Depth=1
	v_mov_b64_e32 v[84:85], 0x7f800001
	v_bfe_u32 v88, v86, 16, 7
	s_mov_b32 s27, exec_lo
	s_delay_alu instid0(VALU_DEP_1)
	v_cmpx_ne_u32_e32 0x7f, v88
	s_cbranch_execz .LBB186_992
; %bb.989:                              ;   in Loop: Header=BB186_561 Depth=1
	v_dual_lshrrev_b32 v84, 3, v88 :: v_dual_bitop2_b32 v22, 7, v87 bitop3:0x40
	s_mov_b32 s28, exec_lo
	v_cmpx_gt_u32_e32 8, v88
; %bb.990:                              ;   in Loop: Header=BB186_561 Depth=1
	s_delay_alu instid0(VALU_DEP_2) | instskip(NEXT) | instid1(VALU_DEP_1)
	v_clz_i32_u32_e32 v84, v22
	v_min_u32_e32 v84, 32, v84
	s_delay_alu instid0(VALU_DEP_1) | instskip(SKIP_1) | instid1(VALU_DEP_2)
	v_subrev_nc_u32_e32 v85, 28, v84
	v_sub_nc_u32_e32 v84, 29, v84
	v_lshlrev_b64_e32 v[88:89], v85, v[22:23]
	s_delay_alu instid0(VALU_DEP_1)
	v_and_b32_e32 v22, 7, v88
; %bb.991:                              ;   in Loop: Header=BB186_561 Depth=1
	s_or_b32 exec_lo, exec_lo, s28
	s_delay_alu instid0(VALU_DEP_1) | instskip(SKIP_1) | instid1(VALU_DEP_2)
	v_dual_lshlrev_b32 v85, 24, v87 :: v_dual_lshlrev_b32 v22, 20, v22
	v_lshl_add_u32 v84, v84, 23, 0x3c000000
	v_and_b32_e32 v85, 0x80000000, v85
	s_delay_alu instid0(VALU_DEP_1) | instskip(NEXT) | instid1(VALU_DEP_1)
	v_or3_b32 v22, v22, v85, v84
	v_mov_b64_e32 v[84:85], v[22:23]
.LBB186_992:                            ;   in Loop: Header=BB186_561 Depth=1
	s_or_b32 exec_lo, exec_lo, s27
.LBB186_993:                            ;   in Loop: Header=BB186_561 Depth=1
	s_delay_alu instid0(SALU_CYCLE_1)
	s_or_b32 exec_lo, exec_lo, s26
.LBB186_994:                            ;   in Loop: Header=BB186_561 Depth=1
	s_delay_alu instid0(SALU_CYCLE_1) | instskip(NEXT) | instid1(SALU_CYCLE_1)
	s_or_b32 exec_lo, exec_lo, s25
	s_mov_b32 s25, exec_lo
	v_cmpx_lt_u32_e32 0xffffff, v86
	s_cbranch_execz .LBB186_1002
; %bb.995:                              ;   in Loop: Header=BB186_561 Depth=1
	v_mov_b64_e32 v[82:83], 0x8000000000000000
	v_lshrrev_b32_e32 v87, 24, v86
	s_mov_b32 s26, exec_lo
	s_delay_alu instid0(VALU_DEP_1)
	v_cmpx_ne_u32_e32 0x80, v87
	s_cbranch_execz .LBB186_1001
; %bb.996:                              ;   in Loop: Header=BB186_561 Depth=1
	v_mov_b64_e32 v[82:83], 0x7f80000100000000
	v_bfe_u32 v86, v86, 24, 7
	s_mov_b32 s27, exec_lo
	s_delay_alu instid0(VALU_DEP_1)
	v_cmpx_ne_u32_e32 0x7f, v86
	s_cbranch_execz .LBB186_1000
; %bb.997:                              ;   in Loop: Header=BB186_561 Depth=1
	v_dual_lshrrev_b32 v82, 3, v86 :: v_dual_bitop2_b32 v22, 7, v87 bitop3:0x40
	s_mov_b32 s28, exec_lo
	v_cmpx_gt_u32_e32 8, v86
; %bb.998:                              ;   in Loop: Header=BB186_561 Depth=1
	s_delay_alu instid0(VALU_DEP_2) | instskip(NEXT) | instid1(VALU_DEP_1)
	v_clz_i32_u32_e32 v82, v22
	v_min_u32_e32 v82, 32, v82
	s_delay_alu instid0(VALU_DEP_1) | instskip(NEXT) | instid1(VALU_DEP_1)
	v_subrev_nc_u32_e32 v83, 28, v82
	v_lshlrev_b64_e32 v[88:89], v83, v[22:23]
	s_delay_alu instid0(VALU_DEP_1)
	v_dual_sub_nc_u32 v82, 29, v82 :: v_dual_bitop2_b32 v22, 7, v88 bitop3:0x40
; %bb.999:                              ;   in Loop: Header=BB186_561 Depth=1
	s_or_b32 exec_lo, exec_lo, s28
	s_delay_alu instid0(VALU_DEP_1) | instskip(NEXT) | instid1(VALU_DEP_2)
	v_dual_lshlrev_b32 v83, 24, v87 :: v_dual_lshlrev_b32 v22, 20, v22
	v_lshl_add_u32 v82, v82, 23, 0x3c000000
	s_delay_alu instid0(VALU_DEP_2) | instskip(NEXT) | instid1(VALU_DEP_1)
	v_and_b32_e32 v83, 0x80000000, v83
	v_or3_b32 v83, v22, v83, v82
	v_mov_b32_e32 v82, v23
.LBB186_1000:                           ;   in Loop: Header=BB186_561 Depth=1
	s_or_b32 exec_lo, exec_lo, s27
.LBB186_1001:                           ;   in Loop: Header=BB186_561 Depth=1
	s_delay_alu instid0(SALU_CYCLE_1)
	s_or_b32 exec_lo, exec_lo, s26
.LBB186_1002:                           ;   in Loop: Header=BB186_561 Depth=1
	s_delay_alu instid0(SALU_CYCLE_1)
	s_or_b32 exec_lo, exec_lo, s25
	v_mov_b64_e32 v[86:87], s[8:9]
	v_or_b32_e32 v79, v79, v81
	v_or_b32_e32 v78, v78, v80
	;; [unrolled: 1-line block ×4, first 2 shown]
	s_delay_alu instid0(VALU_DEP_3) | instskip(NEXT) | instid1(VALU_DEP_2)
	v_pk_mul_f32 v[80:81], v[86:87], v[78:79]
	v_pk_mul_f32 v[78:79], v[86:87], v[82:83]
	s_and_saveexec_b32 s25, vcc_lo
	s_cbranch_execz .LBB186_1004
; %bb.1003:                             ;   in Loop: Header=BB186_561 Depth=1
	v_cmp_gt_i32_e64 s0, s34, v51
	s_delay_alu instid0(VALU_DEP_1) | instskip(SKIP_1) | instid1(VALU_DEP_1)
	v_cndmask_b32_e64 v80, 0, v80, s0
	v_cmp_gt_i32_e64 s0, s34, v103
	v_cndmask_b32_e64 v81, 0, v81, s0
	v_cmp_gt_i32_e64 s0, s34, v95
	s_delay_alu instid0(VALU_DEP_1) | instskip(SKIP_1) | instid1(VALU_DEP_1)
	v_cndmask_b32_e64 v78, 0, v78, s0
	v_cmp_gt_i32_e64 s0, s34, v94
	v_cndmask_b32_e64 v79, 0, v79, s0
.LBB186_1004:                           ;   in Loop: Header=BB186_561 Depth=1
	s_or_b32 exec_lo, exec_lo, s25
	global_load_b32 v90, v[32:33], off offset:1664
	v_mov_b64_e32 v[82:83], 0
	v_mov_b64_e32 v[84:85], 0
	s_mov_b32 s25, exec_lo
	s_wait_loadcnt 0x0
	v_and_b32_e32 v22, 0xff, v90
	s_delay_alu instid0(VALU_DEP_1)
	v_cmpx_ne_u16_e32 0, v22
	s_cbranch_execz .LBB186_1012
; %bb.1005:                             ;   in Loop: Header=BB186_561 Depth=1
	v_mov_b64_e32 v[84:85], 0x80000000
	s_mov_b32 s26, exec_lo
	v_cmpx_ne_u16_e32 0x80, v22
	s_cbranch_execz .LBB186_1011
; %bb.1006:                             ;   in Loop: Header=BB186_561 Depth=1
	v_mov_b64_e32 v[84:85], 0x7f800001
	v_and_b32_e32 v86, 0x7f, v90
	s_mov_b32 s27, exec_lo
	s_delay_alu instid0(VALU_DEP_1)
	v_cmpx_ne_u32_e32 0x7f, v86
	s_cbranch_execz .LBB186_1010
; %bb.1007:                             ;   in Loop: Header=BB186_561 Depth=1
	v_and_b32_e32 v22, 7, v90
	v_lshrrev_b32_e32 v84, 3, v86
	s_mov_b32 s28, exec_lo
	v_cmpx_gt_u32_e32 8, v86
; %bb.1008:                             ;   in Loop: Header=BB186_561 Depth=1
	s_delay_alu instid0(VALU_DEP_3) | instskip(NEXT) | instid1(VALU_DEP_1)
	v_clz_i32_u32_e32 v84, v22
	v_min_u32_e32 v84, 32, v84
	s_delay_alu instid0(VALU_DEP_1) | instskip(NEXT) | instid1(VALU_DEP_1)
	v_subrev_nc_u32_e32 v85, 28, v84
	v_lshlrev_b64_e32 v[86:87], v85, v[22:23]
	s_delay_alu instid0(VALU_DEP_1)
	v_dual_sub_nc_u32 v84, 29, v84 :: v_dual_bitop2_b32 v22, 7, v86 bitop3:0x40
; %bb.1009:                             ;   in Loop: Header=BB186_561 Depth=1
	s_or_b32 exec_lo, exec_lo, s28
	v_lshlrev_b32_e32 v85, 24, v90
	s_delay_alu instid0(VALU_DEP_2) | instskip(NEXT) | instid1(VALU_DEP_3)
	v_lshlrev_b32_e32 v22, 20, v22
	v_lshl_add_u32 v84, v84, 23, 0x3c000000
	s_delay_alu instid0(VALU_DEP_3) | instskip(NEXT) | instid1(VALU_DEP_1)
	v_and_b32_e32 v85, 0x80000000, v85
	v_or3_b32 v22, v22, v85, v84
	s_delay_alu instid0(VALU_DEP_1)
	v_mov_b64_e32 v[84:85], v[22:23]
.LBB186_1010:                           ;   in Loop: Header=BB186_561 Depth=1
	s_or_b32 exec_lo, exec_lo, s27
.LBB186_1011:                           ;   in Loop: Header=BB186_561 Depth=1
	s_delay_alu instid0(SALU_CYCLE_1)
	s_or_b32 exec_lo, exec_lo, s26
.LBB186_1012:                           ;   in Loop: Header=BB186_561 Depth=1
	s_delay_alu instid0(SALU_CYCLE_1) | instskip(SKIP_2) | instid1(VALU_DEP_1)
	s_or_b32 exec_lo, exec_lo, s25
	v_lshrrev_b16 v22, 8, v90
	s_mov_b32 s25, exec_lo
	v_cmpx_ne_u16_e32 0, v22
	s_cbranch_execz .LBB186_1020
; %bb.1013:                             ;   in Loop: Header=BB186_561 Depth=1
	v_mov_b64_e32 v[82:83], 0x8000000000000000
	s_mov_b32 s26, exec_lo
	v_cmpx_ne_u16_e32 0x80, v22
	s_cbranch_execz .LBB186_1019
; %bb.1014:                             ;   in Loop: Header=BB186_561 Depth=1
	v_and_b32_e32 v22, 0xffff, v22
	v_mov_b64_e32 v[82:83], 0x7f80000100000000
	s_mov_b32 s27, exec_lo
	s_delay_alu instid0(VALU_DEP_2) | instskip(NEXT) | instid1(VALU_DEP_1)
	v_and_b32_e32 v86, 0x7f, v22
	v_cmpx_ne_u32_e32 0x7f, v86
	s_cbranch_execz .LBB186_1018
; %bb.1015:                             ;   in Loop: Header=BB186_561 Depth=1
	v_and_b32_e32 v22, 7, v22
	v_lshrrev_b32_e32 v82, 3, v86
	s_mov_b32 s28, exec_lo
	v_cmpx_gt_u32_e32 8, v86
; %bb.1016:                             ;   in Loop: Header=BB186_561 Depth=1
	s_delay_alu instid0(VALU_DEP_3) | instskip(NEXT) | instid1(VALU_DEP_1)
	v_clz_i32_u32_e32 v82, v22
	v_min_u32_e32 v82, 32, v82
	s_delay_alu instid0(VALU_DEP_1) | instskip(SKIP_1) | instid1(VALU_DEP_2)
	v_subrev_nc_u32_e32 v83, 28, v82
	v_sub_nc_u32_e32 v82, 29, v82
	v_lshlrev_b64_e32 v[86:87], v83, v[22:23]
	s_delay_alu instid0(VALU_DEP_1)
	v_and_b32_e32 v22, 7, v86
; %bb.1017:                             ;   in Loop: Header=BB186_561 Depth=1
	s_or_b32 exec_lo, exec_lo, s28
	v_lshlrev_b32_e32 v83, 16, v90
	s_delay_alu instid0(VALU_DEP_2) | instskip(SKIP_1) | instid1(VALU_DEP_3)
	v_lshlrev_b32_e32 v22, 20, v22
	v_lshl_add_u32 v82, v82, 23, 0x3c000000
	v_and_b32_e32 v83, 0x80000000, v83
	s_delay_alu instid0(VALU_DEP_1)
	v_or3_b32 v83, v22, v83, v82
	v_mov_b32_e32 v82, v23
.LBB186_1018:                           ;   in Loop: Header=BB186_561 Depth=1
	s_or_b32 exec_lo, exec_lo, s27
.LBB186_1019:                           ;   in Loop: Header=BB186_561 Depth=1
	s_delay_alu instid0(SALU_CYCLE_1)
	s_or_b32 exec_lo, exec_lo, s26
.LBB186_1020:                           ;   in Loop: Header=BB186_561 Depth=1
	s_delay_alu instid0(SALU_CYCLE_1) | instskip(SKIP_4) | instid1(VALU_DEP_3)
	s_or_b32 exec_lo, exec_lo, s25
	v_lshrrev_b32_e32 v91, 16, v90
	v_mov_b64_e32 v[86:87], 0
	v_mov_b64_e32 v[88:89], 0
	s_mov_b32 s25, exec_lo
	v_and_b32_e32 v22, 0xff, v91
	s_delay_alu instid0(VALU_DEP_1)
	v_cmpx_ne_u16_e32 0, v22
	s_cbranch_execz .LBB186_1028
; %bb.1021:                             ;   in Loop: Header=BB186_561 Depth=1
	v_mov_b64_e32 v[88:89], 0x80000000
	s_mov_b32 s26, exec_lo
	v_cmpx_ne_u16_e32 0x80, v22
	s_cbranch_execz .LBB186_1027
; %bb.1022:                             ;   in Loop: Header=BB186_561 Depth=1
	v_mov_b64_e32 v[88:89], 0x7f800001
	v_bfe_u32 v92, v90, 16, 7
	s_mov_b32 s27, exec_lo
	s_delay_alu instid0(VALU_DEP_1)
	v_cmpx_ne_u32_e32 0x7f, v92
	s_cbranch_execz .LBB186_1026
; %bb.1023:                             ;   in Loop: Header=BB186_561 Depth=1
	v_dual_lshrrev_b32 v88, 3, v92 :: v_dual_bitop2_b32 v22, 7, v91 bitop3:0x40
	s_mov_b32 s28, exec_lo
	v_cmpx_gt_u32_e32 8, v92
; %bb.1024:                             ;   in Loop: Header=BB186_561 Depth=1
	s_delay_alu instid0(VALU_DEP_2) | instskip(NEXT) | instid1(VALU_DEP_1)
	v_clz_i32_u32_e32 v88, v22
	v_min_u32_e32 v88, 32, v88
	s_delay_alu instid0(VALU_DEP_1) | instskip(SKIP_1) | instid1(VALU_DEP_2)
	v_subrev_nc_u32_e32 v89, 28, v88
	v_sub_nc_u32_e32 v88, 29, v88
	v_lshlrev_b64_e32 v[92:93], v89, v[22:23]
	s_delay_alu instid0(VALU_DEP_1)
	v_and_b32_e32 v22, 7, v92
; %bb.1025:                             ;   in Loop: Header=BB186_561 Depth=1
	s_or_b32 exec_lo, exec_lo, s28
	s_delay_alu instid0(VALU_DEP_1) | instskip(SKIP_1) | instid1(VALU_DEP_2)
	v_dual_lshlrev_b32 v89, 24, v91 :: v_dual_lshlrev_b32 v22, 20, v22
	v_lshl_add_u32 v88, v88, 23, 0x3c000000
	v_and_b32_e32 v89, 0x80000000, v89
	s_delay_alu instid0(VALU_DEP_1) | instskip(NEXT) | instid1(VALU_DEP_1)
	v_or3_b32 v22, v22, v89, v88
	v_mov_b64_e32 v[88:89], v[22:23]
.LBB186_1026:                           ;   in Loop: Header=BB186_561 Depth=1
	s_or_b32 exec_lo, exec_lo, s27
.LBB186_1027:                           ;   in Loop: Header=BB186_561 Depth=1
	s_delay_alu instid0(SALU_CYCLE_1)
	s_or_b32 exec_lo, exec_lo, s26
.LBB186_1028:                           ;   in Loop: Header=BB186_561 Depth=1
	s_delay_alu instid0(SALU_CYCLE_1) | instskip(NEXT) | instid1(SALU_CYCLE_1)
	s_or_b32 exec_lo, exec_lo, s25
	s_mov_b32 s25, exec_lo
	v_cmpx_lt_u32_e32 0xffffff, v90
	s_cbranch_execz .LBB186_1036
; %bb.1029:                             ;   in Loop: Header=BB186_561 Depth=1
	v_mov_b64_e32 v[86:87], 0x8000000000000000
	v_lshrrev_b32_e32 v91, 24, v90
	s_mov_b32 s26, exec_lo
	s_delay_alu instid0(VALU_DEP_1)
	v_cmpx_ne_u32_e32 0x80, v91
	s_cbranch_execz .LBB186_1035
; %bb.1030:                             ;   in Loop: Header=BB186_561 Depth=1
	v_mov_b64_e32 v[86:87], 0x7f80000100000000
	v_bfe_u32 v90, v90, 24, 7
	s_mov_b32 s27, exec_lo
	s_delay_alu instid0(VALU_DEP_1)
	v_cmpx_ne_u32_e32 0x7f, v90
	s_cbranch_execz .LBB186_1034
; %bb.1031:                             ;   in Loop: Header=BB186_561 Depth=1
	v_dual_lshrrev_b32 v86, 3, v90 :: v_dual_bitop2_b32 v22, 7, v91 bitop3:0x40
	s_mov_b32 s28, exec_lo
	v_cmpx_gt_u32_e32 8, v90
; %bb.1032:                             ;   in Loop: Header=BB186_561 Depth=1
	s_delay_alu instid0(VALU_DEP_2) | instskip(NEXT) | instid1(VALU_DEP_1)
	v_clz_i32_u32_e32 v86, v22
	v_min_u32_e32 v86, 32, v86
	s_delay_alu instid0(VALU_DEP_1) | instskip(NEXT) | instid1(VALU_DEP_1)
	v_subrev_nc_u32_e32 v87, 28, v86
	v_lshlrev_b64_e32 v[92:93], v87, v[22:23]
	s_delay_alu instid0(VALU_DEP_1)
	v_dual_sub_nc_u32 v86, 29, v86 :: v_dual_bitop2_b32 v22, 7, v92 bitop3:0x40
; %bb.1033:                             ;   in Loop: Header=BB186_561 Depth=1
	s_or_b32 exec_lo, exec_lo, s28
	s_delay_alu instid0(VALU_DEP_1) | instskip(NEXT) | instid1(VALU_DEP_2)
	v_dual_lshlrev_b32 v87, 24, v91 :: v_dual_lshlrev_b32 v22, 20, v22
	v_lshl_add_u32 v86, v86, 23, 0x3c000000
	s_delay_alu instid0(VALU_DEP_2) | instskip(NEXT) | instid1(VALU_DEP_1)
	v_and_b32_e32 v87, 0x80000000, v87
	v_or3_b32 v87, v22, v87, v86
	v_mov_b32_e32 v86, v23
.LBB186_1034:                           ;   in Loop: Header=BB186_561 Depth=1
	s_or_b32 exec_lo, exec_lo, s27
.LBB186_1035:                           ;   in Loop: Header=BB186_561 Depth=1
	s_delay_alu instid0(SALU_CYCLE_1)
	s_or_b32 exec_lo, exec_lo, s26
.LBB186_1036:                           ;   in Loop: Header=BB186_561 Depth=1
	s_delay_alu instid0(SALU_CYCLE_1)
	s_or_b32 exec_lo, exec_lo, s25
	v_mov_b64_e32 v[90:91], s[8:9]
	v_or_b32_e32 v83, v83, v85
	v_or_b32_e32 v82, v82, v84
	v_or_b32_e32 v87, v87, v89
	v_or_b32_e32 v86, v86, v88
	s_delay_alu instid0(VALU_DEP_3) | instskip(NEXT) | instid1(VALU_DEP_2)
	v_pk_mul_f32 v[84:85], v[90:91], v[82:83]
	v_pk_mul_f32 v[82:83], v[90:91], v[86:87]
	s_and_saveexec_b32 s25, vcc_lo
	s_cbranch_execz .LBB186_1038
; %bb.1037:                             ;   in Loop: Header=BB186_561 Depth=1
	v_cmp_gt_i32_e64 s0, s34, v51
	s_delay_alu instid0(VALU_DEP_1) | instskip(SKIP_1) | instid1(VALU_DEP_1)
	v_cndmask_b32_e64 v84, 0, v84, s0
	v_cmp_gt_i32_e64 s0, s34, v103
	v_cndmask_b32_e64 v85, 0, v85, s0
	v_cmp_gt_i32_e64 s0, s34, v95
	s_delay_alu instid0(VALU_DEP_1) | instskip(SKIP_1) | instid1(VALU_DEP_1)
	v_cndmask_b32_e64 v82, 0, v82, s0
	v_cmp_gt_i32_e64 s0, s34, v94
	v_cndmask_b32_e64 v83, 0, v83, s0
.LBB186_1038:                           ;   in Loop: Header=BB186_561 Depth=1
	s_or_b32 exec_lo, exec_lo, s25
	global_load_b32 v104, v[32:33], off offset:1792
	v_mov_b64_e32 v[86:87], 0
	v_mov_b64_e32 v[88:89], 0
	s_mov_b32 s25, exec_lo
	s_wait_loadcnt 0x0
	v_and_b32_e32 v22, 0xff, v104
	s_delay_alu instid0(VALU_DEP_1)
	v_cmpx_ne_u16_e32 0, v22
	s_cbranch_execz .LBB186_1046
; %bb.1039:                             ;   in Loop: Header=BB186_561 Depth=1
	v_mov_b64_e32 v[88:89], 0x80000000
	s_mov_b32 s26, exec_lo
	v_cmpx_ne_u16_e32 0x80, v22
	s_cbranch_execz .LBB186_1045
; %bb.1040:                             ;   in Loop: Header=BB186_561 Depth=1
	v_mov_b64_e32 v[88:89], 0x7f800001
	v_and_b32_e32 v90, 0x7f, v104
	s_mov_b32 s27, exec_lo
	s_delay_alu instid0(VALU_DEP_1)
	v_cmpx_ne_u32_e32 0x7f, v90
	s_cbranch_execz .LBB186_1044
; %bb.1041:                             ;   in Loop: Header=BB186_561 Depth=1
	v_dual_lshrrev_b32 v88, 3, v90 :: v_dual_bitop2_b32 v22, 7, v104 bitop3:0x40
	s_mov_b32 s28, exec_lo
	v_cmpx_gt_u32_e32 8, v90
; %bb.1042:                             ;   in Loop: Header=BB186_561 Depth=1
	s_delay_alu instid0(VALU_DEP_2) | instskip(NEXT) | instid1(VALU_DEP_1)
	v_clz_i32_u32_e32 v88, v22
	v_min_u32_e32 v88, 32, v88
	s_delay_alu instid0(VALU_DEP_1) | instskip(NEXT) | instid1(VALU_DEP_1)
	v_subrev_nc_u32_e32 v89, 28, v88
	v_lshlrev_b64_e32 v[90:91], v89, v[22:23]
	s_delay_alu instid0(VALU_DEP_1)
	v_dual_sub_nc_u32 v88, 29, v88 :: v_dual_bitop2_b32 v22, 7, v90 bitop3:0x40
; %bb.1043:                             ;   in Loop: Header=BB186_561 Depth=1
	s_or_b32 exec_lo, exec_lo, s28
	s_delay_alu instid0(VALU_DEP_1) | instskip(NEXT) | instid1(VALU_DEP_2)
	v_dual_lshlrev_b32 v89, 24, v104 :: v_dual_lshlrev_b32 v22, 20, v22
	v_lshl_add_u32 v88, v88, 23, 0x3c000000
	s_delay_alu instid0(VALU_DEP_2) | instskip(NEXT) | instid1(VALU_DEP_1)
	v_and_b32_e32 v89, 0x80000000, v89
	v_or3_b32 v22, v22, v89, v88
	s_delay_alu instid0(VALU_DEP_1)
	v_mov_b64_e32 v[88:89], v[22:23]
.LBB186_1044:                           ;   in Loop: Header=BB186_561 Depth=1
	s_or_b32 exec_lo, exec_lo, s27
.LBB186_1045:                           ;   in Loop: Header=BB186_561 Depth=1
	s_delay_alu instid0(SALU_CYCLE_1)
	s_or_b32 exec_lo, exec_lo, s26
.LBB186_1046:                           ;   in Loop: Header=BB186_561 Depth=1
	s_delay_alu instid0(SALU_CYCLE_1) | instskip(SKIP_2) | instid1(VALU_DEP_1)
	s_or_b32 exec_lo, exec_lo, s25
	v_lshrrev_b16 v22, 8, v104
	s_mov_b32 s25, exec_lo
	v_cmpx_ne_u16_e32 0, v22
	s_cbranch_execz .LBB186_1054
; %bb.1047:                             ;   in Loop: Header=BB186_561 Depth=1
	v_mov_b64_e32 v[86:87], 0x8000000000000000
	s_mov_b32 s26, exec_lo
	v_cmpx_ne_u16_e32 0x80, v22
	s_cbranch_execz .LBB186_1053
; %bb.1048:                             ;   in Loop: Header=BB186_561 Depth=1
	v_and_b32_e32 v22, 0xffff, v22
	v_mov_b64_e32 v[86:87], 0x7f80000100000000
	s_mov_b32 s27, exec_lo
	s_delay_alu instid0(VALU_DEP_2) | instskip(NEXT) | instid1(VALU_DEP_1)
	v_and_b32_e32 v90, 0x7f, v22
	v_cmpx_ne_u32_e32 0x7f, v90
	s_cbranch_execz .LBB186_1052
; %bb.1049:                             ;   in Loop: Header=BB186_561 Depth=1
	v_and_b32_e32 v22, 7, v22
	v_lshrrev_b32_e32 v86, 3, v90
	s_mov_b32 s28, exec_lo
	v_cmpx_gt_u32_e32 8, v90
; %bb.1050:                             ;   in Loop: Header=BB186_561 Depth=1
	s_delay_alu instid0(VALU_DEP_3) | instskip(NEXT) | instid1(VALU_DEP_1)
	v_clz_i32_u32_e32 v86, v22
	v_min_u32_e32 v86, 32, v86
	s_delay_alu instid0(VALU_DEP_1) | instskip(SKIP_1) | instid1(VALU_DEP_2)
	v_subrev_nc_u32_e32 v87, 28, v86
	v_sub_nc_u32_e32 v86, 29, v86
	v_lshlrev_b64_e32 v[90:91], v87, v[22:23]
	s_delay_alu instid0(VALU_DEP_1)
	v_and_b32_e32 v22, 7, v90
; %bb.1051:                             ;   in Loop: Header=BB186_561 Depth=1
	s_or_b32 exec_lo, exec_lo, s28
	s_delay_alu instid0(VALU_DEP_1) | instskip(SKIP_1) | instid1(VALU_DEP_2)
	v_dual_lshlrev_b32 v87, 16, v104 :: v_dual_lshlrev_b32 v22, 20, v22
	v_lshl_add_u32 v86, v86, 23, 0x3c000000
	v_and_b32_e32 v87, 0x80000000, v87
	s_delay_alu instid0(VALU_DEP_1)
	v_or3_b32 v87, v22, v87, v86
	v_mov_b32_e32 v86, v23
.LBB186_1052:                           ;   in Loop: Header=BB186_561 Depth=1
	s_or_b32 exec_lo, exec_lo, s27
.LBB186_1053:                           ;   in Loop: Header=BB186_561 Depth=1
	s_delay_alu instid0(SALU_CYCLE_1)
	s_or_b32 exec_lo, exec_lo, s26
.LBB186_1054:                           ;   in Loop: Header=BB186_561 Depth=1
	s_delay_alu instid0(SALU_CYCLE_1) | instskip(SKIP_4) | instid1(VALU_DEP_3)
	s_or_b32 exec_lo, exec_lo, s25
	v_lshrrev_b32_e32 v105, 16, v104
	v_mov_b64_e32 v[90:91], 0
	v_mov_b64_e32 v[92:93], 0
	s_mov_b32 s25, exec_lo
	v_and_b32_e32 v22, 0xff, v105
	s_delay_alu instid0(VALU_DEP_1)
	v_cmpx_ne_u16_e32 0, v22
	s_cbranch_execz .LBB186_1062
; %bb.1055:                             ;   in Loop: Header=BB186_561 Depth=1
	v_mov_b64_e32 v[92:93], 0x80000000
	s_mov_b32 s26, exec_lo
	v_cmpx_ne_u16_e32 0x80, v22
	s_cbranch_execz .LBB186_1061
; %bb.1056:                             ;   in Loop: Header=BB186_561 Depth=1
	v_mov_b64_e32 v[92:93], 0x7f800001
	v_bfe_u32 v106, v104, 16, 7
	s_mov_b32 s27, exec_lo
	s_delay_alu instid0(VALU_DEP_1)
	v_cmpx_ne_u32_e32 0x7f, v106
	s_cbranch_execz .LBB186_1060
; %bb.1057:                             ;   in Loop: Header=BB186_561 Depth=1
	v_dual_lshrrev_b32 v92, 3, v106 :: v_dual_bitop2_b32 v22, 7, v105 bitop3:0x40
	s_mov_b32 s28, exec_lo
	v_cmpx_gt_u32_e32 8, v106
; %bb.1058:                             ;   in Loop: Header=BB186_561 Depth=1
	s_delay_alu instid0(VALU_DEP_2) | instskip(NEXT) | instid1(VALU_DEP_1)
	v_clz_i32_u32_e32 v92, v22
	v_min_u32_e32 v92, 32, v92
	s_delay_alu instid0(VALU_DEP_1) | instskip(NEXT) | instid1(VALU_DEP_1)
	v_subrev_nc_u32_e32 v93, 28, v92
	v_lshlrev_b64_e32 v[106:107], v93, v[22:23]
	s_delay_alu instid0(VALU_DEP_1)
	v_dual_sub_nc_u32 v92, 29, v92 :: v_dual_bitop2_b32 v22, 7, v106 bitop3:0x40
; %bb.1059:                             ;   in Loop: Header=BB186_561 Depth=1
	s_or_b32 exec_lo, exec_lo, s28
	s_delay_alu instid0(VALU_DEP_1) | instskip(NEXT) | instid1(VALU_DEP_2)
	v_dual_lshlrev_b32 v93, 24, v105 :: v_dual_lshlrev_b32 v22, 20, v22
	v_lshl_add_u32 v92, v92, 23, 0x3c000000
	s_delay_alu instid0(VALU_DEP_2) | instskip(NEXT) | instid1(VALU_DEP_1)
	v_and_b32_e32 v93, 0x80000000, v93
	v_or3_b32 v22, v22, v93, v92
	s_delay_alu instid0(VALU_DEP_1)
	v_mov_b64_e32 v[92:93], v[22:23]
.LBB186_1060:                           ;   in Loop: Header=BB186_561 Depth=1
	s_or_b32 exec_lo, exec_lo, s27
.LBB186_1061:                           ;   in Loop: Header=BB186_561 Depth=1
	s_delay_alu instid0(SALU_CYCLE_1)
	s_or_b32 exec_lo, exec_lo, s26
.LBB186_1062:                           ;   in Loop: Header=BB186_561 Depth=1
	s_delay_alu instid0(SALU_CYCLE_1) | instskip(NEXT) | instid1(SALU_CYCLE_1)
	s_or_b32 exec_lo, exec_lo, s25
	s_mov_b32 s25, exec_lo
	v_cmpx_lt_u32_e32 0xffffff, v104
	s_cbranch_execz .LBB186_1070
; %bb.1063:                             ;   in Loop: Header=BB186_561 Depth=1
	v_mov_b64_e32 v[90:91], 0x8000000000000000
	v_lshrrev_b32_e32 v105, 24, v104
	s_mov_b32 s26, exec_lo
	s_delay_alu instid0(VALU_DEP_1)
	v_cmpx_ne_u32_e32 0x80, v105
	s_cbranch_execz .LBB186_1069
; %bb.1064:                             ;   in Loop: Header=BB186_561 Depth=1
	v_mov_b64_e32 v[90:91], 0x7f80000100000000
	v_bfe_u32 v104, v104, 24, 7
	s_mov_b32 s27, exec_lo
	s_delay_alu instid0(VALU_DEP_1)
	v_cmpx_ne_u32_e32 0x7f, v104
	s_cbranch_execz .LBB186_1068
; %bb.1065:                             ;   in Loop: Header=BB186_561 Depth=1
	v_dual_lshrrev_b32 v90, 3, v104 :: v_dual_bitop2_b32 v22, 7, v105 bitop3:0x40
	s_mov_b32 s28, exec_lo
	v_cmpx_gt_u32_e32 8, v104
; %bb.1066:                             ;   in Loop: Header=BB186_561 Depth=1
	s_delay_alu instid0(VALU_DEP_2) | instskip(NEXT) | instid1(VALU_DEP_1)
	v_clz_i32_u32_e32 v90, v22
	v_min_u32_e32 v90, 32, v90
	s_delay_alu instid0(VALU_DEP_1) | instskip(SKIP_1) | instid1(VALU_DEP_2)
	v_subrev_nc_u32_e32 v91, 28, v90
	v_sub_nc_u32_e32 v90, 29, v90
	v_lshlrev_b64_e32 v[106:107], v91, v[22:23]
	s_delay_alu instid0(VALU_DEP_1)
	v_and_b32_e32 v22, 7, v106
; %bb.1067:                             ;   in Loop: Header=BB186_561 Depth=1
	s_or_b32 exec_lo, exec_lo, s28
	s_delay_alu instid0(VALU_DEP_1) | instskip(SKIP_1) | instid1(VALU_DEP_2)
	v_dual_lshlrev_b32 v91, 24, v105 :: v_dual_lshlrev_b32 v22, 20, v22
	v_lshl_add_u32 v90, v90, 23, 0x3c000000
	v_and_b32_e32 v91, 0x80000000, v91
	s_delay_alu instid0(VALU_DEP_1)
	v_or3_b32 v91, v22, v91, v90
	v_mov_b32_e32 v90, v23
.LBB186_1068:                           ;   in Loop: Header=BB186_561 Depth=1
	s_or_b32 exec_lo, exec_lo, s27
.LBB186_1069:                           ;   in Loop: Header=BB186_561 Depth=1
	s_delay_alu instid0(SALU_CYCLE_1)
	s_or_b32 exec_lo, exec_lo, s26
.LBB186_1070:                           ;   in Loop: Header=BB186_561 Depth=1
	s_delay_alu instid0(SALU_CYCLE_1)
	s_or_b32 exec_lo, exec_lo, s25
	v_mov_b64_e32 v[104:105], s[8:9]
	v_or_b32_e32 v87, v87, v89
	v_or_b32_e32 v86, v86, v88
	;; [unrolled: 1-line block ×4, first 2 shown]
	s_delay_alu instid0(VALU_DEP_3) | instskip(NEXT) | instid1(VALU_DEP_2)
	v_pk_mul_f32 v[88:89], v[104:105], v[86:87]
	v_pk_mul_f32 v[86:87], v[104:105], v[90:91]
	s_and_saveexec_b32 s25, vcc_lo
	s_cbranch_execz .LBB186_1072
; %bb.1071:                             ;   in Loop: Header=BB186_561 Depth=1
	v_cmp_gt_i32_e64 s0, s34, v51
	s_delay_alu instid0(VALU_DEP_1) | instskip(SKIP_1) | instid1(VALU_DEP_1)
	v_cndmask_b32_e64 v88, 0, v88, s0
	v_cmp_gt_i32_e64 s0, s34, v103
	v_cndmask_b32_e64 v89, 0, v89, s0
	v_cmp_gt_i32_e64 s0, s34, v95
	s_delay_alu instid0(VALU_DEP_1) | instskip(SKIP_1) | instid1(VALU_DEP_1)
	v_cndmask_b32_e64 v86, 0, v86, s0
	v_cmp_gt_i32_e64 s0, s34, v94
	v_cndmask_b32_e64 v87, 0, v87, s0
.LBB186_1072:                           ;   in Loop: Header=BB186_561 Depth=1
	s_or_b32 exec_lo, exec_lo, s25
	global_load_b32 v104, v[32:33], off offset:1920
	s_wait_xcnt 0x0
	v_mov_b64_e32 v[32:33], 0
	v_mov_b64_e32 v[90:91], 0
	s_mov_b32 s25, exec_lo
	s_wait_loadcnt 0x0
	v_and_b32_e32 v22, 0xff, v104
	s_delay_alu instid0(VALU_DEP_1)
	v_cmpx_ne_u16_e32 0, v22
	s_cbranch_execz .LBB186_1080
; %bb.1073:                             ;   in Loop: Header=BB186_561 Depth=1
	v_mov_b64_e32 v[90:91], 0x80000000
	s_mov_b32 s26, exec_lo
	v_cmpx_ne_u16_e32 0x80, v22
	s_cbranch_execz .LBB186_1079
; %bb.1074:                             ;   in Loop: Header=BB186_561 Depth=1
	v_mov_b64_e32 v[90:91], 0x7f800001
	v_and_b32_e32 v92, 0x7f, v104
	s_mov_b32 s27, exec_lo
	s_delay_alu instid0(VALU_DEP_1)
	v_cmpx_ne_u32_e32 0x7f, v92
	s_cbranch_execz .LBB186_1078
; %bb.1075:                             ;   in Loop: Header=BB186_561 Depth=1
	v_and_b32_e32 v22, 7, v104
	v_lshrrev_b32_e32 v90, 3, v92
	s_mov_b32 s28, exec_lo
	v_cmpx_gt_u32_e32 8, v92
; %bb.1076:                             ;   in Loop: Header=BB186_561 Depth=1
	s_delay_alu instid0(VALU_DEP_3) | instskip(NEXT) | instid1(VALU_DEP_1)
	v_clz_i32_u32_e32 v90, v22
	v_min_u32_e32 v90, 32, v90
	s_delay_alu instid0(VALU_DEP_1) | instskip(NEXT) | instid1(VALU_DEP_1)
	v_subrev_nc_u32_e32 v91, 28, v90
	v_lshlrev_b64_e32 v[92:93], v91, v[22:23]
	s_delay_alu instid0(VALU_DEP_1)
	v_dual_sub_nc_u32 v90, 29, v90 :: v_dual_bitop2_b32 v22, 7, v92 bitop3:0x40
; %bb.1077:                             ;   in Loop: Header=BB186_561 Depth=1
	s_or_b32 exec_lo, exec_lo, s28
	s_delay_alu instid0(VALU_DEP_1) | instskip(NEXT) | instid1(VALU_DEP_2)
	v_dual_lshlrev_b32 v91, 24, v104 :: v_dual_lshlrev_b32 v22, 20, v22
	v_lshl_add_u32 v90, v90, 23, 0x3c000000
	s_delay_alu instid0(VALU_DEP_2) | instskip(NEXT) | instid1(VALU_DEP_1)
	v_and_b32_e32 v91, 0x80000000, v91
	v_or3_b32 v22, v22, v91, v90
	s_delay_alu instid0(VALU_DEP_1)
	v_mov_b64_e32 v[90:91], v[22:23]
.LBB186_1078:                           ;   in Loop: Header=BB186_561 Depth=1
	s_or_b32 exec_lo, exec_lo, s27
.LBB186_1079:                           ;   in Loop: Header=BB186_561 Depth=1
	s_delay_alu instid0(SALU_CYCLE_1)
	s_or_b32 exec_lo, exec_lo, s26
.LBB186_1080:                           ;   in Loop: Header=BB186_561 Depth=1
	s_delay_alu instid0(SALU_CYCLE_1) | instskip(SKIP_2) | instid1(VALU_DEP_1)
	s_or_b32 exec_lo, exec_lo, s25
	v_lshrrev_b16 v22, 8, v104
	s_mov_b32 s25, exec_lo
	v_cmpx_ne_u16_e32 0, v22
	s_cbranch_execz .LBB186_1088
; %bb.1081:                             ;   in Loop: Header=BB186_561 Depth=1
	v_mov_b64_e32 v[32:33], 0x8000000000000000
	s_mov_b32 s26, exec_lo
	v_cmpx_ne_u16_e32 0x80, v22
	s_cbranch_execz .LBB186_1087
; %bb.1082:                             ;   in Loop: Header=BB186_561 Depth=1
	v_and_b32_e32 v22, 0xffff, v22
	v_mov_b64_e32 v[32:33], 0x7f80000100000000
	s_mov_b32 s27, exec_lo
	s_delay_alu instid0(VALU_DEP_2) | instskip(NEXT) | instid1(VALU_DEP_1)
	v_and_b32_e32 v92, 0x7f, v22
	v_cmpx_ne_u32_e32 0x7f, v92
	s_cbranch_execz .LBB186_1086
; %bb.1083:                             ;   in Loop: Header=BB186_561 Depth=1
	v_dual_lshrrev_b32 v32, 3, v92 :: v_dual_bitop2_b32 v22, 7, v22 bitop3:0x40
	s_mov_b32 s28, exec_lo
	v_cmpx_gt_u32_e32 8, v92
; %bb.1084:                             ;   in Loop: Header=BB186_561 Depth=1
	s_delay_alu instid0(VALU_DEP_2) | instskip(NEXT) | instid1(VALU_DEP_1)
	v_clz_i32_u32_e32 v32, v22
	v_min_u32_e32 v32, 32, v32
	s_delay_alu instid0(VALU_DEP_1) | instskip(SKIP_1) | instid1(VALU_DEP_2)
	v_subrev_nc_u32_e32 v33, 28, v32
	v_sub_nc_u32_e32 v32, 29, v32
	v_lshlrev_b64_e32 v[92:93], v33, v[22:23]
	s_delay_alu instid0(VALU_DEP_1)
	v_and_b32_e32 v22, 7, v92
; %bb.1085:                             ;   in Loop: Header=BB186_561 Depth=1
	s_or_b32 exec_lo, exec_lo, s28
	s_delay_alu instid0(VALU_DEP_1) | instskip(SKIP_1) | instid1(VALU_DEP_2)
	v_dual_lshlrev_b32 v33, 16, v104 :: v_dual_lshlrev_b32 v22, 20, v22
	v_lshl_add_u32 v32, v32, 23, 0x3c000000
	v_and_b32_e32 v33, 0x80000000, v33
	s_delay_alu instid0(VALU_DEP_1)
	v_or3_b32 v33, v22, v33, v32
	v_mov_b32_e32 v32, v23
.LBB186_1086:                           ;   in Loop: Header=BB186_561 Depth=1
	s_or_b32 exec_lo, exec_lo, s27
.LBB186_1087:                           ;   in Loop: Header=BB186_561 Depth=1
	s_delay_alu instid0(SALU_CYCLE_1)
	s_or_b32 exec_lo, exec_lo, s26
.LBB186_1088:                           ;   in Loop: Header=BB186_561 Depth=1
	s_delay_alu instid0(SALU_CYCLE_1) | instskip(SKIP_4) | instid1(VALU_DEP_3)
	s_or_b32 exec_lo, exec_lo, s25
	v_lshrrev_b32_e32 v105, 16, v104
	v_mov_b64_e32 v[92:93], 0
	v_mov_b64_e32 v[94:95], 0
	s_mov_b32 s25, exec_lo
	v_and_b32_e32 v22, 0xff, v105
	s_delay_alu instid0(VALU_DEP_1)
	v_cmpx_ne_u16_e32 0, v22
	s_cbranch_execz .LBB186_1096
; %bb.1089:                             ;   in Loop: Header=BB186_561 Depth=1
	v_mov_b64_e32 v[94:95], 0x80000000
	s_mov_b32 s26, exec_lo
	v_cmpx_ne_u16_e32 0x80, v22
	s_cbranch_execz .LBB186_1095
; %bb.1090:                             ;   in Loop: Header=BB186_561 Depth=1
	v_mov_b64_e32 v[94:95], 0x7f800001
	v_bfe_u32 v106, v104, 16, 7
	s_mov_b32 s27, exec_lo
	s_delay_alu instid0(VALU_DEP_1)
	v_cmpx_ne_u32_e32 0x7f, v106
	s_cbranch_execz .LBB186_1094
; %bb.1091:                             ;   in Loop: Header=BB186_561 Depth=1
	v_dual_lshrrev_b32 v94, 3, v106 :: v_dual_bitop2_b32 v22, 7, v105 bitop3:0x40
	s_mov_b32 s28, exec_lo
	v_cmpx_gt_u32_e32 8, v106
; %bb.1092:                             ;   in Loop: Header=BB186_561 Depth=1
	s_delay_alu instid0(VALU_DEP_2) | instskip(NEXT) | instid1(VALU_DEP_1)
	v_clz_i32_u32_e32 v94, v22
	v_min_u32_e32 v94, 32, v94
	s_delay_alu instid0(VALU_DEP_1) | instskip(SKIP_1) | instid1(VALU_DEP_2)
	v_subrev_nc_u32_e32 v95, 28, v94
	v_sub_nc_u32_e32 v94, 29, v94
	v_lshlrev_b64_e32 v[106:107], v95, v[22:23]
	s_delay_alu instid0(VALU_DEP_1)
	v_and_b32_e32 v22, 7, v106
; %bb.1093:                             ;   in Loop: Header=BB186_561 Depth=1
	s_or_b32 exec_lo, exec_lo, s28
	s_delay_alu instid0(VALU_DEP_1) | instskip(SKIP_1) | instid1(VALU_DEP_2)
	v_dual_lshlrev_b32 v95, 24, v105 :: v_dual_lshlrev_b32 v22, 20, v22
	v_lshl_add_u32 v94, v94, 23, 0x3c000000
	v_and_b32_e32 v95, 0x80000000, v95
	s_delay_alu instid0(VALU_DEP_1) | instskip(NEXT) | instid1(VALU_DEP_1)
	v_or3_b32 v22, v22, v95, v94
	v_mov_b64_e32 v[94:95], v[22:23]
.LBB186_1094:                           ;   in Loop: Header=BB186_561 Depth=1
	s_or_b32 exec_lo, exec_lo, s27
.LBB186_1095:                           ;   in Loop: Header=BB186_561 Depth=1
	s_delay_alu instid0(SALU_CYCLE_1)
	s_or_b32 exec_lo, exec_lo, s26
.LBB186_1096:                           ;   in Loop: Header=BB186_561 Depth=1
	s_delay_alu instid0(SALU_CYCLE_1) | instskip(NEXT) | instid1(SALU_CYCLE_1)
	s_or_b32 exec_lo, exec_lo, s25
	s_mov_b32 s25, exec_lo
	v_cmpx_lt_u32_e32 0xffffff, v104
	s_cbranch_execz .LBB186_1104
; %bb.1097:                             ;   in Loop: Header=BB186_561 Depth=1
	v_mov_b64_e32 v[92:93], 0x8000000000000000
	v_lshrrev_b32_e32 v105, 24, v104
	s_mov_b32 s26, exec_lo
	s_delay_alu instid0(VALU_DEP_1)
	v_cmpx_ne_u32_e32 0x80, v105
	s_cbranch_execz .LBB186_1103
; %bb.1098:                             ;   in Loop: Header=BB186_561 Depth=1
	v_mov_b64_e32 v[92:93], 0x7f80000100000000
	v_bfe_u32 v104, v104, 24, 7
	s_mov_b32 s27, exec_lo
	s_delay_alu instid0(VALU_DEP_1)
	v_cmpx_ne_u32_e32 0x7f, v104
	s_cbranch_execz .LBB186_1102
; %bb.1099:                             ;   in Loop: Header=BB186_561 Depth=1
	v_dual_lshrrev_b32 v92, 3, v104 :: v_dual_bitop2_b32 v22, 7, v105 bitop3:0x40
	s_mov_b32 s28, exec_lo
	v_cmpx_gt_u32_e32 8, v104
; %bb.1100:                             ;   in Loop: Header=BB186_561 Depth=1
	s_delay_alu instid0(VALU_DEP_2) | instskip(NEXT) | instid1(VALU_DEP_1)
	v_clz_i32_u32_e32 v92, v22
	v_min_u32_e32 v92, 32, v92
	s_delay_alu instid0(VALU_DEP_1) | instskip(NEXT) | instid1(VALU_DEP_1)
	v_subrev_nc_u32_e32 v93, 28, v92
	v_lshlrev_b64_e32 v[106:107], v93, v[22:23]
	s_delay_alu instid0(VALU_DEP_1)
	v_dual_sub_nc_u32 v92, 29, v92 :: v_dual_bitop2_b32 v22, 7, v106 bitop3:0x40
; %bb.1101:                             ;   in Loop: Header=BB186_561 Depth=1
	s_or_b32 exec_lo, exec_lo, s28
	s_delay_alu instid0(VALU_DEP_1) | instskip(NEXT) | instid1(VALU_DEP_2)
	v_dual_lshlrev_b32 v93, 24, v105 :: v_dual_lshlrev_b32 v22, 20, v22
	v_lshl_add_u32 v92, v92, 23, 0x3c000000
	s_delay_alu instid0(VALU_DEP_2) | instskip(NEXT) | instid1(VALU_DEP_1)
	v_and_b32_e32 v93, 0x80000000, v93
	v_or3_b32 v93, v22, v93, v92
	v_mov_b32_e32 v92, v23
.LBB186_1102:                           ;   in Loop: Header=BB186_561 Depth=1
	s_or_b32 exec_lo, exec_lo, s27
.LBB186_1103:                           ;   in Loop: Header=BB186_561 Depth=1
	s_delay_alu instid0(SALU_CYCLE_1)
	s_or_b32 exec_lo, exec_lo, s26
.LBB186_1104:                           ;   in Loop: Header=BB186_561 Depth=1
	s_delay_alu instid0(SALU_CYCLE_1)
	s_or_b32 exec_lo, exec_lo, s25
	v_mov_b64_e32 v[104:105], s[8:9]
	v_or_b32_e32 v33, v33, v91
	v_or_b32_e32 v32, v32, v90
	;; [unrolled: 1-line block ×4, first 2 shown]
	s_delay_alu instid0(VALU_DEP_3) | instskip(NEXT) | instid1(VALU_DEP_2)
	v_pk_mul_f32 v[90:91], v[104:105], v[32:33]
	v_pk_mul_f32 v[32:33], v[104:105], v[92:93]
	s_and_saveexec_b32 s0, vcc_lo
	s_cbranch_execz .LBB186_559
; %bb.1105:                             ;   in Loop: Header=BB186_561 Depth=1
	v_cmp_gt_i32_e32 vcc_lo, s18, v103
	v_or_b32_e32 v92, 2, v51
	v_cndmask_b32_e32 v91, 0, v91, vcc_lo
	v_cmp_gt_i32_e32 vcc_lo, s34, v51
	v_dual_cndmask_b32 v90, 0, v90, vcc_lo :: v_dual_bitop2_b32 v22, 3, v51 bitop3:0x54
	s_delay_alu instid0(VALU_DEP_1)
	v_cmp_gt_i32_e32 vcc_lo, s18, v22
	v_cndmask_b32_e32 v33, 0, v33, vcc_lo
	v_cmp_gt_i32_e32 vcc_lo, s34, v92
	v_cndmask_b32_e32 v32, 0, v32, vcc_lo
	s_branch .LBB186_559
.LBB186_1106:
	s_or_b32 exec_lo, exec_lo, s19
	v_dual_mov_b32 v40, v108 :: v_dual_mov_b32 v43, v109
.LBB186_1107:
	s_or_b32 exec_lo, exec_lo, s1
	ds_bpermute_b32 v0, v97, v12
	ds_bpermute_b32 v1, v97, v13
	ds_bpermute_b32 v2, v97, v20
	ds_bpermute_b32 v3, v97, v21
	ds_bpermute_b32 v4, v97, v18
	ds_bpermute_b32 v5, v97, v19
	ds_bpermute_b32 v22, v97, v16
	ds_bpermute_b32 v23, v97, v17
	ds_bpermute_b32 v24, v97, v14
	ds_bpermute_b32 v25, v97, v15
	ds_bpermute_b32 v26, v97, v10
	ds_bpermute_b32 v27, v97, v11
	ds_bpermute_b32 v28, v97, v8
	ds_bpermute_b32 v29, v97, v9
	ds_bpermute_b32 v30, v97, v6
	ds_bpermute_b32 v31, v97, v7
	s_mov_b32 s0, exec_lo
	s_wait_dscnt 0x0
	s_barrier_signal -1
	s_barrier_wait -1
	v_pk_add_f32 v[0:1], v[12:13], v[0:1]
	v_pk_add_f32 v[2:3], v[20:21], v[2:3]
	v_pk_add_f32 v[4:5], v[18:19], v[4:5]
	ds_bpermute_b32 v12, v98, v0
	v_pk_add_f32 v[18:19], v[16:17], v[22:23]
	ds_bpermute_b32 v13, v98, v1
	v_pk_add_f32 v[24:25], v[14:15], v[24:25]
	;; [unrolled: 2-line block ×4, first 2 shown]
	ds_bpermute_b32 v22, v98, v4
	ds_bpermute_b32 v23, v98, v5
	;; [unrolled: 1-line block ×10, first 2 shown]
	v_pk_add_f32 v[14:15], v[6:7], v[30:31]
	v_and_b32_e32 v30, 0x3c3, v40
	s_wait_dscnt 0xc
	v_pk_add_f32 v[12:13], v[0:1], v[12:13]
	ds_bpermute_b32 v16, v98, v14
	ds_bpermute_b32 v17, v98, v15
	s_wait_dscnt 0xc
	v_pk_add_f32 v[10:11], v[2:3], v[20:21]
	s_wait_dscnt 0xa
	v_pk_add_f32 v[8:9], v[4:5], v[22:23]
	;; [unrolled: 2-line block ×3, first 2 shown]
	v_and_b32_e32 v18, 28, v96
	s_wait_dscnt 0x6
	v_pk_add_f32 v[4:5], v[24:25], v[34:35]
	s_wait_dscnt 0x4
	v_pk_add_f32 v[2:3], v[26:27], v[36:37]
	;; [unrolled: 2-line block ×3, first 2 shown]
	v_cmpx_ne_u32_e32 64, v30
	s_xor_b32 s0, exec_lo, s0
	s_delay_alu instid0(SALU_CYCLE_1)
	s_or_saveexec_b32 s0, s0
	s_wait_dscnt 0x0
	v_pk_add_f32 v[14:15], v[14:15], v[16:17]
	v_lshrrev_b32_e32 v16, 2, v96
	v_add_nc_u32_e32 v17, 0x220, v18
	v_lshlrev_b32_e32 v18, 9, v43
	s_xor_b32 exec_lo, exec_lo, s0
	s_cbranch_execz .LBB186_1109
; %bb.1108:
	s_delay_alu instid0(VALU_DEP_1) | instskip(NEXT) | instid1(VALU_DEP_1)
	v_add_nc_u32_e32 v19, v17, v18
	v_add_nc_u32_e32 v20, 0xfffffc00, v19
	;; [unrolled: 1-line block ×9, first 2 shown]
	ds_store_b32 v20, v12
	ds_store_b32 v21, v13
	;; [unrolled: 1-line block ×8, first 2 shown]
	v_add_nc_u32_e32 v20, 0xfffffd00, v19
	v_add_nc_u32_e32 v21, 0xfffffd20, v19
	;; [unrolled: 1-line block ×8, first 2 shown]
	ds_store_b32 v20, v4
	ds_store_b32 v21, v5
	;; [unrolled: 1-line block ×8, first 2 shown]
.LBB186_1109:
	s_or_b32 exec_lo, exec_lo, s0
	v_lshlrev_b32_e32 v16, 2, v16
	v_cmp_eq_u32_e32 vcc_lo, 0, v99
	s_wait_dscnt 0x0
	s_barrier_signal -1
	s_barrier_wait -1
	v_add3_u32 v16, 0x220, v18, v16
	s_and_saveexec_b32 s0, s2
	s_cbranch_execz .LBB186_1128
; %bb.1110:
	s_and_saveexec_b32 s1, vcc_lo
	s_cbranch_execnz .LBB186_1152
; %bb.1111:
	s_or_b32 exec_lo, exec_lo, s1
	s_and_saveexec_b32 s1, vcc_lo
	s_cbranch_execnz .LBB186_1153
.LBB186_1112:
	s_or_b32 exec_lo, exec_lo, s1
	s_and_saveexec_b32 s1, vcc_lo
	s_cbranch_execnz .LBB186_1154
.LBB186_1113:
	s_or_b32 exec_lo, exec_lo, s1
	s_and_saveexec_b32 s1, vcc_lo
	s_cbranch_execnz .LBB186_1155
.LBB186_1114:
	s_or_b32 exec_lo, exec_lo, s1
	s_and_saveexec_b32 s1, vcc_lo
	s_cbranch_execnz .LBB186_1156
.LBB186_1115:
	s_or_b32 exec_lo, exec_lo, s1
	s_and_saveexec_b32 s1, vcc_lo
	s_cbranch_execnz .LBB186_1157
.LBB186_1116:
	s_or_b32 exec_lo, exec_lo, s1
	s_and_saveexec_b32 s1, vcc_lo
	s_cbranch_execnz .LBB186_1158
.LBB186_1117:
	s_or_b32 exec_lo, exec_lo, s1
	s_and_saveexec_b32 s1, vcc_lo
	s_cbranch_execnz .LBB186_1159
.LBB186_1118:
	s_or_b32 exec_lo, exec_lo, s1
	s_and_saveexec_b32 s1, vcc_lo
	s_cbranch_execnz .LBB186_1160
.LBB186_1119:
	s_or_b32 exec_lo, exec_lo, s1
	s_and_saveexec_b32 s1, vcc_lo
	s_cbranch_execnz .LBB186_1161
.LBB186_1120:
	s_or_b32 exec_lo, exec_lo, s1
	s_and_saveexec_b32 s1, vcc_lo
	s_cbranch_execnz .LBB186_1162
.LBB186_1121:
	s_or_b32 exec_lo, exec_lo, s1
	s_and_saveexec_b32 s1, vcc_lo
	s_cbranch_execnz .LBB186_1163
.LBB186_1122:
	s_or_b32 exec_lo, exec_lo, s1
	s_and_saveexec_b32 s1, vcc_lo
	s_cbranch_execnz .LBB186_1164
.LBB186_1123:
	s_or_b32 exec_lo, exec_lo, s1
	s_and_saveexec_b32 s1, vcc_lo
	s_cbranch_execnz .LBB186_1165
.LBB186_1124:
	s_or_b32 exec_lo, exec_lo, s1
	s_and_saveexec_b32 s1, vcc_lo
	s_cbranch_execnz .LBB186_1166
.LBB186_1125:
	s_or_b32 exec_lo, exec_lo, s1
	s_and_saveexec_b32 s1, vcc_lo
	s_cbranch_execz .LBB186_1127
.LBB186_1126:
	ds_load_b32 v18, v16 offset:480
	s_wait_dscnt 0x0
	v_add_f32_e32 v15, v15, v18
.LBB186_1127:
	s_or_b32 exec_lo, exec_lo, s1
.LBB186_1128:
	s_delay_alu instid0(SALU_CYCLE_1) | instskip(SKIP_4) | instid1(VALU_DEP_1)
	s_or_b32 exec_lo, exec_lo, s0
	v_and_b32_e32 v18, 0x3e3, v40
	s_mov_b32 s1, exec_lo
	s_barrier_signal -1
	s_barrier_wait -1
	v_cmpx_eq_u32_e32 32, v18
	s_cbranch_execz .LBB186_1130
; %bb.1129:
	ds_store_2addr_b32 v17, v12, v13 offset1:8
	ds_store_2addr_b32 v17, v10, v11 offset0:16 offset1:24
	ds_store_2addr_b32 v17, v8, v9 offset0:32 offset1:40
	;; [unrolled: 1-line block ×7, first 2 shown]
.LBB186_1130:
	s_or_b32 exec_lo, exec_lo, s1
	s_delay_alu instid0(SALU_CYCLE_1)
	s_mov_b32 s1, exec_lo
	s_wait_dscnt 0x0
	s_barrier_signal -1
	s_barrier_wait -1
	v_cmpx_gt_u32_e32 32, v40
	s_cbranch_execz .LBB186_1149
; %bb.1131:
	s_and_saveexec_b32 s0, vcc_lo
	s_cbranch_execnz .LBB186_1167
; %bb.1132:
	s_or_b32 exec_lo, exec_lo, s0
	s_and_saveexec_b32 s0, vcc_lo
	s_cbranch_execnz .LBB186_1168
.LBB186_1133:
	s_or_b32 exec_lo, exec_lo, s0
	s_and_saveexec_b32 s0, vcc_lo
	s_cbranch_execnz .LBB186_1169
.LBB186_1134:
	s_or_b32 exec_lo, exec_lo, s0
	s_and_saveexec_b32 s0, vcc_lo
	s_cbranch_execnz .LBB186_1170
.LBB186_1135:
	s_or_b32 exec_lo, exec_lo, s0
	s_and_saveexec_b32 s0, vcc_lo
	s_cbranch_execnz .LBB186_1171
.LBB186_1136:
	s_or_b32 exec_lo, exec_lo, s0
	s_and_saveexec_b32 s0, vcc_lo
	s_cbranch_execnz .LBB186_1172
.LBB186_1137:
	s_or_b32 exec_lo, exec_lo, s0
	s_and_saveexec_b32 s0, vcc_lo
	s_cbranch_execnz .LBB186_1173
.LBB186_1138:
	s_or_b32 exec_lo, exec_lo, s0
	s_and_saveexec_b32 s0, vcc_lo
	s_cbranch_execnz .LBB186_1174
.LBB186_1139:
	s_or_b32 exec_lo, exec_lo, s0
	s_and_saveexec_b32 s0, vcc_lo
	s_cbranch_execnz .LBB186_1175
.LBB186_1140:
	s_or_b32 exec_lo, exec_lo, s0
	s_and_saveexec_b32 s0, vcc_lo
	s_cbranch_execnz .LBB186_1176
.LBB186_1141:
	s_or_b32 exec_lo, exec_lo, s0
	s_and_saveexec_b32 s0, vcc_lo
	s_cbranch_execnz .LBB186_1177
.LBB186_1142:
	s_or_b32 exec_lo, exec_lo, s0
	s_and_saveexec_b32 s0, vcc_lo
	s_cbranch_execnz .LBB186_1178
.LBB186_1143:
	s_or_b32 exec_lo, exec_lo, s0
	s_and_saveexec_b32 s0, vcc_lo
	s_cbranch_execnz .LBB186_1179
.LBB186_1144:
	s_or_b32 exec_lo, exec_lo, s0
	s_and_saveexec_b32 s0, vcc_lo
	s_cbranch_execnz .LBB186_1180
.LBB186_1145:
	s_or_b32 exec_lo, exec_lo, s0
	s_and_saveexec_b32 s0, vcc_lo
	s_cbranch_execnz .LBB186_1181
.LBB186_1146:
	s_or_b32 exec_lo, exec_lo, s0
	s_and_saveexec_b32 s0, vcc_lo
	s_cbranch_execz .LBB186_1148
.LBB186_1147:
	ds_load_b32 v16, v16 offset:480
	s_wait_dscnt 0x0
	v_add_f32_e32 v15, v15, v16
.LBB186_1148:
	s_or_b32 exec_lo, exec_lo, s0
.LBB186_1149:
	s_delay_alu instid0(SALU_CYCLE_1)
	s_or_b32 exec_lo, exec_lo, s1
	s_mov_b32 s1, 0
	s_barrier_signal -1
	s_barrier_wait -1
	s_mov_b32 s0, exec_lo
	v_cmpx_eq_u32_e32 0, v18
	s_cbranch_execz .LBB186_1151
; %bb.1150:
	s_mul_i32 s0, s33, s12
	s_mul_i32 s2, s12, s20
	;; [unrolled: 1-line block ×3, first 2 shown]
	s_wait_kmcnt 0x0
	s_lshr_b32 s8, ttmp7, 16
	s_lshl_b32 s4, s0, 7
	s_bfe_u32 s0, ttmp6, 0x40014
	s_ashr_i32 s5, s4, 31
	s_add_co_i32 s0, s0, 1
	s_ashr_i32 s3, s2, 31
	s_mul_i32 s0, s8, s0
	s_bfe_u32 s9, ttmp6, 0x40008
	s_lshl_b64 s[4:5], s[4:5], 2
	s_lshl_b64 s[2:3], s[2:3], 2
	s_add_co_i32 s9, s9, s0
	s_cmp_eq_u32 s30, 0
	s_add_nc_u64 s[4:5], s[6:7], s[4:5]
	s_cselect_b32 s0, s8, s9
	s_add_nc_u64 s[2:3], s[4:5], s[2:3]
	s_lshl_b32 s0, s0, 9
	s_delay_alu instid0(SALU_CYCLE_1)
	s_add_nc_u64 s[0:1], s[2:3], s[0:1]
	s_clause 0xf
	global_store_b32 v40, v12, s[0:1]
	global_store_b32 v40, v13, s[0:1] offset:32
	global_store_b32 v40, v10, s[0:1] offset:64
	;; [unrolled: 1-line block ×15, first 2 shown]
.LBB186_1151:
	s_sendmsg sendmsg(MSG_DEALLOC_VGPRS)
	s_endpgm
.LBB186_1152:
	ds_load_b32 v18, v16
	s_wait_dscnt 0x0
	v_add_f32_e32 v12, v12, v18
	s_or_b32 exec_lo, exec_lo, s1
	s_and_saveexec_b32 s1, vcc_lo
	s_cbranch_execz .LBB186_1112
.LBB186_1153:
	ds_load_b32 v18, v16 offset:32
	s_wait_dscnt 0x0
	v_add_f32_e32 v13, v13, v18
	s_or_b32 exec_lo, exec_lo, s1
	s_and_saveexec_b32 s1, vcc_lo
	s_cbranch_execz .LBB186_1113
.LBB186_1154:
	ds_load_b32 v18, v16 offset:64
	s_wait_dscnt 0x0
	v_add_f32_e32 v10, v10, v18
	s_or_b32 exec_lo, exec_lo, s1
	s_and_saveexec_b32 s1, vcc_lo
	s_cbranch_execz .LBB186_1114
.LBB186_1155:
	ds_load_b32 v18, v16 offset:96
	s_wait_dscnt 0x0
	v_add_f32_e32 v11, v11, v18
	s_or_b32 exec_lo, exec_lo, s1
	s_and_saveexec_b32 s1, vcc_lo
	s_cbranch_execz .LBB186_1115
.LBB186_1156:
	ds_load_b32 v18, v16 offset:128
	s_wait_dscnt 0x0
	v_add_f32_e32 v8, v8, v18
	s_or_b32 exec_lo, exec_lo, s1
	s_and_saveexec_b32 s1, vcc_lo
	s_cbranch_execz .LBB186_1116
.LBB186_1157:
	ds_load_b32 v18, v16 offset:160
	s_wait_dscnt 0x0
	v_add_f32_e32 v9, v9, v18
	s_or_b32 exec_lo, exec_lo, s1
	s_and_saveexec_b32 s1, vcc_lo
	s_cbranch_execz .LBB186_1117
.LBB186_1158:
	ds_load_b32 v18, v16 offset:192
	s_wait_dscnt 0x0
	v_add_f32_e32 v6, v6, v18
	s_or_b32 exec_lo, exec_lo, s1
	s_and_saveexec_b32 s1, vcc_lo
	s_cbranch_execz .LBB186_1118
.LBB186_1159:
	ds_load_b32 v18, v16 offset:224
	s_wait_dscnt 0x0
	v_add_f32_e32 v7, v7, v18
	s_or_b32 exec_lo, exec_lo, s1
	s_and_saveexec_b32 s1, vcc_lo
	s_cbranch_execz .LBB186_1119
.LBB186_1160:
	ds_load_b32 v18, v16 offset:256
	s_wait_dscnt 0x0
	v_add_f32_e32 v4, v4, v18
	s_or_b32 exec_lo, exec_lo, s1
	s_and_saveexec_b32 s1, vcc_lo
	s_cbranch_execz .LBB186_1120
.LBB186_1161:
	ds_load_b32 v18, v16 offset:288
	s_wait_dscnt 0x0
	v_add_f32_e32 v5, v5, v18
	s_or_b32 exec_lo, exec_lo, s1
	s_and_saveexec_b32 s1, vcc_lo
	s_cbranch_execz .LBB186_1121
.LBB186_1162:
	ds_load_b32 v18, v16 offset:320
	s_wait_dscnt 0x0
	v_add_f32_e32 v2, v2, v18
	s_or_b32 exec_lo, exec_lo, s1
	s_and_saveexec_b32 s1, vcc_lo
	s_cbranch_execz .LBB186_1122
.LBB186_1163:
	ds_load_b32 v18, v16 offset:352
	s_wait_dscnt 0x0
	v_add_f32_e32 v3, v3, v18
	s_or_b32 exec_lo, exec_lo, s1
	s_and_saveexec_b32 s1, vcc_lo
	s_cbranch_execz .LBB186_1123
.LBB186_1164:
	ds_load_b32 v18, v16 offset:384
	s_wait_dscnt 0x0
	v_add_f32_e32 v0, v0, v18
	s_or_b32 exec_lo, exec_lo, s1
	s_and_saveexec_b32 s1, vcc_lo
	s_cbranch_execz .LBB186_1124
.LBB186_1165:
	ds_load_b32 v18, v16 offset:416
	s_wait_dscnt 0x0
	v_add_f32_e32 v1, v1, v18
	s_or_b32 exec_lo, exec_lo, s1
	s_and_saveexec_b32 s1, vcc_lo
	s_cbranch_execz .LBB186_1125
.LBB186_1166:
	ds_load_b32 v18, v16 offset:448
	s_wait_dscnt 0x0
	v_add_f32_e32 v14, v14, v18
	s_or_b32 exec_lo, exec_lo, s1
	s_and_saveexec_b32 s1, vcc_lo
	s_cbranch_execnz .LBB186_1126
	s_branch .LBB186_1127
.LBB186_1167:
	ds_load_b32 v17, v16
	s_wait_dscnt 0x0
	v_add_f32_e32 v12, v12, v17
	s_or_b32 exec_lo, exec_lo, s0
	s_and_saveexec_b32 s0, vcc_lo
	s_cbranch_execz .LBB186_1133
.LBB186_1168:
	ds_load_b32 v17, v16 offset:32
	s_wait_dscnt 0x0
	v_add_f32_e32 v13, v13, v17
	s_or_b32 exec_lo, exec_lo, s0
	s_and_saveexec_b32 s0, vcc_lo
	s_cbranch_execz .LBB186_1134
.LBB186_1169:
	ds_load_b32 v17, v16 offset:64
	s_wait_dscnt 0x0
	v_add_f32_e32 v10, v10, v17
	s_or_b32 exec_lo, exec_lo, s0
	s_and_saveexec_b32 s0, vcc_lo
	s_cbranch_execz .LBB186_1135
.LBB186_1170:
	ds_load_b32 v17, v16 offset:96
	s_wait_dscnt 0x0
	v_add_f32_e32 v11, v11, v17
	s_or_b32 exec_lo, exec_lo, s0
	s_and_saveexec_b32 s0, vcc_lo
	s_cbranch_execz .LBB186_1136
.LBB186_1171:
	ds_load_b32 v17, v16 offset:128
	s_wait_dscnt 0x0
	v_add_f32_e32 v8, v8, v17
	s_or_b32 exec_lo, exec_lo, s0
	s_and_saveexec_b32 s0, vcc_lo
	s_cbranch_execz .LBB186_1137
.LBB186_1172:
	ds_load_b32 v17, v16 offset:160
	s_wait_dscnt 0x0
	v_add_f32_e32 v9, v9, v17
	s_or_b32 exec_lo, exec_lo, s0
	s_and_saveexec_b32 s0, vcc_lo
	s_cbranch_execz .LBB186_1138
.LBB186_1173:
	ds_load_b32 v17, v16 offset:192
	s_wait_dscnt 0x0
	v_add_f32_e32 v6, v6, v17
	s_or_b32 exec_lo, exec_lo, s0
	s_and_saveexec_b32 s0, vcc_lo
	s_cbranch_execz .LBB186_1139
.LBB186_1174:
	ds_load_b32 v17, v16 offset:224
	s_wait_dscnt 0x0
	v_add_f32_e32 v7, v7, v17
	s_or_b32 exec_lo, exec_lo, s0
	s_and_saveexec_b32 s0, vcc_lo
	s_cbranch_execz .LBB186_1140
.LBB186_1175:
	ds_load_b32 v17, v16 offset:256
	s_wait_dscnt 0x0
	v_add_f32_e32 v4, v4, v17
	s_or_b32 exec_lo, exec_lo, s0
	s_and_saveexec_b32 s0, vcc_lo
	s_cbranch_execz .LBB186_1141
.LBB186_1176:
	ds_load_b32 v17, v16 offset:288
	s_wait_dscnt 0x0
	v_add_f32_e32 v5, v5, v17
	s_or_b32 exec_lo, exec_lo, s0
	s_and_saveexec_b32 s0, vcc_lo
	s_cbranch_execz .LBB186_1142
.LBB186_1177:
	ds_load_b32 v17, v16 offset:320
	s_wait_dscnt 0x0
	v_add_f32_e32 v2, v2, v17
	s_or_b32 exec_lo, exec_lo, s0
	s_and_saveexec_b32 s0, vcc_lo
	s_cbranch_execz .LBB186_1143
.LBB186_1178:
	ds_load_b32 v17, v16 offset:352
	s_wait_dscnt 0x0
	v_add_f32_e32 v3, v3, v17
	s_or_b32 exec_lo, exec_lo, s0
	s_and_saveexec_b32 s0, vcc_lo
	s_cbranch_execz .LBB186_1144
.LBB186_1179:
	ds_load_b32 v17, v16 offset:384
	s_wait_dscnt 0x0
	v_add_f32_e32 v0, v0, v17
	s_or_b32 exec_lo, exec_lo, s0
	s_and_saveexec_b32 s0, vcc_lo
	s_cbranch_execz .LBB186_1145
.LBB186_1180:
	ds_load_b32 v17, v16 offset:416
	s_wait_dscnt 0x0
	v_add_f32_e32 v1, v1, v17
	s_or_b32 exec_lo, exec_lo, s0
	s_and_saveexec_b32 s0, vcc_lo
	s_cbranch_execz .LBB186_1146
.LBB186_1181:
	ds_load_b32 v17, v16 offset:448
	s_wait_dscnt 0x0
	v_add_f32_e32 v14, v14, v17
	s_or_b32 exec_lo, exec_lo, s0
	s_and_saveexec_b32 s0, vcc_lo
	s_cbranch_execnz .LBB186_1147
	s_branch .LBB186_1148
	.section	.rodata,"a",@progbits
	.p2align	6, 0x0
	.amdhsa_kernel _ZN4vllm25paged_attention_v1_kernelIfhLi128ELi16ELi128ELNS_18Fp8KVCacheDataTypeE1ELb1EEEvPT_PKS2_PKT0_S8_ifPKiSA_iPKfiiiSC_SC_iiiii
		.amdhsa_group_segment_fixed_size 544
		.amdhsa_private_segment_fixed_size 296
		.amdhsa_kernarg_size 384
		.amdhsa_user_sgpr_count 2
		.amdhsa_user_sgpr_dispatch_ptr 0
		.amdhsa_user_sgpr_queue_ptr 0
		.amdhsa_user_sgpr_kernarg_segment_ptr 1
		.amdhsa_user_sgpr_dispatch_id 0
		.amdhsa_user_sgpr_kernarg_preload_length 0
		.amdhsa_user_sgpr_kernarg_preload_offset 0
		.amdhsa_user_sgpr_private_segment_size 0
		.amdhsa_wavefront_size32 1
		.amdhsa_uses_dynamic_stack 0
		.amdhsa_enable_private_segment 1
		.amdhsa_system_sgpr_workgroup_id_x 1
		.amdhsa_system_sgpr_workgroup_id_y 1
		.amdhsa_system_sgpr_workgroup_id_z 1
		.amdhsa_system_sgpr_workgroup_info 0
		.amdhsa_system_vgpr_workitem_id 0
		.amdhsa_next_free_vgpr 128
		.amdhsa_next_free_sgpr 47
		.amdhsa_named_barrier_count 0
		.amdhsa_reserve_vcc 1
		.amdhsa_float_round_mode_32 0
		.amdhsa_float_round_mode_16_64 0
		.amdhsa_float_denorm_mode_32 3
		.amdhsa_float_denorm_mode_16_64 3
		.amdhsa_fp16_overflow 0
		.amdhsa_memory_ordered 1
		.amdhsa_forward_progress 1
		.amdhsa_inst_pref_size 255
		.amdhsa_round_robin_scheduling 0
		.amdhsa_exception_fp_ieee_invalid_op 0
		.amdhsa_exception_fp_denorm_src 0
		.amdhsa_exception_fp_ieee_div_zero 0
		.amdhsa_exception_fp_ieee_overflow 0
		.amdhsa_exception_fp_ieee_underflow 0
		.amdhsa_exception_fp_ieee_inexact 0
		.amdhsa_exception_int_div_zero 0
	.end_amdhsa_kernel
	.section	.text._ZN4vllm25paged_attention_v1_kernelIfhLi128ELi16ELi128ELNS_18Fp8KVCacheDataTypeE1ELb1EEEvPT_PKS2_PKT0_S8_ifPKiSA_iPKfiiiSC_SC_iiiii,"axG",@progbits,_ZN4vllm25paged_attention_v1_kernelIfhLi128ELi16ELi128ELNS_18Fp8KVCacheDataTypeE1ELb1EEEvPT_PKS2_PKT0_S8_ifPKiSA_iPKfiiiSC_SC_iiiii,comdat
.Lfunc_end186:
	.size	_ZN4vllm25paged_attention_v1_kernelIfhLi128ELi16ELi128ELNS_18Fp8KVCacheDataTypeE1ELb1EEEvPT_PKS2_PKT0_S8_ifPKiSA_iPKfiiiSC_SC_iiiii, .Lfunc_end186-_ZN4vllm25paged_attention_v1_kernelIfhLi128ELi16ELi128ELNS_18Fp8KVCacheDataTypeE1ELb1EEEvPT_PKS2_PKT0_S8_ifPKiSA_iPKfiiiSC_SC_iiiii
                                        ; -- End function
	.set _ZN4vllm25paged_attention_v1_kernelIfhLi128ELi16ELi128ELNS_18Fp8KVCacheDataTypeE1ELb1EEEvPT_PKS2_PKT0_S8_ifPKiSA_iPKfiiiSC_SC_iiiii.num_vgpr, 128
	.set _ZN4vllm25paged_attention_v1_kernelIfhLi128ELi16ELi128ELNS_18Fp8KVCacheDataTypeE1ELb1EEEvPT_PKS2_PKT0_S8_ifPKiSA_iPKfiiiSC_SC_iiiii.num_agpr, 0
	.set _ZN4vllm25paged_attention_v1_kernelIfhLi128ELi16ELi128ELNS_18Fp8KVCacheDataTypeE1ELb1EEEvPT_PKS2_PKT0_S8_ifPKiSA_iPKfiiiSC_SC_iiiii.numbered_sgpr, 47
	.set _ZN4vllm25paged_attention_v1_kernelIfhLi128ELi16ELi128ELNS_18Fp8KVCacheDataTypeE1ELb1EEEvPT_PKS2_PKT0_S8_ifPKiSA_iPKfiiiSC_SC_iiiii.num_named_barrier, 0
	.set _ZN4vllm25paged_attention_v1_kernelIfhLi128ELi16ELi128ELNS_18Fp8KVCacheDataTypeE1ELb1EEEvPT_PKS2_PKT0_S8_ifPKiSA_iPKfiiiSC_SC_iiiii.private_seg_size, 296
	.set _ZN4vllm25paged_attention_v1_kernelIfhLi128ELi16ELi128ELNS_18Fp8KVCacheDataTypeE1ELb1EEEvPT_PKS2_PKT0_S8_ifPKiSA_iPKfiiiSC_SC_iiiii.uses_vcc, 1
	.set _ZN4vllm25paged_attention_v1_kernelIfhLi128ELi16ELi128ELNS_18Fp8KVCacheDataTypeE1ELb1EEEvPT_PKS2_PKT0_S8_ifPKiSA_iPKfiiiSC_SC_iiiii.uses_flat_scratch, 1
	.set _ZN4vllm25paged_attention_v1_kernelIfhLi128ELi16ELi128ELNS_18Fp8KVCacheDataTypeE1ELb1EEEvPT_PKS2_PKT0_S8_ifPKiSA_iPKfiiiSC_SC_iiiii.has_dyn_sized_stack, 0
	.set _ZN4vllm25paged_attention_v1_kernelIfhLi128ELi16ELi128ELNS_18Fp8KVCacheDataTypeE1ELb1EEEvPT_PKS2_PKT0_S8_ifPKiSA_iPKfiiiSC_SC_iiiii.has_recursion, 0
	.set _ZN4vllm25paged_attention_v1_kernelIfhLi128ELi16ELi128ELNS_18Fp8KVCacheDataTypeE1ELb1EEEvPT_PKS2_PKT0_S8_ifPKiSA_iPKfiiiSC_SC_iiiii.has_indirect_call, 0
	.section	.AMDGPU.csdata,"",@progbits
; Kernel info:
; codeLenInByte = 41932
; TotalNumSgprs: 49
; NumVgprs: 128
; ScratchSize: 296
; MemoryBound: 0
; FloatMode: 240
; IeeeMode: 1
; LDSByteSize: 544 bytes/workgroup (compile time only)
; SGPRBlocks: 0
; VGPRBlocks: 7
; NumSGPRsForWavesPerEU: 49
; NumVGPRsForWavesPerEU: 128
; NamedBarCnt: 0
; Occupancy: 8
; WaveLimiterHint : 1
; COMPUTE_PGM_RSRC2:SCRATCH_EN: 1
; COMPUTE_PGM_RSRC2:USER_SGPR: 2
; COMPUTE_PGM_RSRC2:TRAP_HANDLER: 0
; COMPUTE_PGM_RSRC2:TGID_X_EN: 1
; COMPUTE_PGM_RSRC2:TGID_Y_EN: 1
; COMPUTE_PGM_RSRC2:TGID_Z_EN: 1
; COMPUTE_PGM_RSRC2:TIDIG_COMP_CNT: 0
	.text
	.p2align	2                               ; -- Begin function _ZN4vllm22paged_attention_kernelIfhLi192ELi16ELi128ELNS_18Fp8KVCacheDataTypeE1ELb1ELi0EEEvPfS2_PT_PKS3_PKT0_S9_ifPKiSB_iPKfiiiSD_SD_iiiii
	.type	_ZN4vllm22paged_attention_kernelIfhLi192ELi16ELi128ELNS_18Fp8KVCacheDataTypeE1ELb1ELi0EEEvPfS2_PT_PKS3_PKT0_S9_ifPKiSB_iPKfiiiSD_SD_iiiii,@function
_ZN4vllm22paged_attention_kernelIfhLi192ELi16ELi128ELNS_18Fp8KVCacheDataTypeE1ELb1ELi0EEEvPfS2_PT_PKS3_PKT0_S9_ifPKiSB_iPKfiiiSD_SD_iiiii: ; @_ZN4vllm22paged_attention_kernelIfhLi192ELi16ELi128ELNS_18Fp8KVCacheDataTypeE1ELb1ELi0EEEvPfS2_PT_PKS3_PKT0_S9_ifPKiSB_iPKfiiiSD_SD_iiiii
; %bb.0:
	s_wait_loadcnt_dscnt 0x0
	s_wait_kmcnt 0x0
	s_clause 0x2f
	scratch_store_b32 off, v40, s32 offset:188
	; meta instruction
	scratch_store_b32 off, v41, s32 offset:184
	; meta instruction
	;; [unrolled: 2-line block ×47, first 2 shown]
	scratch_store_b32 off, v127, s32
	s_bfe_u32 s0, ttmp6, 0x4000c
	s_bfe_u32 s2, ttmp6, 0x40010
	s_add_co_i32 s0, s0, 1
	s_and_b32 s1, ttmp6, 15
	s_mul_i32 s0, ttmp9, s0
	s_and_b32 s4, ttmp7, 0xffff
	s_add_co_i32 s2, s2, 1
	s_add_co_i32 s1, s1, s0
	s_mul_i32 s0, s4, s2
	s_bfe_u32 s2, ttmp6, 0x40004
	s_getreg_b32 s12, hwreg(HW_REG_IB_STS2, 6, 4)
	s_add_co_i32 s2, s2, s0
	s_cmp_eq_u32 s12, 0
	s_mov_b32 s3, 0
	s_cselect_b32 s13, s4, s2
	s_cselect_b32 s0, ttmp9, s1
	s_lshl_b32 s2, s13, 2
	v_dual_mov_b32 v37, v7 :: v_dual_mov_b32 v36, v6
	v_add_nc_u64_e32 v[6:7], s[2:3], v[12:13]
	s_clause 0x4
	scratch_store_b64 off, v[22:23], s32 offset:760
	scratch_store_b64 off, v[20:21], s32 offset:768
	;; [unrolled: 1-line block ×3, first 2 shown]
	scratch_store_b32 off, v9, s32 offset:792
	scratch_store_b64 off, v[0:1], s32 offset:812
	s_wait_xcnt 0x0
	v_mov_b32_e32 v1, 0
	s_clause 0x1
	s_load_u16 s1, s[8:9], 0x12
	s_load_b32 s2, s[8:9], 0x0
	flat_load_b32 v100, v[6:7]
	s_wait_xcnt 0x0
	v_sub_nc_u32_e32 v6, 0, v8
	global_load_u16 v0, v1, s[8:9] offset:22
	v_dual_mov_b32 v35, v11 :: v_dual_mov_b32 v34, v10
	v_dual_mov_b32 v33, v16 :: v_dual_mov_b32 v32, v15
	v_max_i32_e32 v6, v8, v6
	s_mov_b32 s6, s15
	s_mov_b32 s4, exec_lo
	s_delay_alu instid0(VALU_DEP_1) | instskip(NEXT) | instid1(VALU_DEP_1)
	v_cvt_f32_u32_e32 v7, v6
	v_rcp_iflag_f32_e32 v7, v7
	s_wait_kmcnt 0x0
	s_cmp_lg_u32 s1, 0
	s_cselect_b32 s1, -1, 0
	s_delay_alu instid0(SALU_CYCLE_1) | instskip(SKIP_1) | instid1(TRANS32_DEP_1)
	s_cmp_lg_u32 s1, 0
	v_nop
	v_mul_f32_e32 v7, 0x4f7ffffe, v7
	v_sub_nc_u32_e32 v9, 0, v6
	s_add_co_ci_u32 s14, s2, 0
	s_abs_i32 s2, s0
	s_abs_i32 s1, s14
	v_cvt_u32_f32_e32 v7, v7
	s_delay_alu instid0(VALU_DEP_1) | instskip(NEXT) | instid1(VALU_DEP_1)
	v_mul_lo_u32 v9, v9, v7
	v_mul_hi_u32 v9, v7, v9
	s_delay_alu instid0(VALU_DEP_1) | instskip(NEXT) | instid1(VALU_DEP_1)
	v_add_nc_u32_e32 v7, v7, v9
	v_mul_hi_u32 v7, s1, v7
	s_delay_alu instid0(VALU_DEP_1) | instskip(NEXT) | instid1(VALU_DEP_1)
	v_mul_lo_u32 v9, v7, v6
	v_dual_add_nc_u32 v10, 1, v7 :: v_dual_sub_nc_u32 v9, s1, v9
	s_delay_alu instid0(VALU_DEP_1) | instskip(SKIP_1) | instid1(VALU_DEP_3)
	v_sub_nc_u32_e32 v11, v9, v6
	v_cmp_ge_u32_e32 vcc_lo, v9, v6
	v_dual_cndmask_b32 v7, v7, v10, vcc_lo :: v_dual_bitop2_b32 v10, s14, v8 bitop3:0x14
	s_delay_alu instid0(VALU_DEP_3) | instskip(NEXT) | instid1(VALU_DEP_2)
	v_cndmask_b32_e32 v9, v9, v11, vcc_lo
	v_dual_add_nc_u32 v11, 1, v7 :: v_dual_ashrrev_i32 v10, 31, v10
	s_delay_alu instid0(VALU_DEP_2) | instskip(NEXT) | instid1(VALU_DEP_2)
	v_cmp_ge_u32_e32 vcc_lo, v9, v6
	v_cndmask_b32_e32 v6, v7, v11, vcc_lo
	s_delay_alu instid0(VALU_DEP_1) | instskip(NEXT) | instid1(VALU_DEP_1)
	v_xor_b32_e32 v6, v6, v10
	v_sub_nc_u32_e32 v6, v6, v10
	s_delay_alu instid0(VALU_DEP_1) | instskip(NEXT) | instid1(VALU_DEP_1)
	v_sub_nc_u32_e32 v7, 0, v6
	v_max_i32_e32 v7, v6, v7
	s_delay_alu instid0(VALU_DEP_1) | instskip(SKIP_1) | instid1(VALU_DEP_2)
	v_cvt_f32_u32_e32 v9, v7
	v_sub_nc_u32_e32 v10, 0, v7
	v_rcp_iflag_f32_e32 v9, v9
	v_nop
	s_delay_alu instid0(TRANS32_DEP_1) | instskip(NEXT) | instid1(VALU_DEP_1)
	v_mul_f32_e32 v9, 0x4f7ffffe, v9
	v_cvt_u32_f32_e32 v9, v9
	s_delay_alu instid0(VALU_DEP_1) | instskip(NEXT) | instid1(VALU_DEP_1)
	v_mul_lo_u32 v10, v10, v9
	v_mul_hi_u32 v10, v9, v10
	s_wait_loadcnt 0x0
	v_readfirstlane_b32 s15, v0
	s_delay_alu instid0(VALU_DEP_2)
	v_add_nc_u32_e32 v0, v9, v10
	v_mov_b32_e32 v9, v1
	scratch_store_b32 off, v9, s32 offset:788 ; 4-byte Folded Spill
	s_wait_xcnt 0x0
	v_cmpx_ne_u64_e32 0, v[32:33]
	s_cbranch_execz .LBB187_2
; %bb.1:
	s_ashr_i32 s1, s0, 31
	s_delay_alu instid0(SALU_CYCLE_1)
	v_lshl_add_u64 v[10:11], s[0:1], 2, v[32:33]
	flat_load_b32 v9, v[10:11]
	s_wait_loadcnt_dscnt 0x0
	scratch_store_b32 off, v9, s32 offset:788 ; 4-byte Folded Spill
.LBB187_2:
	s_wait_xcnt 0x0
	s_or_b32 exec_lo, exec_lo, s4
	v_mul_u64_e32 v[0:1], s[2:3], v[0:1]
	v_and_b32_e32 v12, 0x3ff, v31
	v_dual_ashrrev_i32 v0, 31, v6 :: v_dual_bitop2_b32 v6, 1, v31 bitop3:0x40
	s_ashr_i32 s1, s0, 31
	s_mul_i32 s4, s0, 0xc0
	s_delay_alu instid0(VALU_DEP_2)
	v_dual_mov_b32 v10, v12 :: v_dual_lshlrev_b32 v29, 2, v12
	s_mov_b32 s3, exec_lo
	scratch_store_b64 off, v[10:11], s32 offset:752 ; 8-byte Folded Spill
	s_wait_xcnt 0x0
	v_cmpx_gt_u32_e32 0x60, v12
	s_cbranch_execz .LBB187_4
; %bb.3:
	v_mul_lo_u32 v10, v17, s13
	s_ashr_i32 s5, s4, 31
	v_and_b32_e32 v9, 0xff8, v29
	s_delay_alu instid0(VALU_DEP_1) | instskip(NEXT) | instid1(VALU_DEP_3)
	v_mad_u32_u24 v9, 0x180, v6, v9
	v_ashrrev_i32_e32 v11, 31, v10
	s_delay_alu instid0(VALU_DEP_1)
	v_lshl_add_u64 v[2:3], v[10:11], 2, v[2:3]
	scratch_load_b64 v[10:11], off, s32 offset:752 ; 8-byte Folded Reload
	s_wait_loadcnt 0x0
	v_mov_b32_e32 v11, 0
	v_lshl_add_u64 v[2:3], s[4:5], 2, v[2:3]
	v_lshlrev_b32_e32 v10, 3, v10
	s_delay_alu instid0(VALU_DEP_1)
	v_add_nc_u64_e32 v[2:3], v[2:3], v[10:11]
	flat_load_b64 v[2:3], v[2:3]
	s_wait_loadcnt_dscnt 0x0
	ds_store_b64 v9, v[2:3]
.LBB187_4:
	s_wait_xcnt 0x0
	s_or_b32 exec_lo, exec_lo, s3
	v_sub_nc_u32_e32 v2, 0, v27
	v_mul_lo_u32 v3, v1, v7
	v_dual_add_nc_u32 v10, 1, v1 :: v_dual_bitop2_b32 v12, s1, v0 bitop3:0x14
	s_mov_b32 s1, exec_lo
	s_delay_alu instid0(VALU_DEP_3) | instskip(NEXT) | instid1(VALU_DEP_1)
	v_max_i32_e32 v101, v27, v2
	v_cvt_f32_u32_e32 v2, v101
	s_delay_alu instid0(VALU_DEP_4) | instskip(NEXT) | instid1(VALU_DEP_2)
	v_sub_nc_u32_e32 v3, s2, v3
	v_rcp_iflag_f32_e32 v2, v2
	s_delay_alu instid0(VALU_DEP_1) | instskip(NEXT) | instid1(TRANS32_DEP_1)
	v_cmp_ge_u32_e32 vcc_lo, v3, v7
	v_dual_mul_f32 v2, 0x4f7ffffe, v2 :: v_dual_sub_nc_u32 v9, 0, v101
	v_cndmask_b32_e32 v1, v1, v10, vcc_lo
	s_delay_alu instid0(VALU_DEP_2) | instskip(NEXT) | instid1(VALU_DEP_2)
	v_cvt_u32_f32_e32 v2, v2
	v_add_nc_u32_e32 v10, 1, v1
	s_delay_alu instid0(VALU_DEP_2) | instskip(SKIP_2) | instid1(VALU_DEP_1)
	v_mul_lo_u32 v11, v9, v2
	v_sub_nc_u32_e32 v9, v3, v7
	s_wait_dscnt 0x0
	v_dual_cndmask_b32 v3, v3, v9, vcc_lo :: v_dual_add_nc_u32 v9, -1, v100
	s_delay_alu instid0(VALU_DEP_1) | instskip(NEXT) | instid1(VALU_DEP_4)
	v_cmp_ge_u32_e32 vcc_lo, v3, v7
	v_mul_hi_u32 v11, v2, v11
	v_dual_cndmask_b32 v0, v1, v10 :: v_dual_mov_b32 v1, 0
	s_delay_alu instid0(VALU_DEP_1) | instskip(NEXT) | instid1(VALU_DEP_2)
	v_dual_sub_nc_u32 v3, 0, v9 :: v_dual_bitop2_b32 v7, v0, v12 bitop3:0x14
	v_mov_b32_e32 v13, v1
	s_delay_alu instid0(VALU_DEP_2)
	v_dual_sub_nc_u32 v7, v7, v12 :: v_dual_max_i32 v0, v9, v3
	v_add_nc_u32_e32 v12, v2, v11
                                        ; implicit-def: $vgpr2
                                        ; kill: killed $vgpr2
	scratch_store_b64 off, v[12:13], s32 offset:196 ; 8-byte Folded Spill
	s_wait_storecnt 0x0
	s_barrier_signal -1
	s_barrier_wait -1
	s_wait_xcnt 0x0
	v_cmpx_gt_i32_e32 0, v28
	s_xor_b32 s1, exec_lo, s1
	s_cbranch_execz .LBB187_6
; %bb.5:
	v_mad_u32 v2, v24, v8, v7
                                        ; implicit-def: $vgpr24
	s_delay_alu instid0(VALU_DEP_1) | instskip(NEXT) | instid1(VALU_DEP_1)
	v_mul_lo_u32 v2, v2, v28
                                        ; implicit-def: $vgpr28
	v_sub_nc_u32_e32 v2, 1, v2
	scratch_store_b32 off, v2, s32 offset:208 ; 4-byte Folded Spill
.LBB187_6:
	s_wait_xcnt 0x0
	s_or_saveexec_b32 s1, s1
	scratch_load_b64 v[2:3], off, s32 offset:196 ; 8-byte Folded Reload
	s_wait_loadcnt 0x0
	v_mul_u64_e32 v[2:3], v[0:1], v[2:3]
	v_dual_ashrrev_i32 v1, 31, v9 :: v_dual_ashrrev_i32 v2, 31, v27
	scratch_store_b32 off, v2, s32 offset:204 ; 4-byte Folded Spill
	s_wait_xcnt 0x0
	s_xor_b32 exec_lo, exec_lo, s1
	s_cbranch_execz .LBB187_8
; %bb.7:
	v_mad_u32 v2, s14, v24, s0
	s_delay_alu instid0(VALU_DEP_1)
	v_mad_u32 v2, v2, v28, 1
	scratch_store_b32 off, v2, s32 offset:208 ; 4-byte Folded Spill
.LBB187_8:
	s_wait_xcnt 0x0
	s_or_b32 exec_lo, exec_lo, s1
	scratch_load_b32 v10, off, s32 offset:204 ; 4-byte Folded Reload
	v_mul_lo_u32 v2, v3, v101
	s_load_b32 s5, s[8:9], 0x8
	v_mul_lo_u32 v32, v14, s13
	v_mul_lo_u32 v54, v7, v19
	s_mov_b32 s16, exec_lo
	s_wait_xcnt 0x0
	s_get_pc_i64 s[8:9]
	s_add_nc_u64 s[8:9], s[8:9], llvm.amdgcn.dynlds.offset.table@rel64+4
	v_sub_nc_u32_e32 v24, 0, v26
	s_delay_alu instid0(VALU_DEP_4) | instskip(SKIP_1) | instid1(VALU_DEP_4)
	v_dual_sub_nc_u32 v0, v0, v2 :: v_dual_add_nc_u32 v2, 1, v3
	v_add_nc_u32_e32 v8, 15, v100
	v_dual_ashrrev_i32 v33, 31, v32 :: v_dual_ashrrev_i32 v55, 31, v54
	s_delay_alu instid0(VALU_DEP_3) | instskip(SKIP_1) | instid1(VALU_DEP_4)
	v_sub_nc_u32_e32 v9, v0, v101
	v_cmp_ge_u32_e32 vcc_lo, v0, v101
	v_dual_cndmask_b32 v2, v3, v2 :: v_dual_ashrrev_i32 v3, 31, v8
	s_delay_alu instid0(VALU_DEP_1) | instskip(NEXT) | instid1(VALU_DEP_1)
	v_dual_cndmask_b32 v0, v0, v9 :: v_dual_add_nc_u32 v9, 1, v2
	v_cmp_ge_u32_e32 vcc_lo, v0, v101
	s_delay_alu instid0(VALU_DEP_3) | instskip(NEXT) | instid1(VALU_DEP_3)
	v_lshrrev_b32_e32 v3, 28, v3
	v_dual_mov_b32 v7, 0xff7fffff :: v_dual_cndmask_b32 v0, v2, v9
	s_wait_loadcnt 0x0
	s_delay_alu instid0(VALU_DEP_2) | instskip(SKIP_4) | instid1(VALU_DEP_2)
	v_dual_add_nc_u32 v2, v8, v3 :: v_dual_bitop2_b32 v1, v1, v10 bitop3:0x14
	scratch_load_b64 v[10:11], off, s32 offset:752 ; 8-byte Folded Reload
	s_wait_loadcnt 0x0
	v_dual_lshrrev_b32 v11, 5, v10 :: v_dual_bitop2_b32 v0, v0, v1 bitop3:0x14
	v_ashrrev_i32_e32 v2, 4, v2
	v_dual_lshrrev_b32 v27, 3, v10 :: v_dual_lshlrev_b32 v28, 4, v11
	s_delay_alu instid0(VALU_DEP_3) | instskip(NEXT) | instid1(VALU_DEP_3)
	v_sub_nc_u32_e32 v0, v0, v1
	v_cmp_ge_i32_e64 s0, v11, v2
	s_clause 0x1
	scratch_store_b32 off, v11, s32 offset:808
	scratch_store_b32 off, v2, s32 offset:192
	v_sub_nc_u32_e32 v0, v0, v25
	scratch_store_b32 off, v0, s32 offset:212 ; 4-byte Folded Spill
	s_wait_xcnt 0x0
	v_cmpx_lt_i32_e64 v11, v2
	s_cbranch_execz .LBB187_788
; %bb.9:
	s_clause 0x3
	scratch_store_b32 off, v29, s32 offset:840
	scratch_store_b64 off, v[36:37], s32 offset:832
	scratch_store_b32 off, v26, s32 offset:828
	scratch_store_b32 off, v24, s32 offset:864
	s_wait_xcnt 0x3
	v_dual_mov_b32 v25, 0 :: v_dual_max_i32 v29, v26, v24
	s_ashr_i32 s7, s6, 31
	scratch_store_b64 off, v[54:55], s32 offset:856 ; 8-byte Folded Spill
	s_lshl_b64 s[2:3], s[6:7], 2
	v_cvt_f32_u32_e32 v0, v29
	s_add_nc_u64 s[10:11], s[8:9], s[2:3]
	v_cmp_eq_u32_e32 vcc_lo, 0, v6
	s_load_b32 s7, s[10:11], 0x0
	v_mul_u32_u24_e32 v45, 0x180, v6
	v_rcp_iflag_f32_e32 v0, v0
	s_mov_b32 s17, 0
	v_nop
	s_delay_alu instid0(TRANS32_DEP_1) | instskip(SKIP_2) | instid1(VALU_DEP_1)
	v_dual_mul_f32 v2, 0x4f7ffffe, v0 :: v_dual_sub_nc_u32 v3, 0, v29
	scratch_load_b64 v[0:1], off, s32 offset:752 ; 8-byte Folded Reload
	v_cvt_u32_f32_e32 v2, v2
	v_mul_lo_u32 v3, v3, v2
	s_delay_alu instid0(VALU_DEP_1) | instskip(SKIP_3) | instid1(VALU_DEP_2)
	v_mul_hi_u32 v3, v2, v3
	s_wait_loadcnt 0x0
	v_bfe_u32 v7, v0, 1, 4
	v_add_nc_u64_e32 v[0:1], v[4:5], v[54:55]
	v_dual_lshlrev_b32 v24, 4, v7 :: v_dual_sub_nc_u32 v5, v7, v100
	v_lshlrev_b32_e32 v4, 2, v7
	s_delay_alu instid0(VALU_DEP_2) | instskip(SKIP_2) | instid1(VALU_DEP_2)
	v_add_nc_u64_e32 v[0:1], v[0:1], v[24:25]
	v_lshlrev_b32_e32 v24, 1, v6
	v_mov_b32_e32 v6, 0xff7fffff
	v_add_nc_u64_e32 v[0:1], v[0:1], v[24:25]
	v_and_b32_e32 v24, 0x7c, v27
	s_clause 0x6
	scratch_store_b64 off, v[0:1], s32 offset:780
	scratch_store_b32 off, v27, s32 offset:852
	scratch_load_b32 v0, off, s32 offset:788
	scratch_load_b32 v26, off, s32 offset:808
	scratch_store_b32 off, v7, s32 offset:800
	scratch_store_b32 off, v6, s32 offset:776
	scratch_store_b64 off, v[32:33], s32 offset:844
	s_wait_xcnt 0x1
	v_dual_mov_b32 v7, v25 :: v_dual_add_nc_u32 v6, v2, v3
	s_wait_loadcnt 0x1
	v_cmp_neq_f32_e64 s1, 0, v0
	v_lshl_add_u64 v[0:1], v[32:33], 2, v[24:25]
	s_wait_loadcnt 0x0
	v_lshlrev_b32_e32 v118, 4, v26
	v_lshl_or_b32 v27, v26, 6, v4
	v_add_nc_u32_e32 v4, 1, v5
	s_clause 0x1
	scratch_store_b32 off, v4, s32 offset:804
	scratch_store_b64 off, v[34:35], s32 offset:820
	v_add_nc_u64_e32 v[42:43], v[34:35], v[0:1]
	s_clause 0x1
	scratch_store_b64 off, v[6:7], s32 offset:544
	scratch_store_b32 off, v29, s32 offset:796
	s_branch .LBB187_12
.LBB187_10:                             ;   in Loop: Header=BB187_12 Depth=1
	s_wait_xcnt 0x0
	s_or_b32 exec_lo, exec_lo, s18
.LBB187_11:                             ;   in Loop: Header=BB187_12 Depth=1
	s_delay_alu instid0(SALU_CYCLE_1)
	s_or_b32 exec_lo, exec_lo, s3
	scratch_load_b32 v0, off, s32 offset:192 ; 4-byte Folded Reload
	v_add_nc_u32_e32 v26, 4, v26
	v_add_nc_u64_e32 v[42:43], 16, v[42:43]
	v_add_nc_u32_e32 v118, 64, v118
	v_add_nc_u32_e32 v27, 0x100, v27
	s_wait_loadcnt 0x0
	v_cmp_ge_i32_e64 s2, v26, v0
	s_or_b32 s17, s2, s17
	s_wait_xcnt 0x0
	s_and_not1_b32 exec_lo, exec_lo, s17
	s_cbranch_execz .LBB187_787
.LBB187_12:                             ; =>This Inner Loop Header: Depth=1
	s_wait_dscnt 0x0
	scratch_load_b64 v[0:1], off, s32 offset:196 ; 8-byte Folded Reload
	v_mov_b32_e32 v119, v25
	s_wait_loadcnt 0x0
	s_delay_alu instid0(VALU_DEP_1) | instskip(NEXT) | instid1(VALU_DEP_1)
	v_mul_u64_e32 v[0:1], v[118:119], v[0:1]
	v_mul_lo_u32 v0, v1, v101
	s_delay_alu instid0(VALU_DEP_1) | instskip(NEXT) | instid1(VALU_DEP_1)
	v_sub_nc_u32_e32 v0, v118, v0
	v_cmp_ge_u32_e64 s2, v0, v101
	v_sub_nc_u32_e32 v3, v0, v101
	s_delay_alu instid0(VALU_DEP_1) | instskip(NEXT) | instid1(VALU_DEP_1)
	v_dual_add_nc_u32 v2, 1, v1 :: v_dual_cndmask_b32 v0, v0, v3, s2
	v_cndmask_b32_e64 v1, v1, v2, s2
	s_delay_alu instid0(VALU_DEP_2) | instskip(NEXT) | instid1(VALU_DEP_2)
	v_cmp_ge_u32_e64 s2, v0, v101
	v_add_nc_u32_e32 v2, 1, v1
	s_delay_alu instid0(VALU_DEP_1) | instskip(SKIP_3) | instid1(VALU_DEP_1)
	v_cndmask_b32_e64 v0, v1, v2, s2
	scratch_load_b32 v1, off, s32 offset:204 ; 4-byte Folded Reload
	s_wait_loadcnt 0x0
	v_xor_b32_e32 v0, v0, v1
	v_sub_nc_u32_e32 v2, v0, v1
	scratch_load_b32 v0, off, s32 offset:208 ; 4-byte Folded Reload
	s_wait_loadcnt 0x0
	v_add_nc_u32_e32 v3, v2, v0
	s_delay_alu instid0(VALU_DEP_1) | instskip(NEXT) | instid1(VALU_DEP_1)
	v_sub_nc_u32_e32 v0, 0, v3
	v_max_i32_e32 v24, v3, v0
	scratch_load_b64 v[0:1], off, s32 offset:544 ; 8-byte Folded Reload
	s_wait_loadcnt 0x0
	v_mul_u64_e32 v[0:1], v[24:25], v[0:1]
	s_delay_alu instid0(VALU_DEP_1) | instskip(NEXT) | instid1(VALU_DEP_1)
	v_mul_lo_u32 v0, v1, v29
	v_dual_sub_nc_u32 v0, v24, v0 :: v_dual_ashrrev_i32 v3, 31, v3
	s_delay_alu instid0(VALU_DEP_1) | instskip(SKIP_1) | instid1(VALU_DEP_1)
	v_sub_nc_u32_e32 v1, v0, v29
	v_cmp_ge_u32_e64 s2, v0, v29
	v_cndmask_b32_e64 v0, v0, v1, s2
	s_delay_alu instid0(VALU_DEP_1) | instskip(SKIP_1) | instid1(VALU_DEP_1)
	v_sub_nc_u32_e32 v1, v0, v29
	v_cmp_ge_u32_e64 s2, v0, v29
	v_cndmask_b32_e64 v0, v0, v1, s2
	s_delay_alu instid0(VALU_DEP_1) | instskip(NEXT) | instid1(VALU_DEP_1)
	v_xor_b32_e32 v0, v0, v3
	v_sub_nc_u32_e32 v0, v0, v3
	s_delay_alu instid0(VALU_DEP_1)
	v_cmp_ne_u32_e64 s2, 0, v0
	scratch_load_b32 v0, off, s32 offset:212 ; 4-byte Folded Reload
	s_wait_loadcnt 0x0
	v_cmp_le_i32_e64 s3, v2, v0
	s_and_b32 s2, s2, s3
	s_wait_xcnt 0x0
	s_and_saveexec_b32 s3, s2
	s_delay_alu instid0(SALU_CYCLE_1)
	s_xor_b32 s2, exec_lo, s3
	s_cbranch_execz .LBB187_16
; %bb.13:                               ;   in Loop: Header=BB187_12 Depth=1
	s_and_saveexec_b32 s3, vcc_lo
	s_cbranch_execz .LBB187_15
; %bb.14:                               ;   in Loop: Header=BB187_12 Depth=1
	s_wait_kmcnt 0x0
	v_dual_mov_b32 v1, 0xff7fffff :: v_dual_add_nc_u32 v0, s7, v27
	ds_store_b32 v0, v1
.LBB187_15:                             ;   in Loop: Header=BB187_12 Depth=1
	s_or_b32 exec_lo, exec_lo, s3
.LBB187_16:                             ;   in Loop: Header=BB187_12 Depth=1
	s_and_not1_saveexec_b32 s3, s2
	s_cbranch_execz .LBB187_11
; %bb.17:                               ;   in Loop: Header=BB187_12 Depth=1
	flat_load_b32 v0, v[42:43]
	s_clause 0x1
	scratch_load_b64 v[2:3], off, s32 offset:536
	scratch_load_b64 v[4:5], off, s32 offset:780
	v_mov_b64_e32 v[60:61], 0
	s_mov_b32 s18, exec_lo
	s_wait_loadcnt_dscnt 0x0
	v_mad_nc_i64_i32 v[76:77], v0, v2, v[4:5]
	flat_load_u16 v0, v[76:77]
	scratch_load_b64 v[2:3], off, s32 offset:768 ; 8-byte Folded Reload
	s_wait_loadcnt_dscnt 0x100
	v_and_b32_e32 v1, 0xff, v0
	s_wait_loadcnt 0x0
	flat_load_b32 v44, v[2:3]
	s_wait_xcnt 0x0
	ds_load_b128 v[2:5], v45
	v_and_b32_e32 v0, 0xffff, v0
	s_wait_dscnt 0x0
	scratch_store_b128 off, v[2:5], s32 offset:736 ; 16-byte Folded Spill
	s_wait_xcnt 0x0
	ds_load_b128 v[2:5], v45 offset:16
	s_wait_dscnt 0x0
	scratch_store_b128 off, v[2:5], s32 offset:704 ; 16-byte Folded Spill
	s_wait_xcnt 0x0
	ds_load_b128 v[2:5], v45 offset:32
	;; [unrolled: 4-line block ×9, first 2 shown]
	s_wait_dscnt 0x0
	scratch_store_b128 off, v[2:5], s32 offset:592 ; 16-byte Folded Spill
	s_wait_xcnt 0x0
	ds_load_b64 v[2:3], v45 offset:192
	s_wait_dscnt 0x0
	scratch_store_b64 off, v[2:3], s32 offset:552 ; 8-byte Folded Spill
	s_wait_xcnt 0x0
	ds_load_b128 v[2:5], v45 offset:160
	s_wait_dscnt 0x0
	scratch_store_b128 off, v[2:5], s32 offset:576 ; 16-byte Folded Spill
	s_wait_xcnt 0x0
	ds_load_b128 v[2:5], v45 offset:176
	s_wait_dscnt 0x0
	scratch_store_b128 off, v[2:5], s32 offset:560 ; 16-byte Folded Spill
	s_wait_xcnt 0x0
	v_mov_b64_e32 v[2:3], 0
	scratch_store_b64 off, v[2:3], s32 offset:216 ; 8-byte Folded Spill
	s_wait_xcnt 0x0
	v_cmpx_ne_u16_e32 0, v1
	s_cbranch_execz .LBB187_25
; %bb.18:                               ;   in Loop: Header=BB187_12 Depth=1
	v_mov_b64_e32 v[2:3], 0x80000000
	v_and_b32_e32 v1, 0xff, v0
	s_mov_b32 s19, exec_lo
	scratch_store_b64 off, v[2:3], s32 offset:216 ; 8-byte Folded Spill
	s_wait_xcnt 0x0
	v_cmpx_ne_u16_e32 0x80, v1
	s_cbranch_execz .LBB187_24
; %bb.19:                               ;   in Loop: Header=BB187_12 Depth=1
	v_mov_b64_e32 v[4:5], 0x7f800001
	v_and_b32_e32 v2, 0x7f, v0
	s_mov_b32 s20, exec_lo
	scratch_store_b64 off, v[4:5], s32 offset:216 ; 8-byte Folded Spill
	s_wait_xcnt 0x0
	v_cmpx_ne_u32_e32 0x7f, v2
	s_cbranch_execz .LBB187_23
; %bb.20:                               ;   in Loop: Header=BB187_12 Depth=1
	v_dual_lshrrev_b32 v1, 3, v2 :: v_dual_bitop2_b32 v24, 7, v0 bitop3:0x40
	s_mov_b32 s21, exec_lo
	v_cmpx_gt_u32_e32 8, v2
; %bb.21:                               ;   in Loop: Header=BB187_12 Depth=1
	s_delay_alu instid0(VALU_DEP_2) | instskip(NEXT) | instid1(VALU_DEP_1)
	v_clz_i32_u32_e32 v1, v24
	v_min_u32_e32 v1, 32, v1
	s_delay_alu instid0(VALU_DEP_1) | instskip(NEXT) | instid1(VALU_DEP_1)
	v_subrev_nc_u32_e32 v2, 28, v1
	v_lshlrev_b64_e32 v[2:3], v2, v[24:25]
	s_delay_alu instid0(VALU_DEP_1)
	v_dual_sub_nc_u32 v1, 29, v1 :: v_dual_bitop2_b32 v24, 7, v2 bitop3:0x40
; %bb.22:                               ;   in Loop: Header=BB187_12 Depth=1
	s_or_b32 exec_lo, exec_lo, s21
	v_lshlrev_b32_e32 v2, 24, v0
	s_delay_alu instid0(VALU_DEP_2) | instskip(NEXT) | instid1(VALU_DEP_3)
	v_lshlrev_b32_e32 v3, 20, v24
	v_lshl_add_u32 v1, v1, 23, 0x3c000000
	s_delay_alu instid0(VALU_DEP_3) | instskip(NEXT) | instid1(VALU_DEP_1)
	v_and_b32_e32 v2, 0x80000000, v2
	v_or3_b32 v24, v3, v2, v1
	scratch_store_b64 off, v[24:25], s32 offset:216 ; 8-byte Folded Spill
.LBB187_23:                             ;   in Loop: Header=BB187_12 Depth=1
	s_wait_xcnt 0x0
	s_or_b32 exec_lo, exec_lo, s20
.LBB187_24:                             ;   in Loop: Header=BB187_12 Depth=1
	s_delay_alu instid0(SALU_CYCLE_1)
	s_or_b32 exec_lo, exec_lo, s19
.LBB187_25:                             ;   in Loop: Header=BB187_12 Depth=1
	s_delay_alu instid0(SALU_CYCLE_1) | instskip(SKIP_2) | instid1(VALU_DEP_1)
	s_or_b32 exec_lo, exec_lo, s18
	v_lshrrev_b16 v1, 8, v0
	s_mov_b32 s18, exec_lo
	v_cmpx_ne_u16_e32 0, v1
	s_cbranch_execz .LBB187_33
; %bb.26:                               ;   in Loop: Header=BB187_12 Depth=1
	v_mov_b64_e32 v[60:61], 0x8000000000000000
	s_mov_b32 s19, exec_lo
	v_cmpx_ne_u16_e32 0x80, v1
	s_cbranch_execz .LBB187_32
; %bb.27:                               ;   in Loop: Header=BB187_12 Depth=1
	v_and_b32_e32 v1, 0xffff, v1
	v_mov_b64_e32 v[60:61], 0x7f80000100000000
	s_mov_b32 s20, exec_lo
	s_delay_alu instid0(VALU_DEP_2) | instskip(NEXT) | instid1(VALU_DEP_1)
	v_and_b32_e32 v2, 0x7f, v1
	v_cmpx_ne_u32_e32 0x7f, v2
	s_cbranch_execz .LBB187_31
; %bb.28:                               ;   in Loop: Header=BB187_12 Depth=1
	v_dual_lshrrev_b32 v1, 3, v2 :: v_dual_bitop2_b32 v24, 7, v1 bitop3:0x40
	s_mov_b32 s21, exec_lo
	v_cmpx_gt_u32_e32 8, v2
; %bb.29:                               ;   in Loop: Header=BB187_12 Depth=1
	s_delay_alu instid0(VALU_DEP_2) | instskip(NEXT) | instid1(VALU_DEP_1)
	v_clz_i32_u32_e32 v1, v24
	v_min_u32_e32 v1, 32, v1
	s_delay_alu instid0(VALU_DEP_1) | instskip(NEXT) | instid1(VALU_DEP_1)
	v_subrev_nc_u32_e32 v2, 28, v1
	v_lshlrev_b64_e32 v[2:3], v2, v[24:25]
	s_delay_alu instid0(VALU_DEP_1)
	v_dual_sub_nc_u32 v1, 29, v1 :: v_dual_bitop2_b32 v24, 7, v2 bitop3:0x40
; %bb.30:                               ;   in Loop: Header=BB187_12 Depth=1
	s_or_b32 exec_lo, exec_lo, s21
	v_dual_lshlrev_b32 v0, 16, v0 :: v_dual_mov_b32 v60, v25
	s_delay_alu instid0(VALU_DEP_2) | instskip(NEXT) | instid1(VALU_DEP_3)
	v_lshlrev_b32_e32 v2, 20, v24
	v_lshl_add_u32 v1, v1, 23, 0x3c000000
	s_delay_alu instid0(VALU_DEP_3) | instskip(NEXT) | instid1(VALU_DEP_1)
	v_and_b32_e32 v0, 0x80000000, v0
	v_or3_b32 v61, v2, v0, v1
.LBB187_31:                             ;   in Loop: Header=BB187_12 Depth=1
	s_or_b32 exec_lo, exec_lo, s20
.LBB187_32:                             ;   in Loop: Header=BB187_12 Depth=1
	s_delay_alu instid0(SALU_CYCLE_1)
	s_or_b32 exec_lo, exec_lo, s19
.LBB187_33:                             ;   in Loop: Header=BB187_12 Depth=1
	s_delay_alu instid0(SALU_CYCLE_1)
	s_or_b32 exec_lo, exec_lo, s18
	flat_load_u16 v0, v[76:77] offset:4
	v_mov_b64_e32 v[112:113], 0
	v_mov_b64_e32 v[110:111], 0
	s_mov_b32 s18, exec_lo
	s_wait_loadcnt_dscnt 0x0
	v_and_b32_e32 v1, 0xff, v0
	v_and_b32_e32 v0, 0xffff, v0
	s_wait_xcnt 0x0
	s_delay_alu instid0(VALU_DEP_2)
	v_cmpx_ne_u16_e32 0, v1
	s_cbranch_execz .LBB187_41
; %bb.34:                               ;   in Loop: Header=BB187_12 Depth=1
	v_mov_b64_e32 v[110:111], 0x80000000
	v_and_b32_e32 v1, 0xff, v0
	s_mov_b32 s19, exec_lo
	s_delay_alu instid0(VALU_DEP_1)
	v_cmpx_ne_u16_e32 0x80, v1
	s_cbranch_execz .LBB187_40
; %bb.35:                               ;   in Loop: Header=BB187_12 Depth=1
	v_mov_b64_e32 v[110:111], 0x7f800001
	v_and_b32_e32 v2, 0x7f, v0
	s_mov_b32 s20, exec_lo
	s_delay_alu instid0(VALU_DEP_1)
	v_cmpx_ne_u32_e32 0x7f, v2
	s_cbranch_execz .LBB187_39
; %bb.36:                               ;   in Loop: Header=BB187_12 Depth=1
	v_dual_lshrrev_b32 v1, 3, v2 :: v_dual_bitop2_b32 v24, 7, v0 bitop3:0x40
	s_mov_b32 s21, exec_lo
	v_cmpx_gt_u32_e32 8, v2
; %bb.37:                               ;   in Loop: Header=BB187_12 Depth=1
	s_delay_alu instid0(VALU_DEP_2) | instskip(NEXT) | instid1(VALU_DEP_1)
	v_clz_i32_u32_e32 v1, v24
	v_min_u32_e32 v1, 32, v1
	s_delay_alu instid0(VALU_DEP_1) | instskip(NEXT) | instid1(VALU_DEP_1)
	v_subrev_nc_u32_e32 v2, 28, v1
	v_lshlrev_b64_e32 v[2:3], v2, v[24:25]
	s_delay_alu instid0(VALU_DEP_1)
	v_dual_sub_nc_u32 v1, 29, v1 :: v_dual_bitop2_b32 v24, 7, v2 bitop3:0x40
; %bb.38:                               ;   in Loop: Header=BB187_12 Depth=1
	s_or_b32 exec_lo, exec_lo, s21
	v_lshlrev_b32_e32 v2, 24, v0
	s_delay_alu instid0(VALU_DEP_2) | instskip(NEXT) | instid1(VALU_DEP_3)
	v_lshlrev_b32_e32 v3, 20, v24
	v_lshl_add_u32 v1, v1, 23, 0x3c000000
	s_delay_alu instid0(VALU_DEP_3) | instskip(NEXT) | instid1(VALU_DEP_1)
	v_and_b32_e32 v2, 0x80000000, v2
	v_or3_b32 v24, v3, v2, v1
	s_delay_alu instid0(VALU_DEP_1)
	v_mov_b64_e32 v[110:111], v[24:25]
.LBB187_39:                             ;   in Loop: Header=BB187_12 Depth=1
	s_or_b32 exec_lo, exec_lo, s20
.LBB187_40:                             ;   in Loop: Header=BB187_12 Depth=1
	s_delay_alu instid0(SALU_CYCLE_1)
	s_or_b32 exec_lo, exec_lo, s19
.LBB187_41:                             ;   in Loop: Header=BB187_12 Depth=1
	s_delay_alu instid0(SALU_CYCLE_1) | instskip(SKIP_2) | instid1(VALU_DEP_1)
	s_or_b32 exec_lo, exec_lo, s18
	v_lshrrev_b16 v1, 8, v0
	s_mov_b32 s18, exec_lo
	v_cmpx_ne_u16_e32 0, v1
	s_cbranch_execz .LBB187_49
; %bb.42:                               ;   in Loop: Header=BB187_12 Depth=1
	v_mov_b64_e32 v[112:113], 0x8000000000000000
	s_mov_b32 s19, exec_lo
	v_cmpx_ne_u16_e32 0x80, v1
	s_cbranch_execz .LBB187_48
; %bb.43:                               ;   in Loop: Header=BB187_12 Depth=1
	v_and_b32_e32 v1, 0xffff, v1
	v_mov_b64_e32 v[112:113], 0x7f80000100000000
	s_mov_b32 s20, exec_lo
	s_delay_alu instid0(VALU_DEP_2) | instskip(NEXT) | instid1(VALU_DEP_1)
	v_and_b32_e32 v2, 0x7f, v1
	v_cmpx_ne_u32_e32 0x7f, v2
	s_cbranch_execz .LBB187_47
; %bb.44:                               ;   in Loop: Header=BB187_12 Depth=1
	v_dual_lshrrev_b32 v1, 3, v2 :: v_dual_bitop2_b32 v24, 7, v1 bitop3:0x40
	s_mov_b32 s21, exec_lo
	v_cmpx_gt_u32_e32 8, v2
; %bb.45:                               ;   in Loop: Header=BB187_12 Depth=1
	s_delay_alu instid0(VALU_DEP_2) | instskip(NEXT) | instid1(VALU_DEP_1)
	v_clz_i32_u32_e32 v1, v24
	v_min_u32_e32 v1, 32, v1
	s_delay_alu instid0(VALU_DEP_1) | instskip(NEXT) | instid1(VALU_DEP_1)
	v_subrev_nc_u32_e32 v2, 28, v1
	v_lshlrev_b64_e32 v[2:3], v2, v[24:25]
	s_delay_alu instid0(VALU_DEP_1)
	v_dual_sub_nc_u32 v1, 29, v1 :: v_dual_bitop2_b32 v24, 7, v2 bitop3:0x40
; %bb.46:                               ;   in Loop: Header=BB187_12 Depth=1
	s_or_b32 exec_lo, exec_lo, s21
	v_dual_lshlrev_b32 v0, 16, v0 :: v_dual_mov_b32 v112, v25
	s_delay_alu instid0(VALU_DEP_2) | instskip(NEXT) | instid1(VALU_DEP_3)
	v_lshlrev_b32_e32 v2, 20, v24
	v_lshl_add_u32 v1, v1, 23, 0x3c000000
	s_delay_alu instid0(VALU_DEP_3) | instskip(NEXT) | instid1(VALU_DEP_1)
	v_and_b32_e32 v0, 0x80000000, v0
	v_or3_b32 v113, v2, v0, v1
.LBB187_47:                             ;   in Loop: Header=BB187_12 Depth=1
	s_or_b32 exec_lo, exec_lo, s20
.LBB187_48:                             ;   in Loop: Header=BB187_12 Depth=1
	s_delay_alu instid0(SALU_CYCLE_1)
	s_or_b32 exec_lo, exec_lo, s19
.LBB187_49:                             ;   in Loop: Header=BB187_12 Depth=1
	s_delay_alu instid0(SALU_CYCLE_1)
	s_or_b32 exec_lo, exec_lo, s18
	flat_load_u16 v0, v[76:77] offset:8
	v_mov_b64_e32 v[2:3], 0
	s_mov_b32 s18, exec_lo
	scratch_store_b64 off, v[2:3], s32 offset:224 ; 8-byte Folded Spill
	s_wait_xcnt 0x0
	v_mov_b64_e32 v[2:3], 0
	scratch_store_b64 off, v[2:3], s32 offset:232 ; 8-byte Folded Spill
	s_wait_loadcnt_dscnt 0x0
	v_and_b32_e32 v1, 0xff, v0
	v_and_b32_e32 v0, 0xffff, v0
	s_wait_xcnt 0x0
	s_delay_alu instid0(VALU_DEP_2)
	v_cmpx_ne_u16_e32 0, v1
	s_cbranch_execz .LBB187_57
; %bb.50:                               ;   in Loop: Header=BB187_12 Depth=1
	v_mov_b64_e32 v[2:3], 0x80000000
	v_and_b32_e32 v1, 0xff, v0
	s_mov_b32 s19, exec_lo
	scratch_store_b64 off, v[2:3], s32 offset:232 ; 8-byte Folded Spill
	s_wait_xcnt 0x0
	v_cmpx_ne_u16_e32 0x80, v1
	s_cbranch_execz .LBB187_56
; %bb.51:                               ;   in Loop: Header=BB187_12 Depth=1
	v_mov_b64_e32 v[4:5], 0x7f800001
	v_and_b32_e32 v2, 0x7f, v0
	s_mov_b32 s20, exec_lo
	scratch_store_b64 off, v[4:5], s32 offset:232 ; 8-byte Folded Spill
	s_wait_xcnt 0x0
	v_cmpx_ne_u32_e32 0x7f, v2
	s_cbranch_execz .LBB187_55
; %bb.52:                               ;   in Loop: Header=BB187_12 Depth=1
	v_dual_lshrrev_b32 v1, 3, v2 :: v_dual_bitop2_b32 v24, 7, v0 bitop3:0x40
	s_mov_b32 s21, exec_lo
	v_cmpx_gt_u32_e32 8, v2
; %bb.53:                               ;   in Loop: Header=BB187_12 Depth=1
	s_delay_alu instid0(VALU_DEP_2) | instskip(NEXT) | instid1(VALU_DEP_1)
	v_clz_i32_u32_e32 v1, v24
	v_min_u32_e32 v1, 32, v1
	s_delay_alu instid0(VALU_DEP_1) | instskip(NEXT) | instid1(VALU_DEP_1)
	v_subrev_nc_u32_e32 v2, 28, v1
	v_lshlrev_b64_e32 v[2:3], v2, v[24:25]
	s_delay_alu instid0(VALU_DEP_1)
	v_dual_sub_nc_u32 v1, 29, v1 :: v_dual_bitop2_b32 v24, 7, v2 bitop3:0x40
; %bb.54:                               ;   in Loop: Header=BB187_12 Depth=1
	s_or_b32 exec_lo, exec_lo, s21
	v_lshlrev_b32_e32 v2, 24, v0
	s_delay_alu instid0(VALU_DEP_2) | instskip(NEXT) | instid1(VALU_DEP_3)
	v_lshlrev_b32_e32 v3, 20, v24
	v_lshl_add_u32 v1, v1, 23, 0x3c000000
	s_delay_alu instid0(VALU_DEP_3) | instskip(NEXT) | instid1(VALU_DEP_1)
	v_and_b32_e32 v2, 0x80000000, v2
	v_or3_b32 v24, v3, v2, v1
	scratch_store_b64 off, v[24:25], s32 offset:232 ; 8-byte Folded Spill
.LBB187_55:                             ;   in Loop: Header=BB187_12 Depth=1
	s_wait_xcnt 0x0
	s_or_b32 exec_lo, exec_lo, s20
.LBB187_56:                             ;   in Loop: Header=BB187_12 Depth=1
	s_delay_alu instid0(SALU_CYCLE_1)
	s_or_b32 exec_lo, exec_lo, s19
.LBB187_57:                             ;   in Loop: Header=BB187_12 Depth=1
	s_delay_alu instid0(SALU_CYCLE_1) | instskip(SKIP_2) | instid1(VALU_DEP_1)
	s_or_b32 exec_lo, exec_lo, s18
	v_lshrrev_b16 v1, 8, v0
	s_mov_b32 s18, exec_lo
	v_cmpx_ne_u16_e32 0, v1
	s_cbranch_execz .LBB187_65
; %bb.58:                               ;   in Loop: Header=BB187_12 Depth=1
	v_mov_b64_e32 v[2:3], 0x8000000000000000
	s_mov_b32 s19, exec_lo
	scratch_store_b64 off, v[2:3], s32 offset:224 ; 8-byte Folded Spill
	s_wait_xcnt 0x0
	v_cmpx_ne_u16_e32 0x80, v1
	s_cbranch_execz .LBB187_64
; %bb.59:                               ;   in Loop: Header=BB187_12 Depth=1
	v_and_b32_e32 v1, 0xffff, v1
	v_mov_b64_e32 v[4:5], 0x7f80000100000000
	s_mov_b32 s20, exec_lo
	s_delay_alu instid0(VALU_DEP_2)
	v_and_b32_e32 v2, 0x7f, v1
	scratch_store_b64 off, v[4:5], s32 offset:224 ; 8-byte Folded Spill
	s_wait_xcnt 0x0
	v_cmpx_ne_u32_e32 0x7f, v2
	s_cbranch_execz .LBB187_63
; %bb.60:                               ;   in Loop: Header=BB187_12 Depth=1
	v_dual_lshrrev_b32 v1, 3, v2 :: v_dual_bitop2_b32 v24, 7, v1 bitop3:0x40
	s_mov_b32 s21, exec_lo
	v_cmpx_gt_u32_e32 8, v2
; %bb.61:                               ;   in Loop: Header=BB187_12 Depth=1
	s_delay_alu instid0(VALU_DEP_2) | instskip(NEXT) | instid1(VALU_DEP_1)
	v_clz_i32_u32_e32 v1, v24
	v_min_u32_e32 v1, 32, v1
	s_delay_alu instid0(VALU_DEP_1) | instskip(NEXT) | instid1(VALU_DEP_1)
	v_subrev_nc_u32_e32 v2, 28, v1
	v_lshlrev_b64_e32 v[2:3], v2, v[24:25]
	s_delay_alu instid0(VALU_DEP_1)
	v_dual_sub_nc_u32 v1, 29, v1 :: v_dual_bitop2_b32 v24, 7, v2 bitop3:0x40
; %bb.62:                               ;   in Loop: Header=BB187_12 Depth=1
	s_or_b32 exec_lo, exec_lo, s21
	v_lshlrev_b32_e32 v0, 16, v0
	s_delay_alu instid0(VALU_DEP_2) | instskip(NEXT) | instid1(VALU_DEP_3)
	v_lshlrev_b32_e32 v2, 20, v24
	v_lshl_add_u32 v1, v1, 23, 0x3c000000
	s_delay_alu instid0(VALU_DEP_3) | instskip(NEXT) | instid1(VALU_DEP_1)
	v_and_b32_e32 v0, 0x80000000, v0
	v_or3_b32 v1, v2, v0, v1
	v_mov_b32_e32 v0, v25
	scratch_store_b64 off, v[0:1], s32 offset:224 ; 8-byte Folded Spill
.LBB187_63:                             ;   in Loop: Header=BB187_12 Depth=1
	s_wait_xcnt 0x0
	s_or_b32 exec_lo, exec_lo, s20
.LBB187_64:                             ;   in Loop: Header=BB187_12 Depth=1
	s_delay_alu instid0(SALU_CYCLE_1)
	s_or_b32 exec_lo, exec_lo, s19
.LBB187_65:                             ;   in Loop: Header=BB187_12 Depth=1
	s_delay_alu instid0(SALU_CYCLE_1)
	s_or_b32 exec_lo, exec_lo, s18
	flat_load_u16 v0, v[76:77] offset:12
	v_mov_b64_e32 v[2:3], 0
	s_mov_b32 s18, exec_lo
	scratch_store_b64 off, v[2:3], s32 offset:240 ; 8-byte Folded Spill
	s_wait_xcnt 0x0
	v_mov_b64_e32 v[2:3], 0
	scratch_store_b64 off, v[2:3], s32 offset:248 ; 8-byte Folded Spill
	s_wait_loadcnt_dscnt 0x0
	v_and_b32_e32 v1, 0xff, v0
	v_and_b32_e32 v0, 0xffff, v0
	s_wait_xcnt 0x0
	s_delay_alu instid0(VALU_DEP_2)
	v_cmpx_ne_u16_e32 0, v1
	s_cbranch_execz .LBB187_73
; %bb.66:                               ;   in Loop: Header=BB187_12 Depth=1
	v_mov_b64_e32 v[2:3], 0x80000000
	v_and_b32_e32 v1, 0xff, v0
	s_mov_b32 s19, exec_lo
	scratch_store_b64 off, v[2:3], s32 offset:248 ; 8-byte Folded Spill
	s_wait_xcnt 0x0
	v_cmpx_ne_u16_e32 0x80, v1
	s_cbranch_execz .LBB187_72
; %bb.67:                               ;   in Loop: Header=BB187_12 Depth=1
	v_mov_b64_e32 v[4:5], 0x7f800001
	v_and_b32_e32 v2, 0x7f, v0
	s_mov_b32 s20, exec_lo
	scratch_store_b64 off, v[4:5], s32 offset:248 ; 8-byte Folded Spill
	s_wait_xcnt 0x0
	v_cmpx_ne_u32_e32 0x7f, v2
	s_cbranch_execz .LBB187_71
; %bb.68:                               ;   in Loop: Header=BB187_12 Depth=1
	v_dual_lshrrev_b32 v1, 3, v2 :: v_dual_bitop2_b32 v24, 7, v0 bitop3:0x40
	s_mov_b32 s21, exec_lo
	v_cmpx_gt_u32_e32 8, v2
; %bb.69:                               ;   in Loop: Header=BB187_12 Depth=1
	s_delay_alu instid0(VALU_DEP_2) | instskip(NEXT) | instid1(VALU_DEP_1)
	v_clz_i32_u32_e32 v1, v24
	v_min_u32_e32 v1, 32, v1
	s_delay_alu instid0(VALU_DEP_1) | instskip(NEXT) | instid1(VALU_DEP_1)
	v_subrev_nc_u32_e32 v2, 28, v1
	v_lshlrev_b64_e32 v[2:3], v2, v[24:25]
	s_delay_alu instid0(VALU_DEP_1)
	v_dual_sub_nc_u32 v1, 29, v1 :: v_dual_bitop2_b32 v24, 7, v2 bitop3:0x40
; %bb.70:                               ;   in Loop: Header=BB187_12 Depth=1
	s_or_b32 exec_lo, exec_lo, s21
	v_lshlrev_b32_e32 v2, 24, v0
	s_delay_alu instid0(VALU_DEP_2) | instskip(NEXT) | instid1(VALU_DEP_3)
	v_lshlrev_b32_e32 v3, 20, v24
	v_lshl_add_u32 v1, v1, 23, 0x3c000000
	s_delay_alu instid0(VALU_DEP_3) | instskip(NEXT) | instid1(VALU_DEP_1)
	v_and_b32_e32 v2, 0x80000000, v2
	v_or3_b32 v24, v3, v2, v1
	scratch_store_b64 off, v[24:25], s32 offset:248 ; 8-byte Folded Spill
.LBB187_71:                             ;   in Loop: Header=BB187_12 Depth=1
	s_wait_xcnt 0x0
	s_or_b32 exec_lo, exec_lo, s20
.LBB187_72:                             ;   in Loop: Header=BB187_12 Depth=1
	s_delay_alu instid0(SALU_CYCLE_1)
	s_or_b32 exec_lo, exec_lo, s19
.LBB187_73:                             ;   in Loop: Header=BB187_12 Depth=1
	s_delay_alu instid0(SALU_CYCLE_1) | instskip(SKIP_2) | instid1(VALU_DEP_1)
	s_or_b32 exec_lo, exec_lo, s18
	v_lshrrev_b16 v1, 8, v0
	s_mov_b32 s18, exec_lo
	v_cmpx_ne_u16_e32 0, v1
	s_cbranch_execz .LBB187_81
; %bb.74:                               ;   in Loop: Header=BB187_12 Depth=1
	v_mov_b64_e32 v[2:3], 0x8000000000000000
	s_mov_b32 s19, exec_lo
	scratch_store_b64 off, v[2:3], s32 offset:240 ; 8-byte Folded Spill
	s_wait_xcnt 0x0
	v_cmpx_ne_u16_e32 0x80, v1
	s_cbranch_execz .LBB187_80
; %bb.75:                               ;   in Loop: Header=BB187_12 Depth=1
	v_and_b32_e32 v1, 0xffff, v1
	v_mov_b64_e32 v[4:5], 0x7f80000100000000
	s_mov_b32 s20, exec_lo
	s_delay_alu instid0(VALU_DEP_2)
	v_and_b32_e32 v2, 0x7f, v1
	scratch_store_b64 off, v[4:5], s32 offset:240 ; 8-byte Folded Spill
	s_wait_xcnt 0x0
	v_cmpx_ne_u32_e32 0x7f, v2
	s_cbranch_execz .LBB187_79
; %bb.76:                               ;   in Loop: Header=BB187_12 Depth=1
	v_dual_lshrrev_b32 v1, 3, v2 :: v_dual_bitop2_b32 v24, 7, v1 bitop3:0x40
	s_mov_b32 s21, exec_lo
	v_cmpx_gt_u32_e32 8, v2
; %bb.77:                               ;   in Loop: Header=BB187_12 Depth=1
	s_delay_alu instid0(VALU_DEP_2) | instskip(NEXT) | instid1(VALU_DEP_1)
	v_clz_i32_u32_e32 v1, v24
	v_min_u32_e32 v1, 32, v1
	s_delay_alu instid0(VALU_DEP_1) | instskip(NEXT) | instid1(VALU_DEP_1)
	v_subrev_nc_u32_e32 v2, 28, v1
	v_lshlrev_b64_e32 v[2:3], v2, v[24:25]
	s_delay_alu instid0(VALU_DEP_1)
	v_dual_sub_nc_u32 v1, 29, v1 :: v_dual_bitop2_b32 v24, 7, v2 bitop3:0x40
; %bb.78:                               ;   in Loop: Header=BB187_12 Depth=1
	s_or_b32 exec_lo, exec_lo, s21
	v_lshlrev_b32_e32 v0, 16, v0
	s_delay_alu instid0(VALU_DEP_2) | instskip(NEXT) | instid1(VALU_DEP_3)
	v_lshlrev_b32_e32 v2, 20, v24
	v_lshl_add_u32 v1, v1, 23, 0x3c000000
	s_delay_alu instid0(VALU_DEP_3) | instskip(NEXT) | instid1(VALU_DEP_1)
	v_and_b32_e32 v0, 0x80000000, v0
	v_or3_b32 v1, v2, v0, v1
	v_mov_b32_e32 v0, v25
	scratch_store_b64 off, v[0:1], s32 offset:240 ; 8-byte Folded Spill
.LBB187_79:                             ;   in Loop: Header=BB187_12 Depth=1
	s_wait_xcnt 0x0
	s_or_b32 exec_lo, exec_lo, s20
.LBB187_80:                             ;   in Loop: Header=BB187_12 Depth=1
	s_delay_alu instid0(SALU_CYCLE_1)
	s_or_b32 exec_lo, exec_lo, s19
.LBB187_81:                             ;   in Loop: Header=BB187_12 Depth=1
	s_delay_alu instid0(SALU_CYCLE_1)
	s_or_b32 exec_lo, exec_lo, s18
	flat_load_u16 v0, v[76:77] offset:256
	v_mov_b64_e32 v[2:3], 0
	s_mov_b32 s18, exec_lo
	scratch_store_b64 off, v[2:3], s32 offset:256 ; 8-byte Folded Spill
	s_wait_xcnt 0x0
	v_mov_b64_e32 v[2:3], 0
	scratch_store_b64 off, v[2:3], s32 offset:264 ; 8-byte Folded Spill
	s_wait_loadcnt_dscnt 0x0
	v_and_b32_e32 v1, 0xff, v0
	v_and_b32_e32 v0, 0xffff, v0
	s_wait_xcnt 0x0
	s_delay_alu instid0(VALU_DEP_2)
	v_cmpx_ne_u16_e32 0, v1
	s_cbranch_execz .LBB187_89
; %bb.82:                               ;   in Loop: Header=BB187_12 Depth=1
	v_mov_b64_e32 v[2:3], 0x80000000
	v_and_b32_e32 v1, 0xff, v0
	s_mov_b32 s19, exec_lo
	scratch_store_b64 off, v[2:3], s32 offset:264 ; 8-byte Folded Spill
	s_wait_xcnt 0x0
	v_cmpx_ne_u16_e32 0x80, v1
	s_cbranch_execz .LBB187_88
; %bb.83:                               ;   in Loop: Header=BB187_12 Depth=1
	v_mov_b64_e32 v[4:5], 0x7f800001
	v_and_b32_e32 v2, 0x7f, v0
	s_mov_b32 s20, exec_lo
	scratch_store_b64 off, v[4:5], s32 offset:264 ; 8-byte Folded Spill
	s_wait_xcnt 0x0
	v_cmpx_ne_u32_e32 0x7f, v2
	s_cbranch_execz .LBB187_87
; %bb.84:                               ;   in Loop: Header=BB187_12 Depth=1
	v_dual_lshrrev_b32 v1, 3, v2 :: v_dual_bitop2_b32 v24, 7, v0 bitop3:0x40
	s_mov_b32 s21, exec_lo
	v_cmpx_gt_u32_e32 8, v2
; %bb.85:                               ;   in Loop: Header=BB187_12 Depth=1
	s_delay_alu instid0(VALU_DEP_2) | instskip(NEXT) | instid1(VALU_DEP_1)
	v_clz_i32_u32_e32 v1, v24
	v_min_u32_e32 v1, 32, v1
	s_delay_alu instid0(VALU_DEP_1) | instskip(NEXT) | instid1(VALU_DEP_1)
	v_subrev_nc_u32_e32 v2, 28, v1
	v_lshlrev_b64_e32 v[2:3], v2, v[24:25]
	s_delay_alu instid0(VALU_DEP_1)
	v_dual_sub_nc_u32 v1, 29, v1 :: v_dual_bitop2_b32 v24, 7, v2 bitop3:0x40
; %bb.86:                               ;   in Loop: Header=BB187_12 Depth=1
	s_or_b32 exec_lo, exec_lo, s21
	v_lshlrev_b32_e32 v2, 24, v0
	s_delay_alu instid0(VALU_DEP_2) | instskip(NEXT) | instid1(VALU_DEP_3)
	v_lshlrev_b32_e32 v3, 20, v24
	v_lshl_add_u32 v1, v1, 23, 0x3c000000
	s_delay_alu instid0(VALU_DEP_3) | instskip(NEXT) | instid1(VALU_DEP_1)
	v_and_b32_e32 v2, 0x80000000, v2
	v_or3_b32 v24, v3, v2, v1
	scratch_store_b64 off, v[24:25], s32 offset:264 ; 8-byte Folded Spill
.LBB187_87:                             ;   in Loop: Header=BB187_12 Depth=1
	s_wait_xcnt 0x0
	s_or_b32 exec_lo, exec_lo, s20
.LBB187_88:                             ;   in Loop: Header=BB187_12 Depth=1
	s_delay_alu instid0(SALU_CYCLE_1)
	s_or_b32 exec_lo, exec_lo, s19
.LBB187_89:                             ;   in Loop: Header=BB187_12 Depth=1
	s_delay_alu instid0(SALU_CYCLE_1) | instskip(SKIP_2) | instid1(VALU_DEP_1)
	s_or_b32 exec_lo, exec_lo, s18
	v_lshrrev_b16 v1, 8, v0
	s_mov_b32 s18, exec_lo
	v_cmpx_ne_u16_e32 0, v1
	s_cbranch_execz .LBB187_97
; %bb.90:                               ;   in Loop: Header=BB187_12 Depth=1
	v_mov_b64_e32 v[2:3], 0x8000000000000000
	s_mov_b32 s19, exec_lo
	scratch_store_b64 off, v[2:3], s32 offset:256 ; 8-byte Folded Spill
	s_wait_xcnt 0x0
	v_cmpx_ne_u16_e32 0x80, v1
	s_cbranch_execz .LBB187_96
; %bb.91:                               ;   in Loop: Header=BB187_12 Depth=1
	v_and_b32_e32 v1, 0xffff, v1
	v_mov_b64_e32 v[4:5], 0x7f80000100000000
	s_mov_b32 s20, exec_lo
	s_delay_alu instid0(VALU_DEP_2)
	v_and_b32_e32 v2, 0x7f, v1
	scratch_store_b64 off, v[4:5], s32 offset:256 ; 8-byte Folded Spill
	s_wait_xcnt 0x0
	v_cmpx_ne_u32_e32 0x7f, v2
	s_cbranch_execz .LBB187_95
; %bb.92:                               ;   in Loop: Header=BB187_12 Depth=1
	v_dual_lshrrev_b32 v1, 3, v2 :: v_dual_bitop2_b32 v24, 7, v1 bitop3:0x40
	s_mov_b32 s21, exec_lo
	v_cmpx_gt_u32_e32 8, v2
; %bb.93:                               ;   in Loop: Header=BB187_12 Depth=1
	s_delay_alu instid0(VALU_DEP_2) | instskip(NEXT) | instid1(VALU_DEP_1)
	v_clz_i32_u32_e32 v1, v24
	v_min_u32_e32 v1, 32, v1
	s_delay_alu instid0(VALU_DEP_1) | instskip(NEXT) | instid1(VALU_DEP_1)
	v_subrev_nc_u32_e32 v2, 28, v1
	v_lshlrev_b64_e32 v[2:3], v2, v[24:25]
	s_delay_alu instid0(VALU_DEP_1)
	v_dual_sub_nc_u32 v1, 29, v1 :: v_dual_bitop2_b32 v24, 7, v2 bitop3:0x40
; %bb.94:                               ;   in Loop: Header=BB187_12 Depth=1
	s_or_b32 exec_lo, exec_lo, s21
	v_lshlrev_b32_e32 v0, 16, v0
	s_delay_alu instid0(VALU_DEP_2) | instskip(NEXT) | instid1(VALU_DEP_3)
	v_lshlrev_b32_e32 v2, 20, v24
	v_lshl_add_u32 v1, v1, 23, 0x3c000000
	s_delay_alu instid0(VALU_DEP_3) | instskip(NEXT) | instid1(VALU_DEP_1)
	v_and_b32_e32 v0, 0x80000000, v0
	v_or3_b32 v1, v2, v0, v1
	v_mov_b32_e32 v0, v25
	scratch_store_b64 off, v[0:1], s32 offset:256 ; 8-byte Folded Spill
.LBB187_95:                             ;   in Loop: Header=BB187_12 Depth=1
	s_wait_xcnt 0x0
	s_or_b32 exec_lo, exec_lo, s20
.LBB187_96:                             ;   in Loop: Header=BB187_12 Depth=1
	s_delay_alu instid0(SALU_CYCLE_1)
	s_or_b32 exec_lo, exec_lo, s19
.LBB187_97:                             ;   in Loop: Header=BB187_12 Depth=1
	s_delay_alu instid0(SALU_CYCLE_1)
	s_or_b32 exec_lo, exec_lo, s18
	flat_load_u16 v1, v[76:77] offset:260
	v_mov_b64_e32 v[2:3], 0
	s_mov_b32 s18, exec_lo
	scratch_store_b64 off, v[2:3], s32 offset:272 ; 8-byte Folded Spill
	s_wait_xcnt 0x0
	v_mov_b64_e32 v[2:3], 0
	scratch_store_b64 off, v[2:3], s32 offset:280 ; 8-byte Folded Spill
	s_wait_loadcnt_dscnt 0x0
	v_and_b32_e32 v0, 0xffff, v1
	v_and_b32_e32 v1, 0xff, v1
	s_wait_xcnt 0x0
	s_delay_alu instid0(VALU_DEP_1)
	v_cmpx_ne_u16_e32 0, v1
	s_cbranch_execz .LBB187_105
; %bb.98:                               ;   in Loop: Header=BB187_12 Depth=1
	v_mov_b64_e32 v[2:3], 0x80000000
	v_and_b32_e32 v1, 0xff, v0
	s_mov_b32 s19, exec_lo
	scratch_store_b64 off, v[2:3], s32 offset:280 ; 8-byte Folded Spill
	s_wait_xcnt 0x0
	v_cmpx_ne_u16_e32 0x80, v1
	s_cbranch_execz .LBB187_104
; %bb.99:                               ;   in Loop: Header=BB187_12 Depth=1
	v_mov_b64_e32 v[4:5], 0x7f800001
	v_and_b32_e32 v2, 0x7f, v0
	s_mov_b32 s20, exec_lo
	scratch_store_b64 off, v[4:5], s32 offset:280 ; 8-byte Folded Spill
	s_wait_xcnt 0x0
	v_cmpx_ne_u32_e32 0x7f, v2
	s_cbranch_execz .LBB187_103
; %bb.100:                              ;   in Loop: Header=BB187_12 Depth=1
	v_dual_lshrrev_b32 v1, 3, v2 :: v_dual_bitop2_b32 v24, 7, v0 bitop3:0x40
	s_mov_b32 s21, exec_lo
	v_cmpx_gt_u32_e32 8, v2
; %bb.101:                              ;   in Loop: Header=BB187_12 Depth=1
	s_delay_alu instid0(VALU_DEP_2) | instskip(NEXT) | instid1(VALU_DEP_1)
	v_clz_i32_u32_e32 v1, v24
	v_min_u32_e32 v1, 32, v1
	s_delay_alu instid0(VALU_DEP_1) | instskip(NEXT) | instid1(VALU_DEP_1)
	v_subrev_nc_u32_e32 v2, 28, v1
	v_lshlrev_b64_e32 v[2:3], v2, v[24:25]
	s_delay_alu instid0(VALU_DEP_1)
	v_dual_sub_nc_u32 v1, 29, v1 :: v_dual_bitop2_b32 v24, 7, v2 bitop3:0x40
; %bb.102:                              ;   in Loop: Header=BB187_12 Depth=1
	s_or_b32 exec_lo, exec_lo, s21
	v_lshlrev_b32_e32 v2, 24, v0
	s_delay_alu instid0(VALU_DEP_2) | instskip(NEXT) | instid1(VALU_DEP_3)
	v_lshlrev_b32_e32 v3, 20, v24
	v_lshl_add_u32 v1, v1, 23, 0x3c000000
	s_delay_alu instid0(VALU_DEP_3) | instskip(NEXT) | instid1(VALU_DEP_1)
	v_and_b32_e32 v2, 0x80000000, v2
	v_or3_b32 v24, v3, v2, v1
	scratch_store_b64 off, v[24:25], s32 offset:280 ; 8-byte Folded Spill
.LBB187_103:                            ;   in Loop: Header=BB187_12 Depth=1
	s_wait_xcnt 0x0
	s_or_b32 exec_lo, exec_lo, s20
.LBB187_104:                            ;   in Loop: Header=BB187_12 Depth=1
	s_delay_alu instid0(SALU_CYCLE_1)
	s_or_b32 exec_lo, exec_lo, s19
.LBB187_105:                            ;   in Loop: Header=BB187_12 Depth=1
	s_delay_alu instid0(SALU_CYCLE_1) | instskip(SKIP_2) | instid1(VALU_DEP_1)
	s_or_b32 exec_lo, exec_lo, s18
	v_lshrrev_b16 v1, 8, v0
	s_mov_b32 s18, exec_lo
	v_cmpx_ne_u16_e32 0, v1
	s_cbranch_execz .LBB187_113
; %bb.106:                              ;   in Loop: Header=BB187_12 Depth=1
	v_mov_b64_e32 v[2:3], 0x8000000000000000
	s_mov_b32 s19, exec_lo
	scratch_store_b64 off, v[2:3], s32 offset:272 ; 8-byte Folded Spill
	s_wait_xcnt 0x0
	v_cmpx_ne_u16_e32 0x80, v1
	s_cbranch_execz .LBB187_112
; %bb.107:                              ;   in Loop: Header=BB187_12 Depth=1
	v_and_b32_e32 v1, 0xffff, v1
	v_mov_b64_e32 v[4:5], 0x7f80000100000000
	s_mov_b32 s20, exec_lo
	s_delay_alu instid0(VALU_DEP_2)
	v_and_b32_e32 v2, 0x7f, v1
	scratch_store_b64 off, v[4:5], s32 offset:272 ; 8-byte Folded Spill
	s_wait_xcnt 0x0
	v_cmpx_ne_u32_e32 0x7f, v2
	s_cbranch_execz .LBB187_111
; %bb.108:                              ;   in Loop: Header=BB187_12 Depth=1
	v_dual_lshrrev_b32 v1, 3, v2 :: v_dual_bitop2_b32 v24, 7, v1 bitop3:0x40
	s_mov_b32 s21, exec_lo
	v_cmpx_gt_u32_e32 8, v2
; %bb.109:                              ;   in Loop: Header=BB187_12 Depth=1
	s_delay_alu instid0(VALU_DEP_2) | instskip(NEXT) | instid1(VALU_DEP_1)
	v_clz_i32_u32_e32 v1, v24
	v_min_u32_e32 v1, 32, v1
	s_delay_alu instid0(VALU_DEP_1) | instskip(NEXT) | instid1(VALU_DEP_1)
	v_subrev_nc_u32_e32 v2, 28, v1
	v_lshlrev_b64_e32 v[2:3], v2, v[24:25]
	s_delay_alu instid0(VALU_DEP_1)
	v_dual_sub_nc_u32 v1, 29, v1 :: v_dual_bitop2_b32 v24, 7, v2 bitop3:0x40
; %bb.110:                              ;   in Loop: Header=BB187_12 Depth=1
	s_or_b32 exec_lo, exec_lo, s21
	v_lshlrev_b32_e32 v0, 16, v0
	s_delay_alu instid0(VALU_DEP_2) | instskip(NEXT) | instid1(VALU_DEP_3)
	v_lshlrev_b32_e32 v2, 20, v24
	v_lshl_add_u32 v1, v1, 23, 0x3c000000
	s_delay_alu instid0(VALU_DEP_3) | instskip(NEXT) | instid1(VALU_DEP_1)
	v_and_b32_e32 v0, 0x80000000, v0
	v_or3_b32 v1, v2, v0, v1
	v_mov_b32_e32 v0, v25
	scratch_store_b64 off, v[0:1], s32 offset:272 ; 8-byte Folded Spill
.LBB187_111:                            ;   in Loop: Header=BB187_12 Depth=1
	s_wait_xcnt 0x0
	s_or_b32 exec_lo, exec_lo, s20
.LBB187_112:                            ;   in Loop: Header=BB187_12 Depth=1
	s_delay_alu instid0(SALU_CYCLE_1)
	s_or_b32 exec_lo, exec_lo, s19
.LBB187_113:                            ;   in Loop: Header=BB187_12 Depth=1
	s_delay_alu instid0(SALU_CYCLE_1)
	s_or_b32 exec_lo, exec_lo, s18
	flat_load_u16 v1, v[76:77] offset:264
	v_mov_b64_e32 v[2:3], 0
	s_mov_b32 s18, exec_lo
	scratch_store_b64 off, v[2:3], s32 offset:288 ; 8-byte Folded Spill
	s_wait_xcnt 0x0
	v_mov_b64_e32 v[2:3], 0
	scratch_store_b64 off, v[2:3], s32 offset:296 ; 8-byte Folded Spill
	s_wait_loadcnt_dscnt 0x0
	v_and_b32_e32 v0, 0xffff, v1
	v_and_b32_e32 v1, 0xff, v1
	s_wait_xcnt 0x0
	s_delay_alu instid0(VALU_DEP_1)
	v_cmpx_ne_u16_e32 0, v1
	s_cbranch_execz .LBB187_121
; %bb.114:                              ;   in Loop: Header=BB187_12 Depth=1
	v_mov_b64_e32 v[2:3], 0x80000000
	v_and_b32_e32 v1, 0xff, v0
	s_mov_b32 s19, exec_lo
	scratch_store_b64 off, v[2:3], s32 offset:296 ; 8-byte Folded Spill
	s_wait_xcnt 0x0
	v_cmpx_ne_u16_e32 0x80, v1
	s_cbranch_execz .LBB187_120
; %bb.115:                              ;   in Loop: Header=BB187_12 Depth=1
	v_mov_b64_e32 v[4:5], 0x7f800001
	v_and_b32_e32 v2, 0x7f, v0
	s_mov_b32 s20, exec_lo
	scratch_store_b64 off, v[4:5], s32 offset:296 ; 8-byte Folded Spill
	s_wait_xcnt 0x0
	v_cmpx_ne_u32_e32 0x7f, v2
	s_cbranch_execz .LBB187_119
; %bb.116:                              ;   in Loop: Header=BB187_12 Depth=1
	v_dual_lshrrev_b32 v1, 3, v2 :: v_dual_bitop2_b32 v24, 7, v0 bitop3:0x40
	s_mov_b32 s21, exec_lo
	v_cmpx_gt_u32_e32 8, v2
; %bb.117:                              ;   in Loop: Header=BB187_12 Depth=1
	s_delay_alu instid0(VALU_DEP_2) | instskip(NEXT) | instid1(VALU_DEP_1)
	v_clz_i32_u32_e32 v1, v24
	v_min_u32_e32 v1, 32, v1
	s_delay_alu instid0(VALU_DEP_1) | instskip(NEXT) | instid1(VALU_DEP_1)
	v_subrev_nc_u32_e32 v2, 28, v1
	v_lshlrev_b64_e32 v[2:3], v2, v[24:25]
	s_delay_alu instid0(VALU_DEP_1)
	v_dual_sub_nc_u32 v1, 29, v1 :: v_dual_bitop2_b32 v24, 7, v2 bitop3:0x40
; %bb.118:                              ;   in Loop: Header=BB187_12 Depth=1
	s_or_b32 exec_lo, exec_lo, s21
	v_lshlrev_b32_e32 v2, 24, v0
	s_delay_alu instid0(VALU_DEP_2) | instskip(NEXT) | instid1(VALU_DEP_3)
	v_lshlrev_b32_e32 v3, 20, v24
	v_lshl_add_u32 v1, v1, 23, 0x3c000000
	s_delay_alu instid0(VALU_DEP_3) | instskip(NEXT) | instid1(VALU_DEP_1)
	v_and_b32_e32 v2, 0x80000000, v2
	v_or3_b32 v24, v3, v2, v1
	scratch_store_b64 off, v[24:25], s32 offset:296 ; 8-byte Folded Spill
.LBB187_119:                            ;   in Loop: Header=BB187_12 Depth=1
	s_wait_xcnt 0x0
	s_or_b32 exec_lo, exec_lo, s20
.LBB187_120:                            ;   in Loop: Header=BB187_12 Depth=1
	s_delay_alu instid0(SALU_CYCLE_1)
	s_or_b32 exec_lo, exec_lo, s19
.LBB187_121:                            ;   in Loop: Header=BB187_12 Depth=1
	s_delay_alu instid0(SALU_CYCLE_1) | instskip(SKIP_2) | instid1(VALU_DEP_1)
	s_or_b32 exec_lo, exec_lo, s18
	v_lshrrev_b16 v1, 8, v0
	s_mov_b32 s18, exec_lo
	v_cmpx_ne_u16_e32 0, v1
	s_cbranch_execz .LBB187_129
; %bb.122:                              ;   in Loop: Header=BB187_12 Depth=1
	v_mov_b64_e32 v[2:3], 0x8000000000000000
	s_mov_b32 s19, exec_lo
	scratch_store_b64 off, v[2:3], s32 offset:288 ; 8-byte Folded Spill
	s_wait_xcnt 0x0
	v_cmpx_ne_u16_e32 0x80, v1
	s_cbranch_execz .LBB187_128
; %bb.123:                              ;   in Loop: Header=BB187_12 Depth=1
	v_and_b32_e32 v1, 0xffff, v1
	v_mov_b64_e32 v[4:5], 0x7f80000100000000
	s_mov_b32 s20, exec_lo
	s_delay_alu instid0(VALU_DEP_2)
	v_and_b32_e32 v2, 0x7f, v1
	scratch_store_b64 off, v[4:5], s32 offset:288 ; 8-byte Folded Spill
	s_wait_xcnt 0x0
	v_cmpx_ne_u32_e32 0x7f, v2
	s_cbranch_execz .LBB187_127
; %bb.124:                              ;   in Loop: Header=BB187_12 Depth=1
	v_dual_lshrrev_b32 v1, 3, v2 :: v_dual_bitop2_b32 v24, 7, v1 bitop3:0x40
	s_mov_b32 s21, exec_lo
	v_cmpx_gt_u32_e32 8, v2
; %bb.125:                              ;   in Loop: Header=BB187_12 Depth=1
	s_delay_alu instid0(VALU_DEP_2) | instskip(NEXT) | instid1(VALU_DEP_1)
	v_clz_i32_u32_e32 v1, v24
	v_min_u32_e32 v1, 32, v1
	s_delay_alu instid0(VALU_DEP_1) | instskip(NEXT) | instid1(VALU_DEP_1)
	v_subrev_nc_u32_e32 v2, 28, v1
	v_lshlrev_b64_e32 v[2:3], v2, v[24:25]
	s_delay_alu instid0(VALU_DEP_1)
	v_dual_sub_nc_u32 v1, 29, v1 :: v_dual_bitop2_b32 v24, 7, v2 bitop3:0x40
; %bb.126:                              ;   in Loop: Header=BB187_12 Depth=1
	s_or_b32 exec_lo, exec_lo, s21
	v_lshlrev_b32_e32 v0, 16, v0
	s_delay_alu instid0(VALU_DEP_2) | instskip(NEXT) | instid1(VALU_DEP_3)
	v_lshlrev_b32_e32 v2, 20, v24
	v_lshl_add_u32 v1, v1, 23, 0x3c000000
	s_delay_alu instid0(VALU_DEP_3) | instskip(NEXT) | instid1(VALU_DEP_1)
	v_and_b32_e32 v0, 0x80000000, v0
	v_or3_b32 v1, v2, v0, v1
	v_mov_b32_e32 v0, v25
	scratch_store_b64 off, v[0:1], s32 offset:288 ; 8-byte Folded Spill
.LBB187_127:                            ;   in Loop: Header=BB187_12 Depth=1
	s_wait_xcnt 0x0
	s_or_b32 exec_lo, exec_lo, s20
.LBB187_128:                            ;   in Loop: Header=BB187_12 Depth=1
	s_delay_alu instid0(SALU_CYCLE_1)
	s_or_b32 exec_lo, exec_lo, s19
.LBB187_129:                            ;   in Loop: Header=BB187_12 Depth=1
	s_delay_alu instid0(SALU_CYCLE_1)
	s_or_b32 exec_lo, exec_lo, s18
	flat_load_u16 v1, v[76:77] offset:268
	v_mov_b64_e32 v[2:3], 0
	s_mov_b32 s18, exec_lo
	scratch_store_b64 off, v[2:3], s32 offset:304 ; 8-byte Folded Spill
	s_wait_xcnt 0x0
	v_mov_b64_e32 v[2:3], 0
	scratch_store_b64 off, v[2:3], s32 offset:312 ; 8-byte Folded Spill
	s_wait_loadcnt_dscnt 0x0
	v_and_b32_e32 v0, 0xffff, v1
	v_and_b32_e32 v1, 0xff, v1
	s_wait_xcnt 0x0
	s_delay_alu instid0(VALU_DEP_1)
	v_cmpx_ne_u16_e32 0, v1
	s_cbranch_execz .LBB187_137
; %bb.130:                              ;   in Loop: Header=BB187_12 Depth=1
	v_mov_b64_e32 v[2:3], 0x80000000
	v_and_b32_e32 v1, 0xff, v0
	s_mov_b32 s19, exec_lo
	scratch_store_b64 off, v[2:3], s32 offset:312 ; 8-byte Folded Spill
	s_wait_xcnt 0x0
	v_cmpx_ne_u16_e32 0x80, v1
	s_cbranch_execz .LBB187_136
; %bb.131:                              ;   in Loop: Header=BB187_12 Depth=1
	v_mov_b64_e32 v[4:5], 0x7f800001
	v_and_b32_e32 v2, 0x7f, v0
	s_mov_b32 s20, exec_lo
	scratch_store_b64 off, v[4:5], s32 offset:312 ; 8-byte Folded Spill
	s_wait_xcnt 0x0
	v_cmpx_ne_u32_e32 0x7f, v2
	s_cbranch_execz .LBB187_135
; %bb.132:                              ;   in Loop: Header=BB187_12 Depth=1
	v_dual_lshrrev_b32 v1, 3, v2 :: v_dual_bitop2_b32 v24, 7, v0 bitop3:0x40
	s_mov_b32 s21, exec_lo
	v_cmpx_gt_u32_e32 8, v2
; %bb.133:                              ;   in Loop: Header=BB187_12 Depth=1
	s_delay_alu instid0(VALU_DEP_2) | instskip(NEXT) | instid1(VALU_DEP_1)
	v_clz_i32_u32_e32 v1, v24
	v_min_u32_e32 v1, 32, v1
	s_delay_alu instid0(VALU_DEP_1) | instskip(NEXT) | instid1(VALU_DEP_1)
	v_subrev_nc_u32_e32 v2, 28, v1
	v_lshlrev_b64_e32 v[2:3], v2, v[24:25]
	s_delay_alu instid0(VALU_DEP_1)
	v_dual_sub_nc_u32 v1, 29, v1 :: v_dual_bitop2_b32 v24, 7, v2 bitop3:0x40
; %bb.134:                              ;   in Loop: Header=BB187_12 Depth=1
	s_or_b32 exec_lo, exec_lo, s21
	v_lshlrev_b32_e32 v2, 24, v0
	s_delay_alu instid0(VALU_DEP_2) | instskip(NEXT) | instid1(VALU_DEP_3)
	v_lshlrev_b32_e32 v3, 20, v24
	v_lshl_add_u32 v1, v1, 23, 0x3c000000
	s_delay_alu instid0(VALU_DEP_3) | instskip(NEXT) | instid1(VALU_DEP_1)
	v_and_b32_e32 v2, 0x80000000, v2
	v_or3_b32 v24, v3, v2, v1
	scratch_store_b64 off, v[24:25], s32 offset:312 ; 8-byte Folded Spill
.LBB187_135:                            ;   in Loop: Header=BB187_12 Depth=1
	s_wait_xcnt 0x0
	s_or_b32 exec_lo, exec_lo, s20
.LBB187_136:                            ;   in Loop: Header=BB187_12 Depth=1
	s_delay_alu instid0(SALU_CYCLE_1)
	s_or_b32 exec_lo, exec_lo, s19
.LBB187_137:                            ;   in Loop: Header=BB187_12 Depth=1
	s_delay_alu instid0(SALU_CYCLE_1) | instskip(SKIP_2) | instid1(VALU_DEP_1)
	s_or_b32 exec_lo, exec_lo, s18
	v_lshrrev_b16 v1, 8, v0
	s_mov_b32 s18, exec_lo
	v_cmpx_ne_u16_e32 0, v1
	s_cbranch_execz .LBB187_145
; %bb.138:                              ;   in Loop: Header=BB187_12 Depth=1
	v_mov_b64_e32 v[2:3], 0x8000000000000000
	s_mov_b32 s19, exec_lo
	scratch_store_b64 off, v[2:3], s32 offset:304 ; 8-byte Folded Spill
	s_wait_xcnt 0x0
	v_cmpx_ne_u16_e32 0x80, v1
	s_cbranch_execz .LBB187_144
; %bb.139:                              ;   in Loop: Header=BB187_12 Depth=1
	v_and_b32_e32 v1, 0xffff, v1
	v_mov_b64_e32 v[4:5], 0x7f80000100000000
	s_mov_b32 s20, exec_lo
	s_delay_alu instid0(VALU_DEP_2)
	v_and_b32_e32 v2, 0x7f, v1
	scratch_store_b64 off, v[4:5], s32 offset:304 ; 8-byte Folded Spill
	s_wait_xcnt 0x0
	v_cmpx_ne_u32_e32 0x7f, v2
	s_cbranch_execz .LBB187_143
; %bb.140:                              ;   in Loop: Header=BB187_12 Depth=1
	v_dual_lshrrev_b32 v1, 3, v2 :: v_dual_bitop2_b32 v24, 7, v1 bitop3:0x40
	s_mov_b32 s21, exec_lo
	v_cmpx_gt_u32_e32 8, v2
; %bb.141:                              ;   in Loop: Header=BB187_12 Depth=1
	s_delay_alu instid0(VALU_DEP_2) | instskip(NEXT) | instid1(VALU_DEP_1)
	v_clz_i32_u32_e32 v1, v24
	v_min_u32_e32 v1, 32, v1
	s_delay_alu instid0(VALU_DEP_1) | instskip(NEXT) | instid1(VALU_DEP_1)
	v_subrev_nc_u32_e32 v2, 28, v1
	v_lshlrev_b64_e32 v[2:3], v2, v[24:25]
	s_delay_alu instid0(VALU_DEP_1)
	v_dual_sub_nc_u32 v1, 29, v1 :: v_dual_bitop2_b32 v24, 7, v2 bitop3:0x40
; %bb.142:                              ;   in Loop: Header=BB187_12 Depth=1
	s_or_b32 exec_lo, exec_lo, s21
	v_lshlrev_b32_e32 v0, 16, v0
	s_delay_alu instid0(VALU_DEP_2) | instskip(NEXT) | instid1(VALU_DEP_3)
	v_lshlrev_b32_e32 v2, 20, v24
	v_lshl_add_u32 v1, v1, 23, 0x3c000000
	s_delay_alu instid0(VALU_DEP_3) | instskip(NEXT) | instid1(VALU_DEP_1)
	v_and_b32_e32 v0, 0x80000000, v0
	v_or3_b32 v1, v2, v0, v1
	v_mov_b32_e32 v0, v25
	scratch_store_b64 off, v[0:1], s32 offset:304 ; 8-byte Folded Spill
.LBB187_143:                            ;   in Loop: Header=BB187_12 Depth=1
	s_wait_xcnt 0x0
	s_or_b32 exec_lo, exec_lo, s20
.LBB187_144:                            ;   in Loop: Header=BB187_12 Depth=1
	s_delay_alu instid0(SALU_CYCLE_1)
	s_or_b32 exec_lo, exec_lo, s19
.LBB187_145:                            ;   in Loop: Header=BB187_12 Depth=1
	s_delay_alu instid0(SALU_CYCLE_1)
	s_or_b32 exec_lo, exec_lo, s18
	flat_load_u16 v1, v[76:77] offset:512
	v_mov_b64_e32 v[2:3], 0
	s_mov_b32 s18, exec_lo
	scratch_store_b64 off, v[2:3], s32 offset:320 ; 8-byte Folded Spill
	s_wait_xcnt 0x0
	v_mov_b64_e32 v[2:3], 0
	scratch_store_b64 off, v[2:3], s32 offset:328 ; 8-byte Folded Spill
	s_wait_loadcnt_dscnt 0x0
	v_and_b32_e32 v0, 0xffff, v1
	v_and_b32_e32 v1, 0xff, v1
	s_wait_xcnt 0x0
	s_delay_alu instid0(VALU_DEP_1)
	v_cmpx_ne_u16_e32 0, v1
	s_cbranch_execz .LBB187_153
; %bb.146:                              ;   in Loop: Header=BB187_12 Depth=1
	v_mov_b64_e32 v[2:3], 0x80000000
	v_and_b32_e32 v1, 0xff, v0
	s_mov_b32 s19, exec_lo
	scratch_store_b64 off, v[2:3], s32 offset:328 ; 8-byte Folded Spill
	s_wait_xcnt 0x0
	v_cmpx_ne_u16_e32 0x80, v1
	s_cbranch_execz .LBB187_152
; %bb.147:                              ;   in Loop: Header=BB187_12 Depth=1
	v_mov_b64_e32 v[4:5], 0x7f800001
	v_and_b32_e32 v2, 0x7f, v0
	s_mov_b32 s20, exec_lo
	scratch_store_b64 off, v[4:5], s32 offset:328 ; 8-byte Folded Spill
	s_wait_xcnt 0x0
	v_cmpx_ne_u32_e32 0x7f, v2
	s_cbranch_execz .LBB187_151
; %bb.148:                              ;   in Loop: Header=BB187_12 Depth=1
	v_dual_lshrrev_b32 v1, 3, v2 :: v_dual_bitop2_b32 v24, 7, v0 bitop3:0x40
	s_mov_b32 s21, exec_lo
	v_cmpx_gt_u32_e32 8, v2
; %bb.149:                              ;   in Loop: Header=BB187_12 Depth=1
	s_delay_alu instid0(VALU_DEP_2) | instskip(NEXT) | instid1(VALU_DEP_1)
	v_clz_i32_u32_e32 v1, v24
	v_min_u32_e32 v1, 32, v1
	s_delay_alu instid0(VALU_DEP_1) | instskip(NEXT) | instid1(VALU_DEP_1)
	v_subrev_nc_u32_e32 v2, 28, v1
	v_lshlrev_b64_e32 v[2:3], v2, v[24:25]
	s_delay_alu instid0(VALU_DEP_1)
	v_dual_sub_nc_u32 v1, 29, v1 :: v_dual_bitop2_b32 v24, 7, v2 bitop3:0x40
; %bb.150:                              ;   in Loop: Header=BB187_12 Depth=1
	s_or_b32 exec_lo, exec_lo, s21
	v_lshlrev_b32_e32 v2, 24, v0
	s_delay_alu instid0(VALU_DEP_2) | instskip(NEXT) | instid1(VALU_DEP_3)
	v_lshlrev_b32_e32 v3, 20, v24
	v_lshl_add_u32 v1, v1, 23, 0x3c000000
	s_delay_alu instid0(VALU_DEP_3) | instskip(NEXT) | instid1(VALU_DEP_1)
	v_and_b32_e32 v2, 0x80000000, v2
	v_or3_b32 v24, v3, v2, v1
	scratch_store_b64 off, v[24:25], s32 offset:328 ; 8-byte Folded Spill
.LBB187_151:                            ;   in Loop: Header=BB187_12 Depth=1
	s_wait_xcnt 0x0
	s_or_b32 exec_lo, exec_lo, s20
.LBB187_152:                            ;   in Loop: Header=BB187_12 Depth=1
	s_delay_alu instid0(SALU_CYCLE_1)
	s_or_b32 exec_lo, exec_lo, s19
.LBB187_153:                            ;   in Loop: Header=BB187_12 Depth=1
	s_delay_alu instid0(SALU_CYCLE_1) | instskip(SKIP_2) | instid1(VALU_DEP_1)
	s_or_b32 exec_lo, exec_lo, s18
	v_lshrrev_b16 v1, 8, v0
	s_mov_b32 s18, exec_lo
	v_cmpx_ne_u16_e32 0, v1
	s_cbranch_execz .LBB187_161
; %bb.154:                              ;   in Loop: Header=BB187_12 Depth=1
	v_mov_b64_e32 v[2:3], 0x8000000000000000
	s_mov_b32 s19, exec_lo
	scratch_store_b64 off, v[2:3], s32 offset:320 ; 8-byte Folded Spill
	s_wait_xcnt 0x0
	v_cmpx_ne_u16_e32 0x80, v1
	s_cbranch_execz .LBB187_160
; %bb.155:                              ;   in Loop: Header=BB187_12 Depth=1
	v_and_b32_e32 v1, 0xffff, v1
	v_mov_b64_e32 v[4:5], 0x7f80000100000000
	s_mov_b32 s20, exec_lo
	s_delay_alu instid0(VALU_DEP_2)
	v_and_b32_e32 v2, 0x7f, v1
	scratch_store_b64 off, v[4:5], s32 offset:320 ; 8-byte Folded Spill
	s_wait_xcnt 0x0
	v_cmpx_ne_u32_e32 0x7f, v2
	s_cbranch_execz .LBB187_159
; %bb.156:                              ;   in Loop: Header=BB187_12 Depth=1
	v_dual_lshrrev_b32 v1, 3, v2 :: v_dual_bitop2_b32 v24, 7, v1 bitop3:0x40
	s_mov_b32 s21, exec_lo
	v_cmpx_gt_u32_e32 8, v2
; %bb.157:                              ;   in Loop: Header=BB187_12 Depth=1
	s_delay_alu instid0(VALU_DEP_2) | instskip(NEXT) | instid1(VALU_DEP_1)
	v_clz_i32_u32_e32 v1, v24
	v_min_u32_e32 v1, 32, v1
	s_delay_alu instid0(VALU_DEP_1) | instskip(NEXT) | instid1(VALU_DEP_1)
	v_subrev_nc_u32_e32 v2, 28, v1
	v_lshlrev_b64_e32 v[2:3], v2, v[24:25]
	s_delay_alu instid0(VALU_DEP_1)
	v_dual_sub_nc_u32 v1, 29, v1 :: v_dual_bitop2_b32 v24, 7, v2 bitop3:0x40
; %bb.158:                              ;   in Loop: Header=BB187_12 Depth=1
	s_or_b32 exec_lo, exec_lo, s21
	v_lshlrev_b32_e32 v0, 16, v0
	s_delay_alu instid0(VALU_DEP_2) | instskip(NEXT) | instid1(VALU_DEP_3)
	v_lshlrev_b32_e32 v2, 20, v24
	v_lshl_add_u32 v1, v1, 23, 0x3c000000
	s_delay_alu instid0(VALU_DEP_3) | instskip(NEXT) | instid1(VALU_DEP_1)
	v_and_b32_e32 v0, 0x80000000, v0
	v_or3_b32 v1, v2, v0, v1
	v_mov_b32_e32 v0, v25
	scratch_store_b64 off, v[0:1], s32 offset:320 ; 8-byte Folded Spill
.LBB187_159:                            ;   in Loop: Header=BB187_12 Depth=1
	s_wait_xcnt 0x0
	s_or_b32 exec_lo, exec_lo, s20
.LBB187_160:                            ;   in Loop: Header=BB187_12 Depth=1
	s_delay_alu instid0(SALU_CYCLE_1)
	s_or_b32 exec_lo, exec_lo, s19
.LBB187_161:                            ;   in Loop: Header=BB187_12 Depth=1
	s_delay_alu instid0(SALU_CYCLE_1)
	s_or_b32 exec_lo, exec_lo, s18
	flat_load_u16 v1, v[76:77] offset:516
	v_mov_b64_e32 v[2:3], 0
	s_mov_b32 s18, exec_lo
	scratch_store_b64 off, v[2:3], s32 offset:336 ; 8-byte Folded Spill
	s_wait_xcnt 0x0
	v_mov_b64_e32 v[2:3], 0
	scratch_store_b64 off, v[2:3], s32 offset:344 ; 8-byte Folded Spill
	s_wait_loadcnt_dscnt 0x0
	v_and_b32_e32 v0, 0xffff, v1
	v_and_b32_e32 v1, 0xff, v1
	s_wait_xcnt 0x0
	s_delay_alu instid0(VALU_DEP_1)
	v_cmpx_ne_u16_e32 0, v1
	s_cbranch_execz .LBB187_169
; %bb.162:                              ;   in Loop: Header=BB187_12 Depth=1
	v_mov_b64_e32 v[2:3], 0x80000000
	v_and_b32_e32 v1, 0xff, v0
	s_mov_b32 s19, exec_lo
	scratch_store_b64 off, v[2:3], s32 offset:344 ; 8-byte Folded Spill
	s_wait_xcnt 0x0
	v_cmpx_ne_u16_e32 0x80, v1
	s_cbranch_execz .LBB187_168
; %bb.163:                              ;   in Loop: Header=BB187_12 Depth=1
	v_mov_b64_e32 v[4:5], 0x7f800001
	v_and_b32_e32 v2, 0x7f, v0
	s_mov_b32 s20, exec_lo
	scratch_store_b64 off, v[4:5], s32 offset:344 ; 8-byte Folded Spill
	s_wait_xcnt 0x0
	v_cmpx_ne_u32_e32 0x7f, v2
	s_cbranch_execz .LBB187_167
; %bb.164:                              ;   in Loop: Header=BB187_12 Depth=1
	v_dual_lshrrev_b32 v1, 3, v2 :: v_dual_bitop2_b32 v24, 7, v0 bitop3:0x40
	s_mov_b32 s21, exec_lo
	v_cmpx_gt_u32_e32 8, v2
; %bb.165:                              ;   in Loop: Header=BB187_12 Depth=1
	s_delay_alu instid0(VALU_DEP_2) | instskip(NEXT) | instid1(VALU_DEP_1)
	v_clz_i32_u32_e32 v1, v24
	v_min_u32_e32 v1, 32, v1
	s_delay_alu instid0(VALU_DEP_1) | instskip(NEXT) | instid1(VALU_DEP_1)
	v_subrev_nc_u32_e32 v2, 28, v1
	v_lshlrev_b64_e32 v[2:3], v2, v[24:25]
	s_delay_alu instid0(VALU_DEP_1)
	v_dual_sub_nc_u32 v1, 29, v1 :: v_dual_bitop2_b32 v24, 7, v2 bitop3:0x40
; %bb.166:                              ;   in Loop: Header=BB187_12 Depth=1
	s_or_b32 exec_lo, exec_lo, s21
	v_lshlrev_b32_e32 v2, 24, v0
	s_delay_alu instid0(VALU_DEP_2) | instskip(NEXT) | instid1(VALU_DEP_3)
	v_lshlrev_b32_e32 v3, 20, v24
	v_lshl_add_u32 v1, v1, 23, 0x3c000000
	s_delay_alu instid0(VALU_DEP_3) | instskip(NEXT) | instid1(VALU_DEP_1)
	v_and_b32_e32 v2, 0x80000000, v2
	v_or3_b32 v24, v3, v2, v1
	scratch_store_b64 off, v[24:25], s32 offset:344 ; 8-byte Folded Spill
.LBB187_167:                            ;   in Loop: Header=BB187_12 Depth=1
	s_wait_xcnt 0x0
	s_or_b32 exec_lo, exec_lo, s20
.LBB187_168:                            ;   in Loop: Header=BB187_12 Depth=1
	s_delay_alu instid0(SALU_CYCLE_1)
	s_or_b32 exec_lo, exec_lo, s19
.LBB187_169:                            ;   in Loop: Header=BB187_12 Depth=1
	s_delay_alu instid0(SALU_CYCLE_1) | instskip(SKIP_2) | instid1(VALU_DEP_1)
	s_or_b32 exec_lo, exec_lo, s18
	v_lshrrev_b16 v1, 8, v0
	s_mov_b32 s18, exec_lo
	v_cmpx_ne_u16_e32 0, v1
	s_cbranch_execz .LBB187_177
; %bb.170:                              ;   in Loop: Header=BB187_12 Depth=1
	v_mov_b64_e32 v[2:3], 0x8000000000000000
	s_mov_b32 s19, exec_lo
	scratch_store_b64 off, v[2:3], s32 offset:336 ; 8-byte Folded Spill
	s_wait_xcnt 0x0
	v_cmpx_ne_u16_e32 0x80, v1
	s_cbranch_execz .LBB187_176
; %bb.171:                              ;   in Loop: Header=BB187_12 Depth=1
	v_and_b32_e32 v1, 0xffff, v1
	v_mov_b64_e32 v[4:5], 0x7f80000100000000
	s_mov_b32 s20, exec_lo
	s_delay_alu instid0(VALU_DEP_2)
	v_and_b32_e32 v2, 0x7f, v1
	scratch_store_b64 off, v[4:5], s32 offset:336 ; 8-byte Folded Spill
	s_wait_xcnt 0x0
	v_cmpx_ne_u32_e32 0x7f, v2
	s_cbranch_execz .LBB187_175
; %bb.172:                              ;   in Loop: Header=BB187_12 Depth=1
	v_dual_lshrrev_b32 v1, 3, v2 :: v_dual_bitop2_b32 v24, 7, v1 bitop3:0x40
	s_mov_b32 s21, exec_lo
	v_cmpx_gt_u32_e32 8, v2
; %bb.173:                              ;   in Loop: Header=BB187_12 Depth=1
	s_delay_alu instid0(VALU_DEP_2) | instskip(NEXT) | instid1(VALU_DEP_1)
	v_clz_i32_u32_e32 v1, v24
	v_min_u32_e32 v1, 32, v1
	s_delay_alu instid0(VALU_DEP_1) | instskip(NEXT) | instid1(VALU_DEP_1)
	v_subrev_nc_u32_e32 v2, 28, v1
	v_lshlrev_b64_e32 v[2:3], v2, v[24:25]
	s_delay_alu instid0(VALU_DEP_1)
	v_dual_sub_nc_u32 v1, 29, v1 :: v_dual_bitop2_b32 v24, 7, v2 bitop3:0x40
; %bb.174:                              ;   in Loop: Header=BB187_12 Depth=1
	s_or_b32 exec_lo, exec_lo, s21
	v_lshlrev_b32_e32 v0, 16, v0
	s_delay_alu instid0(VALU_DEP_2) | instskip(NEXT) | instid1(VALU_DEP_3)
	v_lshlrev_b32_e32 v2, 20, v24
	v_lshl_add_u32 v1, v1, 23, 0x3c000000
	s_delay_alu instid0(VALU_DEP_3) | instskip(NEXT) | instid1(VALU_DEP_1)
	v_and_b32_e32 v0, 0x80000000, v0
	v_or3_b32 v1, v2, v0, v1
	v_mov_b32_e32 v0, v25
	scratch_store_b64 off, v[0:1], s32 offset:336 ; 8-byte Folded Spill
.LBB187_175:                            ;   in Loop: Header=BB187_12 Depth=1
	s_wait_xcnt 0x0
	s_or_b32 exec_lo, exec_lo, s20
.LBB187_176:                            ;   in Loop: Header=BB187_12 Depth=1
	s_delay_alu instid0(SALU_CYCLE_1)
	s_or_b32 exec_lo, exec_lo, s19
.LBB187_177:                            ;   in Loop: Header=BB187_12 Depth=1
	s_delay_alu instid0(SALU_CYCLE_1)
	s_or_b32 exec_lo, exec_lo, s18
	flat_load_u16 v1, v[76:77] offset:520
	v_mov_b64_e32 v[2:3], 0
	s_mov_b32 s18, exec_lo
	scratch_store_b64 off, v[2:3], s32 offset:352 ; 8-byte Folded Spill
	s_wait_xcnt 0x0
	v_mov_b64_e32 v[2:3], 0
	scratch_store_b64 off, v[2:3], s32 offset:360 ; 8-byte Folded Spill
	s_wait_loadcnt_dscnt 0x0
	v_and_b32_e32 v0, 0xffff, v1
	v_and_b32_e32 v1, 0xff, v1
	s_wait_xcnt 0x0
	s_delay_alu instid0(VALU_DEP_1)
	v_cmpx_ne_u16_e32 0, v1
	s_cbranch_execz .LBB187_185
; %bb.178:                              ;   in Loop: Header=BB187_12 Depth=1
	v_mov_b64_e32 v[2:3], 0x80000000
	v_and_b32_e32 v1, 0xff, v0
	s_mov_b32 s19, exec_lo
	scratch_store_b64 off, v[2:3], s32 offset:360 ; 8-byte Folded Spill
	s_wait_xcnt 0x0
	v_cmpx_ne_u16_e32 0x80, v1
	s_cbranch_execz .LBB187_184
; %bb.179:                              ;   in Loop: Header=BB187_12 Depth=1
	v_mov_b64_e32 v[4:5], 0x7f800001
	v_and_b32_e32 v2, 0x7f, v0
	s_mov_b32 s20, exec_lo
	scratch_store_b64 off, v[4:5], s32 offset:360 ; 8-byte Folded Spill
	s_wait_xcnt 0x0
	v_cmpx_ne_u32_e32 0x7f, v2
	s_cbranch_execz .LBB187_183
; %bb.180:                              ;   in Loop: Header=BB187_12 Depth=1
	v_dual_lshrrev_b32 v1, 3, v2 :: v_dual_bitop2_b32 v24, 7, v0 bitop3:0x40
	s_mov_b32 s21, exec_lo
	v_cmpx_gt_u32_e32 8, v2
; %bb.181:                              ;   in Loop: Header=BB187_12 Depth=1
	s_delay_alu instid0(VALU_DEP_2) | instskip(NEXT) | instid1(VALU_DEP_1)
	v_clz_i32_u32_e32 v1, v24
	v_min_u32_e32 v1, 32, v1
	s_delay_alu instid0(VALU_DEP_1) | instskip(NEXT) | instid1(VALU_DEP_1)
	v_subrev_nc_u32_e32 v2, 28, v1
	v_lshlrev_b64_e32 v[2:3], v2, v[24:25]
	s_delay_alu instid0(VALU_DEP_1)
	v_dual_sub_nc_u32 v1, 29, v1 :: v_dual_bitop2_b32 v24, 7, v2 bitop3:0x40
; %bb.182:                              ;   in Loop: Header=BB187_12 Depth=1
	s_or_b32 exec_lo, exec_lo, s21
	v_lshlrev_b32_e32 v2, 24, v0
	s_delay_alu instid0(VALU_DEP_2) | instskip(NEXT) | instid1(VALU_DEP_3)
	v_lshlrev_b32_e32 v3, 20, v24
	v_lshl_add_u32 v1, v1, 23, 0x3c000000
	s_delay_alu instid0(VALU_DEP_3) | instskip(NEXT) | instid1(VALU_DEP_1)
	v_and_b32_e32 v2, 0x80000000, v2
	v_or3_b32 v24, v3, v2, v1
	scratch_store_b64 off, v[24:25], s32 offset:360 ; 8-byte Folded Spill
.LBB187_183:                            ;   in Loop: Header=BB187_12 Depth=1
	s_wait_xcnt 0x0
	s_or_b32 exec_lo, exec_lo, s20
.LBB187_184:                            ;   in Loop: Header=BB187_12 Depth=1
	s_delay_alu instid0(SALU_CYCLE_1)
	s_or_b32 exec_lo, exec_lo, s19
.LBB187_185:                            ;   in Loop: Header=BB187_12 Depth=1
	s_delay_alu instid0(SALU_CYCLE_1) | instskip(SKIP_2) | instid1(VALU_DEP_1)
	s_or_b32 exec_lo, exec_lo, s18
	v_lshrrev_b16 v1, 8, v0
	s_mov_b32 s18, exec_lo
	v_cmpx_ne_u16_e32 0, v1
	s_cbranch_execz .LBB187_193
; %bb.186:                              ;   in Loop: Header=BB187_12 Depth=1
	v_mov_b64_e32 v[2:3], 0x8000000000000000
	s_mov_b32 s19, exec_lo
	scratch_store_b64 off, v[2:3], s32 offset:352 ; 8-byte Folded Spill
	s_wait_xcnt 0x0
	v_cmpx_ne_u16_e32 0x80, v1
	s_cbranch_execz .LBB187_192
; %bb.187:                              ;   in Loop: Header=BB187_12 Depth=1
	v_and_b32_e32 v1, 0xffff, v1
	v_mov_b64_e32 v[4:5], 0x7f80000100000000
	s_mov_b32 s20, exec_lo
	s_delay_alu instid0(VALU_DEP_2)
	v_and_b32_e32 v2, 0x7f, v1
	scratch_store_b64 off, v[4:5], s32 offset:352 ; 8-byte Folded Spill
	s_wait_xcnt 0x0
	v_cmpx_ne_u32_e32 0x7f, v2
	s_cbranch_execz .LBB187_191
; %bb.188:                              ;   in Loop: Header=BB187_12 Depth=1
	v_dual_lshrrev_b32 v1, 3, v2 :: v_dual_bitop2_b32 v24, 7, v1 bitop3:0x40
	s_mov_b32 s21, exec_lo
	v_cmpx_gt_u32_e32 8, v2
; %bb.189:                              ;   in Loop: Header=BB187_12 Depth=1
	s_delay_alu instid0(VALU_DEP_2) | instskip(NEXT) | instid1(VALU_DEP_1)
	v_clz_i32_u32_e32 v1, v24
	v_min_u32_e32 v1, 32, v1
	s_delay_alu instid0(VALU_DEP_1) | instskip(NEXT) | instid1(VALU_DEP_1)
	v_subrev_nc_u32_e32 v2, 28, v1
	v_lshlrev_b64_e32 v[2:3], v2, v[24:25]
	s_delay_alu instid0(VALU_DEP_1)
	v_dual_sub_nc_u32 v1, 29, v1 :: v_dual_bitop2_b32 v24, 7, v2 bitop3:0x40
; %bb.190:                              ;   in Loop: Header=BB187_12 Depth=1
	s_or_b32 exec_lo, exec_lo, s21
	v_lshlrev_b32_e32 v0, 16, v0
	s_delay_alu instid0(VALU_DEP_2) | instskip(NEXT) | instid1(VALU_DEP_3)
	v_lshlrev_b32_e32 v2, 20, v24
	v_lshl_add_u32 v1, v1, 23, 0x3c000000
	s_delay_alu instid0(VALU_DEP_3) | instskip(NEXT) | instid1(VALU_DEP_1)
	v_and_b32_e32 v0, 0x80000000, v0
	v_or3_b32 v1, v2, v0, v1
	v_mov_b32_e32 v0, v25
	scratch_store_b64 off, v[0:1], s32 offset:352 ; 8-byte Folded Spill
.LBB187_191:                            ;   in Loop: Header=BB187_12 Depth=1
	s_wait_xcnt 0x0
	s_or_b32 exec_lo, exec_lo, s20
.LBB187_192:                            ;   in Loop: Header=BB187_12 Depth=1
	s_delay_alu instid0(SALU_CYCLE_1)
	s_or_b32 exec_lo, exec_lo, s19
.LBB187_193:                            ;   in Loop: Header=BB187_12 Depth=1
	s_delay_alu instid0(SALU_CYCLE_1)
	s_or_b32 exec_lo, exec_lo, s18
	flat_load_u16 v1, v[76:77] offset:524
	v_mov_b64_e32 v[2:3], 0
	s_mov_b32 s18, exec_lo
	scratch_store_b64 off, v[2:3], s32 offset:368 ; 8-byte Folded Spill
	s_wait_xcnt 0x0
	v_mov_b64_e32 v[2:3], 0
	scratch_store_b64 off, v[2:3], s32 offset:376 ; 8-byte Folded Spill
	s_wait_loadcnt_dscnt 0x0
	v_and_b32_e32 v0, 0xffff, v1
	v_and_b32_e32 v1, 0xff, v1
	s_wait_xcnt 0x0
	s_delay_alu instid0(VALU_DEP_1)
	v_cmpx_ne_u16_e32 0, v1
	s_cbranch_execz .LBB187_201
; %bb.194:                              ;   in Loop: Header=BB187_12 Depth=1
	v_mov_b64_e32 v[2:3], 0x80000000
	v_and_b32_e32 v1, 0xff, v0
	s_mov_b32 s19, exec_lo
	scratch_store_b64 off, v[2:3], s32 offset:376 ; 8-byte Folded Spill
	s_wait_xcnt 0x0
	v_cmpx_ne_u16_e32 0x80, v1
	s_cbranch_execz .LBB187_200
; %bb.195:                              ;   in Loop: Header=BB187_12 Depth=1
	v_mov_b64_e32 v[4:5], 0x7f800001
	v_and_b32_e32 v2, 0x7f, v0
	s_mov_b32 s20, exec_lo
	scratch_store_b64 off, v[4:5], s32 offset:376 ; 8-byte Folded Spill
	s_wait_xcnt 0x0
	v_cmpx_ne_u32_e32 0x7f, v2
	s_cbranch_execz .LBB187_199
; %bb.196:                              ;   in Loop: Header=BB187_12 Depth=1
	v_dual_lshrrev_b32 v1, 3, v2 :: v_dual_bitop2_b32 v24, 7, v0 bitop3:0x40
	s_mov_b32 s21, exec_lo
	v_cmpx_gt_u32_e32 8, v2
; %bb.197:                              ;   in Loop: Header=BB187_12 Depth=1
	s_delay_alu instid0(VALU_DEP_2) | instskip(NEXT) | instid1(VALU_DEP_1)
	v_clz_i32_u32_e32 v1, v24
	v_min_u32_e32 v1, 32, v1
	s_delay_alu instid0(VALU_DEP_1) | instskip(NEXT) | instid1(VALU_DEP_1)
	v_subrev_nc_u32_e32 v2, 28, v1
	v_lshlrev_b64_e32 v[2:3], v2, v[24:25]
	s_delay_alu instid0(VALU_DEP_1)
	v_dual_sub_nc_u32 v1, 29, v1 :: v_dual_bitop2_b32 v24, 7, v2 bitop3:0x40
; %bb.198:                              ;   in Loop: Header=BB187_12 Depth=1
	s_or_b32 exec_lo, exec_lo, s21
	v_lshlrev_b32_e32 v2, 24, v0
	s_delay_alu instid0(VALU_DEP_2) | instskip(NEXT) | instid1(VALU_DEP_3)
	v_lshlrev_b32_e32 v3, 20, v24
	v_lshl_add_u32 v1, v1, 23, 0x3c000000
	s_delay_alu instid0(VALU_DEP_3) | instskip(NEXT) | instid1(VALU_DEP_1)
	v_and_b32_e32 v2, 0x80000000, v2
	v_or3_b32 v24, v3, v2, v1
	scratch_store_b64 off, v[24:25], s32 offset:376 ; 8-byte Folded Spill
.LBB187_199:                            ;   in Loop: Header=BB187_12 Depth=1
	s_wait_xcnt 0x0
	s_or_b32 exec_lo, exec_lo, s20
.LBB187_200:                            ;   in Loop: Header=BB187_12 Depth=1
	s_delay_alu instid0(SALU_CYCLE_1)
	s_or_b32 exec_lo, exec_lo, s19
.LBB187_201:                            ;   in Loop: Header=BB187_12 Depth=1
	s_delay_alu instid0(SALU_CYCLE_1) | instskip(SKIP_2) | instid1(VALU_DEP_1)
	s_or_b32 exec_lo, exec_lo, s18
	v_lshrrev_b16 v1, 8, v0
	s_mov_b32 s18, exec_lo
	v_cmpx_ne_u16_e32 0, v1
	s_cbranch_execz .LBB187_209
; %bb.202:                              ;   in Loop: Header=BB187_12 Depth=1
	v_mov_b64_e32 v[2:3], 0x8000000000000000
	s_mov_b32 s19, exec_lo
	scratch_store_b64 off, v[2:3], s32 offset:368 ; 8-byte Folded Spill
	s_wait_xcnt 0x0
	v_cmpx_ne_u16_e32 0x80, v1
	s_cbranch_execz .LBB187_208
; %bb.203:                              ;   in Loop: Header=BB187_12 Depth=1
	v_and_b32_e32 v1, 0xffff, v1
	v_mov_b64_e32 v[4:5], 0x7f80000100000000
	s_mov_b32 s20, exec_lo
	s_delay_alu instid0(VALU_DEP_2)
	v_and_b32_e32 v2, 0x7f, v1
	scratch_store_b64 off, v[4:5], s32 offset:368 ; 8-byte Folded Spill
	s_wait_xcnt 0x0
	v_cmpx_ne_u32_e32 0x7f, v2
	s_cbranch_execz .LBB187_207
; %bb.204:                              ;   in Loop: Header=BB187_12 Depth=1
	v_dual_lshrrev_b32 v1, 3, v2 :: v_dual_bitop2_b32 v24, 7, v1 bitop3:0x40
	s_mov_b32 s21, exec_lo
	v_cmpx_gt_u32_e32 8, v2
; %bb.205:                              ;   in Loop: Header=BB187_12 Depth=1
	s_delay_alu instid0(VALU_DEP_2) | instskip(NEXT) | instid1(VALU_DEP_1)
	v_clz_i32_u32_e32 v1, v24
	v_min_u32_e32 v1, 32, v1
	s_delay_alu instid0(VALU_DEP_1) | instskip(NEXT) | instid1(VALU_DEP_1)
	v_subrev_nc_u32_e32 v2, 28, v1
	v_lshlrev_b64_e32 v[2:3], v2, v[24:25]
	s_delay_alu instid0(VALU_DEP_1)
	v_dual_sub_nc_u32 v1, 29, v1 :: v_dual_bitop2_b32 v24, 7, v2 bitop3:0x40
; %bb.206:                              ;   in Loop: Header=BB187_12 Depth=1
	s_or_b32 exec_lo, exec_lo, s21
	v_lshlrev_b32_e32 v0, 16, v0
	s_delay_alu instid0(VALU_DEP_2) | instskip(NEXT) | instid1(VALU_DEP_3)
	v_lshlrev_b32_e32 v2, 20, v24
	v_lshl_add_u32 v1, v1, 23, 0x3c000000
	s_delay_alu instid0(VALU_DEP_3) | instskip(NEXT) | instid1(VALU_DEP_1)
	v_and_b32_e32 v0, 0x80000000, v0
	v_or3_b32 v1, v2, v0, v1
	v_mov_b32_e32 v0, v25
	scratch_store_b64 off, v[0:1], s32 offset:368 ; 8-byte Folded Spill
.LBB187_207:                            ;   in Loop: Header=BB187_12 Depth=1
	s_wait_xcnt 0x0
	s_or_b32 exec_lo, exec_lo, s20
.LBB187_208:                            ;   in Loop: Header=BB187_12 Depth=1
	s_delay_alu instid0(SALU_CYCLE_1)
	s_or_b32 exec_lo, exec_lo, s19
.LBB187_209:                            ;   in Loop: Header=BB187_12 Depth=1
	s_delay_alu instid0(SALU_CYCLE_1)
	s_or_b32 exec_lo, exec_lo, s18
	flat_load_u16 v1, v[76:77] offset:768
	v_mov_b64_e32 v[2:3], 0
	s_mov_b32 s18, exec_lo
	scratch_store_b64 off, v[2:3], s32 offset:384 ; 8-byte Folded Spill
	s_wait_xcnt 0x0
	v_mov_b64_e32 v[2:3], 0
	scratch_store_b64 off, v[2:3], s32 offset:392 ; 8-byte Folded Spill
	s_wait_loadcnt_dscnt 0x0
	v_and_b32_e32 v0, 0xffff, v1
	v_and_b32_e32 v1, 0xff, v1
	s_wait_xcnt 0x0
	s_delay_alu instid0(VALU_DEP_1)
	v_cmpx_ne_u16_e32 0, v1
	s_cbranch_execz .LBB187_217
; %bb.210:                              ;   in Loop: Header=BB187_12 Depth=1
	v_mov_b64_e32 v[2:3], 0x80000000
	v_and_b32_e32 v1, 0xff, v0
	s_mov_b32 s19, exec_lo
	scratch_store_b64 off, v[2:3], s32 offset:392 ; 8-byte Folded Spill
	s_wait_xcnt 0x0
	v_cmpx_ne_u16_e32 0x80, v1
	s_cbranch_execz .LBB187_216
; %bb.211:                              ;   in Loop: Header=BB187_12 Depth=1
	v_mov_b64_e32 v[4:5], 0x7f800001
	v_and_b32_e32 v2, 0x7f, v0
	s_mov_b32 s20, exec_lo
	scratch_store_b64 off, v[4:5], s32 offset:392 ; 8-byte Folded Spill
	s_wait_xcnt 0x0
	v_cmpx_ne_u32_e32 0x7f, v2
	s_cbranch_execz .LBB187_215
; %bb.212:                              ;   in Loop: Header=BB187_12 Depth=1
	v_dual_lshrrev_b32 v1, 3, v2 :: v_dual_bitop2_b32 v24, 7, v0 bitop3:0x40
	s_mov_b32 s21, exec_lo
	v_cmpx_gt_u32_e32 8, v2
; %bb.213:                              ;   in Loop: Header=BB187_12 Depth=1
	s_delay_alu instid0(VALU_DEP_2) | instskip(NEXT) | instid1(VALU_DEP_1)
	v_clz_i32_u32_e32 v1, v24
	v_min_u32_e32 v1, 32, v1
	s_delay_alu instid0(VALU_DEP_1) | instskip(NEXT) | instid1(VALU_DEP_1)
	v_subrev_nc_u32_e32 v2, 28, v1
	v_lshlrev_b64_e32 v[2:3], v2, v[24:25]
	s_delay_alu instid0(VALU_DEP_1)
	v_dual_sub_nc_u32 v1, 29, v1 :: v_dual_bitop2_b32 v24, 7, v2 bitop3:0x40
; %bb.214:                              ;   in Loop: Header=BB187_12 Depth=1
	s_or_b32 exec_lo, exec_lo, s21
	v_lshlrev_b32_e32 v2, 24, v0
	s_delay_alu instid0(VALU_DEP_2) | instskip(NEXT) | instid1(VALU_DEP_3)
	v_lshlrev_b32_e32 v3, 20, v24
	v_lshl_add_u32 v1, v1, 23, 0x3c000000
	s_delay_alu instid0(VALU_DEP_3) | instskip(NEXT) | instid1(VALU_DEP_1)
	v_and_b32_e32 v2, 0x80000000, v2
	v_or3_b32 v24, v3, v2, v1
	scratch_store_b64 off, v[24:25], s32 offset:392 ; 8-byte Folded Spill
.LBB187_215:                            ;   in Loop: Header=BB187_12 Depth=1
	s_wait_xcnt 0x0
	s_or_b32 exec_lo, exec_lo, s20
.LBB187_216:                            ;   in Loop: Header=BB187_12 Depth=1
	s_delay_alu instid0(SALU_CYCLE_1)
	s_or_b32 exec_lo, exec_lo, s19
.LBB187_217:                            ;   in Loop: Header=BB187_12 Depth=1
	s_delay_alu instid0(SALU_CYCLE_1) | instskip(SKIP_2) | instid1(VALU_DEP_1)
	s_or_b32 exec_lo, exec_lo, s18
	v_lshrrev_b16 v1, 8, v0
	s_mov_b32 s18, exec_lo
	v_cmpx_ne_u16_e32 0, v1
	s_cbranch_execz .LBB187_225
; %bb.218:                              ;   in Loop: Header=BB187_12 Depth=1
	v_mov_b64_e32 v[2:3], 0x8000000000000000
	s_mov_b32 s19, exec_lo
	scratch_store_b64 off, v[2:3], s32 offset:384 ; 8-byte Folded Spill
	s_wait_xcnt 0x0
	v_cmpx_ne_u16_e32 0x80, v1
	s_cbranch_execz .LBB187_224
; %bb.219:                              ;   in Loop: Header=BB187_12 Depth=1
	v_and_b32_e32 v1, 0xffff, v1
	v_mov_b64_e32 v[4:5], 0x7f80000100000000
	s_mov_b32 s20, exec_lo
	s_delay_alu instid0(VALU_DEP_2)
	v_and_b32_e32 v2, 0x7f, v1
	scratch_store_b64 off, v[4:5], s32 offset:384 ; 8-byte Folded Spill
	s_wait_xcnt 0x0
	v_cmpx_ne_u32_e32 0x7f, v2
	s_cbranch_execz .LBB187_223
; %bb.220:                              ;   in Loop: Header=BB187_12 Depth=1
	v_dual_lshrrev_b32 v1, 3, v2 :: v_dual_bitop2_b32 v24, 7, v1 bitop3:0x40
	s_mov_b32 s21, exec_lo
	v_cmpx_gt_u32_e32 8, v2
; %bb.221:                              ;   in Loop: Header=BB187_12 Depth=1
	s_delay_alu instid0(VALU_DEP_2) | instskip(NEXT) | instid1(VALU_DEP_1)
	v_clz_i32_u32_e32 v1, v24
	v_min_u32_e32 v1, 32, v1
	s_delay_alu instid0(VALU_DEP_1) | instskip(NEXT) | instid1(VALU_DEP_1)
	v_subrev_nc_u32_e32 v2, 28, v1
	v_lshlrev_b64_e32 v[2:3], v2, v[24:25]
	s_delay_alu instid0(VALU_DEP_1)
	v_dual_sub_nc_u32 v1, 29, v1 :: v_dual_bitop2_b32 v24, 7, v2 bitop3:0x40
; %bb.222:                              ;   in Loop: Header=BB187_12 Depth=1
	s_or_b32 exec_lo, exec_lo, s21
	v_lshlrev_b32_e32 v0, 16, v0
	s_delay_alu instid0(VALU_DEP_2) | instskip(NEXT) | instid1(VALU_DEP_3)
	v_lshlrev_b32_e32 v2, 20, v24
	v_lshl_add_u32 v1, v1, 23, 0x3c000000
	s_delay_alu instid0(VALU_DEP_3) | instskip(NEXT) | instid1(VALU_DEP_1)
	v_and_b32_e32 v0, 0x80000000, v0
	v_or3_b32 v1, v2, v0, v1
	v_mov_b32_e32 v0, v25
	scratch_store_b64 off, v[0:1], s32 offset:384 ; 8-byte Folded Spill
.LBB187_223:                            ;   in Loop: Header=BB187_12 Depth=1
	s_wait_xcnt 0x0
	s_or_b32 exec_lo, exec_lo, s20
.LBB187_224:                            ;   in Loop: Header=BB187_12 Depth=1
	s_delay_alu instid0(SALU_CYCLE_1)
	s_or_b32 exec_lo, exec_lo, s19
.LBB187_225:                            ;   in Loop: Header=BB187_12 Depth=1
	s_delay_alu instid0(SALU_CYCLE_1)
	s_or_b32 exec_lo, exec_lo, s18
	flat_load_u16 v1, v[76:77] offset:772
	v_mov_b64_e32 v[2:3], 0
	s_mov_b32 s18, exec_lo
	scratch_store_b64 off, v[2:3], s32 offset:400 ; 8-byte Folded Spill
	s_wait_xcnt 0x0
	v_mov_b64_e32 v[2:3], 0
	scratch_store_b64 off, v[2:3], s32 offset:408 ; 8-byte Folded Spill
	s_wait_loadcnt_dscnt 0x0
	v_and_b32_e32 v0, 0xffff, v1
	v_and_b32_e32 v1, 0xff, v1
	s_wait_xcnt 0x0
	s_delay_alu instid0(VALU_DEP_1)
	v_cmpx_ne_u16_e32 0, v1
	s_cbranch_execz .LBB187_233
; %bb.226:                              ;   in Loop: Header=BB187_12 Depth=1
	v_mov_b64_e32 v[2:3], 0x80000000
	v_and_b32_e32 v1, 0xff, v0
	s_mov_b32 s19, exec_lo
	scratch_store_b64 off, v[2:3], s32 offset:408 ; 8-byte Folded Spill
	s_wait_xcnt 0x0
	v_cmpx_ne_u16_e32 0x80, v1
	s_cbranch_execz .LBB187_232
; %bb.227:                              ;   in Loop: Header=BB187_12 Depth=1
	v_mov_b64_e32 v[4:5], 0x7f800001
	v_and_b32_e32 v2, 0x7f, v0
	s_mov_b32 s20, exec_lo
	scratch_store_b64 off, v[4:5], s32 offset:408 ; 8-byte Folded Spill
	s_wait_xcnt 0x0
	v_cmpx_ne_u32_e32 0x7f, v2
	s_cbranch_execz .LBB187_231
; %bb.228:                              ;   in Loop: Header=BB187_12 Depth=1
	v_dual_lshrrev_b32 v1, 3, v2 :: v_dual_bitop2_b32 v24, 7, v0 bitop3:0x40
	s_mov_b32 s21, exec_lo
	v_cmpx_gt_u32_e32 8, v2
; %bb.229:                              ;   in Loop: Header=BB187_12 Depth=1
	s_delay_alu instid0(VALU_DEP_2) | instskip(NEXT) | instid1(VALU_DEP_1)
	v_clz_i32_u32_e32 v1, v24
	v_min_u32_e32 v1, 32, v1
	s_delay_alu instid0(VALU_DEP_1) | instskip(NEXT) | instid1(VALU_DEP_1)
	v_subrev_nc_u32_e32 v2, 28, v1
	v_lshlrev_b64_e32 v[2:3], v2, v[24:25]
	s_delay_alu instid0(VALU_DEP_1)
	v_dual_sub_nc_u32 v1, 29, v1 :: v_dual_bitop2_b32 v24, 7, v2 bitop3:0x40
; %bb.230:                              ;   in Loop: Header=BB187_12 Depth=1
	s_or_b32 exec_lo, exec_lo, s21
	v_lshlrev_b32_e32 v2, 24, v0
	s_delay_alu instid0(VALU_DEP_2) | instskip(NEXT) | instid1(VALU_DEP_3)
	v_lshlrev_b32_e32 v3, 20, v24
	v_lshl_add_u32 v1, v1, 23, 0x3c000000
	s_delay_alu instid0(VALU_DEP_3) | instskip(NEXT) | instid1(VALU_DEP_1)
	v_and_b32_e32 v2, 0x80000000, v2
	v_or3_b32 v24, v3, v2, v1
	scratch_store_b64 off, v[24:25], s32 offset:408 ; 8-byte Folded Spill
.LBB187_231:                            ;   in Loop: Header=BB187_12 Depth=1
	s_wait_xcnt 0x0
	s_or_b32 exec_lo, exec_lo, s20
.LBB187_232:                            ;   in Loop: Header=BB187_12 Depth=1
	s_delay_alu instid0(SALU_CYCLE_1)
	s_or_b32 exec_lo, exec_lo, s19
.LBB187_233:                            ;   in Loop: Header=BB187_12 Depth=1
	s_delay_alu instid0(SALU_CYCLE_1) | instskip(SKIP_2) | instid1(VALU_DEP_1)
	s_or_b32 exec_lo, exec_lo, s18
	v_lshrrev_b16 v1, 8, v0
	s_mov_b32 s18, exec_lo
	v_cmpx_ne_u16_e32 0, v1
	s_cbranch_execz .LBB187_241
; %bb.234:                              ;   in Loop: Header=BB187_12 Depth=1
	v_mov_b64_e32 v[2:3], 0x8000000000000000
	s_mov_b32 s19, exec_lo
	scratch_store_b64 off, v[2:3], s32 offset:400 ; 8-byte Folded Spill
	s_wait_xcnt 0x0
	v_cmpx_ne_u16_e32 0x80, v1
	s_cbranch_execz .LBB187_240
; %bb.235:                              ;   in Loop: Header=BB187_12 Depth=1
	v_and_b32_e32 v1, 0xffff, v1
	v_mov_b64_e32 v[4:5], 0x7f80000100000000
	s_mov_b32 s20, exec_lo
	s_delay_alu instid0(VALU_DEP_2)
	v_and_b32_e32 v2, 0x7f, v1
	scratch_store_b64 off, v[4:5], s32 offset:400 ; 8-byte Folded Spill
	s_wait_xcnt 0x0
	v_cmpx_ne_u32_e32 0x7f, v2
	s_cbranch_execz .LBB187_239
; %bb.236:                              ;   in Loop: Header=BB187_12 Depth=1
	v_dual_lshrrev_b32 v1, 3, v2 :: v_dual_bitop2_b32 v24, 7, v1 bitop3:0x40
	s_mov_b32 s21, exec_lo
	v_cmpx_gt_u32_e32 8, v2
; %bb.237:                              ;   in Loop: Header=BB187_12 Depth=1
	s_delay_alu instid0(VALU_DEP_2) | instskip(NEXT) | instid1(VALU_DEP_1)
	v_clz_i32_u32_e32 v1, v24
	v_min_u32_e32 v1, 32, v1
	s_delay_alu instid0(VALU_DEP_1) | instskip(NEXT) | instid1(VALU_DEP_1)
	v_subrev_nc_u32_e32 v2, 28, v1
	v_lshlrev_b64_e32 v[2:3], v2, v[24:25]
	s_delay_alu instid0(VALU_DEP_1)
	v_dual_sub_nc_u32 v1, 29, v1 :: v_dual_bitop2_b32 v24, 7, v2 bitop3:0x40
; %bb.238:                              ;   in Loop: Header=BB187_12 Depth=1
	s_or_b32 exec_lo, exec_lo, s21
	v_lshlrev_b32_e32 v0, 16, v0
	s_delay_alu instid0(VALU_DEP_2) | instskip(NEXT) | instid1(VALU_DEP_3)
	v_lshlrev_b32_e32 v2, 20, v24
	v_lshl_add_u32 v1, v1, 23, 0x3c000000
	s_delay_alu instid0(VALU_DEP_3) | instskip(NEXT) | instid1(VALU_DEP_1)
	v_and_b32_e32 v0, 0x80000000, v0
	v_or3_b32 v1, v2, v0, v1
	v_mov_b32_e32 v0, v25
	scratch_store_b64 off, v[0:1], s32 offset:400 ; 8-byte Folded Spill
.LBB187_239:                            ;   in Loop: Header=BB187_12 Depth=1
	s_wait_xcnt 0x0
	s_or_b32 exec_lo, exec_lo, s20
.LBB187_240:                            ;   in Loop: Header=BB187_12 Depth=1
	s_delay_alu instid0(SALU_CYCLE_1)
	s_or_b32 exec_lo, exec_lo, s19
.LBB187_241:                            ;   in Loop: Header=BB187_12 Depth=1
	s_delay_alu instid0(SALU_CYCLE_1)
	s_or_b32 exec_lo, exec_lo, s18
	flat_load_u16 v1, v[76:77] offset:776
	v_mov_b64_e32 v[2:3], 0
	s_mov_b32 s18, exec_lo
	scratch_store_b64 off, v[2:3], s32 offset:416 ; 8-byte Folded Spill
	s_wait_xcnt 0x0
	v_mov_b64_e32 v[2:3], 0
	scratch_store_b64 off, v[2:3], s32 offset:424 ; 8-byte Folded Spill
	s_wait_loadcnt_dscnt 0x0
	v_and_b32_e32 v0, 0xffff, v1
	v_and_b32_e32 v1, 0xff, v1
	s_wait_xcnt 0x0
	s_delay_alu instid0(VALU_DEP_1)
	v_cmpx_ne_u16_e32 0, v1
	s_cbranch_execz .LBB187_249
; %bb.242:                              ;   in Loop: Header=BB187_12 Depth=1
	v_mov_b64_e32 v[2:3], 0x80000000
	v_and_b32_e32 v1, 0xff, v0
	s_mov_b32 s19, exec_lo
	scratch_store_b64 off, v[2:3], s32 offset:424 ; 8-byte Folded Spill
	s_wait_xcnt 0x0
	v_cmpx_ne_u16_e32 0x80, v1
	s_cbranch_execz .LBB187_248
; %bb.243:                              ;   in Loop: Header=BB187_12 Depth=1
	v_mov_b64_e32 v[4:5], 0x7f800001
	v_and_b32_e32 v2, 0x7f, v0
	s_mov_b32 s20, exec_lo
	scratch_store_b64 off, v[4:5], s32 offset:424 ; 8-byte Folded Spill
	s_wait_xcnt 0x0
	v_cmpx_ne_u32_e32 0x7f, v2
	s_cbranch_execz .LBB187_247
; %bb.244:                              ;   in Loop: Header=BB187_12 Depth=1
	v_dual_lshrrev_b32 v1, 3, v2 :: v_dual_bitop2_b32 v24, 7, v0 bitop3:0x40
	s_mov_b32 s21, exec_lo
	v_cmpx_gt_u32_e32 8, v2
; %bb.245:                              ;   in Loop: Header=BB187_12 Depth=1
	s_delay_alu instid0(VALU_DEP_2) | instskip(NEXT) | instid1(VALU_DEP_1)
	v_clz_i32_u32_e32 v1, v24
	v_min_u32_e32 v1, 32, v1
	s_delay_alu instid0(VALU_DEP_1) | instskip(NEXT) | instid1(VALU_DEP_1)
	v_subrev_nc_u32_e32 v2, 28, v1
	v_lshlrev_b64_e32 v[2:3], v2, v[24:25]
	s_delay_alu instid0(VALU_DEP_1)
	v_dual_sub_nc_u32 v1, 29, v1 :: v_dual_bitop2_b32 v24, 7, v2 bitop3:0x40
; %bb.246:                              ;   in Loop: Header=BB187_12 Depth=1
	s_or_b32 exec_lo, exec_lo, s21
	v_lshlrev_b32_e32 v2, 24, v0
	s_delay_alu instid0(VALU_DEP_2) | instskip(NEXT) | instid1(VALU_DEP_3)
	v_lshlrev_b32_e32 v3, 20, v24
	v_lshl_add_u32 v1, v1, 23, 0x3c000000
	s_delay_alu instid0(VALU_DEP_3) | instskip(NEXT) | instid1(VALU_DEP_1)
	v_and_b32_e32 v2, 0x80000000, v2
	v_or3_b32 v24, v3, v2, v1
	scratch_store_b64 off, v[24:25], s32 offset:424 ; 8-byte Folded Spill
.LBB187_247:                            ;   in Loop: Header=BB187_12 Depth=1
	s_wait_xcnt 0x0
	s_or_b32 exec_lo, exec_lo, s20
.LBB187_248:                            ;   in Loop: Header=BB187_12 Depth=1
	s_delay_alu instid0(SALU_CYCLE_1)
	s_or_b32 exec_lo, exec_lo, s19
.LBB187_249:                            ;   in Loop: Header=BB187_12 Depth=1
	s_delay_alu instid0(SALU_CYCLE_1) | instskip(SKIP_2) | instid1(VALU_DEP_1)
	s_or_b32 exec_lo, exec_lo, s18
	v_lshrrev_b16 v1, 8, v0
	s_mov_b32 s18, exec_lo
	v_cmpx_ne_u16_e32 0, v1
	s_cbranch_execz .LBB187_257
; %bb.250:                              ;   in Loop: Header=BB187_12 Depth=1
	v_mov_b64_e32 v[2:3], 0x8000000000000000
	s_mov_b32 s19, exec_lo
	scratch_store_b64 off, v[2:3], s32 offset:416 ; 8-byte Folded Spill
	s_wait_xcnt 0x0
	v_cmpx_ne_u16_e32 0x80, v1
	s_cbranch_execz .LBB187_256
; %bb.251:                              ;   in Loop: Header=BB187_12 Depth=1
	v_and_b32_e32 v1, 0xffff, v1
	v_mov_b64_e32 v[4:5], 0x7f80000100000000
	s_mov_b32 s20, exec_lo
	s_delay_alu instid0(VALU_DEP_2)
	v_and_b32_e32 v2, 0x7f, v1
	scratch_store_b64 off, v[4:5], s32 offset:416 ; 8-byte Folded Spill
	s_wait_xcnt 0x0
	v_cmpx_ne_u32_e32 0x7f, v2
	s_cbranch_execz .LBB187_255
; %bb.252:                              ;   in Loop: Header=BB187_12 Depth=1
	v_dual_lshrrev_b32 v1, 3, v2 :: v_dual_bitop2_b32 v24, 7, v1 bitop3:0x40
	s_mov_b32 s21, exec_lo
	v_cmpx_gt_u32_e32 8, v2
; %bb.253:                              ;   in Loop: Header=BB187_12 Depth=1
	s_delay_alu instid0(VALU_DEP_2) | instskip(NEXT) | instid1(VALU_DEP_1)
	v_clz_i32_u32_e32 v1, v24
	v_min_u32_e32 v1, 32, v1
	s_delay_alu instid0(VALU_DEP_1) | instskip(NEXT) | instid1(VALU_DEP_1)
	v_subrev_nc_u32_e32 v2, 28, v1
	v_lshlrev_b64_e32 v[2:3], v2, v[24:25]
	s_delay_alu instid0(VALU_DEP_1)
	v_dual_sub_nc_u32 v1, 29, v1 :: v_dual_bitop2_b32 v24, 7, v2 bitop3:0x40
; %bb.254:                              ;   in Loop: Header=BB187_12 Depth=1
	s_or_b32 exec_lo, exec_lo, s21
	v_lshlrev_b32_e32 v0, 16, v0
	s_delay_alu instid0(VALU_DEP_2) | instskip(NEXT) | instid1(VALU_DEP_3)
	v_lshlrev_b32_e32 v2, 20, v24
	v_lshl_add_u32 v1, v1, 23, 0x3c000000
	s_delay_alu instid0(VALU_DEP_3) | instskip(NEXT) | instid1(VALU_DEP_1)
	v_and_b32_e32 v0, 0x80000000, v0
	v_or3_b32 v1, v2, v0, v1
	v_mov_b32_e32 v0, v25
	scratch_store_b64 off, v[0:1], s32 offset:416 ; 8-byte Folded Spill
.LBB187_255:                            ;   in Loop: Header=BB187_12 Depth=1
	s_wait_xcnt 0x0
	s_or_b32 exec_lo, exec_lo, s20
.LBB187_256:                            ;   in Loop: Header=BB187_12 Depth=1
	s_delay_alu instid0(SALU_CYCLE_1)
	s_or_b32 exec_lo, exec_lo, s19
.LBB187_257:                            ;   in Loop: Header=BB187_12 Depth=1
	s_delay_alu instid0(SALU_CYCLE_1)
	s_or_b32 exec_lo, exec_lo, s18
	flat_load_u16 v1, v[76:77] offset:780
	v_mov_b64_e32 v[2:3], 0
	s_mov_b32 s18, exec_lo
	scratch_store_b64 off, v[2:3], s32 offset:432 ; 8-byte Folded Spill
	s_wait_xcnt 0x0
	v_mov_b64_e32 v[2:3], 0
	scratch_store_b64 off, v[2:3], s32 offset:440 ; 8-byte Folded Spill
	s_wait_loadcnt_dscnt 0x0
	v_and_b32_e32 v0, 0xffff, v1
	v_and_b32_e32 v1, 0xff, v1
	s_wait_xcnt 0x0
	s_delay_alu instid0(VALU_DEP_1)
	v_cmpx_ne_u16_e32 0, v1
	s_cbranch_execz .LBB187_265
; %bb.258:                              ;   in Loop: Header=BB187_12 Depth=1
	v_mov_b64_e32 v[2:3], 0x80000000
	v_and_b32_e32 v1, 0xff, v0
	s_mov_b32 s19, exec_lo
	scratch_store_b64 off, v[2:3], s32 offset:440 ; 8-byte Folded Spill
	s_wait_xcnt 0x0
	v_cmpx_ne_u16_e32 0x80, v1
	s_cbranch_execz .LBB187_264
; %bb.259:                              ;   in Loop: Header=BB187_12 Depth=1
	v_mov_b64_e32 v[4:5], 0x7f800001
	v_and_b32_e32 v2, 0x7f, v0
	s_mov_b32 s20, exec_lo
	scratch_store_b64 off, v[4:5], s32 offset:440 ; 8-byte Folded Spill
	s_wait_xcnt 0x0
	v_cmpx_ne_u32_e32 0x7f, v2
	s_cbranch_execz .LBB187_263
; %bb.260:                              ;   in Loop: Header=BB187_12 Depth=1
	v_dual_lshrrev_b32 v1, 3, v2 :: v_dual_bitop2_b32 v24, 7, v0 bitop3:0x40
	s_mov_b32 s21, exec_lo
	v_cmpx_gt_u32_e32 8, v2
; %bb.261:                              ;   in Loop: Header=BB187_12 Depth=1
	s_delay_alu instid0(VALU_DEP_2) | instskip(NEXT) | instid1(VALU_DEP_1)
	v_clz_i32_u32_e32 v1, v24
	v_min_u32_e32 v1, 32, v1
	s_delay_alu instid0(VALU_DEP_1) | instskip(NEXT) | instid1(VALU_DEP_1)
	v_subrev_nc_u32_e32 v2, 28, v1
	v_lshlrev_b64_e32 v[2:3], v2, v[24:25]
	s_delay_alu instid0(VALU_DEP_1)
	v_dual_sub_nc_u32 v1, 29, v1 :: v_dual_bitop2_b32 v24, 7, v2 bitop3:0x40
; %bb.262:                              ;   in Loop: Header=BB187_12 Depth=1
	s_or_b32 exec_lo, exec_lo, s21
	v_lshlrev_b32_e32 v2, 24, v0
	s_delay_alu instid0(VALU_DEP_2) | instskip(NEXT) | instid1(VALU_DEP_3)
	v_lshlrev_b32_e32 v3, 20, v24
	v_lshl_add_u32 v1, v1, 23, 0x3c000000
	s_delay_alu instid0(VALU_DEP_3) | instskip(NEXT) | instid1(VALU_DEP_1)
	v_and_b32_e32 v2, 0x80000000, v2
	v_or3_b32 v24, v3, v2, v1
	scratch_store_b64 off, v[24:25], s32 offset:440 ; 8-byte Folded Spill
.LBB187_263:                            ;   in Loop: Header=BB187_12 Depth=1
	s_wait_xcnt 0x0
	s_or_b32 exec_lo, exec_lo, s20
.LBB187_264:                            ;   in Loop: Header=BB187_12 Depth=1
	s_delay_alu instid0(SALU_CYCLE_1)
	s_or_b32 exec_lo, exec_lo, s19
.LBB187_265:                            ;   in Loop: Header=BB187_12 Depth=1
	s_delay_alu instid0(SALU_CYCLE_1) | instskip(SKIP_2) | instid1(VALU_DEP_1)
	s_or_b32 exec_lo, exec_lo, s18
	v_lshrrev_b16 v1, 8, v0
	s_mov_b32 s18, exec_lo
	v_cmpx_ne_u16_e32 0, v1
	s_cbranch_execz .LBB187_273
; %bb.266:                              ;   in Loop: Header=BB187_12 Depth=1
	v_mov_b64_e32 v[2:3], 0x8000000000000000
	s_mov_b32 s19, exec_lo
	scratch_store_b64 off, v[2:3], s32 offset:432 ; 8-byte Folded Spill
	s_wait_xcnt 0x0
	v_cmpx_ne_u16_e32 0x80, v1
	s_cbranch_execz .LBB187_272
; %bb.267:                              ;   in Loop: Header=BB187_12 Depth=1
	v_and_b32_e32 v1, 0xffff, v1
	v_mov_b64_e32 v[4:5], 0x7f80000100000000
	s_mov_b32 s20, exec_lo
	s_delay_alu instid0(VALU_DEP_2)
	v_and_b32_e32 v2, 0x7f, v1
	scratch_store_b64 off, v[4:5], s32 offset:432 ; 8-byte Folded Spill
	s_wait_xcnt 0x0
	v_cmpx_ne_u32_e32 0x7f, v2
	s_cbranch_execz .LBB187_271
; %bb.268:                              ;   in Loop: Header=BB187_12 Depth=1
	v_dual_lshrrev_b32 v1, 3, v2 :: v_dual_bitop2_b32 v24, 7, v1 bitop3:0x40
	s_mov_b32 s21, exec_lo
	v_cmpx_gt_u32_e32 8, v2
; %bb.269:                              ;   in Loop: Header=BB187_12 Depth=1
	s_delay_alu instid0(VALU_DEP_2) | instskip(NEXT) | instid1(VALU_DEP_1)
	v_clz_i32_u32_e32 v1, v24
	v_min_u32_e32 v1, 32, v1
	s_delay_alu instid0(VALU_DEP_1) | instskip(NEXT) | instid1(VALU_DEP_1)
	v_subrev_nc_u32_e32 v2, 28, v1
	v_lshlrev_b64_e32 v[2:3], v2, v[24:25]
	s_delay_alu instid0(VALU_DEP_1)
	v_dual_sub_nc_u32 v1, 29, v1 :: v_dual_bitop2_b32 v24, 7, v2 bitop3:0x40
; %bb.270:                              ;   in Loop: Header=BB187_12 Depth=1
	s_or_b32 exec_lo, exec_lo, s21
	v_lshlrev_b32_e32 v0, 16, v0
	s_delay_alu instid0(VALU_DEP_2) | instskip(NEXT) | instid1(VALU_DEP_3)
	v_lshlrev_b32_e32 v2, 20, v24
	v_lshl_add_u32 v1, v1, 23, 0x3c000000
	s_delay_alu instid0(VALU_DEP_3) | instskip(NEXT) | instid1(VALU_DEP_1)
	v_and_b32_e32 v0, 0x80000000, v0
	v_or3_b32 v1, v2, v0, v1
	v_mov_b32_e32 v0, v25
	scratch_store_b64 off, v[0:1], s32 offset:432 ; 8-byte Folded Spill
.LBB187_271:                            ;   in Loop: Header=BB187_12 Depth=1
	s_wait_xcnt 0x0
	s_or_b32 exec_lo, exec_lo, s20
.LBB187_272:                            ;   in Loop: Header=BB187_12 Depth=1
	s_delay_alu instid0(SALU_CYCLE_1)
	s_or_b32 exec_lo, exec_lo, s19
.LBB187_273:                            ;   in Loop: Header=BB187_12 Depth=1
	s_delay_alu instid0(SALU_CYCLE_1)
	s_or_b32 exec_lo, exec_lo, s18
	flat_load_u16 v1, v[76:77] offset:1024
	v_mov_b64_e32 v[2:3], 0
	s_mov_b32 s18, exec_lo
	scratch_store_b64 off, v[2:3], s32 offset:448 ; 8-byte Folded Spill
	s_wait_xcnt 0x0
	v_mov_b64_e32 v[2:3], 0
	scratch_store_b64 off, v[2:3], s32 offset:456 ; 8-byte Folded Spill
	s_wait_loadcnt_dscnt 0x0
	v_and_b32_e32 v0, 0xffff, v1
	v_and_b32_e32 v1, 0xff, v1
	s_wait_xcnt 0x0
	s_delay_alu instid0(VALU_DEP_1)
	v_cmpx_ne_u16_e32 0, v1
	s_cbranch_execz .LBB187_281
; %bb.274:                              ;   in Loop: Header=BB187_12 Depth=1
	v_mov_b64_e32 v[2:3], 0x80000000
	v_and_b32_e32 v1, 0xff, v0
	s_mov_b32 s19, exec_lo
	scratch_store_b64 off, v[2:3], s32 offset:456 ; 8-byte Folded Spill
	s_wait_xcnt 0x0
	v_cmpx_ne_u16_e32 0x80, v1
	s_cbranch_execz .LBB187_280
; %bb.275:                              ;   in Loop: Header=BB187_12 Depth=1
	v_mov_b64_e32 v[4:5], 0x7f800001
	v_and_b32_e32 v2, 0x7f, v0
	s_mov_b32 s20, exec_lo
	scratch_store_b64 off, v[4:5], s32 offset:456 ; 8-byte Folded Spill
	s_wait_xcnt 0x0
	v_cmpx_ne_u32_e32 0x7f, v2
	s_cbranch_execz .LBB187_279
; %bb.276:                              ;   in Loop: Header=BB187_12 Depth=1
	v_dual_lshrrev_b32 v1, 3, v2 :: v_dual_bitop2_b32 v24, 7, v0 bitop3:0x40
	s_mov_b32 s21, exec_lo
	v_cmpx_gt_u32_e32 8, v2
; %bb.277:                              ;   in Loop: Header=BB187_12 Depth=1
	s_delay_alu instid0(VALU_DEP_2) | instskip(NEXT) | instid1(VALU_DEP_1)
	v_clz_i32_u32_e32 v1, v24
	v_min_u32_e32 v1, 32, v1
	s_delay_alu instid0(VALU_DEP_1) | instskip(NEXT) | instid1(VALU_DEP_1)
	v_subrev_nc_u32_e32 v2, 28, v1
	v_lshlrev_b64_e32 v[2:3], v2, v[24:25]
	s_delay_alu instid0(VALU_DEP_1)
	v_dual_sub_nc_u32 v1, 29, v1 :: v_dual_bitop2_b32 v24, 7, v2 bitop3:0x40
; %bb.278:                              ;   in Loop: Header=BB187_12 Depth=1
	s_or_b32 exec_lo, exec_lo, s21
	v_lshlrev_b32_e32 v2, 24, v0
	s_delay_alu instid0(VALU_DEP_2) | instskip(NEXT) | instid1(VALU_DEP_3)
	v_lshlrev_b32_e32 v3, 20, v24
	v_lshl_add_u32 v1, v1, 23, 0x3c000000
	s_delay_alu instid0(VALU_DEP_3) | instskip(NEXT) | instid1(VALU_DEP_1)
	v_and_b32_e32 v2, 0x80000000, v2
	v_or3_b32 v24, v3, v2, v1
	scratch_store_b64 off, v[24:25], s32 offset:456 ; 8-byte Folded Spill
.LBB187_279:                            ;   in Loop: Header=BB187_12 Depth=1
	s_wait_xcnt 0x0
	s_or_b32 exec_lo, exec_lo, s20
.LBB187_280:                            ;   in Loop: Header=BB187_12 Depth=1
	s_delay_alu instid0(SALU_CYCLE_1)
	s_or_b32 exec_lo, exec_lo, s19
.LBB187_281:                            ;   in Loop: Header=BB187_12 Depth=1
	s_delay_alu instid0(SALU_CYCLE_1) | instskip(SKIP_2) | instid1(VALU_DEP_1)
	s_or_b32 exec_lo, exec_lo, s18
	v_lshrrev_b16 v1, 8, v0
	s_mov_b32 s18, exec_lo
	v_cmpx_ne_u16_e32 0, v1
	s_cbranch_execz .LBB187_289
; %bb.282:                              ;   in Loop: Header=BB187_12 Depth=1
	v_mov_b64_e32 v[2:3], 0x8000000000000000
	s_mov_b32 s19, exec_lo
	scratch_store_b64 off, v[2:3], s32 offset:448 ; 8-byte Folded Spill
	s_wait_xcnt 0x0
	v_cmpx_ne_u16_e32 0x80, v1
	s_cbranch_execz .LBB187_288
; %bb.283:                              ;   in Loop: Header=BB187_12 Depth=1
	v_and_b32_e32 v1, 0xffff, v1
	v_mov_b64_e32 v[4:5], 0x7f80000100000000
	s_mov_b32 s20, exec_lo
	s_delay_alu instid0(VALU_DEP_2)
	v_and_b32_e32 v2, 0x7f, v1
	scratch_store_b64 off, v[4:5], s32 offset:448 ; 8-byte Folded Spill
	s_wait_xcnt 0x0
	v_cmpx_ne_u32_e32 0x7f, v2
	s_cbranch_execz .LBB187_287
; %bb.284:                              ;   in Loop: Header=BB187_12 Depth=1
	v_dual_lshrrev_b32 v1, 3, v2 :: v_dual_bitop2_b32 v24, 7, v1 bitop3:0x40
	s_mov_b32 s21, exec_lo
	v_cmpx_gt_u32_e32 8, v2
; %bb.285:                              ;   in Loop: Header=BB187_12 Depth=1
	s_delay_alu instid0(VALU_DEP_2) | instskip(NEXT) | instid1(VALU_DEP_1)
	v_clz_i32_u32_e32 v1, v24
	v_min_u32_e32 v1, 32, v1
	s_delay_alu instid0(VALU_DEP_1) | instskip(NEXT) | instid1(VALU_DEP_1)
	v_subrev_nc_u32_e32 v2, 28, v1
	v_lshlrev_b64_e32 v[2:3], v2, v[24:25]
	s_delay_alu instid0(VALU_DEP_1)
	v_dual_sub_nc_u32 v1, 29, v1 :: v_dual_bitop2_b32 v24, 7, v2 bitop3:0x40
; %bb.286:                              ;   in Loop: Header=BB187_12 Depth=1
	s_or_b32 exec_lo, exec_lo, s21
	v_lshlrev_b32_e32 v0, 16, v0
	s_delay_alu instid0(VALU_DEP_2) | instskip(NEXT) | instid1(VALU_DEP_3)
	v_lshlrev_b32_e32 v2, 20, v24
	v_lshl_add_u32 v1, v1, 23, 0x3c000000
	s_delay_alu instid0(VALU_DEP_3) | instskip(NEXT) | instid1(VALU_DEP_1)
	v_and_b32_e32 v0, 0x80000000, v0
	v_or3_b32 v1, v2, v0, v1
	v_mov_b32_e32 v0, v25
	scratch_store_b64 off, v[0:1], s32 offset:448 ; 8-byte Folded Spill
.LBB187_287:                            ;   in Loop: Header=BB187_12 Depth=1
	s_wait_xcnt 0x0
	s_or_b32 exec_lo, exec_lo, s20
.LBB187_288:                            ;   in Loop: Header=BB187_12 Depth=1
	s_delay_alu instid0(SALU_CYCLE_1)
	s_or_b32 exec_lo, exec_lo, s19
.LBB187_289:                            ;   in Loop: Header=BB187_12 Depth=1
	s_delay_alu instid0(SALU_CYCLE_1)
	s_or_b32 exec_lo, exec_lo, s18
	flat_load_u16 v1, v[76:77] offset:1028
	v_mov_b64_e32 v[2:3], 0
	s_mov_b32 s18, exec_lo
	scratch_store_b64 off, v[2:3], s32 offset:464 ; 8-byte Folded Spill
	s_wait_xcnt 0x0
	v_mov_b64_e32 v[2:3], 0
	scratch_store_b64 off, v[2:3], s32 offset:472 ; 8-byte Folded Spill
	s_wait_loadcnt_dscnt 0x0
	v_and_b32_e32 v0, 0xffff, v1
	v_and_b32_e32 v1, 0xff, v1
	s_wait_xcnt 0x0
	s_delay_alu instid0(VALU_DEP_1)
	v_cmpx_ne_u16_e32 0, v1
	s_cbranch_execz .LBB187_297
; %bb.290:                              ;   in Loop: Header=BB187_12 Depth=1
	v_mov_b64_e32 v[2:3], 0x80000000
	v_and_b32_e32 v1, 0xff, v0
	s_mov_b32 s19, exec_lo
	scratch_store_b64 off, v[2:3], s32 offset:472 ; 8-byte Folded Spill
	s_wait_xcnt 0x0
	v_cmpx_ne_u16_e32 0x80, v1
	s_cbranch_execz .LBB187_296
; %bb.291:                              ;   in Loop: Header=BB187_12 Depth=1
	v_mov_b64_e32 v[4:5], 0x7f800001
	v_and_b32_e32 v2, 0x7f, v0
	s_mov_b32 s20, exec_lo
	scratch_store_b64 off, v[4:5], s32 offset:472 ; 8-byte Folded Spill
	s_wait_xcnt 0x0
	v_cmpx_ne_u32_e32 0x7f, v2
	s_cbranch_execz .LBB187_295
; %bb.292:                              ;   in Loop: Header=BB187_12 Depth=1
	v_dual_lshrrev_b32 v1, 3, v2 :: v_dual_bitop2_b32 v24, 7, v0 bitop3:0x40
	s_mov_b32 s21, exec_lo
	v_cmpx_gt_u32_e32 8, v2
; %bb.293:                              ;   in Loop: Header=BB187_12 Depth=1
	s_delay_alu instid0(VALU_DEP_2) | instskip(NEXT) | instid1(VALU_DEP_1)
	v_clz_i32_u32_e32 v1, v24
	v_min_u32_e32 v1, 32, v1
	s_delay_alu instid0(VALU_DEP_1) | instskip(NEXT) | instid1(VALU_DEP_1)
	v_subrev_nc_u32_e32 v2, 28, v1
	v_lshlrev_b64_e32 v[2:3], v2, v[24:25]
	s_delay_alu instid0(VALU_DEP_1)
	v_dual_sub_nc_u32 v1, 29, v1 :: v_dual_bitop2_b32 v24, 7, v2 bitop3:0x40
; %bb.294:                              ;   in Loop: Header=BB187_12 Depth=1
	s_or_b32 exec_lo, exec_lo, s21
	v_lshlrev_b32_e32 v2, 24, v0
	s_delay_alu instid0(VALU_DEP_2) | instskip(NEXT) | instid1(VALU_DEP_3)
	v_lshlrev_b32_e32 v3, 20, v24
	v_lshl_add_u32 v1, v1, 23, 0x3c000000
	s_delay_alu instid0(VALU_DEP_3) | instskip(NEXT) | instid1(VALU_DEP_1)
	v_and_b32_e32 v2, 0x80000000, v2
	v_or3_b32 v24, v3, v2, v1
	scratch_store_b64 off, v[24:25], s32 offset:472 ; 8-byte Folded Spill
.LBB187_295:                            ;   in Loop: Header=BB187_12 Depth=1
	s_wait_xcnt 0x0
	s_or_b32 exec_lo, exec_lo, s20
.LBB187_296:                            ;   in Loop: Header=BB187_12 Depth=1
	s_delay_alu instid0(SALU_CYCLE_1)
	s_or_b32 exec_lo, exec_lo, s19
.LBB187_297:                            ;   in Loop: Header=BB187_12 Depth=1
	s_delay_alu instid0(SALU_CYCLE_1) | instskip(SKIP_2) | instid1(VALU_DEP_1)
	s_or_b32 exec_lo, exec_lo, s18
	v_lshrrev_b16 v1, 8, v0
	s_mov_b32 s18, exec_lo
	v_cmpx_ne_u16_e32 0, v1
	s_cbranch_execz .LBB187_305
; %bb.298:                              ;   in Loop: Header=BB187_12 Depth=1
	v_mov_b64_e32 v[2:3], 0x8000000000000000
	s_mov_b32 s19, exec_lo
	scratch_store_b64 off, v[2:3], s32 offset:464 ; 8-byte Folded Spill
	s_wait_xcnt 0x0
	v_cmpx_ne_u16_e32 0x80, v1
	s_cbranch_execz .LBB187_304
; %bb.299:                              ;   in Loop: Header=BB187_12 Depth=1
	v_and_b32_e32 v1, 0xffff, v1
	v_mov_b64_e32 v[4:5], 0x7f80000100000000
	s_mov_b32 s20, exec_lo
	s_delay_alu instid0(VALU_DEP_2)
	v_and_b32_e32 v2, 0x7f, v1
	scratch_store_b64 off, v[4:5], s32 offset:464 ; 8-byte Folded Spill
	s_wait_xcnt 0x0
	v_cmpx_ne_u32_e32 0x7f, v2
	s_cbranch_execz .LBB187_303
; %bb.300:                              ;   in Loop: Header=BB187_12 Depth=1
	v_dual_lshrrev_b32 v1, 3, v2 :: v_dual_bitop2_b32 v24, 7, v1 bitop3:0x40
	s_mov_b32 s21, exec_lo
	v_cmpx_gt_u32_e32 8, v2
; %bb.301:                              ;   in Loop: Header=BB187_12 Depth=1
	s_delay_alu instid0(VALU_DEP_2) | instskip(NEXT) | instid1(VALU_DEP_1)
	v_clz_i32_u32_e32 v1, v24
	v_min_u32_e32 v1, 32, v1
	s_delay_alu instid0(VALU_DEP_1) | instskip(NEXT) | instid1(VALU_DEP_1)
	v_subrev_nc_u32_e32 v2, 28, v1
	v_lshlrev_b64_e32 v[2:3], v2, v[24:25]
	s_delay_alu instid0(VALU_DEP_1)
	v_dual_sub_nc_u32 v1, 29, v1 :: v_dual_bitop2_b32 v24, 7, v2 bitop3:0x40
; %bb.302:                              ;   in Loop: Header=BB187_12 Depth=1
	s_or_b32 exec_lo, exec_lo, s21
	v_lshlrev_b32_e32 v0, 16, v0
	s_delay_alu instid0(VALU_DEP_2) | instskip(NEXT) | instid1(VALU_DEP_3)
	v_lshlrev_b32_e32 v2, 20, v24
	v_lshl_add_u32 v1, v1, 23, 0x3c000000
	s_delay_alu instid0(VALU_DEP_3) | instskip(NEXT) | instid1(VALU_DEP_1)
	v_and_b32_e32 v0, 0x80000000, v0
	v_or3_b32 v1, v2, v0, v1
	v_mov_b32_e32 v0, v25
	scratch_store_b64 off, v[0:1], s32 offset:464 ; 8-byte Folded Spill
.LBB187_303:                            ;   in Loop: Header=BB187_12 Depth=1
	s_wait_xcnt 0x0
	s_or_b32 exec_lo, exec_lo, s20
.LBB187_304:                            ;   in Loop: Header=BB187_12 Depth=1
	s_delay_alu instid0(SALU_CYCLE_1)
	s_or_b32 exec_lo, exec_lo, s19
.LBB187_305:                            ;   in Loop: Header=BB187_12 Depth=1
	s_delay_alu instid0(SALU_CYCLE_1)
	s_or_b32 exec_lo, exec_lo, s18
	flat_load_u16 v1, v[76:77] offset:1032
	v_mov_b64_e32 v[2:3], 0
	s_mov_b32 s18, exec_lo
	scratch_store_b64 off, v[2:3], s32 offset:480 ; 8-byte Folded Spill
	s_wait_xcnt 0x0
	v_mov_b64_e32 v[2:3], 0
	scratch_store_b64 off, v[2:3], s32 offset:488 ; 8-byte Folded Spill
	s_wait_loadcnt_dscnt 0x0
	v_and_b32_e32 v0, 0xffff, v1
	v_and_b32_e32 v1, 0xff, v1
	s_wait_xcnt 0x0
	s_delay_alu instid0(VALU_DEP_1)
	v_cmpx_ne_u16_e32 0, v1
	s_cbranch_execz .LBB187_313
; %bb.306:                              ;   in Loop: Header=BB187_12 Depth=1
	v_mov_b64_e32 v[2:3], 0x80000000
	v_and_b32_e32 v1, 0xff, v0
	s_mov_b32 s19, exec_lo
	scratch_store_b64 off, v[2:3], s32 offset:488 ; 8-byte Folded Spill
	s_wait_xcnt 0x0
	v_cmpx_ne_u16_e32 0x80, v1
	s_cbranch_execz .LBB187_312
; %bb.307:                              ;   in Loop: Header=BB187_12 Depth=1
	v_mov_b64_e32 v[4:5], 0x7f800001
	v_and_b32_e32 v2, 0x7f, v0
	s_mov_b32 s20, exec_lo
	scratch_store_b64 off, v[4:5], s32 offset:488 ; 8-byte Folded Spill
	s_wait_xcnt 0x0
	v_cmpx_ne_u32_e32 0x7f, v2
	s_cbranch_execz .LBB187_311
; %bb.308:                              ;   in Loop: Header=BB187_12 Depth=1
	v_dual_lshrrev_b32 v1, 3, v2 :: v_dual_bitop2_b32 v24, 7, v0 bitop3:0x40
	s_mov_b32 s21, exec_lo
	v_cmpx_gt_u32_e32 8, v2
; %bb.309:                              ;   in Loop: Header=BB187_12 Depth=1
	s_delay_alu instid0(VALU_DEP_2) | instskip(NEXT) | instid1(VALU_DEP_1)
	v_clz_i32_u32_e32 v1, v24
	v_min_u32_e32 v1, 32, v1
	s_delay_alu instid0(VALU_DEP_1) | instskip(NEXT) | instid1(VALU_DEP_1)
	v_subrev_nc_u32_e32 v2, 28, v1
	v_lshlrev_b64_e32 v[2:3], v2, v[24:25]
	s_delay_alu instid0(VALU_DEP_1)
	v_dual_sub_nc_u32 v1, 29, v1 :: v_dual_bitop2_b32 v24, 7, v2 bitop3:0x40
; %bb.310:                              ;   in Loop: Header=BB187_12 Depth=1
	s_or_b32 exec_lo, exec_lo, s21
	v_lshlrev_b32_e32 v2, 24, v0
	s_delay_alu instid0(VALU_DEP_2) | instskip(NEXT) | instid1(VALU_DEP_3)
	v_lshlrev_b32_e32 v3, 20, v24
	v_lshl_add_u32 v1, v1, 23, 0x3c000000
	s_delay_alu instid0(VALU_DEP_3) | instskip(NEXT) | instid1(VALU_DEP_1)
	v_and_b32_e32 v2, 0x80000000, v2
	v_or3_b32 v24, v3, v2, v1
	scratch_store_b64 off, v[24:25], s32 offset:488 ; 8-byte Folded Spill
.LBB187_311:                            ;   in Loop: Header=BB187_12 Depth=1
	s_wait_xcnt 0x0
	s_or_b32 exec_lo, exec_lo, s20
.LBB187_312:                            ;   in Loop: Header=BB187_12 Depth=1
	s_delay_alu instid0(SALU_CYCLE_1)
	s_or_b32 exec_lo, exec_lo, s19
.LBB187_313:                            ;   in Loop: Header=BB187_12 Depth=1
	s_delay_alu instid0(SALU_CYCLE_1) | instskip(SKIP_2) | instid1(VALU_DEP_1)
	s_or_b32 exec_lo, exec_lo, s18
	v_lshrrev_b16 v1, 8, v0
	s_mov_b32 s18, exec_lo
	v_cmpx_ne_u16_e32 0, v1
	s_cbranch_execz .LBB187_321
; %bb.314:                              ;   in Loop: Header=BB187_12 Depth=1
	v_mov_b64_e32 v[2:3], 0x8000000000000000
	s_mov_b32 s19, exec_lo
	scratch_store_b64 off, v[2:3], s32 offset:480 ; 8-byte Folded Spill
	s_wait_xcnt 0x0
	v_cmpx_ne_u16_e32 0x80, v1
	s_cbranch_execz .LBB187_320
; %bb.315:                              ;   in Loop: Header=BB187_12 Depth=1
	v_and_b32_e32 v1, 0xffff, v1
	v_mov_b64_e32 v[4:5], 0x7f80000100000000
	s_mov_b32 s20, exec_lo
	s_delay_alu instid0(VALU_DEP_2)
	v_and_b32_e32 v2, 0x7f, v1
	scratch_store_b64 off, v[4:5], s32 offset:480 ; 8-byte Folded Spill
	s_wait_xcnt 0x0
	v_cmpx_ne_u32_e32 0x7f, v2
	s_cbranch_execz .LBB187_319
; %bb.316:                              ;   in Loop: Header=BB187_12 Depth=1
	v_dual_lshrrev_b32 v1, 3, v2 :: v_dual_bitop2_b32 v24, 7, v1 bitop3:0x40
	s_mov_b32 s21, exec_lo
	v_cmpx_gt_u32_e32 8, v2
; %bb.317:                              ;   in Loop: Header=BB187_12 Depth=1
	s_delay_alu instid0(VALU_DEP_2) | instskip(NEXT) | instid1(VALU_DEP_1)
	v_clz_i32_u32_e32 v1, v24
	v_min_u32_e32 v1, 32, v1
	s_delay_alu instid0(VALU_DEP_1) | instskip(NEXT) | instid1(VALU_DEP_1)
	v_subrev_nc_u32_e32 v2, 28, v1
	v_lshlrev_b64_e32 v[2:3], v2, v[24:25]
	s_delay_alu instid0(VALU_DEP_1)
	v_dual_sub_nc_u32 v1, 29, v1 :: v_dual_bitop2_b32 v24, 7, v2 bitop3:0x40
; %bb.318:                              ;   in Loop: Header=BB187_12 Depth=1
	s_or_b32 exec_lo, exec_lo, s21
	v_lshlrev_b32_e32 v0, 16, v0
	s_delay_alu instid0(VALU_DEP_2) | instskip(NEXT) | instid1(VALU_DEP_3)
	v_lshlrev_b32_e32 v2, 20, v24
	v_lshl_add_u32 v1, v1, 23, 0x3c000000
	s_delay_alu instid0(VALU_DEP_3) | instskip(NEXT) | instid1(VALU_DEP_1)
	v_and_b32_e32 v0, 0x80000000, v0
	v_or3_b32 v1, v2, v0, v1
	v_mov_b32_e32 v0, v25
	scratch_store_b64 off, v[0:1], s32 offset:480 ; 8-byte Folded Spill
.LBB187_319:                            ;   in Loop: Header=BB187_12 Depth=1
	s_wait_xcnt 0x0
	s_or_b32 exec_lo, exec_lo, s20
.LBB187_320:                            ;   in Loop: Header=BB187_12 Depth=1
	s_delay_alu instid0(SALU_CYCLE_1)
	s_or_b32 exec_lo, exec_lo, s19
.LBB187_321:                            ;   in Loop: Header=BB187_12 Depth=1
	s_delay_alu instid0(SALU_CYCLE_1)
	s_or_b32 exec_lo, exec_lo, s18
	flat_load_u16 v1, v[76:77] offset:1036
	v_mov_b64_e32 v[2:3], 0
	s_mov_b32 s18, exec_lo
	scratch_store_b64 off, v[2:3], s32 offset:496 ; 8-byte Folded Spill
	s_wait_xcnt 0x0
	v_mov_b64_e32 v[2:3], 0
	scratch_store_b64 off, v[2:3], s32 offset:504 ; 8-byte Folded Spill
	s_wait_loadcnt_dscnt 0x0
	v_and_b32_e32 v0, 0xffff, v1
	v_and_b32_e32 v1, 0xff, v1
	s_wait_xcnt 0x0
	s_delay_alu instid0(VALU_DEP_1)
	v_cmpx_ne_u16_e32 0, v1
	s_cbranch_execz .LBB187_329
; %bb.322:                              ;   in Loop: Header=BB187_12 Depth=1
	v_mov_b64_e32 v[2:3], 0x80000000
	v_and_b32_e32 v1, 0xff, v0
	s_mov_b32 s19, exec_lo
	scratch_store_b64 off, v[2:3], s32 offset:504 ; 8-byte Folded Spill
	s_wait_xcnt 0x0
	v_cmpx_ne_u16_e32 0x80, v1
	s_cbranch_execz .LBB187_328
; %bb.323:                              ;   in Loop: Header=BB187_12 Depth=1
	v_mov_b64_e32 v[4:5], 0x7f800001
	v_and_b32_e32 v2, 0x7f, v0
	s_mov_b32 s20, exec_lo
	scratch_store_b64 off, v[4:5], s32 offset:504 ; 8-byte Folded Spill
	s_wait_xcnt 0x0
	v_cmpx_ne_u32_e32 0x7f, v2
	s_cbranch_execz .LBB187_327
; %bb.324:                              ;   in Loop: Header=BB187_12 Depth=1
	v_dual_lshrrev_b32 v1, 3, v2 :: v_dual_bitop2_b32 v24, 7, v0 bitop3:0x40
	s_mov_b32 s21, exec_lo
	v_cmpx_gt_u32_e32 8, v2
; %bb.325:                              ;   in Loop: Header=BB187_12 Depth=1
	s_delay_alu instid0(VALU_DEP_2) | instskip(NEXT) | instid1(VALU_DEP_1)
	v_clz_i32_u32_e32 v1, v24
	v_min_u32_e32 v1, 32, v1
	s_delay_alu instid0(VALU_DEP_1) | instskip(NEXT) | instid1(VALU_DEP_1)
	v_subrev_nc_u32_e32 v2, 28, v1
	v_lshlrev_b64_e32 v[2:3], v2, v[24:25]
	s_delay_alu instid0(VALU_DEP_1)
	v_dual_sub_nc_u32 v1, 29, v1 :: v_dual_bitop2_b32 v24, 7, v2 bitop3:0x40
; %bb.326:                              ;   in Loop: Header=BB187_12 Depth=1
	s_or_b32 exec_lo, exec_lo, s21
	v_lshlrev_b32_e32 v2, 24, v0
	s_delay_alu instid0(VALU_DEP_2) | instskip(NEXT) | instid1(VALU_DEP_3)
	v_lshlrev_b32_e32 v3, 20, v24
	v_lshl_add_u32 v1, v1, 23, 0x3c000000
	s_delay_alu instid0(VALU_DEP_3) | instskip(NEXT) | instid1(VALU_DEP_1)
	v_and_b32_e32 v2, 0x80000000, v2
	v_or3_b32 v24, v3, v2, v1
	scratch_store_b64 off, v[24:25], s32 offset:504 ; 8-byte Folded Spill
.LBB187_327:                            ;   in Loop: Header=BB187_12 Depth=1
	s_wait_xcnt 0x0
	s_or_b32 exec_lo, exec_lo, s20
.LBB187_328:                            ;   in Loop: Header=BB187_12 Depth=1
	s_delay_alu instid0(SALU_CYCLE_1)
	s_or_b32 exec_lo, exec_lo, s19
.LBB187_329:                            ;   in Loop: Header=BB187_12 Depth=1
	s_delay_alu instid0(SALU_CYCLE_1) | instskip(SKIP_2) | instid1(VALU_DEP_1)
	s_or_b32 exec_lo, exec_lo, s18
	v_lshrrev_b16 v1, 8, v0
	s_mov_b32 s18, exec_lo
	v_cmpx_ne_u16_e32 0, v1
	s_cbranch_execz .LBB187_337
; %bb.330:                              ;   in Loop: Header=BB187_12 Depth=1
	v_mov_b64_e32 v[2:3], 0x8000000000000000
	s_mov_b32 s19, exec_lo
	scratch_store_b64 off, v[2:3], s32 offset:496 ; 8-byte Folded Spill
	s_wait_xcnt 0x0
	v_cmpx_ne_u16_e32 0x80, v1
	s_cbranch_execz .LBB187_336
; %bb.331:                              ;   in Loop: Header=BB187_12 Depth=1
	v_and_b32_e32 v1, 0xffff, v1
	v_mov_b64_e32 v[4:5], 0x7f80000100000000
	s_mov_b32 s20, exec_lo
	s_delay_alu instid0(VALU_DEP_2)
	v_and_b32_e32 v2, 0x7f, v1
	scratch_store_b64 off, v[4:5], s32 offset:496 ; 8-byte Folded Spill
	s_wait_xcnt 0x0
	v_cmpx_ne_u32_e32 0x7f, v2
	s_cbranch_execz .LBB187_335
; %bb.332:                              ;   in Loop: Header=BB187_12 Depth=1
	v_dual_lshrrev_b32 v1, 3, v2 :: v_dual_bitop2_b32 v24, 7, v1 bitop3:0x40
	s_mov_b32 s21, exec_lo
	v_cmpx_gt_u32_e32 8, v2
; %bb.333:                              ;   in Loop: Header=BB187_12 Depth=1
	s_delay_alu instid0(VALU_DEP_2) | instskip(NEXT) | instid1(VALU_DEP_1)
	v_clz_i32_u32_e32 v1, v24
	v_min_u32_e32 v1, 32, v1
	s_delay_alu instid0(VALU_DEP_1) | instskip(NEXT) | instid1(VALU_DEP_1)
	v_subrev_nc_u32_e32 v2, 28, v1
	v_lshlrev_b64_e32 v[2:3], v2, v[24:25]
	s_delay_alu instid0(VALU_DEP_1)
	v_dual_sub_nc_u32 v1, 29, v1 :: v_dual_bitop2_b32 v24, 7, v2 bitop3:0x40
; %bb.334:                              ;   in Loop: Header=BB187_12 Depth=1
	s_or_b32 exec_lo, exec_lo, s21
	v_lshlrev_b32_e32 v0, 16, v0
	s_delay_alu instid0(VALU_DEP_2) | instskip(NEXT) | instid1(VALU_DEP_3)
	v_lshlrev_b32_e32 v2, 20, v24
	v_lshl_add_u32 v1, v1, 23, 0x3c000000
	s_delay_alu instid0(VALU_DEP_3) | instskip(NEXT) | instid1(VALU_DEP_1)
	v_and_b32_e32 v0, 0x80000000, v0
	v_or3_b32 v1, v2, v0, v1
	v_mov_b32_e32 v0, v25
	scratch_store_b64 off, v[0:1], s32 offset:496 ; 8-byte Folded Spill
.LBB187_335:                            ;   in Loop: Header=BB187_12 Depth=1
	s_wait_xcnt 0x0
	s_or_b32 exec_lo, exec_lo, s20
.LBB187_336:                            ;   in Loop: Header=BB187_12 Depth=1
	s_delay_alu instid0(SALU_CYCLE_1)
	s_or_b32 exec_lo, exec_lo, s19
.LBB187_337:                            ;   in Loop: Header=BB187_12 Depth=1
	s_delay_alu instid0(SALU_CYCLE_1)
	s_or_b32 exec_lo, exec_lo, s18
	flat_load_u16 v1, v[76:77] offset:1280
	v_mov_b64_e32 v[72:73], 0
	v_mov_b64_e32 v[2:3], 0
	s_mov_b32 s18, exec_lo
	scratch_store_b64 off, v[2:3], s32 offset:512 ; 8-byte Folded Spill
	s_wait_loadcnt_dscnt 0x0
	v_and_b32_e32 v0, 0xffff, v1
	v_and_b32_e32 v1, 0xff, v1
	s_wait_xcnt 0x0
	s_delay_alu instid0(VALU_DEP_1)
	v_cmpx_ne_u16_e32 0, v1
	s_cbranch_execz .LBB187_345
; %bb.338:                              ;   in Loop: Header=BB187_12 Depth=1
	v_mov_b64_e32 v[2:3], 0x80000000
	v_and_b32_e32 v1, 0xff, v0
	s_mov_b32 s19, exec_lo
	scratch_store_b64 off, v[2:3], s32 offset:512 ; 8-byte Folded Spill
	s_wait_xcnt 0x0
	v_cmpx_ne_u16_e32 0x80, v1
	s_cbranch_execz .LBB187_344
; %bb.339:                              ;   in Loop: Header=BB187_12 Depth=1
	v_mov_b64_e32 v[4:5], 0x7f800001
	v_and_b32_e32 v2, 0x7f, v0
	s_mov_b32 s20, exec_lo
	scratch_store_b64 off, v[4:5], s32 offset:512 ; 8-byte Folded Spill
	s_wait_xcnt 0x0
	v_cmpx_ne_u32_e32 0x7f, v2
	s_cbranch_execz .LBB187_343
; %bb.340:                              ;   in Loop: Header=BB187_12 Depth=1
	v_dual_lshrrev_b32 v1, 3, v2 :: v_dual_bitop2_b32 v24, 7, v0 bitop3:0x40
	s_mov_b32 s21, exec_lo
	v_cmpx_gt_u32_e32 8, v2
; %bb.341:                              ;   in Loop: Header=BB187_12 Depth=1
	s_delay_alu instid0(VALU_DEP_2) | instskip(NEXT) | instid1(VALU_DEP_1)
	v_clz_i32_u32_e32 v1, v24
	v_min_u32_e32 v1, 32, v1
	s_delay_alu instid0(VALU_DEP_1) | instskip(NEXT) | instid1(VALU_DEP_1)
	v_subrev_nc_u32_e32 v2, 28, v1
	v_lshlrev_b64_e32 v[2:3], v2, v[24:25]
	s_delay_alu instid0(VALU_DEP_1)
	v_dual_sub_nc_u32 v1, 29, v1 :: v_dual_bitop2_b32 v24, 7, v2 bitop3:0x40
; %bb.342:                              ;   in Loop: Header=BB187_12 Depth=1
	s_or_b32 exec_lo, exec_lo, s21
	v_lshlrev_b32_e32 v2, 24, v0
	s_delay_alu instid0(VALU_DEP_2) | instskip(NEXT) | instid1(VALU_DEP_3)
	v_lshlrev_b32_e32 v3, 20, v24
	v_lshl_add_u32 v1, v1, 23, 0x3c000000
	s_delay_alu instid0(VALU_DEP_3) | instskip(NEXT) | instid1(VALU_DEP_1)
	v_and_b32_e32 v2, 0x80000000, v2
	v_or3_b32 v24, v3, v2, v1
	scratch_store_b64 off, v[24:25], s32 offset:512 ; 8-byte Folded Spill
.LBB187_343:                            ;   in Loop: Header=BB187_12 Depth=1
	s_wait_xcnt 0x0
	s_or_b32 exec_lo, exec_lo, s20
.LBB187_344:                            ;   in Loop: Header=BB187_12 Depth=1
	s_delay_alu instid0(SALU_CYCLE_1)
	s_or_b32 exec_lo, exec_lo, s19
.LBB187_345:                            ;   in Loop: Header=BB187_12 Depth=1
	s_delay_alu instid0(SALU_CYCLE_1) | instskip(SKIP_2) | instid1(VALU_DEP_1)
	s_or_b32 exec_lo, exec_lo, s18
	v_lshrrev_b16 v1, 8, v0
	s_mov_b32 s18, exec_lo
	v_cmpx_ne_u16_e32 0, v1
	s_cbranch_execz .LBB187_353
; %bb.346:                              ;   in Loop: Header=BB187_12 Depth=1
	v_mov_b64_e32 v[72:73], 0x8000000000000000
	s_mov_b32 s19, exec_lo
	v_cmpx_ne_u16_e32 0x80, v1
	s_cbranch_execz .LBB187_352
; %bb.347:                              ;   in Loop: Header=BB187_12 Depth=1
	v_and_b32_e32 v1, 0xffff, v1
	v_mov_b64_e32 v[72:73], 0x7f80000100000000
	s_mov_b32 s20, exec_lo
	s_delay_alu instid0(VALU_DEP_2) | instskip(NEXT) | instid1(VALU_DEP_1)
	v_and_b32_e32 v2, 0x7f, v1
	v_cmpx_ne_u32_e32 0x7f, v2
	s_cbranch_execz .LBB187_351
; %bb.348:                              ;   in Loop: Header=BB187_12 Depth=1
	v_dual_lshrrev_b32 v1, 3, v2 :: v_dual_bitop2_b32 v24, 7, v1 bitop3:0x40
	s_mov_b32 s21, exec_lo
	v_cmpx_gt_u32_e32 8, v2
; %bb.349:                              ;   in Loop: Header=BB187_12 Depth=1
	s_delay_alu instid0(VALU_DEP_2) | instskip(NEXT) | instid1(VALU_DEP_1)
	v_clz_i32_u32_e32 v1, v24
	v_min_u32_e32 v1, 32, v1
	s_delay_alu instid0(VALU_DEP_1) | instskip(NEXT) | instid1(VALU_DEP_1)
	v_subrev_nc_u32_e32 v2, 28, v1
	v_lshlrev_b64_e32 v[2:3], v2, v[24:25]
	s_delay_alu instid0(VALU_DEP_1)
	v_dual_sub_nc_u32 v1, 29, v1 :: v_dual_bitop2_b32 v24, 7, v2 bitop3:0x40
; %bb.350:                              ;   in Loop: Header=BB187_12 Depth=1
	s_or_b32 exec_lo, exec_lo, s21
	v_dual_lshlrev_b32 v0, 16, v0 :: v_dual_mov_b32 v72, v25
	s_delay_alu instid0(VALU_DEP_2) | instskip(NEXT) | instid1(VALU_DEP_3)
	v_lshlrev_b32_e32 v2, 20, v24
	v_lshl_add_u32 v1, v1, 23, 0x3c000000
	s_delay_alu instid0(VALU_DEP_3) | instskip(NEXT) | instid1(VALU_DEP_1)
	v_and_b32_e32 v0, 0x80000000, v0
	v_or3_b32 v73, v2, v0, v1
.LBB187_351:                            ;   in Loop: Header=BB187_12 Depth=1
	s_or_b32 exec_lo, exec_lo, s20
.LBB187_352:                            ;   in Loop: Header=BB187_12 Depth=1
	s_delay_alu instid0(SALU_CYCLE_1)
	s_or_b32 exec_lo, exec_lo, s19
.LBB187_353:                            ;   in Loop: Header=BB187_12 Depth=1
	s_delay_alu instid0(SALU_CYCLE_1)
	s_or_b32 exec_lo, exec_lo, s18
	flat_load_u16 v1, v[76:77] offset:1284
	v_mov_b64_e32 v[78:79], 0
	v_mov_b64_e32 v[2:3], 0
	s_mov_b32 s18, exec_lo
	scratch_store_b64 off, v[2:3], s32 offset:520 ; 8-byte Folded Spill
	s_wait_loadcnt_dscnt 0x0
	v_and_b32_e32 v0, 0xffff, v1
	v_and_b32_e32 v1, 0xff, v1
	s_wait_xcnt 0x0
	s_delay_alu instid0(VALU_DEP_1)
	v_cmpx_ne_u16_e32 0, v1
	s_cbranch_execz .LBB187_361
; %bb.354:                              ;   in Loop: Header=BB187_12 Depth=1
	v_mov_b64_e32 v[2:3], 0x80000000
	v_and_b32_e32 v1, 0xff, v0
	s_mov_b32 s19, exec_lo
	scratch_store_b64 off, v[2:3], s32 offset:520 ; 8-byte Folded Spill
	s_wait_xcnt 0x0
	v_cmpx_ne_u16_e32 0x80, v1
	s_cbranch_execz .LBB187_360
; %bb.355:                              ;   in Loop: Header=BB187_12 Depth=1
	v_mov_b64_e32 v[4:5], 0x7f800001
	v_and_b32_e32 v2, 0x7f, v0
	s_mov_b32 s20, exec_lo
	scratch_store_b64 off, v[4:5], s32 offset:520 ; 8-byte Folded Spill
	s_wait_xcnt 0x0
	v_cmpx_ne_u32_e32 0x7f, v2
	s_cbranch_execz .LBB187_359
; %bb.356:                              ;   in Loop: Header=BB187_12 Depth=1
	v_dual_lshrrev_b32 v1, 3, v2 :: v_dual_bitop2_b32 v24, 7, v0 bitop3:0x40
	s_mov_b32 s21, exec_lo
	v_cmpx_gt_u32_e32 8, v2
; %bb.357:                              ;   in Loop: Header=BB187_12 Depth=1
	s_delay_alu instid0(VALU_DEP_2) | instskip(NEXT) | instid1(VALU_DEP_1)
	v_clz_i32_u32_e32 v1, v24
	v_min_u32_e32 v1, 32, v1
	s_delay_alu instid0(VALU_DEP_1) | instskip(NEXT) | instid1(VALU_DEP_1)
	v_subrev_nc_u32_e32 v2, 28, v1
	v_lshlrev_b64_e32 v[2:3], v2, v[24:25]
	s_delay_alu instid0(VALU_DEP_1)
	v_dual_sub_nc_u32 v1, 29, v1 :: v_dual_bitop2_b32 v24, 7, v2 bitop3:0x40
; %bb.358:                              ;   in Loop: Header=BB187_12 Depth=1
	s_or_b32 exec_lo, exec_lo, s21
	v_lshlrev_b32_e32 v2, 24, v0
	s_delay_alu instid0(VALU_DEP_2) | instskip(NEXT) | instid1(VALU_DEP_3)
	v_lshlrev_b32_e32 v3, 20, v24
	v_lshl_add_u32 v1, v1, 23, 0x3c000000
	s_delay_alu instid0(VALU_DEP_3) | instskip(NEXT) | instid1(VALU_DEP_1)
	v_and_b32_e32 v2, 0x80000000, v2
	v_or3_b32 v24, v3, v2, v1
	scratch_store_b64 off, v[24:25], s32 offset:520 ; 8-byte Folded Spill
.LBB187_359:                            ;   in Loop: Header=BB187_12 Depth=1
	s_wait_xcnt 0x0
	s_or_b32 exec_lo, exec_lo, s20
.LBB187_360:                            ;   in Loop: Header=BB187_12 Depth=1
	s_delay_alu instid0(SALU_CYCLE_1)
	s_or_b32 exec_lo, exec_lo, s19
.LBB187_361:                            ;   in Loop: Header=BB187_12 Depth=1
	s_delay_alu instid0(SALU_CYCLE_1) | instskip(SKIP_2) | instid1(VALU_DEP_1)
	s_or_b32 exec_lo, exec_lo, s18
	v_lshrrev_b16 v1, 8, v0
	s_mov_b32 s18, exec_lo
	v_cmpx_ne_u16_e32 0, v1
	s_cbranch_execz .LBB187_369
; %bb.362:                              ;   in Loop: Header=BB187_12 Depth=1
	v_mov_b64_e32 v[78:79], 0x8000000000000000
	s_mov_b32 s19, exec_lo
	v_cmpx_ne_u16_e32 0x80, v1
	s_cbranch_execz .LBB187_368
; %bb.363:                              ;   in Loop: Header=BB187_12 Depth=1
	v_and_b32_e32 v1, 0xffff, v1
	v_mov_b64_e32 v[78:79], 0x7f80000100000000
	s_mov_b32 s20, exec_lo
	s_delay_alu instid0(VALU_DEP_2) | instskip(NEXT) | instid1(VALU_DEP_1)
	v_and_b32_e32 v2, 0x7f, v1
	v_cmpx_ne_u32_e32 0x7f, v2
	s_cbranch_execz .LBB187_367
; %bb.364:                              ;   in Loop: Header=BB187_12 Depth=1
	v_dual_lshrrev_b32 v1, 3, v2 :: v_dual_bitop2_b32 v24, 7, v1 bitop3:0x40
	s_mov_b32 s21, exec_lo
	v_cmpx_gt_u32_e32 8, v2
; %bb.365:                              ;   in Loop: Header=BB187_12 Depth=1
	s_delay_alu instid0(VALU_DEP_2) | instskip(NEXT) | instid1(VALU_DEP_1)
	v_clz_i32_u32_e32 v1, v24
	v_min_u32_e32 v1, 32, v1
	s_delay_alu instid0(VALU_DEP_1) | instskip(NEXT) | instid1(VALU_DEP_1)
	v_subrev_nc_u32_e32 v2, 28, v1
	v_lshlrev_b64_e32 v[2:3], v2, v[24:25]
	s_delay_alu instid0(VALU_DEP_1)
	v_dual_sub_nc_u32 v1, 29, v1 :: v_dual_bitop2_b32 v24, 7, v2 bitop3:0x40
; %bb.366:                              ;   in Loop: Header=BB187_12 Depth=1
	s_or_b32 exec_lo, exec_lo, s21
	v_dual_lshlrev_b32 v0, 16, v0 :: v_dual_mov_b32 v78, v25
	s_delay_alu instid0(VALU_DEP_2) | instskip(NEXT) | instid1(VALU_DEP_3)
	v_lshlrev_b32_e32 v2, 20, v24
	v_lshl_add_u32 v1, v1, 23, 0x3c000000
	s_delay_alu instid0(VALU_DEP_3) | instskip(NEXT) | instid1(VALU_DEP_1)
	v_and_b32_e32 v0, 0x80000000, v0
	v_or3_b32 v79, v2, v0, v1
.LBB187_367:                            ;   in Loop: Header=BB187_12 Depth=1
	s_or_b32 exec_lo, exec_lo, s20
.LBB187_368:                            ;   in Loop: Header=BB187_12 Depth=1
	s_delay_alu instid0(SALU_CYCLE_1)
	s_or_b32 exec_lo, exec_lo, s19
.LBB187_369:                            ;   in Loop: Header=BB187_12 Depth=1
	s_delay_alu instid0(SALU_CYCLE_1)
	s_or_b32 exec_lo, exec_lo, s18
	flat_load_u16 v1, v[76:77] offset:1288
	v_mov_b64_e32 v[90:91], 0
	v_mov_b64_e32 v[2:3], 0
	s_mov_b32 s18, exec_lo
	scratch_store_b64 off, v[2:3], s32 offset:528 ; 8-byte Folded Spill
	s_wait_loadcnt_dscnt 0x0
	v_and_b32_e32 v0, 0xffff, v1
	v_and_b32_e32 v1, 0xff, v1
	s_wait_xcnt 0x0
	s_delay_alu instid0(VALU_DEP_1)
	v_cmpx_ne_u16_e32 0, v1
	s_cbranch_execz .LBB187_377
; %bb.370:                              ;   in Loop: Header=BB187_12 Depth=1
	v_mov_b64_e32 v[2:3], 0x80000000
	v_and_b32_e32 v1, 0xff, v0
	s_mov_b32 s19, exec_lo
	scratch_store_b64 off, v[2:3], s32 offset:528 ; 8-byte Folded Spill
	s_wait_xcnt 0x0
	v_cmpx_ne_u16_e32 0x80, v1
	s_cbranch_execz .LBB187_376
; %bb.371:                              ;   in Loop: Header=BB187_12 Depth=1
	v_mov_b64_e32 v[4:5], 0x7f800001
	v_and_b32_e32 v2, 0x7f, v0
	s_mov_b32 s20, exec_lo
	scratch_store_b64 off, v[4:5], s32 offset:528 ; 8-byte Folded Spill
	s_wait_xcnt 0x0
	v_cmpx_ne_u32_e32 0x7f, v2
	s_cbranch_execz .LBB187_375
; %bb.372:                              ;   in Loop: Header=BB187_12 Depth=1
	v_dual_lshrrev_b32 v1, 3, v2 :: v_dual_bitop2_b32 v24, 7, v0 bitop3:0x40
	s_mov_b32 s21, exec_lo
	v_cmpx_gt_u32_e32 8, v2
; %bb.373:                              ;   in Loop: Header=BB187_12 Depth=1
	s_delay_alu instid0(VALU_DEP_2) | instskip(NEXT) | instid1(VALU_DEP_1)
	v_clz_i32_u32_e32 v1, v24
	v_min_u32_e32 v1, 32, v1
	s_delay_alu instid0(VALU_DEP_1) | instskip(NEXT) | instid1(VALU_DEP_1)
	v_subrev_nc_u32_e32 v2, 28, v1
	v_lshlrev_b64_e32 v[2:3], v2, v[24:25]
	s_delay_alu instid0(VALU_DEP_1)
	v_dual_sub_nc_u32 v1, 29, v1 :: v_dual_bitop2_b32 v24, 7, v2 bitop3:0x40
; %bb.374:                              ;   in Loop: Header=BB187_12 Depth=1
	s_or_b32 exec_lo, exec_lo, s21
	v_lshlrev_b32_e32 v2, 24, v0
	s_delay_alu instid0(VALU_DEP_2) | instskip(NEXT) | instid1(VALU_DEP_3)
	v_lshlrev_b32_e32 v3, 20, v24
	v_lshl_add_u32 v1, v1, 23, 0x3c000000
	s_delay_alu instid0(VALU_DEP_3) | instskip(NEXT) | instid1(VALU_DEP_1)
	v_and_b32_e32 v2, 0x80000000, v2
	v_or3_b32 v24, v3, v2, v1
	scratch_store_b64 off, v[24:25], s32 offset:528 ; 8-byte Folded Spill
.LBB187_375:                            ;   in Loop: Header=BB187_12 Depth=1
	s_wait_xcnt 0x0
	s_or_b32 exec_lo, exec_lo, s20
.LBB187_376:                            ;   in Loop: Header=BB187_12 Depth=1
	s_delay_alu instid0(SALU_CYCLE_1)
	s_or_b32 exec_lo, exec_lo, s19
.LBB187_377:                            ;   in Loop: Header=BB187_12 Depth=1
	s_delay_alu instid0(SALU_CYCLE_1) | instskip(SKIP_2) | instid1(VALU_DEP_1)
	s_or_b32 exec_lo, exec_lo, s18
	v_lshrrev_b16 v1, 8, v0
	s_mov_b32 s18, exec_lo
	v_cmpx_ne_u16_e32 0, v1
	s_cbranch_execz .LBB187_385
; %bb.378:                              ;   in Loop: Header=BB187_12 Depth=1
	v_mov_b64_e32 v[90:91], 0x8000000000000000
	s_mov_b32 s19, exec_lo
	v_cmpx_ne_u16_e32 0x80, v1
	s_cbranch_execz .LBB187_384
; %bb.379:                              ;   in Loop: Header=BB187_12 Depth=1
	v_and_b32_e32 v1, 0xffff, v1
	v_mov_b64_e32 v[90:91], 0x7f80000100000000
	s_mov_b32 s20, exec_lo
	s_delay_alu instid0(VALU_DEP_2) | instskip(NEXT) | instid1(VALU_DEP_1)
	v_and_b32_e32 v2, 0x7f, v1
	v_cmpx_ne_u32_e32 0x7f, v2
	s_cbranch_execz .LBB187_383
; %bb.380:                              ;   in Loop: Header=BB187_12 Depth=1
	v_dual_lshrrev_b32 v1, 3, v2 :: v_dual_bitop2_b32 v24, 7, v1 bitop3:0x40
	s_mov_b32 s21, exec_lo
	v_cmpx_gt_u32_e32 8, v2
; %bb.381:                              ;   in Loop: Header=BB187_12 Depth=1
	s_delay_alu instid0(VALU_DEP_2) | instskip(NEXT) | instid1(VALU_DEP_1)
	v_clz_i32_u32_e32 v1, v24
	v_min_u32_e32 v1, 32, v1
	s_delay_alu instid0(VALU_DEP_1) | instskip(NEXT) | instid1(VALU_DEP_1)
	v_subrev_nc_u32_e32 v2, 28, v1
	v_lshlrev_b64_e32 v[2:3], v2, v[24:25]
	s_delay_alu instid0(VALU_DEP_1)
	v_dual_sub_nc_u32 v1, 29, v1 :: v_dual_bitop2_b32 v24, 7, v2 bitop3:0x40
; %bb.382:                              ;   in Loop: Header=BB187_12 Depth=1
	s_or_b32 exec_lo, exec_lo, s21
	v_dual_lshlrev_b32 v0, 16, v0 :: v_dual_mov_b32 v90, v25
	s_delay_alu instid0(VALU_DEP_2) | instskip(NEXT) | instid1(VALU_DEP_3)
	v_lshlrev_b32_e32 v2, 20, v24
	v_lshl_add_u32 v1, v1, 23, 0x3c000000
	s_delay_alu instid0(VALU_DEP_3) | instskip(NEXT) | instid1(VALU_DEP_1)
	v_and_b32_e32 v0, 0x80000000, v0
	v_or3_b32 v91, v2, v0, v1
.LBB187_383:                            ;   in Loop: Header=BB187_12 Depth=1
	s_or_b32 exec_lo, exec_lo, s20
.LBB187_384:                            ;   in Loop: Header=BB187_12 Depth=1
	s_delay_alu instid0(SALU_CYCLE_1)
	s_or_b32 exec_lo, exec_lo, s19
.LBB187_385:                            ;   in Loop: Header=BB187_12 Depth=1
	s_delay_alu instid0(SALU_CYCLE_1)
	s_or_b32 exec_lo, exec_lo, s18
	flat_load_u16 v1, v[76:77] offset:1292
	v_mov_b64_e32 v[94:95], 0
	v_mov_b64_e32 v[120:121], 0
	s_mov_b32 s18, exec_lo
	s_wait_loadcnt_dscnt 0x0
	v_and_b32_e32 v0, 0xffff, v1
	v_and_b32_e32 v1, 0xff, v1
	s_wait_xcnt 0x0
	s_delay_alu instid0(VALU_DEP_1)
	v_cmpx_ne_u16_e32 0, v1
	s_cbranch_execz .LBB187_393
; %bb.386:                              ;   in Loop: Header=BB187_12 Depth=1
	v_mov_b64_e32 v[120:121], 0x80000000
	v_and_b32_e32 v1, 0xff, v0
	s_mov_b32 s19, exec_lo
	s_delay_alu instid0(VALU_DEP_1)
	v_cmpx_ne_u16_e32 0x80, v1
	s_cbranch_execz .LBB187_392
; %bb.387:                              ;   in Loop: Header=BB187_12 Depth=1
	v_mov_b64_e32 v[120:121], 0x7f800001
	v_and_b32_e32 v2, 0x7f, v0
	s_mov_b32 s20, exec_lo
	s_delay_alu instid0(VALU_DEP_1)
	v_cmpx_ne_u32_e32 0x7f, v2
	s_cbranch_execz .LBB187_391
; %bb.388:                              ;   in Loop: Header=BB187_12 Depth=1
	v_dual_lshrrev_b32 v1, 3, v2 :: v_dual_bitop2_b32 v24, 7, v0 bitop3:0x40
	s_mov_b32 s21, exec_lo
	v_cmpx_gt_u32_e32 8, v2
; %bb.389:                              ;   in Loop: Header=BB187_12 Depth=1
	s_delay_alu instid0(VALU_DEP_2) | instskip(NEXT) | instid1(VALU_DEP_1)
	v_clz_i32_u32_e32 v1, v24
	v_min_u32_e32 v1, 32, v1
	s_delay_alu instid0(VALU_DEP_1) | instskip(NEXT) | instid1(VALU_DEP_1)
	v_subrev_nc_u32_e32 v2, 28, v1
	v_lshlrev_b64_e32 v[2:3], v2, v[24:25]
	s_delay_alu instid0(VALU_DEP_1)
	v_dual_sub_nc_u32 v1, 29, v1 :: v_dual_bitop2_b32 v24, 7, v2 bitop3:0x40
; %bb.390:                              ;   in Loop: Header=BB187_12 Depth=1
	s_or_b32 exec_lo, exec_lo, s21
	v_lshlrev_b32_e32 v2, 24, v0
	s_delay_alu instid0(VALU_DEP_2) | instskip(NEXT) | instid1(VALU_DEP_3)
	v_lshlrev_b32_e32 v3, 20, v24
	v_lshl_add_u32 v1, v1, 23, 0x3c000000
	s_delay_alu instid0(VALU_DEP_3) | instskip(NEXT) | instid1(VALU_DEP_1)
	v_and_b32_e32 v2, 0x80000000, v2
	v_or3_b32 v24, v3, v2, v1
	s_delay_alu instid0(VALU_DEP_1)
	v_mov_b64_e32 v[120:121], v[24:25]
.LBB187_391:                            ;   in Loop: Header=BB187_12 Depth=1
	s_or_b32 exec_lo, exec_lo, s20
.LBB187_392:                            ;   in Loop: Header=BB187_12 Depth=1
	s_delay_alu instid0(SALU_CYCLE_1)
	s_or_b32 exec_lo, exec_lo, s19
.LBB187_393:                            ;   in Loop: Header=BB187_12 Depth=1
	s_delay_alu instid0(SALU_CYCLE_1) | instskip(SKIP_2) | instid1(VALU_DEP_1)
	s_or_b32 exec_lo, exec_lo, s18
	v_lshrrev_b16 v1, 8, v0
	s_mov_b32 s18, exec_lo
	v_cmpx_ne_u16_e32 0, v1
	s_cbranch_execz .LBB187_401
; %bb.394:                              ;   in Loop: Header=BB187_12 Depth=1
	v_mov_b64_e32 v[94:95], 0x8000000000000000
	s_mov_b32 s19, exec_lo
	v_cmpx_ne_u16_e32 0x80, v1
	s_cbranch_execz .LBB187_400
; %bb.395:                              ;   in Loop: Header=BB187_12 Depth=1
	v_and_b32_e32 v1, 0xffff, v1
	v_mov_b64_e32 v[94:95], 0x7f80000100000000
	s_mov_b32 s20, exec_lo
	s_delay_alu instid0(VALU_DEP_2) | instskip(NEXT) | instid1(VALU_DEP_1)
	v_and_b32_e32 v2, 0x7f, v1
	v_cmpx_ne_u32_e32 0x7f, v2
	s_cbranch_execz .LBB187_399
; %bb.396:                              ;   in Loop: Header=BB187_12 Depth=1
	v_dual_lshrrev_b32 v1, 3, v2 :: v_dual_bitop2_b32 v24, 7, v1 bitop3:0x40
	s_mov_b32 s21, exec_lo
	v_cmpx_gt_u32_e32 8, v2
; %bb.397:                              ;   in Loop: Header=BB187_12 Depth=1
	s_delay_alu instid0(VALU_DEP_2) | instskip(NEXT) | instid1(VALU_DEP_1)
	v_clz_i32_u32_e32 v1, v24
	v_min_u32_e32 v1, 32, v1
	s_delay_alu instid0(VALU_DEP_1) | instskip(NEXT) | instid1(VALU_DEP_1)
	v_subrev_nc_u32_e32 v2, 28, v1
	v_lshlrev_b64_e32 v[2:3], v2, v[24:25]
	s_delay_alu instid0(VALU_DEP_1)
	v_dual_sub_nc_u32 v1, 29, v1 :: v_dual_bitop2_b32 v24, 7, v2 bitop3:0x40
; %bb.398:                              ;   in Loop: Header=BB187_12 Depth=1
	s_or_b32 exec_lo, exec_lo, s21
	v_dual_lshlrev_b32 v0, 16, v0 :: v_dual_mov_b32 v94, v25
	s_delay_alu instid0(VALU_DEP_2) | instskip(NEXT) | instid1(VALU_DEP_3)
	v_lshlrev_b32_e32 v2, 20, v24
	v_lshl_add_u32 v1, v1, 23, 0x3c000000
	s_delay_alu instid0(VALU_DEP_3) | instskip(NEXT) | instid1(VALU_DEP_1)
	v_and_b32_e32 v0, 0x80000000, v0
	v_or3_b32 v95, v2, v0, v1
.LBB187_399:                            ;   in Loop: Header=BB187_12 Depth=1
	s_or_b32 exec_lo, exec_lo, s20
.LBB187_400:                            ;   in Loop: Header=BB187_12 Depth=1
	s_delay_alu instid0(SALU_CYCLE_1)
	s_or_b32 exec_lo, exec_lo, s19
.LBB187_401:                            ;   in Loop: Header=BB187_12 Depth=1
	s_delay_alu instid0(SALU_CYCLE_1)
	s_or_b32 exec_lo, exec_lo, s18
	flat_load_u16 v1, v[76:77] offset:1536
	v_mov_b64_e32 v[106:107], 0
	v_mov_b64_e32 v[56:57], 0
	s_mov_b32 s18, exec_lo
	s_wait_loadcnt_dscnt 0x0
	v_and_b32_e32 v0, 0xffff, v1
	v_and_b32_e32 v1, 0xff, v1
	s_wait_xcnt 0x0
	s_delay_alu instid0(VALU_DEP_1)
	v_cmpx_ne_u16_e32 0, v1
	s_cbranch_execz .LBB187_409
; %bb.402:                              ;   in Loop: Header=BB187_12 Depth=1
	v_mov_b64_e32 v[56:57], 0x80000000
	v_and_b32_e32 v1, 0xff, v0
	s_mov_b32 s19, exec_lo
	s_delay_alu instid0(VALU_DEP_1)
	v_cmpx_ne_u16_e32 0x80, v1
	s_cbranch_execz .LBB187_408
; %bb.403:                              ;   in Loop: Header=BB187_12 Depth=1
	v_mov_b64_e32 v[56:57], 0x7f800001
	v_and_b32_e32 v2, 0x7f, v0
	s_mov_b32 s20, exec_lo
	s_delay_alu instid0(VALU_DEP_1)
	v_cmpx_ne_u32_e32 0x7f, v2
	s_cbranch_execz .LBB187_407
; %bb.404:                              ;   in Loop: Header=BB187_12 Depth=1
	v_dual_lshrrev_b32 v1, 3, v2 :: v_dual_bitop2_b32 v24, 7, v0 bitop3:0x40
	s_mov_b32 s21, exec_lo
	v_cmpx_gt_u32_e32 8, v2
; %bb.405:                              ;   in Loop: Header=BB187_12 Depth=1
	s_delay_alu instid0(VALU_DEP_2) | instskip(NEXT) | instid1(VALU_DEP_1)
	v_clz_i32_u32_e32 v1, v24
	v_min_u32_e32 v1, 32, v1
	s_delay_alu instid0(VALU_DEP_1) | instskip(NEXT) | instid1(VALU_DEP_1)
	v_subrev_nc_u32_e32 v2, 28, v1
	v_lshlrev_b64_e32 v[2:3], v2, v[24:25]
	s_delay_alu instid0(VALU_DEP_1)
	v_dual_sub_nc_u32 v1, 29, v1 :: v_dual_bitop2_b32 v24, 7, v2 bitop3:0x40
; %bb.406:                              ;   in Loop: Header=BB187_12 Depth=1
	s_or_b32 exec_lo, exec_lo, s21
	v_lshlrev_b32_e32 v2, 24, v0
	s_delay_alu instid0(VALU_DEP_2) | instskip(NEXT) | instid1(VALU_DEP_3)
	v_lshlrev_b32_e32 v3, 20, v24
	v_lshl_add_u32 v1, v1, 23, 0x3c000000
	s_delay_alu instid0(VALU_DEP_3) | instskip(NEXT) | instid1(VALU_DEP_1)
	v_and_b32_e32 v2, 0x80000000, v2
	v_or3_b32 v24, v3, v2, v1
	s_delay_alu instid0(VALU_DEP_1)
	v_mov_b64_e32 v[56:57], v[24:25]
.LBB187_407:                            ;   in Loop: Header=BB187_12 Depth=1
	s_or_b32 exec_lo, exec_lo, s20
.LBB187_408:                            ;   in Loop: Header=BB187_12 Depth=1
	s_delay_alu instid0(SALU_CYCLE_1)
	s_or_b32 exec_lo, exec_lo, s19
.LBB187_409:                            ;   in Loop: Header=BB187_12 Depth=1
	s_delay_alu instid0(SALU_CYCLE_1) | instskip(SKIP_2) | instid1(VALU_DEP_1)
	s_or_b32 exec_lo, exec_lo, s18
	v_lshrrev_b16 v1, 8, v0
	s_mov_b32 s18, exec_lo
	v_cmpx_ne_u16_e32 0, v1
	s_cbranch_execz .LBB187_417
; %bb.410:                              ;   in Loop: Header=BB187_12 Depth=1
	v_mov_b64_e32 v[106:107], 0x8000000000000000
	s_mov_b32 s19, exec_lo
	v_cmpx_ne_u16_e32 0x80, v1
	s_cbranch_execz .LBB187_416
; %bb.411:                              ;   in Loop: Header=BB187_12 Depth=1
	v_and_b32_e32 v1, 0xffff, v1
	v_mov_b64_e32 v[106:107], 0x7f80000100000000
	s_mov_b32 s20, exec_lo
	s_delay_alu instid0(VALU_DEP_2) | instskip(NEXT) | instid1(VALU_DEP_1)
	v_and_b32_e32 v2, 0x7f, v1
	v_cmpx_ne_u32_e32 0x7f, v2
	s_cbranch_execz .LBB187_415
; %bb.412:                              ;   in Loop: Header=BB187_12 Depth=1
	v_dual_lshrrev_b32 v1, 3, v2 :: v_dual_bitop2_b32 v24, 7, v1 bitop3:0x40
	s_mov_b32 s21, exec_lo
	v_cmpx_gt_u32_e32 8, v2
; %bb.413:                              ;   in Loop: Header=BB187_12 Depth=1
	s_delay_alu instid0(VALU_DEP_2) | instskip(NEXT) | instid1(VALU_DEP_1)
	v_clz_i32_u32_e32 v1, v24
	v_min_u32_e32 v1, 32, v1
	s_delay_alu instid0(VALU_DEP_1) | instskip(NEXT) | instid1(VALU_DEP_1)
	v_subrev_nc_u32_e32 v2, 28, v1
	v_lshlrev_b64_e32 v[2:3], v2, v[24:25]
	s_delay_alu instid0(VALU_DEP_1)
	v_dual_sub_nc_u32 v1, 29, v1 :: v_dual_bitop2_b32 v24, 7, v2 bitop3:0x40
; %bb.414:                              ;   in Loop: Header=BB187_12 Depth=1
	s_or_b32 exec_lo, exec_lo, s21
	v_dual_lshlrev_b32 v0, 16, v0 :: v_dual_mov_b32 v106, v25
	s_delay_alu instid0(VALU_DEP_2) | instskip(NEXT) | instid1(VALU_DEP_3)
	v_lshlrev_b32_e32 v2, 20, v24
	v_lshl_add_u32 v1, v1, 23, 0x3c000000
	s_delay_alu instid0(VALU_DEP_3) | instskip(NEXT) | instid1(VALU_DEP_1)
	v_and_b32_e32 v0, 0x80000000, v0
	v_or3_b32 v107, v2, v0, v1
.LBB187_415:                            ;   in Loop: Header=BB187_12 Depth=1
	s_or_b32 exec_lo, exec_lo, s20
.LBB187_416:                            ;   in Loop: Header=BB187_12 Depth=1
	s_delay_alu instid0(SALU_CYCLE_1)
	s_or_b32 exec_lo, exec_lo, s19
.LBB187_417:                            ;   in Loop: Header=BB187_12 Depth=1
	s_delay_alu instid0(SALU_CYCLE_1)
	s_or_b32 exec_lo, exec_lo, s18
	flat_load_u16 v1, v[76:77] offset:1540
	v_mov_b64_e32 v[108:109], 0
	v_mov_b64_e32 v[10:11], 0
	s_mov_b32 s18, exec_lo
	s_wait_loadcnt_dscnt 0x0
	v_and_b32_e32 v0, 0xffff, v1
	v_and_b32_e32 v1, 0xff, v1
	s_wait_xcnt 0x0
	s_delay_alu instid0(VALU_DEP_1)
	v_cmpx_ne_u16_e32 0, v1
	s_cbranch_execz .LBB187_425
; %bb.418:                              ;   in Loop: Header=BB187_12 Depth=1
	v_mov_b64_e32 v[10:11], 0x80000000
	v_and_b32_e32 v1, 0xff, v0
	s_mov_b32 s19, exec_lo
	s_delay_alu instid0(VALU_DEP_1)
	v_cmpx_ne_u16_e32 0x80, v1
	s_cbranch_execz .LBB187_424
; %bb.419:                              ;   in Loop: Header=BB187_12 Depth=1
	v_mov_b64_e32 v[10:11], 0x7f800001
	v_and_b32_e32 v2, 0x7f, v0
	s_mov_b32 s20, exec_lo
	s_delay_alu instid0(VALU_DEP_1)
	v_cmpx_ne_u32_e32 0x7f, v2
	s_cbranch_execz .LBB187_423
; %bb.420:                              ;   in Loop: Header=BB187_12 Depth=1
	v_dual_lshrrev_b32 v1, 3, v2 :: v_dual_bitop2_b32 v24, 7, v0 bitop3:0x40
	s_mov_b32 s21, exec_lo
	v_cmpx_gt_u32_e32 8, v2
; %bb.421:                              ;   in Loop: Header=BB187_12 Depth=1
	s_delay_alu instid0(VALU_DEP_2) | instskip(NEXT) | instid1(VALU_DEP_1)
	v_clz_i32_u32_e32 v1, v24
	v_min_u32_e32 v1, 32, v1
	s_delay_alu instid0(VALU_DEP_1) | instskip(NEXT) | instid1(VALU_DEP_1)
	v_subrev_nc_u32_e32 v2, 28, v1
	v_lshlrev_b64_e32 v[2:3], v2, v[24:25]
	s_delay_alu instid0(VALU_DEP_1)
	v_dual_sub_nc_u32 v1, 29, v1 :: v_dual_bitop2_b32 v24, 7, v2 bitop3:0x40
; %bb.422:                              ;   in Loop: Header=BB187_12 Depth=1
	s_or_b32 exec_lo, exec_lo, s21
	v_lshlrev_b32_e32 v2, 24, v0
	s_delay_alu instid0(VALU_DEP_2) | instskip(NEXT) | instid1(VALU_DEP_3)
	v_lshlrev_b32_e32 v3, 20, v24
	v_lshl_add_u32 v1, v1, 23, 0x3c000000
	s_delay_alu instid0(VALU_DEP_3) | instskip(NEXT) | instid1(VALU_DEP_1)
	v_and_b32_e32 v2, 0x80000000, v2
	v_or3_b32 v24, v3, v2, v1
	s_delay_alu instid0(VALU_DEP_1)
	v_mov_b64_e32 v[10:11], v[24:25]
.LBB187_423:                            ;   in Loop: Header=BB187_12 Depth=1
	s_or_b32 exec_lo, exec_lo, s20
.LBB187_424:                            ;   in Loop: Header=BB187_12 Depth=1
	s_delay_alu instid0(SALU_CYCLE_1)
	s_or_b32 exec_lo, exec_lo, s19
.LBB187_425:                            ;   in Loop: Header=BB187_12 Depth=1
	s_delay_alu instid0(SALU_CYCLE_1) | instskip(SKIP_2) | instid1(VALU_DEP_1)
	s_or_b32 exec_lo, exec_lo, s18
	v_lshrrev_b16 v1, 8, v0
	s_mov_b32 s18, exec_lo
	v_cmpx_ne_u16_e32 0, v1
	s_cbranch_execz .LBB187_433
; %bb.426:                              ;   in Loop: Header=BB187_12 Depth=1
	v_mov_b64_e32 v[108:109], 0x8000000000000000
	s_mov_b32 s19, exec_lo
	v_cmpx_ne_u16_e32 0x80, v1
	s_cbranch_execz .LBB187_432
; %bb.427:                              ;   in Loop: Header=BB187_12 Depth=1
	v_and_b32_e32 v1, 0xffff, v1
	v_mov_b64_e32 v[108:109], 0x7f80000100000000
	s_mov_b32 s20, exec_lo
	s_delay_alu instid0(VALU_DEP_2) | instskip(NEXT) | instid1(VALU_DEP_1)
	v_and_b32_e32 v2, 0x7f, v1
	v_cmpx_ne_u32_e32 0x7f, v2
	s_cbranch_execz .LBB187_431
; %bb.428:                              ;   in Loop: Header=BB187_12 Depth=1
	v_dual_lshrrev_b32 v1, 3, v2 :: v_dual_bitop2_b32 v24, 7, v1 bitop3:0x40
	s_mov_b32 s21, exec_lo
	v_cmpx_gt_u32_e32 8, v2
; %bb.429:                              ;   in Loop: Header=BB187_12 Depth=1
	s_delay_alu instid0(VALU_DEP_2) | instskip(NEXT) | instid1(VALU_DEP_1)
	v_clz_i32_u32_e32 v1, v24
	v_min_u32_e32 v1, 32, v1
	s_delay_alu instid0(VALU_DEP_1) | instskip(NEXT) | instid1(VALU_DEP_1)
	v_subrev_nc_u32_e32 v2, 28, v1
	v_lshlrev_b64_e32 v[2:3], v2, v[24:25]
	s_delay_alu instid0(VALU_DEP_1)
	v_dual_sub_nc_u32 v1, 29, v1 :: v_dual_bitop2_b32 v24, 7, v2 bitop3:0x40
; %bb.430:                              ;   in Loop: Header=BB187_12 Depth=1
	s_or_b32 exec_lo, exec_lo, s21
	v_dual_lshlrev_b32 v0, 16, v0 :: v_dual_mov_b32 v108, v25
	s_delay_alu instid0(VALU_DEP_2) | instskip(NEXT) | instid1(VALU_DEP_3)
	v_lshlrev_b32_e32 v2, 20, v24
	v_lshl_add_u32 v1, v1, 23, 0x3c000000
	s_delay_alu instid0(VALU_DEP_3) | instskip(NEXT) | instid1(VALU_DEP_1)
	v_and_b32_e32 v0, 0x80000000, v0
	v_or3_b32 v109, v2, v0, v1
.LBB187_431:                            ;   in Loop: Header=BB187_12 Depth=1
	s_or_b32 exec_lo, exec_lo, s20
.LBB187_432:                            ;   in Loop: Header=BB187_12 Depth=1
	s_delay_alu instid0(SALU_CYCLE_1)
	s_or_b32 exec_lo, exec_lo, s19
.LBB187_433:                            ;   in Loop: Header=BB187_12 Depth=1
	s_delay_alu instid0(SALU_CYCLE_1)
	s_or_b32 exec_lo, exec_lo, s18
	flat_load_u16 v1, v[76:77] offset:1544
	v_mov_b64_e32 v[122:123], 0
	v_mov_b64_e32 v[2:3], 0
	s_mov_b32 s18, exec_lo
	s_wait_loadcnt_dscnt 0x0
	v_and_b32_e32 v0, 0xffff, v1
	v_and_b32_e32 v1, 0xff, v1
	s_wait_xcnt 0x0
	s_delay_alu instid0(VALU_DEP_1)
	v_cmpx_ne_u16_e32 0, v1
	s_cbranch_execz .LBB187_441
; %bb.434:                              ;   in Loop: Header=BB187_12 Depth=1
	v_mov_b64_e32 v[2:3], 0x80000000
	v_and_b32_e32 v1, 0xff, v0
	s_mov_b32 s19, exec_lo
	s_delay_alu instid0(VALU_DEP_1)
	v_cmpx_ne_u16_e32 0x80, v1
	s_cbranch_execz .LBB187_440
; %bb.435:                              ;   in Loop: Header=BB187_12 Depth=1
	v_mov_b64_e32 v[2:3], 0x7f800001
	v_and_b32_e32 v4, 0x7f, v0
	s_mov_b32 s20, exec_lo
	s_delay_alu instid0(VALU_DEP_1)
	v_cmpx_ne_u32_e32 0x7f, v4
	s_cbranch_execz .LBB187_439
; %bb.436:                              ;   in Loop: Header=BB187_12 Depth=1
	v_and_b32_e32 v24, 7, v0
	v_lshrrev_b32_e32 v1, 3, v4
	s_mov_b32 s21, exec_lo
	v_cmpx_gt_u32_e32 8, v4
; %bb.437:                              ;   in Loop: Header=BB187_12 Depth=1
	s_delay_alu instid0(VALU_DEP_3) | instskip(NEXT) | instid1(VALU_DEP_1)
	v_clz_i32_u32_e32 v1, v24
	v_min_u32_e32 v1, 32, v1
	s_delay_alu instid0(VALU_DEP_1) | instskip(NEXT) | instid1(VALU_DEP_1)
	v_subrev_nc_u32_e32 v2, 28, v1
	v_lshlrev_b64_e32 v[2:3], v2, v[24:25]
	s_delay_alu instid0(VALU_DEP_1)
	v_dual_sub_nc_u32 v1, 29, v1 :: v_dual_bitop2_b32 v24, 7, v2 bitop3:0x40
; %bb.438:                              ;   in Loop: Header=BB187_12 Depth=1
	s_or_b32 exec_lo, exec_lo, s21
	v_lshlrev_b32_e32 v2, 24, v0
	s_delay_alu instid0(VALU_DEP_2) | instskip(NEXT) | instid1(VALU_DEP_3)
	v_lshlrev_b32_e32 v3, 20, v24
	v_lshl_add_u32 v1, v1, 23, 0x3c000000
	s_delay_alu instid0(VALU_DEP_3) | instskip(NEXT) | instid1(VALU_DEP_1)
	v_and_b32_e32 v2, 0x80000000, v2
	v_or3_b32 v24, v3, v2, v1
	s_delay_alu instid0(VALU_DEP_1)
	v_mov_b64_e32 v[2:3], v[24:25]
.LBB187_439:                            ;   in Loop: Header=BB187_12 Depth=1
	s_or_b32 exec_lo, exec_lo, s20
.LBB187_440:                            ;   in Loop: Header=BB187_12 Depth=1
	s_delay_alu instid0(SALU_CYCLE_1)
	s_or_b32 exec_lo, exec_lo, s19
.LBB187_441:                            ;   in Loop: Header=BB187_12 Depth=1
	s_delay_alu instid0(SALU_CYCLE_1) | instskip(SKIP_2) | instid1(VALU_DEP_1)
	s_or_b32 exec_lo, exec_lo, s18
	v_lshrrev_b16 v1, 8, v0
	s_mov_b32 s18, exec_lo
	v_cmpx_ne_u16_e32 0, v1
	s_cbranch_execz .LBB187_449
; %bb.442:                              ;   in Loop: Header=BB187_12 Depth=1
	v_mov_b64_e32 v[122:123], 0x8000000000000000
	s_mov_b32 s19, exec_lo
	v_cmpx_ne_u16_e32 0x80, v1
	s_cbranch_execz .LBB187_448
; %bb.443:                              ;   in Loop: Header=BB187_12 Depth=1
	v_and_b32_e32 v1, 0xffff, v1
	v_mov_b64_e32 v[122:123], 0x7f80000100000000
	s_mov_b32 s20, exec_lo
	s_delay_alu instid0(VALU_DEP_2) | instskip(NEXT) | instid1(VALU_DEP_1)
	v_and_b32_e32 v4, 0x7f, v1
	v_cmpx_ne_u32_e32 0x7f, v4
	s_cbranch_execz .LBB187_447
; %bb.444:                              ;   in Loop: Header=BB187_12 Depth=1
	v_dual_lshrrev_b32 v1, 3, v4 :: v_dual_bitop2_b32 v24, 7, v1 bitop3:0x40
	s_mov_b32 s21, exec_lo
	v_cmpx_gt_u32_e32 8, v4
; %bb.445:                              ;   in Loop: Header=BB187_12 Depth=1
	s_delay_alu instid0(VALU_DEP_2) | instskip(NEXT) | instid1(VALU_DEP_1)
	v_clz_i32_u32_e32 v1, v24
	v_min_u32_e32 v1, 32, v1
	s_delay_alu instid0(VALU_DEP_1) | instskip(NEXT) | instid1(VALU_DEP_1)
	v_subrev_nc_u32_e32 v4, 28, v1
	v_lshlrev_b64_e32 v[4:5], v4, v[24:25]
	s_delay_alu instid0(VALU_DEP_1)
	v_dual_sub_nc_u32 v1, 29, v1 :: v_dual_bitop2_b32 v24, 7, v4 bitop3:0x40
; %bb.446:                              ;   in Loop: Header=BB187_12 Depth=1
	s_or_b32 exec_lo, exec_lo, s21
	v_dual_lshlrev_b32 v0, 16, v0 :: v_dual_mov_b32 v122, v25
	s_delay_alu instid0(VALU_DEP_2) | instskip(NEXT) | instid1(VALU_DEP_3)
	v_lshlrev_b32_e32 v4, 20, v24
	v_lshl_add_u32 v1, v1, 23, 0x3c000000
	s_delay_alu instid0(VALU_DEP_3) | instskip(NEXT) | instid1(VALU_DEP_1)
	v_and_b32_e32 v0, 0x80000000, v0
	v_or3_b32 v123, v4, v0, v1
.LBB187_447:                            ;   in Loop: Header=BB187_12 Depth=1
	s_or_b32 exec_lo, exec_lo, s20
.LBB187_448:                            ;   in Loop: Header=BB187_12 Depth=1
	s_delay_alu instid0(SALU_CYCLE_1)
	s_or_b32 exec_lo, exec_lo, s19
.LBB187_449:                            ;   in Loop: Header=BB187_12 Depth=1
	s_delay_alu instid0(SALU_CYCLE_1)
	s_or_b32 exec_lo, exec_lo, s18
	flat_load_u16 v1, v[76:77] offset:1548
	v_mov_b64_e32 v[4:5], 0
	v_mov_b64_e32 v[12:13], 0
	s_mov_b32 s18, exec_lo
	s_wait_loadcnt_dscnt 0x0
	v_and_b32_e32 v0, 0xffff, v1
	v_and_b32_e32 v1, 0xff, v1
	s_wait_xcnt 0x0
	s_delay_alu instid0(VALU_DEP_1)
	v_cmpx_ne_u16_e32 0, v1
	s_cbranch_execz .LBB187_457
; %bb.450:                              ;   in Loop: Header=BB187_12 Depth=1
	v_mov_b64_e32 v[12:13], 0x80000000
	v_and_b32_e32 v1, 0xff, v0
	s_mov_b32 s19, exec_lo
	s_delay_alu instid0(VALU_DEP_1)
	v_cmpx_ne_u16_e32 0x80, v1
	s_cbranch_execz .LBB187_456
; %bb.451:                              ;   in Loop: Header=BB187_12 Depth=1
	v_mov_b64_e32 v[12:13], 0x7f800001
	v_and_b32_e32 v6, 0x7f, v0
	s_mov_b32 s20, exec_lo
	s_delay_alu instid0(VALU_DEP_1)
	v_cmpx_ne_u32_e32 0x7f, v6
	s_cbranch_execz .LBB187_455
; %bb.452:                              ;   in Loop: Header=BB187_12 Depth=1
	v_dual_lshrrev_b32 v1, 3, v6 :: v_dual_bitop2_b32 v24, 7, v0 bitop3:0x40
	s_mov_b32 s21, exec_lo
	v_cmpx_gt_u32_e32 8, v6
; %bb.453:                              ;   in Loop: Header=BB187_12 Depth=1
	s_delay_alu instid0(VALU_DEP_2) | instskip(NEXT) | instid1(VALU_DEP_1)
	v_clz_i32_u32_e32 v1, v24
	v_min_u32_e32 v1, 32, v1
	s_delay_alu instid0(VALU_DEP_1) | instskip(NEXT) | instid1(VALU_DEP_1)
	v_subrev_nc_u32_e32 v6, 28, v1
	v_lshlrev_b64_e32 v[6:7], v6, v[24:25]
	s_delay_alu instid0(VALU_DEP_1)
	v_dual_sub_nc_u32 v1, 29, v1 :: v_dual_bitop2_b32 v24, 7, v6 bitop3:0x40
; %bb.454:                              ;   in Loop: Header=BB187_12 Depth=1
	s_or_b32 exec_lo, exec_lo, s21
	v_lshlrev_b32_e32 v6, 24, v0
	s_delay_alu instid0(VALU_DEP_2) | instskip(NEXT) | instid1(VALU_DEP_3)
	v_lshlrev_b32_e32 v7, 20, v24
	v_lshl_add_u32 v1, v1, 23, 0x3c000000
	s_delay_alu instid0(VALU_DEP_3) | instskip(NEXT) | instid1(VALU_DEP_1)
	v_and_b32_e32 v6, 0x80000000, v6
	v_or3_b32 v24, v7, v6, v1
	s_delay_alu instid0(VALU_DEP_1)
	v_mov_b64_e32 v[12:13], v[24:25]
.LBB187_455:                            ;   in Loop: Header=BB187_12 Depth=1
	s_or_b32 exec_lo, exec_lo, s20
.LBB187_456:                            ;   in Loop: Header=BB187_12 Depth=1
	s_delay_alu instid0(SALU_CYCLE_1)
	s_or_b32 exec_lo, exec_lo, s19
.LBB187_457:                            ;   in Loop: Header=BB187_12 Depth=1
	s_delay_alu instid0(SALU_CYCLE_1) | instskip(SKIP_2) | instid1(VALU_DEP_1)
	s_or_b32 exec_lo, exec_lo, s18
	v_lshrrev_b16 v1, 8, v0
	s_mov_b32 s18, exec_lo
	v_cmpx_ne_u16_e32 0, v1
	s_cbranch_execz .LBB187_465
; %bb.458:                              ;   in Loop: Header=BB187_12 Depth=1
	v_mov_b64_e32 v[4:5], 0x8000000000000000
	s_mov_b32 s19, exec_lo
	v_cmpx_ne_u16_e32 0x80, v1
	s_cbranch_execz .LBB187_464
; %bb.459:                              ;   in Loop: Header=BB187_12 Depth=1
	v_and_b32_e32 v1, 0xffff, v1
	v_mov_b64_e32 v[4:5], 0x7f80000100000000
	s_mov_b32 s20, exec_lo
	s_delay_alu instid0(VALU_DEP_2) | instskip(NEXT) | instid1(VALU_DEP_1)
	v_and_b32_e32 v6, 0x7f, v1
	v_cmpx_ne_u32_e32 0x7f, v6
	s_cbranch_execz .LBB187_463
; %bb.460:                              ;   in Loop: Header=BB187_12 Depth=1
	v_dual_lshrrev_b32 v1, 3, v6 :: v_dual_bitop2_b32 v24, 7, v1 bitop3:0x40
	s_mov_b32 s21, exec_lo
	v_cmpx_gt_u32_e32 8, v6
; %bb.461:                              ;   in Loop: Header=BB187_12 Depth=1
	s_delay_alu instid0(VALU_DEP_2) | instskip(NEXT) | instid1(VALU_DEP_1)
	v_clz_i32_u32_e32 v1, v24
	v_min_u32_e32 v1, 32, v1
	s_delay_alu instid0(VALU_DEP_1) | instskip(NEXT) | instid1(VALU_DEP_1)
	v_subrev_nc_u32_e32 v4, 28, v1
	v_lshlrev_b64_e32 v[4:5], v4, v[24:25]
	s_delay_alu instid0(VALU_DEP_1)
	v_dual_sub_nc_u32 v1, 29, v1 :: v_dual_bitop2_b32 v24, 7, v4 bitop3:0x40
; %bb.462:                              ;   in Loop: Header=BB187_12 Depth=1
	s_or_b32 exec_lo, exec_lo, s21
	v_lshlrev_b32_e32 v0, 16, v0
	s_delay_alu instid0(VALU_DEP_2) | instskip(NEXT) | instid1(VALU_DEP_3)
	v_lshlrev_b32_e32 v4, 20, v24
	v_lshl_add_u32 v1, v1, 23, 0x3c000000
	s_delay_alu instid0(VALU_DEP_3) | instskip(NEXT) | instid1(VALU_DEP_1)
	v_and_b32_e32 v0, 0x80000000, v0
	v_or3_b32 v5, v4, v0, v1
	v_mov_b32_e32 v4, v25
.LBB187_463:                            ;   in Loop: Header=BB187_12 Depth=1
	s_or_b32 exec_lo, exec_lo, s20
.LBB187_464:                            ;   in Loop: Header=BB187_12 Depth=1
	s_delay_alu instid0(SALU_CYCLE_1)
	s_or_b32 exec_lo, exec_lo, s19
.LBB187_465:                            ;   in Loop: Header=BB187_12 Depth=1
	s_delay_alu instid0(SALU_CYCLE_1)
	s_or_b32 exec_lo, exec_lo, s18
	flat_load_u16 v1, v[76:77] offset:1792
	v_mov_b64_e32 v[14:15], 0
	v_mov_b64_e32 v[124:125], 0
	s_mov_b32 s18, exec_lo
	s_wait_loadcnt_dscnt 0x0
	v_and_b32_e32 v0, 0xffff, v1
	v_and_b32_e32 v1, 0xff, v1
	s_wait_xcnt 0x0
	s_delay_alu instid0(VALU_DEP_1)
	v_cmpx_ne_u16_e32 0, v1
	s_cbranch_execz .LBB187_473
; %bb.466:                              ;   in Loop: Header=BB187_12 Depth=1
	v_mov_b64_e32 v[124:125], 0x80000000
	v_and_b32_e32 v1, 0xff, v0
	s_mov_b32 s19, exec_lo
	s_delay_alu instid0(VALU_DEP_1)
	v_cmpx_ne_u16_e32 0x80, v1
	s_cbranch_execz .LBB187_472
; %bb.467:                              ;   in Loop: Header=BB187_12 Depth=1
	v_mov_b64_e32 v[124:125], 0x7f800001
	v_and_b32_e32 v6, 0x7f, v0
	s_mov_b32 s20, exec_lo
	s_delay_alu instid0(VALU_DEP_1)
	v_cmpx_ne_u32_e32 0x7f, v6
	s_cbranch_execz .LBB187_471
; %bb.468:                              ;   in Loop: Header=BB187_12 Depth=1
	v_dual_lshrrev_b32 v1, 3, v6 :: v_dual_bitop2_b32 v24, 7, v0 bitop3:0x40
	s_mov_b32 s21, exec_lo
	v_cmpx_gt_u32_e32 8, v6
; %bb.469:                              ;   in Loop: Header=BB187_12 Depth=1
	s_delay_alu instid0(VALU_DEP_2) | instskip(NEXT) | instid1(VALU_DEP_1)
	v_clz_i32_u32_e32 v1, v24
	v_min_u32_e32 v1, 32, v1
	s_delay_alu instid0(VALU_DEP_1) | instskip(NEXT) | instid1(VALU_DEP_1)
	v_subrev_nc_u32_e32 v6, 28, v1
	v_lshlrev_b64_e32 v[6:7], v6, v[24:25]
	s_delay_alu instid0(VALU_DEP_1)
	v_dual_sub_nc_u32 v1, 29, v1 :: v_dual_bitop2_b32 v24, 7, v6 bitop3:0x40
; %bb.470:                              ;   in Loop: Header=BB187_12 Depth=1
	s_or_b32 exec_lo, exec_lo, s21
	v_lshlrev_b32_e32 v6, 24, v0
	s_delay_alu instid0(VALU_DEP_2) | instskip(NEXT) | instid1(VALU_DEP_3)
	v_lshlrev_b32_e32 v7, 20, v24
	v_lshl_add_u32 v1, v1, 23, 0x3c000000
	s_delay_alu instid0(VALU_DEP_3) | instskip(NEXT) | instid1(VALU_DEP_1)
	v_and_b32_e32 v6, 0x80000000, v6
	v_or3_b32 v24, v7, v6, v1
	s_delay_alu instid0(VALU_DEP_1)
	v_mov_b64_e32 v[124:125], v[24:25]
.LBB187_471:                            ;   in Loop: Header=BB187_12 Depth=1
	s_or_b32 exec_lo, exec_lo, s20
.LBB187_472:                            ;   in Loop: Header=BB187_12 Depth=1
	s_delay_alu instid0(SALU_CYCLE_1)
	s_or_b32 exec_lo, exec_lo, s19
.LBB187_473:                            ;   in Loop: Header=BB187_12 Depth=1
	s_delay_alu instid0(SALU_CYCLE_1) | instskip(SKIP_2) | instid1(VALU_DEP_1)
	s_or_b32 exec_lo, exec_lo, s18
	v_lshrrev_b16 v1, 8, v0
	s_mov_b32 s18, exec_lo
	v_cmpx_ne_u16_e32 0, v1
	s_cbranch_execz .LBB187_481
; %bb.474:                              ;   in Loop: Header=BB187_12 Depth=1
	v_mov_b64_e32 v[14:15], 0x8000000000000000
	s_mov_b32 s19, exec_lo
	v_cmpx_ne_u16_e32 0x80, v1
	s_cbranch_execz .LBB187_480
; %bb.475:                              ;   in Loop: Header=BB187_12 Depth=1
	v_and_b32_e32 v1, 0xffff, v1
	v_mov_b64_e32 v[14:15], 0x7f80000100000000
	s_mov_b32 s20, exec_lo
	s_delay_alu instid0(VALU_DEP_2) | instskip(NEXT) | instid1(VALU_DEP_1)
	v_and_b32_e32 v6, 0x7f, v1
	v_cmpx_ne_u32_e32 0x7f, v6
	s_cbranch_execz .LBB187_479
; %bb.476:                              ;   in Loop: Header=BB187_12 Depth=1
	v_dual_lshrrev_b32 v1, 3, v6 :: v_dual_bitop2_b32 v24, 7, v1 bitop3:0x40
	s_mov_b32 s21, exec_lo
	v_cmpx_gt_u32_e32 8, v6
; %bb.477:                              ;   in Loop: Header=BB187_12 Depth=1
	s_delay_alu instid0(VALU_DEP_2) | instskip(NEXT) | instid1(VALU_DEP_1)
	v_clz_i32_u32_e32 v1, v24
	v_min_u32_e32 v1, 32, v1
	s_delay_alu instid0(VALU_DEP_1) | instskip(NEXT) | instid1(VALU_DEP_1)
	v_subrev_nc_u32_e32 v6, 28, v1
	v_lshlrev_b64_e32 v[6:7], v6, v[24:25]
	s_delay_alu instid0(VALU_DEP_1)
	v_dual_sub_nc_u32 v1, 29, v1 :: v_dual_bitop2_b32 v24, 7, v6 bitop3:0x40
; %bb.478:                              ;   in Loop: Header=BB187_12 Depth=1
	s_or_b32 exec_lo, exec_lo, s21
	v_dual_lshlrev_b32 v0, 16, v0 :: v_dual_mov_b32 v14, v25
	s_delay_alu instid0(VALU_DEP_2) | instskip(NEXT) | instid1(VALU_DEP_3)
	v_lshlrev_b32_e32 v6, 20, v24
	v_lshl_add_u32 v1, v1, 23, 0x3c000000
	s_delay_alu instid0(VALU_DEP_3) | instskip(NEXT) | instid1(VALU_DEP_1)
	v_and_b32_e32 v0, 0x80000000, v0
	v_or3_b32 v15, v6, v0, v1
.LBB187_479:                            ;   in Loop: Header=BB187_12 Depth=1
	s_or_b32 exec_lo, exec_lo, s20
.LBB187_480:                            ;   in Loop: Header=BB187_12 Depth=1
	s_delay_alu instid0(SALU_CYCLE_1)
	s_or_b32 exec_lo, exec_lo, s19
.LBB187_481:                            ;   in Loop: Header=BB187_12 Depth=1
	s_delay_alu instid0(SALU_CYCLE_1)
	s_or_b32 exec_lo, exec_lo, s18
	flat_load_u16 v1, v[76:77] offset:1796
	v_mov_b64_e32 v[30:31], 0
	v_mov_b64_e32 v[32:33], 0
	s_mov_b32 s18, exec_lo
	s_wait_loadcnt_dscnt 0x0
	v_and_b32_e32 v0, 0xffff, v1
	v_and_b32_e32 v1, 0xff, v1
	s_wait_xcnt 0x0
	s_delay_alu instid0(VALU_DEP_1)
	v_cmpx_ne_u16_e32 0, v1
	s_cbranch_execz .LBB187_489
; %bb.482:                              ;   in Loop: Header=BB187_12 Depth=1
	v_mov_b64_e32 v[32:33], 0x80000000
	v_and_b32_e32 v1, 0xff, v0
	s_mov_b32 s19, exec_lo
	s_delay_alu instid0(VALU_DEP_1)
	v_cmpx_ne_u16_e32 0x80, v1
	s_cbranch_execz .LBB187_488
; %bb.483:                              ;   in Loop: Header=BB187_12 Depth=1
	v_mov_b64_e32 v[32:33], 0x7f800001
	v_and_b32_e32 v6, 0x7f, v0
	s_mov_b32 s20, exec_lo
	s_delay_alu instid0(VALU_DEP_1)
	v_cmpx_ne_u32_e32 0x7f, v6
	s_cbranch_execz .LBB187_487
; %bb.484:                              ;   in Loop: Header=BB187_12 Depth=1
	v_dual_lshrrev_b32 v1, 3, v6 :: v_dual_bitop2_b32 v24, 7, v0 bitop3:0x40
	s_mov_b32 s21, exec_lo
	v_cmpx_gt_u32_e32 8, v6
; %bb.485:                              ;   in Loop: Header=BB187_12 Depth=1
	s_delay_alu instid0(VALU_DEP_2) | instskip(NEXT) | instid1(VALU_DEP_1)
	v_clz_i32_u32_e32 v1, v24
	v_min_u32_e32 v1, 32, v1
	s_delay_alu instid0(VALU_DEP_1) | instskip(NEXT) | instid1(VALU_DEP_1)
	v_subrev_nc_u32_e32 v6, 28, v1
	v_lshlrev_b64_e32 v[6:7], v6, v[24:25]
	s_delay_alu instid0(VALU_DEP_1)
	v_dual_sub_nc_u32 v1, 29, v1 :: v_dual_bitop2_b32 v24, 7, v6 bitop3:0x40
; %bb.486:                              ;   in Loop: Header=BB187_12 Depth=1
	s_or_b32 exec_lo, exec_lo, s21
	v_lshlrev_b32_e32 v6, 24, v0
	s_delay_alu instid0(VALU_DEP_2) | instskip(NEXT) | instid1(VALU_DEP_3)
	v_lshlrev_b32_e32 v7, 20, v24
	v_lshl_add_u32 v1, v1, 23, 0x3c000000
	s_delay_alu instid0(VALU_DEP_3) | instskip(NEXT) | instid1(VALU_DEP_1)
	v_and_b32_e32 v6, 0x80000000, v6
	v_or3_b32 v24, v7, v6, v1
	s_delay_alu instid0(VALU_DEP_1)
	v_mov_b64_e32 v[32:33], v[24:25]
.LBB187_487:                            ;   in Loop: Header=BB187_12 Depth=1
	s_or_b32 exec_lo, exec_lo, s20
.LBB187_488:                            ;   in Loop: Header=BB187_12 Depth=1
	s_delay_alu instid0(SALU_CYCLE_1)
	s_or_b32 exec_lo, exec_lo, s19
.LBB187_489:                            ;   in Loop: Header=BB187_12 Depth=1
	s_delay_alu instid0(SALU_CYCLE_1) | instskip(SKIP_2) | instid1(VALU_DEP_1)
	s_or_b32 exec_lo, exec_lo, s18
	v_lshrrev_b16 v1, 8, v0
	s_mov_b32 s18, exec_lo
	v_cmpx_ne_u16_e32 0, v1
	s_cbranch_execz .LBB187_497
; %bb.490:                              ;   in Loop: Header=BB187_12 Depth=1
	v_mov_b64_e32 v[30:31], 0x8000000000000000
	s_mov_b32 s19, exec_lo
	v_cmpx_ne_u16_e32 0x80, v1
	s_cbranch_execz .LBB187_496
; %bb.491:                              ;   in Loop: Header=BB187_12 Depth=1
	v_and_b32_e32 v1, 0xffff, v1
	v_mov_b64_e32 v[30:31], 0x7f80000100000000
	s_mov_b32 s20, exec_lo
	s_delay_alu instid0(VALU_DEP_2) | instskip(NEXT) | instid1(VALU_DEP_1)
	v_and_b32_e32 v6, 0x7f, v1
	v_cmpx_ne_u32_e32 0x7f, v6
	s_cbranch_execz .LBB187_495
; %bb.492:                              ;   in Loop: Header=BB187_12 Depth=1
	v_dual_lshrrev_b32 v1, 3, v6 :: v_dual_bitop2_b32 v24, 7, v1 bitop3:0x40
	s_mov_b32 s21, exec_lo
	v_cmpx_gt_u32_e32 8, v6
; %bb.493:                              ;   in Loop: Header=BB187_12 Depth=1
	s_delay_alu instid0(VALU_DEP_2) | instskip(NEXT) | instid1(VALU_DEP_1)
	v_clz_i32_u32_e32 v1, v24
	v_min_u32_e32 v1, 32, v1
	s_delay_alu instid0(VALU_DEP_1) | instskip(NEXT) | instid1(VALU_DEP_1)
	v_subrev_nc_u32_e32 v6, 28, v1
	v_lshlrev_b64_e32 v[6:7], v6, v[24:25]
	s_delay_alu instid0(VALU_DEP_1)
	v_dual_sub_nc_u32 v1, 29, v1 :: v_dual_bitop2_b32 v24, 7, v6 bitop3:0x40
; %bb.494:                              ;   in Loop: Header=BB187_12 Depth=1
	s_or_b32 exec_lo, exec_lo, s21
	v_dual_lshlrev_b32 v0, 16, v0 :: v_dual_mov_b32 v30, v25
	s_delay_alu instid0(VALU_DEP_2) | instskip(NEXT) | instid1(VALU_DEP_3)
	v_lshlrev_b32_e32 v6, 20, v24
	v_lshl_add_u32 v1, v1, 23, 0x3c000000
	s_delay_alu instid0(VALU_DEP_3) | instskip(NEXT) | instid1(VALU_DEP_1)
	v_and_b32_e32 v0, 0x80000000, v0
	v_or3_b32 v31, v6, v0, v1
.LBB187_495:                            ;   in Loop: Header=BB187_12 Depth=1
	s_or_b32 exec_lo, exec_lo, s20
.LBB187_496:                            ;   in Loop: Header=BB187_12 Depth=1
	s_delay_alu instid0(SALU_CYCLE_1)
	s_or_b32 exec_lo, exec_lo, s19
.LBB187_497:                            ;   in Loop: Header=BB187_12 Depth=1
	s_delay_alu instid0(SALU_CYCLE_1)
	s_or_b32 exec_lo, exec_lo, s18
	flat_load_u16 v1, v[76:77] offset:1800
	v_mov_b64_e32 v[34:35], 0
	v_mov_b64_e32 v[36:37], 0
	s_mov_b32 s18, exec_lo
	s_wait_loadcnt_dscnt 0x0
	v_and_b32_e32 v0, 0xffff, v1
	v_and_b32_e32 v1, 0xff, v1
	s_wait_xcnt 0x0
	s_delay_alu instid0(VALU_DEP_1)
	v_cmpx_ne_u16_e32 0, v1
	s_cbranch_execz .LBB187_505
; %bb.498:                              ;   in Loop: Header=BB187_12 Depth=1
	v_mov_b64_e32 v[36:37], 0x80000000
	v_and_b32_e32 v1, 0xff, v0
	s_mov_b32 s19, exec_lo
	s_delay_alu instid0(VALU_DEP_1)
	v_cmpx_ne_u16_e32 0x80, v1
	s_cbranch_execz .LBB187_504
; %bb.499:                              ;   in Loop: Header=BB187_12 Depth=1
	v_mov_b64_e32 v[36:37], 0x7f800001
	v_and_b32_e32 v6, 0x7f, v0
	s_mov_b32 s20, exec_lo
	s_delay_alu instid0(VALU_DEP_1)
	v_cmpx_ne_u32_e32 0x7f, v6
	s_cbranch_execz .LBB187_503
; %bb.500:                              ;   in Loop: Header=BB187_12 Depth=1
	v_dual_lshrrev_b32 v1, 3, v6 :: v_dual_bitop2_b32 v24, 7, v0 bitop3:0x40
	s_mov_b32 s21, exec_lo
	v_cmpx_gt_u32_e32 8, v6
; %bb.501:                              ;   in Loop: Header=BB187_12 Depth=1
	s_delay_alu instid0(VALU_DEP_2) | instskip(NEXT) | instid1(VALU_DEP_1)
	v_clz_i32_u32_e32 v1, v24
	v_min_u32_e32 v1, 32, v1
	s_delay_alu instid0(VALU_DEP_1) | instskip(NEXT) | instid1(VALU_DEP_1)
	v_subrev_nc_u32_e32 v6, 28, v1
	v_lshlrev_b64_e32 v[6:7], v6, v[24:25]
	s_delay_alu instid0(VALU_DEP_1)
	v_dual_sub_nc_u32 v1, 29, v1 :: v_dual_bitop2_b32 v24, 7, v6 bitop3:0x40
; %bb.502:                              ;   in Loop: Header=BB187_12 Depth=1
	s_or_b32 exec_lo, exec_lo, s21
	v_lshlrev_b32_e32 v6, 24, v0
	s_delay_alu instid0(VALU_DEP_2) | instskip(NEXT) | instid1(VALU_DEP_3)
	v_lshlrev_b32_e32 v7, 20, v24
	v_lshl_add_u32 v1, v1, 23, 0x3c000000
	s_delay_alu instid0(VALU_DEP_3) | instskip(NEXT) | instid1(VALU_DEP_1)
	v_and_b32_e32 v6, 0x80000000, v6
	v_or3_b32 v24, v7, v6, v1
	s_delay_alu instid0(VALU_DEP_1)
	v_mov_b64_e32 v[36:37], v[24:25]
.LBB187_503:                            ;   in Loop: Header=BB187_12 Depth=1
	s_or_b32 exec_lo, exec_lo, s20
.LBB187_504:                            ;   in Loop: Header=BB187_12 Depth=1
	s_delay_alu instid0(SALU_CYCLE_1)
	s_or_b32 exec_lo, exec_lo, s19
.LBB187_505:                            ;   in Loop: Header=BB187_12 Depth=1
	s_delay_alu instid0(SALU_CYCLE_1) | instskip(SKIP_2) | instid1(VALU_DEP_1)
	s_or_b32 exec_lo, exec_lo, s18
	v_lshrrev_b16 v1, 8, v0
	s_mov_b32 s18, exec_lo
	v_cmpx_ne_u16_e32 0, v1
	s_cbranch_execz .LBB187_513
; %bb.506:                              ;   in Loop: Header=BB187_12 Depth=1
	v_mov_b64_e32 v[34:35], 0x8000000000000000
	s_mov_b32 s19, exec_lo
	v_cmpx_ne_u16_e32 0x80, v1
	s_cbranch_execz .LBB187_512
; %bb.507:                              ;   in Loop: Header=BB187_12 Depth=1
	v_and_b32_e32 v1, 0xffff, v1
	v_mov_b64_e32 v[34:35], 0x7f80000100000000
	s_mov_b32 s20, exec_lo
	s_delay_alu instid0(VALU_DEP_2) | instskip(NEXT) | instid1(VALU_DEP_1)
	v_and_b32_e32 v6, 0x7f, v1
	v_cmpx_ne_u32_e32 0x7f, v6
	s_cbranch_execz .LBB187_511
; %bb.508:                              ;   in Loop: Header=BB187_12 Depth=1
	v_dual_lshrrev_b32 v1, 3, v6 :: v_dual_bitop2_b32 v24, 7, v1 bitop3:0x40
	s_mov_b32 s21, exec_lo
	v_cmpx_gt_u32_e32 8, v6
; %bb.509:                              ;   in Loop: Header=BB187_12 Depth=1
	s_delay_alu instid0(VALU_DEP_2) | instskip(NEXT) | instid1(VALU_DEP_1)
	v_clz_i32_u32_e32 v1, v24
	v_min_u32_e32 v1, 32, v1
	s_delay_alu instid0(VALU_DEP_1) | instskip(NEXT) | instid1(VALU_DEP_1)
	v_subrev_nc_u32_e32 v6, 28, v1
	v_lshlrev_b64_e32 v[6:7], v6, v[24:25]
	s_delay_alu instid0(VALU_DEP_1)
	v_dual_sub_nc_u32 v1, 29, v1 :: v_dual_bitop2_b32 v24, 7, v6 bitop3:0x40
; %bb.510:                              ;   in Loop: Header=BB187_12 Depth=1
	s_or_b32 exec_lo, exec_lo, s21
	v_dual_lshlrev_b32 v0, 16, v0 :: v_dual_mov_b32 v34, v25
	s_delay_alu instid0(VALU_DEP_2) | instskip(NEXT) | instid1(VALU_DEP_3)
	v_lshlrev_b32_e32 v6, 20, v24
	v_lshl_add_u32 v1, v1, 23, 0x3c000000
	s_delay_alu instid0(VALU_DEP_3) | instskip(NEXT) | instid1(VALU_DEP_1)
	v_and_b32_e32 v0, 0x80000000, v0
	v_or3_b32 v35, v6, v0, v1
.LBB187_511:                            ;   in Loop: Header=BB187_12 Depth=1
	s_or_b32 exec_lo, exec_lo, s20
.LBB187_512:                            ;   in Loop: Header=BB187_12 Depth=1
	s_delay_alu instid0(SALU_CYCLE_1)
	s_or_b32 exec_lo, exec_lo, s19
.LBB187_513:                            ;   in Loop: Header=BB187_12 Depth=1
	s_delay_alu instid0(SALU_CYCLE_1)
	s_or_b32 exec_lo, exec_lo, s18
	flat_load_u16 v1, v[76:77] offset:1804
	v_mov_b64_e32 v[38:39], 0
	v_mov_b64_e32 v[48:49], 0
	s_mov_b32 s18, exec_lo
	s_wait_loadcnt_dscnt 0x0
	v_and_b32_e32 v0, 0xffff, v1
	v_and_b32_e32 v1, 0xff, v1
	s_wait_xcnt 0x0
	s_delay_alu instid0(VALU_DEP_1)
	v_cmpx_ne_u16_e32 0, v1
	s_cbranch_execz .LBB187_521
; %bb.514:                              ;   in Loop: Header=BB187_12 Depth=1
	v_mov_b64_e32 v[48:49], 0x80000000
	v_and_b32_e32 v1, 0xff, v0
	s_mov_b32 s19, exec_lo
	s_delay_alu instid0(VALU_DEP_1)
	v_cmpx_ne_u16_e32 0x80, v1
	s_cbranch_execz .LBB187_520
; %bb.515:                              ;   in Loop: Header=BB187_12 Depth=1
	v_mov_b64_e32 v[48:49], 0x7f800001
	v_and_b32_e32 v6, 0x7f, v0
	s_mov_b32 s20, exec_lo
	s_delay_alu instid0(VALU_DEP_1)
	v_cmpx_ne_u32_e32 0x7f, v6
	s_cbranch_execz .LBB187_519
; %bb.516:                              ;   in Loop: Header=BB187_12 Depth=1
	v_dual_lshrrev_b32 v1, 3, v6 :: v_dual_bitop2_b32 v24, 7, v0 bitop3:0x40
	s_mov_b32 s21, exec_lo
	v_cmpx_gt_u32_e32 8, v6
; %bb.517:                              ;   in Loop: Header=BB187_12 Depth=1
	s_delay_alu instid0(VALU_DEP_2) | instskip(NEXT) | instid1(VALU_DEP_1)
	v_clz_i32_u32_e32 v1, v24
	v_min_u32_e32 v1, 32, v1
	s_delay_alu instid0(VALU_DEP_1) | instskip(NEXT) | instid1(VALU_DEP_1)
	v_subrev_nc_u32_e32 v6, 28, v1
	v_lshlrev_b64_e32 v[6:7], v6, v[24:25]
	s_delay_alu instid0(VALU_DEP_1)
	v_dual_sub_nc_u32 v1, 29, v1 :: v_dual_bitop2_b32 v24, 7, v6 bitop3:0x40
; %bb.518:                              ;   in Loop: Header=BB187_12 Depth=1
	s_or_b32 exec_lo, exec_lo, s21
	v_lshlrev_b32_e32 v6, 24, v0
	s_delay_alu instid0(VALU_DEP_2) | instskip(NEXT) | instid1(VALU_DEP_3)
	v_lshlrev_b32_e32 v7, 20, v24
	v_lshl_add_u32 v1, v1, 23, 0x3c000000
	s_delay_alu instid0(VALU_DEP_3) | instskip(NEXT) | instid1(VALU_DEP_1)
	v_and_b32_e32 v6, 0x80000000, v6
	v_or3_b32 v24, v7, v6, v1
	s_delay_alu instid0(VALU_DEP_1)
	v_mov_b64_e32 v[48:49], v[24:25]
.LBB187_519:                            ;   in Loop: Header=BB187_12 Depth=1
	s_or_b32 exec_lo, exec_lo, s20
.LBB187_520:                            ;   in Loop: Header=BB187_12 Depth=1
	s_delay_alu instid0(SALU_CYCLE_1)
	s_or_b32 exec_lo, exec_lo, s19
.LBB187_521:                            ;   in Loop: Header=BB187_12 Depth=1
	s_delay_alu instid0(SALU_CYCLE_1) | instskip(SKIP_2) | instid1(VALU_DEP_1)
	s_or_b32 exec_lo, exec_lo, s18
	v_lshrrev_b16 v1, 8, v0
	s_mov_b32 s18, exec_lo
	v_cmpx_ne_u16_e32 0, v1
	s_cbranch_execz .LBB187_529
; %bb.522:                              ;   in Loop: Header=BB187_12 Depth=1
	v_mov_b64_e32 v[38:39], 0x8000000000000000
	s_mov_b32 s19, exec_lo
	v_cmpx_ne_u16_e32 0x80, v1
	s_cbranch_execz .LBB187_528
; %bb.523:                              ;   in Loop: Header=BB187_12 Depth=1
	v_and_b32_e32 v1, 0xffff, v1
	v_mov_b64_e32 v[38:39], 0x7f80000100000000
	s_mov_b32 s20, exec_lo
	s_delay_alu instid0(VALU_DEP_2) | instskip(NEXT) | instid1(VALU_DEP_1)
	v_and_b32_e32 v6, 0x7f, v1
	v_cmpx_ne_u32_e32 0x7f, v6
	s_cbranch_execz .LBB187_527
; %bb.524:                              ;   in Loop: Header=BB187_12 Depth=1
	v_dual_lshrrev_b32 v1, 3, v6 :: v_dual_bitop2_b32 v24, 7, v1 bitop3:0x40
	s_mov_b32 s21, exec_lo
	v_cmpx_gt_u32_e32 8, v6
; %bb.525:                              ;   in Loop: Header=BB187_12 Depth=1
	s_delay_alu instid0(VALU_DEP_2) | instskip(NEXT) | instid1(VALU_DEP_1)
	v_clz_i32_u32_e32 v1, v24
	v_min_u32_e32 v1, 32, v1
	s_delay_alu instid0(VALU_DEP_1) | instskip(NEXT) | instid1(VALU_DEP_1)
	v_subrev_nc_u32_e32 v6, 28, v1
	v_lshlrev_b64_e32 v[6:7], v6, v[24:25]
	s_delay_alu instid0(VALU_DEP_1)
	v_dual_sub_nc_u32 v1, 29, v1 :: v_dual_bitop2_b32 v24, 7, v6 bitop3:0x40
; %bb.526:                              ;   in Loop: Header=BB187_12 Depth=1
	s_or_b32 exec_lo, exec_lo, s21
	v_dual_lshlrev_b32 v0, 16, v0 :: v_dual_mov_b32 v38, v25
	s_delay_alu instid0(VALU_DEP_2) | instskip(NEXT) | instid1(VALU_DEP_3)
	v_lshlrev_b32_e32 v6, 20, v24
	v_lshl_add_u32 v1, v1, 23, 0x3c000000
	s_delay_alu instid0(VALU_DEP_3) | instskip(NEXT) | instid1(VALU_DEP_1)
	v_and_b32_e32 v0, 0x80000000, v0
	v_or3_b32 v39, v6, v0, v1
.LBB187_527:                            ;   in Loop: Header=BB187_12 Depth=1
	s_or_b32 exec_lo, exec_lo, s20
.LBB187_528:                            ;   in Loop: Header=BB187_12 Depth=1
	s_delay_alu instid0(SALU_CYCLE_1)
	s_or_b32 exec_lo, exec_lo, s19
.LBB187_529:                            ;   in Loop: Header=BB187_12 Depth=1
	s_delay_alu instid0(SALU_CYCLE_1)
	s_or_b32 exec_lo, exec_lo, s18
	flat_load_u16 v1, v[76:77] offset:2048
	v_mov_b64_e32 v[50:51], 0
	v_mov_b64_e32 v[52:53], 0
	s_mov_b32 s18, exec_lo
	s_wait_loadcnt_dscnt 0x0
	v_and_b32_e32 v0, 0xffff, v1
	v_and_b32_e32 v1, 0xff, v1
	s_wait_xcnt 0x0
	s_delay_alu instid0(VALU_DEP_1)
	v_cmpx_ne_u16_e32 0, v1
	s_cbranch_execz .LBB187_537
; %bb.530:                              ;   in Loop: Header=BB187_12 Depth=1
	v_mov_b64_e32 v[52:53], 0x80000000
	v_and_b32_e32 v1, 0xff, v0
	s_mov_b32 s19, exec_lo
	s_delay_alu instid0(VALU_DEP_1)
	v_cmpx_ne_u16_e32 0x80, v1
	s_cbranch_execz .LBB187_536
; %bb.531:                              ;   in Loop: Header=BB187_12 Depth=1
	v_mov_b64_e32 v[52:53], 0x7f800001
	v_and_b32_e32 v6, 0x7f, v0
	s_mov_b32 s20, exec_lo
	s_delay_alu instid0(VALU_DEP_1)
	v_cmpx_ne_u32_e32 0x7f, v6
	s_cbranch_execz .LBB187_535
; %bb.532:                              ;   in Loop: Header=BB187_12 Depth=1
	v_dual_lshrrev_b32 v1, 3, v6 :: v_dual_bitop2_b32 v24, 7, v0 bitop3:0x40
	s_mov_b32 s21, exec_lo
	v_cmpx_gt_u32_e32 8, v6
; %bb.533:                              ;   in Loop: Header=BB187_12 Depth=1
	s_delay_alu instid0(VALU_DEP_2) | instskip(NEXT) | instid1(VALU_DEP_1)
	v_clz_i32_u32_e32 v1, v24
	v_min_u32_e32 v1, 32, v1
	s_delay_alu instid0(VALU_DEP_1) | instskip(NEXT) | instid1(VALU_DEP_1)
	v_subrev_nc_u32_e32 v6, 28, v1
	v_lshlrev_b64_e32 v[6:7], v6, v[24:25]
	s_delay_alu instid0(VALU_DEP_1)
	v_dual_sub_nc_u32 v1, 29, v1 :: v_dual_bitop2_b32 v24, 7, v6 bitop3:0x40
; %bb.534:                              ;   in Loop: Header=BB187_12 Depth=1
	s_or_b32 exec_lo, exec_lo, s21
	v_lshlrev_b32_e32 v6, 24, v0
	s_delay_alu instid0(VALU_DEP_2) | instskip(NEXT) | instid1(VALU_DEP_3)
	v_lshlrev_b32_e32 v7, 20, v24
	v_lshl_add_u32 v1, v1, 23, 0x3c000000
	s_delay_alu instid0(VALU_DEP_3) | instskip(NEXT) | instid1(VALU_DEP_1)
	v_and_b32_e32 v6, 0x80000000, v6
	v_or3_b32 v24, v7, v6, v1
	s_delay_alu instid0(VALU_DEP_1)
	v_mov_b64_e32 v[52:53], v[24:25]
.LBB187_535:                            ;   in Loop: Header=BB187_12 Depth=1
	s_or_b32 exec_lo, exec_lo, s20
.LBB187_536:                            ;   in Loop: Header=BB187_12 Depth=1
	s_delay_alu instid0(SALU_CYCLE_1)
	s_or_b32 exec_lo, exec_lo, s19
.LBB187_537:                            ;   in Loop: Header=BB187_12 Depth=1
	s_delay_alu instid0(SALU_CYCLE_1) | instskip(SKIP_2) | instid1(VALU_DEP_1)
	s_or_b32 exec_lo, exec_lo, s18
	v_lshrrev_b16 v1, 8, v0
	s_mov_b32 s18, exec_lo
	v_cmpx_ne_u16_e32 0, v1
	s_cbranch_execz .LBB187_545
; %bb.538:                              ;   in Loop: Header=BB187_12 Depth=1
	v_mov_b64_e32 v[50:51], 0x8000000000000000
	s_mov_b32 s19, exec_lo
	v_cmpx_ne_u16_e32 0x80, v1
	s_cbranch_execz .LBB187_544
; %bb.539:                              ;   in Loop: Header=BB187_12 Depth=1
	v_and_b32_e32 v1, 0xffff, v1
	v_mov_b64_e32 v[50:51], 0x7f80000100000000
	s_mov_b32 s20, exec_lo
	s_delay_alu instid0(VALU_DEP_2) | instskip(NEXT) | instid1(VALU_DEP_1)
	v_and_b32_e32 v6, 0x7f, v1
	v_cmpx_ne_u32_e32 0x7f, v6
	s_cbranch_execz .LBB187_543
; %bb.540:                              ;   in Loop: Header=BB187_12 Depth=1
	v_dual_lshrrev_b32 v1, 3, v6 :: v_dual_bitop2_b32 v24, 7, v1 bitop3:0x40
	s_mov_b32 s21, exec_lo
	v_cmpx_gt_u32_e32 8, v6
; %bb.541:                              ;   in Loop: Header=BB187_12 Depth=1
	s_delay_alu instid0(VALU_DEP_2) | instskip(NEXT) | instid1(VALU_DEP_1)
	v_clz_i32_u32_e32 v1, v24
	v_min_u32_e32 v1, 32, v1
	s_delay_alu instid0(VALU_DEP_1) | instskip(NEXT) | instid1(VALU_DEP_1)
	v_subrev_nc_u32_e32 v6, 28, v1
	v_lshlrev_b64_e32 v[6:7], v6, v[24:25]
	s_delay_alu instid0(VALU_DEP_1)
	v_dual_sub_nc_u32 v1, 29, v1 :: v_dual_bitop2_b32 v24, 7, v6 bitop3:0x40
; %bb.542:                              ;   in Loop: Header=BB187_12 Depth=1
	s_or_b32 exec_lo, exec_lo, s21
	v_dual_lshlrev_b32 v0, 16, v0 :: v_dual_mov_b32 v50, v25
	s_delay_alu instid0(VALU_DEP_2) | instskip(NEXT) | instid1(VALU_DEP_3)
	v_lshlrev_b32_e32 v6, 20, v24
	v_lshl_add_u32 v1, v1, 23, 0x3c000000
	s_delay_alu instid0(VALU_DEP_3) | instskip(NEXT) | instid1(VALU_DEP_1)
	v_and_b32_e32 v0, 0x80000000, v0
	v_or3_b32 v51, v6, v0, v1
.LBB187_543:                            ;   in Loop: Header=BB187_12 Depth=1
	s_or_b32 exec_lo, exec_lo, s20
.LBB187_544:                            ;   in Loop: Header=BB187_12 Depth=1
	s_delay_alu instid0(SALU_CYCLE_1)
	s_or_b32 exec_lo, exec_lo, s19
.LBB187_545:                            ;   in Loop: Header=BB187_12 Depth=1
	s_delay_alu instid0(SALU_CYCLE_1)
	s_or_b32 exec_lo, exec_lo, s18
	flat_load_u16 v1, v[76:77] offset:2052
	v_mov_b64_e32 v[54:55], 0
	v_mov_b64_e32 v[64:65], 0
	s_mov_b32 s18, exec_lo
	s_wait_loadcnt_dscnt 0x0
	v_and_b32_e32 v0, 0xffff, v1
	v_and_b32_e32 v1, 0xff, v1
	s_wait_xcnt 0x0
	s_delay_alu instid0(VALU_DEP_1)
	v_cmpx_ne_u16_e32 0, v1
	s_cbranch_execz .LBB187_553
; %bb.546:                              ;   in Loop: Header=BB187_12 Depth=1
	v_mov_b64_e32 v[64:65], 0x80000000
	v_and_b32_e32 v1, 0xff, v0
	s_mov_b32 s19, exec_lo
	s_delay_alu instid0(VALU_DEP_1)
	v_cmpx_ne_u16_e32 0x80, v1
	s_cbranch_execz .LBB187_552
; %bb.547:                              ;   in Loop: Header=BB187_12 Depth=1
	v_mov_b64_e32 v[64:65], 0x7f800001
	v_and_b32_e32 v6, 0x7f, v0
	s_mov_b32 s20, exec_lo
	s_delay_alu instid0(VALU_DEP_1)
	v_cmpx_ne_u32_e32 0x7f, v6
	s_cbranch_execz .LBB187_551
; %bb.548:                              ;   in Loop: Header=BB187_12 Depth=1
	v_dual_lshrrev_b32 v1, 3, v6 :: v_dual_bitop2_b32 v24, 7, v0 bitop3:0x40
	s_mov_b32 s21, exec_lo
	v_cmpx_gt_u32_e32 8, v6
; %bb.549:                              ;   in Loop: Header=BB187_12 Depth=1
	s_delay_alu instid0(VALU_DEP_2) | instskip(NEXT) | instid1(VALU_DEP_1)
	v_clz_i32_u32_e32 v1, v24
	v_min_u32_e32 v1, 32, v1
	s_delay_alu instid0(VALU_DEP_1) | instskip(NEXT) | instid1(VALU_DEP_1)
	v_subrev_nc_u32_e32 v6, 28, v1
	v_lshlrev_b64_e32 v[6:7], v6, v[24:25]
	s_delay_alu instid0(VALU_DEP_1)
	v_dual_sub_nc_u32 v1, 29, v1 :: v_dual_bitop2_b32 v24, 7, v6 bitop3:0x40
; %bb.550:                              ;   in Loop: Header=BB187_12 Depth=1
	s_or_b32 exec_lo, exec_lo, s21
	v_lshlrev_b32_e32 v6, 24, v0
	s_delay_alu instid0(VALU_DEP_2) | instskip(NEXT) | instid1(VALU_DEP_3)
	v_lshlrev_b32_e32 v7, 20, v24
	v_lshl_add_u32 v1, v1, 23, 0x3c000000
	s_delay_alu instid0(VALU_DEP_3) | instskip(NEXT) | instid1(VALU_DEP_1)
	v_and_b32_e32 v6, 0x80000000, v6
	v_or3_b32 v24, v7, v6, v1
	s_delay_alu instid0(VALU_DEP_1)
	v_mov_b64_e32 v[64:65], v[24:25]
.LBB187_551:                            ;   in Loop: Header=BB187_12 Depth=1
	s_or_b32 exec_lo, exec_lo, s20
.LBB187_552:                            ;   in Loop: Header=BB187_12 Depth=1
	s_delay_alu instid0(SALU_CYCLE_1)
	s_or_b32 exec_lo, exec_lo, s19
.LBB187_553:                            ;   in Loop: Header=BB187_12 Depth=1
	s_delay_alu instid0(SALU_CYCLE_1) | instskip(SKIP_2) | instid1(VALU_DEP_1)
	s_or_b32 exec_lo, exec_lo, s18
	v_lshrrev_b16 v1, 8, v0
	s_mov_b32 s18, exec_lo
	v_cmpx_ne_u16_e32 0, v1
	s_cbranch_execz .LBB187_561
; %bb.554:                              ;   in Loop: Header=BB187_12 Depth=1
	v_mov_b64_e32 v[54:55], 0x8000000000000000
	s_mov_b32 s19, exec_lo
	v_cmpx_ne_u16_e32 0x80, v1
	s_cbranch_execz .LBB187_560
; %bb.555:                              ;   in Loop: Header=BB187_12 Depth=1
	v_and_b32_e32 v1, 0xffff, v1
	v_mov_b64_e32 v[54:55], 0x7f80000100000000
	s_mov_b32 s20, exec_lo
	s_delay_alu instid0(VALU_DEP_2) | instskip(NEXT) | instid1(VALU_DEP_1)
	v_and_b32_e32 v6, 0x7f, v1
	v_cmpx_ne_u32_e32 0x7f, v6
	s_cbranch_execz .LBB187_559
; %bb.556:                              ;   in Loop: Header=BB187_12 Depth=1
	v_dual_lshrrev_b32 v1, 3, v6 :: v_dual_bitop2_b32 v24, 7, v1 bitop3:0x40
	s_mov_b32 s21, exec_lo
	v_cmpx_gt_u32_e32 8, v6
; %bb.557:                              ;   in Loop: Header=BB187_12 Depth=1
	s_delay_alu instid0(VALU_DEP_2) | instskip(NEXT) | instid1(VALU_DEP_1)
	v_clz_i32_u32_e32 v1, v24
	v_min_u32_e32 v1, 32, v1
	s_delay_alu instid0(VALU_DEP_1) | instskip(NEXT) | instid1(VALU_DEP_1)
	v_subrev_nc_u32_e32 v6, 28, v1
	v_lshlrev_b64_e32 v[6:7], v6, v[24:25]
	s_delay_alu instid0(VALU_DEP_1)
	v_dual_sub_nc_u32 v1, 29, v1 :: v_dual_bitop2_b32 v24, 7, v6 bitop3:0x40
; %bb.558:                              ;   in Loop: Header=BB187_12 Depth=1
	s_or_b32 exec_lo, exec_lo, s21
	v_dual_lshlrev_b32 v0, 16, v0 :: v_dual_mov_b32 v54, v25
	s_delay_alu instid0(VALU_DEP_2) | instskip(NEXT) | instid1(VALU_DEP_3)
	v_lshlrev_b32_e32 v6, 20, v24
	v_lshl_add_u32 v1, v1, 23, 0x3c000000
	s_delay_alu instid0(VALU_DEP_3) | instskip(NEXT) | instid1(VALU_DEP_1)
	v_and_b32_e32 v0, 0x80000000, v0
	v_or3_b32 v55, v6, v0, v1
.LBB187_559:                            ;   in Loop: Header=BB187_12 Depth=1
	s_or_b32 exec_lo, exec_lo, s20
.LBB187_560:                            ;   in Loop: Header=BB187_12 Depth=1
	s_delay_alu instid0(SALU_CYCLE_1)
	s_or_b32 exec_lo, exec_lo, s19
.LBB187_561:                            ;   in Loop: Header=BB187_12 Depth=1
	s_delay_alu instid0(SALU_CYCLE_1)
	s_or_b32 exec_lo, exec_lo, s18
	flat_load_u16 v1, v[76:77] offset:2056
	v_mov_b64_e32 v[66:67], 0
	v_mov_b64_e32 v[68:69], 0
	s_mov_b32 s18, exec_lo
	s_wait_loadcnt_dscnt 0x0
	v_and_b32_e32 v0, 0xffff, v1
	v_and_b32_e32 v1, 0xff, v1
	s_wait_xcnt 0x0
	s_delay_alu instid0(VALU_DEP_1)
	v_cmpx_ne_u16_e32 0, v1
	s_cbranch_execz .LBB187_569
; %bb.562:                              ;   in Loop: Header=BB187_12 Depth=1
	v_mov_b64_e32 v[68:69], 0x80000000
	v_and_b32_e32 v1, 0xff, v0
	s_mov_b32 s19, exec_lo
	s_delay_alu instid0(VALU_DEP_1)
	v_cmpx_ne_u16_e32 0x80, v1
	s_cbranch_execz .LBB187_568
; %bb.563:                              ;   in Loop: Header=BB187_12 Depth=1
	v_mov_b64_e32 v[68:69], 0x7f800001
	v_and_b32_e32 v6, 0x7f, v0
	s_mov_b32 s20, exec_lo
	s_delay_alu instid0(VALU_DEP_1)
	v_cmpx_ne_u32_e32 0x7f, v6
	s_cbranch_execz .LBB187_567
; %bb.564:                              ;   in Loop: Header=BB187_12 Depth=1
	v_dual_lshrrev_b32 v1, 3, v6 :: v_dual_bitop2_b32 v24, 7, v0 bitop3:0x40
	s_mov_b32 s21, exec_lo
	v_cmpx_gt_u32_e32 8, v6
; %bb.565:                              ;   in Loop: Header=BB187_12 Depth=1
	s_delay_alu instid0(VALU_DEP_2) | instskip(NEXT) | instid1(VALU_DEP_1)
	v_clz_i32_u32_e32 v1, v24
	v_min_u32_e32 v1, 32, v1
	s_delay_alu instid0(VALU_DEP_1) | instskip(NEXT) | instid1(VALU_DEP_1)
	v_subrev_nc_u32_e32 v6, 28, v1
	v_lshlrev_b64_e32 v[6:7], v6, v[24:25]
	s_delay_alu instid0(VALU_DEP_1)
	v_dual_sub_nc_u32 v1, 29, v1 :: v_dual_bitop2_b32 v24, 7, v6 bitop3:0x40
; %bb.566:                              ;   in Loop: Header=BB187_12 Depth=1
	s_or_b32 exec_lo, exec_lo, s21
	v_lshlrev_b32_e32 v6, 24, v0
	s_delay_alu instid0(VALU_DEP_2) | instskip(NEXT) | instid1(VALU_DEP_3)
	v_lshlrev_b32_e32 v7, 20, v24
	v_lshl_add_u32 v1, v1, 23, 0x3c000000
	s_delay_alu instid0(VALU_DEP_3) | instskip(NEXT) | instid1(VALU_DEP_1)
	v_and_b32_e32 v6, 0x80000000, v6
	v_or3_b32 v24, v7, v6, v1
	s_delay_alu instid0(VALU_DEP_1)
	v_mov_b64_e32 v[68:69], v[24:25]
.LBB187_567:                            ;   in Loop: Header=BB187_12 Depth=1
	s_or_b32 exec_lo, exec_lo, s20
.LBB187_568:                            ;   in Loop: Header=BB187_12 Depth=1
	s_delay_alu instid0(SALU_CYCLE_1)
	s_or_b32 exec_lo, exec_lo, s19
.LBB187_569:                            ;   in Loop: Header=BB187_12 Depth=1
	s_delay_alu instid0(SALU_CYCLE_1) | instskip(SKIP_2) | instid1(VALU_DEP_1)
	s_or_b32 exec_lo, exec_lo, s18
	v_lshrrev_b16 v1, 8, v0
	s_mov_b32 s18, exec_lo
	v_cmpx_ne_u16_e32 0, v1
	s_cbranch_execz .LBB187_577
; %bb.570:                              ;   in Loop: Header=BB187_12 Depth=1
	v_mov_b64_e32 v[66:67], 0x8000000000000000
	s_mov_b32 s19, exec_lo
	v_cmpx_ne_u16_e32 0x80, v1
	s_cbranch_execz .LBB187_576
; %bb.571:                              ;   in Loop: Header=BB187_12 Depth=1
	v_and_b32_e32 v1, 0xffff, v1
	v_mov_b64_e32 v[66:67], 0x7f80000100000000
	s_mov_b32 s20, exec_lo
	s_delay_alu instid0(VALU_DEP_2) | instskip(NEXT) | instid1(VALU_DEP_1)
	v_and_b32_e32 v6, 0x7f, v1
	v_cmpx_ne_u32_e32 0x7f, v6
	s_cbranch_execz .LBB187_575
; %bb.572:                              ;   in Loop: Header=BB187_12 Depth=1
	v_dual_lshrrev_b32 v1, 3, v6 :: v_dual_bitop2_b32 v24, 7, v1 bitop3:0x40
	s_mov_b32 s21, exec_lo
	v_cmpx_gt_u32_e32 8, v6
; %bb.573:                              ;   in Loop: Header=BB187_12 Depth=1
	s_delay_alu instid0(VALU_DEP_2) | instskip(NEXT) | instid1(VALU_DEP_1)
	v_clz_i32_u32_e32 v1, v24
	v_min_u32_e32 v1, 32, v1
	s_delay_alu instid0(VALU_DEP_1) | instskip(NEXT) | instid1(VALU_DEP_1)
	v_subrev_nc_u32_e32 v6, 28, v1
	v_lshlrev_b64_e32 v[6:7], v6, v[24:25]
	s_delay_alu instid0(VALU_DEP_1)
	v_dual_sub_nc_u32 v1, 29, v1 :: v_dual_bitop2_b32 v24, 7, v6 bitop3:0x40
; %bb.574:                              ;   in Loop: Header=BB187_12 Depth=1
	s_or_b32 exec_lo, exec_lo, s21
	v_dual_lshlrev_b32 v0, 16, v0 :: v_dual_mov_b32 v66, v25
	s_delay_alu instid0(VALU_DEP_2) | instskip(NEXT) | instid1(VALU_DEP_3)
	v_lshlrev_b32_e32 v6, 20, v24
	v_lshl_add_u32 v1, v1, 23, 0x3c000000
	s_delay_alu instid0(VALU_DEP_3) | instskip(NEXT) | instid1(VALU_DEP_1)
	v_and_b32_e32 v0, 0x80000000, v0
	v_or3_b32 v67, v6, v0, v1
.LBB187_575:                            ;   in Loop: Header=BB187_12 Depth=1
	s_or_b32 exec_lo, exec_lo, s20
.LBB187_576:                            ;   in Loop: Header=BB187_12 Depth=1
	s_delay_alu instid0(SALU_CYCLE_1)
	s_or_b32 exec_lo, exec_lo, s19
.LBB187_577:                            ;   in Loop: Header=BB187_12 Depth=1
	s_delay_alu instid0(SALU_CYCLE_1)
	s_or_b32 exec_lo, exec_lo, s18
	flat_load_u16 v1, v[76:77] offset:2060
	v_mov_b64_e32 v[70:71], 0
	v_mov_b64_e32 v[80:81], 0
	s_mov_b32 s18, exec_lo
	s_wait_loadcnt_dscnt 0x0
	v_and_b32_e32 v0, 0xffff, v1
	v_and_b32_e32 v1, 0xff, v1
	s_wait_xcnt 0x0
	s_delay_alu instid0(VALU_DEP_1)
	v_cmpx_ne_u16_e32 0, v1
	s_cbranch_execz .LBB187_585
; %bb.578:                              ;   in Loop: Header=BB187_12 Depth=1
	v_mov_b64_e32 v[80:81], 0x80000000
	v_and_b32_e32 v1, 0xff, v0
	s_mov_b32 s19, exec_lo
	s_delay_alu instid0(VALU_DEP_1)
	v_cmpx_ne_u16_e32 0x80, v1
	s_cbranch_execz .LBB187_584
; %bb.579:                              ;   in Loop: Header=BB187_12 Depth=1
	v_mov_b64_e32 v[80:81], 0x7f800001
	v_and_b32_e32 v6, 0x7f, v0
	s_mov_b32 s20, exec_lo
	s_delay_alu instid0(VALU_DEP_1)
	v_cmpx_ne_u32_e32 0x7f, v6
	s_cbranch_execz .LBB187_583
; %bb.580:                              ;   in Loop: Header=BB187_12 Depth=1
	v_dual_lshrrev_b32 v1, 3, v6 :: v_dual_bitop2_b32 v24, 7, v0 bitop3:0x40
	s_mov_b32 s21, exec_lo
	v_cmpx_gt_u32_e32 8, v6
; %bb.581:                              ;   in Loop: Header=BB187_12 Depth=1
	s_delay_alu instid0(VALU_DEP_2) | instskip(NEXT) | instid1(VALU_DEP_1)
	v_clz_i32_u32_e32 v1, v24
	v_min_u32_e32 v1, 32, v1
	s_delay_alu instid0(VALU_DEP_1) | instskip(NEXT) | instid1(VALU_DEP_1)
	v_subrev_nc_u32_e32 v6, 28, v1
	v_lshlrev_b64_e32 v[6:7], v6, v[24:25]
	s_delay_alu instid0(VALU_DEP_1)
	v_dual_sub_nc_u32 v1, 29, v1 :: v_dual_bitop2_b32 v24, 7, v6 bitop3:0x40
; %bb.582:                              ;   in Loop: Header=BB187_12 Depth=1
	s_or_b32 exec_lo, exec_lo, s21
	v_lshlrev_b32_e32 v6, 24, v0
	s_delay_alu instid0(VALU_DEP_2) | instskip(NEXT) | instid1(VALU_DEP_3)
	v_lshlrev_b32_e32 v7, 20, v24
	v_lshl_add_u32 v1, v1, 23, 0x3c000000
	s_delay_alu instid0(VALU_DEP_3) | instskip(NEXT) | instid1(VALU_DEP_1)
	v_and_b32_e32 v6, 0x80000000, v6
	v_or3_b32 v24, v7, v6, v1
	s_delay_alu instid0(VALU_DEP_1)
	v_mov_b64_e32 v[80:81], v[24:25]
.LBB187_583:                            ;   in Loop: Header=BB187_12 Depth=1
	s_or_b32 exec_lo, exec_lo, s20
.LBB187_584:                            ;   in Loop: Header=BB187_12 Depth=1
	s_delay_alu instid0(SALU_CYCLE_1)
	s_or_b32 exec_lo, exec_lo, s19
.LBB187_585:                            ;   in Loop: Header=BB187_12 Depth=1
	s_delay_alu instid0(SALU_CYCLE_1) | instskip(SKIP_2) | instid1(VALU_DEP_1)
	s_or_b32 exec_lo, exec_lo, s18
	v_lshrrev_b16 v1, 8, v0
	s_mov_b32 s18, exec_lo
	v_cmpx_ne_u16_e32 0, v1
	s_cbranch_execz .LBB187_593
; %bb.586:                              ;   in Loop: Header=BB187_12 Depth=1
	v_mov_b64_e32 v[70:71], 0x8000000000000000
	s_mov_b32 s19, exec_lo
	v_cmpx_ne_u16_e32 0x80, v1
	s_cbranch_execz .LBB187_592
; %bb.587:                              ;   in Loop: Header=BB187_12 Depth=1
	v_and_b32_e32 v1, 0xffff, v1
	v_mov_b64_e32 v[70:71], 0x7f80000100000000
	s_mov_b32 s20, exec_lo
	s_delay_alu instid0(VALU_DEP_2) | instskip(NEXT) | instid1(VALU_DEP_1)
	v_and_b32_e32 v6, 0x7f, v1
	v_cmpx_ne_u32_e32 0x7f, v6
	s_cbranch_execz .LBB187_591
; %bb.588:                              ;   in Loop: Header=BB187_12 Depth=1
	v_dual_lshrrev_b32 v1, 3, v6 :: v_dual_bitop2_b32 v24, 7, v1 bitop3:0x40
	s_mov_b32 s21, exec_lo
	v_cmpx_gt_u32_e32 8, v6
; %bb.589:                              ;   in Loop: Header=BB187_12 Depth=1
	s_delay_alu instid0(VALU_DEP_2) | instskip(NEXT) | instid1(VALU_DEP_1)
	v_clz_i32_u32_e32 v1, v24
	v_min_u32_e32 v1, 32, v1
	s_delay_alu instid0(VALU_DEP_1) | instskip(NEXT) | instid1(VALU_DEP_1)
	v_subrev_nc_u32_e32 v6, 28, v1
	v_lshlrev_b64_e32 v[6:7], v6, v[24:25]
	s_delay_alu instid0(VALU_DEP_1)
	v_dual_sub_nc_u32 v1, 29, v1 :: v_dual_bitop2_b32 v24, 7, v6 bitop3:0x40
; %bb.590:                              ;   in Loop: Header=BB187_12 Depth=1
	s_or_b32 exec_lo, exec_lo, s21
	v_dual_lshlrev_b32 v0, 16, v0 :: v_dual_mov_b32 v70, v25
	s_delay_alu instid0(VALU_DEP_2) | instskip(NEXT) | instid1(VALU_DEP_3)
	v_lshlrev_b32_e32 v6, 20, v24
	v_lshl_add_u32 v1, v1, 23, 0x3c000000
	s_delay_alu instid0(VALU_DEP_3) | instskip(NEXT) | instid1(VALU_DEP_1)
	v_and_b32_e32 v0, 0x80000000, v0
	v_or3_b32 v71, v6, v0, v1
.LBB187_591:                            ;   in Loop: Header=BB187_12 Depth=1
	s_or_b32 exec_lo, exec_lo, s20
.LBB187_592:                            ;   in Loop: Header=BB187_12 Depth=1
	s_delay_alu instid0(SALU_CYCLE_1)
	s_or_b32 exec_lo, exec_lo, s19
.LBB187_593:                            ;   in Loop: Header=BB187_12 Depth=1
	s_delay_alu instid0(SALU_CYCLE_1)
	s_or_b32 exec_lo, exec_lo, s18
	flat_load_u16 v1, v[76:77] offset:2304
	v_mov_b64_e32 v[82:83], 0
	v_mov_b64_e32 v[104:105], 0
	s_mov_b32 s18, exec_lo
	s_wait_loadcnt_dscnt 0x0
	v_and_b32_e32 v0, 0xffff, v1
	v_and_b32_e32 v1, 0xff, v1
	s_wait_xcnt 0x0
	s_delay_alu instid0(VALU_DEP_1)
	v_cmpx_ne_u16_e32 0, v1
	s_cbranch_execz .LBB187_601
; %bb.594:                              ;   in Loop: Header=BB187_12 Depth=1
	v_mov_b64_e32 v[104:105], 0x80000000
	v_and_b32_e32 v1, 0xff, v0
	s_mov_b32 s19, exec_lo
	s_delay_alu instid0(VALU_DEP_1)
	v_cmpx_ne_u16_e32 0x80, v1
	s_cbranch_execz .LBB187_600
; %bb.595:                              ;   in Loop: Header=BB187_12 Depth=1
	v_mov_b64_e32 v[104:105], 0x7f800001
	v_and_b32_e32 v6, 0x7f, v0
	s_mov_b32 s20, exec_lo
	s_delay_alu instid0(VALU_DEP_1)
	v_cmpx_ne_u32_e32 0x7f, v6
	s_cbranch_execz .LBB187_599
; %bb.596:                              ;   in Loop: Header=BB187_12 Depth=1
	v_dual_lshrrev_b32 v1, 3, v6 :: v_dual_bitop2_b32 v24, 7, v0 bitop3:0x40
	s_mov_b32 s21, exec_lo
	v_cmpx_gt_u32_e32 8, v6
; %bb.597:                              ;   in Loop: Header=BB187_12 Depth=1
	s_delay_alu instid0(VALU_DEP_2) | instskip(NEXT) | instid1(VALU_DEP_1)
	v_clz_i32_u32_e32 v1, v24
	v_min_u32_e32 v1, 32, v1
	s_delay_alu instid0(VALU_DEP_1) | instskip(NEXT) | instid1(VALU_DEP_1)
	v_subrev_nc_u32_e32 v6, 28, v1
	v_lshlrev_b64_e32 v[6:7], v6, v[24:25]
	s_delay_alu instid0(VALU_DEP_1)
	v_dual_sub_nc_u32 v1, 29, v1 :: v_dual_bitop2_b32 v24, 7, v6 bitop3:0x40
; %bb.598:                              ;   in Loop: Header=BB187_12 Depth=1
	s_or_b32 exec_lo, exec_lo, s21
	v_lshlrev_b32_e32 v6, 24, v0
	s_delay_alu instid0(VALU_DEP_2) | instskip(NEXT) | instid1(VALU_DEP_3)
	v_lshlrev_b32_e32 v7, 20, v24
	v_lshl_add_u32 v1, v1, 23, 0x3c000000
	s_delay_alu instid0(VALU_DEP_3) | instskip(NEXT) | instid1(VALU_DEP_1)
	v_and_b32_e32 v6, 0x80000000, v6
	v_or3_b32 v24, v7, v6, v1
	s_delay_alu instid0(VALU_DEP_1)
	v_mov_b64_e32 v[104:105], v[24:25]
.LBB187_599:                            ;   in Loop: Header=BB187_12 Depth=1
	s_or_b32 exec_lo, exec_lo, s20
.LBB187_600:                            ;   in Loop: Header=BB187_12 Depth=1
	s_delay_alu instid0(SALU_CYCLE_1)
	s_or_b32 exec_lo, exec_lo, s19
.LBB187_601:                            ;   in Loop: Header=BB187_12 Depth=1
	s_delay_alu instid0(SALU_CYCLE_1) | instskip(SKIP_2) | instid1(VALU_DEP_1)
	s_or_b32 exec_lo, exec_lo, s18
	v_lshrrev_b16 v1, 8, v0
	s_mov_b32 s18, exec_lo
	v_cmpx_ne_u16_e32 0, v1
	s_cbranch_execz .LBB187_609
; %bb.602:                              ;   in Loop: Header=BB187_12 Depth=1
	v_mov_b64_e32 v[82:83], 0x8000000000000000
	s_mov_b32 s19, exec_lo
	v_cmpx_ne_u16_e32 0x80, v1
	s_cbranch_execz .LBB187_608
; %bb.603:                              ;   in Loop: Header=BB187_12 Depth=1
	v_and_b32_e32 v1, 0xffff, v1
	v_mov_b64_e32 v[82:83], 0x7f80000100000000
	s_mov_b32 s20, exec_lo
	s_delay_alu instid0(VALU_DEP_2) | instskip(NEXT) | instid1(VALU_DEP_1)
	v_and_b32_e32 v6, 0x7f, v1
	v_cmpx_ne_u32_e32 0x7f, v6
	s_cbranch_execz .LBB187_607
; %bb.604:                              ;   in Loop: Header=BB187_12 Depth=1
	v_dual_lshrrev_b32 v1, 3, v6 :: v_dual_bitop2_b32 v24, 7, v1 bitop3:0x40
	s_mov_b32 s21, exec_lo
	v_cmpx_gt_u32_e32 8, v6
; %bb.605:                              ;   in Loop: Header=BB187_12 Depth=1
	s_delay_alu instid0(VALU_DEP_2) | instskip(NEXT) | instid1(VALU_DEP_1)
	v_clz_i32_u32_e32 v1, v24
	v_min_u32_e32 v1, 32, v1
	s_delay_alu instid0(VALU_DEP_1) | instskip(NEXT) | instid1(VALU_DEP_1)
	v_subrev_nc_u32_e32 v6, 28, v1
	v_lshlrev_b64_e32 v[6:7], v6, v[24:25]
	s_delay_alu instid0(VALU_DEP_1)
	v_dual_sub_nc_u32 v1, 29, v1 :: v_dual_bitop2_b32 v24, 7, v6 bitop3:0x40
; %bb.606:                              ;   in Loop: Header=BB187_12 Depth=1
	s_or_b32 exec_lo, exec_lo, s21
	v_dual_lshlrev_b32 v0, 16, v0 :: v_dual_mov_b32 v82, v25
	s_delay_alu instid0(VALU_DEP_2) | instskip(NEXT) | instid1(VALU_DEP_3)
	v_lshlrev_b32_e32 v6, 20, v24
	v_lshl_add_u32 v1, v1, 23, 0x3c000000
	s_delay_alu instid0(VALU_DEP_3) | instskip(NEXT) | instid1(VALU_DEP_1)
	v_and_b32_e32 v0, 0x80000000, v0
	v_or3_b32 v83, v6, v0, v1
.LBB187_607:                            ;   in Loop: Header=BB187_12 Depth=1
	s_or_b32 exec_lo, exec_lo, s20
.LBB187_608:                            ;   in Loop: Header=BB187_12 Depth=1
	s_delay_alu instid0(SALU_CYCLE_1)
	s_or_b32 exec_lo, exec_lo, s19
.LBB187_609:                            ;   in Loop: Header=BB187_12 Depth=1
	s_delay_alu instid0(SALU_CYCLE_1)
	s_or_b32 exec_lo, exec_lo, s18
	flat_load_u16 v1, v[76:77] offset:2308
	v_mov_b64_e32 v[84:85], 0
	v_mov_b64_e32 v[86:87], 0
	s_mov_b32 s18, exec_lo
	s_wait_loadcnt_dscnt 0x0
	v_and_b32_e32 v0, 0xffff, v1
	v_and_b32_e32 v1, 0xff, v1
	s_wait_xcnt 0x0
	s_delay_alu instid0(VALU_DEP_1)
	v_cmpx_ne_u16_e32 0, v1
	s_cbranch_execz .LBB187_617
; %bb.610:                              ;   in Loop: Header=BB187_12 Depth=1
	v_mov_b64_e32 v[86:87], 0x80000000
	v_and_b32_e32 v1, 0xff, v0
	s_mov_b32 s19, exec_lo
	s_delay_alu instid0(VALU_DEP_1)
	v_cmpx_ne_u16_e32 0x80, v1
	s_cbranch_execz .LBB187_616
; %bb.611:                              ;   in Loop: Header=BB187_12 Depth=1
	v_mov_b64_e32 v[86:87], 0x7f800001
	v_and_b32_e32 v6, 0x7f, v0
	s_mov_b32 s20, exec_lo
	s_delay_alu instid0(VALU_DEP_1)
	v_cmpx_ne_u32_e32 0x7f, v6
	s_cbranch_execz .LBB187_615
; %bb.612:                              ;   in Loop: Header=BB187_12 Depth=1
	v_dual_lshrrev_b32 v1, 3, v6 :: v_dual_bitop2_b32 v24, 7, v0 bitop3:0x40
	s_mov_b32 s21, exec_lo
	v_cmpx_gt_u32_e32 8, v6
; %bb.613:                              ;   in Loop: Header=BB187_12 Depth=1
	s_delay_alu instid0(VALU_DEP_2) | instskip(NEXT) | instid1(VALU_DEP_1)
	v_clz_i32_u32_e32 v1, v24
	v_min_u32_e32 v1, 32, v1
	s_delay_alu instid0(VALU_DEP_1) | instskip(NEXT) | instid1(VALU_DEP_1)
	v_subrev_nc_u32_e32 v6, 28, v1
	v_lshlrev_b64_e32 v[6:7], v6, v[24:25]
	s_delay_alu instid0(VALU_DEP_1)
	v_dual_sub_nc_u32 v1, 29, v1 :: v_dual_bitop2_b32 v24, 7, v6 bitop3:0x40
; %bb.614:                              ;   in Loop: Header=BB187_12 Depth=1
	s_or_b32 exec_lo, exec_lo, s21
	v_lshlrev_b32_e32 v6, 24, v0
	s_delay_alu instid0(VALU_DEP_2) | instskip(NEXT) | instid1(VALU_DEP_3)
	v_lshlrev_b32_e32 v7, 20, v24
	v_lshl_add_u32 v1, v1, 23, 0x3c000000
	s_delay_alu instid0(VALU_DEP_3) | instskip(NEXT) | instid1(VALU_DEP_1)
	v_and_b32_e32 v6, 0x80000000, v6
	v_or3_b32 v24, v7, v6, v1
	s_delay_alu instid0(VALU_DEP_1)
	v_mov_b64_e32 v[86:87], v[24:25]
.LBB187_615:                            ;   in Loop: Header=BB187_12 Depth=1
	s_or_b32 exec_lo, exec_lo, s20
.LBB187_616:                            ;   in Loop: Header=BB187_12 Depth=1
	s_delay_alu instid0(SALU_CYCLE_1)
	s_or_b32 exec_lo, exec_lo, s19
.LBB187_617:                            ;   in Loop: Header=BB187_12 Depth=1
	s_delay_alu instid0(SALU_CYCLE_1) | instskip(SKIP_2) | instid1(VALU_DEP_1)
	s_or_b32 exec_lo, exec_lo, s18
	v_lshrrev_b16 v1, 8, v0
	s_mov_b32 s18, exec_lo
	v_cmpx_ne_u16_e32 0, v1
	s_cbranch_execz .LBB187_625
; %bb.618:                              ;   in Loop: Header=BB187_12 Depth=1
	v_mov_b64_e32 v[84:85], 0x8000000000000000
	s_mov_b32 s19, exec_lo
	v_cmpx_ne_u16_e32 0x80, v1
	s_cbranch_execz .LBB187_624
; %bb.619:                              ;   in Loop: Header=BB187_12 Depth=1
	v_and_b32_e32 v1, 0xffff, v1
	v_mov_b64_e32 v[84:85], 0x7f80000100000000
	s_mov_b32 s20, exec_lo
	s_delay_alu instid0(VALU_DEP_2) | instskip(NEXT) | instid1(VALU_DEP_1)
	v_and_b32_e32 v6, 0x7f, v1
	v_cmpx_ne_u32_e32 0x7f, v6
	s_cbranch_execz .LBB187_623
; %bb.620:                              ;   in Loop: Header=BB187_12 Depth=1
	v_dual_lshrrev_b32 v1, 3, v6 :: v_dual_bitop2_b32 v24, 7, v1 bitop3:0x40
	s_mov_b32 s21, exec_lo
	v_cmpx_gt_u32_e32 8, v6
; %bb.621:                              ;   in Loop: Header=BB187_12 Depth=1
	s_delay_alu instid0(VALU_DEP_2) | instskip(NEXT) | instid1(VALU_DEP_1)
	v_clz_i32_u32_e32 v1, v24
	v_min_u32_e32 v1, 32, v1
	s_delay_alu instid0(VALU_DEP_1) | instskip(NEXT) | instid1(VALU_DEP_1)
	v_subrev_nc_u32_e32 v6, 28, v1
	v_lshlrev_b64_e32 v[6:7], v6, v[24:25]
	s_delay_alu instid0(VALU_DEP_1)
	v_dual_sub_nc_u32 v1, 29, v1 :: v_dual_bitop2_b32 v24, 7, v6 bitop3:0x40
; %bb.622:                              ;   in Loop: Header=BB187_12 Depth=1
	s_or_b32 exec_lo, exec_lo, s21
	v_dual_lshlrev_b32 v0, 16, v0 :: v_dual_mov_b32 v84, v25
	s_delay_alu instid0(VALU_DEP_2) | instskip(NEXT) | instid1(VALU_DEP_3)
	v_lshlrev_b32_e32 v6, 20, v24
	v_lshl_add_u32 v1, v1, 23, 0x3c000000
	s_delay_alu instid0(VALU_DEP_3) | instskip(NEXT) | instid1(VALU_DEP_1)
	v_and_b32_e32 v0, 0x80000000, v0
	v_or3_b32 v85, v6, v0, v1
.LBB187_623:                            ;   in Loop: Header=BB187_12 Depth=1
	s_or_b32 exec_lo, exec_lo, s20
.LBB187_624:                            ;   in Loop: Header=BB187_12 Depth=1
	s_delay_alu instid0(SALU_CYCLE_1)
	s_or_b32 exec_lo, exec_lo, s19
.LBB187_625:                            ;   in Loop: Header=BB187_12 Depth=1
	s_delay_alu instid0(SALU_CYCLE_1)
	s_or_b32 exec_lo, exec_lo, s18
	flat_load_u16 v1, v[76:77] offset:2312
	v_mov_b64_e32 v[96:97], 0
	v_mov_b64_e32 v[98:99], 0
	s_mov_b32 s18, exec_lo
	s_wait_loadcnt_dscnt 0x0
	v_and_b32_e32 v0, 0xffff, v1
	v_and_b32_e32 v1, 0xff, v1
	s_wait_xcnt 0x0
	s_delay_alu instid0(VALU_DEP_1)
	v_cmpx_ne_u16_e32 0, v1
	s_cbranch_execz .LBB187_633
; %bb.626:                              ;   in Loop: Header=BB187_12 Depth=1
	v_mov_b64_e32 v[98:99], 0x80000000
	v_and_b32_e32 v1, 0xff, v0
	s_mov_b32 s19, exec_lo
	s_delay_alu instid0(VALU_DEP_1)
	v_cmpx_ne_u16_e32 0x80, v1
	s_cbranch_execz .LBB187_632
; %bb.627:                              ;   in Loop: Header=BB187_12 Depth=1
	v_mov_b64_e32 v[98:99], 0x7f800001
	v_and_b32_e32 v6, 0x7f, v0
	s_mov_b32 s20, exec_lo
	s_delay_alu instid0(VALU_DEP_1)
	v_cmpx_ne_u32_e32 0x7f, v6
	s_cbranch_execz .LBB187_631
; %bb.628:                              ;   in Loop: Header=BB187_12 Depth=1
	v_dual_lshrrev_b32 v1, 3, v6 :: v_dual_bitop2_b32 v24, 7, v0 bitop3:0x40
	s_mov_b32 s21, exec_lo
	v_cmpx_gt_u32_e32 8, v6
; %bb.629:                              ;   in Loop: Header=BB187_12 Depth=1
	s_delay_alu instid0(VALU_DEP_2) | instskip(NEXT) | instid1(VALU_DEP_1)
	v_clz_i32_u32_e32 v1, v24
	v_min_u32_e32 v1, 32, v1
	s_delay_alu instid0(VALU_DEP_1) | instskip(NEXT) | instid1(VALU_DEP_1)
	v_subrev_nc_u32_e32 v6, 28, v1
	v_lshlrev_b64_e32 v[6:7], v6, v[24:25]
	s_delay_alu instid0(VALU_DEP_1)
	v_dual_sub_nc_u32 v1, 29, v1 :: v_dual_bitop2_b32 v24, 7, v6 bitop3:0x40
; %bb.630:                              ;   in Loop: Header=BB187_12 Depth=1
	s_or_b32 exec_lo, exec_lo, s21
	v_lshlrev_b32_e32 v6, 24, v0
	s_delay_alu instid0(VALU_DEP_2) | instskip(NEXT) | instid1(VALU_DEP_3)
	v_lshlrev_b32_e32 v7, 20, v24
	v_lshl_add_u32 v1, v1, 23, 0x3c000000
	s_delay_alu instid0(VALU_DEP_3) | instskip(NEXT) | instid1(VALU_DEP_1)
	v_and_b32_e32 v6, 0x80000000, v6
	v_or3_b32 v24, v7, v6, v1
	s_delay_alu instid0(VALU_DEP_1)
	v_mov_b64_e32 v[98:99], v[24:25]
.LBB187_631:                            ;   in Loop: Header=BB187_12 Depth=1
	s_or_b32 exec_lo, exec_lo, s20
.LBB187_632:                            ;   in Loop: Header=BB187_12 Depth=1
	s_delay_alu instid0(SALU_CYCLE_1)
	s_or_b32 exec_lo, exec_lo, s19
.LBB187_633:                            ;   in Loop: Header=BB187_12 Depth=1
	s_delay_alu instid0(SALU_CYCLE_1) | instskip(SKIP_2) | instid1(VALU_DEP_1)
	s_or_b32 exec_lo, exec_lo, s18
	v_lshrrev_b16 v1, 8, v0
	s_mov_b32 s18, exec_lo
	v_cmpx_ne_u16_e32 0, v1
	s_cbranch_execz .LBB187_641
; %bb.634:                              ;   in Loop: Header=BB187_12 Depth=1
	v_mov_b64_e32 v[96:97], 0x8000000000000000
	s_mov_b32 s19, exec_lo
	v_cmpx_ne_u16_e32 0x80, v1
	s_cbranch_execz .LBB187_640
; %bb.635:                              ;   in Loop: Header=BB187_12 Depth=1
	v_and_b32_e32 v1, 0xffff, v1
	v_mov_b64_e32 v[96:97], 0x7f80000100000000
	s_mov_b32 s20, exec_lo
	s_delay_alu instid0(VALU_DEP_2) | instskip(NEXT) | instid1(VALU_DEP_1)
	v_and_b32_e32 v6, 0x7f, v1
	v_cmpx_ne_u32_e32 0x7f, v6
	s_cbranch_execz .LBB187_639
; %bb.636:                              ;   in Loop: Header=BB187_12 Depth=1
	v_dual_lshrrev_b32 v1, 3, v6 :: v_dual_bitop2_b32 v24, 7, v1 bitop3:0x40
	s_mov_b32 s21, exec_lo
	v_cmpx_gt_u32_e32 8, v6
; %bb.637:                              ;   in Loop: Header=BB187_12 Depth=1
	s_delay_alu instid0(VALU_DEP_2) | instskip(NEXT) | instid1(VALU_DEP_1)
	v_clz_i32_u32_e32 v1, v24
	v_min_u32_e32 v1, 32, v1
	s_delay_alu instid0(VALU_DEP_1) | instskip(NEXT) | instid1(VALU_DEP_1)
	v_subrev_nc_u32_e32 v6, 28, v1
	v_lshlrev_b64_e32 v[6:7], v6, v[24:25]
	s_delay_alu instid0(VALU_DEP_1)
	v_dual_sub_nc_u32 v1, 29, v1 :: v_dual_bitop2_b32 v24, 7, v6 bitop3:0x40
; %bb.638:                              ;   in Loop: Header=BB187_12 Depth=1
	s_or_b32 exec_lo, exec_lo, s21
	v_dual_lshlrev_b32 v0, 16, v0 :: v_dual_mov_b32 v96, v25
	s_delay_alu instid0(VALU_DEP_2) | instskip(NEXT) | instid1(VALU_DEP_3)
	v_lshlrev_b32_e32 v6, 20, v24
	v_lshl_add_u32 v1, v1, 23, 0x3c000000
	s_delay_alu instid0(VALU_DEP_3) | instskip(NEXT) | instid1(VALU_DEP_1)
	v_and_b32_e32 v0, 0x80000000, v0
	v_or3_b32 v97, v6, v0, v1
.LBB187_639:                            ;   in Loop: Header=BB187_12 Depth=1
	s_or_b32 exec_lo, exec_lo, s20
.LBB187_640:                            ;   in Loop: Header=BB187_12 Depth=1
	s_delay_alu instid0(SALU_CYCLE_1)
	s_or_b32 exec_lo, exec_lo, s19
.LBB187_641:                            ;   in Loop: Header=BB187_12 Depth=1
	s_delay_alu instid0(SALU_CYCLE_1)
	s_or_b32 exec_lo, exec_lo, s18
	flat_load_u16 v1, v[76:77] offset:2316
	v_mov_b64_e32 v[126:127], 0
	v_mov_b64_e32 v[16:17], 0
	s_mov_b32 s18, exec_lo
	s_wait_loadcnt_dscnt 0x0
	v_and_b32_e32 v0, 0xffff, v1
	v_and_b32_e32 v1, 0xff, v1
	s_wait_xcnt 0x0
	s_delay_alu instid0(VALU_DEP_1)
	v_cmpx_ne_u16_e32 0, v1
	s_cbranch_execz .LBB187_649
; %bb.642:                              ;   in Loop: Header=BB187_12 Depth=1
	v_mov_b64_e32 v[16:17], 0x80000000
	v_and_b32_e32 v1, 0xff, v0
	s_mov_b32 s19, exec_lo
	s_delay_alu instid0(VALU_DEP_1)
	v_cmpx_ne_u16_e32 0x80, v1
	s_cbranch_execz .LBB187_648
; %bb.643:                              ;   in Loop: Header=BB187_12 Depth=1
	v_mov_b64_e32 v[16:17], 0x7f800001
	v_and_b32_e32 v6, 0x7f, v0
	s_mov_b32 s20, exec_lo
	s_delay_alu instid0(VALU_DEP_1)
	v_cmpx_ne_u32_e32 0x7f, v6
	s_cbranch_execz .LBB187_647
; %bb.644:                              ;   in Loop: Header=BB187_12 Depth=1
	v_dual_lshrrev_b32 v1, 3, v6 :: v_dual_bitop2_b32 v24, 7, v0 bitop3:0x40
	s_mov_b32 s21, exec_lo
	v_cmpx_gt_u32_e32 8, v6
; %bb.645:                              ;   in Loop: Header=BB187_12 Depth=1
	s_delay_alu instid0(VALU_DEP_2) | instskip(NEXT) | instid1(VALU_DEP_1)
	v_clz_i32_u32_e32 v1, v24
	v_min_u32_e32 v1, 32, v1
	s_delay_alu instid0(VALU_DEP_1) | instskip(NEXT) | instid1(VALU_DEP_1)
	v_subrev_nc_u32_e32 v6, 28, v1
	v_lshlrev_b64_e32 v[6:7], v6, v[24:25]
	s_delay_alu instid0(VALU_DEP_1)
	v_dual_sub_nc_u32 v1, 29, v1 :: v_dual_bitop2_b32 v24, 7, v6 bitop3:0x40
; %bb.646:                              ;   in Loop: Header=BB187_12 Depth=1
	s_or_b32 exec_lo, exec_lo, s21
	v_lshlrev_b32_e32 v6, 24, v0
	s_delay_alu instid0(VALU_DEP_2) | instskip(NEXT) | instid1(VALU_DEP_3)
	v_lshlrev_b32_e32 v7, 20, v24
	v_lshl_add_u32 v1, v1, 23, 0x3c000000
	s_delay_alu instid0(VALU_DEP_3) | instskip(NEXT) | instid1(VALU_DEP_1)
	v_and_b32_e32 v6, 0x80000000, v6
	v_or3_b32 v24, v7, v6, v1
	s_delay_alu instid0(VALU_DEP_1)
	v_mov_b64_e32 v[16:17], v[24:25]
.LBB187_647:                            ;   in Loop: Header=BB187_12 Depth=1
	s_or_b32 exec_lo, exec_lo, s20
.LBB187_648:                            ;   in Loop: Header=BB187_12 Depth=1
	s_delay_alu instid0(SALU_CYCLE_1)
	s_or_b32 exec_lo, exec_lo, s19
.LBB187_649:                            ;   in Loop: Header=BB187_12 Depth=1
	s_delay_alu instid0(SALU_CYCLE_1) | instskip(SKIP_2) | instid1(VALU_DEP_1)
	s_or_b32 exec_lo, exec_lo, s18
	v_lshrrev_b16 v1, 8, v0
	s_mov_b32 s18, exec_lo
	v_cmpx_ne_u16_e32 0, v1
	s_cbranch_execz .LBB187_657
; %bb.650:                              ;   in Loop: Header=BB187_12 Depth=1
	v_mov_b64_e32 v[126:127], 0x8000000000000000
	s_mov_b32 s19, exec_lo
	v_cmpx_ne_u16_e32 0x80, v1
	s_cbranch_execz .LBB187_656
; %bb.651:                              ;   in Loop: Header=BB187_12 Depth=1
	v_and_b32_e32 v1, 0xffff, v1
	v_mov_b64_e32 v[126:127], 0x7f80000100000000
	s_mov_b32 s20, exec_lo
	s_delay_alu instid0(VALU_DEP_2) | instskip(NEXT) | instid1(VALU_DEP_1)
	v_and_b32_e32 v6, 0x7f, v1
	v_cmpx_ne_u32_e32 0x7f, v6
	s_cbranch_execz .LBB187_655
; %bb.652:                              ;   in Loop: Header=BB187_12 Depth=1
	v_dual_lshrrev_b32 v1, 3, v6 :: v_dual_bitop2_b32 v24, 7, v1 bitop3:0x40
	s_mov_b32 s21, exec_lo
	v_cmpx_gt_u32_e32 8, v6
; %bb.653:                              ;   in Loop: Header=BB187_12 Depth=1
	s_delay_alu instid0(VALU_DEP_2) | instskip(NEXT) | instid1(VALU_DEP_1)
	v_clz_i32_u32_e32 v1, v24
	v_min_u32_e32 v1, 32, v1
	s_delay_alu instid0(VALU_DEP_1) | instskip(NEXT) | instid1(VALU_DEP_1)
	v_subrev_nc_u32_e32 v6, 28, v1
	v_lshlrev_b64_e32 v[6:7], v6, v[24:25]
	s_delay_alu instid0(VALU_DEP_1)
	v_dual_sub_nc_u32 v1, 29, v1 :: v_dual_bitop2_b32 v24, 7, v6 bitop3:0x40
; %bb.654:                              ;   in Loop: Header=BB187_12 Depth=1
	s_or_b32 exec_lo, exec_lo, s21
	v_dual_lshlrev_b32 v0, 16, v0 :: v_dual_mov_b32 v126, v25
	s_delay_alu instid0(VALU_DEP_2) | instskip(NEXT) | instid1(VALU_DEP_3)
	v_lshlrev_b32_e32 v6, 20, v24
	v_lshl_add_u32 v1, v1, 23, 0x3c000000
	s_delay_alu instid0(VALU_DEP_3) | instskip(NEXT) | instid1(VALU_DEP_1)
	v_and_b32_e32 v0, 0x80000000, v0
	v_or3_b32 v127, v6, v0, v1
.LBB187_655:                            ;   in Loop: Header=BB187_12 Depth=1
	s_or_b32 exec_lo, exec_lo, s20
.LBB187_656:                            ;   in Loop: Header=BB187_12 Depth=1
	s_delay_alu instid0(SALU_CYCLE_1)
	s_or_b32 exec_lo, exec_lo, s19
.LBB187_657:                            ;   in Loop: Header=BB187_12 Depth=1
	s_delay_alu instid0(SALU_CYCLE_1)
	s_or_b32 exec_lo, exec_lo, s18
	flat_load_u16 v0, v[76:77] offset:2560
	v_mov_b64_e32 v[116:117], 0
	s_wait_loadcnt_dscnt 0x0
	v_and_b32_e32 v6, 0xffff, v0
	v_and_b32_e32 v0, 0xff, v0
	s_delay_alu instid0(VALU_DEP_1)
	v_cmp_ne_u16_e64 s2, 0, v0
	v_mov_b64_e32 v[0:1], 0
	s_wait_xcnt 0x0
	s_and_saveexec_b32 s18, s2
	s_cbranch_execz .LBB187_665
; %bb.658:                              ;   in Loop: Header=BB187_12 Depth=1
	v_mov_b64_e32 v[116:117], 0x80000000
	v_and_b32_e32 v7, 0xff, v6
	s_mov_b32 s19, exec_lo
	s_delay_alu instid0(VALU_DEP_1)
	v_cmpx_ne_u16_e32 0x80, v7
	s_cbranch_execz .LBB187_664
; %bb.659:                              ;   in Loop: Header=BB187_12 Depth=1
	v_mov_b64_e32 v[116:117], 0x7f800001
	v_and_b32_e32 v18, 0x7f, v6
	s_mov_b32 s20, exec_lo
	s_delay_alu instid0(VALU_DEP_1)
	v_cmpx_ne_u32_e32 0x7f, v18
	s_cbranch_execz .LBB187_663
; %bb.660:                              ;   in Loop: Header=BB187_12 Depth=1
	v_and_b32_e32 v24, 7, v6
	v_lshrrev_b32_e32 v7, 3, v18
	s_mov_b32 s21, exec_lo
	v_cmpx_gt_u32_e32 8, v18
; %bb.661:                              ;   in Loop: Header=BB187_12 Depth=1
	s_delay_alu instid0(VALU_DEP_3) | instskip(NEXT) | instid1(VALU_DEP_1)
	v_clz_i32_u32_e32 v7, v24
	v_min_u32_e32 v7, 32, v7
	s_delay_alu instid0(VALU_DEP_1) | instskip(NEXT) | instid1(VALU_DEP_1)
	v_subrev_nc_u32_e32 v8, 28, v7
	v_lshlrev_b64_e32 v[18:19], v8, v[24:25]
	s_delay_alu instid0(VALU_DEP_1)
	v_dual_sub_nc_u32 v7, 29, v7 :: v_dual_bitop2_b32 v24, 7, v18 bitop3:0x40
; %bb.662:                              ;   in Loop: Header=BB187_12 Depth=1
	s_or_b32 exec_lo, exec_lo, s21
	s_delay_alu instid0(VALU_DEP_1) | instskip(NEXT) | instid1(VALU_DEP_2)
	v_dual_lshlrev_b32 v8, 24, v6 :: v_dual_lshlrev_b32 v9, 20, v24
	v_lshl_add_u32 v7, v7, 23, 0x3c000000
	s_delay_alu instid0(VALU_DEP_2) | instskip(NEXT) | instid1(VALU_DEP_1)
	v_and_b32_e32 v8, 0x80000000, v8
	v_or3_b32 v24, v9, v8, v7
	s_delay_alu instid0(VALU_DEP_1)
	v_mov_b64_e32 v[116:117], v[24:25]
.LBB187_663:                            ;   in Loop: Header=BB187_12 Depth=1
	s_or_b32 exec_lo, exec_lo, s20
.LBB187_664:                            ;   in Loop: Header=BB187_12 Depth=1
	s_delay_alu instid0(SALU_CYCLE_1)
	s_or_b32 exec_lo, exec_lo, s19
.LBB187_665:                            ;   in Loop: Header=BB187_12 Depth=1
	s_delay_alu instid0(SALU_CYCLE_1) | instskip(SKIP_2) | instid1(VALU_DEP_1)
	s_or_b32 exec_lo, exec_lo, s18
	v_lshrrev_b16 v7, 8, v6
	s_mov_b32 s18, exec_lo
	v_cmpx_ne_u16_e32 0, v7
	s_cbranch_execz .LBB187_673
; %bb.666:                              ;   in Loop: Header=BB187_12 Depth=1
	v_mov_b64_e32 v[0:1], 0x8000000000000000
	s_mov_b32 s19, exec_lo
	v_cmpx_ne_u16_e32 0x80, v7
	s_cbranch_execz .LBB187_672
; %bb.667:                              ;   in Loop: Header=BB187_12 Depth=1
	v_and_b32_e32 v18, 0xffff, v7
	v_mov_b64_e32 v[0:1], 0x7f80000100000000
	s_mov_b32 s20, exec_lo
	s_delay_alu instid0(VALU_DEP_2) | instskip(NEXT) | instid1(VALU_DEP_1)
	v_and_b32_e32 v7, 0x7f, v18
	v_cmpx_ne_u32_e32 0x7f, v7
	s_cbranch_execz .LBB187_671
; %bb.668:                              ;   in Loop: Header=BB187_12 Depth=1
	v_dual_lshrrev_b32 v0, 3, v7 :: v_dual_bitop2_b32 v24, 7, v18 bitop3:0x40
	s_mov_b32 s21, exec_lo
	v_cmpx_gt_u32_e32 8, v7
; %bb.669:                              ;   in Loop: Header=BB187_12 Depth=1
	s_delay_alu instid0(VALU_DEP_2) | instskip(NEXT) | instid1(VALU_DEP_1)
	v_clz_i32_u32_e32 v0, v24
	v_min_u32_e32 v0, 32, v0
	s_delay_alu instid0(VALU_DEP_1) | instskip(NEXT) | instid1(VALU_DEP_1)
	v_subrev_nc_u32_e32 v1, 28, v0
	v_lshlrev_b64_e32 v[18:19], v1, v[24:25]
	s_delay_alu instid0(VALU_DEP_1)
	v_dual_sub_nc_u32 v0, 29, v0 :: v_dual_bitop2_b32 v24, 7, v18 bitop3:0x40
; %bb.670:                              ;   in Loop: Header=BB187_12 Depth=1
	s_or_b32 exec_lo, exec_lo, s21
	s_delay_alu instid0(VALU_DEP_1) | instskip(NEXT) | instid1(VALU_DEP_2)
	v_dual_lshlrev_b32 v1, 16, v6 :: v_dual_lshlrev_b32 v6, 20, v24
	v_lshl_add_u32 v0, v0, 23, 0x3c000000
	s_delay_alu instid0(VALU_DEP_2) | instskip(NEXT) | instid1(VALU_DEP_1)
	v_and_b32_e32 v1, 0x80000000, v1
	v_or3_b32 v1, v6, v1, v0
	v_mov_b32_e32 v0, v25
.LBB187_671:                            ;   in Loop: Header=BB187_12 Depth=1
	s_or_b32 exec_lo, exec_lo, s20
.LBB187_672:                            ;   in Loop: Header=BB187_12 Depth=1
	s_delay_alu instid0(SALU_CYCLE_1)
	s_or_b32 exec_lo, exec_lo, s19
.LBB187_673:                            ;   in Loop: Header=BB187_12 Depth=1
	s_delay_alu instid0(SALU_CYCLE_1)
	s_or_b32 exec_lo, exec_lo, s18
	flat_load_u16 v6, v[76:77] offset:2564
	v_mov_b64_e32 v[114:115], 0
	s_wait_loadcnt_dscnt 0x0
	v_and_b32_e32 v18, 0xffff, v6
	v_and_b32_e32 v6, 0xff, v6
	s_delay_alu instid0(VALU_DEP_1)
	v_cmp_ne_u16_e64 s2, 0, v6
	v_mov_b64_e32 v[6:7], 0
	s_wait_xcnt 0x0
	s_and_saveexec_b32 s18, s2
	s_cbranch_execz .LBB187_681
; %bb.674:                              ;   in Loop: Header=BB187_12 Depth=1
	v_and_b32_e32 v6, 0xff, v18
	s_delay_alu instid0(VALU_DEP_1)
	v_cmp_ne_u16_e64 s2, 0x80, v6
	v_mov_b64_e32 v[6:7], 0x80000000
	s_and_saveexec_b32 s19, s2
	s_cbranch_execz .LBB187_680
; %bb.675:                              ;   in Loop: Header=BB187_12 Depth=1
	v_mov_b64_e32 v[6:7], 0x7f800001
	v_and_b32_e32 v19, 0x7f, v18
	s_mov_b32 s20, exec_lo
	s_delay_alu instid0(VALU_DEP_1)
	v_cmpx_ne_u32_e32 0x7f, v19
	s_cbranch_execz .LBB187_679
; %bb.676:                              ;   in Loop: Header=BB187_12 Depth=1
	v_dual_lshrrev_b32 v6, 3, v19 :: v_dual_bitop2_b32 v24, 7, v18 bitop3:0x40
	s_mov_b32 s21, exec_lo
	v_cmpx_gt_u32_e32 8, v19
; %bb.677:                              ;   in Loop: Header=BB187_12 Depth=1
	s_delay_alu instid0(VALU_DEP_2) | instskip(NEXT) | instid1(VALU_DEP_1)
	v_clz_i32_u32_e32 v6, v24
	v_min_u32_e32 v6, 32, v6
	s_delay_alu instid0(VALU_DEP_1) | instskip(NEXT) | instid1(VALU_DEP_1)
	v_subrev_nc_u32_e32 v7, 28, v6
	v_lshlrev_b64_e32 v[20:21], v7, v[24:25]
	s_delay_alu instid0(VALU_DEP_1)
	v_dual_sub_nc_u32 v6, 29, v6 :: v_dual_bitop2_b32 v24, 7, v20 bitop3:0x40
; %bb.678:                              ;   in Loop: Header=BB187_12 Depth=1
	s_or_b32 exec_lo, exec_lo, s21
	s_delay_alu instid0(VALU_DEP_1) | instskip(NEXT) | instid1(VALU_DEP_2)
	v_dual_lshlrev_b32 v7, 24, v18 :: v_dual_lshlrev_b32 v8, 20, v24
	v_lshl_add_u32 v6, v6, 23, 0x3c000000
	s_delay_alu instid0(VALU_DEP_2) | instskip(NEXT) | instid1(VALU_DEP_1)
	v_and_b32_e32 v7, 0x80000000, v7
	v_or3_b32 v24, v8, v7, v6
	s_delay_alu instid0(VALU_DEP_1)
	v_mov_b64_e32 v[6:7], v[24:25]
.LBB187_679:                            ;   in Loop: Header=BB187_12 Depth=1
	s_or_b32 exec_lo, exec_lo, s20
.LBB187_680:                            ;   in Loop: Header=BB187_12 Depth=1
	s_delay_alu instid0(SALU_CYCLE_1)
	s_or_b32 exec_lo, exec_lo, s19
.LBB187_681:                            ;   in Loop: Header=BB187_12 Depth=1
	s_delay_alu instid0(SALU_CYCLE_1) | instskip(SKIP_2) | instid1(VALU_DEP_1)
	s_or_b32 exec_lo, exec_lo, s18
	v_lshrrev_b16 v19, 8, v18
	s_mov_b32 s18, exec_lo
	v_cmpx_ne_u16_e32 0, v19
	s_cbranch_execz .LBB187_689
; %bb.682:                              ;   in Loop: Header=BB187_12 Depth=1
	v_mov_b64_e32 v[114:115], 0x8000000000000000
	s_mov_b32 s19, exec_lo
	v_cmpx_ne_u16_e32 0x80, v19
	s_cbranch_execz .LBB187_688
; %bb.683:                              ;   in Loop: Header=BB187_12 Depth=1
	v_and_b32_e32 v19, 0xffff, v19
	v_mov_b64_e32 v[114:115], 0x7f80000100000000
	s_mov_b32 s20, exec_lo
	s_delay_alu instid0(VALU_DEP_2) | instskip(NEXT) | instid1(VALU_DEP_1)
	v_and_b32_e32 v20, 0x7f, v19
	v_cmpx_ne_u32_e32 0x7f, v20
	s_cbranch_execz .LBB187_687
; %bb.684:                              ;   in Loop: Header=BB187_12 Depth=1
	v_dual_lshrrev_b32 v19, 3, v20 :: v_dual_bitop2_b32 v24, 7, v19 bitop3:0x40
	s_mov_b32 s21, exec_lo
	v_cmpx_gt_u32_e32 8, v20
; %bb.685:                              ;   in Loop: Header=BB187_12 Depth=1
	s_delay_alu instid0(VALU_DEP_2) | instskip(NEXT) | instid1(VALU_DEP_1)
	v_clz_i32_u32_e32 v8, v24
	v_min_u32_e32 v8, 32, v8
	s_delay_alu instid0(VALU_DEP_1) | instskip(SKIP_1) | instid1(VALU_DEP_2)
	v_subrev_nc_u32_e32 v9, 28, v8
	v_sub_nc_u32_e32 v19, 29, v8
	v_lshlrev_b64_e32 v[20:21], v9, v[24:25]
	s_delay_alu instid0(VALU_DEP_1)
	v_and_b32_e32 v24, 7, v20
; %bb.686:                              ;   in Loop: Header=BB187_12 Depth=1
	s_or_b32 exec_lo, exec_lo, s21
	s_delay_alu instid0(VALU_DEP_1) | instskip(SKIP_2) | instid1(VALU_DEP_3)
	v_dual_lshlrev_b32 v8, 16, v18 :: v_dual_lshlrev_b32 v9, 20, v24
	v_lshl_add_u32 v18, v19, 23, 0x3c000000
	v_mov_b32_e32 v114, v25
	v_and_b32_e32 v8, 0x80000000, v8
	s_delay_alu instid0(VALU_DEP_1)
	v_or3_b32 v115, v9, v8, v18
.LBB187_687:                            ;   in Loop: Header=BB187_12 Depth=1
	s_or_b32 exec_lo, exec_lo, s20
.LBB187_688:                            ;   in Loop: Header=BB187_12 Depth=1
	s_delay_alu instid0(SALU_CYCLE_1)
	s_or_b32 exec_lo, exec_lo, s19
.LBB187_689:                            ;   in Loop: Header=BB187_12 Depth=1
	s_delay_alu instid0(SALU_CYCLE_1)
	s_or_b32 exec_lo, exec_lo, s18
	flat_load_u16 v8, v[76:77] offset:2568
	v_mov_b64_e32 v[102:103], 0
	v_mov_b64_e32 v[22:23], 0
	s_mov_b32 s18, exec_lo
	s_wait_loadcnt_dscnt 0x0
	v_and_b32_e32 v18, 0xffff, v8
	v_and_b32_e32 v8, 0xff, v8
	s_wait_xcnt 0x0
	s_delay_alu instid0(VALU_DEP_1)
	v_cmpx_ne_u16_e32 0, v8
	s_cbranch_execz .LBB187_697
; %bb.690:                              ;   in Loop: Header=BB187_12 Depth=1
	v_mov_b64_e32 v[22:23], 0x80000000
	v_and_b32_e32 v8, 0xff, v18
	s_mov_b32 s19, exec_lo
	s_delay_alu instid0(VALU_DEP_1)
	v_cmpx_ne_u16_e32 0x80, v8
	s_cbranch_execz .LBB187_696
; %bb.691:                              ;   in Loop: Header=BB187_12 Depth=1
	v_mov_b64_e32 v[22:23], 0x7f800001
	v_and_b32_e32 v20, 0x7f, v18
	s_mov_b32 s20, exec_lo
	s_delay_alu instid0(VALU_DEP_1)
	v_cmpx_ne_u32_e32 0x7f, v20
	s_cbranch_execz .LBB187_695
; %bb.692:                              ;   in Loop: Header=BB187_12 Depth=1
	v_dual_lshrrev_b32 v19, 3, v20 :: v_dual_bitop2_b32 v24, 7, v18 bitop3:0x40
	s_mov_b32 s21, exec_lo
	v_cmpx_gt_u32_e32 8, v20
; %bb.693:                              ;   in Loop: Header=BB187_12 Depth=1
	s_delay_alu instid0(VALU_DEP_2) | instskip(NEXT) | instid1(VALU_DEP_1)
	v_clz_i32_u32_e32 v8, v24
	v_min_u32_e32 v8, 32, v8
	s_delay_alu instid0(VALU_DEP_1) | instskip(SKIP_1) | instid1(VALU_DEP_2)
	v_subrev_nc_u32_e32 v9, 28, v8
	v_sub_nc_u32_e32 v19, 29, v8
	v_lshlrev_b64_e32 v[20:21], v9, v[24:25]
	s_delay_alu instid0(VALU_DEP_1)
	v_and_b32_e32 v24, 7, v20
; %bb.694:                              ;   in Loop: Header=BB187_12 Depth=1
	s_or_b32 exec_lo, exec_lo, s21
	s_delay_alu instid0(VALU_DEP_1) | instskip(SKIP_1) | instid1(VALU_DEP_2)
	v_dual_lshlrev_b32 v8, 24, v18 :: v_dual_lshlrev_b32 v9, 20, v24
	v_lshl_add_u32 v19, v19, 23, 0x3c000000
	v_and_b32_e32 v8, 0x80000000, v8
	s_delay_alu instid0(VALU_DEP_1) | instskip(NEXT) | instid1(VALU_DEP_1)
	v_or3_b32 v24, v9, v8, v19
	v_mov_b64_e32 v[22:23], v[24:25]
.LBB187_695:                            ;   in Loop: Header=BB187_12 Depth=1
	s_or_b32 exec_lo, exec_lo, s20
.LBB187_696:                            ;   in Loop: Header=BB187_12 Depth=1
	s_delay_alu instid0(SALU_CYCLE_1)
	s_or_b32 exec_lo, exec_lo, s19
.LBB187_697:                            ;   in Loop: Header=BB187_12 Depth=1
	s_delay_alu instid0(SALU_CYCLE_1) | instskip(SKIP_2) | instid1(VALU_DEP_1)
	s_or_b32 exec_lo, exec_lo, s18
	v_lshrrev_b16 v19, 8, v18
	s_mov_b32 s18, exec_lo
	v_cmpx_ne_u16_e32 0, v19
	s_cbranch_execz .LBB187_705
; %bb.698:                              ;   in Loop: Header=BB187_12 Depth=1
	v_mov_b64_e32 v[102:103], 0x8000000000000000
	s_mov_b32 s19, exec_lo
	v_cmpx_ne_u16_e32 0x80, v19
	s_cbranch_execz .LBB187_704
; %bb.699:                              ;   in Loop: Header=BB187_12 Depth=1
	v_and_b32_e32 v19, 0xffff, v19
	v_mov_b64_e32 v[102:103], 0x7f80000100000000
	s_mov_b32 s20, exec_lo
	s_delay_alu instid0(VALU_DEP_2) | instskip(NEXT) | instid1(VALU_DEP_1)
	v_and_b32_e32 v20, 0x7f, v19
	v_cmpx_ne_u32_e32 0x7f, v20
	s_cbranch_execz .LBB187_703
; %bb.700:                              ;   in Loop: Header=BB187_12 Depth=1
	v_dual_lshrrev_b32 v19, 3, v20 :: v_dual_bitop2_b32 v24, 7, v19 bitop3:0x40
	s_mov_b32 s21, exec_lo
	v_cmpx_gt_u32_e32 8, v20
; %bb.701:                              ;   in Loop: Header=BB187_12 Depth=1
	s_delay_alu instid0(VALU_DEP_2) | instskip(NEXT) | instid1(VALU_DEP_1)
	v_clz_i32_u32_e32 v8, v24
	v_min_u32_e32 v8, 32, v8
	s_delay_alu instid0(VALU_DEP_1) | instskip(SKIP_1) | instid1(VALU_DEP_2)
	v_subrev_nc_u32_e32 v9, 28, v8
	v_sub_nc_u32_e32 v19, 29, v8
	v_lshlrev_b64_e32 v[20:21], v9, v[24:25]
	s_delay_alu instid0(VALU_DEP_1)
	v_and_b32_e32 v24, 7, v20
; %bb.702:                              ;   in Loop: Header=BB187_12 Depth=1
	s_or_b32 exec_lo, exec_lo, s21
	s_delay_alu instid0(VALU_DEP_1) | instskip(SKIP_2) | instid1(VALU_DEP_3)
	v_dual_lshlrev_b32 v8, 16, v18 :: v_dual_lshlrev_b32 v9, 20, v24
	v_lshl_add_u32 v18, v19, 23, 0x3c000000
	v_mov_b32_e32 v102, v25
	v_and_b32_e32 v8, 0x80000000, v8
	s_delay_alu instid0(VALU_DEP_1)
	v_or3_b32 v103, v9, v8, v18
.LBB187_703:                            ;   in Loop: Header=BB187_12 Depth=1
	s_or_b32 exec_lo, exec_lo, s20
.LBB187_704:                            ;   in Loop: Header=BB187_12 Depth=1
	s_delay_alu instid0(SALU_CYCLE_1)
	s_or_b32 exec_lo, exec_lo, s19
.LBB187_705:                            ;   in Loop: Header=BB187_12 Depth=1
	s_delay_alu instid0(SALU_CYCLE_1)
	s_or_b32 exec_lo, exec_lo, s18
	flat_load_u16 v8, v[76:77] offset:2572
	v_mov_b64_e32 v[20:21], 0
	v_mov_b64_e32 v[18:19], 0
	s_mov_b32 s18, exec_lo
	s_wait_loadcnt_dscnt 0x0
	v_and_b32_e32 v119, 0xffff, v8
	v_and_b32_e32 v8, 0xff, v8
	s_wait_xcnt 0x0
	s_delay_alu instid0(VALU_DEP_1)
	v_cmpx_ne_u16_e32 0, v8
	s_cbranch_execz .LBB187_713
; %bb.706:                              ;   in Loop: Header=BB187_12 Depth=1
	v_mov_b64_e32 v[18:19], 0x80000000
	v_and_b32_e32 v8, 0xff, v119
	s_mov_b32 s19, exec_lo
	s_delay_alu instid0(VALU_DEP_1)
	v_cmpx_ne_u16_e32 0x80, v8
	s_cbranch_execz .LBB187_712
; %bb.707:                              ;   in Loop: Header=BB187_12 Depth=1
	v_mov_b64_e32 v[18:19], 0x7f800001
	v_and_b32_e32 v40, 0x7f, v119
	s_mov_b32 s20, exec_lo
	s_delay_alu instid0(VALU_DEP_1)
	v_cmpx_ne_u32_e32 0x7f, v40
	s_cbranch_execz .LBB187_711
; %bb.708:                              ;   in Loop: Header=BB187_12 Depth=1
	v_dual_lshrrev_b32 v18, 3, v40 :: v_dual_bitop2_b32 v24, 7, v119 bitop3:0x40
	s_mov_b32 s21, exec_lo
	v_cmpx_gt_u32_e32 8, v40
; %bb.709:                              ;   in Loop: Header=BB187_12 Depth=1
	s_delay_alu instid0(VALU_DEP_2) | instskip(NEXT) | instid1(VALU_DEP_1)
	v_clz_i32_u32_e32 v8, v24
	v_min_u32_e32 v8, 32, v8
	s_delay_alu instid0(VALU_DEP_1) | instskip(SKIP_1) | instid1(VALU_DEP_2)
	v_subrev_nc_u32_e32 v9, 28, v8
	v_sub_nc_u32_e32 v18, 29, v8
	v_lshlrev_b64_e32 v[40:41], v9, v[24:25]
	s_delay_alu instid0(VALU_DEP_1)
	v_and_b32_e32 v24, 7, v40
; %bb.710:                              ;   in Loop: Header=BB187_12 Depth=1
	s_or_b32 exec_lo, exec_lo, s21
	s_delay_alu instid0(VALU_DEP_1) | instskip(SKIP_1) | instid1(VALU_DEP_2)
	v_dual_lshlrev_b32 v8, 24, v119 :: v_dual_lshlrev_b32 v9, 20, v24
	v_lshl_add_u32 v18, v18, 23, 0x3c000000
	v_and_b32_e32 v8, 0x80000000, v8
	s_delay_alu instid0(VALU_DEP_1) | instskip(NEXT) | instid1(VALU_DEP_1)
	v_or3_b32 v24, v9, v8, v18
	v_mov_b64_e32 v[18:19], v[24:25]
.LBB187_711:                            ;   in Loop: Header=BB187_12 Depth=1
	s_or_b32 exec_lo, exec_lo, s20
.LBB187_712:                            ;   in Loop: Header=BB187_12 Depth=1
	s_delay_alu instid0(SALU_CYCLE_1)
	s_or_b32 exec_lo, exec_lo, s19
.LBB187_713:                            ;   in Loop: Header=BB187_12 Depth=1
	s_delay_alu instid0(SALU_CYCLE_1) | instskip(SKIP_2) | instid1(VALU_DEP_1)
	s_or_b32 exec_lo, exec_lo, s18
	v_lshrrev_b16 v24, 8, v119
	s_mov_b32 s18, exec_lo
	v_cmpx_ne_u16_e32 0, v24
	s_cbranch_execz .LBB187_721
; %bb.714:                              ;   in Loop: Header=BB187_12 Depth=1
	v_mov_b64_e32 v[20:21], 0x8000000000000000
	s_mov_b32 s19, exec_lo
	v_cmpx_ne_u16_e32 0x80, v24
	s_cbranch_execz .LBB187_720
; %bb.715:                              ;   in Loop: Header=BB187_12 Depth=1
	v_and_b32_e32 v24, 0xffff, v24
	v_mov_b64_e32 v[20:21], 0x7f80000100000000
	s_mov_b32 s20, exec_lo
	s_delay_alu instid0(VALU_DEP_2) | instskip(NEXT) | instid1(VALU_DEP_1)
	v_and_b32_e32 v40, 0x7f, v24
	v_cmpx_ne_u32_e32 0x7f, v40
	s_cbranch_execz .LBB187_719
; %bb.716:                              ;   in Loop: Header=BB187_12 Depth=1
	v_and_b32_e32 v24, 7, v24
	v_lshrrev_b32_e32 v20, 3, v40
	s_mov_b32 s21, exec_lo
	v_cmpx_gt_u32_e32 8, v40
; %bb.717:                              ;   in Loop: Header=BB187_12 Depth=1
	s_delay_alu instid0(VALU_DEP_3) | instskip(NEXT) | instid1(VALU_DEP_1)
	v_clz_i32_u32_e32 v8, v24
	v_min_u32_e32 v8, 32, v8
	s_delay_alu instid0(VALU_DEP_1) | instskip(SKIP_1) | instid1(VALU_DEP_2)
	v_subrev_nc_u32_e32 v9, 28, v8
	v_sub_nc_u32_e32 v20, 29, v8
	v_lshlrev_b64_e32 v[40:41], v9, v[24:25]
	s_delay_alu instid0(VALU_DEP_1)
	v_and_b32_e32 v24, 7, v40
; %bb.718:                              ;   in Loop: Header=BB187_12 Depth=1
	s_or_b32 exec_lo, exec_lo, s21
	s_delay_alu instid0(VALU_DEP_1) | instskip(SKIP_1) | instid1(VALU_DEP_2)
	v_dual_lshlrev_b32 v8, 16, v119 :: v_dual_lshlrev_b32 v9, 20, v24
	v_lshl_add_u32 v20, v20, 23, 0x3c000000
	v_and_b32_e32 v8, 0x80000000, v8
	s_delay_alu instid0(VALU_DEP_1)
	v_or3_b32 v21, v9, v8, v20
	v_mov_b32_e32 v20, v25
.LBB187_719:                            ;   in Loop: Header=BB187_12 Depth=1
	s_or_b32 exec_lo, exec_lo, s20
.LBB187_720:                            ;   in Loop: Header=BB187_12 Depth=1
	s_delay_alu instid0(SALU_CYCLE_1)
	s_or_b32 exec_lo, exec_lo, s19
.LBB187_721:                            ;   in Loop: Header=BB187_12 Depth=1
	s_delay_alu instid0(SALU_CYCLE_1)
	s_or_b32 exec_lo, exec_lo, s18
	flat_load_u16 v8, v[76:77] offset:2816
	v_mov_b64_e32 v[58:59], 0
	v_mov_b64_e32 v[40:41], 0
	s_mov_b32 s18, exec_lo
	s_wait_loadcnt_dscnt 0x0
	v_and_b32_e32 v119, 0xffff, v8
	v_and_b32_e32 v8, 0xff, v8
	s_wait_xcnt 0x0
	s_delay_alu instid0(VALU_DEP_1)
	v_cmpx_ne_u16_e32 0, v8
	s_cbranch_execz .LBB187_729
; %bb.722:                              ;   in Loop: Header=BB187_12 Depth=1
	v_mov_b64_e32 v[40:41], 0x80000000
	v_and_b32_e32 v8, 0xff, v119
	s_mov_b32 s19, exec_lo
	s_delay_alu instid0(VALU_DEP_1)
	v_cmpx_ne_u16_e32 0x80, v8
	s_cbranch_execz .LBB187_728
; %bb.723:                              ;   in Loop: Header=BB187_12 Depth=1
	v_mov_b64_e32 v[40:41], 0x7f800001
	v_and_b32_e32 v46, 0x7f, v119
	s_mov_b32 s20, exec_lo
	s_delay_alu instid0(VALU_DEP_1)
	v_cmpx_ne_u32_e32 0x7f, v46
	s_cbranch_execz .LBB187_727
; %bb.724:                              ;   in Loop: Header=BB187_12 Depth=1
	v_dual_lshrrev_b32 v40, 3, v46 :: v_dual_bitop2_b32 v24, 7, v119 bitop3:0x40
	s_mov_b32 s21, exec_lo
	v_cmpx_gt_u32_e32 8, v46
; %bb.725:                              ;   in Loop: Header=BB187_12 Depth=1
	s_delay_alu instid0(VALU_DEP_2) | instskip(NEXT) | instid1(VALU_DEP_1)
	v_clz_i32_u32_e32 v8, v24
	v_min_u32_e32 v8, 32, v8
	s_delay_alu instid0(VALU_DEP_1) | instskip(NEXT) | instid1(VALU_DEP_1)
	v_subrev_nc_u32_e32 v9, 28, v8
	v_lshlrev_b64_e32 v[46:47], v9, v[24:25]
	s_delay_alu instid0(VALU_DEP_1)
	v_dual_sub_nc_u32 v40, 29, v8 :: v_dual_bitop2_b32 v24, 7, v46 bitop3:0x40
; %bb.726:                              ;   in Loop: Header=BB187_12 Depth=1
	s_or_b32 exec_lo, exec_lo, s21
	s_delay_alu instid0(VALU_DEP_1) | instskip(NEXT) | instid1(VALU_DEP_2)
	v_dual_lshlrev_b32 v8, 24, v119 :: v_dual_lshlrev_b32 v9, 20, v24
	v_lshl_add_u32 v24, v40, 23, 0x3c000000
	s_delay_alu instid0(VALU_DEP_2) | instskip(NEXT) | instid1(VALU_DEP_1)
	v_and_b32_e32 v8, 0x80000000, v8
	v_or3_b32 v24, v9, v8, v24
	s_delay_alu instid0(VALU_DEP_1)
	v_mov_b64_e32 v[40:41], v[24:25]
.LBB187_727:                            ;   in Loop: Header=BB187_12 Depth=1
	s_or_b32 exec_lo, exec_lo, s20
.LBB187_728:                            ;   in Loop: Header=BB187_12 Depth=1
	s_delay_alu instid0(SALU_CYCLE_1)
	s_or_b32 exec_lo, exec_lo, s19
.LBB187_729:                            ;   in Loop: Header=BB187_12 Depth=1
	s_delay_alu instid0(SALU_CYCLE_1) | instskip(SKIP_2) | instid1(VALU_DEP_1)
	s_or_b32 exec_lo, exec_lo, s18
	v_lshrrev_b16 v24, 8, v119
	s_mov_b32 s18, exec_lo
	v_cmpx_ne_u16_e32 0, v24
	s_cbranch_execz .LBB187_737
; %bb.730:                              ;   in Loop: Header=BB187_12 Depth=1
	v_mov_b64_e32 v[58:59], 0x8000000000000000
	s_mov_b32 s19, exec_lo
	v_cmpx_ne_u16_e32 0x80, v24
	s_cbranch_execz .LBB187_736
; %bb.731:                              ;   in Loop: Header=BB187_12 Depth=1
	v_and_b32_e32 v24, 0xffff, v24
	v_mov_b64_e32 v[58:59], 0x7f80000100000000
	s_mov_b32 s20, exec_lo
	s_delay_alu instid0(VALU_DEP_2) | instskip(NEXT) | instid1(VALU_DEP_1)
	v_and_b32_e32 v47, 0x7f, v24
	v_cmpx_ne_u32_e32 0x7f, v47
	s_cbranch_execz .LBB187_735
; %bb.732:                              ;   in Loop: Header=BB187_12 Depth=1
	v_dual_lshrrev_b32 v46, 3, v47 :: v_dual_bitop2_b32 v24, 7, v24 bitop3:0x40
	s_mov_b32 s21, exec_lo
	v_cmpx_gt_u32_e32 8, v47
; %bb.733:                              ;   in Loop: Header=BB187_12 Depth=1
	s_delay_alu instid0(VALU_DEP_2) | instskip(NEXT) | instid1(VALU_DEP_1)
	v_clz_i32_u32_e32 v8, v24
	v_min_u32_e32 v8, 32, v8
	s_delay_alu instid0(VALU_DEP_1) | instskip(NEXT) | instid1(VALU_DEP_1)
	v_subrev_nc_u32_e32 v9, 28, v8
	v_lshlrev_b64_e32 v[58:59], v9, v[24:25]
	s_delay_alu instid0(VALU_DEP_1)
	v_dual_sub_nc_u32 v46, 29, v8 :: v_dual_bitop2_b32 v24, 7, v58 bitop3:0x40
; %bb.734:                              ;   in Loop: Header=BB187_12 Depth=1
	s_or_b32 exec_lo, exec_lo, s21
	s_delay_alu instid0(VALU_DEP_1) | instskip(NEXT) | instid1(VALU_DEP_2)
	v_dual_lshlrev_b32 v8, 16, v119 :: v_dual_lshlrev_b32 v9, 20, v24
	v_lshl_add_u32 v24, v46, 23, 0x3c000000
	v_mov_b32_e32 v58, v25
	s_delay_alu instid0(VALU_DEP_3) | instskip(NEXT) | instid1(VALU_DEP_1)
	v_and_b32_e32 v8, 0x80000000, v8
	v_or3_b32 v59, v9, v8, v24
.LBB187_735:                            ;   in Loop: Header=BB187_12 Depth=1
	s_or_b32 exec_lo, exec_lo, s20
.LBB187_736:                            ;   in Loop: Header=BB187_12 Depth=1
	s_delay_alu instid0(SALU_CYCLE_1)
	s_or_b32 exec_lo, exec_lo, s19
.LBB187_737:                            ;   in Loop: Header=BB187_12 Depth=1
	s_delay_alu instid0(SALU_CYCLE_1)
	s_or_b32 exec_lo, exec_lo, s18
	flat_load_u16 v8, v[76:77] offset:2820
	v_mov_b64_e32 v[74:75], 0
	v_mov_b64_e32 v[46:47], 0
	s_mov_b32 s18, exec_lo
	s_wait_loadcnt_dscnt 0x0
	v_and_b32_e32 v119, 0xffff, v8
	v_and_b32_e32 v8, 0xff, v8
	s_wait_xcnt 0x0
	s_delay_alu instid0(VALU_DEP_1)
	v_cmpx_ne_u16_e32 0, v8
	s_cbranch_execz .LBB187_745
; %bb.738:                              ;   in Loop: Header=BB187_12 Depth=1
	v_mov_b64_e32 v[46:47], 0x80000000
	v_and_b32_e32 v8, 0xff, v119
	s_mov_b32 s19, exec_lo
	s_delay_alu instid0(VALU_DEP_1)
	v_cmpx_ne_u16_e32 0x80, v8
	s_cbranch_execz .LBB187_744
; %bb.739:                              ;   in Loop: Header=BB187_12 Depth=1
	v_mov_b64_e32 v[46:47], 0x7f800001
	v_and_b32_e32 v62, 0x7f, v119
	s_mov_b32 s20, exec_lo
	s_delay_alu instid0(VALU_DEP_1)
	v_cmpx_ne_u32_e32 0x7f, v62
	s_cbranch_execz .LBB187_743
; %bb.740:                              ;   in Loop: Header=BB187_12 Depth=1
	v_dual_lshrrev_b32 v46, 3, v62 :: v_dual_bitop2_b32 v24, 7, v119 bitop3:0x40
	s_mov_b32 s21, exec_lo
	v_cmpx_gt_u32_e32 8, v62
; %bb.741:                              ;   in Loop: Header=BB187_12 Depth=1
	s_delay_alu instid0(VALU_DEP_2) | instskip(NEXT) | instid1(VALU_DEP_1)
	v_clz_i32_u32_e32 v8, v24
	v_min_u32_e32 v8, 32, v8
	s_delay_alu instid0(VALU_DEP_1) | instskip(NEXT) | instid1(VALU_DEP_1)
	v_subrev_nc_u32_e32 v9, 28, v8
	v_lshlrev_b64_e32 v[62:63], v9, v[24:25]
	s_delay_alu instid0(VALU_DEP_1)
	v_dual_sub_nc_u32 v46, 29, v8 :: v_dual_bitop2_b32 v24, 7, v62 bitop3:0x40
; %bb.742:                              ;   in Loop: Header=BB187_12 Depth=1
	s_or_b32 exec_lo, exec_lo, s21
	s_delay_alu instid0(VALU_DEP_1) | instskip(NEXT) | instid1(VALU_DEP_2)
	v_dual_lshlrev_b32 v8, 24, v119 :: v_dual_lshlrev_b32 v9, 20, v24
	v_lshl_add_u32 v24, v46, 23, 0x3c000000
	s_delay_alu instid0(VALU_DEP_2) | instskip(NEXT) | instid1(VALU_DEP_1)
	v_and_b32_e32 v8, 0x80000000, v8
	v_or3_b32 v24, v9, v8, v24
	s_delay_alu instid0(VALU_DEP_1)
	v_mov_b64_e32 v[46:47], v[24:25]
.LBB187_743:                            ;   in Loop: Header=BB187_12 Depth=1
	s_or_b32 exec_lo, exec_lo, s20
.LBB187_744:                            ;   in Loop: Header=BB187_12 Depth=1
	s_delay_alu instid0(SALU_CYCLE_1)
	s_or_b32 exec_lo, exec_lo, s19
.LBB187_745:                            ;   in Loop: Header=BB187_12 Depth=1
	s_delay_alu instid0(SALU_CYCLE_1) | instskip(SKIP_2) | instid1(VALU_DEP_1)
	s_or_b32 exec_lo, exec_lo, s18
	v_lshrrev_b16 v24, 8, v119
	s_mov_b32 s18, exec_lo
	v_cmpx_ne_u16_e32 0, v24
	s_cbranch_execz .LBB187_753
; %bb.746:                              ;   in Loop: Header=BB187_12 Depth=1
	v_mov_b64_e32 v[74:75], 0x8000000000000000
	s_mov_b32 s19, exec_lo
	v_cmpx_ne_u16_e32 0x80, v24
	s_cbranch_execz .LBB187_752
; %bb.747:                              ;   in Loop: Header=BB187_12 Depth=1
	v_and_b32_e32 v24, 0xffff, v24
	v_mov_b64_e32 v[74:75], 0x7f80000100000000
	s_mov_b32 s20, exec_lo
	s_delay_alu instid0(VALU_DEP_2) | instskip(NEXT) | instid1(VALU_DEP_1)
	v_and_b32_e32 v63, 0x7f, v24
	v_cmpx_ne_u32_e32 0x7f, v63
	s_cbranch_execz .LBB187_751
; %bb.748:                              ;   in Loop: Header=BB187_12 Depth=1
	v_dual_lshrrev_b32 v62, 3, v63 :: v_dual_bitop2_b32 v24, 7, v24 bitop3:0x40
	s_mov_b32 s21, exec_lo
	v_cmpx_gt_u32_e32 8, v63
; %bb.749:                              ;   in Loop: Header=BB187_12 Depth=1
	s_delay_alu instid0(VALU_DEP_2) | instskip(NEXT) | instid1(VALU_DEP_1)
	v_clz_i32_u32_e32 v8, v24
	v_min_u32_e32 v8, 32, v8
	s_delay_alu instid0(VALU_DEP_1) | instskip(NEXT) | instid1(VALU_DEP_1)
	v_subrev_nc_u32_e32 v9, 28, v8
	v_lshlrev_b64_e32 v[74:75], v9, v[24:25]
	s_delay_alu instid0(VALU_DEP_1)
	v_dual_sub_nc_u32 v62, 29, v8 :: v_dual_bitop2_b32 v24, 7, v74 bitop3:0x40
; %bb.750:                              ;   in Loop: Header=BB187_12 Depth=1
	s_or_b32 exec_lo, exec_lo, s21
	s_delay_alu instid0(VALU_DEP_1) | instskip(NEXT) | instid1(VALU_DEP_2)
	v_dual_lshlrev_b32 v8, 16, v119 :: v_dual_lshlrev_b32 v9, 20, v24
	v_lshl_add_u32 v24, v62, 23, 0x3c000000
	v_mov_b32_e32 v74, v25
	s_delay_alu instid0(VALU_DEP_3) | instskip(NEXT) | instid1(VALU_DEP_1)
	v_and_b32_e32 v8, 0x80000000, v8
	v_or3_b32 v75, v9, v8, v24
.LBB187_751:                            ;   in Loop: Header=BB187_12 Depth=1
	s_or_b32 exec_lo, exec_lo, s20
.LBB187_752:                            ;   in Loop: Header=BB187_12 Depth=1
	s_delay_alu instid0(SALU_CYCLE_1)
	s_or_b32 exec_lo, exec_lo, s19
.LBB187_753:                            ;   in Loop: Header=BB187_12 Depth=1
	s_delay_alu instid0(SALU_CYCLE_1)
	s_or_b32 exec_lo, exec_lo, s18
	flat_load_u16 v8, v[76:77] offset:2824
	v_mov_b64_e32 v[88:89], 0
	v_mov_b64_e32 v[62:63], 0
	s_mov_b32 s18, exec_lo
	s_wait_loadcnt_dscnt 0x0
	v_and_b32_e32 v119, 0xffff, v8
	v_and_b32_e32 v8, 0xff, v8
	s_wait_xcnt 0x0
	s_delay_alu instid0(VALU_DEP_1)
	v_cmpx_ne_u16_e32 0, v8
	s_cbranch_execz .LBB187_761
; %bb.754:                              ;   in Loop: Header=BB187_12 Depth=1
	v_mov_b64_e32 v[62:63], 0x80000000
	v_and_b32_e32 v8, 0xff, v119
	s_mov_b32 s19, exec_lo
	s_delay_alu instid0(VALU_DEP_1)
	v_cmpx_ne_u16_e32 0x80, v8
	s_cbranch_execz .LBB187_760
; %bb.755:                              ;   in Loop: Header=BB187_12 Depth=1
	v_mov_b64_e32 v[62:63], 0x7f800001
	v_and_b32_e32 v92, 0x7f, v119
	s_mov_b32 s20, exec_lo
	s_delay_alu instid0(VALU_DEP_1)
	v_cmpx_ne_u32_e32 0x7f, v92
	s_cbranch_execz .LBB187_759
; %bb.756:                              ;   in Loop: Header=BB187_12 Depth=1
	v_dual_lshrrev_b32 v62, 3, v92 :: v_dual_bitop2_b32 v24, 7, v119 bitop3:0x40
	s_mov_b32 s21, exec_lo
	v_cmpx_gt_u32_e32 8, v92
; %bb.757:                              ;   in Loop: Header=BB187_12 Depth=1
	s_delay_alu instid0(VALU_DEP_2) | instskip(NEXT) | instid1(VALU_DEP_1)
	v_clz_i32_u32_e32 v8, v24
	v_min_u32_e32 v8, 32, v8
	s_delay_alu instid0(VALU_DEP_1) | instskip(SKIP_1) | instid1(VALU_DEP_2)
	v_subrev_nc_u32_e32 v9, 28, v8
	v_sub_nc_u32_e32 v62, 29, v8
	v_lshlrev_b64_e32 v[92:93], v9, v[24:25]
	s_delay_alu instid0(VALU_DEP_1)
	v_and_b32_e32 v24, 7, v92
; %bb.758:                              ;   in Loop: Header=BB187_12 Depth=1
	s_or_b32 exec_lo, exec_lo, s21
	s_delay_alu instid0(VALU_DEP_1) | instskip(SKIP_1) | instid1(VALU_DEP_2)
	v_dual_lshlrev_b32 v8, 24, v119 :: v_dual_lshlrev_b32 v9, 20, v24
	v_lshl_add_u32 v24, v62, 23, 0x3c000000
	v_and_b32_e32 v8, 0x80000000, v8
	s_delay_alu instid0(VALU_DEP_1) | instskip(NEXT) | instid1(VALU_DEP_1)
	v_or3_b32 v24, v9, v8, v24
	v_mov_b64_e32 v[62:63], v[24:25]
.LBB187_759:                            ;   in Loop: Header=BB187_12 Depth=1
	s_or_b32 exec_lo, exec_lo, s20
.LBB187_760:                            ;   in Loop: Header=BB187_12 Depth=1
	s_delay_alu instid0(SALU_CYCLE_1)
	s_or_b32 exec_lo, exec_lo, s19
.LBB187_761:                            ;   in Loop: Header=BB187_12 Depth=1
	s_delay_alu instid0(SALU_CYCLE_1) | instskip(SKIP_2) | instid1(VALU_DEP_1)
	s_or_b32 exec_lo, exec_lo, s18
	v_lshrrev_b16 v24, 8, v119
	s_mov_b32 s18, exec_lo
	v_cmpx_ne_u16_e32 0, v24
	s_cbranch_execz .LBB187_769
; %bb.762:                              ;   in Loop: Header=BB187_12 Depth=1
	v_mov_b64_e32 v[88:89], 0x8000000000000000
	s_mov_b32 s19, exec_lo
	v_cmpx_ne_u16_e32 0x80, v24
	s_cbranch_execz .LBB187_768
; %bb.763:                              ;   in Loop: Header=BB187_12 Depth=1
	v_and_b32_e32 v24, 0xffff, v24
	v_mov_b64_e32 v[88:89], 0x7f80000100000000
	s_mov_b32 s20, exec_lo
	s_delay_alu instid0(VALU_DEP_2) | instskip(NEXT) | instid1(VALU_DEP_1)
	v_and_b32_e32 v92, 0x7f, v24
	v_cmpx_ne_u32_e32 0x7f, v92
	s_cbranch_execz .LBB187_767
; %bb.764:                              ;   in Loop: Header=BB187_12 Depth=1
	v_and_b32_e32 v24, 7, v24
	v_lshrrev_b32_e32 v88, 3, v92
	s_mov_b32 s21, exec_lo
	v_cmpx_gt_u32_e32 8, v92
; %bb.765:                              ;   in Loop: Header=BB187_12 Depth=1
	s_delay_alu instid0(VALU_DEP_3) | instskip(NEXT) | instid1(VALU_DEP_1)
	v_clz_i32_u32_e32 v8, v24
	v_min_u32_e32 v8, 32, v8
	s_delay_alu instid0(VALU_DEP_1) | instskip(SKIP_1) | instid1(VALU_DEP_2)
	v_subrev_nc_u32_e32 v9, 28, v8
	v_sub_nc_u32_e32 v88, 29, v8
	v_lshlrev_b64_e32 v[92:93], v9, v[24:25]
	s_delay_alu instid0(VALU_DEP_1)
	v_and_b32_e32 v24, 7, v92
; %bb.766:                              ;   in Loop: Header=BB187_12 Depth=1
	s_or_b32 exec_lo, exec_lo, s21
	s_delay_alu instid0(VALU_DEP_1) | instskip(SKIP_2) | instid1(VALU_DEP_3)
	v_dual_lshlrev_b32 v8, 16, v119 :: v_dual_lshlrev_b32 v9, 20, v24
	v_lshl_add_u32 v24, v88, 23, 0x3c000000
	v_mov_b32_e32 v88, v25
	v_and_b32_e32 v8, 0x80000000, v8
	s_delay_alu instid0(VALU_DEP_1)
	v_or3_b32 v89, v9, v8, v24
.LBB187_767:                            ;   in Loop: Header=BB187_12 Depth=1
	s_or_b32 exec_lo, exec_lo, s20
.LBB187_768:                            ;   in Loop: Header=BB187_12 Depth=1
	s_delay_alu instid0(SALU_CYCLE_1)
	s_or_b32 exec_lo, exec_lo, s19
.LBB187_769:                            ;   in Loop: Header=BB187_12 Depth=1
	s_delay_alu instid0(SALU_CYCLE_1)
	s_or_b32 exec_lo, exec_lo, s18
	flat_load_u16 v8, v[76:77] offset:2828
	s_wait_xcnt 0x0
	v_mov_b64_e32 v[76:77], 0
	v_mov_b64_e32 v[92:93], 0
	s_mov_b32 s18, exec_lo
	s_wait_loadcnt_dscnt 0x0
	v_and_b32_e32 v119, 0xffff, v8
	v_and_b32_e32 v8, 0xff, v8
	s_delay_alu instid0(VALU_DEP_1)
	v_cmpx_ne_u16_e32 0, v8
	s_cbranch_execz .LBB187_777
; %bb.770:                              ;   in Loop: Header=BB187_12 Depth=1
	v_mov_b64_e32 v[92:93], 0x80000000
	v_and_b32_e32 v8, 0xff, v119
	s_mov_b32 s19, exec_lo
	s_delay_alu instid0(VALU_DEP_1)
	v_cmpx_ne_u16_e32 0x80, v8
	s_cbranch_execz .LBB187_776
; %bb.771:                              ;   in Loop: Header=BB187_12 Depth=1
	v_mov_b64_e32 v[92:93], 0x7f800001
	v_and_b32_e32 v29, 0x7f, v119
	s_mov_b32 s20, exec_lo
	s_delay_alu instid0(VALU_DEP_1)
	v_cmpx_ne_u32_e32 0x7f, v29
	s_cbranch_execz .LBB187_775
; %bb.772:                              ;   in Loop: Header=BB187_12 Depth=1
	v_dual_lshrrev_b32 v92, 3, v29 :: v_dual_bitop2_b32 v24, 7, v119 bitop3:0x40
	s_mov_b32 s21, exec_lo
	v_cmpx_gt_u32_e32 8, v29
; %bb.773:                              ;   in Loop: Header=BB187_12 Depth=1
	s_delay_alu instid0(VALU_DEP_2) | instskip(NEXT) | instid1(VALU_DEP_1)
	v_clz_i32_u32_e32 v8, v24
	v_min_u32_e32 v29, 32, v8
	s_delay_alu instid0(VALU_DEP_1) | instskip(NEXT) | instid1(VALU_DEP_1)
	v_subrev_nc_u32_e32 v8, 28, v29
	v_lshlrev_b64_e32 v[8:9], v8, v[24:25]
	s_delay_alu instid0(VALU_DEP_1)
	v_dual_sub_nc_u32 v92, 29, v29 :: v_dual_bitop2_b32 v24, 7, v8 bitop3:0x40
; %bb.774:                              ;   in Loop: Header=BB187_12 Depth=1
	s_or_b32 exec_lo, exec_lo, s21
	s_delay_alu instid0(VALU_DEP_1) | instskip(NEXT) | instid1(VALU_DEP_2)
	v_dual_lshlrev_b32 v8, 24, v119 :: v_dual_lshlrev_b32 v9, 20, v24
	v_lshl_add_u32 v24, v92, 23, 0x3c000000
	s_delay_alu instid0(VALU_DEP_2) | instskip(NEXT) | instid1(VALU_DEP_1)
	v_and_b32_e32 v8, 0x80000000, v8
	v_or3_b32 v24, v9, v8, v24
	s_delay_alu instid0(VALU_DEP_1)
	v_mov_b64_e32 v[92:93], v[24:25]
.LBB187_775:                            ;   in Loop: Header=BB187_12 Depth=1
	s_or_b32 exec_lo, exec_lo, s20
	scratch_load_b32 v29, off, s32 offset:796 ; 4-byte Folded Reload
.LBB187_776:                            ;   in Loop: Header=BB187_12 Depth=1
	s_wait_xcnt 0x0
	s_or_b32 exec_lo, exec_lo, s19
.LBB187_777:                            ;   in Loop: Header=BB187_12 Depth=1
	s_delay_alu instid0(SALU_CYCLE_1) | instskip(SKIP_2) | instid1(VALU_DEP_1)
	s_or_b32 exec_lo, exec_lo, s18
	v_lshrrev_b16 v24, 8, v119
	s_mov_b32 s18, exec_lo
	v_cmpx_ne_u16_e32 0, v24
	s_cbranch_execz .LBB187_785
; %bb.778:                              ;   in Loop: Header=BB187_12 Depth=1
	v_mov_b64_e32 v[76:77], 0x8000000000000000
	s_mov_b32 s19, exec_lo
	v_cmpx_ne_u16_e32 0x80, v24
	s_cbranch_execz .LBB187_784
; %bb.779:                              ;   in Loop: Header=BB187_12 Depth=1
	v_and_b32_e32 v24, 0xffff, v24
	v_mov_b64_e32 v[76:77], 0x7f80000100000000
	s_mov_b32 s20, exec_lo
	s_wait_loadcnt 0x0
	s_delay_alu instid0(VALU_DEP_2) | instskip(NEXT) | instid1(VALU_DEP_1)
	v_and_b32_e32 v29, 0x7f, v24
	v_cmpx_ne_u32_e32 0x7f, v29
	s_cbranch_execz .LBB187_783
; %bb.780:                              ;   in Loop: Header=BB187_12 Depth=1
	v_dual_lshrrev_b32 v76, 3, v29 :: v_dual_bitop2_b32 v24, 7, v24 bitop3:0x40
	s_mov_b32 s21, exec_lo
	v_cmpx_gt_u32_e32 8, v29
; %bb.781:                              ;   in Loop: Header=BB187_12 Depth=1
	s_delay_alu instid0(VALU_DEP_2) | instskip(NEXT) | instid1(VALU_DEP_1)
	v_clz_i32_u32_e32 v8, v24
	v_min_u32_e32 v29, 32, v8
	s_delay_alu instid0(VALU_DEP_1) | instskip(NEXT) | instid1(VALU_DEP_1)
	v_subrev_nc_u32_e32 v8, 28, v29
	v_lshlrev_b64_e32 v[8:9], v8, v[24:25]
	s_delay_alu instid0(VALU_DEP_1)
	v_dual_sub_nc_u32 v76, 29, v29 :: v_dual_bitop2_b32 v24, 7, v8 bitop3:0x40
; %bb.782:                              ;   in Loop: Header=BB187_12 Depth=1
	s_or_b32 exec_lo, exec_lo, s21
	s_delay_alu instid0(VALU_DEP_1) | instskip(NEXT) | instid1(VALU_DEP_2)
	v_dual_lshlrev_b32 v8, 16, v119 :: v_dual_lshlrev_b32 v9, 20, v24
	v_lshl_add_u32 v24, v76, 23, 0x3c000000
	v_mov_b32_e32 v76, v25
	s_delay_alu instid0(VALU_DEP_3) | instskip(NEXT) | instid1(VALU_DEP_1)
	v_and_b32_e32 v8, 0x80000000, v8
	v_or3_b32 v77, v9, v8, v24
.LBB187_783:                            ;   in Loop: Header=BB187_12 Depth=1
	s_or_b32 exec_lo, exec_lo, s20
	scratch_load_b32 v29, off, s32 offset:796 ; 4-byte Folded Reload
.LBB187_784:                            ;   in Loop: Header=BB187_12 Depth=1
	s_wait_xcnt 0x0
	s_or_b32 exec_lo, exec_lo, s19
.LBB187_785:                            ;   in Loop: Header=BB187_12 Depth=1
	s_delay_alu instid0(SALU_CYCLE_1)
	s_or_b32 exec_lo, exec_lo, s18
	v_or_b32_e32 v9, v113, v111
	v_or_b32_e32 v8, v112, v110
	scratch_load_b64 v[112:113], off, s32 offset:216 th:TH_LOAD_LU ; 8-byte Folded Reload
	v_or_b32_e32 v15, v15, v125
	v_or_b32_e32 v14, v14, v124
	v_or_b32_e32 v56, v106, v56
	v_pk_mul_f32 v[8:9], v[44:45], v[8:9] op_sel_hi:[0,1]
	v_or_b32_e32 v5, v5, v13
	v_or_b32_e32 v4, v4, v12
	v_pk_mul_f32 v[14:15], v[44:45], v[14:15] op_sel_hi:[0,1]
	v_or_b32_e32 v57, v107, v57
	v_or_b32_e32 v10, v108, v10
	;; [unrolled: 1-line block ×3, first 2 shown]
	v_pk_mul_f32 v[4:5], v[44:45], v[4:5] op_sel_hi:[0,1]
	v_or_b32_e32 v11, v109, v11
	v_pk_mul_f32 v[56:57], v[44:45], v[56:57] op_sel_hi:[0,1]
	s_wait_loadcnt 0x0
	v_or_b32_e32 v61, v61, v113
	v_or_b32_e32 v60, v60, v112
	scratch_load_b128 v[110:113], off, s32 offset:736 th:TH_LOAD_LU ; 16-byte Folded Reload
	s_wait_loadcnt 0x0
	v_dual_mul_f32 v24, v112, v8 :: v_dual_mul_f32 v119, v113, v9
	v_pk_mul_f32 v[8:9], v[44:45], v[60:61] op_sel_hi:[0,1]
	s_delay_alu instid0(VALU_DEP_1)
	v_dual_fmac_f32 v24, v110, v8 :: v_dual_fmac_f32 v119, v111, v9
	s_clause 0x1
	scratch_load_b64 v[8:9], off, s32 offset:224 th:TH_LOAD_LU
	scratch_load_b64 v[112:113], off, s32 offset:232 th:TH_LOAD_LU
	s_wait_loadcnt 0x0
	v_or_b32_e32 v9, v9, v113
	v_or_b32_e32 v8, v8, v112
	s_clause 0x1
	scratch_load_b64 v[112:113], off, s32 offset:240 th:TH_LOAD_LU
	scratch_load_b64 v[60:61], off, s32 offset:248 th:TH_LOAD_LU
	v_pk_mul_f32 v[8:9], v[44:45], v[8:9] op_sel_hi:[0,1]
	s_wait_loadcnt 0x0
	v_or_b32_e32 v61, v113, v61
	v_or_b32_e32 v60, v112, v60
	scratch_load_b128 v[110:113], off, s32 offset:704 th:TH_LOAD_LU ; 16-byte Folded Reload
	s_wait_loadcnt 0x0
	v_dual_fmac_f32 v24, v110, v8 :: v_dual_fmac_f32 v119, v111, v9
	v_pk_mul_f32 v[8:9], v[44:45], v[60:61] op_sel_hi:[0,1]
	s_delay_alu instid0(VALU_DEP_1)
	v_dual_fmac_f32 v24, v112, v8 :: v_dual_fmac_f32 v119, v113, v9
	s_clause 0x1
	scratch_load_b64 v[8:9], off, s32 offset:256 th:TH_LOAD_LU
	scratch_load_b64 v[112:113], off, s32 offset:264 th:TH_LOAD_LU
	s_wait_loadcnt 0x0
	v_or_b32_e32 v9, v9, v113
	v_or_b32_e32 v8, v8, v112
	s_clause 0x1
	scratch_load_b64 v[112:113], off, s32 offset:272 th:TH_LOAD_LU
	scratch_load_b64 v[60:61], off, s32 offset:280 th:TH_LOAD_LU
	v_pk_mul_f32 v[8:9], v[44:45], v[8:9] op_sel_hi:[0,1]
	s_wait_loadcnt 0x0
	v_or_b32_e32 v61, v113, v61
	v_or_b32_e32 v60, v112, v60
	scratch_load_b128 v[110:113], off, s32 offset:720 th:TH_LOAD_LU ; 16-byte Folded Reload
	s_wait_loadcnt 0x0
	v_dual_fmac_f32 v24, v110, v8 :: v_dual_fmac_f32 v119, v111, v9
	;; [unrolled: 19-line block ×8, first 2 shown]
	v_pk_mul_f32 v[8:9], v[44:45], v[60:61] op_sel_hi:[0,1]
	s_delay_alu instid0(VALU_DEP_1)
	v_dual_fmac_f32 v24, v112, v8 :: v_dual_fmac_f32 v119, v113, v9
	s_clause 0x1
	scratch_load_b64 v[8:9], off, s32 offset:480 th:TH_LOAD_LU
	scratch_load_b64 v[112:113], off, s32 offset:488 th:TH_LOAD_LU
	s_wait_loadcnt 0x0
	v_or_b32_e32 v9, v9, v113
	v_or_b32_e32 v8, v8, v112
	s_clause 0x1
	scratch_load_b64 v[112:113], off, s32 offset:496 th:TH_LOAD_LU
	scratch_load_b64 v[60:61], off, s32 offset:504 th:TH_LOAD_LU
	ds_load_2addr_b64 v[106:109], v45 offset0:27 offset1:28
	v_pk_mul_f32 v[8:9], v[44:45], v[8:9] op_sel_hi:[0,1]
	s_wait_loadcnt 0x0
	v_or_b32_e32 v61, v113, v61
	v_or_b32_e32 v60, v112, v60
	scratch_load_b128 v[110:113], off, s32 offset:592 th:TH_LOAD_LU ; 16-byte Folded Reload
	s_wait_loadcnt 0x0
	v_dual_fmac_f32 v24, v110, v8 :: v_dual_fmac_f32 v119, v111, v9
	v_pk_mul_f32 v[8:9], v[44:45], v[60:61] op_sel_hi:[0,1]
	s_delay_alu instid0(VALU_DEP_1)
	v_dual_fmac_f32 v24, v112, v8 :: v_dual_fmac_f32 v119, v113, v9
	v_or_b32_e32 v61, v123, v3
	v_or_b32_e32 v60, v122, v2
	s_clause 0x1
	scratch_load_b64 v[2:3], off, s32 offset:512 th:TH_LOAD_LU
	scratch_load_b64 v[112:113], off, s32 offset:528 th:TH_LOAD_LU
	s_wait_loadcnt 0x1
	v_or_b32_e32 v9, v73, v3
	v_or_b32_e32 v8, v72, v2
	scratch_load_b64 v[2:3], off, s32 offset:520 th:TH_LOAD_LU ; 8-byte Folded Reload
	s_wait_loadcnt 0x1
	v_or_b32_e32 v91, v91, v113
	v_or_b32_e32 v90, v90, v112
	scratch_load_b128 v[110:113], off, s32 offset:576 th:TH_LOAD_LU ; 16-byte Folded Reload
	v_pk_mul_f32 v[8:9], v[44:45], v[8:9] op_sel_hi:[0,1]
	v_pk_mul_f32 v[90:91], v[44:45], v[90:91] op_sel_hi:[0,1]
	s_wait_loadcnt 0x1
	v_or_b32_e32 v79, v79, v3
	v_or_b32_e32 v78, v78, v2
	s_wait_loadcnt 0x0
	v_dual_fmac_f32 v24, v110, v8 :: v_dual_fmac_f32 v119, v111, v9
	v_pk_mul_f32 v[60:61], v[44:45], v[60:61] op_sel_hi:[0,1]
	s_delay_alu instid0(VALU_DEP_3) | instskip(NEXT) | instid1(VALU_DEP_1)
	v_pk_mul_f32 v[78:79], v[44:45], v[78:79] op_sel_hi:[0,1]
	v_dual_fmac_f32 v24, v112, v78 :: v_dual_fmac_f32 v119, v113, v79
	scratch_load_b128 v[110:113], off, s32 offset:560 th:TH_LOAD_LU ; 16-byte Folded Reload
	v_pk_mul_f32 v[78:79], v[44:45], v[10:11] op_sel_hi:[0,1]
	scratch_load_b64 v[10:11], off, s32 offset:552 th:TH_LOAD_LU ; 8-byte Folded Reload
	v_or_b32_e32 v73, v95, v121
	v_or_b32_e32 v72, v94, v120
	ds_load_2addr_b64 v[120:123], v45 offset0:25 offset1:26
	s_wait_loadcnt 0x1
	v_dual_fmac_f32 v24, v110, v90 :: v_dual_fmac_f32 v119, v111, v91
	v_pk_mul_f32 v[72:73], v[44:45], v[72:73] op_sel_hi:[0,1]
	s_delay_alu instid0(VALU_DEP_1) | instskip(SKIP_2) | instid1(VALU_DEP_2)
	v_dual_fmac_f32 v24, v112, v72 :: v_dual_fmac_f32 v119, v113, v73
	v_or_b32_e32 v3, v89, v63
	s_wait_loadcnt 0x0
	v_dual_fmac_f32 v24, v10, v56 :: v_dual_bitop2_b32 v113, v31, v33 bitop3:0x54
	s_delay_alu instid0(VALU_DEP_3) | instskip(SKIP_4) | instid1(VALU_DEP_1)
	v_fmac_f32_e32 v119, v11, v57
	v_or_b32_e32 v41, v59, v41
	ds_load_2addr_b64 v[10:13], v45 offset0:29 offset1:30
	s_wait_dscnt 0x1
	v_dual_fmac_f32 v24, v120, v78 :: v_dual_fmac_f32 v119, v121, v79
	v_dual_fmac_f32 v24, v122, v60 :: v_dual_bitop2_b32 v1, v1, v117 bitop3:0x54
	s_delay_alu instid0(VALU_DEP_2) | instskip(NEXT) | instid1(VALU_DEP_2)
	v_fmac_f32_e32 v119, v123, v61
	v_dual_fmac_f32 v24, v106, v4 :: v_dual_bitop2_b32 v9, v83, v105 bitop3:0x54
	s_delay_alu instid0(VALU_DEP_2) | instskip(NEXT) | instid1(VALU_DEP_2)
	v_fmac_f32_e32 v119, v107, v5
	v_dual_fmac_f32 v24, v108, v14 :: v_dual_bitop2_b32 v5, v39, v49 bitop3:0x54
	s_delay_alu instid0(VALU_DEP_2) | instskip(SKIP_1) | instid1(VALU_DEP_1)
	v_dual_fmac_f32 v119, v109, v15 :: v_dual_bitop2_b32 v15, v55, v65 bitop3:0x54
	v_or_b32_e32 v14, v54, v64
	v_pk_mul_f32 v[14:15], v[44:45], v[14:15] op_sel_hi:[0,1]
	v_or_b32_e32 v4, v38, v48
	v_or_b32_e32 v35, v35, v37
	s_delay_alu instid0(VALU_DEP_2) | instskip(SKIP_4) | instid1(VALU_DEP_1)
	v_pk_mul_f32 v[4:5], v[44:45], v[4:5] op_sel_hi:[0,1]
	v_or_b32_e32 v112, v30, v32
	ds_load_2addr_b64 v[30:33], v45 offset0:31 offset1:32
	v_pk_mul_f32 v[112:113], v[44:45], v[112:113] op_sel_hi:[0,1]
	s_wait_dscnt 0x1
	v_dual_fmac_f32 v24, v10, v112 :: v_dual_bitop2_b32 v51, v51, v53 bitop3:0x54
	s_delay_alu instid0(VALU_DEP_1) | instskip(NEXT) | instid1(VALU_DEP_3)
	v_pk_mul_f32 v[48:49], v[44:45], v[50:51] op_sel_hi:[0,1]
	v_dual_fmac_f32 v119, v11, v113 :: v_dual_bitop2_b32 v34, v34, v36 bitop3:0x54
	s_delay_alu instid0(VALU_DEP_1)
	v_pk_mul_f32 v[38:39], v[44:45], v[34:35] op_sel_hi:[0,1]
	ds_load_2addr_b64 v[34:37], v45 offset0:33 offset1:34
	v_dual_fmac_f32 v24, v12, v38 :: v_dual_fmac_f32 v119, v13, v39
	ds_load_2addr_b64 v[10:13], v45 offset0:35 offset1:36
	s_wait_dscnt 0x2
	v_dual_fmac_f32 v24, v30, v4 :: v_dual_fmac_f32 v119, v31, v5
	s_delay_alu instid0(VALU_DEP_1) | instskip(SKIP_4) | instid1(VALU_DEP_2)
	v_dual_fmac_f32 v24, v32, v48 :: v_dual_fmac_f32 v119, v33, v49
	ds_load_2addr_b64 v[30:33], v45 offset0:37 offset1:38
	v_or_b32_e32 v8, v82, v104
	s_wait_dscnt 0x2
	v_dual_fmac_f32 v24, v34, v14 :: v_dual_fmac_f32 v119, v35, v15
	v_pk_mul_f32 v[8:9], v[44:45], v[8:9] op_sel_hi:[0,1]
	v_or_b32_e32 v39, v67, v69
	v_or_b32_e32 v38, v66, v68
	s_delay_alu instid0(VALU_DEP_1) | instskip(NEXT) | instid1(VALU_DEP_1)
	v_pk_mul_f32 v[38:39], v[44:45], v[38:39] op_sel_hi:[0,1]
	v_dual_fmac_f32 v24, v36, v38 :: v_dual_fmac_f32 v119, v37, v39
	ds_load_2addr_b64 v[34:37], v45 offset0:39 offset1:40
	v_or_b32_e32 v5, v71, v81
	v_or_b32_e32 v4, v70, v80
	;; [unrolled: 1-line block ×4, first 2 shown]
	s_delay_alu instid0(VALU_DEP_3) | instskip(SKIP_1) | instid1(VALU_DEP_1)
	v_pk_mul_f32 v[4:5], v[44:45], v[4:5] op_sel_hi:[0,1]
	s_wait_dscnt 0x2
	v_dual_fmac_f32 v24, v10, v4 :: v_dual_fmac_f32 v119, v11, v5
	s_delay_alu instid0(VALU_DEP_1) | instskip(SKIP_2) | instid1(VALU_DEP_1)
	v_dual_fmac_f32 v24, v12, v8 :: v_dual_fmac_f32 v119, v13, v9
	ds_load_2addr_b64 v[8:11], v45 offset0:41 offset1:42
	v_or_b32_e32 v0, v0, v116
	v_pk_mul_f32 v[0:1], v[44:45], v[0:1] op_sel_hi:[0,1]
	v_or_b32_e32 v38, v96, v98
	s_delay_alu instid0(VALU_DEP_1) | instskip(SKIP_1) | instid1(VALU_DEP_1)
	v_pk_mul_f32 v[12:13], v[44:45], v[38:39] op_sel_hi:[0,1]
	v_or_b32_e32 v15, v85, v87
	v_pk_mul_f32 v[4:5], v[44:45], v[14:15] op_sel_hi:[0,1]
	v_or_b32_e32 v15, v127, v17
	v_or_b32_e32 v14, v126, v16
	s_wait_dscnt 0x2
	s_delay_alu instid0(VALU_DEP_3) | instskip(NEXT) | instid1(VALU_DEP_2)
	v_dual_fmac_f32 v24, v30, v4 :: v_dual_fmac_f32 v119, v31, v5
	v_pk_mul_f32 v[14:15], v[44:45], v[14:15] op_sel_hi:[0,1]
	s_delay_alu instid0(VALU_DEP_2) | instskip(SKIP_3) | instid1(VALU_DEP_3)
	v_dual_fmac_f32 v24, v32, v12 :: v_dual_fmac_f32 v119, v33, v13
	v_or_b32_e32 v13, v103, v23
	v_or_b32_e32 v12, v102, v22
	s_wait_dscnt 0x1
	v_dual_fmac_f32 v24, v34, v14 :: v_dual_fmac_f32 v119, v35, v15
	s_delay_alu instid0(VALU_DEP_1) | instskip(NEXT) | instid1(VALU_DEP_3)
	v_dual_fmac_f32 v24, v36, v0 :: v_dual_fmac_f32 v119, v37, v1
	v_pk_mul_f32 v[0:1], v[44:45], v[12:13] op_sel_hi:[0,1]
	v_or_b32_e32 v17, v115, v7
	v_or_b32_e32 v16, v114, v6
	ds_load_2addr_b64 v[4:7], v45 offset0:43 offset1:44
	ds_load_2addr_b64 v[12:15], v45 offset0:45 offset1:46
	v_pk_mul_f32 v[16:17], v[44:45], v[16:17] op_sel_hi:[0,1]
	s_wait_dscnt 0x2
	s_delay_alu instid0(VALU_DEP_1) | instskip(NEXT) | instid1(VALU_DEP_1)
	v_dual_fmac_f32 v24, v8, v16 :: v_dual_fmac_f32 v119, v9, v17
	v_dual_fmac_f32 v24, v10, v0 :: v_dual_fmac_f32 v119, v11, v1
	ds_load_b64 v[10:11], v45 offset:376
	v_or_b32_e32 v40, v58, v40
	v_or_b32_e32 v2, v88, v62
	s_delay_alu instid0(VALU_DEP_2) | instskip(SKIP_2) | instid1(VALU_DEP_1)
	v_pk_mul_f32 v[0:1], v[44:45], v[40:41] op_sel_hi:[0,1]
	v_or_b32_e32 v19, v21, v19
	v_or_b32_e32 v18, v20, v18
	v_pk_mul_f32 v[8:9], v[44:45], v[18:19] op_sel_hi:[0,1]
	s_wait_dscnt 0x2
	s_delay_alu instid0(VALU_DEP_1) | instskip(NEXT) | instid1(VALU_DEP_1)
	v_dual_fmac_f32 v24, v4, v8 :: v_dual_fmac_f32 v119, v5, v9
	v_dual_fmac_f32 v24, v6, v0 :: v_dual_bitop2_b32 v17, v75, v47 bitop3:0x54
	s_delay_alu instid0(VALU_DEP_2) | instskip(SKIP_2) | instid1(VALU_DEP_1)
	v_fmac_f32_e32 v119, v7, v1
	v_pk_mul_f32 v[0:1], v[44:45], v[2:3] op_sel_hi:[0,1]
	v_or_b32_e32 v16, v74, v46
	v_pk_mul_f32 v[4:5], v[44:45], v[16:17] op_sel_hi:[0,1]
	s_wait_dscnt 0x1
	s_delay_alu instid0(VALU_DEP_1) | instskip(SKIP_1) | instid1(VALU_DEP_2)
	v_dual_fmac_f32 v24, v12, v4 :: v_dual_fmac_f32 v119, v13, v5
	v_mbcnt_lo_u32_b32 v5, -1, 0
	v_dual_fmac_f32 v24, v14, v0 :: v_dual_bitop2_b32 v3, v77, v93 bitop3:0x54
	s_delay_alu instid0(VALU_DEP_2) | instskip(NEXT) | instid1(VALU_DEP_4)
	v_xor_b32_e32 v4, 1, v5
	v_dual_fmac_f32 v119, v15, v1 :: v_dual_bitop2_b32 v2, v76, v92 bitop3:0x54
	s_delay_alu instid0(VALU_DEP_2) | instskip(NEXT) | instid1(VALU_DEP_2)
	v_cmp_gt_i32_e64 s2, 32, v4
	v_pk_mul_f32 v[2:3], v[44:45], v[2:3] op_sel_hi:[0,1]
	s_wait_dscnt 0x0
	s_delay_alu instid0(VALU_DEP_1) | instskip(NEXT) | instid1(VALU_DEP_1)
	v_dual_cndmask_b32 v0, v5, v4, s2 :: v_dual_fmac_f32 v24, v10, v2
	v_dual_fmac_f32 v119, v11, v3 :: v_dual_lshlrev_b32 v1, 2, v0
	s_delay_alu instid0(VALU_DEP_1)
	v_add_f32_e32 v0, v24, v119
	ds_bpermute_b32 v1, v1, v0
	s_wait_xcnt 0x0
	s_and_saveexec_b32 s18, vcc_lo
	s_cbranch_execz .LBB187_10
; %bb.786:                              ;   in Loop: Header=BB187_12 Depth=1
	s_clause 0x1
	scratch_load_b32 v2, off, s32 offset:804
	scratch_load_b32 v3, off, s32 offset:788
	s_load_b32 s19, s[10:11], 0x0
	s_wait_loadcnt_dscnt 0x100
	v_dual_add_f32 v0, v0, v1 :: v_dual_add_nc_u32 v2, v2, v118
	s_delay_alu instid0(VALU_DEP_1) | instskip(SKIP_1) | instid1(VALU_DEP_1)
	v_cvt_f32_i32_e32 v2, v2
	s_wait_loadcnt 0x0
	v_mul_f32_e32 v2, v3, v2
	scratch_load_b32 v3, off, s32 offset:792 ; 4-byte Folded Reload
	v_cndmask_b32_e64 v1, 0, v2, s1
	scratch_load_b32 v2, off, s32 offset:800 ; 4-byte Folded Reload
	s_wait_loadcnt 0x1
	v_fmac_f32_e32 v1, v3, v0
	scratch_load_b32 v3, off, s32 offset:776 ; 4-byte Folded Reload
	s_wait_loadcnt 0x0
	v_dual_max_num_f32 v0, v3, v3 :: v_dual_add_nc_u32 v2, v2, v118
	s_delay_alu instid0(VALU_DEP_1) | instskip(NEXT) | instid1(VALU_DEP_2)
	v_max_num_f32_e32 v0, v0, v1
	v_cmp_lt_i32_e64 s2, v2, v100
	s_wait_kmcnt 0x0
	s_delay_alu instid0(VALU_DEP_1) | instskip(NEXT) | instid1(VALU_DEP_3)
	v_dual_add_nc_u32 v2, s19, v27 :: v_dual_cndmask_b32 v1, 0, v1, s2
	v_cndmask_b32_e64 v3, v3, v0, s2
	ds_store_b32 v2, v1
	scratch_store_b32 off, v3, s32 offset:776 ; 4-byte Folded Spill
	s_branch .LBB187_10
.LBB187_787:
	s_or_b32 exec_lo, exec_lo, s17
	s_clause 0x8
	scratch_load_b64 v[34:35], off, s32 offset:820
	scratch_load_b32 v26, off, s32 offset:828
	scratch_load_b64 v[36:37], off, s32 offset:832
	scratch_load_b32 v29, off, s32 offset:840
	;; [unrolled: 2-line block ×4, first 2 shown]
	scratch_load_b32 v7, off, s32 offset:776
.LBB187_788:
	s_wait_xcnt 0x0
	s_or_b32 exec_lo, exec_lo, s16
	v_mbcnt_lo_u32_b32 v6, -1, 0
	s_wait_loadcnt 0x0
	s_delay_alu instid0(VALU_DEP_1) | instskip(SKIP_1) | instid1(VALU_DEP_2)
	v_dual_max_num_f32 v3, v7, v7 :: v_dual_bitop2_b32 v0, 16, v6 bitop3:0x14
	v_xor_b32_e32 v2, 8, v6
	v_cmp_gt_i32_e32 vcc_lo, 32, v0
	v_cndmask_b32_e32 v0, v6, v0, vcc_lo
	s_delay_alu instid0(VALU_DEP_3) | instskip(NEXT) | instid1(VALU_DEP_2)
	v_cmp_gt_i32_e32 vcc_lo, 32, v2
	v_dual_lshlrev_b32 v0, 2, v0 :: v_dual_cndmask_b32 v2, v6, v2, vcc_lo
	s_wait_dscnt 0x0
	ds_bpermute_b32 v1, v0, v7
	s_wait_dscnt 0x0
	v_dual_max_num_f32 v4, v1, v1 :: v_dual_lshlrev_b32 v1, 2, v2
	s_delay_alu instid0(VALU_DEP_1) | instskip(SKIP_4) | instid1(VALU_DEP_1)
	v_dual_max_num_f32 v2, v3, v4 :: v_dual_bitop2_b32 v4, 4, v6 bitop3:0x14
	ds_bpermute_b32 v3, v1, v2
	v_cmp_gt_i32_e32 vcc_lo, 32, v4
	s_wait_dscnt 0x0
	v_dual_cndmask_b32 v4, v6, v4 :: v_dual_max_num_f32 v5, v3, v3
	v_dual_max_num_f32 v2, v2, v5 :: v_dual_lshlrev_b32 v3, 2, v4
	ds_bpermute_b32 v4, v3, v2
	s_wait_dscnt 0x0
	v_dual_max_num_f32 v4, v4, v4 :: v_dual_bitop2_b32 v5, 2, v6 bitop3:0x14
	s_delay_alu instid0(VALU_DEP_1)
	v_cmp_gt_i32_e32 vcc_lo, 32, v5
	v_cndmask_b32_e32 v5, v6, v5, vcc_lo
	scratch_load_b64 v[6:7], off, s32 offset:752 ; 8-byte Folded Reload
	v_max_num_f32_e32 v2, v2, v4
	scratch_load_b32 v4, off, s32 offset:808 ; 4-byte Folded Reload
	s_wait_loadcnt 0x1
	v_dual_lshlrev_b32 v52, 2, v5 :: v_dual_bitop2_b32 v82, 31, v6 bitop3:0x40
	s_wait_loadcnt 0x0
	v_lshlrev_b32_e32 v4, 2, v4
	s_delay_alu instid0(VALU_DEP_2)
	v_cmp_eq_u32_e32 vcc_lo, 0, v82
	ds_bpermute_b32 v5, v52, v2
	s_wait_xcnt 0x0
	s_and_saveexec_b32 s1, vcc_lo
	s_cbranch_execz .LBB187_790
; %bb.789:
	s_wait_dscnt 0x0
	v_dual_max_num_f32 v5, v5, v5 :: v_dual_max_num_f32 v2, v2, v2
	s_delay_alu instid0(VALU_DEP_1)
	v_max_num_f32_e32 v2, v2, v5
	ds_store_b32 v4, v2 offset:768
.LBB187_790:
	s_or_b32 exec_lo, exec_lo, s1
	v_cmp_gt_u32_e64 s1, 4, v82
	s_wait_dscnt 0x0
	v_dual_mov_b32 v2, 0xff7fffff :: v_dual_lshlrev_b32 v5, 2, v82
	s_wait_storecnt 0x0
	s_barrier_signal -1
	s_barrier_wait -1
	s_and_saveexec_b32 s2, s1
; %bb.791:
	ds_load_b32 v2, v5 offset:768
; %bb.792:
	s_or_b32 exec_lo, exec_lo, s2
	s_wait_dscnt 0x0
	ds_bpermute_b32 v6, v52, v2
	v_mbcnt_lo_u32_b32 v8, -1, 0
	s_delay_alu instid0(VALU_DEP_1) | instskip(NEXT) | instid1(VALU_DEP_1)
	v_dual_max_num_f32 v2, v2, v2 :: v_dual_bitop2_b32 v7, 1, v8 bitop3:0x14
	v_cmp_gt_i32_e64 s2, 32, v7
	s_delay_alu instid0(VALU_DEP_1) | instskip(SKIP_3) | instid1(VALU_DEP_1)
	v_cndmask_b32_e64 v7, v8, v7, s2
	scratch_load_b64 v[8:9], off, s32 offset:752 ; 8-byte Folded Reload
	s_wait_dscnt 0x0
	v_dual_max_num_f32 v6, v6, v6 :: v_dual_lshlrev_b32 v83, 2, v7
	v_max_num_f32_e32 v2, v2, v6
	ds_bpermute_b32 v6, v83, v2
	s_wait_dscnt 0x0
	v_max_num_f32_e32 v6, v6, v6
	s_delay_alu instid0(VALU_DEP_1) | instskip(SKIP_4) | instid1(VALU_DEP_1)
	v_dual_max_num_f32 v2, v2, v6 :: v_dual_mov_b32 v6, 0
	ds_bpermute_b32 v7, v6, v2
	scratch_load_b32 v2, off, s32 offset:192 ; 4-byte Folded Reload
	s_wait_loadcnt 0x0
	v_lshlrev_b32_e32 v2, 4, v2
	v_min_i32_e32 v2, v2, v100
	s_delay_alu instid0(VALU_DEP_1)
	v_cmp_lt_i32_e64 s2, v8, v2
	s_and_saveexec_b32 s10, s2
	s_cbranch_execz .LBB187_796
; %bb.793:
	scratch_load_b64 v[8:9], off, s32 offset:752 ; 8-byte Folded Reload
	s_wait_kmcnt 0x0
	s_ashr_i32 s7, s6, 31
	v_mov_b32_e32 v6, 0
	s_lshl_b64 s[16:17], s[6:7], 2
	s_mov_b32 s7, 0
	s_add_nc_u64 s[16:17], s[8:9], s[16:17]
	s_load_b32 s3, s[16:17], 0x0
	s_wait_loadcnt 0x0
	v_mov_b32_e32 v10, v8
	s_wait_kmcnt 0x0
	s_delay_alu instid0(VALU_DEP_1)
	v_lshl_add_u32 v8, v10, 2, s3
	v_mov_b32_e32 v9, v10
.LBB187_794:                            ; =>This Inner Loop Header: Depth=1
	ds_load_b32 v10, v8
	v_add_nc_u32_e32 v9, 0x80, v9
	s_delay_alu instid0(VALU_DEP_1) | instskip(SKIP_3) | instid1(VALU_DEP_1)
	v_cmp_ge_i32_e64 s3, v9, v2
	s_or_b32 s7, s3, s7
	s_wait_dscnt 0x0
	v_sub_f32_e32 v10, v10, v7
	v_mul_f32_e32 v10, 0x3fb8aa3b, v10
	s_delay_alu instid0(VALU_DEP_1)
	v_exp_f32_e32 v10, v10
	ds_store_b32 v8, v10
	v_nop
	v_add_f32_e32 v6, v6, v10
	v_add_nc_u32_e32 v8, 0x200, v8
	s_and_not1_b32 exec_lo, exec_lo, s7
	s_cbranch_execnz .LBB187_794
; %bb.795:
	s_or_b32 exec_lo, exec_lo, s7
.LBB187_796:
	s_delay_alu instid0(SALU_CYCLE_1)
	s_or_b32 exec_lo, exec_lo, s10
	ds_bpermute_b32 v0, v0, v6
	s_wait_dscnt 0x0
	v_add_f32_e32 v0, v6, v0
	ds_bpermute_b32 v1, v1, v0
	s_wait_dscnt 0x0
	v_add_f32_e32 v0, v0, v1
	;; [unrolled: 3-line block ×5, first 2 shown]
	s_and_saveexec_b32 s3, vcc_lo
; %bb.797:
	ds_store_b32 v4, v0 offset:784
; %bb.798:
	s_or_b32 exec_lo, exec_lo, s3
	s_wait_dscnt 0x0
	s_barrier_signal -1
	s_barrier_wait -1
	s_and_saveexec_b32 s3, s1
; %bb.799:
	ds_load_b32 v0, v5 offset:784
; %bb.800:
	s_or_b32 exec_lo, exec_lo, s3
	s_wait_dscnt 0x0
	ds_bpermute_b32 v1, v52, v0
	s_wait_dscnt 0x0
	v_add_f32_e32 v0, v0, v1
	ds_bpermute_b32 v1, v83, v0
	s_wait_dscnt 0x0
	v_dual_add_f32 v0, v0, v1 :: v_dual_mov_b32 v1, 0
	ds_bpermute_b32 v0, v1, v0
	s_and_saveexec_b32 s1, s2
	s_cbranch_execz .LBB187_813
; %bb.801:
	scratch_load_b64 v[8:9], off, s32 offset:752 ; 8-byte Folded Reload
	s_wait_dscnt 0x0
	v_add_f32_e32 v0, 0x358637bd, v0
	s_mov_b32 s3, -1
	s_mov_b32 s2, exec_lo
	s_delay_alu instid0(VALU_DEP_1) | instskip(SKIP_1) | instid1(VALU_DEP_2)
	v_div_scale_f32 v1, null, v0, v0, 1.0
	v_div_scale_f32 v5, vcc_lo, 1.0, v0, 1.0
	v_rcp_f32_e32 v4, v1
	v_nop
	s_delay_alu instid0(TRANS32_DEP_1) | instskip(NEXT) | instid1(VALU_DEP_1)
	v_fma_f32 v3, -v1, v4, 1.0
	v_fmac_f32_e32 v4, v3, v4
	s_delay_alu instid0(VALU_DEP_1) | instskip(NEXT) | instid1(VALU_DEP_1)
	v_mul_f32_e32 v6, v5, v4
	v_fma_f32 v3, -v1, v6, v5
	s_delay_alu instid0(VALU_DEP_1) | instskip(NEXT) | instid1(VALU_DEP_1)
	v_fmac_f32_e32 v6, v3, v4
	v_fma_f32 v1, -v1, v6, v5
	s_delay_alu instid0(VALU_DEP_1) | instskip(NEXT) | instid1(VALU_DEP_1)
	v_div_fmas_f32 v1, v1, v4, v6
	v_div_fixup_f32 v0, v1, v0, 1.0
	s_wait_loadcnt 0x0
	v_xad_u32 v3, v8, -1, v2
	v_mov_b32_e32 v1, v8
	s_delay_alu instid0(VALU_DEP_2)
	v_cmpx_lt_u32_e32 0x7f, v3
	s_cbranch_execz .LBB187_810
; %bb.802:
	v_dual_lshrrev_b32 v3, 7, v3 :: v_dual_mov_b32 v1, v0
	s_delay_alu instid0(VALU_DEP_1) | instskip(NEXT) | instid1(VALU_DEP_1)
	v_dual_mov_b32 v7, 0 :: v_dual_add_nc_u32 v4, -1, v3
	v_lshrrev_b32_e32 v5, 1, v4
	v_cmp_lt_u32_e32 vcc_lo, 13, v4
	s_delay_alu instid0(VALU_DEP_2)
	v_add_nc_u32_e32 v4, 1, v5
	s_and_saveexec_b32 s3, vcc_lo
	s_cbranch_execz .LBB187_806
; %bb.803:
	scratch_load_b64 v[6:7], off, s32 offset:752 ; 8-byte Folded Reload
	s_wait_kmcnt 0x0
	s_ashr_i32 s7, s6, 31
	v_and_b32_e32 v5, -8, v4
	s_lshl_b64 s[10:11], s[6:7], 2
	s_delay_alu instid0(SALU_CYCLE_1)
	s_add_nc_u64 s[10:11], s[8:9], s[10:11]
	s_load_b32 s7, s[10:11], 0x0
	s_wait_xcnt 0x0
	s_mov_b32 s10, 0
	s_wait_loadcnt 0x0
	s_wait_kmcnt 0x0
	v_lshl_add_u32 v6, v6, 2, s7
	s_mov_b32 s7, 0
.LBB187_804:                            ; =>This Inner Loop Header: Depth=1
	ds_load_2addr_stride64_b32 v[8:9], v6 offset1:2
	ds_load_2addr_stride64_b32 v[10:11], v6 offset0:4 offset1:6
	ds_load_2addr_stride64_b32 v[12:13], v6 offset0:8 offset1:10
	;; [unrolled: 1-line block ×7, first 2 shown]
	s_add_co_i32 s10, s10, 16
	s_delay_alu instid0(SALU_CYCLE_1) | instskip(NEXT) | instid1(VALU_DEP_1)
	v_dual_add_nc_u32 v5, -8, v5 :: v_dual_mov_b32 v7, s10
	v_cmp_eq_u32_e32 vcc_lo, 0, v5
	s_or_b32 s7, vcc_lo, s7
	s_wait_dscnt 0x7
	v_pk_mul_f32 v[8:9], v[0:1], v[8:9]
	s_wait_dscnt 0x6
	v_pk_mul_f32 v[10:11], v[0:1], v[10:11]
	;; [unrolled: 2-line block ×8, first 2 shown]
	ds_store_2addr_stride64_b32 v6, v8, v9 offset1:2
	ds_store_2addr_stride64_b32 v6, v10, v11 offset0:4 offset1:6
	ds_store_2addr_stride64_b32 v6, v12, v13 offset0:8 offset1:10
	;; [unrolled: 1-line block ×7, first 2 shown]
	v_add_nc_u32_e32 v6, 0x2000, v6
	s_and_not1_b32 exec_lo, exec_lo, s7
	s_cbranch_execnz .LBB187_804
; %bb.805:
	s_or_b32 exec_lo, exec_lo, s7
.LBB187_806:
	s_delay_alu instid0(SALU_CYCLE_1) | instskip(NEXT) | instid1(VALU_DEP_1)
	s_or_b32 exec_lo, exec_lo, s3
	v_and_b32_e32 v4, 7, v4
	s_mov_b32 s10, 0
	s_mov_b32 s3, exec_lo
	s_delay_alu instid0(VALU_DEP_1)
	v_cmpx_ne_u32_e32 0, v4
	s_cbranch_execz .LBB187_809
; %bb.807:
	s_wait_kmcnt 0x0
	s_ashr_i32 s7, s6, 31
	v_lshlrev_b32_e32 v5, 9, v7
	s_lshl_b64 s[16:17], s[6:7], 2
	s_delay_alu instid0(SALU_CYCLE_1)
	s_add_nc_u64 s[16:17], s[8:9], s[16:17]
	s_load_b32 s7, s[16:17], 0x0
	s_wait_kmcnt 0x0
	v_add3_u32 v5, v5, v29, s7
.LBB187_808:                            ; =>This Inner Loop Header: Depth=1
	ds_load_2addr_stride64_b32 v[6:7], v5 offset1:2
	v_add_nc_u32_e32 v4, -1, v4
	s_delay_alu instid0(VALU_DEP_1)
	v_cmp_eq_u32_e32 vcc_lo, 0, v4
	s_or_b32 s10, vcc_lo, s10
	s_wait_dscnt 0x0
	v_pk_mul_f32 v[6:7], v[0:1], v[6:7]
	ds_store_2addr_stride64_b32 v5, v6, v7 offset1:2
	v_add_nc_u32_e32 v5, 0x400, v5
	s_and_not1_b32 exec_lo, exec_lo, s10
	s_cbranch_execnz .LBB187_808
.LBB187_809:
	s_or_b32 exec_lo, exec_lo, s3
	scratch_load_b64 v[4:5], off, s32 offset:752 ; 8-byte Folded Reload
	v_add_nc_u32_e32 v1, 1, v3
	s_delay_alu instid0(VALU_DEP_1) | instskip(NEXT) | instid1(VALU_DEP_1)
	v_and_b32_e32 v3, 0x3fffffe, v1
	v_cmp_ne_u32_e32 vcc_lo, v1, v3
	s_or_not1_b32 s3, vcc_lo, exec_lo
	s_wait_loadcnt 0x0
	v_lshl_add_u32 v1, v3, 7, v4
.LBB187_810:
	s_or_b32 exec_lo, exec_lo, s2
	s_delay_alu instid0(SALU_CYCLE_1)
	s_and_b32 exec_lo, exec_lo, s3
	s_cbranch_execz .LBB187_813
; %bb.811:
	s_wait_kmcnt 0x0
	s_ashr_i32 s7, s6, 31
	s_delay_alu instid0(SALU_CYCLE_1) | instskip(NEXT) | instid1(SALU_CYCLE_1)
	s_lshl_b64 s[2:3], s[6:7], 2
	s_add_nc_u64 s[2:3], s[8:9], s[2:3]
	s_load_b32 s2, s[2:3], 0x0
	s_wait_kmcnt 0x0
	v_lshl_add_u32 v3, v1, 2, s2
	s_mov_b32 s2, 0
.LBB187_812:                            ; =>This Inner Loop Header: Depth=1
	ds_load_b32 v4, v3
	s_wait_dscnt 0x0
	v_dual_mul_f32 v4, v0, v4 :: v_dual_add_nc_u32 v1, 0x80, v1
	s_delay_alu instid0(VALU_DEP_1) | instskip(SKIP_3) | instid1(SALU_CYCLE_1)
	v_cmp_ge_i32_e32 vcc_lo, v1, v2
	ds_store_b32 v3, v4
	v_add_nc_u32_e32 v3, 0x200, v3
	s_or_b32 s2, vcc_lo, s2
	s_and_not1_b32 exec_lo, exec_lo, s2
	s_cbranch_execnz .LBB187_812
.LBB187_813:
	s_or_b32 exec_lo, exec_lo, s1
	s_wait_dscnt 0x0
	s_barrier_signal -1
	s_barrier_wait -1
	s_and_saveexec_b32 s1, s0
	s_delay_alu instid0(SALU_CYCLE_1)
	s_xor_b32 s0, exec_lo, s1
	s_cbranch_execz .LBB187_815
; %bb.814:
                                        ; implicit-def: $vgpr0
                                        ; kill: killed $vgpr0
	s_wait_kmcnt 0x0
	s_ashr_i32 s7, s6, 31
                                        ; implicit-def: $vgpr0
                                        ; kill: killed $vgpr0
                                        ; implicit-def: $vgpr100
                                        ; implicit-def: $vgpr101
                                        ; implicit-def: $vgpr26
                                        ; implicit-def: $vgpr32_vgpr33
                                        ; implicit-def: $vgpr34_vgpr35
                                        ; implicit-def: $vgpr36_vgpr37
                                        ; implicit-def: $vgpr54
                                        ; implicit-def: $vgpr24
                                        ; implicit-def: $vgpr28
                                        ; implicit-def: $vgpr27
                                        ; implicit-def: $vgpr29
                                        ; implicit-def: $vgpr0
                                        ; kill: killed $vgpr0
                                        ; implicit-def: $vgpr0
	scratch_store_b64 off, v[0:1], s32 offset:536 ; 8-byte Folded Spill
                                        ; implicit-def: $vgpr0_vgpr1
                                        ; kill: killed $vgpr0_vgpr1
                                        ; implicit-def: $vgpr0_vgpr1
                                        ; kill: killed $vgpr0_vgpr1
                                        ; implicit-def: $vgpr0
                                        ; kill: killed $vgpr0
.LBB187_815:
	s_wait_xcnt 0x0
	s_or_saveexec_b32 s1, s0
	scratch_load_b64 v[2:3], off, s32 offset:752 ; 8-byte Folded Reload
	s_wait_kmcnt 0x0
	v_mov_b64_e32 v[0:1], s[6:7]
	v_dual_mov_b32 v87, 0 :: v_dual_mov_b32 v86, 0
	v_dual_mov_b32 v67, 0 :: v_dual_mov_b32 v66, 0
	;; [unrolled: 1-line block ×12, first 2 shown]
	s_wait_loadcnt 0x0
	v_and_b32_e32 v84, 3, v2
	s_wait_xcnt 0x0
	s_xor_b32 exec_lo, exec_lo, s1
	s_cbranch_execz .LBB187_1637
; %bb.816:
	s_clause 0x3
	scratch_store_b32 off, v83, s32 offset:336
	scratch_store_b32 off, v52, s32 offset:328
	;; [unrolled: 1-line block ×3, first 2 shown]
	scratch_load_b32 v5, off, s32 offset:808
	v_dual_mov_b32 v39, 0 :: v_dual_mov_b32 v6, 0
	v_dual_mov_b32 v7, 0 :: v_dual_bitop2_b32 v3, 12, v29 bitop3:0x40
	v_dual_mov_b32 v113, 0 :: v_dual_max_i32 v30, v26, v24
	v_add_nc_u64_e32 v[0:1], v[36:37], v[54:55]
	scratch_store_b64 off, v[6:7], s32 offset:280 ; 8-byte Folded Spill
	s_wait_xcnt 0x0
	v_dual_mov_b32 v6, 0 :: v_dual_mov_b32 v7, 0
	v_mov_b32_e32 v37, v3
	v_cvt_f32_u32_e32 v2, v30
	v_dual_mov_b32 v3, v100 :: v_dual_mov_b32 v38, 0
	v_sub_nc_u32_e32 v4, 0, v30
	scratch_store_b64 off, v[6:7], s32 offset:272 ; 8-byte Folded Spill
	s_wait_xcnt 0x0
	v_dual_mov_b32 v6, 0 :: v_dual_mov_b32 v7, 0
	v_rcp_iflag_f32_e32 v2, v2
	v_mov_b32_e32 v51, 0
	v_and_b32_e32 v112, 0x7c, v29
	s_ashr_i32 s7, s6, 31
	scratch_store_b64 off, v[6:7], s32 offset:264 ; 8-byte Folded Spill
	s_wait_xcnt 0x0
	v_dual_mov_b32 v6, 0 :: v_dual_mov_b32 v7, 0
	scratch_store_b32 off, v84, s32 offset:344 ; 4-byte Folded Spill
	v_add_nc_u64_e32 v[0:1], v[0:1], v[112:113]
	v_and_b32_e32 v112, 0x7c, v27
	v_dual_mov_b32 v48, 0 :: v_dual_mov_b32 v49, 0
	scratch_store_b64 off, v[6:7], s32 offset:256 ; 8-byte Folded Spill
	s_wait_xcnt 0x0
	v_dual_mov_b32 v6, 0 :: v_dual_mov_b32 v7, 0
	s_lshl_b64 s[2:3], s[6:7], 2
	s_mov_b32 s10, 0
	s_add_nc_u64 s[2:3], s[8:9], s[2:3]
	v_mov_b32_e32 v50, 0
	scratch_store_b64 off, v[6:7], s32 offset:248 ; 8-byte Folded Spill
	s_wait_xcnt 0x0
	v_dual_mov_b32 v6, 0 :: v_dual_mov_b32 v7, 0
	scratch_store_b64 off, v[0:1], s32 offset:296 ; 8-byte Folded Spill
	s_wait_xcnt 0x0
	v_dual_mov_b32 v0, 0 :: v_dual_mov_b32 v1, 0
	s_clause 0x1
	scratch_store_b32 off, v37, s32 offset:312
	scratch_store_b64 off, v[6:7], s32 offset:232
	s_wait_xcnt 0x0
	v_dual_mov_b32 v6, 0 :: v_dual_mov_b32 v7, 0
	s_wait_loadcnt 0x0
	v_mov_b32_e32 v31, v5
	scratch_store_b64 off, v[2:3], s32 offset:304 ; 8-byte Folded Spill
	s_wait_xcnt 0x0
	v_dual_mul_f32 v2, 0x4f7ffffe, v2 :: v_dual_lshlrev_b32 v3, 4, v84
	s_delay_alu instid0(VALU_DEP_1) | instskip(NEXT) | instid1(VALU_DEP_1)
	v_cvt_u32_f32_e32 v2, v2
	v_mul_lo_u32 v4, v4, v2
	s_delay_alu instid0(VALU_DEP_1) | instskip(NEXT) | instid1(VALU_DEP_1)
	v_mul_hi_u32 v4, v2, v4
	v_dual_mov_b32 v9, v113 :: v_dual_add_nc_u32 v8, v2, v4
	scratch_store_b64 off, v[6:7], s32 offset:224 ; 8-byte Folded Spill
	s_wait_xcnt 0x0
	v_dual_mov_b32 v6, 0 :: v_dual_mov_b32 v7, 0
	scratch_store_b64 off, v[0:1], s32 offset:240 ; 8-byte Folded Spill
	s_wait_xcnt 0x0
	v_lshl_add_u64 v[0:1], v[32:33], 2, v[112:113]
	v_lshl_or_b32 v32, v5, 6, v3
	s_clause 0x1
	scratch_store_b64 off, v[8:9], s32 offset:288
	scratch_store_b64 off, v[6:7], s32 offset:216
	v_add_nc_u64_e32 v[10:11], v[34:35], v[0:1]
	s_branch .LBB187_819
.LBB187_817:                            ;   in Loop: Header=BB187_819 Depth=1
	s_wait_xcnt 0x0
	s_or_b32 exec_lo, exec_lo, s16
	v_dual_mul_f32 v6, v3, v15 :: v_dual_mul_f32 v7, v3, v53
	v_mul_f32_e32 v9, v3, v125
	s_delay_alu instid0(VALU_DEP_2) | instskip(NEXT) | instid1(VALU_DEP_3)
	v_dual_mul_f32 v8, v3, v17 :: v_dual_fmac_f32 v6, v2, v14
	v_fmac_f32_e32 v7, v2, v52
	s_delay_alu instid0(VALU_DEP_3) | instskip(NEXT) | instid1(VALU_DEP_3)
	v_fmac_f32_e32 v9, v2, v124
	v_fmac_f32_e32 v8, v2, v16
	s_clause 0x1
	scratch_load_b64 v[14:15], off, s32 offset:216 th:TH_LOAD_LU
	scratch_load_b64 v[16:17], off, s32 offset:224 th:TH_LOAD_LU
	v_dual_fmac_f32 v6, v4, v12 :: v_dual_fmac_f32 v7, v4, v26
	v_fmac_f32_e32 v8, v4, v126
	v_dual_fmac_f32 v9, v4, v122 :: v_dual_mul_f32 v12, v3, v121
	s_delay_alu instid0(VALU_DEP_3) | instskip(NEXT) | instid1(VALU_DEP_3)
	v_dual_fmac_f32 v6, v5, v13 :: v_dual_fmac_f32 v7, v5, v27
	v_fmac_f32_e32 v8, v5, v127
	s_delay_alu instid0(VALU_DEP_3) | instskip(NEXT) | instid1(VALU_DEP_1)
	v_dual_fmac_f32 v9, v5, v123 :: v_dual_fmac_f32 v12, v2, v120
	v_fmac_f32_e32 v12, v4, v110
	s_wait_loadcnt 0x1
	s_delay_alu instid0(VALU_DEP_1)
	v_dual_fmac_f32 v12, v5, v111 :: v_dual_add_f32 v14, v14, v6
	s_wait_loadcnt 0x0
	v_dual_add_f32 v17, v17, v7 :: v_dual_add_f32 v16, v16, v8
	v_mul_f32_e32 v7, v3, v105
	v_mul_f32_e32 v6, v3, v109
	;; [unrolled: 1-line block ×3, first 2 shown]
	s_clause 0x1
	scratch_store_b64 off, v[16:17], s32 offset:224
	scratch_load_b64 v[16:17], off, s32 offset:240 th:TH_LOAD_LU
	v_fmac_f32_e32 v7, v2, v104
	v_fmac_f32_e32 v6, v2, v108
	s_delay_alu instid0(VALU_DEP_2) | instskip(NEXT) | instid1(VALU_DEP_2)
	v_dual_fmac_f32 v8, v2, v92 :: v_dual_fmac_f32 v7, v4, v94
	v_fmac_f32_e32 v6, v4, v106
	s_delay_alu instid0(VALU_DEP_2) | instskip(NEXT) | instid1(VALU_DEP_2)
	v_dual_fmac_f32 v8, v4, v90 :: v_dual_fmac_f32 v7, v5, v95
	v_fmac_f32_e32 v6, v5, v107
	s_wait_loadcnt 0x0
	s_delay_alu instid0(VALU_DEP_2)
	v_dual_fmac_f32 v8, v5, v91 :: v_dual_add_f32 v16, v16, v12
	v_add_f32_e32 v17, v17, v9
	v_mul_f32_e32 v9, v3, v89
	s_clause 0x1
	scratch_load_b64 v[12:13], off, s32 offset:232 th:TH_LOAD_LU
	scratch_store_b64 off, v[16:17], s32 offset:240
	v_fmac_f32_e32 v9, v2, v88
	scratch_load_b64 v[16:17], off, s32 offset:256 th:TH_LOAD_LU ; 8-byte Folded Reload
	v_fmac_f32_e32 v9, v4, v78
	s_delay_alu instid0(VALU_DEP_1) | instskip(SKIP_3) | instid1(VALU_DEP_1)
	v_fmac_f32_e32 v9, v5, v79
	s_wait_loadcnt 0x1
	v_dual_add_f32 v13, v13, v6 :: v_dual_add_f32 v12, v12, v7
	v_mul_f32_e32 v6, v3, v77
	v_dual_mul_f32 v7, v3, v73 :: v_dual_fmac_f32 v6, v2, v76
	s_delay_alu instid0(VALU_DEP_1) | instskip(NEXT) | instid1(VALU_DEP_1)
	v_dual_fmac_f32 v7, v2, v72 :: v_dual_fmac_f32 v6, v4, v74
	v_dual_fmac_f32 v7, v4, v62 :: v_dual_fmac_f32 v6, v5, v75
	s_delay_alu instid0(VALU_DEP_1) | instskip(SKIP_1) | instid1(VALU_DEP_1)
	v_fmac_f32_e32 v7, v5, v63
	s_wait_loadcnt 0x0
	v_dual_add_f32 v17, v17, v6 :: v_dual_add_f32 v16, v16, v7
	s_clause 0x4
	scratch_store_b64 off, v[12:13], s32 offset:232
	scratch_load_b64 v[12:13], off, s32 offset:248 th:TH_LOAD_LU
	scratch_load_b64 v[6:7], off, s32 offset:264 th:TH_LOAD_LU
	scratch_store_b64 off, v[16:17], s32 offset:256
	scratch_load_b64 v[16:17], off, s32 offset:272 th:TH_LOAD_LU
	s_wait_loadcnt 0x2
	v_dual_add_f32 v13, v13, v8 :: v_dual_add_f32 v12, v12, v9
	v_mul_f32_e32 v9, v3, v57
	s_delay_alu instid0(VALU_DEP_1) | instskip(NEXT) | instid1(VALU_DEP_1)
	v_dual_mul_f32 v8, v3, v61 :: v_dual_fmac_f32 v9, v2, v56
	v_dual_fmac_f32 v8, v2, v60 :: v_dual_fmac_f32 v9, v4, v46
	s_delay_alu instid0(VALU_DEP_1) | instskip(SKIP_1) | instid1(VALU_DEP_1)
	v_dual_fmac_f32 v8, v4, v58 :: v_dual_fmac_f32 v9, v5, v47
	s_wait_loadcnt 0x1
	v_dual_fmac_f32 v8, v5, v59 :: v_dual_add_f32 v6, v6, v9
	s_delay_alu instid0(VALU_DEP_1) | instskip(SKIP_3) | instid1(VALU_DEP_1)
	v_add_f32_e32 v7, v7, v8
	scratch_store_b64 off, v[12:13], s32 offset:248 ; 8-byte Folded Spill
	s_wait_xcnt 0x0
	v_dual_mul_f32 v12, v3, v45 :: v_dual_mul_f32 v8, v3, v23
	v_dual_mul_f32 v9, v3, v115 :: v_dual_fmac_f32 v12, v2, v44
	s_delay_alu instid0(VALU_DEP_2) | instskip(SKIP_4) | instid1(VALU_DEP_2)
	v_fmac_f32_e32 v8, v2, v22
	scratch_store_b64 off, v[6:7], s32 offset:264 ; 8-byte Folded Spill
	s_wait_xcnt 0x0
	v_mul_f32_e32 v6, v3, v41
	v_dual_mul_f32 v7, v3, v117 :: v_dual_fmac_f32 v12, v4, v42
	v_fmac_f32_e32 v6, v2, v40
	s_delay_alu instid0(VALU_DEP_2) | instskip(NEXT) | instid1(VALU_DEP_2)
	v_dual_fmac_f32 v7, v2, v116 :: v_dual_fmac_f32 v12, v5, v43
	v_fmac_f32_e32 v6, v4, v118
	s_wait_loadcnt 0x0
	s_delay_alu instid0(VALU_DEP_2) | instskip(NEXT) | instid1(VALU_DEP_3)
	v_dual_fmac_f32 v9, v2, v114 :: v_dual_add_f32 v17, v17, v12
	v_dual_mul_f32 v12, v3, v99 :: v_dual_fmac_f32 v7, v4, v102
	s_delay_alu instid0(VALU_DEP_2) | instskip(SKIP_1) | instid1(VALU_DEP_3)
	v_dual_fmac_f32 v6, v5, v119 :: v_dual_fmac_f32 v9, v4, v20
	v_fmac_f32_e32 v8, v4, v18
	v_dual_fmac_f32 v12, v2, v98 :: v_dual_fmac_f32 v7, v5, v103
	s_delay_alu instid0(VALU_DEP_3) | instskip(NEXT) | instid1(VALU_DEP_3)
	v_dual_add_f32 v16, v16, v6 :: v_dual_fmac_f32 v9, v5, v21
	v_fmac_f32_e32 v8, v5, v19
	s_delay_alu instid0(VALU_DEP_2) | instskip(NEXT) | instid1(VALU_DEP_1)
	v_dual_fmac_f32 v12, v4, v0 :: v_dual_add_f32 v39, v39, v9
	v_dual_mul_f32 v9, v3, v67 :: v_dual_fmac_f32 v12, v5, v1
	scratch_load_b64 v[0:1], off, s32 offset:280 th:TH_LOAD_LU ; 8-byte Folded Reload
	v_fmac_f32_e32 v9, v2, v66
	s_delay_alu instid0(VALU_DEP_1) | instskip(NEXT) | instid1(VALU_DEP_1)
	v_fmac_f32_e32 v9, v4, v64
	v_fmac_f32_e32 v9, v5, v65
	s_wait_loadcnt 0x0
	s_delay_alu instid0(VALU_DEP_1)
	v_dual_add_f32 v50, v50, v9 :: v_dual_add_f32 v1, v1, v7
	v_dual_add_f32 v0, v0, v8 :: v_dual_mul_f32 v6, v3, v97
	v_dual_add_f32 v38, v38, v12 :: v_dual_mul_f32 v7, v3, v85
	v_mul_f32_e32 v8, v3, v81
	scratch_store_b64 off, v[0:1], s32 offset:280 ; 8-byte Folded Spill
	s_wait_xcnt 0x0
	v_pk_mul_f32 v[0:1], v[2:3], v[68:69]
	v_fmac_f32_e32 v6, v2, v96
	v_fmac_f32_e32 v7, v2, v84
	;; [unrolled: 1-line block ×3, first 2 shown]
	v_pk_mul_f32 v[2:3], v[4:5], v[54:55]
	v_add_f32_e32 v0, v0, v1
	v_fmac_f32_e32 v6, v4, v86
	v_fmac_f32_e32 v7, v4, v82
	s_delay_alu instid0(VALU_DEP_3) | instskip(NEXT) | instid1(VALU_DEP_3)
	v_dual_fmac_f32 v8, v4, v70 :: v_dual_add_f32 v0, v2, v0
	v_fmac_f32_e32 v6, v5, v87
	s_delay_alu instid0(VALU_DEP_3) | instskip(NEXT) | instid1(VALU_DEP_3)
	v_fmac_f32_e32 v7, v5, v83
	v_dual_fmac_f32 v8, v5, v71 :: v_dual_add_f32 v0, v3, v0
	s_delay_alu instid0(VALU_DEP_2) | instskip(NEXT) | instid1(VALU_DEP_2)
	v_dual_add_f32 v49, v49, v6 :: v_dual_add_f32 v48, v48, v7
	v_add_f32_e32 v51, v51, v8
	s_delay_alu instid0(VALU_DEP_3)
	v_add_f32_e32 v15, v15, v0
	s_clause 0x1
	scratch_store_b64 off, v[16:17], s32 offset:272
	scratch_store_b64 off, v[14:15], s32 offset:216
.LBB187_818:                            ;   in Loop: Header=BB187_819 Depth=1
	s_wait_xcnt 0x0
	s_or_b32 exec_lo, exec_lo, s11
	scratch_load_b32 v0, off, s32 offset:192 ; 4-byte Folded Reload
	v_dual_add_nc_u32 v31, 4, v31 :: v_dual_add_nc_u32 v28, 64, v28
	v_add_nc_u64_e32 v[10:11], 16, v[10:11]
	v_add_nc_u32_e32 v32, 0x100, v32
	s_wait_loadcnt 0x0
	s_delay_alu instid0(VALU_DEP_3)
	v_cmp_ge_i32_e32 vcc_lo, v31, v0
	s_or_b32 s10, vcc_lo, s10
	s_wait_xcnt 0x0
	s_and_not1_b32 exec_lo, exec_lo, s10
	s_cbranch_execz .LBB187_1636
.LBB187_819:                            ; =>This Inner Loop Header: Depth=1
	scratch_load_b64 v[0:1], off, s32 offset:196 ; 8-byte Folded Reload
	v_mov_b32_e32 v29, v113
	s_wait_loadcnt 0x0
	s_delay_alu instid0(VALU_DEP_1) | instskip(NEXT) | instid1(VALU_DEP_1)
	v_mul_u64_e32 v[0:1], v[28:29], v[0:1]
	v_mul_lo_u32 v0, v1, v101
	s_delay_alu instid0(VALU_DEP_1) | instskip(NEXT) | instid1(VALU_DEP_1)
	v_sub_nc_u32_e32 v0, v28, v0
	v_cmp_ge_u32_e32 vcc_lo, v0, v101
	v_sub_nc_u32_e32 v3, v0, v101
	s_delay_alu instid0(VALU_DEP_1) | instskip(NEXT) | instid1(VALU_DEP_1)
	v_dual_add_nc_u32 v2, 1, v1 :: v_dual_cndmask_b32 v0, v0, v3, vcc_lo
	v_cndmask_b32_e32 v1, v1, v2, vcc_lo
	s_delay_alu instid0(VALU_DEP_2) | instskip(NEXT) | instid1(VALU_DEP_2)
	v_cmp_ge_u32_e32 vcc_lo, v0, v101
	v_add_nc_u32_e32 v2, 1, v1
	s_delay_alu instid0(VALU_DEP_1) | instskip(SKIP_3) | instid1(VALU_DEP_1)
	v_cndmask_b32_e32 v0, v1, v2, vcc_lo
	scratch_load_b32 v1, off, s32 offset:204 ; 4-byte Folded Reload
	s_wait_loadcnt 0x0
	v_xor_b32_e32 v0, v0, v1
	v_sub_nc_u32_e32 v2, v0, v1
	scratch_load_b32 v0, off, s32 offset:208 ; 4-byte Folded Reload
	s_wait_loadcnt 0x0
	v_add_nc_u32_e32 v3, v2, v0
	s_delay_alu instid0(VALU_DEP_1) | instskip(NEXT) | instid1(VALU_DEP_1)
	v_sub_nc_u32_e32 v0, 0, v3
	v_max_i32_e32 v112, v3, v0
	scratch_load_b64 v[0:1], off, s32 offset:288 ; 8-byte Folded Reload
	s_wait_loadcnt 0x0
	v_mul_u64_e32 v[0:1], v[112:113], v[0:1]
	s_delay_alu instid0(VALU_DEP_1) | instskip(NEXT) | instid1(VALU_DEP_1)
	v_mul_lo_u32 v0, v1, v30
	v_dual_sub_nc_u32 v0, v112, v0 :: v_dual_ashrrev_i32 v3, 31, v3
	s_delay_alu instid0(VALU_DEP_1) | instskip(SKIP_1) | instid1(VALU_DEP_2)
	v_sub_nc_u32_e32 v1, v0, v30
	v_cmp_ge_u32_e32 vcc_lo, v0, v30
	v_cndmask_b32_e32 v0, v0, v1, vcc_lo
	s_delay_alu instid0(VALU_DEP_1) | instskip(SKIP_1) | instid1(VALU_DEP_2)
	v_sub_nc_u32_e32 v1, v0, v30
	v_cmp_ge_u32_e32 vcc_lo, v0, v30
	v_cndmask_b32_e32 v0, v0, v1, vcc_lo
	s_delay_alu instid0(VALU_DEP_1) | instskip(NEXT) | instid1(VALU_DEP_1)
	v_xor_b32_e32 v0, v0, v3
	v_sub_nc_u32_e32 v0, v0, v3
	s_delay_alu instid0(VALU_DEP_1)
	v_cmp_eq_u32_e32 vcc_lo, 0, v0
	scratch_load_b32 v0, off, s32 offset:212 ; 4-byte Folded Reload
	s_wait_loadcnt 0x0
	v_cmp_gt_i32_e64 s0, v2, v0
	s_or_b32 s0, vcc_lo, s0
	s_wait_xcnt 0x0
	s_and_saveexec_b32 s11, s0
	s_cbranch_execz .LBB187_818
; %bb.820:                              ;   in Loop: Header=BB187_819 Depth=1
	flat_load_b32 v0, v[10:11]
	s_clause 0x1
	scratch_load_b64 v[2:3], off, s32 offset:536
	scratch_load_b64 v[4:5], off, s32 offset:296
	v_mov_b64_e32 v[6:7], 0
	s_wait_loadcnt_dscnt 0x0
	v_mad_nc_i64_i32 v[68:69], v0, v2, v[4:5]
	flat_load_b32 v8, v[68:69]
	scratch_load_b64 v[0:1], off, s32 offset:760 ; 8-byte Folded Reload
	s_load_b32 s0, s[2:3], 0x0
	s_wait_loadcnt_dscnt 0x100
	v_and_b32_e32 v9, 0xff, v8
	s_wait_loadcnt 0x0
	flat_load_b32 v54, v[0:1]
	s_wait_kmcnt 0x0
	s_wait_xcnt 0x0
	v_add_nc_u32_e32 v0, s0, v32
	s_mov_b32 s0, exec_lo
	ds_load_b128 v[2:5], v0
	v_mov_b64_e32 v[0:1], 0
	v_cmpx_ne_u16_e32 0, v9
	s_cbranch_execz .LBB187_828
; %bb.821:                              ;   in Loop: Header=BB187_819 Depth=1
	v_mov_b64_e32 v[6:7], 0x80000000
	s_mov_b32 s16, exec_lo
	v_cmpx_ne_u16_e32 0x80, v9
	s_cbranch_execz .LBB187_827
; %bb.822:                              ;   in Loop: Header=BB187_819 Depth=1
	v_mov_b64_e32 v[6:7], 0x7f800001
	v_and_b32_e32 v9, 0x7f, v8
	s_mov_b32 s17, exec_lo
	s_delay_alu instid0(VALU_DEP_1)
	v_cmpx_ne_u32_e32 0x7f, v9
	s_cbranch_execz .LBB187_826
; %bb.823:                              ;   in Loop: Header=BB187_819 Depth=1
	v_dual_lshrrev_b32 v6, 3, v9 :: v_dual_bitop2_b32 v112, 7, v8 bitop3:0x40
	s_mov_b32 s18, exec_lo
	v_cmpx_gt_u32_e32 8, v9
; %bb.824:                              ;   in Loop: Header=BB187_819 Depth=1
	s_delay_alu instid0(VALU_DEP_2) | instskip(NEXT) | instid1(VALU_DEP_1)
	v_clz_i32_u32_e32 v6, v112
	v_min_u32_e32 v6, 32, v6
	s_delay_alu instid0(VALU_DEP_1) | instskip(NEXT) | instid1(VALU_DEP_1)
	v_subrev_nc_u32_e32 v7, 28, v6
	v_lshlrev_b64_e32 v[12:13], v7, v[112:113]
	s_delay_alu instid0(VALU_DEP_1)
	v_dual_sub_nc_u32 v6, 29, v6 :: v_dual_bitop2_b32 v112, 7, v12 bitop3:0x40
; %bb.825:                              ;   in Loop: Header=BB187_819 Depth=1
	s_or_b32 exec_lo, exec_lo, s18
	v_lshlrev_b32_e32 v7, 24, v8
	s_delay_alu instid0(VALU_DEP_2) | instskip(NEXT) | instid1(VALU_DEP_3)
	v_lshlrev_b32_e32 v9, 20, v112
	v_lshl_add_u32 v6, v6, 23, 0x3c000000
	s_delay_alu instid0(VALU_DEP_3) | instskip(NEXT) | instid1(VALU_DEP_1)
	v_and_b32_e32 v7, 0x80000000, v7
	v_or3_b32 v112, v9, v7, v6
	s_delay_alu instid0(VALU_DEP_1)
	v_mov_b64_e32 v[6:7], v[112:113]
.LBB187_826:                            ;   in Loop: Header=BB187_819 Depth=1
	s_or_b32 exec_lo, exec_lo, s17
.LBB187_827:                            ;   in Loop: Header=BB187_819 Depth=1
	s_delay_alu instid0(SALU_CYCLE_1)
	s_or_b32 exec_lo, exec_lo, s16
.LBB187_828:                            ;   in Loop: Header=BB187_819 Depth=1
	s_delay_alu instid0(SALU_CYCLE_1) | instskip(SKIP_2) | instid1(VALU_DEP_1)
	s_or_b32 exec_lo, exec_lo, s0
	v_lshrrev_b16 v9, 8, v8
	s_mov_b32 s0, exec_lo
	v_cmpx_ne_u16_e32 0, v9
	s_cbranch_execz .LBB187_836
; %bb.829:                              ;   in Loop: Header=BB187_819 Depth=1
	v_mov_b64_e32 v[0:1], 0x8000000000000000
	s_mov_b32 s16, exec_lo
	v_cmpx_ne_u16_e32 0x80, v9
	s_cbranch_execz .LBB187_835
; %bb.830:                              ;   in Loop: Header=BB187_819 Depth=1
	v_and_b32_e32 v12, 0xffff, v9
	v_mov_b64_e32 v[0:1], 0x7f80000100000000
	s_mov_b32 s17, exec_lo
	s_delay_alu instid0(VALU_DEP_2) | instskip(NEXT) | instid1(VALU_DEP_1)
	v_and_b32_e32 v9, 0x7f, v12
	v_cmpx_ne_u32_e32 0x7f, v9
	s_cbranch_execz .LBB187_834
; %bb.831:                              ;   in Loop: Header=BB187_819 Depth=1
	v_dual_lshrrev_b32 v0, 3, v9 :: v_dual_bitop2_b32 v112, 7, v12 bitop3:0x40
	s_mov_b32 s18, exec_lo
	v_cmpx_gt_u32_e32 8, v9
; %bb.832:                              ;   in Loop: Header=BB187_819 Depth=1
	s_delay_alu instid0(VALU_DEP_2) | instskip(NEXT) | instid1(VALU_DEP_1)
	v_clz_i32_u32_e32 v0, v112
	v_min_u32_e32 v0, 32, v0
	s_delay_alu instid0(VALU_DEP_1) | instskip(SKIP_1) | instid1(VALU_DEP_2)
	v_subrev_nc_u32_e32 v1, 28, v0
	v_sub_nc_u32_e32 v0, 29, v0
	v_lshlrev_b64_e32 v[12:13], v1, v[112:113]
	s_delay_alu instid0(VALU_DEP_1)
	v_and_b32_e32 v112, 7, v12
; %bb.833:                              ;   in Loop: Header=BB187_819 Depth=1
	s_or_b32 exec_lo, exec_lo, s18
	v_lshlrev_b32_e32 v1, 16, v8
	s_delay_alu instid0(VALU_DEP_2) | instskip(SKIP_1) | instid1(VALU_DEP_3)
	v_lshlrev_b32_e32 v9, 20, v112
	v_lshl_add_u32 v0, v0, 23, 0x3c000000
	v_and_b32_e32 v1, 0x80000000, v1
	s_delay_alu instid0(VALU_DEP_1)
	v_or3_b32 v1, v9, v1, v0
	v_mov_b32_e32 v0, v113
.LBB187_834:                            ;   in Loop: Header=BB187_819 Depth=1
	s_or_b32 exec_lo, exec_lo, s17
.LBB187_835:                            ;   in Loop: Header=BB187_819 Depth=1
	s_delay_alu instid0(SALU_CYCLE_1)
	s_or_b32 exec_lo, exec_lo, s16
.LBB187_836:                            ;   in Loop: Header=BB187_819 Depth=1
	s_delay_alu instid0(SALU_CYCLE_1) | instskip(SKIP_4) | instid1(VALU_DEP_3)
	s_or_b32 exec_lo, exec_lo, s0
	v_lshrrev_b32_e32 v9, 16, v8
	v_mov_b64_e32 v[12:13], 0
	v_mov_b64_e32 v[14:15], 0
	s_mov_b32 s0, exec_lo
	v_and_b32_e32 v16, 0xff, v9
	s_delay_alu instid0(VALU_DEP_1)
	v_cmpx_ne_u16_e32 0, v16
	s_cbranch_execz .LBB187_844
; %bb.837:                              ;   in Loop: Header=BB187_819 Depth=1
	v_mov_b64_e32 v[14:15], 0x80000000
	s_mov_b32 s16, exec_lo
	v_cmpx_ne_u16_e32 0x80, v16
	s_cbranch_execz .LBB187_843
; %bb.838:                              ;   in Loop: Header=BB187_819 Depth=1
	v_mov_b64_e32 v[14:15], 0x7f800001
	v_bfe_u32 v16, v8, 16, 7
	s_mov_b32 s17, exec_lo
	s_delay_alu instid0(VALU_DEP_1)
	v_cmpx_ne_u32_e32 0x7f, v16
	s_cbranch_execz .LBB187_842
; %bb.839:                              ;   in Loop: Header=BB187_819 Depth=1
	v_dual_lshrrev_b32 v14, 3, v16 :: v_dual_bitop2_b32 v112, 7, v9 bitop3:0x40
	s_mov_b32 s18, exec_lo
	v_cmpx_gt_u32_e32 8, v16
; %bb.840:                              ;   in Loop: Header=BB187_819 Depth=1
	s_delay_alu instid0(VALU_DEP_2) | instskip(NEXT) | instid1(VALU_DEP_1)
	v_clz_i32_u32_e32 v14, v112
	v_min_u32_e32 v14, 32, v14
	s_delay_alu instid0(VALU_DEP_1) | instskip(NEXT) | instid1(VALU_DEP_1)
	v_subrev_nc_u32_e32 v15, 28, v14
	v_lshlrev_b64_e32 v[16:17], v15, v[112:113]
	s_delay_alu instid0(VALU_DEP_1)
	v_dual_sub_nc_u32 v14, 29, v14 :: v_dual_bitop2_b32 v112, 7, v16 bitop3:0x40
; %bb.841:                              ;   in Loop: Header=BB187_819 Depth=1
	s_or_b32 exec_lo, exec_lo, s18
	s_delay_alu instid0(VALU_DEP_1) | instskip(NEXT) | instid1(VALU_DEP_2)
	v_dual_lshlrev_b32 v9, 24, v9 :: v_dual_lshlrev_b32 v15, 20, v112
	v_lshl_add_u32 v14, v14, 23, 0x3c000000
	s_delay_alu instid0(VALU_DEP_2) | instskip(NEXT) | instid1(VALU_DEP_1)
	v_and_b32_e32 v9, 0x80000000, v9
	v_or3_b32 v112, v15, v9, v14
	s_delay_alu instid0(VALU_DEP_1)
	v_mov_b64_e32 v[14:15], v[112:113]
.LBB187_842:                            ;   in Loop: Header=BB187_819 Depth=1
	s_or_b32 exec_lo, exec_lo, s17
.LBB187_843:                            ;   in Loop: Header=BB187_819 Depth=1
	s_delay_alu instid0(SALU_CYCLE_1)
	s_or_b32 exec_lo, exec_lo, s16
.LBB187_844:                            ;   in Loop: Header=BB187_819 Depth=1
	s_delay_alu instid0(SALU_CYCLE_1) | instskip(NEXT) | instid1(SALU_CYCLE_1)
	s_or_b32 exec_lo, exec_lo, s0
	s_mov_b32 s0, exec_lo
	v_cmpx_lt_u32_e32 0xffffff, v8
	s_cbranch_execz .LBB187_852
; %bb.845:                              ;   in Loop: Header=BB187_819 Depth=1
	v_mov_b64_e32 v[12:13], 0x8000000000000000
	v_lshrrev_b32_e32 v9, 24, v8
	s_mov_b32 s16, exec_lo
	s_delay_alu instid0(VALU_DEP_1)
	v_cmpx_ne_u32_e32 0x80, v9
	s_cbranch_execz .LBB187_851
; %bb.846:                              ;   in Loop: Header=BB187_819 Depth=1
	v_mov_b64_e32 v[12:13], 0x7f80000100000000
	v_bfe_u32 v16, v8, 24, 7
	s_mov_b32 s17, exec_lo
	s_delay_alu instid0(VALU_DEP_1)
	v_cmpx_ne_u32_e32 0x7f, v16
	s_cbranch_execz .LBB187_850
; %bb.847:                              ;   in Loop: Header=BB187_819 Depth=1
	v_dual_lshrrev_b32 v8, 3, v16 :: v_dual_bitop2_b32 v112, 7, v9 bitop3:0x40
	s_mov_b32 s18, exec_lo
	v_cmpx_gt_u32_e32 8, v16
; %bb.848:                              ;   in Loop: Header=BB187_819 Depth=1
	s_delay_alu instid0(VALU_DEP_2) | instskip(NEXT) | instid1(VALU_DEP_1)
	v_clz_i32_u32_e32 v8, v112
	v_min_u32_e32 v8, 32, v8
	s_delay_alu instid0(VALU_DEP_1) | instskip(SKIP_1) | instid1(VALU_DEP_2)
	v_subrev_nc_u32_e32 v12, 28, v8
	v_sub_nc_u32_e32 v8, 29, v8
	v_lshlrev_b64_e32 v[12:13], v12, v[112:113]
	s_delay_alu instid0(VALU_DEP_1)
	v_and_b32_e32 v112, 7, v12
; %bb.849:                              ;   in Loop: Header=BB187_819 Depth=1
	s_or_b32 exec_lo, exec_lo, s18
	s_delay_alu instid0(VALU_DEP_1) | instskip(SKIP_1) | instid1(VALU_DEP_2)
	v_dual_lshlrev_b32 v9, 24, v9 :: v_dual_lshlrev_b32 v12, 20, v112
	v_lshl_add_u32 v8, v8, 23, 0x3c000000
	v_and_b32_e32 v9, 0x80000000, v9
	s_delay_alu instid0(VALU_DEP_1)
	v_or3_b32 v13, v12, v9, v8
	v_mov_b32_e32 v12, v113
.LBB187_850:                            ;   in Loop: Header=BB187_819 Depth=1
	s_or_b32 exec_lo, exec_lo, s17
.LBB187_851:                            ;   in Loop: Header=BB187_819 Depth=1
	s_delay_alu instid0(SALU_CYCLE_1)
	s_or_b32 exec_lo, exec_lo, s16
.LBB187_852:                            ;   in Loop: Header=BB187_819 Depth=1
	s_delay_alu instid0(SALU_CYCLE_1)
	s_or_b32 exec_lo, exec_lo, s0
	v_dual_add_nc_u32 v29, v37, v28 :: v_dual_bitop2_b32 v0, v0, v6 bitop3:0x54
	scratch_load_b32 v6, off, s32 offset:192 ; 4-byte Folded Reload
	v_or_b32_e32 v1, v1, v7
	v_dual_add_nc_u32 v33, 1, v29 :: v_dual_bitop2_b32 v7, v13, v15 bitop3:0x54
	v_dual_add_nc_u32 v34, 3, v29 :: v_dual_add_nc_u32 v35, 2, v29
	s_wait_loadcnt 0x0
	v_add_nc_u32_e32 v8, -1, v6
	v_or_b32_e32 v6, v12, v14
	s_wait_dscnt 0x1
	v_pk_mul_f32 v[66:67], v[54:55], v[0:1] op_sel_hi:[0,1]
	s_delay_alu instid0(VALU_DEP_3) | instskip(NEXT) | instid1(VALU_DEP_3)
	v_cmp_eq_u32_e32 vcc_lo, v8, v31
	v_pk_mul_f32 v[64:65], v[54:55], v[6:7] op_sel_hi:[0,1]
	s_wait_xcnt 0x0
	s_and_saveexec_b32 s16, vcc_lo
	s_cbranch_execz .LBB187_854
; %bb.853:                              ;   in Loop: Header=BB187_819 Depth=1
	v_cmp_lt_i32_e64 s0, v29, v100
	s_delay_alu instid0(VALU_DEP_1) | instskip(SKIP_1) | instid1(VALU_DEP_1)
	v_cndmask_b32_e64 v66, 0, v66, s0
	v_cmp_lt_i32_e64 s0, v33, v100
	v_cndmask_b32_e64 v67, 0, v67, s0
	v_cmp_lt_i32_e64 s0, v35, v100
	s_delay_alu instid0(VALU_DEP_1) | instskip(SKIP_1) | instid1(VALU_DEP_1)
	v_cndmask_b32_e64 v64, 0, v64, s0
	v_cmp_lt_i32_e64 s0, v34, v100
	v_cndmask_b32_e64 v65, 0, v65, s0
.LBB187_854:                            ;   in Loop: Header=BB187_819 Depth=1
	s_or_b32 exec_lo, exec_lo, s16
	flat_load_b32 v8, v[68:69] offset:128
	v_mov_b64_e32 v[0:1], 0
	v_mov_b64_e32 v[6:7], 0
	s_mov_b32 s16, exec_lo
	s_wait_loadcnt_dscnt 0x0
	v_and_b32_e32 v9, 0xff, v8
	s_wait_xcnt 0x0
	s_delay_alu instid0(VALU_DEP_1)
	v_cmpx_ne_u16_e32 0, v9
	s_cbranch_execz .LBB187_862
; %bb.855:                              ;   in Loop: Header=BB187_819 Depth=1
	v_mov_b64_e32 v[6:7], 0x80000000
	s_mov_b32 s17, exec_lo
	v_cmpx_ne_u16_e32 0x80, v9
	s_cbranch_execz .LBB187_861
; %bb.856:                              ;   in Loop: Header=BB187_819 Depth=1
	v_mov_b64_e32 v[6:7], 0x7f800001
	v_and_b32_e32 v9, 0x7f, v8
	s_mov_b32 s18, exec_lo
	s_delay_alu instid0(VALU_DEP_1)
	v_cmpx_ne_u32_e32 0x7f, v9
	s_cbranch_execz .LBB187_860
; %bb.857:                              ;   in Loop: Header=BB187_819 Depth=1
	v_dual_lshrrev_b32 v6, 3, v9 :: v_dual_bitop2_b32 v112, 7, v8 bitop3:0x40
	s_mov_b32 s19, exec_lo
	v_cmpx_gt_u32_e32 8, v9
; %bb.858:                              ;   in Loop: Header=BB187_819 Depth=1
	s_delay_alu instid0(VALU_DEP_2) | instskip(NEXT) | instid1(VALU_DEP_1)
	v_clz_i32_u32_e32 v6, v112
	v_min_u32_e32 v6, 32, v6
	s_delay_alu instid0(VALU_DEP_1) | instskip(NEXT) | instid1(VALU_DEP_1)
	v_subrev_nc_u32_e32 v7, 28, v6
	v_lshlrev_b64_e32 v[12:13], v7, v[112:113]
	s_delay_alu instid0(VALU_DEP_1)
	v_dual_sub_nc_u32 v6, 29, v6 :: v_dual_bitop2_b32 v112, 7, v12 bitop3:0x40
; %bb.859:                              ;   in Loop: Header=BB187_819 Depth=1
	s_or_b32 exec_lo, exec_lo, s19
	v_lshlrev_b32_e32 v7, 24, v8
	s_delay_alu instid0(VALU_DEP_2) | instskip(NEXT) | instid1(VALU_DEP_3)
	v_lshlrev_b32_e32 v9, 20, v112
	v_lshl_add_u32 v6, v6, 23, 0x3c000000
	s_delay_alu instid0(VALU_DEP_3) | instskip(NEXT) | instid1(VALU_DEP_1)
	v_and_b32_e32 v7, 0x80000000, v7
	v_or3_b32 v112, v9, v7, v6
	s_delay_alu instid0(VALU_DEP_1)
	v_mov_b64_e32 v[6:7], v[112:113]
.LBB187_860:                            ;   in Loop: Header=BB187_819 Depth=1
	s_or_b32 exec_lo, exec_lo, s18
.LBB187_861:                            ;   in Loop: Header=BB187_819 Depth=1
	s_delay_alu instid0(SALU_CYCLE_1)
	s_or_b32 exec_lo, exec_lo, s17
.LBB187_862:                            ;   in Loop: Header=BB187_819 Depth=1
	s_delay_alu instid0(SALU_CYCLE_1) | instskip(SKIP_2) | instid1(VALU_DEP_1)
	s_or_b32 exec_lo, exec_lo, s16
	v_lshrrev_b16 v9, 8, v8
	s_mov_b32 s16, exec_lo
	v_cmpx_ne_u16_e32 0, v9
	s_cbranch_execz .LBB187_870
; %bb.863:                              ;   in Loop: Header=BB187_819 Depth=1
	v_mov_b64_e32 v[0:1], 0x8000000000000000
	s_mov_b32 s17, exec_lo
	v_cmpx_ne_u16_e32 0x80, v9
	s_cbranch_execz .LBB187_869
; %bb.864:                              ;   in Loop: Header=BB187_819 Depth=1
	v_and_b32_e32 v12, 0xffff, v9
	v_mov_b64_e32 v[0:1], 0x7f80000100000000
	s_mov_b32 s18, exec_lo
	s_delay_alu instid0(VALU_DEP_2) | instskip(NEXT) | instid1(VALU_DEP_1)
	v_and_b32_e32 v9, 0x7f, v12
	v_cmpx_ne_u32_e32 0x7f, v9
	s_cbranch_execz .LBB187_868
; %bb.865:                              ;   in Loop: Header=BB187_819 Depth=1
	v_dual_lshrrev_b32 v0, 3, v9 :: v_dual_bitop2_b32 v112, 7, v12 bitop3:0x40
	s_mov_b32 s19, exec_lo
	v_cmpx_gt_u32_e32 8, v9
; %bb.866:                              ;   in Loop: Header=BB187_819 Depth=1
	s_delay_alu instid0(VALU_DEP_2) | instskip(NEXT) | instid1(VALU_DEP_1)
	v_clz_i32_u32_e32 v0, v112
	v_min_u32_e32 v0, 32, v0
	s_delay_alu instid0(VALU_DEP_1) | instskip(SKIP_1) | instid1(VALU_DEP_2)
	v_subrev_nc_u32_e32 v1, 28, v0
	v_sub_nc_u32_e32 v0, 29, v0
	v_lshlrev_b64_e32 v[12:13], v1, v[112:113]
	s_delay_alu instid0(VALU_DEP_1)
	v_and_b32_e32 v112, 7, v12
; %bb.867:                              ;   in Loop: Header=BB187_819 Depth=1
	s_or_b32 exec_lo, exec_lo, s19
	v_lshlrev_b32_e32 v1, 16, v8
	s_delay_alu instid0(VALU_DEP_2) | instskip(SKIP_1) | instid1(VALU_DEP_3)
	v_lshlrev_b32_e32 v9, 20, v112
	v_lshl_add_u32 v0, v0, 23, 0x3c000000
	v_and_b32_e32 v1, 0x80000000, v1
	s_delay_alu instid0(VALU_DEP_1)
	v_or3_b32 v1, v9, v1, v0
	v_mov_b32_e32 v0, v113
.LBB187_868:                            ;   in Loop: Header=BB187_819 Depth=1
	s_or_b32 exec_lo, exec_lo, s18
.LBB187_869:                            ;   in Loop: Header=BB187_819 Depth=1
	s_delay_alu instid0(SALU_CYCLE_1)
	s_or_b32 exec_lo, exec_lo, s17
.LBB187_870:                            ;   in Loop: Header=BB187_819 Depth=1
	s_delay_alu instid0(SALU_CYCLE_1) | instskip(SKIP_4) | instid1(VALU_DEP_3)
	s_or_b32 exec_lo, exec_lo, s16
	v_lshrrev_b32_e32 v9, 16, v8
	v_mov_b64_e32 v[12:13], 0
	v_mov_b64_e32 v[14:15], 0
	s_mov_b32 s16, exec_lo
	v_and_b32_e32 v16, 0xff, v9
	s_delay_alu instid0(VALU_DEP_1)
	v_cmpx_ne_u16_e32 0, v16
	s_cbranch_execz .LBB187_878
; %bb.871:                              ;   in Loop: Header=BB187_819 Depth=1
	v_mov_b64_e32 v[14:15], 0x80000000
	s_mov_b32 s17, exec_lo
	v_cmpx_ne_u16_e32 0x80, v16
	s_cbranch_execz .LBB187_877
; %bb.872:                              ;   in Loop: Header=BB187_819 Depth=1
	v_mov_b64_e32 v[14:15], 0x7f800001
	v_bfe_u32 v16, v8, 16, 7
	s_mov_b32 s18, exec_lo
	s_delay_alu instid0(VALU_DEP_1)
	v_cmpx_ne_u32_e32 0x7f, v16
	s_cbranch_execz .LBB187_876
; %bb.873:                              ;   in Loop: Header=BB187_819 Depth=1
	v_dual_lshrrev_b32 v14, 3, v16 :: v_dual_bitop2_b32 v112, 7, v9 bitop3:0x40
	s_mov_b32 s19, exec_lo
	v_cmpx_gt_u32_e32 8, v16
; %bb.874:                              ;   in Loop: Header=BB187_819 Depth=1
	s_delay_alu instid0(VALU_DEP_2) | instskip(NEXT) | instid1(VALU_DEP_1)
	v_clz_i32_u32_e32 v14, v112
	v_min_u32_e32 v14, 32, v14
	s_delay_alu instid0(VALU_DEP_1) | instskip(NEXT) | instid1(VALU_DEP_1)
	v_subrev_nc_u32_e32 v15, 28, v14
	v_lshlrev_b64_e32 v[16:17], v15, v[112:113]
	s_delay_alu instid0(VALU_DEP_1)
	v_dual_sub_nc_u32 v14, 29, v14 :: v_dual_bitop2_b32 v112, 7, v16 bitop3:0x40
; %bb.875:                              ;   in Loop: Header=BB187_819 Depth=1
	s_or_b32 exec_lo, exec_lo, s19
	s_delay_alu instid0(VALU_DEP_1) | instskip(NEXT) | instid1(VALU_DEP_2)
	v_dual_lshlrev_b32 v9, 24, v9 :: v_dual_lshlrev_b32 v15, 20, v112
	v_lshl_add_u32 v14, v14, 23, 0x3c000000
	s_delay_alu instid0(VALU_DEP_2) | instskip(NEXT) | instid1(VALU_DEP_1)
	v_and_b32_e32 v9, 0x80000000, v9
	v_or3_b32 v112, v15, v9, v14
	s_delay_alu instid0(VALU_DEP_1)
	v_mov_b64_e32 v[14:15], v[112:113]
.LBB187_876:                            ;   in Loop: Header=BB187_819 Depth=1
	s_or_b32 exec_lo, exec_lo, s18
.LBB187_877:                            ;   in Loop: Header=BB187_819 Depth=1
	s_delay_alu instid0(SALU_CYCLE_1)
	s_or_b32 exec_lo, exec_lo, s17
.LBB187_878:                            ;   in Loop: Header=BB187_819 Depth=1
	s_delay_alu instid0(SALU_CYCLE_1) | instskip(NEXT) | instid1(SALU_CYCLE_1)
	s_or_b32 exec_lo, exec_lo, s16
	s_mov_b32 s16, exec_lo
	v_cmpx_lt_u32_e32 0xffffff, v8
	s_cbranch_execz .LBB187_886
; %bb.879:                              ;   in Loop: Header=BB187_819 Depth=1
	v_mov_b64_e32 v[12:13], 0x8000000000000000
	v_lshrrev_b32_e32 v9, 24, v8
	s_mov_b32 s17, exec_lo
	s_delay_alu instid0(VALU_DEP_1)
	v_cmpx_ne_u32_e32 0x80, v9
	s_cbranch_execz .LBB187_885
; %bb.880:                              ;   in Loop: Header=BB187_819 Depth=1
	v_mov_b64_e32 v[12:13], 0x7f80000100000000
	v_bfe_u32 v16, v8, 24, 7
	s_mov_b32 s18, exec_lo
	s_delay_alu instid0(VALU_DEP_1)
	v_cmpx_ne_u32_e32 0x7f, v16
	s_cbranch_execz .LBB187_884
; %bb.881:                              ;   in Loop: Header=BB187_819 Depth=1
	v_dual_lshrrev_b32 v8, 3, v16 :: v_dual_bitop2_b32 v112, 7, v9 bitop3:0x40
	s_mov_b32 s19, exec_lo
	v_cmpx_gt_u32_e32 8, v16
; %bb.882:                              ;   in Loop: Header=BB187_819 Depth=1
	s_delay_alu instid0(VALU_DEP_2) | instskip(NEXT) | instid1(VALU_DEP_1)
	v_clz_i32_u32_e32 v8, v112
	v_min_u32_e32 v8, 32, v8
	s_delay_alu instid0(VALU_DEP_1) | instskip(SKIP_1) | instid1(VALU_DEP_2)
	v_subrev_nc_u32_e32 v12, 28, v8
	v_sub_nc_u32_e32 v8, 29, v8
	v_lshlrev_b64_e32 v[12:13], v12, v[112:113]
	s_delay_alu instid0(VALU_DEP_1)
	v_and_b32_e32 v112, 7, v12
; %bb.883:                              ;   in Loop: Header=BB187_819 Depth=1
	s_or_b32 exec_lo, exec_lo, s19
	s_delay_alu instid0(VALU_DEP_1) | instskip(SKIP_1) | instid1(VALU_DEP_2)
	v_dual_lshlrev_b32 v9, 24, v9 :: v_dual_lshlrev_b32 v12, 20, v112
	v_lshl_add_u32 v8, v8, 23, 0x3c000000
	v_and_b32_e32 v9, 0x80000000, v9
	s_delay_alu instid0(VALU_DEP_1)
	v_or3_b32 v13, v12, v9, v8
	v_mov_b32_e32 v12, v113
.LBB187_884:                            ;   in Loop: Header=BB187_819 Depth=1
	s_or_b32 exec_lo, exec_lo, s18
.LBB187_885:                            ;   in Loop: Header=BB187_819 Depth=1
	s_delay_alu instid0(SALU_CYCLE_1)
	s_or_b32 exec_lo, exec_lo, s17
.LBB187_886:                            ;   in Loop: Header=BB187_819 Depth=1
	s_delay_alu instid0(SALU_CYCLE_1) | instskip(SKIP_4) | instid1(VALU_DEP_3)
	s_or_b32 exec_lo, exec_lo, s16
	v_dual_mov_b32 v55, v54 :: v_dual_bitop2_b32 v1, v1, v7 bitop3:0x54
	v_or_b32_e32 v0, v0, v6
	v_or_b32_e32 v7, v13, v15
	;; [unrolled: 1-line block ×3, first 2 shown]
	v_pk_mul_f32 v[80:81], v[54:55], v[0:1]
	s_delay_alu instid0(VALU_DEP_2)
	v_pk_mul_f32 v[70:71], v[54:55], v[6:7]
	s_and_saveexec_b32 s16, vcc_lo
	s_cbranch_execz .LBB187_888
; %bb.887:                              ;   in Loop: Header=BB187_819 Depth=1
	v_cmp_lt_i32_e64 s0, v29, v100
	s_delay_alu instid0(VALU_DEP_1) | instskip(SKIP_1) | instid1(VALU_DEP_1)
	v_cndmask_b32_e64 v80, 0, v80, s0
	v_cmp_lt_i32_e64 s0, v33, v100
	v_cndmask_b32_e64 v81, 0, v81, s0
	v_cmp_lt_i32_e64 s0, v35, v100
	s_delay_alu instid0(VALU_DEP_1) | instskip(SKIP_1) | instid1(VALU_DEP_1)
	v_cndmask_b32_e64 v70, 0, v70, s0
	v_cmp_lt_i32_e64 s0, v34, v100
	v_cndmask_b32_e64 v71, 0, v71, s0
.LBB187_888:                            ;   in Loop: Header=BB187_819 Depth=1
	s_or_b32 exec_lo, exec_lo, s16
	flat_load_b32 v14, v[68:69] offset:256
	v_mov_b64_e32 v[0:1], 0
	v_mov_b64_e32 v[6:7], 0
	s_mov_b32 s16, exec_lo
	s_wait_loadcnt_dscnt 0x0
	v_and_b32_e32 v8, 0xff, v14
	s_wait_xcnt 0x0
	s_delay_alu instid0(VALU_DEP_1)
	v_cmpx_ne_u16_e32 0, v8
	s_cbranch_execz .LBB187_896
; %bb.889:                              ;   in Loop: Header=BB187_819 Depth=1
	v_mov_b64_e32 v[6:7], 0x80000000
	s_mov_b32 s17, exec_lo
	v_cmpx_ne_u16_e32 0x80, v8
	s_cbranch_execz .LBB187_895
; %bb.890:                              ;   in Loop: Header=BB187_819 Depth=1
	v_mov_b64_e32 v[6:7], 0x7f800001
	v_and_b32_e32 v8, 0x7f, v14
	s_mov_b32 s18, exec_lo
	s_delay_alu instid0(VALU_DEP_1)
	v_cmpx_ne_u32_e32 0x7f, v8
	s_cbranch_execz .LBB187_894
; %bb.891:                              ;   in Loop: Header=BB187_819 Depth=1
	v_dual_lshrrev_b32 v6, 3, v8 :: v_dual_bitop2_b32 v112, 7, v14 bitop3:0x40
	s_mov_b32 s19, exec_lo
	v_cmpx_gt_u32_e32 8, v8
; %bb.892:                              ;   in Loop: Header=BB187_819 Depth=1
	s_delay_alu instid0(VALU_DEP_2) | instskip(NEXT) | instid1(VALU_DEP_1)
	v_clz_i32_u32_e32 v6, v112
	v_min_u32_e32 v6, 32, v6
	s_delay_alu instid0(VALU_DEP_1) | instskip(NEXT) | instid1(VALU_DEP_1)
	v_subrev_nc_u32_e32 v7, 28, v6
	v_lshlrev_b64_e32 v[8:9], v7, v[112:113]
	s_delay_alu instid0(VALU_DEP_1)
	v_dual_sub_nc_u32 v6, 29, v6 :: v_dual_bitop2_b32 v112, 7, v8 bitop3:0x40
; %bb.893:                              ;   in Loop: Header=BB187_819 Depth=1
	s_or_b32 exec_lo, exec_lo, s19
	s_delay_alu instid0(VALU_DEP_1) | instskip(NEXT) | instid1(VALU_DEP_2)
	v_dual_lshlrev_b32 v7, 24, v14 :: v_dual_lshlrev_b32 v8, 20, v112
	v_lshl_add_u32 v6, v6, 23, 0x3c000000
	s_delay_alu instid0(VALU_DEP_2) | instskip(NEXT) | instid1(VALU_DEP_1)
	v_and_b32_e32 v7, 0x80000000, v7
	v_or3_b32 v112, v8, v7, v6
	s_delay_alu instid0(VALU_DEP_1)
	v_mov_b64_e32 v[6:7], v[112:113]
.LBB187_894:                            ;   in Loop: Header=BB187_819 Depth=1
	s_or_b32 exec_lo, exec_lo, s18
.LBB187_895:                            ;   in Loop: Header=BB187_819 Depth=1
	s_delay_alu instid0(SALU_CYCLE_1)
	s_or_b32 exec_lo, exec_lo, s17
.LBB187_896:                            ;   in Loop: Header=BB187_819 Depth=1
	s_delay_alu instid0(SALU_CYCLE_1) | instskip(SKIP_2) | instid1(VALU_DEP_1)
	s_or_b32 exec_lo, exec_lo, s16
	v_lshrrev_b16 v8, 8, v14
	s_mov_b32 s16, exec_lo
	v_cmpx_ne_u16_e32 0, v8
	s_cbranch_execz .LBB187_904
; %bb.897:                              ;   in Loop: Header=BB187_819 Depth=1
	v_mov_b64_e32 v[0:1], 0x8000000000000000
	s_mov_b32 s17, exec_lo
	v_cmpx_ne_u16_e32 0x80, v8
	s_cbranch_execz .LBB187_903
; %bb.898:                              ;   in Loop: Header=BB187_819 Depth=1
	v_and_b32_e32 v9, 0xffff, v8
	v_mov_b64_e32 v[0:1], 0x7f80000100000000
	s_mov_b32 s18, exec_lo
	s_delay_alu instid0(VALU_DEP_2) | instskip(NEXT) | instid1(VALU_DEP_1)
	v_and_b32_e32 v8, 0x7f, v9
	v_cmpx_ne_u32_e32 0x7f, v8
	s_cbranch_execz .LBB187_902
; %bb.899:                              ;   in Loop: Header=BB187_819 Depth=1
	v_dual_lshrrev_b32 v0, 3, v8 :: v_dual_bitop2_b32 v112, 7, v9 bitop3:0x40
	s_mov_b32 s19, exec_lo
	v_cmpx_gt_u32_e32 8, v8
; %bb.900:                              ;   in Loop: Header=BB187_819 Depth=1
	s_delay_alu instid0(VALU_DEP_2) | instskip(NEXT) | instid1(VALU_DEP_1)
	v_clz_i32_u32_e32 v0, v112
	v_min_u32_e32 v0, 32, v0
	s_delay_alu instid0(VALU_DEP_1) | instskip(SKIP_1) | instid1(VALU_DEP_2)
	v_subrev_nc_u32_e32 v1, 28, v0
	v_sub_nc_u32_e32 v0, 29, v0
	v_lshlrev_b64_e32 v[8:9], v1, v[112:113]
	s_delay_alu instid0(VALU_DEP_1)
	v_and_b32_e32 v112, 7, v8
; %bb.901:                              ;   in Loop: Header=BB187_819 Depth=1
	s_or_b32 exec_lo, exec_lo, s19
	s_delay_alu instid0(VALU_DEP_1) | instskip(SKIP_1) | instid1(VALU_DEP_2)
	v_dual_lshlrev_b32 v1, 16, v14 :: v_dual_lshlrev_b32 v8, 20, v112
	v_lshl_add_u32 v0, v0, 23, 0x3c000000
	v_and_b32_e32 v1, 0x80000000, v1
	s_delay_alu instid0(VALU_DEP_1)
	v_or3_b32 v1, v8, v1, v0
	v_mov_b32_e32 v0, v113
.LBB187_902:                            ;   in Loop: Header=BB187_819 Depth=1
	s_or_b32 exec_lo, exec_lo, s18
.LBB187_903:                            ;   in Loop: Header=BB187_819 Depth=1
	s_delay_alu instid0(SALU_CYCLE_1)
	s_or_b32 exec_lo, exec_lo, s17
.LBB187_904:                            ;   in Loop: Header=BB187_819 Depth=1
	s_delay_alu instid0(SALU_CYCLE_1) | instskip(SKIP_4) | instid1(VALU_DEP_3)
	s_or_b32 exec_lo, exec_lo, s16
	v_lshrrev_b32_e32 v15, 16, v14
	v_mov_b64_e32 v[12:13], 0
	v_mov_b64_e32 v[8:9], 0
	s_mov_b32 s16, exec_lo
	v_and_b32_e32 v16, 0xff, v15
	s_delay_alu instid0(VALU_DEP_1)
	v_cmpx_ne_u16_e32 0, v16
	s_cbranch_execz .LBB187_912
; %bb.905:                              ;   in Loop: Header=BB187_819 Depth=1
	v_mov_b64_e32 v[8:9], 0x80000000
	s_mov_b32 s17, exec_lo
	v_cmpx_ne_u16_e32 0x80, v16
	s_cbranch_execz .LBB187_911
; %bb.906:                              ;   in Loop: Header=BB187_819 Depth=1
	v_mov_b64_e32 v[8:9], 0x7f800001
	v_bfe_u32 v16, v14, 16, 7
	s_mov_b32 s18, exec_lo
	s_delay_alu instid0(VALU_DEP_1)
	v_cmpx_ne_u32_e32 0x7f, v16
	s_cbranch_execz .LBB187_910
; %bb.907:                              ;   in Loop: Header=BB187_819 Depth=1
	v_dual_lshrrev_b32 v8, 3, v16 :: v_dual_bitop2_b32 v112, 7, v15 bitop3:0x40
	s_mov_b32 s19, exec_lo
	v_cmpx_gt_u32_e32 8, v16
; %bb.908:                              ;   in Loop: Header=BB187_819 Depth=1
	s_delay_alu instid0(VALU_DEP_2) | instskip(NEXT) | instid1(VALU_DEP_1)
	v_clz_i32_u32_e32 v8, v112
	v_min_u32_e32 v8, 32, v8
	s_delay_alu instid0(VALU_DEP_1) | instskip(SKIP_1) | instid1(VALU_DEP_2)
	v_subrev_nc_u32_e32 v9, 28, v8
	v_sub_nc_u32_e32 v8, 29, v8
	v_lshlrev_b64_e32 v[16:17], v9, v[112:113]
	s_delay_alu instid0(VALU_DEP_1)
	v_and_b32_e32 v112, 7, v16
; %bb.909:                              ;   in Loop: Header=BB187_819 Depth=1
	s_or_b32 exec_lo, exec_lo, s19
	s_delay_alu instid0(VALU_DEP_1) | instskip(SKIP_1) | instid1(VALU_DEP_2)
	v_dual_lshlrev_b32 v9, 24, v15 :: v_dual_lshlrev_b32 v15, 20, v112
	v_lshl_add_u32 v8, v8, 23, 0x3c000000
	v_and_b32_e32 v9, 0x80000000, v9
	s_delay_alu instid0(VALU_DEP_1) | instskip(NEXT) | instid1(VALU_DEP_1)
	v_or3_b32 v112, v15, v9, v8
	v_mov_b64_e32 v[8:9], v[112:113]
.LBB187_910:                            ;   in Loop: Header=BB187_819 Depth=1
	s_or_b32 exec_lo, exec_lo, s18
.LBB187_911:                            ;   in Loop: Header=BB187_819 Depth=1
	s_delay_alu instid0(SALU_CYCLE_1)
	s_or_b32 exec_lo, exec_lo, s17
.LBB187_912:                            ;   in Loop: Header=BB187_819 Depth=1
	s_delay_alu instid0(SALU_CYCLE_1) | instskip(NEXT) | instid1(SALU_CYCLE_1)
	s_or_b32 exec_lo, exec_lo, s16
	s_mov_b32 s16, exec_lo
	v_cmpx_lt_u32_e32 0xffffff, v14
	s_cbranch_execz .LBB187_920
; %bb.913:                              ;   in Loop: Header=BB187_819 Depth=1
	v_mov_b64_e32 v[12:13], 0x8000000000000000
	v_lshrrev_b32_e32 v15, 24, v14
	s_mov_b32 s17, exec_lo
	s_delay_alu instid0(VALU_DEP_1)
	v_cmpx_ne_u32_e32 0x80, v15
	s_cbranch_execz .LBB187_919
; %bb.914:                              ;   in Loop: Header=BB187_819 Depth=1
	v_mov_b64_e32 v[12:13], 0x7f80000100000000
	v_bfe_u32 v14, v14, 24, 7
	s_mov_b32 s18, exec_lo
	s_delay_alu instid0(VALU_DEP_1)
	v_cmpx_ne_u32_e32 0x7f, v14
	s_cbranch_execz .LBB187_918
; %bb.915:                              ;   in Loop: Header=BB187_819 Depth=1
	v_dual_lshrrev_b32 v12, 3, v14 :: v_dual_bitop2_b32 v112, 7, v15 bitop3:0x40
	s_mov_b32 s19, exec_lo
	v_cmpx_gt_u32_e32 8, v14
; %bb.916:                              ;   in Loop: Header=BB187_819 Depth=1
	s_delay_alu instid0(VALU_DEP_2) | instskip(NEXT) | instid1(VALU_DEP_1)
	v_clz_i32_u32_e32 v12, v112
	v_min_u32_e32 v12, 32, v12
	s_delay_alu instid0(VALU_DEP_1) | instskip(SKIP_1) | instid1(VALU_DEP_2)
	v_subrev_nc_u32_e32 v13, 28, v12
	v_sub_nc_u32_e32 v12, 29, v12
	v_lshlrev_b64_e32 v[16:17], v13, v[112:113]
	s_delay_alu instid0(VALU_DEP_1)
	v_and_b32_e32 v112, 7, v16
; %bb.917:                              ;   in Loop: Header=BB187_819 Depth=1
	s_or_b32 exec_lo, exec_lo, s19
	s_delay_alu instid0(VALU_DEP_1) | instskip(SKIP_1) | instid1(VALU_DEP_2)
	v_dual_lshlrev_b32 v13, 24, v15 :: v_dual_lshlrev_b32 v14, 20, v112
	v_lshl_add_u32 v12, v12, 23, 0x3c000000
	v_and_b32_e32 v13, 0x80000000, v13
	s_delay_alu instid0(VALU_DEP_1)
	v_or3_b32 v13, v14, v13, v12
	v_mov_b32_e32 v12, v113
.LBB187_918:                            ;   in Loop: Header=BB187_819 Depth=1
	s_or_b32 exec_lo, exec_lo, s18
.LBB187_919:                            ;   in Loop: Header=BB187_819 Depth=1
	s_delay_alu instid0(SALU_CYCLE_1)
	s_or_b32 exec_lo, exec_lo, s17
.LBB187_920:                            ;   in Loop: Header=BB187_819 Depth=1
	s_delay_alu instid0(SALU_CYCLE_1) | instskip(SKIP_4) | instid1(VALU_DEP_3)
	s_or_b32 exec_lo, exec_lo, s16
	v_or_b32_e32 v1, v1, v7
	v_or_b32_e32 v0, v0, v6
	v_or_b32_e32 v7, v13, v9
	v_or_b32_e32 v6, v12, v8
	v_pk_mul_f32 v[84:85], v[54:55], v[0:1]
	s_delay_alu instid0(VALU_DEP_2)
	v_pk_mul_f32 v[82:83], v[54:55], v[6:7]
	s_and_saveexec_b32 s16, vcc_lo
	s_cbranch_execz .LBB187_922
; %bb.921:                              ;   in Loop: Header=BB187_819 Depth=1
	v_cmp_lt_i32_e64 s0, v29, v100
	s_delay_alu instid0(VALU_DEP_1) | instskip(SKIP_1) | instid1(VALU_DEP_1)
	v_cndmask_b32_e64 v84, 0, v84, s0
	v_cmp_lt_i32_e64 s0, v33, v100
	v_cndmask_b32_e64 v85, 0, v85, s0
	v_cmp_lt_i32_e64 s0, v35, v100
	s_delay_alu instid0(VALU_DEP_1) | instskip(SKIP_1) | instid1(VALU_DEP_1)
	v_cndmask_b32_e64 v82, 0, v82, s0
	v_cmp_lt_i32_e64 s0, v34, v100
	v_cndmask_b32_e64 v83, 0, v83, s0
.LBB187_922:                            ;   in Loop: Header=BB187_819 Depth=1
	s_or_b32 exec_lo, exec_lo, s16
	flat_load_b32 v14, v[68:69] offset:384
	v_mov_b64_e32 v[0:1], 0
	v_mov_b64_e32 v[6:7], 0
	s_mov_b32 s16, exec_lo
	s_wait_loadcnt_dscnt 0x0
	v_and_b32_e32 v8, 0xff, v14
	s_wait_xcnt 0x0
	s_delay_alu instid0(VALU_DEP_1)
	v_cmpx_ne_u16_e32 0, v8
	s_cbranch_execz .LBB187_930
; %bb.923:                              ;   in Loop: Header=BB187_819 Depth=1
	v_mov_b64_e32 v[6:7], 0x80000000
	s_mov_b32 s17, exec_lo
	v_cmpx_ne_u16_e32 0x80, v8
	s_cbranch_execz .LBB187_929
; %bb.924:                              ;   in Loop: Header=BB187_819 Depth=1
	v_mov_b64_e32 v[6:7], 0x7f800001
	v_and_b32_e32 v8, 0x7f, v14
	s_mov_b32 s18, exec_lo
	s_delay_alu instid0(VALU_DEP_1)
	v_cmpx_ne_u32_e32 0x7f, v8
	s_cbranch_execz .LBB187_928
; %bb.925:                              ;   in Loop: Header=BB187_819 Depth=1
	v_dual_lshrrev_b32 v6, 3, v8 :: v_dual_bitop2_b32 v112, 7, v14 bitop3:0x40
	s_mov_b32 s19, exec_lo
	v_cmpx_gt_u32_e32 8, v8
; %bb.926:                              ;   in Loop: Header=BB187_819 Depth=1
	s_delay_alu instid0(VALU_DEP_2) | instskip(NEXT) | instid1(VALU_DEP_1)
	v_clz_i32_u32_e32 v6, v112
	v_min_u32_e32 v6, 32, v6
	s_delay_alu instid0(VALU_DEP_1) | instskip(NEXT) | instid1(VALU_DEP_1)
	v_subrev_nc_u32_e32 v7, 28, v6
	v_lshlrev_b64_e32 v[8:9], v7, v[112:113]
	s_delay_alu instid0(VALU_DEP_1)
	v_dual_sub_nc_u32 v6, 29, v6 :: v_dual_bitop2_b32 v112, 7, v8 bitop3:0x40
; %bb.927:                              ;   in Loop: Header=BB187_819 Depth=1
	s_or_b32 exec_lo, exec_lo, s19
	s_delay_alu instid0(VALU_DEP_1) | instskip(NEXT) | instid1(VALU_DEP_2)
	v_dual_lshlrev_b32 v7, 24, v14 :: v_dual_lshlrev_b32 v8, 20, v112
	v_lshl_add_u32 v6, v6, 23, 0x3c000000
	s_delay_alu instid0(VALU_DEP_2) | instskip(NEXT) | instid1(VALU_DEP_1)
	v_and_b32_e32 v7, 0x80000000, v7
	v_or3_b32 v112, v8, v7, v6
	s_delay_alu instid0(VALU_DEP_1)
	v_mov_b64_e32 v[6:7], v[112:113]
.LBB187_928:                            ;   in Loop: Header=BB187_819 Depth=1
	s_or_b32 exec_lo, exec_lo, s18
.LBB187_929:                            ;   in Loop: Header=BB187_819 Depth=1
	s_delay_alu instid0(SALU_CYCLE_1)
	s_or_b32 exec_lo, exec_lo, s17
.LBB187_930:                            ;   in Loop: Header=BB187_819 Depth=1
	s_delay_alu instid0(SALU_CYCLE_1) | instskip(SKIP_2) | instid1(VALU_DEP_1)
	s_or_b32 exec_lo, exec_lo, s16
	v_lshrrev_b16 v8, 8, v14
	s_mov_b32 s16, exec_lo
	v_cmpx_ne_u16_e32 0, v8
	s_cbranch_execz .LBB187_938
; %bb.931:                              ;   in Loop: Header=BB187_819 Depth=1
	v_mov_b64_e32 v[0:1], 0x8000000000000000
	s_mov_b32 s17, exec_lo
	v_cmpx_ne_u16_e32 0x80, v8
	s_cbranch_execz .LBB187_937
; %bb.932:                              ;   in Loop: Header=BB187_819 Depth=1
	v_and_b32_e32 v9, 0xffff, v8
	v_mov_b64_e32 v[0:1], 0x7f80000100000000
	s_mov_b32 s18, exec_lo
	s_delay_alu instid0(VALU_DEP_2) | instskip(NEXT) | instid1(VALU_DEP_1)
	v_and_b32_e32 v8, 0x7f, v9
	v_cmpx_ne_u32_e32 0x7f, v8
	s_cbranch_execz .LBB187_936
; %bb.933:                              ;   in Loop: Header=BB187_819 Depth=1
	v_dual_lshrrev_b32 v0, 3, v8 :: v_dual_bitop2_b32 v112, 7, v9 bitop3:0x40
	s_mov_b32 s19, exec_lo
	v_cmpx_gt_u32_e32 8, v8
; %bb.934:                              ;   in Loop: Header=BB187_819 Depth=1
	s_delay_alu instid0(VALU_DEP_2) | instskip(NEXT) | instid1(VALU_DEP_1)
	v_clz_i32_u32_e32 v0, v112
	v_min_u32_e32 v0, 32, v0
	s_delay_alu instid0(VALU_DEP_1) | instskip(SKIP_1) | instid1(VALU_DEP_2)
	v_subrev_nc_u32_e32 v1, 28, v0
	v_sub_nc_u32_e32 v0, 29, v0
	v_lshlrev_b64_e32 v[8:9], v1, v[112:113]
	s_delay_alu instid0(VALU_DEP_1)
	v_and_b32_e32 v112, 7, v8
; %bb.935:                              ;   in Loop: Header=BB187_819 Depth=1
	s_or_b32 exec_lo, exec_lo, s19
	s_delay_alu instid0(VALU_DEP_1) | instskip(SKIP_1) | instid1(VALU_DEP_2)
	v_dual_lshlrev_b32 v1, 16, v14 :: v_dual_lshlrev_b32 v8, 20, v112
	v_lshl_add_u32 v0, v0, 23, 0x3c000000
	v_and_b32_e32 v1, 0x80000000, v1
	s_delay_alu instid0(VALU_DEP_1)
	v_or3_b32 v1, v8, v1, v0
	v_mov_b32_e32 v0, v113
.LBB187_936:                            ;   in Loop: Header=BB187_819 Depth=1
	s_or_b32 exec_lo, exec_lo, s18
.LBB187_937:                            ;   in Loop: Header=BB187_819 Depth=1
	s_delay_alu instid0(SALU_CYCLE_1)
	s_or_b32 exec_lo, exec_lo, s17
.LBB187_938:                            ;   in Loop: Header=BB187_819 Depth=1
	s_delay_alu instid0(SALU_CYCLE_1) | instskip(SKIP_4) | instid1(VALU_DEP_3)
	s_or_b32 exec_lo, exec_lo, s16
	v_lshrrev_b32_e32 v15, 16, v14
	v_mov_b64_e32 v[12:13], 0
	v_mov_b64_e32 v[8:9], 0
	s_mov_b32 s16, exec_lo
	v_and_b32_e32 v16, 0xff, v15
	s_delay_alu instid0(VALU_DEP_1)
	v_cmpx_ne_u16_e32 0, v16
	s_cbranch_execz .LBB187_946
; %bb.939:                              ;   in Loop: Header=BB187_819 Depth=1
	v_mov_b64_e32 v[8:9], 0x80000000
	s_mov_b32 s17, exec_lo
	v_cmpx_ne_u16_e32 0x80, v16
	s_cbranch_execz .LBB187_945
; %bb.940:                              ;   in Loop: Header=BB187_819 Depth=1
	v_mov_b64_e32 v[8:9], 0x7f800001
	v_bfe_u32 v16, v14, 16, 7
	s_mov_b32 s18, exec_lo
	s_delay_alu instid0(VALU_DEP_1)
	v_cmpx_ne_u32_e32 0x7f, v16
	s_cbranch_execz .LBB187_944
; %bb.941:                              ;   in Loop: Header=BB187_819 Depth=1
	v_dual_lshrrev_b32 v8, 3, v16 :: v_dual_bitop2_b32 v112, 7, v15 bitop3:0x40
	s_mov_b32 s19, exec_lo
	v_cmpx_gt_u32_e32 8, v16
; %bb.942:                              ;   in Loop: Header=BB187_819 Depth=1
	s_delay_alu instid0(VALU_DEP_2) | instskip(NEXT) | instid1(VALU_DEP_1)
	v_clz_i32_u32_e32 v8, v112
	v_min_u32_e32 v8, 32, v8
	s_delay_alu instid0(VALU_DEP_1) | instskip(SKIP_1) | instid1(VALU_DEP_2)
	v_subrev_nc_u32_e32 v9, 28, v8
	v_sub_nc_u32_e32 v8, 29, v8
	v_lshlrev_b64_e32 v[16:17], v9, v[112:113]
	s_delay_alu instid0(VALU_DEP_1)
	v_and_b32_e32 v112, 7, v16
; %bb.943:                              ;   in Loop: Header=BB187_819 Depth=1
	s_or_b32 exec_lo, exec_lo, s19
	s_delay_alu instid0(VALU_DEP_1) | instskip(SKIP_1) | instid1(VALU_DEP_2)
	v_dual_lshlrev_b32 v9, 24, v15 :: v_dual_lshlrev_b32 v15, 20, v112
	v_lshl_add_u32 v8, v8, 23, 0x3c000000
	v_and_b32_e32 v9, 0x80000000, v9
	s_delay_alu instid0(VALU_DEP_1) | instskip(NEXT) | instid1(VALU_DEP_1)
	v_or3_b32 v112, v15, v9, v8
	v_mov_b64_e32 v[8:9], v[112:113]
.LBB187_944:                            ;   in Loop: Header=BB187_819 Depth=1
	s_or_b32 exec_lo, exec_lo, s18
.LBB187_945:                            ;   in Loop: Header=BB187_819 Depth=1
	s_delay_alu instid0(SALU_CYCLE_1)
	s_or_b32 exec_lo, exec_lo, s17
.LBB187_946:                            ;   in Loop: Header=BB187_819 Depth=1
	s_delay_alu instid0(SALU_CYCLE_1) | instskip(NEXT) | instid1(SALU_CYCLE_1)
	s_or_b32 exec_lo, exec_lo, s16
	s_mov_b32 s16, exec_lo
	v_cmpx_lt_u32_e32 0xffffff, v14
	s_cbranch_execz .LBB187_954
; %bb.947:                              ;   in Loop: Header=BB187_819 Depth=1
	v_mov_b64_e32 v[12:13], 0x8000000000000000
	v_lshrrev_b32_e32 v15, 24, v14
	s_mov_b32 s17, exec_lo
	s_delay_alu instid0(VALU_DEP_1)
	v_cmpx_ne_u32_e32 0x80, v15
	s_cbranch_execz .LBB187_953
; %bb.948:                              ;   in Loop: Header=BB187_819 Depth=1
	v_mov_b64_e32 v[12:13], 0x7f80000100000000
	v_bfe_u32 v14, v14, 24, 7
	s_mov_b32 s18, exec_lo
	s_delay_alu instid0(VALU_DEP_1)
	v_cmpx_ne_u32_e32 0x7f, v14
	s_cbranch_execz .LBB187_952
; %bb.949:                              ;   in Loop: Header=BB187_819 Depth=1
	v_dual_lshrrev_b32 v12, 3, v14 :: v_dual_bitop2_b32 v112, 7, v15 bitop3:0x40
	s_mov_b32 s19, exec_lo
	v_cmpx_gt_u32_e32 8, v14
; %bb.950:                              ;   in Loop: Header=BB187_819 Depth=1
	s_delay_alu instid0(VALU_DEP_2) | instskip(NEXT) | instid1(VALU_DEP_1)
	v_clz_i32_u32_e32 v12, v112
	v_min_u32_e32 v12, 32, v12
	s_delay_alu instid0(VALU_DEP_1) | instskip(SKIP_1) | instid1(VALU_DEP_2)
	v_subrev_nc_u32_e32 v13, 28, v12
	v_sub_nc_u32_e32 v12, 29, v12
	v_lshlrev_b64_e32 v[16:17], v13, v[112:113]
	s_delay_alu instid0(VALU_DEP_1)
	v_and_b32_e32 v112, 7, v16
; %bb.951:                              ;   in Loop: Header=BB187_819 Depth=1
	s_or_b32 exec_lo, exec_lo, s19
	s_delay_alu instid0(VALU_DEP_1) | instskip(SKIP_1) | instid1(VALU_DEP_2)
	v_dual_lshlrev_b32 v13, 24, v15 :: v_dual_lshlrev_b32 v14, 20, v112
	v_lshl_add_u32 v12, v12, 23, 0x3c000000
	v_and_b32_e32 v13, 0x80000000, v13
	s_delay_alu instid0(VALU_DEP_1)
	v_or3_b32 v13, v14, v13, v12
	v_mov_b32_e32 v12, v113
.LBB187_952:                            ;   in Loop: Header=BB187_819 Depth=1
	s_or_b32 exec_lo, exec_lo, s18
.LBB187_953:                            ;   in Loop: Header=BB187_819 Depth=1
	s_delay_alu instid0(SALU_CYCLE_1)
	s_or_b32 exec_lo, exec_lo, s17
.LBB187_954:                            ;   in Loop: Header=BB187_819 Depth=1
	s_delay_alu instid0(SALU_CYCLE_1) | instskip(SKIP_4) | instid1(VALU_DEP_3)
	s_or_b32 exec_lo, exec_lo, s16
	v_or_b32_e32 v1, v1, v7
	v_or_b32_e32 v0, v0, v6
	;; [unrolled: 1-line block ×4, first 2 shown]
	v_pk_mul_f32 v[96:97], v[54:55], v[0:1]
	s_delay_alu instid0(VALU_DEP_2)
	v_pk_mul_f32 v[86:87], v[54:55], v[6:7]
	s_and_saveexec_b32 s16, vcc_lo
	s_cbranch_execz .LBB187_956
; %bb.955:                              ;   in Loop: Header=BB187_819 Depth=1
	v_cmp_lt_i32_e64 s0, v29, v100
	s_delay_alu instid0(VALU_DEP_1) | instskip(SKIP_1) | instid1(VALU_DEP_1)
	v_cndmask_b32_e64 v96, 0, v96, s0
	v_cmp_lt_i32_e64 s0, v33, v100
	v_cndmask_b32_e64 v97, 0, v97, s0
	v_cmp_lt_i32_e64 s0, v35, v100
	s_delay_alu instid0(VALU_DEP_1) | instskip(SKIP_1) | instid1(VALU_DEP_1)
	v_cndmask_b32_e64 v86, 0, v86, s0
	v_cmp_lt_i32_e64 s0, v34, v100
	v_cndmask_b32_e64 v87, 0, v87, s0
.LBB187_956:                            ;   in Loop: Header=BB187_819 Depth=1
	s_or_b32 exec_lo, exec_lo, s16
	flat_load_b32 v14, v[68:69] offset:512
	v_mov_b64_e32 v[0:1], 0
	v_mov_b64_e32 v[6:7], 0
	s_mov_b32 s16, exec_lo
	s_wait_loadcnt_dscnt 0x0
	v_and_b32_e32 v8, 0xff, v14
	s_wait_xcnt 0x0
	s_delay_alu instid0(VALU_DEP_1)
	v_cmpx_ne_u16_e32 0, v8
	s_cbranch_execz .LBB187_964
; %bb.957:                              ;   in Loop: Header=BB187_819 Depth=1
	v_mov_b64_e32 v[6:7], 0x80000000
	s_mov_b32 s17, exec_lo
	v_cmpx_ne_u16_e32 0x80, v8
	s_cbranch_execz .LBB187_963
; %bb.958:                              ;   in Loop: Header=BB187_819 Depth=1
	v_mov_b64_e32 v[6:7], 0x7f800001
	v_and_b32_e32 v8, 0x7f, v14
	s_mov_b32 s18, exec_lo
	s_delay_alu instid0(VALU_DEP_1)
	v_cmpx_ne_u32_e32 0x7f, v8
	s_cbranch_execz .LBB187_962
; %bb.959:                              ;   in Loop: Header=BB187_819 Depth=1
	v_dual_lshrrev_b32 v6, 3, v8 :: v_dual_bitop2_b32 v112, 7, v14 bitop3:0x40
	s_mov_b32 s19, exec_lo
	v_cmpx_gt_u32_e32 8, v8
; %bb.960:                              ;   in Loop: Header=BB187_819 Depth=1
	s_delay_alu instid0(VALU_DEP_2) | instskip(NEXT) | instid1(VALU_DEP_1)
	v_clz_i32_u32_e32 v6, v112
	v_min_u32_e32 v6, 32, v6
	s_delay_alu instid0(VALU_DEP_1) | instskip(NEXT) | instid1(VALU_DEP_1)
	v_subrev_nc_u32_e32 v7, 28, v6
	v_lshlrev_b64_e32 v[8:9], v7, v[112:113]
	s_delay_alu instid0(VALU_DEP_1)
	v_dual_sub_nc_u32 v6, 29, v6 :: v_dual_bitop2_b32 v112, 7, v8 bitop3:0x40
; %bb.961:                              ;   in Loop: Header=BB187_819 Depth=1
	s_or_b32 exec_lo, exec_lo, s19
	s_delay_alu instid0(VALU_DEP_1) | instskip(NEXT) | instid1(VALU_DEP_2)
	v_dual_lshlrev_b32 v7, 24, v14 :: v_dual_lshlrev_b32 v8, 20, v112
	v_lshl_add_u32 v6, v6, 23, 0x3c000000
	s_delay_alu instid0(VALU_DEP_2) | instskip(NEXT) | instid1(VALU_DEP_1)
	v_and_b32_e32 v7, 0x80000000, v7
	v_or3_b32 v112, v8, v7, v6
	s_delay_alu instid0(VALU_DEP_1)
	v_mov_b64_e32 v[6:7], v[112:113]
.LBB187_962:                            ;   in Loop: Header=BB187_819 Depth=1
	s_or_b32 exec_lo, exec_lo, s18
.LBB187_963:                            ;   in Loop: Header=BB187_819 Depth=1
	s_delay_alu instid0(SALU_CYCLE_1)
	s_or_b32 exec_lo, exec_lo, s17
.LBB187_964:                            ;   in Loop: Header=BB187_819 Depth=1
	s_delay_alu instid0(SALU_CYCLE_1) | instskip(SKIP_2) | instid1(VALU_DEP_1)
	s_or_b32 exec_lo, exec_lo, s16
	v_lshrrev_b16 v8, 8, v14
	s_mov_b32 s16, exec_lo
	v_cmpx_ne_u16_e32 0, v8
	s_cbranch_execz .LBB187_972
; %bb.965:                              ;   in Loop: Header=BB187_819 Depth=1
	v_mov_b64_e32 v[0:1], 0x8000000000000000
	s_mov_b32 s17, exec_lo
	v_cmpx_ne_u16_e32 0x80, v8
	s_cbranch_execz .LBB187_971
; %bb.966:                              ;   in Loop: Header=BB187_819 Depth=1
	v_and_b32_e32 v9, 0xffff, v8
	v_mov_b64_e32 v[0:1], 0x7f80000100000000
	s_mov_b32 s18, exec_lo
	s_delay_alu instid0(VALU_DEP_2) | instskip(NEXT) | instid1(VALU_DEP_1)
	v_and_b32_e32 v8, 0x7f, v9
	v_cmpx_ne_u32_e32 0x7f, v8
	s_cbranch_execz .LBB187_970
; %bb.967:                              ;   in Loop: Header=BB187_819 Depth=1
	v_dual_lshrrev_b32 v0, 3, v8 :: v_dual_bitop2_b32 v112, 7, v9 bitop3:0x40
	s_mov_b32 s19, exec_lo
	v_cmpx_gt_u32_e32 8, v8
; %bb.968:                              ;   in Loop: Header=BB187_819 Depth=1
	s_delay_alu instid0(VALU_DEP_2) | instskip(NEXT) | instid1(VALU_DEP_1)
	v_clz_i32_u32_e32 v0, v112
	v_min_u32_e32 v0, 32, v0
	s_delay_alu instid0(VALU_DEP_1) | instskip(SKIP_1) | instid1(VALU_DEP_2)
	v_subrev_nc_u32_e32 v1, 28, v0
	v_sub_nc_u32_e32 v0, 29, v0
	v_lshlrev_b64_e32 v[8:9], v1, v[112:113]
	s_delay_alu instid0(VALU_DEP_1)
	v_and_b32_e32 v112, 7, v8
; %bb.969:                              ;   in Loop: Header=BB187_819 Depth=1
	s_or_b32 exec_lo, exec_lo, s19
	s_delay_alu instid0(VALU_DEP_1) | instskip(SKIP_1) | instid1(VALU_DEP_2)
	v_dual_lshlrev_b32 v1, 16, v14 :: v_dual_lshlrev_b32 v8, 20, v112
	v_lshl_add_u32 v0, v0, 23, 0x3c000000
	v_and_b32_e32 v1, 0x80000000, v1
	s_delay_alu instid0(VALU_DEP_1)
	v_or3_b32 v1, v8, v1, v0
	v_mov_b32_e32 v0, v113
.LBB187_970:                            ;   in Loop: Header=BB187_819 Depth=1
	s_or_b32 exec_lo, exec_lo, s18
.LBB187_971:                            ;   in Loop: Header=BB187_819 Depth=1
	s_delay_alu instid0(SALU_CYCLE_1)
	s_or_b32 exec_lo, exec_lo, s17
.LBB187_972:                            ;   in Loop: Header=BB187_819 Depth=1
	s_delay_alu instid0(SALU_CYCLE_1) | instskip(SKIP_4) | instid1(VALU_DEP_3)
	s_or_b32 exec_lo, exec_lo, s16
	v_lshrrev_b32_e32 v15, 16, v14
	v_mov_b64_e32 v[12:13], 0
	v_mov_b64_e32 v[8:9], 0
	s_mov_b32 s16, exec_lo
	v_and_b32_e32 v16, 0xff, v15
	s_delay_alu instid0(VALU_DEP_1)
	v_cmpx_ne_u16_e32 0, v16
	s_cbranch_execz .LBB187_980
; %bb.973:                              ;   in Loop: Header=BB187_819 Depth=1
	v_mov_b64_e32 v[8:9], 0x80000000
	s_mov_b32 s17, exec_lo
	v_cmpx_ne_u16_e32 0x80, v16
	s_cbranch_execz .LBB187_979
; %bb.974:                              ;   in Loop: Header=BB187_819 Depth=1
	v_mov_b64_e32 v[8:9], 0x7f800001
	v_bfe_u32 v16, v14, 16, 7
	s_mov_b32 s18, exec_lo
	s_delay_alu instid0(VALU_DEP_1)
	v_cmpx_ne_u32_e32 0x7f, v16
	s_cbranch_execz .LBB187_978
; %bb.975:                              ;   in Loop: Header=BB187_819 Depth=1
	v_dual_lshrrev_b32 v8, 3, v16 :: v_dual_bitop2_b32 v112, 7, v15 bitop3:0x40
	s_mov_b32 s19, exec_lo
	v_cmpx_gt_u32_e32 8, v16
; %bb.976:                              ;   in Loop: Header=BB187_819 Depth=1
	s_delay_alu instid0(VALU_DEP_2) | instskip(NEXT) | instid1(VALU_DEP_1)
	v_clz_i32_u32_e32 v8, v112
	v_min_u32_e32 v8, 32, v8
	s_delay_alu instid0(VALU_DEP_1) | instskip(SKIP_1) | instid1(VALU_DEP_2)
	v_subrev_nc_u32_e32 v9, 28, v8
	v_sub_nc_u32_e32 v8, 29, v8
	v_lshlrev_b64_e32 v[16:17], v9, v[112:113]
	s_delay_alu instid0(VALU_DEP_1)
	v_and_b32_e32 v112, 7, v16
; %bb.977:                              ;   in Loop: Header=BB187_819 Depth=1
	s_or_b32 exec_lo, exec_lo, s19
	s_delay_alu instid0(VALU_DEP_1) | instskip(SKIP_1) | instid1(VALU_DEP_2)
	v_dual_lshlrev_b32 v9, 24, v15 :: v_dual_lshlrev_b32 v15, 20, v112
	v_lshl_add_u32 v8, v8, 23, 0x3c000000
	v_and_b32_e32 v9, 0x80000000, v9
	s_delay_alu instid0(VALU_DEP_1) | instskip(NEXT) | instid1(VALU_DEP_1)
	v_or3_b32 v112, v15, v9, v8
	v_mov_b64_e32 v[8:9], v[112:113]
.LBB187_978:                            ;   in Loop: Header=BB187_819 Depth=1
	s_or_b32 exec_lo, exec_lo, s18
.LBB187_979:                            ;   in Loop: Header=BB187_819 Depth=1
	s_delay_alu instid0(SALU_CYCLE_1)
	s_or_b32 exec_lo, exec_lo, s17
.LBB187_980:                            ;   in Loop: Header=BB187_819 Depth=1
	s_delay_alu instid0(SALU_CYCLE_1) | instskip(NEXT) | instid1(SALU_CYCLE_1)
	s_or_b32 exec_lo, exec_lo, s16
	s_mov_b32 s16, exec_lo
	v_cmpx_lt_u32_e32 0xffffff, v14
	s_cbranch_execz .LBB187_988
; %bb.981:                              ;   in Loop: Header=BB187_819 Depth=1
	v_mov_b64_e32 v[12:13], 0x8000000000000000
	v_lshrrev_b32_e32 v15, 24, v14
	s_mov_b32 s17, exec_lo
	s_delay_alu instid0(VALU_DEP_1)
	v_cmpx_ne_u32_e32 0x80, v15
	s_cbranch_execz .LBB187_987
; %bb.982:                              ;   in Loop: Header=BB187_819 Depth=1
	v_mov_b64_e32 v[12:13], 0x7f80000100000000
	v_bfe_u32 v14, v14, 24, 7
	s_mov_b32 s18, exec_lo
	s_delay_alu instid0(VALU_DEP_1)
	v_cmpx_ne_u32_e32 0x7f, v14
	s_cbranch_execz .LBB187_986
; %bb.983:                              ;   in Loop: Header=BB187_819 Depth=1
	v_dual_lshrrev_b32 v12, 3, v14 :: v_dual_bitop2_b32 v112, 7, v15 bitop3:0x40
	s_mov_b32 s19, exec_lo
	v_cmpx_gt_u32_e32 8, v14
; %bb.984:                              ;   in Loop: Header=BB187_819 Depth=1
	s_delay_alu instid0(VALU_DEP_2) | instskip(NEXT) | instid1(VALU_DEP_1)
	v_clz_i32_u32_e32 v12, v112
	v_min_u32_e32 v12, 32, v12
	s_delay_alu instid0(VALU_DEP_1) | instskip(SKIP_1) | instid1(VALU_DEP_2)
	v_subrev_nc_u32_e32 v13, 28, v12
	v_sub_nc_u32_e32 v12, 29, v12
	v_lshlrev_b64_e32 v[16:17], v13, v[112:113]
	s_delay_alu instid0(VALU_DEP_1)
	v_and_b32_e32 v112, 7, v16
; %bb.985:                              ;   in Loop: Header=BB187_819 Depth=1
	s_or_b32 exec_lo, exec_lo, s19
	s_delay_alu instid0(VALU_DEP_1) | instskip(SKIP_1) | instid1(VALU_DEP_2)
	v_dual_lshlrev_b32 v13, 24, v15 :: v_dual_lshlrev_b32 v14, 20, v112
	v_lshl_add_u32 v12, v12, 23, 0x3c000000
	v_and_b32_e32 v13, 0x80000000, v13
	s_delay_alu instid0(VALU_DEP_1)
	v_or3_b32 v13, v14, v13, v12
	v_mov_b32_e32 v12, v113
.LBB187_986:                            ;   in Loop: Header=BB187_819 Depth=1
	s_or_b32 exec_lo, exec_lo, s18
.LBB187_987:                            ;   in Loop: Header=BB187_819 Depth=1
	s_delay_alu instid0(SALU_CYCLE_1)
	s_or_b32 exec_lo, exec_lo, s17
.LBB187_988:                            ;   in Loop: Header=BB187_819 Depth=1
	s_delay_alu instid0(SALU_CYCLE_1) | instskip(SKIP_4) | instid1(VALU_DEP_3)
	s_or_b32 exec_lo, exec_lo, s16
	v_or_b32_e32 v1, v1, v7
	v_or_b32_e32 v0, v0, v6
	;; [unrolled: 1-line block ×4, first 2 shown]
	v_pk_mul_f32 v[98:99], v[54:55], v[0:1]
	s_delay_alu instid0(VALU_DEP_2)
	v_pk_mul_f32 v[0:1], v[54:55], v[6:7]
	s_and_saveexec_b32 s16, vcc_lo
	s_cbranch_execz .LBB187_990
; %bb.989:                              ;   in Loop: Header=BB187_819 Depth=1
	v_cmp_lt_i32_e64 s0, v29, v100
	s_delay_alu instid0(VALU_DEP_1) | instskip(SKIP_1) | instid1(VALU_DEP_1)
	v_cndmask_b32_e64 v98, 0, v98, s0
	v_cmp_lt_i32_e64 s0, v33, v100
	v_cndmask_b32_e64 v99, 0, v99, s0
	v_cmp_lt_i32_e64 s0, v35, v100
	s_delay_alu instid0(VALU_DEP_1) | instskip(SKIP_1) | instid1(VALU_DEP_1)
	v_cndmask_b32_e64 v0, 0, v0, s0
	v_cmp_lt_i32_e64 s0, v34, v100
	v_cndmask_b32_e64 v1, 0, v1, s0
.LBB187_990:                            ;   in Loop: Header=BB187_819 Depth=1
	s_or_b32 exec_lo, exec_lo, s16
	flat_load_b32 v16, v[68:69] offset:640
	v_mov_b64_e32 v[6:7], 0
	v_mov_b64_e32 v[12:13], 0
	s_mov_b32 s16, exec_lo
	s_wait_loadcnt_dscnt 0x0
	v_and_b32_e32 v8, 0xff, v16
	s_wait_xcnt 0x0
	s_delay_alu instid0(VALU_DEP_1)
	v_cmpx_ne_u16_e32 0, v8
	s_cbranch_execz .LBB187_998
; %bb.991:                              ;   in Loop: Header=BB187_819 Depth=1
	v_mov_b64_e32 v[12:13], 0x80000000
	s_mov_b32 s17, exec_lo
	v_cmpx_ne_u16_e32 0x80, v8
	s_cbranch_execz .LBB187_997
; %bb.992:                              ;   in Loop: Header=BB187_819 Depth=1
	v_mov_b64_e32 v[12:13], 0x7f800001
	v_and_b32_e32 v9, 0x7f, v16
	s_mov_b32 s18, exec_lo
	s_delay_alu instid0(VALU_DEP_1)
	v_cmpx_ne_u32_e32 0x7f, v9
	s_cbranch_execz .LBB187_996
; %bb.993:                              ;   in Loop: Header=BB187_819 Depth=1
	v_dual_lshrrev_b32 v8, 3, v9 :: v_dual_bitop2_b32 v112, 7, v16 bitop3:0x40
	s_mov_b32 s19, exec_lo
	v_cmpx_gt_u32_e32 8, v9
; %bb.994:                              ;   in Loop: Header=BB187_819 Depth=1
	s_delay_alu instid0(VALU_DEP_2) | instskip(NEXT) | instid1(VALU_DEP_1)
	v_clz_i32_u32_e32 v8, v112
	v_min_u32_e32 v8, 32, v8
	s_delay_alu instid0(VALU_DEP_1) | instskip(SKIP_1) | instid1(VALU_DEP_2)
	v_subrev_nc_u32_e32 v9, 28, v8
	v_sub_nc_u32_e32 v8, 29, v8
	v_lshlrev_b64_e32 v[12:13], v9, v[112:113]
	s_delay_alu instid0(VALU_DEP_1)
	v_and_b32_e32 v112, 7, v12
; %bb.995:                              ;   in Loop: Header=BB187_819 Depth=1
	s_or_b32 exec_lo, exec_lo, s19
	v_lshlrev_b32_e32 v9, 24, v16
	s_delay_alu instid0(VALU_DEP_2) | instskip(SKIP_1) | instid1(VALU_DEP_3)
	v_lshlrev_b32_e32 v12, 20, v112
	v_lshl_add_u32 v8, v8, 23, 0x3c000000
	v_and_b32_e32 v9, 0x80000000, v9
	s_delay_alu instid0(VALU_DEP_1) | instskip(NEXT) | instid1(VALU_DEP_1)
	v_or3_b32 v112, v12, v9, v8
	v_mov_b64_e32 v[12:13], v[112:113]
.LBB187_996:                            ;   in Loop: Header=BB187_819 Depth=1
	s_or_b32 exec_lo, exec_lo, s18
.LBB187_997:                            ;   in Loop: Header=BB187_819 Depth=1
	s_delay_alu instid0(SALU_CYCLE_1)
	s_or_b32 exec_lo, exec_lo, s17
.LBB187_998:                            ;   in Loop: Header=BB187_819 Depth=1
	s_delay_alu instid0(SALU_CYCLE_1) | instskip(SKIP_2) | instid1(VALU_DEP_1)
	s_or_b32 exec_lo, exec_lo, s16
	v_lshrrev_b16 v8, 8, v16
	s_mov_b32 s16, exec_lo
	v_cmpx_ne_u16_e32 0, v8
	s_cbranch_execz .LBB187_1006
; %bb.999:                              ;   in Loop: Header=BB187_819 Depth=1
	v_mov_b64_e32 v[6:7], 0x8000000000000000
	s_mov_b32 s17, exec_lo
	v_cmpx_ne_u16_e32 0x80, v8
	s_cbranch_execz .LBB187_1005
; %bb.1000:                             ;   in Loop: Header=BB187_819 Depth=1
	v_and_b32_e32 v9, 0xffff, v8
	v_mov_b64_e32 v[6:7], 0x7f80000100000000
	s_mov_b32 s18, exec_lo
	s_delay_alu instid0(VALU_DEP_2) | instskip(NEXT) | instid1(VALU_DEP_1)
	v_and_b32_e32 v8, 0x7f, v9
	v_cmpx_ne_u32_e32 0x7f, v8
	s_cbranch_execz .LBB187_1004
; %bb.1001:                             ;   in Loop: Header=BB187_819 Depth=1
	v_dual_lshrrev_b32 v6, 3, v8 :: v_dual_bitop2_b32 v112, 7, v9 bitop3:0x40
	s_mov_b32 s19, exec_lo
	v_cmpx_gt_u32_e32 8, v8
; %bb.1002:                             ;   in Loop: Header=BB187_819 Depth=1
	s_delay_alu instid0(VALU_DEP_2) | instskip(NEXT) | instid1(VALU_DEP_1)
	v_clz_i32_u32_e32 v6, v112
	v_min_u32_e32 v6, 32, v6
	s_delay_alu instid0(VALU_DEP_1) | instskip(NEXT) | instid1(VALU_DEP_1)
	v_subrev_nc_u32_e32 v7, 28, v6
	v_lshlrev_b64_e32 v[8:9], v7, v[112:113]
	s_delay_alu instid0(VALU_DEP_1)
	v_dual_sub_nc_u32 v6, 29, v6 :: v_dual_bitop2_b32 v112, 7, v8 bitop3:0x40
; %bb.1003:                             ;   in Loop: Header=BB187_819 Depth=1
	s_or_b32 exec_lo, exec_lo, s19
	v_lshlrev_b32_e32 v7, 16, v16
	s_delay_alu instid0(VALU_DEP_2) | instskip(NEXT) | instid1(VALU_DEP_3)
	v_lshlrev_b32_e32 v8, 20, v112
	v_lshl_add_u32 v6, v6, 23, 0x3c000000
	s_delay_alu instid0(VALU_DEP_3) | instskip(NEXT) | instid1(VALU_DEP_1)
	v_and_b32_e32 v7, 0x80000000, v7
	v_or3_b32 v7, v8, v7, v6
	v_mov_b32_e32 v6, v113
.LBB187_1004:                           ;   in Loop: Header=BB187_819 Depth=1
	s_or_b32 exec_lo, exec_lo, s18
.LBB187_1005:                           ;   in Loop: Header=BB187_819 Depth=1
	s_delay_alu instid0(SALU_CYCLE_1)
	s_or_b32 exec_lo, exec_lo, s17
.LBB187_1006:                           ;   in Loop: Header=BB187_819 Depth=1
	s_delay_alu instid0(SALU_CYCLE_1) | instskip(SKIP_4) | instid1(VALU_DEP_3)
	s_or_b32 exec_lo, exec_lo, s16
	v_lshrrev_b32_e32 v17, 16, v16
	v_mov_b64_e32 v[14:15], 0
	v_mov_b64_e32 v[8:9], 0
	s_mov_b32 s16, exec_lo
	v_and_b32_e32 v18, 0xff, v17
	s_delay_alu instid0(VALU_DEP_1)
	v_cmpx_ne_u16_e32 0, v18
	s_cbranch_execz .LBB187_1014
; %bb.1007:                             ;   in Loop: Header=BB187_819 Depth=1
	v_mov_b64_e32 v[8:9], 0x80000000
	s_mov_b32 s17, exec_lo
	v_cmpx_ne_u16_e32 0x80, v18
	s_cbranch_execz .LBB187_1013
; %bb.1008:                             ;   in Loop: Header=BB187_819 Depth=1
	v_mov_b64_e32 v[8:9], 0x7f800001
	v_bfe_u32 v18, v16, 16, 7
	s_mov_b32 s18, exec_lo
	s_delay_alu instid0(VALU_DEP_1)
	v_cmpx_ne_u32_e32 0x7f, v18
	s_cbranch_execz .LBB187_1012
; %bb.1009:                             ;   in Loop: Header=BB187_819 Depth=1
	v_dual_lshrrev_b32 v8, 3, v18 :: v_dual_bitop2_b32 v112, 7, v17 bitop3:0x40
	s_mov_b32 s19, exec_lo
	v_cmpx_gt_u32_e32 8, v18
; %bb.1010:                             ;   in Loop: Header=BB187_819 Depth=1
	s_delay_alu instid0(VALU_DEP_2) | instskip(NEXT) | instid1(VALU_DEP_1)
	v_clz_i32_u32_e32 v8, v112
	v_min_u32_e32 v8, 32, v8
	s_delay_alu instid0(VALU_DEP_1) | instskip(NEXT) | instid1(VALU_DEP_1)
	v_subrev_nc_u32_e32 v9, 28, v8
	v_lshlrev_b64_e32 v[18:19], v9, v[112:113]
	s_delay_alu instid0(VALU_DEP_1)
	v_dual_sub_nc_u32 v8, 29, v8 :: v_dual_bitop2_b32 v112, 7, v18 bitop3:0x40
; %bb.1011:                             ;   in Loop: Header=BB187_819 Depth=1
	s_or_b32 exec_lo, exec_lo, s19
	s_delay_alu instid0(VALU_DEP_1) | instskip(NEXT) | instid1(VALU_DEP_2)
	v_dual_lshlrev_b32 v9, 24, v17 :: v_dual_lshlrev_b32 v17, 20, v112
	v_lshl_add_u32 v8, v8, 23, 0x3c000000
	s_delay_alu instid0(VALU_DEP_2) | instskip(NEXT) | instid1(VALU_DEP_1)
	v_and_b32_e32 v9, 0x80000000, v9
	v_or3_b32 v112, v17, v9, v8
	s_delay_alu instid0(VALU_DEP_1)
	v_mov_b64_e32 v[8:9], v[112:113]
.LBB187_1012:                           ;   in Loop: Header=BB187_819 Depth=1
	s_or_b32 exec_lo, exec_lo, s18
.LBB187_1013:                           ;   in Loop: Header=BB187_819 Depth=1
	s_delay_alu instid0(SALU_CYCLE_1)
	s_or_b32 exec_lo, exec_lo, s17
.LBB187_1014:                           ;   in Loop: Header=BB187_819 Depth=1
	s_delay_alu instid0(SALU_CYCLE_1) | instskip(NEXT) | instid1(SALU_CYCLE_1)
	s_or_b32 exec_lo, exec_lo, s16
	s_mov_b32 s16, exec_lo
	v_cmpx_lt_u32_e32 0xffffff, v16
	s_cbranch_execz .LBB187_1022
; %bb.1015:                             ;   in Loop: Header=BB187_819 Depth=1
	v_mov_b64_e32 v[14:15], 0x8000000000000000
	v_lshrrev_b32_e32 v17, 24, v16
	s_mov_b32 s17, exec_lo
	s_delay_alu instid0(VALU_DEP_1)
	v_cmpx_ne_u32_e32 0x80, v17
	s_cbranch_execz .LBB187_1021
; %bb.1016:                             ;   in Loop: Header=BB187_819 Depth=1
	v_mov_b64_e32 v[14:15], 0x7f80000100000000
	v_bfe_u32 v16, v16, 24, 7
	s_mov_b32 s18, exec_lo
	s_delay_alu instid0(VALU_DEP_1)
	v_cmpx_ne_u32_e32 0x7f, v16
	s_cbranch_execz .LBB187_1020
; %bb.1017:                             ;   in Loop: Header=BB187_819 Depth=1
	v_dual_lshrrev_b32 v14, 3, v16 :: v_dual_bitop2_b32 v112, 7, v17 bitop3:0x40
	s_mov_b32 s19, exec_lo
	v_cmpx_gt_u32_e32 8, v16
; %bb.1018:                             ;   in Loop: Header=BB187_819 Depth=1
	s_delay_alu instid0(VALU_DEP_2) | instskip(NEXT) | instid1(VALU_DEP_1)
	v_clz_i32_u32_e32 v14, v112
	v_min_u32_e32 v14, 32, v14
	s_delay_alu instid0(VALU_DEP_1) | instskip(SKIP_1) | instid1(VALU_DEP_2)
	v_subrev_nc_u32_e32 v15, 28, v14
	v_sub_nc_u32_e32 v14, 29, v14
	v_lshlrev_b64_e32 v[18:19], v15, v[112:113]
	s_delay_alu instid0(VALU_DEP_1)
	v_and_b32_e32 v112, 7, v18
; %bb.1019:                             ;   in Loop: Header=BB187_819 Depth=1
	s_or_b32 exec_lo, exec_lo, s19
	s_delay_alu instid0(VALU_DEP_1) | instskip(SKIP_1) | instid1(VALU_DEP_2)
	v_dual_lshlrev_b32 v15, 24, v17 :: v_dual_lshlrev_b32 v16, 20, v112
	v_lshl_add_u32 v14, v14, 23, 0x3c000000
	v_and_b32_e32 v15, 0x80000000, v15
	s_delay_alu instid0(VALU_DEP_1)
	v_or3_b32 v15, v16, v15, v14
	v_mov_b32_e32 v14, v113
.LBB187_1020:                           ;   in Loop: Header=BB187_819 Depth=1
	s_or_b32 exec_lo, exec_lo, s18
.LBB187_1021:                           ;   in Loop: Header=BB187_819 Depth=1
	s_delay_alu instid0(SALU_CYCLE_1)
	s_or_b32 exec_lo, exec_lo, s17
.LBB187_1022:                           ;   in Loop: Header=BB187_819 Depth=1
	s_delay_alu instid0(SALU_CYCLE_1) | instskip(SKIP_4) | instid1(VALU_DEP_3)
	s_or_b32 exec_lo, exec_lo, s16
	v_or_b32_e32 v7, v7, v13
	v_or_b32_e32 v6, v6, v12
	;; [unrolled: 1-line block ×4, first 2 shown]
	v_pk_mul_f32 v[114:115], v[54:55], v[6:7]
	s_delay_alu instid0(VALU_DEP_2)
	v_pk_mul_f32 v[20:21], v[54:55], v[8:9]
	s_and_saveexec_b32 s16, vcc_lo
	s_cbranch_execz .LBB187_1024
; %bb.1023:                             ;   in Loop: Header=BB187_819 Depth=1
	v_cmp_lt_i32_e64 s0, v29, v100
	s_delay_alu instid0(VALU_DEP_1) | instskip(SKIP_1) | instid1(VALU_DEP_1)
	v_cndmask_b32_e64 v114, 0, v114, s0
	v_cmp_lt_i32_e64 s0, v33, v100
	v_cndmask_b32_e64 v115, 0, v115, s0
	v_cmp_lt_i32_e64 s0, v35, v100
	s_delay_alu instid0(VALU_DEP_1) | instskip(SKIP_1) | instid1(VALU_DEP_1)
	v_cndmask_b32_e64 v20, 0, v20, s0
	v_cmp_lt_i32_e64 s0, v34, v100
	v_cndmask_b32_e64 v21, 0, v21, s0
.LBB187_1024:                           ;   in Loop: Header=BB187_819 Depth=1
	s_or_b32 exec_lo, exec_lo, s16
	flat_load_b32 v16, v[68:69] offset:768
	v_mov_b64_e32 v[6:7], 0
	v_mov_b64_e32 v[12:13], 0
	s_mov_b32 s16, exec_lo
	s_wait_loadcnt_dscnt 0x0
	v_and_b32_e32 v8, 0xff, v16
	s_wait_xcnt 0x0
	s_delay_alu instid0(VALU_DEP_1)
	v_cmpx_ne_u16_e32 0, v8
	s_cbranch_execz .LBB187_1032
; %bb.1025:                             ;   in Loop: Header=BB187_819 Depth=1
	v_mov_b64_e32 v[12:13], 0x80000000
	s_mov_b32 s17, exec_lo
	v_cmpx_ne_u16_e32 0x80, v8
	s_cbranch_execz .LBB187_1031
; %bb.1026:                             ;   in Loop: Header=BB187_819 Depth=1
	v_mov_b64_e32 v[12:13], 0x7f800001
	v_and_b32_e32 v9, 0x7f, v16
	s_mov_b32 s18, exec_lo
	s_delay_alu instid0(VALU_DEP_1)
	v_cmpx_ne_u32_e32 0x7f, v9
	s_cbranch_execz .LBB187_1030
; %bb.1027:                             ;   in Loop: Header=BB187_819 Depth=1
	v_dual_lshrrev_b32 v8, 3, v9 :: v_dual_bitop2_b32 v112, 7, v16 bitop3:0x40
	s_mov_b32 s19, exec_lo
	v_cmpx_gt_u32_e32 8, v9
; %bb.1028:                             ;   in Loop: Header=BB187_819 Depth=1
	s_delay_alu instid0(VALU_DEP_2) | instskip(NEXT) | instid1(VALU_DEP_1)
	v_clz_i32_u32_e32 v8, v112
	v_min_u32_e32 v8, 32, v8
	s_delay_alu instid0(VALU_DEP_1) | instskip(SKIP_1) | instid1(VALU_DEP_2)
	v_subrev_nc_u32_e32 v9, 28, v8
	v_sub_nc_u32_e32 v8, 29, v8
	v_lshlrev_b64_e32 v[12:13], v9, v[112:113]
	s_delay_alu instid0(VALU_DEP_1)
	v_and_b32_e32 v112, 7, v12
; %bb.1029:                             ;   in Loop: Header=BB187_819 Depth=1
	s_or_b32 exec_lo, exec_lo, s19
	v_lshlrev_b32_e32 v9, 24, v16
	s_delay_alu instid0(VALU_DEP_2) | instskip(SKIP_1) | instid1(VALU_DEP_3)
	v_lshlrev_b32_e32 v12, 20, v112
	v_lshl_add_u32 v8, v8, 23, 0x3c000000
	v_and_b32_e32 v9, 0x80000000, v9
	s_delay_alu instid0(VALU_DEP_1) | instskip(NEXT) | instid1(VALU_DEP_1)
	v_or3_b32 v112, v12, v9, v8
	v_mov_b64_e32 v[12:13], v[112:113]
.LBB187_1030:                           ;   in Loop: Header=BB187_819 Depth=1
	s_or_b32 exec_lo, exec_lo, s18
.LBB187_1031:                           ;   in Loop: Header=BB187_819 Depth=1
	s_delay_alu instid0(SALU_CYCLE_1)
	s_or_b32 exec_lo, exec_lo, s17
.LBB187_1032:                           ;   in Loop: Header=BB187_819 Depth=1
	s_delay_alu instid0(SALU_CYCLE_1) | instskip(SKIP_2) | instid1(VALU_DEP_1)
	s_or_b32 exec_lo, exec_lo, s16
	v_lshrrev_b16 v8, 8, v16
	s_mov_b32 s16, exec_lo
	v_cmpx_ne_u16_e32 0, v8
	s_cbranch_execz .LBB187_1040
; %bb.1033:                             ;   in Loop: Header=BB187_819 Depth=1
	v_mov_b64_e32 v[6:7], 0x8000000000000000
	s_mov_b32 s17, exec_lo
	v_cmpx_ne_u16_e32 0x80, v8
	s_cbranch_execz .LBB187_1039
; %bb.1034:                             ;   in Loop: Header=BB187_819 Depth=1
	v_and_b32_e32 v9, 0xffff, v8
	v_mov_b64_e32 v[6:7], 0x7f80000100000000
	s_mov_b32 s18, exec_lo
	s_delay_alu instid0(VALU_DEP_2) | instskip(NEXT) | instid1(VALU_DEP_1)
	v_and_b32_e32 v8, 0x7f, v9
	v_cmpx_ne_u32_e32 0x7f, v8
	s_cbranch_execz .LBB187_1038
; %bb.1035:                             ;   in Loop: Header=BB187_819 Depth=1
	v_dual_lshrrev_b32 v6, 3, v8 :: v_dual_bitop2_b32 v112, 7, v9 bitop3:0x40
	s_mov_b32 s19, exec_lo
	v_cmpx_gt_u32_e32 8, v8
; %bb.1036:                             ;   in Loop: Header=BB187_819 Depth=1
	s_delay_alu instid0(VALU_DEP_2) | instskip(NEXT) | instid1(VALU_DEP_1)
	v_clz_i32_u32_e32 v6, v112
	v_min_u32_e32 v6, 32, v6
	s_delay_alu instid0(VALU_DEP_1) | instskip(NEXT) | instid1(VALU_DEP_1)
	v_subrev_nc_u32_e32 v7, 28, v6
	v_lshlrev_b64_e32 v[8:9], v7, v[112:113]
	s_delay_alu instid0(VALU_DEP_1)
	v_dual_sub_nc_u32 v6, 29, v6 :: v_dual_bitop2_b32 v112, 7, v8 bitop3:0x40
; %bb.1037:                             ;   in Loop: Header=BB187_819 Depth=1
	s_or_b32 exec_lo, exec_lo, s19
	v_lshlrev_b32_e32 v7, 16, v16
	s_delay_alu instid0(VALU_DEP_2) | instskip(NEXT) | instid1(VALU_DEP_3)
	v_lshlrev_b32_e32 v8, 20, v112
	v_lshl_add_u32 v6, v6, 23, 0x3c000000
	s_delay_alu instid0(VALU_DEP_3) | instskip(NEXT) | instid1(VALU_DEP_1)
	v_and_b32_e32 v7, 0x80000000, v7
	v_or3_b32 v7, v8, v7, v6
	v_mov_b32_e32 v6, v113
.LBB187_1038:                           ;   in Loop: Header=BB187_819 Depth=1
	s_or_b32 exec_lo, exec_lo, s18
.LBB187_1039:                           ;   in Loop: Header=BB187_819 Depth=1
	s_delay_alu instid0(SALU_CYCLE_1)
	s_or_b32 exec_lo, exec_lo, s17
.LBB187_1040:                           ;   in Loop: Header=BB187_819 Depth=1
	s_delay_alu instid0(SALU_CYCLE_1) | instskip(SKIP_4) | instid1(VALU_DEP_3)
	s_or_b32 exec_lo, exec_lo, s16
	v_lshrrev_b32_e32 v17, 16, v16
	v_mov_b64_e32 v[14:15], 0
	v_mov_b64_e32 v[8:9], 0
	s_mov_b32 s16, exec_lo
	v_and_b32_e32 v18, 0xff, v17
	s_delay_alu instid0(VALU_DEP_1)
	v_cmpx_ne_u16_e32 0, v18
	s_cbranch_execz .LBB187_1048
; %bb.1041:                             ;   in Loop: Header=BB187_819 Depth=1
	v_mov_b64_e32 v[8:9], 0x80000000
	s_mov_b32 s17, exec_lo
	v_cmpx_ne_u16_e32 0x80, v18
	s_cbranch_execz .LBB187_1047
; %bb.1042:                             ;   in Loop: Header=BB187_819 Depth=1
	v_mov_b64_e32 v[8:9], 0x7f800001
	v_bfe_u32 v18, v16, 16, 7
	s_mov_b32 s18, exec_lo
	s_delay_alu instid0(VALU_DEP_1)
	v_cmpx_ne_u32_e32 0x7f, v18
	s_cbranch_execz .LBB187_1046
; %bb.1043:                             ;   in Loop: Header=BB187_819 Depth=1
	v_dual_lshrrev_b32 v8, 3, v18 :: v_dual_bitop2_b32 v112, 7, v17 bitop3:0x40
	s_mov_b32 s19, exec_lo
	v_cmpx_gt_u32_e32 8, v18
; %bb.1044:                             ;   in Loop: Header=BB187_819 Depth=1
	s_delay_alu instid0(VALU_DEP_2) | instskip(NEXT) | instid1(VALU_DEP_1)
	v_clz_i32_u32_e32 v8, v112
	v_min_u32_e32 v8, 32, v8
	s_delay_alu instid0(VALU_DEP_1) | instskip(NEXT) | instid1(VALU_DEP_1)
	v_subrev_nc_u32_e32 v9, 28, v8
	v_lshlrev_b64_e32 v[18:19], v9, v[112:113]
	s_delay_alu instid0(VALU_DEP_1)
	v_dual_sub_nc_u32 v8, 29, v8 :: v_dual_bitop2_b32 v112, 7, v18 bitop3:0x40
; %bb.1045:                             ;   in Loop: Header=BB187_819 Depth=1
	s_or_b32 exec_lo, exec_lo, s19
	s_delay_alu instid0(VALU_DEP_1) | instskip(NEXT) | instid1(VALU_DEP_2)
	v_dual_lshlrev_b32 v9, 24, v17 :: v_dual_lshlrev_b32 v17, 20, v112
	v_lshl_add_u32 v8, v8, 23, 0x3c000000
	s_delay_alu instid0(VALU_DEP_2) | instskip(NEXT) | instid1(VALU_DEP_1)
	v_and_b32_e32 v9, 0x80000000, v9
	v_or3_b32 v112, v17, v9, v8
	s_delay_alu instid0(VALU_DEP_1)
	v_mov_b64_e32 v[8:9], v[112:113]
.LBB187_1046:                           ;   in Loop: Header=BB187_819 Depth=1
	s_or_b32 exec_lo, exec_lo, s18
.LBB187_1047:                           ;   in Loop: Header=BB187_819 Depth=1
	s_delay_alu instid0(SALU_CYCLE_1)
	s_or_b32 exec_lo, exec_lo, s17
.LBB187_1048:                           ;   in Loop: Header=BB187_819 Depth=1
	s_delay_alu instid0(SALU_CYCLE_1) | instskip(NEXT) | instid1(SALU_CYCLE_1)
	s_or_b32 exec_lo, exec_lo, s16
	s_mov_b32 s16, exec_lo
	v_cmpx_lt_u32_e32 0xffffff, v16
	s_cbranch_execz .LBB187_1056
; %bb.1049:                             ;   in Loop: Header=BB187_819 Depth=1
	v_mov_b64_e32 v[14:15], 0x8000000000000000
	v_lshrrev_b32_e32 v17, 24, v16
	s_mov_b32 s17, exec_lo
	s_delay_alu instid0(VALU_DEP_1)
	v_cmpx_ne_u32_e32 0x80, v17
	s_cbranch_execz .LBB187_1055
; %bb.1050:                             ;   in Loop: Header=BB187_819 Depth=1
	v_mov_b64_e32 v[14:15], 0x7f80000100000000
	v_bfe_u32 v16, v16, 24, 7
	s_mov_b32 s18, exec_lo
	s_delay_alu instid0(VALU_DEP_1)
	v_cmpx_ne_u32_e32 0x7f, v16
	s_cbranch_execz .LBB187_1054
; %bb.1051:                             ;   in Loop: Header=BB187_819 Depth=1
	v_dual_lshrrev_b32 v14, 3, v16 :: v_dual_bitop2_b32 v112, 7, v17 bitop3:0x40
	s_mov_b32 s19, exec_lo
	v_cmpx_gt_u32_e32 8, v16
; %bb.1052:                             ;   in Loop: Header=BB187_819 Depth=1
	s_delay_alu instid0(VALU_DEP_2) | instskip(NEXT) | instid1(VALU_DEP_1)
	v_clz_i32_u32_e32 v14, v112
	v_min_u32_e32 v14, 32, v14
	s_delay_alu instid0(VALU_DEP_1) | instskip(SKIP_1) | instid1(VALU_DEP_2)
	v_subrev_nc_u32_e32 v15, 28, v14
	v_sub_nc_u32_e32 v14, 29, v14
	v_lshlrev_b64_e32 v[18:19], v15, v[112:113]
	s_delay_alu instid0(VALU_DEP_1)
	v_and_b32_e32 v112, 7, v18
; %bb.1053:                             ;   in Loop: Header=BB187_819 Depth=1
	s_or_b32 exec_lo, exec_lo, s19
	s_delay_alu instid0(VALU_DEP_1) | instskip(SKIP_1) | instid1(VALU_DEP_2)
	v_dual_lshlrev_b32 v15, 24, v17 :: v_dual_lshlrev_b32 v16, 20, v112
	v_lshl_add_u32 v14, v14, 23, 0x3c000000
	v_and_b32_e32 v15, 0x80000000, v15
	s_delay_alu instid0(VALU_DEP_1)
	v_or3_b32 v15, v16, v15, v14
	v_mov_b32_e32 v14, v113
.LBB187_1054:                           ;   in Loop: Header=BB187_819 Depth=1
	s_or_b32 exec_lo, exec_lo, s18
.LBB187_1055:                           ;   in Loop: Header=BB187_819 Depth=1
	s_delay_alu instid0(SALU_CYCLE_1)
	s_or_b32 exec_lo, exec_lo, s17
.LBB187_1056:                           ;   in Loop: Header=BB187_819 Depth=1
	s_delay_alu instid0(SALU_CYCLE_1) | instskip(SKIP_4) | instid1(VALU_DEP_3)
	s_or_b32 exec_lo, exec_lo, s16
	v_or_b32_e32 v7, v7, v13
	v_or_b32_e32 v6, v6, v12
	;; [unrolled: 1-line block ×4, first 2 shown]
	v_pk_mul_f32 v[22:23], v[54:55], v[6:7]
	s_delay_alu instid0(VALU_DEP_2)
	v_pk_mul_f32 v[18:19], v[54:55], v[8:9]
	s_and_saveexec_b32 s16, vcc_lo
	s_cbranch_execz .LBB187_1058
; %bb.1057:                             ;   in Loop: Header=BB187_819 Depth=1
	v_cmp_lt_i32_e64 s0, v29, v100
	s_delay_alu instid0(VALU_DEP_1) | instskip(SKIP_1) | instid1(VALU_DEP_1)
	v_cndmask_b32_e64 v22, 0, v22, s0
	v_cmp_lt_i32_e64 s0, v33, v100
	v_cndmask_b32_e64 v23, 0, v23, s0
	v_cmp_lt_i32_e64 s0, v35, v100
	s_delay_alu instid0(VALU_DEP_1) | instskip(SKIP_1) | instid1(VALU_DEP_1)
	v_cndmask_b32_e64 v18, 0, v18, s0
	v_cmp_lt_i32_e64 s0, v34, v100
	v_cndmask_b32_e64 v19, 0, v19, s0
.LBB187_1058:                           ;   in Loop: Header=BB187_819 Depth=1
	s_or_b32 exec_lo, exec_lo, s16
	flat_load_b32 v16, v[68:69] offset:896
	v_mov_b64_e32 v[6:7], 0
	v_mov_b64_e32 v[12:13], 0
	s_mov_b32 s16, exec_lo
	s_wait_loadcnt_dscnt 0x0
	v_and_b32_e32 v8, 0xff, v16
	s_wait_xcnt 0x0
	s_delay_alu instid0(VALU_DEP_1)
	v_cmpx_ne_u16_e32 0, v8
	s_cbranch_execz .LBB187_1066
; %bb.1059:                             ;   in Loop: Header=BB187_819 Depth=1
	v_mov_b64_e32 v[12:13], 0x80000000
	s_mov_b32 s17, exec_lo
	v_cmpx_ne_u16_e32 0x80, v8
	s_cbranch_execz .LBB187_1065
; %bb.1060:                             ;   in Loop: Header=BB187_819 Depth=1
	v_mov_b64_e32 v[12:13], 0x7f800001
	v_and_b32_e32 v9, 0x7f, v16
	s_mov_b32 s18, exec_lo
	s_delay_alu instid0(VALU_DEP_1)
	v_cmpx_ne_u32_e32 0x7f, v9
	s_cbranch_execz .LBB187_1064
; %bb.1061:                             ;   in Loop: Header=BB187_819 Depth=1
	v_dual_lshrrev_b32 v8, 3, v9 :: v_dual_bitop2_b32 v112, 7, v16 bitop3:0x40
	s_mov_b32 s19, exec_lo
	v_cmpx_gt_u32_e32 8, v9
; %bb.1062:                             ;   in Loop: Header=BB187_819 Depth=1
	s_delay_alu instid0(VALU_DEP_2) | instskip(NEXT) | instid1(VALU_DEP_1)
	v_clz_i32_u32_e32 v8, v112
	v_min_u32_e32 v8, 32, v8
	s_delay_alu instid0(VALU_DEP_1) | instskip(SKIP_1) | instid1(VALU_DEP_2)
	v_subrev_nc_u32_e32 v9, 28, v8
	v_sub_nc_u32_e32 v8, 29, v8
	v_lshlrev_b64_e32 v[12:13], v9, v[112:113]
	s_delay_alu instid0(VALU_DEP_1)
	v_and_b32_e32 v112, 7, v12
; %bb.1063:                             ;   in Loop: Header=BB187_819 Depth=1
	s_or_b32 exec_lo, exec_lo, s19
	v_lshlrev_b32_e32 v9, 24, v16
	s_delay_alu instid0(VALU_DEP_2) | instskip(SKIP_1) | instid1(VALU_DEP_3)
	v_lshlrev_b32_e32 v12, 20, v112
	v_lshl_add_u32 v8, v8, 23, 0x3c000000
	v_and_b32_e32 v9, 0x80000000, v9
	s_delay_alu instid0(VALU_DEP_1) | instskip(NEXT) | instid1(VALU_DEP_1)
	v_or3_b32 v112, v12, v9, v8
	v_mov_b64_e32 v[12:13], v[112:113]
.LBB187_1064:                           ;   in Loop: Header=BB187_819 Depth=1
	s_or_b32 exec_lo, exec_lo, s18
.LBB187_1065:                           ;   in Loop: Header=BB187_819 Depth=1
	s_delay_alu instid0(SALU_CYCLE_1)
	s_or_b32 exec_lo, exec_lo, s17
.LBB187_1066:                           ;   in Loop: Header=BB187_819 Depth=1
	s_delay_alu instid0(SALU_CYCLE_1) | instskip(SKIP_2) | instid1(VALU_DEP_1)
	s_or_b32 exec_lo, exec_lo, s16
	v_lshrrev_b16 v8, 8, v16
	s_mov_b32 s16, exec_lo
	v_cmpx_ne_u16_e32 0, v8
	s_cbranch_execz .LBB187_1074
; %bb.1067:                             ;   in Loop: Header=BB187_819 Depth=1
	v_mov_b64_e32 v[6:7], 0x8000000000000000
	s_mov_b32 s17, exec_lo
	v_cmpx_ne_u16_e32 0x80, v8
	s_cbranch_execz .LBB187_1073
; %bb.1068:                             ;   in Loop: Header=BB187_819 Depth=1
	v_and_b32_e32 v9, 0xffff, v8
	v_mov_b64_e32 v[6:7], 0x7f80000100000000
	s_mov_b32 s18, exec_lo
	s_delay_alu instid0(VALU_DEP_2) | instskip(NEXT) | instid1(VALU_DEP_1)
	v_and_b32_e32 v8, 0x7f, v9
	v_cmpx_ne_u32_e32 0x7f, v8
	s_cbranch_execz .LBB187_1072
; %bb.1069:                             ;   in Loop: Header=BB187_819 Depth=1
	v_dual_lshrrev_b32 v6, 3, v8 :: v_dual_bitop2_b32 v112, 7, v9 bitop3:0x40
	s_mov_b32 s19, exec_lo
	v_cmpx_gt_u32_e32 8, v8
; %bb.1070:                             ;   in Loop: Header=BB187_819 Depth=1
	s_delay_alu instid0(VALU_DEP_2) | instskip(NEXT) | instid1(VALU_DEP_1)
	v_clz_i32_u32_e32 v6, v112
	v_min_u32_e32 v6, 32, v6
	s_delay_alu instid0(VALU_DEP_1) | instskip(NEXT) | instid1(VALU_DEP_1)
	v_subrev_nc_u32_e32 v7, 28, v6
	v_lshlrev_b64_e32 v[8:9], v7, v[112:113]
	s_delay_alu instid0(VALU_DEP_1)
	v_dual_sub_nc_u32 v6, 29, v6 :: v_dual_bitop2_b32 v112, 7, v8 bitop3:0x40
; %bb.1071:                             ;   in Loop: Header=BB187_819 Depth=1
	s_or_b32 exec_lo, exec_lo, s19
	v_lshlrev_b32_e32 v7, 16, v16
	s_delay_alu instid0(VALU_DEP_2) | instskip(NEXT) | instid1(VALU_DEP_3)
	v_lshlrev_b32_e32 v8, 20, v112
	v_lshl_add_u32 v6, v6, 23, 0x3c000000
	s_delay_alu instid0(VALU_DEP_3) | instskip(NEXT) | instid1(VALU_DEP_1)
	v_and_b32_e32 v7, 0x80000000, v7
	v_or3_b32 v7, v8, v7, v6
	v_mov_b32_e32 v6, v113
.LBB187_1072:                           ;   in Loop: Header=BB187_819 Depth=1
	s_or_b32 exec_lo, exec_lo, s18
.LBB187_1073:                           ;   in Loop: Header=BB187_819 Depth=1
	s_delay_alu instid0(SALU_CYCLE_1)
	s_or_b32 exec_lo, exec_lo, s17
.LBB187_1074:                           ;   in Loop: Header=BB187_819 Depth=1
	s_delay_alu instid0(SALU_CYCLE_1) | instskip(SKIP_4) | instid1(VALU_DEP_3)
	s_or_b32 exec_lo, exec_lo, s16
	v_lshrrev_b32_e32 v17, 16, v16
	v_mov_b64_e32 v[14:15], 0
	v_mov_b64_e32 v[8:9], 0
	s_mov_b32 s16, exec_lo
	v_and_b32_e32 v24, 0xff, v17
	s_delay_alu instid0(VALU_DEP_1)
	v_cmpx_ne_u16_e32 0, v24
	s_cbranch_execz .LBB187_1082
; %bb.1075:                             ;   in Loop: Header=BB187_819 Depth=1
	v_mov_b64_e32 v[8:9], 0x80000000
	s_mov_b32 s17, exec_lo
	v_cmpx_ne_u16_e32 0x80, v24
	s_cbranch_execz .LBB187_1081
; %bb.1076:                             ;   in Loop: Header=BB187_819 Depth=1
	v_mov_b64_e32 v[8:9], 0x7f800001
	v_bfe_u32 v24, v16, 16, 7
	s_mov_b32 s18, exec_lo
	s_delay_alu instid0(VALU_DEP_1)
	v_cmpx_ne_u32_e32 0x7f, v24
	s_cbranch_execz .LBB187_1080
; %bb.1077:                             ;   in Loop: Header=BB187_819 Depth=1
	v_dual_lshrrev_b32 v8, 3, v24 :: v_dual_bitop2_b32 v112, 7, v17 bitop3:0x40
	s_mov_b32 s19, exec_lo
	v_cmpx_gt_u32_e32 8, v24
; %bb.1078:                             ;   in Loop: Header=BB187_819 Depth=1
	s_delay_alu instid0(VALU_DEP_2) | instskip(NEXT) | instid1(VALU_DEP_1)
	v_clz_i32_u32_e32 v8, v112
	v_min_u32_e32 v8, 32, v8
	s_delay_alu instid0(VALU_DEP_1) | instskip(SKIP_1) | instid1(VALU_DEP_2)
	v_subrev_nc_u32_e32 v9, 28, v8
	v_sub_nc_u32_e32 v8, 29, v8
	v_lshlrev_b64_e32 v[24:25], v9, v[112:113]
	s_delay_alu instid0(VALU_DEP_1)
	v_and_b32_e32 v112, 7, v24
; %bb.1079:                             ;   in Loop: Header=BB187_819 Depth=1
	s_or_b32 exec_lo, exec_lo, s19
	s_delay_alu instid0(VALU_DEP_1) | instskip(SKIP_1) | instid1(VALU_DEP_2)
	v_dual_lshlrev_b32 v9, 24, v17 :: v_dual_lshlrev_b32 v17, 20, v112
	v_lshl_add_u32 v8, v8, 23, 0x3c000000
	v_and_b32_e32 v9, 0x80000000, v9
	s_delay_alu instid0(VALU_DEP_1) | instskip(NEXT) | instid1(VALU_DEP_1)
	v_or3_b32 v112, v17, v9, v8
	v_mov_b64_e32 v[8:9], v[112:113]
.LBB187_1080:                           ;   in Loop: Header=BB187_819 Depth=1
	s_or_b32 exec_lo, exec_lo, s18
.LBB187_1081:                           ;   in Loop: Header=BB187_819 Depth=1
	s_delay_alu instid0(SALU_CYCLE_1)
	s_or_b32 exec_lo, exec_lo, s17
.LBB187_1082:                           ;   in Loop: Header=BB187_819 Depth=1
	s_delay_alu instid0(SALU_CYCLE_1) | instskip(NEXT) | instid1(SALU_CYCLE_1)
	s_or_b32 exec_lo, exec_lo, s16
	s_mov_b32 s16, exec_lo
	v_cmpx_lt_u32_e32 0xffffff, v16
	s_cbranch_execz .LBB187_1090
; %bb.1083:                             ;   in Loop: Header=BB187_819 Depth=1
	v_mov_b64_e32 v[14:15], 0x8000000000000000
	v_lshrrev_b32_e32 v17, 24, v16
	s_mov_b32 s17, exec_lo
	s_delay_alu instid0(VALU_DEP_1)
	v_cmpx_ne_u32_e32 0x80, v17
	s_cbranch_execz .LBB187_1089
; %bb.1084:                             ;   in Loop: Header=BB187_819 Depth=1
	v_mov_b64_e32 v[14:15], 0x7f80000100000000
	v_bfe_u32 v16, v16, 24, 7
	s_mov_b32 s18, exec_lo
	s_delay_alu instid0(VALU_DEP_1)
	v_cmpx_ne_u32_e32 0x7f, v16
	s_cbranch_execz .LBB187_1088
; %bb.1085:                             ;   in Loop: Header=BB187_819 Depth=1
	v_dual_lshrrev_b32 v14, 3, v16 :: v_dual_bitop2_b32 v112, 7, v17 bitop3:0x40
	s_mov_b32 s19, exec_lo
	v_cmpx_gt_u32_e32 8, v16
; %bb.1086:                             ;   in Loop: Header=BB187_819 Depth=1
	s_delay_alu instid0(VALU_DEP_2) | instskip(NEXT) | instid1(VALU_DEP_1)
	v_clz_i32_u32_e32 v14, v112
	v_min_u32_e32 v14, 32, v14
	s_delay_alu instid0(VALU_DEP_1) | instskip(NEXT) | instid1(VALU_DEP_1)
	v_subrev_nc_u32_e32 v15, 28, v14
	v_lshlrev_b64_e32 v[24:25], v15, v[112:113]
	s_delay_alu instid0(VALU_DEP_1)
	v_dual_sub_nc_u32 v14, 29, v14 :: v_dual_bitop2_b32 v112, 7, v24 bitop3:0x40
; %bb.1087:                             ;   in Loop: Header=BB187_819 Depth=1
	s_or_b32 exec_lo, exec_lo, s19
	s_delay_alu instid0(VALU_DEP_1) | instskip(NEXT) | instid1(VALU_DEP_2)
	v_dual_lshlrev_b32 v15, 24, v17 :: v_dual_lshlrev_b32 v16, 20, v112
	v_lshl_add_u32 v14, v14, 23, 0x3c000000
	s_delay_alu instid0(VALU_DEP_2) | instskip(NEXT) | instid1(VALU_DEP_1)
	v_and_b32_e32 v15, 0x80000000, v15
	v_or3_b32 v15, v16, v15, v14
	v_mov_b32_e32 v14, v113
.LBB187_1088:                           ;   in Loop: Header=BB187_819 Depth=1
	s_or_b32 exec_lo, exec_lo, s18
.LBB187_1089:                           ;   in Loop: Header=BB187_819 Depth=1
	s_delay_alu instid0(SALU_CYCLE_1)
	s_or_b32 exec_lo, exec_lo, s17
.LBB187_1090:                           ;   in Loop: Header=BB187_819 Depth=1
	s_delay_alu instid0(SALU_CYCLE_1) | instskip(SKIP_4) | instid1(VALU_DEP_3)
	s_or_b32 exec_lo, exec_lo, s16
	v_or_b32_e32 v7, v7, v13
	v_or_b32_e32 v6, v6, v12
	;; [unrolled: 1-line block ×4, first 2 shown]
	v_pk_mul_f32 v[116:117], v[54:55], v[6:7]
	s_delay_alu instid0(VALU_DEP_2)
	v_pk_mul_f32 v[102:103], v[54:55], v[8:9]
	s_and_saveexec_b32 s16, vcc_lo
	s_cbranch_execz .LBB187_1092
; %bb.1091:                             ;   in Loop: Header=BB187_819 Depth=1
	v_cmp_lt_i32_e64 s0, v29, v100
	s_delay_alu instid0(VALU_DEP_1) | instskip(SKIP_1) | instid1(VALU_DEP_1)
	v_cndmask_b32_e64 v116, 0, v116, s0
	v_cmp_lt_i32_e64 s0, v33, v100
	v_cndmask_b32_e64 v117, 0, v117, s0
	v_cmp_lt_i32_e64 s0, v35, v100
	s_delay_alu instid0(VALU_DEP_1) | instskip(SKIP_1) | instid1(VALU_DEP_1)
	v_cndmask_b32_e64 v102, 0, v102, s0
	v_cmp_lt_i32_e64 s0, v34, v100
	v_cndmask_b32_e64 v103, 0, v103, s0
.LBB187_1092:                           ;   in Loop: Header=BB187_819 Depth=1
	s_or_b32 exec_lo, exec_lo, s16
	flat_load_b32 v16, v[68:69] offset:1024
	v_mov_b64_e32 v[6:7], 0
	v_mov_b64_e32 v[12:13], 0
	s_mov_b32 s16, exec_lo
	s_wait_loadcnt_dscnt 0x0
	v_and_b32_e32 v8, 0xff, v16
	s_wait_xcnt 0x0
	s_delay_alu instid0(VALU_DEP_1)
	v_cmpx_ne_u16_e32 0, v8
	s_cbranch_execz .LBB187_1100
; %bb.1093:                             ;   in Loop: Header=BB187_819 Depth=1
	v_mov_b64_e32 v[12:13], 0x80000000
	s_mov_b32 s17, exec_lo
	v_cmpx_ne_u16_e32 0x80, v8
	s_cbranch_execz .LBB187_1099
; %bb.1094:                             ;   in Loop: Header=BB187_819 Depth=1
	v_mov_b64_e32 v[12:13], 0x7f800001
	v_and_b32_e32 v9, 0x7f, v16
	s_mov_b32 s18, exec_lo
	s_delay_alu instid0(VALU_DEP_1)
	v_cmpx_ne_u32_e32 0x7f, v9
	s_cbranch_execz .LBB187_1098
; %bb.1095:                             ;   in Loop: Header=BB187_819 Depth=1
	v_dual_lshrrev_b32 v8, 3, v9 :: v_dual_bitop2_b32 v112, 7, v16 bitop3:0x40
	s_mov_b32 s19, exec_lo
	v_cmpx_gt_u32_e32 8, v9
; %bb.1096:                             ;   in Loop: Header=BB187_819 Depth=1
	s_delay_alu instid0(VALU_DEP_2) | instskip(NEXT) | instid1(VALU_DEP_1)
	v_clz_i32_u32_e32 v8, v112
	v_min_u32_e32 v8, 32, v8
	s_delay_alu instid0(VALU_DEP_1) | instskip(SKIP_1) | instid1(VALU_DEP_2)
	v_subrev_nc_u32_e32 v9, 28, v8
	v_sub_nc_u32_e32 v8, 29, v8
	v_lshlrev_b64_e32 v[12:13], v9, v[112:113]
	s_delay_alu instid0(VALU_DEP_1)
	v_and_b32_e32 v112, 7, v12
; %bb.1097:                             ;   in Loop: Header=BB187_819 Depth=1
	s_or_b32 exec_lo, exec_lo, s19
	v_lshlrev_b32_e32 v9, 24, v16
	s_delay_alu instid0(VALU_DEP_2) | instskip(SKIP_1) | instid1(VALU_DEP_3)
	v_lshlrev_b32_e32 v12, 20, v112
	v_lshl_add_u32 v8, v8, 23, 0x3c000000
	v_and_b32_e32 v9, 0x80000000, v9
	s_delay_alu instid0(VALU_DEP_1) | instskip(NEXT) | instid1(VALU_DEP_1)
	v_or3_b32 v112, v12, v9, v8
	v_mov_b64_e32 v[12:13], v[112:113]
.LBB187_1098:                           ;   in Loop: Header=BB187_819 Depth=1
	s_or_b32 exec_lo, exec_lo, s18
.LBB187_1099:                           ;   in Loop: Header=BB187_819 Depth=1
	s_delay_alu instid0(SALU_CYCLE_1)
	s_or_b32 exec_lo, exec_lo, s17
.LBB187_1100:                           ;   in Loop: Header=BB187_819 Depth=1
	s_delay_alu instid0(SALU_CYCLE_1) | instskip(SKIP_2) | instid1(VALU_DEP_1)
	s_or_b32 exec_lo, exec_lo, s16
	v_lshrrev_b16 v8, 8, v16
	s_mov_b32 s16, exec_lo
	v_cmpx_ne_u16_e32 0, v8
	s_cbranch_execz .LBB187_1108
; %bb.1101:                             ;   in Loop: Header=BB187_819 Depth=1
	v_mov_b64_e32 v[6:7], 0x8000000000000000
	s_mov_b32 s17, exec_lo
	v_cmpx_ne_u16_e32 0x80, v8
	s_cbranch_execz .LBB187_1107
; %bb.1102:                             ;   in Loop: Header=BB187_819 Depth=1
	v_and_b32_e32 v9, 0xffff, v8
	v_mov_b64_e32 v[6:7], 0x7f80000100000000
	s_mov_b32 s18, exec_lo
	s_delay_alu instid0(VALU_DEP_2) | instskip(NEXT) | instid1(VALU_DEP_1)
	v_and_b32_e32 v8, 0x7f, v9
	v_cmpx_ne_u32_e32 0x7f, v8
	s_cbranch_execz .LBB187_1106
; %bb.1103:                             ;   in Loop: Header=BB187_819 Depth=1
	v_dual_lshrrev_b32 v6, 3, v8 :: v_dual_bitop2_b32 v112, 7, v9 bitop3:0x40
	s_mov_b32 s19, exec_lo
	v_cmpx_gt_u32_e32 8, v8
; %bb.1104:                             ;   in Loop: Header=BB187_819 Depth=1
	s_delay_alu instid0(VALU_DEP_2) | instskip(NEXT) | instid1(VALU_DEP_1)
	v_clz_i32_u32_e32 v6, v112
	v_min_u32_e32 v6, 32, v6
	s_delay_alu instid0(VALU_DEP_1) | instskip(NEXT) | instid1(VALU_DEP_1)
	v_subrev_nc_u32_e32 v7, 28, v6
	v_lshlrev_b64_e32 v[8:9], v7, v[112:113]
	s_delay_alu instid0(VALU_DEP_1)
	v_dual_sub_nc_u32 v6, 29, v6 :: v_dual_bitop2_b32 v112, 7, v8 bitop3:0x40
; %bb.1105:                             ;   in Loop: Header=BB187_819 Depth=1
	s_or_b32 exec_lo, exec_lo, s19
	v_lshlrev_b32_e32 v7, 16, v16
	s_delay_alu instid0(VALU_DEP_2) | instskip(NEXT) | instid1(VALU_DEP_3)
	v_lshlrev_b32_e32 v8, 20, v112
	v_lshl_add_u32 v6, v6, 23, 0x3c000000
	s_delay_alu instid0(VALU_DEP_3) | instskip(NEXT) | instid1(VALU_DEP_1)
	v_and_b32_e32 v7, 0x80000000, v7
	v_or3_b32 v7, v8, v7, v6
	v_mov_b32_e32 v6, v113
.LBB187_1106:                           ;   in Loop: Header=BB187_819 Depth=1
	s_or_b32 exec_lo, exec_lo, s18
.LBB187_1107:                           ;   in Loop: Header=BB187_819 Depth=1
	s_delay_alu instid0(SALU_CYCLE_1)
	s_or_b32 exec_lo, exec_lo, s17
.LBB187_1108:                           ;   in Loop: Header=BB187_819 Depth=1
	s_delay_alu instid0(SALU_CYCLE_1) | instskip(SKIP_4) | instid1(VALU_DEP_3)
	s_or_b32 exec_lo, exec_lo, s16
	v_lshrrev_b32_e32 v17, 16, v16
	v_mov_b64_e32 v[14:15], 0
	v_mov_b64_e32 v[8:9], 0
	s_mov_b32 s16, exec_lo
	v_and_b32_e32 v24, 0xff, v17
	s_delay_alu instid0(VALU_DEP_1)
	v_cmpx_ne_u16_e32 0, v24
	s_cbranch_execz .LBB187_1116
; %bb.1109:                             ;   in Loop: Header=BB187_819 Depth=1
	v_mov_b64_e32 v[8:9], 0x80000000
	s_mov_b32 s17, exec_lo
	v_cmpx_ne_u16_e32 0x80, v24
	s_cbranch_execz .LBB187_1115
; %bb.1110:                             ;   in Loop: Header=BB187_819 Depth=1
	v_mov_b64_e32 v[8:9], 0x7f800001
	v_bfe_u32 v24, v16, 16, 7
	s_mov_b32 s18, exec_lo
	s_delay_alu instid0(VALU_DEP_1)
	v_cmpx_ne_u32_e32 0x7f, v24
	s_cbranch_execz .LBB187_1114
; %bb.1111:                             ;   in Loop: Header=BB187_819 Depth=1
	v_dual_lshrrev_b32 v8, 3, v24 :: v_dual_bitop2_b32 v112, 7, v17 bitop3:0x40
	s_mov_b32 s19, exec_lo
	v_cmpx_gt_u32_e32 8, v24
; %bb.1112:                             ;   in Loop: Header=BB187_819 Depth=1
	s_delay_alu instid0(VALU_DEP_2) | instskip(NEXT) | instid1(VALU_DEP_1)
	v_clz_i32_u32_e32 v8, v112
	v_min_u32_e32 v8, 32, v8
	s_delay_alu instid0(VALU_DEP_1) | instskip(SKIP_1) | instid1(VALU_DEP_2)
	v_subrev_nc_u32_e32 v9, 28, v8
	v_sub_nc_u32_e32 v8, 29, v8
	v_lshlrev_b64_e32 v[24:25], v9, v[112:113]
	s_delay_alu instid0(VALU_DEP_1)
	v_and_b32_e32 v112, 7, v24
; %bb.1113:                             ;   in Loop: Header=BB187_819 Depth=1
	s_or_b32 exec_lo, exec_lo, s19
	s_delay_alu instid0(VALU_DEP_1) | instskip(SKIP_1) | instid1(VALU_DEP_2)
	v_dual_lshlrev_b32 v9, 24, v17 :: v_dual_lshlrev_b32 v17, 20, v112
	v_lshl_add_u32 v8, v8, 23, 0x3c000000
	v_and_b32_e32 v9, 0x80000000, v9
	s_delay_alu instid0(VALU_DEP_1) | instskip(NEXT) | instid1(VALU_DEP_1)
	v_or3_b32 v112, v17, v9, v8
	v_mov_b64_e32 v[8:9], v[112:113]
.LBB187_1114:                           ;   in Loop: Header=BB187_819 Depth=1
	s_or_b32 exec_lo, exec_lo, s18
.LBB187_1115:                           ;   in Loop: Header=BB187_819 Depth=1
	s_delay_alu instid0(SALU_CYCLE_1)
	s_or_b32 exec_lo, exec_lo, s17
.LBB187_1116:                           ;   in Loop: Header=BB187_819 Depth=1
	s_delay_alu instid0(SALU_CYCLE_1) | instskip(NEXT) | instid1(SALU_CYCLE_1)
	s_or_b32 exec_lo, exec_lo, s16
	s_mov_b32 s16, exec_lo
	v_cmpx_lt_u32_e32 0xffffff, v16
	s_cbranch_execz .LBB187_1124
; %bb.1117:                             ;   in Loop: Header=BB187_819 Depth=1
	v_mov_b64_e32 v[14:15], 0x8000000000000000
	v_lshrrev_b32_e32 v17, 24, v16
	s_mov_b32 s17, exec_lo
	s_delay_alu instid0(VALU_DEP_1)
	v_cmpx_ne_u32_e32 0x80, v17
	s_cbranch_execz .LBB187_1123
; %bb.1118:                             ;   in Loop: Header=BB187_819 Depth=1
	v_mov_b64_e32 v[14:15], 0x7f80000100000000
	v_bfe_u32 v16, v16, 24, 7
	s_mov_b32 s18, exec_lo
	s_delay_alu instid0(VALU_DEP_1)
	v_cmpx_ne_u32_e32 0x7f, v16
	s_cbranch_execz .LBB187_1122
; %bb.1119:                             ;   in Loop: Header=BB187_819 Depth=1
	v_dual_lshrrev_b32 v14, 3, v16 :: v_dual_bitop2_b32 v112, 7, v17 bitop3:0x40
	s_mov_b32 s19, exec_lo
	v_cmpx_gt_u32_e32 8, v16
; %bb.1120:                             ;   in Loop: Header=BB187_819 Depth=1
	s_delay_alu instid0(VALU_DEP_2) | instskip(NEXT) | instid1(VALU_DEP_1)
	v_clz_i32_u32_e32 v14, v112
	v_min_u32_e32 v14, 32, v14
	s_delay_alu instid0(VALU_DEP_1) | instskip(NEXT) | instid1(VALU_DEP_1)
	v_subrev_nc_u32_e32 v15, 28, v14
	v_lshlrev_b64_e32 v[24:25], v15, v[112:113]
	s_delay_alu instid0(VALU_DEP_1)
	v_dual_sub_nc_u32 v14, 29, v14 :: v_dual_bitop2_b32 v112, 7, v24 bitop3:0x40
; %bb.1121:                             ;   in Loop: Header=BB187_819 Depth=1
	s_or_b32 exec_lo, exec_lo, s19
	s_delay_alu instid0(VALU_DEP_1) | instskip(NEXT) | instid1(VALU_DEP_2)
	v_dual_lshlrev_b32 v15, 24, v17 :: v_dual_lshlrev_b32 v16, 20, v112
	v_lshl_add_u32 v14, v14, 23, 0x3c000000
	s_delay_alu instid0(VALU_DEP_2) | instskip(NEXT) | instid1(VALU_DEP_1)
	v_and_b32_e32 v15, 0x80000000, v15
	v_or3_b32 v15, v16, v15, v14
	v_mov_b32_e32 v14, v113
.LBB187_1122:                           ;   in Loop: Header=BB187_819 Depth=1
	s_or_b32 exec_lo, exec_lo, s18
.LBB187_1123:                           ;   in Loop: Header=BB187_819 Depth=1
	s_delay_alu instid0(SALU_CYCLE_1)
	s_or_b32 exec_lo, exec_lo, s17
.LBB187_1124:                           ;   in Loop: Header=BB187_819 Depth=1
	s_delay_alu instid0(SALU_CYCLE_1) | instskip(SKIP_4) | instid1(VALU_DEP_3)
	s_or_b32 exec_lo, exec_lo, s16
	v_or_b32_e32 v7, v7, v13
	v_or_b32_e32 v6, v6, v12
	;; [unrolled: 1-line block ×4, first 2 shown]
	v_pk_mul_f32 v[40:41], v[54:55], v[6:7]
	s_delay_alu instid0(VALU_DEP_2)
	v_pk_mul_f32 v[118:119], v[54:55], v[8:9]
	s_and_saveexec_b32 s16, vcc_lo
	s_cbranch_execz .LBB187_1126
; %bb.1125:                             ;   in Loop: Header=BB187_819 Depth=1
	v_cmp_lt_i32_e64 s0, v29, v100
	s_delay_alu instid0(VALU_DEP_1) | instskip(SKIP_1) | instid1(VALU_DEP_1)
	v_cndmask_b32_e64 v40, 0, v40, s0
	v_cmp_lt_i32_e64 s0, v33, v100
	v_cndmask_b32_e64 v41, 0, v41, s0
	v_cmp_lt_i32_e64 s0, v35, v100
	s_delay_alu instid0(VALU_DEP_1) | instskip(SKIP_1) | instid1(VALU_DEP_1)
	v_cndmask_b32_e64 v118, 0, v118, s0
	v_cmp_lt_i32_e64 s0, v34, v100
	v_cndmask_b32_e64 v119, 0, v119, s0
.LBB187_1126:                           ;   in Loop: Header=BB187_819 Depth=1
	s_or_b32 exec_lo, exec_lo, s16
	flat_load_b32 v16, v[68:69] offset:1152
	v_mov_b64_e32 v[6:7], 0
	v_mov_b64_e32 v[12:13], 0
	s_mov_b32 s16, exec_lo
	s_wait_loadcnt_dscnt 0x0
	v_and_b32_e32 v8, 0xff, v16
	s_wait_xcnt 0x0
	s_delay_alu instid0(VALU_DEP_1)
	v_cmpx_ne_u16_e32 0, v8
	s_cbranch_execz .LBB187_1134
; %bb.1127:                             ;   in Loop: Header=BB187_819 Depth=1
	v_mov_b64_e32 v[12:13], 0x80000000
	s_mov_b32 s17, exec_lo
	v_cmpx_ne_u16_e32 0x80, v8
	s_cbranch_execz .LBB187_1133
; %bb.1128:                             ;   in Loop: Header=BB187_819 Depth=1
	v_mov_b64_e32 v[12:13], 0x7f800001
	v_and_b32_e32 v9, 0x7f, v16
	s_mov_b32 s18, exec_lo
	s_delay_alu instid0(VALU_DEP_1)
	v_cmpx_ne_u32_e32 0x7f, v9
	s_cbranch_execz .LBB187_1132
; %bb.1129:                             ;   in Loop: Header=BB187_819 Depth=1
	v_dual_lshrrev_b32 v8, 3, v9 :: v_dual_bitop2_b32 v112, 7, v16 bitop3:0x40
	s_mov_b32 s19, exec_lo
	v_cmpx_gt_u32_e32 8, v9
; %bb.1130:                             ;   in Loop: Header=BB187_819 Depth=1
	s_delay_alu instid0(VALU_DEP_2) | instskip(NEXT) | instid1(VALU_DEP_1)
	v_clz_i32_u32_e32 v8, v112
	v_min_u32_e32 v8, 32, v8
	s_delay_alu instid0(VALU_DEP_1) | instskip(SKIP_1) | instid1(VALU_DEP_2)
	v_subrev_nc_u32_e32 v9, 28, v8
	v_sub_nc_u32_e32 v8, 29, v8
	v_lshlrev_b64_e32 v[12:13], v9, v[112:113]
	s_delay_alu instid0(VALU_DEP_1)
	v_and_b32_e32 v112, 7, v12
; %bb.1131:                             ;   in Loop: Header=BB187_819 Depth=1
	s_or_b32 exec_lo, exec_lo, s19
	v_lshlrev_b32_e32 v9, 24, v16
	s_delay_alu instid0(VALU_DEP_2) | instskip(SKIP_1) | instid1(VALU_DEP_3)
	v_lshlrev_b32_e32 v12, 20, v112
	v_lshl_add_u32 v8, v8, 23, 0x3c000000
	v_and_b32_e32 v9, 0x80000000, v9
	s_delay_alu instid0(VALU_DEP_1) | instskip(NEXT) | instid1(VALU_DEP_1)
	v_or3_b32 v112, v12, v9, v8
	v_mov_b64_e32 v[12:13], v[112:113]
.LBB187_1132:                           ;   in Loop: Header=BB187_819 Depth=1
	s_or_b32 exec_lo, exec_lo, s18
.LBB187_1133:                           ;   in Loop: Header=BB187_819 Depth=1
	s_delay_alu instid0(SALU_CYCLE_1)
	s_or_b32 exec_lo, exec_lo, s17
.LBB187_1134:                           ;   in Loop: Header=BB187_819 Depth=1
	s_delay_alu instid0(SALU_CYCLE_1) | instskip(SKIP_2) | instid1(VALU_DEP_1)
	s_or_b32 exec_lo, exec_lo, s16
	v_lshrrev_b16 v8, 8, v16
	s_mov_b32 s16, exec_lo
	v_cmpx_ne_u16_e32 0, v8
	s_cbranch_execz .LBB187_1142
; %bb.1135:                             ;   in Loop: Header=BB187_819 Depth=1
	v_mov_b64_e32 v[6:7], 0x8000000000000000
	s_mov_b32 s17, exec_lo
	v_cmpx_ne_u16_e32 0x80, v8
	s_cbranch_execz .LBB187_1141
; %bb.1136:                             ;   in Loop: Header=BB187_819 Depth=1
	v_and_b32_e32 v9, 0xffff, v8
	v_mov_b64_e32 v[6:7], 0x7f80000100000000
	s_mov_b32 s18, exec_lo
	s_delay_alu instid0(VALU_DEP_2) | instskip(NEXT) | instid1(VALU_DEP_1)
	v_and_b32_e32 v8, 0x7f, v9
	v_cmpx_ne_u32_e32 0x7f, v8
	s_cbranch_execz .LBB187_1140
; %bb.1137:                             ;   in Loop: Header=BB187_819 Depth=1
	v_dual_lshrrev_b32 v6, 3, v8 :: v_dual_bitop2_b32 v112, 7, v9 bitop3:0x40
	s_mov_b32 s19, exec_lo
	v_cmpx_gt_u32_e32 8, v8
; %bb.1138:                             ;   in Loop: Header=BB187_819 Depth=1
	s_delay_alu instid0(VALU_DEP_2) | instskip(NEXT) | instid1(VALU_DEP_1)
	v_clz_i32_u32_e32 v6, v112
	v_min_u32_e32 v6, 32, v6
	s_delay_alu instid0(VALU_DEP_1) | instskip(NEXT) | instid1(VALU_DEP_1)
	v_subrev_nc_u32_e32 v7, 28, v6
	v_lshlrev_b64_e32 v[8:9], v7, v[112:113]
	s_delay_alu instid0(VALU_DEP_1)
	v_dual_sub_nc_u32 v6, 29, v6 :: v_dual_bitop2_b32 v112, 7, v8 bitop3:0x40
; %bb.1139:                             ;   in Loop: Header=BB187_819 Depth=1
	s_or_b32 exec_lo, exec_lo, s19
	v_lshlrev_b32_e32 v7, 16, v16
	s_delay_alu instid0(VALU_DEP_2) | instskip(NEXT) | instid1(VALU_DEP_3)
	v_lshlrev_b32_e32 v8, 20, v112
	v_lshl_add_u32 v6, v6, 23, 0x3c000000
	s_delay_alu instid0(VALU_DEP_3) | instskip(NEXT) | instid1(VALU_DEP_1)
	v_and_b32_e32 v7, 0x80000000, v7
	v_or3_b32 v7, v8, v7, v6
	v_mov_b32_e32 v6, v113
.LBB187_1140:                           ;   in Loop: Header=BB187_819 Depth=1
	s_or_b32 exec_lo, exec_lo, s18
.LBB187_1141:                           ;   in Loop: Header=BB187_819 Depth=1
	s_delay_alu instid0(SALU_CYCLE_1)
	s_or_b32 exec_lo, exec_lo, s17
.LBB187_1142:                           ;   in Loop: Header=BB187_819 Depth=1
	s_delay_alu instid0(SALU_CYCLE_1) | instskip(SKIP_4) | instid1(VALU_DEP_3)
	s_or_b32 exec_lo, exec_lo, s16
	v_lshrrev_b32_e32 v17, 16, v16
	v_mov_b64_e32 v[14:15], 0
	v_mov_b64_e32 v[8:9], 0
	s_mov_b32 s16, exec_lo
	v_and_b32_e32 v24, 0xff, v17
	s_delay_alu instid0(VALU_DEP_1)
	v_cmpx_ne_u16_e32 0, v24
	s_cbranch_execz .LBB187_1150
; %bb.1143:                             ;   in Loop: Header=BB187_819 Depth=1
	v_mov_b64_e32 v[8:9], 0x80000000
	s_mov_b32 s17, exec_lo
	v_cmpx_ne_u16_e32 0x80, v24
	s_cbranch_execz .LBB187_1149
; %bb.1144:                             ;   in Loop: Header=BB187_819 Depth=1
	v_mov_b64_e32 v[8:9], 0x7f800001
	v_bfe_u32 v24, v16, 16, 7
	s_mov_b32 s18, exec_lo
	s_delay_alu instid0(VALU_DEP_1)
	v_cmpx_ne_u32_e32 0x7f, v24
	s_cbranch_execz .LBB187_1148
; %bb.1145:                             ;   in Loop: Header=BB187_819 Depth=1
	v_dual_lshrrev_b32 v8, 3, v24 :: v_dual_bitop2_b32 v112, 7, v17 bitop3:0x40
	s_mov_b32 s19, exec_lo
	v_cmpx_gt_u32_e32 8, v24
; %bb.1146:                             ;   in Loop: Header=BB187_819 Depth=1
	s_delay_alu instid0(VALU_DEP_2) | instskip(NEXT) | instid1(VALU_DEP_1)
	v_clz_i32_u32_e32 v8, v112
	v_min_u32_e32 v8, 32, v8
	s_delay_alu instid0(VALU_DEP_1) | instskip(SKIP_1) | instid1(VALU_DEP_2)
	v_subrev_nc_u32_e32 v9, 28, v8
	v_sub_nc_u32_e32 v8, 29, v8
	v_lshlrev_b64_e32 v[24:25], v9, v[112:113]
	s_delay_alu instid0(VALU_DEP_1)
	v_and_b32_e32 v112, 7, v24
; %bb.1147:                             ;   in Loop: Header=BB187_819 Depth=1
	s_or_b32 exec_lo, exec_lo, s19
	s_delay_alu instid0(VALU_DEP_1) | instskip(SKIP_1) | instid1(VALU_DEP_2)
	v_dual_lshlrev_b32 v9, 24, v17 :: v_dual_lshlrev_b32 v17, 20, v112
	v_lshl_add_u32 v8, v8, 23, 0x3c000000
	v_and_b32_e32 v9, 0x80000000, v9
	s_delay_alu instid0(VALU_DEP_1) | instskip(NEXT) | instid1(VALU_DEP_1)
	v_or3_b32 v112, v17, v9, v8
	v_mov_b64_e32 v[8:9], v[112:113]
.LBB187_1148:                           ;   in Loop: Header=BB187_819 Depth=1
	s_or_b32 exec_lo, exec_lo, s18
.LBB187_1149:                           ;   in Loop: Header=BB187_819 Depth=1
	s_delay_alu instid0(SALU_CYCLE_1)
	s_or_b32 exec_lo, exec_lo, s17
.LBB187_1150:                           ;   in Loop: Header=BB187_819 Depth=1
	s_delay_alu instid0(SALU_CYCLE_1) | instskip(NEXT) | instid1(SALU_CYCLE_1)
	s_or_b32 exec_lo, exec_lo, s16
	s_mov_b32 s16, exec_lo
	v_cmpx_lt_u32_e32 0xffffff, v16
	s_cbranch_execz .LBB187_1158
; %bb.1151:                             ;   in Loop: Header=BB187_819 Depth=1
	v_mov_b64_e32 v[14:15], 0x8000000000000000
	v_lshrrev_b32_e32 v17, 24, v16
	s_mov_b32 s17, exec_lo
	s_delay_alu instid0(VALU_DEP_1)
	v_cmpx_ne_u32_e32 0x80, v17
	s_cbranch_execz .LBB187_1157
; %bb.1152:                             ;   in Loop: Header=BB187_819 Depth=1
	v_mov_b64_e32 v[14:15], 0x7f80000100000000
	v_bfe_u32 v16, v16, 24, 7
	s_mov_b32 s18, exec_lo
	s_delay_alu instid0(VALU_DEP_1)
	v_cmpx_ne_u32_e32 0x7f, v16
	s_cbranch_execz .LBB187_1156
; %bb.1153:                             ;   in Loop: Header=BB187_819 Depth=1
	v_dual_lshrrev_b32 v14, 3, v16 :: v_dual_bitop2_b32 v112, 7, v17 bitop3:0x40
	s_mov_b32 s19, exec_lo
	v_cmpx_gt_u32_e32 8, v16
; %bb.1154:                             ;   in Loop: Header=BB187_819 Depth=1
	s_delay_alu instid0(VALU_DEP_2) | instskip(NEXT) | instid1(VALU_DEP_1)
	v_clz_i32_u32_e32 v14, v112
	v_min_u32_e32 v14, 32, v14
	s_delay_alu instid0(VALU_DEP_1) | instskip(NEXT) | instid1(VALU_DEP_1)
	v_subrev_nc_u32_e32 v15, 28, v14
	v_lshlrev_b64_e32 v[24:25], v15, v[112:113]
	s_delay_alu instid0(VALU_DEP_1)
	v_dual_sub_nc_u32 v14, 29, v14 :: v_dual_bitop2_b32 v112, 7, v24 bitop3:0x40
; %bb.1155:                             ;   in Loop: Header=BB187_819 Depth=1
	s_or_b32 exec_lo, exec_lo, s19
	s_delay_alu instid0(VALU_DEP_1) | instskip(NEXT) | instid1(VALU_DEP_2)
	v_dual_lshlrev_b32 v15, 24, v17 :: v_dual_lshlrev_b32 v16, 20, v112
	v_lshl_add_u32 v14, v14, 23, 0x3c000000
	s_delay_alu instid0(VALU_DEP_2) | instskip(NEXT) | instid1(VALU_DEP_1)
	v_and_b32_e32 v15, 0x80000000, v15
	v_or3_b32 v15, v16, v15, v14
	v_mov_b32_e32 v14, v113
.LBB187_1156:                           ;   in Loop: Header=BB187_819 Depth=1
	s_or_b32 exec_lo, exec_lo, s18
.LBB187_1157:                           ;   in Loop: Header=BB187_819 Depth=1
	s_delay_alu instid0(SALU_CYCLE_1)
	s_or_b32 exec_lo, exec_lo, s17
.LBB187_1158:                           ;   in Loop: Header=BB187_819 Depth=1
	s_delay_alu instid0(SALU_CYCLE_1) | instskip(SKIP_4) | instid1(VALU_DEP_3)
	s_or_b32 exec_lo, exec_lo, s16
	v_or_b32_e32 v7, v7, v13
	v_or_b32_e32 v6, v6, v12
	;; [unrolled: 1-line block ×4, first 2 shown]
	v_pk_mul_f32 v[44:45], v[54:55], v[6:7]
	s_delay_alu instid0(VALU_DEP_2)
	v_pk_mul_f32 v[42:43], v[54:55], v[8:9]
	s_and_saveexec_b32 s16, vcc_lo
	s_cbranch_execz .LBB187_1160
; %bb.1159:                             ;   in Loop: Header=BB187_819 Depth=1
	v_cmp_lt_i32_e64 s0, v29, v100
	s_delay_alu instid0(VALU_DEP_1) | instskip(SKIP_1) | instid1(VALU_DEP_1)
	v_cndmask_b32_e64 v44, 0, v44, s0
	v_cmp_lt_i32_e64 s0, v33, v100
	v_cndmask_b32_e64 v45, 0, v45, s0
	v_cmp_lt_i32_e64 s0, v35, v100
	s_delay_alu instid0(VALU_DEP_1) | instskip(SKIP_1) | instid1(VALU_DEP_1)
	v_cndmask_b32_e64 v42, 0, v42, s0
	v_cmp_lt_i32_e64 s0, v34, v100
	v_cndmask_b32_e64 v43, 0, v43, s0
.LBB187_1160:                           ;   in Loop: Header=BB187_819 Depth=1
	s_or_b32 exec_lo, exec_lo, s16
	flat_load_b32 v16, v[68:69] offset:1280
	v_mov_b64_e32 v[6:7], 0
	v_mov_b64_e32 v[12:13], 0
	s_mov_b32 s16, exec_lo
	s_wait_loadcnt_dscnt 0x0
	v_and_b32_e32 v8, 0xff, v16
	s_wait_xcnt 0x0
	s_delay_alu instid0(VALU_DEP_1)
	v_cmpx_ne_u16_e32 0, v8
	s_cbranch_execz .LBB187_1168
; %bb.1161:                             ;   in Loop: Header=BB187_819 Depth=1
	v_mov_b64_e32 v[12:13], 0x80000000
	s_mov_b32 s17, exec_lo
	v_cmpx_ne_u16_e32 0x80, v8
	s_cbranch_execz .LBB187_1167
; %bb.1162:                             ;   in Loop: Header=BB187_819 Depth=1
	v_mov_b64_e32 v[12:13], 0x7f800001
	v_and_b32_e32 v9, 0x7f, v16
	s_mov_b32 s18, exec_lo
	s_delay_alu instid0(VALU_DEP_1)
	v_cmpx_ne_u32_e32 0x7f, v9
	s_cbranch_execz .LBB187_1166
; %bb.1163:                             ;   in Loop: Header=BB187_819 Depth=1
	v_dual_lshrrev_b32 v8, 3, v9 :: v_dual_bitop2_b32 v112, 7, v16 bitop3:0x40
	s_mov_b32 s19, exec_lo
	v_cmpx_gt_u32_e32 8, v9
; %bb.1164:                             ;   in Loop: Header=BB187_819 Depth=1
	s_delay_alu instid0(VALU_DEP_2) | instskip(NEXT) | instid1(VALU_DEP_1)
	v_clz_i32_u32_e32 v8, v112
	v_min_u32_e32 v8, 32, v8
	s_delay_alu instid0(VALU_DEP_1) | instskip(SKIP_1) | instid1(VALU_DEP_2)
	v_subrev_nc_u32_e32 v9, 28, v8
	v_sub_nc_u32_e32 v8, 29, v8
	v_lshlrev_b64_e32 v[12:13], v9, v[112:113]
	s_delay_alu instid0(VALU_DEP_1)
	v_and_b32_e32 v112, 7, v12
; %bb.1165:                             ;   in Loop: Header=BB187_819 Depth=1
	s_or_b32 exec_lo, exec_lo, s19
	v_lshlrev_b32_e32 v9, 24, v16
	s_delay_alu instid0(VALU_DEP_2) | instskip(SKIP_1) | instid1(VALU_DEP_3)
	v_lshlrev_b32_e32 v12, 20, v112
	v_lshl_add_u32 v8, v8, 23, 0x3c000000
	v_and_b32_e32 v9, 0x80000000, v9
	s_delay_alu instid0(VALU_DEP_1) | instskip(NEXT) | instid1(VALU_DEP_1)
	v_or3_b32 v112, v12, v9, v8
	v_mov_b64_e32 v[12:13], v[112:113]
.LBB187_1166:                           ;   in Loop: Header=BB187_819 Depth=1
	s_or_b32 exec_lo, exec_lo, s18
.LBB187_1167:                           ;   in Loop: Header=BB187_819 Depth=1
	s_delay_alu instid0(SALU_CYCLE_1)
	s_or_b32 exec_lo, exec_lo, s17
.LBB187_1168:                           ;   in Loop: Header=BB187_819 Depth=1
	s_delay_alu instid0(SALU_CYCLE_1) | instskip(SKIP_2) | instid1(VALU_DEP_1)
	s_or_b32 exec_lo, exec_lo, s16
	v_lshrrev_b16 v8, 8, v16
	s_mov_b32 s16, exec_lo
	v_cmpx_ne_u16_e32 0, v8
	s_cbranch_execz .LBB187_1176
; %bb.1169:                             ;   in Loop: Header=BB187_819 Depth=1
	v_mov_b64_e32 v[6:7], 0x8000000000000000
	s_mov_b32 s17, exec_lo
	v_cmpx_ne_u16_e32 0x80, v8
	s_cbranch_execz .LBB187_1175
; %bb.1170:                             ;   in Loop: Header=BB187_819 Depth=1
	v_and_b32_e32 v9, 0xffff, v8
	v_mov_b64_e32 v[6:7], 0x7f80000100000000
	s_mov_b32 s18, exec_lo
	s_delay_alu instid0(VALU_DEP_2) | instskip(NEXT) | instid1(VALU_DEP_1)
	v_and_b32_e32 v8, 0x7f, v9
	v_cmpx_ne_u32_e32 0x7f, v8
	s_cbranch_execz .LBB187_1174
; %bb.1171:                             ;   in Loop: Header=BB187_819 Depth=1
	v_dual_lshrrev_b32 v6, 3, v8 :: v_dual_bitop2_b32 v112, 7, v9 bitop3:0x40
	s_mov_b32 s19, exec_lo
	v_cmpx_gt_u32_e32 8, v8
; %bb.1172:                             ;   in Loop: Header=BB187_819 Depth=1
	s_delay_alu instid0(VALU_DEP_2) | instskip(NEXT) | instid1(VALU_DEP_1)
	v_clz_i32_u32_e32 v6, v112
	v_min_u32_e32 v6, 32, v6
	s_delay_alu instid0(VALU_DEP_1) | instskip(NEXT) | instid1(VALU_DEP_1)
	v_subrev_nc_u32_e32 v7, 28, v6
	v_lshlrev_b64_e32 v[8:9], v7, v[112:113]
	s_delay_alu instid0(VALU_DEP_1)
	v_dual_sub_nc_u32 v6, 29, v6 :: v_dual_bitop2_b32 v112, 7, v8 bitop3:0x40
; %bb.1173:                             ;   in Loop: Header=BB187_819 Depth=1
	s_or_b32 exec_lo, exec_lo, s19
	v_lshlrev_b32_e32 v7, 16, v16
	s_delay_alu instid0(VALU_DEP_2) | instskip(NEXT) | instid1(VALU_DEP_3)
	v_lshlrev_b32_e32 v8, 20, v112
	v_lshl_add_u32 v6, v6, 23, 0x3c000000
	s_delay_alu instid0(VALU_DEP_3) | instskip(NEXT) | instid1(VALU_DEP_1)
	v_and_b32_e32 v7, 0x80000000, v7
	v_or3_b32 v7, v8, v7, v6
	v_mov_b32_e32 v6, v113
.LBB187_1174:                           ;   in Loop: Header=BB187_819 Depth=1
	s_or_b32 exec_lo, exec_lo, s18
.LBB187_1175:                           ;   in Loop: Header=BB187_819 Depth=1
	s_delay_alu instid0(SALU_CYCLE_1)
	s_or_b32 exec_lo, exec_lo, s17
.LBB187_1176:                           ;   in Loop: Header=BB187_819 Depth=1
	s_delay_alu instid0(SALU_CYCLE_1) | instskip(SKIP_4) | instid1(VALU_DEP_3)
	s_or_b32 exec_lo, exec_lo, s16
	v_lshrrev_b32_e32 v17, 16, v16
	v_mov_b64_e32 v[14:15], 0
	v_mov_b64_e32 v[8:9], 0
	s_mov_b32 s16, exec_lo
	v_and_b32_e32 v24, 0xff, v17
	s_delay_alu instid0(VALU_DEP_1)
	v_cmpx_ne_u16_e32 0, v24
	s_cbranch_execz .LBB187_1184
; %bb.1177:                             ;   in Loop: Header=BB187_819 Depth=1
	v_mov_b64_e32 v[8:9], 0x80000000
	s_mov_b32 s17, exec_lo
	v_cmpx_ne_u16_e32 0x80, v24
	s_cbranch_execz .LBB187_1183
; %bb.1178:                             ;   in Loop: Header=BB187_819 Depth=1
	v_mov_b64_e32 v[8:9], 0x7f800001
	v_bfe_u32 v24, v16, 16, 7
	s_mov_b32 s18, exec_lo
	s_delay_alu instid0(VALU_DEP_1)
	v_cmpx_ne_u32_e32 0x7f, v24
	s_cbranch_execz .LBB187_1182
; %bb.1179:                             ;   in Loop: Header=BB187_819 Depth=1
	v_dual_lshrrev_b32 v8, 3, v24 :: v_dual_bitop2_b32 v112, 7, v17 bitop3:0x40
	s_mov_b32 s19, exec_lo
	v_cmpx_gt_u32_e32 8, v24
; %bb.1180:                             ;   in Loop: Header=BB187_819 Depth=1
	s_delay_alu instid0(VALU_DEP_2) | instskip(NEXT) | instid1(VALU_DEP_1)
	v_clz_i32_u32_e32 v8, v112
	v_min_u32_e32 v8, 32, v8
	s_delay_alu instid0(VALU_DEP_1) | instskip(SKIP_1) | instid1(VALU_DEP_2)
	v_subrev_nc_u32_e32 v9, 28, v8
	v_sub_nc_u32_e32 v8, 29, v8
	v_lshlrev_b64_e32 v[24:25], v9, v[112:113]
	s_delay_alu instid0(VALU_DEP_1)
	v_and_b32_e32 v112, 7, v24
; %bb.1181:                             ;   in Loop: Header=BB187_819 Depth=1
	s_or_b32 exec_lo, exec_lo, s19
	s_delay_alu instid0(VALU_DEP_1) | instskip(SKIP_1) | instid1(VALU_DEP_2)
	v_dual_lshlrev_b32 v9, 24, v17 :: v_dual_lshlrev_b32 v17, 20, v112
	v_lshl_add_u32 v8, v8, 23, 0x3c000000
	v_and_b32_e32 v9, 0x80000000, v9
	s_delay_alu instid0(VALU_DEP_1) | instskip(NEXT) | instid1(VALU_DEP_1)
	v_or3_b32 v112, v17, v9, v8
	v_mov_b64_e32 v[8:9], v[112:113]
.LBB187_1182:                           ;   in Loop: Header=BB187_819 Depth=1
	s_or_b32 exec_lo, exec_lo, s18
.LBB187_1183:                           ;   in Loop: Header=BB187_819 Depth=1
	s_delay_alu instid0(SALU_CYCLE_1)
	s_or_b32 exec_lo, exec_lo, s17
.LBB187_1184:                           ;   in Loop: Header=BB187_819 Depth=1
	s_delay_alu instid0(SALU_CYCLE_1) | instskip(NEXT) | instid1(SALU_CYCLE_1)
	s_or_b32 exec_lo, exec_lo, s16
	s_mov_b32 s16, exec_lo
	v_cmpx_lt_u32_e32 0xffffff, v16
	s_cbranch_execz .LBB187_1192
; %bb.1185:                             ;   in Loop: Header=BB187_819 Depth=1
	v_mov_b64_e32 v[14:15], 0x8000000000000000
	v_lshrrev_b32_e32 v17, 24, v16
	s_mov_b32 s17, exec_lo
	s_delay_alu instid0(VALU_DEP_1)
	v_cmpx_ne_u32_e32 0x80, v17
	s_cbranch_execz .LBB187_1191
; %bb.1186:                             ;   in Loop: Header=BB187_819 Depth=1
	v_mov_b64_e32 v[14:15], 0x7f80000100000000
	v_bfe_u32 v16, v16, 24, 7
	s_mov_b32 s18, exec_lo
	s_delay_alu instid0(VALU_DEP_1)
	v_cmpx_ne_u32_e32 0x7f, v16
	s_cbranch_execz .LBB187_1190
; %bb.1187:                             ;   in Loop: Header=BB187_819 Depth=1
	v_dual_lshrrev_b32 v14, 3, v16 :: v_dual_bitop2_b32 v112, 7, v17 bitop3:0x40
	s_mov_b32 s19, exec_lo
	v_cmpx_gt_u32_e32 8, v16
; %bb.1188:                             ;   in Loop: Header=BB187_819 Depth=1
	s_delay_alu instid0(VALU_DEP_2) | instskip(NEXT) | instid1(VALU_DEP_1)
	v_clz_i32_u32_e32 v14, v112
	v_min_u32_e32 v14, 32, v14
	s_delay_alu instid0(VALU_DEP_1) | instskip(NEXT) | instid1(VALU_DEP_1)
	v_subrev_nc_u32_e32 v15, 28, v14
	v_lshlrev_b64_e32 v[24:25], v15, v[112:113]
	s_delay_alu instid0(VALU_DEP_1)
	v_dual_sub_nc_u32 v14, 29, v14 :: v_dual_bitop2_b32 v112, 7, v24 bitop3:0x40
; %bb.1189:                             ;   in Loop: Header=BB187_819 Depth=1
	s_or_b32 exec_lo, exec_lo, s19
	s_delay_alu instid0(VALU_DEP_1) | instskip(NEXT) | instid1(VALU_DEP_2)
	v_dual_lshlrev_b32 v15, 24, v17 :: v_dual_lshlrev_b32 v16, 20, v112
	v_lshl_add_u32 v14, v14, 23, 0x3c000000
	s_delay_alu instid0(VALU_DEP_2) | instskip(NEXT) | instid1(VALU_DEP_1)
	v_and_b32_e32 v15, 0x80000000, v15
	v_or3_b32 v15, v16, v15, v14
	v_mov_b32_e32 v14, v113
.LBB187_1190:                           ;   in Loop: Header=BB187_819 Depth=1
	s_or_b32 exec_lo, exec_lo, s18
.LBB187_1191:                           ;   in Loop: Header=BB187_819 Depth=1
	s_delay_alu instid0(SALU_CYCLE_1)
	s_or_b32 exec_lo, exec_lo, s17
.LBB187_1192:                           ;   in Loop: Header=BB187_819 Depth=1
	s_delay_alu instid0(SALU_CYCLE_1) | instskip(SKIP_4) | instid1(VALU_DEP_3)
	s_or_b32 exec_lo, exec_lo, s16
	v_or_b32_e32 v7, v7, v13
	v_or_b32_e32 v6, v6, v12
	;; [unrolled: 1-line block ×4, first 2 shown]
	v_pk_mul_f32 v[56:57], v[54:55], v[6:7]
	s_delay_alu instid0(VALU_DEP_2)
	v_pk_mul_f32 v[46:47], v[54:55], v[8:9]
	s_and_saveexec_b32 s16, vcc_lo
	s_cbranch_execz .LBB187_1194
; %bb.1193:                             ;   in Loop: Header=BB187_819 Depth=1
	v_cmp_lt_i32_e64 s0, v29, v100
	s_delay_alu instid0(VALU_DEP_1) | instskip(SKIP_1) | instid1(VALU_DEP_1)
	v_cndmask_b32_e64 v56, 0, v56, s0
	v_cmp_lt_i32_e64 s0, v33, v100
	v_cndmask_b32_e64 v57, 0, v57, s0
	v_cmp_lt_i32_e64 s0, v35, v100
	s_delay_alu instid0(VALU_DEP_1) | instskip(SKIP_1) | instid1(VALU_DEP_1)
	v_cndmask_b32_e64 v46, 0, v46, s0
	v_cmp_lt_i32_e64 s0, v34, v100
	v_cndmask_b32_e64 v47, 0, v47, s0
.LBB187_1194:                           ;   in Loop: Header=BB187_819 Depth=1
	s_or_b32 exec_lo, exec_lo, s16
	flat_load_b32 v16, v[68:69] offset:1408
	v_mov_b64_e32 v[6:7], 0
	v_mov_b64_e32 v[12:13], 0
	s_mov_b32 s16, exec_lo
	s_wait_loadcnt_dscnt 0x0
	v_and_b32_e32 v8, 0xff, v16
	s_wait_xcnt 0x0
	s_delay_alu instid0(VALU_DEP_1)
	v_cmpx_ne_u16_e32 0, v8
	s_cbranch_execz .LBB187_1202
; %bb.1195:                             ;   in Loop: Header=BB187_819 Depth=1
	v_mov_b64_e32 v[12:13], 0x80000000
	s_mov_b32 s17, exec_lo
	v_cmpx_ne_u16_e32 0x80, v8
	s_cbranch_execz .LBB187_1201
; %bb.1196:                             ;   in Loop: Header=BB187_819 Depth=1
	v_mov_b64_e32 v[12:13], 0x7f800001
	v_and_b32_e32 v9, 0x7f, v16
	s_mov_b32 s18, exec_lo
	s_delay_alu instid0(VALU_DEP_1)
	v_cmpx_ne_u32_e32 0x7f, v9
	s_cbranch_execz .LBB187_1200
; %bb.1197:                             ;   in Loop: Header=BB187_819 Depth=1
	v_dual_lshrrev_b32 v8, 3, v9 :: v_dual_bitop2_b32 v112, 7, v16 bitop3:0x40
	s_mov_b32 s19, exec_lo
	v_cmpx_gt_u32_e32 8, v9
; %bb.1198:                             ;   in Loop: Header=BB187_819 Depth=1
	s_delay_alu instid0(VALU_DEP_2) | instskip(NEXT) | instid1(VALU_DEP_1)
	v_clz_i32_u32_e32 v8, v112
	v_min_u32_e32 v8, 32, v8
	s_delay_alu instid0(VALU_DEP_1) | instskip(SKIP_1) | instid1(VALU_DEP_2)
	v_subrev_nc_u32_e32 v9, 28, v8
	v_sub_nc_u32_e32 v8, 29, v8
	v_lshlrev_b64_e32 v[12:13], v9, v[112:113]
	s_delay_alu instid0(VALU_DEP_1)
	v_and_b32_e32 v112, 7, v12
; %bb.1199:                             ;   in Loop: Header=BB187_819 Depth=1
	s_or_b32 exec_lo, exec_lo, s19
	v_lshlrev_b32_e32 v9, 24, v16
	s_delay_alu instid0(VALU_DEP_2) | instskip(SKIP_1) | instid1(VALU_DEP_3)
	v_lshlrev_b32_e32 v12, 20, v112
	v_lshl_add_u32 v8, v8, 23, 0x3c000000
	v_and_b32_e32 v9, 0x80000000, v9
	s_delay_alu instid0(VALU_DEP_1) | instskip(NEXT) | instid1(VALU_DEP_1)
	v_or3_b32 v112, v12, v9, v8
	v_mov_b64_e32 v[12:13], v[112:113]
.LBB187_1200:                           ;   in Loop: Header=BB187_819 Depth=1
	s_or_b32 exec_lo, exec_lo, s18
.LBB187_1201:                           ;   in Loop: Header=BB187_819 Depth=1
	s_delay_alu instid0(SALU_CYCLE_1)
	s_or_b32 exec_lo, exec_lo, s17
.LBB187_1202:                           ;   in Loop: Header=BB187_819 Depth=1
	s_delay_alu instid0(SALU_CYCLE_1) | instskip(SKIP_2) | instid1(VALU_DEP_1)
	s_or_b32 exec_lo, exec_lo, s16
	v_lshrrev_b16 v8, 8, v16
	s_mov_b32 s16, exec_lo
	v_cmpx_ne_u16_e32 0, v8
	s_cbranch_execz .LBB187_1210
; %bb.1203:                             ;   in Loop: Header=BB187_819 Depth=1
	v_mov_b64_e32 v[6:7], 0x8000000000000000
	s_mov_b32 s17, exec_lo
	v_cmpx_ne_u16_e32 0x80, v8
	s_cbranch_execz .LBB187_1209
; %bb.1204:                             ;   in Loop: Header=BB187_819 Depth=1
	v_and_b32_e32 v9, 0xffff, v8
	v_mov_b64_e32 v[6:7], 0x7f80000100000000
	s_mov_b32 s18, exec_lo
	s_delay_alu instid0(VALU_DEP_2) | instskip(NEXT) | instid1(VALU_DEP_1)
	v_and_b32_e32 v8, 0x7f, v9
	v_cmpx_ne_u32_e32 0x7f, v8
	s_cbranch_execz .LBB187_1208
; %bb.1205:                             ;   in Loop: Header=BB187_819 Depth=1
	v_dual_lshrrev_b32 v6, 3, v8 :: v_dual_bitop2_b32 v112, 7, v9 bitop3:0x40
	s_mov_b32 s19, exec_lo
	v_cmpx_gt_u32_e32 8, v8
; %bb.1206:                             ;   in Loop: Header=BB187_819 Depth=1
	s_delay_alu instid0(VALU_DEP_2) | instskip(NEXT) | instid1(VALU_DEP_1)
	v_clz_i32_u32_e32 v6, v112
	v_min_u32_e32 v6, 32, v6
	s_delay_alu instid0(VALU_DEP_1) | instskip(NEXT) | instid1(VALU_DEP_1)
	v_subrev_nc_u32_e32 v7, 28, v6
	v_lshlrev_b64_e32 v[8:9], v7, v[112:113]
	s_delay_alu instid0(VALU_DEP_1)
	v_dual_sub_nc_u32 v6, 29, v6 :: v_dual_bitop2_b32 v112, 7, v8 bitop3:0x40
; %bb.1207:                             ;   in Loop: Header=BB187_819 Depth=1
	s_or_b32 exec_lo, exec_lo, s19
	v_lshlrev_b32_e32 v7, 16, v16
	s_delay_alu instid0(VALU_DEP_2) | instskip(NEXT) | instid1(VALU_DEP_3)
	v_lshlrev_b32_e32 v8, 20, v112
	v_lshl_add_u32 v6, v6, 23, 0x3c000000
	s_delay_alu instid0(VALU_DEP_3) | instskip(NEXT) | instid1(VALU_DEP_1)
	v_and_b32_e32 v7, 0x80000000, v7
	v_or3_b32 v7, v8, v7, v6
	v_mov_b32_e32 v6, v113
.LBB187_1208:                           ;   in Loop: Header=BB187_819 Depth=1
	s_or_b32 exec_lo, exec_lo, s18
.LBB187_1209:                           ;   in Loop: Header=BB187_819 Depth=1
	s_delay_alu instid0(SALU_CYCLE_1)
	s_or_b32 exec_lo, exec_lo, s17
.LBB187_1210:                           ;   in Loop: Header=BB187_819 Depth=1
	s_delay_alu instid0(SALU_CYCLE_1) | instskip(SKIP_4) | instid1(VALU_DEP_3)
	s_or_b32 exec_lo, exec_lo, s16
	v_lshrrev_b32_e32 v17, 16, v16
	v_mov_b64_e32 v[14:15], 0
	v_mov_b64_e32 v[8:9], 0
	s_mov_b32 s16, exec_lo
	v_and_b32_e32 v24, 0xff, v17
	s_delay_alu instid0(VALU_DEP_1)
	v_cmpx_ne_u16_e32 0, v24
	s_cbranch_execz .LBB187_1218
; %bb.1211:                             ;   in Loop: Header=BB187_819 Depth=1
	v_mov_b64_e32 v[8:9], 0x80000000
	s_mov_b32 s17, exec_lo
	v_cmpx_ne_u16_e32 0x80, v24
	s_cbranch_execz .LBB187_1217
; %bb.1212:                             ;   in Loop: Header=BB187_819 Depth=1
	v_mov_b64_e32 v[8:9], 0x7f800001
	v_bfe_u32 v24, v16, 16, 7
	s_mov_b32 s18, exec_lo
	s_delay_alu instid0(VALU_DEP_1)
	v_cmpx_ne_u32_e32 0x7f, v24
	s_cbranch_execz .LBB187_1216
; %bb.1213:                             ;   in Loop: Header=BB187_819 Depth=1
	v_dual_lshrrev_b32 v8, 3, v24 :: v_dual_bitop2_b32 v112, 7, v17 bitop3:0x40
	s_mov_b32 s19, exec_lo
	v_cmpx_gt_u32_e32 8, v24
; %bb.1214:                             ;   in Loop: Header=BB187_819 Depth=1
	s_delay_alu instid0(VALU_DEP_2) | instskip(NEXT) | instid1(VALU_DEP_1)
	v_clz_i32_u32_e32 v8, v112
	v_min_u32_e32 v8, 32, v8
	s_delay_alu instid0(VALU_DEP_1) | instskip(SKIP_1) | instid1(VALU_DEP_2)
	v_subrev_nc_u32_e32 v9, 28, v8
	v_sub_nc_u32_e32 v8, 29, v8
	v_lshlrev_b64_e32 v[24:25], v9, v[112:113]
	s_delay_alu instid0(VALU_DEP_1)
	v_and_b32_e32 v112, 7, v24
; %bb.1215:                             ;   in Loop: Header=BB187_819 Depth=1
	s_or_b32 exec_lo, exec_lo, s19
	s_delay_alu instid0(VALU_DEP_1) | instskip(SKIP_1) | instid1(VALU_DEP_2)
	v_dual_lshlrev_b32 v9, 24, v17 :: v_dual_lshlrev_b32 v17, 20, v112
	v_lshl_add_u32 v8, v8, 23, 0x3c000000
	v_and_b32_e32 v9, 0x80000000, v9
	s_delay_alu instid0(VALU_DEP_1) | instskip(NEXT) | instid1(VALU_DEP_1)
	v_or3_b32 v112, v17, v9, v8
	v_mov_b64_e32 v[8:9], v[112:113]
.LBB187_1216:                           ;   in Loop: Header=BB187_819 Depth=1
	s_or_b32 exec_lo, exec_lo, s18
.LBB187_1217:                           ;   in Loop: Header=BB187_819 Depth=1
	s_delay_alu instid0(SALU_CYCLE_1)
	s_or_b32 exec_lo, exec_lo, s17
.LBB187_1218:                           ;   in Loop: Header=BB187_819 Depth=1
	s_delay_alu instid0(SALU_CYCLE_1) | instskip(NEXT) | instid1(SALU_CYCLE_1)
	s_or_b32 exec_lo, exec_lo, s16
	s_mov_b32 s16, exec_lo
	v_cmpx_lt_u32_e32 0xffffff, v16
	s_cbranch_execz .LBB187_1226
; %bb.1219:                             ;   in Loop: Header=BB187_819 Depth=1
	v_mov_b64_e32 v[14:15], 0x8000000000000000
	v_lshrrev_b32_e32 v17, 24, v16
	s_mov_b32 s17, exec_lo
	s_delay_alu instid0(VALU_DEP_1)
	v_cmpx_ne_u32_e32 0x80, v17
	s_cbranch_execz .LBB187_1225
; %bb.1220:                             ;   in Loop: Header=BB187_819 Depth=1
	v_mov_b64_e32 v[14:15], 0x7f80000100000000
	v_bfe_u32 v16, v16, 24, 7
	s_mov_b32 s18, exec_lo
	s_delay_alu instid0(VALU_DEP_1)
	v_cmpx_ne_u32_e32 0x7f, v16
	s_cbranch_execz .LBB187_1224
; %bb.1221:                             ;   in Loop: Header=BB187_819 Depth=1
	v_dual_lshrrev_b32 v14, 3, v16 :: v_dual_bitop2_b32 v112, 7, v17 bitop3:0x40
	s_mov_b32 s19, exec_lo
	v_cmpx_gt_u32_e32 8, v16
; %bb.1222:                             ;   in Loop: Header=BB187_819 Depth=1
	s_delay_alu instid0(VALU_DEP_2) | instskip(NEXT) | instid1(VALU_DEP_1)
	v_clz_i32_u32_e32 v14, v112
	v_min_u32_e32 v14, 32, v14
	s_delay_alu instid0(VALU_DEP_1) | instskip(NEXT) | instid1(VALU_DEP_1)
	v_subrev_nc_u32_e32 v15, 28, v14
	v_lshlrev_b64_e32 v[24:25], v15, v[112:113]
	s_delay_alu instid0(VALU_DEP_1)
	v_dual_sub_nc_u32 v14, 29, v14 :: v_dual_bitop2_b32 v112, 7, v24 bitop3:0x40
; %bb.1223:                             ;   in Loop: Header=BB187_819 Depth=1
	s_or_b32 exec_lo, exec_lo, s19
	s_delay_alu instid0(VALU_DEP_1) | instskip(NEXT) | instid1(VALU_DEP_2)
	v_dual_lshlrev_b32 v15, 24, v17 :: v_dual_lshlrev_b32 v16, 20, v112
	v_lshl_add_u32 v14, v14, 23, 0x3c000000
	s_delay_alu instid0(VALU_DEP_2) | instskip(NEXT) | instid1(VALU_DEP_1)
	v_and_b32_e32 v15, 0x80000000, v15
	v_or3_b32 v15, v16, v15, v14
	v_mov_b32_e32 v14, v113
.LBB187_1224:                           ;   in Loop: Header=BB187_819 Depth=1
	s_or_b32 exec_lo, exec_lo, s18
.LBB187_1225:                           ;   in Loop: Header=BB187_819 Depth=1
	s_delay_alu instid0(SALU_CYCLE_1)
	s_or_b32 exec_lo, exec_lo, s17
.LBB187_1226:                           ;   in Loop: Header=BB187_819 Depth=1
	s_delay_alu instid0(SALU_CYCLE_1) | instskip(SKIP_4) | instid1(VALU_DEP_3)
	s_or_b32 exec_lo, exec_lo, s16
	v_or_b32_e32 v7, v7, v13
	v_or_b32_e32 v6, v6, v12
	;; [unrolled: 1-line block ×4, first 2 shown]
	v_pk_mul_f32 v[60:61], v[54:55], v[6:7]
	s_delay_alu instid0(VALU_DEP_2)
	v_pk_mul_f32 v[58:59], v[54:55], v[8:9]
	s_and_saveexec_b32 s16, vcc_lo
	s_cbranch_execz .LBB187_1228
; %bb.1227:                             ;   in Loop: Header=BB187_819 Depth=1
	v_cmp_lt_i32_e64 s0, v29, v100
	s_delay_alu instid0(VALU_DEP_1) | instskip(SKIP_1) | instid1(VALU_DEP_1)
	v_cndmask_b32_e64 v60, 0, v60, s0
	v_cmp_lt_i32_e64 s0, v33, v100
	v_cndmask_b32_e64 v61, 0, v61, s0
	v_cmp_lt_i32_e64 s0, v35, v100
	s_delay_alu instid0(VALU_DEP_1) | instskip(SKIP_1) | instid1(VALU_DEP_1)
	v_cndmask_b32_e64 v58, 0, v58, s0
	v_cmp_lt_i32_e64 s0, v34, v100
	v_cndmask_b32_e64 v59, 0, v59, s0
.LBB187_1228:                           ;   in Loop: Header=BB187_819 Depth=1
	s_or_b32 exec_lo, exec_lo, s16
	flat_load_b32 v16, v[68:69] offset:1536
	v_mov_b64_e32 v[6:7], 0
	v_mov_b64_e32 v[12:13], 0
	s_mov_b32 s16, exec_lo
	s_wait_loadcnt_dscnt 0x0
	v_and_b32_e32 v8, 0xff, v16
	s_wait_xcnt 0x0
	s_delay_alu instid0(VALU_DEP_1)
	v_cmpx_ne_u16_e32 0, v8
	s_cbranch_execz .LBB187_1236
; %bb.1229:                             ;   in Loop: Header=BB187_819 Depth=1
	v_mov_b64_e32 v[12:13], 0x80000000
	s_mov_b32 s17, exec_lo
	v_cmpx_ne_u16_e32 0x80, v8
	s_cbranch_execz .LBB187_1235
; %bb.1230:                             ;   in Loop: Header=BB187_819 Depth=1
	v_mov_b64_e32 v[12:13], 0x7f800001
	v_and_b32_e32 v9, 0x7f, v16
	s_mov_b32 s18, exec_lo
	s_delay_alu instid0(VALU_DEP_1)
	v_cmpx_ne_u32_e32 0x7f, v9
	s_cbranch_execz .LBB187_1234
; %bb.1231:                             ;   in Loop: Header=BB187_819 Depth=1
	v_dual_lshrrev_b32 v8, 3, v9 :: v_dual_bitop2_b32 v112, 7, v16 bitop3:0x40
	s_mov_b32 s19, exec_lo
	v_cmpx_gt_u32_e32 8, v9
; %bb.1232:                             ;   in Loop: Header=BB187_819 Depth=1
	s_delay_alu instid0(VALU_DEP_2) | instskip(NEXT) | instid1(VALU_DEP_1)
	v_clz_i32_u32_e32 v8, v112
	v_min_u32_e32 v8, 32, v8
	s_delay_alu instid0(VALU_DEP_1) | instskip(SKIP_1) | instid1(VALU_DEP_2)
	v_subrev_nc_u32_e32 v9, 28, v8
	v_sub_nc_u32_e32 v8, 29, v8
	v_lshlrev_b64_e32 v[12:13], v9, v[112:113]
	s_delay_alu instid0(VALU_DEP_1)
	v_and_b32_e32 v112, 7, v12
; %bb.1233:                             ;   in Loop: Header=BB187_819 Depth=1
	s_or_b32 exec_lo, exec_lo, s19
	v_lshlrev_b32_e32 v9, 24, v16
	s_delay_alu instid0(VALU_DEP_2) | instskip(SKIP_1) | instid1(VALU_DEP_3)
	v_lshlrev_b32_e32 v12, 20, v112
	v_lshl_add_u32 v8, v8, 23, 0x3c000000
	v_and_b32_e32 v9, 0x80000000, v9
	s_delay_alu instid0(VALU_DEP_1) | instskip(NEXT) | instid1(VALU_DEP_1)
	v_or3_b32 v112, v12, v9, v8
	v_mov_b64_e32 v[12:13], v[112:113]
.LBB187_1234:                           ;   in Loop: Header=BB187_819 Depth=1
	s_or_b32 exec_lo, exec_lo, s18
.LBB187_1235:                           ;   in Loop: Header=BB187_819 Depth=1
	s_delay_alu instid0(SALU_CYCLE_1)
	s_or_b32 exec_lo, exec_lo, s17
.LBB187_1236:                           ;   in Loop: Header=BB187_819 Depth=1
	s_delay_alu instid0(SALU_CYCLE_1) | instskip(SKIP_2) | instid1(VALU_DEP_1)
	s_or_b32 exec_lo, exec_lo, s16
	v_lshrrev_b16 v8, 8, v16
	s_mov_b32 s16, exec_lo
	v_cmpx_ne_u16_e32 0, v8
	s_cbranch_execz .LBB187_1244
; %bb.1237:                             ;   in Loop: Header=BB187_819 Depth=1
	v_mov_b64_e32 v[6:7], 0x8000000000000000
	s_mov_b32 s17, exec_lo
	v_cmpx_ne_u16_e32 0x80, v8
	s_cbranch_execz .LBB187_1243
; %bb.1238:                             ;   in Loop: Header=BB187_819 Depth=1
	v_and_b32_e32 v9, 0xffff, v8
	v_mov_b64_e32 v[6:7], 0x7f80000100000000
	s_mov_b32 s18, exec_lo
	s_delay_alu instid0(VALU_DEP_2) | instskip(NEXT) | instid1(VALU_DEP_1)
	v_and_b32_e32 v8, 0x7f, v9
	v_cmpx_ne_u32_e32 0x7f, v8
	s_cbranch_execz .LBB187_1242
; %bb.1239:                             ;   in Loop: Header=BB187_819 Depth=1
	v_dual_lshrrev_b32 v6, 3, v8 :: v_dual_bitop2_b32 v112, 7, v9 bitop3:0x40
	s_mov_b32 s19, exec_lo
	v_cmpx_gt_u32_e32 8, v8
; %bb.1240:                             ;   in Loop: Header=BB187_819 Depth=1
	s_delay_alu instid0(VALU_DEP_2) | instskip(NEXT) | instid1(VALU_DEP_1)
	v_clz_i32_u32_e32 v6, v112
	v_min_u32_e32 v6, 32, v6
	s_delay_alu instid0(VALU_DEP_1) | instskip(NEXT) | instid1(VALU_DEP_1)
	v_subrev_nc_u32_e32 v7, 28, v6
	v_lshlrev_b64_e32 v[8:9], v7, v[112:113]
	s_delay_alu instid0(VALU_DEP_1)
	v_dual_sub_nc_u32 v6, 29, v6 :: v_dual_bitop2_b32 v112, 7, v8 bitop3:0x40
; %bb.1241:                             ;   in Loop: Header=BB187_819 Depth=1
	s_or_b32 exec_lo, exec_lo, s19
	v_lshlrev_b32_e32 v7, 16, v16
	s_delay_alu instid0(VALU_DEP_2) | instskip(NEXT) | instid1(VALU_DEP_3)
	v_lshlrev_b32_e32 v8, 20, v112
	v_lshl_add_u32 v6, v6, 23, 0x3c000000
	s_delay_alu instid0(VALU_DEP_3) | instskip(NEXT) | instid1(VALU_DEP_1)
	v_and_b32_e32 v7, 0x80000000, v7
	v_or3_b32 v7, v8, v7, v6
	v_mov_b32_e32 v6, v113
.LBB187_1242:                           ;   in Loop: Header=BB187_819 Depth=1
	s_or_b32 exec_lo, exec_lo, s18
.LBB187_1243:                           ;   in Loop: Header=BB187_819 Depth=1
	s_delay_alu instid0(SALU_CYCLE_1)
	s_or_b32 exec_lo, exec_lo, s17
.LBB187_1244:                           ;   in Loop: Header=BB187_819 Depth=1
	s_delay_alu instid0(SALU_CYCLE_1) | instskip(SKIP_4) | instid1(VALU_DEP_3)
	s_or_b32 exec_lo, exec_lo, s16
	v_lshrrev_b32_e32 v17, 16, v16
	v_mov_b64_e32 v[14:15], 0
	v_mov_b64_e32 v[8:9], 0
	s_mov_b32 s16, exec_lo
	v_and_b32_e32 v24, 0xff, v17
	s_delay_alu instid0(VALU_DEP_1)
	v_cmpx_ne_u16_e32 0, v24
	s_cbranch_execz .LBB187_1252
; %bb.1245:                             ;   in Loop: Header=BB187_819 Depth=1
	v_mov_b64_e32 v[8:9], 0x80000000
	s_mov_b32 s17, exec_lo
	v_cmpx_ne_u16_e32 0x80, v24
	s_cbranch_execz .LBB187_1251
; %bb.1246:                             ;   in Loop: Header=BB187_819 Depth=1
	v_mov_b64_e32 v[8:9], 0x7f800001
	v_bfe_u32 v24, v16, 16, 7
	s_mov_b32 s18, exec_lo
	s_delay_alu instid0(VALU_DEP_1)
	v_cmpx_ne_u32_e32 0x7f, v24
	s_cbranch_execz .LBB187_1250
; %bb.1247:                             ;   in Loop: Header=BB187_819 Depth=1
	v_dual_lshrrev_b32 v8, 3, v24 :: v_dual_bitop2_b32 v112, 7, v17 bitop3:0x40
	s_mov_b32 s19, exec_lo
	v_cmpx_gt_u32_e32 8, v24
; %bb.1248:                             ;   in Loop: Header=BB187_819 Depth=1
	s_delay_alu instid0(VALU_DEP_2) | instskip(NEXT) | instid1(VALU_DEP_1)
	v_clz_i32_u32_e32 v8, v112
	v_min_u32_e32 v8, 32, v8
	s_delay_alu instid0(VALU_DEP_1) | instskip(SKIP_1) | instid1(VALU_DEP_2)
	v_subrev_nc_u32_e32 v9, 28, v8
	v_sub_nc_u32_e32 v8, 29, v8
	v_lshlrev_b64_e32 v[24:25], v9, v[112:113]
	s_delay_alu instid0(VALU_DEP_1)
	v_and_b32_e32 v112, 7, v24
; %bb.1249:                             ;   in Loop: Header=BB187_819 Depth=1
	s_or_b32 exec_lo, exec_lo, s19
	s_delay_alu instid0(VALU_DEP_1) | instskip(SKIP_1) | instid1(VALU_DEP_2)
	v_dual_lshlrev_b32 v9, 24, v17 :: v_dual_lshlrev_b32 v17, 20, v112
	v_lshl_add_u32 v8, v8, 23, 0x3c000000
	v_and_b32_e32 v9, 0x80000000, v9
	s_delay_alu instid0(VALU_DEP_1) | instskip(NEXT) | instid1(VALU_DEP_1)
	v_or3_b32 v112, v17, v9, v8
	v_mov_b64_e32 v[8:9], v[112:113]
.LBB187_1250:                           ;   in Loop: Header=BB187_819 Depth=1
	s_or_b32 exec_lo, exec_lo, s18
.LBB187_1251:                           ;   in Loop: Header=BB187_819 Depth=1
	s_delay_alu instid0(SALU_CYCLE_1)
	s_or_b32 exec_lo, exec_lo, s17
.LBB187_1252:                           ;   in Loop: Header=BB187_819 Depth=1
	s_delay_alu instid0(SALU_CYCLE_1) | instskip(NEXT) | instid1(SALU_CYCLE_1)
	s_or_b32 exec_lo, exec_lo, s16
	s_mov_b32 s16, exec_lo
	v_cmpx_lt_u32_e32 0xffffff, v16
	s_cbranch_execz .LBB187_1260
; %bb.1253:                             ;   in Loop: Header=BB187_819 Depth=1
	v_mov_b64_e32 v[14:15], 0x8000000000000000
	v_lshrrev_b32_e32 v17, 24, v16
	s_mov_b32 s17, exec_lo
	s_delay_alu instid0(VALU_DEP_1)
	v_cmpx_ne_u32_e32 0x80, v17
	s_cbranch_execz .LBB187_1259
; %bb.1254:                             ;   in Loop: Header=BB187_819 Depth=1
	v_mov_b64_e32 v[14:15], 0x7f80000100000000
	v_bfe_u32 v16, v16, 24, 7
	s_mov_b32 s18, exec_lo
	s_delay_alu instid0(VALU_DEP_1)
	v_cmpx_ne_u32_e32 0x7f, v16
	s_cbranch_execz .LBB187_1258
; %bb.1255:                             ;   in Loop: Header=BB187_819 Depth=1
	v_dual_lshrrev_b32 v14, 3, v16 :: v_dual_bitop2_b32 v112, 7, v17 bitop3:0x40
	s_mov_b32 s19, exec_lo
	v_cmpx_gt_u32_e32 8, v16
; %bb.1256:                             ;   in Loop: Header=BB187_819 Depth=1
	s_delay_alu instid0(VALU_DEP_2) | instskip(NEXT) | instid1(VALU_DEP_1)
	v_clz_i32_u32_e32 v14, v112
	v_min_u32_e32 v14, 32, v14
	s_delay_alu instid0(VALU_DEP_1) | instskip(NEXT) | instid1(VALU_DEP_1)
	v_subrev_nc_u32_e32 v15, 28, v14
	v_lshlrev_b64_e32 v[24:25], v15, v[112:113]
	s_delay_alu instid0(VALU_DEP_1)
	v_dual_sub_nc_u32 v14, 29, v14 :: v_dual_bitop2_b32 v112, 7, v24 bitop3:0x40
; %bb.1257:                             ;   in Loop: Header=BB187_819 Depth=1
	s_or_b32 exec_lo, exec_lo, s19
	s_delay_alu instid0(VALU_DEP_1) | instskip(NEXT) | instid1(VALU_DEP_2)
	v_dual_lshlrev_b32 v15, 24, v17 :: v_dual_lshlrev_b32 v16, 20, v112
	v_lshl_add_u32 v14, v14, 23, 0x3c000000
	s_delay_alu instid0(VALU_DEP_2) | instskip(NEXT) | instid1(VALU_DEP_1)
	v_and_b32_e32 v15, 0x80000000, v15
	v_or3_b32 v15, v16, v15, v14
	v_mov_b32_e32 v14, v113
.LBB187_1258:                           ;   in Loop: Header=BB187_819 Depth=1
	s_or_b32 exec_lo, exec_lo, s18
.LBB187_1259:                           ;   in Loop: Header=BB187_819 Depth=1
	s_delay_alu instid0(SALU_CYCLE_1)
	s_or_b32 exec_lo, exec_lo, s17
.LBB187_1260:                           ;   in Loop: Header=BB187_819 Depth=1
	s_delay_alu instid0(SALU_CYCLE_1) | instskip(SKIP_4) | instid1(VALU_DEP_3)
	s_or_b32 exec_lo, exec_lo, s16
	v_or_b32_e32 v7, v7, v13
	v_or_b32_e32 v6, v6, v12
	;; [unrolled: 1-line block ×4, first 2 shown]
	v_pk_mul_f32 v[72:73], v[54:55], v[6:7]
	s_delay_alu instid0(VALU_DEP_2)
	v_pk_mul_f32 v[62:63], v[54:55], v[8:9]
	s_and_saveexec_b32 s16, vcc_lo
	s_cbranch_execz .LBB187_1262
; %bb.1261:                             ;   in Loop: Header=BB187_819 Depth=1
	v_cmp_lt_i32_e64 s0, v29, v100
	s_delay_alu instid0(VALU_DEP_1) | instskip(SKIP_1) | instid1(VALU_DEP_1)
	v_cndmask_b32_e64 v72, 0, v72, s0
	v_cmp_lt_i32_e64 s0, v33, v100
	v_cndmask_b32_e64 v73, 0, v73, s0
	v_cmp_lt_i32_e64 s0, v35, v100
	s_delay_alu instid0(VALU_DEP_1) | instskip(SKIP_1) | instid1(VALU_DEP_1)
	v_cndmask_b32_e64 v62, 0, v62, s0
	v_cmp_lt_i32_e64 s0, v34, v100
	v_cndmask_b32_e64 v63, 0, v63, s0
.LBB187_1262:                           ;   in Loop: Header=BB187_819 Depth=1
	s_or_b32 exec_lo, exec_lo, s16
	flat_load_b32 v8, v[68:69] offset:1664
	v_mov_b64_e32 v[12:13], 0
	v_mov_b64_e32 v[6:7], 0
	s_mov_b32 s16, exec_lo
	s_wait_loadcnt_dscnt 0x0
	v_and_b32_e32 v9, 0xff, v8
	s_wait_xcnt 0x0
	s_delay_alu instid0(VALU_DEP_1)
	v_cmpx_ne_u16_e32 0, v9
	s_cbranch_execz .LBB187_1270
; %bb.1263:                             ;   in Loop: Header=BB187_819 Depth=1
	v_mov_b64_e32 v[6:7], 0x80000000
	s_mov_b32 s17, exec_lo
	v_cmpx_ne_u16_e32 0x80, v9
	s_cbranch_execz .LBB187_1269
; %bb.1264:                             ;   in Loop: Header=BB187_819 Depth=1
	v_mov_b64_e32 v[6:7], 0x7f800001
	v_and_b32_e32 v9, 0x7f, v8
	s_mov_b32 s18, exec_lo
	s_delay_alu instid0(VALU_DEP_1)
	v_cmpx_ne_u32_e32 0x7f, v9
	s_cbranch_execz .LBB187_1268
; %bb.1265:                             ;   in Loop: Header=BB187_819 Depth=1
	v_dual_lshrrev_b32 v6, 3, v9 :: v_dual_bitop2_b32 v112, 7, v8 bitop3:0x40
	s_mov_b32 s19, exec_lo
	v_cmpx_gt_u32_e32 8, v9
; %bb.1266:                             ;   in Loop: Header=BB187_819 Depth=1
	s_delay_alu instid0(VALU_DEP_2) | instskip(NEXT) | instid1(VALU_DEP_1)
	v_clz_i32_u32_e32 v6, v112
	v_min_u32_e32 v6, 32, v6
	s_delay_alu instid0(VALU_DEP_1) | instskip(SKIP_1) | instid1(VALU_DEP_2)
	v_subrev_nc_u32_e32 v7, 28, v6
	v_sub_nc_u32_e32 v6, 29, v6
	v_lshlrev_b64_e32 v[14:15], v7, v[112:113]
	s_delay_alu instid0(VALU_DEP_1)
	v_and_b32_e32 v112, 7, v14
; %bb.1267:                             ;   in Loop: Header=BB187_819 Depth=1
	s_or_b32 exec_lo, exec_lo, s19
	v_lshlrev_b32_e32 v7, 24, v8
	s_delay_alu instid0(VALU_DEP_2) | instskip(SKIP_1) | instid1(VALU_DEP_3)
	v_lshlrev_b32_e32 v9, 20, v112
	v_lshl_add_u32 v6, v6, 23, 0x3c000000
	v_and_b32_e32 v7, 0x80000000, v7
	s_delay_alu instid0(VALU_DEP_1) | instskip(NEXT) | instid1(VALU_DEP_1)
	v_or3_b32 v112, v9, v7, v6
	v_mov_b64_e32 v[6:7], v[112:113]
.LBB187_1268:                           ;   in Loop: Header=BB187_819 Depth=1
	s_or_b32 exec_lo, exec_lo, s18
.LBB187_1269:                           ;   in Loop: Header=BB187_819 Depth=1
	s_delay_alu instid0(SALU_CYCLE_1)
	s_or_b32 exec_lo, exec_lo, s17
.LBB187_1270:                           ;   in Loop: Header=BB187_819 Depth=1
	s_delay_alu instid0(SALU_CYCLE_1) | instskip(SKIP_2) | instid1(VALU_DEP_1)
	s_or_b32 exec_lo, exec_lo, s16
	v_lshrrev_b16 v9, 8, v8
	s_mov_b32 s16, exec_lo
	v_cmpx_ne_u16_e32 0, v9
	s_cbranch_execz .LBB187_1278
; %bb.1271:                             ;   in Loop: Header=BB187_819 Depth=1
	v_mov_b64_e32 v[12:13], 0x8000000000000000
	s_mov_b32 s17, exec_lo
	v_cmpx_ne_u16_e32 0x80, v9
	s_cbranch_execz .LBB187_1277
; %bb.1272:                             ;   in Loop: Header=BB187_819 Depth=1
	v_and_b32_e32 v9, 0xffff, v9
	v_mov_b64_e32 v[12:13], 0x7f80000100000000
	s_mov_b32 s18, exec_lo
	s_delay_alu instid0(VALU_DEP_2) | instskip(NEXT) | instid1(VALU_DEP_1)
	v_and_b32_e32 v14, 0x7f, v9
	v_cmpx_ne_u32_e32 0x7f, v14
	s_cbranch_execz .LBB187_1276
; %bb.1273:                             ;   in Loop: Header=BB187_819 Depth=1
	v_dual_lshrrev_b32 v9, 3, v14 :: v_dual_bitop2_b32 v112, 7, v9 bitop3:0x40
	s_mov_b32 s19, exec_lo
	v_cmpx_gt_u32_e32 8, v14
; %bb.1274:                             ;   in Loop: Header=BB187_819 Depth=1
	s_delay_alu instid0(VALU_DEP_2) | instskip(NEXT) | instid1(VALU_DEP_1)
	v_clz_i32_u32_e32 v9, v112
	v_min_u32_e32 v9, 32, v9
	s_delay_alu instid0(VALU_DEP_1) | instskip(NEXT) | instid1(VALU_DEP_1)
	v_subrev_nc_u32_e32 v12, 28, v9
	v_lshlrev_b64_e32 v[12:13], v12, v[112:113]
	s_delay_alu instid0(VALU_DEP_1)
	v_dual_sub_nc_u32 v9, 29, v9 :: v_dual_bitop2_b32 v112, 7, v12 bitop3:0x40
; %bb.1275:                             ;   in Loop: Header=BB187_819 Depth=1
	s_or_b32 exec_lo, exec_lo, s19
	v_lshlrev_b32_e32 v12, 16, v8
	s_delay_alu instid0(VALU_DEP_2) | instskip(NEXT) | instid1(VALU_DEP_3)
	v_lshlrev_b32_e32 v13, 20, v112
	v_lshl_add_u32 v9, v9, 23, 0x3c000000
	s_delay_alu instid0(VALU_DEP_3) | instskip(NEXT) | instid1(VALU_DEP_1)
	v_and_b32_e32 v12, 0x80000000, v12
	v_or3_b32 v13, v13, v12, v9
	v_mov_b32_e32 v12, v113
.LBB187_1276:                           ;   in Loop: Header=BB187_819 Depth=1
	s_or_b32 exec_lo, exec_lo, s18
.LBB187_1277:                           ;   in Loop: Header=BB187_819 Depth=1
	s_delay_alu instid0(SALU_CYCLE_1)
	s_or_b32 exec_lo, exec_lo, s17
.LBB187_1278:                           ;   in Loop: Header=BB187_819 Depth=1
	s_delay_alu instid0(SALU_CYCLE_1) | instskip(SKIP_4) | instid1(VALU_DEP_3)
	s_or_b32 exec_lo, exec_lo, s16
	v_lshrrev_b32_e32 v9, 16, v8
	v_mov_b64_e32 v[14:15], 0
	v_mov_b64_e32 v[16:17], 0
	s_mov_b32 s16, exec_lo
	v_and_b32_e32 v24, 0xff, v9
	s_delay_alu instid0(VALU_DEP_1)
	v_cmpx_ne_u16_e32 0, v24
	s_cbranch_execz .LBB187_1286
; %bb.1279:                             ;   in Loop: Header=BB187_819 Depth=1
	v_mov_b64_e32 v[16:17], 0x80000000
	s_mov_b32 s17, exec_lo
	v_cmpx_ne_u16_e32 0x80, v24
	s_cbranch_execz .LBB187_1285
; %bb.1280:                             ;   in Loop: Header=BB187_819 Depth=1
	v_mov_b64_e32 v[16:17], 0x7f800001
	v_bfe_u32 v24, v8, 16, 7
	s_mov_b32 s18, exec_lo
	s_delay_alu instid0(VALU_DEP_1)
	v_cmpx_ne_u32_e32 0x7f, v24
	s_cbranch_execz .LBB187_1284
; %bb.1281:                             ;   in Loop: Header=BB187_819 Depth=1
	v_dual_lshrrev_b32 v16, 3, v24 :: v_dual_bitop2_b32 v112, 7, v9 bitop3:0x40
	s_mov_b32 s19, exec_lo
	v_cmpx_gt_u32_e32 8, v24
; %bb.1282:                             ;   in Loop: Header=BB187_819 Depth=1
	s_delay_alu instid0(VALU_DEP_2) | instskip(NEXT) | instid1(VALU_DEP_1)
	v_clz_i32_u32_e32 v16, v112
	v_min_u32_e32 v16, 32, v16
	s_delay_alu instid0(VALU_DEP_1) | instskip(SKIP_1) | instid1(VALU_DEP_2)
	v_subrev_nc_u32_e32 v17, 28, v16
	v_sub_nc_u32_e32 v16, 29, v16
	v_lshlrev_b64_e32 v[24:25], v17, v[112:113]
	s_delay_alu instid0(VALU_DEP_1)
	v_and_b32_e32 v112, 7, v24
; %bb.1283:                             ;   in Loop: Header=BB187_819 Depth=1
	s_or_b32 exec_lo, exec_lo, s19
	s_delay_alu instid0(VALU_DEP_1) | instskip(SKIP_1) | instid1(VALU_DEP_2)
	v_dual_lshlrev_b32 v9, 24, v9 :: v_dual_lshlrev_b32 v17, 20, v112
	v_lshl_add_u32 v16, v16, 23, 0x3c000000
	v_and_b32_e32 v9, 0x80000000, v9
	s_delay_alu instid0(VALU_DEP_1) | instskip(NEXT) | instid1(VALU_DEP_1)
	v_or3_b32 v112, v17, v9, v16
	v_mov_b64_e32 v[16:17], v[112:113]
.LBB187_1284:                           ;   in Loop: Header=BB187_819 Depth=1
	s_or_b32 exec_lo, exec_lo, s18
.LBB187_1285:                           ;   in Loop: Header=BB187_819 Depth=1
	s_delay_alu instid0(SALU_CYCLE_1)
	s_or_b32 exec_lo, exec_lo, s17
.LBB187_1286:                           ;   in Loop: Header=BB187_819 Depth=1
	s_delay_alu instid0(SALU_CYCLE_1) | instskip(NEXT) | instid1(SALU_CYCLE_1)
	s_or_b32 exec_lo, exec_lo, s16
	s_mov_b32 s16, exec_lo
	v_cmpx_lt_u32_e32 0xffffff, v8
	s_cbranch_execz .LBB187_1294
; %bb.1287:                             ;   in Loop: Header=BB187_819 Depth=1
	v_mov_b64_e32 v[14:15], 0x8000000000000000
	v_lshrrev_b32_e32 v9, 24, v8
	s_mov_b32 s17, exec_lo
	s_delay_alu instid0(VALU_DEP_1)
	v_cmpx_ne_u32_e32 0x80, v9
	s_cbranch_execz .LBB187_1293
; %bb.1288:                             ;   in Loop: Header=BB187_819 Depth=1
	v_mov_b64_e32 v[14:15], 0x7f80000100000000
	v_bfe_u32 v24, v8, 24, 7
	s_mov_b32 s18, exec_lo
	s_delay_alu instid0(VALU_DEP_1)
	v_cmpx_ne_u32_e32 0x7f, v24
	s_cbranch_execz .LBB187_1292
; %bb.1289:                             ;   in Loop: Header=BB187_819 Depth=1
	v_dual_lshrrev_b32 v8, 3, v24 :: v_dual_bitop2_b32 v112, 7, v9 bitop3:0x40
	s_mov_b32 s19, exec_lo
	v_cmpx_gt_u32_e32 8, v24
; %bb.1290:                             ;   in Loop: Header=BB187_819 Depth=1
	s_delay_alu instid0(VALU_DEP_2) | instskip(NEXT) | instid1(VALU_DEP_1)
	v_clz_i32_u32_e32 v8, v112
	v_min_u32_e32 v8, 32, v8
	s_delay_alu instid0(VALU_DEP_1) | instskip(NEXT) | instid1(VALU_DEP_1)
	v_subrev_nc_u32_e32 v14, 28, v8
	v_lshlrev_b64_e32 v[14:15], v14, v[112:113]
	s_delay_alu instid0(VALU_DEP_1)
	v_dual_sub_nc_u32 v8, 29, v8 :: v_dual_bitop2_b32 v112, 7, v14 bitop3:0x40
; %bb.1291:                             ;   in Loop: Header=BB187_819 Depth=1
	s_or_b32 exec_lo, exec_lo, s19
	s_delay_alu instid0(VALU_DEP_1) | instskip(NEXT) | instid1(VALU_DEP_2)
	v_dual_lshlrev_b32 v9, 24, v9 :: v_dual_lshlrev_b32 v14, 20, v112
	v_lshl_add_u32 v8, v8, 23, 0x3c000000
	s_delay_alu instid0(VALU_DEP_2) | instskip(NEXT) | instid1(VALU_DEP_1)
	v_and_b32_e32 v9, 0x80000000, v9
	v_or3_b32 v15, v14, v9, v8
	v_mov_b32_e32 v14, v113
.LBB187_1292:                           ;   in Loop: Header=BB187_819 Depth=1
	s_or_b32 exec_lo, exec_lo, s18
.LBB187_1293:                           ;   in Loop: Header=BB187_819 Depth=1
	s_delay_alu instid0(SALU_CYCLE_1)
	s_or_b32 exec_lo, exec_lo, s17
.LBB187_1294:                           ;   in Loop: Header=BB187_819 Depth=1
	s_delay_alu instid0(SALU_CYCLE_1) | instskip(SKIP_4) | instid1(VALU_DEP_3)
	s_or_b32 exec_lo, exec_lo, s16
	v_or_b32_e32 v7, v13, v7
	v_or_b32_e32 v6, v12, v6
	;; [unrolled: 1-line block ×4, first 2 shown]
	v_pk_mul_f32 v[76:77], v[54:55], v[6:7]
	s_delay_alu instid0(VALU_DEP_2)
	v_pk_mul_f32 v[74:75], v[54:55], v[8:9]
	s_and_saveexec_b32 s16, vcc_lo
	s_cbranch_execz .LBB187_1296
; %bb.1295:                             ;   in Loop: Header=BB187_819 Depth=1
	v_cmp_lt_i32_e64 s0, v29, v100
	s_delay_alu instid0(VALU_DEP_1) | instskip(SKIP_1) | instid1(VALU_DEP_1)
	v_cndmask_b32_e64 v76, 0, v76, s0
	v_cmp_lt_i32_e64 s0, v33, v100
	v_cndmask_b32_e64 v77, 0, v77, s0
	v_cmp_lt_i32_e64 s0, v35, v100
	s_delay_alu instid0(VALU_DEP_1) | instskip(SKIP_1) | instid1(VALU_DEP_1)
	v_cndmask_b32_e64 v74, 0, v74, s0
	v_cmp_lt_i32_e64 s0, v34, v100
	v_cndmask_b32_e64 v75, 0, v75, s0
.LBB187_1296:                           ;   in Loop: Header=BB187_819 Depth=1
	s_or_b32 exec_lo, exec_lo, s16
	flat_load_b32 v8, v[68:69] offset:1792
	v_mov_b64_e32 v[12:13], 0
	v_mov_b64_e32 v[14:15], 0
	s_mov_b32 s16, exec_lo
	s_wait_loadcnt_dscnt 0x0
	v_and_b32_e32 v6, 0xff, v8
	s_wait_xcnt 0x0
	s_delay_alu instid0(VALU_DEP_1)
	v_cmpx_ne_u16_e32 0, v6
	s_cbranch_execz .LBB187_1304
; %bb.1297:                             ;   in Loop: Header=BB187_819 Depth=1
	v_mov_b64_e32 v[14:15], 0x80000000
	s_mov_b32 s17, exec_lo
	v_cmpx_ne_u16_e32 0x80, v6
	s_cbranch_execz .LBB187_1303
; %bb.1298:                             ;   in Loop: Header=BB187_819 Depth=1
	v_mov_b64_e32 v[14:15], 0x7f800001
	v_and_b32_e32 v7, 0x7f, v8
	s_mov_b32 s18, exec_lo
	s_delay_alu instid0(VALU_DEP_1)
	v_cmpx_ne_u32_e32 0x7f, v7
	s_cbranch_execz .LBB187_1302
; %bb.1299:                             ;   in Loop: Header=BB187_819 Depth=1
	v_dual_lshrrev_b32 v6, 3, v7 :: v_dual_bitop2_b32 v112, 7, v8 bitop3:0x40
	s_mov_b32 s19, exec_lo
	v_cmpx_gt_u32_e32 8, v7
; %bb.1300:                             ;   in Loop: Header=BB187_819 Depth=1
	s_delay_alu instid0(VALU_DEP_2) | instskip(NEXT) | instid1(VALU_DEP_1)
	v_clz_i32_u32_e32 v6, v112
	v_min_u32_e32 v6, 32, v6
	s_delay_alu instid0(VALU_DEP_1) | instskip(SKIP_1) | instid1(VALU_DEP_2)
	v_subrev_nc_u32_e32 v7, 28, v6
	v_sub_nc_u32_e32 v6, 29, v6
	v_lshlrev_b64_e32 v[14:15], v7, v[112:113]
	s_delay_alu instid0(VALU_DEP_1)
	v_and_b32_e32 v112, 7, v14
; %bb.1301:                             ;   in Loop: Header=BB187_819 Depth=1
	s_or_b32 exec_lo, exec_lo, s19
	v_lshlrev_b32_e32 v7, 24, v8
	s_delay_alu instid0(VALU_DEP_2) | instskip(SKIP_1) | instid1(VALU_DEP_3)
	v_lshlrev_b32_e32 v9, 20, v112
	v_lshl_add_u32 v6, v6, 23, 0x3c000000
	v_and_b32_e32 v7, 0x80000000, v7
	s_delay_alu instid0(VALU_DEP_1) | instskip(NEXT) | instid1(VALU_DEP_1)
	v_or3_b32 v112, v9, v7, v6
	v_mov_b64_e32 v[14:15], v[112:113]
.LBB187_1302:                           ;   in Loop: Header=BB187_819 Depth=1
	s_or_b32 exec_lo, exec_lo, s18
.LBB187_1303:                           ;   in Loop: Header=BB187_819 Depth=1
	s_delay_alu instid0(SALU_CYCLE_1)
	s_or_b32 exec_lo, exec_lo, s17
.LBB187_1304:                           ;   in Loop: Header=BB187_819 Depth=1
	s_delay_alu instid0(SALU_CYCLE_1) | instskip(SKIP_2) | instid1(VALU_DEP_1)
	s_or_b32 exec_lo, exec_lo, s16
	v_lshrrev_b16 v6, 8, v8
	s_mov_b32 s16, exec_lo
	v_cmpx_ne_u16_e32 0, v6
	s_cbranch_execz .LBB187_1312
; %bb.1305:                             ;   in Loop: Header=BB187_819 Depth=1
	v_mov_b64_e32 v[12:13], 0x8000000000000000
	s_mov_b32 s17, exec_lo
	v_cmpx_ne_u16_e32 0x80, v6
	s_cbranch_execz .LBB187_1311
; %bb.1306:                             ;   in Loop: Header=BB187_819 Depth=1
	v_and_b32_e32 v6, 0xffff, v6
	v_mov_b64_e32 v[12:13], 0x7f80000100000000
	s_mov_b32 s18, exec_lo
	s_delay_alu instid0(VALU_DEP_2) | instskip(NEXT) | instid1(VALU_DEP_1)
	v_and_b32_e32 v7, 0x7f, v6
	v_cmpx_ne_u32_e32 0x7f, v7
	s_cbranch_execz .LBB187_1310
; %bb.1307:                             ;   in Loop: Header=BB187_819 Depth=1
	v_dual_lshrrev_b32 v6, 3, v7 :: v_dual_bitop2_b32 v112, 7, v6 bitop3:0x40
	s_mov_b32 s19, exec_lo
	v_cmpx_gt_u32_e32 8, v7
; %bb.1308:                             ;   in Loop: Header=BB187_819 Depth=1
	s_delay_alu instid0(VALU_DEP_2) | instskip(NEXT) | instid1(VALU_DEP_1)
	v_clz_i32_u32_e32 v6, v112
	v_min_u32_e32 v6, 32, v6
	s_delay_alu instid0(VALU_DEP_1) | instskip(NEXT) | instid1(VALU_DEP_1)
	v_subrev_nc_u32_e32 v7, 28, v6
	v_lshlrev_b64_e32 v[12:13], v7, v[112:113]
	s_delay_alu instid0(VALU_DEP_1)
	v_dual_sub_nc_u32 v6, 29, v6 :: v_dual_bitop2_b32 v112, 7, v12 bitop3:0x40
; %bb.1309:                             ;   in Loop: Header=BB187_819 Depth=1
	s_or_b32 exec_lo, exec_lo, s19
	v_dual_mov_b32 v12, v113 :: v_dual_lshlrev_b32 v7, 16, v8
	s_delay_alu instid0(VALU_DEP_2) | instskip(NEXT) | instid1(VALU_DEP_3)
	v_lshlrev_b32_e32 v9, 20, v112
	v_lshl_add_u32 v6, v6, 23, 0x3c000000
	s_delay_alu instid0(VALU_DEP_3) | instskip(NEXT) | instid1(VALU_DEP_1)
	v_and_b32_e32 v7, 0x80000000, v7
	v_or3_b32 v13, v9, v7, v6
.LBB187_1310:                           ;   in Loop: Header=BB187_819 Depth=1
	s_or_b32 exec_lo, exec_lo, s18
.LBB187_1311:                           ;   in Loop: Header=BB187_819 Depth=1
	s_delay_alu instid0(SALU_CYCLE_1)
	s_or_b32 exec_lo, exec_lo, s17
.LBB187_1312:                           ;   in Loop: Header=BB187_819 Depth=1
	s_delay_alu instid0(SALU_CYCLE_1) | instskip(SKIP_4) | instid1(VALU_DEP_3)
	s_or_b32 exec_lo, exec_lo, s16
	v_lshrrev_b32_e32 v9, 16, v8
	v_mov_b64_e32 v[6:7], 0
	v_mov_b64_e32 v[16:17], 0
	s_mov_b32 s16, exec_lo
	v_and_b32_e32 v24, 0xff, v9
	s_delay_alu instid0(VALU_DEP_1)
	v_cmpx_ne_u16_e32 0, v24
	s_cbranch_execz .LBB187_1320
; %bb.1313:                             ;   in Loop: Header=BB187_819 Depth=1
	v_mov_b64_e32 v[16:17], 0x80000000
	s_mov_b32 s17, exec_lo
	v_cmpx_ne_u16_e32 0x80, v24
	s_cbranch_execz .LBB187_1319
; %bb.1314:                             ;   in Loop: Header=BB187_819 Depth=1
	v_mov_b64_e32 v[16:17], 0x7f800001
	v_bfe_u32 v24, v8, 16, 7
	s_mov_b32 s18, exec_lo
	s_delay_alu instid0(VALU_DEP_1)
	v_cmpx_ne_u32_e32 0x7f, v24
	s_cbranch_execz .LBB187_1318
; %bb.1315:                             ;   in Loop: Header=BB187_819 Depth=1
	v_dual_lshrrev_b32 v16, 3, v24 :: v_dual_bitop2_b32 v112, 7, v9 bitop3:0x40
	s_mov_b32 s19, exec_lo
	v_cmpx_gt_u32_e32 8, v24
; %bb.1316:                             ;   in Loop: Header=BB187_819 Depth=1
	s_delay_alu instid0(VALU_DEP_2) | instskip(NEXT) | instid1(VALU_DEP_1)
	v_clz_i32_u32_e32 v16, v112
	v_min_u32_e32 v16, 32, v16
	s_delay_alu instid0(VALU_DEP_1) | instskip(SKIP_1) | instid1(VALU_DEP_2)
	v_subrev_nc_u32_e32 v17, 28, v16
	v_sub_nc_u32_e32 v16, 29, v16
	v_lshlrev_b64_e32 v[24:25], v17, v[112:113]
	s_delay_alu instid0(VALU_DEP_1)
	v_and_b32_e32 v112, 7, v24
; %bb.1317:                             ;   in Loop: Header=BB187_819 Depth=1
	s_or_b32 exec_lo, exec_lo, s19
	s_delay_alu instid0(VALU_DEP_1) | instskip(SKIP_1) | instid1(VALU_DEP_2)
	v_dual_lshlrev_b32 v9, 24, v9 :: v_dual_lshlrev_b32 v17, 20, v112
	v_lshl_add_u32 v16, v16, 23, 0x3c000000
	v_and_b32_e32 v9, 0x80000000, v9
	s_delay_alu instid0(VALU_DEP_1) | instskip(NEXT) | instid1(VALU_DEP_1)
	v_or3_b32 v112, v17, v9, v16
	v_mov_b64_e32 v[16:17], v[112:113]
.LBB187_1318:                           ;   in Loop: Header=BB187_819 Depth=1
	s_or_b32 exec_lo, exec_lo, s18
.LBB187_1319:                           ;   in Loop: Header=BB187_819 Depth=1
	s_delay_alu instid0(SALU_CYCLE_1)
	s_or_b32 exec_lo, exec_lo, s17
.LBB187_1320:                           ;   in Loop: Header=BB187_819 Depth=1
	s_delay_alu instid0(SALU_CYCLE_1) | instskip(NEXT) | instid1(SALU_CYCLE_1)
	s_or_b32 exec_lo, exec_lo, s16
	s_mov_b32 s16, exec_lo
	v_cmpx_lt_u32_e32 0xffffff, v8
	s_cbranch_execz .LBB187_1328
; %bb.1321:                             ;   in Loop: Header=BB187_819 Depth=1
	v_mov_b64_e32 v[6:7], 0x8000000000000000
	v_lshrrev_b32_e32 v9, 24, v8
	s_mov_b32 s17, exec_lo
	s_delay_alu instid0(VALU_DEP_1)
	v_cmpx_ne_u32_e32 0x80, v9
	s_cbranch_execz .LBB187_1327
; %bb.1322:                             ;   in Loop: Header=BB187_819 Depth=1
	v_mov_b64_e32 v[6:7], 0x7f80000100000000
	v_bfe_u32 v8, v8, 24, 7
	s_mov_b32 s18, exec_lo
	s_delay_alu instid0(VALU_DEP_1)
	v_cmpx_ne_u32_e32 0x7f, v8
	s_cbranch_execz .LBB187_1326
; %bb.1323:                             ;   in Loop: Header=BB187_819 Depth=1
	v_dual_lshrrev_b32 v6, 3, v8 :: v_dual_bitop2_b32 v112, 7, v9 bitop3:0x40
	s_mov_b32 s19, exec_lo
	v_cmpx_gt_u32_e32 8, v8
; %bb.1324:                             ;   in Loop: Header=BB187_819 Depth=1
	s_delay_alu instid0(VALU_DEP_2) | instskip(NEXT) | instid1(VALU_DEP_1)
	v_clz_i32_u32_e32 v6, v112
	v_min_u32_e32 v6, 32, v6
	s_delay_alu instid0(VALU_DEP_1) | instskip(NEXT) | instid1(VALU_DEP_1)
	v_subrev_nc_u32_e32 v7, 28, v6
	v_lshlrev_b64_e32 v[24:25], v7, v[112:113]
	s_delay_alu instid0(VALU_DEP_1)
	v_dual_sub_nc_u32 v6, 29, v6 :: v_dual_bitop2_b32 v112, 7, v24 bitop3:0x40
; %bb.1325:                             ;   in Loop: Header=BB187_819 Depth=1
	s_or_b32 exec_lo, exec_lo, s19
	s_delay_alu instid0(VALU_DEP_1) | instskip(NEXT) | instid1(VALU_DEP_2)
	v_dual_lshlrev_b32 v7, 24, v9 :: v_dual_lshlrev_b32 v8, 20, v112
	v_lshl_add_u32 v6, v6, 23, 0x3c000000
	s_delay_alu instid0(VALU_DEP_2) | instskip(NEXT) | instid1(VALU_DEP_1)
	v_and_b32_e32 v7, 0x80000000, v7
	v_or3_b32 v7, v8, v7, v6
	v_mov_b32_e32 v6, v113
.LBB187_1326:                           ;   in Loop: Header=BB187_819 Depth=1
	s_or_b32 exec_lo, exec_lo, s18
.LBB187_1327:                           ;   in Loop: Header=BB187_819 Depth=1
	s_delay_alu instid0(SALU_CYCLE_1)
	s_or_b32 exec_lo, exec_lo, s17
.LBB187_1328:                           ;   in Loop: Header=BB187_819 Depth=1
	s_delay_alu instid0(SALU_CYCLE_1) | instskip(SKIP_4) | instid1(VALU_DEP_3)
	s_or_b32 exec_lo, exec_lo, s16
	v_or_b32_e32 v9, v13, v15
	v_or_b32_e32 v8, v12, v14
	;; [unrolled: 1-line block ×4, first 2 shown]
	v_pk_mul_f32 v[88:89], v[54:55], v[8:9]
	s_delay_alu instid0(VALU_DEP_2)
	v_pk_mul_f32 v[78:79], v[54:55], v[6:7]
	s_and_saveexec_b32 s16, vcc_lo
	s_cbranch_execz .LBB187_1330
; %bb.1329:                             ;   in Loop: Header=BB187_819 Depth=1
	v_cmp_lt_i32_e64 s0, v29, v100
	s_delay_alu instid0(VALU_DEP_1) | instskip(SKIP_1) | instid1(VALU_DEP_1)
	v_cndmask_b32_e64 v88, 0, v88, s0
	v_cmp_lt_i32_e64 s0, v33, v100
	v_cndmask_b32_e64 v89, 0, v89, s0
	v_cmp_lt_i32_e64 s0, v35, v100
	s_delay_alu instid0(VALU_DEP_1) | instskip(SKIP_1) | instid1(VALU_DEP_1)
	v_cndmask_b32_e64 v78, 0, v78, s0
	v_cmp_lt_i32_e64 s0, v34, v100
	v_cndmask_b32_e64 v79, 0, v79, s0
.LBB187_1330:                           ;   in Loop: Header=BB187_819 Depth=1
	s_or_b32 exec_lo, exec_lo, s16
	flat_load_b32 v8, v[68:69] offset:1920
	v_mov_b64_e32 v[12:13], 0
	v_mov_b64_e32 v[14:15], 0
	s_mov_b32 s16, exec_lo
	s_wait_loadcnt_dscnt 0x0
	v_and_b32_e32 v6, 0xff, v8
	s_wait_xcnt 0x0
	s_delay_alu instid0(VALU_DEP_1)
	v_cmpx_ne_u16_e32 0, v6
	s_cbranch_execz .LBB187_1338
; %bb.1331:                             ;   in Loop: Header=BB187_819 Depth=1
	v_mov_b64_e32 v[14:15], 0x80000000
	s_mov_b32 s17, exec_lo
	v_cmpx_ne_u16_e32 0x80, v6
	s_cbranch_execz .LBB187_1337
; %bb.1332:                             ;   in Loop: Header=BB187_819 Depth=1
	v_mov_b64_e32 v[14:15], 0x7f800001
	v_and_b32_e32 v7, 0x7f, v8
	s_mov_b32 s18, exec_lo
	s_delay_alu instid0(VALU_DEP_1)
	v_cmpx_ne_u32_e32 0x7f, v7
	s_cbranch_execz .LBB187_1336
; %bb.1333:                             ;   in Loop: Header=BB187_819 Depth=1
	v_dual_lshrrev_b32 v6, 3, v7 :: v_dual_bitop2_b32 v112, 7, v8 bitop3:0x40
	s_mov_b32 s19, exec_lo
	v_cmpx_gt_u32_e32 8, v7
; %bb.1334:                             ;   in Loop: Header=BB187_819 Depth=1
	s_delay_alu instid0(VALU_DEP_2) | instskip(NEXT) | instid1(VALU_DEP_1)
	v_clz_i32_u32_e32 v6, v112
	v_min_u32_e32 v6, 32, v6
	s_delay_alu instid0(VALU_DEP_1) | instskip(SKIP_1) | instid1(VALU_DEP_2)
	v_subrev_nc_u32_e32 v7, 28, v6
	v_sub_nc_u32_e32 v6, 29, v6
	v_lshlrev_b64_e32 v[14:15], v7, v[112:113]
	s_delay_alu instid0(VALU_DEP_1)
	v_and_b32_e32 v112, 7, v14
; %bb.1335:                             ;   in Loop: Header=BB187_819 Depth=1
	s_or_b32 exec_lo, exec_lo, s19
	v_lshlrev_b32_e32 v7, 24, v8
	s_delay_alu instid0(VALU_DEP_2) | instskip(SKIP_1) | instid1(VALU_DEP_3)
	v_lshlrev_b32_e32 v9, 20, v112
	v_lshl_add_u32 v6, v6, 23, 0x3c000000
	v_and_b32_e32 v7, 0x80000000, v7
	s_delay_alu instid0(VALU_DEP_1) | instskip(NEXT) | instid1(VALU_DEP_1)
	v_or3_b32 v112, v9, v7, v6
	v_mov_b64_e32 v[14:15], v[112:113]
.LBB187_1336:                           ;   in Loop: Header=BB187_819 Depth=1
	s_or_b32 exec_lo, exec_lo, s18
.LBB187_1337:                           ;   in Loop: Header=BB187_819 Depth=1
	s_delay_alu instid0(SALU_CYCLE_1)
	s_or_b32 exec_lo, exec_lo, s17
.LBB187_1338:                           ;   in Loop: Header=BB187_819 Depth=1
	s_delay_alu instid0(SALU_CYCLE_1) | instskip(SKIP_2) | instid1(VALU_DEP_1)
	s_or_b32 exec_lo, exec_lo, s16
	v_lshrrev_b16 v6, 8, v8
	s_mov_b32 s16, exec_lo
	v_cmpx_ne_u16_e32 0, v6
	s_cbranch_execz .LBB187_1346
; %bb.1339:                             ;   in Loop: Header=BB187_819 Depth=1
	v_mov_b64_e32 v[12:13], 0x8000000000000000
	s_mov_b32 s17, exec_lo
	v_cmpx_ne_u16_e32 0x80, v6
	s_cbranch_execz .LBB187_1345
; %bb.1340:                             ;   in Loop: Header=BB187_819 Depth=1
	v_and_b32_e32 v6, 0xffff, v6
	v_mov_b64_e32 v[12:13], 0x7f80000100000000
	s_mov_b32 s18, exec_lo
	s_delay_alu instid0(VALU_DEP_2) | instskip(NEXT) | instid1(VALU_DEP_1)
	v_and_b32_e32 v7, 0x7f, v6
	v_cmpx_ne_u32_e32 0x7f, v7
	s_cbranch_execz .LBB187_1344
; %bb.1341:                             ;   in Loop: Header=BB187_819 Depth=1
	v_dual_lshrrev_b32 v6, 3, v7 :: v_dual_bitop2_b32 v112, 7, v6 bitop3:0x40
	s_mov_b32 s19, exec_lo
	v_cmpx_gt_u32_e32 8, v7
; %bb.1342:                             ;   in Loop: Header=BB187_819 Depth=1
	s_delay_alu instid0(VALU_DEP_2) | instskip(NEXT) | instid1(VALU_DEP_1)
	v_clz_i32_u32_e32 v6, v112
	v_min_u32_e32 v6, 32, v6
	s_delay_alu instid0(VALU_DEP_1) | instskip(NEXT) | instid1(VALU_DEP_1)
	v_subrev_nc_u32_e32 v7, 28, v6
	v_lshlrev_b64_e32 v[12:13], v7, v[112:113]
	s_delay_alu instid0(VALU_DEP_1)
	v_dual_sub_nc_u32 v6, 29, v6 :: v_dual_bitop2_b32 v112, 7, v12 bitop3:0x40
; %bb.1343:                             ;   in Loop: Header=BB187_819 Depth=1
	s_or_b32 exec_lo, exec_lo, s19
	v_dual_mov_b32 v12, v113 :: v_dual_lshlrev_b32 v7, 16, v8
	s_delay_alu instid0(VALU_DEP_2) | instskip(NEXT) | instid1(VALU_DEP_3)
	v_lshlrev_b32_e32 v9, 20, v112
	v_lshl_add_u32 v6, v6, 23, 0x3c000000
	s_delay_alu instid0(VALU_DEP_3) | instskip(NEXT) | instid1(VALU_DEP_1)
	v_and_b32_e32 v7, 0x80000000, v7
	v_or3_b32 v13, v9, v7, v6
.LBB187_1344:                           ;   in Loop: Header=BB187_819 Depth=1
	s_or_b32 exec_lo, exec_lo, s18
.LBB187_1345:                           ;   in Loop: Header=BB187_819 Depth=1
	s_delay_alu instid0(SALU_CYCLE_1)
	s_or_b32 exec_lo, exec_lo, s17
.LBB187_1346:                           ;   in Loop: Header=BB187_819 Depth=1
	s_delay_alu instid0(SALU_CYCLE_1) | instskip(SKIP_4) | instid1(VALU_DEP_3)
	s_or_b32 exec_lo, exec_lo, s16
	v_lshrrev_b32_e32 v9, 16, v8
	v_mov_b64_e32 v[6:7], 0
	v_mov_b64_e32 v[16:17], 0
	s_mov_b32 s16, exec_lo
	v_and_b32_e32 v24, 0xff, v9
	s_delay_alu instid0(VALU_DEP_1)
	v_cmpx_ne_u16_e32 0, v24
	s_cbranch_execz .LBB187_1354
; %bb.1347:                             ;   in Loop: Header=BB187_819 Depth=1
	v_mov_b64_e32 v[16:17], 0x80000000
	s_mov_b32 s17, exec_lo
	v_cmpx_ne_u16_e32 0x80, v24
	s_cbranch_execz .LBB187_1353
; %bb.1348:                             ;   in Loop: Header=BB187_819 Depth=1
	v_mov_b64_e32 v[16:17], 0x7f800001
	v_bfe_u32 v24, v8, 16, 7
	s_mov_b32 s18, exec_lo
	s_delay_alu instid0(VALU_DEP_1)
	v_cmpx_ne_u32_e32 0x7f, v24
	s_cbranch_execz .LBB187_1352
; %bb.1349:                             ;   in Loop: Header=BB187_819 Depth=1
	v_dual_lshrrev_b32 v16, 3, v24 :: v_dual_bitop2_b32 v112, 7, v9 bitop3:0x40
	s_mov_b32 s19, exec_lo
	v_cmpx_gt_u32_e32 8, v24
; %bb.1350:                             ;   in Loop: Header=BB187_819 Depth=1
	s_delay_alu instid0(VALU_DEP_2) | instskip(NEXT) | instid1(VALU_DEP_1)
	v_clz_i32_u32_e32 v16, v112
	v_min_u32_e32 v16, 32, v16
	s_delay_alu instid0(VALU_DEP_1) | instskip(SKIP_1) | instid1(VALU_DEP_2)
	v_subrev_nc_u32_e32 v17, 28, v16
	v_sub_nc_u32_e32 v16, 29, v16
	v_lshlrev_b64_e32 v[24:25], v17, v[112:113]
	s_delay_alu instid0(VALU_DEP_1)
	v_and_b32_e32 v112, 7, v24
; %bb.1351:                             ;   in Loop: Header=BB187_819 Depth=1
	s_or_b32 exec_lo, exec_lo, s19
	s_delay_alu instid0(VALU_DEP_1) | instskip(SKIP_1) | instid1(VALU_DEP_2)
	v_dual_lshlrev_b32 v9, 24, v9 :: v_dual_lshlrev_b32 v17, 20, v112
	v_lshl_add_u32 v16, v16, 23, 0x3c000000
	v_and_b32_e32 v9, 0x80000000, v9
	s_delay_alu instid0(VALU_DEP_1) | instskip(NEXT) | instid1(VALU_DEP_1)
	v_or3_b32 v112, v17, v9, v16
	v_mov_b64_e32 v[16:17], v[112:113]
.LBB187_1352:                           ;   in Loop: Header=BB187_819 Depth=1
	s_or_b32 exec_lo, exec_lo, s18
.LBB187_1353:                           ;   in Loop: Header=BB187_819 Depth=1
	s_delay_alu instid0(SALU_CYCLE_1)
	s_or_b32 exec_lo, exec_lo, s17
.LBB187_1354:                           ;   in Loop: Header=BB187_819 Depth=1
	s_delay_alu instid0(SALU_CYCLE_1) | instskip(NEXT) | instid1(SALU_CYCLE_1)
	s_or_b32 exec_lo, exec_lo, s16
	s_mov_b32 s16, exec_lo
	v_cmpx_lt_u32_e32 0xffffff, v8
	s_cbranch_execz .LBB187_1362
; %bb.1355:                             ;   in Loop: Header=BB187_819 Depth=1
	v_mov_b64_e32 v[6:7], 0x8000000000000000
	v_lshrrev_b32_e32 v9, 24, v8
	s_mov_b32 s17, exec_lo
	s_delay_alu instid0(VALU_DEP_1)
	v_cmpx_ne_u32_e32 0x80, v9
	s_cbranch_execz .LBB187_1361
; %bb.1356:                             ;   in Loop: Header=BB187_819 Depth=1
	v_mov_b64_e32 v[6:7], 0x7f80000100000000
	v_bfe_u32 v8, v8, 24, 7
	s_mov_b32 s18, exec_lo
	s_delay_alu instid0(VALU_DEP_1)
	v_cmpx_ne_u32_e32 0x7f, v8
	s_cbranch_execz .LBB187_1360
; %bb.1357:                             ;   in Loop: Header=BB187_819 Depth=1
	v_dual_lshrrev_b32 v6, 3, v8 :: v_dual_bitop2_b32 v112, 7, v9 bitop3:0x40
	s_mov_b32 s19, exec_lo
	v_cmpx_gt_u32_e32 8, v8
; %bb.1358:                             ;   in Loop: Header=BB187_819 Depth=1
	s_delay_alu instid0(VALU_DEP_2) | instskip(NEXT) | instid1(VALU_DEP_1)
	v_clz_i32_u32_e32 v6, v112
	v_min_u32_e32 v6, 32, v6
	s_delay_alu instid0(VALU_DEP_1) | instskip(NEXT) | instid1(VALU_DEP_1)
	v_subrev_nc_u32_e32 v7, 28, v6
	v_lshlrev_b64_e32 v[24:25], v7, v[112:113]
	s_delay_alu instid0(VALU_DEP_1)
	v_dual_sub_nc_u32 v6, 29, v6 :: v_dual_bitop2_b32 v112, 7, v24 bitop3:0x40
; %bb.1359:                             ;   in Loop: Header=BB187_819 Depth=1
	s_or_b32 exec_lo, exec_lo, s19
	s_delay_alu instid0(VALU_DEP_1) | instskip(NEXT) | instid1(VALU_DEP_2)
	v_dual_lshlrev_b32 v7, 24, v9 :: v_dual_lshlrev_b32 v8, 20, v112
	v_lshl_add_u32 v6, v6, 23, 0x3c000000
	s_delay_alu instid0(VALU_DEP_2) | instskip(NEXT) | instid1(VALU_DEP_1)
	v_and_b32_e32 v7, 0x80000000, v7
	v_or3_b32 v7, v8, v7, v6
	v_mov_b32_e32 v6, v113
.LBB187_1360:                           ;   in Loop: Header=BB187_819 Depth=1
	s_or_b32 exec_lo, exec_lo, s18
.LBB187_1361:                           ;   in Loop: Header=BB187_819 Depth=1
	s_delay_alu instid0(SALU_CYCLE_1)
	s_or_b32 exec_lo, exec_lo, s17
.LBB187_1362:                           ;   in Loop: Header=BB187_819 Depth=1
	s_delay_alu instid0(SALU_CYCLE_1) | instskip(SKIP_4) | instid1(VALU_DEP_3)
	s_or_b32 exec_lo, exec_lo, s16
	v_or_b32_e32 v9, v13, v15
	v_or_b32_e32 v8, v12, v14
	;; [unrolled: 1-line block ×4, first 2 shown]
	v_pk_mul_f32 v[92:93], v[54:55], v[8:9]
	s_delay_alu instid0(VALU_DEP_2)
	v_pk_mul_f32 v[90:91], v[54:55], v[6:7]
	s_and_saveexec_b32 s16, vcc_lo
	s_cbranch_execz .LBB187_1364
; %bb.1363:                             ;   in Loop: Header=BB187_819 Depth=1
	v_cmp_lt_i32_e64 s0, v29, v100
	s_delay_alu instid0(VALU_DEP_1) | instskip(SKIP_1) | instid1(VALU_DEP_1)
	v_cndmask_b32_e64 v92, 0, v92, s0
	v_cmp_lt_i32_e64 s0, v33, v100
	v_cndmask_b32_e64 v93, 0, v93, s0
	v_cmp_lt_i32_e64 s0, v35, v100
	s_delay_alu instid0(VALU_DEP_1) | instskip(SKIP_1) | instid1(VALU_DEP_1)
	v_cndmask_b32_e64 v90, 0, v90, s0
	v_cmp_lt_i32_e64 s0, v34, v100
	v_cndmask_b32_e64 v91, 0, v91, s0
.LBB187_1364:                           ;   in Loop: Header=BB187_819 Depth=1
	s_or_b32 exec_lo, exec_lo, s16
	flat_load_b32 v8, v[68:69] offset:2048
	v_mov_b64_e32 v[12:13], 0
	v_mov_b64_e32 v[14:15], 0
	s_mov_b32 s16, exec_lo
	s_wait_loadcnt_dscnt 0x0
	v_and_b32_e32 v6, 0xff, v8
	s_wait_xcnt 0x0
	s_delay_alu instid0(VALU_DEP_1)
	v_cmpx_ne_u16_e32 0, v6
	s_cbranch_execz .LBB187_1372
; %bb.1365:                             ;   in Loop: Header=BB187_819 Depth=1
	v_mov_b64_e32 v[14:15], 0x80000000
	s_mov_b32 s17, exec_lo
	v_cmpx_ne_u16_e32 0x80, v6
	s_cbranch_execz .LBB187_1371
; %bb.1366:                             ;   in Loop: Header=BB187_819 Depth=1
	v_mov_b64_e32 v[14:15], 0x7f800001
	v_and_b32_e32 v7, 0x7f, v8
	s_mov_b32 s18, exec_lo
	s_delay_alu instid0(VALU_DEP_1)
	v_cmpx_ne_u32_e32 0x7f, v7
	s_cbranch_execz .LBB187_1370
; %bb.1367:                             ;   in Loop: Header=BB187_819 Depth=1
	v_dual_lshrrev_b32 v6, 3, v7 :: v_dual_bitop2_b32 v112, 7, v8 bitop3:0x40
	s_mov_b32 s19, exec_lo
	v_cmpx_gt_u32_e32 8, v7
; %bb.1368:                             ;   in Loop: Header=BB187_819 Depth=1
	s_delay_alu instid0(VALU_DEP_2) | instskip(NEXT) | instid1(VALU_DEP_1)
	v_clz_i32_u32_e32 v6, v112
	v_min_u32_e32 v6, 32, v6
	s_delay_alu instid0(VALU_DEP_1) | instskip(SKIP_1) | instid1(VALU_DEP_2)
	v_subrev_nc_u32_e32 v7, 28, v6
	v_sub_nc_u32_e32 v6, 29, v6
	v_lshlrev_b64_e32 v[14:15], v7, v[112:113]
	s_delay_alu instid0(VALU_DEP_1)
	v_and_b32_e32 v112, 7, v14
; %bb.1369:                             ;   in Loop: Header=BB187_819 Depth=1
	s_or_b32 exec_lo, exec_lo, s19
	v_lshlrev_b32_e32 v7, 24, v8
	s_delay_alu instid0(VALU_DEP_2) | instskip(SKIP_1) | instid1(VALU_DEP_3)
	v_lshlrev_b32_e32 v9, 20, v112
	v_lshl_add_u32 v6, v6, 23, 0x3c000000
	v_and_b32_e32 v7, 0x80000000, v7
	s_delay_alu instid0(VALU_DEP_1) | instskip(NEXT) | instid1(VALU_DEP_1)
	v_or3_b32 v112, v9, v7, v6
	v_mov_b64_e32 v[14:15], v[112:113]
.LBB187_1370:                           ;   in Loop: Header=BB187_819 Depth=1
	s_or_b32 exec_lo, exec_lo, s18
.LBB187_1371:                           ;   in Loop: Header=BB187_819 Depth=1
	s_delay_alu instid0(SALU_CYCLE_1)
	s_or_b32 exec_lo, exec_lo, s17
.LBB187_1372:                           ;   in Loop: Header=BB187_819 Depth=1
	s_delay_alu instid0(SALU_CYCLE_1) | instskip(SKIP_2) | instid1(VALU_DEP_1)
	s_or_b32 exec_lo, exec_lo, s16
	v_lshrrev_b16 v6, 8, v8
	s_mov_b32 s16, exec_lo
	v_cmpx_ne_u16_e32 0, v6
	s_cbranch_execz .LBB187_1380
; %bb.1373:                             ;   in Loop: Header=BB187_819 Depth=1
	v_mov_b64_e32 v[12:13], 0x8000000000000000
	s_mov_b32 s17, exec_lo
	v_cmpx_ne_u16_e32 0x80, v6
	s_cbranch_execz .LBB187_1379
; %bb.1374:                             ;   in Loop: Header=BB187_819 Depth=1
	v_and_b32_e32 v6, 0xffff, v6
	v_mov_b64_e32 v[12:13], 0x7f80000100000000
	s_mov_b32 s18, exec_lo
	s_delay_alu instid0(VALU_DEP_2) | instskip(NEXT) | instid1(VALU_DEP_1)
	v_and_b32_e32 v7, 0x7f, v6
	v_cmpx_ne_u32_e32 0x7f, v7
	s_cbranch_execz .LBB187_1378
; %bb.1375:                             ;   in Loop: Header=BB187_819 Depth=1
	v_dual_lshrrev_b32 v6, 3, v7 :: v_dual_bitop2_b32 v112, 7, v6 bitop3:0x40
	s_mov_b32 s19, exec_lo
	v_cmpx_gt_u32_e32 8, v7
; %bb.1376:                             ;   in Loop: Header=BB187_819 Depth=1
	s_delay_alu instid0(VALU_DEP_2) | instskip(NEXT) | instid1(VALU_DEP_1)
	v_clz_i32_u32_e32 v6, v112
	v_min_u32_e32 v6, 32, v6
	s_delay_alu instid0(VALU_DEP_1) | instskip(NEXT) | instid1(VALU_DEP_1)
	v_subrev_nc_u32_e32 v7, 28, v6
	v_lshlrev_b64_e32 v[12:13], v7, v[112:113]
	s_delay_alu instid0(VALU_DEP_1)
	v_dual_sub_nc_u32 v6, 29, v6 :: v_dual_bitop2_b32 v112, 7, v12 bitop3:0x40
; %bb.1377:                             ;   in Loop: Header=BB187_819 Depth=1
	s_or_b32 exec_lo, exec_lo, s19
	v_dual_mov_b32 v12, v113 :: v_dual_lshlrev_b32 v7, 16, v8
	s_delay_alu instid0(VALU_DEP_2) | instskip(NEXT) | instid1(VALU_DEP_3)
	v_lshlrev_b32_e32 v9, 20, v112
	v_lshl_add_u32 v6, v6, 23, 0x3c000000
	s_delay_alu instid0(VALU_DEP_3) | instskip(NEXT) | instid1(VALU_DEP_1)
	v_and_b32_e32 v7, 0x80000000, v7
	v_or3_b32 v13, v9, v7, v6
.LBB187_1378:                           ;   in Loop: Header=BB187_819 Depth=1
	s_or_b32 exec_lo, exec_lo, s18
.LBB187_1379:                           ;   in Loop: Header=BB187_819 Depth=1
	s_delay_alu instid0(SALU_CYCLE_1)
	s_or_b32 exec_lo, exec_lo, s17
.LBB187_1380:                           ;   in Loop: Header=BB187_819 Depth=1
	s_delay_alu instid0(SALU_CYCLE_1) | instskip(SKIP_4) | instid1(VALU_DEP_3)
	s_or_b32 exec_lo, exec_lo, s16
	v_lshrrev_b32_e32 v9, 16, v8
	v_mov_b64_e32 v[6:7], 0
	v_mov_b64_e32 v[16:17], 0
	s_mov_b32 s16, exec_lo
	v_and_b32_e32 v24, 0xff, v9
	s_delay_alu instid0(VALU_DEP_1)
	v_cmpx_ne_u16_e32 0, v24
	s_cbranch_execz .LBB187_1388
; %bb.1381:                             ;   in Loop: Header=BB187_819 Depth=1
	v_mov_b64_e32 v[16:17], 0x80000000
	s_mov_b32 s17, exec_lo
	v_cmpx_ne_u16_e32 0x80, v24
	s_cbranch_execz .LBB187_1387
; %bb.1382:                             ;   in Loop: Header=BB187_819 Depth=1
	v_mov_b64_e32 v[16:17], 0x7f800001
	v_bfe_u32 v24, v8, 16, 7
	s_mov_b32 s18, exec_lo
	s_delay_alu instid0(VALU_DEP_1)
	v_cmpx_ne_u32_e32 0x7f, v24
	s_cbranch_execz .LBB187_1386
; %bb.1383:                             ;   in Loop: Header=BB187_819 Depth=1
	v_dual_lshrrev_b32 v16, 3, v24 :: v_dual_bitop2_b32 v112, 7, v9 bitop3:0x40
	s_mov_b32 s19, exec_lo
	v_cmpx_gt_u32_e32 8, v24
; %bb.1384:                             ;   in Loop: Header=BB187_819 Depth=1
	s_delay_alu instid0(VALU_DEP_2) | instskip(NEXT) | instid1(VALU_DEP_1)
	v_clz_i32_u32_e32 v16, v112
	v_min_u32_e32 v16, 32, v16
	s_delay_alu instid0(VALU_DEP_1) | instskip(SKIP_1) | instid1(VALU_DEP_2)
	v_subrev_nc_u32_e32 v17, 28, v16
	v_sub_nc_u32_e32 v16, 29, v16
	v_lshlrev_b64_e32 v[24:25], v17, v[112:113]
	s_delay_alu instid0(VALU_DEP_1)
	v_and_b32_e32 v112, 7, v24
; %bb.1385:                             ;   in Loop: Header=BB187_819 Depth=1
	s_or_b32 exec_lo, exec_lo, s19
	s_delay_alu instid0(VALU_DEP_1) | instskip(SKIP_1) | instid1(VALU_DEP_2)
	v_dual_lshlrev_b32 v9, 24, v9 :: v_dual_lshlrev_b32 v17, 20, v112
	v_lshl_add_u32 v16, v16, 23, 0x3c000000
	v_and_b32_e32 v9, 0x80000000, v9
	s_delay_alu instid0(VALU_DEP_1) | instskip(NEXT) | instid1(VALU_DEP_1)
	v_or3_b32 v112, v17, v9, v16
	v_mov_b64_e32 v[16:17], v[112:113]
.LBB187_1386:                           ;   in Loop: Header=BB187_819 Depth=1
	s_or_b32 exec_lo, exec_lo, s18
.LBB187_1387:                           ;   in Loop: Header=BB187_819 Depth=1
	s_delay_alu instid0(SALU_CYCLE_1)
	s_or_b32 exec_lo, exec_lo, s17
.LBB187_1388:                           ;   in Loop: Header=BB187_819 Depth=1
	s_delay_alu instid0(SALU_CYCLE_1) | instskip(NEXT) | instid1(SALU_CYCLE_1)
	s_or_b32 exec_lo, exec_lo, s16
	s_mov_b32 s16, exec_lo
	v_cmpx_lt_u32_e32 0xffffff, v8
	s_cbranch_execz .LBB187_1396
; %bb.1389:                             ;   in Loop: Header=BB187_819 Depth=1
	v_mov_b64_e32 v[6:7], 0x8000000000000000
	v_lshrrev_b32_e32 v9, 24, v8
	s_mov_b32 s17, exec_lo
	s_delay_alu instid0(VALU_DEP_1)
	v_cmpx_ne_u32_e32 0x80, v9
	s_cbranch_execz .LBB187_1395
; %bb.1390:                             ;   in Loop: Header=BB187_819 Depth=1
	v_mov_b64_e32 v[6:7], 0x7f80000100000000
	v_bfe_u32 v8, v8, 24, 7
	s_mov_b32 s18, exec_lo
	s_delay_alu instid0(VALU_DEP_1)
	v_cmpx_ne_u32_e32 0x7f, v8
	s_cbranch_execz .LBB187_1394
; %bb.1391:                             ;   in Loop: Header=BB187_819 Depth=1
	v_dual_lshrrev_b32 v6, 3, v8 :: v_dual_bitop2_b32 v112, 7, v9 bitop3:0x40
	s_mov_b32 s19, exec_lo
	v_cmpx_gt_u32_e32 8, v8
; %bb.1392:                             ;   in Loop: Header=BB187_819 Depth=1
	s_delay_alu instid0(VALU_DEP_2) | instskip(NEXT) | instid1(VALU_DEP_1)
	v_clz_i32_u32_e32 v6, v112
	v_min_u32_e32 v6, 32, v6
	s_delay_alu instid0(VALU_DEP_1) | instskip(NEXT) | instid1(VALU_DEP_1)
	v_subrev_nc_u32_e32 v7, 28, v6
	v_lshlrev_b64_e32 v[24:25], v7, v[112:113]
	s_delay_alu instid0(VALU_DEP_1)
	v_dual_sub_nc_u32 v6, 29, v6 :: v_dual_bitop2_b32 v112, 7, v24 bitop3:0x40
; %bb.1393:                             ;   in Loop: Header=BB187_819 Depth=1
	s_or_b32 exec_lo, exec_lo, s19
	s_delay_alu instid0(VALU_DEP_1) | instskip(NEXT) | instid1(VALU_DEP_2)
	v_dual_lshlrev_b32 v7, 24, v9 :: v_dual_lshlrev_b32 v8, 20, v112
	v_lshl_add_u32 v6, v6, 23, 0x3c000000
	s_delay_alu instid0(VALU_DEP_2) | instskip(NEXT) | instid1(VALU_DEP_1)
	v_and_b32_e32 v7, 0x80000000, v7
	v_or3_b32 v7, v8, v7, v6
	v_mov_b32_e32 v6, v113
.LBB187_1394:                           ;   in Loop: Header=BB187_819 Depth=1
	s_or_b32 exec_lo, exec_lo, s18
.LBB187_1395:                           ;   in Loop: Header=BB187_819 Depth=1
	s_delay_alu instid0(SALU_CYCLE_1)
	s_or_b32 exec_lo, exec_lo, s17
.LBB187_1396:                           ;   in Loop: Header=BB187_819 Depth=1
	s_delay_alu instid0(SALU_CYCLE_1) | instskip(SKIP_4) | instid1(VALU_DEP_3)
	s_or_b32 exec_lo, exec_lo, s16
	v_or_b32_e32 v9, v13, v15
	v_or_b32_e32 v8, v12, v14
	;; [unrolled: 1-line block ×4, first 2 shown]
	v_pk_mul_f32 v[104:105], v[54:55], v[8:9]
	s_delay_alu instid0(VALU_DEP_2)
	v_pk_mul_f32 v[94:95], v[54:55], v[6:7]
	s_and_saveexec_b32 s16, vcc_lo
	s_cbranch_execz .LBB187_1398
; %bb.1397:                             ;   in Loop: Header=BB187_819 Depth=1
	v_cmp_lt_i32_e64 s0, v29, v100
	s_delay_alu instid0(VALU_DEP_1) | instskip(SKIP_1) | instid1(VALU_DEP_1)
	v_cndmask_b32_e64 v104, 0, v104, s0
	v_cmp_lt_i32_e64 s0, v33, v100
	v_cndmask_b32_e64 v105, 0, v105, s0
	v_cmp_lt_i32_e64 s0, v35, v100
	s_delay_alu instid0(VALU_DEP_1) | instskip(SKIP_1) | instid1(VALU_DEP_1)
	v_cndmask_b32_e64 v94, 0, v94, s0
	v_cmp_lt_i32_e64 s0, v34, v100
	v_cndmask_b32_e64 v95, 0, v95, s0
.LBB187_1398:                           ;   in Loop: Header=BB187_819 Depth=1
	s_or_b32 exec_lo, exec_lo, s16
	flat_load_b32 v8, v[68:69] offset:2176
	v_mov_b64_e32 v[12:13], 0
	v_mov_b64_e32 v[14:15], 0
	s_mov_b32 s16, exec_lo
	s_wait_loadcnt_dscnt 0x0
	v_and_b32_e32 v6, 0xff, v8
	s_wait_xcnt 0x0
	s_delay_alu instid0(VALU_DEP_1)
	v_cmpx_ne_u16_e32 0, v6
	s_cbranch_execz .LBB187_1406
; %bb.1399:                             ;   in Loop: Header=BB187_819 Depth=1
	v_mov_b64_e32 v[14:15], 0x80000000
	s_mov_b32 s17, exec_lo
	v_cmpx_ne_u16_e32 0x80, v6
	s_cbranch_execz .LBB187_1405
; %bb.1400:                             ;   in Loop: Header=BB187_819 Depth=1
	v_mov_b64_e32 v[14:15], 0x7f800001
	v_and_b32_e32 v7, 0x7f, v8
	s_mov_b32 s18, exec_lo
	s_delay_alu instid0(VALU_DEP_1)
	v_cmpx_ne_u32_e32 0x7f, v7
	s_cbranch_execz .LBB187_1404
; %bb.1401:                             ;   in Loop: Header=BB187_819 Depth=1
	v_dual_lshrrev_b32 v6, 3, v7 :: v_dual_bitop2_b32 v112, 7, v8 bitop3:0x40
	s_mov_b32 s19, exec_lo
	v_cmpx_gt_u32_e32 8, v7
; %bb.1402:                             ;   in Loop: Header=BB187_819 Depth=1
	s_delay_alu instid0(VALU_DEP_2) | instskip(NEXT) | instid1(VALU_DEP_1)
	v_clz_i32_u32_e32 v6, v112
	v_min_u32_e32 v6, 32, v6
	s_delay_alu instid0(VALU_DEP_1) | instskip(SKIP_1) | instid1(VALU_DEP_2)
	v_subrev_nc_u32_e32 v7, 28, v6
	v_sub_nc_u32_e32 v6, 29, v6
	v_lshlrev_b64_e32 v[14:15], v7, v[112:113]
	s_delay_alu instid0(VALU_DEP_1)
	v_and_b32_e32 v112, 7, v14
; %bb.1403:                             ;   in Loop: Header=BB187_819 Depth=1
	s_or_b32 exec_lo, exec_lo, s19
	v_lshlrev_b32_e32 v7, 24, v8
	s_delay_alu instid0(VALU_DEP_2) | instskip(SKIP_1) | instid1(VALU_DEP_3)
	v_lshlrev_b32_e32 v9, 20, v112
	v_lshl_add_u32 v6, v6, 23, 0x3c000000
	v_and_b32_e32 v7, 0x80000000, v7
	s_delay_alu instid0(VALU_DEP_1) | instskip(NEXT) | instid1(VALU_DEP_1)
	v_or3_b32 v112, v9, v7, v6
	v_mov_b64_e32 v[14:15], v[112:113]
.LBB187_1404:                           ;   in Loop: Header=BB187_819 Depth=1
	s_or_b32 exec_lo, exec_lo, s18
.LBB187_1405:                           ;   in Loop: Header=BB187_819 Depth=1
	s_delay_alu instid0(SALU_CYCLE_1)
	s_or_b32 exec_lo, exec_lo, s17
.LBB187_1406:                           ;   in Loop: Header=BB187_819 Depth=1
	s_delay_alu instid0(SALU_CYCLE_1) | instskip(SKIP_2) | instid1(VALU_DEP_1)
	s_or_b32 exec_lo, exec_lo, s16
	v_lshrrev_b16 v6, 8, v8
	s_mov_b32 s16, exec_lo
	v_cmpx_ne_u16_e32 0, v6
	s_cbranch_execz .LBB187_1414
; %bb.1407:                             ;   in Loop: Header=BB187_819 Depth=1
	v_mov_b64_e32 v[12:13], 0x8000000000000000
	s_mov_b32 s17, exec_lo
	v_cmpx_ne_u16_e32 0x80, v6
	s_cbranch_execz .LBB187_1413
; %bb.1408:                             ;   in Loop: Header=BB187_819 Depth=1
	v_and_b32_e32 v6, 0xffff, v6
	v_mov_b64_e32 v[12:13], 0x7f80000100000000
	s_mov_b32 s18, exec_lo
	s_delay_alu instid0(VALU_DEP_2) | instskip(NEXT) | instid1(VALU_DEP_1)
	v_and_b32_e32 v7, 0x7f, v6
	v_cmpx_ne_u32_e32 0x7f, v7
	s_cbranch_execz .LBB187_1412
; %bb.1409:                             ;   in Loop: Header=BB187_819 Depth=1
	v_dual_lshrrev_b32 v6, 3, v7 :: v_dual_bitop2_b32 v112, 7, v6 bitop3:0x40
	s_mov_b32 s19, exec_lo
	v_cmpx_gt_u32_e32 8, v7
; %bb.1410:                             ;   in Loop: Header=BB187_819 Depth=1
	s_delay_alu instid0(VALU_DEP_2) | instskip(NEXT) | instid1(VALU_DEP_1)
	v_clz_i32_u32_e32 v6, v112
	v_min_u32_e32 v6, 32, v6
	s_delay_alu instid0(VALU_DEP_1) | instskip(NEXT) | instid1(VALU_DEP_1)
	v_subrev_nc_u32_e32 v7, 28, v6
	v_lshlrev_b64_e32 v[12:13], v7, v[112:113]
	s_delay_alu instid0(VALU_DEP_1)
	v_dual_sub_nc_u32 v6, 29, v6 :: v_dual_bitop2_b32 v112, 7, v12 bitop3:0x40
; %bb.1411:                             ;   in Loop: Header=BB187_819 Depth=1
	s_or_b32 exec_lo, exec_lo, s19
	v_dual_mov_b32 v12, v113 :: v_dual_lshlrev_b32 v7, 16, v8
	s_delay_alu instid0(VALU_DEP_2) | instskip(NEXT) | instid1(VALU_DEP_3)
	v_lshlrev_b32_e32 v9, 20, v112
	v_lshl_add_u32 v6, v6, 23, 0x3c000000
	s_delay_alu instid0(VALU_DEP_3) | instskip(NEXT) | instid1(VALU_DEP_1)
	v_and_b32_e32 v7, 0x80000000, v7
	v_or3_b32 v13, v9, v7, v6
.LBB187_1412:                           ;   in Loop: Header=BB187_819 Depth=1
	s_or_b32 exec_lo, exec_lo, s18
.LBB187_1413:                           ;   in Loop: Header=BB187_819 Depth=1
	s_delay_alu instid0(SALU_CYCLE_1)
	s_or_b32 exec_lo, exec_lo, s17
.LBB187_1414:                           ;   in Loop: Header=BB187_819 Depth=1
	s_delay_alu instid0(SALU_CYCLE_1) | instskip(SKIP_4) | instid1(VALU_DEP_3)
	s_or_b32 exec_lo, exec_lo, s16
	v_lshrrev_b32_e32 v9, 16, v8
	v_mov_b64_e32 v[6:7], 0
	v_mov_b64_e32 v[16:17], 0
	s_mov_b32 s16, exec_lo
	v_and_b32_e32 v24, 0xff, v9
	s_delay_alu instid0(VALU_DEP_1)
	v_cmpx_ne_u16_e32 0, v24
	s_cbranch_execz .LBB187_1422
; %bb.1415:                             ;   in Loop: Header=BB187_819 Depth=1
	v_mov_b64_e32 v[16:17], 0x80000000
	s_mov_b32 s17, exec_lo
	v_cmpx_ne_u16_e32 0x80, v24
	s_cbranch_execz .LBB187_1421
; %bb.1416:                             ;   in Loop: Header=BB187_819 Depth=1
	v_mov_b64_e32 v[16:17], 0x7f800001
	v_bfe_u32 v24, v8, 16, 7
	s_mov_b32 s18, exec_lo
	s_delay_alu instid0(VALU_DEP_1)
	v_cmpx_ne_u32_e32 0x7f, v24
	s_cbranch_execz .LBB187_1420
; %bb.1417:                             ;   in Loop: Header=BB187_819 Depth=1
	v_dual_lshrrev_b32 v16, 3, v24 :: v_dual_bitop2_b32 v112, 7, v9 bitop3:0x40
	s_mov_b32 s19, exec_lo
	v_cmpx_gt_u32_e32 8, v24
; %bb.1418:                             ;   in Loop: Header=BB187_819 Depth=1
	s_delay_alu instid0(VALU_DEP_2) | instskip(NEXT) | instid1(VALU_DEP_1)
	v_clz_i32_u32_e32 v16, v112
	v_min_u32_e32 v16, 32, v16
	s_delay_alu instid0(VALU_DEP_1) | instskip(SKIP_1) | instid1(VALU_DEP_2)
	v_subrev_nc_u32_e32 v17, 28, v16
	v_sub_nc_u32_e32 v16, 29, v16
	v_lshlrev_b64_e32 v[24:25], v17, v[112:113]
	s_delay_alu instid0(VALU_DEP_1)
	v_and_b32_e32 v112, 7, v24
; %bb.1419:                             ;   in Loop: Header=BB187_819 Depth=1
	s_or_b32 exec_lo, exec_lo, s19
	s_delay_alu instid0(VALU_DEP_1) | instskip(SKIP_1) | instid1(VALU_DEP_2)
	v_dual_lshlrev_b32 v9, 24, v9 :: v_dual_lshlrev_b32 v17, 20, v112
	v_lshl_add_u32 v16, v16, 23, 0x3c000000
	v_and_b32_e32 v9, 0x80000000, v9
	s_delay_alu instid0(VALU_DEP_1) | instskip(NEXT) | instid1(VALU_DEP_1)
	v_or3_b32 v112, v17, v9, v16
	v_mov_b64_e32 v[16:17], v[112:113]
.LBB187_1420:                           ;   in Loop: Header=BB187_819 Depth=1
	s_or_b32 exec_lo, exec_lo, s18
.LBB187_1421:                           ;   in Loop: Header=BB187_819 Depth=1
	s_delay_alu instid0(SALU_CYCLE_1)
	s_or_b32 exec_lo, exec_lo, s17
.LBB187_1422:                           ;   in Loop: Header=BB187_819 Depth=1
	s_delay_alu instid0(SALU_CYCLE_1) | instskip(NEXT) | instid1(SALU_CYCLE_1)
	s_or_b32 exec_lo, exec_lo, s16
	s_mov_b32 s16, exec_lo
	v_cmpx_lt_u32_e32 0xffffff, v8
	s_cbranch_execz .LBB187_1430
; %bb.1423:                             ;   in Loop: Header=BB187_819 Depth=1
	v_mov_b64_e32 v[6:7], 0x8000000000000000
	v_lshrrev_b32_e32 v9, 24, v8
	s_mov_b32 s17, exec_lo
	s_delay_alu instid0(VALU_DEP_1)
	v_cmpx_ne_u32_e32 0x80, v9
	s_cbranch_execz .LBB187_1429
; %bb.1424:                             ;   in Loop: Header=BB187_819 Depth=1
	v_mov_b64_e32 v[6:7], 0x7f80000100000000
	v_bfe_u32 v8, v8, 24, 7
	s_mov_b32 s18, exec_lo
	s_delay_alu instid0(VALU_DEP_1)
	v_cmpx_ne_u32_e32 0x7f, v8
	s_cbranch_execz .LBB187_1428
; %bb.1425:                             ;   in Loop: Header=BB187_819 Depth=1
	v_dual_lshrrev_b32 v6, 3, v8 :: v_dual_bitop2_b32 v112, 7, v9 bitop3:0x40
	s_mov_b32 s19, exec_lo
	v_cmpx_gt_u32_e32 8, v8
; %bb.1426:                             ;   in Loop: Header=BB187_819 Depth=1
	s_delay_alu instid0(VALU_DEP_2) | instskip(NEXT) | instid1(VALU_DEP_1)
	v_clz_i32_u32_e32 v6, v112
	v_min_u32_e32 v6, 32, v6
	s_delay_alu instid0(VALU_DEP_1) | instskip(NEXT) | instid1(VALU_DEP_1)
	v_subrev_nc_u32_e32 v7, 28, v6
	v_lshlrev_b64_e32 v[24:25], v7, v[112:113]
	s_delay_alu instid0(VALU_DEP_1)
	v_dual_sub_nc_u32 v6, 29, v6 :: v_dual_bitop2_b32 v112, 7, v24 bitop3:0x40
; %bb.1427:                             ;   in Loop: Header=BB187_819 Depth=1
	s_or_b32 exec_lo, exec_lo, s19
	s_delay_alu instid0(VALU_DEP_1) | instskip(NEXT) | instid1(VALU_DEP_2)
	v_dual_lshlrev_b32 v7, 24, v9 :: v_dual_lshlrev_b32 v8, 20, v112
	v_lshl_add_u32 v6, v6, 23, 0x3c000000
	s_delay_alu instid0(VALU_DEP_2) | instskip(NEXT) | instid1(VALU_DEP_1)
	v_and_b32_e32 v7, 0x80000000, v7
	v_or3_b32 v7, v8, v7, v6
	v_mov_b32_e32 v6, v113
.LBB187_1428:                           ;   in Loop: Header=BB187_819 Depth=1
	s_or_b32 exec_lo, exec_lo, s18
.LBB187_1429:                           ;   in Loop: Header=BB187_819 Depth=1
	s_delay_alu instid0(SALU_CYCLE_1)
	s_or_b32 exec_lo, exec_lo, s17
.LBB187_1430:                           ;   in Loop: Header=BB187_819 Depth=1
	s_delay_alu instid0(SALU_CYCLE_1) | instskip(SKIP_4) | instid1(VALU_DEP_3)
	s_or_b32 exec_lo, exec_lo, s16
	v_or_b32_e32 v9, v13, v15
	v_or_b32_e32 v8, v12, v14
	;; [unrolled: 1-line block ×4, first 2 shown]
	v_pk_mul_f32 v[108:109], v[54:55], v[8:9]
	s_delay_alu instid0(VALU_DEP_2)
	v_pk_mul_f32 v[106:107], v[54:55], v[6:7]
	s_and_saveexec_b32 s16, vcc_lo
	s_cbranch_execz .LBB187_1432
; %bb.1431:                             ;   in Loop: Header=BB187_819 Depth=1
	v_cmp_lt_i32_e64 s0, v29, v100
	s_delay_alu instid0(VALU_DEP_1) | instskip(SKIP_1) | instid1(VALU_DEP_1)
	v_cndmask_b32_e64 v108, 0, v108, s0
	v_cmp_lt_i32_e64 s0, v33, v100
	v_cndmask_b32_e64 v109, 0, v109, s0
	v_cmp_lt_i32_e64 s0, v35, v100
	s_delay_alu instid0(VALU_DEP_1) | instskip(SKIP_1) | instid1(VALU_DEP_1)
	v_cndmask_b32_e64 v106, 0, v106, s0
	v_cmp_lt_i32_e64 s0, v34, v100
	v_cndmask_b32_e64 v107, 0, v107, s0
.LBB187_1432:                           ;   in Loop: Header=BB187_819 Depth=1
	s_or_b32 exec_lo, exec_lo, s16
	flat_load_b32 v8, v[68:69] offset:2304
	v_mov_b64_e32 v[12:13], 0
	v_mov_b64_e32 v[14:15], 0
	s_mov_b32 s16, exec_lo
	s_wait_loadcnt_dscnt 0x0
	v_and_b32_e32 v6, 0xff, v8
	s_wait_xcnt 0x0
	s_delay_alu instid0(VALU_DEP_1)
	v_cmpx_ne_u16_e32 0, v6
	s_cbranch_execz .LBB187_1440
; %bb.1433:                             ;   in Loop: Header=BB187_819 Depth=1
	v_mov_b64_e32 v[14:15], 0x80000000
	s_mov_b32 s17, exec_lo
	v_cmpx_ne_u16_e32 0x80, v6
	s_cbranch_execz .LBB187_1439
; %bb.1434:                             ;   in Loop: Header=BB187_819 Depth=1
	v_mov_b64_e32 v[14:15], 0x7f800001
	v_and_b32_e32 v7, 0x7f, v8
	s_mov_b32 s18, exec_lo
	s_delay_alu instid0(VALU_DEP_1)
	v_cmpx_ne_u32_e32 0x7f, v7
	s_cbranch_execz .LBB187_1438
; %bb.1435:                             ;   in Loop: Header=BB187_819 Depth=1
	v_dual_lshrrev_b32 v6, 3, v7 :: v_dual_bitop2_b32 v112, 7, v8 bitop3:0x40
	s_mov_b32 s19, exec_lo
	v_cmpx_gt_u32_e32 8, v7
; %bb.1436:                             ;   in Loop: Header=BB187_819 Depth=1
	s_delay_alu instid0(VALU_DEP_2) | instskip(NEXT) | instid1(VALU_DEP_1)
	v_clz_i32_u32_e32 v6, v112
	v_min_u32_e32 v6, 32, v6
	s_delay_alu instid0(VALU_DEP_1) | instskip(SKIP_1) | instid1(VALU_DEP_2)
	v_subrev_nc_u32_e32 v7, 28, v6
	v_sub_nc_u32_e32 v6, 29, v6
	v_lshlrev_b64_e32 v[14:15], v7, v[112:113]
	s_delay_alu instid0(VALU_DEP_1)
	v_and_b32_e32 v112, 7, v14
; %bb.1437:                             ;   in Loop: Header=BB187_819 Depth=1
	s_or_b32 exec_lo, exec_lo, s19
	v_lshlrev_b32_e32 v7, 24, v8
	s_delay_alu instid0(VALU_DEP_2) | instskip(SKIP_1) | instid1(VALU_DEP_3)
	v_lshlrev_b32_e32 v9, 20, v112
	v_lshl_add_u32 v6, v6, 23, 0x3c000000
	v_and_b32_e32 v7, 0x80000000, v7
	s_delay_alu instid0(VALU_DEP_1) | instskip(NEXT) | instid1(VALU_DEP_1)
	v_or3_b32 v112, v9, v7, v6
	v_mov_b64_e32 v[14:15], v[112:113]
.LBB187_1438:                           ;   in Loop: Header=BB187_819 Depth=1
	s_or_b32 exec_lo, exec_lo, s18
.LBB187_1439:                           ;   in Loop: Header=BB187_819 Depth=1
	s_delay_alu instid0(SALU_CYCLE_1)
	s_or_b32 exec_lo, exec_lo, s17
.LBB187_1440:                           ;   in Loop: Header=BB187_819 Depth=1
	s_delay_alu instid0(SALU_CYCLE_1) | instskip(SKIP_2) | instid1(VALU_DEP_1)
	s_or_b32 exec_lo, exec_lo, s16
	v_lshrrev_b16 v6, 8, v8
	s_mov_b32 s16, exec_lo
	v_cmpx_ne_u16_e32 0, v6
	s_cbranch_execz .LBB187_1448
; %bb.1441:                             ;   in Loop: Header=BB187_819 Depth=1
	v_mov_b64_e32 v[12:13], 0x8000000000000000
	s_mov_b32 s17, exec_lo
	v_cmpx_ne_u16_e32 0x80, v6
	s_cbranch_execz .LBB187_1447
; %bb.1442:                             ;   in Loop: Header=BB187_819 Depth=1
	v_and_b32_e32 v6, 0xffff, v6
	v_mov_b64_e32 v[12:13], 0x7f80000100000000
	s_mov_b32 s18, exec_lo
	s_delay_alu instid0(VALU_DEP_2) | instskip(NEXT) | instid1(VALU_DEP_1)
	v_and_b32_e32 v7, 0x7f, v6
	v_cmpx_ne_u32_e32 0x7f, v7
	s_cbranch_execz .LBB187_1446
; %bb.1443:                             ;   in Loop: Header=BB187_819 Depth=1
	v_dual_lshrrev_b32 v6, 3, v7 :: v_dual_bitop2_b32 v112, 7, v6 bitop3:0x40
	s_mov_b32 s19, exec_lo
	v_cmpx_gt_u32_e32 8, v7
; %bb.1444:                             ;   in Loop: Header=BB187_819 Depth=1
	s_delay_alu instid0(VALU_DEP_2) | instskip(NEXT) | instid1(VALU_DEP_1)
	v_clz_i32_u32_e32 v6, v112
	v_min_u32_e32 v6, 32, v6
	s_delay_alu instid0(VALU_DEP_1) | instskip(NEXT) | instid1(VALU_DEP_1)
	v_subrev_nc_u32_e32 v7, 28, v6
	v_lshlrev_b64_e32 v[12:13], v7, v[112:113]
	s_delay_alu instid0(VALU_DEP_1)
	v_dual_sub_nc_u32 v6, 29, v6 :: v_dual_bitop2_b32 v112, 7, v12 bitop3:0x40
; %bb.1445:                             ;   in Loop: Header=BB187_819 Depth=1
	s_or_b32 exec_lo, exec_lo, s19
	v_dual_mov_b32 v12, v113 :: v_dual_lshlrev_b32 v7, 16, v8
	s_delay_alu instid0(VALU_DEP_2) | instskip(NEXT) | instid1(VALU_DEP_3)
	v_lshlrev_b32_e32 v9, 20, v112
	v_lshl_add_u32 v6, v6, 23, 0x3c000000
	s_delay_alu instid0(VALU_DEP_3) | instskip(NEXT) | instid1(VALU_DEP_1)
	v_and_b32_e32 v7, 0x80000000, v7
	v_or3_b32 v13, v9, v7, v6
.LBB187_1446:                           ;   in Loop: Header=BB187_819 Depth=1
	s_or_b32 exec_lo, exec_lo, s18
.LBB187_1447:                           ;   in Loop: Header=BB187_819 Depth=1
	s_delay_alu instid0(SALU_CYCLE_1)
	s_or_b32 exec_lo, exec_lo, s17
.LBB187_1448:                           ;   in Loop: Header=BB187_819 Depth=1
	s_delay_alu instid0(SALU_CYCLE_1) | instskip(SKIP_4) | instid1(VALU_DEP_3)
	s_or_b32 exec_lo, exec_lo, s16
	v_lshrrev_b32_e32 v9, 16, v8
	v_mov_b64_e32 v[6:7], 0
	v_mov_b64_e32 v[16:17], 0
	s_mov_b32 s16, exec_lo
	v_and_b32_e32 v24, 0xff, v9
	s_delay_alu instid0(VALU_DEP_1)
	v_cmpx_ne_u16_e32 0, v24
	s_cbranch_execz .LBB187_1456
; %bb.1449:                             ;   in Loop: Header=BB187_819 Depth=1
	v_mov_b64_e32 v[16:17], 0x80000000
	s_mov_b32 s17, exec_lo
	v_cmpx_ne_u16_e32 0x80, v24
	s_cbranch_execz .LBB187_1455
; %bb.1450:                             ;   in Loop: Header=BB187_819 Depth=1
	v_mov_b64_e32 v[16:17], 0x7f800001
	v_bfe_u32 v24, v8, 16, 7
	s_mov_b32 s18, exec_lo
	s_delay_alu instid0(VALU_DEP_1)
	v_cmpx_ne_u32_e32 0x7f, v24
	s_cbranch_execz .LBB187_1454
; %bb.1451:                             ;   in Loop: Header=BB187_819 Depth=1
	v_dual_lshrrev_b32 v16, 3, v24 :: v_dual_bitop2_b32 v112, 7, v9 bitop3:0x40
	s_mov_b32 s19, exec_lo
	v_cmpx_gt_u32_e32 8, v24
; %bb.1452:                             ;   in Loop: Header=BB187_819 Depth=1
	s_delay_alu instid0(VALU_DEP_2) | instskip(NEXT) | instid1(VALU_DEP_1)
	v_clz_i32_u32_e32 v16, v112
	v_min_u32_e32 v16, 32, v16
	s_delay_alu instid0(VALU_DEP_1) | instskip(SKIP_1) | instid1(VALU_DEP_2)
	v_subrev_nc_u32_e32 v17, 28, v16
	v_sub_nc_u32_e32 v16, 29, v16
	v_lshlrev_b64_e32 v[24:25], v17, v[112:113]
	s_delay_alu instid0(VALU_DEP_1)
	v_and_b32_e32 v112, 7, v24
; %bb.1453:                             ;   in Loop: Header=BB187_819 Depth=1
	s_or_b32 exec_lo, exec_lo, s19
	s_delay_alu instid0(VALU_DEP_1) | instskip(SKIP_1) | instid1(VALU_DEP_2)
	v_dual_lshlrev_b32 v9, 24, v9 :: v_dual_lshlrev_b32 v17, 20, v112
	v_lshl_add_u32 v16, v16, 23, 0x3c000000
	v_and_b32_e32 v9, 0x80000000, v9
	s_delay_alu instid0(VALU_DEP_1) | instskip(NEXT) | instid1(VALU_DEP_1)
	v_or3_b32 v112, v17, v9, v16
	v_mov_b64_e32 v[16:17], v[112:113]
.LBB187_1454:                           ;   in Loop: Header=BB187_819 Depth=1
	s_or_b32 exec_lo, exec_lo, s18
.LBB187_1455:                           ;   in Loop: Header=BB187_819 Depth=1
	s_delay_alu instid0(SALU_CYCLE_1)
	s_or_b32 exec_lo, exec_lo, s17
.LBB187_1456:                           ;   in Loop: Header=BB187_819 Depth=1
	s_delay_alu instid0(SALU_CYCLE_1) | instskip(NEXT) | instid1(SALU_CYCLE_1)
	s_or_b32 exec_lo, exec_lo, s16
	s_mov_b32 s16, exec_lo
	v_cmpx_lt_u32_e32 0xffffff, v8
	s_cbranch_execz .LBB187_1464
; %bb.1457:                             ;   in Loop: Header=BB187_819 Depth=1
	v_mov_b64_e32 v[6:7], 0x8000000000000000
	v_lshrrev_b32_e32 v9, 24, v8
	s_mov_b32 s17, exec_lo
	s_delay_alu instid0(VALU_DEP_1)
	v_cmpx_ne_u32_e32 0x80, v9
	s_cbranch_execz .LBB187_1463
; %bb.1458:                             ;   in Loop: Header=BB187_819 Depth=1
	v_mov_b64_e32 v[6:7], 0x7f80000100000000
	v_bfe_u32 v8, v8, 24, 7
	s_mov_b32 s18, exec_lo
	s_delay_alu instid0(VALU_DEP_1)
	v_cmpx_ne_u32_e32 0x7f, v8
	s_cbranch_execz .LBB187_1462
; %bb.1459:                             ;   in Loop: Header=BB187_819 Depth=1
	v_dual_lshrrev_b32 v6, 3, v8 :: v_dual_bitop2_b32 v112, 7, v9 bitop3:0x40
	s_mov_b32 s19, exec_lo
	v_cmpx_gt_u32_e32 8, v8
; %bb.1460:                             ;   in Loop: Header=BB187_819 Depth=1
	s_delay_alu instid0(VALU_DEP_2) | instskip(NEXT) | instid1(VALU_DEP_1)
	v_clz_i32_u32_e32 v6, v112
	v_min_u32_e32 v6, 32, v6
	s_delay_alu instid0(VALU_DEP_1) | instskip(NEXT) | instid1(VALU_DEP_1)
	v_subrev_nc_u32_e32 v7, 28, v6
	v_lshlrev_b64_e32 v[24:25], v7, v[112:113]
	s_delay_alu instid0(VALU_DEP_1)
	v_dual_sub_nc_u32 v6, 29, v6 :: v_dual_bitop2_b32 v112, 7, v24 bitop3:0x40
; %bb.1461:                             ;   in Loop: Header=BB187_819 Depth=1
	s_or_b32 exec_lo, exec_lo, s19
	s_delay_alu instid0(VALU_DEP_1) | instskip(NEXT) | instid1(VALU_DEP_2)
	v_dual_lshlrev_b32 v7, 24, v9 :: v_dual_lshlrev_b32 v8, 20, v112
	v_lshl_add_u32 v6, v6, 23, 0x3c000000
	s_delay_alu instid0(VALU_DEP_2) | instskip(NEXT) | instid1(VALU_DEP_1)
	v_and_b32_e32 v7, 0x80000000, v7
	v_or3_b32 v7, v8, v7, v6
	v_mov_b32_e32 v6, v113
.LBB187_1462:                           ;   in Loop: Header=BB187_819 Depth=1
	s_or_b32 exec_lo, exec_lo, s18
.LBB187_1463:                           ;   in Loop: Header=BB187_819 Depth=1
	s_delay_alu instid0(SALU_CYCLE_1)
	s_or_b32 exec_lo, exec_lo, s17
.LBB187_1464:                           ;   in Loop: Header=BB187_819 Depth=1
	s_delay_alu instid0(SALU_CYCLE_1) | instskip(SKIP_4) | instid1(VALU_DEP_3)
	s_or_b32 exec_lo, exec_lo, s16
	v_or_b32_e32 v9, v13, v15
	v_or_b32_e32 v8, v12, v14
	;; [unrolled: 1-line block ×4, first 2 shown]
	v_pk_mul_f32 v[120:121], v[54:55], v[8:9]
	s_delay_alu instid0(VALU_DEP_2)
	v_pk_mul_f32 v[110:111], v[54:55], v[6:7]
	s_and_saveexec_b32 s16, vcc_lo
	s_cbranch_execz .LBB187_1466
; %bb.1465:                             ;   in Loop: Header=BB187_819 Depth=1
	v_cmp_lt_i32_e64 s0, v29, v100
	s_delay_alu instid0(VALU_DEP_1) | instskip(SKIP_1) | instid1(VALU_DEP_1)
	v_cndmask_b32_e64 v120, 0, v120, s0
	v_cmp_lt_i32_e64 s0, v33, v100
	v_cndmask_b32_e64 v121, 0, v121, s0
	v_cmp_lt_i32_e64 s0, v35, v100
	s_delay_alu instid0(VALU_DEP_1) | instskip(SKIP_1) | instid1(VALU_DEP_1)
	v_cndmask_b32_e64 v110, 0, v110, s0
	v_cmp_lt_i32_e64 s0, v34, v100
	v_cndmask_b32_e64 v111, 0, v111, s0
.LBB187_1466:                           ;   in Loop: Header=BB187_819 Depth=1
	s_or_b32 exec_lo, exec_lo, s16
	flat_load_b32 v8, v[68:69] offset:2432
	v_mov_b64_e32 v[12:13], 0
	v_mov_b64_e32 v[14:15], 0
	s_mov_b32 s16, exec_lo
	s_wait_loadcnt_dscnt 0x0
	v_and_b32_e32 v6, 0xff, v8
	s_wait_xcnt 0x0
	s_delay_alu instid0(VALU_DEP_1)
	v_cmpx_ne_u16_e32 0, v6
	s_cbranch_execz .LBB187_1474
; %bb.1467:                             ;   in Loop: Header=BB187_819 Depth=1
	v_mov_b64_e32 v[14:15], 0x80000000
	s_mov_b32 s17, exec_lo
	v_cmpx_ne_u16_e32 0x80, v6
	s_cbranch_execz .LBB187_1473
; %bb.1468:                             ;   in Loop: Header=BB187_819 Depth=1
	v_mov_b64_e32 v[14:15], 0x7f800001
	v_and_b32_e32 v7, 0x7f, v8
	s_mov_b32 s18, exec_lo
	s_delay_alu instid0(VALU_DEP_1)
	v_cmpx_ne_u32_e32 0x7f, v7
	s_cbranch_execz .LBB187_1472
; %bb.1469:                             ;   in Loop: Header=BB187_819 Depth=1
	v_dual_lshrrev_b32 v6, 3, v7 :: v_dual_bitop2_b32 v112, 7, v8 bitop3:0x40
	s_mov_b32 s19, exec_lo
	v_cmpx_gt_u32_e32 8, v7
; %bb.1470:                             ;   in Loop: Header=BB187_819 Depth=1
	s_delay_alu instid0(VALU_DEP_2) | instskip(NEXT) | instid1(VALU_DEP_1)
	v_clz_i32_u32_e32 v6, v112
	v_min_u32_e32 v6, 32, v6
	s_delay_alu instid0(VALU_DEP_1) | instskip(SKIP_1) | instid1(VALU_DEP_2)
	v_subrev_nc_u32_e32 v7, 28, v6
	v_sub_nc_u32_e32 v6, 29, v6
	v_lshlrev_b64_e32 v[14:15], v7, v[112:113]
	s_delay_alu instid0(VALU_DEP_1)
	v_and_b32_e32 v112, 7, v14
; %bb.1471:                             ;   in Loop: Header=BB187_819 Depth=1
	s_or_b32 exec_lo, exec_lo, s19
	v_lshlrev_b32_e32 v7, 24, v8
	s_delay_alu instid0(VALU_DEP_2) | instskip(SKIP_1) | instid1(VALU_DEP_3)
	v_lshlrev_b32_e32 v9, 20, v112
	v_lshl_add_u32 v6, v6, 23, 0x3c000000
	v_and_b32_e32 v7, 0x80000000, v7
	s_delay_alu instid0(VALU_DEP_1) | instskip(NEXT) | instid1(VALU_DEP_1)
	v_or3_b32 v112, v9, v7, v6
	v_mov_b64_e32 v[14:15], v[112:113]
.LBB187_1472:                           ;   in Loop: Header=BB187_819 Depth=1
	s_or_b32 exec_lo, exec_lo, s18
.LBB187_1473:                           ;   in Loop: Header=BB187_819 Depth=1
	s_delay_alu instid0(SALU_CYCLE_1)
	s_or_b32 exec_lo, exec_lo, s17
.LBB187_1474:                           ;   in Loop: Header=BB187_819 Depth=1
	s_delay_alu instid0(SALU_CYCLE_1) | instskip(SKIP_2) | instid1(VALU_DEP_1)
	s_or_b32 exec_lo, exec_lo, s16
	v_lshrrev_b16 v6, 8, v8
	s_mov_b32 s16, exec_lo
	v_cmpx_ne_u16_e32 0, v6
	s_cbranch_execz .LBB187_1482
; %bb.1475:                             ;   in Loop: Header=BB187_819 Depth=1
	v_mov_b64_e32 v[12:13], 0x8000000000000000
	s_mov_b32 s17, exec_lo
	v_cmpx_ne_u16_e32 0x80, v6
	s_cbranch_execz .LBB187_1481
; %bb.1476:                             ;   in Loop: Header=BB187_819 Depth=1
	v_and_b32_e32 v6, 0xffff, v6
	v_mov_b64_e32 v[12:13], 0x7f80000100000000
	s_mov_b32 s18, exec_lo
	s_delay_alu instid0(VALU_DEP_2) | instskip(NEXT) | instid1(VALU_DEP_1)
	v_and_b32_e32 v7, 0x7f, v6
	v_cmpx_ne_u32_e32 0x7f, v7
	s_cbranch_execz .LBB187_1480
; %bb.1477:                             ;   in Loop: Header=BB187_819 Depth=1
	v_dual_lshrrev_b32 v6, 3, v7 :: v_dual_bitop2_b32 v112, 7, v6 bitop3:0x40
	s_mov_b32 s19, exec_lo
	v_cmpx_gt_u32_e32 8, v7
; %bb.1478:                             ;   in Loop: Header=BB187_819 Depth=1
	s_delay_alu instid0(VALU_DEP_2) | instskip(NEXT) | instid1(VALU_DEP_1)
	v_clz_i32_u32_e32 v6, v112
	v_min_u32_e32 v6, 32, v6
	s_delay_alu instid0(VALU_DEP_1) | instskip(NEXT) | instid1(VALU_DEP_1)
	v_subrev_nc_u32_e32 v7, 28, v6
	v_lshlrev_b64_e32 v[12:13], v7, v[112:113]
	s_delay_alu instid0(VALU_DEP_1)
	v_dual_sub_nc_u32 v6, 29, v6 :: v_dual_bitop2_b32 v112, 7, v12 bitop3:0x40
; %bb.1479:                             ;   in Loop: Header=BB187_819 Depth=1
	s_or_b32 exec_lo, exec_lo, s19
	v_dual_mov_b32 v12, v113 :: v_dual_lshlrev_b32 v7, 16, v8
	s_delay_alu instid0(VALU_DEP_2) | instskip(NEXT) | instid1(VALU_DEP_3)
	v_lshlrev_b32_e32 v9, 20, v112
	v_lshl_add_u32 v6, v6, 23, 0x3c000000
	s_delay_alu instid0(VALU_DEP_3) | instskip(NEXT) | instid1(VALU_DEP_1)
	v_and_b32_e32 v7, 0x80000000, v7
	v_or3_b32 v13, v9, v7, v6
.LBB187_1480:                           ;   in Loop: Header=BB187_819 Depth=1
	s_or_b32 exec_lo, exec_lo, s18
.LBB187_1481:                           ;   in Loop: Header=BB187_819 Depth=1
	s_delay_alu instid0(SALU_CYCLE_1)
	s_or_b32 exec_lo, exec_lo, s17
.LBB187_1482:                           ;   in Loop: Header=BB187_819 Depth=1
	s_delay_alu instid0(SALU_CYCLE_1) | instskip(SKIP_4) | instid1(VALU_DEP_3)
	s_or_b32 exec_lo, exec_lo, s16
	v_lshrrev_b32_e32 v9, 16, v8
	v_mov_b64_e32 v[6:7], 0
	v_mov_b64_e32 v[16:17], 0
	s_mov_b32 s16, exec_lo
	v_and_b32_e32 v24, 0xff, v9
	s_delay_alu instid0(VALU_DEP_1)
	v_cmpx_ne_u16_e32 0, v24
	s_cbranch_execz .LBB187_1490
; %bb.1483:                             ;   in Loop: Header=BB187_819 Depth=1
	v_mov_b64_e32 v[16:17], 0x80000000
	s_mov_b32 s17, exec_lo
	v_cmpx_ne_u16_e32 0x80, v24
	s_cbranch_execz .LBB187_1489
; %bb.1484:                             ;   in Loop: Header=BB187_819 Depth=1
	v_mov_b64_e32 v[16:17], 0x7f800001
	v_bfe_u32 v24, v8, 16, 7
	s_mov_b32 s18, exec_lo
	s_delay_alu instid0(VALU_DEP_1)
	v_cmpx_ne_u32_e32 0x7f, v24
	s_cbranch_execz .LBB187_1488
; %bb.1485:                             ;   in Loop: Header=BB187_819 Depth=1
	v_dual_lshrrev_b32 v16, 3, v24 :: v_dual_bitop2_b32 v112, 7, v9 bitop3:0x40
	s_mov_b32 s19, exec_lo
	v_cmpx_gt_u32_e32 8, v24
; %bb.1486:                             ;   in Loop: Header=BB187_819 Depth=1
	s_delay_alu instid0(VALU_DEP_2) | instskip(NEXT) | instid1(VALU_DEP_1)
	v_clz_i32_u32_e32 v16, v112
	v_min_u32_e32 v16, 32, v16
	s_delay_alu instid0(VALU_DEP_1) | instskip(SKIP_1) | instid1(VALU_DEP_2)
	v_subrev_nc_u32_e32 v17, 28, v16
	v_sub_nc_u32_e32 v16, 29, v16
	v_lshlrev_b64_e32 v[24:25], v17, v[112:113]
	s_delay_alu instid0(VALU_DEP_1)
	v_and_b32_e32 v112, 7, v24
; %bb.1487:                             ;   in Loop: Header=BB187_819 Depth=1
	s_or_b32 exec_lo, exec_lo, s19
	s_delay_alu instid0(VALU_DEP_1) | instskip(SKIP_1) | instid1(VALU_DEP_2)
	v_dual_lshlrev_b32 v9, 24, v9 :: v_dual_lshlrev_b32 v17, 20, v112
	v_lshl_add_u32 v16, v16, 23, 0x3c000000
	v_and_b32_e32 v9, 0x80000000, v9
	s_delay_alu instid0(VALU_DEP_1) | instskip(NEXT) | instid1(VALU_DEP_1)
	v_or3_b32 v112, v17, v9, v16
	v_mov_b64_e32 v[16:17], v[112:113]
.LBB187_1488:                           ;   in Loop: Header=BB187_819 Depth=1
	s_or_b32 exec_lo, exec_lo, s18
.LBB187_1489:                           ;   in Loop: Header=BB187_819 Depth=1
	s_delay_alu instid0(SALU_CYCLE_1)
	s_or_b32 exec_lo, exec_lo, s17
.LBB187_1490:                           ;   in Loop: Header=BB187_819 Depth=1
	s_delay_alu instid0(SALU_CYCLE_1) | instskip(NEXT) | instid1(SALU_CYCLE_1)
	s_or_b32 exec_lo, exec_lo, s16
	s_mov_b32 s16, exec_lo
	v_cmpx_lt_u32_e32 0xffffff, v8
	s_cbranch_execz .LBB187_1498
; %bb.1491:                             ;   in Loop: Header=BB187_819 Depth=1
	v_mov_b64_e32 v[6:7], 0x8000000000000000
	v_lshrrev_b32_e32 v9, 24, v8
	s_mov_b32 s17, exec_lo
	s_delay_alu instid0(VALU_DEP_1)
	v_cmpx_ne_u32_e32 0x80, v9
	s_cbranch_execz .LBB187_1497
; %bb.1492:                             ;   in Loop: Header=BB187_819 Depth=1
	v_mov_b64_e32 v[6:7], 0x7f80000100000000
	v_bfe_u32 v8, v8, 24, 7
	s_mov_b32 s18, exec_lo
	s_delay_alu instid0(VALU_DEP_1)
	v_cmpx_ne_u32_e32 0x7f, v8
	s_cbranch_execz .LBB187_1496
; %bb.1493:                             ;   in Loop: Header=BB187_819 Depth=1
	v_dual_lshrrev_b32 v6, 3, v8 :: v_dual_bitop2_b32 v112, 7, v9 bitop3:0x40
	s_mov_b32 s19, exec_lo
	v_cmpx_gt_u32_e32 8, v8
; %bb.1494:                             ;   in Loop: Header=BB187_819 Depth=1
	s_delay_alu instid0(VALU_DEP_2) | instskip(NEXT) | instid1(VALU_DEP_1)
	v_clz_i32_u32_e32 v6, v112
	v_min_u32_e32 v6, 32, v6
	s_delay_alu instid0(VALU_DEP_1) | instskip(NEXT) | instid1(VALU_DEP_1)
	v_subrev_nc_u32_e32 v7, 28, v6
	v_lshlrev_b64_e32 v[24:25], v7, v[112:113]
	s_delay_alu instid0(VALU_DEP_1)
	v_dual_sub_nc_u32 v6, 29, v6 :: v_dual_bitop2_b32 v112, 7, v24 bitop3:0x40
; %bb.1495:                             ;   in Loop: Header=BB187_819 Depth=1
	s_or_b32 exec_lo, exec_lo, s19
	s_delay_alu instid0(VALU_DEP_1) | instskip(NEXT) | instid1(VALU_DEP_2)
	v_dual_lshlrev_b32 v7, 24, v9 :: v_dual_lshlrev_b32 v8, 20, v112
	v_lshl_add_u32 v6, v6, 23, 0x3c000000
	s_delay_alu instid0(VALU_DEP_2) | instskip(NEXT) | instid1(VALU_DEP_1)
	v_and_b32_e32 v7, 0x80000000, v7
	v_or3_b32 v7, v8, v7, v6
	v_mov_b32_e32 v6, v113
.LBB187_1496:                           ;   in Loop: Header=BB187_819 Depth=1
	s_or_b32 exec_lo, exec_lo, s18
.LBB187_1497:                           ;   in Loop: Header=BB187_819 Depth=1
	s_delay_alu instid0(SALU_CYCLE_1)
	s_or_b32 exec_lo, exec_lo, s17
.LBB187_1498:                           ;   in Loop: Header=BB187_819 Depth=1
	s_delay_alu instid0(SALU_CYCLE_1) | instskip(SKIP_4) | instid1(VALU_DEP_3)
	s_or_b32 exec_lo, exec_lo, s16
	v_or_b32_e32 v9, v13, v15
	v_or_b32_e32 v8, v12, v14
	;; [unrolled: 1-line block ×4, first 2 shown]
	v_pk_mul_f32 v[124:125], v[54:55], v[8:9]
	s_delay_alu instid0(VALU_DEP_2)
	v_pk_mul_f32 v[122:123], v[54:55], v[6:7]
	s_and_saveexec_b32 s16, vcc_lo
	s_cbranch_execz .LBB187_1500
; %bb.1499:                             ;   in Loop: Header=BB187_819 Depth=1
	v_cmp_lt_i32_e64 s0, v29, v100
	s_delay_alu instid0(VALU_DEP_1) | instskip(SKIP_1) | instid1(VALU_DEP_1)
	v_cndmask_b32_e64 v124, 0, v124, s0
	v_cmp_lt_i32_e64 s0, v33, v100
	v_cndmask_b32_e64 v125, 0, v125, s0
	v_cmp_lt_i32_e64 s0, v35, v100
	s_delay_alu instid0(VALU_DEP_1) | instskip(SKIP_1) | instid1(VALU_DEP_1)
	v_cndmask_b32_e64 v122, 0, v122, s0
	v_cmp_lt_i32_e64 s0, v34, v100
	v_cndmask_b32_e64 v123, 0, v123, s0
.LBB187_1500:                           ;   in Loop: Header=BB187_819 Depth=1
	s_or_b32 exec_lo, exec_lo, s16
	flat_load_b32 v8, v[68:69] offset:2560
	v_mov_b64_e32 v[12:13], 0
	v_mov_b64_e32 v[14:15], 0
	s_mov_b32 s16, exec_lo
	s_wait_loadcnt_dscnt 0x0
	v_and_b32_e32 v6, 0xff, v8
	s_wait_xcnt 0x0
	s_delay_alu instid0(VALU_DEP_1)
	v_cmpx_ne_u16_e32 0, v6
	s_cbranch_execz .LBB187_1508
; %bb.1501:                             ;   in Loop: Header=BB187_819 Depth=1
	v_mov_b64_e32 v[14:15], 0x80000000
	s_mov_b32 s17, exec_lo
	v_cmpx_ne_u16_e32 0x80, v6
	s_cbranch_execz .LBB187_1507
; %bb.1502:                             ;   in Loop: Header=BB187_819 Depth=1
	v_mov_b64_e32 v[14:15], 0x7f800001
	v_and_b32_e32 v7, 0x7f, v8
	s_mov_b32 s18, exec_lo
	s_delay_alu instid0(VALU_DEP_1)
	v_cmpx_ne_u32_e32 0x7f, v7
	s_cbranch_execz .LBB187_1506
; %bb.1503:                             ;   in Loop: Header=BB187_819 Depth=1
	v_dual_lshrrev_b32 v6, 3, v7 :: v_dual_bitop2_b32 v112, 7, v8 bitop3:0x40
	s_mov_b32 s19, exec_lo
	v_cmpx_gt_u32_e32 8, v7
; %bb.1504:                             ;   in Loop: Header=BB187_819 Depth=1
	s_delay_alu instid0(VALU_DEP_2) | instskip(NEXT) | instid1(VALU_DEP_1)
	v_clz_i32_u32_e32 v6, v112
	v_min_u32_e32 v6, 32, v6
	s_delay_alu instid0(VALU_DEP_1) | instskip(SKIP_1) | instid1(VALU_DEP_2)
	v_subrev_nc_u32_e32 v7, 28, v6
	v_sub_nc_u32_e32 v6, 29, v6
	v_lshlrev_b64_e32 v[14:15], v7, v[112:113]
	s_delay_alu instid0(VALU_DEP_1)
	v_and_b32_e32 v112, 7, v14
; %bb.1505:                             ;   in Loop: Header=BB187_819 Depth=1
	s_or_b32 exec_lo, exec_lo, s19
	v_lshlrev_b32_e32 v7, 24, v8
	s_delay_alu instid0(VALU_DEP_2) | instskip(SKIP_1) | instid1(VALU_DEP_3)
	v_lshlrev_b32_e32 v9, 20, v112
	v_lshl_add_u32 v6, v6, 23, 0x3c000000
	v_and_b32_e32 v7, 0x80000000, v7
	s_delay_alu instid0(VALU_DEP_1) | instskip(NEXT) | instid1(VALU_DEP_1)
	v_or3_b32 v112, v9, v7, v6
	v_mov_b64_e32 v[14:15], v[112:113]
.LBB187_1506:                           ;   in Loop: Header=BB187_819 Depth=1
	s_or_b32 exec_lo, exec_lo, s18
.LBB187_1507:                           ;   in Loop: Header=BB187_819 Depth=1
	s_delay_alu instid0(SALU_CYCLE_1)
	s_or_b32 exec_lo, exec_lo, s17
.LBB187_1508:                           ;   in Loop: Header=BB187_819 Depth=1
	s_delay_alu instid0(SALU_CYCLE_1) | instskip(SKIP_2) | instid1(VALU_DEP_1)
	s_or_b32 exec_lo, exec_lo, s16
	v_lshrrev_b16 v6, 8, v8
	s_mov_b32 s16, exec_lo
	v_cmpx_ne_u16_e32 0, v6
	s_cbranch_execz .LBB187_1516
; %bb.1509:                             ;   in Loop: Header=BB187_819 Depth=1
	v_mov_b64_e32 v[12:13], 0x8000000000000000
	s_mov_b32 s17, exec_lo
	v_cmpx_ne_u16_e32 0x80, v6
	s_cbranch_execz .LBB187_1515
; %bb.1510:                             ;   in Loop: Header=BB187_819 Depth=1
	v_and_b32_e32 v6, 0xffff, v6
	v_mov_b64_e32 v[12:13], 0x7f80000100000000
	s_mov_b32 s18, exec_lo
	s_delay_alu instid0(VALU_DEP_2) | instskip(NEXT) | instid1(VALU_DEP_1)
	v_and_b32_e32 v7, 0x7f, v6
	v_cmpx_ne_u32_e32 0x7f, v7
	s_cbranch_execz .LBB187_1514
; %bb.1511:                             ;   in Loop: Header=BB187_819 Depth=1
	v_dual_lshrrev_b32 v6, 3, v7 :: v_dual_bitop2_b32 v112, 7, v6 bitop3:0x40
	s_mov_b32 s19, exec_lo
	v_cmpx_gt_u32_e32 8, v7
; %bb.1512:                             ;   in Loop: Header=BB187_819 Depth=1
	s_delay_alu instid0(VALU_DEP_2) | instskip(NEXT) | instid1(VALU_DEP_1)
	v_clz_i32_u32_e32 v6, v112
	v_min_u32_e32 v6, 32, v6
	s_delay_alu instid0(VALU_DEP_1) | instskip(NEXT) | instid1(VALU_DEP_1)
	v_subrev_nc_u32_e32 v7, 28, v6
	v_lshlrev_b64_e32 v[12:13], v7, v[112:113]
	s_delay_alu instid0(VALU_DEP_1)
	v_dual_sub_nc_u32 v6, 29, v6 :: v_dual_bitop2_b32 v112, 7, v12 bitop3:0x40
; %bb.1513:                             ;   in Loop: Header=BB187_819 Depth=1
	s_or_b32 exec_lo, exec_lo, s19
	v_dual_mov_b32 v12, v113 :: v_dual_lshlrev_b32 v7, 16, v8
	s_delay_alu instid0(VALU_DEP_2) | instskip(NEXT) | instid1(VALU_DEP_3)
	v_lshlrev_b32_e32 v9, 20, v112
	v_lshl_add_u32 v6, v6, 23, 0x3c000000
	s_delay_alu instid0(VALU_DEP_3) | instskip(NEXT) | instid1(VALU_DEP_1)
	v_and_b32_e32 v7, 0x80000000, v7
	v_or3_b32 v13, v9, v7, v6
.LBB187_1514:                           ;   in Loop: Header=BB187_819 Depth=1
	s_or_b32 exec_lo, exec_lo, s18
.LBB187_1515:                           ;   in Loop: Header=BB187_819 Depth=1
	s_delay_alu instid0(SALU_CYCLE_1)
	s_or_b32 exec_lo, exec_lo, s17
.LBB187_1516:                           ;   in Loop: Header=BB187_819 Depth=1
	s_delay_alu instid0(SALU_CYCLE_1) | instskip(SKIP_4) | instid1(VALU_DEP_3)
	s_or_b32 exec_lo, exec_lo, s16
	v_lshrrev_b32_e32 v9, 16, v8
	v_mov_b64_e32 v[6:7], 0
	v_mov_b64_e32 v[16:17], 0
	s_mov_b32 s16, exec_lo
	v_and_b32_e32 v24, 0xff, v9
	s_delay_alu instid0(VALU_DEP_1)
	v_cmpx_ne_u16_e32 0, v24
	s_cbranch_execz .LBB187_1524
; %bb.1517:                             ;   in Loop: Header=BB187_819 Depth=1
	v_mov_b64_e32 v[16:17], 0x80000000
	s_mov_b32 s17, exec_lo
	v_cmpx_ne_u16_e32 0x80, v24
	s_cbranch_execz .LBB187_1523
; %bb.1518:                             ;   in Loop: Header=BB187_819 Depth=1
	v_mov_b64_e32 v[16:17], 0x7f800001
	v_bfe_u32 v24, v8, 16, 7
	s_mov_b32 s18, exec_lo
	s_delay_alu instid0(VALU_DEP_1)
	v_cmpx_ne_u32_e32 0x7f, v24
	s_cbranch_execz .LBB187_1522
; %bb.1519:                             ;   in Loop: Header=BB187_819 Depth=1
	v_dual_lshrrev_b32 v16, 3, v24 :: v_dual_bitop2_b32 v112, 7, v9 bitop3:0x40
	s_mov_b32 s19, exec_lo
	v_cmpx_gt_u32_e32 8, v24
; %bb.1520:                             ;   in Loop: Header=BB187_819 Depth=1
	s_delay_alu instid0(VALU_DEP_2) | instskip(NEXT) | instid1(VALU_DEP_1)
	v_clz_i32_u32_e32 v16, v112
	v_min_u32_e32 v16, 32, v16
	s_delay_alu instid0(VALU_DEP_1) | instskip(SKIP_1) | instid1(VALU_DEP_2)
	v_subrev_nc_u32_e32 v17, 28, v16
	v_sub_nc_u32_e32 v16, 29, v16
	v_lshlrev_b64_e32 v[24:25], v17, v[112:113]
	s_delay_alu instid0(VALU_DEP_1)
	v_and_b32_e32 v112, 7, v24
; %bb.1521:                             ;   in Loop: Header=BB187_819 Depth=1
	s_or_b32 exec_lo, exec_lo, s19
	s_delay_alu instid0(VALU_DEP_1) | instskip(SKIP_1) | instid1(VALU_DEP_2)
	v_dual_lshlrev_b32 v9, 24, v9 :: v_dual_lshlrev_b32 v17, 20, v112
	v_lshl_add_u32 v16, v16, 23, 0x3c000000
	v_and_b32_e32 v9, 0x80000000, v9
	s_delay_alu instid0(VALU_DEP_1) | instskip(NEXT) | instid1(VALU_DEP_1)
	v_or3_b32 v112, v17, v9, v16
	v_mov_b64_e32 v[16:17], v[112:113]
.LBB187_1522:                           ;   in Loop: Header=BB187_819 Depth=1
	s_or_b32 exec_lo, exec_lo, s18
.LBB187_1523:                           ;   in Loop: Header=BB187_819 Depth=1
	s_delay_alu instid0(SALU_CYCLE_1)
	s_or_b32 exec_lo, exec_lo, s17
.LBB187_1524:                           ;   in Loop: Header=BB187_819 Depth=1
	s_delay_alu instid0(SALU_CYCLE_1) | instskip(NEXT) | instid1(SALU_CYCLE_1)
	s_or_b32 exec_lo, exec_lo, s16
	s_mov_b32 s16, exec_lo
	v_cmpx_lt_u32_e32 0xffffff, v8
	s_cbranch_execz .LBB187_1532
; %bb.1525:                             ;   in Loop: Header=BB187_819 Depth=1
	v_mov_b64_e32 v[6:7], 0x8000000000000000
	v_lshrrev_b32_e32 v9, 24, v8
	s_mov_b32 s17, exec_lo
	s_delay_alu instid0(VALU_DEP_1)
	v_cmpx_ne_u32_e32 0x80, v9
	s_cbranch_execz .LBB187_1531
; %bb.1526:                             ;   in Loop: Header=BB187_819 Depth=1
	v_mov_b64_e32 v[6:7], 0x7f80000100000000
	v_bfe_u32 v8, v8, 24, 7
	s_mov_b32 s18, exec_lo
	s_delay_alu instid0(VALU_DEP_1)
	v_cmpx_ne_u32_e32 0x7f, v8
	s_cbranch_execz .LBB187_1530
; %bb.1527:                             ;   in Loop: Header=BB187_819 Depth=1
	v_dual_lshrrev_b32 v6, 3, v8 :: v_dual_bitop2_b32 v112, 7, v9 bitop3:0x40
	s_mov_b32 s19, exec_lo
	v_cmpx_gt_u32_e32 8, v8
; %bb.1528:                             ;   in Loop: Header=BB187_819 Depth=1
	s_delay_alu instid0(VALU_DEP_2) | instskip(NEXT) | instid1(VALU_DEP_1)
	v_clz_i32_u32_e32 v6, v112
	v_min_u32_e32 v6, 32, v6
	s_delay_alu instid0(VALU_DEP_1) | instskip(NEXT) | instid1(VALU_DEP_1)
	v_subrev_nc_u32_e32 v7, 28, v6
	v_lshlrev_b64_e32 v[24:25], v7, v[112:113]
	s_delay_alu instid0(VALU_DEP_1)
	v_dual_sub_nc_u32 v6, 29, v6 :: v_dual_bitop2_b32 v112, 7, v24 bitop3:0x40
; %bb.1529:                             ;   in Loop: Header=BB187_819 Depth=1
	s_or_b32 exec_lo, exec_lo, s19
	s_delay_alu instid0(VALU_DEP_1) | instskip(NEXT) | instid1(VALU_DEP_2)
	v_dual_lshlrev_b32 v7, 24, v9 :: v_dual_lshlrev_b32 v8, 20, v112
	v_lshl_add_u32 v6, v6, 23, 0x3c000000
	s_delay_alu instid0(VALU_DEP_2) | instskip(NEXT) | instid1(VALU_DEP_1)
	v_and_b32_e32 v7, 0x80000000, v7
	v_or3_b32 v7, v8, v7, v6
	v_mov_b32_e32 v6, v113
.LBB187_1530:                           ;   in Loop: Header=BB187_819 Depth=1
	s_or_b32 exec_lo, exec_lo, s18
.LBB187_1531:                           ;   in Loop: Header=BB187_819 Depth=1
	s_delay_alu instid0(SALU_CYCLE_1)
	s_or_b32 exec_lo, exec_lo, s17
.LBB187_1532:                           ;   in Loop: Header=BB187_819 Depth=1
	s_delay_alu instid0(SALU_CYCLE_1) | instskip(SKIP_4) | instid1(VALU_DEP_3)
	s_or_b32 exec_lo, exec_lo, s16
	v_or_b32_e32 v9, v13, v15
	v_or_b32_e32 v8, v12, v14
	;; [unrolled: 1-line block ×4, first 2 shown]
	v_pk_mul_f32 v[16:17], v[54:55], v[8:9]
	s_delay_alu instid0(VALU_DEP_2)
	v_pk_mul_f32 v[126:127], v[54:55], v[6:7]
	s_and_saveexec_b32 s16, vcc_lo
	s_cbranch_execz .LBB187_1534
; %bb.1533:                             ;   in Loop: Header=BB187_819 Depth=1
	v_cmp_lt_i32_e64 s0, v29, v100
	s_delay_alu instid0(VALU_DEP_1) | instskip(SKIP_1) | instid1(VALU_DEP_1)
	v_cndmask_b32_e64 v16, 0, v16, s0
	v_cmp_lt_i32_e64 s0, v33, v100
	v_cndmask_b32_e64 v17, 0, v17, s0
	v_cmp_lt_i32_e64 s0, v35, v100
	s_delay_alu instid0(VALU_DEP_1) | instskip(SKIP_1) | instid1(VALU_DEP_1)
	v_cndmask_b32_e64 v126, 0, v126, s0
	v_cmp_lt_i32_e64 s0, v34, v100
	v_cndmask_b32_e64 v127, 0, v127, s0
.LBB187_1534:                           ;   in Loop: Header=BB187_819 Depth=1
	s_or_b32 exec_lo, exec_lo, s16
	flat_load_b32 v8, v[68:69] offset:2688
	v_mov_b64_e32 v[12:13], 0
	v_mov_b64_e32 v[14:15], 0
	s_mov_b32 s16, exec_lo
	s_wait_loadcnt_dscnt 0x0
	v_and_b32_e32 v6, 0xff, v8
	s_wait_xcnt 0x0
	s_delay_alu instid0(VALU_DEP_1)
	v_cmpx_ne_u16_e32 0, v6
	s_cbranch_execz .LBB187_1542
; %bb.1535:                             ;   in Loop: Header=BB187_819 Depth=1
	v_mov_b64_e32 v[14:15], 0x80000000
	s_mov_b32 s17, exec_lo
	v_cmpx_ne_u16_e32 0x80, v6
	s_cbranch_execz .LBB187_1541
; %bb.1536:                             ;   in Loop: Header=BB187_819 Depth=1
	v_mov_b64_e32 v[14:15], 0x7f800001
	v_and_b32_e32 v7, 0x7f, v8
	s_mov_b32 s18, exec_lo
	s_delay_alu instid0(VALU_DEP_1)
	v_cmpx_ne_u32_e32 0x7f, v7
	s_cbranch_execz .LBB187_1540
; %bb.1537:                             ;   in Loop: Header=BB187_819 Depth=1
	v_dual_lshrrev_b32 v6, 3, v7 :: v_dual_bitop2_b32 v112, 7, v8 bitop3:0x40
	s_mov_b32 s19, exec_lo
	v_cmpx_gt_u32_e32 8, v7
; %bb.1538:                             ;   in Loop: Header=BB187_819 Depth=1
	s_delay_alu instid0(VALU_DEP_2) | instskip(NEXT) | instid1(VALU_DEP_1)
	v_clz_i32_u32_e32 v6, v112
	v_min_u32_e32 v6, 32, v6
	s_delay_alu instid0(VALU_DEP_1) | instskip(SKIP_1) | instid1(VALU_DEP_2)
	v_subrev_nc_u32_e32 v7, 28, v6
	v_sub_nc_u32_e32 v6, 29, v6
	v_lshlrev_b64_e32 v[14:15], v7, v[112:113]
	s_delay_alu instid0(VALU_DEP_1)
	v_and_b32_e32 v112, 7, v14
; %bb.1539:                             ;   in Loop: Header=BB187_819 Depth=1
	s_or_b32 exec_lo, exec_lo, s19
	v_lshlrev_b32_e32 v7, 24, v8
	s_delay_alu instid0(VALU_DEP_2) | instskip(SKIP_1) | instid1(VALU_DEP_3)
	v_lshlrev_b32_e32 v9, 20, v112
	v_lshl_add_u32 v6, v6, 23, 0x3c000000
	v_and_b32_e32 v7, 0x80000000, v7
	s_delay_alu instid0(VALU_DEP_1) | instskip(NEXT) | instid1(VALU_DEP_1)
	v_or3_b32 v112, v9, v7, v6
	v_mov_b64_e32 v[14:15], v[112:113]
.LBB187_1540:                           ;   in Loop: Header=BB187_819 Depth=1
	s_or_b32 exec_lo, exec_lo, s18
.LBB187_1541:                           ;   in Loop: Header=BB187_819 Depth=1
	s_delay_alu instid0(SALU_CYCLE_1)
	s_or_b32 exec_lo, exec_lo, s17
.LBB187_1542:                           ;   in Loop: Header=BB187_819 Depth=1
	s_delay_alu instid0(SALU_CYCLE_1) | instskip(SKIP_2) | instid1(VALU_DEP_1)
	s_or_b32 exec_lo, exec_lo, s16
	v_lshrrev_b16 v6, 8, v8
	s_mov_b32 s16, exec_lo
	v_cmpx_ne_u16_e32 0, v6
	s_cbranch_execz .LBB187_1550
; %bb.1543:                             ;   in Loop: Header=BB187_819 Depth=1
	v_mov_b64_e32 v[12:13], 0x8000000000000000
	s_mov_b32 s17, exec_lo
	v_cmpx_ne_u16_e32 0x80, v6
	s_cbranch_execz .LBB187_1549
; %bb.1544:                             ;   in Loop: Header=BB187_819 Depth=1
	v_and_b32_e32 v6, 0xffff, v6
	v_mov_b64_e32 v[12:13], 0x7f80000100000000
	s_mov_b32 s18, exec_lo
	s_delay_alu instid0(VALU_DEP_2) | instskip(NEXT) | instid1(VALU_DEP_1)
	v_and_b32_e32 v7, 0x7f, v6
	v_cmpx_ne_u32_e32 0x7f, v7
	s_cbranch_execz .LBB187_1548
; %bb.1545:                             ;   in Loop: Header=BB187_819 Depth=1
	v_dual_lshrrev_b32 v6, 3, v7 :: v_dual_bitop2_b32 v112, 7, v6 bitop3:0x40
	s_mov_b32 s19, exec_lo
	v_cmpx_gt_u32_e32 8, v7
; %bb.1546:                             ;   in Loop: Header=BB187_819 Depth=1
	s_delay_alu instid0(VALU_DEP_2) | instskip(NEXT) | instid1(VALU_DEP_1)
	v_clz_i32_u32_e32 v6, v112
	v_min_u32_e32 v6, 32, v6
	s_delay_alu instid0(VALU_DEP_1) | instskip(NEXT) | instid1(VALU_DEP_1)
	v_subrev_nc_u32_e32 v7, 28, v6
	v_lshlrev_b64_e32 v[12:13], v7, v[112:113]
	s_delay_alu instid0(VALU_DEP_1)
	v_dual_sub_nc_u32 v6, 29, v6 :: v_dual_bitop2_b32 v112, 7, v12 bitop3:0x40
; %bb.1547:                             ;   in Loop: Header=BB187_819 Depth=1
	s_or_b32 exec_lo, exec_lo, s19
	v_dual_mov_b32 v12, v113 :: v_dual_lshlrev_b32 v7, 16, v8
	s_delay_alu instid0(VALU_DEP_2) | instskip(NEXT) | instid1(VALU_DEP_3)
	v_lshlrev_b32_e32 v9, 20, v112
	v_lshl_add_u32 v6, v6, 23, 0x3c000000
	s_delay_alu instid0(VALU_DEP_3) | instskip(NEXT) | instid1(VALU_DEP_1)
	v_and_b32_e32 v7, 0x80000000, v7
	v_or3_b32 v13, v9, v7, v6
.LBB187_1548:                           ;   in Loop: Header=BB187_819 Depth=1
	s_or_b32 exec_lo, exec_lo, s18
.LBB187_1549:                           ;   in Loop: Header=BB187_819 Depth=1
	s_delay_alu instid0(SALU_CYCLE_1)
	s_or_b32 exec_lo, exec_lo, s17
.LBB187_1550:                           ;   in Loop: Header=BB187_819 Depth=1
	s_delay_alu instid0(SALU_CYCLE_1) | instskip(SKIP_4) | instid1(VALU_DEP_3)
	s_or_b32 exec_lo, exec_lo, s16
	v_lshrrev_b32_e32 v9, 16, v8
	v_mov_b64_e32 v[6:7], 0
	v_mov_b64_e32 v[24:25], 0
	s_mov_b32 s16, exec_lo
	v_and_b32_e32 v26, 0xff, v9
	s_delay_alu instid0(VALU_DEP_1)
	v_cmpx_ne_u16_e32 0, v26
	s_cbranch_execz .LBB187_1558
; %bb.1551:                             ;   in Loop: Header=BB187_819 Depth=1
	v_mov_b64_e32 v[24:25], 0x80000000
	s_mov_b32 s17, exec_lo
	v_cmpx_ne_u16_e32 0x80, v26
	s_cbranch_execz .LBB187_1557
; %bb.1552:                             ;   in Loop: Header=BB187_819 Depth=1
	v_mov_b64_e32 v[24:25], 0x7f800001
	v_bfe_u32 v26, v8, 16, 7
	s_mov_b32 s18, exec_lo
	s_delay_alu instid0(VALU_DEP_1)
	v_cmpx_ne_u32_e32 0x7f, v26
	s_cbranch_execz .LBB187_1556
; %bb.1553:                             ;   in Loop: Header=BB187_819 Depth=1
	v_dual_lshrrev_b32 v24, 3, v26 :: v_dual_bitop2_b32 v112, 7, v9 bitop3:0x40
	s_mov_b32 s19, exec_lo
	v_cmpx_gt_u32_e32 8, v26
; %bb.1554:                             ;   in Loop: Header=BB187_819 Depth=1
	s_delay_alu instid0(VALU_DEP_2) | instskip(NEXT) | instid1(VALU_DEP_1)
	v_clz_i32_u32_e32 v24, v112
	v_min_u32_e32 v24, 32, v24
	s_delay_alu instid0(VALU_DEP_1) | instskip(NEXT) | instid1(VALU_DEP_1)
	v_subrev_nc_u32_e32 v25, 28, v24
	v_lshlrev_b64_e32 v[26:27], v25, v[112:113]
	s_delay_alu instid0(VALU_DEP_1)
	v_dual_sub_nc_u32 v24, 29, v24 :: v_dual_bitop2_b32 v112, 7, v26 bitop3:0x40
; %bb.1555:                             ;   in Loop: Header=BB187_819 Depth=1
	s_or_b32 exec_lo, exec_lo, s19
	s_delay_alu instid0(VALU_DEP_1) | instskip(NEXT) | instid1(VALU_DEP_2)
	v_dual_lshlrev_b32 v9, 24, v9 :: v_dual_lshlrev_b32 v25, 20, v112
	v_lshl_add_u32 v24, v24, 23, 0x3c000000
	s_delay_alu instid0(VALU_DEP_2) | instskip(NEXT) | instid1(VALU_DEP_1)
	v_and_b32_e32 v9, 0x80000000, v9
	v_or3_b32 v112, v25, v9, v24
	s_delay_alu instid0(VALU_DEP_1)
	v_mov_b64_e32 v[24:25], v[112:113]
.LBB187_1556:                           ;   in Loop: Header=BB187_819 Depth=1
	s_or_b32 exec_lo, exec_lo, s18
.LBB187_1557:                           ;   in Loop: Header=BB187_819 Depth=1
	s_delay_alu instid0(SALU_CYCLE_1)
	s_or_b32 exec_lo, exec_lo, s17
.LBB187_1558:                           ;   in Loop: Header=BB187_819 Depth=1
	s_delay_alu instid0(SALU_CYCLE_1) | instskip(NEXT) | instid1(SALU_CYCLE_1)
	s_or_b32 exec_lo, exec_lo, s16
	s_mov_b32 s16, exec_lo
	v_cmpx_lt_u32_e32 0xffffff, v8
	s_cbranch_execz .LBB187_1566
; %bb.1559:                             ;   in Loop: Header=BB187_819 Depth=1
	v_mov_b64_e32 v[6:7], 0x8000000000000000
	v_lshrrev_b32_e32 v9, 24, v8
	s_mov_b32 s17, exec_lo
	s_delay_alu instid0(VALU_DEP_1)
	v_cmpx_ne_u32_e32 0x80, v9
	s_cbranch_execz .LBB187_1565
; %bb.1560:                             ;   in Loop: Header=BB187_819 Depth=1
	v_mov_b64_e32 v[6:7], 0x7f80000100000000
	v_bfe_u32 v8, v8, 24, 7
	s_mov_b32 s18, exec_lo
	s_delay_alu instid0(VALU_DEP_1)
	v_cmpx_ne_u32_e32 0x7f, v8
	s_cbranch_execz .LBB187_1564
; %bb.1561:                             ;   in Loop: Header=BB187_819 Depth=1
	v_dual_lshrrev_b32 v6, 3, v8 :: v_dual_bitop2_b32 v112, 7, v9 bitop3:0x40
	s_mov_b32 s19, exec_lo
	v_cmpx_gt_u32_e32 8, v8
; %bb.1562:                             ;   in Loop: Header=BB187_819 Depth=1
	s_delay_alu instid0(VALU_DEP_2) | instskip(NEXT) | instid1(VALU_DEP_1)
	v_clz_i32_u32_e32 v6, v112
	v_min_u32_e32 v6, 32, v6
	s_delay_alu instid0(VALU_DEP_1) | instskip(SKIP_1) | instid1(VALU_DEP_2)
	v_subrev_nc_u32_e32 v7, 28, v6
	v_sub_nc_u32_e32 v6, 29, v6
	v_lshlrev_b64_e32 v[26:27], v7, v[112:113]
	s_delay_alu instid0(VALU_DEP_1)
	v_and_b32_e32 v112, 7, v26
; %bb.1563:                             ;   in Loop: Header=BB187_819 Depth=1
	s_or_b32 exec_lo, exec_lo, s19
	s_delay_alu instid0(VALU_DEP_1) | instskip(SKIP_1) | instid1(VALU_DEP_2)
	v_dual_lshlrev_b32 v7, 24, v9 :: v_dual_lshlrev_b32 v8, 20, v112
	v_lshl_add_u32 v6, v6, 23, 0x3c000000
	v_and_b32_e32 v7, 0x80000000, v7
	s_delay_alu instid0(VALU_DEP_1)
	v_or3_b32 v7, v8, v7, v6
	v_mov_b32_e32 v6, v113
.LBB187_1564:                           ;   in Loop: Header=BB187_819 Depth=1
	s_or_b32 exec_lo, exec_lo, s18
.LBB187_1565:                           ;   in Loop: Header=BB187_819 Depth=1
	s_delay_alu instid0(SALU_CYCLE_1)
	s_or_b32 exec_lo, exec_lo, s17
.LBB187_1566:                           ;   in Loop: Header=BB187_819 Depth=1
	s_delay_alu instid0(SALU_CYCLE_1) | instskip(SKIP_4) | instid1(VALU_DEP_3)
	s_or_b32 exec_lo, exec_lo, s16
	v_or_b32_e32 v9, v13, v15
	v_or_b32_e32 v8, v12, v14
	;; [unrolled: 1-line block ×4, first 2 shown]
	v_pk_mul_f32 v[52:53], v[54:55], v[8:9]
	s_delay_alu instid0(VALU_DEP_2)
	v_pk_mul_f32 v[26:27], v[54:55], v[6:7]
	s_and_saveexec_b32 s16, vcc_lo
	s_cbranch_execz .LBB187_1568
; %bb.1567:                             ;   in Loop: Header=BB187_819 Depth=1
	v_cmp_lt_i32_e64 s0, v29, v100
	s_delay_alu instid0(VALU_DEP_1) | instskip(SKIP_1) | instid1(VALU_DEP_1)
	v_cndmask_b32_e64 v52, 0, v52, s0
	v_cmp_lt_i32_e64 s0, v33, v100
	v_cndmask_b32_e64 v53, 0, v53, s0
	v_cmp_lt_i32_e64 s0, v35, v100
	s_delay_alu instid0(VALU_DEP_1) | instskip(SKIP_1) | instid1(VALU_DEP_1)
	v_cndmask_b32_e64 v26, 0, v26, s0
	v_cmp_lt_i32_e64 s0, v34, v100
	v_cndmask_b32_e64 v27, 0, v27, s0
.LBB187_1568:                           ;   in Loop: Header=BB187_819 Depth=1
	s_or_b32 exec_lo, exec_lo, s16
	flat_load_b32 v8, v[68:69] offset:2816
	v_mov_b64_e32 v[12:13], 0
	v_mov_b64_e32 v[14:15], 0
	s_mov_b32 s16, exec_lo
	s_wait_loadcnt_dscnt 0x0
	v_and_b32_e32 v6, 0xff, v8
	s_wait_xcnt 0x0
	s_delay_alu instid0(VALU_DEP_1)
	v_cmpx_ne_u16_e32 0, v6
	s_cbranch_execz .LBB187_1576
; %bb.1569:                             ;   in Loop: Header=BB187_819 Depth=1
	v_mov_b64_e32 v[14:15], 0x80000000
	s_mov_b32 s17, exec_lo
	v_cmpx_ne_u16_e32 0x80, v6
	s_cbranch_execz .LBB187_1575
; %bb.1570:                             ;   in Loop: Header=BB187_819 Depth=1
	v_mov_b64_e32 v[14:15], 0x7f800001
	v_and_b32_e32 v7, 0x7f, v8
	s_mov_b32 s18, exec_lo
	s_delay_alu instid0(VALU_DEP_1)
	v_cmpx_ne_u32_e32 0x7f, v7
	s_cbranch_execz .LBB187_1574
; %bb.1571:                             ;   in Loop: Header=BB187_819 Depth=1
	v_dual_lshrrev_b32 v6, 3, v7 :: v_dual_bitop2_b32 v112, 7, v8 bitop3:0x40
	s_mov_b32 s19, exec_lo
	v_cmpx_gt_u32_e32 8, v7
; %bb.1572:                             ;   in Loop: Header=BB187_819 Depth=1
	s_delay_alu instid0(VALU_DEP_2) | instskip(NEXT) | instid1(VALU_DEP_1)
	v_clz_i32_u32_e32 v6, v112
	v_min_u32_e32 v6, 32, v6
	s_delay_alu instid0(VALU_DEP_1) | instskip(SKIP_1) | instid1(VALU_DEP_2)
	v_subrev_nc_u32_e32 v7, 28, v6
	v_sub_nc_u32_e32 v6, 29, v6
	v_lshlrev_b64_e32 v[14:15], v7, v[112:113]
	s_delay_alu instid0(VALU_DEP_1)
	v_and_b32_e32 v112, 7, v14
; %bb.1573:                             ;   in Loop: Header=BB187_819 Depth=1
	s_or_b32 exec_lo, exec_lo, s19
	v_lshlrev_b32_e32 v7, 24, v8
	s_delay_alu instid0(VALU_DEP_2) | instskip(SKIP_1) | instid1(VALU_DEP_3)
	v_lshlrev_b32_e32 v9, 20, v112
	v_lshl_add_u32 v6, v6, 23, 0x3c000000
	v_and_b32_e32 v7, 0x80000000, v7
	s_delay_alu instid0(VALU_DEP_1) | instskip(NEXT) | instid1(VALU_DEP_1)
	v_or3_b32 v112, v9, v7, v6
	v_mov_b64_e32 v[14:15], v[112:113]
.LBB187_1574:                           ;   in Loop: Header=BB187_819 Depth=1
	s_or_b32 exec_lo, exec_lo, s18
.LBB187_1575:                           ;   in Loop: Header=BB187_819 Depth=1
	s_delay_alu instid0(SALU_CYCLE_1)
	s_or_b32 exec_lo, exec_lo, s17
.LBB187_1576:                           ;   in Loop: Header=BB187_819 Depth=1
	s_delay_alu instid0(SALU_CYCLE_1) | instskip(SKIP_2) | instid1(VALU_DEP_1)
	s_or_b32 exec_lo, exec_lo, s16
	v_lshrrev_b16 v6, 8, v8
	s_mov_b32 s16, exec_lo
	v_cmpx_ne_u16_e32 0, v6
	s_cbranch_execz .LBB187_1584
; %bb.1577:                             ;   in Loop: Header=BB187_819 Depth=1
	v_mov_b64_e32 v[12:13], 0x8000000000000000
	s_mov_b32 s17, exec_lo
	v_cmpx_ne_u16_e32 0x80, v6
	s_cbranch_execz .LBB187_1583
; %bb.1578:                             ;   in Loop: Header=BB187_819 Depth=1
	v_and_b32_e32 v6, 0xffff, v6
	v_mov_b64_e32 v[12:13], 0x7f80000100000000
	s_mov_b32 s18, exec_lo
	s_delay_alu instid0(VALU_DEP_2) | instskip(NEXT) | instid1(VALU_DEP_1)
	v_and_b32_e32 v7, 0x7f, v6
	v_cmpx_ne_u32_e32 0x7f, v7
	s_cbranch_execz .LBB187_1582
; %bb.1579:                             ;   in Loop: Header=BB187_819 Depth=1
	v_dual_lshrrev_b32 v6, 3, v7 :: v_dual_bitop2_b32 v112, 7, v6 bitop3:0x40
	s_mov_b32 s19, exec_lo
	v_cmpx_gt_u32_e32 8, v7
; %bb.1580:                             ;   in Loop: Header=BB187_819 Depth=1
	s_delay_alu instid0(VALU_DEP_2) | instskip(NEXT) | instid1(VALU_DEP_1)
	v_clz_i32_u32_e32 v6, v112
	v_min_u32_e32 v6, 32, v6
	s_delay_alu instid0(VALU_DEP_1) | instskip(NEXT) | instid1(VALU_DEP_1)
	v_subrev_nc_u32_e32 v7, 28, v6
	v_lshlrev_b64_e32 v[12:13], v7, v[112:113]
	s_delay_alu instid0(VALU_DEP_1)
	v_dual_sub_nc_u32 v6, 29, v6 :: v_dual_bitop2_b32 v112, 7, v12 bitop3:0x40
; %bb.1581:                             ;   in Loop: Header=BB187_819 Depth=1
	s_or_b32 exec_lo, exec_lo, s19
	v_dual_mov_b32 v12, v113 :: v_dual_lshlrev_b32 v7, 16, v8
	s_delay_alu instid0(VALU_DEP_2) | instskip(NEXT) | instid1(VALU_DEP_3)
	v_lshlrev_b32_e32 v9, 20, v112
	v_lshl_add_u32 v6, v6, 23, 0x3c000000
	s_delay_alu instid0(VALU_DEP_3) | instskip(NEXT) | instid1(VALU_DEP_1)
	v_and_b32_e32 v7, 0x80000000, v7
	v_or3_b32 v13, v9, v7, v6
.LBB187_1582:                           ;   in Loop: Header=BB187_819 Depth=1
	s_or_b32 exec_lo, exec_lo, s18
.LBB187_1583:                           ;   in Loop: Header=BB187_819 Depth=1
	s_delay_alu instid0(SALU_CYCLE_1)
	s_or_b32 exec_lo, exec_lo, s17
.LBB187_1584:                           ;   in Loop: Header=BB187_819 Depth=1
	s_delay_alu instid0(SALU_CYCLE_1) | instskip(SKIP_4) | instid1(VALU_DEP_3)
	s_or_b32 exec_lo, exec_lo, s16
	v_lshrrev_b32_e32 v9, 16, v8
	v_mov_b64_e32 v[6:7], 0
	v_mov_b64_e32 v[24:25], 0
	s_mov_b32 s16, exec_lo
	v_and_b32_e32 v36, 0xff, v9
	s_delay_alu instid0(VALU_DEP_1)
	v_cmpx_ne_u16_e32 0, v36
	s_cbranch_execz .LBB187_1592
; %bb.1585:                             ;   in Loop: Header=BB187_819 Depth=1
	v_mov_b64_e32 v[24:25], 0x80000000
	s_mov_b32 s17, exec_lo
	v_cmpx_ne_u16_e32 0x80, v36
	s_cbranch_execz .LBB187_1591
; %bb.1586:                             ;   in Loop: Header=BB187_819 Depth=1
	v_mov_b64_e32 v[24:25], 0x7f800001
	v_bfe_u32 v36, v8, 16, 7
	s_mov_b32 s18, exec_lo
	s_delay_alu instid0(VALU_DEP_1)
	v_cmpx_ne_u32_e32 0x7f, v36
	s_cbranch_execz .LBB187_1590
; %bb.1587:                             ;   in Loop: Header=BB187_819 Depth=1
	v_dual_lshrrev_b32 v24, 3, v36 :: v_dual_bitop2_b32 v112, 7, v9 bitop3:0x40
	s_mov_b32 s19, exec_lo
	v_cmpx_gt_u32_e32 8, v36
	s_cbranch_execz .LBB187_1589
; %bb.1588:                             ;   in Loop: Header=BB187_819 Depth=1
	s_delay_alu instid0(VALU_DEP_2) | instskip(NEXT) | instid1(VALU_DEP_1)
	v_clz_i32_u32_e32 v24, v112
	v_min_u32_e32 v24, 32, v24
	s_delay_alu instid0(VALU_DEP_1) | instskip(SKIP_1) | instid1(VALU_DEP_2)
	v_subrev_nc_u32_e32 v25, 28, v24
	v_sub_nc_u32_e32 v24, 29, v24
	v_lshlrev_b64_e32 v[36:37], v25, v[112:113]
	scratch_load_b32 v37, off, s32 offset:312 ; 4-byte Folded Reload
	v_and_b32_e32 v112, 7, v36
.LBB187_1589:                           ;   in Loop: Header=BB187_819 Depth=1
	s_wait_xcnt 0x0
	s_or_b32 exec_lo, exec_lo, s19
	s_delay_alu instid0(VALU_DEP_1) | instskip(SKIP_1) | instid1(VALU_DEP_2)
	v_dual_lshlrev_b32 v9, 24, v9 :: v_dual_lshlrev_b32 v25, 20, v112
	v_lshl_add_u32 v24, v24, 23, 0x3c000000
	v_and_b32_e32 v9, 0x80000000, v9
	s_delay_alu instid0(VALU_DEP_1) | instskip(NEXT) | instid1(VALU_DEP_1)
	v_or3_b32 v112, v25, v9, v24
	v_mov_b64_e32 v[24:25], v[112:113]
.LBB187_1590:                           ;   in Loop: Header=BB187_819 Depth=1
	s_or_b32 exec_lo, exec_lo, s18
.LBB187_1591:                           ;   in Loop: Header=BB187_819 Depth=1
	s_delay_alu instid0(SALU_CYCLE_1)
	s_or_b32 exec_lo, exec_lo, s17
.LBB187_1592:                           ;   in Loop: Header=BB187_819 Depth=1
	s_delay_alu instid0(SALU_CYCLE_1) | instskip(NEXT) | instid1(SALU_CYCLE_1)
	s_or_b32 exec_lo, exec_lo, s16
	s_mov_b32 s16, exec_lo
	v_cmpx_lt_u32_e32 0xffffff, v8
	s_cbranch_execz .LBB187_1600
; %bb.1593:                             ;   in Loop: Header=BB187_819 Depth=1
	v_mov_b64_e32 v[6:7], 0x8000000000000000
	v_lshrrev_b32_e32 v9, 24, v8
	s_mov_b32 s17, exec_lo
	s_delay_alu instid0(VALU_DEP_1)
	v_cmpx_ne_u32_e32 0x80, v9
	s_cbranch_execz .LBB187_1599
; %bb.1594:                             ;   in Loop: Header=BB187_819 Depth=1
	v_mov_b64_e32 v[6:7], 0x7f80000100000000
	v_bfe_u32 v8, v8, 24, 7
	s_mov_b32 s18, exec_lo
	s_delay_alu instid0(VALU_DEP_1)
	v_cmpx_ne_u32_e32 0x7f, v8
	s_cbranch_execz .LBB187_1598
; %bb.1595:                             ;   in Loop: Header=BB187_819 Depth=1
	v_dual_lshrrev_b32 v6, 3, v8 :: v_dual_bitop2_b32 v112, 7, v9 bitop3:0x40
	s_mov_b32 s19, exec_lo
	v_cmpx_gt_u32_e32 8, v8
	s_cbranch_execz .LBB187_1597
; %bb.1596:                             ;   in Loop: Header=BB187_819 Depth=1
	s_delay_alu instid0(VALU_DEP_2) | instskip(NEXT) | instid1(VALU_DEP_1)
	v_clz_i32_u32_e32 v6, v112
	v_min_u32_e32 v6, 32, v6
	s_delay_alu instid0(VALU_DEP_1) | instskip(SKIP_1) | instid1(VALU_DEP_1)
	v_subrev_nc_u32_e32 v7, 28, v6
	s_wait_loadcnt 0x0
	v_lshlrev_b64_e32 v[36:37], v7, v[112:113]
	scratch_load_b32 v37, off, s32 offset:312 ; 4-byte Folded Reload
	v_dual_sub_nc_u32 v6, 29, v6 :: v_dual_bitop2_b32 v112, 7, v36 bitop3:0x40
.LBB187_1597:                           ;   in Loop: Header=BB187_819 Depth=1
	s_wait_xcnt 0x0
	s_or_b32 exec_lo, exec_lo, s19
	s_delay_alu instid0(VALU_DEP_1) | instskip(NEXT) | instid1(VALU_DEP_2)
	v_dual_lshlrev_b32 v7, 24, v9 :: v_dual_lshlrev_b32 v8, 20, v112
	v_lshl_add_u32 v6, v6, 23, 0x3c000000
	s_delay_alu instid0(VALU_DEP_2) | instskip(NEXT) | instid1(VALU_DEP_1)
	v_and_b32_e32 v7, 0x80000000, v7
	v_or3_b32 v7, v8, v7, v6
	v_mov_b32_e32 v6, v113
.LBB187_1598:                           ;   in Loop: Header=BB187_819 Depth=1
	s_or_b32 exec_lo, exec_lo, s18
.LBB187_1599:                           ;   in Loop: Header=BB187_819 Depth=1
	s_delay_alu instid0(SALU_CYCLE_1)
	s_or_b32 exec_lo, exec_lo, s17
.LBB187_1600:                           ;   in Loop: Header=BB187_819 Depth=1
	s_delay_alu instid0(SALU_CYCLE_1) | instskip(SKIP_4) | instid1(VALU_DEP_3)
	s_or_b32 exec_lo, exec_lo, s16
	v_or_b32_e32 v9, v13, v15
	v_or_b32_e32 v8, v12, v14
	;; [unrolled: 1-line block ×4, first 2 shown]
	v_pk_mul_f32 v[14:15], v[54:55], v[8:9]
	s_delay_alu instid0(VALU_DEP_2)
	v_pk_mul_f32 v[12:13], v[54:55], v[6:7]
	s_and_saveexec_b32 s16, vcc_lo
	s_cbranch_execz .LBB187_1602
; %bb.1601:                             ;   in Loop: Header=BB187_819 Depth=1
	v_cmp_lt_i32_e64 s0, v29, v100
	s_delay_alu instid0(VALU_DEP_1) | instskip(SKIP_1) | instid1(VALU_DEP_1)
	v_cndmask_b32_e64 v14, 0, v14, s0
	v_cmp_lt_i32_e64 s0, v33, v100
	v_cndmask_b32_e64 v15, 0, v15, s0
	v_cmp_lt_i32_e64 s0, v35, v100
	s_delay_alu instid0(VALU_DEP_1) | instskip(SKIP_1) | instid1(VALU_DEP_1)
	v_cndmask_b32_e64 v12, 0, v12, s0
	v_cmp_lt_i32_e64 s0, v34, v100
	v_cndmask_b32_e64 v13, 0, v13, s0
.LBB187_1602:                           ;   in Loop: Header=BB187_819 Depth=1
	s_or_b32 exec_lo, exec_lo, s16
	flat_load_b32 v34, v[68:69] offset:2944
	s_wait_xcnt 0x0
	v_mov_b64_e32 v[68:69], 0
	v_mov_b64_e32 v[6:7], 0
	s_mov_b32 s16, exec_lo
	s_wait_loadcnt_dscnt 0x0
	v_and_b32_e32 v8, 0xff, v34
	s_delay_alu instid0(VALU_DEP_1)
	v_cmpx_ne_u16_e32 0, v8
	s_cbranch_execz .LBB187_1610
; %bb.1603:                             ;   in Loop: Header=BB187_819 Depth=1
	v_mov_b64_e32 v[6:7], 0x80000000
	s_mov_b32 s17, exec_lo
	v_cmpx_ne_u16_e32 0x80, v8
	s_cbranch_execz .LBB187_1609
; %bb.1604:                             ;   in Loop: Header=BB187_819 Depth=1
	v_mov_b64_e32 v[6:7], 0x7f800001
	v_and_b32_e32 v8, 0x7f, v34
	s_mov_b32 s18, exec_lo
	s_delay_alu instid0(VALU_DEP_1)
	v_cmpx_ne_u32_e32 0x7f, v8
	s_cbranch_execz .LBB187_1608
; %bb.1605:                             ;   in Loop: Header=BB187_819 Depth=1
	v_dual_lshrrev_b32 v6, 3, v8 :: v_dual_bitop2_b32 v112, 7, v34 bitop3:0x40
	s_mov_b32 s19, exec_lo
	v_cmpx_gt_u32_e32 8, v8
; %bb.1606:                             ;   in Loop: Header=BB187_819 Depth=1
	s_delay_alu instid0(VALU_DEP_2) | instskip(NEXT) | instid1(VALU_DEP_1)
	v_clz_i32_u32_e32 v6, v112
	v_min_u32_e32 v6, 32, v6
	s_delay_alu instid0(VALU_DEP_1) | instskip(NEXT) | instid1(VALU_DEP_1)
	v_subrev_nc_u32_e32 v7, 28, v6
	v_lshlrev_b64_e32 v[8:9], v7, v[112:113]
	s_delay_alu instid0(VALU_DEP_1)
	v_dual_sub_nc_u32 v6, 29, v6 :: v_dual_bitop2_b32 v112, 7, v8 bitop3:0x40
; %bb.1607:                             ;   in Loop: Header=BB187_819 Depth=1
	s_or_b32 exec_lo, exec_lo, s19
	s_delay_alu instid0(VALU_DEP_1) | instskip(NEXT) | instid1(VALU_DEP_2)
	v_dual_lshlrev_b32 v7, 24, v34 :: v_dual_lshlrev_b32 v8, 20, v112
	v_lshl_add_u32 v6, v6, 23, 0x3c000000
	s_delay_alu instid0(VALU_DEP_2) | instskip(NEXT) | instid1(VALU_DEP_1)
	v_and_b32_e32 v7, 0x80000000, v7
	v_or3_b32 v112, v8, v7, v6
	s_delay_alu instid0(VALU_DEP_1)
	v_mov_b64_e32 v[6:7], v[112:113]
.LBB187_1608:                           ;   in Loop: Header=BB187_819 Depth=1
	s_or_b32 exec_lo, exec_lo, s18
.LBB187_1609:                           ;   in Loop: Header=BB187_819 Depth=1
	s_delay_alu instid0(SALU_CYCLE_1)
	s_or_b32 exec_lo, exec_lo, s17
.LBB187_1610:                           ;   in Loop: Header=BB187_819 Depth=1
	s_delay_alu instid0(SALU_CYCLE_1) | instskip(SKIP_2) | instid1(VALU_DEP_1)
	s_or_b32 exec_lo, exec_lo, s16
	v_lshrrev_b16 v8, 8, v34
	s_mov_b32 s16, exec_lo
	v_cmpx_ne_u16_e32 0, v8
	s_cbranch_execz .LBB187_1618
; %bb.1611:                             ;   in Loop: Header=BB187_819 Depth=1
	v_mov_b64_e32 v[68:69], 0x8000000000000000
	s_mov_b32 s17, exec_lo
	v_cmpx_ne_u16_e32 0x80, v8
	s_cbranch_execz .LBB187_1617
; %bb.1612:                             ;   in Loop: Header=BB187_819 Depth=1
	v_and_b32_e32 v8, 0xffff, v8
	v_mov_b64_e32 v[68:69], 0x7f80000100000000
	s_mov_b32 s18, exec_lo
	s_delay_alu instid0(VALU_DEP_2) | instskip(NEXT) | instid1(VALU_DEP_1)
	v_and_b32_e32 v9, 0x7f, v8
	v_cmpx_ne_u32_e32 0x7f, v9
	s_cbranch_execz .LBB187_1616
; %bb.1613:                             ;   in Loop: Header=BB187_819 Depth=1
	v_dual_lshrrev_b32 v8, 3, v9 :: v_dual_bitop2_b32 v112, 7, v8 bitop3:0x40
	s_mov_b32 s19, exec_lo
	v_cmpx_gt_u32_e32 8, v9
; %bb.1614:                             ;   in Loop: Header=BB187_819 Depth=1
	s_delay_alu instid0(VALU_DEP_2) | instskip(NEXT) | instid1(VALU_DEP_1)
	v_clz_i32_u32_e32 v8, v112
	v_min_u32_e32 v8, 32, v8
	s_delay_alu instid0(VALU_DEP_1) | instskip(SKIP_1) | instid1(VALU_DEP_2)
	v_subrev_nc_u32_e32 v9, 28, v8
	v_sub_nc_u32_e32 v8, 29, v8
	v_lshlrev_b64_e32 v[24:25], v9, v[112:113]
	s_delay_alu instid0(VALU_DEP_1)
	v_and_b32_e32 v112, 7, v24
; %bb.1615:                             ;   in Loop: Header=BB187_819 Depth=1
	s_or_b32 exec_lo, exec_lo, s19
	s_delay_alu instid0(VALU_DEP_1) | instskip(SKIP_2) | instid1(VALU_DEP_3)
	v_dual_lshlrev_b32 v9, 16, v34 :: v_dual_lshlrev_b32 v24, 20, v112
	v_lshl_add_u32 v8, v8, 23, 0x3c000000
	v_mov_b32_e32 v68, v113
	v_and_b32_e32 v9, 0x80000000, v9
	s_delay_alu instid0(VALU_DEP_1)
	v_or3_b32 v69, v24, v9, v8
.LBB187_1616:                           ;   in Loop: Header=BB187_819 Depth=1
	s_or_b32 exec_lo, exec_lo, s18
.LBB187_1617:                           ;   in Loop: Header=BB187_819 Depth=1
	s_delay_alu instid0(SALU_CYCLE_1)
	s_or_b32 exec_lo, exec_lo, s17
.LBB187_1618:                           ;   in Loop: Header=BB187_819 Depth=1
	s_delay_alu instid0(SALU_CYCLE_1) | instskip(SKIP_4) | instid1(VALU_DEP_3)
	s_or_b32 exec_lo, exec_lo, s16
	v_lshrrev_b32_e32 v35, 16, v34
	v_mov_b64_e32 v[24:25], 0
	v_mov_b64_e32 v[8:9], 0
	s_mov_b32 s16, exec_lo
	v_and_b32_e32 v36, 0xff, v35
	s_delay_alu instid0(VALU_DEP_1)
	v_cmpx_ne_u16_e32 0, v36
	s_cbranch_execz .LBB187_1626
; %bb.1619:                             ;   in Loop: Header=BB187_819 Depth=1
	v_mov_b64_e32 v[8:9], 0x80000000
	s_mov_b32 s17, exec_lo
	v_cmpx_ne_u16_e32 0x80, v36
	s_cbranch_execz .LBB187_1625
; %bb.1620:                             ;   in Loop: Header=BB187_819 Depth=1
	v_mov_b64_e32 v[8:9], 0x7f800001
	v_bfe_u32 v36, v34, 16, 7
	s_mov_b32 s18, exec_lo
	s_delay_alu instid0(VALU_DEP_1)
	v_cmpx_ne_u32_e32 0x7f, v36
	s_cbranch_execz .LBB187_1624
; %bb.1621:                             ;   in Loop: Header=BB187_819 Depth=1
	v_dual_lshrrev_b32 v8, 3, v36 :: v_dual_bitop2_b32 v112, 7, v35 bitop3:0x40
	s_mov_b32 s19, exec_lo
	v_cmpx_gt_u32_e32 8, v36
	s_cbranch_execz .LBB187_1623
; %bb.1622:                             ;   in Loop: Header=BB187_819 Depth=1
	s_delay_alu instid0(VALU_DEP_2) | instskip(NEXT) | instid1(VALU_DEP_1)
	v_clz_i32_u32_e32 v8, v112
	v_min_u32_e32 v8, 32, v8
	s_delay_alu instid0(VALU_DEP_1) | instskip(SKIP_1) | instid1(VALU_DEP_2)
	v_subrev_nc_u32_e32 v9, 28, v8
	v_sub_nc_u32_e32 v8, 29, v8
	v_lshlrev_b64_e32 v[36:37], v9, v[112:113]
	scratch_load_b32 v37, off, s32 offset:312 ; 4-byte Folded Reload
	v_and_b32_e32 v112, 7, v36
.LBB187_1623:                           ;   in Loop: Header=BB187_819 Depth=1
	s_wait_xcnt 0x0
	s_or_b32 exec_lo, exec_lo, s19
	s_delay_alu instid0(VALU_DEP_1) | instskip(SKIP_1) | instid1(VALU_DEP_2)
	v_dual_lshlrev_b32 v9, 24, v35 :: v_dual_lshlrev_b32 v35, 20, v112
	v_lshl_add_u32 v8, v8, 23, 0x3c000000
	v_and_b32_e32 v9, 0x80000000, v9
	s_delay_alu instid0(VALU_DEP_1) | instskip(NEXT) | instid1(VALU_DEP_1)
	v_or3_b32 v112, v35, v9, v8
	v_mov_b64_e32 v[8:9], v[112:113]
.LBB187_1624:                           ;   in Loop: Header=BB187_819 Depth=1
	s_or_b32 exec_lo, exec_lo, s18
.LBB187_1625:                           ;   in Loop: Header=BB187_819 Depth=1
	s_delay_alu instid0(SALU_CYCLE_1)
	s_or_b32 exec_lo, exec_lo, s17
.LBB187_1626:                           ;   in Loop: Header=BB187_819 Depth=1
	s_delay_alu instid0(SALU_CYCLE_1) | instskip(NEXT) | instid1(SALU_CYCLE_1)
	s_or_b32 exec_lo, exec_lo, s16
	s_mov_b32 s16, exec_lo
	v_cmpx_lt_u32_e32 0xffffff, v34
	s_cbranch_execz .LBB187_1634
; %bb.1627:                             ;   in Loop: Header=BB187_819 Depth=1
	v_mov_b64_e32 v[24:25], 0x8000000000000000
	v_lshrrev_b32_e32 v35, 24, v34
	s_mov_b32 s17, exec_lo
	s_delay_alu instid0(VALU_DEP_1)
	v_cmpx_ne_u32_e32 0x80, v35
	s_cbranch_execz .LBB187_1633
; %bb.1628:                             ;   in Loop: Header=BB187_819 Depth=1
	v_mov_b64_e32 v[24:25], 0x7f80000100000000
	v_bfe_u32 v34, v34, 24, 7
	s_mov_b32 s18, exec_lo
	s_delay_alu instid0(VALU_DEP_1)
	v_cmpx_ne_u32_e32 0x7f, v34
	s_cbranch_execz .LBB187_1632
; %bb.1629:                             ;   in Loop: Header=BB187_819 Depth=1
	v_dual_lshrrev_b32 v24, 3, v34 :: v_dual_bitop2_b32 v112, 7, v35 bitop3:0x40
	s_mov_b32 s19, exec_lo
	v_cmpx_gt_u32_e32 8, v34
	s_cbranch_execz .LBB187_1631
; %bb.1630:                             ;   in Loop: Header=BB187_819 Depth=1
	s_delay_alu instid0(VALU_DEP_2) | instskip(NEXT) | instid1(VALU_DEP_1)
	v_clz_i32_u32_e32 v24, v112
	v_min_u32_e32 v24, 32, v24
	s_delay_alu instid0(VALU_DEP_1) | instskip(SKIP_2) | instid1(VALU_DEP_2)
	v_subrev_nc_u32_e32 v25, 28, v24
	v_sub_nc_u32_e32 v24, 29, v24
	s_wait_loadcnt 0x0
	v_lshlrev_b64_e32 v[36:37], v25, v[112:113]
	scratch_load_b32 v37, off, s32 offset:312 ; 4-byte Folded Reload
	v_and_b32_e32 v112, 7, v36
.LBB187_1631:                           ;   in Loop: Header=BB187_819 Depth=1
	s_wait_xcnt 0x0
	s_or_b32 exec_lo, exec_lo, s19
	s_delay_alu instid0(VALU_DEP_1) | instskip(SKIP_1) | instid1(VALU_DEP_2)
	v_dual_lshlrev_b32 v25, 24, v35 :: v_dual_lshlrev_b32 v34, 20, v112
	v_lshl_add_u32 v24, v24, 23, 0x3c000000
	v_and_b32_e32 v25, 0x80000000, v25
	s_delay_alu instid0(VALU_DEP_1)
	v_or3_b32 v25, v34, v25, v24
	v_mov_b32_e32 v24, v113
.LBB187_1632:                           ;   in Loop: Header=BB187_819 Depth=1
	s_or_b32 exec_lo, exec_lo, s18
.LBB187_1633:                           ;   in Loop: Header=BB187_819 Depth=1
	s_delay_alu instid0(SALU_CYCLE_1)
	s_or_b32 exec_lo, exec_lo, s17
.LBB187_1634:                           ;   in Loop: Header=BB187_819 Depth=1
	s_delay_alu instid0(SALU_CYCLE_1) | instskip(SKIP_4) | instid1(VALU_DEP_3)
	s_or_b32 exec_lo, exec_lo, s16
	v_or_b32_e32 v7, v69, v7
	v_or_b32_e32 v6, v68, v6
	;; [unrolled: 1-line block ×4, first 2 shown]
	v_pk_mul_f32 v[68:69], v[54:55], v[6:7]
	s_delay_alu instid0(VALU_DEP_2)
	v_pk_mul_f32 v[54:55], v[54:55], v[8:9]
	s_and_saveexec_b32 s16, vcc_lo
	s_cbranch_execz .LBB187_817
; %bb.1635:                             ;   in Loop: Header=BB187_819 Depth=1
	scratch_load_b64 v[6:7], off, s32 offset:304 ; 8-byte Folded Reload
	v_cmp_lt_i32_e32 vcc_lo, v29, v100
	s_wait_loadcnt 0x0
	v_dual_cndmask_b32 v68, 0, v68, vcc_lo :: v_dual_bitop2_b32 v6, 3, v29 bitop3:0x54
	v_mov_b32_e32 v9, v7
	s_delay_alu instid0(VALU_DEP_1) | instskip(NEXT) | instid1(VALU_DEP_1)
	v_cmp_lt_i32_e64 s0, v33, v9
	v_cndmask_b32_e64 v69, 0, v69, s0
	s_delay_alu instid0(VALU_DEP_4) | instskip(NEXT) | instid1(VALU_DEP_1)
	v_cmp_lt_i32_e64 s0, v6, v9
	v_dual_cndmask_b32 v55, 0, v55, s0 :: v_dual_bitop2_b32 v7, 2, v29 bitop3:0x54
	s_delay_alu instid0(VALU_DEP_1)
	v_cmp_lt_i32_e32 vcc_lo, v7, v100
	v_cndmask_b32_e32 v54, 0, v54, vcc_lo
	s_branch .LBB187_817
.LBB187_1636:
	s_or_b32 exec_lo, exec_lo, s10
	s_clause 0xc
	scratch_load_b32 v82, off, s32 offset:320
	scratch_load_b32 v52, off, s32 offset:328
	;; [unrolled: 1-line block ×4, first 2 shown]
	scratch_load_b64 v[86:87], off, s32 offset:216
	scratch_load_b64 v[66:67], off, s32 offset:224
	;; [unrolled: 1-line block ×9, first 2 shown]
	v_mov_b64_e32 v[0:1], s[6:7]
.LBB187_1637:
	s_wait_xcnt 0x0
	s_or_b32 exec_lo, exec_lo, s1
	s_delay_alu instid0(VALU_DEP_1)
	v_lshl_add_u64 v[0:1], v[0:1], 2, s[8:9]
	s_wait_loadcnt 0x0
	s_wait_storecnt 0x0
	s_barrier_signal -1
	s_barrier_wait -1
	global_load_b32 v26, v[0:1], off
	s_wait_xcnt 0x0
	ds_bpermute_b32 v0, v52, v50
	ds_bpermute_b32 v1, v52, v51
	;; [unrolled: 1-line block ×20, first 2 shown]
	v_and_b32_e32 v27, 28, v82
	s_wait_dscnt 0x12
	v_pk_add_f32 v[0:1], v[50:51], v[0:1]
	s_mov_b32 s0, exec_lo
	s_wait_dscnt 0x10
	v_pk_add_f32 v[6:7], v[20:21], v[6:7]
	ds_bpermute_b32 v20, v52, v64
	ds_bpermute_b32 v21, v52, v65
	;; [unrolled: 1-line block ×4, first 2 shown]
	s_wait_dscnt 0x12
	v_pk_add_f32 v[32:33], v[96:97], v[12:13]
	ds_bpermute_b32 v12, v52, v86
	ds_bpermute_b32 v13, v52, v87
	s_wait_dscnt 0x12
	v_pk_add_f32 v[2:3], v[48:49], v[2:3]
	s_wait_dscnt 0x10
	v_pk_add_f32 v[4:5], v[38:39], v[4:5]
	;; [unrolled: 2-line block ×5, first 2 shown]
	ds_bpermute_b32 v14, v83, v2
	ds_bpermute_b32 v15, v83, v3
	;; [unrolled: 1-line block ×3, first 2 shown]
	s_wait_dscnt 0x9
	v_pk_add_f32 v[66:67], v[66:67], v[24:25]
	ds_bpermute_b32 v29, v83, v5
	ds_bpermute_b32 v30, v83, v6
	;; [unrolled: 1-line block ×5, first 2 shown]
	s_wait_dscnt 0xc
	v_pk_add_f32 v[52:53], v[64:65], v[20:21]
	v_pk_add_f32 v[64:65], v[68:69], v[22:23]
	s_wait_dscnt 0xa
	v_pk_add_f32 v[20:21], v[0:1], v[8:9]
	scratch_load_b64 v[0:1], off, s32 offset:752 ; 8-byte Folded Reload
	ds_bpermute_b32 v38, v83, v32
	ds_bpermute_b32 v39, v83, v33
	;; [unrolled: 1-line block ×12, first 2 shown]
	s_wait_dscnt 0x14
	v_pk_add_f32 v[22:23], v[86:87], v[12:13]
	s_wait_dscnt 0x12
	v_pk_add_f32 v[18:19], v[2:3], v[14:15]
	s_wait_dscnt 0x10
	v_pk_add_f32 v[16:17], v[4:5], v[28:29]
	s_wait_dscnt 0xe
	v_pk_add_f32 v[14:15], v[6:7], v[30:31]
	s_wait_dscnt 0xc
	v_pk_add_f32 v[12:13], v[10:11], v[34:35]
	ds_bpermute_b32 v24, v83, v22
	ds_bpermute_b32 v25, v83, v23
	s_wait_dscnt 0xc
	v_pk_add_f32 v[10:11], v[32:33], v[38:39]
	s_wait_dscnt 0xa
	v_pk_add_f32 v[6:7], v[36:37], v[50:51]
	;; [unrolled: 2-line block ×5, first 2 shown]
	s_wait_loadcnt 0x0
	v_and_b32_e32 v28, 0x3c3, v0
	s_wait_dscnt 0x2
	v_pk_add_f32 v[0:1], v[66:67], v[80:81]
	s_delay_alu instid0(VALU_DEP_2) | instskip(SKIP_1) | instid1(SALU_CYCLE_1)
	v_cmpx_ne_u32_e32 64, v28
	s_xor_b32 s0, exec_lo, s0
	s_or_saveexec_b32 s0, s0
	s_wait_dscnt 0x0
	v_pk_add_f32 v[22:23], v[22:23], v[24:25]
	v_dual_lshrrev_b32 v24, 2, v82 :: v_dual_add_nc_u32 v25, v26, v27
	scratch_load_b32 v27, off, s32 offset:808 th:TH_LOAD_LU ; 4-byte Folded Reload
	s_wait_loadcnt 0x0
	v_mul_u32_u24_e32 v27, 0x300, v27
	s_xor_b32 exec_lo, exec_lo, s0
	s_cbranch_execz .LBB187_1639
; %bb.1638:
	s_delay_alu instid0(VALU_DEP_1) | instskip(NEXT) | instid1(VALU_DEP_1)
	v_add_nc_u32_e32 v28, v25, v27
	v_add_nc_u32_e32 v29, 0xfffffa00, v28
	;; [unrolled: 1-line block ×9, first 2 shown]
	ds_store_b32 v29, v20
	ds_store_b32 v30, v21
	;; [unrolled: 1-line block ×8, first 2 shown]
	v_add_nc_u32_e32 v29, 0xfffffb00, v28
	v_add_nc_u32_e32 v30, 0xfffffb20, v28
	;; [unrolled: 1-line block ×8, first 2 shown]
	ds_store_b32 v29, v12
	ds_store_b32 v30, v13
	;; [unrolled: 1-line block ×8, first 2 shown]
	v_add_nc_u32_e32 v29, 0xfffffc00, v28
	v_add_nc_u32_e32 v30, 0xfffffc20, v28
	v_add_nc_u32_e32 v31, 0xfffffc40, v28
	v_add_nc_u32_e32 v32, 0xfffffc60, v28
	v_add_nc_u32_e32 v33, 0xfffffc80, v28
	v_add_nc_u32_e32 v34, 0xfffffca0, v28
	v_add_nc_u32_e32 v35, 0xfffffcc0, v28
	v_add_nc_u32_e32 v28, 0xfffffce0, v28
	ds_store_b32 v29, v8
	ds_store_b32 v30, v9
	;; [unrolled: 1-line block ×8, first 2 shown]
.LBB187_1639:
	s_or_b32 exec_lo, exec_lo, s0
	v_lshlrev_b32_e32 v24, 2, v24
	s_mov_b32 s1, exec_lo
	v_cmp_eq_u32_e32 vcc_lo, 0, v84
	s_delay_alu instid0(VALU_DEP_2)
	v_add3_u32 v24, v26, v27, v24
	scratch_load_b64 v[26:27], off, s32 offset:752 ; 8-byte Folded Reload
	s_wait_loadcnt_dscnt 0x0
	s_barrier_signal -1
	s_barrier_wait -1
	v_cmpx_gt_u32_e32 64, v26
	s_cbranch_execz .LBB187_1666
; %bb.1640:
	s_and_saveexec_b32 s0, vcc_lo
	s_cbranch_execnz .LBB187_1698
; %bb.1641:
	s_or_b32 exec_lo, exec_lo, s0
	s_and_saveexec_b32 s0, vcc_lo
	s_cbranch_execnz .LBB187_1699
.LBB187_1642:
	s_or_b32 exec_lo, exec_lo, s0
	s_and_saveexec_b32 s0, vcc_lo
	s_cbranch_execnz .LBB187_1700
.LBB187_1643:
	s_or_b32 exec_lo, exec_lo, s0
	s_and_saveexec_b32 s0, vcc_lo
	s_cbranch_execnz .LBB187_1701
.LBB187_1644:
	s_or_b32 exec_lo, exec_lo, s0
	s_and_saveexec_b32 s0, vcc_lo
	s_cbranch_execnz .LBB187_1702
.LBB187_1645:
	s_or_b32 exec_lo, exec_lo, s0
	s_and_saveexec_b32 s0, vcc_lo
	s_cbranch_execnz .LBB187_1703
.LBB187_1646:
	s_or_b32 exec_lo, exec_lo, s0
	s_and_saveexec_b32 s0, vcc_lo
	s_cbranch_execnz .LBB187_1704
.LBB187_1647:
	s_or_b32 exec_lo, exec_lo, s0
	s_and_saveexec_b32 s0, vcc_lo
	s_cbranch_execnz .LBB187_1705
.LBB187_1648:
	s_or_b32 exec_lo, exec_lo, s0
	s_and_saveexec_b32 s0, vcc_lo
	s_cbranch_execnz .LBB187_1706
.LBB187_1649:
	s_or_b32 exec_lo, exec_lo, s0
	s_and_saveexec_b32 s0, vcc_lo
	s_cbranch_execnz .LBB187_1707
.LBB187_1650:
	s_or_b32 exec_lo, exec_lo, s0
	s_and_saveexec_b32 s0, vcc_lo
	s_cbranch_execnz .LBB187_1708
.LBB187_1651:
	s_or_b32 exec_lo, exec_lo, s0
	s_and_saveexec_b32 s0, vcc_lo
	s_cbranch_execnz .LBB187_1709
.LBB187_1652:
	s_or_b32 exec_lo, exec_lo, s0
	s_and_saveexec_b32 s0, vcc_lo
	s_cbranch_execnz .LBB187_1710
.LBB187_1653:
	s_or_b32 exec_lo, exec_lo, s0
	s_and_saveexec_b32 s0, vcc_lo
	s_cbranch_execnz .LBB187_1711
.LBB187_1654:
	s_or_b32 exec_lo, exec_lo, s0
	s_and_saveexec_b32 s0, vcc_lo
	s_cbranch_execnz .LBB187_1712
.LBB187_1655:
	s_or_b32 exec_lo, exec_lo, s0
	s_and_saveexec_b32 s0, vcc_lo
	s_cbranch_execnz .LBB187_1713
.LBB187_1656:
	s_or_b32 exec_lo, exec_lo, s0
	s_and_saveexec_b32 s0, vcc_lo
	s_cbranch_execnz .LBB187_1714
.LBB187_1657:
	s_or_b32 exec_lo, exec_lo, s0
	s_and_saveexec_b32 s0, vcc_lo
	s_cbranch_execnz .LBB187_1715
.LBB187_1658:
	s_or_b32 exec_lo, exec_lo, s0
	s_and_saveexec_b32 s0, vcc_lo
	s_cbranch_execnz .LBB187_1716
.LBB187_1659:
	s_or_b32 exec_lo, exec_lo, s0
	s_and_saveexec_b32 s0, vcc_lo
	s_cbranch_execnz .LBB187_1717
.LBB187_1660:
	s_or_b32 exec_lo, exec_lo, s0
	s_and_saveexec_b32 s0, vcc_lo
	s_cbranch_execnz .LBB187_1718
.LBB187_1661:
	s_or_b32 exec_lo, exec_lo, s0
	s_and_saveexec_b32 s0, vcc_lo
	s_cbranch_execnz .LBB187_1719
.LBB187_1662:
	s_or_b32 exec_lo, exec_lo, s0
	s_and_saveexec_b32 s0, vcc_lo
	s_cbranch_execnz .LBB187_1720
.LBB187_1663:
	s_or_b32 exec_lo, exec_lo, s0
	s_and_saveexec_b32 s0, vcc_lo
	s_cbranch_execz .LBB187_1665
.LBB187_1664:
	ds_load_b32 v26, v24 offset:736
	s_wait_dscnt 0x0
	v_add_f32_e32 v23, v26, v23
.LBB187_1665:
	s_or_b32 exec_lo, exec_lo, s0
.LBB187_1666:
	s_delay_alu instid0(SALU_CYCLE_1)
	s_or_b32 exec_lo, exec_lo, s1
	scratch_load_b64 v[26:27], off, s32 offset:752 ; 8-byte Folded Reload
	s_mov_b32 s1, exec_lo
	s_wait_loadcnt 0x0
	s_barrier_signal -1
	s_barrier_wait -1
	v_and_b32_e32 v26, 0x3e3, v26
	s_wait_xcnt 0x0
	s_delay_alu instid0(VALU_DEP_1)
	v_cmpx_eq_u32_e32 32, v26
	s_cbranch_execz .LBB187_1668
; %bb.1667:
	ds_store_2addr_b32 v25, v20, v21 offset1:8
	ds_store_2addr_b32 v25, v18, v19 offset0:16 offset1:24
	ds_store_2addr_b32 v25, v16, v17 offset0:32 offset1:40
	;; [unrolled: 1-line block ×11, first 2 shown]
.LBB187_1668:
	s_or_b32 exec_lo, exec_lo, s1
	scratch_load_b64 v[28:29], off, s32 offset:752 ; 8-byte Folded Reload
	s_mov_b32 s1, exec_lo
	s_wait_loadcnt_dscnt 0x0
	s_barrier_signal -1
	s_barrier_wait -1
	v_cmpx_gt_u32_e32 32, v28
	s_cbranch_execz .LBB187_1695
; %bb.1669:
	s_and_saveexec_b32 s0, vcc_lo
	s_cbranch_execnz .LBB187_1721
; %bb.1670:
	s_or_b32 exec_lo, exec_lo, s0
	s_and_saveexec_b32 s0, vcc_lo
	s_cbranch_execnz .LBB187_1722
.LBB187_1671:
	s_or_b32 exec_lo, exec_lo, s0
	s_and_saveexec_b32 s0, vcc_lo
	s_cbranch_execnz .LBB187_1723
.LBB187_1672:
	s_or_b32 exec_lo, exec_lo, s0
	s_and_saveexec_b32 s0, vcc_lo
	s_cbranch_execnz .LBB187_1724
.LBB187_1673:
	s_or_b32 exec_lo, exec_lo, s0
	s_and_saveexec_b32 s0, vcc_lo
	s_cbranch_execnz .LBB187_1725
.LBB187_1674:
	s_or_b32 exec_lo, exec_lo, s0
	s_and_saveexec_b32 s0, vcc_lo
	s_cbranch_execnz .LBB187_1726
.LBB187_1675:
	s_or_b32 exec_lo, exec_lo, s0
	s_and_saveexec_b32 s0, vcc_lo
	s_cbranch_execnz .LBB187_1727
.LBB187_1676:
	s_or_b32 exec_lo, exec_lo, s0
	s_and_saveexec_b32 s0, vcc_lo
	s_cbranch_execnz .LBB187_1728
.LBB187_1677:
	s_or_b32 exec_lo, exec_lo, s0
	s_and_saveexec_b32 s0, vcc_lo
	s_cbranch_execnz .LBB187_1729
.LBB187_1678:
	s_or_b32 exec_lo, exec_lo, s0
	s_and_saveexec_b32 s0, vcc_lo
	s_cbranch_execnz .LBB187_1730
.LBB187_1679:
	s_or_b32 exec_lo, exec_lo, s0
	s_and_saveexec_b32 s0, vcc_lo
	s_cbranch_execnz .LBB187_1731
.LBB187_1680:
	s_or_b32 exec_lo, exec_lo, s0
	s_and_saveexec_b32 s0, vcc_lo
	s_cbranch_execnz .LBB187_1732
.LBB187_1681:
	s_or_b32 exec_lo, exec_lo, s0
	s_and_saveexec_b32 s0, vcc_lo
	s_cbranch_execnz .LBB187_1733
.LBB187_1682:
	s_or_b32 exec_lo, exec_lo, s0
	s_and_saveexec_b32 s0, vcc_lo
	s_cbranch_execnz .LBB187_1734
.LBB187_1683:
	s_or_b32 exec_lo, exec_lo, s0
	s_and_saveexec_b32 s0, vcc_lo
	s_cbranch_execnz .LBB187_1735
.LBB187_1684:
	s_or_b32 exec_lo, exec_lo, s0
	s_and_saveexec_b32 s0, vcc_lo
	s_cbranch_execnz .LBB187_1736
.LBB187_1685:
	s_or_b32 exec_lo, exec_lo, s0
	s_and_saveexec_b32 s0, vcc_lo
	s_cbranch_execnz .LBB187_1737
.LBB187_1686:
	s_or_b32 exec_lo, exec_lo, s0
	s_and_saveexec_b32 s0, vcc_lo
	s_cbranch_execnz .LBB187_1738
.LBB187_1687:
	s_or_b32 exec_lo, exec_lo, s0
	s_and_saveexec_b32 s0, vcc_lo
	s_cbranch_execnz .LBB187_1739
.LBB187_1688:
	s_or_b32 exec_lo, exec_lo, s0
	s_and_saveexec_b32 s0, vcc_lo
	s_cbranch_execnz .LBB187_1740
.LBB187_1689:
	s_or_b32 exec_lo, exec_lo, s0
	s_and_saveexec_b32 s0, vcc_lo
	s_cbranch_execnz .LBB187_1741
.LBB187_1690:
	s_or_b32 exec_lo, exec_lo, s0
	s_and_saveexec_b32 s0, vcc_lo
	s_cbranch_execnz .LBB187_1742
.LBB187_1691:
	s_or_b32 exec_lo, exec_lo, s0
	s_and_saveexec_b32 s0, vcc_lo
	s_cbranch_execnz .LBB187_1743
.LBB187_1692:
	s_or_b32 exec_lo, exec_lo, s0
	s_and_saveexec_b32 s0, vcc_lo
	s_cbranch_execz .LBB187_1694
.LBB187_1693:
	ds_load_b32 v24, v24 offset:736
	s_wait_dscnt 0x0
	v_add_f32_e32 v23, v24, v23
.LBB187_1694:
	s_or_b32 exec_lo, exec_lo, s0
.LBB187_1695:
	s_delay_alu instid0(SALU_CYCLE_1)
	s_or_b32 exec_lo, exec_lo, s1
	s_mov_b32 s1, 0
	s_mov_b32 s2, exec_lo
	s_barrier_signal -1
	s_barrier_wait -1
	v_cmpx_eq_u32_e32 0, v26
	s_cbranch_execz .LBB187_1697
; %bb.1696:
	s_clause 0x1
	scratch_load_b64 v[24:25], off, s32 offset:812 th:TH_LOAD_LU
	scratch_load_b64 v[26:27], off, s32 offset:752 th:TH_LOAD_LU
	s_and_b32 s0, 0xffff, s15
	s_wait_loadcnt 0x0
	v_mov_b32_e32 v27, 0
	s_cmp_lg_u32 s0, 0
	s_cselect_b32 s0, -1, 0
	s_delay_alu instid0(SALU_CYCLE_1)
	s_cmp_lg_u32 s0, 0
	s_add_co_ci_u32 s0, s5, 0
	s_bfe_u32 s8, ttmp6, 0x40014
	s_mul_i32 s5, s0, s13
	s_lshr_b32 s3, ttmp7, 16
	s_mul_i32 s5, s5, s14
	s_add_co_i32 s8, s8, 1
	s_mul_i32 s6, s5, 0xc0
	s_bfe_u32 s9, ttmp6, 0x40008
	s_ashr_i32 s7, s6, 31
	s_mul_i32 s4, s4, s0
	s_mul_i32 s0, s3, s8
	s_ashr_i32 s5, s4, 31
	s_add_co_i32 s9, s9, s0
	s_cmp_eq_u32 s12, 0
	s_cselect_b32 s0, s3, s9
	s_delay_alu instid0(SALU_CYCLE_1) | instskip(SKIP_1) | instid1(VALU_DEP_1)
	s_mulk_i32 s0, 0x300
	v_lshl_add_u64 v[24:25], s[6:7], 2, v[24:25]
	v_lshl_add_u64 v[24:25], s[4:5], 2, v[24:25]
	s_delay_alu instid0(VALU_DEP_1) | instskip(NEXT) | instid1(VALU_DEP_1)
	v_add_nc_u64_e32 v[24:25], s[0:1], v[24:25]
	v_add_nc_u64_e32 v[24:25], v[24:25], v[26:27]
	s_clause 0x17
	flat_store_b32 v[24:25], v20
	flat_store_b32 v[24:25], v21 offset:32
	flat_store_b32 v[24:25], v18 offset:64
	;; [unrolled: 1-line block ×23, first 2 shown]
.LBB187_1697:
	s_wait_xcnt 0x0
	s_or_b32 exec_lo, exec_lo, s2
	s_clause 0x2f
	scratch_load_b32 v127, off, s32
	scratch_load_b32 v126, off, s32 offset:4
	scratch_load_b32 v125, off, s32 offset:8
	scratch_load_b32 v124, off, s32 offset:12
	scratch_load_b32 v123, off, s32 offset:16
	scratch_load_b32 v122, off, s32 offset:20
	scratch_load_b32 v121, off, s32 offset:24
	scratch_load_b32 v120, off, s32 offset:28
	scratch_load_b32 v111, off, s32 offset:32
	scratch_load_b32 v110, off, s32 offset:36
	scratch_load_b32 v109, off, s32 offset:40
	scratch_load_b32 v108, off, s32 offset:44
	scratch_load_b32 v107, off, s32 offset:48
	scratch_load_b32 v106, off, s32 offset:52
	scratch_load_b32 v105, off, s32 offset:56
	scratch_load_b32 v104, off, s32 offset:60
	scratch_load_b32 v95, off, s32 offset:64
	scratch_load_b32 v94, off, s32 offset:68
	scratch_load_b32 v93, off, s32 offset:72
	scratch_load_b32 v92, off, s32 offset:76
	scratch_load_b32 v91, off, s32 offset:80
	scratch_load_b32 v90, off, s32 offset:84
	scratch_load_b32 v89, off, s32 offset:88
	scratch_load_b32 v88, off, s32 offset:92
	scratch_load_b32 v79, off, s32 offset:96
	scratch_load_b32 v78, off, s32 offset:100
	scratch_load_b32 v77, off, s32 offset:104
	scratch_load_b32 v76, off, s32 offset:108
	scratch_load_b32 v75, off, s32 offset:112
	scratch_load_b32 v74, off, s32 offset:116
	scratch_load_b32 v73, off, s32 offset:120
	scratch_load_b32 v72, off, s32 offset:124
	scratch_load_b32 v63, off, s32 offset:128
	scratch_load_b32 v62, off, s32 offset:132
	scratch_load_b32 v61, off, s32 offset:136
	scratch_load_b32 v60, off, s32 offset:140
	scratch_load_b32 v59, off, s32 offset:144
	scratch_load_b32 v58, off, s32 offset:148
	scratch_load_b32 v57, off, s32 offset:152
	scratch_load_b32 v56, off, s32 offset:156
	scratch_load_b32 v47, off, s32 offset:160
	scratch_load_b32 v46, off, s32 offset:164
	scratch_load_b32 v45, off, s32 offset:168
	scratch_load_b32 v44, off, s32 offset:172
	scratch_load_b32 v43, off, s32 offset:176
	scratch_load_b32 v42, off, s32 offset:180
	scratch_load_b32 v41, off, s32 offset:184
	scratch_load_b32 v40, off, s32 offset:188
	s_wait_loadcnt_dscnt 0x0
	s_set_pc_i64 s[30:31]
.LBB187_1698:
	ds_load_b32 v26, v24
	s_wait_dscnt 0x0
	v_add_f32_e32 v20, v26, v20
	s_or_b32 exec_lo, exec_lo, s0
	s_and_saveexec_b32 s0, vcc_lo
	s_cbranch_execz .LBB187_1642
.LBB187_1699:
	ds_load_b32 v26, v24 offset:32
	s_wait_dscnt 0x0
	v_add_f32_e32 v21, v26, v21
	s_or_b32 exec_lo, exec_lo, s0
	s_and_saveexec_b32 s0, vcc_lo
	s_cbranch_execz .LBB187_1643
.LBB187_1700:
	ds_load_b32 v26, v24 offset:64
	s_wait_dscnt 0x0
	v_add_f32_e32 v18, v26, v18
	s_or_b32 exec_lo, exec_lo, s0
	s_and_saveexec_b32 s0, vcc_lo
	s_cbranch_execz .LBB187_1644
.LBB187_1701:
	ds_load_b32 v26, v24 offset:96
	s_wait_dscnt 0x0
	v_add_f32_e32 v19, v26, v19
	s_or_b32 exec_lo, exec_lo, s0
	s_and_saveexec_b32 s0, vcc_lo
	s_cbranch_execz .LBB187_1645
.LBB187_1702:
	ds_load_b32 v26, v24 offset:128
	s_wait_dscnt 0x0
	v_add_f32_e32 v16, v26, v16
	s_or_b32 exec_lo, exec_lo, s0
	s_and_saveexec_b32 s0, vcc_lo
	s_cbranch_execz .LBB187_1646
.LBB187_1703:
	ds_load_b32 v26, v24 offset:160
	s_wait_dscnt 0x0
	v_add_f32_e32 v17, v26, v17
	s_or_b32 exec_lo, exec_lo, s0
	s_and_saveexec_b32 s0, vcc_lo
	s_cbranch_execz .LBB187_1647
.LBB187_1704:
	ds_load_b32 v26, v24 offset:192
	s_wait_dscnt 0x0
	v_add_f32_e32 v14, v26, v14
	s_or_b32 exec_lo, exec_lo, s0
	s_and_saveexec_b32 s0, vcc_lo
	s_cbranch_execz .LBB187_1648
.LBB187_1705:
	ds_load_b32 v26, v24 offset:224
	s_wait_dscnt 0x0
	v_add_f32_e32 v15, v26, v15
	s_or_b32 exec_lo, exec_lo, s0
	s_and_saveexec_b32 s0, vcc_lo
	s_cbranch_execz .LBB187_1649
.LBB187_1706:
	ds_load_b32 v26, v24 offset:256
	s_wait_dscnt 0x0
	v_add_f32_e32 v12, v26, v12
	s_or_b32 exec_lo, exec_lo, s0
	s_and_saveexec_b32 s0, vcc_lo
	s_cbranch_execz .LBB187_1650
.LBB187_1707:
	ds_load_b32 v26, v24 offset:288
	s_wait_dscnt 0x0
	v_add_f32_e32 v13, v26, v13
	s_or_b32 exec_lo, exec_lo, s0
	s_and_saveexec_b32 s0, vcc_lo
	s_cbranch_execz .LBB187_1651
.LBB187_1708:
	ds_load_b32 v26, v24 offset:320
	s_wait_dscnt 0x0
	v_add_f32_e32 v10, v26, v10
	s_or_b32 exec_lo, exec_lo, s0
	s_and_saveexec_b32 s0, vcc_lo
	s_cbranch_execz .LBB187_1652
.LBB187_1709:
	ds_load_b32 v26, v24 offset:352
	s_wait_dscnt 0x0
	v_add_f32_e32 v11, v26, v11
	s_or_b32 exec_lo, exec_lo, s0
	s_and_saveexec_b32 s0, vcc_lo
	s_cbranch_execz .LBB187_1653
.LBB187_1710:
	ds_load_b32 v26, v24 offset:384
	s_wait_dscnt 0x0
	v_add_f32_e32 v6, v26, v6
	s_or_b32 exec_lo, exec_lo, s0
	s_and_saveexec_b32 s0, vcc_lo
	s_cbranch_execz .LBB187_1654
.LBB187_1711:
	ds_load_b32 v26, v24 offset:416
	s_wait_dscnt 0x0
	v_add_f32_e32 v7, v26, v7
	s_or_b32 exec_lo, exec_lo, s0
	s_and_saveexec_b32 s0, vcc_lo
	s_cbranch_execz .LBB187_1655
.LBB187_1712:
	ds_load_b32 v26, v24 offset:448
	s_wait_dscnt 0x0
	v_add_f32_e32 v2, v26, v2
	s_or_b32 exec_lo, exec_lo, s0
	s_and_saveexec_b32 s0, vcc_lo
	s_cbranch_execz .LBB187_1656
.LBB187_1713:
	ds_load_b32 v26, v24 offset:480
	s_wait_dscnt 0x0
	v_add_f32_e32 v3, v26, v3
	s_or_b32 exec_lo, exec_lo, s0
	s_and_saveexec_b32 s0, vcc_lo
	s_cbranch_execz .LBB187_1657
.LBB187_1714:
	ds_load_b32 v26, v24 offset:512
	s_wait_dscnt 0x0
	v_add_f32_e32 v8, v26, v8
	s_or_b32 exec_lo, exec_lo, s0
	s_and_saveexec_b32 s0, vcc_lo
	s_cbranch_execz .LBB187_1658
.LBB187_1715:
	ds_load_b32 v26, v24 offset:544
	s_wait_dscnt 0x0
	v_add_f32_e32 v9, v26, v9
	s_or_b32 exec_lo, exec_lo, s0
	s_and_saveexec_b32 s0, vcc_lo
	s_cbranch_execz .LBB187_1659
.LBB187_1716:
	ds_load_b32 v26, v24 offset:576
	s_wait_dscnt 0x0
	v_add_f32_e32 v4, v26, v4
	s_or_b32 exec_lo, exec_lo, s0
	s_and_saveexec_b32 s0, vcc_lo
	s_cbranch_execz .LBB187_1660
.LBB187_1717:
	ds_load_b32 v26, v24 offset:608
	s_wait_dscnt 0x0
	v_add_f32_e32 v5, v26, v5
	s_or_b32 exec_lo, exec_lo, s0
	s_and_saveexec_b32 s0, vcc_lo
	s_cbranch_execz .LBB187_1661
.LBB187_1718:
	ds_load_b32 v26, v24 offset:640
	s_wait_dscnt 0x0
	v_add_f32_e32 v0, v26, v0
	s_or_b32 exec_lo, exec_lo, s0
	s_and_saveexec_b32 s0, vcc_lo
	s_cbranch_execz .LBB187_1662
.LBB187_1719:
	ds_load_b32 v26, v24 offset:672
	s_wait_dscnt 0x0
	v_add_f32_e32 v1, v26, v1
	s_or_b32 exec_lo, exec_lo, s0
	s_and_saveexec_b32 s0, vcc_lo
	s_cbranch_execz .LBB187_1663
.LBB187_1720:
	ds_load_b32 v26, v24 offset:704
	s_wait_dscnt 0x0
	v_add_f32_e32 v22, v26, v22
	s_or_b32 exec_lo, exec_lo, s0
	s_and_saveexec_b32 s0, vcc_lo
	s_cbranch_execnz .LBB187_1664
	s_branch .LBB187_1665
.LBB187_1721:
	ds_load_b32 v25, v24
	s_wait_dscnt 0x0
	v_add_f32_e32 v20, v25, v20
	s_or_b32 exec_lo, exec_lo, s0
	s_and_saveexec_b32 s0, vcc_lo
	s_cbranch_execz .LBB187_1671
.LBB187_1722:
	ds_load_b32 v25, v24 offset:32
	s_wait_dscnt 0x0
	v_add_f32_e32 v21, v25, v21
	s_or_b32 exec_lo, exec_lo, s0
	s_and_saveexec_b32 s0, vcc_lo
	s_cbranch_execz .LBB187_1672
.LBB187_1723:
	ds_load_b32 v25, v24 offset:64
	s_wait_dscnt 0x0
	v_add_f32_e32 v18, v25, v18
	s_or_b32 exec_lo, exec_lo, s0
	s_and_saveexec_b32 s0, vcc_lo
	s_cbranch_execz .LBB187_1673
.LBB187_1724:
	ds_load_b32 v25, v24 offset:96
	s_wait_dscnt 0x0
	v_add_f32_e32 v19, v25, v19
	s_or_b32 exec_lo, exec_lo, s0
	s_and_saveexec_b32 s0, vcc_lo
	s_cbranch_execz .LBB187_1674
.LBB187_1725:
	ds_load_b32 v25, v24 offset:128
	s_wait_dscnt 0x0
	v_add_f32_e32 v16, v25, v16
	s_or_b32 exec_lo, exec_lo, s0
	s_and_saveexec_b32 s0, vcc_lo
	s_cbranch_execz .LBB187_1675
.LBB187_1726:
	ds_load_b32 v25, v24 offset:160
	s_wait_dscnt 0x0
	v_add_f32_e32 v17, v25, v17
	s_or_b32 exec_lo, exec_lo, s0
	s_and_saveexec_b32 s0, vcc_lo
	s_cbranch_execz .LBB187_1676
.LBB187_1727:
	ds_load_b32 v25, v24 offset:192
	s_wait_dscnt 0x0
	v_add_f32_e32 v14, v25, v14
	s_or_b32 exec_lo, exec_lo, s0
	s_and_saveexec_b32 s0, vcc_lo
	s_cbranch_execz .LBB187_1677
.LBB187_1728:
	ds_load_b32 v25, v24 offset:224
	s_wait_dscnt 0x0
	v_add_f32_e32 v15, v25, v15
	s_or_b32 exec_lo, exec_lo, s0
	s_and_saveexec_b32 s0, vcc_lo
	s_cbranch_execz .LBB187_1678
.LBB187_1729:
	ds_load_b32 v25, v24 offset:256
	s_wait_dscnt 0x0
	v_add_f32_e32 v12, v25, v12
	s_or_b32 exec_lo, exec_lo, s0
	s_and_saveexec_b32 s0, vcc_lo
	s_cbranch_execz .LBB187_1679
.LBB187_1730:
	ds_load_b32 v25, v24 offset:288
	s_wait_dscnt 0x0
	v_add_f32_e32 v13, v25, v13
	s_or_b32 exec_lo, exec_lo, s0
	s_and_saveexec_b32 s0, vcc_lo
	s_cbranch_execz .LBB187_1680
.LBB187_1731:
	ds_load_b32 v25, v24 offset:320
	s_wait_dscnt 0x0
	v_add_f32_e32 v10, v25, v10
	s_or_b32 exec_lo, exec_lo, s0
	s_and_saveexec_b32 s0, vcc_lo
	s_cbranch_execz .LBB187_1681
.LBB187_1732:
	ds_load_b32 v25, v24 offset:352
	s_wait_dscnt 0x0
	v_add_f32_e32 v11, v25, v11
	s_or_b32 exec_lo, exec_lo, s0
	s_and_saveexec_b32 s0, vcc_lo
	s_cbranch_execz .LBB187_1682
.LBB187_1733:
	ds_load_b32 v25, v24 offset:384
	s_wait_dscnt 0x0
	v_add_f32_e32 v6, v25, v6
	s_or_b32 exec_lo, exec_lo, s0
	s_and_saveexec_b32 s0, vcc_lo
	s_cbranch_execz .LBB187_1683
.LBB187_1734:
	ds_load_b32 v25, v24 offset:416
	s_wait_dscnt 0x0
	v_add_f32_e32 v7, v25, v7
	s_or_b32 exec_lo, exec_lo, s0
	s_and_saveexec_b32 s0, vcc_lo
	s_cbranch_execz .LBB187_1684
.LBB187_1735:
	ds_load_b32 v25, v24 offset:448
	s_wait_dscnt 0x0
	v_add_f32_e32 v2, v25, v2
	s_or_b32 exec_lo, exec_lo, s0
	s_and_saveexec_b32 s0, vcc_lo
	s_cbranch_execz .LBB187_1685
.LBB187_1736:
	ds_load_b32 v25, v24 offset:480
	s_wait_dscnt 0x0
	v_add_f32_e32 v3, v25, v3
	s_or_b32 exec_lo, exec_lo, s0
	s_and_saveexec_b32 s0, vcc_lo
	s_cbranch_execz .LBB187_1686
.LBB187_1737:
	ds_load_b32 v25, v24 offset:512
	s_wait_dscnt 0x0
	v_add_f32_e32 v8, v25, v8
	s_or_b32 exec_lo, exec_lo, s0
	s_and_saveexec_b32 s0, vcc_lo
	s_cbranch_execz .LBB187_1687
.LBB187_1738:
	ds_load_b32 v25, v24 offset:544
	s_wait_dscnt 0x0
	v_add_f32_e32 v9, v25, v9
	s_or_b32 exec_lo, exec_lo, s0
	s_and_saveexec_b32 s0, vcc_lo
	s_cbranch_execz .LBB187_1688
.LBB187_1739:
	ds_load_b32 v25, v24 offset:576
	s_wait_dscnt 0x0
	v_add_f32_e32 v4, v25, v4
	s_or_b32 exec_lo, exec_lo, s0
	s_and_saveexec_b32 s0, vcc_lo
	s_cbranch_execz .LBB187_1689
.LBB187_1740:
	ds_load_b32 v25, v24 offset:608
	s_wait_dscnt 0x0
	v_add_f32_e32 v5, v25, v5
	s_or_b32 exec_lo, exec_lo, s0
	s_and_saveexec_b32 s0, vcc_lo
	s_cbranch_execz .LBB187_1690
.LBB187_1741:
	ds_load_b32 v25, v24 offset:640
	s_wait_dscnt 0x0
	v_add_f32_e32 v0, v25, v0
	s_or_b32 exec_lo, exec_lo, s0
	s_and_saveexec_b32 s0, vcc_lo
	s_cbranch_execz .LBB187_1691
.LBB187_1742:
	ds_load_b32 v25, v24 offset:672
	s_wait_dscnt 0x0
	v_add_f32_e32 v1, v25, v1
	s_or_b32 exec_lo, exec_lo, s0
	s_and_saveexec_b32 s0, vcc_lo
	s_cbranch_execz .LBB187_1692
.LBB187_1743:
	ds_load_b32 v25, v24 offset:704
	s_wait_dscnt 0x0
	v_add_f32_e32 v22, v25, v22
	s_or_b32 exec_lo, exec_lo, s0
	s_and_saveexec_b32 s0, vcc_lo
	s_cbranch_execnz .LBB187_1693
	s_branch .LBB187_1694
.Lfunc_end187:
	.size	_ZN4vllm22paged_attention_kernelIfhLi192ELi16ELi128ELNS_18Fp8KVCacheDataTypeE1ELb1ELi0EEEvPfS2_PT_PKS3_PKT0_S9_ifPKiSB_iPKfiiiSD_SD_iiiii, .Lfunc_end187-_ZN4vllm22paged_attention_kernelIfhLi192ELi16ELi128ELNS_18Fp8KVCacheDataTypeE1ELb1ELi0EEEvPfS2_PT_PKS3_PKT0_S9_ifPKiSB_iPKfiiiSD_SD_iiiii
                                        ; -- End function
	.set .L_ZN4vllm22paged_attention_kernelIfhLi192ELi16ELi128ELNS_18Fp8KVCacheDataTypeE1ELb1ELi0EEEvPfS2_PT_PKS3_PKT0_S9_ifPKiSB_iPKfiiiSD_SD_iiiii.num_vgpr, 128
	.set .L_ZN4vllm22paged_attention_kernelIfhLi192ELi16ELi128ELNS_18Fp8KVCacheDataTypeE1ELb1ELi0EEEvPfS2_PT_PKS3_PKT0_S9_ifPKiSB_iPKfiiiSD_SD_iiiii.num_agpr, 0
	.set .L_ZN4vllm22paged_attention_kernelIfhLi192ELi16ELi128ELNS_18Fp8KVCacheDataTypeE1ELb1ELi0EEEvPfS2_PT_PKS3_PKT0_S9_ifPKiSB_iPKfiiiSD_SD_iiiii.numbered_sgpr, 33
	.set .L_ZN4vllm22paged_attention_kernelIfhLi192ELi16ELi128ELNS_18Fp8KVCacheDataTypeE1ELb1ELi0EEEvPfS2_PT_PKS3_PKT0_S9_ifPKiSB_iPKfiiiSD_SD_iiiii.num_named_barrier, 0
	.set .L_ZN4vllm22paged_attention_kernelIfhLi192ELi16ELi128ELNS_18Fp8KVCacheDataTypeE1ELb1ELi0EEEvPfS2_PT_PKS3_PKT0_S9_ifPKiSB_iPKfiiiSD_SD_iiiii.private_seg_size, 872
	.set .L_ZN4vllm22paged_attention_kernelIfhLi192ELi16ELi128ELNS_18Fp8KVCacheDataTypeE1ELb1ELi0EEEvPfS2_PT_PKS3_PKT0_S9_ifPKiSB_iPKfiiiSD_SD_iiiii.uses_vcc, 1
	.set .L_ZN4vllm22paged_attention_kernelIfhLi192ELi16ELi128ELNS_18Fp8KVCacheDataTypeE1ELb1ELi0EEEvPfS2_PT_PKS3_PKT0_S9_ifPKiSB_iPKfiiiSD_SD_iiiii.uses_flat_scratch, 1
	.set .L_ZN4vllm22paged_attention_kernelIfhLi192ELi16ELi128ELNS_18Fp8KVCacheDataTypeE1ELb1ELi0EEEvPfS2_PT_PKS3_PKT0_S9_ifPKiSB_iPKfiiiSD_SD_iiiii.has_dyn_sized_stack, 0
	.set .L_ZN4vllm22paged_attention_kernelIfhLi192ELi16ELi128ELNS_18Fp8KVCacheDataTypeE1ELb1ELi0EEEvPfS2_PT_PKS3_PKT0_S9_ifPKiSB_iPKfiiiSD_SD_iiiii.has_recursion, 0
	.set .L_ZN4vllm22paged_attention_kernelIfhLi192ELi16ELi128ELNS_18Fp8KVCacheDataTypeE1ELb1ELi0EEEvPfS2_PT_PKS3_PKT0_S9_ifPKiSB_iPKfiiiSD_SD_iiiii.has_indirect_call, 0
	.section	.AMDGPU.csdata,"",@progbits
; Function info:
; codeLenInByte = 65884
; TotalNumSgprs: 35
; NumVgprs: 128
; ScratchSize: 872
; MemoryBound: 0
	.section	.text._ZN4vllm25paged_attention_v1_kernelIfhLi192ELi16ELi128ELNS_18Fp8KVCacheDataTypeE1ELb1EEEvPT_PKS2_PKT0_S8_ifPKiSA_iPKfiiiSC_SC_iiiii,"axG",@progbits,_ZN4vllm25paged_attention_v1_kernelIfhLi192ELi16ELi128ELNS_18Fp8KVCacheDataTypeE1ELb1EEEvPT_PKS2_PKT0_S8_ifPKiSA_iPKfiiiSC_SC_iiiii,comdat
	.protected	_ZN4vllm25paged_attention_v1_kernelIfhLi192ELi16ELi128ELNS_18Fp8KVCacheDataTypeE1ELb1EEEvPT_PKS2_PKT0_S8_ifPKiSA_iPKfiiiSC_SC_iiiii ; -- Begin function _ZN4vllm25paged_attention_v1_kernelIfhLi192ELi16ELi128ELNS_18Fp8KVCacheDataTypeE1ELb1EEEvPT_PKS2_PKT0_S8_ifPKiSA_iPKfiiiSC_SC_iiiii
	.globl	_ZN4vllm25paged_attention_v1_kernelIfhLi192ELi16ELi128ELNS_18Fp8KVCacheDataTypeE1ELb1EEEvPT_PKS2_PKT0_S8_ifPKiSA_iPKfiiiSC_SC_iiiii
	.p2align	8
	.type	_ZN4vllm25paged_attention_v1_kernelIfhLi192ELi16ELi128ELNS_18Fp8KVCacheDataTypeE1ELb1EEEvPT_PKS2_PKT0_S8_ifPKiSA_iPKfiiiSC_SC_iiiii,@function
_ZN4vllm25paged_attention_v1_kernelIfhLi192ELi16ELi128ELNS_18Fp8KVCacheDataTypeE1ELb1EEEvPT_PKS2_PKT0_S8_ifPKiSA_iPKfiiiSC_SC_iiiii: ; @_ZN4vllm25paged_attention_v1_kernelIfhLi192ELi16ELi128ELNS_18Fp8KVCacheDataTypeE1ELb1EEEvPT_PKS2_PKT0_S8_ifPKiSA_iPKfiiiSC_SC_iiiii
; %bb.0:
	s_clause 0x6
	s_load_b256 s[12:19], s[0:1], 0x0
	s_load_b128 s[4:7], s[0:1], 0x20
	s_load_b96 s[28:30], s[0:1], 0x30
	s_load_b64 s[10:11], s[0:1], 0x40
	s_load_b96 s[36:38], s[0:1], 0x48
	s_load_b256 s[20:27], s[0:1], 0x58
	s_load_b32 s31, s[0:1], 0x78
	v_mov_b32_e32 v31, v0
	s_get_pc_i64 s[2:3]
	s_add_nc_u64 s[2:3], s[2:3], _ZN4vllm22paged_attention_kernelIfhLi192ELi16ELi128ELNS_18Fp8KVCacheDataTypeE1ELb1ELi0EEEvPfS2_PT_PKS3_PKT0_S9_ifPKiSB_iPKfiiiSD_SD_iiiii@rel64+4
	s_add_nc_u64 s[8:9], s[0:1], 0x80
	s_mov_b32 s32, 0
	s_wait_kmcnt 0x0
	v_dual_mov_b32 v15, s10 :: v_dual_mov_b32 v16, s11
	v_dual_mov_b32 v0, s12 :: v_dual_mov_b32 v1, s13
	;; [unrolled: 1-line block ×14, first 2 shown]
	v_mov_b32_e32 v28, s31
	s_mov_b32 s15, 23
	s_swap_pc_i64 s[30:31], s[2:3]
	s_endpgm
	.section	.rodata,"a",@progbits
	.p2align	6, 0x0
	.amdhsa_kernel _ZN4vllm25paged_attention_v1_kernelIfhLi192ELi16ELi128ELNS_18Fp8KVCacheDataTypeE1ELb1EEEvPT_PKS2_PKT0_S8_ifPKiSA_iPKfiiiSC_SC_iiiii
		.amdhsa_group_segment_fixed_size 800
		.amdhsa_private_segment_fixed_size 872
		.amdhsa_kernarg_size 384
		.amdhsa_user_sgpr_count 2
		.amdhsa_user_sgpr_dispatch_ptr 0
		.amdhsa_user_sgpr_queue_ptr 0
		.amdhsa_user_sgpr_kernarg_segment_ptr 1
		.amdhsa_user_sgpr_dispatch_id 0
		.amdhsa_user_sgpr_kernarg_preload_length 0
		.amdhsa_user_sgpr_kernarg_preload_offset 0
		.amdhsa_user_sgpr_private_segment_size 0
		.amdhsa_wavefront_size32 1
		.amdhsa_uses_dynamic_stack 0
		.amdhsa_enable_private_segment 1
		.amdhsa_system_sgpr_workgroup_id_x 1
		.amdhsa_system_sgpr_workgroup_id_y 1
		.amdhsa_system_sgpr_workgroup_id_z 1
		.amdhsa_system_sgpr_workgroup_info 0
		.amdhsa_system_vgpr_workitem_id 0
		.amdhsa_next_free_vgpr 128
		.amdhsa_next_free_sgpr 39
		.amdhsa_named_barrier_count 0
		.amdhsa_reserve_vcc 1
		.amdhsa_float_round_mode_32 0
		.amdhsa_float_round_mode_16_64 0
		.amdhsa_float_denorm_mode_32 3
		.amdhsa_float_denorm_mode_16_64 3
		.amdhsa_fp16_overflow 0
		.amdhsa_memory_ordered 1
		.amdhsa_forward_progress 1
		.amdhsa_inst_pref_size 2
		.amdhsa_round_robin_scheduling 0
		.amdhsa_exception_fp_ieee_invalid_op 0
		.amdhsa_exception_fp_denorm_src 0
		.amdhsa_exception_fp_ieee_div_zero 0
		.amdhsa_exception_fp_ieee_overflow 0
		.amdhsa_exception_fp_ieee_underflow 0
		.amdhsa_exception_fp_ieee_inexact 0
		.amdhsa_exception_int_div_zero 0
	.end_amdhsa_kernel
	.section	.text._ZN4vllm25paged_attention_v1_kernelIfhLi192ELi16ELi128ELNS_18Fp8KVCacheDataTypeE1ELb1EEEvPT_PKS2_PKT0_S8_ifPKiSA_iPKfiiiSC_SC_iiiii,"axG",@progbits,_ZN4vllm25paged_attention_v1_kernelIfhLi192ELi16ELi128ELNS_18Fp8KVCacheDataTypeE1ELb1EEEvPT_PKS2_PKT0_S8_ifPKiSA_iPKfiiiSC_SC_iiiii,comdat
.Lfunc_end188:
	.size	_ZN4vllm25paged_attention_v1_kernelIfhLi192ELi16ELi128ELNS_18Fp8KVCacheDataTypeE1ELb1EEEvPT_PKS2_PKT0_S8_ifPKiSA_iPKfiiiSC_SC_iiiii, .Lfunc_end188-_ZN4vllm25paged_attention_v1_kernelIfhLi192ELi16ELi128ELNS_18Fp8KVCacheDataTypeE1ELb1EEEvPT_PKS2_PKT0_S8_ifPKiSA_iPKfiiiSC_SC_iiiii
                                        ; -- End function
	.set _ZN4vllm25paged_attention_v1_kernelIfhLi192ELi16ELi128ELNS_18Fp8KVCacheDataTypeE1ELb1EEEvPT_PKS2_PKT0_S8_ifPKiSA_iPKfiiiSC_SC_iiiii.num_vgpr, max(32, .L_ZN4vllm22paged_attention_kernelIfhLi192ELi16ELi128ELNS_18Fp8KVCacheDataTypeE1ELb1ELi0EEEvPfS2_PT_PKS3_PKT0_S9_ifPKiSB_iPKfiiiSD_SD_iiiii.num_vgpr)
	.set _ZN4vllm25paged_attention_v1_kernelIfhLi192ELi16ELi128ELNS_18Fp8KVCacheDataTypeE1ELb1EEEvPT_PKS2_PKT0_S8_ifPKiSA_iPKfiiiSC_SC_iiiii.num_agpr, max(0, .L_ZN4vllm22paged_attention_kernelIfhLi192ELi16ELi128ELNS_18Fp8KVCacheDataTypeE1ELb1ELi0EEEvPfS2_PT_PKS3_PKT0_S9_ifPKiSB_iPKfiiiSD_SD_iiiii.num_agpr)
	.set _ZN4vllm25paged_attention_v1_kernelIfhLi192ELi16ELi128ELNS_18Fp8KVCacheDataTypeE1ELb1EEEvPT_PKS2_PKT0_S8_ifPKiSA_iPKfiiiSC_SC_iiiii.numbered_sgpr, max(39, .L_ZN4vllm22paged_attention_kernelIfhLi192ELi16ELi128ELNS_18Fp8KVCacheDataTypeE1ELb1ELi0EEEvPfS2_PT_PKS3_PKT0_S9_ifPKiSB_iPKfiiiSD_SD_iiiii.numbered_sgpr)
	.set _ZN4vllm25paged_attention_v1_kernelIfhLi192ELi16ELi128ELNS_18Fp8KVCacheDataTypeE1ELb1EEEvPT_PKS2_PKT0_S8_ifPKiSA_iPKfiiiSC_SC_iiiii.num_named_barrier, max(0, .L_ZN4vllm22paged_attention_kernelIfhLi192ELi16ELi128ELNS_18Fp8KVCacheDataTypeE1ELb1ELi0EEEvPfS2_PT_PKS3_PKT0_S9_ifPKiSB_iPKfiiiSD_SD_iiiii.num_named_barrier)
	.set _ZN4vllm25paged_attention_v1_kernelIfhLi192ELi16ELi128ELNS_18Fp8KVCacheDataTypeE1ELb1EEEvPT_PKS2_PKT0_S8_ifPKiSA_iPKfiiiSC_SC_iiiii.private_seg_size, 0+max(.L_ZN4vllm22paged_attention_kernelIfhLi192ELi16ELi128ELNS_18Fp8KVCacheDataTypeE1ELb1ELi0EEEvPfS2_PT_PKS3_PKT0_S9_ifPKiSB_iPKfiiiSD_SD_iiiii.private_seg_size)
	.set _ZN4vllm25paged_attention_v1_kernelIfhLi192ELi16ELi128ELNS_18Fp8KVCacheDataTypeE1ELb1EEEvPT_PKS2_PKT0_S8_ifPKiSA_iPKfiiiSC_SC_iiiii.uses_vcc, or(1, .L_ZN4vllm22paged_attention_kernelIfhLi192ELi16ELi128ELNS_18Fp8KVCacheDataTypeE1ELb1ELi0EEEvPfS2_PT_PKS3_PKT0_S9_ifPKiSB_iPKfiiiSD_SD_iiiii.uses_vcc)
	.set _ZN4vllm25paged_attention_v1_kernelIfhLi192ELi16ELi128ELNS_18Fp8KVCacheDataTypeE1ELb1EEEvPT_PKS2_PKT0_S8_ifPKiSA_iPKfiiiSC_SC_iiiii.uses_flat_scratch, or(0, .L_ZN4vllm22paged_attention_kernelIfhLi192ELi16ELi128ELNS_18Fp8KVCacheDataTypeE1ELb1ELi0EEEvPfS2_PT_PKS3_PKT0_S9_ifPKiSB_iPKfiiiSD_SD_iiiii.uses_flat_scratch)
	.set _ZN4vllm25paged_attention_v1_kernelIfhLi192ELi16ELi128ELNS_18Fp8KVCacheDataTypeE1ELb1EEEvPT_PKS2_PKT0_S8_ifPKiSA_iPKfiiiSC_SC_iiiii.has_dyn_sized_stack, or(0, .L_ZN4vllm22paged_attention_kernelIfhLi192ELi16ELi128ELNS_18Fp8KVCacheDataTypeE1ELb1ELi0EEEvPfS2_PT_PKS3_PKT0_S9_ifPKiSB_iPKfiiiSD_SD_iiiii.has_dyn_sized_stack)
	.set _ZN4vllm25paged_attention_v1_kernelIfhLi192ELi16ELi128ELNS_18Fp8KVCacheDataTypeE1ELb1EEEvPT_PKS2_PKT0_S8_ifPKiSA_iPKfiiiSC_SC_iiiii.has_recursion, or(0, .L_ZN4vllm22paged_attention_kernelIfhLi192ELi16ELi128ELNS_18Fp8KVCacheDataTypeE1ELb1ELi0EEEvPfS2_PT_PKS3_PKT0_S9_ifPKiSB_iPKfiiiSD_SD_iiiii.has_recursion)
	.set _ZN4vllm25paged_attention_v1_kernelIfhLi192ELi16ELi128ELNS_18Fp8KVCacheDataTypeE1ELb1EEEvPT_PKS2_PKT0_S8_ifPKiSA_iPKfiiiSC_SC_iiiii.has_indirect_call, or(0, .L_ZN4vllm22paged_attention_kernelIfhLi192ELi16ELi128ELNS_18Fp8KVCacheDataTypeE1ELb1ELi0EEEvPfS2_PT_PKS3_PKT0_S9_ifPKiSB_iPKfiiiSD_SD_iiiii.has_indirect_call)
	.section	.AMDGPU.csdata,"",@progbits
; Kernel info:
; codeLenInByte = 224
; TotalNumSgprs: 41
; NumVgprs: 128
; ScratchSize: 872
; MemoryBound: 0
; FloatMode: 240
; IeeeMode: 1
; LDSByteSize: 800 bytes/workgroup (compile time only)
; SGPRBlocks: 0
; VGPRBlocks: 7
; NumSGPRsForWavesPerEU: 41
; NumVGPRsForWavesPerEU: 128
; NamedBarCnt: 0
; Occupancy: 8
; WaveLimiterHint : 1
; COMPUTE_PGM_RSRC2:SCRATCH_EN: 1
; COMPUTE_PGM_RSRC2:USER_SGPR: 2
; COMPUTE_PGM_RSRC2:TRAP_HANDLER: 0
; COMPUTE_PGM_RSRC2:TGID_X_EN: 1
; COMPUTE_PGM_RSRC2:TGID_Y_EN: 1
; COMPUTE_PGM_RSRC2:TGID_Z_EN: 1
; COMPUTE_PGM_RSRC2:TIDIG_COMP_CNT: 0
	.text
	.p2align	2                               ; -- Begin function _ZN4vllm22paged_attention_kernelIfhLi256ELi16ELi128ELNS_18Fp8KVCacheDataTypeE1ELb1ELi0EEEvPfS2_PT_PKS3_PKT0_S9_ifPKiSB_iPKfiiiSD_SD_iiiii
	.type	_ZN4vllm22paged_attention_kernelIfhLi256ELi16ELi128ELNS_18Fp8KVCacheDataTypeE1ELb1ELi0EEEvPfS2_PT_PKS3_PKT0_S9_ifPKiSB_iPKfiiiSD_SD_iiiii,@function
_ZN4vllm22paged_attention_kernelIfhLi256ELi16ELi128ELNS_18Fp8KVCacheDataTypeE1ELb1ELi0EEEvPfS2_PT_PKS3_PKT0_S9_ifPKiSB_iPKfiiiSD_SD_iiiii: ; @_ZN4vllm22paged_attention_kernelIfhLi256ELi16ELi128ELNS_18Fp8KVCacheDataTypeE1ELb1ELi0EEEvPfS2_PT_PKS3_PKT0_S9_ifPKiSB_iPKfiiiSD_SD_iiiii
; %bb.0:
	s_wait_loadcnt_dscnt 0x0
	s_wait_kmcnt 0x0
	s_clause 0x2f
	scratch_store_b32 off, v40, s32 offset:188
	; meta instruction
	scratch_store_b32 off, v41, s32 offset:184
	; meta instruction
	;; [unrolled: 2-line block ×47, first 2 shown]
	scratch_store_b32 off, v127, s32
	s_bfe_u32 s0, ttmp6, 0x4000c
	s_bfe_u32 s2, ttmp6, 0x40010
	s_add_co_i32 s0, s0, 1
	s_and_b32 s1, ttmp6, 15
	s_mul_i32 s0, ttmp9, s0
	s_and_b32 s4, ttmp7, 0xffff
	s_add_co_i32 s2, s2, 1
	s_add_co_i32 s1, s1, s0
	s_mul_i32 s0, s4, s2
	s_bfe_u32 s2, ttmp6, 0x40004
	s_getreg_b32 s12, hwreg(HW_REG_IB_STS2, 6, 4)
	s_add_co_i32 s2, s2, s0
	s_cmp_eq_u32 s12, 0
	s_mov_b32 s3, 0
	s_cselect_b32 s13, s4, s2
	s_cselect_b32 s0, ttmp9, s1
	s_lshl_b32 s2, s13, 2
	v_dual_mov_b32 v35, v7 :: v_dual_mov_b32 v34, v6
	v_add_nc_u64_e32 v[6:7], s[2:3], v[12:13]
	s_clause 0x5
	scratch_store_b64 off, v[22:23], s32 offset:1012
	scratch_store_b64 off, v[20:21], s32 offset:1024
	;; [unrolled: 1-line block ×4, first 2 shown]
	scratch_store_b32 off, v9, s32 offset:1048
	scratch_store_b64 off, v[0:1], s32 offset:1096
	s_wait_xcnt 0x0
	v_mov_b32_e32 v1, 0
	s_clause 0x1
	s_load_u16 s1, s[8:9], 0x12
	s_load_b32 s2, s[8:9], 0x0
	v_dual_mov_b32 v33, v16 :: v_dual_mov_b32 v32, v15
	flat_load_b32 v100, v[6:7]
	s_wait_xcnt 0x0
	v_sub_nc_u32_e32 v6, 0, v8
	global_load_u16 v0, v1, s[8:9] offset:22
	s_mov_b32 s6, s15
	s_mov_b32 s4, exec_lo
	v_max_i32_e32 v6, v8, v6
	s_delay_alu instid0(VALU_DEP_1) | instskip(NEXT) | instid1(VALU_DEP_1)
	v_cvt_f32_u32_e32 v7, v6
	v_rcp_iflag_f32_e32 v7, v7
	s_wait_kmcnt 0x0
	s_cmp_lg_u32 s1, 0
	s_cselect_b32 s1, -1, 0
	s_delay_alu instid0(SALU_CYCLE_1) | instskip(SKIP_1) | instid1(TRANS32_DEP_1)
	s_cmp_lg_u32 s1, 0
	v_nop
	v_mul_f32_e32 v7, 0x4f7ffffe, v7
	v_sub_nc_u32_e32 v9, 0, v6
	s_add_co_ci_u32 s14, s2, 0
	s_abs_i32 s2, s0
	s_abs_i32 s1, s14
	v_cvt_u32_f32_e32 v7, v7
	s_delay_alu instid0(VALU_DEP_1) | instskip(NEXT) | instid1(VALU_DEP_1)
	v_mul_lo_u32 v9, v9, v7
	v_mul_hi_u32 v9, v7, v9
	s_delay_alu instid0(VALU_DEP_1) | instskip(NEXT) | instid1(VALU_DEP_1)
	v_add_nc_u32_e32 v7, v7, v9
	v_mul_hi_u32 v7, s1, v7
	s_delay_alu instid0(VALU_DEP_1) | instskip(NEXT) | instid1(VALU_DEP_1)
	v_mul_lo_u32 v9, v7, v6
	v_dual_add_nc_u32 v10, 1, v7 :: v_dual_sub_nc_u32 v9, s1, v9
	s_delay_alu instid0(VALU_DEP_1) | instskip(SKIP_1) | instid1(VALU_DEP_3)
	v_sub_nc_u32_e32 v11, v9, v6
	v_cmp_ge_u32_e32 vcc_lo, v9, v6
	v_dual_cndmask_b32 v7, v7, v10, vcc_lo :: v_dual_bitop2_b32 v10, s14, v8 bitop3:0x14
	s_delay_alu instid0(VALU_DEP_3) | instskip(NEXT) | instid1(VALU_DEP_2)
	v_cndmask_b32_e32 v9, v9, v11, vcc_lo
	v_dual_add_nc_u32 v11, 1, v7 :: v_dual_ashrrev_i32 v10, 31, v10
	s_delay_alu instid0(VALU_DEP_2) | instskip(NEXT) | instid1(VALU_DEP_2)
	v_cmp_ge_u32_e32 vcc_lo, v9, v6
	v_cndmask_b32_e32 v6, v7, v11, vcc_lo
	s_delay_alu instid0(VALU_DEP_1) | instskip(NEXT) | instid1(VALU_DEP_1)
	v_xor_b32_e32 v6, v6, v10
	v_sub_nc_u32_e32 v6, v6, v10
	s_delay_alu instid0(VALU_DEP_1) | instskip(NEXT) | instid1(VALU_DEP_1)
	v_sub_nc_u32_e32 v7, 0, v6
	v_max_i32_e32 v7, v6, v7
	s_delay_alu instid0(VALU_DEP_1) | instskip(SKIP_1) | instid1(VALU_DEP_2)
	v_cvt_f32_u32_e32 v9, v7
	v_sub_nc_u32_e32 v10, 0, v7
	v_rcp_iflag_f32_e32 v9, v9
	v_nop
	s_delay_alu instid0(TRANS32_DEP_1) | instskip(NEXT) | instid1(VALU_DEP_1)
	v_mul_f32_e32 v9, 0x4f7ffffe, v9
	v_cvt_u32_f32_e32 v9, v9
	s_delay_alu instid0(VALU_DEP_1) | instskip(NEXT) | instid1(VALU_DEP_1)
	v_mul_lo_u32 v10, v10, v9
	v_mul_hi_u32 v10, v9, v10
	s_wait_loadcnt 0x0
	v_readfirstlane_b32 s15, v0
	s_delay_alu instid0(VALU_DEP_2)
	v_add_nc_u32_e32 v0, v9, v10
	v_mov_b32_e32 v9, v1
	scratch_store_b32 off, v9, s32 offset:1044 ; 4-byte Folded Spill
	s_wait_xcnt 0x0
	v_cmpx_ne_u64_e32 0, v[32:33]
	s_cbranch_execz .LBB189_2
; %bb.1:
	s_ashr_i32 s1, s0, 31
	s_delay_alu instid0(SALU_CYCLE_1)
	v_lshl_add_u64 v[10:11], s[0:1], 2, v[32:33]
	flat_load_b32 v9, v[10:11]
	s_wait_loadcnt_dscnt 0x0
	scratch_store_b32 off, v9, s32 offset:1044 ; 4-byte Folded Spill
.LBB189_2:
	s_wait_xcnt 0x0
	s_or_b32 exec_lo, exec_lo, s4
	v_mul_u64_e32 v[0:1], s[2:3], v[0:1]
	v_and_b32_e32 v114, 0x3ff, v31
	v_dual_ashrrev_i32 v0, 31, v6 :: v_dual_bitop2_b32 v6, 1, v31 bitop3:0x40
	s_ashr_i32 s1, s0, 31
	s_lshl_b32 s4, s0, 8
	s_delay_alu instid0(VALU_DEP_2)
	v_lshlrev_b32_e32 v29, 2, v114
	s_mov_b32 s3, exec_lo
	v_cmpx_gt_u32_e32 0x80, v114
	s_cbranch_execz .LBB189_4
; %bb.3:
	v_mul_lo_u32 v10, v17, s13
	s_ashr_i32 s5, s4, 31
	v_and_b32_e32 v9, 0xff8, v29
	s_delay_alu instid0(VALU_DEP_1) | instskip(NEXT) | instid1(VALU_DEP_3)
	v_lshl_add_u32 v9, v6, 9, v9
	v_ashrrev_i32_e32 v11, 31, v10
	s_delay_alu instid0(VALU_DEP_1) | instskip(SKIP_1) | instid1(VALU_DEP_2)
	v_lshl_add_u64 v[2:3], v[10:11], 2, v[2:3]
	v_dual_mov_b32 v11, 0 :: v_dual_lshlrev_b32 v10, 3, v114
	v_lshl_add_u64 v[2:3], s[4:5], 2, v[2:3]
	s_delay_alu instid0(VALU_DEP_1)
	v_add_nc_u64_e32 v[2:3], v[2:3], v[10:11]
	flat_load_b64 v[2:3], v[2:3]
	s_wait_loadcnt_dscnt 0x0
	ds_store_b64 v9, v[2:3]
.LBB189_4:
	s_wait_xcnt 0x0
	s_or_b32 exec_lo, exec_lo, s3
	v_sub_nc_u32_e32 v2, 0, v27
	v_mul_lo_u32 v3, v1, v7
	v_dual_add_nc_u32 v10, 1, v1 :: v_dual_bitop2_b32 v12, s1, v0 bitop3:0x14
	s_mov_b32 s1, exec_lo
	s_delay_alu instid0(VALU_DEP_3) | instskip(NEXT) | instid1(VALU_DEP_1)
	v_max_i32_e32 v101, v27, v2
	v_cvt_f32_u32_e32 v2, v101
	s_delay_alu instid0(VALU_DEP_4) | instskip(NEXT) | instid1(VALU_DEP_2)
	v_sub_nc_u32_e32 v3, s2, v3
	v_rcp_iflag_f32_e32 v2, v2
	s_delay_alu instid0(VALU_DEP_1) | instskip(NEXT) | instid1(TRANS32_DEP_1)
	v_cmp_ge_u32_e32 vcc_lo, v3, v7
	v_dual_mul_f32 v2, 0x4f7ffffe, v2 :: v_dual_sub_nc_u32 v9, 0, v101
	v_cndmask_b32_e32 v1, v1, v10, vcc_lo
	s_delay_alu instid0(VALU_DEP_2) | instskip(NEXT) | instid1(VALU_DEP_2)
	v_cvt_u32_f32_e32 v2, v2
	v_add_nc_u32_e32 v10, 1, v1
	s_delay_alu instid0(VALU_DEP_2) | instskip(SKIP_2) | instid1(VALU_DEP_1)
	v_mul_lo_u32 v11, v9, v2
	v_sub_nc_u32_e32 v9, v3, v7
	s_wait_dscnt 0x0
	v_dual_cndmask_b32 v3, v3, v9, vcc_lo :: v_dual_add_nc_u32 v9, -1, v100
	s_delay_alu instid0(VALU_DEP_1) | instskip(NEXT) | instid1(VALU_DEP_4)
	v_cmp_ge_u32_e32 vcc_lo, v3, v7
	v_mul_hi_u32 v11, v2, v11
	v_dual_cndmask_b32 v0, v1, v10 :: v_dual_mov_b32 v1, 0
	s_delay_alu instid0(VALU_DEP_1) | instskip(NEXT) | instid1(VALU_DEP_2)
	v_dual_sub_nc_u32 v3, 0, v9 :: v_dual_bitop2_b32 v7, v0, v12 bitop3:0x14
	v_mov_b32_e32 v13, v1
	s_delay_alu instid0(VALU_DEP_2)
	v_dual_sub_nc_u32 v7, v7, v12 :: v_dual_max_i32 v0, v9, v3
	v_add_nc_u32_e32 v12, v2, v11
                                        ; implicit-def: $vgpr2
                                        ; kill: killed $vgpr2
	scratch_store_b64 off, v[12:13], s32 offset:204 ; 8-byte Folded Spill
	s_wait_storecnt 0x0
	s_barrier_signal -1
	s_barrier_wait -1
	s_wait_xcnt 0x0
	v_cmpx_gt_i32_e32 0, v28
	s_xor_b32 s1, exec_lo, s1
	s_cbranch_execz .LBB189_6
; %bb.5:
	v_mad_u32 v2, v24, v8, v7
                                        ; implicit-def: $vgpr24
	s_delay_alu instid0(VALU_DEP_1) | instskip(NEXT) | instid1(VALU_DEP_1)
	v_mul_lo_u32 v2, v2, v28
                                        ; implicit-def: $vgpr28
	v_sub_nc_u32_e32 v2, 1, v2
	scratch_store_b32 off, v2, s32 offset:216 ; 4-byte Folded Spill
.LBB189_6:
	s_wait_xcnt 0x0
	s_or_saveexec_b32 s1, s1
	scratch_load_b64 v[2:3], off, s32 offset:204 ; 8-byte Folded Reload
	s_wait_loadcnt 0x0
	v_mul_u64_e32 v[2:3], v[0:1], v[2:3]
	v_dual_ashrrev_i32 v1, 31, v9 :: v_dual_ashrrev_i32 v2, 31, v27
	scratch_store_b32 off, v2, s32 offset:212 ; 4-byte Folded Spill
	s_wait_xcnt 0x0
	s_xor_b32 exec_lo, exec_lo, s1
	s_cbranch_execz .LBB189_8
; %bb.7:
	v_mad_u32 v2, s14, v24, s0
	s_delay_alu instid0(VALU_DEP_1)
	v_mad_u32 v2, v2, v28, 1
	scratch_store_b32 off, v2, s32 offset:216 ; 4-byte Folded Spill
.LBB189_8:
	s_wait_xcnt 0x0
	s_or_b32 exec_lo, exec_lo, s1
	scratch_load_b32 v10, off, s32 offset:212 ; 4-byte Folded Reload
	v_mul_lo_u32 v2, v3, v101
	s_load_b32 s5, s[8:9], 0x8
	v_mul_lo_u32 v12, v14, s13
	v_mul_lo_u32 v30, v7, v19
	s_wait_xcnt 0x0
	s_get_pc_i64 s[8:9]
	s_add_nc_u64 s[8:9], s[8:9], llvm.amdgcn.dynlds.offset.table@rel64+4
	v_sub_nc_u32_e32 v24, 0, v26
	s_delay_alu instid0(VALU_DEP_4) | instskip(SKIP_1) | instid1(VALU_DEP_4)
	v_dual_sub_nc_u32 v0, v0, v2 :: v_dual_add_nc_u32 v2, 1, v3
	v_add_nc_u32_e32 v8, 15, v100
	v_dual_ashrrev_i32 v13, 31, v12 :: v_dual_ashrrev_i32 v31, 31, v30
	s_delay_alu instid0(VALU_DEP_3) | instskip(SKIP_1) | instid1(VALU_DEP_4)
	v_sub_nc_u32_e32 v9, v0, v101
	v_cmp_ge_u32_e32 vcc_lo, v0, v101
	v_dual_cndmask_b32 v2, v3, v2 :: v_dual_ashrrev_i32 v3, 31, v8
	s_delay_alu instid0(VALU_DEP_1) | instskip(NEXT) | instid1(VALU_DEP_2)
	v_dual_cndmask_b32 v0, v0, v9 :: v_dual_add_nc_u32 v9, 1, v2
	v_lshrrev_b32_e32 v3, 28, v3
	s_delay_alu instid0(VALU_DEP_2) | instskip(SKIP_1) | instid1(VALU_DEP_4)
	v_cmp_ge_u32_e32 vcc_lo, v0, v101
	v_lshrrev_b32_e32 v45, 5, v114
	v_dual_mov_b32 v7, 0xff7fffff :: v_dual_cndmask_b32 v0, v2, v9
	s_delay_alu instid0(VALU_DEP_4) | instskip(SKIP_1) | instid1(VALU_DEP_3)
	v_dual_add_nc_u32 v2, v8, v3 :: v_dual_lshrrev_b32 v28, 3, v114
	s_wait_loadcnt 0x0
	v_dual_lshlrev_b32 v8, 4, v45 :: v_dual_bitop2_b32 v1, v1, v10 bitop3:0x14
	s_delay_alu instid0(VALU_DEP_1) | instskip(NEXT) | instid1(VALU_DEP_1)
	v_dual_ashrrev_i32 v2, 4, v2 :: v_dual_bitop2_b32 v0, v0, v1 bitop3:0x14
	v_sub_nc_u32_e32 v0, v0, v1
	s_delay_alu instid0(VALU_DEP_2)
	v_cmp_ge_i32_e64 s0, v45, v2
	scratch_store_b32 off, v2, s32 offset:192 ; 4-byte Folded Spill
	v_cmp_lt_i32_e32 vcc_lo, v45, v2
	v_sub_nc_u32_e32 v0, v0, v25
	s_clause 0x2
	scratch_store_b64 off, v[8:9], s32 offset:196
	scratch_store_b64 off, v[12:13], s32 offset:1080
	scratch_store_b32 off, v0, s32 offset:220
	s_wait_xcnt 0x0
	s_mov_b32 s16, exec_lo
	s_delay_alu instid0(SALU_CYCLE_1)
	s_and_b32 s1, s16, vcc_lo
	s_clause 0x1
	scratch_store_b64 off, v[114:115], s32 offset:1060
	scratch_store_b32 off, v45, s32 offset:1068
	s_wait_xcnt 0x0
	s_mov_b32 exec_lo, s1
	s_cbranch_execz .LBB189_1044
; %bb.9:
	v_dual_mov_b32 v25, 0 :: v_dual_max_i32 v3, v26, v24
	v_bfe_u32 v7, v114, 1, 4
	s_clause 0x3
	scratch_store_b32 off, v29, s32 offset:1116
	scratch_store_b64 off, v[34:35], s32 offset:1108
	scratch_store_b32 off, v26, s32 offset:1104
	scratch_store_b32 off, v24, s32 offset:1132
	s_ashr_i32 s7, s6, 31
	v_cvt_f32_u32_e32 v0, v3
	s_wait_xcnt 0x0
	v_dual_lshlrev_b32 v27, 9, v6 :: v_dual_lshlrev_b32 v24, 4, v7
	s_lshl_b64 s[2:3], s[6:7], 2
	s_clause 0x1
	scratch_store_b64 off, v[30:31], s32 offset:1124
	scratch_store_b32 off, v3, s32 offset:816
	v_rcp_iflag_f32_e32 v0, v0
	s_add_nc_u64 s[10:11], s[8:9], s[2:3]
	v_cmp_eq_u32_e32 vcc_lo, 0, v6
	s_load_b32 s7, s[10:11], 0x0
	s_mov_b32 s17, 0
	v_dual_sub_nc_u32 v3, 0, v3 :: v_dual_lshlrev_b32 v118, 4, v45
	s_delay_alu instid0(TRANS32_DEP_1) | instskip(SKIP_2) | instid1(VALU_DEP_3)
	v_mul_f32_e32 v2, 0x4f7ffffe, v0
	v_add_nc_u64_e32 v[0:1], v[4:5], v[30:31]
	v_dual_lshlrev_b32 v4, 2, v7 :: v_dual_sub_nc_u32 v5, v7, v100
	v_cvt_u32_f32_e32 v2, v2
	s_delay_alu instid0(VALU_DEP_2) | instskip(NEXT) | instid1(VALU_DEP_4)
	v_lshl_or_b32 v26, v45, 6, v4
	v_add_nc_u64_e32 v[0:1], v[0:1], v[24:25]
	v_lshlrev_b32_e32 v24, 1, v6
	s_delay_alu instid0(VALU_DEP_4) | instskip(SKIP_1) | instid1(VALU_DEP_3)
	v_mul_lo_u32 v3, v3, v2
	v_mov_b32_e32 v6, 0xff7fffff
	v_add_nc_u64_e32 v[0:1], v[0:1], v[24:25]
	v_and_b32_e32 v24, 0x7c, v28
	s_clause 0x2
	scratch_store_b64 off, v[0:1], s32 offset:1036
	scratch_store_b32 off, v28, s32 offset:1120
	scratch_load_b32 v0, off, s32 offset:1044
	v_mul_hi_u32 v3, v2, v3
	scratch_store_b32 off, v7, s32 offset:1052 ; 4-byte Folded Spill
	s_wait_xcnt 0x0
	v_mov_b32_e32 v7, v25
	scratch_store_b32 off, v6, s32 offset:1032 ; 4-byte Folded Spill
	v_add_nc_u32_e32 v4, 1, v5
	scratch_store_b32 off, v101, s32 offset:1020 ; 4-byte Folded Spill
	s_wait_xcnt 0x1
	v_add_nc_u32_e32 v6, v2, v3
	s_clause 0x2
	scratch_store_b64 off, v[6:7], s32 offset:820
	scratch_store_b32 off, v4, s32 offset:1056
	scratch_load_b64 v[4:5], off, s32 offset:1072
	s_wait_loadcnt 0x1
	v_cmp_neq_f32_e64 s1, 0, v0
	scratch_load_b64 v[0:1], off, s32 offset:1080 ; 8-byte Folded Reload
	s_wait_loadcnt 0x0
	v_lshl_add_u64 v[0:1], v[0:1], 2, v[24:25]
	s_delay_alu instid0(VALU_DEP_1)
	v_add_nc_u64_e32 v[42:43], v[4:5], v[0:1]
	s_branch .LBB189_12
.LBB189_10:                             ;   in Loop: Header=BB189_12 Depth=1
	s_wait_xcnt 0x0
	s_or_b32 exec_lo, exec_lo, s18
.LBB189_11:                             ;   in Loop: Header=BB189_12 Depth=1
	s_delay_alu instid0(SALU_CYCLE_1)
	s_or_b32 exec_lo, exec_lo, s3
	scratch_load_b32 v0, off, s32 offset:192 ; 4-byte Folded Reload
	v_dual_add_nc_u32 v45, 4, v45 :: v_dual_add_nc_u32 v118, 64, v118
	v_add_nc_u64_e32 v[42:43], 16, v[42:43]
	v_add_nc_u32_e32 v26, 0x100, v26
	s_wait_loadcnt 0x0
	s_delay_alu instid0(VALU_DEP_3)
	v_cmp_ge_i32_e64 s2, v45, v0
	s_or_b32 s17, s2, s17
	s_wait_xcnt 0x0
	s_and_not1_b32 exec_lo, exec_lo, s17
	s_cbranch_execz .LBB189_1043
.LBB189_12:                             ; =>This Inner Loop Header: Depth=1
	s_wait_dscnt 0x0
	s_clause 0x1
	scratch_load_b64 v[0:1], off, s32 offset:204
	scratch_load_b32 v4, off, s32 offset:816
	v_mov_b32_e32 v119, v25
	s_wait_loadcnt 0x1
	s_delay_alu instid0(VALU_DEP_1) | instskip(NEXT) | instid1(VALU_DEP_1)
	v_mul_u64_e32 v[0:1], v[118:119], v[0:1]
	v_mul_lo_u32 v0, v1, v101
	s_delay_alu instid0(VALU_DEP_1) | instskip(NEXT) | instid1(VALU_DEP_1)
	v_sub_nc_u32_e32 v0, v118, v0
	v_cmp_ge_u32_e64 s2, v0, v101
	v_sub_nc_u32_e32 v3, v0, v101
	s_delay_alu instid0(VALU_DEP_1) | instskip(NEXT) | instid1(VALU_DEP_1)
	v_dual_add_nc_u32 v2, 1, v1 :: v_dual_cndmask_b32 v0, v0, v3, s2
	v_cndmask_b32_e64 v1, v1, v2, s2
	s_delay_alu instid0(VALU_DEP_2) | instskip(NEXT) | instid1(VALU_DEP_2)
	v_cmp_ge_u32_e64 s2, v0, v101
	v_add_nc_u32_e32 v2, 1, v1
	s_delay_alu instid0(VALU_DEP_1) | instskip(SKIP_3) | instid1(VALU_DEP_1)
	v_cndmask_b32_e64 v0, v1, v2, s2
	scratch_load_b32 v1, off, s32 offset:212 ; 4-byte Folded Reload
	s_wait_loadcnt 0x0
	v_xor_b32_e32 v0, v0, v1
	v_sub_nc_u32_e32 v2, v0, v1
	scratch_load_b32 v0, off, s32 offset:216 ; 4-byte Folded Reload
	s_wait_loadcnt 0x0
	v_add_nc_u32_e32 v3, v2, v0
	s_delay_alu instid0(VALU_DEP_1) | instskip(NEXT) | instid1(VALU_DEP_1)
	v_sub_nc_u32_e32 v0, 0, v3
	v_max_i32_e32 v24, v3, v0
	scratch_load_b64 v[0:1], off, s32 offset:820 ; 8-byte Folded Reload
	s_wait_loadcnt 0x0
	v_mul_u64_e32 v[0:1], v[24:25], v[0:1]
	s_delay_alu instid0(VALU_DEP_1) | instskip(NEXT) | instid1(VALU_DEP_1)
	v_mul_lo_u32 v0, v1, v4
	v_dual_sub_nc_u32 v0, v24, v0 :: v_dual_ashrrev_i32 v3, 31, v3
	s_delay_alu instid0(VALU_DEP_1) | instskip(SKIP_1) | instid1(VALU_DEP_1)
	v_sub_nc_u32_e32 v1, v0, v4
	v_cmp_ge_u32_e64 s2, v0, v4
	v_cndmask_b32_e64 v0, v0, v1, s2
	s_delay_alu instid0(VALU_DEP_1) | instskip(SKIP_1) | instid1(VALU_DEP_1)
	v_sub_nc_u32_e32 v1, v0, v4
	v_cmp_ge_u32_e64 s2, v0, v4
	v_cndmask_b32_e64 v0, v0, v1, s2
	s_delay_alu instid0(VALU_DEP_1) | instskip(NEXT) | instid1(VALU_DEP_1)
	v_xor_b32_e32 v0, v0, v3
	v_sub_nc_u32_e32 v0, v0, v3
	s_delay_alu instid0(VALU_DEP_1)
	v_cmp_ne_u32_e64 s2, 0, v0
	scratch_load_b32 v0, off, s32 offset:220 ; 4-byte Folded Reload
	s_wait_loadcnt 0x0
	v_cmp_le_i32_e64 s3, v2, v0
	s_and_b32 s2, s2, s3
	s_wait_xcnt 0x0
	s_and_saveexec_b32 s3, s2
	s_delay_alu instid0(SALU_CYCLE_1)
	s_xor_b32 s2, exec_lo, s3
	s_cbranch_execz .LBB189_16
; %bb.13:                               ;   in Loop: Header=BB189_12 Depth=1
	s_and_saveexec_b32 s3, vcc_lo
	s_cbranch_execz .LBB189_15
; %bb.14:                               ;   in Loop: Header=BB189_12 Depth=1
	s_wait_kmcnt 0x0
	v_dual_mov_b32 v1, 0xff7fffff :: v_dual_add_nc_u32 v0, s7, v26
	ds_store_b32 v0, v1
.LBB189_15:                             ;   in Loop: Header=BB189_12 Depth=1
	s_or_b32 exec_lo, exec_lo, s3
.LBB189_16:                             ;   in Loop: Header=BB189_12 Depth=1
	s_and_not1_saveexec_b32 s3, s2
	s_cbranch_execz .LBB189_11
; %bb.17:                               ;   in Loop: Header=BB189_12 Depth=1
	flat_load_b32 v0, v[42:43]
	s_clause 0x1
	scratch_load_b64 v[2:3], off, s32 offset:808
	scratch_load_b64 v[4:5], off, s32 offset:1036
	v_mov_b64_e32 v[52:53], 0
	v_mov_b64_e32 v[66:67], 0
	s_mov_b32 s18, exec_lo
	s_wait_loadcnt_dscnt 0x0
	v_mad_nc_i64_i32 v[76:77], v0, v2, v[4:5]
	flat_load_u16 v0, v[76:77]
	scratch_load_b64 v[2:3], off, s32 offset:1024 ; 8-byte Folded Reload
	s_wait_loadcnt_dscnt 0x100
	v_and_b32_e32 v1, 0xff, v0
	s_wait_loadcnt 0x0
	flat_load_b32 v44, v[2:3]
	ds_load_b128 v[80:83], v27
	s_wait_xcnt 0x0
	ds_load_b128 v[2:5], v27 offset:16
	v_and_b32_e32 v0, 0xffff, v0
	s_wait_dscnt 0x0
	scratch_store_b128 off, v[2:5], s32 offset:980 ; 16-byte Folded Spill
	s_wait_xcnt 0x0
	ds_load_b128 v[2:5], v27 offset:32
	s_wait_dscnt 0x0
	scratch_store_b128 off, v[2:5], s32 offset:996 ; 16-byte Folded Spill
	s_wait_xcnt 0x0
	ds_load_b128 v[2:5], v27 offset:48
	;; [unrolled: 4-line block ×8, first 2 shown]
	s_wait_dscnt 0x0
	scratch_store_b128 off, v[2:5], s32 offset:852 ; 16-byte Folded Spill
	s_wait_xcnt 0x0
	ds_load_b64 v[2:3], v27 offset:192
	s_wait_dscnt 0x0
	scratch_store_b64 off, v[2:3], s32 offset:844 ; 8-byte Folded Spill
	s_wait_xcnt 0x0
	ds_load_b128 v[2:5], v27 offset:160
	s_wait_dscnt 0x0
	scratch_store_b128 off, v[2:5], s32 offset:868 ; 16-byte Folded Spill
	s_wait_xcnt 0x0
	ds_load_b128 v[2:5], v27 offset:176
	s_wait_dscnt 0x0
	scratch_store_b128 off, v[2:5], s32 offset:828 ; 16-byte Folded Spill
	s_wait_xcnt 0x0
	v_cmpx_ne_u16_e32 0, v1
	s_cbranch_execz .LBB189_25
; %bb.18:                               ;   in Loop: Header=BB189_12 Depth=1
	v_mov_b64_e32 v[66:67], 0x80000000
	v_and_b32_e32 v1, 0xff, v0
	s_mov_b32 s19, exec_lo
	s_delay_alu instid0(VALU_DEP_1)
	v_cmpx_ne_u16_e32 0x80, v1
	s_cbranch_execz .LBB189_24
; %bb.19:                               ;   in Loop: Header=BB189_12 Depth=1
	v_mov_b64_e32 v[66:67], 0x7f800001
	v_and_b32_e32 v2, 0x7f, v0
	s_mov_b32 s20, exec_lo
	s_delay_alu instid0(VALU_DEP_1)
	v_cmpx_ne_u32_e32 0x7f, v2
	s_cbranch_execz .LBB189_23
; %bb.20:                               ;   in Loop: Header=BB189_12 Depth=1
	v_dual_lshrrev_b32 v1, 3, v2 :: v_dual_bitop2_b32 v24, 7, v0 bitop3:0x40
	s_mov_b32 s21, exec_lo
	v_cmpx_gt_u32_e32 8, v2
; %bb.21:                               ;   in Loop: Header=BB189_12 Depth=1
	s_delay_alu instid0(VALU_DEP_2) | instskip(NEXT) | instid1(VALU_DEP_1)
	v_clz_i32_u32_e32 v1, v24
	v_min_u32_e32 v1, 32, v1
	s_delay_alu instid0(VALU_DEP_1) | instskip(NEXT) | instid1(VALU_DEP_1)
	v_subrev_nc_u32_e32 v2, 28, v1
	v_lshlrev_b64_e32 v[2:3], v2, v[24:25]
	s_delay_alu instid0(VALU_DEP_1)
	v_dual_sub_nc_u32 v1, 29, v1 :: v_dual_bitop2_b32 v24, 7, v2 bitop3:0x40
; %bb.22:                               ;   in Loop: Header=BB189_12 Depth=1
	s_or_b32 exec_lo, exec_lo, s21
	v_lshlrev_b32_e32 v2, 24, v0
	s_delay_alu instid0(VALU_DEP_2) | instskip(NEXT) | instid1(VALU_DEP_3)
	v_lshlrev_b32_e32 v3, 20, v24
	v_lshl_add_u32 v1, v1, 23, 0x3c000000
	s_delay_alu instid0(VALU_DEP_3) | instskip(NEXT) | instid1(VALU_DEP_1)
	v_and_b32_e32 v2, 0x80000000, v2
	v_or3_b32 v24, v3, v2, v1
	s_delay_alu instid0(VALU_DEP_1)
	v_mov_b64_e32 v[66:67], v[24:25]
.LBB189_23:                             ;   in Loop: Header=BB189_12 Depth=1
	s_or_b32 exec_lo, exec_lo, s20
.LBB189_24:                             ;   in Loop: Header=BB189_12 Depth=1
	s_delay_alu instid0(SALU_CYCLE_1)
	s_or_b32 exec_lo, exec_lo, s19
.LBB189_25:                             ;   in Loop: Header=BB189_12 Depth=1
	s_delay_alu instid0(SALU_CYCLE_1) | instskip(SKIP_2) | instid1(VALU_DEP_1)
	s_or_b32 exec_lo, exec_lo, s18
	v_lshrrev_b16 v1, 8, v0
	s_mov_b32 s18, exec_lo
	v_cmpx_ne_u16_e32 0, v1
	s_cbranch_execz .LBB189_33
; %bb.26:                               ;   in Loop: Header=BB189_12 Depth=1
	v_mov_b64_e32 v[52:53], 0x8000000000000000
	s_mov_b32 s19, exec_lo
	v_cmpx_ne_u16_e32 0x80, v1
	s_cbranch_execz .LBB189_32
; %bb.27:                               ;   in Loop: Header=BB189_12 Depth=1
	v_and_b32_e32 v1, 0xffff, v1
	v_mov_b64_e32 v[52:53], 0x7f80000100000000
	s_mov_b32 s20, exec_lo
	s_delay_alu instid0(VALU_DEP_2) | instskip(NEXT) | instid1(VALU_DEP_1)
	v_and_b32_e32 v2, 0x7f, v1
	v_cmpx_ne_u32_e32 0x7f, v2
	s_cbranch_execz .LBB189_31
; %bb.28:                               ;   in Loop: Header=BB189_12 Depth=1
	v_dual_lshrrev_b32 v1, 3, v2 :: v_dual_bitop2_b32 v24, 7, v1 bitop3:0x40
	s_mov_b32 s21, exec_lo
	v_cmpx_gt_u32_e32 8, v2
; %bb.29:                               ;   in Loop: Header=BB189_12 Depth=1
	s_delay_alu instid0(VALU_DEP_2) | instskip(NEXT) | instid1(VALU_DEP_1)
	v_clz_i32_u32_e32 v1, v24
	v_min_u32_e32 v1, 32, v1
	s_delay_alu instid0(VALU_DEP_1) | instskip(NEXT) | instid1(VALU_DEP_1)
	v_subrev_nc_u32_e32 v2, 28, v1
	v_lshlrev_b64_e32 v[2:3], v2, v[24:25]
	s_delay_alu instid0(VALU_DEP_1)
	v_dual_sub_nc_u32 v1, 29, v1 :: v_dual_bitop2_b32 v24, 7, v2 bitop3:0x40
; %bb.30:                               ;   in Loop: Header=BB189_12 Depth=1
	s_or_b32 exec_lo, exec_lo, s21
	v_dual_lshlrev_b32 v0, 16, v0 :: v_dual_mov_b32 v52, v25
	s_delay_alu instid0(VALU_DEP_2) | instskip(NEXT) | instid1(VALU_DEP_3)
	v_lshlrev_b32_e32 v2, 20, v24
	v_lshl_add_u32 v1, v1, 23, 0x3c000000
	s_delay_alu instid0(VALU_DEP_3) | instskip(NEXT) | instid1(VALU_DEP_1)
	v_and_b32_e32 v0, 0x80000000, v0
	v_or3_b32 v53, v2, v0, v1
.LBB189_31:                             ;   in Loop: Header=BB189_12 Depth=1
	s_or_b32 exec_lo, exec_lo, s20
.LBB189_32:                             ;   in Loop: Header=BB189_12 Depth=1
	s_delay_alu instid0(SALU_CYCLE_1)
	s_or_b32 exec_lo, exec_lo, s19
.LBB189_33:                             ;   in Loop: Header=BB189_12 Depth=1
	s_delay_alu instid0(SALU_CYCLE_1)
	s_or_b32 exec_lo, exec_lo, s18
	flat_load_u16 v0, v[76:77] offset:4
	v_mov_b64_e32 v[64:65], 0
	v_mov_b64_e32 v[70:71], 0
	s_mov_b32 s18, exec_lo
	s_wait_loadcnt_dscnt 0x0
	v_and_b32_e32 v1, 0xff, v0
	v_and_b32_e32 v0, 0xffff, v0
	s_wait_xcnt 0x0
	s_delay_alu instid0(VALU_DEP_2)
	v_cmpx_ne_u16_e32 0, v1
	s_cbranch_execz .LBB189_41
; %bb.34:                               ;   in Loop: Header=BB189_12 Depth=1
	v_mov_b64_e32 v[70:71], 0x80000000
	v_and_b32_e32 v1, 0xff, v0
	s_mov_b32 s19, exec_lo
	s_delay_alu instid0(VALU_DEP_1)
	v_cmpx_ne_u16_e32 0x80, v1
	s_cbranch_execz .LBB189_40
; %bb.35:                               ;   in Loop: Header=BB189_12 Depth=1
	v_mov_b64_e32 v[70:71], 0x7f800001
	v_and_b32_e32 v2, 0x7f, v0
	s_mov_b32 s20, exec_lo
	s_delay_alu instid0(VALU_DEP_1)
	v_cmpx_ne_u32_e32 0x7f, v2
	s_cbranch_execz .LBB189_39
; %bb.36:                               ;   in Loop: Header=BB189_12 Depth=1
	v_dual_lshrrev_b32 v1, 3, v2 :: v_dual_bitop2_b32 v24, 7, v0 bitop3:0x40
	s_mov_b32 s21, exec_lo
	v_cmpx_gt_u32_e32 8, v2
; %bb.37:                               ;   in Loop: Header=BB189_12 Depth=1
	s_delay_alu instid0(VALU_DEP_2) | instskip(NEXT) | instid1(VALU_DEP_1)
	v_clz_i32_u32_e32 v1, v24
	v_min_u32_e32 v1, 32, v1
	s_delay_alu instid0(VALU_DEP_1) | instskip(NEXT) | instid1(VALU_DEP_1)
	v_subrev_nc_u32_e32 v2, 28, v1
	v_lshlrev_b64_e32 v[2:3], v2, v[24:25]
	s_delay_alu instid0(VALU_DEP_1)
	v_dual_sub_nc_u32 v1, 29, v1 :: v_dual_bitop2_b32 v24, 7, v2 bitop3:0x40
; %bb.38:                               ;   in Loop: Header=BB189_12 Depth=1
	s_or_b32 exec_lo, exec_lo, s21
	v_lshlrev_b32_e32 v2, 24, v0
	s_delay_alu instid0(VALU_DEP_2) | instskip(NEXT) | instid1(VALU_DEP_3)
	v_lshlrev_b32_e32 v3, 20, v24
	v_lshl_add_u32 v1, v1, 23, 0x3c000000
	s_delay_alu instid0(VALU_DEP_3) | instskip(NEXT) | instid1(VALU_DEP_1)
	v_and_b32_e32 v2, 0x80000000, v2
	v_or3_b32 v24, v3, v2, v1
	s_delay_alu instid0(VALU_DEP_1)
	v_mov_b64_e32 v[70:71], v[24:25]
.LBB189_39:                             ;   in Loop: Header=BB189_12 Depth=1
	s_or_b32 exec_lo, exec_lo, s20
.LBB189_40:                             ;   in Loop: Header=BB189_12 Depth=1
	s_delay_alu instid0(SALU_CYCLE_1)
	s_or_b32 exec_lo, exec_lo, s19
.LBB189_41:                             ;   in Loop: Header=BB189_12 Depth=1
	s_delay_alu instid0(SALU_CYCLE_1) | instskip(SKIP_2) | instid1(VALU_DEP_1)
	s_or_b32 exec_lo, exec_lo, s18
	v_lshrrev_b16 v1, 8, v0
	s_mov_b32 s18, exec_lo
	v_cmpx_ne_u16_e32 0, v1
	s_cbranch_execz .LBB189_49
; %bb.42:                               ;   in Loop: Header=BB189_12 Depth=1
	v_mov_b64_e32 v[64:65], 0x8000000000000000
	s_mov_b32 s19, exec_lo
	v_cmpx_ne_u16_e32 0x80, v1
	s_cbranch_execz .LBB189_48
; %bb.43:                               ;   in Loop: Header=BB189_12 Depth=1
	v_and_b32_e32 v1, 0xffff, v1
	v_mov_b64_e32 v[64:65], 0x7f80000100000000
	s_mov_b32 s20, exec_lo
	s_delay_alu instid0(VALU_DEP_2) | instskip(NEXT) | instid1(VALU_DEP_1)
	v_and_b32_e32 v2, 0x7f, v1
	v_cmpx_ne_u32_e32 0x7f, v2
	s_cbranch_execz .LBB189_47
; %bb.44:                               ;   in Loop: Header=BB189_12 Depth=1
	v_dual_lshrrev_b32 v1, 3, v2 :: v_dual_bitop2_b32 v24, 7, v1 bitop3:0x40
	s_mov_b32 s21, exec_lo
	v_cmpx_gt_u32_e32 8, v2
; %bb.45:                               ;   in Loop: Header=BB189_12 Depth=1
	s_delay_alu instid0(VALU_DEP_2) | instskip(NEXT) | instid1(VALU_DEP_1)
	v_clz_i32_u32_e32 v1, v24
	v_min_u32_e32 v1, 32, v1
	s_delay_alu instid0(VALU_DEP_1) | instskip(NEXT) | instid1(VALU_DEP_1)
	v_subrev_nc_u32_e32 v2, 28, v1
	v_lshlrev_b64_e32 v[2:3], v2, v[24:25]
	s_delay_alu instid0(VALU_DEP_1)
	v_dual_sub_nc_u32 v1, 29, v1 :: v_dual_bitop2_b32 v24, 7, v2 bitop3:0x40
; %bb.46:                               ;   in Loop: Header=BB189_12 Depth=1
	s_or_b32 exec_lo, exec_lo, s21
	v_dual_lshlrev_b32 v0, 16, v0 :: v_dual_mov_b32 v64, v25
	s_delay_alu instid0(VALU_DEP_2) | instskip(NEXT) | instid1(VALU_DEP_3)
	v_lshlrev_b32_e32 v2, 20, v24
	v_lshl_add_u32 v1, v1, 23, 0x3c000000
	s_delay_alu instid0(VALU_DEP_3) | instskip(NEXT) | instid1(VALU_DEP_1)
	v_and_b32_e32 v0, 0x80000000, v0
	v_or3_b32 v65, v2, v0, v1
.LBB189_47:                             ;   in Loop: Header=BB189_12 Depth=1
	s_or_b32 exec_lo, exec_lo, s20
.LBB189_48:                             ;   in Loop: Header=BB189_12 Depth=1
	s_delay_alu instid0(SALU_CYCLE_1)
	s_or_b32 exec_lo, exec_lo, s19
.LBB189_49:                             ;   in Loop: Header=BB189_12 Depth=1
	s_delay_alu instid0(SALU_CYCLE_1)
	s_or_b32 exec_lo, exec_lo, s18
	flat_load_u16 v0, v[76:77] offset:8
	v_mov_b64_e32 v[68:69], 0
	v_mov_b64_e32 v[36:37], 0
	s_mov_b32 s18, exec_lo
	s_wait_loadcnt_dscnt 0x0
	v_and_b32_e32 v1, 0xff, v0
	v_and_b32_e32 v0, 0xffff, v0
	s_wait_xcnt 0x0
	s_delay_alu instid0(VALU_DEP_2)
	v_cmpx_ne_u16_e32 0, v1
	s_cbranch_execz .LBB189_57
; %bb.50:                               ;   in Loop: Header=BB189_12 Depth=1
	v_mov_b64_e32 v[36:37], 0x80000000
	v_and_b32_e32 v1, 0xff, v0
	s_mov_b32 s19, exec_lo
	s_delay_alu instid0(VALU_DEP_1)
	v_cmpx_ne_u16_e32 0x80, v1
	s_cbranch_execz .LBB189_56
; %bb.51:                               ;   in Loop: Header=BB189_12 Depth=1
	v_mov_b64_e32 v[36:37], 0x7f800001
	v_and_b32_e32 v2, 0x7f, v0
	s_mov_b32 s20, exec_lo
	s_delay_alu instid0(VALU_DEP_1)
	v_cmpx_ne_u32_e32 0x7f, v2
	s_cbranch_execz .LBB189_55
; %bb.52:                               ;   in Loop: Header=BB189_12 Depth=1
	v_dual_lshrrev_b32 v1, 3, v2 :: v_dual_bitop2_b32 v24, 7, v0 bitop3:0x40
	s_mov_b32 s21, exec_lo
	v_cmpx_gt_u32_e32 8, v2
; %bb.53:                               ;   in Loop: Header=BB189_12 Depth=1
	s_delay_alu instid0(VALU_DEP_2) | instskip(NEXT) | instid1(VALU_DEP_1)
	v_clz_i32_u32_e32 v1, v24
	v_min_u32_e32 v1, 32, v1
	s_delay_alu instid0(VALU_DEP_1) | instskip(NEXT) | instid1(VALU_DEP_1)
	v_subrev_nc_u32_e32 v2, 28, v1
	v_lshlrev_b64_e32 v[2:3], v2, v[24:25]
	s_delay_alu instid0(VALU_DEP_1)
	v_dual_sub_nc_u32 v1, 29, v1 :: v_dual_bitop2_b32 v24, 7, v2 bitop3:0x40
; %bb.54:                               ;   in Loop: Header=BB189_12 Depth=1
	s_or_b32 exec_lo, exec_lo, s21
	v_lshlrev_b32_e32 v2, 24, v0
	s_delay_alu instid0(VALU_DEP_2) | instskip(NEXT) | instid1(VALU_DEP_3)
	v_lshlrev_b32_e32 v3, 20, v24
	v_lshl_add_u32 v1, v1, 23, 0x3c000000
	s_delay_alu instid0(VALU_DEP_3) | instskip(NEXT) | instid1(VALU_DEP_1)
	v_and_b32_e32 v2, 0x80000000, v2
	v_or3_b32 v24, v3, v2, v1
	s_delay_alu instid0(VALU_DEP_1)
	v_mov_b64_e32 v[36:37], v[24:25]
.LBB189_55:                             ;   in Loop: Header=BB189_12 Depth=1
	s_or_b32 exec_lo, exec_lo, s20
.LBB189_56:                             ;   in Loop: Header=BB189_12 Depth=1
	s_delay_alu instid0(SALU_CYCLE_1)
	s_or_b32 exec_lo, exec_lo, s19
.LBB189_57:                             ;   in Loop: Header=BB189_12 Depth=1
	s_delay_alu instid0(SALU_CYCLE_1) | instskip(SKIP_2) | instid1(VALU_DEP_1)
	s_or_b32 exec_lo, exec_lo, s18
	v_lshrrev_b16 v1, 8, v0
	s_mov_b32 s18, exec_lo
	v_cmpx_ne_u16_e32 0, v1
	s_cbranch_execz .LBB189_65
; %bb.58:                               ;   in Loop: Header=BB189_12 Depth=1
	v_mov_b64_e32 v[68:69], 0x8000000000000000
	s_mov_b32 s19, exec_lo
	v_cmpx_ne_u16_e32 0x80, v1
	s_cbranch_execz .LBB189_64
; %bb.59:                               ;   in Loop: Header=BB189_12 Depth=1
	v_and_b32_e32 v1, 0xffff, v1
	v_mov_b64_e32 v[68:69], 0x7f80000100000000
	s_mov_b32 s20, exec_lo
	s_delay_alu instid0(VALU_DEP_2) | instskip(NEXT) | instid1(VALU_DEP_1)
	v_and_b32_e32 v2, 0x7f, v1
	v_cmpx_ne_u32_e32 0x7f, v2
	s_cbranch_execz .LBB189_63
; %bb.60:                               ;   in Loop: Header=BB189_12 Depth=1
	v_dual_lshrrev_b32 v1, 3, v2 :: v_dual_bitop2_b32 v24, 7, v1 bitop3:0x40
	s_mov_b32 s21, exec_lo
	v_cmpx_gt_u32_e32 8, v2
; %bb.61:                               ;   in Loop: Header=BB189_12 Depth=1
	s_delay_alu instid0(VALU_DEP_2) | instskip(NEXT) | instid1(VALU_DEP_1)
	v_clz_i32_u32_e32 v1, v24
	v_min_u32_e32 v1, 32, v1
	s_delay_alu instid0(VALU_DEP_1) | instskip(NEXT) | instid1(VALU_DEP_1)
	v_subrev_nc_u32_e32 v2, 28, v1
	v_lshlrev_b64_e32 v[2:3], v2, v[24:25]
	s_delay_alu instid0(VALU_DEP_1)
	v_dual_sub_nc_u32 v1, 29, v1 :: v_dual_bitop2_b32 v24, 7, v2 bitop3:0x40
; %bb.62:                               ;   in Loop: Header=BB189_12 Depth=1
	s_or_b32 exec_lo, exec_lo, s21
	v_dual_lshlrev_b32 v0, 16, v0 :: v_dual_mov_b32 v68, v25
	s_delay_alu instid0(VALU_DEP_2) | instskip(NEXT) | instid1(VALU_DEP_3)
	v_lshlrev_b32_e32 v2, 20, v24
	v_lshl_add_u32 v1, v1, 23, 0x3c000000
	s_delay_alu instid0(VALU_DEP_3) | instskip(NEXT) | instid1(VALU_DEP_1)
	v_and_b32_e32 v0, 0x80000000, v0
	v_or3_b32 v69, v2, v0, v1
.LBB189_63:                             ;   in Loop: Header=BB189_12 Depth=1
	s_or_b32 exec_lo, exec_lo, s20
.LBB189_64:                             ;   in Loop: Header=BB189_12 Depth=1
	s_delay_alu instid0(SALU_CYCLE_1)
	s_or_b32 exec_lo, exec_lo, s19
.LBB189_65:                             ;   in Loop: Header=BB189_12 Depth=1
	s_delay_alu instid0(SALU_CYCLE_1)
	s_or_b32 exec_lo, exec_lo, s18
	flat_load_u16 v0, v[76:77] offset:12
	v_mov_b64_e32 v[8:9], 0
	v_mov_b64_e32 v[86:87], 0
	s_mov_b32 s18, exec_lo
	s_wait_loadcnt_dscnt 0x0
	v_and_b32_e32 v1, 0xff, v0
	v_and_b32_e32 v0, 0xffff, v0
	s_wait_xcnt 0x0
	s_delay_alu instid0(VALU_DEP_2)
	v_cmpx_ne_u16_e32 0, v1
	s_cbranch_execz .LBB189_73
; %bb.66:                               ;   in Loop: Header=BB189_12 Depth=1
	v_mov_b64_e32 v[86:87], 0x80000000
	v_and_b32_e32 v1, 0xff, v0
	s_mov_b32 s19, exec_lo
	s_delay_alu instid0(VALU_DEP_1)
	v_cmpx_ne_u16_e32 0x80, v1
	s_cbranch_execz .LBB189_72
; %bb.67:                               ;   in Loop: Header=BB189_12 Depth=1
	v_mov_b64_e32 v[86:87], 0x7f800001
	v_and_b32_e32 v2, 0x7f, v0
	s_mov_b32 s20, exec_lo
	s_delay_alu instid0(VALU_DEP_1)
	v_cmpx_ne_u32_e32 0x7f, v2
	s_cbranch_execz .LBB189_71
; %bb.68:                               ;   in Loop: Header=BB189_12 Depth=1
	v_dual_lshrrev_b32 v1, 3, v2 :: v_dual_bitop2_b32 v24, 7, v0 bitop3:0x40
	s_mov_b32 s21, exec_lo
	v_cmpx_gt_u32_e32 8, v2
; %bb.69:                               ;   in Loop: Header=BB189_12 Depth=1
	s_delay_alu instid0(VALU_DEP_2) | instskip(NEXT) | instid1(VALU_DEP_1)
	v_clz_i32_u32_e32 v1, v24
	v_min_u32_e32 v1, 32, v1
	s_delay_alu instid0(VALU_DEP_1) | instskip(NEXT) | instid1(VALU_DEP_1)
	v_subrev_nc_u32_e32 v2, 28, v1
	v_lshlrev_b64_e32 v[2:3], v2, v[24:25]
	s_delay_alu instid0(VALU_DEP_1)
	v_dual_sub_nc_u32 v1, 29, v1 :: v_dual_bitop2_b32 v24, 7, v2 bitop3:0x40
; %bb.70:                               ;   in Loop: Header=BB189_12 Depth=1
	s_or_b32 exec_lo, exec_lo, s21
	v_lshlrev_b32_e32 v2, 24, v0
	s_delay_alu instid0(VALU_DEP_2) | instskip(NEXT) | instid1(VALU_DEP_3)
	v_lshlrev_b32_e32 v3, 20, v24
	v_lshl_add_u32 v1, v1, 23, 0x3c000000
	s_delay_alu instid0(VALU_DEP_3) | instskip(NEXT) | instid1(VALU_DEP_1)
	v_and_b32_e32 v2, 0x80000000, v2
	v_or3_b32 v24, v3, v2, v1
	s_delay_alu instid0(VALU_DEP_1)
	v_mov_b64_e32 v[86:87], v[24:25]
.LBB189_71:                             ;   in Loop: Header=BB189_12 Depth=1
	s_or_b32 exec_lo, exec_lo, s20
.LBB189_72:                             ;   in Loop: Header=BB189_12 Depth=1
	s_delay_alu instid0(SALU_CYCLE_1)
	s_or_b32 exec_lo, exec_lo, s19
.LBB189_73:                             ;   in Loop: Header=BB189_12 Depth=1
	s_delay_alu instid0(SALU_CYCLE_1) | instskip(SKIP_2) | instid1(VALU_DEP_1)
	s_or_b32 exec_lo, exec_lo, s18
	v_lshrrev_b16 v1, 8, v0
	s_mov_b32 s18, exec_lo
	v_cmpx_ne_u16_e32 0, v1
	s_cbranch_execz .LBB189_81
; %bb.74:                               ;   in Loop: Header=BB189_12 Depth=1
	v_mov_b64_e32 v[8:9], 0x8000000000000000
	s_mov_b32 s19, exec_lo
	v_cmpx_ne_u16_e32 0x80, v1
	s_cbranch_execz .LBB189_80
; %bb.75:                               ;   in Loop: Header=BB189_12 Depth=1
	v_and_b32_e32 v1, 0xffff, v1
	v_mov_b64_e32 v[8:9], 0x7f80000100000000
	s_mov_b32 s20, exec_lo
	s_delay_alu instid0(VALU_DEP_2) | instskip(NEXT) | instid1(VALU_DEP_1)
	v_and_b32_e32 v2, 0x7f, v1
	v_cmpx_ne_u32_e32 0x7f, v2
	s_cbranch_execz .LBB189_79
; %bb.76:                               ;   in Loop: Header=BB189_12 Depth=1
	v_dual_lshrrev_b32 v1, 3, v2 :: v_dual_bitop2_b32 v24, 7, v1 bitop3:0x40
	s_mov_b32 s21, exec_lo
	v_cmpx_gt_u32_e32 8, v2
; %bb.77:                               ;   in Loop: Header=BB189_12 Depth=1
	s_delay_alu instid0(VALU_DEP_2) | instskip(NEXT) | instid1(VALU_DEP_1)
	v_clz_i32_u32_e32 v1, v24
	v_min_u32_e32 v1, 32, v1
	s_delay_alu instid0(VALU_DEP_1) | instskip(NEXT) | instid1(VALU_DEP_1)
	v_subrev_nc_u32_e32 v2, 28, v1
	v_lshlrev_b64_e32 v[2:3], v2, v[24:25]
	s_delay_alu instid0(VALU_DEP_1)
	v_dual_sub_nc_u32 v1, 29, v1 :: v_dual_bitop2_b32 v24, 7, v2 bitop3:0x40
; %bb.78:                               ;   in Loop: Header=BB189_12 Depth=1
	s_or_b32 exec_lo, exec_lo, s21
	v_dual_lshlrev_b32 v0, 16, v0 :: v_dual_mov_b32 v8, v25
	s_delay_alu instid0(VALU_DEP_2) | instskip(NEXT) | instid1(VALU_DEP_3)
	v_lshlrev_b32_e32 v2, 20, v24
	v_lshl_add_u32 v1, v1, 23, 0x3c000000
	s_delay_alu instid0(VALU_DEP_3) | instskip(NEXT) | instid1(VALU_DEP_1)
	v_and_b32_e32 v0, 0x80000000, v0
	v_or3_b32 v9, v2, v0, v1
.LBB189_79:                             ;   in Loop: Header=BB189_12 Depth=1
	s_or_b32 exec_lo, exec_lo, s20
.LBB189_80:                             ;   in Loop: Header=BB189_12 Depth=1
	s_delay_alu instid0(SALU_CYCLE_1)
	s_or_b32 exec_lo, exec_lo, s19
.LBB189_81:                             ;   in Loop: Header=BB189_12 Depth=1
	s_delay_alu instid0(SALU_CYCLE_1)
	s_or_b32 exec_lo, exec_lo, s18
	flat_load_u16 v0, v[76:77] offset:256
	v_mov_b64_e32 v[96:97], 0
	v_mov_b64_e32 v[84:85], 0
	s_mov_b32 s18, exec_lo
	s_wait_loadcnt_dscnt 0x0
	v_and_b32_e32 v1, 0xff, v0
	v_and_b32_e32 v0, 0xffff, v0
	s_wait_xcnt 0x0
	s_delay_alu instid0(VALU_DEP_2)
	v_cmpx_ne_u16_e32 0, v1
	s_cbranch_execz .LBB189_89
; %bb.82:                               ;   in Loop: Header=BB189_12 Depth=1
	v_mov_b64_e32 v[84:85], 0x80000000
	v_and_b32_e32 v1, 0xff, v0
	s_mov_b32 s19, exec_lo
	s_delay_alu instid0(VALU_DEP_1)
	v_cmpx_ne_u16_e32 0x80, v1
	s_cbranch_execz .LBB189_88
; %bb.83:                               ;   in Loop: Header=BB189_12 Depth=1
	v_mov_b64_e32 v[84:85], 0x7f800001
	v_and_b32_e32 v2, 0x7f, v0
	s_mov_b32 s20, exec_lo
	s_delay_alu instid0(VALU_DEP_1)
	v_cmpx_ne_u32_e32 0x7f, v2
	s_cbranch_execz .LBB189_87
; %bb.84:                               ;   in Loop: Header=BB189_12 Depth=1
	v_dual_lshrrev_b32 v1, 3, v2 :: v_dual_bitop2_b32 v24, 7, v0 bitop3:0x40
	s_mov_b32 s21, exec_lo
	v_cmpx_gt_u32_e32 8, v2
; %bb.85:                               ;   in Loop: Header=BB189_12 Depth=1
	s_delay_alu instid0(VALU_DEP_2) | instskip(NEXT) | instid1(VALU_DEP_1)
	v_clz_i32_u32_e32 v1, v24
	v_min_u32_e32 v1, 32, v1
	s_delay_alu instid0(VALU_DEP_1) | instskip(NEXT) | instid1(VALU_DEP_1)
	v_subrev_nc_u32_e32 v2, 28, v1
	v_lshlrev_b64_e32 v[2:3], v2, v[24:25]
	s_delay_alu instid0(VALU_DEP_1)
	v_dual_sub_nc_u32 v1, 29, v1 :: v_dual_bitop2_b32 v24, 7, v2 bitop3:0x40
; %bb.86:                               ;   in Loop: Header=BB189_12 Depth=1
	s_or_b32 exec_lo, exec_lo, s21
	v_lshlrev_b32_e32 v2, 24, v0
	s_delay_alu instid0(VALU_DEP_2) | instskip(NEXT) | instid1(VALU_DEP_3)
	v_lshlrev_b32_e32 v3, 20, v24
	v_lshl_add_u32 v1, v1, 23, 0x3c000000
	s_delay_alu instid0(VALU_DEP_3) | instskip(NEXT) | instid1(VALU_DEP_1)
	v_and_b32_e32 v2, 0x80000000, v2
	v_or3_b32 v24, v3, v2, v1
	s_delay_alu instid0(VALU_DEP_1)
	v_mov_b64_e32 v[84:85], v[24:25]
.LBB189_87:                             ;   in Loop: Header=BB189_12 Depth=1
	s_or_b32 exec_lo, exec_lo, s20
.LBB189_88:                             ;   in Loop: Header=BB189_12 Depth=1
	s_delay_alu instid0(SALU_CYCLE_1)
	s_or_b32 exec_lo, exec_lo, s19
.LBB189_89:                             ;   in Loop: Header=BB189_12 Depth=1
	s_delay_alu instid0(SALU_CYCLE_1) | instskip(SKIP_2) | instid1(VALU_DEP_1)
	s_or_b32 exec_lo, exec_lo, s18
	v_lshrrev_b16 v1, 8, v0
	s_mov_b32 s18, exec_lo
	v_cmpx_ne_u16_e32 0, v1
	s_cbranch_execz .LBB189_97
; %bb.90:                               ;   in Loop: Header=BB189_12 Depth=1
	v_mov_b64_e32 v[96:97], 0x8000000000000000
	s_mov_b32 s19, exec_lo
	v_cmpx_ne_u16_e32 0x80, v1
	s_cbranch_execz .LBB189_96
; %bb.91:                               ;   in Loop: Header=BB189_12 Depth=1
	v_and_b32_e32 v1, 0xffff, v1
	v_mov_b64_e32 v[96:97], 0x7f80000100000000
	s_mov_b32 s20, exec_lo
	s_delay_alu instid0(VALU_DEP_2) | instskip(NEXT) | instid1(VALU_DEP_1)
	v_and_b32_e32 v2, 0x7f, v1
	v_cmpx_ne_u32_e32 0x7f, v2
	s_cbranch_execz .LBB189_95
; %bb.92:                               ;   in Loop: Header=BB189_12 Depth=1
	v_dual_lshrrev_b32 v1, 3, v2 :: v_dual_bitop2_b32 v24, 7, v1 bitop3:0x40
	s_mov_b32 s21, exec_lo
	v_cmpx_gt_u32_e32 8, v2
; %bb.93:                               ;   in Loop: Header=BB189_12 Depth=1
	s_delay_alu instid0(VALU_DEP_2) | instskip(NEXT) | instid1(VALU_DEP_1)
	v_clz_i32_u32_e32 v1, v24
	v_min_u32_e32 v1, 32, v1
	s_delay_alu instid0(VALU_DEP_1) | instskip(NEXT) | instid1(VALU_DEP_1)
	v_subrev_nc_u32_e32 v2, 28, v1
	v_lshlrev_b64_e32 v[2:3], v2, v[24:25]
	s_delay_alu instid0(VALU_DEP_1)
	v_dual_sub_nc_u32 v1, 29, v1 :: v_dual_bitop2_b32 v24, 7, v2 bitop3:0x40
; %bb.94:                               ;   in Loop: Header=BB189_12 Depth=1
	s_or_b32 exec_lo, exec_lo, s21
	v_dual_lshlrev_b32 v0, 16, v0 :: v_dual_mov_b32 v96, v25
	s_delay_alu instid0(VALU_DEP_2) | instskip(NEXT) | instid1(VALU_DEP_3)
	v_lshlrev_b32_e32 v2, 20, v24
	v_lshl_add_u32 v1, v1, 23, 0x3c000000
	s_delay_alu instid0(VALU_DEP_3) | instskip(NEXT) | instid1(VALU_DEP_1)
	v_and_b32_e32 v0, 0x80000000, v0
	v_or3_b32 v97, v2, v0, v1
.LBB189_95:                             ;   in Loop: Header=BB189_12 Depth=1
	s_or_b32 exec_lo, exec_lo, s20
.LBB189_96:                             ;   in Loop: Header=BB189_12 Depth=1
	s_delay_alu instid0(SALU_CYCLE_1)
	s_or_b32 exec_lo, exec_lo, s19
.LBB189_97:                             ;   in Loop: Header=BB189_12 Depth=1
	s_delay_alu instid0(SALU_CYCLE_1)
	s_or_b32 exec_lo, exec_lo, s18
	flat_load_u16 v1, v[76:77] offset:260
	v_mov_b64_e32 v[20:21], 0
	v_mov_b64_e32 v[6:7], 0
	s_mov_b32 s18, exec_lo
	s_wait_loadcnt_dscnt 0x0
	v_and_b32_e32 v0, 0xffff, v1
	v_and_b32_e32 v1, 0xff, v1
	s_wait_xcnt 0x0
	s_delay_alu instid0(VALU_DEP_1)
	v_cmpx_ne_u16_e32 0, v1
	s_cbranch_execz .LBB189_105
; %bb.98:                               ;   in Loop: Header=BB189_12 Depth=1
	v_mov_b64_e32 v[6:7], 0x80000000
	v_and_b32_e32 v1, 0xff, v0
	s_mov_b32 s19, exec_lo
	s_delay_alu instid0(VALU_DEP_1)
	v_cmpx_ne_u16_e32 0x80, v1
	s_cbranch_execz .LBB189_104
; %bb.99:                               ;   in Loop: Header=BB189_12 Depth=1
	v_mov_b64_e32 v[6:7], 0x7f800001
	v_and_b32_e32 v2, 0x7f, v0
	s_mov_b32 s20, exec_lo
	s_delay_alu instid0(VALU_DEP_1)
	v_cmpx_ne_u32_e32 0x7f, v2
	s_cbranch_execz .LBB189_103
; %bb.100:                              ;   in Loop: Header=BB189_12 Depth=1
	v_dual_lshrrev_b32 v1, 3, v2 :: v_dual_bitop2_b32 v24, 7, v0 bitop3:0x40
	s_mov_b32 s21, exec_lo
	v_cmpx_gt_u32_e32 8, v2
; %bb.101:                              ;   in Loop: Header=BB189_12 Depth=1
	s_delay_alu instid0(VALU_DEP_2) | instskip(NEXT) | instid1(VALU_DEP_1)
	v_clz_i32_u32_e32 v1, v24
	v_min_u32_e32 v1, 32, v1
	s_delay_alu instid0(VALU_DEP_1) | instskip(NEXT) | instid1(VALU_DEP_1)
	v_subrev_nc_u32_e32 v2, 28, v1
	v_lshlrev_b64_e32 v[2:3], v2, v[24:25]
	s_delay_alu instid0(VALU_DEP_1)
	v_dual_sub_nc_u32 v1, 29, v1 :: v_dual_bitop2_b32 v24, 7, v2 bitop3:0x40
; %bb.102:                              ;   in Loop: Header=BB189_12 Depth=1
	s_or_b32 exec_lo, exec_lo, s21
	v_lshlrev_b32_e32 v2, 24, v0
	s_delay_alu instid0(VALU_DEP_2) | instskip(NEXT) | instid1(VALU_DEP_3)
	v_lshlrev_b32_e32 v3, 20, v24
	v_lshl_add_u32 v1, v1, 23, 0x3c000000
	s_delay_alu instid0(VALU_DEP_3) | instskip(NEXT) | instid1(VALU_DEP_1)
	v_and_b32_e32 v2, 0x80000000, v2
	v_or3_b32 v24, v3, v2, v1
	s_delay_alu instid0(VALU_DEP_1)
	v_mov_b64_e32 v[6:7], v[24:25]
.LBB189_103:                            ;   in Loop: Header=BB189_12 Depth=1
	s_or_b32 exec_lo, exec_lo, s20
.LBB189_104:                            ;   in Loop: Header=BB189_12 Depth=1
	s_delay_alu instid0(SALU_CYCLE_1)
	s_or_b32 exec_lo, exec_lo, s19
.LBB189_105:                            ;   in Loop: Header=BB189_12 Depth=1
	s_delay_alu instid0(SALU_CYCLE_1) | instskip(SKIP_2) | instid1(VALU_DEP_1)
	s_or_b32 exec_lo, exec_lo, s18
	v_lshrrev_b16 v1, 8, v0
	s_mov_b32 s18, exec_lo
	v_cmpx_ne_u16_e32 0, v1
	s_cbranch_execz .LBB189_113
; %bb.106:                              ;   in Loop: Header=BB189_12 Depth=1
	v_mov_b64_e32 v[20:21], 0x8000000000000000
	s_mov_b32 s19, exec_lo
	v_cmpx_ne_u16_e32 0x80, v1
	s_cbranch_execz .LBB189_112
; %bb.107:                              ;   in Loop: Header=BB189_12 Depth=1
	v_and_b32_e32 v1, 0xffff, v1
	v_mov_b64_e32 v[20:21], 0x7f80000100000000
	s_mov_b32 s20, exec_lo
	s_delay_alu instid0(VALU_DEP_2) | instskip(NEXT) | instid1(VALU_DEP_1)
	v_and_b32_e32 v2, 0x7f, v1
	v_cmpx_ne_u32_e32 0x7f, v2
	s_cbranch_execz .LBB189_111
; %bb.108:                              ;   in Loop: Header=BB189_12 Depth=1
	v_dual_lshrrev_b32 v1, 3, v2 :: v_dual_bitop2_b32 v24, 7, v1 bitop3:0x40
	s_mov_b32 s21, exec_lo
	v_cmpx_gt_u32_e32 8, v2
; %bb.109:                              ;   in Loop: Header=BB189_12 Depth=1
	s_delay_alu instid0(VALU_DEP_2) | instskip(NEXT) | instid1(VALU_DEP_1)
	v_clz_i32_u32_e32 v1, v24
	v_min_u32_e32 v1, 32, v1
	s_delay_alu instid0(VALU_DEP_1) | instskip(NEXT) | instid1(VALU_DEP_1)
	v_subrev_nc_u32_e32 v2, 28, v1
	v_lshlrev_b64_e32 v[2:3], v2, v[24:25]
	s_delay_alu instid0(VALU_DEP_1)
	v_dual_sub_nc_u32 v1, 29, v1 :: v_dual_bitop2_b32 v24, 7, v2 bitop3:0x40
; %bb.110:                              ;   in Loop: Header=BB189_12 Depth=1
	s_or_b32 exec_lo, exec_lo, s21
	v_dual_lshlrev_b32 v0, 16, v0 :: v_dual_mov_b32 v20, v25
	s_delay_alu instid0(VALU_DEP_2) | instskip(NEXT) | instid1(VALU_DEP_3)
	v_lshlrev_b32_e32 v2, 20, v24
	v_lshl_add_u32 v1, v1, 23, 0x3c000000
	s_delay_alu instid0(VALU_DEP_3) | instskip(NEXT) | instid1(VALU_DEP_1)
	v_and_b32_e32 v0, 0x80000000, v0
	v_or3_b32 v21, v2, v0, v1
.LBB189_111:                            ;   in Loop: Header=BB189_12 Depth=1
	s_or_b32 exec_lo, exec_lo, s20
.LBB189_112:                            ;   in Loop: Header=BB189_12 Depth=1
	s_delay_alu instid0(SALU_CYCLE_1)
	s_or_b32 exec_lo, exec_lo, s19
.LBB189_113:                            ;   in Loop: Header=BB189_12 Depth=1
	s_delay_alu instid0(SALU_CYCLE_1)
	s_or_b32 exec_lo, exec_lo, s18
	flat_load_u16 v1, v[76:77] offset:264
	v_mov_b64_e32 v[58:59], 0
	v_mov_b64_e32 v[98:99], 0
	s_mov_b32 s18, exec_lo
	s_wait_loadcnt_dscnt 0x0
	v_and_b32_e32 v0, 0xffff, v1
	v_and_b32_e32 v1, 0xff, v1
	s_wait_xcnt 0x0
	s_delay_alu instid0(VALU_DEP_1)
	v_cmpx_ne_u16_e32 0, v1
	s_cbranch_execz .LBB189_121
; %bb.114:                              ;   in Loop: Header=BB189_12 Depth=1
	v_mov_b64_e32 v[98:99], 0x80000000
	v_and_b32_e32 v1, 0xff, v0
	s_mov_b32 s19, exec_lo
	s_delay_alu instid0(VALU_DEP_1)
	v_cmpx_ne_u16_e32 0x80, v1
	s_cbranch_execz .LBB189_120
; %bb.115:                              ;   in Loop: Header=BB189_12 Depth=1
	v_mov_b64_e32 v[98:99], 0x7f800001
	v_and_b32_e32 v2, 0x7f, v0
	s_mov_b32 s20, exec_lo
	s_delay_alu instid0(VALU_DEP_1)
	v_cmpx_ne_u32_e32 0x7f, v2
	s_cbranch_execz .LBB189_119
; %bb.116:                              ;   in Loop: Header=BB189_12 Depth=1
	v_dual_lshrrev_b32 v1, 3, v2 :: v_dual_bitop2_b32 v24, 7, v0 bitop3:0x40
	s_mov_b32 s21, exec_lo
	v_cmpx_gt_u32_e32 8, v2
; %bb.117:                              ;   in Loop: Header=BB189_12 Depth=1
	s_delay_alu instid0(VALU_DEP_2) | instskip(NEXT) | instid1(VALU_DEP_1)
	v_clz_i32_u32_e32 v1, v24
	v_min_u32_e32 v1, 32, v1
	s_delay_alu instid0(VALU_DEP_1) | instskip(NEXT) | instid1(VALU_DEP_1)
	v_subrev_nc_u32_e32 v2, 28, v1
	v_lshlrev_b64_e32 v[2:3], v2, v[24:25]
	s_delay_alu instid0(VALU_DEP_1)
	v_dual_sub_nc_u32 v1, 29, v1 :: v_dual_bitop2_b32 v24, 7, v2 bitop3:0x40
; %bb.118:                              ;   in Loop: Header=BB189_12 Depth=1
	s_or_b32 exec_lo, exec_lo, s21
	v_lshlrev_b32_e32 v2, 24, v0
	s_delay_alu instid0(VALU_DEP_2) | instskip(NEXT) | instid1(VALU_DEP_3)
	v_lshlrev_b32_e32 v3, 20, v24
	v_lshl_add_u32 v1, v1, 23, 0x3c000000
	s_delay_alu instid0(VALU_DEP_3) | instskip(NEXT) | instid1(VALU_DEP_1)
	v_and_b32_e32 v2, 0x80000000, v2
	v_or3_b32 v24, v3, v2, v1
	s_delay_alu instid0(VALU_DEP_1)
	v_mov_b64_e32 v[98:99], v[24:25]
.LBB189_119:                            ;   in Loop: Header=BB189_12 Depth=1
	s_or_b32 exec_lo, exec_lo, s20
.LBB189_120:                            ;   in Loop: Header=BB189_12 Depth=1
	s_delay_alu instid0(SALU_CYCLE_1)
	s_or_b32 exec_lo, exec_lo, s19
.LBB189_121:                            ;   in Loop: Header=BB189_12 Depth=1
	s_delay_alu instid0(SALU_CYCLE_1) | instskip(SKIP_2) | instid1(VALU_DEP_1)
	s_or_b32 exec_lo, exec_lo, s18
	v_lshrrev_b16 v1, 8, v0
	s_mov_b32 s18, exec_lo
	v_cmpx_ne_u16_e32 0, v1
	s_cbranch_execz .LBB189_129
; %bb.122:                              ;   in Loop: Header=BB189_12 Depth=1
	v_mov_b64_e32 v[58:59], 0x8000000000000000
	s_mov_b32 s19, exec_lo
	v_cmpx_ne_u16_e32 0x80, v1
	s_cbranch_execz .LBB189_128
; %bb.123:                              ;   in Loop: Header=BB189_12 Depth=1
	v_and_b32_e32 v1, 0xffff, v1
	v_mov_b64_e32 v[58:59], 0x7f80000100000000
	s_mov_b32 s20, exec_lo
	s_delay_alu instid0(VALU_DEP_2) | instskip(NEXT) | instid1(VALU_DEP_1)
	v_and_b32_e32 v2, 0x7f, v1
	v_cmpx_ne_u32_e32 0x7f, v2
	s_cbranch_execz .LBB189_127
; %bb.124:                              ;   in Loop: Header=BB189_12 Depth=1
	v_dual_lshrrev_b32 v1, 3, v2 :: v_dual_bitop2_b32 v24, 7, v1 bitop3:0x40
	s_mov_b32 s21, exec_lo
	v_cmpx_gt_u32_e32 8, v2
; %bb.125:                              ;   in Loop: Header=BB189_12 Depth=1
	s_delay_alu instid0(VALU_DEP_2) | instskip(NEXT) | instid1(VALU_DEP_1)
	v_clz_i32_u32_e32 v1, v24
	v_min_u32_e32 v1, 32, v1
	s_delay_alu instid0(VALU_DEP_1) | instskip(NEXT) | instid1(VALU_DEP_1)
	v_subrev_nc_u32_e32 v2, 28, v1
	v_lshlrev_b64_e32 v[2:3], v2, v[24:25]
	s_delay_alu instid0(VALU_DEP_1)
	v_dual_sub_nc_u32 v1, 29, v1 :: v_dual_bitop2_b32 v24, 7, v2 bitop3:0x40
; %bb.126:                              ;   in Loop: Header=BB189_12 Depth=1
	s_or_b32 exec_lo, exec_lo, s21
	v_dual_lshlrev_b32 v0, 16, v0 :: v_dual_mov_b32 v58, v25
	s_delay_alu instid0(VALU_DEP_2) | instskip(NEXT) | instid1(VALU_DEP_3)
	v_lshlrev_b32_e32 v2, 20, v24
	v_lshl_add_u32 v1, v1, 23, 0x3c000000
	s_delay_alu instid0(VALU_DEP_3) | instskip(NEXT) | instid1(VALU_DEP_1)
	v_and_b32_e32 v0, 0x80000000, v0
	v_or3_b32 v59, v2, v0, v1
.LBB189_127:                            ;   in Loop: Header=BB189_12 Depth=1
	s_or_b32 exec_lo, exec_lo, s20
.LBB189_128:                            ;   in Loop: Header=BB189_12 Depth=1
	s_delay_alu instid0(SALU_CYCLE_1)
	s_or_b32 exec_lo, exec_lo, s19
.LBB189_129:                            ;   in Loop: Header=BB189_12 Depth=1
	s_delay_alu instid0(SALU_CYCLE_1)
	s_or_b32 exec_lo, exec_lo, s18
	flat_load_u16 v1, v[76:77] offset:268
	v_mov_b64_e32 v[74:75], 0
	v_mov_b64_e32 v[22:23], 0
	s_mov_b32 s18, exec_lo
	s_wait_loadcnt_dscnt 0x0
	v_and_b32_e32 v0, 0xffff, v1
	v_and_b32_e32 v1, 0xff, v1
	s_wait_xcnt 0x0
	s_delay_alu instid0(VALU_DEP_1)
	v_cmpx_ne_u16_e32 0, v1
	s_cbranch_execz .LBB189_137
; %bb.130:                              ;   in Loop: Header=BB189_12 Depth=1
	v_mov_b64_e32 v[22:23], 0x80000000
	v_and_b32_e32 v1, 0xff, v0
	s_mov_b32 s19, exec_lo
	s_delay_alu instid0(VALU_DEP_1)
	v_cmpx_ne_u16_e32 0x80, v1
	s_cbranch_execz .LBB189_136
; %bb.131:                              ;   in Loop: Header=BB189_12 Depth=1
	v_mov_b64_e32 v[22:23], 0x7f800001
	v_and_b32_e32 v2, 0x7f, v0
	s_mov_b32 s20, exec_lo
	s_delay_alu instid0(VALU_DEP_1)
	v_cmpx_ne_u32_e32 0x7f, v2
	s_cbranch_execz .LBB189_135
; %bb.132:                              ;   in Loop: Header=BB189_12 Depth=1
	v_dual_lshrrev_b32 v1, 3, v2 :: v_dual_bitop2_b32 v24, 7, v0 bitop3:0x40
	s_mov_b32 s21, exec_lo
	v_cmpx_gt_u32_e32 8, v2
; %bb.133:                              ;   in Loop: Header=BB189_12 Depth=1
	s_delay_alu instid0(VALU_DEP_2) | instskip(NEXT) | instid1(VALU_DEP_1)
	v_clz_i32_u32_e32 v1, v24
	v_min_u32_e32 v1, 32, v1
	s_delay_alu instid0(VALU_DEP_1) | instskip(NEXT) | instid1(VALU_DEP_1)
	v_subrev_nc_u32_e32 v2, 28, v1
	v_lshlrev_b64_e32 v[2:3], v2, v[24:25]
	s_delay_alu instid0(VALU_DEP_1)
	v_dual_sub_nc_u32 v1, 29, v1 :: v_dual_bitop2_b32 v24, 7, v2 bitop3:0x40
; %bb.134:                              ;   in Loop: Header=BB189_12 Depth=1
	s_or_b32 exec_lo, exec_lo, s21
	v_lshlrev_b32_e32 v2, 24, v0
	s_delay_alu instid0(VALU_DEP_2) | instskip(NEXT) | instid1(VALU_DEP_3)
	v_lshlrev_b32_e32 v3, 20, v24
	v_lshl_add_u32 v1, v1, 23, 0x3c000000
	s_delay_alu instid0(VALU_DEP_3) | instskip(NEXT) | instid1(VALU_DEP_1)
	v_and_b32_e32 v2, 0x80000000, v2
	v_or3_b32 v24, v3, v2, v1
	s_delay_alu instid0(VALU_DEP_1)
	v_mov_b64_e32 v[22:23], v[24:25]
.LBB189_135:                            ;   in Loop: Header=BB189_12 Depth=1
	s_or_b32 exec_lo, exec_lo, s20
.LBB189_136:                            ;   in Loop: Header=BB189_12 Depth=1
	s_delay_alu instid0(SALU_CYCLE_1)
	s_or_b32 exec_lo, exec_lo, s19
.LBB189_137:                            ;   in Loop: Header=BB189_12 Depth=1
	s_delay_alu instid0(SALU_CYCLE_1) | instskip(SKIP_2) | instid1(VALU_DEP_1)
	s_or_b32 exec_lo, exec_lo, s18
	v_lshrrev_b16 v1, 8, v0
	s_mov_b32 s18, exec_lo
	v_cmpx_ne_u16_e32 0, v1
	s_cbranch_execz .LBB189_145
; %bb.138:                              ;   in Loop: Header=BB189_12 Depth=1
	v_mov_b64_e32 v[74:75], 0x8000000000000000
	s_mov_b32 s19, exec_lo
	v_cmpx_ne_u16_e32 0x80, v1
	s_cbranch_execz .LBB189_144
; %bb.139:                              ;   in Loop: Header=BB189_12 Depth=1
	v_and_b32_e32 v1, 0xffff, v1
	v_mov_b64_e32 v[74:75], 0x7f80000100000000
	s_mov_b32 s20, exec_lo
	s_delay_alu instid0(VALU_DEP_2) | instskip(NEXT) | instid1(VALU_DEP_1)
	v_and_b32_e32 v2, 0x7f, v1
	v_cmpx_ne_u32_e32 0x7f, v2
	s_cbranch_execz .LBB189_143
; %bb.140:                              ;   in Loop: Header=BB189_12 Depth=1
	v_dual_lshrrev_b32 v1, 3, v2 :: v_dual_bitop2_b32 v24, 7, v1 bitop3:0x40
	s_mov_b32 s21, exec_lo
	v_cmpx_gt_u32_e32 8, v2
; %bb.141:                              ;   in Loop: Header=BB189_12 Depth=1
	s_delay_alu instid0(VALU_DEP_2) | instskip(NEXT) | instid1(VALU_DEP_1)
	v_clz_i32_u32_e32 v1, v24
	v_min_u32_e32 v1, 32, v1
	s_delay_alu instid0(VALU_DEP_1) | instskip(NEXT) | instid1(VALU_DEP_1)
	v_subrev_nc_u32_e32 v2, 28, v1
	v_lshlrev_b64_e32 v[2:3], v2, v[24:25]
	s_delay_alu instid0(VALU_DEP_1)
	v_dual_sub_nc_u32 v1, 29, v1 :: v_dual_bitop2_b32 v24, 7, v2 bitop3:0x40
; %bb.142:                              ;   in Loop: Header=BB189_12 Depth=1
	s_or_b32 exec_lo, exec_lo, s21
	v_dual_lshlrev_b32 v0, 16, v0 :: v_dual_mov_b32 v74, v25
	s_delay_alu instid0(VALU_DEP_2) | instskip(NEXT) | instid1(VALU_DEP_3)
	v_lshlrev_b32_e32 v2, 20, v24
	v_lshl_add_u32 v1, v1, 23, 0x3c000000
	s_delay_alu instid0(VALU_DEP_3) | instskip(NEXT) | instid1(VALU_DEP_1)
	v_and_b32_e32 v0, 0x80000000, v0
	v_or3_b32 v75, v2, v0, v1
.LBB189_143:                            ;   in Loop: Header=BB189_12 Depth=1
	s_or_b32 exec_lo, exec_lo, s20
.LBB189_144:                            ;   in Loop: Header=BB189_12 Depth=1
	s_delay_alu instid0(SALU_CYCLE_1)
	s_or_b32 exec_lo, exec_lo, s19
.LBB189_145:                            ;   in Loop: Header=BB189_12 Depth=1
	s_delay_alu instid0(SALU_CYCLE_1)
	s_or_b32 exec_lo, exec_lo, s18
	flat_load_u16 v1, v[76:77] offset:512
	v_mov_b64_e32 v[56:57], 0
	v_mov_b64_e32 v[18:19], 0
	s_mov_b32 s18, exec_lo
	s_wait_loadcnt_dscnt 0x0
	v_and_b32_e32 v0, 0xffff, v1
	v_and_b32_e32 v1, 0xff, v1
	s_wait_xcnt 0x0
	s_delay_alu instid0(VALU_DEP_1)
	v_cmpx_ne_u16_e32 0, v1
	s_cbranch_execz .LBB189_153
; %bb.146:                              ;   in Loop: Header=BB189_12 Depth=1
	v_mov_b64_e32 v[18:19], 0x80000000
	v_and_b32_e32 v1, 0xff, v0
	s_mov_b32 s19, exec_lo
	s_delay_alu instid0(VALU_DEP_1)
	v_cmpx_ne_u16_e32 0x80, v1
	s_cbranch_execz .LBB189_152
; %bb.147:                              ;   in Loop: Header=BB189_12 Depth=1
	v_mov_b64_e32 v[18:19], 0x7f800001
	v_and_b32_e32 v2, 0x7f, v0
	s_mov_b32 s20, exec_lo
	s_delay_alu instid0(VALU_DEP_1)
	v_cmpx_ne_u32_e32 0x7f, v2
	s_cbranch_execz .LBB189_151
; %bb.148:                              ;   in Loop: Header=BB189_12 Depth=1
	v_dual_lshrrev_b32 v1, 3, v2 :: v_dual_bitop2_b32 v24, 7, v0 bitop3:0x40
	s_mov_b32 s21, exec_lo
	v_cmpx_gt_u32_e32 8, v2
; %bb.149:                              ;   in Loop: Header=BB189_12 Depth=1
	s_delay_alu instid0(VALU_DEP_2) | instskip(NEXT) | instid1(VALU_DEP_1)
	v_clz_i32_u32_e32 v1, v24
	v_min_u32_e32 v1, 32, v1
	s_delay_alu instid0(VALU_DEP_1) | instskip(NEXT) | instid1(VALU_DEP_1)
	v_subrev_nc_u32_e32 v2, 28, v1
	v_lshlrev_b64_e32 v[2:3], v2, v[24:25]
	s_delay_alu instid0(VALU_DEP_1)
	v_dual_sub_nc_u32 v1, 29, v1 :: v_dual_bitop2_b32 v24, 7, v2 bitop3:0x40
; %bb.150:                              ;   in Loop: Header=BB189_12 Depth=1
	s_or_b32 exec_lo, exec_lo, s21
	v_lshlrev_b32_e32 v2, 24, v0
	s_delay_alu instid0(VALU_DEP_2) | instskip(NEXT) | instid1(VALU_DEP_3)
	v_lshlrev_b32_e32 v3, 20, v24
	v_lshl_add_u32 v1, v1, 23, 0x3c000000
	s_delay_alu instid0(VALU_DEP_3) | instskip(NEXT) | instid1(VALU_DEP_1)
	v_and_b32_e32 v2, 0x80000000, v2
	v_or3_b32 v24, v3, v2, v1
	s_delay_alu instid0(VALU_DEP_1)
	v_mov_b64_e32 v[18:19], v[24:25]
.LBB189_151:                            ;   in Loop: Header=BB189_12 Depth=1
	s_or_b32 exec_lo, exec_lo, s20
.LBB189_152:                            ;   in Loop: Header=BB189_12 Depth=1
	s_delay_alu instid0(SALU_CYCLE_1)
	s_or_b32 exec_lo, exec_lo, s19
.LBB189_153:                            ;   in Loop: Header=BB189_12 Depth=1
	s_delay_alu instid0(SALU_CYCLE_1) | instskip(SKIP_2) | instid1(VALU_DEP_1)
	s_or_b32 exec_lo, exec_lo, s18
	v_lshrrev_b16 v1, 8, v0
	s_mov_b32 s18, exec_lo
	v_cmpx_ne_u16_e32 0, v1
	s_cbranch_execz .LBB189_161
; %bb.154:                              ;   in Loop: Header=BB189_12 Depth=1
	v_mov_b64_e32 v[56:57], 0x8000000000000000
	s_mov_b32 s19, exec_lo
	v_cmpx_ne_u16_e32 0x80, v1
	s_cbranch_execz .LBB189_160
; %bb.155:                              ;   in Loop: Header=BB189_12 Depth=1
	v_and_b32_e32 v1, 0xffff, v1
	v_mov_b64_e32 v[56:57], 0x7f80000100000000
	s_mov_b32 s20, exec_lo
	s_delay_alu instid0(VALU_DEP_2) | instskip(NEXT) | instid1(VALU_DEP_1)
	v_and_b32_e32 v2, 0x7f, v1
	v_cmpx_ne_u32_e32 0x7f, v2
	s_cbranch_execz .LBB189_159
; %bb.156:                              ;   in Loop: Header=BB189_12 Depth=1
	v_dual_lshrrev_b32 v1, 3, v2 :: v_dual_bitop2_b32 v24, 7, v1 bitop3:0x40
	s_mov_b32 s21, exec_lo
	v_cmpx_gt_u32_e32 8, v2
; %bb.157:                              ;   in Loop: Header=BB189_12 Depth=1
	s_delay_alu instid0(VALU_DEP_2) | instskip(NEXT) | instid1(VALU_DEP_1)
	v_clz_i32_u32_e32 v1, v24
	v_min_u32_e32 v1, 32, v1
	s_delay_alu instid0(VALU_DEP_1) | instskip(NEXT) | instid1(VALU_DEP_1)
	v_subrev_nc_u32_e32 v2, 28, v1
	v_lshlrev_b64_e32 v[2:3], v2, v[24:25]
	s_delay_alu instid0(VALU_DEP_1)
	v_dual_sub_nc_u32 v1, 29, v1 :: v_dual_bitop2_b32 v24, 7, v2 bitop3:0x40
; %bb.158:                              ;   in Loop: Header=BB189_12 Depth=1
	s_or_b32 exec_lo, exec_lo, s21
	v_dual_lshlrev_b32 v0, 16, v0 :: v_dual_mov_b32 v56, v25
	s_delay_alu instid0(VALU_DEP_2) | instskip(NEXT) | instid1(VALU_DEP_3)
	v_lshlrev_b32_e32 v2, 20, v24
	v_lshl_add_u32 v1, v1, 23, 0x3c000000
	s_delay_alu instid0(VALU_DEP_3) | instskip(NEXT) | instid1(VALU_DEP_1)
	v_and_b32_e32 v0, 0x80000000, v0
	v_or3_b32 v57, v2, v0, v1
.LBB189_159:                            ;   in Loop: Header=BB189_12 Depth=1
	s_or_b32 exec_lo, exec_lo, s20
.LBB189_160:                            ;   in Loop: Header=BB189_12 Depth=1
	s_delay_alu instid0(SALU_CYCLE_1)
	s_or_b32 exec_lo, exec_lo, s19
.LBB189_161:                            ;   in Loop: Header=BB189_12 Depth=1
	s_delay_alu instid0(SALU_CYCLE_1)
	s_or_b32 exec_lo, exec_lo, s18
	flat_load_u16 v1, v[76:77] offset:516
	v_mov_b64_e32 v[60:61], 0
	v_mov_b64_e32 v[40:41], 0
	s_mov_b32 s18, exec_lo
	s_wait_loadcnt_dscnt 0x0
	v_and_b32_e32 v0, 0xffff, v1
	v_and_b32_e32 v1, 0xff, v1
	s_wait_xcnt 0x0
	s_delay_alu instid0(VALU_DEP_1)
	v_cmpx_ne_u16_e32 0, v1
	s_cbranch_execz .LBB189_169
; %bb.162:                              ;   in Loop: Header=BB189_12 Depth=1
	v_mov_b64_e32 v[40:41], 0x80000000
	v_and_b32_e32 v1, 0xff, v0
	s_mov_b32 s19, exec_lo
	s_delay_alu instid0(VALU_DEP_1)
	v_cmpx_ne_u16_e32 0x80, v1
	s_cbranch_execz .LBB189_168
; %bb.163:                              ;   in Loop: Header=BB189_12 Depth=1
	v_mov_b64_e32 v[40:41], 0x7f800001
	v_and_b32_e32 v2, 0x7f, v0
	s_mov_b32 s20, exec_lo
	s_delay_alu instid0(VALU_DEP_1)
	v_cmpx_ne_u32_e32 0x7f, v2
	s_cbranch_execz .LBB189_167
; %bb.164:                              ;   in Loop: Header=BB189_12 Depth=1
	v_dual_lshrrev_b32 v1, 3, v2 :: v_dual_bitop2_b32 v24, 7, v0 bitop3:0x40
	s_mov_b32 s21, exec_lo
	v_cmpx_gt_u32_e32 8, v2
; %bb.165:                              ;   in Loop: Header=BB189_12 Depth=1
	s_delay_alu instid0(VALU_DEP_2) | instskip(NEXT) | instid1(VALU_DEP_1)
	v_clz_i32_u32_e32 v1, v24
	v_min_u32_e32 v1, 32, v1
	s_delay_alu instid0(VALU_DEP_1) | instskip(NEXT) | instid1(VALU_DEP_1)
	v_subrev_nc_u32_e32 v2, 28, v1
	v_lshlrev_b64_e32 v[2:3], v2, v[24:25]
	s_delay_alu instid0(VALU_DEP_1)
	v_dual_sub_nc_u32 v1, 29, v1 :: v_dual_bitop2_b32 v24, 7, v2 bitop3:0x40
; %bb.166:                              ;   in Loop: Header=BB189_12 Depth=1
	s_or_b32 exec_lo, exec_lo, s21
	v_lshlrev_b32_e32 v2, 24, v0
	s_delay_alu instid0(VALU_DEP_2) | instskip(NEXT) | instid1(VALU_DEP_3)
	v_lshlrev_b32_e32 v3, 20, v24
	v_lshl_add_u32 v1, v1, 23, 0x3c000000
	s_delay_alu instid0(VALU_DEP_3) | instskip(NEXT) | instid1(VALU_DEP_1)
	v_and_b32_e32 v2, 0x80000000, v2
	v_or3_b32 v24, v3, v2, v1
	s_delay_alu instid0(VALU_DEP_1)
	v_mov_b64_e32 v[40:41], v[24:25]
.LBB189_167:                            ;   in Loop: Header=BB189_12 Depth=1
	s_or_b32 exec_lo, exec_lo, s20
.LBB189_168:                            ;   in Loop: Header=BB189_12 Depth=1
	s_delay_alu instid0(SALU_CYCLE_1)
	s_or_b32 exec_lo, exec_lo, s19
.LBB189_169:                            ;   in Loop: Header=BB189_12 Depth=1
	s_delay_alu instid0(SALU_CYCLE_1) | instskip(SKIP_2) | instid1(VALU_DEP_1)
	s_or_b32 exec_lo, exec_lo, s18
	v_lshrrev_b16 v1, 8, v0
	s_mov_b32 s18, exec_lo
	v_cmpx_ne_u16_e32 0, v1
	s_cbranch_execz .LBB189_177
; %bb.170:                              ;   in Loop: Header=BB189_12 Depth=1
	v_mov_b64_e32 v[60:61], 0x8000000000000000
	s_mov_b32 s19, exec_lo
	v_cmpx_ne_u16_e32 0x80, v1
	s_cbranch_execz .LBB189_176
; %bb.171:                              ;   in Loop: Header=BB189_12 Depth=1
	v_and_b32_e32 v1, 0xffff, v1
	v_mov_b64_e32 v[60:61], 0x7f80000100000000
	s_mov_b32 s20, exec_lo
	s_delay_alu instid0(VALU_DEP_2) | instskip(NEXT) | instid1(VALU_DEP_1)
	v_and_b32_e32 v2, 0x7f, v1
	v_cmpx_ne_u32_e32 0x7f, v2
	s_cbranch_execz .LBB189_175
; %bb.172:                              ;   in Loop: Header=BB189_12 Depth=1
	v_dual_lshrrev_b32 v1, 3, v2 :: v_dual_bitop2_b32 v24, 7, v1 bitop3:0x40
	s_mov_b32 s21, exec_lo
	v_cmpx_gt_u32_e32 8, v2
; %bb.173:                              ;   in Loop: Header=BB189_12 Depth=1
	s_delay_alu instid0(VALU_DEP_2) | instskip(NEXT) | instid1(VALU_DEP_1)
	v_clz_i32_u32_e32 v1, v24
	v_min_u32_e32 v1, 32, v1
	s_delay_alu instid0(VALU_DEP_1) | instskip(NEXT) | instid1(VALU_DEP_1)
	v_subrev_nc_u32_e32 v2, 28, v1
	v_lshlrev_b64_e32 v[2:3], v2, v[24:25]
	s_delay_alu instid0(VALU_DEP_1)
	v_dual_sub_nc_u32 v1, 29, v1 :: v_dual_bitop2_b32 v24, 7, v2 bitop3:0x40
; %bb.174:                              ;   in Loop: Header=BB189_12 Depth=1
	s_or_b32 exec_lo, exec_lo, s21
	v_dual_lshlrev_b32 v0, 16, v0 :: v_dual_mov_b32 v60, v25
	s_delay_alu instid0(VALU_DEP_2) | instskip(NEXT) | instid1(VALU_DEP_3)
	v_lshlrev_b32_e32 v2, 20, v24
	v_lshl_add_u32 v1, v1, 23, 0x3c000000
	s_delay_alu instid0(VALU_DEP_3) | instskip(NEXT) | instid1(VALU_DEP_1)
	v_and_b32_e32 v0, 0x80000000, v0
	v_or3_b32 v61, v2, v0, v1
.LBB189_175:                            ;   in Loop: Header=BB189_12 Depth=1
	s_or_b32 exec_lo, exec_lo, s20
.LBB189_176:                            ;   in Loop: Header=BB189_12 Depth=1
	s_delay_alu instid0(SALU_CYCLE_1)
	s_or_b32 exec_lo, exec_lo, s19
.LBB189_177:                            ;   in Loop: Header=BB189_12 Depth=1
	s_delay_alu instid0(SALU_CYCLE_1)
	s_or_b32 exec_lo, exec_lo, s18
	flat_load_u16 v1, v[76:77] offset:520
	v_mov_b64_e32 v[72:73], 0
	v_mov_b64_e32 v[46:47], 0
	s_mov_b32 s18, exec_lo
	s_wait_loadcnt_dscnt 0x0
	v_and_b32_e32 v0, 0xffff, v1
	v_and_b32_e32 v1, 0xff, v1
	s_wait_xcnt 0x0
	s_delay_alu instid0(VALU_DEP_1)
	v_cmpx_ne_u16_e32 0, v1
	s_cbranch_execz .LBB189_185
; %bb.178:                              ;   in Loop: Header=BB189_12 Depth=1
	v_mov_b64_e32 v[46:47], 0x80000000
	v_and_b32_e32 v1, 0xff, v0
	s_mov_b32 s19, exec_lo
	s_delay_alu instid0(VALU_DEP_1)
	v_cmpx_ne_u16_e32 0x80, v1
	s_cbranch_execz .LBB189_184
; %bb.179:                              ;   in Loop: Header=BB189_12 Depth=1
	v_mov_b64_e32 v[46:47], 0x7f800001
	v_and_b32_e32 v2, 0x7f, v0
	s_mov_b32 s20, exec_lo
	s_delay_alu instid0(VALU_DEP_1)
	v_cmpx_ne_u32_e32 0x7f, v2
	s_cbranch_execz .LBB189_183
; %bb.180:                              ;   in Loop: Header=BB189_12 Depth=1
	v_dual_lshrrev_b32 v1, 3, v2 :: v_dual_bitop2_b32 v24, 7, v0 bitop3:0x40
	s_mov_b32 s21, exec_lo
	v_cmpx_gt_u32_e32 8, v2
; %bb.181:                              ;   in Loop: Header=BB189_12 Depth=1
	s_delay_alu instid0(VALU_DEP_2) | instskip(NEXT) | instid1(VALU_DEP_1)
	v_clz_i32_u32_e32 v1, v24
	v_min_u32_e32 v1, 32, v1
	s_delay_alu instid0(VALU_DEP_1) | instskip(NEXT) | instid1(VALU_DEP_1)
	v_subrev_nc_u32_e32 v2, 28, v1
	v_lshlrev_b64_e32 v[2:3], v2, v[24:25]
	s_delay_alu instid0(VALU_DEP_1)
	v_dual_sub_nc_u32 v1, 29, v1 :: v_dual_bitop2_b32 v24, 7, v2 bitop3:0x40
; %bb.182:                              ;   in Loop: Header=BB189_12 Depth=1
	s_or_b32 exec_lo, exec_lo, s21
	v_lshlrev_b32_e32 v2, 24, v0
	s_delay_alu instid0(VALU_DEP_2) | instskip(NEXT) | instid1(VALU_DEP_3)
	v_lshlrev_b32_e32 v3, 20, v24
	v_lshl_add_u32 v1, v1, 23, 0x3c000000
	s_delay_alu instid0(VALU_DEP_3) | instskip(NEXT) | instid1(VALU_DEP_1)
	v_and_b32_e32 v2, 0x80000000, v2
	v_or3_b32 v24, v3, v2, v1
	s_delay_alu instid0(VALU_DEP_1)
	v_mov_b64_e32 v[46:47], v[24:25]
.LBB189_183:                            ;   in Loop: Header=BB189_12 Depth=1
	s_or_b32 exec_lo, exec_lo, s20
.LBB189_184:                            ;   in Loop: Header=BB189_12 Depth=1
	s_delay_alu instid0(SALU_CYCLE_1)
	s_or_b32 exec_lo, exec_lo, s19
.LBB189_185:                            ;   in Loop: Header=BB189_12 Depth=1
	s_delay_alu instid0(SALU_CYCLE_1) | instskip(SKIP_2) | instid1(VALU_DEP_1)
	s_or_b32 exec_lo, exec_lo, s18
	v_lshrrev_b16 v1, 8, v0
	s_mov_b32 s18, exec_lo
	v_cmpx_ne_u16_e32 0, v1
	s_cbranch_execz .LBB189_193
; %bb.186:                              ;   in Loop: Header=BB189_12 Depth=1
	v_mov_b64_e32 v[72:73], 0x8000000000000000
	s_mov_b32 s19, exec_lo
	v_cmpx_ne_u16_e32 0x80, v1
	s_cbranch_execz .LBB189_192
; %bb.187:                              ;   in Loop: Header=BB189_12 Depth=1
	v_and_b32_e32 v1, 0xffff, v1
	v_mov_b64_e32 v[72:73], 0x7f80000100000000
	s_mov_b32 s20, exec_lo
	s_delay_alu instid0(VALU_DEP_2) | instskip(NEXT) | instid1(VALU_DEP_1)
	v_and_b32_e32 v2, 0x7f, v1
	v_cmpx_ne_u32_e32 0x7f, v2
	s_cbranch_execz .LBB189_191
; %bb.188:                              ;   in Loop: Header=BB189_12 Depth=1
	v_dual_lshrrev_b32 v1, 3, v2 :: v_dual_bitop2_b32 v24, 7, v1 bitop3:0x40
	s_mov_b32 s21, exec_lo
	v_cmpx_gt_u32_e32 8, v2
; %bb.189:                              ;   in Loop: Header=BB189_12 Depth=1
	s_delay_alu instid0(VALU_DEP_2) | instskip(NEXT) | instid1(VALU_DEP_1)
	v_clz_i32_u32_e32 v1, v24
	v_min_u32_e32 v1, 32, v1
	s_delay_alu instid0(VALU_DEP_1) | instskip(NEXT) | instid1(VALU_DEP_1)
	v_subrev_nc_u32_e32 v2, 28, v1
	v_lshlrev_b64_e32 v[2:3], v2, v[24:25]
	s_delay_alu instid0(VALU_DEP_1)
	v_dual_sub_nc_u32 v1, 29, v1 :: v_dual_bitop2_b32 v24, 7, v2 bitop3:0x40
; %bb.190:                              ;   in Loop: Header=BB189_12 Depth=1
	s_or_b32 exec_lo, exec_lo, s21
	v_dual_lshlrev_b32 v0, 16, v0 :: v_dual_mov_b32 v72, v25
	s_delay_alu instid0(VALU_DEP_2) | instskip(NEXT) | instid1(VALU_DEP_3)
	v_lshlrev_b32_e32 v2, 20, v24
	v_lshl_add_u32 v1, v1, 23, 0x3c000000
	s_delay_alu instid0(VALU_DEP_3) | instskip(NEXT) | instid1(VALU_DEP_1)
	v_and_b32_e32 v0, 0x80000000, v0
	v_or3_b32 v73, v2, v0, v1
.LBB189_191:                            ;   in Loop: Header=BB189_12 Depth=1
	s_or_b32 exec_lo, exec_lo, s20
.LBB189_192:                            ;   in Loop: Header=BB189_12 Depth=1
	s_delay_alu instid0(SALU_CYCLE_1)
	s_or_b32 exec_lo, exec_lo, s19
.LBB189_193:                            ;   in Loop: Header=BB189_12 Depth=1
	s_delay_alu instid0(SALU_CYCLE_1)
	s_or_b32 exec_lo, exec_lo, s18
	flat_load_u16 v1, v[76:77] offset:524
	v_mov_b64_e32 v[78:79], 0
	v_mov_b64_e32 v[62:63], 0
	s_mov_b32 s18, exec_lo
	s_wait_loadcnt_dscnt 0x0
	v_and_b32_e32 v0, 0xffff, v1
	v_and_b32_e32 v1, 0xff, v1
	s_wait_xcnt 0x0
	s_delay_alu instid0(VALU_DEP_1)
	v_cmpx_ne_u16_e32 0, v1
	s_cbranch_execz .LBB189_201
; %bb.194:                              ;   in Loop: Header=BB189_12 Depth=1
	v_mov_b64_e32 v[62:63], 0x80000000
	v_and_b32_e32 v1, 0xff, v0
	s_mov_b32 s19, exec_lo
	s_delay_alu instid0(VALU_DEP_1)
	v_cmpx_ne_u16_e32 0x80, v1
	s_cbranch_execz .LBB189_200
; %bb.195:                              ;   in Loop: Header=BB189_12 Depth=1
	v_mov_b64_e32 v[62:63], 0x7f800001
	v_and_b32_e32 v2, 0x7f, v0
	s_mov_b32 s20, exec_lo
	s_delay_alu instid0(VALU_DEP_1)
	v_cmpx_ne_u32_e32 0x7f, v2
	s_cbranch_execz .LBB189_199
; %bb.196:                              ;   in Loop: Header=BB189_12 Depth=1
	v_dual_lshrrev_b32 v1, 3, v2 :: v_dual_bitop2_b32 v24, 7, v0 bitop3:0x40
	s_mov_b32 s21, exec_lo
	v_cmpx_gt_u32_e32 8, v2
; %bb.197:                              ;   in Loop: Header=BB189_12 Depth=1
	s_delay_alu instid0(VALU_DEP_2) | instskip(NEXT) | instid1(VALU_DEP_1)
	v_clz_i32_u32_e32 v1, v24
	v_min_u32_e32 v1, 32, v1
	s_delay_alu instid0(VALU_DEP_1) | instskip(NEXT) | instid1(VALU_DEP_1)
	v_subrev_nc_u32_e32 v2, 28, v1
	v_lshlrev_b64_e32 v[2:3], v2, v[24:25]
	s_delay_alu instid0(VALU_DEP_1)
	v_dual_sub_nc_u32 v1, 29, v1 :: v_dual_bitop2_b32 v24, 7, v2 bitop3:0x40
; %bb.198:                              ;   in Loop: Header=BB189_12 Depth=1
	s_or_b32 exec_lo, exec_lo, s21
	v_lshlrev_b32_e32 v2, 24, v0
	s_delay_alu instid0(VALU_DEP_2) | instskip(NEXT) | instid1(VALU_DEP_3)
	v_lshlrev_b32_e32 v3, 20, v24
	v_lshl_add_u32 v1, v1, 23, 0x3c000000
	s_delay_alu instid0(VALU_DEP_3) | instskip(NEXT) | instid1(VALU_DEP_1)
	v_and_b32_e32 v2, 0x80000000, v2
	v_or3_b32 v24, v3, v2, v1
	s_delay_alu instid0(VALU_DEP_1)
	v_mov_b64_e32 v[62:63], v[24:25]
.LBB189_199:                            ;   in Loop: Header=BB189_12 Depth=1
	s_or_b32 exec_lo, exec_lo, s20
.LBB189_200:                            ;   in Loop: Header=BB189_12 Depth=1
	s_delay_alu instid0(SALU_CYCLE_1)
	s_or_b32 exec_lo, exec_lo, s19
.LBB189_201:                            ;   in Loop: Header=BB189_12 Depth=1
	s_delay_alu instid0(SALU_CYCLE_1) | instskip(SKIP_2) | instid1(VALU_DEP_1)
	s_or_b32 exec_lo, exec_lo, s18
	v_lshrrev_b16 v1, 8, v0
	s_mov_b32 s18, exec_lo
	v_cmpx_ne_u16_e32 0, v1
	s_cbranch_execz .LBB189_209
; %bb.202:                              ;   in Loop: Header=BB189_12 Depth=1
	v_mov_b64_e32 v[78:79], 0x8000000000000000
	s_mov_b32 s19, exec_lo
	v_cmpx_ne_u16_e32 0x80, v1
	s_cbranch_execz .LBB189_208
; %bb.203:                              ;   in Loop: Header=BB189_12 Depth=1
	v_and_b32_e32 v1, 0xffff, v1
	v_mov_b64_e32 v[78:79], 0x7f80000100000000
	s_mov_b32 s20, exec_lo
	s_delay_alu instid0(VALU_DEP_2) | instskip(NEXT) | instid1(VALU_DEP_1)
	v_and_b32_e32 v2, 0x7f, v1
	v_cmpx_ne_u32_e32 0x7f, v2
	s_cbranch_execz .LBB189_207
; %bb.204:                              ;   in Loop: Header=BB189_12 Depth=1
	v_dual_lshrrev_b32 v1, 3, v2 :: v_dual_bitop2_b32 v24, 7, v1 bitop3:0x40
	s_mov_b32 s21, exec_lo
	v_cmpx_gt_u32_e32 8, v2
; %bb.205:                              ;   in Loop: Header=BB189_12 Depth=1
	s_delay_alu instid0(VALU_DEP_2) | instskip(NEXT) | instid1(VALU_DEP_1)
	v_clz_i32_u32_e32 v1, v24
	v_min_u32_e32 v1, 32, v1
	s_delay_alu instid0(VALU_DEP_1) | instskip(NEXT) | instid1(VALU_DEP_1)
	v_subrev_nc_u32_e32 v2, 28, v1
	v_lshlrev_b64_e32 v[2:3], v2, v[24:25]
	s_delay_alu instid0(VALU_DEP_1)
	v_dual_sub_nc_u32 v1, 29, v1 :: v_dual_bitop2_b32 v24, 7, v2 bitop3:0x40
; %bb.206:                              ;   in Loop: Header=BB189_12 Depth=1
	s_or_b32 exec_lo, exec_lo, s21
	v_dual_lshlrev_b32 v0, 16, v0 :: v_dual_mov_b32 v78, v25
	s_delay_alu instid0(VALU_DEP_2) | instskip(NEXT) | instid1(VALU_DEP_3)
	v_lshlrev_b32_e32 v2, 20, v24
	v_lshl_add_u32 v1, v1, 23, 0x3c000000
	s_delay_alu instid0(VALU_DEP_3) | instskip(NEXT) | instid1(VALU_DEP_1)
	v_and_b32_e32 v0, 0x80000000, v0
	v_or3_b32 v79, v2, v0, v1
.LBB189_207:                            ;   in Loop: Header=BB189_12 Depth=1
	s_or_b32 exec_lo, exec_lo, s20
.LBB189_208:                            ;   in Loop: Header=BB189_12 Depth=1
	s_delay_alu instid0(SALU_CYCLE_1)
	s_or_b32 exec_lo, exec_lo, s19
.LBB189_209:                            ;   in Loop: Header=BB189_12 Depth=1
	s_delay_alu instid0(SALU_CYCLE_1)
	s_or_b32 exec_lo, exec_lo, s18
	flat_load_u16 v1, v[76:77] offset:768
	v_mov_b64_e32 v[88:89], 0
	v_mov_b64_e32 v[90:91], 0
	s_mov_b32 s18, exec_lo
	s_wait_loadcnt_dscnt 0x0
	v_and_b32_e32 v0, 0xffff, v1
	v_and_b32_e32 v1, 0xff, v1
	s_wait_xcnt 0x0
	s_delay_alu instid0(VALU_DEP_1)
	v_cmpx_ne_u16_e32 0, v1
	s_cbranch_execz .LBB189_217
; %bb.210:                              ;   in Loop: Header=BB189_12 Depth=1
	v_mov_b64_e32 v[90:91], 0x80000000
	v_and_b32_e32 v1, 0xff, v0
	s_mov_b32 s19, exec_lo
	s_delay_alu instid0(VALU_DEP_1)
	v_cmpx_ne_u16_e32 0x80, v1
	s_cbranch_execz .LBB189_216
; %bb.211:                              ;   in Loop: Header=BB189_12 Depth=1
	v_mov_b64_e32 v[90:91], 0x7f800001
	v_and_b32_e32 v2, 0x7f, v0
	s_mov_b32 s20, exec_lo
	s_delay_alu instid0(VALU_DEP_1)
	v_cmpx_ne_u32_e32 0x7f, v2
	s_cbranch_execz .LBB189_215
; %bb.212:                              ;   in Loop: Header=BB189_12 Depth=1
	v_dual_lshrrev_b32 v1, 3, v2 :: v_dual_bitop2_b32 v24, 7, v0 bitop3:0x40
	s_mov_b32 s21, exec_lo
	v_cmpx_gt_u32_e32 8, v2
; %bb.213:                              ;   in Loop: Header=BB189_12 Depth=1
	s_delay_alu instid0(VALU_DEP_2) | instskip(NEXT) | instid1(VALU_DEP_1)
	v_clz_i32_u32_e32 v1, v24
	v_min_u32_e32 v1, 32, v1
	s_delay_alu instid0(VALU_DEP_1) | instskip(NEXT) | instid1(VALU_DEP_1)
	v_subrev_nc_u32_e32 v2, 28, v1
	v_lshlrev_b64_e32 v[2:3], v2, v[24:25]
	s_delay_alu instid0(VALU_DEP_1)
	v_dual_sub_nc_u32 v1, 29, v1 :: v_dual_bitop2_b32 v24, 7, v2 bitop3:0x40
; %bb.214:                              ;   in Loop: Header=BB189_12 Depth=1
	s_or_b32 exec_lo, exec_lo, s21
	v_lshlrev_b32_e32 v2, 24, v0
	s_delay_alu instid0(VALU_DEP_2) | instskip(NEXT) | instid1(VALU_DEP_3)
	v_lshlrev_b32_e32 v3, 20, v24
	v_lshl_add_u32 v1, v1, 23, 0x3c000000
	s_delay_alu instid0(VALU_DEP_3) | instskip(NEXT) | instid1(VALU_DEP_1)
	v_and_b32_e32 v2, 0x80000000, v2
	v_or3_b32 v24, v3, v2, v1
	s_delay_alu instid0(VALU_DEP_1)
	v_mov_b64_e32 v[90:91], v[24:25]
.LBB189_215:                            ;   in Loop: Header=BB189_12 Depth=1
	s_or_b32 exec_lo, exec_lo, s20
.LBB189_216:                            ;   in Loop: Header=BB189_12 Depth=1
	s_delay_alu instid0(SALU_CYCLE_1)
	s_or_b32 exec_lo, exec_lo, s19
.LBB189_217:                            ;   in Loop: Header=BB189_12 Depth=1
	s_delay_alu instid0(SALU_CYCLE_1) | instskip(SKIP_2) | instid1(VALU_DEP_1)
	s_or_b32 exec_lo, exec_lo, s18
	v_lshrrev_b16 v1, 8, v0
	s_mov_b32 s18, exec_lo
	v_cmpx_ne_u16_e32 0, v1
	s_cbranch_execz .LBB189_225
; %bb.218:                              ;   in Loop: Header=BB189_12 Depth=1
	v_mov_b64_e32 v[88:89], 0x8000000000000000
	s_mov_b32 s19, exec_lo
	v_cmpx_ne_u16_e32 0x80, v1
	s_cbranch_execz .LBB189_224
; %bb.219:                              ;   in Loop: Header=BB189_12 Depth=1
	v_and_b32_e32 v1, 0xffff, v1
	v_mov_b64_e32 v[88:89], 0x7f80000100000000
	s_mov_b32 s20, exec_lo
	s_delay_alu instid0(VALU_DEP_2) | instskip(NEXT) | instid1(VALU_DEP_1)
	v_and_b32_e32 v2, 0x7f, v1
	v_cmpx_ne_u32_e32 0x7f, v2
	s_cbranch_execz .LBB189_223
; %bb.220:                              ;   in Loop: Header=BB189_12 Depth=1
	v_dual_lshrrev_b32 v1, 3, v2 :: v_dual_bitop2_b32 v24, 7, v1 bitop3:0x40
	s_mov_b32 s21, exec_lo
	v_cmpx_gt_u32_e32 8, v2
; %bb.221:                              ;   in Loop: Header=BB189_12 Depth=1
	s_delay_alu instid0(VALU_DEP_2) | instskip(NEXT) | instid1(VALU_DEP_1)
	v_clz_i32_u32_e32 v1, v24
	v_min_u32_e32 v1, 32, v1
	s_delay_alu instid0(VALU_DEP_1) | instskip(NEXT) | instid1(VALU_DEP_1)
	v_subrev_nc_u32_e32 v2, 28, v1
	v_lshlrev_b64_e32 v[2:3], v2, v[24:25]
	s_delay_alu instid0(VALU_DEP_1)
	v_dual_sub_nc_u32 v1, 29, v1 :: v_dual_bitop2_b32 v24, 7, v2 bitop3:0x40
; %bb.222:                              ;   in Loop: Header=BB189_12 Depth=1
	s_or_b32 exec_lo, exec_lo, s21
	v_dual_lshlrev_b32 v0, 16, v0 :: v_dual_mov_b32 v88, v25
	s_delay_alu instid0(VALU_DEP_2) | instskip(NEXT) | instid1(VALU_DEP_3)
	v_lshlrev_b32_e32 v2, 20, v24
	v_lshl_add_u32 v1, v1, 23, 0x3c000000
	s_delay_alu instid0(VALU_DEP_3) | instskip(NEXT) | instid1(VALU_DEP_1)
	v_and_b32_e32 v0, 0x80000000, v0
	v_or3_b32 v89, v2, v0, v1
.LBB189_223:                            ;   in Loop: Header=BB189_12 Depth=1
	s_or_b32 exec_lo, exec_lo, s20
.LBB189_224:                            ;   in Loop: Header=BB189_12 Depth=1
	s_delay_alu instid0(SALU_CYCLE_1)
	s_or_b32 exec_lo, exec_lo, s19
.LBB189_225:                            ;   in Loop: Header=BB189_12 Depth=1
	s_delay_alu instid0(SALU_CYCLE_1)
	s_or_b32 exec_lo, exec_lo, s18
	flat_load_u16 v1, v[76:77] offset:772
	v_mov_b64_e32 v[92:93], 0
	v_mov_b64_e32 v[94:95], 0
	s_mov_b32 s18, exec_lo
	s_wait_loadcnt_dscnt 0x0
	v_and_b32_e32 v0, 0xffff, v1
	v_and_b32_e32 v1, 0xff, v1
	s_wait_xcnt 0x0
	s_delay_alu instid0(VALU_DEP_1)
	v_cmpx_ne_u16_e32 0, v1
	s_cbranch_execz .LBB189_233
; %bb.226:                              ;   in Loop: Header=BB189_12 Depth=1
	v_mov_b64_e32 v[94:95], 0x80000000
	v_and_b32_e32 v1, 0xff, v0
	s_mov_b32 s19, exec_lo
	s_delay_alu instid0(VALU_DEP_1)
	v_cmpx_ne_u16_e32 0x80, v1
	s_cbranch_execz .LBB189_232
; %bb.227:                              ;   in Loop: Header=BB189_12 Depth=1
	v_mov_b64_e32 v[94:95], 0x7f800001
	v_and_b32_e32 v2, 0x7f, v0
	s_mov_b32 s20, exec_lo
	s_delay_alu instid0(VALU_DEP_1)
	v_cmpx_ne_u32_e32 0x7f, v2
	s_cbranch_execz .LBB189_231
; %bb.228:                              ;   in Loop: Header=BB189_12 Depth=1
	v_dual_lshrrev_b32 v1, 3, v2 :: v_dual_bitop2_b32 v24, 7, v0 bitop3:0x40
	s_mov_b32 s21, exec_lo
	v_cmpx_gt_u32_e32 8, v2
; %bb.229:                              ;   in Loop: Header=BB189_12 Depth=1
	s_delay_alu instid0(VALU_DEP_2) | instskip(NEXT) | instid1(VALU_DEP_1)
	v_clz_i32_u32_e32 v1, v24
	v_min_u32_e32 v1, 32, v1
	s_delay_alu instid0(VALU_DEP_1) | instskip(NEXT) | instid1(VALU_DEP_1)
	v_subrev_nc_u32_e32 v2, 28, v1
	v_lshlrev_b64_e32 v[2:3], v2, v[24:25]
	s_delay_alu instid0(VALU_DEP_1)
	v_dual_sub_nc_u32 v1, 29, v1 :: v_dual_bitop2_b32 v24, 7, v2 bitop3:0x40
; %bb.230:                              ;   in Loop: Header=BB189_12 Depth=1
	s_or_b32 exec_lo, exec_lo, s21
	v_lshlrev_b32_e32 v2, 24, v0
	s_delay_alu instid0(VALU_DEP_2) | instskip(NEXT) | instid1(VALU_DEP_3)
	v_lshlrev_b32_e32 v3, 20, v24
	v_lshl_add_u32 v1, v1, 23, 0x3c000000
	s_delay_alu instid0(VALU_DEP_3) | instskip(NEXT) | instid1(VALU_DEP_1)
	v_and_b32_e32 v2, 0x80000000, v2
	v_or3_b32 v24, v3, v2, v1
	s_delay_alu instid0(VALU_DEP_1)
	v_mov_b64_e32 v[94:95], v[24:25]
.LBB189_231:                            ;   in Loop: Header=BB189_12 Depth=1
	s_or_b32 exec_lo, exec_lo, s20
.LBB189_232:                            ;   in Loop: Header=BB189_12 Depth=1
	s_delay_alu instid0(SALU_CYCLE_1)
	s_or_b32 exec_lo, exec_lo, s19
.LBB189_233:                            ;   in Loop: Header=BB189_12 Depth=1
	s_delay_alu instid0(SALU_CYCLE_1) | instskip(SKIP_2) | instid1(VALU_DEP_1)
	s_or_b32 exec_lo, exec_lo, s18
	v_lshrrev_b16 v1, 8, v0
	s_mov_b32 s18, exec_lo
	v_cmpx_ne_u16_e32 0, v1
	s_cbranch_execz .LBB189_241
; %bb.234:                              ;   in Loop: Header=BB189_12 Depth=1
	v_mov_b64_e32 v[92:93], 0x8000000000000000
	s_mov_b32 s19, exec_lo
	v_cmpx_ne_u16_e32 0x80, v1
	s_cbranch_execz .LBB189_240
; %bb.235:                              ;   in Loop: Header=BB189_12 Depth=1
	v_and_b32_e32 v1, 0xffff, v1
	v_mov_b64_e32 v[92:93], 0x7f80000100000000
	s_mov_b32 s20, exec_lo
	s_delay_alu instid0(VALU_DEP_2) | instskip(NEXT) | instid1(VALU_DEP_1)
	v_and_b32_e32 v2, 0x7f, v1
	v_cmpx_ne_u32_e32 0x7f, v2
	s_cbranch_execz .LBB189_239
; %bb.236:                              ;   in Loop: Header=BB189_12 Depth=1
	v_dual_lshrrev_b32 v1, 3, v2 :: v_dual_bitop2_b32 v24, 7, v1 bitop3:0x40
	s_mov_b32 s21, exec_lo
	v_cmpx_gt_u32_e32 8, v2
; %bb.237:                              ;   in Loop: Header=BB189_12 Depth=1
	s_delay_alu instid0(VALU_DEP_2) | instskip(NEXT) | instid1(VALU_DEP_1)
	v_clz_i32_u32_e32 v1, v24
	v_min_u32_e32 v1, 32, v1
	s_delay_alu instid0(VALU_DEP_1) | instskip(NEXT) | instid1(VALU_DEP_1)
	v_subrev_nc_u32_e32 v2, 28, v1
	v_lshlrev_b64_e32 v[2:3], v2, v[24:25]
	s_delay_alu instid0(VALU_DEP_1)
	v_dual_sub_nc_u32 v1, 29, v1 :: v_dual_bitop2_b32 v24, 7, v2 bitop3:0x40
; %bb.238:                              ;   in Loop: Header=BB189_12 Depth=1
	s_or_b32 exec_lo, exec_lo, s21
	v_dual_lshlrev_b32 v0, 16, v0 :: v_dual_mov_b32 v92, v25
	s_delay_alu instid0(VALU_DEP_2) | instskip(NEXT) | instid1(VALU_DEP_3)
	v_lshlrev_b32_e32 v2, 20, v24
	v_lshl_add_u32 v1, v1, 23, 0x3c000000
	s_delay_alu instid0(VALU_DEP_3) | instskip(NEXT) | instid1(VALU_DEP_1)
	v_and_b32_e32 v0, 0x80000000, v0
	v_or3_b32 v93, v2, v0, v1
.LBB189_239:                            ;   in Loop: Header=BB189_12 Depth=1
	s_or_b32 exec_lo, exec_lo, s20
.LBB189_240:                            ;   in Loop: Header=BB189_12 Depth=1
	s_delay_alu instid0(SALU_CYCLE_1)
	s_or_b32 exec_lo, exec_lo, s19
.LBB189_241:                            ;   in Loop: Header=BB189_12 Depth=1
	s_delay_alu instid0(SALU_CYCLE_1)
	s_or_b32 exec_lo, exec_lo, s18
	flat_load_u16 v1, v[76:77] offset:776
	v_mov_b64_e32 v[104:105], 0
	v_mov_b64_e32 v[106:107], 0
	s_mov_b32 s18, exec_lo
	s_wait_loadcnt_dscnt 0x0
	v_and_b32_e32 v0, 0xffff, v1
	v_and_b32_e32 v1, 0xff, v1
	s_wait_xcnt 0x0
	s_delay_alu instid0(VALU_DEP_1)
	v_cmpx_ne_u16_e32 0, v1
	s_cbranch_execz .LBB189_249
; %bb.242:                              ;   in Loop: Header=BB189_12 Depth=1
	v_mov_b64_e32 v[106:107], 0x80000000
	v_and_b32_e32 v1, 0xff, v0
	s_mov_b32 s19, exec_lo
	s_delay_alu instid0(VALU_DEP_1)
	v_cmpx_ne_u16_e32 0x80, v1
	s_cbranch_execz .LBB189_248
; %bb.243:                              ;   in Loop: Header=BB189_12 Depth=1
	v_mov_b64_e32 v[106:107], 0x7f800001
	v_and_b32_e32 v2, 0x7f, v0
	s_mov_b32 s20, exec_lo
	s_delay_alu instid0(VALU_DEP_1)
	v_cmpx_ne_u32_e32 0x7f, v2
	s_cbranch_execz .LBB189_247
; %bb.244:                              ;   in Loop: Header=BB189_12 Depth=1
	v_dual_lshrrev_b32 v1, 3, v2 :: v_dual_bitop2_b32 v24, 7, v0 bitop3:0x40
	s_mov_b32 s21, exec_lo
	v_cmpx_gt_u32_e32 8, v2
; %bb.245:                              ;   in Loop: Header=BB189_12 Depth=1
	s_delay_alu instid0(VALU_DEP_2) | instskip(NEXT) | instid1(VALU_DEP_1)
	v_clz_i32_u32_e32 v1, v24
	v_min_u32_e32 v1, 32, v1
	s_delay_alu instid0(VALU_DEP_1) | instskip(NEXT) | instid1(VALU_DEP_1)
	v_subrev_nc_u32_e32 v2, 28, v1
	v_lshlrev_b64_e32 v[2:3], v2, v[24:25]
	s_delay_alu instid0(VALU_DEP_1)
	v_dual_sub_nc_u32 v1, 29, v1 :: v_dual_bitop2_b32 v24, 7, v2 bitop3:0x40
; %bb.246:                              ;   in Loop: Header=BB189_12 Depth=1
	s_or_b32 exec_lo, exec_lo, s21
	v_lshlrev_b32_e32 v2, 24, v0
	s_delay_alu instid0(VALU_DEP_2) | instskip(NEXT) | instid1(VALU_DEP_3)
	v_lshlrev_b32_e32 v3, 20, v24
	v_lshl_add_u32 v1, v1, 23, 0x3c000000
	s_delay_alu instid0(VALU_DEP_3) | instskip(NEXT) | instid1(VALU_DEP_1)
	v_and_b32_e32 v2, 0x80000000, v2
	v_or3_b32 v24, v3, v2, v1
	s_delay_alu instid0(VALU_DEP_1)
	v_mov_b64_e32 v[106:107], v[24:25]
.LBB189_247:                            ;   in Loop: Header=BB189_12 Depth=1
	s_or_b32 exec_lo, exec_lo, s20
.LBB189_248:                            ;   in Loop: Header=BB189_12 Depth=1
	s_delay_alu instid0(SALU_CYCLE_1)
	s_or_b32 exec_lo, exec_lo, s19
.LBB189_249:                            ;   in Loop: Header=BB189_12 Depth=1
	s_delay_alu instid0(SALU_CYCLE_1) | instskip(SKIP_2) | instid1(VALU_DEP_1)
	s_or_b32 exec_lo, exec_lo, s18
	v_lshrrev_b16 v1, 8, v0
	s_mov_b32 s18, exec_lo
	v_cmpx_ne_u16_e32 0, v1
	s_cbranch_execz .LBB189_257
; %bb.250:                              ;   in Loop: Header=BB189_12 Depth=1
	v_mov_b64_e32 v[104:105], 0x8000000000000000
	s_mov_b32 s19, exec_lo
	v_cmpx_ne_u16_e32 0x80, v1
	s_cbranch_execz .LBB189_256
; %bb.251:                              ;   in Loop: Header=BB189_12 Depth=1
	v_and_b32_e32 v1, 0xffff, v1
	v_mov_b64_e32 v[104:105], 0x7f80000100000000
	s_mov_b32 s20, exec_lo
	s_delay_alu instid0(VALU_DEP_2) | instskip(NEXT) | instid1(VALU_DEP_1)
	v_and_b32_e32 v2, 0x7f, v1
	v_cmpx_ne_u32_e32 0x7f, v2
	s_cbranch_execz .LBB189_255
; %bb.252:                              ;   in Loop: Header=BB189_12 Depth=1
	v_dual_lshrrev_b32 v1, 3, v2 :: v_dual_bitop2_b32 v24, 7, v1 bitop3:0x40
	s_mov_b32 s21, exec_lo
	v_cmpx_gt_u32_e32 8, v2
; %bb.253:                              ;   in Loop: Header=BB189_12 Depth=1
	s_delay_alu instid0(VALU_DEP_2) | instskip(NEXT) | instid1(VALU_DEP_1)
	v_clz_i32_u32_e32 v1, v24
	v_min_u32_e32 v1, 32, v1
	s_delay_alu instid0(VALU_DEP_1) | instskip(NEXT) | instid1(VALU_DEP_1)
	v_subrev_nc_u32_e32 v2, 28, v1
	v_lshlrev_b64_e32 v[2:3], v2, v[24:25]
	s_delay_alu instid0(VALU_DEP_1)
	v_dual_sub_nc_u32 v1, 29, v1 :: v_dual_bitop2_b32 v24, 7, v2 bitop3:0x40
; %bb.254:                              ;   in Loop: Header=BB189_12 Depth=1
	s_or_b32 exec_lo, exec_lo, s21
	v_dual_lshlrev_b32 v0, 16, v0 :: v_dual_mov_b32 v104, v25
	s_delay_alu instid0(VALU_DEP_2) | instskip(NEXT) | instid1(VALU_DEP_3)
	v_lshlrev_b32_e32 v2, 20, v24
	v_lshl_add_u32 v1, v1, 23, 0x3c000000
	s_delay_alu instid0(VALU_DEP_3) | instskip(NEXT) | instid1(VALU_DEP_1)
	v_and_b32_e32 v0, 0x80000000, v0
	v_or3_b32 v105, v2, v0, v1
.LBB189_255:                            ;   in Loop: Header=BB189_12 Depth=1
	s_or_b32 exec_lo, exec_lo, s20
.LBB189_256:                            ;   in Loop: Header=BB189_12 Depth=1
	s_delay_alu instid0(SALU_CYCLE_1)
	s_or_b32 exec_lo, exec_lo, s19
.LBB189_257:                            ;   in Loop: Header=BB189_12 Depth=1
	s_delay_alu instid0(SALU_CYCLE_1)
	s_or_b32 exec_lo, exec_lo, s18
	flat_load_u16 v1, v[76:77] offset:780
	v_mov_b64_e32 v[108:109], 0
	v_mov_b64_e32 v[110:111], 0
	s_mov_b32 s18, exec_lo
	s_wait_loadcnt_dscnt 0x0
	v_and_b32_e32 v0, 0xffff, v1
	v_and_b32_e32 v1, 0xff, v1
	s_wait_xcnt 0x0
	s_delay_alu instid0(VALU_DEP_1)
	v_cmpx_ne_u16_e32 0, v1
	s_cbranch_execz .LBB189_265
; %bb.258:                              ;   in Loop: Header=BB189_12 Depth=1
	v_mov_b64_e32 v[110:111], 0x80000000
	v_and_b32_e32 v1, 0xff, v0
	s_mov_b32 s19, exec_lo
	s_delay_alu instid0(VALU_DEP_1)
	v_cmpx_ne_u16_e32 0x80, v1
	s_cbranch_execz .LBB189_264
; %bb.259:                              ;   in Loop: Header=BB189_12 Depth=1
	v_mov_b64_e32 v[110:111], 0x7f800001
	v_and_b32_e32 v2, 0x7f, v0
	s_mov_b32 s20, exec_lo
	s_delay_alu instid0(VALU_DEP_1)
	v_cmpx_ne_u32_e32 0x7f, v2
	s_cbranch_execz .LBB189_263
; %bb.260:                              ;   in Loop: Header=BB189_12 Depth=1
	v_dual_lshrrev_b32 v1, 3, v2 :: v_dual_bitop2_b32 v24, 7, v0 bitop3:0x40
	s_mov_b32 s21, exec_lo
	v_cmpx_gt_u32_e32 8, v2
; %bb.261:                              ;   in Loop: Header=BB189_12 Depth=1
	s_delay_alu instid0(VALU_DEP_2) | instskip(NEXT) | instid1(VALU_DEP_1)
	v_clz_i32_u32_e32 v1, v24
	v_min_u32_e32 v1, 32, v1
	s_delay_alu instid0(VALU_DEP_1) | instskip(NEXT) | instid1(VALU_DEP_1)
	v_subrev_nc_u32_e32 v2, 28, v1
	v_lshlrev_b64_e32 v[2:3], v2, v[24:25]
	s_delay_alu instid0(VALU_DEP_1)
	v_dual_sub_nc_u32 v1, 29, v1 :: v_dual_bitop2_b32 v24, 7, v2 bitop3:0x40
; %bb.262:                              ;   in Loop: Header=BB189_12 Depth=1
	s_or_b32 exec_lo, exec_lo, s21
	v_lshlrev_b32_e32 v2, 24, v0
	s_delay_alu instid0(VALU_DEP_2) | instskip(NEXT) | instid1(VALU_DEP_3)
	v_lshlrev_b32_e32 v3, 20, v24
	v_lshl_add_u32 v1, v1, 23, 0x3c000000
	s_delay_alu instid0(VALU_DEP_3) | instskip(NEXT) | instid1(VALU_DEP_1)
	v_and_b32_e32 v2, 0x80000000, v2
	v_or3_b32 v24, v3, v2, v1
	s_delay_alu instid0(VALU_DEP_1)
	v_mov_b64_e32 v[110:111], v[24:25]
.LBB189_263:                            ;   in Loop: Header=BB189_12 Depth=1
	s_or_b32 exec_lo, exec_lo, s20
.LBB189_264:                            ;   in Loop: Header=BB189_12 Depth=1
	s_delay_alu instid0(SALU_CYCLE_1)
	s_or_b32 exec_lo, exec_lo, s19
.LBB189_265:                            ;   in Loop: Header=BB189_12 Depth=1
	s_delay_alu instid0(SALU_CYCLE_1) | instskip(SKIP_2) | instid1(VALU_DEP_1)
	s_or_b32 exec_lo, exec_lo, s18
	v_lshrrev_b16 v1, 8, v0
	s_mov_b32 s18, exec_lo
	v_cmpx_ne_u16_e32 0, v1
	s_cbranch_execz .LBB189_273
; %bb.266:                              ;   in Loop: Header=BB189_12 Depth=1
	v_mov_b64_e32 v[108:109], 0x8000000000000000
	s_mov_b32 s19, exec_lo
	v_cmpx_ne_u16_e32 0x80, v1
	s_cbranch_execz .LBB189_272
; %bb.267:                              ;   in Loop: Header=BB189_12 Depth=1
	v_and_b32_e32 v1, 0xffff, v1
	v_mov_b64_e32 v[108:109], 0x7f80000100000000
	s_mov_b32 s20, exec_lo
	s_delay_alu instid0(VALU_DEP_2) | instskip(NEXT) | instid1(VALU_DEP_1)
	v_and_b32_e32 v2, 0x7f, v1
	v_cmpx_ne_u32_e32 0x7f, v2
	s_cbranch_execz .LBB189_271
; %bb.268:                              ;   in Loop: Header=BB189_12 Depth=1
	v_dual_lshrrev_b32 v1, 3, v2 :: v_dual_bitop2_b32 v24, 7, v1 bitop3:0x40
	s_mov_b32 s21, exec_lo
	v_cmpx_gt_u32_e32 8, v2
; %bb.269:                              ;   in Loop: Header=BB189_12 Depth=1
	s_delay_alu instid0(VALU_DEP_2) | instskip(NEXT) | instid1(VALU_DEP_1)
	v_clz_i32_u32_e32 v1, v24
	v_min_u32_e32 v1, 32, v1
	s_delay_alu instid0(VALU_DEP_1) | instskip(NEXT) | instid1(VALU_DEP_1)
	v_subrev_nc_u32_e32 v2, 28, v1
	v_lshlrev_b64_e32 v[2:3], v2, v[24:25]
	s_delay_alu instid0(VALU_DEP_1)
	v_dual_sub_nc_u32 v1, 29, v1 :: v_dual_bitop2_b32 v24, 7, v2 bitop3:0x40
; %bb.270:                              ;   in Loop: Header=BB189_12 Depth=1
	s_or_b32 exec_lo, exec_lo, s21
	v_dual_lshlrev_b32 v0, 16, v0 :: v_dual_mov_b32 v108, v25
	s_delay_alu instid0(VALU_DEP_2) | instskip(NEXT) | instid1(VALU_DEP_3)
	v_lshlrev_b32_e32 v2, 20, v24
	v_lshl_add_u32 v1, v1, 23, 0x3c000000
	s_delay_alu instid0(VALU_DEP_3) | instskip(NEXT) | instid1(VALU_DEP_1)
	v_and_b32_e32 v0, 0x80000000, v0
	v_or3_b32 v109, v2, v0, v1
.LBB189_271:                            ;   in Loop: Header=BB189_12 Depth=1
	s_or_b32 exec_lo, exec_lo, s20
.LBB189_272:                            ;   in Loop: Header=BB189_12 Depth=1
	s_delay_alu instid0(SALU_CYCLE_1)
	s_or_b32 exec_lo, exec_lo, s19
.LBB189_273:                            ;   in Loop: Header=BB189_12 Depth=1
	s_delay_alu instid0(SALU_CYCLE_1)
	s_or_b32 exec_lo, exec_lo, s18
	flat_load_u16 v1, v[76:77] offset:1024
	v_mov_b64_e32 v[120:121], 0
	v_mov_b64_e32 v[122:123], 0
	s_mov_b32 s18, exec_lo
	s_wait_loadcnt_dscnt 0x0
	v_and_b32_e32 v0, 0xffff, v1
	v_and_b32_e32 v1, 0xff, v1
	s_wait_xcnt 0x0
	s_delay_alu instid0(VALU_DEP_1)
	v_cmpx_ne_u16_e32 0, v1
	s_cbranch_execz .LBB189_281
; %bb.274:                              ;   in Loop: Header=BB189_12 Depth=1
	v_mov_b64_e32 v[122:123], 0x80000000
	v_and_b32_e32 v1, 0xff, v0
	s_mov_b32 s19, exec_lo
	s_delay_alu instid0(VALU_DEP_1)
	v_cmpx_ne_u16_e32 0x80, v1
	s_cbranch_execz .LBB189_280
; %bb.275:                              ;   in Loop: Header=BB189_12 Depth=1
	v_mov_b64_e32 v[122:123], 0x7f800001
	v_and_b32_e32 v2, 0x7f, v0
	s_mov_b32 s20, exec_lo
	s_delay_alu instid0(VALU_DEP_1)
	v_cmpx_ne_u32_e32 0x7f, v2
	s_cbranch_execz .LBB189_279
; %bb.276:                              ;   in Loop: Header=BB189_12 Depth=1
	v_dual_lshrrev_b32 v1, 3, v2 :: v_dual_bitop2_b32 v24, 7, v0 bitop3:0x40
	s_mov_b32 s21, exec_lo
	v_cmpx_gt_u32_e32 8, v2
; %bb.277:                              ;   in Loop: Header=BB189_12 Depth=1
	s_delay_alu instid0(VALU_DEP_2) | instskip(NEXT) | instid1(VALU_DEP_1)
	v_clz_i32_u32_e32 v1, v24
	v_min_u32_e32 v1, 32, v1
	s_delay_alu instid0(VALU_DEP_1) | instskip(NEXT) | instid1(VALU_DEP_1)
	v_subrev_nc_u32_e32 v2, 28, v1
	v_lshlrev_b64_e32 v[2:3], v2, v[24:25]
	s_delay_alu instid0(VALU_DEP_1)
	v_dual_sub_nc_u32 v1, 29, v1 :: v_dual_bitop2_b32 v24, 7, v2 bitop3:0x40
; %bb.278:                              ;   in Loop: Header=BB189_12 Depth=1
	s_or_b32 exec_lo, exec_lo, s21
	v_lshlrev_b32_e32 v2, 24, v0
	s_delay_alu instid0(VALU_DEP_2) | instskip(NEXT) | instid1(VALU_DEP_3)
	v_lshlrev_b32_e32 v3, 20, v24
	v_lshl_add_u32 v1, v1, 23, 0x3c000000
	s_delay_alu instid0(VALU_DEP_3) | instskip(NEXT) | instid1(VALU_DEP_1)
	v_and_b32_e32 v2, 0x80000000, v2
	v_or3_b32 v24, v3, v2, v1
	s_delay_alu instid0(VALU_DEP_1)
	v_mov_b64_e32 v[122:123], v[24:25]
.LBB189_279:                            ;   in Loop: Header=BB189_12 Depth=1
	s_or_b32 exec_lo, exec_lo, s20
.LBB189_280:                            ;   in Loop: Header=BB189_12 Depth=1
	s_delay_alu instid0(SALU_CYCLE_1)
	s_or_b32 exec_lo, exec_lo, s19
.LBB189_281:                            ;   in Loop: Header=BB189_12 Depth=1
	s_delay_alu instid0(SALU_CYCLE_1) | instskip(SKIP_2) | instid1(VALU_DEP_1)
	s_or_b32 exec_lo, exec_lo, s18
	v_lshrrev_b16 v1, 8, v0
	s_mov_b32 s18, exec_lo
	v_cmpx_ne_u16_e32 0, v1
	s_cbranch_execz .LBB189_289
; %bb.282:                              ;   in Loop: Header=BB189_12 Depth=1
	v_mov_b64_e32 v[120:121], 0x8000000000000000
	s_mov_b32 s19, exec_lo
	v_cmpx_ne_u16_e32 0x80, v1
	s_cbranch_execz .LBB189_288
; %bb.283:                              ;   in Loop: Header=BB189_12 Depth=1
	v_and_b32_e32 v1, 0xffff, v1
	v_mov_b64_e32 v[120:121], 0x7f80000100000000
	s_mov_b32 s20, exec_lo
	s_delay_alu instid0(VALU_DEP_2) | instskip(NEXT) | instid1(VALU_DEP_1)
	v_and_b32_e32 v2, 0x7f, v1
	v_cmpx_ne_u32_e32 0x7f, v2
	s_cbranch_execz .LBB189_287
; %bb.284:                              ;   in Loop: Header=BB189_12 Depth=1
	v_dual_lshrrev_b32 v1, 3, v2 :: v_dual_bitop2_b32 v24, 7, v1 bitop3:0x40
	s_mov_b32 s21, exec_lo
	v_cmpx_gt_u32_e32 8, v2
; %bb.285:                              ;   in Loop: Header=BB189_12 Depth=1
	s_delay_alu instid0(VALU_DEP_2) | instskip(NEXT) | instid1(VALU_DEP_1)
	v_clz_i32_u32_e32 v1, v24
	v_min_u32_e32 v1, 32, v1
	s_delay_alu instid0(VALU_DEP_1) | instskip(NEXT) | instid1(VALU_DEP_1)
	v_subrev_nc_u32_e32 v2, 28, v1
	v_lshlrev_b64_e32 v[2:3], v2, v[24:25]
	s_delay_alu instid0(VALU_DEP_1)
	v_dual_sub_nc_u32 v1, 29, v1 :: v_dual_bitop2_b32 v24, 7, v2 bitop3:0x40
; %bb.286:                              ;   in Loop: Header=BB189_12 Depth=1
	s_or_b32 exec_lo, exec_lo, s21
	v_dual_lshlrev_b32 v0, 16, v0 :: v_dual_mov_b32 v120, v25
	s_delay_alu instid0(VALU_DEP_2) | instskip(NEXT) | instid1(VALU_DEP_3)
	v_lshlrev_b32_e32 v2, 20, v24
	v_lshl_add_u32 v1, v1, 23, 0x3c000000
	s_delay_alu instid0(VALU_DEP_3) | instskip(NEXT) | instid1(VALU_DEP_1)
	v_and_b32_e32 v0, 0x80000000, v0
	v_or3_b32 v121, v2, v0, v1
.LBB189_287:                            ;   in Loop: Header=BB189_12 Depth=1
	s_or_b32 exec_lo, exec_lo, s20
.LBB189_288:                            ;   in Loop: Header=BB189_12 Depth=1
	s_delay_alu instid0(SALU_CYCLE_1)
	s_or_b32 exec_lo, exec_lo, s19
.LBB189_289:                            ;   in Loop: Header=BB189_12 Depth=1
	s_delay_alu instid0(SALU_CYCLE_1)
	s_or_b32 exec_lo, exec_lo, s18
	flat_load_u16 v1, v[76:77] offset:1028
	v_mov_b64_e32 v[124:125], 0
	v_mov_b64_e32 v[126:127], 0
	s_mov_b32 s18, exec_lo
	s_wait_loadcnt_dscnt 0x0
	v_and_b32_e32 v0, 0xffff, v1
	v_and_b32_e32 v1, 0xff, v1
	s_wait_xcnt 0x0
	s_delay_alu instid0(VALU_DEP_1)
	v_cmpx_ne_u16_e32 0, v1
	s_cbranch_execz .LBB189_297
; %bb.290:                              ;   in Loop: Header=BB189_12 Depth=1
	v_mov_b64_e32 v[126:127], 0x80000000
	v_and_b32_e32 v1, 0xff, v0
	s_mov_b32 s19, exec_lo
	s_delay_alu instid0(VALU_DEP_1)
	v_cmpx_ne_u16_e32 0x80, v1
	s_cbranch_execz .LBB189_296
; %bb.291:                              ;   in Loop: Header=BB189_12 Depth=1
	v_mov_b64_e32 v[126:127], 0x7f800001
	v_and_b32_e32 v2, 0x7f, v0
	s_mov_b32 s20, exec_lo
	s_delay_alu instid0(VALU_DEP_1)
	v_cmpx_ne_u32_e32 0x7f, v2
	s_cbranch_execz .LBB189_295
; %bb.292:                              ;   in Loop: Header=BB189_12 Depth=1
	v_dual_lshrrev_b32 v1, 3, v2 :: v_dual_bitop2_b32 v24, 7, v0 bitop3:0x40
	s_mov_b32 s21, exec_lo
	v_cmpx_gt_u32_e32 8, v2
; %bb.293:                              ;   in Loop: Header=BB189_12 Depth=1
	s_delay_alu instid0(VALU_DEP_2) | instskip(NEXT) | instid1(VALU_DEP_1)
	v_clz_i32_u32_e32 v1, v24
	v_min_u32_e32 v1, 32, v1
	s_delay_alu instid0(VALU_DEP_1) | instskip(NEXT) | instid1(VALU_DEP_1)
	v_subrev_nc_u32_e32 v2, 28, v1
	v_lshlrev_b64_e32 v[2:3], v2, v[24:25]
	s_delay_alu instid0(VALU_DEP_1)
	v_dual_sub_nc_u32 v1, 29, v1 :: v_dual_bitop2_b32 v24, 7, v2 bitop3:0x40
; %bb.294:                              ;   in Loop: Header=BB189_12 Depth=1
	s_or_b32 exec_lo, exec_lo, s21
	v_lshlrev_b32_e32 v2, 24, v0
	s_delay_alu instid0(VALU_DEP_2) | instskip(NEXT) | instid1(VALU_DEP_3)
	v_lshlrev_b32_e32 v3, 20, v24
	v_lshl_add_u32 v1, v1, 23, 0x3c000000
	s_delay_alu instid0(VALU_DEP_3) | instskip(NEXT) | instid1(VALU_DEP_1)
	v_and_b32_e32 v2, 0x80000000, v2
	v_or3_b32 v24, v3, v2, v1
	s_delay_alu instid0(VALU_DEP_1)
	v_mov_b64_e32 v[126:127], v[24:25]
.LBB189_295:                            ;   in Loop: Header=BB189_12 Depth=1
	s_or_b32 exec_lo, exec_lo, s20
.LBB189_296:                            ;   in Loop: Header=BB189_12 Depth=1
	s_delay_alu instid0(SALU_CYCLE_1)
	s_or_b32 exec_lo, exec_lo, s19
.LBB189_297:                            ;   in Loop: Header=BB189_12 Depth=1
	s_delay_alu instid0(SALU_CYCLE_1) | instskip(SKIP_2) | instid1(VALU_DEP_1)
	s_or_b32 exec_lo, exec_lo, s18
	v_lshrrev_b16 v1, 8, v0
	s_mov_b32 s18, exec_lo
	v_cmpx_ne_u16_e32 0, v1
	s_cbranch_execz .LBB189_305
; %bb.298:                              ;   in Loop: Header=BB189_12 Depth=1
	v_mov_b64_e32 v[124:125], 0x8000000000000000
	s_mov_b32 s19, exec_lo
	v_cmpx_ne_u16_e32 0x80, v1
	s_cbranch_execz .LBB189_304
; %bb.299:                              ;   in Loop: Header=BB189_12 Depth=1
	v_and_b32_e32 v1, 0xffff, v1
	v_mov_b64_e32 v[124:125], 0x7f80000100000000
	s_mov_b32 s20, exec_lo
	s_delay_alu instid0(VALU_DEP_2) | instskip(NEXT) | instid1(VALU_DEP_1)
	v_and_b32_e32 v2, 0x7f, v1
	v_cmpx_ne_u32_e32 0x7f, v2
	s_cbranch_execz .LBB189_303
; %bb.300:                              ;   in Loop: Header=BB189_12 Depth=1
	v_dual_lshrrev_b32 v1, 3, v2 :: v_dual_bitop2_b32 v24, 7, v1 bitop3:0x40
	s_mov_b32 s21, exec_lo
	v_cmpx_gt_u32_e32 8, v2
; %bb.301:                              ;   in Loop: Header=BB189_12 Depth=1
	s_delay_alu instid0(VALU_DEP_2) | instskip(NEXT) | instid1(VALU_DEP_1)
	v_clz_i32_u32_e32 v1, v24
	v_min_u32_e32 v1, 32, v1
	s_delay_alu instid0(VALU_DEP_1) | instskip(NEXT) | instid1(VALU_DEP_1)
	v_subrev_nc_u32_e32 v2, 28, v1
	v_lshlrev_b64_e32 v[2:3], v2, v[24:25]
	s_delay_alu instid0(VALU_DEP_1)
	v_dual_sub_nc_u32 v1, 29, v1 :: v_dual_bitop2_b32 v24, 7, v2 bitop3:0x40
; %bb.302:                              ;   in Loop: Header=BB189_12 Depth=1
	s_or_b32 exec_lo, exec_lo, s21
	v_dual_lshlrev_b32 v0, 16, v0 :: v_dual_mov_b32 v124, v25
	s_delay_alu instid0(VALU_DEP_2) | instskip(NEXT) | instid1(VALU_DEP_3)
	v_lshlrev_b32_e32 v2, 20, v24
	v_lshl_add_u32 v1, v1, 23, 0x3c000000
	s_delay_alu instid0(VALU_DEP_3) | instskip(NEXT) | instid1(VALU_DEP_1)
	v_and_b32_e32 v0, 0x80000000, v0
	v_or3_b32 v125, v2, v0, v1
.LBB189_303:                            ;   in Loop: Header=BB189_12 Depth=1
	s_or_b32 exec_lo, exec_lo, s20
.LBB189_304:                            ;   in Loop: Header=BB189_12 Depth=1
	s_delay_alu instid0(SALU_CYCLE_1)
	s_or_b32 exec_lo, exec_lo, s19
.LBB189_305:                            ;   in Loop: Header=BB189_12 Depth=1
	s_delay_alu instid0(SALU_CYCLE_1)
	s_or_b32 exec_lo, exec_lo, s18
	flat_load_u16 v1, v[76:77] offset:1032
	v_mov_b64_e32 v[112:113], 0
	v_mov_b64_e32 v[116:117], 0
	s_mov_b32 s18, exec_lo
	s_wait_loadcnt_dscnt 0x0
	v_and_b32_e32 v0, 0xffff, v1
	v_and_b32_e32 v1, 0xff, v1
	s_wait_xcnt 0x0
	s_delay_alu instid0(VALU_DEP_1)
	v_cmpx_ne_u16_e32 0, v1
	s_cbranch_execz .LBB189_313
; %bb.306:                              ;   in Loop: Header=BB189_12 Depth=1
	v_mov_b64_e32 v[116:117], 0x80000000
	v_and_b32_e32 v1, 0xff, v0
	s_mov_b32 s19, exec_lo
	s_delay_alu instid0(VALU_DEP_1)
	v_cmpx_ne_u16_e32 0x80, v1
	s_cbranch_execz .LBB189_312
; %bb.307:                              ;   in Loop: Header=BB189_12 Depth=1
	v_mov_b64_e32 v[116:117], 0x7f800001
	v_and_b32_e32 v2, 0x7f, v0
	s_mov_b32 s20, exec_lo
	s_delay_alu instid0(VALU_DEP_1)
	v_cmpx_ne_u32_e32 0x7f, v2
	s_cbranch_execz .LBB189_311
; %bb.308:                              ;   in Loop: Header=BB189_12 Depth=1
	v_dual_lshrrev_b32 v1, 3, v2 :: v_dual_bitop2_b32 v24, 7, v0 bitop3:0x40
	s_mov_b32 s21, exec_lo
	v_cmpx_gt_u32_e32 8, v2
; %bb.309:                              ;   in Loop: Header=BB189_12 Depth=1
	s_delay_alu instid0(VALU_DEP_2) | instskip(NEXT) | instid1(VALU_DEP_1)
	v_clz_i32_u32_e32 v1, v24
	v_min_u32_e32 v1, 32, v1
	s_delay_alu instid0(VALU_DEP_1) | instskip(NEXT) | instid1(VALU_DEP_1)
	v_subrev_nc_u32_e32 v2, 28, v1
	v_lshlrev_b64_e32 v[2:3], v2, v[24:25]
	s_delay_alu instid0(VALU_DEP_1)
	v_dual_sub_nc_u32 v1, 29, v1 :: v_dual_bitop2_b32 v24, 7, v2 bitop3:0x40
; %bb.310:                              ;   in Loop: Header=BB189_12 Depth=1
	s_or_b32 exec_lo, exec_lo, s21
	v_lshlrev_b32_e32 v2, 24, v0
	s_delay_alu instid0(VALU_DEP_2) | instskip(NEXT) | instid1(VALU_DEP_3)
	v_lshlrev_b32_e32 v3, 20, v24
	v_lshl_add_u32 v1, v1, 23, 0x3c000000
	s_delay_alu instid0(VALU_DEP_3) | instskip(NEXT) | instid1(VALU_DEP_1)
	v_and_b32_e32 v2, 0x80000000, v2
	v_or3_b32 v24, v3, v2, v1
	s_delay_alu instid0(VALU_DEP_1)
	v_mov_b64_e32 v[116:117], v[24:25]
.LBB189_311:                            ;   in Loop: Header=BB189_12 Depth=1
	s_or_b32 exec_lo, exec_lo, s20
.LBB189_312:                            ;   in Loop: Header=BB189_12 Depth=1
	s_delay_alu instid0(SALU_CYCLE_1)
	s_or_b32 exec_lo, exec_lo, s19
.LBB189_313:                            ;   in Loop: Header=BB189_12 Depth=1
	s_delay_alu instid0(SALU_CYCLE_1) | instskip(SKIP_2) | instid1(VALU_DEP_1)
	s_or_b32 exec_lo, exec_lo, s18
	v_lshrrev_b16 v1, 8, v0
	s_mov_b32 s18, exec_lo
	v_cmpx_ne_u16_e32 0, v1
	s_cbranch_execz .LBB189_321
; %bb.314:                              ;   in Loop: Header=BB189_12 Depth=1
	v_mov_b64_e32 v[112:113], 0x8000000000000000
	s_mov_b32 s19, exec_lo
	v_cmpx_ne_u16_e32 0x80, v1
	s_cbranch_execz .LBB189_320
; %bb.315:                              ;   in Loop: Header=BB189_12 Depth=1
	v_and_b32_e32 v1, 0xffff, v1
	v_mov_b64_e32 v[112:113], 0x7f80000100000000
	s_mov_b32 s20, exec_lo
	s_delay_alu instid0(VALU_DEP_2) | instskip(NEXT) | instid1(VALU_DEP_1)
	v_and_b32_e32 v2, 0x7f, v1
	v_cmpx_ne_u32_e32 0x7f, v2
	s_cbranch_execz .LBB189_319
; %bb.316:                              ;   in Loop: Header=BB189_12 Depth=1
	v_dual_lshrrev_b32 v1, 3, v2 :: v_dual_bitop2_b32 v24, 7, v1 bitop3:0x40
	s_mov_b32 s21, exec_lo
	v_cmpx_gt_u32_e32 8, v2
; %bb.317:                              ;   in Loop: Header=BB189_12 Depth=1
	s_delay_alu instid0(VALU_DEP_2) | instskip(NEXT) | instid1(VALU_DEP_1)
	v_clz_i32_u32_e32 v1, v24
	v_min_u32_e32 v1, 32, v1
	s_delay_alu instid0(VALU_DEP_1) | instskip(NEXT) | instid1(VALU_DEP_1)
	v_subrev_nc_u32_e32 v2, 28, v1
	v_lshlrev_b64_e32 v[2:3], v2, v[24:25]
	s_delay_alu instid0(VALU_DEP_1)
	v_dual_sub_nc_u32 v1, 29, v1 :: v_dual_bitop2_b32 v24, 7, v2 bitop3:0x40
; %bb.318:                              ;   in Loop: Header=BB189_12 Depth=1
	s_or_b32 exec_lo, exec_lo, s21
	v_dual_lshlrev_b32 v0, 16, v0 :: v_dual_mov_b32 v112, v25
	s_delay_alu instid0(VALU_DEP_2) | instskip(NEXT) | instid1(VALU_DEP_3)
	v_lshlrev_b32_e32 v2, 20, v24
	v_lshl_add_u32 v1, v1, 23, 0x3c000000
	s_delay_alu instid0(VALU_DEP_3) | instskip(NEXT) | instid1(VALU_DEP_1)
	v_and_b32_e32 v0, 0x80000000, v0
	v_or3_b32 v113, v2, v0, v1
.LBB189_319:                            ;   in Loop: Header=BB189_12 Depth=1
	s_or_b32 exec_lo, exec_lo, s20
.LBB189_320:                            ;   in Loop: Header=BB189_12 Depth=1
	s_delay_alu instid0(SALU_CYCLE_1)
	s_or_b32 exec_lo, exec_lo, s19
.LBB189_321:                            ;   in Loop: Header=BB189_12 Depth=1
	s_delay_alu instid0(SALU_CYCLE_1)
	s_or_b32 exec_lo, exec_lo, s18
	flat_load_u16 v1, v[76:77] offset:1036
	v_mov_b64_e32 v[10:11], 0
	v_mov_b64_e32 v[102:103], 0
	s_mov_b32 s18, exec_lo
	s_wait_loadcnt_dscnt 0x0
	v_and_b32_e32 v0, 0xffff, v1
	v_and_b32_e32 v1, 0xff, v1
	s_wait_xcnt 0x0
	s_delay_alu instid0(VALU_DEP_1)
	v_cmpx_ne_u16_e32 0, v1
	s_cbranch_execz .LBB189_329
; %bb.322:                              ;   in Loop: Header=BB189_12 Depth=1
	v_mov_b64_e32 v[102:103], 0x80000000
	v_and_b32_e32 v1, 0xff, v0
	s_mov_b32 s19, exec_lo
	s_delay_alu instid0(VALU_DEP_1)
	v_cmpx_ne_u16_e32 0x80, v1
	s_cbranch_execz .LBB189_328
; %bb.323:                              ;   in Loop: Header=BB189_12 Depth=1
	v_mov_b64_e32 v[102:103], 0x7f800001
	v_and_b32_e32 v2, 0x7f, v0
	s_mov_b32 s20, exec_lo
	s_delay_alu instid0(VALU_DEP_1)
	v_cmpx_ne_u32_e32 0x7f, v2
	s_cbranch_execz .LBB189_327
; %bb.324:                              ;   in Loop: Header=BB189_12 Depth=1
	v_dual_lshrrev_b32 v1, 3, v2 :: v_dual_bitop2_b32 v24, 7, v0 bitop3:0x40
	s_mov_b32 s21, exec_lo
	v_cmpx_gt_u32_e32 8, v2
; %bb.325:                              ;   in Loop: Header=BB189_12 Depth=1
	s_delay_alu instid0(VALU_DEP_2) | instskip(NEXT) | instid1(VALU_DEP_1)
	v_clz_i32_u32_e32 v1, v24
	v_min_u32_e32 v1, 32, v1
	s_delay_alu instid0(VALU_DEP_1) | instskip(NEXT) | instid1(VALU_DEP_1)
	v_subrev_nc_u32_e32 v2, 28, v1
	v_lshlrev_b64_e32 v[2:3], v2, v[24:25]
	s_delay_alu instid0(VALU_DEP_1)
	v_dual_sub_nc_u32 v1, 29, v1 :: v_dual_bitop2_b32 v24, 7, v2 bitop3:0x40
; %bb.326:                              ;   in Loop: Header=BB189_12 Depth=1
	s_or_b32 exec_lo, exec_lo, s21
	v_lshlrev_b32_e32 v2, 24, v0
	s_delay_alu instid0(VALU_DEP_2) | instskip(NEXT) | instid1(VALU_DEP_3)
	v_lshlrev_b32_e32 v3, 20, v24
	v_lshl_add_u32 v1, v1, 23, 0x3c000000
	s_delay_alu instid0(VALU_DEP_3) | instskip(NEXT) | instid1(VALU_DEP_1)
	v_and_b32_e32 v2, 0x80000000, v2
	v_or3_b32 v24, v3, v2, v1
	s_delay_alu instid0(VALU_DEP_1)
	v_mov_b64_e32 v[102:103], v[24:25]
.LBB189_327:                            ;   in Loop: Header=BB189_12 Depth=1
	s_or_b32 exec_lo, exec_lo, s20
.LBB189_328:                            ;   in Loop: Header=BB189_12 Depth=1
	s_delay_alu instid0(SALU_CYCLE_1)
	s_or_b32 exec_lo, exec_lo, s19
.LBB189_329:                            ;   in Loop: Header=BB189_12 Depth=1
	s_delay_alu instid0(SALU_CYCLE_1) | instskip(SKIP_2) | instid1(VALU_DEP_1)
	s_or_b32 exec_lo, exec_lo, s18
	v_lshrrev_b16 v1, 8, v0
	s_mov_b32 s18, exec_lo
	v_cmpx_ne_u16_e32 0, v1
	s_cbranch_execz .LBB189_337
; %bb.330:                              ;   in Loop: Header=BB189_12 Depth=1
	v_mov_b64_e32 v[10:11], 0x8000000000000000
	s_mov_b32 s19, exec_lo
	v_cmpx_ne_u16_e32 0x80, v1
	s_cbranch_execz .LBB189_336
; %bb.331:                              ;   in Loop: Header=BB189_12 Depth=1
	v_and_b32_e32 v1, 0xffff, v1
	v_mov_b64_e32 v[10:11], 0x7f80000100000000
	s_mov_b32 s20, exec_lo
	s_delay_alu instid0(VALU_DEP_2) | instskip(NEXT) | instid1(VALU_DEP_1)
	v_and_b32_e32 v2, 0x7f, v1
	v_cmpx_ne_u32_e32 0x7f, v2
	s_cbranch_execz .LBB189_335
; %bb.332:                              ;   in Loop: Header=BB189_12 Depth=1
	v_dual_lshrrev_b32 v1, 3, v2 :: v_dual_bitop2_b32 v24, 7, v1 bitop3:0x40
	s_mov_b32 s21, exec_lo
	v_cmpx_gt_u32_e32 8, v2
; %bb.333:                              ;   in Loop: Header=BB189_12 Depth=1
	s_delay_alu instid0(VALU_DEP_2) | instskip(NEXT) | instid1(VALU_DEP_1)
	v_clz_i32_u32_e32 v1, v24
	v_min_u32_e32 v1, 32, v1
	s_delay_alu instid0(VALU_DEP_1) | instskip(NEXT) | instid1(VALU_DEP_1)
	v_subrev_nc_u32_e32 v2, 28, v1
	v_lshlrev_b64_e32 v[2:3], v2, v[24:25]
	s_delay_alu instid0(VALU_DEP_1)
	v_dual_sub_nc_u32 v1, 29, v1 :: v_dual_bitop2_b32 v24, 7, v2 bitop3:0x40
; %bb.334:                              ;   in Loop: Header=BB189_12 Depth=1
	s_or_b32 exec_lo, exec_lo, s21
	v_dual_lshlrev_b32 v0, 16, v0 :: v_dual_mov_b32 v10, v25
	s_delay_alu instid0(VALU_DEP_2) | instskip(NEXT) | instid1(VALU_DEP_3)
	v_lshlrev_b32_e32 v2, 20, v24
	v_lshl_add_u32 v1, v1, 23, 0x3c000000
	s_delay_alu instid0(VALU_DEP_3) | instskip(NEXT) | instid1(VALU_DEP_1)
	v_and_b32_e32 v0, 0x80000000, v0
	v_or3_b32 v11, v2, v0, v1
.LBB189_335:                            ;   in Loop: Header=BB189_12 Depth=1
	s_or_b32 exec_lo, exec_lo, s20
.LBB189_336:                            ;   in Loop: Header=BB189_12 Depth=1
	s_delay_alu instid0(SALU_CYCLE_1)
	s_or_b32 exec_lo, exec_lo, s19
.LBB189_337:                            ;   in Loop: Header=BB189_12 Depth=1
	s_delay_alu instid0(SALU_CYCLE_1)
	s_or_b32 exec_lo, exec_lo, s18
	flat_load_u16 v1, v[76:77] offset:1280
	v_mov_b64_e32 v[54:55], 0
	v_mov_b64_e32 v[4:5], 0
	s_mov_b32 s18, exec_lo
	s_wait_loadcnt_dscnt 0x0
	v_and_b32_e32 v0, 0xffff, v1
	v_and_b32_e32 v1, 0xff, v1
	s_wait_xcnt 0x0
	s_delay_alu instid0(VALU_DEP_1)
	v_cmpx_ne_u16_e32 0, v1
	s_cbranch_execz .LBB189_345
; %bb.338:                              ;   in Loop: Header=BB189_12 Depth=1
	v_mov_b64_e32 v[4:5], 0x80000000
	v_and_b32_e32 v1, 0xff, v0
	s_mov_b32 s19, exec_lo
	s_delay_alu instid0(VALU_DEP_1)
	v_cmpx_ne_u16_e32 0x80, v1
	s_cbranch_execz .LBB189_344
; %bb.339:                              ;   in Loop: Header=BB189_12 Depth=1
	v_mov_b64_e32 v[4:5], 0x7f800001
	v_and_b32_e32 v2, 0x7f, v0
	s_mov_b32 s20, exec_lo
	s_delay_alu instid0(VALU_DEP_1)
	v_cmpx_ne_u32_e32 0x7f, v2
	s_cbranch_execz .LBB189_343
; %bb.340:                              ;   in Loop: Header=BB189_12 Depth=1
	v_dual_lshrrev_b32 v1, 3, v2 :: v_dual_bitop2_b32 v24, 7, v0 bitop3:0x40
	s_mov_b32 s21, exec_lo
	v_cmpx_gt_u32_e32 8, v2
; %bb.341:                              ;   in Loop: Header=BB189_12 Depth=1
	s_delay_alu instid0(VALU_DEP_2) | instskip(NEXT) | instid1(VALU_DEP_1)
	v_clz_i32_u32_e32 v1, v24
	v_min_u32_e32 v1, 32, v1
	s_delay_alu instid0(VALU_DEP_1) | instskip(NEXT) | instid1(VALU_DEP_1)
	v_subrev_nc_u32_e32 v2, 28, v1
	v_lshlrev_b64_e32 v[2:3], v2, v[24:25]
	s_delay_alu instid0(VALU_DEP_1)
	v_dual_sub_nc_u32 v1, 29, v1 :: v_dual_bitop2_b32 v24, 7, v2 bitop3:0x40
; %bb.342:                              ;   in Loop: Header=BB189_12 Depth=1
	s_or_b32 exec_lo, exec_lo, s21
	v_lshlrev_b32_e32 v2, 24, v0
	s_delay_alu instid0(VALU_DEP_2) | instskip(NEXT) | instid1(VALU_DEP_3)
	v_lshlrev_b32_e32 v3, 20, v24
	v_lshl_add_u32 v1, v1, 23, 0x3c000000
	s_delay_alu instid0(VALU_DEP_3) | instskip(NEXT) | instid1(VALU_DEP_1)
	v_and_b32_e32 v2, 0x80000000, v2
	v_or3_b32 v24, v3, v2, v1
	s_delay_alu instid0(VALU_DEP_1)
	v_mov_b64_e32 v[4:5], v[24:25]
.LBB189_343:                            ;   in Loop: Header=BB189_12 Depth=1
	s_or_b32 exec_lo, exec_lo, s20
.LBB189_344:                            ;   in Loop: Header=BB189_12 Depth=1
	s_delay_alu instid0(SALU_CYCLE_1)
	s_or_b32 exec_lo, exec_lo, s19
.LBB189_345:                            ;   in Loop: Header=BB189_12 Depth=1
	s_delay_alu instid0(SALU_CYCLE_1) | instskip(SKIP_2) | instid1(VALU_DEP_1)
	s_or_b32 exec_lo, exec_lo, s18
	v_lshrrev_b16 v1, 8, v0
	s_mov_b32 s18, exec_lo
	v_cmpx_ne_u16_e32 0, v1
	s_cbranch_execz .LBB189_353
; %bb.346:                              ;   in Loop: Header=BB189_12 Depth=1
	v_mov_b64_e32 v[54:55], 0x8000000000000000
	s_mov_b32 s19, exec_lo
	v_cmpx_ne_u16_e32 0x80, v1
	s_cbranch_execz .LBB189_352
; %bb.347:                              ;   in Loop: Header=BB189_12 Depth=1
	v_and_b32_e32 v1, 0xffff, v1
	v_mov_b64_e32 v[54:55], 0x7f80000100000000
	s_mov_b32 s20, exec_lo
	s_delay_alu instid0(VALU_DEP_2) | instskip(NEXT) | instid1(VALU_DEP_1)
	v_and_b32_e32 v2, 0x7f, v1
	v_cmpx_ne_u32_e32 0x7f, v2
	s_cbranch_execz .LBB189_351
; %bb.348:                              ;   in Loop: Header=BB189_12 Depth=1
	v_dual_lshrrev_b32 v1, 3, v2 :: v_dual_bitop2_b32 v24, 7, v1 bitop3:0x40
	s_mov_b32 s21, exec_lo
	v_cmpx_gt_u32_e32 8, v2
; %bb.349:                              ;   in Loop: Header=BB189_12 Depth=1
	s_delay_alu instid0(VALU_DEP_2) | instskip(NEXT) | instid1(VALU_DEP_1)
	v_clz_i32_u32_e32 v1, v24
	v_min_u32_e32 v1, 32, v1
	s_delay_alu instid0(VALU_DEP_1) | instskip(NEXT) | instid1(VALU_DEP_1)
	v_subrev_nc_u32_e32 v2, 28, v1
	v_lshlrev_b64_e32 v[2:3], v2, v[24:25]
	s_delay_alu instid0(VALU_DEP_1)
	v_dual_sub_nc_u32 v1, 29, v1 :: v_dual_bitop2_b32 v24, 7, v2 bitop3:0x40
; %bb.350:                              ;   in Loop: Header=BB189_12 Depth=1
	s_or_b32 exec_lo, exec_lo, s21
	v_dual_lshlrev_b32 v0, 16, v0 :: v_dual_mov_b32 v54, v25
	s_delay_alu instid0(VALU_DEP_2) | instskip(NEXT) | instid1(VALU_DEP_3)
	v_lshlrev_b32_e32 v2, 20, v24
	v_lshl_add_u32 v1, v1, 23, 0x3c000000
	s_delay_alu instid0(VALU_DEP_3) | instskip(NEXT) | instid1(VALU_DEP_1)
	v_and_b32_e32 v0, 0x80000000, v0
	v_or3_b32 v55, v2, v0, v1
.LBB189_351:                            ;   in Loop: Header=BB189_12 Depth=1
	s_or_b32 exec_lo, exec_lo, s20
.LBB189_352:                            ;   in Loop: Header=BB189_12 Depth=1
	s_delay_alu instid0(SALU_CYCLE_1)
	s_or_b32 exec_lo, exec_lo, s19
.LBB189_353:                            ;   in Loop: Header=BB189_12 Depth=1
	s_delay_alu instid0(SALU_CYCLE_1)
	s_or_b32 exec_lo, exec_lo, s18
	flat_load_u16 v1, v[76:77] offset:1284
	v_mov_b64_e32 v[2:3], 0
	s_mov_b32 s18, exec_lo
	scratch_store_b64 off, v[2:3], s32 offset:224 ; 8-byte Folded Spill
	s_wait_xcnt 0x0
	v_mov_b64_e32 v[2:3], 0
	scratch_store_b64 off, v[2:3], s32 offset:232 ; 8-byte Folded Spill
	s_wait_loadcnt_dscnt 0x0
	v_and_b32_e32 v0, 0xffff, v1
	v_and_b32_e32 v1, 0xff, v1
	s_wait_xcnt 0x0
	s_delay_alu instid0(VALU_DEP_1)
	v_cmpx_ne_u16_e32 0, v1
	s_cbranch_execz .LBB189_361
; %bb.354:                              ;   in Loop: Header=BB189_12 Depth=1
	v_mov_b64_e32 v[2:3], 0x80000000
	v_and_b32_e32 v1, 0xff, v0
	s_mov_b32 s19, exec_lo
	scratch_store_b64 off, v[2:3], s32 offset:232 ; 8-byte Folded Spill
	s_wait_xcnt 0x0
	v_cmpx_ne_u16_e32 0x80, v1
	s_cbranch_execz .LBB189_360
; %bb.355:                              ;   in Loop: Header=BB189_12 Depth=1
	v_mov_b64_e32 v[12:13], 0x7f800001
	v_and_b32_e32 v2, 0x7f, v0
	s_mov_b32 s20, exec_lo
	scratch_store_b64 off, v[12:13], s32 offset:232 ; 8-byte Folded Spill
	s_wait_xcnt 0x0
	v_cmpx_ne_u32_e32 0x7f, v2
	s_cbranch_execz .LBB189_359
; %bb.356:                              ;   in Loop: Header=BB189_12 Depth=1
	v_dual_lshrrev_b32 v1, 3, v2 :: v_dual_bitop2_b32 v24, 7, v0 bitop3:0x40
	s_mov_b32 s21, exec_lo
	v_cmpx_gt_u32_e32 8, v2
; %bb.357:                              ;   in Loop: Header=BB189_12 Depth=1
	s_delay_alu instid0(VALU_DEP_2) | instskip(NEXT) | instid1(VALU_DEP_1)
	v_clz_i32_u32_e32 v1, v24
	v_min_u32_e32 v1, 32, v1
	s_delay_alu instid0(VALU_DEP_1) | instskip(NEXT) | instid1(VALU_DEP_1)
	v_subrev_nc_u32_e32 v2, 28, v1
	v_lshlrev_b64_e32 v[2:3], v2, v[24:25]
	s_delay_alu instid0(VALU_DEP_1)
	v_dual_sub_nc_u32 v1, 29, v1 :: v_dual_bitop2_b32 v24, 7, v2 bitop3:0x40
; %bb.358:                              ;   in Loop: Header=BB189_12 Depth=1
	s_or_b32 exec_lo, exec_lo, s21
	v_lshlrev_b32_e32 v2, 24, v0
	s_delay_alu instid0(VALU_DEP_2) | instskip(NEXT) | instid1(VALU_DEP_3)
	v_lshlrev_b32_e32 v3, 20, v24
	v_lshl_add_u32 v1, v1, 23, 0x3c000000
	s_delay_alu instid0(VALU_DEP_3) | instskip(NEXT) | instid1(VALU_DEP_1)
	v_and_b32_e32 v2, 0x80000000, v2
	v_or3_b32 v24, v3, v2, v1
	scratch_store_b64 off, v[24:25], s32 offset:232 ; 8-byte Folded Spill
.LBB189_359:                            ;   in Loop: Header=BB189_12 Depth=1
	s_wait_xcnt 0x0
	s_or_b32 exec_lo, exec_lo, s20
.LBB189_360:                            ;   in Loop: Header=BB189_12 Depth=1
	s_delay_alu instid0(SALU_CYCLE_1)
	s_or_b32 exec_lo, exec_lo, s19
.LBB189_361:                            ;   in Loop: Header=BB189_12 Depth=1
	s_delay_alu instid0(SALU_CYCLE_1) | instskip(SKIP_2) | instid1(VALU_DEP_1)
	s_or_b32 exec_lo, exec_lo, s18
	v_lshrrev_b16 v1, 8, v0
	s_mov_b32 s18, exec_lo
	v_cmpx_ne_u16_e32 0, v1
	s_cbranch_execz .LBB189_369
; %bb.362:                              ;   in Loop: Header=BB189_12 Depth=1
	v_mov_b64_e32 v[2:3], 0x8000000000000000
	s_mov_b32 s19, exec_lo
	scratch_store_b64 off, v[2:3], s32 offset:224 ; 8-byte Folded Spill
	s_wait_xcnt 0x0
	v_cmpx_ne_u16_e32 0x80, v1
	s_cbranch_execz .LBB189_368
; %bb.363:                              ;   in Loop: Header=BB189_12 Depth=1
	v_and_b32_e32 v1, 0xffff, v1
	v_mov_b64_e32 v[12:13], 0x7f80000100000000
	s_mov_b32 s20, exec_lo
	s_delay_alu instid0(VALU_DEP_2)
	v_and_b32_e32 v2, 0x7f, v1
	scratch_store_b64 off, v[12:13], s32 offset:224 ; 8-byte Folded Spill
	s_wait_xcnt 0x0
	v_cmpx_ne_u32_e32 0x7f, v2
	s_cbranch_execz .LBB189_367
; %bb.364:                              ;   in Loop: Header=BB189_12 Depth=1
	v_dual_lshrrev_b32 v1, 3, v2 :: v_dual_bitop2_b32 v24, 7, v1 bitop3:0x40
	s_mov_b32 s21, exec_lo
	v_cmpx_gt_u32_e32 8, v2
; %bb.365:                              ;   in Loop: Header=BB189_12 Depth=1
	s_delay_alu instid0(VALU_DEP_2) | instskip(NEXT) | instid1(VALU_DEP_1)
	v_clz_i32_u32_e32 v1, v24
	v_min_u32_e32 v1, 32, v1
	s_delay_alu instid0(VALU_DEP_1) | instskip(NEXT) | instid1(VALU_DEP_1)
	v_subrev_nc_u32_e32 v2, 28, v1
	v_lshlrev_b64_e32 v[2:3], v2, v[24:25]
	s_delay_alu instid0(VALU_DEP_1)
	v_dual_sub_nc_u32 v1, 29, v1 :: v_dual_bitop2_b32 v24, 7, v2 bitop3:0x40
; %bb.366:                              ;   in Loop: Header=BB189_12 Depth=1
	s_or_b32 exec_lo, exec_lo, s21
	v_lshlrev_b32_e32 v0, 16, v0
	s_delay_alu instid0(VALU_DEP_2) | instskip(NEXT) | instid1(VALU_DEP_3)
	v_lshlrev_b32_e32 v2, 20, v24
	v_lshl_add_u32 v1, v1, 23, 0x3c000000
	s_delay_alu instid0(VALU_DEP_3) | instskip(NEXT) | instid1(VALU_DEP_1)
	v_and_b32_e32 v0, 0x80000000, v0
	v_or3_b32 v1, v2, v0, v1
	v_mov_b32_e32 v0, v25
	scratch_store_b64 off, v[0:1], s32 offset:224 ; 8-byte Folded Spill
.LBB189_367:                            ;   in Loop: Header=BB189_12 Depth=1
	s_wait_xcnt 0x0
	s_or_b32 exec_lo, exec_lo, s20
.LBB189_368:                            ;   in Loop: Header=BB189_12 Depth=1
	s_delay_alu instid0(SALU_CYCLE_1)
	s_or_b32 exec_lo, exec_lo, s19
.LBB189_369:                            ;   in Loop: Header=BB189_12 Depth=1
	s_delay_alu instid0(SALU_CYCLE_1)
	s_or_b32 exec_lo, exec_lo, s18
	flat_load_u16 v1, v[76:77] offset:1288
	v_mov_b64_e32 v[2:3], 0
	s_mov_b32 s18, exec_lo
	scratch_store_b64 off, v[2:3], s32 offset:240 ; 8-byte Folded Spill
	s_wait_xcnt 0x0
	v_mov_b64_e32 v[2:3], 0
	scratch_store_b64 off, v[2:3], s32 offset:248 ; 8-byte Folded Spill
	s_wait_loadcnt_dscnt 0x0
	v_and_b32_e32 v0, 0xffff, v1
	v_and_b32_e32 v1, 0xff, v1
	s_wait_xcnt 0x0
	s_delay_alu instid0(VALU_DEP_1)
	v_cmpx_ne_u16_e32 0, v1
	s_cbranch_execz .LBB189_377
; %bb.370:                              ;   in Loop: Header=BB189_12 Depth=1
	v_mov_b64_e32 v[2:3], 0x80000000
	v_and_b32_e32 v1, 0xff, v0
	s_mov_b32 s19, exec_lo
	scratch_store_b64 off, v[2:3], s32 offset:248 ; 8-byte Folded Spill
	s_wait_xcnt 0x0
	v_cmpx_ne_u16_e32 0x80, v1
	s_cbranch_execz .LBB189_376
; %bb.371:                              ;   in Loop: Header=BB189_12 Depth=1
	v_mov_b64_e32 v[12:13], 0x7f800001
	v_and_b32_e32 v2, 0x7f, v0
	s_mov_b32 s20, exec_lo
	scratch_store_b64 off, v[12:13], s32 offset:248 ; 8-byte Folded Spill
	s_wait_xcnt 0x0
	v_cmpx_ne_u32_e32 0x7f, v2
	s_cbranch_execz .LBB189_375
; %bb.372:                              ;   in Loop: Header=BB189_12 Depth=1
	v_dual_lshrrev_b32 v1, 3, v2 :: v_dual_bitop2_b32 v24, 7, v0 bitop3:0x40
	s_mov_b32 s21, exec_lo
	v_cmpx_gt_u32_e32 8, v2
; %bb.373:                              ;   in Loop: Header=BB189_12 Depth=1
	s_delay_alu instid0(VALU_DEP_2) | instskip(NEXT) | instid1(VALU_DEP_1)
	v_clz_i32_u32_e32 v1, v24
	v_min_u32_e32 v1, 32, v1
	s_delay_alu instid0(VALU_DEP_1) | instskip(NEXT) | instid1(VALU_DEP_1)
	v_subrev_nc_u32_e32 v2, 28, v1
	v_lshlrev_b64_e32 v[2:3], v2, v[24:25]
	s_delay_alu instid0(VALU_DEP_1)
	v_dual_sub_nc_u32 v1, 29, v1 :: v_dual_bitop2_b32 v24, 7, v2 bitop3:0x40
; %bb.374:                              ;   in Loop: Header=BB189_12 Depth=1
	s_or_b32 exec_lo, exec_lo, s21
	v_lshlrev_b32_e32 v2, 24, v0
	s_delay_alu instid0(VALU_DEP_2) | instskip(NEXT) | instid1(VALU_DEP_3)
	v_lshlrev_b32_e32 v3, 20, v24
	v_lshl_add_u32 v1, v1, 23, 0x3c000000
	s_delay_alu instid0(VALU_DEP_3) | instskip(NEXT) | instid1(VALU_DEP_1)
	v_and_b32_e32 v2, 0x80000000, v2
	v_or3_b32 v24, v3, v2, v1
	scratch_store_b64 off, v[24:25], s32 offset:248 ; 8-byte Folded Spill
.LBB189_375:                            ;   in Loop: Header=BB189_12 Depth=1
	s_wait_xcnt 0x0
	s_or_b32 exec_lo, exec_lo, s20
.LBB189_376:                            ;   in Loop: Header=BB189_12 Depth=1
	s_delay_alu instid0(SALU_CYCLE_1)
	s_or_b32 exec_lo, exec_lo, s19
.LBB189_377:                            ;   in Loop: Header=BB189_12 Depth=1
	s_delay_alu instid0(SALU_CYCLE_1) | instskip(SKIP_2) | instid1(VALU_DEP_1)
	s_or_b32 exec_lo, exec_lo, s18
	v_lshrrev_b16 v1, 8, v0
	s_mov_b32 s18, exec_lo
	v_cmpx_ne_u16_e32 0, v1
	s_cbranch_execz .LBB189_385
; %bb.378:                              ;   in Loop: Header=BB189_12 Depth=1
	v_mov_b64_e32 v[2:3], 0x8000000000000000
	s_mov_b32 s19, exec_lo
	scratch_store_b64 off, v[2:3], s32 offset:240 ; 8-byte Folded Spill
	s_wait_xcnt 0x0
	v_cmpx_ne_u16_e32 0x80, v1
	s_cbranch_execz .LBB189_384
; %bb.379:                              ;   in Loop: Header=BB189_12 Depth=1
	v_and_b32_e32 v1, 0xffff, v1
	v_mov_b64_e32 v[12:13], 0x7f80000100000000
	s_mov_b32 s20, exec_lo
	s_delay_alu instid0(VALU_DEP_2)
	v_and_b32_e32 v2, 0x7f, v1
	scratch_store_b64 off, v[12:13], s32 offset:240 ; 8-byte Folded Spill
	s_wait_xcnt 0x0
	v_cmpx_ne_u32_e32 0x7f, v2
	s_cbranch_execz .LBB189_383
; %bb.380:                              ;   in Loop: Header=BB189_12 Depth=1
	v_dual_lshrrev_b32 v1, 3, v2 :: v_dual_bitop2_b32 v24, 7, v1 bitop3:0x40
	s_mov_b32 s21, exec_lo
	v_cmpx_gt_u32_e32 8, v2
; %bb.381:                              ;   in Loop: Header=BB189_12 Depth=1
	s_delay_alu instid0(VALU_DEP_2) | instskip(NEXT) | instid1(VALU_DEP_1)
	v_clz_i32_u32_e32 v1, v24
	v_min_u32_e32 v1, 32, v1
	s_delay_alu instid0(VALU_DEP_1) | instskip(NEXT) | instid1(VALU_DEP_1)
	v_subrev_nc_u32_e32 v2, 28, v1
	v_lshlrev_b64_e32 v[2:3], v2, v[24:25]
	s_delay_alu instid0(VALU_DEP_1)
	v_dual_sub_nc_u32 v1, 29, v1 :: v_dual_bitop2_b32 v24, 7, v2 bitop3:0x40
; %bb.382:                              ;   in Loop: Header=BB189_12 Depth=1
	s_or_b32 exec_lo, exec_lo, s21
	v_lshlrev_b32_e32 v0, 16, v0
	s_delay_alu instid0(VALU_DEP_2) | instskip(NEXT) | instid1(VALU_DEP_3)
	v_lshlrev_b32_e32 v2, 20, v24
	v_lshl_add_u32 v1, v1, 23, 0x3c000000
	s_delay_alu instid0(VALU_DEP_3) | instskip(NEXT) | instid1(VALU_DEP_1)
	v_and_b32_e32 v0, 0x80000000, v0
	v_or3_b32 v1, v2, v0, v1
	v_mov_b32_e32 v0, v25
	scratch_store_b64 off, v[0:1], s32 offset:240 ; 8-byte Folded Spill
.LBB189_383:                            ;   in Loop: Header=BB189_12 Depth=1
	s_wait_xcnt 0x0
	s_or_b32 exec_lo, exec_lo, s20
.LBB189_384:                            ;   in Loop: Header=BB189_12 Depth=1
	s_delay_alu instid0(SALU_CYCLE_1)
	s_or_b32 exec_lo, exec_lo, s19
.LBB189_385:                            ;   in Loop: Header=BB189_12 Depth=1
	s_delay_alu instid0(SALU_CYCLE_1)
	s_or_b32 exec_lo, exec_lo, s18
	flat_load_u16 v1, v[76:77] offset:1292
	v_mov_b64_e32 v[2:3], 0
	s_mov_b32 s18, exec_lo
	scratch_store_b64 off, v[2:3], s32 offset:256 ; 8-byte Folded Spill
	s_wait_xcnt 0x0
	v_mov_b64_e32 v[2:3], 0
	scratch_store_b64 off, v[2:3], s32 offset:264 ; 8-byte Folded Spill
	s_wait_loadcnt_dscnt 0x0
	v_and_b32_e32 v0, 0xffff, v1
	v_and_b32_e32 v1, 0xff, v1
	s_wait_xcnt 0x0
	s_delay_alu instid0(VALU_DEP_1)
	v_cmpx_ne_u16_e32 0, v1
	s_cbranch_execz .LBB189_393
; %bb.386:                              ;   in Loop: Header=BB189_12 Depth=1
	v_mov_b64_e32 v[2:3], 0x80000000
	v_and_b32_e32 v1, 0xff, v0
	s_mov_b32 s19, exec_lo
	scratch_store_b64 off, v[2:3], s32 offset:264 ; 8-byte Folded Spill
	s_wait_xcnt 0x0
	v_cmpx_ne_u16_e32 0x80, v1
	s_cbranch_execz .LBB189_392
; %bb.387:                              ;   in Loop: Header=BB189_12 Depth=1
	v_mov_b64_e32 v[12:13], 0x7f800001
	v_and_b32_e32 v2, 0x7f, v0
	s_mov_b32 s20, exec_lo
	scratch_store_b64 off, v[12:13], s32 offset:264 ; 8-byte Folded Spill
	s_wait_xcnt 0x0
	v_cmpx_ne_u32_e32 0x7f, v2
	s_cbranch_execz .LBB189_391
; %bb.388:                              ;   in Loop: Header=BB189_12 Depth=1
	v_dual_lshrrev_b32 v1, 3, v2 :: v_dual_bitop2_b32 v24, 7, v0 bitop3:0x40
	s_mov_b32 s21, exec_lo
	v_cmpx_gt_u32_e32 8, v2
; %bb.389:                              ;   in Loop: Header=BB189_12 Depth=1
	s_delay_alu instid0(VALU_DEP_2) | instskip(NEXT) | instid1(VALU_DEP_1)
	v_clz_i32_u32_e32 v1, v24
	v_min_u32_e32 v1, 32, v1
	s_delay_alu instid0(VALU_DEP_1) | instskip(NEXT) | instid1(VALU_DEP_1)
	v_subrev_nc_u32_e32 v2, 28, v1
	v_lshlrev_b64_e32 v[2:3], v2, v[24:25]
	s_delay_alu instid0(VALU_DEP_1)
	v_dual_sub_nc_u32 v1, 29, v1 :: v_dual_bitop2_b32 v24, 7, v2 bitop3:0x40
; %bb.390:                              ;   in Loop: Header=BB189_12 Depth=1
	s_or_b32 exec_lo, exec_lo, s21
	v_lshlrev_b32_e32 v2, 24, v0
	s_delay_alu instid0(VALU_DEP_2) | instskip(NEXT) | instid1(VALU_DEP_3)
	v_lshlrev_b32_e32 v3, 20, v24
	v_lshl_add_u32 v1, v1, 23, 0x3c000000
	s_delay_alu instid0(VALU_DEP_3) | instskip(NEXT) | instid1(VALU_DEP_1)
	v_and_b32_e32 v2, 0x80000000, v2
	v_or3_b32 v24, v3, v2, v1
	scratch_store_b64 off, v[24:25], s32 offset:264 ; 8-byte Folded Spill
.LBB189_391:                            ;   in Loop: Header=BB189_12 Depth=1
	s_wait_xcnt 0x0
	s_or_b32 exec_lo, exec_lo, s20
.LBB189_392:                            ;   in Loop: Header=BB189_12 Depth=1
	s_delay_alu instid0(SALU_CYCLE_1)
	s_or_b32 exec_lo, exec_lo, s19
.LBB189_393:                            ;   in Loop: Header=BB189_12 Depth=1
	s_delay_alu instid0(SALU_CYCLE_1) | instskip(SKIP_2) | instid1(VALU_DEP_1)
	s_or_b32 exec_lo, exec_lo, s18
	v_lshrrev_b16 v1, 8, v0
	s_mov_b32 s18, exec_lo
	v_cmpx_ne_u16_e32 0, v1
	s_cbranch_execz .LBB189_401
; %bb.394:                              ;   in Loop: Header=BB189_12 Depth=1
	v_mov_b64_e32 v[2:3], 0x8000000000000000
	s_mov_b32 s19, exec_lo
	scratch_store_b64 off, v[2:3], s32 offset:256 ; 8-byte Folded Spill
	s_wait_xcnt 0x0
	v_cmpx_ne_u16_e32 0x80, v1
	s_cbranch_execz .LBB189_400
; %bb.395:                              ;   in Loop: Header=BB189_12 Depth=1
	v_and_b32_e32 v1, 0xffff, v1
	v_mov_b64_e32 v[12:13], 0x7f80000100000000
	s_mov_b32 s20, exec_lo
	s_delay_alu instid0(VALU_DEP_2)
	v_and_b32_e32 v2, 0x7f, v1
	scratch_store_b64 off, v[12:13], s32 offset:256 ; 8-byte Folded Spill
	s_wait_xcnt 0x0
	v_cmpx_ne_u32_e32 0x7f, v2
	s_cbranch_execz .LBB189_399
; %bb.396:                              ;   in Loop: Header=BB189_12 Depth=1
	v_dual_lshrrev_b32 v1, 3, v2 :: v_dual_bitop2_b32 v24, 7, v1 bitop3:0x40
	s_mov_b32 s21, exec_lo
	v_cmpx_gt_u32_e32 8, v2
; %bb.397:                              ;   in Loop: Header=BB189_12 Depth=1
	s_delay_alu instid0(VALU_DEP_2) | instskip(NEXT) | instid1(VALU_DEP_1)
	v_clz_i32_u32_e32 v1, v24
	v_min_u32_e32 v1, 32, v1
	s_delay_alu instid0(VALU_DEP_1) | instskip(NEXT) | instid1(VALU_DEP_1)
	v_subrev_nc_u32_e32 v2, 28, v1
	v_lshlrev_b64_e32 v[2:3], v2, v[24:25]
	s_delay_alu instid0(VALU_DEP_1)
	v_dual_sub_nc_u32 v1, 29, v1 :: v_dual_bitop2_b32 v24, 7, v2 bitop3:0x40
; %bb.398:                              ;   in Loop: Header=BB189_12 Depth=1
	s_or_b32 exec_lo, exec_lo, s21
	v_lshlrev_b32_e32 v0, 16, v0
	s_delay_alu instid0(VALU_DEP_2) | instskip(NEXT) | instid1(VALU_DEP_3)
	v_lshlrev_b32_e32 v2, 20, v24
	v_lshl_add_u32 v1, v1, 23, 0x3c000000
	s_delay_alu instid0(VALU_DEP_3) | instskip(NEXT) | instid1(VALU_DEP_1)
	v_and_b32_e32 v0, 0x80000000, v0
	v_or3_b32 v1, v2, v0, v1
	v_mov_b32_e32 v0, v25
	scratch_store_b64 off, v[0:1], s32 offset:256 ; 8-byte Folded Spill
.LBB189_399:                            ;   in Loop: Header=BB189_12 Depth=1
	s_wait_xcnt 0x0
	s_or_b32 exec_lo, exec_lo, s20
.LBB189_400:                            ;   in Loop: Header=BB189_12 Depth=1
	s_delay_alu instid0(SALU_CYCLE_1)
	s_or_b32 exec_lo, exec_lo, s19
.LBB189_401:                            ;   in Loop: Header=BB189_12 Depth=1
	s_delay_alu instid0(SALU_CYCLE_1)
	s_or_b32 exec_lo, exec_lo, s18
	flat_load_u16 v1, v[76:77] offset:1536
	v_mov_b64_e32 v[2:3], 0
	s_mov_b32 s18, exec_lo
	scratch_store_b64 off, v[2:3], s32 offset:272 ; 8-byte Folded Spill
	s_wait_xcnt 0x0
	v_mov_b64_e32 v[2:3], 0
	scratch_store_b64 off, v[2:3], s32 offset:280 ; 8-byte Folded Spill
	s_wait_loadcnt_dscnt 0x0
	v_and_b32_e32 v0, 0xffff, v1
	v_and_b32_e32 v1, 0xff, v1
	s_wait_xcnt 0x0
	s_delay_alu instid0(VALU_DEP_1)
	v_cmpx_ne_u16_e32 0, v1
	s_cbranch_execz .LBB189_409
; %bb.402:                              ;   in Loop: Header=BB189_12 Depth=1
	v_mov_b64_e32 v[2:3], 0x80000000
	v_and_b32_e32 v1, 0xff, v0
	s_mov_b32 s19, exec_lo
	scratch_store_b64 off, v[2:3], s32 offset:280 ; 8-byte Folded Spill
	s_wait_xcnt 0x0
	v_cmpx_ne_u16_e32 0x80, v1
	s_cbranch_execz .LBB189_408
; %bb.403:                              ;   in Loop: Header=BB189_12 Depth=1
	v_mov_b64_e32 v[12:13], 0x7f800001
	v_and_b32_e32 v2, 0x7f, v0
	s_mov_b32 s20, exec_lo
	scratch_store_b64 off, v[12:13], s32 offset:280 ; 8-byte Folded Spill
	s_wait_xcnt 0x0
	v_cmpx_ne_u32_e32 0x7f, v2
	s_cbranch_execz .LBB189_407
; %bb.404:                              ;   in Loop: Header=BB189_12 Depth=1
	v_dual_lshrrev_b32 v1, 3, v2 :: v_dual_bitop2_b32 v24, 7, v0 bitop3:0x40
	s_mov_b32 s21, exec_lo
	v_cmpx_gt_u32_e32 8, v2
; %bb.405:                              ;   in Loop: Header=BB189_12 Depth=1
	s_delay_alu instid0(VALU_DEP_2) | instskip(NEXT) | instid1(VALU_DEP_1)
	v_clz_i32_u32_e32 v1, v24
	v_min_u32_e32 v1, 32, v1
	s_delay_alu instid0(VALU_DEP_1) | instskip(NEXT) | instid1(VALU_DEP_1)
	v_subrev_nc_u32_e32 v2, 28, v1
	v_lshlrev_b64_e32 v[2:3], v2, v[24:25]
	s_delay_alu instid0(VALU_DEP_1)
	v_dual_sub_nc_u32 v1, 29, v1 :: v_dual_bitop2_b32 v24, 7, v2 bitop3:0x40
; %bb.406:                              ;   in Loop: Header=BB189_12 Depth=1
	s_or_b32 exec_lo, exec_lo, s21
	v_lshlrev_b32_e32 v2, 24, v0
	s_delay_alu instid0(VALU_DEP_2) | instskip(NEXT) | instid1(VALU_DEP_3)
	v_lshlrev_b32_e32 v3, 20, v24
	v_lshl_add_u32 v1, v1, 23, 0x3c000000
	s_delay_alu instid0(VALU_DEP_3) | instskip(NEXT) | instid1(VALU_DEP_1)
	v_and_b32_e32 v2, 0x80000000, v2
	v_or3_b32 v24, v3, v2, v1
	scratch_store_b64 off, v[24:25], s32 offset:280 ; 8-byte Folded Spill
.LBB189_407:                            ;   in Loop: Header=BB189_12 Depth=1
	s_wait_xcnt 0x0
	s_or_b32 exec_lo, exec_lo, s20
.LBB189_408:                            ;   in Loop: Header=BB189_12 Depth=1
	s_delay_alu instid0(SALU_CYCLE_1)
	s_or_b32 exec_lo, exec_lo, s19
.LBB189_409:                            ;   in Loop: Header=BB189_12 Depth=1
	s_delay_alu instid0(SALU_CYCLE_1) | instskip(SKIP_2) | instid1(VALU_DEP_1)
	s_or_b32 exec_lo, exec_lo, s18
	v_lshrrev_b16 v1, 8, v0
	s_mov_b32 s18, exec_lo
	v_cmpx_ne_u16_e32 0, v1
	s_cbranch_execz .LBB189_417
; %bb.410:                              ;   in Loop: Header=BB189_12 Depth=1
	v_mov_b64_e32 v[2:3], 0x8000000000000000
	s_mov_b32 s19, exec_lo
	scratch_store_b64 off, v[2:3], s32 offset:272 ; 8-byte Folded Spill
	s_wait_xcnt 0x0
	v_cmpx_ne_u16_e32 0x80, v1
	s_cbranch_execz .LBB189_416
; %bb.411:                              ;   in Loop: Header=BB189_12 Depth=1
	v_and_b32_e32 v1, 0xffff, v1
	v_mov_b64_e32 v[12:13], 0x7f80000100000000
	s_mov_b32 s20, exec_lo
	s_delay_alu instid0(VALU_DEP_2)
	v_and_b32_e32 v2, 0x7f, v1
	scratch_store_b64 off, v[12:13], s32 offset:272 ; 8-byte Folded Spill
	s_wait_xcnt 0x0
	v_cmpx_ne_u32_e32 0x7f, v2
	s_cbranch_execz .LBB189_415
; %bb.412:                              ;   in Loop: Header=BB189_12 Depth=1
	v_dual_lshrrev_b32 v1, 3, v2 :: v_dual_bitop2_b32 v24, 7, v1 bitop3:0x40
	s_mov_b32 s21, exec_lo
	v_cmpx_gt_u32_e32 8, v2
; %bb.413:                              ;   in Loop: Header=BB189_12 Depth=1
	s_delay_alu instid0(VALU_DEP_2) | instskip(NEXT) | instid1(VALU_DEP_1)
	v_clz_i32_u32_e32 v1, v24
	v_min_u32_e32 v1, 32, v1
	s_delay_alu instid0(VALU_DEP_1) | instskip(NEXT) | instid1(VALU_DEP_1)
	v_subrev_nc_u32_e32 v2, 28, v1
	v_lshlrev_b64_e32 v[2:3], v2, v[24:25]
	s_delay_alu instid0(VALU_DEP_1)
	v_dual_sub_nc_u32 v1, 29, v1 :: v_dual_bitop2_b32 v24, 7, v2 bitop3:0x40
; %bb.414:                              ;   in Loop: Header=BB189_12 Depth=1
	s_or_b32 exec_lo, exec_lo, s21
	v_lshlrev_b32_e32 v0, 16, v0
	s_delay_alu instid0(VALU_DEP_2) | instskip(NEXT) | instid1(VALU_DEP_3)
	v_lshlrev_b32_e32 v2, 20, v24
	v_lshl_add_u32 v1, v1, 23, 0x3c000000
	s_delay_alu instid0(VALU_DEP_3) | instskip(NEXT) | instid1(VALU_DEP_1)
	v_and_b32_e32 v0, 0x80000000, v0
	v_or3_b32 v1, v2, v0, v1
	v_mov_b32_e32 v0, v25
	scratch_store_b64 off, v[0:1], s32 offset:272 ; 8-byte Folded Spill
.LBB189_415:                            ;   in Loop: Header=BB189_12 Depth=1
	s_wait_xcnt 0x0
	s_or_b32 exec_lo, exec_lo, s20
.LBB189_416:                            ;   in Loop: Header=BB189_12 Depth=1
	s_delay_alu instid0(SALU_CYCLE_1)
	s_or_b32 exec_lo, exec_lo, s19
.LBB189_417:                            ;   in Loop: Header=BB189_12 Depth=1
	s_delay_alu instid0(SALU_CYCLE_1)
	s_or_b32 exec_lo, exec_lo, s18
	flat_load_u16 v1, v[76:77] offset:1540
	v_mov_b64_e32 v[2:3], 0
	s_mov_b32 s18, exec_lo
	scratch_store_b64 off, v[2:3], s32 offset:288 ; 8-byte Folded Spill
	s_wait_xcnt 0x0
	v_mov_b64_e32 v[2:3], 0
	scratch_store_b64 off, v[2:3], s32 offset:296 ; 8-byte Folded Spill
	s_wait_loadcnt_dscnt 0x0
	v_and_b32_e32 v0, 0xffff, v1
	v_and_b32_e32 v1, 0xff, v1
	s_wait_xcnt 0x0
	s_delay_alu instid0(VALU_DEP_1)
	v_cmpx_ne_u16_e32 0, v1
	s_cbranch_execz .LBB189_425
; %bb.418:                              ;   in Loop: Header=BB189_12 Depth=1
	v_mov_b64_e32 v[2:3], 0x80000000
	v_and_b32_e32 v1, 0xff, v0
	s_mov_b32 s19, exec_lo
	scratch_store_b64 off, v[2:3], s32 offset:296 ; 8-byte Folded Spill
	s_wait_xcnt 0x0
	v_cmpx_ne_u16_e32 0x80, v1
	s_cbranch_execz .LBB189_424
; %bb.419:                              ;   in Loop: Header=BB189_12 Depth=1
	v_mov_b64_e32 v[12:13], 0x7f800001
	v_and_b32_e32 v2, 0x7f, v0
	s_mov_b32 s20, exec_lo
	scratch_store_b64 off, v[12:13], s32 offset:296 ; 8-byte Folded Spill
	s_wait_xcnt 0x0
	v_cmpx_ne_u32_e32 0x7f, v2
	s_cbranch_execz .LBB189_423
; %bb.420:                              ;   in Loop: Header=BB189_12 Depth=1
	v_dual_lshrrev_b32 v1, 3, v2 :: v_dual_bitop2_b32 v24, 7, v0 bitop3:0x40
	s_mov_b32 s21, exec_lo
	v_cmpx_gt_u32_e32 8, v2
; %bb.421:                              ;   in Loop: Header=BB189_12 Depth=1
	s_delay_alu instid0(VALU_DEP_2) | instskip(NEXT) | instid1(VALU_DEP_1)
	v_clz_i32_u32_e32 v1, v24
	v_min_u32_e32 v1, 32, v1
	s_delay_alu instid0(VALU_DEP_1) | instskip(NEXT) | instid1(VALU_DEP_1)
	v_subrev_nc_u32_e32 v2, 28, v1
	v_lshlrev_b64_e32 v[2:3], v2, v[24:25]
	s_delay_alu instid0(VALU_DEP_1)
	v_dual_sub_nc_u32 v1, 29, v1 :: v_dual_bitop2_b32 v24, 7, v2 bitop3:0x40
; %bb.422:                              ;   in Loop: Header=BB189_12 Depth=1
	s_or_b32 exec_lo, exec_lo, s21
	v_lshlrev_b32_e32 v2, 24, v0
	s_delay_alu instid0(VALU_DEP_2) | instskip(NEXT) | instid1(VALU_DEP_3)
	v_lshlrev_b32_e32 v3, 20, v24
	v_lshl_add_u32 v1, v1, 23, 0x3c000000
	s_delay_alu instid0(VALU_DEP_3) | instskip(NEXT) | instid1(VALU_DEP_1)
	v_and_b32_e32 v2, 0x80000000, v2
	v_or3_b32 v24, v3, v2, v1
	scratch_store_b64 off, v[24:25], s32 offset:296 ; 8-byte Folded Spill
.LBB189_423:                            ;   in Loop: Header=BB189_12 Depth=1
	s_wait_xcnt 0x0
	s_or_b32 exec_lo, exec_lo, s20
.LBB189_424:                            ;   in Loop: Header=BB189_12 Depth=1
	s_delay_alu instid0(SALU_CYCLE_1)
	s_or_b32 exec_lo, exec_lo, s19
.LBB189_425:                            ;   in Loop: Header=BB189_12 Depth=1
	s_delay_alu instid0(SALU_CYCLE_1) | instskip(SKIP_2) | instid1(VALU_DEP_1)
	s_or_b32 exec_lo, exec_lo, s18
	v_lshrrev_b16 v1, 8, v0
	s_mov_b32 s18, exec_lo
	v_cmpx_ne_u16_e32 0, v1
	s_cbranch_execz .LBB189_433
; %bb.426:                              ;   in Loop: Header=BB189_12 Depth=1
	v_mov_b64_e32 v[2:3], 0x8000000000000000
	s_mov_b32 s19, exec_lo
	scratch_store_b64 off, v[2:3], s32 offset:288 ; 8-byte Folded Spill
	s_wait_xcnt 0x0
	v_cmpx_ne_u16_e32 0x80, v1
	s_cbranch_execz .LBB189_432
; %bb.427:                              ;   in Loop: Header=BB189_12 Depth=1
	v_and_b32_e32 v1, 0xffff, v1
	v_mov_b64_e32 v[12:13], 0x7f80000100000000
	s_mov_b32 s20, exec_lo
	s_delay_alu instid0(VALU_DEP_2)
	v_and_b32_e32 v2, 0x7f, v1
	scratch_store_b64 off, v[12:13], s32 offset:288 ; 8-byte Folded Spill
	s_wait_xcnt 0x0
	v_cmpx_ne_u32_e32 0x7f, v2
	s_cbranch_execz .LBB189_431
; %bb.428:                              ;   in Loop: Header=BB189_12 Depth=1
	v_dual_lshrrev_b32 v1, 3, v2 :: v_dual_bitop2_b32 v24, 7, v1 bitop3:0x40
	s_mov_b32 s21, exec_lo
	v_cmpx_gt_u32_e32 8, v2
; %bb.429:                              ;   in Loop: Header=BB189_12 Depth=1
	s_delay_alu instid0(VALU_DEP_2) | instskip(NEXT) | instid1(VALU_DEP_1)
	v_clz_i32_u32_e32 v1, v24
	v_min_u32_e32 v1, 32, v1
	s_delay_alu instid0(VALU_DEP_1) | instskip(NEXT) | instid1(VALU_DEP_1)
	v_subrev_nc_u32_e32 v2, 28, v1
	v_lshlrev_b64_e32 v[2:3], v2, v[24:25]
	s_delay_alu instid0(VALU_DEP_1)
	v_dual_sub_nc_u32 v1, 29, v1 :: v_dual_bitop2_b32 v24, 7, v2 bitop3:0x40
; %bb.430:                              ;   in Loop: Header=BB189_12 Depth=1
	s_or_b32 exec_lo, exec_lo, s21
	v_lshlrev_b32_e32 v0, 16, v0
	s_delay_alu instid0(VALU_DEP_2) | instskip(NEXT) | instid1(VALU_DEP_3)
	v_lshlrev_b32_e32 v2, 20, v24
	v_lshl_add_u32 v1, v1, 23, 0x3c000000
	s_delay_alu instid0(VALU_DEP_3) | instskip(NEXT) | instid1(VALU_DEP_1)
	v_and_b32_e32 v0, 0x80000000, v0
	v_or3_b32 v1, v2, v0, v1
	v_mov_b32_e32 v0, v25
	scratch_store_b64 off, v[0:1], s32 offset:288 ; 8-byte Folded Spill
.LBB189_431:                            ;   in Loop: Header=BB189_12 Depth=1
	s_wait_xcnt 0x0
	s_or_b32 exec_lo, exec_lo, s20
.LBB189_432:                            ;   in Loop: Header=BB189_12 Depth=1
	s_delay_alu instid0(SALU_CYCLE_1)
	s_or_b32 exec_lo, exec_lo, s19
.LBB189_433:                            ;   in Loop: Header=BB189_12 Depth=1
	s_delay_alu instid0(SALU_CYCLE_1)
	s_or_b32 exec_lo, exec_lo, s18
	flat_load_u16 v1, v[76:77] offset:1544
	v_mov_b64_e32 v[2:3], 0
	s_mov_b32 s18, exec_lo
	scratch_store_b64 off, v[2:3], s32 offset:304 ; 8-byte Folded Spill
	s_wait_xcnt 0x0
	v_mov_b64_e32 v[2:3], 0
	scratch_store_b64 off, v[2:3], s32 offset:312 ; 8-byte Folded Spill
	s_wait_loadcnt_dscnt 0x0
	v_and_b32_e32 v0, 0xffff, v1
	v_and_b32_e32 v1, 0xff, v1
	s_wait_xcnt 0x0
	s_delay_alu instid0(VALU_DEP_1)
	v_cmpx_ne_u16_e32 0, v1
	s_cbranch_execz .LBB189_441
; %bb.434:                              ;   in Loop: Header=BB189_12 Depth=1
	v_mov_b64_e32 v[2:3], 0x80000000
	v_and_b32_e32 v1, 0xff, v0
	s_mov_b32 s19, exec_lo
	scratch_store_b64 off, v[2:3], s32 offset:312 ; 8-byte Folded Spill
	s_wait_xcnt 0x0
	v_cmpx_ne_u16_e32 0x80, v1
	s_cbranch_execz .LBB189_440
; %bb.435:                              ;   in Loop: Header=BB189_12 Depth=1
	v_mov_b64_e32 v[12:13], 0x7f800001
	v_and_b32_e32 v2, 0x7f, v0
	s_mov_b32 s20, exec_lo
	scratch_store_b64 off, v[12:13], s32 offset:312 ; 8-byte Folded Spill
	s_wait_xcnt 0x0
	v_cmpx_ne_u32_e32 0x7f, v2
	s_cbranch_execz .LBB189_439
; %bb.436:                              ;   in Loop: Header=BB189_12 Depth=1
	v_dual_lshrrev_b32 v1, 3, v2 :: v_dual_bitop2_b32 v24, 7, v0 bitop3:0x40
	s_mov_b32 s21, exec_lo
	v_cmpx_gt_u32_e32 8, v2
; %bb.437:                              ;   in Loop: Header=BB189_12 Depth=1
	s_delay_alu instid0(VALU_DEP_2) | instskip(NEXT) | instid1(VALU_DEP_1)
	v_clz_i32_u32_e32 v1, v24
	v_min_u32_e32 v1, 32, v1
	s_delay_alu instid0(VALU_DEP_1) | instskip(NEXT) | instid1(VALU_DEP_1)
	v_subrev_nc_u32_e32 v2, 28, v1
	v_lshlrev_b64_e32 v[2:3], v2, v[24:25]
	s_delay_alu instid0(VALU_DEP_1)
	v_dual_sub_nc_u32 v1, 29, v1 :: v_dual_bitop2_b32 v24, 7, v2 bitop3:0x40
; %bb.438:                              ;   in Loop: Header=BB189_12 Depth=1
	s_or_b32 exec_lo, exec_lo, s21
	v_lshlrev_b32_e32 v2, 24, v0
	s_delay_alu instid0(VALU_DEP_2) | instskip(NEXT) | instid1(VALU_DEP_3)
	v_lshlrev_b32_e32 v3, 20, v24
	v_lshl_add_u32 v1, v1, 23, 0x3c000000
	s_delay_alu instid0(VALU_DEP_3) | instskip(NEXT) | instid1(VALU_DEP_1)
	v_and_b32_e32 v2, 0x80000000, v2
	v_or3_b32 v24, v3, v2, v1
	scratch_store_b64 off, v[24:25], s32 offset:312 ; 8-byte Folded Spill
.LBB189_439:                            ;   in Loop: Header=BB189_12 Depth=1
	s_wait_xcnt 0x0
	s_or_b32 exec_lo, exec_lo, s20
.LBB189_440:                            ;   in Loop: Header=BB189_12 Depth=1
	s_delay_alu instid0(SALU_CYCLE_1)
	s_or_b32 exec_lo, exec_lo, s19
.LBB189_441:                            ;   in Loop: Header=BB189_12 Depth=1
	s_delay_alu instid0(SALU_CYCLE_1) | instskip(SKIP_2) | instid1(VALU_DEP_1)
	s_or_b32 exec_lo, exec_lo, s18
	v_lshrrev_b16 v1, 8, v0
	s_mov_b32 s18, exec_lo
	v_cmpx_ne_u16_e32 0, v1
	s_cbranch_execz .LBB189_449
; %bb.442:                              ;   in Loop: Header=BB189_12 Depth=1
	v_mov_b64_e32 v[2:3], 0x8000000000000000
	s_mov_b32 s19, exec_lo
	scratch_store_b64 off, v[2:3], s32 offset:304 ; 8-byte Folded Spill
	s_wait_xcnt 0x0
	v_cmpx_ne_u16_e32 0x80, v1
	s_cbranch_execz .LBB189_448
; %bb.443:                              ;   in Loop: Header=BB189_12 Depth=1
	v_and_b32_e32 v1, 0xffff, v1
	v_mov_b64_e32 v[12:13], 0x7f80000100000000
	s_mov_b32 s20, exec_lo
	s_delay_alu instid0(VALU_DEP_2)
	v_and_b32_e32 v2, 0x7f, v1
	scratch_store_b64 off, v[12:13], s32 offset:304 ; 8-byte Folded Spill
	s_wait_xcnt 0x0
	v_cmpx_ne_u32_e32 0x7f, v2
	s_cbranch_execz .LBB189_447
; %bb.444:                              ;   in Loop: Header=BB189_12 Depth=1
	v_dual_lshrrev_b32 v1, 3, v2 :: v_dual_bitop2_b32 v24, 7, v1 bitop3:0x40
	s_mov_b32 s21, exec_lo
	v_cmpx_gt_u32_e32 8, v2
; %bb.445:                              ;   in Loop: Header=BB189_12 Depth=1
	s_delay_alu instid0(VALU_DEP_2) | instskip(NEXT) | instid1(VALU_DEP_1)
	v_clz_i32_u32_e32 v1, v24
	v_min_u32_e32 v1, 32, v1
	s_delay_alu instid0(VALU_DEP_1) | instskip(NEXT) | instid1(VALU_DEP_1)
	v_subrev_nc_u32_e32 v2, 28, v1
	v_lshlrev_b64_e32 v[2:3], v2, v[24:25]
	s_delay_alu instid0(VALU_DEP_1)
	v_dual_sub_nc_u32 v1, 29, v1 :: v_dual_bitop2_b32 v24, 7, v2 bitop3:0x40
; %bb.446:                              ;   in Loop: Header=BB189_12 Depth=1
	s_or_b32 exec_lo, exec_lo, s21
	v_lshlrev_b32_e32 v0, 16, v0
	s_delay_alu instid0(VALU_DEP_2) | instskip(NEXT) | instid1(VALU_DEP_3)
	v_lshlrev_b32_e32 v2, 20, v24
	v_lshl_add_u32 v1, v1, 23, 0x3c000000
	s_delay_alu instid0(VALU_DEP_3) | instskip(NEXT) | instid1(VALU_DEP_1)
	v_and_b32_e32 v0, 0x80000000, v0
	v_or3_b32 v1, v2, v0, v1
	v_mov_b32_e32 v0, v25
	scratch_store_b64 off, v[0:1], s32 offset:304 ; 8-byte Folded Spill
.LBB189_447:                            ;   in Loop: Header=BB189_12 Depth=1
	s_wait_xcnt 0x0
	s_or_b32 exec_lo, exec_lo, s20
.LBB189_448:                            ;   in Loop: Header=BB189_12 Depth=1
	s_delay_alu instid0(SALU_CYCLE_1)
	s_or_b32 exec_lo, exec_lo, s19
.LBB189_449:                            ;   in Loop: Header=BB189_12 Depth=1
	s_delay_alu instid0(SALU_CYCLE_1)
	s_or_b32 exec_lo, exec_lo, s18
	flat_load_u16 v1, v[76:77] offset:1548
	v_mov_b64_e32 v[2:3], 0
	s_mov_b32 s18, exec_lo
	scratch_store_b64 off, v[2:3], s32 offset:320 ; 8-byte Folded Spill
	s_wait_xcnt 0x0
	v_mov_b64_e32 v[2:3], 0
	scratch_store_b64 off, v[2:3], s32 offset:328 ; 8-byte Folded Spill
	s_wait_loadcnt_dscnt 0x0
	v_and_b32_e32 v0, 0xffff, v1
	v_and_b32_e32 v1, 0xff, v1
	s_wait_xcnt 0x0
	s_delay_alu instid0(VALU_DEP_1)
	v_cmpx_ne_u16_e32 0, v1
	s_cbranch_execz .LBB189_457
; %bb.450:                              ;   in Loop: Header=BB189_12 Depth=1
	v_mov_b64_e32 v[2:3], 0x80000000
	v_and_b32_e32 v1, 0xff, v0
	s_mov_b32 s19, exec_lo
	scratch_store_b64 off, v[2:3], s32 offset:328 ; 8-byte Folded Spill
	s_wait_xcnt 0x0
	v_cmpx_ne_u16_e32 0x80, v1
	s_cbranch_execz .LBB189_456
; %bb.451:                              ;   in Loop: Header=BB189_12 Depth=1
	v_mov_b64_e32 v[12:13], 0x7f800001
	v_and_b32_e32 v2, 0x7f, v0
	s_mov_b32 s20, exec_lo
	scratch_store_b64 off, v[12:13], s32 offset:328 ; 8-byte Folded Spill
	s_wait_xcnt 0x0
	v_cmpx_ne_u32_e32 0x7f, v2
	s_cbranch_execz .LBB189_455
; %bb.452:                              ;   in Loop: Header=BB189_12 Depth=1
	v_dual_lshrrev_b32 v1, 3, v2 :: v_dual_bitop2_b32 v24, 7, v0 bitop3:0x40
	s_mov_b32 s21, exec_lo
	v_cmpx_gt_u32_e32 8, v2
; %bb.453:                              ;   in Loop: Header=BB189_12 Depth=1
	s_delay_alu instid0(VALU_DEP_2) | instskip(NEXT) | instid1(VALU_DEP_1)
	v_clz_i32_u32_e32 v1, v24
	v_min_u32_e32 v1, 32, v1
	s_delay_alu instid0(VALU_DEP_1) | instskip(NEXT) | instid1(VALU_DEP_1)
	v_subrev_nc_u32_e32 v2, 28, v1
	v_lshlrev_b64_e32 v[2:3], v2, v[24:25]
	s_delay_alu instid0(VALU_DEP_1)
	v_dual_sub_nc_u32 v1, 29, v1 :: v_dual_bitop2_b32 v24, 7, v2 bitop3:0x40
; %bb.454:                              ;   in Loop: Header=BB189_12 Depth=1
	s_or_b32 exec_lo, exec_lo, s21
	v_lshlrev_b32_e32 v2, 24, v0
	s_delay_alu instid0(VALU_DEP_2) | instskip(NEXT) | instid1(VALU_DEP_3)
	v_lshlrev_b32_e32 v3, 20, v24
	v_lshl_add_u32 v1, v1, 23, 0x3c000000
	s_delay_alu instid0(VALU_DEP_3) | instskip(NEXT) | instid1(VALU_DEP_1)
	v_and_b32_e32 v2, 0x80000000, v2
	v_or3_b32 v24, v3, v2, v1
	scratch_store_b64 off, v[24:25], s32 offset:328 ; 8-byte Folded Spill
.LBB189_455:                            ;   in Loop: Header=BB189_12 Depth=1
	s_wait_xcnt 0x0
	s_or_b32 exec_lo, exec_lo, s20
.LBB189_456:                            ;   in Loop: Header=BB189_12 Depth=1
	s_delay_alu instid0(SALU_CYCLE_1)
	s_or_b32 exec_lo, exec_lo, s19
.LBB189_457:                            ;   in Loop: Header=BB189_12 Depth=1
	s_delay_alu instid0(SALU_CYCLE_1) | instskip(SKIP_2) | instid1(VALU_DEP_1)
	s_or_b32 exec_lo, exec_lo, s18
	v_lshrrev_b16 v1, 8, v0
	s_mov_b32 s18, exec_lo
	v_cmpx_ne_u16_e32 0, v1
	s_cbranch_execz .LBB189_465
; %bb.458:                              ;   in Loop: Header=BB189_12 Depth=1
	v_mov_b64_e32 v[2:3], 0x8000000000000000
	s_mov_b32 s19, exec_lo
	scratch_store_b64 off, v[2:3], s32 offset:320 ; 8-byte Folded Spill
	s_wait_xcnt 0x0
	v_cmpx_ne_u16_e32 0x80, v1
	s_cbranch_execz .LBB189_464
; %bb.459:                              ;   in Loop: Header=BB189_12 Depth=1
	v_and_b32_e32 v1, 0xffff, v1
	v_mov_b64_e32 v[12:13], 0x7f80000100000000
	s_mov_b32 s20, exec_lo
	s_delay_alu instid0(VALU_DEP_2)
	v_and_b32_e32 v2, 0x7f, v1
	scratch_store_b64 off, v[12:13], s32 offset:320 ; 8-byte Folded Spill
	s_wait_xcnt 0x0
	v_cmpx_ne_u32_e32 0x7f, v2
	s_cbranch_execz .LBB189_463
; %bb.460:                              ;   in Loop: Header=BB189_12 Depth=1
	v_dual_lshrrev_b32 v1, 3, v2 :: v_dual_bitop2_b32 v24, 7, v1 bitop3:0x40
	s_mov_b32 s21, exec_lo
	v_cmpx_gt_u32_e32 8, v2
; %bb.461:                              ;   in Loop: Header=BB189_12 Depth=1
	s_delay_alu instid0(VALU_DEP_2) | instskip(NEXT) | instid1(VALU_DEP_1)
	v_clz_i32_u32_e32 v1, v24
	v_min_u32_e32 v1, 32, v1
	s_delay_alu instid0(VALU_DEP_1) | instskip(NEXT) | instid1(VALU_DEP_1)
	v_subrev_nc_u32_e32 v2, 28, v1
	v_lshlrev_b64_e32 v[2:3], v2, v[24:25]
	s_delay_alu instid0(VALU_DEP_1)
	v_dual_sub_nc_u32 v1, 29, v1 :: v_dual_bitop2_b32 v24, 7, v2 bitop3:0x40
; %bb.462:                              ;   in Loop: Header=BB189_12 Depth=1
	s_or_b32 exec_lo, exec_lo, s21
	v_lshlrev_b32_e32 v0, 16, v0
	s_delay_alu instid0(VALU_DEP_2) | instskip(NEXT) | instid1(VALU_DEP_3)
	v_lshlrev_b32_e32 v2, 20, v24
	v_lshl_add_u32 v1, v1, 23, 0x3c000000
	s_delay_alu instid0(VALU_DEP_3) | instskip(NEXT) | instid1(VALU_DEP_1)
	v_and_b32_e32 v0, 0x80000000, v0
	v_or3_b32 v1, v2, v0, v1
	v_mov_b32_e32 v0, v25
	scratch_store_b64 off, v[0:1], s32 offset:320 ; 8-byte Folded Spill
.LBB189_463:                            ;   in Loop: Header=BB189_12 Depth=1
	s_wait_xcnt 0x0
	s_or_b32 exec_lo, exec_lo, s20
.LBB189_464:                            ;   in Loop: Header=BB189_12 Depth=1
	s_delay_alu instid0(SALU_CYCLE_1)
	s_or_b32 exec_lo, exec_lo, s19
.LBB189_465:                            ;   in Loop: Header=BB189_12 Depth=1
	s_delay_alu instid0(SALU_CYCLE_1)
	s_or_b32 exec_lo, exec_lo, s18
	flat_load_u16 v1, v[76:77] offset:1792
	v_mov_b64_e32 v[2:3], 0
	s_mov_b32 s18, exec_lo
	scratch_store_b64 off, v[2:3], s32 offset:336 ; 8-byte Folded Spill
	s_wait_xcnt 0x0
	v_mov_b64_e32 v[2:3], 0
	scratch_store_b64 off, v[2:3], s32 offset:344 ; 8-byte Folded Spill
	s_wait_loadcnt_dscnt 0x0
	v_and_b32_e32 v0, 0xffff, v1
	v_and_b32_e32 v1, 0xff, v1
	s_wait_xcnt 0x0
	s_delay_alu instid0(VALU_DEP_1)
	v_cmpx_ne_u16_e32 0, v1
	s_cbranch_execz .LBB189_473
; %bb.466:                              ;   in Loop: Header=BB189_12 Depth=1
	v_mov_b64_e32 v[2:3], 0x80000000
	v_and_b32_e32 v1, 0xff, v0
	s_mov_b32 s19, exec_lo
	scratch_store_b64 off, v[2:3], s32 offset:344 ; 8-byte Folded Spill
	s_wait_xcnt 0x0
	v_cmpx_ne_u16_e32 0x80, v1
	s_cbranch_execz .LBB189_472
; %bb.467:                              ;   in Loop: Header=BB189_12 Depth=1
	v_mov_b64_e32 v[12:13], 0x7f800001
	v_and_b32_e32 v2, 0x7f, v0
	s_mov_b32 s20, exec_lo
	scratch_store_b64 off, v[12:13], s32 offset:344 ; 8-byte Folded Spill
	s_wait_xcnt 0x0
	v_cmpx_ne_u32_e32 0x7f, v2
	s_cbranch_execz .LBB189_471
; %bb.468:                              ;   in Loop: Header=BB189_12 Depth=1
	v_dual_lshrrev_b32 v1, 3, v2 :: v_dual_bitop2_b32 v24, 7, v0 bitop3:0x40
	s_mov_b32 s21, exec_lo
	v_cmpx_gt_u32_e32 8, v2
; %bb.469:                              ;   in Loop: Header=BB189_12 Depth=1
	s_delay_alu instid0(VALU_DEP_2) | instskip(NEXT) | instid1(VALU_DEP_1)
	v_clz_i32_u32_e32 v1, v24
	v_min_u32_e32 v1, 32, v1
	s_delay_alu instid0(VALU_DEP_1) | instskip(NEXT) | instid1(VALU_DEP_1)
	v_subrev_nc_u32_e32 v2, 28, v1
	v_lshlrev_b64_e32 v[2:3], v2, v[24:25]
	s_delay_alu instid0(VALU_DEP_1)
	v_dual_sub_nc_u32 v1, 29, v1 :: v_dual_bitop2_b32 v24, 7, v2 bitop3:0x40
; %bb.470:                              ;   in Loop: Header=BB189_12 Depth=1
	s_or_b32 exec_lo, exec_lo, s21
	v_lshlrev_b32_e32 v2, 24, v0
	s_delay_alu instid0(VALU_DEP_2) | instskip(NEXT) | instid1(VALU_DEP_3)
	v_lshlrev_b32_e32 v3, 20, v24
	v_lshl_add_u32 v1, v1, 23, 0x3c000000
	s_delay_alu instid0(VALU_DEP_3) | instskip(NEXT) | instid1(VALU_DEP_1)
	v_and_b32_e32 v2, 0x80000000, v2
	v_or3_b32 v24, v3, v2, v1
	scratch_store_b64 off, v[24:25], s32 offset:344 ; 8-byte Folded Spill
.LBB189_471:                            ;   in Loop: Header=BB189_12 Depth=1
	s_wait_xcnt 0x0
	s_or_b32 exec_lo, exec_lo, s20
.LBB189_472:                            ;   in Loop: Header=BB189_12 Depth=1
	s_delay_alu instid0(SALU_CYCLE_1)
	s_or_b32 exec_lo, exec_lo, s19
.LBB189_473:                            ;   in Loop: Header=BB189_12 Depth=1
	s_delay_alu instid0(SALU_CYCLE_1) | instskip(SKIP_2) | instid1(VALU_DEP_1)
	s_or_b32 exec_lo, exec_lo, s18
	v_lshrrev_b16 v1, 8, v0
	s_mov_b32 s18, exec_lo
	v_cmpx_ne_u16_e32 0, v1
	s_cbranch_execz .LBB189_481
; %bb.474:                              ;   in Loop: Header=BB189_12 Depth=1
	v_mov_b64_e32 v[2:3], 0x8000000000000000
	s_mov_b32 s19, exec_lo
	scratch_store_b64 off, v[2:3], s32 offset:336 ; 8-byte Folded Spill
	s_wait_xcnt 0x0
	v_cmpx_ne_u16_e32 0x80, v1
	s_cbranch_execz .LBB189_480
; %bb.475:                              ;   in Loop: Header=BB189_12 Depth=1
	v_and_b32_e32 v1, 0xffff, v1
	v_mov_b64_e32 v[12:13], 0x7f80000100000000
	s_mov_b32 s20, exec_lo
	s_delay_alu instid0(VALU_DEP_2)
	v_and_b32_e32 v2, 0x7f, v1
	scratch_store_b64 off, v[12:13], s32 offset:336 ; 8-byte Folded Spill
	s_wait_xcnt 0x0
	v_cmpx_ne_u32_e32 0x7f, v2
	s_cbranch_execz .LBB189_479
; %bb.476:                              ;   in Loop: Header=BB189_12 Depth=1
	v_dual_lshrrev_b32 v1, 3, v2 :: v_dual_bitop2_b32 v24, 7, v1 bitop3:0x40
	s_mov_b32 s21, exec_lo
	v_cmpx_gt_u32_e32 8, v2
; %bb.477:                              ;   in Loop: Header=BB189_12 Depth=1
	s_delay_alu instid0(VALU_DEP_2) | instskip(NEXT) | instid1(VALU_DEP_1)
	v_clz_i32_u32_e32 v1, v24
	v_min_u32_e32 v1, 32, v1
	s_delay_alu instid0(VALU_DEP_1) | instskip(NEXT) | instid1(VALU_DEP_1)
	v_subrev_nc_u32_e32 v2, 28, v1
	v_lshlrev_b64_e32 v[2:3], v2, v[24:25]
	s_delay_alu instid0(VALU_DEP_1)
	v_dual_sub_nc_u32 v1, 29, v1 :: v_dual_bitop2_b32 v24, 7, v2 bitop3:0x40
; %bb.478:                              ;   in Loop: Header=BB189_12 Depth=1
	s_or_b32 exec_lo, exec_lo, s21
	v_lshlrev_b32_e32 v0, 16, v0
	s_delay_alu instid0(VALU_DEP_2) | instskip(NEXT) | instid1(VALU_DEP_3)
	v_lshlrev_b32_e32 v2, 20, v24
	v_lshl_add_u32 v1, v1, 23, 0x3c000000
	s_delay_alu instid0(VALU_DEP_3) | instskip(NEXT) | instid1(VALU_DEP_1)
	v_and_b32_e32 v0, 0x80000000, v0
	v_or3_b32 v1, v2, v0, v1
	v_mov_b32_e32 v0, v25
	scratch_store_b64 off, v[0:1], s32 offset:336 ; 8-byte Folded Spill
.LBB189_479:                            ;   in Loop: Header=BB189_12 Depth=1
	s_wait_xcnt 0x0
	s_or_b32 exec_lo, exec_lo, s20
.LBB189_480:                            ;   in Loop: Header=BB189_12 Depth=1
	s_delay_alu instid0(SALU_CYCLE_1)
	s_or_b32 exec_lo, exec_lo, s19
.LBB189_481:                            ;   in Loop: Header=BB189_12 Depth=1
	s_delay_alu instid0(SALU_CYCLE_1)
	s_or_b32 exec_lo, exec_lo, s18
	flat_load_u16 v1, v[76:77] offset:1796
	v_mov_b64_e32 v[2:3], 0
	s_mov_b32 s18, exec_lo
	scratch_store_b64 off, v[2:3], s32 offset:352 ; 8-byte Folded Spill
	s_wait_xcnt 0x0
	v_mov_b64_e32 v[2:3], 0
	scratch_store_b64 off, v[2:3], s32 offset:360 ; 8-byte Folded Spill
	s_wait_loadcnt_dscnt 0x0
	v_and_b32_e32 v0, 0xffff, v1
	v_and_b32_e32 v1, 0xff, v1
	s_wait_xcnt 0x0
	s_delay_alu instid0(VALU_DEP_1)
	v_cmpx_ne_u16_e32 0, v1
	s_cbranch_execz .LBB189_489
; %bb.482:                              ;   in Loop: Header=BB189_12 Depth=1
	v_mov_b64_e32 v[2:3], 0x80000000
	v_and_b32_e32 v1, 0xff, v0
	s_mov_b32 s19, exec_lo
	scratch_store_b64 off, v[2:3], s32 offset:360 ; 8-byte Folded Spill
	s_wait_xcnt 0x0
	v_cmpx_ne_u16_e32 0x80, v1
	s_cbranch_execz .LBB189_488
; %bb.483:                              ;   in Loop: Header=BB189_12 Depth=1
	v_mov_b64_e32 v[12:13], 0x7f800001
	v_and_b32_e32 v2, 0x7f, v0
	s_mov_b32 s20, exec_lo
	scratch_store_b64 off, v[12:13], s32 offset:360 ; 8-byte Folded Spill
	s_wait_xcnt 0x0
	v_cmpx_ne_u32_e32 0x7f, v2
	s_cbranch_execz .LBB189_487
; %bb.484:                              ;   in Loop: Header=BB189_12 Depth=1
	v_dual_lshrrev_b32 v1, 3, v2 :: v_dual_bitop2_b32 v24, 7, v0 bitop3:0x40
	s_mov_b32 s21, exec_lo
	v_cmpx_gt_u32_e32 8, v2
; %bb.485:                              ;   in Loop: Header=BB189_12 Depth=1
	s_delay_alu instid0(VALU_DEP_2) | instskip(NEXT) | instid1(VALU_DEP_1)
	v_clz_i32_u32_e32 v1, v24
	v_min_u32_e32 v1, 32, v1
	s_delay_alu instid0(VALU_DEP_1) | instskip(NEXT) | instid1(VALU_DEP_1)
	v_subrev_nc_u32_e32 v2, 28, v1
	v_lshlrev_b64_e32 v[2:3], v2, v[24:25]
	s_delay_alu instid0(VALU_DEP_1)
	v_dual_sub_nc_u32 v1, 29, v1 :: v_dual_bitop2_b32 v24, 7, v2 bitop3:0x40
; %bb.486:                              ;   in Loop: Header=BB189_12 Depth=1
	s_or_b32 exec_lo, exec_lo, s21
	v_lshlrev_b32_e32 v2, 24, v0
	s_delay_alu instid0(VALU_DEP_2) | instskip(NEXT) | instid1(VALU_DEP_3)
	v_lshlrev_b32_e32 v3, 20, v24
	v_lshl_add_u32 v1, v1, 23, 0x3c000000
	s_delay_alu instid0(VALU_DEP_3) | instskip(NEXT) | instid1(VALU_DEP_1)
	v_and_b32_e32 v2, 0x80000000, v2
	v_or3_b32 v24, v3, v2, v1
	scratch_store_b64 off, v[24:25], s32 offset:360 ; 8-byte Folded Spill
.LBB189_487:                            ;   in Loop: Header=BB189_12 Depth=1
	s_wait_xcnt 0x0
	s_or_b32 exec_lo, exec_lo, s20
.LBB189_488:                            ;   in Loop: Header=BB189_12 Depth=1
	s_delay_alu instid0(SALU_CYCLE_1)
	s_or_b32 exec_lo, exec_lo, s19
.LBB189_489:                            ;   in Loop: Header=BB189_12 Depth=1
	s_delay_alu instid0(SALU_CYCLE_1) | instskip(SKIP_2) | instid1(VALU_DEP_1)
	s_or_b32 exec_lo, exec_lo, s18
	v_lshrrev_b16 v1, 8, v0
	s_mov_b32 s18, exec_lo
	v_cmpx_ne_u16_e32 0, v1
	s_cbranch_execz .LBB189_497
; %bb.490:                              ;   in Loop: Header=BB189_12 Depth=1
	v_mov_b64_e32 v[2:3], 0x8000000000000000
	s_mov_b32 s19, exec_lo
	scratch_store_b64 off, v[2:3], s32 offset:352 ; 8-byte Folded Spill
	s_wait_xcnt 0x0
	v_cmpx_ne_u16_e32 0x80, v1
	s_cbranch_execz .LBB189_496
; %bb.491:                              ;   in Loop: Header=BB189_12 Depth=1
	v_and_b32_e32 v1, 0xffff, v1
	v_mov_b64_e32 v[12:13], 0x7f80000100000000
	s_mov_b32 s20, exec_lo
	s_delay_alu instid0(VALU_DEP_2)
	v_and_b32_e32 v2, 0x7f, v1
	scratch_store_b64 off, v[12:13], s32 offset:352 ; 8-byte Folded Spill
	s_wait_xcnt 0x0
	v_cmpx_ne_u32_e32 0x7f, v2
	s_cbranch_execz .LBB189_495
; %bb.492:                              ;   in Loop: Header=BB189_12 Depth=1
	v_dual_lshrrev_b32 v1, 3, v2 :: v_dual_bitop2_b32 v24, 7, v1 bitop3:0x40
	s_mov_b32 s21, exec_lo
	v_cmpx_gt_u32_e32 8, v2
; %bb.493:                              ;   in Loop: Header=BB189_12 Depth=1
	s_delay_alu instid0(VALU_DEP_2) | instskip(NEXT) | instid1(VALU_DEP_1)
	v_clz_i32_u32_e32 v1, v24
	v_min_u32_e32 v1, 32, v1
	s_delay_alu instid0(VALU_DEP_1) | instskip(NEXT) | instid1(VALU_DEP_1)
	v_subrev_nc_u32_e32 v2, 28, v1
	v_lshlrev_b64_e32 v[2:3], v2, v[24:25]
	s_delay_alu instid0(VALU_DEP_1)
	v_dual_sub_nc_u32 v1, 29, v1 :: v_dual_bitop2_b32 v24, 7, v2 bitop3:0x40
; %bb.494:                              ;   in Loop: Header=BB189_12 Depth=1
	s_or_b32 exec_lo, exec_lo, s21
	v_lshlrev_b32_e32 v0, 16, v0
	s_delay_alu instid0(VALU_DEP_2) | instskip(NEXT) | instid1(VALU_DEP_3)
	v_lshlrev_b32_e32 v2, 20, v24
	v_lshl_add_u32 v1, v1, 23, 0x3c000000
	s_delay_alu instid0(VALU_DEP_3) | instskip(NEXT) | instid1(VALU_DEP_1)
	v_and_b32_e32 v0, 0x80000000, v0
	v_or3_b32 v1, v2, v0, v1
	v_mov_b32_e32 v0, v25
	scratch_store_b64 off, v[0:1], s32 offset:352 ; 8-byte Folded Spill
.LBB189_495:                            ;   in Loop: Header=BB189_12 Depth=1
	s_wait_xcnt 0x0
	s_or_b32 exec_lo, exec_lo, s20
.LBB189_496:                            ;   in Loop: Header=BB189_12 Depth=1
	s_delay_alu instid0(SALU_CYCLE_1)
	s_or_b32 exec_lo, exec_lo, s19
.LBB189_497:                            ;   in Loop: Header=BB189_12 Depth=1
	s_delay_alu instid0(SALU_CYCLE_1)
	s_or_b32 exec_lo, exec_lo, s18
	flat_load_u16 v1, v[76:77] offset:1800
	v_mov_b64_e32 v[2:3], 0
	s_mov_b32 s18, exec_lo
	scratch_store_b64 off, v[2:3], s32 offset:368 ; 8-byte Folded Spill
	s_wait_xcnt 0x0
	v_mov_b64_e32 v[2:3], 0
	scratch_store_b64 off, v[2:3], s32 offset:376 ; 8-byte Folded Spill
	s_wait_loadcnt_dscnt 0x0
	v_and_b32_e32 v0, 0xffff, v1
	v_and_b32_e32 v1, 0xff, v1
	s_wait_xcnt 0x0
	s_delay_alu instid0(VALU_DEP_1)
	v_cmpx_ne_u16_e32 0, v1
	s_cbranch_execz .LBB189_505
; %bb.498:                              ;   in Loop: Header=BB189_12 Depth=1
	v_mov_b64_e32 v[2:3], 0x80000000
	v_and_b32_e32 v1, 0xff, v0
	s_mov_b32 s19, exec_lo
	scratch_store_b64 off, v[2:3], s32 offset:376 ; 8-byte Folded Spill
	s_wait_xcnt 0x0
	v_cmpx_ne_u16_e32 0x80, v1
	s_cbranch_execz .LBB189_504
; %bb.499:                              ;   in Loop: Header=BB189_12 Depth=1
	v_mov_b64_e32 v[12:13], 0x7f800001
	v_and_b32_e32 v2, 0x7f, v0
	s_mov_b32 s20, exec_lo
	scratch_store_b64 off, v[12:13], s32 offset:376 ; 8-byte Folded Spill
	s_wait_xcnt 0x0
	v_cmpx_ne_u32_e32 0x7f, v2
	s_cbranch_execz .LBB189_503
; %bb.500:                              ;   in Loop: Header=BB189_12 Depth=1
	v_dual_lshrrev_b32 v1, 3, v2 :: v_dual_bitop2_b32 v24, 7, v0 bitop3:0x40
	s_mov_b32 s21, exec_lo
	v_cmpx_gt_u32_e32 8, v2
; %bb.501:                              ;   in Loop: Header=BB189_12 Depth=1
	s_delay_alu instid0(VALU_DEP_2) | instskip(NEXT) | instid1(VALU_DEP_1)
	v_clz_i32_u32_e32 v1, v24
	v_min_u32_e32 v1, 32, v1
	s_delay_alu instid0(VALU_DEP_1) | instskip(NEXT) | instid1(VALU_DEP_1)
	v_subrev_nc_u32_e32 v2, 28, v1
	v_lshlrev_b64_e32 v[2:3], v2, v[24:25]
	s_delay_alu instid0(VALU_DEP_1)
	v_dual_sub_nc_u32 v1, 29, v1 :: v_dual_bitop2_b32 v24, 7, v2 bitop3:0x40
; %bb.502:                              ;   in Loop: Header=BB189_12 Depth=1
	s_or_b32 exec_lo, exec_lo, s21
	v_lshlrev_b32_e32 v2, 24, v0
	s_delay_alu instid0(VALU_DEP_2) | instskip(NEXT) | instid1(VALU_DEP_3)
	v_lshlrev_b32_e32 v3, 20, v24
	v_lshl_add_u32 v1, v1, 23, 0x3c000000
	s_delay_alu instid0(VALU_DEP_3) | instskip(NEXT) | instid1(VALU_DEP_1)
	v_and_b32_e32 v2, 0x80000000, v2
	v_or3_b32 v24, v3, v2, v1
	scratch_store_b64 off, v[24:25], s32 offset:376 ; 8-byte Folded Spill
.LBB189_503:                            ;   in Loop: Header=BB189_12 Depth=1
	s_wait_xcnt 0x0
	s_or_b32 exec_lo, exec_lo, s20
.LBB189_504:                            ;   in Loop: Header=BB189_12 Depth=1
	s_delay_alu instid0(SALU_CYCLE_1)
	s_or_b32 exec_lo, exec_lo, s19
.LBB189_505:                            ;   in Loop: Header=BB189_12 Depth=1
	s_delay_alu instid0(SALU_CYCLE_1) | instskip(SKIP_2) | instid1(VALU_DEP_1)
	s_or_b32 exec_lo, exec_lo, s18
	v_lshrrev_b16 v1, 8, v0
	s_mov_b32 s18, exec_lo
	v_cmpx_ne_u16_e32 0, v1
	s_cbranch_execz .LBB189_513
; %bb.506:                              ;   in Loop: Header=BB189_12 Depth=1
	v_mov_b64_e32 v[2:3], 0x8000000000000000
	s_mov_b32 s19, exec_lo
	scratch_store_b64 off, v[2:3], s32 offset:368 ; 8-byte Folded Spill
	s_wait_xcnt 0x0
	v_cmpx_ne_u16_e32 0x80, v1
	s_cbranch_execz .LBB189_512
; %bb.507:                              ;   in Loop: Header=BB189_12 Depth=1
	v_and_b32_e32 v1, 0xffff, v1
	v_mov_b64_e32 v[12:13], 0x7f80000100000000
	s_mov_b32 s20, exec_lo
	s_delay_alu instid0(VALU_DEP_2)
	v_and_b32_e32 v2, 0x7f, v1
	scratch_store_b64 off, v[12:13], s32 offset:368 ; 8-byte Folded Spill
	s_wait_xcnt 0x0
	v_cmpx_ne_u32_e32 0x7f, v2
	s_cbranch_execz .LBB189_511
; %bb.508:                              ;   in Loop: Header=BB189_12 Depth=1
	v_dual_lshrrev_b32 v1, 3, v2 :: v_dual_bitop2_b32 v24, 7, v1 bitop3:0x40
	s_mov_b32 s21, exec_lo
	v_cmpx_gt_u32_e32 8, v2
; %bb.509:                              ;   in Loop: Header=BB189_12 Depth=1
	s_delay_alu instid0(VALU_DEP_2) | instskip(NEXT) | instid1(VALU_DEP_1)
	v_clz_i32_u32_e32 v1, v24
	v_min_u32_e32 v1, 32, v1
	s_delay_alu instid0(VALU_DEP_1) | instskip(NEXT) | instid1(VALU_DEP_1)
	v_subrev_nc_u32_e32 v2, 28, v1
	v_lshlrev_b64_e32 v[2:3], v2, v[24:25]
	s_delay_alu instid0(VALU_DEP_1)
	v_dual_sub_nc_u32 v1, 29, v1 :: v_dual_bitop2_b32 v24, 7, v2 bitop3:0x40
; %bb.510:                              ;   in Loop: Header=BB189_12 Depth=1
	s_or_b32 exec_lo, exec_lo, s21
	v_lshlrev_b32_e32 v0, 16, v0
	s_delay_alu instid0(VALU_DEP_2) | instskip(NEXT) | instid1(VALU_DEP_3)
	v_lshlrev_b32_e32 v2, 20, v24
	v_lshl_add_u32 v1, v1, 23, 0x3c000000
	s_delay_alu instid0(VALU_DEP_3) | instskip(NEXT) | instid1(VALU_DEP_1)
	v_and_b32_e32 v0, 0x80000000, v0
	v_or3_b32 v1, v2, v0, v1
	v_mov_b32_e32 v0, v25
	scratch_store_b64 off, v[0:1], s32 offset:368 ; 8-byte Folded Spill
.LBB189_511:                            ;   in Loop: Header=BB189_12 Depth=1
	s_wait_xcnt 0x0
	s_or_b32 exec_lo, exec_lo, s20
.LBB189_512:                            ;   in Loop: Header=BB189_12 Depth=1
	s_delay_alu instid0(SALU_CYCLE_1)
	s_or_b32 exec_lo, exec_lo, s19
.LBB189_513:                            ;   in Loop: Header=BB189_12 Depth=1
	s_delay_alu instid0(SALU_CYCLE_1)
	s_or_b32 exec_lo, exec_lo, s18
	flat_load_u16 v1, v[76:77] offset:1804
	v_mov_b64_e32 v[2:3], 0
	s_mov_b32 s18, exec_lo
	scratch_store_b64 off, v[2:3], s32 offset:384 ; 8-byte Folded Spill
	s_wait_xcnt 0x0
	v_mov_b64_e32 v[2:3], 0
	scratch_store_b64 off, v[2:3], s32 offset:392 ; 8-byte Folded Spill
	s_wait_loadcnt_dscnt 0x0
	v_and_b32_e32 v0, 0xffff, v1
	v_and_b32_e32 v1, 0xff, v1
	s_wait_xcnt 0x0
	s_delay_alu instid0(VALU_DEP_1)
	v_cmpx_ne_u16_e32 0, v1
	s_cbranch_execz .LBB189_521
; %bb.514:                              ;   in Loop: Header=BB189_12 Depth=1
	v_mov_b64_e32 v[2:3], 0x80000000
	v_and_b32_e32 v1, 0xff, v0
	s_mov_b32 s19, exec_lo
	scratch_store_b64 off, v[2:3], s32 offset:392 ; 8-byte Folded Spill
	s_wait_xcnt 0x0
	v_cmpx_ne_u16_e32 0x80, v1
	s_cbranch_execz .LBB189_520
; %bb.515:                              ;   in Loop: Header=BB189_12 Depth=1
	v_mov_b64_e32 v[12:13], 0x7f800001
	v_and_b32_e32 v2, 0x7f, v0
	s_mov_b32 s20, exec_lo
	scratch_store_b64 off, v[12:13], s32 offset:392 ; 8-byte Folded Spill
	s_wait_xcnt 0x0
	v_cmpx_ne_u32_e32 0x7f, v2
	s_cbranch_execz .LBB189_519
; %bb.516:                              ;   in Loop: Header=BB189_12 Depth=1
	v_dual_lshrrev_b32 v1, 3, v2 :: v_dual_bitop2_b32 v24, 7, v0 bitop3:0x40
	s_mov_b32 s21, exec_lo
	v_cmpx_gt_u32_e32 8, v2
; %bb.517:                              ;   in Loop: Header=BB189_12 Depth=1
	s_delay_alu instid0(VALU_DEP_2) | instskip(NEXT) | instid1(VALU_DEP_1)
	v_clz_i32_u32_e32 v1, v24
	v_min_u32_e32 v1, 32, v1
	s_delay_alu instid0(VALU_DEP_1) | instskip(NEXT) | instid1(VALU_DEP_1)
	v_subrev_nc_u32_e32 v2, 28, v1
	v_lshlrev_b64_e32 v[2:3], v2, v[24:25]
	s_delay_alu instid0(VALU_DEP_1)
	v_dual_sub_nc_u32 v1, 29, v1 :: v_dual_bitop2_b32 v24, 7, v2 bitop3:0x40
; %bb.518:                              ;   in Loop: Header=BB189_12 Depth=1
	s_or_b32 exec_lo, exec_lo, s21
	v_lshlrev_b32_e32 v2, 24, v0
	s_delay_alu instid0(VALU_DEP_2) | instskip(NEXT) | instid1(VALU_DEP_3)
	v_lshlrev_b32_e32 v3, 20, v24
	v_lshl_add_u32 v1, v1, 23, 0x3c000000
	s_delay_alu instid0(VALU_DEP_3) | instskip(NEXT) | instid1(VALU_DEP_1)
	v_and_b32_e32 v2, 0x80000000, v2
	v_or3_b32 v24, v3, v2, v1
	scratch_store_b64 off, v[24:25], s32 offset:392 ; 8-byte Folded Spill
.LBB189_519:                            ;   in Loop: Header=BB189_12 Depth=1
	s_wait_xcnt 0x0
	s_or_b32 exec_lo, exec_lo, s20
.LBB189_520:                            ;   in Loop: Header=BB189_12 Depth=1
	s_delay_alu instid0(SALU_CYCLE_1)
	s_or_b32 exec_lo, exec_lo, s19
.LBB189_521:                            ;   in Loop: Header=BB189_12 Depth=1
	s_delay_alu instid0(SALU_CYCLE_1) | instskip(SKIP_2) | instid1(VALU_DEP_1)
	s_or_b32 exec_lo, exec_lo, s18
	v_lshrrev_b16 v1, 8, v0
	s_mov_b32 s18, exec_lo
	v_cmpx_ne_u16_e32 0, v1
	s_cbranch_execz .LBB189_529
; %bb.522:                              ;   in Loop: Header=BB189_12 Depth=1
	v_mov_b64_e32 v[2:3], 0x8000000000000000
	s_mov_b32 s19, exec_lo
	scratch_store_b64 off, v[2:3], s32 offset:384 ; 8-byte Folded Spill
	s_wait_xcnt 0x0
	v_cmpx_ne_u16_e32 0x80, v1
	s_cbranch_execz .LBB189_528
; %bb.523:                              ;   in Loop: Header=BB189_12 Depth=1
	v_and_b32_e32 v1, 0xffff, v1
	v_mov_b64_e32 v[12:13], 0x7f80000100000000
	s_mov_b32 s20, exec_lo
	s_delay_alu instid0(VALU_DEP_2)
	v_and_b32_e32 v2, 0x7f, v1
	scratch_store_b64 off, v[12:13], s32 offset:384 ; 8-byte Folded Spill
	s_wait_xcnt 0x0
	v_cmpx_ne_u32_e32 0x7f, v2
	s_cbranch_execz .LBB189_527
; %bb.524:                              ;   in Loop: Header=BB189_12 Depth=1
	v_dual_lshrrev_b32 v1, 3, v2 :: v_dual_bitop2_b32 v24, 7, v1 bitop3:0x40
	s_mov_b32 s21, exec_lo
	v_cmpx_gt_u32_e32 8, v2
; %bb.525:                              ;   in Loop: Header=BB189_12 Depth=1
	s_delay_alu instid0(VALU_DEP_2) | instskip(NEXT) | instid1(VALU_DEP_1)
	v_clz_i32_u32_e32 v1, v24
	v_min_u32_e32 v1, 32, v1
	s_delay_alu instid0(VALU_DEP_1) | instskip(NEXT) | instid1(VALU_DEP_1)
	v_subrev_nc_u32_e32 v2, 28, v1
	v_lshlrev_b64_e32 v[2:3], v2, v[24:25]
	s_delay_alu instid0(VALU_DEP_1)
	v_dual_sub_nc_u32 v1, 29, v1 :: v_dual_bitop2_b32 v24, 7, v2 bitop3:0x40
; %bb.526:                              ;   in Loop: Header=BB189_12 Depth=1
	s_or_b32 exec_lo, exec_lo, s21
	v_lshlrev_b32_e32 v0, 16, v0
	s_delay_alu instid0(VALU_DEP_2) | instskip(NEXT) | instid1(VALU_DEP_3)
	v_lshlrev_b32_e32 v2, 20, v24
	v_lshl_add_u32 v1, v1, 23, 0x3c000000
	s_delay_alu instid0(VALU_DEP_3) | instskip(NEXT) | instid1(VALU_DEP_1)
	v_and_b32_e32 v0, 0x80000000, v0
	v_or3_b32 v1, v2, v0, v1
	v_mov_b32_e32 v0, v25
	scratch_store_b64 off, v[0:1], s32 offset:384 ; 8-byte Folded Spill
.LBB189_527:                            ;   in Loop: Header=BB189_12 Depth=1
	s_wait_xcnt 0x0
	s_or_b32 exec_lo, exec_lo, s20
.LBB189_528:                            ;   in Loop: Header=BB189_12 Depth=1
	s_delay_alu instid0(SALU_CYCLE_1)
	s_or_b32 exec_lo, exec_lo, s19
.LBB189_529:                            ;   in Loop: Header=BB189_12 Depth=1
	s_delay_alu instid0(SALU_CYCLE_1)
	s_or_b32 exec_lo, exec_lo, s18
	flat_load_u16 v1, v[76:77] offset:2048
	v_mov_b64_e32 v[2:3], 0
	s_mov_b32 s18, exec_lo
	scratch_store_b64 off, v[2:3], s32 offset:400 ; 8-byte Folded Spill
	s_wait_xcnt 0x0
	v_mov_b64_e32 v[2:3], 0
	scratch_store_b64 off, v[2:3], s32 offset:408 ; 8-byte Folded Spill
	s_wait_loadcnt_dscnt 0x0
	v_and_b32_e32 v0, 0xffff, v1
	v_and_b32_e32 v1, 0xff, v1
	s_wait_xcnt 0x0
	s_delay_alu instid0(VALU_DEP_1)
	v_cmpx_ne_u16_e32 0, v1
	s_cbranch_execz .LBB189_537
; %bb.530:                              ;   in Loop: Header=BB189_12 Depth=1
	v_mov_b64_e32 v[2:3], 0x80000000
	v_and_b32_e32 v1, 0xff, v0
	s_mov_b32 s19, exec_lo
	scratch_store_b64 off, v[2:3], s32 offset:408 ; 8-byte Folded Spill
	s_wait_xcnt 0x0
	v_cmpx_ne_u16_e32 0x80, v1
	s_cbranch_execz .LBB189_536
; %bb.531:                              ;   in Loop: Header=BB189_12 Depth=1
	v_mov_b64_e32 v[12:13], 0x7f800001
	v_and_b32_e32 v2, 0x7f, v0
	s_mov_b32 s20, exec_lo
	scratch_store_b64 off, v[12:13], s32 offset:408 ; 8-byte Folded Spill
	s_wait_xcnt 0x0
	v_cmpx_ne_u32_e32 0x7f, v2
	s_cbranch_execz .LBB189_535
; %bb.532:                              ;   in Loop: Header=BB189_12 Depth=1
	v_dual_lshrrev_b32 v1, 3, v2 :: v_dual_bitop2_b32 v24, 7, v0 bitop3:0x40
	s_mov_b32 s21, exec_lo
	v_cmpx_gt_u32_e32 8, v2
; %bb.533:                              ;   in Loop: Header=BB189_12 Depth=1
	s_delay_alu instid0(VALU_DEP_2) | instskip(NEXT) | instid1(VALU_DEP_1)
	v_clz_i32_u32_e32 v1, v24
	v_min_u32_e32 v1, 32, v1
	s_delay_alu instid0(VALU_DEP_1) | instskip(NEXT) | instid1(VALU_DEP_1)
	v_subrev_nc_u32_e32 v2, 28, v1
	v_lshlrev_b64_e32 v[2:3], v2, v[24:25]
	s_delay_alu instid0(VALU_DEP_1)
	v_dual_sub_nc_u32 v1, 29, v1 :: v_dual_bitop2_b32 v24, 7, v2 bitop3:0x40
; %bb.534:                              ;   in Loop: Header=BB189_12 Depth=1
	s_or_b32 exec_lo, exec_lo, s21
	v_lshlrev_b32_e32 v2, 24, v0
	s_delay_alu instid0(VALU_DEP_2) | instskip(NEXT) | instid1(VALU_DEP_3)
	v_lshlrev_b32_e32 v3, 20, v24
	v_lshl_add_u32 v1, v1, 23, 0x3c000000
	s_delay_alu instid0(VALU_DEP_3) | instskip(NEXT) | instid1(VALU_DEP_1)
	v_and_b32_e32 v2, 0x80000000, v2
	v_or3_b32 v24, v3, v2, v1
	scratch_store_b64 off, v[24:25], s32 offset:408 ; 8-byte Folded Spill
.LBB189_535:                            ;   in Loop: Header=BB189_12 Depth=1
	s_wait_xcnt 0x0
	s_or_b32 exec_lo, exec_lo, s20
.LBB189_536:                            ;   in Loop: Header=BB189_12 Depth=1
	s_delay_alu instid0(SALU_CYCLE_1)
	s_or_b32 exec_lo, exec_lo, s19
.LBB189_537:                            ;   in Loop: Header=BB189_12 Depth=1
	s_delay_alu instid0(SALU_CYCLE_1) | instskip(SKIP_2) | instid1(VALU_DEP_1)
	s_or_b32 exec_lo, exec_lo, s18
	v_lshrrev_b16 v1, 8, v0
	s_mov_b32 s18, exec_lo
	v_cmpx_ne_u16_e32 0, v1
	s_cbranch_execz .LBB189_545
; %bb.538:                              ;   in Loop: Header=BB189_12 Depth=1
	v_mov_b64_e32 v[2:3], 0x8000000000000000
	s_mov_b32 s19, exec_lo
	scratch_store_b64 off, v[2:3], s32 offset:400 ; 8-byte Folded Spill
	s_wait_xcnt 0x0
	v_cmpx_ne_u16_e32 0x80, v1
	s_cbranch_execz .LBB189_544
; %bb.539:                              ;   in Loop: Header=BB189_12 Depth=1
	v_and_b32_e32 v1, 0xffff, v1
	v_mov_b64_e32 v[12:13], 0x7f80000100000000
	s_mov_b32 s20, exec_lo
	s_delay_alu instid0(VALU_DEP_2)
	v_and_b32_e32 v2, 0x7f, v1
	scratch_store_b64 off, v[12:13], s32 offset:400 ; 8-byte Folded Spill
	s_wait_xcnt 0x0
	v_cmpx_ne_u32_e32 0x7f, v2
	s_cbranch_execz .LBB189_543
; %bb.540:                              ;   in Loop: Header=BB189_12 Depth=1
	v_dual_lshrrev_b32 v1, 3, v2 :: v_dual_bitop2_b32 v24, 7, v1 bitop3:0x40
	s_mov_b32 s21, exec_lo
	v_cmpx_gt_u32_e32 8, v2
; %bb.541:                              ;   in Loop: Header=BB189_12 Depth=1
	s_delay_alu instid0(VALU_DEP_2) | instskip(NEXT) | instid1(VALU_DEP_1)
	v_clz_i32_u32_e32 v1, v24
	v_min_u32_e32 v1, 32, v1
	s_delay_alu instid0(VALU_DEP_1) | instskip(NEXT) | instid1(VALU_DEP_1)
	v_subrev_nc_u32_e32 v2, 28, v1
	v_lshlrev_b64_e32 v[2:3], v2, v[24:25]
	s_delay_alu instid0(VALU_DEP_1)
	v_dual_sub_nc_u32 v1, 29, v1 :: v_dual_bitop2_b32 v24, 7, v2 bitop3:0x40
; %bb.542:                              ;   in Loop: Header=BB189_12 Depth=1
	s_or_b32 exec_lo, exec_lo, s21
	v_lshlrev_b32_e32 v0, 16, v0
	s_delay_alu instid0(VALU_DEP_2) | instskip(NEXT) | instid1(VALU_DEP_3)
	v_lshlrev_b32_e32 v2, 20, v24
	v_lshl_add_u32 v1, v1, 23, 0x3c000000
	s_delay_alu instid0(VALU_DEP_3) | instskip(NEXT) | instid1(VALU_DEP_1)
	v_and_b32_e32 v0, 0x80000000, v0
	v_or3_b32 v1, v2, v0, v1
	v_mov_b32_e32 v0, v25
	scratch_store_b64 off, v[0:1], s32 offset:400 ; 8-byte Folded Spill
.LBB189_543:                            ;   in Loop: Header=BB189_12 Depth=1
	s_wait_xcnt 0x0
	s_or_b32 exec_lo, exec_lo, s20
.LBB189_544:                            ;   in Loop: Header=BB189_12 Depth=1
	s_delay_alu instid0(SALU_CYCLE_1)
	s_or_b32 exec_lo, exec_lo, s19
.LBB189_545:                            ;   in Loop: Header=BB189_12 Depth=1
	s_delay_alu instid0(SALU_CYCLE_1)
	s_or_b32 exec_lo, exec_lo, s18
	flat_load_u16 v1, v[76:77] offset:2052
	v_mov_b64_e32 v[2:3], 0
	s_mov_b32 s18, exec_lo
	scratch_store_b64 off, v[2:3], s32 offset:416 ; 8-byte Folded Spill
	s_wait_xcnt 0x0
	v_mov_b64_e32 v[2:3], 0
	scratch_store_b64 off, v[2:3], s32 offset:424 ; 8-byte Folded Spill
	s_wait_loadcnt_dscnt 0x0
	v_and_b32_e32 v0, 0xffff, v1
	v_and_b32_e32 v1, 0xff, v1
	s_wait_xcnt 0x0
	s_delay_alu instid0(VALU_DEP_1)
	v_cmpx_ne_u16_e32 0, v1
	s_cbranch_execz .LBB189_553
; %bb.546:                              ;   in Loop: Header=BB189_12 Depth=1
	v_mov_b64_e32 v[2:3], 0x80000000
	v_and_b32_e32 v1, 0xff, v0
	s_mov_b32 s19, exec_lo
	scratch_store_b64 off, v[2:3], s32 offset:424 ; 8-byte Folded Spill
	s_wait_xcnt 0x0
	v_cmpx_ne_u16_e32 0x80, v1
	s_cbranch_execz .LBB189_552
; %bb.547:                              ;   in Loop: Header=BB189_12 Depth=1
	v_mov_b64_e32 v[12:13], 0x7f800001
	v_and_b32_e32 v2, 0x7f, v0
	s_mov_b32 s20, exec_lo
	scratch_store_b64 off, v[12:13], s32 offset:424 ; 8-byte Folded Spill
	s_wait_xcnt 0x0
	v_cmpx_ne_u32_e32 0x7f, v2
	s_cbranch_execz .LBB189_551
; %bb.548:                              ;   in Loop: Header=BB189_12 Depth=1
	v_dual_lshrrev_b32 v1, 3, v2 :: v_dual_bitop2_b32 v24, 7, v0 bitop3:0x40
	s_mov_b32 s21, exec_lo
	v_cmpx_gt_u32_e32 8, v2
; %bb.549:                              ;   in Loop: Header=BB189_12 Depth=1
	s_delay_alu instid0(VALU_DEP_2) | instskip(NEXT) | instid1(VALU_DEP_1)
	v_clz_i32_u32_e32 v1, v24
	v_min_u32_e32 v1, 32, v1
	s_delay_alu instid0(VALU_DEP_1) | instskip(NEXT) | instid1(VALU_DEP_1)
	v_subrev_nc_u32_e32 v2, 28, v1
	v_lshlrev_b64_e32 v[2:3], v2, v[24:25]
	s_delay_alu instid0(VALU_DEP_1)
	v_dual_sub_nc_u32 v1, 29, v1 :: v_dual_bitop2_b32 v24, 7, v2 bitop3:0x40
; %bb.550:                              ;   in Loop: Header=BB189_12 Depth=1
	s_or_b32 exec_lo, exec_lo, s21
	v_lshlrev_b32_e32 v2, 24, v0
	s_delay_alu instid0(VALU_DEP_2) | instskip(NEXT) | instid1(VALU_DEP_3)
	v_lshlrev_b32_e32 v3, 20, v24
	v_lshl_add_u32 v1, v1, 23, 0x3c000000
	s_delay_alu instid0(VALU_DEP_3) | instskip(NEXT) | instid1(VALU_DEP_1)
	v_and_b32_e32 v2, 0x80000000, v2
	v_or3_b32 v24, v3, v2, v1
	scratch_store_b64 off, v[24:25], s32 offset:424 ; 8-byte Folded Spill
.LBB189_551:                            ;   in Loop: Header=BB189_12 Depth=1
	s_wait_xcnt 0x0
	s_or_b32 exec_lo, exec_lo, s20
.LBB189_552:                            ;   in Loop: Header=BB189_12 Depth=1
	s_delay_alu instid0(SALU_CYCLE_1)
	s_or_b32 exec_lo, exec_lo, s19
.LBB189_553:                            ;   in Loop: Header=BB189_12 Depth=1
	s_delay_alu instid0(SALU_CYCLE_1) | instskip(SKIP_2) | instid1(VALU_DEP_1)
	s_or_b32 exec_lo, exec_lo, s18
	v_lshrrev_b16 v1, 8, v0
	s_mov_b32 s18, exec_lo
	v_cmpx_ne_u16_e32 0, v1
	s_cbranch_execz .LBB189_561
; %bb.554:                              ;   in Loop: Header=BB189_12 Depth=1
	v_mov_b64_e32 v[2:3], 0x8000000000000000
	s_mov_b32 s19, exec_lo
	scratch_store_b64 off, v[2:3], s32 offset:416 ; 8-byte Folded Spill
	s_wait_xcnt 0x0
	v_cmpx_ne_u16_e32 0x80, v1
	s_cbranch_execz .LBB189_560
; %bb.555:                              ;   in Loop: Header=BB189_12 Depth=1
	v_and_b32_e32 v1, 0xffff, v1
	v_mov_b64_e32 v[12:13], 0x7f80000100000000
	s_mov_b32 s20, exec_lo
	s_delay_alu instid0(VALU_DEP_2)
	v_and_b32_e32 v2, 0x7f, v1
	scratch_store_b64 off, v[12:13], s32 offset:416 ; 8-byte Folded Spill
	s_wait_xcnt 0x0
	v_cmpx_ne_u32_e32 0x7f, v2
	s_cbranch_execz .LBB189_559
; %bb.556:                              ;   in Loop: Header=BB189_12 Depth=1
	v_dual_lshrrev_b32 v1, 3, v2 :: v_dual_bitop2_b32 v24, 7, v1 bitop3:0x40
	s_mov_b32 s21, exec_lo
	v_cmpx_gt_u32_e32 8, v2
; %bb.557:                              ;   in Loop: Header=BB189_12 Depth=1
	s_delay_alu instid0(VALU_DEP_2) | instskip(NEXT) | instid1(VALU_DEP_1)
	v_clz_i32_u32_e32 v1, v24
	v_min_u32_e32 v1, 32, v1
	s_delay_alu instid0(VALU_DEP_1) | instskip(NEXT) | instid1(VALU_DEP_1)
	v_subrev_nc_u32_e32 v2, 28, v1
	v_lshlrev_b64_e32 v[2:3], v2, v[24:25]
	s_delay_alu instid0(VALU_DEP_1)
	v_dual_sub_nc_u32 v1, 29, v1 :: v_dual_bitop2_b32 v24, 7, v2 bitop3:0x40
; %bb.558:                              ;   in Loop: Header=BB189_12 Depth=1
	s_or_b32 exec_lo, exec_lo, s21
	v_lshlrev_b32_e32 v0, 16, v0
	s_delay_alu instid0(VALU_DEP_2) | instskip(NEXT) | instid1(VALU_DEP_3)
	v_lshlrev_b32_e32 v2, 20, v24
	v_lshl_add_u32 v1, v1, 23, 0x3c000000
	s_delay_alu instid0(VALU_DEP_3) | instskip(NEXT) | instid1(VALU_DEP_1)
	v_and_b32_e32 v0, 0x80000000, v0
	v_or3_b32 v1, v2, v0, v1
	v_mov_b32_e32 v0, v25
	scratch_store_b64 off, v[0:1], s32 offset:416 ; 8-byte Folded Spill
.LBB189_559:                            ;   in Loop: Header=BB189_12 Depth=1
	s_wait_xcnt 0x0
	s_or_b32 exec_lo, exec_lo, s20
.LBB189_560:                            ;   in Loop: Header=BB189_12 Depth=1
	s_delay_alu instid0(SALU_CYCLE_1)
	s_or_b32 exec_lo, exec_lo, s19
.LBB189_561:                            ;   in Loop: Header=BB189_12 Depth=1
	s_delay_alu instid0(SALU_CYCLE_1)
	s_or_b32 exec_lo, exec_lo, s18
	flat_load_u16 v1, v[76:77] offset:2056
	v_mov_b64_e32 v[2:3], 0
	s_mov_b32 s18, exec_lo
	scratch_store_b64 off, v[2:3], s32 offset:432 ; 8-byte Folded Spill
	s_wait_xcnt 0x0
	v_mov_b64_e32 v[2:3], 0
	scratch_store_b64 off, v[2:3], s32 offset:440 ; 8-byte Folded Spill
	s_wait_loadcnt_dscnt 0x0
	v_and_b32_e32 v0, 0xffff, v1
	v_and_b32_e32 v1, 0xff, v1
	s_wait_xcnt 0x0
	s_delay_alu instid0(VALU_DEP_1)
	v_cmpx_ne_u16_e32 0, v1
	s_cbranch_execz .LBB189_569
; %bb.562:                              ;   in Loop: Header=BB189_12 Depth=1
	v_mov_b64_e32 v[2:3], 0x80000000
	v_and_b32_e32 v1, 0xff, v0
	s_mov_b32 s19, exec_lo
	scratch_store_b64 off, v[2:3], s32 offset:440 ; 8-byte Folded Spill
	s_wait_xcnt 0x0
	v_cmpx_ne_u16_e32 0x80, v1
	s_cbranch_execz .LBB189_568
; %bb.563:                              ;   in Loop: Header=BB189_12 Depth=1
	v_mov_b64_e32 v[12:13], 0x7f800001
	v_and_b32_e32 v2, 0x7f, v0
	s_mov_b32 s20, exec_lo
	scratch_store_b64 off, v[12:13], s32 offset:440 ; 8-byte Folded Spill
	s_wait_xcnt 0x0
	v_cmpx_ne_u32_e32 0x7f, v2
	s_cbranch_execz .LBB189_567
; %bb.564:                              ;   in Loop: Header=BB189_12 Depth=1
	v_dual_lshrrev_b32 v1, 3, v2 :: v_dual_bitop2_b32 v24, 7, v0 bitop3:0x40
	s_mov_b32 s21, exec_lo
	v_cmpx_gt_u32_e32 8, v2
; %bb.565:                              ;   in Loop: Header=BB189_12 Depth=1
	s_delay_alu instid0(VALU_DEP_2) | instskip(NEXT) | instid1(VALU_DEP_1)
	v_clz_i32_u32_e32 v1, v24
	v_min_u32_e32 v1, 32, v1
	s_delay_alu instid0(VALU_DEP_1) | instskip(NEXT) | instid1(VALU_DEP_1)
	v_subrev_nc_u32_e32 v2, 28, v1
	v_lshlrev_b64_e32 v[2:3], v2, v[24:25]
	s_delay_alu instid0(VALU_DEP_1)
	v_dual_sub_nc_u32 v1, 29, v1 :: v_dual_bitop2_b32 v24, 7, v2 bitop3:0x40
; %bb.566:                              ;   in Loop: Header=BB189_12 Depth=1
	s_or_b32 exec_lo, exec_lo, s21
	v_lshlrev_b32_e32 v2, 24, v0
	s_delay_alu instid0(VALU_DEP_2) | instskip(NEXT) | instid1(VALU_DEP_3)
	v_lshlrev_b32_e32 v3, 20, v24
	v_lshl_add_u32 v1, v1, 23, 0x3c000000
	s_delay_alu instid0(VALU_DEP_3) | instskip(NEXT) | instid1(VALU_DEP_1)
	v_and_b32_e32 v2, 0x80000000, v2
	v_or3_b32 v24, v3, v2, v1
	scratch_store_b64 off, v[24:25], s32 offset:440 ; 8-byte Folded Spill
.LBB189_567:                            ;   in Loop: Header=BB189_12 Depth=1
	s_wait_xcnt 0x0
	s_or_b32 exec_lo, exec_lo, s20
.LBB189_568:                            ;   in Loop: Header=BB189_12 Depth=1
	s_delay_alu instid0(SALU_CYCLE_1)
	s_or_b32 exec_lo, exec_lo, s19
.LBB189_569:                            ;   in Loop: Header=BB189_12 Depth=1
	s_delay_alu instid0(SALU_CYCLE_1) | instskip(SKIP_2) | instid1(VALU_DEP_1)
	s_or_b32 exec_lo, exec_lo, s18
	v_lshrrev_b16 v1, 8, v0
	s_mov_b32 s18, exec_lo
	v_cmpx_ne_u16_e32 0, v1
	s_cbranch_execz .LBB189_577
; %bb.570:                              ;   in Loop: Header=BB189_12 Depth=1
	v_mov_b64_e32 v[2:3], 0x8000000000000000
	s_mov_b32 s19, exec_lo
	scratch_store_b64 off, v[2:3], s32 offset:432 ; 8-byte Folded Spill
	s_wait_xcnt 0x0
	v_cmpx_ne_u16_e32 0x80, v1
	s_cbranch_execz .LBB189_576
; %bb.571:                              ;   in Loop: Header=BB189_12 Depth=1
	v_and_b32_e32 v1, 0xffff, v1
	v_mov_b64_e32 v[12:13], 0x7f80000100000000
	s_mov_b32 s20, exec_lo
	s_delay_alu instid0(VALU_DEP_2)
	v_and_b32_e32 v2, 0x7f, v1
	scratch_store_b64 off, v[12:13], s32 offset:432 ; 8-byte Folded Spill
	s_wait_xcnt 0x0
	v_cmpx_ne_u32_e32 0x7f, v2
	s_cbranch_execz .LBB189_575
; %bb.572:                              ;   in Loop: Header=BB189_12 Depth=1
	v_dual_lshrrev_b32 v1, 3, v2 :: v_dual_bitop2_b32 v24, 7, v1 bitop3:0x40
	s_mov_b32 s21, exec_lo
	v_cmpx_gt_u32_e32 8, v2
; %bb.573:                              ;   in Loop: Header=BB189_12 Depth=1
	s_delay_alu instid0(VALU_DEP_2) | instskip(NEXT) | instid1(VALU_DEP_1)
	v_clz_i32_u32_e32 v1, v24
	v_min_u32_e32 v1, 32, v1
	s_delay_alu instid0(VALU_DEP_1) | instskip(NEXT) | instid1(VALU_DEP_1)
	v_subrev_nc_u32_e32 v2, 28, v1
	v_lshlrev_b64_e32 v[2:3], v2, v[24:25]
	s_delay_alu instid0(VALU_DEP_1)
	v_dual_sub_nc_u32 v1, 29, v1 :: v_dual_bitop2_b32 v24, 7, v2 bitop3:0x40
; %bb.574:                              ;   in Loop: Header=BB189_12 Depth=1
	s_or_b32 exec_lo, exec_lo, s21
	v_lshlrev_b32_e32 v0, 16, v0
	s_delay_alu instid0(VALU_DEP_2) | instskip(NEXT) | instid1(VALU_DEP_3)
	v_lshlrev_b32_e32 v2, 20, v24
	v_lshl_add_u32 v1, v1, 23, 0x3c000000
	s_delay_alu instid0(VALU_DEP_3) | instskip(NEXT) | instid1(VALU_DEP_1)
	v_and_b32_e32 v0, 0x80000000, v0
	v_or3_b32 v1, v2, v0, v1
	v_mov_b32_e32 v0, v25
	scratch_store_b64 off, v[0:1], s32 offset:432 ; 8-byte Folded Spill
.LBB189_575:                            ;   in Loop: Header=BB189_12 Depth=1
	s_wait_xcnt 0x0
	s_or_b32 exec_lo, exec_lo, s20
.LBB189_576:                            ;   in Loop: Header=BB189_12 Depth=1
	s_delay_alu instid0(SALU_CYCLE_1)
	s_or_b32 exec_lo, exec_lo, s19
.LBB189_577:                            ;   in Loop: Header=BB189_12 Depth=1
	s_delay_alu instid0(SALU_CYCLE_1)
	s_or_b32 exec_lo, exec_lo, s18
	flat_load_u16 v1, v[76:77] offset:2060
	v_mov_b64_e32 v[2:3], 0
	s_mov_b32 s18, exec_lo
	scratch_store_b64 off, v[2:3], s32 offset:448 ; 8-byte Folded Spill
	s_wait_xcnt 0x0
	v_mov_b64_e32 v[2:3], 0
	scratch_store_b64 off, v[2:3], s32 offset:456 ; 8-byte Folded Spill
	s_wait_loadcnt_dscnt 0x0
	v_and_b32_e32 v0, 0xffff, v1
	v_and_b32_e32 v1, 0xff, v1
	s_wait_xcnt 0x0
	s_delay_alu instid0(VALU_DEP_1)
	v_cmpx_ne_u16_e32 0, v1
	s_cbranch_execz .LBB189_585
; %bb.578:                              ;   in Loop: Header=BB189_12 Depth=1
	v_mov_b64_e32 v[2:3], 0x80000000
	v_and_b32_e32 v1, 0xff, v0
	s_mov_b32 s19, exec_lo
	scratch_store_b64 off, v[2:3], s32 offset:456 ; 8-byte Folded Spill
	s_wait_xcnt 0x0
	v_cmpx_ne_u16_e32 0x80, v1
	s_cbranch_execz .LBB189_584
; %bb.579:                              ;   in Loop: Header=BB189_12 Depth=1
	v_mov_b64_e32 v[12:13], 0x7f800001
	v_and_b32_e32 v2, 0x7f, v0
	s_mov_b32 s20, exec_lo
	scratch_store_b64 off, v[12:13], s32 offset:456 ; 8-byte Folded Spill
	s_wait_xcnt 0x0
	v_cmpx_ne_u32_e32 0x7f, v2
	s_cbranch_execz .LBB189_583
; %bb.580:                              ;   in Loop: Header=BB189_12 Depth=1
	v_dual_lshrrev_b32 v1, 3, v2 :: v_dual_bitop2_b32 v24, 7, v0 bitop3:0x40
	s_mov_b32 s21, exec_lo
	v_cmpx_gt_u32_e32 8, v2
; %bb.581:                              ;   in Loop: Header=BB189_12 Depth=1
	s_delay_alu instid0(VALU_DEP_2) | instskip(NEXT) | instid1(VALU_DEP_1)
	v_clz_i32_u32_e32 v1, v24
	v_min_u32_e32 v1, 32, v1
	s_delay_alu instid0(VALU_DEP_1) | instskip(NEXT) | instid1(VALU_DEP_1)
	v_subrev_nc_u32_e32 v2, 28, v1
	v_lshlrev_b64_e32 v[2:3], v2, v[24:25]
	s_delay_alu instid0(VALU_DEP_1)
	v_dual_sub_nc_u32 v1, 29, v1 :: v_dual_bitop2_b32 v24, 7, v2 bitop3:0x40
; %bb.582:                              ;   in Loop: Header=BB189_12 Depth=1
	s_or_b32 exec_lo, exec_lo, s21
	v_lshlrev_b32_e32 v2, 24, v0
	s_delay_alu instid0(VALU_DEP_2) | instskip(NEXT) | instid1(VALU_DEP_3)
	v_lshlrev_b32_e32 v3, 20, v24
	v_lshl_add_u32 v1, v1, 23, 0x3c000000
	s_delay_alu instid0(VALU_DEP_3) | instskip(NEXT) | instid1(VALU_DEP_1)
	v_and_b32_e32 v2, 0x80000000, v2
	v_or3_b32 v24, v3, v2, v1
	scratch_store_b64 off, v[24:25], s32 offset:456 ; 8-byte Folded Spill
.LBB189_583:                            ;   in Loop: Header=BB189_12 Depth=1
	s_wait_xcnt 0x0
	s_or_b32 exec_lo, exec_lo, s20
.LBB189_584:                            ;   in Loop: Header=BB189_12 Depth=1
	s_delay_alu instid0(SALU_CYCLE_1)
	s_or_b32 exec_lo, exec_lo, s19
.LBB189_585:                            ;   in Loop: Header=BB189_12 Depth=1
	s_delay_alu instid0(SALU_CYCLE_1) | instskip(SKIP_2) | instid1(VALU_DEP_1)
	s_or_b32 exec_lo, exec_lo, s18
	v_lshrrev_b16 v1, 8, v0
	s_mov_b32 s18, exec_lo
	v_cmpx_ne_u16_e32 0, v1
	s_cbranch_execz .LBB189_593
; %bb.586:                              ;   in Loop: Header=BB189_12 Depth=1
	v_mov_b64_e32 v[2:3], 0x8000000000000000
	s_mov_b32 s19, exec_lo
	scratch_store_b64 off, v[2:3], s32 offset:448 ; 8-byte Folded Spill
	s_wait_xcnt 0x0
	v_cmpx_ne_u16_e32 0x80, v1
	s_cbranch_execz .LBB189_592
; %bb.587:                              ;   in Loop: Header=BB189_12 Depth=1
	v_and_b32_e32 v1, 0xffff, v1
	v_mov_b64_e32 v[12:13], 0x7f80000100000000
	s_mov_b32 s20, exec_lo
	s_delay_alu instid0(VALU_DEP_2)
	v_and_b32_e32 v2, 0x7f, v1
	scratch_store_b64 off, v[12:13], s32 offset:448 ; 8-byte Folded Spill
	s_wait_xcnt 0x0
	v_cmpx_ne_u32_e32 0x7f, v2
	s_cbranch_execz .LBB189_591
; %bb.588:                              ;   in Loop: Header=BB189_12 Depth=1
	v_dual_lshrrev_b32 v1, 3, v2 :: v_dual_bitop2_b32 v24, 7, v1 bitop3:0x40
	s_mov_b32 s21, exec_lo
	v_cmpx_gt_u32_e32 8, v2
; %bb.589:                              ;   in Loop: Header=BB189_12 Depth=1
	s_delay_alu instid0(VALU_DEP_2) | instskip(NEXT) | instid1(VALU_DEP_1)
	v_clz_i32_u32_e32 v1, v24
	v_min_u32_e32 v1, 32, v1
	s_delay_alu instid0(VALU_DEP_1) | instskip(NEXT) | instid1(VALU_DEP_1)
	v_subrev_nc_u32_e32 v2, 28, v1
	v_lshlrev_b64_e32 v[2:3], v2, v[24:25]
	s_delay_alu instid0(VALU_DEP_1)
	v_dual_sub_nc_u32 v1, 29, v1 :: v_dual_bitop2_b32 v24, 7, v2 bitop3:0x40
; %bb.590:                              ;   in Loop: Header=BB189_12 Depth=1
	s_or_b32 exec_lo, exec_lo, s21
	v_lshlrev_b32_e32 v0, 16, v0
	s_delay_alu instid0(VALU_DEP_2) | instskip(NEXT) | instid1(VALU_DEP_3)
	v_lshlrev_b32_e32 v2, 20, v24
	v_lshl_add_u32 v1, v1, 23, 0x3c000000
	s_delay_alu instid0(VALU_DEP_3) | instskip(NEXT) | instid1(VALU_DEP_1)
	v_and_b32_e32 v0, 0x80000000, v0
	v_or3_b32 v1, v2, v0, v1
	v_mov_b32_e32 v0, v25
	scratch_store_b64 off, v[0:1], s32 offset:448 ; 8-byte Folded Spill
.LBB189_591:                            ;   in Loop: Header=BB189_12 Depth=1
	s_wait_xcnt 0x0
	s_or_b32 exec_lo, exec_lo, s20
.LBB189_592:                            ;   in Loop: Header=BB189_12 Depth=1
	s_delay_alu instid0(SALU_CYCLE_1)
	s_or_b32 exec_lo, exec_lo, s19
.LBB189_593:                            ;   in Loop: Header=BB189_12 Depth=1
	s_delay_alu instid0(SALU_CYCLE_1)
	s_or_b32 exec_lo, exec_lo, s18
	flat_load_u16 v1, v[76:77] offset:2304
	v_mov_b64_e32 v[2:3], 0
	s_mov_b32 s18, exec_lo
	scratch_store_b64 off, v[2:3], s32 offset:464 ; 8-byte Folded Spill
	s_wait_xcnt 0x0
	v_mov_b64_e32 v[2:3], 0
	scratch_store_b64 off, v[2:3], s32 offset:472 ; 8-byte Folded Spill
	s_wait_loadcnt_dscnt 0x0
	v_and_b32_e32 v0, 0xffff, v1
	v_and_b32_e32 v1, 0xff, v1
	s_wait_xcnt 0x0
	s_delay_alu instid0(VALU_DEP_1)
	v_cmpx_ne_u16_e32 0, v1
	s_cbranch_execz .LBB189_601
; %bb.594:                              ;   in Loop: Header=BB189_12 Depth=1
	v_mov_b64_e32 v[2:3], 0x80000000
	v_and_b32_e32 v1, 0xff, v0
	s_mov_b32 s19, exec_lo
	scratch_store_b64 off, v[2:3], s32 offset:472 ; 8-byte Folded Spill
	s_wait_xcnt 0x0
	v_cmpx_ne_u16_e32 0x80, v1
	s_cbranch_execz .LBB189_600
; %bb.595:                              ;   in Loop: Header=BB189_12 Depth=1
	v_mov_b64_e32 v[12:13], 0x7f800001
	v_and_b32_e32 v2, 0x7f, v0
	s_mov_b32 s20, exec_lo
	scratch_store_b64 off, v[12:13], s32 offset:472 ; 8-byte Folded Spill
	s_wait_xcnt 0x0
	v_cmpx_ne_u32_e32 0x7f, v2
	s_cbranch_execz .LBB189_599
; %bb.596:                              ;   in Loop: Header=BB189_12 Depth=1
	v_dual_lshrrev_b32 v1, 3, v2 :: v_dual_bitop2_b32 v24, 7, v0 bitop3:0x40
	s_mov_b32 s21, exec_lo
	v_cmpx_gt_u32_e32 8, v2
; %bb.597:                              ;   in Loop: Header=BB189_12 Depth=1
	s_delay_alu instid0(VALU_DEP_2) | instskip(NEXT) | instid1(VALU_DEP_1)
	v_clz_i32_u32_e32 v1, v24
	v_min_u32_e32 v1, 32, v1
	s_delay_alu instid0(VALU_DEP_1) | instskip(NEXT) | instid1(VALU_DEP_1)
	v_subrev_nc_u32_e32 v2, 28, v1
	v_lshlrev_b64_e32 v[2:3], v2, v[24:25]
	s_delay_alu instid0(VALU_DEP_1)
	v_dual_sub_nc_u32 v1, 29, v1 :: v_dual_bitop2_b32 v24, 7, v2 bitop3:0x40
; %bb.598:                              ;   in Loop: Header=BB189_12 Depth=1
	s_or_b32 exec_lo, exec_lo, s21
	v_lshlrev_b32_e32 v2, 24, v0
	s_delay_alu instid0(VALU_DEP_2) | instskip(NEXT) | instid1(VALU_DEP_3)
	v_lshlrev_b32_e32 v3, 20, v24
	v_lshl_add_u32 v1, v1, 23, 0x3c000000
	s_delay_alu instid0(VALU_DEP_3) | instskip(NEXT) | instid1(VALU_DEP_1)
	v_and_b32_e32 v2, 0x80000000, v2
	v_or3_b32 v24, v3, v2, v1
	scratch_store_b64 off, v[24:25], s32 offset:472 ; 8-byte Folded Spill
.LBB189_599:                            ;   in Loop: Header=BB189_12 Depth=1
	s_wait_xcnt 0x0
	s_or_b32 exec_lo, exec_lo, s20
.LBB189_600:                            ;   in Loop: Header=BB189_12 Depth=1
	s_delay_alu instid0(SALU_CYCLE_1)
	s_or_b32 exec_lo, exec_lo, s19
.LBB189_601:                            ;   in Loop: Header=BB189_12 Depth=1
	s_delay_alu instid0(SALU_CYCLE_1) | instskip(SKIP_2) | instid1(VALU_DEP_1)
	s_or_b32 exec_lo, exec_lo, s18
	v_lshrrev_b16 v1, 8, v0
	s_mov_b32 s18, exec_lo
	v_cmpx_ne_u16_e32 0, v1
	s_cbranch_execz .LBB189_609
; %bb.602:                              ;   in Loop: Header=BB189_12 Depth=1
	v_mov_b64_e32 v[2:3], 0x8000000000000000
	s_mov_b32 s19, exec_lo
	scratch_store_b64 off, v[2:3], s32 offset:464 ; 8-byte Folded Spill
	s_wait_xcnt 0x0
	v_cmpx_ne_u16_e32 0x80, v1
	s_cbranch_execz .LBB189_608
; %bb.603:                              ;   in Loop: Header=BB189_12 Depth=1
	v_and_b32_e32 v1, 0xffff, v1
	v_mov_b64_e32 v[12:13], 0x7f80000100000000
	s_mov_b32 s20, exec_lo
	s_delay_alu instid0(VALU_DEP_2)
	v_and_b32_e32 v2, 0x7f, v1
	scratch_store_b64 off, v[12:13], s32 offset:464 ; 8-byte Folded Spill
	s_wait_xcnt 0x0
	v_cmpx_ne_u32_e32 0x7f, v2
	s_cbranch_execz .LBB189_607
; %bb.604:                              ;   in Loop: Header=BB189_12 Depth=1
	v_dual_lshrrev_b32 v1, 3, v2 :: v_dual_bitop2_b32 v24, 7, v1 bitop3:0x40
	s_mov_b32 s21, exec_lo
	v_cmpx_gt_u32_e32 8, v2
; %bb.605:                              ;   in Loop: Header=BB189_12 Depth=1
	s_delay_alu instid0(VALU_DEP_2) | instskip(NEXT) | instid1(VALU_DEP_1)
	v_clz_i32_u32_e32 v1, v24
	v_min_u32_e32 v1, 32, v1
	s_delay_alu instid0(VALU_DEP_1) | instskip(NEXT) | instid1(VALU_DEP_1)
	v_subrev_nc_u32_e32 v2, 28, v1
	v_lshlrev_b64_e32 v[2:3], v2, v[24:25]
	s_delay_alu instid0(VALU_DEP_1)
	v_dual_sub_nc_u32 v1, 29, v1 :: v_dual_bitop2_b32 v24, 7, v2 bitop3:0x40
; %bb.606:                              ;   in Loop: Header=BB189_12 Depth=1
	s_or_b32 exec_lo, exec_lo, s21
	v_lshlrev_b32_e32 v0, 16, v0
	s_delay_alu instid0(VALU_DEP_2) | instskip(NEXT) | instid1(VALU_DEP_3)
	v_lshlrev_b32_e32 v2, 20, v24
	v_lshl_add_u32 v1, v1, 23, 0x3c000000
	s_delay_alu instid0(VALU_DEP_3) | instskip(NEXT) | instid1(VALU_DEP_1)
	v_and_b32_e32 v0, 0x80000000, v0
	v_or3_b32 v1, v2, v0, v1
	v_mov_b32_e32 v0, v25
	scratch_store_b64 off, v[0:1], s32 offset:464 ; 8-byte Folded Spill
.LBB189_607:                            ;   in Loop: Header=BB189_12 Depth=1
	s_wait_xcnt 0x0
	s_or_b32 exec_lo, exec_lo, s20
.LBB189_608:                            ;   in Loop: Header=BB189_12 Depth=1
	s_delay_alu instid0(SALU_CYCLE_1)
	s_or_b32 exec_lo, exec_lo, s19
.LBB189_609:                            ;   in Loop: Header=BB189_12 Depth=1
	s_delay_alu instid0(SALU_CYCLE_1)
	s_or_b32 exec_lo, exec_lo, s18
	flat_load_u16 v1, v[76:77] offset:2308
	v_mov_b64_e32 v[2:3], 0
	s_mov_b32 s18, exec_lo
	scratch_store_b64 off, v[2:3], s32 offset:480 ; 8-byte Folded Spill
	s_wait_xcnt 0x0
	v_mov_b64_e32 v[2:3], 0
	scratch_store_b64 off, v[2:3], s32 offset:488 ; 8-byte Folded Spill
	s_wait_loadcnt_dscnt 0x0
	v_and_b32_e32 v0, 0xffff, v1
	v_and_b32_e32 v1, 0xff, v1
	s_wait_xcnt 0x0
	s_delay_alu instid0(VALU_DEP_1)
	v_cmpx_ne_u16_e32 0, v1
	s_cbranch_execz .LBB189_617
; %bb.610:                              ;   in Loop: Header=BB189_12 Depth=1
	v_mov_b64_e32 v[2:3], 0x80000000
	v_and_b32_e32 v1, 0xff, v0
	s_mov_b32 s19, exec_lo
	scratch_store_b64 off, v[2:3], s32 offset:488 ; 8-byte Folded Spill
	s_wait_xcnt 0x0
	v_cmpx_ne_u16_e32 0x80, v1
	s_cbranch_execz .LBB189_616
; %bb.611:                              ;   in Loop: Header=BB189_12 Depth=1
	v_mov_b64_e32 v[12:13], 0x7f800001
	v_and_b32_e32 v2, 0x7f, v0
	s_mov_b32 s20, exec_lo
	scratch_store_b64 off, v[12:13], s32 offset:488 ; 8-byte Folded Spill
	s_wait_xcnt 0x0
	v_cmpx_ne_u32_e32 0x7f, v2
	s_cbranch_execz .LBB189_615
; %bb.612:                              ;   in Loop: Header=BB189_12 Depth=1
	v_dual_lshrrev_b32 v1, 3, v2 :: v_dual_bitop2_b32 v24, 7, v0 bitop3:0x40
	s_mov_b32 s21, exec_lo
	v_cmpx_gt_u32_e32 8, v2
; %bb.613:                              ;   in Loop: Header=BB189_12 Depth=1
	s_delay_alu instid0(VALU_DEP_2) | instskip(NEXT) | instid1(VALU_DEP_1)
	v_clz_i32_u32_e32 v1, v24
	v_min_u32_e32 v1, 32, v1
	s_delay_alu instid0(VALU_DEP_1) | instskip(NEXT) | instid1(VALU_DEP_1)
	v_subrev_nc_u32_e32 v2, 28, v1
	v_lshlrev_b64_e32 v[2:3], v2, v[24:25]
	s_delay_alu instid0(VALU_DEP_1)
	v_dual_sub_nc_u32 v1, 29, v1 :: v_dual_bitop2_b32 v24, 7, v2 bitop3:0x40
; %bb.614:                              ;   in Loop: Header=BB189_12 Depth=1
	s_or_b32 exec_lo, exec_lo, s21
	v_lshlrev_b32_e32 v2, 24, v0
	s_delay_alu instid0(VALU_DEP_2) | instskip(NEXT) | instid1(VALU_DEP_3)
	v_lshlrev_b32_e32 v3, 20, v24
	v_lshl_add_u32 v1, v1, 23, 0x3c000000
	s_delay_alu instid0(VALU_DEP_3) | instskip(NEXT) | instid1(VALU_DEP_1)
	v_and_b32_e32 v2, 0x80000000, v2
	v_or3_b32 v24, v3, v2, v1
	scratch_store_b64 off, v[24:25], s32 offset:488 ; 8-byte Folded Spill
.LBB189_615:                            ;   in Loop: Header=BB189_12 Depth=1
	s_wait_xcnt 0x0
	s_or_b32 exec_lo, exec_lo, s20
.LBB189_616:                            ;   in Loop: Header=BB189_12 Depth=1
	s_delay_alu instid0(SALU_CYCLE_1)
	s_or_b32 exec_lo, exec_lo, s19
.LBB189_617:                            ;   in Loop: Header=BB189_12 Depth=1
	s_delay_alu instid0(SALU_CYCLE_1) | instskip(SKIP_2) | instid1(VALU_DEP_1)
	s_or_b32 exec_lo, exec_lo, s18
	v_lshrrev_b16 v1, 8, v0
	s_mov_b32 s18, exec_lo
	v_cmpx_ne_u16_e32 0, v1
	s_cbranch_execz .LBB189_625
; %bb.618:                              ;   in Loop: Header=BB189_12 Depth=1
	v_mov_b64_e32 v[2:3], 0x8000000000000000
	s_mov_b32 s19, exec_lo
	scratch_store_b64 off, v[2:3], s32 offset:480 ; 8-byte Folded Spill
	s_wait_xcnt 0x0
	v_cmpx_ne_u16_e32 0x80, v1
	s_cbranch_execz .LBB189_624
; %bb.619:                              ;   in Loop: Header=BB189_12 Depth=1
	v_and_b32_e32 v1, 0xffff, v1
	v_mov_b64_e32 v[12:13], 0x7f80000100000000
	s_mov_b32 s20, exec_lo
	s_delay_alu instid0(VALU_DEP_2)
	v_and_b32_e32 v2, 0x7f, v1
	scratch_store_b64 off, v[12:13], s32 offset:480 ; 8-byte Folded Spill
	s_wait_xcnt 0x0
	v_cmpx_ne_u32_e32 0x7f, v2
	s_cbranch_execz .LBB189_623
; %bb.620:                              ;   in Loop: Header=BB189_12 Depth=1
	v_dual_lshrrev_b32 v1, 3, v2 :: v_dual_bitop2_b32 v24, 7, v1 bitop3:0x40
	s_mov_b32 s21, exec_lo
	v_cmpx_gt_u32_e32 8, v2
; %bb.621:                              ;   in Loop: Header=BB189_12 Depth=1
	s_delay_alu instid0(VALU_DEP_2) | instskip(NEXT) | instid1(VALU_DEP_1)
	v_clz_i32_u32_e32 v1, v24
	v_min_u32_e32 v1, 32, v1
	s_delay_alu instid0(VALU_DEP_1) | instskip(NEXT) | instid1(VALU_DEP_1)
	v_subrev_nc_u32_e32 v2, 28, v1
	v_lshlrev_b64_e32 v[2:3], v2, v[24:25]
	s_delay_alu instid0(VALU_DEP_1)
	v_dual_sub_nc_u32 v1, 29, v1 :: v_dual_bitop2_b32 v24, 7, v2 bitop3:0x40
; %bb.622:                              ;   in Loop: Header=BB189_12 Depth=1
	s_or_b32 exec_lo, exec_lo, s21
	v_lshlrev_b32_e32 v0, 16, v0
	s_delay_alu instid0(VALU_DEP_2) | instskip(NEXT) | instid1(VALU_DEP_3)
	v_lshlrev_b32_e32 v2, 20, v24
	v_lshl_add_u32 v1, v1, 23, 0x3c000000
	s_delay_alu instid0(VALU_DEP_3) | instskip(NEXT) | instid1(VALU_DEP_1)
	v_and_b32_e32 v0, 0x80000000, v0
	v_or3_b32 v1, v2, v0, v1
	v_mov_b32_e32 v0, v25
	scratch_store_b64 off, v[0:1], s32 offset:480 ; 8-byte Folded Spill
.LBB189_623:                            ;   in Loop: Header=BB189_12 Depth=1
	s_wait_xcnt 0x0
	s_or_b32 exec_lo, exec_lo, s20
.LBB189_624:                            ;   in Loop: Header=BB189_12 Depth=1
	s_delay_alu instid0(SALU_CYCLE_1)
	s_or_b32 exec_lo, exec_lo, s19
.LBB189_625:                            ;   in Loop: Header=BB189_12 Depth=1
	s_delay_alu instid0(SALU_CYCLE_1)
	s_or_b32 exec_lo, exec_lo, s18
	flat_load_u16 v1, v[76:77] offset:2312
	v_mov_b64_e32 v[2:3], 0
	s_mov_b32 s18, exec_lo
	scratch_store_b64 off, v[2:3], s32 offset:496 ; 8-byte Folded Spill
	s_wait_xcnt 0x0
	v_mov_b64_e32 v[2:3], 0
	scratch_store_b64 off, v[2:3], s32 offset:504 ; 8-byte Folded Spill
	s_wait_loadcnt_dscnt 0x0
	v_and_b32_e32 v0, 0xffff, v1
	v_and_b32_e32 v1, 0xff, v1
	s_wait_xcnt 0x0
	s_delay_alu instid0(VALU_DEP_1)
	v_cmpx_ne_u16_e32 0, v1
	s_cbranch_execz .LBB189_633
; %bb.626:                              ;   in Loop: Header=BB189_12 Depth=1
	v_mov_b64_e32 v[2:3], 0x80000000
	v_and_b32_e32 v1, 0xff, v0
	s_mov_b32 s19, exec_lo
	scratch_store_b64 off, v[2:3], s32 offset:504 ; 8-byte Folded Spill
	s_wait_xcnt 0x0
	v_cmpx_ne_u16_e32 0x80, v1
	s_cbranch_execz .LBB189_632
; %bb.627:                              ;   in Loop: Header=BB189_12 Depth=1
	v_mov_b64_e32 v[12:13], 0x7f800001
	v_and_b32_e32 v2, 0x7f, v0
	s_mov_b32 s20, exec_lo
	scratch_store_b64 off, v[12:13], s32 offset:504 ; 8-byte Folded Spill
	s_wait_xcnt 0x0
	v_cmpx_ne_u32_e32 0x7f, v2
	s_cbranch_execz .LBB189_631
; %bb.628:                              ;   in Loop: Header=BB189_12 Depth=1
	v_dual_lshrrev_b32 v1, 3, v2 :: v_dual_bitop2_b32 v24, 7, v0 bitop3:0x40
	s_mov_b32 s21, exec_lo
	v_cmpx_gt_u32_e32 8, v2
; %bb.629:                              ;   in Loop: Header=BB189_12 Depth=1
	s_delay_alu instid0(VALU_DEP_2) | instskip(NEXT) | instid1(VALU_DEP_1)
	v_clz_i32_u32_e32 v1, v24
	v_min_u32_e32 v1, 32, v1
	s_delay_alu instid0(VALU_DEP_1) | instskip(NEXT) | instid1(VALU_DEP_1)
	v_subrev_nc_u32_e32 v2, 28, v1
	v_lshlrev_b64_e32 v[2:3], v2, v[24:25]
	s_delay_alu instid0(VALU_DEP_1)
	v_dual_sub_nc_u32 v1, 29, v1 :: v_dual_bitop2_b32 v24, 7, v2 bitop3:0x40
; %bb.630:                              ;   in Loop: Header=BB189_12 Depth=1
	s_or_b32 exec_lo, exec_lo, s21
	v_lshlrev_b32_e32 v2, 24, v0
	s_delay_alu instid0(VALU_DEP_2) | instskip(NEXT) | instid1(VALU_DEP_3)
	v_lshlrev_b32_e32 v3, 20, v24
	v_lshl_add_u32 v1, v1, 23, 0x3c000000
	s_delay_alu instid0(VALU_DEP_3) | instskip(NEXT) | instid1(VALU_DEP_1)
	v_and_b32_e32 v2, 0x80000000, v2
	v_or3_b32 v24, v3, v2, v1
	scratch_store_b64 off, v[24:25], s32 offset:504 ; 8-byte Folded Spill
.LBB189_631:                            ;   in Loop: Header=BB189_12 Depth=1
	s_wait_xcnt 0x0
	s_or_b32 exec_lo, exec_lo, s20
.LBB189_632:                            ;   in Loop: Header=BB189_12 Depth=1
	s_delay_alu instid0(SALU_CYCLE_1)
	s_or_b32 exec_lo, exec_lo, s19
.LBB189_633:                            ;   in Loop: Header=BB189_12 Depth=1
	s_delay_alu instid0(SALU_CYCLE_1) | instskip(SKIP_2) | instid1(VALU_DEP_1)
	s_or_b32 exec_lo, exec_lo, s18
	v_lshrrev_b16 v1, 8, v0
	s_mov_b32 s18, exec_lo
	v_cmpx_ne_u16_e32 0, v1
	s_cbranch_execz .LBB189_641
; %bb.634:                              ;   in Loop: Header=BB189_12 Depth=1
	v_mov_b64_e32 v[2:3], 0x8000000000000000
	s_mov_b32 s19, exec_lo
	scratch_store_b64 off, v[2:3], s32 offset:496 ; 8-byte Folded Spill
	s_wait_xcnt 0x0
	v_cmpx_ne_u16_e32 0x80, v1
	s_cbranch_execz .LBB189_640
; %bb.635:                              ;   in Loop: Header=BB189_12 Depth=1
	v_and_b32_e32 v1, 0xffff, v1
	v_mov_b64_e32 v[12:13], 0x7f80000100000000
	s_mov_b32 s20, exec_lo
	s_delay_alu instid0(VALU_DEP_2)
	v_and_b32_e32 v2, 0x7f, v1
	scratch_store_b64 off, v[12:13], s32 offset:496 ; 8-byte Folded Spill
	s_wait_xcnt 0x0
	v_cmpx_ne_u32_e32 0x7f, v2
	s_cbranch_execz .LBB189_639
; %bb.636:                              ;   in Loop: Header=BB189_12 Depth=1
	v_dual_lshrrev_b32 v1, 3, v2 :: v_dual_bitop2_b32 v24, 7, v1 bitop3:0x40
	s_mov_b32 s21, exec_lo
	v_cmpx_gt_u32_e32 8, v2
; %bb.637:                              ;   in Loop: Header=BB189_12 Depth=1
	s_delay_alu instid0(VALU_DEP_2) | instskip(NEXT) | instid1(VALU_DEP_1)
	v_clz_i32_u32_e32 v1, v24
	v_min_u32_e32 v1, 32, v1
	s_delay_alu instid0(VALU_DEP_1) | instskip(NEXT) | instid1(VALU_DEP_1)
	v_subrev_nc_u32_e32 v2, 28, v1
	v_lshlrev_b64_e32 v[2:3], v2, v[24:25]
	s_delay_alu instid0(VALU_DEP_1)
	v_dual_sub_nc_u32 v1, 29, v1 :: v_dual_bitop2_b32 v24, 7, v2 bitop3:0x40
; %bb.638:                              ;   in Loop: Header=BB189_12 Depth=1
	s_or_b32 exec_lo, exec_lo, s21
	v_lshlrev_b32_e32 v0, 16, v0
	s_delay_alu instid0(VALU_DEP_2) | instskip(NEXT) | instid1(VALU_DEP_3)
	v_lshlrev_b32_e32 v2, 20, v24
	v_lshl_add_u32 v1, v1, 23, 0x3c000000
	s_delay_alu instid0(VALU_DEP_3) | instskip(NEXT) | instid1(VALU_DEP_1)
	v_and_b32_e32 v0, 0x80000000, v0
	v_or3_b32 v1, v2, v0, v1
	v_mov_b32_e32 v0, v25
	scratch_store_b64 off, v[0:1], s32 offset:496 ; 8-byte Folded Spill
.LBB189_639:                            ;   in Loop: Header=BB189_12 Depth=1
	s_wait_xcnt 0x0
	s_or_b32 exec_lo, exec_lo, s20
.LBB189_640:                            ;   in Loop: Header=BB189_12 Depth=1
	s_delay_alu instid0(SALU_CYCLE_1)
	s_or_b32 exec_lo, exec_lo, s19
.LBB189_641:                            ;   in Loop: Header=BB189_12 Depth=1
	s_delay_alu instid0(SALU_CYCLE_1)
	s_or_b32 exec_lo, exec_lo, s18
	flat_load_u16 v1, v[76:77] offset:2316
	v_mov_b64_e32 v[2:3], 0
	s_mov_b32 s18, exec_lo
	scratch_store_b64 off, v[2:3], s32 offset:512 ; 8-byte Folded Spill
	s_wait_xcnt 0x0
	v_mov_b64_e32 v[2:3], 0
	scratch_store_b64 off, v[2:3], s32 offset:520 ; 8-byte Folded Spill
	s_wait_loadcnt_dscnt 0x0
	v_and_b32_e32 v0, 0xffff, v1
	v_and_b32_e32 v1, 0xff, v1
	s_wait_xcnt 0x0
	s_delay_alu instid0(VALU_DEP_1)
	v_cmpx_ne_u16_e32 0, v1
	s_cbranch_execz .LBB189_649
; %bb.642:                              ;   in Loop: Header=BB189_12 Depth=1
	v_mov_b64_e32 v[2:3], 0x80000000
	v_and_b32_e32 v1, 0xff, v0
	s_mov_b32 s19, exec_lo
	scratch_store_b64 off, v[2:3], s32 offset:520 ; 8-byte Folded Spill
	s_wait_xcnt 0x0
	v_cmpx_ne_u16_e32 0x80, v1
	s_cbranch_execz .LBB189_648
; %bb.643:                              ;   in Loop: Header=BB189_12 Depth=1
	v_mov_b64_e32 v[12:13], 0x7f800001
	v_and_b32_e32 v2, 0x7f, v0
	s_mov_b32 s20, exec_lo
	scratch_store_b64 off, v[12:13], s32 offset:520 ; 8-byte Folded Spill
	s_wait_xcnt 0x0
	v_cmpx_ne_u32_e32 0x7f, v2
	s_cbranch_execz .LBB189_647
; %bb.644:                              ;   in Loop: Header=BB189_12 Depth=1
	v_dual_lshrrev_b32 v1, 3, v2 :: v_dual_bitop2_b32 v24, 7, v0 bitop3:0x40
	s_mov_b32 s21, exec_lo
	v_cmpx_gt_u32_e32 8, v2
; %bb.645:                              ;   in Loop: Header=BB189_12 Depth=1
	s_delay_alu instid0(VALU_DEP_2) | instskip(NEXT) | instid1(VALU_DEP_1)
	v_clz_i32_u32_e32 v1, v24
	v_min_u32_e32 v1, 32, v1
	s_delay_alu instid0(VALU_DEP_1) | instskip(NEXT) | instid1(VALU_DEP_1)
	v_subrev_nc_u32_e32 v2, 28, v1
	v_lshlrev_b64_e32 v[2:3], v2, v[24:25]
	s_delay_alu instid0(VALU_DEP_1)
	v_dual_sub_nc_u32 v1, 29, v1 :: v_dual_bitop2_b32 v24, 7, v2 bitop3:0x40
; %bb.646:                              ;   in Loop: Header=BB189_12 Depth=1
	s_or_b32 exec_lo, exec_lo, s21
	v_lshlrev_b32_e32 v2, 24, v0
	s_delay_alu instid0(VALU_DEP_2) | instskip(NEXT) | instid1(VALU_DEP_3)
	v_lshlrev_b32_e32 v3, 20, v24
	v_lshl_add_u32 v1, v1, 23, 0x3c000000
	s_delay_alu instid0(VALU_DEP_3) | instskip(NEXT) | instid1(VALU_DEP_1)
	v_and_b32_e32 v2, 0x80000000, v2
	v_or3_b32 v24, v3, v2, v1
	scratch_store_b64 off, v[24:25], s32 offset:520 ; 8-byte Folded Spill
.LBB189_647:                            ;   in Loop: Header=BB189_12 Depth=1
	s_wait_xcnt 0x0
	s_or_b32 exec_lo, exec_lo, s20
.LBB189_648:                            ;   in Loop: Header=BB189_12 Depth=1
	s_delay_alu instid0(SALU_CYCLE_1)
	s_or_b32 exec_lo, exec_lo, s19
.LBB189_649:                            ;   in Loop: Header=BB189_12 Depth=1
	s_delay_alu instid0(SALU_CYCLE_1) | instskip(SKIP_2) | instid1(VALU_DEP_1)
	s_or_b32 exec_lo, exec_lo, s18
	v_lshrrev_b16 v1, 8, v0
	s_mov_b32 s18, exec_lo
	v_cmpx_ne_u16_e32 0, v1
	s_cbranch_execz .LBB189_657
; %bb.650:                              ;   in Loop: Header=BB189_12 Depth=1
	v_mov_b64_e32 v[2:3], 0x8000000000000000
	s_mov_b32 s19, exec_lo
	scratch_store_b64 off, v[2:3], s32 offset:512 ; 8-byte Folded Spill
	s_wait_xcnt 0x0
	v_cmpx_ne_u16_e32 0x80, v1
	s_cbranch_execz .LBB189_656
; %bb.651:                              ;   in Loop: Header=BB189_12 Depth=1
	v_and_b32_e32 v1, 0xffff, v1
	v_mov_b64_e32 v[12:13], 0x7f80000100000000
	s_mov_b32 s20, exec_lo
	s_delay_alu instid0(VALU_DEP_2)
	v_and_b32_e32 v2, 0x7f, v1
	scratch_store_b64 off, v[12:13], s32 offset:512 ; 8-byte Folded Spill
	s_wait_xcnt 0x0
	v_cmpx_ne_u32_e32 0x7f, v2
	s_cbranch_execz .LBB189_655
; %bb.652:                              ;   in Loop: Header=BB189_12 Depth=1
	v_dual_lshrrev_b32 v1, 3, v2 :: v_dual_bitop2_b32 v24, 7, v1 bitop3:0x40
	s_mov_b32 s21, exec_lo
	v_cmpx_gt_u32_e32 8, v2
; %bb.653:                              ;   in Loop: Header=BB189_12 Depth=1
	s_delay_alu instid0(VALU_DEP_2) | instskip(NEXT) | instid1(VALU_DEP_1)
	v_clz_i32_u32_e32 v1, v24
	v_min_u32_e32 v1, 32, v1
	s_delay_alu instid0(VALU_DEP_1) | instskip(NEXT) | instid1(VALU_DEP_1)
	v_subrev_nc_u32_e32 v2, 28, v1
	v_lshlrev_b64_e32 v[2:3], v2, v[24:25]
	s_delay_alu instid0(VALU_DEP_1)
	v_dual_sub_nc_u32 v1, 29, v1 :: v_dual_bitop2_b32 v24, 7, v2 bitop3:0x40
; %bb.654:                              ;   in Loop: Header=BB189_12 Depth=1
	s_or_b32 exec_lo, exec_lo, s21
	v_lshlrev_b32_e32 v0, 16, v0
	s_delay_alu instid0(VALU_DEP_2) | instskip(NEXT) | instid1(VALU_DEP_3)
	v_lshlrev_b32_e32 v2, 20, v24
	v_lshl_add_u32 v1, v1, 23, 0x3c000000
	s_delay_alu instid0(VALU_DEP_3) | instskip(NEXT) | instid1(VALU_DEP_1)
	v_and_b32_e32 v0, 0x80000000, v0
	v_or3_b32 v1, v2, v0, v1
	v_mov_b32_e32 v0, v25
	scratch_store_b64 off, v[0:1], s32 offset:512 ; 8-byte Folded Spill
.LBB189_655:                            ;   in Loop: Header=BB189_12 Depth=1
	s_wait_xcnt 0x0
	s_or_b32 exec_lo, exec_lo, s20
.LBB189_656:                            ;   in Loop: Header=BB189_12 Depth=1
	s_delay_alu instid0(SALU_CYCLE_1)
	s_or_b32 exec_lo, exec_lo, s19
.LBB189_657:                            ;   in Loop: Header=BB189_12 Depth=1
	s_delay_alu instid0(SALU_CYCLE_1)
	s_or_b32 exec_lo, exec_lo, s18
	flat_load_u16 v1, v[76:77] offset:2560
	v_mov_b64_e32 v[2:3], 0
	s_mov_b32 s18, exec_lo
	scratch_store_b64 off, v[2:3], s32 offset:528 ; 8-byte Folded Spill
	s_wait_xcnt 0x0
	v_mov_b64_e32 v[2:3], 0
	scratch_store_b64 off, v[2:3], s32 offset:536 ; 8-byte Folded Spill
	s_wait_loadcnt_dscnt 0x0
	v_and_b32_e32 v0, 0xffff, v1
	v_and_b32_e32 v1, 0xff, v1
	s_wait_xcnt 0x0
	s_delay_alu instid0(VALU_DEP_1)
	v_cmpx_ne_u16_e32 0, v1
	s_cbranch_execz .LBB189_665
; %bb.658:                              ;   in Loop: Header=BB189_12 Depth=1
	v_mov_b64_e32 v[2:3], 0x80000000
	v_and_b32_e32 v1, 0xff, v0
	s_mov_b32 s19, exec_lo
	scratch_store_b64 off, v[2:3], s32 offset:536 ; 8-byte Folded Spill
	s_wait_xcnt 0x0
	v_cmpx_ne_u16_e32 0x80, v1
	s_cbranch_execz .LBB189_664
; %bb.659:                              ;   in Loop: Header=BB189_12 Depth=1
	v_mov_b64_e32 v[12:13], 0x7f800001
	v_and_b32_e32 v2, 0x7f, v0
	s_mov_b32 s20, exec_lo
	scratch_store_b64 off, v[12:13], s32 offset:536 ; 8-byte Folded Spill
	s_wait_xcnt 0x0
	v_cmpx_ne_u32_e32 0x7f, v2
	s_cbranch_execz .LBB189_663
; %bb.660:                              ;   in Loop: Header=BB189_12 Depth=1
	v_dual_lshrrev_b32 v1, 3, v2 :: v_dual_bitop2_b32 v24, 7, v0 bitop3:0x40
	s_mov_b32 s21, exec_lo
	v_cmpx_gt_u32_e32 8, v2
; %bb.661:                              ;   in Loop: Header=BB189_12 Depth=1
	s_delay_alu instid0(VALU_DEP_2) | instskip(NEXT) | instid1(VALU_DEP_1)
	v_clz_i32_u32_e32 v1, v24
	v_min_u32_e32 v1, 32, v1
	s_delay_alu instid0(VALU_DEP_1) | instskip(NEXT) | instid1(VALU_DEP_1)
	v_subrev_nc_u32_e32 v2, 28, v1
	v_lshlrev_b64_e32 v[2:3], v2, v[24:25]
	s_delay_alu instid0(VALU_DEP_1)
	v_dual_sub_nc_u32 v1, 29, v1 :: v_dual_bitop2_b32 v24, 7, v2 bitop3:0x40
; %bb.662:                              ;   in Loop: Header=BB189_12 Depth=1
	s_or_b32 exec_lo, exec_lo, s21
	v_lshlrev_b32_e32 v2, 24, v0
	s_delay_alu instid0(VALU_DEP_2) | instskip(NEXT) | instid1(VALU_DEP_3)
	v_lshlrev_b32_e32 v3, 20, v24
	v_lshl_add_u32 v1, v1, 23, 0x3c000000
	s_delay_alu instid0(VALU_DEP_3) | instskip(NEXT) | instid1(VALU_DEP_1)
	v_and_b32_e32 v2, 0x80000000, v2
	v_or3_b32 v24, v3, v2, v1
	scratch_store_b64 off, v[24:25], s32 offset:536 ; 8-byte Folded Spill
.LBB189_663:                            ;   in Loop: Header=BB189_12 Depth=1
	s_wait_xcnt 0x0
	s_or_b32 exec_lo, exec_lo, s20
.LBB189_664:                            ;   in Loop: Header=BB189_12 Depth=1
	s_delay_alu instid0(SALU_CYCLE_1)
	s_or_b32 exec_lo, exec_lo, s19
.LBB189_665:                            ;   in Loop: Header=BB189_12 Depth=1
	s_delay_alu instid0(SALU_CYCLE_1) | instskip(SKIP_2) | instid1(VALU_DEP_1)
	s_or_b32 exec_lo, exec_lo, s18
	v_lshrrev_b16 v1, 8, v0
	s_mov_b32 s18, exec_lo
	v_cmpx_ne_u16_e32 0, v1
	s_cbranch_execz .LBB189_673
; %bb.666:                              ;   in Loop: Header=BB189_12 Depth=1
	v_mov_b64_e32 v[2:3], 0x8000000000000000
	s_mov_b32 s19, exec_lo
	scratch_store_b64 off, v[2:3], s32 offset:528 ; 8-byte Folded Spill
	s_wait_xcnt 0x0
	v_cmpx_ne_u16_e32 0x80, v1
	s_cbranch_execz .LBB189_672
; %bb.667:                              ;   in Loop: Header=BB189_12 Depth=1
	v_and_b32_e32 v1, 0xffff, v1
	v_mov_b64_e32 v[12:13], 0x7f80000100000000
	s_mov_b32 s20, exec_lo
	s_delay_alu instid0(VALU_DEP_2)
	v_and_b32_e32 v2, 0x7f, v1
	scratch_store_b64 off, v[12:13], s32 offset:528 ; 8-byte Folded Spill
	s_wait_xcnt 0x0
	v_cmpx_ne_u32_e32 0x7f, v2
	s_cbranch_execz .LBB189_671
; %bb.668:                              ;   in Loop: Header=BB189_12 Depth=1
	v_dual_lshrrev_b32 v1, 3, v2 :: v_dual_bitop2_b32 v24, 7, v1 bitop3:0x40
	s_mov_b32 s21, exec_lo
	v_cmpx_gt_u32_e32 8, v2
; %bb.669:                              ;   in Loop: Header=BB189_12 Depth=1
	s_delay_alu instid0(VALU_DEP_2) | instskip(NEXT) | instid1(VALU_DEP_1)
	v_clz_i32_u32_e32 v1, v24
	v_min_u32_e32 v1, 32, v1
	s_delay_alu instid0(VALU_DEP_1) | instskip(NEXT) | instid1(VALU_DEP_1)
	v_subrev_nc_u32_e32 v2, 28, v1
	v_lshlrev_b64_e32 v[2:3], v2, v[24:25]
	s_delay_alu instid0(VALU_DEP_1)
	v_dual_sub_nc_u32 v1, 29, v1 :: v_dual_bitop2_b32 v24, 7, v2 bitop3:0x40
; %bb.670:                              ;   in Loop: Header=BB189_12 Depth=1
	s_or_b32 exec_lo, exec_lo, s21
	v_lshlrev_b32_e32 v0, 16, v0
	s_delay_alu instid0(VALU_DEP_2) | instskip(NEXT) | instid1(VALU_DEP_3)
	v_lshlrev_b32_e32 v2, 20, v24
	v_lshl_add_u32 v1, v1, 23, 0x3c000000
	s_delay_alu instid0(VALU_DEP_3) | instskip(NEXT) | instid1(VALU_DEP_1)
	v_and_b32_e32 v0, 0x80000000, v0
	v_or3_b32 v1, v2, v0, v1
	v_mov_b32_e32 v0, v25
	scratch_store_b64 off, v[0:1], s32 offset:528 ; 8-byte Folded Spill
.LBB189_671:                            ;   in Loop: Header=BB189_12 Depth=1
	s_wait_xcnt 0x0
	s_or_b32 exec_lo, exec_lo, s20
.LBB189_672:                            ;   in Loop: Header=BB189_12 Depth=1
	s_delay_alu instid0(SALU_CYCLE_1)
	s_or_b32 exec_lo, exec_lo, s19
.LBB189_673:                            ;   in Loop: Header=BB189_12 Depth=1
	s_delay_alu instid0(SALU_CYCLE_1)
	s_or_b32 exec_lo, exec_lo, s18
	flat_load_u16 v1, v[76:77] offset:2564
	v_mov_b64_e32 v[2:3], 0
	s_mov_b32 s18, exec_lo
	scratch_store_b64 off, v[2:3], s32 offset:544 ; 8-byte Folded Spill
	s_wait_xcnt 0x0
	v_mov_b64_e32 v[2:3], 0
	scratch_store_b64 off, v[2:3], s32 offset:552 ; 8-byte Folded Spill
	s_wait_loadcnt_dscnt 0x0
	v_and_b32_e32 v0, 0xffff, v1
	v_and_b32_e32 v1, 0xff, v1
	s_wait_xcnt 0x0
	s_delay_alu instid0(VALU_DEP_1)
	v_cmpx_ne_u16_e32 0, v1
	s_cbranch_execz .LBB189_681
; %bb.674:                              ;   in Loop: Header=BB189_12 Depth=1
	v_mov_b64_e32 v[2:3], 0x80000000
	v_and_b32_e32 v1, 0xff, v0
	s_mov_b32 s19, exec_lo
	scratch_store_b64 off, v[2:3], s32 offset:552 ; 8-byte Folded Spill
	s_wait_xcnt 0x0
	v_cmpx_ne_u16_e32 0x80, v1
	s_cbranch_execz .LBB189_680
; %bb.675:                              ;   in Loop: Header=BB189_12 Depth=1
	v_mov_b64_e32 v[12:13], 0x7f800001
	v_and_b32_e32 v2, 0x7f, v0
	s_mov_b32 s20, exec_lo
	scratch_store_b64 off, v[12:13], s32 offset:552 ; 8-byte Folded Spill
	s_wait_xcnt 0x0
	v_cmpx_ne_u32_e32 0x7f, v2
	s_cbranch_execz .LBB189_679
; %bb.676:                              ;   in Loop: Header=BB189_12 Depth=1
	v_dual_lshrrev_b32 v1, 3, v2 :: v_dual_bitop2_b32 v24, 7, v0 bitop3:0x40
	s_mov_b32 s21, exec_lo
	v_cmpx_gt_u32_e32 8, v2
; %bb.677:                              ;   in Loop: Header=BB189_12 Depth=1
	s_delay_alu instid0(VALU_DEP_2) | instskip(NEXT) | instid1(VALU_DEP_1)
	v_clz_i32_u32_e32 v1, v24
	v_min_u32_e32 v1, 32, v1
	s_delay_alu instid0(VALU_DEP_1) | instskip(NEXT) | instid1(VALU_DEP_1)
	v_subrev_nc_u32_e32 v2, 28, v1
	v_lshlrev_b64_e32 v[2:3], v2, v[24:25]
	s_delay_alu instid0(VALU_DEP_1)
	v_dual_sub_nc_u32 v1, 29, v1 :: v_dual_bitop2_b32 v24, 7, v2 bitop3:0x40
; %bb.678:                              ;   in Loop: Header=BB189_12 Depth=1
	s_or_b32 exec_lo, exec_lo, s21
	v_lshlrev_b32_e32 v2, 24, v0
	s_delay_alu instid0(VALU_DEP_2) | instskip(NEXT) | instid1(VALU_DEP_3)
	v_lshlrev_b32_e32 v3, 20, v24
	v_lshl_add_u32 v1, v1, 23, 0x3c000000
	s_delay_alu instid0(VALU_DEP_3) | instskip(NEXT) | instid1(VALU_DEP_1)
	v_and_b32_e32 v2, 0x80000000, v2
	v_or3_b32 v24, v3, v2, v1
	scratch_store_b64 off, v[24:25], s32 offset:552 ; 8-byte Folded Spill
.LBB189_679:                            ;   in Loop: Header=BB189_12 Depth=1
	s_wait_xcnt 0x0
	s_or_b32 exec_lo, exec_lo, s20
.LBB189_680:                            ;   in Loop: Header=BB189_12 Depth=1
	s_delay_alu instid0(SALU_CYCLE_1)
	s_or_b32 exec_lo, exec_lo, s19
.LBB189_681:                            ;   in Loop: Header=BB189_12 Depth=1
	s_delay_alu instid0(SALU_CYCLE_1) | instskip(SKIP_2) | instid1(VALU_DEP_1)
	s_or_b32 exec_lo, exec_lo, s18
	v_lshrrev_b16 v1, 8, v0
	s_mov_b32 s18, exec_lo
	v_cmpx_ne_u16_e32 0, v1
	s_cbranch_execz .LBB189_689
; %bb.682:                              ;   in Loop: Header=BB189_12 Depth=1
	v_mov_b64_e32 v[2:3], 0x8000000000000000
	s_mov_b32 s19, exec_lo
	scratch_store_b64 off, v[2:3], s32 offset:544 ; 8-byte Folded Spill
	s_wait_xcnt 0x0
	v_cmpx_ne_u16_e32 0x80, v1
	s_cbranch_execz .LBB189_688
; %bb.683:                              ;   in Loop: Header=BB189_12 Depth=1
	v_and_b32_e32 v1, 0xffff, v1
	v_mov_b64_e32 v[12:13], 0x7f80000100000000
	s_mov_b32 s20, exec_lo
	s_delay_alu instid0(VALU_DEP_2)
	v_and_b32_e32 v2, 0x7f, v1
	scratch_store_b64 off, v[12:13], s32 offset:544 ; 8-byte Folded Spill
	s_wait_xcnt 0x0
	v_cmpx_ne_u32_e32 0x7f, v2
	s_cbranch_execz .LBB189_687
; %bb.684:                              ;   in Loop: Header=BB189_12 Depth=1
	v_dual_lshrrev_b32 v1, 3, v2 :: v_dual_bitop2_b32 v24, 7, v1 bitop3:0x40
	s_mov_b32 s21, exec_lo
	v_cmpx_gt_u32_e32 8, v2
; %bb.685:                              ;   in Loop: Header=BB189_12 Depth=1
	s_delay_alu instid0(VALU_DEP_2) | instskip(NEXT) | instid1(VALU_DEP_1)
	v_clz_i32_u32_e32 v1, v24
	v_min_u32_e32 v1, 32, v1
	s_delay_alu instid0(VALU_DEP_1) | instskip(NEXT) | instid1(VALU_DEP_1)
	v_subrev_nc_u32_e32 v2, 28, v1
	v_lshlrev_b64_e32 v[2:3], v2, v[24:25]
	s_delay_alu instid0(VALU_DEP_1)
	v_dual_sub_nc_u32 v1, 29, v1 :: v_dual_bitop2_b32 v24, 7, v2 bitop3:0x40
; %bb.686:                              ;   in Loop: Header=BB189_12 Depth=1
	s_or_b32 exec_lo, exec_lo, s21
	v_lshlrev_b32_e32 v0, 16, v0
	s_delay_alu instid0(VALU_DEP_2) | instskip(NEXT) | instid1(VALU_DEP_3)
	v_lshlrev_b32_e32 v2, 20, v24
	v_lshl_add_u32 v1, v1, 23, 0x3c000000
	s_delay_alu instid0(VALU_DEP_3) | instskip(NEXT) | instid1(VALU_DEP_1)
	v_and_b32_e32 v0, 0x80000000, v0
	v_or3_b32 v1, v2, v0, v1
	v_mov_b32_e32 v0, v25
	scratch_store_b64 off, v[0:1], s32 offset:544 ; 8-byte Folded Spill
.LBB189_687:                            ;   in Loop: Header=BB189_12 Depth=1
	s_wait_xcnt 0x0
	s_or_b32 exec_lo, exec_lo, s20
.LBB189_688:                            ;   in Loop: Header=BB189_12 Depth=1
	s_delay_alu instid0(SALU_CYCLE_1)
	s_or_b32 exec_lo, exec_lo, s19
.LBB189_689:                            ;   in Loop: Header=BB189_12 Depth=1
	s_delay_alu instid0(SALU_CYCLE_1)
	s_or_b32 exec_lo, exec_lo, s18
	flat_load_u16 v1, v[76:77] offset:2568
	v_mov_b64_e32 v[2:3], 0
	s_mov_b32 s18, exec_lo
	scratch_store_b64 off, v[2:3], s32 offset:560 ; 8-byte Folded Spill
	s_wait_xcnt 0x0
	v_mov_b64_e32 v[2:3], 0
	scratch_store_b64 off, v[2:3], s32 offset:568 ; 8-byte Folded Spill
	s_wait_loadcnt_dscnt 0x0
	v_and_b32_e32 v0, 0xffff, v1
	v_and_b32_e32 v1, 0xff, v1
	s_wait_xcnt 0x0
	s_delay_alu instid0(VALU_DEP_1)
	v_cmpx_ne_u16_e32 0, v1
	s_cbranch_execz .LBB189_697
; %bb.690:                              ;   in Loop: Header=BB189_12 Depth=1
	v_mov_b64_e32 v[2:3], 0x80000000
	v_and_b32_e32 v1, 0xff, v0
	s_mov_b32 s19, exec_lo
	scratch_store_b64 off, v[2:3], s32 offset:568 ; 8-byte Folded Spill
	s_wait_xcnt 0x0
	v_cmpx_ne_u16_e32 0x80, v1
	s_cbranch_execz .LBB189_696
; %bb.691:                              ;   in Loop: Header=BB189_12 Depth=1
	v_mov_b64_e32 v[12:13], 0x7f800001
	v_and_b32_e32 v2, 0x7f, v0
	s_mov_b32 s20, exec_lo
	scratch_store_b64 off, v[12:13], s32 offset:568 ; 8-byte Folded Spill
	s_wait_xcnt 0x0
	v_cmpx_ne_u32_e32 0x7f, v2
	s_cbranch_execz .LBB189_695
; %bb.692:                              ;   in Loop: Header=BB189_12 Depth=1
	v_dual_lshrrev_b32 v1, 3, v2 :: v_dual_bitop2_b32 v24, 7, v0 bitop3:0x40
	s_mov_b32 s21, exec_lo
	v_cmpx_gt_u32_e32 8, v2
; %bb.693:                              ;   in Loop: Header=BB189_12 Depth=1
	s_delay_alu instid0(VALU_DEP_2) | instskip(NEXT) | instid1(VALU_DEP_1)
	v_clz_i32_u32_e32 v1, v24
	v_min_u32_e32 v1, 32, v1
	s_delay_alu instid0(VALU_DEP_1) | instskip(NEXT) | instid1(VALU_DEP_1)
	v_subrev_nc_u32_e32 v2, 28, v1
	v_lshlrev_b64_e32 v[2:3], v2, v[24:25]
	s_delay_alu instid0(VALU_DEP_1)
	v_dual_sub_nc_u32 v1, 29, v1 :: v_dual_bitop2_b32 v24, 7, v2 bitop3:0x40
; %bb.694:                              ;   in Loop: Header=BB189_12 Depth=1
	s_or_b32 exec_lo, exec_lo, s21
	v_lshlrev_b32_e32 v2, 24, v0
	s_delay_alu instid0(VALU_DEP_2) | instskip(NEXT) | instid1(VALU_DEP_3)
	v_lshlrev_b32_e32 v3, 20, v24
	v_lshl_add_u32 v1, v1, 23, 0x3c000000
	s_delay_alu instid0(VALU_DEP_3) | instskip(NEXT) | instid1(VALU_DEP_1)
	v_and_b32_e32 v2, 0x80000000, v2
	v_or3_b32 v24, v3, v2, v1
	scratch_store_b64 off, v[24:25], s32 offset:568 ; 8-byte Folded Spill
.LBB189_695:                            ;   in Loop: Header=BB189_12 Depth=1
	s_wait_xcnt 0x0
	s_or_b32 exec_lo, exec_lo, s20
.LBB189_696:                            ;   in Loop: Header=BB189_12 Depth=1
	s_delay_alu instid0(SALU_CYCLE_1)
	s_or_b32 exec_lo, exec_lo, s19
.LBB189_697:                            ;   in Loop: Header=BB189_12 Depth=1
	s_delay_alu instid0(SALU_CYCLE_1) | instskip(SKIP_2) | instid1(VALU_DEP_1)
	s_or_b32 exec_lo, exec_lo, s18
	v_lshrrev_b16 v1, 8, v0
	s_mov_b32 s18, exec_lo
	v_cmpx_ne_u16_e32 0, v1
	s_cbranch_execz .LBB189_705
; %bb.698:                              ;   in Loop: Header=BB189_12 Depth=1
	v_mov_b64_e32 v[2:3], 0x8000000000000000
	s_mov_b32 s19, exec_lo
	scratch_store_b64 off, v[2:3], s32 offset:560 ; 8-byte Folded Spill
	s_wait_xcnt 0x0
	v_cmpx_ne_u16_e32 0x80, v1
	s_cbranch_execz .LBB189_704
; %bb.699:                              ;   in Loop: Header=BB189_12 Depth=1
	v_and_b32_e32 v1, 0xffff, v1
	v_mov_b64_e32 v[12:13], 0x7f80000100000000
	s_mov_b32 s20, exec_lo
	s_delay_alu instid0(VALU_DEP_2)
	v_and_b32_e32 v2, 0x7f, v1
	scratch_store_b64 off, v[12:13], s32 offset:560 ; 8-byte Folded Spill
	s_wait_xcnt 0x0
	v_cmpx_ne_u32_e32 0x7f, v2
	s_cbranch_execz .LBB189_703
; %bb.700:                              ;   in Loop: Header=BB189_12 Depth=1
	v_dual_lshrrev_b32 v1, 3, v2 :: v_dual_bitop2_b32 v24, 7, v1 bitop3:0x40
	s_mov_b32 s21, exec_lo
	v_cmpx_gt_u32_e32 8, v2
; %bb.701:                              ;   in Loop: Header=BB189_12 Depth=1
	s_delay_alu instid0(VALU_DEP_2) | instskip(NEXT) | instid1(VALU_DEP_1)
	v_clz_i32_u32_e32 v1, v24
	v_min_u32_e32 v1, 32, v1
	s_delay_alu instid0(VALU_DEP_1) | instskip(NEXT) | instid1(VALU_DEP_1)
	v_subrev_nc_u32_e32 v2, 28, v1
	v_lshlrev_b64_e32 v[2:3], v2, v[24:25]
	s_delay_alu instid0(VALU_DEP_1)
	v_dual_sub_nc_u32 v1, 29, v1 :: v_dual_bitop2_b32 v24, 7, v2 bitop3:0x40
; %bb.702:                              ;   in Loop: Header=BB189_12 Depth=1
	s_or_b32 exec_lo, exec_lo, s21
	v_lshlrev_b32_e32 v0, 16, v0
	s_delay_alu instid0(VALU_DEP_2) | instskip(NEXT) | instid1(VALU_DEP_3)
	v_lshlrev_b32_e32 v2, 20, v24
	v_lshl_add_u32 v1, v1, 23, 0x3c000000
	s_delay_alu instid0(VALU_DEP_3) | instskip(NEXT) | instid1(VALU_DEP_1)
	v_and_b32_e32 v0, 0x80000000, v0
	v_or3_b32 v1, v2, v0, v1
	v_mov_b32_e32 v0, v25
	scratch_store_b64 off, v[0:1], s32 offset:560 ; 8-byte Folded Spill
.LBB189_703:                            ;   in Loop: Header=BB189_12 Depth=1
	s_wait_xcnt 0x0
	s_or_b32 exec_lo, exec_lo, s20
.LBB189_704:                            ;   in Loop: Header=BB189_12 Depth=1
	s_delay_alu instid0(SALU_CYCLE_1)
	s_or_b32 exec_lo, exec_lo, s19
.LBB189_705:                            ;   in Loop: Header=BB189_12 Depth=1
	s_delay_alu instid0(SALU_CYCLE_1)
	s_or_b32 exec_lo, exec_lo, s18
	flat_load_u16 v1, v[76:77] offset:2572
	v_mov_b64_e32 v[2:3], 0
	s_mov_b32 s18, exec_lo
	scratch_store_b64 off, v[2:3], s32 offset:576 ; 8-byte Folded Spill
	s_wait_xcnt 0x0
	v_mov_b64_e32 v[2:3], 0
	scratch_store_b64 off, v[2:3], s32 offset:584 ; 8-byte Folded Spill
	s_wait_loadcnt_dscnt 0x0
	v_and_b32_e32 v0, 0xffff, v1
	v_and_b32_e32 v1, 0xff, v1
	s_wait_xcnt 0x0
	s_delay_alu instid0(VALU_DEP_1)
	v_cmpx_ne_u16_e32 0, v1
	s_cbranch_execz .LBB189_713
; %bb.706:                              ;   in Loop: Header=BB189_12 Depth=1
	v_mov_b64_e32 v[2:3], 0x80000000
	v_and_b32_e32 v1, 0xff, v0
	s_mov_b32 s19, exec_lo
	scratch_store_b64 off, v[2:3], s32 offset:584 ; 8-byte Folded Spill
	s_wait_xcnt 0x0
	v_cmpx_ne_u16_e32 0x80, v1
	s_cbranch_execz .LBB189_712
; %bb.707:                              ;   in Loop: Header=BB189_12 Depth=1
	v_mov_b64_e32 v[12:13], 0x7f800001
	v_and_b32_e32 v2, 0x7f, v0
	s_mov_b32 s20, exec_lo
	scratch_store_b64 off, v[12:13], s32 offset:584 ; 8-byte Folded Spill
	s_wait_xcnt 0x0
	v_cmpx_ne_u32_e32 0x7f, v2
	s_cbranch_execz .LBB189_711
; %bb.708:                              ;   in Loop: Header=BB189_12 Depth=1
	v_dual_lshrrev_b32 v1, 3, v2 :: v_dual_bitop2_b32 v24, 7, v0 bitop3:0x40
	s_mov_b32 s21, exec_lo
	v_cmpx_gt_u32_e32 8, v2
; %bb.709:                              ;   in Loop: Header=BB189_12 Depth=1
	s_delay_alu instid0(VALU_DEP_2) | instskip(NEXT) | instid1(VALU_DEP_1)
	v_clz_i32_u32_e32 v1, v24
	v_min_u32_e32 v1, 32, v1
	s_delay_alu instid0(VALU_DEP_1) | instskip(NEXT) | instid1(VALU_DEP_1)
	v_subrev_nc_u32_e32 v2, 28, v1
	v_lshlrev_b64_e32 v[2:3], v2, v[24:25]
	s_delay_alu instid0(VALU_DEP_1)
	v_dual_sub_nc_u32 v1, 29, v1 :: v_dual_bitop2_b32 v24, 7, v2 bitop3:0x40
; %bb.710:                              ;   in Loop: Header=BB189_12 Depth=1
	s_or_b32 exec_lo, exec_lo, s21
	v_lshlrev_b32_e32 v2, 24, v0
	s_delay_alu instid0(VALU_DEP_2) | instskip(NEXT) | instid1(VALU_DEP_3)
	v_lshlrev_b32_e32 v3, 20, v24
	v_lshl_add_u32 v1, v1, 23, 0x3c000000
	s_delay_alu instid0(VALU_DEP_3) | instskip(NEXT) | instid1(VALU_DEP_1)
	v_and_b32_e32 v2, 0x80000000, v2
	v_or3_b32 v24, v3, v2, v1
	scratch_store_b64 off, v[24:25], s32 offset:584 ; 8-byte Folded Spill
.LBB189_711:                            ;   in Loop: Header=BB189_12 Depth=1
	s_wait_xcnt 0x0
	s_or_b32 exec_lo, exec_lo, s20
.LBB189_712:                            ;   in Loop: Header=BB189_12 Depth=1
	s_delay_alu instid0(SALU_CYCLE_1)
	s_or_b32 exec_lo, exec_lo, s19
.LBB189_713:                            ;   in Loop: Header=BB189_12 Depth=1
	s_delay_alu instid0(SALU_CYCLE_1) | instskip(SKIP_2) | instid1(VALU_DEP_1)
	s_or_b32 exec_lo, exec_lo, s18
	v_lshrrev_b16 v1, 8, v0
	s_mov_b32 s18, exec_lo
	v_cmpx_ne_u16_e32 0, v1
	s_cbranch_execz .LBB189_721
; %bb.714:                              ;   in Loop: Header=BB189_12 Depth=1
	v_mov_b64_e32 v[2:3], 0x8000000000000000
	s_mov_b32 s19, exec_lo
	scratch_store_b64 off, v[2:3], s32 offset:576 ; 8-byte Folded Spill
	s_wait_xcnt 0x0
	v_cmpx_ne_u16_e32 0x80, v1
	s_cbranch_execz .LBB189_720
; %bb.715:                              ;   in Loop: Header=BB189_12 Depth=1
	v_and_b32_e32 v1, 0xffff, v1
	v_mov_b64_e32 v[12:13], 0x7f80000100000000
	s_mov_b32 s20, exec_lo
	s_delay_alu instid0(VALU_DEP_2)
	v_and_b32_e32 v2, 0x7f, v1
	scratch_store_b64 off, v[12:13], s32 offset:576 ; 8-byte Folded Spill
	s_wait_xcnt 0x0
	v_cmpx_ne_u32_e32 0x7f, v2
	s_cbranch_execz .LBB189_719
; %bb.716:                              ;   in Loop: Header=BB189_12 Depth=1
	v_dual_lshrrev_b32 v1, 3, v2 :: v_dual_bitop2_b32 v24, 7, v1 bitop3:0x40
	s_mov_b32 s21, exec_lo
	v_cmpx_gt_u32_e32 8, v2
; %bb.717:                              ;   in Loop: Header=BB189_12 Depth=1
	s_delay_alu instid0(VALU_DEP_2) | instskip(NEXT) | instid1(VALU_DEP_1)
	v_clz_i32_u32_e32 v1, v24
	v_min_u32_e32 v1, 32, v1
	s_delay_alu instid0(VALU_DEP_1) | instskip(NEXT) | instid1(VALU_DEP_1)
	v_subrev_nc_u32_e32 v2, 28, v1
	v_lshlrev_b64_e32 v[2:3], v2, v[24:25]
	s_delay_alu instid0(VALU_DEP_1)
	v_dual_sub_nc_u32 v1, 29, v1 :: v_dual_bitop2_b32 v24, 7, v2 bitop3:0x40
; %bb.718:                              ;   in Loop: Header=BB189_12 Depth=1
	s_or_b32 exec_lo, exec_lo, s21
	v_lshlrev_b32_e32 v0, 16, v0
	s_delay_alu instid0(VALU_DEP_2) | instskip(NEXT) | instid1(VALU_DEP_3)
	v_lshlrev_b32_e32 v2, 20, v24
	v_lshl_add_u32 v1, v1, 23, 0x3c000000
	s_delay_alu instid0(VALU_DEP_3) | instskip(NEXT) | instid1(VALU_DEP_1)
	v_and_b32_e32 v0, 0x80000000, v0
	v_or3_b32 v1, v2, v0, v1
	v_mov_b32_e32 v0, v25
	scratch_store_b64 off, v[0:1], s32 offset:576 ; 8-byte Folded Spill
.LBB189_719:                            ;   in Loop: Header=BB189_12 Depth=1
	s_wait_xcnt 0x0
	s_or_b32 exec_lo, exec_lo, s20
.LBB189_720:                            ;   in Loop: Header=BB189_12 Depth=1
	s_delay_alu instid0(SALU_CYCLE_1)
	s_or_b32 exec_lo, exec_lo, s19
.LBB189_721:                            ;   in Loop: Header=BB189_12 Depth=1
	s_delay_alu instid0(SALU_CYCLE_1)
	s_or_b32 exec_lo, exec_lo, s18
	flat_load_u16 v1, v[76:77] offset:2816
	v_mov_b64_e32 v[2:3], 0
	s_mov_b32 s18, exec_lo
	scratch_store_b64 off, v[2:3], s32 offset:592 ; 8-byte Folded Spill
	s_wait_xcnt 0x0
	v_mov_b64_e32 v[2:3], 0
	scratch_store_b64 off, v[2:3], s32 offset:600 ; 8-byte Folded Spill
	s_wait_loadcnt_dscnt 0x0
	v_and_b32_e32 v0, 0xffff, v1
	v_and_b32_e32 v1, 0xff, v1
	s_wait_xcnt 0x0
	s_delay_alu instid0(VALU_DEP_1)
	v_cmpx_ne_u16_e32 0, v1
	s_cbranch_execz .LBB189_729
; %bb.722:                              ;   in Loop: Header=BB189_12 Depth=1
	v_mov_b64_e32 v[2:3], 0x80000000
	v_and_b32_e32 v1, 0xff, v0
	s_mov_b32 s19, exec_lo
	scratch_store_b64 off, v[2:3], s32 offset:600 ; 8-byte Folded Spill
	s_wait_xcnt 0x0
	v_cmpx_ne_u16_e32 0x80, v1
	s_cbranch_execz .LBB189_728
; %bb.723:                              ;   in Loop: Header=BB189_12 Depth=1
	v_mov_b64_e32 v[12:13], 0x7f800001
	v_and_b32_e32 v2, 0x7f, v0
	s_mov_b32 s20, exec_lo
	scratch_store_b64 off, v[12:13], s32 offset:600 ; 8-byte Folded Spill
	s_wait_xcnt 0x0
	v_cmpx_ne_u32_e32 0x7f, v2
	s_cbranch_execz .LBB189_727
; %bb.724:                              ;   in Loop: Header=BB189_12 Depth=1
	v_dual_lshrrev_b32 v1, 3, v2 :: v_dual_bitop2_b32 v24, 7, v0 bitop3:0x40
	s_mov_b32 s21, exec_lo
	v_cmpx_gt_u32_e32 8, v2
; %bb.725:                              ;   in Loop: Header=BB189_12 Depth=1
	s_delay_alu instid0(VALU_DEP_2) | instskip(NEXT) | instid1(VALU_DEP_1)
	v_clz_i32_u32_e32 v1, v24
	v_min_u32_e32 v1, 32, v1
	s_delay_alu instid0(VALU_DEP_1) | instskip(NEXT) | instid1(VALU_DEP_1)
	v_subrev_nc_u32_e32 v2, 28, v1
	v_lshlrev_b64_e32 v[2:3], v2, v[24:25]
	s_delay_alu instid0(VALU_DEP_1)
	v_dual_sub_nc_u32 v1, 29, v1 :: v_dual_bitop2_b32 v24, 7, v2 bitop3:0x40
; %bb.726:                              ;   in Loop: Header=BB189_12 Depth=1
	s_or_b32 exec_lo, exec_lo, s21
	v_lshlrev_b32_e32 v2, 24, v0
	s_delay_alu instid0(VALU_DEP_2) | instskip(NEXT) | instid1(VALU_DEP_3)
	v_lshlrev_b32_e32 v3, 20, v24
	v_lshl_add_u32 v1, v1, 23, 0x3c000000
	s_delay_alu instid0(VALU_DEP_3) | instskip(NEXT) | instid1(VALU_DEP_1)
	v_and_b32_e32 v2, 0x80000000, v2
	v_or3_b32 v24, v3, v2, v1
	scratch_store_b64 off, v[24:25], s32 offset:600 ; 8-byte Folded Spill
.LBB189_727:                            ;   in Loop: Header=BB189_12 Depth=1
	s_wait_xcnt 0x0
	s_or_b32 exec_lo, exec_lo, s20
.LBB189_728:                            ;   in Loop: Header=BB189_12 Depth=1
	s_delay_alu instid0(SALU_CYCLE_1)
	s_or_b32 exec_lo, exec_lo, s19
.LBB189_729:                            ;   in Loop: Header=BB189_12 Depth=1
	s_delay_alu instid0(SALU_CYCLE_1) | instskip(SKIP_2) | instid1(VALU_DEP_1)
	s_or_b32 exec_lo, exec_lo, s18
	v_lshrrev_b16 v1, 8, v0
	s_mov_b32 s18, exec_lo
	v_cmpx_ne_u16_e32 0, v1
	s_cbranch_execz .LBB189_737
; %bb.730:                              ;   in Loop: Header=BB189_12 Depth=1
	v_mov_b64_e32 v[2:3], 0x8000000000000000
	s_mov_b32 s19, exec_lo
	scratch_store_b64 off, v[2:3], s32 offset:592 ; 8-byte Folded Spill
	s_wait_xcnt 0x0
	v_cmpx_ne_u16_e32 0x80, v1
	s_cbranch_execz .LBB189_736
; %bb.731:                              ;   in Loop: Header=BB189_12 Depth=1
	v_and_b32_e32 v1, 0xffff, v1
	v_mov_b64_e32 v[12:13], 0x7f80000100000000
	s_mov_b32 s20, exec_lo
	s_delay_alu instid0(VALU_DEP_2)
	v_and_b32_e32 v2, 0x7f, v1
	scratch_store_b64 off, v[12:13], s32 offset:592 ; 8-byte Folded Spill
	s_wait_xcnt 0x0
	v_cmpx_ne_u32_e32 0x7f, v2
	s_cbranch_execz .LBB189_735
; %bb.732:                              ;   in Loop: Header=BB189_12 Depth=1
	v_dual_lshrrev_b32 v1, 3, v2 :: v_dual_bitop2_b32 v24, 7, v1 bitop3:0x40
	s_mov_b32 s21, exec_lo
	v_cmpx_gt_u32_e32 8, v2
; %bb.733:                              ;   in Loop: Header=BB189_12 Depth=1
	s_delay_alu instid0(VALU_DEP_2) | instskip(NEXT) | instid1(VALU_DEP_1)
	v_clz_i32_u32_e32 v1, v24
	v_min_u32_e32 v1, 32, v1
	s_delay_alu instid0(VALU_DEP_1) | instskip(NEXT) | instid1(VALU_DEP_1)
	v_subrev_nc_u32_e32 v2, 28, v1
	v_lshlrev_b64_e32 v[2:3], v2, v[24:25]
	s_delay_alu instid0(VALU_DEP_1)
	v_dual_sub_nc_u32 v1, 29, v1 :: v_dual_bitop2_b32 v24, 7, v2 bitop3:0x40
; %bb.734:                              ;   in Loop: Header=BB189_12 Depth=1
	s_or_b32 exec_lo, exec_lo, s21
	v_lshlrev_b32_e32 v0, 16, v0
	s_delay_alu instid0(VALU_DEP_2) | instskip(NEXT) | instid1(VALU_DEP_3)
	v_lshlrev_b32_e32 v2, 20, v24
	v_lshl_add_u32 v1, v1, 23, 0x3c000000
	s_delay_alu instid0(VALU_DEP_3) | instskip(NEXT) | instid1(VALU_DEP_1)
	v_and_b32_e32 v0, 0x80000000, v0
	v_or3_b32 v1, v2, v0, v1
	v_mov_b32_e32 v0, v25
	scratch_store_b64 off, v[0:1], s32 offset:592 ; 8-byte Folded Spill
.LBB189_735:                            ;   in Loop: Header=BB189_12 Depth=1
	s_wait_xcnt 0x0
	s_or_b32 exec_lo, exec_lo, s20
.LBB189_736:                            ;   in Loop: Header=BB189_12 Depth=1
	s_delay_alu instid0(SALU_CYCLE_1)
	s_or_b32 exec_lo, exec_lo, s19
.LBB189_737:                            ;   in Loop: Header=BB189_12 Depth=1
	s_delay_alu instid0(SALU_CYCLE_1)
	s_or_b32 exec_lo, exec_lo, s18
	flat_load_u16 v1, v[76:77] offset:2820
	v_mov_b64_e32 v[2:3], 0
	s_mov_b32 s18, exec_lo
	scratch_store_b64 off, v[2:3], s32 offset:608 ; 8-byte Folded Spill
	s_wait_xcnt 0x0
	v_mov_b64_e32 v[2:3], 0
	scratch_store_b64 off, v[2:3], s32 offset:616 ; 8-byte Folded Spill
	s_wait_loadcnt_dscnt 0x0
	v_and_b32_e32 v0, 0xffff, v1
	v_and_b32_e32 v1, 0xff, v1
	s_wait_xcnt 0x0
	s_delay_alu instid0(VALU_DEP_1)
	v_cmpx_ne_u16_e32 0, v1
	s_cbranch_execz .LBB189_745
; %bb.738:                              ;   in Loop: Header=BB189_12 Depth=1
	v_mov_b64_e32 v[2:3], 0x80000000
	v_and_b32_e32 v1, 0xff, v0
	s_mov_b32 s19, exec_lo
	scratch_store_b64 off, v[2:3], s32 offset:616 ; 8-byte Folded Spill
	s_wait_xcnt 0x0
	v_cmpx_ne_u16_e32 0x80, v1
	s_cbranch_execz .LBB189_744
; %bb.739:                              ;   in Loop: Header=BB189_12 Depth=1
	v_mov_b64_e32 v[12:13], 0x7f800001
	v_and_b32_e32 v2, 0x7f, v0
	s_mov_b32 s20, exec_lo
	scratch_store_b64 off, v[12:13], s32 offset:616 ; 8-byte Folded Spill
	s_wait_xcnt 0x0
	v_cmpx_ne_u32_e32 0x7f, v2
	s_cbranch_execz .LBB189_743
; %bb.740:                              ;   in Loop: Header=BB189_12 Depth=1
	v_dual_lshrrev_b32 v1, 3, v2 :: v_dual_bitop2_b32 v24, 7, v0 bitop3:0x40
	s_mov_b32 s21, exec_lo
	v_cmpx_gt_u32_e32 8, v2
; %bb.741:                              ;   in Loop: Header=BB189_12 Depth=1
	s_delay_alu instid0(VALU_DEP_2) | instskip(NEXT) | instid1(VALU_DEP_1)
	v_clz_i32_u32_e32 v1, v24
	v_min_u32_e32 v1, 32, v1
	s_delay_alu instid0(VALU_DEP_1) | instskip(NEXT) | instid1(VALU_DEP_1)
	v_subrev_nc_u32_e32 v2, 28, v1
	v_lshlrev_b64_e32 v[2:3], v2, v[24:25]
	s_delay_alu instid0(VALU_DEP_1)
	v_dual_sub_nc_u32 v1, 29, v1 :: v_dual_bitop2_b32 v24, 7, v2 bitop3:0x40
; %bb.742:                              ;   in Loop: Header=BB189_12 Depth=1
	s_or_b32 exec_lo, exec_lo, s21
	v_lshlrev_b32_e32 v2, 24, v0
	s_delay_alu instid0(VALU_DEP_2) | instskip(NEXT) | instid1(VALU_DEP_3)
	v_lshlrev_b32_e32 v3, 20, v24
	v_lshl_add_u32 v1, v1, 23, 0x3c000000
	s_delay_alu instid0(VALU_DEP_3) | instskip(NEXT) | instid1(VALU_DEP_1)
	v_and_b32_e32 v2, 0x80000000, v2
	v_or3_b32 v24, v3, v2, v1
	scratch_store_b64 off, v[24:25], s32 offset:616 ; 8-byte Folded Spill
.LBB189_743:                            ;   in Loop: Header=BB189_12 Depth=1
	s_wait_xcnt 0x0
	s_or_b32 exec_lo, exec_lo, s20
.LBB189_744:                            ;   in Loop: Header=BB189_12 Depth=1
	s_delay_alu instid0(SALU_CYCLE_1)
	s_or_b32 exec_lo, exec_lo, s19
.LBB189_745:                            ;   in Loop: Header=BB189_12 Depth=1
	s_delay_alu instid0(SALU_CYCLE_1) | instskip(SKIP_2) | instid1(VALU_DEP_1)
	s_or_b32 exec_lo, exec_lo, s18
	v_lshrrev_b16 v1, 8, v0
	s_mov_b32 s18, exec_lo
	v_cmpx_ne_u16_e32 0, v1
	s_cbranch_execz .LBB189_753
; %bb.746:                              ;   in Loop: Header=BB189_12 Depth=1
	v_mov_b64_e32 v[2:3], 0x8000000000000000
	s_mov_b32 s19, exec_lo
	scratch_store_b64 off, v[2:3], s32 offset:608 ; 8-byte Folded Spill
	s_wait_xcnt 0x0
	v_cmpx_ne_u16_e32 0x80, v1
	s_cbranch_execz .LBB189_752
; %bb.747:                              ;   in Loop: Header=BB189_12 Depth=1
	v_and_b32_e32 v1, 0xffff, v1
	v_mov_b64_e32 v[12:13], 0x7f80000100000000
	s_mov_b32 s20, exec_lo
	s_delay_alu instid0(VALU_DEP_2)
	v_and_b32_e32 v2, 0x7f, v1
	scratch_store_b64 off, v[12:13], s32 offset:608 ; 8-byte Folded Spill
	s_wait_xcnt 0x0
	v_cmpx_ne_u32_e32 0x7f, v2
	s_cbranch_execz .LBB189_751
; %bb.748:                              ;   in Loop: Header=BB189_12 Depth=1
	v_dual_lshrrev_b32 v1, 3, v2 :: v_dual_bitop2_b32 v24, 7, v1 bitop3:0x40
	s_mov_b32 s21, exec_lo
	v_cmpx_gt_u32_e32 8, v2
; %bb.749:                              ;   in Loop: Header=BB189_12 Depth=1
	s_delay_alu instid0(VALU_DEP_2) | instskip(NEXT) | instid1(VALU_DEP_1)
	v_clz_i32_u32_e32 v1, v24
	v_min_u32_e32 v1, 32, v1
	s_delay_alu instid0(VALU_DEP_1) | instskip(NEXT) | instid1(VALU_DEP_1)
	v_subrev_nc_u32_e32 v2, 28, v1
	v_lshlrev_b64_e32 v[2:3], v2, v[24:25]
	s_delay_alu instid0(VALU_DEP_1)
	v_dual_sub_nc_u32 v1, 29, v1 :: v_dual_bitop2_b32 v24, 7, v2 bitop3:0x40
; %bb.750:                              ;   in Loop: Header=BB189_12 Depth=1
	s_or_b32 exec_lo, exec_lo, s21
	v_lshlrev_b32_e32 v0, 16, v0
	s_delay_alu instid0(VALU_DEP_2) | instskip(NEXT) | instid1(VALU_DEP_3)
	v_lshlrev_b32_e32 v2, 20, v24
	v_lshl_add_u32 v1, v1, 23, 0x3c000000
	s_delay_alu instid0(VALU_DEP_3) | instskip(NEXT) | instid1(VALU_DEP_1)
	v_and_b32_e32 v0, 0x80000000, v0
	v_or3_b32 v1, v2, v0, v1
	v_mov_b32_e32 v0, v25
	scratch_store_b64 off, v[0:1], s32 offset:608 ; 8-byte Folded Spill
.LBB189_751:                            ;   in Loop: Header=BB189_12 Depth=1
	s_wait_xcnt 0x0
	s_or_b32 exec_lo, exec_lo, s20
.LBB189_752:                            ;   in Loop: Header=BB189_12 Depth=1
	s_delay_alu instid0(SALU_CYCLE_1)
	s_or_b32 exec_lo, exec_lo, s19
.LBB189_753:                            ;   in Loop: Header=BB189_12 Depth=1
	s_delay_alu instid0(SALU_CYCLE_1)
	s_or_b32 exec_lo, exec_lo, s18
	flat_load_u16 v1, v[76:77] offset:2824
	v_mov_b64_e32 v[2:3], 0
	s_mov_b32 s18, exec_lo
	scratch_store_b64 off, v[2:3], s32 offset:624 ; 8-byte Folded Spill
	s_wait_xcnt 0x0
	v_mov_b64_e32 v[2:3], 0
	scratch_store_b64 off, v[2:3], s32 offset:632 ; 8-byte Folded Spill
	s_wait_loadcnt_dscnt 0x0
	v_and_b32_e32 v0, 0xffff, v1
	v_and_b32_e32 v1, 0xff, v1
	s_wait_xcnt 0x0
	s_delay_alu instid0(VALU_DEP_1)
	v_cmpx_ne_u16_e32 0, v1
	s_cbranch_execz .LBB189_761
; %bb.754:                              ;   in Loop: Header=BB189_12 Depth=1
	v_mov_b64_e32 v[2:3], 0x80000000
	v_and_b32_e32 v1, 0xff, v0
	s_mov_b32 s19, exec_lo
	scratch_store_b64 off, v[2:3], s32 offset:632 ; 8-byte Folded Spill
	s_wait_xcnt 0x0
	v_cmpx_ne_u16_e32 0x80, v1
	s_cbranch_execz .LBB189_760
; %bb.755:                              ;   in Loop: Header=BB189_12 Depth=1
	v_mov_b64_e32 v[12:13], 0x7f800001
	v_and_b32_e32 v2, 0x7f, v0
	s_mov_b32 s20, exec_lo
	scratch_store_b64 off, v[12:13], s32 offset:632 ; 8-byte Folded Spill
	s_wait_xcnt 0x0
	v_cmpx_ne_u32_e32 0x7f, v2
	s_cbranch_execz .LBB189_759
; %bb.756:                              ;   in Loop: Header=BB189_12 Depth=1
	v_dual_lshrrev_b32 v1, 3, v2 :: v_dual_bitop2_b32 v24, 7, v0 bitop3:0x40
	s_mov_b32 s21, exec_lo
	v_cmpx_gt_u32_e32 8, v2
; %bb.757:                              ;   in Loop: Header=BB189_12 Depth=1
	s_delay_alu instid0(VALU_DEP_2) | instskip(NEXT) | instid1(VALU_DEP_1)
	v_clz_i32_u32_e32 v1, v24
	v_min_u32_e32 v1, 32, v1
	s_delay_alu instid0(VALU_DEP_1) | instskip(NEXT) | instid1(VALU_DEP_1)
	v_subrev_nc_u32_e32 v2, 28, v1
	v_lshlrev_b64_e32 v[2:3], v2, v[24:25]
	s_delay_alu instid0(VALU_DEP_1)
	v_dual_sub_nc_u32 v1, 29, v1 :: v_dual_bitop2_b32 v24, 7, v2 bitop3:0x40
; %bb.758:                              ;   in Loop: Header=BB189_12 Depth=1
	s_or_b32 exec_lo, exec_lo, s21
	v_lshlrev_b32_e32 v2, 24, v0
	s_delay_alu instid0(VALU_DEP_2) | instskip(NEXT) | instid1(VALU_DEP_3)
	v_lshlrev_b32_e32 v3, 20, v24
	v_lshl_add_u32 v1, v1, 23, 0x3c000000
	s_delay_alu instid0(VALU_DEP_3) | instskip(NEXT) | instid1(VALU_DEP_1)
	v_and_b32_e32 v2, 0x80000000, v2
	v_or3_b32 v24, v3, v2, v1
	scratch_store_b64 off, v[24:25], s32 offset:632 ; 8-byte Folded Spill
.LBB189_759:                            ;   in Loop: Header=BB189_12 Depth=1
	s_wait_xcnt 0x0
	s_or_b32 exec_lo, exec_lo, s20
.LBB189_760:                            ;   in Loop: Header=BB189_12 Depth=1
	s_delay_alu instid0(SALU_CYCLE_1)
	s_or_b32 exec_lo, exec_lo, s19
.LBB189_761:                            ;   in Loop: Header=BB189_12 Depth=1
	s_delay_alu instid0(SALU_CYCLE_1) | instskip(SKIP_2) | instid1(VALU_DEP_1)
	s_or_b32 exec_lo, exec_lo, s18
	v_lshrrev_b16 v1, 8, v0
	s_mov_b32 s18, exec_lo
	v_cmpx_ne_u16_e32 0, v1
	s_cbranch_execz .LBB189_769
; %bb.762:                              ;   in Loop: Header=BB189_12 Depth=1
	v_mov_b64_e32 v[2:3], 0x8000000000000000
	s_mov_b32 s19, exec_lo
	scratch_store_b64 off, v[2:3], s32 offset:624 ; 8-byte Folded Spill
	s_wait_xcnt 0x0
	v_cmpx_ne_u16_e32 0x80, v1
	s_cbranch_execz .LBB189_768
; %bb.763:                              ;   in Loop: Header=BB189_12 Depth=1
	v_and_b32_e32 v1, 0xffff, v1
	v_mov_b64_e32 v[12:13], 0x7f80000100000000
	s_mov_b32 s20, exec_lo
	s_delay_alu instid0(VALU_DEP_2)
	v_and_b32_e32 v2, 0x7f, v1
	scratch_store_b64 off, v[12:13], s32 offset:624 ; 8-byte Folded Spill
	s_wait_xcnt 0x0
	v_cmpx_ne_u32_e32 0x7f, v2
	s_cbranch_execz .LBB189_767
; %bb.764:                              ;   in Loop: Header=BB189_12 Depth=1
	v_dual_lshrrev_b32 v1, 3, v2 :: v_dual_bitop2_b32 v24, 7, v1 bitop3:0x40
	s_mov_b32 s21, exec_lo
	v_cmpx_gt_u32_e32 8, v2
; %bb.765:                              ;   in Loop: Header=BB189_12 Depth=1
	s_delay_alu instid0(VALU_DEP_2) | instskip(NEXT) | instid1(VALU_DEP_1)
	v_clz_i32_u32_e32 v1, v24
	v_min_u32_e32 v1, 32, v1
	s_delay_alu instid0(VALU_DEP_1) | instskip(NEXT) | instid1(VALU_DEP_1)
	v_subrev_nc_u32_e32 v2, 28, v1
	v_lshlrev_b64_e32 v[2:3], v2, v[24:25]
	s_delay_alu instid0(VALU_DEP_1)
	v_dual_sub_nc_u32 v1, 29, v1 :: v_dual_bitop2_b32 v24, 7, v2 bitop3:0x40
; %bb.766:                              ;   in Loop: Header=BB189_12 Depth=1
	s_or_b32 exec_lo, exec_lo, s21
	v_lshlrev_b32_e32 v0, 16, v0
	s_delay_alu instid0(VALU_DEP_2) | instskip(NEXT) | instid1(VALU_DEP_3)
	v_lshlrev_b32_e32 v2, 20, v24
	v_lshl_add_u32 v1, v1, 23, 0x3c000000
	s_delay_alu instid0(VALU_DEP_3) | instskip(NEXT) | instid1(VALU_DEP_1)
	v_and_b32_e32 v0, 0x80000000, v0
	v_or3_b32 v1, v2, v0, v1
	v_mov_b32_e32 v0, v25
	scratch_store_b64 off, v[0:1], s32 offset:624 ; 8-byte Folded Spill
.LBB189_767:                            ;   in Loop: Header=BB189_12 Depth=1
	s_wait_xcnt 0x0
	s_or_b32 exec_lo, exec_lo, s20
.LBB189_768:                            ;   in Loop: Header=BB189_12 Depth=1
	s_delay_alu instid0(SALU_CYCLE_1)
	s_or_b32 exec_lo, exec_lo, s19
.LBB189_769:                            ;   in Loop: Header=BB189_12 Depth=1
	s_delay_alu instid0(SALU_CYCLE_1)
	s_or_b32 exec_lo, exec_lo, s18
	flat_load_u16 v1, v[76:77] offset:2828
	v_mov_b64_e32 v[2:3], 0
	s_mov_b32 s18, exec_lo
	scratch_store_b64 off, v[2:3], s32 offset:640 ; 8-byte Folded Spill
	s_wait_xcnt 0x0
	v_mov_b64_e32 v[2:3], 0
	scratch_store_b64 off, v[2:3], s32 offset:648 ; 8-byte Folded Spill
	s_wait_loadcnt_dscnt 0x0
	v_and_b32_e32 v0, 0xffff, v1
	v_and_b32_e32 v1, 0xff, v1
	s_wait_xcnt 0x0
	s_delay_alu instid0(VALU_DEP_1)
	v_cmpx_ne_u16_e32 0, v1
	s_cbranch_execz .LBB189_777
; %bb.770:                              ;   in Loop: Header=BB189_12 Depth=1
	v_mov_b64_e32 v[2:3], 0x80000000
	v_and_b32_e32 v1, 0xff, v0
	s_mov_b32 s19, exec_lo
	scratch_store_b64 off, v[2:3], s32 offset:648 ; 8-byte Folded Spill
	s_wait_xcnt 0x0
	v_cmpx_ne_u16_e32 0x80, v1
	s_cbranch_execz .LBB189_776
; %bb.771:                              ;   in Loop: Header=BB189_12 Depth=1
	v_mov_b64_e32 v[12:13], 0x7f800001
	v_and_b32_e32 v2, 0x7f, v0
	s_mov_b32 s20, exec_lo
	scratch_store_b64 off, v[12:13], s32 offset:648 ; 8-byte Folded Spill
	s_wait_xcnt 0x0
	v_cmpx_ne_u32_e32 0x7f, v2
	s_cbranch_execz .LBB189_775
; %bb.772:                              ;   in Loop: Header=BB189_12 Depth=1
	v_dual_lshrrev_b32 v1, 3, v2 :: v_dual_bitop2_b32 v24, 7, v0 bitop3:0x40
	s_mov_b32 s21, exec_lo
	v_cmpx_gt_u32_e32 8, v2
; %bb.773:                              ;   in Loop: Header=BB189_12 Depth=1
	s_delay_alu instid0(VALU_DEP_2) | instskip(NEXT) | instid1(VALU_DEP_1)
	v_clz_i32_u32_e32 v1, v24
	v_min_u32_e32 v1, 32, v1
	s_delay_alu instid0(VALU_DEP_1) | instskip(NEXT) | instid1(VALU_DEP_1)
	v_subrev_nc_u32_e32 v2, 28, v1
	v_lshlrev_b64_e32 v[2:3], v2, v[24:25]
	s_delay_alu instid0(VALU_DEP_1)
	v_dual_sub_nc_u32 v1, 29, v1 :: v_dual_bitop2_b32 v24, 7, v2 bitop3:0x40
; %bb.774:                              ;   in Loop: Header=BB189_12 Depth=1
	s_or_b32 exec_lo, exec_lo, s21
	v_lshlrev_b32_e32 v2, 24, v0
	s_delay_alu instid0(VALU_DEP_2) | instskip(NEXT) | instid1(VALU_DEP_3)
	v_lshlrev_b32_e32 v3, 20, v24
	v_lshl_add_u32 v1, v1, 23, 0x3c000000
	s_delay_alu instid0(VALU_DEP_3) | instskip(NEXT) | instid1(VALU_DEP_1)
	v_and_b32_e32 v2, 0x80000000, v2
	v_or3_b32 v24, v3, v2, v1
	scratch_store_b64 off, v[24:25], s32 offset:648 ; 8-byte Folded Spill
.LBB189_775:                            ;   in Loop: Header=BB189_12 Depth=1
	s_wait_xcnt 0x0
	s_or_b32 exec_lo, exec_lo, s20
.LBB189_776:                            ;   in Loop: Header=BB189_12 Depth=1
	s_delay_alu instid0(SALU_CYCLE_1)
	s_or_b32 exec_lo, exec_lo, s19
.LBB189_777:                            ;   in Loop: Header=BB189_12 Depth=1
	s_delay_alu instid0(SALU_CYCLE_1) | instskip(SKIP_2) | instid1(VALU_DEP_1)
	s_or_b32 exec_lo, exec_lo, s18
	v_lshrrev_b16 v1, 8, v0
	s_mov_b32 s18, exec_lo
	v_cmpx_ne_u16_e32 0, v1
	s_cbranch_execz .LBB189_785
; %bb.778:                              ;   in Loop: Header=BB189_12 Depth=1
	v_mov_b64_e32 v[2:3], 0x8000000000000000
	s_mov_b32 s19, exec_lo
	scratch_store_b64 off, v[2:3], s32 offset:640 ; 8-byte Folded Spill
	s_wait_xcnt 0x0
	v_cmpx_ne_u16_e32 0x80, v1
	s_cbranch_execz .LBB189_784
; %bb.779:                              ;   in Loop: Header=BB189_12 Depth=1
	v_and_b32_e32 v1, 0xffff, v1
	v_mov_b64_e32 v[12:13], 0x7f80000100000000
	s_mov_b32 s20, exec_lo
	s_delay_alu instid0(VALU_DEP_2)
	v_and_b32_e32 v2, 0x7f, v1
	scratch_store_b64 off, v[12:13], s32 offset:640 ; 8-byte Folded Spill
	s_wait_xcnt 0x0
	v_cmpx_ne_u32_e32 0x7f, v2
	s_cbranch_execz .LBB189_783
; %bb.780:                              ;   in Loop: Header=BB189_12 Depth=1
	v_dual_lshrrev_b32 v1, 3, v2 :: v_dual_bitop2_b32 v24, 7, v1 bitop3:0x40
	s_mov_b32 s21, exec_lo
	v_cmpx_gt_u32_e32 8, v2
; %bb.781:                              ;   in Loop: Header=BB189_12 Depth=1
	s_delay_alu instid0(VALU_DEP_2) | instskip(NEXT) | instid1(VALU_DEP_1)
	v_clz_i32_u32_e32 v1, v24
	v_min_u32_e32 v1, 32, v1
	s_delay_alu instid0(VALU_DEP_1) | instskip(NEXT) | instid1(VALU_DEP_1)
	v_subrev_nc_u32_e32 v2, 28, v1
	v_lshlrev_b64_e32 v[2:3], v2, v[24:25]
	s_delay_alu instid0(VALU_DEP_1)
	v_dual_sub_nc_u32 v1, 29, v1 :: v_dual_bitop2_b32 v24, 7, v2 bitop3:0x40
; %bb.782:                              ;   in Loop: Header=BB189_12 Depth=1
	s_or_b32 exec_lo, exec_lo, s21
	v_lshlrev_b32_e32 v0, 16, v0
	s_delay_alu instid0(VALU_DEP_2) | instskip(NEXT) | instid1(VALU_DEP_3)
	v_lshlrev_b32_e32 v2, 20, v24
	v_lshl_add_u32 v1, v1, 23, 0x3c000000
	s_delay_alu instid0(VALU_DEP_3) | instskip(NEXT) | instid1(VALU_DEP_1)
	v_and_b32_e32 v0, 0x80000000, v0
	v_or3_b32 v1, v2, v0, v1
	v_mov_b32_e32 v0, v25
	scratch_store_b64 off, v[0:1], s32 offset:640 ; 8-byte Folded Spill
.LBB189_783:                            ;   in Loop: Header=BB189_12 Depth=1
	s_wait_xcnt 0x0
	s_or_b32 exec_lo, exec_lo, s20
.LBB189_784:                            ;   in Loop: Header=BB189_12 Depth=1
	s_delay_alu instid0(SALU_CYCLE_1)
	s_or_b32 exec_lo, exec_lo, s19
.LBB189_785:                            ;   in Loop: Header=BB189_12 Depth=1
	s_delay_alu instid0(SALU_CYCLE_1)
	s_or_b32 exec_lo, exec_lo, s18
	flat_load_u16 v1, v[76:77] offset:3072
	v_mov_b64_e32 v[2:3], 0
	s_mov_b32 s18, exec_lo
	scratch_store_b64 off, v[2:3], s32 offset:656 ; 8-byte Folded Spill
	s_wait_xcnt 0x0
	v_mov_b64_e32 v[2:3], 0
	scratch_store_b64 off, v[2:3], s32 offset:664 ; 8-byte Folded Spill
	s_wait_loadcnt_dscnt 0x0
	v_and_b32_e32 v0, 0xffff, v1
	v_and_b32_e32 v1, 0xff, v1
	s_wait_xcnt 0x0
	s_delay_alu instid0(VALU_DEP_1)
	v_cmpx_ne_u16_e32 0, v1
	s_cbranch_execz .LBB189_793
; %bb.786:                              ;   in Loop: Header=BB189_12 Depth=1
	v_mov_b64_e32 v[2:3], 0x80000000
	v_and_b32_e32 v1, 0xff, v0
	s_mov_b32 s19, exec_lo
	scratch_store_b64 off, v[2:3], s32 offset:664 ; 8-byte Folded Spill
	s_wait_xcnt 0x0
	v_cmpx_ne_u16_e32 0x80, v1
	s_cbranch_execz .LBB189_792
; %bb.787:                              ;   in Loop: Header=BB189_12 Depth=1
	v_mov_b64_e32 v[12:13], 0x7f800001
	v_and_b32_e32 v2, 0x7f, v0
	s_mov_b32 s20, exec_lo
	scratch_store_b64 off, v[12:13], s32 offset:664 ; 8-byte Folded Spill
	s_wait_xcnt 0x0
	v_cmpx_ne_u32_e32 0x7f, v2
	s_cbranch_execz .LBB189_791
; %bb.788:                              ;   in Loop: Header=BB189_12 Depth=1
	v_dual_lshrrev_b32 v1, 3, v2 :: v_dual_bitop2_b32 v24, 7, v0 bitop3:0x40
	s_mov_b32 s21, exec_lo
	v_cmpx_gt_u32_e32 8, v2
; %bb.789:                              ;   in Loop: Header=BB189_12 Depth=1
	s_delay_alu instid0(VALU_DEP_2) | instskip(NEXT) | instid1(VALU_DEP_1)
	v_clz_i32_u32_e32 v1, v24
	v_min_u32_e32 v1, 32, v1
	s_delay_alu instid0(VALU_DEP_1) | instskip(NEXT) | instid1(VALU_DEP_1)
	v_subrev_nc_u32_e32 v2, 28, v1
	v_lshlrev_b64_e32 v[2:3], v2, v[24:25]
	s_delay_alu instid0(VALU_DEP_1)
	v_dual_sub_nc_u32 v1, 29, v1 :: v_dual_bitop2_b32 v24, 7, v2 bitop3:0x40
; %bb.790:                              ;   in Loop: Header=BB189_12 Depth=1
	s_or_b32 exec_lo, exec_lo, s21
	v_lshlrev_b32_e32 v2, 24, v0
	s_delay_alu instid0(VALU_DEP_2) | instskip(NEXT) | instid1(VALU_DEP_3)
	v_lshlrev_b32_e32 v3, 20, v24
	v_lshl_add_u32 v1, v1, 23, 0x3c000000
	s_delay_alu instid0(VALU_DEP_3) | instskip(NEXT) | instid1(VALU_DEP_1)
	v_and_b32_e32 v2, 0x80000000, v2
	v_or3_b32 v24, v3, v2, v1
	scratch_store_b64 off, v[24:25], s32 offset:664 ; 8-byte Folded Spill
.LBB189_791:                            ;   in Loop: Header=BB189_12 Depth=1
	s_wait_xcnt 0x0
	s_or_b32 exec_lo, exec_lo, s20
.LBB189_792:                            ;   in Loop: Header=BB189_12 Depth=1
	s_delay_alu instid0(SALU_CYCLE_1)
	s_or_b32 exec_lo, exec_lo, s19
.LBB189_793:                            ;   in Loop: Header=BB189_12 Depth=1
	s_delay_alu instid0(SALU_CYCLE_1) | instskip(SKIP_2) | instid1(VALU_DEP_1)
	s_or_b32 exec_lo, exec_lo, s18
	v_lshrrev_b16 v1, 8, v0
	s_mov_b32 s18, exec_lo
	v_cmpx_ne_u16_e32 0, v1
	s_cbranch_execz .LBB189_801
; %bb.794:                              ;   in Loop: Header=BB189_12 Depth=1
	v_mov_b64_e32 v[2:3], 0x8000000000000000
	s_mov_b32 s19, exec_lo
	scratch_store_b64 off, v[2:3], s32 offset:656 ; 8-byte Folded Spill
	s_wait_xcnt 0x0
	v_cmpx_ne_u16_e32 0x80, v1
	s_cbranch_execz .LBB189_800
; %bb.795:                              ;   in Loop: Header=BB189_12 Depth=1
	v_and_b32_e32 v1, 0xffff, v1
	v_mov_b64_e32 v[12:13], 0x7f80000100000000
	s_mov_b32 s20, exec_lo
	s_delay_alu instid0(VALU_DEP_2)
	v_and_b32_e32 v2, 0x7f, v1
	scratch_store_b64 off, v[12:13], s32 offset:656 ; 8-byte Folded Spill
	s_wait_xcnt 0x0
	v_cmpx_ne_u32_e32 0x7f, v2
	s_cbranch_execz .LBB189_799
; %bb.796:                              ;   in Loop: Header=BB189_12 Depth=1
	v_dual_lshrrev_b32 v1, 3, v2 :: v_dual_bitop2_b32 v24, 7, v1 bitop3:0x40
	s_mov_b32 s21, exec_lo
	v_cmpx_gt_u32_e32 8, v2
; %bb.797:                              ;   in Loop: Header=BB189_12 Depth=1
	s_delay_alu instid0(VALU_DEP_2) | instskip(NEXT) | instid1(VALU_DEP_1)
	v_clz_i32_u32_e32 v1, v24
	v_min_u32_e32 v1, 32, v1
	s_delay_alu instid0(VALU_DEP_1) | instskip(NEXT) | instid1(VALU_DEP_1)
	v_subrev_nc_u32_e32 v2, 28, v1
	v_lshlrev_b64_e32 v[2:3], v2, v[24:25]
	s_delay_alu instid0(VALU_DEP_1)
	v_dual_sub_nc_u32 v1, 29, v1 :: v_dual_bitop2_b32 v24, 7, v2 bitop3:0x40
; %bb.798:                              ;   in Loop: Header=BB189_12 Depth=1
	s_or_b32 exec_lo, exec_lo, s21
	v_lshlrev_b32_e32 v0, 16, v0
	s_delay_alu instid0(VALU_DEP_2) | instskip(NEXT) | instid1(VALU_DEP_3)
	v_lshlrev_b32_e32 v2, 20, v24
	v_lshl_add_u32 v1, v1, 23, 0x3c000000
	s_delay_alu instid0(VALU_DEP_3) | instskip(NEXT) | instid1(VALU_DEP_1)
	v_and_b32_e32 v0, 0x80000000, v0
	v_or3_b32 v1, v2, v0, v1
	v_mov_b32_e32 v0, v25
	scratch_store_b64 off, v[0:1], s32 offset:656 ; 8-byte Folded Spill
.LBB189_799:                            ;   in Loop: Header=BB189_12 Depth=1
	s_wait_xcnt 0x0
	s_or_b32 exec_lo, exec_lo, s20
.LBB189_800:                            ;   in Loop: Header=BB189_12 Depth=1
	s_delay_alu instid0(SALU_CYCLE_1)
	s_or_b32 exec_lo, exec_lo, s19
.LBB189_801:                            ;   in Loop: Header=BB189_12 Depth=1
	s_delay_alu instid0(SALU_CYCLE_1)
	s_or_b32 exec_lo, exec_lo, s18
	flat_load_u16 v1, v[76:77] offset:3076
	v_mov_b64_e32 v[2:3], 0
	s_mov_b32 s18, exec_lo
	scratch_store_b64 off, v[2:3], s32 offset:672 ; 8-byte Folded Spill
	s_wait_xcnt 0x0
	v_mov_b64_e32 v[2:3], 0
	scratch_store_b64 off, v[2:3], s32 offset:680 ; 8-byte Folded Spill
	s_wait_loadcnt_dscnt 0x0
	v_and_b32_e32 v0, 0xffff, v1
	v_and_b32_e32 v1, 0xff, v1
	s_wait_xcnt 0x0
	s_delay_alu instid0(VALU_DEP_1)
	v_cmpx_ne_u16_e32 0, v1
	s_cbranch_execz .LBB189_809
; %bb.802:                              ;   in Loop: Header=BB189_12 Depth=1
	v_mov_b64_e32 v[2:3], 0x80000000
	v_and_b32_e32 v1, 0xff, v0
	s_mov_b32 s19, exec_lo
	scratch_store_b64 off, v[2:3], s32 offset:680 ; 8-byte Folded Spill
	s_wait_xcnt 0x0
	v_cmpx_ne_u16_e32 0x80, v1
	s_cbranch_execz .LBB189_808
; %bb.803:                              ;   in Loop: Header=BB189_12 Depth=1
	v_mov_b64_e32 v[12:13], 0x7f800001
	v_and_b32_e32 v2, 0x7f, v0
	s_mov_b32 s20, exec_lo
	scratch_store_b64 off, v[12:13], s32 offset:680 ; 8-byte Folded Spill
	s_wait_xcnt 0x0
	v_cmpx_ne_u32_e32 0x7f, v2
	s_cbranch_execz .LBB189_807
; %bb.804:                              ;   in Loop: Header=BB189_12 Depth=1
	v_dual_lshrrev_b32 v1, 3, v2 :: v_dual_bitop2_b32 v24, 7, v0 bitop3:0x40
	s_mov_b32 s21, exec_lo
	v_cmpx_gt_u32_e32 8, v2
; %bb.805:                              ;   in Loop: Header=BB189_12 Depth=1
	s_delay_alu instid0(VALU_DEP_2) | instskip(NEXT) | instid1(VALU_DEP_1)
	v_clz_i32_u32_e32 v1, v24
	v_min_u32_e32 v1, 32, v1
	s_delay_alu instid0(VALU_DEP_1) | instskip(NEXT) | instid1(VALU_DEP_1)
	v_subrev_nc_u32_e32 v2, 28, v1
	v_lshlrev_b64_e32 v[2:3], v2, v[24:25]
	s_delay_alu instid0(VALU_DEP_1)
	v_dual_sub_nc_u32 v1, 29, v1 :: v_dual_bitop2_b32 v24, 7, v2 bitop3:0x40
; %bb.806:                              ;   in Loop: Header=BB189_12 Depth=1
	s_or_b32 exec_lo, exec_lo, s21
	v_lshlrev_b32_e32 v2, 24, v0
	s_delay_alu instid0(VALU_DEP_2) | instskip(NEXT) | instid1(VALU_DEP_3)
	v_lshlrev_b32_e32 v3, 20, v24
	v_lshl_add_u32 v1, v1, 23, 0x3c000000
	s_delay_alu instid0(VALU_DEP_3) | instskip(NEXT) | instid1(VALU_DEP_1)
	v_and_b32_e32 v2, 0x80000000, v2
	v_or3_b32 v24, v3, v2, v1
	scratch_store_b64 off, v[24:25], s32 offset:680 ; 8-byte Folded Spill
.LBB189_807:                            ;   in Loop: Header=BB189_12 Depth=1
	s_wait_xcnt 0x0
	s_or_b32 exec_lo, exec_lo, s20
.LBB189_808:                            ;   in Loop: Header=BB189_12 Depth=1
	s_delay_alu instid0(SALU_CYCLE_1)
	s_or_b32 exec_lo, exec_lo, s19
.LBB189_809:                            ;   in Loop: Header=BB189_12 Depth=1
	s_delay_alu instid0(SALU_CYCLE_1) | instskip(SKIP_2) | instid1(VALU_DEP_1)
	s_or_b32 exec_lo, exec_lo, s18
	v_lshrrev_b16 v1, 8, v0
	s_mov_b32 s18, exec_lo
	v_cmpx_ne_u16_e32 0, v1
	s_cbranch_execz .LBB189_817
; %bb.810:                              ;   in Loop: Header=BB189_12 Depth=1
	v_mov_b64_e32 v[2:3], 0x8000000000000000
	s_mov_b32 s19, exec_lo
	scratch_store_b64 off, v[2:3], s32 offset:672 ; 8-byte Folded Spill
	s_wait_xcnt 0x0
	v_cmpx_ne_u16_e32 0x80, v1
	s_cbranch_execz .LBB189_816
; %bb.811:                              ;   in Loop: Header=BB189_12 Depth=1
	v_and_b32_e32 v1, 0xffff, v1
	v_mov_b64_e32 v[12:13], 0x7f80000100000000
	s_mov_b32 s20, exec_lo
	s_delay_alu instid0(VALU_DEP_2)
	v_and_b32_e32 v2, 0x7f, v1
	scratch_store_b64 off, v[12:13], s32 offset:672 ; 8-byte Folded Spill
	s_wait_xcnt 0x0
	v_cmpx_ne_u32_e32 0x7f, v2
	s_cbranch_execz .LBB189_815
; %bb.812:                              ;   in Loop: Header=BB189_12 Depth=1
	v_dual_lshrrev_b32 v1, 3, v2 :: v_dual_bitop2_b32 v24, 7, v1 bitop3:0x40
	s_mov_b32 s21, exec_lo
	v_cmpx_gt_u32_e32 8, v2
; %bb.813:                              ;   in Loop: Header=BB189_12 Depth=1
	s_delay_alu instid0(VALU_DEP_2) | instskip(NEXT) | instid1(VALU_DEP_1)
	v_clz_i32_u32_e32 v1, v24
	v_min_u32_e32 v1, 32, v1
	s_delay_alu instid0(VALU_DEP_1) | instskip(NEXT) | instid1(VALU_DEP_1)
	v_subrev_nc_u32_e32 v2, 28, v1
	v_lshlrev_b64_e32 v[2:3], v2, v[24:25]
	s_delay_alu instid0(VALU_DEP_1)
	v_dual_sub_nc_u32 v1, 29, v1 :: v_dual_bitop2_b32 v24, 7, v2 bitop3:0x40
; %bb.814:                              ;   in Loop: Header=BB189_12 Depth=1
	s_or_b32 exec_lo, exec_lo, s21
	v_lshlrev_b32_e32 v0, 16, v0
	s_delay_alu instid0(VALU_DEP_2) | instskip(NEXT) | instid1(VALU_DEP_3)
	v_lshlrev_b32_e32 v2, 20, v24
	v_lshl_add_u32 v1, v1, 23, 0x3c000000
	s_delay_alu instid0(VALU_DEP_3) | instskip(NEXT) | instid1(VALU_DEP_1)
	v_and_b32_e32 v0, 0x80000000, v0
	v_or3_b32 v1, v2, v0, v1
	v_mov_b32_e32 v0, v25
	scratch_store_b64 off, v[0:1], s32 offset:672 ; 8-byte Folded Spill
.LBB189_815:                            ;   in Loop: Header=BB189_12 Depth=1
	s_wait_xcnt 0x0
	s_or_b32 exec_lo, exec_lo, s20
.LBB189_816:                            ;   in Loop: Header=BB189_12 Depth=1
	s_delay_alu instid0(SALU_CYCLE_1)
	s_or_b32 exec_lo, exec_lo, s19
.LBB189_817:                            ;   in Loop: Header=BB189_12 Depth=1
	s_delay_alu instid0(SALU_CYCLE_1)
	s_or_b32 exec_lo, exec_lo, s18
	flat_load_u16 v1, v[76:77] offset:3080
	v_mov_b64_e32 v[2:3], 0
	s_mov_b32 s18, exec_lo
	scratch_store_b64 off, v[2:3], s32 offset:688 ; 8-byte Folded Spill
	s_wait_xcnt 0x0
	v_mov_b64_e32 v[2:3], 0
	scratch_store_b64 off, v[2:3], s32 offset:696 ; 8-byte Folded Spill
	s_wait_loadcnt_dscnt 0x0
	v_and_b32_e32 v0, 0xffff, v1
	v_and_b32_e32 v1, 0xff, v1
	s_wait_xcnt 0x0
	s_delay_alu instid0(VALU_DEP_1)
	v_cmpx_ne_u16_e32 0, v1
	s_cbranch_execz .LBB189_825
; %bb.818:                              ;   in Loop: Header=BB189_12 Depth=1
	v_mov_b64_e32 v[2:3], 0x80000000
	v_and_b32_e32 v1, 0xff, v0
	s_mov_b32 s19, exec_lo
	scratch_store_b64 off, v[2:3], s32 offset:696 ; 8-byte Folded Spill
	s_wait_xcnt 0x0
	v_cmpx_ne_u16_e32 0x80, v1
	s_cbranch_execz .LBB189_824
; %bb.819:                              ;   in Loop: Header=BB189_12 Depth=1
	v_mov_b64_e32 v[12:13], 0x7f800001
	v_and_b32_e32 v2, 0x7f, v0
	s_mov_b32 s20, exec_lo
	scratch_store_b64 off, v[12:13], s32 offset:696 ; 8-byte Folded Spill
	s_wait_xcnt 0x0
	v_cmpx_ne_u32_e32 0x7f, v2
	s_cbranch_execz .LBB189_823
; %bb.820:                              ;   in Loop: Header=BB189_12 Depth=1
	v_dual_lshrrev_b32 v1, 3, v2 :: v_dual_bitop2_b32 v24, 7, v0 bitop3:0x40
	s_mov_b32 s21, exec_lo
	v_cmpx_gt_u32_e32 8, v2
; %bb.821:                              ;   in Loop: Header=BB189_12 Depth=1
	s_delay_alu instid0(VALU_DEP_2) | instskip(NEXT) | instid1(VALU_DEP_1)
	v_clz_i32_u32_e32 v1, v24
	v_min_u32_e32 v1, 32, v1
	s_delay_alu instid0(VALU_DEP_1) | instskip(NEXT) | instid1(VALU_DEP_1)
	v_subrev_nc_u32_e32 v2, 28, v1
	v_lshlrev_b64_e32 v[2:3], v2, v[24:25]
	s_delay_alu instid0(VALU_DEP_1)
	v_dual_sub_nc_u32 v1, 29, v1 :: v_dual_bitop2_b32 v24, 7, v2 bitop3:0x40
; %bb.822:                              ;   in Loop: Header=BB189_12 Depth=1
	s_or_b32 exec_lo, exec_lo, s21
	v_lshlrev_b32_e32 v2, 24, v0
	s_delay_alu instid0(VALU_DEP_2) | instskip(NEXT) | instid1(VALU_DEP_3)
	v_lshlrev_b32_e32 v3, 20, v24
	v_lshl_add_u32 v1, v1, 23, 0x3c000000
	s_delay_alu instid0(VALU_DEP_3) | instskip(NEXT) | instid1(VALU_DEP_1)
	v_and_b32_e32 v2, 0x80000000, v2
	v_or3_b32 v24, v3, v2, v1
	scratch_store_b64 off, v[24:25], s32 offset:696 ; 8-byte Folded Spill
.LBB189_823:                            ;   in Loop: Header=BB189_12 Depth=1
	s_wait_xcnt 0x0
	s_or_b32 exec_lo, exec_lo, s20
.LBB189_824:                            ;   in Loop: Header=BB189_12 Depth=1
	s_delay_alu instid0(SALU_CYCLE_1)
	s_or_b32 exec_lo, exec_lo, s19
.LBB189_825:                            ;   in Loop: Header=BB189_12 Depth=1
	s_delay_alu instid0(SALU_CYCLE_1) | instskip(SKIP_2) | instid1(VALU_DEP_1)
	s_or_b32 exec_lo, exec_lo, s18
	v_lshrrev_b16 v1, 8, v0
	s_mov_b32 s18, exec_lo
	v_cmpx_ne_u16_e32 0, v1
	s_cbranch_execz .LBB189_833
; %bb.826:                              ;   in Loop: Header=BB189_12 Depth=1
	v_mov_b64_e32 v[2:3], 0x8000000000000000
	s_mov_b32 s19, exec_lo
	scratch_store_b64 off, v[2:3], s32 offset:688 ; 8-byte Folded Spill
	s_wait_xcnt 0x0
	v_cmpx_ne_u16_e32 0x80, v1
	s_cbranch_execz .LBB189_832
; %bb.827:                              ;   in Loop: Header=BB189_12 Depth=1
	v_and_b32_e32 v1, 0xffff, v1
	v_mov_b64_e32 v[12:13], 0x7f80000100000000
	s_mov_b32 s20, exec_lo
	s_delay_alu instid0(VALU_DEP_2)
	v_and_b32_e32 v2, 0x7f, v1
	scratch_store_b64 off, v[12:13], s32 offset:688 ; 8-byte Folded Spill
	s_wait_xcnt 0x0
	v_cmpx_ne_u32_e32 0x7f, v2
	s_cbranch_execz .LBB189_831
; %bb.828:                              ;   in Loop: Header=BB189_12 Depth=1
	v_dual_lshrrev_b32 v1, 3, v2 :: v_dual_bitop2_b32 v24, 7, v1 bitop3:0x40
	s_mov_b32 s21, exec_lo
	v_cmpx_gt_u32_e32 8, v2
; %bb.829:                              ;   in Loop: Header=BB189_12 Depth=1
	s_delay_alu instid0(VALU_DEP_2) | instskip(NEXT) | instid1(VALU_DEP_1)
	v_clz_i32_u32_e32 v1, v24
	v_min_u32_e32 v1, 32, v1
	s_delay_alu instid0(VALU_DEP_1) | instskip(NEXT) | instid1(VALU_DEP_1)
	v_subrev_nc_u32_e32 v2, 28, v1
	v_lshlrev_b64_e32 v[2:3], v2, v[24:25]
	s_delay_alu instid0(VALU_DEP_1)
	v_dual_sub_nc_u32 v1, 29, v1 :: v_dual_bitop2_b32 v24, 7, v2 bitop3:0x40
; %bb.830:                              ;   in Loop: Header=BB189_12 Depth=1
	s_or_b32 exec_lo, exec_lo, s21
	v_lshlrev_b32_e32 v0, 16, v0
	s_delay_alu instid0(VALU_DEP_2) | instskip(NEXT) | instid1(VALU_DEP_3)
	v_lshlrev_b32_e32 v2, 20, v24
	v_lshl_add_u32 v1, v1, 23, 0x3c000000
	s_delay_alu instid0(VALU_DEP_3) | instskip(NEXT) | instid1(VALU_DEP_1)
	v_and_b32_e32 v0, 0x80000000, v0
	v_or3_b32 v1, v2, v0, v1
	v_mov_b32_e32 v0, v25
	scratch_store_b64 off, v[0:1], s32 offset:688 ; 8-byte Folded Spill
.LBB189_831:                            ;   in Loop: Header=BB189_12 Depth=1
	s_wait_xcnt 0x0
	s_or_b32 exec_lo, exec_lo, s20
.LBB189_832:                            ;   in Loop: Header=BB189_12 Depth=1
	s_delay_alu instid0(SALU_CYCLE_1)
	s_or_b32 exec_lo, exec_lo, s19
.LBB189_833:                            ;   in Loop: Header=BB189_12 Depth=1
	s_delay_alu instid0(SALU_CYCLE_1)
	s_or_b32 exec_lo, exec_lo, s18
	flat_load_u16 v1, v[76:77] offset:3084
	v_mov_b64_e32 v[2:3], 0
	s_mov_b32 s18, exec_lo
	scratch_store_b64 off, v[2:3], s32 offset:704 ; 8-byte Folded Spill
	s_wait_xcnt 0x0
	v_mov_b64_e32 v[2:3], 0
	scratch_store_b64 off, v[2:3], s32 offset:712 ; 8-byte Folded Spill
	s_wait_loadcnt_dscnt 0x0
	v_and_b32_e32 v0, 0xffff, v1
	v_and_b32_e32 v1, 0xff, v1
	s_wait_xcnt 0x0
	s_delay_alu instid0(VALU_DEP_1)
	v_cmpx_ne_u16_e32 0, v1
	s_cbranch_execz .LBB189_841
; %bb.834:                              ;   in Loop: Header=BB189_12 Depth=1
	v_mov_b64_e32 v[2:3], 0x80000000
	v_and_b32_e32 v1, 0xff, v0
	s_mov_b32 s19, exec_lo
	scratch_store_b64 off, v[2:3], s32 offset:712 ; 8-byte Folded Spill
	s_wait_xcnt 0x0
	v_cmpx_ne_u16_e32 0x80, v1
	s_cbranch_execz .LBB189_840
; %bb.835:                              ;   in Loop: Header=BB189_12 Depth=1
	v_mov_b64_e32 v[12:13], 0x7f800001
	v_and_b32_e32 v2, 0x7f, v0
	s_mov_b32 s20, exec_lo
	scratch_store_b64 off, v[12:13], s32 offset:712 ; 8-byte Folded Spill
	s_wait_xcnt 0x0
	v_cmpx_ne_u32_e32 0x7f, v2
	s_cbranch_execz .LBB189_839
; %bb.836:                              ;   in Loop: Header=BB189_12 Depth=1
	v_dual_lshrrev_b32 v1, 3, v2 :: v_dual_bitop2_b32 v24, 7, v0 bitop3:0x40
	s_mov_b32 s21, exec_lo
	v_cmpx_gt_u32_e32 8, v2
; %bb.837:                              ;   in Loop: Header=BB189_12 Depth=1
	s_delay_alu instid0(VALU_DEP_2) | instskip(NEXT) | instid1(VALU_DEP_1)
	v_clz_i32_u32_e32 v1, v24
	v_min_u32_e32 v1, 32, v1
	s_delay_alu instid0(VALU_DEP_1) | instskip(NEXT) | instid1(VALU_DEP_1)
	v_subrev_nc_u32_e32 v2, 28, v1
	v_lshlrev_b64_e32 v[2:3], v2, v[24:25]
	s_delay_alu instid0(VALU_DEP_1)
	v_dual_sub_nc_u32 v1, 29, v1 :: v_dual_bitop2_b32 v24, 7, v2 bitop3:0x40
; %bb.838:                              ;   in Loop: Header=BB189_12 Depth=1
	s_or_b32 exec_lo, exec_lo, s21
	v_lshlrev_b32_e32 v2, 24, v0
	s_delay_alu instid0(VALU_DEP_2) | instskip(NEXT) | instid1(VALU_DEP_3)
	v_lshlrev_b32_e32 v3, 20, v24
	v_lshl_add_u32 v1, v1, 23, 0x3c000000
	s_delay_alu instid0(VALU_DEP_3) | instskip(NEXT) | instid1(VALU_DEP_1)
	v_and_b32_e32 v2, 0x80000000, v2
	v_or3_b32 v24, v3, v2, v1
	scratch_store_b64 off, v[24:25], s32 offset:712 ; 8-byte Folded Spill
.LBB189_839:                            ;   in Loop: Header=BB189_12 Depth=1
	s_wait_xcnt 0x0
	s_or_b32 exec_lo, exec_lo, s20
.LBB189_840:                            ;   in Loop: Header=BB189_12 Depth=1
	s_delay_alu instid0(SALU_CYCLE_1)
	s_or_b32 exec_lo, exec_lo, s19
.LBB189_841:                            ;   in Loop: Header=BB189_12 Depth=1
	s_delay_alu instid0(SALU_CYCLE_1) | instskip(SKIP_2) | instid1(VALU_DEP_1)
	s_or_b32 exec_lo, exec_lo, s18
	v_lshrrev_b16 v1, 8, v0
	s_mov_b32 s18, exec_lo
	v_cmpx_ne_u16_e32 0, v1
	s_cbranch_execz .LBB189_849
; %bb.842:                              ;   in Loop: Header=BB189_12 Depth=1
	v_mov_b64_e32 v[2:3], 0x8000000000000000
	s_mov_b32 s19, exec_lo
	scratch_store_b64 off, v[2:3], s32 offset:704 ; 8-byte Folded Spill
	s_wait_xcnt 0x0
	v_cmpx_ne_u16_e32 0x80, v1
	s_cbranch_execz .LBB189_848
; %bb.843:                              ;   in Loop: Header=BB189_12 Depth=1
	v_and_b32_e32 v1, 0xffff, v1
	v_mov_b64_e32 v[12:13], 0x7f80000100000000
	s_mov_b32 s20, exec_lo
	s_delay_alu instid0(VALU_DEP_2)
	v_and_b32_e32 v2, 0x7f, v1
	scratch_store_b64 off, v[12:13], s32 offset:704 ; 8-byte Folded Spill
	s_wait_xcnt 0x0
	v_cmpx_ne_u32_e32 0x7f, v2
	s_cbranch_execz .LBB189_847
; %bb.844:                              ;   in Loop: Header=BB189_12 Depth=1
	v_dual_lshrrev_b32 v1, 3, v2 :: v_dual_bitop2_b32 v24, 7, v1 bitop3:0x40
	s_mov_b32 s21, exec_lo
	v_cmpx_gt_u32_e32 8, v2
; %bb.845:                              ;   in Loop: Header=BB189_12 Depth=1
	s_delay_alu instid0(VALU_DEP_2) | instskip(NEXT) | instid1(VALU_DEP_1)
	v_clz_i32_u32_e32 v1, v24
	v_min_u32_e32 v1, 32, v1
	s_delay_alu instid0(VALU_DEP_1) | instskip(NEXT) | instid1(VALU_DEP_1)
	v_subrev_nc_u32_e32 v2, 28, v1
	v_lshlrev_b64_e32 v[2:3], v2, v[24:25]
	s_delay_alu instid0(VALU_DEP_1)
	v_dual_sub_nc_u32 v1, 29, v1 :: v_dual_bitop2_b32 v24, 7, v2 bitop3:0x40
; %bb.846:                              ;   in Loop: Header=BB189_12 Depth=1
	s_or_b32 exec_lo, exec_lo, s21
	v_lshlrev_b32_e32 v0, 16, v0
	s_delay_alu instid0(VALU_DEP_2) | instskip(NEXT) | instid1(VALU_DEP_3)
	v_lshlrev_b32_e32 v2, 20, v24
	v_lshl_add_u32 v1, v1, 23, 0x3c000000
	s_delay_alu instid0(VALU_DEP_3) | instskip(NEXT) | instid1(VALU_DEP_1)
	v_and_b32_e32 v0, 0x80000000, v0
	v_or3_b32 v1, v2, v0, v1
	v_mov_b32_e32 v0, v25
	scratch_store_b64 off, v[0:1], s32 offset:704 ; 8-byte Folded Spill
.LBB189_847:                            ;   in Loop: Header=BB189_12 Depth=1
	s_wait_xcnt 0x0
	s_or_b32 exec_lo, exec_lo, s20
.LBB189_848:                            ;   in Loop: Header=BB189_12 Depth=1
	s_delay_alu instid0(SALU_CYCLE_1)
	s_or_b32 exec_lo, exec_lo, s19
.LBB189_849:                            ;   in Loop: Header=BB189_12 Depth=1
	s_delay_alu instid0(SALU_CYCLE_1)
	s_or_b32 exec_lo, exec_lo, s18
	flat_load_u16 v1, v[76:77] offset:3328
	v_mov_b64_e32 v[2:3], 0
	s_mov_b32 s18, exec_lo
	scratch_store_b64 off, v[2:3], s32 offset:720 ; 8-byte Folded Spill
	s_wait_xcnt 0x0
	v_mov_b64_e32 v[2:3], 0
	scratch_store_b64 off, v[2:3], s32 offset:728 ; 8-byte Folded Spill
	s_wait_loadcnt_dscnt 0x0
	v_and_b32_e32 v0, 0xffff, v1
	v_and_b32_e32 v1, 0xff, v1
	s_wait_xcnt 0x0
	s_delay_alu instid0(VALU_DEP_1)
	v_cmpx_ne_u16_e32 0, v1
	s_cbranch_execz .LBB189_857
; %bb.850:                              ;   in Loop: Header=BB189_12 Depth=1
	v_mov_b64_e32 v[2:3], 0x80000000
	v_and_b32_e32 v1, 0xff, v0
	s_mov_b32 s19, exec_lo
	scratch_store_b64 off, v[2:3], s32 offset:728 ; 8-byte Folded Spill
	s_wait_xcnt 0x0
	v_cmpx_ne_u16_e32 0x80, v1
	s_cbranch_execz .LBB189_856
; %bb.851:                              ;   in Loop: Header=BB189_12 Depth=1
	v_mov_b64_e32 v[12:13], 0x7f800001
	v_and_b32_e32 v2, 0x7f, v0
	s_mov_b32 s20, exec_lo
	scratch_store_b64 off, v[12:13], s32 offset:728 ; 8-byte Folded Spill
	s_wait_xcnt 0x0
	v_cmpx_ne_u32_e32 0x7f, v2
	s_cbranch_execz .LBB189_855
; %bb.852:                              ;   in Loop: Header=BB189_12 Depth=1
	v_dual_lshrrev_b32 v1, 3, v2 :: v_dual_bitop2_b32 v24, 7, v0 bitop3:0x40
	s_mov_b32 s21, exec_lo
	v_cmpx_gt_u32_e32 8, v2
; %bb.853:                              ;   in Loop: Header=BB189_12 Depth=1
	s_delay_alu instid0(VALU_DEP_2) | instskip(NEXT) | instid1(VALU_DEP_1)
	v_clz_i32_u32_e32 v1, v24
	v_min_u32_e32 v1, 32, v1
	s_delay_alu instid0(VALU_DEP_1) | instskip(NEXT) | instid1(VALU_DEP_1)
	v_subrev_nc_u32_e32 v2, 28, v1
	v_lshlrev_b64_e32 v[2:3], v2, v[24:25]
	s_delay_alu instid0(VALU_DEP_1)
	v_dual_sub_nc_u32 v1, 29, v1 :: v_dual_bitop2_b32 v24, 7, v2 bitop3:0x40
; %bb.854:                              ;   in Loop: Header=BB189_12 Depth=1
	s_or_b32 exec_lo, exec_lo, s21
	v_lshlrev_b32_e32 v2, 24, v0
	s_delay_alu instid0(VALU_DEP_2) | instskip(NEXT) | instid1(VALU_DEP_3)
	v_lshlrev_b32_e32 v3, 20, v24
	v_lshl_add_u32 v1, v1, 23, 0x3c000000
	s_delay_alu instid0(VALU_DEP_3) | instskip(NEXT) | instid1(VALU_DEP_1)
	v_and_b32_e32 v2, 0x80000000, v2
	v_or3_b32 v24, v3, v2, v1
	scratch_store_b64 off, v[24:25], s32 offset:728 ; 8-byte Folded Spill
.LBB189_855:                            ;   in Loop: Header=BB189_12 Depth=1
	s_wait_xcnt 0x0
	s_or_b32 exec_lo, exec_lo, s20
.LBB189_856:                            ;   in Loop: Header=BB189_12 Depth=1
	s_delay_alu instid0(SALU_CYCLE_1)
	s_or_b32 exec_lo, exec_lo, s19
.LBB189_857:                            ;   in Loop: Header=BB189_12 Depth=1
	s_delay_alu instid0(SALU_CYCLE_1) | instskip(SKIP_2) | instid1(VALU_DEP_1)
	s_or_b32 exec_lo, exec_lo, s18
	v_lshrrev_b16 v1, 8, v0
	s_mov_b32 s18, exec_lo
	v_cmpx_ne_u16_e32 0, v1
	s_cbranch_execz .LBB189_865
; %bb.858:                              ;   in Loop: Header=BB189_12 Depth=1
	v_mov_b64_e32 v[2:3], 0x8000000000000000
	s_mov_b32 s19, exec_lo
	scratch_store_b64 off, v[2:3], s32 offset:720 ; 8-byte Folded Spill
	s_wait_xcnt 0x0
	v_cmpx_ne_u16_e32 0x80, v1
	s_cbranch_execz .LBB189_864
; %bb.859:                              ;   in Loop: Header=BB189_12 Depth=1
	v_and_b32_e32 v1, 0xffff, v1
	v_mov_b64_e32 v[12:13], 0x7f80000100000000
	s_mov_b32 s20, exec_lo
	s_delay_alu instid0(VALU_DEP_2)
	v_and_b32_e32 v2, 0x7f, v1
	scratch_store_b64 off, v[12:13], s32 offset:720 ; 8-byte Folded Spill
	s_wait_xcnt 0x0
	v_cmpx_ne_u32_e32 0x7f, v2
	s_cbranch_execz .LBB189_863
; %bb.860:                              ;   in Loop: Header=BB189_12 Depth=1
	v_dual_lshrrev_b32 v1, 3, v2 :: v_dual_bitop2_b32 v24, 7, v1 bitop3:0x40
	s_mov_b32 s21, exec_lo
	v_cmpx_gt_u32_e32 8, v2
; %bb.861:                              ;   in Loop: Header=BB189_12 Depth=1
	s_delay_alu instid0(VALU_DEP_2) | instskip(NEXT) | instid1(VALU_DEP_1)
	v_clz_i32_u32_e32 v1, v24
	v_min_u32_e32 v1, 32, v1
	s_delay_alu instid0(VALU_DEP_1) | instskip(NEXT) | instid1(VALU_DEP_1)
	v_subrev_nc_u32_e32 v2, 28, v1
	v_lshlrev_b64_e32 v[2:3], v2, v[24:25]
	s_delay_alu instid0(VALU_DEP_1)
	v_dual_sub_nc_u32 v1, 29, v1 :: v_dual_bitop2_b32 v24, 7, v2 bitop3:0x40
; %bb.862:                              ;   in Loop: Header=BB189_12 Depth=1
	s_or_b32 exec_lo, exec_lo, s21
	v_lshlrev_b32_e32 v0, 16, v0
	s_delay_alu instid0(VALU_DEP_2) | instskip(NEXT) | instid1(VALU_DEP_3)
	v_lshlrev_b32_e32 v2, 20, v24
	v_lshl_add_u32 v1, v1, 23, 0x3c000000
	s_delay_alu instid0(VALU_DEP_3) | instskip(NEXT) | instid1(VALU_DEP_1)
	v_and_b32_e32 v0, 0x80000000, v0
	v_or3_b32 v1, v2, v0, v1
	v_mov_b32_e32 v0, v25
	scratch_store_b64 off, v[0:1], s32 offset:720 ; 8-byte Folded Spill
.LBB189_863:                            ;   in Loop: Header=BB189_12 Depth=1
	s_wait_xcnt 0x0
	s_or_b32 exec_lo, exec_lo, s20
.LBB189_864:                            ;   in Loop: Header=BB189_12 Depth=1
	s_delay_alu instid0(SALU_CYCLE_1)
	s_or_b32 exec_lo, exec_lo, s19
.LBB189_865:                            ;   in Loop: Header=BB189_12 Depth=1
	s_delay_alu instid0(SALU_CYCLE_1)
	s_or_b32 exec_lo, exec_lo, s18
	flat_load_u16 v1, v[76:77] offset:3332
	v_mov_b64_e32 v[2:3], 0
	s_mov_b32 s18, exec_lo
	scratch_store_b64 off, v[2:3], s32 offset:736 ; 8-byte Folded Spill
	s_wait_xcnt 0x0
	v_mov_b64_e32 v[2:3], 0
	scratch_store_b64 off, v[2:3], s32 offset:744 ; 8-byte Folded Spill
	s_wait_loadcnt_dscnt 0x0
	v_and_b32_e32 v0, 0xffff, v1
	v_and_b32_e32 v1, 0xff, v1
	s_wait_xcnt 0x0
	s_delay_alu instid0(VALU_DEP_1)
	v_cmpx_ne_u16_e32 0, v1
	s_cbranch_execz .LBB189_873
; %bb.866:                              ;   in Loop: Header=BB189_12 Depth=1
	v_mov_b64_e32 v[2:3], 0x80000000
	v_and_b32_e32 v1, 0xff, v0
	s_mov_b32 s19, exec_lo
	scratch_store_b64 off, v[2:3], s32 offset:744 ; 8-byte Folded Spill
	s_wait_xcnt 0x0
	v_cmpx_ne_u16_e32 0x80, v1
	s_cbranch_execz .LBB189_872
; %bb.867:                              ;   in Loop: Header=BB189_12 Depth=1
	v_mov_b64_e32 v[12:13], 0x7f800001
	v_and_b32_e32 v2, 0x7f, v0
	s_mov_b32 s20, exec_lo
	scratch_store_b64 off, v[12:13], s32 offset:744 ; 8-byte Folded Spill
	s_wait_xcnt 0x0
	v_cmpx_ne_u32_e32 0x7f, v2
	s_cbranch_execz .LBB189_871
; %bb.868:                              ;   in Loop: Header=BB189_12 Depth=1
	v_dual_lshrrev_b32 v1, 3, v2 :: v_dual_bitop2_b32 v24, 7, v0 bitop3:0x40
	s_mov_b32 s21, exec_lo
	v_cmpx_gt_u32_e32 8, v2
; %bb.869:                              ;   in Loop: Header=BB189_12 Depth=1
	s_delay_alu instid0(VALU_DEP_2) | instskip(NEXT) | instid1(VALU_DEP_1)
	v_clz_i32_u32_e32 v1, v24
	v_min_u32_e32 v1, 32, v1
	s_delay_alu instid0(VALU_DEP_1) | instskip(NEXT) | instid1(VALU_DEP_1)
	v_subrev_nc_u32_e32 v2, 28, v1
	v_lshlrev_b64_e32 v[2:3], v2, v[24:25]
	s_delay_alu instid0(VALU_DEP_1)
	v_dual_sub_nc_u32 v1, 29, v1 :: v_dual_bitop2_b32 v24, 7, v2 bitop3:0x40
; %bb.870:                              ;   in Loop: Header=BB189_12 Depth=1
	s_or_b32 exec_lo, exec_lo, s21
	v_lshlrev_b32_e32 v2, 24, v0
	s_delay_alu instid0(VALU_DEP_2) | instskip(NEXT) | instid1(VALU_DEP_3)
	v_lshlrev_b32_e32 v3, 20, v24
	v_lshl_add_u32 v1, v1, 23, 0x3c000000
	s_delay_alu instid0(VALU_DEP_3) | instskip(NEXT) | instid1(VALU_DEP_1)
	v_and_b32_e32 v2, 0x80000000, v2
	v_or3_b32 v24, v3, v2, v1
	scratch_store_b64 off, v[24:25], s32 offset:744 ; 8-byte Folded Spill
.LBB189_871:                            ;   in Loop: Header=BB189_12 Depth=1
	s_wait_xcnt 0x0
	s_or_b32 exec_lo, exec_lo, s20
.LBB189_872:                            ;   in Loop: Header=BB189_12 Depth=1
	s_delay_alu instid0(SALU_CYCLE_1)
	s_or_b32 exec_lo, exec_lo, s19
.LBB189_873:                            ;   in Loop: Header=BB189_12 Depth=1
	s_delay_alu instid0(SALU_CYCLE_1) | instskip(SKIP_2) | instid1(VALU_DEP_1)
	s_or_b32 exec_lo, exec_lo, s18
	v_lshrrev_b16 v1, 8, v0
	s_mov_b32 s18, exec_lo
	v_cmpx_ne_u16_e32 0, v1
	s_cbranch_execz .LBB189_881
; %bb.874:                              ;   in Loop: Header=BB189_12 Depth=1
	v_mov_b64_e32 v[2:3], 0x8000000000000000
	s_mov_b32 s19, exec_lo
	scratch_store_b64 off, v[2:3], s32 offset:736 ; 8-byte Folded Spill
	s_wait_xcnt 0x0
	v_cmpx_ne_u16_e32 0x80, v1
	s_cbranch_execz .LBB189_880
; %bb.875:                              ;   in Loop: Header=BB189_12 Depth=1
	v_and_b32_e32 v1, 0xffff, v1
	v_mov_b64_e32 v[12:13], 0x7f80000100000000
	s_mov_b32 s20, exec_lo
	s_delay_alu instid0(VALU_DEP_2)
	v_and_b32_e32 v2, 0x7f, v1
	scratch_store_b64 off, v[12:13], s32 offset:736 ; 8-byte Folded Spill
	s_wait_xcnt 0x0
	v_cmpx_ne_u32_e32 0x7f, v2
	s_cbranch_execz .LBB189_879
; %bb.876:                              ;   in Loop: Header=BB189_12 Depth=1
	v_dual_lshrrev_b32 v1, 3, v2 :: v_dual_bitop2_b32 v24, 7, v1 bitop3:0x40
	s_mov_b32 s21, exec_lo
	v_cmpx_gt_u32_e32 8, v2
; %bb.877:                              ;   in Loop: Header=BB189_12 Depth=1
	s_delay_alu instid0(VALU_DEP_2) | instskip(NEXT) | instid1(VALU_DEP_1)
	v_clz_i32_u32_e32 v1, v24
	v_min_u32_e32 v1, 32, v1
	s_delay_alu instid0(VALU_DEP_1) | instskip(NEXT) | instid1(VALU_DEP_1)
	v_subrev_nc_u32_e32 v2, 28, v1
	v_lshlrev_b64_e32 v[2:3], v2, v[24:25]
	s_delay_alu instid0(VALU_DEP_1)
	v_dual_sub_nc_u32 v1, 29, v1 :: v_dual_bitop2_b32 v24, 7, v2 bitop3:0x40
; %bb.878:                              ;   in Loop: Header=BB189_12 Depth=1
	s_or_b32 exec_lo, exec_lo, s21
	v_lshlrev_b32_e32 v0, 16, v0
	s_delay_alu instid0(VALU_DEP_2) | instskip(NEXT) | instid1(VALU_DEP_3)
	v_lshlrev_b32_e32 v2, 20, v24
	v_lshl_add_u32 v1, v1, 23, 0x3c000000
	s_delay_alu instid0(VALU_DEP_3) | instskip(NEXT) | instid1(VALU_DEP_1)
	v_and_b32_e32 v0, 0x80000000, v0
	v_or3_b32 v1, v2, v0, v1
	v_mov_b32_e32 v0, v25
	scratch_store_b64 off, v[0:1], s32 offset:736 ; 8-byte Folded Spill
.LBB189_879:                            ;   in Loop: Header=BB189_12 Depth=1
	s_wait_xcnt 0x0
	s_or_b32 exec_lo, exec_lo, s20
.LBB189_880:                            ;   in Loop: Header=BB189_12 Depth=1
	s_delay_alu instid0(SALU_CYCLE_1)
	s_or_b32 exec_lo, exec_lo, s19
.LBB189_881:                            ;   in Loop: Header=BB189_12 Depth=1
	s_delay_alu instid0(SALU_CYCLE_1)
	s_or_b32 exec_lo, exec_lo, s18
	flat_load_u16 v1, v[76:77] offset:3336
	v_mov_b64_e32 v[2:3], 0
	s_mov_b32 s18, exec_lo
	scratch_store_b64 off, v[2:3], s32 offset:752 ; 8-byte Folded Spill
	s_wait_xcnt 0x0
	v_mov_b64_e32 v[2:3], 0
	scratch_store_b64 off, v[2:3], s32 offset:760 ; 8-byte Folded Spill
	s_wait_loadcnt_dscnt 0x0
	v_and_b32_e32 v0, 0xffff, v1
	v_and_b32_e32 v1, 0xff, v1
	s_wait_xcnt 0x0
	s_delay_alu instid0(VALU_DEP_1)
	v_cmpx_ne_u16_e32 0, v1
	s_cbranch_execz .LBB189_889
; %bb.882:                              ;   in Loop: Header=BB189_12 Depth=1
	v_mov_b64_e32 v[2:3], 0x80000000
	v_and_b32_e32 v1, 0xff, v0
	s_mov_b32 s19, exec_lo
	scratch_store_b64 off, v[2:3], s32 offset:760 ; 8-byte Folded Spill
	s_wait_xcnt 0x0
	v_cmpx_ne_u16_e32 0x80, v1
	s_cbranch_execz .LBB189_888
; %bb.883:                              ;   in Loop: Header=BB189_12 Depth=1
	v_mov_b64_e32 v[12:13], 0x7f800001
	v_and_b32_e32 v2, 0x7f, v0
	s_mov_b32 s20, exec_lo
	scratch_store_b64 off, v[12:13], s32 offset:760 ; 8-byte Folded Spill
	s_wait_xcnt 0x0
	v_cmpx_ne_u32_e32 0x7f, v2
	s_cbranch_execz .LBB189_887
; %bb.884:                              ;   in Loop: Header=BB189_12 Depth=1
	v_dual_lshrrev_b32 v1, 3, v2 :: v_dual_bitop2_b32 v24, 7, v0 bitop3:0x40
	s_mov_b32 s21, exec_lo
	v_cmpx_gt_u32_e32 8, v2
; %bb.885:                              ;   in Loop: Header=BB189_12 Depth=1
	s_delay_alu instid0(VALU_DEP_2) | instskip(NEXT) | instid1(VALU_DEP_1)
	v_clz_i32_u32_e32 v1, v24
	v_min_u32_e32 v1, 32, v1
	s_delay_alu instid0(VALU_DEP_1) | instskip(NEXT) | instid1(VALU_DEP_1)
	v_subrev_nc_u32_e32 v2, 28, v1
	v_lshlrev_b64_e32 v[2:3], v2, v[24:25]
	s_delay_alu instid0(VALU_DEP_1)
	v_dual_sub_nc_u32 v1, 29, v1 :: v_dual_bitop2_b32 v24, 7, v2 bitop3:0x40
; %bb.886:                              ;   in Loop: Header=BB189_12 Depth=1
	s_or_b32 exec_lo, exec_lo, s21
	v_lshlrev_b32_e32 v2, 24, v0
	s_delay_alu instid0(VALU_DEP_2) | instskip(NEXT) | instid1(VALU_DEP_3)
	v_lshlrev_b32_e32 v3, 20, v24
	v_lshl_add_u32 v1, v1, 23, 0x3c000000
	s_delay_alu instid0(VALU_DEP_3) | instskip(NEXT) | instid1(VALU_DEP_1)
	v_and_b32_e32 v2, 0x80000000, v2
	v_or3_b32 v24, v3, v2, v1
	scratch_store_b64 off, v[24:25], s32 offset:760 ; 8-byte Folded Spill
.LBB189_887:                            ;   in Loop: Header=BB189_12 Depth=1
	s_wait_xcnt 0x0
	s_or_b32 exec_lo, exec_lo, s20
.LBB189_888:                            ;   in Loop: Header=BB189_12 Depth=1
	s_delay_alu instid0(SALU_CYCLE_1)
	s_or_b32 exec_lo, exec_lo, s19
.LBB189_889:                            ;   in Loop: Header=BB189_12 Depth=1
	s_delay_alu instid0(SALU_CYCLE_1) | instskip(SKIP_2) | instid1(VALU_DEP_1)
	s_or_b32 exec_lo, exec_lo, s18
	v_lshrrev_b16 v1, 8, v0
	s_mov_b32 s18, exec_lo
	v_cmpx_ne_u16_e32 0, v1
	s_cbranch_execz .LBB189_897
; %bb.890:                              ;   in Loop: Header=BB189_12 Depth=1
	v_mov_b64_e32 v[2:3], 0x8000000000000000
	s_mov_b32 s19, exec_lo
	scratch_store_b64 off, v[2:3], s32 offset:752 ; 8-byte Folded Spill
	s_wait_xcnt 0x0
	v_cmpx_ne_u16_e32 0x80, v1
	s_cbranch_execz .LBB189_896
; %bb.891:                              ;   in Loop: Header=BB189_12 Depth=1
	v_and_b32_e32 v1, 0xffff, v1
	v_mov_b64_e32 v[12:13], 0x7f80000100000000
	s_mov_b32 s20, exec_lo
	s_delay_alu instid0(VALU_DEP_2)
	v_and_b32_e32 v2, 0x7f, v1
	scratch_store_b64 off, v[12:13], s32 offset:752 ; 8-byte Folded Spill
	s_wait_xcnt 0x0
	v_cmpx_ne_u32_e32 0x7f, v2
	s_cbranch_execz .LBB189_895
; %bb.892:                              ;   in Loop: Header=BB189_12 Depth=1
	v_dual_lshrrev_b32 v1, 3, v2 :: v_dual_bitop2_b32 v24, 7, v1 bitop3:0x40
	s_mov_b32 s21, exec_lo
	v_cmpx_gt_u32_e32 8, v2
; %bb.893:                              ;   in Loop: Header=BB189_12 Depth=1
	s_delay_alu instid0(VALU_DEP_2) | instskip(NEXT) | instid1(VALU_DEP_1)
	v_clz_i32_u32_e32 v1, v24
	v_min_u32_e32 v1, 32, v1
	s_delay_alu instid0(VALU_DEP_1) | instskip(NEXT) | instid1(VALU_DEP_1)
	v_subrev_nc_u32_e32 v2, 28, v1
	v_lshlrev_b64_e32 v[2:3], v2, v[24:25]
	s_delay_alu instid0(VALU_DEP_1)
	v_dual_sub_nc_u32 v1, 29, v1 :: v_dual_bitop2_b32 v24, 7, v2 bitop3:0x40
; %bb.894:                              ;   in Loop: Header=BB189_12 Depth=1
	s_or_b32 exec_lo, exec_lo, s21
	v_lshlrev_b32_e32 v0, 16, v0
	s_delay_alu instid0(VALU_DEP_2) | instskip(NEXT) | instid1(VALU_DEP_3)
	v_lshlrev_b32_e32 v2, 20, v24
	v_lshl_add_u32 v1, v1, 23, 0x3c000000
	s_delay_alu instid0(VALU_DEP_3) | instskip(NEXT) | instid1(VALU_DEP_1)
	v_and_b32_e32 v0, 0x80000000, v0
	v_or3_b32 v1, v2, v0, v1
	v_mov_b32_e32 v0, v25
	scratch_store_b64 off, v[0:1], s32 offset:752 ; 8-byte Folded Spill
.LBB189_895:                            ;   in Loop: Header=BB189_12 Depth=1
	s_wait_xcnt 0x0
	s_or_b32 exec_lo, exec_lo, s20
.LBB189_896:                            ;   in Loop: Header=BB189_12 Depth=1
	s_delay_alu instid0(SALU_CYCLE_1)
	s_or_b32 exec_lo, exec_lo, s19
.LBB189_897:                            ;   in Loop: Header=BB189_12 Depth=1
	s_delay_alu instid0(SALU_CYCLE_1)
	s_or_b32 exec_lo, exec_lo, s18
	flat_load_u16 v1, v[76:77] offset:3340
	v_mov_b64_e32 v[2:3], 0
	s_mov_b32 s18, exec_lo
	scratch_store_b64 off, v[2:3], s32 offset:768 ; 8-byte Folded Spill
	s_wait_xcnt 0x0
	v_mov_b64_e32 v[2:3], 0
	scratch_store_b64 off, v[2:3], s32 offset:776 ; 8-byte Folded Spill
	s_wait_loadcnt_dscnt 0x0
	v_and_b32_e32 v0, 0xffff, v1
	v_and_b32_e32 v1, 0xff, v1
	s_wait_xcnt 0x0
	s_delay_alu instid0(VALU_DEP_1)
	v_cmpx_ne_u16_e32 0, v1
	s_cbranch_execz .LBB189_905
; %bb.898:                              ;   in Loop: Header=BB189_12 Depth=1
	v_mov_b64_e32 v[2:3], 0x80000000
	v_and_b32_e32 v1, 0xff, v0
	s_mov_b32 s19, exec_lo
	scratch_store_b64 off, v[2:3], s32 offset:776 ; 8-byte Folded Spill
	s_wait_xcnt 0x0
	v_cmpx_ne_u16_e32 0x80, v1
	s_cbranch_execz .LBB189_904
; %bb.899:                              ;   in Loop: Header=BB189_12 Depth=1
	v_mov_b64_e32 v[12:13], 0x7f800001
	v_and_b32_e32 v2, 0x7f, v0
	s_mov_b32 s20, exec_lo
	scratch_store_b64 off, v[12:13], s32 offset:776 ; 8-byte Folded Spill
	s_wait_xcnt 0x0
	v_cmpx_ne_u32_e32 0x7f, v2
	s_cbranch_execz .LBB189_903
; %bb.900:                              ;   in Loop: Header=BB189_12 Depth=1
	v_dual_lshrrev_b32 v1, 3, v2 :: v_dual_bitop2_b32 v24, 7, v0 bitop3:0x40
	s_mov_b32 s21, exec_lo
	v_cmpx_gt_u32_e32 8, v2
; %bb.901:                              ;   in Loop: Header=BB189_12 Depth=1
	s_delay_alu instid0(VALU_DEP_2) | instskip(NEXT) | instid1(VALU_DEP_1)
	v_clz_i32_u32_e32 v1, v24
	v_min_u32_e32 v1, 32, v1
	s_delay_alu instid0(VALU_DEP_1) | instskip(NEXT) | instid1(VALU_DEP_1)
	v_subrev_nc_u32_e32 v2, 28, v1
	v_lshlrev_b64_e32 v[2:3], v2, v[24:25]
	s_delay_alu instid0(VALU_DEP_1)
	v_dual_sub_nc_u32 v1, 29, v1 :: v_dual_bitop2_b32 v24, 7, v2 bitop3:0x40
; %bb.902:                              ;   in Loop: Header=BB189_12 Depth=1
	s_or_b32 exec_lo, exec_lo, s21
	v_lshlrev_b32_e32 v2, 24, v0
	s_delay_alu instid0(VALU_DEP_2) | instskip(NEXT) | instid1(VALU_DEP_3)
	v_lshlrev_b32_e32 v3, 20, v24
	v_lshl_add_u32 v1, v1, 23, 0x3c000000
	s_delay_alu instid0(VALU_DEP_3) | instskip(NEXT) | instid1(VALU_DEP_1)
	v_and_b32_e32 v2, 0x80000000, v2
	v_or3_b32 v24, v3, v2, v1
	scratch_store_b64 off, v[24:25], s32 offset:776 ; 8-byte Folded Spill
.LBB189_903:                            ;   in Loop: Header=BB189_12 Depth=1
	s_wait_xcnt 0x0
	s_or_b32 exec_lo, exec_lo, s20
.LBB189_904:                            ;   in Loop: Header=BB189_12 Depth=1
	s_delay_alu instid0(SALU_CYCLE_1)
	s_or_b32 exec_lo, exec_lo, s19
.LBB189_905:                            ;   in Loop: Header=BB189_12 Depth=1
	s_delay_alu instid0(SALU_CYCLE_1) | instskip(SKIP_2) | instid1(VALU_DEP_1)
	s_or_b32 exec_lo, exec_lo, s18
	v_lshrrev_b16 v1, 8, v0
	s_mov_b32 s18, exec_lo
	v_cmpx_ne_u16_e32 0, v1
	s_cbranch_execz .LBB189_913
; %bb.906:                              ;   in Loop: Header=BB189_12 Depth=1
	v_mov_b64_e32 v[2:3], 0x8000000000000000
	s_mov_b32 s19, exec_lo
	scratch_store_b64 off, v[2:3], s32 offset:768 ; 8-byte Folded Spill
	s_wait_xcnt 0x0
	v_cmpx_ne_u16_e32 0x80, v1
	s_cbranch_execz .LBB189_912
; %bb.907:                              ;   in Loop: Header=BB189_12 Depth=1
	v_and_b32_e32 v1, 0xffff, v1
	v_mov_b64_e32 v[12:13], 0x7f80000100000000
	s_mov_b32 s20, exec_lo
	s_delay_alu instid0(VALU_DEP_2)
	v_and_b32_e32 v2, 0x7f, v1
	scratch_store_b64 off, v[12:13], s32 offset:768 ; 8-byte Folded Spill
	s_wait_xcnt 0x0
	v_cmpx_ne_u32_e32 0x7f, v2
	s_cbranch_execz .LBB189_911
; %bb.908:                              ;   in Loop: Header=BB189_12 Depth=1
	v_dual_lshrrev_b32 v1, 3, v2 :: v_dual_bitop2_b32 v24, 7, v1 bitop3:0x40
	s_mov_b32 s21, exec_lo
	v_cmpx_gt_u32_e32 8, v2
; %bb.909:                              ;   in Loop: Header=BB189_12 Depth=1
	s_delay_alu instid0(VALU_DEP_2) | instskip(NEXT) | instid1(VALU_DEP_1)
	v_clz_i32_u32_e32 v1, v24
	v_min_u32_e32 v1, 32, v1
	s_delay_alu instid0(VALU_DEP_1) | instskip(NEXT) | instid1(VALU_DEP_1)
	v_subrev_nc_u32_e32 v2, 28, v1
	v_lshlrev_b64_e32 v[2:3], v2, v[24:25]
	s_delay_alu instid0(VALU_DEP_1)
	v_dual_sub_nc_u32 v1, 29, v1 :: v_dual_bitop2_b32 v24, 7, v2 bitop3:0x40
; %bb.910:                              ;   in Loop: Header=BB189_12 Depth=1
	s_or_b32 exec_lo, exec_lo, s21
	v_lshlrev_b32_e32 v0, 16, v0
	s_delay_alu instid0(VALU_DEP_2) | instskip(NEXT) | instid1(VALU_DEP_3)
	v_lshlrev_b32_e32 v2, 20, v24
	v_lshl_add_u32 v1, v1, 23, 0x3c000000
	s_delay_alu instid0(VALU_DEP_3) | instskip(NEXT) | instid1(VALU_DEP_1)
	v_and_b32_e32 v0, 0x80000000, v0
	v_or3_b32 v1, v2, v0, v1
	v_mov_b32_e32 v0, v25
	scratch_store_b64 off, v[0:1], s32 offset:768 ; 8-byte Folded Spill
.LBB189_911:                            ;   in Loop: Header=BB189_12 Depth=1
	s_wait_xcnt 0x0
	s_or_b32 exec_lo, exec_lo, s20
.LBB189_912:                            ;   in Loop: Header=BB189_12 Depth=1
	s_delay_alu instid0(SALU_CYCLE_1)
	s_or_b32 exec_lo, exec_lo, s19
.LBB189_913:                            ;   in Loop: Header=BB189_12 Depth=1
	s_delay_alu instid0(SALU_CYCLE_1)
	s_or_b32 exec_lo, exec_lo, s18
	flat_load_u16 v1, v[76:77] offset:3584
	v_mov_b64_e32 v[2:3], 0
	s_mov_b32 s18, exec_lo
	scratch_store_b64 off, v[2:3], s32 offset:784 ; 8-byte Folded Spill
	s_wait_xcnt 0x0
	v_mov_b64_e32 v[2:3], 0
	scratch_store_b64 off, v[2:3], s32 offset:792 ; 8-byte Folded Spill
	s_wait_loadcnt_dscnt 0x0
	v_and_b32_e32 v0, 0xffff, v1
	v_and_b32_e32 v1, 0xff, v1
	s_wait_xcnt 0x0
	s_delay_alu instid0(VALU_DEP_1)
	v_cmpx_ne_u16_e32 0, v1
	s_cbranch_execz .LBB189_921
; %bb.914:                              ;   in Loop: Header=BB189_12 Depth=1
	v_mov_b64_e32 v[2:3], 0x80000000
	v_and_b32_e32 v1, 0xff, v0
	s_mov_b32 s19, exec_lo
	scratch_store_b64 off, v[2:3], s32 offset:792 ; 8-byte Folded Spill
	s_wait_xcnt 0x0
	v_cmpx_ne_u16_e32 0x80, v1
	s_cbranch_execz .LBB189_920
; %bb.915:                              ;   in Loop: Header=BB189_12 Depth=1
	v_mov_b64_e32 v[12:13], 0x7f800001
	v_and_b32_e32 v2, 0x7f, v0
	s_mov_b32 s20, exec_lo
	scratch_store_b64 off, v[12:13], s32 offset:792 ; 8-byte Folded Spill
	s_wait_xcnt 0x0
	v_cmpx_ne_u32_e32 0x7f, v2
	s_cbranch_execz .LBB189_919
; %bb.916:                              ;   in Loop: Header=BB189_12 Depth=1
	v_dual_lshrrev_b32 v1, 3, v2 :: v_dual_bitop2_b32 v24, 7, v0 bitop3:0x40
	s_mov_b32 s21, exec_lo
	v_cmpx_gt_u32_e32 8, v2
; %bb.917:                              ;   in Loop: Header=BB189_12 Depth=1
	s_delay_alu instid0(VALU_DEP_2) | instskip(NEXT) | instid1(VALU_DEP_1)
	v_clz_i32_u32_e32 v1, v24
	v_min_u32_e32 v1, 32, v1
	s_delay_alu instid0(VALU_DEP_1) | instskip(NEXT) | instid1(VALU_DEP_1)
	v_subrev_nc_u32_e32 v2, 28, v1
	v_lshlrev_b64_e32 v[2:3], v2, v[24:25]
	s_delay_alu instid0(VALU_DEP_1)
	v_dual_sub_nc_u32 v1, 29, v1 :: v_dual_bitop2_b32 v24, 7, v2 bitop3:0x40
; %bb.918:                              ;   in Loop: Header=BB189_12 Depth=1
	s_or_b32 exec_lo, exec_lo, s21
	v_lshlrev_b32_e32 v2, 24, v0
	s_delay_alu instid0(VALU_DEP_2) | instskip(NEXT) | instid1(VALU_DEP_3)
	v_lshlrev_b32_e32 v3, 20, v24
	v_lshl_add_u32 v1, v1, 23, 0x3c000000
	s_delay_alu instid0(VALU_DEP_3) | instskip(NEXT) | instid1(VALU_DEP_1)
	v_and_b32_e32 v2, 0x80000000, v2
	v_or3_b32 v24, v3, v2, v1
	scratch_store_b64 off, v[24:25], s32 offset:792 ; 8-byte Folded Spill
.LBB189_919:                            ;   in Loop: Header=BB189_12 Depth=1
	s_wait_xcnt 0x0
	s_or_b32 exec_lo, exec_lo, s20
.LBB189_920:                            ;   in Loop: Header=BB189_12 Depth=1
	s_delay_alu instid0(SALU_CYCLE_1)
	s_or_b32 exec_lo, exec_lo, s19
.LBB189_921:                            ;   in Loop: Header=BB189_12 Depth=1
	s_delay_alu instid0(SALU_CYCLE_1) | instskip(SKIP_2) | instid1(VALU_DEP_1)
	s_or_b32 exec_lo, exec_lo, s18
	v_lshrrev_b16 v1, 8, v0
	s_mov_b32 s18, exec_lo
	v_cmpx_ne_u16_e32 0, v1
	s_cbranch_execz .LBB189_929
; %bb.922:                              ;   in Loop: Header=BB189_12 Depth=1
	v_mov_b64_e32 v[2:3], 0x8000000000000000
	s_mov_b32 s19, exec_lo
	scratch_store_b64 off, v[2:3], s32 offset:784 ; 8-byte Folded Spill
	s_wait_xcnt 0x0
	v_cmpx_ne_u16_e32 0x80, v1
	s_cbranch_execz .LBB189_928
; %bb.923:                              ;   in Loop: Header=BB189_12 Depth=1
	v_and_b32_e32 v1, 0xffff, v1
	v_mov_b64_e32 v[12:13], 0x7f80000100000000
	s_mov_b32 s20, exec_lo
	s_delay_alu instid0(VALU_DEP_2)
	v_and_b32_e32 v2, 0x7f, v1
	scratch_store_b64 off, v[12:13], s32 offset:784 ; 8-byte Folded Spill
	s_wait_xcnt 0x0
	v_cmpx_ne_u32_e32 0x7f, v2
	s_cbranch_execz .LBB189_927
; %bb.924:                              ;   in Loop: Header=BB189_12 Depth=1
	v_dual_lshrrev_b32 v1, 3, v2 :: v_dual_bitop2_b32 v24, 7, v1 bitop3:0x40
	s_mov_b32 s21, exec_lo
	v_cmpx_gt_u32_e32 8, v2
; %bb.925:                              ;   in Loop: Header=BB189_12 Depth=1
	s_delay_alu instid0(VALU_DEP_2) | instskip(NEXT) | instid1(VALU_DEP_1)
	v_clz_i32_u32_e32 v1, v24
	v_min_u32_e32 v1, 32, v1
	s_delay_alu instid0(VALU_DEP_1) | instskip(NEXT) | instid1(VALU_DEP_1)
	v_subrev_nc_u32_e32 v2, 28, v1
	v_lshlrev_b64_e32 v[2:3], v2, v[24:25]
	s_delay_alu instid0(VALU_DEP_1)
	v_dual_sub_nc_u32 v1, 29, v1 :: v_dual_bitop2_b32 v24, 7, v2 bitop3:0x40
; %bb.926:                              ;   in Loop: Header=BB189_12 Depth=1
	s_or_b32 exec_lo, exec_lo, s21
	v_lshlrev_b32_e32 v0, 16, v0
	s_delay_alu instid0(VALU_DEP_2) | instskip(NEXT) | instid1(VALU_DEP_3)
	v_lshlrev_b32_e32 v2, 20, v24
	v_lshl_add_u32 v1, v1, 23, 0x3c000000
	s_delay_alu instid0(VALU_DEP_3) | instskip(NEXT) | instid1(VALU_DEP_1)
	v_and_b32_e32 v0, 0x80000000, v0
	v_or3_b32 v1, v2, v0, v1
	v_mov_b32_e32 v0, v25
	scratch_store_b64 off, v[0:1], s32 offset:784 ; 8-byte Folded Spill
.LBB189_927:                            ;   in Loop: Header=BB189_12 Depth=1
	s_wait_xcnt 0x0
	s_or_b32 exec_lo, exec_lo, s20
.LBB189_928:                            ;   in Loop: Header=BB189_12 Depth=1
	s_delay_alu instid0(SALU_CYCLE_1)
	s_or_b32 exec_lo, exec_lo, s19
.LBB189_929:                            ;   in Loop: Header=BB189_12 Depth=1
	s_delay_alu instid0(SALU_CYCLE_1)
	s_or_b32 exec_lo, exec_lo, s18
	flat_load_u16 v1, v[76:77] offset:3588
	v_mov_b64_e32 v[16:17], 0
	v_mov_b64_e32 v[2:3], 0
	s_mov_b32 s18, exec_lo
	scratch_store_b64 off, v[2:3], s32 offset:800 ; 8-byte Folded Spill
	s_wait_loadcnt_dscnt 0x0
	v_and_b32_e32 v0, 0xffff, v1
	v_and_b32_e32 v1, 0xff, v1
	s_wait_xcnt 0x0
	s_delay_alu instid0(VALU_DEP_1)
	v_cmpx_ne_u16_e32 0, v1
	s_cbranch_execz .LBB189_937
; %bb.930:                              ;   in Loop: Header=BB189_12 Depth=1
	v_mov_b64_e32 v[2:3], 0x80000000
	v_and_b32_e32 v1, 0xff, v0
	s_mov_b32 s19, exec_lo
	scratch_store_b64 off, v[2:3], s32 offset:800 ; 8-byte Folded Spill
	s_wait_xcnt 0x0
	v_cmpx_ne_u16_e32 0x80, v1
	s_cbranch_execz .LBB189_936
; %bb.931:                              ;   in Loop: Header=BB189_12 Depth=1
	v_mov_b64_e32 v[12:13], 0x7f800001
	v_and_b32_e32 v2, 0x7f, v0
	s_mov_b32 s20, exec_lo
	scratch_store_b64 off, v[12:13], s32 offset:800 ; 8-byte Folded Spill
	s_wait_xcnt 0x0
	v_cmpx_ne_u32_e32 0x7f, v2
	s_cbranch_execz .LBB189_935
; %bb.932:                              ;   in Loop: Header=BB189_12 Depth=1
	v_dual_lshrrev_b32 v1, 3, v2 :: v_dual_bitop2_b32 v24, 7, v0 bitop3:0x40
	s_mov_b32 s21, exec_lo
	v_cmpx_gt_u32_e32 8, v2
; %bb.933:                              ;   in Loop: Header=BB189_12 Depth=1
	s_delay_alu instid0(VALU_DEP_2) | instskip(NEXT) | instid1(VALU_DEP_1)
	v_clz_i32_u32_e32 v1, v24
	v_min_u32_e32 v1, 32, v1
	s_delay_alu instid0(VALU_DEP_1) | instskip(NEXT) | instid1(VALU_DEP_1)
	v_subrev_nc_u32_e32 v2, 28, v1
	v_lshlrev_b64_e32 v[2:3], v2, v[24:25]
	s_delay_alu instid0(VALU_DEP_1)
	v_dual_sub_nc_u32 v1, 29, v1 :: v_dual_bitop2_b32 v24, 7, v2 bitop3:0x40
; %bb.934:                              ;   in Loop: Header=BB189_12 Depth=1
	s_or_b32 exec_lo, exec_lo, s21
	v_lshlrev_b32_e32 v2, 24, v0
	s_delay_alu instid0(VALU_DEP_2) | instskip(NEXT) | instid1(VALU_DEP_3)
	v_lshlrev_b32_e32 v3, 20, v24
	v_lshl_add_u32 v1, v1, 23, 0x3c000000
	s_delay_alu instid0(VALU_DEP_3) | instskip(NEXT) | instid1(VALU_DEP_1)
	v_and_b32_e32 v2, 0x80000000, v2
	v_or3_b32 v24, v3, v2, v1
	scratch_store_b64 off, v[24:25], s32 offset:800 ; 8-byte Folded Spill
.LBB189_935:                            ;   in Loop: Header=BB189_12 Depth=1
	s_wait_xcnt 0x0
	s_or_b32 exec_lo, exec_lo, s20
.LBB189_936:                            ;   in Loop: Header=BB189_12 Depth=1
	s_delay_alu instid0(SALU_CYCLE_1)
	s_or_b32 exec_lo, exec_lo, s19
.LBB189_937:                            ;   in Loop: Header=BB189_12 Depth=1
	s_delay_alu instid0(SALU_CYCLE_1) | instskip(SKIP_2) | instid1(VALU_DEP_1)
	s_or_b32 exec_lo, exec_lo, s18
	v_lshrrev_b16 v1, 8, v0
	s_mov_b32 s18, exec_lo
	v_cmpx_ne_u16_e32 0, v1
	s_cbranch_execz .LBB189_945
; %bb.938:                              ;   in Loop: Header=BB189_12 Depth=1
	v_mov_b64_e32 v[16:17], 0x8000000000000000
	s_mov_b32 s19, exec_lo
	v_cmpx_ne_u16_e32 0x80, v1
	s_cbranch_execz .LBB189_944
; %bb.939:                              ;   in Loop: Header=BB189_12 Depth=1
	v_and_b32_e32 v1, 0xffff, v1
	v_mov_b64_e32 v[16:17], 0x7f80000100000000
	s_mov_b32 s20, exec_lo
	s_delay_alu instid0(VALU_DEP_2) | instskip(NEXT) | instid1(VALU_DEP_1)
	v_and_b32_e32 v2, 0x7f, v1
	v_cmpx_ne_u32_e32 0x7f, v2
	s_cbranch_execz .LBB189_943
; %bb.940:                              ;   in Loop: Header=BB189_12 Depth=1
	v_dual_lshrrev_b32 v1, 3, v2 :: v_dual_bitop2_b32 v24, 7, v1 bitop3:0x40
	s_mov_b32 s21, exec_lo
	v_cmpx_gt_u32_e32 8, v2
; %bb.941:                              ;   in Loop: Header=BB189_12 Depth=1
	s_delay_alu instid0(VALU_DEP_2) | instskip(NEXT) | instid1(VALU_DEP_1)
	v_clz_i32_u32_e32 v1, v24
	v_min_u32_e32 v1, 32, v1
	s_delay_alu instid0(VALU_DEP_1) | instskip(NEXT) | instid1(VALU_DEP_1)
	v_subrev_nc_u32_e32 v2, 28, v1
	v_lshlrev_b64_e32 v[2:3], v2, v[24:25]
	s_delay_alu instid0(VALU_DEP_1)
	v_dual_sub_nc_u32 v1, 29, v1 :: v_dual_bitop2_b32 v24, 7, v2 bitop3:0x40
; %bb.942:                              ;   in Loop: Header=BB189_12 Depth=1
	s_or_b32 exec_lo, exec_lo, s21
	v_dual_lshlrev_b32 v0, 16, v0 :: v_dual_mov_b32 v16, v25
	s_delay_alu instid0(VALU_DEP_2) | instskip(NEXT) | instid1(VALU_DEP_3)
	v_lshlrev_b32_e32 v2, 20, v24
	v_lshl_add_u32 v1, v1, 23, 0x3c000000
	s_delay_alu instid0(VALU_DEP_3) | instskip(NEXT) | instid1(VALU_DEP_1)
	v_and_b32_e32 v0, 0x80000000, v0
	v_or3_b32 v17, v2, v0, v1
.LBB189_943:                            ;   in Loop: Header=BB189_12 Depth=1
	s_or_b32 exec_lo, exec_lo, s20
.LBB189_944:                            ;   in Loop: Header=BB189_12 Depth=1
	s_delay_alu instid0(SALU_CYCLE_1)
	s_or_b32 exec_lo, exec_lo, s19
.LBB189_945:                            ;   in Loop: Header=BB189_12 Depth=1
	s_delay_alu instid0(SALU_CYCLE_1)
	s_or_b32 exec_lo, exec_lo, s18
	flat_load_u16 v0, v[76:77] offset:3592
	v_mov_b64_e32 v[114:115], 0
	s_wait_loadcnt_dscnt 0x0
	v_and_b32_e32 v2, 0xffff, v0
	v_and_b32_e32 v0, 0xff, v0
	s_delay_alu instid0(VALU_DEP_1)
	v_cmp_ne_u16_e64 s2, 0, v0
	v_mov_b64_e32 v[0:1], 0
	s_wait_xcnt 0x0
	s_and_saveexec_b32 s18, s2
	s_cbranch_execz .LBB189_953
; %bb.946:                              ;   in Loop: Header=BB189_12 Depth=1
	v_mov_b64_e32 v[114:115], 0x80000000
	v_and_b32_e32 v3, 0xff, v2
	s_mov_b32 s19, exec_lo
	s_delay_alu instid0(VALU_DEP_1)
	v_cmpx_ne_u16_e32 0x80, v3
	s_cbranch_execz .LBB189_952
; %bb.947:                              ;   in Loop: Header=BB189_12 Depth=1
	v_mov_b64_e32 v[114:115], 0x7f800001
	v_and_b32_e32 v12, 0x7f, v2
	s_mov_b32 s20, exec_lo
	s_delay_alu instid0(VALU_DEP_1)
	v_cmpx_ne_u32_e32 0x7f, v12
	s_cbranch_execz .LBB189_951
; %bb.948:                              ;   in Loop: Header=BB189_12 Depth=1
	v_dual_lshrrev_b32 v3, 3, v12 :: v_dual_bitop2_b32 v24, 7, v2 bitop3:0x40
	s_mov_b32 s21, exec_lo
	v_cmpx_gt_u32_e32 8, v12
; %bb.949:                              ;   in Loop: Header=BB189_12 Depth=1
	s_delay_alu instid0(VALU_DEP_2) | instskip(NEXT) | instid1(VALU_DEP_1)
	v_clz_i32_u32_e32 v3, v24
	v_min_u32_e32 v3, 32, v3
	s_delay_alu instid0(VALU_DEP_1) | instskip(NEXT) | instid1(VALU_DEP_1)
	v_subrev_nc_u32_e32 v12, 28, v3
	v_lshlrev_b64_e32 v[12:13], v12, v[24:25]
	s_delay_alu instid0(VALU_DEP_1)
	v_dual_sub_nc_u32 v3, 29, v3 :: v_dual_bitop2_b32 v24, 7, v12 bitop3:0x40
; %bb.950:                              ;   in Loop: Header=BB189_12 Depth=1
	s_or_b32 exec_lo, exec_lo, s21
	s_delay_alu instid0(VALU_DEP_1) | instskip(NEXT) | instid1(VALU_DEP_2)
	v_dual_lshlrev_b32 v12, 24, v2 :: v_dual_lshlrev_b32 v13, 20, v24
	v_lshl_add_u32 v3, v3, 23, 0x3c000000
	s_delay_alu instid0(VALU_DEP_2) | instskip(NEXT) | instid1(VALU_DEP_1)
	v_and_b32_e32 v12, 0x80000000, v12
	v_or3_b32 v24, v13, v12, v3
	s_delay_alu instid0(VALU_DEP_1)
	v_mov_b64_e32 v[114:115], v[24:25]
.LBB189_951:                            ;   in Loop: Header=BB189_12 Depth=1
	s_or_b32 exec_lo, exec_lo, s20
.LBB189_952:                            ;   in Loop: Header=BB189_12 Depth=1
	s_delay_alu instid0(SALU_CYCLE_1)
	s_or_b32 exec_lo, exec_lo, s19
.LBB189_953:                            ;   in Loop: Header=BB189_12 Depth=1
	s_delay_alu instid0(SALU_CYCLE_1) | instskip(SKIP_2) | instid1(VALU_DEP_1)
	s_or_b32 exec_lo, exec_lo, s18
	v_lshrrev_b16 v3, 8, v2
	s_mov_b32 s18, exec_lo
	v_cmpx_ne_u16_e32 0, v3
	s_cbranch_execz .LBB189_961
; %bb.954:                              ;   in Loop: Header=BB189_12 Depth=1
	v_mov_b64_e32 v[0:1], 0x8000000000000000
	s_mov_b32 s19, exec_lo
	v_cmpx_ne_u16_e32 0x80, v3
	s_cbranch_execz .LBB189_960
; %bb.955:                              ;   in Loop: Header=BB189_12 Depth=1
	v_and_b32_e32 v12, 0xffff, v3
	v_mov_b64_e32 v[0:1], 0x7f80000100000000
	s_mov_b32 s20, exec_lo
	s_delay_alu instid0(VALU_DEP_2) | instskip(NEXT) | instid1(VALU_DEP_1)
	v_and_b32_e32 v3, 0x7f, v12
	v_cmpx_ne_u32_e32 0x7f, v3
	s_cbranch_execz .LBB189_959
; %bb.956:                              ;   in Loop: Header=BB189_12 Depth=1
	v_dual_lshrrev_b32 v0, 3, v3 :: v_dual_bitop2_b32 v24, 7, v12 bitop3:0x40
	s_mov_b32 s21, exec_lo
	v_cmpx_gt_u32_e32 8, v3
; %bb.957:                              ;   in Loop: Header=BB189_12 Depth=1
	s_delay_alu instid0(VALU_DEP_2) | instskip(NEXT) | instid1(VALU_DEP_1)
	v_clz_i32_u32_e32 v0, v24
	v_min_u32_e32 v0, 32, v0
	s_delay_alu instid0(VALU_DEP_1) | instskip(SKIP_1) | instid1(VALU_DEP_2)
	v_subrev_nc_u32_e32 v1, 28, v0
	v_sub_nc_u32_e32 v0, 29, v0
	v_lshlrev_b64_e32 v[12:13], v1, v[24:25]
	s_delay_alu instid0(VALU_DEP_1)
	v_and_b32_e32 v24, 7, v12
; %bb.958:                              ;   in Loop: Header=BB189_12 Depth=1
	s_or_b32 exec_lo, exec_lo, s21
	s_delay_alu instid0(VALU_DEP_1) | instskip(SKIP_1) | instid1(VALU_DEP_2)
	v_dual_lshlrev_b32 v1, 16, v2 :: v_dual_lshlrev_b32 v2, 20, v24
	v_lshl_add_u32 v0, v0, 23, 0x3c000000
	v_and_b32_e32 v1, 0x80000000, v1
	s_delay_alu instid0(VALU_DEP_1)
	v_or3_b32 v1, v2, v1, v0
	v_mov_b32_e32 v0, v25
.LBB189_959:                            ;   in Loop: Header=BB189_12 Depth=1
	s_or_b32 exec_lo, exec_lo, s20
.LBB189_960:                            ;   in Loop: Header=BB189_12 Depth=1
	s_delay_alu instid0(SALU_CYCLE_1)
	s_or_b32 exec_lo, exec_lo, s19
.LBB189_961:                            ;   in Loop: Header=BB189_12 Depth=1
	s_delay_alu instid0(SALU_CYCLE_1)
	s_or_b32 exec_lo, exec_lo, s18
	flat_load_u16 v2, v[76:77] offset:3596
	v_mov_b64_e32 v[14:15], 0
	s_wait_loadcnt_dscnt 0x0
	v_and_b32_e32 v12, 0xffff, v2
	v_and_b32_e32 v2, 0xff, v2
	s_delay_alu instid0(VALU_DEP_1)
	v_cmp_ne_u16_e64 s2, 0, v2
	v_mov_b64_e32 v[2:3], 0
	s_wait_xcnt 0x0
	s_and_saveexec_b32 s18, s2
	s_cbranch_execz .LBB189_969
; %bb.962:                              ;   in Loop: Header=BB189_12 Depth=1
	v_and_b32_e32 v2, 0xff, v12
	s_delay_alu instid0(VALU_DEP_1)
	v_cmp_ne_u16_e64 s2, 0x80, v2
	v_mov_b64_e32 v[2:3], 0x80000000
	s_and_saveexec_b32 s19, s2
	s_cbranch_execz .LBB189_968
; %bb.963:                              ;   in Loop: Header=BB189_12 Depth=1
	v_mov_b64_e32 v[2:3], 0x7f800001
	v_and_b32_e32 v13, 0x7f, v12
	s_mov_b32 s20, exec_lo
	s_delay_alu instid0(VALU_DEP_1)
	v_cmpx_ne_u32_e32 0x7f, v13
	s_cbranch_execz .LBB189_967
; %bb.964:                              ;   in Loop: Header=BB189_12 Depth=1
	v_dual_lshrrev_b32 v2, 3, v13 :: v_dual_bitop2_b32 v24, 7, v12 bitop3:0x40
	s_mov_b32 s21, exec_lo
	v_cmpx_gt_u32_e32 8, v13
; %bb.965:                              ;   in Loop: Header=BB189_12 Depth=1
	s_delay_alu instid0(VALU_DEP_2) | instskip(NEXT) | instid1(VALU_DEP_1)
	v_clz_i32_u32_e32 v2, v24
	v_min_u32_e32 v2, 32, v2
	s_delay_alu instid0(VALU_DEP_1) | instskip(NEXT) | instid1(VALU_DEP_1)
	v_subrev_nc_u32_e32 v3, 28, v2
	v_lshlrev_b64_e32 v[28:29], v3, v[24:25]
	s_delay_alu instid0(VALU_DEP_1)
	v_dual_sub_nc_u32 v2, 29, v2 :: v_dual_bitop2_b32 v24, 7, v28 bitop3:0x40
; %bb.966:                              ;   in Loop: Header=BB189_12 Depth=1
	s_or_b32 exec_lo, exec_lo, s21
	v_lshlrev_b32_e32 v3, 24, v12
	s_delay_alu instid0(VALU_DEP_2) | instskip(NEXT) | instid1(VALU_DEP_3)
	v_lshlrev_b32_e32 v13, 20, v24
	v_lshl_add_u32 v2, v2, 23, 0x3c000000
	s_delay_alu instid0(VALU_DEP_3) | instskip(NEXT) | instid1(VALU_DEP_1)
	v_and_b32_e32 v3, 0x80000000, v3
	v_or3_b32 v24, v13, v3, v2
	s_delay_alu instid0(VALU_DEP_1)
	v_mov_b64_e32 v[2:3], v[24:25]
.LBB189_967:                            ;   in Loop: Header=BB189_12 Depth=1
	s_or_b32 exec_lo, exec_lo, s20
.LBB189_968:                            ;   in Loop: Header=BB189_12 Depth=1
	s_delay_alu instid0(SALU_CYCLE_1)
	s_or_b32 exec_lo, exec_lo, s19
.LBB189_969:                            ;   in Loop: Header=BB189_12 Depth=1
	s_delay_alu instid0(SALU_CYCLE_1) | instskip(SKIP_2) | instid1(VALU_DEP_1)
	s_or_b32 exec_lo, exec_lo, s18
	v_lshrrev_b16 v13, 8, v12
	s_mov_b32 s18, exec_lo
	v_cmpx_ne_u16_e32 0, v13
	s_cbranch_execz .LBB189_977
; %bb.970:                              ;   in Loop: Header=BB189_12 Depth=1
	v_mov_b64_e32 v[14:15], 0x8000000000000000
	s_mov_b32 s19, exec_lo
	v_cmpx_ne_u16_e32 0x80, v13
	s_cbranch_execz .LBB189_976
; %bb.971:                              ;   in Loop: Header=BB189_12 Depth=1
	v_and_b32_e32 v13, 0xffff, v13
	v_mov_b64_e32 v[14:15], 0x7f80000100000000
	s_mov_b32 s20, exec_lo
	s_delay_alu instid0(VALU_DEP_2) | instskip(NEXT) | instid1(VALU_DEP_1)
	v_and_b32_e32 v28, 0x7f, v13
	v_cmpx_ne_u32_e32 0x7f, v28
	s_cbranch_execz .LBB189_975
; %bb.972:                              ;   in Loop: Header=BB189_12 Depth=1
	v_dual_lshrrev_b32 v13, 3, v28 :: v_dual_bitop2_b32 v24, 7, v13 bitop3:0x40
	s_mov_b32 s21, exec_lo
	v_cmpx_gt_u32_e32 8, v28
; %bb.973:                              ;   in Loop: Header=BB189_12 Depth=1
	s_delay_alu instid0(VALU_DEP_2) | instskip(NEXT) | instid1(VALU_DEP_1)
	v_clz_i32_u32_e32 v13, v24
	v_min_u32_e32 v13, 32, v13
	s_delay_alu instid0(VALU_DEP_1) | instskip(NEXT) | instid1(VALU_DEP_1)
	v_subrev_nc_u32_e32 v14, 28, v13
	v_lshlrev_b64_e32 v[14:15], v14, v[24:25]
	s_delay_alu instid0(VALU_DEP_1)
	v_dual_sub_nc_u32 v13, 29, v13 :: v_dual_bitop2_b32 v24, 7, v14 bitop3:0x40
; %bb.974:                              ;   in Loop: Header=BB189_12 Depth=1
	s_or_b32 exec_lo, exec_lo, s21
	v_lshlrev_b32_e32 v12, 16, v12
	s_delay_alu instid0(VALU_DEP_2) | instskip(NEXT) | instid1(VALU_DEP_3)
	v_lshlrev_b32_e32 v14, 20, v24
	v_lshl_add_u32 v13, v13, 23, 0x3c000000
	s_delay_alu instid0(VALU_DEP_3) | instskip(NEXT) | instid1(VALU_DEP_1)
	v_and_b32_e32 v12, 0x80000000, v12
	v_or3_b32 v15, v14, v12, v13
	v_mov_b32_e32 v14, v25
.LBB189_975:                            ;   in Loop: Header=BB189_12 Depth=1
	s_or_b32 exec_lo, exec_lo, s20
.LBB189_976:                            ;   in Loop: Header=BB189_12 Depth=1
	s_delay_alu instid0(SALU_CYCLE_1)
	s_or_b32 exec_lo, exec_lo, s19
.LBB189_977:                            ;   in Loop: Header=BB189_12 Depth=1
	s_delay_alu instid0(SALU_CYCLE_1)
	s_or_b32 exec_lo, exec_lo, s18
	flat_load_u16 v12, v[76:77] offset:3840
	v_mov_b64_e32 v[30:31], 0
	s_wait_loadcnt_dscnt 0x0
	v_and_b32_e32 v28, 0xffff, v12
	v_and_b32_e32 v12, 0xff, v12
	s_delay_alu instid0(VALU_DEP_1)
	v_cmp_ne_u16_e64 s2, 0, v12
	v_mov_b64_e32 v[12:13], 0
	s_wait_xcnt 0x0
	s_and_saveexec_b32 s18, s2
	s_cbranch_execz .LBB189_985
; %bb.978:                              ;   in Loop: Header=BB189_12 Depth=1
	v_and_b32_e32 v12, 0xff, v28
	s_delay_alu instid0(VALU_DEP_1)
	v_cmp_ne_u16_e64 s2, 0x80, v12
	v_mov_b64_e32 v[12:13], 0x80000000
	s_and_saveexec_b32 s19, s2
	s_cbranch_execz .LBB189_984
; %bb.979:                              ;   in Loop: Header=BB189_12 Depth=1
	v_mov_b64_e32 v[12:13], 0x7f800001
	v_and_b32_e32 v29, 0x7f, v28
	s_mov_b32 s20, exec_lo
	s_delay_alu instid0(VALU_DEP_1)
	v_cmpx_ne_u32_e32 0x7f, v29
	s_cbranch_execz .LBB189_983
; %bb.980:                              ;   in Loop: Header=BB189_12 Depth=1
	v_dual_lshrrev_b32 v12, 3, v29 :: v_dual_bitop2_b32 v24, 7, v28 bitop3:0x40
	s_mov_b32 s21, exec_lo
	v_cmpx_gt_u32_e32 8, v29
; %bb.981:                              ;   in Loop: Header=BB189_12 Depth=1
	s_delay_alu instid0(VALU_DEP_2) | instskip(NEXT) | instid1(VALU_DEP_1)
	v_clz_i32_u32_e32 v12, v24
	v_min_u32_e32 v12, 32, v12
	s_delay_alu instid0(VALU_DEP_1) | instskip(SKIP_1) | instid1(VALU_DEP_2)
	v_subrev_nc_u32_e32 v13, 28, v12
	v_sub_nc_u32_e32 v12, 29, v12
	v_lshlrev_b64_e32 v[32:33], v13, v[24:25]
	s_delay_alu instid0(VALU_DEP_1)
	v_and_b32_e32 v24, 7, v32
; %bb.982:                              ;   in Loop: Header=BB189_12 Depth=1
	s_or_b32 exec_lo, exec_lo, s21
	v_lshlrev_b32_e32 v13, 24, v28
	s_delay_alu instid0(VALU_DEP_2) | instskip(SKIP_1) | instid1(VALU_DEP_3)
	v_lshlrev_b32_e32 v24, 20, v24
	v_lshl_add_u32 v12, v12, 23, 0x3c000000
	v_and_b32_e32 v13, 0x80000000, v13
	s_delay_alu instid0(VALU_DEP_1) | instskip(NEXT) | instid1(VALU_DEP_1)
	v_or3_b32 v24, v24, v13, v12
	v_mov_b64_e32 v[12:13], v[24:25]
.LBB189_983:                            ;   in Loop: Header=BB189_12 Depth=1
	s_or_b32 exec_lo, exec_lo, s20
.LBB189_984:                            ;   in Loop: Header=BB189_12 Depth=1
	s_delay_alu instid0(SALU_CYCLE_1)
	s_or_b32 exec_lo, exec_lo, s19
.LBB189_985:                            ;   in Loop: Header=BB189_12 Depth=1
	s_delay_alu instid0(SALU_CYCLE_1) | instskip(SKIP_2) | instid1(VALU_DEP_1)
	s_or_b32 exec_lo, exec_lo, s18
	v_lshrrev_b16 v24, 8, v28
	s_mov_b32 s18, exec_lo
	v_cmpx_ne_u16_e32 0, v24
	s_cbranch_execz .LBB189_993
; %bb.986:                              ;   in Loop: Header=BB189_12 Depth=1
	v_mov_b64_e32 v[30:31], 0x8000000000000000
	s_mov_b32 s19, exec_lo
	v_cmpx_ne_u16_e32 0x80, v24
	s_cbranch_execz .LBB189_992
; %bb.987:                              ;   in Loop: Header=BB189_12 Depth=1
	v_and_b32_e32 v24, 0xffff, v24
	v_mov_b64_e32 v[30:31], 0x7f80000100000000
	s_mov_b32 s20, exec_lo
	s_delay_alu instid0(VALU_DEP_2) | instskip(NEXT) | instid1(VALU_DEP_1)
	v_and_b32_e32 v32, 0x7f, v24
	v_cmpx_ne_u32_e32 0x7f, v32
	s_cbranch_execz .LBB189_991
; %bb.988:                              ;   in Loop: Header=BB189_12 Depth=1
	v_and_b32_e32 v24, 7, v24
	v_lshrrev_b32_e32 v29, 3, v32
	s_mov_b32 s21, exec_lo
	v_cmpx_gt_u32_e32 8, v32
; %bb.989:                              ;   in Loop: Header=BB189_12 Depth=1
	s_delay_alu instid0(VALU_DEP_3) | instskip(NEXT) | instid1(VALU_DEP_1)
	v_clz_i32_u32_e32 v29, v24
	v_min_u32_e32 v29, 32, v29
	s_delay_alu instid0(VALU_DEP_1) | instskip(NEXT) | instid1(VALU_DEP_1)
	v_subrev_nc_u32_e32 v30, 28, v29
	v_lshlrev_b64_e32 v[30:31], v30, v[24:25]
	s_delay_alu instid0(VALU_DEP_1)
	v_dual_sub_nc_u32 v29, 29, v29 :: v_dual_bitop2_b32 v24, 7, v30 bitop3:0x40
; %bb.990:                              ;   in Loop: Header=BB189_12 Depth=1
	s_or_b32 exec_lo, exec_lo, s21
	v_dual_lshlrev_b32 v28, 16, v28 :: v_dual_mov_b32 v30, v25
	s_delay_alu instid0(VALU_DEP_2) | instskip(NEXT) | instid1(VALU_DEP_3)
	v_lshlrev_b32_e32 v24, 20, v24
	v_lshl_add_u32 v29, v29, 23, 0x3c000000
	s_delay_alu instid0(VALU_DEP_3) | instskip(NEXT) | instid1(VALU_DEP_1)
	v_and_b32_e32 v28, 0x80000000, v28
	v_or3_b32 v31, v24, v28, v29
.LBB189_991:                            ;   in Loop: Header=BB189_12 Depth=1
	s_or_b32 exec_lo, exec_lo, s20
.LBB189_992:                            ;   in Loop: Header=BB189_12 Depth=1
	s_delay_alu instid0(SALU_CYCLE_1)
	s_or_b32 exec_lo, exec_lo, s19
.LBB189_993:                            ;   in Loop: Header=BB189_12 Depth=1
	s_delay_alu instid0(SALU_CYCLE_1)
	s_or_b32 exec_lo, exec_lo, s18
	flat_load_u16 v24, v[76:77] offset:3844
	v_mov_b64_e32 v[34:35], 0
	v_mov_b64_e32 v[28:29], 0
	s_mov_b32 s18, exec_lo
	s_wait_loadcnt_dscnt 0x0
	v_and_b32_e32 v32, 0xffff, v24
	v_and_b32_e32 v24, 0xff, v24
	s_wait_xcnt 0x0
	s_delay_alu instid0(VALU_DEP_1)
	v_cmpx_ne_u16_e32 0, v24
	s_cbranch_execz .LBB189_1001
; %bb.994:                              ;   in Loop: Header=BB189_12 Depth=1
	v_mov_b64_e32 v[28:29], 0x80000000
	v_and_b32_e32 v24, 0xff, v32
	s_mov_b32 s19, exec_lo
	s_delay_alu instid0(VALU_DEP_1)
	v_cmpx_ne_u16_e32 0x80, v24
	s_cbranch_execz .LBB189_1000
; %bb.995:                              ;   in Loop: Header=BB189_12 Depth=1
	v_mov_b64_e32 v[28:29], 0x7f800001
	v_and_b32_e32 v33, 0x7f, v32
	s_mov_b32 s20, exec_lo
	s_delay_alu instid0(VALU_DEP_1)
	v_cmpx_ne_u32_e32 0x7f, v33
	s_cbranch_execz .LBB189_999
; %bb.996:                              ;   in Loop: Header=BB189_12 Depth=1
	v_dual_lshrrev_b32 v28, 3, v33 :: v_dual_bitop2_b32 v24, 7, v32 bitop3:0x40
	s_mov_b32 s21, exec_lo
	v_cmpx_gt_u32_e32 8, v33
; %bb.997:                              ;   in Loop: Header=BB189_12 Depth=1
	s_delay_alu instid0(VALU_DEP_2) | instskip(NEXT) | instid1(VALU_DEP_1)
	v_clz_i32_u32_e32 v28, v24
	v_min_u32_e32 v28, 32, v28
	s_delay_alu instid0(VALU_DEP_1) | instskip(NEXT) | instid1(VALU_DEP_1)
	v_subrev_nc_u32_e32 v29, 28, v28
	v_lshlrev_b64_e32 v[38:39], v29, v[24:25]
	s_delay_alu instid0(VALU_DEP_1)
	v_dual_sub_nc_u32 v28, 29, v28 :: v_dual_bitop2_b32 v24, 7, v38 bitop3:0x40
; %bb.998:                              ;   in Loop: Header=BB189_12 Depth=1
	s_or_b32 exec_lo, exec_lo, s21
	v_lshlrev_b32_e32 v29, 24, v32
	s_delay_alu instid0(VALU_DEP_2) | instskip(NEXT) | instid1(VALU_DEP_3)
	v_lshlrev_b32_e32 v24, 20, v24
	v_lshl_add_u32 v28, v28, 23, 0x3c000000
	s_delay_alu instid0(VALU_DEP_3) | instskip(NEXT) | instid1(VALU_DEP_1)
	v_and_b32_e32 v29, 0x80000000, v29
	v_or3_b32 v24, v24, v29, v28
	s_delay_alu instid0(VALU_DEP_1)
	v_mov_b64_e32 v[28:29], v[24:25]
.LBB189_999:                            ;   in Loop: Header=BB189_12 Depth=1
	s_or_b32 exec_lo, exec_lo, s20
.LBB189_1000:                           ;   in Loop: Header=BB189_12 Depth=1
	s_delay_alu instid0(SALU_CYCLE_1)
	s_or_b32 exec_lo, exec_lo, s19
.LBB189_1001:                           ;   in Loop: Header=BB189_12 Depth=1
	s_delay_alu instid0(SALU_CYCLE_1) | instskip(SKIP_2) | instid1(VALU_DEP_1)
	s_or_b32 exec_lo, exec_lo, s18
	v_lshrrev_b16 v24, 8, v32
	s_mov_b32 s18, exec_lo
	v_cmpx_ne_u16_e32 0, v24
	s_cbranch_execz .LBB189_1009
; %bb.1002:                             ;   in Loop: Header=BB189_12 Depth=1
	v_mov_b64_e32 v[34:35], 0x8000000000000000
	s_mov_b32 s19, exec_lo
	v_cmpx_ne_u16_e32 0x80, v24
	s_cbranch_execz .LBB189_1008
; %bb.1003:                             ;   in Loop: Header=BB189_12 Depth=1
	v_and_b32_e32 v24, 0xffff, v24
	v_mov_b64_e32 v[34:35], 0x7f80000100000000
	s_mov_b32 s20, exec_lo
	s_delay_alu instid0(VALU_DEP_2) | instskip(NEXT) | instid1(VALU_DEP_1)
	v_and_b32_e32 v38, 0x7f, v24
	v_cmpx_ne_u32_e32 0x7f, v38
	s_cbranch_execz .LBB189_1007
; %bb.1004:                             ;   in Loop: Header=BB189_12 Depth=1
	v_dual_lshrrev_b32 v33, 3, v38 :: v_dual_bitop2_b32 v24, 7, v24 bitop3:0x40
	s_mov_b32 s21, exec_lo
	v_cmpx_gt_u32_e32 8, v38
; %bb.1005:                             ;   in Loop: Header=BB189_12 Depth=1
	s_delay_alu instid0(VALU_DEP_2) | instskip(NEXT) | instid1(VALU_DEP_1)
	v_clz_i32_u32_e32 v33, v24
	v_min_u32_e32 v33, 32, v33
	s_delay_alu instid0(VALU_DEP_1) | instskip(NEXT) | instid1(VALU_DEP_1)
	v_subrev_nc_u32_e32 v34, 28, v33
	v_lshlrev_b64_e32 v[34:35], v34, v[24:25]
	s_delay_alu instid0(VALU_DEP_1)
	v_dual_sub_nc_u32 v33, 29, v33 :: v_dual_bitop2_b32 v24, 7, v34 bitop3:0x40
; %bb.1006:                             ;   in Loop: Header=BB189_12 Depth=1
	s_or_b32 exec_lo, exec_lo, s21
	v_dual_lshlrev_b32 v32, 16, v32 :: v_dual_mov_b32 v34, v25
	s_delay_alu instid0(VALU_DEP_2) | instskip(NEXT) | instid1(VALU_DEP_3)
	v_lshlrev_b32_e32 v24, 20, v24
	v_lshl_add_u32 v33, v33, 23, 0x3c000000
	s_delay_alu instid0(VALU_DEP_3) | instskip(NEXT) | instid1(VALU_DEP_1)
	v_and_b32_e32 v32, 0x80000000, v32
	v_or3_b32 v35, v24, v32, v33
.LBB189_1007:                           ;   in Loop: Header=BB189_12 Depth=1
	s_or_b32 exec_lo, exec_lo, s20
.LBB189_1008:                           ;   in Loop: Header=BB189_12 Depth=1
	s_delay_alu instid0(SALU_CYCLE_1)
	s_or_b32 exec_lo, exec_lo, s19
.LBB189_1009:                           ;   in Loop: Header=BB189_12 Depth=1
	s_delay_alu instid0(SALU_CYCLE_1)
	s_or_b32 exec_lo, exec_lo, s18
	flat_load_u16 v24, v[76:77] offset:3848
	v_mov_b64_e32 v[38:39], 0
	v_mov_b64_e32 v[32:33], 0
	s_mov_b32 s18, exec_lo
	s_wait_loadcnt_dscnt 0x0
	v_and_b32_e32 v50, 0xffff, v24
	v_and_b32_e32 v24, 0xff, v24
	s_wait_xcnt 0x0
	s_delay_alu instid0(VALU_DEP_1)
	v_cmpx_ne_u16_e32 0, v24
	s_cbranch_execz .LBB189_1017
; %bb.1010:                             ;   in Loop: Header=BB189_12 Depth=1
	v_mov_b64_e32 v[32:33], 0x80000000
	v_and_b32_e32 v24, 0xff, v50
	s_mov_b32 s19, exec_lo
	s_delay_alu instid0(VALU_DEP_1)
	v_cmpx_ne_u16_e32 0x80, v24
	s_cbranch_execz .LBB189_1016
; %bb.1011:                             ;   in Loop: Header=BB189_12 Depth=1
	v_mov_b64_e32 v[32:33], 0x7f800001
	v_and_b32_e32 v51, 0x7f, v50
	s_mov_b32 s20, exec_lo
	s_delay_alu instid0(VALU_DEP_1)
	v_cmpx_ne_u32_e32 0x7f, v51
	s_cbranch_execz .LBB189_1015
; %bb.1012:                             ;   in Loop: Header=BB189_12 Depth=1
	v_dual_lshrrev_b32 v32, 3, v51 :: v_dual_bitop2_b32 v24, 7, v50 bitop3:0x40
	s_mov_b32 s21, exec_lo
	v_cmpx_gt_u32_e32 8, v51
	s_cbranch_execz .LBB189_1014
; %bb.1013:                             ;   in Loop: Header=BB189_12 Depth=1
	s_delay_alu instid0(VALU_DEP_2) | instskip(SKIP_1) | instid1(VALU_DEP_2)
	v_clz_i32_u32_e32 v32, v24
	v_mov_b64_e32 v[48:49], v[64:65]
	v_min_u32_e32 v32, 32, v32
	s_delay_alu instid0(VALU_DEP_1) | instskip(SKIP_1) | instid1(VALU_DEP_2)
	v_subrev_nc_u32_e32 v33, 28, v32
	v_sub_nc_u32_e32 v32, 29, v32
	v_lshlrev_b64_e32 v[64:65], v33, v[24:25]
	s_delay_alu instid0(VALU_DEP_1)
	v_and_b32_e32 v24, 7, v64
	v_mov_b64_e32 v[64:65], v[48:49]
.LBB189_1014:                           ;   in Loop: Header=BB189_12 Depth=1
	s_or_b32 exec_lo, exec_lo, s21
	s_delay_alu instid0(VALU_DEP_2) | instskip(SKIP_1) | instid1(VALU_DEP_2)
	v_dual_lshlrev_b32 v33, 24, v50 :: v_dual_lshlrev_b32 v24, 20, v24
	v_lshl_add_u32 v32, v32, 23, 0x3c000000
	v_and_b32_e32 v33, 0x80000000, v33
	s_delay_alu instid0(VALU_DEP_1) | instskip(NEXT) | instid1(VALU_DEP_1)
	v_or3_b32 v24, v24, v33, v32
	v_mov_b64_e32 v[32:33], v[24:25]
.LBB189_1015:                           ;   in Loop: Header=BB189_12 Depth=1
	s_or_b32 exec_lo, exec_lo, s20
.LBB189_1016:                           ;   in Loop: Header=BB189_12 Depth=1
	s_delay_alu instid0(SALU_CYCLE_1)
	s_or_b32 exec_lo, exec_lo, s19
.LBB189_1017:                           ;   in Loop: Header=BB189_12 Depth=1
	s_delay_alu instid0(SALU_CYCLE_1) | instskip(SKIP_2) | instid1(VALU_DEP_1)
	s_or_b32 exec_lo, exec_lo, s18
	v_lshrrev_b16 v24, 8, v50
	s_mov_b32 s18, exec_lo
	v_cmpx_ne_u16_e32 0, v24
	s_cbranch_execz .LBB189_1025
; %bb.1018:                             ;   in Loop: Header=BB189_12 Depth=1
	v_mov_b64_e32 v[38:39], 0x8000000000000000
	s_mov_b32 s19, exec_lo
	v_cmpx_ne_u16_e32 0x80, v24
	s_cbranch_execz .LBB189_1024
; %bb.1019:                             ;   in Loop: Header=BB189_12 Depth=1
	v_and_b32_e32 v24, 0xffff, v24
	v_mov_b64_e32 v[38:39], 0x7f80000100000000
	s_mov_b32 s20, exec_lo
	s_delay_alu instid0(VALU_DEP_2) | instskip(NEXT) | instid1(VALU_DEP_1)
	v_and_b32_e32 v51, 0x7f, v24
	v_cmpx_ne_u32_e32 0x7f, v51
	s_cbranch_execz .LBB189_1023
; %bb.1020:                             ;   in Loop: Header=BB189_12 Depth=1
	v_dual_lshrrev_b32 v38, 3, v51 :: v_dual_bitop2_b32 v24, 7, v24 bitop3:0x40
	s_mov_b32 s21, exec_lo
	v_cmpx_gt_u32_e32 8, v51
	s_cbranch_execz .LBB189_1022
; %bb.1021:                             ;   in Loop: Header=BB189_12 Depth=1
	s_delay_alu instid0(VALU_DEP_2) | instskip(SKIP_1) | instid1(VALU_DEP_2)
	v_clz_i32_u32_e32 v38, v24
	v_mov_b64_e32 v[48:49], v[64:65]
	v_min_u32_e32 v38, 32, v38
	s_delay_alu instid0(VALU_DEP_1) | instskip(NEXT) | instid1(VALU_DEP_1)
	v_subrev_nc_u32_e32 v39, 28, v38
	v_lshlrev_b64_e32 v[64:65], v39, v[24:25]
	s_delay_alu instid0(VALU_DEP_1)
	v_dual_sub_nc_u32 v38, 29, v38 :: v_dual_bitop2_b32 v24, 7, v64 bitop3:0x40
	v_mov_b64_e32 v[64:65], v[48:49]
.LBB189_1022:                           ;   in Loop: Header=BB189_12 Depth=1
	s_or_b32 exec_lo, exec_lo, s21
	s_delay_alu instid0(VALU_DEP_2) | instskip(NEXT) | instid1(VALU_DEP_3)
	v_dual_lshlrev_b32 v39, 16, v50 :: v_dual_lshlrev_b32 v24, 20, v24
	v_lshl_add_u32 v38, v38, 23, 0x3c000000
	s_delay_alu instid0(VALU_DEP_2) | instskip(NEXT) | instid1(VALU_DEP_1)
	v_and_b32_e32 v39, 0x80000000, v39
	v_or3_b32 v39, v24, v39, v38
	v_mov_b32_e32 v38, v25
.LBB189_1023:                           ;   in Loop: Header=BB189_12 Depth=1
	s_or_b32 exec_lo, exec_lo, s20
.LBB189_1024:                           ;   in Loop: Header=BB189_12 Depth=1
	s_delay_alu instid0(SALU_CYCLE_1)
	s_or_b32 exec_lo, exec_lo, s19
.LBB189_1025:                           ;   in Loop: Header=BB189_12 Depth=1
	s_delay_alu instid0(SALU_CYCLE_1)
	s_or_b32 exec_lo, exec_lo, s18
	flat_load_u16 v24, v[76:77] offset:3852
	s_wait_xcnt 0x0
	v_mov_b64_e32 v[76:77], 0
	v_mov_b64_e32 v[50:51], 0
	s_mov_b32 s18, exec_lo
	s_wait_loadcnt_dscnt 0x0
	v_and_b32_e32 v119, 0xffff, v24
	v_and_b32_e32 v24, 0xff, v24
	s_delay_alu instid0(VALU_DEP_1)
	v_cmpx_ne_u16_e32 0, v24
	s_cbranch_execz .LBB189_1033
; %bb.1026:                             ;   in Loop: Header=BB189_12 Depth=1
	v_mov_b64_e32 v[50:51], 0x80000000
	v_and_b32_e32 v24, 0xff, v119
	s_mov_b32 s19, exec_lo
	s_delay_alu instid0(VALU_DEP_1)
	v_cmpx_ne_u16_e32 0x80, v24
	s_cbranch_execz .LBB189_1032
; %bb.1027:                             ;   in Loop: Header=BB189_12 Depth=1
	v_mov_b64_e32 v[50:51], 0x7f800001
	v_and_b32_e32 v101, 0x7f, v119
	s_mov_b32 s20, exec_lo
	s_delay_alu instid0(VALU_DEP_1)
	v_cmpx_ne_u32_e32 0x7f, v101
	s_cbranch_execz .LBB189_1031
; %bb.1028:                             ;   in Loop: Header=BB189_12 Depth=1
	v_dual_lshrrev_b32 v50, 3, v101 :: v_dual_bitop2_b32 v24, 7, v119 bitop3:0x40
	s_mov_b32 s21, exec_lo
	v_cmpx_gt_u32_e32 8, v101
	s_cbranch_execz .LBB189_1030
; %bb.1029:                             ;   in Loop: Header=BB189_12 Depth=1
	s_delay_alu instid0(VALU_DEP_2)
	v_clz_i32_u32_e32 v48, v24
	scratch_store_b64 off, v[4:5], s32 offset:1088 ; 8-byte Folded Spill
	s_wait_xcnt 0x0
	v_mov_b64_e32 v[4:5], v[54:55]
	v_mov_b64_e32 v[54:55], v[102:103]
	;; [unrolled: 1-line block ×3, first 2 shown]
	v_min_u32_e32 v48, 32, v48
	v_mov_b64_e32 v[10:11], v[116:117]
	v_mov_b64_e32 v[116:117], v[112:113]
	;; [unrolled: 1-line block ×4, first 2 shown]
	v_subrev_nc_u32_e32 v49, 28, v48
	v_mov_b64_e32 v[124:125], v[122:123]
	v_mov_b64_e32 v[122:123], v[120:121]
	;; [unrolled: 1-line block ×33, first 2 shown]
	v_lshlrev_b64_e32 v[64:65], v49, v[24:25]
	v_sub_nc_u32_e32 v50, 29, v48
	s_delay_alu instid0(VALU_DEP_2) | instskip(NEXT) | instid1(VALU_DEP_4)
	v_and_b32_e32 v24, 7, v64
	v_mov_b64_e32 v[64:65], v[66:67]
	v_mov_b64_e32 v[66:67], v[52:53]
	;; [unrolled: 1-line block ×40, first 2 shown]
	scratch_load_b64 v[4:5], off, s32 offset:1088 ; 8-byte Folded Reload
.LBB189_1030:                           ;   in Loop: Header=BB189_12 Depth=1
	s_wait_xcnt 0x0
	s_or_b32 exec_lo, exec_lo, s21
	v_dual_lshlrev_b32 v48, 24, v119 :: v_dual_lshlrev_b32 v24, 20, v24
	v_lshl_add_u32 v49, v50, 23, 0x3c000000
	s_delay_alu instid0(VALU_DEP_2) | instskip(NEXT) | instid1(VALU_DEP_1)
	v_and_b32_e32 v48, 0x80000000, v48
	v_or3_b32 v24, v24, v48, v49
	s_delay_alu instid0(VALU_DEP_1)
	v_mov_b64_e32 v[50:51], v[24:25]
.LBB189_1031:                           ;   in Loop: Header=BB189_12 Depth=1
	s_or_b32 exec_lo, exec_lo, s20
	scratch_load_b32 v101, off, s32 offset:1020 ; 4-byte Folded Reload
.LBB189_1032:                           ;   in Loop: Header=BB189_12 Depth=1
	s_wait_xcnt 0x0
	s_or_b32 exec_lo, exec_lo, s19
.LBB189_1033:                           ;   in Loop: Header=BB189_12 Depth=1
	s_delay_alu instid0(SALU_CYCLE_1) | instskip(SKIP_2) | instid1(VALU_DEP_1)
	s_or_b32 exec_lo, exec_lo, s18
	v_lshrrev_b16 v24, 8, v119
	s_mov_b32 s18, exec_lo
	v_cmpx_ne_u16_e32 0, v24
	s_cbranch_execz .LBB189_1041
; %bb.1034:                             ;   in Loop: Header=BB189_12 Depth=1
	v_mov_b64_e32 v[76:77], 0x8000000000000000
	s_mov_b32 s19, exec_lo
	v_cmpx_ne_u16_e32 0x80, v24
	s_cbranch_execz .LBB189_1040
; %bb.1035:                             ;   in Loop: Header=BB189_12 Depth=1
	v_and_b32_e32 v24, 0xffff, v24
	v_mov_b64_e32 v[76:77], 0x7f80000100000000
	s_mov_b32 s20, exec_lo
	s_wait_loadcnt 0x0
	s_delay_alu instid0(VALU_DEP_2) | instskip(NEXT) | instid1(VALU_DEP_1)
	v_and_b32_e32 v101, 0x7f, v24
	v_cmpx_ne_u32_e32 0x7f, v101
	s_cbranch_execz .LBB189_1039
; %bb.1036:                             ;   in Loop: Header=BB189_12 Depth=1
	v_dual_lshrrev_b32 v76, 3, v101 :: v_dual_bitop2_b32 v24, 7, v24 bitop3:0x40
	s_mov_b32 s21, exec_lo
	v_cmpx_gt_u32_e32 8, v101
	s_cbranch_execz .LBB189_1038
; %bb.1037:                             ;   in Loop: Header=BB189_12 Depth=1
	s_delay_alu instid0(VALU_DEP_2)
	v_clz_i32_u32_e32 v48, v24
	scratch_store_b64 off, v[4:5], s32 offset:1088 ; 8-byte Folded Spill
	s_wait_xcnt 0x0
	v_mov_b64_e32 v[4:5], v[54:55]
	v_mov_b64_e32 v[54:55], v[102:103]
	;; [unrolled: 1-line block ×3, first 2 shown]
	v_min_u32_e32 v48, 32, v48
	v_mov_b64_e32 v[10:11], v[116:117]
	v_mov_b64_e32 v[116:117], v[112:113]
	;; [unrolled: 1-line block ×4, first 2 shown]
	v_subrev_nc_u32_e32 v49, 28, v48
	v_mov_b64_e32 v[124:125], v[122:123]
	v_mov_b64_e32 v[122:123], v[120:121]
	;; [unrolled: 1-line block ×34, first 2 shown]
	v_lshlrev_b64_e32 v[64:65], v49, v[24:25]
	v_sub_nc_u32_e32 v76, 29, v48
	s_delay_alu instid0(VALU_DEP_2) | instskip(NEXT) | instid1(VALU_DEP_4)
	v_and_b32_e32 v24, 7, v64
	v_mov_b64_e32 v[64:65], v[66:67]
	v_mov_b64_e32 v[66:67], v[52:53]
	v_mov_b64_e32 v[52:53], v[68:69]
	v_mov_b64_e32 v[68:69], v[36:37]
	v_mov_b64_e32 v[36:37], v[8:9]
	v_mov_b64_e32 v[8:9], v[86:87]
	v_mov_b64_e32 v[86:87], v[96:97]
	v_mov_b64_e32 v[96:97], v[84:85]
	v_mov_b64_e32 v[84:85], v[20:21]
	v_mov_b64_e32 v[20:21], v[6:7]
	v_mov_b64_e32 v[6:7], v[58:59]
	v_mov_b64_e32 v[58:59], v[98:99]
	v_mov_b64_e32 v[98:99], v[74:75]
	v_mov_b64_e32 v[74:75], v[22:23]
	v_mov_b64_e32 v[22:23], v[56:57]
	v_mov_b64_e32 v[56:57], v[18:19]
	v_mov_b64_e32 v[18:19], v[60:61]
	v_mov_b64_e32 v[60:61], v[40:41]
	v_mov_b64_e32 v[40:41], v[42:43]
	v_mov_b64_e32 v[42:43], v[72:73]
	v_mov_b64_e32 v[72:73], v[46:47]
	v_mov_b64_e32 v[46:47], v[78:79]
	v_mov_b64_e32 v[78:79], v[62:63]
	v_mov_b64_e32 v[62:63], v[88:89]
	v_mov_b64_e32 v[88:89], v[90:91]
	v_mov_b64_e32 v[90:91], v[92:93]
	v_mov_b64_e32 v[92:93], v[94:95]
	v_mov_b64_e32 v[94:95], v[104:105]
	v_mov_b64_e32 v[104:105], v[106:107]
	v_mov_b64_e32 v[106:107], v[108:109]
	v_mov_b64_e32 v[108:109], v[110:111]
	v_mov_b64_e32 v[110:111], v[120:121]
	v_mov_b64_e32 v[120:121], v[122:123]
	v_mov_b64_e32 v[122:123], v[124:125]
	v_mov_b64_e32 v[124:125], v[126:127]
	v_mov_b64_e32 v[126:127], v[112:113]
	v_mov_b64_e32 v[112:113], v[116:117]
	v_mov_b64_e32 v[116:117], v[10:11]
	v_mov_b64_e32 v[10:11], v[102:103]
	v_mov_b64_e32 v[102:103], v[54:55]
	v_mov_b64_e32 v[54:55], v[4:5]
	scratch_load_b64 v[4:5], off, s32 offset:1088 ; 8-byte Folded Reload
.LBB189_1038:                           ;   in Loop: Header=BB189_12 Depth=1
	s_wait_xcnt 0x0
	s_or_b32 exec_lo, exec_lo, s21
	v_dual_lshlrev_b32 v48, 16, v119 :: v_dual_lshlrev_b32 v24, 20, v24
	v_lshl_add_u32 v49, v76, 23, 0x3c000000
	v_mov_b32_e32 v76, v25
	s_delay_alu instid0(VALU_DEP_3) | instskip(NEXT) | instid1(VALU_DEP_1)
	v_and_b32_e32 v48, 0x80000000, v48
	v_or3_b32 v77, v24, v48, v49
.LBB189_1039:                           ;   in Loop: Header=BB189_12 Depth=1
	s_or_b32 exec_lo, exec_lo, s20
	scratch_load_b32 v101, off, s32 offset:1020 ; 4-byte Folded Reload
.LBB189_1040:                           ;   in Loop: Header=BB189_12 Depth=1
	s_wait_xcnt 0x0
	s_or_b32 exec_lo, exec_lo, s19
.LBB189_1041:                           ;   in Loop: Header=BB189_12 Depth=1
	s_delay_alu instid0(SALU_CYCLE_1) | instskip(SKIP_3) | instid1(VALU_DEP_2)
	s_or_b32 exec_lo, exec_lo, s18
	v_or_b32_e32 v65, v65, v71
	v_or_b32_e32 v64, v64, v70
	;; [unrolled: 1-line block ×3, first 2 shown]
	v_pk_mul_f32 v[64:65], v[44:45], v[64:65] op_sel_hi:[0,1]
	s_delay_alu instid0(VALU_DEP_1) | instskip(NEXT) | instid1(VALU_DEP_2)
	v_dual_mul_f32 v24, v82, v64 :: v_dual_bitop2_b32 v67, v53, v67 bitop3:0x54
	v_dual_mul_f32 v119, v83, v65 :: v_dual_bitop2_b32 v66, v52, v66 bitop3:0x54
	s_delay_alu instid0(VALU_DEP_1) | instskip(NEXT) | instid1(VALU_DEP_1)
	v_pk_mul_f32 v[64:65], v[44:45], v[66:67] op_sel_hi:[0,1]
	v_dual_fmac_f32 v24, v80, v64 :: v_dual_fmac_f32 v119, v81, v65
	v_or_b32_e32 v65, v69, v37
	v_or_b32_e32 v64, v68, v36
	scratch_load_b128 v[68:71], off, s32 offset:980 th:TH_LOAD_LU ; 16-byte Folded Reload
	v_pk_mul_f32 v[64:65], v[44:45], v[64:65] op_sel_hi:[0,1]
	s_wait_loadcnt 0x0
	s_delay_alu instid0(VALU_DEP_1) | instskip(NEXT) | instid1(VALU_DEP_2)
	v_dual_fmac_f32 v24, v68, v64 :: v_dual_bitop2_b32 v67, v9, v87 bitop3:0x54
	v_dual_fmac_f32 v119, v69, v65 :: v_dual_bitop2_b32 v66, v8, v86 bitop3:0x54
	s_delay_alu instid0(VALU_DEP_1) | instskip(NEXT) | instid1(VALU_DEP_1)
	v_pk_mul_f32 v[64:65], v[44:45], v[66:67] op_sel_hi:[0,1]
	v_dual_fmac_f32 v24, v70, v64 :: v_dual_fmac_f32 v119, v71, v65
	scratch_load_b128 v[68:71], off, s32 offset:996 th:TH_LOAD_LU ; 16-byte Folded Reload
	v_or_b32_e32 v65, v97, v85
	v_or_b32_e32 v64, v96, v84
	s_delay_alu instid0(VALU_DEP_1) | instskip(SKIP_1) | instid1(VALU_DEP_1)
	v_pk_mul_f32 v[64:65], v[44:45], v[64:65] op_sel_hi:[0,1]
	s_wait_loadcnt 0x0
	v_dual_fmac_f32 v24, v68, v64 :: v_dual_bitop2_b32 v67, v21, v7 bitop3:0x54
	s_delay_alu instid0(VALU_DEP_2) | instskip(NEXT) | instid1(VALU_DEP_1)
	v_dual_fmac_f32 v119, v69, v65 :: v_dual_bitop2_b32 v66, v20, v6 bitop3:0x54
	v_pk_mul_f32 v[64:65], v[44:45], v[66:67] op_sel_hi:[0,1]
	s_delay_alu instid0(VALU_DEP_1) | instskip(SKIP_3) | instid1(VALU_DEP_1)
	v_dual_fmac_f32 v24, v70, v64 :: v_dual_fmac_f32 v119, v71, v65
	scratch_load_b128 v[68:71], off, s32 offset:948 th:TH_LOAD_LU ; 16-byte Folded Reload
	v_or_b32_e32 v65, v59, v99
	v_or_b32_e32 v64, v58, v98
	v_pk_mul_f32 v[64:65], v[44:45], v[64:65] op_sel_hi:[0,1]
	s_wait_loadcnt 0x0
	s_delay_alu instid0(VALU_DEP_1) | instskip(NEXT) | instid1(VALU_DEP_2)
	v_dual_fmac_f32 v24, v68, v64 :: v_dual_bitop2_b32 v67, v75, v23 bitop3:0x54
	v_dual_fmac_f32 v119, v69, v65 :: v_dual_bitop2_b32 v66, v74, v22 bitop3:0x54
	s_delay_alu instid0(VALU_DEP_1) | instskip(NEXT) | instid1(VALU_DEP_1)
	v_pk_mul_f32 v[64:65], v[44:45], v[66:67] op_sel_hi:[0,1]
	v_dual_fmac_f32 v24, v70, v64 :: v_dual_fmac_f32 v119, v71, v65
	scratch_load_b128 v[68:71], off, s32 offset:964 th:TH_LOAD_LU ; 16-byte Folded Reload
	v_or_b32_e32 v65, v57, v19
	v_or_b32_e32 v64, v56, v18
	s_delay_alu instid0(VALU_DEP_1) | instskip(SKIP_1) | instid1(VALU_DEP_1)
	v_pk_mul_f32 v[64:65], v[44:45], v[64:65] op_sel_hi:[0,1]
	s_wait_loadcnt 0x0
	v_dual_fmac_f32 v24, v68, v64 :: v_dual_bitop2_b32 v67, v61, v41 bitop3:0x54
	s_delay_alu instid0(VALU_DEP_2) | instskip(NEXT) | instid1(VALU_DEP_1)
	v_dual_fmac_f32 v119, v69, v65 :: v_dual_bitop2_b32 v66, v60, v40 bitop3:0x54
	v_pk_mul_f32 v[64:65], v[44:45], v[66:67] op_sel_hi:[0,1]
	s_delay_alu instid0(VALU_DEP_1) | instskip(SKIP_3) | instid1(VALU_DEP_1)
	v_dual_fmac_f32 v24, v70, v64 :: v_dual_fmac_f32 v119, v71, v65
	scratch_load_b128 v[68:71], off, s32 offset:916 th:TH_LOAD_LU ; 16-byte Folded Reload
	v_or_b32_e32 v65, v73, v47
	v_or_b32_e32 v64, v72, v46
	;; [unrolled: 23-line block ×4, first 2 shown]
	v_pk_mul_f32 v[64:65], v[44:45], v[64:65] op_sel_hi:[0,1]
	s_wait_loadcnt 0x0
	s_delay_alu instid0(VALU_DEP_1) | instskip(NEXT) | instid1(VALU_DEP_2)
	v_dual_fmac_f32 v24, v68, v64 :: v_dual_bitop2_b32 v67, v11, v103 bitop3:0x54
	v_dual_fmac_f32 v119, v69, v65 :: v_dual_bitop2_b32 v66, v10, v102 bitop3:0x54
	s_delay_alu instid0(VALU_DEP_1) | instskip(NEXT) | instid1(VALU_DEP_1)
	v_pk_mul_f32 v[64:65], v[44:45], v[66:67] op_sel_hi:[0,1]
	v_dual_fmac_f32 v24, v70, v64 :: v_dual_fmac_f32 v119, v71, v65
	v_or_b32_e32 v65, v55, v5
	v_or_b32_e32 v64, v54, v4
	s_clause 0x2
	scratch_load_b64 v[4:5], off, s32 offset:224 th:TH_LOAD_LU
	scratch_load_b64 v[6:7], off, s32 offset:232 th:TH_LOAD_LU
	scratch_load_b128 v[68:71], off, s32 offset:868 th:TH_LOAD_LU
	v_pk_mul_f32 v[64:65], v[44:45], v[64:65] op_sel_hi:[0,1]
	s_wait_loadcnt 0x0
	s_delay_alu instid0(VALU_DEP_1) | instskip(NEXT) | instid1(VALU_DEP_2)
	v_dual_fmac_f32 v24, v68, v64 :: v_dual_bitop2_b32 v67, v5, v7 bitop3:0x54
	v_dual_fmac_f32 v119, v69, v65 :: v_dual_bitop2_b32 v66, v4, v6 bitop3:0x54
	s_clause 0x1
	scratch_load_b64 v[4:5], off, s32 offset:240 th:TH_LOAD_LU
	scratch_load_b64 v[6:7], off, s32 offset:248 th:TH_LOAD_LU
	v_pk_mul_f32 v[64:65], v[44:45], v[66:67] op_sel_hi:[0,1]
	s_delay_alu instid0(VALU_DEP_1)
	v_dual_fmac_f32 v24, v70, v64 :: v_dual_fmac_f32 v119, v71, v65
	s_wait_loadcnt 0x0
	v_or_b32_e32 v65, v5, v7
	v_or_b32_e32 v64, v4, v6
	s_clause 0x2
	scratch_load_b64 v[4:5], off, s32 offset:256 th:TH_LOAD_LU
	scratch_load_b64 v[6:7], off, s32 offset:264 th:TH_LOAD_LU
	scratch_load_b128 v[68:71], off, s32 offset:828 th:TH_LOAD_LU
	v_pk_mul_f32 v[64:65], v[44:45], v[64:65] op_sel_hi:[0,1]
	s_wait_loadcnt 0x0
	s_delay_alu instid0(VALU_DEP_1) | instskip(NEXT) | instid1(VALU_DEP_2)
	v_dual_fmac_f32 v24, v68, v64 :: v_dual_bitop2_b32 v67, v5, v7 bitop3:0x54
	v_dual_fmac_f32 v119, v69, v65 :: v_dual_bitop2_b32 v66, v4, v6 bitop3:0x54
	s_clause 0x1
	scratch_load_b64 v[4:5], off, s32 offset:272 th:TH_LOAD_LU
	scratch_load_b64 v[6:7], off, s32 offset:280 th:TH_LOAD_LU
	v_pk_mul_f32 v[64:65], v[44:45], v[66:67] op_sel_hi:[0,1]
	s_delay_alu instid0(VALU_DEP_1)
	v_dual_fmac_f32 v24, v70, v64 :: v_dual_fmac_f32 v119, v71, v65
	s_wait_loadcnt 0x0
	v_or_b32_e32 v65, v5, v7
	v_or_b32_e32 v64, v4, v6
	s_clause 0x1
	scratch_load_b64 v[4:5], off, s32 offset:304 th:TH_LOAD_LU
	scratch_load_b64 v[6:7], off, s32 offset:312 th:TH_LOAD_LU
	v_pk_mul_f32 v[64:65], v[44:45], v[64:65] op_sel_hi:[0,1]
	s_wait_loadcnt 0x0
	v_or_b32_e32 v53, v5, v7
	v_or_b32_e32 v52, v4, v6
	s_clause 0x2
	scratch_load_b64 v[4:5], off, s32 offset:288 th:TH_LOAD_LU
	scratch_load_b64 v[6:7], off, s32 offset:296 th:TH_LOAD_LU
	;; [unrolled: 1-line block ×3, first 2 shown]
	s_wait_loadcnt 0x1
	v_or_b32_e32 v67, v5, v7
	v_or_b32_e32 v66, v4, v6
	s_wait_loadcnt 0x0
	v_dual_fmac_f32 v24, v48, v64 :: v_dual_fmac_f32 v119, v49, v65
	s_delay_alu instid0(VALU_DEP_2)
	v_pk_mul_f32 v[48:49], v[44:45], v[66:67] op_sel_hi:[0,1]
	ds_load_2addr_b64 v[64:67], v27 offset0:25 offset1:26
	ds_load_2addr_b64 v[68:71], v27 offset0:27 offset1:28
	s_clause 0x1
	scratch_load_b64 v[4:5], off, s32 offset:320 th:TH_LOAD_LU
	scratch_load_b64 v[6:7], off, s32 offset:328 th:TH_LOAD_LU
	s_wait_dscnt 0x1
	v_dual_fmac_f32 v24, v64, v48 :: v_dual_fmac_f32 v119, v65, v49
	v_pk_mul_f32 v[48:49], v[44:45], v[52:53] op_sel_hi:[0,1]
	s_delay_alu instid0(VALU_DEP_1)
	v_dual_fmac_f32 v24, v66, v48 :: v_dual_fmac_f32 v119, v67, v49
	s_wait_loadcnt 0x0
	v_or_b32_e32 v49, v5, v7
	v_or_b32_e32 v48, v4, v6
	s_clause 0x1
	scratch_load_b64 v[4:5], off, s32 offset:336 th:TH_LOAD_LU
	scratch_load_b64 v[6:7], off, s32 offset:344 th:TH_LOAD_LU
	v_pk_mul_f32 v[48:49], v[44:45], v[48:49] op_sel_hi:[0,1]
	s_wait_dscnt 0x0
	s_delay_alu instid0(VALU_DEP_1)
	v_dual_fmac_f32 v24, v68, v48 :: v_dual_fmac_f32 v119, v69, v49
	s_wait_loadcnt 0x0
	v_or_b32_e32 v53, v5, v7
	v_or_b32_e32 v52, v4, v6
	s_clause 0x1
	scratch_load_b64 v[4:5], off, s32 offset:352 th:TH_LOAD_LU
	scratch_load_b64 v[6:7], off, s32 offset:360 th:TH_LOAD_LU
	v_pk_mul_f32 v[48:49], v[44:45], v[52:53] op_sel_hi:[0,1]
	s_delay_alu instid0(VALU_DEP_1)
	v_dual_fmac_f32 v24, v70, v48 :: v_dual_fmac_f32 v119, v71, v49
	s_wait_loadcnt 0x0
	v_or_b32_e32 v49, v5, v7
	v_or_b32_e32 v48, v4, v6
	s_clause 0x1
	scratch_load_b64 v[4:5], off, s32 offset:368 th:TH_LOAD_LU
	scratch_load_b64 v[6:7], off, s32 offset:376 th:TH_LOAD_LU
	ds_load_2addr_b64 v[64:67], v27 offset0:29 offset1:30
	ds_load_2addr_b64 v[68:71], v27 offset0:31 offset1:32
	v_pk_mul_f32 v[48:49], v[44:45], v[48:49] op_sel_hi:[0,1]
	s_wait_dscnt 0x1
	s_delay_alu instid0(VALU_DEP_1)
	v_dual_fmac_f32 v24, v64, v48 :: v_dual_fmac_f32 v119, v65, v49
	s_wait_loadcnt 0x0
	v_or_b32_e32 v53, v5, v7
	v_or_b32_e32 v52, v4, v6
	s_clause 0x1
	scratch_load_b64 v[4:5], off, s32 offset:384 th:TH_LOAD_LU
	scratch_load_b64 v[6:7], off, s32 offset:392 th:TH_LOAD_LU
	v_pk_mul_f32 v[48:49], v[44:45], v[52:53] op_sel_hi:[0,1]
	s_delay_alu instid0(VALU_DEP_1)
	v_dual_fmac_f32 v24, v66, v48 :: v_dual_fmac_f32 v119, v67, v49
	s_wait_loadcnt 0x0
	v_or_b32_e32 v49, v5, v7
	v_or_b32_e32 v48, v4, v6
	s_clause 0x1
	scratch_load_b64 v[4:5], off, s32 offset:400 th:TH_LOAD_LU
	scratch_load_b64 v[6:7], off, s32 offset:408 th:TH_LOAD_LU
	v_pk_mul_f32 v[48:49], v[44:45], v[48:49] op_sel_hi:[0,1]
	s_wait_dscnt 0x0
	s_delay_alu instid0(VALU_DEP_1)
	v_dual_fmac_f32 v24, v68, v48 :: v_dual_fmac_f32 v119, v69, v49
	s_wait_loadcnt 0x0
	v_or_b32_e32 v53, v5, v7
	v_or_b32_e32 v52, v4, v6
	s_clause 0x1
	scratch_load_b64 v[4:5], off, s32 offset:416 th:TH_LOAD_LU
	scratch_load_b64 v[6:7], off, s32 offset:424 th:TH_LOAD_LU
	v_pk_mul_f32 v[48:49], v[44:45], v[52:53] op_sel_hi:[0,1]
	s_delay_alu instid0(VALU_DEP_1)
	v_dual_fmac_f32 v24, v70, v48 :: v_dual_fmac_f32 v119, v71, v49
	s_wait_loadcnt 0x0
	v_or_b32_e32 v49, v5, v7
	v_or_b32_e32 v48, v4, v6
	s_clause 0x1
	scratch_load_b64 v[4:5], off, s32 offset:432 th:TH_LOAD_LU
	scratch_load_b64 v[6:7], off, s32 offset:440 th:TH_LOAD_LU
	ds_load_2addr_b64 v[64:67], v27 offset0:33 offset1:34
	ds_load_2addr_b64 v[68:71], v27 offset0:35 offset1:36
	v_pk_mul_f32 v[48:49], v[44:45], v[48:49] op_sel_hi:[0,1]
	s_wait_dscnt 0x1
	s_delay_alu instid0(VALU_DEP_1)
	v_dual_fmac_f32 v24, v64, v48 :: v_dual_fmac_f32 v119, v65, v49
	s_wait_loadcnt 0x0
	v_or_b32_e32 v53, v5, v7
	v_or_b32_e32 v52, v4, v6
	s_clause 0x1
	scratch_load_b64 v[4:5], off, s32 offset:480 th:TH_LOAD_LU
	scratch_load_b64 v[6:7], off, s32 offset:488 th:TH_LOAD_LU
	v_pk_mul_f32 v[48:49], v[44:45], v[52:53] op_sel_hi:[0,1]
	s_delay_alu instid0(VALU_DEP_1)
	v_dual_fmac_f32 v24, v66, v48 :: v_dual_fmac_f32 v119, v67, v49
	s_wait_loadcnt 0x0
	v_or_b32_e32 v37, v5, v7
	v_or_b32_e32 v36, v4, v6
	s_clause 0x1
	scratch_load_b64 v[4:5], off, s32 offset:448 th:TH_LOAD_LU
	scratch_load_b64 v[6:7], off, s32 offset:456 th:TH_LOAD_LU
	s_wait_loadcnt 0x0
	v_or_b32_e32 v49, v5, v7
	v_or_b32_e32 v48, v4, v6
	s_clause 0x1
	scratch_load_b64 v[4:5], off, s32 offset:464 th:TH_LOAD_LU
	scratch_load_b64 v[6:7], off, s32 offset:472 th:TH_LOAD_LU
	ds_load_2addr_b64 v[64:67], v27 offset0:37 offset1:38
	v_pk_mul_f32 v[48:49], v[44:45], v[48:49] op_sel_hi:[0,1]
	s_wait_dscnt 0x1
	s_delay_alu instid0(VALU_DEP_1)
	v_dual_fmac_f32 v24, v68, v48 :: v_dual_fmac_f32 v119, v69, v49
	v_pk_mul_f32 v[36:37], v[44:45], v[36:37] op_sel_hi:[0,1]
	s_wait_loadcnt 0x0
	v_or_b32_e32 v53, v5, v7
	v_or_b32_e32 v52, v4, v6
	s_clause 0x1
	scratch_load_b64 v[4:5], off, s32 offset:496 th:TH_LOAD_LU
	scratch_load_b64 v[6:7], off, s32 offset:504 th:TH_LOAD_LU
	v_pk_mul_f32 v[52:53], v[44:45], v[52:53] op_sel_hi:[0,1]
	s_delay_alu instid0(VALU_DEP_1)
	v_dual_fmac_f32 v24, v70, v52 :: v_dual_fmac_f32 v119, v71, v53
	ds_load_2addr_b64 v[68:71], v27 offset0:39 offset1:40
	s_clause 0x1
	scratch_load_b64 v[8:9], off, s32 offset:784 th:TH_LOAD_LU
	scratch_load_b64 v[98:99], off, s32 offset:792 th:TH_LOAD_LU
	s_wait_dscnt 0x1
	v_dual_fmac_f32 v24, v64, v36 :: v_dual_fmac_f32 v119, v65, v37
	s_wait_loadcnt 0x2
	v_or_b32_e32 v49, v5, v7
	v_or_b32_e32 v48, v4, v6
	s_clause 0x3
	scratch_load_b64 v[4:5], off, s32 offset:512 th:TH_LOAD_LU
	scratch_load_b64 v[6:7], off, s32 offset:520 th:TH_LOAD_LU
	;; [unrolled: 1-line block ×4, first 2 shown]
	v_pk_mul_f32 v[48:49], v[44:45], v[48:49] op_sel_hi:[0,1]
	s_delay_alu instid0(VALU_DEP_1)
	v_dual_fmac_f32 v24, v66, v48 :: v_dual_fmac_f32 v119, v67, v49
	ds_load_2addr_b64 v[64:67], v27 offset0:41 offset1:42
	s_clause 0x1
	scratch_load_b64 v[48:49], off, s32 offset:656 th:TH_LOAD_LU
	scratch_load_b64 v[86:87], off, s32 offset:664 th:TH_LOAD_LU
	s_wait_loadcnt 0x6
	v_or_b32_e32 v8, v8, v98
	s_wait_loadcnt 0x4
	v_or_b32_e32 v53, v5, v7
	v_or_b32_e32 v52, v4, v6
	s_clause 0x3
	scratch_load_b64 v[4:5], off, s32 offset:528 th:TH_LOAD_LU
	scratch_load_b64 v[6:7], off, s32 offset:536 th:TH_LOAD_LU
	;; [unrolled: 1-line block ×4, first 2 shown]
	s_wait_loadcnt 0x6
	v_or_b32_e32 v36, v36, v96
	v_pk_mul_f32 v[52:53], v[44:45], v[52:53] op_sel_hi:[0,1]
	s_wait_dscnt 0x1
	s_delay_alu instid0(VALU_DEP_1) | instskip(SKIP_1) | instid1(VALU_DEP_2)
	v_dual_fmac_f32 v24, v68, v52 :: v_dual_bitop2_b32 v33, v39, v33 bitop3:0x54
	s_wait_loadcnt 0x4
	v_dual_fmac_f32 v119, v69, v53 :: v_dual_bitop2_b32 v48, v48, v86 bitop3:0x54
	s_wait_loadcnt 0x2
	v_or_b32_e32 v81, v5, v7
	v_or_b32_e32 v80, v4, v6
	s_clause 0x1
	scratch_load_b64 v[4:5], off, s32 offset:544 th:TH_LOAD_LU
	scratch_load_b64 v[6:7], off, s32 offset:552 th:TH_LOAD_LU
	s_wait_loadcnt 0x2
	v_or_b32_e32 v20, v10, v18
	v_pk_mul_f32 v[84:85], v[44:45], v[80:81] op_sel_hi:[0,1]
	ds_load_2addr_b64 v[80:83], v27 offset0:43 offset1:44
	v_or_b32_e32 v21, v11, v19
	s_clause 0x1
	scratch_load_b64 v[18:19], off, s32 offset:592 th:TH_LOAD_LU
	scratch_load_b64 v[54:55], off, s32 offset:600 th:TH_LOAD_LU
	v_dual_fmac_f32 v24, v70, v84 :: v_dual_bitop2_b32 v13, v31, v13 bitop3:0x54
	v_dual_fmac_f32 v119, v71, v85 :: v_dual_bitop2_b32 v9, v9, v99 bitop3:0x54
	v_pk_mul_f32 v[68:69], v[44:45], v[20:21] op_sel_hi:[0,1]
	s_delay_alu instid0(VALU_DEP_2) | instskip(SKIP_3) | instid1(VALU_DEP_1)
	v_pk_mul_f32 v[8:9], v[44:45], v[8:9] op_sel_hi:[0,1]
	s_wait_loadcnt 0x0
	v_or_b32_e32 v19, v19, v55
	v_or_b32_e32 v18, v18, v54
	v_pk_mul_f32 v[18:19], v[44:45], v[18:19] op_sel_hi:[0,1]
	v_or_b32_e32 v7, v5, v7
	v_or_b32_e32 v6, v4, v6
	s_clause 0x1
	scratch_load_b64 v[4:5], off, s32 offset:576 th:TH_LOAD_LU
	scratch_load_b64 v[10:11], off, s32 offset:584 th:TH_LOAD_LU
	ds_load_2addr_b64 v[20:23], v27 offset0:45 offset1:46
	v_pk_mul_f32 v[6:7], v[44:45], v[6:7] op_sel_hi:[0,1]
	s_wait_dscnt 0x2
	s_delay_alu instid0(VALU_DEP_1) | instskip(SKIP_1) | instid1(VALU_DEP_2)
	v_dual_fmac_f32 v24, v64, v6 :: v_dual_fmac_f32 v119, v65, v7
	v_or_b32_e32 v49, v49, v87
	v_dual_fmac_f32 v24, v66, v68 :: v_dual_bitop2_b32 v37, v37, v97 bitop3:0x54
	s_delay_alu instid0(VALU_DEP_3) | instskip(NEXT) | instid1(VALU_DEP_3)
	v_fmac_f32_e32 v119, v67, v69
	v_pk_mul_f32 v[48:49], v[44:45], v[48:49] op_sel_hi:[0,1]
	s_delay_alu instid0(VALU_DEP_3)
	v_pk_mul_f32 v[36:37], v[44:45], v[36:37] op_sel_hi:[0,1]
	s_wait_loadcnt 0x0
	v_or_b32_e32 v53, v5, v11
	v_or_b32_e32 v52, v4, v10
	s_clause 0x1
	scratch_load_b64 v[4:5], off, s32 offset:608 th:TH_LOAD_LU
	scratch_load_b64 v[6:7], off, s32 offset:616 th:TH_LOAD_LU
	ds_load_2addr_b64 v[64:67], v27 offset0:47 offset1:48
	v_pk_mul_f32 v[52:53], v[44:45], v[52:53] op_sel_hi:[0,1]
	s_wait_dscnt 0x2
	s_delay_alu instid0(VALU_DEP_1) | instskip(NEXT) | instid1(VALU_DEP_1)
	v_dual_fmac_f32 v24, v80, v52 :: v_dual_fmac_f32 v119, v81, v53
	v_dual_fmac_f32 v24, v82, v18 :: v_dual_fmac_f32 v119, v83, v19
	s_wait_loadcnt 0x0
	v_or_b32_e32 v7, v5, v7
	v_or_b32_e32 v6, v4, v6
	s_clause 0x1
	scratch_load_b64 v[4:5], off, s32 offset:624 th:TH_LOAD_LU
	scratch_load_b64 v[10:11], off, s32 offset:632 th:TH_LOAD_LU
	v_pk_mul_f32 v[6:7], v[44:45], v[6:7] op_sel_hi:[0,1]
	s_wait_dscnt 0x1
	s_delay_alu instid0(VALU_DEP_1)
	v_dual_fmac_f32 v24, v20, v6 :: v_dual_fmac_f32 v119, v21, v7
	s_wait_loadcnt 0x0
	v_or_b32_e32 v69, v5, v11
	v_or_b32_e32 v68, v4, v10
	s_clause 0x1
	scratch_load_b64 v[4:5], off, s32 offset:640 th:TH_LOAD_LU
	scratch_load_b64 v[10:11], off, s32 offset:648 th:TH_LOAD_LU
	v_pk_mul_f32 v[80:81], v[44:45], v[68:69] op_sel_hi:[0,1]
	ds_load_2addr_b64 v[68:71], v27 offset0:49 offset1:50
	v_dual_fmac_f32 v24, v22, v80 :: v_dual_fmac_f32 v119, v23, v81
	s_wait_loadcnt 0x0
	v_or_b32_e32 v53, v5, v11
	v_or_b32_e32 v52, v4, v10
	s_clause 0x1
	scratch_load_b64 v[4:5], off, s32 offset:672 th:TH_LOAD_LU
	scratch_load_b64 v[6:7], off, s32 offset:680 th:TH_LOAD_LU
	ds_load_2addr_b64 v[18:21], v27 offset0:51 offset1:52
	v_pk_mul_f32 v[52:53], v[44:45], v[52:53] op_sel_hi:[0,1]
	s_wait_dscnt 0x2
	s_delay_alu instid0(VALU_DEP_1) | instskip(NEXT) | instid1(VALU_DEP_1)
	v_dual_fmac_f32 v24, v64, v52 :: v_dual_fmac_f32 v119, v65, v53
	v_dual_fmac_f32 v24, v66, v48 :: v_dual_fmac_f32 v119, v67, v49
	s_wait_loadcnt 0x0
	v_or_b32_e32 v7, v5, v7
	v_or_b32_e32 v6, v4, v6
	s_clause 0x1
	scratch_load_b64 v[4:5], off, s32 offset:688 th:TH_LOAD_LU
	scratch_load_b64 v[10:11], off, s32 offset:696 th:TH_LOAD_LU
	v_pk_mul_f32 v[6:7], v[44:45], v[6:7] op_sel_hi:[0,1]
	s_wait_dscnt 0x1
	s_delay_alu instid0(VALU_DEP_1)
	v_dual_fmac_f32 v24, v68, v6 :: v_dual_fmac_f32 v119, v69, v7
	s_wait_loadcnt 0x0
	v_or_b32_e32 v23, v5, v11
	v_or_b32_e32 v22, v4, v10
	s_clause 0x1
	scratch_load_b64 v[4:5], off, s32 offset:704 th:TH_LOAD_LU
	scratch_load_b64 v[10:11], off, s32 offset:712 th:TH_LOAD_LU
	ds_load_2addr_b64 v[64:67], v27 offset0:53 offset1:54
	v_pk_mul_f32 v[22:23], v[44:45], v[22:23] op_sel_hi:[0,1]
	s_delay_alu instid0(VALU_DEP_1)
	v_dual_fmac_f32 v24, v70, v22 :: v_dual_fmac_f32 v119, v71, v23
	s_wait_loadcnt 0x0
	v_or_b32_e32 v53, v5, v11
	v_or_b32_e32 v52, v4, v10
	s_clause 0x1
	scratch_load_b64 v[4:5], off, s32 offset:736 th:TH_LOAD_LU
	scratch_load_b64 v[6:7], off, s32 offset:744 th:TH_LOAD_LU
	ds_load_2addr_b64 v[68:71], v27 offset0:55 offset1:56
	v_pk_mul_f32 v[48:49], v[44:45], v[52:53] op_sel_hi:[0,1]
	s_wait_dscnt 0x2
	s_delay_alu instid0(VALU_DEP_1) | instskip(NEXT) | instid1(VALU_DEP_1)
	v_dual_fmac_f32 v24, v18, v48 :: v_dual_fmac_f32 v119, v19, v49
	v_dual_fmac_f32 v24, v20, v36 :: v_dual_fmac_f32 v119, v21, v37
	s_wait_loadcnt 0x0
	v_or_b32_e32 v7, v5, v7
	v_or_b32_e32 v6, v4, v6
	s_clause 0x1
	scratch_load_b64 v[4:5], off, s32 offset:752 th:TH_LOAD_LU
	scratch_load_b64 v[10:11], off, s32 offset:760 th:TH_LOAD_LU
	v_pk_mul_f32 v[6:7], v[44:45], v[6:7] op_sel_hi:[0,1]
	s_wait_dscnt 0x1
	s_delay_alu instid0(VALU_DEP_1)
	v_dual_fmac_f32 v24, v64, v6 :: v_dual_fmac_f32 v119, v65, v7
	s_wait_loadcnt 0x0
	v_or_b32_e32 v23, v5, v11
	v_or_b32_e32 v22, v4, v10
	s_clause 0x1
	scratch_load_b64 v[4:5], off, s32 offset:768 th:TH_LOAD_LU
	scratch_load_b64 v[10:11], off, s32 offset:776 th:TH_LOAD_LU
	ds_load_2addr_b64 v[18:21], v27 offset0:57 offset1:58
	v_pk_mul_f32 v[22:23], v[44:45], v[22:23] op_sel_hi:[0,1]
	s_delay_alu instid0(VALU_DEP_1)
	v_dual_fmac_f32 v24, v66, v22 :: v_dual_fmac_f32 v119, v67, v23
	s_wait_loadcnt 0x0
	v_or_b32_e32 v11, v5, v11
	v_or_b32_e32 v10, v4, v10
	scratch_load_b64 v[4:5], off, s32 offset:800 th:TH_LOAD_LU ; 8-byte Folded Reload
	v_pk_mul_f32 v[10:11], v[44:45], v[10:11] op_sel_hi:[0,1]
	s_wait_dscnt 0x1
	s_delay_alu instid0(VALU_DEP_1) | instskip(NEXT) | instid1(VALU_DEP_1)
	v_dual_fmac_f32 v24, v68, v10 :: v_dual_fmac_f32 v119, v69, v11
	v_dual_fmac_f32 v24, v70, v8 :: v_dual_fmac_f32 v119, v71, v9
	s_wait_loadcnt 0x0
	v_or_b32_e32 v17, v17, v5
	v_or_b32_e32 v16, v16, v4
	ds_load_2addr_b64 v[4:7], v27 offset0:59 offset1:60
	v_or_b32_e32 v0, v0, v114
	v_pk_mul_f32 v[10:11], v[44:45], v[16:17] op_sel_hi:[0,1]
	s_wait_dscnt 0x1
	s_delay_alu instid0(VALU_DEP_1) | instskip(NEXT) | instid1(VALU_DEP_2)
	v_dual_fmac_f32 v24, v18, v10 :: v_dual_bitop2_b32 v1, v1, v115 bitop3:0x54
	v_fmac_f32_e32 v119, v19, v11
	s_delay_alu instid0(VALU_DEP_2) | instskip(NEXT) | instid1(VALU_DEP_1)
	v_pk_mul_f32 v[8:9], v[44:45], v[0:1] op_sel_hi:[0,1]
	v_dual_fmac_f32 v24, v20, v8 :: v_dual_bitop2_b32 v15, v15, v3 bitop3:0x54
	s_delay_alu instid0(VALU_DEP_2)
	v_fmac_f32_e32 v119, v21, v9
	v_pk_mul_f32 v[8:9], v[44:45], v[12:13] op_sel_hi:[0,1]
	v_or_b32_e32 v14, v14, v2
	ds_load_2addr_b64 v[0:3], v27 offset0:61 offset1:62
	ds_load_b64 v[12:13], v27 offset:504
	v_or_b32_e32 v32, v38, v32
	v_pk_mul_f32 v[10:11], v[44:45], v[14:15] op_sel_hi:[0,1]
	s_wait_dscnt 0x2
	s_delay_alu instid0(VALU_DEP_1) | instskip(NEXT) | instid1(VALU_DEP_1)
	v_dual_fmac_f32 v24, v4, v10 :: v_dual_fmac_f32 v119, v5, v11
	v_dual_fmac_f32 v24, v6, v8 :: v_dual_bitop2_b32 v15, v35, v29 bitop3:0x54
	s_delay_alu instid0(VALU_DEP_2) | instskip(SKIP_2) | instid1(VALU_DEP_1)
	v_fmac_f32_e32 v119, v7, v9
	v_pk_mul_f32 v[6:7], v[44:45], v[32:33] op_sel_hi:[0,1]
	v_or_b32_e32 v14, v34, v28
	v_pk_mul_f32 v[4:5], v[44:45], v[14:15] op_sel_hi:[0,1]
	s_wait_dscnt 0x1
	s_delay_alu instid0(VALU_DEP_1) | instskip(SKIP_1) | instid1(VALU_DEP_2)
	v_dual_fmac_f32 v24, v0, v4 :: v_dual_fmac_f32 v119, v1, v5
	v_mbcnt_lo_u32_b32 v5, -1, 0
	v_dual_fmac_f32 v24, v2, v6 :: v_dual_bitop2_b32 v9, v77, v51 bitop3:0x54
	s_delay_alu instid0(VALU_DEP_2) | instskip(NEXT) | instid1(VALU_DEP_1)
	v_dual_fmac_f32 v119, v3, v7 :: v_dual_bitop2_b32 v4, 1, v5 bitop3:0x14
	v_cmp_gt_i32_e64 s2, 32, v4
	s_delay_alu instid0(VALU_DEP_1) | instskip(NEXT) | instid1(VALU_DEP_1)
	v_dual_cndmask_b32 v2, v5, v4, s2 :: v_dual_bitop2_b32 v8, v76, v50 bitop3:0x54
	v_pk_mul_f32 v[0:1], v[44:45], v[8:9] op_sel_hi:[0,1]
	s_wait_dscnt 0x0
	s_delay_alu instid0(VALU_DEP_1) | instskip(NEXT) | instid1(VALU_DEP_1)
	v_dual_fmac_f32 v24, v12, v0 :: v_dual_fmac_f32 v119, v13, v1
	v_dual_add_f32 v0, v24, v119 :: v_dual_lshlrev_b32 v1, 2, v2
	ds_bpermute_b32 v1, v1, v0
	s_wait_xcnt 0x0
	s_and_saveexec_b32 s18, vcc_lo
	s_cbranch_execz .LBB189_10
; %bb.1042:                             ;   in Loop: Header=BB189_12 Depth=1
	s_clause 0x1
	scratch_load_b32 v2, off, s32 offset:1056
	scratch_load_b32 v3, off, s32 offset:1044
	s_load_b32 s19, s[10:11], 0x0
	s_wait_loadcnt_dscnt 0x100
	v_dual_add_f32 v0, v0, v1 :: v_dual_add_nc_u32 v2, v2, v118
	s_delay_alu instid0(VALU_DEP_1) | instskip(SKIP_1) | instid1(VALU_DEP_1)
	v_cvt_f32_i32_e32 v2, v2
	s_wait_loadcnt 0x0
	v_mul_f32_e32 v2, v3, v2
	scratch_load_b32 v3, off, s32 offset:1048 ; 4-byte Folded Reload
	v_cndmask_b32_e64 v1, 0, v2, s1
	scratch_load_b32 v2, off, s32 offset:1052 ; 4-byte Folded Reload
	s_wait_loadcnt 0x1
	v_fmac_f32_e32 v1, v3, v0
	scratch_load_b32 v3, off, s32 offset:1032 ; 4-byte Folded Reload
	s_wait_loadcnt 0x0
	v_dual_max_num_f32 v0, v3, v3 :: v_dual_add_nc_u32 v2, v2, v118
	s_delay_alu instid0(VALU_DEP_1) | instskip(NEXT) | instid1(VALU_DEP_2)
	v_max_num_f32_e32 v0, v0, v1
	v_cmp_lt_i32_e64 s2, v2, v100
	s_wait_kmcnt 0x0
	s_delay_alu instid0(VALU_DEP_1) | instskip(NEXT) | instid1(VALU_DEP_3)
	v_dual_add_nc_u32 v2, s19, v26 :: v_dual_cndmask_b32 v1, 0, v1, s2
	v_cndmask_b32_e64 v3, v3, v0, s2
	ds_store_b32 v2, v1
	scratch_store_b32 off, v3, s32 offset:1032 ; 4-byte Folded Spill
	s_branch .LBB189_10
.LBB189_1043:
	s_or_b32 exec_lo, exec_lo, s17
	s_clause 0x8
	scratch_load_b64 v[114:115], off, s32 offset:1060
	scratch_load_b32 v45, off, s32 offset:1068
	scratch_load_b32 v26, off, s32 offset:1104
	scratch_load_b64 v[34:35], off, s32 offset:1108
	scratch_load_b32 v29, off, s32 offset:1116
	scratch_load_b32 v28, off, s32 offset:1120
	;; [unrolled: 3-line block ×3, first 2 shown]
.LBB189_1044:
	s_wait_xcnt 0x0
	s_or_b32 exec_lo, exec_lo, s16
	v_mbcnt_lo_u32_b32 v6, -1, 0
	s_wait_loadcnt 0x0
	v_dual_max_num_f32 v3, v7, v7 :: v_dual_bitop2_b32 v115, 31, v114 bitop3:0x40
	s_delay_alu instid0(VALU_DEP_2) | instskip(SKIP_1) | instid1(VALU_DEP_2)
	v_xor_b32_e32 v0, 16, v6
	v_xor_b32_e32 v2, 8, v6
	v_cmp_gt_i32_e32 vcc_lo, 32, v0
	v_cndmask_b32_e32 v0, v6, v0, vcc_lo
	s_delay_alu instid0(VALU_DEP_3) | instskip(NEXT) | instid1(VALU_DEP_2)
	v_cmp_gt_i32_e32 vcc_lo, 32, v2
	v_dual_lshlrev_b32 v0, 2, v0 :: v_dual_cndmask_b32 v2, v6, v2, vcc_lo
	s_wait_dscnt 0x0
	ds_bpermute_b32 v1, v0, v7
	s_wait_dscnt 0x0
	v_dual_max_num_f32 v4, v1, v1 :: v_dual_lshlrev_b32 v1, 2, v2
	s_delay_alu instid0(VALU_DEP_1) | instskip(SKIP_4) | instid1(VALU_DEP_1)
	v_dual_max_num_f32 v2, v3, v4 :: v_dual_bitop2_b32 v4, 4, v6 bitop3:0x14
	ds_bpermute_b32 v3, v1, v2
	v_cmp_gt_i32_e32 vcc_lo, 32, v4
	s_wait_dscnt 0x0
	v_dual_cndmask_b32 v4, v6, v4 :: v_dual_max_num_f32 v5, v3, v3
	v_dual_max_num_f32 v2, v2, v5 :: v_dual_lshlrev_b32 v3, 2, v4
	ds_bpermute_b32 v4, v3, v2
	s_wait_dscnt 0x0
	v_dual_max_num_f32 v4, v4, v4 :: v_dual_bitop2_b32 v5, 2, v6 bitop3:0x14
	s_delay_alu instid0(VALU_DEP_1) | instskip(SKIP_1) | instid1(VALU_DEP_3)
	v_cmp_gt_i32_e32 vcc_lo, 32, v5
	v_cndmask_b32_e32 v5, v6, v5, vcc_lo
	v_dual_max_num_f32 v2, v2, v4 :: v_dual_lshlrev_b32 v4, 2, v45
	v_cmp_eq_u32_e32 vcc_lo, 0, v115
	s_delay_alu instid0(VALU_DEP_3)
	v_lshlrev_b32_e32 v68, 2, v5
	ds_bpermute_b32 v5, v68, v2
	s_and_saveexec_b32 s1, vcc_lo
	s_cbranch_execz .LBB189_1046
; %bb.1045:
	s_wait_dscnt 0x0
	v_dual_max_num_f32 v5, v5, v5 :: v_dual_max_num_f32 v2, v2, v2
	s_delay_alu instid0(VALU_DEP_1)
	v_max_num_f32_e32 v2, v2, v5
	ds_store_b32 v4, v2 offset:1024
.LBB189_1046:
	s_or_b32 exec_lo, exec_lo, s1
	v_cmp_gt_u32_e64 s1, 4, v115
	s_wait_dscnt 0x0
	v_dual_mov_b32 v2, 0xff7fffff :: v_dual_lshlrev_b32 v5, 2, v115
	s_wait_storecnt 0x0
	s_barrier_signal -1
	s_barrier_wait -1
	s_and_saveexec_b32 s2, s1
; %bb.1047:
	ds_load_b32 v2, v5 offset:1024
; %bb.1048:
	s_or_b32 exec_lo, exec_lo, s2
	s_wait_dscnt 0x0
	ds_bpermute_b32 v6, v68, v2
	v_mbcnt_lo_u32_b32 v8, -1, 0
	s_delay_alu instid0(VALU_DEP_1) | instskip(NEXT) | instid1(VALU_DEP_1)
	v_dual_max_num_f32 v2, v2, v2 :: v_dual_bitop2_b32 v7, 1, v8 bitop3:0x14
	v_cmp_gt_i32_e64 s2, 32, v7
	s_wait_dscnt 0x0
	s_delay_alu instid0(VALU_DEP_1) | instskip(NEXT) | instid1(VALU_DEP_1)
	v_dual_cndmask_b32 v7, v8, v7, s2 :: v_dual_max_num_f32 v6, v6, v6
	v_dual_lshlrev_b32 v116, 2, v7 :: v_dual_max_num_f32 v2, v2, v6
	ds_bpermute_b32 v6, v116, v2
	s_wait_dscnt 0x0
	v_max_num_f32_e32 v6, v6, v6
	s_delay_alu instid0(VALU_DEP_1) | instskip(SKIP_4) | instid1(VALU_DEP_1)
	v_dual_max_num_f32 v2, v2, v6 :: v_dual_mov_b32 v6, 0
	ds_bpermute_b32 v7, v6, v2
	scratch_load_b32 v2, off, s32 offset:192 ; 4-byte Folded Reload
	s_wait_loadcnt 0x0
	v_lshlrev_b32_e32 v2, 4, v2
	v_min_i32_e32 v2, v2, v100
	s_delay_alu instid0(VALU_DEP_1)
	v_cmp_lt_i32_e64 s2, v114, v2
	s_and_saveexec_b32 s10, s2
	s_cbranch_execz .LBB189_1052
; %bb.1049:
	s_wait_kmcnt 0x0
	s_ashr_i32 s7, s6, 31
	v_dual_mov_b32 v6, 0 :: v_dual_mov_b32 v9, v114
	s_lshl_b64 s[16:17], s[6:7], 2
	s_mov_b32 s7, 0
	s_add_nc_u64 s[16:17], s[8:9], s[16:17]
	s_load_b32 s3, s[16:17], 0x0
	s_wait_kmcnt 0x0
	v_lshl_add_u32 v8, v114, 2, s3
.LBB189_1050:                           ; =>This Inner Loop Header: Depth=1
	ds_load_b32 v10, v8
	v_add_nc_u32_e32 v9, 0x80, v9
	s_delay_alu instid0(VALU_DEP_1) | instskip(SKIP_3) | instid1(VALU_DEP_1)
	v_cmp_ge_i32_e64 s3, v9, v2
	s_or_b32 s7, s3, s7
	s_wait_dscnt 0x0
	v_sub_f32_e32 v10, v10, v7
	v_mul_f32_e32 v10, 0x3fb8aa3b, v10
	s_delay_alu instid0(VALU_DEP_1)
	v_exp_f32_e32 v10, v10
	ds_store_b32 v8, v10
	v_nop
	v_add_f32_e32 v6, v6, v10
	v_add_nc_u32_e32 v8, 0x200, v8
	s_and_not1_b32 exec_lo, exec_lo, s7
	s_cbranch_execnz .LBB189_1050
; %bb.1051:
	s_or_b32 exec_lo, exec_lo, s7
.LBB189_1052:
	s_delay_alu instid0(SALU_CYCLE_1)
	s_or_b32 exec_lo, exec_lo, s10
	ds_bpermute_b32 v0, v0, v6
	s_wait_dscnt 0x0
	v_add_f32_e32 v0, v6, v0
	ds_bpermute_b32 v1, v1, v0
	s_wait_dscnt 0x0
	v_add_f32_e32 v0, v0, v1
	;; [unrolled: 3-line block ×5, first 2 shown]
	s_and_saveexec_b32 s3, vcc_lo
; %bb.1053:
	ds_store_b32 v4, v0 offset:1040
; %bb.1054:
	s_or_b32 exec_lo, exec_lo, s3
	s_wait_dscnt 0x0
	s_barrier_signal -1
	s_barrier_wait -1
	s_and_saveexec_b32 s3, s1
; %bb.1055:
	ds_load_b32 v0, v5 offset:1040
; %bb.1056:
	s_or_b32 exec_lo, exec_lo, s3
	s_wait_dscnt 0x0
	ds_bpermute_b32 v1, v68, v0
	s_wait_dscnt 0x0
	v_add_f32_e32 v0, v0, v1
	ds_bpermute_b32 v1, v116, v0
	s_wait_dscnt 0x0
	v_dual_add_f32 v0, v0, v1 :: v_dual_mov_b32 v1, 0
	ds_bpermute_b32 v0, v1, v0
	s_and_saveexec_b32 s1, s2
	s_cbranch_execz .LBB189_1069
; %bb.1057:
	s_wait_dscnt 0x0
	v_add_f32_e32 v0, 0x358637bd, v0
	s_mov_b32 s3, -1
	s_mov_b32 s2, exec_lo
	s_delay_alu instid0(VALU_DEP_1) | instskip(SKIP_1) | instid1(VALU_DEP_2)
	v_div_scale_f32 v1, null, v0, v0, 1.0
	v_div_scale_f32 v5, vcc_lo, 1.0, v0, 1.0
	v_rcp_f32_e32 v4, v1
	v_nop
	s_delay_alu instid0(TRANS32_DEP_1) | instskip(NEXT) | instid1(VALU_DEP_1)
	v_fma_f32 v3, -v1, v4, 1.0
	v_fmac_f32_e32 v4, v3, v4
	s_delay_alu instid0(VALU_DEP_1) | instskip(NEXT) | instid1(VALU_DEP_1)
	v_mul_f32_e32 v6, v5, v4
	v_fma_f32 v3, -v1, v6, v5
	s_delay_alu instid0(VALU_DEP_1) | instskip(SKIP_1) | instid1(VALU_DEP_2)
	v_fmac_f32_e32 v6, v3, v4
	v_xad_u32 v3, v114, -1, v2
	v_fma_f32 v1, -v1, v6, v5
	s_delay_alu instid0(VALU_DEP_1) | instskip(NEXT) | instid1(VALU_DEP_1)
	v_div_fmas_f32 v1, v1, v4, v6
	v_div_fixup_f32 v0, v1, v0, 1.0
	v_mov_b32_e32 v1, v114
	v_cmpx_lt_u32_e32 0x7f, v3
	s_cbranch_execz .LBB189_1066
; %bb.1058:
	s_delay_alu instid0(VALU_DEP_3) | instskip(NEXT) | instid1(VALU_DEP_1)
	v_dual_lshrrev_b32 v3, 7, v3 :: v_dual_mov_b32 v1, v0
	v_dual_mov_b32 v7, 0 :: v_dual_add_nc_u32 v4, -1, v3
	s_delay_alu instid0(VALU_DEP_1) | instskip(SKIP_1) | instid1(VALU_DEP_2)
	v_lshrrev_b32_e32 v5, 1, v4
	v_cmp_lt_u32_e32 vcc_lo, 13, v4
	v_add_nc_u32_e32 v4, 1, v5
	s_and_saveexec_b32 s3, vcc_lo
	s_cbranch_execz .LBB189_1062
; %bb.1059:
	s_wait_kmcnt 0x0
	s_ashr_i32 s7, s6, 31
	v_and_b32_e32 v5, -8, v4
	s_lshl_b64 s[10:11], s[6:7], 2
	s_delay_alu instid0(SALU_CYCLE_1)
	s_add_nc_u64 s[10:11], s[8:9], s[10:11]
	s_load_b32 s7, s[10:11], 0x0
	s_wait_xcnt 0x0
	s_mov_b32 s10, 0
	s_wait_kmcnt 0x0
	v_lshl_add_u32 v6, v114, 2, s7
	s_mov_b32 s7, 0
.LBB189_1060:                           ; =>This Inner Loop Header: Depth=1
	ds_load_2addr_stride64_b32 v[8:9], v6 offset1:2
	ds_load_2addr_stride64_b32 v[10:11], v6 offset0:4 offset1:6
	ds_load_2addr_stride64_b32 v[12:13], v6 offset0:8 offset1:10
	;; [unrolled: 1-line block ×7, first 2 shown]
	s_add_co_i32 s10, s10, 16
	s_delay_alu instid0(SALU_CYCLE_1) | instskip(NEXT) | instid1(VALU_DEP_1)
	v_dual_add_nc_u32 v5, -8, v5 :: v_dual_mov_b32 v7, s10
	v_cmp_eq_u32_e32 vcc_lo, 0, v5
	s_or_b32 s7, vcc_lo, s7
	s_wait_dscnt 0x7
	v_pk_mul_f32 v[8:9], v[0:1], v[8:9]
	s_wait_dscnt 0x6
	v_pk_mul_f32 v[10:11], v[0:1], v[10:11]
	s_wait_dscnt 0x5
	v_pk_mul_f32 v[12:13], v[0:1], v[12:13]
	s_wait_dscnt 0x4
	v_pk_mul_f32 v[14:15], v[0:1], v[14:15]
	s_wait_dscnt 0x3
	v_pk_mul_f32 v[16:17], v[0:1], v[16:17]
	s_wait_dscnt 0x2
	v_pk_mul_f32 v[18:19], v[0:1], v[18:19]
	s_wait_dscnt 0x1
	v_pk_mul_f32 v[20:21], v[0:1], v[20:21]
	s_wait_dscnt 0x0
	v_pk_mul_f32 v[22:23], v[0:1], v[22:23]
	ds_store_2addr_stride64_b32 v6, v8, v9 offset1:2
	ds_store_2addr_stride64_b32 v6, v10, v11 offset0:4 offset1:6
	ds_store_2addr_stride64_b32 v6, v12, v13 offset0:8 offset1:10
	;; [unrolled: 1-line block ×7, first 2 shown]
	v_add_nc_u32_e32 v6, 0x2000, v6
	s_and_not1_b32 exec_lo, exec_lo, s7
	s_cbranch_execnz .LBB189_1060
; %bb.1061:
	s_or_b32 exec_lo, exec_lo, s7
.LBB189_1062:
	s_delay_alu instid0(SALU_CYCLE_1) | instskip(NEXT) | instid1(VALU_DEP_1)
	s_or_b32 exec_lo, exec_lo, s3
	v_and_b32_e32 v4, 7, v4
	s_mov_b32 s10, 0
	s_mov_b32 s3, exec_lo
	s_delay_alu instid0(VALU_DEP_1)
	v_cmpx_ne_u32_e32 0, v4
	s_cbranch_execz .LBB189_1065
; %bb.1063:
	s_wait_kmcnt 0x0
	s_ashr_i32 s7, s6, 31
	v_lshlrev_b32_e32 v5, 9, v7
	s_lshl_b64 s[16:17], s[6:7], 2
	s_delay_alu instid0(SALU_CYCLE_1)
	s_add_nc_u64 s[16:17], s[8:9], s[16:17]
	s_load_b32 s7, s[16:17], 0x0
	s_wait_kmcnt 0x0
	v_add3_u32 v5, v5, v29, s7
.LBB189_1064:                           ; =>This Inner Loop Header: Depth=1
	ds_load_2addr_stride64_b32 v[6:7], v5 offset1:2
	v_add_nc_u32_e32 v4, -1, v4
	s_delay_alu instid0(VALU_DEP_1)
	v_cmp_eq_u32_e32 vcc_lo, 0, v4
	s_or_b32 s10, vcc_lo, s10
	s_wait_dscnt 0x0
	v_pk_mul_f32 v[6:7], v[0:1], v[6:7]
	ds_store_2addr_stride64_b32 v5, v6, v7 offset1:2
	v_add_nc_u32_e32 v5, 0x400, v5
	s_and_not1_b32 exec_lo, exec_lo, s10
	s_cbranch_execnz .LBB189_1064
.LBB189_1065:
	s_or_b32 exec_lo, exec_lo, s3
	v_add_nc_u32_e32 v1, 1, v3
	s_delay_alu instid0(VALU_DEP_1) | instskip(NEXT) | instid1(VALU_DEP_1)
	v_and_b32_e32 v3, 0x3fffffe, v1
	v_cmp_ne_u32_e32 vcc_lo, v1, v3
	v_lshl_add_u32 v1, v3, 7, v114
	s_or_not1_b32 s3, vcc_lo, exec_lo
.LBB189_1066:
	s_or_b32 exec_lo, exec_lo, s2
	s_delay_alu instid0(SALU_CYCLE_1)
	s_and_b32 exec_lo, exec_lo, s3
	s_cbranch_execz .LBB189_1069
; %bb.1067:
	s_wait_kmcnt 0x0
	s_ashr_i32 s7, s6, 31
	s_delay_alu instid0(SALU_CYCLE_1) | instskip(NEXT) | instid1(SALU_CYCLE_1)
	s_lshl_b64 s[2:3], s[6:7], 2
	s_add_nc_u64 s[2:3], s[8:9], s[2:3]
	s_load_b32 s2, s[2:3], 0x0
	s_wait_kmcnt 0x0
	v_lshl_add_u32 v3, v1, 2, s2
	s_mov_b32 s2, 0
.LBB189_1068:                           ; =>This Inner Loop Header: Depth=1
	ds_load_b32 v4, v3
	s_wait_dscnt 0x0
	v_dual_mul_f32 v4, v0, v4 :: v_dual_add_nc_u32 v1, 0x80, v1
	s_delay_alu instid0(VALU_DEP_1) | instskip(SKIP_3) | instid1(SALU_CYCLE_1)
	v_cmp_ge_i32_e32 vcc_lo, v1, v2
	ds_store_b32 v3, v4
	v_add_nc_u32_e32 v3, 0x200, v3
	s_or_b32 s2, vcc_lo, s2
	s_and_not1_b32 exec_lo, exec_lo, s2
	s_cbranch_execnz .LBB189_1068
.LBB189_1069:
	s_or_b32 exec_lo, exec_lo, s1
	s_wait_dscnt 0x0
	s_barrier_signal -1
	s_barrier_wait -1
	s_and_saveexec_b32 s1, s0
	s_delay_alu instid0(SALU_CYCLE_1)
	s_xor_b32 s0, exec_lo, s1
	s_cbranch_execz .LBB189_1071
; %bb.1070:
                                        ; implicit-def: $vgpr0
                                        ; kill: killed $vgpr0
	s_wait_kmcnt 0x0
	s_ashr_i32 s7, s6, 31
                                        ; implicit-def: $vgpr0
                                        ; kill: killed $vgpr0
                                        ; implicit-def: $vgpr100
                                        ; implicit-def: $vgpr101
                                        ; implicit-def: $vgpr28
                                        ; implicit-def: $vgpr29
                                        ; implicit-def: $vgpr0
                                        ; kill: killed $vgpr0
                                        ; implicit-def: $vgpr0
	s_clause 0x1
	scratch_store_b64 off, v[0:1], s32 offset:808
	; meta instruction
	; meta instruction
	;; [unrolled: 1-line block ×15, first 2 shown]
	scratch_store_b64 off, v[0:1], s32 offset:196
.LBB189_1071:
	s_wait_xcnt 0x0
	s_or_saveexec_b32 s1, s0
	s_wait_kmcnt 0x0
	v_mov_b64_e32 v[0:1], s[6:7]
	v_dual_mov_b32 v119, 0 :: v_dual_bitop2_b32 v117, 3, v114 bitop3:0x40
	v_dual_mov_b32 v118, 0 :: v_dual_mov_b32 v103, 0
	v_dual_mov_b32 v102, 0 :: v_dual_mov_b32 v99, 0
	;; [unrolled: 1-line block ×15, first 2 shown]
	v_mov_b32_e32 v10, 0
	s_xor_b32 exec_lo, exec_lo, s1
	s_cbranch_execz .LBB189_2165
; %bb.1072:
	v_dual_mov_b32 v6, 0 :: v_dual_mov_b32 v7, 0
	s_clause 0x2
	scratch_store_b32 off, v116, s32 offset:520
	scratch_store_b32 off, v68, s32 offset:512
	;; [unrolled: 1-line block ×3, first 2 shown]
	v_dual_mov_b32 v43, 0 :: v_dual_max_i32 v44, v26, v24
	v_and_b32_e32 v0, 12, v29
	scratch_store_b64 off, v[6:7], s32 offset:432 ; 8-byte Folded Spill
	s_wait_xcnt 0x0
	v_dual_mov_b32 v6, 0 :: v_dual_mov_b32 v7, 0
	v_or_b32_e32 v12, 0xf80, v29
	v_dual_mov_b32 v13, v43 :: v_dual_mov_b32 v9, 0
	v_and_b32_e32 v10, 0x7c, v29
	scratch_store_b64 off, v[6:7], s32 offset:424 ; 8-byte Folded Spill
	s_wait_xcnt 0x0
	v_dual_mov_b32 v6, 0 :: v_dual_mov_b32 v7, 0
	v_dual_mov_b32 v8, 0 :: v_dual_mov_b32 v11, v43
	v_dual_mov_b32 v5, v45 :: v_dual_lshlrev_b32 v2, 4, v117
	scratch_store_b64 off, v[6:7], s32 offset:400 ; 8-byte Folded Spill
	s_wait_xcnt 0x0
	v_dual_mov_b32 v6, 0 :: v_dual_mov_b32 v7, 0
	v_and_b32_e32 v42, 0x7c, v28
	v_lshl_or_b32 v46, v5, 6, v2
	s_ashr_i32 s7, s6, 31
	v_mov_b32_e32 v119, 0
	scratch_store_b64 off, v[6:7], s32 offset:408 ; 8-byte Folded Spill
	s_wait_xcnt 0x0
	v_dual_mov_b32 v6, 0 :: v_dual_mov_b32 v7, 0
	s_lshl_b64 s[2:3], s[6:7], 2
	s_mov_b32 s10, 0
	s_add_nc_u64 s[2:3], s[8:9], s[2:3]
	s_clause 0x1
	scratch_store_b32 off, v101, s32 offset:1020
	scratch_store_b64 off, v[6:7], s32 offset:416
	s_wait_xcnt 0x0
	v_dual_mov_b32 v6, 0 :: v_dual_mov_b32 v7, 0
	s_clause 0x1
	scratch_store_b64 off, v[12:13], s32 offset:488
	scratch_store_b64 off, v[10:11], s32 offset:480
	v_mov_b32_e32 v118, 0
	scratch_store_b64 off, v[6:7], s32 offset:392 ; 8-byte Folded Spill
	s_wait_xcnt 0x0
	v_dual_mov_b32 v6, 0 :: v_dual_mov_b32 v7, 0
	scratch_store_b64 off, v[6:7], s32 offset:384 ; 8-byte Folded Spill
	s_wait_xcnt 0x0
	v_dual_mov_b32 v6, 0 :: v_dual_mov_b32 v7, 0
	;; [unrolled: 3-line block ×3, first 2 shown]
	scratch_store_b32 off, v0, s32 offset:464 ; 4-byte Folded Spill
	s_wait_xcnt 0x0
	v_add_nc_u64_e32 v[0:1], v[34:35], v[30:31]
	scratch_store_b64 off, v[6:7], s32 offset:360 ; 8-byte Folded Spill
	s_wait_xcnt 0x0
	v_dual_mov_b32 v7, 0 :: v_dual_mov_b32 v6, 0
	scratch_store_b64 off, v[0:1], s32 offset:472 ; 8-byte Folded Spill
	s_wait_xcnt 0x0
	v_cvt_f32_u32_e32 v0, v44
	v_mov_b32_e32 v1, v100
	scratch_store_b64 off, v[0:1], s32 offset:496 ; 8-byte Folded Spill
	s_wait_xcnt 0x0
	v_rcp_iflag_f32_e32 v0, v0
	v_sub_nc_u32_e32 v1, 0, v44
	s_delay_alu instid0(TRANS32_DEP_1) | instskip(NEXT) | instid1(VALU_DEP_1)
	v_mul_f32_e32 v0, 0x4f7ffffe, v0
	v_cvt_u32_f32_e32 v3, v0
	s_delay_alu instid0(VALU_DEP_1) | instskip(SKIP_1) | instid1(VALU_DEP_2)
	v_mul_lo_u32 v0, v1, v3
	v_mov_b32_e32 v1, 0
	v_mul_hi_u32 v4, v3, v0
	v_mov_b32_e32 v0, 0
	s_clause 0x1
	scratch_store_b64 off, v[0:1], s32 offset:320
	scratch_load_b64 v[0:1], off, s32 offset:1080 th:TH_LOAD_LU
	v_add_nc_u32_e32 v12, v3, v4
	scratch_store_b64 off, v[6:7], s32 offset:344 ; 8-byte Folded Spill
	s_wait_xcnt 0x0
	v_dual_mov_b32 v6, 0 :: v_dual_mov_b32 v7, 0
	s_clause 0x2
	scratch_load_b64 v[2:3], off, s32 offset:196
	scratch_store_b64 off, v[6:7], s32 offset:328
	scratch_load_b64 v[6:7], off, s32 offset:1072 th:TH_LOAD_LU
	s_wait_loadcnt 0x2
	v_lshl_add_u64 v[0:1], v[0:1], 2, v[42:43]
	s_wait_loadcnt 0x0
	s_delay_alu instid0(VALU_DEP_1)
	v_add_nc_u64_e32 v[10:11], v[6:7], v[0:1]
	v_dual_mov_b32 v0, 0 :: v_dual_mov_b32 v1, 0
	s_clause 0x2
	scratch_store_b32 off, v117, s32 offset:528
	scratch_store_b64 off, v[12:13], s32 offset:440
	scratch_store_b64 off, v[0:1], s32 offset:368
	s_wait_xcnt 0x0
	v_dual_mov_b32 v0, 0 :: v_dual_mov_b32 v1, 0
	s_clause 0x1
	scratch_store_b64 off, v[8:9], s32 offset:336
	scratch_store_b64 off, v[0:1], s32 offset:352
	s_branch .LBB189_1075
.LBB189_1073:                           ;   in Loop: Header=BB189_1075 Depth=1
	s_wait_xcnt 0x0
	s_or_b32 exec_lo, exec_lo, s16
	v_mul_f32_e32 v1, v3, v99
	v_dual_mul_f32 v0, v3, v115 :: v_dual_mul_f32 v8, v3, v85
	v_mul_f32_e32 v39, v3, v39
	s_delay_alu instid0(VALU_DEP_3) | instskip(NEXT) | instid1(VALU_DEP_3)
	v_dual_mul_f32 v31, v3, v31 :: v_dual_fmac_f32 v1, v2, v98
	v_dual_fmac_f32 v0, v2, v114 :: v_dual_mul_f32 v55, v3, v55
	s_delay_alu instid0(VALU_DEP_3) | instskip(NEXT) | instid1(VALU_DEP_2)
	v_dual_fmac_f32 v39, v2, v38 :: v_dual_fmac_f32 v8, v2, v84
	v_dual_fmac_f32 v1, v4, v96 :: v_dual_fmac_f32 v0, v4, v118
	s_delay_alu instid0(VALU_DEP_3) | instskip(NEXT) | instid1(VALU_DEP_2)
	v_dual_mul_f32 v9, v3, v67 :: v_dual_fmac_f32 v55, v2, v54
	v_dual_fmac_f32 v8, v4, v82 :: v_dual_fmac_f32 v1, v5, v97
	s_delay_alu instid0(VALU_DEP_2) | instskip(NEXT) | instid1(VALU_DEP_3)
	v_dual_fmac_f32 v0, v5, v119 :: v_dual_fmac_f32 v9, v2, v66
	v_fmac_f32_e32 v55, v4, v52
	scratch_load_b64 v[118:119], off, s32 offset:448 th:TH_LOAD_LU ; 8-byte Folded Reload
	v_fmac_f32_e32 v8, v5, v83
	v_dual_mul_f32 v51, v3, v51 :: v_dual_fmac_f32 v9, v4, v64
	v_fmac_f32_e32 v55, v5, v53
	v_dual_fmac_f32 v39, v4, v36 :: v_dual_mul_f32 v15, v3, v15
	s_delay_alu instid0(VALU_DEP_3) | instskip(NEXT) | instid1(VALU_DEP_4)
	v_dual_fmac_f32 v31, v2, v30 :: v_dual_fmac_f32 v9, v5, v65
	v_dual_fmac_f32 v51, v2, v50 :: v_dual_mul_f32 v35, v3, v35
	s_delay_alu instid0(VALU_DEP_1) | instskip(NEXT) | instid1(VALU_DEP_1)
	v_dual_mul_f32 v25, v3, v25 :: v_dual_fmac_f32 v51, v4, v48
	v_dual_fmac_f32 v25, v2, v24 :: v_dual_fmac_f32 v39, v5, v37
	s_delay_alu instid0(VALU_DEP_1) | instskip(NEXT) | instid1(VALU_DEP_1)
	v_dual_fmac_f32 v51, v5, v49 :: v_dual_fmac_f32 v25, v4, v20
	v_dual_fmac_f32 v35, v2, v34 :: v_dual_fmac_f32 v25, v5, v21
	scratch_load_b64 v[20:21], off, s32 offset:352 th:TH_LOAD_LU ; 8-byte Folded Reload
	v_fmac_f32_e32 v35, v4, v32
	s_wait_loadcnt 0x0
	v_dual_add_f32 v118, v118, v0 :: v_dual_add_f32 v21, v21, v1
	scratch_load_b64 v[0:1], off, s32 offset:368 th:TH_LOAD_LU ; 8-byte Folded Reload
	v_dual_fmac_f32 v15, v2, v14 :: v_dual_add_f32 v20, v20, v8
	s_wait_loadcnt 0x0
	v_dual_add_f32 v1, v1, v9 :: v_dual_add_f32 v0, v0, v55
	s_delay_alu instid0(VALU_DEP_2)
	v_dual_fmac_f32 v15, v4, v12 :: v_dual_mul_f32 v12, v3, v113
	v_fmac_f32_e32 v31, v4, v28
	v_fmac_f32_e32 v35, v5, v33
	s_clause 0x1
	scratch_store_b64 off, v[0:1], s32 offset:368
	scratch_load_b64 v[0:1], off, s32 offset:336 th:TH_LOAD_LU
	v_dual_fmac_f32 v12, v2, v112 :: v_dual_fmac_f32 v31, v5, v29
	s_wait_loadcnt 0x0
	s_delay_alu instid0(VALU_DEP_1)
	v_dual_fmac_f32 v12, v4, v80 :: v_dual_add_f32 v1, v1, v51
	v_dual_add_f32 v0, v0, v39 :: v_dual_fmac_f32 v15, v5, v13
	s_clause 0x1
	scratch_store_b64 off, v[0:1], s32 offset:336
	scratch_load_b64 v[0:1], off, s32 offset:320 th:TH_LOAD_LU
	s_wait_loadcnt 0x0
	v_dual_fmac_f32 v12, v5, v81 :: v_dual_add_f32 v0, v0, v31
	v_add_f32_e32 v1, v1, v35
	s_clause 0x2
	scratch_store_b64 off, v[20:21], s32 offset:352
	scratch_store_b64 off, v[0:1], s32 offset:320
	scratch_load_b64 v[0:1], off, s32 offset:328 th:TH_LOAD_LU
	s_wait_loadcnt 0x0
	v_dual_add_f32 v1, v1, v25 :: v_dual_add_f32 v0, v0, v15
	s_clause 0x1
	scratch_load_b64 v[14:15], off, s32 offset:344 th:TH_LOAD_LU
	scratch_store_b64 off, v[0:1], s32 offset:328
	s_wait_xcnt 0x0
	v_dual_mul_f32 v0, v3, v71 :: v_dual_mul_f32 v1, v3, v17
	v_mul_f32_e32 v9, v3, v123
	s_delay_alu instid0(VALU_DEP_2) | instskip(NEXT) | instid1(VALU_DEP_1)
	v_dual_mul_f32 v8, v3, v127 :: v_dual_fmac_f32 v0, v2, v70
	v_dual_fmac_f32 v1, v2, v16 :: v_dual_fmac_f32 v8, v2, v126
	s_delay_alu instid0(VALU_DEP_3) | instskip(NEXT) | instid1(VALU_DEP_2)
	v_fmac_f32_e32 v9, v2, v122
	v_dual_fmac_f32 v1, v4, v6 :: v_dual_fmac_f32 v8, v4, v124
	s_delay_alu instid0(VALU_DEP_2) | instskip(NEXT) | instid1(VALU_DEP_2)
	v_dual_fmac_f32 v0, v4, v26 :: v_dual_fmac_f32 v9, v4, v120
	v_fmac_f32_e32 v1, v5, v7
	s_clause 0x1
	scratch_load_b64 v[6:7], off, s32 offset:360 th:TH_LOAD_LU
	scratch_load_b64 v[16:17], off, s32 offset:312 th:TH_LOAD_LU
	v_fmac_f32_e32 v0, v5, v27
	v_fmac_f32_e32 v8, v5, v125
	s_wait_loadcnt 0x2
	v_dual_fmac_f32 v9, v5, v121 :: v_dual_add_f32 v15, v15, v12
	v_mul_f32_e32 v12, v3, v111
	s_delay_alu instid0(VALU_DEP_1) | instskip(SKIP_1) | instid1(VALU_DEP_1)
	v_fmac_f32_e32 v12, v2, v110
	s_wait_loadcnt 0x1
	v_dual_fmac_f32 v12, v4, v108 :: v_dual_add_f32 v7, v7, v1
	s_delay_alu instid0(VALU_DEP_1)
	v_dual_add_f32 v14, v14, v0 :: v_dual_fmac_f32 v12, v5, v109
	v_add_f32_e32 v6, v6, v8
	s_clause 0x3
	scratch_store_b64 off, v[14:15], s32 offset:344
	scratch_load_b64 v[14:15], off, s32 offset:296 th:TH_LOAD_LU
	scratch_store_b64 off, v[6:7], s32 offset:360
	scratch_load_b64 v[6:7], off, s32 offset:376 th:TH_LOAD_LU
	s_wait_loadcnt 0x0
	v_dual_mul_f32 v0, v3, v107 :: v_dual_add_f32 v6, v6, v12
	scratch_load_b64 v[12:13], off, s32 offset:384 th:TH_LOAD_LU ; 8-byte Folded Reload
	v_dual_mul_f32 v1, v3, v95 :: v_dual_fmac_f32 v0, v2, v106
	v_mul_f32_e32 v8, v3, v75
	s_delay_alu instid0(VALU_DEP_2) | instskip(NEXT) | instid1(VALU_DEP_1)
	v_dual_add_f32 v7, v7, v9 :: v_dual_fmac_f32 v1, v2, v94
	v_dual_fmac_f32 v8, v2, v74 :: v_dual_fmac_f32 v1, v4, v92
	s_delay_alu instid0(VALU_DEP_1) | instskip(NEXT) | instid1(VALU_DEP_1)
	v_dual_fmac_f32 v0, v4, v104 :: v_dual_fmac_f32 v1, v5, v93
	v_fmac_f32_e32 v0, v5, v105
	s_wait_loadcnt 0x0
	s_delay_alu instid0(VALU_DEP_1)
	v_dual_add_f32 v13, v13, v0 :: v_dual_add_f32 v12, v12, v1
	s_clause 0x1
	scratch_load_b64 v[0:1], off, s32 offset:392 th:TH_LOAD_LU
	scratch_store_b64 off, v[6:7], s32 offset:376
	s_wait_xcnt 0x0
	v_mul_f32_e32 v7, v3, v79
	v_mul_f32_e32 v6, v3, v91
	s_clause 0x1
	scratch_store_b64 off, v[12:13], s32 offset:384
	scratch_load_b64 v[12:13], off, s32 offset:416 th:TH_LOAD_LU
	v_fmac_f32_e32 v7, v2, v78
	s_delay_alu instid0(VALU_DEP_1) | instskip(NEXT) | instid1(VALU_DEP_1)
	v_dual_fmac_f32 v6, v2, v90 :: v_dual_fmac_f32 v7, v4, v76
	v_dual_fmac_f32 v6, v4, v88 :: v_dual_fmac_f32 v7, v5, v77
	s_delay_alu instid0(VALU_DEP_1) | instskip(SKIP_1) | instid1(VALU_DEP_1)
	v_dual_fmac_f32 v6, v5, v89 :: v_dual_fmac_f32 v8, v4, v72
	s_wait_loadcnt 0x1
	v_add_f32_e32 v1, v1, v6
	s_delay_alu instid0(VALU_DEP_2) | instskip(SKIP_1) | instid1(VALU_DEP_1)
	v_dual_fmac_f32 v8, v5, v73 :: v_dual_add_f32 v0, v0, v7
	s_wait_loadcnt 0x0
	v_dual_mul_f32 v7, v3, v17 :: v_dual_add_f32 v13, v13, v8
	scratch_store_b64 off, v[0:1], s32 offset:392 ; 8-byte Folded Spill
	s_wait_xcnt 0x0
	v_mul_f32_e32 v0, v3, v63
	v_dual_mul_f32 v1, v3, v23 :: v_dual_mul_f32 v6, v3, v61
	s_delay_alu instid0(VALU_DEP_2) | instskip(NEXT) | instid1(VALU_DEP_2)
	v_dual_mul_f32 v8, v3, v15 :: v_dual_fmac_f32 v0, v2, v62
	v_dual_fmac_f32 v1, v2, v22 :: v_dual_fmac_f32 v6, v2, v60
	v_fmac_f32_e32 v7, v2, v16
	scratch_load_b64 v[16:17], off, s32 offset:304 th:TH_LOAD_LU ; 8-byte Folded Reload
	v_fmac_f32_e32 v0, v4, v102
	s_delay_alu instid0(VALU_DEP_1) | instskip(NEXT) | instid1(VALU_DEP_1)
	v_dual_fmac_f32 v1, v4, v18 :: v_dual_fmac_f32 v0, v5, v103
	v_dual_fmac_f32 v6, v4, v58 :: v_dual_fmac_f32 v1, v5, v19
	scratch_load_b64 v[18:19], off, s32 offset:280 th:TH_LOAD_LU ; 8-byte Folded Reload
	v_dual_add_f32 v12, v12, v0 :: v_dual_fmac_f32 v6, v5, v59
	s_clause 0x1
	scratch_store_b64 off, v[12:13], s32 offset:416
	scratch_load_b64 v[12:13], off, s32 offset:408 th:TH_LOAD_LU
	s_wait_loadcnt 0x0
	v_add_f32_e32 v13, v13, v1
	scratch_load_b64 v[0:1], off, s32 offset:400 th:TH_LOAD_LU ; 8-byte Folded Reload
	v_fmac_f32_e32 v8, v2, v14
	scratch_load_b64 v[14:15], off, s32 offset:288 th:TH_LOAD_LU ; 8-byte Folded Reload
	s_wait_loadcnt 0x0
	v_dual_fmac_f32 v7, v4, v16 :: v_dual_fmac_f32 v8, v4, v14
	s_delay_alu instid0(VALU_DEP_1)
	v_fmac_f32_e32 v7, v5, v17
	scratch_load_b64 v[16:17], off, s32 offset:264 th:TH_LOAD_LU ; 8-byte Folded Reload
	v_dual_fmac_f32 v8, v5, v15 :: v_dual_add_f32 v12, v12, v6
	v_add_f32_e32 v1, v1, v7
	v_mul_f32_e32 v6, v3, v19
	scratch_load_b64 v[14:15], off, s32 offset:248 th:TH_LOAD_LU ; 8-byte Folded Reload
	v_add_f32_e32 v0, v0, v8
	s_clause 0x1
	scratch_store_b64 off, v[12:13], s32 offset:408
	scratch_load_b64 v[12:13], off, s32 offset:232 th:TH_LOAD_LU
	v_fmac_f32_e32 v6, v2, v18
	s_clause 0x1
	scratch_load_b64 v[18:19], off, s32 offset:272 th:TH_LOAD_LU
	scratch_store_b64 off, v[0:1], s32 offset:400
	s_wait_xcnt 0x0
	v_pk_mul_f32 v[0:1], v[2:3], v[116:117]
	s_delay_alu instid0(VALU_DEP_1) | instskip(SKIP_2) | instid1(VALU_DEP_1)
	v_add_f32_e32 v0, v0, v1
	s_wait_loadcnt 0x2
	v_dual_mul_f32 v7, v3, v17 :: v_dual_mul_f32 v8, v3, v15
	v_fmac_f32_e32 v7, v2, v16
	scratch_load_b64 v[16:17], off, s32 offset:256 th:TH_LOAD_LU ; 8-byte Folded Reload
	s_wait_loadcnt 0x2
	v_dual_mul_f32 v9, v3, v13 :: v_dual_fmac_f32 v8, v2, v14
	scratch_load_b64 v[14:15], off, s32 offset:240 th:TH_LOAD_LU ; 8-byte Folded Reload
	s_wait_loadcnt 0x2
	v_dual_fmac_f32 v6, v4, v18 :: v_dual_fmac_f32 v9, v2, v12
	scratch_load_b64 v[12:13], off, s32 offset:224 th:TH_LOAD_LU ; 8-byte Folded Reload
	v_pk_mul_f32 v[2:3], v[4:5], v[86:87]
	s_wait_loadcnt 0x2
	v_fmac_f32_e32 v7, v4, v16
	s_delay_alu instid0(VALU_DEP_2) | instskip(SKIP_1) | instid1(VALU_DEP_1)
	v_dual_add_f32 v0, v2, v0 :: v_dual_fmac_f32 v6, v5, v19
	s_wait_loadcnt 0x1
	v_dual_fmac_f32 v8, v4, v14 :: v_dual_add_f32 v0, v3, v0
	s_wait_loadcnt 0x0
	v_fmac_f32_e32 v9, v4, v12
	scratch_load_b64 v[2:3], off, s32 offset:424 th:TH_LOAD_LU ; 8-byte Folded Reload
	v_dual_fmac_f32 v7, v5, v17 :: v_dual_fmac_f32 v8, v5, v15
	v_dual_add_f32 v119, v119, v0 :: v_dual_fmac_f32 v9, v5, v13
	s_wait_loadcnt 0x0
	s_delay_alu instid0(VALU_DEP_2)
	v_dual_add_f32 v3, v3, v6 :: v_dual_add_f32 v2, v2, v7
	s_clause 0x1
	scratch_store_b64 off, v[2:3], s32 offset:424
	scratch_load_b64 v[2:3], off, s32 offset:432 th:TH_LOAD_LU
	s_wait_loadcnt 0x0
	v_dual_add_f32 v3, v3, v8 :: v_dual_add_f32 v2, v2, v9
	scratch_store_b64 off, v[2:3], s32 offset:432 ; 8-byte Folded Spill
.LBB189_1074:                           ;   in Loop: Header=BB189_1075 Depth=1
	s_wait_xcnt 0x0
	s_or_b32 exec_lo, exec_lo, s11
	s_clause 0x1
	scratch_load_b32 v0, off, s32 offset:192
	scratch_load_b64 v[2:3], off, s32 offset:196 th:TH_LOAD_LU
	v_add_nc_u32_e32 v45, 4, v45
	v_add_nc_u64_e32 v[10:11], 16, v[10:11]
	v_add_nc_u32_e32 v46, 0x100, v46
	s_wait_loadcnt 0x0
	v_add_nc_u32_e32 v2, 64, v2
	v_cmp_ge_i32_e32 vcc_lo, v45, v0
	s_or_b32 s10, vcc_lo, s10
	s_wait_xcnt 0x0
	s_and_not1_b32 exec_lo, exec_lo, s10
	s_cbranch_execz .LBB189_2164
.LBB189_1075:                           ; =>This Inner Loop Header: Depth=1
	scratch_load_b64 v[0:1], off, s32 offset:204 ; 8-byte Folded Reload
	v_dual_mov_b32 v3, v43 :: v_dual_mov_b32 v4, v2
	scratch_store_b64 off, v[4:5], s32 offset:196 ; 8-byte Folded Spill
	s_wait_loadcnt 0x0
	v_mul_u64_e32 v[0:1], v[2:3], v[0:1]
	s_delay_alu instid0(VALU_DEP_1) | instskip(NEXT) | instid1(VALU_DEP_1)
	v_mul_lo_u32 v0, v1, v101
	v_dual_sub_nc_u32 v0, v2, v0 :: v_dual_add_nc_u32 v2, 1, v1
	s_delay_alu instid0(VALU_DEP_1) | instskip(NEXT) | instid1(VALU_DEP_2)
	v_cmp_ge_u32_e32 vcc_lo, v0, v101
	v_dual_sub_nc_u32 v3, v0, v101 :: v_dual_cndmask_b32 v1, v1, v2, vcc_lo
	s_delay_alu instid0(VALU_DEP_1) | instskip(NEXT) | instid1(VALU_DEP_1)
	v_dual_cndmask_b32 v0, v0, v3, vcc_lo :: v_dual_add_nc_u32 v2, 1, v1
	v_cmp_ge_u32_e32 vcc_lo, v0, v101
	s_delay_alu instid0(VALU_DEP_2) | instskip(SKIP_3) | instid1(VALU_DEP_1)
	v_cndmask_b32_e32 v0, v1, v2, vcc_lo
	scratch_load_b32 v1, off, s32 offset:212 ; 4-byte Folded Reload
	s_wait_loadcnt 0x0
	v_xor_b32_e32 v0, v0, v1
	v_sub_nc_u32_e32 v2, v0, v1
	scratch_load_b32 v0, off, s32 offset:216 ; 4-byte Folded Reload
	s_wait_loadcnt 0x0
	v_add_nc_u32_e32 v3, v2, v0
	s_delay_alu instid0(VALU_DEP_1) | instskip(NEXT) | instid1(VALU_DEP_1)
	v_sub_nc_u32_e32 v0, 0, v3
	v_max_i32_e32 v42, v3, v0
	scratch_load_b64 v[0:1], off, s32 offset:440 ; 8-byte Folded Reload
	s_wait_loadcnt 0x0
	v_mul_u64_e32 v[0:1], v[42:43], v[0:1]
	s_delay_alu instid0(VALU_DEP_1) | instskip(NEXT) | instid1(VALU_DEP_1)
	v_mul_lo_u32 v0, v1, v44
	v_sub_nc_u32_e32 v0, v42, v0
	s_delay_alu instid0(VALU_DEP_1) | instskip(SKIP_1) | instid1(VALU_DEP_2)
	v_sub_nc_u32_e32 v1, v0, v44
	v_cmp_ge_u32_e32 vcc_lo, v0, v44
	v_dual_cndmask_b32 v0, v0, v1 :: v_dual_ashrrev_i32 v3, 31, v3
	s_delay_alu instid0(VALU_DEP_1) | instskip(SKIP_1) | instid1(VALU_DEP_2)
	v_sub_nc_u32_e32 v1, v0, v44
	v_cmp_ge_u32_e32 vcc_lo, v0, v44
	v_cndmask_b32_e32 v0, v0, v1, vcc_lo
	s_delay_alu instid0(VALU_DEP_1) | instskip(NEXT) | instid1(VALU_DEP_1)
	v_xor_b32_e32 v0, v0, v3
	v_sub_nc_u32_e32 v0, v0, v3
	s_delay_alu instid0(VALU_DEP_1)
	v_cmp_eq_u32_e32 vcc_lo, 0, v0
	scratch_load_b32 v0, off, s32 offset:220 ; 4-byte Folded Reload
	s_wait_loadcnt 0x0
	v_cmp_gt_i32_e64 s0, v2, v0
	s_or_b32 s0, vcc_lo, s0
	s_wait_xcnt 0x0
	s_and_saveexec_b32 s11, s0
	s_cbranch_execz .LBB189_1074
; %bb.1076:                             ;   in Loop: Header=BB189_1075 Depth=1
	scratch_store_b64 off, v[118:119], s32 offset:448 ; 8-byte Folded Spill
	flat_load_b32 v0, v[10:11]
	s_clause 0x1
	scratch_load_b64 v[2:3], off, s32 offset:808
	scratch_load_b64 v[4:5], off, s32 offset:472
	v_mov_b64_e32 v[6:7], 0
	s_wait_loadcnt_dscnt 0x0
	v_mad_nc_i64_i32 v[2:3], v0, v2, v[4:5]
	s_clause 0x1
	scratch_load_b64 v[0:1], off, s32 offset:480
	scratch_store_b64 off, v[2:3], s32 offset:456
	s_wait_loadcnt 0x0
	s_wait_xcnt 0x5
	v_add_nc_u64_e32 v[118:119], v[2:3], v[0:1]
	flat_load_b32 v8, v[118:119]
	scratch_load_b64 v[0:1], off, s32 offset:1012 ; 8-byte Folded Reload
	s_load_b32 s0, s[2:3], 0x0
	s_wait_loadcnt_dscnt 0x100
	v_and_b32_e32 v9, 0xff, v8
	s_wait_loadcnt 0x0
	flat_load_b32 v86, v[0:1]
	s_wait_kmcnt 0x0
	v_add_nc_u32_e32 v0, s0, v46
	s_mov_b32 s0, exec_lo
	ds_load_b128 v[2:5], v0
	v_mov_b64_e32 v[0:1], 0
	v_cmpx_ne_u16_e32 0, v9
	s_cbranch_execz .LBB189_1084
; %bb.1077:                             ;   in Loop: Header=BB189_1075 Depth=1
	v_mov_b64_e32 v[6:7], 0x80000000
	s_mov_b32 s16, exec_lo
	v_cmpx_ne_u16_e32 0x80, v9
	s_cbranch_execz .LBB189_1083
; %bb.1078:                             ;   in Loop: Header=BB189_1075 Depth=1
	v_mov_b64_e32 v[6:7], 0x7f800001
	v_and_b32_e32 v9, 0x7f, v8
	s_mov_b32 s17, exec_lo
	s_delay_alu instid0(VALU_DEP_1)
	v_cmpx_ne_u32_e32 0x7f, v9
	s_cbranch_execz .LBB189_1082
; %bb.1079:                             ;   in Loop: Header=BB189_1075 Depth=1
	v_dual_lshrrev_b32 v6, 3, v9 :: v_dual_bitop2_b32 v42, 7, v8 bitop3:0x40
	s_mov_b32 s18, exec_lo
	v_cmpx_gt_u32_e32 8, v9
; %bb.1080:                             ;   in Loop: Header=BB189_1075 Depth=1
	s_delay_alu instid0(VALU_DEP_2) | instskip(NEXT) | instid1(VALU_DEP_1)
	v_clz_i32_u32_e32 v6, v42
	v_min_u32_e32 v6, 32, v6
	s_delay_alu instid0(VALU_DEP_1) | instskip(NEXT) | instid1(VALU_DEP_1)
	v_subrev_nc_u32_e32 v7, 28, v6
	v_lshlrev_b64_e32 v[12:13], v7, v[42:43]
	s_delay_alu instid0(VALU_DEP_1)
	v_dual_sub_nc_u32 v6, 29, v6 :: v_dual_bitop2_b32 v42, 7, v12 bitop3:0x40
; %bb.1081:                             ;   in Loop: Header=BB189_1075 Depth=1
	s_or_b32 exec_lo, exec_lo, s18
	s_delay_alu instid0(VALU_DEP_1) | instskip(NEXT) | instid1(VALU_DEP_2)
	v_dual_lshlrev_b32 v7, 24, v8 :: v_dual_lshlrev_b32 v9, 20, v42
	v_lshl_add_u32 v6, v6, 23, 0x3c000000
	s_delay_alu instid0(VALU_DEP_2) | instskip(NEXT) | instid1(VALU_DEP_1)
	v_and_b32_e32 v7, 0x80000000, v7
	v_or3_b32 v42, v9, v7, v6
	s_delay_alu instid0(VALU_DEP_1)
	v_mov_b64_e32 v[6:7], v[42:43]
.LBB189_1082:                           ;   in Loop: Header=BB189_1075 Depth=1
	s_or_b32 exec_lo, exec_lo, s17
.LBB189_1083:                           ;   in Loop: Header=BB189_1075 Depth=1
	s_delay_alu instid0(SALU_CYCLE_1)
	s_or_b32 exec_lo, exec_lo, s16
.LBB189_1084:                           ;   in Loop: Header=BB189_1075 Depth=1
	s_delay_alu instid0(SALU_CYCLE_1) | instskip(SKIP_2) | instid1(VALU_DEP_1)
	s_or_b32 exec_lo, exec_lo, s0
	v_lshrrev_b16 v9, 8, v8
	s_mov_b32 s0, exec_lo
	v_cmpx_ne_u16_e32 0, v9
	s_cbranch_execz .LBB189_1092
; %bb.1085:                             ;   in Loop: Header=BB189_1075 Depth=1
	v_mov_b64_e32 v[0:1], 0x8000000000000000
	s_mov_b32 s16, exec_lo
	v_cmpx_ne_u16_e32 0x80, v9
	s_cbranch_execz .LBB189_1091
; %bb.1086:                             ;   in Loop: Header=BB189_1075 Depth=1
	v_and_b32_e32 v12, 0xffff, v9
	v_mov_b64_e32 v[0:1], 0x7f80000100000000
	s_mov_b32 s17, exec_lo
	s_delay_alu instid0(VALU_DEP_2) | instskip(NEXT) | instid1(VALU_DEP_1)
	v_and_b32_e32 v9, 0x7f, v12
	v_cmpx_ne_u32_e32 0x7f, v9
	s_cbranch_execz .LBB189_1090
; %bb.1087:                             ;   in Loop: Header=BB189_1075 Depth=1
	v_dual_lshrrev_b32 v0, 3, v9 :: v_dual_bitop2_b32 v42, 7, v12 bitop3:0x40
	s_mov_b32 s18, exec_lo
	v_cmpx_gt_u32_e32 8, v9
; %bb.1088:                             ;   in Loop: Header=BB189_1075 Depth=1
	s_delay_alu instid0(VALU_DEP_2) | instskip(NEXT) | instid1(VALU_DEP_1)
	v_clz_i32_u32_e32 v0, v42
	v_min_u32_e32 v0, 32, v0
	s_delay_alu instid0(VALU_DEP_1) | instskip(SKIP_1) | instid1(VALU_DEP_2)
	v_subrev_nc_u32_e32 v1, 28, v0
	v_sub_nc_u32_e32 v0, 29, v0
	v_lshlrev_b64_e32 v[12:13], v1, v[42:43]
	s_delay_alu instid0(VALU_DEP_1)
	v_and_b32_e32 v42, 7, v12
; %bb.1089:                             ;   in Loop: Header=BB189_1075 Depth=1
	s_or_b32 exec_lo, exec_lo, s18
	s_delay_alu instid0(VALU_DEP_1) | instskip(SKIP_1) | instid1(VALU_DEP_2)
	v_dual_lshlrev_b32 v1, 16, v8 :: v_dual_lshlrev_b32 v9, 20, v42
	v_lshl_add_u32 v0, v0, 23, 0x3c000000
	v_and_b32_e32 v1, 0x80000000, v1
	s_delay_alu instid0(VALU_DEP_1)
	v_or3_b32 v1, v9, v1, v0
	v_mov_b32_e32 v0, v43
.LBB189_1090:                           ;   in Loop: Header=BB189_1075 Depth=1
	s_or_b32 exec_lo, exec_lo, s17
.LBB189_1091:                           ;   in Loop: Header=BB189_1075 Depth=1
	s_delay_alu instid0(SALU_CYCLE_1)
	s_or_b32 exec_lo, exec_lo, s16
.LBB189_1092:                           ;   in Loop: Header=BB189_1075 Depth=1
	s_delay_alu instid0(SALU_CYCLE_1) | instskip(SKIP_4) | instid1(VALU_DEP_3)
	s_or_b32 exec_lo, exec_lo, s0
	v_lshrrev_b32_e32 v9, 16, v8
	v_mov_b64_e32 v[12:13], 0
	v_mov_b64_e32 v[14:15], 0
	s_mov_b32 s0, exec_lo
	v_and_b32_e32 v16, 0xff, v9
	s_delay_alu instid0(VALU_DEP_1)
	v_cmpx_ne_u16_e32 0, v16
	s_cbranch_execz .LBB189_1100
; %bb.1093:                             ;   in Loop: Header=BB189_1075 Depth=1
	v_mov_b64_e32 v[14:15], 0x80000000
	s_mov_b32 s16, exec_lo
	v_cmpx_ne_u16_e32 0x80, v16
	s_cbranch_execz .LBB189_1099
; %bb.1094:                             ;   in Loop: Header=BB189_1075 Depth=1
	v_mov_b64_e32 v[14:15], 0x7f800001
	v_bfe_u32 v16, v8, 16, 7
	s_mov_b32 s17, exec_lo
	s_delay_alu instid0(VALU_DEP_1)
	v_cmpx_ne_u32_e32 0x7f, v16
	s_cbranch_execz .LBB189_1098
; %bb.1095:                             ;   in Loop: Header=BB189_1075 Depth=1
	v_dual_lshrrev_b32 v14, 3, v16 :: v_dual_bitop2_b32 v42, 7, v9 bitop3:0x40
	s_mov_b32 s18, exec_lo
	v_cmpx_gt_u32_e32 8, v16
; %bb.1096:                             ;   in Loop: Header=BB189_1075 Depth=1
	s_delay_alu instid0(VALU_DEP_2) | instskip(NEXT) | instid1(VALU_DEP_1)
	v_clz_i32_u32_e32 v14, v42
	v_min_u32_e32 v14, 32, v14
	s_delay_alu instid0(VALU_DEP_1) | instskip(NEXT) | instid1(VALU_DEP_1)
	v_subrev_nc_u32_e32 v15, 28, v14
	v_lshlrev_b64_e32 v[16:17], v15, v[42:43]
	s_delay_alu instid0(VALU_DEP_1)
	v_dual_sub_nc_u32 v14, 29, v14 :: v_dual_bitop2_b32 v42, 7, v16 bitop3:0x40
; %bb.1097:                             ;   in Loop: Header=BB189_1075 Depth=1
	s_or_b32 exec_lo, exec_lo, s18
	s_delay_alu instid0(VALU_DEP_1) | instskip(NEXT) | instid1(VALU_DEP_2)
	v_dual_lshlrev_b32 v9, 24, v9 :: v_dual_lshlrev_b32 v15, 20, v42
	v_lshl_add_u32 v14, v14, 23, 0x3c000000
	s_delay_alu instid0(VALU_DEP_2) | instskip(NEXT) | instid1(VALU_DEP_1)
	v_and_b32_e32 v9, 0x80000000, v9
	v_or3_b32 v42, v15, v9, v14
	s_delay_alu instid0(VALU_DEP_1)
	v_mov_b64_e32 v[14:15], v[42:43]
.LBB189_1098:                           ;   in Loop: Header=BB189_1075 Depth=1
	s_or_b32 exec_lo, exec_lo, s17
.LBB189_1099:                           ;   in Loop: Header=BB189_1075 Depth=1
	s_delay_alu instid0(SALU_CYCLE_1)
	s_or_b32 exec_lo, exec_lo, s16
.LBB189_1100:                           ;   in Loop: Header=BB189_1075 Depth=1
	s_delay_alu instid0(SALU_CYCLE_1) | instskip(NEXT) | instid1(SALU_CYCLE_1)
	s_or_b32 exec_lo, exec_lo, s0
	s_mov_b32 s0, exec_lo
	v_cmpx_lt_u32_e32 0xffffff, v8
	s_cbranch_execz .LBB189_1108
; %bb.1101:                             ;   in Loop: Header=BB189_1075 Depth=1
	v_mov_b64_e32 v[12:13], 0x8000000000000000
	v_lshrrev_b32_e32 v9, 24, v8
	s_mov_b32 s16, exec_lo
	s_delay_alu instid0(VALU_DEP_1)
	v_cmpx_ne_u32_e32 0x80, v9
	s_cbranch_execz .LBB189_1107
; %bb.1102:                             ;   in Loop: Header=BB189_1075 Depth=1
	v_mov_b64_e32 v[12:13], 0x7f80000100000000
	v_bfe_u32 v16, v8, 24, 7
	s_mov_b32 s17, exec_lo
	s_delay_alu instid0(VALU_DEP_1)
	v_cmpx_ne_u32_e32 0x7f, v16
	s_cbranch_execz .LBB189_1106
; %bb.1103:                             ;   in Loop: Header=BB189_1075 Depth=1
	v_dual_lshrrev_b32 v8, 3, v16 :: v_dual_bitop2_b32 v42, 7, v9 bitop3:0x40
	s_mov_b32 s18, exec_lo
	v_cmpx_gt_u32_e32 8, v16
; %bb.1104:                             ;   in Loop: Header=BB189_1075 Depth=1
	s_delay_alu instid0(VALU_DEP_2) | instskip(NEXT) | instid1(VALU_DEP_1)
	v_clz_i32_u32_e32 v8, v42
	v_min_u32_e32 v8, 32, v8
	s_delay_alu instid0(VALU_DEP_1) | instskip(SKIP_1) | instid1(VALU_DEP_2)
	v_subrev_nc_u32_e32 v12, 28, v8
	v_sub_nc_u32_e32 v8, 29, v8
	v_lshlrev_b64_e32 v[12:13], v12, v[42:43]
	s_delay_alu instid0(VALU_DEP_1)
	v_and_b32_e32 v42, 7, v12
; %bb.1105:                             ;   in Loop: Header=BB189_1075 Depth=1
	s_or_b32 exec_lo, exec_lo, s18
	s_delay_alu instid0(VALU_DEP_1) | instskip(SKIP_1) | instid1(VALU_DEP_2)
	v_dual_lshlrev_b32 v9, 24, v9 :: v_dual_lshlrev_b32 v12, 20, v42
	v_lshl_add_u32 v8, v8, 23, 0x3c000000
	v_and_b32_e32 v9, 0x80000000, v9
	s_delay_alu instid0(VALU_DEP_1)
	v_or3_b32 v13, v12, v9, v8
	v_mov_b32_e32 v12, v43
.LBB189_1106:                           ;   in Loop: Header=BB189_1075 Depth=1
	s_or_b32 exec_lo, exec_lo, s17
.LBB189_1107:                           ;   in Loop: Header=BB189_1075 Depth=1
	s_delay_alu instid0(SALU_CYCLE_1)
	s_or_b32 exec_lo, exec_lo, s16
.LBB189_1108:                           ;   in Loop: Header=BB189_1075 Depth=1
	s_delay_alu instid0(SALU_CYCLE_1)
	s_or_b32 exec_lo, exec_lo, s0
	v_or_b32_e32 v0, v0, v6
	scratch_load_b32 v6, off, s32 offset:192 ; 4-byte Folded Reload
	v_or_b32_e32 v1, v1, v7
	s_wait_loadcnt 0x0
	v_dual_add_nc_u32 v8, -1, v6 :: v_dual_bitop2_b32 v7, v13, v15 bitop3:0x54
	v_or_b32_e32 v6, v12, v14
	s_clause 0x1
	scratch_load_b64 v[12:13], off, s32 offset:196
	scratch_load_b32 v9, off, s32 offset:464
	v_cmp_eq_u32_e32 vcc_lo, v8, v45
	s_wait_loadcnt 0x0
	v_add_nc_u32_e32 v47, v9, v12
	s_wait_dscnt 0x1
	v_pk_mul_f32 v[0:1], v[86:87], v[0:1] op_sel_hi:[0,1]
	s_delay_alu instid0(VALU_DEP_2)
	v_add_nc_u32_e32 v56, 1, v47
	scratch_store_b64 off, v[0:1], s32 offset:232 ; 8-byte Folded Spill
	s_wait_xcnt 0x0
	v_pk_mul_f32 v[0:1], v[86:87], v[6:7] op_sel_hi:[0,1]
	v_dual_add_nc_u32 v41, 2, v47 :: v_dual_add_nc_u32 v40, 3, v47
	scratch_store_b64 off, v[0:1], s32 offset:224 ; 8-byte Folded Spill
	s_wait_xcnt 0x0
	s_and_saveexec_b32 s16, vcc_lo
	s_cbranch_execz .LBB189_1110
; %bb.1109:                             ;   in Loop: Header=BB189_1075 Depth=1
	scratch_load_b64 v[0:1], off, s32 offset:232 th:TH_LOAD_LU ; 8-byte Folded Reload
	v_cmp_lt_i32_e64 s0, v47, v100
	s_wait_loadcnt 0x0
	s_delay_alu instid0(VALU_DEP_1) | instskip(SKIP_1) | instid1(VALU_DEP_1)
	v_cndmask_b32_e64 v0, 0, v0, s0
	v_cmp_lt_i32_e64 s0, v56, v100
	v_cndmask_b32_e64 v1, 0, v1, s0
	v_cmp_lt_i32_e64 s0, v41, v100
	s_clause 0x1
	scratch_store_b64 off, v[0:1], s32 offset:232
	scratch_load_b64 v[0:1], off, s32 offset:224 th:TH_LOAD_LU
	s_wait_loadcnt 0x0
	v_cndmask_b32_e64 v0, 0, v0, s0
	v_cmp_lt_i32_e64 s0, v40, v100
	s_delay_alu instid0(VALU_DEP_1)
	v_cndmask_b32_e64 v1, 0, v1, s0
	scratch_store_b64 off, v[0:1], s32 offset:224 ; 8-byte Folded Spill
.LBB189_1110:                           ;   in Loop: Header=BB189_1075 Depth=1
	s_wait_xcnt 0x0
	s_or_b32 exec_lo, exec_lo, s16
	flat_load_b32 v8, v[118:119] offset:128
	v_mov_b64_e32 v[0:1], 0
	v_mov_b64_e32 v[6:7], 0
	s_mov_b32 s16, exec_lo
	s_wait_loadcnt_dscnt 0x0
	v_and_b32_e32 v9, 0xff, v8
	s_wait_xcnt 0x0
	s_delay_alu instid0(VALU_DEP_1)
	v_cmpx_ne_u16_e32 0, v9
	s_cbranch_execz .LBB189_1118
; %bb.1111:                             ;   in Loop: Header=BB189_1075 Depth=1
	v_mov_b64_e32 v[6:7], 0x80000000
	s_mov_b32 s17, exec_lo
	v_cmpx_ne_u16_e32 0x80, v9
	s_cbranch_execz .LBB189_1117
; %bb.1112:                             ;   in Loop: Header=BB189_1075 Depth=1
	v_mov_b64_e32 v[6:7], 0x7f800001
	v_and_b32_e32 v9, 0x7f, v8
	s_mov_b32 s18, exec_lo
	s_delay_alu instid0(VALU_DEP_1)
	v_cmpx_ne_u32_e32 0x7f, v9
	s_cbranch_execz .LBB189_1116
; %bb.1113:                             ;   in Loop: Header=BB189_1075 Depth=1
	v_dual_lshrrev_b32 v6, 3, v9 :: v_dual_bitop2_b32 v42, 7, v8 bitop3:0x40
	s_mov_b32 s19, exec_lo
	v_cmpx_gt_u32_e32 8, v9
; %bb.1114:                             ;   in Loop: Header=BB189_1075 Depth=1
	s_delay_alu instid0(VALU_DEP_2) | instskip(NEXT) | instid1(VALU_DEP_1)
	v_clz_i32_u32_e32 v6, v42
	v_min_u32_e32 v6, 32, v6
	s_delay_alu instid0(VALU_DEP_1) | instskip(NEXT) | instid1(VALU_DEP_1)
	v_subrev_nc_u32_e32 v7, 28, v6
	v_lshlrev_b64_e32 v[12:13], v7, v[42:43]
	s_delay_alu instid0(VALU_DEP_1)
	v_dual_sub_nc_u32 v6, 29, v6 :: v_dual_bitop2_b32 v42, 7, v12 bitop3:0x40
; %bb.1115:                             ;   in Loop: Header=BB189_1075 Depth=1
	s_or_b32 exec_lo, exec_lo, s19
	s_delay_alu instid0(VALU_DEP_1) | instskip(NEXT) | instid1(VALU_DEP_2)
	v_dual_lshlrev_b32 v7, 24, v8 :: v_dual_lshlrev_b32 v9, 20, v42
	v_lshl_add_u32 v6, v6, 23, 0x3c000000
	s_delay_alu instid0(VALU_DEP_2) | instskip(NEXT) | instid1(VALU_DEP_1)
	v_and_b32_e32 v7, 0x80000000, v7
	v_or3_b32 v42, v9, v7, v6
	s_delay_alu instid0(VALU_DEP_1)
	v_mov_b64_e32 v[6:7], v[42:43]
.LBB189_1116:                           ;   in Loop: Header=BB189_1075 Depth=1
	s_or_b32 exec_lo, exec_lo, s18
.LBB189_1117:                           ;   in Loop: Header=BB189_1075 Depth=1
	s_delay_alu instid0(SALU_CYCLE_1)
	s_or_b32 exec_lo, exec_lo, s17
.LBB189_1118:                           ;   in Loop: Header=BB189_1075 Depth=1
	s_delay_alu instid0(SALU_CYCLE_1) | instskip(SKIP_2) | instid1(VALU_DEP_1)
	s_or_b32 exec_lo, exec_lo, s16
	v_lshrrev_b16 v9, 8, v8
	s_mov_b32 s16, exec_lo
	v_cmpx_ne_u16_e32 0, v9
	s_cbranch_execz .LBB189_1126
; %bb.1119:                             ;   in Loop: Header=BB189_1075 Depth=1
	v_mov_b64_e32 v[0:1], 0x8000000000000000
	s_mov_b32 s17, exec_lo
	v_cmpx_ne_u16_e32 0x80, v9
	s_cbranch_execz .LBB189_1125
; %bb.1120:                             ;   in Loop: Header=BB189_1075 Depth=1
	v_and_b32_e32 v12, 0xffff, v9
	v_mov_b64_e32 v[0:1], 0x7f80000100000000
	s_mov_b32 s18, exec_lo
	s_delay_alu instid0(VALU_DEP_2) | instskip(NEXT) | instid1(VALU_DEP_1)
	v_and_b32_e32 v9, 0x7f, v12
	v_cmpx_ne_u32_e32 0x7f, v9
	s_cbranch_execz .LBB189_1124
; %bb.1121:                             ;   in Loop: Header=BB189_1075 Depth=1
	v_dual_lshrrev_b32 v0, 3, v9 :: v_dual_bitop2_b32 v42, 7, v12 bitop3:0x40
	s_mov_b32 s19, exec_lo
	v_cmpx_gt_u32_e32 8, v9
; %bb.1122:                             ;   in Loop: Header=BB189_1075 Depth=1
	s_delay_alu instid0(VALU_DEP_2) | instskip(NEXT) | instid1(VALU_DEP_1)
	v_clz_i32_u32_e32 v0, v42
	v_min_u32_e32 v0, 32, v0
	s_delay_alu instid0(VALU_DEP_1) | instskip(SKIP_1) | instid1(VALU_DEP_2)
	v_subrev_nc_u32_e32 v1, 28, v0
	v_sub_nc_u32_e32 v0, 29, v0
	v_lshlrev_b64_e32 v[12:13], v1, v[42:43]
	s_delay_alu instid0(VALU_DEP_1)
	v_and_b32_e32 v42, 7, v12
; %bb.1123:                             ;   in Loop: Header=BB189_1075 Depth=1
	s_or_b32 exec_lo, exec_lo, s19
	s_delay_alu instid0(VALU_DEP_1) | instskip(SKIP_1) | instid1(VALU_DEP_2)
	v_dual_lshlrev_b32 v1, 16, v8 :: v_dual_lshlrev_b32 v9, 20, v42
	v_lshl_add_u32 v0, v0, 23, 0x3c000000
	v_and_b32_e32 v1, 0x80000000, v1
	s_delay_alu instid0(VALU_DEP_1)
	v_or3_b32 v1, v9, v1, v0
	v_mov_b32_e32 v0, v43
.LBB189_1124:                           ;   in Loop: Header=BB189_1075 Depth=1
	s_or_b32 exec_lo, exec_lo, s18
.LBB189_1125:                           ;   in Loop: Header=BB189_1075 Depth=1
	s_delay_alu instid0(SALU_CYCLE_1)
	s_or_b32 exec_lo, exec_lo, s17
.LBB189_1126:                           ;   in Loop: Header=BB189_1075 Depth=1
	s_delay_alu instid0(SALU_CYCLE_1) | instskip(SKIP_4) | instid1(VALU_DEP_3)
	s_or_b32 exec_lo, exec_lo, s16
	v_lshrrev_b32_e32 v9, 16, v8
	v_mov_b64_e32 v[12:13], 0
	v_mov_b64_e32 v[14:15], 0
	s_mov_b32 s16, exec_lo
	v_and_b32_e32 v16, 0xff, v9
	s_delay_alu instid0(VALU_DEP_1)
	v_cmpx_ne_u16_e32 0, v16
	s_cbranch_execz .LBB189_1134
; %bb.1127:                             ;   in Loop: Header=BB189_1075 Depth=1
	v_mov_b64_e32 v[14:15], 0x80000000
	s_mov_b32 s17, exec_lo
	v_cmpx_ne_u16_e32 0x80, v16
	s_cbranch_execz .LBB189_1133
; %bb.1128:                             ;   in Loop: Header=BB189_1075 Depth=1
	v_mov_b64_e32 v[14:15], 0x7f800001
	v_bfe_u32 v16, v8, 16, 7
	s_mov_b32 s18, exec_lo
	s_delay_alu instid0(VALU_DEP_1)
	v_cmpx_ne_u32_e32 0x7f, v16
	s_cbranch_execz .LBB189_1132
; %bb.1129:                             ;   in Loop: Header=BB189_1075 Depth=1
	v_dual_lshrrev_b32 v14, 3, v16 :: v_dual_bitop2_b32 v42, 7, v9 bitop3:0x40
	s_mov_b32 s19, exec_lo
	v_cmpx_gt_u32_e32 8, v16
; %bb.1130:                             ;   in Loop: Header=BB189_1075 Depth=1
	s_delay_alu instid0(VALU_DEP_2) | instskip(NEXT) | instid1(VALU_DEP_1)
	v_clz_i32_u32_e32 v14, v42
	v_min_u32_e32 v14, 32, v14
	s_delay_alu instid0(VALU_DEP_1) | instskip(NEXT) | instid1(VALU_DEP_1)
	v_subrev_nc_u32_e32 v15, 28, v14
	v_lshlrev_b64_e32 v[16:17], v15, v[42:43]
	s_delay_alu instid0(VALU_DEP_1)
	v_dual_sub_nc_u32 v14, 29, v14 :: v_dual_bitop2_b32 v42, 7, v16 bitop3:0x40
; %bb.1131:                             ;   in Loop: Header=BB189_1075 Depth=1
	s_or_b32 exec_lo, exec_lo, s19
	s_delay_alu instid0(VALU_DEP_1) | instskip(NEXT) | instid1(VALU_DEP_2)
	v_dual_lshlrev_b32 v9, 24, v9 :: v_dual_lshlrev_b32 v15, 20, v42
	v_lshl_add_u32 v14, v14, 23, 0x3c000000
	s_delay_alu instid0(VALU_DEP_2) | instskip(NEXT) | instid1(VALU_DEP_1)
	v_and_b32_e32 v9, 0x80000000, v9
	v_or3_b32 v42, v15, v9, v14
	s_delay_alu instid0(VALU_DEP_1)
	v_mov_b64_e32 v[14:15], v[42:43]
.LBB189_1132:                           ;   in Loop: Header=BB189_1075 Depth=1
	s_or_b32 exec_lo, exec_lo, s18
.LBB189_1133:                           ;   in Loop: Header=BB189_1075 Depth=1
	s_delay_alu instid0(SALU_CYCLE_1)
	s_or_b32 exec_lo, exec_lo, s17
.LBB189_1134:                           ;   in Loop: Header=BB189_1075 Depth=1
	s_delay_alu instid0(SALU_CYCLE_1) | instskip(NEXT) | instid1(SALU_CYCLE_1)
	s_or_b32 exec_lo, exec_lo, s16
	s_mov_b32 s16, exec_lo
	v_cmpx_lt_u32_e32 0xffffff, v8
	s_cbranch_execz .LBB189_1142
; %bb.1135:                             ;   in Loop: Header=BB189_1075 Depth=1
	v_mov_b64_e32 v[12:13], 0x8000000000000000
	v_lshrrev_b32_e32 v9, 24, v8
	s_mov_b32 s17, exec_lo
	s_delay_alu instid0(VALU_DEP_1)
	v_cmpx_ne_u32_e32 0x80, v9
	s_cbranch_execz .LBB189_1141
; %bb.1136:                             ;   in Loop: Header=BB189_1075 Depth=1
	v_mov_b64_e32 v[12:13], 0x7f80000100000000
	v_bfe_u32 v16, v8, 24, 7
	s_mov_b32 s18, exec_lo
	s_delay_alu instid0(VALU_DEP_1)
	v_cmpx_ne_u32_e32 0x7f, v16
	s_cbranch_execz .LBB189_1140
; %bb.1137:                             ;   in Loop: Header=BB189_1075 Depth=1
	v_dual_lshrrev_b32 v8, 3, v16 :: v_dual_bitop2_b32 v42, 7, v9 bitop3:0x40
	s_mov_b32 s19, exec_lo
	v_cmpx_gt_u32_e32 8, v16
; %bb.1138:                             ;   in Loop: Header=BB189_1075 Depth=1
	s_delay_alu instid0(VALU_DEP_2) | instskip(NEXT) | instid1(VALU_DEP_1)
	v_clz_i32_u32_e32 v8, v42
	v_min_u32_e32 v8, 32, v8
	s_delay_alu instid0(VALU_DEP_1) | instskip(SKIP_1) | instid1(VALU_DEP_2)
	v_subrev_nc_u32_e32 v12, 28, v8
	v_sub_nc_u32_e32 v8, 29, v8
	v_lshlrev_b64_e32 v[12:13], v12, v[42:43]
	s_delay_alu instid0(VALU_DEP_1)
	v_and_b32_e32 v42, 7, v12
; %bb.1139:                             ;   in Loop: Header=BB189_1075 Depth=1
	s_or_b32 exec_lo, exec_lo, s19
	s_delay_alu instid0(VALU_DEP_1) | instskip(SKIP_1) | instid1(VALU_DEP_2)
	v_dual_lshlrev_b32 v9, 24, v9 :: v_dual_lshlrev_b32 v12, 20, v42
	v_lshl_add_u32 v8, v8, 23, 0x3c000000
	v_and_b32_e32 v9, 0x80000000, v9
	s_delay_alu instid0(VALU_DEP_1)
	v_or3_b32 v13, v12, v9, v8
	v_mov_b32_e32 v12, v43
.LBB189_1140:                           ;   in Loop: Header=BB189_1075 Depth=1
	s_or_b32 exec_lo, exec_lo, s18
.LBB189_1141:                           ;   in Loop: Header=BB189_1075 Depth=1
	s_delay_alu instid0(SALU_CYCLE_1)
	s_or_b32 exec_lo, exec_lo, s17
.LBB189_1142:                           ;   in Loop: Header=BB189_1075 Depth=1
	s_delay_alu instid0(SALU_CYCLE_1) | instskip(SKIP_4) | instid1(VALU_DEP_3)
	s_or_b32 exec_lo, exec_lo, s16
	v_dual_mov_b32 v87, v86 :: v_dual_bitop2_b32 v1, v1, v7 bitop3:0x54
	v_or_b32_e32 v0, v0, v6
	v_or_b32_e32 v7, v13, v15
	;; [unrolled: 1-line block ×3, first 2 shown]
	v_pk_mul_f32 v[0:1], v[86:87], v[0:1]
	scratch_store_b64 off, v[0:1], s32 offset:248 ; 8-byte Folded Spill
	s_wait_xcnt 0x0
	v_pk_mul_f32 v[0:1], v[86:87], v[6:7]
	scratch_store_b64 off, v[0:1], s32 offset:240 ; 8-byte Folded Spill
	s_wait_xcnt 0x0
	s_and_saveexec_b32 s16, vcc_lo
	s_cbranch_execz .LBB189_1144
; %bb.1143:                             ;   in Loop: Header=BB189_1075 Depth=1
	scratch_load_b64 v[0:1], off, s32 offset:248 th:TH_LOAD_LU ; 8-byte Folded Reload
	v_cmp_lt_i32_e64 s0, v47, v100
	s_wait_loadcnt 0x0
	s_delay_alu instid0(VALU_DEP_1) | instskip(SKIP_1) | instid1(VALU_DEP_1)
	v_cndmask_b32_e64 v0, 0, v0, s0
	v_cmp_lt_i32_e64 s0, v56, v100
	v_cndmask_b32_e64 v1, 0, v1, s0
	v_cmp_lt_i32_e64 s0, v41, v100
	s_clause 0x1
	scratch_store_b64 off, v[0:1], s32 offset:248
	scratch_load_b64 v[0:1], off, s32 offset:240 th:TH_LOAD_LU
	s_wait_loadcnt 0x0
	v_cndmask_b32_e64 v0, 0, v0, s0
	v_cmp_lt_i32_e64 s0, v40, v100
	s_delay_alu instid0(VALU_DEP_1)
	v_cndmask_b32_e64 v1, 0, v1, s0
	scratch_store_b64 off, v[0:1], s32 offset:240 ; 8-byte Folded Spill
.LBB189_1144:                           ;   in Loop: Header=BB189_1075 Depth=1
	s_wait_xcnt 0x0
	s_or_b32 exec_lo, exec_lo, s16
	flat_load_b32 v14, v[118:119] offset:256
	v_mov_b64_e32 v[0:1], 0
	v_mov_b64_e32 v[6:7], 0
	s_mov_b32 s16, exec_lo
	s_wait_loadcnt_dscnt 0x0
	v_and_b32_e32 v8, 0xff, v14
	s_wait_xcnt 0x0
	s_delay_alu instid0(VALU_DEP_1)
	v_cmpx_ne_u16_e32 0, v8
	s_cbranch_execz .LBB189_1152
; %bb.1145:                             ;   in Loop: Header=BB189_1075 Depth=1
	v_mov_b64_e32 v[6:7], 0x80000000
	s_mov_b32 s17, exec_lo
	v_cmpx_ne_u16_e32 0x80, v8
	s_cbranch_execz .LBB189_1151
; %bb.1146:                             ;   in Loop: Header=BB189_1075 Depth=1
	v_mov_b64_e32 v[6:7], 0x7f800001
	v_and_b32_e32 v8, 0x7f, v14
	s_mov_b32 s18, exec_lo
	s_delay_alu instid0(VALU_DEP_1)
	v_cmpx_ne_u32_e32 0x7f, v8
	s_cbranch_execz .LBB189_1150
; %bb.1147:                             ;   in Loop: Header=BB189_1075 Depth=1
	v_dual_lshrrev_b32 v6, 3, v8 :: v_dual_bitop2_b32 v42, 7, v14 bitop3:0x40
	s_mov_b32 s19, exec_lo
	v_cmpx_gt_u32_e32 8, v8
; %bb.1148:                             ;   in Loop: Header=BB189_1075 Depth=1
	s_delay_alu instid0(VALU_DEP_2) | instskip(NEXT) | instid1(VALU_DEP_1)
	v_clz_i32_u32_e32 v6, v42
	v_min_u32_e32 v6, 32, v6
	s_delay_alu instid0(VALU_DEP_1) | instskip(NEXT) | instid1(VALU_DEP_1)
	v_subrev_nc_u32_e32 v7, 28, v6
	v_lshlrev_b64_e32 v[8:9], v7, v[42:43]
	s_delay_alu instid0(VALU_DEP_1)
	v_dual_sub_nc_u32 v6, 29, v6 :: v_dual_bitop2_b32 v42, 7, v8 bitop3:0x40
; %bb.1149:                             ;   in Loop: Header=BB189_1075 Depth=1
	s_or_b32 exec_lo, exec_lo, s19
	v_lshlrev_b32_e32 v7, 24, v14
	s_delay_alu instid0(VALU_DEP_2) | instskip(NEXT) | instid1(VALU_DEP_3)
	v_lshlrev_b32_e32 v8, 20, v42
	v_lshl_add_u32 v6, v6, 23, 0x3c000000
	s_delay_alu instid0(VALU_DEP_3) | instskip(NEXT) | instid1(VALU_DEP_1)
	v_and_b32_e32 v7, 0x80000000, v7
	v_or3_b32 v42, v8, v7, v6
	s_delay_alu instid0(VALU_DEP_1)
	v_mov_b64_e32 v[6:7], v[42:43]
.LBB189_1150:                           ;   in Loop: Header=BB189_1075 Depth=1
	s_or_b32 exec_lo, exec_lo, s18
.LBB189_1151:                           ;   in Loop: Header=BB189_1075 Depth=1
	s_delay_alu instid0(SALU_CYCLE_1)
	s_or_b32 exec_lo, exec_lo, s17
.LBB189_1152:                           ;   in Loop: Header=BB189_1075 Depth=1
	s_delay_alu instid0(SALU_CYCLE_1) | instskip(SKIP_2) | instid1(VALU_DEP_1)
	s_or_b32 exec_lo, exec_lo, s16
	v_lshrrev_b16 v8, 8, v14
	s_mov_b32 s16, exec_lo
	v_cmpx_ne_u16_e32 0, v8
	s_cbranch_execz .LBB189_1160
; %bb.1153:                             ;   in Loop: Header=BB189_1075 Depth=1
	v_mov_b64_e32 v[0:1], 0x8000000000000000
	s_mov_b32 s17, exec_lo
	v_cmpx_ne_u16_e32 0x80, v8
	s_cbranch_execz .LBB189_1159
; %bb.1154:                             ;   in Loop: Header=BB189_1075 Depth=1
	v_and_b32_e32 v9, 0xffff, v8
	v_mov_b64_e32 v[0:1], 0x7f80000100000000
	s_mov_b32 s18, exec_lo
	s_delay_alu instid0(VALU_DEP_2) | instskip(NEXT) | instid1(VALU_DEP_1)
	v_and_b32_e32 v8, 0x7f, v9
	v_cmpx_ne_u32_e32 0x7f, v8
	s_cbranch_execz .LBB189_1158
; %bb.1155:                             ;   in Loop: Header=BB189_1075 Depth=1
	v_dual_lshrrev_b32 v0, 3, v8 :: v_dual_bitop2_b32 v42, 7, v9 bitop3:0x40
	s_mov_b32 s19, exec_lo
	v_cmpx_gt_u32_e32 8, v8
; %bb.1156:                             ;   in Loop: Header=BB189_1075 Depth=1
	s_delay_alu instid0(VALU_DEP_2) | instskip(NEXT) | instid1(VALU_DEP_1)
	v_clz_i32_u32_e32 v0, v42
	v_min_u32_e32 v0, 32, v0
	s_delay_alu instid0(VALU_DEP_1) | instskip(SKIP_1) | instid1(VALU_DEP_2)
	v_subrev_nc_u32_e32 v1, 28, v0
	v_sub_nc_u32_e32 v0, 29, v0
	v_lshlrev_b64_e32 v[8:9], v1, v[42:43]
	s_delay_alu instid0(VALU_DEP_1)
	v_and_b32_e32 v42, 7, v8
; %bb.1157:                             ;   in Loop: Header=BB189_1075 Depth=1
	s_or_b32 exec_lo, exec_lo, s19
	v_lshlrev_b32_e32 v1, 16, v14
	s_delay_alu instid0(VALU_DEP_2) | instskip(SKIP_1) | instid1(VALU_DEP_3)
	v_lshlrev_b32_e32 v8, 20, v42
	v_lshl_add_u32 v0, v0, 23, 0x3c000000
	v_and_b32_e32 v1, 0x80000000, v1
	s_delay_alu instid0(VALU_DEP_1)
	v_or3_b32 v1, v8, v1, v0
	v_mov_b32_e32 v0, v43
.LBB189_1158:                           ;   in Loop: Header=BB189_1075 Depth=1
	s_or_b32 exec_lo, exec_lo, s18
.LBB189_1159:                           ;   in Loop: Header=BB189_1075 Depth=1
	s_delay_alu instid0(SALU_CYCLE_1)
	s_or_b32 exec_lo, exec_lo, s17
.LBB189_1160:                           ;   in Loop: Header=BB189_1075 Depth=1
	s_delay_alu instid0(SALU_CYCLE_1) | instskip(SKIP_4) | instid1(VALU_DEP_3)
	s_or_b32 exec_lo, exec_lo, s16
	v_lshrrev_b32_e32 v15, 16, v14
	v_mov_b64_e32 v[12:13], 0
	v_mov_b64_e32 v[8:9], 0
	s_mov_b32 s16, exec_lo
	v_and_b32_e32 v16, 0xff, v15
	s_delay_alu instid0(VALU_DEP_1)
	v_cmpx_ne_u16_e32 0, v16
	s_cbranch_execz .LBB189_1168
; %bb.1161:                             ;   in Loop: Header=BB189_1075 Depth=1
	v_mov_b64_e32 v[8:9], 0x80000000
	s_mov_b32 s17, exec_lo
	v_cmpx_ne_u16_e32 0x80, v16
	s_cbranch_execz .LBB189_1167
; %bb.1162:                             ;   in Loop: Header=BB189_1075 Depth=1
	v_mov_b64_e32 v[8:9], 0x7f800001
	v_bfe_u32 v16, v14, 16, 7
	s_mov_b32 s18, exec_lo
	s_delay_alu instid0(VALU_DEP_1)
	v_cmpx_ne_u32_e32 0x7f, v16
	s_cbranch_execz .LBB189_1166
; %bb.1163:                             ;   in Loop: Header=BB189_1075 Depth=1
	v_dual_lshrrev_b32 v8, 3, v16 :: v_dual_bitop2_b32 v42, 7, v15 bitop3:0x40
	s_mov_b32 s19, exec_lo
	v_cmpx_gt_u32_e32 8, v16
; %bb.1164:                             ;   in Loop: Header=BB189_1075 Depth=1
	s_delay_alu instid0(VALU_DEP_2) | instskip(NEXT) | instid1(VALU_DEP_1)
	v_clz_i32_u32_e32 v8, v42
	v_min_u32_e32 v8, 32, v8
	s_delay_alu instid0(VALU_DEP_1) | instskip(SKIP_1) | instid1(VALU_DEP_2)
	v_subrev_nc_u32_e32 v9, 28, v8
	v_sub_nc_u32_e32 v8, 29, v8
	v_lshlrev_b64_e32 v[16:17], v9, v[42:43]
	s_delay_alu instid0(VALU_DEP_1)
	v_and_b32_e32 v42, 7, v16
; %bb.1165:                             ;   in Loop: Header=BB189_1075 Depth=1
	s_or_b32 exec_lo, exec_lo, s19
	s_delay_alu instid0(VALU_DEP_1) | instskip(SKIP_1) | instid1(VALU_DEP_2)
	v_dual_lshlrev_b32 v9, 24, v15 :: v_dual_lshlrev_b32 v15, 20, v42
	v_lshl_add_u32 v8, v8, 23, 0x3c000000
	v_and_b32_e32 v9, 0x80000000, v9
	s_delay_alu instid0(VALU_DEP_1) | instskip(NEXT) | instid1(VALU_DEP_1)
	v_or3_b32 v42, v15, v9, v8
	v_mov_b64_e32 v[8:9], v[42:43]
.LBB189_1166:                           ;   in Loop: Header=BB189_1075 Depth=1
	s_or_b32 exec_lo, exec_lo, s18
.LBB189_1167:                           ;   in Loop: Header=BB189_1075 Depth=1
	s_delay_alu instid0(SALU_CYCLE_1)
	s_or_b32 exec_lo, exec_lo, s17
.LBB189_1168:                           ;   in Loop: Header=BB189_1075 Depth=1
	s_delay_alu instid0(SALU_CYCLE_1) | instskip(NEXT) | instid1(SALU_CYCLE_1)
	s_or_b32 exec_lo, exec_lo, s16
	s_mov_b32 s16, exec_lo
	v_cmpx_lt_u32_e32 0xffffff, v14
	s_cbranch_execz .LBB189_1176
; %bb.1169:                             ;   in Loop: Header=BB189_1075 Depth=1
	v_mov_b64_e32 v[12:13], 0x8000000000000000
	v_lshrrev_b32_e32 v15, 24, v14
	s_mov_b32 s17, exec_lo
	s_delay_alu instid0(VALU_DEP_1)
	v_cmpx_ne_u32_e32 0x80, v15
	s_cbranch_execz .LBB189_1175
; %bb.1170:                             ;   in Loop: Header=BB189_1075 Depth=1
	v_mov_b64_e32 v[12:13], 0x7f80000100000000
	v_bfe_u32 v14, v14, 24, 7
	s_mov_b32 s18, exec_lo
	s_delay_alu instid0(VALU_DEP_1)
	v_cmpx_ne_u32_e32 0x7f, v14
	s_cbranch_execz .LBB189_1174
; %bb.1171:                             ;   in Loop: Header=BB189_1075 Depth=1
	v_dual_lshrrev_b32 v12, 3, v14 :: v_dual_bitop2_b32 v42, 7, v15 bitop3:0x40
	s_mov_b32 s19, exec_lo
	v_cmpx_gt_u32_e32 8, v14
; %bb.1172:                             ;   in Loop: Header=BB189_1075 Depth=1
	s_delay_alu instid0(VALU_DEP_2) | instskip(NEXT) | instid1(VALU_DEP_1)
	v_clz_i32_u32_e32 v12, v42
	v_min_u32_e32 v12, 32, v12
	s_delay_alu instid0(VALU_DEP_1) | instskip(SKIP_1) | instid1(VALU_DEP_2)
	v_subrev_nc_u32_e32 v13, 28, v12
	v_sub_nc_u32_e32 v12, 29, v12
	v_lshlrev_b64_e32 v[16:17], v13, v[42:43]
	s_delay_alu instid0(VALU_DEP_1)
	v_and_b32_e32 v42, 7, v16
; %bb.1173:                             ;   in Loop: Header=BB189_1075 Depth=1
	s_or_b32 exec_lo, exec_lo, s19
	s_delay_alu instid0(VALU_DEP_1) | instskip(SKIP_1) | instid1(VALU_DEP_2)
	v_dual_lshlrev_b32 v13, 24, v15 :: v_dual_lshlrev_b32 v14, 20, v42
	v_lshl_add_u32 v12, v12, 23, 0x3c000000
	v_and_b32_e32 v13, 0x80000000, v13
	s_delay_alu instid0(VALU_DEP_1)
	v_or3_b32 v13, v14, v13, v12
	v_mov_b32_e32 v12, v43
.LBB189_1174:                           ;   in Loop: Header=BB189_1075 Depth=1
	s_or_b32 exec_lo, exec_lo, s18
.LBB189_1175:                           ;   in Loop: Header=BB189_1075 Depth=1
	s_delay_alu instid0(SALU_CYCLE_1)
	s_or_b32 exec_lo, exec_lo, s17
.LBB189_1176:                           ;   in Loop: Header=BB189_1075 Depth=1
	s_delay_alu instid0(SALU_CYCLE_1) | instskip(SKIP_4) | instid1(VALU_DEP_3)
	s_or_b32 exec_lo, exec_lo, s16
	v_or_b32_e32 v1, v1, v7
	v_or_b32_e32 v0, v0, v6
	v_or_b32_e32 v7, v13, v9
	v_or_b32_e32 v6, v12, v8
	v_pk_mul_f32 v[0:1], v[86:87], v[0:1]
	scratch_store_b64 off, v[0:1], s32 offset:264 ; 8-byte Folded Spill
	s_wait_xcnt 0x0
	v_pk_mul_f32 v[0:1], v[86:87], v[6:7]
	scratch_store_b64 off, v[0:1], s32 offset:256 ; 8-byte Folded Spill
	s_wait_xcnt 0x0
	s_and_saveexec_b32 s16, vcc_lo
	s_cbranch_execz .LBB189_1178
; %bb.1177:                             ;   in Loop: Header=BB189_1075 Depth=1
	scratch_load_b64 v[0:1], off, s32 offset:264 th:TH_LOAD_LU ; 8-byte Folded Reload
	v_cmp_lt_i32_e64 s0, v47, v100
	s_wait_loadcnt 0x0
	s_delay_alu instid0(VALU_DEP_1) | instskip(SKIP_1) | instid1(VALU_DEP_1)
	v_cndmask_b32_e64 v0, 0, v0, s0
	v_cmp_lt_i32_e64 s0, v56, v100
	v_cndmask_b32_e64 v1, 0, v1, s0
	v_cmp_lt_i32_e64 s0, v41, v100
	s_clause 0x1
	scratch_store_b64 off, v[0:1], s32 offset:264
	scratch_load_b64 v[0:1], off, s32 offset:256 th:TH_LOAD_LU
	s_wait_loadcnt 0x0
	v_cndmask_b32_e64 v0, 0, v0, s0
	v_cmp_lt_i32_e64 s0, v40, v100
	s_delay_alu instid0(VALU_DEP_1)
	v_cndmask_b32_e64 v1, 0, v1, s0
	scratch_store_b64 off, v[0:1], s32 offset:256 ; 8-byte Folded Spill
.LBB189_1178:                           ;   in Loop: Header=BB189_1075 Depth=1
	s_wait_xcnt 0x0
	s_or_b32 exec_lo, exec_lo, s16
	flat_load_b32 v14, v[118:119] offset:384
	v_mov_b64_e32 v[0:1], 0
	v_mov_b64_e32 v[6:7], 0
	s_mov_b32 s16, exec_lo
	s_wait_loadcnt_dscnt 0x0
	v_and_b32_e32 v8, 0xff, v14
	s_wait_xcnt 0x0
	s_delay_alu instid0(VALU_DEP_1)
	v_cmpx_ne_u16_e32 0, v8
	s_cbranch_execz .LBB189_1186
; %bb.1179:                             ;   in Loop: Header=BB189_1075 Depth=1
	v_mov_b64_e32 v[6:7], 0x80000000
	s_mov_b32 s17, exec_lo
	v_cmpx_ne_u16_e32 0x80, v8
	s_cbranch_execz .LBB189_1185
; %bb.1180:                             ;   in Loop: Header=BB189_1075 Depth=1
	v_mov_b64_e32 v[6:7], 0x7f800001
	v_and_b32_e32 v8, 0x7f, v14
	s_mov_b32 s18, exec_lo
	s_delay_alu instid0(VALU_DEP_1)
	v_cmpx_ne_u32_e32 0x7f, v8
	s_cbranch_execz .LBB189_1184
; %bb.1181:                             ;   in Loop: Header=BB189_1075 Depth=1
	v_dual_lshrrev_b32 v6, 3, v8 :: v_dual_bitop2_b32 v42, 7, v14 bitop3:0x40
	s_mov_b32 s19, exec_lo
	v_cmpx_gt_u32_e32 8, v8
; %bb.1182:                             ;   in Loop: Header=BB189_1075 Depth=1
	s_delay_alu instid0(VALU_DEP_2) | instskip(NEXT) | instid1(VALU_DEP_1)
	v_clz_i32_u32_e32 v6, v42
	v_min_u32_e32 v6, 32, v6
	s_delay_alu instid0(VALU_DEP_1) | instskip(NEXT) | instid1(VALU_DEP_1)
	v_subrev_nc_u32_e32 v7, 28, v6
	v_lshlrev_b64_e32 v[8:9], v7, v[42:43]
	s_delay_alu instid0(VALU_DEP_1)
	v_dual_sub_nc_u32 v6, 29, v6 :: v_dual_bitop2_b32 v42, 7, v8 bitop3:0x40
; %bb.1183:                             ;   in Loop: Header=BB189_1075 Depth=1
	s_or_b32 exec_lo, exec_lo, s19
	v_lshlrev_b32_e32 v7, 24, v14
	s_delay_alu instid0(VALU_DEP_2) | instskip(NEXT) | instid1(VALU_DEP_3)
	v_lshlrev_b32_e32 v8, 20, v42
	v_lshl_add_u32 v6, v6, 23, 0x3c000000
	s_delay_alu instid0(VALU_DEP_3) | instskip(NEXT) | instid1(VALU_DEP_1)
	v_and_b32_e32 v7, 0x80000000, v7
	v_or3_b32 v42, v8, v7, v6
	s_delay_alu instid0(VALU_DEP_1)
	v_mov_b64_e32 v[6:7], v[42:43]
.LBB189_1184:                           ;   in Loop: Header=BB189_1075 Depth=1
	s_or_b32 exec_lo, exec_lo, s18
.LBB189_1185:                           ;   in Loop: Header=BB189_1075 Depth=1
	s_delay_alu instid0(SALU_CYCLE_1)
	s_or_b32 exec_lo, exec_lo, s17
.LBB189_1186:                           ;   in Loop: Header=BB189_1075 Depth=1
	s_delay_alu instid0(SALU_CYCLE_1) | instskip(SKIP_2) | instid1(VALU_DEP_1)
	s_or_b32 exec_lo, exec_lo, s16
	v_lshrrev_b16 v8, 8, v14
	s_mov_b32 s16, exec_lo
	v_cmpx_ne_u16_e32 0, v8
	s_cbranch_execz .LBB189_1194
; %bb.1187:                             ;   in Loop: Header=BB189_1075 Depth=1
	v_mov_b64_e32 v[0:1], 0x8000000000000000
	s_mov_b32 s17, exec_lo
	v_cmpx_ne_u16_e32 0x80, v8
	s_cbranch_execz .LBB189_1193
; %bb.1188:                             ;   in Loop: Header=BB189_1075 Depth=1
	v_and_b32_e32 v9, 0xffff, v8
	v_mov_b64_e32 v[0:1], 0x7f80000100000000
	s_mov_b32 s18, exec_lo
	s_delay_alu instid0(VALU_DEP_2) | instskip(NEXT) | instid1(VALU_DEP_1)
	v_and_b32_e32 v8, 0x7f, v9
	v_cmpx_ne_u32_e32 0x7f, v8
	s_cbranch_execz .LBB189_1192
; %bb.1189:                             ;   in Loop: Header=BB189_1075 Depth=1
	v_dual_lshrrev_b32 v0, 3, v8 :: v_dual_bitop2_b32 v42, 7, v9 bitop3:0x40
	s_mov_b32 s19, exec_lo
	v_cmpx_gt_u32_e32 8, v8
; %bb.1190:                             ;   in Loop: Header=BB189_1075 Depth=1
	s_delay_alu instid0(VALU_DEP_2) | instskip(NEXT) | instid1(VALU_DEP_1)
	v_clz_i32_u32_e32 v0, v42
	v_min_u32_e32 v0, 32, v0
	s_delay_alu instid0(VALU_DEP_1) | instskip(SKIP_1) | instid1(VALU_DEP_2)
	v_subrev_nc_u32_e32 v1, 28, v0
	v_sub_nc_u32_e32 v0, 29, v0
	v_lshlrev_b64_e32 v[8:9], v1, v[42:43]
	s_delay_alu instid0(VALU_DEP_1)
	v_and_b32_e32 v42, 7, v8
; %bb.1191:                             ;   in Loop: Header=BB189_1075 Depth=1
	s_or_b32 exec_lo, exec_lo, s19
	v_lshlrev_b32_e32 v1, 16, v14
	s_delay_alu instid0(VALU_DEP_2) | instskip(SKIP_1) | instid1(VALU_DEP_3)
	v_lshlrev_b32_e32 v8, 20, v42
	v_lshl_add_u32 v0, v0, 23, 0x3c000000
	v_and_b32_e32 v1, 0x80000000, v1
	s_delay_alu instid0(VALU_DEP_1)
	v_or3_b32 v1, v8, v1, v0
	v_mov_b32_e32 v0, v43
.LBB189_1192:                           ;   in Loop: Header=BB189_1075 Depth=1
	s_or_b32 exec_lo, exec_lo, s18
.LBB189_1193:                           ;   in Loop: Header=BB189_1075 Depth=1
	s_delay_alu instid0(SALU_CYCLE_1)
	s_or_b32 exec_lo, exec_lo, s17
.LBB189_1194:                           ;   in Loop: Header=BB189_1075 Depth=1
	s_delay_alu instid0(SALU_CYCLE_1) | instskip(SKIP_4) | instid1(VALU_DEP_3)
	s_or_b32 exec_lo, exec_lo, s16
	v_lshrrev_b32_e32 v15, 16, v14
	v_mov_b64_e32 v[12:13], 0
	v_mov_b64_e32 v[8:9], 0
	s_mov_b32 s16, exec_lo
	v_and_b32_e32 v16, 0xff, v15
	s_delay_alu instid0(VALU_DEP_1)
	v_cmpx_ne_u16_e32 0, v16
	s_cbranch_execz .LBB189_1202
; %bb.1195:                             ;   in Loop: Header=BB189_1075 Depth=1
	v_mov_b64_e32 v[8:9], 0x80000000
	s_mov_b32 s17, exec_lo
	v_cmpx_ne_u16_e32 0x80, v16
	s_cbranch_execz .LBB189_1201
; %bb.1196:                             ;   in Loop: Header=BB189_1075 Depth=1
	v_mov_b64_e32 v[8:9], 0x7f800001
	v_bfe_u32 v16, v14, 16, 7
	s_mov_b32 s18, exec_lo
	s_delay_alu instid0(VALU_DEP_1)
	v_cmpx_ne_u32_e32 0x7f, v16
	s_cbranch_execz .LBB189_1200
; %bb.1197:                             ;   in Loop: Header=BB189_1075 Depth=1
	v_dual_lshrrev_b32 v8, 3, v16 :: v_dual_bitop2_b32 v42, 7, v15 bitop3:0x40
	s_mov_b32 s19, exec_lo
	v_cmpx_gt_u32_e32 8, v16
; %bb.1198:                             ;   in Loop: Header=BB189_1075 Depth=1
	s_delay_alu instid0(VALU_DEP_2) | instskip(NEXT) | instid1(VALU_DEP_1)
	v_clz_i32_u32_e32 v8, v42
	v_min_u32_e32 v8, 32, v8
	s_delay_alu instid0(VALU_DEP_1) | instskip(SKIP_1) | instid1(VALU_DEP_2)
	v_subrev_nc_u32_e32 v9, 28, v8
	v_sub_nc_u32_e32 v8, 29, v8
	v_lshlrev_b64_e32 v[16:17], v9, v[42:43]
	s_delay_alu instid0(VALU_DEP_1)
	v_and_b32_e32 v42, 7, v16
; %bb.1199:                             ;   in Loop: Header=BB189_1075 Depth=1
	s_or_b32 exec_lo, exec_lo, s19
	s_delay_alu instid0(VALU_DEP_1) | instskip(SKIP_1) | instid1(VALU_DEP_2)
	v_dual_lshlrev_b32 v9, 24, v15 :: v_dual_lshlrev_b32 v15, 20, v42
	v_lshl_add_u32 v8, v8, 23, 0x3c000000
	v_and_b32_e32 v9, 0x80000000, v9
	s_delay_alu instid0(VALU_DEP_1) | instskip(NEXT) | instid1(VALU_DEP_1)
	v_or3_b32 v42, v15, v9, v8
	v_mov_b64_e32 v[8:9], v[42:43]
.LBB189_1200:                           ;   in Loop: Header=BB189_1075 Depth=1
	s_or_b32 exec_lo, exec_lo, s18
.LBB189_1201:                           ;   in Loop: Header=BB189_1075 Depth=1
	s_delay_alu instid0(SALU_CYCLE_1)
	s_or_b32 exec_lo, exec_lo, s17
.LBB189_1202:                           ;   in Loop: Header=BB189_1075 Depth=1
	s_delay_alu instid0(SALU_CYCLE_1) | instskip(NEXT) | instid1(SALU_CYCLE_1)
	s_or_b32 exec_lo, exec_lo, s16
	s_mov_b32 s16, exec_lo
	v_cmpx_lt_u32_e32 0xffffff, v14
	s_cbranch_execz .LBB189_1210
; %bb.1203:                             ;   in Loop: Header=BB189_1075 Depth=1
	v_mov_b64_e32 v[12:13], 0x8000000000000000
	v_lshrrev_b32_e32 v15, 24, v14
	s_mov_b32 s17, exec_lo
	s_delay_alu instid0(VALU_DEP_1)
	v_cmpx_ne_u32_e32 0x80, v15
	s_cbranch_execz .LBB189_1209
; %bb.1204:                             ;   in Loop: Header=BB189_1075 Depth=1
	v_mov_b64_e32 v[12:13], 0x7f80000100000000
	v_bfe_u32 v14, v14, 24, 7
	s_mov_b32 s18, exec_lo
	s_delay_alu instid0(VALU_DEP_1)
	v_cmpx_ne_u32_e32 0x7f, v14
	s_cbranch_execz .LBB189_1208
; %bb.1205:                             ;   in Loop: Header=BB189_1075 Depth=1
	v_dual_lshrrev_b32 v12, 3, v14 :: v_dual_bitop2_b32 v42, 7, v15 bitop3:0x40
	s_mov_b32 s19, exec_lo
	v_cmpx_gt_u32_e32 8, v14
; %bb.1206:                             ;   in Loop: Header=BB189_1075 Depth=1
	s_delay_alu instid0(VALU_DEP_2) | instskip(NEXT) | instid1(VALU_DEP_1)
	v_clz_i32_u32_e32 v12, v42
	v_min_u32_e32 v12, 32, v12
	s_delay_alu instid0(VALU_DEP_1) | instskip(SKIP_1) | instid1(VALU_DEP_2)
	v_subrev_nc_u32_e32 v13, 28, v12
	v_sub_nc_u32_e32 v12, 29, v12
	v_lshlrev_b64_e32 v[16:17], v13, v[42:43]
	s_delay_alu instid0(VALU_DEP_1)
	v_and_b32_e32 v42, 7, v16
; %bb.1207:                             ;   in Loop: Header=BB189_1075 Depth=1
	s_or_b32 exec_lo, exec_lo, s19
	s_delay_alu instid0(VALU_DEP_1) | instskip(SKIP_1) | instid1(VALU_DEP_2)
	v_dual_lshlrev_b32 v13, 24, v15 :: v_dual_lshlrev_b32 v14, 20, v42
	v_lshl_add_u32 v12, v12, 23, 0x3c000000
	v_and_b32_e32 v13, 0x80000000, v13
	s_delay_alu instid0(VALU_DEP_1)
	v_or3_b32 v13, v14, v13, v12
	v_mov_b32_e32 v12, v43
.LBB189_1208:                           ;   in Loop: Header=BB189_1075 Depth=1
	s_or_b32 exec_lo, exec_lo, s18
.LBB189_1209:                           ;   in Loop: Header=BB189_1075 Depth=1
	s_delay_alu instid0(SALU_CYCLE_1)
	s_or_b32 exec_lo, exec_lo, s17
.LBB189_1210:                           ;   in Loop: Header=BB189_1075 Depth=1
	s_delay_alu instid0(SALU_CYCLE_1) | instskip(SKIP_4) | instid1(VALU_DEP_3)
	s_or_b32 exec_lo, exec_lo, s16
	v_or_b32_e32 v1, v1, v7
	v_or_b32_e32 v0, v0, v6
	;; [unrolled: 1-line block ×4, first 2 shown]
	v_pk_mul_f32 v[0:1], v[86:87], v[0:1]
	scratch_store_b64 off, v[0:1], s32 offset:280 ; 8-byte Folded Spill
	s_wait_xcnt 0x0
	v_pk_mul_f32 v[0:1], v[86:87], v[6:7]
	scratch_store_b64 off, v[0:1], s32 offset:272 ; 8-byte Folded Spill
	s_wait_xcnt 0x0
	s_and_saveexec_b32 s16, vcc_lo
	s_cbranch_execz .LBB189_1212
; %bb.1211:                             ;   in Loop: Header=BB189_1075 Depth=1
	scratch_load_b64 v[0:1], off, s32 offset:280 th:TH_LOAD_LU ; 8-byte Folded Reload
	v_cmp_lt_i32_e64 s0, v47, v100
	s_wait_loadcnt 0x0
	s_delay_alu instid0(VALU_DEP_1) | instskip(SKIP_1) | instid1(VALU_DEP_1)
	v_cndmask_b32_e64 v0, 0, v0, s0
	v_cmp_lt_i32_e64 s0, v56, v100
	v_cndmask_b32_e64 v1, 0, v1, s0
	v_cmp_lt_i32_e64 s0, v41, v100
	s_clause 0x1
	scratch_store_b64 off, v[0:1], s32 offset:280
	scratch_load_b64 v[0:1], off, s32 offset:272 th:TH_LOAD_LU
	s_wait_loadcnt 0x0
	v_cndmask_b32_e64 v0, 0, v0, s0
	v_cmp_lt_i32_e64 s0, v40, v100
	s_delay_alu instid0(VALU_DEP_1)
	v_cndmask_b32_e64 v1, 0, v1, s0
	scratch_store_b64 off, v[0:1], s32 offset:272 ; 8-byte Folded Spill
.LBB189_1212:                           ;   in Loop: Header=BB189_1075 Depth=1
	s_wait_xcnt 0x0
	s_or_b32 exec_lo, exec_lo, s16
	flat_load_b32 v14, v[118:119] offset:512
	v_mov_b64_e32 v[0:1], 0
	v_mov_b64_e32 v[6:7], 0
	s_mov_b32 s16, exec_lo
	s_wait_loadcnt_dscnt 0x0
	v_and_b32_e32 v8, 0xff, v14
	s_wait_xcnt 0x0
	s_delay_alu instid0(VALU_DEP_1)
	v_cmpx_ne_u16_e32 0, v8
	s_cbranch_execz .LBB189_1220
; %bb.1213:                             ;   in Loop: Header=BB189_1075 Depth=1
	v_mov_b64_e32 v[6:7], 0x80000000
	s_mov_b32 s17, exec_lo
	v_cmpx_ne_u16_e32 0x80, v8
	s_cbranch_execz .LBB189_1219
; %bb.1214:                             ;   in Loop: Header=BB189_1075 Depth=1
	v_mov_b64_e32 v[6:7], 0x7f800001
	v_and_b32_e32 v8, 0x7f, v14
	s_mov_b32 s18, exec_lo
	s_delay_alu instid0(VALU_DEP_1)
	v_cmpx_ne_u32_e32 0x7f, v8
	s_cbranch_execz .LBB189_1218
; %bb.1215:                             ;   in Loop: Header=BB189_1075 Depth=1
	v_dual_lshrrev_b32 v6, 3, v8 :: v_dual_bitop2_b32 v42, 7, v14 bitop3:0x40
	s_mov_b32 s19, exec_lo
	v_cmpx_gt_u32_e32 8, v8
; %bb.1216:                             ;   in Loop: Header=BB189_1075 Depth=1
	s_delay_alu instid0(VALU_DEP_2) | instskip(NEXT) | instid1(VALU_DEP_1)
	v_clz_i32_u32_e32 v6, v42
	v_min_u32_e32 v6, 32, v6
	s_delay_alu instid0(VALU_DEP_1) | instskip(NEXT) | instid1(VALU_DEP_1)
	v_subrev_nc_u32_e32 v7, 28, v6
	v_lshlrev_b64_e32 v[8:9], v7, v[42:43]
	s_delay_alu instid0(VALU_DEP_1)
	v_dual_sub_nc_u32 v6, 29, v6 :: v_dual_bitop2_b32 v42, 7, v8 bitop3:0x40
; %bb.1217:                             ;   in Loop: Header=BB189_1075 Depth=1
	s_or_b32 exec_lo, exec_lo, s19
	v_lshlrev_b32_e32 v7, 24, v14
	s_delay_alu instid0(VALU_DEP_2) | instskip(NEXT) | instid1(VALU_DEP_3)
	v_lshlrev_b32_e32 v8, 20, v42
	v_lshl_add_u32 v6, v6, 23, 0x3c000000
	s_delay_alu instid0(VALU_DEP_3) | instskip(NEXT) | instid1(VALU_DEP_1)
	v_and_b32_e32 v7, 0x80000000, v7
	v_or3_b32 v42, v8, v7, v6
	s_delay_alu instid0(VALU_DEP_1)
	v_mov_b64_e32 v[6:7], v[42:43]
.LBB189_1218:                           ;   in Loop: Header=BB189_1075 Depth=1
	s_or_b32 exec_lo, exec_lo, s18
.LBB189_1219:                           ;   in Loop: Header=BB189_1075 Depth=1
	s_delay_alu instid0(SALU_CYCLE_1)
	s_or_b32 exec_lo, exec_lo, s17
.LBB189_1220:                           ;   in Loop: Header=BB189_1075 Depth=1
	s_delay_alu instid0(SALU_CYCLE_1) | instskip(SKIP_2) | instid1(VALU_DEP_1)
	s_or_b32 exec_lo, exec_lo, s16
	v_lshrrev_b16 v8, 8, v14
	s_mov_b32 s16, exec_lo
	v_cmpx_ne_u16_e32 0, v8
	s_cbranch_execz .LBB189_1228
; %bb.1221:                             ;   in Loop: Header=BB189_1075 Depth=1
	v_mov_b64_e32 v[0:1], 0x8000000000000000
	s_mov_b32 s17, exec_lo
	v_cmpx_ne_u16_e32 0x80, v8
	s_cbranch_execz .LBB189_1227
; %bb.1222:                             ;   in Loop: Header=BB189_1075 Depth=1
	v_and_b32_e32 v9, 0xffff, v8
	v_mov_b64_e32 v[0:1], 0x7f80000100000000
	s_mov_b32 s18, exec_lo
	s_delay_alu instid0(VALU_DEP_2) | instskip(NEXT) | instid1(VALU_DEP_1)
	v_and_b32_e32 v8, 0x7f, v9
	v_cmpx_ne_u32_e32 0x7f, v8
	s_cbranch_execz .LBB189_1226
; %bb.1223:                             ;   in Loop: Header=BB189_1075 Depth=1
	v_dual_lshrrev_b32 v0, 3, v8 :: v_dual_bitop2_b32 v42, 7, v9 bitop3:0x40
	s_mov_b32 s19, exec_lo
	v_cmpx_gt_u32_e32 8, v8
; %bb.1224:                             ;   in Loop: Header=BB189_1075 Depth=1
	s_delay_alu instid0(VALU_DEP_2) | instskip(NEXT) | instid1(VALU_DEP_1)
	v_clz_i32_u32_e32 v0, v42
	v_min_u32_e32 v0, 32, v0
	s_delay_alu instid0(VALU_DEP_1) | instskip(SKIP_1) | instid1(VALU_DEP_2)
	v_subrev_nc_u32_e32 v1, 28, v0
	v_sub_nc_u32_e32 v0, 29, v0
	v_lshlrev_b64_e32 v[8:9], v1, v[42:43]
	s_delay_alu instid0(VALU_DEP_1)
	v_and_b32_e32 v42, 7, v8
; %bb.1225:                             ;   in Loop: Header=BB189_1075 Depth=1
	s_or_b32 exec_lo, exec_lo, s19
	v_lshlrev_b32_e32 v1, 16, v14
	s_delay_alu instid0(VALU_DEP_2) | instskip(SKIP_1) | instid1(VALU_DEP_3)
	v_lshlrev_b32_e32 v8, 20, v42
	v_lshl_add_u32 v0, v0, 23, 0x3c000000
	v_and_b32_e32 v1, 0x80000000, v1
	s_delay_alu instid0(VALU_DEP_1)
	v_or3_b32 v1, v8, v1, v0
	v_mov_b32_e32 v0, v43
.LBB189_1226:                           ;   in Loop: Header=BB189_1075 Depth=1
	s_or_b32 exec_lo, exec_lo, s18
.LBB189_1227:                           ;   in Loop: Header=BB189_1075 Depth=1
	s_delay_alu instid0(SALU_CYCLE_1)
	s_or_b32 exec_lo, exec_lo, s17
.LBB189_1228:                           ;   in Loop: Header=BB189_1075 Depth=1
	s_delay_alu instid0(SALU_CYCLE_1) | instskip(SKIP_4) | instid1(VALU_DEP_3)
	s_or_b32 exec_lo, exec_lo, s16
	v_lshrrev_b32_e32 v15, 16, v14
	v_mov_b64_e32 v[12:13], 0
	v_mov_b64_e32 v[8:9], 0
	s_mov_b32 s16, exec_lo
	v_and_b32_e32 v16, 0xff, v15
	s_delay_alu instid0(VALU_DEP_1)
	v_cmpx_ne_u16_e32 0, v16
	s_cbranch_execz .LBB189_1236
; %bb.1229:                             ;   in Loop: Header=BB189_1075 Depth=1
	v_mov_b64_e32 v[8:9], 0x80000000
	s_mov_b32 s17, exec_lo
	v_cmpx_ne_u16_e32 0x80, v16
	s_cbranch_execz .LBB189_1235
; %bb.1230:                             ;   in Loop: Header=BB189_1075 Depth=1
	v_mov_b64_e32 v[8:9], 0x7f800001
	v_bfe_u32 v16, v14, 16, 7
	s_mov_b32 s18, exec_lo
	s_delay_alu instid0(VALU_DEP_1)
	v_cmpx_ne_u32_e32 0x7f, v16
	s_cbranch_execz .LBB189_1234
; %bb.1231:                             ;   in Loop: Header=BB189_1075 Depth=1
	v_dual_lshrrev_b32 v8, 3, v16 :: v_dual_bitop2_b32 v42, 7, v15 bitop3:0x40
	s_mov_b32 s19, exec_lo
	v_cmpx_gt_u32_e32 8, v16
; %bb.1232:                             ;   in Loop: Header=BB189_1075 Depth=1
	s_delay_alu instid0(VALU_DEP_2) | instskip(NEXT) | instid1(VALU_DEP_1)
	v_clz_i32_u32_e32 v8, v42
	v_min_u32_e32 v8, 32, v8
	s_delay_alu instid0(VALU_DEP_1) | instskip(SKIP_1) | instid1(VALU_DEP_2)
	v_subrev_nc_u32_e32 v9, 28, v8
	v_sub_nc_u32_e32 v8, 29, v8
	v_lshlrev_b64_e32 v[16:17], v9, v[42:43]
	s_delay_alu instid0(VALU_DEP_1)
	v_and_b32_e32 v42, 7, v16
; %bb.1233:                             ;   in Loop: Header=BB189_1075 Depth=1
	s_or_b32 exec_lo, exec_lo, s19
	s_delay_alu instid0(VALU_DEP_1) | instskip(SKIP_1) | instid1(VALU_DEP_2)
	v_dual_lshlrev_b32 v9, 24, v15 :: v_dual_lshlrev_b32 v15, 20, v42
	v_lshl_add_u32 v8, v8, 23, 0x3c000000
	v_and_b32_e32 v9, 0x80000000, v9
	s_delay_alu instid0(VALU_DEP_1) | instskip(NEXT) | instid1(VALU_DEP_1)
	v_or3_b32 v42, v15, v9, v8
	v_mov_b64_e32 v[8:9], v[42:43]
.LBB189_1234:                           ;   in Loop: Header=BB189_1075 Depth=1
	s_or_b32 exec_lo, exec_lo, s18
.LBB189_1235:                           ;   in Loop: Header=BB189_1075 Depth=1
	s_delay_alu instid0(SALU_CYCLE_1)
	s_or_b32 exec_lo, exec_lo, s17
.LBB189_1236:                           ;   in Loop: Header=BB189_1075 Depth=1
	s_delay_alu instid0(SALU_CYCLE_1) | instskip(NEXT) | instid1(SALU_CYCLE_1)
	s_or_b32 exec_lo, exec_lo, s16
	s_mov_b32 s16, exec_lo
	v_cmpx_lt_u32_e32 0xffffff, v14
	s_cbranch_execz .LBB189_1244
; %bb.1237:                             ;   in Loop: Header=BB189_1075 Depth=1
	v_mov_b64_e32 v[12:13], 0x8000000000000000
	v_lshrrev_b32_e32 v15, 24, v14
	s_mov_b32 s17, exec_lo
	s_delay_alu instid0(VALU_DEP_1)
	v_cmpx_ne_u32_e32 0x80, v15
	s_cbranch_execz .LBB189_1243
; %bb.1238:                             ;   in Loop: Header=BB189_1075 Depth=1
	v_mov_b64_e32 v[12:13], 0x7f80000100000000
	v_bfe_u32 v14, v14, 24, 7
	s_mov_b32 s18, exec_lo
	s_delay_alu instid0(VALU_DEP_1)
	v_cmpx_ne_u32_e32 0x7f, v14
	s_cbranch_execz .LBB189_1242
; %bb.1239:                             ;   in Loop: Header=BB189_1075 Depth=1
	v_dual_lshrrev_b32 v12, 3, v14 :: v_dual_bitop2_b32 v42, 7, v15 bitop3:0x40
	s_mov_b32 s19, exec_lo
	v_cmpx_gt_u32_e32 8, v14
; %bb.1240:                             ;   in Loop: Header=BB189_1075 Depth=1
	s_delay_alu instid0(VALU_DEP_2) | instskip(NEXT) | instid1(VALU_DEP_1)
	v_clz_i32_u32_e32 v12, v42
	v_min_u32_e32 v12, 32, v12
	s_delay_alu instid0(VALU_DEP_1) | instskip(SKIP_1) | instid1(VALU_DEP_2)
	v_subrev_nc_u32_e32 v13, 28, v12
	v_sub_nc_u32_e32 v12, 29, v12
	v_lshlrev_b64_e32 v[16:17], v13, v[42:43]
	s_delay_alu instid0(VALU_DEP_1)
	v_and_b32_e32 v42, 7, v16
; %bb.1241:                             ;   in Loop: Header=BB189_1075 Depth=1
	s_or_b32 exec_lo, exec_lo, s19
	s_delay_alu instid0(VALU_DEP_1) | instskip(SKIP_1) | instid1(VALU_DEP_2)
	v_dual_lshlrev_b32 v13, 24, v15 :: v_dual_lshlrev_b32 v14, 20, v42
	v_lshl_add_u32 v12, v12, 23, 0x3c000000
	v_and_b32_e32 v13, 0x80000000, v13
	s_delay_alu instid0(VALU_DEP_1)
	v_or3_b32 v13, v14, v13, v12
	v_mov_b32_e32 v12, v43
.LBB189_1242:                           ;   in Loop: Header=BB189_1075 Depth=1
	s_or_b32 exec_lo, exec_lo, s18
.LBB189_1243:                           ;   in Loop: Header=BB189_1075 Depth=1
	s_delay_alu instid0(SALU_CYCLE_1)
	s_or_b32 exec_lo, exec_lo, s17
.LBB189_1244:                           ;   in Loop: Header=BB189_1075 Depth=1
	s_delay_alu instid0(SALU_CYCLE_1) | instskip(SKIP_4) | instid1(VALU_DEP_3)
	s_or_b32 exec_lo, exec_lo, s16
	v_or_b32_e32 v1, v1, v7
	v_or_b32_e32 v0, v0, v6
	;; [unrolled: 1-line block ×4, first 2 shown]
	v_pk_mul_f32 v[0:1], v[86:87], v[0:1]
	scratch_store_b64 off, v[0:1], s32 offset:296 ; 8-byte Folded Spill
	s_wait_xcnt 0x0
	v_pk_mul_f32 v[0:1], v[86:87], v[6:7]
	scratch_store_b64 off, v[0:1], s32 offset:288 ; 8-byte Folded Spill
	s_wait_xcnt 0x0
	s_and_saveexec_b32 s16, vcc_lo
	s_cbranch_execz .LBB189_1246
; %bb.1245:                             ;   in Loop: Header=BB189_1075 Depth=1
	scratch_load_b64 v[0:1], off, s32 offset:296 th:TH_LOAD_LU ; 8-byte Folded Reload
	v_cmp_lt_i32_e64 s0, v47, v100
	s_wait_loadcnt 0x0
	s_delay_alu instid0(VALU_DEP_1) | instskip(SKIP_1) | instid1(VALU_DEP_1)
	v_cndmask_b32_e64 v0, 0, v0, s0
	v_cmp_lt_i32_e64 s0, v56, v100
	v_cndmask_b32_e64 v1, 0, v1, s0
	v_cmp_lt_i32_e64 s0, v41, v100
	s_clause 0x1
	scratch_store_b64 off, v[0:1], s32 offset:296
	scratch_load_b64 v[0:1], off, s32 offset:288 th:TH_LOAD_LU
	s_wait_loadcnt 0x0
	v_cndmask_b32_e64 v0, 0, v0, s0
	v_cmp_lt_i32_e64 s0, v40, v100
	s_delay_alu instid0(VALU_DEP_1)
	v_cndmask_b32_e64 v1, 0, v1, s0
	scratch_store_b64 off, v[0:1], s32 offset:288 ; 8-byte Folded Spill
.LBB189_1246:                           ;   in Loop: Header=BB189_1075 Depth=1
	s_wait_xcnt 0x0
	s_or_b32 exec_lo, exec_lo, s16
	flat_load_b32 v14, v[118:119] offset:640
	v_mov_b64_e32 v[0:1], 0
	v_mov_b64_e32 v[6:7], 0
	s_mov_b32 s16, exec_lo
	s_wait_loadcnt_dscnt 0x0
	v_and_b32_e32 v8, 0xff, v14
	s_wait_xcnt 0x0
	s_delay_alu instid0(VALU_DEP_1)
	v_cmpx_ne_u16_e32 0, v8
	s_cbranch_execz .LBB189_1254
; %bb.1247:                             ;   in Loop: Header=BB189_1075 Depth=1
	v_mov_b64_e32 v[6:7], 0x80000000
	s_mov_b32 s17, exec_lo
	v_cmpx_ne_u16_e32 0x80, v8
	s_cbranch_execz .LBB189_1253
; %bb.1248:                             ;   in Loop: Header=BB189_1075 Depth=1
	v_mov_b64_e32 v[6:7], 0x7f800001
	v_and_b32_e32 v8, 0x7f, v14
	s_mov_b32 s18, exec_lo
	s_delay_alu instid0(VALU_DEP_1)
	v_cmpx_ne_u32_e32 0x7f, v8
	s_cbranch_execz .LBB189_1252
; %bb.1249:                             ;   in Loop: Header=BB189_1075 Depth=1
	v_dual_lshrrev_b32 v6, 3, v8 :: v_dual_bitop2_b32 v42, 7, v14 bitop3:0x40
	s_mov_b32 s19, exec_lo
	v_cmpx_gt_u32_e32 8, v8
; %bb.1250:                             ;   in Loop: Header=BB189_1075 Depth=1
	s_delay_alu instid0(VALU_DEP_2) | instskip(NEXT) | instid1(VALU_DEP_1)
	v_clz_i32_u32_e32 v6, v42
	v_min_u32_e32 v6, 32, v6
	s_delay_alu instid0(VALU_DEP_1) | instskip(NEXT) | instid1(VALU_DEP_1)
	v_subrev_nc_u32_e32 v7, 28, v6
	v_lshlrev_b64_e32 v[8:9], v7, v[42:43]
	s_delay_alu instid0(VALU_DEP_1)
	v_dual_sub_nc_u32 v6, 29, v6 :: v_dual_bitop2_b32 v42, 7, v8 bitop3:0x40
; %bb.1251:                             ;   in Loop: Header=BB189_1075 Depth=1
	s_or_b32 exec_lo, exec_lo, s19
	v_lshlrev_b32_e32 v7, 24, v14
	s_delay_alu instid0(VALU_DEP_2) | instskip(NEXT) | instid1(VALU_DEP_3)
	v_lshlrev_b32_e32 v8, 20, v42
	v_lshl_add_u32 v6, v6, 23, 0x3c000000
	s_delay_alu instid0(VALU_DEP_3) | instskip(NEXT) | instid1(VALU_DEP_1)
	v_and_b32_e32 v7, 0x80000000, v7
	v_or3_b32 v42, v8, v7, v6
	s_delay_alu instid0(VALU_DEP_1)
	v_mov_b64_e32 v[6:7], v[42:43]
.LBB189_1252:                           ;   in Loop: Header=BB189_1075 Depth=1
	s_or_b32 exec_lo, exec_lo, s18
.LBB189_1253:                           ;   in Loop: Header=BB189_1075 Depth=1
	s_delay_alu instid0(SALU_CYCLE_1)
	s_or_b32 exec_lo, exec_lo, s17
.LBB189_1254:                           ;   in Loop: Header=BB189_1075 Depth=1
	s_delay_alu instid0(SALU_CYCLE_1) | instskip(SKIP_2) | instid1(VALU_DEP_1)
	s_or_b32 exec_lo, exec_lo, s16
	v_lshrrev_b16 v8, 8, v14
	s_mov_b32 s16, exec_lo
	v_cmpx_ne_u16_e32 0, v8
	s_cbranch_execz .LBB189_1262
; %bb.1255:                             ;   in Loop: Header=BB189_1075 Depth=1
	v_mov_b64_e32 v[0:1], 0x8000000000000000
	s_mov_b32 s17, exec_lo
	v_cmpx_ne_u16_e32 0x80, v8
	s_cbranch_execz .LBB189_1261
; %bb.1256:                             ;   in Loop: Header=BB189_1075 Depth=1
	v_and_b32_e32 v9, 0xffff, v8
	v_mov_b64_e32 v[0:1], 0x7f80000100000000
	s_mov_b32 s18, exec_lo
	s_delay_alu instid0(VALU_DEP_2) | instskip(NEXT) | instid1(VALU_DEP_1)
	v_and_b32_e32 v8, 0x7f, v9
	v_cmpx_ne_u32_e32 0x7f, v8
	s_cbranch_execz .LBB189_1260
; %bb.1257:                             ;   in Loop: Header=BB189_1075 Depth=1
	v_dual_lshrrev_b32 v0, 3, v8 :: v_dual_bitop2_b32 v42, 7, v9 bitop3:0x40
	s_mov_b32 s19, exec_lo
	v_cmpx_gt_u32_e32 8, v8
; %bb.1258:                             ;   in Loop: Header=BB189_1075 Depth=1
	s_delay_alu instid0(VALU_DEP_2) | instskip(NEXT) | instid1(VALU_DEP_1)
	v_clz_i32_u32_e32 v0, v42
	v_min_u32_e32 v0, 32, v0
	s_delay_alu instid0(VALU_DEP_1) | instskip(SKIP_1) | instid1(VALU_DEP_2)
	v_subrev_nc_u32_e32 v1, 28, v0
	v_sub_nc_u32_e32 v0, 29, v0
	v_lshlrev_b64_e32 v[8:9], v1, v[42:43]
	s_delay_alu instid0(VALU_DEP_1)
	v_and_b32_e32 v42, 7, v8
; %bb.1259:                             ;   in Loop: Header=BB189_1075 Depth=1
	s_or_b32 exec_lo, exec_lo, s19
	v_lshlrev_b32_e32 v1, 16, v14
	s_delay_alu instid0(VALU_DEP_2) | instskip(SKIP_1) | instid1(VALU_DEP_3)
	v_lshlrev_b32_e32 v8, 20, v42
	v_lshl_add_u32 v0, v0, 23, 0x3c000000
	v_and_b32_e32 v1, 0x80000000, v1
	s_delay_alu instid0(VALU_DEP_1)
	v_or3_b32 v1, v8, v1, v0
	v_mov_b32_e32 v0, v43
.LBB189_1260:                           ;   in Loop: Header=BB189_1075 Depth=1
	s_or_b32 exec_lo, exec_lo, s18
.LBB189_1261:                           ;   in Loop: Header=BB189_1075 Depth=1
	s_delay_alu instid0(SALU_CYCLE_1)
	s_or_b32 exec_lo, exec_lo, s17
.LBB189_1262:                           ;   in Loop: Header=BB189_1075 Depth=1
	s_delay_alu instid0(SALU_CYCLE_1) | instskip(SKIP_4) | instid1(VALU_DEP_3)
	s_or_b32 exec_lo, exec_lo, s16
	v_lshrrev_b32_e32 v15, 16, v14
	v_mov_b64_e32 v[12:13], 0
	v_mov_b64_e32 v[8:9], 0
	s_mov_b32 s16, exec_lo
	v_and_b32_e32 v16, 0xff, v15
	s_delay_alu instid0(VALU_DEP_1)
	v_cmpx_ne_u16_e32 0, v16
	s_cbranch_execz .LBB189_1270
; %bb.1263:                             ;   in Loop: Header=BB189_1075 Depth=1
	v_mov_b64_e32 v[8:9], 0x80000000
	s_mov_b32 s17, exec_lo
	v_cmpx_ne_u16_e32 0x80, v16
	s_cbranch_execz .LBB189_1269
; %bb.1264:                             ;   in Loop: Header=BB189_1075 Depth=1
	v_mov_b64_e32 v[8:9], 0x7f800001
	v_bfe_u32 v16, v14, 16, 7
	s_mov_b32 s18, exec_lo
	s_delay_alu instid0(VALU_DEP_1)
	v_cmpx_ne_u32_e32 0x7f, v16
	s_cbranch_execz .LBB189_1268
; %bb.1265:                             ;   in Loop: Header=BB189_1075 Depth=1
	v_dual_lshrrev_b32 v8, 3, v16 :: v_dual_bitop2_b32 v42, 7, v15 bitop3:0x40
	s_mov_b32 s19, exec_lo
	v_cmpx_gt_u32_e32 8, v16
; %bb.1266:                             ;   in Loop: Header=BB189_1075 Depth=1
	s_delay_alu instid0(VALU_DEP_2) | instskip(NEXT) | instid1(VALU_DEP_1)
	v_clz_i32_u32_e32 v8, v42
	v_min_u32_e32 v8, 32, v8
	s_delay_alu instid0(VALU_DEP_1) | instskip(SKIP_1) | instid1(VALU_DEP_2)
	v_subrev_nc_u32_e32 v9, 28, v8
	v_sub_nc_u32_e32 v8, 29, v8
	v_lshlrev_b64_e32 v[16:17], v9, v[42:43]
	s_delay_alu instid0(VALU_DEP_1)
	v_and_b32_e32 v42, 7, v16
; %bb.1267:                             ;   in Loop: Header=BB189_1075 Depth=1
	s_or_b32 exec_lo, exec_lo, s19
	s_delay_alu instid0(VALU_DEP_1) | instskip(SKIP_1) | instid1(VALU_DEP_2)
	v_dual_lshlrev_b32 v9, 24, v15 :: v_dual_lshlrev_b32 v15, 20, v42
	v_lshl_add_u32 v8, v8, 23, 0x3c000000
	v_and_b32_e32 v9, 0x80000000, v9
	s_delay_alu instid0(VALU_DEP_1) | instskip(NEXT) | instid1(VALU_DEP_1)
	v_or3_b32 v42, v15, v9, v8
	v_mov_b64_e32 v[8:9], v[42:43]
.LBB189_1268:                           ;   in Loop: Header=BB189_1075 Depth=1
	s_or_b32 exec_lo, exec_lo, s18
.LBB189_1269:                           ;   in Loop: Header=BB189_1075 Depth=1
	s_delay_alu instid0(SALU_CYCLE_1)
	s_or_b32 exec_lo, exec_lo, s17
.LBB189_1270:                           ;   in Loop: Header=BB189_1075 Depth=1
	s_delay_alu instid0(SALU_CYCLE_1) | instskip(NEXT) | instid1(SALU_CYCLE_1)
	s_or_b32 exec_lo, exec_lo, s16
	s_mov_b32 s16, exec_lo
	v_cmpx_lt_u32_e32 0xffffff, v14
	s_cbranch_execz .LBB189_1278
; %bb.1271:                             ;   in Loop: Header=BB189_1075 Depth=1
	v_mov_b64_e32 v[12:13], 0x8000000000000000
	v_lshrrev_b32_e32 v15, 24, v14
	s_mov_b32 s17, exec_lo
	s_delay_alu instid0(VALU_DEP_1)
	v_cmpx_ne_u32_e32 0x80, v15
	s_cbranch_execz .LBB189_1277
; %bb.1272:                             ;   in Loop: Header=BB189_1075 Depth=1
	v_mov_b64_e32 v[12:13], 0x7f80000100000000
	v_bfe_u32 v14, v14, 24, 7
	s_mov_b32 s18, exec_lo
	s_delay_alu instid0(VALU_DEP_1)
	v_cmpx_ne_u32_e32 0x7f, v14
	s_cbranch_execz .LBB189_1276
; %bb.1273:                             ;   in Loop: Header=BB189_1075 Depth=1
	v_dual_lshrrev_b32 v12, 3, v14 :: v_dual_bitop2_b32 v42, 7, v15 bitop3:0x40
	s_mov_b32 s19, exec_lo
	v_cmpx_gt_u32_e32 8, v14
; %bb.1274:                             ;   in Loop: Header=BB189_1075 Depth=1
	s_delay_alu instid0(VALU_DEP_2) | instskip(NEXT) | instid1(VALU_DEP_1)
	v_clz_i32_u32_e32 v12, v42
	v_min_u32_e32 v12, 32, v12
	s_delay_alu instid0(VALU_DEP_1) | instskip(SKIP_1) | instid1(VALU_DEP_2)
	v_subrev_nc_u32_e32 v13, 28, v12
	v_sub_nc_u32_e32 v12, 29, v12
	v_lshlrev_b64_e32 v[16:17], v13, v[42:43]
	s_delay_alu instid0(VALU_DEP_1)
	v_and_b32_e32 v42, 7, v16
; %bb.1275:                             ;   in Loop: Header=BB189_1075 Depth=1
	s_or_b32 exec_lo, exec_lo, s19
	s_delay_alu instid0(VALU_DEP_1) | instskip(SKIP_1) | instid1(VALU_DEP_2)
	v_dual_lshlrev_b32 v13, 24, v15 :: v_dual_lshlrev_b32 v14, 20, v42
	v_lshl_add_u32 v12, v12, 23, 0x3c000000
	v_and_b32_e32 v13, 0x80000000, v13
	s_delay_alu instid0(VALU_DEP_1)
	v_or3_b32 v13, v14, v13, v12
	v_mov_b32_e32 v12, v43
.LBB189_1276:                           ;   in Loop: Header=BB189_1075 Depth=1
	s_or_b32 exec_lo, exec_lo, s18
.LBB189_1277:                           ;   in Loop: Header=BB189_1075 Depth=1
	s_delay_alu instid0(SALU_CYCLE_1)
	s_or_b32 exec_lo, exec_lo, s17
.LBB189_1278:                           ;   in Loop: Header=BB189_1075 Depth=1
	s_delay_alu instid0(SALU_CYCLE_1) | instskip(SKIP_4) | instid1(VALU_DEP_3)
	s_or_b32 exec_lo, exec_lo, s16
	v_or_b32_e32 v1, v1, v7
	v_or_b32_e32 v0, v0, v6
	;; [unrolled: 1-line block ×4, first 2 shown]
	v_pk_mul_f32 v[0:1], v[86:87], v[0:1]
	scratch_store_b64 off, v[0:1], s32 offset:312 ; 8-byte Folded Spill
	s_wait_xcnt 0x0
	v_pk_mul_f32 v[0:1], v[86:87], v[6:7]
	scratch_store_b64 off, v[0:1], s32 offset:304 ; 8-byte Folded Spill
	s_wait_xcnt 0x0
	s_and_saveexec_b32 s16, vcc_lo
	s_cbranch_execz .LBB189_1280
; %bb.1279:                             ;   in Loop: Header=BB189_1075 Depth=1
	scratch_load_b64 v[0:1], off, s32 offset:312 th:TH_LOAD_LU ; 8-byte Folded Reload
	v_cmp_lt_i32_e64 s0, v47, v100
	s_wait_loadcnt 0x0
	s_delay_alu instid0(VALU_DEP_1) | instskip(SKIP_1) | instid1(VALU_DEP_1)
	v_cndmask_b32_e64 v0, 0, v0, s0
	v_cmp_lt_i32_e64 s0, v56, v100
	v_cndmask_b32_e64 v1, 0, v1, s0
	v_cmp_lt_i32_e64 s0, v41, v100
	s_clause 0x1
	scratch_store_b64 off, v[0:1], s32 offset:312
	scratch_load_b64 v[0:1], off, s32 offset:304 th:TH_LOAD_LU
	s_wait_loadcnt 0x0
	v_cndmask_b32_e64 v0, 0, v0, s0
	v_cmp_lt_i32_e64 s0, v40, v100
	s_delay_alu instid0(VALU_DEP_1)
	v_cndmask_b32_e64 v1, 0, v1, s0
	scratch_store_b64 off, v[0:1], s32 offset:304 ; 8-byte Folded Spill
.LBB189_1280:                           ;   in Loop: Header=BB189_1075 Depth=1
	s_wait_xcnt 0x0
	s_or_b32 exec_lo, exec_lo, s16
	flat_load_b32 v16, v[118:119] offset:768
	v_mov_b64_e32 v[6:7], 0
	v_mov_b64_e32 v[12:13], 0
	s_mov_b32 s16, exec_lo
	s_wait_loadcnt_dscnt 0x0
	v_and_b32_e32 v0, 0xff, v16
	s_wait_xcnt 0x0
	s_delay_alu instid0(VALU_DEP_1)
	v_cmpx_ne_u16_e32 0, v0
	s_cbranch_execz .LBB189_1288
; %bb.1281:                             ;   in Loop: Header=BB189_1075 Depth=1
	v_mov_b64_e32 v[12:13], 0x80000000
	s_mov_b32 s17, exec_lo
	v_cmpx_ne_u16_e32 0x80, v0
	s_cbranch_execz .LBB189_1287
; %bb.1282:                             ;   in Loop: Header=BB189_1075 Depth=1
	v_mov_b64_e32 v[12:13], 0x7f800001
	v_and_b32_e32 v1, 0x7f, v16
	s_mov_b32 s18, exec_lo
	s_delay_alu instid0(VALU_DEP_1)
	v_cmpx_ne_u32_e32 0x7f, v1
	s_cbranch_execz .LBB189_1286
; %bb.1283:                             ;   in Loop: Header=BB189_1075 Depth=1
	v_dual_lshrrev_b32 v0, 3, v1 :: v_dual_bitop2_b32 v42, 7, v16 bitop3:0x40
	s_mov_b32 s19, exec_lo
	v_cmpx_gt_u32_e32 8, v1
; %bb.1284:                             ;   in Loop: Header=BB189_1075 Depth=1
	s_delay_alu instid0(VALU_DEP_2) | instskip(NEXT) | instid1(VALU_DEP_1)
	v_clz_i32_u32_e32 v0, v42
	v_min_u32_e32 v0, 32, v0
	s_delay_alu instid0(VALU_DEP_1) | instskip(SKIP_1) | instid1(VALU_DEP_2)
	v_subrev_nc_u32_e32 v1, 28, v0
	v_sub_nc_u32_e32 v0, 29, v0
	v_lshlrev_b64_e32 v[8:9], v1, v[42:43]
	s_delay_alu instid0(VALU_DEP_1)
	v_and_b32_e32 v42, 7, v8
; %bb.1285:                             ;   in Loop: Header=BB189_1075 Depth=1
	s_or_b32 exec_lo, exec_lo, s19
	s_delay_alu instid0(VALU_DEP_1) | instskip(SKIP_1) | instid1(VALU_DEP_2)
	v_dual_lshlrev_b32 v1, 24, v16 :: v_dual_lshlrev_b32 v8, 20, v42
	v_lshl_add_u32 v0, v0, 23, 0x3c000000
	v_and_b32_e32 v1, 0x80000000, v1
	s_delay_alu instid0(VALU_DEP_1) | instskip(NEXT) | instid1(VALU_DEP_1)
	v_or3_b32 v42, v8, v1, v0
	v_mov_b64_e32 v[12:13], v[42:43]
.LBB189_1286:                           ;   in Loop: Header=BB189_1075 Depth=1
	s_or_b32 exec_lo, exec_lo, s18
.LBB189_1287:                           ;   in Loop: Header=BB189_1075 Depth=1
	s_delay_alu instid0(SALU_CYCLE_1)
	s_or_b32 exec_lo, exec_lo, s17
.LBB189_1288:                           ;   in Loop: Header=BB189_1075 Depth=1
	s_delay_alu instid0(SALU_CYCLE_1) | instskip(SKIP_2) | instid1(VALU_DEP_1)
	s_or_b32 exec_lo, exec_lo, s16
	v_lshrrev_b16 v0, 8, v16
	s_mov_b32 s16, exec_lo
	v_cmpx_ne_u16_e32 0, v0
	s_cbranch_execz .LBB189_1296
; %bb.1289:                             ;   in Loop: Header=BB189_1075 Depth=1
	v_mov_b64_e32 v[6:7], 0x8000000000000000
	s_mov_b32 s17, exec_lo
	v_cmpx_ne_u16_e32 0x80, v0
	s_cbranch_execz .LBB189_1295
; %bb.1290:                             ;   in Loop: Header=BB189_1075 Depth=1
	v_and_b32_e32 v0, 0xffff, v0
	v_mov_b64_e32 v[6:7], 0x7f80000100000000
	s_mov_b32 s18, exec_lo
	s_delay_alu instid0(VALU_DEP_2) | instskip(NEXT) | instid1(VALU_DEP_1)
	v_and_b32_e32 v1, 0x7f, v0
	v_cmpx_ne_u32_e32 0x7f, v1
	s_cbranch_execz .LBB189_1294
; %bb.1291:                             ;   in Loop: Header=BB189_1075 Depth=1
	v_dual_lshrrev_b32 v0, 3, v1 :: v_dual_bitop2_b32 v42, 7, v0 bitop3:0x40
	s_mov_b32 s19, exec_lo
	v_cmpx_gt_u32_e32 8, v1
; %bb.1292:                             ;   in Loop: Header=BB189_1075 Depth=1
	s_delay_alu instid0(VALU_DEP_2) | instskip(NEXT) | instid1(VALU_DEP_1)
	v_clz_i32_u32_e32 v0, v42
	v_min_u32_e32 v0, 32, v0
	s_delay_alu instid0(VALU_DEP_1) | instskip(NEXT) | instid1(VALU_DEP_1)
	v_subrev_nc_u32_e32 v1, 28, v0
	v_lshlrev_b64_e32 v[6:7], v1, v[42:43]
	s_delay_alu instid0(VALU_DEP_1)
	v_dual_sub_nc_u32 v0, 29, v0 :: v_dual_bitop2_b32 v42, 7, v6 bitop3:0x40
; %bb.1293:                             ;   in Loop: Header=BB189_1075 Depth=1
	s_or_b32 exec_lo, exec_lo, s19
	s_delay_alu instid0(VALU_DEP_1) | instskip(NEXT) | instid1(VALU_DEP_2)
	v_dual_lshlrev_b32 v1, 16, v16 :: v_dual_lshlrev_b32 v6, 20, v42
	v_lshl_add_u32 v0, v0, 23, 0x3c000000
	s_delay_alu instid0(VALU_DEP_2) | instskip(NEXT) | instid1(VALU_DEP_1)
	v_and_b32_e32 v1, 0x80000000, v1
	v_or3_b32 v7, v6, v1, v0
	v_mov_b32_e32 v6, v43
.LBB189_1294:                           ;   in Loop: Header=BB189_1075 Depth=1
	s_or_b32 exec_lo, exec_lo, s18
.LBB189_1295:                           ;   in Loop: Header=BB189_1075 Depth=1
	s_delay_alu instid0(SALU_CYCLE_1)
	s_or_b32 exec_lo, exec_lo, s17
.LBB189_1296:                           ;   in Loop: Header=BB189_1075 Depth=1
	s_delay_alu instid0(SALU_CYCLE_1) | instskip(SKIP_4) | instid1(VALU_DEP_3)
	s_or_b32 exec_lo, exec_lo, s16
	v_lshrrev_b32_e32 v0, 16, v16
	v_mov_b64_e32 v[14:15], 0
	v_mov_b64_e32 v[8:9], 0
	s_mov_b32 s16, exec_lo
	v_and_b32_e32 v1, 0xff, v0
	s_delay_alu instid0(VALU_DEP_1)
	v_cmpx_ne_u16_e32 0, v1
	s_cbranch_execz .LBB189_1304
; %bb.1297:                             ;   in Loop: Header=BB189_1075 Depth=1
	v_mov_b64_e32 v[8:9], 0x80000000
	s_mov_b32 s17, exec_lo
	v_cmpx_ne_u16_e32 0x80, v1
	s_cbranch_execz .LBB189_1303
; %bb.1298:                             ;   in Loop: Header=BB189_1075 Depth=1
	v_mov_b64_e32 v[8:9], 0x7f800001
	v_bfe_u32 v17, v16, 16, 7
	s_mov_b32 s18, exec_lo
	s_delay_alu instid0(VALU_DEP_1)
	v_cmpx_ne_u32_e32 0x7f, v17
	s_cbranch_execz .LBB189_1302
; %bb.1299:                             ;   in Loop: Header=BB189_1075 Depth=1
	v_dual_lshrrev_b32 v1, 3, v17 :: v_dual_bitop2_b32 v42, 7, v0 bitop3:0x40
	s_mov_b32 s19, exec_lo
	v_cmpx_gt_u32_e32 8, v17
; %bb.1300:                             ;   in Loop: Header=BB189_1075 Depth=1
	s_delay_alu instid0(VALU_DEP_2) | instskip(NEXT) | instid1(VALU_DEP_1)
	v_clz_i32_u32_e32 v1, v42
	v_min_u32_e32 v1, 32, v1
	s_delay_alu instid0(VALU_DEP_1) | instskip(NEXT) | instid1(VALU_DEP_1)
	v_subrev_nc_u32_e32 v8, 28, v1
	v_lshlrev_b64_e32 v[8:9], v8, v[42:43]
	s_delay_alu instid0(VALU_DEP_1)
	v_dual_sub_nc_u32 v1, 29, v1 :: v_dual_bitop2_b32 v42, 7, v8 bitop3:0x40
; %bb.1301:                             ;   in Loop: Header=BB189_1075 Depth=1
	s_or_b32 exec_lo, exec_lo, s19
	s_delay_alu instid0(VALU_DEP_1) | instskip(NEXT) | instid1(VALU_DEP_2)
	v_dual_lshlrev_b32 v0, 24, v0 :: v_dual_lshlrev_b32 v8, 20, v42
	v_lshl_add_u32 v1, v1, 23, 0x3c000000
	s_delay_alu instid0(VALU_DEP_2) | instskip(NEXT) | instid1(VALU_DEP_1)
	v_and_b32_e32 v0, 0x80000000, v0
	v_or3_b32 v42, v8, v0, v1
	s_delay_alu instid0(VALU_DEP_1)
	v_mov_b64_e32 v[8:9], v[42:43]
.LBB189_1302:                           ;   in Loop: Header=BB189_1075 Depth=1
	s_or_b32 exec_lo, exec_lo, s18
.LBB189_1303:                           ;   in Loop: Header=BB189_1075 Depth=1
	s_delay_alu instid0(SALU_CYCLE_1)
	s_or_b32 exec_lo, exec_lo, s17
.LBB189_1304:                           ;   in Loop: Header=BB189_1075 Depth=1
	s_delay_alu instid0(SALU_CYCLE_1) | instskip(NEXT) | instid1(SALU_CYCLE_1)
	s_or_b32 exec_lo, exec_lo, s16
	s_mov_b32 s16, exec_lo
	v_cmpx_lt_u32_e32 0xffffff, v16
	s_cbranch_execz .LBB189_1312
; %bb.1305:                             ;   in Loop: Header=BB189_1075 Depth=1
	v_mov_b64_e32 v[14:15], 0x8000000000000000
	v_lshrrev_b32_e32 v0, 24, v16
	s_mov_b32 s17, exec_lo
	s_delay_alu instid0(VALU_DEP_1)
	v_cmpx_ne_u32_e32 0x80, v0
	s_cbranch_execz .LBB189_1311
; %bb.1306:                             ;   in Loop: Header=BB189_1075 Depth=1
	v_mov_b64_e32 v[14:15], 0x7f80000100000000
	v_bfe_u32 v16, v16, 24, 7
	s_mov_b32 s18, exec_lo
	s_delay_alu instid0(VALU_DEP_1)
	v_cmpx_ne_u32_e32 0x7f, v16
	s_cbranch_execz .LBB189_1310
; %bb.1307:                             ;   in Loop: Header=BB189_1075 Depth=1
	v_and_b32_e32 v42, 7, v0
	v_lshrrev_b32_e32 v1, 3, v16
	s_mov_b32 s19, exec_lo
	v_cmpx_gt_u32_e32 8, v16
; %bb.1308:                             ;   in Loop: Header=BB189_1075 Depth=1
	s_delay_alu instid0(VALU_DEP_3) | instskip(NEXT) | instid1(VALU_DEP_1)
	v_clz_i32_u32_e32 v1, v42
	v_min_u32_e32 v1, 32, v1
	s_delay_alu instid0(VALU_DEP_1) | instskip(NEXT) | instid1(VALU_DEP_1)
	v_subrev_nc_u32_e32 v14, 28, v1
	v_lshlrev_b64_e32 v[14:15], v14, v[42:43]
	s_delay_alu instid0(VALU_DEP_1)
	v_dual_sub_nc_u32 v1, 29, v1 :: v_dual_bitop2_b32 v42, 7, v14 bitop3:0x40
; %bb.1309:                             ;   in Loop: Header=BB189_1075 Depth=1
	s_or_b32 exec_lo, exec_lo, s19
	s_delay_alu instid0(VALU_DEP_1) | instskip(NEXT) | instid1(VALU_DEP_2)
	v_dual_lshlrev_b32 v0, 24, v0 :: v_dual_lshlrev_b32 v14, 20, v42
	v_lshl_add_u32 v1, v1, 23, 0x3c000000
	s_delay_alu instid0(VALU_DEP_2) | instskip(NEXT) | instid1(VALU_DEP_1)
	v_and_b32_e32 v0, 0x80000000, v0
	v_or3_b32 v15, v14, v0, v1
	v_mov_b32_e32 v14, v43
.LBB189_1310:                           ;   in Loop: Header=BB189_1075 Depth=1
	s_or_b32 exec_lo, exec_lo, s18
.LBB189_1311:                           ;   in Loop: Header=BB189_1075 Depth=1
	s_delay_alu instid0(SALU_CYCLE_1)
	s_or_b32 exec_lo, exec_lo, s17
.LBB189_1312:                           ;   in Loop: Header=BB189_1075 Depth=1
	s_delay_alu instid0(SALU_CYCLE_1) | instskip(SKIP_4) | instid1(VALU_DEP_3)
	s_or_b32 exec_lo, exec_lo, s16
	v_or_b32_e32 v1, v7, v13
	v_or_b32_e32 v0, v6, v12
	;; [unrolled: 1-line block ×4, first 2 shown]
	v_pk_mul_f32 v[60:61], v[86:87], v[0:1]
	s_delay_alu instid0(VALU_DEP_2)
	v_pk_mul_f32 v[58:59], v[86:87], v[6:7]
	s_and_saveexec_b32 s16, vcc_lo
	s_cbranch_execz .LBB189_1314
; %bb.1313:                             ;   in Loop: Header=BB189_1075 Depth=1
	v_cmp_lt_i32_e64 s0, v47, v100
	s_delay_alu instid0(VALU_DEP_1) | instskip(SKIP_1) | instid1(VALU_DEP_1)
	v_cndmask_b32_e64 v60, 0, v60, s0
	v_cmp_lt_i32_e64 s0, v56, v100
	v_cndmask_b32_e64 v61, 0, v61, s0
	v_cmp_lt_i32_e64 s0, v41, v100
	s_delay_alu instid0(VALU_DEP_1) | instskip(SKIP_1) | instid1(VALU_DEP_1)
	v_cndmask_b32_e64 v58, 0, v58, s0
	v_cmp_lt_i32_e64 s0, v40, v100
	v_cndmask_b32_e64 v59, 0, v59, s0
.LBB189_1314:                           ;   in Loop: Header=BB189_1075 Depth=1
	s_or_b32 exec_lo, exec_lo, s16
	flat_load_b32 v16, v[118:119] offset:896
	v_mov_b64_e32 v[6:7], 0
	v_mov_b64_e32 v[12:13], 0
	s_mov_b32 s16, exec_lo
	s_wait_loadcnt_dscnt 0x0
	v_and_b32_e32 v0, 0xff, v16
	s_wait_xcnt 0x0
	s_delay_alu instid0(VALU_DEP_1)
	v_cmpx_ne_u16_e32 0, v0
	s_cbranch_execz .LBB189_1322
; %bb.1315:                             ;   in Loop: Header=BB189_1075 Depth=1
	v_mov_b64_e32 v[12:13], 0x80000000
	s_mov_b32 s17, exec_lo
	v_cmpx_ne_u16_e32 0x80, v0
	s_cbranch_execz .LBB189_1321
; %bb.1316:                             ;   in Loop: Header=BB189_1075 Depth=1
	v_mov_b64_e32 v[12:13], 0x7f800001
	v_and_b32_e32 v1, 0x7f, v16
	s_mov_b32 s18, exec_lo
	s_delay_alu instid0(VALU_DEP_1)
	v_cmpx_ne_u32_e32 0x7f, v1
	s_cbranch_execz .LBB189_1320
; %bb.1317:                             ;   in Loop: Header=BB189_1075 Depth=1
	v_dual_lshrrev_b32 v0, 3, v1 :: v_dual_bitop2_b32 v42, 7, v16 bitop3:0x40
	s_mov_b32 s19, exec_lo
	v_cmpx_gt_u32_e32 8, v1
; %bb.1318:                             ;   in Loop: Header=BB189_1075 Depth=1
	s_delay_alu instid0(VALU_DEP_2) | instskip(NEXT) | instid1(VALU_DEP_1)
	v_clz_i32_u32_e32 v0, v42
	v_min_u32_e32 v0, 32, v0
	s_delay_alu instid0(VALU_DEP_1) | instskip(SKIP_1) | instid1(VALU_DEP_2)
	v_subrev_nc_u32_e32 v1, 28, v0
	v_sub_nc_u32_e32 v0, 29, v0
	v_lshlrev_b64_e32 v[8:9], v1, v[42:43]
	s_delay_alu instid0(VALU_DEP_1)
	v_and_b32_e32 v42, 7, v8
; %bb.1319:                             ;   in Loop: Header=BB189_1075 Depth=1
	s_or_b32 exec_lo, exec_lo, s19
	s_delay_alu instid0(VALU_DEP_1) | instskip(SKIP_1) | instid1(VALU_DEP_2)
	v_dual_lshlrev_b32 v1, 24, v16 :: v_dual_lshlrev_b32 v8, 20, v42
	v_lshl_add_u32 v0, v0, 23, 0x3c000000
	v_and_b32_e32 v1, 0x80000000, v1
	s_delay_alu instid0(VALU_DEP_1) | instskip(NEXT) | instid1(VALU_DEP_1)
	v_or3_b32 v42, v8, v1, v0
	v_mov_b64_e32 v[12:13], v[42:43]
.LBB189_1320:                           ;   in Loop: Header=BB189_1075 Depth=1
	s_or_b32 exec_lo, exec_lo, s18
.LBB189_1321:                           ;   in Loop: Header=BB189_1075 Depth=1
	s_delay_alu instid0(SALU_CYCLE_1)
	s_or_b32 exec_lo, exec_lo, s17
.LBB189_1322:                           ;   in Loop: Header=BB189_1075 Depth=1
	s_delay_alu instid0(SALU_CYCLE_1) | instskip(SKIP_2) | instid1(VALU_DEP_1)
	s_or_b32 exec_lo, exec_lo, s16
	v_lshrrev_b16 v0, 8, v16
	s_mov_b32 s16, exec_lo
	v_cmpx_ne_u16_e32 0, v0
	s_cbranch_execz .LBB189_1330
; %bb.1323:                             ;   in Loop: Header=BB189_1075 Depth=1
	v_mov_b64_e32 v[6:7], 0x8000000000000000
	s_mov_b32 s17, exec_lo
	v_cmpx_ne_u16_e32 0x80, v0
	s_cbranch_execz .LBB189_1329
; %bb.1324:                             ;   in Loop: Header=BB189_1075 Depth=1
	v_and_b32_e32 v0, 0xffff, v0
	v_mov_b64_e32 v[6:7], 0x7f80000100000000
	s_mov_b32 s18, exec_lo
	s_delay_alu instid0(VALU_DEP_2) | instskip(NEXT) | instid1(VALU_DEP_1)
	v_and_b32_e32 v1, 0x7f, v0
	v_cmpx_ne_u32_e32 0x7f, v1
	s_cbranch_execz .LBB189_1328
; %bb.1325:                             ;   in Loop: Header=BB189_1075 Depth=1
	v_dual_lshrrev_b32 v0, 3, v1 :: v_dual_bitop2_b32 v42, 7, v0 bitop3:0x40
	s_mov_b32 s19, exec_lo
	v_cmpx_gt_u32_e32 8, v1
; %bb.1326:                             ;   in Loop: Header=BB189_1075 Depth=1
	s_delay_alu instid0(VALU_DEP_2) | instskip(NEXT) | instid1(VALU_DEP_1)
	v_clz_i32_u32_e32 v0, v42
	v_min_u32_e32 v0, 32, v0
	s_delay_alu instid0(VALU_DEP_1) | instskip(NEXT) | instid1(VALU_DEP_1)
	v_subrev_nc_u32_e32 v1, 28, v0
	v_lshlrev_b64_e32 v[6:7], v1, v[42:43]
	s_delay_alu instid0(VALU_DEP_1)
	v_dual_sub_nc_u32 v0, 29, v0 :: v_dual_bitop2_b32 v42, 7, v6 bitop3:0x40
; %bb.1327:                             ;   in Loop: Header=BB189_1075 Depth=1
	s_or_b32 exec_lo, exec_lo, s19
	s_delay_alu instid0(VALU_DEP_1) | instskip(NEXT) | instid1(VALU_DEP_2)
	v_dual_lshlrev_b32 v1, 16, v16 :: v_dual_lshlrev_b32 v6, 20, v42
	v_lshl_add_u32 v0, v0, 23, 0x3c000000
	s_delay_alu instid0(VALU_DEP_2) | instskip(NEXT) | instid1(VALU_DEP_1)
	v_and_b32_e32 v1, 0x80000000, v1
	v_or3_b32 v7, v6, v1, v0
	v_mov_b32_e32 v6, v43
.LBB189_1328:                           ;   in Loop: Header=BB189_1075 Depth=1
	s_or_b32 exec_lo, exec_lo, s18
.LBB189_1329:                           ;   in Loop: Header=BB189_1075 Depth=1
	s_delay_alu instid0(SALU_CYCLE_1)
	s_or_b32 exec_lo, exec_lo, s17
.LBB189_1330:                           ;   in Loop: Header=BB189_1075 Depth=1
	s_delay_alu instid0(SALU_CYCLE_1) | instskip(SKIP_4) | instid1(VALU_DEP_3)
	s_or_b32 exec_lo, exec_lo, s16
	v_lshrrev_b32_e32 v0, 16, v16
	v_mov_b64_e32 v[14:15], 0
	v_mov_b64_e32 v[8:9], 0
	s_mov_b32 s16, exec_lo
	v_and_b32_e32 v1, 0xff, v0
	s_delay_alu instid0(VALU_DEP_1)
	v_cmpx_ne_u16_e32 0, v1
	s_cbranch_execz .LBB189_1338
; %bb.1331:                             ;   in Loop: Header=BB189_1075 Depth=1
	v_mov_b64_e32 v[8:9], 0x80000000
	s_mov_b32 s17, exec_lo
	v_cmpx_ne_u16_e32 0x80, v1
	s_cbranch_execz .LBB189_1337
; %bb.1332:                             ;   in Loop: Header=BB189_1075 Depth=1
	v_mov_b64_e32 v[8:9], 0x7f800001
	v_bfe_u32 v17, v16, 16, 7
	s_mov_b32 s18, exec_lo
	s_delay_alu instid0(VALU_DEP_1)
	v_cmpx_ne_u32_e32 0x7f, v17
	s_cbranch_execz .LBB189_1336
; %bb.1333:                             ;   in Loop: Header=BB189_1075 Depth=1
	v_dual_lshrrev_b32 v1, 3, v17 :: v_dual_bitop2_b32 v42, 7, v0 bitop3:0x40
	s_mov_b32 s19, exec_lo
	v_cmpx_gt_u32_e32 8, v17
; %bb.1334:                             ;   in Loop: Header=BB189_1075 Depth=1
	s_delay_alu instid0(VALU_DEP_2) | instskip(NEXT) | instid1(VALU_DEP_1)
	v_clz_i32_u32_e32 v1, v42
	v_min_u32_e32 v1, 32, v1
	s_delay_alu instid0(VALU_DEP_1) | instskip(NEXT) | instid1(VALU_DEP_1)
	v_subrev_nc_u32_e32 v8, 28, v1
	v_lshlrev_b64_e32 v[8:9], v8, v[42:43]
	s_delay_alu instid0(VALU_DEP_1)
	v_dual_sub_nc_u32 v1, 29, v1 :: v_dual_bitop2_b32 v42, 7, v8 bitop3:0x40
; %bb.1335:                             ;   in Loop: Header=BB189_1075 Depth=1
	s_or_b32 exec_lo, exec_lo, s19
	s_delay_alu instid0(VALU_DEP_1) | instskip(NEXT) | instid1(VALU_DEP_2)
	v_dual_lshlrev_b32 v0, 24, v0 :: v_dual_lshlrev_b32 v8, 20, v42
	v_lshl_add_u32 v1, v1, 23, 0x3c000000
	s_delay_alu instid0(VALU_DEP_2) | instskip(NEXT) | instid1(VALU_DEP_1)
	v_and_b32_e32 v0, 0x80000000, v0
	v_or3_b32 v42, v8, v0, v1
	s_delay_alu instid0(VALU_DEP_1)
	v_mov_b64_e32 v[8:9], v[42:43]
.LBB189_1336:                           ;   in Loop: Header=BB189_1075 Depth=1
	s_or_b32 exec_lo, exec_lo, s18
.LBB189_1337:                           ;   in Loop: Header=BB189_1075 Depth=1
	s_delay_alu instid0(SALU_CYCLE_1)
	s_or_b32 exec_lo, exec_lo, s17
.LBB189_1338:                           ;   in Loop: Header=BB189_1075 Depth=1
	s_delay_alu instid0(SALU_CYCLE_1) | instskip(NEXT) | instid1(SALU_CYCLE_1)
	s_or_b32 exec_lo, exec_lo, s16
	s_mov_b32 s16, exec_lo
	v_cmpx_lt_u32_e32 0xffffff, v16
	s_cbranch_execz .LBB189_1346
; %bb.1339:                             ;   in Loop: Header=BB189_1075 Depth=1
	v_mov_b64_e32 v[14:15], 0x8000000000000000
	v_lshrrev_b32_e32 v0, 24, v16
	s_mov_b32 s17, exec_lo
	s_delay_alu instid0(VALU_DEP_1)
	v_cmpx_ne_u32_e32 0x80, v0
	s_cbranch_execz .LBB189_1345
; %bb.1340:                             ;   in Loop: Header=BB189_1075 Depth=1
	v_mov_b64_e32 v[14:15], 0x7f80000100000000
	v_bfe_u32 v16, v16, 24, 7
	s_mov_b32 s18, exec_lo
	s_delay_alu instid0(VALU_DEP_1)
	v_cmpx_ne_u32_e32 0x7f, v16
	s_cbranch_execz .LBB189_1344
; %bb.1341:                             ;   in Loop: Header=BB189_1075 Depth=1
	v_and_b32_e32 v42, 7, v0
	v_lshrrev_b32_e32 v1, 3, v16
	s_mov_b32 s19, exec_lo
	v_cmpx_gt_u32_e32 8, v16
; %bb.1342:                             ;   in Loop: Header=BB189_1075 Depth=1
	s_delay_alu instid0(VALU_DEP_3) | instskip(NEXT) | instid1(VALU_DEP_1)
	v_clz_i32_u32_e32 v1, v42
	v_min_u32_e32 v1, 32, v1
	s_delay_alu instid0(VALU_DEP_1) | instskip(NEXT) | instid1(VALU_DEP_1)
	v_subrev_nc_u32_e32 v14, 28, v1
	v_lshlrev_b64_e32 v[14:15], v14, v[42:43]
	s_delay_alu instid0(VALU_DEP_1)
	v_dual_sub_nc_u32 v1, 29, v1 :: v_dual_bitop2_b32 v42, 7, v14 bitop3:0x40
; %bb.1343:                             ;   in Loop: Header=BB189_1075 Depth=1
	s_or_b32 exec_lo, exec_lo, s19
	s_delay_alu instid0(VALU_DEP_1) | instskip(NEXT) | instid1(VALU_DEP_2)
	v_dual_lshlrev_b32 v0, 24, v0 :: v_dual_lshlrev_b32 v14, 20, v42
	v_lshl_add_u32 v1, v1, 23, 0x3c000000
	s_delay_alu instid0(VALU_DEP_2) | instskip(NEXT) | instid1(VALU_DEP_1)
	v_and_b32_e32 v0, 0x80000000, v0
	v_or3_b32 v15, v14, v0, v1
	v_mov_b32_e32 v14, v43
.LBB189_1344:                           ;   in Loop: Header=BB189_1075 Depth=1
	s_or_b32 exec_lo, exec_lo, s18
.LBB189_1345:                           ;   in Loop: Header=BB189_1075 Depth=1
	s_delay_alu instid0(SALU_CYCLE_1)
	s_or_b32 exec_lo, exec_lo, s17
.LBB189_1346:                           ;   in Loop: Header=BB189_1075 Depth=1
	s_delay_alu instid0(SALU_CYCLE_1) | instskip(SKIP_4) | instid1(VALU_DEP_3)
	s_or_b32 exec_lo, exec_lo, s16
	v_or_b32_e32 v1, v7, v13
	v_or_b32_e32 v0, v6, v12
	;; [unrolled: 1-line block ×4, first 2 shown]
	v_pk_mul_f32 v[22:23], v[86:87], v[0:1]
	s_delay_alu instid0(VALU_DEP_2)
	v_pk_mul_f32 v[18:19], v[86:87], v[6:7]
	s_and_saveexec_b32 s16, vcc_lo
	s_cbranch_execz .LBB189_1348
; %bb.1347:                             ;   in Loop: Header=BB189_1075 Depth=1
	v_cmp_lt_i32_e64 s0, v47, v100
	s_delay_alu instid0(VALU_DEP_1) | instskip(SKIP_1) | instid1(VALU_DEP_1)
	v_cndmask_b32_e64 v22, 0, v22, s0
	v_cmp_lt_i32_e64 s0, v56, v100
	v_cndmask_b32_e64 v23, 0, v23, s0
	v_cmp_lt_i32_e64 s0, v41, v100
	s_delay_alu instid0(VALU_DEP_1) | instskip(SKIP_1) | instid1(VALU_DEP_1)
	v_cndmask_b32_e64 v18, 0, v18, s0
	v_cmp_lt_i32_e64 s0, v40, v100
	v_cndmask_b32_e64 v19, 0, v19, s0
.LBB189_1348:                           ;   in Loop: Header=BB189_1075 Depth=1
	s_or_b32 exec_lo, exec_lo, s16
	flat_load_b32 v16, v[118:119] offset:1024
	v_mov_b64_e32 v[6:7], 0
	v_mov_b64_e32 v[12:13], 0
	s_mov_b32 s16, exec_lo
	s_wait_loadcnt_dscnt 0x0
	v_and_b32_e32 v0, 0xff, v16
	s_wait_xcnt 0x0
	s_delay_alu instid0(VALU_DEP_1)
	v_cmpx_ne_u16_e32 0, v0
	s_cbranch_execz .LBB189_1356
; %bb.1349:                             ;   in Loop: Header=BB189_1075 Depth=1
	v_mov_b64_e32 v[12:13], 0x80000000
	s_mov_b32 s17, exec_lo
	v_cmpx_ne_u16_e32 0x80, v0
	s_cbranch_execz .LBB189_1355
; %bb.1350:                             ;   in Loop: Header=BB189_1075 Depth=1
	v_mov_b64_e32 v[12:13], 0x7f800001
	v_and_b32_e32 v1, 0x7f, v16
	s_mov_b32 s18, exec_lo
	s_delay_alu instid0(VALU_DEP_1)
	v_cmpx_ne_u32_e32 0x7f, v1
	s_cbranch_execz .LBB189_1354
; %bb.1351:                             ;   in Loop: Header=BB189_1075 Depth=1
	v_dual_lshrrev_b32 v0, 3, v1 :: v_dual_bitop2_b32 v42, 7, v16 bitop3:0x40
	s_mov_b32 s19, exec_lo
	v_cmpx_gt_u32_e32 8, v1
; %bb.1352:                             ;   in Loop: Header=BB189_1075 Depth=1
	s_delay_alu instid0(VALU_DEP_2) | instskip(NEXT) | instid1(VALU_DEP_1)
	v_clz_i32_u32_e32 v0, v42
	v_min_u32_e32 v0, 32, v0
	s_delay_alu instid0(VALU_DEP_1) | instskip(SKIP_1) | instid1(VALU_DEP_2)
	v_subrev_nc_u32_e32 v1, 28, v0
	v_sub_nc_u32_e32 v0, 29, v0
	v_lshlrev_b64_e32 v[8:9], v1, v[42:43]
	s_delay_alu instid0(VALU_DEP_1)
	v_and_b32_e32 v42, 7, v8
; %bb.1353:                             ;   in Loop: Header=BB189_1075 Depth=1
	s_or_b32 exec_lo, exec_lo, s19
	s_delay_alu instid0(VALU_DEP_1) | instskip(SKIP_1) | instid1(VALU_DEP_2)
	v_dual_lshlrev_b32 v1, 24, v16 :: v_dual_lshlrev_b32 v8, 20, v42
	v_lshl_add_u32 v0, v0, 23, 0x3c000000
	v_and_b32_e32 v1, 0x80000000, v1
	s_delay_alu instid0(VALU_DEP_1) | instskip(NEXT) | instid1(VALU_DEP_1)
	v_or3_b32 v42, v8, v1, v0
	v_mov_b64_e32 v[12:13], v[42:43]
.LBB189_1354:                           ;   in Loop: Header=BB189_1075 Depth=1
	s_or_b32 exec_lo, exec_lo, s18
.LBB189_1355:                           ;   in Loop: Header=BB189_1075 Depth=1
	s_delay_alu instid0(SALU_CYCLE_1)
	s_or_b32 exec_lo, exec_lo, s17
.LBB189_1356:                           ;   in Loop: Header=BB189_1075 Depth=1
	s_delay_alu instid0(SALU_CYCLE_1) | instskip(SKIP_2) | instid1(VALU_DEP_1)
	s_or_b32 exec_lo, exec_lo, s16
	v_lshrrev_b16 v0, 8, v16
	s_mov_b32 s16, exec_lo
	v_cmpx_ne_u16_e32 0, v0
	s_cbranch_execz .LBB189_1364
; %bb.1357:                             ;   in Loop: Header=BB189_1075 Depth=1
	v_mov_b64_e32 v[6:7], 0x8000000000000000
	s_mov_b32 s17, exec_lo
	v_cmpx_ne_u16_e32 0x80, v0
	s_cbranch_execz .LBB189_1363
; %bb.1358:                             ;   in Loop: Header=BB189_1075 Depth=1
	v_and_b32_e32 v0, 0xffff, v0
	v_mov_b64_e32 v[6:7], 0x7f80000100000000
	s_mov_b32 s18, exec_lo
	s_delay_alu instid0(VALU_DEP_2) | instskip(NEXT) | instid1(VALU_DEP_1)
	v_and_b32_e32 v1, 0x7f, v0
	v_cmpx_ne_u32_e32 0x7f, v1
	s_cbranch_execz .LBB189_1362
; %bb.1359:                             ;   in Loop: Header=BB189_1075 Depth=1
	v_dual_lshrrev_b32 v0, 3, v1 :: v_dual_bitop2_b32 v42, 7, v0 bitop3:0x40
	s_mov_b32 s19, exec_lo
	v_cmpx_gt_u32_e32 8, v1
; %bb.1360:                             ;   in Loop: Header=BB189_1075 Depth=1
	s_delay_alu instid0(VALU_DEP_2) | instskip(NEXT) | instid1(VALU_DEP_1)
	v_clz_i32_u32_e32 v0, v42
	v_min_u32_e32 v0, 32, v0
	s_delay_alu instid0(VALU_DEP_1) | instskip(NEXT) | instid1(VALU_DEP_1)
	v_subrev_nc_u32_e32 v1, 28, v0
	v_lshlrev_b64_e32 v[6:7], v1, v[42:43]
	s_delay_alu instid0(VALU_DEP_1)
	v_dual_sub_nc_u32 v0, 29, v0 :: v_dual_bitop2_b32 v42, 7, v6 bitop3:0x40
; %bb.1361:                             ;   in Loop: Header=BB189_1075 Depth=1
	s_or_b32 exec_lo, exec_lo, s19
	s_delay_alu instid0(VALU_DEP_1) | instskip(NEXT) | instid1(VALU_DEP_2)
	v_dual_lshlrev_b32 v1, 16, v16 :: v_dual_lshlrev_b32 v6, 20, v42
	v_lshl_add_u32 v0, v0, 23, 0x3c000000
	s_delay_alu instid0(VALU_DEP_2) | instskip(NEXT) | instid1(VALU_DEP_1)
	v_and_b32_e32 v1, 0x80000000, v1
	v_or3_b32 v7, v6, v1, v0
	v_mov_b32_e32 v6, v43
.LBB189_1362:                           ;   in Loop: Header=BB189_1075 Depth=1
	s_or_b32 exec_lo, exec_lo, s18
.LBB189_1363:                           ;   in Loop: Header=BB189_1075 Depth=1
	s_delay_alu instid0(SALU_CYCLE_1)
	s_or_b32 exec_lo, exec_lo, s17
.LBB189_1364:                           ;   in Loop: Header=BB189_1075 Depth=1
	s_delay_alu instid0(SALU_CYCLE_1) | instskip(SKIP_4) | instid1(VALU_DEP_3)
	s_or_b32 exec_lo, exec_lo, s16
	v_lshrrev_b32_e32 v0, 16, v16
	v_mov_b64_e32 v[14:15], 0
	v_mov_b64_e32 v[8:9], 0
	s_mov_b32 s16, exec_lo
	v_and_b32_e32 v1, 0xff, v0
	s_delay_alu instid0(VALU_DEP_1)
	v_cmpx_ne_u16_e32 0, v1
	s_cbranch_execz .LBB189_1372
; %bb.1365:                             ;   in Loop: Header=BB189_1075 Depth=1
	v_mov_b64_e32 v[8:9], 0x80000000
	s_mov_b32 s17, exec_lo
	v_cmpx_ne_u16_e32 0x80, v1
	s_cbranch_execz .LBB189_1371
; %bb.1366:                             ;   in Loop: Header=BB189_1075 Depth=1
	v_mov_b64_e32 v[8:9], 0x7f800001
	v_bfe_u32 v17, v16, 16, 7
	s_mov_b32 s18, exec_lo
	s_delay_alu instid0(VALU_DEP_1)
	v_cmpx_ne_u32_e32 0x7f, v17
	s_cbranch_execz .LBB189_1370
; %bb.1367:                             ;   in Loop: Header=BB189_1075 Depth=1
	v_dual_lshrrev_b32 v1, 3, v17 :: v_dual_bitop2_b32 v42, 7, v0 bitop3:0x40
	s_mov_b32 s19, exec_lo
	v_cmpx_gt_u32_e32 8, v17
; %bb.1368:                             ;   in Loop: Header=BB189_1075 Depth=1
	s_delay_alu instid0(VALU_DEP_2) | instskip(NEXT) | instid1(VALU_DEP_1)
	v_clz_i32_u32_e32 v1, v42
	v_min_u32_e32 v1, 32, v1
	s_delay_alu instid0(VALU_DEP_1) | instskip(NEXT) | instid1(VALU_DEP_1)
	v_subrev_nc_u32_e32 v8, 28, v1
	v_lshlrev_b64_e32 v[8:9], v8, v[42:43]
	s_delay_alu instid0(VALU_DEP_1)
	v_dual_sub_nc_u32 v1, 29, v1 :: v_dual_bitop2_b32 v42, 7, v8 bitop3:0x40
; %bb.1369:                             ;   in Loop: Header=BB189_1075 Depth=1
	s_or_b32 exec_lo, exec_lo, s19
	s_delay_alu instid0(VALU_DEP_1) | instskip(NEXT) | instid1(VALU_DEP_2)
	v_dual_lshlrev_b32 v0, 24, v0 :: v_dual_lshlrev_b32 v8, 20, v42
	v_lshl_add_u32 v1, v1, 23, 0x3c000000
	s_delay_alu instid0(VALU_DEP_2) | instskip(NEXT) | instid1(VALU_DEP_1)
	v_and_b32_e32 v0, 0x80000000, v0
	v_or3_b32 v42, v8, v0, v1
	s_delay_alu instid0(VALU_DEP_1)
	v_mov_b64_e32 v[8:9], v[42:43]
.LBB189_1370:                           ;   in Loop: Header=BB189_1075 Depth=1
	s_or_b32 exec_lo, exec_lo, s18
.LBB189_1371:                           ;   in Loop: Header=BB189_1075 Depth=1
	s_delay_alu instid0(SALU_CYCLE_1)
	s_or_b32 exec_lo, exec_lo, s17
.LBB189_1372:                           ;   in Loop: Header=BB189_1075 Depth=1
	s_delay_alu instid0(SALU_CYCLE_1) | instskip(NEXT) | instid1(SALU_CYCLE_1)
	s_or_b32 exec_lo, exec_lo, s16
	s_mov_b32 s16, exec_lo
	v_cmpx_lt_u32_e32 0xffffff, v16
	s_cbranch_execz .LBB189_1380
; %bb.1373:                             ;   in Loop: Header=BB189_1075 Depth=1
	v_mov_b64_e32 v[14:15], 0x8000000000000000
	v_lshrrev_b32_e32 v0, 24, v16
	s_mov_b32 s17, exec_lo
	s_delay_alu instid0(VALU_DEP_1)
	v_cmpx_ne_u32_e32 0x80, v0
	s_cbranch_execz .LBB189_1379
; %bb.1374:                             ;   in Loop: Header=BB189_1075 Depth=1
	v_mov_b64_e32 v[14:15], 0x7f80000100000000
	v_bfe_u32 v16, v16, 24, 7
	s_mov_b32 s18, exec_lo
	s_delay_alu instid0(VALU_DEP_1)
	v_cmpx_ne_u32_e32 0x7f, v16
	s_cbranch_execz .LBB189_1378
; %bb.1375:                             ;   in Loop: Header=BB189_1075 Depth=1
	v_and_b32_e32 v42, 7, v0
	v_lshrrev_b32_e32 v1, 3, v16
	s_mov_b32 s19, exec_lo
	v_cmpx_gt_u32_e32 8, v16
; %bb.1376:                             ;   in Loop: Header=BB189_1075 Depth=1
	s_delay_alu instid0(VALU_DEP_3) | instskip(NEXT) | instid1(VALU_DEP_1)
	v_clz_i32_u32_e32 v1, v42
	v_min_u32_e32 v1, 32, v1
	s_delay_alu instid0(VALU_DEP_1) | instskip(NEXT) | instid1(VALU_DEP_1)
	v_subrev_nc_u32_e32 v14, 28, v1
	v_lshlrev_b64_e32 v[14:15], v14, v[42:43]
	s_delay_alu instid0(VALU_DEP_1)
	v_dual_sub_nc_u32 v1, 29, v1 :: v_dual_bitop2_b32 v42, 7, v14 bitop3:0x40
; %bb.1377:                             ;   in Loop: Header=BB189_1075 Depth=1
	s_or_b32 exec_lo, exec_lo, s19
	s_delay_alu instid0(VALU_DEP_1) | instskip(NEXT) | instid1(VALU_DEP_2)
	v_dual_lshlrev_b32 v0, 24, v0 :: v_dual_lshlrev_b32 v14, 20, v42
	v_lshl_add_u32 v1, v1, 23, 0x3c000000
	s_delay_alu instid0(VALU_DEP_2) | instskip(NEXT) | instid1(VALU_DEP_1)
	v_and_b32_e32 v0, 0x80000000, v0
	v_or3_b32 v15, v14, v0, v1
	v_mov_b32_e32 v14, v43
.LBB189_1378:                           ;   in Loop: Header=BB189_1075 Depth=1
	s_or_b32 exec_lo, exec_lo, s18
.LBB189_1379:                           ;   in Loop: Header=BB189_1075 Depth=1
	s_delay_alu instid0(SALU_CYCLE_1)
	s_or_b32 exec_lo, exec_lo, s17
.LBB189_1380:                           ;   in Loop: Header=BB189_1075 Depth=1
	s_delay_alu instid0(SALU_CYCLE_1) | instskip(SKIP_4) | instid1(VALU_DEP_3)
	s_or_b32 exec_lo, exec_lo, s16
	v_or_b32_e32 v1, v7, v13
	v_or_b32_e32 v0, v6, v12
	;; [unrolled: 1-line block ×4, first 2 shown]
	v_pk_mul_f32 v[62:63], v[86:87], v[0:1]
	s_delay_alu instid0(VALU_DEP_2)
	v_pk_mul_f32 v[102:103], v[86:87], v[6:7]
	s_and_saveexec_b32 s16, vcc_lo
	s_cbranch_execz .LBB189_1382
; %bb.1381:                             ;   in Loop: Header=BB189_1075 Depth=1
	v_cmp_lt_i32_e64 s0, v47, v100
	s_delay_alu instid0(VALU_DEP_1) | instskip(SKIP_1) | instid1(VALU_DEP_1)
	v_cndmask_b32_e64 v62, 0, v62, s0
	v_cmp_lt_i32_e64 s0, v56, v100
	v_cndmask_b32_e64 v63, 0, v63, s0
	v_cmp_lt_i32_e64 s0, v41, v100
	s_delay_alu instid0(VALU_DEP_1) | instskip(SKIP_1) | instid1(VALU_DEP_1)
	v_cndmask_b32_e64 v102, 0, v102, s0
	v_cmp_lt_i32_e64 s0, v40, v100
	v_cndmask_b32_e64 v103, 0, v103, s0
.LBB189_1382:                           ;   in Loop: Header=BB189_1075 Depth=1
	s_or_b32 exec_lo, exec_lo, s16
	flat_load_b32 v8, v[118:119] offset:1152
	v_mov_b64_e32 v[6:7], 0
	v_mov_b64_e32 v[12:13], 0
	s_mov_b32 s16, exec_lo
	s_wait_loadcnt_dscnt 0x0
	v_and_b32_e32 v0, 0xff, v8
	s_wait_xcnt 0x0
	s_delay_alu instid0(VALU_DEP_1)
	v_cmpx_ne_u16_e32 0, v0
	s_cbranch_execz .LBB189_1390
; %bb.1383:                             ;   in Loop: Header=BB189_1075 Depth=1
	v_mov_b64_e32 v[12:13], 0x80000000
	s_mov_b32 s17, exec_lo
	v_cmpx_ne_u16_e32 0x80, v0
	s_cbranch_execz .LBB189_1389
; %bb.1384:                             ;   in Loop: Header=BB189_1075 Depth=1
	v_mov_b64_e32 v[12:13], 0x7f800001
	v_and_b32_e32 v1, 0x7f, v8
	s_mov_b32 s18, exec_lo
	s_delay_alu instid0(VALU_DEP_1)
	v_cmpx_ne_u32_e32 0x7f, v1
	s_cbranch_execz .LBB189_1388
; %bb.1385:                             ;   in Loop: Header=BB189_1075 Depth=1
	v_dual_lshrrev_b32 v0, 3, v1 :: v_dual_bitop2_b32 v42, 7, v8 bitop3:0x40
	s_mov_b32 s19, exec_lo
	v_cmpx_gt_u32_e32 8, v1
; %bb.1386:                             ;   in Loop: Header=BB189_1075 Depth=1
	s_delay_alu instid0(VALU_DEP_2) | instskip(NEXT) | instid1(VALU_DEP_1)
	v_clz_i32_u32_e32 v0, v42
	v_min_u32_e32 v0, 32, v0
	s_delay_alu instid0(VALU_DEP_1) | instskip(SKIP_1) | instid1(VALU_DEP_2)
	v_subrev_nc_u32_e32 v1, 28, v0
	v_sub_nc_u32_e32 v0, 29, v0
	v_lshlrev_b64_e32 v[12:13], v1, v[42:43]
	s_delay_alu instid0(VALU_DEP_1)
	v_and_b32_e32 v42, 7, v12
; %bb.1387:                             ;   in Loop: Header=BB189_1075 Depth=1
	s_or_b32 exec_lo, exec_lo, s19
	s_delay_alu instid0(VALU_DEP_1) | instskip(SKIP_1) | instid1(VALU_DEP_2)
	v_dual_lshlrev_b32 v1, 24, v8 :: v_dual_lshlrev_b32 v9, 20, v42
	v_lshl_add_u32 v0, v0, 23, 0x3c000000
	v_and_b32_e32 v1, 0x80000000, v1
	s_delay_alu instid0(VALU_DEP_1) | instskip(NEXT) | instid1(VALU_DEP_1)
	v_or3_b32 v42, v9, v1, v0
	v_mov_b64_e32 v[12:13], v[42:43]
.LBB189_1388:                           ;   in Loop: Header=BB189_1075 Depth=1
	s_or_b32 exec_lo, exec_lo, s18
.LBB189_1389:                           ;   in Loop: Header=BB189_1075 Depth=1
	s_delay_alu instid0(SALU_CYCLE_1)
	s_or_b32 exec_lo, exec_lo, s17
.LBB189_1390:                           ;   in Loop: Header=BB189_1075 Depth=1
	s_delay_alu instid0(SALU_CYCLE_1) | instskip(SKIP_2) | instid1(VALU_DEP_1)
	s_or_b32 exec_lo, exec_lo, s16
	v_lshrrev_b16 v0, 8, v8
	s_mov_b32 s16, exec_lo
	v_cmpx_ne_u16_e32 0, v0
	s_cbranch_execz .LBB189_1398
; %bb.1391:                             ;   in Loop: Header=BB189_1075 Depth=1
	v_mov_b64_e32 v[6:7], 0x8000000000000000
	s_mov_b32 s17, exec_lo
	v_cmpx_ne_u16_e32 0x80, v0
	s_cbranch_execz .LBB189_1397
; %bb.1392:                             ;   in Loop: Header=BB189_1075 Depth=1
	v_and_b32_e32 v0, 0xffff, v0
	v_mov_b64_e32 v[6:7], 0x7f80000100000000
	s_mov_b32 s18, exec_lo
	s_delay_alu instid0(VALU_DEP_2) | instskip(NEXT) | instid1(VALU_DEP_1)
	v_and_b32_e32 v1, 0x7f, v0
	v_cmpx_ne_u32_e32 0x7f, v1
	s_cbranch_execz .LBB189_1396
; %bb.1393:                             ;   in Loop: Header=BB189_1075 Depth=1
	v_dual_lshrrev_b32 v0, 3, v1 :: v_dual_bitop2_b32 v42, 7, v0 bitop3:0x40
	s_mov_b32 s19, exec_lo
	v_cmpx_gt_u32_e32 8, v1
; %bb.1394:                             ;   in Loop: Header=BB189_1075 Depth=1
	s_delay_alu instid0(VALU_DEP_2) | instskip(NEXT) | instid1(VALU_DEP_1)
	v_clz_i32_u32_e32 v0, v42
	v_min_u32_e32 v0, 32, v0
	s_delay_alu instid0(VALU_DEP_1) | instskip(NEXT) | instid1(VALU_DEP_1)
	v_subrev_nc_u32_e32 v1, 28, v0
	v_lshlrev_b64_e32 v[6:7], v1, v[42:43]
	s_delay_alu instid0(VALU_DEP_1)
	v_dual_sub_nc_u32 v0, 29, v0 :: v_dual_bitop2_b32 v42, 7, v6 bitop3:0x40
; %bb.1395:                             ;   in Loop: Header=BB189_1075 Depth=1
	s_or_b32 exec_lo, exec_lo, s19
	s_delay_alu instid0(VALU_DEP_1) | instskip(NEXT) | instid1(VALU_DEP_2)
	v_dual_lshlrev_b32 v1, 16, v8 :: v_dual_lshlrev_b32 v6, 20, v42
	v_lshl_add_u32 v0, v0, 23, 0x3c000000
	s_delay_alu instid0(VALU_DEP_2) | instskip(NEXT) | instid1(VALU_DEP_1)
	v_and_b32_e32 v1, 0x80000000, v1
	v_or3_b32 v7, v6, v1, v0
	v_mov_b32_e32 v6, v43
.LBB189_1396:                           ;   in Loop: Header=BB189_1075 Depth=1
	s_or_b32 exec_lo, exec_lo, s18
.LBB189_1397:                           ;   in Loop: Header=BB189_1075 Depth=1
	s_delay_alu instid0(SALU_CYCLE_1)
	s_or_b32 exec_lo, exec_lo, s17
.LBB189_1398:                           ;   in Loop: Header=BB189_1075 Depth=1
	s_delay_alu instid0(SALU_CYCLE_1) | instskip(SKIP_4) | instid1(VALU_DEP_3)
	s_or_b32 exec_lo, exec_lo, s16
	v_lshrrev_b32_e32 v9, 16, v8
	v_mov_b64_e32 v[14:15], 0
	v_mov_b64_e32 v[16:17], 0
	s_mov_b32 s16, exec_lo
	v_and_b32_e32 v0, 0xff, v9
	s_delay_alu instid0(VALU_DEP_1)
	v_cmpx_ne_u16_e32 0, v0
	s_cbranch_execz .LBB189_1406
; %bb.1399:                             ;   in Loop: Header=BB189_1075 Depth=1
	v_mov_b64_e32 v[16:17], 0x80000000
	s_mov_b32 s17, exec_lo
	v_cmpx_ne_u16_e32 0x80, v0
	s_cbranch_execz .LBB189_1405
; %bb.1400:                             ;   in Loop: Header=BB189_1075 Depth=1
	v_mov_b64_e32 v[16:17], 0x7f800001
	v_bfe_u32 v1, v8, 16, 7
	s_mov_b32 s18, exec_lo
	s_delay_alu instid0(VALU_DEP_1)
	v_cmpx_ne_u32_e32 0x7f, v1
	s_cbranch_execz .LBB189_1404
; %bb.1401:                             ;   in Loop: Header=BB189_1075 Depth=1
	v_and_b32_e32 v42, 7, v9
	v_lshrrev_b32_e32 v0, 3, v1
	s_mov_b32 s19, exec_lo
	v_cmpx_gt_u32_e32 8, v1
; %bb.1402:                             ;   in Loop: Header=BB189_1075 Depth=1
	s_delay_alu instid0(VALU_DEP_3) | instskip(NEXT) | instid1(VALU_DEP_1)
	v_clz_i32_u32_e32 v0, v42
	v_min_u32_e32 v0, 32, v0
	s_delay_alu instid0(VALU_DEP_1) | instskip(SKIP_1) | instid1(VALU_DEP_2)
	v_subrev_nc_u32_e32 v1, 28, v0
	v_sub_nc_u32_e32 v0, 29, v0
	v_lshlrev_b64_e32 v[16:17], v1, v[42:43]
	s_delay_alu instid0(VALU_DEP_1)
	v_and_b32_e32 v42, 7, v16
; %bb.1403:                             ;   in Loop: Header=BB189_1075 Depth=1
	s_or_b32 exec_lo, exec_lo, s19
	s_delay_alu instid0(VALU_DEP_1) | instskip(SKIP_1) | instid1(VALU_DEP_2)
	v_dual_lshlrev_b32 v1, 24, v9 :: v_dual_lshlrev_b32 v9, 20, v42
	v_lshl_add_u32 v0, v0, 23, 0x3c000000
	v_and_b32_e32 v1, 0x80000000, v1
	s_delay_alu instid0(VALU_DEP_1) | instskip(NEXT) | instid1(VALU_DEP_1)
	v_or3_b32 v42, v9, v1, v0
	v_mov_b64_e32 v[16:17], v[42:43]
.LBB189_1404:                           ;   in Loop: Header=BB189_1075 Depth=1
	s_or_b32 exec_lo, exec_lo, s18
.LBB189_1405:                           ;   in Loop: Header=BB189_1075 Depth=1
	s_delay_alu instid0(SALU_CYCLE_1)
	s_or_b32 exec_lo, exec_lo, s17
.LBB189_1406:                           ;   in Loop: Header=BB189_1075 Depth=1
	s_delay_alu instid0(SALU_CYCLE_1) | instskip(NEXT) | instid1(SALU_CYCLE_1)
	s_or_b32 exec_lo, exec_lo, s16
	s_mov_b32 s16, exec_lo
	v_cmpx_lt_u32_e32 0xffffff, v8
	s_cbranch_execz .LBB189_1414
; %bb.1407:                             ;   in Loop: Header=BB189_1075 Depth=1
	v_mov_b64_e32 v[14:15], 0x8000000000000000
	v_lshrrev_b32_e32 v0, 24, v8
	s_mov_b32 s17, exec_lo
	s_delay_alu instid0(VALU_DEP_1)
	v_cmpx_ne_u32_e32 0x80, v0
	s_cbranch_execz .LBB189_1413
; %bb.1408:                             ;   in Loop: Header=BB189_1075 Depth=1
	v_mov_b64_e32 v[14:15], 0x7f80000100000000
	v_bfe_u32 v8, v8, 24, 7
	s_mov_b32 s18, exec_lo
	s_delay_alu instid0(VALU_DEP_1)
	v_cmpx_ne_u32_e32 0x7f, v8
	s_cbranch_execz .LBB189_1412
; %bb.1409:                             ;   in Loop: Header=BB189_1075 Depth=1
	v_and_b32_e32 v42, 7, v0
	v_lshrrev_b32_e32 v1, 3, v8
	s_mov_b32 s19, exec_lo
	v_cmpx_gt_u32_e32 8, v8
; %bb.1410:                             ;   in Loop: Header=BB189_1075 Depth=1
	s_delay_alu instid0(VALU_DEP_3) | instskip(NEXT) | instid1(VALU_DEP_1)
	v_clz_i32_u32_e32 v1, v42
	v_min_u32_e32 v1, 32, v1
	s_delay_alu instid0(VALU_DEP_1) | instskip(NEXT) | instid1(VALU_DEP_1)
	v_subrev_nc_u32_e32 v8, 28, v1
	v_lshlrev_b64_e32 v[8:9], v8, v[42:43]
	s_delay_alu instid0(VALU_DEP_1)
	v_dual_sub_nc_u32 v1, 29, v1 :: v_dual_bitop2_b32 v42, 7, v8 bitop3:0x40
; %bb.1411:                             ;   in Loop: Header=BB189_1075 Depth=1
	s_or_b32 exec_lo, exec_lo, s19
	s_delay_alu instid0(VALU_DEP_1) | instskip(NEXT) | instid1(VALU_DEP_2)
	v_dual_lshlrev_b32 v0, 24, v0 :: v_dual_lshlrev_b32 v8, 20, v42
	v_lshl_add_u32 v1, v1, 23, 0x3c000000
	v_mov_b32_e32 v14, v43
	s_delay_alu instid0(VALU_DEP_3) | instskip(NEXT) | instid1(VALU_DEP_1)
	v_and_b32_e32 v0, 0x80000000, v0
	v_or3_b32 v15, v8, v0, v1
.LBB189_1412:                           ;   in Loop: Header=BB189_1075 Depth=1
	s_or_b32 exec_lo, exec_lo, s18
.LBB189_1413:                           ;   in Loop: Header=BB189_1075 Depth=1
	s_delay_alu instid0(SALU_CYCLE_1)
	s_or_b32 exec_lo, exec_lo, s17
.LBB189_1414:                           ;   in Loop: Header=BB189_1075 Depth=1
	s_delay_alu instid0(SALU_CYCLE_1) | instskip(SKIP_4) | instid1(VALU_DEP_3)
	s_or_b32 exec_lo, exec_lo, s16
	v_or_b32_e32 v1, v7, v13
	v_or_b32_e32 v0, v6, v12
	;; [unrolled: 1-line block ×4, first 2 shown]
	v_pk_mul_f32 v[74:75], v[86:87], v[0:1]
	s_delay_alu instid0(VALU_DEP_2)
	v_pk_mul_f32 v[72:73], v[86:87], v[6:7]
	s_and_saveexec_b32 s16, vcc_lo
	s_cbranch_execz .LBB189_1416
; %bb.1415:                             ;   in Loop: Header=BB189_1075 Depth=1
	v_cmp_lt_i32_e64 s0, v47, v100
	s_delay_alu instid0(VALU_DEP_1) | instskip(SKIP_1) | instid1(VALU_DEP_1)
	v_cndmask_b32_e64 v74, 0, v74, s0
	v_cmp_lt_i32_e64 s0, v56, v100
	v_cndmask_b32_e64 v75, 0, v75, s0
	v_cmp_lt_i32_e64 s0, v41, v100
	s_delay_alu instid0(VALU_DEP_1) | instskip(SKIP_1) | instid1(VALU_DEP_1)
	v_cndmask_b32_e64 v72, 0, v72, s0
	v_cmp_lt_i32_e64 s0, v40, v100
	v_cndmask_b32_e64 v73, 0, v73, s0
.LBB189_1416:                           ;   in Loop: Header=BB189_1075 Depth=1
	s_or_b32 exec_lo, exec_lo, s16
	flat_load_b32 v8, v[118:119] offset:1280
	v_mov_b64_e32 v[6:7], 0
	v_mov_b64_e32 v[12:13], 0
	s_mov_b32 s16, exec_lo
	s_wait_loadcnt_dscnt 0x0
	v_and_b32_e32 v0, 0xff, v8
	s_wait_xcnt 0x0
	s_delay_alu instid0(VALU_DEP_1)
	v_cmpx_ne_u16_e32 0, v0
	s_cbranch_execz .LBB189_1424
; %bb.1417:                             ;   in Loop: Header=BB189_1075 Depth=1
	v_mov_b64_e32 v[12:13], 0x80000000
	s_mov_b32 s17, exec_lo
	v_cmpx_ne_u16_e32 0x80, v0
	s_cbranch_execz .LBB189_1423
; %bb.1418:                             ;   in Loop: Header=BB189_1075 Depth=1
	v_mov_b64_e32 v[12:13], 0x7f800001
	v_and_b32_e32 v1, 0x7f, v8
	s_mov_b32 s18, exec_lo
	s_delay_alu instid0(VALU_DEP_1)
	v_cmpx_ne_u32_e32 0x7f, v1
	s_cbranch_execz .LBB189_1422
; %bb.1419:                             ;   in Loop: Header=BB189_1075 Depth=1
	v_dual_lshrrev_b32 v0, 3, v1 :: v_dual_bitop2_b32 v42, 7, v8 bitop3:0x40
	s_mov_b32 s19, exec_lo
	v_cmpx_gt_u32_e32 8, v1
; %bb.1420:                             ;   in Loop: Header=BB189_1075 Depth=1
	s_delay_alu instid0(VALU_DEP_2) | instskip(NEXT) | instid1(VALU_DEP_1)
	v_clz_i32_u32_e32 v0, v42
	v_min_u32_e32 v0, 32, v0
	s_delay_alu instid0(VALU_DEP_1) | instskip(SKIP_1) | instid1(VALU_DEP_2)
	v_subrev_nc_u32_e32 v1, 28, v0
	v_sub_nc_u32_e32 v0, 29, v0
	v_lshlrev_b64_e32 v[12:13], v1, v[42:43]
	s_delay_alu instid0(VALU_DEP_1)
	v_and_b32_e32 v42, 7, v12
; %bb.1421:                             ;   in Loop: Header=BB189_1075 Depth=1
	s_or_b32 exec_lo, exec_lo, s19
	s_delay_alu instid0(VALU_DEP_1) | instskip(SKIP_1) | instid1(VALU_DEP_2)
	v_dual_lshlrev_b32 v1, 24, v8 :: v_dual_lshlrev_b32 v9, 20, v42
	v_lshl_add_u32 v0, v0, 23, 0x3c000000
	v_and_b32_e32 v1, 0x80000000, v1
	s_delay_alu instid0(VALU_DEP_1) | instskip(NEXT) | instid1(VALU_DEP_1)
	v_or3_b32 v42, v9, v1, v0
	v_mov_b64_e32 v[12:13], v[42:43]
.LBB189_1422:                           ;   in Loop: Header=BB189_1075 Depth=1
	s_or_b32 exec_lo, exec_lo, s18
.LBB189_1423:                           ;   in Loop: Header=BB189_1075 Depth=1
	s_delay_alu instid0(SALU_CYCLE_1)
	s_or_b32 exec_lo, exec_lo, s17
.LBB189_1424:                           ;   in Loop: Header=BB189_1075 Depth=1
	s_delay_alu instid0(SALU_CYCLE_1) | instskip(SKIP_2) | instid1(VALU_DEP_1)
	s_or_b32 exec_lo, exec_lo, s16
	v_lshrrev_b16 v0, 8, v8
	s_mov_b32 s16, exec_lo
	v_cmpx_ne_u16_e32 0, v0
	s_cbranch_execz .LBB189_1432
; %bb.1425:                             ;   in Loop: Header=BB189_1075 Depth=1
	v_mov_b64_e32 v[6:7], 0x8000000000000000
	s_mov_b32 s17, exec_lo
	v_cmpx_ne_u16_e32 0x80, v0
	s_cbranch_execz .LBB189_1431
; %bb.1426:                             ;   in Loop: Header=BB189_1075 Depth=1
	v_and_b32_e32 v0, 0xffff, v0
	v_mov_b64_e32 v[6:7], 0x7f80000100000000
	s_mov_b32 s18, exec_lo
	s_delay_alu instid0(VALU_DEP_2) | instskip(NEXT) | instid1(VALU_DEP_1)
	v_and_b32_e32 v1, 0x7f, v0
	v_cmpx_ne_u32_e32 0x7f, v1
	s_cbranch_execz .LBB189_1430
; %bb.1427:                             ;   in Loop: Header=BB189_1075 Depth=1
	v_dual_lshrrev_b32 v0, 3, v1 :: v_dual_bitop2_b32 v42, 7, v0 bitop3:0x40
	s_mov_b32 s19, exec_lo
	v_cmpx_gt_u32_e32 8, v1
; %bb.1428:                             ;   in Loop: Header=BB189_1075 Depth=1
	s_delay_alu instid0(VALU_DEP_2) | instskip(NEXT) | instid1(VALU_DEP_1)
	v_clz_i32_u32_e32 v0, v42
	v_min_u32_e32 v0, 32, v0
	s_delay_alu instid0(VALU_DEP_1) | instskip(NEXT) | instid1(VALU_DEP_1)
	v_subrev_nc_u32_e32 v1, 28, v0
	v_lshlrev_b64_e32 v[6:7], v1, v[42:43]
	s_delay_alu instid0(VALU_DEP_1)
	v_dual_sub_nc_u32 v0, 29, v0 :: v_dual_bitop2_b32 v42, 7, v6 bitop3:0x40
; %bb.1429:                             ;   in Loop: Header=BB189_1075 Depth=1
	s_or_b32 exec_lo, exec_lo, s19
	s_delay_alu instid0(VALU_DEP_1) | instskip(NEXT) | instid1(VALU_DEP_2)
	v_dual_lshlrev_b32 v1, 16, v8 :: v_dual_lshlrev_b32 v6, 20, v42
	v_lshl_add_u32 v0, v0, 23, 0x3c000000
	s_delay_alu instid0(VALU_DEP_2) | instskip(NEXT) | instid1(VALU_DEP_1)
	v_and_b32_e32 v1, 0x80000000, v1
	v_or3_b32 v7, v6, v1, v0
	v_mov_b32_e32 v6, v43
.LBB189_1430:                           ;   in Loop: Header=BB189_1075 Depth=1
	s_or_b32 exec_lo, exec_lo, s18
.LBB189_1431:                           ;   in Loop: Header=BB189_1075 Depth=1
	s_delay_alu instid0(SALU_CYCLE_1)
	s_or_b32 exec_lo, exec_lo, s17
.LBB189_1432:                           ;   in Loop: Header=BB189_1075 Depth=1
	s_delay_alu instid0(SALU_CYCLE_1) | instskip(SKIP_4) | instid1(VALU_DEP_3)
	s_or_b32 exec_lo, exec_lo, s16
	v_lshrrev_b32_e32 v9, 16, v8
	v_mov_b64_e32 v[14:15], 0
	v_mov_b64_e32 v[16:17], 0
	s_mov_b32 s16, exec_lo
	v_and_b32_e32 v0, 0xff, v9
	s_delay_alu instid0(VALU_DEP_1)
	v_cmpx_ne_u16_e32 0, v0
	s_cbranch_execz .LBB189_1440
; %bb.1433:                             ;   in Loop: Header=BB189_1075 Depth=1
	v_mov_b64_e32 v[16:17], 0x80000000
	s_mov_b32 s17, exec_lo
	v_cmpx_ne_u16_e32 0x80, v0
	s_cbranch_execz .LBB189_1439
; %bb.1434:                             ;   in Loop: Header=BB189_1075 Depth=1
	v_mov_b64_e32 v[16:17], 0x7f800001
	v_bfe_u32 v1, v8, 16, 7
	s_mov_b32 s18, exec_lo
	s_delay_alu instid0(VALU_DEP_1)
	v_cmpx_ne_u32_e32 0x7f, v1
	s_cbranch_execz .LBB189_1438
; %bb.1435:                             ;   in Loop: Header=BB189_1075 Depth=1
	v_and_b32_e32 v42, 7, v9
	v_lshrrev_b32_e32 v0, 3, v1
	s_mov_b32 s19, exec_lo
	v_cmpx_gt_u32_e32 8, v1
; %bb.1436:                             ;   in Loop: Header=BB189_1075 Depth=1
	s_delay_alu instid0(VALU_DEP_3) | instskip(NEXT) | instid1(VALU_DEP_1)
	v_clz_i32_u32_e32 v0, v42
	v_min_u32_e32 v0, 32, v0
	s_delay_alu instid0(VALU_DEP_1) | instskip(SKIP_1) | instid1(VALU_DEP_2)
	v_subrev_nc_u32_e32 v1, 28, v0
	v_sub_nc_u32_e32 v0, 29, v0
	v_lshlrev_b64_e32 v[16:17], v1, v[42:43]
	s_delay_alu instid0(VALU_DEP_1)
	v_and_b32_e32 v42, 7, v16
; %bb.1437:                             ;   in Loop: Header=BB189_1075 Depth=1
	s_or_b32 exec_lo, exec_lo, s19
	s_delay_alu instid0(VALU_DEP_1) | instskip(SKIP_1) | instid1(VALU_DEP_2)
	v_dual_lshlrev_b32 v1, 24, v9 :: v_dual_lshlrev_b32 v9, 20, v42
	v_lshl_add_u32 v0, v0, 23, 0x3c000000
	v_and_b32_e32 v1, 0x80000000, v1
	s_delay_alu instid0(VALU_DEP_1) | instskip(NEXT) | instid1(VALU_DEP_1)
	v_or3_b32 v42, v9, v1, v0
	v_mov_b64_e32 v[16:17], v[42:43]
.LBB189_1438:                           ;   in Loop: Header=BB189_1075 Depth=1
	s_or_b32 exec_lo, exec_lo, s18
.LBB189_1439:                           ;   in Loop: Header=BB189_1075 Depth=1
	s_delay_alu instid0(SALU_CYCLE_1)
	s_or_b32 exec_lo, exec_lo, s17
.LBB189_1440:                           ;   in Loop: Header=BB189_1075 Depth=1
	s_delay_alu instid0(SALU_CYCLE_1) | instskip(NEXT) | instid1(SALU_CYCLE_1)
	s_or_b32 exec_lo, exec_lo, s16
	s_mov_b32 s16, exec_lo
	v_cmpx_lt_u32_e32 0xffffff, v8
	s_cbranch_execz .LBB189_1448
; %bb.1441:                             ;   in Loop: Header=BB189_1075 Depth=1
	v_mov_b64_e32 v[14:15], 0x8000000000000000
	v_lshrrev_b32_e32 v0, 24, v8
	s_mov_b32 s17, exec_lo
	s_delay_alu instid0(VALU_DEP_1)
	v_cmpx_ne_u32_e32 0x80, v0
	s_cbranch_execz .LBB189_1447
; %bb.1442:                             ;   in Loop: Header=BB189_1075 Depth=1
	v_mov_b64_e32 v[14:15], 0x7f80000100000000
	v_bfe_u32 v8, v8, 24, 7
	s_mov_b32 s18, exec_lo
	s_delay_alu instid0(VALU_DEP_1)
	v_cmpx_ne_u32_e32 0x7f, v8
	s_cbranch_execz .LBB189_1446
; %bb.1443:                             ;   in Loop: Header=BB189_1075 Depth=1
	v_and_b32_e32 v42, 7, v0
	v_lshrrev_b32_e32 v1, 3, v8
	s_mov_b32 s19, exec_lo
	v_cmpx_gt_u32_e32 8, v8
; %bb.1444:                             ;   in Loop: Header=BB189_1075 Depth=1
	s_delay_alu instid0(VALU_DEP_3) | instskip(NEXT) | instid1(VALU_DEP_1)
	v_clz_i32_u32_e32 v1, v42
	v_min_u32_e32 v1, 32, v1
	s_delay_alu instid0(VALU_DEP_1) | instskip(NEXT) | instid1(VALU_DEP_1)
	v_subrev_nc_u32_e32 v8, 28, v1
	v_lshlrev_b64_e32 v[8:9], v8, v[42:43]
	s_delay_alu instid0(VALU_DEP_1)
	v_dual_sub_nc_u32 v1, 29, v1 :: v_dual_bitop2_b32 v42, 7, v8 bitop3:0x40
; %bb.1445:                             ;   in Loop: Header=BB189_1075 Depth=1
	s_or_b32 exec_lo, exec_lo, s19
	s_delay_alu instid0(VALU_DEP_1) | instskip(NEXT) | instid1(VALU_DEP_2)
	v_dual_lshlrev_b32 v0, 24, v0 :: v_dual_lshlrev_b32 v8, 20, v42
	v_lshl_add_u32 v1, v1, 23, 0x3c000000
	v_mov_b32_e32 v14, v43
	s_delay_alu instid0(VALU_DEP_3) | instskip(NEXT) | instid1(VALU_DEP_1)
	v_and_b32_e32 v0, 0x80000000, v0
	v_or3_b32 v15, v8, v0, v1
.LBB189_1446:                           ;   in Loop: Header=BB189_1075 Depth=1
	s_or_b32 exec_lo, exec_lo, s18
.LBB189_1447:                           ;   in Loop: Header=BB189_1075 Depth=1
	s_delay_alu instid0(SALU_CYCLE_1)
	s_or_b32 exec_lo, exec_lo, s17
.LBB189_1448:                           ;   in Loop: Header=BB189_1075 Depth=1
	s_delay_alu instid0(SALU_CYCLE_1) | instskip(SKIP_4) | instid1(VALU_DEP_3)
	s_or_b32 exec_lo, exec_lo, s16
	v_or_b32_e32 v1, v7, v13
	v_or_b32_e32 v0, v6, v12
	;; [unrolled: 1-line block ×4, first 2 shown]
	v_pk_mul_f32 v[78:79], v[86:87], v[0:1]
	s_delay_alu instid0(VALU_DEP_2)
	v_pk_mul_f32 v[76:77], v[86:87], v[6:7]
	s_and_saveexec_b32 s16, vcc_lo
	s_cbranch_execz .LBB189_1450
; %bb.1449:                             ;   in Loop: Header=BB189_1075 Depth=1
	v_cmp_lt_i32_e64 s0, v47, v100
	s_delay_alu instid0(VALU_DEP_1) | instskip(SKIP_1) | instid1(VALU_DEP_1)
	v_cndmask_b32_e64 v78, 0, v78, s0
	v_cmp_lt_i32_e64 s0, v56, v100
	v_cndmask_b32_e64 v79, 0, v79, s0
	v_cmp_lt_i32_e64 s0, v41, v100
	s_delay_alu instid0(VALU_DEP_1) | instskip(SKIP_1) | instid1(VALU_DEP_1)
	v_cndmask_b32_e64 v76, 0, v76, s0
	v_cmp_lt_i32_e64 s0, v40, v100
	v_cndmask_b32_e64 v77, 0, v77, s0
.LBB189_1450:                           ;   in Loop: Header=BB189_1075 Depth=1
	s_or_b32 exec_lo, exec_lo, s16
	flat_load_b32 v8, v[118:119] offset:1408
	v_mov_b64_e32 v[6:7], 0
	v_mov_b64_e32 v[12:13], 0
	s_mov_b32 s16, exec_lo
	s_wait_loadcnt_dscnt 0x0
	v_and_b32_e32 v0, 0xff, v8
	s_wait_xcnt 0x0
	s_delay_alu instid0(VALU_DEP_1)
	v_cmpx_ne_u16_e32 0, v0
	s_cbranch_execz .LBB189_1458
; %bb.1451:                             ;   in Loop: Header=BB189_1075 Depth=1
	v_mov_b64_e32 v[12:13], 0x80000000
	s_mov_b32 s17, exec_lo
	v_cmpx_ne_u16_e32 0x80, v0
	s_cbranch_execz .LBB189_1457
; %bb.1452:                             ;   in Loop: Header=BB189_1075 Depth=1
	v_mov_b64_e32 v[12:13], 0x7f800001
	v_and_b32_e32 v1, 0x7f, v8
	s_mov_b32 s18, exec_lo
	s_delay_alu instid0(VALU_DEP_1)
	v_cmpx_ne_u32_e32 0x7f, v1
	s_cbranch_execz .LBB189_1456
; %bb.1453:                             ;   in Loop: Header=BB189_1075 Depth=1
	v_dual_lshrrev_b32 v0, 3, v1 :: v_dual_bitop2_b32 v42, 7, v8 bitop3:0x40
	s_mov_b32 s19, exec_lo
	v_cmpx_gt_u32_e32 8, v1
; %bb.1454:                             ;   in Loop: Header=BB189_1075 Depth=1
	s_delay_alu instid0(VALU_DEP_2) | instskip(NEXT) | instid1(VALU_DEP_1)
	v_clz_i32_u32_e32 v0, v42
	v_min_u32_e32 v0, 32, v0
	s_delay_alu instid0(VALU_DEP_1) | instskip(SKIP_1) | instid1(VALU_DEP_2)
	v_subrev_nc_u32_e32 v1, 28, v0
	v_sub_nc_u32_e32 v0, 29, v0
	v_lshlrev_b64_e32 v[12:13], v1, v[42:43]
	s_delay_alu instid0(VALU_DEP_1)
	v_and_b32_e32 v42, 7, v12
; %bb.1455:                             ;   in Loop: Header=BB189_1075 Depth=1
	s_or_b32 exec_lo, exec_lo, s19
	s_delay_alu instid0(VALU_DEP_1) | instskip(SKIP_1) | instid1(VALU_DEP_2)
	v_dual_lshlrev_b32 v1, 24, v8 :: v_dual_lshlrev_b32 v9, 20, v42
	v_lshl_add_u32 v0, v0, 23, 0x3c000000
	v_and_b32_e32 v1, 0x80000000, v1
	s_delay_alu instid0(VALU_DEP_1) | instskip(NEXT) | instid1(VALU_DEP_1)
	v_or3_b32 v42, v9, v1, v0
	v_mov_b64_e32 v[12:13], v[42:43]
.LBB189_1456:                           ;   in Loop: Header=BB189_1075 Depth=1
	s_or_b32 exec_lo, exec_lo, s18
.LBB189_1457:                           ;   in Loop: Header=BB189_1075 Depth=1
	s_delay_alu instid0(SALU_CYCLE_1)
	s_or_b32 exec_lo, exec_lo, s17
.LBB189_1458:                           ;   in Loop: Header=BB189_1075 Depth=1
	s_delay_alu instid0(SALU_CYCLE_1) | instskip(SKIP_2) | instid1(VALU_DEP_1)
	s_or_b32 exec_lo, exec_lo, s16
	v_lshrrev_b16 v0, 8, v8
	s_mov_b32 s16, exec_lo
	v_cmpx_ne_u16_e32 0, v0
	s_cbranch_execz .LBB189_1466
; %bb.1459:                             ;   in Loop: Header=BB189_1075 Depth=1
	v_mov_b64_e32 v[6:7], 0x8000000000000000
	s_mov_b32 s17, exec_lo
	v_cmpx_ne_u16_e32 0x80, v0
	s_cbranch_execz .LBB189_1465
; %bb.1460:                             ;   in Loop: Header=BB189_1075 Depth=1
	v_and_b32_e32 v0, 0xffff, v0
	v_mov_b64_e32 v[6:7], 0x7f80000100000000
	s_mov_b32 s18, exec_lo
	s_delay_alu instid0(VALU_DEP_2) | instskip(NEXT) | instid1(VALU_DEP_1)
	v_and_b32_e32 v1, 0x7f, v0
	v_cmpx_ne_u32_e32 0x7f, v1
	s_cbranch_execz .LBB189_1464
; %bb.1461:                             ;   in Loop: Header=BB189_1075 Depth=1
	v_dual_lshrrev_b32 v0, 3, v1 :: v_dual_bitop2_b32 v42, 7, v0 bitop3:0x40
	s_mov_b32 s19, exec_lo
	v_cmpx_gt_u32_e32 8, v1
; %bb.1462:                             ;   in Loop: Header=BB189_1075 Depth=1
	s_delay_alu instid0(VALU_DEP_2) | instskip(NEXT) | instid1(VALU_DEP_1)
	v_clz_i32_u32_e32 v0, v42
	v_min_u32_e32 v0, 32, v0
	s_delay_alu instid0(VALU_DEP_1) | instskip(NEXT) | instid1(VALU_DEP_1)
	v_subrev_nc_u32_e32 v1, 28, v0
	v_lshlrev_b64_e32 v[6:7], v1, v[42:43]
	s_delay_alu instid0(VALU_DEP_1)
	v_dual_sub_nc_u32 v0, 29, v0 :: v_dual_bitop2_b32 v42, 7, v6 bitop3:0x40
; %bb.1463:                             ;   in Loop: Header=BB189_1075 Depth=1
	s_or_b32 exec_lo, exec_lo, s19
	s_delay_alu instid0(VALU_DEP_1) | instskip(NEXT) | instid1(VALU_DEP_2)
	v_dual_lshlrev_b32 v1, 16, v8 :: v_dual_lshlrev_b32 v6, 20, v42
	v_lshl_add_u32 v0, v0, 23, 0x3c000000
	s_delay_alu instid0(VALU_DEP_2) | instskip(NEXT) | instid1(VALU_DEP_1)
	v_and_b32_e32 v1, 0x80000000, v1
	v_or3_b32 v7, v6, v1, v0
	v_mov_b32_e32 v6, v43
.LBB189_1464:                           ;   in Loop: Header=BB189_1075 Depth=1
	s_or_b32 exec_lo, exec_lo, s18
.LBB189_1465:                           ;   in Loop: Header=BB189_1075 Depth=1
	s_delay_alu instid0(SALU_CYCLE_1)
	s_or_b32 exec_lo, exec_lo, s17
.LBB189_1466:                           ;   in Loop: Header=BB189_1075 Depth=1
	s_delay_alu instid0(SALU_CYCLE_1) | instskip(SKIP_4) | instid1(VALU_DEP_3)
	s_or_b32 exec_lo, exec_lo, s16
	v_lshrrev_b32_e32 v9, 16, v8
	v_mov_b64_e32 v[14:15], 0
	v_mov_b64_e32 v[16:17], 0
	s_mov_b32 s16, exec_lo
	v_and_b32_e32 v0, 0xff, v9
	s_delay_alu instid0(VALU_DEP_1)
	v_cmpx_ne_u16_e32 0, v0
	s_cbranch_execz .LBB189_1474
; %bb.1467:                             ;   in Loop: Header=BB189_1075 Depth=1
	v_mov_b64_e32 v[16:17], 0x80000000
	s_mov_b32 s17, exec_lo
	v_cmpx_ne_u16_e32 0x80, v0
	s_cbranch_execz .LBB189_1473
; %bb.1468:                             ;   in Loop: Header=BB189_1075 Depth=1
	v_mov_b64_e32 v[16:17], 0x7f800001
	v_bfe_u32 v1, v8, 16, 7
	s_mov_b32 s18, exec_lo
	s_delay_alu instid0(VALU_DEP_1)
	v_cmpx_ne_u32_e32 0x7f, v1
	s_cbranch_execz .LBB189_1472
; %bb.1469:                             ;   in Loop: Header=BB189_1075 Depth=1
	v_and_b32_e32 v42, 7, v9
	v_lshrrev_b32_e32 v0, 3, v1
	s_mov_b32 s19, exec_lo
	v_cmpx_gt_u32_e32 8, v1
; %bb.1470:                             ;   in Loop: Header=BB189_1075 Depth=1
	s_delay_alu instid0(VALU_DEP_3) | instskip(NEXT) | instid1(VALU_DEP_1)
	v_clz_i32_u32_e32 v0, v42
	v_min_u32_e32 v0, 32, v0
	s_delay_alu instid0(VALU_DEP_1) | instskip(SKIP_1) | instid1(VALU_DEP_2)
	v_subrev_nc_u32_e32 v1, 28, v0
	v_sub_nc_u32_e32 v0, 29, v0
	v_lshlrev_b64_e32 v[16:17], v1, v[42:43]
	s_delay_alu instid0(VALU_DEP_1)
	v_and_b32_e32 v42, 7, v16
; %bb.1471:                             ;   in Loop: Header=BB189_1075 Depth=1
	s_or_b32 exec_lo, exec_lo, s19
	s_delay_alu instid0(VALU_DEP_1) | instskip(SKIP_1) | instid1(VALU_DEP_2)
	v_dual_lshlrev_b32 v1, 24, v9 :: v_dual_lshlrev_b32 v9, 20, v42
	v_lshl_add_u32 v0, v0, 23, 0x3c000000
	v_and_b32_e32 v1, 0x80000000, v1
	s_delay_alu instid0(VALU_DEP_1) | instskip(NEXT) | instid1(VALU_DEP_1)
	v_or3_b32 v42, v9, v1, v0
	v_mov_b64_e32 v[16:17], v[42:43]
.LBB189_1472:                           ;   in Loop: Header=BB189_1075 Depth=1
	s_or_b32 exec_lo, exec_lo, s18
.LBB189_1473:                           ;   in Loop: Header=BB189_1075 Depth=1
	s_delay_alu instid0(SALU_CYCLE_1)
	s_or_b32 exec_lo, exec_lo, s17
.LBB189_1474:                           ;   in Loop: Header=BB189_1075 Depth=1
	s_delay_alu instid0(SALU_CYCLE_1) | instskip(NEXT) | instid1(SALU_CYCLE_1)
	s_or_b32 exec_lo, exec_lo, s16
	s_mov_b32 s16, exec_lo
	v_cmpx_lt_u32_e32 0xffffff, v8
	s_cbranch_execz .LBB189_1482
; %bb.1475:                             ;   in Loop: Header=BB189_1075 Depth=1
	v_mov_b64_e32 v[14:15], 0x8000000000000000
	v_lshrrev_b32_e32 v0, 24, v8
	s_mov_b32 s17, exec_lo
	s_delay_alu instid0(VALU_DEP_1)
	v_cmpx_ne_u32_e32 0x80, v0
	s_cbranch_execz .LBB189_1481
; %bb.1476:                             ;   in Loop: Header=BB189_1075 Depth=1
	v_mov_b64_e32 v[14:15], 0x7f80000100000000
	v_bfe_u32 v8, v8, 24, 7
	s_mov_b32 s18, exec_lo
	s_delay_alu instid0(VALU_DEP_1)
	v_cmpx_ne_u32_e32 0x7f, v8
	s_cbranch_execz .LBB189_1480
; %bb.1477:                             ;   in Loop: Header=BB189_1075 Depth=1
	v_and_b32_e32 v42, 7, v0
	v_lshrrev_b32_e32 v1, 3, v8
	s_mov_b32 s19, exec_lo
	v_cmpx_gt_u32_e32 8, v8
; %bb.1478:                             ;   in Loop: Header=BB189_1075 Depth=1
	s_delay_alu instid0(VALU_DEP_3) | instskip(NEXT) | instid1(VALU_DEP_1)
	v_clz_i32_u32_e32 v1, v42
	v_min_u32_e32 v1, 32, v1
	s_delay_alu instid0(VALU_DEP_1) | instskip(NEXT) | instid1(VALU_DEP_1)
	v_subrev_nc_u32_e32 v8, 28, v1
	v_lshlrev_b64_e32 v[8:9], v8, v[42:43]
	s_delay_alu instid0(VALU_DEP_1)
	v_dual_sub_nc_u32 v1, 29, v1 :: v_dual_bitop2_b32 v42, 7, v8 bitop3:0x40
; %bb.1479:                             ;   in Loop: Header=BB189_1075 Depth=1
	s_or_b32 exec_lo, exec_lo, s19
	s_delay_alu instid0(VALU_DEP_1) | instskip(NEXT) | instid1(VALU_DEP_2)
	v_dual_lshlrev_b32 v0, 24, v0 :: v_dual_lshlrev_b32 v8, 20, v42
	v_lshl_add_u32 v1, v1, 23, 0x3c000000
	v_mov_b32_e32 v14, v43
	s_delay_alu instid0(VALU_DEP_3) | instskip(NEXT) | instid1(VALU_DEP_1)
	v_and_b32_e32 v0, 0x80000000, v0
	v_or3_b32 v15, v8, v0, v1
.LBB189_1480:                           ;   in Loop: Header=BB189_1075 Depth=1
	s_or_b32 exec_lo, exec_lo, s18
.LBB189_1481:                           ;   in Loop: Header=BB189_1075 Depth=1
	s_delay_alu instid0(SALU_CYCLE_1)
	s_or_b32 exec_lo, exec_lo, s17
.LBB189_1482:                           ;   in Loop: Header=BB189_1075 Depth=1
	s_delay_alu instid0(SALU_CYCLE_1) | instskip(SKIP_4) | instid1(VALU_DEP_3)
	s_or_b32 exec_lo, exec_lo, s16
	v_or_b32_e32 v1, v7, v13
	v_or_b32_e32 v0, v6, v12
	;; [unrolled: 1-line block ×4, first 2 shown]
	v_pk_mul_f32 v[90:91], v[86:87], v[0:1]
	s_delay_alu instid0(VALU_DEP_2)
	v_pk_mul_f32 v[88:89], v[86:87], v[6:7]
	s_and_saveexec_b32 s16, vcc_lo
	s_cbranch_execz .LBB189_1484
; %bb.1483:                             ;   in Loop: Header=BB189_1075 Depth=1
	v_cmp_lt_i32_e64 s0, v47, v100
	s_delay_alu instid0(VALU_DEP_1) | instskip(SKIP_1) | instid1(VALU_DEP_1)
	v_cndmask_b32_e64 v90, 0, v90, s0
	v_cmp_lt_i32_e64 s0, v56, v100
	v_cndmask_b32_e64 v91, 0, v91, s0
	v_cmp_lt_i32_e64 s0, v41, v100
	s_delay_alu instid0(VALU_DEP_1) | instskip(SKIP_1) | instid1(VALU_DEP_1)
	v_cndmask_b32_e64 v88, 0, v88, s0
	v_cmp_lt_i32_e64 s0, v40, v100
	v_cndmask_b32_e64 v89, 0, v89, s0
.LBB189_1484:                           ;   in Loop: Header=BB189_1075 Depth=1
	s_or_b32 exec_lo, exec_lo, s16
	flat_load_b32 v8, v[118:119] offset:1536
	v_mov_b64_e32 v[6:7], 0
	v_mov_b64_e32 v[12:13], 0
	s_mov_b32 s16, exec_lo
	s_wait_loadcnt_dscnt 0x0
	v_and_b32_e32 v0, 0xff, v8
	s_wait_xcnt 0x0
	s_delay_alu instid0(VALU_DEP_1)
	v_cmpx_ne_u16_e32 0, v0
	s_cbranch_execz .LBB189_1492
; %bb.1485:                             ;   in Loop: Header=BB189_1075 Depth=1
	v_mov_b64_e32 v[12:13], 0x80000000
	s_mov_b32 s17, exec_lo
	v_cmpx_ne_u16_e32 0x80, v0
	s_cbranch_execz .LBB189_1491
; %bb.1486:                             ;   in Loop: Header=BB189_1075 Depth=1
	v_mov_b64_e32 v[12:13], 0x7f800001
	v_and_b32_e32 v1, 0x7f, v8
	s_mov_b32 s18, exec_lo
	s_delay_alu instid0(VALU_DEP_1)
	v_cmpx_ne_u32_e32 0x7f, v1
	s_cbranch_execz .LBB189_1490
; %bb.1487:                             ;   in Loop: Header=BB189_1075 Depth=1
	v_dual_lshrrev_b32 v0, 3, v1 :: v_dual_bitop2_b32 v42, 7, v8 bitop3:0x40
	s_mov_b32 s19, exec_lo
	v_cmpx_gt_u32_e32 8, v1
; %bb.1488:                             ;   in Loop: Header=BB189_1075 Depth=1
	s_delay_alu instid0(VALU_DEP_2) | instskip(NEXT) | instid1(VALU_DEP_1)
	v_clz_i32_u32_e32 v0, v42
	v_min_u32_e32 v0, 32, v0
	s_delay_alu instid0(VALU_DEP_1) | instskip(SKIP_1) | instid1(VALU_DEP_2)
	v_subrev_nc_u32_e32 v1, 28, v0
	v_sub_nc_u32_e32 v0, 29, v0
	v_lshlrev_b64_e32 v[12:13], v1, v[42:43]
	s_delay_alu instid0(VALU_DEP_1)
	v_and_b32_e32 v42, 7, v12
; %bb.1489:                             ;   in Loop: Header=BB189_1075 Depth=1
	s_or_b32 exec_lo, exec_lo, s19
	s_delay_alu instid0(VALU_DEP_1) | instskip(SKIP_1) | instid1(VALU_DEP_2)
	v_dual_lshlrev_b32 v1, 24, v8 :: v_dual_lshlrev_b32 v9, 20, v42
	v_lshl_add_u32 v0, v0, 23, 0x3c000000
	v_and_b32_e32 v1, 0x80000000, v1
	s_delay_alu instid0(VALU_DEP_1) | instskip(NEXT) | instid1(VALU_DEP_1)
	v_or3_b32 v42, v9, v1, v0
	v_mov_b64_e32 v[12:13], v[42:43]
.LBB189_1490:                           ;   in Loop: Header=BB189_1075 Depth=1
	s_or_b32 exec_lo, exec_lo, s18
.LBB189_1491:                           ;   in Loop: Header=BB189_1075 Depth=1
	s_delay_alu instid0(SALU_CYCLE_1)
	s_or_b32 exec_lo, exec_lo, s17
.LBB189_1492:                           ;   in Loop: Header=BB189_1075 Depth=1
	s_delay_alu instid0(SALU_CYCLE_1) | instskip(SKIP_2) | instid1(VALU_DEP_1)
	s_or_b32 exec_lo, exec_lo, s16
	v_lshrrev_b16 v0, 8, v8
	s_mov_b32 s16, exec_lo
	v_cmpx_ne_u16_e32 0, v0
	s_cbranch_execz .LBB189_1500
; %bb.1493:                             ;   in Loop: Header=BB189_1075 Depth=1
	v_mov_b64_e32 v[6:7], 0x8000000000000000
	s_mov_b32 s17, exec_lo
	v_cmpx_ne_u16_e32 0x80, v0
	s_cbranch_execz .LBB189_1499
; %bb.1494:                             ;   in Loop: Header=BB189_1075 Depth=1
	v_and_b32_e32 v0, 0xffff, v0
	v_mov_b64_e32 v[6:7], 0x7f80000100000000
	s_mov_b32 s18, exec_lo
	s_delay_alu instid0(VALU_DEP_2) | instskip(NEXT) | instid1(VALU_DEP_1)
	v_and_b32_e32 v1, 0x7f, v0
	v_cmpx_ne_u32_e32 0x7f, v1
	s_cbranch_execz .LBB189_1498
; %bb.1495:                             ;   in Loop: Header=BB189_1075 Depth=1
	v_dual_lshrrev_b32 v0, 3, v1 :: v_dual_bitop2_b32 v42, 7, v0 bitop3:0x40
	s_mov_b32 s19, exec_lo
	v_cmpx_gt_u32_e32 8, v1
; %bb.1496:                             ;   in Loop: Header=BB189_1075 Depth=1
	s_delay_alu instid0(VALU_DEP_2) | instskip(NEXT) | instid1(VALU_DEP_1)
	v_clz_i32_u32_e32 v0, v42
	v_min_u32_e32 v0, 32, v0
	s_delay_alu instid0(VALU_DEP_1) | instskip(NEXT) | instid1(VALU_DEP_1)
	v_subrev_nc_u32_e32 v1, 28, v0
	v_lshlrev_b64_e32 v[6:7], v1, v[42:43]
	s_delay_alu instid0(VALU_DEP_1)
	v_dual_sub_nc_u32 v0, 29, v0 :: v_dual_bitop2_b32 v42, 7, v6 bitop3:0x40
; %bb.1497:                             ;   in Loop: Header=BB189_1075 Depth=1
	s_or_b32 exec_lo, exec_lo, s19
	s_delay_alu instid0(VALU_DEP_1) | instskip(NEXT) | instid1(VALU_DEP_2)
	v_dual_lshlrev_b32 v1, 16, v8 :: v_dual_lshlrev_b32 v6, 20, v42
	v_lshl_add_u32 v0, v0, 23, 0x3c000000
	s_delay_alu instid0(VALU_DEP_2) | instskip(NEXT) | instid1(VALU_DEP_1)
	v_and_b32_e32 v1, 0x80000000, v1
	v_or3_b32 v7, v6, v1, v0
	v_mov_b32_e32 v6, v43
.LBB189_1498:                           ;   in Loop: Header=BB189_1075 Depth=1
	s_or_b32 exec_lo, exec_lo, s18
.LBB189_1499:                           ;   in Loop: Header=BB189_1075 Depth=1
	s_delay_alu instid0(SALU_CYCLE_1)
	s_or_b32 exec_lo, exec_lo, s17
.LBB189_1500:                           ;   in Loop: Header=BB189_1075 Depth=1
	s_delay_alu instid0(SALU_CYCLE_1) | instskip(SKIP_4) | instid1(VALU_DEP_3)
	s_or_b32 exec_lo, exec_lo, s16
	v_lshrrev_b32_e32 v9, 16, v8
	v_mov_b64_e32 v[14:15], 0
	v_mov_b64_e32 v[16:17], 0
	s_mov_b32 s16, exec_lo
	v_and_b32_e32 v0, 0xff, v9
	s_delay_alu instid0(VALU_DEP_1)
	v_cmpx_ne_u16_e32 0, v0
	s_cbranch_execz .LBB189_1508
; %bb.1501:                             ;   in Loop: Header=BB189_1075 Depth=1
	v_mov_b64_e32 v[16:17], 0x80000000
	s_mov_b32 s17, exec_lo
	v_cmpx_ne_u16_e32 0x80, v0
	s_cbranch_execz .LBB189_1507
; %bb.1502:                             ;   in Loop: Header=BB189_1075 Depth=1
	v_mov_b64_e32 v[16:17], 0x7f800001
	v_bfe_u32 v1, v8, 16, 7
	s_mov_b32 s18, exec_lo
	s_delay_alu instid0(VALU_DEP_1)
	v_cmpx_ne_u32_e32 0x7f, v1
	s_cbranch_execz .LBB189_1506
; %bb.1503:                             ;   in Loop: Header=BB189_1075 Depth=1
	v_and_b32_e32 v42, 7, v9
	v_lshrrev_b32_e32 v0, 3, v1
	s_mov_b32 s19, exec_lo
	v_cmpx_gt_u32_e32 8, v1
; %bb.1504:                             ;   in Loop: Header=BB189_1075 Depth=1
	s_delay_alu instid0(VALU_DEP_3) | instskip(NEXT) | instid1(VALU_DEP_1)
	v_clz_i32_u32_e32 v0, v42
	v_min_u32_e32 v0, 32, v0
	s_delay_alu instid0(VALU_DEP_1) | instskip(SKIP_1) | instid1(VALU_DEP_2)
	v_subrev_nc_u32_e32 v1, 28, v0
	v_sub_nc_u32_e32 v0, 29, v0
	v_lshlrev_b64_e32 v[16:17], v1, v[42:43]
	s_delay_alu instid0(VALU_DEP_1)
	v_and_b32_e32 v42, 7, v16
; %bb.1505:                             ;   in Loop: Header=BB189_1075 Depth=1
	s_or_b32 exec_lo, exec_lo, s19
	s_delay_alu instid0(VALU_DEP_1) | instskip(SKIP_1) | instid1(VALU_DEP_2)
	v_dual_lshlrev_b32 v1, 24, v9 :: v_dual_lshlrev_b32 v9, 20, v42
	v_lshl_add_u32 v0, v0, 23, 0x3c000000
	v_and_b32_e32 v1, 0x80000000, v1
	s_delay_alu instid0(VALU_DEP_1) | instskip(NEXT) | instid1(VALU_DEP_1)
	v_or3_b32 v42, v9, v1, v0
	v_mov_b64_e32 v[16:17], v[42:43]
.LBB189_1506:                           ;   in Loop: Header=BB189_1075 Depth=1
	s_or_b32 exec_lo, exec_lo, s18
.LBB189_1507:                           ;   in Loop: Header=BB189_1075 Depth=1
	s_delay_alu instid0(SALU_CYCLE_1)
	s_or_b32 exec_lo, exec_lo, s17
.LBB189_1508:                           ;   in Loop: Header=BB189_1075 Depth=1
	s_delay_alu instid0(SALU_CYCLE_1) | instskip(NEXT) | instid1(SALU_CYCLE_1)
	s_or_b32 exec_lo, exec_lo, s16
	s_mov_b32 s16, exec_lo
	v_cmpx_lt_u32_e32 0xffffff, v8
	s_cbranch_execz .LBB189_1516
; %bb.1509:                             ;   in Loop: Header=BB189_1075 Depth=1
	v_mov_b64_e32 v[14:15], 0x8000000000000000
	v_lshrrev_b32_e32 v0, 24, v8
	s_mov_b32 s17, exec_lo
	s_delay_alu instid0(VALU_DEP_1)
	v_cmpx_ne_u32_e32 0x80, v0
	s_cbranch_execz .LBB189_1515
; %bb.1510:                             ;   in Loop: Header=BB189_1075 Depth=1
	v_mov_b64_e32 v[14:15], 0x7f80000100000000
	v_bfe_u32 v8, v8, 24, 7
	s_mov_b32 s18, exec_lo
	s_delay_alu instid0(VALU_DEP_1)
	v_cmpx_ne_u32_e32 0x7f, v8
	s_cbranch_execz .LBB189_1514
; %bb.1511:                             ;   in Loop: Header=BB189_1075 Depth=1
	v_and_b32_e32 v42, 7, v0
	v_lshrrev_b32_e32 v1, 3, v8
	s_mov_b32 s19, exec_lo
	v_cmpx_gt_u32_e32 8, v8
; %bb.1512:                             ;   in Loop: Header=BB189_1075 Depth=1
	s_delay_alu instid0(VALU_DEP_3) | instskip(NEXT) | instid1(VALU_DEP_1)
	v_clz_i32_u32_e32 v1, v42
	v_min_u32_e32 v1, 32, v1
	s_delay_alu instid0(VALU_DEP_1) | instskip(NEXT) | instid1(VALU_DEP_1)
	v_subrev_nc_u32_e32 v8, 28, v1
	v_lshlrev_b64_e32 v[8:9], v8, v[42:43]
	s_delay_alu instid0(VALU_DEP_1)
	v_dual_sub_nc_u32 v1, 29, v1 :: v_dual_bitop2_b32 v42, 7, v8 bitop3:0x40
; %bb.1513:                             ;   in Loop: Header=BB189_1075 Depth=1
	s_or_b32 exec_lo, exec_lo, s19
	s_delay_alu instid0(VALU_DEP_1) | instskip(NEXT) | instid1(VALU_DEP_2)
	v_dual_lshlrev_b32 v0, 24, v0 :: v_dual_lshlrev_b32 v8, 20, v42
	v_lshl_add_u32 v1, v1, 23, 0x3c000000
	v_mov_b32_e32 v14, v43
	s_delay_alu instid0(VALU_DEP_3) | instskip(NEXT) | instid1(VALU_DEP_1)
	v_and_b32_e32 v0, 0x80000000, v0
	v_or3_b32 v15, v8, v0, v1
.LBB189_1514:                           ;   in Loop: Header=BB189_1075 Depth=1
	s_or_b32 exec_lo, exec_lo, s18
.LBB189_1515:                           ;   in Loop: Header=BB189_1075 Depth=1
	s_delay_alu instid0(SALU_CYCLE_1)
	s_or_b32 exec_lo, exec_lo, s17
.LBB189_1516:                           ;   in Loop: Header=BB189_1075 Depth=1
	s_delay_alu instid0(SALU_CYCLE_1) | instskip(SKIP_4) | instid1(VALU_DEP_3)
	s_or_b32 exec_lo, exec_lo, s16
	v_or_b32_e32 v1, v7, v13
	v_or_b32_e32 v0, v6, v12
	v_or_b32_e32 v7, v15, v17
	v_or_b32_e32 v6, v14, v16
	v_pk_mul_f32 v[94:95], v[86:87], v[0:1]
	s_delay_alu instid0(VALU_DEP_2)
	v_pk_mul_f32 v[92:93], v[86:87], v[6:7]
	s_and_saveexec_b32 s16, vcc_lo
	s_cbranch_execz .LBB189_1518
; %bb.1517:                             ;   in Loop: Header=BB189_1075 Depth=1
	v_cmp_lt_i32_e64 s0, v47, v100
	s_delay_alu instid0(VALU_DEP_1) | instskip(SKIP_1) | instid1(VALU_DEP_1)
	v_cndmask_b32_e64 v94, 0, v94, s0
	v_cmp_lt_i32_e64 s0, v56, v100
	v_cndmask_b32_e64 v95, 0, v95, s0
	v_cmp_lt_i32_e64 s0, v41, v100
	s_delay_alu instid0(VALU_DEP_1) | instskip(SKIP_1) | instid1(VALU_DEP_1)
	v_cndmask_b32_e64 v92, 0, v92, s0
	v_cmp_lt_i32_e64 s0, v40, v100
	v_cndmask_b32_e64 v93, 0, v93, s0
.LBB189_1518:                           ;   in Loop: Header=BB189_1075 Depth=1
	s_or_b32 exec_lo, exec_lo, s16
	flat_load_b32 v8, v[118:119] offset:1664
	v_mov_b64_e32 v[6:7], 0
	v_mov_b64_e32 v[12:13], 0
	s_mov_b32 s16, exec_lo
	s_wait_loadcnt_dscnt 0x0
	v_and_b32_e32 v0, 0xff, v8
	s_wait_xcnt 0x0
	s_delay_alu instid0(VALU_DEP_1)
	v_cmpx_ne_u16_e32 0, v0
	s_cbranch_execz .LBB189_1526
; %bb.1519:                             ;   in Loop: Header=BB189_1075 Depth=1
	v_mov_b64_e32 v[12:13], 0x80000000
	s_mov_b32 s17, exec_lo
	v_cmpx_ne_u16_e32 0x80, v0
	s_cbranch_execz .LBB189_1525
; %bb.1520:                             ;   in Loop: Header=BB189_1075 Depth=1
	v_mov_b64_e32 v[12:13], 0x7f800001
	v_and_b32_e32 v1, 0x7f, v8
	s_mov_b32 s18, exec_lo
	s_delay_alu instid0(VALU_DEP_1)
	v_cmpx_ne_u32_e32 0x7f, v1
	s_cbranch_execz .LBB189_1524
; %bb.1521:                             ;   in Loop: Header=BB189_1075 Depth=1
	v_dual_lshrrev_b32 v0, 3, v1 :: v_dual_bitop2_b32 v42, 7, v8 bitop3:0x40
	s_mov_b32 s19, exec_lo
	v_cmpx_gt_u32_e32 8, v1
; %bb.1522:                             ;   in Loop: Header=BB189_1075 Depth=1
	s_delay_alu instid0(VALU_DEP_2) | instskip(NEXT) | instid1(VALU_DEP_1)
	v_clz_i32_u32_e32 v0, v42
	v_min_u32_e32 v0, 32, v0
	s_delay_alu instid0(VALU_DEP_1) | instskip(SKIP_1) | instid1(VALU_DEP_2)
	v_subrev_nc_u32_e32 v1, 28, v0
	v_sub_nc_u32_e32 v0, 29, v0
	v_lshlrev_b64_e32 v[12:13], v1, v[42:43]
	s_delay_alu instid0(VALU_DEP_1)
	v_and_b32_e32 v42, 7, v12
; %bb.1523:                             ;   in Loop: Header=BB189_1075 Depth=1
	s_or_b32 exec_lo, exec_lo, s19
	s_delay_alu instid0(VALU_DEP_1) | instskip(SKIP_1) | instid1(VALU_DEP_2)
	v_dual_lshlrev_b32 v1, 24, v8 :: v_dual_lshlrev_b32 v9, 20, v42
	v_lshl_add_u32 v0, v0, 23, 0x3c000000
	v_and_b32_e32 v1, 0x80000000, v1
	s_delay_alu instid0(VALU_DEP_1) | instskip(NEXT) | instid1(VALU_DEP_1)
	v_or3_b32 v42, v9, v1, v0
	v_mov_b64_e32 v[12:13], v[42:43]
.LBB189_1524:                           ;   in Loop: Header=BB189_1075 Depth=1
	s_or_b32 exec_lo, exec_lo, s18
.LBB189_1525:                           ;   in Loop: Header=BB189_1075 Depth=1
	s_delay_alu instid0(SALU_CYCLE_1)
	s_or_b32 exec_lo, exec_lo, s17
.LBB189_1526:                           ;   in Loop: Header=BB189_1075 Depth=1
	s_delay_alu instid0(SALU_CYCLE_1) | instskip(SKIP_2) | instid1(VALU_DEP_1)
	s_or_b32 exec_lo, exec_lo, s16
	v_lshrrev_b16 v0, 8, v8
	s_mov_b32 s16, exec_lo
	v_cmpx_ne_u16_e32 0, v0
	s_cbranch_execz .LBB189_1534
; %bb.1527:                             ;   in Loop: Header=BB189_1075 Depth=1
	v_mov_b64_e32 v[6:7], 0x8000000000000000
	s_mov_b32 s17, exec_lo
	v_cmpx_ne_u16_e32 0x80, v0
	s_cbranch_execz .LBB189_1533
; %bb.1528:                             ;   in Loop: Header=BB189_1075 Depth=1
	v_and_b32_e32 v0, 0xffff, v0
	v_mov_b64_e32 v[6:7], 0x7f80000100000000
	s_mov_b32 s18, exec_lo
	s_delay_alu instid0(VALU_DEP_2) | instskip(NEXT) | instid1(VALU_DEP_1)
	v_and_b32_e32 v1, 0x7f, v0
	v_cmpx_ne_u32_e32 0x7f, v1
	s_cbranch_execz .LBB189_1532
; %bb.1529:                             ;   in Loop: Header=BB189_1075 Depth=1
	v_dual_lshrrev_b32 v0, 3, v1 :: v_dual_bitop2_b32 v42, 7, v0 bitop3:0x40
	s_mov_b32 s19, exec_lo
	v_cmpx_gt_u32_e32 8, v1
; %bb.1530:                             ;   in Loop: Header=BB189_1075 Depth=1
	s_delay_alu instid0(VALU_DEP_2) | instskip(NEXT) | instid1(VALU_DEP_1)
	v_clz_i32_u32_e32 v0, v42
	v_min_u32_e32 v0, 32, v0
	s_delay_alu instid0(VALU_DEP_1) | instskip(NEXT) | instid1(VALU_DEP_1)
	v_subrev_nc_u32_e32 v1, 28, v0
	v_lshlrev_b64_e32 v[6:7], v1, v[42:43]
	s_delay_alu instid0(VALU_DEP_1)
	v_dual_sub_nc_u32 v0, 29, v0 :: v_dual_bitop2_b32 v42, 7, v6 bitop3:0x40
; %bb.1531:                             ;   in Loop: Header=BB189_1075 Depth=1
	s_or_b32 exec_lo, exec_lo, s19
	s_delay_alu instid0(VALU_DEP_1) | instskip(NEXT) | instid1(VALU_DEP_2)
	v_dual_lshlrev_b32 v1, 16, v8 :: v_dual_lshlrev_b32 v6, 20, v42
	v_lshl_add_u32 v0, v0, 23, 0x3c000000
	s_delay_alu instid0(VALU_DEP_2) | instskip(NEXT) | instid1(VALU_DEP_1)
	v_and_b32_e32 v1, 0x80000000, v1
	v_or3_b32 v7, v6, v1, v0
	v_mov_b32_e32 v6, v43
.LBB189_1532:                           ;   in Loop: Header=BB189_1075 Depth=1
	s_or_b32 exec_lo, exec_lo, s18
.LBB189_1533:                           ;   in Loop: Header=BB189_1075 Depth=1
	s_delay_alu instid0(SALU_CYCLE_1)
	s_or_b32 exec_lo, exec_lo, s17
.LBB189_1534:                           ;   in Loop: Header=BB189_1075 Depth=1
	s_delay_alu instid0(SALU_CYCLE_1) | instskip(SKIP_4) | instid1(VALU_DEP_3)
	s_or_b32 exec_lo, exec_lo, s16
	v_lshrrev_b32_e32 v9, 16, v8
	v_mov_b64_e32 v[14:15], 0
	v_mov_b64_e32 v[16:17], 0
	s_mov_b32 s16, exec_lo
	v_and_b32_e32 v0, 0xff, v9
	s_delay_alu instid0(VALU_DEP_1)
	v_cmpx_ne_u16_e32 0, v0
	s_cbranch_execz .LBB189_1542
; %bb.1535:                             ;   in Loop: Header=BB189_1075 Depth=1
	v_mov_b64_e32 v[16:17], 0x80000000
	s_mov_b32 s17, exec_lo
	v_cmpx_ne_u16_e32 0x80, v0
	s_cbranch_execz .LBB189_1541
; %bb.1536:                             ;   in Loop: Header=BB189_1075 Depth=1
	v_mov_b64_e32 v[16:17], 0x7f800001
	v_bfe_u32 v1, v8, 16, 7
	s_mov_b32 s18, exec_lo
	s_delay_alu instid0(VALU_DEP_1)
	v_cmpx_ne_u32_e32 0x7f, v1
	s_cbranch_execz .LBB189_1540
; %bb.1537:                             ;   in Loop: Header=BB189_1075 Depth=1
	v_and_b32_e32 v42, 7, v9
	v_lshrrev_b32_e32 v0, 3, v1
	s_mov_b32 s19, exec_lo
	v_cmpx_gt_u32_e32 8, v1
; %bb.1538:                             ;   in Loop: Header=BB189_1075 Depth=1
	s_delay_alu instid0(VALU_DEP_3) | instskip(NEXT) | instid1(VALU_DEP_1)
	v_clz_i32_u32_e32 v0, v42
	v_min_u32_e32 v0, 32, v0
	s_delay_alu instid0(VALU_DEP_1) | instskip(SKIP_1) | instid1(VALU_DEP_2)
	v_subrev_nc_u32_e32 v1, 28, v0
	v_sub_nc_u32_e32 v0, 29, v0
	v_lshlrev_b64_e32 v[16:17], v1, v[42:43]
	s_delay_alu instid0(VALU_DEP_1)
	v_and_b32_e32 v42, 7, v16
; %bb.1539:                             ;   in Loop: Header=BB189_1075 Depth=1
	s_or_b32 exec_lo, exec_lo, s19
	s_delay_alu instid0(VALU_DEP_1) | instskip(SKIP_1) | instid1(VALU_DEP_2)
	v_dual_lshlrev_b32 v1, 24, v9 :: v_dual_lshlrev_b32 v9, 20, v42
	v_lshl_add_u32 v0, v0, 23, 0x3c000000
	v_and_b32_e32 v1, 0x80000000, v1
	s_delay_alu instid0(VALU_DEP_1) | instskip(NEXT) | instid1(VALU_DEP_1)
	v_or3_b32 v42, v9, v1, v0
	v_mov_b64_e32 v[16:17], v[42:43]
.LBB189_1540:                           ;   in Loop: Header=BB189_1075 Depth=1
	s_or_b32 exec_lo, exec_lo, s18
.LBB189_1541:                           ;   in Loop: Header=BB189_1075 Depth=1
	s_delay_alu instid0(SALU_CYCLE_1)
	s_or_b32 exec_lo, exec_lo, s17
.LBB189_1542:                           ;   in Loop: Header=BB189_1075 Depth=1
	s_delay_alu instid0(SALU_CYCLE_1) | instskip(NEXT) | instid1(SALU_CYCLE_1)
	s_or_b32 exec_lo, exec_lo, s16
	s_mov_b32 s16, exec_lo
	v_cmpx_lt_u32_e32 0xffffff, v8
	s_cbranch_execz .LBB189_1550
; %bb.1543:                             ;   in Loop: Header=BB189_1075 Depth=1
	v_mov_b64_e32 v[14:15], 0x8000000000000000
	v_lshrrev_b32_e32 v0, 24, v8
	s_mov_b32 s17, exec_lo
	s_delay_alu instid0(VALU_DEP_1)
	v_cmpx_ne_u32_e32 0x80, v0
	s_cbranch_execz .LBB189_1549
; %bb.1544:                             ;   in Loop: Header=BB189_1075 Depth=1
	v_mov_b64_e32 v[14:15], 0x7f80000100000000
	v_bfe_u32 v8, v8, 24, 7
	s_mov_b32 s18, exec_lo
	s_delay_alu instid0(VALU_DEP_1)
	v_cmpx_ne_u32_e32 0x7f, v8
	s_cbranch_execz .LBB189_1548
; %bb.1545:                             ;   in Loop: Header=BB189_1075 Depth=1
	v_and_b32_e32 v42, 7, v0
	v_lshrrev_b32_e32 v1, 3, v8
	s_mov_b32 s19, exec_lo
	v_cmpx_gt_u32_e32 8, v8
; %bb.1546:                             ;   in Loop: Header=BB189_1075 Depth=1
	s_delay_alu instid0(VALU_DEP_3) | instskip(NEXT) | instid1(VALU_DEP_1)
	v_clz_i32_u32_e32 v1, v42
	v_min_u32_e32 v1, 32, v1
	s_delay_alu instid0(VALU_DEP_1) | instskip(NEXT) | instid1(VALU_DEP_1)
	v_subrev_nc_u32_e32 v8, 28, v1
	v_lshlrev_b64_e32 v[8:9], v8, v[42:43]
	s_delay_alu instid0(VALU_DEP_1)
	v_dual_sub_nc_u32 v1, 29, v1 :: v_dual_bitop2_b32 v42, 7, v8 bitop3:0x40
; %bb.1547:                             ;   in Loop: Header=BB189_1075 Depth=1
	s_or_b32 exec_lo, exec_lo, s19
	s_delay_alu instid0(VALU_DEP_1) | instskip(NEXT) | instid1(VALU_DEP_2)
	v_dual_lshlrev_b32 v0, 24, v0 :: v_dual_lshlrev_b32 v8, 20, v42
	v_lshl_add_u32 v1, v1, 23, 0x3c000000
	v_mov_b32_e32 v14, v43
	s_delay_alu instid0(VALU_DEP_3) | instskip(NEXT) | instid1(VALU_DEP_1)
	v_and_b32_e32 v0, 0x80000000, v0
	v_or3_b32 v15, v8, v0, v1
.LBB189_1548:                           ;   in Loop: Header=BB189_1075 Depth=1
	s_or_b32 exec_lo, exec_lo, s18
.LBB189_1549:                           ;   in Loop: Header=BB189_1075 Depth=1
	s_delay_alu instid0(SALU_CYCLE_1)
	s_or_b32 exec_lo, exec_lo, s17
.LBB189_1550:                           ;   in Loop: Header=BB189_1075 Depth=1
	s_delay_alu instid0(SALU_CYCLE_1) | instskip(SKIP_4) | instid1(VALU_DEP_3)
	s_or_b32 exec_lo, exec_lo, s16
	v_or_b32_e32 v1, v7, v13
	v_or_b32_e32 v0, v6, v12
	;; [unrolled: 1-line block ×4, first 2 shown]
	v_pk_mul_f32 v[106:107], v[86:87], v[0:1]
	s_delay_alu instid0(VALU_DEP_2)
	v_pk_mul_f32 v[104:105], v[86:87], v[6:7]
	s_and_saveexec_b32 s16, vcc_lo
	s_cbranch_execz .LBB189_1552
; %bb.1551:                             ;   in Loop: Header=BB189_1075 Depth=1
	v_cmp_lt_i32_e64 s0, v47, v100
	s_delay_alu instid0(VALU_DEP_1) | instskip(SKIP_1) | instid1(VALU_DEP_1)
	v_cndmask_b32_e64 v106, 0, v106, s0
	v_cmp_lt_i32_e64 s0, v56, v100
	v_cndmask_b32_e64 v107, 0, v107, s0
	v_cmp_lt_i32_e64 s0, v41, v100
	s_delay_alu instid0(VALU_DEP_1) | instskip(SKIP_1) | instid1(VALU_DEP_1)
	v_cndmask_b32_e64 v104, 0, v104, s0
	v_cmp_lt_i32_e64 s0, v40, v100
	v_cndmask_b32_e64 v105, 0, v105, s0
.LBB189_1552:                           ;   in Loop: Header=BB189_1075 Depth=1
	s_or_b32 exec_lo, exec_lo, s16
	flat_load_b32 v8, v[118:119] offset:1792
	v_mov_b64_e32 v[6:7], 0
	v_mov_b64_e32 v[12:13], 0
	s_mov_b32 s16, exec_lo
	s_wait_loadcnt_dscnt 0x0
	v_and_b32_e32 v0, 0xff, v8
	s_wait_xcnt 0x0
	s_delay_alu instid0(VALU_DEP_1)
	v_cmpx_ne_u16_e32 0, v0
	s_cbranch_execz .LBB189_1560
; %bb.1553:                             ;   in Loop: Header=BB189_1075 Depth=1
	v_mov_b64_e32 v[12:13], 0x80000000
	s_mov_b32 s17, exec_lo
	v_cmpx_ne_u16_e32 0x80, v0
	s_cbranch_execz .LBB189_1559
; %bb.1554:                             ;   in Loop: Header=BB189_1075 Depth=1
	v_mov_b64_e32 v[12:13], 0x7f800001
	v_and_b32_e32 v1, 0x7f, v8
	s_mov_b32 s18, exec_lo
	s_delay_alu instid0(VALU_DEP_1)
	v_cmpx_ne_u32_e32 0x7f, v1
	s_cbranch_execz .LBB189_1558
; %bb.1555:                             ;   in Loop: Header=BB189_1075 Depth=1
	v_dual_lshrrev_b32 v0, 3, v1 :: v_dual_bitop2_b32 v42, 7, v8 bitop3:0x40
	s_mov_b32 s19, exec_lo
	v_cmpx_gt_u32_e32 8, v1
; %bb.1556:                             ;   in Loop: Header=BB189_1075 Depth=1
	s_delay_alu instid0(VALU_DEP_2) | instskip(NEXT) | instid1(VALU_DEP_1)
	v_clz_i32_u32_e32 v0, v42
	v_min_u32_e32 v0, 32, v0
	s_delay_alu instid0(VALU_DEP_1) | instskip(SKIP_1) | instid1(VALU_DEP_2)
	v_subrev_nc_u32_e32 v1, 28, v0
	v_sub_nc_u32_e32 v0, 29, v0
	v_lshlrev_b64_e32 v[12:13], v1, v[42:43]
	s_delay_alu instid0(VALU_DEP_1)
	v_and_b32_e32 v42, 7, v12
; %bb.1557:                             ;   in Loop: Header=BB189_1075 Depth=1
	s_or_b32 exec_lo, exec_lo, s19
	s_delay_alu instid0(VALU_DEP_1) | instskip(SKIP_1) | instid1(VALU_DEP_2)
	v_dual_lshlrev_b32 v1, 24, v8 :: v_dual_lshlrev_b32 v9, 20, v42
	v_lshl_add_u32 v0, v0, 23, 0x3c000000
	v_and_b32_e32 v1, 0x80000000, v1
	s_delay_alu instid0(VALU_DEP_1) | instskip(NEXT) | instid1(VALU_DEP_1)
	v_or3_b32 v42, v9, v1, v0
	v_mov_b64_e32 v[12:13], v[42:43]
.LBB189_1558:                           ;   in Loop: Header=BB189_1075 Depth=1
	s_or_b32 exec_lo, exec_lo, s18
.LBB189_1559:                           ;   in Loop: Header=BB189_1075 Depth=1
	s_delay_alu instid0(SALU_CYCLE_1)
	s_or_b32 exec_lo, exec_lo, s17
.LBB189_1560:                           ;   in Loop: Header=BB189_1075 Depth=1
	s_delay_alu instid0(SALU_CYCLE_1) | instskip(SKIP_2) | instid1(VALU_DEP_1)
	s_or_b32 exec_lo, exec_lo, s16
	v_lshrrev_b16 v0, 8, v8
	s_mov_b32 s16, exec_lo
	v_cmpx_ne_u16_e32 0, v0
	s_cbranch_execz .LBB189_1568
; %bb.1561:                             ;   in Loop: Header=BB189_1075 Depth=1
	v_mov_b64_e32 v[6:7], 0x8000000000000000
	s_mov_b32 s17, exec_lo
	v_cmpx_ne_u16_e32 0x80, v0
	s_cbranch_execz .LBB189_1567
; %bb.1562:                             ;   in Loop: Header=BB189_1075 Depth=1
	v_and_b32_e32 v0, 0xffff, v0
	v_mov_b64_e32 v[6:7], 0x7f80000100000000
	s_mov_b32 s18, exec_lo
	s_delay_alu instid0(VALU_DEP_2) | instskip(NEXT) | instid1(VALU_DEP_1)
	v_and_b32_e32 v1, 0x7f, v0
	v_cmpx_ne_u32_e32 0x7f, v1
	s_cbranch_execz .LBB189_1566
; %bb.1563:                             ;   in Loop: Header=BB189_1075 Depth=1
	v_dual_lshrrev_b32 v0, 3, v1 :: v_dual_bitop2_b32 v42, 7, v0 bitop3:0x40
	s_mov_b32 s19, exec_lo
	v_cmpx_gt_u32_e32 8, v1
; %bb.1564:                             ;   in Loop: Header=BB189_1075 Depth=1
	s_delay_alu instid0(VALU_DEP_2) | instskip(NEXT) | instid1(VALU_DEP_1)
	v_clz_i32_u32_e32 v0, v42
	v_min_u32_e32 v0, 32, v0
	s_delay_alu instid0(VALU_DEP_1) | instskip(NEXT) | instid1(VALU_DEP_1)
	v_subrev_nc_u32_e32 v1, 28, v0
	v_lshlrev_b64_e32 v[6:7], v1, v[42:43]
	s_delay_alu instid0(VALU_DEP_1)
	v_dual_sub_nc_u32 v0, 29, v0 :: v_dual_bitop2_b32 v42, 7, v6 bitop3:0x40
; %bb.1565:                             ;   in Loop: Header=BB189_1075 Depth=1
	s_or_b32 exec_lo, exec_lo, s19
	s_delay_alu instid0(VALU_DEP_1) | instskip(NEXT) | instid1(VALU_DEP_2)
	v_dual_lshlrev_b32 v1, 16, v8 :: v_dual_lshlrev_b32 v6, 20, v42
	v_lshl_add_u32 v0, v0, 23, 0x3c000000
	s_delay_alu instid0(VALU_DEP_2) | instskip(NEXT) | instid1(VALU_DEP_1)
	v_and_b32_e32 v1, 0x80000000, v1
	v_or3_b32 v7, v6, v1, v0
	v_mov_b32_e32 v6, v43
.LBB189_1566:                           ;   in Loop: Header=BB189_1075 Depth=1
	s_or_b32 exec_lo, exec_lo, s18
.LBB189_1567:                           ;   in Loop: Header=BB189_1075 Depth=1
	s_delay_alu instid0(SALU_CYCLE_1)
	s_or_b32 exec_lo, exec_lo, s17
.LBB189_1568:                           ;   in Loop: Header=BB189_1075 Depth=1
	s_delay_alu instid0(SALU_CYCLE_1) | instskip(SKIP_4) | instid1(VALU_DEP_3)
	s_or_b32 exec_lo, exec_lo, s16
	v_lshrrev_b32_e32 v9, 16, v8
	v_mov_b64_e32 v[14:15], 0
	v_mov_b64_e32 v[16:17], 0
	s_mov_b32 s16, exec_lo
	v_and_b32_e32 v0, 0xff, v9
	s_delay_alu instid0(VALU_DEP_1)
	v_cmpx_ne_u16_e32 0, v0
	s_cbranch_execz .LBB189_1576
; %bb.1569:                             ;   in Loop: Header=BB189_1075 Depth=1
	v_mov_b64_e32 v[16:17], 0x80000000
	s_mov_b32 s17, exec_lo
	v_cmpx_ne_u16_e32 0x80, v0
	s_cbranch_execz .LBB189_1575
; %bb.1570:                             ;   in Loop: Header=BB189_1075 Depth=1
	v_mov_b64_e32 v[16:17], 0x7f800001
	v_bfe_u32 v1, v8, 16, 7
	s_mov_b32 s18, exec_lo
	s_delay_alu instid0(VALU_DEP_1)
	v_cmpx_ne_u32_e32 0x7f, v1
	s_cbranch_execz .LBB189_1574
; %bb.1571:                             ;   in Loop: Header=BB189_1075 Depth=1
	v_and_b32_e32 v42, 7, v9
	v_lshrrev_b32_e32 v0, 3, v1
	s_mov_b32 s19, exec_lo
	v_cmpx_gt_u32_e32 8, v1
; %bb.1572:                             ;   in Loop: Header=BB189_1075 Depth=1
	s_delay_alu instid0(VALU_DEP_3) | instskip(NEXT) | instid1(VALU_DEP_1)
	v_clz_i32_u32_e32 v0, v42
	v_min_u32_e32 v0, 32, v0
	s_delay_alu instid0(VALU_DEP_1) | instskip(SKIP_1) | instid1(VALU_DEP_2)
	v_subrev_nc_u32_e32 v1, 28, v0
	v_sub_nc_u32_e32 v0, 29, v0
	v_lshlrev_b64_e32 v[16:17], v1, v[42:43]
	s_delay_alu instid0(VALU_DEP_1)
	v_and_b32_e32 v42, 7, v16
; %bb.1573:                             ;   in Loop: Header=BB189_1075 Depth=1
	s_or_b32 exec_lo, exec_lo, s19
	s_delay_alu instid0(VALU_DEP_1) | instskip(SKIP_1) | instid1(VALU_DEP_2)
	v_dual_lshlrev_b32 v1, 24, v9 :: v_dual_lshlrev_b32 v9, 20, v42
	v_lshl_add_u32 v0, v0, 23, 0x3c000000
	v_and_b32_e32 v1, 0x80000000, v1
	s_delay_alu instid0(VALU_DEP_1) | instskip(NEXT) | instid1(VALU_DEP_1)
	v_or3_b32 v42, v9, v1, v0
	v_mov_b64_e32 v[16:17], v[42:43]
.LBB189_1574:                           ;   in Loop: Header=BB189_1075 Depth=1
	s_or_b32 exec_lo, exec_lo, s18
.LBB189_1575:                           ;   in Loop: Header=BB189_1075 Depth=1
	s_delay_alu instid0(SALU_CYCLE_1)
	s_or_b32 exec_lo, exec_lo, s17
.LBB189_1576:                           ;   in Loop: Header=BB189_1075 Depth=1
	s_delay_alu instid0(SALU_CYCLE_1) | instskip(NEXT) | instid1(SALU_CYCLE_1)
	s_or_b32 exec_lo, exec_lo, s16
	s_mov_b32 s16, exec_lo
	v_cmpx_lt_u32_e32 0xffffff, v8
	s_cbranch_execz .LBB189_1584
; %bb.1577:                             ;   in Loop: Header=BB189_1075 Depth=1
	v_mov_b64_e32 v[14:15], 0x8000000000000000
	v_lshrrev_b32_e32 v0, 24, v8
	s_mov_b32 s17, exec_lo
	s_delay_alu instid0(VALU_DEP_1)
	v_cmpx_ne_u32_e32 0x80, v0
	s_cbranch_execz .LBB189_1583
; %bb.1578:                             ;   in Loop: Header=BB189_1075 Depth=1
	v_mov_b64_e32 v[14:15], 0x7f80000100000000
	v_bfe_u32 v8, v8, 24, 7
	s_mov_b32 s18, exec_lo
	s_delay_alu instid0(VALU_DEP_1)
	v_cmpx_ne_u32_e32 0x7f, v8
	s_cbranch_execz .LBB189_1582
; %bb.1579:                             ;   in Loop: Header=BB189_1075 Depth=1
	v_and_b32_e32 v42, 7, v0
	v_lshrrev_b32_e32 v1, 3, v8
	s_mov_b32 s19, exec_lo
	v_cmpx_gt_u32_e32 8, v8
; %bb.1580:                             ;   in Loop: Header=BB189_1075 Depth=1
	s_delay_alu instid0(VALU_DEP_3) | instskip(NEXT) | instid1(VALU_DEP_1)
	v_clz_i32_u32_e32 v1, v42
	v_min_u32_e32 v1, 32, v1
	s_delay_alu instid0(VALU_DEP_1) | instskip(NEXT) | instid1(VALU_DEP_1)
	v_subrev_nc_u32_e32 v8, 28, v1
	v_lshlrev_b64_e32 v[8:9], v8, v[42:43]
	s_delay_alu instid0(VALU_DEP_1)
	v_dual_sub_nc_u32 v1, 29, v1 :: v_dual_bitop2_b32 v42, 7, v8 bitop3:0x40
; %bb.1581:                             ;   in Loop: Header=BB189_1075 Depth=1
	s_or_b32 exec_lo, exec_lo, s19
	s_delay_alu instid0(VALU_DEP_1) | instskip(NEXT) | instid1(VALU_DEP_2)
	v_dual_lshlrev_b32 v0, 24, v0 :: v_dual_lshlrev_b32 v8, 20, v42
	v_lshl_add_u32 v1, v1, 23, 0x3c000000
	v_mov_b32_e32 v14, v43
	s_delay_alu instid0(VALU_DEP_3) | instskip(NEXT) | instid1(VALU_DEP_1)
	v_and_b32_e32 v0, 0x80000000, v0
	v_or3_b32 v15, v8, v0, v1
.LBB189_1582:                           ;   in Loop: Header=BB189_1075 Depth=1
	s_or_b32 exec_lo, exec_lo, s18
.LBB189_1583:                           ;   in Loop: Header=BB189_1075 Depth=1
	s_delay_alu instid0(SALU_CYCLE_1)
	s_or_b32 exec_lo, exec_lo, s17
.LBB189_1584:                           ;   in Loop: Header=BB189_1075 Depth=1
	s_delay_alu instid0(SALU_CYCLE_1) | instskip(SKIP_4) | instid1(VALU_DEP_3)
	s_or_b32 exec_lo, exec_lo, s16
	v_or_b32_e32 v1, v7, v13
	v_or_b32_e32 v0, v6, v12
	;; [unrolled: 1-line block ×4, first 2 shown]
	v_pk_mul_f32 v[110:111], v[86:87], v[0:1]
	s_delay_alu instid0(VALU_DEP_2)
	v_pk_mul_f32 v[108:109], v[86:87], v[6:7]
	s_and_saveexec_b32 s16, vcc_lo
	s_cbranch_execz .LBB189_1586
; %bb.1585:                             ;   in Loop: Header=BB189_1075 Depth=1
	v_cmp_lt_i32_e64 s0, v47, v100
	s_delay_alu instid0(VALU_DEP_1) | instskip(SKIP_1) | instid1(VALU_DEP_1)
	v_cndmask_b32_e64 v110, 0, v110, s0
	v_cmp_lt_i32_e64 s0, v56, v100
	v_cndmask_b32_e64 v111, 0, v111, s0
	v_cmp_lt_i32_e64 s0, v41, v100
	s_delay_alu instid0(VALU_DEP_1) | instskip(SKIP_1) | instid1(VALU_DEP_1)
	v_cndmask_b32_e64 v108, 0, v108, s0
	v_cmp_lt_i32_e64 s0, v40, v100
	v_cndmask_b32_e64 v109, 0, v109, s0
.LBB189_1586:                           ;   in Loop: Header=BB189_1075 Depth=1
	s_or_b32 exec_lo, exec_lo, s16
	flat_load_b32 v8, v[118:119] offset:1920
	v_mov_b64_e32 v[6:7], 0
	v_mov_b64_e32 v[12:13], 0
	s_mov_b32 s16, exec_lo
	s_wait_loadcnt_dscnt 0x0
	v_and_b32_e32 v0, 0xff, v8
	s_wait_xcnt 0x0
	s_delay_alu instid0(VALU_DEP_1)
	v_cmpx_ne_u16_e32 0, v0
	s_cbranch_execz .LBB189_1594
; %bb.1587:                             ;   in Loop: Header=BB189_1075 Depth=1
	v_mov_b64_e32 v[12:13], 0x80000000
	s_mov_b32 s17, exec_lo
	v_cmpx_ne_u16_e32 0x80, v0
	s_cbranch_execz .LBB189_1593
; %bb.1588:                             ;   in Loop: Header=BB189_1075 Depth=1
	v_mov_b64_e32 v[12:13], 0x7f800001
	v_and_b32_e32 v1, 0x7f, v8
	s_mov_b32 s18, exec_lo
	s_delay_alu instid0(VALU_DEP_1)
	v_cmpx_ne_u32_e32 0x7f, v1
	s_cbranch_execz .LBB189_1592
; %bb.1589:                             ;   in Loop: Header=BB189_1075 Depth=1
	v_dual_lshrrev_b32 v0, 3, v1 :: v_dual_bitop2_b32 v42, 7, v8 bitop3:0x40
	s_mov_b32 s19, exec_lo
	v_cmpx_gt_u32_e32 8, v1
; %bb.1590:                             ;   in Loop: Header=BB189_1075 Depth=1
	s_delay_alu instid0(VALU_DEP_2) | instskip(NEXT) | instid1(VALU_DEP_1)
	v_clz_i32_u32_e32 v0, v42
	v_min_u32_e32 v0, 32, v0
	s_delay_alu instid0(VALU_DEP_1) | instskip(SKIP_1) | instid1(VALU_DEP_2)
	v_subrev_nc_u32_e32 v1, 28, v0
	v_sub_nc_u32_e32 v0, 29, v0
	v_lshlrev_b64_e32 v[12:13], v1, v[42:43]
	s_delay_alu instid0(VALU_DEP_1)
	v_and_b32_e32 v42, 7, v12
; %bb.1591:                             ;   in Loop: Header=BB189_1075 Depth=1
	s_or_b32 exec_lo, exec_lo, s19
	s_delay_alu instid0(VALU_DEP_1) | instskip(SKIP_1) | instid1(VALU_DEP_2)
	v_dual_lshlrev_b32 v1, 24, v8 :: v_dual_lshlrev_b32 v9, 20, v42
	v_lshl_add_u32 v0, v0, 23, 0x3c000000
	v_and_b32_e32 v1, 0x80000000, v1
	s_delay_alu instid0(VALU_DEP_1) | instskip(NEXT) | instid1(VALU_DEP_1)
	v_or3_b32 v42, v9, v1, v0
	v_mov_b64_e32 v[12:13], v[42:43]
.LBB189_1592:                           ;   in Loop: Header=BB189_1075 Depth=1
	s_or_b32 exec_lo, exec_lo, s18
.LBB189_1593:                           ;   in Loop: Header=BB189_1075 Depth=1
	s_delay_alu instid0(SALU_CYCLE_1)
	s_or_b32 exec_lo, exec_lo, s17
.LBB189_1594:                           ;   in Loop: Header=BB189_1075 Depth=1
	s_delay_alu instid0(SALU_CYCLE_1) | instskip(SKIP_2) | instid1(VALU_DEP_1)
	s_or_b32 exec_lo, exec_lo, s16
	v_lshrrev_b16 v0, 8, v8
	s_mov_b32 s16, exec_lo
	v_cmpx_ne_u16_e32 0, v0
	s_cbranch_execz .LBB189_1602
; %bb.1595:                             ;   in Loop: Header=BB189_1075 Depth=1
	v_mov_b64_e32 v[6:7], 0x8000000000000000
	s_mov_b32 s17, exec_lo
	v_cmpx_ne_u16_e32 0x80, v0
	s_cbranch_execz .LBB189_1601
; %bb.1596:                             ;   in Loop: Header=BB189_1075 Depth=1
	v_and_b32_e32 v0, 0xffff, v0
	v_mov_b64_e32 v[6:7], 0x7f80000100000000
	s_mov_b32 s18, exec_lo
	s_delay_alu instid0(VALU_DEP_2) | instskip(NEXT) | instid1(VALU_DEP_1)
	v_and_b32_e32 v1, 0x7f, v0
	v_cmpx_ne_u32_e32 0x7f, v1
	s_cbranch_execz .LBB189_1600
; %bb.1597:                             ;   in Loop: Header=BB189_1075 Depth=1
	v_dual_lshrrev_b32 v0, 3, v1 :: v_dual_bitop2_b32 v42, 7, v0 bitop3:0x40
	s_mov_b32 s19, exec_lo
	v_cmpx_gt_u32_e32 8, v1
; %bb.1598:                             ;   in Loop: Header=BB189_1075 Depth=1
	s_delay_alu instid0(VALU_DEP_2) | instskip(NEXT) | instid1(VALU_DEP_1)
	v_clz_i32_u32_e32 v0, v42
	v_min_u32_e32 v0, 32, v0
	s_delay_alu instid0(VALU_DEP_1) | instskip(NEXT) | instid1(VALU_DEP_1)
	v_subrev_nc_u32_e32 v1, 28, v0
	v_lshlrev_b64_e32 v[6:7], v1, v[42:43]
	s_delay_alu instid0(VALU_DEP_1)
	v_dual_sub_nc_u32 v0, 29, v0 :: v_dual_bitop2_b32 v42, 7, v6 bitop3:0x40
; %bb.1599:                             ;   in Loop: Header=BB189_1075 Depth=1
	s_or_b32 exec_lo, exec_lo, s19
	s_delay_alu instid0(VALU_DEP_1) | instskip(NEXT) | instid1(VALU_DEP_2)
	v_dual_lshlrev_b32 v1, 16, v8 :: v_dual_lshlrev_b32 v6, 20, v42
	v_lshl_add_u32 v0, v0, 23, 0x3c000000
	s_delay_alu instid0(VALU_DEP_2) | instskip(NEXT) | instid1(VALU_DEP_1)
	v_and_b32_e32 v1, 0x80000000, v1
	v_or3_b32 v7, v6, v1, v0
	v_mov_b32_e32 v6, v43
.LBB189_1600:                           ;   in Loop: Header=BB189_1075 Depth=1
	s_or_b32 exec_lo, exec_lo, s18
.LBB189_1601:                           ;   in Loop: Header=BB189_1075 Depth=1
	s_delay_alu instid0(SALU_CYCLE_1)
	s_or_b32 exec_lo, exec_lo, s17
.LBB189_1602:                           ;   in Loop: Header=BB189_1075 Depth=1
	s_delay_alu instid0(SALU_CYCLE_1) | instskip(SKIP_4) | instid1(VALU_DEP_3)
	s_or_b32 exec_lo, exec_lo, s16
	v_lshrrev_b32_e32 v9, 16, v8
	v_mov_b64_e32 v[14:15], 0
	v_mov_b64_e32 v[16:17], 0
	s_mov_b32 s16, exec_lo
	v_and_b32_e32 v0, 0xff, v9
	s_delay_alu instid0(VALU_DEP_1)
	v_cmpx_ne_u16_e32 0, v0
	s_cbranch_execz .LBB189_1610
; %bb.1603:                             ;   in Loop: Header=BB189_1075 Depth=1
	v_mov_b64_e32 v[16:17], 0x80000000
	s_mov_b32 s17, exec_lo
	v_cmpx_ne_u16_e32 0x80, v0
	s_cbranch_execz .LBB189_1609
; %bb.1604:                             ;   in Loop: Header=BB189_1075 Depth=1
	v_mov_b64_e32 v[16:17], 0x7f800001
	v_bfe_u32 v1, v8, 16, 7
	s_mov_b32 s18, exec_lo
	s_delay_alu instid0(VALU_DEP_1)
	v_cmpx_ne_u32_e32 0x7f, v1
	s_cbranch_execz .LBB189_1608
; %bb.1605:                             ;   in Loop: Header=BB189_1075 Depth=1
	v_and_b32_e32 v42, 7, v9
	v_lshrrev_b32_e32 v0, 3, v1
	s_mov_b32 s19, exec_lo
	v_cmpx_gt_u32_e32 8, v1
; %bb.1606:                             ;   in Loop: Header=BB189_1075 Depth=1
	s_delay_alu instid0(VALU_DEP_3) | instskip(NEXT) | instid1(VALU_DEP_1)
	v_clz_i32_u32_e32 v0, v42
	v_min_u32_e32 v0, 32, v0
	s_delay_alu instid0(VALU_DEP_1) | instskip(SKIP_1) | instid1(VALU_DEP_2)
	v_subrev_nc_u32_e32 v1, 28, v0
	v_sub_nc_u32_e32 v0, 29, v0
	v_lshlrev_b64_e32 v[16:17], v1, v[42:43]
	s_delay_alu instid0(VALU_DEP_1)
	v_and_b32_e32 v42, 7, v16
; %bb.1607:                             ;   in Loop: Header=BB189_1075 Depth=1
	s_or_b32 exec_lo, exec_lo, s19
	s_delay_alu instid0(VALU_DEP_1) | instskip(SKIP_1) | instid1(VALU_DEP_2)
	v_dual_lshlrev_b32 v1, 24, v9 :: v_dual_lshlrev_b32 v9, 20, v42
	v_lshl_add_u32 v0, v0, 23, 0x3c000000
	v_and_b32_e32 v1, 0x80000000, v1
	s_delay_alu instid0(VALU_DEP_1) | instskip(NEXT) | instid1(VALU_DEP_1)
	v_or3_b32 v42, v9, v1, v0
	v_mov_b64_e32 v[16:17], v[42:43]
.LBB189_1608:                           ;   in Loop: Header=BB189_1075 Depth=1
	s_or_b32 exec_lo, exec_lo, s18
.LBB189_1609:                           ;   in Loop: Header=BB189_1075 Depth=1
	s_delay_alu instid0(SALU_CYCLE_1)
	s_or_b32 exec_lo, exec_lo, s17
.LBB189_1610:                           ;   in Loop: Header=BB189_1075 Depth=1
	s_delay_alu instid0(SALU_CYCLE_1) | instskip(NEXT) | instid1(SALU_CYCLE_1)
	s_or_b32 exec_lo, exec_lo, s16
	s_mov_b32 s16, exec_lo
	v_cmpx_lt_u32_e32 0xffffff, v8
	s_cbranch_execz .LBB189_1618
; %bb.1611:                             ;   in Loop: Header=BB189_1075 Depth=1
	v_mov_b64_e32 v[14:15], 0x8000000000000000
	v_lshrrev_b32_e32 v0, 24, v8
	s_mov_b32 s17, exec_lo
	s_delay_alu instid0(VALU_DEP_1)
	v_cmpx_ne_u32_e32 0x80, v0
	s_cbranch_execz .LBB189_1617
; %bb.1612:                             ;   in Loop: Header=BB189_1075 Depth=1
	v_mov_b64_e32 v[14:15], 0x7f80000100000000
	v_bfe_u32 v8, v8, 24, 7
	s_mov_b32 s18, exec_lo
	s_delay_alu instid0(VALU_DEP_1)
	v_cmpx_ne_u32_e32 0x7f, v8
	s_cbranch_execz .LBB189_1616
; %bb.1613:                             ;   in Loop: Header=BB189_1075 Depth=1
	v_and_b32_e32 v42, 7, v0
	v_lshrrev_b32_e32 v1, 3, v8
	s_mov_b32 s19, exec_lo
	v_cmpx_gt_u32_e32 8, v8
; %bb.1614:                             ;   in Loop: Header=BB189_1075 Depth=1
	s_delay_alu instid0(VALU_DEP_3) | instskip(NEXT) | instid1(VALU_DEP_1)
	v_clz_i32_u32_e32 v1, v42
	v_min_u32_e32 v1, 32, v1
	s_delay_alu instid0(VALU_DEP_1) | instskip(NEXT) | instid1(VALU_DEP_1)
	v_subrev_nc_u32_e32 v8, 28, v1
	v_lshlrev_b64_e32 v[8:9], v8, v[42:43]
	s_delay_alu instid0(VALU_DEP_1)
	v_dual_sub_nc_u32 v1, 29, v1 :: v_dual_bitop2_b32 v42, 7, v8 bitop3:0x40
; %bb.1615:                             ;   in Loop: Header=BB189_1075 Depth=1
	s_or_b32 exec_lo, exec_lo, s19
	s_delay_alu instid0(VALU_DEP_1) | instskip(NEXT) | instid1(VALU_DEP_2)
	v_dual_lshlrev_b32 v0, 24, v0 :: v_dual_lshlrev_b32 v8, 20, v42
	v_lshl_add_u32 v1, v1, 23, 0x3c000000
	v_mov_b32_e32 v14, v43
	s_delay_alu instid0(VALU_DEP_3) | instskip(NEXT) | instid1(VALU_DEP_1)
	v_and_b32_e32 v0, 0x80000000, v0
	v_or3_b32 v15, v8, v0, v1
.LBB189_1616:                           ;   in Loop: Header=BB189_1075 Depth=1
	s_or_b32 exec_lo, exec_lo, s18
.LBB189_1617:                           ;   in Loop: Header=BB189_1075 Depth=1
	s_delay_alu instid0(SALU_CYCLE_1)
	s_or_b32 exec_lo, exec_lo, s17
.LBB189_1618:                           ;   in Loop: Header=BB189_1075 Depth=1
	s_delay_alu instid0(SALU_CYCLE_1) | instskip(SKIP_4) | instid1(VALU_DEP_3)
	s_or_b32 exec_lo, exec_lo, s16
	v_or_b32_e32 v1, v7, v13
	v_or_b32_e32 v0, v6, v12
	;; [unrolled: 1-line block ×4, first 2 shown]
	v_pk_mul_f32 v[122:123], v[86:87], v[0:1]
	s_delay_alu instid0(VALU_DEP_2)
	v_pk_mul_f32 v[120:121], v[86:87], v[6:7]
	s_and_saveexec_b32 s16, vcc_lo
	s_cbranch_execz .LBB189_1620
; %bb.1619:                             ;   in Loop: Header=BB189_1075 Depth=1
	v_cmp_lt_i32_e64 s0, v47, v100
	s_delay_alu instid0(VALU_DEP_1) | instskip(SKIP_1) | instid1(VALU_DEP_1)
	v_cndmask_b32_e64 v122, 0, v122, s0
	v_cmp_lt_i32_e64 s0, v56, v100
	v_cndmask_b32_e64 v123, 0, v123, s0
	v_cmp_lt_i32_e64 s0, v41, v100
	s_delay_alu instid0(VALU_DEP_1) | instskip(SKIP_1) | instid1(VALU_DEP_1)
	v_cndmask_b32_e64 v120, 0, v120, s0
	v_cmp_lt_i32_e64 s0, v40, v100
	v_cndmask_b32_e64 v121, 0, v121, s0
.LBB189_1620:                           ;   in Loop: Header=BB189_1075 Depth=1
	s_or_b32 exec_lo, exec_lo, s16
	flat_load_b32 v8, v[118:119] offset:2048
	v_mov_b64_e32 v[6:7], 0
	v_mov_b64_e32 v[12:13], 0
	s_mov_b32 s16, exec_lo
	s_wait_loadcnt_dscnt 0x0
	v_and_b32_e32 v0, 0xff, v8
	s_wait_xcnt 0x0
	s_delay_alu instid0(VALU_DEP_1)
	v_cmpx_ne_u16_e32 0, v0
	s_cbranch_execz .LBB189_1628
; %bb.1621:                             ;   in Loop: Header=BB189_1075 Depth=1
	v_mov_b64_e32 v[12:13], 0x80000000
	s_mov_b32 s17, exec_lo
	v_cmpx_ne_u16_e32 0x80, v0
	s_cbranch_execz .LBB189_1627
; %bb.1622:                             ;   in Loop: Header=BB189_1075 Depth=1
	v_mov_b64_e32 v[12:13], 0x7f800001
	v_and_b32_e32 v1, 0x7f, v8
	s_mov_b32 s18, exec_lo
	s_delay_alu instid0(VALU_DEP_1)
	v_cmpx_ne_u32_e32 0x7f, v1
	s_cbranch_execz .LBB189_1626
; %bb.1623:                             ;   in Loop: Header=BB189_1075 Depth=1
	v_dual_lshrrev_b32 v0, 3, v1 :: v_dual_bitop2_b32 v42, 7, v8 bitop3:0x40
	s_mov_b32 s19, exec_lo
	v_cmpx_gt_u32_e32 8, v1
; %bb.1624:                             ;   in Loop: Header=BB189_1075 Depth=1
	s_delay_alu instid0(VALU_DEP_2) | instskip(NEXT) | instid1(VALU_DEP_1)
	v_clz_i32_u32_e32 v0, v42
	v_min_u32_e32 v0, 32, v0
	s_delay_alu instid0(VALU_DEP_1) | instskip(SKIP_1) | instid1(VALU_DEP_2)
	v_subrev_nc_u32_e32 v1, 28, v0
	v_sub_nc_u32_e32 v0, 29, v0
	v_lshlrev_b64_e32 v[12:13], v1, v[42:43]
	s_delay_alu instid0(VALU_DEP_1)
	v_and_b32_e32 v42, 7, v12
; %bb.1625:                             ;   in Loop: Header=BB189_1075 Depth=1
	s_or_b32 exec_lo, exec_lo, s19
	s_delay_alu instid0(VALU_DEP_1) | instskip(SKIP_1) | instid1(VALU_DEP_2)
	v_dual_lshlrev_b32 v1, 24, v8 :: v_dual_lshlrev_b32 v9, 20, v42
	v_lshl_add_u32 v0, v0, 23, 0x3c000000
	v_and_b32_e32 v1, 0x80000000, v1
	s_delay_alu instid0(VALU_DEP_1) | instskip(NEXT) | instid1(VALU_DEP_1)
	v_or3_b32 v42, v9, v1, v0
	v_mov_b64_e32 v[12:13], v[42:43]
.LBB189_1626:                           ;   in Loop: Header=BB189_1075 Depth=1
	s_or_b32 exec_lo, exec_lo, s18
.LBB189_1627:                           ;   in Loop: Header=BB189_1075 Depth=1
	s_delay_alu instid0(SALU_CYCLE_1)
	s_or_b32 exec_lo, exec_lo, s17
.LBB189_1628:                           ;   in Loop: Header=BB189_1075 Depth=1
	s_delay_alu instid0(SALU_CYCLE_1) | instskip(SKIP_2) | instid1(VALU_DEP_1)
	s_or_b32 exec_lo, exec_lo, s16
	v_lshrrev_b16 v0, 8, v8
	s_mov_b32 s16, exec_lo
	v_cmpx_ne_u16_e32 0, v0
	s_cbranch_execz .LBB189_1636
; %bb.1629:                             ;   in Loop: Header=BB189_1075 Depth=1
	v_mov_b64_e32 v[6:7], 0x8000000000000000
	s_mov_b32 s17, exec_lo
	v_cmpx_ne_u16_e32 0x80, v0
	s_cbranch_execz .LBB189_1635
; %bb.1630:                             ;   in Loop: Header=BB189_1075 Depth=1
	v_and_b32_e32 v0, 0xffff, v0
	v_mov_b64_e32 v[6:7], 0x7f80000100000000
	s_mov_b32 s18, exec_lo
	s_delay_alu instid0(VALU_DEP_2) | instskip(NEXT) | instid1(VALU_DEP_1)
	v_and_b32_e32 v1, 0x7f, v0
	v_cmpx_ne_u32_e32 0x7f, v1
	s_cbranch_execz .LBB189_1634
; %bb.1631:                             ;   in Loop: Header=BB189_1075 Depth=1
	v_dual_lshrrev_b32 v0, 3, v1 :: v_dual_bitop2_b32 v42, 7, v0 bitop3:0x40
	s_mov_b32 s19, exec_lo
	v_cmpx_gt_u32_e32 8, v1
; %bb.1632:                             ;   in Loop: Header=BB189_1075 Depth=1
	s_delay_alu instid0(VALU_DEP_2) | instskip(NEXT) | instid1(VALU_DEP_1)
	v_clz_i32_u32_e32 v0, v42
	v_min_u32_e32 v0, 32, v0
	s_delay_alu instid0(VALU_DEP_1) | instskip(NEXT) | instid1(VALU_DEP_1)
	v_subrev_nc_u32_e32 v1, 28, v0
	v_lshlrev_b64_e32 v[6:7], v1, v[42:43]
	s_delay_alu instid0(VALU_DEP_1)
	v_dual_sub_nc_u32 v0, 29, v0 :: v_dual_bitop2_b32 v42, 7, v6 bitop3:0x40
; %bb.1633:                             ;   in Loop: Header=BB189_1075 Depth=1
	s_or_b32 exec_lo, exec_lo, s19
	s_delay_alu instid0(VALU_DEP_1) | instskip(NEXT) | instid1(VALU_DEP_2)
	v_dual_lshlrev_b32 v1, 16, v8 :: v_dual_lshlrev_b32 v6, 20, v42
	v_lshl_add_u32 v0, v0, 23, 0x3c000000
	s_delay_alu instid0(VALU_DEP_2) | instskip(NEXT) | instid1(VALU_DEP_1)
	v_and_b32_e32 v1, 0x80000000, v1
	v_or3_b32 v7, v6, v1, v0
	v_mov_b32_e32 v6, v43
.LBB189_1634:                           ;   in Loop: Header=BB189_1075 Depth=1
	s_or_b32 exec_lo, exec_lo, s18
.LBB189_1635:                           ;   in Loop: Header=BB189_1075 Depth=1
	s_delay_alu instid0(SALU_CYCLE_1)
	s_or_b32 exec_lo, exec_lo, s17
.LBB189_1636:                           ;   in Loop: Header=BB189_1075 Depth=1
	s_delay_alu instid0(SALU_CYCLE_1) | instskip(SKIP_4) | instid1(VALU_DEP_3)
	s_or_b32 exec_lo, exec_lo, s16
	v_lshrrev_b32_e32 v9, 16, v8
	v_mov_b64_e32 v[14:15], 0
	v_mov_b64_e32 v[16:17], 0
	s_mov_b32 s16, exec_lo
	v_and_b32_e32 v0, 0xff, v9
	s_delay_alu instid0(VALU_DEP_1)
	v_cmpx_ne_u16_e32 0, v0
	s_cbranch_execz .LBB189_1644
; %bb.1637:                             ;   in Loop: Header=BB189_1075 Depth=1
	v_mov_b64_e32 v[16:17], 0x80000000
	s_mov_b32 s17, exec_lo
	v_cmpx_ne_u16_e32 0x80, v0
	s_cbranch_execz .LBB189_1643
; %bb.1638:                             ;   in Loop: Header=BB189_1075 Depth=1
	v_mov_b64_e32 v[16:17], 0x7f800001
	v_bfe_u32 v1, v8, 16, 7
	s_mov_b32 s18, exec_lo
	s_delay_alu instid0(VALU_DEP_1)
	v_cmpx_ne_u32_e32 0x7f, v1
	s_cbranch_execz .LBB189_1642
; %bb.1639:                             ;   in Loop: Header=BB189_1075 Depth=1
	v_and_b32_e32 v42, 7, v9
	v_lshrrev_b32_e32 v0, 3, v1
	s_mov_b32 s19, exec_lo
	v_cmpx_gt_u32_e32 8, v1
; %bb.1640:                             ;   in Loop: Header=BB189_1075 Depth=1
	s_delay_alu instid0(VALU_DEP_3) | instskip(NEXT) | instid1(VALU_DEP_1)
	v_clz_i32_u32_e32 v0, v42
	v_min_u32_e32 v0, 32, v0
	s_delay_alu instid0(VALU_DEP_1) | instskip(SKIP_1) | instid1(VALU_DEP_2)
	v_subrev_nc_u32_e32 v1, 28, v0
	v_sub_nc_u32_e32 v0, 29, v0
	v_lshlrev_b64_e32 v[16:17], v1, v[42:43]
	s_delay_alu instid0(VALU_DEP_1)
	v_and_b32_e32 v42, 7, v16
; %bb.1641:                             ;   in Loop: Header=BB189_1075 Depth=1
	s_or_b32 exec_lo, exec_lo, s19
	s_delay_alu instid0(VALU_DEP_1) | instskip(SKIP_1) | instid1(VALU_DEP_2)
	v_dual_lshlrev_b32 v1, 24, v9 :: v_dual_lshlrev_b32 v9, 20, v42
	v_lshl_add_u32 v0, v0, 23, 0x3c000000
	v_and_b32_e32 v1, 0x80000000, v1
	s_delay_alu instid0(VALU_DEP_1) | instskip(NEXT) | instid1(VALU_DEP_1)
	v_or3_b32 v42, v9, v1, v0
	v_mov_b64_e32 v[16:17], v[42:43]
.LBB189_1642:                           ;   in Loop: Header=BB189_1075 Depth=1
	s_or_b32 exec_lo, exec_lo, s18
.LBB189_1643:                           ;   in Loop: Header=BB189_1075 Depth=1
	s_delay_alu instid0(SALU_CYCLE_1)
	s_or_b32 exec_lo, exec_lo, s17
.LBB189_1644:                           ;   in Loop: Header=BB189_1075 Depth=1
	s_delay_alu instid0(SALU_CYCLE_1) | instskip(NEXT) | instid1(SALU_CYCLE_1)
	s_or_b32 exec_lo, exec_lo, s16
	s_mov_b32 s16, exec_lo
	v_cmpx_lt_u32_e32 0xffffff, v8
	s_cbranch_execz .LBB189_1652
; %bb.1645:                             ;   in Loop: Header=BB189_1075 Depth=1
	v_mov_b64_e32 v[14:15], 0x8000000000000000
	v_lshrrev_b32_e32 v0, 24, v8
	s_mov_b32 s17, exec_lo
	s_delay_alu instid0(VALU_DEP_1)
	v_cmpx_ne_u32_e32 0x80, v0
	s_cbranch_execz .LBB189_1651
; %bb.1646:                             ;   in Loop: Header=BB189_1075 Depth=1
	v_mov_b64_e32 v[14:15], 0x7f80000100000000
	v_bfe_u32 v8, v8, 24, 7
	s_mov_b32 s18, exec_lo
	s_delay_alu instid0(VALU_DEP_1)
	v_cmpx_ne_u32_e32 0x7f, v8
	s_cbranch_execz .LBB189_1650
; %bb.1647:                             ;   in Loop: Header=BB189_1075 Depth=1
	v_and_b32_e32 v42, 7, v0
	v_lshrrev_b32_e32 v1, 3, v8
	s_mov_b32 s19, exec_lo
	v_cmpx_gt_u32_e32 8, v8
; %bb.1648:                             ;   in Loop: Header=BB189_1075 Depth=1
	s_delay_alu instid0(VALU_DEP_3) | instskip(NEXT) | instid1(VALU_DEP_1)
	v_clz_i32_u32_e32 v1, v42
	v_min_u32_e32 v1, 32, v1
	s_delay_alu instid0(VALU_DEP_1) | instskip(NEXT) | instid1(VALU_DEP_1)
	v_subrev_nc_u32_e32 v8, 28, v1
	v_lshlrev_b64_e32 v[8:9], v8, v[42:43]
	s_delay_alu instid0(VALU_DEP_1)
	v_dual_sub_nc_u32 v1, 29, v1 :: v_dual_bitop2_b32 v42, 7, v8 bitop3:0x40
; %bb.1649:                             ;   in Loop: Header=BB189_1075 Depth=1
	s_or_b32 exec_lo, exec_lo, s19
	s_delay_alu instid0(VALU_DEP_1) | instskip(NEXT) | instid1(VALU_DEP_2)
	v_dual_lshlrev_b32 v0, 24, v0 :: v_dual_lshlrev_b32 v8, 20, v42
	v_lshl_add_u32 v1, v1, 23, 0x3c000000
	v_mov_b32_e32 v14, v43
	s_delay_alu instid0(VALU_DEP_3) | instskip(NEXT) | instid1(VALU_DEP_1)
	v_and_b32_e32 v0, 0x80000000, v0
	v_or3_b32 v15, v8, v0, v1
.LBB189_1650:                           ;   in Loop: Header=BB189_1075 Depth=1
	s_or_b32 exec_lo, exec_lo, s18
.LBB189_1651:                           ;   in Loop: Header=BB189_1075 Depth=1
	s_delay_alu instid0(SALU_CYCLE_1)
	s_or_b32 exec_lo, exec_lo, s17
.LBB189_1652:                           ;   in Loop: Header=BB189_1075 Depth=1
	s_delay_alu instid0(SALU_CYCLE_1) | instskip(SKIP_4) | instid1(VALU_DEP_3)
	s_or_b32 exec_lo, exec_lo, s16
	v_or_b32_e32 v1, v7, v13
	v_or_b32_e32 v0, v6, v12
	;; [unrolled: 1-line block ×4, first 2 shown]
	v_pk_mul_f32 v[126:127], v[86:87], v[0:1]
	s_delay_alu instid0(VALU_DEP_2)
	v_pk_mul_f32 v[124:125], v[86:87], v[6:7]
	s_and_saveexec_b32 s16, vcc_lo
	s_cbranch_execz .LBB189_1654
; %bb.1653:                             ;   in Loop: Header=BB189_1075 Depth=1
	v_cmp_lt_i32_e64 s0, v47, v100
	s_delay_alu instid0(VALU_DEP_1) | instskip(SKIP_1) | instid1(VALU_DEP_1)
	v_cndmask_b32_e64 v126, 0, v126, s0
	v_cmp_lt_i32_e64 s0, v56, v100
	v_cndmask_b32_e64 v127, 0, v127, s0
	v_cmp_lt_i32_e64 s0, v41, v100
	s_delay_alu instid0(VALU_DEP_1) | instskip(SKIP_1) | instid1(VALU_DEP_1)
	v_cndmask_b32_e64 v124, 0, v124, s0
	v_cmp_lt_i32_e64 s0, v40, v100
	v_cndmask_b32_e64 v125, 0, v125, s0
.LBB189_1654:                           ;   in Loop: Header=BB189_1075 Depth=1
	s_or_b32 exec_lo, exec_lo, s16
	flat_load_b32 v8, v[118:119] offset:2176
	v_mov_b64_e32 v[6:7], 0
	v_mov_b64_e32 v[12:13], 0
	s_mov_b32 s16, exec_lo
	s_wait_loadcnt_dscnt 0x0
	v_and_b32_e32 v0, 0xff, v8
	s_wait_xcnt 0x0
	s_delay_alu instid0(VALU_DEP_1)
	v_cmpx_ne_u16_e32 0, v0
	s_cbranch_execz .LBB189_1662
; %bb.1655:                             ;   in Loop: Header=BB189_1075 Depth=1
	v_mov_b64_e32 v[12:13], 0x80000000
	s_mov_b32 s17, exec_lo
	v_cmpx_ne_u16_e32 0x80, v0
	s_cbranch_execz .LBB189_1661
; %bb.1656:                             ;   in Loop: Header=BB189_1075 Depth=1
	v_mov_b64_e32 v[12:13], 0x7f800001
	v_and_b32_e32 v1, 0x7f, v8
	s_mov_b32 s18, exec_lo
	s_delay_alu instid0(VALU_DEP_1)
	v_cmpx_ne_u32_e32 0x7f, v1
	s_cbranch_execz .LBB189_1660
; %bb.1657:                             ;   in Loop: Header=BB189_1075 Depth=1
	v_dual_lshrrev_b32 v0, 3, v1 :: v_dual_bitop2_b32 v42, 7, v8 bitop3:0x40
	s_mov_b32 s19, exec_lo
	v_cmpx_gt_u32_e32 8, v1
; %bb.1658:                             ;   in Loop: Header=BB189_1075 Depth=1
	s_delay_alu instid0(VALU_DEP_2) | instskip(NEXT) | instid1(VALU_DEP_1)
	v_clz_i32_u32_e32 v0, v42
	v_min_u32_e32 v0, 32, v0
	s_delay_alu instid0(VALU_DEP_1) | instskip(SKIP_1) | instid1(VALU_DEP_2)
	v_subrev_nc_u32_e32 v1, 28, v0
	v_sub_nc_u32_e32 v0, 29, v0
	v_lshlrev_b64_e32 v[12:13], v1, v[42:43]
	s_delay_alu instid0(VALU_DEP_1)
	v_and_b32_e32 v42, 7, v12
; %bb.1659:                             ;   in Loop: Header=BB189_1075 Depth=1
	s_or_b32 exec_lo, exec_lo, s19
	s_delay_alu instid0(VALU_DEP_1) | instskip(SKIP_1) | instid1(VALU_DEP_2)
	v_dual_lshlrev_b32 v1, 24, v8 :: v_dual_lshlrev_b32 v9, 20, v42
	v_lshl_add_u32 v0, v0, 23, 0x3c000000
	v_and_b32_e32 v1, 0x80000000, v1
	s_delay_alu instid0(VALU_DEP_1) | instskip(NEXT) | instid1(VALU_DEP_1)
	v_or3_b32 v42, v9, v1, v0
	v_mov_b64_e32 v[12:13], v[42:43]
.LBB189_1660:                           ;   in Loop: Header=BB189_1075 Depth=1
	s_or_b32 exec_lo, exec_lo, s18
.LBB189_1661:                           ;   in Loop: Header=BB189_1075 Depth=1
	s_delay_alu instid0(SALU_CYCLE_1)
	s_or_b32 exec_lo, exec_lo, s17
.LBB189_1662:                           ;   in Loop: Header=BB189_1075 Depth=1
	s_delay_alu instid0(SALU_CYCLE_1) | instskip(SKIP_2) | instid1(VALU_DEP_1)
	s_or_b32 exec_lo, exec_lo, s16
	v_lshrrev_b16 v0, 8, v8
	s_mov_b32 s16, exec_lo
	v_cmpx_ne_u16_e32 0, v0
	s_cbranch_execz .LBB189_1670
; %bb.1663:                             ;   in Loop: Header=BB189_1075 Depth=1
	v_mov_b64_e32 v[6:7], 0x8000000000000000
	s_mov_b32 s17, exec_lo
	v_cmpx_ne_u16_e32 0x80, v0
	s_cbranch_execz .LBB189_1669
; %bb.1664:                             ;   in Loop: Header=BB189_1075 Depth=1
	v_and_b32_e32 v0, 0xffff, v0
	v_mov_b64_e32 v[6:7], 0x7f80000100000000
	s_mov_b32 s18, exec_lo
	s_delay_alu instid0(VALU_DEP_2) | instskip(NEXT) | instid1(VALU_DEP_1)
	v_and_b32_e32 v1, 0x7f, v0
	v_cmpx_ne_u32_e32 0x7f, v1
	s_cbranch_execz .LBB189_1668
; %bb.1665:                             ;   in Loop: Header=BB189_1075 Depth=1
	v_dual_lshrrev_b32 v0, 3, v1 :: v_dual_bitop2_b32 v42, 7, v0 bitop3:0x40
	s_mov_b32 s19, exec_lo
	v_cmpx_gt_u32_e32 8, v1
; %bb.1666:                             ;   in Loop: Header=BB189_1075 Depth=1
	s_delay_alu instid0(VALU_DEP_2) | instskip(NEXT) | instid1(VALU_DEP_1)
	v_clz_i32_u32_e32 v0, v42
	v_min_u32_e32 v0, 32, v0
	s_delay_alu instid0(VALU_DEP_1) | instskip(NEXT) | instid1(VALU_DEP_1)
	v_subrev_nc_u32_e32 v1, 28, v0
	v_lshlrev_b64_e32 v[6:7], v1, v[42:43]
	s_delay_alu instid0(VALU_DEP_1)
	v_dual_sub_nc_u32 v0, 29, v0 :: v_dual_bitop2_b32 v42, 7, v6 bitop3:0x40
; %bb.1667:                             ;   in Loop: Header=BB189_1075 Depth=1
	s_or_b32 exec_lo, exec_lo, s19
	s_delay_alu instid0(VALU_DEP_1) | instskip(NEXT) | instid1(VALU_DEP_2)
	v_dual_lshlrev_b32 v1, 16, v8 :: v_dual_lshlrev_b32 v6, 20, v42
	v_lshl_add_u32 v0, v0, 23, 0x3c000000
	s_delay_alu instid0(VALU_DEP_2) | instskip(NEXT) | instid1(VALU_DEP_1)
	v_and_b32_e32 v1, 0x80000000, v1
	v_or3_b32 v7, v6, v1, v0
	v_mov_b32_e32 v6, v43
.LBB189_1668:                           ;   in Loop: Header=BB189_1075 Depth=1
	s_or_b32 exec_lo, exec_lo, s18
.LBB189_1669:                           ;   in Loop: Header=BB189_1075 Depth=1
	s_delay_alu instid0(SALU_CYCLE_1)
	s_or_b32 exec_lo, exec_lo, s17
.LBB189_1670:                           ;   in Loop: Header=BB189_1075 Depth=1
	s_delay_alu instid0(SALU_CYCLE_1) | instskip(SKIP_4) | instid1(VALU_DEP_3)
	s_or_b32 exec_lo, exec_lo, s16
	v_lshrrev_b32_e32 v9, 16, v8
	v_mov_b64_e32 v[14:15], 0
	v_mov_b64_e32 v[16:17], 0
	s_mov_b32 s16, exec_lo
	v_and_b32_e32 v0, 0xff, v9
	s_delay_alu instid0(VALU_DEP_1)
	v_cmpx_ne_u16_e32 0, v0
	s_cbranch_execz .LBB189_1678
; %bb.1671:                             ;   in Loop: Header=BB189_1075 Depth=1
	v_mov_b64_e32 v[16:17], 0x80000000
	s_mov_b32 s17, exec_lo
	v_cmpx_ne_u16_e32 0x80, v0
	s_cbranch_execz .LBB189_1677
; %bb.1672:                             ;   in Loop: Header=BB189_1075 Depth=1
	v_mov_b64_e32 v[16:17], 0x7f800001
	v_bfe_u32 v1, v8, 16, 7
	s_mov_b32 s18, exec_lo
	s_delay_alu instid0(VALU_DEP_1)
	v_cmpx_ne_u32_e32 0x7f, v1
	s_cbranch_execz .LBB189_1676
; %bb.1673:                             ;   in Loop: Header=BB189_1075 Depth=1
	v_and_b32_e32 v42, 7, v9
	v_lshrrev_b32_e32 v0, 3, v1
	s_mov_b32 s19, exec_lo
	v_cmpx_gt_u32_e32 8, v1
; %bb.1674:                             ;   in Loop: Header=BB189_1075 Depth=1
	s_delay_alu instid0(VALU_DEP_3) | instskip(NEXT) | instid1(VALU_DEP_1)
	v_clz_i32_u32_e32 v0, v42
	v_min_u32_e32 v0, 32, v0
	s_delay_alu instid0(VALU_DEP_1) | instskip(SKIP_1) | instid1(VALU_DEP_2)
	v_subrev_nc_u32_e32 v1, 28, v0
	v_sub_nc_u32_e32 v0, 29, v0
	v_lshlrev_b64_e32 v[16:17], v1, v[42:43]
	s_delay_alu instid0(VALU_DEP_1)
	v_and_b32_e32 v42, 7, v16
; %bb.1675:                             ;   in Loop: Header=BB189_1075 Depth=1
	s_or_b32 exec_lo, exec_lo, s19
	s_delay_alu instid0(VALU_DEP_1) | instskip(SKIP_1) | instid1(VALU_DEP_2)
	v_dual_lshlrev_b32 v1, 24, v9 :: v_dual_lshlrev_b32 v9, 20, v42
	v_lshl_add_u32 v0, v0, 23, 0x3c000000
	v_and_b32_e32 v1, 0x80000000, v1
	s_delay_alu instid0(VALU_DEP_1) | instskip(NEXT) | instid1(VALU_DEP_1)
	v_or3_b32 v42, v9, v1, v0
	v_mov_b64_e32 v[16:17], v[42:43]
.LBB189_1676:                           ;   in Loop: Header=BB189_1075 Depth=1
	s_or_b32 exec_lo, exec_lo, s18
.LBB189_1677:                           ;   in Loop: Header=BB189_1075 Depth=1
	s_delay_alu instid0(SALU_CYCLE_1)
	s_or_b32 exec_lo, exec_lo, s17
.LBB189_1678:                           ;   in Loop: Header=BB189_1075 Depth=1
	s_delay_alu instid0(SALU_CYCLE_1) | instskip(NEXT) | instid1(SALU_CYCLE_1)
	s_or_b32 exec_lo, exec_lo, s16
	s_mov_b32 s16, exec_lo
	v_cmpx_lt_u32_e32 0xffffff, v8
	s_cbranch_execz .LBB189_1686
; %bb.1679:                             ;   in Loop: Header=BB189_1075 Depth=1
	v_mov_b64_e32 v[14:15], 0x8000000000000000
	v_lshrrev_b32_e32 v0, 24, v8
	s_mov_b32 s17, exec_lo
	s_delay_alu instid0(VALU_DEP_1)
	v_cmpx_ne_u32_e32 0x80, v0
	s_cbranch_execz .LBB189_1685
; %bb.1680:                             ;   in Loop: Header=BB189_1075 Depth=1
	v_mov_b64_e32 v[14:15], 0x7f80000100000000
	v_bfe_u32 v8, v8, 24, 7
	s_mov_b32 s18, exec_lo
	s_delay_alu instid0(VALU_DEP_1)
	v_cmpx_ne_u32_e32 0x7f, v8
	s_cbranch_execz .LBB189_1684
; %bb.1681:                             ;   in Loop: Header=BB189_1075 Depth=1
	v_and_b32_e32 v42, 7, v0
	v_lshrrev_b32_e32 v1, 3, v8
	s_mov_b32 s19, exec_lo
	v_cmpx_gt_u32_e32 8, v8
; %bb.1682:                             ;   in Loop: Header=BB189_1075 Depth=1
	s_delay_alu instid0(VALU_DEP_3) | instskip(NEXT) | instid1(VALU_DEP_1)
	v_clz_i32_u32_e32 v1, v42
	v_min_u32_e32 v1, 32, v1
	s_delay_alu instid0(VALU_DEP_1) | instskip(NEXT) | instid1(VALU_DEP_1)
	v_subrev_nc_u32_e32 v8, 28, v1
	v_lshlrev_b64_e32 v[8:9], v8, v[42:43]
	s_delay_alu instid0(VALU_DEP_1)
	v_dual_sub_nc_u32 v1, 29, v1 :: v_dual_bitop2_b32 v42, 7, v8 bitop3:0x40
; %bb.1683:                             ;   in Loop: Header=BB189_1075 Depth=1
	s_or_b32 exec_lo, exec_lo, s19
	s_delay_alu instid0(VALU_DEP_1) | instskip(NEXT) | instid1(VALU_DEP_2)
	v_dual_lshlrev_b32 v0, 24, v0 :: v_dual_lshlrev_b32 v8, 20, v42
	v_lshl_add_u32 v1, v1, 23, 0x3c000000
	v_mov_b32_e32 v14, v43
	s_delay_alu instid0(VALU_DEP_3) | instskip(NEXT) | instid1(VALU_DEP_1)
	v_and_b32_e32 v0, 0x80000000, v0
	v_or3_b32 v15, v8, v0, v1
.LBB189_1684:                           ;   in Loop: Header=BB189_1075 Depth=1
	s_or_b32 exec_lo, exec_lo, s18
.LBB189_1685:                           ;   in Loop: Header=BB189_1075 Depth=1
	s_delay_alu instid0(SALU_CYCLE_1)
	s_or_b32 exec_lo, exec_lo, s17
.LBB189_1686:                           ;   in Loop: Header=BB189_1075 Depth=1
	s_delay_alu instid0(SALU_CYCLE_1) | instskip(SKIP_4) | instid1(VALU_DEP_3)
	s_or_b32 exec_lo, exec_lo, s16
	v_or_b32_e32 v1, v7, v13
	v_or_b32_e32 v0, v6, v12
	;; [unrolled: 1-line block ×4, first 2 shown]
	v_pk_mul_f32 v[16:17], v[86:87], v[0:1]
	s_delay_alu instid0(VALU_DEP_2)
	v_pk_mul_f32 v[6:7], v[86:87], v[6:7]
	s_and_saveexec_b32 s16, vcc_lo
	s_cbranch_execz .LBB189_1688
; %bb.1687:                             ;   in Loop: Header=BB189_1075 Depth=1
	v_cmp_lt_i32_e64 s0, v47, v100
	s_delay_alu instid0(VALU_DEP_1) | instskip(SKIP_1) | instid1(VALU_DEP_1)
	v_cndmask_b32_e64 v16, 0, v16, s0
	v_cmp_lt_i32_e64 s0, v56, v100
	v_cndmask_b32_e64 v17, 0, v17, s0
	v_cmp_lt_i32_e64 s0, v41, v100
	s_delay_alu instid0(VALU_DEP_1) | instskip(SKIP_1) | instid1(VALU_DEP_1)
	v_cndmask_b32_e64 v6, 0, v6, s0
	v_cmp_lt_i32_e64 s0, v40, v100
	v_cndmask_b32_e64 v7, 0, v7, s0
.LBB189_1688:                           ;   in Loop: Header=BB189_1075 Depth=1
	s_or_b32 exec_lo, exec_lo, s16
	flat_load_b32 v8, v[118:119] offset:2304
	v_mov_b64_e32 v[12:13], 0
	v_mov_b64_e32 v[14:15], 0
	s_mov_b32 s16, exec_lo
	s_wait_loadcnt_dscnt 0x0
	v_and_b32_e32 v0, 0xff, v8
	s_wait_xcnt 0x0
	s_delay_alu instid0(VALU_DEP_1)
	v_cmpx_ne_u16_e32 0, v0
	s_cbranch_execz .LBB189_1696
; %bb.1689:                             ;   in Loop: Header=BB189_1075 Depth=1
	v_mov_b64_e32 v[14:15], 0x80000000
	s_mov_b32 s17, exec_lo
	v_cmpx_ne_u16_e32 0x80, v0
	s_cbranch_execz .LBB189_1695
; %bb.1690:                             ;   in Loop: Header=BB189_1075 Depth=1
	v_mov_b64_e32 v[14:15], 0x7f800001
	v_and_b32_e32 v1, 0x7f, v8
	s_mov_b32 s18, exec_lo
	s_delay_alu instid0(VALU_DEP_1)
	v_cmpx_ne_u32_e32 0x7f, v1
	s_cbranch_execz .LBB189_1694
; %bb.1691:                             ;   in Loop: Header=BB189_1075 Depth=1
	v_dual_lshrrev_b32 v0, 3, v1 :: v_dual_bitop2_b32 v42, 7, v8 bitop3:0x40
	s_mov_b32 s19, exec_lo
	v_cmpx_gt_u32_e32 8, v1
; %bb.1692:                             ;   in Loop: Header=BB189_1075 Depth=1
	s_delay_alu instid0(VALU_DEP_2) | instskip(NEXT) | instid1(VALU_DEP_1)
	v_clz_i32_u32_e32 v0, v42
	v_min_u32_e32 v0, 32, v0
	s_delay_alu instid0(VALU_DEP_1) | instskip(NEXT) | instid1(VALU_DEP_1)
	v_subrev_nc_u32_e32 v1, 28, v0
	v_lshlrev_b64_e32 v[14:15], v1, v[42:43]
	s_delay_alu instid0(VALU_DEP_1)
	v_dual_sub_nc_u32 v0, 29, v0 :: v_dual_bitop2_b32 v42, 7, v14 bitop3:0x40
; %bb.1693:                             ;   in Loop: Header=BB189_1075 Depth=1
	s_or_b32 exec_lo, exec_lo, s19
	s_delay_alu instid0(VALU_DEP_1) | instskip(NEXT) | instid1(VALU_DEP_2)
	v_dual_lshlrev_b32 v1, 24, v8 :: v_dual_lshlrev_b32 v9, 20, v42
	v_lshl_add_u32 v0, v0, 23, 0x3c000000
	s_delay_alu instid0(VALU_DEP_2) | instskip(NEXT) | instid1(VALU_DEP_1)
	v_and_b32_e32 v1, 0x80000000, v1
	v_or3_b32 v42, v9, v1, v0
	s_delay_alu instid0(VALU_DEP_1)
	v_mov_b64_e32 v[14:15], v[42:43]
.LBB189_1694:                           ;   in Loop: Header=BB189_1075 Depth=1
	s_or_b32 exec_lo, exec_lo, s18
.LBB189_1695:                           ;   in Loop: Header=BB189_1075 Depth=1
	s_delay_alu instid0(SALU_CYCLE_1)
	s_or_b32 exec_lo, exec_lo, s17
.LBB189_1696:                           ;   in Loop: Header=BB189_1075 Depth=1
	s_delay_alu instid0(SALU_CYCLE_1) | instskip(SKIP_2) | instid1(VALU_DEP_1)
	s_or_b32 exec_lo, exec_lo, s16
	v_lshrrev_b16 v0, 8, v8
	s_mov_b32 s16, exec_lo
	v_cmpx_ne_u16_e32 0, v0
	s_cbranch_execz .LBB189_1704
; %bb.1697:                             ;   in Loop: Header=BB189_1075 Depth=1
	v_mov_b64_e32 v[12:13], 0x8000000000000000
	s_mov_b32 s17, exec_lo
	v_cmpx_ne_u16_e32 0x80, v0
	s_cbranch_execz .LBB189_1703
; %bb.1698:                             ;   in Loop: Header=BB189_1075 Depth=1
	v_and_b32_e32 v0, 0xffff, v0
	v_mov_b64_e32 v[12:13], 0x7f80000100000000
	s_mov_b32 s18, exec_lo
	s_delay_alu instid0(VALU_DEP_2) | instskip(NEXT) | instid1(VALU_DEP_1)
	v_and_b32_e32 v1, 0x7f, v0
	v_cmpx_ne_u32_e32 0x7f, v1
	s_cbranch_execz .LBB189_1702
; %bb.1699:                             ;   in Loop: Header=BB189_1075 Depth=1
	v_dual_lshrrev_b32 v0, 3, v1 :: v_dual_bitop2_b32 v42, 7, v0 bitop3:0x40
	s_mov_b32 s19, exec_lo
	v_cmpx_gt_u32_e32 8, v1
; %bb.1700:                             ;   in Loop: Header=BB189_1075 Depth=1
	s_delay_alu instid0(VALU_DEP_2) | instskip(NEXT) | instid1(VALU_DEP_1)
	v_clz_i32_u32_e32 v0, v42
	v_min_u32_e32 v0, 32, v0
	s_delay_alu instid0(VALU_DEP_1) | instskip(SKIP_1) | instid1(VALU_DEP_2)
	v_subrev_nc_u32_e32 v1, 28, v0
	v_sub_nc_u32_e32 v0, 29, v0
	v_lshlrev_b64_e32 v[12:13], v1, v[42:43]
	s_delay_alu instid0(VALU_DEP_1)
	v_and_b32_e32 v42, 7, v12
; %bb.1701:                             ;   in Loop: Header=BB189_1075 Depth=1
	s_or_b32 exec_lo, exec_lo, s19
	s_delay_alu instid0(VALU_DEP_1) | instskip(SKIP_2) | instid1(VALU_DEP_3)
	v_dual_lshlrev_b32 v1, 16, v8 :: v_dual_lshlrev_b32 v9, 20, v42
	v_lshl_add_u32 v0, v0, 23, 0x3c000000
	v_mov_b32_e32 v12, v43
	v_and_b32_e32 v1, 0x80000000, v1
	s_delay_alu instid0(VALU_DEP_1)
	v_or3_b32 v13, v9, v1, v0
.LBB189_1702:                           ;   in Loop: Header=BB189_1075 Depth=1
	s_or_b32 exec_lo, exec_lo, s18
.LBB189_1703:                           ;   in Loop: Header=BB189_1075 Depth=1
	s_delay_alu instid0(SALU_CYCLE_1)
	s_or_b32 exec_lo, exec_lo, s17
.LBB189_1704:                           ;   in Loop: Header=BB189_1075 Depth=1
	s_delay_alu instid0(SALU_CYCLE_1) | instskip(SKIP_4) | instid1(VALU_DEP_3)
	s_or_b32 exec_lo, exec_lo, s16
	v_lshrrev_b32_e32 v9, 16, v8
	v_mov_b64_e32 v[20:21], 0
	v_mov_b64_e32 v[24:25], 0
	s_mov_b32 s16, exec_lo
	v_and_b32_e32 v0, 0xff, v9
	s_delay_alu instid0(VALU_DEP_1)
	v_cmpx_ne_u16_e32 0, v0
	s_cbranch_execz .LBB189_1712
; %bb.1705:                             ;   in Loop: Header=BB189_1075 Depth=1
	v_mov_b64_e32 v[24:25], 0x80000000
	s_mov_b32 s17, exec_lo
	v_cmpx_ne_u16_e32 0x80, v0
	s_cbranch_execz .LBB189_1711
; %bb.1706:                             ;   in Loop: Header=BB189_1075 Depth=1
	v_mov_b64_e32 v[24:25], 0x7f800001
	v_bfe_u32 v1, v8, 16, 7
	s_mov_b32 s18, exec_lo
	s_delay_alu instid0(VALU_DEP_1)
	v_cmpx_ne_u32_e32 0x7f, v1
	s_cbranch_execz .LBB189_1710
; %bb.1707:                             ;   in Loop: Header=BB189_1075 Depth=1
	v_and_b32_e32 v42, 7, v9
	v_lshrrev_b32_e32 v0, 3, v1
	s_mov_b32 s19, exec_lo
	v_cmpx_gt_u32_e32 8, v1
; %bb.1708:                             ;   in Loop: Header=BB189_1075 Depth=1
	s_delay_alu instid0(VALU_DEP_3) | instskip(NEXT) | instid1(VALU_DEP_1)
	v_clz_i32_u32_e32 v0, v42
	v_min_u32_e32 v0, 32, v0
	s_delay_alu instid0(VALU_DEP_1) | instskip(SKIP_1) | instid1(VALU_DEP_2)
	v_subrev_nc_u32_e32 v1, 28, v0
	v_sub_nc_u32_e32 v0, 29, v0
	v_lshlrev_b64_e32 v[24:25], v1, v[42:43]
	s_delay_alu instid0(VALU_DEP_1)
	v_and_b32_e32 v42, 7, v24
; %bb.1709:                             ;   in Loop: Header=BB189_1075 Depth=1
	s_or_b32 exec_lo, exec_lo, s19
	s_delay_alu instid0(VALU_DEP_1) | instskip(SKIP_1) | instid1(VALU_DEP_2)
	v_dual_lshlrev_b32 v1, 24, v9 :: v_dual_lshlrev_b32 v9, 20, v42
	v_lshl_add_u32 v0, v0, 23, 0x3c000000
	v_and_b32_e32 v1, 0x80000000, v1
	s_delay_alu instid0(VALU_DEP_1) | instskip(NEXT) | instid1(VALU_DEP_1)
	v_or3_b32 v42, v9, v1, v0
	v_mov_b64_e32 v[24:25], v[42:43]
.LBB189_1710:                           ;   in Loop: Header=BB189_1075 Depth=1
	s_or_b32 exec_lo, exec_lo, s18
.LBB189_1711:                           ;   in Loop: Header=BB189_1075 Depth=1
	s_delay_alu instid0(SALU_CYCLE_1)
	s_or_b32 exec_lo, exec_lo, s17
.LBB189_1712:                           ;   in Loop: Header=BB189_1075 Depth=1
	s_delay_alu instid0(SALU_CYCLE_1) | instskip(NEXT) | instid1(SALU_CYCLE_1)
	s_or_b32 exec_lo, exec_lo, s16
	s_mov_b32 s16, exec_lo
	v_cmpx_lt_u32_e32 0xffffff, v8
	s_cbranch_execz .LBB189_1720
; %bb.1713:                             ;   in Loop: Header=BB189_1075 Depth=1
	v_mov_b64_e32 v[20:21], 0x8000000000000000
	v_lshrrev_b32_e32 v0, 24, v8
	s_mov_b32 s17, exec_lo
	s_delay_alu instid0(VALU_DEP_1)
	v_cmpx_ne_u32_e32 0x80, v0
	s_cbranch_execz .LBB189_1719
; %bb.1714:                             ;   in Loop: Header=BB189_1075 Depth=1
	v_mov_b64_e32 v[20:21], 0x7f80000100000000
	v_bfe_u32 v8, v8, 24, 7
	s_mov_b32 s18, exec_lo
	s_delay_alu instid0(VALU_DEP_1)
	v_cmpx_ne_u32_e32 0x7f, v8
	s_cbranch_execz .LBB189_1718
; %bb.1715:                             ;   in Loop: Header=BB189_1075 Depth=1
	v_and_b32_e32 v42, 7, v0
	v_lshrrev_b32_e32 v1, 3, v8
	s_mov_b32 s19, exec_lo
	v_cmpx_gt_u32_e32 8, v8
; %bb.1716:                             ;   in Loop: Header=BB189_1075 Depth=1
	s_delay_alu instid0(VALU_DEP_3) | instskip(NEXT) | instid1(VALU_DEP_1)
	v_clz_i32_u32_e32 v1, v42
	v_min_u32_e32 v1, 32, v1
	s_delay_alu instid0(VALU_DEP_1) | instskip(NEXT) | instid1(VALU_DEP_1)
	v_subrev_nc_u32_e32 v8, 28, v1
	v_lshlrev_b64_e32 v[8:9], v8, v[42:43]
	s_delay_alu instid0(VALU_DEP_1)
	v_dual_sub_nc_u32 v1, 29, v1 :: v_dual_bitop2_b32 v42, 7, v8 bitop3:0x40
; %bb.1717:                             ;   in Loop: Header=BB189_1075 Depth=1
	s_or_b32 exec_lo, exec_lo, s19
	s_delay_alu instid0(VALU_DEP_1) | instskip(NEXT) | instid1(VALU_DEP_2)
	v_dual_lshlrev_b32 v0, 24, v0 :: v_dual_lshlrev_b32 v8, 20, v42
	v_lshl_add_u32 v1, v1, 23, 0x3c000000
	v_mov_b32_e32 v20, v43
	s_delay_alu instid0(VALU_DEP_3) | instskip(NEXT) | instid1(VALU_DEP_1)
	v_and_b32_e32 v0, 0x80000000, v0
	v_or3_b32 v21, v8, v0, v1
.LBB189_1718:                           ;   in Loop: Header=BB189_1075 Depth=1
	s_or_b32 exec_lo, exec_lo, s18
.LBB189_1719:                           ;   in Loop: Header=BB189_1075 Depth=1
	s_delay_alu instid0(SALU_CYCLE_1)
	s_or_b32 exec_lo, exec_lo, s17
.LBB189_1720:                           ;   in Loop: Header=BB189_1075 Depth=1
	s_delay_alu instid0(SALU_CYCLE_1) | instskip(SKIP_4) | instid1(VALU_DEP_3)
	s_or_b32 exec_lo, exec_lo, s16
	v_or_b32_e32 v1, v13, v15
	v_or_b32_e32 v0, v12, v14
	;; [unrolled: 1-line block ×4, first 2 shown]
	v_pk_mul_f32 v[70:71], v[86:87], v[0:1]
	s_delay_alu instid0(VALU_DEP_2)
	v_pk_mul_f32 v[26:27], v[86:87], v[8:9]
	s_and_saveexec_b32 s16, vcc_lo
	s_cbranch_execz .LBB189_1722
; %bb.1721:                             ;   in Loop: Header=BB189_1075 Depth=1
	v_cmp_lt_i32_e64 s0, v47, v100
	s_delay_alu instid0(VALU_DEP_1) | instskip(SKIP_1) | instid1(VALU_DEP_1)
	v_cndmask_b32_e64 v70, 0, v70, s0
	v_cmp_lt_i32_e64 s0, v56, v100
	v_cndmask_b32_e64 v71, 0, v71, s0
	v_cmp_lt_i32_e64 s0, v41, v100
	s_delay_alu instid0(VALU_DEP_1) | instskip(SKIP_1) | instid1(VALU_DEP_1)
	v_cndmask_b32_e64 v26, 0, v26, s0
	v_cmp_lt_i32_e64 s0, v40, v100
	v_cndmask_b32_e64 v27, 0, v27, s0
.LBB189_1722:                           ;   in Loop: Header=BB189_1075 Depth=1
	s_or_b32 exec_lo, exec_lo, s16
	flat_load_b32 v8, v[118:119] offset:2432
	v_mov_b64_e32 v[12:13], 0
	v_mov_b64_e32 v[14:15], 0
	s_mov_b32 s16, exec_lo
	s_wait_loadcnt_dscnt 0x0
	v_and_b32_e32 v0, 0xff, v8
	s_wait_xcnt 0x0
	s_delay_alu instid0(VALU_DEP_1)
	v_cmpx_ne_u16_e32 0, v0
	s_cbranch_execz .LBB189_1730
; %bb.1723:                             ;   in Loop: Header=BB189_1075 Depth=1
	v_mov_b64_e32 v[14:15], 0x80000000
	s_mov_b32 s17, exec_lo
	v_cmpx_ne_u16_e32 0x80, v0
	s_cbranch_execz .LBB189_1729
; %bb.1724:                             ;   in Loop: Header=BB189_1075 Depth=1
	v_mov_b64_e32 v[14:15], 0x7f800001
	v_and_b32_e32 v1, 0x7f, v8
	s_mov_b32 s18, exec_lo
	s_delay_alu instid0(VALU_DEP_1)
	v_cmpx_ne_u32_e32 0x7f, v1
	s_cbranch_execz .LBB189_1728
; %bb.1725:                             ;   in Loop: Header=BB189_1075 Depth=1
	v_dual_lshrrev_b32 v0, 3, v1 :: v_dual_bitop2_b32 v42, 7, v8 bitop3:0x40
	s_mov_b32 s19, exec_lo
	v_cmpx_gt_u32_e32 8, v1
; %bb.1726:                             ;   in Loop: Header=BB189_1075 Depth=1
	s_delay_alu instid0(VALU_DEP_2) | instskip(NEXT) | instid1(VALU_DEP_1)
	v_clz_i32_u32_e32 v0, v42
	v_min_u32_e32 v0, 32, v0
	s_delay_alu instid0(VALU_DEP_1) | instskip(NEXT) | instid1(VALU_DEP_1)
	v_subrev_nc_u32_e32 v1, 28, v0
	v_lshlrev_b64_e32 v[14:15], v1, v[42:43]
	s_delay_alu instid0(VALU_DEP_1)
	v_dual_sub_nc_u32 v0, 29, v0 :: v_dual_bitop2_b32 v42, 7, v14 bitop3:0x40
; %bb.1727:                             ;   in Loop: Header=BB189_1075 Depth=1
	s_or_b32 exec_lo, exec_lo, s19
	s_delay_alu instid0(VALU_DEP_1) | instskip(NEXT) | instid1(VALU_DEP_2)
	v_dual_lshlrev_b32 v1, 24, v8 :: v_dual_lshlrev_b32 v9, 20, v42
	v_lshl_add_u32 v0, v0, 23, 0x3c000000
	s_delay_alu instid0(VALU_DEP_2) | instskip(NEXT) | instid1(VALU_DEP_1)
	v_and_b32_e32 v1, 0x80000000, v1
	v_or3_b32 v42, v9, v1, v0
	s_delay_alu instid0(VALU_DEP_1)
	v_mov_b64_e32 v[14:15], v[42:43]
.LBB189_1728:                           ;   in Loop: Header=BB189_1075 Depth=1
	s_or_b32 exec_lo, exec_lo, s18
.LBB189_1729:                           ;   in Loop: Header=BB189_1075 Depth=1
	s_delay_alu instid0(SALU_CYCLE_1)
	s_or_b32 exec_lo, exec_lo, s17
.LBB189_1730:                           ;   in Loop: Header=BB189_1075 Depth=1
	s_delay_alu instid0(SALU_CYCLE_1) | instskip(SKIP_2) | instid1(VALU_DEP_1)
	s_or_b32 exec_lo, exec_lo, s16
	v_lshrrev_b16 v0, 8, v8
	s_mov_b32 s16, exec_lo
	v_cmpx_ne_u16_e32 0, v0
	s_cbranch_execz .LBB189_1738
; %bb.1731:                             ;   in Loop: Header=BB189_1075 Depth=1
	v_mov_b64_e32 v[12:13], 0x8000000000000000
	s_mov_b32 s17, exec_lo
	v_cmpx_ne_u16_e32 0x80, v0
	s_cbranch_execz .LBB189_1737
; %bb.1732:                             ;   in Loop: Header=BB189_1075 Depth=1
	v_and_b32_e32 v0, 0xffff, v0
	v_mov_b64_e32 v[12:13], 0x7f80000100000000
	s_mov_b32 s18, exec_lo
	s_delay_alu instid0(VALU_DEP_2) | instskip(NEXT) | instid1(VALU_DEP_1)
	v_and_b32_e32 v1, 0x7f, v0
	v_cmpx_ne_u32_e32 0x7f, v1
	s_cbranch_execz .LBB189_1736
; %bb.1733:                             ;   in Loop: Header=BB189_1075 Depth=1
	v_dual_lshrrev_b32 v0, 3, v1 :: v_dual_bitop2_b32 v42, 7, v0 bitop3:0x40
	s_mov_b32 s19, exec_lo
	v_cmpx_gt_u32_e32 8, v1
; %bb.1734:                             ;   in Loop: Header=BB189_1075 Depth=1
	s_delay_alu instid0(VALU_DEP_2) | instskip(NEXT) | instid1(VALU_DEP_1)
	v_clz_i32_u32_e32 v0, v42
	v_min_u32_e32 v0, 32, v0
	s_delay_alu instid0(VALU_DEP_1) | instskip(SKIP_1) | instid1(VALU_DEP_2)
	v_subrev_nc_u32_e32 v1, 28, v0
	v_sub_nc_u32_e32 v0, 29, v0
	v_lshlrev_b64_e32 v[12:13], v1, v[42:43]
	s_delay_alu instid0(VALU_DEP_1)
	v_and_b32_e32 v42, 7, v12
; %bb.1735:                             ;   in Loop: Header=BB189_1075 Depth=1
	s_or_b32 exec_lo, exec_lo, s19
	s_delay_alu instid0(VALU_DEP_1) | instskip(SKIP_2) | instid1(VALU_DEP_3)
	v_dual_lshlrev_b32 v1, 16, v8 :: v_dual_lshlrev_b32 v9, 20, v42
	v_lshl_add_u32 v0, v0, 23, 0x3c000000
	v_mov_b32_e32 v12, v43
	v_and_b32_e32 v1, 0x80000000, v1
	s_delay_alu instid0(VALU_DEP_1)
	v_or3_b32 v13, v9, v1, v0
.LBB189_1736:                           ;   in Loop: Header=BB189_1075 Depth=1
	s_or_b32 exec_lo, exec_lo, s18
.LBB189_1737:                           ;   in Loop: Header=BB189_1075 Depth=1
	s_delay_alu instid0(SALU_CYCLE_1)
	s_or_b32 exec_lo, exec_lo, s17
.LBB189_1738:                           ;   in Loop: Header=BB189_1075 Depth=1
	s_delay_alu instid0(SALU_CYCLE_1) | instskip(SKIP_4) | instid1(VALU_DEP_3)
	s_or_b32 exec_lo, exec_lo, s16
	v_lshrrev_b32_e32 v9, 16, v8
	v_mov_b64_e32 v[20:21], 0
	v_mov_b64_e32 v[24:25], 0
	s_mov_b32 s16, exec_lo
	v_and_b32_e32 v0, 0xff, v9
	s_delay_alu instid0(VALU_DEP_1)
	v_cmpx_ne_u16_e32 0, v0
	s_cbranch_execz .LBB189_1746
; %bb.1739:                             ;   in Loop: Header=BB189_1075 Depth=1
	v_mov_b64_e32 v[24:25], 0x80000000
	s_mov_b32 s17, exec_lo
	v_cmpx_ne_u16_e32 0x80, v0
	s_cbranch_execz .LBB189_1745
; %bb.1740:                             ;   in Loop: Header=BB189_1075 Depth=1
	v_mov_b64_e32 v[24:25], 0x7f800001
	v_bfe_u32 v1, v8, 16, 7
	s_mov_b32 s18, exec_lo
	s_delay_alu instid0(VALU_DEP_1)
	v_cmpx_ne_u32_e32 0x7f, v1
	s_cbranch_execz .LBB189_1744
; %bb.1741:                             ;   in Loop: Header=BB189_1075 Depth=1
	v_and_b32_e32 v42, 7, v9
	v_lshrrev_b32_e32 v0, 3, v1
	s_mov_b32 s19, exec_lo
	v_cmpx_gt_u32_e32 8, v1
; %bb.1742:                             ;   in Loop: Header=BB189_1075 Depth=1
	s_delay_alu instid0(VALU_DEP_3) | instskip(NEXT) | instid1(VALU_DEP_1)
	v_clz_i32_u32_e32 v0, v42
	v_min_u32_e32 v0, 32, v0
	s_delay_alu instid0(VALU_DEP_1) | instskip(SKIP_1) | instid1(VALU_DEP_2)
	v_subrev_nc_u32_e32 v1, 28, v0
	v_sub_nc_u32_e32 v0, 29, v0
	v_lshlrev_b64_e32 v[24:25], v1, v[42:43]
	s_delay_alu instid0(VALU_DEP_1)
	v_and_b32_e32 v42, 7, v24
; %bb.1743:                             ;   in Loop: Header=BB189_1075 Depth=1
	s_or_b32 exec_lo, exec_lo, s19
	s_delay_alu instid0(VALU_DEP_1) | instskip(SKIP_1) | instid1(VALU_DEP_2)
	v_dual_lshlrev_b32 v1, 24, v9 :: v_dual_lshlrev_b32 v9, 20, v42
	v_lshl_add_u32 v0, v0, 23, 0x3c000000
	v_and_b32_e32 v1, 0x80000000, v1
	s_delay_alu instid0(VALU_DEP_1) | instskip(NEXT) | instid1(VALU_DEP_1)
	v_or3_b32 v42, v9, v1, v0
	v_mov_b64_e32 v[24:25], v[42:43]
.LBB189_1744:                           ;   in Loop: Header=BB189_1075 Depth=1
	s_or_b32 exec_lo, exec_lo, s18
.LBB189_1745:                           ;   in Loop: Header=BB189_1075 Depth=1
	s_delay_alu instid0(SALU_CYCLE_1)
	s_or_b32 exec_lo, exec_lo, s17
.LBB189_1746:                           ;   in Loop: Header=BB189_1075 Depth=1
	s_delay_alu instid0(SALU_CYCLE_1) | instskip(NEXT) | instid1(SALU_CYCLE_1)
	s_or_b32 exec_lo, exec_lo, s16
	s_mov_b32 s16, exec_lo
	v_cmpx_lt_u32_e32 0xffffff, v8
	s_cbranch_execz .LBB189_1754
; %bb.1747:                             ;   in Loop: Header=BB189_1075 Depth=1
	v_mov_b64_e32 v[20:21], 0x8000000000000000
	v_lshrrev_b32_e32 v0, 24, v8
	s_mov_b32 s17, exec_lo
	s_delay_alu instid0(VALU_DEP_1)
	v_cmpx_ne_u32_e32 0x80, v0
	s_cbranch_execz .LBB189_1753
; %bb.1748:                             ;   in Loop: Header=BB189_1075 Depth=1
	v_mov_b64_e32 v[20:21], 0x7f80000100000000
	v_bfe_u32 v8, v8, 24, 7
	s_mov_b32 s18, exec_lo
	s_delay_alu instid0(VALU_DEP_1)
	v_cmpx_ne_u32_e32 0x7f, v8
	s_cbranch_execz .LBB189_1752
; %bb.1749:                             ;   in Loop: Header=BB189_1075 Depth=1
	v_and_b32_e32 v42, 7, v0
	v_lshrrev_b32_e32 v1, 3, v8
	s_mov_b32 s19, exec_lo
	v_cmpx_gt_u32_e32 8, v8
; %bb.1750:                             ;   in Loop: Header=BB189_1075 Depth=1
	s_delay_alu instid0(VALU_DEP_3) | instskip(NEXT) | instid1(VALU_DEP_1)
	v_clz_i32_u32_e32 v1, v42
	v_min_u32_e32 v1, 32, v1
	s_delay_alu instid0(VALU_DEP_1) | instskip(NEXT) | instid1(VALU_DEP_1)
	v_subrev_nc_u32_e32 v8, 28, v1
	v_lshlrev_b64_e32 v[8:9], v8, v[42:43]
	s_delay_alu instid0(VALU_DEP_1)
	v_dual_sub_nc_u32 v1, 29, v1 :: v_dual_bitop2_b32 v42, 7, v8 bitop3:0x40
; %bb.1751:                             ;   in Loop: Header=BB189_1075 Depth=1
	s_or_b32 exec_lo, exec_lo, s19
	s_delay_alu instid0(VALU_DEP_1) | instskip(NEXT) | instid1(VALU_DEP_2)
	v_dual_lshlrev_b32 v0, 24, v0 :: v_dual_lshlrev_b32 v8, 20, v42
	v_lshl_add_u32 v1, v1, 23, 0x3c000000
	v_mov_b32_e32 v20, v43
	s_delay_alu instid0(VALU_DEP_3) | instskip(NEXT) | instid1(VALU_DEP_1)
	v_and_b32_e32 v0, 0x80000000, v0
	v_or3_b32 v21, v8, v0, v1
.LBB189_1752:                           ;   in Loop: Header=BB189_1075 Depth=1
	s_or_b32 exec_lo, exec_lo, s18
.LBB189_1753:                           ;   in Loop: Header=BB189_1075 Depth=1
	s_delay_alu instid0(SALU_CYCLE_1)
	s_or_b32 exec_lo, exec_lo, s17
.LBB189_1754:                           ;   in Loop: Header=BB189_1075 Depth=1
	s_delay_alu instid0(SALU_CYCLE_1) | instskip(SKIP_4) | instid1(VALU_DEP_3)
	s_or_b32 exec_lo, exec_lo, s16
	v_or_b32_e32 v1, v13, v15
	v_or_b32_e32 v0, v12, v14
	;; [unrolled: 1-line block ×4, first 2 shown]
	v_pk_mul_f32 v[112:113], v[86:87], v[0:1]
	s_delay_alu instid0(VALU_DEP_2)
	v_pk_mul_f32 v[80:81], v[86:87], v[8:9]
	s_and_saveexec_b32 s16, vcc_lo
	s_cbranch_execz .LBB189_1756
; %bb.1755:                             ;   in Loop: Header=BB189_1075 Depth=1
	v_cmp_lt_i32_e64 s0, v47, v100
	s_delay_alu instid0(VALU_DEP_1) | instskip(SKIP_1) | instid1(VALU_DEP_1)
	v_cndmask_b32_e64 v112, 0, v112, s0
	v_cmp_lt_i32_e64 s0, v56, v100
	v_cndmask_b32_e64 v113, 0, v113, s0
	v_cmp_lt_i32_e64 s0, v41, v100
	s_delay_alu instid0(VALU_DEP_1) | instskip(SKIP_1) | instid1(VALU_DEP_1)
	v_cndmask_b32_e64 v80, 0, v80, s0
	v_cmp_lt_i32_e64 s0, v40, v100
	v_cndmask_b32_e64 v81, 0, v81, s0
.LBB189_1756:                           ;   in Loop: Header=BB189_1075 Depth=1
	s_or_b32 exec_lo, exec_lo, s16
	flat_load_b32 v8, v[118:119] offset:2560
	v_mov_b64_e32 v[12:13], 0
	v_mov_b64_e32 v[14:15], 0
	s_mov_b32 s16, exec_lo
	s_wait_loadcnt_dscnt 0x0
	v_and_b32_e32 v0, 0xff, v8
	s_wait_xcnt 0x0
	s_delay_alu instid0(VALU_DEP_1)
	v_cmpx_ne_u16_e32 0, v0
	s_cbranch_execz .LBB189_1764
; %bb.1757:                             ;   in Loop: Header=BB189_1075 Depth=1
	v_mov_b64_e32 v[14:15], 0x80000000
	s_mov_b32 s17, exec_lo
	v_cmpx_ne_u16_e32 0x80, v0
	s_cbranch_execz .LBB189_1763
; %bb.1758:                             ;   in Loop: Header=BB189_1075 Depth=1
	v_mov_b64_e32 v[14:15], 0x7f800001
	v_and_b32_e32 v1, 0x7f, v8
	s_mov_b32 s18, exec_lo
	s_delay_alu instid0(VALU_DEP_1)
	v_cmpx_ne_u32_e32 0x7f, v1
	s_cbranch_execz .LBB189_1762
; %bb.1759:                             ;   in Loop: Header=BB189_1075 Depth=1
	v_dual_lshrrev_b32 v0, 3, v1 :: v_dual_bitop2_b32 v42, 7, v8 bitop3:0x40
	s_mov_b32 s19, exec_lo
	v_cmpx_gt_u32_e32 8, v1
; %bb.1760:                             ;   in Loop: Header=BB189_1075 Depth=1
	s_delay_alu instid0(VALU_DEP_2) | instskip(NEXT) | instid1(VALU_DEP_1)
	v_clz_i32_u32_e32 v0, v42
	v_min_u32_e32 v0, 32, v0
	s_delay_alu instid0(VALU_DEP_1) | instskip(NEXT) | instid1(VALU_DEP_1)
	v_subrev_nc_u32_e32 v1, 28, v0
	v_lshlrev_b64_e32 v[14:15], v1, v[42:43]
	s_delay_alu instid0(VALU_DEP_1)
	v_dual_sub_nc_u32 v0, 29, v0 :: v_dual_bitop2_b32 v42, 7, v14 bitop3:0x40
; %bb.1761:                             ;   in Loop: Header=BB189_1075 Depth=1
	s_or_b32 exec_lo, exec_lo, s19
	s_delay_alu instid0(VALU_DEP_1) | instskip(NEXT) | instid1(VALU_DEP_2)
	v_dual_lshlrev_b32 v1, 24, v8 :: v_dual_lshlrev_b32 v9, 20, v42
	v_lshl_add_u32 v0, v0, 23, 0x3c000000
	s_delay_alu instid0(VALU_DEP_2) | instskip(NEXT) | instid1(VALU_DEP_1)
	v_and_b32_e32 v1, 0x80000000, v1
	v_or3_b32 v42, v9, v1, v0
	s_delay_alu instid0(VALU_DEP_1)
	v_mov_b64_e32 v[14:15], v[42:43]
.LBB189_1762:                           ;   in Loop: Header=BB189_1075 Depth=1
	s_or_b32 exec_lo, exec_lo, s18
.LBB189_1763:                           ;   in Loop: Header=BB189_1075 Depth=1
	s_delay_alu instid0(SALU_CYCLE_1)
	s_or_b32 exec_lo, exec_lo, s17
.LBB189_1764:                           ;   in Loop: Header=BB189_1075 Depth=1
	s_delay_alu instid0(SALU_CYCLE_1) | instskip(SKIP_2) | instid1(VALU_DEP_1)
	s_or_b32 exec_lo, exec_lo, s16
	v_lshrrev_b16 v0, 8, v8
	s_mov_b32 s16, exec_lo
	v_cmpx_ne_u16_e32 0, v0
	s_cbranch_execz .LBB189_1772
; %bb.1765:                             ;   in Loop: Header=BB189_1075 Depth=1
	v_mov_b64_e32 v[12:13], 0x8000000000000000
	s_mov_b32 s17, exec_lo
	v_cmpx_ne_u16_e32 0x80, v0
	s_cbranch_execz .LBB189_1771
; %bb.1766:                             ;   in Loop: Header=BB189_1075 Depth=1
	v_and_b32_e32 v0, 0xffff, v0
	v_mov_b64_e32 v[12:13], 0x7f80000100000000
	s_mov_b32 s18, exec_lo
	s_delay_alu instid0(VALU_DEP_2) | instskip(NEXT) | instid1(VALU_DEP_1)
	v_and_b32_e32 v1, 0x7f, v0
	v_cmpx_ne_u32_e32 0x7f, v1
	s_cbranch_execz .LBB189_1770
; %bb.1767:                             ;   in Loop: Header=BB189_1075 Depth=1
	v_dual_lshrrev_b32 v0, 3, v1 :: v_dual_bitop2_b32 v42, 7, v0 bitop3:0x40
	s_mov_b32 s19, exec_lo
	v_cmpx_gt_u32_e32 8, v1
; %bb.1768:                             ;   in Loop: Header=BB189_1075 Depth=1
	s_delay_alu instid0(VALU_DEP_2) | instskip(NEXT) | instid1(VALU_DEP_1)
	v_clz_i32_u32_e32 v0, v42
	v_min_u32_e32 v0, 32, v0
	s_delay_alu instid0(VALU_DEP_1) | instskip(SKIP_1) | instid1(VALU_DEP_2)
	v_subrev_nc_u32_e32 v1, 28, v0
	v_sub_nc_u32_e32 v0, 29, v0
	v_lshlrev_b64_e32 v[12:13], v1, v[42:43]
	s_delay_alu instid0(VALU_DEP_1)
	v_and_b32_e32 v42, 7, v12
; %bb.1769:                             ;   in Loop: Header=BB189_1075 Depth=1
	s_or_b32 exec_lo, exec_lo, s19
	s_delay_alu instid0(VALU_DEP_1) | instskip(SKIP_2) | instid1(VALU_DEP_3)
	v_dual_lshlrev_b32 v1, 16, v8 :: v_dual_lshlrev_b32 v9, 20, v42
	v_lshl_add_u32 v0, v0, 23, 0x3c000000
	v_mov_b32_e32 v12, v43
	v_and_b32_e32 v1, 0x80000000, v1
	s_delay_alu instid0(VALU_DEP_1)
	v_or3_b32 v13, v9, v1, v0
.LBB189_1770:                           ;   in Loop: Header=BB189_1075 Depth=1
	s_or_b32 exec_lo, exec_lo, s18
.LBB189_1771:                           ;   in Loop: Header=BB189_1075 Depth=1
	s_delay_alu instid0(SALU_CYCLE_1)
	s_or_b32 exec_lo, exec_lo, s17
.LBB189_1772:                           ;   in Loop: Header=BB189_1075 Depth=1
	s_delay_alu instid0(SALU_CYCLE_1) | instskip(SKIP_4) | instid1(VALU_DEP_3)
	s_or_b32 exec_lo, exec_lo, s16
	v_lshrrev_b32_e32 v9, 16, v8
	v_mov_b64_e32 v[20:21], 0
	v_mov_b64_e32 v[24:25], 0
	s_mov_b32 s16, exec_lo
	v_and_b32_e32 v0, 0xff, v9
	s_delay_alu instid0(VALU_DEP_1)
	v_cmpx_ne_u16_e32 0, v0
	s_cbranch_execz .LBB189_1780
; %bb.1773:                             ;   in Loop: Header=BB189_1075 Depth=1
	v_mov_b64_e32 v[24:25], 0x80000000
	s_mov_b32 s17, exec_lo
	v_cmpx_ne_u16_e32 0x80, v0
	s_cbranch_execz .LBB189_1779
; %bb.1774:                             ;   in Loop: Header=BB189_1075 Depth=1
	v_mov_b64_e32 v[24:25], 0x7f800001
	v_bfe_u32 v1, v8, 16, 7
	s_mov_b32 s18, exec_lo
	s_delay_alu instid0(VALU_DEP_1)
	v_cmpx_ne_u32_e32 0x7f, v1
	s_cbranch_execz .LBB189_1778
; %bb.1775:                             ;   in Loop: Header=BB189_1075 Depth=1
	v_and_b32_e32 v42, 7, v9
	v_lshrrev_b32_e32 v0, 3, v1
	s_mov_b32 s19, exec_lo
	v_cmpx_gt_u32_e32 8, v1
; %bb.1776:                             ;   in Loop: Header=BB189_1075 Depth=1
	s_delay_alu instid0(VALU_DEP_3) | instskip(NEXT) | instid1(VALU_DEP_1)
	v_clz_i32_u32_e32 v0, v42
	v_min_u32_e32 v0, 32, v0
	s_delay_alu instid0(VALU_DEP_1) | instskip(SKIP_1) | instid1(VALU_DEP_2)
	v_subrev_nc_u32_e32 v1, 28, v0
	v_sub_nc_u32_e32 v0, 29, v0
	v_lshlrev_b64_e32 v[24:25], v1, v[42:43]
	s_delay_alu instid0(VALU_DEP_1)
	v_and_b32_e32 v42, 7, v24
; %bb.1777:                             ;   in Loop: Header=BB189_1075 Depth=1
	s_or_b32 exec_lo, exec_lo, s19
	s_delay_alu instid0(VALU_DEP_1) | instskip(SKIP_1) | instid1(VALU_DEP_2)
	v_dual_lshlrev_b32 v1, 24, v9 :: v_dual_lshlrev_b32 v9, 20, v42
	v_lshl_add_u32 v0, v0, 23, 0x3c000000
	v_and_b32_e32 v1, 0x80000000, v1
	s_delay_alu instid0(VALU_DEP_1) | instskip(NEXT) | instid1(VALU_DEP_1)
	v_or3_b32 v42, v9, v1, v0
	v_mov_b64_e32 v[24:25], v[42:43]
.LBB189_1778:                           ;   in Loop: Header=BB189_1075 Depth=1
	s_or_b32 exec_lo, exec_lo, s18
.LBB189_1779:                           ;   in Loop: Header=BB189_1075 Depth=1
	s_delay_alu instid0(SALU_CYCLE_1)
	s_or_b32 exec_lo, exec_lo, s17
.LBB189_1780:                           ;   in Loop: Header=BB189_1075 Depth=1
	s_delay_alu instid0(SALU_CYCLE_1) | instskip(NEXT) | instid1(SALU_CYCLE_1)
	s_or_b32 exec_lo, exec_lo, s16
	s_mov_b32 s16, exec_lo
	v_cmpx_lt_u32_e32 0xffffff, v8
	s_cbranch_execz .LBB189_1788
; %bb.1781:                             ;   in Loop: Header=BB189_1075 Depth=1
	v_mov_b64_e32 v[20:21], 0x8000000000000000
	v_lshrrev_b32_e32 v0, 24, v8
	s_mov_b32 s17, exec_lo
	s_delay_alu instid0(VALU_DEP_1)
	v_cmpx_ne_u32_e32 0x80, v0
	s_cbranch_execz .LBB189_1787
; %bb.1782:                             ;   in Loop: Header=BB189_1075 Depth=1
	v_mov_b64_e32 v[20:21], 0x7f80000100000000
	v_bfe_u32 v8, v8, 24, 7
	s_mov_b32 s18, exec_lo
	s_delay_alu instid0(VALU_DEP_1)
	v_cmpx_ne_u32_e32 0x7f, v8
	s_cbranch_execz .LBB189_1786
; %bb.1783:                             ;   in Loop: Header=BB189_1075 Depth=1
	v_and_b32_e32 v42, 7, v0
	v_lshrrev_b32_e32 v1, 3, v8
	s_mov_b32 s19, exec_lo
	v_cmpx_gt_u32_e32 8, v8
; %bb.1784:                             ;   in Loop: Header=BB189_1075 Depth=1
	s_delay_alu instid0(VALU_DEP_3) | instskip(NEXT) | instid1(VALU_DEP_1)
	v_clz_i32_u32_e32 v1, v42
	v_min_u32_e32 v1, 32, v1
	s_delay_alu instid0(VALU_DEP_1) | instskip(NEXT) | instid1(VALU_DEP_1)
	v_subrev_nc_u32_e32 v8, 28, v1
	v_lshlrev_b64_e32 v[8:9], v8, v[42:43]
	s_delay_alu instid0(VALU_DEP_1)
	v_dual_sub_nc_u32 v1, 29, v1 :: v_dual_bitop2_b32 v42, 7, v8 bitop3:0x40
; %bb.1785:                             ;   in Loop: Header=BB189_1075 Depth=1
	s_or_b32 exec_lo, exec_lo, s19
	s_delay_alu instid0(VALU_DEP_1) | instskip(NEXT) | instid1(VALU_DEP_2)
	v_dual_lshlrev_b32 v0, 24, v0 :: v_dual_lshlrev_b32 v8, 20, v42
	v_lshl_add_u32 v1, v1, 23, 0x3c000000
	v_mov_b32_e32 v20, v43
	s_delay_alu instid0(VALU_DEP_3) | instskip(NEXT) | instid1(VALU_DEP_1)
	v_and_b32_e32 v0, 0x80000000, v0
	v_or3_b32 v21, v8, v0, v1
.LBB189_1786:                           ;   in Loop: Header=BB189_1075 Depth=1
	s_or_b32 exec_lo, exec_lo, s18
.LBB189_1787:                           ;   in Loop: Header=BB189_1075 Depth=1
	s_delay_alu instid0(SALU_CYCLE_1)
	s_or_b32 exec_lo, exec_lo, s17
.LBB189_1788:                           ;   in Loop: Header=BB189_1075 Depth=1
	s_delay_alu instid0(SALU_CYCLE_1) | instskip(SKIP_4) | instid1(VALU_DEP_3)
	s_or_b32 exec_lo, exec_lo, s16
	v_or_b32_e32 v1, v13, v15
	v_or_b32_e32 v0, v12, v14
	;; [unrolled: 1-line block ×4, first 2 shown]
	v_pk_mul_f32 v[14:15], v[86:87], v[0:1]
	s_delay_alu instid0(VALU_DEP_2)
	v_pk_mul_f32 v[12:13], v[86:87], v[8:9]
	s_and_saveexec_b32 s16, vcc_lo
	s_cbranch_execz .LBB189_1790
; %bb.1789:                             ;   in Loop: Header=BB189_1075 Depth=1
	v_cmp_lt_i32_e64 s0, v47, v100
	s_delay_alu instid0(VALU_DEP_1) | instskip(SKIP_1) | instid1(VALU_DEP_1)
	v_cndmask_b32_e64 v14, 0, v14, s0
	v_cmp_lt_i32_e64 s0, v56, v100
	v_cndmask_b32_e64 v15, 0, v15, s0
	v_cmp_lt_i32_e64 s0, v41, v100
	s_delay_alu instid0(VALU_DEP_1) | instskip(SKIP_1) | instid1(VALU_DEP_1)
	v_cndmask_b32_e64 v12, 0, v12, s0
	v_cmp_lt_i32_e64 s0, v40, v100
	v_cndmask_b32_e64 v13, 0, v13, s0
.LBB189_1790:                           ;   in Loop: Header=BB189_1075 Depth=1
	s_or_b32 exec_lo, exec_lo, s16
	flat_load_b32 v8, v[118:119] offset:2688
	v_mov_b64_e32 v[20:21], 0
	v_mov_b64_e32 v[24:25], 0
	s_mov_b32 s16, exec_lo
	s_wait_loadcnt_dscnt 0x0
	v_and_b32_e32 v0, 0xff, v8
	s_wait_xcnt 0x0
	s_delay_alu instid0(VALU_DEP_1)
	v_cmpx_ne_u16_e32 0, v0
	s_cbranch_execz .LBB189_1798
; %bb.1791:                             ;   in Loop: Header=BB189_1075 Depth=1
	v_mov_b64_e32 v[24:25], 0x80000000
	s_mov_b32 s17, exec_lo
	v_cmpx_ne_u16_e32 0x80, v0
	s_cbranch_execz .LBB189_1797
; %bb.1792:                             ;   in Loop: Header=BB189_1075 Depth=1
	v_mov_b64_e32 v[24:25], 0x7f800001
	v_and_b32_e32 v1, 0x7f, v8
	s_mov_b32 s18, exec_lo
	s_delay_alu instid0(VALU_DEP_1)
	v_cmpx_ne_u32_e32 0x7f, v1
	s_cbranch_execz .LBB189_1796
; %bb.1793:                             ;   in Loop: Header=BB189_1075 Depth=1
	v_dual_lshrrev_b32 v0, 3, v1 :: v_dual_bitop2_b32 v42, 7, v8 bitop3:0x40
	s_mov_b32 s19, exec_lo
	v_cmpx_gt_u32_e32 8, v1
; %bb.1794:                             ;   in Loop: Header=BB189_1075 Depth=1
	s_delay_alu instid0(VALU_DEP_2) | instskip(NEXT) | instid1(VALU_DEP_1)
	v_clz_i32_u32_e32 v0, v42
	v_min_u32_e32 v0, 32, v0
	s_delay_alu instid0(VALU_DEP_1) | instskip(SKIP_1) | instid1(VALU_DEP_2)
	v_subrev_nc_u32_e32 v1, 28, v0
	v_sub_nc_u32_e32 v0, 29, v0
	v_lshlrev_b64_e32 v[24:25], v1, v[42:43]
	s_delay_alu instid0(VALU_DEP_1)
	v_and_b32_e32 v42, 7, v24
; %bb.1795:                             ;   in Loop: Header=BB189_1075 Depth=1
	s_or_b32 exec_lo, exec_lo, s19
	s_delay_alu instid0(VALU_DEP_1) | instskip(SKIP_1) | instid1(VALU_DEP_2)
	v_dual_lshlrev_b32 v1, 24, v8 :: v_dual_lshlrev_b32 v9, 20, v42
	v_lshl_add_u32 v0, v0, 23, 0x3c000000
	v_and_b32_e32 v1, 0x80000000, v1
	s_delay_alu instid0(VALU_DEP_1) | instskip(NEXT) | instid1(VALU_DEP_1)
	v_or3_b32 v42, v9, v1, v0
	v_mov_b64_e32 v[24:25], v[42:43]
.LBB189_1796:                           ;   in Loop: Header=BB189_1075 Depth=1
	s_or_b32 exec_lo, exec_lo, s18
.LBB189_1797:                           ;   in Loop: Header=BB189_1075 Depth=1
	s_delay_alu instid0(SALU_CYCLE_1)
	s_or_b32 exec_lo, exec_lo, s17
.LBB189_1798:                           ;   in Loop: Header=BB189_1075 Depth=1
	s_delay_alu instid0(SALU_CYCLE_1) | instskip(SKIP_2) | instid1(VALU_DEP_1)
	s_or_b32 exec_lo, exec_lo, s16
	v_lshrrev_b16 v0, 8, v8
	s_mov_b32 s16, exec_lo
	v_cmpx_ne_u16_e32 0, v0
	s_cbranch_execz .LBB189_1806
; %bb.1799:                             ;   in Loop: Header=BB189_1075 Depth=1
	v_mov_b64_e32 v[20:21], 0x8000000000000000
	s_mov_b32 s17, exec_lo
	v_cmpx_ne_u16_e32 0x80, v0
	s_cbranch_execz .LBB189_1805
; %bb.1800:                             ;   in Loop: Header=BB189_1075 Depth=1
	v_and_b32_e32 v0, 0xffff, v0
	v_mov_b64_e32 v[20:21], 0x7f80000100000000
	s_mov_b32 s18, exec_lo
	s_delay_alu instid0(VALU_DEP_2) | instskip(NEXT) | instid1(VALU_DEP_1)
	v_and_b32_e32 v1, 0x7f, v0
	v_cmpx_ne_u32_e32 0x7f, v1
	s_cbranch_execz .LBB189_1804
; %bb.1801:                             ;   in Loop: Header=BB189_1075 Depth=1
	v_dual_lshrrev_b32 v0, 3, v1 :: v_dual_bitop2_b32 v42, 7, v0 bitop3:0x40
	s_mov_b32 s19, exec_lo
	v_cmpx_gt_u32_e32 8, v1
; %bb.1802:                             ;   in Loop: Header=BB189_1075 Depth=1
	s_delay_alu instid0(VALU_DEP_2) | instskip(NEXT) | instid1(VALU_DEP_1)
	v_clz_i32_u32_e32 v0, v42
	v_min_u32_e32 v0, 32, v0
	s_delay_alu instid0(VALU_DEP_1) | instskip(SKIP_1) | instid1(VALU_DEP_2)
	v_subrev_nc_u32_e32 v1, 28, v0
	v_sub_nc_u32_e32 v0, 29, v0
	v_lshlrev_b64_e32 v[20:21], v1, v[42:43]
	s_delay_alu instid0(VALU_DEP_1)
	v_and_b32_e32 v42, 7, v20
; %bb.1803:                             ;   in Loop: Header=BB189_1075 Depth=1
	s_or_b32 exec_lo, exec_lo, s19
	s_delay_alu instid0(VALU_DEP_1) | instskip(SKIP_2) | instid1(VALU_DEP_3)
	v_dual_lshlrev_b32 v1, 16, v8 :: v_dual_lshlrev_b32 v9, 20, v42
	v_lshl_add_u32 v0, v0, 23, 0x3c000000
	v_mov_b32_e32 v20, v43
	v_and_b32_e32 v1, 0x80000000, v1
	s_delay_alu instid0(VALU_DEP_1)
	v_or3_b32 v21, v9, v1, v0
.LBB189_1804:                           ;   in Loop: Header=BB189_1075 Depth=1
	s_or_b32 exec_lo, exec_lo, s18
.LBB189_1805:                           ;   in Loop: Header=BB189_1075 Depth=1
	s_delay_alu instid0(SALU_CYCLE_1)
	s_or_b32 exec_lo, exec_lo, s17
.LBB189_1806:                           ;   in Loop: Header=BB189_1075 Depth=1
	s_delay_alu instid0(SALU_CYCLE_1) | instskip(SKIP_4) | instid1(VALU_DEP_3)
	s_or_b32 exec_lo, exec_lo, s16
	v_lshrrev_b32_e32 v9, 16, v8
	v_mov_b64_e32 v[28:29], 0
	v_mov_b64_e32 v[30:31], 0
	s_mov_b32 s16, exec_lo
	v_and_b32_e32 v0, 0xff, v9
	s_delay_alu instid0(VALU_DEP_1)
	v_cmpx_ne_u16_e32 0, v0
	s_cbranch_execz .LBB189_1814
; %bb.1807:                             ;   in Loop: Header=BB189_1075 Depth=1
	v_mov_b64_e32 v[30:31], 0x80000000
	s_mov_b32 s17, exec_lo
	v_cmpx_ne_u16_e32 0x80, v0
	s_cbranch_execz .LBB189_1813
; %bb.1808:                             ;   in Loop: Header=BB189_1075 Depth=1
	v_mov_b64_e32 v[30:31], 0x7f800001
	v_bfe_u32 v1, v8, 16, 7
	s_mov_b32 s18, exec_lo
	s_delay_alu instid0(VALU_DEP_1)
	v_cmpx_ne_u32_e32 0x7f, v1
	s_cbranch_execz .LBB189_1812
; %bb.1809:                             ;   in Loop: Header=BB189_1075 Depth=1
	v_and_b32_e32 v42, 7, v9
	v_lshrrev_b32_e32 v0, 3, v1
	s_mov_b32 s19, exec_lo
	v_cmpx_gt_u32_e32 8, v1
; %bb.1810:                             ;   in Loop: Header=BB189_1075 Depth=1
	s_delay_alu instid0(VALU_DEP_3) | instskip(NEXT) | instid1(VALU_DEP_1)
	v_clz_i32_u32_e32 v0, v42
	v_min_u32_e32 v0, 32, v0
	s_delay_alu instid0(VALU_DEP_1) | instskip(NEXT) | instid1(VALU_DEP_1)
	v_subrev_nc_u32_e32 v1, 28, v0
	v_lshlrev_b64_e32 v[30:31], v1, v[42:43]
	s_delay_alu instid0(VALU_DEP_1)
	v_dual_sub_nc_u32 v0, 29, v0 :: v_dual_bitop2_b32 v42, 7, v30 bitop3:0x40
; %bb.1811:                             ;   in Loop: Header=BB189_1075 Depth=1
	s_or_b32 exec_lo, exec_lo, s19
	s_delay_alu instid0(VALU_DEP_1) | instskip(NEXT) | instid1(VALU_DEP_2)
	v_dual_lshlrev_b32 v1, 24, v9 :: v_dual_lshlrev_b32 v9, 20, v42
	v_lshl_add_u32 v0, v0, 23, 0x3c000000
	s_delay_alu instid0(VALU_DEP_2) | instskip(NEXT) | instid1(VALU_DEP_1)
	v_and_b32_e32 v1, 0x80000000, v1
	v_or3_b32 v42, v9, v1, v0
	s_delay_alu instid0(VALU_DEP_1)
	v_mov_b64_e32 v[30:31], v[42:43]
.LBB189_1812:                           ;   in Loop: Header=BB189_1075 Depth=1
	s_or_b32 exec_lo, exec_lo, s18
.LBB189_1813:                           ;   in Loop: Header=BB189_1075 Depth=1
	s_delay_alu instid0(SALU_CYCLE_1)
	s_or_b32 exec_lo, exec_lo, s17
.LBB189_1814:                           ;   in Loop: Header=BB189_1075 Depth=1
	s_delay_alu instid0(SALU_CYCLE_1) | instskip(NEXT) | instid1(SALU_CYCLE_1)
	s_or_b32 exec_lo, exec_lo, s16
	s_mov_b32 s16, exec_lo
	v_cmpx_lt_u32_e32 0xffffff, v8
	s_cbranch_execz .LBB189_1822
; %bb.1815:                             ;   in Loop: Header=BB189_1075 Depth=1
	v_mov_b64_e32 v[28:29], 0x8000000000000000
	v_lshrrev_b32_e32 v0, 24, v8
	s_mov_b32 s17, exec_lo
	s_delay_alu instid0(VALU_DEP_1)
	v_cmpx_ne_u32_e32 0x80, v0
	s_cbranch_execz .LBB189_1821
; %bb.1816:                             ;   in Loop: Header=BB189_1075 Depth=1
	v_mov_b64_e32 v[28:29], 0x7f80000100000000
	v_bfe_u32 v8, v8, 24, 7
	s_mov_b32 s18, exec_lo
	s_delay_alu instid0(VALU_DEP_1)
	v_cmpx_ne_u32_e32 0x7f, v8
	s_cbranch_execz .LBB189_1820
; %bb.1817:                             ;   in Loop: Header=BB189_1075 Depth=1
	v_and_b32_e32 v42, 7, v0
	v_lshrrev_b32_e32 v1, 3, v8
	s_mov_b32 s19, exec_lo
	v_cmpx_gt_u32_e32 8, v8
; %bb.1818:                             ;   in Loop: Header=BB189_1075 Depth=1
	s_delay_alu instid0(VALU_DEP_3) | instskip(NEXT) | instid1(VALU_DEP_1)
	v_clz_i32_u32_e32 v1, v42
	v_min_u32_e32 v1, 32, v1
	s_delay_alu instid0(VALU_DEP_1) | instskip(NEXT) | instid1(VALU_DEP_1)
	v_subrev_nc_u32_e32 v8, 28, v1
	v_lshlrev_b64_e32 v[8:9], v8, v[42:43]
	s_delay_alu instid0(VALU_DEP_1)
	v_dual_sub_nc_u32 v1, 29, v1 :: v_dual_bitop2_b32 v42, 7, v8 bitop3:0x40
; %bb.1819:                             ;   in Loop: Header=BB189_1075 Depth=1
	s_or_b32 exec_lo, exec_lo, s19
	s_delay_alu instid0(VALU_DEP_1) | instskip(NEXT) | instid1(VALU_DEP_2)
	v_dual_lshlrev_b32 v0, 24, v0 :: v_dual_lshlrev_b32 v8, 20, v42
	v_lshl_add_u32 v1, v1, 23, 0x3c000000
	v_mov_b32_e32 v28, v43
	s_delay_alu instid0(VALU_DEP_3) | instskip(NEXT) | instid1(VALU_DEP_1)
	v_and_b32_e32 v0, 0x80000000, v0
	v_or3_b32 v29, v8, v0, v1
.LBB189_1820:                           ;   in Loop: Header=BB189_1075 Depth=1
	s_or_b32 exec_lo, exec_lo, s18
.LBB189_1821:                           ;   in Loop: Header=BB189_1075 Depth=1
	s_delay_alu instid0(SALU_CYCLE_1)
	s_or_b32 exec_lo, exec_lo, s17
.LBB189_1822:                           ;   in Loop: Header=BB189_1075 Depth=1
	s_delay_alu instid0(SALU_CYCLE_1) | instskip(SKIP_4) | instid1(VALU_DEP_3)
	s_or_b32 exec_lo, exec_lo, s16
	v_or_b32_e32 v1, v21, v25
	v_or_b32_e32 v0, v20, v24
	;; [unrolled: 1-line block ×4, first 2 shown]
	v_pk_mul_f32 v[24:25], v[86:87], v[0:1]
	s_delay_alu instid0(VALU_DEP_2)
	v_pk_mul_f32 v[20:21], v[86:87], v[8:9]
	s_and_saveexec_b32 s16, vcc_lo
	s_cbranch_execz .LBB189_1824
; %bb.1823:                             ;   in Loop: Header=BB189_1075 Depth=1
	v_cmp_lt_i32_e64 s0, v47, v100
	s_delay_alu instid0(VALU_DEP_1) | instskip(SKIP_1) | instid1(VALU_DEP_1)
	v_cndmask_b32_e64 v24, 0, v24, s0
	v_cmp_lt_i32_e64 s0, v56, v100
	v_cndmask_b32_e64 v25, 0, v25, s0
	v_cmp_lt_i32_e64 s0, v41, v100
	s_delay_alu instid0(VALU_DEP_1) | instskip(SKIP_1) | instid1(VALU_DEP_1)
	v_cndmask_b32_e64 v20, 0, v20, s0
	v_cmp_lt_i32_e64 s0, v40, v100
	v_cndmask_b32_e64 v21, 0, v21, s0
.LBB189_1824:                           ;   in Loop: Header=BB189_1075 Depth=1
	s_or_b32 exec_lo, exec_lo, s16
	flat_load_b32 v8, v[118:119] offset:2816
	v_mov_b64_e32 v[28:29], 0
	v_mov_b64_e32 v[30:31], 0
	s_mov_b32 s16, exec_lo
	s_wait_loadcnt_dscnt 0x0
	v_and_b32_e32 v0, 0xff, v8
	s_wait_xcnt 0x0
	s_delay_alu instid0(VALU_DEP_1)
	v_cmpx_ne_u16_e32 0, v0
	s_cbranch_execz .LBB189_1832
; %bb.1825:                             ;   in Loop: Header=BB189_1075 Depth=1
	v_mov_b64_e32 v[30:31], 0x80000000
	s_mov_b32 s17, exec_lo
	v_cmpx_ne_u16_e32 0x80, v0
	s_cbranch_execz .LBB189_1831
; %bb.1826:                             ;   in Loop: Header=BB189_1075 Depth=1
	v_mov_b64_e32 v[30:31], 0x7f800001
	v_and_b32_e32 v1, 0x7f, v8
	s_mov_b32 s18, exec_lo
	s_delay_alu instid0(VALU_DEP_1)
	v_cmpx_ne_u32_e32 0x7f, v1
	s_cbranch_execz .LBB189_1830
; %bb.1827:                             ;   in Loop: Header=BB189_1075 Depth=1
	v_dual_lshrrev_b32 v0, 3, v1 :: v_dual_bitop2_b32 v42, 7, v8 bitop3:0x40
	s_mov_b32 s19, exec_lo
	v_cmpx_gt_u32_e32 8, v1
; %bb.1828:                             ;   in Loop: Header=BB189_1075 Depth=1
	s_delay_alu instid0(VALU_DEP_2) | instskip(NEXT) | instid1(VALU_DEP_1)
	v_clz_i32_u32_e32 v0, v42
	v_min_u32_e32 v0, 32, v0
	s_delay_alu instid0(VALU_DEP_1) | instskip(NEXT) | instid1(VALU_DEP_1)
	v_subrev_nc_u32_e32 v1, 28, v0
	v_lshlrev_b64_e32 v[30:31], v1, v[42:43]
	s_delay_alu instid0(VALU_DEP_1)
	v_dual_sub_nc_u32 v0, 29, v0 :: v_dual_bitop2_b32 v42, 7, v30 bitop3:0x40
; %bb.1829:                             ;   in Loop: Header=BB189_1075 Depth=1
	s_or_b32 exec_lo, exec_lo, s19
	s_delay_alu instid0(VALU_DEP_1) | instskip(NEXT) | instid1(VALU_DEP_2)
	v_dual_lshlrev_b32 v1, 24, v8 :: v_dual_lshlrev_b32 v9, 20, v42
	v_lshl_add_u32 v0, v0, 23, 0x3c000000
	s_delay_alu instid0(VALU_DEP_2) | instskip(NEXT) | instid1(VALU_DEP_1)
	v_and_b32_e32 v1, 0x80000000, v1
	v_or3_b32 v42, v9, v1, v0
	s_delay_alu instid0(VALU_DEP_1)
	v_mov_b64_e32 v[30:31], v[42:43]
.LBB189_1830:                           ;   in Loop: Header=BB189_1075 Depth=1
	s_or_b32 exec_lo, exec_lo, s18
.LBB189_1831:                           ;   in Loop: Header=BB189_1075 Depth=1
	s_delay_alu instid0(SALU_CYCLE_1)
	s_or_b32 exec_lo, exec_lo, s17
.LBB189_1832:                           ;   in Loop: Header=BB189_1075 Depth=1
	s_delay_alu instid0(SALU_CYCLE_1) | instskip(SKIP_2) | instid1(VALU_DEP_1)
	s_or_b32 exec_lo, exec_lo, s16
	v_lshrrev_b16 v0, 8, v8
	s_mov_b32 s16, exec_lo
	v_cmpx_ne_u16_e32 0, v0
	s_cbranch_execz .LBB189_1840
; %bb.1833:                             ;   in Loop: Header=BB189_1075 Depth=1
	v_mov_b64_e32 v[28:29], 0x8000000000000000
	s_mov_b32 s17, exec_lo
	v_cmpx_ne_u16_e32 0x80, v0
	s_cbranch_execz .LBB189_1839
; %bb.1834:                             ;   in Loop: Header=BB189_1075 Depth=1
	v_and_b32_e32 v0, 0xffff, v0
	v_mov_b64_e32 v[28:29], 0x7f80000100000000
	s_mov_b32 s18, exec_lo
	s_delay_alu instid0(VALU_DEP_2) | instskip(NEXT) | instid1(VALU_DEP_1)
	v_and_b32_e32 v1, 0x7f, v0
	v_cmpx_ne_u32_e32 0x7f, v1
	s_cbranch_execz .LBB189_1838
; %bb.1835:                             ;   in Loop: Header=BB189_1075 Depth=1
	v_dual_lshrrev_b32 v0, 3, v1 :: v_dual_bitop2_b32 v42, 7, v0 bitop3:0x40
	s_mov_b32 s19, exec_lo
	v_cmpx_gt_u32_e32 8, v1
; %bb.1836:                             ;   in Loop: Header=BB189_1075 Depth=1
	s_delay_alu instid0(VALU_DEP_2) | instskip(NEXT) | instid1(VALU_DEP_1)
	v_clz_i32_u32_e32 v0, v42
	v_min_u32_e32 v0, 32, v0
	s_delay_alu instid0(VALU_DEP_1) | instskip(SKIP_1) | instid1(VALU_DEP_2)
	v_subrev_nc_u32_e32 v1, 28, v0
	v_sub_nc_u32_e32 v0, 29, v0
	v_lshlrev_b64_e32 v[28:29], v1, v[42:43]
	s_delay_alu instid0(VALU_DEP_1)
	v_and_b32_e32 v42, 7, v28
; %bb.1837:                             ;   in Loop: Header=BB189_1075 Depth=1
	s_or_b32 exec_lo, exec_lo, s19
	s_delay_alu instid0(VALU_DEP_1) | instskip(SKIP_2) | instid1(VALU_DEP_3)
	v_dual_lshlrev_b32 v1, 16, v8 :: v_dual_lshlrev_b32 v9, 20, v42
	v_lshl_add_u32 v0, v0, 23, 0x3c000000
	v_mov_b32_e32 v28, v43
	v_and_b32_e32 v1, 0x80000000, v1
	s_delay_alu instid0(VALU_DEP_1)
	v_or3_b32 v29, v9, v1, v0
.LBB189_1838:                           ;   in Loop: Header=BB189_1075 Depth=1
	s_or_b32 exec_lo, exec_lo, s18
.LBB189_1839:                           ;   in Loop: Header=BB189_1075 Depth=1
	s_delay_alu instid0(SALU_CYCLE_1)
	s_or_b32 exec_lo, exec_lo, s17
.LBB189_1840:                           ;   in Loop: Header=BB189_1075 Depth=1
	s_delay_alu instid0(SALU_CYCLE_1) | instskip(SKIP_4) | instid1(VALU_DEP_3)
	s_or_b32 exec_lo, exec_lo, s16
	v_lshrrev_b32_e32 v9, 16, v8
	v_mov_b64_e32 v[32:33], 0
	v_mov_b64_e32 v[34:35], 0
	s_mov_b32 s16, exec_lo
	v_and_b32_e32 v0, 0xff, v9
	s_delay_alu instid0(VALU_DEP_1)
	v_cmpx_ne_u16_e32 0, v0
	s_cbranch_execz .LBB189_1848
; %bb.1841:                             ;   in Loop: Header=BB189_1075 Depth=1
	v_mov_b64_e32 v[34:35], 0x80000000
	s_mov_b32 s17, exec_lo
	v_cmpx_ne_u16_e32 0x80, v0
	s_cbranch_execz .LBB189_1847
; %bb.1842:                             ;   in Loop: Header=BB189_1075 Depth=1
	v_mov_b64_e32 v[34:35], 0x7f800001
	v_bfe_u32 v1, v8, 16, 7
	s_mov_b32 s18, exec_lo
	s_delay_alu instid0(VALU_DEP_1)
	v_cmpx_ne_u32_e32 0x7f, v1
	s_cbranch_execz .LBB189_1846
; %bb.1843:                             ;   in Loop: Header=BB189_1075 Depth=1
	v_and_b32_e32 v42, 7, v9
	v_lshrrev_b32_e32 v0, 3, v1
	s_mov_b32 s19, exec_lo
	v_cmpx_gt_u32_e32 8, v1
; %bb.1844:                             ;   in Loop: Header=BB189_1075 Depth=1
	s_delay_alu instid0(VALU_DEP_3) | instskip(NEXT) | instid1(VALU_DEP_1)
	v_clz_i32_u32_e32 v0, v42
	v_min_u32_e32 v0, 32, v0
	s_delay_alu instid0(VALU_DEP_1) | instskip(NEXT) | instid1(VALU_DEP_1)
	v_subrev_nc_u32_e32 v1, 28, v0
	v_lshlrev_b64_e32 v[34:35], v1, v[42:43]
	s_delay_alu instid0(VALU_DEP_1)
	v_dual_sub_nc_u32 v0, 29, v0 :: v_dual_bitop2_b32 v42, 7, v34 bitop3:0x40
; %bb.1845:                             ;   in Loop: Header=BB189_1075 Depth=1
	s_or_b32 exec_lo, exec_lo, s19
	s_delay_alu instid0(VALU_DEP_1) | instskip(NEXT) | instid1(VALU_DEP_2)
	v_dual_lshlrev_b32 v1, 24, v9 :: v_dual_lshlrev_b32 v9, 20, v42
	v_lshl_add_u32 v0, v0, 23, 0x3c000000
	s_delay_alu instid0(VALU_DEP_2) | instskip(NEXT) | instid1(VALU_DEP_1)
	v_and_b32_e32 v1, 0x80000000, v1
	v_or3_b32 v42, v9, v1, v0
	s_delay_alu instid0(VALU_DEP_1)
	v_mov_b64_e32 v[34:35], v[42:43]
.LBB189_1846:                           ;   in Loop: Header=BB189_1075 Depth=1
	s_or_b32 exec_lo, exec_lo, s18
.LBB189_1847:                           ;   in Loop: Header=BB189_1075 Depth=1
	s_delay_alu instid0(SALU_CYCLE_1)
	s_or_b32 exec_lo, exec_lo, s17
.LBB189_1848:                           ;   in Loop: Header=BB189_1075 Depth=1
	s_delay_alu instid0(SALU_CYCLE_1) | instskip(NEXT) | instid1(SALU_CYCLE_1)
	s_or_b32 exec_lo, exec_lo, s16
	s_mov_b32 s16, exec_lo
	v_cmpx_lt_u32_e32 0xffffff, v8
	s_cbranch_execz .LBB189_1856
; %bb.1849:                             ;   in Loop: Header=BB189_1075 Depth=1
	v_mov_b64_e32 v[32:33], 0x8000000000000000
	v_lshrrev_b32_e32 v0, 24, v8
	s_mov_b32 s17, exec_lo
	s_delay_alu instid0(VALU_DEP_1)
	v_cmpx_ne_u32_e32 0x80, v0
	s_cbranch_execz .LBB189_1855
; %bb.1850:                             ;   in Loop: Header=BB189_1075 Depth=1
	v_mov_b64_e32 v[32:33], 0x7f80000100000000
	v_bfe_u32 v8, v8, 24, 7
	s_mov_b32 s18, exec_lo
	s_delay_alu instid0(VALU_DEP_1)
	v_cmpx_ne_u32_e32 0x7f, v8
	s_cbranch_execz .LBB189_1854
; %bb.1851:                             ;   in Loop: Header=BB189_1075 Depth=1
	v_and_b32_e32 v42, 7, v0
	v_lshrrev_b32_e32 v1, 3, v8
	s_mov_b32 s19, exec_lo
	v_cmpx_gt_u32_e32 8, v8
; %bb.1852:                             ;   in Loop: Header=BB189_1075 Depth=1
	s_delay_alu instid0(VALU_DEP_3) | instskip(NEXT) | instid1(VALU_DEP_1)
	v_clz_i32_u32_e32 v1, v42
	v_min_u32_e32 v1, 32, v1
	s_delay_alu instid0(VALU_DEP_1) | instskip(NEXT) | instid1(VALU_DEP_1)
	v_subrev_nc_u32_e32 v8, 28, v1
	v_lshlrev_b64_e32 v[8:9], v8, v[42:43]
	s_delay_alu instid0(VALU_DEP_1)
	v_dual_sub_nc_u32 v1, 29, v1 :: v_dual_bitop2_b32 v42, 7, v8 bitop3:0x40
; %bb.1853:                             ;   in Loop: Header=BB189_1075 Depth=1
	s_or_b32 exec_lo, exec_lo, s19
	s_delay_alu instid0(VALU_DEP_1) | instskip(NEXT) | instid1(VALU_DEP_2)
	v_dual_lshlrev_b32 v0, 24, v0 :: v_dual_lshlrev_b32 v8, 20, v42
	v_lshl_add_u32 v1, v1, 23, 0x3c000000
	v_mov_b32_e32 v32, v43
	s_delay_alu instid0(VALU_DEP_3) | instskip(NEXT) | instid1(VALU_DEP_1)
	v_and_b32_e32 v0, 0x80000000, v0
	v_or3_b32 v33, v8, v0, v1
.LBB189_1854:                           ;   in Loop: Header=BB189_1075 Depth=1
	s_or_b32 exec_lo, exec_lo, s18
.LBB189_1855:                           ;   in Loop: Header=BB189_1075 Depth=1
	s_delay_alu instid0(SALU_CYCLE_1)
	s_or_b32 exec_lo, exec_lo, s17
.LBB189_1856:                           ;   in Loop: Header=BB189_1075 Depth=1
	s_delay_alu instid0(SALU_CYCLE_1) | instskip(SKIP_4) | instid1(VALU_DEP_3)
	s_or_b32 exec_lo, exec_lo, s16
	v_or_b32_e32 v1, v29, v31
	v_or_b32_e32 v0, v28, v30
	;; [unrolled: 1-line block ×4, first 2 shown]
	v_pk_mul_f32 v[30:31], v[86:87], v[0:1]
	s_delay_alu instid0(VALU_DEP_2)
	v_pk_mul_f32 v[28:29], v[86:87], v[8:9]
	s_and_saveexec_b32 s16, vcc_lo
	s_cbranch_execz .LBB189_1858
; %bb.1857:                             ;   in Loop: Header=BB189_1075 Depth=1
	v_cmp_lt_i32_e64 s0, v47, v100
	s_delay_alu instid0(VALU_DEP_1) | instskip(SKIP_1) | instid1(VALU_DEP_1)
	v_cndmask_b32_e64 v30, 0, v30, s0
	v_cmp_lt_i32_e64 s0, v56, v100
	v_cndmask_b32_e64 v31, 0, v31, s0
	v_cmp_lt_i32_e64 s0, v41, v100
	s_delay_alu instid0(VALU_DEP_1) | instskip(SKIP_1) | instid1(VALU_DEP_1)
	v_cndmask_b32_e64 v28, 0, v28, s0
	v_cmp_lt_i32_e64 s0, v40, v100
	v_cndmask_b32_e64 v29, 0, v29, s0
.LBB189_1858:                           ;   in Loop: Header=BB189_1075 Depth=1
	s_or_b32 exec_lo, exec_lo, s16
	flat_load_b32 v8, v[118:119] offset:2944
	v_mov_b64_e32 v[32:33], 0
	v_mov_b64_e32 v[34:35], 0
	s_mov_b32 s16, exec_lo
	s_wait_loadcnt_dscnt 0x0
	v_and_b32_e32 v0, 0xff, v8
	s_wait_xcnt 0x0
	s_delay_alu instid0(VALU_DEP_1)
	v_cmpx_ne_u16_e32 0, v0
	s_cbranch_execz .LBB189_1866
; %bb.1859:                             ;   in Loop: Header=BB189_1075 Depth=1
	v_mov_b64_e32 v[34:35], 0x80000000
	s_mov_b32 s17, exec_lo
	v_cmpx_ne_u16_e32 0x80, v0
	s_cbranch_execz .LBB189_1865
; %bb.1860:                             ;   in Loop: Header=BB189_1075 Depth=1
	v_mov_b64_e32 v[34:35], 0x7f800001
	v_and_b32_e32 v1, 0x7f, v8
	s_mov_b32 s18, exec_lo
	s_delay_alu instid0(VALU_DEP_1)
	v_cmpx_ne_u32_e32 0x7f, v1
	s_cbranch_execz .LBB189_1864
; %bb.1861:                             ;   in Loop: Header=BB189_1075 Depth=1
	v_dual_lshrrev_b32 v0, 3, v1 :: v_dual_bitop2_b32 v42, 7, v8 bitop3:0x40
	s_mov_b32 s19, exec_lo
	v_cmpx_gt_u32_e32 8, v1
; %bb.1862:                             ;   in Loop: Header=BB189_1075 Depth=1
	s_delay_alu instid0(VALU_DEP_2) | instskip(NEXT) | instid1(VALU_DEP_1)
	v_clz_i32_u32_e32 v0, v42
	v_min_u32_e32 v0, 32, v0
	s_delay_alu instid0(VALU_DEP_1) | instskip(NEXT) | instid1(VALU_DEP_1)
	v_subrev_nc_u32_e32 v1, 28, v0
	v_lshlrev_b64_e32 v[34:35], v1, v[42:43]
	s_delay_alu instid0(VALU_DEP_1)
	v_dual_sub_nc_u32 v0, 29, v0 :: v_dual_bitop2_b32 v42, 7, v34 bitop3:0x40
; %bb.1863:                             ;   in Loop: Header=BB189_1075 Depth=1
	s_or_b32 exec_lo, exec_lo, s19
	s_delay_alu instid0(VALU_DEP_1) | instskip(NEXT) | instid1(VALU_DEP_2)
	v_dual_lshlrev_b32 v1, 24, v8 :: v_dual_lshlrev_b32 v9, 20, v42
	v_lshl_add_u32 v0, v0, 23, 0x3c000000
	s_delay_alu instid0(VALU_DEP_2) | instskip(NEXT) | instid1(VALU_DEP_1)
	v_and_b32_e32 v1, 0x80000000, v1
	v_or3_b32 v42, v9, v1, v0
	s_delay_alu instid0(VALU_DEP_1)
	v_mov_b64_e32 v[34:35], v[42:43]
.LBB189_1864:                           ;   in Loop: Header=BB189_1075 Depth=1
	s_or_b32 exec_lo, exec_lo, s18
.LBB189_1865:                           ;   in Loop: Header=BB189_1075 Depth=1
	s_delay_alu instid0(SALU_CYCLE_1)
	s_or_b32 exec_lo, exec_lo, s17
.LBB189_1866:                           ;   in Loop: Header=BB189_1075 Depth=1
	s_delay_alu instid0(SALU_CYCLE_1) | instskip(SKIP_2) | instid1(VALU_DEP_1)
	s_or_b32 exec_lo, exec_lo, s16
	v_lshrrev_b16 v0, 8, v8
	s_mov_b32 s16, exec_lo
	v_cmpx_ne_u16_e32 0, v0
	s_cbranch_execz .LBB189_1874
; %bb.1867:                             ;   in Loop: Header=BB189_1075 Depth=1
	v_mov_b64_e32 v[32:33], 0x8000000000000000
	s_mov_b32 s17, exec_lo
	v_cmpx_ne_u16_e32 0x80, v0
	s_cbranch_execz .LBB189_1873
; %bb.1868:                             ;   in Loop: Header=BB189_1075 Depth=1
	v_and_b32_e32 v0, 0xffff, v0
	v_mov_b64_e32 v[32:33], 0x7f80000100000000
	s_mov_b32 s18, exec_lo
	s_delay_alu instid0(VALU_DEP_2) | instskip(NEXT) | instid1(VALU_DEP_1)
	v_and_b32_e32 v1, 0x7f, v0
	v_cmpx_ne_u32_e32 0x7f, v1
	s_cbranch_execz .LBB189_1872
; %bb.1869:                             ;   in Loop: Header=BB189_1075 Depth=1
	v_dual_lshrrev_b32 v0, 3, v1 :: v_dual_bitop2_b32 v42, 7, v0 bitop3:0x40
	s_mov_b32 s19, exec_lo
	v_cmpx_gt_u32_e32 8, v1
; %bb.1870:                             ;   in Loop: Header=BB189_1075 Depth=1
	s_delay_alu instid0(VALU_DEP_2) | instskip(NEXT) | instid1(VALU_DEP_1)
	v_clz_i32_u32_e32 v0, v42
	v_min_u32_e32 v0, 32, v0
	s_delay_alu instid0(VALU_DEP_1) | instskip(SKIP_1) | instid1(VALU_DEP_2)
	v_subrev_nc_u32_e32 v1, 28, v0
	v_sub_nc_u32_e32 v0, 29, v0
	v_lshlrev_b64_e32 v[32:33], v1, v[42:43]
	s_delay_alu instid0(VALU_DEP_1)
	v_and_b32_e32 v42, 7, v32
; %bb.1871:                             ;   in Loop: Header=BB189_1075 Depth=1
	s_or_b32 exec_lo, exec_lo, s19
	s_delay_alu instid0(VALU_DEP_1) | instskip(SKIP_2) | instid1(VALU_DEP_3)
	v_dual_lshlrev_b32 v1, 16, v8 :: v_dual_lshlrev_b32 v9, 20, v42
	v_lshl_add_u32 v0, v0, 23, 0x3c000000
	v_mov_b32_e32 v32, v43
	v_and_b32_e32 v1, 0x80000000, v1
	s_delay_alu instid0(VALU_DEP_1)
	v_or3_b32 v33, v9, v1, v0
.LBB189_1872:                           ;   in Loop: Header=BB189_1075 Depth=1
	s_or_b32 exec_lo, exec_lo, s18
.LBB189_1873:                           ;   in Loop: Header=BB189_1075 Depth=1
	s_delay_alu instid0(SALU_CYCLE_1)
	s_or_b32 exec_lo, exec_lo, s17
.LBB189_1874:                           ;   in Loop: Header=BB189_1075 Depth=1
	s_delay_alu instid0(SALU_CYCLE_1) | instskip(SKIP_4) | instid1(VALU_DEP_3)
	s_or_b32 exec_lo, exec_lo, s16
	v_lshrrev_b32_e32 v9, 16, v8
	v_mov_b64_e32 v[36:37], 0
	v_mov_b64_e32 v[38:39], 0
	s_mov_b32 s16, exec_lo
	v_and_b32_e32 v0, 0xff, v9
	s_delay_alu instid0(VALU_DEP_1)
	v_cmpx_ne_u16_e32 0, v0
	s_cbranch_execz .LBB189_1882
; %bb.1875:                             ;   in Loop: Header=BB189_1075 Depth=1
	v_mov_b64_e32 v[38:39], 0x80000000
	s_mov_b32 s17, exec_lo
	v_cmpx_ne_u16_e32 0x80, v0
	s_cbranch_execz .LBB189_1881
; %bb.1876:                             ;   in Loop: Header=BB189_1075 Depth=1
	v_mov_b64_e32 v[38:39], 0x7f800001
	v_bfe_u32 v1, v8, 16, 7
	s_mov_b32 s18, exec_lo
	s_delay_alu instid0(VALU_DEP_1)
	v_cmpx_ne_u32_e32 0x7f, v1
	s_cbranch_execz .LBB189_1880
; %bb.1877:                             ;   in Loop: Header=BB189_1075 Depth=1
	v_and_b32_e32 v42, 7, v9
	v_lshrrev_b32_e32 v0, 3, v1
	s_mov_b32 s19, exec_lo
	v_cmpx_gt_u32_e32 8, v1
; %bb.1878:                             ;   in Loop: Header=BB189_1075 Depth=1
	s_delay_alu instid0(VALU_DEP_3) | instskip(NEXT) | instid1(VALU_DEP_1)
	v_clz_i32_u32_e32 v0, v42
	v_min_u32_e32 v0, 32, v0
	s_delay_alu instid0(VALU_DEP_1) | instskip(NEXT) | instid1(VALU_DEP_1)
	v_subrev_nc_u32_e32 v1, 28, v0
	v_lshlrev_b64_e32 v[38:39], v1, v[42:43]
	s_delay_alu instid0(VALU_DEP_1)
	v_dual_sub_nc_u32 v0, 29, v0 :: v_dual_bitop2_b32 v42, 7, v38 bitop3:0x40
; %bb.1879:                             ;   in Loop: Header=BB189_1075 Depth=1
	s_or_b32 exec_lo, exec_lo, s19
	s_delay_alu instid0(VALU_DEP_1) | instskip(NEXT) | instid1(VALU_DEP_2)
	v_dual_lshlrev_b32 v1, 24, v9 :: v_dual_lshlrev_b32 v9, 20, v42
	v_lshl_add_u32 v0, v0, 23, 0x3c000000
	s_delay_alu instid0(VALU_DEP_2) | instskip(NEXT) | instid1(VALU_DEP_1)
	v_and_b32_e32 v1, 0x80000000, v1
	v_or3_b32 v42, v9, v1, v0
	s_delay_alu instid0(VALU_DEP_1)
	v_mov_b64_e32 v[38:39], v[42:43]
.LBB189_1880:                           ;   in Loop: Header=BB189_1075 Depth=1
	s_or_b32 exec_lo, exec_lo, s18
.LBB189_1881:                           ;   in Loop: Header=BB189_1075 Depth=1
	s_delay_alu instid0(SALU_CYCLE_1)
	s_or_b32 exec_lo, exec_lo, s17
.LBB189_1882:                           ;   in Loop: Header=BB189_1075 Depth=1
	s_delay_alu instid0(SALU_CYCLE_1) | instskip(NEXT) | instid1(SALU_CYCLE_1)
	s_or_b32 exec_lo, exec_lo, s16
	s_mov_b32 s16, exec_lo
	v_cmpx_lt_u32_e32 0xffffff, v8
	s_cbranch_execz .LBB189_1890
; %bb.1883:                             ;   in Loop: Header=BB189_1075 Depth=1
	v_mov_b64_e32 v[36:37], 0x8000000000000000
	v_lshrrev_b32_e32 v0, 24, v8
	s_mov_b32 s17, exec_lo
	s_delay_alu instid0(VALU_DEP_1)
	v_cmpx_ne_u32_e32 0x80, v0
	s_cbranch_execz .LBB189_1889
; %bb.1884:                             ;   in Loop: Header=BB189_1075 Depth=1
	v_mov_b64_e32 v[36:37], 0x7f80000100000000
	v_bfe_u32 v8, v8, 24, 7
	s_mov_b32 s18, exec_lo
	s_delay_alu instid0(VALU_DEP_1)
	v_cmpx_ne_u32_e32 0x7f, v8
	s_cbranch_execz .LBB189_1888
; %bb.1885:                             ;   in Loop: Header=BB189_1075 Depth=1
	v_and_b32_e32 v42, 7, v0
	v_lshrrev_b32_e32 v1, 3, v8
	s_mov_b32 s19, exec_lo
	v_cmpx_gt_u32_e32 8, v8
; %bb.1886:                             ;   in Loop: Header=BB189_1075 Depth=1
	s_delay_alu instid0(VALU_DEP_3) | instskip(NEXT) | instid1(VALU_DEP_1)
	v_clz_i32_u32_e32 v1, v42
	v_min_u32_e32 v1, 32, v1
	s_delay_alu instid0(VALU_DEP_1) | instskip(NEXT) | instid1(VALU_DEP_1)
	v_subrev_nc_u32_e32 v8, 28, v1
	v_lshlrev_b64_e32 v[8:9], v8, v[42:43]
	s_delay_alu instid0(VALU_DEP_1)
	v_dual_sub_nc_u32 v1, 29, v1 :: v_dual_bitop2_b32 v42, 7, v8 bitop3:0x40
; %bb.1887:                             ;   in Loop: Header=BB189_1075 Depth=1
	s_or_b32 exec_lo, exec_lo, s19
	s_delay_alu instid0(VALU_DEP_1) | instskip(NEXT) | instid1(VALU_DEP_2)
	v_dual_lshlrev_b32 v0, 24, v0 :: v_dual_lshlrev_b32 v8, 20, v42
	v_lshl_add_u32 v1, v1, 23, 0x3c000000
	v_mov_b32_e32 v36, v43
	s_delay_alu instid0(VALU_DEP_3) | instskip(NEXT) | instid1(VALU_DEP_1)
	v_and_b32_e32 v0, 0x80000000, v0
	v_or3_b32 v37, v8, v0, v1
.LBB189_1888:                           ;   in Loop: Header=BB189_1075 Depth=1
	s_or_b32 exec_lo, exec_lo, s18
.LBB189_1889:                           ;   in Loop: Header=BB189_1075 Depth=1
	s_delay_alu instid0(SALU_CYCLE_1)
	s_or_b32 exec_lo, exec_lo, s17
.LBB189_1890:                           ;   in Loop: Header=BB189_1075 Depth=1
	s_delay_alu instid0(SALU_CYCLE_1) | instskip(SKIP_4) | instid1(VALU_DEP_3)
	s_or_b32 exec_lo, exec_lo, s16
	v_or_b32_e32 v1, v33, v35
	v_or_b32_e32 v0, v32, v34
	;; [unrolled: 1-line block ×4, first 2 shown]
	v_pk_mul_f32 v[34:35], v[86:87], v[0:1]
	s_delay_alu instid0(VALU_DEP_2)
	v_pk_mul_f32 v[32:33], v[86:87], v[8:9]
	s_and_saveexec_b32 s16, vcc_lo
	s_cbranch_execz .LBB189_1892
; %bb.1891:                             ;   in Loop: Header=BB189_1075 Depth=1
	v_cmp_lt_i32_e64 s0, v47, v100
	s_delay_alu instid0(VALU_DEP_1) | instskip(SKIP_1) | instid1(VALU_DEP_1)
	v_cndmask_b32_e64 v34, 0, v34, s0
	v_cmp_lt_i32_e64 s0, v56, v100
	v_cndmask_b32_e64 v35, 0, v35, s0
	v_cmp_lt_i32_e64 s0, v41, v100
	s_delay_alu instid0(VALU_DEP_1) | instskip(SKIP_1) | instid1(VALU_DEP_1)
	v_cndmask_b32_e64 v32, 0, v32, s0
	v_cmp_lt_i32_e64 s0, v40, v100
	v_cndmask_b32_e64 v33, 0, v33, s0
.LBB189_1892:                           ;   in Loop: Header=BB189_1075 Depth=1
	s_or_b32 exec_lo, exec_lo, s16
	flat_load_b32 v8, v[118:119] offset:3072
	v_mov_b64_e32 v[36:37], 0
	v_mov_b64_e32 v[38:39], 0
	s_mov_b32 s16, exec_lo
	s_wait_loadcnt_dscnt 0x0
	v_and_b32_e32 v0, 0xff, v8
	s_wait_xcnt 0x0
	s_delay_alu instid0(VALU_DEP_1)
	v_cmpx_ne_u16_e32 0, v0
	s_cbranch_execz .LBB189_1900
; %bb.1893:                             ;   in Loop: Header=BB189_1075 Depth=1
	v_mov_b64_e32 v[38:39], 0x80000000
	s_mov_b32 s17, exec_lo
	v_cmpx_ne_u16_e32 0x80, v0
	s_cbranch_execz .LBB189_1899
; %bb.1894:                             ;   in Loop: Header=BB189_1075 Depth=1
	v_mov_b64_e32 v[38:39], 0x7f800001
	v_and_b32_e32 v1, 0x7f, v8
	s_mov_b32 s18, exec_lo
	s_delay_alu instid0(VALU_DEP_1)
	v_cmpx_ne_u32_e32 0x7f, v1
	s_cbranch_execz .LBB189_1898
; %bb.1895:                             ;   in Loop: Header=BB189_1075 Depth=1
	v_dual_lshrrev_b32 v0, 3, v1 :: v_dual_bitop2_b32 v42, 7, v8 bitop3:0x40
	s_mov_b32 s19, exec_lo
	v_cmpx_gt_u32_e32 8, v1
; %bb.1896:                             ;   in Loop: Header=BB189_1075 Depth=1
	s_delay_alu instid0(VALU_DEP_2) | instskip(NEXT) | instid1(VALU_DEP_1)
	v_clz_i32_u32_e32 v0, v42
	v_min_u32_e32 v0, 32, v0
	s_delay_alu instid0(VALU_DEP_1) | instskip(NEXT) | instid1(VALU_DEP_1)
	v_subrev_nc_u32_e32 v1, 28, v0
	v_lshlrev_b64_e32 v[38:39], v1, v[42:43]
	s_delay_alu instid0(VALU_DEP_1)
	v_dual_sub_nc_u32 v0, 29, v0 :: v_dual_bitop2_b32 v42, 7, v38 bitop3:0x40
; %bb.1897:                             ;   in Loop: Header=BB189_1075 Depth=1
	s_or_b32 exec_lo, exec_lo, s19
	s_delay_alu instid0(VALU_DEP_1) | instskip(NEXT) | instid1(VALU_DEP_2)
	v_dual_lshlrev_b32 v1, 24, v8 :: v_dual_lshlrev_b32 v9, 20, v42
	v_lshl_add_u32 v0, v0, 23, 0x3c000000
	s_delay_alu instid0(VALU_DEP_2) | instskip(NEXT) | instid1(VALU_DEP_1)
	v_and_b32_e32 v1, 0x80000000, v1
	v_or3_b32 v42, v9, v1, v0
	s_delay_alu instid0(VALU_DEP_1)
	v_mov_b64_e32 v[38:39], v[42:43]
.LBB189_1898:                           ;   in Loop: Header=BB189_1075 Depth=1
	s_or_b32 exec_lo, exec_lo, s18
.LBB189_1899:                           ;   in Loop: Header=BB189_1075 Depth=1
	s_delay_alu instid0(SALU_CYCLE_1)
	s_or_b32 exec_lo, exec_lo, s17
.LBB189_1900:                           ;   in Loop: Header=BB189_1075 Depth=1
	s_delay_alu instid0(SALU_CYCLE_1) | instskip(SKIP_2) | instid1(VALU_DEP_1)
	s_or_b32 exec_lo, exec_lo, s16
	v_lshrrev_b16 v0, 8, v8
	s_mov_b32 s16, exec_lo
	v_cmpx_ne_u16_e32 0, v0
	s_cbranch_execz .LBB189_1908
; %bb.1901:                             ;   in Loop: Header=BB189_1075 Depth=1
	v_mov_b64_e32 v[36:37], 0x8000000000000000
	s_mov_b32 s17, exec_lo
	v_cmpx_ne_u16_e32 0x80, v0
	s_cbranch_execz .LBB189_1907
; %bb.1902:                             ;   in Loop: Header=BB189_1075 Depth=1
	v_and_b32_e32 v0, 0xffff, v0
	v_mov_b64_e32 v[36:37], 0x7f80000100000000
	s_mov_b32 s18, exec_lo
	s_delay_alu instid0(VALU_DEP_2) | instskip(NEXT) | instid1(VALU_DEP_1)
	v_and_b32_e32 v1, 0x7f, v0
	v_cmpx_ne_u32_e32 0x7f, v1
	s_cbranch_execz .LBB189_1906
; %bb.1903:                             ;   in Loop: Header=BB189_1075 Depth=1
	v_dual_lshrrev_b32 v0, 3, v1 :: v_dual_bitop2_b32 v42, 7, v0 bitop3:0x40
	s_mov_b32 s19, exec_lo
	v_cmpx_gt_u32_e32 8, v1
; %bb.1904:                             ;   in Loop: Header=BB189_1075 Depth=1
	s_delay_alu instid0(VALU_DEP_2) | instskip(NEXT) | instid1(VALU_DEP_1)
	v_clz_i32_u32_e32 v0, v42
	v_min_u32_e32 v0, 32, v0
	s_delay_alu instid0(VALU_DEP_1) | instskip(SKIP_1) | instid1(VALU_DEP_2)
	v_subrev_nc_u32_e32 v1, 28, v0
	v_sub_nc_u32_e32 v0, 29, v0
	v_lshlrev_b64_e32 v[36:37], v1, v[42:43]
	s_delay_alu instid0(VALU_DEP_1)
	v_and_b32_e32 v42, 7, v36
; %bb.1905:                             ;   in Loop: Header=BB189_1075 Depth=1
	s_or_b32 exec_lo, exec_lo, s19
	s_delay_alu instid0(VALU_DEP_1) | instskip(SKIP_2) | instid1(VALU_DEP_3)
	v_dual_lshlrev_b32 v1, 16, v8 :: v_dual_lshlrev_b32 v9, 20, v42
	v_lshl_add_u32 v0, v0, 23, 0x3c000000
	v_mov_b32_e32 v36, v43
	v_and_b32_e32 v1, 0x80000000, v1
	s_delay_alu instid0(VALU_DEP_1)
	v_or3_b32 v37, v9, v1, v0
.LBB189_1906:                           ;   in Loop: Header=BB189_1075 Depth=1
	s_or_b32 exec_lo, exec_lo, s18
.LBB189_1907:                           ;   in Loop: Header=BB189_1075 Depth=1
	s_delay_alu instid0(SALU_CYCLE_1)
	s_or_b32 exec_lo, exec_lo, s17
.LBB189_1908:                           ;   in Loop: Header=BB189_1075 Depth=1
	s_delay_alu instid0(SALU_CYCLE_1) | instskip(SKIP_4) | instid1(VALU_DEP_3)
	s_or_b32 exec_lo, exec_lo, s16
	v_lshrrev_b32_e32 v9, 16, v8
	v_mov_b64_e32 v[48:49], 0
	v_mov_b64_e32 v[50:51], 0
	s_mov_b32 s16, exec_lo
	v_and_b32_e32 v0, 0xff, v9
	s_delay_alu instid0(VALU_DEP_1)
	v_cmpx_ne_u16_e32 0, v0
	s_cbranch_execz .LBB189_1916
; %bb.1909:                             ;   in Loop: Header=BB189_1075 Depth=1
	v_mov_b64_e32 v[50:51], 0x80000000
	s_mov_b32 s17, exec_lo
	v_cmpx_ne_u16_e32 0x80, v0
	s_cbranch_execz .LBB189_1915
; %bb.1910:                             ;   in Loop: Header=BB189_1075 Depth=1
	v_mov_b64_e32 v[50:51], 0x7f800001
	v_bfe_u32 v1, v8, 16, 7
	s_mov_b32 s18, exec_lo
	s_delay_alu instid0(VALU_DEP_1)
	v_cmpx_ne_u32_e32 0x7f, v1
	s_cbranch_execz .LBB189_1914
; %bb.1911:                             ;   in Loop: Header=BB189_1075 Depth=1
	v_and_b32_e32 v42, 7, v9
	v_lshrrev_b32_e32 v0, 3, v1
	s_mov_b32 s19, exec_lo
	v_cmpx_gt_u32_e32 8, v1
; %bb.1912:                             ;   in Loop: Header=BB189_1075 Depth=1
	s_delay_alu instid0(VALU_DEP_3) | instskip(NEXT) | instid1(VALU_DEP_1)
	v_clz_i32_u32_e32 v0, v42
	v_min_u32_e32 v0, 32, v0
	s_delay_alu instid0(VALU_DEP_1) | instskip(NEXT) | instid1(VALU_DEP_1)
	v_subrev_nc_u32_e32 v1, 28, v0
	v_lshlrev_b64_e32 v[50:51], v1, v[42:43]
	s_delay_alu instid0(VALU_DEP_1)
	v_dual_sub_nc_u32 v0, 29, v0 :: v_dual_bitop2_b32 v42, 7, v50 bitop3:0x40
; %bb.1913:                             ;   in Loop: Header=BB189_1075 Depth=1
	s_or_b32 exec_lo, exec_lo, s19
	s_delay_alu instid0(VALU_DEP_1) | instskip(NEXT) | instid1(VALU_DEP_2)
	v_dual_lshlrev_b32 v1, 24, v9 :: v_dual_lshlrev_b32 v9, 20, v42
	v_lshl_add_u32 v0, v0, 23, 0x3c000000
	s_delay_alu instid0(VALU_DEP_2) | instskip(NEXT) | instid1(VALU_DEP_1)
	v_and_b32_e32 v1, 0x80000000, v1
	v_or3_b32 v42, v9, v1, v0
	s_delay_alu instid0(VALU_DEP_1)
	v_mov_b64_e32 v[50:51], v[42:43]
.LBB189_1914:                           ;   in Loop: Header=BB189_1075 Depth=1
	s_or_b32 exec_lo, exec_lo, s18
.LBB189_1915:                           ;   in Loop: Header=BB189_1075 Depth=1
	s_delay_alu instid0(SALU_CYCLE_1)
	s_or_b32 exec_lo, exec_lo, s17
.LBB189_1916:                           ;   in Loop: Header=BB189_1075 Depth=1
	s_delay_alu instid0(SALU_CYCLE_1) | instskip(NEXT) | instid1(SALU_CYCLE_1)
	s_or_b32 exec_lo, exec_lo, s16
	s_mov_b32 s16, exec_lo
	v_cmpx_lt_u32_e32 0xffffff, v8
	s_cbranch_execz .LBB189_1924
; %bb.1917:                             ;   in Loop: Header=BB189_1075 Depth=1
	v_mov_b64_e32 v[48:49], 0x8000000000000000
	v_lshrrev_b32_e32 v0, 24, v8
	s_mov_b32 s17, exec_lo
	s_delay_alu instid0(VALU_DEP_1)
	v_cmpx_ne_u32_e32 0x80, v0
	s_cbranch_execz .LBB189_1923
; %bb.1918:                             ;   in Loop: Header=BB189_1075 Depth=1
	v_mov_b64_e32 v[48:49], 0x7f80000100000000
	v_bfe_u32 v8, v8, 24, 7
	s_mov_b32 s18, exec_lo
	s_delay_alu instid0(VALU_DEP_1)
	v_cmpx_ne_u32_e32 0x7f, v8
	s_cbranch_execz .LBB189_1922
; %bb.1919:                             ;   in Loop: Header=BB189_1075 Depth=1
	v_and_b32_e32 v42, 7, v0
	v_lshrrev_b32_e32 v1, 3, v8
	s_mov_b32 s19, exec_lo
	v_cmpx_gt_u32_e32 8, v8
; %bb.1920:                             ;   in Loop: Header=BB189_1075 Depth=1
	s_delay_alu instid0(VALU_DEP_3) | instskip(NEXT) | instid1(VALU_DEP_1)
	v_clz_i32_u32_e32 v1, v42
	v_min_u32_e32 v1, 32, v1
	s_delay_alu instid0(VALU_DEP_1) | instskip(NEXT) | instid1(VALU_DEP_1)
	v_subrev_nc_u32_e32 v8, 28, v1
	v_lshlrev_b64_e32 v[8:9], v8, v[42:43]
	s_delay_alu instid0(VALU_DEP_1)
	v_dual_sub_nc_u32 v1, 29, v1 :: v_dual_bitop2_b32 v42, 7, v8 bitop3:0x40
; %bb.1921:                             ;   in Loop: Header=BB189_1075 Depth=1
	s_or_b32 exec_lo, exec_lo, s19
	s_delay_alu instid0(VALU_DEP_1) | instskip(NEXT) | instid1(VALU_DEP_2)
	v_dual_lshlrev_b32 v0, 24, v0 :: v_dual_lshlrev_b32 v8, 20, v42
	v_lshl_add_u32 v1, v1, 23, 0x3c000000
	v_mov_b32_e32 v48, v43
	s_delay_alu instid0(VALU_DEP_3) | instskip(NEXT) | instid1(VALU_DEP_1)
	v_and_b32_e32 v0, 0x80000000, v0
	v_or3_b32 v49, v8, v0, v1
.LBB189_1922:                           ;   in Loop: Header=BB189_1075 Depth=1
	s_or_b32 exec_lo, exec_lo, s18
.LBB189_1923:                           ;   in Loop: Header=BB189_1075 Depth=1
	s_delay_alu instid0(SALU_CYCLE_1)
	s_or_b32 exec_lo, exec_lo, s17
.LBB189_1924:                           ;   in Loop: Header=BB189_1075 Depth=1
	s_delay_alu instid0(SALU_CYCLE_1) | instskip(SKIP_4) | instid1(VALU_DEP_3)
	s_or_b32 exec_lo, exec_lo, s16
	v_or_b32_e32 v1, v37, v39
	v_or_b32_e32 v0, v36, v38
	;; [unrolled: 1-line block ×4, first 2 shown]
	v_pk_mul_f32 v[38:39], v[86:87], v[0:1]
	s_delay_alu instid0(VALU_DEP_2)
	v_pk_mul_f32 v[36:37], v[86:87], v[8:9]
	s_and_saveexec_b32 s16, vcc_lo
	s_cbranch_execz .LBB189_1926
; %bb.1925:                             ;   in Loop: Header=BB189_1075 Depth=1
	v_cmp_lt_i32_e64 s0, v47, v100
	s_delay_alu instid0(VALU_DEP_1) | instskip(SKIP_1) | instid1(VALU_DEP_1)
	v_cndmask_b32_e64 v38, 0, v38, s0
	v_cmp_lt_i32_e64 s0, v56, v100
	v_cndmask_b32_e64 v39, 0, v39, s0
	v_cmp_lt_i32_e64 s0, v41, v100
	s_delay_alu instid0(VALU_DEP_1) | instskip(SKIP_1) | instid1(VALU_DEP_1)
	v_cndmask_b32_e64 v36, 0, v36, s0
	v_cmp_lt_i32_e64 s0, v40, v100
	v_cndmask_b32_e64 v37, 0, v37, s0
.LBB189_1926:                           ;   in Loop: Header=BB189_1075 Depth=1
	s_or_b32 exec_lo, exec_lo, s16
	flat_load_b32 v8, v[118:119] offset:3200
	v_mov_b64_e32 v[48:49], 0
	v_mov_b64_e32 v[50:51], 0
	s_mov_b32 s16, exec_lo
	s_wait_loadcnt_dscnt 0x0
	v_and_b32_e32 v0, 0xff, v8
	s_wait_xcnt 0x0
	s_delay_alu instid0(VALU_DEP_1)
	v_cmpx_ne_u16_e32 0, v0
	s_cbranch_execz .LBB189_1934
; %bb.1927:                             ;   in Loop: Header=BB189_1075 Depth=1
	v_mov_b64_e32 v[50:51], 0x80000000
	s_mov_b32 s17, exec_lo
	v_cmpx_ne_u16_e32 0x80, v0
	s_cbranch_execz .LBB189_1933
; %bb.1928:                             ;   in Loop: Header=BB189_1075 Depth=1
	v_mov_b64_e32 v[50:51], 0x7f800001
	v_and_b32_e32 v1, 0x7f, v8
	s_mov_b32 s18, exec_lo
	s_delay_alu instid0(VALU_DEP_1)
	v_cmpx_ne_u32_e32 0x7f, v1
	s_cbranch_execz .LBB189_1932
; %bb.1929:                             ;   in Loop: Header=BB189_1075 Depth=1
	v_dual_lshrrev_b32 v0, 3, v1 :: v_dual_bitop2_b32 v42, 7, v8 bitop3:0x40
	s_mov_b32 s19, exec_lo
	v_cmpx_gt_u32_e32 8, v1
; %bb.1930:                             ;   in Loop: Header=BB189_1075 Depth=1
	s_delay_alu instid0(VALU_DEP_2) | instskip(NEXT) | instid1(VALU_DEP_1)
	v_clz_i32_u32_e32 v0, v42
	v_min_u32_e32 v0, 32, v0
	s_delay_alu instid0(VALU_DEP_1) | instskip(NEXT) | instid1(VALU_DEP_1)
	v_subrev_nc_u32_e32 v1, 28, v0
	v_lshlrev_b64_e32 v[50:51], v1, v[42:43]
	s_delay_alu instid0(VALU_DEP_1)
	v_dual_sub_nc_u32 v0, 29, v0 :: v_dual_bitop2_b32 v42, 7, v50 bitop3:0x40
; %bb.1931:                             ;   in Loop: Header=BB189_1075 Depth=1
	s_or_b32 exec_lo, exec_lo, s19
	s_delay_alu instid0(VALU_DEP_1) | instskip(NEXT) | instid1(VALU_DEP_2)
	v_dual_lshlrev_b32 v1, 24, v8 :: v_dual_lshlrev_b32 v9, 20, v42
	v_lshl_add_u32 v0, v0, 23, 0x3c000000
	s_delay_alu instid0(VALU_DEP_2) | instskip(NEXT) | instid1(VALU_DEP_1)
	v_and_b32_e32 v1, 0x80000000, v1
	v_or3_b32 v42, v9, v1, v0
	s_delay_alu instid0(VALU_DEP_1)
	v_mov_b64_e32 v[50:51], v[42:43]
.LBB189_1932:                           ;   in Loop: Header=BB189_1075 Depth=1
	s_or_b32 exec_lo, exec_lo, s18
.LBB189_1933:                           ;   in Loop: Header=BB189_1075 Depth=1
	s_delay_alu instid0(SALU_CYCLE_1)
	s_or_b32 exec_lo, exec_lo, s17
.LBB189_1934:                           ;   in Loop: Header=BB189_1075 Depth=1
	s_delay_alu instid0(SALU_CYCLE_1) | instskip(SKIP_2) | instid1(VALU_DEP_1)
	s_or_b32 exec_lo, exec_lo, s16
	v_lshrrev_b16 v0, 8, v8
	s_mov_b32 s16, exec_lo
	v_cmpx_ne_u16_e32 0, v0
	s_cbranch_execz .LBB189_1942
; %bb.1935:                             ;   in Loop: Header=BB189_1075 Depth=1
	v_mov_b64_e32 v[48:49], 0x8000000000000000
	s_mov_b32 s17, exec_lo
	v_cmpx_ne_u16_e32 0x80, v0
	s_cbranch_execz .LBB189_1941
; %bb.1936:                             ;   in Loop: Header=BB189_1075 Depth=1
	v_and_b32_e32 v0, 0xffff, v0
	v_mov_b64_e32 v[48:49], 0x7f80000100000000
	s_mov_b32 s18, exec_lo
	s_delay_alu instid0(VALU_DEP_2) | instskip(NEXT) | instid1(VALU_DEP_1)
	v_and_b32_e32 v1, 0x7f, v0
	v_cmpx_ne_u32_e32 0x7f, v1
	s_cbranch_execz .LBB189_1940
; %bb.1937:                             ;   in Loop: Header=BB189_1075 Depth=1
	v_dual_lshrrev_b32 v0, 3, v1 :: v_dual_bitop2_b32 v42, 7, v0 bitop3:0x40
	s_mov_b32 s19, exec_lo
	v_cmpx_gt_u32_e32 8, v1
; %bb.1938:                             ;   in Loop: Header=BB189_1075 Depth=1
	s_delay_alu instid0(VALU_DEP_2) | instskip(NEXT) | instid1(VALU_DEP_1)
	v_clz_i32_u32_e32 v0, v42
	v_min_u32_e32 v0, 32, v0
	s_delay_alu instid0(VALU_DEP_1) | instskip(SKIP_1) | instid1(VALU_DEP_2)
	v_subrev_nc_u32_e32 v1, 28, v0
	v_sub_nc_u32_e32 v0, 29, v0
	v_lshlrev_b64_e32 v[48:49], v1, v[42:43]
	s_delay_alu instid0(VALU_DEP_1)
	v_and_b32_e32 v42, 7, v48
; %bb.1939:                             ;   in Loop: Header=BB189_1075 Depth=1
	s_or_b32 exec_lo, exec_lo, s19
	s_delay_alu instid0(VALU_DEP_1) | instskip(SKIP_2) | instid1(VALU_DEP_3)
	v_dual_lshlrev_b32 v1, 16, v8 :: v_dual_lshlrev_b32 v9, 20, v42
	v_lshl_add_u32 v0, v0, 23, 0x3c000000
	v_mov_b32_e32 v48, v43
	v_and_b32_e32 v1, 0x80000000, v1
	s_delay_alu instid0(VALU_DEP_1)
	v_or3_b32 v49, v9, v1, v0
.LBB189_1940:                           ;   in Loop: Header=BB189_1075 Depth=1
	s_or_b32 exec_lo, exec_lo, s18
.LBB189_1941:                           ;   in Loop: Header=BB189_1075 Depth=1
	s_delay_alu instid0(SALU_CYCLE_1)
	s_or_b32 exec_lo, exec_lo, s17
.LBB189_1942:                           ;   in Loop: Header=BB189_1075 Depth=1
	s_delay_alu instid0(SALU_CYCLE_1) | instskip(SKIP_4) | instid1(VALU_DEP_3)
	s_or_b32 exec_lo, exec_lo, s16
	v_lshrrev_b32_e32 v9, 16, v8
	v_mov_b64_e32 v[52:53], 0
	v_mov_b64_e32 v[54:55], 0
	s_mov_b32 s16, exec_lo
	v_and_b32_e32 v0, 0xff, v9
	s_delay_alu instid0(VALU_DEP_1)
	v_cmpx_ne_u16_e32 0, v0
	s_cbranch_execz .LBB189_1950
; %bb.1943:                             ;   in Loop: Header=BB189_1075 Depth=1
	v_mov_b64_e32 v[54:55], 0x80000000
	s_mov_b32 s17, exec_lo
	v_cmpx_ne_u16_e32 0x80, v0
	s_cbranch_execz .LBB189_1949
; %bb.1944:                             ;   in Loop: Header=BB189_1075 Depth=1
	v_mov_b64_e32 v[54:55], 0x7f800001
	v_bfe_u32 v1, v8, 16, 7
	s_mov_b32 s18, exec_lo
	s_delay_alu instid0(VALU_DEP_1)
	v_cmpx_ne_u32_e32 0x7f, v1
	s_cbranch_execz .LBB189_1948
; %bb.1945:                             ;   in Loop: Header=BB189_1075 Depth=1
	v_and_b32_e32 v42, 7, v9
	v_lshrrev_b32_e32 v0, 3, v1
	s_mov_b32 s19, exec_lo
	v_cmpx_gt_u32_e32 8, v1
; %bb.1946:                             ;   in Loop: Header=BB189_1075 Depth=1
	s_delay_alu instid0(VALU_DEP_3) | instskip(NEXT) | instid1(VALU_DEP_1)
	v_clz_i32_u32_e32 v0, v42
	v_min_u32_e32 v0, 32, v0
	s_delay_alu instid0(VALU_DEP_1) | instskip(NEXT) | instid1(VALU_DEP_1)
	v_subrev_nc_u32_e32 v1, 28, v0
	v_lshlrev_b64_e32 v[54:55], v1, v[42:43]
	s_delay_alu instid0(VALU_DEP_1)
	v_dual_sub_nc_u32 v0, 29, v0 :: v_dual_bitop2_b32 v42, 7, v54 bitop3:0x40
; %bb.1947:                             ;   in Loop: Header=BB189_1075 Depth=1
	s_or_b32 exec_lo, exec_lo, s19
	s_delay_alu instid0(VALU_DEP_1) | instskip(NEXT) | instid1(VALU_DEP_2)
	v_dual_lshlrev_b32 v1, 24, v9 :: v_dual_lshlrev_b32 v9, 20, v42
	v_lshl_add_u32 v0, v0, 23, 0x3c000000
	s_delay_alu instid0(VALU_DEP_2) | instskip(NEXT) | instid1(VALU_DEP_1)
	v_and_b32_e32 v1, 0x80000000, v1
	v_or3_b32 v42, v9, v1, v0
	s_delay_alu instid0(VALU_DEP_1)
	v_mov_b64_e32 v[54:55], v[42:43]
.LBB189_1948:                           ;   in Loop: Header=BB189_1075 Depth=1
	s_or_b32 exec_lo, exec_lo, s18
.LBB189_1949:                           ;   in Loop: Header=BB189_1075 Depth=1
	s_delay_alu instid0(SALU_CYCLE_1)
	s_or_b32 exec_lo, exec_lo, s17
.LBB189_1950:                           ;   in Loop: Header=BB189_1075 Depth=1
	s_delay_alu instid0(SALU_CYCLE_1) | instskip(NEXT) | instid1(SALU_CYCLE_1)
	s_or_b32 exec_lo, exec_lo, s16
	s_mov_b32 s16, exec_lo
	v_cmpx_lt_u32_e32 0xffffff, v8
	s_cbranch_execz .LBB189_1958
; %bb.1951:                             ;   in Loop: Header=BB189_1075 Depth=1
	v_mov_b64_e32 v[52:53], 0x8000000000000000
	v_lshrrev_b32_e32 v0, 24, v8
	s_mov_b32 s17, exec_lo
	s_delay_alu instid0(VALU_DEP_1)
	v_cmpx_ne_u32_e32 0x80, v0
	s_cbranch_execz .LBB189_1957
; %bb.1952:                             ;   in Loop: Header=BB189_1075 Depth=1
	v_mov_b64_e32 v[52:53], 0x7f80000100000000
	v_bfe_u32 v8, v8, 24, 7
	s_mov_b32 s18, exec_lo
	s_delay_alu instid0(VALU_DEP_1)
	v_cmpx_ne_u32_e32 0x7f, v8
	s_cbranch_execz .LBB189_1956
; %bb.1953:                             ;   in Loop: Header=BB189_1075 Depth=1
	v_and_b32_e32 v42, 7, v0
	v_lshrrev_b32_e32 v1, 3, v8
	s_mov_b32 s19, exec_lo
	v_cmpx_gt_u32_e32 8, v8
; %bb.1954:                             ;   in Loop: Header=BB189_1075 Depth=1
	s_delay_alu instid0(VALU_DEP_3) | instskip(NEXT) | instid1(VALU_DEP_1)
	v_clz_i32_u32_e32 v1, v42
	v_min_u32_e32 v1, 32, v1
	s_delay_alu instid0(VALU_DEP_1) | instskip(NEXT) | instid1(VALU_DEP_1)
	v_subrev_nc_u32_e32 v8, 28, v1
	v_lshlrev_b64_e32 v[8:9], v8, v[42:43]
	s_delay_alu instid0(VALU_DEP_1)
	v_dual_sub_nc_u32 v1, 29, v1 :: v_dual_bitop2_b32 v42, 7, v8 bitop3:0x40
; %bb.1955:                             ;   in Loop: Header=BB189_1075 Depth=1
	s_or_b32 exec_lo, exec_lo, s19
	s_delay_alu instid0(VALU_DEP_1) | instskip(NEXT) | instid1(VALU_DEP_2)
	v_dual_lshlrev_b32 v0, 24, v0 :: v_dual_lshlrev_b32 v8, 20, v42
	v_lshl_add_u32 v1, v1, 23, 0x3c000000
	v_mov_b32_e32 v52, v43
	s_delay_alu instid0(VALU_DEP_3) | instskip(NEXT) | instid1(VALU_DEP_1)
	v_and_b32_e32 v0, 0x80000000, v0
	v_or3_b32 v53, v8, v0, v1
.LBB189_1956:                           ;   in Loop: Header=BB189_1075 Depth=1
	s_or_b32 exec_lo, exec_lo, s18
.LBB189_1957:                           ;   in Loop: Header=BB189_1075 Depth=1
	s_delay_alu instid0(SALU_CYCLE_1)
	s_or_b32 exec_lo, exec_lo, s17
.LBB189_1958:                           ;   in Loop: Header=BB189_1075 Depth=1
	s_delay_alu instid0(SALU_CYCLE_1) | instskip(SKIP_4) | instid1(VALU_DEP_3)
	s_or_b32 exec_lo, exec_lo, s16
	v_or_b32_e32 v1, v49, v51
	v_or_b32_e32 v0, v48, v50
	;; [unrolled: 1-line block ×4, first 2 shown]
	v_pk_mul_f32 v[50:51], v[86:87], v[0:1]
	s_delay_alu instid0(VALU_DEP_2)
	v_pk_mul_f32 v[48:49], v[86:87], v[8:9]
	s_and_saveexec_b32 s16, vcc_lo
	s_cbranch_execz .LBB189_1960
; %bb.1959:                             ;   in Loop: Header=BB189_1075 Depth=1
	v_cmp_lt_i32_e64 s0, v47, v100
	s_delay_alu instid0(VALU_DEP_1) | instskip(SKIP_1) | instid1(VALU_DEP_1)
	v_cndmask_b32_e64 v50, 0, v50, s0
	v_cmp_lt_i32_e64 s0, v56, v100
	v_cndmask_b32_e64 v51, 0, v51, s0
	v_cmp_lt_i32_e64 s0, v41, v100
	s_delay_alu instid0(VALU_DEP_1) | instskip(SKIP_1) | instid1(VALU_DEP_1)
	v_cndmask_b32_e64 v48, 0, v48, s0
	v_cmp_lt_i32_e64 s0, v40, v100
	v_cndmask_b32_e64 v49, 0, v49, s0
.LBB189_1960:                           ;   in Loop: Header=BB189_1075 Depth=1
	s_or_b32 exec_lo, exec_lo, s16
	flat_load_b32 v8, v[118:119] offset:3328
	v_mov_b64_e32 v[52:53], 0
	v_mov_b64_e32 v[54:55], 0
	s_mov_b32 s16, exec_lo
	s_wait_loadcnt_dscnt 0x0
	v_and_b32_e32 v0, 0xff, v8
	s_wait_xcnt 0x0
	s_delay_alu instid0(VALU_DEP_1)
	v_cmpx_ne_u16_e32 0, v0
	s_cbranch_execz .LBB189_1968
; %bb.1961:                             ;   in Loop: Header=BB189_1075 Depth=1
	v_mov_b64_e32 v[54:55], 0x80000000
	s_mov_b32 s17, exec_lo
	v_cmpx_ne_u16_e32 0x80, v0
	s_cbranch_execz .LBB189_1967
; %bb.1962:                             ;   in Loop: Header=BB189_1075 Depth=1
	v_mov_b64_e32 v[54:55], 0x7f800001
	v_and_b32_e32 v1, 0x7f, v8
	s_mov_b32 s18, exec_lo
	s_delay_alu instid0(VALU_DEP_1)
	v_cmpx_ne_u32_e32 0x7f, v1
	s_cbranch_execz .LBB189_1966
; %bb.1963:                             ;   in Loop: Header=BB189_1075 Depth=1
	v_dual_lshrrev_b32 v0, 3, v1 :: v_dual_bitop2_b32 v42, 7, v8 bitop3:0x40
	s_mov_b32 s19, exec_lo
	v_cmpx_gt_u32_e32 8, v1
; %bb.1964:                             ;   in Loop: Header=BB189_1075 Depth=1
	s_delay_alu instid0(VALU_DEP_2) | instskip(NEXT) | instid1(VALU_DEP_1)
	v_clz_i32_u32_e32 v0, v42
	v_min_u32_e32 v0, 32, v0
	s_delay_alu instid0(VALU_DEP_1) | instskip(NEXT) | instid1(VALU_DEP_1)
	v_subrev_nc_u32_e32 v1, 28, v0
	v_lshlrev_b64_e32 v[54:55], v1, v[42:43]
	s_delay_alu instid0(VALU_DEP_1)
	v_dual_sub_nc_u32 v0, 29, v0 :: v_dual_bitop2_b32 v42, 7, v54 bitop3:0x40
; %bb.1965:                             ;   in Loop: Header=BB189_1075 Depth=1
	s_or_b32 exec_lo, exec_lo, s19
	s_delay_alu instid0(VALU_DEP_1) | instskip(NEXT) | instid1(VALU_DEP_2)
	v_dual_lshlrev_b32 v1, 24, v8 :: v_dual_lshlrev_b32 v9, 20, v42
	v_lshl_add_u32 v0, v0, 23, 0x3c000000
	s_delay_alu instid0(VALU_DEP_2) | instskip(NEXT) | instid1(VALU_DEP_1)
	v_and_b32_e32 v1, 0x80000000, v1
	v_or3_b32 v42, v9, v1, v0
	s_delay_alu instid0(VALU_DEP_1)
	v_mov_b64_e32 v[54:55], v[42:43]
.LBB189_1966:                           ;   in Loop: Header=BB189_1075 Depth=1
	s_or_b32 exec_lo, exec_lo, s18
.LBB189_1967:                           ;   in Loop: Header=BB189_1075 Depth=1
	s_delay_alu instid0(SALU_CYCLE_1)
	s_or_b32 exec_lo, exec_lo, s17
.LBB189_1968:                           ;   in Loop: Header=BB189_1075 Depth=1
	s_delay_alu instid0(SALU_CYCLE_1) | instskip(SKIP_2) | instid1(VALU_DEP_1)
	s_or_b32 exec_lo, exec_lo, s16
	v_lshrrev_b16 v0, 8, v8
	s_mov_b32 s16, exec_lo
	v_cmpx_ne_u16_e32 0, v0
	s_cbranch_execz .LBB189_1976
; %bb.1969:                             ;   in Loop: Header=BB189_1075 Depth=1
	v_mov_b64_e32 v[52:53], 0x8000000000000000
	s_mov_b32 s17, exec_lo
	v_cmpx_ne_u16_e32 0x80, v0
	s_cbranch_execz .LBB189_1975
; %bb.1970:                             ;   in Loop: Header=BB189_1075 Depth=1
	v_and_b32_e32 v0, 0xffff, v0
	v_mov_b64_e32 v[52:53], 0x7f80000100000000
	s_mov_b32 s18, exec_lo
	s_delay_alu instid0(VALU_DEP_2) | instskip(NEXT) | instid1(VALU_DEP_1)
	v_and_b32_e32 v1, 0x7f, v0
	v_cmpx_ne_u32_e32 0x7f, v1
	s_cbranch_execz .LBB189_1974
; %bb.1971:                             ;   in Loop: Header=BB189_1075 Depth=1
	v_dual_lshrrev_b32 v0, 3, v1 :: v_dual_bitop2_b32 v42, 7, v0 bitop3:0x40
	s_mov_b32 s19, exec_lo
	v_cmpx_gt_u32_e32 8, v1
; %bb.1972:                             ;   in Loop: Header=BB189_1075 Depth=1
	s_delay_alu instid0(VALU_DEP_2) | instskip(NEXT) | instid1(VALU_DEP_1)
	v_clz_i32_u32_e32 v0, v42
	v_min_u32_e32 v0, 32, v0
	s_delay_alu instid0(VALU_DEP_1) | instskip(SKIP_1) | instid1(VALU_DEP_2)
	v_subrev_nc_u32_e32 v1, 28, v0
	v_sub_nc_u32_e32 v0, 29, v0
	v_lshlrev_b64_e32 v[52:53], v1, v[42:43]
	s_delay_alu instid0(VALU_DEP_1)
	v_and_b32_e32 v42, 7, v52
; %bb.1973:                             ;   in Loop: Header=BB189_1075 Depth=1
	s_or_b32 exec_lo, exec_lo, s19
	s_delay_alu instid0(VALU_DEP_1) | instskip(SKIP_2) | instid1(VALU_DEP_3)
	v_dual_lshlrev_b32 v1, 16, v8 :: v_dual_lshlrev_b32 v9, 20, v42
	v_lshl_add_u32 v0, v0, 23, 0x3c000000
	v_mov_b32_e32 v52, v43
	v_and_b32_e32 v1, 0x80000000, v1
	s_delay_alu instid0(VALU_DEP_1)
	v_or3_b32 v53, v9, v1, v0
.LBB189_1974:                           ;   in Loop: Header=BB189_1075 Depth=1
	s_or_b32 exec_lo, exec_lo, s18
.LBB189_1975:                           ;   in Loop: Header=BB189_1075 Depth=1
	s_delay_alu instid0(SALU_CYCLE_1)
	s_or_b32 exec_lo, exec_lo, s17
.LBB189_1976:                           ;   in Loop: Header=BB189_1075 Depth=1
	s_delay_alu instid0(SALU_CYCLE_1) | instskip(SKIP_4) | instid1(VALU_DEP_3)
	s_or_b32 exec_lo, exec_lo, s16
	v_lshrrev_b32_e32 v9, 16, v8
	v_mov_b64_e32 v[64:65], 0
	v_mov_b64_e32 v[66:67], 0
	s_mov_b32 s16, exec_lo
	v_and_b32_e32 v0, 0xff, v9
	s_delay_alu instid0(VALU_DEP_1)
	v_cmpx_ne_u16_e32 0, v0
	s_cbranch_execz .LBB189_1984
; %bb.1977:                             ;   in Loop: Header=BB189_1075 Depth=1
	v_mov_b64_e32 v[66:67], 0x80000000
	s_mov_b32 s17, exec_lo
	v_cmpx_ne_u16_e32 0x80, v0
	s_cbranch_execz .LBB189_1983
; %bb.1978:                             ;   in Loop: Header=BB189_1075 Depth=1
	v_mov_b64_e32 v[66:67], 0x7f800001
	v_bfe_u32 v1, v8, 16, 7
	s_mov_b32 s18, exec_lo
	s_delay_alu instid0(VALU_DEP_1)
	v_cmpx_ne_u32_e32 0x7f, v1
	s_cbranch_execz .LBB189_1982
; %bb.1979:                             ;   in Loop: Header=BB189_1075 Depth=1
	v_and_b32_e32 v42, 7, v9
	v_lshrrev_b32_e32 v0, 3, v1
	s_mov_b32 s19, exec_lo
	v_cmpx_gt_u32_e32 8, v1
; %bb.1980:                             ;   in Loop: Header=BB189_1075 Depth=1
	s_delay_alu instid0(VALU_DEP_3) | instskip(NEXT) | instid1(VALU_DEP_1)
	v_clz_i32_u32_e32 v0, v42
	v_min_u32_e32 v0, 32, v0
	s_delay_alu instid0(VALU_DEP_1) | instskip(NEXT) | instid1(VALU_DEP_1)
	v_subrev_nc_u32_e32 v1, 28, v0
	v_lshlrev_b64_e32 v[66:67], v1, v[42:43]
	s_delay_alu instid0(VALU_DEP_1)
	v_dual_sub_nc_u32 v0, 29, v0 :: v_dual_bitop2_b32 v42, 7, v66 bitop3:0x40
; %bb.1981:                             ;   in Loop: Header=BB189_1075 Depth=1
	s_or_b32 exec_lo, exec_lo, s19
	s_delay_alu instid0(VALU_DEP_1) | instskip(NEXT) | instid1(VALU_DEP_2)
	v_dual_lshlrev_b32 v1, 24, v9 :: v_dual_lshlrev_b32 v9, 20, v42
	v_lshl_add_u32 v0, v0, 23, 0x3c000000
	s_delay_alu instid0(VALU_DEP_2) | instskip(NEXT) | instid1(VALU_DEP_1)
	v_and_b32_e32 v1, 0x80000000, v1
	v_or3_b32 v42, v9, v1, v0
	s_delay_alu instid0(VALU_DEP_1)
	v_mov_b64_e32 v[66:67], v[42:43]
.LBB189_1982:                           ;   in Loop: Header=BB189_1075 Depth=1
	s_or_b32 exec_lo, exec_lo, s18
.LBB189_1983:                           ;   in Loop: Header=BB189_1075 Depth=1
	s_delay_alu instid0(SALU_CYCLE_1)
	s_or_b32 exec_lo, exec_lo, s17
.LBB189_1984:                           ;   in Loop: Header=BB189_1075 Depth=1
	s_delay_alu instid0(SALU_CYCLE_1) | instskip(NEXT) | instid1(SALU_CYCLE_1)
	s_or_b32 exec_lo, exec_lo, s16
	s_mov_b32 s16, exec_lo
	v_cmpx_lt_u32_e32 0xffffff, v8
	s_cbranch_execz .LBB189_1992
; %bb.1985:                             ;   in Loop: Header=BB189_1075 Depth=1
	v_mov_b64_e32 v[64:65], 0x8000000000000000
	v_lshrrev_b32_e32 v0, 24, v8
	s_mov_b32 s17, exec_lo
	s_delay_alu instid0(VALU_DEP_1)
	v_cmpx_ne_u32_e32 0x80, v0
	s_cbranch_execz .LBB189_1991
; %bb.1986:                             ;   in Loop: Header=BB189_1075 Depth=1
	v_mov_b64_e32 v[64:65], 0x7f80000100000000
	v_bfe_u32 v8, v8, 24, 7
	s_mov_b32 s18, exec_lo
	s_delay_alu instid0(VALU_DEP_1)
	v_cmpx_ne_u32_e32 0x7f, v8
	s_cbranch_execz .LBB189_1990
; %bb.1987:                             ;   in Loop: Header=BB189_1075 Depth=1
	v_and_b32_e32 v42, 7, v0
	v_lshrrev_b32_e32 v1, 3, v8
	s_mov_b32 s19, exec_lo
	v_cmpx_gt_u32_e32 8, v8
; %bb.1988:                             ;   in Loop: Header=BB189_1075 Depth=1
	s_delay_alu instid0(VALU_DEP_3) | instskip(NEXT) | instid1(VALU_DEP_1)
	v_clz_i32_u32_e32 v1, v42
	v_min_u32_e32 v1, 32, v1
	s_delay_alu instid0(VALU_DEP_1) | instskip(NEXT) | instid1(VALU_DEP_1)
	v_subrev_nc_u32_e32 v8, 28, v1
	v_lshlrev_b64_e32 v[8:9], v8, v[42:43]
	s_delay_alu instid0(VALU_DEP_1)
	v_dual_sub_nc_u32 v1, 29, v1 :: v_dual_bitop2_b32 v42, 7, v8 bitop3:0x40
; %bb.1989:                             ;   in Loop: Header=BB189_1075 Depth=1
	s_or_b32 exec_lo, exec_lo, s19
	s_delay_alu instid0(VALU_DEP_1) | instskip(NEXT) | instid1(VALU_DEP_2)
	v_dual_lshlrev_b32 v0, 24, v0 :: v_dual_lshlrev_b32 v8, 20, v42
	v_lshl_add_u32 v1, v1, 23, 0x3c000000
	v_mov_b32_e32 v64, v43
	s_delay_alu instid0(VALU_DEP_3) | instskip(NEXT) | instid1(VALU_DEP_1)
	v_and_b32_e32 v0, 0x80000000, v0
	v_or3_b32 v65, v8, v0, v1
.LBB189_1990:                           ;   in Loop: Header=BB189_1075 Depth=1
	s_or_b32 exec_lo, exec_lo, s18
.LBB189_1991:                           ;   in Loop: Header=BB189_1075 Depth=1
	s_delay_alu instid0(SALU_CYCLE_1)
	s_or_b32 exec_lo, exec_lo, s17
.LBB189_1992:                           ;   in Loop: Header=BB189_1075 Depth=1
	s_delay_alu instid0(SALU_CYCLE_1) | instskip(SKIP_4) | instid1(VALU_DEP_3)
	s_or_b32 exec_lo, exec_lo, s16
	v_or_b32_e32 v1, v53, v55
	v_or_b32_e32 v0, v52, v54
	;; [unrolled: 1-line block ×4, first 2 shown]
	v_pk_mul_f32 v[54:55], v[86:87], v[0:1]
	s_delay_alu instid0(VALU_DEP_2)
	v_pk_mul_f32 v[52:53], v[86:87], v[8:9]
	s_and_saveexec_b32 s16, vcc_lo
	s_cbranch_execz .LBB189_1994
; %bb.1993:                             ;   in Loop: Header=BB189_1075 Depth=1
	v_cmp_lt_i32_e64 s0, v47, v100
	s_delay_alu instid0(VALU_DEP_1) | instskip(SKIP_1) | instid1(VALU_DEP_1)
	v_cndmask_b32_e64 v54, 0, v54, s0
	v_cmp_lt_i32_e64 s0, v56, v100
	v_cndmask_b32_e64 v55, 0, v55, s0
	v_cmp_lt_i32_e64 s0, v41, v100
	s_delay_alu instid0(VALU_DEP_1) | instskip(SKIP_1) | instid1(VALU_DEP_1)
	v_cndmask_b32_e64 v52, 0, v52, s0
	v_cmp_lt_i32_e64 s0, v40, v100
	v_cndmask_b32_e64 v53, 0, v53, s0
.LBB189_1994:                           ;   in Loop: Header=BB189_1075 Depth=1
	s_or_b32 exec_lo, exec_lo, s16
	flat_load_b32 v8, v[118:119] offset:3456
	v_mov_b64_e32 v[64:65], 0
	v_mov_b64_e32 v[66:67], 0
	s_mov_b32 s16, exec_lo
	s_wait_loadcnt_dscnt 0x0
	v_and_b32_e32 v0, 0xff, v8
	s_wait_xcnt 0x0
	s_delay_alu instid0(VALU_DEP_1)
	v_cmpx_ne_u16_e32 0, v0
	s_cbranch_execz .LBB189_2002
; %bb.1995:                             ;   in Loop: Header=BB189_1075 Depth=1
	v_mov_b64_e32 v[66:67], 0x80000000
	s_mov_b32 s17, exec_lo
	v_cmpx_ne_u16_e32 0x80, v0
	s_cbranch_execz .LBB189_2001
; %bb.1996:                             ;   in Loop: Header=BB189_1075 Depth=1
	v_mov_b64_e32 v[66:67], 0x7f800001
	v_and_b32_e32 v1, 0x7f, v8
	s_mov_b32 s18, exec_lo
	s_delay_alu instid0(VALU_DEP_1)
	v_cmpx_ne_u32_e32 0x7f, v1
	s_cbranch_execz .LBB189_2000
; %bb.1997:                             ;   in Loop: Header=BB189_1075 Depth=1
	v_dual_lshrrev_b32 v0, 3, v1 :: v_dual_bitop2_b32 v42, 7, v8 bitop3:0x40
	s_mov_b32 s19, exec_lo
	v_cmpx_gt_u32_e32 8, v1
; %bb.1998:                             ;   in Loop: Header=BB189_1075 Depth=1
	s_delay_alu instid0(VALU_DEP_2) | instskip(NEXT) | instid1(VALU_DEP_1)
	v_clz_i32_u32_e32 v0, v42
	v_min_u32_e32 v0, 32, v0
	s_delay_alu instid0(VALU_DEP_1) | instskip(NEXT) | instid1(VALU_DEP_1)
	v_subrev_nc_u32_e32 v1, 28, v0
	v_lshlrev_b64_e32 v[66:67], v1, v[42:43]
	s_delay_alu instid0(VALU_DEP_1)
	v_dual_sub_nc_u32 v0, 29, v0 :: v_dual_bitop2_b32 v42, 7, v66 bitop3:0x40
; %bb.1999:                             ;   in Loop: Header=BB189_1075 Depth=1
	s_or_b32 exec_lo, exec_lo, s19
	s_delay_alu instid0(VALU_DEP_1) | instskip(NEXT) | instid1(VALU_DEP_2)
	v_dual_lshlrev_b32 v1, 24, v8 :: v_dual_lshlrev_b32 v9, 20, v42
	v_lshl_add_u32 v0, v0, 23, 0x3c000000
	s_delay_alu instid0(VALU_DEP_2) | instskip(NEXT) | instid1(VALU_DEP_1)
	v_and_b32_e32 v1, 0x80000000, v1
	v_or3_b32 v42, v9, v1, v0
	s_delay_alu instid0(VALU_DEP_1)
	v_mov_b64_e32 v[66:67], v[42:43]
.LBB189_2000:                           ;   in Loop: Header=BB189_1075 Depth=1
	s_or_b32 exec_lo, exec_lo, s18
.LBB189_2001:                           ;   in Loop: Header=BB189_1075 Depth=1
	s_delay_alu instid0(SALU_CYCLE_1)
	s_or_b32 exec_lo, exec_lo, s17
.LBB189_2002:                           ;   in Loop: Header=BB189_1075 Depth=1
	s_delay_alu instid0(SALU_CYCLE_1) | instskip(SKIP_2) | instid1(VALU_DEP_1)
	s_or_b32 exec_lo, exec_lo, s16
	v_lshrrev_b16 v0, 8, v8
	s_mov_b32 s16, exec_lo
	v_cmpx_ne_u16_e32 0, v0
	s_cbranch_execz .LBB189_2010
; %bb.2003:                             ;   in Loop: Header=BB189_1075 Depth=1
	v_mov_b64_e32 v[64:65], 0x8000000000000000
	s_mov_b32 s17, exec_lo
	v_cmpx_ne_u16_e32 0x80, v0
	s_cbranch_execz .LBB189_2009
; %bb.2004:                             ;   in Loop: Header=BB189_1075 Depth=1
	v_and_b32_e32 v0, 0xffff, v0
	v_mov_b64_e32 v[64:65], 0x7f80000100000000
	s_mov_b32 s18, exec_lo
	s_delay_alu instid0(VALU_DEP_2) | instskip(NEXT) | instid1(VALU_DEP_1)
	v_and_b32_e32 v1, 0x7f, v0
	v_cmpx_ne_u32_e32 0x7f, v1
	s_cbranch_execz .LBB189_2008
; %bb.2005:                             ;   in Loop: Header=BB189_1075 Depth=1
	v_dual_lshrrev_b32 v0, 3, v1 :: v_dual_bitop2_b32 v42, 7, v0 bitop3:0x40
	s_mov_b32 s19, exec_lo
	v_cmpx_gt_u32_e32 8, v1
; %bb.2006:                             ;   in Loop: Header=BB189_1075 Depth=1
	s_delay_alu instid0(VALU_DEP_2) | instskip(NEXT) | instid1(VALU_DEP_1)
	v_clz_i32_u32_e32 v0, v42
	v_min_u32_e32 v0, 32, v0
	s_delay_alu instid0(VALU_DEP_1) | instskip(SKIP_1) | instid1(VALU_DEP_2)
	v_subrev_nc_u32_e32 v1, 28, v0
	v_sub_nc_u32_e32 v0, 29, v0
	v_lshlrev_b64_e32 v[64:65], v1, v[42:43]
	s_delay_alu instid0(VALU_DEP_1)
	v_and_b32_e32 v42, 7, v64
; %bb.2007:                             ;   in Loop: Header=BB189_1075 Depth=1
	s_or_b32 exec_lo, exec_lo, s19
	s_delay_alu instid0(VALU_DEP_1) | instskip(SKIP_2) | instid1(VALU_DEP_3)
	v_dual_lshlrev_b32 v1, 16, v8 :: v_dual_lshlrev_b32 v9, 20, v42
	v_lshl_add_u32 v0, v0, 23, 0x3c000000
	v_mov_b32_e32 v64, v43
	v_and_b32_e32 v1, 0x80000000, v1
	s_delay_alu instid0(VALU_DEP_1)
	v_or3_b32 v65, v9, v1, v0
.LBB189_2008:                           ;   in Loop: Header=BB189_1075 Depth=1
	s_or_b32 exec_lo, exec_lo, s18
.LBB189_2009:                           ;   in Loop: Header=BB189_1075 Depth=1
	s_delay_alu instid0(SALU_CYCLE_1)
	s_or_b32 exec_lo, exec_lo, s17
.LBB189_2010:                           ;   in Loop: Header=BB189_1075 Depth=1
	s_delay_alu instid0(SALU_CYCLE_1) | instskip(SKIP_4) | instid1(VALU_DEP_3)
	s_or_b32 exec_lo, exec_lo, s16
	v_lshrrev_b32_e32 v9, 16, v8
	v_mov_b64_e32 v[68:69], 0
	v_mov_b64_e32 v[82:83], 0
	s_mov_b32 s16, exec_lo
	v_and_b32_e32 v0, 0xff, v9
	s_delay_alu instid0(VALU_DEP_1)
	v_cmpx_ne_u16_e32 0, v0
	s_cbranch_execz .LBB189_2018
; %bb.2011:                             ;   in Loop: Header=BB189_1075 Depth=1
	v_mov_b64_e32 v[82:83], 0x80000000
	s_mov_b32 s17, exec_lo
	v_cmpx_ne_u16_e32 0x80, v0
	s_cbranch_execz .LBB189_2017
; %bb.2012:                             ;   in Loop: Header=BB189_1075 Depth=1
	v_mov_b64_e32 v[82:83], 0x7f800001
	v_bfe_u32 v1, v8, 16, 7
	s_mov_b32 s18, exec_lo
	s_delay_alu instid0(VALU_DEP_1)
	v_cmpx_ne_u32_e32 0x7f, v1
	s_cbranch_execz .LBB189_2016
; %bb.2013:                             ;   in Loop: Header=BB189_1075 Depth=1
	v_and_b32_e32 v42, 7, v9
	v_lshrrev_b32_e32 v0, 3, v1
	s_mov_b32 s19, exec_lo
	v_cmpx_gt_u32_e32 8, v1
; %bb.2014:                             ;   in Loop: Header=BB189_1075 Depth=1
	s_delay_alu instid0(VALU_DEP_3) | instskip(NEXT) | instid1(VALU_DEP_1)
	v_clz_i32_u32_e32 v0, v42
	v_min_u32_e32 v0, 32, v0
	s_delay_alu instid0(VALU_DEP_1) | instskip(NEXT) | instid1(VALU_DEP_1)
	v_subrev_nc_u32_e32 v1, 28, v0
	v_lshlrev_b64_e32 v[82:83], v1, v[42:43]
	s_delay_alu instid0(VALU_DEP_1)
	v_dual_sub_nc_u32 v0, 29, v0 :: v_dual_bitop2_b32 v42, 7, v82 bitop3:0x40
; %bb.2015:                             ;   in Loop: Header=BB189_1075 Depth=1
	s_or_b32 exec_lo, exec_lo, s19
	s_delay_alu instid0(VALU_DEP_1) | instskip(NEXT) | instid1(VALU_DEP_2)
	v_dual_lshlrev_b32 v1, 24, v9 :: v_dual_lshlrev_b32 v9, 20, v42
	v_lshl_add_u32 v0, v0, 23, 0x3c000000
	s_delay_alu instid0(VALU_DEP_2) | instskip(NEXT) | instid1(VALU_DEP_1)
	v_and_b32_e32 v1, 0x80000000, v1
	v_or3_b32 v42, v9, v1, v0
	s_delay_alu instid0(VALU_DEP_1)
	v_mov_b64_e32 v[82:83], v[42:43]
.LBB189_2016:                           ;   in Loop: Header=BB189_1075 Depth=1
	s_or_b32 exec_lo, exec_lo, s18
.LBB189_2017:                           ;   in Loop: Header=BB189_1075 Depth=1
	s_delay_alu instid0(SALU_CYCLE_1)
	s_or_b32 exec_lo, exec_lo, s17
.LBB189_2018:                           ;   in Loop: Header=BB189_1075 Depth=1
	s_delay_alu instid0(SALU_CYCLE_1) | instskip(NEXT) | instid1(SALU_CYCLE_1)
	s_or_b32 exec_lo, exec_lo, s16
	s_mov_b32 s16, exec_lo
	v_cmpx_lt_u32_e32 0xffffff, v8
	s_cbranch_execz .LBB189_2026
; %bb.2019:                             ;   in Loop: Header=BB189_1075 Depth=1
	v_mov_b64_e32 v[68:69], 0x8000000000000000
	v_lshrrev_b32_e32 v0, 24, v8
	s_mov_b32 s17, exec_lo
	s_delay_alu instid0(VALU_DEP_1)
	v_cmpx_ne_u32_e32 0x80, v0
	s_cbranch_execz .LBB189_2025
; %bb.2020:                             ;   in Loop: Header=BB189_1075 Depth=1
	v_mov_b64_e32 v[68:69], 0x7f80000100000000
	v_bfe_u32 v8, v8, 24, 7
	s_mov_b32 s18, exec_lo
	s_delay_alu instid0(VALU_DEP_1)
	v_cmpx_ne_u32_e32 0x7f, v8
	s_cbranch_execz .LBB189_2024
; %bb.2021:                             ;   in Loop: Header=BB189_1075 Depth=1
	v_and_b32_e32 v42, 7, v0
	v_lshrrev_b32_e32 v1, 3, v8
	s_mov_b32 s19, exec_lo
	v_cmpx_gt_u32_e32 8, v8
; %bb.2022:                             ;   in Loop: Header=BB189_1075 Depth=1
	s_delay_alu instid0(VALU_DEP_3) | instskip(NEXT) | instid1(VALU_DEP_1)
	v_clz_i32_u32_e32 v1, v42
	v_min_u32_e32 v1, 32, v1
	s_delay_alu instid0(VALU_DEP_1) | instskip(NEXT) | instid1(VALU_DEP_1)
	v_subrev_nc_u32_e32 v8, 28, v1
	v_lshlrev_b64_e32 v[8:9], v8, v[42:43]
	s_delay_alu instid0(VALU_DEP_1)
	v_dual_sub_nc_u32 v1, 29, v1 :: v_dual_bitop2_b32 v42, 7, v8 bitop3:0x40
; %bb.2023:                             ;   in Loop: Header=BB189_1075 Depth=1
	s_or_b32 exec_lo, exec_lo, s19
	s_delay_alu instid0(VALU_DEP_1) | instskip(NEXT) | instid1(VALU_DEP_2)
	v_dual_lshlrev_b32 v0, 24, v0 :: v_dual_lshlrev_b32 v8, 20, v42
	v_lshl_add_u32 v1, v1, 23, 0x3c000000
	v_mov_b32_e32 v68, v43
	s_delay_alu instid0(VALU_DEP_3) | instskip(NEXT) | instid1(VALU_DEP_1)
	v_and_b32_e32 v0, 0x80000000, v0
	v_or3_b32 v69, v8, v0, v1
.LBB189_2024:                           ;   in Loop: Header=BB189_1075 Depth=1
	s_or_b32 exec_lo, exec_lo, s18
.LBB189_2025:                           ;   in Loop: Header=BB189_1075 Depth=1
	s_delay_alu instid0(SALU_CYCLE_1)
	s_or_b32 exec_lo, exec_lo, s17
.LBB189_2026:                           ;   in Loop: Header=BB189_1075 Depth=1
	s_delay_alu instid0(SALU_CYCLE_1) | instskip(SKIP_4) | instid1(VALU_DEP_3)
	s_or_b32 exec_lo, exec_lo, s16
	v_or_b32_e32 v1, v65, v67
	v_or_b32_e32 v0, v64, v66
	;; [unrolled: 1-line block ×4, first 2 shown]
	v_pk_mul_f32 v[66:67], v[86:87], v[0:1]
	s_delay_alu instid0(VALU_DEP_2)
	v_pk_mul_f32 v[64:65], v[86:87], v[8:9]
	s_and_saveexec_b32 s16, vcc_lo
	s_cbranch_execz .LBB189_2028
; %bb.2027:                             ;   in Loop: Header=BB189_1075 Depth=1
	v_cmp_lt_i32_e64 s0, v47, v100
	s_delay_alu instid0(VALU_DEP_1) | instskip(SKIP_1) | instid1(VALU_DEP_1)
	v_cndmask_b32_e64 v66, 0, v66, s0
	v_cmp_lt_i32_e64 s0, v56, v100
	v_cndmask_b32_e64 v67, 0, v67, s0
	v_cmp_lt_i32_e64 s0, v41, v100
	s_delay_alu instid0(VALU_DEP_1) | instskip(SKIP_1) | instid1(VALU_DEP_1)
	v_cndmask_b32_e64 v64, 0, v64, s0
	v_cmp_lt_i32_e64 s0, v40, v100
	v_cndmask_b32_e64 v65, 0, v65, s0
.LBB189_2028:                           ;   in Loop: Header=BB189_1075 Depth=1
	s_or_b32 exec_lo, exec_lo, s16
	flat_load_b32 v8, v[118:119] offset:3584
	v_mov_b64_e32 v[82:83], 0
	v_mov_b64_e32 v[84:85], 0
	s_mov_b32 s16, exec_lo
	s_wait_loadcnt_dscnt 0x0
	v_and_b32_e32 v0, 0xff, v8
	s_wait_xcnt 0x0
	s_delay_alu instid0(VALU_DEP_1)
	v_cmpx_ne_u16_e32 0, v0
	s_cbranch_execz .LBB189_2036
; %bb.2029:                             ;   in Loop: Header=BB189_1075 Depth=1
	v_mov_b64_e32 v[84:85], 0x80000000
	s_mov_b32 s17, exec_lo
	v_cmpx_ne_u16_e32 0x80, v0
	s_cbranch_execz .LBB189_2035
; %bb.2030:                             ;   in Loop: Header=BB189_1075 Depth=1
	v_mov_b64_e32 v[84:85], 0x7f800001
	v_and_b32_e32 v1, 0x7f, v8
	s_mov_b32 s18, exec_lo
	s_delay_alu instid0(VALU_DEP_1)
	v_cmpx_ne_u32_e32 0x7f, v1
	s_cbranch_execz .LBB189_2034
; %bb.2031:                             ;   in Loop: Header=BB189_1075 Depth=1
	v_dual_lshrrev_b32 v0, 3, v1 :: v_dual_bitop2_b32 v42, 7, v8 bitop3:0x40
	s_mov_b32 s19, exec_lo
	v_cmpx_gt_u32_e32 8, v1
; %bb.2032:                             ;   in Loop: Header=BB189_1075 Depth=1
	s_delay_alu instid0(VALU_DEP_2) | instskip(NEXT) | instid1(VALU_DEP_1)
	v_clz_i32_u32_e32 v0, v42
	v_min_u32_e32 v0, 32, v0
	s_delay_alu instid0(VALU_DEP_1) | instskip(SKIP_1) | instid1(VALU_DEP_2)
	v_subrev_nc_u32_e32 v1, 28, v0
	v_sub_nc_u32_e32 v0, 29, v0
	v_lshlrev_b64_e32 v[68:69], v1, v[42:43]
	s_delay_alu instid0(VALU_DEP_1)
	v_and_b32_e32 v42, 7, v68
; %bb.2033:                             ;   in Loop: Header=BB189_1075 Depth=1
	s_or_b32 exec_lo, exec_lo, s19
	s_delay_alu instid0(VALU_DEP_1) | instskip(SKIP_1) | instid1(VALU_DEP_2)
	v_dual_lshlrev_b32 v1, 24, v8 :: v_dual_lshlrev_b32 v9, 20, v42
	v_lshl_add_u32 v0, v0, 23, 0x3c000000
	v_and_b32_e32 v1, 0x80000000, v1
	s_delay_alu instid0(VALU_DEP_1) | instskip(NEXT) | instid1(VALU_DEP_1)
	v_or3_b32 v42, v9, v1, v0
	v_mov_b64_e32 v[84:85], v[42:43]
.LBB189_2034:                           ;   in Loop: Header=BB189_1075 Depth=1
	s_or_b32 exec_lo, exec_lo, s18
.LBB189_2035:                           ;   in Loop: Header=BB189_1075 Depth=1
	s_delay_alu instid0(SALU_CYCLE_1)
	s_or_b32 exec_lo, exec_lo, s17
.LBB189_2036:                           ;   in Loop: Header=BB189_1075 Depth=1
	s_delay_alu instid0(SALU_CYCLE_1) | instskip(SKIP_2) | instid1(VALU_DEP_1)
	s_or_b32 exec_lo, exec_lo, s16
	v_lshrrev_b16 v0, 8, v8
	s_mov_b32 s16, exec_lo
	v_cmpx_ne_u16_e32 0, v0
	s_cbranch_execz .LBB189_2044
; %bb.2037:                             ;   in Loop: Header=BB189_1075 Depth=1
	v_mov_b64_e32 v[82:83], 0x8000000000000000
	s_mov_b32 s17, exec_lo
	v_cmpx_ne_u16_e32 0x80, v0
	s_cbranch_execz .LBB189_2043
; %bb.2038:                             ;   in Loop: Header=BB189_1075 Depth=1
	v_and_b32_e32 v0, 0xffff, v0
	v_mov_b64_e32 v[82:83], 0x7f80000100000000
	s_mov_b32 s18, exec_lo
	s_delay_alu instid0(VALU_DEP_2) | instskip(NEXT) | instid1(VALU_DEP_1)
	v_and_b32_e32 v1, 0x7f, v0
	v_cmpx_ne_u32_e32 0x7f, v1
	s_cbranch_execz .LBB189_2042
; %bb.2039:                             ;   in Loop: Header=BB189_1075 Depth=1
	v_dual_lshrrev_b32 v0, 3, v1 :: v_dual_bitop2_b32 v42, 7, v0 bitop3:0x40
	s_mov_b32 s19, exec_lo
	v_cmpx_gt_u32_e32 8, v1
; %bb.2040:                             ;   in Loop: Header=BB189_1075 Depth=1
	s_delay_alu instid0(VALU_DEP_2) | instskip(NEXT) | instid1(VALU_DEP_1)
	v_clz_i32_u32_e32 v0, v42
	v_min_u32_e32 v0, 32, v0
	s_delay_alu instid0(VALU_DEP_1) | instskip(SKIP_1) | instid1(VALU_DEP_2)
	v_subrev_nc_u32_e32 v1, 28, v0
	v_sub_nc_u32_e32 v0, 29, v0
	v_lshlrev_b64_e32 v[68:69], v1, v[42:43]
	s_delay_alu instid0(VALU_DEP_1)
	v_and_b32_e32 v42, 7, v68
; %bb.2041:                             ;   in Loop: Header=BB189_1075 Depth=1
	s_or_b32 exec_lo, exec_lo, s19
	s_delay_alu instid0(VALU_DEP_1) | instskip(SKIP_2) | instid1(VALU_DEP_3)
	v_dual_lshlrev_b32 v1, 16, v8 :: v_dual_lshlrev_b32 v9, 20, v42
	v_lshl_add_u32 v0, v0, 23, 0x3c000000
	v_mov_b32_e32 v82, v43
	v_and_b32_e32 v1, 0x80000000, v1
	s_delay_alu instid0(VALU_DEP_1)
	v_or3_b32 v83, v9, v1, v0
.LBB189_2042:                           ;   in Loop: Header=BB189_1075 Depth=1
	s_or_b32 exec_lo, exec_lo, s18
.LBB189_2043:                           ;   in Loop: Header=BB189_1075 Depth=1
	s_delay_alu instid0(SALU_CYCLE_1)
	s_or_b32 exec_lo, exec_lo, s17
.LBB189_2044:                           ;   in Loop: Header=BB189_1075 Depth=1
	s_delay_alu instid0(SALU_CYCLE_1) | instskip(SKIP_4) | instid1(VALU_DEP_3)
	s_or_b32 exec_lo, exec_lo, s16
	v_lshrrev_b32_e32 v9, 16, v8
	v_mov_b64_e32 v[68:69], 0
	v_mov_b64_e32 v[96:97], 0
	s_mov_b32 s16, exec_lo
	v_and_b32_e32 v0, 0xff, v9
	s_delay_alu instid0(VALU_DEP_1)
	v_cmpx_ne_u16_e32 0, v0
	s_cbranch_execz .LBB189_2052
; %bb.2045:                             ;   in Loop: Header=BB189_1075 Depth=1
	v_mov_b64_e32 v[96:97], 0x80000000
	s_mov_b32 s17, exec_lo
	v_cmpx_ne_u16_e32 0x80, v0
	s_cbranch_execz .LBB189_2051
; %bb.2046:                             ;   in Loop: Header=BB189_1075 Depth=1
	v_mov_b64_e32 v[96:97], 0x7f800001
	v_bfe_u32 v1, v8, 16, 7
	s_mov_b32 s18, exec_lo
	s_delay_alu instid0(VALU_DEP_1)
	v_cmpx_ne_u32_e32 0x7f, v1
	s_cbranch_execz .LBB189_2050
; %bb.2047:                             ;   in Loop: Header=BB189_1075 Depth=1
	v_and_b32_e32 v42, 7, v9
	v_lshrrev_b32_e32 v0, 3, v1
	s_mov_b32 s19, exec_lo
	v_cmpx_gt_u32_e32 8, v1
; %bb.2048:                             ;   in Loop: Header=BB189_1075 Depth=1
	s_delay_alu instid0(VALU_DEP_3) | instskip(NEXT) | instid1(VALU_DEP_1)
	v_clz_i32_u32_e32 v0, v42
	v_min_u32_e32 v0, 32, v0
	s_delay_alu instid0(VALU_DEP_1) | instskip(SKIP_1) | instid1(VALU_DEP_2)
	v_subrev_nc_u32_e32 v1, 28, v0
	v_sub_nc_u32_e32 v0, 29, v0
	v_lshlrev_b64_e32 v[96:97], v1, v[42:43]
	s_delay_alu instid0(VALU_DEP_1)
	v_and_b32_e32 v42, 7, v96
; %bb.2049:                             ;   in Loop: Header=BB189_1075 Depth=1
	s_or_b32 exec_lo, exec_lo, s19
	s_delay_alu instid0(VALU_DEP_1) | instskip(SKIP_1) | instid1(VALU_DEP_2)
	v_dual_lshlrev_b32 v1, 24, v9 :: v_dual_lshlrev_b32 v9, 20, v42
	v_lshl_add_u32 v0, v0, 23, 0x3c000000
	v_and_b32_e32 v1, 0x80000000, v1
	s_delay_alu instid0(VALU_DEP_1) | instskip(NEXT) | instid1(VALU_DEP_1)
	v_or3_b32 v42, v9, v1, v0
	v_mov_b64_e32 v[96:97], v[42:43]
.LBB189_2050:                           ;   in Loop: Header=BB189_1075 Depth=1
	s_or_b32 exec_lo, exec_lo, s18
.LBB189_2051:                           ;   in Loop: Header=BB189_1075 Depth=1
	s_delay_alu instid0(SALU_CYCLE_1)
	s_or_b32 exec_lo, exec_lo, s17
.LBB189_2052:                           ;   in Loop: Header=BB189_1075 Depth=1
	s_delay_alu instid0(SALU_CYCLE_1) | instskip(NEXT) | instid1(SALU_CYCLE_1)
	s_or_b32 exec_lo, exec_lo, s16
	s_mov_b32 s16, exec_lo
	v_cmpx_lt_u32_e32 0xffffff, v8
	s_cbranch_execz .LBB189_2060
; %bb.2053:                             ;   in Loop: Header=BB189_1075 Depth=1
	v_mov_b64_e32 v[68:69], 0x8000000000000000
	v_lshrrev_b32_e32 v0, 24, v8
	s_mov_b32 s17, exec_lo
	s_delay_alu instid0(VALU_DEP_1)
	v_cmpx_ne_u32_e32 0x80, v0
	s_cbranch_execz .LBB189_2059
; %bb.2054:                             ;   in Loop: Header=BB189_1075 Depth=1
	v_mov_b64_e32 v[68:69], 0x7f80000100000000
	v_bfe_u32 v8, v8, 24, 7
	s_mov_b32 s18, exec_lo
	s_delay_alu instid0(VALU_DEP_1)
	v_cmpx_ne_u32_e32 0x7f, v8
	s_cbranch_execz .LBB189_2058
; %bb.2055:                             ;   in Loop: Header=BB189_1075 Depth=1
	v_and_b32_e32 v42, 7, v0
	v_lshrrev_b32_e32 v1, 3, v8
	s_mov_b32 s19, exec_lo
	v_cmpx_gt_u32_e32 8, v8
; %bb.2056:                             ;   in Loop: Header=BB189_1075 Depth=1
	s_delay_alu instid0(VALU_DEP_3) | instskip(NEXT) | instid1(VALU_DEP_1)
	v_clz_i32_u32_e32 v1, v42
	v_min_u32_e32 v1, 32, v1
	s_delay_alu instid0(VALU_DEP_1) | instskip(NEXT) | instid1(VALU_DEP_1)
	v_subrev_nc_u32_e32 v8, 28, v1
	v_lshlrev_b64_e32 v[8:9], v8, v[42:43]
	s_delay_alu instid0(VALU_DEP_1)
	v_dual_sub_nc_u32 v1, 29, v1 :: v_dual_bitop2_b32 v42, 7, v8 bitop3:0x40
; %bb.2057:                             ;   in Loop: Header=BB189_1075 Depth=1
	s_or_b32 exec_lo, exec_lo, s19
	s_delay_alu instid0(VALU_DEP_1) | instskip(NEXT) | instid1(VALU_DEP_2)
	v_dual_lshlrev_b32 v0, 24, v0 :: v_dual_lshlrev_b32 v8, 20, v42
	v_lshl_add_u32 v1, v1, 23, 0x3c000000
	v_mov_b32_e32 v68, v43
	s_delay_alu instid0(VALU_DEP_3) | instskip(NEXT) | instid1(VALU_DEP_1)
	v_and_b32_e32 v0, 0x80000000, v0
	v_or3_b32 v69, v8, v0, v1
.LBB189_2058:                           ;   in Loop: Header=BB189_1075 Depth=1
	s_or_b32 exec_lo, exec_lo, s18
.LBB189_2059:                           ;   in Loop: Header=BB189_1075 Depth=1
	s_delay_alu instid0(SALU_CYCLE_1)
	s_or_b32 exec_lo, exec_lo, s17
.LBB189_2060:                           ;   in Loop: Header=BB189_1075 Depth=1
	s_delay_alu instid0(SALU_CYCLE_1) | instskip(SKIP_4) | instid1(VALU_DEP_3)
	s_or_b32 exec_lo, exec_lo, s16
	v_or_b32_e32 v1, v83, v85
	v_or_b32_e32 v0, v82, v84
	;; [unrolled: 1-line block ×4, first 2 shown]
	v_pk_mul_f32 v[84:85], v[86:87], v[0:1]
	s_delay_alu instid0(VALU_DEP_2)
	v_pk_mul_f32 v[82:83], v[86:87], v[8:9]
	s_and_saveexec_b32 s16, vcc_lo
	s_cbranch_execz .LBB189_2062
; %bb.2061:                             ;   in Loop: Header=BB189_1075 Depth=1
	v_cmp_lt_i32_e64 s0, v47, v100
	s_delay_alu instid0(VALU_DEP_1) | instskip(SKIP_1) | instid1(VALU_DEP_1)
	v_cndmask_b32_e64 v84, 0, v84, s0
	v_cmp_lt_i32_e64 s0, v56, v100
	v_cndmask_b32_e64 v85, 0, v85, s0
	v_cmp_lt_i32_e64 s0, v41, v100
	s_delay_alu instid0(VALU_DEP_1) | instskip(SKIP_1) | instid1(VALU_DEP_1)
	v_cndmask_b32_e64 v82, 0, v82, s0
	v_cmp_lt_i32_e64 s0, v40, v100
	v_cndmask_b32_e64 v83, 0, v83, s0
.LBB189_2062:                           ;   in Loop: Header=BB189_1075 Depth=1
	s_or_b32 exec_lo, exec_lo, s16
	flat_load_b32 v8, v[118:119] offset:3712
	v_mov_b64_e32 v[96:97], 0
	v_mov_b64_e32 v[98:99], 0
	s_mov_b32 s16, exec_lo
	s_wait_loadcnt_dscnt 0x0
	v_and_b32_e32 v0, 0xff, v8
	s_wait_xcnt 0x0
	s_delay_alu instid0(VALU_DEP_1)
	v_cmpx_ne_u16_e32 0, v0
	s_cbranch_execz .LBB189_2070
; %bb.2063:                             ;   in Loop: Header=BB189_1075 Depth=1
	v_mov_b64_e32 v[98:99], 0x80000000
	s_mov_b32 s17, exec_lo
	v_cmpx_ne_u16_e32 0x80, v0
	s_cbranch_execz .LBB189_2069
; %bb.2064:                             ;   in Loop: Header=BB189_1075 Depth=1
	v_mov_b64_e32 v[98:99], 0x7f800001
	v_and_b32_e32 v1, 0x7f, v8
	s_mov_b32 s18, exec_lo
	s_delay_alu instid0(VALU_DEP_1)
	v_cmpx_ne_u32_e32 0x7f, v1
	s_cbranch_execz .LBB189_2068
; %bb.2065:                             ;   in Loop: Header=BB189_1075 Depth=1
	v_dual_lshrrev_b32 v0, 3, v1 :: v_dual_bitop2_b32 v42, 7, v8 bitop3:0x40
	s_mov_b32 s19, exec_lo
	v_cmpx_gt_u32_e32 8, v1
; %bb.2066:                             ;   in Loop: Header=BB189_1075 Depth=1
	s_delay_alu instid0(VALU_DEP_2) | instskip(NEXT) | instid1(VALU_DEP_1)
	v_clz_i32_u32_e32 v0, v42
	v_min_u32_e32 v0, 32, v0
	s_delay_alu instid0(VALU_DEP_1) | instskip(SKIP_1) | instid1(VALU_DEP_2)
	v_subrev_nc_u32_e32 v1, 28, v0
	v_sub_nc_u32_e32 v0, 29, v0
	v_lshlrev_b64_e32 v[68:69], v1, v[42:43]
	s_delay_alu instid0(VALU_DEP_1)
	v_and_b32_e32 v42, 7, v68
; %bb.2067:                             ;   in Loop: Header=BB189_1075 Depth=1
	s_or_b32 exec_lo, exec_lo, s19
	s_delay_alu instid0(VALU_DEP_1) | instskip(SKIP_1) | instid1(VALU_DEP_2)
	v_dual_lshlrev_b32 v1, 24, v8 :: v_dual_lshlrev_b32 v9, 20, v42
	v_lshl_add_u32 v0, v0, 23, 0x3c000000
	v_and_b32_e32 v1, 0x80000000, v1
	s_delay_alu instid0(VALU_DEP_1) | instskip(NEXT) | instid1(VALU_DEP_1)
	v_or3_b32 v42, v9, v1, v0
	v_mov_b64_e32 v[98:99], v[42:43]
.LBB189_2068:                           ;   in Loop: Header=BB189_1075 Depth=1
	s_or_b32 exec_lo, exec_lo, s18
.LBB189_2069:                           ;   in Loop: Header=BB189_1075 Depth=1
	s_delay_alu instid0(SALU_CYCLE_1)
	s_or_b32 exec_lo, exec_lo, s17
.LBB189_2070:                           ;   in Loop: Header=BB189_1075 Depth=1
	s_delay_alu instid0(SALU_CYCLE_1) | instskip(SKIP_2) | instid1(VALU_DEP_1)
	s_or_b32 exec_lo, exec_lo, s16
	v_lshrrev_b16 v0, 8, v8
	s_mov_b32 s16, exec_lo
	v_cmpx_ne_u16_e32 0, v0
	s_cbranch_execz .LBB189_2078
; %bb.2071:                             ;   in Loop: Header=BB189_1075 Depth=1
	v_mov_b64_e32 v[96:97], 0x8000000000000000
	s_mov_b32 s17, exec_lo
	v_cmpx_ne_u16_e32 0x80, v0
	s_cbranch_execz .LBB189_2077
; %bb.2072:                             ;   in Loop: Header=BB189_1075 Depth=1
	v_and_b32_e32 v0, 0xffff, v0
	v_mov_b64_e32 v[96:97], 0x7f80000100000000
	s_mov_b32 s18, exec_lo
	s_delay_alu instid0(VALU_DEP_2) | instskip(NEXT) | instid1(VALU_DEP_1)
	v_and_b32_e32 v1, 0x7f, v0
	v_cmpx_ne_u32_e32 0x7f, v1
	s_cbranch_execz .LBB189_2076
; %bb.2073:                             ;   in Loop: Header=BB189_1075 Depth=1
	v_dual_lshrrev_b32 v0, 3, v1 :: v_dual_bitop2_b32 v42, 7, v0 bitop3:0x40
	s_mov_b32 s19, exec_lo
	v_cmpx_gt_u32_e32 8, v1
; %bb.2074:                             ;   in Loop: Header=BB189_1075 Depth=1
	s_delay_alu instid0(VALU_DEP_2) | instskip(NEXT) | instid1(VALU_DEP_1)
	v_clz_i32_u32_e32 v0, v42
	v_min_u32_e32 v0, 32, v0
	s_delay_alu instid0(VALU_DEP_1) | instskip(SKIP_1) | instid1(VALU_DEP_2)
	v_subrev_nc_u32_e32 v1, 28, v0
	v_sub_nc_u32_e32 v0, 29, v0
	v_lshlrev_b64_e32 v[68:69], v1, v[42:43]
	s_delay_alu instid0(VALU_DEP_1)
	v_and_b32_e32 v42, 7, v68
; %bb.2075:                             ;   in Loop: Header=BB189_1075 Depth=1
	s_or_b32 exec_lo, exec_lo, s19
	s_delay_alu instid0(VALU_DEP_1) | instskip(SKIP_2) | instid1(VALU_DEP_3)
	v_dual_lshlrev_b32 v1, 16, v8 :: v_dual_lshlrev_b32 v9, 20, v42
	v_lshl_add_u32 v0, v0, 23, 0x3c000000
	v_mov_b32_e32 v96, v43
	v_and_b32_e32 v1, 0x80000000, v1
	s_delay_alu instid0(VALU_DEP_1)
	v_or3_b32 v97, v9, v1, v0
.LBB189_2076:                           ;   in Loop: Header=BB189_1075 Depth=1
	s_or_b32 exec_lo, exec_lo, s18
.LBB189_2077:                           ;   in Loop: Header=BB189_1075 Depth=1
	s_delay_alu instid0(SALU_CYCLE_1)
	s_or_b32 exec_lo, exec_lo, s17
.LBB189_2078:                           ;   in Loop: Header=BB189_1075 Depth=1
	s_delay_alu instid0(SALU_CYCLE_1) | instskip(SKIP_4) | instid1(VALU_DEP_3)
	s_or_b32 exec_lo, exec_lo, s16
	v_lshrrev_b32_e32 v9, 16, v8
	v_mov_b64_e32 v[68:69], 0
	v_mov_b64_e32 v[114:115], 0
	s_mov_b32 s16, exec_lo
	v_and_b32_e32 v0, 0xff, v9
	s_delay_alu instid0(VALU_DEP_1)
	v_cmpx_ne_u16_e32 0, v0
	s_cbranch_execz .LBB189_2086
; %bb.2079:                             ;   in Loop: Header=BB189_1075 Depth=1
	v_mov_b64_e32 v[114:115], 0x80000000
	s_mov_b32 s17, exec_lo
	v_cmpx_ne_u16_e32 0x80, v0
	s_cbranch_execz .LBB189_2085
; %bb.2080:                             ;   in Loop: Header=BB189_1075 Depth=1
	v_mov_b64_e32 v[114:115], 0x7f800001
	v_bfe_u32 v1, v8, 16, 7
	s_mov_b32 s18, exec_lo
	s_delay_alu instid0(VALU_DEP_1)
	v_cmpx_ne_u32_e32 0x7f, v1
	s_cbranch_execz .LBB189_2084
; %bb.2081:                             ;   in Loop: Header=BB189_1075 Depth=1
	v_and_b32_e32 v42, 7, v9
	v_lshrrev_b32_e32 v0, 3, v1
	s_mov_b32 s19, exec_lo
	v_cmpx_gt_u32_e32 8, v1
; %bb.2082:                             ;   in Loop: Header=BB189_1075 Depth=1
	s_delay_alu instid0(VALU_DEP_3) | instskip(NEXT) | instid1(VALU_DEP_1)
	v_clz_i32_u32_e32 v0, v42
	v_min_u32_e32 v0, 32, v0
	s_delay_alu instid0(VALU_DEP_1) | instskip(NEXT) | instid1(VALU_DEP_1)
	v_subrev_nc_u32_e32 v1, 28, v0
	v_lshlrev_b64_e32 v[114:115], v1, v[42:43]
	s_delay_alu instid0(VALU_DEP_1)
	v_dual_sub_nc_u32 v0, 29, v0 :: v_dual_bitop2_b32 v42, 7, v114 bitop3:0x40
; %bb.2083:                             ;   in Loop: Header=BB189_1075 Depth=1
	s_or_b32 exec_lo, exec_lo, s19
	s_delay_alu instid0(VALU_DEP_1) | instskip(NEXT) | instid1(VALU_DEP_2)
	v_dual_lshlrev_b32 v1, 24, v9 :: v_dual_lshlrev_b32 v9, 20, v42
	v_lshl_add_u32 v0, v0, 23, 0x3c000000
	s_delay_alu instid0(VALU_DEP_2) | instskip(NEXT) | instid1(VALU_DEP_1)
	v_and_b32_e32 v1, 0x80000000, v1
	v_or3_b32 v42, v9, v1, v0
	s_delay_alu instid0(VALU_DEP_1)
	v_mov_b64_e32 v[114:115], v[42:43]
.LBB189_2084:                           ;   in Loop: Header=BB189_1075 Depth=1
	s_or_b32 exec_lo, exec_lo, s18
.LBB189_2085:                           ;   in Loop: Header=BB189_1075 Depth=1
	s_delay_alu instid0(SALU_CYCLE_1)
	s_or_b32 exec_lo, exec_lo, s17
.LBB189_2086:                           ;   in Loop: Header=BB189_1075 Depth=1
	s_delay_alu instid0(SALU_CYCLE_1) | instskip(NEXT) | instid1(SALU_CYCLE_1)
	s_or_b32 exec_lo, exec_lo, s16
	s_mov_b32 s16, exec_lo
	v_cmpx_lt_u32_e32 0xffffff, v8
	s_cbranch_execz .LBB189_2094
; %bb.2087:                             ;   in Loop: Header=BB189_1075 Depth=1
	v_mov_b64_e32 v[68:69], 0x8000000000000000
	v_lshrrev_b32_e32 v0, 24, v8
	s_mov_b32 s17, exec_lo
	s_delay_alu instid0(VALU_DEP_1)
	v_cmpx_ne_u32_e32 0x80, v0
	s_cbranch_execz .LBB189_2093
; %bb.2088:                             ;   in Loop: Header=BB189_1075 Depth=1
	v_mov_b64_e32 v[68:69], 0x7f80000100000000
	v_bfe_u32 v8, v8, 24, 7
	s_mov_b32 s18, exec_lo
	s_delay_alu instid0(VALU_DEP_1)
	v_cmpx_ne_u32_e32 0x7f, v8
	s_cbranch_execz .LBB189_2092
; %bb.2089:                             ;   in Loop: Header=BB189_1075 Depth=1
	v_and_b32_e32 v42, 7, v0
	v_lshrrev_b32_e32 v1, 3, v8
	s_mov_b32 s19, exec_lo
	v_cmpx_gt_u32_e32 8, v8
; %bb.2090:                             ;   in Loop: Header=BB189_1075 Depth=1
	s_delay_alu instid0(VALU_DEP_3) | instskip(NEXT) | instid1(VALU_DEP_1)
	v_clz_i32_u32_e32 v1, v42
	v_min_u32_e32 v1, 32, v1
	s_delay_alu instid0(VALU_DEP_1) | instskip(NEXT) | instid1(VALU_DEP_1)
	v_subrev_nc_u32_e32 v8, 28, v1
	v_lshlrev_b64_e32 v[8:9], v8, v[42:43]
	s_delay_alu instid0(VALU_DEP_1)
	v_dual_sub_nc_u32 v1, 29, v1 :: v_dual_bitop2_b32 v42, 7, v8 bitop3:0x40
; %bb.2091:                             ;   in Loop: Header=BB189_1075 Depth=1
	s_or_b32 exec_lo, exec_lo, s19
	s_delay_alu instid0(VALU_DEP_1) | instskip(NEXT) | instid1(VALU_DEP_2)
	v_dual_lshlrev_b32 v0, 24, v0 :: v_dual_lshlrev_b32 v8, 20, v42
	v_lshl_add_u32 v1, v1, 23, 0x3c000000
	v_mov_b32_e32 v68, v43
	s_delay_alu instid0(VALU_DEP_3) | instskip(NEXT) | instid1(VALU_DEP_1)
	v_and_b32_e32 v0, 0x80000000, v0
	v_or3_b32 v69, v8, v0, v1
.LBB189_2092:                           ;   in Loop: Header=BB189_1075 Depth=1
	s_or_b32 exec_lo, exec_lo, s18
.LBB189_2093:                           ;   in Loop: Header=BB189_1075 Depth=1
	s_delay_alu instid0(SALU_CYCLE_1)
	s_or_b32 exec_lo, exec_lo, s17
.LBB189_2094:                           ;   in Loop: Header=BB189_1075 Depth=1
	s_delay_alu instid0(SALU_CYCLE_1) | instskip(SKIP_4) | instid1(VALU_DEP_3)
	s_or_b32 exec_lo, exec_lo, s16
	v_or_b32_e32 v1, v97, v99
	v_or_b32_e32 v0, v96, v98
	;; [unrolled: 1-line block ×4, first 2 shown]
	v_pk_mul_f32 v[98:99], v[86:87], v[0:1]
	s_delay_alu instid0(VALU_DEP_2)
	v_pk_mul_f32 v[96:97], v[86:87], v[8:9]
	s_and_saveexec_b32 s16, vcc_lo
	s_cbranch_execz .LBB189_2096
; %bb.2095:                             ;   in Loop: Header=BB189_1075 Depth=1
	v_cmp_lt_i32_e64 s0, v47, v100
	s_delay_alu instid0(VALU_DEP_1) | instskip(SKIP_1) | instid1(VALU_DEP_1)
	v_cndmask_b32_e64 v98, 0, v98, s0
	v_cmp_lt_i32_e64 s0, v56, v100
	v_cndmask_b32_e64 v99, 0, v99, s0
	v_cmp_lt_i32_e64 s0, v41, v100
	s_delay_alu instid0(VALU_DEP_1) | instskip(SKIP_1) | instid1(VALU_DEP_1)
	v_cndmask_b32_e64 v96, 0, v96, s0
	v_cmp_lt_i32_e64 s0, v40, v100
	v_cndmask_b32_e64 v97, 0, v97, s0
.LBB189_2096:                           ;   in Loop: Header=BB189_1075 Depth=1
	s_or_b32 exec_lo, exec_lo, s16
	flat_load_b32 v8, v[118:119] offset:3840
	v_mov_b64_e32 v[114:115], 0
	v_mov_b64_e32 v[116:117], 0
	s_mov_b32 s16, exec_lo
	s_wait_loadcnt_dscnt 0x0
	v_and_b32_e32 v0, 0xff, v8
	s_wait_xcnt 0x0
	s_delay_alu instid0(VALU_DEP_1)
	v_cmpx_ne_u16_e32 0, v0
	s_cbranch_execz .LBB189_2104
; %bb.2097:                             ;   in Loop: Header=BB189_1075 Depth=1
	v_mov_b64_e32 v[116:117], 0x80000000
	s_mov_b32 s17, exec_lo
	v_cmpx_ne_u16_e32 0x80, v0
	s_cbranch_execz .LBB189_2103
; %bb.2098:                             ;   in Loop: Header=BB189_1075 Depth=1
	v_mov_b64_e32 v[116:117], 0x7f800001
	v_and_b32_e32 v1, 0x7f, v8
	s_mov_b32 s18, exec_lo
	s_delay_alu instid0(VALU_DEP_1)
	v_cmpx_ne_u32_e32 0x7f, v1
	s_cbranch_execz .LBB189_2102
; %bb.2099:                             ;   in Loop: Header=BB189_1075 Depth=1
	v_dual_lshrrev_b32 v0, 3, v1 :: v_dual_bitop2_b32 v42, 7, v8 bitop3:0x40
	s_mov_b32 s19, exec_lo
	v_cmpx_gt_u32_e32 8, v1
; %bb.2100:                             ;   in Loop: Header=BB189_1075 Depth=1
	s_delay_alu instid0(VALU_DEP_2) | instskip(NEXT) | instid1(VALU_DEP_1)
	v_clz_i32_u32_e32 v0, v42
	v_min_u32_e32 v0, 32, v0
	s_delay_alu instid0(VALU_DEP_1) | instskip(SKIP_1) | instid1(VALU_DEP_2)
	v_subrev_nc_u32_e32 v1, 28, v0
	v_sub_nc_u32_e32 v0, 29, v0
	v_lshlrev_b64_e32 v[68:69], v1, v[42:43]
	s_delay_alu instid0(VALU_DEP_1)
	v_and_b32_e32 v42, 7, v68
; %bb.2101:                             ;   in Loop: Header=BB189_1075 Depth=1
	s_or_b32 exec_lo, exec_lo, s19
	s_delay_alu instid0(VALU_DEP_1) | instskip(SKIP_1) | instid1(VALU_DEP_2)
	v_dual_lshlrev_b32 v1, 24, v8 :: v_dual_lshlrev_b32 v9, 20, v42
	v_lshl_add_u32 v0, v0, 23, 0x3c000000
	v_and_b32_e32 v1, 0x80000000, v1
	s_delay_alu instid0(VALU_DEP_1) | instskip(NEXT) | instid1(VALU_DEP_1)
	v_or3_b32 v42, v9, v1, v0
	v_mov_b64_e32 v[116:117], v[42:43]
.LBB189_2102:                           ;   in Loop: Header=BB189_1075 Depth=1
	s_or_b32 exec_lo, exec_lo, s18
.LBB189_2103:                           ;   in Loop: Header=BB189_1075 Depth=1
	s_delay_alu instid0(SALU_CYCLE_1)
	s_or_b32 exec_lo, exec_lo, s17
.LBB189_2104:                           ;   in Loop: Header=BB189_1075 Depth=1
	s_delay_alu instid0(SALU_CYCLE_1) | instskip(SKIP_2) | instid1(VALU_DEP_1)
	s_or_b32 exec_lo, exec_lo, s16
	v_lshrrev_b16 v0, 8, v8
	s_mov_b32 s16, exec_lo
	v_cmpx_ne_u16_e32 0, v0
	s_cbranch_execz .LBB189_2112
; %bb.2105:                             ;   in Loop: Header=BB189_1075 Depth=1
	v_mov_b64_e32 v[114:115], 0x8000000000000000
	s_mov_b32 s17, exec_lo
	v_cmpx_ne_u16_e32 0x80, v0
	s_cbranch_execz .LBB189_2111
; %bb.2106:                             ;   in Loop: Header=BB189_1075 Depth=1
	v_and_b32_e32 v0, 0xffff, v0
	v_mov_b64_e32 v[114:115], 0x7f80000100000000
	s_mov_b32 s18, exec_lo
	s_delay_alu instid0(VALU_DEP_2) | instskip(NEXT) | instid1(VALU_DEP_1)
	v_and_b32_e32 v1, 0x7f, v0
	v_cmpx_ne_u32_e32 0x7f, v1
	s_cbranch_execz .LBB189_2110
; %bb.2107:                             ;   in Loop: Header=BB189_1075 Depth=1
	v_dual_lshrrev_b32 v0, 3, v1 :: v_dual_bitop2_b32 v42, 7, v0 bitop3:0x40
	s_mov_b32 s19, exec_lo
	v_cmpx_gt_u32_e32 8, v1
; %bb.2108:                             ;   in Loop: Header=BB189_1075 Depth=1
	s_delay_alu instid0(VALU_DEP_2) | instskip(NEXT) | instid1(VALU_DEP_1)
	v_clz_i32_u32_e32 v0, v42
	v_min_u32_e32 v0, 32, v0
	s_delay_alu instid0(VALU_DEP_1) | instskip(SKIP_1) | instid1(VALU_DEP_2)
	v_subrev_nc_u32_e32 v1, 28, v0
	v_sub_nc_u32_e32 v0, 29, v0
	v_lshlrev_b64_e32 v[68:69], v1, v[42:43]
	s_delay_alu instid0(VALU_DEP_1)
	v_and_b32_e32 v42, 7, v68
; %bb.2109:                             ;   in Loop: Header=BB189_1075 Depth=1
	s_or_b32 exec_lo, exec_lo, s19
	s_delay_alu instid0(VALU_DEP_1) | instskip(SKIP_2) | instid1(VALU_DEP_3)
	v_dual_lshlrev_b32 v1, 16, v8 :: v_dual_lshlrev_b32 v9, 20, v42
	v_lshl_add_u32 v0, v0, 23, 0x3c000000
	v_mov_b32_e32 v114, v43
	v_and_b32_e32 v1, 0x80000000, v1
	s_delay_alu instid0(VALU_DEP_1)
	v_or3_b32 v115, v9, v1, v0
.LBB189_2110:                           ;   in Loop: Header=BB189_1075 Depth=1
	s_or_b32 exec_lo, exec_lo, s18
.LBB189_2111:                           ;   in Loop: Header=BB189_1075 Depth=1
	s_delay_alu instid0(SALU_CYCLE_1)
	s_or_b32 exec_lo, exec_lo, s17
.LBB189_2112:                           ;   in Loop: Header=BB189_1075 Depth=1
	s_delay_alu instid0(SALU_CYCLE_1) | instskip(SKIP_4) | instid1(VALU_DEP_3)
	s_or_b32 exec_lo, exec_lo, s16
	v_lshrrev_b32_e32 v9, 16, v8
	v_mov_b64_e32 v[68:69], 0
	v_mov_b64_e32 v[118:119], 0
	s_mov_b32 s16, exec_lo
	v_and_b32_e32 v0, 0xff, v9
	s_delay_alu instid0(VALU_DEP_1)
	v_cmpx_ne_u16_e32 0, v0
	s_cbranch_execz .LBB189_2120
; %bb.2113:                             ;   in Loop: Header=BB189_1075 Depth=1
	v_mov_b64_e32 v[118:119], 0x80000000
	s_mov_b32 s17, exec_lo
	v_cmpx_ne_u16_e32 0x80, v0
	s_cbranch_execz .LBB189_2119
; %bb.2114:                             ;   in Loop: Header=BB189_1075 Depth=1
	v_mov_b64_e32 v[118:119], 0x7f800001
	v_bfe_u32 v1, v8, 16, 7
	s_mov_b32 s18, exec_lo
	s_delay_alu instid0(VALU_DEP_1)
	v_cmpx_ne_u32_e32 0x7f, v1
	s_cbranch_execz .LBB189_2118
; %bb.2115:                             ;   in Loop: Header=BB189_1075 Depth=1
	v_and_b32_e32 v42, 7, v9
	v_lshrrev_b32_e32 v0, 3, v1
	s_mov_b32 s19, exec_lo
	v_cmpx_gt_u32_e32 8, v1
; %bb.2116:                             ;   in Loop: Header=BB189_1075 Depth=1
	s_delay_alu instid0(VALU_DEP_3) | instskip(NEXT) | instid1(VALU_DEP_1)
	v_clz_i32_u32_e32 v0, v42
	v_min_u32_e32 v0, 32, v0
	s_delay_alu instid0(VALU_DEP_1) | instskip(NEXT) | instid1(VALU_DEP_1)
	v_subrev_nc_u32_e32 v1, 28, v0
	v_lshlrev_b64_e32 v[118:119], v1, v[42:43]
	s_delay_alu instid0(VALU_DEP_1)
	v_dual_sub_nc_u32 v0, 29, v0 :: v_dual_bitop2_b32 v42, 7, v118 bitop3:0x40
; %bb.2117:                             ;   in Loop: Header=BB189_1075 Depth=1
	s_or_b32 exec_lo, exec_lo, s19
	s_delay_alu instid0(VALU_DEP_1) | instskip(NEXT) | instid1(VALU_DEP_2)
	v_dual_lshlrev_b32 v1, 24, v9 :: v_dual_lshlrev_b32 v9, 20, v42
	v_lshl_add_u32 v0, v0, 23, 0x3c000000
	s_delay_alu instid0(VALU_DEP_2) | instskip(NEXT) | instid1(VALU_DEP_1)
	v_and_b32_e32 v1, 0x80000000, v1
	v_or3_b32 v42, v9, v1, v0
	s_delay_alu instid0(VALU_DEP_1)
	v_mov_b64_e32 v[118:119], v[42:43]
.LBB189_2118:                           ;   in Loop: Header=BB189_1075 Depth=1
	s_or_b32 exec_lo, exec_lo, s18
.LBB189_2119:                           ;   in Loop: Header=BB189_1075 Depth=1
	s_delay_alu instid0(SALU_CYCLE_1)
	s_or_b32 exec_lo, exec_lo, s17
.LBB189_2120:                           ;   in Loop: Header=BB189_1075 Depth=1
	s_delay_alu instid0(SALU_CYCLE_1) | instskip(NEXT) | instid1(SALU_CYCLE_1)
	s_or_b32 exec_lo, exec_lo, s16
	s_mov_b32 s16, exec_lo
	v_cmpx_lt_u32_e32 0xffffff, v8
	s_cbranch_execz .LBB189_2128
; %bb.2121:                             ;   in Loop: Header=BB189_1075 Depth=1
	v_mov_b64_e32 v[68:69], 0x8000000000000000
	v_lshrrev_b32_e32 v0, 24, v8
	s_mov_b32 s17, exec_lo
	s_delay_alu instid0(VALU_DEP_1)
	v_cmpx_ne_u32_e32 0x80, v0
	s_cbranch_execz .LBB189_2127
; %bb.2122:                             ;   in Loop: Header=BB189_1075 Depth=1
	v_mov_b64_e32 v[68:69], 0x7f80000100000000
	v_bfe_u32 v8, v8, 24, 7
	s_mov_b32 s18, exec_lo
	s_delay_alu instid0(VALU_DEP_1)
	v_cmpx_ne_u32_e32 0x7f, v8
	s_cbranch_execz .LBB189_2126
; %bb.2123:                             ;   in Loop: Header=BB189_1075 Depth=1
	v_and_b32_e32 v42, 7, v0
	v_lshrrev_b32_e32 v1, 3, v8
	s_mov_b32 s19, exec_lo
	v_cmpx_gt_u32_e32 8, v8
; %bb.2124:                             ;   in Loop: Header=BB189_1075 Depth=1
	s_delay_alu instid0(VALU_DEP_3) | instskip(NEXT) | instid1(VALU_DEP_1)
	v_clz_i32_u32_e32 v1, v42
	v_min_u32_e32 v1, 32, v1
	s_delay_alu instid0(VALU_DEP_1) | instskip(NEXT) | instid1(VALU_DEP_1)
	v_subrev_nc_u32_e32 v8, 28, v1
	v_lshlrev_b64_e32 v[8:9], v8, v[42:43]
	s_delay_alu instid0(VALU_DEP_1)
	v_dual_sub_nc_u32 v1, 29, v1 :: v_dual_bitop2_b32 v42, 7, v8 bitop3:0x40
; %bb.2125:                             ;   in Loop: Header=BB189_1075 Depth=1
	s_or_b32 exec_lo, exec_lo, s19
	s_delay_alu instid0(VALU_DEP_1) | instskip(NEXT) | instid1(VALU_DEP_2)
	v_dual_lshlrev_b32 v0, 24, v0 :: v_dual_lshlrev_b32 v8, 20, v42
	v_lshl_add_u32 v1, v1, 23, 0x3c000000
	v_mov_b32_e32 v68, v43
	s_delay_alu instid0(VALU_DEP_3) | instskip(NEXT) | instid1(VALU_DEP_1)
	v_and_b32_e32 v0, 0x80000000, v0
	v_or3_b32 v69, v8, v0, v1
.LBB189_2126:                           ;   in Loop: Header=BB189_1075 Depth=1
	s_or_b32 exec_lo, exec_lo, s18
.LBB189_2127:                           ;   in Loop: Header=BB189_1075 Depth=1
	s_delay_alu instid0(SALU_CYCLE_1)
	s_or_b32 exec_lo, exec_lo, s17
.LBB189_2128:                           ;   in Loop: Header=BB189_1075 Depth=1
	s_delay_alu instid0(SALU_CYCLE_1) | instskip(SKIP_4) | instid1(VALU_DEP_3)
	s_or_b32 exec_lo, exec_lo, s16
	v_or_b32_e32 v1, v115, v117
	v_or_b32_e32 v0, v114, v116
	;; [unrolled: 1-line block ×4, first 2 shown]
	v_pk_mul_f32 v[114:115], v[86:87], v[0:1]
	s_delay_alu instid0(VALU_DEP_2)
	v_pk_mul_f32 v[118:119], v[86:87], v[8:9]
	s_and_saveexec_b32 s16, vcc_lo
	s_cbranch_execz .LBB189_2130
; %bb.2129:                             ;   in Loop: Header=BB189_1075 Depth=1
	v_cmp_lt_i32_e64 s0, v47, v100
	s_delay_alu instid0(VALU_DEP_1) | instskip(SKIP_1) | instid1(VALU_DEP_1)
	v_cndmask_b32_e64 v114, 0, v114, s0
	v_cmp_lt_i32_e64 s0, v56, v100
	v_cndmask_b32_e64 v115, 0, v115, s0
	v_cmp_lt_i32_e64 s0, v41, v100
	s_delay_alu instid0(VALU_DEP_1) | instskip(SKIP_1) | instid1(VALU_DEP_1)
	v_cndmask_b32_e64 v118, 0, v118, s0
	v_cmp_lt_i32_e64 s0, v40, v100
	v_cndmask_b32_e64 v119, 0, v119, s0
.LBB189_2130:                           ;   in Loop: Header=BB189_1075 Depth=1
	s_or_b32 exec_lo, exec_lo, s16
	s_clause 0x1
	scratch_load_b64 v[0:1], off, s32 offset:488
	scratch_load_b64 v[8:9], off, s32 offset:456 th:TH_LOAD_LU
	v_mov_b64_e32 v[116:117], 0
	v_mov_b64_e32 v[68:69], 0
	s_mov_b32 s16, exec_lo
	s_wait_loadcnt 0x0
	v_add_nc_u64_e32 v[0:1], v[8:9], v[0:1]
	flat_load_b32 v57, v[0:1]
	s_wait_loadcnt_dscnt 0x0
	v_and_b32_e32 v0, 0xff, v57
	s_delay_alu instid0(VALU_DEP_1)
	v_cmpx_ne_u16_e32 0, v0
	s_cbranch_execz .LBB189_2138
; %bb.2131:                             ;   in Loop: Header=BB189_1075 Depth=1
	v_mov_b64_e32 v[68:69], 0x80000000
	s_mov_b32 s17, exec_lo
	v_cmpx_ne_u16_e32 0x80, v0
	s_cbranch_execz .LBB189_2137
; %bb.2132:                             ;   in Loop: Header=BB189_1075 Depth=1
	v_mov_b64_e32 v[68:69], 0x7f800001
	v_and_b32_e32 v1, 0x7f, v57
	s_mov_b32 s18, exec_lo
	s_delay_alu instid0(VALU_DEP_1)
	v_cmpx_ne_u32_e32 0x7f, v1
	s_cbranch_execz .LBB189_2136
; %bb.2133:                             ;   in Loop: Header=BB189_1075 Depth=1
	v_and_b32_e32 v42, 7, v57
	v_lshrrev_b32_e32 v0, 3, v1
	s_mov_b32 s19, exec_lo
	v_cmpx_gt_u32_e32 8, v1
; %bb.2134:                             ;   in Loop: Header=BB189_1075 Depth=1
	s_delay_alu instid0(VALU_DEP_3) | instskip(NEXT) | instid1(VALU_DEP_1)
	v_clz_i32_u32_e32 v0, v42
	v_min_u32_e32 v0, 32, v0
	s_delay_alu instid0(VALU_DEP_1) | instskip(SKIP_1) | instid1(VALU_DEP_2)
	v_subrev_nc_u32_e32 v1, 28, v0
	v_sub_nc_u32_e32 v0, 29, v0
	v_lshlrev_b64_e32 v[8:9], v1, v[42:43]
	s_delay_alu instid0(VALU_DEP_1)
	v_and_b32_e32 v42, 7, v8
; %bb.2135:                             ;   in Loop: Header=BB189_1075 Depth=1
	s_or_b32 exec_lo, exec_lo, s19
	s_delay_alu instid0(VALU_DEP_1) | instskip(SKIP_1) | instid1(VALU_DEP_2)
	v_dual_lshlrev_b32 v1, 24, v57 :: v_dual_lshlrev_b32 v8, 20, v42
	v_lshl_add_u32 v0, v0, 23, 0x3c000000
	v_and_b32_e32 v1, 0x80000000, v1
	s_delay_alu instid0(VALU_DEP_1) | instskip(NEXT) | instid1(VALU_DEP_1)
	v_or3_b32 v42, v8, v1, v0
	v_mov_b64_e32 v[68:69], v[42:43]
.LBB189_2136:                           ;   in Loop: Header=BB189_1075 Depth=1
	s_or_b32 exec_lo, exec_lo, s18
.LBB189_2137:                           ;   in Loop: Header=BB189_1075 Depth=1
	s_delay_alu instid0(SALU_CYCLE_1)
	s_or_b32 exec_lo, exec_lo, s17
.LBB189_2138:                           ;   in Loop: Header=BB189_1075 Depth=1
	s_delay_alu instid0(SALU_CYCLE_1) | instskip(SKIP_2) | instid1(VALU_DEP_1)
	s_or_b32 exec_lo, exec_lo, s16
	v_lshrrev_b16 v0, 8, v57
	s_mov_b32 s16, exec_lo
	v_cmpx_ne_u16_e32 0, v0
	s_cbranch_execz .LBB189_2146
; %bb.2139:                             ;   in Loop: Header=BB189_1075 Depth=1
	v_mov_b64_e32 v[116:117], 0x8000000000000000
	s_mov_b32 s17, exec_lo
	v_cmpx_ne_u16_e32 0x80, v0
	s_cbranch_execz .LBB189_2145
; %bb.2140:                             ;   in Loop: Header=BB189_1075 Depth=1
	v_and_b32_e32 v0, 0xffff, v0
	v_mov_b64_e32 v[116:117], 0x7f80000100000000
	s_mov_b32 s18, exec_lo
	s_delay_alu instid0(VALU_DEP_2) | instskip(NEXT) | instid1(VALU_DEP_1)
	v_and_b32_e32 v1, 0x7f, v0
	v_cmpx_ne_u32_e32 0x7f, v1
	s_cbranch_execz .LBB189_2144
; %bb.2141:                             ;   in Loop: Header=BB189_1075 Depth=1
	v_dual_lshrrev_b32 v0, 3, v1 :: v_dual_bitop2_b32 v42, 7, v0 bitop3:0x40
	s_mov_b32 s19, exec_lo
	v_cmpx_gt_u32_e32 8, v1
; %bb.2142:                             ;   in Loop: Header=BB189_1075 Depth=1
	s_delay_alu instid0(VALU_DEP_2) | instskip(NEXT) | instid1(VALU_DEP_1)
	v_clz_i32_u32_e32 v0, v42
	v_min_u32_e32 v0, 32, v0
	s_delay_alu instid0(VALU_DEP_1) | instskip(SKIP_1) | instid1(VALU_DEP_2)
	v_subrev_nc_u32_e32 v1, 28, v0
	v_sub_nc_u32_e32 v0, 29, v0
	v_lshlrev_b64_e32 v[8:9], v1, v[42:43]
	s_delay_alu instid0(VALU_DEP_1)
	v_and_b32_e32 v42, 7, v8
; %bb.2143:                             ;   in Loop: Header=BB189_1075 Depth=1
	s_or_b32 exec_lo, exec_lo, s19
	s_delay_alu instid0(VALU_DEP_1) | instskip(SKIP_2) | instid1(VALU_DEP_3)
	v_dual_lshlrev_b32 v1, 16, v57 :: v_dual_lshlrev_b32 v8, 20, v42
	v_lshl_add_u32 v0, v0, 23, 0x3c000000
	v_mov_b32_e32 v116, v43
	v_and_b32_e32 v1, 0x80000000, v1
	s_delay_alu instid0(VALU_DEP_1)
	v_or3_b32 v117, v8, v1, v0
.LBB189_2144:                           ;   in Loop: Header=BB189_1075 Depth=1
	s_or_b32 exec_lo, exec_lo, s18
.LBB189_2145:                           ;   in Loop: Header=BB189_1075 Depth=1
	s_delay_alu instid0(SALU_CYCLE_1)
	s_or_b32 exec_lo, exec_lo, s17
.LBB189_2146:                           ;   in Loop: Header=BB189_1075 Depth=1
	s_delay_alu instid0(SALU_CYCLE_1) | instskip(SKIP_4) | instid1(VALU_DEP_3)
	s_or_b32 exec_lo, exec_lo, s16
	v_lshrrev_b32_e32 v0, 16, v57
	v_mov_b64_e32 v[40:41], 0
	v_mov_b64_e32 v[8:9], 0
	s_mov_b32 s16, exec_lo
	v_and_b32_e32 v1, 0xff, v0
	s_delay_alu instid0(VALU_DEP_1)
	v_cmpx_ne_u16_e32 0, v1
	s_cbranch_execz .LBB189_2154
; %bb.2147:                             ;   in Loop: Header=BB189_1075 Depth=1
	v_mov_b64_e32 v[8:9], 0x80000000
	s_mov_b32 s17, exec_lo
	v_cmpx_ne_u16_e32 0x80, v1
	s_cbranch_execz .LBB189_2153
; %bb.2148:                             ;   in Loop: Header=BB189_1075 Depth=1
	v_mov_b64_e32 v[8:9], 0x7f800001
	v_bfe_u32 v101, v57, 16, 7
	s_mov_b32 s18, exec_lo
	s_delay_alu instid0(VALU_DEP_1)
	v_cmpx_ne_u32_e32 0x7f, v101
	s_cbranch_execz .LBB189_2152
; %bb.2149:                             ;   in Loop: Header=BB189_1075 Depth=1
	v_dual_lshrrev_b32 v1, 3, v101 :: v_dual_bitop2_b32 v42, 7, v0 bitop3:0x40
	s_mov_b32 s19, exec_lo
	v_cmpx_gt_u32_e32 8, v101
; %bb.2150:                             ;   in Loop: Header=BB189_1075 Depth=1
	s_delay_alu instid0(VALU_DEP_2) | instskip(NEXT) | instid1(VALU_DEP_1)
	v_clz_i32_u32_e32 v1, v42
	v_min_u32_e32 v1, 32, v1
	s_delay_alu instid0(VALU_DEP_1) | instskip(NEXT) | instid1(VALU_DEP_1)
	v_subrev_nc_u32_e32 v8, 28, v1
	v_lshlrev_b64_e32 v[8:9], v8, v[42:43]
	s_delay_alu instid0(VALU_DEP_1)
	v_dual_sub_nc_u32 v1, 29, v1 :: v_dual_bitop2_b32 v42, 7, v8 bitop3:0x40
; %bb.2151:                             ;   in Loop: Header=BB189_1075 Depth=1
	s_or_b32 exec_lo, exec_lo, s19
	s_delay_alu instid0(VALU_DEP_1) | instskip(NEXT) | instid1(VALU_DEP_2)
	v_dual_lshlrev_b32 v0, 24, v0 :: v_dual_lshlrev_b32 v8, 20, v42
	v_lshl_add_u32 v1, v1, 23, 0x3c000000
	s_delay_alu instid0(VALU_DEP_2) | instskip(NEXT) | instid1(VALU_DEP_1)
	v_and_b32_e32 v0, 0x80000000, v0
	v_or3_b32 v42, v8, v0, v1
	s_delay_alu instid0(VALU_DEP_1)
	v_mov_b64_e32 v[8:9], v[42:43]
.LBB189_2152:                           ;   in Loop: Header=BB189_1075 Depth=1
	s_or_b32 exec_lo, exec_lo, s18
	scratch_load_b32 v101, off, s32 offset:1020 ; 4-byte Folded Reload
.LBB189_2153:                           ;   in Loop: Header=BB189_1075 Depth=1
	s_wait_xcnt 0x0
	s_or_b32 exec_lo, exec_lo, s17
.LBB189_2154:                           ;   in Loop: Header=BB189_1075 Depth=1
	s_delay_alu instid0(SALU_CYCLE_1) | instskip(NEXT) | instid1(SALU_CYCLE_1)
	s_or_b32 exec_lo, exec_lo, s16
	s_mov_b32 s16, exec_lo
	v_cmpx_lt_u32_e32 0xffffff, v57
	s_cbranch_execz .LBB189_2162
; %bb.2155:                             ;   in Loop: Header=BB189_1075 Depth=1
	v_mov_b64_e32 v[40:41], 0x8000000000000000
	v_lshrrev_b32_e32 v0, 24, v57
	s_mov_b32 s17, exec_lo
	s_delay_alu instid0(VALU_DEP_1)
	v_cmpx_ne_u32_e32 0x80, v0
	s_cbranch_execz .LBB189_2161
; %bb.2156:                             ;   in Loop: Header=BB189_1075 Depth=1
	v_mov_b64_e32 v[40:41], 0x7f80000100000000
	s_wait_loadcnt 0x0
	v_bfe_u32 v101, v57, 24, 7
	s_mov_b32 s18, exec_lo
	s_delay_alu instid0(VALU_DEP_1)
	v_cmpx_ne_u32_e32 0x7f, v101
	s_cbranch_execz .LBB189_2160
; %bb.2157:                             ;   in Loop: Header=BB189_1075 Depth=1
	v_dual_lshrrev_b32 v1, 3, v101 :: v_dual_bitop2_b32 v42, 7, v0 bitop3:0x40
	s_mov_b32 s19, exec_lo
	v_cmpx_gt_u32_e32 8, v101
; %bb.2158:                             ;   in Loop: Header=BB189_1075 Depth=1
	s_delay_alu instid0(VALU_DEP_2) | instskip(NEXT) | instid1(VALU_DEP_1)
	v_clz_i32_u32_e32 v1, v42
	v_min_u32_e32 v1, 32, v1
	s_delay_alu instid0(VALU_DEP_1) | instskip(NEXT) | instid1(VALU_DEP_1)
	v_subrev_nc_u32_e32 v101, 28, v1
	v_lshlrev_b64_e32 v[40:41], v101, v[42:43]
	s_delay_alu instid0(VALU_DEP_1)
	v_dual_sub_nc_u32 v1, 29, v1 :: v_dual_bitop2_b32 v42, 7, v40 bitop3:0x40
; %bb.2159:                             ;   in Loop: Header=BB189_1075 Depth=1
	s_or_b32 exec_lo, exec_lo, s19
	s_delay_alu instid0(VALU_DEP_1) | instskip(NEXT) | instid1(VALU_DEP_2)
	v_dual_lshlrev_b32 v0, 24, v0 :: v_dual_lshlrev_b32 v101, 20, v42
	v_lshl_add_u32 v1, v1, 23, 0x3c000000
	v_mov_b32_e32 v40, v43
	s_delay_alu instid0(VALU_DEP_3) | instskip(NEXT) | instid1(VALU_DEP_1)
	v_and_b32_e32 v0, 0x80000000, v0
	v_or3_b32 v41, v101, v0, v1
.LBB189_2160:                           ;   in Loop: Header=BB189_1075 Depth=1
	s_or_b32 exec_lo, exec_lo, s18
	scratch_load_b32 v101, off, s32 offset:1020 ; 4-byte Folded Reload
.LBB189_2161:                           ;   in Loop: Header=BB189_1075 Depth=1
	s_wait_xcnt 0x0
	s_or_b32 exec_lo, exec_lo, s17
.LBB189_2162:                           ;   in Loop: Header=BB189_1075 Depth=1
	s_delay_alu instid0(SALU_CYCLE_1) | instskip(SKIP_4) | instid1(VALU_DEP_3)
	s_or_b32 exec_lo, exec_lo, s16
	v_or_b32_e32 v1, v117, v69
	v_or_b32_e32 v0, v116, v68
	;; [unrolled: 1-line block ×4, first 2 shown]
	v_pk_mul_f32 v[116:117], v[86:87], v[0:1]
	s_delay_alu instid0(VALU_DEP_2)
	v_pk_mul_f32 v[86:87], v[86:87], v[8:9]
	s_and_saveexec_b32 s16, vcc_lo
	s_cbranch_execz .LBB189_1073
; %bb.2163:                             ;   in Loop: Header=BB189_1075 Depth=1
	scratch_load_b64 v[0:1], off, s32 offset:496 ; 8-byte Folded Reload
	v_cmp_lt_i32_e32 vcc_lo, v47, v100
	s_wait_loadcnt 0x0
	v_dual_cndmask_b32 v116, 0, v116, vcc_lo :: v_dual_bitop2_b32 v0, 3, v47 bitop3:0x54
	v_dual_mov_b32 v9, v1 :: v_dual_bitop2_b32 v1, 2, v47 bitop3:0x54
	s_delay_alu instid0(VALU_DEP_1) | instskip(NEXT) | instid1(VALU_DEP_2)
	v_cmp_lt_i32_e64 s0, v56, v9
	v_cmp_lt_i32_e32 vcc_lo, v1, v100
	s_delay_alu instid0(VALU_DEP_2) | instskip(SKIP_1) | instid1(VALU_DEP_1)
	v_cndmask_b32_e64 v117, 0, v117, s0
	v_cmp_lt_i32_e64 s0, v0, v9
	v_dual_cndmask_b32 v86, 0, v86, vcc_lo :: v_dual_cndmask_b32 v87, 0, v87, s0
	s_branch .LBB189_1073
.LBB189_2164:
	s_or_b32 exec_lo, exec_lo, s10
	s_clause 0x1
	scratch_load_b64 v[114:115], off, s32 offset:1060
	scratch_load_b32 v45, off, s32 offset:1068
	s_wait_loadcnt 0x1
	s_clause 0x12
	scratch_load_b32 v115, off, s32 offset:504
	scratch_load_b32 v68, off, s32 offset:512
	;; [unrolled: 1-line block ×4, first 2 shown]
	scratch_load_b64 v[82:83], off, s32 offset:320
	scratch_load_b64 v[70:71], off, s32 offset:328
	;; [unrolled: 1-line block ×15, first 2 shown]
	v_mov_b64_e32 v[0:1], s[6:7]
.LBB189_2165:
	s_wait_xcnt 0x0
	s_or_b32 exec_lo, exec_lo, s1
	s_delay_alu instid0(VALU_DEP_1)
	v_lshl_add_u64 v[0:1], v[0:1], 2, s[8:9]
	s_wait_loadcnt 0x0
	s_wait_storecnt 0x0
	s_barrier_signal -1
	s_barrier_wait -1
	global_load_b32 v34, v[0:1], off
	ds_bpermute_b32 v4, v68, v18
	ds_bpermute_b32 v5, v68, v19
	s_wait_xcnt 0x0
	ds_bpermute_b32 v0, v68, v10
	ds_bpermute_b32 v1, v68, v11
	ds_bpermute_b32 v24, v68, v64
	ds_bpermute_b32 v25, v68, v65
	ds_bpermute_b32 v2, v68, v12
	ds_bpermute_b32 v3, v68, v13
	ds_bpermute_b32 v6, v68, v20
	ds_bpermute_b32 v7, v68, v21
	ds_bpermute_b32 v8, v68, v22
	ds_bpermute_b32 v9, v68, v23
	ds_bpermute_b32 v14, v68, v48
	ds_bpermute_b32 v15, v68, v49
	ds_bpermute_b32 v26, v68, v66
	ds_bpermute_b32 v27, v68, v67
	ds_bpermute_b32 v28, v68, v70
	ds_bpermute_b32 v29, v68, v71
	ds_bpermute_b32 v30, v68, v82
	ds_bpermute_b32 v31, v68, v83
	ds_bpermute_b32 v52, v68, v102
	s_wait_dscnt 0x13
	v_pk_add_f32 v[4:5], v[18:19], v[4:5]
	ds_bpermute_b32 v18, v68, v32
	ds_bpermute_b32 v19, v68, v33
	s_wait_dscnt 0x13
	v_pk_add_f32 v[0:1], v[10:11], v[0:1]
	ds_bpermute_b32 v10, v68, v38
	ds_bpermute_b32 v11, v68, v39
	;; [unrolled: 1-line block ×3, first 2 shown]
	s_wait_dscnt 0x14
	v_pk_add_f32 v[64:65], v[64:65], v[24:25]
	ds_bpermute_b32 v24, v68, v118
	ds_bpermute_b32 v25, v68, v119
	s_wait_dscnt 0x14
	v_pk_add_f32 v[2:3], v[12:13], v[2:3]
	s_wait_dscnt 0x12
	v_pk_add_f32 v[6:7], v[20:21], v[6:7]
	;; [unrolled: 2-line block ×5, first 2 shown]
	ds_bpermute_b32 v12, v116, v0
	s_wait_dscnt 0xb
	v_pk_add_f32 v[70:71], v[70:71], v[28:29]
	ds_bpermute_b32 v13, v116, v1
	s_wait_dscnt 0xa
	v_pk_add_f32 v[82:83], v[82:83], v[30:31]
	ds_bpermute_b32 v16, v116, v2
	ds_bpermute_b32 v17, v116, v3
	;; [unrolled: 1-line block ×3, first 2 shown]
	s_wait_dscnt 0xa
	v_pk_add_f32 v[50:51], v[32:33], v[18:19]
	ds_bpermute_b32 v18, v68, v86
	ds_bpermute_b32 v19, v68, v87
	ds_bpermute_b32 v32, v68, v98
	ds_bpermute_b32 v33, v68, v99
	s_wait_dscnt 0xc
	v_pk_add_f32 v[10:11], v[38:39], v[10:11]
	s_wait_dscnt 0xb
	v_pk_add_f32 v[52:53], v[102:103], v[52:53]
	ds_bpermute_b32 v21, v116, v5
	ds_bpermute_b32 v22, v116, v6
	;; [unrolled: 1-line block ×15, first 2 shown]
	s_wait_dscnt 0x11
	v_pk_add_f32 v[86:87], v[86:87], v[18:19]
	ds_bpermute_b32 v84, v116, v70
	s_wait_dscnt 0x10
	v_pk_add_f32 v[98:99], v[98:99], v[32:33]
	ds_bpermute_b32 v85, v116, v71
	ds_bpermute_b32 v96, v116, v82
	ds_bpermute_b32 v97, v116, v83
	ds_bpermute_b32 v100, v116, v86
	ds_bpermute_b32 v101, v116, v87
	ds_bpermute_b32 v102, v116, v98
	ds_bpermute_b32 v103, v116, v99
	ds_bpermute_b32 v112, v116, v52
	ds_bpermute_b32 v113, v116, v53
	v_pk_add_f32 v[30:31], v[118:119], v[24:25]
	v_pk_add_f32 v[28:29], v[0:1], v[12:13]
	;; [unrolled: 1-line block ×3, first 2 shown]
	s_wait_dscnt 0x18
	v_pk_add_f32 v[20:21], v[4:5], v[20:21]
	s_wait_dscnt 0x16
	v_pk_add_f32 v[26:27], v[6:7], v[22:23]
	ds_bpermute_b32 v32, v116, v30
	ds_bpermute_b32 v33, v116, v31
	s_wait_dscnt 0x16
	v_pk_add_f32 v[22:23], v[8:9], v[36:37]
	s_wait_dscnt 0x14
	v_pk_add_f32 v[18:19], v[10:11], v[38:39]
	;; [unrolled: 2-line block ×8, first 2 shown]
	v_and_b32_e32 v36, 0x3c3, v114
	s_wait_dscnt 0x6
	v_pk_add_f32 v[8:9], v[86:87], v[100:101]
	s_wait_dscnt 0x4
	v_pk_add_f32 v[4:5], v[98:99], v[102:103]
	v_and_b32_e32 v35, 28, v115
	s_wait_dscnt 0x2
	v_pk_add_f32 v[0:1], v[52:53], v[112:113]
	s_mov_b32 s0, exec_lo
	v_cmpx_ne_u32_e32 64, v36
	s_xor_b32 s0, exec_lo, s0
	s_delay_alu instid0(SALU_CYCLE_1)
	s_or_saveexec_b32 s0, s0
	s_wait_dscnt 0x0
	v_pk_add_f32 v[30:31], v[30:31], v[32:33]
	v_lshrrev_b32_e32 v32, 2, v115
	s_wait_loadcnt 0x0
	v_dual_add_nc_u32 v33, v34, v35 :: v_dual_lshlrev_b32 v35, 10, v45
	s_xor_b32 exec_lo, exec_lo, s0
	s_cbranch_execz .LBB189_2167
; %bb.2166:
	s_delay_alu instid0(VALU_DEP_1) | instskip(NEXT) | instid1(VALU_DEP_1)
	v_add_nc_u32_e32 v36, v33, v35
	v_add_nc_u32_e32 v37, 0xfffff800, v36
	;; [unrolled: 1-line block ×9, first 2 shown]
	ds_store_b32 v37, v28
	ds_store_b32 v38, v29
	ds_store_b32 v39, v24
	ds_store_b32 v48, v25
	ds_store_b32 v49, v20
	ds_store_b32 v50, v21
	ds_store_b32 v51, v26
	ds_store_b32 v52, v27
	v_add_nc_u32_e32 v37, 0xfffff900, v36
	v_add_nc_u32_e32 v38, 0xfffff920, v36
	v_add_nc_u32_e32 v39, 0xfffff940, v36
	v_add_nc_u32_e32 v48, 0xfffff960, v36
	v_add_nc_u32_e32 v49, 0xfffff980, v36
	v_add_nc_u32_e32 v50, 0xfffff9a0, v36
	v_add_nc_u32_e32 v51, 0xfffff9c0, v36
	v_add_nc_u32_e32 v52, 0xfffff9e0, v36
	ds_store_b32 v37, v22
	ds_store_b32 v38, v23
	ds_store_b32 v39, v18
	ds_store_b32 v48, v19
	ds_store_b32 v49, v16
	ds_store_b32 v50, v17
	ds_store_b32 v51, v14
	ds_store_b32 v52, v15
	v_add_nc_u32_e32 v37, 0xfffffa00, v36
	v_add_nc_u32_e32 v38, 0xfffffa20, v36
	v_add_nc_u32_e32 v39, 0xfffffa40, v36
	v_add_nc_u32_e32 v48, 0xfffffa60, v36
	v_add_nc_u32_e32 v49, 0xfffffa80, v36
	v_add_nc_u32_e32 v50, 0xfffffaa0, v36
	v_add_nc_u32_e32 v51, 0xfffffac0, v36
	v_add_nc_u32_e32 v52, 0xfffffae0, v36
	;; [unrolled: 16-line block ×3, first 2 shown]
	ds_store_b32 v37, v8
	ds_store_b32 v38, v9
	ds_store_b32 v39, v4
	ds_store_b32 v48, v5
	ds_store_b32 v49, v0
	ds_store_b32 v50, v1
	ds_store_b32 v51, v30
	ds_store_b32 v36, v31
.LBB189_2167:
	s_or_b32 exec_lo, exec_lo, s0
	v_lshlrev_b32_e32 v32, 2, v32
	s_mov_b32 s1, exec_lo
	v_cmp_eq_u32_e32 vcc_lo, 0, v117
	s_wait_dscnt 0x0
	s_barrier_signal -1
	v_add3_u32 v32, v34, v35, v32
	s_barrier_wait -1
	v_cmpx_gt_u32_e32 64, v114
	s_cbranch_execz .LBB189_2202
; %bb.2168:
	s_and_saveexec_b32 s0, vcc_lo
	s_cbranch_execnz .LBB189_2242
; %bb.2169:
	s_or_b32 exec_lo, exec_lo, s0
	s_and_saveexec_b32 s0, vcc_lo
	s_cbranch_execnz .LBB189_2243
.LBB189_2170:
	s_or_b32 exec_lo, exec_lo, s0
	s_and_saveexec_b32 s0, vcc_lo
	s_cbranch_execnz .LBB189_2244
.LBB189_2171:
	s_or_b32 exec_lo, exec_lo, s0
	s_and_saveexec_b32 s0, vcc_lo
	s_cbranch_execnz .LBB189_2245
.LBB189_2172:
	s_or_b32 exec_lo, exec_lo, s0
	s_and_saveexec_b32 s0, vcc_lo
	s_cbranch_execnz .LBB189_2246
.LBB189_2173:
	s_or_b32 exec_lo, exec_lo, s0
	s_and_saveexec_b32 s0, vcc_lo
	s_cbranch_execnz .LBB189_2247
.LBB189_2174:
	s_or_b32 exec_lo, exec_lo, s0
	s_and_saveexec_b32 s0, vcc_lo
	s_cbranch_execnz .LBB189_2248
.LBB189_2175:
	s_or_b32 exec_lo, exec_lo, s0
	s_and_saveexec_b32 s0, vcc_lo
	s_cbranch_execnz .LBB189_2249
.LBB189_2176:
	s_or_b32 exec_lo, exec_lo, s0
	s_and_saveexec_b32 s0, vcc_lo
	s_cbranch_execnz .LBB189_2250
.LBB189_2177:
	s_or_b32 exec_lo, exec_lo, s0
	s_and_saveexec_b32 s0, vcc_lo
	s_cbranch_execnz .LBB189_2251
.LBB189_2178:
	s_or_b32 exec_lo, exec_lo, s0
	s_and_saveexec_b32 s0, vcc_lo
	s_cbranch_execnz .LBB189_2252
.LBB189_2179:
	s_or_b32 exec_lo, exec_lo, s0
	s_and_saveexec_b32 s0, vcc_lo
	s_cbranch_execnz .LBB189_2253
.LBB189_2180:
	s_or_b32 exec_lo, exec_lo, s0
	s_and_saveexec_b32 s0, vcc_lo
	s_cbranch_execnz .LBB189_2254
.LBB189_2181:
	s_or_b32 exec_lo, exec_lo, s0
	s_and_saveexec_b32 s0, vcc_lo
	s_cbranch_execnz .LBB189_2255
.LBB189_2182:
	s_or_b32 exec_lo, exec_lo, s0
	s_and_saveexec_b32 s0, vcc_lo
	s_cbranch_execnz .LBB189_2256
.LBB189_2183:
	s_or_b32 exec_lo, exec_lo, s0
	s_and_saveexec_b32 s0, vcc_lo
	s_cbranch_execnz .LBB189_2257
.LBB189_2184:
	s_or_b32 exec_lo, exec_lo, s0
	s_and_saveexec_b32 s0, vcc_lo
	s_cbranch_execnz .LBB189_2258
.LBB189_2185:
	s_or_b32 exec_lo, exec_lo, s0
	s_and_saveexec_b32 s0, vcc_lo
	s_cbranch_execnz .LBB189_2259
.LBB189_2186:
	s_or_b32 exec_lo, exec_lo, s0
	s_and_saveexec_b32 s0, vcc_lo
	s_cbranch_execnz .LBB189_2260
.LBB189_2187:
	s_or_b32 exec_lo, exec_lo, s0
	s_and_saveexec_b32 s0, vcc_lo
	s_cbranch_execnz .LBB189_2261
.LBB189_2188:
	s_or_b32 exec_lo, exec_lo, s0
	s_and_saveexec_b32 s0, vcc_lo
	s_cbranch_execnz .LBB189_2262
.LBB189_2189:
	s_or_b32 exec_lo, exec_lo, s0
	s_and_saveexec_b32 s0, vcc_lo
	s_cbranch_execnz .LBB189_2263
.LBB189_2190:
	s_or_b32 exec_lo, exec_lo, s0
	s_and_saveexec_b32 s0, vcc_lo
	s_cbranch_execnz .LBB189_2264
.LBB189_2191:
	s_or_b32 exec_lo, exec_lo, s0
	s_and_saveexec_b32 s0, vcc_lo
	s_cbranch_execnz .LBB189_2265
.LBB189_2192:
	s_or_b32 exec_lo, exec_lo, s0
	s_and_saveexec_b32 s0, vcc_lo
	s_cbranch_execnz .LBB189_2266
.LBB189_2193:
	s_or_b32 exec_lo, exec_lo, s0
	s_and_saveexec_b32 s0, vcc_lo
	s_cbranch_execnz .LBB189_2267
.LBB189_2194:
	s_or_b32 exec_lo, exec_lo, s0
	s_and_saveexec_b32 s0, vcc_lo
	s_cbranch_execnz .LBB189_2268
.LBB189_2195:
	s_or_b32 exec_lo, exec_lo, s0
	s_and_saveexec_b32 s0, vcc_lo
	s_cbranch_execnz .LBB189_2269
.LBB189_2196:
	s_or_b32 exec_lo, exec_lo, s0
	s_and_saveexec_b32 s0, vcc_lo
	s_cbranch_execnz .LBB189_2270
.LBB189_2197:
	s_or_b32 exec_lo, exec_lo, s0
	s_and_saveexec_b32 s0, vcc_lo
	s_cbranch_execnz .LBB189_2271
.LBB189_2198:
	s_or_b32 exec_lo, exec_lo, s0
	s_and_saveexec_b32 s0, vcc_lo
	s_cbranch_execnz .LBB189_2272
.LBB189_2199:
	s_or_b32 exec_lo, exec_lo, s0
	s_and_saveexec_b32 s0, vcc_lo
	s_cbranch_execz .LBB189_2201
.LBB189_2200:
	ds_load_b32 v34, v32 offset:992
	s_wait_dscnt 0x0
	v_add_f32_e32 v31, v34, v31
.LBB189_2201:
	s_or_b32 exec_lo, exec_lo, s0
.LBB189_2202:
	s_delay_alu instid0(SALU_CYCLE_1) | instskip(SKIP_4) | instid1(VALU_DEP_1)
	s_or_b32 exec_lo, exec_lo, s1
	v_and_b32_e32 v34, 0x3e3, v114
	s_mov_b32 s1, exec_lo
	s_barrier_signal -1
	s_barrier_wait -1
	v_cmpx_eq_u32_e32 32, v34
	s_cbranch_execz .LBB189_2204
; %bb.2203:
	ds_store_2addr_b32 v33, v28, v29 offset1:8
	ds_store_2addr_b32 v33, v24, v25 offset0:16 offset1:24
	ds_store_2addr_b32 v33, v20, v21 offset0:32 offset1:40
	;; [unrolled: 1-line block ×15, first 2 shown]
.LBB189_2204:
	s_or_b32 exec_lo, exec_lo, s1
	s_delay_alu instid0(SALU_CYCLE_1)
	s_mov_b32 s1, exec_lo
	s_wait_dscnt 0x0
	s_barrier_signal -1
	s_barrier_wait -1
	v_cmpx_gt_u32_e32 32, v114
	s_cbranch_execz .LBB189_2239
; %bb.2205:
	s_and_saveexec_b32 s0, vcc_lo
	s_cbranch_execnz .LBB189_2273
; %bb.2206:
	s_or_b32 exec_lo, exec_lo, s0
	s_and_saveexec_b32 s0, vcc_lo
	s_cbranch_execnz .LBB189_2274
.LBB189_2207:
	s_or_b32 exec_lo, exec_lo, s0
	s_and_saveexec_b32 s0, vcc_lo
	s_cbranch_execnz .LBB189_2275
.LBB189_2208:
	s_or_b32 exec_lo, exec_lo, s0
	s_and_saveexec_b32 s0, vcc_lo
	s_cbranch_execnz .LBB189_2276
.LBB189_2209:
	s_or_b32 exec_lo, exec_lo, s0
	s_and_saveexec_b32 s0, vcc_lo
	s_cbranch_execnz .LBB189_2277
.LBB189_2210:
	s_or_b32 exec_lo, exec_lo, s0
	s_and_saveexec_b32 s0, vcc_lo
	s_cbranch_execnz .LBB189_2278
.LBB189_2211:
	s_or_b32 exec_lo, exec_lo, s0
	s_and_saveexec_b32 s0, vcc_lo
	s_cbranch_execnz .LBB189_2279
.LBB189_2212:
	s_or_b32 exec_lo, exec_lo, s0
	s_and_saveexec_b32 s0, vcc_lo
	s_cbranch_execnz .LBB189_2280
.LBB189_2213:
	s_or_b32 exec_lo, exec_lo, s0
	s_and_saveexec_b32 s0, vcc_lo
	s_cbranch_execnz .LBB189_2281
.LBB189_2214:
	s_or_b32 exec_lo, exec_lo, s0
	s_and_saveexec_b32 s0, vcc_lo
	s_cbranch_execnz .LBB189_2282
.LBB189_2215:
	s_or_b32 exec_lo, exec_lo, s0
	s_and_saveexec_b32 s0, vcc_lo
	s_cbranch_execnz .LBB189_2283
.LBB189_2216:
	s_or_b32 exec_lo, exec_lo, s0
	s_and_saveexec_b32 s0, vcc_lo
	s_cbranch_execnz .LBB189_2284
.LBB189_2217:
	s_or_b32 exec_lo, exec_lo, s0
	s_and_saveexec_b32 s0, vcc_lo
	s_cbranch_execnz .LBB189_2285
.LBB189_2218:
	s_or_b32 exec_lo, exec_lo, s0
	s_and_saveexec_b32 s0, vcc_lo
	s_cbranch_execnz .LBB189_2286
.LBB189_2219:
	s_or_b32 exec_lo, exec_lo, s0
	s_and_saveexec_b32 s0, vcc_lo
	s_cbranch_execnz .LBB189_2287
.LBB189_2220:
	s_or_b32 exec_lo, exec_lo, s0
	s_and_saveexec_b32 s0, vcc_lo
	s_cbranch_execnz .LBB189_2288
.LBB189_2221:
	s_or_b32 exec_lo, exec_lo, s0
	s_and_saveexec_b32 s0, vcc_lo
	s_cbranch_execnz .LBB189_2289
.LBB189_2222:
	s_or_b32 exec_lo, exec_lo, s0
	s_and_saveexec_b32 s0, vcc_lo
	s_cbranch_execnz .LBB189_2290
.LBB189_2223:
	s_or_b32 exec_lo, exec_lo, s0
	s_and_saveexec_b32 s0, vcc_lo
	s_cbranch_execnz .LBB189_2291
.LBB189_2224:
	s_or_b32 exec_lo, exec_lo, s0
	s_and_saveexec_b32 s0, vcc_lo
	s_cbranch_execnz .LBB189_2292
.LBB189_2225:
	s_or_b32 exec_lo, exec_lo, s0
	s_and_saveexec_b32 s0, vcc_lo
	s_cbranch_execnz .LBB189_2293
.LBB189_2226:
	s_or_b32 exec_lo, exec_lo, s0
	s_and_saveexec_b32 s0, vcc_lo
	s_cbranch_execnz .LBB189_2294
.LBB189_2227:
	s_or_b32 exec_lo, exec_lo, s0
	s_and_saveexec_b32 s0, vcc_lo
	s_cbranch_execnz .LBB189_2295
.LBB189_2228:
	s_or_b32 exec_lo, exec_lo, s0
	s_and_saveexec_b32 s0, vcc_lo
	s_cbranch_execnz .LBB189_2296
.LBB189_2229:
	s_or_b32 exec_lo, exec_lo, s0
	s_and_saveexec_b32 s0, vcc_lo
	s_cbranch_execnz .LBB189_2297
.LBB189_2230:
	s_or_b32 exec_lo, exec_lo, s0
	s_and_saveexec_b32 s0, vcc_lo
	s_cbranch_execnz .LBB189_2298
.LBB189_2231:
	s_or_b32 exec_lo, exec_lo, s0
	s_and_saveexec_b32 s0, vcc_lo
	s_cbranch_execnz .LBB189_2299
.LBB189_2232:
	s_or_b32 exec_lo, exec_lo, s0
	s_and_saveexec_b32 s0, vcc_lo
	s_cbranch_execnz .LBB189_2300
.LBB189_2233:
	s_or_b32 exec_lo, exec_lo, s0
	s_and_saveexec_b32 s0, vcc_lo
	s_cbranch_execnz .LBB189_2301
.LBB189_2234:
	s_or_b32 exec_lo, exec_lo, s0
	s_and_saveexec_b32 s0, vcc_lo
	s_cbranch_execnz .LBB189_2302
.LBB189_2235:
	s_or_b32 exec_lo, exec_lo, s0
	s_and_saveexec_b32 s0, vcc_lo
	s_cbranch_execnz .LBB189_2303
.LBB189_2236:
	s_or_b32 exec_lo, exec_lo, s0
	s_and_saveexec_b32 s0, vcc_lo
	s_cbranch_execz .LBB189_2238
.LBB189_2237:
	ds_load_b32 v32, v32 offset:992
	s_wait_dscnt 0x0
	v_add_f32_e32 v31, v32, v31
.LBB189_2238:
	s_or_b32 exec_lo, exec_lo, s0
.LBB189_2239:
	s_delay_alu instid0(SALU_CYCLE_1)
	s_or_b32 exec_lo, exec_lo, s1
	s_mov_b32 s1, 0
	s_mov_b32 s2, exec_lo
	s_barrier_signal -1
	s_barrier_wait -1
	v_cmpx_eq_u32_e32 0, v34
	s_cbranch_execz .LBB189_2241
; %bb.2240:
	scratch_load_b64 v[32:33], off, s32 offset:1096 th:TH_LOAD_LU ; 8-byte Folded Reload
	s_and_b32 s0, 0xffff, s15
	v_mov_b32_e32 v115, 0
	s_cmp_lg_u32 s0, 0
	s_cselect_b32 s0, -1, 0
	s_delay_alu instid0(SALU_CYCLE_1)
	s_cmp_lg_u32 s0, 0
	s_add_co_ci_u32 s0, s5, 0
	s_bfe_u32 s8, ttmp6, 0x40014
	s_mul_i32 s5, s13, s0
	s_lshr_b32 s3, ttmp7, 16
	s_mul_i32 s5, s5, s14
	s_add_co_i32 s8, s8, 1
	s_lshl_b32 s6, s5, 8
	s_bfe_u32 s9, ttmp6, 0x40008
	s_ashr_i32 s7, s6, 31
	s_mul_i32 s4, s4, s0
	s_mul_i32 s0, s3, s8
	s_ashr_i32 s5, s4, 31
	s_add_co_i32 s9, s9, s0
	s_cmp_eq_u32 s12, 0
	s_cselect_b32 s0, s3, s9
	s_delay_alu instid0(SALU_CYCLE_1) | instskip(SKIP_2) | instid1(VALU_DEP_1)
	s_lshl_b32 s0, s0, 10
	s_wait_loadcnt 0x0
	v_lshl_add_u64 v[32:33], s[6:7], 2, v[32:33]
	v_lshl_add_u64 v[32:33], s[4:5], 2, v[32:33]
	s_delay_alu instid0(VALU_DEP_1) | instskip(NEXT) | instid1(VALU_DEP_1)
	v_add_nc_u64_e32 v[32:33], s[0:1], v[32:33]
	v_add_nc_u64_e32 v[32:33], v[32:33], v[114:115]
	s_clause 0x1f
	flat_store_b32 v[32:33], v28
	flat_store_b32 v[32:33], v29 offset:32
	flat_store_b32 v[32:33], v24 offset:64
	;; [unrolled: 1-line block ×31, first 2 shown]
.LBB189_2241:
	s_wait_xcnt 0x0
	s_or_b32 exec_lo, exec_lo, s2
	s_clause 0x2f
	scratch_load_b32 v127, off, s32
	scratch_load_b32 v126, off, s32 offset:4
	scratch_load_b32 v125, off, s32 offset:8
	;; [unrolled: 1-line block ×47, first 2 shown]
	s_wait_loadcnt_dscnt 0x0
	s_set_pc_i64 s[30:31]
.LBB189_2242:
	ds_load_b32 v34, v32
	s_wait_dscnt 0x0
	v_add_f32_e32 v28, v34, v28
	s_or_b32 exec_lo, exec_lo, s0
	s_and_saveexec_b32 s0, vcc_lo
	s_cbranch_execz .LBB189_2170
.LBB189_2243:
	ds_load_b32 v34, v32 offset:32
	s_wait_dscnt 0x0
	v_add_f32_e32 v29, v34, v29
	s_or_b32 exec_lo, exec_lo, s0
	s_and_saveexec_b32 s0, vcc_lo
	s_cbranch_execz .LBB189_2171
.LBB189_2244:
	ds_load_b32 v34, v32 offset:64
	s_wait_dscnt 0x0
	v_add_f32_e32 v24, v34, v24
	s_or_b32 exec_lo, exec_lo, s0
	s_and_saveexec_b32 s0, vcc_lo
	s_cbranch_execz .LBB189_2172
.LBB189_2245:
	ds_load_b32 v34, v32 offset:96
	s_wait_dscnt 0x0
	v_add_f32_e32 v25, v34, v25
	s_or_b32 exec_lo, exec_lo, s0
	s_and_saveexec_b32 s0, vcc_lo
	s_cbranch_execz .LBB189_2173
.LBB189_2246:
	ds_load_b32 v34, v32 offset:128
	s_wait_dscnt 0x0
	v_add_f32_e32 v20, v34, v20
	s_or_b32 exec_lo, exec_lo, s0
	s_and_saveexec_b32 s0, vcc_lo
	s_cbranch_execz .LBB189_2174
.LBB189_2247:
	ds_load_b32 v34, v32 offset:160
	s_wait_dscnt 0x0
	v_add_f32_e32 v21, v34, v21
	s_or_b32 exec_lo, exec_lo, s0
	s_and_saveexec_b32 s0, vcc_lo
	s_cbranch_execz .LBB189_2175
.LBB189_2248:
	ds_load_b32 v34, v32 offset:192
	s_wait_dscnt 0x0
	v_add_f32_e32 v26, v34, v26
	s_or_b32 exec_lo, exec_lo, s0
	s_and_saveexec_b32 s0, vcc_lo
	s_cbranch_execz .LBB189_2176
.LBB189_2249:
	ds_load_b32 v34, v32 offset:224
	s_wait_dscnt 0x0
	v_add_f32_e32 v27, v34, v27
	s_or_b32 exec_lo, exec_lo, s0
	s_and_saveexec_b32 s0, vcc_lo
	s_cbranch_execz .LBB189_2177
.LBB189_2250:
	ds_load_b32 v34, v32 offset:256
	s_wait_dscnt 0x0
	v_add_f32_e32 v22, v34, v22
	s_or_b32 exec_lo, exec_lo, s0
	s_and_saveexec_b32 s0, vcc_lo
	s_cbranch_execz .LBB189_2178
.LBB189_2251:
	ds_load_b32 v34, v32 offset:288
	s_wait_dscnt 0x0
	v_add_f32_e32 v23, v34, v23
	s_or_b32 exec_lo, exec_lo, s0
	s_and_saveexec_b32 s0, vcc_lo
	s_cbranch_execz .LBB189_2179
.LBB189_2252:
	ds_load_b32 v34, v32 offset:320
	s_wait_dscnt 0x0
	v_add_f32_e32 v18, v34, v18
	s_or_b32 exec_lo, exec_lo, s0
	s_and_saveexec_b32 s0, vcc_lo
	s_cbranch_execz .LBB189_2180
.LBB189_2253:
	ds_load_b32 v34, v32 offset:352
	s_wait_dscnt 0x0
	v_add_f32_e32 v19, v34, v19
	s_or_b32 exec_lo, exec_lo, s0
	s_and_saveexec_b32 s0, vcc_lo
	s_cbranch_execz .LBB189_2181
.LBB189_2254:
	ds_load_b32 v34, v32 offset:384
	s_wait_dscnt 0x0
	v_add_f32_e32 v16, v34, v16
	s_or_b32 exec_lo, exec_lo, s0
	s_and_saveexec_b32 s0, vcc_lo
	s_cbranch_execz .LBB189_2182
.LBB189_2255:
	ds_load_b32 v34, v32 offset:416
	s_wait_dscnt 0x0
	v_add_f32_e32 v17, v34, v17
	s_or_b32 exec_lo, exec_lo, s0
	s_and_saveexec_b32 s0, vcc_lo
	s_cbranch_execz .LBB189_2183
.LBB189_2256:
	ds_load_b32 v34, v32 offset:448
	s_wait_dscnt 0x0
	v_add_f32_e32 v14, v34, v14
	s_or_b32 exec_lo, exec_lo, s0
	s_and_saveexec_b32 s0, vcc_lo
	s_cbranch_execz .LBB189_2184
.LBB189_2257:
	ds_load_b32 v34, v32 offset:480
	s_wait_dscnt 0x0
	v_add_f32_e32 v15, v34, v15
	s_or_b32 exec_lo, exec_lo, s0
	s_and_saveexec_b32 s0, vcc_lo
	s_cbranch_execz .LBB189_2185
.LBB189_2258:
	ds_load_b32 v34, v32 offset:512
	s_wait_dscnt 0x0
	v_add_f32_e32 v12, v34, v12
	s_or_b32 exec_lo, exec_lo, s0
	s_and_saveexec_b32 s0, vcc_lo
	s_cbranch_execz .LBB189_2186
.LBB189_2259:
	ds_load_b32 v34, v32 offset:544
	s_wait_dscnt 0x0
	v_add_f32_e32 v13, v34, v13
	s_or_b32 exec_lo, exec_lo, s0
	s_and_saveexec_b32 s0, vcc_lo
	s_cbranch_execz .LBB189_2187
.LBB189_2260:
	ds_load_b32 v34, v32 offset:576
	s_wait_dscnt 0x0
	v_add_f32_e32 v10, v34, v10
	s_or_b32 exec_lo, exec_lo, s0
	s_and_saveexec_b32 s0, vcc_lo
	s_cbranch_execz .LBB189_2188
.LBB189_2261:
	ds_load_b32 v34, v32 offset:608
	s_wait_dscnt 0x0
	v_add_f32_e32 v11, v34, v11
	s_or_b32 exec_lo, exec_lo, s0
	s_and_saveexec_b32 s0, vcc_lo
	s_cbranch_execz .LBB189_2189
.LBB189_2262:
	ds_load_b32 v34, v32 offset:640
	s_wait_dscnt 0x0
	v_add_f32_e32 v6, v34, v6
	s_or_b32 exec_lo, exec_lo, s0
	s_and_saveexec_b32 s0, vcc_lo
	s_cbranch_execz .LBB189_2190
.LBB189_2263:
	ds_load_b32 v34, v32 offset:672
	s_wait_dscnt 0x0
	v_add_f32_e32 v7, v34, v7
	s_or_b32 exec_lo, exec_lo, s0
	s_and_saveexec_b32 s0, vcc_lo
	s_cbranch_execz .LBB189_2191
.LBB189_2264:
	ds_load_b32 v34, v32 offset:704
	s_wait_dscnt 0x0
	v_add_f32_e32 v2, v34, v2
	s_or_b32 exec_lo, exec_lo, s0
	s_and_saveexec_b32 s0, vcc_lo
	s_cbranch_execz .LBB189_2192
.LBB189_2265:
	ds_load_b32 v34, v32 offset:736
	s_wait_dscnt 0x0
	v_add_f32_e32 v3, v34, v3
	s_or_b32 exec_lo, exec_lo, s0
	s_and_saveexec_b32 s0, vcc_lo
	s_cbranch_execz .LBB189_2193
.LBB189_2266:
	ds_load_b32 v34, v32 offset:768
	s_wait_dscnt 0x0
	v_add_f32_e32 v8, v34, v8
	s_or_b32 exec_lo, exec_lo, s0
	s_and_saveexec_b32 s0, vcc_lo
	s_cbranch_execz .LBB189_2194
.LBB189_2267:
	ds_load_b32 v34, v32 offset:800
	s_wait_dscnt 0x0
	v_add_f32_e32 v9, v34, v9
	s_or_b32 exec_lo, exec_lo, s0
	s_and_saveexec_b32 s0, vcc_lo
	s_cbranch_execz .LBB189_2195
.LBB189_2268:
	ds_load_b32 v34, v32 offset:832
	s_wait_dscnt 0x0
	v_add_f32_e32 v4, v34, v4
	s_or_b32 exec_lo, exec_lo, s0
	s_and_saveexec_b32 s0, vcc_lo
	s_cbranch_execz .LBB189_2196
.LBB189_2269:
	ds_load_b32 v34, v32 offset:864
	s_wait_dscnt 0x0
	v_add_f32_e32 v5, v34, v5
	s_or_b32 exec_lo, exec_lo, s0
	s_and_saveexec_b32 s0, vcc_lo
	s_cbranch_execz .LBB189_2197
.LBB189_2270:
	ds_load_b32 v34, v32 offset:896
	s_wait_dscnt 0x0
	v_add_f32_e32 v0, v34, v0
	s_or_b32 exec_lo, exec_lo, s0
	s_and_saveexec_b32 s0, vcc_lo
	s_cbranch_execz .LBB189_2198
.LBB189_2271:
	ds_load_b32 v34, v32 offset:928
	s_wait_dscnt 0x0
	v_add_f32_e32 v1, v34, v1
	s_or_b32 exec_lo, exec_lo, s0
	s_and_saveexec_b32 s0, vcc_lo
	s_cbranch_execz .LBB189_2199
.LBB189_2272:
	ds_load_b32 v34, v32 offset:960
	s_wait_dscnt 0x0
	v_add_f32_e32 v30, v34, v30
	s_or_b32 exec_lo, exec_lo, s0
	s_and_saveexec_b32 s0, vcc_lo
	s_cbranch_execnz .LBB189_2200
	s_branch .LBB189_2201
.LBB189_2273:
	ds_load_b32 v33, v32
	s_wait_dscnt 0x0
	v_add_f32_e32 v28, v33, v28
	s_or_b32 exec_lo, exec_lo, s0
	s_and_saveexec_b32 s0, vcc_lo
	s_cbranch_execz .LBB189_2207
.LBB189_2274:
	ds_load_b32 v33, v32 offset:32
	s_wait_dscnt 0x0
	v_add_f32_e32 v29, v33, v29
	s_or_b32 exec_lo, exec_lo, s0
	s_and_saveexec_b32 s0, vcc_lo
	s_cbranch_execz .LBB189_2208
.LBB189_2275:
	ds_load_b32 v33, v32 offset:64
	s_wait_dscnt 0x0
	v_add_f32_e32 v24, v33, v24
	s_or_b32 exec_lo, exec_lo, s0
	s_and_saveexec_b32 s0, vcc_lo
	s_cbranch_execz .LBB189_2209
.LBB189_2276:
	ds_load_b32 v33, v32 offset:96
	s_wait_dscnt 0x0
	v_add_f32_e32 v25, v33, v25
	s_or_b32 exec_lo, exec_lo, s0
	s_and_saveexec_b32 s0, vcc_lo
	s_cbranch_execz .LBB189_2210
.LBB189_2277:
	ds_load_b32 v33, v32 offset:128
	s_wait_dscnt 0x0
	v_add_f32_e32 v20, v33, v20
	s_or_b32 exec_lo, exec_lo, s0
	s_and_saveexec_b32 s0, vcc_lo
	s_cbranch_execz .LBB189_2211
.LBB189_2278:
	ds_load_b32 v33, v32 offset:160
	s_wait_dscnt 0x0
	v_add_f32_e32 v21, v33, v21
	s_or_b32 exec_lo, exec_lo, s0
	s_and_saveexec_b32 s0, vcc_lo
	s_cbranch_execz .LBB189_2212
.LBB189_2279:
	ds_load_b32 v33, v32 offset:192
	s_wait_dscnt 0x0
	v_add_f32_e32 v26, v33, v26
	s_or_b32 exec_lo, exec_lo, s0
	s_and_saveexec_b32 s0, vcc_lo
	s_cbranch_execz .LBB189_2213
.LBB189_2280:
	ds_load_b32 v33, v32 offset:224
	s_wait_dscnt 0x0
	v_add_f32_e32 v27, v33, v27
	s_or_b32 exec_lo, exec_lo, s0
	s_and_saveexec_b32 s0, vcc_lo
	s_cbranch_execz .LBB189_2214
.LBB189_2281:
	ds_load_b32 v33, v32 offset:256
	s_wait_dscnt 0x0
	v_add_f32_e32 v22, v33, v22
	s_or_b32 exec_lo, exec_lo, s0
	s_and_saveexec_b32 s0, vcc_lo
	s_cbranch_execz .LBB189_2215
.LBB189_2282:
	ds_load_b32 v33, v32 offset:288
	s_wait_dscnt 0x0
	v_add_f32_e32 v23, v33, v23
	s_or_b32 exec_lo, exec_lo, s0
	s_and_saveexec_b32 s0, vcc_lo
	s_cbranch_execz .LBB189_2216
.LBB189_2283:
	ds_load_b32 v33, v32 offset:320
	s_wait_dscnt 0x0
	v_add_f32_e32 v18, v33, v18
	s_or_b32 exec_lo, exec_lo, s0
	s_and_saveexec_b32 s0, vcc_lo
	s_cbranch_execz .LBB189_2217
.LBB189_2284:
	ds_load_b32 v33, v32 offset:352
	s_wait_dscnt 0x0
	v_add_f32_e32 v19, v33, v19
	s_or_b32 exec_lo, exec_lo, s0
	s_and_saveexec_b32 s0, vcc_lo
	s_cbranch_execz .LBB189_2218
.LBB189_2285:
	ds_load_b32 v33, v32 offset:384
	s_wait_dscnt 0x0
	v_add_f32_e32 v16, v33, v16
	s_or_b32 exec_lo, exec_lo, s0
	s_and_saveexec_b32 s0, vcc_lo
	s_cbranch_execz .LBB189_2219
.LBB189_2286:
	ds_load_b32 v33, v32 offset:416
	s_wait_dscnt 0x0
	v_add_f32_e32 v17, v33, v17
	s_or_b32 exec_lo, exec_lo, s0
	s_and_saveexec_b32 s0, vcc_lo
	s_cbranch_execz .LBB189_2220
.LBB189_2287:
	ds_load_b32 v33, v32 offset:448
	s_wait_dscnt 0x0
	v_add_f32_e32 v14, v33, v14
	s_or_b32 exec_lo, exec_lo, s0
	s_and_saveexec_b32 s0, vcc_lo
	s_cbranch_execz .LBB189_2221
.LBB189_2288:
	ds_load_b32 v33, v32 offset:480
	s_wait_dscnt 0x0
	v_add_f32_e32 v15, v33, v15
	s_or_b32 exec_lo, exec_lo, s0
	s_and_saveexec_b32 s0, vcc_lo
	s_cbranch_execz .LBB189_2222
.LBB189_2289:
	ds_load_b32 v33, v32 offset:512
	s_wait_dscnt 0x0
	v_add_f32_e32 v12, v33, v12
	s_or_b32 exec_lo, exec_lo, s0
	s_and_saveexec_b32 s0, vcc_lo
	s_cbranch_execz .LBB189_2223
.LBB189_2290:
	ds_load_b32 v33, v32 offset:544
	s_wait_dscnt 0x0
	v_add_f32_e32 v13, v33, v13
	s_or_b32 exec_lo, exec_lo, s0
	s_and_saveexec_b32 s0, vcc_lo
	s_cbranch_execz .LBB189_2224
.LBB189_2291:
	ds_load_b32 v33, v32 offset:576
	s_wait_dscnt 0x0
	v_add_f32_e32 v10, v33, v10
	s_or_b32 exec_lo, exec_lo, s0
	s_and_saveexec_b32 s0, vcc_lo
	s_cbranch_execz .LBB189_2225
.LBB189_2292:
	ds_load_b32 v33, v32 offset:608
	s_wait_dscnt 0x0
	v_add_f32_e32 v11, v33, v11
	s_or_b32 exec_lo, exec_lo, s0
	s_and_saveexec_b32 s0, vcc_lo
	s_cbranch_execz .LBB189_2226
.LBB189_2293:
	ds_load_b32 v33, v32 offset:640
	s_wait_dscnt 0x0
	v_add_f32_e32 v6, v33, v6
	s_or_b32 exec_lo, exec_lo, s0
	s_and_saveexec_b32 s0, vcc_lo
	s_cbranch_execz .LBB189_2227
.LBB189_2294:
	ds_load_b32 v33, v32 offset:672
	s_wait_dscnt 0x0
	v_add_f32_e32 v7, v33, v7
	s_or_b32 exec_lo, exec_lo, s0
	s_and_saveexec_b32 s0, vcc_lo
	s_cbranch_execz .LBB189_2228
.LBB189_2295:
	ds_load_b32 v33, v32 offset:704
	s_wait_dscnt 0x0
	v_add_f32_e32 v2, v33, v2
	s_or_b32 exec_lo, exec_lo, s0
	s_and_saveexec_b32 s0, vcc_lo
	s_cbranch_execz .LBB189_2229
.LBB189_2296:
	ds_load_b32 v33, v32 offset:736
	s_wait_dscnt 0x0
	v_add_f32_e32 v3, v33, v3
	s_or_b32 exec_lo, exec_lo, s0
	s_and_saveexec_b32 s0, vcc_lo
	s_cbranch_execz .LBB189_2230
.LBB189_2297:
	ds_load_b32 v33, v32 offset:768
	s_wait_dscnt 0x0
	v_add_f32_e32 v8, v33, v8
	s_or_b32 exec_lo, exec_lo, s0
	s_and_saveexec_b32 s0, vcc_lo
	s_cbranch_execz .LBB189_2231
.LBB189_2298:
	ds_load_b32 v33, v32 offset:800
	s_wait_dscnt 0x0
	v_add_f32_e32 v9, v33, v9
	s_or_b32 exec_lo, exec_lo, s0
	s_and_saveexec_b32 s0, vcc_lo
	s_cbranch_execz .LBB189_2232
.LBB189_2299:
	ds_load_b32 v33, v32 offset:832
	s_wait_dscnt 0x0
	v_add_f32_e32 v4, v33, v4
	s_or_b32 exec_lo, exec_lo, s0
	s_and_saveexec_b32 s0, vcc_lo
	s_cbranch_execz .LBB189_2233
.LBB189_2300:
	ds_load_b32 v33, v32 offset:864
	s_wait_dscnt 0x0
	v_add_f32_e32 v5, v33, v5
	s_or_b32 exec_lo, exec_lo, s0
	s_and_saveexec_b32 s0, vcc_lo
	s_cbranch_execz .LBB189_2234
.LBB189_2301:
	ds_load_b32 v33, v32 offset:896
	s_wait_dscnt 0x0
	v_add_f32_e32 v0, v33, v0
	s_or_b32 exec_lo, exec_lo, s0
	s_and_saveexec_b32 s0, vcc_lo
	s_cbranch_execz .LBB189_2235
.LBB189_2302:
	ds_load_b32 v33, v32 offset:928
	s_wait_dscnt 0x0
	v_add_f32_e32 v1, v33, v1
	s_or_b32 exec_lo, exec_lo, s0
	s_and_saveexec_b32 s0, vcc_lo
	s_cbranch_execz .LBB189_2236
.LBB189_2303:
	ds_load_b32 v33, v32 offset:960
	s_wait_dscnt 0x0
	v_add_f32_e32 v30, v33, v30
	s_or_b32 exec_lo, exec_lo, s0
	s_and_saveexec_b32 s0, vcc_lo
	s_cbranch_execnz .LBB189_2237
	s_branch .LBB189_2238
.Lfunc_end189:
	.size	_ZN4vllm22paged_attention_kernelIfhLi256ELi16ELi128ELNS_18Fp8KVCacheDataTypeE1ELb1ELi0EEEvPfS2_PT_PKS3_PKT0_S9_ifPKiSB_iPKfiiiSD_SD_iiiii, .Lfunc_end189-_ZN4vllm22paged_attention_kernelIfhLi256ELi16ELi128ELNS_18Fp8KVCacheDataTypeE1ELb1ELi0EEEvPfS2_PT_PKS3_PKT0_S9_ifPKiSB_iPKfiiiSD_SD_iiiii
                                        ; -- End function
	.set .L_ZN4vllm22paged_attention_kernelIfhLi256ELi16ELi128ELNS_18Fp8KVCacheDataTypeE1ELb1ELi0EEEvPfS2_PT_PKS3_PKT0_S9_ifPKiSB_iPKfiiiSD_SD_iiiii.num_vgpr, 128
	.set .L_ZN4vllm22paged_attention_kernelIfhLi256ELi16ELi128ELNS_18Fp8KVCacheDataTypeE1ELb1ELi0EEEvPfS2_PT_PKS3_PKT0_S9_ifPKiSB_iPKfiiiSD_SD_iiiii.num_agpr, 0
	.set .L_ZN4vllm22paged_attention_kernelIfhLi256ELi16ELi128ELNS_18Fp8KVCacheDataTypeE1ELb1ELi0EEEvPfS2_PT_PKS3_PKT0_S9_ifPKiSB_iPKfiiiSD_SD_iiiii.numbered_sgpr, 33
	.set .L_ZN4vllm22paged_attention_kernelIfhLi256ELi16ELi128ELNS_18Fp8KVCacheDataTypeE1ELb1ELi0EEEvPfS2_PT_PKS3_PKT0_S9_ifPKiSB_iPKfiiiSD_SD_iiiii.num_named_barrier, 0
	.set .L_ZN4vllm22paged_attention_kernelIfhLi256ELi16ELi128ELNS_18Fp8KVCacheDataTypeE1ELb1ELi0EEEvPfS2_PT_PKS3_PKT0_S9_ifPKiSB_iPKfiiiSD_SD_iiiii.private_seg_size, 1140
	.set .L_ZN4vllm22paged_attention_kernelIfhLi256ELi16ELi128ELNS_18Fp8KVCacheDataTypeE1ELb1ELi0EEEvPfS2_PT_PKS3_PKT0_S9_ifPKiSB_iPKfiiiSD_SD_iiiii.uses_vcc, 1
	.set .L_ZN4vllm22paged_attention_kernelIfhLi256ELi16ELi128ELNS_18Fp8KVCacheDataTypeE1ELb1ELi0EEEvPfS2_PT_PKS3_PKT0_S9_ifPKiSB_iPKfiiiSD_SD_iiiii.uses_flat_scratch, 1
	.set .L_ZN4vllm22paged_attention_kernelIfhLi256ELi16ELi128ELNS_18Fp8KVCacheDataTypeE1ELb1ELi0EEEvPfS2_PT_PKS3_PKT0_S9_ifPKiSB_iPKfiiiSD_SD_iiiii.has_dyn_sized_stack, 0
	.set .L_ZN4vllm22paged_attention_kernelIfhLi256ELi16ELi128ELNS_18Fp8KVCacheDataTypeE1ELb1ELi0EEEvPfS2_PT_PKS3_PKT0_S9_ifPKiSB_iPKfiiiSD_SD_iiiii.has_recursion, 0
	.set .L_ZN4vllm22paged_attention_kernelIfhLi256ELi16ELi128ELNS_18Fp8KVCacheDataTypeE1ELb1ELi0EEEvPfS2_PT_PKS3_PKT0_S9_ifPKiSB_iPKfiiiSD_SD_iiiii.has_indirect_call, 0
	.section	.AMDGPU.csdata,"",@progbits
; Function info:
; codeLenInByte = 88476
; TotalNumSgprs: 35
; NumVgprs: 128
; ScratchSize: 1140
; MemoryBound: 0
	.section	.text._ZN4vllm25paged_attention_v1_kernelIfhLi256ELi16ELi128ELNS_18Fp8KVCacheDataTypeE1ELb1EEEvPT_PKS2_PKT0_S8_ifPKiSA_iPKfiiiSC_SC_iiiii,"axG",@progbits,_ZN4vllm25paged_attention_v1_kernelIfhLi256ELi16ELi128ELNS_18Fp8KVCacheDataTypeE1ELb1EEEvPT_PKS2_PKT0_S8_ifPKiSA_iPKfiiiSC_SC_iiiii,comdat
	.protected	_ZN4vllm25paged_attention_v1_kernelIfhLi256ELi16ELi128ELNS_18Fp8KVCacheDataTypeE1ELb1EEEvPT_PKS2_PKT0_S8_ifPKiSA_iPKfiiiSC_SC_iiiii ; -- Begin function _ZN4vllm25paged_attention_v1_kernelIfhLi256ELi16ELi128ELNS_18Fp8KVCacheDataTypeE1ELb1EEEvPT_PKS2_PKT0_S8_ifPKiSA_iPKfiiiSC_SC_iiiii
	.globl	_ZN4vllm25paged_attention_v1_kernelIfhLi256ELi16ELi128ELNS_18Fp8KVCacheDataTypeE1ELb1EEEvPT_PKS2_PKT0_S8_ifPKiSA_iPKfiiiSC_SC_iiiii
	.p2align	8
	.type	_ZN4vllm25paged_attention_v1_kernelIfhLi256ELi16ELi128ELNS_18Fp8KVCacheDataTypeE1ELb1EEEvPT_PKS2_PKT0_S8_ifPKiSA_iPKfiiiSC_SC_iiiii,@function
_ZN4vllm25paged_attention_v1_kernelIfhLi256ELi16ELi128ELNS_18Fp8KVCacheDataTypeE1ELb1EEEvPT_PKS2_PKT0_S8_ifPKiSA_iPKfiiiSC_SC_iiiii: ; @_ZN4vllm25paged_attention_v1_kernelIfhLi256ELi16ELi128ELNS_18Fp8KVCacheDataTypeE1ELb1EEEvPT_PKS2_PKT0_S8_ifPKiSA_iPKfiiiSC_SC_iiiii
; %bb.0:
	s_clause 0x6
	s_load_b256 s[12:19], s[0:1], 0x0
	s_load_b128 s[4:7], s[0:1], 0x20
	s_load_b96 s[28:30], s[0:1], 0x30
	s_load_b64 s[10:11], s[0:1], 0x40
	s_load_b96 s[36:38], s[0:1], 0x48
	s_load_b256 s[20:27], s[0:1], 0x58
	s_load_b32 s31, s[0:1], 0x78
	v_mov_b32_e32 v31, v0
	s_get_pc_i64 s[2:3]
	s_add_nc_u64 s[2:3], s[2:3], _ZN4vllm22paged_attention_kernelIfhLi256ELi16ELi128ELNS_18Fp8KVCacheDataTypeE1ELb1ELi0EEEvPfS2_PT_PKS3_PKT0_S9_ifPKiSB_iPKfiiiSD_SD_iiiii@rel64+4
	s_add_nc_u64 s[8:9], s[0:1], 0x80
	s_mov_b32 s32, 0
	s_wait_kmcnt 0x0
	v_dual_mov_b32 v15, s10 :: v_dual_mov_b32 v16, s11
	v_dual_mov_b32 v0, s12 :: v_dual_mov_b32 v1, s13
	;; [unrolled: 1-line block ×14, first 2 shown]
	v_mov_b32_e32 v28, s31
	s_mov_b32 s15, 27
	s_swap_pc_i64 s[30:31], s[2:3]
	s_endpgm
	.section	.rodata,"a",@progbits
	.p2align	6, 0x0
	.amdhsa_kernel _ZN4vllm25paged_attention_v1_kernelIfhLi256ELi16ELi128ELNS_18Fp8KVCacheDataTypeE1ELb1EEEvPT_PKS2_PKT0_S8_ifPKiSA_iPKfiiiSC_SC_iiiii
		.amdhsa_group_segment_fixed_size 1056
		.amdhsa_private_segment_fixed_size 1140
		.amdhsa_kernarg_size 384
		.amdhsa_user_sgpr_count 2
		.amdhsa_user_sgpr_dispatch_ptr 0
		.amdhsa_user_sgpr_queue_ptr 0
		.amdhsa_user_sgpr_kernarg_segment_ptr 1
		.amdhsa_user_sgpr_dispatch_id 0
		.amdhsa_user_sgpr_kernarg_preload_length 0
		.amdhsa_user_sgpr_kernarg_preload_offset 0
		.amdhsa_user_sgpr_private_segment_size 0
		.amdhsa_wavefront_size32 1
		.amdhsa_uses_dynamic_stack 0
		.amdhsa_enable_private_segment 1
		.amdhsa_system_sgpr_workgroup_id_x 1
		.amdhsa_system_sgpr_workgroup_id_y 1
		.amdhsa_system_sgpr_workgroup_id_z 1
		.amdhsa_system_sgpr_workgroup_info 0
		.amdhsa_system_vgpr_workitem_id 0
		.amdhsa_next_free_vgpr 128
		.amdhsa_next_free_sgpr 39
		.amdhsa_named_barrier_count 0
		.amdhsa_reserve_vcc 1
		.amdhsa_float_round_mode_32 0
		.amdhsa_float_round_mode_16_64 0
		.amdhsa_float_denorm_mode_32 3
		.amdhsa_float_denorm_mode_16_64 3
		.amdhsa_fp16_overflow 0
		.amdhsa_memory_ordered 1
		.amdhsa_forward_progress 1
		.amdhsa_inst_pref_size 2
		.amdhsa_round_robin_scheduling 0
		.amdhsa_exception_fp_ieee_invalid_op 0
		.amdhsa_exception_fp_denorm_src 0
		.amdhsa_exception_fp_ieee_div_zero 0
		.amdhsa_exception_fp_ieee_overflow 0
		.amdhsa_exception_fp_ieee_underflow 0
		.amdhsa_exception_fp_ieee_inexact 0
		.amdhsa_exception_int_div_zero 0
	.end_amdhsa_kernel
	.section	.text._ZN4vllm25paged_attention_v1_kernelIfhLi256ELi16ELi128ELNS_18Fp8KVCacheDataTypeE1ELb1EEEvPT_PKS2_PKT0_S8_ifPKiSA_iPKfiiiSC_SC_iiiii,"axG",@progbits,_ZN4vllm25paged_attention_v1_kernelIfhLi256ELi16ELi128ELNS_18Fp8KVCacheDataTypeE1ELb1EEEvPT_PKS2_PKT0_S8_ifPKiSA_iPKfiiiSC_SC_iiiii,comdat
.Lfunc_end190:
	.size	_ZN4vllm25paged_attention_v1_kernelIfhLi256ELi16ELi128ELNS_18Fp8KVCacheDataTypeE1ELb1EEEvPT_PKS2_PKT0_S8_ifPKiSA_iPKfiiiSC_SC_iiiii, .Lfunc_end190-_ZN4vllm25paged_attention_v1_kernelIfhLi256ELi16ELi128ELNS_18Fp8KVCacheDataTypeE1ELb1EEEvPT_PKS2_PKT0_S8_ifPKiSA_iPKfiiiSC_SC_iiiii
                                        ; -- End function
	.set _ZN4vllm25paged_attention_v1_kernelIfhLi256ELi16ELi128ELNS_18Fp8KVCacheDataTypeE1ELb1EEEvPT_PKS2_PKT0_S8_ifPKiSA_iPKfiiiSC_SC_iiiii.num_vgpr, max(32, .L_ZN4vllm22paged_attention_kernelIfhLi256ELi16ELi128ELNS_18Fp8KVCacheDataTypeE1ELb1ELi0EEEvPfS2_PT_PKS3_PKT0_S9_ifPKiSB_iPKfiiiSD_SD_iiiii.num_vgpr)
	.set _ZN4vllm25paged_attention_v1_kernelIfhLi256ELi16ELi128ELNS_18Fp8KVCacheDataTypeE1ELb1EEEvPT_PKS2_PKT0_S8_ifPKiSA_iPKfiiiSC_SC_iiiii.num_agpr, max(0, .L_ZN4vllm22paged_attention_kernelIfhLi256ELi16ELi128ELNS_18Fp8KVCacheDataTypeE1ELb1ELi0EEEvPfS2_PT_PKS3_PKT0_S9_ifPKiSB_iPKfiiiSD_SD_iiiii.num_agpr)
	.set _ZN4vllm25paged_attention_v1_kernelIfhLi256ELi16ELi128ELNS_18Fp8KVCacheDataTypeE1ELb1EEEvPT_PKS2_PKT0_S8_ifPKiSA_iPKfiiiSC_SC_iiiii.numbered_sgpr, max(39, .L_ZN4vllm22paged_attention_kernelIfhLi256ELi16ELi128ELNS_18Fp8KVCacheDataTypeE1ELb1ELi0EEEvPfS2_PT_PKS3_PKT0_S9_ifPKiSB_iPKfiiiSD_SD_iiiii.numbered_sgpr)
	.set _ZN4vllm25paged_attention_v1_kernelIfhLi256ELi16ELi128ELNS_18Fp8KVCacheDataTypeE1ELb1EEEvPT_PKS2_PKT0_S8_ifPKiSA_iPKfiiiSC_SC_iiiii.num_named_barrier, max(0, .L_ZN4vllm22paged_attention_kernelIfhLi256ELi16ELi128ELNS_18Fp8KVCacheDataTypeE1ELb1ELi0EEEvPfS2_PT_PKS3_PKT0_S9_ifPKiSB_iPKfiiiSD_SD_iiiii.num_named_barrier)
	.set _ZN4vllm25paged_attention_v1_kernelIfhLi256ELi16ELi128ELNS_18Fp8KVCacheDataTypeE1ELb1EEEvPT_PKS2_PKT0_S8_ifPKiSA_iPKfiiiSC_SC_iiiii.private_seg_size, 0+max(.L_ZN4vllm22paged_attention_kernelIfhLi256ELi16ELi128ELNS_18Fp8KVCacheDataTypeE1ELb1ELi0EEEvPfS2_PT_PKS3_PKT0_S9_ifPKiSB_iPKfiiiSD_SD_iiiii.private_seg_size)
	.set _ZN4vllm25paged_attention_v1_kernelIfhLi256ELi16ELi128ELNS_18Fp8KVCacheDataTypeE1ELb1EEEvPT_PKS2_PKT0_S8_ifPKiSA_iPKfiiiSC_SC_iiiii.uses_vcc, or(1, .L_ZN4vllm22paged_attention_kernelIfhLi256ELi16ELi128ELNS_18Fp8KVCacheDataTypeE1ELb1ELi0EEEvPfS2_PT_PKS3_PKT0_S9_ifPKiSB_iPKfiiiSD_SD_iiiii.uses_vcc)
	.set _ZN4vllm25paged_attention_v1_kernelIfhLi256ELi16ELi128ELNS_18Fp8KVCacheDataTypeE1ELb1EEEvPT_PKS2_PKT0_S8_ifPKiSA_iPKfiiiSC_SC_iiiii.uses_flat_scratch, or(0, .L_ZN4vllm22paged_attention_kernelIfhLi256ELi16ELi128ELNS_18Fp8KVCacheDataTypeE1ELb1ELi0EEEvPfS2_PT_PKS3_PKT0_S9_ifPKiSB_iPKfiiiSD_SD_iiiii.uses_flat_scratch)
	.set _ZN4vllm25paged_attention_v1_kernelIfhLi256ELi16ELi128ELNS_18Fp8KVCacheDataTypeE1ELb1EEEvPT_PKS2_PKT0_S8_ifPKiSA_iPKfiiiSC_SC_iiiii.has_dyn_sized_stack, or(0, .L_ZN4vllm22paged_attention_kernelIfhLi256ELi16ELi128ELNS_18Fp8KVCacheDataTypeE1ELb1ELi0EEEvPfS2_PT_PKS3_PKT0_S9_ifPKiSB_iPKfiiiSD_SD_iiiii.has_dyn_sized_stack)
	.set _ZN4vllm25paged_attention_v1_kernelIfhLi256ELi16ELi128ELNS_18Fp8KVCacheDataTypeE1ELb1EEEvPT_PKS2_PKT0_S8_ifPKiSA_iPKfiiiSC_SC_iiiii.has_recursion, or(0, .L_ZN4vllm22paged_attention_kernelIfhLi256ELi16ELi128ELNS_18Fp8KVCacheDataTypeE1ELb1ELi0EEEvPfS2_PT_PKS3_PKT0_S9_ifPKiSB_iPKfiiiSD_SD_iiiii.has_recursion)
	.set _ZN4vllm25paged_attention_v1_kernelIfhLi256ELi16ELi128ELNS_18Fp8KVCacheDataTypeE1ELb1EEEvPT_PKS2_PKT0_S8_ifPKiSA_iPKfiiiSC_SC_iiiii.has_indirect_call, or(0, .L_ZN4vllm22paged_attention_kernelIfhLi256ELi16ELi128ELNS_18Fp8KVCacheDataTypeE1ELb1ELi0EEEvPfS2_PT_PKS3_PKT0_S9_ifPKiSB_iPKfiiiSD_SD_iiiii.has_indirect_call)
	.section	.AMDGPU.csdata,"",@progbits
; Kernel info:
; codeLenInByte = 224
; TotalNumSgprs: 41
; NumVgprs: 128
; ScratchSize: 1140
; MemoryBound: 0
; FloatMode: 240
; IeeeMode: 1
; LDSByteSize: 1056 bytes/workgroup (compile time only)
; SGPRBlocks: 0
; VGPRBlocks: 7
; NumSGPRsForWavesPerEU: 41
; NumVGPRsForWavesPerEU: 128
; NamedBarCnt: 0
; Occupancy: 8
; WaveLimiterHint : 1
; COMPUTE_PGM_RSRC2:SCRATCH_EN: 1
; COMPUTE_PGM_RSRC2:USER_SGPR: 2
; COMPUTE_PGM_RSRC2:TRAP_HANDLER: 0
; COMPUTE_PGM_RSRC2:TGID_X_EN: 1
; COMPUTE_PGM_RSRC2:TGID_Y_EN: 1
; COMPUTE_PGM_RSRC2:TGID_Z_EN: 1
; COMPUTE_PGM_RSRC2:TIDIG_COMP_CNT: 0
	.section	.text._ZN4vllm25paged_attention_v1_kernelIfhLi32ELi16ELi128ELNS_18Fp8KVCacheDataTypeE1ELb0EEEvPT_PKS2_PKT0_S8_ifPKiSA_iPKfiiiSC_SC_iiiii,"axG",@progbits,_ZN4vllm25paged_attention_v1_kernelIfhLi32ELi16ELi128ELNS_18Fp8KVCacheDataTypeE1ELb0EEEvPT_PKS2_PKT0_S8_ifPKiSA_iPKfiiiSC_SC_iiiii,comdat
	.protected	_ZN4vllm25paged_attention_v1_kernelIfhLi32ELi16ELi128ELNS_18Fp8KVCacheDataTypeE1ELb0EEEvPT_PKS2_PKT0_S8_ifPKiSA_iPKfiiiSC_SC_iiiii ; -- Begin function _ZN4vllm25paged_attention_v1_kernelIfhLi32ELi16ELi128ELNS_18Fp8KVCacheDataTypeE1ELb0EEEvPT_PKS2_PKT0_S8_ifPKiSA_iPKfiiiSC_SC_iiiii
	.globl	_ZN4vllm25paged_attention_v1_kernelIfhLi32ELi16ELi128ELNS_18Fp8KVCacheDataTypeE1ELb0EEEvPT_PKS2_PKT0_S8_ifPKiSA_iPKfiiiSC_SC_iiiii
	.p2align	8
	.type	_ZN4vllm25paged_attention_v1_kernelIfhLi32ELi16ELi128ELNS_18Fp8KVCacheDataTypeE1ELb0EEEvPT_PKS2_PKT0_S8_ifPKiSA_iPKfiiiSC_SC_iiiii,@function
_ZN4vllm25paged_attention_v1_kernelIfhLi32ELi16ELi128ELNS_18Fp8KVCacheDataTypeE1ELb0EEEvPT_PKS2_PKT0_S8_ifPKiSA_iPKfiiiSC_SC_iiiii: ; @_ZN4vllm25paged_attention_v1_kernelIfhLi32ELi16ELi128ELNS_18Fp8KVCacheDataTypeE1ELb0EEEvPT_PKS2_PKT0_S8_ifPKiSA_iPKfiiiSC_SC_iiiii
; %bb.0:
	s_load_b64 s[18:19], s[0:1], 0x20
	s_bfe_u32 s3, ttmp6, 0x4000c
	s_bfe_u32 s5, ttmp6, 0x40010
	s_and_b32 s4, ttmp7, 0xffff
	s_add_co_i32 s3, s3, 1
	s_add_co_i32 s5, s5, 1
	s_and_b32 s2, ttmp6, 15
	s_bfe_u32 s6, ttmp6, 0x40004
	s_mul_i32 s3, ttmp9, s3
	s_mul_i32 s5, s4, s5
	s_getreg_b32 s22, hwreg(HW_REG_IB_STS2, 6, 4)
	s_add_co_i32 s2, s2, s3
	s_add_co_i32 s3, s6, s5
	s_cmp_eq_u32 s22, 0
	s_clause 0x1
	s_load_b32 s23, s[0:1], 0x80
	s_load_b64 s[6:7], s[0:1], 0x30
	s_cselect_b32 s24, s4, s3
	s_cselect_b32 s4, ttmp9, s2
	s_wait_kmcnt 0x0
	s_abs_i32 s2, s18
	s_delay_alu instid0(SALU_CYCLE_1) | instskip(SKIP_1) | instid1(SALU_CYCLE_2)
	s_cvt_f32_u32 s3, s2
	s_sub_co_i32 s5, 0, s2
	v_rcp_iflag_f32_e32 v1, s3
	s_abs_i32 s8, s23
	v_nop
	s_delay_alu instid0(TRANS32_DEP_1) | instskip(SKIP_1) | instid1(SALU_CYCLE_3)
	v_readfirstlane_b32 s3, v1
	s_mul_f32 s3, s3, 0x4f7ffffe
	s_cvt_u32_f32 s3, s3
	s_delay_alu instid0(SALU_CYCLE_3) | instskip(NEXT) | instid1(SALU_CYCLE_1)
	s_mul_i32 s5, s5, s3
	s_mul_hi_u32 s5, s3, s5
	s_delay_alu instid0(SALU_CYCLE_1) | instskip(SKIP_4) | instid1(SALU_CYCLE_1)
	s_add_co_i32 s3, s3, s5
	s_xor_b32 s5, s23, s18
	s_mul_hi_u32 s3, s8, s3
	s_ashr_i32 s5, s5, 31
	s_mul_i32 s9, s3, s2
	s_sub_co_i32 s8, s8, s9
	s_add_co_i32 s9, s3, 1
	s_sub_co_i32 s10, s8, s2
	s_cmp_ge_u32 s8, s2
	s_cselect_b32 s3, s9, s3
	s_cselect_b32 s8, s10, s8
	s_add_co_i32 s9, s3, 1
	s_cmp_ge_u32 s8, s2
	s_cselect_b32 s2, s9, s3
	s_load_b64 s[8:9], s[0:1], 0x40
	s_xor_b32 s2, s2, s5
	s_mov_b32 s3, 0
	s_sub_co_i32 s14, s2, s5
	s_mov_b32 s13, s3
	s_abs_i32 s11, s14
	s_mov_b32 s18, s3
	s_cvt_f32_u32 s2, s11
	s_delay_alu instid0(SALU_CYCLE_3) | instskip(SKIP_1) | instid1(TRANS32_DEP_1)
	v_rcp_iflag_f32_e32 v1, s2
	v_nop
	v_readfirstlane_b32 s2, v1
	s_mul_f32 s2, s2, 0x4f7ffffe
	s_delay_alu instid0(SALU_CYCLE_3) | instskip(SKIP_1) | instid1(SALU_CYCLE_2)
	s_cvt_u32_f32 s5, s2
	s_sub_co_i32 s2, 0, s11
	s_mul_i32 s2, s2, s5
	s_delay_alu instid0(SALU_CYCLE_1)
	s_mul_hi_u32 s10, s5, s2
	s_abs_i32 s2, s4
	s_add_co_i32 s12, s5, s10
	s_wait_kmcnt 0x0
	s_cmp_eq_u64 s[8:9], 0
	s_cbranch_scc1 .LBB191_2
; %bb.1:
	s_ashr_i32 s5, s4, 31
	s_delay_alu instid0(SALU_CYCLE_1) | instskip(NEXT) | instid1(SALU_CYCLE_1)
	s_lshl_b64 s[16:17], s[4:5], 2
	s_add_nc_u64 s[8:9], s[8:9], s[16:17]
	s_load_b32 s18, s[8:9], 0x0
.LBB191_2:
	s_load_b32 s25, s[6:7], s24 offset:0x0 scale_offset
	s_wait_xcnt 0x0
	s_load_b96 s[8:10], s[0:1], 0x48
	v_dual_lshlrev_b32 v56, 2, v0 :: v_dual_bitop2_b32 v20, 1, v0 bitop3:0x40
	s_ashr_i32 s5, s4, 31
	s_ashr_i32 s14, s14, 31
	s_mul_u64 s[6:7], s[2:3], s[12:13]
	s_lshl_b32 s12, s4, 5
	s_mov_b32 s3, exec_lo
	v_cmpx_gt_u32_e32 16, v0
	s_cbranch_execz .LBB191_4
; %bb.3:
	s_load_b64 s[16:17], s[0:1], 0x8
	s_wait_kmcnt 0x0
	s_mul_i32 s20, s8, s24
	s_ashr_i32 s13, s12, 31
	s_ashr_i32 s21, s20, 31
	v_and_b32_e32 v1, 0xff8, v56
	s_lshl_b64 s[20:21], s[20:21], 2
	s_delay_alu instid0(VALU_DEP_1) | instskip(SKIP_2) | instid1(SALU_CYCLE_1)
	v_lshl_add_u32 v1, v20, 6, v1
	s_add_nc_u64 s[16:17], s[16:17], s[20:21]
	s_lshl_b64 s[20:21], s[12:13], 2
	s_add_nc_u64 s[16:17], s[16:17], s[20:21]
	global_load_b64 v[2:3], v0, s[16:17] scale_offset
	s_wait_loadcnt 0x0
	ds_store_b64 v1, v[2:3]
.LBB191_4:
	s_or_b32 exec_lo, exec_lo, s3
	s_wait_kmcnt 0x0
	s_add_co_i32 s3, s25, 15
	s_load_b32 s4, s[0:1], 0x38
	s_ashr_i32 s6, s3, 31
	s_mul_i32 s8, s7, s11
	s_lshr_b32 s6, s6, 28
	s_sub_co_i32 s2, s2, s8
	s_add_co_i32 s3, s3, s6
	s_xor_b32 s5, s5, s14
	s_ashr_i32 s13, s3, 4
	s_add_co_i32 s3, s7, 1
	s_sub_co_i32 s6, s2, s11
	s_cmp_ge_u32 s2, s11
	v_lshrrev_b32_e32 v1, 5, v0
	s_cselect_b32 s3, s3, s7
	s_cselect_b32 s2, s6, s2
	s_add_co_i32 s6, s3, 1
	s_cmp_ge_u32 s2, s11
	v_mbcnt_lo_u32_b32 v58, -1, 0
	s_cselect_b32 s2, s6, s3
	s_wait_dscnt 0x0
	s_xor_b32 s2, s2, s5
	s_wait_kmcnt 0x0
	s_mul_i32 s14, s4, s24
	s_sub_co_i32 s3, s2, s5
	v_cmp_gt_i32_e64 s2, s13, v1
	s_ashr_i32 s15, s14, 31
	s_mov_b32 s4, exec_lo
	s_barrier_signal -1
	s_barrier_wait -1
                                        ; implicit-def: $vgpr19
                                        ; implicit-def: $vgpr59
	v_cmpx_le_i32_e64 s13, v1
	s_xor_b32 s4, exec_lo, s4
; %bb.5:
	v_dual_mov_b32 v19, 0 :: v_dual_mov_b32 v59, 32
	v_mbcnt_lo_u32_b32 v58, -1, 0
                                        ; implicit-def: $vgpr20
; %bb.6:
	s_or_saveexec_b32 s26, s4
	s_clause 0x2
	s_load_b32 s8, s[0:1], 0x88
	s_load_b64 s[16:17], s[0:1], 0x28
	s_load_b128 s[4:7], s[0:1], 0x58
	v_dual_mov_b32 v60, 0xff7fffff :: v_dual_lshrrev_b32 v57, 3, v0
	s_mul_i32 s10, s3, s10
	s_xor_b32 exec_lo, exec_lo, s26
	s_cbranch_execz .LBB191_140
; %bb.7:
	s_load_b64 s[28:29], s[0:1], 0x10
	v_bfe_u32 v24, v0, 1, 4
	v_dual_mov_b32 v59, 32 :: v_dual_bitop2_b32 v21, 1, v58 bitop3:0x14
	v_dual_mov_b32 v19, 0 :: v_dual_lshlrev_b32 v14, 6, v20
	s_ashr_i32 s11, s10, 31
	s_delay_alu instid0(VALU_DEP_2)
	v_cmp_gt_i32_e32 vcc_lo, 32, v21
	v_lshlrev_b32_e32 v18, 4, v24
	s_wait_kmcnt 0x0
	s_load_b32 s20, s[4:5], 0x0
	ds_load_b128 v[2:5], v14
	ds_load_b128 v[6:9], v14 offset:16
	ds_load_b128 v[10:13], v14 offset:32
	;; [unrolled: 1-line block ×3, first 2 shown]
	s_cmp_neq_f32 s18, 0
	v_dual_cndmask_b32 v21, v58, v21, vcc_lo :: v_dual_lshlrev_b32 v25, 2, v24
	v_cmp_eq_u32_e32 vcc_lo, 0, v20
	s_cselect_b32 s3, -1, 0
	v_lshl_or_b32 v62, v1, 4, v24
	s_delay_alu instid0(VALU_DEP_3)
	v_lshlrev_b32_e32 v61, 2, v21
	v_lshl_or_b32 v25, v1, 6, v25
	v_mov_b32_e32 v60, 0xff7fffff
	s_wait_xcnt 0x0
	s_add_nc_u64 s[4:5], s[28:29], s[10:11]
	s_mov_b32 s27, s9
	v_add_nc_u64_e32 v[22:23], s[4:5], v[18:19]
	v_dual_lshlrev_b32 v18, 1, v20 :: v_dual_mov_b32 v64, v1
	s_lshl_b64 s[4:5], s[14:15], 2
	v_add_nc_u32_e32 v63, 0xa0, v25
	s_add_nc_u64 s[4:5], s[16:17], s[4:5]
	s_sub_co_i32 s11, 1, s25
	s_delay_alu instid0(VALU_DEP_3) | instskip(SKIP_3) | instid1(VALU_DEP_1)
	v_add_nc_u64_e32 v[20:21], v[22:23], v[18:19]
	v_and_b32_e32 v18, 0x7c, v57
	s_wait_kmcnt 0x0
	s_mov_b32 s21, s20
	v_add_nc_u64_e32 v[22:23], s[4:5], v[18:19]
	s_mov_b32 s5, 0
	s_branch .LBB191_9
.LBB191_8:                              ;   in Loop: Header=BB191_9 Depth=1
	s_or_b32 exec_lo, exec_lo, s28
	v_dual_add_nc_u32 v64, 4, v64 :: v_dual_add_nc_u32 v62, 64, v62
	v_add_nc_u64_e32 v[22:23], 16, v[22:23]
	v_add_nc_u32_e32 v63, 0x100, v63
	s_delay_alu instid0(VALU_DEP_3) | instskip(SKIP_1) | instid1(SALU_CYCLE_1)
	v_cmp_le_i32_e64 s4, s13, v64
	s_or_b32 s5, s4, s5
	s_and_not1_b32 exec_lo, exec_lo, s5
	s_cbranch_execz .LBB191_139
.LBB191_9:                              ; =>This Inner Loop Header: Depth=1
	global_load_b32 v18, v[22:23], off
	s_wait_dscnt 0x0
	v_mov_b64_e32 v[24:25], 0
	v_mov_b64_e32 v[26:27], 0
	s_mov_b32 s28, exec_lo
	s_wait_loadcnt 0x0
	v_mad_nc_i64_i32 v[28:29], v18, s27, v[20:21]
	global_load_u16 v18, v[28:29], off
	s_wait_loadcnt 0x0
	v_and_b32_e32 v31, 0xff, v18
	v_and_b32_e32 v30, 0xffff, v18
	s_wait_xcnt 0x0
	s_delay_alu instid0(VALU_DEP_2)
	v_cmpx_ne_u16_e32 0, v31
	s_cbranch_execz .LBB191_17
; %bb.10:                               ;   in Loop: Header=BB191_9 Depth=1
	v_mov_b64_e32 v[26:27], 0x80000000
	v_and_b32_e32 v18, 0xff, v30
	s_mov_b32 s29, exec_lo
	s_delay_alu instid0(VALU_DEP_1)
	v_cmpx_ne_u16_e32 0x80, v18
	s_cbranch_execz .LBB191_16
; %bb.11:                               ;   in Loop: Header=BB191_9 Depth=1
	v_mov_b64_e32 v[26:27], 0x7f800001
	v_and_b32_e32 v31, 0x7f, v30
	s_mov_b32 s30, exec_lo
	s_delay_alu instid0(VALU_DEP_1)
	v_cmpx_ne_u32_e32 0x7f, v31
	s_cbranch_execz .LBB191_15
; %bb.12:                               ;   in Loop: Header=BB191_9 Depth=1
	v_dual_lshrrev_b32 v26, 3, v31 :: v_dual_bitop2_b32 v18, 7, v30 bitop3:0x40
	s_mov_b32 s31, exec_lo
	v_cmpx_gt_u32_e32 8, v31
; %bb.13:                               ;   in Loop: Header=BB191_9 Depth=1
	s_delay_alu instid0(VALU_DEP_2) | instskip(NEXT) | instid1(VALU_DEP_1)
	v_clz_i32_u32_e32 v26, v18
	v_min_u32_e32 v26, 32, v26
	s_delay_alu instid0(VALU_DEP_1) | instskip(NEXT) | instid1(VALU_DEP_1)
	v_subrev_nc_u32_e32 v27, 28, v26
	v_lshlrev_b64_e32 v[32:33], v27, v[18:19]
	s_delay_alu instid0(VALU_DEP_1)
	v_dual_sub_nc_u32 v26, 29, v26 :: v_dual_bitop2_b32 v18, 7, v32 bitop3:0x40
; %bb.14:                               ;   in Loop: Header=BB191_9 Depth=1
	s_or_b32 exec_lo, exec_lo, s31
	v_lshlrev_b32_e32 v27, 24, v30
	s_delay_alu instid0(VALU_DEP_2) | instskip(NEXT) | instid1(VALU_DEP_3)
	v_lshlrev_b32_e32 v18, 20, v18
	v_lshl_add_u32 v26, v26, 23, 0x3c000000
	s_delay_alu instid0(VALU_DEP_3) | instskip(NEXT) | instid1(VALU_DEP_1)
	v_and_b32_e32 v27, 0x80000000, v27
	v_or3_b32 v18, v18, v27, v26
	s_delay_alu instid0(VALU_DEP_1)
	v_mov_b64_e32 v[26:27], v[18:19]
.LBB191_15:                             ;   in Loop: Header=BB191_9 Depth=1
	s_or_b32 exec_lo, exec_lo, s30
.LBB191_16:                             ;   in Loop: Header=BB191_9 Depth=1
	s_delay_alu instid0(SALU_CYCLE_1)
	s_or_b32 exec_lo, exec_lo, s29
.LBB191_17:                             ;   in Loop: Header=BB191_9 Depth=1
	s_delay_alu instid0(SALU_CYCLE_1) | instskip(SKIP_2) | instid1(VALU_DEP_1)
	s_or_b32 exec_lo, exec_lo, s28
	v_lshrrev_b16 v18, 8, v30
	s_mov_b32 s28, exec_lo
	v_cmpx_ne_u16_e32 0, v18
	s_cbranch_execz .LBB191_25
; %bb.18:                               ;   in Loop: Header=BB191_9 Depth=1
	v_mov_b64_e32 v[24:25], 0x8000000000000000
	s_mov_b32 s29, exec_lo
	v_cmpx_ne_u16_e32 0x80, v18
	s_cbranch_execz .LBB191_24
; %bb.19:                               ;   in Loop: Header=BB191_9 Depth=1
	v_and_b32_e32 v18, 0xffff, v18
	v_mov_b64_e32 v[24:25], 0x7f80000100000000
	s_mov_b32 s30, exec_lo
	s_delay_alu instid0(VALU_DEP_2) | instskip(NEXT) | instid1(VALU_DEP_1)
	v_and_b32_e32 v31, 0x7f, v18
	v_cmpx_ne_u32_e32 0x7f, v31
	s_cbranch_execz .LBB191_23
; %bb.20:                               ;   in Loop: Header=BB191_9 Depth=1
	v_dual_lshrrev_b32 v24, 3, v31 :: v_dual_bitop2_b32 v18, 7, v18 bitop3:0x40
	s_mov_b32 s31, exec_lo
	v_cmpx_gt_u32_e32 8, v31
; %bb.21:                               ;   in Loop: Header=BB191_9 Depth=1
	s_delay_alu instid0(VALU_DEP_2) | instskip(NEXT) | instid1(VALU_DEP_1)
	v_clz_i32_u32_e32 v24, v18
	v_min_u32_e32 v24, 32, v24
	s_delay_alu instid0(VALU_DEP_1) | instskip(SKIP_1) | instid1(VALU_DEP_2)
	v_subrev_nc_u32_e32 v25, 28, v24
	v_sub_nc_u32_e32 v24, 29, v24
	v_lshlrev_b64_e32 v[32:33], v25, v[18:19]
	s_delay_alu instid0(VALU_DEP_1)
	v_and_b32_e32 v18, 7, v32
; %bb.22:                               ;   in Loop: Header=BB191_9 Depth=1
	s_or_b32 exec_lo, exec_lo, s31
	v_lshlrev_b32_e32 v25, 16, v30
	s_delay_alu instid0(VALU_DEP_2) | instskip(SKIP_1) | instid1(VALU_DEP_3)
	v_lshlrev_b32_e32 v18, 20, v18
	v_lshl_add_u32 v24, v24, 23, 0x3c000000
	v_and_b32_e32 v25, 0x80000000, v25
	s_delay_alu instid0(VALU_DEP_1)
	v_or3_b32 v25, v18, v25, v24
	v_mov_b32_e32 v24, v19
.LBB191_23:                             ;   in Loop: Header=BB191_9 Depth=1
	s_or_b32 exec_lo, exec_lo, s30
.LBB191_24:                             ;   in Loop: Header=BB191_9 Depth=1
	s_delay_alu instid0(SALU_CYCLE_1)
	s_or_b32 exec_lo, exec_lo, s29
.LBB191_25:                             ;   in Loop: Header=BB191_9 Depth=1
	s_delay_alu instid0(SALU_CYCLE_1)
	s_or_b32 exec_lo, exec_lo, s28
	global_load_u16 v18, v[28:29], off offset:4
	v_mov_b64_e32 v[30:31], 0
	v_mov_b64_e32 v[32:33], 0
	s_mov_b32 s28, exec_lo
	s_wait_loadcnt 0x0
	v_and_b32_e32 v35, 0xff, v18
	v_and_b32_e32 v34, 0xffff, v18
	s_delay_alu instid0(VALU_DEP_2)
	v_cmpx_ne_u16_e32 0, v35
	s_cbranch_execz .LBB191_33
; %bb.26:                               ;   in Loop: Header=BB191_9 Depth=1
	v_mov_b64_e32 v[32:33], 0x80000000
	s_delay_alu instid0(VALU_DEP_3) | instskip(SKIP_1) | instid1(VALU_DEP_1)
	v_and_b32_e32 v18, 0xff, v34
	s_mov_b32 s29, exec_lo
	v_cmpx_ne_u16_e32 0x80, v18
	s_cbranch_execz .LBB191_32
; %bb.27:                               ;   in Loop: Header=BB191_9 Depth=1
	v_mov_b64_e32 v[32:33], 0x7f800001
	v_and_b32_e32 v35, 0x7f, v34
	s_mov_b32 s30, exec_lo
	s_delay_alu instid0(VALU_DEP_1)
	v_cmpx_ne_u32_e32 0x7f, v35
	s_cbranch_execz .LBB191_31
; %bb.28:                               ;   in Loop: Header=BB191_9 Depth=1
	v_dual_lshrrev_b32 v32, 3, v35 :: v_dual_bitop2_b32 v18, 7, v34 bitop3:0x40
	s_mov_b32 s31, exec_lo
	v_cmpx_gt_u32_e32 8, v35
; %bb.29:                               ;   in Loop: Header=BB191_9 Depth=1
	s_delay_alu instid0(VALU_DEP_2) | instskip(NEXT) | instid1(VALU_DEP_1)
	v_clz_i32_u32_e32 v32, v18
	v_min_u32_e32 v32, 32, v32
	s_delay_alu instid0(VALU_DEP_1) | instskip(SKIP_1) | instid1(VALU_DEP_2)
	v_subrev_nc_u32_e32 v33, 28, v32
	v_sub_nc_u32_e32 v32, 29, v32
	v_lshlrev_b64_e32 v[36:37], v33, v[18:19]
	s_delay_alu instid0(VALU_DEP_1)
	v_and_b32_e32 v18, 7, v36
; %bb.30:                               ;   in Loop: Header=BB191_9 Depth=1
	s_or_b32 exec_lo, exec_lo, s31
	v_lshlrev_b32_e32 v33, 24, v34
	s_delay_alu instid0(VALU_DEP_2) | instskip(SKIP_1) | instid1(VALU_DEP_3)
	v_lshlrev_b32_e32 v18, 20, v18
	v_lshl_add_u32 v32, v32, 23, 0x3c000000
	v_and_b32_e32 v33, 0x80000000, v33
	s_delay_alu instid0(VALU_DEP_1) | instskip(NEXT) | instid1(VALU_DEP_1)
	v_or3_b32 v18, v18, v33, v32
	v_mov_b64_e32 v[32:33], v[18:19]
.LBB191_31:                             ;   in Loop: Header=BB191_9 Depth=1
	s_or_b32 exec_lo, exec_lo, s30
.LBB191_32:                             ;   in Loop: Header=BB191_9 Depth=1
	s_delay_alu instid0(SALU_CYCLE_1)
	s_or_b32 exec_lo, exec_lo, s29
.LBB191_33:                             ;   in Loop: Header=BB191_9 Depth=1
	s_delay_alu instid0(SALU_CYCLE_1) | instskip(NEXT) | instid1(VALU_DEP_2)
	s_or_b32 exec_lo, exec_lo, s28
	v_lshrrev_b16 v18, 8, v34
	s_mov_b32 s28, exec_lo
	s_delay_alu instid0(VALU_DEP_1)
	v_cmpx_ne_u16_e32 0, v18
	s_cbranch_execz .LBB191_41
; %bb.34:                               ;   in Loop: Header=BB191_9 Depth=1
	v_mov_b64_e32 v[30:31], 0x8000000000000000
	s_mov_b32 s29, exec_lo
	v_cmpx_ne_u16_e32 0x80, v18
	s_cbranch_execz .LBB191_40
; %bb.35:                               ;   in Loop: Header=BB191_9 Depth=1
	v_and_b32_e32 v18, 0xffff, v18
	v_mov_b64_e32 v[30:31], 0x7f80000100000000
	s_mov_b32 s30, exec_lo
	s_delay_alu instid0(VALU_DEP_2) | instskip(NEXT) | instid1(VALU_DEP_1)
	v_and_b32_e32 v35, 0x7f, v18
	v_cmpx_ne_u32_e32 0x7f, v35
	s_cbranch_execz .LBB191_39
; %bb.36:                               ;   in Loop: Header=BB191_9 Depth=1
	v_dual_lshrrev_b32 v30, 3, v35 :: v_dual_bitop2_b32 v18, 7, v18 bitop3:0x40
	s_mov_b32 s31, exec_lo
	v_cmpx_gt_u32_e32 8, v35
; %bb.37:                               ;   in Loop: Header=BB191_9 Depth=1
	s_delay_alu instid0(VALU_DEP_2) | instskip(NEXT) | instid1(VALU_DEP_1)
	v_clz_i32_u32_e32 v30, v18
	v_min_u32_e32 v30, 32, v30
	s_delay_alu instid0(VALU_DEP_1) | instskip(NEXT) | instid1(VALU_DEP_1)
	v_subrev_nc_u32_e32 v31, 28, v30
	v_lshlrev_b64_e32 v[36:37], v31, v[18:19]
	s_delay_alu instid0(VALU_DEP_1)
	v_dual_sub_nc_u32 v30, 29, v30 :: v_dual_bitop2_b32 v18, 7, v36 bitop3:0x40
; %bb.38:                               ;   in Loop: Header=BB191_9 Depth=1
	s_or_b32 exec_lo, exec_lo, s31
	v_lshlrev_b32_e32 v31, 16, v34
	s_delay_alu instid0(VALU_DEP_2) | instskip(NEXT) | instid1(VALU_DEP_3)
	v_lshlrev_b32_e32 v18, 20, v18
	v_lshl_add_u32 v30, v30, 23, 0x3c000000
	s_delay_alu instid0(VALU_DEP_3) | instskip(NEXT) | instid1(VALU_DEP_1)
	v_and_b32_e32 v31, 0x80000000, v31
	v_or3_b32 v31, v18, v31, v30
	v_mov_b32_e32 v30, v19
.LBB191_39:                             ;   in Loop: Header=BB191_9 Depth=1
	s_or_b32 exec_lo, exec_lo, s30
.LBB191_40:                             ;   in Loop: Header=BB191_9 Depth=1
	s_delay_alu instid0(SALU_CYCLE_1)
	s_or_b32 exec_lo, exec_lo, s29
.LBB191_41:                             ;   in Loop: Header=BB191_9 Depth=1
	s_delay_alu instid0(SALU_CYCLE_1)
	s_or_b32 exec_lo, exec_lo, s28
	global_load_u16 v18, v[28:29], off offset:8
	v_mov_b64_e32 v[34:35], 0
	v_mov_b64_e32 v[36:37], 0
	s_mov_b32 s28, exec_lo
	s_wait_loadcnt 0x0
	v_and_b32_e32 v39, 0xff, v18
	v_and_b32_e32 v38, 0xffff, v18
	s_delay_alu instid0(VALU_DEP_2)
	v_cmpx_ne_u16_e32 0, v39
	s_cbranch_execz .LBB191_49
; %bb.42:                               ;   in Loop: Header=BB191_9 Depth=1
	v_mov_b64_e32 v[36:37], 0x80000000
	s_delay_alu instid0(VALU_DEP_3) | instskip(SKIP_1) | instid1(VALU_DEP_1)
	v_and_b32_e32 v18, 0xff, v38
	s_mov_b32 s29, exec_lo
	v_cmpx_ne_u16_e32 0x80, v18
	s_cbranch_execz .LBB191_48
; %bb.43:                               ;   in Loop: Header=BB191_9 Depth=1
	v_mov_b64_e32 v[36:37], 0x7f800001
	v_and_b32_e32 v39, 0x7f, v38
	s_mov_b32 s30, exec_lo
	s_delay_alu instid0(VALU_DEP_1)
	v_cmpx_ne_u32_e32 0x7f, v39
	s_cbranch_execz .LBB191_47
; %bb.44:                               ;   in Loop: Header=BB191_9 Depth=1
	v_dual_lshrrev_b32 v36, 3, v39 :: v_dual_bitop2_b32 v18, 7, v38 bitop3:0x40
	s_mov_b32 s31, exec_lo
	v_cmpx_gt_u32_e32 8, v39
; %bb.45:                               ;   in Loop: Header=BB191_9 Depth=1
	s_delay_alu instid0(VALU_DEP_2) | instskip(NEXT) | instid1(VALU_DEP_1)
	v_clz_i32_u32_e32 v36, v18
	v_min_u32_e32 v36, 32, v36
	s_delay_alu instid0(VALU_DEP_1) | instskip(SKIP_1) | instid1(VALU_DEP_2)
	v_subrev_nc_u32_e32 v37, 28, v36
	v_sub_nc_u32_e32 v36, 29, v36
	v_lshlrev_b64_e32 v[40:41], v37, v[18:19]
	s_delay_alu instid0(VALU_DEP_1)
	v_and_b32_e32 v18, 7, v40
; %bb.46:                               ;   in Loop: Header=BB191_9 Depth=1
	s_or_b32 exec_lo, exec_lo, s31
	v_lshlrev_b32_e32 v37, 24, v38
	s_delay_alu instid0(VALU_DEP_2) | instskip(SKIP_1) | instid1(VALU_DEP_3)
	v_lshlrev_b32_e32 v18, 20, v18
	v_lshl_add_u32 v36, v36, 23, 0x3c000000
	v_and_b32_e32 v37, 0x80000000, v37
	s_delay_alu instid0(VALU_DEP_1) | instskip(NEXT) | instid1(VALU_DEP_1)
	v_or3_b32 v18, v18, v37, v36
	v_mov_b64_e32 v[36:37], v[18:19]
.LBB191_47:                             ;   in Loop: Header=BB191_9 Depth=1
	s_or_b32 exec_lo, exec_lo, s30
.LBB191_48:                             ;   in Loop: Header=BB191_9 Depth=1
	s_delay_alu instid0(SALU_CYCLE_1)
	s_or_b32 exec_lo, exec_lo, s29
.LBB191_49:                             ;   in Loop: Header=BB191_9 Depth=1
	s_delay_alu instid0(SALU_CYCLE_1) | instskip(NEXT) | instid1(VALU_DEP_2)
	s_or_b32 exec_lo, exec_lo, s28
	v_lshrrev_b16 v18, 8, v38
	s_mov_b32 s28, exec_lo
	s_delay_alu instid0(VALU_DEP_1)
	v_cmpx_ne_u16_e32 0, v18
	s_cbranch_execz .LBB191_57
; %bb.50:                               ;   in Loop: Header=BB191_9 Depth=1
	v_mov_b64_e32 v[34:35], 0x8000000000000000
	s_mov_b32 s29, exec_lo
	v_cmpx_ne_u16_e32 0x80, v18
	s_cbranch_execz .LBB191_56
; %bb.51:                               ;   in Loop: Header=BB191_9 Depth=1
	v_and_b32_e32 v18, 0xffff, v18
	v_mov_b64_e32 v[34:35], 0x7f80000100000000
	s_mov_b32 s30, exec_lo
	s_delay_alu instid0(VALU_DEP_2) | instskip(NEXT) | instid1(VALU_DEP_1)
	v_and_b32_e32 v39, 0x7f, v18
	v_cmpx_ne_u32_e32 0x7f, v39
	s_cbranch_execz .LBB191_55
; %bb.52:                               ;   in Loop: Header=BB191_9 Depth=1
	v_dual_lshrrev_b32 v34, 3, v39 :: v_dual_bitop2_b32 v18, 7, v18 bitop3:0x40
	s_mov_b32 s31, exec_lo
	v_cmpx_gt_u32_e32 8, v39
; %bb.53:                               ;   in Loop: Header=BB191_9 Depth=1
	s_delay_alu instid0(VALU_DEP_2) | instskip(NEXT) | instid1(VALU_DEP_1)
	v_clz_i32_u32_e32 v34, v18
	v_min_u32_e32 v34, 32, v34
	s_delay_alu instid0(VALU_DEP_1) | instskip(NEXT) | instid1(VALU_DEP_1)
	v_subrev_nc_u32_e32 v35, 28, v34
	v_lshlrev_b64_e32 v[40:41], v35, v[18:19]
	s_delay_alu instid0(VALU_DEP_1)
	v_dual_sub_nc_u32 v34, 29, v34 :: v_dual_bitop2_b32 v18, 7, v40 bitop3:0x40
; %bb.54:                               ;   in Loop: Header=BB191_9 Depth=1
	s_or_b32 exec_lo, exec_lo, s31
	v_lshlrev_b32_e32 v35, 16, v38
	s_delay_alu instid0(VALU_DEP_2) | instskip(NEXT) | instid1(VALU_DEP_3)
	v_lshlrev_b32_e32 v18, 20, v18
	v_lshl_add_u32 v34, v34, 23, 0x3c000000
	s_delay_alu instid0(VALU_DEP_3) | instskip(NEXT) | instid1(VALU_DEP_1)
	v_and_b32_e32 v35, 0x80000000, v35
	v_or3_b32 v35, v18, v35, v34
	v_mov_b32_e32 v34, v19
.LBB191_55:                             ;   in Loop: Header=BB191_9 Depth=1
	s_or_b32 exec_lo, exec_lo, s30
.LBB191_56:                             ;   in Loop: Header=BB191_9 Depth=1
	s_delay_alu instid0(SALU_CYCLE_1)
	s_or_b32 exec_lo, exec_lo, s29
.LBB191_57:                             ;   in Loop: Header=BB191_9 Depth=1
	s_delay_alu instid0(SALU_CYCLE_1)
	s_or_b32 exec_lo, exec_lo, s28
	global_load_u16 v18, v[28:29], off offset:12
	v_mov_b64_e32 v[38:39], 0
	v_mov_b64_e32 v[40:41], 0
	s_mov_b32 s28, exec_lo
	s_wait_loadcnt 0x0
	v_and_b32_e32 v43, 0xff, v18
	v_and_b32_e32 v42, 0xffff, v18
	s_delay_alu instid0(VALU_DEP_2)
	v_cmpx_ne_u16_e32 0, v43
	s_cbranch_execz .LBB191_65
; %bb.58:                               ;   in Loop: Header=BB191_9 Depth=1
	v_mov_b64_e32 v[40:41], 0x80000000
	s_delay_alu instid0(VALU_DEP_3) | instskip(SKIP_1) | instid1(VALU_DEP_1)
	v_and_b32_e32 v18, 0xff, v42
	s_mov_b32 s29, exec_lo
	v_cmpx_ne_u16_e32 0x80, v18
	s_cbranch_execz .LBB191_64
; %bb.59:                               ;   in Loop: Header=BB191_9 Depth=1
	v_mov_b64_e32 v[40:41], 0x7f800001
	v_and_b32_e32 v43, 0x7f, v42
	s_mov_b32 s30, exec_lo
	s_delay_alu instid0(VALU_DEP_1)
	v_cmpx_ne_u32_e32 0x7f, v43
	s_cbranch_execz .LBB191_63
; %bb.60:                               ;   in Loop: Header=BB191_9 Depth=1
	v_dual_lshrrev_b32 v40, 3, v43 :: v_dual_bitop2_b32 v18, 7, v42 bitop3:0x40
	s_mov_b32 s31, exec_lo
	v_cmpx_gt_u32_e32 8, v43
; %bb.61:                               ;   in Loop: Header=BB191_9 Depth=1
	s_delay_alu instid0(VALU_DEP_2) | instskip(NEXT) | instid1(VALU_DEP_1)
	v_clz_i32_u32_e32 v40, v18
	v_min_u32_e32 v40, 32, v40
	s_delay_alu instid0(VALU_DEP_1) | instskip(SKIP_1) | instid1(VALU_DEP_2)
	v_subrev_nc_u32_e32 v41, 28, v40
	v_sub_nc_u32_e32 v40, 29, v40
	v_lshlrev_b64_e32 v[44:45], v41, v[18:19]
	s_delay_alu instid0(VALU_DEP_1)
	v_and_b32_e32 v18, 7, v44
; %bb.62:                               ;   in Loop: Header=BB191_9 Depth=1
	s_or_b32 exec_lo, exec_lo, s31
	v_lshlrev_b32_e32 v41, 24, v42
	s_delay_alu instid0(VALU_DEP_2) | instskip(SKIP_1) | instid1(VALU_DEP_3)
	v_lshlrev_b32_e32 v18, 20, v18
	v_lshl_add_u32 v40, v40, 23, 0x3c000000
	v_and_b32_e32 v41, 0x80000000, v41
	s_delay_alu instid0(VALU_DEP_1) | instskip(NEXT) | instid1(VALU_DEP_1)
	v_or3_b32 v18, v18, v41, v40
	v_mov_b64_e32 v[40:41], v[18:19]
.LBB191_63:                             ;   in Loop: Header=BB191_9 Depth=1
	s_or_b32 exec_lo, exec_lo, s30
.LBB191_64:                             ;   in Loop: Header=BB191_9 Depth=1
	s_delay_alu instid0(SALU_CYCLE_1)
	s_or_b32 exec_lo, exec_lo, s29
.LBB191_65:                             ;   in Loop: Header=BB191_9 Depth=1
	s_delay_alu instid0(SALU_CYCLE_1) | instskip(NEXT) | instid1(VALU_DEP_2)
	s_or_b32 exec_lo, exec_lo, s28
	v_lshrrev_b16 v18, 8, v42
	s_mov_b32 s28, exec_lo
	s_delay_alu instid0(VALU_DEP_1)
	v_cmpx_ne_u16_e32 0, v18
	s_cbranch_execz .LBB191_73
; %bb.66:                               ;   in Loop: Header=BB191_9 Depth=1
	v_mov_b64_e32 v[38:39], 0x8000000000000000
	s_mov_b32 s29, exec_lo
	v_cmpx_ne_u16_e32 0x80, v18
	s_cbranch_execz .LBB191_72
; %bb.67:                               ;   in Loop: Header=BB191_9 Depth=1
	v_and_b32_e32 v18, 0xffff, v18
	v_mov_b64_e32 v[38:39], 0x7f80000100000000
	s_mov_b32 s30, exec_lo
	s_delay_alu instid0(VALU_DEP_2) | instskip(NEXT) | instid1(VALU_DEP_1)
	v_and_b32_e32 v43, 0x7f, v18
	v_cmpx_ne_u32_e32 0x7f, v43
	s_cbranch_execz .LBB191_71
; %bb.68:                               ;   in Loop: Header=BB191_9 Depth=1
	v_dual_lshrrev_b32 v38, 3, v43 :: v_dual_bitop2_b32 v18, 7, v18 bitop3:0x40
	s_mov_b32 s31, exec_lo
	v_cmpx_gt_u32_e32 8, v43
; %bb.69:                               ;   in Loop: Header=BB191_9 Depth=1
	s_delay_alu instid0(VALU_DEP_2) | instskip(NEXT) | instid1(VALU_DEP_1)
	v_clz_i32_u32_e32 v38, v18
	v_min_u32_e32 v38, 32, v38
	s_delay_alu instid0(VALU_DEP_1) | instskip(NEXT) | instid1(VALU_DEP_1)
	v_subrev_nc_u32_e32 v39, 28, v38
	v_lshlrev_b64_e32 v[44:45], v39, v[18:19]
	s_delay_alu instid0(VALU_DEP_1)
	v_dual_sub_nc_u32 v38, 29, v38 :: v_dual_bitop2_b32 v18, 7, v44 bitop3:0x40
; %bb.70:                               ;   in Loop: Header=BB191_9 Depth=1
	s_or_b32 exec_lo, exec_lo, s31
	v_lshlrev_b32_e32 v39, 16, v42
	s_delay_alu instid0(VALU_DEP_2) | instskip(NEXT) | instid1(VALU_DEP_3)
	v_lshlrev_b32_e32 v18, 20, v18
	v_lshl_add_u32 v38, v38, 23, 0x3c000000
	s_delay_alu instid0(VALU_DEP_3) | instskip(NEXT) | instid1(VALU_DEP_1)
	v_and_b32_e32 v39, 0x80000000, v39
	v_or3_b32 v39, v18, v39, v38
	v_mov_b32_e32 v38, v19
.LBB191_71:                             ;   in Loop: Header=BB191_9 Depth=1
	s_or_b32 exec_lo, exec_lo, s30
.LBB191_72:                             ;   in Loop: Header=BB191_9 Depth=1
	s_delay_alu instid0(SALU_CYCLE_1)
	s_or_b32 exec_lo, exec_lo, s29
.LBB191_73:                             ;   in Loop: Header=BB191_9 Depth=1
	s_delay_alu instid0(SALU_CYCLE_1)
	s_or_b32 exec_lo, exec_lo, s28
	global_load_u16 v18, v[28:29], off offset:256
	v_mov_b64_e32 v[42:43], 0
	v_mov_b64_e32 v[44:45], 0
	s_mov_b32 s28, exec_lo
	s_wait_loadcnt 0x0
	v_and_b32_e32 v47, 0xff, v18
	v_and_b32_e32 v46, 0xffff, v18
	s_delay_alu instid0(VALU_DEP_2)
	v_cmpx_ne_u16_e32 0, v47
	s_cbranch_execz .LBB191_81
; %bb.74:                               ;   in Loop: Header=BB191_9 Depth=1
	v_mov_b64_e32 v[44:45], 0x80000000
	s_delay_alu instid0(VALU_DEP_3) | instskip(SKIP_1) | instid1(VALU_DEP_1)
	v_and_b32_e32 v18, 0xff, v46
	s_mov_b32 s29, exec_lo
	v_cmpx_ne_u16_e32 0x80, v18
	s_cbranch_execz .LBB191_80
; %bb.75:                               ;   in Loop: Header=BB191_9 Depth=1
	v_mov_b64_e32 v[44:45], 0x7f800001
	v_and_b32_e32 v47, 0x7f, v46
	s_mov_b32 s30, exec_lo
	s_delay_alu instid0(VALU_DEP_1)
	v_cmpx_ne_u32_e32 0x7f, v47
	s_cbranch_execz .LBB191_79
; %bb.76:                               ;   in Loop: Header=BB191_9 Depth=1
	v_dual_lshrrev_b32 v44, 3, v47 :: v_dual_bitop2_b32 v18, 7, v46 bitop3:0x40
	s_mov_b32 s31, exec_lo
	v_cmpx_gt_u32_e32 8, v47
; %bb.77:                               ;   in Loop: Header=BB191_9 Depth=1
	s_delay_alu instid0(VALU_DEP_2) | instskip(NEXT) | instid1(VALU_DEP_1)
	v_clz_i32_u32_e32 v44, v18
	v_min_u32_e32 v44, 32, v44
	s_delay_alu instid0(VALU_DEP_1) | instskip(SKIP_1) | instid1(VALU_DEP_2)
	v_subrev_nc_u32_e32 v45, 28, v44
	v_sub_nc_u32_e32 v44, 29, v44
	v_lshlrev_b64_e32 v[48:49], v45, v[18:19]
	s_delay_alu instid0(VALU_DEP_1)
	v_and_b32_e32 v18, 7, v48
; %bb.78:                               ;   in Loop: Header=BB191_9 Depth=1
	s_or_b32 exec_lo, exec_lo, s31
	v_lshlrev_b32_e32 v45, 24, v46
	s_delay_alu instid0(VALU_DEP_2) | instskip(SKIP_1) | instid1(VALU_DEP_3)
	v_lshlrev_b32_e32 v18, 20, v18
	v_lshl_add_u32 v44, v44, 23, 0x3c000000
	v_and_b32_e32 v45, 0x80000000, v45
	s_delay_alu instid0(VALU_DEP_1) | instskip(NEXT) | instid1(VALU_DEP_1)
	v_or3_b32 v18, v18, v45, v44
	v_mov_b64_e32 v[44:45], v[18:19]
.LBB191_79:                             ;   in Loop: Header=BB191_9 Depth=1
	s_or_b32 exec_lo, exec_lo, s30
.LBB191_80:                             ;   in Loop: Header=BB191_9 Depth=1
	s_delay_alu instid0(SALU_CYCLE_1)
	s_or_b32 exec_lo, exec_lo, s29
.LBB191_81:                             ;   in Loop: Header=BB191_9 Depth=1
	s_delay_alu instid0(SALU_CYCLE_1) | instskip(NEXT) | instid1(VALU_DEP_2)
	s_or_b32 exec_lo, exec_lo, s28
	v_lshrrev_b16 v18, 8, v46
	s_mov_b32 s28, exec_lo
	s_delay_alu instid0(VALU_DEP_1)
	v_cmpx_ne_u16_e32 0, v18
	s_cbranch_execz .LBB191_89
; %bb.82:                               ;   in Loop: Header=BB191_9 Depth=1
	v_mov_b64_e32 v[42:43], 0x8000000000000000
	s_mov_b32 s29, exec_lo
	v_cmpx_ne_u16_e32 0x80, v18
	s_cbranch_execz .LBB191_88
; %bb.83:                               ;   in Loop: Header=BB191_9 Depth=1
	v_and_b32_e32 v18, 0xffff, v18
	v_mov_b64_e32 v[42:43], 0x7f80000100000000
	s_mov_b32 s30, exec_lo
	s_delay_alu instid0(VALU_DEP_2) | instskip(NEXT) | instid1(VALU_DEP_1)
	v_and_b32_e32 v47, 0x7f, v18
	v_cmpx_ne_u32_e32 0x7f, v47
	s_cbranch_execz .LBB191_87
; %bb.84:                               ;   in Loop: Header=BB191_9 Depth=1
	v_dual_lshrrev_b32 v42, 3, v47 :: v_dual_bitop2_b32 v18, 7, v18 bitop3:0x40
	s_mov_b32 s31, exec_lo
	v_cmpx_gt_u32_e32 8, v47
; %bb.85:                               ;   in Loop: Header=BB191_9 Depth=1
	s_delay_alu instid0(VALU_DEP_2) | instskip(NEXT) | instid1(VALU_DEP_1)
	v_clz_i32_u32_e32 v42, v18
	v_min_u32_e32 v42, 32, v42
	s_delay_alu instid0(VALU_DEP_1) | instskip(NEXT) | instid1(VALU_DEP_1)
	v_subrev_nc_u32_e32 v43, 28, v42
	v_lshlrev_b64_e32 v[48:49], v43, v[18:19]
	s_delay_alu instid0(VALU_DEP_1)
	v_dual_sub_nc_u32 v42, 29, v42 :: v_dual_bitop2_b32 v18, 7, v48 bitop3:0x40
; %bb.86:                               ;   in Loop: Header=BB191_9 Depth=1
	s_or_b32 exec_lo, exec_lo, s31
	v_lshlrev_b32_e32 v43, 16, v46
	s_delay_alu instid0(VALU_DEP_2) | instskip(NEXT) | instid1(VALU_DEP_3)
	v_lshlrev_b32_e32 v18, 20, v18
	v_lshl_add_u32 v42, v42, 23, 0x3c000000
	s_delay_alu instid0(VALU_DEP_3) | instskip(NEXT) | instid1(VALU_DEP_1)
	v_and_b32_e32 v43, 0x80000000, v43
	v_or3_b32 v43, v18, v43, v42
	v_mov_b32_e32 v42, v19
.LBB191_87:                             ;   in Loop: Header=BB191_9 Depth=1
	s_or_b32 exec_lo, exec_lo, s30
.LBB191_88:                             ;   in Loop: Header=BB191_9 Depth=1
	s_delay_alu instid0(SALU_CYCLE_1)
	s_or_b32 exec_lo, exec_lo, s29
.LBB191_89:                             ;   in Loop: Header=BB191_9 Depth=1
	s_delay_alu instid0(SALU_CYCLE_1)
	s_or_b32 exec_lo, exec_lo, s28
	global_load_u16 v18, v[28:29], off offset:260
	v_mov_b64_e32 v[46:47], 0
	v_mov_b64_e32 v[48:49], 0
	s_mov_b32 s28, exec_lo
	s_wait_loadcnt 0x0
	v_and_b32_e32 v51, 0xff, v18
	v_and_b32_e32 v50, 0xffff, v18
	s_delay_alu instid0(VALU_DEP_2)
	v_cmpx_ne_u16_e32 0, v51
	s_cbranch_execz .LBB191_97
; %bb.90:                               ;   in Loop: Header=BB191_9 Depth=1
	v_mov_b64_e32 v[48:49], 0x80000000
	s_delay_alu instid0(VALU_DEP_3) | instskip(SKIP_1) | instid1(VALU_DEP_1)
	v_and_b32_e32 v18, 0xff, v50
	s_mov_b32 s29, exec_lo
	v_cmpx_ne_u16_e32 0x80, v18
	s_cbranch_execz .LBB191_96
; %bb.91:                               ;   in Loop: Header=BB191_9 Depth=1
	v_mov_b64_e32 v[48:49], 0x7f800001
	v_and_b32_e32 v51, 0x7f, v50
	s_mov_b32 s30, exec_lo
	s_delay_alu instid0(VALU_DEP_1)
	v_cmpx_ne_u32_e32 0x7f, v51
	s_cbranch_execz .LBB191_95
; %bb.92:                               ;   in Loop: Header=BB191_9 Depth=1
	v_dual_lshrrev_b32 v48, 3, v51 :: v_dual_bitop2_b32 v18, 7, v50 bitop3:0x40
	s_mov_b32 s31, exec_lo
	v_cmpx_gt_u32_e32 8, v51
; %bb.93:                               ;   in Loop: Header=BB191_9 Depth=1
	s_delay_alu instid0(VALU_DEP_2) | instskip(NEXT) | instid1(VALU_DEP_1)
	v_clz_i32_u32_e32 v48, v18
	v_min_u32_e32 v48, 32, v48
	s_delay_alu instid0(VALU_DEP_1) | instskip(SKIP_1) | instid1(VALU_DEP_2)
	v_subrev_nc_u32_e32 v49, 28, v48
	v_sub_nc_u32_e32 v48, 29, v48
	v_lshlrev_b64_e32 v[52:53], v49, v[18:19]
	s_delay_alu instid0(VALU_DEP_1)
	v_and_b32_e32 v18, 7, v52
; %bb.94:                               ;   in Loop: Header=BB191_9 Depth=1
	s_or_b32 exec_lo, exec_lo, s31
	v_lshlrev_b32_e32 v49, 24, v50
	s_delay_alu instid0(VALU_DEP_2) | instskip(SKIP_1) | instid1(VALU_DEP_3)
	v_lshlrev_b32_e32 v18, 20, v18
	v_lshl_add_u32 v48, v48, 23, 0x3c000000
	v_and_b32_e32 v49, 0x80000000, v49
	s_delay_alu instid0(VALU_DEP_1) | instskip(NEXT) | instid1(VALU_DEP_1)
	v_or3_b32 v18, v18, v49, v48
	v_mov_b64_e32 v[48:49], v[18:19]
.LBB191_95:                             ;   in Loop: Header=BB191_9 Depth=1
	s_or_b32 exec_lo, exec_lo, s30
.LBB191_96:                             ;   in Loop: Header=BB191_9 Depth=1
	s_delay_alu instid0(SALU_CYCLE_1)
	s_or_b32 exec_lo, exec_lo, s29
.LBB191_97:                             ;   in Loop: Header=BB191_9 Depth=1
	s_delay_alu instid0(SALU_CYCLE_1) | instskip(NEXT) | instid1(VALU_DEP_2)
	s_or_b32 exec_lo, exec_lo, s28
	v_lshrrev_b16 v18, 8, v50
	s_mov_b32 s28, exec_lo
	s_delay_alu instid0(VALU_DEP_1)
	v_cmpx_ne_u16_e32 0, v18
	s_cbranch_execz .LBB191_105
; %bb.98:                               ;   in Loop: Header=BB191_9 Depth=1
	v_mov_b64_e32 v[46:47], 0x8000000000000000
	s_mov_b32 s29, exec_lo
	v_cmpx_ne_u16_e32 0x80, v18
	s_cbranch_execz .LBB191_104
; %bb.99:                               ;   in Loop: Header=BB191_9 Depth=1
	v_and_b32_e32 v18, 0xffff, v18
	v_mov_b64_e32 v[46:47], 0x7f80000100000000
	s_mov_b32 s30, exec_lo
	s_delay_alu instid0(VALU_DEP_2) | instskip(NEXT) | instid1(VALU_DEP_1)
	v_and_b32_e32 v51, 0x7f, v18
	v_cmpx_ne_u32_e32 0x7f, v51
	s_cbranch_execz .LBB191_103
; %bb.100:                              ;   in Loop: Header=BB191_9 Depth=1
	v_dual_lshrrev_b32 v46, 3, v51 :: v_dual_bitop2_b32 v18, 7, v18 bitop3:0x40
	s_mov_b32 s31, exec_lo
	v_cmpx_gt_u32_e32 8, v51
; %bb.101:                              ;   in Loop: Header=BB191_9 Depth=1
	s_delay_alu instid0(VALU_DEP_2) | instskip(NEXT) | instid1(VALU_DEP_1)
	v_clz_i32_u32_e32 v46, v18
	v_min_u32_e32 v46, 32, v46
	s_delay_alu instid0(VALU_DEP_1) | instskip(NEXT) | instid1(VALU_DEP_1)
	v_subrev_nc_u32_e32 v47, 28, v46
	v_lshlrev_b64_e32 v[52:53], v47, v[18:19]
	s_delay_alu instid0(VALU_DEP_1)
	v_dual_sub_nc_u32 v46, 29, v46 :: v_dual_bitop2_b32 v18, 7, v52 bitop3:0x40
; %bb.102:                              ;   in Loop: Header=BB191_9 Depth=1
	s_or_b32 exec_lo, exec_lo, s31
	v_lshlrev_b32_e32 v47, 16, v50
	s_delay_alu instid0(VALU_DEP_2) | instskip(NEXT) | instid1(VALU_DEP_3)
	v_lshlrev_b32_e32 v18, 20, v18
	v_lshl_add_u32 v46, v46, 23, 0x3c000000
	s_delay_alu instid0(VALU_DEP_3) | instskip(NEXT) | instid1(VALU_DEP_1)
	v_and_b32_e32 v47, 0x80000000, v47
	v_or3_b32 v47, v18, v47, v46
	v_mov_b32_e32 v46, v19
.LBB191_103:                            ;   in Loop: Header=BB191_9 Depth=1
	s_or_b32 exec_lo, exec_lo, s30
.LBB191_104:                            ;   in Loop: Header=BB191_9 Depth=1
	s_delay_alu instid0(SALU_CYCLE_1)
	s_or_b32 exec_lo, exec_lo, s29
.LBB191_105:                            ;   in Loop: Header=BB191_9 Depth=1
	s_delay_alu instid0(SALU_CYCLE_1)
	s_or_b32 exec_lo, exec_lo, s28
	global_load_u16 v18, v[28:29], off offset:264
	v_mov_b64_e32 v[50:51], 0
	v_mov_b64_e32 v[52:53], 0
	s_mov_b32 s28, exec_lo
	s_wait_loadcnt 0x0
	v_and_b32_e32 v55, 0xff, v18
	v_and_b32_e32 v54, 0xffff, v18
	s_delay_alu instid0(VALU_DEP_2)
	v_cmpx_ne_u16_e32 0, v55
	s_cbranch_execz .LBB191_113
; %bb.106:                              ;   in Loop: Header=BB191_9 Depth=1
	v_mov_b64_e32 v[52:53], 0x80000000
	s_delay_alu instid0(VALU_DEP_3) | instskip(SKIP_1) | instid1(VALU_DEP_1)
	v_and_b32_e32 v18, 0xff, v54
	s_mov_b32 s29, exec_lo
	v_cmpx_ne_u16_e32 0x80, v18
	s_cbranch_execz .LBB191_112
; %bb.107:                              ;   in Loop: Header=BB191_9 Depth=1
	v_mov_b64_e32 v[52:53], 0x7f800001
	v_and_b32_e32 v55, 0x7f, v54
	s_mov_b32 s30, exec_lo
	s_delay_alu instid0(VALU_DEP_1)
	v_cmpx_ne_u32_e32 0x7f, v55
	s_cbranch_execz .LBB191_111
; %bb.108:                              ;   in Loop: Header=BB191_9 Depth=1
	v_dual_lshrrev_b32 v52, 3, v55 :: v_dual_bitop2_b32 v18, 7, v54 bitop3:0x40
	s_mov_b32 s31, exec_lo
	v_cmpx_gt_u32_e32 8, v55
; %bb.109:                              ;   in Loop: Header=BB191_9 Depth=1
	s_delay_alu instid0(VALU_DEP_2) | instskip(NEXT) | instid1(VALU_DEP_1)
	v_clz_i32_u32_e32 v52, v18
	v_min_u32_e32 v52, 32, v52
	s_delay_alu instid0(VALU_DEP_1) | instskip(NEXT) | instid1(VALU_DEP_1)
	v_subrev_nc_u32_e32 v53, 28, v52
	v_lshlrev_b64_e32 v[66:67], v53, v[18:19]
	s_delay_alu instid0(VALU_DEP_1)
	v_dual_sub_nc_u32 v52, 29, v52 :: v_dual_bitop2_b32 v18, 7, v66 bitop3:0x40
; %bb.110:                              ;   in Loop: Header=BB191_9 Depth=1
	s_or_b32 exec_lo, exec_lo, s31
	v_lshlrev_b32_e32 v53, 24, v54
	s_delay_alu instid0(VALU_DEP_2) | instskip(NEXT) | instid1(VALU_DEP_3)
	v_lshlrev_b32_e32 v18, 20, v18
	v_lshl_add_u32 v52, v52, 23, 0x3c000000
	s_delay_alu instid0(VALU_DEP_3) | instskip(NEXT) | instid1(VALU_DEP_1)
	v_and_b32_e32 v53, 0x80000000, v53
	v_or3_b32 v18, v18, v53, v52
	s_delay_alu instid0(VALU_DEP_1)
	v_mov_b64_e32 v[52:53], v[18:19]
.LBB191_111:                            ;   in Loop: Header=BB191_9 Depth=1
	s_or_b32 exec_lo, exec_lo, s30
.LBB191_112:                            ;   in Loop: Header=BB191_9 Depth=1
	s_delay_alu instid0(SALU_CYCLE_1)
	s_or_b32 exec_lo, exec_lo, s29
.LBB191_113:                            ;   in Loop: Header=BB191_9 Depth=1
	s_delay_alu instid0(SALU_CYCLE_1) | instskip(NEXT) | instid1(VALU_DEP_2)
	s_or_b32 exec_lo, exec_lo, s28
	v_lshrrev_b16 v18, 8, v54
	s_mov_b32 s28, exec_lo
	s_delay_alu instid0(VALU_DEP_1)
	v_cmpx_ne_u16_e32 0, v18
	s_cbranch_execz .LBB191_121
; %bb.114:                              ;   in Loop: Header=BB191_9 Depth=1
	v_mov_b64_e32 v[50:51], 0x8000000000000000
	s_mov_b32 s29, exec_lo
	v_cmpx_ne_u16_e32 0x80, v18
	s_cbranch_execz .LBB191_120
; %bb.115:                              ;   in Loop: Header=BB191_9 Depth=1
	v_and_b32_e32 v18, 0xffff, v18
	v_mov_b64_e32 v[50:51], 0x7f80000100000000
	s_mov_b32 s30, exec_lo
	s_delay_alu instid0(VALU_DEP_2) | instskip(NEXT) | instid1(VALU_DEP_1)
	v_and_b32_e32 v55, 0x7f, v18
	v_cmpx_ne_u32_e32 0x7f, v55
	s_cbranch_execz .LBB191_119
; %bb.116:                              ;   in Loop: Header=BB191_9 Depth=1
	v_dual_lshrrev_b32 v50, 3, v55 :: v_dual_bitop2_b32 v18, 7, v18 bitop3:0x40
	s_mov_b32 s31, exec_lo
	v_cmpx_gt_u32_e32 8, v55
; %bb.117:                              ;   in Loop: Header=BB191_9 Depth=1
	s_delay_alu instid0(VALU_DEP_2) | instskip(NEXT) | instid1(VALU_DEP_1)
	v_clz_i32_u32_e32 v50, v18
	v_min_u32_e32 v50, 32, v50
	s_delay_alu instid0(VALU_DEP_1) | instskip(SKIP_1) | instid1(VALU_DEP_2)
	v_subrev_nc_u32_e32 v51, 28, v50
	v_sub_nc_u32_e32 v50, 29, v50
	v_lshlrev_b64_e32 v[66:67], v51, v[18:19]
	s_delay_alu instid0(VALU_DEP_1)
	v_and_b32_e32 v18, 7, v66
; %bb.118:                              ;   in Loop: Header=BB191_9 Depth=1
	s_or_b32 exec_lo, exec_lo, s31
	v_lshlrev_b32_e32 v51, 16, v54
	s_delay_alu instid0(VALU_DEP_2) | instskip(SKIP_1) | instid1(VALU_DEP_3)
	v_lshlrev_b32_e32 v18, 20, v18
	v_lshl_add_u32 v50, v50, 23, 0x3c000000
	v_and_b32_e32 v51, 0x80000000, v51
	s_delay_alu instid0(VALU_DEP_1)
	v_or3_b32 v51, v18, v51, v50
	v_mov_b32_e32 v50, v19
.LBB191_119:                            ;   in Loop: Header=BB191_9 Depth=1
	s_or_b32 exec_lo, exec_lo, s30
.LBB191_120:                            ;   in Loop: Header=BB191_9 Depth=1
	s_delay_alu instid0(SALU_CYCLE_1)
	s_or_b32 exec_lo, exec_lo, s29
.LBB191_121:                            ;   in Loop: Header=BB191_9 Depth=1
	s_delay_alu instid0(SALU_CYCLE_1)
	s_or_b32 exec_lo, exec_lo, s28
	global_load_u16 v18, v[28:29], off offset:268
	s_wait_xcnt 0x0
	v_mov_b64_e32 v[28:29], 0
	v_mov_b64_e32 v[54:55], 0
	s_mov_b32 s28, exec_lo
	s_wait_loadcnt 0x0
	v_and_b32_e32 v66, 0xff, v18
	v_and_b32_e32 v65, 0xffff, v18
	s_delay_alu instid0(VALU_DEP_2)
	v_cmpx_ne_u16_e32 0, v66
	s_cbranch_execz .LBB191_129
; %bb.122:                              ;   in Loop: Header=BB191_9 Depth=1
	v_mov_b64_e32 v[54:55], 0x80000000
	s_delay_alu instid0(VALU_DEP_3) | instskip(SKIP_1) | instid1(VALU_DEP_1)
	v_and_b32_e32 v18, 0xff, v65
	s_mov_b32 s29, exec_lo
	v_cmpx_ne_u16_e32 0x80, v18
	s_cbranch_execz .LBB191_128
; %bb.123:                              ;   in Loop: Header=BB191_9 Depth=1
	v_mov_b64_e32 v[54:55], 0x7f800001
	v_and_b32_e32 v66, 0x7f, v65
	s_mov_b32 s30, exec_lo
	s_delay_alu instid0(VALU_DEP_1)
	v_cmpx_ne_u32_e32 0x7f, v66
	s_cbranch_execz .LBB191_127
; %bb.124:                              ;   in Loop: Header=BB191_9 Depth=1
	v_dual_lshrrev_b32 v54, 3, v66 :: v_dual_bitop2_b32 v18, 7, v65 bitop3:0x40
	s_mov_b32 s31, exec_lo
	v_cmpx_gt_u32_e32 8, v66
; %bb.125:                              ;   in Loop: Header=BB191_9 Depth=1
	s_delay_alu instid0(VALU_DEP_2) | instskip(NEXT) | instid1(VALU_DEP_1)
	v_clz_i32_u32_e32 v54, v18
	v_min_u32_e32 v54, 32, v54
	s_delay_alu instid0(VALU_DEP_1) | instskip(SKIP_1) | instid1(VALU_DEP_2)
	v_subrev_nc_u32_e32 v55, 28, v54
	v_sub_nc_u32_e32 v54, 29, v54
	v_lshlrev_b64_e32 v[66:67], v55, v[18:19]
	s_delay_alu instid0(VALU_DEP_1)
	v_and_b32_e32 v18, 7, v66
; %bb.126:                              ;   in Loop: Header=BB191_9 Depth=1
	s_or_b32 exec_lo, exec_lo, s31
	s_delay_alu instid0(VALU_DEP_1) | instskip(SKIP_1) | instid1(VALU_DEP_2)
	v_dual_lshlrev_b32 v55, 24, v65 :: v_dual_lshlrev_b32 v18, 20, v18
	v_lshl_add_u32 v54, v54, 23, 0x3c000000
	v_and_b32_e32 v55, 0x80000000, v55
	s_delay_alu instid0(VALU_DEP_1) | instskip(NEXT) | instid1(VALU_DEP_1)
	v_or3_b32 v18, v18, v55, v54
	v_mov_b64_e32 v[54:55], v[18:19]
.LBB191_127:                            ;   in Loop: Header=BB191_9 Depth=1
	s_or_b32 exec_lo, exec_lo, s30
.LBB191_128:                            ;   in Loop: Header=BB191_9 Depth=1
	s_delay_alu instid0(SALU_CYCLE_1)
	s_or_b32 exec_lo, exec_lo, s29
.LBB191_129:                            ;   in Loop: Header=BB191_9 Depth=1
	s_delay_alu instid0(SALU_CYCLE_1) | instskip(NEXT) | instid1(VALU_DEP_2)
	s_or_b32 exec_lo, exec_lo, s28
	v_lshrrev_b16 v18, 8, v65
	s_mov_b32 s28, exec_lo
	s_delay_alu instid0(VALU_DEP_1)
	v_cmpx_ne_u16_e32 0, v18
	s_cbranch_execz .LBB191_137
; %bb.130:                              ;   in Loop: Header=BB191_9 Depth=1
	v_mov_b64_e32 v[28:29], 0x8000000000000000
	s_mov_b32 s29, exec_lo
	v_cmpx_ne_u16_e32 0x80, v18
	s_cbranch_execz .LBB191_136
; %bb.131:                              ;   in Loop: Header=BB191_9 Depth=1
	v_and_b32_e32 v18, 0xffff, v18
	v_mov_b64_e32 v[28:29], 0x7f80000100000000
	s_mov_b32 s30, exec_lo
	s_delay_alu instid0(VALU_DEP_2) | instskip(NEXT) | instid1(VALU_DEP_1)
	v_and_b32_e32 v66, 0x7f, v18
	v_cmpx_ne_u32_e32 0x7f, v66
	s_cbranch_execz .LBB191_135
; %bb.132:                              ;   in Loop: Header=BB191_9 Depth=1
	v_and_b32_e32 v18, 7, v18
	v_lshrrev_b32_e32 v28, 3, v66
	s_mov_b32 s31, exec_lo
	v_cmpx_gt_u32_e32 8, v66
; %bb.133:                              ;   in Loop: Header=BB191_9 Depth=1
	s_delay_alu instid0(VALU_DEP_3) | instskip(NEXT) | instid1(VALU_DEP_1)
	v_clz_i32_u32_e32 v28, v18
	v_min_u32_e32 v28, 32, v28
	s_delay_alu instid0(VALU_DEP_1) | instskip(NEXT) | instid1(VALU_DEP_1)
	v_subrev_nc_u32_e32 v29, 28, v28
	v_lshlrev_b64_e32 v[66:67], v29, v[18:19]
	s_delay_alu instid0(VALU_DEP_1)
	v_dual_sub_nc_u32 v28, 29, v28 :: v_dual_bitop2_b32 v18, 7, v66 bitop3:0x40
; %bb.134:                              ;   in Loop: Header=BB191_9 Depth=1
	s_or_b32 exec_lo, exec_lo, s31
	s_delay_alu instid0(VALU_DEP_1) | instskip(NEXT) | instid1(VALU_DEP_2)
	v_dual_lshlrev_b32 v29, 16, v65 :: v_dual_lshlrev_b32 v18, 20, v18
	v_lshl_add_u32 v28, v28, 23, 0x3c000000
	s_delay_alu instid0(VALU_DEP_2) | instskip(NEXT) | instid1(VALU_DEP_1)
	v_and_b32_e32 v29, 0x80000000, v29
	v_or3_b32 v29, v18, v29, v28
	v_mov_b32_e32 v28, v19
.LBB191_135:                            ;   in Loop: Header=BB191_9 Depth=1
	s_or_b32 exec_lo, exec_lo, s30
.LBB191_136:                            ;   in Loop: Header=BB191_9 Depth=1
	s_delay_alu instid0(SALU_CYCLE_1)
	s_or_b32 exec_lo, exec_lo, s29
.LBB191_137:                            ;   in Loop: Header=BB191_9 Depth=1
	s_delay_alu instid0(SALU_CYCLE_1)
	s_or_b32 exec_lo, exec_lo, s28
	v_mov_b64_e32 v[66:67], s[20:21]
	v_or_b32_e32 v31, v31, v33
	v_or_b32_e32 v30, v30, v32
	;; [unrolled: 1-line block ×4, first 2 shown]
	s_delay_alu instid0(VALU_DEP_3) | instskip(NEXT) | instid1(VALU_DEP_2)
	v_pk_mul_f32 v[26:27], v[66:67], v[30:31]
	v_pk_mul_f32 v[24:25], v[66:67], v[24:25]
	s_wait_dscnt 0x3
	s_delay_alu instid0(VALU_DEP_2) | instskip(NEXT) | instid1(VALU_DEP_1)
	v_dual_mul_f32 v18, v4, v26 :: v_dual_mul_f32 v32, v5, v27
	v_dual_fmac_f32 v18, v2, v24 :: v_dual_bitop2_b32 v31, v35, v37 bitop3:0x54
	s_delay_alu instid0(VALU_DEP_2) | instskip(NEXT) | instid1(VALU_DEP_1)
	v_dual_fmac_f32 v32, v3, v25 :: v_dual_bitop2_b32 v30, v34, v36 bitop3:0x54
	v_pk_mul_f32 v[30:31], v[66:67], v[30:31]
	s_wait_dscnt 0x2
	s_delay_alu instid0(VALU_DEP_1) | instskip(NEXT) | instid1(VALU_DEP_2)
	v_dual_fmac_f32 v18, v6, v30 :: v_dual_bitop2_b32 v27, v39, v41 bitop3:0x54
	v_dual_fmac_f32 v32, v7, v31 :: v_dual_bitop2_b32 v26, v38, v40 bitop3:0x54
	s_delay_alu instid0(VALU_DEP_1) | instskip(NEXT) | instid1(VALU_DEP_1)
	v_pk_mul_f32 v[26:27], v[66:67], v[26:27]
	v_dual_fmac_f32 v18, v8, v26 :: v_dual_bitop2_b32 v25, v43, v45 bitop3:0x54
	s_delay_alu instid0(VALU_DEP_2) | instskip(NEXT) | instid1(VALU_DEP_1)
	v_dual_fmac_f32 v32, v9, v27 :: v_dual_bitop2_b32 v24, v42, v44 bitop3:0x54
	v_pk_mul_f32 v[24:25], v[66:67], v[24:25]
	s_wait_dscnt 0x1
	s_delay_alu instid0(VALU_DEP_1) | instskip(NEXT) | instid1(VALU_DEP_2)
	v_dual_fmac_f32 v18, v10, v24 :: v_dual_bitop2_b32 v31, v47, v49 bitop3:0x54
	v_dual_fmac_f32 v32, v11, v25 :: v_dual_bitop2_b32 v30, v46, v48 bitop3:0x54
	s_delay_alu instid0(VALU_DEP_1) | instskip(NEXT) | instid1(VALU_DEP_1)
	v_pk_mul_f32 v[30:31], v[66:67], v[30:31]
	;; [unrolled: 10-line block ×3, first 2 shown]
	v_dual_fmac_f32 v18, v16, v24 :: v_dual_fmac_f32 v32, v17, v25
	s_delay_alu instid0(VALU_DEP_1)
	v_add_f32_e32 v18, v18, v32
	ds_bpermute_b32 v24, v61, v18
	s_and_saveexec_b32 s28, vcc_lo
	s_cbranch_execz .LBB191_8
; %bb.138:                              ;   in Loop: Header=BB191_9 Depth=1
	s_wait_dscnt 0x0
	v_dual_add_f32 v18, v18, v24 :: v_dual_add_nc_u32 v25, s11, v62
	v_cmp_gt_i32_e64 s4, s25, v62
	s_delay_alu instid0(VALU_DEP_2) | instskip(NEXT) | instid1(VALU_DEP_1)
	v_cvt_f32_i32_e32 v25, v25
	v_mul_f32_e32 v25, s18, v25
	s_delay_alu instid0(VALU_DEP_1) | instskip(NEXT) | instid1(VALU_DEP_1)
	v_dual_cndmask_b32 v24, 0, v25, s3 :: v_dual_max_num_f32 v25, v60, v60
	v_fmac_f32_e32 v24, s19, v18
	s_delay_alu instid0(VALU_DEP_1) | instskip(NEXT) | instid1(VALU_DEP_1)
	v_dual_max_num_f32 v18, v25, v24 :: v_dual_cndmask_b32 v24, 0, v24, s4
	v_cndmask_b32_e64 v60, v60, v18, s4
	ds_store_b32 v63, v24
	s_branch .LBB191_8
.LBB191_139:
	s_or_b32 exec_lo, exec_lo, s5
.LBB191_140:
	s_delay_alu instid0(SALU_CYCLE_1)
	s_or_b32 exec_lo, exec_lo, s26
	v_dual_max_num_f32 v5, v60, v60 :: v_dual_bitop2_b32 v2, 16, v58 bitop3:0x14
	v_xor_b32_e32 v4, 8, v58
	s_wait_kmcnt 0x0
	s_clause 0x1
	s_load_b64 s[4:5], s[0:1], 0x0
	s_load_b64 s[18:19], s[0:1], 0x18
	v_and_b32_e32 v36, 31, v0
	v_cmp_lt_i32_e32 vcc_lo, v2, v59
	v_cndmask_b32_e32 v2, v58, v2, vcc_lo
	v_cmp_lt_i32_e32 vcc_lo, v4, v59
	s_delay_alu instid0(VALU_DEP_2) | instskip(SKIP_3) | instid1(VALU_DEP_1)
	v_dual_cndmask_b32 v4, v58, v4, vcc_lo :: v_dual_lshlrev_b32 v2, 2, v2
	ds_bpermute_b32 v3, v2, v60
	s_wait_dscnt 0x0
	v_dual_max_num_f32 v6, v3, v3 :: v_dual_lshlrev_b32 v3, 2, v4
	v_max_num_f32_e32 v5, v5, v6
	ds_bpermute_b32 v4, v3, v5
	s_wait_dscnt 0x0
	v_dual_max_num_f32 v7, v4, v4 :: v_dual_bitop2_b32 v6, 4, v58 bitop3:0x14
	s_delay_alu instid0(VALU_DEP_1) | instskip(NEXT) | instid1(VALU_DEP_2)
	v_cmp_lt_i32_e32 vcc_lo, v6, v59
	v_dual_max_num_f32 v5, v5, v7 :: v_dual_bitop2_b32 v7, 2, v58 bitop3:0x14
	v_cndmask_b32_e32 v6, v58, v6, vcc_lo
	s_delay_alu instid0(VALU_DEP_2) | instskip(NEXT) | instid1(VALU_DEP_2)
	v_cmp_lt_i32_e32 vcc_lo, v7, v59
	v_dual_cndmask_b32 v7, v58, v7 :: v_dual_lshlrev_b32 v4, 2, v6
	v_cmp_eq_u32_e32 vcc_lo, 0, v36
	s_delay_alu instid0(VALU_DEP_2) | instskip(SKIP_3) | instid1(VALU_DEP_1)
	v_lshlrev_b32_e32 v37, 2, v7
	ds_bpermute_b32 v6, v4, v5
	s_wait_dscnt 0x0
	v_max_num_f32_e32 v6, v6, v6
	v_dual_max_num_f32 v6, v5, v6 :: v_dual_lshlrev_b32 v5, 2, v1
	ds_bpermute_b32 v7, v37, v6
	s_wait_xcnt 0x0
	s_and_saveexec_b32 s0, vcc_lo
	s_cbranch_execz .LBB191_142
; %bb.141:
	s_wait_dscnt 0x0
	v_dual_max_num_f32 v7, v7, v7 :: v_dual_max_num_f32 v6, v6, v6
	s_delay_alu instid0(VALU_DEP_1)
	v_max_num_f32_e32 v6, v6, v7
	ds_store_b32 v5, v6 offset:128
.LBB191_142:
	s_or_b32 exec_lo, exec_lo, s0
	v_cmp_gt_u32_e64 s0, 4, v36
	s_wait_dscnt 0x0
	v_dual_mov_b32 v7, 0xff7fffff :: v_dual_lshlrev_b32 v6, 2, v36
	s_barrier_signal -1
	s_barrier_wait -1
	s_and_saveexec_b32 s1, s0
; %bb.143:
	ds_load_b32 v7, v6 offset:128
; %bb.144:
	s_or_b32 exec_lo, exec_lo, s1
	s_wait_dscnt 0x0
	ds_bpermute_b32 v8, v37, v7
	v_dual_max_num_f32 v7, v7, v7 :: v_dual_bitop2_b32 v9, 1, v58 bitop3:0x14
	s_delay_alu instid0(VALU_DEP_1) | instskip(NEXT) | instid1(VALU_DEP_1)
	v_cmp_lt_i32_e64 s1, v9, v59
	v_cndmask_b32_e64 v9, v58, v9, s1
	s_lshl_b32 s1, s13, 4
	s_delay_alu instid0(SALU_CYCLE_1) | instskip(NEXT) | instid1(SALU_CYCLE_1)
	s_min_i32 s11, s1, s25
	v_cmp_gt_i32_e64 s1, s11, v0
	s_wait_dscnt 0x0
	v_dual_max_num_f32 v8, v8, v8 :: v_dual_lshlrev_b32 v38, 2, v9
	s_delay_alu instid0(VALU_DEP_1) | instskip(SKIP_3) | instid1(VALU_DEP_1)
	v_max_num_f32_e32 v7, v7, v8
	ds_bpermute_b32 v8, v38, v7
	s_wait_dscnt 0x0
	v_max_num_f32_e32 v8, v8, v8
	v_dual_max_num_f32 v7, v7, v8 :: v_dual_lshlrev_b32 v8, 2, v19
	ds_bpermute_b32 v8, v8, v7
	v_mov_b32_e32 v7, 0
	s_and_saveexec_b32 s20, s1
	s_cbranch_execz .LBB191_148
; %bb.145:
	v_lshl_add_u32 v9, v0, 2, 0xa0
	v_dual_mov_b32 v7, 0 :: v_dual_mov_b32 v10, v0
	s_mov_b32 s21, 0
.LBB191_146:                            ; =>This Inner Loop Header: Depth=1
	ds_load_b32 v11, v9
	v_add_nc_u32_e32 v10, 0x80, v10
	s_delay_alu instid0(VALU_DEP_1) | instskip(SKIP_3) | instid1(VALU_DEP_1)
	v_cmp_le_i32_e64 s3, s11, v10
	s_or_b32 s21, s3, s21
	s_wait_dscnt 0x0
	v_sub_f32_e32 v11, v11, v8
	v_mul_f32_e32 v11, 0x3fb8aa3b, v11
	s_delay_alu instid0(VALU_DEP_1)
	v_exp_f32_e32 v11, v11
	ds_store_b32 v9, v11
	v_nop
	v_add_f32_e32 v7, v7, v11
	v_add_nc_u32_e32 v9, 0x200, v9
	s_and_not1_b32 exec_lo, exec_lo, s21
	s_cbranch_execnz .LBB191_146
; %bb.147:
	s_or_b32 exec_lo, exec_lo, s21
.LBB191_148:
	s_delay_alu instid0(SALU_CYCLE_1)
	s_or_b32 exec_lo, exec_lo, s20
	ds_bpermute_b32 v2, v2, v7
	s_wait_dscnt 0x0
	v_add_f32_e32 v2, v7, v2
	ds_bpermute_b32 v3, v3, v2
	s_wait_dscnt 0x0
	v_add_f32_e32 v2, v2, v3
	;; [unrolled: 3-line block ×5, first 2 shown]
	s_and_saveexec_b32 s3, vcc_lo
; %bb.149:
	ds_store_b32 v5, v2 offset:144
; %bb.150:
	s_or_b32 exec_lo, exec_lo, s3
	s_wait_dscnt 0x0
	s_barrier_signal -1
	s_barrier_wait -1
	s_and_saveexec_b32 s3, s0
; %bb.151:
	ds_load_b32 v2, v6 offset:144
; %bb.152:
	s_or_b32 exec_lo, exec_lo, s3
	s_wait_dscnt 0x0
	ds_bpermute_b32 v3, v37, v2
	s_wait_dscnt 0x0
	v_dual_lshlrev_b32 v4, 2, v58 :: v_dual_add_f32 v2, v2, v3
	ds_bpermute_b32 v3, v38, v2
	s_wait_dscnt 0x0
	v_add_f32_e32 v2, v2, v3
	v_and_b32_e32 v3, 0xffffff80, v4
	ds_bpermute_b32 v2, v3, v2
	s_and_saveexec_b32 s0, s1
	s_cbranch_execz .LBB191_165
; %bb.153:
	s_wait_dscnt 0x0
	v_add_f32_e32 v2, 0x358637bd, v2
	s_mov_b32 s3, -1
	s_mov_b32 s1, exec_lo
	s_delay_alu instid0(VALU_DEP_1) | instskip(NEXT) | instid1(VALU_DEP_1)
	v_div_scale_f32 v3, null, v2, v2, 1.0
	v_rcp_f32_e32 v5, v3
	v_nop
	s_delay_alu instid0(TRANS32_DEP_1) | instskip(NEXT) | instid1(VALU_DEP_1)
	v_fma_f32 v4, -v3, v5, 1.0
	v_fmac_f32_e32 v5, v4, v5
	v_div_scale_f32 v6, vcc_lo, 1.0, v2, 1.0
	s_delay_alu instid0(VALU_DEP_1) | instskip(NEXT) | instid1(VALU_DEP_1)
	v_mul_f32_e32 v7, v6, v5
	v_fma_f32 v4, -v3, v7, v6
	s_delay_alu instid0(VALU_DEP_1) | instskip(SKIP_1) | instid1(VALU_DEP_2)
	v_fmac_f32_e32 v7, v4, v5
	v_xad_u32 v4, v0, -1, s11
	v_fma_f32 v3, -v3, v7, v6
	s_delay_alu instid0(VALU_DEP_1) | instskip(NEXT) | instid1(VALU_DEP_1)
	v_div_fmas_f32 v3, v3, v5, v7
	v_div_fixup_f32 v2, v3, v2, 1.0
	v_mov_b32_e32 v3, v0
	v_cmpx_lt_u32_e32 0x7f, v4
	s_cbranch_execz .LBB191_162
; %bb.154:
	s_delay_alu instid0(VALU_DEP_3) | instskip(NEXT) | instid1(VALU_DEP_1)
	v_dual_mov_b32 v3, v2 :: v_dual_lshrrev_b32 v4, 7, v4
	v_dual_mov_b32 v8, 0 :: v_dual_add_nc_u32 v5, -1, v4
	s_delay_alu instid0(VALU_DEP_1) | instskip(SKIP_1) | instid1(VALU_DEP_2)
	v_lshrrev_b32_e32 v6, 1, v5
	v_cmp_lt_u32_e32 vcc_lo, 13, v5
	v_add_nc_u32_e32 v5, 1, v6
	s_and_saveexec_b32 s3, vcc_lo
	s_cbranch_execz .LBB191_158
; %bb.155:
	s_delay_alu instid0(VALU_DEP_1)
	v_and_b32_e32 v6, -8, v5
	v_lshl_add_u32 v7, v0, 2, 0xa0
	s_mov_b32 s20, 0
	s_mov_b32 s21, 0
.LBB191_156:                            ; =>This Inner Loop Header: Depth=1
	ds_load_2addr_stride64_b32 v[8:9], v7 offset1:2
	ds_load_2addr_stride64_b32 v[10:11], v7 offset0:4 offset1:6
	ds_load_2addr_stride64_b32 v[12:13], v7 offset0:8 offset1:10
	;; [unrolled: 1-line block ×7, first 2 shown]
	s_add_co_i32 s21, s21, 16
	v_add_nc_u32_e32 v6, -8, v6
	s_wait_dscnt 0x7
	v_pk_mul_f32 v[8:9], v[2:3], v[8:9]
	s_wait_dscnt 0x6
	v_pk_mul_f32 v[10:11], v[2:3], v[10:11]
	;; [unrolled: 2-line block ×8, first 2 shown]
	ds_store_2addr_stride64_b32 v7, v8, v9 offset1:2
	ds_store_2addr_stride64_b32 v7, v10, v11 offset0:4 offset1:6
	ds_store_2addr_stride64_b32 v7, v12, v13 offset0:8 offset1:10
	ds_store_2addr_stride64_b32 v7, v14, v15 offset0:12 offset1:14
	ds_store_2addr_stride64_b32 v7, v16, v17 offset0:16 offset1:18
	ds_store_2addr_stride64_b32 v7, v18, v19 offset0:20 offset1:22
	ds_store_2addr_stride64_b32 v7, v20, v21 offset0:24 offset1:26
	ds_store_2addr_stride64_b32 v7, v22, v23 offset0:28 offset1:30
	v_mov_b32_e32 v8, s21
	v_cmp_eq_u32_e32 vcc_lo, 0, v6
	v_add_nc_u32_e32 v7, 0x2000, v7
	s_or_b32 s20, vcc_lo, s20
	s_delay_alu instid0(SALU_CYCLE_1)
	s_and_not1_b32 exec_lo, exec_lo, s20
	s_cbranch_execnz .LBB191_156
; %bb.157:
	s_or_b32 exec_lo, exec_lo, s20
.LBB191_158:
	s_delay_alu instid0(SALU_CYCLE_1) | instskip(NEXT) | instid1(VALU_DEP_1)
	s_or_b32 exec_lo, exec_lo, s3
	v_and_b32_e32 v5, 7, v5
	s_mov_b32 s20, 0
	s_mov_b32 s3, exec_lo
	s_delay_alu instid0(VALU_DEP_1)
	v_cmpx_ne_u32_e32 0, v5
	s_cbranch_execz .LBB191_161
; %bb.159:
	v_lshlrev_b32_e32 v6, 9, v8
	s_delay_alu instid0(VALU_DEP_1)
	v_add3_u32 v6, v6, v56, 0xa0
.LBB191_160:                            ; =>This Inner Loop Header: Depth=1
	ds_load_2addr_stride64_b32 v[8:9], v6 offset1:2
	v_add_nc_u32_e32 v5, -1, v5
	s_delay_alu instid0(VALU_DEP_1)
	v_cmp_eq_u32_e32 vcc_lo, 0, v5
	s_or_b32 s20, vcc_lo, s20
	s_wait_dscnt 0x0
	v_pk_mul_f32 v[8:9], v[2:3], v[8:9]
	ds_store_2addr_stride64_b32 v6, v8, v9 offset1:2
	v_add_nc_u32_e32 v6, 0x400, v6
	s_and_not1_b32 exec_lo, exec_lo, s20
	s_cbranch_execnz .LBB191_160
.LBB191_161:
	s_or_b32 exec_lo, exec_lo, s3
	v_add_nc_u32_e32 v3, 1, v4
	s_delay_alu instid0(VALU_DEP_1) | instskip(NEXT) | instid1(VALU_DEP_1)
	v_and_b32_e32 v4, 0x3fffffe, v3
	v_cmp_ne_u32_e32 vcc_lo, v3, v4
	v_lshl_add_u32 v3, v4, 7, v0
	s_or_not1_b32 s3, vcc_lo, exec_lo
.LBB191_162:
	s_or_b32 exec_lo, exec_lo, s1
	s_delay_alu instid0(SALU_CYCLE_1)
	s_and_b32 exec_lo, exec_lo, s3
	s_cbranch_execz .LBB191_165
; %bb.163:
	v_lshl_add_u32 v4, v3, 2, 0xa0
	s_mov_b32 s1, 0
.LBB191_164:                            ; =>This Inner Loop Header: Depth=1
	ds_load_b32 v5, v4
	v_add_nc_u32_e32 v3, 0x80, v3
	s_delay_alu instid0(VALU_DEP_1)
	v_cmp_le_i32_e32 vcc_lo, s11, v3
	s_or_b32 s1, vcc_lo, s1
	s_wait_dscnt 0x0
	v_mul_f32_e32 v5, v2, v5
	ds_store_b32 v4, v5
	v_add_nc_u32_e32 v4, 0x200, v4
	s_and_not1_b32 exec_lo, exec_lo, s1
	s_cbranch_execnz .LBB191_164
.LBB191_165:
	s_or_b32 exec_lo, exec_lo, s0
	v_dual_mov_b32 v7, 0 :: v_dual_bitop2_b32 v39, 3, v0 bitop3:0x40
	v_dual_mov_b32 v6, 0 :: v_dual_mov_b32 v9, 0
	v_mov_b32_e32 v8, 0
	s_wait_dscnt 0x0
	s_barrier_signal -1
	s_barrier_wait -1
	s_and_saveexec_b32 s1, s2
	s_cbranch_execz .LBB191_305
; %bb.166:
	s_load_b32 s2, s[6:7], 0x0
	v_dual_mov_b32 v11, 0 :: v_dual_bitop2_b32 v2, 12, v56 bitop3:0x40
	v_and_b32_e32 v10, 0x7c, v56
	s_ashr_i32 s11, s10, 31
	v_dual_lshlrev_b32 v3, 4, v39 :: v_dual_mov_b32 v7, 0
	s_wait_kmcnt 0x0
	s_add_nc_u64 s[10:11], s[18:19], s[10:11]
	s_lshl_b64 s[14:15], s[14:15], 2
	v_add_nc_u64_e32 v[12:13], s[10:11], v[10:11]
	v_and_b32_e32 v10, 0x7c, v57
	v_lshl_or_b32 v3, v1, 6, v3
	s_add_nc_u64 s[10:11], s[16:17], s[14:15]
	v_dual_mov_b32 v6, 0 :: v_dual_mov_b32 v9, 0
	s_delay_alu instid0(VALU_DEP_3) | instskip(NEXT) | instid1(VALU_DEP_3)
	v_add_nc_u64_e32 v[14:15], s[10:11], v[10:11]
	v_dual_mov_b32 v8, 0 :: v_dual_add_nc_u32 v41, 0xa0, v3
	v_lshl_or_b32 v40, v1, 4, v2
	v_mov_b32_e32 v42, v1
	s_mov_b32 s6, s9
	s_mov_b32 s3, s2
	s_add_co_i32 s7, s13, -1
	s_mov_b32 s10, s25
	s_mov_b32 s9, 0
	s_branch .LBB191_168
.LBB191_167:                            ;   in Loop: Header=BB191_168 Depth=1
	s_or_b32 exec_lo, exec_lo, s0
	s_wait_dscnt 0x0
	v_dual_mul_f32 v10, v2, v28 :: v_dual_mul_f32 v18, v2, v18
	v_mul_f32_e32 v24, v2, v24
	v_pk_mul_f32 v[20:21], v[2:3], v[20:21]
	v_pk_mul_f32 v[30:31], v[4:5], v[30:31]
	s_delay_alu instid0(VALU_DEP_4) | instskip(NEXT) | instid1(VALU_DEP_4)
	v_fmac_f32_e32 v10, v3, v29
	v_dual_fmac_f32 v18, v3, v19 :: v_dual_fmac_f32 v24, v3, v25
	s_delay_alu instid0(VALU_DEP_4) | instskip(NEXT) | instid1(VALU_DEP_3)
	v_dual_add_f32 v2, v21, v20 :: v_dual_add_nc_u32 v42, 4, v42
	v_dual_add_nc_u32 v40, 64, v40 :: v_dual_fmac_f32 v10, v4, v26
	s_delay_alu instid0(VALU_DEP_3) | instskip(NEXT) | instid1(VALU_DEP_3)
	v_dual_fmac_f32 v24, v4, v22 :: v_dual_fmac_f32 v18, v4, v16
	v_add_f32_e32 v2, v30, v2
	s_delay_alu instid0(VALU_DEP_4) | instskip(NEXT) | instid1(VALU_DEP_4)
	v_cmp_le_i32_e32 vcc_lo, s13, v42
	v_fmac_f32_e32 v10, v5, v27
	s_delay_alu instid0(VALU_DEP_4) | instskip(NEXT) | instid1(VALU_DEP_4)
	v_dual_fmac_f32 v24, v5, v23 :: v_dual_fmac_f32 v18, v5, v17
	v_add_f32_e32 v2, v31, v2
	v_add_nc_u64_e32 v[14:15], 16, v[14:15]
	s_delay_alu instid0(VALU_DEP_4) | instskip(NEXT) | instid1(VALU_DEP_4)
	v_dual_add_f32 v6, v6, v10 :: v_dual_add_nc_u32 v41, 0x100, v41
	v_dual_add_f32 v9, v9, v24 :: v_dual_add_f32 v8, v8, v18
	s_delay_alu instid0(VALU_DEP_4) | instskip(SKIP_1) | instid1(SALU_CYCLE_1)
	v_add_f32_e32 v7, v7, v2
	s_or_b32 s9, vcc_lo, s9
	s_and_not1_b32 exec_lo, exec_lo, s9
	s_cbranch_execz .LBB191_304
.LBB191_168:                            ; =>This Inner Loop Header: Depth=1
	global_load_b32 v2, v[14:15], off
	v_mov_b64_e32 v[16:17], 0
	v_mov_b64_e32 v[18:19], 0
	s_mov_b32 s0, exec_lo
	s_wait_loadcnt 0x0
	v_mad_nc_i64_i32 v[20:21], v2, s6, v[12:13]
	ds_load_b128 v[2:5], v41
	global_load_b32 v26, v[20:21], off
	s_wait_loadcnt 0x0
	v_and_b32_e32 v10, 0xff, v26
	s_delay_alu instid0(VALU_DEP_1)
	v_cmpx_ne_u16_e32 0, v10
	s_cbranch_execz .LBB191_176
; %bb.169:                              ;   in Loop: Header=BB191_168 Depth=1
	v_mov_b64_e32 v[18:19], 0x80000000
	s_mov_b32 s11, exec_lo
	v_cmpx_ne_u16_e32 0x80, v10
	s_cbranch_execz .LBB191_175
; %bb.170:                              ;   in Loop: Header=BB191_168 Depth=1
	v_mov_b64_e32 v[18:19], 0x7f800001
	v_and_b32_e32 v22, 0x7f, v26
	s_mov_b32 s14, exec_lo
	s_delay_alu instid0(VALU_DEP_1)
	v_cmpx_ne_u32_e32 0x7f, v22
	s_cbranch_execz .LBB191_174
; %bb.171:                              ;   in Loop: Header=BB191_168 Depth=1
	v_and_b32_e32 v10, 7, v26
	v_lshrrev_b32_e32 v18, 3, v22
	s_mov_b32 s15, exec_lo
	v_cmpx_gt_u32_e32 8, v22
; %bb.172:                              ;   in Loop: Header=BB191_168 Depth=1
	s_delay_alu instid0(VALU_DEP_3) | instskip(NEXT) | instid1(VALU_DEP_1)
	v_clz_i32_u32_e32 v18, v10
	v_min_u32_e32 v18, 32, v18
	s_delay_alu instid0(VALU_DEP_1) | instskip(SKIP_1) | instid1(VALU_DEP_2)
	v_subrev_nc_u32_e32 v19, 28, v18
	v_sub_nc_u32_e32 v18, 29, v18
	v_lshlrev_b64_e32 v[22:23], v19, v[10:11]
	s_delay_alu instid0(VALU_DEP_1)
	v_and_b32_e32 v10, 7, v22
; %bb.173:                              ;   in Loop: Header=BB191_168 Depth=1
	s_or_b32 exec_lo, exec_lo, s15
	v_lshlrev_b32_e32 v19, 24, v26
	s_delay_alu instid0(VALU_DEP_2) | instskip(SKIP_1) | instid1(VALU_DEP_3)
	v_lshlrev_b32_e32 v10, 20, v10
	v_lshl_add_u32 v18, v18, 23, 0x3c000000
	v_and_b32_e32 v19, 0x80000000, v19
	s_delay_alu instid0(VALU_DEP_1) | instskip(NEXT) | instid1(VALU_DEP_1)
	v_or3_b32 v10, v10, v19, v18
	v_mov_b64_e32 v[18:19], v[10:11]
.LBB191_174:                            ;   in Loop: Header=BB191_168 Depth=1
	s_or_b32 exec_lo, exec_lo, s14
.LBB191_175:                            ;   in Loop: Header=BB191_168 Depth=1
	s_delay_alu instid0(SALU_CYCLE_1)
	s_or_b32 exec_lo, exec_lo, s11
.LBB191_176:                            ;   in Loop: Header=BB191_168 Depth=1
	s_delay_alu instid0(SALU_CYCLE_1) | instskip(SKIP_2) | instid1(VALU_DEP_1)
	s_or_b32 exec_lo, exec_lo, s0
	v_lshrrev_b16 v10, 8, v26
	s_mov_b32 s0, exec_lo
	v_cmpx_ne_u16_e32 0, v10
	s_cbranch_execz .LBB191_184
; %bb.177:                              ;   in Loop: Header=BB191_168 Depth=1
	v_mov_b64_e32 v[16:17], 0x8000000000000000
	s_mov_b32 s11, exec_lo
	v_cmpx_ne_u16_e32 0x80, v10
	s_cbranch_execz .LBB191_183
; %bb.178:                              ;   in Loop: Header=BB191_168 Depth=1
	v_and_b32_e32 v10, 0xffff, v10
	v_mov_b64_e32 v[16:17], 0x7f80000100000000
	s_mov_b32 s14, exec_lo
	s_delay_alu instid0(VALU_DEP_2) | instskip(NEXT) | instid1(VALU_DEP_1)
	v_and_b32_e32 v22, 0x7f, v10
	v_cmpx_ne_u32_e32 0x7f, v22
	s_cbranch_execz .LBB191_182
; %bb.179:                              ;   in Loop: Header=BB191_168 Depth=1
	v_and_b32_e32 v10, 7, v10
	v_lshrrev_b32_e32 v16, 3, v22
	s_mov_b32 s15, exec_lo
	v_cmpx_gt_u32_e32 8, v22
; %bb.180:                              ;   in Loop: Header=BB191_168 Depth=1
	s_delay_alu instid0(VALU_DEP_3) | instskip(NEXT) | instid1(VALU_DEP_1)
	v_clz_i32_u32_e32 v16, v10
	v_min_u32_e32 v16, 32, v16
	s_delay_alu instid0(VALU_DEP_1) | instskip(NEXT) | instid1(VALU_DEP_1)
	v_subrev_nc_u32_e32 v17, 28, v16
	v_lshlrev_b64_e32 v[22:23], v17, v[10:11]
	s_delay_alu instid0(VALU_DEP_1)
	v_dual_sub_nc_u32 v16, 29, v16 :: v_dual_bitop2_b32 v10, 7, v22 bitop3:0x40
; %bb.181:                              ;   in Loop: Header=BB191_168 Depth=1
	s_or_b32 exec_lo, exec_lo, s15
	v_lshlrev_b32_e32 v17, 16, v26
	s_delay_alu instid0(VALU_DEP_2) | instskip(NEXT) | instid1(VALU_DEP_3)
	v_lshlrev_b32_e32 v10, 20, v10
	v_lshl_add_u32 v16, v16, 23, 0x3c000000
	s_delay_alu instid0(VALU_DEP_3) | instskip(NEXT) | instid1(VALU_DEP_1)
	v_and_b32_e32 v17, 0x80000000, v17
	v_or3_b32 v17, v10, v17, v16
	v_mov_b32_e32 v16, v11
.LBB191_182:                            ;   in Loop: Header=BB191_168 Depth=1
	s_or_b32 exec_lo, exec_lo, s14
.LBB191_183:                            ;   in Loop: Header=BB191_168 Depth=1
	s_delay_alu instid0(SALU_CYCLE_1)
	s_or_b32 exec_lo, exec_lo, s11
.LBB191_184:                            ;   in Loop: Header=BB191_168 Depth=1
	s_delay_alu instid0(SALU_CYCLE_1) | instskip(SKIP_4) | instid1(VALU_DEP_3)
	s_or_b32 exec_lo, exec_lo, s0
	v_lshrrev_b32_e32 v27, 16, v26
	v_mov_b64_e32 v[22:23], 0
	v_mov_b64_e32 v[24:25], 0
	s_mov_b32 s0, exec_lo
	v_and_b32_e32 v10, 0xff, v27
	s_delay_alu instid0(VALU_DEP_1)
	v_cmpx_ne_u16_e32 0, v10
	s_cbranch_execz .LBB191_192
; %bb.185:                              ;   in Loop: Header=BB191_168 Depth=1
	v_mov_b64_e32 v[24:25], 0x80000000
	s_mov_b32 s11, exec_lo
	v_cmpx_ne_u16_e32 0x80, v10
	s_cbranch_execz .LBB191_191
; %bb.186:                              ;   in Loop: Header=BB191_168 Depth=1
	v_mov_b64_e32 v[24:25], 0x7f800001
	v_bfe_u32 v28, v26, 16, 7
	s_mov_b32 s14, exec_lo
	s_delay_alu instid0(VALU_DEP_1)
	v_cmpx_ne_u32_e32 0x7f, v28
	s_cbranch_execz .LBB191_190
; %bb.187:                              ;   in Loop: Header=BB191_168 Depth=1
	v_dual_lshrrev_b32 v24, 3, v28 :: v_dual_bitop2_b32 v10, 7, v27 bitop3:0x40
	s_mov_b32 s15, exec_lo
	v_cmpx_gt_u32_e32 8, v28
; %bb.188:                              ;   in Loop: Header=BB191_168 Depth=1
	s_delay_alu instid0(VALU_DEP_2) | instskip(NEXT) | instid1(VALU_DEP_1)
	v_clz_i32_u32_e32 v24, v10
	v_min_u32_e32 v24, 32, v24
	s_delay_alu instid0(VALU_DEP_1) | instskip(SKIP_1) | instid1(VALU_DEP_2)
	v_subrev_nc_u32_e32 v25, 28, v24
	v_sub_nc_u32_e32 v24, 29, v24
	v_lshlrev_b64_e32 v[28:29], v25, v[10:11]
	s_delay_alu instid0(VALU_DEP_1)
	v_and_b32_e32 v10, 7, v28
; %bb.189:                              ;   in Loop: Header=BB191_168 Depth=1
	s_or_b32 exec_lo, exec_lo, s15
	s_delay_alu instid0(VALU_DEP_1) | instskip(SKIP_1) | instid1(VALU_DEP_2)
	v_dual_lshlrev_b32 v25, 24, v27 :: v_dual_lshlrev_b32 v10, 20, v10
	v_lshl_add_u32 v24, v24, 23, 0x3c000000
	v_and_b32_e32 v25, 0x80000000, v25
	s_delay_alu instid0(VALU_DEP_1) | instskip(NEXT) | instid1(VALU_DEP_1)
	v_or3_b32 v10, v10, v25, v24
	v_mov_b64_e32 v[24:25], v[10:11]
.LBB191_190:                            ;   in Loop: Header=BB191_168 Depth=1
	s_or_b32 exec_lo, exec_lo, s14
.LBB191_191:                            ;   in Loop: Header=BB191_168 Depth=1
	s_delay_alu instid0(SALU_CYCLE_1)
	s_or_b32 exec_lo, exec_lo, s11
.LBB191_192:                            ;   in Loop: Header=BB191_168 Depth=1
	s_delay_alu instid0(SALU_CYCLE_1) | instskip(NEXT) | instid1(SALU_CYCLE_1)
	s_or_b32 exec_lo, exec_lo, s0
	s_mov_b32 s0, exec_lo
	v_cmpx_lt_u32_e32 0xffffff, v26
	s_cbranch_execz .LBB191_200
; %bb.193:                              ;   in Loop: Header=BB191_168 Depth=1
	v_mov_b64_e32 v[22:23], 0x8000000000000000
	v_lshrrev_b32_e32 v27, 24, v26
	s_mov_b32 s11, exec_lo
	s_delay_alu instid0(VALU_DEP_1)
	v_cmpx_ne_u32_e32 0x80, v27
	s_cbranch_execz .LBB191_199
; %bb.194:                              ;   in Loop: Header=BB191_168 Depth=1
	v_mov_b64_e32 v[22:23], 0x7f80000100000000
	v_bfe_u32 v26, v26, 24, 7
	s_mov_b32 s14, exec_lo
	s_delay_alu instid0(VALU_DEP_1)
	v_cmpx_ne_u32_e32 0x7f, v26
	s_cbranch_execz .LBB191_198
; %bb.195:                              ;   in Loop: Header=BB191_168 Depth=1
	v_dual_lshrrev_b32 v22, 3, v26 :: v_dual_bitop2_b32 v10, 7, v27 bitop3:0x40
	s_mov_b32 s15, exec_lo
	v_cmpx_gt_u32_e32 8, v26
; %bb.196:                              ;   in Loop: Header=BB191_168 Depth=1
	s_delay_alu instid0(VALU_DEP_2) | instskip(NEXT) | instid1(VALU_DEP_1)
	v_clz_i32_u32_e32 v22, v10
	v_min_u32_e32 v22, 32, v22
	s_delay_alu instid0(VALU_DEP_1) | instskip(NEXT) | instid1(VALU_DEP_1)
	v_subrev_nc_u32_e32 v23, 28, v22
	v_lshlrev_b64_e32 v[28:29], v23, v[10:11]
	s_delay_alu instid0(VALU_DEP_1)
	v_dual_sub_nc_u32 v22, 29, v22 :: v_dual_bitop2_b32 v10, 7, v28 bitop3:0x40
; %bb.197:                              ;   in Loop: Header=BB191_168 Depth=1
	s_or_b32 exec_lo, exec_lo, s15
	s_delay_alu instid0(VALU_DEP_1) | instskip(NEXT) | instid1(VALU_DEP_2)
	v_dual_lshlrev_b32 v23, 24, v27 :: v_dual_lshlrev_b32 v10, 20, v10
	v_lshl_add_u32 v22, v22, 23, 0x3c000000
	s_delay_alu instid0(VALU_DEP_2) | instskip(NEXT) | instid1(VALU_DEP_1)
	v_and_b32_e32 v23, 0x80000000, v23
	v_or3_b32 v23, v10, v23, v22
	v_mov_b32_e32 v22, v11
.LBB191_198:                            ;   in Loop: Header=BB191_168 Depth=1
	s_or_b32 exec_lo, exec_lo, s14
.LBB191_199:                            ;   in Loop: Header=BB191_168 Depth=1
	s_delay_alu instid0(SALU_CYCLE_1)
	s_or_b32 exec_lo, exec_lo, s11
.LBB191_200:                            ;   in Loop: Header=BB191_168 Depth=1
	s_delay_alu instid0(SALU_CYCLE_1)
	s_or_b32 exec_lo, exec_lo, s0
	v_mov_b64_e32 v[26:27], s[2:3]
	v_dual_add_nc_u32 v43, 1, v40 :: v_dual_bitop2_b32 v17, v17, v19 bitop3:0x54
	v_dual_add_nc_u32 v35, 2, v40 :: v_dual_bitop2_b32 v16, v16, v18 bitop3:0x54
	;; [unrolled: 1-line block ×3, first 2 shown]
	v_or_b32_e32 v22, v22, v24
	v_cmp_eq_u32_e32 vcc_lo, s7, v42
	s_delay_alu instid0(VALU_DEP_4) | instskip(NEXT) | instid1(VALU_DEP_3)
	v_pk_mul_f32 v[18:19], v[26:27], v[16:17]
	v_pk_mul_f32 v[16:17], v[26:27], v[22:23]
	s_and_saveexec_b32 s11, vcc_lo
	s_cbranch_execz .LBB191_202
; %bb.201:                              ;   in Loop: Header=BB191_168 Depth=1
	v_cmp_gt_i32_e64 s0, s25, v40
	s_delay_alu instid0(VALU_DEP_1) | instskip(SKIP_1) | instid1(VALU_DEP_1)
	v_cndmask_b32_e64 v18, 0, v18, s0
	v_cmp_gt_i32_e64 s0, s25, v43
	v_cndmask_b32_e64 v19, 0, v19, s0
	v_cmp_gt_i32_e64 s0, s25, v35
	s_delay_alu instid0(VALU_DEP_1) | instskip(SKIP_1) | instid1(VALU_DEP_1)
	v_cndmask_b32_e64 v16, 0, v16, s0
	v_cmp_gt_i32_e64 s0, s25, v34
	v_cndmask_b32_e64 v17, 0, v17, s0
.LBB191_202:                            ;   in Loop: Header=BB191_168 Depth=1
	s_or_b32 exec_lo, exec_lo, s11
	global_load_b32 v30, v[20:21], off offset:128
	v_mov_b64_e32 v[22:23], 0
	v_mov_b64_e32 v[24:25], 0
	s_mov_b32 s11, exec_lo
	s_wait_loadcnt 0x0
	v_and_b32_e32 v10, 0xff, v30
	s_delay_alu instid0(VALU_DEP_1)
	v_cmpx_ne_u16_e32 0, v10
	s_cbranch_execz .LBB191_210
; %bb.203:                              ;   in Loop: Header=BB191_168 Depth=1
	v_mov_b64_e32 v[24:25], 0x80000000
	s_mov_b32 s14, exec_lo
	v_cmpx_ne_u16_e32 0x80, v10
	s_cbranch_execz .LBB191_209
; %bb.204:                              ;   in Loop: Header=BB191_168 Depth=1
	v_mov_b64_e32 v[24:25], 0x7f800001
	v_and_b32_e32 v26, 0x7f, v30
	s_mov_b32 s15, exec_lo
	s_delay_alu instid0(VALU_DEP_1)
	v_cmpx_ne_u32_e32 0x7f, v26
	s_cbranch_execz .LBB191_208
; %bb.205:                              ;   in Loop: Header=BB191_168 Depth=1
	v_and_b32_e32 v10, 7, v30
	v_lshrrev_b32_e32 v24, 3, v26
	s_mov_b32 s16, exec_lo
	v_cmpx_gt_u32_e32 8, v26
; %bb.206:                              ;   in Loop: Header=BB191_168 Depth=1
	s_delay_alu instid0(VALU_DEP_3) | instskip(NEXT) | instid1(VALU_DEP_1)
	v_clz_i32_u32_e32 v24, v10
	v_min_u32_e32 v24, 32, v24
	s_delay_alu instid0(VALU_DEP_1) | instskip(NEXT) | instid1(VALU_DEP_1)
	v_subrev_nc_u32_e32 v25, 28, v24
	v_lshlrev_b64_e32 v[26:27], v25, v[10:11]
	s_delay_alu instid0(VALU_DEP_1)
	v_dual_sub_nc_u32 v24, 29, v24 :: v_dual_bitop2_b32 v10, 7, v26 bitop3:0x40
; %bb.207:                              ;   in Loop: Header=BB191_168 Depth=1
	s_or_b32 exec_lo, exec_lo, s16
	v_lshlrev_b32_e32 v25, 24, v30
	s_delay_alu instid0(VALU_DEP_2) | instskip(NEXT) | instid1(VALU_DEP_3)
	v_lshlrev_b32_e32 v10, 20, v10
	v_lshl_add_u32 v24, v24, 23, 0x3c000000
	s_delay_alu instid0(VALU_DEP_3) | instskip(NEXT) | instid1(VALU_DEP_1)
	v_and_b32_e32 v25, 0x80000000, v25
	v_or3_b32 v10, v10, v25, v24
	s_delay_alu instid0(VALU_DEP_1)
	v_mov_b64_e32 v[24:25], v[10:11]
.LBB191_208:                            ;   in Loop: Header=BB191_168 Depth=1
	s_or_b32 exec_lo, exec_lo, s15
.LBB191_209:                            ;   in Loop: Header=BB191_168 Depth=1
	s_delay_alu instid0(SALU_CYCLE_1)
	s_or_b32 exec_lo, exec_lo, s14
.LBB191_210:                            ;   in Loop: Header=BB191_168 Depth=1
	s_delay_alu instid0(SALU_CYCLE_1) | instskip(SKIP_2) | instid1(VALU_DEP_1)
	s_or_b32 exec_lo, exec_lo, s11
	v_lshrrev_b16 v10, 8, v30
	s_mov_b32 s11, exec_lo
	v_cmpx_ne_u16_e32 0, v10
	s_cbranch_execz .LBB191_218
; %bb.211:                              ;   in Loop: Header=BB191_168 Depth=1
	v_mov_b64_e32 v[22:23], 0x8000000000000000
	s_mov_b32 s14, exec_lo
	v_cmpx_ne_u16_e32 0x80, v10
	s_cbranch_execz .LBB191_217
; %bb.212:                              ;   in Loop: Header=BB191_168 Depth=1
	v_and_b32_e32 v10, 0xffff, v10
	v_mov_b64_e32 v[22:23], 0x7f80000100000000
	s_mov_b32 s15, exec_lo
	s_delay_alu instid0(VALU_DEP_2) | instskip(NEXT) | instid1(VALU_DEP_1)
	v_and_b32_e32 v26, 0x7f, v10
	v_cmpx_ne_u32_e32 0x7f, v26
	s_cbranch_execz .LBB191_216
; %bb.213:                              ;   in Loop: Header=BB191_168 Depth=1
	v_and_b32_e32 v10, 7, v10
	v_lshrrev_b32_e32 v22, 3, v26
	s_mov_b32 s16, exec_lo
	v_cmpx_gt_u32_e32 8, v26
; %bb.214:                              ;   in Loop: Header=BB191_168 Depth=1
	s_delay_alu instid0(VALU_DEP_3) | instskip(NEXT) | instid1(VALU_DEP_1)
	v_clz_i32_u32_e32 v22, v10
	v_min_u32_e32 v22, 32, v22
	s_delay_alu instid0(VALU_DEP_1) | instskip(SKIP_1) | instid1(VALU_DEP_2)
	v_subrev_nc_u32_e32 v23, 28, v22
	v_sub_nc_u32_e32 v22, 29, v22
	v_lshlrev_b64_e32 v[26:27], v23, v[10:11]
	s_delay_alu instid0(VALU_DEP_1)
	v_and_b32_e32 v10, 7, v26
; %bb.215:                              ;   in Loop: Header=BB191_168 Depth=1
	s_or_b32 exec_lo, exec_lo, s16
	v_lshlrev_b32_e32 v23, 16, v30
	s_delay_alu instid0(VALU_DEP_2) | instskip(SKIP_1) | instid1(VALU_DEP_3)
	v_lshlrev_b32_e32 v10, 20, v10
	v_lshl_add_u32 v22, v22, 23, 0x3c000000
	v_and_b32_e32 v23, 0x80000000, v23
	s_delay_alu instid0(VALU_DEP_1)
	v_or3_b32 v23, v10, v23, v22
	v_mov_b32_e32 v22, v11
.LBB191_216:                            ;   in Loop: Header=BB191_168 Depth=1
	s_or_b32 exec_lo, exec_lo, s15
.LBB191_217:                            ;   in Loop: Header=BB191_168 Depth=1
	s_delay_alu instid0(SALU_CYCLE_1)
	s_or_b32 exec_lo, exec_lo, s14
.LBB191_218:                            ;   in Loop: Header=BB191_168 Depth=1
	s_delay_alu instid0(SALU_CYCLE_1) | instskip(SKIP_4) | instid1(VALU_DEP_3)
	s_or_b32 exec_lo, exec_lo, s11
	v_lshrrev_b32_e32 v31, 16, v30
	v_mov_b64_e32 v[26:27], 0
	v_mov_b64_e32 v[28:29], 0
	s_mov_b32 s11, exec_lo
	v_and_b32_e32 v10, 0xff, v31
	s_delay_alu instid0(VALU_DEP_1)
	v_cmpx_ne_u16_e32 0, v10
	s_cbranch_execz .LBB191_226
; %bb.219:                              ;   in Loop: Header=BB191_168 Depth=1
	v_mov_b64_e32 v[28:29], 0x80000000
	s_mov_b32 s14, exec_lo
	v_cmpx_ne_u16_e32 0x80, v10
	s_cbranch_execz .LBB191_225
; %bb.220:                              ;   in Loop: Header=BB191_168 Depth=1
	v_mov_b64_e32 v[28:29], 0x7f800001
	v_bfe_u32 v32, v30, 16, 7
	s_mov_b32 s15, exec_lo
	s_delay_alu instid0(VALU_DEP_1)
	v_cmpx_ne_u32_e32 0x7f, v32
	s_cbranch_execz .LBB191_224
; %bb.221:                              ;   in Loop: Header=BB191_168 Depth=1
	v_dual_lshrrev_b32 v28, 3, v32 :: v_dual_bitop2_b32 v10, 7, v31 bitop3:0x40
	s_mov_b32 s16, exec_lo
	v_cmpx_gt_u32_e32 8, v32
; %bb.222:                              ;   in Loop: Header=BB191_168 Depth=1
	s_delay_alu instid0(VALU_DEP_2) | instskip(NEXT) | instid1(VALU_DEP_1)
	v_clz_i32_u32_e32 v28, v10
	v_min_u32_e32 v28, 32, v28
	s_delay_alu instid0(VALU_DEP_1) | instskip(SKIP_1) | instid1(VALU_DEP_2)
	v_subrev_nc_u32_e32 v29, 28, v28
	v_sub_nc_u32_e32 v28, 29, v28
	v_lshlrev_b64_e32 v[32:33], v29, v[10:11]
	s_delay_alu instid0(VALU_DEP_1)
	v_and_b32_e32 v10, 7, v32
; %bb.223:                              ;   in Loop: Header=BB191_168 Depth=1
	s_or_b32 exec_lo, exec_lo, s16
	s_delay_alu instid0(VALU_DEP_1) | instskip(SKIP_1) | instid1(VALU_DEP_2)
	v_dual_lshlrev_b32 v29, 24, v31 :: v_dual_lshlrev_b32 v10, 20, v10
	v_lshl_add_u32 v28, v28, 23, 0x3c000000
	v_and_b32_e32 v29, 0x80000000, v29
	s_delay_alu instid0(VALU_DEP_1) | instskip(NEXT) | instid1(VALU_DEP_1)
	v_or3_b32 v10, v10, v29, v28
	v_mov_b64_e32 v[28:29], v[10:11]
.LBB191_224:                            ;   in Loop: Header=BB191_168 Depth=1
	s_or_b32 exec_lo, exec_lo, s15
.LBB191_225:                            ;   in Loop: Header=BB191_168 Depth=1
	s_delay_alu instid0(SALU_CYCLE_1)
	s_or_b32 exec_lo, exec_lo, s14
.LBB191_226:                            ;   in Loop: Header=BB191_168 Depth=1
	s_delay_alu instid0(SALU_CYCLE_1) | instskip(NEXT) | instid1(SALU_CYCLE_1)
	s_or_b32 exec_lo, exec_lo, s11
	s_mov_b32 s11, exec_lo
	v_cmpx_lt_u32_e32 0xffffff, v30
	s_cbranch_execz .LBB191_234
; %bb.227:                              ;   in Loop: Header=BB191_168 Depth=1
	v_mov_b64_e32 v[26:27], 0x8000000000000000
	v_lshrrev_b32_e32 v31, 24, v30
	s_mov_b32 s14, exec_lo
	s_delay_alu instid0(VALU_DEP_1)
	v_cmpx_ne_u32_e32 0x80, v31
	s_cbranch_execz .LBB191_233
; %bb.228:                              ;   in Loop: Header=BB191_168 Depth=1
	v_mov_b64_e32 v[26:27], 0x7f80000100000000
	v_bfe_u32 v30, v30, 24, 7
	s_mov_b32 s15, exec_lo
	s_delay_alu instid0(VALU_DEP_1)
	v_cmpx_ne_u32_e32 0x7f, v30
	s_cbranch_execz .LBB191_232
; %bb.229:                              ;   in Loop: Header=BB191_168 Depth=1
	v_dual_lshrrev_b32 v26, 3, v30 :: v_dual_bitop2_b32 v10, 7, v31 bitop3:0x40
	s_mov_b32 s16, exec_lo
	v_cmpx_gt_u32_e32 8, v30
; %bb.230:                              ;   in Loop: Header=BB191_168 Depth=1
	s_delay_alu instid0(VALU_DEP_2) | instskip(NEXT) | instid1(VALU_DEP_1)
	v_clz_i32_u32_e32 v26, v10
	v_min_u32_e32 v26, 32, v26
	s_delay_alu instid0(VALU_DEP_1) | instskip(NEXT) | instid1(VALU_DEP_1)
	v_subrev_nc_u32_e32 v27, 28, v26
	v_lshlrev_b64_e32 v[32:33], v27, v[10:11]
	s_delay_alu instid0(VALU_DEP_1)
	v_dual_sub_nc_u32 v26, 29, v26 :: v_dual_bitop2_b32 v10, 7, v32 bitop3:0x40
; %bb.231:                              ;   in Loop: Header=BB191_168 Depth=1
	s_or_b32 exec_lo, exec_lo, s16
	s_delay_alu instid0(VALU_DEP_1) | instskip(NEXT) | instid1(VALU_DEP_2)
	v_dual_lshlrev_b32 v27, 24, v31 :: v_dual_lshlrev_b32 v10, 20, v10
	v_lshl_add_u32 v26, v26, 23, 0x3c000000
	s_delay_alu instid0(VALU_DEP_2) | instskip(NEXT) | instid1(VALU_DEP_1)
	v_and_b32_e32 v27, 0x80000000, v27
	v_or3_b32 v27, v10, v27, v26
	v_mov_b32_e32 v26, v11
.LBB191_232:                            ;   in Loop: Header=BB191_168 Depth=1
	s_or_b32 exec_lo, exec_lo, s15
.LBB191_233:                            ;   in Loop: Header=BB191_168 Depth=1
	s_delay_alu instid0(SALU_CYCLE_1)
	s_or_b32 exec_lo, exec_lo, s14
.LBB191_234:                            ;   in Loop: Header=BB191_168 Depth=1
	s_delay_alu instid0(SALU_CYCLE_1)
	s_or_b32 exec_lo, exec_lo, s11
	v_mov_b64_e32 v[30:31], s[2:3]
	v_or_b32_e32 v23, v23, v25
	v_or_b32_e32 v22, v22, v24
	;; [unrolled: 1-line block ×4, first 2 shown]
	s_delay_alu instid0(VALU_DEP_3) | instskip(NEXT) | instid1(VALU_DEP_2)
	v_pk_mul_f32 v[24:25], v[30:31], v[22:23]
	v_pk_mul_f32 v[22:23], v[30:31], v[26:27]
	s_and_saveexec_b32 s11, vcc_lo
	s_cbranch_execz .LBB191_236
; %bb.235:                              ;   in Loop: Header=BB191_168 Depth=1
	v_cmp_gt_i32_e64 s0, s25, v40
	s_delay_alu instid0(VALU_DEP_1) | instskip(SKIP_1) | instid1(VALU_DEP_1)
	v_cndmask_b32_e64 v24, 0, v24, s0
	v_cmp_gt_i32_e64 s0, s25, v43
	v_cndmask_b32_e64 v25, 0, v25, s0
	v_cmp_gt_i32_e64 s0, s25, v35
	s_delay_alu instid0(VALU_DEP_1) | instskip(SKIP_1) | instid1(VALU_DEP_1)
	v_cndmask_b32_e64 v22, 0, v22, s0
	v_cmp_gt_i32_e64 s0, s25, v34
	v_cndmask_b32_e64 v23, 0, v23, s0
.LBB191_236:                            ;   in Loop: Header=BB191_168 Depth=1
	s_or_b32 exec_lo, exec_lo, s11
	global_load_b32 v44, v[20:21], off offset:256
	v_mov_b64_e32 v[26:27], 0
	v_mov_b64_e32 v[28:29], 0
	s_mov_b32 s11, exec_lo
	s_wait_loadcnt 0x0
	v_and_b32_e32 v10, 0xff, v44
	s_delay_alu instid0(VALU_DEP_1)
	v_cmpx_ne_u16_e32 0, v10
	s_cbranch_execz .LBB191_244
; %bb.237:                              ;   in Loop: Header=BB191_168 Depth=1
	v_mov_b64_e32 v[28:29], 0x80000000
	s_mov_b32 s14, exec_lo
	v_cmpx_ne_u16_e32 0x80, v10
	s_cbranch_execz .LBB191_243
; %bb.238:                              ;   in Loop: Header=BB191_168 Depth=1
	v_mov_b64_e32 v[28:29], 0x7f800001
	v_and_b32_e32 v30, 0x7f, v44
	s_mov_b32 s15, exec_lo
	s_delay_alu instid0(VALU_DEP_1)
	v_cmpx_ne_u32_e32 0x7f, v30
	s_cbranch_execz .LBB191_242
; %bb.239:                              ;   in Loop: Header=BB191_168 Depth=1
	v_dual_lshrrev_b32 v28, 3, v30 :: v_dual_bitop2_b32 v10, 7, v44 bitop3:0x40
	s_mov_b32 s16, exec_lo
	v_cmpx_gt_u32_e32 8, v30
; %bb.240:                              ;   in Loop: Header=BB191_168 Depth=1
	s_delay_alu instid0(VALU_DEP_2) | instskip(NEXT) | instid1(VALU_DEP_1)
	v_clz_i32_u32_e32 v28, v10
	v_min_u32_e32 v28, 32, v28
	s_delay_alu instid0(VALU_DEP_1) | instskip(NEXT) | instid1(VALU_DEP_1)
	v_subrev_nc_u32_e32 v29, 28, v28
	v_lshlrev_b64_e32 v[30:31], v29, v[10:11]
	s_delay_alu instid0(VALU_DEP_1)
	v_dual_sub_nc_u32 v28, 29, v28 :: v_dual_bitop2_b32 v10, 7, v30 bitop3:0x40
; %bb.241:                              ;   in Loop: Header=BB191_168 Depth=1
	s_or_b32 exec_lo, exec_lo, s16
	s_delay_alu instid0(VALU_DEP_1) | instskip(NEXT) | instid1(VALU_DEP_2)
	v_dual_lshlrev_b32 v29, 24, v44 :: v_dual_lshlrev_b32 v10, 20, v10
	v_lshl_add_u32 v28, v28, 23, 0x3c000000
	s_delay_alu instid0(VALU_DEP_2) | instskip(NEXT) | instid1(VALU_DEP_1)
	v_and_b32_e32 v29, 0x80000000, v29
	v_or3_b32 v10, v10, v29, v28
	s_delay_alu instid0(VALU_DEP_1)
	v_mov_b64_e32 v[28:29], v[10:11]
.LBB191_242:                            ;   in Loop: Header=BB191_168 Depth=1
	s_or_b32 exec_lo, exec_lo, s15
.LBB191_243:                            ;   in Loop: Header=BB191_168 Depth=1
	s_delay_alu instid0(SALU_CYCLE_1)
	s_or_b32 exec_lo, exec_lo, s14
.LBB191_244:                            ;   in Loop: Header=BB191_168 Depth=1
	s_delay_alu instid0(SALU_CYCLE_1) | instskip(SKIP_2) | instid1(VALU_DEP_1)
	s_or_b32 exec_lo, exec_lo, s11
	v_lshrrev_b16 v10, 8, v44
	s_mov_b32 s11, exec_lo
	v_cmpx_ne_u16_e32 0, v10
	s_cbranch_execz .LBB191_252
; %bb.245:                              ;   in Loop: Header=BB191_168 Depth=1
	v_mov_b64_e32 v[26:27], 0x8000000000000000
	s_mov_b32 s14, exec_lo
	v_cmpx_ne_u16_e32 0x80, v10
	s_cbranch_execz .LBB191_251
; %bb.246:                              ;   in Loop: Header=BB191_168 Depth=1
	v_and_b32_e32 v10, 0xffff, v10
	v_mov_b64_e32 v[26:27], 0x7f80000100000000
	s_mov_b32 s15, exec_lo
	s_delay_alu instid0(VALU_DEP_2) | instskip(NEXT) | instid1(VALU_DEP_1)
	v_and_b32_e32 v30, 0x7f, v10
	v_cmpx_ne_u32_e32 0x7f, v30
	s_cbranch_execz .LBB191_250
; %bb.247:                              ;   in Loop: Header=BB191_168 Depth=1
	v_and_b32_e32 v10, 7, v10
	v_lshrrev_b32_e32 v26, 3, v30
	s_mov_b32 s16, exec_lo
	v_cmpx_gt_u32_e32 8, v30
; %bb.248:                              ;   in Loop: Header=BB191_168 Depth=1
	s_delay_alu instid0(VALU_DEP_3) | instskip(NEXT) | instid1(VALU_DEP_1)
	v_clz_i32_u32_e32 v26, v10
	v_min_u32_e32 v26, 32, v26
	s_delay_alu instid0(VALU_DEP_1) | instskip(SKIP_1) | instid1(VALU_DEP_2)
	v_subrev_nc_u32_e32 v27, 28, v26
	v_sub_nc_u32_e32 v26, 29, v26
	v_lshlrev_b64_e32 v[30:31], v27, v[10:11]
	s_delay_alu instid0(VALU_DEP_1)
	v_and_b32_e32 v10, 7, v30
; %bb.249:                              ;   in Loop: Header=BB191_168 Depth=1
	s_or_b32 exec_lo, exec_lo, s16
	s_delay_alu instid0(VALU_DEP_1) | instskip(SKIP_1) | instid1(VALU_DEP_2)
	v_dual_lshlrev_b32 v27, 16, v44 :: v_dual_lshlrev_b32 v10, 20, v10
	v_lshl_add_u32 v26, v26, 23, 0x3c000000
	v_and_b32_e32 v27, 0x80000000, v27
	s_delay_alu instid0(VALU_DEP_1)
	v_or3_b32 v27, v10, v27, v26
	v_mov_b32_e32 v26, v11
.LBB191_250:                            ;   in Loop: Header=BB191_168 Depth=1
	s_or_b32 exec_lo, exec_lo, s15
.LBB191_251:                            ;   in Loop: Header=BB191_168 Depth=1
	s_delay_alu instid0(SALU_CYCLE_1)
	s_or_b32 exec_lo, exec_lo, s14
.LBB191_252:                            ;   in Loop: Header=BB191_168 Depth=1
	s_delay_alu instid0(SALU_CYCLE_1) | instskip(SKIP_4) | instid1(VALU_DEP_3)
	s_or_b32 exec_lo, exec_lo, s11
	v_lshrrev_b32_e32 v45, 16, v44
	v_mov_b64_e32 v[30:31], 0
	v_mov_b64_e32 v[32:33], 0
	s_mov_b32 s11, exec_lo
	v_and_b32_e32 v10, 0xff, v45
	s_delay_alu instid0(VALU_DEP_1)
	v_cmpx_ne_u16_e32 0, v10
	s_cbranch_execz .LBB191_260
; %bb.253:                              ;   in Loop: Header=BB191_168 Depth=1
	v_mov_b64_e32 v[32:33], 0x80000000
	s_mov_b32 s14, exec_lo
	v_cmpx_ne_u16_e32 0x80, v10
	s_cbranch_execz .LBB191_259
; %bb.254:                              ;   in Loop: Header=BB191_168 Depth=1
	v_mov_b64_e32 v[32:33], 0x7f800001
	v_bfe_u32 v46, v44, 16, 7
	s_mov_b32 s15, exec_lo
	s_delay_alu instid0(VALU_DEP_1)
	v_cmpx_ne_u32_e32 0x7f, v46
	s_cbranch_execz .LBB191_258
; %bb.255:                              ;   in Loop: Header=BB191_168 Depth=1
	v_dual_lshrrev_b32 v32, 3, v46 :: v_dual_bitop2_b32 v10, 7, v45 bitop3:0x40
	s_mov_b32 s16, exec_lo
	v_cmpx_gt_u32_e32 8, v46
; %bb.256:                              ;   in Loop: Header=BB191_168 Depth=1
	s_delay_alu instid0(VALU_DEP_2) | instskip(NEXT) | instid1(VALU_DEP_1)
	v_clz_i32_u32_e32 v32, v10
	v_min_u32_e32 v32, 32, v32
	s_delay_alu instid0(VALU_DEP_1) | instskip(NEXT) | instid1(VALU_DEP_1)
	v_subrev_nc_u32_e32 v33, 28, v32
	v_lshlrev_b64_e32 v[46:47], v33, v[10:11]
	s_delay_alu instid0(VALU_DEP_1)
	v_dual_sub_nc_u32 v32, 29, v32 :: v_dual_bitop2_b32 v10, 7, v46 bitop3:0x40
; %bb.257:                              ;   in Loop: Header=BB191_168 Depth=1
	s_or_b32 exec_lo, exec_lo, s16
	s_delay_alu instid0(VALU_DEP_1) | instskip(NEXT) | instid1(VALU_DEP_2)
	v_dual_lshlrev_b32 v33, 24, v45 :: v_dual_lshlrev_b32 v10, 20, v10
	v_lshl_add_u32 v32, v32, 23, 0x3c000000
	s_delay_alu instid0(VALU_DEP_2) | instskip(NEXT) | instid1(VALU_DEP_1)
	v_and_b32_e32 v33, 0x80000000, v33
	v_or3_b32 v10, v10, v33, v32
	s_delay_alu instid0(VALU_DEP_1)
	v_mov_b64_e32 v[32:33], v[10:11]
.LBB191_258:                            ;   in Loop: Header=BB191_168 Depth=1
	s_or_b32 exec_lo, exec_lo, s15
.LBB191_259:                            ;   in Loop: Header=BB191_168 Depth=1
	s_delay_alu instid0(SALU_CYCLE_1)
	s_or_b32 exec_lo, exec_lo, s14
.LBB191_260:                            ;   in Loop: Header=BB191_168 Depth=1
	s_delay_alu instid0(SALU_CYCLE_1) | instskip(NEXT) | instid1(SALU_CYCLE_1)
	s_or_b32 exec_lo, exec_lo, s11
	s_mov_b32 s11, exec_lo
	v_cmpx_lt_u32_e32 0xffffff, v44
	s_cbranch_execz .LBB191_268
; %bb.261:                              ;   in Loop: Header=BB191_168 Depth=1
	v_mov_b64_e32 v[30:31], 0x8000000000000000
	v_lshrrev_b32_e32 v45, 24, v44
	s_mov_b32 s14, exec_lo
	s_delay_alu instid0(VALU_DEP_1)
	v_cmpx_ne_u32_e32 0x80, v45
	s_cbranch_execz .LBB191_267
; %bb.262:                              ;   in Loop: Header=BB191_168 Depth=1
	v_mov_b64_e32 v[30:31], 0x7f80000100000000
	v_bfe_u32 v44, v44, 24, 7
	s_mov_b32 s15, exec_lo
	s_delay_alu instid0(VALU_DEP_1)
	v_cmpx_ne_u32_e32 0x7f, v44
	s_cbranch_execz .LBB191_266
; %bb.263:                              ;   in Loop: Header=BB191_168 Depth=1
	v_dual_lshrrev_b32 v30, 3, v44 :: v_dual_bitop2_b32 v10, 7, v45 bitop3:0x40
	s_mov_b32 s16, exec_lo
	v_cmpx_gt_u32_e32 8, v44
; %bb.264:                              ;   in Loop: Header=BB191_168 Depth=1
	s_delay_alu instid0(VALU_DEP_2) | instskip(NEXT) | instid1(VALU_DEP_1)
	v_clz_i32_u32_e32 v30, v10
	v_min_u32_e32 v30, 32, v30
	s_delay_alu instid0(VALU_DEP_1) | instskip(SKIP_1) | instid1(VALU_DEP_2)
	v_subrev_nc_u32_e32 v31, 28, v30
	v_sub_nc_u32_e32 v30, 29, v30
	v_lshlrev_b64_e32 v[46:47], v31, v[10:11]
	s_delay_alu instid0(VALU_DEP_1)
	v_and_b32_e32 v10, 7, v46
; %bb.265:                              ;   in Loop: Header=BB191_168 Depth=1
	s_or_b32 exec_lo, exec_lo, s16
	s_delay_alu instid0(VALU_DEP_1) | instskip(SKIP_1) | instid1(VALU_DEP_2)
	v_dual_lshlrev_b32 v31, 24, v45 :: v_dual_lshlrev_b32 v10, 20, v10
	v_lshl_add_u32 v30, v30, 23, 0x3c000000
	v_and_b32_e32 v31, 0x80000000, v31
	s_delay_alu instid0(VALU_DEP_1)
	v_or3_b32 v31, v10, v31, v30
	v_mov_b32_e32 v30, v11
.LBB191_266:                            ;   in Loop: Header=BB191_168 Depth=1
	s_or_b32 exec_lo, exec_lo, s15
.LBB191_267:                            ;   in Loop: Header=BB191_168 Depth=1
	s_delay_alu instid0(SALU_CYCLE_1)
	s_or_b32 exec_lo, exec_lo, s14
.LBB191_268:                            ;   in Loop: Header=BB191_168 Depth=1
	s_delay_alu instid0(SALU_CYCLE_1)
	s_or_b32 exec_lo, exec_lo, s11
	v_mov_b64_e32 v[44:45], s[2:3]
	v_or_b32_e32 v27, v27, v29
	v_or_b32_e32 v26, v26, v28
	v_or_b32_e32 v31, v31, v33
	v_or_b32_e32 v30, v30, v32
	s_delay_alu instid0(VALU_DEP_3) | instskip(NEXT) | instid1(VALU_DEP_2)
	v_pk_mul_f32 v[28:29], v[44:45], v[26:27]
	v_pk_mul_f32 v[26:27], v[44:45], v[30:31]
	s_and_saveexec_b32 s11, vcc_lo
	s_cbranch_execz .LBB191_270
; %bb.269:                              ;   in Loop: Header=BB191_168 Depth=1
	v_cmp_gt_i32_e64 s0, s25, v40
	s_delay_alu instid0(VALU_DEP_1) | instskip(SKIP_1) | instid1(VALU_DEP_1)
	v_cndmask_b32_e64 v28, 0, v28, s0
	v_cmp_gt_i32_e64 s0, s25, v43
	v_cndmask_b32_e64 v29, 0, v29, s0
	v_cmp_gt_i32_e64 s0, s25, v35
	s_delay_alu instid0(VALU_DEP_1) | instskip(SKIP_1) | instid1(VALU_DEP_1)
	v_cndmask_b32_e64 v26, 0, v26, s0
	v_cmp_gt_i32_e64 s0, s25, v34
	v_cndmask_b32_e64 v27, 0, v27, s0
.LBB191_270:                            ;   in Loop: Header=BB191_168 Depth=1
	s_or_b32 exec_lo, exec_lo, s11
	global_load_b32 v44, v[20:21], off offset:384
	s_wait_xcnt 0x0
	v_mov_b64_e32 v[20:21], 0
	v_mov_b64_e32 v[30:31], 0
	s_mov_b32 s11, exec_lo
	s_wait_loadcnt 0x0
	v_and_b32_e32 v10, 0xff, v44
	s_delay_alu instid0(VALU_DEP_1)
	v_cmpx_ne_u16_e32 0, v10
	s_cbranch_execz .LBB191_278
; %bb.271:                              ;   in Loop: Header=BB191_168 Depth=1
	v_mov_b64_e32 v[30:31], 0x80000000
	s_mov_b32 s14, exec_lo
	v_cmpx_ne_u16_e32 0x80, v10
	s_cbranch_execz .LBB191_277
; %bb.272:                              ;   in Loop: Header=BB191_168 Depth=1
	v_mov_b64_e32 v[30:31], 0x7f800001
	v_and_b32_e32 v32, 0x7f, v44
	s_mov_b32 s15, exec_lo
	s_delay_alu instid0(VALU_DEP_1)
	v_cmpx_ne_u32_e32 0x7f, v32
	s_cbranch_execz .LBB191_276
; %bb.273:                              ;   in Loop: Header=BB191_168 Depth=1
	v_and_b32_e32 v10, 7, v44
	v_lshrrev_b32_e32 v30, 3, v32
	s_mov_b32 s16, exec_lo
	v_cmpx_gt_u32_e32 8, v32
; %bb.274:                              ;   in Loop: Header=BB191_168 Depth=1
	s_delay_alu instid0(VALU_DEP_3) | instskip(NEXT) | instid1(VALU_DEP_1)
	v_clz_i32_u32_e32 v30, v10
	v_min_u32_e32 v30, 32, v30
	s_delay_alu instid0(VALU_DEP_1) | instskip(NEXT) | instid1(VALU_DEP_1)
	v_subrev_nc_u32_e32 v31, 28, v30
	v_lshlrev_b64_e32 v[32:33], v31, v[10:11]
	s_delay_alu instid0(VALU_DEP_1)
	v_dual_sub_nc_u32 v30, 29, v30 :: v_dual_bitop2_b32 v10, 7, v32 bitop3:0x40
; %bb.275:                              ;   in Loop: Header=BB191_168 Depth=1
	s_or_b32 exec_lo, exec_lo, s16
	s_delay_alu instid0(VALU_DEP_1) | instskip(NEXT) | instid1(VALU_DEP_2)
	v_dual_lshlrev_b32 v31, 24, v44 :: v_dual_lshlrev_b32 v10, 20, v10
	v_lshl_add_u32 v30, v30, 23, 0x3c000000
	s_delay_alu instid0(VALU_DEP_2) | instskip(NEXT) | instid1(VALU_DEP_1)
	v_and_b32_e32 v31, 0x80000000, v31
	v_or3_b32 v10, v10, v31, v30
	s_delay_alu instid0(VALU_DEP_1)
	v_mov_b64_e32 v[30:31], v[10:11]
.LBB191_276:                            ;   in Loop: Header=BB191_168 Depth=1
	s_or_b32 exec_lo, exec_lo, s15
.LBB191_277:                            ;   in Loop: Header=BB191_168 Depth=1
	s_delay_alu instid0(SALU_CYCLE_1)
	s_or_b32 exec_lo, exec_lo, s14
.LBB191_278:                            ;   in Loop: Header=BB191_168 Depth=1
	s_delay_alu instid0(SALU_CYCLE_1) | instskip(SKIP_2) | instid1(VALU_DEP_1)
	s_or_b32 exec_lo, exec_lo, s11
	v_lshrrev_b16 v10, 8, v44
	s_mov_b32 s11, exec_lo
	v_cmpx_ne_u16_e32 0, v10
	s_cbranch_execz .LBB191_286
; %bb.279:                              ;   in Loop: Header=BB191_168 Depth=1
	v_mov_b64_e32 v[20:21], 0x8000000000000000
	s_mov_b32 s14, exec_lo
	v_cmpx_ne_u16_e32 0x80, v10
	s_cbranch_execz .LBB191_285
; %bb.280:                              ;   in Loop: Header=BB191_168 Depth=1
	v_and_b32_e32 v10, 0xffff, v10
	v_mov_b64_e32 v[20:21], 0x7f80000100000000
	s_mov_b32 s15, exec_lo
	s_delay_alu instid0(VALU_DEP_2) | instskip(NEXT) | instid1(VALU_DEP_1)
	v_and_b32_e32 v32, 0x7f, v10
	v_cmpx_ne_u32_e32 0x7f, v32
	s_cbranch_execz .LBB191_284
; %bb.281:                              ;   in Loop: Header=BB191_168 Depth=1
	v_dual_lshrrev_b32 v20, 3, v32 :: v_dual_bitop2_b32 v10, 7, v10 bitop3:0x40
	s_mov_b32 s16, exec_lo
	v_cmpx_gt_u32_e32 8, v32
; %bb.282:                              ;   in Loop: Header=BB191_168 Depth=1
	s_delay_alu instid0(VALU_DEP_2) | instskip(NEXT) | instid1(VALU_DEP_1)
	v_clz_i32_u32_e32 v20, v10
	v_min_u32_e32 v20, 32, v20
	s_delay_alu instid0(VALU_DEP_1) | instskip(SKIP_1) | instid1(VALU_DEP_2)
	v_subrev_nc_u32_e32 v21, 28, v20
	v_sub_nc_u32_e32 v20, 29, v20
	v_lshlrev_b64_e32 v[32:33], v21, v[10:11]
	s_delay_alu instid0(VALU_DEP_1)
	v_and_b32_e32 v10, 7, v32
; %bb.283:                              ;   in Loop: Header=BB191_168 Depth=1
	s_or_b32 exec_lo, exec_lo, s16
	s_delay_alu instid0(VALU_DEP_1) | instskip(SKIP_1) | instid1(VALU_DEP_2)
	v_dual_lshlrev_b32 v21, 16, v44 :: v_dual_lshlrev_b32 v10, 20, v10
	v_lshl_add_u32 v20, v20, 23, 0x3c000000
	v_and_b32_e32 v21, 0x80000000, v21
	s_delay_alu instid0(VALU_DEP_1)
	v_or3_b32 v21, v10, v21, v20
	v_mov_b32_e32 v20, v11
.LBB191_284:                            ;   in Loop: Header=BB191_168 Depth=1
	s_or_b32 exec_lo, exec_lo, s15
.LBB191_285:                            ;   in Loop: Header=BB191_168 Depth=1
	s_delay_alu instid0(SALU_CYCLE_1)
	s_or_b32 exec_lo, exec_lo, s14
.LBB191_286:                            ;   in Loop: Header=BB191_168 Depth=1
	s_delay_alu instid0(SALU_CYCLE_1) | instskip(SKIP_4) | instid1(VALU_DEP_3)
	s_or_b32 exec_lo, exec_lo, s11
	v_lshrrev_b32_e32 v45, 16, v44
	v_mov_b64_e32 v[32:33], 0
	v_mov_b64_e32 v[34:35], 0
	s_mov_b32 s11, exec_lo
	v_and_b32_e32 v10, 0xff, v45
	s_delay_alu instid0(VALU_DEP_1)
	v_cmpx_ne_u16_e32 0, v10
	s_cbranch_execz .LBB191_294
; %bb.287:                              ;   in Loop: Header=BB191_168 Depth=1
	v_mov_b64_e32 v[34:35], 0x80000000
	s_mov_b32 s14, exec_lo
	v_cmpx_ne_u16_e32 0x80, v10
	s_cbranch_execz .LBB191_293
; %bb.288:                              ;   in Loop: Header=BB191_168 Depth=1
	v_mov_b64_e32 v[34:35], 0x7f800001
	v_bfe_u32 v46, v44, 16, 7
	s_mov_b32 s15, exec_lo
	s_delay_alu instid0(VALU_DEP_1)
	v_cmpx_ne_u32_e32 0x7f, v46
	s_cbranch_execz .LBB191_292
; %bb.289:                              ;   in Loop: Header=BB191_168 Depth=1
	v_dual_lshrrev_b32 v34, 3, v46 :: v_dual_bitop2_b32 v10, 7, v45 bitop3:0x40
	s_mov_b32 s16, exec_lo
	v_cmpx_gt_u32_e32 8, v46
; %bb.290:                              ;   in Loop: Header=BB191_168 Depth=1
	s_delay_alu instid0(VALU_DEP_2) | instskip(NEXT) | instid1(VALU_DEP_1)
	v_clz_i32_u32_e32 v34, v10
	v_min_u32_e32 v34, 32, v34
	s_delay_alu instid0(VALU_DEP_1) | instskip(SKIP_1) | instid1(VALU_DEP_2)
	v_subrev_nc_u32_e32 v35, 28, v34
	v_sub_nc_u32_e32 v34, 29, v34
	v_lshlrev_b64_e32 v[46:47], v35, v[10:11]
	s_delay_alu instid0(VALU_DEP_1)
	v_and_b32_e32 v10, 7, v46
; %bb.291:                              ;   in Loop: Header=BB191_168 Depth=1
	s_or_b32 exec_lo, exec_lo, s16
	s_delay_alu instid0(VALU_DEP_1) | instskip(SKIP_1) | instid1(VALU_DEP_2)
	v_dual_lshlrev_b32 v35, 24, v45 :: v_dual_lshlrev_b32 v10, 20, v10
	v_lshl_add_u32 v34, v34, 23, 0x3c000000
	v_and_b32_e32 v35, 0x80000000, v35
	s_delay_alu instid0(VALU_DEP_1) | instskip(NEXT) | instid1(VALU_DEP_1)
	v_or3_b32 v10, v10, v35, v34
	v_mov_b64_e32 v[34:35], v[10:11]
.LBB191_292:                            ;   in Loop: Header=BB191_168 Depth=1
	s_or_b32 exec_lo, exec_lo, s15
.LBB191_293:                            ;   in Loop: Header=BB191_168 Depth=1
	s_delay_alu instid0(SALU_CYCLE_1)
	s_or_b32 exec_lo, exec_lo, s14
.LBB191_294:                            ;   in Loop: Header=BB191_168 Depth=1
	s_delay_alu instid0(SALU_CYCLE_1) | instskip(NEXT) | instid1(SALU_CYCLE_1)
	s_or_b32 exec_lo, exec_lo, s11
	s_mov_b32 s11, exec_lo
	v_cmpx_lt_u32_e32 0xffffff, v44
	s_cbranch_execz .LBB191_302
; %bb.295:                              ;   in Loop: Header=BB191_168 Depth=1
	v_mov_b64_e32 v[32:33], 0x8000000000000000
	v_lshrrev_b32_e32 v45, 24, v44
	s_mov_b32 s14, exec_lo
	s_delay_alu instid0(VALU_DEP_1)
	v_cmpx_ne_u32_e32 0x80, v45
	s_cbranch_execz .LBB191_301
; %bb.296:                              ;   in Loop: Header=BB191_168 Depth=1
	v_mov_b64_e32 v[32:33], 0x7f80000100000000
	v_bfe_u32 v44, v44, 24, 7
	s_mov_b32 s15, exec_lo
	s_delay_alu instid0(VALU_DEP_1)
	v_cmpx_ne_u32_e32 0x7f, v44
	s_cbranch_execz .LBB191_300
; %bb.297:                              ;   in Loop: Header=BB191_168 Depth=1
	v_dual_lshrrev_b32 v32, 3, v44 :: v_dual_bitop2_b32 v10, 7, v45 bitop3:0x40
	s_mov_b32 s16, exec_lo
	v_cmpx_gt_u32_e32 8, v44
; %bb.298:                              ;   in Loop: Header=BB191_168 Depth=1
	s_delay_alu instid0(VALU_DEP_2) | instskip(NEXT) | instid1(VALU_DEP_1)
	v_clz_i32_u32_e32 v32, v10
	v_min_u32_e32 v32, 32, v32
	s_delay_alu instid0(VALU_DEP_1) | instskip(NEXT) | instid1(VALU_DEP_1)
	v_subrev_nc_u32_e32 v33, 28, v32
	v_lshlrev_b64_e32 v[46:47], v33, v[10:11]
	s_delay_alu instid0(VALU_DEP_1)
	v_dual_sub_nc_u32 v32, 29, v32 :: v_dual_bitop2_b32 v10, 7, v46 bitop3:0x40
; %bb.299:                              ;   in Loop: Header=BB191_168 Depth=1
	s_or_b32 exec_lo, exec_lo, s16
	s_delay_alu instid0(VALU_DEP_1) | instskip(NEXT) | instid1(VALU_DEP_2)
	v_dual_lshlrev_b32 v33, 24, v45 :: v_dual_lshlrev_b32 v10, 20, v10
	v_lshl_add_u32 v32, v32, 23, 0x3c000000
	s_delay_alu instid0(VALU_DEP_2) | instskip(NEXT) | instid1(VALU_DEP_1)
	v_and_b32_e32 v33, 0x80000000, v33
	v_or3_b32 v33, v10, v33, v32
	v_mov_b32_e32 v32, v11
.LBB191_300:                            ;   in Loop: Header=BB191_168 Depth=1
	s_or_b32 exec_lo, exec_lo, s15
.LBB191_301:                            ;   in Loop: Header=BB191_168 Depth=1
	s_delay_alu instid0(SALU_CYCLE_1)
	s_or_b32 exec_lo, exec_lo, s14
.LBB191_302:                            ;   in Loop: Header=BB191_168 Depth=1
	s_delay_alu instid0(SALU_CYCLE_1)
	s_or_b32 exec_lo, exec_lo, s11
	v_or_b32_e32 v21, v21, v31
	v_or_b32_e32 v20, v20, v30
	v_mov_b64_e32 v[30:31], s[2:3]
	v_or_b32_e32 v33, v33, v35
	v_or_b32_e32 v32, v32, v34
	s_delay_alu instid0(VALU_DEP_3) | instskip(NEXT) | instid1(VALU_DEP_2)
	v_pk_mul_f32 v[20:21], v[30:31], v[20:21]
	v_pk_mul_f32 v[30:31], v[30:31], v[32:33]
	s_and_saveexec_b32 s0, vcc_lo
	s_cbranch_execz .LBB191_167
; %bb.303:                              ;   in Loop: Header=BB191_168 Depth=1
	v_cmp_gt_i32_e32 vcc_lo, s10, v43
	v_dual_cndmask_b32 v21, 0, v21, vcc_lo :: v_dual_bitop2_b32 v10, 3, v40 bitop3:0x54
	v_cmp_gt_i32_e32 vcc_lo, s25, v40
	v_cndmask_b32_e32 v20, 0, v20, vcc_lo
	s_delay_alu instid0(VALU_DEP_3) | instskip(SKIP_1) | instid1(VALU_DEP_1)
	v_cmp_gt_i32_e32 vcc_lo, s10, v10
	v_dual_cndmask_b32 v31, 0, v31, vcc_lo :: v_dual_bitop2_b32 v32, 2, v40 bitop3:0x54
	v_cmp_gt_i32_e32 vcc_lo, s25, v32
	v_cndmask_b32_e32 v30, 0, v30, vcc_lo
	s_branch .LBB191_167
.LBB191_304:
	s_or_b32 exec_lo, exec_lo, s9
.LBB191_305:
	s_delay_alu instid0(SALU_CYCLE_1)
	s_or_b32 exec_lo, exec_lo, s1
	ds_bpermute_b32 v2, v37, v8
	ds_bpermute_b32 v3, v37, v9
	ds_bpermute_b32 v4, v37, v6
	ds_bpermute_b32 v5, v37, v7
	s_mov_b32 s0, exec_lo
	s_wait_dscnt 0x0
	s_barrier_signal -1
	s_barrier_wait -1
	v_pk_add_f32 v[2:3], v[8:9], v[2:3]
	v_and_b32_e32 v9, 0x3c3, v0
	v_pk_add_f32 v[4:5], v[6:7], v[4:5]
	v_and_b32_e32 v8, 28, v36
	ds_bpermute_b32 v10, v38, v2
	ds_bpermute_b32 v11, v38, v3
	;; [unrolled: 1-line block ×4, first 2 shown]
	s_wait_dscnt 0x2
	v_pk_add_f32 v[2:3], v[2:3], v[10:11]
	v_cmpx_ne_u32_e32 64, v9
	s_xor_b32 s0, exec_lo, s0
; %bb.306:
                                        ; implicit-def: $vgpr1
; %bb.307:
	s_delay_alu instid0(SALU_CYCLE_1)
	s_or_saveexec_b32 s0, s0
	s_wait_dscnt 0x0
	v_pk_add_f32 v[4:5], v[4:5], v[6:7]
	v_lshrrev_b32_e32 v7, 2, v36
	v_add_nc_u32_e32 v6, 0xa0, v8
	s_xor_b32 exec_lo, exec_lo, s0
	s_cbranch_execz .LBB191_309
; %bb.308:
	s_delay_alu instid0(VALU_DEP_1) | instskip(NEXT) | instid1(VALU_DEP_1)
	v_lshl_add_u32 v1, v1, 7, v6
	v_add_nc_u32_e32 v8, 0xffffff00, v1
	v_add_nc_u32_e32 v9, 0xffffff20, v1
	v_add_nc_u32_e32 v10, 0xffffff40, v1
	v_add_nc_u32_e32 v1, 0xffffff60, v1
	ds_store_b32 v8, v2
	ds_store_b32 v9, v3
	;; [unrolled: 1-line block ×4, first 2 shown]
.LBB191_309:
	s_or_b32 exec_lo, exec_lo, s0
	v_and_b32_e32 v1, 0x3e0, v0
	v_lshlrev_b32_e32 v7, 2, v7
	s_mov_b32 s1, exec_lo
	v_cmp_eq_u32_e32 vcc_lo, 0, v39
	s_wait_dscnt 0x0
	v_lshlrev_b32_e32 v1, 2, v1
	s_barrier_signal -1
	s_barrier_wait -1
	s_delay_alu instid0(VALU_DEP_1)
	v_add3_u32 v1, 0xa0, v1, v7
	v_cmpx_gt_u32_e32 64, v0
	s_cbranch_execz .LBB191_316
; %bb.310:
	s_and_saveexec_b32 s0, vcc_lo
	s_cbranch_execnz .LBB191_328
; %bb.311:
	s_or_b32 exec_lo, exec_lo, s0
	s_and_saveexec_b32 s0, vcc_lo
	s_cbranch_execnz .LBB191_329
.LBB191_312:
	s_or_b32 exec_lo, exec_lo, s0
	s_and_saveexec_b32 s0, vcc_lo
	s_cbranch_execnz .LBB191_330
.LBB191_313:
	s_or_b32 exec_lo, exec_lo, s0
	s_and_saveexec_b32 s0, vcc_lo
	s_cbranch_execz .LBB191_315
.LBB191_314:
	ds_load_b32 v7, v1 offset:96
	s_wait_dscnt 0x0
	v_add_f32_e32 v5, v5, v7
.LBB191_315:
	s_or_b32 exec_lo, exec_lo, s0
.LBB191_316:
	s_delay_alu instid0(SALU_CYCLE_1) | instskip(SKIP_4) | instid1(VALU_DEP_1)
	s_or_b32 exec_lo, exec_lo, s1
	v_and_b32_e32 v7, 0x3e3, v0
	s_mov_b32 s1, exec_lo
	s_barrier_signal -1
	s_barrier_wait -1
	v_cmpx_eq_u32_e32 32, v7
	s_cbranch_execz .LBB191_318
; %bb.317:
	ds_store_2addr_b32 v6, v2, v3 offset1:8
	ds_store_2addr_b32 v6, v4, v5 offset0:16 offset1:24
.LBB191_318:
	s_or_b32 exec_lo, exec_lo, s1
	s_delay_alu instid0(SALU_CYCLE_1)
	s_mov_b32 s1, exec_lo
	s_wait_dscnt 0x0
	s_barrier_signal -1
	s_barrier_wait -1
	v_cmpx_gt_u32_e32 32, v0
	s_cbranch_execz .LBB191_325
; %bb.319:
	s_and_saveexec_b32 s0, vcc_lo
	s_cbranch_execnz .LBB191_331
; %bb.320:
	s_or_b32 exec_lo, exec_lo, s0
	s_and_saveexec_b32 s0, vcc_lo
	s_cbranch_execnz .LBB191_332
.LBB191_321:
	s_or_b32 exec_lo, exec_lo, s0
	s_and_saveexec_b32 s0, vcc_lo
	s_cbranch_execnz .LBB191_333
.LBB191_322:
	s_or_b32 exec_lo, exec_lo, s0
	s_and_saveexec_b32 s0, vcc_lo
	s_cbranch_execz .LBB191_324
.LBB191_323:
	ds_load_b32 v1, v1 offset:96
	s_wait_dscnt 0x0
	v_add_f32_e32 v5, v5, v1
.LBB191_324:
	s_or_b32 exec_lo, exec_lo, s0
.LBB191_325:
	s_delay_alu instid0(SALU_CYCLE_1)
	s_or_b32 exec_lo, exec_lo, s1
	s_mov_b32 s1, 0
	s_barrier_signal -1
	s_barrier_wait -1
	s_mov_b32 s0, exec_lo
	v_cmpx_eq_u32_e32 0, v7
	s_cbranch_execz .LBB191_327
; %bb.326:
	s_mul_i32 s0, s24, s8
	s_mul_i32 s2, s8, s12
	;; [unrolled: 1-line block ×3, first 2 shown]
	s_lshr_b32 s8, ttmp7, 16
	s_lshl_b32 s6, s0, 5
	s_bfe_u32 s0, ttmp6, 0x40014
	s_ashr_i32 s7, s6, 31
	s_add_co_i32 s0, s0, 1
	s_ashr_i32 s3, s2, 31
	s_mul_i32 s0, s8, s0
	s_bfe_u32 s9, ttmp6, 0x40008
	s_lshl_b64 s[6:7], s[6:7], 2
	s_lshl_b64 s[2:3], s[2:3], 2
	s_add_co_i32 s9, s9, s0
	s_cmp_eq_u32 s22, 0
	s_wait_kmcnt 0x0
	s_add_nc_u64 s[4:5], s[4:5], s[6:7]
	s_cselect_b32 s0, s8, s9
	s_add_nc_u64 s[2:3], s[4:5], s[2:3]
	s_lshl_b32 s0, s0, 7
	s_delay_alu instid0(SALU_CYCLE_1)
	s_add_nc_u64 s[0:1], s[2:3], s[0:1]
	s_clause 0x3
	global_store_b32 v0, v2, s[0:1]
	global_store_b32 v0, v3, s[0:1] offset:32
	global_store_b32 v0, v4, s[0:1] offset:64
	;; [unrolled: 1-line block ×3, first 2 shown]
.LBB191_327:
	s_sendmsg sendmsg(MSG_DEALLOC_VGPRS)
	s_endpgm
.LBB191_328:
	ds_load_b32 v7, v1
	s_wait_dscnt 0x0
	v_add_f32_e32 v2, v2, v7
	s_or_b32 exec_lo, exec_lo, s0
	s_and_saveexec_b32 s0, vcc_lo
	s_cbranch_execz .LBB191_312
.LBB191_329:
	ds_load_b32 v7, v1 offset:32
	s_wait_dscnt 0x0
	v_add_f32_e32 v3, v3, v7
	s_or_b32 exec_lo, exec_lo, s0
	s_and_saveexec_b32 s0, vcc_lo
	s_cbranch_execz .LBB191_313
.LBB191_330:
	ds_load_b32 v7, v1 offset:64
	s_wait_dscnt 0x0
	v_add_f32_e32 v4, v4, v7
	s_or_b32 exec_lo, exec_lo, s0
	s_and_saveexec_b32 s0, vcc_lo
	s_cbranch_execnz .LBB191_314
	s_branch .LBB191_315
.LBB191_331:
	ds_load_b32 v6, v1
	s_wait_dscnt 0x0
	v_add_f32_e32 v2, v2, v6
	s_or_b32 exec_lo, exec_lo, s0
	s_and_saveexec_b32 s0, vcc_lo
	s_cbranch_execz .LBB191_321
.LBB191_332:
	ds_load_b32 v6, v1 offset:32
	s_wait_dscnt 0x0
	v_add_f32_e32 v3, v3, v6
	s_or_b32 exec_lo, exec_lo, s0
	s_and_saveexec_b32 s0, vcc_lo
	s_cbranch_execz .LBB191_322
.LBB191_333:
	ds_load_b32 v6, v1 offset:64
	s_wait_dscnt 0x0
	v_add_f32_e32 v4, v4, v6
	s_or_b32 exec_lo, exec_lo, s0
	s_and_saveexec_b32 s0, vcc_lo
	s_cbranch_execnz .LBB191_323
	s_branch .LBB191_324
	.section	.rodata,"a",@progbits
	.p2align	6, 0x0
	.amdhsa_kernel _ZN4vllm25paged_attention_v1_kernelIfhLi32ELi16ELi128ELNS_18Fp8KVCacheDataTypeE1ELb0EEEvPT_PKS2_PKT0_S8_ifPKiSA_iPKfiiiSC_SC_iiiii
		.amdhsa_group_segment_fixed_size 160
		.amdhsa_private_segment_fixed_size 0
		.amdhsa_kernarg_size 384
		.amdhsa_user_sgpr_count 2
		.amdhsa_user_sgpr_dispatch_ptr 0
		.amdhsa_user_sgpr_queue_ptr 0
		.amdhsa_user_sgpr_kernarg_segment_ptr 1
		.amdhsa_user_sgpr_dispatch_id 0
		.amdhsa_user_sgpr_kernarg_preload_length 0
		.amdhsa_user_sgpr_kernarg_preload_offset 0
		.amdhsa_user_sgpr_private_segment_size 0
		.amdhsa_wavefront_size32 1
		.amdhsa_uses_dynamic_stack 0
		.amdhsa_enable_private_segment 0
		.amdhsa_system_sgpr_workgroup_id_x 1
		.amdhsa_system_sgpr_workgroup_id_y 1
		.amdhsa_system_sgpr_workgroup_id_z 1
		.amdhsa_system_sgpr_workgroup_info 0
		.amdhsa_system_vgpr_workitem_id 0
		.amdhsa_next_free_vgpr 68
		.amdhsa_next_free_sgpr 32
		.amdhsa_named_barrier_count 0
		.amdhsa_reserve_vcc 1
		.amdhsa_float_round_mode_32 0
		.amdhsa_float_round_mode_16_64 0
		.amdhsa_float_denorm_mode_32 3
		.amdhsa_float_denorm_mode_16_64 3
		.amdhsa_fp16_overflow 0
		.amdhsa_memory_ordered 1
		.amdhsa_forward_progress 1
		.amdhsa_inst_pref_size 97
		.amdhsa_round_robin_scheduling 0
		.amdhsa_exception_fp_ieee_invalid_op 0
		.amdhsa_exception_fp_denorm_src 0
		.amdhsa_exception_fp_ieee_div_zero 0
		.amdhsa_exception_fp_ieee_overflow 0
		.amdhsa_exception_fp_ieee_underflow 0
		.amdhsa_exception_fp_ieee_inexact 0
		.amdhsa_exception_int_div_zero 0
	.end_amdhsa_kernel
	.section	.text._ZN4vllm25paged_attention_v1_kernelIfhLi32ELi16ELi128ELNS_18Fp8KVCacheDataTypeE1ELb0EEEvPT_PKS2_PKT0_S8_ifPKiSA_iPKfiiiSC_SC_iiiii,"axG",@progbits,_ZN4vllm25paged_attention_v1_kernelIfhLi32ELi16ELi128ELNS_18Fp8KVCacheDataTypeE1ELb0EEEvPT_PKS2_PKT0_S8_ifPKiSA_iPKfiiiSC_SC_iiiii,comdat
.Lfunc_end191:
	.size	_ZN4vllm25paged_attention_v1_kernelIfhLi32ELi16ELi128ELNS_18Fp8KVCacheDataTypeE1ELb0EEEvPT_PKS2_PKT0_S8_ifPKiSA_iPKfiiiSC_SC_iiiii, .Lfunc_end191-_ZN4vllm25paged_attention_v1_kernelIfhLi32ELi16ELi128ELNS_18Fp8KVCacheDataTypeE1ELb0EEEvPT_PKS2_PKT0_S8_ifPKiSA_iPKfiiiSC_SC_iiiii
                                        ; -- End function
	.set _ZN4vllm25paged_attention_v1_kernelIfhLi32ELi16ELi128ELNS_18Fp8KVCacheDataTypeE1ELb0EEEvPT_PKS2_PKT0_S8_ifPKiSA_iPKfiiiSC_SC_iiiii.num_vgpr, 68
	.set _ZN4vllm25paged_attention_v1_kernelIfhLi32ELi16ELi128ELNS_18Fp8KVCacheDataTypeE1ELb0EEEvPT_PKS2_PKT0_S8_ifPKiSA_iPKfiiiSC_SC_iiiii.num_agpr, 0
	.set _ZN4vllm25paged_attention_v1_kernelIfhLi32ELi16ELi128ELNS_18Fp8KVCacheDataTypeE1ELb0EEEvPT_PKS2_PKT0_S8_ifPKiSA_iPKfiiiSC_SC_iiiii.numbered_sgpr, 32
	.set _ZN4vllm25paged_attention_v1_kernelIfhLi32ELi16ELi128ELNS_18Fp8KVCacheDataTypeE1ELb0EEEvPT_PKS2_PKT0_S8_ifPKiSA_iPKfiiiSC_SC_iiiii.num_named_barrier, 0
	.set _ZN4vllm25paged_attention_v1_kernelIfhLi32ELi16ELi128ELNS_18Fp8KVCacheDataTypeE1ELb0EEEvPT_PKS2_PKT0_S8_ifPKiSA_iPKfiiiSC_SC_iiiii.private_seg_size, 0
	.set _ZN4vllm25paged_attention_v1_kernelIfhLi32ELi16ELi128ELNS_18Fp8KVCacheDataTypeE1ELb0EEEvPT_PKS2_PKT0_S8_ifPKiSA_iPKfiiiSC_SC_iiiii.uses_vcc, 1
	.set _ZN4vllm25paged_attention_v1_kernelIfhLi32ELi16ELi128ELNS_18Fp8KVCacheDataTypeE1ELb0EEEvPT_PKS2_PKT0_S8_ifPKiSA_iPKfiiiSC_SC_iiiii.uses_flat_scratch, 0
	.set _ZN4vllm25paged_attention_v1_kernelIfhLi32ELi16ELi128ELNS_18Fp8KVCacheDataTypeE1ELb0EEEvPT_PKS2_PKT0_S8_ifPKiSA_iPKfiiiSC_SC_iiiii.has_dyn_sized_stack, 0
	.set _ZN4vllm25paged_attention_v1_kernelIfhLi32ELi16ELi128ELNS_18Fp8KVCacheDataTypeE1ELb0EEEvPT_PKS2_PKT0_S8_ifPKiSA_iPKfiiiSC_SC_iiiii.has_recursion, 0
	.set _ZN4vllm25paged_attention_v1_kernelIfhLi32ELi16ELi128ELNS_18Fp8KVCacheDataTypeE1ELb0EEEvPT_PKS2_PKT0_S8_ifPKiSA_iPKfiiiSC_SC_iiiii.has_indirect_call, 0
	.section	.AMDGPU.csdata,"",@progbits
; Kernel info:
; codeLenInByte = 12364
; TotalNumSgprs: 34
; NumVgprs: 68
; ScratchSize: 0
; MemoryBound: 0
; FloatMode: 240
; IeeeMode: 1
; LDSByteSize: 160 bytes/workgroup (compile time only)
; SGPRBlocks: 0
; VGPRBlocks: 4
; NumSGPRsForWavesPerEU: 34
; NumVGPRsForWavesPerEU: 68
; NamedBarCnt: 0
; Occupancy: 12
; WaveLimiterHint : 1
; COMPUTE_PGM_RSRC2:SCRATCH_EN: 0
; COMPUTE_PGM_RSRC2:USER_SGPR: 2
; COMPUTE_PGM_RSRC2:TRAP_HANDLER: 0
; COMPUTE_PGM_RSRC2:TGID_X_EN: 1
; COMPUTE_PGM_RSRC2:TGID_Y_EN: 1
; COMPUTE_PGM_RSRC2:TGID_Z_EN: 1
; COMPUTE_PGM_RSRC2:TIDIG_COMP_CNT: 0
	.section	.text._ZN4vllm25paged_attention_v1_kernelIfhLi64ELi16ELi128ELNS_18Fp8KVCacheDataTypeE1ELb0EEEvPT_PKS2_PKT0_S8_ifPKiSA_iPKfiiiSC_SC_iiiii,"axG",@progbits,_ZN4vllm25paged_attention_v1_kernelIfhLi64ELi16ELi128ELNS_18Fp8KVCacheDataTypeE1ELb0EEEvPT_PKS2_PKT0_S8_ifPKiSA_iPKfiiiSC_SC_iiiii,comdat
	.protected	_ZN4vllm25paged_attention_v1_kernelIfhLi64ELi16ELi128ELNS_18Fp8KVCacheDataTypeE1ELb0EEEvPT_PKS2_PKT0_S8_ifPKiSA_iPKfiiiSC_SC_iiiii ; -- Begin function _ZN4vllm25paged_attention_v1_kernelIfhLi64ELi16ELi128ELNS_18Fp8KVCacheDataTypeE1ELb0EEEvPT_PKS2_PKT0_S8_ifPKiSA_iPKfiiiSC_SC_iiiii
	.globl	_ZN4vllm25paged_attention_v1_kernelIfhLi64ELi16ELi128ELNS_18Fp8KVCacheDataTypeE1ELb0EEEvPT_PKS2_PKT0_S8_ifPKiSA_iPKfiiiSC_SC_iiiii
	.p2align	8
	.type	_ZN4vllm25paged_attention_v1_kernelIfhLi64ELi16ELi128ELNS_18Fp8KVCacheDataTypeE1ELb0EEEvPT_PKS2_PKT0_S8_ifPKiSA_iPKfiiiSC_SC_iiiii,@function
_ZN4vllm25paged_attention_v1_kernelIfhLi64ELi16ELi128ELNS_18Fp8KVCacheDataTypeE1ELb0EEEvPT_PKS2_PKT0_S8_ifPKiSA_iPKfiiiSC_SC_iiiii: ; @_ZN4vllm25paged_attention_v1_kernelIfhLi64ELi16ELi128ELNS_18Fp8KVCacheDataTypeE1ELb0EEEvPT_PKS2_PKT0_S8_ifPKiSA_iPKfiiiSC_SC_iiiii
; %bb.0:
	s_load_b64 s[10:11], s[0:1], 0x20
	s_bfe_u32 s3, ttmp6, 0x4000c
	s_bfe_u32 s5, ttmp6, 0x40010
	s_and_b32 s4, ttmp7, 0xffff
	s_add_co_i32 s3, s3, 1
	s_add_co_i32 s5, s5, 1
	s_and_b32 s2, ttmp6, 15
	s_bfe_u32 s6, ttmp6, 0x40004
	s_mul_i32 s3, ttmp9, s3
	s_mul_i32 s5, s4, s5
	s_getreg_b32 s22, hwreg(HW_REG_IB_STS2, 6, 4)
	s_add_co_i32 s7, s2, s3
	s_add_co_i32 s6, s6, s5
	s_cmp_eq_u32 s22, 0
	s_clause 0x1
	s_load_b32 s23, s[0:1], 0x80
	s_load_b64 s[2:3], s[0:1], 0x30
	s_cselect_b32 s24, s4, s6
	s_cselect_b32 s6, ttmp9, s7
	s_wait_kmcnt 0x0
	s_abs_i32 s4, s10
	s_delay_alu instid0(SALU_CYCLE_1) | instskip(SKIP_1) | instid1(SALU_CYCLE_2)
	s_cvt_f32_u32 s5, s4
	s_sub_co_i32 s7, 0, s4
	v_rcp_iflag_f32_e32 v1, s5
	s_abs_i32 s8, s23
	v_nop
	s_delay_alu instid0(TRANS32_DEP_1) | instskip(SKIP_1) | instid1(SALU_CYCLE_3)
	v_readfirstlane_b32 s5, v1
	s_mul_f32 s5, s5, 0x4f7ffffe
	s_cvt_u32_f32 s5, s5
	s_delay_alu instid0(SALU_CYCLE_3) | instskip(NEXT) | instid1(SALU_CYCLE_1)
	s_mul_i32 s7, s7, s5
	s_mul_hi_u32 s7, s5, s7
	s_delay_alu instid0(SALU_CYCLE_1) | instskip(SKIP_4) | instid1(SALU_CYCLE_1)
	s_add_co_i32 s5, s5, s7
	s_xor_b32 s7, s23, s10
	s_mul_hi_u32 s5, s8, s5
	s_ashr_i32 s7, s7, 31
	s_mul_i32 s9, s5, s4
	s_sub_co_i32 s8, s8, s9
	s_add_co_i32 s9, s5, 1
	s_sub_co_i32 s10, s8, s4
	s_cmp_ge_u32 s8, s4
	s_cselect_b32 s5, s9, s5
	s_cselect_b32 s8, s10, s8
	s_add_co_i32 s9, s5, 1
	s_cmp_ge_u32 s8, s4
	s_cselect_b32 s4, s9, s5
	s_load_b64 s[8:9], s[0:1], 0x40
	s_xor_b32 s4, s4, s7
	s_mov_b32 s5, 0
	s_sub_co_i32 s14, s4, s7
	s_mov_b32 s13, s5
	s_abs_i32 s16, s14
	s_mov_b32 s26, s5
	s_cvt_f32_u32 s4, s16
	s_delay_alu instid0(SALU_CYCLE_3) | instskip(SKIP_1) | instid1(TRANS32_DEP_1)
	v_rcp_iflag_f32_e32 v1, s4
	v_nop
	v_readfirstlane_b32 s4, v1
	s_mul_f32 s4, s4, 0x4f7ffffe
	s_delay_alu instid0(SALU_CYCLE_3) | instskip(SKIP_1) | instid1(SALU_CYCLE_2)
	s_cvt_u32_f32 s7, s4
	s_sub_co_i32 s4, 0, s16
	s_mul_i32 s4, s4, s7
	s_delay_alu instid0(SALU_CYCLE_1)
	s_mul_hi_u32 s10, s7, s4
	s_abs_i32 s4, s6
	s_add_co_i32 s12, s7, s10
	s_wait_kmcnt 0x0
	s_cmp_eq_u64 s[8:9], 0
	s_cbranch_scc1 .LBB192_2
; %bb.1:
	s_ashr_i32 s7, s6, 31
	s_delay_alu instid0(SALU_CYCLE_1) | instskip(NEXT) | instid1(SALU_CYCLE_1)
	s_lshl_b64 s[18:19], s[6:7], 2
	s_add_nc_u64 s[8:9], s[8:9], s[18:19]
	s_load_b32 s26, s[8:9], 0x0
.LBB192_2:
	s_load_b32 s25, s[2:3], s24 offset:0x0 scale_offset
	s_wait_xcnt 0x0
	s_load_b96 s[8:10], s[0:1], 0x48
	v_dual_lshlrev_b32 v106, 2, v0 :: v_dual_bitop2_b32 v36, 1, v0 bitop3:0x40
	v_cmp_gt_u32_e64 s2, 32, v0
	s_ashr_i32 s3, s6, 31
	s_ashr_i32 s7, s14, 31
	s_mul_u64 s[14:15], s[4:5], s[12:13]
	s_lshl_b32 s12, s6, 6
	s_and_saveexec_b32 s5, s2
	s_cbranch_execz .LBB192_4
; %bb.3:
	s_load_b64 s[18:19], s[0:1], 0x8
	s_wait_kmcnt 0x0
	s_mul_i32 s20, s8, s24
	s_ashr_i32 s13, s12, 31
	s_ashr_i32 s21, s20, 31
	v_and_b32_e32 v1, 0xff8, v106
	s_lshl_b64 s[20:21], s[20:21], 2
	s_delay_alu instid0(VALU_DEP_1) | instskip(SKIP_2) | instid1(SALU_CYCLE_1)
	v_lshl_add_u32 v1, v36, 7, v1
	s_add_nc_u64 s[18:19], s[18:19], s[20:21]
	s_lshl_b64 s[20:21], s[12:13], 2
	s_add_nc_u64 s[18:19], s[18:19], s[20:21]
	global_load_b64 v[2:3], v0, s[18:19] scale_offset
	s_wait_loadcnt 0x0
	ds_store_b64 v1, v[2:3]
.LBB192_4:
	s_or_b32 exec_lo, exec_lo, s5
	s_wait_kmcnt 0x0
	s_add_co_i32 s5, s25, 15
	s_load_b32 s6, s[0:1], 0x38
	s_ashr_i32 s8, s5, 31
	s_xor_b32 s3, s3, s7
	s_lshr_b32 s7, s8, 28
	s_mul_i32 s8, s15, s16
	s_add_co_i32 s5, s5, s7
	s_sub_co_i32 s4, s4, s8
	s_ashr_i32 s13, s5, 4
	s_add_co_i32 s5, s15, 1
	s_sub_co_i32 s7, s4, s16
	s_cmp_ge_u32 s4, s16
	v_lshrrev_b32_e32 v1, 5, v0
	s_cselect_b32 s5, s5, s15
	s_cselect_b32 s4, s7, s4
	s_add_co_i32 s7, s5, 1
	s_cmp_ge_u32 s4, s16
	v_mbcnt_lo_u32_b32 v108, -1, 0
	s_cselect_b32 s4, s7, s5
	s_wait_dscnt 0x0
	s_xor_b32 s4, s4, s3
	s_wait_kmcnt 0x0
	s_mul_i32 s14, s6, s24
	s_sub_co_i32 s18, s4, s3
	v_cmp_gt_i32_e64 s3, s13, v1
	s_ashr_i32 s15, s14, 31
	s_mov_b32 s4, exec_lo
	s_barrier_signal -1
	s_barrier_wait -1
                                        ; implicit-def: $vgpr35
                                        ; implicit-def: $vgpr109
	v_cmpx_le_i32_e64 s13, v1
	s_xor_b32 s4, exec_lo, s4
; %bb.5:
	v_dual_mov_b32 v35, 0 :: v_dual_mov_b32 v109, 32
	v_mbcnt_lo_u32_b32 v108, -1, 0
                                        ; implicit-def: $vgpr36
; %bb.6:
	s_or_saveexec_b32 s27, s4
	s_clause 0x2
	s_load_b32 s8, s[0:1], 0x88
	s_load_b64 s[16:17], s[0:1], 0x28
	s_load_b128 s[4:7], s[0:1], 0x58
	v_dual_mov_b32 v110, 0xff7fffff :: v_dual_lshrrev_b32 v107, 3, v0
	s_mul_i32 s18, s18, s10
	s_xor_b32 exec_lo, exec_lo, s27
	s_cbranch_execz .LBB192_268
; %bb.7:
	s_load_b64 s[28:29], s[0:1], 0x10
	v_dual_mov_b32 v35, 0 :: v_dual_lshlrev_b32 v30, 7, v36
	v_bfe_u32 v40, v0, 1, 4
	v_dual_mov_b32 v109, 32 :: v_dual_bitop2_b32 v37, 1, v108 bitop3:0x14
	s_wait_kmcnt 0x0
	s_load_b32 s20, s[4:5], 0x0
	ds_load_b128 v[2:5], v30
	ds_load_b128 v[6:9], v30 offset:16
	ds_load_b128 v[10:13], v30 offset:32
	;; [unrolled: 1-line block ×7, first 2 shown]
	s_ashr_i32 s19, s18, 31
	v_cmp_gt_i32_e32 vcc_lo, 32, v37
	v_lshlrev_b32_e32 v34, 4, v40
	s_cmp_neq_f32 s26, 0
	v_lshl_or_b32 v112, v1, 4, v40
	v_dual_mov_b32 v110, 0xff7fffff :: v_dual_cndmask_b32 v37, v108, v37
	v_lshlrev_b32_e32 v41, 2, v40
	v_cmp_eq_u32_e32 vcc_lo, 0, v36
	s_mov_b32 s10, s9
	s_delay_alu instid0(VALU_DEP_3)
	v_dual_mov_b32 v114, v1 :: v_dual_lshlrev_b32 v111, 2, v37
	s_wait_xcnt 0x0
	s_add_nc_u64 s[4:5], s[28:29], s[18:19]
	v_lshl_or_b32 v41, v1, 6, v41
	v_add_nc_u64_e32 v[38:39], s[4:5], v[34:35]
	v_lshlrev_b32_e32 v34, 1, v36
	s_cselect_b32 s4, -1, 0
	s_lshl_b64 s[28:29], s[14:15], 2
	v_add_nc_u32_e32 v113, 0x120, v41
	s_add_nc_u64 s[28:29], s[16:17], s[28:29]
	s_mov_b32 s19, 0
	v_add_nc_u64_e32 v[36:37], v[38:39], v[34:35]
	v_and_b32_e32 v34, 0x7c, v107
	s_wait_kmcnt 0x0
	s_mov_b32 s21, s20
	s_delay_alu instid0(VALU_DEP_1)
	v_add_nc_u64_e32 v[38:39], s[28:29], v[34:35]
	s_sub_co_i32 s28, 1, s25
	s_branch .LBB192_9
.LBB192_8:                              ;   in Loop: Header=BB192_9 Depth=1
	s_or_b32 exec_lo, exec_lo, s29
	v_dual_add_nc_u32 v114, 4, v114 :: v_dual_add_nc_u32 v112, 64, v112
	v_add_nc_u64_e32 v[38:39], 16, v[38:39]
	v_add_nc_u32_e32 v113, 0x100, v113
	s_delay_alu instid0(VALU_DEP_3) | instskip(SKIP_1) | instid1(SALU_CYCLE_1)
	v_cmp_le_i32_e64 s5, s13, v114
	s_or_b32 s19, s5, s19
	s_and_not1_b32 exec_lo, exec_lo, s19
	s_cbranch_execz .LBB192_267
.LBB192_9:                              ; =>This Inner Loop Header: Depth=1
	global_load_b32 v34, v[38:39], off
	s_wait_dscnt 0x0
	v_mov_b64_e32 v[40:41], 0
	v_mov_b64_e32 v[42:43], 0
	s_mov_b32 s29, exec_lo
	s_wait_loadcnt 0x0
	v_mad_nc_i64_i32 v[48:49], v34, s10, v[36:37]
	global_load_u16 v34, v[48:49], off
	s_wait_loadcnt 0x0
	v_and_b32_e32 v45, 0xff, v34
	v_and_b32_e32 v44, 0xffff, v34
	s_wait_xcnt 0x0
	s_delay_alu instid0(VALU_DEP_2)
	v_cmpx_ne_u16_e32 0, v45
	s_cbranch_execz .LBB192_17
; %bb.10:                               ;   in Loop: Header=BB192_9 Depth=1
	v_mov_b64_e32 v[42:43], 0x80000000
	v_and_b32_e32 v34, 0xff, v44
	s_mov_b32 s30, exec_lo
	s_delay_alu instid0(VALU_DEP_1)
	v_cmpx_ne_u16_e32 0x80, v34
	s_cbranch_execz .LBB192_16
; %bb.11:                               ;   in Loop: Header=BB192_9 Depth=1
	v_mov_b64_e32 v[42:43], 0x7f800001
	v_and_b32_e32 v45, 0x7f, v44
	s_mov_b32 s31, exec_lo
	s_delay_alu instid0(VALU_DEP_1)
	v_cmpx_ne_u32_e32 0x7f, v45
	s_cbranch_execz .LBB192_15
; %bb.12:                               ;   in Loop: Header=BB192_9 Depth=1
	v_dual_lshrrev_b32 v42, 3, v45 :: v_dual_bitop2_b32 v34, 7, v44 bitop3:0x40
	s_mov_b32 s33, exec_lo
	v_cmpx_gt_u32_e32 8, v45
; %bb.13:                               ;   in Loop: Header=BB192_9 Depth=1
	s_delay_alu instid0(VALU_DEP_2) | instskip(NEXT) | instid1(VALU_DEP_1)
	v_clz_i32_u32_e32 v42, v34
	v_min_u32_e32 v42, 32, v42
	s_delay_alu instid0(VALU_DEP_1) | instskip(SKIP_1) | instid1(VALU_DEP_2)
	v_subrev_nc_u32_e32 v43, 28, v42
	v_sub_nc_u32_e32 v42, 29, v42
	v_lshlrev_b64_e32 v[46:47], v43, v[34:35]
	s_delay_alu instid0(VALU_DEP_1)
	v_and_b32_e32 v34, 7, v46
; %bb.14:                               ;   in Loop: Header=BB192_9 Depth=1
	s_or_b32 exec_lo, exec_lo, s33
	s_delay_alu instid0(VALU_DEP_1) | instskip(SKIP_1) | instid1(VALU_DEP_2)
	v_dual_lshlrev_b32 v43, 24, v44 :: v_dual_lshlrev_b32 v34, 20, v34
	v_lshl_add_u32 v42, v42, 23, 0x3c000000
	v_and_b32_e32 v43, 0x80000000, v43
	s_delay_alu instid0(VALU_DEP_1) | instskip(NEXT) | instid1(VALU_DEP_1)
	v_or3_b32 v34, v34, v43, v42
	v_mov_b64_e32 v[42:43], v[34:35]
.LBB192_15:                             ;   in Loop: Header=BB192_9 Depth=1
	s_or_b32 exec_lo, exec_lo, s31
.LBB192_16:                             ;   in Loop: Header=BB192_9 Depth=1
	s_delay_alu instid0(SALU_CYCLE_1)
	s_or_b32 exec_lo, exec_lo, s30
.LBB192_17:                             ;   in Loop: Header=BB192_9 Depth=1
	s_delay_alu instid0(SALU_CYCLE_1) | instskip(SKIP_2) | instid1(VALU_DEP_1)
	s_or_b32 exec_lo, exec_lo, s29
	v_lshrrev_b16 v34, 8, v44
	s_mov_b32 s29, exec_lo
	v_cmpx_ne_u16_e32 0, v34
	s_cbranch_execz .LBB192_25
; %bb.18:                               ;   in Loop: Header=BB192_9 Depth=1
	v_mov_b64_e32 v[40:41], 0x8000000000000000
	s_mov_b32 s30, exec_lo
	v_cmpx_ne_u16_e32 0x80, v34
	s_cbranch_execz .LBB192_24
; %bb.19:                               ;   in Loop: Header=BB192_9 Depth=1
	v_and_b32_e32 v34, 0xffff, v34
	v_mov_b64_e32 v[40:41], 0x7f80000100000000
	s_mov_b32 s31, exec_lo
	s_delay_alu instid0(VALU_DEP_2) | instskip(NEXT) | instid1(VALU_DEP_1)
	v_and_b32_e32 v45, 0x7f, v34
	v_cmpx_ne_u32_e32 0x7f, v45
	s_cbranch_execz .LBB192_23
; %bb.20:                               ;   in Loop: Header=BB192_9 Depth=1
	v_dual_lshrrev_b32 v40, 3, v45 :: v_dual_bitop2_b32 v34, 7, v34 bitop3:0x40
	s_mov_b32 s33, exec_lo
	v_cmpx_gt_u32_e32 8, v45
; %bb.21:                               ;   in Loop: Header=BB192_9 Depth=1
	s_delay_alu instid0(VALU_DEP_2) | instskip(NEXT) | instid1(VALU_DEP_1)
	v_clz_i32_u32_e32 v40, v34
	v_min_u32_e32 v40, 32, v40
	s_delay_alu instid0(VALU_DEP_1) | instskip(NEXT) | instid1(VALU_DEP_1)
	v_subrev_nc_u32_e32 v41, 28, v40
	v_lshlrev_b64_e32 v[46:47], v41, v[34:35]
	s_delay_alu instid0(VALU_DEP_1)
	v_dual_sub_nc_u32 v40, 29, v40 :: v_dual_bitop2_b32 v34, 7, v46 bitop3:0x40
; %bb.22:                               ;   in Loop: Header=BB192_9 Depth=1
	s_or_b32 exec_lo, exec_lo, s33
	s_delay_alu instid0(VALU_DEP_1) | instskip(NEXT) | instid1(VALU_DEP_2)
	v_dual_lshlrev_b32 v41, 16, v44 :: v_dual_lshlrev_b32 v34, 20, v34
	v_lshl_add_u32 v40, v40, 23, 0x3c000000
	s_delay_alu instid0(VALU_DEP_2) | instskip(NEXT) | instid1(VALU_DEP_1)
	v_and_b32_e32 v41, 0x80000000, v41
	v_or3_b32 v41, v34, v41, v40
	v_mov_b32_e32 v40, v35
.LBB192_23:                             ;   in Loop: Header=BB192_9 Depth=1
	s_or_b32 exec_lo, exec_lo, s31
.LBB192_24:                             ;   in Loop: Header=BB192_9 Depth=1
	s_delay_alu instid0(SALU_CYCLE_1)
	s_or_b32 exec_lo, exec_lo, s30
.LBB192_25:                             ;   in Loop: Header=BB192_9 Depth=1
	s_delay_alu instid0(SALU_CYCLE_1)
	s_or_b32 exec_lo, exec_lo, s29
	global_load_u16 v34, v[48:49], off offset:4
	v_mov_b64_e32 v[44:45], 0
	v_mov_b64_e32 v[46:47], 0
	s_mov_b32 s29, exec_lo
	s_wait_loadcnt 0x0
	v_and_b32_e32 v51, 0xff, v34
	v_and_b32_e32 v50, 0xffff, v34
	s_delay_alu instid0(VALU_DEP_2)
	v_cmpx_ne_u16_e32 0, v51
	s_cbranch_execz .LBB192_33
; %bb.26:                               ;   in Loop: Header=BB192_9 Depth=1
	v_mov_b64_e32 v[46:47], 0x80000000
	s_delay_alu instid0(VALU_DEP_3) | instskip(SKIP_1) | instid1(VALU_DEP_1)
	v_and_b32_e32 v34, 0xff, v50
	s_mov_b32 s30, exec_lo
	v_cmpx_ne_u16_e32 0x80, v34
	s_cbranch_execz .LBB192_32
; %bb.27:                               ;   in Loop: Header=BB192_9 Depth=1
	v_mov_b64_e32 v[46:47], 0x7f800001
	v_and_b32_e32 v51, 0x7f, v50
	s_mov_b32 s31, exec_lo
	s_delay_alu instid0(VALU_DEP_1)
	v_cmpx_ne_u32_e32 0x7f, v51
	s_cbranch_execz .LBB192_31
; %bb.28:                               ;   in Loop: Header=BB192_9 Depth=1
	v_dual_lshrrev_b32 v46, 3, v51 :: v_dual_bitop2_b32 v34, 7, v50 bitop3:0x40
	s_mov_b32 s33, exec_lo
	v_cmpx_gt_u32_e32 8, v51
; %bb.29:                               ;   in Loop: Header=BB192_9 Depth=1
	s_delay_alu instid0(VALU_DEP_2) | instskip(NEXT) | instid1(VALU_DEP_1)
	v_clz_i32_u32_e32 v46, v34
	v_min_u32_e32 v46, 32, v46
	s_delay_alu instid0(VALU_DEP_1) | instskip(NEXT) | instid1(VALU_DEP_1)
	v_subrev_nc_u32_e32 v47, 28, v46
	v_lshlrev_b64_e32 v[52:53], v47, v[34:35]
	s_delay_alu instid0(VALU_DEP_1)
	v_dual_sub_nc_u32 v46, 29, v46 :: v_dual_bitop2_b32 v34, 7, v52 bitop3:0x40
; %bb.30:                               ;   in Loop: Header=BB192_9 Depth=1
	s_or_b32 exec_lo, exec_lo, s33
	v_lshlrev_b32_e32 v47, 24, v50
	s_delay_alu instid0(VALU_DEP_2) | instskip(NEXT) | instid1(VALU_DEP_3)
	v_lshlrev_b32_e32 v34, 20, v34
	v_lshl_add_u32 v46, v46, 23, 0x3c000000
	s_delay_alu instid0(VALU_DEP_3) | instskip(NEXT) | instid1(VALU_DEP_1)
	v_and_b32_e32 v47, 0x80000000, v47
	v_or3_b32 v34, v34, v47, v46
	s_delay_alu instid0(VALU_DEP_1)
	v_mov_b64_e32 v[46:47], v[34:35]
.LBB192_31:                             ;   in Loop: Header=BB192_9 Depth=1
	s_or_b32 exec_lo, exec_lo, s31
.LBB192_32:                             ;   in Loop: Header=BB192_9 Depth=1
	s_delay_alu instid0(SALU_CYCLE_1)
	s_or_b32 exec_lo, exec_lo, s30
.LBB192_33:                             ;   in Loop: Header=BB192_9 Depth=1
	s_delay_alu instid0(SALU_CYCLE_1) | instskip(NEXT) | instid1(VALU_DEP_2)
	s_or_b32 exec_lo, exec_lo, s29
	v_lshrrev_b16 v34, 8, v50
	s_mov_b32 s29, exec_lo
	s_delay_alu instid0(VALU_DEP_1)
	v_cmpx_ne_u16_e32 0, v34
	s_cbranch_execz .LBB192_41
; %bb.34:                               ;   in Loop: Header=BB192_9 Depth=1
	v_mov_b64_e32 v[44:45], 0x8000000000000000
	s_mov_b32 s30, exec_lo
	v_cmpx_ne_u16_e32 0x80, v34
	s_cbranch_execz .LBB192_40
; %bb.35:                               ;   in Loop: Header=BB192_9 Depth=1
	v_and_b32_e32 v34, 0xffff, v34
	v_mov_b64_e32 v[44:45], 0x7f80000100000000
	s_mov_b32 s31, exec_lo
	s_delay_alu instid0(VALU_DEP_2) | instskip(NEXT) | instid1(VALU_DEP_1)
	v_and_b32_e32 v51, 0x7f, v34
	v_cmpx_ne_u32_e32 0x7f, v51
	s_cbranch_execz .LBB192_39
; %bb.36:                               ;   in Loop: Header=BB192_9 Depth=1
	v_dual_lshrrev_b32 v44, 3, v51 :: v_dual_bitop2_b32 v34, 7, v34 bitop3:0x40
	s_mov_b32 s33, exec_lo
	v_cmpx_gt_u32_e32 8, v51
; %bb.37:                               ;   in Loop: Header=BB192_9 Depth=1
	s_delay_alu instid0(VALU_DEP_2) | instskip(NEXT) | instid1(VALU_DEP_1)
	v_clz_i32_u32_e32 v44, v34
	v_min_u32_e32 v44, 32, v44
	s_delay_alu instid0(VALU_DEP_1) | instskip(SKIP_1) | instid1(VALU_DEP_2)
	v_subrev_nc_u32_e32 v45, 28, v44
	v_sub_nc_u32_e32 v44, 29, v44
	v_lshlrev_b64_e32 v[52:53], v45, v[34:35]
	s_delay_alu instid0(VALU_DEP_1)
	v_and_b32_e32 v34, 7, v52
; %bb.38:                               ;   in Loop: Header=BB192_9 Depth=1
	s_or_b32 exec_lo, exec_lo, s33
	v_lshlrev_b32_e32 v45, 16, v50
	s_delay_alu instid0(VALU_DEP_2) | instskip(SKIP_1) | instid1(VALU_DEP_3)
	v_lshlrev_b32_e32 v34, 20, v34
	v_lshl_add_u32 v44, v44, 23, 0x3c000000
	v_and_b32_e32 v45, 0x80000000, v45
	s_delay_alu instid0(VALU_DEP_1)
	v_or3_b32 v45, v34, v45, v44
	v_mov_b32_e32 v44, v35
.LBB192_39:                             ;   in Loop: Header=BB192_9 Depth=1
	s_or_b32 exec_lo, exec_lo, s31
.LBB192_40:                             ;   in Loop: Header=BB192_9 Depth=1
	s_delay_alu instid0(SALU_CYCLE_1)
	s_or_b32 exec_lo, exec_lo, s30
.LBB192_41:                             ;   in Loop: Header=BB192_9 Depth=1
	s_delay_alu instid0(SALU_CYCLE_1)
	s_or_b32 exec_lo, exec_lo, s29
	global_load_u16 v34, v[48:49], off offset:8
	v_mov_b64_e32 v[50:51], 0
	v_mov_b64_e32 v[52:53], 0
	s_mov_b32 s29, exec_lo
	s_wait_loadcnt 0x0
	v_and_b32_e32 v55, 0xff, v34
	v_and_b32_e32 v54, 0xffff, v34
	s_delay_alu instid0(VALU_DEP_2)
	v_cmpx_ne_u16_e32 0, v55
	s_cbranch_execz .LBB192_49
; %bb.42:                               ;   in Loop: Header=BB192_9 Depth=1
	v_mov_b64_e32 v[52:53], 0x80000000
	s_delay_alu instid0(VALU_DEP_3) | instskip(SKIP_1) | instid1(VALU_DEP_1)
	v_and_b32_e32 v34, 0xff, v54
	s_mov_b32 s30, exec_lo
	v_cmpx_ne_u16_e32 0x80, v34
	s_cbranch_execz .LBB192_48
; %bb.43:                               ;   in Loop: Header=BB192_9 Depth=1
	v_mov_b64_e32 v[52:53], 0x7f800001
	v_and_b32_e32 v55, 0x7f, v54
	s_mov_b32 s31, exec_lo
	s_delay_alu instid0(VALU_DEP_1)
	v_cmpx_ne_u32_e32 0x7f, v55
	s_cbranch_execz .LBB192_47
; %bb.44:                               ;   in Loop: Header=BB192_9 Depth=1
	v_dual_lshrrev_b32 v52, 3, v55 :: v_dual_bitop2_b32 v34, 7, v54 bitop3:0x40
	s_mov_b32 s33, exec_lo
	v_cmpx_gt_u32_e32 8, v55
; %bb.45:                               ;   in Loop: Header=BB192_9 Depth=1
	s_delay_alu instid0(VALU_DEP_2) | instskip(NEXT) | instid1(VALU_DEP_1)
	v_clz_i32_u32_e32 v52, v34
	v_min_u32_e32 v52, 32, v52
	s_delay_alu instid0(VALU_DEP_1) | instskip(SKIP_1) | instid1(VALU_DEP_2)
	v_subrev_nc_u32_e32 v53, 28, v52
	v_sub_nc_u32_e32 v52, 29, v52
	v_lshlrev_b64_e32 v[56:57], v53, v[34:35]
	s_delay_alu instid0(VALU_DEP_1)
	v_and_b32_e32 v34, 7, v56
; %bb.46:                               ;   in Loop: Header=BB192_9 Depth=1
	s_or_b32 exec_lo, exec_lo, s33
	v_lshlrev_b32_e32 v53, 24, v54
	s_delay_alu instid0(VALU_DEP_2) | instskip(SKIP_1) | instid1(VALU_DEP_3)
	v_lshlrev_b32_e32 v34, 20, v34
	v_lshl_add_u32 v52, v52, 23, 0x3c000000
	v_and_b32_e32 v53, 0x80000000, v53
	s_delay_alu instid0(VALU_DEP_1) | instskip(NEXT) | instid1(VALU_DEP_1)
	v_or3_b32 v34, v34, v53, v52
	v_mov_b64_e32 v[52:53], v[34:35]
.LBB192_47:                             ;   in Loop: Header=BB192_9 Depth=1
	s_or_b32 exec_lo, exec_lo, s31
.LBB192_48:                             ;   in Loop: Header=BB192_9 Depth=1
	s_delay_alu instid0(SALU_CYCLE_1)
	s_or_b32 exec_lo, exec_lo, s30
.LBB192_49:                             ;   in Loop: Header=BB192_9 Depth=1
	s_delay_alu instid0(SALU_CYCLE_1) | instskip(NEXT) | instid1(VALU_DEP_2)
	s_or_b32 exec_lo, exec_lo, s29
	v_lshrrev_b16 v34, 8, v54
	s_mov_b32 s29, exec_lo
	s_delay_alu instid0(VALU_DEP_1)
	v_cmpx_ne_u16_e32 0, v34
	s_cbranch_execz .LBB192_57
; %bb.50:                               ;   in Loop: Header=BB192_9 Depth=1
	v_mov_b64_e32 v[50:51], 0x8000000000000000
	s_mov_b32 s30, exec_lo
	v_cmpx_ne_u16_e32 0x80, v34
	s_cbranch_execz .LBB192_56
; %bb.51:                               ;   in Loop: Header=BB192_9 Depth=1
	v_and_b32_e32 v34, 0xffff, v34
	v_mov_b64_e32 v[50:51], 0x7f80000100000000
	s_mov_b32 s31, exec_lo
	s_delay_alu instid0(VALU_DEP_2) | instskip(NEXT) | instid1(VALU_DEP_1)
	v_and_b32_e32 v55, 0x7f, v34
	v_cmpx_ne_u32_e32 0x7f, v55
	s_cbranch_execz .LBB192_55
; %bb.52:                               ;   in Loop: Header=BB192_9 Depth=1
	v_dual_lshrrev_b32 v50, 3, v55 :: v_dual_bitop2_b32 v34, 7, v34 bitop3:0x40
	s_mov_b32 s33, exec_lo
	v_cmpx_gt_u32_e32 8, v55
; %bb.53:                               ;   in Loop: Header=BB192_9 Depth=1
	s_delay_alu instid0(VALU_DEP_2) | instskip(NEXT) | instid1(VALU_DEP_1)
	v_clz_i32_u32_e32 v50, v34
	v_min_u32_e32 v50, 32, v50
	s_delay_alu instid0(VALU_DEP_1) | instskip(NEXT) | instid1(VALU_DEP_1)
	v_subrev_nc_u32_e32 v51, 28, v50
	v_lshlrev_b64_e32 v[56:57], v51, v[34:35]
	s_delay_alu instid0(VALU_DEP_1)
	v_dual_sub_nc_u32 v50, 29, v50 :: v_dual_bitop2_b32 v34, 7, v56 bitop3:0x40
; %bb.54:                               ;   in Loop: Header=BB192_9 Depth=1
	s_or_b32 exec_lo, exec_lo, s33
	v_lshlrev_b32_e32 v51, 16, v54
	s_delay_alu instid0(VALU_DEP_2) | instskip(NEXT) | instid1(VALU_DEP_3)
	v_lshlrev_b32_e32 v34, 20, v34
	v_lshl_add_u32 v50, v50, 23, 0x3c000000
	s_delay_alu instid0(VALU_DEP_3) | instskip(NEXT) | instid1(VALU_DEP_1)
	v_and_b32_e32 v51, 0x80000000, v51
	v_or3_b32 v51, v34, v51, v50
	v_mov_b32_e32 v50, v35
.LBB192_55:                             ;   in Loop: Header=BB192_9 Depth=1
	s_or_b32 exec_lo, exec_lo, s31
.LBB192_56:                             ;   in Loop: Header=BB192_9 Depth=1
	s_delay_alu instid0(SALU_CYCLE_1)
	s_or_b32 exec_lo, exec_lo, s30
.LBB192_57:                             ;   in Loop: Header=BB192_9 Depth=1
	s_delay_alu instid0(SALU_CYCLE_1)
	s_or_b32 exec_lo, exec_lo, s29
	global_load_u16 v34, v[48:49], off offset:12
	v_mov_b64_e32 v[54:55], 0
	v_mov_b64_e32 v[56:57], 0
	s_mov_b32 s29, exec_lo
	s_wait_loadcnt 0x0
	v_and_b32_e32 v59, 0xff, v34
	v_and_b32_e32 v58, 0xffff, v34
	s_delay_alu instid0(VALU_DEP_2)
	v_cmpx_ne_u16_e32 0, v59
	s_cbranch_execz .LBB192_65
; %bb.58:                               ;   in Loop: Header=BB192_9 Depth=1
	v_mov_b64_e32 v[56:57], 0x80000000
	s_delay_alu instid0(VALU_DEP_3) | instskip(SKIP_1) | instid1(VALU_DEP_1)
	v_and_b32_e32 v34, 0xff, v58
	s_mov_b32 s30, exec_lo
	v_cmpx_ne_u16_e32 0x80, v34
	s_cbranch_execz .LBB192_64
; %bb.59:                               ;   in Loop: Header=BB192_9 Depth=1
	v_mov_b64_e32 v[56:57], 0x7f800001
	v_and_b32_e32 v59, 0x7f, v58
	s_mov_b32 s31, exec_lo
	s_delay_alu instid0(VALU_DEP_1)
	v_cmpx_ne_u32_e32 0x7f, v59
	s_cbranch_execz .LBB192_63
; %bb.60:                               ;   in Loop: Header=BB192_9 Depth=1
	v_dual_lshrrev_b32 v56, 3, v59 :: v_dual_bitop2_b32 v34, 7, v58 bitop3:0x40
	s_mov_b32 s33, exec_lo
	v_cmpx_gt_u32_e32 8, v59
; %bb.61:                               ;   in Loop: Header=BB192_9 Depth=1
	s_delay_alu instid0(VALU_DEP_2) | instskip(NEXT) | instid1(VALU_DEP_1)
	v_clz_i32_u32_e32 v56, v34
	v_min_u32_e32 v56, 32, v56
	s_delay_alu instid0(VALU_DEP_1) | instskip(SKIP_1) | instid1(VALU_DEP_2)
	v_subrev_nc_u32_e32 v57, 28, v56
	v_sub_nc_u32_e32 v56, 29, v56
	v_lshlrev_b64_e32 v[60:61], v57, v[34:35]
	s_delay_alu instid0(VALU_DEP_1)
	v_and_b32_e32 v34, 7, v60
; %bb.62:                               ;   in Loop: Header=BB192_9 Depth=1
	s_or_b32 exec_lo, exec_lo, s33
	v_lshlrev_b32_e32 v57, 24, v58
	s_delay_alu instid0(VALU_DEP_2) | instskip(SKIP_1) | instid1(VALU_DEP_3)
	v_lshlrev_b32_e32 v34, 20, v34
	v_lshl_add_u32 v56, v56, 23, 0x3c000000
	v_and_b32_e32 v57, 0x80000000, v57
	s_delay_alu instid0(VALU_DEP_1) | instskip(NEXT) | instid1(VALU_DEP_1)
	v_or3_b32 v34, v34, v57, v56
	v_mov_b64_e32 v[56:57], v[34:35]
.LBB192_63:                             ;   in Loop: Header=BB192_9 Depth=1
	s_or_b32 exec_lo, exec_lo, s31
.LBB192_64:                             ;   in Loop: Header=BB192_9 Depth=1
	s_delay_alu instid0(SALU_CYCLE_1)
	s_or_b32 exec_lo, exec_lo, s30
.LBB192_65:                             ;   in Loop: Header=BB192_9 Depth=1
	s_delay_alu instid0(SALU_CYCLE_1) | instskip(NEXT) | instid1(VALU_DEP_2)
	s_or_b32 exec_lo, exec_lo, s29
	v_lshrrev_b16 v34, 8, v58
	s_mov_b32 s29, exec_lo
	s_delay_alu instid0(VALU_DEP_1)
	v_cmpx_ne_u16_e32 0, v34
	s_cbranch_execz .LBB192_73
; %bb.66:                               ;   in Loop: Header=BB192_9 Depth=1
	v_mov_b64_e32 v[54:55], 0x8000000000000000
	s_mov_b32 s30, exec_lo
	v_cmpx_ne_u16_e32 0x80, v34
	s_cbranch_execz .LBB192_72
; %bb.67:                               ;   in Loop: Header=BB192_9 Depth=1
	v_and_b32_e32 v34, 0xffff, v34
	v_mov_b64_e32 v[54:55], 0x7f80000100000000
	s_mov_b32 s31, exec_lo
	s_delay_alu instid0(VALU_DEP_2) | instskip(NEXT) | instid1(VALU_DEP_1)
	v_and_b32_e32 v59, 0x7f, v34
	v_cmpx_ne_u32_e32 0x7f, v59
	s_cbranch_execz .LBB192_71
; %bb.68:                               ;   in Loop: Header=BB192_9 Depth=1
	v_dual_lshrrev_b32 v54, 3, v59 :: v_dual_bitop2_b32 v34, 7, v34 bitop3:0x40
	s_mov_b32 s33, exec_lo
	v_cmpx_gt_u32_e32 8, v59
; %bb.69:                               ;   in Loop: Header=BB192_9 Depth=1
	s_delay_alu instid0(VALU_DEP_2) | instskip(NEXT) | instid1(VALU_DEP_1)
	v_clz_i32_u32_e32 v54, v34
	v_min_u32_e32 v54, 32, v54
	s_delay_alu instid0(VALU_DEP_1) | instskip(NEXT) | instid1(VALU_DEP_1)
	v_subrev_nc_u32_e32 v55, 28, v54
	v_lshlrev_b64_e32 v[60:61], v55, v[34:35]
	s_delay_alu instid0(VALU_DEP_1)
	v_dual_sub_nc_u32 v54, 29, v54 :: v_dual_bitop2_b32 v34, 7, v60 bitop3:0x40
; %bb.70:                               ;   in Loop: Header=BB192_9 Depth=1
	s_or_b32 exec_lo, exec_lo, s33
	v_lshlrev_b32_e32 v55, 16, v58
	s_delay_alu instid0(VALU_DEP_2) | instskip(NEXT) | instid1(VALU_DEP_3)
	v_lshlrev_b32_e32 v34, 20, v34
	v_lshl_add_u32 v54, v54, 23, 0x3c000000
	s_delay_alu instid0(VALU_DEP_3) | instskip(NEXT) | instid1(VALU_DEP_1)
	v_and_b32_e32 v55, 0x80000000, v55
	v_or3_b32 v55, v34, v55, v54
	v_mov_b32_e32 v54, v35
.LBB192_71:                             ;   in Loop: Header=BB192_9 Depth=1
	s_or_b32 exec_lo, exec_lo, s31
.LBB192_72:                             ;   in Loop: Header=BB192_9 Depth=1
	s_delay_alu instid0(SALU_CYCLE_1)
	s_or_b32 exec_lo, exec_lo, s30
.LBB192_73:                             ;   in Loop: Header=BB192_9 Depth=1
	s_delay_alu instid0(SALU_CYCLE_1)
	s_or_b32 exec_lo, exec_lo, s29
	global_load_u16 v34, v[48:49], off offset:256
	v_mov_b64_e32 v[58:59], 0
	v_mov_b64_e32 v[60:61], 0
	s_mov_b32 s29, exec_lo
	s_wait_loadcnt 0x0
	v_and_b32_e32 v63, 0xff, v34
	v_and_b32_e32 v62, 0xffff, v34
	s_delay_alu instid0(VALU_DEP_2)
	v_cmpx_ne_u16_e32 0, v63
	s_cbranch_execz .LBB192_81
; %bb.74:                               ;   in Loop: Header=BB192_9 Depth=1
	v_mov_b64_e32 v[60:61], 0x80000000
	s_delay_alu instid0(VALU_DEP_3) | instskip(SKIP_1) | instid1(VALU_DEP_1)
	v_and_b32_e32 v34, 0xff, v62
	s_mov_b32 s30, exec_lo
	v_cmpx_ne_u16_e32 0x80, v34
	s_cbranch_execz .LBB192_80
; %bb.75:                               ;   in Loop: Header=BB192_9 Depth=1
	v_mov_b64_e32 v[60:61], 0x7f800001
	v_and_b32_e32 v63, 0x7f, v62
	s_mov_b32 s31, exec_lo
	s_delay_alu instid0(VALU_DEP_1)
	v_cmpx_ne_u32_e32 0x7f, v63
	s_cbranch_execz .LBB192_79
; %bb.76:                               ;   in Loop: Header=BB192_9 Depth=1
	v_dual_lshrrev_b32 v60, 3, v63 :: v_dual_bitop2_b32 v34, 7, v62 bitop3:0x40
	s_mov_b32 s33, exec_lo
	v_cmpx_gt_u32_e32 8, v63
; %bb.77:                               ;   in Loop: Header=BB192_9 Depth=1
	s_delay_alu instid0(VALU_DEP_2) | instskip(NEXT) | instid1(VALU_DEP_1)
	v_clz_i32_u32_e32 v60, v34
	v_min_u32_e32 v60, 32, v60
	s_delay_alu instid0(VALU_DEP_1) | instskip(SKIP_1) | instid1(VALU_DEP_2)
	v_subrev_nc_u32_e32 v61, 28, v60
	v_sub_nc_u32_e32 v60, 29, v60
	v_lshlrev_b64_e32 v[64:65], v61, v[34:35]
	s_delay_alu instid0(VALU_DEP_1)
	v_and_b32_e32 v34, 7, v64
; %bb.78:                               ;   in Loop: Header=BB192_9 Depth=1
	s_or_b32 exec_lo, exec_lo, s33
	v_lshlrev_b32_e32 v61, 24, v62
	s_delay_alu instid0(VALU_DEP_2) | instskip(SKIP_1) | instid1(VALU_DEP_3)
	v_lshlrev_b32_e32 v34, 20, v34
	v_lshl_add_u32 v60, v60, 23, 0x3c000000
	v_and_b32_e32 v61, 0x80000000, v61
	s_delay_alu instid0(VALU_DEP_1) | instskip(NEXT) | instid1(VALU_DEP_1)
	v_or3_b32 v34, v34, v61, v60
	v_mov_b64_e32 v[60:61], v[34:35]
.LBB192_79:                             ;   in Loop: Header=BB192_9 Depth=1
	s_or_b32 exec_lo, exec_lo, s31
.LBB192_80:                             ;   in Loop: Header=BB192_9 Depth=1
	s_delay_alu instid0(SALU_CYCLE_1)
	s_or_b32 exec_lo, exec_lo, s30
.LBB192_81:                             ;   in Loop: Header=BB192_9 Depth=1
	s_delay_alu instid0(SALU_CYCLE_1) | instskip(NEXT) | instid1(VALU_DEP_2)
	s_or_b32 exec_lo, exec_lo, s29
	v_lshrrev_b16 v34, 8, v62
	s_mov_b32 s29, exec_lo
	s_delay_alu instid0(VALU_DEP_1)
	v_cmpx_ne_u16_e32 0, v34
	s_cbranch_execz .LBB192_89
; %bb.82:                               ;   in Loop: Header=BB192_9 Depth=1
	v_mov_b64_e32 v[58:59], 0x8000000000000000
	s_mov_b32 s30, exec_lo
	v_cmpx_ne_u16_e32 0x80, v34
	s_cbranch_execz .LBB192_88
; %bb.83:                               ;   in Loop: Header=BB192_9 Depth=1
	v_and_b32_e32 v34, 0xffff, v34
	v_mov_b64_e32 v[58:59], 0x7f80000100000000
	s_mov_b32 s31, exec_lo
	s_delay_alu instid0(VALU_DEP_2) | instskip(NEXT) | instid1(VALU_DEP_1)
	v_and_b32_e32 v63, 0x7f, v34
	v_cmpx_ne_u32_e32 0x7f, v63
	s_cbranch_execz .LBB192_87
; %bb.84:                               ;   in Loop: Header=BB192_9 Depth=1
	v_dual_lshrrev_b32 v58, 3, v63 :: v_dual_bitop2_b32 v34, 7, v34 bitop3:0x40
	s_mov_b32 s33, exec_lo
	v_cmpx_gt_u32_e32 8, v63
; %bb.85:                               ;   in Loop: Header=BB192_9 Depth=1
	s_delay_alu instid0(VALU_DEP_2) | instskip(NEXT) | instid1(VALU_DEP_1)
	v_clz_i32_u32_e32 v58, v34
	v_min_u32_e32 v58, 32, v58
	s_delay_alu instid0(VALU_DEP_1) | instskip(NEXT) | instid1(VALU_DEP_1)
	v_subrev_nc_u32_e32 v59, 28, v58
	v_lshlrev_b64_e32 v[64:65], v59, v[34:35]
	s_delay_alu instid0(VALU_DEP_1)
	v_dual_sub_nc_u32 v58, 29, v58 :: v_dual_bitop2_b32 v34, 7, v64 bitop3:0x40
; %bb.86:                               ;   in Loop: Header=BB192_9 Depth=1
	s_or_b32 exec_lo, exec_lo, s33
	v_lshlrev_b32_e32 v59, 16, v62
	s_delay_alu instid0(VALU_DEP_2) | instskip(NEXT) | instid1(VALU_DEP_3)
	v_lshlrev_b32_e32 v34, 20, v34
	v_lshl_add_u32 v58, v58, 23, 0x3c000000
	s_delay_alu instid0(VALU_DEP_3) | instskip(NEXT) | instid1(VALU_DEP_1)
	v_and_b32_e32 v59, 0x80000000, v59
	v_or3_b32 v59, v34, v59, v58
	v_mov_b32_e32 v58, v35
.LBB192_87:                             ;   in Loop: Header=BB192_9 Depth=1
	s_or_b32 exec_lo, exec_lo, s31
.LBB192_88:                             ;   in Loop: Header=BB192_9 Depth=1
	s_delay_alu instid0(SALU_CYCLE_1)
	s_or_b32 exec_lo, exec_lo, s30
.LBB192_89:                             ;   in Loop: Header=BB192_9 Depth=1
	s_delay_alu instid0(SALU_CYCLE_1)
	s_or_b32 exec_lo, exec_lo, s29
	global_load_u16 v34, v[48:49], off offset:260
	v_mov_b64_e32 v[62:63], 0
	v_mov_b64_e32 v[64:65], 0
	s_mov_b32 s29, exec_lo
	s_wait_loadcnt 0x0
	v_and_b32_e32 v67, 0xff, v34
	v_and_b32_e32 v66, 0xffff, v34
	s_delay_alu instid0(VALU_DEP_2)
	v_cmpx_ne_u16_e32 0, v67
	s_cbranch_execz .LBB192_97
; %bb.90:                               ;   in Loop: Header=BB192_9 Depth=1
	v_mov_b64_e32 v[64:65], 0x80000000
	s_delay_alu instid0(VALU_DEP_3) | instskip(SKIP_1) | instid1(VALU_DEP_1)
	v_and_b32_e32 v34, 0xff, v66
	s_mov_b32 s30, exec_lo
	v_cmpx_ne_u16_e32 0x80, v34
	s_cbranch_execz .LBB192_96
; %bb.91:                               ;   in Loop: Header=BB192_9 Depth=1
	v_mov_b64_e32 v[64:65], 0x7f800001
	v_and_b32_e32 v67, 0x7f, v66
	s_mov_b32 s31, exec_lo
	s_delay_alu instid0(VALU_DEP_1)
	v_cmpx_ne_u32_e32 0x7f, v67
	s_cbranch_execz .LBB192_95
; %bb.92:                               ;   in Loop: Header=BB192_9 Depth=1
	v_dual_lshrrev_b32 v64, 3, v67 :: v_dual_bitop2_b32 v34, 7, v66 bitop3:0x40
	s_mov_b32 s33, exec_lo
	v_cmpx_gt_u32_e32 8, v67
; %bb.93:                               ;   in Loop: Header=BB192_9 Depth=1
	s_delay_alu instid0(VALU_DEP_2) | instskip(NEXT) | instid1(VALU_DEP_1)
	v_clz_i32_u32_e32 v64, v34
	v_min_u32_e32 v64, 32, v64
	s_delay_alu instid0(VALU_DEP_1) | instskip(SKIP_1) | instid1(VALU_DEP_2)
	v_subrev_nc_u32_e32 v65, 28, v64
	v_sub_nc_u32_e32 v64, 29, v64
	v_lshlrev_b64_e32 v[68:69], v65, v[34:35]
	s_delay_alu instid0(VALU_DEP_1)
	v_and_b32_e32 v34, 7, v68
; %bb.94:                               ;   in Loop: Header=BB192_9 Depth=1
	s_or_b32 exec_lo, exec_lo, s33
	v_lshlrev_b32_e32 v65, 24, v66
	s_delay_alu instid0(VALU_DEP_2) | instskip(SKIP_1) | instid1(VALU_DEP_3)
	v_lshlrev_b32_e32 v34, 20, v34
	v_lshl_add_u32 v64, v64, 23, 0x3c000000
	v_and_b32_e32 v65, 0x80000000, v65
	s_delay_alu instid0(VALU_DEP_1) | instskip(NEXT) | instid1(VALU_DEP_1)
	v_or3_b32 v34, v34, v65, v64
	v_mov_b64_e32 v[64:65], v[34:35]
.LBB192_95:                             ;   in Loop: Header=BB192_9 Depth=1
	s_or_b32 exec_lo, exec_lo, s31
.LBB192_96:                             ;   in Loop: Header=BB192_9 Depth=1
	s_delay_alu instid0(SALU_CYCLE_1)
	s_or_b32 exec_lo, exec_lo, s30
.LBB192_97:                             ;   in Loop: Header=BB192_9 Depth=1
	s_delay_alu instid0(SALU_CYCLE_1) | instskip(NEXT) | instid1(VALU_DEP_2)
	s_or_b32 exec_lo, exec_lo, s29
	v_lshrrev_b16 v34, 8, v66
	s_mov_b32 s29, exec_lo
	s_delay_alu instid0(VALU_DEP_1)
	v_cmpx_ne_u16_e32 0, v34
	s_cbranch_execz .LBB192_105
; %bb.98:                               ;   in Loop: Header=BB192_9 Depth=1
	v_mov_b64_e32 v[62:63], 0x8000000000000000
	s_mov_b32 s30, exec_lo
	v_cmpx_ne_u16_e32 0x80, v34
	s_cbranch_execz .LBB192_104
; %bb.99:                               ;   in Loop: Header=BB192_9 Depth=1
	v_and_b32_e32 v34, 0xffff, v34
	v_mov_b64_e32 v[62:63], 0x7f80000100000000
	s_mov_b32 s31, exec_lo
	s_delay_alu instid0(VALU_DEP_2) | instskip(NEXT) | instid1(VALU_DEP_1)
	v_and_b32_e32 v67, 0x7f, v34
	v_cmpx_ne_u32_e32 0x7f, v67
	s_cbranch_execz .LBB192_103
; %bb.100:                              ;   in Loop: Header=BB192_9 Depth=1
	v_dual_lshrrev_b32 v62, 3, v67 :: v_dual_bitop2_b32 v34, 7, v34 bitop3:0x40
	s_mov_b32 s33, exec_lo
	v_cmpx_gt_u32_e32 8, v67
; %bb.101:                              ;   in Loop: Header=BB192_9 Depth=1
	s_delay_alu instid0(VALU_DEP_2) | instskip(NEXT) | instid1(VALU_DEP_1)
	v_clz_i32_u32_e32 v62, v34
	v_min_u32_e32 v62, 32, v62
	s_delay_alu instid0(VALU_DEP_1) | instskip(NEXT) | instid1(VALU_DEP_1)
	v_subrev_nc_u32_e32 v63, 28, v62
	v_lshlrev_b64_e32 v[68:69], v63, v[34:35]
	s_delay_alu instid0(VALU_DEP_1)
	v_dual_sub_nc_u32 v62, 29, v62 :: v_dual_bitop2_b32 v34, 7, v68 bitop3:0x40
; %bb.102:                              ;   in Loop: Header=BB192_9 Depth=1
	s_or_b32 exec_lo, exec_lo, s33
	v_lshlrev_b32_e32 v63, 16, v66
	s_delay_alu instid0(VALU_DEP_2) | instskip(NEXT) | instid1(VALU_DEP_3)
	v_lshlrev_b32_e32 v34, 20, v34
	v_lshl_add_u32 v62, v62, 23, 0x3c000000
	s_delay_alu instid0(VALU_DEP_3) | instskip(NEXT) | instid1(VALU_DEP_1)
	v_and_b32_e32 v63, 0x80000000, v63
	v_or3_b32 v63, v34, v63, v62
	v_mov_b32_e32 v62, v35
.LBB192_103:                            ;   in Loop: Header=BB192_9 Depth=1
	s_or_b32 exec_lo, exec_lo, s31
.LBB192_104:                            ;   in Loop: Header=BB192_9 Depth=1
	s_delay_alu instid0(SALU_CYCLE_1)
	s_or_b32 exec_lo, exec_lo, s30
.LBB192_105:                            ;   in Loop: Header=BB192_9 Depth=1
	s_delay_alu instid0(SALU_CYCLE_1)
	s_or_b32 exec_lo, exec_lo, s29
	global_load_u16 v34, v[48:49], off offset:264
	v_mov_b64_e32 v[66:67], 0
	v_mov_b64_e32 v[68:69], 0
	s_mov_b32 s29, exec_lo
	s_wait_loadcnt 0x0
	v_and_b32_e32 v71, 0xff, v34
	v_and_b32_e32 v70, 0xffff, v34
	s_delay_alu instid0(VALU_DEP_2)
	v_cmpx_ne_u16_e32 0, v71
	s_cbranch_execz .LBB192_113
; %bb.106:                              ;   in Loop: Header=BB192_9 Depth=1
	v_mov_b64_e32 v[68:69], 0x80000000
	s_delay_alu instid0(VALU_DEP_3) | instskip(SKIP_1) | instid1(VALU_DEP_1)
	v_and_b32_e32 v34, 0xff, v70
	s_mov_b32 s30, exec_lo
	v_cmpx_ne_u16_e32 0x80, v34
	s_cbranch_execz .LBB192_112
; %bb.107:                              ;   in Loop: Header=BB192_9 Depth=1
	v_mov_b64_e32 v[68:69], 0x7f800001
	v_and_b32_e32 v71, 0x7f, v70
	s_mov_b32 s31, exec_lo
	s_delay_alu instid0(VALU_DEP_1)
	v_cmpx_ne_u32_e32 0x7f, v71
	s_cbranch_execz .LBB192_111
; %bb.108:                              ;   in Loop: Header=BB192_9 Depth=1
	v_dual_lshrrev_b32 v68, 3, v71 :: v_dual_bitop2_b32 v34, 7, v70 bitop3:0x40
	s_mov_b32 s33, exec_lo
	v_cmpx_gt_u32_e32 8, v71
; %bb.109:                              ;   in Loop: Header=BB192_9 Depth=1
	s_delay_alu instid0(VALU_DEP_2) | instskip(NEXT) | instid1(VALU_DEP_1)
	v_clz_i32_u32_e32 v68, v34
	v_min_u32_e32 v68, 32, v68
	s_delay_alu instid0(VALU_DEP_1) | instskip(SKIP_1) | instid1(VALU_DEP_2)
	v_subrev_nc_u32_e32 v69, 28, v68
	v_sub_nc_u32_e32 v68, 29, v68
	v_lshlrev_b64_e32 v[72:73], v69, v[34:35]
	s_delay_alu instid0(VALU_DEP_1)
	v_and_b32_e32 v34, 7, v72
; %bb.110:                              ;   in Loop: Header=BB192_9 Depth=1
	s_or_b32 exec_lo, exec_lo, s33
	v_lshlrev_b32_e32 v69, 24, v70
	s_delay_alu instid0(VALU_DEP_2) | instskip(SKIP_1) | instid1(VALU_DEP_3)
	v_lshlrev_b32_e32 v34, 20, v34
	v_lshl_add_u32 v68, v68, 23, 0x3c000000
	v_and_b32_e32 v69, 0x80000000, v69
	s_delay_alu instid0(VALU_DEP_1) | instskip(NEXT) | instid1(VALU_DEP_1)
	v_or3_b32 v34, v34, v69, v68
	v_mov_b64_e32 v[68:69], v[34:35]
.LBB192_111:                            ;   in Loop: Header=BB192_9 Depth=1
	s_or_b32 exec_lo, exec_lo, s31
.LBB192_112:                            ;   in Loop: Header=BB192_9 Depth=1
	s_delay_alu instid0(SALU_CYCLE_1)
	s_or_b32 exec_lo, exec_lo, s30
.LBB192_113:                            ;   in Loop: Header=BB192_9 Depth=1
	s_delay_alu instid0(SALU_CYCLE_1) | instskip(NEXT) | instid1(VALU_DEP_2)
	s_or_b32 exec_lo, exec_lo, s29
	v_lshrrev_b16 v34, 8, v70
	s_mov_b32 s29, exec_lo
	s_delay_alu instid0(VALU_DEP_1)
	v_cmpx_ne_u16_e32 0, v34
	s_cbranch_execz .LBB192_121
; %bb.114:                              ;   in Loop: Header=BB192_9 Depth=1
	v_mov_b64_e32 v[66:67], 0x8000000000000000
	s_mov_b32 s30, exec_lo
	v_cmpx_ne_u16_e32 0x80, v34
	s_cbranch_execz .LBB192_120
; %bb.115:                              ;   in Loop: Header=BB192_9 Depth=1
	v_and_b32_e32 v34, 0xffff, v34
	v_mov_b64_e32 v[66:67], 0x7f80000100000000
	s_mov_b32 s31, exec_lo
	s_delay_alu instid0(VALU_DEP_2) | instskip(NEXT) | instid1(VALU_DEP_1)
	v_and_b32_e32 v71, 0x7f, v34
	v_cmpx_ne_u32_e32 0x7f, v71
	s_cbranch_execz .LBB192_119
; %bb.116:                              ;   in Loop: Header=BB192_9 Depth=1
	v_dual_lshrrev_b32 v66, 3, v71 :: v_dual_bitop2_b32 v34, 7, v34 bitop3:0x40
	s_mov_b32 s33, exec_lo
	v_cmpx_gt_u32_e32 8, v71
; %bb.117:                              ;   in Loop: Header=BB192_9 Depth=1
	s_delay_alu instid0(VALU_DEP_2) | instskip(NEXT) | instid1(VALU_DEP_1)
	v_clz_i32_u32_e32 v66, v34
	v_min_u32_e32 v66, 32, v66
	s_delay_alu instid0(VALU_DEP_1) | instskip(NEXT) | instid1(VALU_DEP_1)
	v_subrev_nc_u32_e32 v67, 28, v66
	v_lshlrev_b64_e32 v[72:73], v67, v[34:35]
	s_delay_alu instid0(VALU_DEP_1)
	v_dual_sub_nc_u32 v66, 29, v66 :: v_dual_bitop2_b32 v34, 7, v72 bitop3:0x40
; %bb.118:                              ;   in Loop: Header=BB192_9 Depth=1
	s_or_b32 exec_lo, exec_lo, s33
	v_lshlrev_b32_e32 v67, 16, v70
	s_delay_alu instid0(VALU_DEP_2) | instskip(NEXT) | instid1(VALU_DEP_3)
	v_lshlrev_b32_e32 v34, 20, v34
	v_lshl_add_u32 v66, v66, 23, 0x3c000000
	s_delay_alu instid0(VALU_DEP_3) | instskip(NEXT) | instid1(VALU_DEP_1)
	v_and_b32_e32 v67, 0x80000000, v67
	v_or3_b32 v67, v34, v67, v66
	v_mov_b32_e32 v66, v35
.LBB192_119:                            ;   in Loop: Header=BB192_9 Depth=1
	s_or_b32 exec_lo, exec_lo, s31
.LBB192_120:                            ;   in Loop: Header=BB192_9 Depth=1
	s_delay_alu instid0(SALU_CYCLE_1)
	s_or_b32 exec_lo, exec_lo, s30
.LBB192_121:                            ;   in Loop: Header=BB192_9 Depth=1
	s_delay_alu instid0(SALU_CYCLE_1)
	s_or_b32 exec_lo, exec_lo, s29
	global_load_u16 v34, v[48:49], off offset:268
	v_mov_b64_e32 v[70:71], 0
	v_mov_b64_e32 v[72:73], 0
	s_mov_b32 s29, exec_lo
	s_wait_loadcnt 0x0
	v_and_b32_e32 v75, 0xff, v34
	v_and_b32_e32 v74, 0xffff, v34
	s_delay_alu instid0(VALU_DEP_2)
	v_cmpx_ne_u16_e32 0, v75
	s_cbranch_execz .LBB192_129
; %bb.122:                              ;   in Loop: Header=BB192_9 Depth=1
	v_mov_b64_e32 v[72:73], 0x80000000
	s_delay_alu instid0(VALU_DEP_3) | instskip(SKIP_1) | instid1(VALU_DEP_1)
	v_and_b32_e32 v34, 0xff, v74
	s_mov_b32 s30, exec_lo
	v_cmpx_ne_u16_e32 0x80, v34
	s_cbranch_execz .LBB192_128
; %bb.123:                              ;   in Loop: Header=BB192_9 Depth=1
	v_mov_b64_e32 v[72:73], 0x7f800001
	v_and_b32_e32 v75, 0x7f, v74
	s_mov_b32 s31, exec_lo
	s_delay_alu instid0(VALU_DEP_1)
	v_cmpx_ne_u32_e32 0x7f, v75
	s_cbranch_execz .LBB192_127
; %bb.124:                              ;   in Loop: Header=BB192_9 Depth=1
	v_dual_lshrrev_b32 v72, 3, v75 :: v_dual_bitop2_b32 v34, 7, v74 bitop3:0x40
	s_mov_b32 s33, exec_lo
	v_cmpx_gt_u32_e32 8, v75
; %bb.125:                              ;   in Loop: Header=BB192_9 Depth=1
	s_delay_alu instid0(VALU_DEP_2) | instskip(NEXT) | instid1(VALU_DEP_1)
	v_clz_i32_u32_e32 v72, v34
	v_min_u32_e32 v72, 32, v72
	s_delay_alu instid0(VALU_DEP_1) | instskip(SKIP_1) | instid1(VALU_DEP_2)
	v_subrev_nc_u32_e32 v73, 28, v72
	v_sub_nc_u32_e32 v72, 29, v72
	v_lshlrev_b64_e32 v[76:77], v73, v[34:35]
	s_delay_alu instid0(VALU_DEP_1)
	v_and_b32_e32 v34, 7, v76
; %bb.126:                              ;   in Loop: Header=BB192_9 Depth=1
	s_or_b32 exec_lo, exec_lo, s33
	v_lshlrev_b32_e32 v73, 24, v74
	s_delay_alu instid0(VALU_DEP_2) | instskip(SKIP_1) | instid1(VALU_DEP_3)
	v_lshlrev_b32_e32 v34, 20, v34
	v_lshl_add_u32 v72, v72, 23, 0x3c000000
	v_and_b32_e32 v73, 0x80000000, v73
	s_delay_alu instid0(VALU_DEP_1) | instskip(NEXT) | instid1(VALU_DEP_1)
	v_or3_b32 v34, v34, v73, v72
	v_mov_b64_e32 v[72:73], v[34:35]
.LBB192_127:                            ;   in Loop: Header=BB192_9 Depth=1
	s_or_b32 exec_lo, exec_lo, s31
.LBB192_128:                            ;   in Loop: Header=BB192_9 Depth=1
	s_delay_alu instid0(SALU_CYCLE_1)
	s_or_b32 exec_lo, exec_lo, s30
.LBB192_129:                            ;   in Loop: Header=BB192_9 Depth=1
	s_delay_alu instid0(SALU_CYCLE_1) | instskip(NEXT) | instid1(VALU_DEP_2)
	s_or_b32 exec_lo, exec_lo, s29
	v_lshrrev_b16 v34, 8, v74
	s_mov_b32 s29, exec_lo
	s_delay_alu instid0(VALU_DEP_1)
	v_cmpx_ne_u16_e32 0, v34
	s_cbranch_execz .LBB192_137
; %bb.130:                              ;   in Loop: Header=BB192_9 Depth=1
	v_mov_b64_e32 v[70:71], 0x8000000000000000
	s_mov_b32 s30, exec_lo
	v_cmpx_ne_u16_e32 0x80, v34
	s_cbranch_execz .LBB192_136
; %bb.131:                              ;   in Loop: Header=BB192_9 Depth=1
	v_and_b32_e32 v34, 0xffff, v34
	v_mov_b64_e32 v[70:71], 0x7f80000100000000
	s_mov_b32 s31, exec_lo
	s_delay_alu instid0(VALU_DEP_2) | instskip(NEXT) | instid1(VALU_DEP_1)
	v_and_b32_e32 v75, 0x7f, v34
	v_cmpx_ne_u32_e32 0x7f, v75
	s_cbranch_execz .LBB192_135
; %bb.132:                              ;   in Loop: Header=BB192_9 Depth=1
	v_dual_lshrrev_b32 v70, 3, v75 :: v_dual_bitop2_b32 v34, 7, v34 bitop3:0x40
	s_mov_b32 s33, exec_lo
	v_cmpx_gt_u32_e32 8, v75
; %bb.133:                              ;   in Loop: Header=BB192_9 Depth=1
	s_delay_alu instid0(VALU_DEP_2) | instskip(NEXT) | instid1(VALU_DEP_1)
	v_clz_i32_u32_e32 v70, v34
	v_min_u32_e32 v70, 32, v70
	s_delay_alu instid0(VALU_DEP_1) | instskip(NEXT) | instid1(VALU_DEP_1)
	v_subrev_nc_u32_e32 v71, 28, v70
	v_lshlrev_b64_e32 v[76:77], v71, v[34:35]
	s_delay_alu instid0(VALU_DEP_1)
	v_dual_sub_nc_u32 v70, 29, v70 :: v_dual_bitop2_b32 v34, 7, v76 bitop3:0x40
; %bb.134:                              ;   in Loop: Header=BB192_9 Depth=1
	s_or_b32 exec_lo, exec_lo, s33
	v_lshlrev_b32_e32 v71, 16, v74
	s_delay_alu instid0(VALU_DEP_2) | instskip(NEXT) | instid1(VALU_DEP_3)
	v_lshlrev_b32_e32 v34, 20, v34
	v_lshl_add_u32 v70, v70, 23, 0x3c000000
	s_delay_alu instid0(VALU_DEP_3) | instskip(NEXT) | instid1(VALU_DEP_1)
	v_and_b32_e32 v71, 0x80000000, v71
	v_or3_b32 v71, v34, v71, v70
	v_mov_b32_e32 v70, v35
.LBB192_135:                            ;   in Loop: Header=BB192_9 Depth=1
	s_or_b32 exec_lo, exec_lo, s31
.LBB192_136:                            ;   in Loop: Header=BB192_9 Depth=1
	s_delay_alu instid0(SALU_CYCLE_1)
	s_or_b32 exec_lo, exec_lo, s30
.LBB192_137:                            ;   in Loop: Header=BB192_9 Depth=1
	s_delay_alu instid0(SALU_CYCLE_1)
	s_or_b32 exec_lo, exec_lo, s29
	global_load_u16 v34, v[48:49], off offset:512
	v_mov_b64_e32 v[74:75], 0
	v_mov_b64_e32 v[76:77], 0
	s_mov_b32 s29, exec_lo
	s_wait_loadcnt 0x0
	v_and_b32_e32 v79, 0xff, v34
	v_and_b32_e32 v78, 0xffff, v34
	s_delay_alu instid0(VALU_DEP_2)
	v_cmpx_ne_u16_e32 0, v79
	s_cbranch_execz .LBB192_145
; %bb.138:                              ;   in Loop: Header=BB192_9 Depth=1
	v_mov_b64_e32 v[76:77], 0x80000000
	s_delay_alu instid0(VALU_DEP_3) | instskip(SKIP_1) | instid1(VALU_DEP_1)
	v_and_b32_e32 v34, 0xff, v78
	s_mov_b32 s30, exec_lo
	v_cmpx_ne_u16_e32 0x80, v34
	s_cbranch_execz .LBB192_144
; %bb.139:                              ;   in Loop: Header=BB192_9 Depth=1
	v_mov_b64_e32 v[76:77], 0x7f800001
	v_and_b32_e32 v79, 0x7f, v78
	s_mov_b32 s31, exec_lo
	s_delay_alu instid0(VALU_DEP_1)
	v_cmpx_ne_u32_e32 0x7f, v79
	s_cbranch_execz .LBB192_143
; %bb.140:                              ;   in Loop: Header=BB192_9 Depth=1
	v_dual_lshrrev_b32 v76, 3, v79 :: v_dual_bitop2_b32 v34, 7, v78 bitop3:0x40
	s_mov_b32 s33, exec_lo
	v_cmpx_gt_u32_e32 8, v79
; %bb.141:                              ;   in Loop: Header=BB192_9 Depth=1
	s_delay_alu instid0(VALU_DEP_2) | instskip(NEXT) | instid1(VALU_DEP_1)
	v_clz_i32_u32_e32 v76, v34
	v_min_u32_e32 v76, 32, v76
	s_delay_alu instid0(VALU_DEP_1) | instskip(SKIP_1) | instid1(VALU_DEP_2)
	v_subrev_nc_u32_e32 v77, 28, v76
	v_sub_nc_u32_e32 v76, 29, v76
	v_lshlrev_b64_e32 v[80:81], v77, v[34:35]
	s_delay_alu instid0(VALU_DEP_1)
	v_and_b32_e32 v34, 7, v80
; %bb.142:                              ;   in Loop: Header=BB192_9 Depth=1
	s_or_b32 exec_lo, exec_lo, s33
	v_lshlrev_b32_e32 v77, 24, v78
	s_delay_alu instid0(VALU_DEP_2) | instskip(SKIP_1) | instid1(VALU_DEP_3)
	v_lshlrev_b32_e32 v34, 20, v34
	v_lshl_add_u32 v76, v76, 23, 0x3c000000
	v_and_b32_e32 v77, 0x80000000, v77
	s_delay_alu instid0(VALU_DEP_1) | instskip(NEXT) | instid1(VALU_DEP_1)
	v_or3_b32 v34, v34, v77, v76
	v_mov_b64_e32 v[76:77], v[34:35]
.LBB192_143:                            ;   in Loop: Header=BB192_9 Depth=1
	s_or_b32 exec_lo, exec_lo, s31
.LBB192_144:                            ;   in Loop: Header=BB192_9 Depth=1
	s_delay_alu instid0(SALU_CYCLE_1)
	s_or_b32 exec_lo, exec_lo, s30
.LBB192_145:                            ;   in Loop: Header=BB192_9 Depth=1
	s_delay_alu instid0(SALU_CYCLE_1) | instskip(NEXT) | instid1(VALU_DEP_2)
	s_or_b32 exec_lo, exec_lo, s29
	v_lshrrev_b16 v34, 8, v78
	s_mov_b32 s29, exec_lo
	s_delay_alu instid0(VALU_DEP_1)
	v_cmpx_ne_u16_e32 0, v34
	s_cbranch_execz .LBB192_153
; %bb.146:                              ;   in Loop: Header=BB192_9 Depth=1
	v_mov_b64_e32 v[74:75], 0x8000000000000000
	s_mov_b32 s30, exec_lo
	v_cmpx_ne_u16_e32 0x80, v34
	s_cbranch_execz .LBB192_152
; %bb.147:                              ;   in Loop: Header=BB192_9 Depth=1
	v_and_b32_e32 v34, 0xffff, v34
	v_mov_b64_e32 v[74:75], 0x7f80000100000000
	s_mov_b32 s31, exec_lo
	s_delay_alu instid0(VALU_DEP_2) | instskip(NEXT) | instid1(VALU_DEP_1)
	v_and_b32_e32 v79, 0x7f, v34
	v_cmpx_ne_u32_e32 0x7f, v79
	s_cbranch_execz .LBB192_151
; %bb.148:                              ;   in Loop: Header=BB192_9 Depth=1
	v_dual_lshrrev_b32 v74, 3, v79 :: v_dual_bitop2_b32 v34, 7, v34 bitop3:0x40
	s_mov_b32 s33, exec_lo
	v_cmpx_gt_u32_e32 8, v79
; %bb.149:                              ;   in Loop: Header=BB192_9 Depth=1
	s_delay_alu instid0(VALU_DEP_2) | instskip(NEXT) | instid1(VALU_DEP_1)
	v_clz_i32_u32_e32 v74, v34
	v_min_u32_e32 v74, 32, v74
	s_delay_alu instid0(VALU_DEP_1) | instskip(NEXT) | instid1(VALU_DEP_1)
	v_subrev_nc_u32_e32 v75, 28, v74
	v_lshlrev_b64_e32 v[80:81], v75, v[34:35]
	s_delay_alu instid0(VALU_DEP_1)
	v_dual_sub_nc_u32 v74, 29, v74 :: v_dual_bitop2_b32 v34, 7, v80 bitop3:0x40
; %bb.150:                              ;   in Loop: Header=BB192_9 Depth=1
	s_or_b32 exec_lo, exec_lo, s33
	v_lshlrev_b32_e32 v75, 16, v78
	s_delay_alu instid0(VALU_DEP_2) | instskip(NEXT) | instid1(VALU_DEP_3)
	v_lshlrev_b32_e32 v34, 20, v34
	v_lshl_add_u32 v74, v74, 23, 0x3c000000
	s_delay_alu instid0(VALU_DEP_3) | instskip(NEXT) | instid1(VALU_DEP_1)
	v_and_b32_e32 v75, 0x80000000, v75
	v_or3_b32 v75, v34, v75, v74
	v_mov_b32_e32 v74, v35
.LBB192_151:                            ;   in Loop: Header=BB192_9 Depth=1
	s_or_b32 exec_lo, exec_lo, s31
.LBB192_152:                            ;   in Loop: Header=BB192_9 Depth=1
	s_delay_alu instid0(SALU_CYCLE_1)
	s_or_b32 exec_lo, exec_lo, s30
.LBB192_153:                            ;   in Loop: Header=BB192_9 Depth=1
	s_delay_alu instid0(SALU_CYCLE_1)
	s_or_b32 exec_lo, exec_lo, s29
	global_load_u16 v34, v[48:49], off offset:516
	v_mov_b64_e32 v[78:79], 0
	v_mov_b64_e32 v[80:81], 0
	s_mov_b32 s29, exec_lo
	s_wait_loadcnt 0x0
	v_and_b32_e32 v83, 0xff, v34
	v_and_b32_e32 v82, 0xffff, v34
	s_delay_alu instid0(VALU_DEP_2)
	v_cmpx_ne_u16_e32 0, v83
	s_cbranch_execz .LBB192_161
; %bb.154:                              ;   in Loop: Header=BB192_9 Depth=1
	v_mov_b64_e32 v[80:81], 0x80000000
	s_delay_alu instid0(VALU_DEP_3) | instskip(SKIP_1) | instid1(VALU_DEP_1)
	v_and_b32_e32 v34, 0xff, v82
	s_mov_b32 s30, exec_lo
	v_cmpx_ne_u16_e32 0x80, v34
	s_cbranch_execz .LBB192_160
; %bb.155:                              ;   in Loop: Header=BB192_9 Depth=1
	v_mov_b64_e32 v[80:81], 0x7f800001
	v_and_b32_e32 v83, 0x7f, v82
	s_mov_b32 s31, exec_lo
	s_delay_alu instid0(VALU_DEP_1)
	v_cmpx_ne_u32_e32 0x7f, v83
	s_cbranch_execz .LBB192_159
; %bb.156:                              ;   in Loop: Header=BB192_9 Depth=1
	v_dual_lshrrev_b32 v80, 3, v83 :: v_dual_bitop2_b32 v34, 7, v82 bitop3:0x40
	s_mov_b32 s33, exec_lo
	v_cmpx_gt_u32_e32 8, v83
; %bb.157:                              ;   in Loop: Header=BB192_9 Depth=1
	s_delay_alu instid0(VALU_DEP_2) | instskip(NEXT) | instid1(VALU_DEP_1)
	v_clz_i32_u32_e32 v80, v34
	v_min_u32_e32 v80, 32, v80
	s_delay_alu instid0(VALU_DEP_1) | instskip(SKIP_1) | instid1(VALU_DEP_2)
	v_subrev_nc_u32_e32 v81, 28, v80
	v_sub_nc_u32_e32 v80, 29, v80
	v_lshlrev_b64_e32 v[84:85], v81, v[34:35]
	s_delay_alu instid0(VALU_DEP_1)
	v_and_b32_e32 v34, 7, v84
; %bb.158:                              ;   in Loop: Header=BB192_9 Depth=1
	s_or_b32 exec_lo, exec_lo, s33
	v_lshlrev_b32_e32 v81, 24, v82
	s_delay_alu instid0(VALU_DEP_2) | instskip(SKIP_1) | instid1(VALU_DEP_3)
	v_lshlrev_b32_e32 v34, 20, v34
	v_lshl_add_u32 v80, v80, 23, 0x3c000000
	v_and_b32_e32 v81, 0x80000000, v81
	s_delay_alu instid0(VALU_DEP_1) | instskip(NEXT) | instid1(VALU_DEP_1)
	v_or3_b32 v34, v34, v81, v80
	v_mov_b64_e32 v[80:81], v[34:35]
.LBB192_159:                            ;   in Loop: Header=BB192_9 Depth=1
	s_or_b32 exec_lo, exec_lo, s31
.LBB192_160:                            ;   in Loop: Header=BB192_9 Depth=1
	s_delay_alu instid0(SALU_CYCLE_1)
	s_or_b32 exec_lo, exec_lo, s30
.LBB192_161:                            ;   in Loop: Header=BB192_9 Depth=1
	s_delay_alu instid0(SALU_CYCLE_1) | instskip(NEXT) | instid1(VALU_DEP_2)
	s_or_b32 exec_lo, exec_lo, s29
	v_lshrrev_b16 v34, 8, v82
	s_mov_b32 s29, exec_lo
	s_delay_alu instid0(VALU_DEP_1)
	v_cmpx_ne_u16_e32 0, v34
	s_cbranch_execz .LBB192_169
; %bb.162:                              ;   in Loop: Header=BB192_9 Depth=1
	v_mov_b64_e32 v[78:79], 0x8000000000000000
	s_mov_b32 s30, exec_lo
	v_cmpx_ne_u16_e32 0x80, v34
	s_cbranch_execz .LBB192_168
; %bb.163:                              ;   in Loop: Header=BB192_9 Depth=1
	v_and_b32_e32 v34, 0xffff, v34
	v_mov_b64_e32 v[78:79], 0x7f80000100000000
	s_mov_b32 s31, exec_lo
	s_delay_alu instid0(VALU_DEP_2) | instskip(NEXT) | instid1(VALU_DEP_1)
	v_and_b32_e32 v83, 0x7f, v34
	v_cmpx_ne_u32_e32 0x7f, v83
	s_cbranch_execz .LBB192_167
; %bb.164:                              ;   in Loop: Header=BB192_9 Depth=1
	v_dual_lshrrev_b32 v78, 3, v83 :: v_dual_bitop2_b32 v34, 7, v34 bitop3:0x40
	s_mov_b32 s33, exec_lo
	v_cmpx_gt_u32_e32 8, v83
; %bb.165:                              ;   in Loop: Header=BB192_9 Depth=1
	s_delay_alu instid0(VALU_DEP_2) | instskip(NEXT) | instid1(VALU_DEP_1)
	v_clz_i32_u32_e32 v78, v34
	v_min_u32_e32 v78, 32, v78
	s_delay_alu instid0(VALU_DEP_1) | instskip(NEXT) | instid1(VALU_DEP_1)
	v_subrev_nc_u32_e32 v79, 28, v78
	v_lshlrev_b64_e32 v[84:85], v79, v[34:35]
	s_delay_alu instid0(VALU_DEP_1)
	v_dual_sub_nc_u32 v78, 29, v78 :: v_dual_bitop2_b32 v34, 7, v84 bitop3:0x40
; %bb.166:                              ;   in Loop: Header=BB192_9 Depth=1
	s_or_b32 exec_lo, exec_lo, s33
	v_lshlrev_b32_e32 v79, 16, v82
	s_delay_alu instid0(VALU_DEP_2) | instskip(NEXT) | instid1(VALU_DEP_3)
	v_lshlrev_b32_e32 v34, 20, v34
	v_lshl_add_u32 v78, v78, 23, 0x3c000000
	s_delay_alu instid0(VALU_DEP_3) | instskip(NEXT) | instid1(VALU_DEP_1)
	v_and_b32_e32 v79, 0x80000000, v79
	v_or3_b32 v79, v34, v79, v78
	v_mov_b32_e32 v78, v35
.LBB192_167:                            ;   in Loop: Header=BB192_9 Depth=1
	s_or_b32 exec_lo, exec_lo, s31
.LBB192_168:                            ;   in Loop: Header=BB192_9 Depth=1
	s_delay_alu instid0(SALU_CYCLE_1)
	s_or_b32 exec_lo, exec_lo, s30
.LBB192_169:                            ;   in Loop: Header=BB192_9 Depth=1
	s_delay_alu instid0(SALU_CYCLE_1)
	s_or_b32 exec_lo, exec_lo, s29
	global_load_u16 v34, v[48:49], off offset:520
	v_mov_b64_e32 v[82:83], 0
	v_mov_b64_e32 v[84:85], 0
	s_mov_b32 s29, exec_lo
	s_wait_loadcnt 0x0
	v_and_b32_e32 v87, 0xff, v34
	v_and_b32_e32 v86, 0xffff, v34
	s_delay_alu instid0(VALU_DEP_2)
	v_cmpx_ne_u16_e32 0, v87
	s_cbranch_execz .LBB192_177
; %bb.170:                              ;   in Loop: Header=BB192_9 Depth=1
	v_mov_b64_e32 v[84:85], 0x80000000
	s_delay_alu instid0(VALU_DEP_3) | instskip(SKIP_1) | instid1(VALU_DEP_1)
	v_and_b32_e32 v34, 0xff, v86
	s_mov_b32 s30, exec_lo
	v_cmpx_ne_u16_e32 0x80, v34
	s_cbranch_execz .LBB192_176
; %bb.171:                              ;   in Loop: Header=BB192_9 Depth=1
	v_mov_b64_e32 v[84:85], 0x7f800001
	v_and_b32_e32 v87, 0x7f, v86
	s_mov_b32 s31, exec_lo
	s_delay_alu instid0(VALU_DEP_1)
	v_cmpx_ne_u32_e32 0x7f, v87
	s_cbranch_execz .LBB192_175
; %bb.172:                              ;   in Loop: Header=BB192_9 Depth=1
	v_dual_lshrrev_b32 v84, 3, v87 :: v_dual_bitop2_b32 v34, 7, v86 bitop3:0x40
	s_mov_b32 s33, exec_lo
	v_cmpx_gt_u32_e32 8, v87
; %bb.173:                              ;   in Loop: Header=BB192_9 Depth=1
	s_delay_alu instid0(VALU_DEP_2) | instskip(NEXT) | instid1(VALU_DEP_1)
	v_clz_i32_u32_e32 v84, v34
	v_min_u32_e32 v84, 32, v84
	s_delay_alu instid0(VALU_DEP_1) | instskip(SKIP_1) | instid1(VALU_DEP_2)
	v_subrev_nc_u32_e32 v85, 28, v84
	v_sub_nc_u32_e32 v84, 29, v84
	v_lshlrev_b64_e32 v[88:89], v85, v[34:35]
	s_delay_alu instid0(VALU_DEP_1)
	v_and_b32_e32 v34, 7, v88
; %bb.174:                              ;   in Loop: Header=BB192_9 Depth=1
	s_or_b32 exec_lo, exec_lo, s33
	v_lshlrev_b32_e32 v85, 24, v86
	s_delay_alu instid0(VALU_DEP_2) | instskip(SKIP_1) | instid1(VALU_DEP_3)
	v_lshlrev_b32_e32 v34, 20, v34
	v_lshl_add_u32 v84, v84, 23, 0x3c000000
	v_and_b32_e32 v85, 0x80000000, v85
	s_delay_alu instid0(VALU_DEP_1) | instskip(NEXT) | instid1(VALU_DEP_1)
	v_or3_b32 v34, v34, v85, v84
	v_mov_b64_e32 v[84:85], v[34:35]
.LBB192_175:                            ;   in Loop: Header=BB192_9 Depth=1
	s_or_b32 exec_lo, exec_lo, s31
.LBB192_176:                            ;   in Loop: Header=BB192_9 Depth=1
	s_delay_alu instid0(SALU_CYCLE_1)
	s_or_b32 exec_lo, exec_lo, s30
.LBB192_177:                            ;   in Loop: Header=BB192_9 Depth=1
	s_delay_alu instid0(SALU_CYCLE_1) | instskip(NEXT) | instid1(VALU_DEP_2)
	s_or_b32 exec_lo, exec_lo, s29
	v_lshrrev_b16 v34, 8, v86
	s_mov_b32 s29, exec_lo
	s_delay_alu instid0(VALU_DEP_1)
	v_cmpx_ne_u16_e32 0, v34
	s_cbranch_execz .LBB192_185
; %bb.178:                              ;   in Loop: Header=BB192_9 Depth=1
	v_mov_b64_e32 v[82:83], 0x8000000000000000
	s_mov_b32 s30, exec_lo
	v_cmpx_ne_u16_e32 0x80, v34
	s_cbranch_execz .LBB192_184
; %bb.179:                              ;   in Loop: Header=BB192_9 Depth=1
	v_and_b32_e32 v34, 0xffff, v34
	v_mov_b64_e32 v[82:83], 0x7f80000100000000
	s_mov_b32 s31, exec_lo
	s_delay_alu instid0(VALU_DEP_2) | instskip(NEXT) | instid1(VALU_DEP_1)
	v_and_b32_e32 v87, 0x7f, v34
	v_cmpx_ne_u32_e32 0x7f, v87
	s_cbranch_execz .LBB192_183
; %bb.180:                              ;   in Loop: Header=BB192_9 Depth=1
	v_dual_lshrrev_b32 v82, 3, v87 :: v_dual_bitop2_b32 v34, 7, v34 bitop3:0x40
	s_mov_b32 s33, exec_lo
	v_cmpx_gt_u32_e32 8, v87
; %bb.181:                              ;   in Loop: Header=BB192_9 Depth=1
	s_delay_alu instid0(VALU_DEP_2) | instskip(NEXT) | instid1(VALU_DEP_1)
	v_clz_i32_u32_e32 v82, v34
	v_min_u32_e32 v82, 32, v82
	s_delay_alu instid0(VALU_DEP_1) | instskip(NEXT) | instid1(VALU_DEP_1)
	v_subrev_nc_u32_e32 v83, 28, v82
	v_lshlrev_b64_e32 v[88:89], v83, v[34:35]
	s_delay_alu instid0(VALU_DEP_1)
	v_dual_sub_nc_u32 v82, 29, v82 :: v_dual_bitop2_b32 v34, 7, v88 bitop3:0x40
; %bb.182:                              ;   in Loop: Header=BB192_9 Depth=1
	s_or_b32 exec_lo, exec_lo, s33
	v_lshlrev_b32_e32 v83, 16, v86
	s_delay_alu instid0(VALU_DEP_2) | instskip(NEXT) | instid1(VALU_DEP_3)
	v_lshlrev_b32_e32 v34, 20, v34
	v_lshl_add_u32 v82, v82, 23, 0x3c000000
	s_delay_alu instid0(VALU_DEP_3) | instskip(NEXT) | instid1(VALU_DEP_1)
	v_and_b32_e32 v83, 0x80000000, v83
	v_or3_b32 v83, v34, v83, v82
	v_mov_b32_e32 v82, v35
.LBB192_183:                            ;   in Loop: Header=BB192_9 Depth=1
	s_or_b32 exec_lo, exec_lo, s31
.LBB192_184:                            ;   in Loop: Header=BB192_9 Depth=1
	s_delay_alu instid0(SALU_CYCLE_1)
	s_or_b32 exec_lo, exec_lo, s30
.LBB192_185:                            ;   in Loop: Header=BB192_9 Depth=1
	s_delay_alu instid0(SALU_CYCLE_1)
	s_or_b32 exec_lo, exec_lo, s29
	global_load_u16 v34, v[48:49], off offset:524
	v_mov_b64_e32 v[86:87], 0
	v_mov_b64_e32 v[88:89], 0
	s_mov_b32 s29, exec_lo
	s_wait_loadcnt 0x0
	v_and_b32_e32 v91, 0xff, v34
	v_and_b32_e32 v90, 0xffff, v34
	s_delay_alu instid0(VALU_DEP_2)
	v_cmpx_ne_u16_e32 0, v91
	s_cbranch_execz .LBB192_193
; %bb.186:                              ;   in Loop: Header=BB192_9 Depth=1
	v_mov_b64_e32 v[88:89], 0x80000000
	s_delay_alu instid0(VALU_DEP_3) | instskip(SKIP_1) | instid1(VALU_DEP_1)
	v_and_b32_e32 v34, 0xff, v90
	s_mov_b32 s30, exec_lo
	v_cmpx_ne_u16_e32 0x80, v34
	s_cbranch_execz .LBB192_192
; %bb.187:                              ;   in Loop: Header=BB192_9 Depth=1
	v_mov_b64_e32 v[88:89], 0x7f800001
	v_and_b32_e32 v91, 0x7f, v90
	s_mov_b32 s31, exec_lo
	s_delay_alu instid0(VALU_DEP_1)
	v_cmpx_ne_u32_e32 0x7f, v91
	s_cbranch_execz .LBB192_191
; %bb.188:                              ;   in Loop: Header=BB192_9 Depth=1
	v_dual_lshrrev_b32 v88, 3, v91 :: v_dual_bitop2_b32 v34, 7, v90 bitop3:0x40
	s_mov_b32 s33, exec_lo
	v_cmpx_gt_u32_e32 8, v91
; %bb.189:                              ;   in Loop: Header=BB192_9 Depth=1
	s_delay_alu instid0(VALU_DEP_2) | instskip(NEXT) | instid1(VALU_DEP_1)
	v_clz_i32_u32_e32 v88, v34
	v_min_u32_e32 v88, 32, v88
	s_delay_alu instid0(VALU_DEP_1) | instskip(SKIP_1) | instid1(VALU_DEP_2)
	v_subrev_nc_u32_e32 v89, 28, v88
	v_sub_nc_u32_e32 v88, 29, v88
	v_lshlrev_b64_e32 v[92:93], v89, v[34:35]
	s_delay_alu instid0(VALU_DEP_1)
	v_and_b32_e32 v34, 7, v92
; %bb.190:                              ;   in Loop: Header=BB192_9 Depth=1
	s_or_b32 exec_lo, exec_lo, s33
	v_lshlrev_b32_e32 v89, 24, v90
	s_delay_alu instid0(VALU_DEP_2) | instskip(SKIP_1) | instid1(VALU_DEP_3)
	v_lshlrev_b32_e32 v34, 20, v34
	v_lshl_add_u32 v88, v88, 23, 0x3c000000
	v_and_b32_e32 v89, 0x80000000, v89
	s_delay_alu instid0(VALU_DEP_1) | instskip(NEXT) | instid1(VALU_DEP_1)
	v_or3_b32 v34, v34, v89, v88
	v_mov_b64_e32 v[88:89], v[34:35]
.LBB192_191:                            ;   in Loop: Header=BB192_9 Depth=1
	s_or_b32 exec_lo, exec_lo, s31
.LBB192_192:                            ;   in Loop: Header=BB192_9 Depth=1
	s_delay_alu instid0(SALU_CYCLE_1)
	s_or_b32 exec_lo, exec_lo, s30
.LBB192_193:                            ;   in Loop: Header=BB192_9 Depth=1
	s_delay_alu instid0(SALU_CYCLE_1) | instskip(NEXT) | instid1(VALU_DEP_2)
	s_or_b32 exec_lo, exec_lo, s29
	v_lshrrev_b16 v34, 8, v90
	s_mov_b32 s29, exec_lo
	s_delay_alu instid0(VALU_DEP_1)
	v_cmpx_ne_u16_e32 0, v34
	s_cbranch_execz .LBB192_201
; %bb.194:                              ;   in Loop: Header=BB192_9 Depth=1
	v_mov_b64_e32 v[86:87], 0x8000000000000000
	s_mov_b32 s30, exec_lo
	v_cmpx_ne_u16_e32 0x80, v34
	s_cbranch_execz .LBB192_200
; %bb.195:                              ;   in Loop: Header=BB192_9 Depth=1
	v_and_b32_e32 v34, 0xffff, v34
	v_mov_b64_e32 v[86:87], 0x7f80000100000000
	s_mov_b32 s31, exec_lo
	s_delay_alu instid0(VALU_DEP_2) | instskip(NEXT) | instid1(VALU_DEP_1)
	v_and_b32_e32 v91, 0x7f, v34
	v_cmpx_ne_u32_e32 0x7f, v91
	s_cbranch_execz .LBB192_199
; %bb.196:                              ;   in Loop: Header=BB192_9 Depth=1
	v_dual_lshrrev_b32 v86, 3, v91 :: v_dual_bitop2_b32 v34, 7, v34 bitop3:0x40
	s_mov_b32 s33, exec_lo
	v_cmpx_gt_u32_e32 8, v91
; %bb.197:                              ;   in Loop: Header=BB192_9 Depth=1
	s_delay_alu instid0(VALU_DEP_2) | instskip(NEXT) | instid1(VALU_DEP_1)
	v_clz_i32_u32_e32 v86, v34
	v_min_u32_e32 v86, 32, v86
	s_delay_alu instid0(VALU_DEP_1) | instskip(NEXT) | instid1(VALU_DEP_1)
	v_subrev_nc_u32_e32 v87, 28, v86
	v_lshlrev_b64_e32 v[92:93], v87, v[34:35]
	s_delay_alu instid0(VALU_DEP_1)
	v_dual_sub_nc_u32 v86, 29, v86 :: v_dual_bitop2_b32 v34, 7, v92 bitop3:0x40
; %bb.198:                              ;   in Loop: Header=BB192_9 Depth=1
	s_or_b32 exec_lo, exec_lo, s33
	v_lshlrev_b32_e32 v87, 16, v90
	s_delay_alu instid0(VALU_DEP_2) | instskip(NEXT) | instid1(VALU_DEP_3)
	v_lshlrev_b32_e32 v34, 20, v34
	v_lshl_add_u32 v86, v86, 23, 0x3c000000
	s_delay_alu instid0(VALU_DEP_3) | instskip(NEXT) | instid1(VALU_DEP_1)
	v_and_b32_e32 v87, 0x80000000, v87
	v_or3_b32 v87, v34, v87, v86
	v_mov_b32_e32 v86, v35
.LBB192_199:                            ;   in Loop: Header=BB192_9 Depth=1
	s_or_b32 exec_lo, exec_lo, s31
.LBB192_200:                            ;   in Loop: Header=BB192_9 Depth=1
	s_delay_alu instid0(SALU_CYCLE_1)
	s_or_b32 exec_lo, exec_lo, s30
.LBB192_201:                            ;   in Loop: Header=BB192_9 Depth=1
	s_delay_alu instid0(SALU_CYCLE_1)
	s_or_b32 exec_lo, exec_lo, s29
	global_load_u16 v34, v[48:49], off offset:768
	v_mov_b64_e32 v[90:91], 0
	v_mov_b64_e32 v[92:93], 0
	s_mov_b32 s29, exec_lo
	s_wait_loadcnt 0x0
	v_and_b32_e32 v95, 0xff, v34
	v_and_b32_e32 v94, 0xffff, v34
	s_delay_alu instid0(VALU_DEP_2)
	v_cmpx_ne_u16_e32 0, v95
	s_cbranch_execz .LBB192_209
; %bb.202:                              ;   in Loop: Header=BB192_9 Depth=1
	v_mov_b64_e32 v[92:93], 0x80000000
	s_delay_alu instid0(VALU_DEP_3) | instskip(SKIP_1) | instid1(VALU_DEP_1)
	v_and_b32_e32 v34, 0xff, v94
	s_mov_b32 s30, exec_lo
	v_cmpx_ne_u16_e32 0x80, v34
	s_cbranch_execz .LBB192_208
; %bb.203:                              ;   in Loop: Header=BB192_9 Depth=1
	v_mov_b64_e32 v[92:93], 0x7f800001
	v_and_b32_e32 v95, 0x7f, v94
	s_mov_b32 s31, exec_lo
	s_delay_alu instid0(VALU_DEP_1)
	v_cmpx_ne_u32_e32 0x7f, v95
	s_cbranch_execz .LBB192_207
; %bb.204:                              ;   in Loop: Header=BB192_9 Depth=1
	v_dual_lshrrev_b32 v92, 3, v95 :: v_dual_bitop2_b32 v34, 7, v94 bitop3:0x40
	s_mov_b32 s33, exec_lo
	v_cmpx_gt_u32_e32 8, v95
; %bb.205:                              ;   in Loop: Header=BB192_9 Depth=1
	s_delay_alu instid0(VALU_DEP_2) | instskip(NEXT) | instid1(VALU_DEP_1)
	v_clz_i32_u32_e32 v92, v34
	v_min_u32_e32 v92, 32, v92
	s_delay_alu instid0(VALU_DEP_1) | instskip(SKIP_1) | instid1(VALU_DEP_2)
	v_subrev_nc_u32_e32 v93, 28, v92
	v_sub_nc_u32_e32 v92, 29, v92
	v_lshlrev_b64_e32 v[96:97], v93, v[34:35]
	s_delay_alu instid0(VALU_DEP_1)
	v_and_b32_e32 v34, 7, v96
; %bb.206:                              ;   in Loop: Header=BB192_9 Depth=1
	s_or_b32 exec_lo, exec_lo, s33
	v_lshlrev_b32_e32 v93, 24, v94
	s_delay_alu instid0(VALU_DEP_2) | instskip(SKIP_1) | instid1(VALU_DEP_3)
	v_lshlrev_b32_e32 v34, 20, v34
	v_lshl_add_u32 v92, v92, 23, 0x3c000000
	v_and_b32_e32 v93, 0x80000000, v93
	s_delay_alu instid0(VALU_DEP_1) | instskip(NEXT) | instid1(VALU_DEP_1)
	v_or3_b32 v34, v34, v93, v92
	v_mov_b64_e32 v[92:93], v[34:35]
.LBB192_207:                            ;   in Loop: Header=BB192_9 Depth=1
	s_or_b32 exec_lo, exec_lo, s31
.LBB192_208:                            ;   in Loop: Header=BB192_9 Depth=1
	s_delay_alu instid0(SALU_CYCLE_1)
	s_or_b32 exec_lo, exec_lo, s30
.LBB192_209:                            ;   in Loop: Header=BB192_9 Depth=1
	s_delay_alu instid0(SALU_CYCLE_1) | instskip(NEXT) | instid1(VALU_DEP_2)
	s_or_b32 exec_lo, exec_lo, s29
	v_lshrrev_b16 v34, 8, v94
	s_mov_b32 s29, exec_lo
	s_delay_alu instid0(VALU_DEP_1)
	v_cmpx_ne_u16_e32 0, v34
	s_cbranch_execz .LBB192_217
; %bb.210:                              ;   in Loop: Header=BB192_9 Depth=1
	v_mov_b64_e32 v[90:91], 0x8000000000000000
	s_mov_b32 s30, exec_lo
	v_cmpx_ne_u16_e32 0x80, v34
	s_cbranch_execz .LBB192_216
; %bb.211:                              ;   in Loop: Header=BB192_9 Depth=1
	v_and_b32_e32 v34, 0xffff, v34
	v_mov_b64_e32 v[90:91], 0x7f80000100000000
	s_mov_b32 s31, exec_lo
	s_delay_alu instid0(VALU_DEP_2) | instskip(NEXT) | instid1(VALU_DEP_1)
	v_and_b32_e32 v95, 0x7f, v34
	v_cmpx_ne_u32_e32 0x7f, v95
	s_cbranch_execz .LBB192_215
; %bb.212:                              ;   in Loop: Header=BB192_9 Depth=1
	v_dual_lshrrev_b32 v90, 3, v95 :: v_dual_bitop2_b32 v34, 7, v34 bitop3:0x40
	s_mov_b32 s33, exec_lo
	v_cmpx_gt_u32_e32 8, v95
; %bb.213:                              ;   in Loop: Header=BB192_9 Depth=1
	s_delay_alu instid0(VALU_DEP_2) | instskip(NEXT) | instid1(VALU_DEP_1)
	v_clz_i32_u32_e32 v90, v34
	v_min_u32_e32 v90, 32, v90
	s_delay_alu instid0(VALU_DEP_1) | instskip(NEXT) | instid1(VALU_DEP_1)
	v_subrev_nc_u32_e32 v91, 28, v90
	v_lshlrev_b64_e32 v[96:97], v91, v[34:35]
	s_delay_alu instid0(VALU_DEP_1)
	v_dual_sub_nc_u32 v90, 29, v90 :: v_dual_bitop2_b32 v34, 7, v96 bitop3:0x40
; %bb.214:                              ;   in Loop: Header=BB192_9 Depth=1
	s_or_b32 exec_lo, exec_lo, s33
	v_lshlrev_b32_e32 v91, 16, v94
	s_delay_alu instid0(VALU_DEP_2) | instskip(NEXT) | instid1(VALU_DEP_3)
	v_lshlrev_b32_e32 v34, 20, v34
	v_lshl_add_u32 v90, v90, 23, 0x3c000000
	s_delay_alu instid0(VALU_DEP_3) | instskip(NEXT) | instid1(VALU_DEP_1)
	v_and_b32_e32 v91, 0x80000000, v91
	v_or3_b32 v91, v34, v91, v90
	v_mov_b32_e32 v90, v35
.LBB192_215:                            ;   in Loop: Header=BB192_9 Depth=1
	s_or_b32 exec_lo, exec_lo, s31
.LBB192_216:                            ;   in Loop: Header=BB192_9 Depth=1
	s_delay_alu instid0(SALU_CYCLE_1)
	s_or_b32 exec_lo, exec_lo, s30
.LBB192_217:                            ;   in Loop: Header=BB192_9 Depth=1
	s_delay_alu instid0(SALU_CYCLE_1)
	s_or_b32 exec_lo, exec_lo, s29
	global_load_u16 v34, v[48:49], off offset:772
	v_mov_b64_e32 v[94:95], 0
	v_mov_b64_e32 v[96:97], 0
	s_mov_b32 s29, exec_lo
	s_wait_loadcnt 0x0
	v_and_b32_e32 v99, 0xff, v34
	v_and_b32_e32 v98, 0xffff, v34
	s_delay_alu instid0(VALU_DEP_2)
	v_cmpx_ne_u16_e32 0, v99
	s_cbranch_execz .LBB192_225
; %bb.218:                              ;   in Loop: Header=BB192_9 Depth=1
	v_mov_b64_e32 v[96:97], 0x80000000
	s_delay_alu instid0(VALU_DEP_3) | instskip(SKIP_1) | instid1(VALU_DEP_1)
	v_and_b32_e32 v34, 0xff, v98
	s_mov_b32 s30, exec_lo
	v_cmpx_ne_u16_e32 0x80, v34
	s_cbranch_execz .LBB192_224
; %bb.219:                              ;   in Loop: Header=BB192_9 Depth=1
	v_mov_b64_e32 v[96:97], 0x7f800001
	v_and_b32_e32 v99, 0x7f, v98
	s_mov_b32 s31, exec_lo
	s_delay_alu instid0(VALU_DEP_1)
	v_cmpx_ne_u32_e32 0x7f, v99
	s_cbranch_execz .LBB192_223
; %bb.220:                              ;   in Loop: Header=BB192_9 Depth=1
	v_dual_lshrrev_b32 v96, 3, v99 :: v_dual_bitop2_b32 v34, 7, v98 bitop3:0x40
	s_mov_b32 s33, exec_lo
	v_cmpx_gt_u32_e32 8, v99
; %bb.221:                              ;   in Loop: Header=BB192_9 Depth=1
	s_delay_alu instid0(VALU_DEP_2) | instskip(NEXT) | instid1(VALU_DEP_1)
	v_clz_i32_u32_e32 v96, v34
	v_min_u32_e32 v96, 32, v96
	s_delay_alu instid0(VALU_DEP_1) | instskip(SKIP_1) | instid1(VALU_DEP_2)
	v_subrev_nc_u32_e32 v97, 28, v96
	v_sub_nc_u32_e32 v96, 29, v96
	v_lshlrev_b64_e32 v[100:101], v97, v[34:35]
	s_delay_alu instid0(VALU_DEP_1)
	v_and_b32_e32 v34, 7, v100
; %bb.222:                              ;   in Loop: Header=BB192_9 Depth=1
	s_or_b32 exec_lo, exec_lo, s33
	v_lshlrev_b32_e32 v97, 24, v98
	s_delay_alu instid0(VALU_DEP_2) | instskip(SKIP_1) | instid1(VALU_DEP_3)
	v_lshlrev_b32_e32 v34, 20, v34
	v_lshl_add_u32 v96, v96, 23, 0x3c000000
	v_and_b32_e32 v97, 0x80000000, v97
	s_delay_alu instid0(VALU_DEP_1) | instskip(NEXT) | instid1(VALU_DEP_1)
	v_or3_b32 v34, v34, v97, v96
	v_mov_b64_e32 v[96:97], v[34:35]
.LBB192_223:                            ;   in Loop: Header=BB192_9 Depth=1
	s_or_b32 exec_lo, exec_lo, s31
.LBB192_224:                            ;   in Loop: Header=BB192_9 Depth=1
	s_delay_alu instid0(SALU_CYCLE_1)
	s_or_b32 exec_lo, exec_lo, s30
.LBB192_225:                            ;   in Loop: Header=BB192_9 Depth=1
	s_delay_alu instid0(SALU_CYCLE_1) | instskip(NEXT) | instid1(VALU_DEP_2)
	s_or_b32 exec_lo, exec_lo, s29
	v_lshrrev_b16 v34, 8, v98
	s_mov_b32 s29, exec_lo
	s_delay_alu instid0(VALU_DEP_1)
	v_cmpx_ne_u16_e32 0, v34
	s_cbranch_execz .LBB192_233
; %bb.226:                              ;   in Loop: Header=BB192_9 Depth=1
	v_mov_b64_e32 v[94:95], 0x8000000000000000
	s_mov_b32 s30, exec_lo
	v_cmpx_ne_u16_e32 0x80, v34
	s_cbranch_execz .LBB192_232
; %bb.227:                              ;   in Loop: Header=BB192_9 Depth=1
	v_and_b32_e32 v34, 0xffff, v34
	v_mov_b64_e32 v[94:95], 0x7f80000100000000
	s_mov_b32 s31, exec_lo
	s_delay_alu instid0(VALU_DEP_2) | instskip(NEXT) | instid1(VALU_DEP_1)
	v_and_b32_e32 v99, 0x7f, v34
	v_cmpx_ne_u32_e32 0x7f, v99
	s_cbranch_execz .LBB192_231
; %bb.228:                              ;   in Loop: Header=BB192_9 Depth=1
	v_dual_lshrrev_b32 v94, 3, v99 :: v_dual_bitop2_b32 v34, 7, v34 bitop3:0x40
	s_mov_b32 s33, exec_lo
	v_cmpx_gt_u32_e32 8, v99
; %bb.229:                              ;   in Loop: Header=BB192_9 Depth=1
	s_delay_alu instid0(VALU_DEP_2) | instskip(NEXT) | instid1(VALU_DEP_1)
	v_clz_i32_u32_e32 v94, v34
	v_min_u32_e32 v94, 32, v94
	s_delay_alu instid0(VALU_DEP_1) | instskip(NEXT) | instid1(VALU_DEP_1)
	v_subrev_nc_u32_e32 v95, 28, v94
	v_lshlrev_b64_e32 v[100:101], v95, v[34:35]
	s_delay_alu instid0(VALU_DEP_1)
	v_dual_sub_nc_u32 v94, 29, v94 :: v_dual_bitop2_b32 v34, 7, v100 bitop3:0x40
; %bb.230:                              ;   in Loop: Header=BB192_9 Depth=1
	s_or_b32 exec_lo, exec_lo, s33
	v_lshlrev_b32_e32 v95, 16, v98
	s_delay_alu instid0(VALU_DEP_2) | instskip(NEXT) | instid1(VALU_DEP_3)
	v_lshlrev_b32_e32 v34, 20, v34
	v_lshl_add_u32 v94, v94, 23, 0x3c000000
	s_delay_alu instid0(VALU_DEP_3) | instskip(NEXT) | instid1(VALU_DEP_1)
	v_and_b32_e32 v95, 0x80000000, v95
	v_or3_b32 v95, v34, v95, v94
	v_mov_b32_e32 v94, v35
.LBB192_231:                            ;   in Loop: Header=BB192_9 Depth=1
	s_or_b32 exec_lo, exec_lo, s31
.LBB192_232:                            ;   in Loop: Header=BB192_9 Depth=1
	s_delay_alu instid0(SALU_CYCLE_1)
	s_or_b32 exec_lo, exec_lo, s30
.LBB192_233:                            ;   in Loop: Header=BB192_9 Depth=1
	s_delay_alu instid0(SALU_CYCLE_1)
	s_or_b32 exec_lo, exec_lo, s29
	global_load_u16 v34, v[48:49], off offset:776
	v_mov_b64_e32 v[98:99], 0
	v_mov_b64_e32 v[100:101], 0
	s_mov_b32 s29, exec_lo
	s_wait_loadcnt 0x0
	v_and_b32_e32 v103, 0xff, v34
	v_and_b32_e32 v102, 0xffff, v34
	s_delay_alu instid0(VALU_DEP_2)
	v_cmpx_ne_u16_e32 0, v103
	s_cbranch_execz .LBB192_241
; %bb.234:                              ;   in Loop: Header=BB192_9 Depth=1
	v_mov_b64_e32 v[100:101], 0x80000000
	s_delay_alu instid0(VALU_DEP_3) | instskip(SKIP_1) | instid1(VALU_DEP_1)
	v_and_b32_e32 v34, 0xff, v102
	s_mov_b32 s30, exec_lo
	v_cmpx_ne_u16_e32 0x80, v34
	s_cbranch_execz .LBB192_240
; %bb.235:                              ;   in Loop: Header=BB192_9 Depth=1
	v_mov_b64_e32 v[100:101], 0x7f800001
	v_and_b32_e32 v103, 0x7f, v102
	s_mov_b32 s31, exec_lo
	s_delay_alu instid0(VALU_DEP_1)
	v_cmpx_ne_u32_e32 0x7f, v103
	s_cbranch_execz .LBB192_239
; %bb.236:                              ;   in Loop: Header=BB192_9 Depth=1
	v_dual_lshrrev_b32 v100, 3, v103 :: v_dual_bitop2_b32 v34, 7, v102 bitop3:0x40
	s_mov_b32 s33, exec_lo
	v_cmpx_gt_u32_e32 8, v103
; %bb.237:                              ;   in Loop: Header=BB192_9 Depth=1
	s_delay_alu instid0(VALU_DEP_2) | instskip(NEXT) | instid1(VALU_DEP_1)
	v_clz_i32_u32_e32 v100, v34
	v_min_u32_e32 v100, 32, v100
	s_delay_alu instid0(VALU_DEP_1) | instskip(SKIP_1) | instid1(VALU_DEP_2)
	v_subrev_nc_u32_e32 v101, 28, v100
	v_sub_nc_u32_e32 v100, 29, v100
	v_lshlrev_b64_e32 v[104:105], v101, v[34:35]
	s_delay_alu instid0(VALU_DEP_1)
	v_and_b32_e32 v34, 7, v104
; %bb.238:                              ;   in Loop: Header=BB192_9 Depth=1
	s_or_b32 exec_lo, exec_lo, s33
	v_lshlrev_b32_e32 v101, 24, v102
	s_delay_alu instid0(VALU_DEP_2) | instskip(SKIP_1) | instid1(VALU_DEP_3)
	v_lshlrev_b32_e32 v34, 20, v34
	v_lshl_add_u32 v100, v100, 23, 0x3c000000
	v_and_b32_e32 v101, 0x80000000, v101
	s_delay_alu instid0(VALU_DEP_1) | instskip(NEXT) | instid1(VALU_DEP_1)
	v_or3_b32 v34, v34, v101, v100
	v_mov_b64_e32 v[100:101], v[34:35]
.LBB192_239:                            ;   in Loop: Header=BB192_9 Depth=1
	s_or_b32 exec_lo, exec_lo, s31
.LBB192_240:                            ;   in Loop: Header=BB192_9 Depth=1
	s_delay_alu instid0(SALU_CYCLE_1)
	s_or_b32 exec_lo, exec_lo, s30
.LBB192_241:                            ;   in Loop: Header=BB192_9 Depth=1
	s_delay_alu instid0(SALU_CYCLE_1) | instskip(NEXT) | instid1(VALU_DEP_2)
	s_or_b32 exec_lo, exec_lo, s29
	v_lshrrev_b16 v34, 8, v102
	s_mov_b32 s29, exec_lo
	s_delay_alu instid0(VALU_DEP_1)
	v_cmpx_ne_u16_e32 0, v34
	s_cbranch_execz .LBB192_249
; %bb.242:                              ;   in Loop: Header=BB192_9 Depth=1
	v_mov_b64_e32 v[98:99], 0x8000000000000000
	s_mov_b32 s30, exec_lo
	v_cmpx_ne_u16_e32 0x80, v34
	s_cbranch_execz .LBB192_248
; %bb.243:                              ;   in Loop: Header=BB192_9 Depth=1
	v_and_b32_e32 v34, 0xffff, v34
	v_mov_b64_e32 v[98:99], 0x7f80000100000000
	s_mov_b32 s31, exec_lo
	s_delay_alu instid0(VALU_DEP_2) | instskip(NEXT) | instid1(VALU_DEP_1)
	v_and_b32_e32 v103, 0x7f, v34
	v_cmpx_ne_u32_e32 0x7f, v103
	s_cbranch_execz .LBB192_247
; %bb.244:                              ;   in Loop: Header=BB192_9 Depth=1
	v_dual_lshrrev_b32 v98, 3, v103 :: v_dual_bitop2_b32 v34, 7, v34 bitop3:0x40
	s_mov_b32 s33, exec_lo
	v_cmpx_gt_u32_e32 8, v103
; %bb.245:                              ;   in Loop: Header=BB192_9 Depth=1
	s_delay_alu instid0(VALU_DEP_2) | instskip(NEXT) | instid1(VALU_DEP_1)
	v_clz_i32_u32_e32 v98, v34
	v_min_u32_e32 v98, 32, v98
	s_delay_alu instid0(VALU_DEP_1) | instskip(NEXT) | instid1(VALU_DEP_1)
	v_subrev_nc_u32_e32 v99, 28, v98
	v_lshlrev_b64_e32 v[104:105], v99, v[34:35]
	s_delay_alu instid0(VALU_DEP_1)
	v_dual_sub_nc_u32 v98, 29, v98 :: v_dual_bitop2_b32 v34, 7, v104 bitop3:0x40
; %bb.246:                              ;   in Loop: Header=BB192_9 Depth=1
	s_or_b32 exec_lo, exec_lo, s33
	v_lshlrev_b32_e32 v99, 16, v102
	s_delay_alu instid0(VALU_DEP_2) | instskip(NEXT) | instid1(VALU_DEP_3)
	v_lshlrev_b32_e32 v34, 20, v34
	v_lshl_add_u32 v98, v98, 23, 0x3c000000
	s_delay_alu instid0(VALU_DEP_3) | instskip(NEXT) | instid1(VALU_DEP_1)
	v_and_b32_e32 v99, 0x80000000, v99
	v_or3_b32 v99, v34, v99, v98
	v_mov_b32_e32 v98, v35
.LBB192_247:                            ;   in Loop: Header=BB192_9 Depth=1
	s_or_b32 exec_lo, exec_lo, s31
.LBB192_248:                            ;   in Loop: Header=BB192_9 Depth=1
	s_delay_alu instid0(SALU_CYCLE_1)
	s_or_b32 exec_lo, exec_lo, s30
.LBB192_249:                            ;   in Loop: Header=BB192_9 Depth=1
	s_delay_alu instid0(SALU_CYCLE_1)
	s_or_b32 exec_lo, exec_lo, s29
	global_load_u16 v34, v[48:49], off offset:780
	s_wait_xcnt 0x0
	v_mov_b64_e32 v[48:49], 0
	v_mov_b64_e32 v[102:103], 0
	s_mov_b32 s29, exec_lo
	s_wait_loadcnt 0x0
	v_and_b32_e32 v105, 0xff, v34
	v_and_b32_e32 v104, 0xffff, v34
	s_delay_alu instid0(VALU_DEP_2)
	v_cmpx_ne_u16_e32 0, v105
	s_cbranch_execz .LBB192_257
; %bb.250:                              ;   in Loop: Header=BB192_9 Depth=1
	v_mov_b64_e32 v[102:103], 0x80000000
	s_delay_alu instid0(VALU_DEP_3) | instskip(SKIP_1) | instid1(VALU_DEP_1)
	v_and_b32_e32 v34, 0xff, v104
	s_mov_b32 s30, exec_lo
	v_cmpx_ne_u16_e32 0x80, v34
	s_cbranch_execz .LBB192_256
; %bb.251:                              ;   in Loop: Header=BB192_9 Depth=1
	v_mov_b64_e32 v[102:103], 0x7f800001
	v_and_b32_e32 v105, 0x7f, v104
	s_mov_b32 s31, exec_lo
	s_delay_alu instid0(VALU_DEP_1)
	v_cmpx_ne_u32_e32 0x7f, v105
	s_cbranch_execz .LBB192_255
; %bb.252:                              ;   in Loop: Header=BB192_9 Depth=1
	v_dual_lshrrev_b32 v102, 3, v105 :: v_dual_bitop2_b32 v34, 7, v104 bitop3:0x40
	s_mov_b32 s33, exec_lo
	v_cmpx_gt_u32_e32 8, v105
; %bb.253:                              ;   in Loop: Header=BB192_9 Depth=1
	s_delay_alu instid0(VALU_DEP_2) | instskip(NEXT) | instid1(VALU_DEP_1)
	v_clz_i32_u32_e32 v102, v34
	v_min_u32_e32 v102, 32, v102
	s_delay_alu instid0(VALU_DEP_1) | instskip(NEXT) | instid1(VALU_DEP_1)
	v_subrev_nc_u32_e32 v103, 28, v102
	v_lshlrev_b64_e32 v[116:117], v103, v[34:35]
	s_delay_alu instid0(VALU_DEP_1)
	v_dual_sub_nc_u32 v102, 29, v102 :: v_dual_bitop2_b32 v34, 7, v116 bitop3:0x40
; %bb.254:                              ;   in Loop: Header=BB192_9 Depth=1
	s_or_b32 exec_lo, exec_lo, s33
	s_delay_alu instid0(VALU_DEP_1) | instskip(NEXT) | instid1(VALU_DEP_2)
	v_dual_lshlrev_b32 v103, 24, v104 :: v_dual_lshlrev_b32 v34, 20, v34
	v_lshl_add_u32 v102, v102, 23, 0x3c000000
	s_delay_alu instid0(VALU_DEP_2) | instskip(NEXT) | instid1(VALU_DEP_1)
	v_and_b32_e32 v103, 0x80000000, v103
	v_or3_b32 v34, v34, v103, v102
	s_delay_alu instid0(VALU_DEP_1)
	v_mov_b64_e32 v[102:103], v[34:35]
.LBB192_255:                            ;   in Loop: Header=BB192_9 Depth=1
	s_or_b32 exec_lo, exec_lo, s31
.LBB192_256:                            ;   in Loop: Header=BB192_9 Depth=1
	s_delay_alu instid0(SALU_CYCLE_1)
	s_or_b32 exec_lo, exec_lo, s30
.LBB192_257:                            ;   in Loop: Header=BB192_9 Depth=1
	s_delay_alu instid0(SALU_CYCLE_1) | instskip(NEXT) | instid1(VALU_DEP_2)
	s_or_b32 exec_lo, exec_lo, s29
	v_lshrrev_b16 v34, 8, v104
	s_mov_b32 s29, exec_lo
	s_delay_alu instid0(VALU_DEP_1)
	v_cmpx_ne_u16_e32 0, v34
	s_cbranch_execz .LBB192_265
; %bb.258:                              ;   in Loop: Header=BB192_9 Depth=1
	v_mov_b64_e32 v[48:49], 0x8000000000000000
	s_mov_b32 s30, exec_lo
	v_cmpx_ne_u16_e32 0x80, v34
	s_cbranch_execz .LBB192_264
; %bb.259:                              ;   in Loop: Header=BB192_9 Depth=1
	v_and_b32_e32 v34, 0xffff, v34
	v_mov_b64_e32 v[48:49], 0x7f80000100000000
	s_mov_b32 s31, exec_lo
	s_delay_alu instid0(VALU_DEP_2) | instskip(NEXT) | instid1(VALU_DEP_1)
	v_and_b32_e32 v105, 0x7f, v34
	v_cmpx_ne_u32_e32 0x7f, v105
	s_cbranch_execz .LBB192_263
; %bb.260:                              ;   in Loop: Header=BB192_9 Depth=1
	v_dual_lshrrev_b32 v48, 3, v105 :: v_dual_bitop2_b32 v34, 7, v34 bitop3:0x40
	s_mov_b32 s33, exec_lo
	v_cmpx_gt_u32_e32 8, v105
; %bb.261:                              ;   in Loop: Header=BB192_9 Depth=1
	s_delay_alu instid0(VALU_DEP_2) | instskip(NEXT) | instid1(VALU_DEP_1)
	v_clz_i32_u32_e32 v48, v34
	v_min_u32_e32 v48, 32, v48
	s_delay_alu instid0(VALU_DEP_1) | instskip(SKIP_1) | instid1(VALU_DEP_2)
	v_subrev_nc_u32_e32 v49, 28, v48
	v_sub_nc_u32_e32 v48, 29, v48
	v_lshlrev_b64_e32 v[116:117], v49, v[34:35]
	s_delay_alu instid0(VALU_DEP_1)
	v_and_b32_e32 v34, 7, v116
; %bb.262:                              ;   in Loop: Header=BB192_9 Depth=1
	s_or_b32 exec_lo, exec_lo, s33
	s_delay_alu instid0(VALU_DEP_1) | instskip(SKIP_1) | instid1(VALU_DEP_2)
	v_dual_lshlrev_b32 v49, 16, v104 :: v_dual_lshlrev_b32 v34, 20, v34
	v_lshl_add_u32 v48, v48, 23, 0x3c000000
	v_and_b32_e32 v49, 0x80000000, v49
	s_delay_alu instid0(VALU_DEP_1)
	v_or3_b32 v49, v34, v49, v48
	v_mov_b32_e32 v48, v35
.LBB192_263:                            ;   in Loop: Header=BB192_9 Depth=1
	s_or_b32 exec_lo, exec_lo, s31
.LBB192_264:                            ;   in Loop: Header=BB192_9 Depth=1
	s_delay_alu instid0(SALU_CYCLE_1)
	s_or_b32 exec_lo, exec_lo, s30
.LBB192_265:                            ;   in Loop: Header=BB192_9 Depth=1
	s_delay_alu instid0(SALU_CYCLE_1)
	s_or_b32 exec_lo, exec_lo, s29
	v_mov_b64_e32 v[104:105], s[20:21]
	v_or_b32_e32 v45, v45, v47
	v_or_b32_e32 v44, v44, v46
	;; [unrolled: 1-line block ×4, first 2 shown]
	s_delay_alu instid0(VALU_DEP_3) | instskip(NEXT) | instid1(VALU_DEP_2)
	v_pk_mul_f32 v[42:43], v[104:105], v[44:45]
	v_pk_mul_f32 v[40:41], v[104:105], v[40:41]
	s_wait_dscnt 0x7
	s_delay_alu instid0(VALU_DEP_2) | instskip(NEXT) | instid1(VALU_DEP_1)
	v_dual_mul_f32 v34, v4, v42 :: v_dual_mul_f32 v46, v5, v43
	v_dual_fmac_f32 v34, v2, v40 :: v_dual_bitop2_b32 v45, v51, v53 bitop3:0x54
	s_delay_alu instid0(VALU_DEP_2) | instskip(NEXT) | instid1(VALU_DEP_1)
	v_dual_fmac_f32 v46, v3, v41 :: v_dual_bitop2_b32 v44, v50, v52 bitop3:0x54
	v_pk_mul_f32 v[44:45], v[104:105], v[44:45]
	s_wait_dscnt 0x6
	s_delay_alu instid0(VALU_DEP_1) | instskip(NEXT) | instid1(VALU_DEP_2)
	v_dual_fmac_f32 v34, v6, v44 :: v_dual_bitop2_b32 v43, v55, v57 bitop3:0x54
	v_dual_fmac_f32 v46, v7, v45 :: v_dual_bitop2_b32 v42, v54, v56 bitop3:0x54
	s_delay_alu instid0(VALU_DEP_1) | instskip(NEXT) | instid1(VALU_DEP_1)
	v_pk_mul_f32 v[42:43], v[104:105], v[42:43]
	v_dual_fmac_f32 v34, v8, v42 :: v_dual_bitop2_b32 v41, v59, v61 bitop3:0x54
	s_delay_alu instid0(VALU_DEP_2) | instskip(NEXT) | instid1(VALU_DEP_1)
	v_dual_fmac_f32 v46, v9, v43 :: v_dual_bitop2_b32 v40, v58, v60 bitop3:0x54
	v_pk_mul_f32 v[40:41], v[104:105], v[40:41]
	s_wait_dscnt 0x5
	s_delay_alu instid0(VALU_DEP_1) | instskip(NEXT) | instid1(VALU_DEP_2)
	v_dual_fmac_f32 v34, v10, v40 :: v_dual_bitop2_b32 v45, v63, v65 bitop3:0x54
	v_dual_fmac_f32 v46, v11, v41 :: v_dual_bitop2_b32 v44, v62, v64 bitop3:0x54
	s_delay_alu instid0(VALU_DEP_1) | instskip(NEXT) | instid1(VALU_DEP_1)
	v_pk_mul_f32 v[44:45], v[104:105], v[44:45]
	;; [unrolled: 10-line block ×7, first 2 shown]
	v_fmac_f32_e32 v34, v32, v40
	s_delay_alu instid0(VALU_DEP_2) | instskip(NEXT) | instid1(VALU_DEP_1)
	v_fmac_f32_e32 v46, v33, v41
	v_add_f32_e32 v34, v34, v46
	ds_bpermute_b32 v40, v111, v34
	s_and_saveexec_b32 s29, vcc_lo
	s_cbranch_execz .LBB192_8
; %bb.266:                              ;   in Loop: Header=BB192_9 Depth=1
	s_wait_dscnt 0x0
	v_add_f32_e32 v34, v34, v40
	v_add_nc_u32_e32 v41, s28, v112
	v_cmp_gt_i32_e64 s5, s25, v112
	s_delay_alu instid0(VALU_DEP_2) | instskip(NEXT) | instid1(VALU_DEP_1)
	v_cvt_f32_i32_e32 v41, v41
	v_mul_f32_e32 v41, s26, v41
	s_delay_alu instid0(VALU_DEP_1) | instskip(NEXT) | instid1(VALU_DEP_1)
	v_dual_cndmask_b32 v40, 0, v41, s4 :: v_dual_max_num_f32 v41, v110, v110
	v_fmac_f32_e32 v40, s11, v34
	s_delay_alu instid0(VALU_DEP_1) | instskip(NEXT) | instid1(VALU_DEP_1)
	v_dual_max_num_f32 v34, v41, v40 :: v_dual_cndmask_b32 v40, 0, v40, s5
	v_cndmask_b32_e64 v110, v110, v34, s5
	ds_store_b32 v113, v40
	s_branch .LBB192_8
.LBB192_267:
	s_or_b32 exec_lo, exec_lo, s19
.LBB192_268:
	s_delay_alu instid0(SALU_CYCLE_1)
	s_or_b32 exec_lo, exec_lo, s27
	v_dual_max_num_f32 v5, v110, v110 :: v_dual_bitop2_b32 v2, 16, v108 bitop3:0x14
	s_clause 0x1
	s_load_b64 s[10:11], s[0:1], 0x0
	s_load_b64 s[20:21], s[0:1], 0x18
	v_xor_b32_e32 v4, 8, v108
	v_and_b32_e32 v56, 31, v0
	v_cmp_lt_i32_e32 vcc_lo, v2, v109
	v_cndmask_b32_e32 v2, v108, v2, vcc_lo
	s_delay_alu instid0(VALU_DEP_4) | instskip(NEXT) | instid1(VALU_DEP_2)
	v_cmp_lt_i32_e32 vcc_lo, v4, v109
	v_dual_lshlrev_b32 v2, 2, v2 :: v_dual_cndmask_b32 v4, v108, v4, vcc_lo
	ds_bpermute_b32 v3, v2, v110
	s_wait_dscnt 0x0
	v_dual_max_num_f32 v6, v3, v3 :: v_dual_lshlrev_b32 v3, 2, v4
	s_delay_alu instid0(VALU_DEP_1) | instskip(SKIP_4) | instid1(VALU_DEP_1)
	v_dual_max_num_f32 v5, v5, v6 :: v_dual_bitop2_b32 v6, 4, v108 bitop3:0x14
	ds_bpermute_b32 v4, v3, v5
	v_cmp_lt_i32_e32 vcc_lo, v6, v109
	s_wait_dscnt 0x0
	v_max_num_f32_e32 v7, v4, v4
	v_dual_cndmask_b32 v6, v108, v6 :: v_dual_max_num_f32 v5, v5, v7
	s_delay_alu instid0(VALU_DEP_1) | instskip(SKIP_3) | instid1(VALU_DEP_1)
	v_lshlrev_b32_e32 v4, 2, v6
	ds_bpermute_b32 v6, v4, v5
	s_wait_dscnt 0x0
	v_dual_max_num_f32 v6, v6, v6 :: v_dual_bitop2_b32 v7, 2, v108 bitop3:0x14
	v_cmp_lt_i32_e32 vcc_lo, v7, v109
	s_delay_alu instid0(VALU_DEP_2) | instskip(SKIP_2) | instid1(VALU_DEP_3)
	v_dual_max_num_f32 v6, v5, v6 :: v_dual_cndmask_b32 v7, v108, v7
	v_lshlrev_b32_e32 v5, 2, v1
	v_cmp_eq_u32_e32 vcc_lo, 0, v56
	v_lshlrev_b32_e32 v57, 2, v7
	ds_bpermute_b32 v7, v57, v6
	s_wait_xcnt 0x0
	s_and_saveexec_b32 s0, vcc_lo
	s_cbranch_execz .LBB192_270
; %bb.269:
	s_wait_dscnt 0x0
	v_dual_max_num_f32 v7, v7, v7 :: v_dual_max_num_f32 v6, v6, v6
	s_delay_alu instid0(VALU_DEP_1)
	v_max_num_f32_e32 v6, v6, v7
	ds_store_b32 v5, v6 offset:256
.LBB192_270:
	s_or_b32 exec_lo, exec_lo, s0
	v_cmp_gt_u32_e64 s0, 4, v56
	s_wait_dscnt 0x0
	v_dual_mov_b32 v7, 0xff7fffff :: v_dual_lshlrev_b32 v6, 2, v56
	s_barrier_signal -1
	s_barrier_wait -1
	s_and_saveexec_b32 s1, s0
; %bb.271:
	ds_load_b32 v7, v6 offset:256
; %bb.272:
	s_or_b32 exec_lo, exec_lo, s1
	s_wait_dscnt 0x0
	ds_bpermute_b32 v8, v57, v7
	v_dual_max_num_f32 v7, v7, v7 :: v_dual_bitop2_b32 v9, 1, v108 bitop3:0x14
	s_delay_alu instid0(VALU_DEP_1) | instskip(SKIP_2) | instid1(VALU_DEP_2)
	v_cmp_lt_i32_e64 s1, v9, v109
	s_wait_dscnt 0x0
	v_max_num_f32_e32 v8, v8, v8
	v_cndmask_b32_e64 v9, v108, v9, s1
	s_lshl_b32 s1, s13, 4
	s_wait_kmcnt 0x0
	s_min_i32 s5, s1, s25
	s_delay_alu instid0(VALU_DEP_1) | instskip(SKIP_4) | instid1(VALU_DEP_1)
	v_dual_max_num_f32 v7, v7, v8 :: v_dual_lshlrev_b32 v58, 2, v9
	v_cmp_gt_i32_e64 s1, s5, v0
	ds_bpermute_b32 v8, v58, v7
	s_wait_dscnt 0x0
	v_max_num_f32_e32 v8, v8, v8
	v_dual_max_num_f32 v7, v7, v8 :: v_dual_lshlrev_b32 v8, 2, v35
	ds_bpermute_b32 v8, v8, v7
	v_mov_b32_e32 v7, 0
	s_and_saveexec_b32 s19, s1
	s_cbranch_execz .LBB192_276
; %bb.273:
	v_lshl_add_u32 v9, v0, 2, 0x120
	v_dual_mov_b32 v7, 0 :: v_dual_mov_b32 v10, v0
	s_mov_b32 s26, 0
.LBB192_274:                            ; =>This Inner Loop Header: Depth=1
	ds_load_b32 v11, v9
	v_add_nc_u32_e32 v10, 0x80, v10
	s_delay_alu instid0(VALU_DEP_1) | instskip(SKIP_3) | instid1(VALU_DEP_1)
	v_cmp_le_i32_e64 s4, s5, v10
	s_or_b32 s26, s4, s26
	s_wait_dscnt 0x0
	v_sub_f32_e32 v11, v11, v8
	v_mul_f32_e32 v11, 0x3fb8aa3b, v11
	s_delay_alu instid0(VALU_DEP_1)
	v_exp_f32_e32 v11, v11
	ds_store_b32 v9, v11
	v_nop
	v_add_f32_e32 v7, v7, v11
	v_add_nc_u32_e32 v9, 0x200, v9
	s_and_not1_b32 exec_lo, exec_lo, s26
	s_cbranch_execnz .LBB192_274
; %bb.275:
	s_or_b32 exec_lo, exec_lo, s26
.LBB192_276:
	s_delay_alu instid0(SALU_CYCLE_1)
	s_or_b32 exec_lo, exec_lo, s19
	ds_bpermute_b32 v2, v2, v7
	s_wait_dscnt 0x0
	v_add_f32_e32 v2, v7, v2
	ds_bpermute_b32 v3, v3, v2
	s_wait_dscnt 0x0
	v_add_f32_e32 v2, v2, v3
	;; [unrolled: 3-line block ×5, first 2 shown]
	s_and_saveexec_b32 s4, vcc_lo
; %bb.277:
	ds_store_b32 v5, v2 offset:272
; %bb.278:
	s_or_b32 exec_lo, exec_lo, s4
	s_wait_dscnt 0x0
	s_barrier_signal -1
	s_barrier_wait -1
	s_and_saveexec_b32 s4, s0
; %bb.279:
	ds_load_b32 v2, v6 offset:272
; %bb.280:
	s_or_b32 exec_lo, exec_lo, s4
	s_wait_dscnt 0x0
	ds_bpermute_b32 v3, v57, v2
	s_wait_dscnt 0x0
	v_dual_lshlrev_b32 v4, 2, v108 :: v_dual_add_f32 v2, v2, v3
	ds_bpermute_b32 v3, v58, v2
	s_wait_dscnt 0x0
	v_add_f32_e32 v2, v2, v3
	v_and_b32_e32 v3, 0xffffff80, v4
	ds_bpermute_b32 v2, v3, v2
	s_and_saveexec_b32 s0, s1
	s_cbranch_execz .LBB192_293
; %bb.281:
	s_wait_dscnt 0x0
	v_add_f32_e32 v2, 0x358637bd, v2
	s_mov_b32 s4, -1
	s_mov_b32 s1, exec_lo
	s_delay_alu instid0(VALU_DEP_1) | instskip(NEXT) | instid1(VALU_DEP_1)
	v_div_scale_f32 v3, null, v2, v2, 1.0
	v_rcp_f32_e32 v5, v3
	v_nop
	s_delay_alu instid0(TRANS32_DEP_1) | instskip(NEXT) | instid1(VALU_DEP_1)
	v_fma_f32 v4, -v3, v5, 1.0
	v_fmac_f32_e32 v5, v4, v5
	v_div_scale_f32 v6, vcc_lo, 1.0, v2, 1.0
	s_delay_alu instid0(VALU_DEP_1) | instskip(NEXT) | instid1(VALU_DEP_1)
	v_mul_f32_e32 v7, v6, v5
	v_fma_f32 v4, -v3, v7, v6
	s_delay_alu instid0(VALU_DEP_1) | instskip(SKIP_1) | instid1(VALU_DEP_2)
	v_fmac_f32_e32 v7, v4, v5
	v_xad_u32 v4, v0, -1, s5
	v_fma_f32 v3, -v3, v7, v6
	s_delay_alu instid0(VALU_DEP_1) | instskip(NEXT) | instid1(VALU_DEP_1)
	v_div_fmas_f32 v3, v3, v5, v7
	v_div_fixup_f32 v2, v3, v2, 1.0
	v_mov_b32_e32 v3, v0
	v_cmpx_lt_u32_e32 0x7f, v4
	s_cbranch_execz .LBB192_290
; %bb.282:
	s_delay_alu instid0(VALU_DEP_3) | instskip(NEXT) | instid1(VALU_DEP_1)
	v_dual_mov_b32 v3, v2 :: v_dual_lshrrev_b32 v4, 7, v4
	v_dual_mov_b32 v8, 0 :: v_dual_add_nc_u32 v5, -1, v4
	s_delay_alu instid0(VALU_DEP_1) | instskip(SKIP_1) | instid1(VALU_DEP_2)
	v_lshrrev_b32_e32 v6, 1, v5
	v_cmp_lt_u32_e32 vcc_lo, 13, v5
	v_add_nc_u32_e32 v5, 1, v6
	s_and_saveexec_b32 s4, vcc_lo
	s_cbranch_execz .LBB192_286
; %bb.283:
	s_delay_alu instid0(VALU_DEP_1)
	v_and_b32_e32 v6, -8, v5
	v_lshl_add_u32 v7, v0, 2, 0x120
	s_mov_b32 s19, 0
	s_mov_b32 s26, 0
.LBB192_284:                            ; =>This Inner Loop Header: Depth=1
	ds_load_2addr_stride64_b32 v[8:9], v7 offset1:2
	ds_load_2addr_stride64_b32 v[10:11], v7 offset0:4 offset1:6
	ds_load_2addr_stride64_b32 v[12:13], v7 offset0:8 offset1:10
	;; [unrolled: 1-line block ×7, first 2 shown]
	s_add_co_i32 s26, s26, 16
	v_add_nc_u32_e32 v6, -8, v6
	s_wait_dscnt 0x7
	v_pk_mul_f32 v[8:9], v[2:3], v[8:9]
	s_wait_dscnt 0x6
	v_pk_mul_f32 v[10:11], v[2:3], v[10:11]
	;; [unrolled: 2-line block ×8, first 2 shown]
	ds_store_2addr_stride64_b32 v7, v8, v9 offset1:2
	ds_store_2addr_stride64_b32 v7, v10, v11 offset0:4 offset1:6
	ds_store_2addr_stride64_b32 v7, v12, v13 offset0:8 offset1:10
	;; [unrolled: 1-line block ×7, first 2 shown]
	v_mov_b32_e32 v8, s26
	v_cmp_eq_u32_e32 vcc_lo, 0, v6
	v_add_nc_u32_e32 v7, 0x2000, v7
	s_or_b32 s19, vcc_lo, s19
	s_delay_alu instid0(SALU_CYCLE_1)
	s_and_not1_b32 exec_lo, exec_lo, s19
	s_cbranch_execnz .LBB192_284
; %bb.285:
	s_or_b32 exec_lo, exec_lo, s19
.LBB192_286:
	s_delay_alu instid0(SALU_CYCLE_1) | instskip(NEXT) | instid1(VALU_DEP_1)
	s_or_b32 exec_lo, exec_lo, s4
	v_and_b32_e32 v5, 7, v5
	s_mov_b32 s19, 0
	s_mov_b32 s4, exec_lo
	s_delay_alu instid0(VALU_DEP_1)
	v_cmpx_ne_u32_e32 0, v5
	s_cbranch_execz .LBB192_289
; %bb.287:
	v_lshlrev_b32_e32 v6, 9, v8
	s_delay_alu instid0(VALU_DEP_1)
	v_add3_u32 v6, v6, v106, 0x120
.LBB192_288:                            ; =>This Inner Loop Header: Depth=1
	ds_load_2addr_stride64_b32 v[8:9], v6 offset1:2
	v_add_nc_u32_e32 v5, -1, v5
	s_delay_alu instid0(VALU_DEP_1)
	v_cmp_eq_u32_e32 vcc_lo, 0, v5
	s_or_b32 s19, vcc_lo, s19
	s_wait_dscnt 0x0
	v_pk_mul_f32 v[8:9], v[2:3], v[8:9]
	ds_store_2addr_stride64_b32 v6, v8, v9 offset1:2
	v_add_nc_u32_e32 v6, 0x400, v6
	s_and_not1_b32 exec_lo, exec_lo, s19
	s_cbranch_execnz .LBB192_288
.LBB192_289:
	s_or_b32 exec_lo, exec_lo, s4
	v_add_nc_u32_e32 v3, 1, v4
	s_delay_alu instid0(VALU_DEP_1) | instskip(NEXT) | instid1(VALU_DEP_1)
	v_and_b32_e32 v4, 0x3fffffe, v3
	v_cmp_ne_u32_e32 vcc_lo, v3, v4
	v_lshl_add_u32 v3, v4, 7, v0
	s_or_not1_b32 s4, vcc_lo, exec_lo
.LBB192_290:
	s_or_b32 exec_lo, exec_lo, s1
	s_delay_alu instid0(SALU_CYCLE_1)
	s_and_b32 exec_lo, exec_lo, s4
	s_cbranch_execz .LBB192_293
; %bb.291:
	v_lshl_add_u32 v4, v3, 2, 0x120
	s_mov_b32 s1, 0
.LBB192_292:                            ; =>This Inner Loop Header: Depth=1
	ds_load_b32 v5, v4
	v_add_nc_u32_e32 v3, 0x80, v3
	s_delay_alu instid0(VALU_DEP_1)
	v_cmp_le_i32_e32 vcc_lo, s5, v3
	s_or_b32 s1, vcc_lo, s1
	s_wait_dscnt 0x0
	v_mul_f32_e32 v5, v2, v5
	ds_store_b32 v4, v5
	v_add_nc_u32_e32 v4, 0x200, v4
	s_and_not1_b32 exec_lo, exec_lo, s1
	s_cbranch_execnz .LBB192_292
.LBB192_293:
	s_or_b32 exec_lo, exec_lo, s0
	v_dual_mov_b32 v7, 0 :: v_dual_bitop2_b32 v59, 3, v0 bitop3:0x40
	v_dual_mov_b32 v6, 0 :: v_dual_mov_b32 v9, 0
	v_dual_mov_b32 v8, 0 :: v_dual_mov_b32 v11, 0
	;; [unrolled: 1-line block ×3, first 2 shown]
	v_mov_b32_e32 v12, 0
	s_wait_dscnt 0x0
	s_barrier_signal -1
	s_barrier_wait -1
	s_and_saveexec_b32 s1, s3
	s_cbranch_execz .LBB192_569
; %bb.294:
	s_load_b32 s4, s[6:7], 0x0
	v_dual_mov_b32 v15, 0 :: v_dual_bitop2_b32 v2, 12, v106 bitop3:0x40
	v_and_b32_e32 v14, 0x7c, v106
	s_ashr_i32 s19, s18, 31
	v_dual_lshlrev_b32 v3, 4, v59 :: v_dual_mov_b32 v7, 0
	s_wait_xcnt 0x0
	s_lshl_b64 s[6:7], s[14:15], 2
	s_add_nc_u64 s[14:15], s[20:21], s[18:19]
	s_add_nc_u64 s[6:7], s[16:17], s[6:7]
	v_add_nc_u64_e32 v[16:17], s[14:15], v[14:15]
	v_and_b32_e32 v14, 0x7c, v107
	v_lshl_or_b32 v3, v1, 6, v3
	v_dual_mov_b32 v6, 0 :: v_dual_mov_b32 v9, 0
	v_mov_b32_e32 v8, 0
	s_delay_alu instid0(VALU_DEP_4)
	v_add_nc_u64_e32 v[18:19], s[6:7], v[14:15]
	v_lshl_or_b32 v60, v1, 4, v2
	v_add_nc_u32_e32 v61, 0x120, v3
	v_dual_mov_b32 v11, 0 :: v_dual_mov_b32 v10, 0
	v_dual_mov_b32 v13, 0 :: v_dual_mov_b32 v12, 0
	v_mov_b32_e32 v62, v1
	s_mov_b32 s3, s9
	s_wait_kmcnt 0x0
	s_mov_b32 s5, s4
	s_add_co_i32 s6, s13, -1
	s_mov_b32 s9, s25
	s_mov_b32 s7, 0
	s_branch .LBB192_296
.LBB192_295:                            ;   in Loop: Header=BB192_296 Depth=1
	s_or_b32 exec_lo, exec_lo, s0
	s_wait_dscnt 0x0
	v_mul_f32_e32 v44, v2, v44
	v_mul_f32_e32 v14, v2, v48
	v_add_nc_u64_e32 v[18:19], 16, v[18:19]
	v_dual_mul_f32 v28, v2, v28 :: v_dual_add_nc_u32 v61, 0x100, v61
	s_delay_alu instid0(VALU_DEP_4) | instskip(NEXT) | instid1(VALU_DEP_4)
	v_fmac_f32_e32 v44, v3, v45
	v_dual_fmac_f32 v14, v3, v49 :: v_dual_mul_f32 v40, v2, v40
	v_dual_mul_f32 v32, v2, v32 :: v_dual_mul_f32 v22, v2, v22
	s_delay_alu instid0(VALU_DEP_3) | instskip(NEXT) | instid1(VALU_DEP_3)
	v_fmac_f32_e32 v44, v4, v42
	v_dual_fmac_f32 v14, v4, v46 :: v_dual_fmac_f32 v40, v3, v41
	v_dual_mul_f32 v41, v2, v36 :: v_dual_fmac_f32 v28, v3, v29
	s_delay_alu instid0(VALU_DEP_4) | instskip(NEXT) | instid1(VALU_DEP_3)
	v_fmac_f32_e32 v22, v3, v23
	v_dual_fmac_f32 v14, v5, v47 :: v_dual_fmac_f32 v40, v4, v38
	s_delay_alu instid0(VALU_DEP_3) | instskip(SKIP_1) | instid1(VALU_DEP_3)
	v_dual_fmac_f32 v41, v3, v37 :: v_dual_fmac_f32 v44, v5, v43
	v_pk_mul_f32 v[36:37], v[2:3], v[50:51]
	v_dual_add_f32 v6, v6, v14 :: v_dual_fmac_f32 v40, v5, v39
	s_delay_alu instid0(VALU_DEP_3) | instskip(SKIP_2) | instid1(VALU_DEP_4)
	v_dual_fmac_f32 v41, v4, v34 :: v_dual_add_f32 v9, v9, v44
	v_fmac_f32_e32 v32, v3, v33
	v_pk_mul_f32 v[2:3], v[4:5], v[24:25]
	v_add_f32_e32 v8, v8, v40
	v_add_f32_e32 v14, v37, v36
	v_dual_fmac_f32 v41, v5, v35 :: v_dual_fmac_f32 v28, v4, v26
	v_dual_fmac_f32 v32, v4, v30 :: v_dual_fmac_f32 v22, v4, v20
	s_delay_alu instid0(VALU_DEP_2) | instskip(NEXT) | instid1(VALU_DEP_3)
	v_dual_add_f32 v2, v2, v14 :: v_dual_add_f32 v11, v11, v41
	v_fmac_f32_e32 v28, v5, v27
	s_delay_alu instid0(VALU_DEP_3) | instskip(SKIP_1) | instid1(VALU_DEP_3)
	v_dual_fmac_f32 v32, v5, v31 :: v_dual_fmac_f32 v22, v5, v21
	v_add_nc_u32_e32 v62, 4, v62
	v_dual_add_f32 v2, v3, v2 :: v_dual_add_f32 v13, v13, v28
	s_delay_alu instid0(VALU_DEP_3) | instskip(SKIP_1) | instid1(VALU_DEP_4)
	v_dual_add_f32 v10, v10, v32 :: v_dual_add_f32 v12, v12, v22
	v_add_nc_u32_e32 v60, 64, v60
	v_cmp_le_i32_e32 vcc_lo, s13, v62
	s_delay_alu instid0(VALU_DEP_4) | instskip(SKIP_1) | instid1(SALU_CYCLE_1)
	v_add_f32_e32 v7, v7, v2
	s_or_b32 s7, vcc_lo, s7
	s_and_not1_b32 exec_lo, exec_lo, s7
	s_cbranch_execz .LBB192_568
.LBB192_296:                            ; =>This Inner Loop Header: Depth=1
	global_load_b32 v2, v[18:19], off
	v_mov_b64_e32 v[20:21], 0
	v_mov_b64_e32 v[22:23], 0
	s_mov_b32 s0, exec_lo
	s_wait_loadcnt 0x0
	v_mad_nc_i64_i32 v[24:25], v2, s3, v[16:17]
	ds_load_b128 v[2:5], v61
	global_load_b32 v30, v[24:25], off
	s_wait_loadcnt 0x0
	v_and_b32_e32 v14, 0xff, v30
	s_delay_alu instid0(VALU_DEP_1)
	v_cmpx_ne_u16_e32 0, v14
	s_cbranch_execz .LBB192_304
; %bb.297:                              ;   in Loop: Header=BB192_296 Depth=1
	v_mov_b64_e32 v[22:23], 0x80000000
	s_mov_b32 s14, exec_lo
	v_cmpx_ne_u16_e32 0x80, v14
	s_cbranch_execz .LBB192_303
; %bb.298:                              ;   in Loop: Header=BB192_296 Depth=1
	v_mov_b64_e32 v[22:23], 0x7f800001
	v_and_b32_e32 v26, 0x7f, v30
	s_mov_b32 s15, exec_lo
	s_delay_alu instid0(VALU_DEP_1)
	v_cmpx_ne_u32_e32 0x7f, v26
	s_cbranch_execz .LBB192_302
; %bb.299:                              ;   in Loop: Header=BB192_296 Depth=1
	v_and_b32_e32 v14, 7, v30
	v_lshrrev_b32_e32 v22, 3, v26
	s_mov_b32 s16, exec_lo
	v_cmpx_gt_u32_e32 8, v26
; %bb.300:                              ;   in Loop: Header=BB192_296 Depth=1
	s_delay_alu instid0(VALU_DEP_3) | instskip(NEXT) | instid1(VALU_DEP_1)
	v_clz_i32_u32_e32 v22, v14
	v_min_u32_e32 v22, 32, v22
	s_delay_alu instid0(VALU_DEP_1) | instskip(SKIP_1) | instid1(VALU_DEP_2)
	v_subrev_nc_u32_e32 v23, 28, v22
	v_sub_nc_u32_e32 v22, 29, v22
	v_lshlrev_b64_e32 v[26:27], v23, v[14:15]
	s_delay_alu instid0(VALU_DEP_1)
	v_and_b32_e32 v14, 7, v26
; %bb.301:                              ;   in Loop: Header=BB192_296 Depth=1
	s_or_b32 exec_lo, exec_lo, s16
	v_lshlrev_b32_e32 v23, 24, v30
	s_delay_alu instid0(VALU_DEP_2) | instskip(SKIP_1) | instid1(VALU_DEP_3)
	v_lshlrev_b32_e32 v14, 20, v14
	v_lshl_add_u32 v22, v22, 23, 0x3c000000
	v_and_b32_e32 v23, 0x80000000, v23
	s_delay_alu instid0(VALU_DEP_1) | instskip(NEXT) | instid1(VALU_DEP_1)
	v_or3_b32 v14, v14, v23, v22
	v_mov_b64_e32 v[22:23], v[14:15]
.LBB192_302:                            ;   in Loop: Header=BB192_296 Depth=1
	s_or_b32 exec_lo, exec_lo, s15
.LBB192_303:                            ;   in Loop: Header=BB192_296 Depth=1
	s_delay_alu instid0(SALU_CYCLE_1)
	s_or_b32 exec_lo, exec_lo, s14
.LBB192_304:                            ;   in Loop: Header=BB192_296 Depth=1
	s_delay_alu instid0(SALU_CYCLE_1) | instskip(SKIP_2) | instid1(VALU_DEP_1)
	s_or_b32 exec_lo, exec_lo, s0
	v_lshrrev_b16 v14, 8, v30
	s_mov_b32 s0, exec_lo
	v_cmpx_ne_u16_e32 0, v14
	s_cbranch_execz .LBB192_312
; %bb.305:                              ;   in Loop: Header=BB192_296 Depth=1
	v_mov_b64_e32 v[20:21], 0x8000000000000000
	s_mov_b32 s14, exec_lo
	v_cmpx_ne_u16_e32 0x80, v14
	s_cbranch_execz .LBB192_311
; %bb.306:                              ;   in Loop: Header=BB192_296 Depth=1
	v_and_b32_e32 v14, 0xffff, v14
	v_mov_b64_e32 v[20:21], 0x7f80000100000000
	s_mov_b32 s15, exec_lo
	s_delay_alu instid0(VALU_DEP_2) | instskip(NEXT) | instid1(VALU_DEP_1)
	v_and_b32_e32 v26, 0x7f, v14
	v_cmpx_ne_u32_e32 0x7f, v26
	s_cbranch_execz .LBB192_310
; %bb.307:                              ;   in Loop: Header=BB192_296 Depth=1
	v_and_b32_e32 v14, 7, v14
	v_lshrrev_b32_e32 v20, 3, v26
	s_mov_b32 s16, exec_lo
	v_cmpx_gt_u32_e32 8, v26
; %bb.308:                              ;   in Loop: Header=BB192_296 Depth=1
	s_delay_alu instid0(VALU_DEP_3) | instskip(NEXT) | instid1(VALU_DEP_1)
	v_clz_i32_u32_e32 v20, v14
	v_min_u32_e32 v20, 32, v20
	s_delay_alu instid0(VALU_DEP_1) | instskip(NEXT) | instid1(VALU_DEP_1)
	v_subrev_nc_u32_e32 v21, 28, v20
	v_lshlrev_b64_e32 v[26:27], v21, v[14:15]
	s_delay_alu instid0(VALU_DEP_1)
	v_dual_sub_nc_u32 v20, 29, v20 :: v_dual_bitop2_b32 v14, 7, v26 bitop3:0x40
; %bb.309:                              ;   in Loop: Header=BB192_296 Depth=1
	s_or_b32 exec_lo, exec_lo, s16
	v_lshlrev_b32_e32 v21, 16, v30
	s_delay_alu instid0(VALU_DEP_2) | instskip(NEXT) | instid1(VALU_DEP_3)
	v_lshlrev_b32_e32 v14, 20, v14
	v_lshl_add_u32 v20, v20, 23, 0x3c000000
	s_delay_alu instid0(VALU_DEP_3) | instskip(NEXT) | instid1(VALU_DEP_1)
	v_and_b32_e32 v21, 0x80000000, v21
	v_or3_b32 v21, v14, v21, v20
	v_mov_b32_e32 v20, v15
.LBB192_310:                            ;   in Loop: Header=BB192_296 Depth=1
	s_or_b32 exec_lo, exec_lo, s15
.LBB192_311:                            ;   in Loop: Header=BB192_296 Depth=1
	s_delay_alu instid0(SALU_CYCLE_1)
	s_or_b32 exec_lo, exec_lo, s14
.LBB192_312:                            ;   in Loop: Header=BB192_296 Depth=1
	s_delay_alu instid0(SALU_CYCLE_1) | instskip(SKIP_4) | instid1(VALU_DEP_3)
	s_or_b32 exec_lo, exec_lo, s0
	v_lshrrev_b32_e32 v31, 16, v30
	v_mov_b64_e32 v[26:27], 0
	v_mov_b64_e32 v[28:29], 0
	s_mov_b32 s0, exec_lo
	v_and_b32_e32 v14, 0xff, v31
	s_delay_alu instid0(VALU_DEP_1)
	v_cmpx_ne_u16_e32 0, v14
	s_cbranch_execz .LBB192_320
; %bb.313:                              ;   in Loop: Header=BB192_296 Depth=1
	v_mov_b64_e32 v[28:29], 0x80000000
	s_mov_b32 s14, exec_lo
	v_cmpx_ne_u16_e32 0x80, v14
	s_cbranch_execz .LBB192_319
; %bb.314:                              ;   in Loop: Header=BB192_296 Depth=1
	v_mov_b64_e32 v[28:29], 0x7f800001
	v_bfe_u32 v32, v30, 16, 7
	s_mov_b32 s15, exec_lo
	s_delay_alu instid0(VALU_DEP_1)
	v_cmpx_ne_u32_e32 0x7f, v32
	s_cbranch_execz .LBB192_318
; %bb.315:                              ;   in Loop: Header=BB192_296 Depth=1
	v_dual_lshrrev_b32 v28, 3, v32 :: v_dual_bitop2_b32 v14, 7, v31 bitop3:0x40
	s_mov_b32 s16, exec_lo
	v_cmpx_gt_u32_e32 8, v32
; %bb.316:                              ;   in Loop: Header=BB192_296 Depth=1
	s_delay_alu instid0(VALU_DEP_2) | instskip(NEXT) | instid1(VALU_DEP_1)
	v_clz_i32_u32_e32 v28, v14
	v_min_u32_e32 v28, 32, v28
	s_delay_alu instid0(VALU_DEP_1) | instskip(SKIP_1) | instid1(VALU_DEP_2)
	v_subrev_nc_u32_e32 v29, 28, v28
	v_sub_nc_u32_e32 v28, 29, v28
	v_lshlrev_b64_e32 v[32:33], v29, v[14:15]
	s_delay_alu instid0(VALU_DEP_1)
	v_and_b32_e32 v14, 7, v32
; %bb.317:                              ;   in Loop: Header=BB192_296 Depth=1
	s_or_b32 exec_lo, exec_lo, s16
	s_delay_alu instid0(VALU_DEP_1) | instskip(SKIP_1) | instid1(VALU_DEP_2)
	v_dual_lshlrev_b32 v29, 24, v31 :: v_dual_lshlrev_b32 v14, 20, v14
	v_lshl_add_u32 v28, v28, 23, 0x3c000000
	v_and_b32_e32 v29, 0x80000000, v29
	s_delay_alu instid0(VALU_DEP_1) | instskip(NEXT) | instid1(VALU_DEP_1)
	v_or3_b32 v14, v14, v29, v28
	v_mov_b64_e32 v[28:29], v[14:15]
.LBB192_318:                            ;   in Loop: Header=BB192_296 Depth=1
	s_or_b32 exec_lo, exec_lo, s15
.LBB192_319:                            ;   in Loop: Header=BB192_296 Depth=1
	s_delay_alu instid0(SALU_CYCLE_1)
	s_or_b32 exec_lo, exec_lo, s14
.LBB192_320:                            ;   in Loop: Header=BB192_296 Depth=1
	s_delay_alu instid0(SALU_CYCLE_1) | instskip(NEXT) | instid1(SALU_CYCLE_1)
	s_or_b32 exec_lo, exec_lo, s0
	s_mov_b32 s0, exec_lo
	v_cmpx_lt_u32_e32 0xffffff, v30
	s_cbranch_execz .LBB192_328
; %bb.321:                              ;   in Loop: Header=BB192_296 Depth=1
	v_mov_b64_e32 v[26:27], 0x8000000000000000
	v_lshrrev_b32_e32 v31, 24, v30
	s_mov_b32 s14, exec_lo
	s_delay_alu instid0(VALU_DEP_1)
	v_cmpx_ne_u32_e32 0x80, v31
	s_cbranch_execz .LBB192_327
; %bb.322:                              ;   in Loop: Header=BB192_296 Depth=1
	v_mov_b64_e32 v[26:27], 0x7f80000100000000
	v_bfe_u32 v30, v30, 24, 7
	s_mov_b32 s15, exec_lo
	s_delay_alu instid0(VALU_DEP_1)
	v_cmpx_ne_u32_e32 0x7f, v30
	s_cbranch_execz .LBB192_326
; %bb.323:                              ;   in Loop: Header=BB192_296 Depth=1
	v_dual_lshrrev_b32 v26, 3, v30 :: v_dual_bitop2_b32 v14, 7, v31 bitop3:0x40
	s_mov_b32 s16, exec_lo
	v_cmpx_gt_u32_e32 8, v30
; %bb.324:                              ;   in Loop: Header=BB192_296 Depth=1
	s_delay_alu instid0(VALU_DEP_2) | instskip(NEXT) | instid1(VALU_DEP_1)
	v_clz_i32_u32_e32 v26, v14
	v_min_u32_e32 v26, 32, v26
	s_delay_alu instid0(VALU_DEP_1) | instskip(NEXT) | instid1(VALU_DEP_1)
	v_subrev_nc_u32_e32 v27, 28, v26
	v_lshlrev_b64_e32 v[32:33], v27, v[14:15]
	s_delay_alu instid0(VALU_DEP_1)
	v_dual_sub_nc_u32 v26, 29, v26 :: v_dual_bitop2_b32 v14, 7, v32 bitop3:0x40
; %bb.325:                              ;   in Loop: Header=BB192_296 Depth=1
	s_or_b32 exec_lo, exec_lo, s16
	s_delay_alu instid0(VALU_DEP_1) | instskip(NEXT) | instid1(VALU_DEP_2)
	v_dual_lshlrev_b32 v27, 24, v31 :: v_dual_lshlrev_b32 v14, 20, v14
	v_lshl_add_u32 v26, v26, 23, 0x3c000000
	s_delay_alu instid0(VALU_DEP_2) | instskip(NEXT) | instid1(VALU_DEP_1)
	v_and_b32_e32 v27, 0x80000000, v27
	v_or3_b32 v27, v14, v27, v26
	v_mov_b32_e32 v26, v15
.LBB192_326:                            ;   in Loop: Header=BB192_296 Depth=1
	s_or_b32 exec_lo, exec_lo, s15
.LBB192_327:                            ;   in Loop: Header=BB192_296 Depth=1
	s_delay_alu instid0(SALU_CYCLE_1)
	s_or_b32 exec_lo, exec_lo, s14
.LBB192_328:                            ;   in Loop: Header=BB192_296 Depth=1
	s_delay_alu instid0(SALU_CYCLE_1)
	s_or_b32 exec_lo, exec_lo, s0
	v_mov_b64_e32 v[30:31], s[4:5]
	v_dual_add_nc_u32 v63, 1, v60 :: v_dual_bitop2_b32 v21, v21, v23 bitop3:0x54
	v_dual_add_nc_u32 v55, 2, v60 :: v_dual_bitop2_b32 v20, v20, v22 bitop3:0x54
	;; [unrolled: 1-line block ×3, first 2 shown]
	v_or_b32_e32 v26, v26, v28
	v_cmp_eq_u32_e32 vcc_lo, s6, v62
	s_delay_alu instid0(VALU_DEP_4) | instskip(NEXT) | instid1(VALU_DEP_3)
	v_pk_mul_f32 v[22:23], v[30:31], v[20:21]
	v_pk_mul_f32 v[20:21], v[30:31], v[26:27]
	s_and_saveexec_b32 s14, vcc_lo
	s_cbranch_execz .LBB192_330
; %bb.329:                              ;   in Loop: Header=BB192_296 Depth=1
	v_cmp_gt_i32_e64 s0, s25, v60
	s_delay_alu instid0(VALU_DEP_1) | instskip(SKIP_1) | instid1(VALU_DEP_1)
	v_cndmask_b32_e64 v22, 0, v22, s0
	v_cmp_gt_i32_e64 s0, s25, v63
	v_cndmask_b32_e64 v23, 0, v23, s0
	v_cmp_gt_i32_e64 s0, s25, v55
	s_delay_alu instid0(VALU_DEP_1) | instskip(SKIP_1) | instid1(VALU_DEP_1)
	v_cndmask_b32_e64 v20, 0, v20, s0
	v_cmp_gt_i32_e64 s0, s25, v54
	v_cndmask_b32_e64 v21, 0, v21, s0
.LBB192_330:                            ;   in Loop: Header=BB192_296 Depth=1
	s_or_b32 exec_lo, exec_lo, s14
	global_load_b32 v34, v[24:25], off offset:128
	v_mov_b64_e32 v[26:27], 0
	v_mov_b64_e32 v[28:29], 0
	s_mov_b32 s14, exec_lo
	s_wait_loadcnt 0x0
	v_and_b32_e32 v14, 0xff, v34
	s_delay_alu instid0(VALU_DEP_1)
	v_cmpx_ne_u16_e32 0, v14
	s_cbranch_execz .LBB192_338
; %bb.331:                              ;   in Loop: Header=BB192_296 Depth=1
	v_mov_b64_e32 v[28:29], 0x80000000
	s_mov_b32 s15, exec_lo
	v_cmpx_ne_u16_e32 0x80, v14
	s_cbranch_execz .LBB192_337
; %bb.332:                              ;   in Loop: Header=BB192_296 Depth=1
	v_mov_b64_e32 v[28:29], 0x7f800001
	v_and_b32_e32 v30, 0x7f, v34
	s_mov_b32 s16, exec_lo
	s_delay_alu instid0(VALU_DEP_1)
	v_cmpx_ne_u32_e32 0x7f, v30
	s_cbranch_execz .LBB192_336
; %bb.333:                              ;   in Loop: Header=BB192_296 Depth=1
	v_and_b32_e32 v14, 7, v34
	v_lshrrev_b32_e32 v28, 3, v30
	s_mov_b32 s17, exec_lo
	v_cmpx_gt_u32_e32 8, v30
; %bb.334:                              ;   in Loop: Header=BB192_296 Depth=1
	s_delay_alu instid0(VALU_DEP_3) | instskip(NEXT) | instid1(VALU_DEP_1)
	v_clz_i32_u32_e32 v28, v14
	v_min_u32_e32 v28, 32, v28
	s_delay_alu instid0(VALU_DEP_1) | instskip(NEXT) | instid1(VALU_DEP_1)
	v_subrev_nc_u32_e32 v29, 28, v28
	v_lshlrev_b64_e32 v[30:31], v29, v[14:15]
	s_delay_alu instid0(VALU_DEP_1)
	v_dual_sub_nc_u32 v28, 29, v28 :: v_dual_bitop2_b32 v14, 7, v30 bitop3:0x40
; %bb.335:                              ;   in Loop: Header=BB192_296 Depth=1
	s_or_b32 exec_lo, exec_lo, s17
	v_lshlrev_b32_e32 v29, 24, v34
	s_delay_alu instid0(VALU_DEP_2) | instskip(NEXT) | instid1(VALU_DEP_3)
	v_lshlrev_b32_e32 v14, 20, v14
	v_lshl_add_u32 v28, v28, 23, 0x3c000000
	s_delay_alu instid0(VALU_DEP_3) | instskip(NEXT) | instid1(VALU_DEP_1)
	v_and_b32_e32 v29, 0x80000000, v29
	v_or3_b32 v14, v14, v29, v28
	s_delay_alu instid0(VALU_DEP_1)
	v_mov_b64_e32 v[28:29], v[14:15]
.LBB192_336:                            ;   in Loop: Header=BB192_296 Depth=1
	s_or_b32 exec_lo, exec_lo, s16
.LBB192_337:                            ;   in Loop: Header=BB192_296 Depth=1
	s_delay_alu instid0(SALU_CYCLE_1)
	s_or_b32 exec_lo, exec_lo, s15
.LBB192_338:                            ;   in Loop: Header=BB192_296 Depth=1
	s_delay_alu instid0(SALU_CYCLE_1) | instskip(SKIP_2) | instid1(VALU_DEP_1)
	s_or_b32 exec_lo, exec_lo, s14
	v_lshrrev_b16 v14, 8, v34
	s_mov_b32 s14, exec_lo
	v_cmpx_ne_u16_e32 0, v14
	s_cbranch_execz .LBB192_346
; %bb.339:                              ;   in Loop: Header=BB192_296 Depth=1
	v_mov_b64_e32 v[26:27], 0x8000000000000000
	s_mov_b32 s15, exec_lo
	v_cmpx_ne_u16_e32 0x80, v14
	s_cbranch_execz .LBB192_345
; %bb.340:                              ;   in Loop: Header=BB192_296 Depth=1
	v_and_b32_e32 v14, 0xffff, v14
	v_mov_b64_e32 v[26:27], 0x7f80000100000000
	s_mov_b32 s16, exec_lo
	s_delay_alu instid0(VALU_DEP_2) | instskip(NEXT) | instid1(VALU_DEP_1)
	v_and_b32_e32 v30, 0x7f, v14
	v_cmpx_ne_u32_e32 0x7f, v30
	s_cbranch_execz .LBB192_344
; %bb.341:                              ;   in Loop: Header=BB192_296 Depth=1
	v_and_b32_e32 v14, 7, v14
	v_lshrrev_b32_e32 v26, 3, v30
	s_mov_b32 s17, exec_lo
	v_cmpx_gt_u32_e32 8, v30
; %bb.342:                              ;   in Loop: Header=BB192_296 Depth=1
	s_delay_alu instid0(VALU_DEP_3) | instskip(NEXT) | instid1(VALU_DEP_1)
	v_clz_i32_u32_e32 v26, v14
	v_min_u32_e32 v26, 32, v26
	s_delay_alu instid0(VALU_DEP_1) | instskip(SKIP_1) | instid1(VALU_DEP_2)
	v_subrev_nc_u32_e32 v27, 28, v26
	v_sub_nc_u32_e32 v26, 29, v26
	v_lshlrev_b64_e32 v[30:31], v27, v[14:15]
	s_delay_alu instid0(VALU_DEP_1)
	v_and_b32_e32 v14, 7, v30
; %bb.343:                              ;   in Loop: Header=BB192_296 Depth=1
	s_or_b32 exec_lo, exec_lo, s17
	v_lshlrev_b32_e32 v27, 16, v34
	s_delay_alu instid0(VALU_DEP_2) | instskip(SKIP_1) | instid1(VALU_DEP_3)
	v_lshlrev_b32_e32 v14, 20, v14
	v_lshl_add_u32 v26, v26, 23, 0x3c000000
	v_and_b32_e32 v27, 0x80000000, v27
	s_delay_alu instid0(VALU_DEP_1)
	v_or3_b32 v27, v14, v27, v26
	v_mov_b32_e32 v26, v15
.LBB192_344:                            ;   in Loop: Header=BB192_296 Depth=1
	s_or_b32 exec_lo, exec_lo, s16
.LBB192_345:                            ;   in Loop: Header=BB192_296 Depth=1
	s_delay_alu instid0(SALU_CYCLE_1)
	s_or_b32 exec_lo, exec_lo, s15
.LBB192_346:                            ;   in Loop: Header=BB192_296 Depth=1
	s_delay_alu instid0(SALU_CYCLE_1) | instskip(SKIP_4) | instid1(VALU_DEP_3)
	s_or_b32 exec_lo, exec_lo, s14
	v_lshrrev_b32_e32 v35, 16, v34
	v_mov_b64_e32 v[30:31], 0
	v_mov_b64_e32 v[32:33], 0
	s_mov_b32 s14, exec_lo
	v_and_b32_e32 v14, 0xff, v35
	s_delay_alu instid0(VALU_DEP_1)
	v_cmpx_ne_u16_e32 0, v14
	s_cbranch_execz .LBB192_354
; %bb.347:                              ;   in Loop: Header=BB192_296 Depth=1
	v_mov_b64_e32 v[32:33], 0x80000000
	s_mov_b32 s15, exec_lo
	v_cmpx_ne_u16_e32 0x80, v14
	s_cbranch_execz .LBB192_353
; %bb.348:                              ;   in Loop: Header=BB192_296 Depth=1
	v_mov_b64_e32 v[32:33], 0x7f800001
	v_bfe_u32 v36, v34, 16, 7
	s_mov_b32 s16, exec_lo
	s_delay_alu instid0(VALU_DEP_1)
	v_cmpx_ne_u32_e32 0x7f, v36
	s_cbranch_execz .LBB192_352
; %bb.349:                              ;   in Loop: Header=BB192_296 Depth=1
	v_dual_lshrrev_b32 v32, 3, v36 :: v_dual_bitop2_b32 v14, 7, v35 bitop3:0x40
	s_mov_b32 s17, exec_lo
	v_cmpx_gt_u32_e32 8, v36
; %bb.350:                              ;   in Loop: Header=BB192_296 Depth=1
	s_delay_alu instid0(VALU_DEP_2) | instskip(NEXT) | instid1(VALU_DEP_1)
	v_clz_i32_u32_e32 v32, v14
	v_min_u32_e32 v32, 32, v32
	s_delay_alu instid0(VALU_DEP_1) | instskip(SKIP_1) | instid1(VALU_DEP_2)
	v_subrev_nc_u32_e32 v33, 28, v32
	v_sub_nc_u32_e32 v32, 29, v32
	v_lshlrev_b64_e32 v[36:37], v33, v[14:15]
	s_delay_alu instid0(VALU_DEP_1)
	v_and_b32_e32 v14, 7, v36
; %bb.351:                              ;   in Loop: Header=BB192_296 Depth=1
	s_or_b32 exec_lo, exec_lo, s17
	s_delay_alu instid0(VALU_DEP_1) | instskip(SKIP_1) | instid1(VALU_DEP_2)
	v_dual_lshlrev_b32 v33, 24, v35 :: v_dual_lshlrev_b32 v14, 20, v14
	v_lshl_add_u32 v32, v32, 23, 0x3c000000
	v_and_b32_e32 v33, 0x80000000, v33
	s_delay_alu instid0(VALU_DEP_1) | instskip(NEXT) | instid1(VALU_DEP_1)
	v_or3_b32 v14, v14, v33, v32
	v_mov_b64_e32 v[32:33], v[14:15]
.LBB192_352:                            ;   in Loop: Header=BB192_296 Depth=1
	s_or_b32 exec_lo, exec_lo, s16
.LBB192_353:                            ;   in Loop: Header=BB192_296 Depth=1
	s_delay_alu instid0(SALU_CYCLE_1)
	s_or_b32 exec_lo, exec_lo, s15
.LBB192_354:                            ;   in Loop: Header=BB192_296 Depth=1
	s_delay_alu instid0(SALU_CYCLE_1) | instskip(NEXT) | instid1(SALU_CYCLE_1)
	s_or_b32 exec_lo, exec_lo, s14
	s_mov_b32 s14, exec_lo
	v_cmpx_lt_u32_e32 0xffffff, v34
	s_cbranch_execz .LBB192_362
; %bb.355:                              ;   in Loop: Header=BB192_296 Depth=1
	v_mov_b64_e32 v[30:31], 0x8000000000000000
	v_lshrrev_b32_e32 v35, 24, v34
	s_mov_b32 s15, exec_lo
	s_delay_alu instid0(VALU_DEP_1)
	v_cmpx_ne_u32_e32 0x80, v35
	s_cbranch_execz .LBB192_361
; %bb.356:                              ;   in Loop: Header=BB192_296 Depth=1
	v_mov_b64_e32 v[30:31], 0x7f80000100000000
	v_bfe_u32 v34, v34, 24, 7
	s_mov_b32 s16, exec_lo
	s_delay_alu instid0(VALU_DEP_1)
	v_cmpx_ne_u32_e32 0x7f, v34
	s_cbranch_execz .LBB192_360
; %bb.357:                              ;   in Loop: Header=BB192_296 Depth=1
	v_dual_lshrrev_b32 v30, 3, v34 :: v_dual_bitop2_b32 v14, 7, v35 bitop3:0x40
	s_mov_b32 s17, exec_lo
	v_cmpx_gt_u32_e32 8, v34
; %bb.358:                              ;   in Loop: Header=BB192_296 Depth=1
	s_delay_alu instid0(VALU_DEP_2) | instskip(NEXT) | instid1(VALU_DEP_1)
	v_clz_i32_u32_e32 v30, v14
	v_min_u32_e32 v30, 32, v30
	s_delay_alu instid0(VALU_DEP_1) | instskip(NEXT) | instid1(VALU_DEP_1)
	v_subrev_nc_u32_e32 v31, 28, v30
	v_lshlrev_b64_e32 v[36:37], v31, v[14:15]
	s_delay_alu instid0(VALU_DEP_1)
	v_dual_sub_nc_u32 v30, 29, v30 :: v_dual_bitop2_b32 v14, 7, v36 bitop3:0x40
; %bb.359:                              ;   in Loop: Header=BB192_296 Depth=1
	s_or_b32 exec_lo, exec_lo, s17
	s_delay_alu instid0(VALU_DEP_1) | instskip(NEXT) | instid1(VALU_DEP_2)
	v_dual_lshlrev_b32 v31, 24, v35 :: v_dual_lshlrev_b32 v14, 20, v14
	v_lshl_add_u32 v30, v30, 23, 0x3c000000
	s_delay_alu instid0(VALU_DEP_2) | instskip(NEXT) | instid1(VALU_DEP_1)
	v_and_b32_e32 v31, 0x80000000, v31
	v_or3_b32 v31, v14, v31, v30
	v_mov_b32_e32 v30, v15
.LBB192_360:                            ;   in Loop: Header=BB192_296 Depth=1
	s_or_b32 exec_lo, exec_lo, s16
.LBB192_361:                            ;   in Loop: Header=BB192_296 Depth=1
	s_delay_alu instid0(SALU_CYCLE_1)
	s_or_b32 exec_lo, exec_lo, s15
.LBB192_362:                            ;   in Loop: Header=BB192_296 Depth=1
	s_delay_alu instid0(SALU_CYCLE_1)
	s_or_b32 exec_lo, exec_lo, s14
	v_mov_b64_e32 v[34:35], s[4:5]
	v_or_b32_e32 v27, v27, v29
	v_or_b32_e32 v26, v26, v28
	;; [unrolled: 1-line block ×4, first 2 shown]
	s_delay_alu instid0(VALU_DEP_3) | instskip(NEXT) | instid1(VALU_DEP_2)
	v_pk_mul_f32 v[28:29], v[34:35], v[26:27]
	v_pk_mul_f32 v[26:27], v[34:35], v[30:31]
	s_and_saveexec_b32 s14, vcc_lo
	s_cbranch_execz .LBB192_364
; %bb.363:                              ;   in Loop: Header=BB192_296 Depth=1
	v_cmp_gt_i32_e64 s0, s25, v60
	s_delay_alu instid0(VALU_DEP_1) | instskip(SKIP_1) | instid1(VALU_DEP_1)
	v_cndmask_b32_e64 v28, 0, v28, s0
	v_cmp_gt_i32_e64 s0, s25, v63
	v_cndmask_b32_e64 v29, 0, v29, s0
	v_cmp_gt_i32_e64 s0, s25, v55
	s_delay_alu instid0(VALU_DEP_1) | instskip(SKIP_1) | instid1(VALU_DEP_1)
	v_cndmask_b32_e64 v26, 0, v26, s0
	v_cmp_gt_i32_e64 s0, s25, v54
	v_cndmask_b32_e64 v27, 0, v27, s0
.LBB192_364:                            ;   in Loop: Header=BB192_296 Depth=1
	s_or_b32 exec_lo, exec_lo, s14
	global_load_b32 v38, v[24:25], off offset:256
	v_mov_b64_e32 v[30:31], 0
	v_mov_b64_e32 v[32:33], 0
	s_mov_b32 s14, exec_lo
	s_wait_loadcnt 0x0
	v_and_b32_e32 v14, 0xff, v38
	s_delay_alu instid0(VALU_DEP_1)
	v_cmpx_ne_u16_e32 0, v14
	s_cbranch_execz .LBB192_372
; %bb.365:                              ;   in Loop: Header=BB192_296 Depth=1
	v_mov_b64_e32 v[32:33], 0x80000000
	s_mov_b32 s15, exec_lo
	v_cmpx_ne_u16_e32 0x80, v14
	s_cbranch_execz .LBB192_371
; %bb.366:                              ;   in Loop: Header=BB192_296 Depth=1
	v_mov_b64_e32 v[32:33], 0x7f800001
	v_and_b32_e32 v34, 0x7f, v38
	s_mov_b32 s16, exec_lo
	s_delay_alu instid0(VALU_DEP_1)
	v_cmpx_ne_u32_e32 0x7f, v34
	s_cbranch_execz .LBB192_370
; %bb.367:                              ;   in Loop: Header=BB192_296 Depth=1
	v_and_b32_e32 v14, 7, v38
	v_lshrrev_b32_e32 v32, 3, v34
	s_mov_b32 s17, exec_lo
	v_cmpx_gt_u32_e32 8, v34
; %bb.368:                              ;   in Loop: Header=BB192_296 Depth=1
	s_delay_alu instid0(VALU_DEP_3) | instskip(NEXT) | instid1(VALU_DEP_1)
	v_clz_i32_u32_e32 v32, v14
	v_min_u32_e32 v32, 32, v32
	s_delay_alu instid0(VALU_DEP_1) | instskip(NEXT) | instid1(VALU_DEP_1)
	v_subrev_nc_u32_e32 v33, 28, v32
	v_lshlrev_b64_e32 v[34:35], v33, v[14:15]
	s_delay_alu instid0(VALU_DEP_1)
	v_dual_sub_nc_u32 v32, 29, v32 :: v_dual_bitop2_b32 v14, 7, v34 bitop3:0x40
; %bb.369:                              ;   in Loop: Header=BB192_296 Depth=1
	s_or_b32 exec_lo, exec_lo, s17
	v_lshlrev_b32_e32 v33, 24, v38
	s_delay_alu instid0(VALU_DEP_2) | instskip(NEXT) | instid1(VALU_DEP_3)
	v_lshlrev_b32_e32 v14, 20, v14
	v_lshl_add_u32 v32, v32, 23, 0x3c000000
	s_delay_alu instid0(VALU_DEP_3) | instskip(NEXT) | instid1(VALU_DEP_1)
	v_and_b32_e32 v33, 0x80000000, v33
	v_or3_b32 v14, v14, v33, v32
	s_delay_alu instid0(VALU_DEP_1)
	v_mov_b64_e32 v[32:33], v[14:15]
.LBB192_370:                            ;   in Loop: Header=BB192_296 Depth=1
	s_or_b32 exec_lo, exec_lo, s16
.LBB192_371:                            ;   in Loop: Header=BB192_296 Depth=1
	s_delay_alu instid0(SALU_CYCLE_1)
	s_or_b32 exec_lo, exec_lo, s15
.LBB192_372:                            ;   in Loop: Header=BB192_296 Depth=1
	s_delay_alu instid0(SALU_CYCLE_1) | instskip(SKIP_2) | instid1(VALU_DEP_1)
	s_or_b32 exec_lo, exec_lo, s14
	v_lshrrev_b16 v14, 8, v38
	s_mov_b32 s14, exec_lo
	v_cmpx_ne_u16_e32 0, v14
	s_cbranch_execz .LBB192_380
; %bb.373:                              ;   in Loop: Header=BB192_296 Depth=1
	v_mov_b64_e32 v[30:31], 0x8000000000000000
	s_mov_b32 s15, exec_lo
	v_cmpx_ne_u16_e32 0x80, v14
	s_cbranch_execz .LBB192_379
; %bb.374:                              ;   in Loop: Header=BB192_296 Depth=1
	v_and_b32_e32 v14, 0xffff, v14
	v_mov_b64_e32 v[30:31], 0x7f80000100000000
	s_mov_b32 s16, exec_lo
	s_delay_alu instid0(VALU_DEP_2) | instskip(NEXT) | instid1(VALU_DEP_1)
	v_and_b32_e32 v34, 0x7f, v14
	v_cmpx_ne_u32_e32 0x7f, v34
	s_cbranch_execz .LBB192_378
; %bb.375:                              ;   in Loop: Header=BB192_296 Depth=1
	v_and_b32_e32 v14, 7, v14
	v_lshrrev_b32_e32 v30, 3, v34
	s_mov_b32 s17, exec_lo
	v_cmpx_gt_u32_e32 8, v34
; %bb.376:                              ;   in Loop: Header=BB192_296 Depth=1
	s_delay_alu instid0(VALU_DEP_3) | instskip(NEXT) | instid1(VALU_DEP_1)
	v_clz_i32_u32_e32 v30, v14
	v_min_u32_e32 v30, 32, v30
	s_delay_alu instid0(VALU_DEP_1) | instskip(SKIP_1) | instid1(VALU_DEP_2)
	v_subrev_nc_u32_e32 v31, 28, v30
	v_sub_nc_u32_e32 v30, 29, v30
	v_lshlrev_b64_e32 v[34:35], v31, v[14:15]
	s_delay_alu instid0(VALU_DEP_1)
	v_and_b32_e32 v14, 7, v34
; %bb.377:                              ;   in Loop: Header=BB192_296 Depth=1
	s_or_b32 exec_lo, exec_lo, s17
	v_lshlrev_b32_e32 v31, 16, v38
	s_delay_alu instid0(VALU_DEP_2) | instskip(SKIP_1) | instid1(VALU_DEP_3)
	v_lshlrev_b32_e32 v14, 20, v14
	v_lshl_add_u32 v30, v30, 23, 0x3c000000
	v_and_b32_e32 v31, 0x80000000, v31
	s_delay_alu instid0(VALU_DEP_1)
	v_or3_b32 v31, v14, v31, v30
	v_mov_b32_e32 v30, v15
.LBB192_378:                            ;   in Loop: Header=BB192_296 Depth=1
	s_or_b32 exec_lo, exec_lo, s16
.LBB192_379:                            ;   in Loop: Header=BB192_296 Depth=1
	s_delay_alu instid0(SALU_CYCLE_1)
	s_or_b32 exec_lo, exec_lo, s15
.LBB192_380:                            ;   in Loop: Header=BB192_296 Depth=1
	s_delay_alu instid0(SALU_CYCLE_1) | instskip(SKIP_4) | instid1(VALU_DEP_3)
	s_or_b32 exec_lo, exec_lo, s14
	v_lshrrev_b32_e32 v39, 16, v38
	v_mov_b64_e32 v[34:35], 0
	v_mov_b64_e32 v[36:37], 0
	s_mov_b32 s14, exec_lo
	v_and_b32_e32 v14, 0xff, v39
	s_delay_alu instid0(VALU_DEP_1)
	v_cmpx_ne_u16_e32 0, v14
	s_cbranch_execz .LBB192_388
; %bb.381:                              ;   in Loop: Header=BB192_296 Depth=1
	v_mov_b64_e32 v[36:37], 0x80000000
	s_mov_b32 s15, exec_lo
	v_cmpx_ne_u16_e32 0x80, v14
	s_cbranch_execz .LBB192_387
; %bb.382:                              ;   in Loop: Header=BB192_296 Depth=1
	v_mov_b64_e32 v[36:37], 0x7f800001
	v_bfe_u32 v40, v38, 16, 7
	s_mov_b32 s16, exec_lo
	s_delay_alu instid0(VALU_DEP_1)
	v_cmpx_ne_u32_e32 0x7f, v40
	s_cbranch_execz .LBB192_386
; %bb.383:                              ;   in Loop: Header=BB192_296 Depth=1
	v_dual_lshrrev_b32 v36, 3, v40 :: v_dual_bitop2_b32 v14, 7, v39 bitop3:0x40
	s_mov_b32 s17, exec_lo
	v_cmpx_gt_u32_e32 8, v40
; %bb.384:                              ;   in Loop: Header=BB192_296 Depth=1
	s_delay_alu instid0(VALU_DEP_2) | instskip(NEXT) | instid1(VALU_DEP_1)
	v_clz_i32_u32_e32 v36, v14
	v_min_u32_e32 v36, 32, v36
	s_delay_alu instid0(VALU_DEP_1) | instskip(SKIP_1) | instid1(VALU_DEP_2)
	v_subrev_nc_u32_e32 v37, 28, v36
	v_sub_nc_u32_e32 v36, 29, v36
	v_lshlrev_b64_e32 v[40:41], v37, v[14:15]
	s_delay_alu instid0(VALU_DEP_1)
	v_and_b32_e32 v14, 7, v40
; %bb.385:                              ;   in Loop: Header=BB192_296 Depth=1
	s_or_b32 exec_lo, exec_lo, s17
	s_delay_alu instid0(VALU_DEP_1) | instskip(SKIP_1) | instid1(VALU_DEP_2)
	v_dual_lshlrev_b32 v37, 24, v39 :: v_dual_lshlrev_b32 v14, 20, v14
	v_lshl_add_u32 v36, v36, 23, 0x3c000000
	v_and_b32_e32 v37, 0x80000000, v37
	s_delay_alu instid0(VALU_DEP_1) | instskip(NEXT) | instid1(VALU_DEP_1)
	v_or3_b32 v14, v14, v37, v36
	v_mov_b64_e32 v[36:37], v[14:15]
.LBB192_386:                            ;   in Loop: Header=BB192_296 Depth=1
	s_or_b32 exec_lo, exec_lo, s16
.LBB192_387:                            ;   in Loop: Header=BB192_296 Depth=1
	s_delay_alu instid0(SALU_CYCLE_1)
	s_or_b32 exec_lo, exec_lo, s15
.LBB192_388:                            ;   in Loop: Header=BB192_296 Depth=1
	s_delay_alu instid0(SALU_CYCLE_1) | instskip(NEXT) | instid1(SALU_CYCLE_1)
	s_or_b32 exec_lo, exec_lo, s14
	s_mov_b32 s14, exec_lo
	v_cmpx_lt_u32_e32 0xffffff, v38
	s_cbranch_execz .LBB192_396
; %bb.389:                              ;   in Loop: Header=BB192_296 Depth=1
	v_mov_b64_e32 v[34:35], 0x8000000000000000
	v_lshrrev_b32_e32 v39, 24, v38
	s_mov_b32 s15, exec_lo
	s_delay_alu instid0(VALU_DEP_1)
	v_cmpx_ne_u32_e32 0x80, v39
	s_cbranch_execz .LBB192_395
; %bb.390:                              ;   in Loop: Header=BB192_296 Depth=1
	v_mov_b64_e32 v[34:35], 0x7f80000100000000
	v_bfe_u32 v38, v38, 24, 7
	s_mov_b32 s16, exec_lo
	s_delay_alu instid0(VALU_DEP_1)
	v_cmpx_ne_u32_e32 0x7f, v38
	s_cbranch_execz .LBB192_394
; %bb.391:                              ;   in Loop: Header=BB192_296 Depth=1
	v_dual_lshrrev_b32 v34, 3, v38 :: v_dual_bitop2_b32 v14, 7, v39 bitop3:0x40
	s_mov_b32 s17, exec_lo
	v_cmpx_gt_u32_e32 8, v38
; %bb.392:                              ;   in Loop: Header=BB192_296 Depth=1
	s_delay_alu instid0(VALU_DEP_2) | instskip(NEXT) | instid1(VALU_DEP_1)
	v_clz_i32_u32_e32 v34, v14
	v_min_u32_e32 v34, 32, v34
	s_delay_alu instid0(VALU_DEP_1) | instskip(NEXT) | instid1(VALU_DEP_1)
	v_subrev_nc_u32_e32 v35, 28, v34
	v_lshlrev_b64_e32 v[40:41], v35, v[14:15]
	s_delay_alu instid0(VALU_DEP_1)
	v_dual_sub_nc_u32 v34, 29, v34 :: v_dual_bitop2_b32 v14, 7, v40 bitop3:0x40
; %bb.393:                              ;   in Loop: Header=BB192_296 Depth=1
	s_or_b32 exec_lo, exec_lo, s17
	s_delay_alu instid0(VALU_DEP_1) | instskip(NEXT) | instid1(VALU_DEP_2)
	v_dual_lshlrev_b32 v35, 24, v39 :: v_dual_lshlrev_b32 v14, 20, v14
	v_lshl_add_u32 v34, v34, 23, 0x3c000000
	s_delay_alu instid0(VALU_DEP_2) | instskip(NEXT) | instid1(VALU_DEP_1)
	v_and_b32_e32 v35, 0x80000000, v35
	v_or3_b32 v35, v14, v35, v34
	v_mov_b32_e32 v34, v15
.LBB192_394:                            ;   in Loop: Header=BB192_296 Depth=1
	s_or_b32 exec_lo, exec_lo, s16
.LBB192_395:                            ;   in Loop: Header=BB192_296 Depth=1
	s_delay_alu instid0(SALU_CYCLE_1)
	s_or_b32 exec_lo, exec_lo, s15
.LBB192_396:                            ;   in Loop: Header=BB192_296 Depth=1
	s_delay_alu instid0(SALU_CYCLE_1)
	s_or_b32 exec_lo, exec_lo, s14
	v_mov_b64_e32 v[38:39], s[4:5]
	v_or_b32_e32 v31, v31, v33
	v_or_b32_e32 v30, v30, v32
	;; [unrolled: 1-line block ×4, first 2 shown]
	s_delay_alu instid0(VALU_DEP_3) | instskip(NEXT) | instid1(VALU_DEP_2)
	v_pk_mul_f32 v[32:33], v[38:39], v[30:31]
	v_pk_mul_f32 v[30:31], v[38:39], v[34:35]
	s_and_saveexec_b32 s14, vcc_lo
	s_cbranch_execz .LBB192_398
; %bb.397:                              ;   in Loop: Header=BB192_296 Depth=1
	v_cmp_gt_i32_e64 s0, s25, v60
	s_delay_alu instid0(VALU_DEP_1) | instskip(SKIP_1) | instid1(VALU_DEP_1)
	v_cndmask_b32_e64 v32, 0, v32, s0
	v_cmp_gt_i32_e64 s0, s25, v63
	v_cndmask_b32_e64 v33, 0, v33, s0
	v_cmp_gt_i32_e64 s0, s25, v55
	s_delay_alu instid0(VALU_DEP_1) | instskip(SKIP_1) | instid1(VALU_DEP_1)
	v_cndmask_b32_e64 v30, 0, v30, s0
	v_cmp_gt_i32_e64 s0, s25, v54
	v_cndmask_b32_e64 v31, 0, v31, s0
.LBB192_398:                            ;   in Loop: Header=BB192_296 Depth=1
	s_or_b32 exec_lo, exec_lo, s14
	global_load_b32 v42, v[24:25], off offset:384
	v_mov_b64_e32 v[34:35], 0
	v_mov_b64_e32 v[36:37], 0
	s_mov_b32 s14, exec_lo
	s_wait_loadcnt 0x0
	v_and_b32_e32 v14, 0xff, v42
	s_delay_alu instid0(VALU_DEP_1)
	v_cmpx_ne_u16_e32 0, v14
	s_cbranch_execz .LBB192_406
; %bb.399:                              ;   in Loop: Header=BB192_296 Depth=1
	v_mov_b64_e32 v[36:37], 0x80000000
	s_mov_b32 s15, exec_lo
	v_cmpx_ne_u16_e32 0x80, v14
	s_cbranch_execz .LBB192_405
; %bb.400:                              ;   in Loop: Header=BB192_296 Depth=1
	v_mov_b64_e32 v[36:37], 0x7f800001
	v_and_b32_e32 v38, 0x7f, v42
	s_mov_b32 s16, exec_lo
	s_delay_alu instid0(VALU_DEP_1)
	v_cmpx_ne_u32_e32 0x7f, v38
	s_cbranch_execz .LBB192_404
; %bb.401:                              ;   in Loop: Header=BB192_296 Depth=1
	v_and_b32_e32 v14, 7, v42
	v_lshrrev_b32_e32 v36, 3, v38
	s_mov_b32 s17, exec_lo
	v_cmpx_gt_u32_e32 8, v38
; %bb.402:                              ;   in Loop: Header=BB192_296 Depth=1
	s_delay_alu instid0(VALU_DEP_3) | instskip(NEXT) | instid1(VALU_DEP_1)
	v_clz_i32_u32_e32 v36, v14
	v_min_u32_e32 v36, 32, v36
	s_delay_alu instid0(VALU_DEP_1) | instskip(NEXT) | instid1(VALU_DEP_1)
	v_subrev_nc_u32_e32 v37, 28, v36
	v_lshlrev_b64_e32 v[38:39], v37, v[14:15]
	s_delay_alu instid0(VALU_DEP_1)
	v_dual_sub_nc_u32 v36, 29, v36 :: v_dual_bitop2_b32 v14, 7, v38 bitop3:0x40
; %bb.403:                              ;   in Loop: Header=BB192_296 Depth=1
	s_or_b32 exec_lo, exec_lo, s17
	v_lshlrev_b32_e32 v37, 24, v42
	s_delay_alu instid0(VALU_DEP_2) | instskip(NEXT) | instid1(VALU_DEP_3)
	v_lshlrev_b32_e32 v14, 20, v14
	v_lshl_add_u32 v36, v36, 23, 0x3c000000
	s_delay_alu instid0(VALU_DEP_3) | instskip(NEXT) | instid1(VALU_DEP_1)
	v_and_b32_e32 v37, 0x80000000, v37
	v_or3_b32 v14, v14, v37, v36
	s_delay_alu instid0(VALU_DEP_1)
	v_mov_b64_e32 v[36:37], v[14:15]
.LBB192_404:                            ;   in Loop: Header=BB192_296 Depth=1
	s_or_b32 exec_lo, exec_lo, s16
.LBB192_405:                            ;   in Loop: Header=BB192_296 Depth=1
	s_delay_alu instid0(SALU_CYCLE_1)
	s_or_b32 exec_lo, exec_lo, s15
.LBB192_406:                            ;   in Loop: Header=BB192_296 Depth=1
	s_delay_alu instid0(SALU_CYCLE_1) | instskip(SKIP_2) | instid1(VALU_DEP_1)
	s_or_b32 exec_lo, exec_lo, s14
	v_lshrrev_b16 v14, 8, v42
	s_mov_b32 s14, exec_lo
	v_cmpx_ne_u16_e32 0, v14
	s_cbranch_execz .LBB192_414
; %bb.407:                              ;   in Loop: Header=BB192_296 Depth=1
	v_mov_b64_e32 v[34:35], 0x8000000000000000
	s_mov_b32 s15, exec_lo
	v_cmpx_ne_u16_e32 0x80, v14
	s_cbranch_execz .LBB192_413
; %bb.408:                              ;   in Loop: Header=BB192_296 Depth=1
	v_and_b32_e32 v14, 0xffff, v14
	v_mov_b64_e32 v[34:35], 0x7f80000100000000
	s_mov_b32 s16, exec_lo
	s_delay_alu instid0(VALU_DEP_2) | instskip(NEXT) | instid1(VALU_DEP_1)
	v_and_b32_e32 v38, 0x7f, v14
	v_cmpx_ne_u32_e32 0x7f, v38
	s_cbranch_execz .LBB192_412
; %bb.409:                              ;   in Loop: Header=BB192_296 Depth=1
	v_and_b32_e32 v14, 7, v14
	v_lshrrev_b32_e32 v34, 3, v38
	s_mov_b32 s17, exec_lo
	v_cmpx_gt_u32_e32 8, v38
; %bb.410:                              ;   in Loop: Header=BB192_296 Depth=1
	s_delay_alu instid0(VALU_DEP_3) | instskip(NEXT) | instid1(VALU_DEP_1)
	v_clz_i32_u32_e32 v34, v14
	v_min_u32_e32 v34, 32, v34
	s_delay_alu instid0(VALU_DEP_1) | instskip(SKIP_1) | instid1(VALU_DEP_2)
	v_subrev_nc_u32_e32 v35, 28, v34
	v_sub_nc_u32_e32 v34, 29, v34
	v_lshlrev_b64_e32 v[38:39], v35, v[14:15]
	s_delay_alu instid0(VALU_DEP_1)
	v_and_b32_e32 v14, 7, v38
; %bb.411:                              ;   in Loop: Header=BB192_296 Depth=1
	s_or_b32 exec_lo, exec_lo, s17
	v_lshlrev_b32_e32 v35, 16, v42
	s_delay_alu instid0(VALU_DEP_2) | instskip(SKIP_1) | instid1(VALU_DEP_3)
	v_lshlrev_b32_e32 v14, 20, v14
	v_lshl_add_u32 v34, v34, 23, 0x3c000000
	v_and_b32_e32 v35, 0x80000000, v35
	s_delay_alu instid0(VALU_DEP_1)
	v_or3_b32 v35, v14, v35, v34
	v_mov_b32_e32 v34, v15
.LBB192_412:                            ;   in Loop: Header=BB192_296 Depth=1
	s_or_b32 exec_lo, exec_lo, s16
.LBB192_413:                            ;   in Loop: Header=BB192_296 Depth=1
	s_delay_alu instid0(SALU_CYCLE_1)
	s_or_b32 exec_lo, exec_lo, s15
.LBB192_414:                            ;   in Loop: Header=BB192_296 Depth=1
	s_delay_alu instid0(SALU_CYCLE_1) | instskip(SKIP_4) | instid1(VALU_DEP_3)
	s_or_b32 exec_lo, exec_lo, s14
	v_lshrrev_b32_e32 v43, 16, v42
	v_mov_b64_e32 v[38:39], 0
	v_mov_b64_e32 v[40:41], 0
	s_mov_b32 s14, exec_lo
	v_and_b32_e32 v14, 0xff, v43
	s_delay_alu instid0(VALU_DEP_1)
	v_cmpx_ne_u16_e32 0, v14
	s_cbranch_execz .LBB192_422
; %bb.415:                              ;   in Loop: Header=BB192_296 Depth=1
	v_mov_b64_e32 v[40:41], 0x80000000
	s_mov_b32 s15, exec_lo
	v_cmpx_ne_u16_e32 0x80, v14
	s_cbranch_execz .LBB192_421
; %bb.416:                              ;   in Loop: Header=BB192_296 Depth=1
	v_mov_b64_e32 v[40:41], 0x7f800001
	v_bfe_u32 v44, v42, 16, 7
	s_mov_b32 s16, exec_lo
	s_delay_alu instid0(VALU_DEP_1)
	v_cmpx_ne_u32_e32 0x7f, v44
	s_cbranch_execz .LBB192_420
; %bb.417:                              ;   in Loop: Header=BB192_296 Depth=1
	v_dual_lshrrev_b32 v40, 3, v44 :: v_dual_bitop2_b32 v14, 7, v43 bitop3:0x40
	s_mov_b32 s17, exec_lo
	v_cmpx_gt_u32_e32 8, v44
; %bb.418:                              ;   in Loop: Header=BB192_296 Depth=1
	s_delay_alu instid0(VALU_DEP_2) | instskip(NEXT) | instid1(VALU_DEP_1)
	v_clz_i32_u32_e32 v40, v14
	v_min_u32_e32 v40, 32, v40
	s_delay_alu instid0(VALU_DEP_1) | instskip(SKIP_1) | instid1(VALU_DEP_2)
	v_subrev_nc_u32_e32 v41, 28, v40
	v_sub_nc_u32_e32 v40, 29, v40
	v_lshlrev_b64_e32 v[44:45], v41, v[14:15]
	s_delay_alu instid0(VALU_DEP_1)
	v_and_b32_e32 v14, 7, v44
; %bb.419:                              ;   in Loop: Header=BB192_296 Depth=1
	s_or_b32 exec_lo, exec_lo, s17
	s_delay_alu instid0(VALU_DEP_1) | instskip(SKIP_1) | instid1(VALU_DEP_2)
	v_dual_lshlrev_b32 v41, 24, v43 :: v_dual_lshlrev_b32 v14, 20, v14
	v_lshl_add_u32 v40, v40, 23, 0x3c000000
	v_and_b32_e32 v41, 0x80000000, v41
	s_delay_alu instid0(VALU_DEP_1) | instskip(NEXT) | instid1(VALU_DEP_1)
	v_or3_b32 v14, v14, v41, v40
	v_mov_b64_e32 v[40:41], v[14:15]
.LBB192_420:                            ;   in Loop: Header=BB192_296 Depth=1
	s_or_b32 exec_lo, exec_lo, s16
.LBB192_421:                            ;   in Loop: Header=BB192_296 Depth=1
	s_delay_alu instid0(SALU_CYCLE_1)
	s_or_b32 exec_lo, exec_lo, s15
.LBB192_422:                            ;   in Loop: Header=BB192_296 Depth=1
	s_delay_alu instid0(SALU_CYCLE_1) | instskip(NEXT) | instid1(SALU_CYCLE_1)
	s_or_b32 exec_lo, exec_lo, s14
	s_mov_b32 s14, exec_lo
	v_cmpx_lt_u32_e32 0xffffff, v42
	s_cbranch_execz .LBB192_430
; %bb.423:                              ;   in Loop: Header=BB192_296 Depth=1
	v_mov_b64_e32 v[38:39], 0x8000000000000000
	v_lshrrev_b32_e32 v43, 24, v42
	s_mov_b32 s15, exec_lo
	s_delay_alu instid0(VALU_DEP_1)
	v_cmpx_ne_u32_e32 0x80, v43
	s_cbranch_execz .LBB192_429
; %bb.424:                              ;   in Loop: Header=BB192_296 Depth=1
	v_mov_b64_e32 v[38:39], 0x7f80000100000000
	v_bfe_u32 v42, v42, 24, 7
	s_mov_b32 s16, exec_lo
	s_delay_alu instid0(VALU_DEP_1)
	v_cmpx_ne_u32_e32 0x7f, v42
	s_cbranch_execz .LBB192_428
; %bb.425:                              ;   in Loop: Header=BB192_296 Depth=1
	v_dual_lshrrev_b32 v38, 3, v42 :: v_dual_bitop2_b32 v14, 7, v43 bitop3:0x40
	s_mov_b32 s17, exec_lo
	v_cmpx_gt_u32_e32 8, v42
; %bb.426:                              ;   in Loop: Header=BB192_296 Depth=1
	s_delay_alu instid0(VALU_DEP_2) | instskip(NEXT) | instid1(VALU_DEP_1)
	v_clz_i32_u32_e32 v38, v14
	v_min_u32_e32 v38, 32, v38
	s_delay_alu instid0(VALU_DEP_1) | instskip(NEXT) | instid1(VALU_DEP_1)
	v_subrev_nc_u32_e32 v39, 28, v38
	v_lshlrev_b64_e32 v[44:45], v39, v[14:15]
	s_delay_alu instid0(VALU_DEP_1)
	v_dual_sub_nc_u32 v38, 29, v38 :: v_dual_bitop2_b32 v14, 7, v44 bitop3:0x40
; %bb.427:                              ;   in Loop: Header=BB192_296 Depth=1
	s_or_b32 exec_lo, exec_lo, s17
	s_delay_alu instid0(VALU_DEP_1) | instskip(NEXT) | instid1(VALU_DEP_2)
	v_dual_lshlrev_b32 v39, 24, v43 :: v_dual_lshlrev_b32 v14, 20, v14
	v_lshl_add_u32 v38, v38, 23, 0x3c000000
	s_delay_alu instid0(VALU_DEP_2) | instskip(NEXT) | instid1(VALU_DEP_1)
	v_and_b32_e32 v39, 0x80000000, v39
	v_or3_b32 v39, v14, v39, v38
	v_mov_b32_e32 v38, v15
.LBB192_428:                            ;   in Loop: Header=BB192_296 Depth=1
	s_or_b32 exec_lo, exec_lo, s16
.LBB192_429:                            ;   in Loop: Header=BB192_296 Depth=1
	s_delay_alu instid0(SALU_CYCLE_1)
	s_or_b32 exec_lo, exec_lo, s15
.LBB192_430:                            ;   in Loop: Header=BB192_296 Depth=1
	s_delay_alu instid0(SALU_CYCLE_1)
	s_or_b32 exec_lo, exec_lo, s14
	v_mov_b64_e32 v[42:43], s[4:5]
	v_or_b32_e32 v35, v35, v37
	v_or_b32_e32 v34, v34, v36
	;; [unrolled: 1-line block ×4, first 2 shown]
	s_delay_alu instid0(VALU_DEP_3) | instskip(NEXT) | instid1(VALU_DEP_2)
	v_pk_mul_f32 v[36:37], v[42:43], v[34:35]
	v_pk_mul_f32 v[34:35], v[42:43], v[38:39]
	s_and_saveexec_b32 s14, vcc_lo
	s_cbranch_execz .LBB192_432
; %bb.431:                              ;   in Loop: Header=BB192_296 Depth=1
	v_cmp_gt_i32_e64 s0, s25, v60
	s_delay_alu instid0(VALU_DEP_1) | instskip(SKIP_1) | instid1(VALU_DEP_1)
	v_cndmask_b32_e64 v36, 0, v36, s0
	v_cmp_gt_i32_e64 s0, s25, v63
	v_cndmask_b32_e64 v37, 0, v37, s0
	v_cmp_gt_i32_e64 s0, s25, v55
	s_delay_alu instid0(VALU_DEP_1) | instskip(SKIP_1) | instid1(VALU_DEP_1)
	v_cndmask_b32_e64 v34, 0, v34, s0
	v_cmp_gt_i32_e64 s0, s25, v54
	v_cndmask_b32_e64 v35, 0, v35, s0
.LBB192_432:                            ;   in Loop: Header=BB192_296 Depth=1
	s_or_b32 exec_lo, exec_lo, s14
	global_load_b32 v46, v[24:25], off offset:512
	v_mov_b64_e32 v[38:39], 0
	v_mov_b64_e32 v[40:41], 0
	s_mov_b32 s14, exec_lo
	s_wait_loadcnt 0x0
	v_and_b32_e32 v14, 0xff, v46
	s_delay_alu instid0(VALU_DEP_1)
	v_cmpx_ne_u16_e32 0, v14
	s_cbranch_execz .LBB192_440
; %bb.433:                              ;   in Loop: Header=BB192_296 Depth=1
	v_mov_b64_e32 v[40:41], 0x80000000
	s_mov_b32 s15, exec_lo
	v_cmpx_ne_u16_e32 0x80, v14
	s_cbranch_execz .LBB192_439
; %bb.434:                              ;   in Loop: Header=BB192_296 Depth=1
	v_mov_b64_e32 v[40:41], 0x7f800001
	v_and_b32_e32 v42, 0x7f, v46
	s_mov_b32 s16, exec_lo
	s_delay_alu instid0(VALU_DEP_1)
	v_cmpx_ne_u32_e32 0x7f, v42
	s_cbranch_execz .LBB192_438
; %bb.435:                              ;   in Loop: Header=BB192_296 Depth=1
	v_and_b32_e32 v14, 7, v46
	v_lshrrev_b32_e32 v40, 3, v42
	s_mov_b32 s17, exec_lo
	v_cmpx_gt_u32_e32 8, v42
; %bb.436:                              ;   in Loop: Header=BB192_296 Depth=1
	s_delay_alu instid0(VALU_DEP_3) | instskip(NEXT) | instid1(VALU_DEP_1)
	v_clz_i32_u32_e32 v40, v14
	v_min_u32_e32 v40, 32, v40
	s_delay_alu instid0(VALU_DEP_1) | instskip(NEXT) | instid1(VALU_DEP_1)
	v_subrev_nc_u32_e32 v41, 28, v40
	v_lshlrev_b64_e32 v[42:43], v41, v[14:15]
	s_delay_alu instid0(VALU_DEP_1)
	v_dual_sub_nc_u32 v40, 29, v40 :: v_dual_bitop2_b32 v14, 7, v42 bitop3:0x40
; %bb.437:                              ;   in Loop: Header=BB192_296 Depth=1
	s_or_b32 exec_lo, exec_lo, s17
	v_lshlrev_b32_e32 v41, 24, v46
	s_delay_alu instid0(VALU_DEP_2) | instskip(NEXT) | instid1(VALU_DEP_3)
	v_lshlrev_b32_e32 v14, 20, v14
	v_lshl_add_u32 v40, v40, 23, 0x3c000000
	s_delay_alu instid0(VALU_DEP_3) | instskip(NEXT) | instid1(VALU_DEP_1)
	v_and_b32_e32 v41, 0x80000000, v41
	v_or3_b32 v14, v14, v41, v40
	s_delay_alu instid0(VALU_DEP_1)
	v_mov_b64_e32 v[40:41], v[14:15]
.LBB192_438:                            ;   in Loop: Header=BB192_296 Depth=1
	s_or_b32 exec_lo, exec_lo, s16
.LBB192_439:                            ;   in Loop: Header=BB192_296 Depth=1
	s_delay_alu instid0(SALU_CYCLE_1)
	s_or_b32 exec_lo, exec_lo, s15
.LBB192_440:                            ;   in Loop: Header=BB192_296 Depth=1
	s_delay_alu instid0(SALU_CYCLE_1) | instskip(SKIP_2) | instid1(VALU_DEP_1)
	s_or_b32 exec_lo, exec_lo, s14
	v_lshrrev_b16 v14, 8, v46
	s_mov_b32 s14, exec_lo
	v_cmpx_ne_u16_e32 0, v14
	s_cbranch_execz .LBB192_448
; %bb.441:                              ;   in Loop: Header=BB192_296 Depth=1
	v_mov_b64_e32 v[38:39], 0x8000000000000000
	s_mov_b32 s15, exec_lo
	v_cmpx_ne_u16_e32 0x80, v14
	s_cbranch_execz .LBB192_447
; %bb.442:                              ;   in Loop: Header=BB192_296 Depth=1
	v_and_b32_e32 v14, 0xffff, v14
	v_mov_b64_e32 v[38:39], 0x7f80000100000000
	s_mov_b32 s16, exec_lo
	s_delay_alu instid0(VALU_DEP_2) | instskip(NEXT) | instid1(VALU_DEP_1)
	v_and_b32_e32 v42, 0x7f, v14
	v_cmpx_ne_u32_e32 0x7f, v42
	s_cbranch_execz .LBB192_446
; %bb.443:                              ;   in Loop: Header=BB192_296 Depth=1
	v_and_b32_e32 v14, 7, v14
	v_lshrrev_b32_e32 v38, 3, v42
	s_mov_b32 s17, exec_lo
	v_cmpx_gt_u32_e32 8, v42
; %bb.444:                              ;   in Loop: Header=BB192_296 Depth=1
	s_delay_alu instid0(VALU_DEP_3) | instskip(NEXT) | instid1(VALU_DEP_1)
	v_clz_i32_u32_e32 v38, v14
	v_min_u32_e32 v38, 32, v38
	s_delay_alu instid0(VALU_DEP_1) | instskip(SKIP_1) | instid1(VALU_DEP_2)
	v_subrev_nc_u32_e32 v39, 28, v38
	v_sub_nc_u32_e32 v38, 29, v38
	v_lshlrev_b64_e32 v[42:43], v39, v[14:15]
	s_delay_alu instid0(VALU_DEP_1)
	v_and_b32_e32 v14, 7, v42
; %bb.445:                              ;   in Loop: Header=BB192_296 Depth=1
	s_or_b32 exec_lo, exec_lo, s17
	v_lshlrev_b32_e32 v39, 16, v46
	s_delay_alu instid0(VALU_DEP_2) | instskip(SKIP_1) | instid1(VALU_DEP_3)
	v_lshlrev_b32_e32 v14, 20, v14
	v_lshl_add_u32 v38, v38, 23, 0x3c000000
	v_and_b32_e32 v39, 0x80000000, v39
	s_delay_alu instid0(VALU_DEP_1)
	v_or3_b32 v39, v14, v39, v38
	v_mov_b32_e32 v38, v15
.LBB192_446:                            ;   in Loop: Header=BB192_296 Depth=1
	s_or_b32 exec_lo, exec_lo, s16
.LBB192_447:                            ;   in Loop: Header=BB192_296 Depth=1
	s_delay_alu instid0(SALU_CYCLE_1)
	s_or_b32 exec_lo, exec_lo, s15
.LBB192_448:                            ;   in Loop: Header=BB192_296 Depth=1
	s_delay_alu instid0(SALU_CYCLE_1) | instskip(SKIP_4) | instid1(VALU_DEP_3)
	s_or_b32 exec_lo, exec_lo, s14
	v_lshrrev_b32_e32 v47, 16, v46
	v_mov_b64_e32 v[42:43], 0
	v_mov_b64_e32 v[44:45], 0
	s_mov_b32 s14, exec_lo
	v_and_b32_e32 v14, 0xff, v47
	s_delay_alu instid0(VALU_DEP_1)
	v_cmpx_ne_u16_e32 0, v14
	s_cbranch_execz .LBB192_456
; %bb.449:                              ;   in Loop: Header=BB192_296 Depth=1
	v_mov_b64_e32 v[44:45], 0x80000000
	s_mov_b32 s15, exec_lo
	v_cmpx_ne_u16_e32 0x80, v14
	s_cbranch_execz .LBB192_455
; %bb.450:                              ;   in Loop: Header=BB192_296 Depth=1
	v_mov_b64_e32 v[44:45], 0x7f800001
	v_bfe_u32 v48, v46, 16, 7
	s_mov_b32 s16, exec_lo
	s_delay_alu instid0(VALU_DEP_1)
	v_cmpx_ne_u32_e32 0x7f, v48
	s_cbranch_execz .LBB192_454
; %bb.451:                              ;   in Loop: Header=BB192_296 Depth=1
	v_dual_lshrrev_b32 v44, 3, v48 :: v_dual_bitop2_b32 v14, 7, v47 bitop3:0x40
	s_mov_b32 s17, exec_lo
	v_cmpx_gt_u32_e32 8, v48
; %bb.452:                              ;   in Loop: Header=BB192_296 Depth=1
	s_delay_alu instid0(VALU_DEP_2) | instskip(NEXT) | instid1(VALU_DEP_1)
	v_clz_i32_u32_e32 v44, v14
	v_min_u32_e32 v44, 32, v44
	s_delay_alu instid0(VALU_DEP_1) | instskip(SKIP_1) | instid1(VALU_DEP_2)
	v_subrev_nc_u32_e32 v45, 28, v44
	v_sub_nc_u32_e32 v44, 29, v44
	v_lshlrev_b64_e32 v[48:49], v45, v[14:15]
	s_delay_alu instid0(VALU_DEP_1)
	v_and_b32_e32 v14, 7, v48
; %bb.453:                              ;   in Loop: Header=BB192_296 Depth=1
	s_or_b32 exec_lo, exec_lo, s17
	s_delay_alu instid0(VALU_DEP_1) | instskip(SKIP_1) | instid1(VALU_DEP_2)
	v_dual_lshlrev_b32 v45, 24, v47 :: v_dual_lshlrev_b32 v14, 20, v14
	v_lshl_add_u32 v44, v44, 23, 0x3c000000
	v_and_b32_e32 v45, 0x80000000, v45
	s_delay_alu instid0(VALU_DEP_1) | instskip(NEXT) | instid1(VALU_DEP_1)
	v_or3_b32 v14, v14, v45, v44
	v_mov_b64_e32 v[44:45], v[14:15]
.LBB192_454:                            ;   in Loop: Header=BB192_296 Depth=1
	s_or_b32 exec_lo, exec_lo, s16
.LBB192_455:                            ;   in Loop: Header=BB192_296 Depth=1
	s_delay_alu instid0(SALU_CYCLE_1)
	s_or_b32 exec_lo, exec_lo, s15
.LBB192_456:                            ;   in Loop: Header=BB192_296 Depth=1
	s_delay_alu instid0(SALU_CYCLE_1) | instskip(NEXT) | instid1(SALU_CYCLE_1)
	s_or_b32 exec_lo, exec_lo, s14
	s_mov_b32 s14, exec_lo
	v_cmpx_lt_u32_e32 0xffffff, v46
	s_cbranch_execz .LBB192_464
; %bb.457:                              ;   in Loop: Header=BB192_296 Depth=1
	v_mov_b64_e32 v[42:43], 0x8000000000000000
	v_lshrrev_b32_e32 v47, 24, v46
	s_mov_b32 s15, exec_lo
	s_delay_alu instid0(VALU_DEP_1)
	v_cmpx_ne_u32_e32 0x80, v47
	s_cbranch_execz .LBB192_463
; %bb.458:                              ;   in Loop: Header=BB192_296 Depth=1
	v_mov_b64_e32 v[42:43], 0x7f80000100000000
	v_bfe_u32 v46, v46, 24, 7
	s_mov_b32 s16, exec_lo
	s_delay_alu instid0(VALU_DEP_1)
	v_cmpx_ne_u32_e32 0x7f, v46
	s_cbranch_execz .LBB192_462
; %bb.459:                              ;   in Loop: Header=BB192_296 Depth=1
	v_dual_lshrrev_b32 v42, 3, v46 :: v_dual_bitop2_b32 v14, 7, v47 bitop3:0x40
	s_mov_b32 s17, exec_lo
	v_cmpx_gt_u32_e32 8, v46
; %bb.460:                              ;   in Loop: Header=BB192_296 Depth=1
	s_delay_alu instid0(VALU_DEP_2) | instskip(NEXT) | instid1(VALU_DEP_1)
	v_clz_i32_u32_e32 v42, v14
	v_min_u32_e32 v42, 32, v42
	s_delay_alu instid0(VALU_DEP_1) | instskip(NEXT) | instid1(VALU_DEP_1)
	v_subrev_nc_u32_e32 v43, 28, v42
	v_lshlrev_b64_e32 v[48:49], v43, v[14:15]
	s_delay_alu instid0(VALU_DEP_1)
	v_dual_sub_nc_u32 v42, 29, v42 :: v_dual_bitop2_b32 v14, 7, v48 bitop3:0x40
; %bb.461:                              ;   in Loop: Header=BB192_296 Depth=1
	s_or_b32 exec_lo, exec_lo, s17
	s_delay_alu instid0(VALU_DEP_1) | instskip(NEXT) | instid1(VALU_DEP_2)
	v_dual_lshlrev_b32 v43, 24, v47 :: v_dual_lshlrev_b32 v14, 20, v14
	v_lshl_add_u32 v42, v42, 23, 0x3c000000
	s_delay_alu instid0(VALU_DEP_2) | instskip(NEXT) | instid1(VALU_DEP_1)
	v_and_b32_e32 v43, 0x80000000, v43
	v_or3_b32 v43, v14, v43, v42
	v_mov_b32_e32 v42, v15
.LBB192_462:                            ;   in Loop: Header=BB192_296 Depth=1
	s_or_b32 exec_lo, exec_lo, s16
.LBB192_463:                            ;   in Loop: Header=BB192_296 Depth=1
	s_delay_alu instid0(SALU_CYCLE_1)
	s_or_b32 exec_lo, exec_lo, s15
.LBB192_464:                            ;   in Loop: Header=BB192_296 Depth=1
	s_delay_alu instid0(SALU_CYCLE_1)
	s_or_b32 exec_lo, exec_lo, s14
	v_mov_b64_e32 v[46:47], s[4:5]
	v_or_b32_e32 v39, v39, v41
	v_or_b32_e32 v38, v38, v40
	;; [unrolled: 1-line block ×4, first 2 shown]
	s_delay_alu instid0(VALU_DEP_3) | instskip(NEXT) | instid1(VALU_DEP_2)
	v_pk_mul_f32 v[40:41], v[46:47], v[38:39]
	v_pk_mul_f32 v[38:39], v[46:47], v[42:43]
	s_and_saveexec_b32 s14, vcc_lo
	s_cbranch_execz .LBB192_466
; %bb.465:                              ;   in Loop: Header=BB192_296 Depth=1
	v_cmp_gt_i32_e64 s0, s25, v60
	s_delay_alu instid0(VALU_DEP_1) | instskip(SKIP_1) | instid1(VALU_DEP_1)
	v_cndmask_b32_e64 v40, 0, v40, s0
	v_cmp_gt_i32_e64 s0, s25, v63
	v_cndmask_b32_e64 v41, 0, v41, s0
	v_cmp_gt_i32_e64 s0, s25, v55
	s_delay_alu instid0(VALU_DEP_1) | instskip(SKIP_1) | instid1(VALU_DEP_1)
	v_cndmask_b32_e64 v38, 0, v38, s0
	v_cmp_gt_i32_e64 s0, s25, v54
	v_cndmask_b32_e64 v39, 0, v39, s0
.LBB192_466:                            ;   in Loop: Header=BB192_296 Depth=1
	s_or_b32 exec_lo, exec_lo, s14
	global_load_b32 v50, v[24:25], off offset:640
	v_mov_b64_e32 v[42:43], 0
	v_mov_b64_e32 v[44:45], 0
	s_mov_b32 s14, exec_lo
	s_wait_loadcnt 0x0
	v_and_b32_e32 v14, 0xff, v50
	s_delay_alu instid0(VALU_DEP_1)
	v_cmpx_ne_u16_e32 0, v14
	s_cbranch_execz .LBB192_474
; %bb.467:                              ;   in Loop: Header=BB192_296 Depth=1
	v_mov_b64_e32 v[44:45], 0x80000000
	s_mov_b32 s15, exec_lo
	v_cmpx_ne_u16_e32 0x80, v14
	s_cbranch_execz .LBB192_473
; %bb.468:                              ;   in Loop: Header=BB192_296 Depth=1
	v_mov_b64_e32 v[44:45], 0x7f800001
	v_and_b32_e32 v46, 0x7f, v50
	s_mov_b32 s16, exec_lo
	s_delay_alu instid0(VALU_DEP_1)
	v_cmpx_ne_u32_e32 0x7f, v46
	s_cbranch_execz .LBB192_472
; %bb.469:                              ;   in Loop: Header=BB192_296 Depth=1
	v_and_b32_e32 v14, 7, v50
	v_lshrrev_b32_e32 v44, 3, v46
	s_mov_b32 s17, exec_lo
	v_cmpx_gt_u32_e32 8, v46
; %bb.470:                              ;   in Loop: Header=BB192_296 Depth=1
	s_delay_alu instid0(VALU_DEP_3) | instskip(NEXT) | instid1(VALU_DEP_1)
	v_clz_i32_u32_e32 v44, v14
	v_min_u32_e32 v44, 32, v44
	s_delay_alu instid0(VALU_DEP_1) | instskip(NEXT) | instid1(VALU_DEP_1)
	v_subrev_nc_u32_e32 v45, 28, v44
	v_lshlrev_b64_e32 v[46:47], v45, v[14:15]
	s_delay_alu instid0(VALU_DEP_1)
	v_dual_sub_nc_u32 v44, 29, v44 :: v_dual_bitop2_b32 v14, 7, v46 bitop3:0x40
; %bb.471:                              ;   in Loop: Header=BB192_296 Depth=1
	s_or_b32 exec_lo, exec_lo, s17
	v_lshlrev_b32_e32 v45, 24, v50
	s_delay_alu instid0(VALU_DEP_2) | instskip(NEXT) | instid1(VALU_DEP_3)
	v_lshlrev_b32_e32 v14, 20, v14
	v_lshl_add_u32 v44, v44, 23, 0x3c000000
	s_delay_alu instid0(VALU_DEP_3) | instskip(NEXT) | instid1(VALU_DEP_1)
	v_and_b32_e32 v45, 0x80000000, v45
	v_or3_b32 v14, v14, v45, v44
	s_delay_alu instid0(VALU_DEP_1)
	v_mov_b64_e32 v[44:45], v[14:15]
.LBB192_472:                            ;   in Loop: Header=BB192_296 Depth=1
	s_or_b32 exec_lo, exec_lo, s16
.LBB192_473:                            ;   in Loop: Header=BB192_296 Depth=1
	s_delay_alu instid0(SALU_CYCLE_1)
	s_or_b32 exec_lo, exec_lo, s15
.LBB192_474:                            ;   in Loop: Header=BB192_296 Depth=1
	s_delay_alu instid0(SALU_CYCLE_1) | instskip(SKIP_2) | instid1(VALU_DEP_1)
	s_or_b32 exec_lo, exec_lo, s14
	v_lshrrev_b16 v14, 8, v50
	s_mov_b32 s14, exec_lo
	v_cmpx_ne_u16_e32 0, v14
	s_cbranch_execz .LBB192_482
; %bb.475:                              ;   in Loop: Header=BB192_296 Depth=1
	v_mov_b64_e32 v[42:43], 0x8000000000000000
	s_mov_b32 s15, exec_lo
	v_cmpx_ne_u16_e32 0x80, v14
	s_cbranch_execz .LBB192_481
; %bb.476:                              ;   in Loop: Header=BB192_296 Depth=1
	v_and_b32_e32 v14, 0xffff, v14
	v_mov_b64_e32 v[42:43], 0x7f80000100000000
	s_mov_b32 s16, exec_lo
	s_delay_alu instid0(VALU_DEP_2) | instskip(NEXT) | instid1(VALU_DEP_1)
	v_and_b32_e32 v46, 0x7f, v14
	v_cmpx_ne_u32_e32 0x7f, v46
	s_cbranch_execz .LBB192_480
; %bb.477:                              ;   in Loop: Header=BB192_296 Depth=1
	v_and_b32_e32 v14, 7, v14
	v_lshrrev_b32_e32 v42, 3, v46
	s_mov_b32 s17, exec_lo
	v_cmpx_gt_u32_e32 8, v46
; %bb.478:                              ;   in Loop: Header=BB192_296 Depth=1
	s_delay_alu instid0(VALU_DEP_3) | instskip(NEXT) | instid1(VALU_DEP_1)
	v_clz_i32_u32_e32 v42, v14
	v_min_u32_e32 v42, 32, v42
	s_delay_alu instid0(VALU_DEP_1) | instskip(SKIP_1) | instid1(VALU_DEP_2)
	v_subrev_nc_u32_e32 v43, 28, v42
	v_sub_nc_u32_e32 v42, 29, v42
	v_lshlrev_b64_e32 v[46:47], v43, v[14:15]
	s_delay_alu instid0(VALU_DEP_1)
	v_and_b32_e32 v14, 7, v46
; %bb.479:                              ;   in Loop: Header=BB192_296 Depth=1
	s_or_b32 exec_lo, exec_lo, s17
	v_lshlrev_b32_e32 v43, 16, v50
	s_delay_alu instid0(VALU_DEP_2) | instskip(SKIP_1) | instid1(VALU_DEP_3)
	v_lshlrev_b32_e32 v14, 20, v14
	v_lshl_add_u32 v42, v42, 23, 0x3c000000
	v_and_b32_e32 v43, 0x80000000, v43
	s_delay_alu instid0(VALU_DEP_1)
	v_or3_b32 v43, v14, v43, v42
	v_mov_b32_e32 v42, v15
.LBB192_480:                            ;   in Loop: Header=BB192_296 Depth=1
	s_or_b32 exec_lo, exec_lo, s16
.LBB192_481:                            ;   in Loop: Header=BB192_296 Depth=1
	s_delay_alu instid0(SALU_CYCLE_1)
	s_or_b32 exec_lo, exec_lo, s15
.LBB192_482:                            ;   in Loop: Header=BB192_296 Depth=1
	s_delay_alu instid0(SALU_CYCLE_1) | instskip(SKIP_4) | instid1(VALU_DEP_3)
	s_or_b32 exec_lo, exec_lo, s14
	v_lshrrev_b32_e32 v51, 16, v50
	v_mov_b64_e32 v[46:47], 0
	v_mov_b64_e32 v[48:49], 0
	s_mov_b32 s14, exec_lo
	v_and_b32_e32 v14, 0xff, v51
	s_delay_alu instid0(VALU_DEP_1)
	v_cmpx_ne_u16_e32 0, v14
	s_cbranch_execz .LBB192_490
; %bb.483:                              ;   in Loop: Header=BB192_296 Depth=1
	v_mov_b64_e32 v[48:49], 0x80000000
	s_mov_b32 s15, exec_lo
	v_cmpx_ne_u16_e32 0x80, v14
	s_cbranch_execz .LBB192_489
; %bb.484:                              ;   in Loop: Header=BB192_296 Depth=1
	v_mov_b64_e32 v[48:49], 0x7f800001
	v_bfe_u32 v52, v50, 16, 7
	s_mov_b32 s16, exec_lo
	s_delay_alu instid0(VALU_DEP_1)
	v_cmpx_ne_u32_e32 0x7f, v52
	s_cbranch_execz .LBB192_488
; %bb.485:                              ;   in Loop: Header=BB192_296 Depth=1
	v_dual_lshrrev_b32 v48, 3, v52 :: v_dual_bitop2_b32 v14, 7, v51 bitop3:0x40
	s_mov_b32 s17, exec_lo
	v_cmpx_gt_u32_e32 8, v52
; %bb.486:                              ;   in Loop: Header=BB192_296 Depth=1
	s_delay_alu instid0(VALU_DEP_2) | instskip(NEXT) | instid1(VALU_DEP_1)
	v_clz_i32_u32_e32 v48, v14
	v_min_u32_e32 v48, 32, v48
	s_delay_alu instid0(VALU_DEP_1) | instskip(SKIP_1) | instid1(VALU_DEP_2)
	v_subrev_nc_u32_e32 v49, 28, v48
	v_sub_nc_u32_e32 v48, 29, v48
	v_lshlrev_b64_e32 v[52:53], v49, v[14:15]
	s_delay_alu instid0(VALU_DEP_1)
	v_and_b32_e32 v14, 7, v52
; %bb.487:                              ;   in Loop: Header=BB192_296 Depth=1
	s_or_b32 exec_lo, exec_lo, s17
	s_delay_alu instid0(VALU_DEP_1) | instskip(SKIP_1) | instid1(VALU_DEP_2)
	v_dual_lshlrev_b32 v49, 24, v51 :: v_dual_lshlrev_b32 v14, 20, v14
	v_lshl_add_u32 v48, v48, 23, 0x3c000000
	v_and_b32_e32 v49, 0x80000000, v49
	s_delay_alu instid0(VALU_DEP_1) | instskip(NEXT) | instid1(VALU_DEP_1)
	v_or3_b32 v14, v14, v49, v48
	v_mov_b64_e32 v[48:49], v[14:15]
.LBB192_488:                            ;   in Loop: Header=BB192_296 Depth=1
	s_or_b32 exec_lo, exec_lo, s16
.LBB192_489:                            ;   in Loop: Header=BB192_296 Depth=1
	s_delay_alu instid0(SALU_CYCLE_1)
	s_or_b32 exec_lo, exec_lo, s15
.LBB192_490:                            ;   in Loop: Header=BB192_296 Depth=1
	s_delay_alu instid0(SALU_CYCLE_1) | instskip(NEXT) | instid1(SALU_CYCLE_1)
	s_or_b32 exec_lo, exec_lo, s14
	s_mov_b32 s14, exec_lo
	v_cmpx_lt_u32_e32 0xffffff, v50
	s_cbranch_execz .LBB192_498
; %bb.491:                              ;   in Loop: Header=BB192_296 Depth=1
	v_mov_b64_e32 v[46:47], 0x8000000000000000
	v_lshrrev_b32_e32 v51, 24, v50
	s_mov_b32 s15, exec_lo
	s_delay_alu instid0(VALU_DEP_1)
	v_cmpx_ne_u32_e32 0x80, v51
	s_cbranch_execz .LBB192_497
; %bb.492:                              ;   in Loop: Header=BB192_296 Depth=1
	v_mov_b64_e32 v[46:47], 0x7f80000100000000
	v_bfe_u32 v50, v50, 24, 7
	s_mov_b32 s16, exec_lo
	s_delay_alu instid0(VALU_DEP_1)
	v_cmpx_ne_u32_e32 0x7f, v50
	s_cbranch_execz .LBB192_496
; %bb.493:                              ;   in Loop: Header=BB192_296 Depth=1
	v_dual_lshrrev_b32 v46, 3, v50 :: v_dual_bitop2_b32 v14, 7, v51 bitop3:0x40
	s_mov_b32 s17, exec_lo
	v_cmpx_gt_u32_e32 8, v50
; %bb.494:                              ;   in Loop: Header=BB192_296 Depth=1
	s_delay_alu instid0(VALU_DEP_2) | instskip(NEXT) | instid1(VALU_DEP_1)
	v_clz_i32_u32_e32 v46, v14
	v_min_u32_e32 v46, 32, v46
	s_delay_alu instid0(VALU_DEP_1) | instskip(NEXT) | instid1(VALU_DEP_1)
	v_subrev_nc_u32_e32 v47, 28, v46
	v_lshlrev_b64_e32 v[52:53], v47, v[14:15]
	s_delay_alu instid0(VALU_DEP_1)
	v_dual_sub_nc_u32 v46, 29, v46 :: v_dual_bitop2_b32 v14, 7, v52 bitop3:0x40
; %bb.495:                              ;   in Loop: Header=BB192_296 Depth=1
	s_or_b32 exec_lo, exec_lo, s17
	s_delay_alu instid0(VALU_DEP_1) | instskip(NEXT) | instid1(VALU_DEP_2)
	v_dual_lshlrev_b32 v47, 24, v51 :: v_dual_lshlrev_b32 v14, 20, v14
	v_lshl_add_u32 v46, v46, 23, 0x3c000000
	s_delay_alu instid0(VALU_DEP_2) | instskip(NEXT) | instid1(VALU_DEP_1)
	v_and_b32_e32 v47, 0x80000000, v47
	v_or3_b32 v47, v14, v47, v46
	v_mov_b32_e32 v46, v15
.LBB192_496:                            ;   in Loop: Header=BB192_296 Depth=1
	s_or_b32 exec_lo, exec_lo, s16
.LBB192_497:                            ;   in Loop: Header=BB192_296 Depth=1
	s_delay_alu instid0(SALU_CYCLE_1)
	s_or_b32 exec_lo, exec_lo, s15
.LBB192_498:                            ;   in Loop: Header=BB192_296 Depth=1
	s_delay_alu instid0(SALU_CYCLE_1)
	s_or_b32 exec_lo, exec_lo, s14
	v_mov_b64_e32 v[50:51], s[4:5]
	v_or_b32_e32 v43, v43, v45
	v_or_b32_e32 v42, v42, v44
	;; [unrolled: 1-line block ×4, first 2 shown]
	s_delay_alu instid0(VALU_DEP_3) | instskip(NEXT) | instid1(VALU_DEP_2)
	v_pk_mul_f32 v[44:45], v[50:51], v[42:43]
	v_pk_mul_f32 v[42:43], v[50:51], v[46:47]
	s_and_saveexec_b32 s14, vcc_lo
	s_cbranch_execz .LBB192_500
; %bb.499:                              ;   in Loop: Header=BB192_296 Depth=1
	v_cmp_gt_i32_e64 s0, s25, v60
	s_delay_alu instid0(VALU_DEP_1) | instskip(SKIP_1) | instid1(VALU_DEP_1)
	v_cndmask_b32_e64 v44, 0, v44, s0
	v_cmp_gt_i32_e64 s0, s25, v63
	v_cndmask_b32_e64 v45, 0, v45, s0
	v_cmp_gt_i32_e64 s0, s25, v55
	s_delay_alu instid0(VALU_DEP_1) | instskip(SKIP_1) | instid1(VALU_DEP_1)
	v_cndmask_b32_e64 v42, 0, v42, s0
	v_cmp_gt_i32_e64 s0, s25, v54
	v_cndmask_b32_e64 v43, 0, v43, s0
.LBB192_500:                            ;   in Loop: Header=BB192_296 Depth=1
	s_or_b32 exec_lo, exec_lo, s14
	global_load_b32 v64, v[24:25], off offset:768
	v_mov_b64_e32 v[46:47], 0
	v_mov_b64_e32 v[48:49], 0
	s_mov_b32 s14, exec_lo
	s_wait_loadcnt 0x0
	v_and_b32_e32 v14, 0xff, v64
	s_delay_alu instid0(VALU_DEP_1)
	v_cmpx_ne_u16_e32 0, v14
	s_cbranch_execz .LBB192_508
; %bb.501:                              ;   in Loop: Header=BB192_296 Depth=1
	v_mov_b64_e32 v[48:49], 0x80000000
	s_mov_b32 s15, exec_lo
	v_cmpx_ne_u16_e32 0x80, v14
	s_cbranch_execz .LBB192_507
; %bb.502:                              ;   in Loop: Header=BB192_296 Depth=1
	v_mov_b64_e32 v[48:49], 0x7f800001
	v_and_b32_e32 v50, 0x7f, v64
	s_mov_b32 s16, exec_lo
	s_delay_alu instid0(VALU_DEP_1)
	v_cmpx_ne_u32_e32 0x7f, v50
	s_cbranch_execz .LBB192_506
; %bb.503:                              ;   in Loop: Header=BB192_296 Depth=1
	v_dual_lshrrev_b32 v48, 3, v50 :: v_dual_bitop2_b32 v14, 7, v64 bitop3:0x40
	s_mov_b32 s17, exec_lo
	v_cmpx_gt_u32_e32 8, v50
; %bb.504:                              ;   in Loop: Header=BB192_296 Depth=1
	s_delay_alu instid0(VALU_DEP_2) | instskip(NEXT) | instid1(VALU_DEP_1)
	v_clz_i32_u32_e32 v48, v14
	v_min_u32_e32 v48, 32, v48
	s_delay_alu instid0(VALU_DEP_1) | instskip(NEXT) | instid1(VALU_DEP_1)
	v_subrev_nc_u32_e32 v49, 28, v48
	v_lshlrev_b64_e32 v[50:51], v49, v[14:15]
	s_delay_alu instid0(VALU_DEP_1)
	v_dual_sub_nc_u32 v48, 29, v48 :: v_dual_bitop2_b32 v14, 7, v50 bitop3:0x40
; %bb.505:                              ;   in Loop: Header=BB192_296 Depth=1
	s_or_b32 exec_lo, exec_lo, s17
	s_delay_alu instid0(VALU_DEP_1) | instskip(NEXT) | instid1(VALU_DEP_2)
	v_dual_lshlrev_b32 v49, 24, v64 :: v_dual_lshlrev_b32 v14, 20, v14
	v_lshl_add_u32 v48, v48, 23, 0x3c000000
	s_delay_alu instid0(VALU_DEP_2) | instskip(NEXT) | instid1(VALU_DEP_1)
	v_and_b32_e32 v49, 0x80000000, v49
	v_or3_b32 v14, v14, v49, v48
	s_delay_alu instid0(VALU_DEP_1)
	v_mov_b64_e32 v[48:49], v[14:15]
.LBB192_506:                            ;   in Loop: Header=BB192_296 Depth=1
	s_or_b32 exec_lo, exec_lo, s16
.LBB192_507:                            ;   in Loop: Header=BB192_296 Depth=1
	s_delay_alu instid0(SALU_CYCLE_1)
	s_or_b32 exec_lo, exec_lo, s15
.LBB192_508:                            ;   in Loop: Header=BB192_296 Depth=1
	s_delay_alu instid0(SALU_CYCLE_1) | instskip(SKIP_2) | instid1(VALU_DEP_1)
	s_or_b32 exec_lo, exec_lo, s14
	v_lshrrev_b16 v14, 8, v64
	s_mov_b32 s14, exec_lo
	v_cmpx_ne_u16_e32 0, v14
	s_cbranch_execz .LBB192_516
; %bb.509:                              ;   in Loop: Header=BB192_296 Depth=1
	v_mov_b64_e32 v[46:47], 0x8000000000000000
	s_mov_b32 s15, exec_lo
	v_cmpx_ne_u16_e32 0x80, v14
	s_cbranch_execz .LBB192_515
; %bb.510:                              ;   in Loop: Header=BB192_296 Depth=1
	v_and_b32_e32 v14, 0xffff, v14
	v_mov_b64_e32 v[46:47], 0x7f80000100000000
	s_mov_b32 s16, exec_lo
	s_delay_alu instid0(VALU_DEP_2) | instskip(NEXT) | instid1(VALU_DEP_1)
	v_and_b32_e32 v50, 0x7f, v14
	v_cmpx_ne_u32_e32 0x7f, v50
	s_cbranch_execz .LBB192_514
; %bb.511:                              ;   in Loop: Header=BB192_296 Depth=1
	v_and_b32_e32 v14, 7, v14
	v_lshrrev_b32_e32 v46, 3, v50
	s_mov_b32 s17, exec_lo
	v_cmpx_gt_u32_e32 8, v50
; %bb.512:                              ;   in Loop: Header=BB192_296 Depth=1
	s_delay_alu instid0(VALU_DEP_3) | instskip(NEXT) | instid1(VALU_DEP_1)
	v_clz_i32_u32_e32 v46, v14
	v_min_u32_e32 v46, 32, v46
	s_delay_alu instid0(VALU_DEP_1) | instskip(SKIP_1) | instid1(VALU_DEP_2)
	v_subrev_nc_u32_e32 v47, 28, v46
	v_sub_nc_u32_e32 v46, 29, v46
	v_lshlrev_b64_e32 v[50:51], v47, v[14:15]
	s_delay_alu instid0(VALU_DEP_1)
	v_and_b32_e32 v14, 7, v50
; %bb.513:                              ;   in Loop: Header=BB192_296 Depth=1
	s_or_b32 exec_lo, exec_lo, s17
	s_delay_alu instid0(VALU_DEP_1) | instskip(SKIP_1) | instid1(VALU_DEP_2)
	v_dual_lshlrev_b32 v47, 16, v64 :: v_dual_lshlrev_b32 v14, 20, v14
	v_lshl_add_u32 v46, v46, 23, 0x3c000000
	v_and_b32_e32 v47, 0x80000000, v47
	s_delay_alu instid0(VALU_DEP_1)
	v_or3_b32 v47, v14, v47, v46
	v_mov_b32_e32 v46, v15
.LBB192_514:                            ;   in Loop: Header=BB192_296 Depth=1
	s_or_b32 exec_lo, exec_lo, s16
.LBB192_515:                            ;   in Loop: Header=BB192_296 Depth=1
	s_delay_alu instid0(SALU_CYCLE_1)
	s_or_b32 exec_lo, exec_lo, s15
.LBB192_516:                            ;   in Loop: Header=BB192_296 Depth=1
	s_delay_alu instid0(SALU_CYCLE_1) | instskip(SKIP_4) | instid1(VALU_DEP_3)
	s_or_b32 exec_lo, exec_lo, s14
	v_lshrrev_b32_e32 v65, 16, v64
	v_mov_b64_e32 v[50:51], 0
	v_mov_b64_e32 v[52:53], 0
	s_mov_b32 s14, exec_lo
	v_and_b32_e32 v14, 0xff, v65
	s_delay_alu instid0(VALU_DEP_1)
	v_cmpx_ne_u16_e32 0, v14
	s_cbranch_execz .LBB192_524
; %bb.517:                              ;   in Loop: Header=BB192_296 Depth=1
	v_mov_b64_e32 v[52:53], 0x80000000
	s_mov_b32 s15, exec_lo
	v_cmpx_ne_u16_e32 0x80, v14
	s_cbranch_execz .LBB192_523
; %bb.518:                              ;   in Loop: Header=BB192_296 Depth=1
	v_mov_b64_e32 v[52:53], 0x7f800001
	v_bfe_u32 v66, v64, 16, 7
	s_mov_b32 s16, exec_lo
	s_delay_alu instid0(VALU_DEP_1)
	v_cmpx_ne_u32_e32 0x7f, v66
	s_cbranch_execz .LBB192_522
; %bb.519:                              ;   in Loop: Header=BB192_296 Depth=1
	v_dual_lshrrev_b32 v52, 3, v66 :: v_dual_bitop2_b32 v14, 7, v65 bitop3:0x40
	s_mov_b32 s17, exec_lo
	v_cmpx_gt_u32_e32 8, v66
; %bb.520:                              ;   in Loop: Header=BB192_296 Depth=1
	s_delay_alu instid0(VALU_DEP_2) | instskip(NEXT) | instid1(VALU_DEP_1)
	v_clz_i32_u32_e32 v52, v14
	v_min_u32_e32 v52, 32, v52
	s_delay_alu instid0(VALU_DEP_1) | instskip(NEXT) | instid1(VALU_DEP_1)
	v_subrev_nc_u32_e32 v53, 28, v52
	v_lshlrev_b64_e32 v[66:67], v53, v[14:15]
	s_delay_alu instid0(VALU_DEP_1)
	v_dual_sub_nc_u32 v52, 29, v52 :: v_dual_bitop2_b32 v14, 7, v66 bitop3:0x40
; %bb.521:                              ;   in Loop: Header=BB192_296 Depth=1
	s_or_b32 exec_lo, exec_lo, s17
	s_delay_alu instid0(VALU_DEP_1) | instskip(NEXT) | instid1(VALU_DEP_2)
	v_dual_lshlrev_b32 v53, 24, v65 :: v_dual_lshlrev_b32 v14, 20, v14
	v_lshl_add_u32 v52, v52, 23, 0x3c000000
	s_delay_alu instid0(VALU_DEP_2) | instskip(NEXT) | instid1(VALU_DEP_1)
	v_and_b32_e32 v53, 0x80000000, v53
	v_or3_b32 v14, v14, v53, v52
	s_delay_alu instid0(VALU_DEP_1)
	v_mov_b64_e32 v[52:53], v[14:15]
.LBB192_522:                            ;   in Loop: Header=BB192_296 Depth=1
	s_or_b32 exec_lo, exec_lo, s16
.LBB192_523:                            ;   in Loop: Header=BB192_296 Depth=1
	s_delay_alu instid0(SALU_CYCLE_1)
	s_or_b32 exec_lo, exec_lo, s15
.LBB192_524:                            ;   in Loop: Header=BB192_296 Depth=1
	s_delay_alu instid0(SALU_CYCLE_1) | instskip(NEXT) | instid1(SALU_CYCLE_1)
	s_or_b32 exec_lo, exec_lo, s14
	s_mov_b32 s14, exec_lo
	v_cmpx_lt_u32_e32 0xffffff, v64
	s_cbranch_execz .LBB192_532
; %bb.525:                              ;   in Loop: Header=BB192_296 Depth=1
	v_mov_b64_e32 v[50:51], 0x8000000000000000
	v_lshrrev_b32_e32 v65, 24, v64
	s_mov_b32 s15, exec_lo
	s_delay_alu instid0(VALU_DEP_1)
	v_cmpx_ne_u32_e32 0x80, v65
	s_cbranch_execz .LBB192_531
; %bb.526:                              ;   in Loop: Header=BB192_296 Depth=1
	v_mov_b64_e32 v[50:51], 0x7f80000100000000
	v_bfe_u32 v64, v64, 24, 7
	s_mov_b32 s16, exec_lo
	s_delay_alu instid0(VALU_DEP_1)
	v_cmpx_ne_u32_e32 0x7f, v64
	s_cbranch_execz .LBB192_530
; %bb.527:                              ;   in Loop: Header=BB192_296 Depth=1
	v_dual_lshrrev_b32 v50, 3, v64 :: v_dual_bitop2_b32 v14, 7, v65 bitop3:0x40
	s_mov_b32 s17, exec_lo
	v_cmpx_gt_u32_e32 8, v64
; %bb.528:                              ;   in Loop: Header=BB192_296 Depth=1
	s_delay_alu instid0(VALU_DEP_2) | instskip(NEXT) | instid1(VALU_DEP_1)
	v_clz_i32_u32_e32 v50, v14
	v_min_u32_e32 v50, 32, v50
	s_delay_alu instid0(VALU_DEP_1) | instskip(SKIP_1) | instid1(VALU_DEP_2)
	v_subrev_nc_u32_e32 v51, 28, v50
	v_sub_nc_u32_e32 v50, 29, v50
	v_lshlrev_b64_e32 v[66:67], v51, v[14:15]
	s_delay_alu instid0(VALU_DEP_1)
	v_and_b32_e32 v14, 7, v66
; %bb.529:                              ;   in Loop: Header=BB192_296 Depth=1
	s_or_b32 exec_lo, exec_lo, s17
	s_delay_alu instid0(VALU_DEP_1) | instskip(SKIP_1) | instid1(VALU_DEP_2)
	v_dual_lshlrev_b32 v51, 24, v65 :: v_dual_lshlrev_b32 v14, 20, v14
	v_lshl_add_u32 v50, v50, 23, 0x3c000000
	v_and_b32_e32 v51, 0x80000000, v51
	s_delay_alu instid0(VALU_DEP_1)
	v_or3_b32 v51, v14, v51, v50
	v_mov_b32_e32 v50, v15
.LBB192_530:                            ;   in Loop: Header=BB192_296 Depth=1
	s_or_b32 exec_lo, exec_lo, s16
.LBB192_531:                            ;   in Loop: Header=BB192_296 Depth=1
	s_delay_alu instid0(SALU_CYCLE_1)
	s_or_b32 exec_lo, exec_lo, s15
.LBB192_532:                            ;   in Loop: Header=BB192_296 Depth=1
	s_delay_alu instid0(SALU_CYCLE_1)
	s_or_b32 exec_lo, exec_lo, s14
	v_mov_b64_e32 v[64:65], s[4:5]
	v_or_b32_e32 v47, v47, v49
	v_or_b32_e32 v46, v46, v48
	;; [unrolled: 1-line block ×4, first 2 shown]
	s_delay_alu instid0(VALU_DEP_3) | instskip(NEXT) | instid1(VALU_DEP_2)
	v_pk_mul_f32 v[48:49], v[64:65], v[46:47]
	v_pk_mul_f32 v[46:47], v[64:65], v[50:51]
	s_and_saveexec_b32 s14, vcc_lo
	s_cbranch_execz .LBB192_534
; %bb.533:                              ;   in Loop: Header=BB192_296 Depth=1
	v_cmp_gt_i32_e64 s0, s25, v60
	s_delay_alu instid0(VALU_DEP_1) | instskip(SKIP_1) | instid1(VALU_DEP_1)
	v_cndmask_b32_e64 v48, 0, v48, s0
	v_cmp_gt_i32_e64 s0, s25, v63
	v_cndmask_b32_e64 v49, 0, v49, s0
	v_cmp_gt_i32_e64 s0, s25, v55
	s_delay_alu instid0(VALU_DEP_1) | instskip(SKIP_1) | instid1(VALU_DEP_1)
	v_cndmask_b32_e64 v46, 0, v46, s0
	v_cmp_gt_i32_e64 s0, s25, v54
	v_cndmask_b32_e64 v47, 0, v47, s0
.LBB192_534:                            ;   in Loop: Header=BB192_296 Depth=1
	s_or_b32 exec_lo, exec_lo, s14
	global_load_b32 v64, v[24:25], off offset:896
	s_wait_xcnt 0x0
	v_mov_b64_e32 v[24:25], 0
	v_mov_b64_e32 v[50:51], 0
	s_mov_b32 s14, exec_lo
	s_wait_loadcnt 0x0
	v_and_b32_e32 v14, 0xff, v64
	s_delay_alu instid0(VALU_DEP_1)
	v_cmpx_ne_u16_e32 0, v14
	s_cbranch_execz .LBB192_542
; %bb.535:                              ;   in Loop: Header=BB192_296 Depth=1
	v_mov_b64_e32 v[50:51], 0x80000000
	s_mov_b32 s15, exec_lo
	v_cmpx_ne_u16_e32 0x80, v14
	s_cbranch_execz .LBB192_541
; %bb.536:                              ;   in Loop: Header=BB192_296 Depth=1
	v_mov_b64_e32 v[50:51], 0x7f800001
	v_and_b32_e32 v52, 0x7f, v64
	s_mov_b32 s16, exec_lo
	s_delay_alu instid0(VALU_DEP_1)
	v_cmpx_ne_u32_e32 0x7f, v52
	s_cbranch_execz .LBB192_540
; %bb.537:                              ;   in Loop: Header=BB192_296 Depth=1
	v_and_b32_e32 v14, 7, v64
	v_lshrrev_b32_e32 v50, 3, v52
	s_mov_b32 s17, exec_lo
	v_cmpx_gt_u32_e32 8, v52
; %bb.538:                              ;   in Loop: Header=BB192_296 Depth=1
	s_delay_alu instid0(VALU_DEP_3) | instskip(NEXT) | instid1(VALU_DEP_1)
	v_clz_i32_u32_e32 v50, v14
	v_min_u32_e32 v50, 32, v50
	s_delay_alu instid0(VALU_DEP_1) | instskip(NEXT) | instid1(VALU_DEP_1)
	v_subrev_nc_u32_e32 v51, 28, v50
	v_lshlrev_b64_e32 v[52:53], v51, v[14:15]
	s_delay_alu instid0(VALU_DEP_1)
	v_dual_sub_nc_u32 v50, 29, v50 :: v_dual_bitop2_b32 v14, 7, v52 bitop3:0x40
; %bb.539:                              ;   in Loop: Header=BB192_296 Depth=1
	s_or_b32 exec_lo, exec_lo, s17
	s_delay_alu instid0(VALU_DEP_1) | instskip(NEXT) | instid1(VALU_DEP_2)
	v_dual_lshlrev_b32 v51, 24, v64 :: v_dual_lshlrev_b32 v14, 20, v14
	v_lshl_add_u32 v50, v50, 23, 0x3c000000
	s_delay_alu instid0(VALU_DEP_2) | instskip(NEXT) | instid1(VALU_DEP_1)
	v_and_b32_e32 v51, 0x80000000, v51
	v_or3_b32 v14, v14, v51, v50
	s_delay_alu instid0(VALU_DEP_1)
	v_mov_b64_e32 v[50:51], v[14:15]
.LBB192_540:                            ;   in Loop: Header=BB192_296 Depth=1
	s_or_b32 exec_lo, exec_lo, s16
.LBB192_541:                            ;   in Loop: Header=BB192_296 Depth=1
	s_delay_alu instid0(SALU_CYCLE_1)
	s_or_b32 exec_lo, exec_lo, s15
.LBB192_542:                            ;   in Loop: Header=BB192_296 Depth=1
	s_delay_alu instid0(SALU_CYCLE_1) | instskip(SKIP_2) | instid1(VALU_DEP_1)
	s_or_b32 exec_lo, exec_lo, s14
	v_lshrrev_b16 v14, 8, v64
	s_mov_b32 s14, exec_lo
	v_cmpx_ne_u16_e32 0, v14
	s_cbranch_execz .LBB192_550
; %bb.543:                              ;   in Loop: Header=BB192_296 Depth=1
	v_mov_b64_e32 v[24:25], 0x8000000000000000
	s_mov_b32 s15, exec_lo
	v_cmpx_ne_u16_e32 0x80, v14
	s_cbranch_execz .LBB192_549
; %bb.544:                              ;   in Loop: Header=BB192_296 Depth=1
	v_and_b32_e32 v14, 0xffff, v14
	v_mov_b64_e32 v[24:25], 0x7f80000100000000
	s_mov_b32 s16, exec_lo
	s_delay_alu instid0(VALU_DEP_2) | instskip(NEXT) | instid1(VALU_DEP_1)
	v_and_b32_e32 v52, 0x7f, v14
	v_cmpx_ne_u32_e32 0x7f, v52
	s_cbranch_execz .LBB192_548
; %bb.545:                              ;   in Loop: Header=BB192_296 Depth=1
	v_dual_lshrrev_b32 v24, 3, v52 :: v_dual_bitop2_b32 v14, 7, v14 bitop3:0x40
	s_mov_b32 s17, exec_lo
	v_cmpx_gt_u32_e32 8, v52
; %bb.546:                              ;   in Loop: Header=BB192_296 Depth=1
	s_delay_alu instid0(VALU_DEP_2) | instskip(NEXT) | instid1(VALU_DEP_1)
	v_clz_i32_u32_e32 v24, v14
	v_min_u32_e32 v24, 32, v24
	s_delay_alu instid0(VALU_DEP_1) | instskip(SKIP_1) | instid1(VALU_DEP_2)
	v_subrev_nc_u32_e32 v25, 28, v24
	v_sub_nc_u32_e32 v24, 29, v24
	v_lshlrev_b64_e32 v[52:53], v25, v[14:15]
	s_delay_alu instid0(VALU_DEP_1)
	v_and_b32_e32 v14, 7, v52
; %bb.547:                              ;   in Loop: Header=BB192_296 Depth=1
	s_or_b32 exec_lo, exec_lo, s17
	s_delay_alu instid0(VALU_DEP_1) | instskip(SKIP_1) | instid1(VALU_DEP_2)
	v_dual_lshlrev_b32 v25, 16, v64 :: v_dual_lshlrev_b32 v14, 20, v14
	v_lshl_add_u32 v24, v24, 23, 0x3c000000
	v_and_b32_e32 v25, 0x80000000, v25
	s_delay_alu instid0(VALU_DEP_1)
	v_or3_b32 v25, v14, v25, v24
	v_mov_b32_e32 v24, v15
.LBB192_548:                            ;   in Loop: Header=BB192_296 Depth=1
	s_or_b32 exec_lo, exec_lo, s16
.LBB192_549:                            ;   in Loop: Header=BB192_296 Depth=1
	s_delay_alu instid0(SALU_CYCLE_1)
	s_or_b32 exec_lo, exec_lo, s15
.LBB192_550:                            ;   in Loop: Header=BB192_296 Depth=1
	s_delay_alu instid0(SALU_CYCLE_1) | instskip(SKIP_4) | instid1(VALU_DEP_3)
	s_or_b32 exec_lo, exec_lo, s14
	v_lshrrev_b32_e32 v65, 16, v64
	v_mov_b64_e32 v[52:53], 0
	v_mov_b64_e32 v[54:55], 0
	s_mov_b32 s14, exec_lo
	v_and_b32_e32 v14, 0xff, v65
	s_delay_alu instid0(VALU_DEP_1)
	v_cmpx_ne_u16_e32 0, v14
	s_cbranch_execz .LBB192_558
; %bb.551:                              ;   in Loop: Header=BB192_296 Depth=1
	v_mov_b64_e32 v[54:55], 0x80000000
	s_mov_b32 s15, exec_lo
	v_cmpx_ne_u16_e32 0x80, v14
	s_cbranch_execz .LBB192_557
; %bb.552:                              ;   in Loop: Header=BB192_296 Depth=1
	v_mov_b64_e32 v[54:55], 0x7f800001
	v_bfe_u32 v66, v64, 16, 7
	s_mov_b32 s16, exec_lo
	s_delay_alu instid0(VALU_DEP_1)
	v_cmpx_ne_u32_e32 0x7f, v66
	s_cbranch_execz .LBB192_556
; %bb.553:                              ;   in Loop: Header=BB192_296 Depth=1
	v_dual_lshrrev_b32 v54, 3, v66 :: v_dual_bitop2_b32 v14, 7, v65 bitop3:0x40
	s_mov_b32 s17, exec_lo
	v_cmpx_gt_u32_e32 8, v66
; %bb.554:                              ;   in Loop: Header=BB192_296 Depth=1
	s_delay_alu instid0(VALU_DEP_2) | instskip(NEXT) | instid1(VALU_DEP_1)
	v_clz_i32_u32_e32 v54, v14
	v_min_u32_e32 v54, 32, v54
	s_delay_alu instid0(VALU_DEP_1) | instskip(SKIP_1) | instid1(VALU_DEP_2)
	v_subrev_nc_u32_e32 v55, 28, v54
	v_sub_nc_u32_e32 v54, 29, v54
	v_lshlrev_b64_e32 v[66:67], v55, v[14:15]
	s_delay_alu instid0(VALU_DEP_1)
	v_and_b32_e32 v14, 7, v66
; %bb.555:                              ;   in Loop: Header=BB192_296 Depth=1
	s_or_b32 exec_lo, exec_lo, s17
	s_delay_alu instid0(VALU_DEP_1) | instskip(SKIP_1) | instid1(VALU_DEP_2)
	v_dual_lshlrev_b32 v55, 24, v65 :: v_dual_lshlrev_b32 v14, 20, v14
	v_lshl_add_u32 v54, v54, 23, 0x3c000000
	v_and_b32_e32 v55, 0x80000000, v55
	s_delay_alu instid0(VALU_DEP_1) | instskip(NEXT) | instid1(VALU_DEP_1)
	v_or3_b32 v14, v14, v55, v54
	v_mov_b64_e32 v[54:55], v[14:15]
.LBB192_556:                            ;   in Loop: Header=BB192_296 Depth=1
	s_or_b32 exec_lo, exec_lo, s16
.LBB192_557:                            ;   in Loop: Header=BB192_296 Depth=1
	s_delay_alu instid0(SALU_CYCLE_1)
	s_or_b32 exec_lo, exec_lo, s15
.LBB192_558:                            ;   in Loop: Header=BB192_296 Depth=1
	s_delay_alu instid0(SALU_CYCLE_1) | instskip(NEXT) | instid1(SALU_CYCLE_1)
	s_or_b32 exec_lo, exec_lo, s14
	s_mov_b32 s14, exec_lo
	v_cmpx_lt_u32_e32 0xffffff, v64
	s_cbranch_execz .LBB192_566
; %bb.559:                              ;   in Loop: Header=BB192_296 Depth=1
	v_mov_b64_e32 v[52:53], 0x8000000000000000
	v_lshrrev_b32_e32 v65, 24, v64
	s_mov_b32 s15, exec_lo
	s_delay_alu instid0(VALU_DEP_1)
	v_cmpx_ne_u32_e32 0x80, v65
	s_cbranch_execz .LBB192_565
; %bb.560:                              ;   in Loop: Header=BB192_296 Depth=1
	v_mov_b64_e32 v[52:53], 0x7f80000100000000
	v_bfe_u32 v64, v64, 24, 7
	s_mov_b32 s16, exec_lo
	s_delay_alu instid0(VALU_DEP_1)
	v_cmpx_ne_u32_e32 0x7f, v64
	s_cbranch_execz .LBB192_564
; %bb.561:                              ;   in Loop: Header=BB192_296 Depth=1
	v_dual_lshrrev_b32 v52, 3, v64 :: v_dual_bitop2_b32 v14, 7, v65 bitop3:0x40
	s_mov_b32 s17, exec_lo
	v_cmpx_gt_u32_e32 8, v64
; %bb.562:                              ;   in Loop: Header=BB192_296 Depth=1
	s_delay_alu instid0(VALU_DEP_2) | instskip(NEXT) | instid1(VALU_DEP_1)
	v_clz_i32_u32_e32 v52, v14
	v_min_u32_e32 v52, 32, v52
	s_delay_alu instid0(VALU_DEP_1) | instskip(NEXT) | instid1(VALU_DEP_1)
	v_subrev_nc_u32_e32 v53, 28, v52
	v_lshlrev_b64_e32 v[66:67], v53, v[14:15]
	s_delay_alu instid0(VALU_DEP_1)
	v_dual_sub_nc_u32 v52, 29, v52 :: v_dual_bitop2_b32 v14, 7, v66 bitop3:0x40
; %bb.563:                              ;   in Loop: Header=BB192_296 Depth=1
	s_or_b32 exec_lo, exec_lo, s17
	s_delay_alu instid0(VALU_DEP_1) | instskip(NEXT) | instid1(VALU_DEP_2)
	v_dual_lshlrev_b32 v53, 24, v65 :: v_dual_lshlrev_b32 v14, 20, v14
	v_lshl_add_u32 v52, v52, 23, 0x3c000000
	s_delay_alu instid0(VALU_DEP_2) | instskip(NEXT) | instid1(VALU_DEP_1)
	v_and_b32_e32 v53, 0x80000000, v53
	v_or3_b32 v53, v14, v53, v52
	v_mov_b32_e32 v52, v15
.LBB192_564:                            ;   in Loop: Header=BB192_296 Depth=1
	s_or_b32 exec_lo, exec_lo, s16
.LBB192_565:                            ;   in Loop: Header=BB192_296 Depth=1
	s_delay_alu instid0(SALU_CYCLE_1)
	s_or_b32 exec_lo, exec_lo, s15
.LBB192_566:                            ;   in Loop: Header=BB192_296 Depth=1
	s_delay_alu instid0(SALU_CYCLE_1)
	s_or_b32 exec_lo, exec_lo, s14
	v_mov_b64_e32 v[64:65], s[4:5]
	v_or_b32_e32 v25, v25, v51
	v_or_b32_e32 v24, v24, v50
	;; [unrolled: 1-line block ×4, first 2 shown]
	s_delay_alu instid0(VALU_DEP_3) | instskip(NEXT) | instid1(VALU_DEP_2)
	v_pk_mul_f32 v[50:51], v[64:65], v[24:25]
	v_pk_mul_f32 v[24:25], v[64:65], v[52:53]
	s_and_saveexec_b32 s0, vcc_lo
	s_cbranch_execz .LBB192_295
; %bb.567:                              ;   in Loop: Header=BB192_296 Depth=1
	v_cmp_gt_i32_e32 vcc_lo, s9, v63
	v_dual_cndmask_b32 v51, 0, v51, vcc_lo :: v_dual_bitop2_b32 v14, 3, v60 bitop3:0x54
	v_cmp_gt_i32_e32 vcc_lo, s25, v60
	v_dual_cndmask_b32 v50, 0, v50, vcc_lo :: v_dual_bitop2_b32 v52, 2, v60 bitop3:0x54
	s_delay_alu instid0(VALU_DEP_3) | instskip(SKIP_1) | instid1(VALU_DEP_3)
	v_cmp_gt_i32_e32 vcc_lo, s9, v14
	v_cndmask_b32_e32 v25, 0, v25, vcc_lo
	v_cmp_gt_i32_e32 vcc_lo, s25, v52
	v_cndmask_b32_e32 v24, 0, v24, vcc_lo
	s_branch .LBB192_295
.LBB192_568:
	s_or_b32 exec_lo, exec_lo, s7
.LBB192_569:
	s_delay_alu instid0(SALU_CYCLE_1)
	s_or_b32 exec_lo, exec_lo, s1
	ds_bpermute_b32 v2, v57, v12
	ds_bpermute_b32 v3, v57, v13
	;; [unrolled: 1-line block ×8, first 2 shown]
	s_mov_b32 s0, exec_lo
	s_wait_dscnt 0x0
	s_barrier_signal -1
	s_barrier_wait -1
	v_pk_add_f32 v[2:3], v[12:13], v[2:3]
	v_and_b32_e32 v13, 0x3c3, v0
	v_pk_add_f32 v[4:5], v[10:11], v[4:5]
	v_and_b32_e32 v12, 28, v56
	v_pk_add_f32 v[14:15], v[8:9], v[14:15]
	v_pk_add_f32 v[8:9], v[6:7], v[16:17]
	ds_bpermute_b32 v6, v58, v2
	ds_bpermute_b32 v7, v58, v3
	;; [unrolled: 1-line block ×8, first 2 shown]
	s_wait_dscnt 0x6
	v_pk_add_f32 v[6:7], v[2:3], v[6:7]
	s_wait_dscnt 0x4
	v_pk_add_f32 v[4:5], v[4:5], v[16:17]
	;; [unrolled: 2-line block ×3, first 2 shown]
	v_cmpx_ne_u32_e32 64, v13
	s_xor_b32 s0, exec_lo, s0
	s_delay_alu instid0(SALU_CYCLE_1)
	s_or_saveexec_b32 s0, s0
	s_wait_dscnt 0x0
	v_pk_add_f32 v[8:9], v[8:9], v[10:11]
	v_dual_lshrrev_b32 v11, 2, v56 :: v_dual_lshlrev_b32 v1, 8, v1
	v_add_nc_u32_e32 v10, 0x120, v12
	s_xor_b32 exec_lo, exec_lo, s0
	s_cbranch_execz .LBB192_571
; %bb.570:
	s_delay_alu instid0(VALU_DEP_1) | instskip(NEXT) | instid1(VALU_DEP_1)
	v_add_nc_u32_e32 v12, v10, v1
	v_add_nc_u32_e32 v13, 0xfffffe00, v12
	;; [unrolled: 1-line block ×9, first 2 shown]
	ds_store_b32 v13, v6
	ds_store_b32 v14, v7
	;; [unrolled: 1-line block ×8, first 2 shown]
.LBB192_571:
	s_or_b32 exec_lo, exec_lo, s0
	v_lshlrev_b32_e32 v11, 2, v11
	s_mov_b32 s1, exec_lo
	v_cmp_eq_u32_e32 vcc_lo, 0, v59
	s_wait_dscnt 0x0
	s_barrier_signal -1
	v_add3_u32 v1, 0x120, v1, v11
	s_barrier_wait -1
	v_cmpx_gt_u32_e32 64, v0
	s_cbranch_execz .LBB192_582
; %bb.572:
	s_and_saveexec_b32 s0, vcc_lo
	s_cbranch_execnz .LBB192_598
; %bb.573:
	s_or_b32 exec_lo, exec_lo, s0
	s_and_saveexec_b32 s0, vcc_lo
	s_cbranch_execnz .LBB192_599
.LBB192_574:
	s_or_b32 exec_lo, exec_lo, s0
	s_and_saveexec_b32 s0, vcc_lo
	s_cbranch_execnz .LBB192_600
.LBB192_575:
	s_or_b32 exec_lo, exec_lo, s0
	s_and_saveexec_b32 s0, vcc_lo
	s_cbranch_execnz .LBB192_601
.LBB192_576:
	s_or_b32 exec_lo, exec_lo, s0
	s_and_saveexec_b32 s0, vcc_lo
	s_cbranch_execnz .LBB192_602
.LBB192_577:
	s_or_b32 exec_lo, exec_lo, s0
	s_and_saveexec_b32 s0, vcc_lo
	s_cbranch_execnz .LBB192_603
.LBB192_578:
	s_or_b32 exec_lo, exec_lo, s0
	s_and_saveexec_b32 s0, vcc_lo
	s_cbranch_execnz .LBB192_604
.LBB192_579:
	s_or_b32 exec_lo, exec_lo, s0
	s_and_saveexec_b32 s0, vcc_lo
	s_cbranch_execz .LBB192_581
.LBB192_580:
	ds_load_b32 v11, v1 offset:224
	s_wait_dscnt 0x0
	v_add_f32_e32 v9, v9, v11
.LBB192_581:
	s_or_b32 exec_lo, exec_lo, s0
.LBB192_582:
	s_delay_alu instid0(SALU_CYCLE_1) | instskip(SKIP_4) | instid1(VALU_DEP_1)
	s_or_b32 exec_lo, exec_lo, s1
	v_and_b32_e32 v11, 0x3e3, v0
	s_mov_b32 s1, exec_lo
	s_barrier_signal -1
	s_barrier_wait -1
	v_cmpx_eq_u32_e32 32, v11
	s_cbranch_execz .LBB192_584
; %bb.583:
	ds_store_2addr_b32 v10, v6, v7 offset1:8
	ds_store_2addr_b32 v10, v4, v5 offset0:16 offset1:24
	ds_store_2addr_b32 v10, v2, v3 offset0:32 offset1:40
	;; [unrolled: 1-line block ×3, first 2 shown]
.LBB192_584:
	s_or_b32 exec_lo, exec_lo, s1
	s_wait_dscnt 0x0
	s_barrier_signal -1
	s_barrier_wait -1
	s_and_saveexec_b32 s0, s2
	s_cbranch_execz .LBB192_595
; %bb.585:
	s_and_saveexec_b32 s1, vcc_lo
	s_cbranch_execnz .LBB192_605
; %bb.586:
	s_or_b32 exec_lo, exec_lo, s1
	s_and_saveexec_b32 s1, vcc_lo
	s_cbranch_execnz .LBB192_606
.LBB192_587:
	s_or_b32 exec_lo, exec_lo, s1
	s_and_saveexec_b32 s1, vcc_lo
	s_cbranch_execnz .LBB192_607
.LBB192_588:
	s_or_b32 exec_lo, exec_lo, s1
	s_and_saveexec_b32 s1, vcc_lo
	s_cbranch_execnz .LBB192_608
.LBB192_589:
	s_or_b32 exec_lo, exec_lo, s1
	s_and_saveexec_b32 s1, vcc_lo
	s_cbranch_execnz .LBB192_609
.LBB192_590:
	s_or_b32 exec_lo, exec_lo, s1
	s_and_saveexec_b32 s1, vcc_lo
	s_cbranch_execnz .LBB192_610
.LBB192_591:
	s_or_b32 exec_lo, exec_lo, s1
	s_and_saveexec_b32 s1, vcc_lo
	s_cbranch_execnz .LBB192_611
.LBB192_592:
	s_or_b32 exec_lo, exec_lo, s1
	s_and_saveexec_b32 s1, vcc_lo
	s_cbranch_execz .LBB192_594
.LBB192_593:
	ds_load_b32 v1, v1 offset:224
	s_wait_dscnt 0x0
	v_add_f32_e32 v9, v9, v1
.LBB192_594:
	s_or_b32 exec_lo, exec_lo, s1
.LBB192_595:
	s_delay_alu instid0(SALU_CYCLE_1)
	s_or_b32 exec_lo, exec_lo, s0
	s_mov_b32 s1, 0
	s_barrier_signal -1
	s_barrier_wait -1
	s_mov_b32 s0, exec_lo
	v_cmpx_eq_u32_e32 0, v11
	s_cbranch_execz .LBB192_597
; %bb.596:
	s_mul_i32 s0, s24, s8
	s_mul_i32 s2, s8, s12
	;; [unrolled: 1-line block ×3, first 2 shown]
	s_lshr_b32 s6, ttmp7, 16
	s_lshl_b32 s4, s0, 6
	s_bfe_u32 s0, ttmp6, 0x40014
	s_ashr_i32 s5, s4, 31
	s_add_co_i32 s0, s0, 1
	s_ashr_i32 s3, s2, 31
	s_mul_i32 s0, s6, s0
	s_bfe_u32 s7, ttmp6, 0x40008
	s_lshl_b64 s[4:5], s[4:5], 2
	s_lshl_b64 s[2:3], s[2:3], 2
	s_add_co_i32 s7, s7, s0
	s_cmp_eq_u32 s22, 0
	s_add_nc_u64 s[4:5], s[10:11], s[4:5]
	s_cselect_b32 s0, s6, s7
	s_add_nc_u64 s[2:3], s[4:5], s[2:3]
	s_lshl_b32 s0, s0, 8
	s_delay_alu instid0(SALU_CYCLE_1)
	s_add_nc_u64 s[0:1], s[2:3], s[0:1]
	s_clause 0x7
	global_store_b32 v0, v6, s[0:1]
	global_store_b32 v0, v7, s[0:1] offset:32
	global_store_b32 v0, v4, s[0:1] offset:64
	;; [unrolled: 1-line block ×7, first 2 shown]
.LBB192_597:
	s_sendmsg sendmsg(MSG_DEALLOC_VGPRS)
	s_endpgm
.LBB192_598:
	ds_load_b32 v11, v1
	s_wait_dscnt 0x0
	v_add_f32_e32 v6, v6, v11
	s_or_b32 exec_lo, exec_lo, s0
	s_and_saveexec_b32 s0, vcc_lo
	s_cbranch_execz .LBB192_574
.LBB192_599:
	ds_load_b32 v11, v1 offset:32
	s_wait_dscnt 0x0
	v_add_f32_e32 v7, v7, v11
	s_or_b32 exec_lo, exec_lo, s0
	s_and_saveexec_b32 s0, vcc_lo
	s_cbranch_execz .LBB192_575
.LBB192_600:
	ds_load_b32 v11, v1 offset:64
	s_wait_dscnt 0x0
	v_add_f32_e32 v4, v4, v11
	s_or_b32 exec_lo, exec_lo, s0
	s_and_saveexec_b32 s0, vcc_lo
	s_cbranch_execz .LBB192_576
.LBB192_601:
	ds_load_b32 v11, v1 offset:96
	s_wait_dscnt 0x0
	v_add_f32_e32 v5, v5, v11
	s_or_b32 exec_lo, exec_lo, s0
	s_and_saveexec_b32 s0, vcc_lo
	s_cbranch_execz .LBB192_577
.LBB192_602:
	ds_load_b32 v11, v1 offset:128
	s_wait_dscnt 0x0
	v_add_f32_e32 v2, v2, v11
	s_or_b32 exec_lo, exec_lo, s0
	s_and_saveexec_b32 s0, vcc_lo
	s_cbranch_execz .LBB192_578
.LBB192_603:
	ds_load_b32 v11, v1 offset:160
	s_wait_dscnt 0x0
	v_add_f32_e32 v3, v3, v11
	s_or_b32 exec_lo, exec_lo, s0
	s_and_saveexec_b32 s0, vcc_lo
	s_cbranch_execz .LBB192_579
.LBB192_604:
	ds_load_b32 v11, v1 offset:192
	s_wait_dscnt 0x0
	v_add_f32_e32 v8, v8, v11
	s_or_b32 exec_lo, exec_lo, s0
	s_and_saveexec_b32 s0, vcc_lo
	s_cbranch_execnz .LBB192_580
	s_branch .LBB192_581
.LBB192_605:
	ds_load_b32 v10, v1
	s_wait_dscnt 0x0
	v_add_f32_e32 v6, v6, v10
	s_or_b32 exec_lo, exec_lo, s1
	s_and_saveexec_b32 s1, vcc_lo
	s_cbranch_execz .LBB192_587
.LBB192_606:
	ds_load_b32 v10, v1 offset:32
	s_wait_dscnt 0x0
	v_add_f32_e32 v7, v7, v10
	s_or_b32 exec_lo, exec_lo, s1
	s_and_saveexec_b32 s1, vcc_lo
	s_cbranch_execz .LBB192_588
.LBB192_607:
	ds_load_b32 v10, v1 offset:64
	s_wait_dscnt 0x0
	v_add_f32_e32 v4, v4, v10
	s_or_b32 exec_lo, exec_lo, s1
	s_and_saveexec_b32 s1, vcc_lo
	s_cbranch_execz .LBB192_589
.LBB192_608:
	ds_load_b32 v10, v1 offset:96
	s_wait_dscnt 0x0
	v_add_f32_e32 v5, v5, v10
	s_or_b32 exec_lo, exec_lo, s1
	s_and_saveexec_b32 s1, vcc_lo
	s_cbranch_execz .LBB192_590
.LBB192_609:
	ds_load_b32 v10, v1 offset:128
	s_wait_dscnt 0x0
	v_add_f32_e32 v2, v2, v10
	s_or_b32 exec_lo, exec_lo, s1
	s_and_saveexec_b32 s1, vcc_lo
	s_cbranch_execz .LBB192_591
.LBB192_610:
	ds_load_b32 v10, v1 offset:160
	s_wait_dscnt 0x0
	v_add_f32_e32 v3, v3, v10
	s_or_b32 exec_lo, exec_lo, s1
	s_and_saveexec_b32 s1, vcc_lo
	s_cbranch_execz .LBB192_592
.LBB192_611:
	ds_load_b32 v10, v1 offset:192
	s_wait_dscnt 0x0
	v_add_f32_e32 v8, v8, v10
	s_or_b32 exec_lo, exec_lo, s1
	s_and_saveexec_b32 s1, vcc_lo
	s_cbranch_execnz .LBB192_593
	s_branch .LBB192_594
	.section	.rodata,"a",@progbits
	.p2align	6, 0x0
	.amdhsa_kernel _ZN4vllm25paged_attention_v1_kernelIfhLi64ELi16ELi128ELNS_18Fp8KVCacheDataTypeE1ELb0EEEvPT_PKS2_PKT0_S8_ifPKiSA_iPKfiiiSC_SC_iiiii
		.amdhsa_group_segment_fixed_size 288
		.amdhsa_private_segment_fixed_size 0
		.amdhsa_kernarg_size 384
		.amdhsa_user_sgpr_count 2
		.amdhsa_user_sgpr_dispatch_ptr 0
		.amdhsa_user_sgpr_queue_ptr 0
		.amdhsa_user_sgpr_kernarg_segment_ptr 1
		.amdhsa_user_sgpr_dispatch_id 0
		.amdhsa_user_sgpr_kernarg_preload_length 0
		.amdhsa_user_sgpr_kernarg_preload_offset 0
		.amdhsa_user_sgpr_private_segment_size 0
		.amdhsa_wavefront_size32 1
		.amdhsa_uses_dynamic_stack 0
		.amdhsa_enable_private_segment 0
		.amdhsa_system_sgpr_workgroup_id_x 1
		.amdhsa_system_sgpr_workgroup_id_y 1
		.amdhsa_system_sgpr_workgroup_id_z 1
		.amdhsa_system_sgpr_workgroup_info 0
		.amdhsa_system_vgpr_workitem_id 0
		.amdhsa_next_free_vgpr 118
		.amdhsa_next_free_sgpr 34
		.amdhsa_named_barrier_count 0
		.amdhsa_reserve_vcc 1
		.amdhsa_float_round_mode_32 0
		.amdhsa_float_round_mode_16_64 0
		.amdhsa_float_denorm_mode_32 3
		.amdhsa_float_denorm_mode_16_64 3
		.amdhsa_fp16_overflow 0
		.amdhsa_memory_ordered 1
		.amdhsa_forward_progress 1
		.amdhsa_inst_pref_size 168
		.amdhsa_round_robin_scheduling 0
		.amdhsa_exception_fp_ieee_invalid_op 0
		.amdhsa_exception_fp_denorm_src 0
		.amdhsa_exception_fp_ieee_div_zero 0
		.amdhsa_exception_fp_ieee_overflow 0
		.amdhsa_exception_fp_ieee_underflow 0
		.amdhsa_exception_fp_ieee_inexact 0
		.amdhsa_exception_int_div_zero 0
	.end_amdhsa_kernel
	.section	.text._ZN4vllm25paged_attention_v1_kernelIfhLi64ELi16ELi128ELNS_18Fp8KVCacheDataTypeE1ELb0EEEvPT_PKS2_PKT0_S8_ifPKiSA_iPKfiiiSC_SC_iiiii,"axG",@progbits,_ZN4vllm25paged_attention_v1_kernelIfhLi64ELi16ELi128ELNS_18Fp8KVCacheDataTypeE1ELb0EEEvPT_PKS2_PKT0_S8_ifPKiSA_iPKfiiiSC_SC_iiiii,comdat
.Lfunc_end192:
	.size	_ZN4vllm25paged_attention_v1_kernelIfhLi64ELi16ELi128ELNS_18Fp8KVCacheDataTypeE1ELb0EEEvPT_PKS2_PKT0_S8_ifPKiSA_iPKfiiiSC_SC_iiiii, .Lfunc_end192-_ZN4vllm25paged_attention_v1_kernelIfhLi64ELi16ELi128ELNS_18Fp8KVCacheDataTypeE1ELb0EEEvPT_PKS2_PKT0_S8_ifPKiSA_iPKfiiiSC_SC_iiiii
                                        ; -- End function
	.set _ZN4vllm25paged_attention_v1_kernelIfhLi64ELi16ELi128ELNS_18Fp8KVCacheDataTypeE1ELb0EEEvPT_PKS2_PKT0_S8_ifPKiSA_iPKfiiiSC_SC_iiiii.num_vgpr, 118
	.set _ZN4vllm25paged_attention_v1_kernelIfhLi64ELi16ELi128ELNS_18Fp8KVCacheDataTypeE1ELb0EEEvPT_PKS2_PKT0_S8_ifPKiSA_iPKfiiiSC_SC_iiiii.num_agpr, 0
	.set _ZN4vllm25paged_attention_v1_kernelIfhLi64ELi16ELi128ELNS_18Fp8KVCacheDataTypeE1ELb0EEEvPT_PKS2_PKT0_S8_ifPKiSA_iPKfiiiSC_SC_iiiii.numbered_sgpr, 34
	.set _ZN4vllm25paged_attention_v1_kernelIfhLi64ELi16ELi128ELNS_18Fp8KVCacheDataTypeE1ELb0EEEvPT_PKS2_PKT0_S8_ifPKiSA_iPKfiiiSC_SC_iiiii.num_named_barrier, 0
	.set _ZN4vllm25paged_attention_v1_kernelIfhLi64ELi16ELi128ELNS_18Fp8KVCacheDataTypeE1ELb0EEEvPT_PKS2_PKT0_S8_ifPKiSA_iPKfiiiSC_SC_iiiii.private_seg_size, 0
	.set _ZN4vllm25paged_attention_v1_kernelIfhLi64ELi16ELi128ELNS_18Fp8KVCacheDataTypeE1ELb0EEEvPT_PKS2_PKT0_S8_ifPKiSA_iPKfiiiSC_SC_iiiii.uses_vcc, 1
	.set _ZN4vllm25paged_attention_v1_kernelIfhLi64ELi16ELi128ELNS_18Fp8KVCacheDataTypeE1ELb0EEEvPT_PKS2_PKT0_S8_ifPKiSA_iPKfiiiSC_SC_iiiii.uses_flat_scratch, 0
	.set _ZN4vllm25paged_attention_v1_kernelIfhLi64ELi16ELi128ELNS_18Fp8KVCacheDataTypeE1ELb0EEEvPT_PKS2_PKT0_S8_ifPKiSA_iPKfiiiSC_SC_iiiii.has_dyn_sized_stack, 0
	.set _ZN4vllm25paged_attention_v1_kernelIfhLi64ELi16ELi128ELNS_18Fp8KVCacheDataTypeE1ELb0EEEvPT_PKS2_PKT0_S8_ifPKiSA_iPKfiiiSC_SC_iiiii.has_recursion, 0
	.set _ZN4vllm25paged_attention_v1_kernelIfhLi64ELi16ELi128ELNS_18Fp8KVCacheDataTypeE1ELb0EEEvPT_PKS2_PKT0_S8_ifPKiSA_iPKfiiiSC_SC_iiiii.has_indirect_call, 0
	.section	.AMDGPU.csdata,"",@progbits
; Kernel info:
; codeLenInByte = 21436
; TotalNumSgprs: 36
; NumVgprs: 118
; ScratchSize: 0
; MemoryBound: 0
; FloatMode: 240
; IeeeMode: 1
; LDSByteSize: 288 bytes/workgroup (compile time only)
; SGPRBlocks: 0
; VGPRBlocks: 7
; NumSGPRsForWavesPerEU: 36
; NumVGPRsForWavesPerEU: 118
; NamedBarCnt: 0
; Occupancy: 8
; WaveLimiterHint : 1
; COMPUTE_PGM_RSRC2:SCRATCH_EN: 0
; COMPUTE_PGM_RSRC2:USER_SGPR: 2
; COMPUTE_PGM_RSRC2:TRAP_HANDLER: 0
; COMPUTE_PGM_RSRC2:TGID_X_EN: 1
; COMPUTE_PGM_RSRC2:TGID_Y_EN: 1
; COMPUTE_PGM_RSRC2:TGID_Z_EN: 1
; COMPUTE_PGM_RSRC2:TIDIG_COMP_CNT: 0
	.section	.text._ZN4vllm25paged_attention_v1_kernelIfhLi80ELi16ELi128ELNS_18Fp8KVCacheDataTypeE1ELb0EEEvPT_PKS2_PKT0_S8_ifPKiSA_iPKfiiiSC_SC_iiiii,"axG",@progbits,_ZN4vllm25paged_attention_v1_kernelIfhLi80ELi16ELi128ELNS_18Fp8KVCacheDataTypeE1ELb0EEEvPT_PKS2_PKT0_S8_ifPKiSA_iPKfiiiSC_SC_iiiii,comdat
	.protected	_ZN4vllm25paged_attention_v1_kernelIfhLi80ELi16ELi128ELNS_18Fp8KVCacheDataTypeE1ELb0EEEvPT_PKS2_PKT0_S8_ifPKiSA_iPKfiiiSC_SC_iiiii ; -- Begin function _ZN4vllm25paged_attention_v1_kernelIfhLi80ELi16ELi128ELNS_18Fp8KVCacheDataTypeE1ELb0EEEvPT_PKS2_PKT0_S8_ifPKiSA_iPKfiiiSC_SC_iiiii
	.globl	_ZN4vllm25paged_attention_v1_kernelIfhLi80ELi16ELi128ELNS_18Fp8KVCacheDataTypeE1ELb0EEEvPT_PKS2_PKT0_S8_ifPKiSA_iPKfiiiSC_SC_iiiii
	.p2align	8
	.type	_ZN4vllm25paged_attention_v1_kernelIfhLi80ELi16ELi128ELNS_18Fp8KVCacheDataTypeE1ELb0EEEvPT_PKS2_PKT0_S8_ifPKiSA_iPKfiiiSC_SC_iiiii,@function
_ZN4vllm25paged_attention_v1_kernelIfhLi80ELi16ELi128ELNS_18Fp8KVCacheDataTypeE1ELb0EEEvPT_PKS2_PKT0_S8_ifPKiSA_iPKfiiiSC_SC_iiiii: ; @_ZN4vllm25paged_attention_v1_kernelIfhLi80ELi16ELi128ELNS_18Fp8KVCacheDataTypeE1ELb0EEEvPT_PKS2_PKT0_S8_ifPKiSA_iPKfiiiSC_SC_iiiii
; %bb.0:
	s_load_b64 s[18:19], s[0:1], 0x20
	s_bfe_u32 s3, ttmp6, 0x4000c
	s_bfe_u32 s5, ttmp6, 0x40010
	s_and_b32 s4, ttmp7, 0xffff
	s_add_co_i32 s3, s3, 1
	s_add_co_i32 s5, s5, 1
	s_and_b32 s2, ttmp6, 15
	s_bfe_u32 s6, ttmp6, 0x40004
	s_mul_i32 s3, ttmp9, s3
	s_mul_i32 s5, s4, s5
	s_getreg_b32 s22, hwreg(HW_REG_IB_STS2, 6, 4)
	s_add_co_i32 s2, s2, s3
	s_add_co_i32 s3, s6, s5
	s_cmp_eq_u32 s22, 0
	v_mov_b32_e32 v10, v0
	s_cselect_b32 s24, s4, s3
	s_cselect_b32 s4, ttmp9, s2
	s_clause 0x1
	s_load_b32 s23, s[0:1], 0x80
	s_load_b64 s[6:7], s[0:1], 0x30
	s_wait_kmcnt 0x0
	s_abs_i32 s2, s18
	s_delay_alu instid0(SALU_CYCLE_1) | instskip(SKIP_1) | instid1(SALU_CYCLE_2)
	s_cvt_f32_u32 s3, s2
	s_sub_co_i32 s5, 0, s2
	v_rcp_iflag_f32_e32 v0, s3
	v_nop
	s_delay_alu instid0(TRANS32_DEP_1) | instskip(SKIP_2) | instid1(SALU_CYCLE_3)
	v_readfirstlane_b32 s3, v0
	s_abs_i32 s8, s23
	s_mul_f32 s3, s3, 0x4f7ffffe
	s_cvt_u32_f32 s3, s3
	s_delay_alu instid0(SALU_CYCLE_3) | instskip(NEXT) | instid1(SALU_CYCLE_1)
	s_mul_i32 s5, s5, s3
	s_mul_hi_u32 s5, s3, s5
	s_delay_alu instid0(SALU_CYCLE_1) | instskip(SKIP_4) | instid1(SALU_CYCLE_1)
	s_add_co_i32 s3, s3, s5
	s_xor_b32 s5, s23, s18
	s_mul_hi_u32 s3, s8, s3
	s_ashr_i32 s5, s5, 31
	s_mul_i32 s9, s3, s2
	s_sub_co_i32 s8, s8, s9
	s_add_co_i32 s9, s3, 1
	s_sub_co_i32 s10, s8, s2
	s_cmp_ge_u32 s8, s2
	s_cselect_b32 s3, s9, s3
	s_cselect_b32 s8, s10, s8
	s_add_co_i32 s9, s3, 1
	s_cmp_ge_u32 s8, s2
	s_cselect_b32 s2, s9, s3
	s_load_b64 s[8:9], s[0:1], 0x40
	s_xor_b32 s2, s2, s5
	s_mov_b32 s3, 0
	s_sub_co_i32 s14, s2, s5
	s_mov_b32 s13, s3
	s_abs_i32 s11, s14
	s_mov_b32 s18, s3
	s_cvt_f32_u32 s2, s11
	s_delay_alu instid0(SALU_CYCLE_3) | instskip(SKIP_1) | instid1(TRANS32_DEP_1)
	v_rcp_iflag_f32_e32 v0, s2
	v_nop
	v_readfirstlane_b32 s2, v0
	s_mul_f32 s2, s2, 0x4f7ffffe
	s_delay_alu instid0(SALU_CYCLE_3) | instskip(SKIP_1) | instid1(SALU_CYCLE_2)
	s_cvt_u32_f32 s5, s2
	s_sub_co_i32 s2, 0, s11
	s_mul_i32 s2, s2, s5
	s_delay_alu instid0(SALU_CYCLE_1)
	s_mul_hi_u32 s10, s5, s2
	s_abs_i32 s2, s4
	s_add_co_i32 s12, s5, s10
	s_wait_kmcnt 0x0
	s_cmp_eq_u64 s[8:9], 0
	s_cbranch_scc1 .LBB193_2
; %bb.1:
	s_ashr_i32 s5, s4, 31
	s_delay_alu instid0(SALU_CYCLE_1) | instskip(NEXT) | instid1(SALU_CYCLE_1)
	s_lshl_b64 s[16:17], s[4:5], 2
	s_add_nc_u64 s[8:9], s[8:9], s[16:17]
	s_load_b32 s18, s[8:9], 0x0
.LBB193_2:
	s_load_b32 s25, s[6:7], s24 offset:0x0 scale_offset
	s_wait_xcnt 0x0
	s_load_b96 s[8:10], s[0:1], 0x48
	v_dual_lshlrev_b32 v22, 2, v10 :: v_dual_bitop2_b32 v0, 1, v10 bitop3:0x40
	s_ashr_i32 s5, s4, 31
	s_ashr_i32 s14, s14, 31
	s_mul_u64 s[6:7], s[2:3], s[12:13]
	s_mul_i32 s12, s4, 0x50
	s_mov_b32 s3, exec_lo
	v_cmpx_gt_u32_e32 40, v10
	s_cbranch_execz .LBB193_4
; %bb.3:
	s_load_b64 s[16:17], s[0:1], 0x8
	s_wait_kmcnt 0x0
	s_mul_i32 s20, s8, s24
	s_ashr_i32 s13, s12, 31
	s_ashr_i32 s21, s20, 31
	v_and_b32_e32 v1, 0xff8, v22
	s_lshl_b64 s[20:21], s[20:21], 2
	s_delay_alu instid0(VALU_DEP_1) | instskip(SKIP_2) | instid1(SALU_CYCLE_1)
	v_mad_u32_u24 v1, 0xa0, v0, v1
	s_add_nc_u64 s[16:17], s[16:17], s[20:21]
	s_lshl_b64 s[20:21], s[12:13], 2
	s_add_nc_u64 s[16:17], s[16:17], s[20:21]
	global_load_b64 v[2:3], v10, s[16:17] scale_offset
	s_wait_loadcnt 0x0
	ds_store_b64 v1, v[2:3]
.LBB193_4:
	s_or_b32 exec_lo, exec_lo, s3
	s_wait_kmcnt 0x0
	s_add_co_i32 s3, s25, 15
	s_load_b32 s4, s[0:1], 0x38
	s_ashr_i32 s6, s3, 31
	s_mul_i32 s8, s7, s11
	s_lshr_b32 s6, s6, 28
	s_sub_co_i32 s2, s2, s8
	s_add_co_i32 s3, s3, s6
	s_xor_b32 s5, s5, s14
	s_ashr_i32 s13, s3, 4
	s_add_co_i32 s3, s7, 1
	s_sub_co_i32 s6, s2, s11
	s_cmp_ge_u32 s2, s11
	v_lshrrev_b32_e32 v1, 5, v10
	s_cselect_b32 s3, s3, s7
	s_cselect_b32 s2, s6, s2
	s_add_co_i32 s6, s3, 1
	s_cmp_ge_u32 s2, s11
	v_mbcnt_lo_u32_b32 v34, -1, 0
	s_cselect_b32 s2, s6, s3
	s_wait_dscnt 0x0
	s_xor_b32 s2, s2, s5
	s_wait_kmcnt 0x0
	s_mul_i32 s14, s4, s24
	s_sub_co_i32 s3, s2, s5
	v_cmp_gt_i32_e64 s2, s13, v1
	s_ashr_i32 s15, s14, 31
	s_mov_b32 s4, exec_lo
	s_barrier_signal -1
	scratch_store_b32 off, v1, off offset:32 ; 4-byte Folded Spill
	s_barrier_wait -1
	s_wait_storecnt 0x0
                                        ; implicit-def: $vgpr43
                                        ; implicit-def: $vgpr8
	s_wait_xcnt 0x0
	v_cmpx_le_i32_e64 s13, v1
	s_xor_b32 s4, exec_lo, s4
; %bb.5:
	v_dual_mov_b32 v43, 0 :: v_dual_mov_b32 v8, 32
	v_mbcnt_lo_u32_b32 v34, -1, 0
                                        ; implicit-def: $vgpr0
; %bb.6:
	s_or_saveexec_b32 s26, s4
	s_clause 0x2
	s_load_b32 s8, s[0:1], 0x88
	s_load_b64 s[16:17], s[0:1], 0x28
	s_load_b128 s[4:7], s[0:1], 0x58
	v_dual_mov_b32 v3, 0xff7fffff :: v_dual_lshrrev_b32 v44, 3, v10
	s_mul_i32 s10, s3, s10
	scratch_store_b32 off, v10, off offset:36 ; 4-byte Folded Spill
	s_wait_xcnt 0x0
	s_xor_b32 exec_lo, exec_lo, s26
	s_cbranch_execz .LBB193_332
; %bb.7:
	v_mul_u32_u24_e32 v4, 0xa0, v0
	v_dual_mov_b32 v43, 0 :: v_dual_bitop2_b32 v2, 1, v34 bitop3:0x14
	v_bfe_u32 v1, v10, 1, 4
	s_wait_kmcnt 0x0
	s_load_b32 s20, s[4:5], 0x0
	ds_load_b128 v[6:9], v4
	scratch_store_b32 off, v22, off offset:40 ; 4-byte Folded Spill
	v_cmp_gt_i32_e32 vcc_lo, 32, v2
	v_lshlrev_b32_e32 v42, 4, v1
	s_load_b64 s[28:29], s[0:1], 0x10
	s_ashr_i32 s11, s10, 31
	s_cmp_neq_f32 s18, 0
	v_cndmask_b32_e32 v5, v34, v2, vcc_lo
	v_cmp_eq_u32_e32 vcc_lo, 0, v0
	s_mov_b32 s27, s9
	s_cselect_b32 s3, -1, 0
	s_delay_alu instid0(VALU_DEP_2)
	v_lshlrev_b32_e32 v5, 2, v5
	s_wait_kmcnt 0x0
	s_mov_b32 s21, s20
	s_wait_dscnt 0x0
	scratch_store_b128 off, v[6:9], off offset:4 ; 16-byte Folded Spill
	s_wait_xcnt 0x0
	ds_load_b128 v[6:9], v4 offset:16
	ds_load_b128 v[10:13], v4 offset:32
	;; [unrolled: 1-line block ×7, first 2 shown]
	scratch_store_b32 off, v34, off offset:48 ; 4-byte Folded Spill
	s_wait_xcnt 0x0
	ds_load_b128 v[34:37], v4 offset:128
	ds_load_b128 v[38:41], v4 offset:144
	scratch_load_b32 v45, off, off offset:32 ; 4-byte Folded Reload
	s_add_nc_u64 s[4:5], s[28:29], s[10:11]
	v_lshlrev_b32_e32 v4, 2, v1
	v_add_nc_u64_e32 v[2:3], s[4:5], v[42:43]
	v_lshlrev_b32_e32 v42, 1, v0
	s_lshl_b64 s[4:5], s[14:15], 2
	s_sub_co_i32 s11, 1, s25
	s_add_nc_u64 s[4:5], s[16:17], s[4:5]
	scratch_store_b32 off, v44, off offset:44 ; 4-byte Folded Spill
	v_add_nc_u64_e32 v[2:3], v[2:3], v[42:43]
	v_and_b32_e32 v42, 0x7c, v44
	s_delay_alu instid0(VALU_DEP_1)
	v_add_nc_u64_e32 v[46:47], s[4:5], v[42:43]
	scratch_store_b64 off, v[2:3], off offset:24 ; 8-byte Folded Spill
	s_mov_b32 s5, 0
	s_wait_loadcnt 0x0
	v_lshl_or_b32 v2, v45, 6, v4
	v_lshl_or_b32 v0, v45, 4, v1
	v_mov_b32_e32 v1, 0xff7fffff
	scratch_store_b32 off, v5, off offset:20 ; 4-byte Folded Spill
	v_add_nc_u32_e32 v44, 0x160, v2
	scratch_store_b32 off, v1, off          ; 4-byte Folded Spill
	s_branch .LBB193_9
.LBB193_8:                              ;   in Loop: Header=BB193_9 Depth=1
	s_wait_xcnt 0x0
	s_or_b32 exec_lo, exec_lo, s28
	v_dual_add_nc_u32 v45, 4, v45 :: v_dual_add_nc_u32 v0, 64, v0
	v_add_nc_u64_e32 v[46:47], 16, v[46:47]
	v_add_nc_u32_e32 v44, 0x100, v44
	s_delay_alu instid0(VALU_DEP_3) | instskip(SKIP_1) | instid1(SALU_CYCLE_1)
	v_cmp_le_i32_e64 s4, s13, v45
	s_or_b32 s5, s4, s5
	s_and_not1_b32 exec_lo, exec_lo, s5
	s_cbranch_execz .LBB193_331
.LBB193_9:                              ; =>This Inner Loop Header: Depth=1
	global_load_b32 v1, v[46:47], off
	s_wait_dscnt 0x0
	scratch_load_b64 v[2:3], off, off offset:24 ; 8-byte Folded Reload
	v_mov_b64_e32 v[48:49], 0
	v_mov_b64_e32 v[50:51], 0
	s_mov_b32 s28, exec_lo
	s_wait_loadcnt 0x0
	v_mad_nc_i64_i32 v[56:57], v1, s27, v[2:3]
	global_load_u16 v1, v[56:57], off
	s_wait_loadcnt 0x0
	v_and_b32_e32 v2, 0xff, v1
	v_and_b32_e32 v1, 0xffff, v1
	s_wait_xcnt 0x0
	s_delay_alu instid0(VALU_DEP_2)
	v_cmpx_ne_u16_e32 0, v2
	s_cbranch_execz .LBB193_17
; %bb.10:                               ;   in Loop: Header=BB193_9 Depth=1
	v_mov_b64_e32 v[50:51], 0x80000000
	v_and_b32_e32 v2, 0xff, v1
	s_mov_b32 s29, exec_lo
	s_delay_alu instid0(VALU_DEP_1)
	v_cmpx_ne_u16_e32 0x80, v2
	s_cbranch_execz .LBB193_16
; %bb.11:                               ;   in Loop: Header=BB193_9 Depth=1
	v_mov_b64_e32 v[50:51], 0x7f800001
	v_and_b32_e32 v52, 0x7f, v1
	s_mov_b32 s30, exec_lo
	s_delay_alu instid0(VALU_DEP_1)
	v_cmpx_ne_u32_e32 0x7f, v52
	s_cbranch_execz .LBB193_15
; %bb.12:                               ;   in Loop: Header=BB193_9 Depth=1
	v_dual_lshrrev_b32 v50, 3, v52 :: v_dual_bitop2_b32 v42, 7, v1 bitop3:0x40
	s_mov_b32 s31, exec_lo
	v_cmpx_gt_u32_e32 8, v52
; %bb.13:                               ;   in Loop: Header=BB193_9 Depth=1
	s_delay_alu instid0(VALU_DEP_2) | instskip(NEXT) | instid1(VALU_DEP_1)
	v_clz_i32_u32_e32 v2, v42
	v_min_u32_e32 v4, 32, v2
	s_delay_alu instid0(VALU_DEP_1) | instskip(NEXT) | instid1(VALU_DEP_1)
	v_subrev_nc_u32_e32 v2, 28, v4
	v_lshlrev_b64_e32 v[2:3], v2, v[42:43]
	s_delay_alu instid0(VALU_DEP_1)
	v_dual_sub_nc_u32 v50, 29, v4 :: v_dual_bitop2_b32 v42, 7, v2 bitop3:0x40
; %bb.14:                               ;   in Loop: Header=BB193_9 Depth=1
	s_or_b32 exec_lo, exec_lo, s31
	s_delay_alu instid0(VALU_DEP_1) | instskip(NEXT) | instid1(VALU_DEP_2)
	v_dual_lshlrev_b32 v2, 24, v1 :: v_dual_lshlrev_b32 v3, 20, v42
	v_lshl_add_u32 v4, v50, 23, 0x3c000000
	s_delay_alu instid0(VALU_DEP_2) | instskip(NEXT) | instid1(VALU_DEP_1)
	v_and_b32_e32 v2, 0x80000000, v2
	v_or3_b32 v42, v3, v2, v4
	s_delay_alu instid0(VALU_DEP_1)
	v_mov_b64_e32 v[50:51], v[42:43]
.LBB193_15:                             ;   in Loop: Header=BB193_9 Depth=1
	s_or_b32 exec_lo, exec_lo, s30
.LBB193_16:                             ;   in Loop: Header=BB193_9 Depth=1
	s_delay_alu instid0(SALU_CYCLE_1)
	s_or_b32 exec_lo, exec_lo, s29
.LBB193_17:                             ;   in Loop: Header=BB193_9 Depth=1
	s_delay_alu instid0(SALU_CYCLE_1) | instskip(SKIP_2) | instid1(VALU_DEP_1)
	s_or_b32 exec_lo, exec_lo, s28
	v_lshrrev_b16 v42, 8, v1
	s_mov_b32 s28, exec_lo
	v_cmpx_ne_u16_e32 0, v42
	s_cbranch_execz .LBB193_25
; %bb.18:                               ;   in Loop: Header=BB193_9 Depth=1
	v_mov_b64_e32 v[48:49], 0x8000000000000000
	s_mov_b32 s29, exec_lo
	v_cmpx_ne_u16_e32 0x80, v42
	s_cbranch_execz .LBB193_24
; %bb.19:                               ;   in Loop: Header=BB193_9 Depth=1
	v_and_b32_e32 v2, 0xffff, v42
	v_mov_b64_e32 v[48:49], 0x7f80000100000000
	s_mov_b32 s30, exec_lo
	s_delay_alu instid0(VALU_DEP_2) | instskip(NEXT) | instid1(VALU_DEP_1)
	v_and_b32_e32 v52, 0x7f, v2
	v_cmpx_ne_u32_e32 0x7f, v52
	s_cbranch_execz .LBB193_23
; %bb.20:                               ;   in Loop: Header=BB193_9 Depth=1
	v_dual_lshrrev_b32 v48, 3, v52 :: v_dual_bitop2_b32 v42, 7, v2 bitop3:0x40
	s_mov_b32 s31, exec_lo
	v_cmpx_gt_u32_e32 8, v52
; %bb.21:                               ;   in Loop: Header=BB193_9 Depth=1
	s_delay_alu instid0(VALU_DEP_2) | instskip(NEXT) | instid1(VALU_DEP_1)
	v_clz_i32_u32_e32 v2, v42
	v_min_u32_e32 v4, 32, v2
	s_delay_alu instid0(VALU_DEP_1) | instskip(NEXT) | instid1(VALU_DEP_1)
	v_subrev_nc_u32_e32 v2, 28, v4
	v_lshlrev_b64_e32 v[2:3], v2, v[42:43]
	s_delay_alu instid0(VALU_DEP_1)
	v_dual_sub_nc_u32 v48, 29, v4 :: v_dual_bitop2_b32 v42, 7, v2 bitop3:0x40
; %bb.22:                               ;   in Loop: Header=BB193_9 Depth=1
	s_or_b32 exec_lo, exec_lo, s31
	s_delay_alu instid0(VALU_DEP_1) | instskip(NEXT) | instid1(VALU_DEP_2)
	v_dual_lshlrev_b32 v1, 16, v1 :: v_dual_lshlrev_b32 v2, 20, v42
	v_lshl_add_u32 v3, v48, 23, 0x3c000000
	v_mov_b32_e32 v48, v43
	s_delay_alu instid0(VALU_DEP_3) | instskip(NEXT) | instid1(VALU_DEP_1)
	v_and_b32_e32 v1, 0x80000000, v1
	v_or3_b32 v49, v2, v1, v3
.LBB193_23:                             ;   in Loop: Header=BB193_9 Depth=1
	s_or_b32 exec_lo, exec_lo, s30
.LBB193_24:                             ;   in Loop: Header=BB193_9 Depth=1
	s_delay_alu instid0(SALU_CYCLE_1)
	s_or_b32 exec_lo, exec_lo, s29
.LBB193_25:                             ;   in Loop: Header=BB193_9 Depth=1
	s_delay_alu instid0(SALU_CYCLE_1)
	s_or_b32 exec_lo, exec_lo, s28
	global_load_u16 v1, v[56:57], off offset:4
	v_mov_b64_e32 v[52:53], 0
	v_mov_b64_e32 v[54:55], 0
	s_mov_b32 s28, exec_lo
	s_wait_loadcnt 0x0
	v_and_b32_e32 v2, 0xff, v1
	v_and_b32_e32 v1, 0xffff, v1
	s_wait_xcnt 0x0
	s_delay_alu instid0(VALU_DEP_2)
	v_cmpx_ne_u16_e32 0, v2
	s_cbranch_execz .LBB193_33
; %bb.26:                               ;   in Loop: Header=BB193_9 Depth=1
	v_mov_b64_e32 v[54:55], 0x80000000
	v_and_b32_e32 v2, 0xff, v1
	s_mov_b32 s29, exec_lo
	s_delay_alu instid0(VALU_DEP_1)
	v_cmpx_ne_u16_e32 0x80, v2
	s_cbranch_execz .LBB193_32
; %bb.27:                               ;   in Loop: Header=BB193_9 Depth=1
	v_mov_b64_e32 v[54:55], 0x7f800001
	v_and_b32_e32 v58, 0x7f, v1
	s_mov_b32 s30, exec_lo
	s_delay_alu instid0(VALU_DEP_1)
	v_cmpx_ne_u32_e32 0x7f, v58
	s_cbranch_execz .LBB193_31
; %bb.28:                               ;   in Loop: Header=BB193_9 Depth=1
	v_dual_lshrrev_b32 v54, 3, v58 :: v_dual_bitop2_b32 v42, 7, v1 bitop3:0x40
	s_mov_b32 s31, exec_lo
	v_cmpx_gt_u32_e32 8, v58
; %bb.29:                               ;   in Loop: Header=BB193_9 Depth=1
	s_delay_alu instid0(VALU_DEP_2) | instskip(NEXT) | instid1(VALU_DEP_1)
	v_clz_i32_u32_e32 v2, v42
	v_min_u32_e32 v4, 32, v2
	s_delay_alu instid0(VALU_DEP_1) | instskip(NEXT) | instid1(VALU_DEP_1)
	v_subrev_nc_u32_e32 v2, 28, v4
	v_lshlrev_b64_e32 v[2:3], v2, v[42:43]
	s_delay_alu instid0(VALU_DEP_1)
	v_dual_sub_nc_u32 v54, 29, v4 :: v_dual_bitop2_b32 v42, 7, v2 bitop3:0x40
; %bb.30:                               ;   in Loop: Header=BB193_9 Depth=1
	s_or_b32 exec_lo, exec_lo, s31
	s_delay_alu instid0(VALU_DEP_1) | instskip(NEXT) | instid1(VALU_DEP_2)
	v_dual_lshlrev_b32 v2, 24, v1 :: v_dual_lshlrev_b32 v3, 20, v42
	v_lshl_add_u32 v4, v54, 23, 0x3c000000
	s_delay_alu instid0(VALU_DEP_2) | instskip(NEXT) | instid1(VALU_DEP_1)
	v_and_b32_e32 v2, 0x80000000, v2
	v_or3_b32 v42, v3, v2, v4
	s_delay_alu instid0(VALU_DEP_1)
	v_mov_b64_e32 v[54:55], v[42:43]
.LBB193_31:                             ;   in Loop: Header=BB193_9 Depth=1
	s_or_b32 exec_lo, exec_lo, s30
.LBB193_32:                             ;   in Loop: Header=BB193_9 Depth=1
	s_delay_alu instid0(SALU_CYCLE_1)
	s_or_b32 exec_lo, exec_lo, s29
.LBB193_33:                             ;   in Loop: Header=BB193_9 Depth=1
	s_delay_alu instid0(SALU_CYCLE_1) | instskip(SKIP_2) | instid1(VALU_DEP_1)
	s_or_b32 exec_lo, exec_lo, s28
	v_lshrrev_b16 v42, 8, v1
	s_mov_b32 s28, exec_lo
	v_cmpx_ne_u16_e32 0, v42
	s_cbranch_execz .LBB193_41
; %bb.34:                               ;   in Loop: Header=BB193_9 Depth=1
	v_mov_b64_e32 v[52:53], 0x8000000000000000
	s_mov_b32 s29, exec_lo
	v_cmpx_ne_u16_e32 0x80, v42
	s_cbranch_execz .LBB193_40
; %bb.35:                               ;   in Loop: Header=BB193_9 Depth=1
	v_and_b32_e32 v2, 0xffff, v42
	v_mov_b64_e32 v[52:53], 0x7f80000100000000
	s_mov_b32 s30, exec_lo
	s_delay_alu instid0(VALU_DEP_2) | instskip(NEXT) | instid1(VALU_DEP_1)
	v_and_b32_e32 v58, 0x7f, v2
	v_cmpx_ne_u32_e32 0x7f, v58
	s_cbranch_execz .LBB193_39
; %bb.36:                               ;   in Loop: Header=BB193_9 Depth=1
	v_and_b32_e32 v42, 7, v2
	v_lshrrev_b32_e32 v52, 3, v58
	s_mov_b32 s31, exec_lo
	v_cmpx_gt_u32_e32 8, v58
; %bb.37:                               ;   in Loop: Header=BB193_9 Depth=1
	s_delay_alu instid0(VALU_DEP_3) | instskip(NEXT) | instid1(VALU_DEP_1)
	v_clz_i32_u32_e32 v2, v42
	v_min_u32_e32 v4, 32, v2
	s_delay_alu instid0(VALU_DEP_1) | instskip(NEXT) | instid1(VALU_DEP_1)
	v_subrev_nc_u32_e32 v2, 28, v4
	v_lshlrev_b64_e32 v[2:3], v2, v[42:43]
	s_delay_alu instid0(VALU_DEP_1)
	v_dual_sub_nc_u32 v52, 29, v4 :: v_dual_bitop2_b32 v42, 7, v2 bitop3:0x40
; %bb.38:                               ;   in Loop: Header=BB193_9 Depth=1
	s_or_b32 exec_lo, exec_lo, s31
	s_delay_alu instid0(VALU_DEP_1) | instskip(NEXT) | instid1(VALU_DEP_2)
	v_dual_lshlrev_b32 v1, 16, v1 :: v_dual_lshlrev_b32 v2, 20, v42
	v_lshl_add_u32 v3, v52, 23, 0x3c000000
	v_mov_b32_e32 v52, v43
	s_delay_alu instid0(VALU_DEP_3) | instskip(NEXT) | instid1(VALU_DEP_1)
	v_and_b32_e32 v1, 0x80000000, v1
	v_or3_b32 v53, v2, v1, v3
.LBB193_39:                             ;   in Loop: Header=BB193_9 Depth=1
	s_or_b32 exec_lo, exec_lo, s30
.LBB193_40:                             ;   in Loop: Header=BB193_9 Depth=1
	s_delay_alu instid0(SALU_CYCLE_1)
	s_or_b32 exec_lo, exec_lo, s29
.LBB193_41:                             ;   in Loop: Header=BB193_9 Depth=1
	s_delay_alu instid0(SALU_CYCLE_1)
	s_or_b32 exec_lo, exec_lo, s28
	global_load_u16 v1, v[56:57], off offset:8
	v_mov_b64_e32 v[58:59], 0
	v_mov_b64_e32 v[60:61], 0
	s_mov_b32 s28, exec_lo
	s_wait_loadcnt 0x0
	v_and_b32_e32 v2, 0xff, v1
	v_and_b32_e32 v1, 0xffff, v1
	s_wait_xcnt 0x0
	s_delay_alu instid0(VALU_DEP_2)
	v_cmpx_ne_u16_e32 0, v2
	s_cbranch_execz .LBB193_49
; %bb.42:                               ;   in Loop: Header=BB193_9 Depth=1
	v_mov_b64_e32 v[60:61], 0x80000000
	v_and_b32_e32 v2, 0xff, v1
	s_mov_b32 s29, exec_lo
	s_delay_alu instid0(VALU_DEP_1)
	v_cmpx_ne_u16_e32 0x80, v2
	s_cbranch_execz .LBB193_48
; %bb.43:                               ;   in Loop: Header=BB193_9 Depth=1
	v_mov_b64_e32 v[60:61], 0x7f800001
	v_and_b32_e32 v62, 0x7f, v1
	s_mov_b32 s30, exec_lo
	s_delay_alu instid0(VALU_DEP_1)
	v_cmpx_ne_u32_e32 0x7f, v62
	s_cbranch_execz .LBB193_47
; %bb.44:                               ;   in Loop: Header=BB193_9 Depth=1
	v_dual_lshrrev_b32 v60, 3, v62 :: v_dual_bitop2_b32 v42, 7, v1 bitop3:0x40
	s_mov_b32 s31, exec_lo
	v_cmpx_gt_u32_e32 8, v62
; %bb.45:                               ;   in Loop: Header=BB193_9 Depth=1
	s_delay_alu instid0(VALU_DEP_2) | instskip(NEXT) | instid1(VALU_DEP_1)
	v_clz_i32_u32_e32 v2, v42
	v_min_u32_e32 v4, 32, v2
	s_delay_alu instid0(VALU_DEP_1) | instskip(NEXT) | instid1(VALU_DEP_1)
	v_subrev_nc_u32_e32 v2, 28, v4
	v_lshlrev_b64_e32 v[2:3], v2, v[42:43]
	s_delay_alu instid0(VALU_DEP_1)
	v_dual_sub_nc_u32 v60, 29, v4 :: v_dual_bitop2_b32 v42, 7, v2 bitop3:0x40
; %bb.46:                               ;   in Loop: Header=BB193_9 Depth=1
	s_or_b32 exec_lo, exec_lo, s31
	s_delay_alu instid0(VALU_DEP_1) | instskip(NEXT) | instid1(VALU_DEP_2)
	v_dual_lshlrev_b32 v2, 24, v1 :: v_dual_lshlrev_b32 v3, 20, v42
	v_lshl_add_u32 v4, v60, 23, 0x3c000000
	s_delay_alu instid0(VALU_DEP_2) | instskip(NEXT) | instid1(VALU_DEP_1)
	v_and_b32_e32 v2, 0x80000000, v2
	v_or3_b32 v42, v3, v2, v4
	s_delay_alu instid0(VALU_DEP_1)
	v_mov_b64_e32 v[60:61], v[42:43]
.LBB193_47:                             ;   in Loop: Header=BB193_9 Depth=1
	s_or_b32 exec_lo, exec_lo, s30
.LBB193_48:                             ;   in Loop: Header=BB193_9 Depth=1
	s_delay_alu instid0(SALU_CYCLE_1)
	s_or_b32 exec_lo, exec_lo, s29
.LBB193_49:                             ;   in Loop: Header=BB193_9 Depth=1
	s_delay_alu instid0(SALU_CYCLE_1) | instskip(SKIP_2) | instid1(VALU_DEP_1)
	s_or_b32 exec_lo, exec_lo, s28
	v_lshrrev_b16 v42, 8, v1
	s_mov_b32 s28, exec_lo
	v_cmpx_ne_u16_e32 0, v42
	s_cbranch_execz .LBB193_57
; %bb.50:                               ;   in Loop: Header=BB193_9 Depth=1
	v_mov_b64_e32 v[58:59], 0x8000000000000000
	s_mov_b32 s29, exec_lo
	v_cmpx_ne_u16_e32 0x80, v42
	s_cbranch_execz .LBB193_56
; %bb.51:                               ;   in Loop: Header=BB193_9 Depth=1
	v_and_b32_e32 v2, 0xffff, v42
	v_mov_b64_e32 v[58:59], 0x7f80000100000000
	s_mov_b32 s30, exec_lo
	s_delay_alu instid0(VALU_DEP_2) | instskip(NEXT) | instid1(VALU_DEP_1)
	v_and_b32_e32 v62, 0x7f, v2
	v_cmpx_ne_u32_e32 0x7f, v62
	s_cbranch_execz .LBB193_55
; %bb.52:                               ;   in Loop: Header=BB193_9 Depth=1
	v_and_b32_e32 v42, 7, v2
	v_lshrrev_b32_e32 v58, 3, v62
	s_mov_b32 s31, exec_lo
	v_cmpx_gt_u32_e32 8, v62
; %bb.53:                               ;   in Loop: Header=BB193_9 Depth=1
	s_delay_alu instid0(VALU_DEP_3) | instskip(NEXT) | instid1(VALU_DEP_1)
	v_clz_i32_u32_e32 v2, v42
	v_min_u32_e32 v4, 32, v2
	s_delay_alu instid0(VALU_DEP_1) | instskip(NEXT) | instid1(VALU_DEP_1)
	v_subrev_nc_u32_e32 v2, 28, v4
	v_lshlrev_b64_e32 v[2:3], v2, v[42:43]
	s_delay_alu instid0(VALU_DEP_1)
	v_dual_sub_nc_u32 v58, 29, v4 :: v_dual_bitop2_b32 v42, 7, v2 bitop3:0x40
; %bb.54:                               ;   in Loop: Header=BB193_9 Depth=1
	s_or_b32 exec_lo, exec_lo, s31
	s_delay_alu instid0(VALU_DEP_1) | instskip(NEXT) | instid1(VALU_DEP_2)
	v_dual_lshlrev_b32 v1, 16, v1 :: v_dual_lshlrev_b32 v2, 20, v42
	v_lshl_add_u32 v3, v58, 23, 0x3c000000
	v_mov_b32_e32 v58, v43
	s_delay_alu instid0(VALU_DEP_3) | instskip(NEXT) | instid1(VALU_DEP_1)
	v_and_b32_e32 v1, 0x80000000, v1
	v_or3_b32 v59, v2, v1, v3
.LBB193_55:                             ;   in Loop: Header=BB193_9 Depth=1
	s_or_b32 exec_lo, exec_lo, s30
.LBB193_56:                             ;   in Loop: Header=BB193_9 Depth=1
	s_delay_alu instid0(SALU_CYCLE_1)
	s_or_b32 exec_lo, exec_lo, s29
.LBB193_57:                             ;   in Loop: Header=BB193_9 Depth=1
	s_delay_alu instid0(SALU_CYCLE_1)
	s_or_b32 exec_lo, exec_lo, s28
	global_load_u16 v1, v[56:57], off offset:12
	v_mov_b64_e32 v[62:63], 0
	v_mov_b64_e32 v[64:65], 0
	s_mov_b32 s28, exec_lo
	s_wait_loadcnt 0x0
	v_and_b32_e32 v2, 0xff, v1
	v_and_b32_e32 v1, 0xffff, v1
	s_wait_xcnt 0x0
	s_delay_alu instid0(VALU_DEP_2)
	v_cmpx_ne_u16_e32 0, v2
	s_cbranch_execz .LBB193_65
; %bb.58:                               ;   in Loop: Header=BB193_9 Depth=1
	v_mov_b64_e32 v[64:65], 0x80000000
	v_and_b32_e32 v2, 0xff, v1
	s_mov_b32 s29, exec_lo
	s_delay_alu instid0(VALU_DEP_1)
	v_cmpx_ne_u16_e32 0x80, v2
	s_cbranch_execz .LBB193_64
; %bb.59:                               ;   in Loop: Header=BB193_9 Depth=1
	v_mov_b64_e32 v[64:65], 0x7f800001
	v_and_b32_e32 v66, 0x7f, v1
	s_mov_b32 s30, exec_lo
	s_delay_alu instid0(VALU_DEP_1)
	v_cmpx_ne_u32_e32 0x7f, v66
	s_cbranch_execz .LBB193_63
; %bb.60:                               ;   in Loop: Header=BB193_9 Depth=1
	v_dual_lshrrev_b32 v64, 3, v66 :: v_dual_bitop2_b32 v42, 7, v1 bitop3:0x40
	s_mov_b32 s31, exec_lo
	v_cmpx_gt_u32_e32 8, v66
; %bb.61:                               ;   in Loop: Header=BB193_9 Depth=1
	s_delay_alu instid0(VALU_DEP_2) | instskip(NEXT) | instid1(VALU_DEP_1)
	v_clz_i32_u32_e32 v2, v42
	v_min_u32_e32 v4, 32, v2
	s_delay_alu instid0(VALU_DEP_1) | instskip(NEXT) | instid1(VALU_DEP_1)
	v_subrev_nc_u32_e32 v2, 28, v4
	v_lshlrev_b64_e32 v[2:3], v2, v[42:43]
	s_delay_alu instid0(VALU_DEP_1)
	v_dual_sub_nc_u32 v64, 29, v4 :: v_dual_bitop2_b32 v42, 7, v2 bitop3:0x40
; %bb.62:                               ;   in Loop: Header=BB193_9 Depth=1
	s_or_b32 exec_lo, exec_lo, s31
	s_delay_alu instid0(VALU_DEP_1) | instskip(NEXT) | instid1(VALU_DEP_2)
	v_dual_lshlrev_b32 v2, 24, v1 :: v_dual_lshlrev_b32 v3, 20, v42
	v_lshl_add_u32 v4, v64, 23, 0x3c000000
	s_delay_alu instid0(VALU_DEP_2) | instskip(NEXT) | instid1(VALU_DEP_1)
	v_and_b32_e32 v2, 0x80000000, v2
	v_or3_b32 v42, v3, v2, v4
	s_delay_alu instid0(VALU_DEP_1)
	v_mov_b64_e32 v[64:65], v[42:43]
.LBB193_63:                             ;   in Loop: Header=BB193_9 Depth=1
	s_or_b32 exec_lo, exec_lo, s30
.LBB193_64:                             ;   in Loop: Header=BB193_9 Depth=1
	s_delay_alu instid0(SALU_CYCLE_1)
	s_or_b32 exec_lo, exec_lo, s29
.LBB193_65:                             ;   in Loop: Header=BB193_9 Depth=1
	s_delay_alu instid0(SALU_CYCLE_1) | instskip(SKIP_2) | instid1(VALU_DEP_1)
	s_or_b32 exec_lo, exec_lo, s28
	v_lshrrev_b16 v42, 8, v1
	s_mov_b32 s28, exec_lo
	v_cmpx_ne_u16_e32 0, v42
	s_cbranch_execz .LBB193_73
; %bb.66:                               ;   in Loop: Header=BB193_9 Depth=1
	v_mov_b64_e32 v[62:63], 0x8000000000000000
	s_mov_b32 s29, exec_lo
	v_cmpx_ne_u16_e32 0x80, v42
	s_cbranch_execz .LBB193_72
; %bb.67:                               ;   in Loop: Header=BB193_9 Depth=1
	v_and_b32_e32 v2, 0xffff, v42
	v_mov_b64_e32 v[62:63], 0x7f80000100000000
	s_mov_b32 s30, exec_lo
	s_delay_alu instid0(VALU_DEP_2) | instskip(NEXT) | instid1(VALU_DEP_1)
	v_and_b32_e32 v66, 0x7f, v2
	v_cmpx_ne_u32_e32 0x7f, v66
	s_cbranch_execz .LBB193_71
; %bb.68:                               ;   in Loop: Header=BB193_9 Depth=1
	v_and_b32_e32 v42, 7, v2
	v_lshrrev_b32_e32 v62, 3, v66
	s_mov_b32 s31, exec_lo
	v_cmpx_gt_u32_e32 8, v66
; %bb.69:                               ;   in Loop: Header=BB193_9 Depth=1
	s_delay_alu instid0(VALU_DEP_3) | instskip(NEXT) | instid1(VALU_DEP_1)
	v_clz_i32_u32_e32 v2, v42
	v_min_u32_e32 v4, 32, v2
	s_delay_alu instid0(VALU_DEP_1) | instskip(NEXT) | instid1(VALU_DEP_1)
	v_subrev_nc_u32_e32 v2, 28, v4
	v_lshlrev_b64_e32 v[2:3], v2, v[42:43]
	s_delay_alu instid0(VALU_DEP_1)
	v_dual_sub_nc_u32 v62, 29, v4 :: v_dual_bitop2_b32 v42, 7, v2 bitop3:0x40
; %bb.70:                               ;   in Loop: Header=BB193_9 Depth=1
	s_or_b32 exec_lo, exec_lo, s31
	s_delay_alu instid0(VALU_DEP_1) | instskip(NEXT) | instid1(VALU_DEP_2)
	v_dual_lshlrev_b32 v1, 16, v1 :: v_dual_lshlrev_b32 v2, 20, v42
	v_lshl_add_u32 v3, v62, 23, 0x3c000000
	v_mov_b32_e32 v62, v43
	s_delay_alu instid0(VALU_DEP_3) | instskip(NEXT) | instid1(VALU_DEP_1)
	v_and_b32_e32 v1, 0x80000000, v1
	v_or3_b32 v63, v2, v1, v3
.LBB193_71:                             ;   in Loop: Header=BB193_9 Depth=1
	s_or_b32 exec_lo, exec_lo, s30
.LBB193_72:                             ;   in Loop: Header=BB193_9 Depth=1
	s_delay_alu instid0(SALU_CYCLE_1)
	s_or_b32 exec_lo, exec_lo, s29
.LBB193_73:                             ;   in Loop: Header=BB193_9 Depth=1
	s_delay_alu instid0(SALU_CYCLE_1)
	s_or_b32 exec_lo, exec_lo, s28
	global_load_u16 v1, v[56:57], off offset:256
	v_mov_b64_e32 v[66:67], 0
	v_mov_b64_e32 v[68:69], 0
	s_mov_b32 s28, exec_lo
	s_wait_loadcnt 0x0
	v_and_b32_e32 v2, 0xff, v1
	v_and_b32_e32 v1, 0xffff, v1
	s_wait_xcnt 0x0
	s_delay_alu instid0(VALU_DEP_2)
	v_cmpx_ne_u16_e32 0, v2
	s_cbranch_execz .LBB193_81
; %bb.74:                               ;   in Loop: Header=BB193_9 Depth=1
	v_mov_b64_e32 v[68:69], 0x80000000
	v_and_b32_e32 v2, 0xff, v1
	s_mov_b32 s29, exec_lo
	s_delay_alu instid0(VALU_DEP_1)
	v_cmpx_ne_u16_e32 0x80, v2
	s_cbranch_execz .LBB193_80
; %bb.75:                               ;   in Loop: Header=BB193_9 Depth=1
	v_mov_b64_e32 v[68:69], 0x7f800001
	v_and_b32_e32 v70, 0x7f, v1
	s_mov_b32 s30, exec_lo
	s_delay_alu instid0(VALU_DEP_1)
	v_cmpx_ne_u32_e32 0x7f, v70
	s_cbranch_execz .LBB193_79
; %bb.76:                               ;   in Loop: Header=BB193_9 Depth=1
	v_dual_lshrrev_b32 v68, 3, v70 :: v_dual_bitop2_b32 v42, 7, v1 bitop3:0x40
	s_mov_b32 s31, exec_lo
	v_cmpx_gt_u32_e32 8, v70
; %bb.77:                               ;   in Loop: Header=BB193_9 Depth=1
	s_delay_alu instid0(VALU_DEP_2) | instskip(NEXT) | instid1(VALU_DEP_1)
	v_clz_i32_u32_e32 v2, v42
	v_min_u32_e32 v4, 32, v2
	s_delay_alu instid0(VALU_DEP_1) | instskip(NEXT) | instid1(VALU_DEP_1)
	v_subrev_nc_u32_e32 v2, 28, v4
	v_lshlrev_b64_e32 v[2:3], v2, v[42:43]
	s_delay_alu instid0(VALU_DEP_1)
	v_dual_sub_nc_u32 v68, 29, v4 :: v_dual_bitop2_b32 v42, 7, v2 bitop3:0x40
; %bb.78:                               ;   in Loop: Header=BB193_9 Depth=1
	s_or_b32 exec_lo, exec_lo, s31
	s_delay_alu instid0(VALU_DEP_1) | instskip(NEXT) | instid1(VALU_DEP_2)
	v_dual_lshlrev_b32 v2, 24, v1 :: v_dual_lshlrev_b32 v3, 20, v42
	v_lshl_add_u32 v4, v68, 23, 0x3c000000
	s_delay_alu instid0(VALU_DEP_2) | instskip(NEXT) | instid1(VALU_DEP_1)
	v_and_b32_e32 v2, 0x80000000, v2
	v_or3_b32 v42, v3, v2, v4
	s_delay_alu instid0(VALU_DEP_1)
	v_mov_b64_e32 v[68:69], v[42:43]
.LBB193_79:                             ;   in Loop: Header=BB193_9 Depth=1
	s_or_b32 exec_lo, exec_lo, s30
.LBB193_80:                             ;   in Loop: Header=BB193_9 Depth=1
	s_delay_alu instid0(SALU_CYCLE_1)
	s_or_b32 exec_lo, exec_lo, s29
.LBB193_81:                             ;   in Loop: Header=BB193_9 Depth=1
	s_delay_alu instid0(SALU_CYCLE_1) | instskip(SKIP_2) | instid1(VALU_DEP_1)
	s_or_b32 exec_lo, exec_lo, s28
	v_lshrrev_b16 v42, 8, v1
	s_mov_b32 s28, exec_lo
	v_cmpx_ne_u16_e32 0, v42
	s_cbranch_execz .LBB193_89
; %bb.82:                               ;   in Loop: Header=BB193_9 Depth=1
	v_mov_b64_e32 v[66:67], 0x8000000000000000
	s_mov_b32 s29, exec_lo
	v_cmpx_ne_u16_e32 0x80, v42
	s_cbranch_execz .LBB193_88
; %bb.83:                               ;   in Loop: Header=BB193_9 Depth=1
	v_and_b32_e32 v2, 0xffff, v42
	v_mov_b64_e32 v[66:67], 0x7f80000100000000
	s_mov_b32 s30, exec_lo
	s_delay_alu instid0(VALU_DEP_2) | instskip(NEXT) | instid1(VALU_DEP_1)
	v_and_b32_e32 v70, 0x7f, v2
	v_cmpx_ne_u32_e32 0x7f, v70
	s_cbranch_execz .LBB193_87
; %bb.84:                               ;   in Loop: Header=BB193_9 Depth=1
	v_and_b32_e32 v42, 7, v2
	v_lshrrev_b32_e32 v66, 3, v70
	s_mov_b32 s31, exec_lo
	v_cmpx_gt_u32_e32 8, v70
; %bb.85:                               ;   in Loop: Header=BB193_9 Depth=1
	s_delay_alu instid0(VALU_DEP_3) | instskip(NEXT) | instid1(VALU_DEP_1)
	v_clz_i32_u32_e32 v2, v42
	v_min_u32_e32 v4, 32, v2
	s_delay_alu instid0(VALU_DEP_1) | instskip(NEXT) | instid1(VALU_DEP_1)
	v_subrev_nc_u32_e32 v2, 28, v4
	v_lshlrev_b64_e32 v[2:3], v2, v[42:43]
	s_delay_alu instid0(VALU_DEP_1)
	v_dual_sub_nc_u32 v66, 29, v4 :: v_dual_bitop2_b32 v42, 7, v2 bitop3:0x40
; %bb.86:                               ;   in Loop: Header=BB193_9 Depth=1
	s_or_b32 exec_lo, exec_lo, s31
	s_delay_alu instid0(VALU_DEP_1) | instskip(NEXT) | instid1(VALU_DEP_2)
	v_dual_lshlrev_b32 v1, 16, v1 :: v_dual_lshlrev_b32 v2, 20, v42
	v_lshl_add_u32 v3, v66, 23, 0x3c000000
	v_mov_b32_e32 v66, v43
	s_delay_alu instid0(VALU_DEP_3) | instskip(NEXT) | instid1(VALU_DEP_1)
	v_and_b32_e32 v1, 0x80000000, v1
	v_or3_b32 v67, v2, v1, v3
.LBB193_87:                             ;   in Loop: Header=BB193_9 Depth=1
	s_or_b32 exec_lo, exec_lo, s30
.LBB193_88:                             ;   in Loop: Header=BB193_9 Depth=1
	s_delay_alu instid0(SALU_CYCLE_1)
	s_or_b32 exec_lo, exec_lo, s29
.LBB193_89:                             ;   in Loop: Header=BB193_9 Depth=1
	s_delay_alu instid0(SALU_CYCLE_1)
	s_or_b32 exec_lo, exec_lo, s28
	global_load_u16 v1, v[56:57], off offset:260
	v_mov_b64_e32 v[70:71], 0
	v_mov_b64_e32 v[72:73], 0
	s_mov_b32 s28, exec_lo
	s_wait_loadcnt 0x0
	v_and_b32_e32 v2, 0xff, v1
	v_and_b32_e32 v1, 0xffff, v1
	s_wait_xcnt 0x0
	s_delay_alu instid0(VALU_DEP_2)
	v_cmpx_ne_u16_e32 0, v2
	s_cbranch_execz .LBB193_97
; %bb.90:                               ;   in Loop: Header=BB193_9 Depth=1
	v_mov_b64_e32 v[72:73], 0x80000000
	v_and_b32_e32 v2, 0xff, v1
	s_mov_b32 s29, exec_lo
	s_delay_alu instid0(VALU_DEP_1)
	v_cmpx_ne_u16_e32 0x80, v2
	s_cbranch_execz .LBB193_96
; %bb.91:                               ;   in Loop: Header=BB193_9 Depth=1
	v_mov_b64_e32 v[72:73], 0x7f800001
	v_and_b32_e32 v74, 0x7f, v1
	s_mov_b32 s30, exec_lo
	s_delay_alu instid0(VALU_DEP_1)
	v_cmpx_ne_u32_e32 0x7f, v74
	s_cbranch_execz .LBB193_95
; %bb.92:                               ;   in Loop: Header=BB193_9 Depth=1
	v_dual_lshrrev_b32 v72, 3, v74 :: v_dual_bitop2_b32 v42, 7, v1 bitop3:0x40
	s_mov_b32 s31, exec_lo
	v_cmpx_gt_u32_e32 8, v74
; %bb.93:                               ;   in Loop: Header=BB193_9 Depth=1
	s_delay_alu instid0(VALU_DEP_2) | instskip(NEXT) | instid1(VALU_DEP_1)
	v_clz_i32_u32_e32 v2, v42
	v_min_u32_e32 v4, 32, v2
	s_delay_alu instid0(VALU_DEP_1) | instskip(NEXT) | instid1(VALU_DEP_1)
	v_subrev_nc_u32_e32 v2, 28, v4
	v_lshlrev_b64_e32 v[2:3], v2, v[42:43]
	s_delay_alu instid0(VALU_DEP_1)
	v_dual_sub_nc_u32 v72, 29, v4 :: v_dual_bitop2_b32 v42, 7, v2 bitop3:0x40
; %bb.94:                               ;   in Loop: Header=BB193_9 Depth=1
	s_or_b32 exec_lo, exec_lo, s31
	s_delay_alu instid0(VALU_DEP_1) | instskip(NEXT) | instid1(VALU_DEP_2)
	v_dual_lshlrev_b32 v2, 24, v1 :: v_dual_lshlrev_b32 v3, 20, v42
	v_lshl_add_u32 v4, v72, 23, 0x3c000000
	s_delay_alu instid0(VALU_DEP_2) | instskip(NEXT) | instid1(VALU_DEP_1)
	v_and_b32_e32 v2, 0x80000000, v2
	v_or3_b32 v42, v3, v2, v4
	s_delay_alu instid0(VALU_DEP_1)
	v_mov_b64_e32 v[72:73], v[42:43]
.LBB193_95:                             ;   in Loop: Header=BB193_9 Depth=1
	s_or_b32 exec_lo, exec_lo, s30
.LBB193_96:                             ;   in Loop: Header=BB193_9 Depth=1
	s_delay_alu instid0(SALU_CYCLE_1)
	s_or_b32 exec_lo, exec_lo, s29
.LBB193_97:                             ;   in Loop: Header=BB193_9 Depth=1
	s_delay_alu instid0(SALU_CYCLE_1) | instskip(SKIP_2) | instid1(VALU_DEP_1)
	s_or_b32 exec_lo, exec_lo, s28
	v_lshrrev_b16 v42, 8, v1
	s_mov_b32 s28, exec_lo
	v_cmpx_ne_u16_e32 0, v42
	s_cbranch_execz .LBB193_105
; %bb.98:                               ;   in Loop: Header=BB193_9 Depth=1
	v_mov_b64_e32 v[70:71], 0x8000000000000000
	s_mov_b32 s29, exec_lo
	v_cmpx_ne_u16_e32 0x80, v42
	s_cbranch_execz .LBB193_104
; %bb.99:                               ;   in Loop: Header=BB193_9 Depth=1
	v_and_b32_e32 v2, 0xffff, v42
	v_mov_b64_e32 v[70:71], 0x7f80000100000000
	s_mov_b32 s30, exec_lo
	s_delay_alu instid0(VALU_DEP_2) | instskip(NEXT) | instid1(VALU_DEP_1)
	v_and_b32_e32 v74, 0x7f, v2
	v_cmpx_ne_u32_e32 0x7f, v74
	s_cbranch_execz .LBB193_103
; %bb.100:                              ;   in Loop: Header=BB193_9 Depth=1
	v_and_b32_e32 v42, 7, v2
	v_lshrrev_b32_e32 v70, 3, v74
	s_mov_b32 s31, exec_lo
	v_cmpx_gt_u32_e32 8, v74
; %bb.101:                              ;   in Loop: Header=BB193_9 Depth=1
	s_delay_alu instid0(VALU_DEP_3) | instskip(NEXT) | instid1(VALU_DEP_1)
	v_clz_i32_u32_e32 v2, v42
	v_min_u32_e32 v4, 32, v2
	s_delay_alu instid0(VALU_DEP_1) | instskip(NEXT) | instid1(VALU_DEP_1)
	v_subrev_nc_u32_e32 v2, 28, v4
	v_lshlrev_b64_e32 v[2:3], v2, v[42:43]
	s_delay_alu instid0(VALU_DEP_1)
	v_dual_sub_nc_u32 v70, 29, v4 :: v_dual_bitop2_b32 v42, 7, v2 bitop3:0x40
; %bb.102:                              ;   in Loop: Header=BB193_9 Depth=1
	s_or_b32 exec_lo, exec_lo, s31
	s_delay_alu instid0(VALU_DEP_1) | instskip(NEXT) | instid1(VALU_DEP_2)
	v_dual_lshlrev_b32 v1, 16, v1 :: v_dual_lshlrev_b32 v2, 20, v42
	v_lshl_add_u32 v3, v70, 23, 0x3c000000
	v_mov_b32_e32 v70, v43
	s_delay_alu instid0(VALU_DEP_3) | instskip(NEXT) | instid1(VALU_DEP_1)
	v_and_b32_e32 v1, 0x80000000, v1
	v_or3_b32 v71, v2, v1, v3
.LBB193_103:                            ;   in Loop: Header=BB193_9 Depth=1
	s_or_b32 exec_lo, exec_lo, s30
.LBB193_104:                            ;   in Loop: Header=BB193_9 Depth=1
	s_delay_alu instid0(SALU_CYCLE_1)
	s_or_b32 exec_lo, exec_lo, s29
.LBB193_105:                            ;   in Loop: Header=BB193_9 Depth=1
	s_delay_alu instid0(SALU_CYCLE_1)
	s_or_b32 exec_lo, exec_lo, s28
	global_load_u16 v1, v[56:57], off offset:264
	v_mov_b64_e32 v[74:75], 0
	v_mov_b64_e32 v[76:77], 0
	s_mov_b32 s28, exec_lo
	s_wait_loadcnt 0x0
	v_and_b32_e32 v2, 0xff, v1
	v_and_b32_e32 v1, 0xffff, v1
	s_wait_xcnt 0x0
	s_delay_alu instid0(VALU_DEP_2)
	v_cmpx_ne_u16_e32 0, v2
	s_cbranch_execz .LBB193_113
; %bb.106:                              ;   in Loop: Header=BB193_9 Depth=1
	v_mov_b64_e32 v[76:77], 0x80000000
	v_and_b32_e32 v2, 0xff, v1
	s_mov_b32 s29, exec_lo
	s_delay_alu instid0(VALU_DEP_1)
	v_cmpx_ne_u16_e32 0x80, v2
	s_cbranch_execz .LBB193_112
; %bb.107:                              ;   in Loop: Header=BB193_9 Depth=1
	v_mov_b64_e32 v[76:77], 0x7f800001
	v_and_b32_e32 v78, 0x7f, v1
	s_mov_b32 s30, exec_lo
	s_delay_alu instid0(VALU_DEP_1)
	v_cmpx_ne_u32_e32 0x7f, v78
	s_cbranch_execz .LBB193_111
; %bb.108:                              ;   in Loop: Header=BB193_9 Depth=1
	v_dual_lshrrev_b32 v76, 3, v78 :: v_dual_bitop2_b32 v42, 7, v1 bitop3:0x40
	s_mov_b32 s31, exec_lo
	v_cmpx_gt_u32_e32 8, v78
; %bb.109:                              ;   in Loop: Header=BB193_9 Depth=1
	s_delay_alu instid0(VALU_DEP_2) | instskip(NEXT) | instid1(VALU_DEP_1)
	v_clz_i32_u32_e32 v2, v42
	v_min_u32_e32 v4, 32, v2
	s_delay_alu instid0(VALU_DEP_1) | instskip(NEXT) | instid1(VALU_DEP_1)
	v_subrev_nc_u32_e32 v2, 28, v4
	v_lshlrev_b64_e32 v[2:3], v2, v[42:43]
	s_delay_alu instid0(VALU_DEP_1)
	v_dual_sub_nc_u32 v76, 29, v4 :: v_dual_bitop2_b32 v42, 7, v2 bitop3:0x40
; %bb.110:                              ;   in Loop: Header=BB193_9 Depth=1
	s_or_b32 exec_lo, exec_lo, s31
	s_delay_alu instid0(VALU_DEP_1) | instskip(NEXT) | instid1(VALU_DEP_2)
	v_dual_lshlrev_b32 v2, 24, v1 :: v_dual_lshlrev_b32 v3, 20, v42
	v_lshl_add_u32 v4, v76, 23, 0x3c000000
	s_delay_alu instid0(VALU_DEP_2) | instskip(NEXT) | instid1(VALU_DEP_1)
	v_and_b32_e32 v2, 0x80000000, v2
	v_or3_b32 v42, v3, v2, v4
	s_delay_alu instid0(VALU_DEP_1)
	v_mov_b64_e32 v[76:77], v[42:43]
.LBB193_111:                            ;   in Loop: Header=BB193_9 Depth=1
	s_or_b32 exec_lo, exec_lo, s30
.LBB193_112:                            ;   in Loop: Header=BB193_9 Depth=1
	s_delay_alu instid0(SALU_CYCLE_1)
	s_or_b32 exec_lo, exec_lo, s29
.LBB193_113:                            ;   in Loop: Header=BB193_9 Depth=1
	s_delay_alu instid0(SALU_CYCLE_1) | instskip(SKIP_2) | instid1(VALU_DEP_1)
	s_or_b32 exec_lo, exec_lo, s28
	v_lshrrev_b16 v42, 8, v1
	s_mov_b32 s28, exec_lo
	v_cmpx_ne_u16_e32 0, v42
	s_cbranch_execz .LBB193_121
; %bb.114:                              ;   in Loop: Header=BB193_9 Depth=1
	v_mov_b64_e32 v[74:75], 0x8000000000000000
	s_mov_b32 s29, exec_lo
	v_cmpx_ne_u16_e32 0x80, v42
	s_cbranch_execz .LBB193_120
; %bb.115:                              ;   in Loop: Header=BB193_9 Depth=1
	v_and_b32_e32 v2, 0xffff, v42
	v_mov_b64_e32 v[74:75], 0x7f80000100000000
	s_mov_b32 s30, exec_lo
	s_delay_alu instid0(VALU_DEP_2) | instskip(NEXT) | instid1(VALU_DEP_1)
	v_and_b32_e32 v78, 0x7f, v2
	v_cmpx_ne_u32_e32 0x7f, v78
	s_cbranch_execz .LBB193_119
; %bb.116:                              ;   in Loop: Header=BB193_9 Depth=1
	v_and_b32_e32 v42, 7, v2
	v_lshrrev_b32_e32 v74, 3, v78
	s_mov_b32 s31, exec_lo
	v_cmpx_gt_u32_e32 8, v78
; %bb.117:                              ;   in Loop: Header=BB193_9 Depth=1
	s_delay_alu instid0(VALU_DEP_3) | instskip(NEXT) | instid1(VALU_DEP_1)
	v_clz_i32_u32_e32 v2, v42
	v_min_u32_e32 v4, 32, v2
	s_delay_alu instid0(VALU_DEP_1) | instskip(NEXT) | instid1(VALU_DEP_1)
	v_subrev_nc_u32_e32 v2, 28, v4
	v_lshlrev_b64_e32 v[2:3], v2, v[42:43]
	s_delay_alu instid0(VALU_DEP_1)
	v_dual_sub_nc_u32 v74, 29, v4 :: v_dual_bitop2_b32 v42, 7, v2 bitop3:0x40
; %bb.118:                              ;   in Loop: Header=BB193_9 Depth=1
	s_or_b32 exec_lo, exec_lo, s31
	s_delay_alu instid0(VALU_DEP_1) | instskip(NEXT) | instid1(VALU_DEP_2)
	v_dual_lshlrev_b32 v1, 16, v1 :: v_dual_lshlrev_b32 v2, 20, v42
	v_lshl_add_u32 v3, v74, 23, 0x3c000000
	v_mov_b32_e32 v74, v43
	s_delay_alu instid0(VALU_DEP_3) | instskip(NEXT) | instid1(VALU_DEP_1)
	v_and_b32_e32 v1, 0x80000000, v1
	v_or3_b32 v75, v2, v1, v3
.LBB193_119:                            ;   in Loop: Header=BB193_9 Depth=1
	s_or_b32 exec_lo, exec_lo, s30
.LBB193_120:                            ;   in Loop: Header=BB193_9 Depth=1
	s_delay_alu instid0(SALU_CYCLE_1)
	s_or_b32 exec_lo, exec_lo, s29
.LBB193_121:                            ;   in Loop: Header=BB193_9 Depth=1
	s_delay_alu instid0(SALU_CYCLE_1)
	s_or_b32 exec_lo, exec_lo, s28
	global_load_u16 v1, v[56:57], off offset:268
	v_mov_b64_e32 v[78:79], 0
	v_mov_b64_e32 v[80:81], 0
	s_mov_b32 s28, exec_lo
	s_wait_loadcnt 0x0
	v_and_b32_e32 v2, 0xff, v1
	v_and_b32_e32 v1, 0xffff, v1
	s_wait_xcnt 0x0
	s_delay_alu instid0(VALU_DEP_2)
	v_cmpx_ne_u16_e32 0, v2
	s_cbranch_execz .LBB193_129
; %bb.122:                              ;   in Loop: Header=BB193_9 Depth=1
	v_mov_b64_e32 v[80:81], 0x80000000
	v_and_b32_e32 v2, 0xff, v1
	s_mov_b32 s29, exec_lo
	s_delay_alu instid0(VALU_DEP_1)
	v_cmpx_ne_u16_e32 0x80, v2
	s_cbranch_execz .LBB193_128
; %bb.123:                              ;   in Loop: Header=BB193_9 Depth=1
	v_mov_b64_e32 v[80:81], 0x7f800001
	v_and_b32_e32 v82, 0x7f, v1
	s_mov_b32 s30, exec_lo
	s_delay_alu instid0(VALU_DEP_1)
	v_cmpx_ne_u32_e32 0x7f, v82
	s_cbranch_execz .LBB193_127
; %bb.124:                              ;   in Loop: Header=BB193_9 Depth=1
	v_dual_lshrrev_b32 v80, 3, v82 :: v_dual_bitop2_b32 v42, 7, v1 bitop3:0x40
	s_mov_b32 s31, exec_lo
	v_cmpx_gt_u32_e32 8, v82
; %bb.125:                              ;   in Loop: Header=BB193_9 Depth=1
	s_delay_alu instid0(VALU_DEP_2) | instskip(NEXT) | instid1(VALU_DEP_1)
	v_clz_i32_u32_e32 v2, v42
	v_min_u32_e32 v4, 32, v2
	s_delay_alu instid0(VALU_DEP_1) | instskip(NEXT) | instid1(VALU_DEP_1)
	v_subrev_nc_u32_e32 v2, 28, v4
	v_lshlrev_b64_e32 v[2:3], v2, v[42:43]
	s_delay_alu instid0(VALU_DEP_1)
	v_dual_sub_nc_u32 v80, 29, v4 :: v_dual_bitop2_b32 v42, 7, v2 bitop3:0x40
; %bb.126:                              ;   in Loop: Header=BB193_9 Depth=1
	s_or_b32 exec_lo, exec_lo, s31
	s_delay_alu instid0(VALU_DEP_1) | instskip(NEXT) | instid1(VALU_DEP_2)
	v_dual_lshlrev_b32 v2, 24, v1 :: v_dual_lshlrev_b32 v3, 20, v42
	v_lshl_add_u32 v4, v80, 23, 0x3c000000
	s_delay_alu instid0(VALU_DEP_2) | instskip(NEXT) | instid1(VALU_DEP_1)
	v_and_b32_e32 v2, 0x80000000, v2
	v_or3_b32 v42, v3, v2, v4
	s_delay_alu instid0(VALU_DEP_1)
	v_mov_b64_e32 v[80:81], v[42:43]
.LBB193_127:                            ;   in Loop: Header=BB193_9 Depth=1
	s_or_b32 exec_lo, exec_lo, s30
.LBB193_128:                            ;   in Loop: Header=BB193_9 Depth=1
	s_delay_alu instid0(SALU_CYCLE_1)
	s_or_b32 exec_lo, exec_lo, s29
.LBB193_129:                            ;   in Loop: Header=BB193_9 Depth=1
	s_delay_alu instid0(SALU_CYCLE_1) | instskip(SKIP_2) | instid1(VALU_DEP_1)
	s_or_b32 exec_lo, exec_lo, s28
	v_lshrrev_b16 v42, 8, v1
	s_mov_b32 s28, exec_lo
	v_cmpx_ne_u16_e32 0, v42
	s_cbranch_execz .LBB193_137
; %bb.130:                              ;   in Loop: Header=BB193_9 Depth=1
	v_mov_b64_e32 v[78:79], 0x8000000000000000
	s_mov_b32 s29, exec_lo
	v_cmpx_ne_u16_e32 0x80, v42
	s_cbranch_execz .LBB193_136
; %bb.131:                              ;   in Loop: Header=BB193_9 Depth=1
	v_and_b32_e32 v2, 0xffff, v42
	v_mov_b64_e32 v[78:79], 0x7f80000100000000
	s_mov_b32 s30, exec_lo
	s_delay_alu instid0(VALU_DEP_2) | instskip(NEXT) | instid1(VALU_DEP_1)
	v_and_b32_e32 v82, 0x7f, v2
	v_cmpx_ne_u32_e32 0x7f, v82
	s_cbranch_execz .LBB193_135
; %bb.132:                              ;   in Loop: Header=BB193_9 Depth=1
	v_and_b32_e32 v42, 7, v2
	v_lshrrev_b32_e32 v78, 3, v82
	s_mov_b32 s31, exec_lo
	v_cmpx_gt_u32_e32 8, v82
; %bb.133:                              ;   in Loop: Header=BB193_9 Depth=1
	s_delay_alu instid0(VALU_DEP_3) | instskip(NEXT) | instid1(VALU_DEP_1)
	v_clz_i32_u32_e32 v2, v42
	v_min_u32_e32 v4, 32, v2
	s_delay_alu instid0(VALU_DEP_1) | instskip(NEXT) | instid1(VALU_DEP_1)
	v_subrev_nc_u32_e32 v2, 28, v4
	v_lshlrev_b64_e32 v[2:3], v2, v[42:43]
	s_delay_alu instid0(VALU_DEP_1)
	v_dual_sub_nc_u32 v78, 29, v4 :: v_dual_bitop2_b32 v42, 7, v2 bitop3:0x40
; %bb.134:                              ;   in Loop: Header=BB193_9 Depth=1
	s_or_b32 exec_lo, exec_lo, s31
	s_delay_alu instid0(VALU_DEP_1) | instskip(NEXT) | instid1(VALU_DEP_2)
	v_dual_lshlrev_b32 v1, 16, v1 :: v_dual_lshlrev_b32 v2, 20, v42
	v_lshl_add_u32 v3, v78, 23, 0x3c000000
	v_mov_b32_e32 v78, v43
	s_delay_alu instid0(VALU_DEP_3) | instskip(NEXT) | instid1(VALU_DEP_1)
	v_and_b32_e32 v1, 0x80000000, v1
	v_or3_b32 v79, v2, v1, v3
.LBB193_135:                            ;   in Loop: Header=BB193_9 Depth=1
	s_or_b32 exec_lo, exec_lo, s30
.LBB193_136:                            ;   in Loop: Header=BB193_9 Depth=1
	s_delay_alu instid0(SALU_CYCLE_1)
	s_or_b32 exec_lo, exec_lo, s29
.LBB193_137:                            ;   in Loop: Header=BB193_9 Depth=1
	s_delay_alu instid0(SALU_CYCLE_1)
	s_or_b32 exec_lo, exec_lo, s28
	global_load_u16 v1, v[56:57], off offset:512
	v_mov_b64_e32 v[82:83], 0
	v_mov_b64_e32 v[84:85], 0
	s_mov_b32 s28, exec_lo
	s_wait_loadcnt 0x0
	v_and_b32_e32 v2, 0xff, v1
	v_and_b32_e32 v1, 0xffff, v1
	s_wait_xcnt 0x0
	s_delay_alu instid0(VALU_DEP_2)
	v_cmpx_ne_u16_e32 0, v2
	s_cbranch_execz .LBB193_145
; %bb.138:                              ;   in Loop: Header=BB193_9 Depth=1
	v_mov_b64_e32 v[84:85], 0x80000000
	v_and_b32_e32 v2, 0xff, v1
	s_mov_b32 s29, exec_lo
	s_delay_alu instid0(VALU_DEP_1)
	v_cmpx_ne_u16_e32 0x80, v2
	s_cbranch_execz .LBB193_144
; %bb.139:                              ;   in Loop: Header=BB193_9 Depth=1
	v_mov_b64_e32 v[84:85], 0x7f800001
	v_and_b32_e32 v86, 0x7f, v1
	s_mov_b32 s30, exec_lo
	s_delay_alu instid0(VALU_DEP_1)
	v_cmpx_ne_u32_e32 0x7f, v86
	s_cbranch_execz .LBB193_143
; %bb.140:                              ;   in Loop: Header=BB193_9 Depth=1
	v_dual_lshrrev_b32 v84, 3, v86 :: v_dual_bitop2_b32 v42, 7, v1 bitop3:0x40
	s_mov_b32 s31, exec_lo
	v_cmpx_gt_u32_e32 8, v86
; %bb.141:                              ;   in Loop: Header=BB193_9 Depth=1
	s_delay_alu instid0(VALU_DEP_2) | instskip(NEXT) | instid1(VALU_DEP_1)
	v_clz_i32_u32_e32 v2, v42
	v_min_u32_e32 v4, 32, v2
	s_delay_alu instid0(VALU_DEP_1) | instskip(NEXT) | instid1(VALU_DEP_1)
	v_subrev_nc_u32_e32 v2, 28, v4
	v_lshlrev_b64_e32 v[2:3], v2, v[42:43]
	s_delay_alu instid0(VALU_DEP_1)
	v_dual_sub_nc_u32 v84, 29, v4 :: v_dual_bitop2_b32 v42, 7, v2 bitop3:0x40
; %bb.142:                              ;   in Loop: Header=BB193_9 Depth=1
	s_or_b32 exec_lo, exec_lo, s31
	s_delay_alu instid0(VALU_DEP_1) | instskip(NEXT) | instid1(VALU_DEP_2)
	v_dual_lshlrev_b32 v2, 24, v1 :: v_dual_lshlrev_b32 v3, 20, v42
	v_lshl_add_u32 v4, v84, 23, 0x3c000000
	s_delay_alu instid0(VALU_DEP_2) | instskip(NEXT) | instid1(VALU_DEP_1)
	v_and_b32_e32 v2, 0x80000000, v2
	v_or3_b32 v42, v3, v2, v4
	s_delay_alu instid0(VALU_DEP_1)
	v_mov_b64_e32 v[84:85], v[42:43]
.LBB193_143:                            ;   in Loop: Header=BB193_9 Depth=1
	s_or_b32 exec_lo, exec_lo, s30
.LBB193_144:                            ;   in Loop: Header=BB193_9 Depth=1
	s_delay_alu instid0(SALU_CYCLE_1)
	s_or_b32 exec_lo, exec_lo, s29
.LBB193_145:                            ;   in Loop: Header=BB193_9 Depth=1
	s_delay_alu instid0(SALU_CYCLE_1) | instskip(SKIP_2) | instid1(VALU_DEP_1)
	s_or_b32 exec_lo, exec_lo, s28
	v_lshrrev_b16 v42, 8, v1
	s_mov_b32 s28, exec_lo
	v_cmpx_ne_u16_e32 0, v42
	s_cbranch_execz .LBB193_153
; %bb.146:                              ;   in Loop: Header=BB193_9 Depth=1
	v_mov_b64_e32 v[82:83], 0x8000000000000000
	s_mov_b32 s29, exec_lo
	v_cmpx_ne_u16_e32 0x80, v42
	s_cbranch_execz .LBB193_152
; %bb.147:                              ;   in Loop: Header=BB193_9 Depth=1
	v_and_b32_e32 v2, 0xffff, v42
	v_mov_b64_e32 v[82:83], 0x7f80000100000000
	s_mov_b32 s30, exec_lo
	s_delay_alu instid0(VALU_DEP_2) | instskip(NEXT) | instid1(VALU_DEP_1)
	v_and_b32_e32 v86, 0x7f, v2
	v_cmpx_ne_u32_e32 0x7f, v86
	s_cbranch_execz .LBB193_151
; %bb.148:                              ;   in Loop: Header=BB193_9 Depth=1
	v_and_b32_e32 v42, 7, v2
	v_lshrrev_b32_e32 v82, 3, v86
	s_mov_b32 s31, exec_lo
	v_cmpx_gt_u32_e32 8, v86
; %bb.149:                              ;   in Loop: Header=BB193_9 Depth=1
	s_delay_alu instid0(VALU_DEP_3) | instskip(NEXT) | instid1(VALU_DEP_1)
	v_clz_i32_u32_e32 v2, v42
	v_min_u32_e32 v4, 32, v2
	s_delay_alu instid0(VALU_DEP_1) | instskip(NEXT) | instid1(VALU_DEP_1)
	v_subrev_nc_u32_e32 v2, 28, v4
	v_lshlrev_b64_e32 v[2:3], v2, v[42:43]
	s_delay_alu instid0(VALU_DEP_1)
	v_dual_sub_nc_u32 v82, 29, v4 :: v_dual_bitop2_b32 v42, 7, v2 bitop3:0x40
; %bb.150:                              ;   in Loop: Header=BB193_9 Depth=1
	s_or_b32 exec_lo, exec_lo, s31
	s_delay_alu instid0(VALU_DEP_1) | instskip(NEXT) | instid1(VALU_DEP_2)
	v_dual_lshlrev_b32 v1, 16, v1 :: v_dual_lshlrev_b32 v2, 20, v42
	v_lshl_add_u32 v3, v82, 23, 0x3c000000
	v_mov_b32_e32 v82, v43
	s_delay_alu instid0(VALU_DEP_3) | instskip(NEXT) | instid1(VALU_DEP_1)
	v_and_b32_e32 v1, 0x80000000, v1
	v_or3_b32 v83, v2, v1, v3
.LBB193_151:                            ;   in Loop: Header=BB193_9 Depth=1
	s_or_b32 exec_lo, exec_lo, s30
.LBB193_152:                            ;   in Loop: Header=BB193_9 Depth=1
	s_delay_alu instid0(SALU_CYCLE_1)
	s_or_b32 exec_lo, exec_lo, s29
.LBB193_153:                            ;   in Loop: Header=BB193_9 Depth=1
	s_delay_alu instid0(SALU_CYCLE_1)
	s_or_b32 exec_lo, exec_lo, s28
	global_load_u16 v1, v[56:57], off offset:516
	v_mov_b64_e32 v[86:87], 0
	v_mov_b64_e32 v[88:89], 0
	s_mov_b32 s28, exec_lo
	s_wait_loadcnt 0x0
	v_and_b32_e32 v2, 0xff, v1
	v_and_b32_e32 v1, 0xffff, v1
	s_wait_xcnt 0x0
	s_delay_alu instid0(VALU_DEP_2)
	v_cmpx_ne_u16_e32 0, v2
	s_cbranch_execz .LBB193_161
; %bb.154:                              ;   in Loop: Header=BB193_9 Depth=1
	v_mov_b64_e32 v[88:89], 0x80000000
	v_and_b32_e32 v2, 0xff, v1
	s_mov_b32 s29, exec_lo
	s_delay_alu instid0(VALU_DEP_1)
	v_cmpx_ne_u16_e32 0x80, v2
	s_cbranch_execz .LBB193_160
; %bb.155:                              ;   in Loop: Header=BB193_9 Depth=1
	v_mov_b64_e32 v[88:89], 0x7f800001
	v_and_b32_e32 v90, 0x7f, v1
	s_mov_b32 s30, exec_lo
	s_delay_alu instid0(VALU_DEP_1)
	v_cmpx_ne_u32_e32 0x7f, v90
	s_cbranch_execz .LBB193_159
; %bb.156:                              ;   in Loop: Header=BB193_9 Depth=1
	v_dual_lshrrev_b32 v88, 3, v90 :: v_dual_bitop2_b32 v42, 7, v1 bitop3:0x40
	s_mov_b32 s31, exec_lo
	v_cmpx_gt_u32_e32 8, v90
; %bb.157:                              ;   in Loop: Header=BB193_9 Depth=1
	s_delay_alu instid0(VALU_DEP_2) | instskip(NEXT) | instid1(VALU_DEP_1)
	v_clz_i32_u32_e32 v2, v42
	v_min_u32_e32 v4, 32, v2
	s_delay_alu instid0(VALU_DEP_1) | instskip(NEXT) | instid1(VALU_DEP_1)
	v_subrev_nc_u32_e32 v2, 28, v4
	v_lshlrev_b64_e32 v[2:3], v2, v[42:43]
	s_delay_alu instid0(VALU_DEP_1)
	v_dual_sub_nc_u32 v88, 29, v4 :: v_dual_bitop2_b32 v42, 7, v2 bitop3:0x40
; %bb.158:                              ;   in Loop: Header=BB193_9 Depth=1
	s_or_b32 exec_lo, exec_lo, s31
	s_delay_alu instid0(VALU_DEP_1) | instskip(NEXT) | instid1(VALU_DEP_2)
	v_dual_lshlrev_b32 v2, 24, v1 :: v_dual_lshlrev_b32 v3, 20, v42
	v_lshl_add_u32 v4, v88, 23, 0x3c000000
	s_delay_alu instid0(VALU_DEP_2) | instskip(NEXT) | instid1(VALU_DEP_1)
	v_and_b32_e32 v2, 0x80000000, v2
	v_or3_b32 v42, v3, v2, v4
	s_delay_alu instid0(VALU_DEP_1)
	v_mov_b64_e32 v[88:89], v[42:43]
.LBB193_159:                            ;   in Loop: Header=BB193_9 Depth=1
	s_or_b32 exec_lo, exec_lo, s30
.LBB193_160:                            ;   in Loop: Header=BB193_9 Depth=1
	s_delay_alu instid0(SALU_CYCLE_1)
	s_or_b32 exec_lo, exec_lo, s29
.LBB193_161:                            ;   in Loop: Header=BB193_9 Depth=1
	s_delay_alu instid0(SALU_CYCLE_1) | instskip(SKIP_2) | instid1(VALU_DEP_1)
	s_or_b32 exec_lo, exec_lo, s28
	v_lshrrev_b16 v42, 8, v1
	s_mov_b32 s28, exec_lo
	v_cmpx_ne_u16_e32 0, v42
	s_cbranch_execz .LBB193_169
; %bb.162:                              ;   in Loop: Header=BB193_9 Depth=1
	v_mov_b64_e32 v[86:87], 0x8000000000000000
	s_mov_b32 s29, exec_lo
	v_cmpx_ne_u16_e32 0x80, v42
	s_cbranch_execz .LBB193_168
; %bb.163:                              ;   in Loop: Header=BB193_9 Depth=1
	v_and_b32_e32 v2, 0xffff, v42
	v_mov_b64_e32 v[86:87], 0x7f80000100000000
	s_mov_b32 s30, exec_lo
	s_delay_alu instid0(VALU_DEP_2) | instskip(NEXT) | instid1(VALU_DEP_1)
	v_and_b32_e32 v90, 0x7f, v2
	v_cmpx_ne_u32_e32 0x7f, v90
	s_cbranch_execz .LBB193_167
; %bb.164:                              ;   in Loop: Header=BB193_9 Depth=1
	v_and_b32_e32 v42, 7, v2
	v_lshrrev_b32_e32 v86, 3, v90
	s_mov_b32 s31, exec_lo
	v_cmpx_gt_u32_e32 8, v90
; %bb.165:                              ;   in Loop: Header=BB193_9 Depth=1
	s_delay_alu instid0(VALU_DEP_3) | instskip(NEXT) | instid1(VALU_DEP_1)
	v_clz_i32_u32_e32 v2, v42
	v_min_u32_e32 v4, 32, v2
	s_delay_alu instid0(VALU_DEP_1) | instskip(NEXT) | instid1(VALU_DEP_1)
	v_subrev_nc_u32_e32 v2, 28, v4
	v_lshlrev_b64_e32 v[2:3], v2, v[42:43]
	s_delay_alu instid0(VALU_DEP_1)
	v_dual_sub_nc_u32 v86, 29, v4 :: v_dual_bitop2_b32 v42, 7, v2 bitop3:0x40
; %bb.166:                              ;   in Loop: Header=BB193_9 Depth=1
	s_or_b32 exec_lo, exec_lo, s31
	s_delay_alu instid0(VALU_DEP_1) | instskip(NEXT) | instid1(VALU_DEP_2)
	v_dual_lshlrev_b32 v1, 16, v1 :: v_dual_lshlrev_b32 v2, 20, v42
	v_lshl_add_u32 v3, v86, 23, 0x3c000000
	v_mov_b32_e32 v86, v43
	s_delay_alu instid0(VALU_DEP_3) | instskip(NEXT) | instid1(VALU_DEP_1)
	v_and_b32_e32 v1, 0x80000000, v1
	v_or3_b32 v87, v2, v1, v3
.LBB193_167:                            ;   in Loop: Header=BB193_9 Depth=1
	s_or_b32 exec_lo, exec_lo, s30
.LBB193_168:                            ;   in Loop: Header=BB193_9 Depth=1
	s_delay_alu instid0(SALU_CYCLE_1)
	s_or_b32 exec_lo, exec_lo, s29
.LBB193_169:                            ;   in Loop: Header=BB193_9 Depth=1
	s_delay_alu instid0(SALU_CYCLE_1)
	s_or_b32 exec_lo, exec_lo, s28
	global_load_u16 v1, v[56:57], off offset:520
	v_mov_b64_e32 v[90:91], 0
	v_mov_b64_e32 v[92:93], 0
	s_mov_b32 s28, exec_lo
	s_wait_loadcnt 0x0
	v_and_b32_e32 v2, 0xff, v1
	v_and_b32_e32 v1, 0xffff, v1
	s_wait_xcnt 0x0
	s_delay_alu instid0(VALU_DEP_2)
	v_cmpx_ne_u16_e32 0, v2
	s_cbranch_execz .LBB193_177
; %bb.170:                              ;   in Loop: Header=BB193_9 Depth=1
	v_mov_b64_e32 v[92:93], 0x80000000
	v_and_b32_e32 v2, 0xff, v1
	s_mov_b32 s29, exec_lo
	s_delay_alu instid0(VALU_DEP_1)
	v_cmpx_ne_u16_e32 0x80, v2
	s_cbranch_execz .LBB193_176
; %bb.171:                              ;   in Loop: Header=BB193_9 Depth=1
	v_mov_b64_e32 v[92:93], 0x7f800001
	v_and_b32_e32 v94, 0x7f, v1
	s_mov_b32 s30, exec_lo
	s_delay_alu instid0(VALU_DEP_1)
	v_cmpx_ne_u32_e32 0x7f, v94
	s_cbranch_execz .LBB193_175
; %bb.172:                              ;   in Loop: Header=BB193_9 Depth=1
	v_dual_lshrrev_b32 v92, 3, v94 :: v_dual_bitop2_b32 v42, 7, v1 bitop3:0x40
	s_mov_b32 s31, exec_lo
	v_cmpx_gt_u32_e32 8, v94
; %bb.173:                              ;   in Loop: Header=BB193_9 Depth=1
	s_delay_alu instid0(VALU_DEP_2) | instskip(NEXT) | instid1(VALU_DEP_1)
	v_clz_i32_u32_e32 v2, v42
	v_min_u32_e32 v4, 32, v2
	s_delay_alu instid0(VALU_DEP_1) | instskip(NEXT) | instid1(VALU_DEP_1)
	v_subrev_nc_u32_e32 v2, 28, v4
	v_lshlrev_b64_e32 v[2:3], v2, v[42:43]
	s_delay_alu instid0(VALU_DEP_1)
	v_dual_sub_nc_u32 v92, 29, v4 :: v_dual_bitop2_b32 v42, 7, v2 bitop3:0x40
; %bb.174:                              ;   in Loop: Header=BB193_9 Depth=1
	s_or_b32 exec_lo, exec_lo, s31
	s_delay_alu instid0(VALU_DEP_1) | instskip(NEXT) | instid1(VALU_DEP_2)
	v_dual_lshlrev_b32 v2, 24, v1 :: v_dual_lshlrev_b32 v3, 20, v42
	v_lshl_add_u32 v4, v92, 23, 0x3c000000
	s_delay_alu instid0(VALU_DEP_2) | instskip(NEXT) | instid1(VALU_DEP_1)
	v_and_b32_e32 v2, 0x80000000, v2
	v_or3_b32 v42, v3, v2, v4
	s_delay_alu instid0(VALU_DEP_1)
	v_mov_b64_e32 v[92:93], v[42:43]
.LBB193_175:                            ;   in Loop: Header=BB193_9 Depth=1
	s_or_b32 exec_lo, exec_lo, s30
.LBB193_176:                            ;   in Loop: Header=BB193_9 Depth=1
	s_delay_alu instid0(SALU_CYCLE_1)
	s_or_b32 exec_lo, exec_lo, s29
.LBB193_177:                            ;   in Loop: Header=BB193_9 Depth=1
	s_delay_alu instid0(SALU_CYCLE_1) | instskip(SKIP_2) | instid1(VALU_DEP_1)
	s_or_b32 exec_lo, exec_lo, s28
	v_lshrrev_b16 v42, 8, v1
	s_mov_b32 s28, exec_lo
	v_cmpx_ne_u16_e32 0, v42
	s_cbranch_execz .LBB193_185
; %bb.178:                              ;   in Loop: Header=BB193_9 Depth=1
	v_mov_b64_e32 v[90:91], 0x8000000000000000
	s_mov_b32 s29, exec_lo
	v_cmpx_ne_u16_e32 0x80, v42
	s_cbranch_execz .LBB193_184
; %bb.179:                              ;   in Loop: Header=BB193_9 Depth=1
	v_and_b32_e32 v2, 0xffff, v42
	v_mov_b64_e32 v[90:91], 0x7f80000100000000
	s_mov_b32 s30, exec_lo
	s_delay_alu instid0(VALU_DEP_2) | instskip(NEXT) | instid1(VALU_DEP_1)
	v_and_b32_e32 v94, 0x7f, v2
	v_cmpx_ne_u32_e32 0x7f, v94
	s_cbranch_execz .LBB193_183
; %bb.180:                              ;   in Loop: Header=BB193_9 Depth=1
	v_and_b32_e32 v42, 7, v2
	v_lshrrev_b32_e32 v90, 3, v94
	s_mov_b32 s31, exec_lo
	v_cmpx_gt_u32_e32 8, v94
; %bb.181:                              ;   in Loop: Header=BB193_9 Depth=1
	s_delay_alu instid0(VALU_DEP_3) | instskip(NEXT) | instid1(VALU_DEP_1)
	v_clz_i32_u32_e32 v2, v42
	v_min_u32_e32 v4, 32, v2
	s_delay_alu instid0(VALU_DEP_1) | instskip(NEXT) | instid1(VALU_DEP_1)
	v_subrev_nc_u32_e32 v2, 28, v4
	v_lshlrev_b64_e32 v[2:3], v2, v[42:43]
	s_delay_alu instid0(VALU_DEP_1)
	v_dual_sub_nc_u32 v90, 29, v4 :: v_dual_bitop2_b32 v42, 7, v2 bitop3:0x40
; %bb.182:                              ;   in Loop: Header=BB193_9 Depth=1
	s_or_b32 exec_lo, exec_lo, s31
	s_delay_alu instid0(VALU_DEP_1) | instskip(NEXT) | instid1(VALU_DEP_2)
	v_dual_lshlrev_b32 v1, 16, v1 :: v_dual_lshlrev_b32 v2, 20, v42
	v_lshl_add_u32 v3, v90, 23, 0x3c000000
	v_mov_b32_e32 v90, v43
	s_delay_alu instid0(VALU_DEP_3) | instskip(NEXT) | instid1(VALU_DEP_1)
	v_and_b32_e32 v1, 0x80000000, v1
	v_or3_b32 v91, v2, v1, v3
.LBB193_183:                            ;   in Loop: Header=BB193_9 Depth=1
	s_or_b32 exec_lo, exec_lo, s30
.LBB193_184:                            ;   in Loop: Header=BB193_9 Depth=1
	s_delay_alu instid0(SALU_CYCLE_1)
	s_or_b32 exec_lo, exec_lo, s29
.LBB193_185:                            ;   in Loop: Header=BB193_9 Depth=1
	s_delay_alu instid0(SALU_CYCLE_1)
	s_or_b32 exec_lo, exec_lo, s28
	global_load_u16 v1, v[56:57], off offset:524
	v_mov_b64_e32 v[94:95], 0
	v_mov_b64_e32 v[96:97], 0
	s_mov_b32 s28, exec_lo
	s_wait_loadcnt 0x0
	v_and_b32_e32 v2, 0xff, v1
	v_and_b32_e32 v1, 0xffff, v1
	s_wait_xcnt 0x0
	s_delay_alu instid0(VALU_DEP_2)
	v_cmpx_ne_u16_e32 0, v2
	s_cbranch_execz .LBB193_193
; %bb.186:                              ;   in Loop: Header=BB193_9 Depth=1
	v_mov_b64_e32 v[96:97], 0x80000000
	v_and_b32_e32 v2, 0xff, v1
	s_mov_b32 s29, exec_lo
	s_delay_alu instid0(VALU_DEP_1)
	v_cmpx_ne_u16_e32 0x80, v2
	s_cbranch_execz .LBB193_192
; %bb.187:                              ;   in Loop: Header=BB193_9 Depth=1
	v_mov_b64_e32 v[96:97], 0x7f800001
	v_and_b32_e32 v98, 0x7f, v1
	s_mov_b32 s30, exec_lo
	s_delay_alu instid0(VALU_DEP_1)
	v_cmpx_ne_u32_e32 0x7f, v98
	s_cbranch_execz .LBB193_191
; %bb.188:                              ;   in Loop: Header=BB193_9 Depth=1
	v_dual_lshrrev_b32 v96, 3, v98 :: v_dual_bitop2_b32 v42, 7, v1 bitop3:0x40
	s_mov_b32 s31, exec_lo
	v_cmpx_gt_u32_e32 8, v98
; %bb.189:                              ;   in Loop: Header=BB193_9 Depth=1
	s_delay_alu instid0(VALU_DEP_2) | instskip(NEXT) | instid1(VALU_DEP_1)
	v_clz_i32_u32_e32 v2, v42
	v_min_u32_e32 v4, 32, v2
	s_delay_alu instid0(VALU_DEP_1) | instskip(NEXT) | instid1(VALU_DEP_1)
	v_subrev_nc_u32_e32 v2, 28, v4
	v_lshlrev_b64_e32 v[2:3], v2, v[42:43]
	s_delay_alu instid0(VALU_DEP_1)
	v_dual_sub_nc_u32 v96, 29, v4 :: v_dual_bitop2_b32 v42, 7, v2 bitop3:0x40
; %bb.190:                              ;   in Loop: Header=BB193_9 Depth=1
	s_or_b32 exec_lo, exec_lo, s31
	s_delay_alu instid0(VALU_DEP_1) | instskip(NEXT) | instid1(VALU_DEP_2)
	v_dual_lshlrev_b32 v2, 24, v1 :: v_dual_lshlrev_b32 v3, 20, v42
	v_lshl_add_u32 v4, v96, 23, 0x3c000000
	s_delay_alu instid0(VALU_DEP_2) | instskip(NEXT) | instid1(VALU_DEP_1)
	v_and_b32_e32 v2, 0x80000000, v2
	v_or3_b32 v42, v3, v2, v4
	s_delay_alu instid0(VALU_DEP_1)
	v_mov_b64_e32 v[96:97], v[42:43]
.LBB193_191:                            ;   in Loop: Header=BB193_9 Depth=1
	s_or_b32 exec_lo, exec_lo, s30
.LBB193_192:                            ;   in Loop: Header=BB193_9 Depth=1
	s_delay_alu instid0(SALU_CYCLE_1)
	s_or_b32 exec_lo, exec_lo, s29
.LBB193_193:                            ;   in Loop: Header=BB193_9 Depth=1
	s_delay_alu instid0(SALU_CYCLE_1) | instskip(SKIP_2) | instid1(VALU_DEP_1)
	s_or_b32 exec_lo, exec_lo, s28
	v_lshrrev_b16 v42, 8, v1
	s_mov_b32 s28, exec_lo
	v_cmpx_ne_u16_e32 0, v42
	s_cbranch_execz .LBB193_201
; %bb.194:                              ;   in Loop: Header=BB193_9 Depth=1
	v_mov_b64_e32 v[94:95], 0x8000000000000000
	s_mov_b32 s29, exec_lo
	v_cmpx_ne_u16_e32 0x80, v42
	s_cbranch_execz .LBB193_200
; %bb.195:                              ;   in Loop: Header=BB193_9 Depth=1
	v_and_b32_e32 v2, 0xffff, v42
	v_mov_b64_e32 v[94:95], 0x7f80000100000000
	s_mov_b32 s30, exec_lo
	s_delay_alu instid0(VALU_DEP_2) | instskip(NEXT) | instid1(VALU_DEP_1)
	v_and_b32_e32 v98, 0x7f, v2
	v_cmpx_ne_u32_e32 0x7f, v98
	s_cbranch_execz .LBB193_199
; %bb.196:                              ;   in Loop: Header=BB193_9 Depth=1
	v_and_b32_e32 v42, 7, v2
	v_lshrrev_b32_e32 v94, 3, v98
	s_mov_b32 s31, exec_lo
	v_cmpx_gt_u32_e32 8, v98
; %bb.197:                              ;   in Loop: Header=BB193_9 Depth=1
	s_delay_alu instid0(VALU_DEP_3) | instskip(NEXT) | instid1(VALU_DEP_1)
	v_clz_i32_u32_e32 v2, v42
	v_min_u32_e32 v4, 32, v2
	s_delay_alu instid0(VALU_DEP_1) | instskip(NEXT) | instid1(VALU_DEP_1)
	v_subrev_nc_u32_e32 v2, 28, v4
	v_lshlrev_b64_e32 v[2:3], v2, v[42:43]
	s_delay_alu instid0(VALU_DEP_1)
	v_dual_sub_nc_u32 v94, 29, v4 :: v_dual_bitop2_b32 v42, 7, v2 bitop3:0x40
; %bb.198:                              ;   in Loop: Header=BB193_9 Depth=1
	s_or_b32 exec_lo, exec_lo, s31
	s_delay_alu instid0(VALU_DEP_1) | instskip(NEXT) | instid1(VALU_DEP_2)
	v_dual_lshlrev_b32 v1, 16, v1 :: v_dual_lshlrev_b32 v2, 20, v42
	v_lshl_add_u32 v3, v94, 23, 0x3c000000
	v_mov_b32_e32 v94, v43
	s_delay_alu instid0(VALU_DEP_3) | instskip(NEXT) | instid1(VALU_DEP_1)
	v_and_b32_e32 v1, 0x80000000, v1
	v_or3_b32 v95, v2, v1, v3
.LBB193_199:                            ;   in Loop: Header=BB193_9 Depth=1
	s_or_b32 exec_lo, exec_lo, s30
.LBB193_200:                            ;   in Loop: Header=BB193_9 Depth=1
	s_delay_alu instid0(SALU_CYCLE_1)
	s_or_b32 exec_lo, exec_lo, s29
.LBB193_201:                            ;   in Loop: Header=BB193_9 Depth=1
	s_delay_alu instid0(SALU_CYCLE_1)
	s_or_b32 exec_lo, exec_lo, s28
	global_load_u16 v1, v[56:57], off offset:768
	v_mov_b64_e32 v[98:99], 0
	v_mov_b64_e32 v[100:101], 0
	s_mov_b32 s28, exec_lo
	s_wait_loadcnt 0x0
	v_and_b32_e32 v2, 0xff, v1
	v_and_b32_e32 v1, 0xffff, v1
	s_wait_xcnt 0x0
	s_delay_alu instid0(VALU_DEP_2)
	v_cmpx_ne_u16_e32 0, v2
	s_cbranch_execz .LBB193_209
; %bb.202:                              ;   in Loop: Header=BB193_9 Depth=1
	v_mov_b64_e32 v[100:101], 0x80000000
	v_and_b32_e32 v2, 0xff, v1
	s_mov_b32 s29, exec_lo
	s_delay_alu instid0(VALU_DEP_1)
	v_cmpx_ne_u16_e32 0x80, v2
	s_cbranch_execz .LBB193_208
; %bb.203:                              ;   in Loop: Header=BB193_9 Depth=1
	v_mov_b64_e32 v[100:101], 0x7f800001
	v_and_b32_e32 v102, 0x7f, v1
	s_mov_b32 s30, exec_lo
	s_delay_alu instid0(VALU_DEP_1)
	v_cmpx_ne_u32_e32 0x7f, v102
	s_cbranch_execz .LBB193_207
; %bb.204:                              ;   in Loop: Header=BB193_9 Depth=1
	v_dual_lshrrev_b32 v100, 3, v102 :: v_dual_bitop2_b32 v42, 7, v1 bitop3:0x40
	s_mov_b32 s31, exec_lo
	v_cmpx_gt_u32_e32 8, v102
; %bb.205:                              ;   in Loop: Header=BB193_9 Depth=1
	s_delay_alu instid0(VALU_DEP_2) | instskip(NEXT) | instid1(VALU_DEP_1)
	v_clz_i32_u32_e32 v2, v42
	v_min_u32_e32 v4, 32, v2
	s_delay_alu instid0(VALU_DEP_1) | instskip(NEXT) | instid1(VALU_DEP_1)
	v_subrev_nc_u32_e32 v2, 28, v4
	v_lshlrev_b64_e32 v[2:3], v2, v[42:43]
	s_delay_alu instid0(VALU_DEP_1)
	v_dual_sub_nc_u32 v100, 29, v4 :: v_dual_bitop2_b32 v42, 7, v2 bitop3:0x40
; %bb.206:                              ;   in Loop: Header=BB193_9 Depth=1
	s_or_b32 exec_lo, exec_lo, s31
	s_delay_alu instid0(VALU_DEP_1) | instskip(NEXT) | instid1(VALU_DEP_2)
	v_dual_lshlrev_b32 v2, 24, v1 :: v_dual_lshlrev_b32 v3, 20, v42
	v_lshl_add_u32 v4, v100, 23, 0x3c000000
	s_delay_alu instid0(VALU_DEP_2) | instskip(NEXT) | instid1(VALU_DEP_1)
	v_and_b32_e32 v2, 0x80000000, v2
	v_or3_b32 v42, v3, v2, v4
	s_delay_alu instid0(VALU_DEP_1)
	v_mov_b64_e32 v[100:101], v[42:43]
.LBB193_207:                            ;   in Loop: Header=BB193_9 Depth=1
	s_or_b32 exec_lo, exec_lo, s30
.LBB193_208:                            ;   in Loop: Header=BB193_9 Depth=1
	s_delay_alu instid0(SALU_CYCLE_1)
	s_or_b32 exec_lo, exec_lo, s29
.LBB193_209:                            ;   in Loop: Header=BB193_9 Depth=1
	s_delay_alu instid0(SALU_CYCLE_1) | instskip(SKIP_2) | instid1(VALU_DEP_1)
	s_or_b32 exec_lo, exec_lo, s28
	v_lshrrev_b16 v42, 8, v1
	s_mov_b32 s28, exec_lo
	v_cmpx_ne_u16_e32 0, v42
	s_cbranch_execz .LBB193_217
; %bb.210:                              ;   in Loop: Header=BB193_9 Depth=1
	v_mov_b64_e32 v[98:99], 0x8000000000000000
	s_mov_b32 s29, exec_lo
	v_cmpx_ne_u16_e32 0x80, v42
	s_cbranch_execz .LBB193_216
; %bb.211:                              ;   in Loop: Header=BB193_9 Depth=1
	v_and_b32_e32 v2, 0xffff, v42
	v_mov_b64_e32 v[98:99], 0x7f80000100000000
	s_mov_b32 s30, exec_lo
	s_delay_alu instid0(VALU_DEP_2) | instskip(NEXT) | instid1(VALU_DEP_1)
	v_and_b32_e32 v102, 0x7f, v2
	v_cmpx_ne_u32_e32 0x7f, v102
	s_cbranch_execz .LBB193_215
; %bb.212:                              ;   in Loop: Header=BB193_9 Depth=1
	v_and_b32_e32 v42, 7, v2
	v_lshrrev_b32_e32 v98, 3, v102
	s_mov_b32 s31, exec_lo
	v_cmpx_gt_u32_e32 8, v102
; %bb.213:                              ;   in Loop: Header=BB193_9 Depth=1
	s_delay_alu instid0(VALU_DEP_3) | instskip(NEXT) | instid1(VALU_DEP_1)
	v_clz_i32_u32_e32 v2, v42
	v_min_u32_e32 v4, 32, v2
	s_delay_alu instid0(VALU_DEP_1) | instskip(NEXT) | instid1(VALU_DEP_1)
	v_subrev_nc_u32_e32 v2, 28, v4
	v_lshlrev_b64_e32 v[2:3], v2, v[42:43]
	s_delay_alu instid0(VALU_DEP_1)
	v_dual_sub_nc_u32 v98, 29, v4 :: v_dual_bitop2_b32 v42, 7, v2 bitop3:0x40
; %bb.214:                              ;   in Loop: Header=BB193_9 Depth=1
	s_or_b32 exec_lo, exec_lo, s31
	s_delay_alu instid0(VALU_DEP_1) | instskip(NEXT) | instid1(VALU_DEP_2)
	v_dual_lshlrev_b32 v1, 16, v1 :: v_dual_lshlrev_b32 v2, 20, v42
	v_lshl_add_u32 v3, v98, 23, 0x3c000000
	v_mov_b32_e32 v98, v43
	s_delay_alu instid0(VALU_DEP_3) | instskip(NEXT) | instid1(VALU_DEP_1)
	v_and_b32_e32 v1, 0x80000000, v1
	v_or3_b32 v99, v2, v1, v3
.LBB193_215:                            ;   in Loop: Header=BB193_9 Depth=1
	s_or_b32 exec_lo, exec_lo, s30
.LBB193_216:                            ;   in Loop: Header=BB193_9 Depth=1
	s_delay_alu instid0(SALU_CYCLE_1)
	s_or_b32 exec_lo, exec_lo, s29
.LBB193_217:                            ;   in Loop: Header=BB193_9 Depth=1
	s_delay_alu instid0(SALU_CYCLE_1)
	s_or_b32 exec_lo, exec_lo, s28
	global_load_u16 v1, v[56:57], off offset:772
	v_mov_b64_e32 v[102:103], 0
	v_mov_b64_e32 v[104:105], 0
	s_mov_b32 s28, exec_lo
	s_wait_loadcnt 0x0
	v_and_b32_e32 v2, 0xff, v1
	v_and_b32_e32 v1, 0xffff, v1
	s_wait_xcnt 0x0
	s_delay_alu instid0(VALU_DEP_2)
	v_cmpx_ne_u16_e32 0, v2
	s_cbranch_execz .LBB193_225
; %bb.218:                              ;   in Loop: Header=BB193_9 Depth=1
	v_mov_b64_e32 v[104:105], 0x80000000
	v_and_b32_e32 v2, 0xff, v1
	s_mov_b32 s29, exec_lo
	s_delay_alu instid0(VALU_DEP_1)
	v_cmpx_ne_u16_e32 0x80, v2
	s_cbranch_execz .LBB193_224
; %bb.219:                              ;   in Loop: Header=BB193_9 Depth=1
	v_mov_b64_e32 v[104:105], 0x7f800001
	v_and_b32_e32 v106, 0x7f, v1
	s_mov_b32 s30, exec_lo
	s_delay_alu instid0(VALU_DEP_1)
	v_cmpx_ne_u32_e32 0x7f, v106
	s_cbranch_execz .LBB193_223
; %bb.220:                              ;   in Loop: Header=BB193_9 Depth=1
	v_dual_lshrrev_b32 v104, 3, v106 :: v_dual_bitop2_b32 v42, 7, v1 bitop3:0x40
	s_mov_b32 s31, exec_lo
	v_cmpx_gt_u32_e32 8, v106
; %bb.221:                              ;   in Loop: Header=BB193_9 Depth=1
	s_delay_alu instid0(VALU_DEP_2) | instskip(NEXT) | instid1(VALU_DEP_1)
	v_clz_i32_u32_e32 v2, v42
	v_min_u32_e32 v4, 32, v2
	s_delay_alu instid0(VALU_DEP_1) | instskip(NEXT) | instid1(VALU_DEP_1)
	v_subrev_nc_u32_e32 v2, 28, v4
	v_lshlrev_b64_e32 v[2:3], v2, v[42:43]
	s_delay_alu instid0(VALU_DEP_1)
	v_dual_sub_nc_u32 v104, 29, v4 :: v_dual_bitop2_b32 v42, 7, v2 bitop3:0x40
; %bb.222:                              ;   in Loop: Header=BB193_9 Depth=1
	s_or_b32 exec_lo, exec_lo, s31
	s_delay_alu instid0(VALU_DEP_1) | instskip(NEXT) | instid1(VALU_DEP_2)
	v_dual_lshlrev_b32 v2, 24, v1 :: v_dual_lshlrev_b32 v3, 20, v42
	v_lshl_add_u32 v4, v104, 23, 0x3c000000
	s_delay_alu instid0(VALU_DEP_2) | instskip(NEXT) | instid1(VALU_DEP_1)
	v_and_b32_e32 v2, 0x80000000, v2
	v_or3_b32 v42, v3, v2, v4
	s_delay_alu instid0(VALU_DEP_1)
	v_mov_b64_e32 v[104:105], v[42:43]
.LBB193_223:                            ;   in Loop: Header=BB193_9 Depth=1
	s_or_b32 exec_lo, exec_lo, s30
.LBB193_224:                            ;   in Loop: Header=BB193_9 Depth=1
	s_delay_alu instid0(SALU_CYCLE_1)
	s_or_b32 exec_lo, exec_lo, s29
.LBB193_225:                            ;   in Loop: Header=BB193_9 Depth=1
	s_delay_alu instid0(SALU_CYCLE_1) | instskip(SKIP_2) | instid1(VALU_DEP_1)
	s_or_b32 exec_lo, exec_lo, s28
	v_lshrrev_b16 v42, 8, v1
	s_mov_b32 s28, exec_lo
	v_cmpx_ne_u16_e32 0, v42
	s_cbranch_execz .LBB193_233
; %bb.226:                              ;   in Loop: Header=BB193_9 Depth=1
	v_mov_b64_e32 v[102:103], 0x8000000000000000
	s_mov_b32 s29, exec_lo
	v_cmpx_ne_u16_e32 0x80, v42
	s_cbranch_execz .LBB193_232
; %bb.227:                              ;   in Loop: Header=BB193_9 Depth=1
	v_and_b32_e32 v2, 0xffff, v42
	v_mov_b64_e32 v[102:103], 0x7f80000100000000
	s_mov_b32 s30, exec_lo
	s_delay_alu instid0(VALU_DEP_2) | instskip(NEXT) | instid1(VALU_DEP_1)
	v_and_b32_e32 v106, 0x7f, v2
	v_cmpx_ne_u32_e32 0x7f, v106
	s_cbranch_execz .LBB193_231
; %bb.228:                              ;   in Loop: Header=BB193_9 Depth=1
	v_and_b32_e32 v42, 7, v2
	v_lshrrev_b32_e32 v102, 3, v106
	s_mov_b32 s31, exec_lo
	v_cmpx_gt_u32_e32 8, v106
; %bb.229:                              ;   in Loop: Header=BB193_9 Depth=1
	s_delay_alu instid0(VALU_DEP_3) | instskip(NEXT) | instid1(VALU_DEP_1)
	v_clz_i32_u32_e32 v2, v42
	v_min_u32_e32 v4, 32, v2
	s_delay_alu instid0(VALU_DEP_1) | instskip(NEXT) | instid1(VALU_DEP_1)
	v_subrev_nc_u32_e32 v2, 28, v4
	v_lshlrev_b64_e32 v[2:3], v2, v[42:43]
	s_delay_alu instid0(VALU_DEP_1)
	v_dual_sub_nc_u32 v102, 29, v4 :: v_dual_bitop2_b32 v42, 7, v2 bitop3:0x40
; %bb.230:                              ;   in Loop: Header=BB193_9 Depth=1
	s_or_b32 exec_lo, exec_lo, s31
	s_delay_alu instid0(VALU_DEP_1) | instskip(NEXT) | instid1(VALU_DEP_2)
	v_dual_lshlrev_b32 v1, 16, v1 :: v_dual_lshlrev_b32 v2, 20, v42
	v_lshl_add_u32 v3, v102, 23, 0x3c000000
	v_mov_b32_e32 v102, v43
	s_delay_alu instid0(VALU_DEP_3) | instskip(NEXT) | instid1(VALU_DEP_1)
	v_and_b32_e32 v1, 0x80000000, v1
	v_or3_b32 v103, v2, v1, v3
.LBB193_231:                            ;   in Loop: Header=BB193_9 Depth=1
	s_or_b32 exec_lo, exec_lo, s30
.LBB193_232:                            ;   in Loop: Header=BB193_9 Depth=1
	s_delay_alu instid0(SALU_CYCLE_1)
	s_or_b32 exec_lo, exec_lo, s29
.LBB193_233:                            ;   in Loop: Header=BB193_9 Depth=1
	s_delay_alu instid0(SALU_CYCLE_1)
	s_or_b32 exec_lo, exec_lo, s28
	global_load_u16 v1, v[56:57], off offset:776
	v_mov_b64_e32 v[106:107], 0
	v_mov_b64_e32 v[108:109], 0
	s_mov_b32 s28, exec_lo
	s_wait_loadcnt 0x0
	v_and_b32_e32 v2, 0xff, v1
	v_and_b32_e32 v1, 0xffff, v1
	s_wait_xcnt 0x0
	s_delay_alu instid0(VALU_DEP_2)
	v_cmpx_ne_u16_e32 0, v2
	s_cbranch_execz .LBB193_241
; %bb.234:                              ;   in Loop: Header=BB193_9 Depth=1
	v_mov_b64_e32 v[108:109], 0x80000000
	v_and_b32_e32 v2, 0xff, v1
	s_mov_b32 s29, exec_lo
	s_delay_alu instid0(VALU_DEP_1)
	v_cmpx_ne_u16_e32 0x80, v2
	s_cbranch_execz .LBB193_240
; %bb.235:                              ;   in Loop: Header=BB193_9 Depth=1
	v_mov_b64_e32 v[108:109], 0x7f800001
	v_and_b32_e32 v110, 0x7f, v1
	s_mov_b32 s30, exec_lo
	s_delay_alu instid0(VALU_DEP_1)
	v_cmpx_ne_u32_e32 0x7f, v110
	s_cbranch_execz .LBB193_239
; %bb.236:                              ;   in Loop: Header=BB193_9 Depth=1
	v_dual_lshrrev_b32 v108, 3, v110 :: v_dual_bitop2_b32 v42, 7, v1 bitop3:0x40
	s_mov_b32 s31, exec_lo
	v_cmpx_gt_u32_e32 8, v110
; %bb.237:                              ;   in Loop: Header=BB193_9 Depth=1
	s_delay_alu instid0(VALU_DEP_2) | instskip(NEXT) | instid1(VALU_DEP_1)
	v_clz_i32_u32_e32 v2, v42
	v_min_u32_e32 v4, 32, v2
	s_delay_alu instid0(VALU_DEP_1) | instskip(NEXT) | instid1(VALU_DEP_1)
	v_subrev_nc_u32_e32 v2, 28, v4
	v_lshlrev_b64_e32 v[2:3], v2, v[42:43]
	s_delay_alu instid0(VALU_DEP_1)
	v_dual_sub_nc_u32 v108, 29, v4 :: v_dual_bitop2_b32 v42, 7, v2 bitop3:0x40
; %bb.238:                              ;   in Loop: Header=BB193_9 Depth=1
	s_or_b32 exec_lo, exec_lo, s31
	s_delay_alu instid0(VALU_DEP_1) | instskip(NEXT) | instid1(VALU_DEP_2)
	v_dual_lshlrev_b32 v2, 24, v1 :: v_dual_lshlrev_b32 v3, 20, v42
	v_lshl_add_u32 v4, v108, 23, 0x3c000000
	s_delay_alu instid0(VALU_DEP_2) | instskip(NEXT) | instid1(VALU_DEP_1)
	v_and_b32_e32 v2, 0x80000000, v2
	v_or3_b32 v42, v3, v2, v4
	s_delay_alu instid0(VALU_DEP_1)
	v_mov_b64_e32 v[108:109], v[42:43]
.LBB193_239:                            ;   in Loop: Header=BB193_9 Depth=1
	s_or_b32 exec_lo, exec_lo, s30
.LBB193_240:                            ;   in Loop: Header=BB193_9 Depth=1
	s_delay_alu instid0(SALU_CYCLE_1)
	s_or_b32 exec_lo, exec_lo, s29
.LBB193_241:                            ;   in Loop: Header=BB193_9 Depth=1
	s_delay_alu instid0(SALU_CYCLE_1) | instskip(SKIP_2) | instid1(VALU_DEP_1)
	s_or_b32 exec_lo, exec_lo, s28
	v_lshrrev_b16 v42, 8, v1
	s_mov_b32 s28, exec_lo
	v_cmpx_ne_u16_e32 0, v42
	s_cbranch_execz .LBB193_249
; %bb.242:                              ;   in Loop: Header=BB193_9 Depth=1
	v_mov_b64_e32 v[106:107], 0x8000000000000000
	s_mov_b32 s29, exec_lo
	v_cmpx_ne_u16_e32 0x80, v42
	s_cbranch_execz .LBB193_248
; %bb.243:                              ;   in Loop: Header=BB193_9 Depth=1
	v_and_b32_e32 v2, 0xffff, v42
	v_mov_b64_e32 v[106:107], 0x7f80000100000000
	s_mov_b32 s30, exec_lo
	s_delay_alu instid0(VALU_DEP_2) | instskip(NEXT) | instid1(VALU_DEP_1)
	v_and_b32_e32 v110, 0x7f, v2
	v_cmpx_ne_u32_e32 0x7f, v110
	s_cbranch_execz .LBB193_247
; %bb.244:                              ;   in Loop: Header=BB193_9 Depth=1
	v_and_b32_e32 v42, 7, v2
	v_lshrrev_b32_e32 v106, 3, v110
	s_mov_b32 s31, exec_lo
	v_cmpx_gt_u32_e32 8, v110
; %bb.245:                              ;   in Loop: Header=BB193_9 Depth=1
	s_delay_alu instid0(VALU_DEP_3) | instskip(NEXT) | instid1(VALU_DEP_1)
	v_clz_i32_u32_e32 v2, v42
	v_min_u32_e32 v4, 32, v2
	s_delay_alu instid0(VALU_DEP_1) | instskip(NEXT) | instid1(VALU_DEP_1)
	v_subrev_nc_u32_e32 v2, 28, v4
	v_lshlrev_b64_e32 v[2:3], v2, v[42:43]
	s_delay_alu instid0(VALU_DEP_1)
	v_dual_sub_nc_u32 v106, 29, v4 :: v_dual_bitop2_b32 v42, 7, v2 bitop3:0x40
; %bb.246:                              ;   in Loop: Header=BB193_9 Depth=1
	s_or_b32 exec_lo, exec_lo, s31
	s_delay_alu instid0(VALU_DEP_1) | instskip(NEXT) | instid1(VALU_DEP_2)
	v_dual_lshlrev_b32 v1, 16, v1 :: v_dual_lshlrev_b32 v2, 20, v42
	v_lshl_add_u32 v3, v106, 23, 0x3c000000
	v_mov_b32_e32 v106, v43
	s_delay_alu instid0(VALU_DEP_3) | instskip(NEXT) | instid1(VALU_DEP_1)
	v_and_b32_e32 v1, 0x80000000, v1
	v_or3_b32 v107, v2, v1, v3
.LBB193_247:                            ;   in Loop: Header=BB193_9 Depth=1
	s_or_b32 exec_lo, exec_lo, s30
.LBB193_248:                            ;   in Loop: Header=BB193_9 Depth=1
	s_delay_alu instid0(SALU_CYCLE_1)
	s_or_b32 exec_lo, exec_lo, s29
.LBB193_249:                            ;   in Loop: Header=BB193_9 Depth=1
	s_delay_alu instid0(SALU_CYCLE_1)
	s_or_b32 exec_lo, exec_lo, s28
	global_load_u16 v1, v[56:57], off offset:780
	v_mov_b64_e32 v[110:111], 0
	v_mov_b64_e32 v[112:113], 0
	s_mov_b32 s28, exec_lo
	s_wait_loadcnt 0x0
	v_and_b32_e32 v2, 0xff, v1
	v_and_b32_e32 v1, 0xffff, v1
	s_wait_xcnt 0x0
	s_delay_alu instid0(VALU_DEP_2)
	v_cmpx_ne_u16_e32 0, v2
	s_cbranch_execz .LBB193_257
; %bb.250:                              ;   in Loop: Header=BB193_9 Depth=1
	v_mov_b64_e32 v[112:113], 0x80000000
	v_and_b32_e32 v2, 0xff, v1
	s_mov_b32 s29, exec_lo
	s_delay_alu instid0(VALU_DEP_1)
	v_cmpx_ne_u16_e32 0x80, v2
	s_cbranch_execz .LBB193_256
; %bb.251:                              ;   in Loop: Header=BB193_9 Depth=1
	v_mov_b64_e32 v[112:113], 0x7f800001
	v_and_b32_e32 v114, 0x7f, v1
	s_mov_b32 s30, exec_lo
	s_delay_alu instid0(VALU_DEP_1)
	v_cmpx_ne_u32_e32 0x7f, v114
	s_cbranch_execz .LBB193_255
; %bb.252:                              ;   in Loop: Header=BB193_9 Depth=1
	v_dual_lshrrev_b32 v112, 3, v114 :: v_dual_bitop2_b32 v42, 7, v1 bitop3:0x40
	s_mov_b32 s31, exec_lo
	v_cmpx_gt_u32_e32 8, v114
; %bb.253:                              ;   in Loop: Header=BB193_9 Depth=1
	s_delay_alu instid0(VALU_DEP_2) | instskip(NEXT) | instid1(VALU_DEP_1)
	v_clz_i32_u32_e32 v2, v42
	v_min_u32_e32 v4, 32, v2
	s_delay_alu instid0(VALU_DEP_1) | instskip(NEXT) | instid1(VALU_DEP_1)
	v_subrev_nc_u32_e32 v2, 28, v4
	v_lshlrev_b64_e32 v[2:3], v2, v[42:43]
	s_delay_alu instid0(VALU_DEP_1)
	v_dual_sub_nc_u32 v112, 29, v4 :: v_dual_bitop2_b32 v42, 7, v2 bitop3:0x40
; %bb.254:                              ;   in Loop: Header=BB193_9 Depth=1
	s_or_b32 exec_lo, exec_lo, s31
	s_delay_alu instid0(VALU_DEP_1) | instskip(NEXT) | instid1(VALU_DEP_2)
	v_dual_lshlrev_b32 v2, 24, v1 :: v_dual_lshlrev_b32 v3, 20, v42
	v_lshl_add_u32 v4, v112, 23, 0x3c000000
	s_delay_alu instid0(VALU_DEP_2) | instskip(NEXT) | instid1(VALU_DEP_1)
	v_and_b32_e32 v2, 0x80000000, v2
	v_or3_b32 v42, v3, v2, v4
	s_delay_alu instid0(VALU_DEP_1)
	v_mov_b64_e32 v[112:113], v[42:43]
.LBB193_255:                            ;   in Loop: Header=BB193_9 Depth=1
	s_or_b32 exec_lo, exec_lo, s30
.LBB193_256:                            ;   in Loop: Header=BB193_9 Depth=1
	s_delay_alu instid0(SALU_CYCLE_1)
	s_or_b32 exec_lo, exec_lo, s29
.LBB193_257:                            ;   in Loop: Header=BB193_9 Depth=1
	s_delay_alu instid0(SALU_CYCLE_1) | instskip(SKIP_2) | instid1(VALU_DEP_1)
	s_or_b32 exec_lo, exec_lo, s28
	v_lshrrev_b16 v42, 8, v1
	s_mov_b32 s28, exec_lo
	v_cmpx_ne_u16_e32 0, v42
	s_cbranch_execz .LBB193_265
; %bb.258:                              ;   in Loop: Header=BB193_9 Depth=1
	v_mov_b64_e32 v[110:111], 0x8000000000000000
	s_mov_b32 s29, exec_lo
	v_cmpx_ne_u16_e32 0x80, v42
	s_cbranch_execz .LBB193_264
; %bb.259:                              ;   in Loop: Header=BB193_9 Depth=1
	v_and_b32_e32 v2, 0xffff, v42
	v_mov_b64_e32 v[110:111], 0x7f80000100000000
	s_mov_b32 s30, exec_lo
	s_delay_alu instid0(VALU_DEP_2) | instskip(NEXT) | instid1(VALU_DEP_1)
	v_and_b32_e32 v114, 0x7f, v2
	v_cmpx_ne_u32_e32 0x7f, v114
	s_cbranch_execz .LBB193_263
; %bb.260:                              ;   in Loop: Header=BB193_9 Depth=1
	v_and_b32_e32 v42, 7, v2
	v_lshrrev_b32_e32 v110, 3, v114
	s_mov_b32 s31, exec_lo
	v_cmpx_gt_u32_e32 8, v114
; %bb.261:                              ;   in Loop: Header=BB193_9 Depth=1
	s_delay_alu instid0(VALU_DEP_3) | instskip(NEXT) | instid1(VALU_DEP_1)
	v_clz_i32_u32_e32 v2, v42
	v_min_u32_e32 v4, 32, v2
	s_delay_alu instid0(VALU_DEP_1) | instskip(NEXT) | instid1(VALU_DEP_1)
	v_subrev_nc_u32_e32 v2, 28, v4
	v_lshlrev_b64_e32 v[2:3], v2, v[42:43]
	s_delay_alu instid0(VALU_DEP_1)
	v_dual_sub_nc_u32 v110, 29, v4 :: v_dual_bitop2_b32 v42, 7, v2 bitop3:0x40
; %bb.262:                              ;   in Loop: Header=BB193_9 Depth=1
	s_or_b32 exec_lo, exec_lo, s31
	s_delay_alu instid0(VALU_DEP_1) | instskip(NEXT) | instid1(VALU_DEP_2)
	v_dual_lshlrev_b32 v1, 16, v1 :: v_dual_lshlrev_b32 v2, 20, v42
	v_lshl_add_u32 v3, v110, 23, 0x3c000000
	v_mov_b32_e32 v110, v43
	s_delay_alu instid0(VALU_DEP_3) | instskip(NEXT) | instid1(VALU_DEP_1)
	v_and_b32_e32 v1, 0x80000000, v1
	v_or3_b32 v111, v2, v1, v3
.LBB193_263:                            ;   in Loop: Header=BB193_9 Depth=1
	s_or_b32 exec_lo, exec_lo, s30
.LBB193_264:                            ;   in Loop: Header=BB193_9 Depth=1
	s_delay_alu instid0(SALU_CYCLE_1)
	s_or_b32 exec_lo, exec_lo, s29
.LBB193_265:                            ;   in Loop: Header=BB193_9 Depth=1
	s_delay_alu instid0(SALU_CYCLE_1)
	s_or_b32 exec_lo, exec_lo, s28
	global_load_u16 v2, v[56:57], off offset:1024
	v_mov_b64_e32 v[114:115], 0
	v_mov_b64_e32 v[116:117], 0
	s_mov_b32 s28, exec_lo
	s_wait_loadcnt 0x0
	v_and_b32_e32 v1, 0xffff, v2
	v_and_b32_e32 v2, 0xff, v2
	s_wait_xcnt 0x0
	s_delay_alu instid0(VALU_DEP_1)
	v_cmpx_ne_u16_e32 0, v2
	s_cbranch_execz .LBB193_273
; %bb.266:                              ;   in Loop: Header=BB193_9 Depth=1
	v_mov_b64_e32 v[116:117], 0x80000000
	v_and_b32_e32 v2, 0xff, v1
	s_mov_b32 s29, exec_lo
	s_delay_alu instid0(VALU_DEP_1)
	v_cmpx_ne_u16_e32 0x80, v2
	s_cbranch_execz .LBB193_272
; %bb.267:                              ;   in Loop: Header=BB193_9 Depth=1
	v_mov_b64_e32 v[116:117], 0x7f800001
	v_and_b32_e32 v118, 0x7f, v1
	s_mov_b32 s30, exec_lo
	s_delay_alu instid0(VALU_DEP_1)
	v_cmpx_ne_u32_e32 0x7f, v118
	s_cbranch_execz .LBB193_271
; %bb.268:                              ;   in Loop: Header=BB193_9 Depth=1
	v_dual_lshrrev_b32 v116, 3, v118 :: v_dual_bitop2_b32 v42, 7, v1 bitop3:0x40
	s_mov_b32 s31, exec_lo
	v_cmpx_gt_u32_e32 8, v118
; %bb.269:                              ;   in Loop: Header=BB193_9 Depth=1
	s_delay_alu instid0(VALU_DEP_2) | instskip(NEXT) | instid1(VALU_DEP_1)
	v_clz_i32_u32_e32 v2, v42
	v_min_u32_e32 v4, 32, v2
	s_delay_alu instid0(VALU_DEP_1) | instskip(NEXT) | instid1(VALU_DEP_1)
	v_subrev_nc_u32_e32 v2, 28, v4
	v_lshlrev_b64_e32 v[2:3], v2, v[42:43]
	s_delay_alu instid0(VALU_DEP_1)
	v_dual_sub_nc_u32 v116, 29, v4 :: v_dual_bitop2_b32 v42, 7, v2 bitop3:0x40
; %bb.270:                              ;   in Loop: Header=BB193_9 Depth=1
	s_or_b32 exec_lo, exec_lo, s31
	s_delay_alu instid0(VALU_DEP_1) | instskip(NEXT) | instid1(VALU_DEP_2)
	v_dual_lshlrev_b32 v2, 24, v1 :: v_dual_lshlrev_b32 v3, 20, v42
	v_lshl_add_u32 v4, v116, 23, 0x3c000000
	s_delay_alu instid0(VALU_DEP_2) | instskip(NEXT) | instid1(VALU_DEP_1)
	v_and_b32_e32 v2, 0x80000000, v2
	v_or3_b32 v42, v3, v2, v4
	s_delay_alu instid0(VALU_DEP_1)
	v_mov_b64_e32 v[116:117], v[42:43]
.LBB193_271:                            ;   in Loop: Header=BB193_9 Depth=1
	s_or_b32 exec_lo, exec_lo, s30
.LBB193_272:                            ;   in Loop: Header=BB193_9 Depth=1
	s_delay_alu instid0(SALU_CYCLE_1)
	s_or_b32 exec_lo, exec_lo, s29
.LBB193_273:                            ;   in Loop: Header=BB193_9 Depth=1
	s_delay_alu instid0(SALU_CYCLE_1) | instskip(SKIP_2) | instid1(VALU_DEP_1)
	s_or_b32 exec_lo, exec_lo, s28
	v_lshrrev_b16 v42, 8, v1
	s_mov_b32 s28, exec_lo
	v_cmpx_ne_u16_e32 0, v42
	s_cbranch_execz .LBB193_281
; %bb.274:                              ;   in Loop: Header=BB193_9 Depth=1
	v_mov_b64_e32 v[114:115], 0x8000000000000000
	s_mov_b32 s29, exec_lo
	v_cmpx_ne_u16_e32 0x80, v42
	s_cbranch_execz .LBB193_280
; %bb.275:                              ;   in Loop: Header=BB193_9 Depth=1
	v_and_b32_e32 v2, 0xffff, v42
	v_mov_b64_e32 v[114:115], 0x7f80000100000000
	s_mov_b32 s30, exec_lo
	s_delay_alu instid0(VALU_DEP_2) | instskip(NEXT) | instid1(VALU_DEP_1)
	v_and_b32_e32 v118, 0x7f, v2
	v_cmpx_ne_u32_e32 0x7f, v118
	s_cbranch_execz .LBB193_279
; %bb.276:                              ;   in Loop: Header=BB193_9 Depth=1
	v_and_b32_e32 v42, 7, v2
	v_lshrrev_b32_e32 v114, 3, v118
	s_mov_b32 s31, exec_lo
	v_cmpx_gt_u32_e32 8, v118
; %bb.277:                              ;   in Loop: Header=BB193_9 Depth=1
	s_delay_alu instid0(VALU_DEP_3) | instskip(NEXT) | instid1(VALU_DEP_1)
	v_clz_i32_u32_e32 v2, v42
	v_min_u32_e32 v4, 32, v2
	s_delay_alu instid0(VALU_DEP_1) | instskip(NEXT) | instid1(VALU_DEP_1)
	v_subrev_nc_u32_e32 v2, 28, v4
	v_lshlrev_b64_e32 v[2:3], v2, v[42:43]
	s_delay_alu instid0(VALU_DEP_1)
	v_dual_sub_nc_u32 v114, 29, v4 :: v_dual_bitop2_b32 v42, 7, v2 bitop3:0x40
; %bb.278:                              ;   in Loop: Header=BB193_9 Depth=1
	s_or_b32 exec_lo, exec_lo, s31
	s_delay_alu instid0(VALU_DEP_1) | instskip(NEXT) | instid1(VALU_DEP_2)
	v_dual_lshlrev_b32 v1, 16, v1 :: v_dual_lshlrev_b32 v2, 20, v42
	v_lshl_add_u32 v3, v114, 23, 0x3c000000
	v_mov_b32_e32 v114, v43
	s_delay_alu instid0(VALU_DEP_3) | instskip(NEXT) | instid1(VALU_DEP_1)
	v_and_b32_e32 v1, 0x80000000, v1
	v_or3_b32 v115, v2, v1, v3
.LBB193_279:                            ;   in Loop: Header=BB193_9 Depth=1
	s_or_b32 exec_lo, exec_lo, s30
.LBB193_280:                            ;   in Loop: Header=BB193_9 Depth=1
	s_delay_alu instid0(SALU_CYCLE_1)
	s_or_b32 exec_lo, exec_lo, s29
.LBB193_281:                            ;   in Loop: Header=BB193_9 Depth=1
	s_delay_alu instid0(SALU_CYCLE_1)
	s_or_b32 exec_lo, exec_lo, s28
	global_load_u16 v1, v[56:57], off offset:1028
	v_mov_b64_e32 v[118:119], 0
	v_mov_b64_e32 v[120:121], 0
	s_mov_b32 s28, exec_lo
	s_wait_loadcnt 0x0
	v_and_b32_e32 v122, 0xffff, v1
	v_and_b32_e32 v1, 0xff, v1
	s_wait_xcnt 0x0
	s_delay_alu instid0(VALU_DEP_1)
	v_cmpx_ne_u16_e32 0, v1
	s_cbranch_execz .LBB193_289
; %bb.282:                              ;   in Loop: Header=BB193_9 Depth=1
	v_mov_b64_e32 v[120:121], 0x80000000
	v_and_b32_e32 v1, 0xff, v122
	s_mov_b32 s29, exec_lo
	s_delay_alu instid0(VALU_DEP_1)
	v_cmpx_ne_u16_e32 0x80, v1
	s_cbranch_execz .LBB193_288
; %bb.283:                              ;   in Loop: Header=BB193_9 Depth=1
	v_mov_b64_e32 v[120:121], 0x7f800001
	v_and_b32_e32 v123, 0x7f, v122
	s_mov_b32 s30, exec_lo
	s_delay_alu instid0(VALU_DEP_1)
	v_cmpx_ne_u32_e32 0x7f, v123
	s_cbranch_execz .LBB193_287
; %bb.284:                              ;   in Loop: Header=BB193_9 Depth=1
	v_dual_lshrrev_b32 v1, 3, v123 :: v_dual_bitop2_b32 v42, 7, v122 bitop3:0x40
	s_mov_b32 s31, exec_lo
	v_cmpx_gt_u32_e32 8, v123
; %bb.285:                              ;   in Loop: Header=BB193_9 Depth=1
	s_delay_alu instid0(VALU_DEP_2) | instskip(NEXT) | instid1(VALU_DEP_1)
	v_clz_i32_u32_e32 v1, v42
	v_min_u32_e32 v1, 32, v1
	s_delay_alu instid0(VALU_DEP_1) | instskip(NEXT) | instid1(VALU_DEP_1)
	v_subrev_nc_u32_e32 v2, 28, v1
	v_lshlrev_b64_e32 v[2:3], v2, v[42:43]
	s_delay_alu instid0(VALU_DEP_1)
	v_dual_sub_nc_u32 v1, 29, v1 :: v_dual_bitop2_b32 v42, 7, v2 bitop3:0x40
; %bb.286:                              ;   in Loop: Header=BB193_9 Depth=1
	s_or_b32 exec_lo, exec_lo, s31
	v_lshlrev_b32_e32 v2, 24, v122
	s_delay_alu instid0(VALU_DEP_2) | instskip(NEXT) | instid1(VALU_DEP_3)
	v_lshlrev_b32_e32 v3, 20, v42
	v_lshl_add_u32 v1, v1, 23, 0x3c000000
	s_delay_alu instid0(VALU_DEP_3) | instskip(NEXT) | instid1(VALU_DEP_1)
	v_and_b32_e32 v2, 0x80000000, v2
	v_or3_b32 v42, v3, v2, v1
	s_delay_alu instid0(VALU_DEP_1)
	v_mov_b64_e32 v[120:121], v[42:43]
.LBB193_287:                            ;   in Loop: Header=BB193_9 Depth=1
	s_or_b32 exec_lo, exec_lo, s30
.LBB193_288:                            ;   in Loop: Header=BB193_9 Depth=1
	s_delay_alu instid0(SALU_CYCLE_1)
	s_or_b32 exec_lo, exec_lo, s29
.LBB193_289:                            ;   in Loop: Header=BB193_9 Depth=1
	s_delay_alu instid0(SALU_CYCLE_1) | instskip(SKIP_2) | instid1(VALU_DEP_1)
	s_or_b32 exec_lo, exec_lo, s28
	v_lshrrev_b16 v1, 8, v122
	s_mov_b32 s28, exec_lo
	v_cmpx_ne_u16_e32 0, v1
	s_cbranch_execz .LBB193_297
; %bb.290:                              ;   in Loop: Header=BB193_9 Depth=1
	v_mov_b64_e32 v[118:119], 0x8000000000000000
	s_mov_b32 s29, exec_lo
	v_cmpx_ne_u16_e32 0x80, v1
	s_cbranch_execz .LBB193_296
; %bb.291:                              ;   in Loop: Header=BB193_9 Depth=1
	v_and_b32_e32 v1, 0xffff, v1
	v_mov_b64_e32 v[118:119], 0x7f80000100000000
	s_mov_b32 s30, exec_lo
	s_delay_alu instid0(VALU_DEP_2) | instskip(NEXT) | instid1(VALU_DEP_1)
	v_and_b32_e32 v123, 0x7f, v1
	v_cmpx_ne_u32_e32 0x7f, v123
	s_cbranch_execz .LBB193_295
; %bb.292:                              ;   in Loop: Header=BB193_9 Depth=1
	v_dual_lshrrev_b32 v1, 3, v123 :: v_dual_bitop2_b32 v42, 7, v1 bitop3:0x40
	s_mov_b32 s31, exec_lo
	v_cmpx_gt_u32_e32 8, v123
; %bb.293:                              ;   in Loop: Header=BB193_9 Depth=1
	s_delay_alu instid0(VALU_DEP_2) | instskip(NEXT) | instid1(VALU_DEP_1)
	v_clz_i32_u32_e32 v1, v42
	v_min_u32_e32 v1, 32, v1
	s_delay_alu instid0(VALU_DEP_1) | instskip(NEXT) | instid1(VALU_DEP_1)
	v_subrev_nc_u32_e32 v2, 28, v1
	v_lshlrev_b64_e32 v[2:3], v2, v[42:43]
	s_delay_alu instid0(VALU_DEP_1)
	v_dual_sub_nc_u32 v1, 29, v1 :: v_dual_bitop2_b32 v42, 7, v2 bitop3:0x40
; %bb.294:                              ;   in Loop: Header=BB193_9 Depth=1
	s_or_b32 exec_lo, exec_lo, s31
	v_dual_lshlrev_b32 v2, 16, v122 :: v_dual_mov_b32 v118, v43
	s_delay_alu instid0(VALU_DEP_2) | instskip(NEXT) | instid1(VALU_DEP_3)
	v_lshlrev_b32_e32 v3, 20, v42
	v_lshl_add_u32 v1, v1, 23, 0x3c000000
	s_delay_alu instid0(VALU_DEP_3) | instskip(NEXT) | instid1(VALU_DEP_1)
	v_and_b32_e32 v2, 0x80000000, v2
	v_or3_b32 v119, v3, v2, v1
.LBB193_295:                            ;   in Loop: Header=BB193_9 Depth=1
	s_or_b32 exec_lo, exec_lo, s30
.LBB193_296:                            ;   in Loop: Header=BB193_9 Depth=1
	s_delay_alu instid0(SALU_CYCLE_1)
	s_or_b32 exec_lo, exec_lo, s29
.LBB193_297:                            ;   in Loop: Header=BB193_9 Depth=1
	s_delay_alu instid0(SALU_CYCLE_1)
	s_or_b32 exec_lo, exec_lo, s28
	global_load_u16 v1, v[56:57], off offset:1032
	v_mov_b64_e32 v[122:123], 0
	v_mov_b64_e32 v[124:125], 0
	s_mov_b32 s28, exec_lo
	s_wait_loadcnt 0x0
	v_and_b32_e32 v126, 0xffff, v1
	v_and_b32_e32 v1, 0xff, v1
	s_wait_xcnt 0x0
	s_delay_alu instid0(VALU_DEP_1)
	v_cmpx_ne_u16_e32 0, v1
	s_cbranch_execz .LBB193_305
; %bb.298:                              ;   in Loop: Header=BB193_9 Depth=1
	v_mov_b64_e32 v[124:125], 0x80000000
	v_and_b32_e32 v1, 0xff, v126
	s_mov_b32 s29, exec_lo
	s_delay_alu instid0(VALU_DEP_1)
	v_cmpx_ne_u16_e32 0x80, v1
	s_cbranch_execz .LBB193_304
; %bb.299:                              ;   in Loop: Header=BB193_9 Depth=1
	v_mov_b64_e32 v[124:125], 0x7f800001
	v_and_b32_e32 v127, 0x7f, v126
	s_mov_b32 s30, exec_lo
	s_delay_alu instid0(VALU_DEP_1)
	v_cmpx_ne_u32_e32 0x7f, v127
	s_cbranch_execz .LBB193_303
; %bb.300:                              ;   in Loop: Header=BB193_9 Depth=1
	v_dual_lshrrev_b32 v1, 3, v127 :: v_dual_bitop2_b32 v42, 7, v126 bitop3:0x40
	s_mov_b32 s31, exec_lo
	v_cmpx_gt_u32_e32 8, v127
; %bb.301:                              ;   in Loop: Header=BB193_9 Depth=1
	s_delay_alu instid0(VALU_DEP_2) | instskip(NEXT) | instid1(VALU_DEP_1)
	v_clz_i32_u32_e32 v1, v42
	v_min_u32_e32 v1, 32, v1
	s_delay_alu instid0(VALU_DEP_1) | instskip(NEXT) | instid1(VALU_DEP_1)
	v_subrev_nc_u32_e32 v2, 28, v1
	v_lshlrev_b64_e32 v[2:3], v2, v[42:43]
	s_delay_alu instid0(VALU_DEP_1)
	v_dual_sub_nc_u32 v1, 29, v1 :: v_dual_bitop2_b32 v42, 7, v2 bitop3:0x40
; %bb.302:                              ;   in Loop: Header=BB193_9 Depth=1
	s_or_b32 exec_lo, exec_lo, s31
	v_lshlrev_b32_e32 v2, 24, v126
	s_delay_alu instid0(VALU_DEP_2) | instskip(NEXT) | instid1(VALU_DEP_3)
	v_lshlrev_b32_e32 v3, 20, v42
	v_lshl_add_u32 v1, v1, 23, 0x3c000000
	s_delay_alu instid0(VALU_DEP_3) | instskip(NEXT) | instid1(VALU_DEP_1)
	v_and_b32_e32 v2, 0x80000000, v2
	v_or3_b32 v42, v3, v2, v1
	s_delay_alu instid0(VALU_DEP_1)
	v_mov_b64_e32 v[124:125], v[42:43]
.LBB193_303:                            ;   in Loop: Header=BB193_9 Depth=1
	s_or_b32 exec_lo, exec_lo, s30
.LBB193_304:                            ;   in Loop: Header=BB193_9 Depth=1
	s_delay_alu instid0(SALU_CYCLE_1)
	s_or_b32 exec_lo, exec_lo, s29
.LBB193_305:                            ;   in Loop: Header=BB193_9 Depth=1
	s_delay_alu instid0(SALU_CYCLE_1) | instskip(SKIP_2) | instid1(VALU_DEP_1)
	s_or_b32 exec_lo, exec_lo, s28
	v_lshrrev_b16 v1, 8, v126
	s_mov_b32 s28, exec_lo
	v_cmpx_ne_u16_e32 0, v1
	s_cbranch_execz .LBB193_313
; %bb.306:                              ;   in Loop: Header=BB193_9 Depth=1
	v_mov_b64_e32 v[122:123], 0x8000000000000000
	s_mov_b32 s29, exec_lo
	v_cmpx_ne_u16_e32 0x80, v1
	s_cbranch_execz .LBB193_312
; %bb.307:                              ;   in Loop: Header=BB193_9 Depth=1
	v_and_b32_e32 v1, 0xffff, v1
	v_mov_b64_e32 v[122:123], 0x7f80000100000000
	s_mov_b32 s30, exec_lo
	s_delay_alu instid0(VALU_DEP_2) | instskip(NEXT) | instid1(VALU_DEP_1)
	v_and_b32_e32 v127, 0x7f, v1
	v_cmpx_ne_u32_e32 0x7f, v127
	s_cbranch_execz .LBB193_311
; %bb.308:                              ;   in Loop: Header=BB193_9 Depth=1
	v_dual_lshrrev_b32 v1, 3, v127 :: v_dual_bitop2_b32 v42, 7, v1 bitop3:0x40
	s_mov_b32 s31, exec_lo
	v_cmpx_gt_u32_e32 8, v127
; %bb.309:                              ;   in Loop: Header=BB193_9 Depth=1
	s_delay_alu instid0(VALU_DEP_2) | instskip(NEXT) | instid1(VALU_DEP_1)
	v_clz_i32_u32_e32 v1, v42
	v_min_u32_e32 v1, 32, v1
	s_delay_alu instid0(VALU_DEP_1) | instskip(NEXT) | instid1(VALU_DEP_1)
	v_subrev_nc_u32_e32 v2, 28, v1
	v_lshlrev_b64_e32 v[2:3], v2, v[42:43]
	s_delay_alu instid0(VALU_DEP_1)
	v_dual_sub_nc_u32 v1, 29, v1 :: v_dual_bitop2_b32 v42, 7, v2 bitop3:0x40
; %bb.310:                              ;   in Loop: Header=BB193_9 Depth=1
	s_or_b32 exec_lo, exec_lo, s31
	v_dual_lshlrev_b32 v2, 16, v126 :: v_dual_mov_b32 v122, v43
	s_delay_alu instid0(VALU_DEP_2) | instskip(NEXT) | instid1(VALU_DEP_3)
	v_lshlrev_b32_e32 v3, 20, v42
	v_lshl_add_u32 v1, v1, 23, 0x3c000000
	s_delay_alu instid0(VALU_DEP_3) | instskip(NEXT) | instid1(VALU_DEP_1)
	v_and_b32_e32 v2, 0x80000000, v2
	v_or3_b32 v123, v3, v2, v1
.LBB193_311:                            ;   in Loop: Header=BB193_9 Depth=1
	s_or_b32 exec_lo, exec_lo, s30
.LBB193_312:                            ;   in Loop: Header=BB193_9 Depth=1
	s_delay_alu instid0(SALU_CYCLE_1)
	s_or_b32 exec_lo, exec_lo, s29
.LBB193_313:                            ;   in Loop: Header=BB193_9 Depth=1
	s_delay_alu instid0(SALU_CYCLE_1)
	s_or_b32 exec_lo, exec_lo, s28
	global_load_u16 v2, v[56:57], off offset:1036
	s_wait_xcnt 0x0
	v_mov_b64_e32 v[56:57], 0
	v_mov_b64_e32 v[126:127], 0
	s_mov_b32 s28, exec_lo
	s_wait_loadcnt 0x0
	v_and_b32_e32 v1, 0xffff, v2
	v_and_b32_e32 v2, 0xff, v2
	s_delay_alu instid0(VALU_DEP_1)
	v_cmpx_ne_u16_e32 0, v2
	s_cbranch_execz .LBB193_321
; %bb.314:                              ;   in Loop: Header=BB193_9 Depth=1
	v_mov_b64_e32 v[126:127], 0x80000000
	v_and_b32_e32 v2, 0xff, v1
	s_mov_b32 s29, exec_lo
	s_delay_alu instid0(VALU_DEP_1)
	v_cmpx_ne_u16_e32 0x80, v2
	s_cbranch_execz .LBB193_320
; %bb.315:                              ;   in Loop: Header=BB193_9 Depth=1
	v_mov_b64_e32 v[126:127], 0x7f800001
	v_and_b32_e32 v2, 0x7f, v1
	s_mov_b32 s30, exec_lo
	s_delay_alu instid0(VALU_DEP_1)
	v_cmpx_ne_u32_e32 0x7f, v2
	s_cbranch_execz .LBB193_319
; %bb.316:                              ;   in Loop: Header=BB193_9 Depth=1
	v_dual_lshrrev_b32 v126, 3, v2 :: v_dual_bitop2_b32 v42, 7, v1 bitop3:0x40
	s_mov_b32 s31, exec_lo
	v_cmpx_gt_u32_e32 8, v2
; %bb.317:                              ;   in Loop: Header=BB193_9 Depth=1
	s_delay_alu instid0(VALU_DEP_2) | instskip(NEXT) | instid1(VALU_DEP_1)
	v_clz_i32_u32_e32 v2, v42
	v_min_u32_e32 v4, 32, v2
	s_delay_alu instid0(VALU_DEP_1) | instskip(NEXT) | instid1(VALU_DEP_1)
	v_subrev_nc_u32_e32 v2, 28, v4
	v_lshlrev_b64_e32 v[2:3], v2, v[42:43]
	s_delay_alu instid0(VALU_DEP_1)
	v_dual_sub_nc_u32 v126, 29, v4 :: v_dual_bitop2_b32 v42, 7, v2 bitop3:0x40
; %bb.318:                              ;   in Loop: Header=BB193_9 Depth=1
	s_or_b32 exec_lo, exec_lo, s31
	s_delay_alu instid0(VALU_DEP_1) | instskip(NEXT) | instid1(VALU_DEP_2)
	v_dual_lshlrev_b32 v2, 24, v1 :: v_dual_lshlrev_b32 v3, 20, v42
	v_lshl_add_u32 v4, v126, 23, 0x3c000000
	s_delay_alu instid0(VALU_DEP_2) | instskip(NEXT) | instid1(VALU_DEP_1)
	v_and_b32_e32 v2, 0x80000000, v2
	v_or3_b32 v42, v3, v2, v4
	s_delay_alu instid0(VALU_DEP_1)
	v_mov_b64_e32 v[126:127], v[42:43]
.LBB193_319:                            ;   in Loop: Header=BB193_9 Depth=1
	s_or_b32 exec_lo, exec_lo, s30
.LBB193_320:                            ;   in Loop: Header=BB193_9 Depth=1
	s_delay_alu instid0(SALU_CYCLE_1)
	s_or_b32 exec_lo, exec_lo, s29
.LBB193_321:                            ;   in Loop: Header=BB193_9 Depth=1
	s_delay_alu instid0(SALU_CYCLE_1) | instskip(SKIP_2) | instid1(VALU_DEP_1)
	s_or_b32 exec_lo, exec_lo, s28
	v_lshrrev_b16 v42, 8, v1
	s_mov_b32 s28, exec_lo
	v_cmpx_ne_u16_e32 0, v42
	s_cbranch_execz .LBB193_329
; %bb.322:                              ;   in Loop: Header=BB193_9 Depth=1
	v_mov_b64_e32 v[56:57], 0x8000000000000000
	s_mov_b32 s29, exec_lo
	v_cmpx_ne_u16_e32 0x80, v42
	s_cbranch_execz .LBB193_328
; %bb.323:                              ;   in Loop: Header=BB193_9 Depth=1
	v_and_b32_e32 v3, 0xffff, v42
	v_mov_b64_e32 v[56:57], 0x7f80000100000000
	s_mov_b32 s30, exec_lo
	s_delay_alu instid0(VALU_DEP_2) | instskip(NEXT) | instid1(VALU_DEP_1)
	v_and_b32_e32 v2, 0x7f, v3
	v_cmpx_ne_u32_e32 0x7f, v2
	s_cbranch_execz .LBB193_327
; %bb.324:                              ;   in Loop: Header=BB193_9 Depth=1
	v_dual_lshrrev_b32 v56, 3, v2 :: v_dual_bitop2_b32 v42, 7, v3 bitop3:0x40
	s_mov_b32 s31, exec_lo
	v_cmpx_gt_u32_e32 8, v2
; %bb.325:                              ;   in Loop: Header=BB193_9 Depth=1
	s_delay_alu instid0(VALU_DEP_2) | instskip(NEXT) | instid1(VALU_DEP_1)
	v_clz_i32_u32_e32 v2, v42
	v_min_u32_e32 v4, 32, v2
	s_delay_alu instid0(VALU_DEP_1) | instskip(NEXT) | instid1(VALU_DEP_1)
	v_subrev_nc_u32_e32 v2, 28, v4
	v_lshlrev_b64_e32 v[2:3], v2, v[42:43]
	s_delay_alu instid0(VALU_DEP_1)
	v_dual_sub_nc_u32 v56, 29, v4 :: v_dual_bitop2_b32 v42, 7, v2 bitop3:0x40
; %bb.326:                              ;   in Loop: Header=BB193_9 Depth=1
	s_or_b32 exec_lo, exec_lo, s31
	s_delay_alu instid0(VALU_DEP_1) | instskip(NEXT) | instid1(VALU_DEP_2)
	v_dual_lshlrev_b32 v1, 16, v1 :: v_dual_lshlrev_b32 v2, 20, v42
	v_lshl_add_u32 v3, v56, 23, 0x3c000000
	v_mov_b32_e32 v56, v43
	s_delay_alu instid0(VALU_DEP_3) | instskip(NEXT) | instid1(VALU_DEP_1)
	v_and_b32_e32 v1, 0x80000000, v1
	v_or3_b32 v57, v2, v1, v3
.LBB193_327:                            ;   in Loop: Header=BB193_9 Depth=1
	s_or_b32 exec_lo, exec_lo, s30
.LBB193_328:                            ;   in Loop: Header=BB193_9 Depth=1
	s_delay_alu instid0(SALU_CYCLE_1)
	s_or_b32 exec_lo, exec_lo, s29
.LBB193_329:                            ;   in Loop: Header=BB193_9 Depth=1
	s_delay_alu instid0(SALU_CYCLE_1)
	s_or_b32 exec_lo, exec_lo, s28
	v_or_b32_e32 v5, v49, v51
	v_or_b32_e32 v4, v48, v50
	;; [unrolled: 1-line block ×4, first 2 shown]
	scratch_load_b128 v[58:61], off, off offset:4 ; 16-byte Folded Reload
	v_or_b32_e32 v3, v53, v55
	v_or_b32_e32 v2, v52, v54
	v_mov_b64_e32 v[52:53], s[20:21]
	s_delay_alu instid0(VALU_DEP_1) | instskip(SKIP_3) | instid1(VALU_DEP_3)
	v_pk_mul_f32 v[2:3], v[52:53], v[2:3]
	v_pk_mul_f32 v[4:5], v[52:53], v[4:5]
	;; [unrolled: 1-line block ×3, first 2 shown]
	s_wait_loadcnt 0x0
	v_dual_mul_f32 v1, v60, v2 :: v_dual_mul_f32 v42, v61, v3
	s_delay_alu instid0(VALU_DEP_1) | instskip(SKIP_1) | instid1(VALU_DEP_1)
	v_dual_fmac_f32 v1, v58, v4 :: v_dual_fmac_f32 v42, v59, v5
	s_wait_dscnt 0x8
	v_dual_fmac_f32 v1, v6, v48 :: v_dual_bitop2_b32 v3, v63, v65 bitop3:0x54
	s_delay_alu instid0(VALU_DEP_2) | instskip(NEXT) | instid1(VALU_DEP_1)
	v_dual_fmac_f32 v42, v7, v49 :: v_dual_bitop2_b32 v2, v62, v64 bitop3:0x54
	v_pk_mul_f32 v[2:3], v[52:53], v[2:3]
	s_delay_alu instid0(VALU_DEP_1) | instskip(NEXT) | instid1(VALU_DEP_2)
	v_dual_fmac_f32 v1, v8, v2 :: v_dual_bitop2_b32 v5, v67, v69 bitop3:0x54
	v_dual_fmac_f32 v42, v9, v3 :: v_dual_bitop2_b32 v4, v66, v68 bitop3:0x54
	s_delay_alu instid0(VALU_DEP_1) | instskip(SKIP_1) | instid1(VALU_DEP_1)
	v_pk_mul_f32 v[4:5], v[52:53], v[4:5]
	s_wait_dscnt 0x7
	v_dual_fmac_f32 v1, v10, v4 :: v_dual_bitop2_b32 v49, v71, v73 bitop3:0x54
	s_delay_alu instid0(VALU_DEP_2) | instskip(NEXT) | instid1(VALU_DEP_1)
	v_dual_fmac_f32 v42, v11, v5 :: v_dual_bitop2_b32 v48, v70, v72 bitop3:0x54
	v_pk_mul_f32 v[48:49], v[52:53], v[48:49]
	s_delay_alu instid0(VALU_DEP_1) | instskip(NEXT) | instid1(VALU_DEP_2)
	v_dual_fmac_f32 v1, v12, v48 :: v_dual_bitop2_b32 v3, v75, v77 bitop3:0x54
	v_dual_fmac_f32 v42, v13, v49 :: v_dual_bitop2_b32 v2, v74, v76 bitop3:0x54
	s_delay_alu instid0(VALU_DEP_1) | instskip(SKIP_1) | instid1(VALU_DEP_1)
	v_pk_mul_f32 v[2:3], v[52:53], v[2:3]
	;; [unrolled: 10-line block ×8, first 2 shown]
	s_wait_dscnt 0x0
	v_fmac_f32_e32 v1, v38, v2
	scratch_load_b32 v2, off, off offset:20 ; 4-byte Folded Reload
	v_or_b32_e32 v5, v57, v127
	v_dual_fmac_f32 v42, v39, v3 :: v_dual_bitop2_b32 v4, v56, v126 bitop3:0x54
	s_delay_alu instid0(VALU_DEP_1) | instskip(NEXT) | instid1(VALU_DEP_1)
	v_pk_mul_f32 v[4:5], v[52:53], v[4:5]
	v_dual_fmac_f32 v1, v40, v4 :: v_dual_fmac_f32 v42, v41, v5
	s_delay_alu instid0(VALU_DEP_1)
	v_add_f32_e32 v1, v1, v42
	s_wait_loadcnt 0x0
	ds_bpermute_b32 v2, v2, v1
	s_wait_xcnt 0x0
	s_and_saveexec_b32 s28, vcc_lo
	s_cbranch_execz .LBB193_8
; %bb.330:                              ;   in Loop: Header=BB193_9 Depth=1
	scratch_load_b32 v4, off, off           ; 4-byte Folded Reload
	s_wait_dscnt 0x0
	v_dual_add_nc_u32 v3, s11, v0 :: v_dual_add_f32 v1, v1, v2
	v_cmp_gt_i32_e64 s4, s25, v0
	s_delay_alu instid0(VALU_DEP_2) | instskip(NEXT) | instid1(VALU_DEP_1)
	v_cvt_f32_i32_e32 v3, v3
	v_mul_f32_e32 v3, s18, v3
	s_wait_loadcnt 0x0
	s_delay_alu instid0(VALU_DEP_1) | instskip(NEXT) | instid1(VALU_DEP_1)
	v_dual_cndmask_b32 v2, 0, v3, s3 :: v_dual_max_num_f32 v3, v4, v4
	v_fmac_f32_e32 v2, s19, v1
	s_delay_alu instid0(VALU_DEP_1) | instskip(NEXT) | instid1(VALU_DEP_1)
	v_dual_max_num_f32 v1, v3, v2 :: v_dual_cndmask_b32 v2, 0, v2, s4
	v_cndmask_b32_e64 v4, v4, v1, s4
	ds_store_b32 v44, v2
	scratch_store_b32 off, v4, off          ; 4-byte Folded Spill
	s_branch .LBB193_8
.LBB193_331:
	s_or_b32 exec_lo, exec_lo, s5
	s_clause 0x4
	scratch_load_b32 v10, off, off offset:36
	scratch_load_b32 v22, off, off offset:40
	;; [unrolled: 1-line block ×4, first 2 shown]
	scratch_load_b32 v3, off, off
	v_mov_b32_e32 v8, 32
.LBB193_332:
	s_wait_xcnt 0x0
	s_or_b32 exec_lo, exec_lo, s26
	s_wait_loadcnt 0x1
	v_xor_b32_e32 v0, 16, v34
	s_wait_kmcnt 0x0
	s_clause 0x1
	s_load_b64 s[4:5], s[0:1], 0x0
	s_load_b64 s[18:19], s[0:1], 0x18
	s_wait_dscnt 0x0
	v_xor_b32_e32 v2, 8, v34
	v_and_b32_e32 v66, 31, v10
	v_cmp_lt_i32_e32 vcc_lo, v0, v8
	v_cndmask_b32_e32 v0, v34, v0, vcc_lo
	s_delay_alu instid0(VALU_DEP_4) | instskip(NEXT) | instid1(VALU_DEP_2)
	v_cmp_lt_i32_e32 vcc_lo, v2, v8
	v_dual_lshlrev_b32 v0, 2, v0 :: v_dual_cndmask_b32 v2, v34, v2, vcc_lo
	s_wait_loadcnt 0x0
	ds_bpermute_b32 v1, v0, v3
	s_wait_dscnt 0x0
	v_dual_max_num_f32 v3, v3, v3 :: v_dual_max_num_f32 v4, v1, v1
	s_delay_alu instid0(VALU_DEP_1)
	v_dual_lshlrev_b32 v1, 2, v2 :: v_dual_max_num_f32 v3, v3, v4
	v_xor_b32_e32 v4, 4, v34
	ds_bpermute_b32 v2, v1, v3
	v_cmp_lt_i32_e32 vcc_lo, v4, v8
	s_wait_dscnt 0x0
	v_max_num_f32_e32 v5, v2, v2
	s_delay_alu instid0(VALU_DEP_1) | instskip(NEXT) | instid1(VALU_DEP_1)
	v_dual_cndmask_b32 v4, v34, v4 :: v_dual_max_num_f32 v3, v3, v5
	v_lshlrev_b32_e32 v2, 2, v4
	ds_bpermute_b32 v4, v2, v3
	s_wait_dscnt 0x0
	v_dual_max_num_f32 v4, v4, v4 :: v_dual_bitop2_b32 v5, 2, v34 bitop3:0x14
	s_delay_alu instid0(VALU_DEP_1) | instskip(NEXT) | instid1(VALU_DEP_2)
	v_cmp_lt_i32_e32 vcc_lo, v5, v8
	v_dual_max_num_f32 v4, v3, v4 :: v_dual_cndmask_b32 v5, v34, v5
	scratch_load_b32 v3, off, off offset:32 ; 4-byte Folded Reload
	v_cmp_eq_u32_e32 vcc_lo, 0, v66
	v_lshlrev_b32_e32 v67, 2, v5
	ds_bpermute_b32 v5, v67, v4
	s_wait_loadcnt 0x0
	v_lshlrev_b32_e32 v3, 2, v3
	s_wait_xcnt 0x0
	s_and_saveexec_b32 s0, vcc_lo
	s_cbranch_execz .LBB193_334
; %bb.333:
	s_wait_dscnt 0x0
	v_dual_max_num_f32 v5, v5, v5 :: v_dual_max_num_f32 v4, v4, v4
	s_delay_alu instid0(VALU_DEP_1)
	v_max_num_f32_e32 v4, v4, v5
	ds_store_b32 v3, v4 offset:320
.LBB193_334:
	s_or_b32 exec_lo, exec_lo, s0
	v_cmp_gt_u32_e64 s0, 4, v66
	s_wait_dscnt 0x0
	v_dual_mov_b32 v5, 0xff7fffff :: v_dual_lshlrev_b32 v4, 2, v66
	s_wait_storecnt 0x0
	s_barrier_signal -1
	s_barrier_wait -1
	s_and_saveexec_b32 s1, s0
; %bb.335:
	ds_load_b32 v5, v4 offset:320
; %bb.336:
	s_or_b32 exec_lo, exec_lo, s1
	s_wait_dscnt 0x0
	ds_bpermute_b32 v6, v67, v5
	v_dual_max_num_f32 v5, v5, v5 :: v_dual_bitop2_b32 v7, 1, v34 bitop3:0x14
	s_delay_alu instid0(VALU_DEP_1) | instskip(SKIP_2) | instid1(VALU_DEP_2)
	v_cmp_lt_i32_e64 s1, v7, v8
	s_wait_dscnt 0x0
	v_max_num_f32_e32 v6, v6, v6
	v_cndmask_b32_e64 v7, v34, v7, s1
	s_lshl_b32 s1, s13, 4
	s_delay_alu instid0(SALU_CYCLE_1) | instskip(NEXT) | instid1(VALU_DEP_1)
	s_min_i32 s11, s1, s25
	v_dual_max_num_f32 v5, v5, v6 :: v_dual_lshlrev_b32 v68, 2, v7
	v_cmp_gt_i32_e64 s1, s11, v10
	ds_bpermute_b32 v6, v68, v5
	s_wait_dscnt 0x0
	v_max_num_f32_e32 v6, v6, v6
	s_delay_alu instid0(VALU_DEP_1)
	v_dual_max_num_f32 v5, v5, v6 :: v_dual_lshlrev_b32 v6, 2, v43
	ds_bpermute_b32 v6, v6, v5
	v_mov_b32_e32 v5, 0
	s_and_saveexec_b32 s20, s1
	s_cbranch_execz .LBB193_340
; %bb.337:
	v_lshl_add_u32 v7, v10, 2, 0x160
	v_dual_mov_b32 v5, 0 :: v_dual_mov_b32 v8, v10
	s_mov_b32 s21, 0
.LBB193_338:                            ; =>This Inner Loop Header: Depth=1
	ds_load_b32 v9, v7
	v_add_nc_u32_e32 v8, 0x80, v8
	s_delay_alu instid0(VALU_DEP_1) | instskip(SKIP_3) | instid1(VALU_DEP_1)
	v_cmp_le_i32_e64 s3, s11, v8
	s_or_b32 s21, s3, s21
	s_wait_dscnt 0x0
	v_sub_f32_e32 v9, v9, v6
	v_mul_f32_e32 v9, 0x3fb8aa3b, v9
	s_delay_alu instid0(VALU_DEP_1)
	v_exp_f32_e32 v9, v9
	ds_store_b32 v7, v9
	v_nop
	v_add_f32_e32 v5, v5, v9
	v_add_nc_u32_e32 v7, 0x200, v7
	s_and_not1_b32 exec_lo, exec_lo, s21
	s_cbranch_execnz .LBB193_338
; %bb.339:
	s_or_b32 exec_lo, exec_lo, s21
.LBB193_340:
	s_delay_alu instid0(SALU_CYCLE_1)
	s_or_b32 exec_lo, exec_lo, s20
	ds_bpermute_b32 v0, v0, v5
	s_wait_dscnt 0x0
	v_add_f32_e32 v0, v5, v0
	ds_bpermute_b32 v1, v1, v0
	s_wait_dscnt 0x0
	v_add_f32_e32 v0, v0, v1
	;; [unrolled: 3-line block ×5, first 2 shown]
	s_and_saveexec_b32 s3, vcc_lo
; %bb.341:
	ds_store_b32 v3, v0 offset:336
; %bb.342:
	s_or_b32 exec_lo, exec_lo, s3
	s_wait_dscnt 0x0
	s_barrier_signal -1
	s_barrier_wait -1
	s_and_saveexec_b32 s3, s0
; %bb.343:
	ds_load_b32 v0, v4 offset:336
; %bb.344:
	s_or_b32 exec_lo, exec_lo, s3
	s_wait_dscnt 0x0
	ds_bpermute_b32 v1, v67, v0
	s_wait_dscnt 0x0
	v_dual_lshlrev_b32 v2, 2, v34 :: v_dual_add_f32 v0, v0, v1
	ds_bpermute_b32 v1, v68, v0
	s_wait_dscnt 0x0
	v_add_f32_e32 v0, v0, v1
	v_and_b32_e32 v1, 0xffffff80, v2
	ds_bpermute_b32 v0, v1, v0
	s_and_saveexec_b32 s0, s1
	s_cbranch_execz .LBB193_357
; %bb.345:
	s_wait_dscnt 0x0
	v_add_f32_e32 v0, 0x358637bd, v0
	s_mov_b32 s3, -1
	s_mov_b32 s1, exec_lo
	s_delay_alu instid0(VALU_DEP_1) | instskip(SKIP_1) | instid1(VALU_DEP_2)
	v_div_scale_f32 v1, null, v0, v0, 1.0
	v_div_scale_f32 v4, vcc_lo, 1.0, v0, 1.0
	v_rcp_f32_e32 v2, v1
	v_nop
	s_delay_alu instid0(TRANS32_DEP_1) | instskip(NEXT) | instid1(VALU_DEP_1)
	v_fma_f32 v3, -v1, v2, 1.0
	v_fmac_f32_e32 v2, v3, v2
	s_delay_alu instid0(VALU_DEP_1) | instskip(NEXT) | instid1(VALU_DEP_1)
	v_mul_f32_e32 v3, v4, v2
	v_fma_f32 v5, -v1, v3, v4
	s_delay_alu instid0(VALU_DEP_1) | instskip(NEXT) | instid1(VALU_DEP_1)
	v_fmac_f32_e32 v3, v5, v2
	v_fma_f32 v4, -v1, v3, v4
	v_xad_u32 v1, v10, -1, s11
	s_delay_alu instid0(VALU_DEP_2) | instskip(NEXT) | instid1(VALU_DEP_1)
	v_div_fmas_f32 v2, v4, v2, v3
	v_div_fixup_f32 v2, v2, v0, 1.0
	v_mov_b32_e32 v0, v10
	s_delay_alu instid0(VALU_DEP_4)
	v_cmpx_lt_u32_e32 0x7f, v1
	s_cbranch_execz .LBB193_354
; %bb.346:
	s_delay_alu instid0(VALU_DEP_3) | instskip(NEXT) | instid1(VALU_DEP_1)
	v_dual_mov_b32 v3, v2 :: v_dual_lshrrev_b32 v0, 7, v1
	v_dual_mov_b32 v6, 0 :: v_dual_add_nc_u32 v1, -1, v0
	s_delay_alu instid0(VALU_DEP_1) | instskip(SKIP_1) | instid1(VALU_DEP_2)
	v_lshrrev_b32_e32 v4, 1, v1
	v_cmp_lt_u32_e32 vcc_lo, 13, v1
	v_add_nc_u32_e32 v1, 1, v4
	s_and_saveexec_b32 s3, vcc_lo
	s_cbranch_execz .LBB193_350
; %bb.347:
	s_delay_alu instid0(VALU_DEP_1)
	v_and_b32_e32 v4, -8, v1
	v_lshl_add_u32 v5, v10, 2, 0x160
	s_mov_b32 s20, 0
	s_mov_b32 s21, 0
.LBB193_348:                            ; =>This Inner Loop Header: Depth=1
	ds_load_2addr_stride64_b32 v[6:7], v5 offset1:2
	ds_load_2addr_stride64_b32 v[8:9], v5 offset0:4 offset1:6
	ds_load_2addr_stride64_b32 v[10:11], v5 offset0:8 offset1:10
	;; [unrolled: 1-line block ×7, first 2 shown]
	s_add_co_i32 s21, s21, 16
	v_add_nc_u32_e32 v4, -8, v4
	s_wait_dscnt 0x7
	v_pk_mul_f32 v[6:7], v[2:3], v[6:7]
	s_wait_dscnt 0x6
	v_pk_mul_f32 v[8:9], v[2:3], v[8:9]
	;; [unrolled: 2-line block ×8, first 2 shown]
	ds_store_2addr_stride64_b32 v5, v6, v7 offset1:2
	ds_store_2addr_stride64_b32 v5, v8, v9 offset0:4 offset1:6
	ds_store_2addr_stride64_b32 v5, v10, v11 offset0:8 offset1:10
	;; [unrolled: 1-line block ×7, first 2 shown]
	v_mov_b32_e32 v6, s21
	v_cmp_eq_u32_e32 vcc_lo, 0, v4
	v_add_nc_u32_e32 v5, 0x2000, v5
	s_or_b32 s20, vcc_lo, s20
	s_delay_alu instid0(SALU_CYCLE_1)
	s_and_not1_b32 exec_lo, exec_lo, s20
	s_cbranch_execnz .LBB193_348
; %bb.349:
	s_or_b32 exec_lo, exec_lo, s20
	scratch_load_b32 v10, off, off offset:36 ; 4-byte Folded Reload
.LBB193_350:
	s_wait_xcnt 0x0
	s_or_b32 exec_lo, exec_lo, s3
	v_and_b32_e32 v1, 7, v1
	s_mov_b32 s20, 0
	s_mov_b32 s3, exec_lo
	s_delay_alu instid0(VALU_DEP_1)
	v_cmpx_ne_u32_e32 0, v1
	s_cbranch_execz .LBB193_353
; %bb.351:
	v_lshlrev_b32_e32 v4, 9, v6
	s_delay_alu instid0(VALU_DEP_1)
	v_add3_u32 v4, v4, v22, 0x160
.LBB193_352:                            ; =>This Inner Loop Header: Depth=1
	ds_load_2addr_stride64_b32 v[6:7], v4 offset1:2
	v_add_nc_u32_e32 v1, -1, v1
	s_delay_alu instid0(VALU_DEP_1)
	v_cmp_eq_u32_e32 vcc_lo, 0, v1
	s_or_b32 s20, vcc_lo, s20
	s_wait_dscnt 0x0
	v_pk_mul_f32 v[6:7], v[2:3], v[6:7]
	ds_store_2addr_stride64_b32 v4, v6, v7 offset1:2
	v_add_nc_u32_e32 v4, 0x400, v4
	s_and_not1_b32 exec_lo, exec_lo, s20
	s_cbranch_execnz .LBB193_352
.LBB193_353:
	s_or_b32 exec_lo, exec_lo, s3
	v_add_nc_u32_e32 v0, 1, v0
	s_delay_alu instid0(VALU_DEP_1) | instskip(NEXT) | instid1(VALU_DEP_1)
	v_and_b32_e32 v1, 0x3fffffe, v0
	v_cmp_ne_u32_e32 vcc_lo, v0, v1
	s_wait_loadcnt 0x0
	v_lshl_add_u32 v0, v1, 7, v10
	s_or_not1_b32 s3, vcc_lo, exec_lo
.LBB193_354:
	s_or_b32 exec_lo, exec_lo, s1
	s_delay_alu instid0(SALU_CYCLE_1)
	s_and_b32 exec_lo, exec_lo, s3
	s_cbranch_execz .LBB193_357
; %bb.355:
	v_lshl_add_u32 v1, v0, 2, 0x160
	s_mov_b32 s1, 0
.LBB193_356:                            ; =>This Inner Loop Header: Depth=1
	ds_load_b32 v3, v1
	s_wait_dscnt 0x0
	v_dual_mul_f32 v3, v2, v3 :: v_dual_add_nc_u32 v0, 0x80, v0
	s_delay_alu instid0(VALU_DEP_1) | instskip(SKIP_3) | instid1(SALU_CYCLE_1)
	v_cmp_le_i32_e32 vcc_lo, s11, v0
	ds_store_b32 v1, v3
	v_add_nc_u32_e32 v1, 0x200, v1
	s_or_b32 s1, vcc_lo, s1
	s_and_not1_b32 exec_lo, exec_lo, s1
	s_cbranch_execnz .LBB193_356
.LBB193_357:
	s_or_b32 exec_lo, exec_lo, s0
	v_dual_mov_b32 v7, 0 :: v_dual_bitop2_b32 v69, 3, v10 bitop3:0x40
	v_dual_mov_b32 v6, 0 :: v_dual_mov_b32 v9, 0
	v_dual_mov_b32 v8, 0 :: v_dual_mov_b32 v11, 0
	;; [unrolled: 1-line block ×4, first 2 shown]
	v_mov_b32_e32 v14, 0
	s_wait_dscnt 0x0
	s_barrier_signal -1
	s_barrier_wait -1
	s_and_saveexec_b32 s1, s2
	s_cbranch_execz .LBB193_701
; %bb.358:
	scratch_load_b32 v71, off, off offset:32 ; 4-byte Folded Reload
	s_load_b32 s2, s[6:7], 0x0
	v_dual_mov_b32 v17, 0 :: v_dual_bitop2_b32 v0, 12, v22 bitop3:0x40
	v_and_b32_e32 v16, 0x7c, v22
	s_ashr_i32 s11, s10, 31
	v_dual_lshlrev_b32 v1, 4, v69 :: v_dual_mov_b32 v7, 0
	s_wait_kmcnt 0x0
	s_add_nc_u64 s[10:11], s[18:19], s[10:11]
	s_lshl_b64 s[14:15], s[14:15], 2
	v_add_nc_u64_e32 v[18:19], s[10:11], v[16:17]
	v_and_b32_e32 v16, 0x7c, v44
	s_add_nc_u64 s[10:11], s[16:17], s[14:15]
	v_dual_mov_b32 v6, 0 :: v_dual_mov_b32 v9, 0
	v_dual_mov_b32 v8, 0 :: v_dual_mov_b32 v11, 0
	s_delay_alu instid0(VALU_DEP_3)
	v_add_nc_u64_e32 v[20:21], s[10:11], v[16:17]
	v_dual_mov_b32 v10, 0 :: v_dual_mov_b32 v12, 0
	v_dual_mov_b32 v15, 0 :: v_dual_mov_b32 v14, 0
	s_mov_b32 s6, s9
	s_mov_b32 s3, s2
	s_add_co_i32 s7, s13, -1
	s_mov_b32 s10, s25
	s_mov_b32 s9, 0
	v_mov_b32_e32 v13, 0
	s_wait_loadcnt 0x0
	v_lshl_or_b32 v2, v71, 6, v1
	v_lshl_or_b32 v1, v71, 4, v0
	s_delay_alu instid0(VALU_DEP_2)
	v_add_nc_u32_e32 v70, 0x160, v2
	s_branch .LBB193_360
.LBB193_359:                            ;   in Loop: Header=BB193_360 Depth=1
	s_or_b32 exec_lo, exec_lo, s0
	s_wait_dscnt 0x0
	v_mul_f32_e32 v16, v2, v54
	v_mul_f32_e32 v0, v2, v58
	;; [unrolled: 1-line block ×4, first 2 shown]
	v_add_nc_u64_e32 v[20:21], 16, v[20:21]
	v_fmac_f32_e32 v16, v3, v55
	v_fmac_f32_e32 v0, v3, v59
	;; [unrolled: 1-line block ×3, first 2 shown]
	v_dual_fmac_f32 v50, v3, v51 :: v_dual_mul_f32 v42, v2, v42
	s_delay_alu instid0(VALU_DEP_3) | instskip(NEXT) | instid1(VALU_DEP_2)
	v_dual_fmac_f32 v0, v4, v56 :: v_dual_add_nc_u32 v1, 64, v1
	v_dual_mul_f32 v54, v2, v38 :: v_dual_fmac_f32 v50, v4, v48
	s_delay_alu instid0(VALU_DEP_3) | instskip(SKIP_1) | instid1(VALU_DEP_4)
	v_fmac_f32_e32 v42, v3, v43
	v_add_nc_u32_e32 v70, 0x100, v70
	v_fmac_f32_e32 v0, v5, v57
	s_delay_alu instid0(VALU_DEP_4) | instskip(SKIP_2) | instid1(VALU_DEP_3)
	v_dual_fmac_f32 v16, v4, v52 :: v_dual_fmac_f32 v50, v5, v49
	v_fmac_f32_e32 v46, v4, v44
	v_mul_f32_e32 v24, v2, v24
	v_dual_add_f32 v6, v6, v0 :: v_dual_fmac_f32 v16, v5, v53
	s_delay_alu instid0(VALU_DEP_3) | instskip(SKIP_1) | instid1(VALU_DEP_3)
	v_dual_mul_f32 v0, v2, v34 :: v_dual_fmac_f32 v46, v5, v45
	v_fmac_f32_e32 v42, v4, v40
	v_dual_fmac_f32 v54, v3, v39 :: v_dual_add_f32 v9, v9, v16
	s_delay_alu instid0(VALU_DEP_3) | instskip(NEXT) | instid1(VALU_DEP_3)
	v_dual_mul_f32 v16, v2, v30 :: v_dual_fmac_f32 v0, v3, v35
	v_dual_add_f32 v11, v11, v46 :: v_dual_fmac_f32 v42, v5, v41
	v_add_f32_e32 v8, v8, v50
	v_pk_mul_f32 v[38:39], v[2:3], v[60:61]
	s_delay_alu instid0(VALU_DEP_4) | instskip(NEXT) | instid1(VALU_DEP_4)
	v_dual_fmac_f32 v54, v4, v36 :: v_dual_fmac_f32 v16, v3, v31
	v_dual_add_f32 v10, v10, v42 :: v_dual_fmac_f32 v24, v3, v25
	v_pk_mul_f32 v[2:3], v[4:5], v[26:27]
	s_delay_alu instid0(VALU_DEP_4) | instskip(NEXT) | instid1(VALU_DEP_4)
	v_dual_add_f32 v25, v39, v38 :: v_dual_fmac_f32 v0, v4, v32
	v_dual_fmac_f32 v54, v5, v37 :: v_dual_fmac_f32 v16, v4, v28
	s_delay_alu instid0(VALU_DEP_2) | instskip(SKIP_1) | instid1(VALU_DEP_4)
	v_dual_add_f32 v2, v2, v25 :: v_dual_add_nc_u32 v71, 4, v71
	v_fmac_f32_e32 v24, v4, v22
	v_fmac_f32_e32 v0, v5, v33
	s_delay_alu instid0(VALU_DEP_4) | instskip(NEXT) | instid1(VALU_DEP_4)
	v_add_f32_e32 v13, v13, v54
	v_cmp_le_i32_e32 vcc_lo, s13, v71
	v_dual_add_f32 v2, v3, v2 :: v_dual_fmac_f32 v16, v5, v29
	s_delay_alu instid0(VALU_DEP_4) | instskip(SKIP_1) | instid1(VALU_DEP_2)
	v_dual_add_f32 v12, v12, v0 :: v_dual_fmac_f32 v24, v5, v23
	s_or_b32 s9, vcc_lo, s9
	v_add_f32_e32 v7, v7, v2
	s_delay_alu instid0(VALU_DEP_3) | instskip(NEXT) | instid1(VALU_DEP_3)
	v_add_f32_e32 v15, v15, v16
	v_add_f32_e32 v14, v14, v24
	s_and_not1_b32 exec_lo, exec_lo, s9
	s_cbranch_execz .LBB193_700
.LBB193_360:                            ; =>This Inner Loop Header: Depth=1
	global_load_b32 v0, v[20:21], off
	ds_load_b128 v[2:5], v70
	v_mov_b64_e32 v[22:23], 0
	v_mov_b64_e32 v[24:25], 0
	s_mov_b32 s0, exec_lo
	s_wait_loadcnt 0x0
	v_mad_nc_i64_i32 v[26:27], v0, s6, v[18:19]
	global_load_b32 v0, v[26:27], off
	s_wait_loadcnt 0x0
	v_and_b32_e32 v16, 0xff, v0
	s_delay_alu instid0(VALU_DEP_1)
	v_cmpx_ne_u16_e32 0, v16
	s_cbranch_execz .LBB193_368
; %bb.361:                              ;   in Loop: Header=BB193_360 Depth=1
	v_mov_b64_e32 v[24:25], 0x80000000
	s_mov_b32 s11, exec_lo
	v_cmpx_ne_u16_e32 0x80, v16
	s_cbranch_execz .LBB193_367
; %bb.362:                              ;   in Loop: Header=BB193_360 Depth=1
	v_mov_b64_e32 v[24:25], 0x7f800001
	v_and_b32_e32 v28, 0x7f, v0
	s_mov_b32 s14, exec_lo
	s_delay_alu instid0(VALU_DEP_1)
	v_cmpx_ne_u32_e32 0x7f, v28
	s_cbranch_execz .LBB193_366
; %bb.363:                              ;   in Loop: Header=BB193_360 Depth=1
	v_and_b32_e32 v16, 7, v0
	v_lshrrev_b32_e32 v24, 3, v28
	s_mov_b32 s15, exec_lo
	v_cmpx_gt_u32_e32 8, v28
; %bb.364:                              ;   in Loop: Header=BB193_360 Depth=1
	s_delay_alu instid0(VALU_DEP_3) | instskip(NEXT) | instid1(VALU_DEP_1)
	v_clz_i32_u32_e32 v24, v16
	v_min_u32_e32 v24, 32, v24
	s_delay_alu instid0(VALU_DEP_1) | instskip(SKIP_1) | instid1(VALU_DEP_2)
	v_subrev_nc_u32_e32 v25, 28, v24
	v_sub_nc_u32_e32 v24, 29, v24
	v_lshlrev_b64_e32 v[28:29], v25, v[16:17]
	s_delay_alu instid0(VALU_DEP_1)
	v_and_b32_e32 v16, 7, v28
; %bb.365:                              ;   in Loop: Header=BB193_360 Depth=1
	s_or_b32 exec_lo, exec_lo, s15
	v_lshlrev_b32_e32 v25, 24, v0
	s_delay_alu instid0(VALU_DEP_2) | instskip(SKIP_1) | instid1(VALU_DEP_3)
	v_lshlrev_b32_e32 v16, 20, v16
	v_lshl_add_u32 v24, v24, 23, 0x3c000000
	v_and_b32_e32 v25, 0x80000000, v25
	s_delay_alu instid0(VALU_DEP_1) | instskip(NEXT) | instid1(VALU_DEP_1)
	v_or3_b32 v16, v16, v25, v24
	v_mov_b64_e32 v[24:25], v[16:17]
.LBB193_366:                            ;   in Loop: Header=BB193_360 Depth=1
	s_or_b32 exec_lo, exec_lo, s14
.LBB193_367:                            ;   in Loop: Header=BB193_360 Depth=1
	s_delay_alu instid0(SALU_CYCLE_1)
	s_or_b32 exec_lo, exec_lo, s11
.LBB193_368:                            ;   in Loop: Header=BB193_360 Depth=1
	s_delay_alu instid0(SALU_CYCLE_1) | instskip(SKIP_2) | instid1(VALU_DEP_1)
	s_or_b32 exec_lo, exec_lo, s0
	v_lshrrev_b16 v16, 8, v0
	s_mov_b32 s0, exec_lo
	v_cmpx_ne_u16_e32 0, v16
	s_cbranch_execz .LBB193_376
; %bb.369:                              ;   in Loop: Header=BB193_360 Depth=1
	v_mov_b64_e32 v[22:23], 0x8000000000000000
	s_mov_b32 s11, exec_lo
	v_cmpx_ne_u16_e32 0x80, v16
	s_cbranch_execz .LBB193_375
; %bb.370:                              ;   in Loop: Header=BB193_360 Depth=1
	v_and_b32_e32 v16, 0xffff, v16
	v_mov_b64_e32 v[22:23], 0x7f80000100000000
	s_mov_b32 s14, exec_lo
	s_delay_alu instid0(VALU_DEP_2) | instskip(NEXT) | instid1(VALU_DEP_1)
	v_and_b32_e32 v28, 0x7f, v16
	v_cmpx_ne_u32_e32 0x7f, v28
	s_cbranch_execz .LBB193_374
; %bb.371:                              ;   in Loop: Header=BB193_360 Depth=1
	v_and_b32_e32 v16, 7, v16
	v_lshrrev_b32_e32 v22, 3, v28
	s_mov_b32 s15, exec_lo
	v_cmpx_gt_u32_e32 8, v28
; %bb.372:                              ;   in Loop: Header=BB193_360 Depth=1
	s_delay_alu instid0(VALU_DEP_3) | instskip(NEXT) | instid1(VALU_DEP_1)
	v_clz_i32_u32_e32 v22, v16
	v_min_u32_e32 v22, 32, v22
	s_delay_alu instid0(VALU_DEP_1) | instskip(NEXT) | instid1(VALU_DEP_1)
	v_subrev_nc_u32_e32 v23, 28, v22
	v_lshlrev_b64_e32 v[28:29], v23, v[16:17]
	s_delay_alu instid0(VALU_DEP_1)
	v_dual_sub_nc_u32 v22, 29, v22 :: v_dual_bitop2_b32 v16, 7, v28 bitop3:0x40
; %bb.373:                              ;   in Loop: Header=BB193_360 Depth=1
	s_or_b32 exec_lo, exec_lo, s15
	v_lshlrev_b32_e32 v23, 16, v0
	s_delay_alu instid0(VALU_DEP_2) | instskip(NEXT) | instid1(VALU_DEP_3)
	v_lshlrev_b32_e32 v16, 20, v16
	v_lshl_add_u32 v22, v22, 23, 0x3c000000
	s_delay_alu instid0(VALU_DEP_3) | instskip(NEXT) | instid1(VALU_DEP_1)
	v_and_b32_e32 v23, 0x80000000, v23
	v_or3_b32 v23, v16, v23, v22
	v_mov_b32_e32 v22, v17
.LBB193_374:                            ;   in Loop: Header=BB193_360 Depth=1
	s_or_b32 exec_lo, exec_lo, s14
.LBB193_375:                            ;   in Loop: Header=BB193_360 Depth=1
	s_delay_alu instid0(SALU_CYCLE_1)
	s_or_b32 exec_lo, exec_lo, s11
.LBB193_376:                            ;   in Loop: Header=BB193_360 Depth=1
	s_delay_alu instid0(SALU_CYCLE_1) | instskip(SKIP_4) | instid1(VALU_DEP_3)
	s_or_b32 exec_lo, exec_lo, s0
	v_lshrrev_b32_e32 v32, 16, v0
	v_mov_b64_e32 v[28:29], 0
	v_mov_b64_e32 v[30:31], 0
	s_mov_b32 s0, exec_lo
	v_and_b32_e32 v16, 0xff, v32
	s_delay_alu instid0(VALU_DEP_1)
	v_cmpx_ne_u16_e32 0, v16
	s_cbranch_execz .LBB193_384
; %bb.377:                              ;   in Loop: Header=BB193_360 Depth=1
	v_mov_b64_e32 v[30:31], 0x80000000
	s_mov_b32 s11, exec_lo
	v_cmpx_ne_u16_e32 0x80, v16
	s_cbranch_execz .LBB193_383
; %bb.378:                              ;   in Loop: Header=BB193_360 Depth=1
	v_mov_b64_e32 v[30:31], 0x7f800001
	v_bfe_u32 v33, v0, 16, 7
	s_mov_b32 s14, exec_lo
	s_delay_alu instid0(VALU_DEP_1)
	v_cmpx_ne_u32_e32 0x7f, v33
	s_cbranch_execz .LBB193_382
; %bb.379:                              ;   in Loop: Header=BB193_360 Depth=1
	v_dual_lshrrev_b32 v30, 3, v33 :: v_dual_bitop2_b32 v16, 7, v32 bitop3:0x40
	s_mov_b32 s15, exec_lo
	v_cmpx_gt_u32_e32 8, v33
; %bb.380:                              ;   in Loop: Header=BB193_360 Depth=1
	s_delay_alu instid0(VALU_DEP_2) | instskip(NEXT) | instid1(VALU_DEP_1)
	v_clz_i32_u32_e32 v30, v16
	v_min_u32_e32 v30, 32, v30
	s_delay_alu instid0(VALU_DEP_1) | instskip(SKIP_1) | instid1(VALU_DEP_2)
	v_subrev_nc_u32_e32 v31, 28, v30
	v_sub_nc_u32_e32 v30, 29, v30
	v_lshlrev_b64_e32 v[34:35], v31, v[16:17]
	s_delay_alu instid0(VALU_DEP_1)
	v_and_b32_e32 v16, 7, v34
; %bb.381:                              ;   in Loop: Header=BB193_360 Depth=1
	s_or_b32 exec_lo, exec_lo, s15
	v_lshlrev_b32_e32 v31, 24, v32
	s_delay_alu instid0(VALU_DEP_2) | instskip(SKIP_1) | instid1(VALU_DEP_3)
	v_lshlrev_b32_e32 v16, 20, v16
	v_lshl_add_u32 v30, v30, 23, 0x3c000000
	v_and_b32_e32 v31, 0x80000000, v31
	s_delay_alu instid0(VALU_DEP_1) | instskip(NEXT) | instid1(VALU_DEP_1)
	v_or3_b32 v16, v16, v31, v30
	v_mov_b64_e32 v[30:31], v[16:17]
.LBB193_382:                            ;   in Loop: Header=BB193_360 Depth=1
	s_or_b32 exec_lo, exec_lo, s14
.LBB193_383:                            ;   in Loop: Header=BB193_360 Depth=1
	s_delay_alu instid0(SALU_CYCLE_1)
	s_or_b32 exec_lo, exec_lo, s11
.LBB193_384:                            ;   in Loop: Header=BB193_360 Depth=1
	s_delay_alu instid0(SALU_CYCLE_1) | instskip(NEXT) | instid1(SALU_CYCLE_1)
	s_or_b32 exec_lo, exec_lo, s0
	s_mov_b32 s0, exec_lo
	v_cmpx_lt_u32_e32 0xffffff, v0
	s_cbranch_execz .LBB193_392
; %bb.385:                              ;   in Loop: Header=BB193_360 Depth=1
	v_mov_b64_e32 v[28:29], 0x8000000000000000
	v_lshrrev_b32_e32 v32, 24, v0
	s_mov_b32 s11, exec_lo
	s_delay_alu instid0(VALU_DEP_1)
	v_cmpx_ne_u32_e32 0x80, v32
	s_cbranch_execz .LBB193_391
; %bb.386:                              ;   in Loop: Header=BB193_360 Depth=1
	v_mov_b64_e32 v[28:29], 0x7f80000100000000
	v_bfe_u32 v33, v0, 24, 7
	s_mov_b32 s14, exec_lo
	s_delay_alu instid0(VALU_DEP_1)
	v_cmpx_ne_u32_e32 0x7f, v33
	s_cbranch_execz .LBB193_390
; %bb.387:                              ;   in Loop: Header=BB193_360 Depth=1
	v_dual_lshrrev_b32 v0, 3, v33 :: v_dual_bitop2_b32 v16, 7, v32 bitop3:0x40
	s_mov_b32 s15, exec_lo
	v_cmpx_gt_u32_e32 8, v33
; %bb.388:                              ;   in Loop: Header=BB193_360 Depth=1
	s_delay_alu instid0(VALU_DEP_2) | instskip(NEXT) | instid1(VALU_DEP_1)
	v_clz_i32_u32_e32 v0, v16
	v_min_u32_e32 v0, 32, v0
	s_delay_alu instid0(VALU_DEP_1) | instskip(SKIP_1) | instid1(VALU_DEP_2)
	v_subrev_nc_u32_e32 v28, 28, v0
	v_sub_nc_u32_e32 v0, 29, v0
	v_lshlrev_b64_e32 v[28:29], v28, v[16:17]
	s_delay_alu instid0(VALU_DEP_1)
	v_and_b32_e32 v16, 7, v28
; %bb.389:                              ;   in Loop: Header=BB193_360 Depth=1
	s_or_b32 exec_lo, exec_lo, s15
	v_lshlrev_b32_e32 v28, 24, v32
	s_delay_alu instid0(VALU_DEP_2) | instskip(SKIP_1) | instid1(VALU_DEP_3)
	v_lshlrev_b32_e32 v16, 20, v16
	v_lshl_add_u32 v0, v0, 23, 0x3c000000
	v_and_b32_e32 v28, 0x80000000, v28
	s_delay_alu instid0(VALU_DEP_1)
	v_or3_b32 v29, v16, v28, v0
	v_mov_b32_e32 v28, v17
.LBB193_390:                            ;   in Loop: Header=BB193_360 Depth=1
	s_or_b32 exec_lo, exec_lo, s14
.LBB193_391:                            ;   in Loop: Header=BB193_360 Depth=1
	s_delay_alu instid0(SALU_CYCLE_1)
	s_or_b32 exec_lo, exec_lo, s11
.LBB193_392:                            ;   in Loop: Header=BB193_360 Depth=1
	s_delay_alu instid0(SALU_CYCLE_1)
	s_or_b32 exec_lo, exec_lo, s0
	v_mov_b64_e32 v[32:33], s[2:3]
	v_or_b32_e32 v23, v23, v25
	v_dual_add_nc_u32 v0, 1, v1 :: v_dual_bitop2_b32 v22, v22, v24 bitop3:0x54
	v_dual_add_nc_u32 v65, 2, v1 :: v_dual_bitop2_b32 v29, v29, v31 bitop3:0x54
	;; [unrolled: 1-line block ×3, first 2 shown]
	v_cmp_eq_u32_e32 vcc_lo, s7, v71
	s_delay_alu instid0(VALU_DEP_4) | instskip(NEXT) | instid1(VALU_DEP_3)
	v_pk_mul_f32 v[24:25], v[32:33], v[22:23]
	v_pk_mul_f32 v[22:23], v[32:33], v[28:29]
	s_and_saveexec_b32 s11, vcc_lo
	s_cbranch_execz .LBB193_394
; %bb.393:                              ;   in Loop: Header=BB193_360 Depth=1
	v_cmp_gt_i32_e64 s0, s25, v1
	s_delay_alu instid0(VALU_DEP_1) | instskip(SKIP_1) | instid1(VALU_DEP_1)
	v_cndmask_b32_e64 v24, 0, v24, s0
	v_cmp_gt_i32_e64 s0, s25, v0
	v_cndmask_b32_e64 v25, 0, v25, s0
	v_cmp_gt_i32_e64 s0, s25, v65
	s_delay_alu instid0(VALU_DEP_1) | instskip(SKIP_1) | instid1(VALU_DEP_1)
	v_cndmask_b32_e64 v22, 0, v22, s0
	v_cmp_gt_i32_e64 s0, s25, v64
	v_cndmask_b32_e64 v23, 0, v23, s0
.LBB193_394:                            ;   in Loop: Header=BB193_360 Depth=1
	s_or_b32 exec_lo, exec_lo, s11
	global_load_b32 v36, v[26:27], off offset:128
	v_mov_b64_e32 v[28:29], 0
	v_mov_b64_e32 v[30:31], 0
	s_mov_b32 s11, exec_lo
	s_wait_loadcnt 0x0
	v_and_b32_e32 v16, 0xff, v36
	s_delay_alu instid0(VALU_DEP_1)
	v_cmpx_ne_u16_e32 0, v16
	s_cbranch_execz .LBB193_402
; %bb.395:                              ;   in Loop: Header=BB193_360 Depth=1
	v_mov_b64_e32 v[30:31], 0x80000000
	s_mov_b32 s14, exec_lo
	v_cmpx_ne_u16_e32 0x80, v16
	s_cbranch_execz .LBB193_401
; %bb.396:                              ;   in Loop: Header=BB193_360 Depth=1
	v_mov_b64_e32 v[30:31], 0x7f800001
	v_and_b32_e32 v32, 0x7f, v36
	s_mov_b32 s15, exec_lo
	s_delay_alu instid0(VALU_DEP_1)
	v_cmpx_ne_u32_e32 0x7f, v32
	s_cbranch_execz .LBB193_400
; %bb.397:                              ;   in Loop: Header=BB193_360 Depth=1
	v_and_b32_e32 v16, 7, v36
	v_lshrrev_b32_e32 v30, 3, v32
	s_mov_b32 s16, exec_lo
	v_cmpx_gt_u32_e32 8, v32
; %bb.398:                              ;   in Loop: Header=BB193_360 Depth=1
	s_delay_alu instid0(VALU_DEP_3) | instskip(NEXT) | instid1(VALU_DEP_1)
	v_clz_i32_u32_e32 v30, v16
	v_min_u32_e32 v30, 32, v30
	s_delay_alu instid0(VALU_DEP_1) | instskip(NEXT) | instid1(VALU_DEP_1)
	v_subrev_nc_u32_e32 v31, 28, v30
	v_lshlrev_b64_e32 v[32:33], v31, v[16:17]
	s_delay_alu instid0(VALU_DEP_1)
	v_dual_sub_nc_u32 v30, 29, v30 :: v_dual_bitop2_b32 v16, 7, v32 bitop3:0x40
; %bb.399:                              ;   in Loop: Header=BB193_360 Depth=1
	s_or_b32 exec_lo, exec_lo, s16
	v_lshlrev_b32_e32 v31, 24, v36
	s_delay_alu instid0(VALU_DEP_2) | instskip(NEXT) | instid1(VALU_DEP_3)
	v_lshlrev_b32_e32 v16, 20, v16
	v_lshl_add_u32 v30, v30, 23, 0x3c000000
	s_delay_alu instid0(VALU_DEP_3) | instskip(NEXT) | instid1(VALU_DEP_1)
	v_and_b32_e32 v31, 0x80000000, v31
	v_or3_b32 v16, v16, v31, v30
	s_delay_alu instid0(VALU_DEP_1)
	v_mov_b64_e32 v[30:31], v[16:17]
.LBB193_400:                            ;   in Loop: Header=BB193_360 Depth=1
	s_or_b32 exec_lo, exec_lo, s15
.LBB193_401:                            ;   in Loop: Header=BB193_360 Depth=1
	s_delay_alu instid0(SALU_CYCLE_1)
	s_or_b32 exec_lo, exec_lo, s14
.LBB193_402:                            ;   in Loop: Header=BB193_360 Depth=1
	s_delay_alu instid0(SALU_CYCLE_1) | instskip(SKIP_2) | instid1(VALU_DEP_1)
	s_or_b32 exec_lo, exec_lo, s11
	v_lshrrev_b16 v16, 8, v36
	s_mov_b32 s11, exec_lo
	v_cmpx_ne_u16_e32 0, v16
	s_cbranch_execz .LBB193_410
; %bb.403:                              ;   in Loop: Header=BB193_360 Depth=1
	v_mov_b64_e32 v[28:29], 0x8000000000000000
	s_mov_b32 s14, exec_lo
	v_cmpx_ne_u16_e32 0x80, v16
	s_cbranch_execz .LBB193_409
; %bb.404:                              ;   in Loop: Header=BB193_360 Depth=1
	v_and_b32_e32 v16, 0xffff, v16
	v_mov_b64_e32 v[28:29], 0x7f80000100000000
	s_mov_b32 s15, exec_lo
	s_delay_alu instid0(VALU_DEP_2) | instskip(NEXT) | instid1(VALU_DEP_1)
	v_and_b32_e32 v32, 0x7f, v16
	v_cmpx_ne_u32_e32 0x7f, v32
	s_cbranch_execz .LBB193_408
; %bb.405:                              ;   in Loop: Header=BB193_360 Depth=1
	v_and_b32_e32 v16, 7, v16
	v_lshrrev_b32_e32 v28, 3, v32
	s_mov_b32 s16, exec_lo
	v_cmpx_gt_u32_e32 8, v32
; %bb.406:                              ;   in Loop: Header=BB193_360 Depth=1
	s_delay_alu instid0(VALU_DEP_3) | instskip(NEXT) | instid1(VALU_DEP_1)
	v_clz_i32_u32_e32 v28, v16
	v_min_u32_e32 v28, 32, v28
	s_delay_alu instid0(VALU_DEP_1) | instskip(SKIP_1) | instid1(VALU_DEP_2)
	v_subrev_nc_u32_e32 v29, 28, v28
	v_sub_nc_u32_e32 v28, 29, v28
	v_lshlrev_b64_e32 v[32:33], v29, v[16:17]
	s_delay_alu instid0(VALU_DEP_1)
	v_and_b32_e32 v16, 7, v32
; %bb.407:                              ;   in Loop: Header=BB193_360 Depth=1
	s_or_b32 exec_lo, exec_lo, s16
	v_lshlrev_b32_e32 v29, 16, v36
	s_delay_alu instid0(VALU_DEP_2) | instskip(SKIP_1) | instid1(VALU_DEP_3)
	v_lshlrev_b32_e32 v16, 20, v16
	v_lshl_add_u32 v28, v28, 23, 0x3c000000
	v_and_b32_e32 v29, 0x80000000, v29
	s_delay_alu instid0(VALU_DEP_1)
	v_or3_b32 v29, v16, v29, v28
	v_mov_b32_e32 v28, v17
.LBB193_408:                            ;   in Loop: Header=BB193_360 Depth=1
	s_or_b32 exec_lo, exec_lo, s15
.LBB193_409:                            ;   in Loop: Header=BB193_360 Depth=1
	s_delay_alu instid0(SALU_CYCLE_1)
	s_or_b32 exec_lo, exec_lo, s14
.LBB193_410:                            ;   in Loop: Header=BB193_360 Depth=1
	s_delay_alu instid0(SALU_CYCLE_1) | instskip(SKIP_4) | instid1(VALU_DEP_3)
	s_or_b32 exec_lo, exec_lo, s11
	v_lshrrev_b32_e32 v37, 16, v36
	v_mov_b64_e32 v[32:33], 0
	v_mov_b64_e32 v[34:35], 0
	s_mov_b32 s11, exec_lo
	v_and_b32_e32 v16, 0xff, v37
	s_delay_alu instid0(VALU_DEP_1)
	v_cmpx_ne_u16_e32 0, v16
	s_cbranch_execz .LBB193_418
; %bb.411:                              ;   in Loop: Header=BB193_360 Depth=1
	v_mov_b64_e32 v[34:35], 0x80000000
	s_mov_b32 s14, exec_lo
	v_cmpx_ne_u16_e32 0x80, v16
	s_cbranch_execz .LBB193_417
; %bb.412:                              ;   in Loop: Header=BB193_360 Depth=1
	v_mov_b64_e32 v[34:35], 0x7f800001
	v_bfe_u32 v38, v36, 16, 7
	s_mov_b32 s15, exec_lo
	s_delay_alu instid0(VALU_DEP_1)
	v_cmpx_ne_u32_e32 0x7f, v38
	s_cbranch_execz .LBB193_416
; %bb.413:                              ;   in Loop: Header=BB193_360 Depth=1
	v_dual_lshrrev_b32 v34, 3, v38 :: v_dual_bitop2_b32 v16, 7, v37 bitop3:0x40
	s_mov_b32 s16, exec_lo
	v_cmpx_gt_u32_e32 8, v38
; %bb.414:                              ;   in Loop: Header=BB193_360 Depth=1
	s_delay_alu instid0(VALU_DEP_2) | instskip(NEXT) | instid1(VALU_DEP_1)
	v_clz_i32_u32_e32 v34, v16
	v_min_u32_e32 v34, 32, v34
	s_delay_alu instid0(VALU_DEP_1) | instskip(SKIP_1) | instid1(VALU_DEP_2)
	v_subrev_nc_u32_e32 v35, 28, v34
	v_sub_nc_u32_e32 v34, 29, v34
	v_lshlrev_b64_e32 v[38:39], v35, v[16:17]
	s_delay_alu instid0(VALU_DEP_1)
	v_and_b32_e32 v16, 7, v38
; %bb.415:                              ;   in Loop: Header=BB193_360 Depth=1
	s_or_b32 exec_lo, exec_lo, s16
	s_delay_alu instid0(VALU_DEP_1) | instskip(SKIP_1) | instid1(VALU_DEP_2)
	v_dual_lshlrev_b32 v35, 24, v37 :: v_dual_lshlrev_b32 v16, 20, v16
	v_lshl_add_u32 v34, v34, 23, 0x3c000000
	v_and_b32_e32 v35, 0x80000000, v35
	s_delay_alu instid0(VALU_DEP_1) | instskip(NEXT) | instid1(VALU_DEP_1)
	v_or3_b32 v16, v16, v35, v34
	v_mov_b64_e32 v[34:35], v[16:17]
.LBB193_416:                            ;   in Loop: Header=BB193_360 Depth=1
	s_or_b32 exec_lo, exec_lo, s15
.LBB193_417:                            ;   in Loop: Header=BB193_360 Depth=1
	s_delay_alu instid0(SALU_CYCLE_1)
	s_or_b32 exec_lo, exec_lo, s14
.LBB193_418:                            ;   in Loop: Header=BB193_360 Depth=1
	s_delay_alu instid0(SALU_CYCLE_1) | instskip(NEXT) | instid1(SALU_CYCLE_1)
	s_or_b32 exec_lo, exec_lo, s11
	s_mov_b32 s11, exec_lo
	v_cmpx_lt_u32_e32 0xffffff, v36
	s_cbranch_execz .LBB193_426
; %bb.419:                              ;   in Loop: Header=BB193_360 Depth=1
	v_mov_b64_e32 v[32:33], 0x8000000000000000
	v_lshrrev_b32_e32 v37, 24, v36
	s_mov_b32 s14, exec_lo
	s_delay_alu instid0(VALU_DEP_1)
	v_cmpx_ne_u32_e32 0x80, v37
	s_cbranch_execz .LBB193_425
; %bb.420:                              ;   in Loop: Header=BB193_360 Depth=1
	v_mov_b64_e32 v[32:33], 0x7f80000100000000
	v_bfe_u32 v36, v36, 24, 7
	s_mov_b32 s15, exec_lo
	s_delay_alu instid0(VALU_DEP_1)
	v_cmpx_ne_u32_e32 0x7f, v36
	s_cbranch_execz .LBB193_424
; %bb.421:                              ;   in Loop: Header=BB193_360 Depth=1
	v_dual_lshrrev_b32 v32, 3, v36 :: v_dual_bitop2_b32 v16, 7, v37 bitop3:0x40
	s_mov_b32 s16, exec_lo
	v_cmpx_gt_u32_e32 8, v36
; %bb.422:                              ;   in Loop: Header=BB193_360 Depth=1
	s_delay_alu instid0(VALU_DEP_2) | instskip(NEXT) | instid1(VALU_DEP_1)
	v_clz_i32_u32_e32 v32, v16
	v_min_u32_e32 v32, 32, v32
	s_delay_alu instid0(VALU_DEP_1) | instskip(NEXT) | instid1(VALU_DEP_1)
	v_subrev_nc_u32_e32 v33, 28, v32
	v_lshlrev_b64_e32 v[38:39], v33, v[16:17]
	s_delay_alu instid0(VALU_DEP_1)
	v_dual_sub_nc_u32 v32, 29, v32 :: v_dual_bitop2_b32 v16, 7, v38 bitop3:0x40
; %bb.423:                              ;   in Loop: Header=BB193_360 Depth=1
	s_or_b32 exec_lo, exec_lo, s16
	s_delay_alu instid0(VALU_DEP_1) | instskip(NEXT) | instid1(VALU_DEP_2)
	v_dual_lshlrev_b32 v33, 24, v37 :: v_dual_lshlrev_b32 v16, 20, v16
	v_lshl_add_u32 v32, v32, 23, 0x3c000000
	s_delay_alu instid0(VALU_DEP_2) | instskip(NEXT) | instid1(VALU_DEP_1)
	v_and_b32_e32 v33, 0x80000000, v33
	v_or3_b32 v33, v16, v33, v32
	v_mov_b32_e32 v32, v17
.LBB193_424:                            ;   in Loop: Header=BB193_360 Depth=1
	s_or_b32 exec_lo, exec_lo, s15
.LBB193_425:                            ;   in Loop: Header=BB193_360 Depth=1
	s_delay_alu instid0(SALU_CYCLE_1)
	s_or_b32 exec_lo, exec_lo, s14
.LBB193_426:                            ;   in Loop: Header=BB193_360 Depth=1
	s_delay_alu instid0(SALU_CYCLE_1)
	s_or_b32 exec_lo, exec_lo, s11
	v_mov_b64_e32 v[36:37], s[2:3]
	v_or_b32_e32 v29, v29, v31
	v_or_b32_e32 v28, v28, v30
	;; [unrolled: 1-line block ×4, first 2 shown]
	s_delay_alu instid0(VALU_DEP_3) | instskip(NEXT) | instid1(VALU_DEP_2)
	v_pk_mul_f32 v[30:31], v[36:37], v[28:29]
	v_pk_mul_f32 v[28:29], v[36:37], v[32:33]
	s_and_saveexec_b32 s11, vcc_lo
	s_cbranch_execz .LBB193_428
; %bb.427:                              ;   in Loop: Header=BB193_360 Depth=1
	v_cmp_gt_i32_e64 s0, s25, v1
	s_delay_alu instid0(VALU_DEP_1) | instskip(SKIP_1) | instid1(VALU_DEP_1)
	v_cndmask_b32_e64 v30, 0, v30, s0
	v_cmp_gt_i32_e64 s0, s25, v0
	v_cndmask_b32_e64 v31, 0, v31, s0
	v_cmp_gt_i32_e64 s0, s25, v65
	s_delay_alu instid0(VALU_DEP_1) | instskip(SKIP_1) | instid1(VALU_DEP_1)
	v_cndmask_b32_e64 v28, 0, v28, s0
	v_cmp_gt_i32_e64 s0, s25, v64
	v_cndmask_b32_e64 v29, 0, v29, s0
.LBB193_428:                            ;   in Loop: Header=BB193_360 Depth=1
	s_or_b32 exec_lo, exec_lo, s11
	global_load_b32 v40, v[26:27], off offset:256
	v_mov_b64_e32 v[32:33], 0
	v_mov_b64_e32 v[34:35], 0
	s_mov_b32 s11, exec_lo
	s_wait_loadcnt 0x0
	v_and_b32_e32 v16, 0xff, v40
	s_delay_alu instid0(VALU_DEP_1)
	v_cmpx_ne_u16_e32 0, v16
	s_cbranch_execz .LBB193_436
; %bb.429:                              ;   in Loop: Header=BB193_360 Depth=1
	v_mov_b64_e32 v[34:35], 0x80000000
	s_mov_b32 s14, exec_lo
	v_cmpx_ne_u16_e32 0x80, v16
	s_cbranch_execz .LBB193_435
; %bb.430:                              ;   in Loop: Header=BB193_360 Depth=1
	v_mov_b64_e32 v[34:35], 0x7f800001
	v_and_b32_e32 v36, 0x7f, v40
	s_mov_b32 s15, exec_lo
	s_delay_alu instid0(VALU_DEP_1)
	v_cmpx_ne_u32_e32 0x7f, v36
	s_cbranch_execz .LBB193_434
; %bb.431:                              ;   in Loop: Header=BB193_360 Depth=1
	v_and_b32_e32 v16, 7, v40
	v_lshrrev_b32_e32 v34, 3, v36
	s_mov_b32 s16, exec_lo
	v_cmpx_gt_u32_e32 8, v36
; %bb.432:                              ;   in Loop: Header=BB193_360 Depth=1
	s_delay_alu instid0(VALU_DEP_3) | instskip(NEXT) | instid1(VALU_DEP_1)
	v_clz_i32_u32_e32 v34, v16
	v_min_u32_e32 v34, 32, v34
	s_delay_alu instid0(VALU_DEP_1) | instskip(NEXT) | instid1(VALU_DEP_1)
	v_subrev_nc_u32_e32 v35, 28, v34
	v_lshlrev_b64_e32 v[36:37], v35, v[16:17]
	s_delay_alu instid0(VALU_DEP_1)
	v_dual_sub_nc_u32 v34, 29, v34 :: v_dual_bitop2_b32 v16, 7, v36 bitop3:0x40
; %bb.433:                              ;   in Loop: Header=BB193_360 Depth=1
	s_or_b32 exec_lo, exec_lo, s16
	v_lshlrev_b32_e32 v35, 24, v40
	s_delay_alu instid0(VALU_DEP_2) | instskip(NEXT) | instid1(VALU_DEP_3)
	v_lshlrev_b32_e32 v16, 20, v16
	v_lshl_add_u32 v34, v34, 23, 0x3c000000
	s_delay_alu instid0(VALU_DEP_3) | instskip(NEXT) | instid1(VALU_DEP_1)
	v_and_b32_e32 v35, 0x80000000, v35
	v_or3_b32 v16, v16, v35, v34
	s_delay_alu instid0(VALU_DEP_1)
	v_mov_b64_e32 v[34:35], v[16:17]
.LBB193_434:                            ;   in Loop: Header=BB193_360 Depth=1
	s_or_b32 exec_lo, exec_lo, s15
.LBB193_435:                            ;   in Loop: Header=BB193_360 Depth=1
	s_delay_alu instid0(SALU_CYCLE_1)
	s_or_b32 exec_lo, exec_lo, s14
.LBB193_436:                            ;   in Loop: Header=BB193_360 Depth=1
	s_delay_alu instid0(SALU_CYCLE_1) | instskip(SKIP_2) | instid1(VALU_DEP_1)
	s_or_b32 exec_lo, exec_lo, s11
	v_lshrrev_b16 v16, 8, v40
	s_mov_b32 s11, exec_lo
	v_cmpx_ne_u16_e32 0, v16
	s_cbranch_execz .LBB193_444
; %bb.437:                              ;   in Loop: Header=BB193_360 Depth=1
	v_mov_b64_e32 v[32:33], 0x8000000000000000
	s_mov_b32 s14, exec_lo
	v_cmpx_ne_u16_e32 0x80, v16
	s_cbranch_execz .LBB193_443
; %bb.438:                              ;   in Loop: Header=BB193_360 Depth=1
	v_and_b32_e32 v16, 0xffff, v16
	v_mov_b64_e32 v[32:33], 0x7f80000100000000
	s_mov_b32 s15, exec_lo
	s_delay_alu instid0(VALU_DEP_2) | instskip(NEXT) | instid1(VALU_DEP_1)
	v_and_b32_e32 v36, 0x7f, v16
	v_cmpx_ne_u32_e32 0x7f, v36
	s_cbranch_execz .LBB193_442
; %bb.439:                              ;   in Loop: Header=BB193_360 Depth=1
	v_and_b32_e32 v16, 7, v16
	v_lshrrev_b32_e32 v32, 3, v36
	s_mov_b32 s16, exec_lo
	v_cmpx_gt_u32_e32 8, v36
; %bb.440:                              ;   in Loop: Header=BB193_360 Depth=1
	s_delay_alu instid0(VALU_DEP_3) | instskip(NEXT) | instid1(VALU_DEP_1)
	v_clz_i32_u32_e32 v32, v16
	v_min_u32_e32 v32, 32, v32
	s_delay_alu instid0(VALU_DEP_1) | instskip(SKIP_1) | instid1(VALU_DEP_2)
	v_subrev_nc_u32_e32 v33, 28, v32
	v_sub_nc_u32_e32 v32, 29, v32
	v_lshlrev_b64_e32 v[36:37], v33, v[16:17]
	s_delay_alu instid0(VALU_DEP_1)
	v_and_b32_e32 v16, 7, v36
; %bb.441:                              ;   in Loop: Header=BB193_360 Depth=1
	s_or_b32 exec_lo, exec_lo, s16
	v_lshlrev_b32_e32 v33, 16, v40
	s_delay_alu instid0(VALU_DEP_2) | instskip(SKIP_1) | instid1(VALU_DEP_3)
	v_lshlrev_b32_e32 v16, 20, v16
	v_lshl_add_u32 v32, v32, 23, 0x3c000000
	v_and_b32_e32 v33, 0x80000000, v33
	s_delay_alu instid0(VALU_DEP_1)
	v_or3_b32 v33, v16, v33, v32
	v_mov_b32_e32 v32, v17
.LBB193_442:                            ;   in Loop: Header=BB193_360 Depth=1
	s_or_b32 exec_lo, exec_lo, s15
.LBB193_443:                            ;   in Loop: Header=BB193_360 Depth=1
	s_delay_alu instid0(SALU_CYCLE_1)
	s_or_b32 exec_lo, exec_lo, s14
.LBB193_444:                            ;   in Loop: Header=BB193_360 Depth=1
	s_delay_alu instid0(SALU_CYCLE_1) | instskip(SKIP_4) | instid1(VALU_DEP_3)
	s_or_b32 exec_lo, exec_lo, s11
	v_lshrrev_b32_e32 v41, 16, v40
	v_mov_b64_e32 v[36:37], 0
	v_mov_b64_e32 v[38:39], 0
	s_mov_b32 s11, exec_lo
	v_and_b32_e32 v16, 0xff, v41
	s_delay_alu instid0(VALU_DEP_1)
	v_cmpx_ne_u16_e32 0, v16
	s_cbranch_execz .LBB193_452
; %bb.445:                              ;   in Loop: Header=BB193_360 Depth=1
	v_mov_b64_e32 v[38:39], 0x80000000
	s_mov_b32 s14, exec_lo
	v_cmpx_ne_u16_e32 0x80, v16
	s_cbranch_execz .LBB193_451
; %bb.446:                              ;   in Loop: Header=BB193_360 Depth=1
	v_mov_b64_e32 v[38:39], 0x7f800001
	v_bfe_u32 v42, v40, 16, 7
	s_mov_b32 s15, exec_lo
	s_delay_alu instid0(VALU_DEP_1)
	v_cmpx_ne_u32_e32 0x7f, v42
	s_cbranch_execz .LBB193_450
; %bb.447:                              ;   in Loop: Header=BB193_360 Depth=1
	v_dual_lshrrev_b32 v38, 3, v42 :: v_dual_bitop2_b32 v16, 7, v41 bitop3:0x40
	s_mov_b32 s16, exec_lo
	v_cmpx_gt_u32_e32 8, v42
; %bb.448:                              ;   in Loop: Header=BB193_360 Depth=1
	s_delay_alu instid0(VALU_DEP_2) | instskip(NEXT) | instid1(VALU_DEP_1)
	v_clz_i32_u32_e32 v38, v16
	v_min_u32_e32 v38, 32, v38
	s_delay_alu instid0(VALU_DEP_1) | instskip(SKIP_1) | instid1(VALU_DEP_2)
	v_subrev_nc_u32_e32 v39, 28, v38
	v_sub_nc_u32_e32 v38, 29, v38
	v_lshlrev_b64_e32 v[42:43], v39, v[16:17]
	s_delay_alu instid0(VALU_DEP_1)
	v_and_b32_e32 v16, 7, v42
; %bb.449:                              ;   in Loop: Header=BB193_360 Depth=1
	s_or_b32 exec_lo, exec_lo, s16
	s_delay_alu instid0(VALU_DEP_1) | instskip(SKIP_1) | instid1(VALU_DEP_2)
	v_dual_lshlrev_b32 v39, 24, v41 :: v_dual_lshlrev_b32 v16, 20, v16
	v_lshl_add_u32 v38, v38, 23, 0x3c000000
	v_and_b32_e32 v39, 0x80000000, v39
	s_delay_alu instid0(VALU_DEP_1) | instskip(NEXT) | instid1(VALU_DEP_1)
	v_or3_b32 v16, v16, v39, v38
	v_mov_b64_e32 v[38:39], v[16:17]
.LBB193_450:                            ;   in Loop: Header=BB193_360 Depth=1
	s_or_b32 exec_lo, exec_lo, s15
.LBB193_451:                            ;   in Loop: Header=BB193_360 Depth=1
	s_delay_alu instid0(SALU_CYCLE_1)
	s_or_b32 exec_lo, exec_lo, s14
.LBB193_452:                            ;   in Loop: Header=BB193_360 Depth=1
	s_delay_alu instid0(SALU_CYCLE_1) | instskip(NEXT) | instid1(SALU_CYCLE_1)
	s_or_b32 exec_lo, exec_lo, s11
	s_mov_b32 s11, exec_lo
	v_cmpx_lt_u32_e32 0xffffff, v40
	s_cbranch_execz .LBB193_460
; %bb.453:                              ;   in Loop: Header=BB193_360 Depth=1
	v_mov_b64_e32 v[36:37], 0x8000000000000000
	v_lshrrev_b32_e32 v41, 24, v40
	s_mov_b32 s14, exec_lo
	s_delay_alu instid0(VALU_DEP_1)
	v_cmpx_ne_u32_e32 0x80, v41
	s_cbranch_execz .LBB193_459
; %bb.454:                              ;   in Loop: Header=BB193_360 Depth=1
	v_mov_b64_e32 v[36:37], 0x7f80000100000000
	v_bfe_u32 v40, v40, 24, 7
	s_mov_b32 s15, exec_lo
	s_delay_alu instid0(VALU_DEP_1)
	v_cmpx_ne_u32_e32 0x7f, v40
	s_cbranch_execz .LBB193_458
; %bb.455:                              ;   in Loop: Header=BB193_360 Depth=1
	v_dual_lshrrev_b32 v36, 3, v40 :: v_dual_bitop2_b32 v16, 7, v41 bitop3:0x40
	s_mov_b32 s16, exec_lo
	v_cmpx_gt_u32_e32 8, v40
; %bb.456:                              ;   in Loop: Header=BB193_360 Depth=1
	s_delay_alu instid0(VALU_DEP_2) | instskip(NEXT) | instid1(VALU_DEP_1)
	v_clz_i32_u32_e32 v36, v16
	v_min_u32_e32 v36, 32, v36
	s_delay_alu instid0(VALU_DEP_1) | instskip(NEXT) | instid1(VALU_DEP_1)
	v_subrev_nc_u32_e32 v37, 28, v36
	v_lshlrev_b64_e32 v[42:43], v37, v[16:17]
	s_delay_alu instid0(VALU_DEP_1)
	v_dual_sub_nc_u32 v36, 29, v36 :: v_dual_bitop2_b32 v16, 7, v42 bitop3:0x40
; %bb.457:                              ;   in Loop: Header=BB193_360 Depth=1
	s_or_b32 exec_lo, exec_lo, s16
	s_delay_alu instid0(VALU_DEP_1) | instskip(NEXT) | instid1(VALU_DEP_2)
	v_dual_lshlrev_b32 v37, 24, v41 :: v_dual_lshlrev_b32 v16, 20, v16
	v_lshl_add_u32 v36, v36, 23, 0x3c000000
	s_delay_alu instid0(VALU_DEP_2) | instskip(NEXT) | instid1(VALU_DEP_1)
	v_and_b32_e32 v37, 0x80000000, v37
	v_or3_b32 v37, v16, v37, v36
	v_mov_b32_e32 v36, v17
.LBB193_458:                            ;   in Loop: Header=BB193_360 Depth=1
	s_or_b32 exec_lo, exec_lo, s15
.LBB193_459:                            ;   in Loop: Header=BB193_360 Depth=1
	s_delay_alu instid0(SALU_CYCLE_1)
	s_or_b32 exec_lo, exec_lo, s14
.LBB193_460:                            ;   in Loop: Header=BB193_360 Depth=1
	s_delay_alu instid0(SALU_CYCLE_1)
	s_or_b32 exec_lo, exec_lo, s11
	v_mov_b64_e32 v[40:41], s[2:3]
	v_or_b32_e32 v33, v33, v35
	v_or_b32_e32 v32, v32, v34
	;; [unrolled: 1-line block ×4, first 2 shown]
	s_delay_alu instid0(VALU_DEP_3) | instskip(NEXT) | instid1(VALU_DEP_2)
	v_pk_mul_f32 v[34:35], v[40:41], v[32:33]
	v_pk_mul_f32 v[32:33], v[40:41], v[36:37]
	s_and_saveexec_b32 s11, vcc_lo
	s_cbranch_execz .LBB193_462
; %bb.461:                              ;   in Loop: Header=BB193_360 Depth=1
	v_cmp_gt_i32_e64 s0, s25, v1
	s_delay_alu instid0(VALU_DEP_1) | instskip(SKIP_1) | instid1(VALU_DEP_1)
	v_cndmask_b32_e64 v34, 0, v34, s0
	v_cmp_gt_i32_e64 s0, s25, v0
	v_cndmask_b32_e64 v35, 0, v35, s0
	v_cmp_gt_i32_e64 s0, s25, v65
	s_delay_alu instid0(VALU_DEP_1) | instskip(SKIP_1) | instid1(VALU_DEP_1)
	v_cndmask_b32_e64 v32, 0, v32, s0
	v_cmp_gt_i32_e64 s0, s25, v64
	v_cndmask_b32_e64 v33, 0, v33, s0
.LBB193_462:                            ;   in Loop: Header=BB193_360 Depth=1
	s_or_b32 exec_lo, exec_lo, s11
	global_load_b32 v44, v[26:27], off offset:384
	v_mov_b64_e32 v[36:37], 0
	v_mov_b64_e32 v[38:39], 0
	s_mov_b32 s11, exec_lo
	s_wait_loadcnt 0x0
	v_and_b32_e32 v16, 0xff, v44
	s_delay_alu instid0(VALU_DEP_1)
	v_cmpx_ne_u16_e32 0, v16
	s_cbranch_execz .LBB193_470
; %bb.463:                              ;   in Loop: Header=BB193_360 Depth=1
	v_mov_b64_e32 v[38:39], 0x80000000
	s_mov_b32 s14, exec_lo
	v_cmpx_ne_u16_e32 0x80, v16
	s_cbranch_execz .LBB193_469
; %bb.464:                              ;   in Loop: Header=BB193_360 Depth=1
	v_mov_b64_e32 v[38:39], 0x7f800001
	v_and_b32_e32 v40, 0x7f, v44
	s_mov_b32 s15, exec_lo
	s_delay_alu instid0(VALU_DEP_1)
	v_cmpx_ne_u32_e32 0x7f, v40
	s_cbranch_execz .LBB193_468
; %bb.465:                              ;   in Loop: Header=BB193_360 Depth=1
	v_and_b32_e32 v16, 7, v44
	v_lshrrev_b32_e32 v38, 3, v40
	s_mov_b32 s16, exec_lo
	v_cmpx_gt_u32_e32 8, v40
; %bb.466:                              ;   in Loop: Header=BB193_360 Depth=1
	s_delay_alu instid0(VALU_DEP_3) | instskip(NEXT) | instid1(VALU_DEP_1)
	v_clz_i32_u32_e32 v38, v16
	v_min_u32_e32 v38, 32, v38
	s_delay_alu instid0(VALU_DEP_1) | instskip(NEXT) | instid1(VALU_DEP_1)
	v_subrev_nc_u32_e32 v39, 28, v38
	v_lshlrev_b64_e32 v[40:41], v39, v[16:17]
	s_delay_alu instid0(VALU_DEP_1)
	v_dual_sub_nc_u32 v38, 29, v38 :: v_dual_bitop2_b32 v16, 7, v40 bitop3:0x40
; %bb.467:                              ;   in Loop: Header=BB193_360 Depth=1
	s_or_b32 exec_lo, exec_lo, s16
	v_lshlrev_b32_e32 v39, 24, v44
	s_delay_alu instid0(VALU_DEP_2) | instskip(NEXT) | instid1(VALU_DEP_3)
	v_lshlrev_b32_e32 v16, 20, v16
	v_lshl_add_u32 v38, v38, 23, 0x3c000000
	s_delay_alu instid0(VALU_DEP_3) | instskip(NEXT) | instid1(VALU_DEP_1)
	v_and_b32_e32 v39, 0x80000000, v39
	v_or3_b32 v16, v16, v39, v38
	s_delay_alu instid0(VALU_DEP_1)
	v_mov_b64_e32 v[38:39], v[16:17]
.LBB193_468:                            ;   in Loop: Header=BB193_360 Depth=1
	s_or_b32 exec_lo, exec_lo, s15
.LBB193_469:                            ;   in Loop: Header=BB193_360 Depth=1
	s_delay_alu instid0(SALU_CYCLE_1)
	s_or_b32 exec_lo, exec_lo, s14
.LBB193_470:                            ;   in Loop: Header=BB193_360 Depth=1
	s_delay_alu instid0(SALU_CYCLE_1) | instskip(SKIP_2) | instid1(VALU_DEP_1)
	s_or_b32 exec_lo, exec_lo, s11
	v_lshrrev_b16 v16, 8, v44
	s_mov_b32 s11, exec_lo
	v_cmpx_ne_u16_e32 0, v16
	s_cbranch_execz .LBB193_478
; %bb.471:                              ;   in Loop: Header=BB193_360 Depth=1
	v_mov_b64_e32 v[36:37], 0x8000000000000000
	s_mov_b32 s14, exec_lo
	v_cmpx_ne_u16_e32 0x80, v16
	s_cbranch_execz .LBB193_477
; %bb.472:                              ;   in Loop: Header=BB193_360 Depth=1
	v_and_b32_e32 v16, 0xffff, v16
	v_mov_b64_e32 v[36:37], 0x7f80000100000000
	s_mov_b32 s15, exec_lo
	s_delay_alu instid0(VALU_DEP_2) | instskip(NEXT) | instid1(VALU_DEP_1)
	v_and_b32_e32 v40, 0x7f, v16
	v_cmpx_ne_u32_e32 0x7f, v40
	s_cbranch_execz .LBB193_476
; %bb.473:                              ;   in Loop: Header=BB193_360 Depth=1
	v_and_b32_e32 v16, 7, v16
	v_lshrrev_b32_e32 v36, 3, v40
	s_mov_b32 s16, exec_lo
	v_cmpx_gt_u32_e32 8, v40
; %bb.474:                              ;   in Loop: Header=BB193_360 Depth=1
	s_delay_alu instid0(VALU_DEP_3) | instskip(NEXT) | instid1(VALU_DEP_1)
	v_clz_i32_u32_e32 v36, v16
	v_min_u32_e32 v36, 32, v36
	s_delay_alu instid0(VALU_DEP_1) | instskip(SKIP_1) | instid1(VALU_DEP_2)
	v_subrev_nc_u32_e32 v37, 28, v36
	v_sub_nc_u32_e32 v36, 29, v36
	v_lshlrev_b64_e32 v[40:41], v37, v[16:17]
	s_delay_alu instid0(VALU_DEP_1)
	v_and_b32_e32 v16, 7, v40
; %bb.475:                              ;   in Loop: Header=BB193_360 Depth=1
	s_or_b32 exec_lo, exec_lo, s16
	v_lshlrev_b32_e32 v37, 16, v44
	s_delay_alu instid0(VALU_DEP_2) | instskip(SKIP_1) | instid1(VALU_DEP_3)
	v_lshlrev_b32_e32 v16, 20, v16
	v_lshl_add_u32 v36, v36, 23, 0x3c000000
	v_and_b32_e32 v37, 0x80000000, v37
	s_delay_alu instid0(VALU_DEP_1)
	v_or3_b32 v37, v16, v37, v36
	v_mov_b32_e32 v36, v17
.LBB193_476:                            ;   in Loop: Header=BB193_360 Depth=1
	s_or_b32 exec_lo, exec_lo, s15
.LBB193_477:                            ;   in Loop: Header=BB193_360 Depth=1
	s_delay_alu instid0(SALU_CYCLE_1)
	s_or_b32 exec_lo, exec_lo, s14
.LBB193_478:                            ;   in Loop: Header=BB193_360 Depth=1
	s_delay_alu instid0(SALU_CYCLE_1) | instskip(SKIP_4) | instid1(VALU_DEP_3)
	s_or_b32 exec_lo, exec_lo, s11
	v_lshrrev_b32_e32 v45, 16, v44
	v_mov_b64_e32 v[40:41], 0
	v_mov_b64_e32 v[42:43], 0
	s_mov_b32 s11, exec_lo
	v_and_b32_e32 v16, 0xff, v45
	s_delay_alu instid0(VALU_DEP_1)
	v_cmpx_ne_u16_e32 0, v16
	s_cbranch_execz .LBB193_486
; %bb.479:                              ;   in Loop: Header=BB193_360 Depth=1
	v_mov_b64_e32 v[42:43], 0x80000000
	s_mov_b32 s14, exec_lo
	v_cmpx_ne_u16_e32 0x80, v16
	s_cbranch_execz .LBB193_485
; %bb.480:                              ;   in Loop: Header=BB193_360 Depth=1
	v_mov_b64_e32 v[42:43], 0x7f800001
	v_bfe_u32 v46, v44, 16, 7
	s_mov_b32 s15, exec_lo
	s_delay_alu instid0(VALU_DEP_1)
	v_cmpx_ne_u32_e32 0x7f, v46
	s_cbranch_execz .LBB193_484
; %bb.481:                              ;   in Loop: Header=BB193_360 Depth=1
	v_dual_lshrrev_b32 v42, 3, v46 :: v_dual_bitop2_b32 v16, 7, v45 bitop3:0x40
	s_mov_b32 s16, exec_lo
	v_cmpx_gt_u32_e32 8, v46
; %bb.482:                              ;   in Loop: Header=BB193_360 Depth=1
	s_delay_alu instid0(VALU_DEP_2) | instskip(NEXT) | instid1(VALU_DEP_1)
	v_clz_i32_u32_e32 v42, v16
	v_min_u32_e32 v42, 32, v42
	s_delay_alu instid0(VALU_DEP_1) | instskip(SKIP_1) | instid1(VALU_DEP_2)
	v_subrev_nc_u32_e32 v43, 28, v42
	v_sub_nc_u32_e32 v42, 29, v42
	v_lshlrev_b64_e32 v[46:47], v43, v[16:17]
	s_delay_alu instid0(VALU_DEP_1)
	v_and_b32_e32 v16, 7, v46
; %bb.483:                              ;   in Loop: Header=BB193_360 Depth=1
	s_or_b32 exec_lo, exec_lo, s16
	s_delay_alu instid0(VALU_DEP_1) | instskip(SKIP_1) | instid1(VALU_DEP_2)
	v_dual_lshlrev_b32 v43, 24, v45 :: v_dual_lshlrev_b32 v16, 20, v16
	v_lshl_add_u32 v42, v42, 23, 0x3c000000
	v_and_b32_e32 v43, 0x80000000, v43
	s_delay_alu instid0(VALU_DEP_1) | instskip(NEXT) | instid1(VALU_DEP_1)
	v_or3_b32 v16, v16, v43, v42
	v_mov_b64_e32 v[42:43], v[16:17]
.LBB193_484:                            ;   in Loop: Header=BB193_360 Depth=1
	s_or_b32 exec_lo, exec_lo, s15
.LBB193_485:                            ;   in Loop: Header=BB193_360 Depth=1
	s_delay_alu instid0(SALU_CYCLE_1)
	s_or_b32 exec_lo, exec_lo, s14
.LBB193_486:                            ;   in Loop: Header=BB193_360 Depth=1
	s_delay_alu instid0(SALU_CYCLE_1) | instskip(NEXT) | instid1(SALU_CYCLE_1)
	s_or_b32 exec_lo, exec_lo, s11
	s_mov_b32 s11, exec_lo
	v_cmpx_lt_u32_e32 0xffffff, v44
	s_cbranch_execz .LBB193_494
; %bb.487:                              ;   in Loop: Header=BB193_360 Depth=1
	v_mov_b64_e32 v[40:41], 0x8000000000000000
	v_lshrrev_b32_e32 v45, 24, v44
	s_mov_b32 s14, exec_lo
	s_delay_alu instid0(VALU_DEP_1)
	v_cmpx_ne_u32_e32 0x80, v45
	s_cbranch_execz .LBB193_493
; %bb.488:                              ;   in Loop: Header=BB193_360 Depth=1
	v_mov_b64_e32 v[40:41], 0x7f80000100000000
	v_bfe_u32 v44, v44, 24, 7
	s_mov_b32 s15, exec_lo
	s_delay_alu instid0(VALU_DEP_1)
	v_cmpx_ne_u32_e32 0x7f, v44
	s_cbranch_execz .LBB193_492
; %bb.489:                              ;   in Loop: Header=BB193_360 Depth=1
	v_dual_lshrrev_b32 v40, 3, v44 :: v_dual_bitop2_b32 v16, 7, v45 bitop3:0x40
	s_mov_b32 s16, exec_lo
	v_cmpx_gt_u32_e32 8, v44
; %bb.490:                              ;   in Loop: Header=BB193_360 Depth=1
	s_delay_alu instid0(VALU_DEP_2) | instskip(NEXT) | instid1(VALU_DEP_1)
	v_clz_i32_u32_e32 v40, v16
	v_min_u32_e32 v40, 32, v40
	s_delay_alu instid0(VALU_DEP_1) | instskip(NEXT) | instid1(VALU_DEP_1)
	v_subrev_nc_u32_e32 v41, 28, v40
	v_lshlrev_b64_e32 v[46:47], v41, v[16:17]
	s_delay_alu instid0(VALU_DEP_1)
	v_dual_sub_nc_u32 v40, 29, v40 :: v_dual_bitop2_b32 v16, 7, v46 bitop3:0x40
; %bb.491:                              ;   in Loop: Header=BB193_360 Depth=1
	s_or_b32 exec_lo, exec_lo, s16
	s_delay_alu instid0(VALU_DEP_1) | instskip(NEXT) | instid1(VALU_DEP_2)
	v_dual_lshlrev_b32 v41, 24, v45 :: v_dual_lshlrev_b32 v16, 20, v16
	v_lshl_add_u32 v40, v40, 23, 0x3c000000
	s_delay_alu instid0(VALU_DEP_2) | instskip(NEXT) | instid1(VALU_DEP_1)
	v_and_b32_e32 v41, 0x80000000, v41
	v_or3_b32 v41, v16, v41, v40
	v_mov_b32_e32 v40, v17
.LBB193_492:                            ;   in Loop: Header=BB193_360 Depth=1
	s_or_b32 exec_lo, exec_lo, s15
.LBB193_493:                            ;   in Loop: Header=BB193_360 Depth=1
	s_delay_alu instid0(SALU_CYCLE_1)
	s_or_b32 exec_lo, exec_lo, s14
.LBB193_494:                            ;   in Loop: Header=BB193_360 Depth=1
	s_delay_alu instid0(SALU_CYCLE_1)
	s_or_b32 exec_lo, exec_lo, s11
	v_mov_b64_e32 v[44:45], s[2:3]
	v_or_b32_e32 v37, v37, v39
	v_or_b32_e32 v36, v36, v38
	;; [unrolled: 1-line block ×4, first 2 shown]
	s_delay_alu instid0(VALU_DEP_3) | instskip(NEXT) | instid1(VALU_DEP_2)
	v_pk_mul_f32 v[38:39], v[44:45], v[36:37]
	v_pk_mul_f32 v[36:37], v[44:45], v[40:41]
	s_and_saveexec_b32 s11, vcc_lo
	s_cbranch_execz .LBB193_496
; %bb.495:                              ;   in Loop: Header=BB193_360 Depth=1
	v_cmp_gt_i32_e64 s0, s25, v1
	s_delay_alu instid0(VALU_DEP_1) | instskip(SKIP_1) | instid1(VALU_DEP_1)
	v_cndmask_b32_e64 v38, 0, v38, s0
	v_cmp_gt_i32_e64 s0, s25, v0
	v_cndmask_b32_e64 v39, 0, v39, s0
	v_cmp_gt_i32_e64 s0, s25, v65
	s_delay_alu instid0(VALU_DEP_1) | instskip(SKIP_1) | instid1(VALU_DEP_1)
	v_cndmask_b32_e64 v36, 0, v36, s0
	v_cmp_gt_i32_e64 s0, s25, v64
	v_cndmask_b32_e64 v37, 0, v37, s0
.LBB193_496:                            ;   in Loop: Header=BB193_360 Depth=1
	s_or_b32 exec_lo, exec_lo, s11
	global_load_b32 v48, v[26:27], off offset:512
	v_mov_b64_e32 v[40:41], 0
	v_mov_b64_e32 v[42:43], 0
	s_mov_b32 s11, exec_lo
	s_wait_loadcnt 0x0
	v_and_b32_e32 v16, 0xff, v48
	s_delay_alu instid0(VALU_DEP_1)
	v_cmpx_ne_u16_e32 0, v16
	s_cbranch_execz .LBB193_504
; %bb.497:                              ;   in Loop: Header=BB193_360 Depth=1
	v_mov_b64_e32 v[42:43], 0x80000000
	s_mov_b32 s14, exec_lo
	v_cmpx_ne_u16_e32 0x80, v16
	s_cbranch_execz .LBB193_503
; %bb.498:                              ;   in Loop: Header=BB193_360 Depth=1
	v_mov_b64_e32 v[42:43], 0x7f800001
	v_and_b32_e32 v44, 0x7f, v48
	s_mov_b32 s15, exec_lo
	s_delay_alu instid0(VALU_DEP_1)
	v_cmpx_ne_u32_e32 0x7f, v44
	s_cbranch_execz .LBB193_502
; %bb.499:                              ;   in Loop: Header=BB193_360 Depth=1
	v_and_b32_e32 v16, 7, v48
	v_lshrrev_b32_e32 v42, 3, v44
	s_mov_b32 s16, exec_lo
	v_cmpx_gt_u32_e32 8, v44
; %bb.500:                              ;   in Loop: Header=BB193_360 Depth=1
	s_delay_alu instid0(VALU_DEP_3) | instskip(NEXT) | instid1(VALU_DEP_1)
	v_clz_i32_u32_e32 v42, v16
	v_min_u32_e32 v42, 32, v42
	s_delay_alu instid0(VALU_DEP_1) | instskip(NEXT) | instid1(VALU_DEP_1)
	v_subrev_nc_u32_e32 v43, 28, v42
	v_lshlrev_b64_e32 v[44:45], v43, v[16:17]
	s_delay_alu instid0(VALU_DEP_1)
	v_dual_sub_nc_u32 v42, 29, v42 :: v_dual_bitop2_b32 v16, 7, v44 bitop3:0x40
; %bb.501:                              ;   in Loop: Header=BB193_360 Depth=1
	s_or_b32 exec_lo, exec_lo, s16
	v_lshlrev_b32_e32 v43, 24, v48
	s_delay_alu instid0(VALU_DEP_2) | instskip(NEXT) | instid1(VALU_DEP_3)
	v_lshlrev_b32_e32 v16, 20, v16
	v_lshl_add_u32 v42, v42, 23, 0x3c000000
	s_delay_alu instid0(VALU_DEP_3) | instskip(NEXT) | instid1(VALU_DEP_1)
	v_and_b32_e32 v43, 0x80000000, v43
	v_or3_b32 v16, v16, v43, v42
	s_delay_alu instid0(VALU_DEP_1)
	v_mov_b64_e32 v[42:43], v[16:17]
.LBB193_502:                            ;   in Loop: Header=BB193_360 Depth=1
	s_or_b32 exec_lo, exec_lo, s15
.LBB193_503:                            ;   in Loop: Header=BB193_360 Depth=1
	s_delay_alu instid0(SALU_CYCLE_1)
	s_or_b32 exec_lo, exec_lo, s14
.LBB193_504:                            ;   in Loop: Header=BB193_360 Depth=1
	s_delay_alu instid0(SALU_CYCLE_1) | instskip(SKIP_2) | instid1(VALU_DEP_1)
	s_or_b32 exec_lo, exec_lo, s11
	v_lshrrev_b16 v16, 8, v48
	s_mov_b32 s11, exec_lo
	v_cmpx_ne_u16_e32 0, v16
	s_cbranch_execz .LBB193_512
; %bb.505:                              ;   in Loop: Header=BB193_360 Depth=1
	v_mov_b64_e32 v[40:41], 0x8000000000000000
	s_mov_b32 s14, exec_lo
	v_cmpx_ne_u16_e32 0x80, v16
	s_cbranch_execz .LBB193_511
; %bb.506:                              ;   in Loop: Header=BB193_360 Depth=1
	v_and_b32_e32 v16, 0xffff, v16
	v_mov_b64_e32 v[40:41], 0x7f80000100000000
	s_mov_b32 s15, exec_lo
	s_delay_alu instid0(VALU_DEP_2) | instskip(NEXT) | instid1(VALU_DEP_1)
	v_and_b32_e32 v44, 0x7f, v16
	v_cmpx_ne_u32_e32 0x7f, v44
	s_cbranch_execz .LBB193_510
; %bb.507:                              ;   in Loop: Header=BB193_360 Depth=1
	v_and_b32_e32 v16, 7, v16
	v_lshrrev_b32_e32 v40, 3, v44
	s_mov_b32 s16, exec_lo
	v_cmpx_gt_u32_e32 8, v44
; %bb.508:                              ;   in Loop: Header=BB193_360 Depth=1
	s_delay_alu instid0(VALU_DEP_3) | instskip(NEXT) | instid1(VALU_DEP_1)
	v_clz_i32_u32_e32 v40, v16
	v_min_u32_e32 v40, 32, v40
	s_delay_alu instid0(VALU_DEP_1) | instskip(SKIP_1) | instid1(VALU_DEP_2)
	v_subrev_nc_u32_e32 v41, 28, v40
	v_sub_nc_u32_e32 v40, 29, v40
	v_lshlrev_b64_e32 v[44:45], v41, v[16:17]
	s_delay_alu instid0(VALU_DEP_1)
	v_and_b32_e32 v16, 7, v44
; %bb.509:                              ;   in Loop: Header=BB193_360 Depth=1
	s_or_b32 exec_lo, exec_lo, s16
	v_lshlrev_b32_e32 v41, 16, v48
	s_delay_alu instid0(VALU_DEP_2) | instskip(SKIP_1) | instid1(VALU_DEP_3)
	v_lshlrev_b32_e32 v16, 20, v16
	v_lshl_add_u32 v40, v40, 23, 0x3c000000
	v_and_b32_e32 v41, 0x80000000, v41
	s_delay_alu instid0(VALU_DEP_1)
	v_or3_b32 v41, v16, v41, v40
	v_mov_b32_e32 v40, v17
.LBB193_510:                            ;   in Loop: Header=BB193_360 Depth=1
	s_or_b32 exec_lo, exec_lo, s15
.LBB193_511:                            ;   in Loop: Header=BB193_360 Depth=1
	s_delay_alu instid0(SALU_CYCLE_1)
	s_or_b32 exec_lo, exec_lo, s14
.LBB193_512:                            ;   in Loop: Header=BB193_360 Depth=1
	s_delay_alu instid0(SALU_CYCLE_1) | instskip(SKIP_4) | instid1(VALU_DEP_3)
	s_or_b32 exec_lo, exec_lo, s11
	v_lshrrev_b32_e32 v49, 16, v48
	v_mov_b64_e32 v[44:45], 0
	v_mov_b64_e32 v[46:47], 0
	s_mov_b32 s11, exec_lo
	v_and_b32_e32 v16, 0xff, v49
	s_delay_alu instid0(VALU_DEP_1)
	v_cmpx_ne_u16_e32 0, v16
	s_cbranch_execz .LBB193_520
; %bb.513:                              ;   in Loop: Header=BB193_360 Depth=1
	v_mov_b64_e32 v[46:47], 0x80000000
	s_mov_b32 s14, exec_lo
	v_cmpx_ne_u16_e32 0x80, v16
	s_cbranch_execz .LBB193_519
; %bb.514:                              ;   in Loop: Header=BB193_360 Depth=1
	v_mov_b64_e32 v[46:47], 0x7f800001
	v_bfe_u32 v50, v48, 16, 7
	s_mov_b32 s15, exec_lo
	s_delay_alu instid0(VALU_DEP_1)
	v_cmpx_ne_u32_e32 0x7f, v50
	s_cbranch_execz .LBB193_518
; %bb.515:                              ;   in Loop: Header=BB193_360 Depth=1
	v_dual_lshrrev_b32 v46, 3, v50 :: v_dual_bitop2_b32 v16, 7, v49 bitop3:0x40
	s_mov_b32 s16, exec_lo
	v_cmpx_gt_u32_e32 8, v50
; %bb.516:                              ;   in Loop: Header=BB193_360 Depth=1
	s_delay_alu instid0(VALU_DEP_2) | instskip(NEXT) | instid1(VALU_DEP_1)
	v_clz_i32_u32_e32 v46, v16
	v_min_u32_e32 v46, 32, v46
	s_delay_alu instid0(VALU_DEP_1) | instskip(SKIP_1) | instid1(VALU_DEP_2)
	v_subrev_nc_u32_e32 v47, 28, v46
	v_sub_nc_u32_e32 v46, 29, v46
	v_lshlrev_b64_e32 v[50:51], v47, v[16:17]
	s_delay_alu instid0(VALU_DEP_1)
	v_and_b32_e32 v16, 7, v50
; %bb.517:                              ;   in Loop: Header=BB193_360 Depth=1
	s_or_b32 exec_lo, exec_lo, s16
	s_delay_alu instid0(VALU_DEP_1) | instskip(SKIP_1) | instid1(VALU_DEP_2)
	v_dual_lshlrev_b32 v47, 24, v49 :: v_dual_lshlrev_b32 v16, 20, v16
	v_lshl_add_u32 v46, v46, 23, 0x3c000000
	v_and_b32_e32 v47, 0x80000000, v47
	s_delay_alu instid0(VALU_DEP_1) | instskip(NEXT) | instid1(VALU_DEP_1)
	v_or3_b32 v16, v16, v47, v46
	v_mov_b64_e32 v[46:47], v[16:17]
.LBB193_518:                            ;   in Loop: Header=BB193_360 Depth=1
	s_or_b32 exec_lo, exec_lo, s15
.LBB193_519:                            ;   in Loop: Header=BB193_360 Depth=1
	s_delay_alu instid0(SALU_CYCLE_1)
	s_or_b32 exec_lo, exec_lo, s14
.LBB193_520:                            ;   in Loop: Header=BB193_360 Depth=1
	s_delay_alu instid0(SALU_CYCLE_1) | instskip(NEXT) | instid1(SALU_CYCLE_1)
	s_or_b32 exec_lo, exec_lo, s11
	s_mov_b32 s11, exec_lo
	v_cmpx_lt_u32_e32 0xffffff, v48
	s_cbranch_execz .LBB193_528
; %bb.521:                              ;   in Loop: Header=BB193_360 Depth=1
	v_mov_b64_e32 v[44:45], 0x8000000000000000
	v_lshrrev_b32_e32 v49, 24, v48
	s_mov_b32 s14, exec_lo
	s_delay_alu instid0(VALU_DEP_1)
	v_cmpx_ne_u32_e32 0x80, v49
	s_cbranch_execz .LBB193_527
; %bb.522:                              ;   in Loop: Header=BB193_360 Depth=1
	v_mov_b64_e32 v[44:45], 0x7f80000100000000
	v_bfe_u32 v48, v48, 24, 7
	s_mov_b32 s15, exec_lo
	s_delay_alu instid0(VALU_DEP_1)
	v_cmpx_ne_u32_e32 0x7f, v48
	s_cbranch_execz .LBB193_526
; %bb.523:                              ;   in Loop: Header=BB193_360 Depth=1
	v_dual_lshrrev_b32 v44, 3, v48 :: v_dual_bitop2_b32 v16, 7, v49 bitop3:0x40
	s_mov_b32 s16, exec_lo
	v_cmpx_gt_u32_e32 8, v48
; %bb.524:                              ;   in Loop: Header=BB193_360 Depth=1
	s_delay_alu instid0(VALU_DEP_2) | instskip(NEXT) | instid1(VALU_DEP_1)
	v_clz_i32_u32_e32 v44, v16
	v_min_u32_e32 v44, 32, v44
	s_delay_alu instid0(VALU_DEP_1) | instskip(NEXT) | instid1(VALU_DEP_1)
	v_subrev_nc_u32_e32 v45, 28, v44
	v_lshlrev_b64_e32 v[50:51], v45, v[16:17]
	s_delay_alu instid0(VALU_DEP_1)
	v_dual_sub_nc_u32 v44, 29, v44 :: v_dual_bitop2_b32 v16, 7, v50 bitop3:0x40
; %bb.525:                              ;   in Loop: Header=BB193_360 Depth=1
	s_or_b32 exec_lo, exec_lo, s16
	s_delay_alu instid0(VALU_DEP_1) | instskip(NEXT) | instid1(VALU_DEP_2)
	v_dual_lshlrev_b32 v45, 24, v49 :: v_dual_lshlrev_b32 v16, 20, v16
	v_lshl_add_u32 v44, v44, 23, 0x3c000000
	s_delay_alu instid0(VALU_DEP_2) | instskip(NEXT) | instid1(VALU_DEP_1)
	v_and_b32_e32 v45, 0x80000000, v45
	v_or3_b32 v45, v16, v45, v44
	v_mov_b32_e32 v44, v17
.LBB193_526:                            ;   in Loop: Header=BB193_360 Depth=1
	s_or_b32 exec_lo, exec_lo, s15
.LBB193_527:                            ;   in Loop: Header=BB193_360 Depth=1
	s_delay_alu instid0(SALU_CYCLE_1)
	s_or_b32 exec_lo, exec_lo, s14
.LBB193_528:                            ;   in Loop: Header=BB193_360 Depth=1
	s_delay_alu instid0(SALU_CYCLE_1)
	s_or_b32 exec_lo, exec_lo, s11
	v_mov_b64_e32 v[48:49], s[2:3]
	v_or_b32_e32 v41, v41, v43
	v_or_b32_e32 v40, v40, v42
	;; [unrolled: 1-line block ×4, first 2 shown]
	s_delay_alu instid0(VALU_DEP_3) | instskip(NEXT) | instid1(VALU_DEP_2)
	v_pk_mul_f32 v[42:43], v[48:49], v[40:41]
	v_pk_mul_f32 v[40:41], v[48:49], v[44:45]
	s_and_saveexec_b32 s11, vcc_lo
	s_cbranch_execz .LBB193_530
; %bb.529:                              ;   in Loop: Header=BB193_360 Depth=1
	v_cmp_gt_i32_e64 s0, s25, v1
	s_delay_alu instid0(VALU_DEP_1) | instskip(SKIP_1) | instid1(VALU_DEP_1)
	v_cndmask_b32_e64 v42, 0, v42, s0
	v_cmp_gt_i32_e64 s0, s25, v0
	v_cndmask_b32_e64 v43, 0, v43, s0
	v_cmp_gt_i32_e64 s0, s25, v65
	s_delay_alu instid0(VALU_DEP_1) | instskip(SKIP_1) | instid1(VALU_DEP_1)
	v_cndmask_b32_e64 v40, 0, v40, s0
	v_cmp_gt_i32_e64 s0, s25, v64
	v_cndmask_b32_e64 v41, 0, v41, s0
.LBB193_530:                            ;   in Loop: Header=BB193_360 Depth=1
	s_or_b32 exec_lo, exec_lo, s11
	global_load_b32 v52, v[26:27], off offset:640
	v_mov_b64_e32 v[44:45], 0
	v_mov_b64_e32 v[46:47], 0
	s_mov_b32 s11, exec_lo
	s_wait_loadcnt 0x0
	v_and_b32_e32 v16, 0xff, v52
	s_delay_alu instid0(VALU_DEP_1)
	v_cmpx_ne_u16_e32 0, v16
	s_cbranch_execz .LBB193_538
; %bb.531:                              ;   in Loop: Header=BB193_360 Depth=1
	v_mov_b64_e32 v[46:47], 0x80000000
	s_mov_b32 s14, exec_lo
	v_cmpx_ne_u16_e32 0x80, v16
	s_cbranch_execz .LBB193_537
; %bb.532:                              ;   in Loop: Header=BB193_360 Depth=1
	v_mov_b64_e32 v[46:47], 0x7f800001
	v_and_b32_e32 v48, 0x7f, v52
	s_mov_b32 s15, exec_lo
	s_delay_alu instid0(VALU_DEP_1)
	v_cmpx_ne_u32_e32 0x7f, v48
	s_cbranch_execz .LBB193_536
; %bb.533:                              ;   in Loop: Header=BB193_360 Depth=1
	v_and_b32_e32 v16, 7, v52
	v_lshrrev_b32_e32 v46, 3, v48
	s_mov_b32 s16, exec_lo
	v_cmpx_gt_u32_e32 8, v48
; %bb.534:                              ;   in Loop: Header=BB193_360 Depth=1
	s_delay_alu instid0(VALU_DEP_3) | instskip(NEXT) | instid1(VALU_DEP_1)
	v_clz_i32_u32_e32 v46, v16
	v_min_u32_e32 v46, 32, v46
	s_delay_alu instid0(VALU_DEP_1) | instskip(NEXT) | instid1(VALU_DEP_1)
	v_subrev_nc_u32_e32 v47, 28, v46
	v_lshlrev_b64_e32 v[48:49], v47, v[16:17]
	s_delay_alu instid0(VALU_DEP_1)
	v_dual_sub_nc_u32 v46, 29, v46 :: v_dual_bitop2_b32 v16, 7, v48 bitop3:0x40
; %bb.535:                              ;   in Loop: Header=BB193_360 Depth=1
	s_or_b32 exec_lo, exec_lo, s16
	v_lshlrev_b32_e32 v47, 24, v52
	s_delay_alu instid0(VALU_DEP_2) | instskip(NEXT) | instid1(VALU_DEP_3)
	v_lshlrev_b32_e32 v16, 20, v16
	v_lshl_add_u32 v46, v46, 23, 0x3c000000
	s_delay_alu instid0(VALU_DEP_3) | instskip(NEXT) | instid1(VALU_DEP_1)
	v_and_b32_e32 v47, 0x80000000, v47
	v_or3_b32 v16, v16, v47, v46
	s_delay_alu instid0(VALU_DEP_1)
	v_mov_b64_e32 v[46:47], v[16:17]
.LBB193_536:                            ;   in Loop: Header=BB193_360 Depth=1
	s_or_b32 exec_lo, exec_lo, s15
.LBB193_537:                            ;   in Loop: Header=BB193_360 Depth=1
	s_delay_alu instid0(SALU_CYCLE_1)
	s_or_b32 exec_lo, exec_lo, s14
.LBB193_538:                            ;   in Loop: Header=BB193_360 Depth=1
	s_delay_alu instid0(SALU_CYCLE_1) | instskip(SKIP_2) | instid1(VALU_DEP_1)
	s_or_b32 exec_lo, exec_lo, s11
	v_lshrrev_b16 v16, 8, v52
	s_mov_b32 s11, exec_lo
	v_cmpx_ne_u16_e32 0, v16
	s_cbranch_execz .LBB193_546
; %bb.539:                              ;   in Loop: Header=BB193_360 Depth=1
	v_mov_b64_e32 v[44:45], 0x8000000000000000
	s_mov_b32 s14, exec_lo
	v_cmpx_ne_u16_e32 0x80, v16
	s_cbranch_execz .LBB193_545
; %bb.540:                              ;   in Loop: Header=BB193_360 Depth=1
	v_and_b32_e32 v16, 0xffff, v16
	v_mov_b64_e32 v[44:45], 0x7f80000100000000
	s_mov_b32 s15, exec_lo
	s_delay_alu instid0(VALU_DEP_2) | instskip(NEXT) | instid1(VALU_DEP_1)
	v_and_b32_e32 v48, 0x7f, v16
	v_cmpx_ne_u32_e32 0x7f, v48
	s_cbranch_execz .LBB193_544
; %bb.541:                              ;   in Loop: Header=BB193_360 Depth=1
	v_and_b32_e32 v16, 7, v16
	v_lshrrev_b32_e32 v44, 3, v48
	s_mov_b32 s16, exec_lo
	v_cmpx_gt_u32_e32 8, v48
; %bb.542:                              ;   in Loop: Header=BB193_360 Depth=1
	s_delay_alu instid0(VALU_DEP_3) | instskip(NEXT) | instid1(VALU_DEP_1)
	v_clz_i32_u32_e32 v44, v16
	v_min_u32_e32 v44, 32, v44
	s_delay_alu instid0(VALU_DEP_1) | instskip(SKIP_1) | instid1(VALU_DEP_2)
	v_subrev_nc_u32_e32 v45, 28, v44
	v_sub_nc_u32_e32 v44, 29, v44
	v_lshlrev_b64_e32 v[48:49], v45, v[16:17]
	s_delay_alu instid0(VALU_DEP_1)
	v_and_b32_e32 v16, 7, v48
; %bb.543:                              ;   in Loop: Header=BB193_360 Depth=1
	s_or_b32 exec_lo, exec_lo, s16
	v_lshlrev_b32_e32 v45, 16, v52
	s_delay_alu instid0(VALU_DEP_2) | instskip(SKIP_1) | instid1(VALU_DEP_3)
	v_lshlrev_b32_e32 v16, 20, v16
	v_lshl_add_u32 v44, v44, 23, 0x3c000000
	v_and_b32_e32 v45, 0x80000000, v45
	s_delay_alu instid0(VALU_DEP_1)
	v_or3_b32 v45, v16, v45, v44
	v_mov_b32_e32 v44, v17
.LBB193_544:                            ;   in Loop: Header=BB193_360 Depth=1
	s_or_b32 exec_lo, exec_lo, s15
.LBB193_545:                            ;   in Loop: Header=BB193_360 Depth=1
	s_delay_alu instid0(SALU_CYCLE_1)
	s_or_b32 exec_lo, exec_lo, s14
.LBB193_546:                            ;   in Loop: Header=BB193_360 Depth=1
	s_delay_alu instid0(SALU_CYCLE_1) | instskip(SKIP_4) | instid1(VALU_DEP_3)
	s_or_b32 exec_lo, exec_lo, s11
	v_lshrrev_b32_e32 v53, 16, v52
	v_mov_b64_e32 v[48:49], 0
	v_mov_b64_e32 v[50:51], 0
	s_mov_b32 s11, exec_lo
	v_and_b32_e32 v16, 0xff, v53
	s_delay_alu instid0(VALU_DEP_1)
	v_cmpx_ne_u16_e32 0, v16
	s_cbranch_execz .LBB193_554
; %bb.547:                              ;   in Loop: Header=BB193_360 Depth=1
	v_mov_b64_e32 v[50:51], 0x80000000
	s_mov_b32 s14, exec_lo
	v_cmpx_ne_u16_e32 0x80, v16
	s_cbranch_execz .LBB193_553
; %bb.548:                              ;   in Loop: Header=BB193_360 Depth=1
	v_mov_b64_e32 v[50:51], 0x7f800001
	v_bfe_u32 v54, v52, 16, 7
	s_mov_b32 s15, exec_lo
	s_delay_alu instid0(VALU_DEP_1)
	v_cmpx_ne_u32_e32 0x7f, v54
	s_cbranch_execz .LBB193_552
; %bb.549:                              ;   in Loop: Header=BB193_360 Depth=1
	v_dual_lshrrev_b32 v50, 3, v54 :: v_dual_bitop2_b32 v16, 7, v53 bitop3:0x40
	s_mov_b32 s16, exec_lo
	v_cmpx_gt_u32_e32 8, v54
; %bb.550:                              ;   in Loop: Header=BB193_360 Depth=1
	s_delay_alu instid0(VALU_DEP_2) | instskip(NEXT) | instid1(VALU_DEP_1)
	v_clz_i32_u32_e32 v50, v16
	v_min_u32_e32 v50, 32, v50
	s_delay_alu instid0(VALU_DEP_1) | instskip(SKIP_1) | instid1(VALU_DEP_2)
	v_subrev_nc_u32_e32 v51, 28, v50
	v_sub_nc_u32_e32 v50, 29, v50
	v_lshlrev_b64_e32 v[54:55], v51, v[16:17]
	s_delay_alu instid0(VALU_DEP_1)
	v_and_b32_e32 v16, 7, v54
; %bb.551:                              ;   in Loop: Header=BB193_360 Depth=1
	s_or_b32 exec_lo, exec_lo, s16
	s_delay_alu instid0(VALU_DEP_1) | instskip(SKIP_1) | instid1(VALU_DEP_2)
	v_dual_lshlrev_b32 v51, 24, v53 :: v_dual_lshlrev_b32 v16, 20, v16
	v_lshl_add_u32 v50, v50, 23, 0x3c000000
	v_and_b32_e32 v51, 0x80000000, v51
	s_delay_alu instid0(VALU_DEP_1) | instskip(NEXT) | instid1(VALU_DEP_1)
	v_or3_b32 v16, v16, v51, v50
	v_mov_b64_e32 v[50:51], v[16:17]
.LBB193_552:                            ;   in Loop: Header=BB193_360 Depth=1
	s_or_b32 exec_lo, exec_lo, s15
.LBB193_553:                            ;   in Loop: Header=BB193_360 Depth=1
	s_delay_alu instid0(SALU_CYCLE_1)
	s_or_b32 exec_lo, exec_lo, s14
.LBB193_554:                            ;   in Loop: Header=BB193_360 Depth=1
	s_delay_alu instid0(SALU_CYCLE_1) | instskip(NEXT) | instid1(SALU_CYCLE_1)
	s_or_b32 exec_lo, exec_lo, s11
	s_mov_b32 s11, exec_lo
	v_cmpx_lt_u32_e32 0xffffff, v52
	s_cbranch_execz .LBB193_562
; %bb.555:                              ;   in Loop: Header=BB193_360 Depth=1
	v_mov_b64_e32 v[48:49], 0x8000000000000000
	v_lshrrev_b32_e32 v53, 24, v52
	s_mov_b32 s14, exec_lo
	s_delay_alu instid0(VALU_DEP_1)
	v_cmpx_ne_u32_e32 0x80, v53
	s_cbranch_execz .LBB193_561
; %bb.556:                              ;   in Loop: Header=BB193_360 Depth=1
	v_mov_b64_e32 v[48:49], 0x7f80000100000000
	v_bfe_u32 v52, v52, 24, 7
	s_mov_b32 s15, exec_lo
	s_delay_alu instid0(VALU_DEP_1)
	v_cmpx_ne_u32_e32 0x7f, v52
	s_cbranch_execz .LBB193_560
; %bb.557:                              ;   in Loop: Header=BB193_360 Depth=1
	v_dual_lshrrev_b32 v48, 3, v52 :: v_dual_bitop2_b32 v16, 7, v53 bitop3:0x40
	s_mov_b32 s16, exec_lo
	v_cmpx_gt_u32_e32 8, v52
; %bb.558:                              ;   in Loop: Header=BB193_360 Depth=1
	s_delay_alu instid0(VALU_DEP_2) | instskip(NEXT) | instid1(VALU_DEP_1)
	v_clz_i32_u32_e32 v48, v16
	v_min_u32_e32 v48, 32, v48
	s_delay_alu instid0(VALU_DEP_1) | instskip(NEXT) | instid1(VALU_DEP_1)
	v_subrev_nc_u32_e32 v49, 28, v48
	v_lshlrev_b64_e32 v[54:55], v49, v[16:17]
	s_delay_alu instid0(VALU_DEP_1)
	v_dual_sub_nc_u32 v48, 29, v48 :: v_dual_bitop2_b32 v16, 7, v54 bitop3:0x40
; %bb.559:                              ;   in Loop: Header=BB193_360 Depth=1
	s_or_b32 exec_lo, exec_lo, s16
	s_delay_alu instid0(VALU_DEP_1) | instskip(NEXT) | instid1(VALU_DEP_2)
	v_dual_lshlrev_b32 v49, 24, v53 :: v_dual_lshlrev_b32 v16, 20, v16
	v_lshl_add_u32 v48, v48, 23, 0x3c000000
	s_delay_alu instid0(VALU_DEP_2) | instskip(NEXT) | instid1(VALU_DEP_1)
	v_and_b32_e32 v49, 0x80000000, v49
	v_or3_b32 v49, v16, v49, v48
	v_mov_b32_e32 v48, v17
.LBB193_560:                            ;   in Loop: Header=BB193_360 Depth=1
	s_or_b32 exec_lo, exec_lo, s15
.LBB193_561:                            ;   in Loop: Header=BB193_360 Depth=1
	s_delay_alu instid0(SALU_CYCLE_1)
	s_or_b32 exec_lo, exec_lo, s14
.LBB193_562:                            ;   in Loop: Header=BB193_360 Depth=1
	s_delay_alu instid0(SALU_CYCLE_1)
	s_or_b32 exec_lo, exec_lo, s11
	v_mov_b64_e32 v[52:53], s[2:3]
	v_or_b32_e32 v45, v45, v47
	v_or_b32_e32 v44, v44, v46
	;; [unrolled: 1-line block ×4, first 2 shown]
	s_delay_alu instid0(VALU_DEP_3) | instskip(NEXT) | instid1(VALU_DEP_2)
	v_pk_mul_f32 v[46:47], v[52:53], v[44:45]
	v_pk_mul_f32 v[44:45], v[52:53], v[48:49]
	s_and_saveexec_b32 s11, vcc_lo
	s_cbranch_execz .LBB193_564
; %bb.563:                              ;   in Loop: Header=BB193_360 Depth=1
	v_cmp_gt_i32_e64 s0, s25, v1
	s_delay_alu instid0(VALU_DEP_1) | instskip(SKIP_1) | instid1(VALU_DEP_1)
	v_cndmask_b32_e64 v46, 0, v46, s0
	v_cmp_gt_i32_e64 s0, s25, v0
	v_cndmask_b32_e64 v47, 0, v47, s0
	v_cmp_gt_i32_e64 s0, s25, v65
	s_delay_alu instid0(VALU_DEP_1) | instskip(SKIP_1) | instid1(VALU_DEP_1)
	v_cndmask_b32_e64 v44, 0, v44, s0
	v_cmp_gt_i32_e64 s0, s25, v64
	v_cndmask_b32_e64 v45, 0, v45, s0
.LBB193_564:                            ;   in Loop: Header=BB193_360 Depth=1
	s_or_b32 exec_lo, exec_lo, s11
	global_load_b32 v56, v[26:27], off offset:768
	v_mov_b64_e32 v[48:49], 0
	v_mov_b64_e32 v[50:51], 0
	s_mov_b32 s11, exec_lo
	s_wait_loadcnt 0x0
	v_and_b32_e32 v16, 0xff, v56
	s_delay_alu instid0(VALU_DEP_1)
	v_cmpx_ne_u16_e32 0, v16
	s_cbranch_execz .LBB193_572
; %bb.565:                              ;   in Loop: Header=BB193_360 Depth=1
	v_mov_b64_e32 v[50:51], 0x80000000
	s_mov_b32 s14, exec_lo
	v_cmpx_ne_u16_e32 0x80, v16
	s_cbranch_execz .LBB193_571
; %bb.566:                              ;   in Loop: Header=BB193_360 Depth=1
	v_mov_b64_e32 v[50:51], 0x7f800001
	v_and_b32_e32 v52, 0x7f, v56
	s_mov_b32 s15, exec_lo
	s_delay_alu instid0(VALU_DEP_1)
	v_cmpx_ne_u32_e32 0x7f, v52
	s_cbranch_execz .LBB193_570
; %bb.567:                              ;   in Loop: Header=BB193_360 Depth=1
	v_and_b32_e32 v16, 7, v56
	v_lshrrev_b32_e32 v50, 3, v52
	s_mov_b32 s16, exec_lo
	v_cmpx_gt_u32_e32 8, v52
; %bb.568:                              ;   in Loop: Header=BB193_360 Depth=1
	s_delay_alu instid0(VALU_DEP_3) | instskip(NEXT) | instid1(VALU_DEP_1)
	v_clz_i32_u32_e32 v50, v16
	v_min_u32_e32 v50, 32, v50
	s_delay_alu instid0(VALU_DEP_1) | instskip(NEXT) | instid1(VALU_DEP_1)
	v_subrev_nc_u32_e32 v51, 28, v50
	v_lshlrev_b64_e32 v[52:53], v51, v[16:17]
	s_delay_alu instid0(VALU_DEP_1)
	v_dual_sub_nc_u32 v50, 29, v50 :: v_dual_bitop2_b32 v16, 7, v52 bitop3:0x40
; %bb.569:                              ;   in Loop: Header=BB193_360 Depth=1
	s_or_b32 exec_lo, exec_lo, s16
	v_lshlrev_b32_e32 v51, 24, v56
	s_delay_alu instid0(VALU_DEP_2) | instskip(NEXT) | instid1(VALU_DEP_3)
	v_lshlrev_b32_e32 v16, 20, v16
	v_lshl_add_u32 v50, v50, 23, 0x3c000000
	s_delay_alu instid0(VALU_DEP_3) | instskip(NEXT) | instid1(VALU_DEP_1)
	v_and_b32_e32 v51, 0x80000000, v51
	v_or3_b32 v16, v16, v51, v50
	s_delay_alu instid0(VALU_DEP_1)
	v_mov_b64_e32 v[50:51], v[16:17]
.LBB193_570:                            ;   in Loop: Header=BB193_360 Depth=1
	s_or_b32 exec_lo, exec_lo, s15
.LBB193_571:                            ;   in Loop: Header=BB193_360 Depth=1
	s_delay_alu instid0(SALU_CYCLE_1)
	s_or_b32 exec_lo, exec_lo, s14
.LBB193_572:                            ;   in Loop: Header=BB193_360 Depth=1
	s_delay_alu instid0(SALU_CYCLE_1) | instskip(SKIP_2) | instid1(VALU_DEP_1)
	s_or_b32 exec_lo, exec_lo, s11
	v_lshrrev_b16 v16, 8, v56
	s_mov_b32 s11, exec_lo
	v_cmpx_ne_u16_e32 0, v16
	s_cbranch_execz .LBB193_580
; %bb.573:                              ;   in Loop: Header=BB193_360 Depth=1
	v_mov_b64_e32 v[48:49], 0x8000000000000000
	s_mov_b32 s14, exec_lo
	v_cmpx_ne_u16_e32 0x80, v16
	s_cbranch_execz .LBB193_579
; %bb.574:                              ;   in Loop: Header=BB193_360 Depth=1
	v_and_b32_e32 v16, 0xffff, v16
	v_mov_b64_e32 v[48:49], 0x7f80000100000000
	s_mov_b32 s15, exec_lo
	s_delay_alu instid0(VALU_DEP_2) | instskip(NEXT) | instid1(VALU_DEP_1)
	v_and_b32_e32 v52, 0x7f, v16
	v_cmpx_ne_u32_e32 0x7f, v52
	s_cbranch_execz .LBB193_578
; %bb.575:                              ;   in Loop: Header=BB193_360 Depth=1
	v_and_b32_e32 v16, 7, v16
	v_lshrrev_b32_e32 v48, 3, v52
	s_mov_b32 s16, exec_lo
	v_cmpx_gt_u32_e32 8, v52
; %bb.576:                              ;   in Loop: Header=BB193_360 Depth=1
	s_delay_alu instid0(VALU_DEP_3) | instskip(NEXT) | instid1(VALU_DEP_1)
	v_clz_i32_u32_e32 v48, v16
	v_min_u32_e32 v48, 32, v48
	s_delay_alu instid0(VALU_DEP_1) | instskip(SKIP_1) | instid1(VALU_DEP_2)
	v_subrev_nc_u32_e32 v49, 28, v48
	v_sub_nc_u32_e32 v48, 29, v48
	v_lshlrev_b64_e32 v[52:53], v49, v[16:17]
	s_delay_alu instid0(VALU_DEP_1)
	v_and_b32_e32 v16, 7, v52
; %bb.577:                              ;   in Loop: Header=BB193_360 Depth=1
	s_or_b32 exec_lo, exec_lo, s16
	v_lshlrev_b32_e32 v49, 16, v56
	s_delay_alu instid0(VALU_DEP_2) | instskip(SKIP_1) | instid1(VALU_DEP_3)
	v_lshlrev_b32_e32 v16, 20, v16
	v_lshl_add_u32 v48, v48, 23, 0x3c000000
	v_and_b32_e32 v49, 0x80000000, v49
	s_delay_alu instid0(VALU_DEP_1)
	v_or3_b32 v49, v16, v49, v48
	v_mov_b32_e32 v48, v17
.LBB193_578:                            ;   in Loop: Header=BB193_360 Depth=1
	s_or_b32 exec_lo, exec_lo, s15
.LBB193_579:                            ;   in Loop: Header=BB193_360 Depth=1
	s_delay_alu instid0(SALU_CYCLE_1)
	s_or_b32 exec_lo, exec_lo, s14
.LBB193_580:                            ;   in Loop: Header=BB193_360 Depth=1
	s_delay_alu instid0(SALU_CYCLE_1) | instskip(SKIP_4) | instid1(VALU_DEP_3)
	s_or_b32 exec_lo, exec_lo, s11
	v_lshrrev_b32_e32 v57, 16, v56
	v_mov_b64_e32 v[52:53], 0
	v_mov_b64_e32 v[54:55], 0
	s_mov_b32 s11, exec_lo
	v_and_b32_e32 v16, 0xff, v57
	s_delay_alu instid0(VALU_DEP_1)
	v_cmpx_ne_u16_e32 0, v16
	s_cbranch_execz .LBB193_588
; %bb.581:                              ;   in Loop: Header=BB193_360 Depth=1
	v_mov_b64_e32 v[54:55], 0x80000000
	s_mov_b32 s14, exec_lo
	v_cmpx_ne_u16_e32 0x80, v16
	s_cbranch_execz .LBB193_587
; %bb.582:                              ;   in Loop: Header=BB193_360 Depth=1
	v_mov_b64_e32 v[54:55], 0x7f800001
	v_bfe_u32 v58, v56, 16, 7
	s_mov_b32 s15, exec_lo
	s_delay_alu instid0(VALU_DEP_1)
	v_cmpx_ne_u32_e32 0x7f, v58
	s_cbranch_execz .LBB193_586
; %bb.583:                              ;   in Loop: Header=BB193_360 Depth=1
	v_dual_lshrrev_b32 v54, 3, v58 :: v_dual_bitop2_b32 v16, 7, v57 bitop3:0x40
	s_mov_b32 s16, exec_lo
	v_cmpx_gt_u32_e32 8, v58
; %bb.584:                              ;   in Loop: Header=BB193_360 Depth=1
	s_delay_alu instid0(VALU_DEP_2) | instskip(NEXT) | instid1(VALU_DEP_1)
	v_clz_i32_u32_e32 v54, v16
	v_min_u32_e32 v54, 32, v54
	s_delay_alu instid0(VALU_DEP_1) | instskip(SKIP_1) | instid1(VALU_DEP_2)
	v_subrev_nc_u32_e32 v55, 28, v54
	v_sub_nc_u32_e32 v54, 29, v54
	v_lshlrev_b64_e32 v[58:59], v55, v[16:17]
	s_delay_alu instid0(VALU_DEP_1)
	v_and_b32_e32 v16, 7, v58
; %bb.585:                              ;   in Loop: Header=BB193_360 Depth=1
	s_or_b32 exec_lo, exec_lo, s16
	s_delay_alu instid0(VALU_DEP_1) | instskip(SKIP_1) | instid1(VALU_DEP_2)
	v_dual_lshlrev_b32 v55, 24, v57 :: v_dual_lshlrev_b32 v16, 20, v16
	v_lshl_add_u32 v54, v54, 23, 0x3c000000
	v_and_b32_e32 v55, 0x80000000, v55
	s_delay_alu instid0(VALU_DEP_1) | instskip(NEXT) | instid1(VALU_DEP_1)
	v_or3_b32 v16, v16, v55, v54
	v_mov_b64_e32 v[54:55], v[16:17]
.LBB193_586:                            ;   in Loop: Header=BB193_360 Depth=1
	s_or_b32 exec_lo, exec_lo, s15
.LBB193_587:                            ;   in Loop: Header=BB193_360 Depth=1
	s_delay_alu instid0(SALU_CYCLE_1)
	s_or_b32 exec_lo, exec_lo, s14
.LBB193_588:                            ;   in Loop: Header=BB193_360 Depth=1
	s_delay_alu instid0(SALU_CYCLE_1) | instskip(NEXT) | instid1(SALU_CYCLE_1)
	s_or_b32 exec_lo, exec_lo, s11
	s_mov_b32 s11, exec_lo
	v_cmpx_lt_u32_e32 0xffffff, v56
	s_cbranch_execz .LBB193_596
; %bb.589:                              ;   in Loop: Header=BB193_360 Depth=1
	v_mov_b64_e32 v[52:53], 0x8000000000000000
	v_lshrrev_b32_e32 v57, 24, v56
	s_mov_b32 s14, exec_lo
	s_delay_alu instid0(VALU_DEP_1)
	v_cmpx_ne_u32_e32 0x80, v57
	s_cbranch_execz .LBB193_595
; %bb.590:                              ;   in Loop: Header=BB193_360 Depth=1
	v_mov_b64_e32 v[52:53], 0x7f80000100000000
	v_bfe_u32 v56, v56, 24, 7
	s_mov_b32 s15, exec_lo
	s_delay_alu instid0(VALU_DEP_1)
	v_cmpx_ne_u32_e32 0x7f, v56
	s_cbranch_execz .LBB193_594
; %bb.591:                              ;   in Loop: Header=BB193_360 Depth=1
	v_dual_lshrrev_b32 v52, 3, v56 :: v_dual_bitop2_b32 v16, 7, v57 bitop3:0x40
	s_mov_b32 s16, exec_lo
	v_cmpx_gt_u32_e32 8, v56
; %bb.592:                              ;   in Loop: Header=BB193_360 Depth=1
	s_delay_alu instid0(VALU_DEP_2) | instskip(NEXT) | instid1(VALU_DEP_1)
	v_clz_i32_u32_e32 v52, v16
	v_min_u32_e32 v52, 32, v52
	s_delay_alu instid0(VALU_DEP_1) | instskip(NEXT) | instid1(VALU_DEP_1)
	v_subrev_nc_u32_e32 v53, 28, v52
	v_lshlrev_b64_e32 v[58:59], v53, v[16:17]
	s_delay_alu instid0(VALU_DEP_1)
	v_dual_sub_nc_u32 v52, 29, v52 :: v_dual_bitop2_b32 v16, 7, v58 bitop3:0x40
; %bb.593:                              ;   in Loop: Header=BB193_360 Depth=1
	s_or_b32 exec_lo, exec_lo, s16
	s_delay_alu instid0(VALU_DEP_1) | instskip(NEXT) | instid1(VALU_DEP_2)
	v_dual_lshlrev_b32 v53, 24, v57 :: v_dual_lshlrev_b32 v16, 20, v16
	v_lshl_add_u32 v52, v52, 23, 0x3c000000
	s_delay_alu instid0(VALU_DEP_2) | instskip(NEXT) | instid1(VALU_DEP_1)
	v_and_b32_e32 v53, 0x80000000, v53
	v_or3_b32 v53, v16, v53, v52
	v_mov_b32_e32 v52, v17
.LBB193_594:                            ;   in Loop: Header=BB193_360 Depth=1
	s_or_b32 exec_lo, exec_lo, s15
.LBB193_595:                            ;   in Loop: Header=BB193_360 Depth=1
	s_delay_alu instid0(SALU_CYCLE_1)
	s_or_b32 exec_lo, exec_lo, s14
.LBB193_596:                            ;   in Loop: Header=BB193_360 Depth=1
	s_delay_alu instid0(SALU_CYCLE_1)
	s_or_b32 exec_lo, exec_lo, s11
	v_mov_b64_e32 v[56:57], s[2:3]
	v_or_b32_e32 v49, v49, v51
	v_or_b32_e32 v48, v48, v50
	;; [unrolled: 1-line block ×4, first 2 shown]
	s_delay_alu instid0(VALU_DEP_3) | instskip(NEXT) | instid1(VALU_DEP_2)
	v_pk_mul_f32 v[50:51], v[56:57], v[48:49]
	v_pk_mul_f32 v[48:49], v[56:57], v[52:53]
	s_and_saveexec_b32 s11, vcc_lo
	s_cbranch_execz .LBB193_598
; %bb.597:                              ;   in Loop: Header=BB193_360 Depth=1
	v_cmp_gt_i32_e64 s0, s25, v1
	s_delay_alu instid0(VALU_DEP_1) | instskip(SKIP_1) | instid1(VALU_DEP_1)
	v_cndmask_b32_e64 v50, 0, v50, s0
	v_cmp_gt_i32_e64 s0, s25, v0
	v_cndmask_b32_e64 v51, 0, v51, s0
	v_cmp_gt_i32_e64 s0, s25, v65
	s_delay_alu instid0(VALU_DEP_1) | instskip(SKIP_1) | instid1(VALU_DEP_1)
	v_cndmask_b32_e64 v48, 0, v48, s0
	v_cmp_gt_i32_e64 s0, s25, v64
	v_cndmask_b32_e64 v49, 0, v49, s0
.LBB193_598:                            ;   in Loop: Header=BB193_360 Depth=1
	s_or_b32 exec_lo, exec_lo, s11
	global_load_b32 v60, v[26:27], off offset:896
	v_mov_b64_e32 v[52:53], 0
	v_mov_b64_e32 v[54:55], 0
	s_mov_b32 s11, exec_lo
	s_wait_loadcnt 0x0
	v_and_b32_e32 v16, 0xff, v60
	s_delay_alu instid0(VALU_DEP_1)
	v_cmpx_ne_u16_e32 0, v16
	s_cbranch_execz .LBB193_606
; %bb.599:                              ;   in Loop: Header=BB193_360 Depth=1
	v_mov_b64_e32 v[54:55], 0x80000000
	s_mov_b32 s14, exec_lo
	v_cmpx_ne_u16_e32 0x80, v16
	s_cbranch_execz .LBB193_605
; %bb.600:                              ;   in Loop: Header=BB193_360 Depth=1
	v_mov_b64_e32 v[54:55], 0x7f800001
	v_and_b32_e32 v56, 0x7f, v60
	s_mov_b32 s15, exec_lo
	s_delay_alu instid0(VALU_DEP_1)
	v_cmpx_ne_u32_e32 0x7f, v56
	s_cbranch_execz .LBB193_604
; %bb.601:                              ;   in Loop: Header=BB193_360 Depth=1
	v_and_b32_e32 v16, 7, v60
	v_lshrrev_b32_e32 v54, 3, v56
	s_mov_b32 s16, exec_lo
	v_cmpx_gt_u32_e32 8, v56
; %bb.602:                              ;   in Loop: Header=BB193_360 Depth=1
	s_delay_alu instid0(VALU_DEP_3) | instskip(NEXT) | instid1(VALU_DEP_1)
	v_clz_i32_u32_e32 v54, v16
	v_min_u32_e32 v54, 32, v54
	s_delay_alu instid0(VALU_DEP_1) | instskip(NEXT) | instid1(VALU_DEP_1)
	v_subrev_nc_u32_e32 v55, 28, v54
	v_lshlrev_b64_e32 v[56:57], v55, v[16:17]
	s_delay_alu instid0(VALU_DEP_1)
	v_dual_sub_nc_u32 v54, 29, v54 :: v_dual_bitop2_b32 v16, 7, v56 bitop3:0x40
; %bb.603:                              ;   in Loop: Header=BB193_360 Depth=1
	s_or_b32 exec_lo, exec_lo, s16
	v_lshlrev_b32_e32 v55, 24, v60
	s_delay_alu instid0(VALU_DEP_2) | instskip(NEXT) | instid1(VALU_DEP_3)
	v_lshlrev_b32_e32 v16, 20, v16
	v_lshl_add_u32 v54, v54, 23, 0x3c000000
	s_delay_alu instid0(VALU_DEP_3) | instskip(NEXT) | instid1(VALU_DEP_1)
	v_and_b32_e32 v55, 0x80000000, v55
	v_or3_b32 v16, v16, v55, v54
	s_delay_alu instid0(VALU_DEP_1)
	v_mov_b64_e32 v[54:55], v[16:17]
.LBB193_604:                            ;   in Loop: Header=BB193_360 Depth=1
	s_or_b32 exec_lo, exec_lo, s15
.LBB193_605:                            ;   in Loop: Header=BB193_360 Depth=1
	s_delay_alu instid0(SALU_CYCLE_1)
	s_or_b32 exec_lo, exec_lo, s14
.LBB193_606:                            ;   in Loop: Header=BB193_360 Depth=1
	s_delay_alu instid0(SALU_CYCLE_1) | instskip(SKIP_2) | instid1(VALU_DEP_1)
	s_or_b32 exec_lo, exec_lo, s11
	v_lshrrev_b16 v16, 8, v60
	s_mov_b32 s11, exec_lo
	v_cmpx_ne_u16_e32 0, v16
	s_cbranch_execz .LBB193_614
; %bb.607:                              ;   in Loop: Header=BB193_360 Depth=1
	v_mov_b64_e32 v[52:53], 0x8000000000000000
	s_mov_b32 s14, exec_lo
	v_cmpx_ne_u16_e32 0x80, v16
	s_cbranch_execz .LBB193_613
; %bb.608:                              ;   in Loop: Header=BB193_360 Depth=1
	v_and_b32_e32 v16, 0xffff, v16
	v_mov_b64_e32 v[52:53], 0x7f80000100000000
	s_mov_b32 s15, exec_lo
	s_delay_alu instid0(VALU_DEP_2) | instskip(NEXT) | instid1(VALU_DEP_1)
	v_and_b32_e32 v56, 0x7f, v16
	v_cmpx_ne_u32_e32 0x7f, v56
	s_cbranch_execz .LBB193_612
; %bb.609:                              ;   in Loop: Header=BB193_360 Depth=1
	v_and_b32_e32 v16, 7, v16
	v_lshrrev_b32_e32 v52, 3, v56
	s_mov_b32 s16, exec_lo
	v_cmpx_gt_u32_e32 8, v56
; %bb.610:                              ;   in Loop: Header=BB193_360 Depth=1
	s_delay_alu instid0(VALU_DEP_3) | instskip(NEXT) | instid1(VALU_DEP_1)
	v_clz_i32_u32_e32 v52, v16
	v_min_u32_e32 v52, 32, v52
	s_delay_alu instid0(VALU_DEP_1) | instskip(SKIP_1) | instid1(VALU_DEP_2)
	v_subrev_nc_u32_e32 v53, 28, v52
	v_sub_nc_u32_e32 v52, 29, v52
	v_lshlrev_b64_e32 v[56:57], v53, v[16:17]
	s_delay_alu instid0(VALU_DEP_1)
	v_and_b32_e32 v16, 7, v56
; %bb.611:                              ;   in Loop: Header=BB193_360 Depth=1
	s_or_b32 exec_lo, exec_lo, s16
	v_lshlrev_b32_e32 v53, 16, v60
	s_delay_alu instid0(VALU_DEP_2) | instskip(SKIP_1) | instid1(VALU_DEP_3)
	v_lshlrev_b32_e32 v16, 20, v16
	v_lshl_add_u32 v52, v52, 23, 0x3c000000
	v_and_b32_e32 v53, 0x80000000, v53
	s_delay_alu instid0(VALU_DEP_1)
	v_or3_b32 v53, v16, v53, v52
	v_mov_b32_e32 v52, v17
.LBB193_612:                            ;   in Loop: Header=BB193_360 Depth=1
	s_or_b32 exec_lo, exec_lo, s15
.LBB193_613:                            ;   in Loop: Header=BB193_360 Depth=1
	s_delay_alu instid0(SALU_CYCLE_1)
	s_or_b32 exec_lo, exec_lo, s14
.LBB193_614:                            ;   in Loop: Header=BB193_360 Depth=1
	s_delay_alu instid0(SALU_CYCLE_1) | instskip(SKIP_4) | instid1(VALU_DEP_3)
	s_or_b32 exec_lo, exec_lo, s11
	v_lshrrev_b32_e32 v61, 16, v60
	v_mov_b64_e32 v[56:57], 0
	v_mov_b64_e32 v[58:59], 0
	s_mov_b32 s11, exec_lo
	v_and_b32_e32 v16, 0xff, v61
	s_delay_alu instid0(VALU_DEP_1)
	v_cmpx_ne_u16_e32 0, v16
	s_cbranch_execz .LBB193_622
; %bb.615:                              ;   in Loop: Header=BB193_360 Depth=1
	v_mov_b64_e32 v[58:59], 0x80000000
	s_mov_b32 s14, exec_lo
	v_cmpx_ne_u16_e32 0x80, v16
	s_cbranch_execz .LBB193_621
; %bb.616:                              ;   in Loop: Header=BB193_360 Depth=1
	v_mov_b64_e32 v[58:59], 0x7f800001
	v_bfe_u32 v62, v60, 16, 7
	s_mov_b32 s15, exec_lo
	s_delay_alu instid0(VALU_DEP_1)
	v_cmpx_ne_u32_e32 0x7f, v62
	s_cbranch_execz .LBB193_620
; %bb.617:                              ;   in Loop: Header=BB193_360 Depth=1
	v_dual_lshrrev_b32 v58, 3, v62 :: v_dual_bitop2_b32 v16, 7, v61 bitop3:0x40
	s_mov_b32 s16, exec_lo
	v_cmpx_gt_u32_e32 8, v62
; %bb.618:                              ;   in Loop: Header=BB193_360 Depth=1
	s_delay_alu instid0(VALU_DEP_2) | instskip(NEXT) | instid1(VALU_DEP_1)
	v_clz_i32_u32_e32 v58, v16
	v_min_u32_e32 v58, 32, v58
	s_delay_alu instid0(VALU_DEP_1) | instskip(SKIP_1) | instid1(VALU_DEP_2)
	v_subrev_nc_u32_e32 v59, 28, v58
	v_sub_nc_u32_e32 v58, 29, v58
	v_lshlrev_b64_e32 v[62:63], v59, v[16:17]
	s_delay_alu instid0(VALU_DEP_1)
	v_and_b32_e32 v16, 7, v62
; %bb.619:                              ;   in Loop: Header=BB193_360 Depth=1
	s_or_b32 exec_lo, exec_lo, s16
	s_delay_alu instid0(VALU_DEP_1) | instskip(SKIP_1) | instid1(VALU_DEP_2)
	v_dual_lshlrev_b32 v59, 24, v61 :: v_dual_lshlrev_b32 v16, 20, v16
	v_lshl_add_u32 v58, v58, 23, 0x3c000000
	v_and_b32_e32 v59, 0x80000000, v59
	s_delay_alu instid0(VALU_DEP_1) | instskip(NEXT) | instid1(VALU_DEP_1)
	v_or3_b32 v16, v16, v59, v58
	v_mov_b64_e32 v[58:59], v[16:17]
.LBB193_620:                            ;   in Loop: Header=BB193_360 Depth=1
	s_or_b32 exec_lo, exec_lo, s15
.LBB193_621:                            ;   in Loop: Header=BB193_360 Depth=1
	s_delay_alu instid0(SALU_CYCLE_1)
	s_or_b32 exec_lo, exec_lo, s14
.LBB193_622:                            ;   in Loop: Header=BB193_360 Depth=1
	s_delay_alu instid0(SALU_CYCLE_1) | instskip(NEXT) | instid1(SALU_CYCLE_1)
	s_or_b32 exec_lo, exec_lo, s11
	s_mov_b32 s11, exec_lo
	v_cmpx_lt_u32_e32 0xffffff, v60
	s_cbranch_execz .LBB193_630
; %bb.623:                              ;   in Loop: Header=BB193_360 Depth=1
	v_mov_b64_e32 v[56:57], 0x8000000000000000
	v_lshrrev_b32_e32 v61, 24, v60
	s_mov_b32 s14, exec_lo
	s_delay_alu instid0(VALU_DEP_1)
	v_cmpx_ne_u32_e32 0x80, v61
	s_cbranch_execz .LBB193_629
; %bb.624:                              ;   in Loop: Header=BB193_360 Depth=1
	v_mov_b64_e32 v[56:57], 0x7f80000100000000
	v_bfe_u32 v60, v60, 24, 7
	s_mov_b32 s15, exec_lo
	s_delay_alu instid0(VALU_DEP_1)
	v_cmpx_ne_u32_e32 0x7f, v60
	s_cbranch_execz .LBB193_628
; %bb.625:                              ;   in Loop: Header=BB193_360 Depth=1
	v_dual_lshrrev_b32 v56, 3, v60 :: v_dual_bitop2_b32 v16, 7, v61 bitop3:0x40
	s_mov_b32 s16, exec_lo
	v_cmpx_gt_u32_e32 8, v60
; %bb.626:                              ;   in Loop: Header=BB193_360 Depth=1
	s_delay_alu instid0(VALU_DEP_2) | instskip(NEXT) | instid1(VALU_DEP_1)
	v_clz_i32_u32_e32 v56, v16
	v_min_u32_e32 v56, 32, v56
	s_delay_alu instid0(VALU_DEP_1) | instskip(NEXT) | instid1(VALU_DEP_1)
	v_subrev_nc_u32_e32 v57, 28, v56
	v_lshlrev_b64_e32 v[62:63], v57, v[16:17]
	s_delay_alu instid0(VALU_DEP_1)
	v_dual_sub_nc_u32 v56, 29, v56 :: v_dual_bitop2_b32 v16, 7, v62 bitop3:0x40
; %bb.627:                              ;   in Loop: Header=BB193_360 Depth=1
	s_or_b32 exec_lo, exec_lo, s16
	s_delay_alu instid0(VALU_DEP_1) | instskip(NEXT) | instid1(VALU_DEP_2)
	v_dual_lshlrev_b32 v57, 24, v61 :: v_dual_lshlrev_b32 v16, 20, v16
	v_lshl_add_u32 v56, v56, 23, 0x3c000000
	s_delay_alu instid0(VALU_DEP_2) | instskip(NEXT) | instid1(VALU_DEP_1)
	v_and_b32_e32 v57, 0x80000000, v57
	v_or3_b32 v57, v16, v57, v56
	v_mov_b32_e32 v56, v17
.LBB193_628:                            ;   in Loop: Header=BB193_360 Depth=1
	s_or_b32 exec_lo, exec_lo, s15
.LBB193_629:                            ;   in Loop: Header=BB193_360 Depth=1
	s_delay_alu instid0(SALU_CYCLE_1)
	s_or_b32 exec_lo, exec_lo, s14
.LBB193_630:                            ;   in Loop: Header=BB193_360 Depth=1
	s_delay_alu instid0(SALU_CYCLE_1)
	s_or_b32 exec_lo, exec_lo, s11
	v_mov_b64_e32 v[60:61], s[2:3]
	v_or_b32_e32 v53, v53, v55
	v_or_b32_e32 v52, v52, v54
	;; [unrolled: 1-line block ×4, first 2 shown]
	s_delay_alu instid0(VALU_DEP_3) | instskip(NEXT) | instid1(VALU_DEP_2)
	v_pk_mul_f32 v[54:55], v[60:61], v[52:53]
	v_pk_mul_f32 v[52:53], v[60:61], v[56:57]
	s_and_saveexec_b32 s11, vcc_lo
	s_cbranch_execz .LBB193_632
; %bb.631:                              ;   in Loop: Header=BB193_360 Depth=1
	v_cmp_gt_i32_e64 s0, s25, v1
	s_delay_alu instid0(VALU_DEP_1) | instskip(SKIP_1) | instid1(VALU_DEP_1)
	v_cndmask_b32_e64 v54, 0, v54, s0
	v_cmp_gt_i32_e64 s0, s25, v0
	v_cndmask_b32_e64 v55, 0, v55, s0
	v_cmp_gt_i32_e64 s0, s25, v65
	s_delay_alu instid0(VALU_DEP_1) | instskip(SKIP_1) | instid1(VALU_DEP_1)
	v_cndmask_b32_e64 v52, 0, v52, s0
	v_cmp_gt_i32_e64 s0, s25, v64
	v_cndmask_b32_e64 v53, 0, v53, s0
.LBB193_632:                            ;   in Loop: Header=BB193_360 Depth=1
	s_or_b32 exec_lo, exec_lo, s11
	global_load_b32 v72, v[26:27], off offset:1024
	v_mov_b64_e32 v[56:57], 0
	v_mov_b64_e32 v[58:59], 0
	s_mov_b32 s11, exec_lo
	s_wait_loadcnt 0x0
	v_and_b32_e32 v16, 0xff, v72
	s_delay_alu instid0(VALU_DEP_1)
	v_cmpx_ne_u16_e32 0, v16
	s_cbranch_execz .LBB193_640
; %bb.633:                              ;   in Loop: Header=BB193_360 Depth=1
	v_mov_b64_e32 v[58:59], 0x80000000
	s_mov_b32 s14, exec_lo
	v_cmpx_ne_u16_e32 0x80, v16
	s_cbranch_execz .LBB193_639
; %bb.634:                              ;   in Loop: Header=BB193_360 Depth=1
	v_mov_b64_e32 v[58:59], 0x7f800001
	v_and_b32_e32 v60, 0x7f, v72
	s_mov_b32 s15, exec_lo
	s_delay_alu instid0(VALU_DEP_1)
	v_cmpx_ne_u32_e32 0x7f, v60
	s_cbranch_execz .LBB193_638
; %bb.635:                              ;   in Loop: Header=BB193_360 Depth=1
	v_and_b32_e32 v16, 7, v72
	v_lshrrev_b32_e32 v58, 3, v60
	s_mov_b32 s16, exec_lo
	v_cmpx_gt_u32_e32 8, v60
; %bb.636:                              ;   in Loop: Header=BB193_360 Depth=1
	s_delay_alu instid0(VALU_DEP_3) | instskip(NEXT) | instid1(VALU_DEP_1)
	v_clz_i32_u32_e32 v58, v16
	v_min_u32_e32 v58, 32, v58
	s_delay_alu instid0(VALU_DEP_1) | instskip(NEXT) | instid1(VALU_DEP_1)
	v_subrev_nc_u32_e32 v59, 28, v58
	v_lshlrev_b64_e32 v[60:61], v59, v[16:17]
	s_delay_alu instid0(VALU_DEP_1)
	v_dual_sub_nc_u32 v58, 29, v58 :: v_dual_bitop2_b32 v16, 7, v60 bitop3:0x40
; %bb.637:                              ;   in Loop: Header=BB193_360 Depth=1
	s_or_b32 exec_lo, exec_lo, s16
	v_lshlrev_b32_e32 v59, 24, v72
	s_delay_alu instid0(VALU_DEP_2) | instskip(NEXT) | instid1(VALU_DEP_3)
	v_lshlrev_b32_e32 v16, 20, v16
	v_lshl_add_u32 v58, v58, 23, 0x3c000000
	s_delay_alu instid0(VALU_DEP_3) | instskip(NEXT) | instid1(VALU_DEP_1)
	v_and_b32_e32 v59, 0x80000000, v59
	v_or3_b32 v16, v16, v59, v58
	s_delay_alu instid0(VALU_DEP_1)
	v_mov_b64_e32 v[58:59], v[16:17]
.LBB193_638:                            ;   in Loop: Header=BB193_360 Depth=1
	s_or_b32 exec_lo, exec_lo, s15
.LBB193_639:                            ;   in Loop: Header=BB193_360 Depth=1
	s_delay_alu instid0(SALU_CYCLE_1)
	s_or_b32 exec_lo, exec_lo, s14
.LBB193_640:                            ;   in Loop: Header=BB193_360 Depth=1
	s_delay_alu instid0(SALU_CYCLE_1) | instskip(SKIP_2) | instid1(VALU_DEP_1)
	s_or_b32 exec_lo, exec_lo, s11
	v_lshrrev_b16 v16, 8, v72
	s_mov_b32 s11, exec_lo
	v_cmpx_ne_u16_e32 0, v16
	s_cbranch_execz .LBB193_648
; %bb.641:                              ;   in Loop: Header=BB193_360 Depth=1
	v_mov_b64_e32 v[56:57], 0x8000000000000000
	s_mov_b32 s14, exec_lo
	v_cmpx_ne_u16_e32 0x80, v16
	s_cbranch_execz .LBB193_647
; %bb.642:                              ;   in Loop: Header=BB193_360 Depth=1
	v_and_b32_e32 v16, 0xffff, v16
	v_mov_b64_e32 v[56:57], 0x7f80000100000000
	s_mov_b32 s15, exec_lo
	s_delay_alu instid0(VALU_DEP_2) | instskip(NEXT) | instid1(VALU_DEP_1)
	v_and_b32_e32 v60, 0x7f, v16
	v_cmpx_ne_u32_e32 0x7f, v60
	s_cbranch_execz .LBB193_646
; %bb.643:                              ;   in Loop: Header=BB193_360 Depth=1
	v_and_b32_e32 v16, 7, v16
	v_lshrrev_b32_e32 v56, 3, v60
	s_mov_b32 s16, exec_lo
	v_cmpx_gt_u32_e32 8, v60
; %bb.644:                              ;   in Loop: Header=BB193_360 Depth=1
	s_delay_alu instid0(VALU_DEP_3) | instskip(NEXT) | instid1(VALU_DEP_1)
	v_clz_i32_u32_e32 v56, v16
	v_min_u32_e32 v56, 32, v56
	s_delay_alu instid0(VALU_DEP_1) | instskip(SKIP_1) | instid1(VALU_DEP_2)
	v_subrev_nc_u32_e32 v57, 28, v56
	v_sub_nc_u32_e32 v56, 29, v56
	v_lshlrev_b64_e32 v[60:61], v57, v[16:17]
	s_delay_alu instid0(VALU_DEP_1)
	v_and_b32_e32 v16, 7, v60
; %bb.645:                              ;   in Loop: Header=BB193_360 Depth=1
	s_or_b32 exec_lo, exec_lo, s16
	v_lshlrev_b32_e32 v57, 16, v72
	s_delay_alu instid0(VALU_DEP_2) | instskip(SKIP_1) | instid1(VALU_DEP_3)
	v_lshlrev_b32_e32 v16, 20, v16
	v_lshl_add_u32 v56, v56, 23, 0x3c000000
	v_and_b32_e32 v57, 0x80000000, v57
	s_delay_alu instid0(VALU_DEP_1)
	v_or3_b32 v57, v16, v57, v56
	v_mov_b32_e32 v56, v17
.LBB193_646:                            ;   in Loop: Header=BB193_360 Depth=1
	s_or_b32 exec_lo, exec_lo, s15
.LBB193_647:                            ;   in Loop: Header=BB193_360 Depth=1
	s_delay_alu instid0(SALU_CYCLE_1)
	s_or_b32 exec_lo, exec_lo, s14
.LBB193_648:                            ;   in Loop: Header=BB193_360 Depth=1
	s_delay_alu instid0(SALU_CYCLE_1) | instskip(SKIP_4) | instid1(VALU_DEP_3)
	s_or_b32 exec_lo, exec_lo, s11
	v_lshrrev_b32_e32 v73, 16, v72
	v_mov_b64_e32 v[60:61], 0
	v_mov_b64_e32 v[62:63], 0
	s_mov_b32 s11, exec_lo
	v_and_b32_e32 v16, 0xff, v73
	s_delay_alu instid0(VALU_DEP_1)
	v_cmpx_ne_u16_e32 0, v16
	s_cbranch_execz .LBB193_656
; %bb.649:                              ;   in Loop: Header=BB193_360 Depth=1
	v_mov_b64_e32 v[62:63], 0x80000000
	s_mov_b32 s14, exec_lo
	v_cmpx_ne_u16_e32 0x80, v16
	s_cbranch_execz .LBB193_655
; %bb.650:                              ;   in Loop: Header=BB193_360 Depth=1
	v_mov_b64_e32 v[62:63], 0x7f800001
	v_bfe_u32 v74, v72, 16, 7
	s_mov_b32 s15, exec_lo
	s_delay_alu instid0(VALU_DEP_1)
	v_cmpx_ne_u32_e32 0x7f, v74
	s_cbranch_execz .LBB193_654
; %bb.651:                              ;   in Loop: Header=BB193_360 Depth=1
	v_dual_lshrrev_b32 v62, 3, v74 :: v_dual_bitop2_b32 v16, 7, v73 bitop3:0x40
	s_mov_b32 s16, exec_lo
	v_cmpx_gt_u32_e32 8, v74
; %bb.652:                              ;   in Loop: Header=BB193_360 Depth=1
	s_delay_alu instid0(VALU_DEP_2) | instskip(NEXT) | instid1(VALU_DEP_1)
	v_clz_i32_u32_e32 v62, v16
	v_min_u32_e32 v62, 32, v62
	s_delay_alu instid0(VALU_DEP_1) | instskip(SKIP_1) | instid1(VALU_DEP_2)
	v_subrev_nc_u32_e32 v63, 28, v62
	v_sub_nc_u32_e32 v62, 29, v62
	v_lshlrev_b64_e32 v[74:75], v63, v[16:17]
	s_delay_alu instid0(VALU_DEP_1)
	v_and_b32_e32 v16, 7, v74
; %bb.653:                              ;   in Loop: Header=BB193_360 Depth=1
	s_or_b32 exec_lo, exec_lo, s16
	s_delay_alu instid0(VALU_DEP_1) | instskip(SKIP_1) | instid1(VALU_DEP_2)
	v_dual_lshlrev_b32 v63, 24, v73 :: v_dual_lshlrev_b32 v16, 20, v16
	v_lshl_add_u32 v62, v62, 23, 0x3c000000
	v_and_b32_e32 v63, 0x80000000, v63
	s_delay_alu instid0(VALU_DEP_1) | instskip(NEXT) | instid1(VALU_DEP_1)
	v_or3_b32 v16, v16, v63, v62
	v_mov_b64_e32 v[62:63], v[16:17]
.LBB193_654:                            ;   in Loop: Header=BB193_360 Depth=1
	s_or_b32 exec_lo, exec_lo, s15
.LBB193_655:                            ;   in Loop: Header=BB193_360 Depth=1
	s_delay_alu instid0(SALU_CYCLE_1)
	s_or_b32 exec_lo, exec_lo, s14
.LBB193_656:                            ;   in Loop: Header=BB193_360 Depth=1
	s_delay_alu instid0(SALU_CYCLE_1) | instskip(NEXT) | instid1(SALU_CYCLE_1)
	s_or_b32 exec_lo, exec_lo, s11
	s_mov_b32 s11, exec_lo
	v_cmpx_lt_u32_e32 0xffffff, v72
	s_cbranch_execz .LBB193_664
; %bb.657:                              ;   in Loop: Header=BB193_360 Depth=1
	v_mov_b64_e32 v[60:61], 0x8000000000000000
	v_lshrrev_b32_e32 v73, 24, v72
	s_mov_b32 s14, exec_lo
	s_delay_alu instid0(VALU_DEP_1)
	v_cmpx_ne_u32_e32 0x80, v73
	s_cbranch_execz .LBB193_663
; %bb.658:                              ;   in Loop: Header=BB193_360 Depth=1
	v_mov_b64_e32 v[60:61], 0x7f80000100000000
	v_bfe_u32 v72, v72, 24, 7
	s_mov_b32 s15, exec_lo
	s_delay_alu instid0(VALU_DEP_1)
	v_cmpx_ne_u32_e32 0x7f, v72
	s_cbranch_execz .LBB193_662
; %bb.659:                              ;   in Loop: Header=BB193_360 Depth=1
	v_dual_lshrrev_b32 v60, 3, v72 :: v_dual_bitop2_b32 v16, 7, v73 bitop3:0x40
	s_mov_b32 s16, exec_lo
	v_cmpx_gt_u32_e32 8, v72
; %bb.660:                              ;   in Loop: Header=BB193_360 Depth=1
	s_delay_alu instid0(VALU_DEP_2) | instskip(NEXT) | instid1(VALU_DEP_1)
	v_clz_i32_u32_e32 v60, v16
	v_min_u32_e32 v60, 32, v60
	s_delay_alu instid0(VALU_DEP_1) | instskip(NEXT) | instid1(VALU_DEP_1)
	v_subrev_nc_u32_e32 v61, 28, v60
	v_lshlrev_b64_e32 v[74:75], v61, v[16:17]
	s_delay_alu instid0(VALU_DEP_1)
	v_dual_sub_nc_u32 v60, 29, v60 :: v_dual_bitop2_b32 v16, 7, v74 bitop3:0x40
; %bb.661:                              ;   in Loop: Header=BB193_360 Depth=1
	s_or_b32 exec_lo, exec_lo, s16
	s_delay_alu instid0(VALU_DEP_1) | instskip(NEXT) | instid1(VALU_DEP_2)
	v_dual_lshlrev_b32 v61, 24, v73 :: v_dual_lshlrev_b32 v16, 20, v16
	v_lshl_add_u32 v60, v60, 23, 0x3c000000
	s_delay_alu instid0(VALU_DEP_2) | instskip(NEXT) | instid1(VALU_DEP_1)
	v_and_b32_e32 v61, 0x80000000, v61
	v_or3_b32 v61, v16, v61, v60
	v_mov_b32_e32 v60, v17
.LBB193_662:                            ;   in Loop: Header=BB193_360 Depth=1
	s_or_b32 exec_lo, exec_lo, s15
.LBB193_663:                            ;   in Loop: Header=BB193_360 Depth=1
	s_delay_alu instid0(SALU_CYCLE_1)
	s_or_b32 exec_lo, exec_lo, s14
.LBB193_664:                            ;   in Loop: Header=BB193_360 Depth=1
	s_delay_alu instid0(SALU_CYCLE_1)
	s_or_b32 exec_lo, exec_lo, s11
	v_mov_b64_e32 v[72:73], s[2:3]
	v_or_b32_e32 v57, v57, v59
	v_or_b32_e32 v56, v56, v58
	;; [unrolled: 1-line block ×4, first 2 shown]
	s_delay_alu instid0(VALU_DEP_3) | instskip(NEXT) | instid1(VALU_DEP_2)
	v_pk_mul_f32 v[58:59], v[72:73], v[56:57]
	v_pk_mul_f32 v[56:57], v[72:73], v[60:61]
	s_and_saveexec_b32 s11, vcc_lo
	s_cbranch_execz .LBB193_666
; %bb.665:                              ;   in Loop: Header=BB193_360 Depth=1
	v_cmp_gt_i32_e64 s0, s25, v1
	s_delay_alu instid0(VALU_DEP_1) | instskip(SKIP_1) | instid1(VALU_DEP_1)
	v_cndmask_b32_e64 v58, 0, v58, s0
	v_cmp_gt_i32_e64 s0, s25, v0
	v_cndmask_b32_e64 v59, 0, v59, s0
	v_cmp_gt_i32_e64 s0, s25, v65
	s_delay_alu instid0(VALU_DEP_1) | instskip(SKIP_1) | instid1(VALU_DEP_1)
	v_cndmask_b32_e64 v56, 0, v56, s0
	v_cmp_gt_i32_e64 s0, s25, v64
	v_cndmask_b32_e64 v57, 0, v57, s0
.LBB193_666:                            ;   in Loop: Header=BB193_360 Depth=1
	s_or_b32 exec_lo, exec_lo, s11
	global_load_b32 v72, v[26:27], off offset:1152
	s_wait_xcnt 0x0
	v_mov_b64_e32 v[26:27], 0
	v_mov_b64_e32 v[60:61], 0
	s_mov_b32 s11, exec_lo
	s_wait_loadcnt 0x0
	v_and_b32_e32 v16, 0xff, v72
	s_delay_alu instid0(VALU_DEP_1)
	v_cmpx_ne_u16_e32 0, v16
	s_cbranch_execz .LBB193_674
; %bb.667:                              ;   in Loop: Header=BB193_360 Depth=1
	v_mov_b64_e32 v[60:61], 0x80000000
	s_mov_b32 s14, exec_lo
	v_cmpx_ne_u16_e32 0x80, v16
	s_cbranch_execz .LBB193_673
; %bb.668:                              ;   in Loop: Header=BB193_360 Depth=1
	v_mov_b64_e32 v[60:61], 0x7f800001
	v_and_b32_e32 v62, 0x7f, v72
	s_mov_b32 s15, exec_lo
	s_delay_alu instid0(VALU_DEP_1)
	v_cmpx_ne_u32_e32 0x7f, v62
	s_cbranch_execz .LBB193_672
; %bb.669:                              ;   in Loop: Header=BB193_360 Depth=1
	v_dual_lshrrev_b32 v60, 3, v62 :: v_dual_bitop2_b32 v16, 7, v72 bitop3:0x40
	s_mov_b32 s16, exec_lo
	v_cmpx_gt_u32_e32 8, v62
; %bb.670:                              ;   in Loop: Header=BB193_360 Depth=1
	s_delay_alu instid0(VALU_DEP_2) | instskip(NEXT) | instid1(VALU_DEP_1)
	v_clz_i32_u32_e32 v60, v16
	v_min_u32_e32 v60, 32, v60
	s_delay_alu instid0(VALU_DEP_1) | instskip(NEXT) | instid1(VALU_DEP_1)
	v_subrev_nc_u32_e32 v61, 28, v60
	v_lshlrev_b64_e32 v[62:63], v61, v[16:17]
	s_delay_alu instid0(VALU_DEP_1)
	v_dual_sub_nc_u32 v60, 29, v60 :: v_dual_bitop2_b32 v16, 7, v62 bitop3:0x40
; %bb.671:                              ;   in Loop: Header=BB193_360 Depth=1
	s_or_b32 exec_lo, exec_lo, s16
	v_lshlrev_b32_e32 v61, 24, v72
	s_delay_alu instid0(VALU_DEP_2) | instskip(NEXT) | instid1(VALU_DEP_3)
	v_lshlrev_b32_e32 v16, 20, v16
	v_lshl_add_u32 v60, v60, 23, 0x3c000000
	s_delay_alu instid0(VALU_DEP_3) | instskip(NEXT) | instid1(VALU_DEP_1)
	v_and_b32_e32 v61, 0x80000000, v61
	v_or3_b32 v16, v16, v61, v60
	s_delay_alu instid0(VALU_DEP_1)
	v_mov_b64_e32 v[60:61], v[16:17]
.LBB193_672:                            ;   in Loop: Header=BB193_360 Depth=1
	s_or_b32 exec_lo, exec_lo, s15
.LBB193_673:                            ;   in Loop: Header=BB193_360 Depth=1
	s_delay_alu instid0(SALU_CYCLE_1)
	s_or_b32 exec_lo, exec_lo, s14
.LBB193_674:                            ;   in Loop: Header=BB193_360 Depth=1
	s_delay_alu instid0(SALU_CYCLE_1) | instskip(SKIP_2) | instid1(VALU_DEP_1)
	s_or_b32 exec_lo, exec_lo, s11
	v_lshrrev_b16 v16, 8, v72
	s_mov_b32 s11, exec_lo
	v_cmpx_ne_u16_e32 0, v16
	s_cbranch_execz .LBB193_682
; %bb.675:                              ;   in Loop: Header=BB193_360 Depth=1
	v_mov_b64_e32 v[26:27], 0x8000000000000000
	s_mov_b32 s14, exec_lo
	v_cmpx_ne_u16_e32 0x80, v16
	s_cbranch_execz .LBB193_681
; %bb.676:                              ;   in Loop: Header=BB193_360 Depth=1
	v_and_b32_e32 v16, 0xffff, v16
	v_mov_b64_e32 v[26:27], 0x7f80000100000000
	s_mov_b32 s15, exec_lo
	s_delay_alu instid0(VALU_DEP_2) | instskip(NEXT) | instid1(VALU_DEP_1)
	v_and_b32_e32 v62, 0x7f, v16
	v_cmpx_ne_u32_e32 0x7f, v62
	s_cbranch_execz .LBB193_680
; %bb.677:                              ;   in Loop: Header=BB193_360 Depth=1
	v_dual_lshrrev_b32 v26, 3, v62 :: v_dual_bitop2_b32 v16, 7, v16 bitop3:0x40
	s_mov_b32 s16, exec_lo
	v_cmpx_gt_u32_e32 8, v62
; %bb.678:                              ;   in Loop: Header=BB193_360 Depth=1
	s_delay_alu instid0(VALU_DEP_2) | instskip(NEXT) | instid1(VALU_DEP_1)
	v_clz_i32_u32_e32 v26, v16
	v_min_u32_e32 v26, 32, v26
	s_delay_alu instid0(VALU_DEP_1) | instskip(SKIP_1) | instid1(VALU_DEP_2)
	v_subrev_nc_u32_e32 v27, 28, v26
	v_sub_nc_u32_e32 v26, 29, v26
	v_lshlrev_b64_e32 v[62:63], v27, v[16:17]
	s_delay_alu instid0(VALU_DEP_1)
	v_and_b32_e32 v16, 7, v62
; %bb.679:                              ;   in Loop: Header=BB193_360 Depth=1
	s_or_b32 exec_lo, exec_lo, s16
	v_lshlrev_b32_e32 v27, 16, v72
	s_delay_alu instid0(VALU_DEP_2) | instskip(SKIP_1) | instid1(VALU_DEP_3)
	v_lshlrev_b32_e32 v16, 20, v16
	v_lshl_add_u32 v26, v26, 23, 0x3c000000
	v_and_b32_e32 v27, 0x80000000, v27
	s_delay_alu instid0(VALU_DEP_1)
	v_or3_b32 v27, v16, v27, v26
	v_mov_b32_e32 v26, v17
.LBB193_680:                            ;   in Loop: Header=BB193_360 Depth=1
	s_or_b32 exec_lo, exec_lo, s15
.LBB193_681:                            ;   in Loop: Header=BB193_360 Depth=1
	s_delay_alu instid0(SALU_CYCLE_1)
	s_or_b32 exec_lo, exec_lo, s14
.LBB193_682:                            ;   in Loop: Header=BB193_360 Depth=1
	s_delay_alu instid0(SALU_CYCLE_1) | instskip(SKIP_4) | instid1(VALU_DEP_3)
	s_or_b32 exec_lo, exec_lo, s11
	v_lshrrev_b32_e32 v73, 16, v72
	v_mov_b64_e32 v[62:63], 0
	v_mov_b64_e32 v[64:65], 0
	s_mov_b32 s11, exec_lo
	v_and_b32_e32 v16, 0xff, v73
	s_delay_alu instid0(VALU_DEP_1)
	v_cmpx_ne_u16_e32 0, v16
	s_cbranch_execz .LBB193_690
; %bb.683:                              ;   in Loop: Header=BB193_360 Depth=1
	v_mov_b64_e32 v[64:65], 0x80000000
	s_mov_b32 s14, exec_lo
	v_cmpx_ne_u16_e32 0x80, v16
	s_cbranch_execz .LBB193_689
; %bb.684:                              ;   in Loop: Header=BB193_360 Depth=1
	v_mov_b64_e32 v[64:65], 0x7f800001
	v_bfe_u32 v74, v72, 16, 7
	s_mov_b32 s15, exec_lo
	s_delay_alu instid0(VALU_DEP_1)
	v_cmpx_ne_u32_e32 0x7f, v74
	s_cbranch_execz .LBB193_688
; %bb.685:                              ;   in Loop: Header=BB193_360 Depth=1
	v_dual_lshrrev_b32 v64, 3, v74 :: v_dual_bitop2_b32 v16, 7, v73 bitop3:0x40
	s_mov_b32 s16, exec_lo
	v_cmpx_gt_u32_e32 8, v74
; %bb.686:                              ;   in Loop: Header=BB193_360 Depth=1
	s_delay_alu instid0(VALU_DEP_2) | instskip(NEXT) | instid1(VALU_DEP_1)
	v_clz_i32_u32_e32 v64, v16
	v_min_u32_e32 v64, 32, v64
	s_delay_alu instid0(VALU_DEP_1) | instskip(NEXT) | instid1(VALU_DEP_1)
	v_subrev_nc_u32_e32 v65, 28, v64
	v_lshlrev_b64_e32 v[74:75], v65, v[16:17]
	s_delay_alu instid0(VALU_DEP_1)
	v_dual_sub_nc_u32 v64, 29, v64 :: v_dual_bitop2_b32 v16, 7, v74 bitop3:0x40
; %bb.687:                              ;   in Loop: Header=BB193_360 Depth=1
	s_or_b32 exec_lo, exec_lo, s16
	s_delay_alu instid0(VALU_DEP_1) | instskip(NEXT) | instid1(VALU_DEP_2)
	v_dual_lshlrev_b32 v65, 24, v73 :: v_dual_lshlrev_b32 v16, 20, v16
	v_lshl_add_u32 v64, v64, 23, 0x3c000000
	s_delay_alu instid0(VALU_DEP_2) | instskip(NEXT) | instid1(VALU_DEP_1)
	v_and_b32_e32 v65, 0x80000000, v65
	v_or3_b32 v16, v16, v65, v64
	s_delay_alu instid0(VALU_DEP_1)
	v_mov_b64_e32 v[64:65], v[16:17]
.LBB193_688:                            ;   in Loop: Header=BB193_360 Depth=1
	s_or_b32 exec_lo, exec_lo, s15
.LBB193_689:                            ;   in Loop: Header=BB193_360 Depth=1
	s_delay_alu instid0(SALU_CYCLE_1)
	s_or_b32 exec_lo, exec_lo, s14
.LBB193_690:                            ;   in Loop: Header=BB193_360 Depth=1
	s_delay_alu instid0(SALU_CYCLE_1) | instskip(NEXT) | instid1(SALU_CYCLE_1)
	s_or_b32 exec_lo, exec_lo, s11
	s_mov_b32 s11, exec_lo
	v_cmpx_lt_u32_e32 0xffffff, v72
	s_cbranch_execz .LBB193_698
; %bb.691:                              ;   in Loop: Header=BB193_360 Depth=1
	v_mov_b64_e32 v[62:63], 0x8000000000000000
	v_lshrrev_b32_e32 v73, 24, v72
	s_mov_b32 s14, exec_lo
	s_delay_alu instid0(VALU_DEP_1)
	v_cmpx_ne_u32_e32 0x80, v73
	s_cbranch_execz .LBB193_697
; %bb.692:                              ;   in Loop: Header=BB193_360 Depth=1
	v_mov_b64_e32 v[62:63], 0x7f80000100000000
	v_bfe_u32 v72, v72, 24, 7
	s_mov_b32 s15, exec_lo
	s_delay_alu instid0(VALU_DEP_1)
	v_cmpx_ne_u32_e32 0x7f, v72
	s_cbranch_execz .LBB193_696
; %bb.693:                              ;   in Loop: Header=BB193_360 Depth=1
	v_dual_lshrrev_b32 v62, 3, v72 :: v_dual_bitop2_b32 v16, 7, v73 bitop3:0x40
	s_mov_b32 s16, exec_lo
	v_cmpx_gt_u32_e32 8, v72
; %bb.694:                              ;   in Loop: Header=BB193_360 Depth=1
	s_delay_alu instid0(VALU_DEP_2) | instskip(NEXT) | instid1(VALU_DEP_1)
	v_clz_i32_u32_e32 v62, v16
	v_min_u32_e32 v62, 32, v62
	s_delay_alu instid0(VALU_DEP_1) | instskip(SKIP_1) | instid1(VALU_DEP_2)
	v_subrev_nc_u32_e32 v63, 28, v62
	v_sub_nc_u32_e32 v62, 29, v62
	v_lshlrev_b64_e32 v[74:75], v63, v[16:17]
	s_delay_alu instid0(VALU_DEP_1)
	v_and_b32_e32 v16, 7, v74
; %bb.695:                              ;   in Loop: Header=BB193_360 Depth=1
	s_or_b32 exec_lo, exec_lo, s16
	s_delay_alu instid0(VALU_DEP_1) | instskip(SKIP_1) | instid1(VALU_DEP_2)
	v_dual_lshlrev_b32 v63, 24, v73 :: v_dual_lshlrev_b32 v16, 20, v16
	v_lshl_add_u32 v62, v62, 23, 0x3c000000
	v_and_b32_e32 v63, 0x80000000, v63
	s_delay_alu instid0(VALU_DEP_1)
	v_or3_b32 v63, v16, v63, v62
	v_mov_b32_e32 v62, v17
.LBB193_696:                            ;   in Loop: Header=BB193_360 Depth=1
	s_or_b32 exec_lo, exec_lo, s15
.LBB193_697:                            ;   in Loop: Header=BB193_360 Depth=1
	s_delay_alu instid0(SALU_CYCLE_1)
	s_or_b32 exec_lo, exec_lo, s14
.LBB193_698:                            ;   in Loop: Header=BB193_360 Depth=1
	s_delay_alu instid0(SALU_CYCLE_1)
	s_or_b32 exec_lo, exec_lo, s11
	v_mov_b64_e32 v[72:73], s[2:3]
	v_or_b32_e32 v27, v27, v61
	v_or_b32_e32 v26, v26, v60
	;; [unrolled: 1-line block ×4, first 2 shown]
	s_delay_alu instid0(VALU_DEP_3) | instskip(NEXT) | instid1(VALU_DEP_2)
	v_pk_mul_f32 v[60:61], v[72:73], v[26:27]
	v_pk_mul_f32 v[26:27], v[72:73], v[62:63]
	s_and_saveexec_b32 s0, vcc_lo
	s_cbranch_execz .LBB193_359
; %bb.699:                              ;   in Loop: Header=BB193_360 Depth=1
	v_cmp_gt_i32_e32 vcc_lo, s10, v0
	v_or_b32_e32 v0, 2, v1
	v_cndmask_b32_e32 v61, 0, v61, vcc_lo
	v_cmp_gt_i32_e32 vcc_lo, s25, v1
	v_dual_cndmask_b32 v60, 0, v60, vcc_lo :: v_dual_bitop2_b32 v16, 3, v1 bitop3:0x54
	s_delay_alu instid0(VALU_DEP_1)
	v_cmp_gt_i32_e32 vcc_lo, s10, v16
	v_cndmask_b32_e32 v27, 0, v27, vcc_lo
	v_cmp_gt_i32_e32 vcc_lo, s25, v0
	v_cndmask_b32_e32 v26, 0, v26, vcc_lo
	s_branch .LBB193_359
.LBB193_700:
	s_or_b32 exec_lo, exec_lo, s9
.LBB193_701:
	s_delay_alu instid0(SALU_CYCLE_1)
	s_or_b32 exec_lo, exec_lo, s1
	ds_bpermute_b32 v0, v67, v14
	ds_bpermute_b32 v1, v67, v15
	;; [unrolled: 1-line block ×10, first 2 shown]
	s_mov_b32 s0, exec_lo
	s_wait_dscnt 0x8
	v_pk_add_f32 v[14:15], v[14:15], v[0:1]
	scratch_load_b32 v1, off, off offset:36 ; 4-byte Folded Reload
	s_wait_dscnt 0x6
	v_pk_add_f32 v[2:3], v[12:13], v[2:3]
	v_and_b32_e32 v0, 28, v66
	s_wait_dscnt 0x4
	v_pk_add_f32 v[4:5], v[10:11], v[4:5]
	s_wait_loadcnt_dscnt 0x0
	v_pk_add_f32 v[16:17], v[8:9], v[16:17]
	s_barrier_signal -1
	v_pk_add_f32 v[10:11], v[6:7], v[18:19]
	ds_bpermute_b32 v6, v68, v14
	ds_bpermute_b32 v7, v68, v15
	;; [unrolled: 1-line block ×10, first 2 shown]
	s_barrier_wait -1
	s_wait_dscnt 0x0
	v_pk_add_f32 v[8:9], v[14:15], v[6:7]
	v_pk_add_f32 v[6:7], v[2:3], v[18:19]
	;; [unrolled: 1-line block ×4, first 2 shown]
	v_and_b32_e32 v1, 0x3c3, v1
	s_delay_alu instid0(VALU_DEP_1) | instskip(SKIP_1) | instid1(SALU_CYCLE_1)
	v_cmpx_ne_u32_e32 64, v1
	s_xor_b32 s0, exec_lo, s0
	s_or_saveexec_b32 s0, s0
	v_add_nc_u32_e32 v1, 0x160, v0
	scratch_load_b32 v0, off, off offset:32 th:TH_LOAD_LU ; 4-byte Folded Reload
	v_pk_add_f32 v[10:11], v[10:11], v[12:13]
	v_lshrrev_b32_e32 v12, 2, v66
	s_wait_loadcnt 0x0
	v_mul_u32_u24_e32 v0, 0x140, v0
	s_xor_b32 exec_lo, exec_lo, s0
	s_cbranch_execz .LBB193_703
; %bb.702:
	s_delay_alu instid0(VALU_DEP_1) | instskip(NEXT) | instid1(VALU_DEP_1)
	v_add_nc_u32_e32 v13, v1, v0
	v_add_nc_u32_e32 v14, 0xfffffd80, v13
	;; [unrolled: 1-line block ×11, first 2 shown]
	ds_store_b32 v14, v8
	ds_store_b32 v15, v9
	;; [unrolled: 1-line block ×10, first 2 shown]
.LBB193_703:
	s_or_b32 exec_lo, exec_lo, s0
	scratch_load_b32 v13, off, off offset:36 ; 4-byte Folded Reload
	v_lshlrev_b32_e32 v12, 2, v12
	s_mov_b32 s1, exec_lo
	v_cmp_eq_u32_e32 vcc_lo, 0, v69
	s_wait_loadcnt_dscnt 0x0
	s_barrier_signal -1
	v_add3_u32 v0, 0x160, v0, v12
	s_barrier_wait -1
	v_cmpx_gt_u32_e32 64, v13
	s_cbranch_execz .LBB193_716
; %bb.704:
	s_and_saveexec_b32 s0, vcc_lo
	s_cbranch_execnz .LBB193_734
; %bb.705:
	s_or_b32 exec_lo, exec_lo, s0
	s_and_saveexec_b32 s0, vcc_lo
	s_cbranch_execnz .LBB193_735
.LBB193_706:
	s_or_b32 exec_lo, exec_lo, s0
	s_and_saveexec_b32 s0, vcc_lo
	s_cbranch_execnz .LBB193_736
.LBB193_707:
	s_or_b32 exec_lo, exec_lo, s0
	s_and_saveexec_b32 s0, vcc_lo
	s_cbranch_execnz .LBB193_737
.LBB193_708:
	s_or_b32 exec_lo, exec_lo, s0
	s_and_saveexec_b32 s0, vcc_lo
	s_cbranch_execnz .LBB193_738
.LBB193_709:
	s_or_b32 exec_lo, exec_lo, s0
	s_and_saveexec_b32 s0, vcc_lo
	s_cbranch_execnz .LBB193_739
.LBB193_710:
	s_or_b32 exec_lo, exec_lo, s0
	s_and_saveexec_b32 s0, vcc_lo
	s_cbranch_execnz .LBB193_740
.LBB193_711:
	s_or_b32 exec_lo, exec_lo, s0
	s_and_saveexec_b32 s0, vcc_lo
	s_cbranch_execnz .LBB193_741
.LBB193_712:
	s_or_b32 exec_lo, exec_lo, s0
	s_and_saveexec_b32 s0, vcc_lo
	s_cbranch_execnz .LBB193_742
.LBB193_713:
	s_or_b32 exec_lo, exec_lo, s0
	s_and_saveexec_b32 s0, vcc_lo
	s_cbranch_execz .LBB193_715
.LBB193_714:
	ds_load_b32 v12, v0 offset:288
	s_wait_dscnt 0x0
	v_add_f32_e32 v11, v11, v12
.LBB193_715:
	s_or_b32 exec_lo, exec_lo, s0
.LBB193_716:
	s_delay_alu instid0(SALU_CYCLE_1) | instskip(SKIP_4) | instid1(VALU_DEP_1)
	s_or_b32 exec_lo, exec_lo, s1
	v_and_b32_e32 v12, 0x3e3, v13
	s_mov_b32 s1, exec_lo
	s_barrier_signal -1
	s_barrier_wait -1
	v_cmpx_eq_u32_e32 32, v12
	s_cbranch_execz .LBB193_718
; %bb.717:
	ds_store_2addr_b32 v1, v8, v9 offset1:8
	ds_store_2addr_b32 v1, v6, v7 offset0:16 offset1:24
	ds_store_2addr_b32 v1, v4, v5 offset0:32 offset1:40
	;; [unrolled: 1-line block ×4, first 2 shown]
.LBB193_718:
	s_or_b32 exec_lo, exec_lo, s1
	s_delay_alu instid0(SALU_CYCLE_1)
	s_mov_b32 s1, exec_lo
	s_wait_dscnt 0x0
	s_barrier_signal -1
	s_barrier_wait -1
	v_cmpx_gt_u32_e32 32, v13
	s_cbranch_execz .LBB193_731
; %bb.719:
	s_and_saveexec_b32 s0, vcc_lo
	s_cbranch_execnz .LBB193_743
; %bb.720:
	s_or_b32 exec_lo, exec_lo, s0
	s_and_saveexec_b32 s0, vcc_lo
	s_cbranch_execnz .LBB193_744
.LBB193_721:
	s_or_b32 exec_lo, exec_lo, s0
	s_and_saveexec_b32 s0, vcc_lo
	s_cbranch_execnz .LBB193_745
.LBB193_722:
	s_or_b32 exec_lo, exec_lo, s0
	s_and_saveexec_b32 s0, vcc_lo
	s_cbranch_execnz .LBB193_746
.LBB193_723:
	s_or_b32 exec_lo, exec_lo, s0
	s_and_saveexec_b32 s0, vcc_lo
	s_cbranch_execnz .LBB193_747
.LBB193_724:
	s_or_b32 exec_lo, exec_lo, s0
	s_and_saveexec_b32 s0, vcc_lo
	s_cbranch_execnz .LBB193_748
.LBB193_725:
	s_or_b32 exec_lo, exec_lo, s0
	s_and_saveexec_b32 s0, vcc_lo
	s_cbranch_execnz .LBB193_749
.LBB193_726:
	s_or_b32 exec_lo, exec_lo, s0
	s_and_saveexec_b32 s0, vcc_lo
	s_cbranch_execnz .LBB193_750
.LBB193_727:
	s_or_b32 exec_lo, exec_lo, s0
	s_and_saveexec_b32 s0, vcc_lo
	s_cbranch_execnz .LBB193_751
.LBB193_728:
	s_or_b32 exec_lo, exec_lo, s0
	s_and_saveexec_b32 s0, vcc_lo
	s_cbranch_execz .LBB193_730
.LBB193_729:
	ds_load_b32 v0, v0 offset:288
	s_wait_dscnt 0x0
	v_add_f32_e32 v11, v11, v0
.LBB193_730:
	s_or_b32 exec_lo, exec_lo, s0
.LBB193_731:
	s_delay_alu instid0(SALU_CYCLE_1)
	s_or_b32 exec_lo, exec_lo, s1
	s_mov_b32 s1, 0
	s_barrier_signal -1
	s_barrier_wait -1
	s_mov_b32 s0, exec_lo
	v_cmpx_eq_u32_e32 0, v12
	s_cbranch_execz .LBB193_733
; %bb.732:
	s_mul_i32 s0, s24, s8
	s_mul_i32 s2, s8, s12
	;; [unrolled: 1-line block ×3, first 2 shown]
	s_lshr_b32 s8, ttmp7, 16
	s_mul_i32 s6, s0, 0x50
	s_bfe_u32 s0, ttmp6, 0x40014
	s_ashr_i32 s7, s6, 31
	s_add_co_i32 s0, s0, 1
	s_ashr_i32 s3, s2, 31
	s_mul_i32 s0, s8, s0
	s_bfe_u32 s9, ttmp6, 0x40008
	s_lshl_b64 s[6:7], s[6:7], 2
	s_lshl_b64 s[2:3], s[2:3], 2
	s_add_co_i32 s9, s9, s0
	s_cmp_eq_u32 s22, 0
	s_wait_kmcnt 0x0
	s_add_nc_u64 s[4:5], s[4:5], s[6:7]
	s_cselect_b32 s0, s8, s9
	s_add_nc_u64 s[2:3], s[4:5], s[2:3]
	s_mulk_i32 s0, 0x140
	s_delay_alu instid0(SALU_CYCLE_1)
	s_add_nc_u64 s[0:1], s[2:3], s[0:1]
	s_clause 0x9
	global_store_b32 v13, v8, s[0:1]
	global_store_b32 v13, v9, s[0:1] offset:32
	global_store_b32 v13, v6, s[0:1] offset:64
	global_store_b32 v13, v7, s[0:1] offset:96
	global_store_b32 v13, v4, s[0:1] offset:128
	global_store_b32 v13, v5, s[0:1] offset:160
	global_store_b32 v13, v2, s[0:1] offset:192
	global_store_b32 v13, v3, s[0:1] offset:224
	global_store_b32 v13, v10, s[0:1] offset:256
	global_store_b32 v13, v11, s[0:1] offset:288
.LBB193_733:
	s_sendmsg sendmsg(MSG_DEALLOC_VGPRS)
	s_endpgm
.LBB193_734:
	ds_load_b32 v12, v0
	s_wait_dscnt 0x0
	v_add_f32_e32 v8, v8, v12
	s_or_b32 exec_lo, exec_lo, s0
	s_and_saveexec_b32 s0, vcc_lo
	s_cbranch_execz .LBB193_706
.LBB193_735:
	ds_load_b32 v12, v0 offset:32
	s_wait_dscnt 0x0
	v_add_f32_e32 v9, v9, v12
	s_or_b32 exec_lo, exec_lo, s0
	s_and_saveexec_b32 s0, vcc_lo
	s_cbranch_execz .LBB193_707
.LBB193_736:
	ds_load_b32 v12, v0 offset:64
	s_wait_dscnt 0x0
	v_add_f32_e32 v6, v6, v12
	s_or_b32 exec_lo, exec_lo, s0
	s_and_saveexec_b32 s0, vcc_lo
	s_cbranch_execz .LBB193_708
.LBB193_737:
	ds_load_b32 v12, v0 offset:96
	s_wait_dscnt 0x0
	v_add_f32_e32 v7, v7, v12
	s_or_b32 exec_lo, exec_lo, s0
	s_and_saveexec_b32 s0, vcc_lo
	s_cbranch_execz .LBB193_709
.LBB193_738:
	ds_load_b32 v12, v0 offset:128
	s_wait_dscnt 0x0
	v_add_f32_e32 v4, v4, v12
	s_or_b32 exec_lo, exec_lo, s0
	s_and_saveexec_b32 s0, vcc_lo
	s_cbranch_execz .LBB193_710
.LBB193_739:
	ds_load_b32 v12, v0 offset:160
	s_wait_dscnt 0x0
	v_add_f32_e32 v5, v5, v12
	s_or_b32 exec_lo, exec_lo, s0
	s_and_saveexec_b32 s0, vcc_lo
	s_cbranch_execz .LBB193_711
.LBB193_740:
	ds_load_b32 v12, v0 offset:192
	s_wait_dscnt 0x0
	v_add_f32_e32 v2, v2, v12
	s_or_b32 exec_lo, exec_lo, s0
	s_and_saveexec_b32 s0, vcc_lo
	s_cbranch_execz .LBB193_712
.LBB193_741:
	ds_load_b32 v12, v0 offset:224
	s_wait_dscnt 0x0
	v_add_f32_e32 v3, v3, v12
	s_or_b32 exec_lo, exec_lo, s0
	s_and_saveexec_b32 s0, vcc_lo
	s_cbranch_execz .LBB193_713
.LBB193_742:
	ds_load_b32 v12, v0 offset:256
	s_wait_dscnt 0x0
	v_add_f32_e32 v10, v10, v12
	s_or_b32 exec_lo, exec_lo, s0
	s_and_saveexec_b32 s0, vcc_lo
	s_cbranch_execnz .LBB193_714
	s_branch .LBB193_715
.LBB193_743:
	ds_load_b32 v1, v0
	s_wait_dscnt 0x0
	v_add_f32_e32 v8, v8, v1
	s_or_b32 exec_lo, exec_lo, s0
	s_and_saveexec_b32 s0, vcc_lo
	s_cbranch_execz .LBB193_721
.LBB193_744:
	ds_load_b32 v1, v0 offset:32
	s_wait_dscnt 0x0
	v_add_f32_e32 v9, v9, v1
	s_or_b32 exec_lo, exec_lo, s0
	s_and_saveexec_b32 s0, vcc_lo
	s_cbranch_execz .LBB193_722
.LBB193_745:
	ds_load_b32 v1, v0 offset:64
	s_wait_dscnt 0x0
	v_add_f32_e32 v6, v6, v1
	s_or_b32 exec_lo, exec_lo, s0
	s_and_saveexec_b32 s0, vcc_lo
	s_cbranch_execz .LBB193_723
.LBB193_746:
	ds_load_b32 v1, v0 offset:96
	s_wait_dscnt 0x0
	v_add_f32_e32 v7, v7, v1
	s_or_b32 exec_lo, exec_lo, s0
	s_and_saveexec_b32 s0, vcc_lo
	s_cbranch_execz .LBB193_724
.LBB193_747:
	ds_load_b32 v1, v0 offset:128
	s_wait_dscnt 0x0
	v_add_f32_e32 v4, v4, v1
	s_or_b32 exec_lo, exec_lo, s0
	s_and_saveexec_b32 s0, vcc_lo
	s_cbranch_execz .LBB193_725
.LBB193_748:
	ds_load_b32 v1, v0 offset:160
	s_wait_dscnt 0x0
	v_add_f32_e32 v5, v5, v1
	s_or_b32 exec_lo, exec_lo, s0
	s_and_saveexec_b32 s0, vcc_lo
	s_cbranch_execz .LBB193_726
.LBB193_749:
	ds_load_b32 v1, v0 offset:192
	s_wait_dscnt 0x0
	v_add_f32_e32 v2, v2, v1
	s_or_b32 exec_lo, exec_lo, s0
	s_and_saveexec_b32 s0, vcc_lo
	s_cbranch_execz .LBB193_727
.LBB193_750:
	ds_load_b32 v1, v0 offset:224
	s_wait_dscnt 0x0
	v_add_f32_e32 v3, v3, v1
	s_or_b32 exec_lo, exec_lo, s0
	s_and_saveexec_b32 s0, vcc_lo
	s_cbranch_execz .LBB193_728
.LBB193_751:
	ds_load_b32 v1, v0 offset:256
	s_wait_dscnt 0x0
	v_add_f32_e32 v10, v10, v1
	s_or_b32 exec_lo, exec_lo, s0
	s_and_saveexec_b32 s0, vcc_lo
	s_cbranch_execnz .LBB193_729
	s_branch .LBB193_730
	.section	.rodata,"a",@progbits
	.p2align	6, 0x0
	.amdhsa_kernel _ZN4vllm25paged_attention_v1_kernelIfhLi80ELi16ELi128ELNS_18Fp8KVCacheDataTypeE1ELb0EEEvPT_PKS2_PKT0_S8_ifPKiSA_iPKfiiiSC_SC_iiiii
		.amdhsa_group_segment_fixed_size 352
		.amdhsa_private_segment_fixed_size 56
		.amdhsa_kernarg_size 384
		.amdhsa_user_sgpr_count 2
		.amdhsa_user_sgpr_dispatch_ptr 0
		.amdhsa_user_sgpr_queue_ptr 0
		.amdhsa_user_sgpr_kernarg_segment_ptr 1
		.amdhsa_user_sgpr_dispatch_id 0
		.amdhsa_user_sgpr_kernarg_preload_length 0
		.amdhsa_user_sgpr_kernarg_preload_offset 0
		.amdhsa_user_sgpr_private_segment_size 0
		.amdhsa_wavefront_size32 1
		.amdhsa_uses_dynamic_stack 0
		.amdhsa_enable_private_segment 1
		.amdhsa_system_sgpr_workgroup_id_x 1
		.amdhsa_system_sgpr_workgroup_id_y 1
		.amdhsa_system_sgpr_workgroup_id_z 1
		.amdhsa_system_sgpr_workgroup_info 0
		.amdhsa_system_vgpr_workitem_id 0
		.amdhsa_next_free_vgpr 128
		.amdhsa_next_free_sgpr 32
		.amdhsa_named_barrier_count 0
		.amdhsa_reserve_vcc 1
		.amdhsa_float_round_mode_32 0
		.amdhsa_float_round_mode_16_64 0
		.amdhsa_float_denorm_mode_32 3
		.amdhsa_float_denorm_mode_16_64 3
		.amdhsa_fp16_overflow 0
		.amdhsa_memory_ordered 1
		.amdhsa_forward_progress 1
		.amdhsa_inst_pref_size 208
		.amdhsa_round_robin_scheduling 0
		.amdhsa_exception_fp_ieee_invalid_op 0
		.amdhsa_exception_fp_denorm_src 0
		.amdhsa_exception_fp_ieee_div_zero 0
		.amdhsa_exception_fp_ieee_overflow 0
		.amdhsa_exception_fp_ieee_underflow 0
		.amdhsa_exception_fp_ieee_inexact 0
		.amdhsa_exception_int_div_zero 0
	.end_amdhsa_kernel
	.section	.text._ZN4vllm25paged_attention_v1_kernelIfhLi80ELi16ELi128ELNS_18Fp8KVCacheDataTypeE1ELb0EEEvPT_PKS2_PKT0_S8_ifPKiSA_iPKfiiiSC_SC_iiiii,"axG",@progbits,_ZN4vllm25paged_attention_v1_kernelIfhLi80ELi16ELi128ELNS_18Fp8KVCacheDataTypeE1ELb0EEEvPT_PKS2_PKT0_S8_ifPKiSA_iPKfiiiSC_SC_iiiii,comdat
.Lfunc_end193:
	.size	_ZN4vllm25paged_attention_v1_kernelIfhLi80ELi16ELi128ELNS_18Fp8KVCacheDataTypeE1ELb0EEEvPT_PKS2_PKT0_S8_ifPKiSA_iPKfiiiSC_SC_iiiii, .Lfunc_end193-_ZN4vllm25paged_attention_v1_kernelIfhLi80ELi16ELi128ELNS_18Fp8KVCacheDataTypeE1ELb0EEEvPT_PKS2_PKT0_S8_ifPKiSA_iPKfiiiSC_SC_iiiii
                                        ; -- End function
	.set _ZN4vllm25paged_attention_v1_kernelIfhLi80ELi16ELi128ELNS_18Fp8KVCacheDataTypeE1ELb0EEEvPT_PKS2_PKT0_S8_ifPKiSA_iPKfiiiSC_SC_iiiii.num_vgpr, 128
	.set _ZN4vllm25paged_attention_v1_kernelIfhLi80ELi16ELi128ELNS_18Fp8KVCacheDataTypeE1ELb0EEEvPT_PKS2_PKT0_S8_ifPKiSA_iPKfiiiSC_SC_iiiii.num_agpr, 0
	.set _ZN4vllm25paged_attention_v1_kernelIfhLi80ELi16ELi128ELNS_18Fp8KVCacheDataTypeE1ELb0EEEvPT_PKS2_PKT0_S8_ifPKiSA_iPKfiiiSC_SC_iiiii.numbered_sgpr, 32
	.set _ZN4vllm25paged_attention_v1_kernelIfhLi80ELi16ELi128ELNS_18Fp8KVCacheDataTypeE1ELb0EEEvPT_PKS2_PKT0_S8_ifPKiSA_iPKfiiiSC_SC_iiiii.num_named_barrier, 0
	.set _ZN4vllm25paged_attention_v1_kernelIfhLi80ELi16ELi128ELNS_18Fp8KVCacheDataTypeE1ELb0EEEvPT_PKS2_PKT0_S8_ifPKiSA_iPKfiiiSC_SC_iiiii.private_seg_size, 56
	.set _ZN4vllm25paged_attention_v1_kernelIfhLi80ELi16ELi128ELNS_18Fp8KVCacheDataTypeE1ELb0EEEvPT_PKS2_PKT0_S8_ifPKiSA_iPKfiiiSC_SC_iiiii.uses_vcc, 1
	.set _ZN4vllm25paged_attention_v1_kernelIfhLi80ELi16ELi128ELNS_18Fp8KVCacheDataTypeE1ELb0EEEvPT_PKS2_PKT0_S8_ifPKiSA_iPKfiiiSC_SC_iiiii.uses_flat_scratch, 1
	.set _ZN4vllm25paged_attention_v1_kernelIfhLi80ELi16ELi128ELNS_18Fp8KVCacheDataTypeE1ELb0EEEvPT_PKS2_PKT0_S8_ifPKiSA_iPKfiiiSC_SC_iiiii.has_dyn_sized_stack, 0
	.set _ZN4vllm25paged_attention_v1_kernelIfhLi80ELi16ELi128ELNS_18Fp8KVCacheDataTypeE1ELb0EEEvPT_PKS2_PKT0_S8_ifPKiSA_iPKfiiiSC_SC_iiiii.has_recursion, 0
	.set _ZN4vllm25paged_attention_v1_kernelIfhLi80ELi16ELi128ELNS_18Fp8KVCacheDataTypeE1ELb0EEEvPT_PKS2_PKT0_S8_ifPKiSA_iPKfiiiSC_SC_iiiii.has_indirect_call, 0
	.section	.AMDGPU.csdata,"",@progbits
; Kernel info:
; codeLenInByte = 26568
; TotalNumSgprs: 34
; NumVgprs: 128
; ScratchSize: 56
; MemoryBound: 0
; FloatMode: 240
; IeeeMode: 1
; LDSByteSize: 352 bytes/workgroup (compile time only)
; SGPRBlocks: 0
; VGPRBlocks: 7
; NumSGPRsForWavesPerEU: 34
; NumVGPRsForWavesPerEU: 128
; NamedBarCnt: 0
; Occupancy: 8
; WaveLimiterHint : 1
; COMPUTE_PGM_RSRC2:SCRATCH_EN: 1
; COMPUTE_PGM_RSRC2:USER_SGPR: 2
; COMPUTE_PGM_RSRC2:TRAP_HANDLER: 0
; COMPUTE_PGM_RSRC2:TGID_X_EN: 1
; COMPUTE_PGM_RSRC2:TGID_Y_EN: 1
; COMPUTE_PGM_RSRC2:TGID_Z_EN: 1
; COMPUTE_PGM_RSRC2:TIDIG_COMP_CNT: 0
	.section	.text._ZN4vllm25paged_attention_v1_kernelIfhLi96ELi16ELi128ELNS_18Fp8KVCacheDataTypeE1ELb0EEEvPT_PKS2_PKT0_S8_ifPKiSA_iPKfiiiSC_SC_iiiii,"axG",@progbits,_ZN4vllm25paged_attention_v1_kernelIfhLi96ELi16ELi128ELNS_18Fp8KVCacheDataTypeE1ELb0EEEvPT_PKS2_PKT0_S8_ifPKiSA_iPKfiiiSC_SC_iiiii,comdat
	.protected	_ZN4vllm25paged_attention_v1_kernelIfhLi96ELi16ELi128ELNS_18Fp8KVCacheDataTypeE1ELb0EEEvPT_PKS2_PKT0_S8_ifPKiSA_iPKfiiiSC_SC_iiiii ; -- Begin function _ZN4vllm25paged_attention_v1_kernelIfhLi96ELi16ELi128ELNS_18Fp8KVCacheDataTypeE1ELb0EEEvPT_PKS2_PKT0_S8_ifPKiSA_iPKfiiiSC_SC_iiiii
	.globl	_ZN4vllm25paged_attention_v1_kernelIfhLi96ELi16ELi128ELNS_18Fp8KVCacheDataTypeE1ELb0EEEvPT_PKS2_PKT0_S8_ifPKiSA_iPKfiiiSC_SC_iiiii
	.p2align	8
	.type	_ZN4vllm25paged_attention_v1_kernelIfhLi96ELi16ELi128ELNS_18Fp8KVCacheDataTypeE1ELb0EEEvPT_PKS2_PKT0_S8_ifPKiSA_iPKfiiiSC_SC_iiiii,@function
_ZN4vllm25paged_attention_v1_kernelIfhLi96ELi16ELi128ELNS_18Fp8KVCacheDataTypeE1ELb0EEEvPT_PKS2_PKT0_S8_ifPKiSA_iPKfiiiSC_SC_iiiii: ; @_ZN4vllm25paged_attention_v1_kernelIfhLi96ELi16ELi128ELNS_18Fp8KVCacheDataTypeE1ELb0EEEvPT_PKS2_PKT0_S8_ifPKiSA_iPKfiiiSC_SC_iiiii
; %bb.0:
	s_load_b64 s[18:19], s[0:1], 0x20
	s_bfe_u32 s3, ttmp6, 0x4000c
	s_bfe_u32 s5, ttmp6, 0x40010
	s_and_b32 s4, ttmp7, 0xffff
	s_add_co_i32 s3, s3, 1
	s_add_co_i32 s5, s5, 1
	s_and_b32 s2, ttmp6, 15
	s_bfe_u32 s6, ttmp6, 0x40004
	s_mul_i32 s3, ttmp9, s3
	s_mul_i32 s5, s4, s5
	s_getreg_b32 s22, hwreg(HW_REG_IB_STS2, 6, 4)
	s_add_co_i32 s2, s2, s3
	s_add_co_i32 s3, s6, s5
	s_cmp_eq_u32 s22, 0
	v_mov_b32_e32 v22, v0
	s_cselect_b32 s24, s4, s3
	s_cselect_b32 s4, ttmp9, s2
	s_clause 0x1
	s_load_b32 s23, s[0:1], 0x80
	s_load_b64 s[6:7], s[0:1], 0x30
	s_wait_kmcnt 0x0
	s_abs_i32 s2, s18
	s_delay_alu instid0(SALU_CYCLE_1) | instskip(SKIP_1) | instid1(SALU_CYCLE_2)
	s_cvt_f32_u32 s3, s2
	s_sub_co_i32 s5, 0, s2
	v_rcp_iflag_f32_e32 v0, s3
	v_nop
	s_delay_alu instid0(TRANS32_DEP_1) | instskip(SKIP_2) | instid1(SALU_CYCLE_3)
	v_readfirstlane_b32 s3, v0
	s_abs_i32 s8, s23
	s_mul_f32 s3, s3, 0x4f7ffffe
	s_cvt_u32_f32 s3, s3
	s_delay_alu instid0(SALU_CYCLE_3) | instskip(NEXT) | instid1(SALU_CYCLE_1)
	s_mul_i32 s5, s5, s3
	s_mul_hi_u32 s5, s3, s5
	s_delay_alu instid0(SALU_CYCLE_1) | instskip(SKIP_4) | instid1(SALU_CYCLE_1)
	s_add_co_i32 s3, s3, s5
	s_xor_b32 s5, s23, s18
	s_mul_hi_u32 s3, s8, s3
	s_ashr_i32 s5, s5, 31
	s_mul_i32 s9, s3, s2
	s_sub_co_i32 s8, s8, s9
	s_add_co_i32 s9, s3, 1
	s_sub_co_i32 s10, s8, s2
	s_cmp_ge_u32 s8, s2
	s_cselect_b32 s3, s9, s3
	s_cselect_b32 s8, s10, s8
	s_add_co_i32 s9, s3, 1
	s_cmp_ge_u32 s8, s2
	s_cselect_b32 s2, s9, s3
	s_load_b64 s[8:9], s[0:1], 0x40
	s_xor_b32 s2, s2, s5
	s_mov_b32 s3, 0
	s_sub_co_i32 s14, s2, s5
	s_mov_b32 s13, s3
	s_abs_i32 s11, s14
	s_mov_b32 s18, s3
	s_cvt_f32_u32 s2, s11
	s_delay_alu instid0(SALU_CYCLE_3) | instskip(SKIP_1) | instid1(TRANS32_DEP_1)
	v_rcp_iflag_f32_e32 v0, s2
	v_nop
	v_readfirstlane_b32 s2, v0
	s_mul_f32 s2, s2, 0x4f7ffffe
	s_delay_alu instid0(SALU_CYCLE_3) | instskip(SKIP_1) | instid1(SALU_CYCLE_2)
	s_cvt_u32_f32 s5, s2
	s_sub_co_i32 s2, 0, s11
	s_mul_i32 s2, s2, s5
	s_delay_alu instid0(SALU_CYCLE_1)
	s_mul_hi_u32 s10, s5, s2
	s_abs_i32 s2, s4
	s_add_co_i32 s12, s5, s10
	s_wait_kmcnt 0x0
	s_cmp_eq_u64 s[8:9], 0
	s_cbranch_scc1 .LBB194_2
; %bb.1:
	s_ashr_i32 s5, s4, 31
	s_delay_alu instid0(SALU_CYCLE_1) | instskip(NEXT) | instid1(SALU_CYCLE_1)
	s_lshl_b64 s[16:17], s[4:5], 2
	s_add_nc_u64 s[8:9], s[8:9], s[16:17]
	s_load_b32 s18, s[8:9], 0x0
.LBB194_2:
	s_load_b32 s25, s[6:7], s24 offset:0x0 scale_offset
	s_wait_xcnt 0x0
	s_load_b96 s[8:10], s[0:1], 0x48
	v_dual_lshlrev_b32 v23, 2, v22 :: v_dual_bitop2_b32 v0, 1, v22 bitop3:0x40
	s_ashr_i32 s5, s4, 31
	s_ashr_i32 s14, s14, 31
	s_mul_u64 s[6:7], s[2:3], s[12:13]
	s_mul_i32 s12, s4, 0x60
	s_mov_b32 s3, exec_lo
	v_cmpx_gt_u32_e32 48, v22
	s_cbranch_execz .LBB194_4
; %bb.3:
	s_load_b64 s[16:17], s[0:1], 0x8
	s_wait_kmcnt 0x0
	s_mul_i32 s20, s8, s24
	s_ashr_i32 s13, s12, 31
	s_ashr_i32 s21, s20, 31
	v_and_b32_e32 v1, 0xff8, v23
	s_lshl_b64 s[20:21], s[20:21], 2
	s_delay_alu instid0(VALU_DEP_1) | instskip(SKIP_2) | instid1(SALU_CYCLE_1)
	v_mad_u32_u24 v1, 0xc0, v0, v1
	s_add_nc_u64 s[16:17], s[16:17], s[20:21]
	s_lshl_b64 s[20:21], s[12:13], 2
	s_add_nc_u64 s[16:17], s[16:17], s[20:21]
	global_load_b64 v[2:3], v22, s[16:17] scale_offset
	s_wait_loadcnt 0x0
	ds_store_b64 v1, v[2:3]
.LBB194_4:
	s_or_b32 exec_lo, exec_lo, s3
	s_wait_kmcnt 0x0
	s_add_co_i32 s3, s25, 15
	s_load_b32 s4, s[0:1], 0x38
	s_ashr_i32 s6, s3, 31
	s_mul_i32 s8, s7, s11
	s_lshr_b32 s6, s6, 28
	s_sub_co_i32 s2, s2, s8
	s_add_co_i32 s3, s3, s6
	s_xor_b32 s5, s5, s14
	s_ashr_i32 s13, s3, 4
	s_add_co_i32 s3, s7, 1
	s_sub_co_i32 s6, s2, s11
	s_cmp_ge_u32 s2, s11
	v_lshrrev_b32_e32 v1, 5, v22
	s_cselect_b32 s3, s3, s7
	s_cselect_b32 s2, s6, s2
	s_add_co_i32 s6, s3, 1
	s_cmp_ge_u32 s2, s11
	v_mbcnt_lo_u32_b32 v10, -1, 0
	s_cselect_b32 s2, s6, s3
	s_wait_dscnt 0x0
	s_xor_b32 s2, s2, s5
	s_wait_kmcnt 0x0
	s_mul_i32 s14, s4, s24
	s_sub_co_i32 s3, s2, s5
	v_cmp_gt_i32_e64 s2, s13, v1
	s_ashr_i32 s15, s14, 31
	s_mov_b32 s4, exec_lo
	s_barrier_signal -1
	scratch_store_b32 off, v1, off offset:128 ; 4-byte Folded Spill
	s_barrier_wait -1
	s_wait_storecnt 0x0
                                        ; implicit-def: $vgpr51
                                        ; implicit-def: $vgpr8
	s_wait_xcnt 0x0
	v_cmpx_le_i32_e64 s13, v1
	s_xor_b32 s4, exec_lo, s4
; %bb.5:
	v_dual_mov_b32 v51, 0 :: v_dual_mov_b32 v8, 32
	v_mbcnt_lo_u32_b32 v10, -1, 0
                                        ; implicit-def: $vgpr0
; %bb.6:
	s_or_saveexec_b32 s26, s4
	s_clause 0x2
	s_load_b32 s8, s[0:1], 0x88
	s_load_b64 s[16:17], s[0:1], 0x28
	s_load_b128 s[4:7], s[0:1], 0x58
	v_mov_b32_e32 v3, 0xff7fffff
	v_lshrrev_b32_e32 v25, 3, v22
	s_mul_i32 s10, s3, s10
	scratch_store_b32 off, v22, off offset:132 ; 4-byte Folded Spill
	s_wait_xcnt 0x0
	s_xor_b32 exec_lo, exec_lo, s26
	s_cbranch_execz .LBB194_396
; %bb.7:
	v_mul_u32_u24_e32 v4, 0xc0, v0
	s_wait_kmcnt 0x0
	s_load_b32 s20, s[4:5], 0x0
	s_load_b64 s[28:29], s[0:1], 0x10
	v_bfe_u32 v1, v22, 1, 4
	v_dual_mov_b32 v51, 0 :: v_dual_bitop2_b32 v2, 1, v10 bitop3:0x14
	ds_load_b128 v[6:9], v4
	ds_load_b128 v[30:33], v4 offset:112
	scratch_store_b32 off, v23, off offset:136 ; 4-byte Folded Spill
	s_ashr_i32 s11, s10, 31
	v_cmp_gt_i32_e32 vcc_lo, 32, v2
	v_lshlrev_b32_e32 v50, 4, v1
	s_cmp_neq_f32 s18, 0
	s_mov_b32 s27, s9
	scratch_store_b32 off, v10, off offset:144 ; 4-byte Folded Spill
	v_cndmask_b32_e32 v5, v10, v2, vcc_lo
	s_cselect_b32 s3, -1, 0
	v_cmp_eq_u32_e32 vcc_lo, 0, v0
	s_delay_alu instid0(VALU_DEP_2)
	v_lshlrev_b32_e32 v5, 2, v5
	s_wait_kmcnt 0x0
	s_mov_b32 s21, s20
	s_add_nc_u64 s[4:5], s[28:29], s[10:11]
	s_sub_co_i32 s11, 1, s25
	v_add_nc_u64_e32 v[2:3], s[4:5], v[50:51]
	v_lshlrev_b32_e32 v50, 1, v0
	s_wait_dscnt 0x1
	scratch_store_b128 off, v[6:9], off offset:4 ; 16-byte Folded Spill
	s_wait_xcnt 0x0
	ds_load_b128 v[6:9], v4 offset:16
	s_lshl_b64 s[4:5], s[14:15], 2
	s_delay_alu instid0(SALU_CYCLE_1)
	s_add_nc_u64 s[4:5], s[16:17], s[4:5]
	s_wait_dscnt 0x0
	scratch_store_b128 off, v[6:9], off offset:20 ; 16-byte Folded Spill
	s_wait_xcnt 0x0
	ds_load_b128 v[6:9], v4 offset:32
	s_wait_dscnt 0x0
	scratch_store_b128 off, v[6:9], off offset:36 ; 16-byte Folded Spill
	s_wait_xcnt 0x0
	ds_load_b128 v[6:9], v4 offset:48
	;; [unrolled: 4-line block ×5, first 2 shown]
	s_wait_dscnt 0x0
	scratch_store_b128 off, v[6:9], off offset:100 ; 16-byte Folded Spill
	ds_load_b128 v[34:37], v4 offset:128
	ds_load_b128 v[38:41], v4 offset:144
	;; [unrolled: 1-line block ×4, first 2 shown]
	scratch_load_b32 v24, off, off offset:128 ; 4-byte Folded Reload
	v_lshlrev_b32_e32 v4, 2, v1
	v_add_nc_u64_e32 v[2:3], v[2:3], v[50:51]
	v_and_b32_e32 v50, 0x7c, v25
	scratch_store_b32 off, v25, off offset:140 ; 4-byte Folded Spill
	v_add_nc_u64_e32 v[54:55], s[4:5], v[50:51]
	s_mov_b32 s5, 0
	scratch_store_b64 off, v[2:3], off offset:120 ; 8-byte Folded Spill
	s_wait_loadcnt 0x0
	v_lshl_or_b32 v0, v24, 6, v4
	v_lshl_or_b32 v22, v24, 4, v1
	s_delay_alu instid0(VALU_DEP_2)
	v_add_nc_u32_e32 v23, 0x1a0, v0
	v_mov_b32_e32 v0, 0xff7fffff
	s_clause 0x1
	scratch_store_b32 off, v5, off offset:116
	scratch_store_b32 off, v0, off
	s_branch .LBB194_9
.LBB194_8:                              ;   in Loop: Header=BB194_9 Depth=1
	s_wait_xcnt 0x0
	s_or_b32 exec_lo, exec_lo, s28
	v_dual_add_nc_u32 v24, 4, v24 :: v_dual_add_nc_u32 v22, 64, v22
	v_add_nc_u64_e32 v[54:55], 16, v[54:55]
	v_add_nc_u32_e32 v23, 0x100, v23
	s_delay_alu instid0(VALU_DEP_3) | instskip(SKIP_1) | instid1(SALU_CYCLE_1)
	v_cmp_le_i32_e64 s4, s13, v24
	s_or_b32 s5, s4, s5
	s_and_not1_b32 exec_lo, exec_lo, s5
	s_cbranch_execz .LBB194_395
.LBB194_9:                              ; =>This Inner Loop Header: Depth=1
	global_load_b32 v0, v[54:55], off
	scratch_load_b64 v[2:3], off, off offset:120 ; 8-byte Folded Reload
	v_mov_b64_e32 v[56:57], 0
	v_mov_b64_e32 v[58:59], 0
	s_mov_b32 s28, exec_lo
	s_wait_loadcnt 0x0
	v_mad_nc_i64_i32 v[64:65], v0, s27, v[2:3]
	global_load_u16 v0, v[64:65], off
	s_wait_loadcnt_dscnt 0x0
	v_and_b32_e32 v1, 0xff, v0
	v_and_b32_e32 v0, 0xffff, v0
	s_wait_xcnt 0x0
	s_delay_alu instid0(VALU_DEP_2)
	v_cmpx_ne_u16_e32 0, v1
	s_cbranch_execz .LBB194_17
; %bb.10:                               ;   in Loop: Header=BB194_9 Depth=1
	v_mov_b64_e32 v[58:59], 0x80000000
	v_and_b32_e32 v1, 0xff, v0
	s_mov_b32 s29, exec_lo
	s_delay_alu instid0(VALU_DEP_1)
	v_cmpx_ne_u16_e32 0x80, v1
	s_cbranch_execz .LBB194_16
; %bb.11:                               ;   in Loop: Header=BB194_9 Depth=1
	v_mov_b64_e32 v[58:59], 0x7f800001
	v_and_b32_e32 v2, 0x7f, v0
	s_mov_b32 s30, exec_lo
	s_delay_alu instid0(VALU_DEP_1)
	v_cmpx_ne_u32_e32 0x7f, v2
	s_cbranch_execz .LBB194_15
; %bb.12:                               ;   in Loop: Header=BB194_9 Depth=1
	v_dual_lshrrev_b32 v1, 3, v2 :: v_dual_bitop2_b32 v50, 7, v0 bitop3:0x40
	s_mov_b32 s31, exec_lo
	v_cmpx_gt_u32_e32 8, v2
; %bb.13:                               ;   in Loop: Header=BB194_9 Depth=1
	s_delay_alu instid0(VALU_DEP_2) | instskip(NEXT) | instid1(VALU_DEP_1)
	v_clz_i32_u32_e32 v1, v50
	v_min_u32_e32 v1, 32, v1
	s_delay_alu instid0(VALU_DEP_1) | instskip(NEXT) | instid1(VALU_DEP_1)
	v_subrev_nc_u32_e32 v2, 28, v1
	v_lshlrev_b64_e32 v[2:3], v2, v[50:51]
	s_delay_alu instid0(VALU_DEP_1)
	v_dual_sub_nc_u32 v1, 29, v1 :: v_dual_bitop2_b32 v50, 7, v2 bitop3:0x40
; %bb.14:                               ;   in Loop: Header=BB194_9 Depth=1
	s_or_b32 exec_lo, exec_lo, s31
	s_delay_alu instid0(VALU_DEP_1) | instskip(NEXT) | instid1(VALU_DEP_2)
	v_dual_lshlrev_b32 v2, 24, v0 :: v_dual_lshlrev_b32 v3, 20, v50
	v_lshl_add_u32 v1, v1, 23, 0x3c000000
	s_delay_alu instid0(VALU_DEP_2) | instskip(NEXT) | instid1(VALU_DEP_1)
	v_and_b32_e32 v2, 0x80000000, v2
	v_or3_b32 v50, v3, v2, v1
	s_delay_alu instid0(VALU_DEP_1)
	v_mov_b64_e32 v[58:59], v[50:51]
.LBB194_15:                             ;   in Loop: Header=BB194_9 Depth=1
	s_or_b32 exec_lo, exec_lo, s30
.LBB194_16:                             ;   in Loop: Header=BB194_9 Depth=1
	s_delay_alu instid0(SALU_CYCLE_1)
	s_or_b32 exec_lo, exec_lo, s29
.LBB194_17:                             ;   in Loop: Header=BB194_9 Depth=1
	s_delay_alu instid0(SALU_CYCLE_1) | instskip(SKIP_2) | instid1(VALU_DEP_1)
	s_or_b32 exec_lo, exec_lo, s28
	v_lshrrev_b16 v1, 8, v0
	s_mov_b32 s28, exec_lo
	v_cmpx_ne_u16_e32 0, v1
	s_cbranch_execz .LBB194_25
; %bb.18:                               ;   in Loop: Header=BB194_9 Depth=1
	v_mov_b64_e32 v[56:57], 0x8000000000000000
	s_mov_b32 s29, exec_lo
	v_cmpx_ne_u16_e32 0x80, v1
	s_cbranch_execz .LBB194_24
; %bb.19:                               ;   in Loop: Header=BB194_9 Depth=1
	v_and_b32_e32 v1, 0xffff, v1
	v_mov_b64_e32 v[56:57], 0x7f80000100000000
	s_mov_b32 s30, exec_lo
	s_delay_alu instid0(VALU_DEP_2) | instskip(NEXT) | instid1(VALU_DEP_1)
	v_and_b32_e32 v2, 0x7f, v1
	v_cmpx_ne_u32_e32 0x7f, v2
	s_cbranch_execz .LBB194_23
; %bb.20:                               ;   in Loop: Header=BB194_9 Depth=1
	v_dual_lshrrev_b32 v1, 3, v2 :: v_dual_bitop2_b32 v50, 7, v1 bitop3:0x40
	s_mov_b32 s31, exec_lo
	v_cmpx_gt_u32_e32 8, v2
; %bb.21:                               ;   in Loop: Header=BB194_9 Depth=1
	s_delay_alu instid0(VALU_DEP_2) | instskip(NEXT) | instid1(VALU_DEP_1)
	v_clz_i32_u32_e32 v1, v50
	v_min_u32_e32 v1, 32, v1
	s_delay_alu instid0(VALU_DEP_1) | instskip(NEXT) | instid1(VALU_DEP_1)
	v_subrev_nc_u32_e32 v2, 28, v1
	v_lshlrev_b64_e32 v[2:3], v2, v[50:51]
	s_delay_alu instid0(VALU_DEP_1)
	v_dual_sub_nc_u32 v1, 29, v1 :: v_dual_bitop2_b32 v50, 7, v2 bitop3:0x40
; %bb.22:                               ;   in Loop: Header=BB194_9 Depth=1
	s_or_b32 exec_lo, exec_lo, s31
	s_delay_alu instid0(VALU_DEP_1) | instskip(NEXT) | instid1(VALU_DEP_2)
	v_dual_lshlrev_b32 v0, 16, v0 :: v_dual_lshlrev_b32 v2, 20, v50
	v_lshl_add_u32 v1, v1, 23, 0x3c000000
	v_mov_b32_e32 v56, v51
	s_delay_alu instid0(VALU_DEP_3) | instskip(NEXT) | instid1(VALU_DEP_1)
	v_and_b32_e32 v0, 0x80000000, v0
	v_or3_b32 v57, v2, v0, v1
.LBB194_23:                             ;   in Loop: Header=BB194_9 Depth=1
	s_or_b32 exec_lo, exec_lo, s30
.LBB194_24:                             ;   in Loop: Header=BB194_9 Depth=1
	s_delay_alu instid0(SALU_CYCLE_1)
	s_or_b32 exec_lo, exec_lo, s29
.LBB194_25:                             ;   in Loop: Header=BB194_9 Depth=1
	s_delay_alu instid0(SALU_CYCLE_1)
	s_or_b32 exec_lo, exec_lo, s28
	global_load_u16 v0, v[64:65], off offset:4
	v_mov_b64_e32 v[60:61], 0
	v_mov_b64_e32 v[62:63], 0
	s_mov_b32 s28, exec_lo
	s_wait_loadcnt 0x0
	v_and_b32_e32 v1, 0xff, v0
	v_and_b32_e32 v0, 0xffff, v0
	s_wait_xcnt 0x0
	s_delay_alu instid0(VALU_DEP_2)
	v_cmpx_ne_u16_e32 0, v1
	s_cbranch_execz .LBB194_33
; %bb.26:                               ;   in Loop: Header=BB194_9 Depth=1
	v_mov_b64_e32 v[62:63], 0x80000000
	v_and_b32_e32 v1, 0xff, v0
	s_mov_b32 s29, exec_lo
	s_delay_alu instid0(VALU_DEP_1)
	v_cmpx_ne_u16_e32 0x80, v1
	s_cbranch_execz .LBB194_32
; %bb.27:                               ;   in Loop: Header=BB194_9 Depth=1
	v_mov_b64_e32 v[62:63], 0x7f800001
	v_and_b32_e32 v2, 0x7f, v0
	s_mov_b32 s30, exec_lo
	s_delay_alu instid0(VALU_DEP_1)
	v_cmpx_ne_u32_e32 0x7f, v2
	s_cbranch_execz .LBB194_31
; %bb.28:                               ;   in Loop: Header=BB194_9 Depth=1
	v_dual_lshrrev_b32 v1, 3, v2 :: v_dual_bitop2_b32 v50, 7, v0 bitop3:0x40
	s_mov_b32 s31, exec_lo
	v_cmpx_gt_u32_e32 8, v2
; %bb.29:                               ;   in Loop: Header=BB194_9 Depth=1
	s_delay_alu instid0(VALU_DEP_2) | instskip(NEXT) | instid1(VALU_DEP_1)
	v_clz_i32_u32_e32 v1, v50
	v_min_u32_e32 v1, 32, v1
	s_delay_alu instid0(VALU_DEP_1) | instskip(NEXT) | instid1(VALU_DEP_1)
	v_subrev_nc_u32_e32 v2, 28, v1
	v_lshlrev_b64_e32 v[2:3], v2, v[50:51]
	s_delay_alu instid0(VALU_DEP_1)
	v_dual_sub_nc_u32 v1, 29, v1 :: v_dual_bitop2_b32 v50, 7, v2 bitop3:0x40
; %bb.30:                               ;   in Loop: Header=BB194_9 Depth=1
	s_or_b32 exec_lo, exec_lo, s31
	s_delay_alu instid0(VALU_DEP_1) | instskip(NEXT) | instid1(VALU_DEP_2)
	v_dual_lshlrev_b32 v2, 24, v0 :: v_dual_lshlrev_b32 v3, 20, v50
	v_lshl_add_u32 v1, v1, 23, 0x3c000000
	s_delay_alu instid0(VALU_DEP_2) | instskip(NEXT) | instid1(VALU_DEP_1)
	v_and_b32_e32 v2, 0x80000000, v2
	v_or3_b32 v50, v3, v2, v1
	s_delay_alu instid0(VALU_DEP_1)
	v_mov_b64_e32 v[62:63], v[50:51]
.LBB194_31:                             ;   in Loop: Header=BB194_9 Depth=1
	s_or_b32 exec_lo, exec_lo, s30
.LBB194_32:                             ;   in Loop: Header=BB194_9 Depth=1
	s_delay_alu instid0(SALU_CYCLE_1)
	s_or_b32 exec_lo, exec_lo, s29
.LBB194_33:                             ;   in Loop: Header=BB194_9 Depth=1
	s_delay_alu instid0(SALU_CYCLE_1) | instskip(SKIP_2) | instid1(VALU_DEP_1)
	s_or_b32 exec_lo, exec_lo, s28
	v_lshrrev_b16 v1, 8, v0
	s_mov_b32 s28, exec_lo
	v_cmpx_ne_u16_e32 0, v1
	s_cbranch_execz .LBB194_41
; %bb.34:                               ;   in Loop: Header=BB194_9 Depth=1
	v_mov_b64_e32 v[60:61], 0x8000000000000000
	s_mov_b32 s29, exec_lo
	v_cmpx_ne_u16_e32 0x80, v1
	s_cbranch_execz .LBB194_40
; %bb.35:                               ;   in Loop: Header=BB194_9 Depth=1
	v_and_b32_e32 v1, 0xffff, v1
	v_mov_b64_e32 v[60:61], 0x7f80000100000000
	s_mov_b32 s30, exec_lo
	s_delay_alu instid0(VALU_DEP_2) | instskip(NEXT) | instid1(VALU_DEP_1)
	v_and_b32_e32 v2, 0x7f, v1
	v_cmpx_ne_u32_e32 0x7f, v2
	s_cbranch_execz .LBB194_39
; %bb.36:                               ;   in Loop: Header=BB194_9 Depth=1
	v_dual_lshrrev_b32 v1, 3, v2 :: v_dual_bitop2_b32 v50, 7, v1 bitop3:0x40
	s_mov_b32 s31, exec_lo
	v_cmpx_gt_u32_e32 8, v2
; %bb.37:                               ;   in Loop: Header=BB194_9 Depth=1
	s_delay_alu instid0(VALU_DEP_2) | instskip(NEXT) | instid1(VALU_DEP_1)
	v_clz_i32_u32_e32 v1, v50
	v_min_u32_e32 v1, 32, v1
	s_delay_alu instid0(VALU_DEP_1) | instskip(NEXT) | instid1(VALU_DEP_1)
	v_subrev_nc_u32_e32 v2, 28, v1
	v_lshlrev_b64_e32 v[2:3], v2, v[50:51]
	s_delay_alu instid0(VALU_DEP_1)
	v_dual_sub_nc_u32 v1, 29, v1 :: v_dual_bitop2_b32 v50, 7, v2 bitop3:0x40
; %bb.38:                               ;   in Loop: Header=BB194_9 Depth=1
	s_or_b32 exec_lo, exec_lo, s31
	s_delay_alu instid0(VALU_DEP_1) | instskip(NEXT) | instid1(VALU_DEP_2)
	v_dual_lshlrev_b32 v0, 16, v0 :: v_dual_lshlrev_b32 v2, 20, v50
	v_lshl_add_u32 v1, v1, 23, 0x3c000000
	v_mov_b32_e32 v60, v51
	s_delay_alu instid0(VALU_DEP_3) | instskip(NEXT) | instid1(VALU_DEP_1)
	v_and_b32_e32 v0, 0x80000000, v0
	v_or3_b32 v61, v2, v0, v1
.LBB194_39:                             ;   in Loop: Header=BB194_9 Depth=1
	s_or_b32 exec_lo, exec_lo, s30
.LBB194_40:                             ;   in Loop: Header=BB194_9 Depth=1
	s_delay_alu instid0(SALU_CYCLE_1)
	s_or_b32 exec_lo, exec_lo, s29
.LBB194_41:                             ;   in Loop: Header=BB194_9 Depth=1
	s_delay_alu instid0(SALU_CYCLE_1)
	s_or_b32 exec_lo, exec_lo, s28
	global_load_u16 v0, v[64:65], off offset:8
	v_mov_b64_e32 v[66:67], 0
	v_mov_b64_e32 v[68:69], 0
	s_mov_b32 s28, exec_lo
	s_wait_loadcnt 0x0
	v_and_b32_e32 v1, 0xff, v0
	v_and_b32_e32 v0, 0xffff, v0
	s_wait_xcnt 0x0
	s_delay_alu instid0(VALU_DEP_2)
	v_cmpx_ne_u16_e32 0, v1
	s_cbranch_execz .LBB194_49
; %bb.42:                               ;   in Loop: Header=BB194_9 Depth=1
	v_mov_b64_e32 v[68:69], 0x80000000
	v_and_b32_e32 v1, 0xff, v0
	s_mov_b32 s29, exec_lo
	s_delay_alu instid0(VALU_DEP_1)
	v_cmpx_ne_u16_e32 0x80, v1
	s_cbranch_execz .LBB194_48
; %bb.43:                               ;   in Loop: Header=BB194_9 Depth=1
	v_mov_b64_e32 v[68:69], 0x7f800001
	v_and_b32_e32 v2, 0x7f, v0
	s_mov_b32 s30, exec_lo
	s_delay_alu instid0(VALU_DEP_1)
	v_cmpx_ne_u32_e32 0x7f, v2
	s_cbranch_execz .LBB194_47
; %bb.44:                               ;   in Loop: Header=BB194_9 Depth=1
	v_dual_lshrrev_b32 v1, 3, v2 :: v_dual_bitop2_b32 v50, 7, v0 bitop3:0x40
	s_mov_b32 s31, exec_lo
	v_cmpx_gt_u32_e32 8, v2
; %bb.45:                               ;   in Loop: Header=BB194_9 Depth=1
	s_delay_alu instid0(VALU_DEP_2) | instskip(NEXT) | instid1(VALU_DEP_1)
	v_clz_i32_u32_e32 v1, v50
	v_min_u32_e32 v1, 32, v1
	s_delay_alu instid0(VALU_DEP_1) | instskip(NEXT) | instid1(VALU_DEP_1)
	v_subrev_nc_u32_e32 v2, 28, v1
	v_lshlrev_b64_e32 v[2:3], v2, v[50:51]
	s_delay_alu instid0(VALU_DEP_1)
	v_dual_sub_nc_u32 v1, 29, v1 :: v_dual_bitop2_b32 v50, 7, v2 bitop3:0x40
; %bb.46:                               ;   in Loop: Header=BB194_9 Depth=1
	s_or_b32 exec_lo, exec_lo, s31
	s_delay_alu instid0(VALU_DEP_1) | instskip(NEXT) | instid1(VALU_DEP_2)
	v_dual_lshlrev_b32 v2, 24, v0 :: v_dual_lshlrev_b32 v3, 20, v50
	v_lshl_add_u32 v1, v1, 23, 0x3c000000
	s_delay_alu instid0(VALU_DEP_2) | instskip(NEXT) | instid1(VALU_DEP_1)
	v_and_b32_e32 v2, 0x80000000, v2
	v_or3_b32 v50, v3, v2, v1
	s_delay_alu instid0(VALU_DEP_1)
	v_mov_b64_e32 v[68:69], v[50:51]
.LBB194_47:                             ;   in Loop: Header=BB194_9 Depth=1
	s_or_b32 exec_lo, exec_lo, s30
.LBB194_48:                             ;   in Loop: Header=BB194_9 Depth=1
	s_delay_alu instid0(SALU_CYCLE_1)
	s_or_b32 exec_lo, exec_lo, s29
.LBB194_49:                             ;   in Loop: Header=BB194_9 Depth=1
	s_delay_alu instid0(SALU_CYCLE_1) | instskip(SKIP_2) | instid1(VALU_DEP_1)
	s_or_b32 exec_lo, exec_lo, s28
	v_lshrrev_b16 v1, 8, v0
	s_mov_b32 s28, exec_lo
	v_cmpx_ne_u16_e32 0, v1
	s_cbranch_execz .LBB194_57
; %bb.50:                               ;   in Loop: Header=BB194_9 Depth=1
	v_mov_b64_e32 v[66:67], 0x8000000000000000
	s_mov_b32 s29, exec_lo
	v_cmpx_ne_u16_e32 0x80, v1
	s_cbranch_execz .LBB194_56
; %bb.51:                               ;   in Loop: Header=BB194_9 Depth=1
	v_and_b32_e32 v1, 0xffff, v1
	v_mov_b64_e32 v[66:67], 0x7f80000100000000
	s_mov_b32 s30, exec_lo
	s_delay_alu instid0(VALU_DEP_2) | instskip(NEXT) | instid1(VALU_DEP_1)
	v_and_b32_e32 v2, 0x7f, v1
	v_cmpx_ne_u32_e32 0x7f, v2
	s_cbranch_execz .LBB194_55
; %bb.52:                               ;   in Loop: Header=BB194_9 Depth=1
	v_dual_lshrrev_b32 v1, 3, v2 :: v_dual_bitop2_b32 v50, 7, v1 bitop3:0x40
	s_mov_b32 s31, exec_lo
	v_cmpx_gt_u32_e32 8, v2
; %bb.53:                               ;   in Loop: Header=BB194_9 Depth=1
	s_delay_alu instid0(VALU_DEP_2) | instskip(NEXT) | instid1(VALU_DEP_1)
	v_clz_i32_u32_e32 v1, v50
	v_min_u32_e32 v1, 32, v1
	s_delay_alu instid0(VALU_DEP_1) | instskip(NEXT) | instid1(VALU_DEP_1)
	v_subrev_nc_u32_e32 v2, 28, v1
	v_lshlrev_b64_e32 v[2:3], v2, v[50:51]
	s_delay_alu instid0(VALU_DEP_1)
	v_dual_sub_nc_u32 v1, 29, v1 :: v_dual_bitop2_b32 v50, 7, v2 bitop3:0x40
; %bb.54:                               ;   in Loop: Header=BB194_9 Depth=1
	s_or_b32 exec_lo, exec_lo, s31
	s_delay_alu instid0(VALU_DEP_1) | instskip(NEXT) | instid1(VALU_DEP_2)
	v_dual_lshlrev_b32 v0, 16, v0 :: v_dual_lshlrev_b32 v2, 20, v50
	v_lshl_add_u32 v1, v1, 23, 0x3c000000
	v_mov_b32_e32 v66, v51
	s_delay_alu instid0(VALU_DEP_3) | instskip(NEXT) | instid1(VALU_DEP_1)
	v_and_b32_e32 v0, 0x80000000, v0
	v_or3_b32 v67, v2, v0, v1
.LBB194_55:                             ;   in Loop: Header=BB194_9 Depth=1
	s_or_b32 exec_lo, exec_lo, s30
.LBB194_56:                             ;   in Loop: Header=BB194_9 Depth=1
	s_delay_alu instid0(SALU_CYCLE_1)
	s_or_b32 exec_lo, exec_lo, s29
.LBB194_57:                             ;   in Loop: Header=BB194_9 Depth=1
	s_delay_alu instid0(SALU_CYCLE_1)
	s_or_b32 exec_lo, exec_lo, s28
	global_load_u16 v0, v[64:65], off offset:12
	v_mov_b64_e32 v[70:71], 0
	v_mov_b64_e32 v[72:73], 0
	s_mov_b32 s28, exec_lo
	s_wait_loadcnt 0x0
	v_and_b32_e32 v1, 0xff, v0
	v_and_b32_e32 v0, 0xffff, v0
	s_wait_xcnt 0x0
	s_delay_alu instid0(VALU_DEP_2)
	v_cmpx_ne_u16_e32 0, v1
	s_cbranch_execz .LBB194_65
; %bb.58:                               ;   in Loop: Header=BB194_9 Depth=1
	v_mov_b64_e32 v[72:73], 0x80000000
	v_and_b32_e32 v1, 0xff, v0
	s_mov_b32 s29, exec_lo
	s_delay_alu instid0(VALU_DEP_1)
	v_cmpx_ne_u16_e32 0x80, v1
	s_cbranch_execz .LBB194_64
; %bb.59:                               ;   in Loop: Header=BB194_9 Depth=1
	v_mov_b64_e32 v[72:73], 0x7f800001
	v_and_b32_e32 v2, 0x7f, v0
	s_mov_b32 s30, exec_lo
	s_delay_alu instid0(VALU_DEP_1)
	v_cmpx_ne_u32_e32 0x7f, v2
	s_cbranch_execz .LBB194_63
; %bb.60:                               ;   in Loop: Header=BB194_9 Depth=1
	v_dual_lshrrev_b32 v1, 3, v2 :: v_dual_bitop2_b32 v50, 7, v0 bitop3:0x40
	s_mov_b32 s31, exec_lo
	v_cmpx_gt_u32_e32 8, v2
; %bb.61:                               ;   in Loop: Header=BB194_9 Depth=1
	s_delay_alu instid0(VALU_DEP_2) | instskip(NEXT) | instid1(VALU_DEP_1)
	v_clz_i32_u32_e32 v1, v50
	v_min_u32_e32 v1, 32, v1
	s_delay_alu instid0(VALU_DEP_1) | instskip(NEXT) | instid1(VALU_DEP_1)
	v_subrev_nc_u32_e32 v2, 28, v1
	v_lshlrev_b64_e32 v[2:3], v2, v[50:51]
	s_delay_alu instid0(VALU_DEP_1)
	v_dual_sub_nc_u32 v1, 29, v1 :: v_dual_bitop2_b32 v50, 7, v2 bitop3:0x40
; %bb.62:                               ;   in Loop: Header=BB194_9 Depth=1
	s_or_b32 exec_lo, exec_lo, s31
	s_delay_alu instid0(VALU_DEP_1) | instskip(NEXT) | instid1(VALU_DEP_2)
	v_dual_lshlrev_b32 v2, 24, v0 :: v_dual_lshlrev_b32 v3, 20, v50
	v_lshl_add_u32 v1, v1, 23, 0x3c000000
	s_delay_alu instid0(VALU_DEP_2) | instskip(NEXT) | instid1(VALU_DEP_1)
	v_and_b32_e32 v2, 0x80000000, v2
	v_or3_b32 v50, v3, v2, v1
	s_delay_alu instid0(VALU_DEP_1)
	v_mov_b64_e32 v[72:73], v[50:51]
.LBB194_63:                             ;   in Loop: Header=BB194_9 Depth=1
	s_or_b32 exec_lo, exec_lo, s30
.LBB194_64:                             ;   in Loop: Header=BB194_9 Depth=1
	s_delay_alu instid0(SALU_CYCLE_1)
	s_or_b32 exec_lo, exec_lo, s29
.LBB194_65:                             ;   in Loop: Header=BB194_9 Depth=1
	s_delay_alu instid0(SALU_CYCLE_1) | instskip(SKIP_2) | instid1(VALU_DEP_1)
	s_or_b32 exec_lo, exec_lo, s28
	v_lshrrev_b16 v1, 8, v0
	s_mov_b32 s28, exec_lo
	v_cmpx_ne_u16_e32 0, v1
	s_cbranch_execz .LBB194_73
; %bb.66:                               ;   in Loop: Header=BB194_9 Depth=1
	v_mov_b64_e32 v[70:71], 0x8000000000000000
	s_mov_b32 s29, exec_lo
	v_cmpx_ne_u16_e32 0x80, v1
	s_cbranch_execz .LBB194_72
; %bb.67:                               ;   in Loop: Header=BB194_9 Depth=1
	v_and_b32_e32 v1, 0xffff, v1
	v_mov_b64_e32 v[70:71], 0x7f80000100000000
	s_mov_b32 s30, exec_lo
	s_delay_alu instid0(VALU_DEP_2) | instskip(NEXT) | instid1(VALU_DEP_1)
	v_and_b32_e32 v2, 0x7f, v1
	v_cmpx_ne_u32_e32 0x7f, v2
	s_cbranch_execz .LBB194_71
; %bb.68:                               ;   in Loop: Header=BB194_9 Depth=1
	v_dual_lshrrev_b32 v1, 3, v2 :: v_dual_bitop2_b32 v50, 7, v1 bitop3:0x40
	s_mov_b32 s31, exec_lo
	v_cmpx_gt_u32_e32 8, v2
; %bb.69:                               ;   in Loop: Header=BB194_9 Depth=1
	s_delay_alu instid0(VALU_DEP_2) | instskip(NEXT) | instid1(VALU_DEP_1)
	v_clz_i32_u32_e32 v1, v50
	v_min_u32_e32 v1, 32, v1
	s_delay_alu instid0(VALU_DEP_1) | instskip(NEXT) | instid1(VALU_DEP_1)
	v_subrev_nc_u32_e32 v2, 28, v1
	v_lshlrev_b64_e32 v[2:3], v2, v[50:51]
	s_delay_alu instid0(VALU_DEP_1)
	v_dual_sub_nc_u32 v1, 29, v1 :: v_dual_bitop2_b32 v50, 7, v2 bitop3:0x40
; %bb.70:                               ;   in Loop: Header=BB194_9 Depth=1
	s_or_b32 exec_lo, exec_lo, s31
	s_delay_alu instid0(VALU_DEP_1) | instskip(NEXT) | instid1(VALU_DEP_2)
	v_dual_lshlrev_b32 v0, 16, v0 :: v_dual_lshlrev_b32 v2, 20, v50
	v_lshl_add_u32 v1, v1, 23, 0x3c000000
	v_mov_b32_e32 v70, v51
	s_delay_alu instid0(VALU_DEP_3) | instskip(NEXT) | instid1(VALU_DEP_1)
	v_and_b32_e32 v0, 0x80000000, v0
	v_or3_b32 v71, v2, v0, v1
.LBB194_71:                             ;   in Loop: Header=BB194_9 Depth=1
	s_or_b32 exec_lo, exec_lo, s30
.LBB194_72:                             ;   in Loop: Header=BB194_9 Depth=1
	s_delay_alu instid0(SALU_CYCLE_1)
	s_or_b32 exec_lo, exec_lo, s29
.LBB194_73:                             ;   in Loop: Header=BB194_9 Depth=1
	s_delay_alu instid0(SALU_CYCLE_1)
	s_or_b32 exec_lo, exec_lo, s28
	global_load_u16 v0, v[64:65], off offset:256
	v_mov_b64_e32 v[74:75], 0
	v_mov_b64_e32 v[76:77], 0
	s_mov_b32 s28, exec_lo
	s_wait_loadcnt 0x0
	v_and_b32_e32 v1, 0xff, v0
	v_and_b32_e32 v0, 0xffff, v0
	s_wait_xcnt 0x0
	s_delay_alu instid0(VALU_DEP_2)
	v_cmpx_ne_u16_e32 0, v1
	s_cbranch_execz .LBB194_81
; %bb.74:                               ;   in Loop: Header=BB194_9 Depth=1
	v_mov_b64_e32 v[76:77], 0x80000000
	v_and_b32_e32 v1, 0xff, v0
	s_mov_b32 s29, exec_lo
	s_delay_alu instid0(VALU_DEP_1)
	v_cmpx_ne_u16_e32 0x80, v1
	s_cbranch_execz .LBB194_80
; %bb.75:                               ;   in Loop: Header=BB194_9 Depth=1
	v_mov_b64_e32 v[76:77], 0x7f800001
	v_and_b32_e32 v2, 0x7f, v0
	s_mov_b32 s30, exec_lo
	s_delay_alu instid0(VALU_DEP_1)
	v_cmpx_ne_u32_e32 0x7f, v2
	s_cbranch_execz .LBB194_79
; %bb.76:                               ;   in Loop: Header=BB194_9 Depth=1
	v_dual_lshrrev_b32 v1, 3, v2 :: v_dual_bitop2_b32 v50, 7, v0 bitop3:0x40
	s_mov_b32 s31, exec_lo
	v_cmpx_gt_u32_e32 8, v2
; %bb.77:                               ;   in Loop: Header=BB194_9 Depth=1
	s_delay_alu instid0(VALU_DEP_2) | instskip(NEXT) | instid1(VALU_DEP_1)
	v_clz_i32_u32_e32 v1, v50
	v_min_u32_e32 v1, 32, v1
	s_delay_alu instid0(VALU_DEP_1) | instskip(NEXT) | instid1(VALU_DEP_1)
	v_subrev_nc_u32_e32 v2, 28, v1
	v_lshlrev_b64_e32 v[2:3], v2, v[50:51]
	s_delay_alu instid0(VALU_DEP_1)
	v_dual_sub_nc_u32 v1, 29, v1 :: v_dual_bitop2_b32 v50, 7, v2 bitop3:0x40
; %bb.78:                               ;   in Loop: Header=BB194_9 Depth=1
	s_or_b32 exec_lo, exec_lo, s31
	s_delay_alu instid0(VALU_DEP_1) | instskip(NEXT) | instid1(VALU_DEP_2)
	v_dual_lshlrev_b32 v2, 24, v0 :: v_dual_lshlrev_b32 v3, 20, v50
	v_lshl_add_u32 v1, v1, 23, 0x3c000000
	s_delay_alu instid0(VALU_DEP_2) | instskip(NEXT) | instid1(VALU_DEP_1)
	v_and_b32_e32 v2, 0x80000000, v2
	v_or3_b32 v50, v3, v2, v1
	s_delay_alu instid0(VALU_DEP_1)
	v_mov_b64_e32 v[76:77], v[50:51]
.LBB194_79:                             ;   in Loop: Header=BB194_9 Depth=1
	s_or_b32 exec_lo, exec_lo, s30
.LBB194_80:                             ;   in Loop: Header=BB194_9 Depth=1
	s_delay_alu instid0(SALU_CYCLE_1)
	s_or_b32 exec_lo, exec_lo, s29
.LBB194_81:                             ;   in Loop: Header=BB194_9 Depth=1
	s_delay_alu instid0(SALU_CYCLE_1) | instskip(SKIP_2) | instid1(VALU_DEP_1)
	s_or_b32 exec_lo, exec_lo, s28
	v_lshrrev_b16 v1, 8, v0
	s_mov_b32 s28, exec_lo
	v_cmpx_ne_u16_e32 0, v1
	s_cbranch_execz .LBB194_89
; %bb.82:                               ;   in Loop: Header=BB194_9 Depth=1
	v_mov_b64_e32 v[74:75], 0x8000000000000000
	s_mov_b32 s29, exec_lo
	v_cmpx_ne_u16_e32 0x80, v1
	s_cbranch_execz .LBB194_88
; %bb.83:                               ;   in Loop: Header=BB194_9 Depth=1
	v_and_b32_e32 v1, 0xffff, v1
	v_mov_b64_e32 v[74:75], 0x7f80000100000000
	s_mov_b32 s30, exec_lo
	s_delay_alu instid0(VALU_DEP_2) | instskip(NEXT) | instid1(VALU_DEP_1)
	v_and_b32_e32 v2, 0x7f, v1
	v_cmpx_ne_u32_e32 0x7f, v2
	s_cbranch_execz .LBB194_87
; %bb.84:                               ;   in Loop: Header=BB194_9 Depth=1
	v_dual_lshrrev_b32 v1, 3, v2 :: v_dual_bitop2_b32 v50, 7, v1 bitop3:0x40
	s_mov_b32 s31, exec_lo
	v_cmpx_gt_u32_e32 8, v2
; %bb.85:                               ;   in Loop: Header=BB194_9 Depth=1
	s_delay_alu instid0(VALU_DEP_2) | instskip(NEXT) | instid1(VALU_DEP_1)
	v_clz_i32_u32_e32 v1, v50
	v_min_u32_e32 v1, 32, v1
	s_delay_alu instid0(VALU_DEP_1) | instskip(NEXT) | instid1(VALU_DEP_1)
	v_subrev_nc_u32_e32 v2, 28, v1
	v_lshlrev_b64_e32 v[2:3], v2, v[50:51]
	s_delay_alu instid0(VALU_DEP_1)
	v_dual_sub_nc_u32 v1, 29, v1 :: v_dual_bitop2_b32 v50, 7, v2 bitop3:0x40
; %bb.86:                               ;   in Loop: Header=BB194_9 Depth=1
	s_or_b32 exec_lo, exec_lo, s31
	s_delay_alu instid0(VALU_DEP_1) | instskip(NEXT) | instid1(VALU_DEP_2)
	v_dual_lshlrev_b32 v0, 16, v0 :: v_dual_lshlrev_b32 v2, 20, v50
	v_lshl_add_u32 v1, v1, 23, 0x3c000000
	v_mov_b32_e32 v74, v51
	s_delay_alu instid0(VALU_DEP_3) | instskip(NEXT) | instid1(VALU_DEP_1)
	v_and_b32_e32 v0, 0x80000000, v0
	v_or3_b32 v75, v2, v0, v1
.LBB194_87:                             ;   in Loop: Header=BB194_9 Depth=1
	s_or_b32 exec_lo, exec_lo, s30
.LBB194_88:                             ;   in Loop: Header=BB194_9 Depth=1
	s_delay_alu instid0(SALU_CYCLE_1)
	s_or_b32 exec_lo, exec_lo, s29
.LBB194_89:                             ;   in Loop: Header=BB194_9 Depth=1
	s_delay_alu instid0(SALU_CYCLE_1)
	s_or_b32 exec_lo, exec_lo, s28
	global_load_u16 v0, v[64:65], off offset:260
	v_mov_b64_e32 v[78:79], 0
	v_mov_b64_e32 v[80:81], 0
	s_mov_b32 s28, exec_lo
	s_wait_loadcnt 0x0
	v_and_b32_e32 v1, 0xff, v0
	v_and_b32_e32 v0, 0xffff, v0
	s_wait_xcnt 0x0
	s_delay_alu instid0(VALU_DEP_2)
	v_cmpx_ne_u16_e32 0, v1
	s_cbranch_execz .LBB194_97
; %bb.90:                               ;   in Loop: Header=BB194_9 Depth=1
	v_mov_b64_e32 v[80:81], 0x80000000
	v_and_b32_e32 v1, 0xff, v0
	s_mov_b32 s29, exec_lo
	s_delay_alu instid0(VALU_DEP_1)
	v_cmpx_ne_u16_e32 0x80, v1
	s_cbranch_execz .LBB194_96
; %bb.91:                               ;   in Loop: Header=BB194_9 Depth=1
	v_mov_b64_e32 v[80:81], 0x7f800001
	v_and_b32_e32 v2, 0x7f, v0
	s_mov_b32 s30, exec_lo
	s_delay_alu instid0(VALU_DEP_1)
	v_cmpx_ne_u32_e32 0x7f, v2
	s_cbranch_execz .LBB194_95
; %bb.92:                               ;   in Loop: Header=BB194_9 Depth=1
	v_dual_lshrrev_b32 v1, 3, v2 :: v_dual_bitop2_b32 v50, 7, v0 bitop3:0x40
	s_mov_b32 s31, exec_lo
	v_cmpx_gt_u32_e32 8, v2
; %bb.93:                               ;   in Loop: Header=BB194_9 Depth=1
	s_delay_alu instid0(VALU_DEP_2) | instskip(NEXT) | instid1(VALU_DEP_1)
	v_clz_i32_u32_e32 v1, v50
	v_min_u32_e32 v1, 32, v1
	s_delay_alu instid0(VALU_DEP_1) | instskip(NEXT) | instid1(VALU_DEP_1)
	v_subrev_nc_u32_e32 v2, 28, v1
	v_lshlrev_b64_e32 v[2:3], v2, v[50:51]
	s_delay_alu instid0(VALU_DEP_1)
	v_dual_sub_nc_u32 v1, 29, v1 :: v_dual_bitop2_b32 v50, 7, v2 bitop3:0x40
; %bb.94:                               ;   in Loop: Header=BB194_9 Depth=1
	s_or_b32 exec_lo, exec_lo, s31
	s_delay_alu instid0(VALU_DEP_1) | instskip(NEXT) | instid1(VALU_DEP_2)
	v_dual_lshlrev_b32 v2, 24, v0 :: v_dual_lshlrev_b32 v3, 20, v50
	v_lshl_add_u32 v1, v1, 23, 0x3c000000
	s_delay_alu instid0(VALU_DEP_2) | instskip(NEXT) | instid1(VALU_DEP_1)
	v_and_b32_e32 v2, 0x80000000, v2
	v_or3_b32 v50, v3, v2, v1
	s_delay_alu instid0(VALU_DEP_1)
	v_mov_b64_e32 v[80:81], v[50:51]
.LBB194_95:                             ;   in Loop: Header=BB194_9 Depth=1
	s_or_b32 exec_lo, exec_lo, s30
.LBB194_96:                             ;   in Loop: Header=BB194_9 Depth=1
	s_delay_alu instid0(SALU_CYCLE_1)
	s_or_b32 exec_lo, exec_lo, s29
.LBB194_97:                             ;   in Loop: Header=BB194_9 Depth=1
	s_delay_alu instid0(SALU_CYCLE_1) | instskip(SKIP_2) | instid1(VALU_DEP_1)
	s_or_b32 exec_lo, exec_lo, s28
	v_lshrrev_b16 v1, 8, v0
	s_mov_b32 s28, exec_lo
	v_cmpx_ne_u16_e32 0, v1
	s_cbranch_execz .LBB194_105
; %bb.98:                               ;   in Loop: Header=BB194_9 Depth=1
	v_mov_b64_e32 v[78:79], 0x8000000000000000
	s_mov_b32 s29, exec_lo
	v_cmpx_ne_u16_e32 0x80, v1
	s_cbranch_execz .LBB194_104
; %bb.99:                               ;   in Loop: Header=BB194_9 Depth=1
	v_and_b32_e32 v1, 0xffff, v1
	v_mov_b64_e32 v[78:79], 0x7f80000100000000
	s_mov_b32 s30, exec_lo
	s_delay_alu instid0(VALU_DEP_2) | instskip(NEXT) | instid1(VALU_DEP_1)
	v_and_b32_e32 v2, 0x7f, v1
	v_cmpx_ne_u32_e32 0x7f, v2
	s_cbranch_execz .LBB194_103
; %bb.100:                              ;   in Loop: Header=BB194_9 Depth=1
	v_dual_lshrrev_b32 v1, 3, v2 :: v_dual_bitop2_b32 v50, 7, v1 bitop3:0x40
	s_mov_b32 s31, exec_lo
	v_cmpx_gt_u32_e32 8, v2
; %bb.101:                              ;   in Loop: Header=BB194_9 Depth=1
	s_delay_alu instid0(VALU_DEP_2) | instskip(NEXT) | instid1(VALU_DEP_1)
	v_clz_i32_u32_e32 v1, v50
	v_min_u32_e32 v1, 32, v1
	s_delay_alu instid0(VALU_DEP_1) | instskip(NEXT) | instid1(VALU_DEP_1)
	v_subrev_nc_u32_e32 v2, 28, v1
	v_lshlrev_b64_e32 v[2:3], v2, v[50:51]
	s_delay_alu instid0(VALU_DEP_1)
	v_dual_sub_nc_u32 v1, 29, v1 :: v_dual_bitop2_b32 v50, 7, v2 bitop3:0x40
; %bb.102:                              ;   in Loop: Header=BB194_9 Depth=1
	s_or_b32 exec_lo, exec_lo, s31
	s_delay_alu instid0(VALU_DEP_1) | instskip(NEXT) | instid1(VALU_DEP_2)
	v_dual_lshlrev_b32 v0, 16, v0 :: v_dual_lshlrev_b32 v2, 20, v50
	v_lshl_add_u32 v1, v1, 23, 0x3c000000
	v_mov_b32_e32 v78, v51
	s_delay_alu instid0(VALU_DEP_3) | instskip(NEXT) | instid1(VALU_DEP_1)
	v_and_b32_e32 v0, 0x80000000, v0
	v_or3_b32 v79, v2, v0, v1
.LBB194_103:                            ;   in Loop: Header=BB194_9 Depth=1
	s_or_b32 exec_lo, exec_lo, s30
.LBB194_104:                            ;   in Loop: Header=BB194_9 Depth=1
	s_delay_alu instid0(SALU_CYCLE_1)
	s_or_b32 exec_lo, exec_lo, s29
.LBB194_105:                            ;   in Loop: Header=BB194_9 Depth=1
	s_delay_alu instid0(SALU_CYCLE_1)
	s_or_b32 exec_lo, exec_lo, s28
	global_load_u16 v0, v[64:65], off offset:264
	v_mov_b64_e32 v[82:83], 0
	v_mov_b64_e32 v[84:85], 0
	s_mov_b32 s28, exec_lo
	s_wait_loadcnt 0x0
	v_and_b32_e32 v1, 0xff, v0
	v_and_b32_e32 v0, 0xffff, v0
	s_wait_xcnt 0x0
	s_delay_alu instid0(VALU_DEP_2)
	v_cmpx_ne_u16_e32 0, v1
	s_cbranch_execz .LBB194_113
; %bb.106:                              ;   in Loop: Header=BB194_9 Depth=1
	v_mov_b64_e32 v[84:85], 0x80000000
	v_and_b32_e32 v1, 0xff, v0
	s_mov_b32 s29, exec_lo
	s_delay_alu instid0(VALU_DEP_1)
	v_cmpx_ne_u16_e32 0x80, v1
	s_cbranch_execz .LBB194_112
; %bb.107:                              ;   in Loop: Header=BB194_9 Depth=1
	v_mov_b64_e32 v[84:85], 0x7f800001
	v_and_b32_e32 v2, 0x7f, v0
	s_mov_b32 s30, exec_lo
	s_delay_alu instid0(VALU_DEP_1)
	v_cmpx_ne_u32_e32 0x7f, v2
	s_cbranch_execz .LBB194_111
; %bb.108:                              ;   in Loop: Header=BB194_9 Depth=1
	v_dual_lshrrev_b32 v1, 3, v2 :: v_dual_bitop2_b32 v50, 7, v0 bitop3:0x40
	s_mov_b32 s31, exec_lo
	v_cmpx_gt_u32_e32 8, v2
; %bb.109:                              ;   in Loop: Header=BB194_9 Depth=1
	s_delay_alu instid0(VALU_DEP_2) | instskip(NEXT) | instid1(VALU_DEP_1)
	v_clz_i32_u32_e32 v1, v50
	v_min_u32_e32 v1, 32, v1
	s_delay_alu instid0(VALU_DEP_1) | instskip(NEXT) | instid1(VALU_DEP_1)
	v_subrev_nc_u32_e32 v2, 28, v1
	v_lshlrev_b64_e32 v[2:3], v2, v[50:51]
	s_delay_alu instid0(VALU_DEP_1)
	v_dual_sub_nc_u32 v1, 29, v1 :: v_dual_bitop2_b32 v50, 7, v2 bitop3:0x40
; %bb.110:                              ;   in Loop: Header=BB194_9 Depth=1
	s_or_b32 exec_lo, exec_lo, s31
	s_delay_alu instid0(VALU_DEP_1) | instskip(NEXT) | instid1(VALU_DEP_2)
	v_dual_lshlrev_b32 v2, 24, v0 :: v_dual_lshlrev_b32 v3, 20, v50
	v_lshl_add_u32 v1, v1, 23, 0x3c000000
	s_delay_alu instid0(VALU_DEP_2) | instskip(NEXT) | instid1(VALU_DEP_1)
	v_and_b32_e32 v2, 0x80000000, v2
	v_or3_b32 v50, v3, v2, v1
	s_delay_alu instid0(VALU_DEP_1)
	v_mov_b64_e32 v[84:85], v[50:51]
.LBB194_111:                            ;   in Loop: Header=BB194_9 Depth=1
	s_or_b32 exec_lo, exec_lo, s30
.LBB194_112:                            ;   in Loop: Header=BB194_9 Depth=1
	s_delay_alu instid0(SALU_CYCLE_1)
	s_or_b32 exec_lo, exec_lo, s29
.LBB194_113:                            ;   in Loop: Header=BB194_9 Depth=1
	s_delay_alu instid0(SALU_CYCLE_1) | instskip(SKIP_2) | instid1(VALU_DEP_1)
	s_or_b32 exec_lo, exec_lo, s28
	v_lshrrev_b16 v1, 8, v0
	s_mov_b32 s28, exec_lo
	v_cmpx_ne_u16_e32 0, v1
	s_cbranch_execz .LBB194_121
; %bb.114:                              ;   in Loop: Header=BB194_9 Depth=1
	v_mov_b64_e32 v[82:83], 0x8000000000000000
	s_mov_b32 s29, exec_lo
	v_cmpx_ne_u16_e32 0x80, v1
	s_cbranch_execz .LBB194_120
; %bb.115:                              ;   in Loop: Header=BB194_9 Depth=1
	v_and_b32_e32 v1, 0xffff, v1
	v_mov_b64_e32 v[82:83], 0x7f80000100000000
	s_mov_b32 s30, exec_lo
	s_delay_alu instid0(VALU_DEP_2) | instskip(NEXT) | instid1(VALU_DEP_1)
	v_and_b32_e32 v2, 0x7f, v1
	v_cmpx_ne_u32_e32 0x7f, v2
	s_cbranch_execz .LBB194_119
; %bb.116:                              ;   in Loop: Header=BB194_9 Depth=1
	v_dual_lshrrev_b32 v1, 3, v2 :: v_dual_bitop2_b32 v50, 7, v1 bitop3:0x40
	s_mov_b32 s31, exec_lo
	v_cmpx_gt_u32_e32 8, v2
; %bb.117:                              ;   in Loop: Header=BB194_9 Depth=1
	s_delay_alu instid0(VALU_DEP_2) | instskip(NEXT) | instid1(VALU_DEP_1)
	v_clz_i32_u32_e32 v1, v50
	v_min_u32_e32 v1, 32, v1
	s_delay_alu instid0(VALU_DEP_1) | instskip(NEXT) | instid1(VALU_DEP_1)
	v_subrev_nc_u32_e32 v2, 28, v1
	v_lshlrev_b64_e32 v[2:3], v2, v[50:51]
	s_delay_alu instid0(VALU_DEP_1)
	v_dual_sub_nc_u32 v1, 29, v1 :: v_dual_bitop2_b32 v50, 7, v2 bitop3:0x40
; %bb.118:                              ;   in Loop: Header=BB194_9 Depth=1
	s_or_b32 exec_lo, exec_lo, s31
	s_delay_alu instid0(VALU_DEP_1) | instskip(NEXT) | instid1(VALU_DEP_2)
	v_dual_lshlrev_b32 v0, 16, v0 :: v_dual_lshlrev_b32 v2, 20, v50
	v_lshl_add_u32 v1, v1, 23, 0x3c000000
	v_mov_b32_e32 v82, v51
	s_delay_alu instid0(VALU_DEP_3) | instskip(NEXT) | instid1(VALU_DEP_1)
	v_and_b32_e32 v0, 0x80000000, v0
	v_or3_b32 v83, v2, v0, v1
.LBB194_119:                            ;   in Loop: Header=BB194_9 Depth=1
	s_or_b32 exec_lo, exec_lo, s30
.LBB194_120:                            ;   in Loop: Header=BB194_9 Depth=1
	s_delay_alu instid0(SALU_CYCLE_1)
	s_or_b32 exec_lo, exec_lo, s29
.LBB194_121:                            ;   in Loop: Header=BB194_9 Depth=1
	s_delay_alu instid0(SALU_CYCLE_1)
	s_or_b32 exec_lo, exec_lo, s28
	global_load_u16 v0, v[64:65], off offset:268
	v_mov_b64_e32 v[86:87], 0
	v_mov_b64_e32 v[88:89], 0
	s_mov_b32 s28, exec_lo
	s_wait_loadcnt 0x0
	v_and_b32_e32 v1, 0xff, v0
	v_and_b32_e32 v0, 0xffff, v0
	s_wait_xcnt 0x0
	s_delay_alu instid0(VALU_DEP_2)
	v_cmpx_ne_u16_e32 0, v1
	s_cbranch_execz .LBB194_129
; %bb.122:                              ;   in Loop: Header=BB194_9 Depth=1
	v_mov_b64_e32 v[88:89], 0x80000000
	v_and_b32_e32 v1, 0xff, v0
	s_mov_b32 s29, exec_lo
	s_delay_alu instid0(VALU_DEP_1)
	v_cmpx_ne_u16_e32 0x80, v1
	s_cbranch_execz .LBB194_128
; %bb.123:                              ;   in Loop: Header=BB194_9 Depth=1
	v_mov_b64_e32 v[88:89], 0x7f800001
	v_and_b32_e32 v2, 0x7f, v0
	s_mov_b32 s30, exec_lo
	s_delay_alu instid0(VALU_DEP_1)
	v_cmpx_ne_u32_e32 0x7f, v2
	s_cbranch_execz .LBB194_127
; %bb.124:                              ;   in Loop: Header=BB194_9 Depth=1
	v_dual_lshrrev_b32 v1, 3, v2 :: v_dual_bitop2_b32 v50, 7, v0 bitop3:0x40
	s_mov_b32 s31, exec_lo
	v_cmpx_gt_u32_e32 8, v2
; %bb.125:                              ;   in Loop: Header=BB194_9 Depth=1
	s_delay_alu instid0(VALU_DEP_2) | instskip(NEXT) | instid1(VALU_DEP_1)
	v_clz_i32_u32_e32 v1, v50
	v_min_u32_e32 v1, 32, v1
	s_delay_alu instid0(VALU_DEP_1) | instskip(NEXT) | instid1(VALU_DEP_1)
	v_subrev_nc_u32_e32 v2, 28, v1
	v_lshlrev_b64_e32 v[2:3], v2, v[50:51]
	s_delay_alu instid0(VALU_DEP_1)
	v_dual_sub_nc_u32 v1, 29, v1 :: v_dual_bitop2_b32 v50, 7, v2 bitop3:0x40
; %bb.126:                              ;   in Loop: Header=BB194_9 Depth=1
	s_or_b32 exec_lo, exec_lo, s31
	s_delay_alu instid0(VALU_DEP_1) | instskip(NEXT) | instid1(VALU_DEP_2)
	v_dual_lshlrev_b32 v2, 24, v0 :: v_dual_lshlrev_b32 v3, 20, v50
	v_lshl_add_u32 v1, v1, 23, 0x3c000000
	s_delay_alu instid0(VALU_DEP_2) | instskip(NEXT) | instid1(VALU_DEP_1)
	v_and_b32_e32 v2, 0x80000000, v2
	v_or3_b32 v50, v3, v2, v1
	s_delay_alu instid0(VALU_DEP_1)
	v_mov_b64_e32 v[88:89], v[50:51]
.LBB194_127:                            ;   in Loop: Header=BB194_9 Depth=1
	s_or_b32 exec_lo, exec_lo, s30
.LBB194_128:                            ;   in Loop: Header=BB194_9 Depth=1
	s_delay_alu instid0(SALU_CYCLE_1)
	s_or_b32 exec_lo, exec_lo, s29
.LBB194_129:                            ;   in Loop: Header=BB194_9 Depth=1
	s_delay_alu instid0(SALU_CYCLE_1) | instskip(SKIP_2) | instid1(VALU_DEP_1)
	s_or_b32 exec_lo, exec_lo, s28
	v_lshrrev_b16 v1, 8, v0
	s_mov_b32 s28, exec_lo
	v_cmpx_ne_u16_e32 0, v1
	s_cbranch_execz .LBB194_137
; %bb.130:                              ;   in Loop: Header=BB194_9 Depth=1
	v_mov_b64_e32 v[86:87], 0x8000000000000000
	s_mov_b32 s29, exec_lo
	v_cmpx_ne_u16_e32 0x80, v1
	s_cbranch_execz .LBB194_136
; %bb.131:                              ;   in Loop: Header=BB194_9 Depth=1
	v_and_b32_e32 v1, 0xffff, v1
	v_mov_b64_e32 v[86:87], 0x7f80000100000000
	s_mov_b32 s30, exec_lo
	s_delay_alu instid0(VALU_DEP_2) | instskip(NEXT) | instid1(VALU_DEP_1)
	v_and_b32_e32 v2, 0x7f, v1
	v_cmpx_ne_u32_e32 0x7f, v2
	s_cbranch_execz .LBB194_135
; %bb.132:                              ;   in Loop: Header=BB194_9 Depth=1
	v_dual_lshrrev_b32 v1, 3, v2 :: v_dual_bitop2_b32 v50, 7, v1 bitop3:0x40
	s_mov_b32 s31, exec_lo
	v_cmpx_gt_u32_e32 8, v2
; %bb.133:                              ;   in Loop: Header=BB194_9 Depth=1
	s_delay_alu instid0(VALU_DEP_2) | instskip(NEXT) | instid1(VALU_DEP_1)
	v_clz_i32_u32_e32 v1, v50
	v_min_u32_e32 v1, 32, v1
	s_delay_alu instid0(VALU_DEP_1) | instskip(NEXT) | instid1(VALU_DEP_1)
	v_subrev_nc_u32_e32 v2, 28, v1
	v_lshlrev_b64_e32 v[2:3], v2, v[50:51]
	s_delay_alu instid0(VALU_DEP_1)
	v_dual_sub_nc_u32 v1, 29, v1 :: v_dual_bitop2_b32 v50, 7, v2 bitop3:0x40
; %bb.134:                              ;   in Loop: Header=BB194_9 Depth=1
	s_or_b32 exec_lo, exec_lo, s31
	s_delay_alu instid0(VALU_DEP_1) | instskip(NEXT) | instid1(VALU_DEP_2)
	v_dual_lshlrev_b32 v0, 16, v0 :: v_dual_lshlrev_b32 v2, 20, v50
	v_lshl_add_u32 v1, v1, 23, 0x3c000000
	v_mov_b32_e32 v86, v51
	s_delay_alu instid0(VALU_DEP_3) | instskip(NEXT) | instid1(VALU_DEP_1)
	v_and_b32_e32 v0, 0x80000000, v0
	v_or3_b32 v87, v2, v0, v1
.LBB194_135:                            ;   in Loop: Header=BB194_9 Depth=1
	s_or_b32 exec_lo, exec_lo, s30
.LBB194_136:                            ;   in Loop: Header=BB194_9 Depth=1
	s_delay_alu instid0(SALU_CYCLE_1)
	s_or_b32 exec_lo, exec_lo, s29
.LBB194_137:                            ;   in Loop: Header=BB194_9 Depth=1
	s_delay_alu instid0(SALU_CYCLE_1)
	s_or_b32 exec_lo, exec_lo, s28
	global_load_u16 v0, v[64:65], off offset:512
	v_mov_b64_e32 v[90:91], 0
	v_mov_b64_e32 v[92:93], 0
	s_mov_b32 s28, exec_lo
	s_wait_loadcnt 0x0
	v_and_b32_e32 v1, 0xff, v0
	v_and_b32_e32 v0, 0xffff, v0
	s_wait_xcnt 0x0
	s_delay_alu instid0(VALU_DEP_2)
	v_cmpx_ne_u16_e32 0, v1
	s_cbranch_execz .LBB194_145
; %bb.138:                              ;   in Loop: Header=BB194_9 Depth=1
	v_mov_b64_e32 v[92:93], 0x80000000
	v_and_b32_e32 v1, 0xff, v0
	s_mov_b32 s29, exec_lo
	s_delay_alu instid0(VALU_DEP_1)
	v_cmpx_ne_u16_e32 0x80, v1
	s_cbranch_execz .LBB194_144
; %bb.139:                              ;   in Loop: Header=BB194_9 Depth=1
	v_mov_b64_e32 v[92:93], 0x7f800001
	v_and_b32_e32 v2, 0x7f, v0
	s_mov_b32 s30, exec_lo
	s_delay_alu instid0(VALU_DEP_1)
	v_cmpx_ne_u32_e32 0x7f, v2
	s_cbranch_execz .LBB194_143
; %bb.140:                              ;   in Loop: Header=BB194_9 Depth=1
	v_dual_lshrrev_b32 v1, 3, v2 :: v_dual_bitop2_b32 v50, 7, v0 bitop3:0x40
	s_mov_b32 s31, exec_lo
	v_cmpx_gt_u32_e32 8, v2
; %bb.141:                              ;   in Loop: Header=BB194_9 Depth=1
	s_delay_alu instid0(VALU_DEP_2) | instskip(NEXT) | instid1(VALU_DEP_1)
	v_clz_i32_u32_e32 v1, v50
	v_min_u32_e32 v1, 32, v1
	s_delay_alu instid0(VALU_DEP_1) | instskip(NEXT) | instid1(VALU_DEP_1)
	v_subrev_nc_u32_e32 v2, 28, v1
	v_lshlrev_b64_e32 v[2:3], v2, v[50:51]
	s_delay_alu instid0(VALU_DEP_1)
	v_dual_sub_nc_u32 v1, 29, v1 :: v_dual_bitop2_b32 v50, 7, v2 bitop3:0x40
; %bb.142:                              ;   in Loop: Header=BB194_9 Depth=1
	s_or_b32 exec_lo, exec_lo, s31
	s_delay_alu instid0(VALU_DEP_1) | instskip(NEXT) | instid1(VALU_DEP_2)
	v_dual_lshlrev_b32 v2, 24, v0 :: v_dual_lshlrev_b32 v3, 20, v50
	v_lshl_add_u32 v1, v1, 23, 0x3c000000
	s_delay_alu instid0(VALU_DEP_2) | instskip(NEXT) | instid1(VALU_DEP_1)
	v_and_b32_e32 v2, 0x80000000, v2
	v_or3_b32 v50, v3, v2, v1
	s_delay_alu instid0(VALU_DEP_1)
	v_mov_b64_e32 v[92:93], v[50:51]
.LBB194_143:                            ;   in Loop: Header=BB194_9 Depth=1
	s_or_b32 exec_lo, exec_lo, s30
.LBB194_144:                            ;   in Loop: Header=BB194_9 Depth=1
	s_delay_alu instid0(SALU_CYCLE_1)
	s_or_b32 exec_lo, exec_lo, s29
.LBB194_145:                            ;   in Loop: Header=BB194_9 Depth=1
	s_delay_alu instid0(SALU_CYCLE_1) | instskip(SKIP_2) | instid1(VALU_DEP_1)
	s_or_b32 exec_lo, exec_lo, s28
	v_lshrrev_b16 v1, 8, v0
	s_mov_b32 s28, exec_lo
	v_cmpx_ne_u16_e32 0, v1
	s_cbranch_execz .LBB194_153
; %bb.146:                              ;   in Loop: Header=BB194_9 Depth=1
	v_mov_b64_e32 v[90:91], 0x8000000000000000
	s_mov_b32 s29, exec_lo
	v_cmpx_ne_u16_e32 0x80, v1
	s_cbranch_execz .LBB194_152
; %bb.147:                              ;   in Loop: Header=BB194_9 Depth=1
	v_and_b32_e32 v1, 0xffff, v1
	v_mov_b64_e32 v[90:91], 0x7f80000100000000
	s_mov_b32 s30, exec_lo
	s_delay_alu instid0(VALU_DEP_2) | instskip(NEXT) | instid1(VALU_DEP_1)
	v_and_b32_e32 v2, 0x7f, v1
	v_cmpx_ne_u32_e32 0x7f, v2
	s_cbranch_execz .LBB194_151
; %bb.148:                              ;   in Loop: Header=BB194_9 Depth=1
	v_dual_lshrrev_b32 v1, 3, v2 :: v_dual_bitop2_b32 v50, 7, v1 bitop3:0x40
	s_mov_b32 s31, exec_lo
	v_cmpx_gt_u32_e32 8, v2
; %bb.149:                              ;   in Loop: Header=BB194_9 Depth=1
	s_delay_alu instid0(VALU_DEP_2) | instskip(NEXT) | instid1(VALU_DEP_1)
	v_clz_i32_u32_e32 v1, v50
	v_min_u32_e32 v1, 32, v1
	s_delay_alu instid0(VALU_DEP_1) | instskip(NEXT) | instid1(VALU_DEP_1)
	v_subrev_nc_u32_e32 v2, 28, v1
	v_lshlrev_b64_e32 v[2:3], v2, v[50:51]
	s_delay_alu instid0(VALU_DEP_1)
	v_dual_sub_nc_u32 v1, 29, v1 :: v_dual_bitop2_b32 v50, 7, v2 bitop3:0x40
; %bb.150:                              ;   in Loop: Header=BB194_9 Depth=1
	s_or_b32 exec_lo, exec_lo, s31
	s_delay_alu instid0(VALU_DEP_1) | instskip(NEXT) | instid1(VALU_DEP_2)
	v_dual_lshlrev_b32 v0, 16, v0 :: v_dual_lshlrev_b32 v2, 20, v50
	v_lshl_add_u32 v1, v1, 23, 0x3c000000
	v_mov_b32_e32 v90, v51
	s_delay_alu instid0(VALU_DEP_3) | instskip(NEXT) | instid1(VALU_DEP_1)
	v_and_b32_e32 v0, 0x80000000, v0
	v_or3_b32 v91, v2, v0, v1
.LBB194_151:                            ;   in Loop: Header=BB194_9 Depth=1
	s_or_b32 exec_lo, exec_lo, s30
.LBB194_152:                            ;   in Loop: Header=BB194_9 Depth=1
	s_delay_alu instid0(SALU_CYCLE_1)
	s_or_b32 exec_lo, exec_lo, s29
.LBB194_153:                            ;   in Loop: Header=BB194_9 Depth=1
	s_delay_alu instid0(SALU_CYCLE_1)
	s_or_b32 exec_lo, exec_lo, s28
	global_load_u16 v0, v[64:65], off offset:516
	v_mov_b64_e32 v[94:95], 0
	v_mov_b64_e32 v[96:97], 0
	s_mov_b32 s28, exec_lo
	s_wait_loadcnt 0x0
	v_and_b32_e32 v1, 0xff, v0
	v_and_b32_e32 v0, 0xffff, v0
	s_wait_xcnt 0x0
	s_delay_alu instid0(VALU_DEP_2)
	v_cmpx_ne_u16_e32 0, v1
	s_cbranch_execz .LBB194_161
; %bb.154:                              ;   in Loop: Header=BB194_9 Depth=1
	v_mov_b64_e32 v[96:97], 0x80000000
	v_and_b32_e32 v1, 0xff, v0
	s_mov_b32 s29, exec_lo
	s_delay_alu instid0(VALU_DEP_1)
	v_cmpx_ne_u16_e32 0x80, v1
	s_cbranch_execz .LBB194_160
; %bb.155:                              ;   in Loop: Header=BB194_9 Depth=1
	v_mov_b64_e32 v[96:97], 0x7f800001
	v_and_b32_e32 v2, 0x7f, v0
	s_mov_b32 s30, exec_lo
	s_delay_alu instid0(VALU_DEP_1)
	v_cmpx_ne_u32_e32 0x7f, v2
	s_cbranch_execz .LBB194_159
; %bb.156:                              ;   in Loop: Header=BB194_9 Depth=1
	v_dual_lshrrev_b32 v1, 3, v2 :: v_dual_bitop2_b32 v50, 7, v0 bitop3:0x40
	s_mov_b32 s31, exec_lo
	v_cmpx_gt_u32_e32 8, v2
; %bb.157:                              ;   in Loop: Header=BB194_9 Depth=1
	s_delay_alu instid0(VALU_DEP_2) | instskip(NEXT) | instid1(VALU_DEP_1)
	v_clz_i32_u32_e32 v1, v50
	v_min_u32_e32 v1, 32, v1
	s_delay_alu instid0(VALU_DEP_1) | instskip(NEXT) | instid1(VALU_DEP_1)
	v_subrev_nc_u32_e32 v2, 28, v1
	v_lshlrev_b64_e32 v[2:3], v2, v[50:51]
	s_delay_alu instid0(VALU_DEP_1)
	v_dual_sub_nc_u32 v1, 29, v1 :: v_dual_bitop2_b32 v50, 7, v2 bitop3:0x40
; %bb.158:                              ;   in Loop: Header=BB194_9 Depth=1
	s_or_b32 exec_lo, exec_lo, s31
	s_delay_alu instid0(VALU_DEP_1) | instskip(NEXT) | instid1(VALU_DEP_2)
	v_dual_lshlrev_b32 v2, 24, v0 :: v_dual_lshlrev_b32 v3, 20, v50
	v_lshl_add_u32 v1, v1, 23, 0x3c000000
	s_delay_alu instid0(VALU_DEP_2) | instskip(NEXT) | instid1(VALU_DEP_1)
	v_and_b32_e32 v2, 0x80000000, v2
	v_or3_b32 v50, v3, v2, v1
	s_delay_alu instid0(VALU_DEP_1)
	v_mov_b64_e32 v[96:97], v[50:51]
.LBB194_159:                            ;   in Loop: Header=BB194_9 Depth=1
	s_or_b32 exec_lo, exec_lo, s30
.LBB194_160:                            ;   in Loop: Header=BB194_9 Depth=1
	s_delay_alu instid0(SALU_CYCLE_1)
	s_or_b32 exec_lo, exec_lo, s29
.LBB194_161:                            ;   in Loop: Header=BB194_9 Depth=1
	s_delay_alu instid0(SALU_CYCLE_1) | instskip(SKIP_2) | instid1(VALU_DEP_1)
	s_or_b32 exec_lo, exec_lo, s28
	v_lshrrev_b16 v1, 8, v0
	s_mov_b32 s28, exec_lo
	v_cmpx_ne_u16_e32 0, v1
	s_cbranch_execz .LBB194_169
; %bb.162:                              ;   in Loop: Header=BB194_9 Depth=1
	v_mov_b64_e32 v[94:95], 0x8000000000000000
	s_mov_b32 s29, exec_lo
	v_cmpx_ne_u16_e32 0x80, v1
	s_cbranch_execz .LBB194_168
; %bb.163:                              ;   in Loop: Header=BB194_9 Depth=1
	v_and_b32_e32 v1, 0xffff, v1
	v_mov_b64_e32 v[94:95], 0x7f80000100000000
	s_mov_b32 s30, exec_lo
	s_delay_alu instid0(VALU_DEP_2) | instskip(NEXT) | instid1(VALU_DEP_1)
	v_and_b32_e32 v2, 0x7f, v1
	v_cmpx_ne_u32_e32 0x7f, v2
	s_cbranch_execz .LBB194_167
; %bb.164:                              ;   in Loop: Header=BB194_9 Depth=1
	v_dual_lshrrev_b32 v1, 3, v2 :: v_dual_bitop2_b32 v50, 7, v1 bitop3:0x40
	s_mov_b32 s31, exec_lo
	v_cmpx_gt_u32_e32 8, v2
; %bb.165:                              ;   in Loop: Header=BB194_9 Depth=1
	s_delay_alu instid0(VALU_DEP_2) | instskip(NEXT) | instid1(VALU_DEP_1)
	v_clz_i32_u32_e32 v1, v50
	v_min_u32_e32 v1, 32, v1
	s_delay_alu instid0(VALU_DEP_1) | instskip(NEXT) | instid1(VALU_DEP_1)
	v_subrev_nc_u32_e32 v2, 28, v1
	v_lshlrev_b64_e32 v[2:3], v2, v[50:51]
	s_delay_alu instid0(VALU_DEP_1)
	v_dual_sub_nc_u32 v1, 29, v1 :: v_dual_bitop2_b32 v50, 7, v2 bitop3:0x40
; %bb.166:                              ;   in Loop: Header=BB194_9 Depth=1
	s_or_b32 exec_lo, exec_lo, s31
	s_delay_alu instid0(VALU_DEP_1) | instskip(NEXT) | instid1(VALU_DEP_2)
	v_dual_lshlrev_b32 v0, 16, v0 :: v_dual_lshlrev_b32 v2, 20, v50
	v_lshl_add_u32 v1, v1, 23, 0x3c000000
	v_mov_b32_e32 v94, v51
	s_delay_alu instid0(VALU_DEP_3) | instskip(NEXT) | instid1(VALU_DEP_1)
	v_and_b32_e32 v0, 0x80000000, v0
	v_or3_b32 v95, v2, v0, v1
.LBB194_167:                            ;   in Loop: Header=BB194_9 Depth=1
	s_or_b32 exec_lo, exec_lo, s30
.LBB194_168:                            ;   in Loop: Header=BB194_9 Depth=1
	s_delay_alu instid0(SALU_CYCLE_1)
	s_or_b32 exec_lo, exec_lo, s29
.LBB194_169:                            ;   in Loop: Header=BB194_9 Depth=1
	s_delay_alu instid0(SALU_CYCLE_1)
	s_or_b32 exec_lo, exec_lo, s28
	global_load_u16 v0, v[64:65], off offset:520
	v_mov_b64_e32 v[98:99], 0
	v_mov_b64_e32 v[100:101], 0
	s_mov_b32 s28, exec_lo
	s_wait_loadcnt 0x0
	v_and_b32_e32 v1, 0xff, v0
	v_and_b32_e32 v0, 0xffff, v0
	s_wait_xcnt 0x0
	s_delay_alu instid0(VALU_DEP_2)
	v_cmpx_ne_u16_e32 0, v1
	s_cbranch_execz .LBB194_177
; %bb.170:                              ;   in Loop: Header=BB194_9 Depth=1
	v_mov_b64_e32 v[100:101], 0x80000000
	v_and_b32_e32 v1, 0xff, v0
	s_mov_b32 s29, exec_lo
	s_delay_alu instid0(VALU_DEP_1)
	v_cmpx_ne_u16_e32 0x80, v1
	s_cbranch_execz .LBB194_176
; %bb.171:                              ;   in Loop: Header=BB194_9 Depth=1
	v_mov_b64_e32 v[100:101], 0x7f800001
	v_and_b32_e32 v2, 0x7f, v0
	s_mov_b32 s30, exec_lo
	s_delay_alu instid0(VALU_DEP_1)
	v_cmpx_ne_u32_e32 0x7f, v2
	s_cbranch_execz .LBB194_175
; %bb.172:                              ;   in Loop: Header=BB194_9 Depth=1
	v_dual_lshrrev_b32 v1, 3, v2 :: v_dual_bitop2_b32 v50, 7, v0 bitop3:0x40
	s_mov_b32 s31, exec_lo
	v_cmpx_gt_u32_e32 8, v2
; %bb.173:                              ;   in Loop: Header=BB194_9 Depth=1
	s_delay_alu instid0(VALU_DEP_2) | instskip(NEXT) | instid1(VALU_DEP_1)
	v_clz_i32_u32_e32 v1, v50
	v_min_u32_e32 v1, 32, v1
	s_delay_alu instid0(VALU_DEP_1) | instskip(NEXT) | instid1(VALU_DEP_1)
	v_subrev_nc_u32_e32 v2, 28, v1
	v_lshlrev_b64_e32 v[2:3], v2, v[50:51]
	s_delay_alu instid0(VALU_DEP_1)
	v_dual_sub_nc_u32 v1, 29, v1 :: v_dual_bitop2_b32 v50, 7, v2 bitop3:0x40
; %bb.174:                              ;   in Loop: Header=BB194_9 Depth=1
	s_or_b32 exec_lo, exec_lo, s31
	s_delay_alu instid0(VALU_DEP_1) | instskip(NEXT) | instid1(VALU_DEP_2)
	v_dual_lshlrev_b32 v2, 24, v0 :: v_dual_lshlrev_b32 v3, 20, v50
	v_lshl_add_u32 v1, v1, 23, 0x3c000000
	s_delay_alu instid0(VALU_DEP_2) | instskip(NEXT) | instid1(VALU_DEP_1)
	v_and_b32_e32 v2, 0x80000000, v2
	v_or3_b32 v50, v3, v2, v1
	s_delay_alu instid0(VALU_DEP_1)
	v_mov_b64_e32 v[100:101], v[50:51]
.LBB194_175:                            ;   in Loop: Header=BB194_9 Depth=1
	s_or_b32 exec_lo, exec_lo, s30
.LBB194_176:                            ;   in Loop: Header=BB194_9 Depth=1
	s_delay_alu instid0(SALU_CYCLE_1)
	s_or_b32 exec_lo, exec_lo, s29
.LBB194_177:                            ;   in Loop: Header=BB194_9 Depth=1
	s_delay_alu instid0(SALU_CYCLE_1) | instskip(SKIP_2) | instid1(VALU_DEP_1)
	s_or_b32 exec_lo, exec_lo, s28
	v_lshrrev_b16 v1, 8, v0
	s_mov_b32 s28, exec_lo
	v_cmpx_ne_u16_e32 0, v1
	s_cbranch_execz .LBB194_185
; %bb.178:                              ;   in Loop: Header=BB194_9 Depth=1
	v_mov_b64_e32 v[98:99], 0x8000000000000000
	s_mov_b32 s29, exec_lo
	v_cmpx_ne_u16_e32 0x80, v1
	s_cbranch_execz .LBB194_184
; %bb.179:                              ;   in Loop: Header=BB194_9 Depth=1
	v_and_b32_e32 v1, 0xffff, v1
	v_mov_b64_e32 v[98:99], 0x7f80000100000000
	s_mov_b32 s30, exec_lo
	s_delay_alu instid0(VALU_DEP_2) | instskip(NEXT) | instid1(VALU_DEP_1)
	v_and_b32_e32 v2, 0x7f, v1
	v_cmpx_ne_u32_e32 0x7f, v2
	s_cbranch_execz .LBB194_183
; %bb.180:                              ;   in Loop: Header=BB194_9 Depth=1
	v_dual_lshrrev_b32 v1, 3, v2 :: v_dual_bitop2_b32 v50, 7, v1 bitop3:0x40
	s_mov_b32 s31, exec_lo
	v_cmpx_gt_u32_e32 8, v2
; %bb.181:                              ;   in Loop: Header=BB194_9 Depth=1
	s_delay_alu instid0(VALU_DEP_2) | instskip(NEXT) | instid1(VALU_DEP_1)
	v_clz_i32_u32_e32 v1, v50
	v_min_u32_e32 v1, 32, v1
	s_delay_alu instid0(VALU_DEP_1) | instskip(NEXT) | instid1(VALU_DEP_1)
	v_subrev_nc_u32_e32 v2, 28, v1
	v_lshlrev_b64_e32 v[2:3], v2, v[50:51]
	s_delay_alu instid0(VALU_DEP_1)
	v_dual_sub_nc_u32 v1, 29, v1 :: v_dual_bitop2_b32 v50, 7, v2 bitop3:0x40
; %bb.182:                              ;   in Loop: Header=BB194_9 Depth=1
	s_or_b32 exec_lo, exec_lo, s31
	s_delay_alu instid0(VALU_DEP_1) | instskip(NEXT) | instid1(VALU_DEP_2)
	v_dual_lshlrev_b32 v0, 16, v0 :: v_dual_lshlrev_b32 v2, 20, v50
	v_lshl_add_u32 v1, v1, 23, 0x3c000000
	v_mov_b32_e32 v98, v51
	s_delay_alu instid0(VALU_DEP_3) | instskip(NEXT) | instid1(VALU_DEP_1)
	v_and_b32_e32 v0, 0x80000000, v0
	v_or3_b32 v99, v2, v0, v1
.LBB194_183:                            ;   in Loop: Header=BB194_9 Depth=1
	s_or_b32 exec_lo, exec_lo, s30
.LBB194_184:                            ;   in Loop: Header=BB194_9 Depth=1
	s_delay_alu instid0(SALU_CYCLE_1)
	s_or_b32 exec_lo, exec_lo, s29
.LBB194_185:                            ;   in Loop: Header=BB194_9 Depth=1
	s_delay_alu instid0(SALU_CYCLE_1)
	s_or_b32 exec_lo, exec_lo, s28
	global_load_u16 v0, v[64:65], off offset:524
	v_mov_b64_e32 v[102:103], 0
	v_mov_b64_e32 v[104:105], 0
	s_mov_b32 s28, exec_lo
	s_wait_loadcnt 0x0
	v_and_b32_e32 v1, 0xff, v0
	v_and_b32_e32 v0, 0xffff, v0
	s_wait_xcnt 0x0
	s_delay_alu instid0(VALU_DEP_2)
	v_cmpx_ne_u16_e32 0, v1
	s_cbranch_execz .LBB194_193
; %bb.186:                              ;   in Loop: Header=BB194_9 Depth=1
	v_mov_b64_e32 v[104:105], 0x80000000
	v_and_b32_e32 v1, 0xff, v0
	s_mov_b32 s29, exec_lo
	s_delay_alu instid0(VALU_DEP_1)
	v_cmpx_ne_u16_e32 0x80, v1
	s_cbranch_execz .LBB194_192
; %bb.187:                              ;   in Loop: Header=BB194_9 Depth=1
	v_mov_b64_e32 v[104:105], 0x7f800001
	v_and_b32_e32 v2, 0x7f, v0
	s_mov_b32 s30, exec_lo
	s_delay_alu instid0(VALU_DEP_1)
	v_cmpx_ne_u32_e32 0x7f, v2
	s_cbranch_execz .LBB194_191
; %bb.188:                              ;   in Loop: Header=BB194_9 Depth=1
	v_dual_lshrrev_b32 v1, 3, v2 :: v_dual_bitop2_b32 v50, 7, v0 bitop3:0x40
	s_mov_b32 s31, exec_lo
	v_cmpx_gt_u32_e32 8, v2
; %bb.189:                              ;   in Loop: Header=BB194_9 Depth=1
	s_delay_alu instid0(VALU_DEP_2) | instskip(NEXT) | instid1(VALU_DEP_1)
	v_clz_i32_u32_e32 v1, v50
	v_min_u32_e32 v1, 32, v1
	s_delay_alu instid0(VALU_DEP_1) | instskip(NEXT) | instid1(VALU_DEP_1)
	v_subrev_nc_u32_e32 v2, 28, v1
	v_lshlrev_b64_e32 v[2:3], v2, v[50:51]
	s_delay_alu instid0(VALU_DEP_1)
	v_dual_sub_nc_u32 v1, 29, v1 :: v_dual_bitop2_b32 v50, 7, v2 bitop3:0x40
; %bb.190:                              ;   in Loop: Header=BB194_9 Depth=1
	s_or_b32 exec_lo, exec_lo, s31
	s_delay_alu instid0(VALU_DEP_1) | instskip(NEXT) | instid1(VALU_DEP_2)
	v_dual_lshlrev_b32 v2, 24, v0 :: v_dual_lshlrev_b32 v3, 20, v50
	v_lshl_add_u32 v1, v1, 23, 0x3c000000
	s_delay_alu instid0(VALU_DEP_2) | instskip(NEXT) | instid1(VALU_DEP_1)
	v_and_b32_e32 v2, 0x80000000, v2
	v_or3_b32 v50, v3, v2, v1
	s_delay_alu instid0(VALU_DEP_1)
	v_mov_b64_e32 v[104:105], v[50:51]
.LBB194_191:                            ;   in Loop: Header=BB194_9 Depth=1
	s_or_b32 exec_lo, exec_lo, s30
.LBB194_192:                            ;   in Loop: Header=BB194_9 Depth=1
	s_delay_alu instid0(SALU_CYCLE_1)
	s_or_b32 exec_lo, exec_lo, s29
.LBB194_193:                            ;   in Loop: Header=BB194_9 Depth=1
	s_delay_alu instid0(SALU_CYCLE_1) | instskip(SKIP_2) | instid1(VALU_DEP_1)
	s_or_b32 exec_lo, exec_lo, s28
	v_lshrrev_b16 v1, 8, v0
	s_mov_b32 s28, exec_lo
	v_cmpx_ne_u16_e32 0, v1
	s_cbranch_execz .LBB194_201
; %bb.194:                              ;   in Loop: Header=BB194_9 Depth=1
	v_mov_b64_e32 v[102:103], 0x8000000000000000
	s_mov_b32 s29, exec_lo
	v_cmpx_ne_u16_e32 0x80, v1
	s_cbranch_execz .LBB194_200
; %bb.195:                              ;   in Loop: Header=BB194_9 Depth=1
	v_and_b32_e32 v1, 0xffff, v1
	v_mov_b64_e32 v[102:103], 0x7f80000100000000
	s_mov_b32 s30, exec_lo
	s_delay_alu instid0(VALU_DEP_2) | instskip(NEXT) | instid1(VALU_DEP_1)
	v_and_b32_e32 v2, 0x7f, v1
	v_cmpx_ne_u32_e32 0x7f, v2
	s_cbranch_execz .LBB194_199
; %bb.196:                              ;   in Loop: Header=BB194_9 Depth=1
	v_dual_lshrrev_b32 v1, 3, v2 :: v_dual_bitop2_b32 v50, 7, v1 bitop3:0x40
	s_mov_b32 s31, exec_lo
	v_cmpx_gt_u32_e32 8, v2
; %bb.197:                              ;   in Loop: Header=BB194_9 Depth=1
	s_delay_alu instid0(VALU_DEP_2) | instskip(NEXT) | instid1(VALU_DEP_1)
	v_clz_i32_u32_e32 v1, v50
	v_min_u32_e32 v1, 32, v1
	s_delay_alu instid0(VALU_DEP_1) | instskip(NEXT) | instid1(VALU_DEP_1)
	v_subrev_nc_u32_e32 v2, 28, v1
	v_lshlrev_b64_e32 v[2:3], v2, v[50:51]
	s_delay_alu instid0(VALU_DEP_1)
	v_dual_sub_nc_u32 v1, 29, v1 :: v_dual_bitop2_b32 v50, 7, v2 bitop3:0x40
; %bb.198:                              ;   in Loop: Header=BB194_9 Depth=1
	s_or_b32 exec_lo, exec_lo, s31
	s_delay_alu instid0(VALU_DEP_1) | instskip(NEXT) | instid1(VALU_DEP_2)
	v_dual_lshlrev_b32 v0, 16, v0 :: v_dual_lshlrev_b32 v2, 20, v50
	v_lshl_add_u32 v1, v1, 23, 0x3c000000
	v_mov_b32_e32 v102, v51
	s_delay_alu instid0(VALU_DEP_3) | instskip(NEXT) | instid1(VALU_DEP_1)
	v_and_b32_e32 v0, 0x80000000, v0
	v_or3_b32 v103, v2, v0, v1
.LBB194_199:                            ;   in Loop: Header=BB194_9 Depth=1
	s_or_b32 exec_lo, exec_lo, s30
.LBB194_200:                            ;   in Loop: Header=BB194_9 Depth=1
	s_delay_alu instid0(SALU_CYCLE_1)
	s_or_b32 exec_lo, exec_lo, s29
.LBB194_201:                            ;   in Loop: Header=BB194_9 Depth=1
	s_delay_alu instid0(SALU_CYCLE_1)
	s_or_b32 exec_lo, exec_lo, s28
	global_load_u16 v0, v[64:65], off offset:768
	v_mov_b64_e32 v[106:107], 0
	v_mov_b64_e32 v[108:109], 0
	s_mov_b32 s28, exec_lo
	s_wait_loadcnt 0x0
	v_and_b32_e32 v1, 0xff, v0
	v_and_b32_e32 v0, 0xffff, v0
	s_wait_xcnt 0x0
	s_delay_alu instid0(VALU_DEP_2)
	v_cmpx_ne_u16_e32 0, v1
	s_cbranch_execz .LBB194_209
; %bb.202:                              ;   in Loop: Header=BB194_9 Depth=1
	v_mov_b64_e32 v[108:109], 0x80000000
	v_and_b32_e32 v1, 0xff, v0
	s_mov_b32 s29, exec_lo
	s_delay_alu instid0(VALU_DEP_1)
	v_cmpx_ne_u16_e32 0x80, v1
	s_cbranch_execz .LBB194_208
; %bb.203:                              ;   in Loop: Header=BB194_9 Depth=1
	v_mov_b64_e32 v[108:109], 0x7f800001
	v_and_b32_e32 v2, 0x7f, v0
	s_mov_b32 s30, exec_lo
	s_delay_alu instid0(VALU_DEP_1)
	v_cmpx_ne_u32_e32 0x7f, v2
	s_cbranch_execz .LBB194_207
; %bb.204:                              ;   in Loop: Header=BB194_9 Depth=1
	v_dual_lshrrev_b32 v1, 3, v2 :: v_dual_bitop2_b32 v50, 7, v0 bitop3:0x40
	s_mov_b32 s31, exec_lo
	v_cmpx_gt_u32_e32 8, v2
; %bb.205:                              ;   in Loop: Header=BB194_9 Depth=1
	s_delay_alu instid0(VALU_DEP_2) | instskip(NEXT) | instid1(VALU_DEP_1)
	v_clz_i32_u32_e32 v1, v50
	v_min_u32_e32 v1, 32, v1
	s_delay_alu instid0(VALU_DEP_1) | instskip(NEXT) | instid1(VALU_DEP_1)
	v_subrev_nc_u32_e32 v2, 28, v1
	v_lshlrev_b64_e32 v[2:3], v2, v[50:51]
	s_delay_alu instid0(VALU_DEP_1)
	v_dual_sub_nc_u32 v1, 29, v1 :: v_dual_bitop2_b32 v50, 7, v2 bitop3:0x40
; %bb.206:                              ;   in Loop: Header=BB194_9 Depth=1
	s_or_b32 exec_lo, exec_lo, s31
	s_delay_alu instid0(VALU_DEP_1) | instskip(NEXT) | instid1(VALU_DEP_2)
	v_dual_lshlrev_b32 v2, 24, v0 :: v_dual_lshlrev_b32 v3, 20, v50
	v_lshl_add_u32 v1, v1, 23, 0x3c000000
	s_delay_alu instid0(VALU_DEP_2) | instskip(NEXT) | instid1(VALU_DEP_1)
	v_and_b32_e32 v2, 0x80000000, v2
	v_or3_b32 v50, v3, v2, v1
	s_delay_alu instid0(VALU_DEP_1)
	v_mov_b64_e32 v[108:109], v[50:51]
.LBB194_207:                            ;   in Loop: Header=BB194_9 Depth=1
	s_or_b32 exec_lo, exec_lo, s30
.LBB194_208:                            ;   in Loop: Header=BB194_9 Depth=1
	s_delay_alu instid0(SALU_CYCLE_1)
	s_or_b32 exec_lo, exec_lo, s29
.LBB194_209:                            ;   in Loop: Header=BB194_9 Depth=1
	s_delay_alu instid0(SALU_CYCLE_1) | instskip(SKIP_2) | instid1(VALU_DEP_1)
	s_or_b32 exec_lo, exec_lo, s28
	v_lshrrev_b16 v1, 8, v0
	s_mov_b32 s28, exec_lo
	v_cmpx_ne_u16_e32 0, v1
	s_cbranch_execz .LBB194_217
; %bb.210:                              ;   in Loop: Header=BB194_9 Depth=1
	v_mov_b64_e32 v[106:107], 0x8000000000000000
	s_mov_b32 s29, exec_lo
	v_cmpx_ne_u16_e32 0x80, v1
	s_cbranch_execz .LBB194_216
; %bb.211:                              ;   in Loop: Header=BB194_9 Depth=1
	v_and_b32_e32 v1, 0xffff, v1
	v_mov_b64_e32 v[106:107], 0x7f80000100000000
	s_mov_b32 s30, exec_lo
	s_delay_alu instid0(VALU_DEP_2) | instskip(NEXT) | instid1(VALU_DEP_1)
	v_and_b32_e32 v2, 0x7f, v1
	v_cmpx_ne_u32_e32 0x7f, v2
	s_cbranch_execz .LBB194_215
; %bb.212:                              ;   in Loop: Header=BB194_9 Depth=1
	v_dual_lshrrev_b32 v1, 3, v2 :: v_dual_bitop2_b32 v50, 7, v1 bitop3:0x40
	s_mov_b32 s31, exec_lo
	v_cmpx_gt_u32_e32 8, v2
; %bb.213:                              ;   in Loop: Header=BB194_9 Depth=1
	s_delay_alu instid0(VALU_DEP_2) | instskip(NEXT) | instid1(VALU_DEP_1)
	v_clz_i32_u32_e32 v1, v50
	v_min_u32_e32 v1, 32, v1
	s_delay_alu instid0(VALU_DEP_1) | instskip(NEXT) | instid1(VALU_DEP_1)
	v_subrev_nc_u32_e32 v2, 28, v1
	v_lshlrev_b64_e32 v[2:3], v2, v[50:51]
	s_delay_alu instid0(VALU_DEP_1)
	v_dual_sub_nc_u32 v1, 29, v1 :: v_dual_bitop2_b32 v50, 7, v2 bitop3:0x40
; %bb.214:                              ;   in Loop: Header=BB194_9 Depth=1
	s_or_b32 exec_lo, exec_lo, s31
	s_delay_alu instid0(VALU_DEP_1) | instskip(NEXT) | instid1(VALU_DEP_2)
	v_dual_lshlrev_b32 v0, 16, v0 :: v_dual_lshlrev_b32 v2, 20, v50
	v_lshl_add_u32 v1, v1, 23, 0x3c000000
	v_mov_b32_e32 v106, v51
	s_delay_alu instid0(VALU_DEP_3) | instskip(NEXT) | instid1(VALU_DEP_1)
	v_and_b32_e32 v0, 0x80000000, v0
	v_or3_b32 v107, v2, v0, v1
.LBB194_215:                            ;   in Loop: Header=BB194_9 Depth=1
	s_or_b32 exec_lo, exec_lo, s30
.LBB194_216:                            ;   in Loop: Header=BB194_9 Depth=1
	s_delay_alu instid0(SALU_CYCLE_1)
	s_or_b32 exec_lo, exec_lo, s29
.LBB194_217:                            ;   in Loop: Header=BB194_9 Depth=1
	s_delay_alu instid0(SALU_CYCLE_1)
	s_or_b32 exec_lo, exec_lo, s28
	global_load_u16 v0, v[64:65], off offset:772
	v_mov_b64_e32 v[110:111], 0
	v_mov_b64_e32 v[112:113], 0
	s_mov_b32 s28, exec_lo
	s_wait_loadcnt 0x0
	v_and_b32_e32 v1, 0xff, v0
	v_and_b32_e32 v0, 0xffff, v0
	s_wait_xcnt 0x0
	s_delay_alu instid0(VALU_DEP_2)
	v_cmpx_ne_u16_e32 0, v1
	s_cbranch_execz .LBB194_225
; %bb.218:                              ;   in Loop: Header=BB194_9 Depth=1
	v_mov_b64_e32 v[112:113], 0x80000000
	v_and_b32_e32 v1, 0xff, v0
	s_mov_b32 s29, exec_lo
	s_delay_alu instid0(VALU_DEP_1)
	v_cmpx_ne_u16_e32 0x80, v1
	s_cbranch_execz .LBB194_224
; %bb.219:                              ;   in Loop: Header=BB194_9 Depth=1
	v_mov_b64_e32 v[112:113], 0x7f800001
	v_and_b32_e32 v2, 0x7f, v0
	s_mov_b32 s30, exec_lo
	s_delay_alu instid0(VALU_DEP_1)
	v_cmpx_ne_u32_e32 0x7f, v2
	s_cbranch_execz .LBB194_223
; %bb.220:                              ;   in Loop: Header=BB194_9 Depth=1
	v_dual_lshrrev_b32 v1, 3, v2 :: v_dual_bitop2_b32 v50, 7, v0 bitop3:0x40
	s_mov_b32 s31, exec_lo
	v_cmpx_gt_u32_e32 8, v2
; %bb.221:                              ;   in Loop: Header=BB194_9 Depth=1
	s_delay_alu instid0(VALU_DEP_2) | instskip(NEXT) | instid1(VALU_DEP_1)
	v_clz_i32_u32_e32 v1, v50
	v_min_u32_e32 v1, 32, v1
	s_delay_alu instid0(VALU_DEP_1) | instskip(NEXT) | instid1(VALU_DEP_1)
	v_subrev_nc_u32_e32 v2, 28, v1
	v_lshlrev_b64_e32 v[2:3], v2, v[50:51]
	s_delay_alu instid0(VALU_DEP_1)
	v_dual_sub_nc_u32 v1, 29, v1 :: v_dual_bitop2_b32 v50, 7, v2 bitop3:0x40
; %bb.222:                              ;   in Loop: Header=BB194_9 Depth=1
	s_or_b32 exec_lo, exec_lo, s31
	s_delay_alu instid0(VALU_DEP_1) | instskip(NEXT) | instid1(VALU_DEP_2)
	v_dual_lshlrev_b32 v2, 24, v0 :: v_dual_lshlrev_b32 v3, 20, v50
	v_lshl_add_u32 v1, v1, 23, 0x3c000000
	s_delay_alu instid0(VALU_DEP_2) | instskip(NEXT) | instid1(VALU_DEP_1)
	v_and_b32_e32 v2, 0x80000000, v2
	v_or3_b32 v50, v3, v2, v1
	s_delay_alu instid0(VALU_DEP_1)
	v_mov_b64_e32 v[112:113], v[50:51]
.LBB194_223:                            ;   in Loop: Header=BB194_9 Depth=1
	s_or_b32 exec_lo, exec_lo, s30
.LBB194_224:                            ;   in Loop: Header=BB194_9 Depth=1
	s_delay_alu instid0(SALU_CYCLE_1)
	s_or_b32 exec_lo, exec_lo, s29
.LBB194_225:                            ;   in Loop: Header=BB194_9 Depth=1
	s_delay_alu instid0(SALU_CYCLE_1) | instskip(SKIP_2) | instid1(VALU_DEP_1)
	s_or_b32 exec_lo, exec_lo, s28
	v_lshrrev_b16 v1, 8, v0
	s_mov_b32 s28, exec_lo
	v_cmpx_ne_u16_e32 0, v1
	s_cbranch_execz .LBB194_233
; %bb.226:                              ;   in Loop: Header=BB194_9 Depth=1
	v_mov_b64_e32 v[110:111], 0x8000000000000000
	s_mov_b32 s29, exec_lo
	v_cmpx_ne_u16_e32 0x80, v1
	s_cbranch_execz .LBB194_232
; %bb.227:                              ;   in Loop: Header=BB194_9 Depth=1
	v_and_b32_e32 v1, 0xffff, v1
	v_mov_b64_e32 v[110:111], 0x7f80000100000000
	s_mov_b32 s30, exec_lo
	s_delay_alu instid0(VALU_DEP_2) | instskip(NEXT) | instid1(VALU_DEP_1)
	v_and_b32_e32 v2, 0x7f, v1
	v_cmpx_ne_u32_e32 0x7f, v2
	s_cbranch_execz .LBB194_231
; %bb.228:                              ;   in Loop: Header=BB194_9 Depth=1
	v_dual_lshrrev_b32 v1, 3, v2 :: v_dual_bitop2_b32 v50, 7, v1 bitop3:0x40
	s_mov_b32 s31, exec_lo
	v_cmpx_gt_u32_e32 8, v2
; %bb.229:                              ;   in Loop: Header=BB194_9 Depth=1
	s_delay_alu instid0(VALU_DEP_2) | instskip(NEXT) | instid1(VALU_DEP_1)
	v_clz_i32_u32_e32 v1, v50
	v_min_u32_e32 v1, 32, v1
	s_delay_alu instid0(VALU_DEP_1) | instskip(NEXT) | instid1(VALU_DEP_1)
	v_subrev_nc_u32_e32 v2, 28, v1
	v_lshlrev_b64_e32 v[2:3], v2, v[50:51]
	s_delay_alu instid0(VALU_DEP_1)
	v_dual_sub_nc_u32 v1, 29, v1 :: v_dual_bitop2_b32 v50, 7, v2 bitop3:0x40
; %bb.230:                              ;   in Loop: Header=BB194_9 Depth=1
	s_or_b32 exec_lo, exec_lo, s31
	s_delay_alu instid0(VALU_DEP_1) | instskip(NEXT) | instid1(VALU_DEP_2)
	v_dual_lshlrev_b32 v0, 16, v0 :: v_dual_lshlrev_b32 v2, 20, v50
	v_lshl_add_u32 v1, v1, 23, 0x3c000000
	v_mov_b32_e32 v110, v51
	s_delay_alu instid0(VALU_DEP_3) | instskip(NEXT) | instid1(VALU_DEP_1)
	v_and_b32_e32 v0, 0x80000000, v0
	v_or3_b32 v111, v2, v0, v1
.LBB194_231:                            ;   in Loop: Header=BB194_9 Depth=1
	s_or_b32 exec_lo, exec_lo, s30
.LBB194_232:                            ;   in Loop: Header=BB194_9 Depth=1
	s_delay_alu instid0(SALU_CYCLE_1)
	s_or_b32 exec_lo, exec_lo, s29
.LBB194_233:                            ;   in Loop: Header=BB194_9 Depth=1
	s_delay_alu instid0(SALU_CYCLE_1)
	s_or_b32 exec_lo, exec_lo, s28
	global_load_u16 v1, v[64:65], off offset:776
	v_mov_b64_e32 v[114:115], 0
	v_mov_b64_e32 v[116:117], 0
	s_mov_b32 s28, exec_lo
	s_wait_loadcnt 0x0
	v_and_b32_e32 v0, 0xffff, v1
	v_and_b32_e32 v1, 0xff, v1
	s_wait_xcnt 0x0
	s_delay_alu instid0(VALU_DEP_1)
	v_cmpx_ne_u16_e32 0, v1
	s_cbranch_execz .LBB194_241
; %bb.234:                              ;   in Loop: Header=BB194_9 Depth=1
	v_mov_b64_e32 v[116:117], 0x80000000
	v_and_b32_e32 v1, 0xff, v0
	s_mov_b32 s29, exec_lo
	s_delay_alu instid0(VALU_DEP_1)
	v_cmpx_ne_u16_e32 0x80, v1
	s_cbranch_execz .LBB194_240
; %bb.235:                              ;   in Loop: Header=BB194_9 Depth=1
	v_mov_b64_e32 v[116:117], 0x7f800001
	v_and_b32_e32 v2, 0x7f, v0
	s_mov_b32 s30, exec_lo
	s_delay_alu instid0(VALU_DEP_1)
	v_cmpx_ne_u32_e32 0x7f, v2
	s_cbranch_execz .LBB194_239
; %bb.236:                              ;   in Loop: Header=BB194_9 Depth=1
	v_dual_lshrrev_b32 v1, 3, v2 :: v_dual_bitop2_b32 v50, 7, v0 bitop3:0x40
	s_mov_b32 s31, exec_lo
	v_cmpx_gt_u32_e32 8, v2
; %bb.237:                              ;   in Loop: Header=BB194_9 Depth=1
	s_delay_alu instid0(VALU_DEP_2) | instskip(NEXT) | instid1(VALU_DEP_1)
	v_clz_i32_u32_e32 v1, v50
	v_min_u32_e32 v1, 32, v1
	s_delay_alu instid0(VALU_DEP_1) | instskip(NEXT) | instid1(VALU_DEP_1)
	v_subrev_nc_u32_e32 v2, 28, v1
	v_lshlrev_b64_e32 v[2:3], v2, v[50:51]
	s_delay_alu instid0(VALU_DEP_1)
	v_dual_sub_nc_u32 v1, 29, v1 :: v_dual_bitop2_b32 v50, 7, v2 bitop3:0x40
; %bb.238:                              ;   in Loop: Header=BB194_9 Depth=1
	s_or_b32 exec_lo, exec_lo, s31
	s_delay_alu instid0(VALU_DEP_1) | instskip(NEXT) | instid1(VALU_DEP_2)
	v_dual_lshlrev_b32 v2, 24, v0 :: v_dual_lshlrev_b32 v3, 20, v50
	v_lshl_add_u32 v1, v1, 23, 0x3c000000
	s_delay_alu instid0(VALU_DEP_2) | instskip(NEXT) | instid1(VALU_DEP_1)
	v_and_b32_e32 v2, 0x80000000, v2
	v_or3_b32 v50, v3, v2, v1
	s_delay_alu instid0(VALU_DEP_1)
	v_mov_b64_e32 v[116:117], v[50:51]
.LBB194_239:                            ;   in Loop: Header=BB194_9 Depth=1
	s_or_b32 exec_lo, exec_lo, s30
.LBB194_240:                            ;   in Loop: Header=BB194_9 Depth=1
	s_delay_alu instid0(SALU_CYCLE_1)
	s_or_b32 exec_lo, exec_lo, s29
.LBB194_241:                            ;   in Loop: Header=BB194_9 Depth=1
	s_delay_alu instid0(SALU_CYCLE_1) | instskip(SKIP_2) | instid1(VALU_DEP_1)
	s_or_b32 exec_lo, exec_lo, s28
	v_lshrrev_b16 v1, 8, v0
	s_mov_b32 s28, exec_lo
	v_cmpx_ne_u16_e32 0, v1
	s_cbranch_execz .LBB194_249
; %bb.242:                              ;   in Loop: Header=BB194_9 Depth=1
	v_mov_b64_e32 v[114:115], 0x8000000000000000
	s_mov_b32 s29, exec_lo
	v_cmpx_ne_u16_e32 0x80, v1
	s_cbranch_execz .LBB194_248
; %bb.243:                              ;   in Loop: Header=BB194_9 Depth=1
	v_and_b32_e32 v1, 0xffff, v1
	v_mov_b64_e32 v[114:115], 0x7f80000100000000
	s_mov_b32 s30, exec_lo
	s_delay_alu instid0(VALU_DEP_2) | instskip(NEXT) | instid1(VALU_DEP_1)
	v_and_b32_e32 v2, 0x7f, v1
	v_cmpx_ne_u32_e32 0x7f, v2
	s_cbranch_execz .LBB194_247
; %bb.244:                              ;   in Loop: Header=BB194_9 Depth=1
	v_dual_lshrrev_b32 v1, 3, v2 :: v_dual_bitop2_b32 v50, 7, v1 bitop3:0x40
	s_mov_b32 s31, exec_lo
	v_cmpx_gt_u32_e32 8, v2
; %bb.245:                              ;   in Loop: Header=BB194_9 Depth=1
	s_delay_alu instid0(VALU_DEP_2) | instskip(NEXT) | instid1(VALU_DEP_1)
	v_clz_i32_u32_e32 v1, v50
	v_min_u32_e32 v1, 32, v1
	s_delay_alu instid0(VALU_DEP_1) | instskip(NEXT) | instid1(VALU_DEP_1)
	v_subrev_nc_u32_e32 v2, 28, v1
	v_lshlrev_b64_e32 v[2:3], v2, v[50:51]
	s_delay_alu instid0(VALU_DEP_1)
	v_dual_sub_nc_u32 v1, 29, v1 :: v_dual_bitop2_b32 v50, 7, v2 bitop3:0x40
; %bb.246:                              ;   in Loop: Header=BB194_9 Depth=1
	s_or_b32 exec_lo, exec_lo, s31
	s_delay_alu instid0(VALU_DEP_1) | instskip(NEXT) | instid1(VALU_DEP_2)
	v_dual_lshlrev_b32 v0, 16, v0 :: v_dual_lshlrev_b32 v2, 20, v50
	v_lshl_add_u32 v1, v1, 23, 0x3c000000
	v_mov_b32_e32 v114, v51
	s_delay_alu instid0(VALU_DEP_3) | instskip(NEXT) | instid1(VALU_DEP_1)
	v_and_b32_e32 v0, 0x80000000, v0
	v_or3_b32 v115, v2, v0, v1
.LBB194_247:                            ;   in Loop: Header=BB194_9 Depth=1
	s_or_b32 exec_lo, exec_lo, s30
.LBB194_248:                            ;   in Loop: Header=BB194_9 Depth=1
	s_delay_alu instid0(SALU_CYCLE_1)
	s_or_b32 exec_lo, exec_lo, s29
.LBB194_249:                            ;   in Loop: Header=BB194_9 Depth=1
	s_delay_alu instid0(SALU_CYCLE_1)
	s_or_b32 exec_lo, exec_lo, s28
	global_load_u16 v1, v[64:65], off offset:780
	v_mov_b64_e32 v[118:119], 0
	v_mov_b64_e32 v[120:121], 0
	s_mov_b32 s28, exec_lo
	s_wait_loadcnt 0x0
	v_and_b32_e32 v0, 0xffff, v1
	v_and_b32_e32 v1, 0xff, v1
	s_wait_xcnt 0x0
	s_delay_alu instid0(VALU_DEP_1)
	v_cmpx_ne_u16_e32 0, v1
	s_cbranch_execz .LBB194_257
; %bb.250:                              ;   in Loop: Header=BB194_9 Depth=1
	v_mov_b64_e32 v[120:121], 0x80000000
	v_and_b32_e32 v1, 0xff, v0
	s_mov_b32 s29, exec_lo
	s_delay_alu instid0(VALU_DEP_1)
	v_cmpx_ne_u16_e32 0x80, v1
	s_cbranch_execz .LBB194_256
; %bb.251:                              ;   in Loop: Header=BB194_9 Depth=1
	v_mov_b64_e32 v[120:121], 0x7f800001
	v_and_b32_e32 v2, 0x7f, v0
	s_mov_b32 s30, exec_lo
	s_delay_alu instid0(VALU_DEP_1)
	v_cmpx_ne_u32_e32 0x7f, v2
	s_cbranch_execz .LBB194_255
; %bb.252:                              ;   in Loop: Header=BB194_9 Depth=1
	v_dual_lshrrev_b32 v1, 3, v2 :: v_dual_bitop2_b32 v50, 7, v0 bitop3:0x40
	s_mov_b32 s31, exec_lo
	v_cmpx_gt_u32_e32 8, v2
; %bb.253:                              ;   in Loop: Header=BB194_9 Depth=1
	s_delay_alu instid0(VALU_DEP_2) | instskip(NEXT) | instid1(VALU_DEP_1)
	v_clz_i32_u32_e32 v1, v50
	v_min_u32_e32 v1, 32, v1
	s_delay_alu instid0(VALU_DEP_1) | instskip(NEXT) | instid1(VALU_DEP_1)
	v_subrev_nc_u32_e32 v2, 28, v1
	v_lshlrev_b64_e32 v[2:3], v2, v[50:51]
	s_delay_alu instid0(VALU_DEP_1)
	v_dual_sub_nc_u32 v1, 29, v1 :: v_dual_bitop2_b32 v50, 7, v2 bitop3:0x40
; %bb.254:                              ;   in Loop: Header=BB194_9 Depth=1
	s_or_b32 exec_lo, exec_lo, s31
	s_delay_alu instid0(VALU_DEP_1) | instskip(NEXT) | instid1(VALU_DEP_2)
	v_dual_lshlrev_b32 v2, 24, v0 :: v_dual_lshlrev_b32 v3, 20, v50
	v_lshl_add_u32 v1, v1, 23, 0x3c000000
	s_delay_alu instid0(VALU_DEP_2) | instskip(NEXT) | instid1(VALU_DEP_1)
	v_and_b32_e32 v2, 0x80000000, v2
	v_or3_b32 v50, v3, v2, v1
	s_delay_alu instid0(VALU_DEP_1)
	v_mov_b64_e32 v[120:121], v[50:51]
.LBB194_255:                            ;   in Loop: Header=BB194_9 Depth=1
	s_or_b32 exec_lo, exec_lo, s30
.LBB194_256:                            ;   in Loop: Header=BB194_9 Depth=1
	s_delay_alu instid0(SALU_CYCLE_1)
	s_or_b32 exec_lo, exec_lo, s29
.LBB194_257:                            ;   in Loop: Header=BB194_9 Depth=1
	s_delay_alu instid0(SALU_CYCLE_1) | instskip(SKIP_2) | instid1(VALU_DEP_1)
	s_or_b32 exec_lo, exec_lo, s28
	v_lshrrev_b16 v1, 8, v0
	s_mov_b32 s28, exec_lo
	v_cmpx_ne_u16_e32 0, v1
	s_cbranch_execz .LBB194_265
; %bb.258:                              ;   in Loop: Header=BB194_9 Depth=1
	v_mov_b64_e32 v[118:119], 0x8000000000000000
	s_mov_b32 s29, exec_lo
	v_cmpx_ne_u16_e32 0x80, v1
	s_cbranch_execz .LBB194_264
; %bb.259:                              ;   in Loop: Header=BB194_9 Depth=1
	v_and_b32_e32 v1, 0xffff, v1
	v_mov_b64_e32 v[118:119], 0x7f80000100000000
	s_mov_b32 s30, exec_lo
	s_delay_alu instid0(VALU_DEP_2) | instskip(NEXT) | instid1(VALU_DEP_1)
	v_and_b32_e32 v2, 0x7f, v1
	v_cmpx_ne_u32_e32 0x7f, v2
	s_cbranch_execz .LBB194_263
; %bb.260:                              ;   in Loop: Header=BB194_9 Depth=1
	v_dual_lshrrev_b32 v1, 3, v2 :: v_dual_bitop2_b32 v50, 7, v1 bitop3:0x40
	s_mov_b32 s31, exec_lo
	v_cmpx_gt_u32_e32 8, v2
; %bb.261:                              ;   in Loop: Header=BB194_9 Depth=1
	s_delay_alu instid0(VALU_DEP_2) | instskip(NEXT) | instid1(VALU_DEP_1)
	v_clz_i32_u32_e32 v1, v50
	v_min_u32_e32 v1, 32, v1
	s_delay_alu instid0(VALU_DEP_1) | instskip(NEXT) | instid1(VALU_DEP_1)
	v_subrev_nc_u32_e32 v2, 28, v1
	v_lshlrev_b64_e32 v[2:3], v2, v[50:51]
	s_delay_alu instid0(VALU_DEP_1)
	v_dual_sub_nc_u32 v1, 29, v1 :: v_dual_bitop2_b32 v50, 7, v2 bitop3:0x40
; %bb.262:                              ;   in Loop: Header=BB194_9 Depth=1
	s_or_b32 exec_lo, exec_lo, s31
	s_delay_alu instid0(VALU_DEP_1) | instskip(NEXT) | instid1(VALU_DEP_2)
	v_dual_lshlrev_b32 v0, 16, v0 :: v_dual_lshlrev_b32 v2, 20, v50
	v_lshl_add_u32 v1, v1, 23, 0x3c000000
	v_mov_b32_e32 v118, v51
	s_delay_alu instid0(VALU_DEP_3) | instskip(NEXT) | instid1(VALU_DEP_1)
	v_and_b32_e32 v0, 0x80000000, v0
	v_or3_b32 v119, v2, v0, v1
.LBB194_263:                            ;   in Loop: Header=BB194_9 Depth=1
	s_or_b32 exec_lo, exec_lo, s30
.LBB194_264:                            ;   in Loop: Header=BB194_9 Depth=1
	s_delay_alu instid0(SALU_CYCLE_1)
	s_or_b32 exec_lo, exec_lo, s29
.LBB194_265:                            ;   in Loop: Header=BB194_9 Depth=1
	s_delay_alu instid0(SALU_CYCLE_1)
	s_or_b32 exec_lo, exec_lo, s28
	global_load_u16 v1, v[64:65], off offset:1024
	v_mov_b64_e32 v[122:123], 0
	v_mov_b64_e32 v[124:125], 0
	s_mov_b32 s28, exec_lo
	s_wait_loadcnt 0x0
	v_and_b32_e32 v0, 0xffff, v1
	v_and_b32_e32 v1, 0xff, v1
	s_wait_xcnt 0x0
	s_delay_alu instid0(VALU_DEP_1)
	v_cmpx_ne_u16_e32 0, v1
	s_cbranch_execz .LBB194_273
; %bb.266:                              ;   in Loop: Header=BB194_9 Depth=1
	v_mov_b64_e32 v[124:125], 0x80000000
	v_and_b32_e32 v1, 0xff, v0
	s_mov_b32 s29, exec_lo
	s_delay_alu instid0(VALU_DEP_1)
	v_cmpx_ne_u16_e32 0x80, v1
	s_cbranch_execz .LBB194_272
; %bb.267:                              ;   in Loop: Header=BB194_9 Depth=1
	v_mov_b64_e32 v[124:125], 0x7f800001
	v_and_b32_e32 v2, 0x7f, v0
	s_mov_b32 s30, exec_lo
	s_delay_alu instid0(VALU_DEP_1)
	v_cmpx_ne_u32_e32 0x7f, v2
	s_cbranch_execz .LBB194_271
; %bb.268:                              ;   in Loop: Header=BB194_9 Depth=1
	v_dual_lshrrev_b32 v1, 3, v2 :: v_dual_bitop2_b32 v50, 7, v0 bitop3:0x40
	s_mov_b32 s31, exec_lo
	v_cmpx_gt_u32_e32 8, v2
; %bb.269:                              ;   in Loop: Header=BB194_9 Depth=1
	s_delay_alu instid0(VALU_DEP_2) | instskip(NEXT) | instid1(VALU_DEP_1)
	v_clz_i32_u32_e32 v1, v50
	v_min_u32_e32 v1, 32, v1
	s_delay_alu instid0(VALU_DEP_1) | instskip(NEXT) | instid1(VALU_DEP_1)
	v_subrev_nc_u32_e32 v2, 28, v1
	v_lshlrev_b64_e32 v[2:3], v2, v[50:51]
	s_delay_alu instid0(VALU_DEP_1)
	v_dual_sub_nc_u32 v1, 29, v1 :: v_dual_bitop2_b32 v50, 7, v2 bitop3:0x40
; %bb.270:                              ;   in Loop: Header=BB194_9 Depth=1
	s_or_b32 exec_lo, exec_lo, s31
	s_delay_alu instid0(VALU_DEP_1) | instskip(NEXT) | instid1(VALU_DEP_2)
	v_dual_lshlrev_b32 v2, 24, v0 :: v_dual_lshlrev_b32 v3, 20, v50
	v_lshl_add_u32 v1, v1, 23, 0x3c000000
	s_delay_alu instid0(VALU_DEP_2) | instskip(NEXT) | instid1(VALU_DEP_1)
	v_and_b32_e32 v2, 0x80000000, v2
	v_or3_b32 v50, v3, v2, v1
	s_delay_alu instid0(VALU_DEP_1)
	v_mov_b64_e32 v[124:125], v[50:51]
.LBB194_271:                            ;   in Loop: Header=BB194_9 Depth=1
	s_or_b32 exec_lo, exec_lo, s30
.LBB194_272:                            ;   in Loop: Header=BB194_9 Depth=1
	s_delay_alu instid0(SALU_CYCLE_1)
	s_or_b32 exec_lo, exec_lo, s29
.LBB194_273:                            ;   in Loop: Header=BB194_9 Depth=1
	s_delay_alu instid0(SALU_CYCLE_1) | instskip(SKIP_2) | instid1(VALU_DEP_1)
	s_or_b32 exec_lo, exec_lo, s28
	v_lshrrev_b16 v1, 8, v0
	s_mov_b32 s28, exec_lo
	v_cmpx_ne_u16_e32 0, v1
	s_cbranch_execz .LBB194_281
; %bb.274:                              ;   in Loop: Header=BB194_9 Depth=1
	v_mov_b64_e32 v[122:123], 0x8000000000000000
	s_mov_b32 s29, exec_lo
	v_cmpx_ne_u16_e32 0x80, v1
	s_cbranch_execz .LBB194_280
; %bb.275:                              ;   in Loop: Header=BB194_9 Depth=1
	v_and_b32_e32 v1, 0xffff, v1
	v_mov_b64_e32 v[122:123], 0x7f80000100000000
	s_mov_b32 s30, exec_lo
	s_delay_alu instid0(VALU_DEP_2) | instskip(NEXT) | instid1(VALU_DEP_1)
	v_and_b32_e32 v2, 0x7f, v1
	v_cmpx_ne_u32_e32 0x7f, v2
	s_cbranch_execz .LBB194_279
; %bb.276:                              ;   in Loop: Header=BB194_9 Depth=1
	v_dual_lshrrev_b32 v1, 3, v2 :: v_dual_bitop2_b32 v50, 7, v1 bitop3:0x40
	s_mov_b32 s31, exec_lo
	v_cmpx_gt_u32_e32 8, v2
; %bb.277:                              ;   in Loop: Header=BB194_9 Depth=1
	s_delay_alu instid0(VALU_DEP_2) | instskip(NEXT) | instid1(VALU_DEP_1)
	v_clz_i32_u32_e32 v1, v50
	v_min_u32_e32 v1, 32, v1
	s_delay_alu instid0(VALU_DEP_1) | instskip(NEXT) | instid1(VALU_DEP_1)
	v_subrev_nc_u32_e32 v2, 28, v1
	v_lshlrev_b64_e32 v[2:3], v2, v[50:51]
	s_delay_alu instid0(VALU_DEP_1)
	v_dual_sub_nc_u32 v1, 29, v1 :: v_dual_bitop2_b32 v50, 7, v2 bitop3:0x40
; %bb.278:                              ;   in Loop: Header=BB194_9 Depth=1
	s_or_b32 exec_lo, exec_lo, s31
	s_delay_alu instid0(VALU_DEP_1) | instskip(NEXT) | instid1(VALU_DEP_2)
	v_dual_lshlrev_b32 v0, 16, v0 :: v_dual_lshlrev_b32 v2, 20, v50
	v_lshl_add_u32 v1, v1, 23, 0x3c000000
	v_mov_b32_e32 v122, v51
	s_delay_alu instid0(VALU_DEP_3) | instskip(NEXT) | instid1(VALU_DEP_1)
	v_and_b32_e32 v0, 0x80000000, v0
	v_or3_b32 v123, v2, v0, v1
.LBB194_279:                            ;   in Loop: Header=BB194_9 Depth=1
	s_or_b32 exec_lo, exec_lo, s30
.LBB194_280:                            ;   in Loop: Header=BB194_9 Depth=1
	s_delay_alu instid0(SALU_CYCLE_1)
	s_or_b32 exec_lo, exec_lo, s29
.LBB194_281:                            ;   in Loop: Header=BB194_9 Depth=1
	s_delay_alu instid0(SALU_CYCLE_1)
	s_or_b32 exec_lo, exec_lo, s28
	global_load_u16 v1, v[64:65], off offset:1028
	v_mov_b64_e32 v[126:127], 0
	v_mov_b64_e32 v[52:53], 0
	s_mov_b32 s28, exec_lo
	s_wait_loadcnt 0x0
	v_and_b32_e32 v0, 0xffff, v1
	v_and_b32_e32 v1, 0xff, v1
	s_wait_xcnt 0x0
	s_delay_alu instid0(VALU_DEP_1)
	v_cmpx_ne_u16_e32 0, v1
	s_cbranch_execz .LBB194_289
; %bb.282:                              ;   in Loop: Header=BB194_9 Depth=1
	v_mov_b64_e32 v[52:53], 0x80000000
	v_and_b32_e32 v1, 0xff, v0
	s_mov_b32 s29, exec_lo
	s_delay_alu instid0(VALU_DEP_1)
	v_cmpx_ne_u16_e32 0x80, v1
	s_cbranch_execz .LBB194_288
; %bb.283:                              ;   in Loop: Header=BB194_9 Depth=1
	v_mov_b64_e32 v[52:53], 0x7f800001
	v_and_b32_e32 v2, 0x7f, v0
	s_mov_b32 s30, exec_lo
	s_delay_alu instid0(VALU_DEP_1)
	v_cmpx_ne_u32_e32 0x7f, v2
	s_cbranch_execz .LBB194_287
; %bb.284:                              ;   in Loop: Header=BB194_9 Depth=1
	v_dual_lshrrev_b32 v1, 3, v2 :: v_dual_bitop2_b32 v50, 7, v0 bitop3:0x40
	s_mov_b32 s31, exec_lo
	v_cmpx_gt_u32_e32 8, v2
; %bb.285:                              ;   in Loop: Header=BB194_9 Depth=1
	s_delay_alu instid0(VALU_DEP_2) | instskip(NEXT) | instid1(VALU_DEP_1)
	v_clz_i32_u32_e32 v1, v50
	v_min_u32_e32 v1, 32, v1
	s_delay_alu instid0(VALU_DEP_1) | instskip(NEXT) | instid1(VALU_DEP_1)
	v_subrev_nc_u32_e32 v2, 28, v1
	v_lshlrev_b64_e32 v[2:3], v2, v[50:51]
	s_delay_alu instid0(VALU_DEP_1)
	v_dual_sub_nc_u32 v1, 29, v1 :: v_dual_bitop2_b32 v50, 7, v2 bitop3:0x40
; %bb.286:                              ;   in Loop: Header=BB194_9 Depth=1
	s_or_b32 exec_lo, exec_lo, s31
	s_delay_alu instid0(VALU_DEP_1) | instskip(NEXT) | instid1(VALU_DEP_2)
	v_dual_lshlrev_b32 v2, 24, v0 :: v_dual_lshlrev_b32 v3, 20, v50
	v_lshl_add_u32 v1, v1, 23, 0x3c000000
	s_delay_alu instid0(VALU_DEP_2) | instskip(NEXT) | instid1(VALU_DEP_1)
	v_and_b32_e32 v2, 0x80000000, v2
	v_or3_b32 v50, v3, v2, v1
	s_delay_alu instid0(VALU_DEP_1)
	v_mov_b64_e32 v[52:53], v[50:51]
.LBB194_287:                            ;   in Loop: Header=BB194_9 Depth=1
	s_or_b32 exec_lo, exec_lo, s30
.LBB194_288:                            ;   in Loop: Header=BB194_9 Depth=1
	s_delay_alu instid0(SALU_CYCLE_1)
	s_or_b32 exec_lo, exec_lo, s29
.LBB194_289:                            ;   in Loop: Header=BB194_9 Depth=1
	s_delay_alu instid0(SALU_CYCLE_1) | instskip(SKIP_2) | instid1(VALU_DEP_1)
	s_or_b32 exec_lo, exec_lo, s28
	v_lshrrev_b16 v1, 8, v0
	s_mov_b32 s28, exec_lo
	v_cmpx_ne_u16_e32 0, v1
	s_cbranch_execz .LBB194_297
; %bb.290:                              ;   in Loop: Header=BB194_9 Depth=1
	v_mov_b64_e32 v[126:127], 0x8000000000000000
	s_mov_b32 s29, exec_lo
	v_cmpx_ne_u16_e32 0x80, v1
	s_cbranch_execz .LBB194_296
; %bb.291:                              ;   in Loop: Header=BB194_9 Depth=1
	v_and_b32_e32 v1, 0xffff, v1
	v_mov_b64_e32 v[126:127], 0x7f80000100000000
	s_mov_b32 s30, exec_lo
	s_delay_alu instid0(VALU_DEP_2) | instskip(NEXT) | instid1(VALU_DEP_1)
	v_and_b32_e32 v2, 0x7f, v1
	v_cmpx_ne_u32_e32 0x7f, v2
	s_cbranch_execz .LBB194_295
; %bb.292:                              ;   in Loop: Header=BB194_9 Depth=1
	v_dual_lshrrev_b32 v1, 3, v2 :: v_dual_bitop2_b32 v50, 7, v1 bitop3:0x40
	s_mov_b32 s31, exec_lo
	v_cmpx_gt_u32_e32 8, v2
; %bb.293:                              ;   in Loop: Header=BB194_9 Depth=1
	s_delay_alu instid0(VALU_DEP_2) | instskip(NEXT) | instid1(VALU_DEP_1)
	v_clz_i32_u32_e32 v1, v50
	v_min_u32_e32 v1, 32, v1
	s_delay_alu instid0(VALU_DEP_1) | instskip(NEXT) | instid1(VALU_DEP_1)
	v_subrev_nc_u32_e32 v2, 28, v1
	v_lshlrev_b64_e32 v[2:3], v2, v[50:51]
	s_delay_alu instid0(VALU_DEP_1)
	v_dual_sub_nc_u32 v1, 29, v1 :: v_dual_bitop2_b32 v50, 7, v2 bitop3:0x40
; %bb.294:                              ;   in Loop: Header=BB194_9 Depth=1
	s_or_b32 exec_lo, exec_lo, s31
	s_delay_alu instid0(VALU_DEP_1) | instskip(NEXT) | instid1(VALU_DEP_2)
	v_dual_lshlrev_b32 v0, 16, v0 :: v_dual_lshlrev_b32 v2, 20, v50
	v_lshl_add_u32 v1, v1, 23, 0x3c000000
	v_mov_b32_e32 v126, v51
	s_delay_alu instid0(VALU_DEP_3) | instskip(NEXT) | instid1(VALU_DEP_1)
	v_and_b32_e32 v0, 0x80000000, v0
	v_or3_b32 v127, v2, v0, v1
.LBB194_295:                            ;   in Loop: Header=BB194_9 Depth=1
	s_or_b32 exec_lo, exec_lo, s30
.LBB194_296:                            ;   in Loop: Header=BB194_9 Depth=1
	s_delay_alu instid0(SALU_CYCLE_1)
	s_or_b32 exec_lo, exec_lo, s29
.LBB194_297:                            ;   in Loop: Header=BB194_9 Depth=1
	s_delay_alu instid0(SALU_CYCLE_1)
	s_or_b32 exec_lo, exec_lo, s28
	global_load_u16 v0, v[64:65], off offset:1032
	v_mov_b64_e32 v[2:3], 0
	s_wait_loadcnt 0x0
	v_and_b32_e32 v4, 0xffff, v0
	v_and_b32_e32 v0, 0xff, v0
	s_delay_alu instid0(VALU_DEP_1)
	v_cmp_ne_u16_e64 s4, 0, v0
	v_mov_b64_e32 v[0:1], 0
	s_wait_xcnt 0x0
	s_and_saveexec_b32 s28, s4
	s_cbranch_execz .LBB194_305
; %bb.298:                              ;   in Loop: Header=BB194_9 Depth=1
	v_and_b32_e32 v2, 0xff, v4
	s_delay_alu instid0(VALU_DEP_1)
	v_cmp_ne_u16_e64 s4, 0x80, v2
	v_mov_b64_e32 v[2:3], 0x80000000
	s_and_saveexec_b32 s29, s4
	s_cbranch_execz .LBB194_304
; %bb.299:                              ;   in Loop: Header=BB194_9 Depth=1
	v_mov_b64_e32 v[2:3], 0x7f800001
	v_and_b32_e32 v5, 0x7f, v4
	s_mov_b32 s30, exec_lo
	s_delay_alu instid0(VALU_DEP_1)
	v_cmpx_ne_u32_e32 0x7f, v5
	s_cbranch_execz .LBB194_303
; %bb.300:                              ;   in Loop: Header=BB194_9 Depth=1
	v_dual_lshrrev_b32 v2, 3, v5 :: v_dual_bitop2_b32 v50, 7, v4 bitop3:0x40
	s_mov_b32 s31, exec_lo
	v_cmpx_gt_u32_e32 8, v5
; %bb.301:                              ;   in Loop: Header=BB194_9 Depth=1
	s_delay_alu instid0(VALU_DEP_2) | instskip(NEXT) | instid1(VALU_DEP_1)
	v_clz_i32_u32_e32 v2, v50
	v_min_u32_e32 v2, 32, v2
	s_delay_alu instid0(VALU_DEP_1) | instskip(SKIP_1) | instid1(VALU_DEP_2)
	v_subrev_nc_u32_e32 v3, 28, v2
	v_sub_nc_u32_e32 v2, 29, v2
	v_lshlrev_b64_e32 v[6:7], v3, v[50:51]
	s_delay_alu instid0(VALU_DEP_1)
	v_and_b32_e32 v50, 7, v6
; %bb.302:                              ;   in Loop: Header=BB194_9 Depth=1
	s_or_b32 exec_lo, exec_lo, s31
	s_delay_alu instid0(VALU_DEP_1) | instskip(SKIP_1) | instid1(VALU_DEP_2)
	v_dual_lshlrev_b32 v3, 24, v4 :: v_dual_lshlrev_b32 v5, 20, v50
	v_lshl_add_u32 v2, v2, 23, 0x3c000000
	v_and_b32_e32 v3, 0x80000000, v3
	s_delay_alu instid0(VALU_DEP_1) | instskip(NEXT) | instid1(VALU_DEP_1)
	v_or3_b32 v50, v5, v3, v2
	v_mov_b64_e32 v[2:3], v[50:51]
.LBB194_303:                            ;   in Loop: Header=BB194_9 Depth=1
	s_or_b32 exec_lo, exec_lo, s30
.LBB194_304:                            ;   in Loop: Header=BB194_9 Depth=1
	s_delay_alu instid0(SALU_CYCLE_1)
	s_or_b32 exec_lo, exec_lo, s29
.LBB194_305:                            ;   in Loop: Header=BB194_9 Depth=1
	s_delay_alu instid0(SALU_CYCLE_1) | instskip(SKIP_2) | instid1(VALU_DEP_1)
	s_or_b32 exec_lo, exec_lo, s28
	v_lshrrev_b16 v5, 8, v4
	s_mov_b32 s28, exec_lo
	v_cmpx_ne_u16_e32 0, v5
	s_cbranch_execz .LBB194_313
; %bb.306:                              ;   in Loop: Header=BB194_9 Depth=1
	v_mov_b64_e32 v[0:1], 0x8000000000000000
	s_mov_b32 s29, exec_lo
	v_cmpx_ne_u16_e32 0x80, v5
	s_cbranch_execz .LBB194_312
; %bb.307:                              ;   in Loop: Header=BB194_9 Depth=1
	v_and_b32_e32 v6, 0xffff, v5
	v_mov_b64_e32 v[0:1], 0x7f80000100000000
	s_mov_b32 s30, exec_lo
	s_delay_alu instid0(VALU_DEP_2) | instskip(NEXT) | instid1(VALU_DEP_1)
	v_and_b32_e32 v5, 0x7f, v6
	v_cmpx_ne_u32_e32 0x7f, v5
	s_cbranch_execz .LBB194_311
; %bb.308:                              ;   in Loop: Header=BB194_9 Depth=1
	v_dual_lshrrev_b32 v0, 3, v5 :: v_dual_bitop2_b32 v50, 7, v6 bitop3:0x40
	s_mov_b32 s31, exec_lo
	v_cmpx_gt_u32_e32 8, v5
; %bb.309:                              ;   in Loop: Header=BB194_9 Depth=1
	s_delay_alu instid0(VALU_DEP_2) | instskip(NEXT) | instid1(VALU_DEP_1)
	v_clz_i32_u32_e32 v0, v50
	v_min_u32_e32 v0, 32, v0
	s_delay_alu instid0(VALU_DEP_1) | instskip(NEXT) | instid1(VALU_DEP_1)
	v_subrev_nc_u32_e32 v1, 28, v0
	v_lshlrev_b64_e32 v[6:7], v1, v[50:51]
	s_delay_alu instid0(VALU_DEP_1)
	v_dual_sub_nc_u32 v0, 29, v0 :: v_dual_bitop2_b32 v50, 7, v6 bitop3:0x40
; %bb.310:                              ;   in Loop: Header=BB194_9 Depth=1
	s_or_b32 exec_lo, exec_lo, s31
	s_delay_alu instid0(VALU_DEP_1) | instskip(NEXT) | instid1(VALU_DEP_2)
	v_dual_lshlrev_b32 v1, 16, v4 :: v_dual_lshlrev_b32 v4, 20, v50
	v_lshl_add_u32 v0, v0, 23, 0x3c000000
	s_delay_alu instid0(VALU_DEP_2) | instskip(NEXT) | instid1(VALU_DEP_1)
	v_and_b32_e32 v1, 0x80000000, v1
	v_or3_b32 v1, v4, v1, v0
	v_mov_b32_e32 v0, v51
.LBB194_311:                            ;   in Loop: Header=BB194_9 Depth=1
	s_or_b32 exec_lo, exec_lo, s30
.LBB194_312:                            ;   in Loop: Header=BB194_9 Depth=1
	s_delay_alu instid0(SALU_CYCLE_1)
	s_or_b32 exec_lo, exec_lo, s29
.LBB194_313:                            ;   in Loop: Header=BB194_9 Depth=1
	s_delay_alu instid0(SALU_CYCLE_1)
	s_or_b32 exec_lo, exec_lo, s28
	global_load_u16 v4, v[64:65], off offset:1036
	v_mov_b64_e32 v[6:7], 0
	s_wait_loadcnt 0x0
	v_and_b32_e32 v8, 0xffff, v4
	v_and_b32_e32 v4, 0xff, v4
	s_delay_alu instid0(VALU_DEP_1)
	v_cmp_ne_u16_e64 s4, 0, v4
	v_mov_b64_e32 v[4:5], 0
	s_wait_xcnt 0x0
	s_and_saveexec_b32 s28, s4
	s_cbranch_execz .LBB194_321
; %bb.314:                              ;   in Loop: Header=BB194_9 Depth=1
	v_and_b32_e32 v6, 0xff, v8
	s_delay_alu instid0(VALU_DEP_1)
	v_cmp_ne_u16_e64 s4, 0x80, v6
	v_mov_b64_e32 v[6:7], 0x80000000
	s_and_saveexec_b32 s29, s4
	s_cbranch_execz .LBB194_320
; %bb.315:                              ;   in Loop: Header=BB194_9 Depth=1
	v_mov_b64_e32 v[6:7], 0x7f800001
	v_and_b32_e32 v9, 0x7f, v8
	s_mov_b32 s30, exec_lo
	s_delay_alu instid0(VALU_DEP_1)
	v_cmpx_ne_u32_e32 0x7f, v9
	s_cbranch_execz .LBB194_319
; %bb.316:                              ;   in Loop: Header=BB194_9 Depth=1
	v_dual_lshrrev_b32 v6, 3, v9 :: v_dual_bitop2_b32 v50, 7, v8 bitop3:0x40
	s_mov_b32 s31, exec_lo
	v_cmpx_gt_u32_e32 8, v9
; %bb.317:                              ;   in Loop: Header=BB194_9 Depth=1
	s_delay_alu instid0(VALU_DEP_2) | instskip(NEXT) | instid1(VALU_DEP_1)
	v_clz_i32_u32_e32 v6, v50
	v_min_u32_e32 v6, 32, v6
	s_delay_alu instid0(VALU_DEP_1) | instskip(SKIP_1) | instid1(VALU_DEP_2)
	v_subrev_nc_u32_e32 v7, 28, v6
	v_sub_nc_u32_e32 v6, 29, v6
	v_lshlrev_b64_e32 v[10:11], v7, v[50:51]
	s_delay_alu instid0(VALU_DEP_1)
	v_and_b32_e32 v50, 7, v10
; %bb.318:                              ;   in Loop: Header=BB194_9 Depth=1
	s_or_b32 exec_lo, exec_lo, s31
	s_delay_alu instid0(VALU_DEP_1) | instskip(SKIP_1) | instid1(VALU_DEP_2)
	v_dual_lshlrev_b32 v7, 24, v8 :: v_dual_lshlrev_b32 v9, 20, v50
	v_lshl_add_u32 v6, v6, 23, 0x3c000000
	v_and_b32_e32 v7, 0x80000000, v7
	s_delay_alu instid0(VALU_DEP_1) | instskip(NEXT) | instid1(VALU_DEP_1)
	v_or3_b32 v50, v9, v7, v6
	v_mov_b64_e32 v[6:7], v[50:51]
.LBB194_319:                            ;   in Loop: Header=BB194_9 Depth=1
	s_or_b32 exec_lo, exec_lo, s30
.LBB194_320:                            ;   in Loop: Header=BB194_9 Depth=1
	s_delay_alu instid0(SALU_CYCLE_1)
	s_or_b32 exec_lo, exec_lo, s29
.LBB194_321:                            ;   in Loop: Header=BB194_9 Depth=1
	s_delay_alu instid0(SALU_CYCLE_1) | instskip(SKIP_2) | instid1(VALU_DEP_1)
	s_or_b32 exec_lo, exec_lo, s28
	v_lshrrev_b16 v9, 8, v8
	s_mov_b32 s28, exec_lo
	v_cmpx_ne_u16_e32 0, v9
	s_cbranch_execz .LBB194_329
; %bb.322:                              ;   in Loop: Header=BB194_9 Depth=1
	v_mov_b64_e32 v[4:5], 0x8000000000000000
	s_mov_b32 s29, exec_lo
	v_cmpx_ne_u16_e32 0x80, v9
	s_cbranch_execz .LBB194_328
; %bb.323:                              ;   in Loop: Header=BB194_9 Depth=1
	v_and_b32_e32 v10, 0xffff, v9
	v_mov_b64_e32 v[4:5], 0x7f80000100000000
	s_mov_b32 s30, exec_lo
	s_delay_alu instid0(VALU_DEP_2) | instskip(NEXT) | instid1(VALU_DEP_1)
	v_and_b32_e32 v9, 0x7f, v10
	v_cmpx_ne_u32_e32 0x7f, v9
	s_cbranch_execz .LBB194_327
; %bb.324:                              ;   in Loop: Header=BB194_9 Depth=1
	v_dual_lshrrev_b32 v4, 3, v9 :: v_dual_bitop2_b32 v50, 7, v10 bitop3:0x40
	s_mov_b32 s31, exec_lo
	v_cmpx_gt_u32_e32 8, v9
; %bb.325:                              ;   in Loop: Header=BB194_9 Depth=1
	s_delay_alu instid0(VALU_DEP_2) | instskip(NEXT) | instid1(VALU_DEP_1)
	v_clz_i32_u32_e32 v4, v50
	v_min_u32_e32 v4, 32, v4
	s_delay_alu instid0(VALU_DEP_1) | instskip(NEXT) | instid1(VALU_DEP_1)
	v_subrev_nc_u32_e32 v5, 28, v4
	v_lshlrev_b64_e32 v[10:11], v5, v[50:51]
	s_delay_alu instid0(VALU_DEP_1)
	v_dual_sub_nc_u32 v4, 29, v4 :: v_dual_bitop2_b32 v50, 7, v10 bitop3:0x40
; %bb.326:                              ;   in Loop: Header=BB194_9 Depth=1
	s_or_b32 exec_lo, exec_lo, s31
	s_delay_alu instid0(VALU_DEP_1) | instskip(NEXT) | instid1(VALU_DEP_2)
	v_dual_lshlrev_b32 v5, 16, v8 :: v_dual_lshlrev_b32 v8, 20, v50
	v_lshl_add_u32 v4, v4, 23, 0x3c000000
	s_delay_alu instid0(VALU_DEP_2) | instskip(NEXT) | instid1(VALU_DEP_1)
	v_and_b32_e32 v5, 0x80000000, v5
	v_or3_b32 v5, v8, v5, v4
	v_mov_b32_e32 v4, v51
.LBB194_327:                            ;   in Loop: Header=BB194_9 Depth=1
	s_or_b32 exec_lo, exec_lo, s30
.LBB194_328:                            ;   in Loop: Header=BB194_9 Depth=1
	s_delay_alu instid0(SALU_CYCLE_1)
	s_or_b32 exec_lo, exec_lo, s29
.LBB194_329:                            ;   in Loop: Header=BB194_9 Depth=1
	s_delay_alu instid0(SALU_CYCLE_1)
	s_or_b32 exec_lo, exec_lo, s28
	global_load_u16 v8, v[64:65], off offset:1280
	v_mov_b64_e32 v[10:11], 0
	s_wait_loadcnt 0x0
	v_and_b32_e32 v12, 0xffff, v8
	v_and_b32_e32 v8, 0xff, v8
	s_delay_alu instid0(VALU_DEP_1)
	v_cmp_ne_u16_e64 s4, 0, v8
	v_mov_b64_e32 v[8:9], 0
	s_wait_xcnt 0x0
	s_and_saveexec_b32 s28, s4
	s_cbranch_execz .LBB194_337
; %bb.330:                              ;   in Loop: Header=BB194_9 Depth=1
	v_and_b32_e32 v10, 0xff, v12
	s_delay_alu instid0(VALU_DEP_1)
	v_cmp_ne_u16_e64 s4, 0x80, v10
	v_mov_b64_e32 v[10:11], 0x80000000
	s_and_saveexec_b32 s29, s4
	s_cbranch_execz .LBB194_336
; %bb.331:                              ;   in Loop: Header=BB194_9 Depth=1
	v_mov_b64_e32 v[10:11], 0x7f800001
	v_and_b32_e32 v13, 0x7f, v12
	s_mov_b32 s30, exec_lo
	s_delay_alu instid0(VALU_DEP_1)
	v_cmpx_ne_u32_e32 0x7f, v13
	s_cbranch_execz .LBB194_335
; %bb.332:                              ;   in Loop: Header=BB194_9 Depth=1
	v_dual_lshrrev_b32 v10, 3, v13 :: v_dual_bitop2_b32 v50, 7, v12 bitop3:0x40
	s_mov_b32 s31, exec_lo
	v_cmpx_gt_u32_e32 8, v13
; %bb.333:                              ;   in Loop: Header=BB194_9 Depth=1
	s_delay_alu instid0(VALU_DEP_2) | instskip(NEXT) | instid1(VALU_DEP_1)
	v_clz_i32_u32_e32 v10, v50
	v_min_u32_e32 v10, 32, v10
	s_delay_alu instid0(VALU_DEP_1) | instskip(SKIP_1) | instid1(VALU_DEP_2)
	v_subrev_nc_u32_e32 v11, 28, v10
	v_sub_nc_u32_e32 v10, 29, v10
	v_lshlrev_b64_e32 v[14:15], v11, v[50:51]
	s_delay_alu instid0(VALU_DEP_1)
	v_and_b32_e32 v50, 7, v14
; %bb.334:                              ;   in Loop: Header=BB194_9 Depth=1
	s_or_b32 exec_lo, exec_lo, s31
	s_delay_alu instid0(VALU_DEP_1) | instskip(SKIP_1) | instid1(VALU_DEP_2)
	v_dual_lshlrev_b32 v11, 24, v12 :: v_dual_lshlrev_b32 v13, 20, v50
	v_lshl_add_u32 v10, v10, 23, 0x3c000000
	v_and_b32_e32 v11, 0x80000000, v11
	s_delay_alu instid0(VALU_DEP_1) | instskip(NEXT) | instid1(VALU_DEP_1)
	v_or3_b32 v50, v13, v11, v10
	v_mov_b64_e32 v[10:11], v[50:51]
.LBB194_335:                            ;   in Loop: Header=BB194_9 Depth=1
	s_or_b32 exec_lo, exec_lo, s30
.LBB194_336:                            ;   in Loop: Header=BB194_9 Depth=1
	s_delay_alu instid0(SALU_CYCLE_1)
	s_or_b32 exec_lo, exec_lo, s29
.LBB194_337:                            ;   in Loop: Header=BB194_9 Depth=1
	s_delay_alu instid0(SALU_CYCLE_1) | instskip(SKIP_2) | instid1(VALU_DEP_1)
	s_or_b32 exec_lo, exec_lo, s28
	v_lshrrev_b16 v13, 8, v12
	s_mov_b32 s28, exec_lo
	v_cmpx_ne_u16_e32 0, v13
	s_cbranch_execz .LBB194_345
; %bb.338:                              ;   in Loop: Header=BB194_9 Depth=1
	v_mov_b64_e32 v[8:9], 0x8000000000000000
	s_mov_b32 s29, exec_lo
	v_cmpx_ne_u16_e32 0x80, v13
	s_cbranch_execz .LBB194_344
; %bb.339:                              ;   in Loop: Header=BB194_9 Depth=1
	v_and_b32_e32 v14, 0xffff, v13
	v_mov_b64_e32 v[8:9], 0x7f80000100000000
	s_mov_b32 s30, exec_lo
	s_delay_alu instid0(VALU_DEP_2) | instskip(NEXT) | instid1(VALU_DEP_1)
	v_and_b32_e32 v13, 0x7f, v14
	v_cmpx_ne_u32_e32 0x7f, v13
	s_cbranch_execz .LBB194_343
; %bb.340:                              ;   in Loop: Header=BB194_9 Depth=1
	v_dual_lshrrev_b32 v8, 3, v13 :: v_dual_bitop2_b32 v50, 7, v14 bitop3:0x40
	s_mov_b32 s31, exec_lo
	v_cmpx_gt_u32_e32 8, v13
; %bb.341:                              ;   in Loop: Header=BB194_9 Depth=1
	s_delay_alu instid0(VALU_DEP_2) | instskip(NEXT) | instid1(VALU_DEP_1)
	v_clz_i32_u32_e32 v8, v50
	v_min_u32_e32 v8, 32, v8
	s_delay_alu instid0(VALU_DEP_1) | instskip(NEXT) | instid1(VALU_DEP_1)
	v_subrev_nc_u32_e32 v9, 28, v8
	v_lshlrev_b64_e32 v[14:15], v9, v[50:51]
	s_delay_alu instid0(VALU_DEP_1)
	v_dual_sub_nc_u32 v8, 29, v8 :: v_dual_bitop2_b32 v50, 7, v14 bitop3:0x40
; %bb.342:                              ;   in Loop: Header=BB194_9 Depth=1
	s_or_b32 exec_lo, exec_lo, s31
	s_delay_alu instid0(VALU_DEP_1) | instskip(NEXT) | instid1(VALU_DEP_2)
	v_dual_lshlrev_b32 v9, 16, v12 :: v_dual_lshlrev_b32 v12, 20, v50
	v_lshl_add_u32 v8, v8, 23, 0x3c000000
	s_delay_alu instid0(VALU_DEP_2) | instskip(NEXT) | instid1(VALU_DEP_1)
	v_and_b32_e32 v9, 0x80000000, v9
	v_or3_b32 v9, v12, v9, v8
	v_mov_b32_e32 v8, v51
.LBB194_343:                            ;   in Loop: Header=BB194_9 Depth=1
	s_or_b32 exec_lo, exec_lo, s30
.LBB194_344:                            ;   in Loop: Header=BB194_9 Depth=1
	s_delay_alu instid0(SALU_CYCLE_1)
	s_or_b32 exec_lo, exec_lo, s29
.LBB194_345:                            ;   in Loop: Header=BB194_9 Depth=1
	s_delay_alu instid0(SALU_CYCLE_1)
	s_or_b32 exec_lo, exec_lo, s28
	global_load_u16 v12, v[64:65], off offset:1284
	v_mov_b64_e32 v[14:15], 0
	s_wait_loadcnt 0x0
	v_and_b32_e32 v16, 0xffff, v12
	v_and_b32_e32 v12, 0xff, v12
	s_delay_alu instid0(VALU_DEP_1)
	v_cmp_ne_u16_e64 s4, 0, v12
	v_mov_b64_e32 v[12:13], 0
	s_wait_xcnt 0x0
	s_and_saveexec_b32 s28, s4
	s_cbranch_execz .LBB194_353
; %bb.346:                              ;   in Loop: Header=BB194_9 Depth=1
	v_and_b32_e32 v14, 0xff, v16
	s_delay_alu instid0(VALU_DEP_1)
	v_cmp_ne_u16_e64 s4, 0x80, v14
	v_mov_b64_e32 v[14:15], 0x80000000
	s_and_saveexec_b32 s29, s4
	s_cbranch_execz .LBB194_352
; %bb.347:                              ;   in Loop: Header=BB194_9 Depth=1
	v_mov_b64_e32 v[14:15], 0x7f800001
	v_and_b32_e32 v17, 0x7f, v16
	s_mov_b32 s30, exec_lo
	s_delay_alu instid0(VALU_DEP_1)
	v_cmpx_ne_u32_e32 0x7f, v17
	s_cbranch_execz .LBB194_351
; %bb.348:                              ;   in Loop: Header=BB194_9 Depth=1
	v_dual_lshrrev_b32 v14, 3, v17 :: v_dual_bitop2_b32 v50, 7, v16 bitop3:0x40
	s_mov_b32 s31, exec_lo
	v_cmpx_gt_u32_e32 8, v17
; %bb.349:                              ;   in Loop: Header=BB194_9 Depth=1
	s_delay_alu instid0(VALU_DEP_2) | instskip(NEXT) | instid1(VALU_DEP_1)
	v_clz_i32_u32_e32 v14, v50
	v_min_u32_e32 v14, 32, v14
	s_delay_alu instid0(VALU_DEP_1) | instskip(SKIP_1) | instid1(VALU_DEP_2)
	v_subrev_nc_u32_e32 v15, 28, v14
	v_sub_nc_u32_e32 v14, 29, v14
	v_lshlrev_b64_e32 v[18:19], v15, v[50:51]
	s_delay_alu instid0(VALU_DEP_1)
	v_and_b32_e32 v50, 7, v18
; %bb.350:                              ;   in Loop: Header=BB194_9 Depth=1
	s_or_b32 exec_lo, exec_lo, s31
	s_delay_alu instid0(VALU_DEP_1) | instskip(SKIP_1) | instid1(VALU_DEP_2)
	v_dual_lshlrev_b32 v15, 24, v16 :: v_dual_lshlrev_b32 v17, 20, v50
	v_lshl_add_u32 v14, v14, 23, 0x3c000000
	v_and_b32_e32 v15, 0x80000000, v15
	s_delay_alu instid0(VALU_DEP_1) | instskip(NEXT) | instid1(VALU_DEP_1)
	v_or3_b32 v50, v17, v15, v14
	v_mov_b64_e32 v[14:15], v[50:51]
.LBB194_351:                            ;   in Loop: Header=BB194_9 Depth=1
	s_or_b32 exec_lo, exec_lo, s30
.LBB194_352:                            ;   in Loop: Header=BB194_9 Depth=1
	s_delay_alu instid0(SALU_CYCLE_1)
	s_or_b32 exec_lo, exec_lo, s29
.LBB194_353:                            ;   in Loop: Header=BB194_9 Depth=1
	s_delay_alu instid0(SALU_CYCLE_1) | instskip(SKIP_2) | instid1(VALU_DEP_1)
	s_or_b32 exec_lo, exec_lo, s28
	v_lshrrev_b16 v17, 8, v16
	s_mov_b32 s28, exec_lo
	v_cmpx_ne_u16_e32 0, v17
	s_cbranch_execz .LBB194_361
; %bb.354:                              ;   in Loop: Header=BB194_9 Depth=1
	v_mov_b64_e32 v[12:13], 0x8000000000000000
	s_mov_b32 s29, exec_lo
	v_cmpx_ne_u16_e32 0x80, v17
	s_cbranch_execz .LBB194_360
; %bb.355:                              ;   in Loop: Header=BB194_9 Depth=1
	v_and_b32_e32 v18, 0xffff, v17
	v_mov_b64_e32 v[12:13], 0x7f80000100000000
	s_mov_b32 s30, exec_lo
	s_delay_alu instid0(VALU_DEP_2) | instskip(NEXT) | instid1(VALU_DEP_1)
	v_and_b32_e32 v17, 0x7f, v18
	v_cmpx_ne_u32_e32 0x7f, v17
	s_cbranch_execz .LBB194_359
; %bb.356:                              ;   in Loop: Header=BB194_9 Depth=1
	v_dual_lshrrev_b32 v12, 3, v17 :: v_dual_bitop2_b32 v50, 7, v18 bitop3:0x40
	s_mov_b32 s31, exec_lo
	v_cmpx_gt_u32_e32 8, v17
; %bb.357:                              ;   in Loop: Header=BB194_9 Depth=1
	s_delay_alu instid0(VALU_DEP_2) | instskip(NEXT) | instid1(VALU_DEP_1)
	v_clz_i32_u32_e32 v12, v50
	v_min_u32_e32 v12, 32, v12
	s_delay_alu instid0(VALU_DEP_1) | instskip(NEXT) | instid1(VALU_DEP_1)
	v_subrev_nc_u32_e32 v13, 28, v12
	v_lshlrev_b64_e32 v[18:19], v13, v[50:51]
	s_delay_alu instid0(VALU_DEP_1)
	v_dual_sub_nc_u32 v12, 29, v12 :: v_dual_bitop2_b32 v50, 7, v18 bitop3:0x40
; %bb.358:                              ;   in Loop: Header=BB194_9 Depth=1
	s_or_b32 exec_lo, exec_lo, s31
	s_delay_alu instid0(VALU_DEP_1) | instskip(NEXT) | instid1(VALU_DEP_2)
	v_dual_lshlrev_b32 v13, 16, v16 :: v_dual_lshlrev_b32 v16, 20, v50
	v_lshl_add_u32 v12, v12, 23, 0x3c000000
	s_delay_alu instid0(VALU_DEP_2) | instskip(NEXT) | instid1(VALU_DEP_1)
	v_and_b32_e32 v13, 0x80000000, v13
	v_or3_b32 v13, v16, v13, v12
	v_mov_b32_e32 v12, v51
.LBB194_359:                            ;   in Loop: Header=BB194_9 Depth=1
	s_or_b32 exec_lo, exec_lo, s30
.LBB194_360:                            ;   in Loop: Header=BB194_9 Depth=1
	s_delay_alu instid0(SALU_CYCLE_1)
	s_or_b32 exec_lo, exec_lo, s29
.LBB194_361:                            ;   in Loop: Header=BB194_9 Depth=1
	s_delay_alu instid0(SALU_CYCLE_1)
	s_or_b32 exec_lo, exec_lo, s28
	global_load_u16 v16, v[64:65], off offset:1288
	v_mov_b64_e32 v[18:19], 0
	s_wait_loadcnt 0x0
	v_and_b32_e32 v20, 0xffff, v16
	v_and_b32_e32 v16, 0xff, v16
	s_delay_alu instid0(VALU_DEP_1)
	v_cmp_ne_u16_e64 s4, 0, v16
	v_mov_b64_e32 v[16:17], 0
	s_wait_xcnt 0x0
	s_and_saveexec_b32 s28, s4
	s_cbranch_execz .LBB194_369
; %bb.362:                              ;   in Loop: Header=BB194_9 Depth=1
	v_and_b32_e32 v18, 0xff, v20
	s_delay_alu instid0(VALU_DEP_1)
	v_cmp_ne_u16_e64 s4, 0x80, v18
	v_mov_b64_e32 v[18:19], 0x80000000
	s_and_saveexec_b32 s29, s4
	s_cbranch_execz .LBB194_368
; %bb.363:                              ;   in Loop: Header=BB194_9 Depth=1
	v_mov_b64_e32 v[18:19], 0x7f800001
	v_and_b32_e32 v21, 0x7f, v20
	s_mov_b32 s30, exec_lo
	s_delay_alu instid0(VALU_DEP_1)
	v_cmpx_ne_u32_e32 0x7f, v21
	s_cbranch_execz .LBB194_367
; %bb.364:                              ;   in Loop: Header=BB194_9 Depth=1
	v_dual_lshrrev_b32 v18, 3, v21 :: v_dual_bitop2_b32 v50, 7, v20 bitop3:0x40
	s_mov_b32 s31, exec_lo
	v_cmpx_gt_u32_e32 8, v21
; %bb.365:                              ;   in Loop: Header=BB194_9 Depth=1
	s_delay_alu instid0(VALU_DEP_2) | instskip(NEXT) | instid1(VALU_DEP_1)
	v_clz_i32_u32_e32 v18, v50
	v_min_u32_e32 v18, 32, v18
	s_delay_alu instid0(VALU_DEP_1) | instskip(SKIP_1) | instid1(VALU_DEP_2)
	v_subrev_nc_u32_e32 v19, 28, v18
	v_sub_nc_u32_e32 v18, 29, v18
	v_lshlrev_b64_e32 v[26:27], v19, v[50:51]
	s_delay_alu instid0(VALU_DEP_1)
	v_and_b32_e32 v50, 7, v26
; %bb.366:                              ;   in Loop: Header=BB194_9 Depth=1
	s_or_b32 exec_lo, exec_lo, s31
	s_delay_alu instid0(VALU_DEP_1) | instskip(SKIP_1) | instid1(VALU_DEP_2)
	v_dual_lshlrev_b32 v19, 24, v20 :: v_dual_lshlrev_b32 v21, 20, v50
	v_lshl_add_u32 v18, v18, 23, 0x3c000000
	v_and_b32_e32 v19, 0x80000000, v19
	s_delay_alu instid0(VALU_DEP_1) | instskip(NEXT) | instid1(VALU_DEP_1)
	v_or3_b32 v50, v21, v19, v18
	v_mov_b64_e32 v[18:19], v[50:51]
.LBB194_367:                            ;   in Loop: Header=BB194_9 Depth=1
	s_or_b32 exec_lo, exec_lo, s30
.LBB194_368:                            ;   in Loop: Header=BB194_9 Depth=1
	s_delay_alu instid0(SALU_CYCLE_1)
	s_or_b32 exec_lo, exec_lo, s29
.LBB194_369:                            ;   in Loop: Header=BB194_9 Depth=1
	s_delay_alu instid0(SALU_CYCLE_1) | instskip(SKIP_2) | instid1(VALU_DEP_1)
	s_or_b32 exec_lo, exec_lo, s28
	v_lshrrev_b16 v21, 8, v20
	s_mov_b32 s28, exec_lo
	v_cmpx_ne_u16_e32 0, v21
	s_cbranch_execz .LBB194_377
; %bb.370:                              ;   in Loop: Header=BB194_9 Depth=1
	v_mov_b64_e32 v[16:17], 0x8000000000000000
	s_mov_b32 s29, exec_lo
	v_cmpx_ne_u16_e32 0x80, v21
	s_cbranch_execz .LBB194_376
; %bb.371:                              ;   in Loop: Header=BB194_9 Depth=1
	v_and_b32_e32 v25, 0xffff, v21
	v_mov_b64_e32 v[16:17], 0x7f80000100000000
	s_mov_b32 s30, exec_lo
	s_delay_alu instid0(VALU_DEP_2) | instskip(NEXT) | instid1(VALU_DEP_1)
	v_and_b32_e32 v21, 0x7f, v25
	v_cmpx_ne_u32_e32 0x7f, v21
	s_cbranch_execz .LBB194_375
; %bb.372:                              ;   in Loop: Header=BB194_9 Depth=1
	v_and_b32_e32 v50, 7, v25
	v_lshrrev_b32_e32 v16, 3, v21
	s_mov_b32 s31, exec_lo
	v_cmpx_gt_u32_e32 8, v21
; %bb.373:                              ;   in Loop: Header=BB194_9 Depth=1
	s_delay_alu instid0(VALU_DEP_3) | instskip(NEXT) | instid1(VALU_DEP_1)
	v_clz_i32_u32_e32 v16, v50
	v_min_u32_e32 v16, 32, v16
	s_delay_alu instid0(VALU_DEP_1) | instskip(NEXT) | instid1(VALU_DEP_1)
	v_subrev_nc_u32_e32 v17, 28, v16
	v_lshlrev_b64_e32 v[26:27], v17, v[50:51]
	s_delay_alu instid0(VALU_DEP_1)
	v_dual_sub_nc_u32 v16, 29, v16 :: v_dual_bitop2_b32 v50, 7, v26 bitop3:0x40
; %bb.374:                              ;   in Loop: Header=BB194_9 Depth=1
	s_or_b32 exec_lo, exec_lo, s31
	s_delay_alu instid0(VALU_DEP_1) | instskip(NEXT) | instid1(VALU_DEP_2)
	v_dual_lshlrev_b32 v17, 16, v20 :: v_dual_lshlrev_b32 v20, 20, v50
	v_lshl_add_u32 v16, v16, 23, 0x3c000000
	s_delay_alu instid0(VALU_DEP_2) | instskip(NEXT) | instid1(VALU_DEP_1)
	v_and_b32_e32 v17, 0x80000000, v17
	v_or3_b32 v17, v20, v17, v16
	v_mov_b32_e32 v16, v51
.LBB194_375:                            ;   in Loop: Header=BB194_9 Depth=1
	s_or_b32 exec_lo, exec_lo, s30
.LBB194_376:                            ;   in Loop: Header=BB194_9 Depth=1
	s_delay_alu instid0(SALU_CYCLE_1)
	s_or_b32 exec_lo, exec_lo, s29
.LBB194_377:                            ;   in Loop: Header=BB194_9 Depth=1
	s_delay_alu instid0(SALU_CYCLE_1)
	s_or_b32 exec_lo, exec_lo, s28
	global_load_u16 v20, v[64:65], off offset:1292
	s_wait_xcnt 0x0
	v_mov_b64_e32 v[64:65], 0
	s_wait_loadcnt 0x0
	v_and_b32_e32 v25, 0xffff, v20
	v_and_b32_e32 v20, 0xff, v20
	s_delay_alu instid0(VALU_DEP_1)
	v_cmp_ne_u16_e64 s4, 0, v20
	v_mov_b64_e32 v[20:21], 0
	s_and_saveexec_b32 s28, s4
	s_cbranch_execz .LBB194_385
; %bb.378:                              ;   in Loop: Header=BB194_9 Depth=1
	v_mov_b64_e32 v[64:65], 0x80000000
	v_and_b32_e32 v26, 0xff, v25
	s_mov_b32 s29, exec_lo
	s_delay_alu instid0(VALU_DEP_1)
	v_cmpx_ne_u16_e32 0x80, v26
	s_cbranch_execz .LBB194_384
; %bb.379:                              ;   in Loop: Header=BB194_9 Depth=1
	v_mov_b64_e32 v[64:65], 0x7f800001
	v_and_b32_e32 v26, 0x7f, v25
	s_mov_b32 s30, exec_lo
	s_delay_alu instid0(VALU_DEP_1)
	v_cmpx_ne_u32_e32 0x7f, v26
	s_cbranch_execz .LBB194_383
; %bb.380:                              ;   in Loop: Header=BB194_9 Depth=1
	v_dual_lshrrev_b32 v64, 3, v26 :: v_dual_bitop2_b32 v50, 7, v25 bitop3:0x40
	s_mov_b32 s31, exec_lo
	v_cmpx_gt_u32_e32 8, v26
; %bb.381:                              ;   in Loop: Header=BB194_9 Depth=1
	s_delay_alu instid0(VALU_DEP_2) | instskip(NEXT) | instid1(VALU_DEP_1)
	v_clz_i32_u32_e32 v26, v50
	v_min_u32_e32 v28, 32, v26
	s_delay_alu instid0(VALU_DEP_1) | instskip(NEXT) | instid1(VALU_DEP_1)
	v_subrev_nc_u32_e32 v26, 28, v28
	v_lshlrev_b64_e32 v[26:27], v26, v[50:51]
	s_delay_alu instid0(VALU_DEP_1)
	v_dual_sub_nc_u32 v64, 29, v28 :: v_dual_bitop2_b32 v50, 7, v26 bitop3:0x40
; %bb.382:                              ;   in Loop: Header=BB194_9 Depth=1
	s_or_b32 exec_lo, exec_lo, s31
	s_delay_alu instid0(VALU_DEP_1) | instskip(NEXT) | instid1(VALU_DEP_2)
	v_dual_lshlrev_b32 v26, 24, v25 :: v_dual_lshlrev_b32 v27, 20, v50
	v_lshl_add_u32 v28, v64, 23, 0x3c000000
	s_delay_alu instid0(VALU_DEP_2) | instskip(NEXT) | instid1(VALU_DEP_1)
	v_and_b32_e32 v26, 0x80000000, v26
	v_or3_b32 v50, v27, v26, v28
	s_delay_alu instid0(VALU_DEP_1)
	v_mov_b64_e32 v[64:65], v[50:51]
.LBB194_383:                            ;   in Loop: Header=BB194_9 Depth=1
	s_or_b32 exec_lo, exec_lo, s30
.LBB194_384:                            ;   in Loop: Header=BB194_9 Depth=1
	s_delay_alu instid0(SALU_CYCLE_1)
	s_or_b32 exec_lo, exec_lo, s29
.LBB194_385:                            ;   in Loop: Header=BB194_9 Depth=1
	s_delay_alu instid0(SALU_CYCLE_1) | instskip(SKIP_2) | instid1(VALU_DEP_1)
	s_or_b32 exec_lo, exec_lo, s28
	v_lshrrev_b16 v50, 8, v25
	s_mov_b32 s28, exec_lo
	v_cmpx_ne_u16_e32 0, v50
	s_cbranch_execz .LBB194_393
; %bb.386:                              ;   in Loop: Header=BB194_9 Depth=1
	v_mov_b64_e32 v[20:21], 0x8000000000000000
	s_mov_b32 s29, exec_lo
	v_cmpx_ne_u16_e32 0x80, v50
	s_cbranch_execz .LBB194_392
; %bb.387:                              ;   in Loop: Header=BB194_9 Depth=1
	v_and_b32_e32 v27, 0xffff, v50
	v_mov_b64_e32 v[20:21], 0x7f80000100000000
	s_mov_b32 s30, exec_lo
	s_delay_alu instid0(VALU_DEP_2) | instskip(NEXT) | instid1(VALU_DEP_1)
	v_and_b32_e32 v26, 0x7f, v27
	v_cmpx_ne_u32_e32 0x7f, v26
	s_cbranch_execz .LBB194_391
; %bb.388:                              ;   in Loop: Header=BB194_9 Depth=1
	v_dual_lshrrev_b32 v20, 3, v26 :: v_dual_bitop2_b32 v50, 7, v27 bitop3:0x40
	s_mov_b32 s31, exec_lo
	v_cmpx_gt_u32_e32 8, v26
; %bb.389:                              ;   in Loop: Header=BB194_9 Depth=1
	s_delay_alu instid0(VALU_DEP_2) | instskip(NEXT) | instid1(VALU_DEP_1)
	v_clz_i32_u32_e32 v20, v50
	v_min_u32_e32 v20, 32, v20
	s_delay_alu instid0(VALU_DEP_1) | instskip(NEXT) | instid1(VALU_DEP_1)
	v_subrev_nc_u32_e32 v21, 28, v20
	v_lshlrev_b64_e32 v[26:27], v21, v[50:51]
	s_delay_alu instid0(VALU_DEP_1)
	v_dual_sub_nc_u32 v20, 29, v20 :: v_dual_bitop2_b32 v50, 7, v26 bitop3:0x40
; %bb.390:                              ;   in Loop: Header=BB194_9 Depth=1
	s_or_b32 exec_lo, exec_lo, s31
	s_delay_alu instid0(VALU_DEP_1) | instskip(NEXT) | instid1(VALU_DEP_2)
	v_dual_lshlrev_b32 v21, 16, v25 :: v_dual_lshlrev_b32 v25, 20, v50
	v_lshl_add_u32 v20, v20, 23, 0x3c000000
	s_delay_alu instid0(VALU_DEP_2) | instskip(NEXT) | instid1(VALU_DEP_1)
	v_and_b32_e32 v21, 0x80000000, v21
	v_or3_b32 v21, v25, v21, v20
	v_mov_b32_e32 v20, v51
.LBB194_391:                            ;   in Loop: Header=BB194_9 Depth=1
	s_or_b32 exec_lo, exec_lo, s30
.LBB194_392:                            ;   in Loop: Header=BB194_9 Depth=1
	s_delay_alu instid0(SALU_CYCLE_1)
	s_or_b32 exec_lo, exec_lo, s29
.LBB194_393:                            ;   in Loop: Header=BB194_9 Depth=1
	s_delay_alu instid0(SALU_CYCLE_1)
	s_or_b32 exec_lo, exec_lo, s28
	v_or_b32_e32 v59, v57, v59
	v_or_b32_e32 v58, v56, v58
	v_mov_b64_e32 v[56:57], s[20:21]
	v_or_b32_e32 v79, v79, v81
	v_or_b32_e32 v78, v78, v80
	;; [unrolled: 1-line block ×6, first 2 shown]
	v_pk_mul_f32 v[58:59], v[56:57], v[58:59]
	v_or_b32_e32 v29, v83, v85
	v_or_b32_e32 v28, v82, v84
	scratch_load_b128 v[80:83], off, off offset:4 ; 16-byte Folded Reload
	v_pk_mul_f32 v[60:61], v[56:57], v[60:61]
	v_or_b32_e32 v27, v87, v89
	v_or_b32_e32 v26, v86, v88
	;; [unrolled: 1-line block ×6, first 2 shown]
	s_delay_alu instid0(VALU_DEP_1)
	v_pk_mul_f32 v[0:1], v[56:57], v[0:1]
	s_wait_loadcnt 0x0
	v_dual_mul_f32 v25, v82, v60 :: v_dual_mul_f32 v50, v83, v61
	scratch_load_b128 v[60:63], off, off offset:20 ; 16-byte Folded Reload
	v_pk_mul_f32 v[26:27], v[56:57], v[26:27]
	v_dual_fmac_f32 v25, v80, v58 :: v_dual_fmac_f32 v50, v81, v59
	v_pk_mul_f32 v[58:59], v[56:57], v[66:67]
	v_pk_mul_f32 v[28:29], v[56:57], v[28:29]
	s_wait_loadcnt 0x0
	s_delay_alu instid0(VALU_DEP_2) | instskip(SKIP_2) | instid1(VALU_DEP_2)
	v_dual_fmac_f32 v25, v60, v58 :: v_dual_fmac_f32 v50, v61, v59
	v_pk_mul_f32 v[58:59], v[56:57], v[70:71]
	v_or_b32_e32 v75, v75, v77
	v_dual_fmac_f32 v50, v63, v59 :: v_dual_bitop2_b32 v74, v74, v76 bitop3:0x54
	s_delay_alu instid0(VALU_DEP_3) | instskip(SKIP_3) | instid1(VALU_DEP_1)
	v_fmac_f32_e32 v25, v62, v58
	scratch_load_b128 v[60:63], off, off offset:36 ; 16-byte Folded Reload
	v_pk_mul_f32 v[58:59], v[56:57], v[74:75]
	s_wait_loadcnt 0x0
	v_dual_fmac_f32 v25, v60, v58 :: v_dual_fmac_f32 v50, v61, v59
	v_pk_mul_f32 v[58:59], v[56:57], v[78:79]
	s_delay_alu instid0(VALU_DEP_1) | instskip(SKIP_3) | instid1(VALU_DEP_1)
	v_dual_fmac_f32 v25, v62, v58 :: v_dual_fmac_f32 v50, v63, v59
	scratch_load_b128 v[60:63], off, off offset:52 ; 16-byte Folded Reload
	s_wait_loadcnt 0x0
	v_dual_fmac_f32 v25, v60, v28 :: v_dual_fmac_f32 v50, v61, v29
	v_dual_fmac_f32 v25, v62, v26 :: v_dual_fmac_f32 v50, v63, v27
	scratch_load_b128 v[60:63], off, off offset:68 ; 16-byte Folded Reload
	v_or_b32_e32 v59, v91, v93
	v_or_b32_e32 v58, v90, v92
	s_delay_alu instid0(VALU_DEP_1) | instskip(SKIP_1) | instid1(VALU_DEP_1)
	v_pk_mul_f32 v[58:59], v[56:57], v[58:59]
	s_wait_loadcnt 0x0
	v_dual_fmac_f32 v25, v60, v58 :: v_dual_bitop2_b32 v29, v95, v97 bitop3:0x54
	s_delay_alu instid0(VALU_DEP_2) | instskip(NEXT) | instid1(VALU_DEP_1)
	v_dual_fmac_f32 v50, v61, v59 :: v_dual_bitop2_b32 v28, v94, v96 bitop3:0x54
	v_pk_mul_f32 v[28:29], v[56:57], v[28:29]
	s_delay_alu instid0(VALU_DEP_1) | instskip(SKIP_3) | instid1(VALU_DEP_1)
	v_dual_fmac_f32 v25, v62, v28 :: v_dual_fmac_f32 v50, v63, v29
	scratch_load_b128 v[60:63], off, off offset:84 ; 16-byte Folded Reload
	v_or_b32_e32 v27, v99, v101
	v_or_b32_e32 v26, v98, v100
	v_pk_mul_f32 v[26:27], v[56:57], v[26:27]
	s_wait_loadcnt 0x0
	s_delay_alu instid0(VALU_DEP_1) | instskip(NEXT) | instid1(VALU_DEP_2)
	v_dual_fmac_f32 v25, v60, v26 :: v_dual_bitop2_b32 v59, v103, v105 bitop3:0x54
	v_dual_fmac_f32 v50, v61, v27 :: v_dual_bitop2_b32 v58, v102, v104 bitop3:0x54
	s_delay_alu instid0(VALU_DEP_1) | instskip(NEXT) | instid1(VALU_DEP_1)
	v_pk_mul_f32 v[58:59], v[56:57], v[58:59]
	v_dual_fmac_f32 v25, v62, v58 :: v_dual_fmac_f32 v50, v63, v59
	scratch_load_b128 v[60:63], off, off offset:100 ; 16-byte Folded Reload
	v_or_b32_e32 v29, v107, v109
	v_or_b32_e32 v28, v106, v108
	s_delay_alu instid0(VALU_DEP_1) | instskip(SKIP_1) | instid1(VALU_DEP_1)
	v_pk_mul_f32 v[28:29], v[56:57], v[28:29]
	s_wait_loadcnt 0x0
	v_dual_fmac_f32 v25, v60, v28 :: v_dual_bitop2_b32 v27, v111, v113 bitop3:0x54
	s_delay_alu instid0(VALU_DEP_2) | instskip(NEXT) | instid1(VALU_DEP_1)
	v_dual_fmac_f32 v50, v61, v29 :: v_dual_bitop2_b32 v26, v110, v112 bitop3:0x54
	v_pk_mul_f32 v[26:27], v[56:57], v[26:27]
	s_delay_alu instid0(VALU_DEP_1) | instskip(NEXT) | instid1(VALU_DEP_2)
	v_dual_fmac_f32 v25, v62, v26 :: v_dual_bitop2_b32 v59, v115, v117 bitop3:0x54
	v_dual_fmac_f32 v50, v63, v27 :: v_dual_bitop2_b32 v58, v114, v116 bitop3:0x54
	s_delay_alu instid0(VALU_DEP_1) | instskip(NEXT) | instid1(VALU_DEP_1)
	v_pk_mul_f32 v[58:59], v[56:57], v[58:59]
	v_dual_fmac_f32 v25, v30, v58 :: v_dual_bitop2_b32 v29, v119, v121 bitop3:0x54
	s_delay_alu instid0(VALU_DEP_2) | instskip(NEXT) | instid1(VALU_DEP_1)
	v_dual_fmac_f32 v50, v31, v59 :: v_dual_bitop2_b32 v28, v118, v120 bitop3:0x54
	v_pk_mul_f32 v[28:29], v[56:57], v[28:29]
	s_delay_alu instid0(VALU_DEP_1) | instskip(NEXT) | instid1(VALU_DEP_2)
	v_dual_fmac_f32 v25, v32, v28 :: v_dual_bitop2_b32 v27, v123, v125 bitop3:0x54
	v_dual_fmac_f32 v50, v33, v29 :: v_dual_bitop2_b32 v26, v122, v124 bitop3:0x54
	s_delay_alu instid0(VALU_DEP_1) | instskip(SKIP_1) | instid1(VALU_DEP_1)
	v_pk_mul_f32 v[26:27], v[56:57], v[26:27]
	s_wait_dscnt 0x3
	v_dual_fmac_f32 v25, v34, v26 :: v_dual_bitop2_b32 v53, v127, v53 bitop3:0x54
	s_delay_alu instid0(VALU_DEP_2) | instskip(NEXT) | instid1(VALU_DEP_1)
	v_dual_fmac_f32 v50, v35, v27 :: v_dual_bitop2_b32 v52, v126, v52 bitop3:0x54
	v_pk_mul_f32 v[2:3], v[56:57], v[52:53]
	s_delay_alu instid0(VALU_DEP_1) | instskip(SKIP_1) | instid1(VALU_DEP_1)
	v_dual_fmac_f32 v25, v36, v2 :: v_dual_fmac_f32 v50, v37, v3
	s_wait_dscnt 0x2
	v_dual_fmac_f32 v25, v38, v0 :: v_dual_bitop2_b32 v5, v5, v7 bitop3:0x54
	s_delay_alu instid0(VALU_DEP_2) | instskip(NEXT) | instid1(VALU_DEP_1)
	v_dual_fmac_f32 v50, v39, v1 :: v_dual_bitop2_b32 v4, v4, v6 bitop3:0x54
	v_pk_mul_f32 v[4:5], v[56:57], v[4:5]
	s_delay_alu instid0(VALU_DEP_1) | instskip(NEXT) | instid1(VALU_DEP_2)
	v_dual_fmac_f32 v25, v40, v4 :: v_dual_bitop2_b32 v3, v9, v11 bitop3:0x54
	v_dual_fmac_f32 v50, v41, v5 :: v_dual_bitop2_b32 v2, v8, v10 bitop3:0x54
	s_delay_alu instid0(VALU_DEP_1) | instskip(SKIP_1) | instid1(VALU_DEP_1)
	v_pk_mul_f32 v[2:3], v[56:57], v[2:3]
	s_wait_dscnt 0x1
	v_dual_fmac_f32 v25, v42, v2 :: v_dual_bitop2_b32 v1, v13, v15 bitop3:0x54
	s_delay_alu instid0(VALU_DEP_2) | instskip(NEXT) | instid1(VALU_DEP_1)
	v_dual_fmac_f32 v50, v43, v3 :: v_dual_bitop2_b32 v0, v12, v14 bitop3:0x54
	v_pk_mul_f32 v[0:1], v[56:57], v[0:1]
	s_delay_alu instid0(VALU_DEP_1) | instskip(NEXT) | instid1(VALU_DEP_2)
	v_dual_fmac_f32 v25, v44, v0 :: v_dual_bitop2_b32 v5, v17, v19 bitop3:0x54
	v_dual_fmac_f32 v50, v45, v1 :: v_dual_bitop2_b32 v4, v16, v18 bitop3:0x54
	s_delay_alu instid0(VALU_DEP_1) | instskip(SKIP_1) | instid1(VALU_DEP_1)
	v_pk_mul_f32 v[4:5], v[56:57], v[4:5]
	s_wait_dscnt 0x0
	v_dual_fmac_f32 v25, v46, v4 :: v_dual_bitop2_b32 v3, v21, v65 bitop3:0x54
	s_delay_alu instid0(VALU_DEP_2) | instskip(NEXT) | instid1(VALU_DEP_1)
	v_dual_fmac_f32 v50, v47, v5 :: v_dual_bitop2_b32 v2, v20, v64 bitop3:0x54
	v_pk_mul_f32 v[0:1], v[56:57], v[2:3]
	s_delay_alu instid0(VALU_DEP_1) | instskip(SKIP_2) | instid1(VALU_DEP_1)
	v_fmac_f32_e32 v50, v49, v1
	scratch_load_b32 v1, off, off offset:116 ; 4-byte Folded Reload
	v_fmac_f32_e32 v25, v48, v0
	v_add_f32_e32 v0, v25, v50
	s_wait_loadcnt 0x0
	ds_bpermute_b32 v1, v1, v0
	s_wait_xcnt 0x0
	s_and_saveexec_b32 s28, vcc_lo
	s_cbranch_execz .LBB194_8
; %bb.394:                              ;   in Loop: Header=BB194_9 Depth=1
	scratch_load_b32 v3, off, off           ; 4-byte Folded Reload
	s_wait_dscnt 0x0
	v_dual_add_nc_u32 v2, s11, v22 :: v_dual_add_f32 v0, v0, v1
	v_cmp_gt_i32_e64 s4, s25, v22
	s_delay_alu instid0(VALU_DEP_2) | instskip(NEXT) | instid1(VALU_DEP_1)
	v_cvt_f32_i32_e32 v2, v2
	v_mul_f32_e32 v2, s18, v2
	s_wait_loadcnt 0x0
	s_delay_alu instid0(VALU_DEP_1) | instskip(NEXT) | instid1(VALU_DEP_1)
	v_dual_cndmask_b32 v1, 0, v2, s3 :: v_dual_max_num_f32 v2, v3, v3
	v_fmac_f32_e32 v1, s19, v0
	s_delay_alu instid0(VALU_DEP_1) | instskip(NEXT) | instid1(VALU_DEP_1)
	v_dual_max_num_f32 v0, v2, v1 :: v_dual_cndmask_b32 v1, 0, v1, s4
	v_cndmask_b32_e64 v3, v3, v0, s4
	ds_store_b32 v23, v1
	scratch_store_b32 off, v3, off          ; 4-byte Folded Spill
	s_branch .LBB194_8
.LBB194_395:
	s_or_b32 exec_lo, exec_lo, s5
	s_clause 0x4
	scratch_load_b32 v22, off, off offset:132
	scratch_load_b32 v23, off, off offset:136
	;; [unrolled: 1-line block ×4, first 2 shown]
	scratch_load_b32 v3, off, off
	v_mov_b32_e32 v8, 32
.LBB194_396:
	s_wait_xcnt 0x0
	s_or_b32 exec_lo, exec_lo, s26
	s_wait_loadcnt 0x1
	v_xor_b32_e32 v0, 16, v10
	s_wait_kmcnt 0x0
	s_clause 0x1
	s_load_b64 s[4:5], s[0:1], 0x0
	s_load_b64 s[18:19], s[0:1], 0x18
	v_xor_b32_e32 v2, 8, v10
	v_and_b32_e32 v74, 31, v22
	v_cmp_lt_i32_e32 vcc_lo, v0, v8
	v_cndmask_b32_e32 v0, v10, v0, vcc_lo
	s_delay_alu instid0(VALU_DEP_4) | instskip(NEXT) | instid1(VALU_DEP_2)
	v_cmp_lt_i32_e32 vcc_lo, v2, v8
	v_dual_lshlrev_b32 v0, 2, v0 :: v_dual_cndmask_b32 v2, v10, v2, vcc_lo
	s_wait_loadcnt_dscnt 0x0
	ds_bpermute_b32 v1, v0, v3
	s_wait_dscnt 0x0
	v_dual_max_num_f32 v3, v3, v3 :: v_dual_max_num_f32 v4, v1, v1
	s_delay_alu instid0(VALU_DEP_1)
	v_dual_lshlrev_b32 v1, 2, v2 :: v_dual_max_num_f32 v3, v3, v4
	v_xor_b32_e32 v4, 4, v10
	ds_bpermute_b32 v2, v1, v3
	v_cmp_lt_i32_e32 vcc_lo, v4, v8
	s_wait_dscnt 0x0
	v_max_num_f32_e32 v5, v2, v2
	s_delay_alu instid0(VALU_DEP_1) | instskip(NEXT) | instid1(VALU_DEP_1)
	v_dual_cndmask_b32 v4, v10, v4 :: v_dual_max_num_f32 v3, v3, v5
	v_lshlrev_b32_e32 v2, 2, v4
	ds_bpermute_b32 v4, v2, v3
	s_wait_dscnt 0x0
	v_dual_max_num_f32 v4, v4, v4 :: v_dual_bitop2_b32 v5, 2, v10 bitop3:0x14
	s_delay_alu instid0(VALU_DEP_1) | instskip(NEXT) | instid1(VALU_DEP_2)
	v_cmp_lt_i32_e32 vcc_lo, v5, v8
	v_dual_max_num_f32 v4, v3, v4 :: v_dual_cndmask_b32 v5, v10, v5
	scratch_load_b32 v3, off, off offset:128 ; 4-byte Folded Reload
	v_cmp_eq_u32_e32 vcc_lo, 0, v74
	v_lshlrev_b32_e32 v75, 2, v5
	ds_bpermute_b32 v5, v75, v4
	s_wait_loadcnt 0x0
	v_lshlrev_b32_e32 v3, 2, v3
	s_wait_xcnt 0x0
	s_and_saveexec_b32 s0, vcc_lo
	s_cbranch_execz .LBB194_398
; %bb.397:
	s_wait_dscnt 0x0
	v_dual_max_num_f32 v5, v5, v5 :: v_dual_max_num_f32 v4, v4, v4
	s_delay_alu instid0(VALU_DEP_1)
	v_max_num_f32_e32 v4, v4, v5
	ds_store_b32 v3, v4 offset:384
.LBB194_398:
	s_or_b32 exec_lo, exec_lo, s0
	v_cmp_gt_u32_e64 s0, 4, v74
	s_wait_dscnt 0x0
	v_dual_mov_b32 v5, 0xff7fffff :: v_dual_lshlrev_b32 v4, 2, v74
	s_wait_storecnt 0x0
	s_barrier_signal -1
	s_barrier_wait -1
	s_and_saveexec_b32 s1, s0
; %bb.399:
	ds_load_b32 v5, v4 offset:384
; %bb.400:
	s_or_b32 exec_lo, exec_lo, s1
	s_wait_dscnt 0x0
	ds_bpermute_b32 v6, v75, v5
	v_dual_max_num_f32 v5, v5, v5 :: v_dual_bitop2_b32 v7, 1, v10 bitop3:0x14
	s_delay_alu instid0(VALU_DEP_1) | instskip(SKIP_2) | instid1(VALU_DEP_2)
	v_cmp_lt_i32_e64 s1, v7, v8
	s_wait_dscnt 0x0
	v_max_num_f32_e32 v6, v6, v6
	v_cndmask_b32_e64 v7, v10, v7, s1
	s_lshl_b32 s1, s13, 4
	s_delay_alu instid0(SALU_CYCLE_1) | instskip(NEXT) | instid1(VALU_DEP_1)
	s_min_i32 s11, s1, s25
	v_dual_max_num_f32 v5, v5, v6 :: v_dual_lshlrev_b32 v76, 2, v7
	v_cmp_gt_i32_e64 s1, s11, v22
	ds_bpermute_b32 v6, v76, v5
	s_wait_dscnt 0x0
	v_max_num_f32_e32 v6, v6, v6
	s_delay_alu instid0(VALU_DEP_1)
	v_dual_max_num_f32 v5, v5, v6 :: v_dual_lshlrev_b32 v6, 2, v51
	ds_bpermute_b32 v6, v6, v5
	v_mov_b32_e32 v5, 0
	s_and_saveexec_b32 s20, s1
	s_cbranch_execz .LBB194_404
; %bb.401:
	v_lshl_add_u32 v7, v22, 2, 0x1a0
	v_dual_mov_b32 v5, 0 :: v_dual_mov_b32 v8, v22
	s_mov_b32 s21, 0
.LBB194_402:                            ; =>This Inner Loop Header: Depth=1
	ds_load_b32 v9, v7
	v_add_nc_u32_e32 v8, 0x80, v8
	s_delay_alu instid0(VALU_DEP_1) | instskip(SKIP_3) | instid1(VALU_DEP_1)
	v_cmp_le_i32_e64 s3, s11, v8
	s_or_b32 s21, s3, s21
	s_wait_dscnt 0x0
	v_sub_f32_e32 v9, v9, v6
	v_mul_f32_e32 v9, 0x3fb8aa3b, v9
	s_delay_alu instid0(VALU_DEP_1)
	v_exp_f32_e32 v9, v9
	ds_store_b32 v7, v9
	v_nop
	v_add_f32_e32 v5, v5, v9
	v_add_nc_u32_e32 v7, 0x200, v7
	s_and_not1_b32 exec_lo, exec_lo, s21
	s_cbranch_execnz .LBB194_402
; %bb.403:
	s_or_b32 exec_lo, exec_lo, s21
.LBB194_404:
	s_delay_alu instid0(SALU_CYCLE_1)
	s_or_b32 exec_lo, exec_lo, s20
	ds_bpermute_b32 v0, v0, v5
	s_wait_dscnt 0x0
	v_add_f32_e32 v0, v5, v0
	ds_bpermute_b32 v1, v1, v0
	s_wait_dscnt 0x0
	v_add_f32_e32 v0, v0, v1
	ds_bpermute_b32 v1, v2, v0
	s_wait_dscnt 0x0
	v_add_f32_e32 v0, v0, v1
	ds_bpermute_b32 v1, v75, v0
	s_wait_dscnt 0x0
	v_add_f32_e32 v0, v0, v1
	ds_bpermute_b32 v1, v76, v0
	s_wait_dscnt 0x0
	v_add_f32_e32 v0, v0, v1
	s_and_saveexec_b32 s3, vcc_lo
; %bb.405:
	ds_store_b32 v3, v0 offset:400
; %bb.406:
	s_or_b32 exec_lo, exec_lo, s3
	s_wait_dscnt 0x0
	s_barrier_signal -1
	s_barrier_wait -1
	s_and_saveexec_b32 s3, s0
; %bb.407:
	ds_load_b32 v0, v4 offset:400
; %bb.408:
	s_or_b32 exec_lo, exec_lo, s3
	s_wait_dscnt 0x0
	ds_bpermute_b32 v1, v75, v0
	s_wait_dscnt 0x0
	v_dual_lshlrev_b32 v2, 2, v10 :: v_dual_add_f32 v0, v0, v1
	ds_bpermute_b32 v1, v76, v0
	s_wait_dscnt 0x0
	v_add_f32_e32 v0, v0, v1
	v_and_b32_e32 v1, 0xffffff80, v2
	ds_bpermute_b32 v0, v1, v0
	s_and_saveexec_b32 s0, s1
	s_cbranch_execz .LBB194_421
; %bb.409:
	s_wait_dscnt 0x0
	v_add_f32_e32 v0, 0x358637bd, v0
	s_mov_b32 s3, -1
	s_mov_b32 s1, exec_lo
	s_delay_alu instid0(VALU_DEP_1) | instskip(NEXT) | instid1(VALU_DEP_1)
	v_div_scale_f32 v1, null, v0, v0, 1.0
	v_rcp_f32_e32 v3, v1
	v_nop
	s_delay_alu instid0(TRANS32_DEP_1) | instskip(NEXT) | instid1(VALU_DEP_1)
	v_fma_f32 v2, -v1, v3, 1.0
	v_fmac_f32_e32 v3, v2, v3
	v_div_scale_f32 v4, vcc_lo, 1.0, v0, 1.0
	s_delay_alu instid0(VALU_DEP_1) | instskip(NEXT) | instid1(VALU_DEP_1)
	v_mul_f32_e32 v5, v4, v3
	v_fma_f32 v2, -v1, v5, v4
	s_delay_alu instid0(VALU_DEP_1) | instskip(SKIP_1) | instid1(VALU_DEP_2)
	v_fmac_f32_e32 v5, v2, v3
	v_xad_u32 v2, v22, -1, s11
	v_fma_f32 v1, -v1, v5, v4
	s_delay_alu instid0(VALU_DEP_1) | instskip(NEXT) | instid1(VALU_DEP_1)
	v_div_fmas_f32 v1, v1, v3, v5
	v_div_fixup_f32 v0, v1, v0, 1.0
	v_mov_b32_e32 v1, v22
	v_cmpx_lt_u32_e32 0x7f, v2
	s_cbranch_execz .LBB194_418
; %bb.410:
	s_delay_alu instid0(VALU_DEP_3) | instskip(NEXT) | instid1(VALU_DEP_1)
	v_dual_mov_b32 v1, v0 :: v_dual_lshrrev_b32 v2, 7, v2
	v_dual_mov_b32 v6, 0 :: v_dual_add_nc_u32 v3, -1, v2
	s_delay_alu instid0(VALU_DEP_1) | instskip(SKIP_1) | instid1(VALU_DEP_2)
	v_lshrrev_b32_e32 v4, 1, v3
	v_cmp_lt_u32_e32 vcc_lo, 13, v3
	v_add_nc_u32_e32 v3, 1, v4
	s_and_saveexec_b32 s3, vcc_lo
	s_cbranch_execz .LBB194_414
; %bb.411:
	s_delay_alu instid0(VALU_DEP_1)
	v_and_b32_e32 v4, -8, v3
	v_lshl_add_u32 v5, v22, 2, 0x1a0
	s_mov_b32 s20, 0
	s_mov_b32 s21, 0
.LBB194_412:                            ; =>This Inner Loop Header: Depth=1
	ds_load_2addr_stride64_b32 v[6:7], v5 offset1:2
	ds_load_2addr_stride64_b32 v[8:9], v5 offset0:4 offset1:6
	ds_load_2addr_stride64_b32 v[10:11], v5 offset0:8 offset1:10
	;; [unrolled: 1-line block ×7, first 2 shown]
	s_add_co_i32 s21, s21, 16
	v_add_nc_u32_e32 v4, -8, v4
	s_wait_dscnt 0x7
	v_pk_mul_f32 v[6:7], v[0:1], v[6:7]
	s_wait_dscnt 0x6
	v_pk_mul_f32 v[8:9], v[0:1], v[8:9]
	;; [unrolled: 2-line block ×8, first 2 shown]
	ds_store_2addr_stride64_b32 v5, v6, v7 offset1:2
	ds_store_2addr_stride64_b32 v5, v8, v9 offset0:4 offset1:6
	ds_store_2addr_stride64_b32 v5, v10, v11 offset0:8 offset1:10
	;; [unrolled: 1-line block ×7, first 2 shown]
	v_mov_b32_e32 v6, s21
	v_cmp_eq_u32_e32 vcc_lo, 0, v4
	v_add_nc_u32_e32 v5, 0x2000, v5
	s_or_b32 s20, vcc_lo, s20
	s_delay_alu instid0(SALU_CYCLE_1)
	s_and_not1_b32 exec_lo, exec_lo, s20
	s_cbranch_execnz .LBB194_412
; %bb.413:
	s_or_b32 exec_lo, exec_lo, s20
.LBB194_414:
	s_delay_alu instid0(SALU_CYCLE_1) | instskip(NEXT) | instid1(VALU_DEP_1)
	s_or_b32 exec_lo, exec_lo, s3
	v_and_b32_e32 v3, 7, v3
	s_mov_b32 s20, 0
	s_mov_b32 s3, exec_lo
	s_delay_alu instid0(VALU_DEP_1)
	v_cmpx_ne_u32_e32 0, v3
	s_cbranch_execz .LBB194_417
; %bb.415:
	v_lshlrev_b32_e32 v4, 9, v6
	s_delay_alu instid0(VALU_DEP_1)
	v_add3_u32 v4, v4, v23, 0x1a0
.LBB194_416:                            ; =>This Inner Loop Header: Depth=1
	ds_load_2addr_stride64_b32 v[6:7], v4 offset1:2
	v_add_nc_u32_e32 v3, -1, v3
	s_delay_alu instid0(VALU_DEP_1)
	v_cmp_eq_u32_e32 vcc_lo, 0, v3
	s_or_b32 s20, vcc_lo, s20
	s_wait_dscnt 0x0
	v_pk_mul_f32 v[6:7], v[0:1], v[6:7]
	ds_store_2addr_stride64_b32 v4, v6, v7 offset1:2
	v_add_nc_u32_e32 v4, 0x400, v4
	s_and_not1_b32 exec_lo, exec_lo, s20
	s_cbranch_execnz .LBB194_416
.LBB194_417:
	s_or_b32 exec_lo, exec_lo, s3
	v_add_nc_u32_e32 v1, 1, v2
	s_delay_alu instid0(VALU_DEP_1) | instskip(NEXT) | instid1(VALU_DEP_1)
	v_and_b32_e32 v2, 0x3fffffe, v1
	v_cmp_ne_u32_e32 vcc_lo, v1, v2
	v_lshl_add_u32 v1, v2, 7, v22
	s_or_not1_b32 s3, vcc_lo, exec_lo
.LBB194_418:
	s_or_b32 exec_lo, exec_lo, s1
	s_delay_alu instid0(SALU_CYCLE_1)
	s_and_b32 exec_lo, exec_lo, s3
	s_cbranch_execz .LBB194_421
; %bb.419:
	v_lshl_add_u32 v2, v1, 2, 0x1a0
	s_mov_b32 s1, 0
.LBB194_420:                            ; =>This Inner Loop Header: Depth=1
	ds_load_b32 v3, v2
	v_add_nc_u32_e32 v1, 0x80, v1
	s_delay_alu instid0(VALU_DEP_1)
	v_cmp_le_i32_e32 vcc_lo, s11, v1
	s_or_b32 s1, vcc_lo, s1
	s_wait_dscnt 0x0
	v_mul_f32_e32 v3, v0, v3
	ds_store_b32 v2, v3
	v_add_nc_u32_e32 v2, 0x200, v2
	s_and_not1_b32 exec_lo, exec_lo, s1
	s_cbranch_execnz .LBB194_420
.LBB194_421:
	s_or_b32 exec_lo, exec_lo, s0
	v_dual_mov_b32 v7, 0 :: v_dual_bitop2_b32 v77, 3, v22 bitop3:0x40
	v_dual_mov_b32 v6, 0 :: v_dual_mov_b32 v9, 0
	v_dual_mov_b32 v8, 0 :: v_dual_mov_b32 v11, 0
	;; [unrolled: 1-line block ×5, first 2 shown]
	v_mov_b32_e32 v16, 0
	s_wait_dscnt 0x0
	s_barrier_signal -1
	s_barrier_wait -1
	s_and_saveexec_b32 s1, s2
	s_cbranch_execz .LBB194_833
; %bb.422:
	scratch_load_b32 v80, off, off offset:128 ; 4-byte Folded Reload
	s_load_b32 s2, s[6:7], 0x0
	v_dual_mov_b32 v19, 0 :: v_dual_bitop2_b32 v0, 12, v23 bitop3:0x40
	v_and_b32_e32 v18, 0x7c, v23
	s_ashr_i32 s11, s10, 31
	v_dual_lshlrev_b32 v1, 4, v77 :: v_dual_mov_b32 v7, 0
	s_wait_kmcnt 0x0
	s_add_nc_u64 s[10:11], s[18:19], s[10:11]
	s_lshl_b64 s[14:15], s[14:15], 2
	v_add_nc_u64_e32 v[20:21], s[10:11], v[18:19]
	v_and_b32_e32 v18, 0x7c, v25
	s_add_nc_u64 s[10:11], s[16:17], s[14:15]
	v_dual_mov_b32 v6, 0 :: v_dual_mov_b32 v9, 0
	v_dual_mov_b32 v11, 0 :: v_dual_mov_b32 v10, 0
	s_delay_alu instid0(VALU_DEP_3)
	v_add_nc_u64_e32 v[22:23], s[10:11], v[18:19]
	v_dual_mov_b32 v13, 0 :: v_dual_mov_b32 v12, 0
	v_dual_mov_b32 v15, 0 :: v_dual_mov_b32 v14, 0
	;; [unrolled: 1-line block ×3, first 2 shown]
	s_mov_b32 s6, s9
	s_mov_b32 s3, s2
	s_add_co_i32 s7, s13, -1
	s_mov_b32 s10, s25
	s_mov_b32 s9, 0
	s_wait_loadcnt 0x0
	v_lshl_or_b32 v1, v80, 6, v1
	v_mov_b32_e32 v8, 0
	v_lshl_or_b32 v78, v80, 4, v0
	s_delay_alu instid0(VALU_DEP_3)
	v_add_nc_u32_e32 v79, 0x1a0, v1
	s_branch .LBB194_424
.LBB194_423:                            ;   in Loop: Header=BB194_424 Depth=1
	s_or_b32 exec_lo, exec_lo, s0
	s_wait_dscnt 0x0
	v_dual_mul_f32 v18, v2, v66 :: v_dual_mul_f32 v56, v2, v56
	v_dual_mul_f32 v62, v2, v62 :: v_dual_mul_f32 v48, v2, v48
	v_dual_add_nc_u32 v80, 4, v80 :: v_dual_add_nc_u32 v78, 64, v78
	s_delay_alu instid0(VALU_DEP_3) | instskip(NEXT) | instid1(VALU_DEP_3)
	v_dual_fmac_f32 v18, v3, v67 :: v_dual_mul_f32 v58, v2, v58
	v_dual_fmac_f32 v62, v3, v63 :: v_dual_mul_f32 v52, v2, v52
	v_fmac_f32_e32 v56, v3, v57
	s_delay_alu instid0(VALU_DEP_3) | instskip(NEXT) | instid1(VALU_DEP_3)
	v_dual_fmac_f32 v48, v3, v49 :: v_dual_fmac_f32 v58, v3, v59
	v_dual_fmac_f32 v18, v4, v64 :: v_dual_fmac_f32 v52, v3, v53
	s_delay_alu instid0(VALU_DEP_4) | instskip(NEXT) | instid1(VALU_DEP_4)
	v_fmac_f32_e32 v62, v4, v60
	v_dual_mul_f32 v44, v2, v44 :: v_dual_fmac_f32 v56, v4, v54
	s_delay_alu instid0(VALU_DEP_3) | instskip(SKIP_1) | instid1(VALU_DEP_4)
	v_fmac_f32_e32 v18, v5, v65
	v_fmac_f32_e32 v58, v4, v0
	;; [unrolled: 1-line block ×3, first 2 shown]
	s_delay_alu instid0(VALU_DEP_4) | instskip(SKIP_1) | instid1(VALU_DEP_4)
	v_fmac_f32_e32 v44, v3, v45
	v_fmac_f32_e32 v52, v4, v50
	v_dual_add_f32 v6, v6, v18 :: v_dual_fmac_f32 v58, v5, v1
	s_delay_alu instid0(VALU_DEP_4) | instskip(SKIP_1) | instid1(VALU_DEP_3)
	v_add_f32_e32 v9, v9, v62
	v_dual_fmac_f32 v48, v4, v46 :: v_dual_mul_f32 v18, v2, v40
	v_dual_fmac_f32 v56, v5, v55 :: v_dual_add_f32 v8, v8, v58
	v_fmac_f32_e32 v44, v4, v42
	s_delay_alu instid0(VALU_DEP_3) | instskip(NEXT) | instid1(VALU_DEP_3)
	v_dual_fmac_f32 v52, v5, v51 :: v_dual_fmac_f32 v18, v3, v41
	v_dual_fmac_f32 v48, v5, v47 :: v_dual_add_f32 v11, v11, v56
	s_delay_alu instid0(VALU_DEP_3) | instskip(NEXT) | instid1(VALU_DEP_3)
	v_dual_fmac_f32 v44, v5, v43 :: v_dual_mul_f32 v36, v2, v36
	v_add_f32_e32 v10, v10, v52
	s_delay_alu instid0(VALU_DEP_3) | instskip(SKIP_3) | instid1(VALU_DEP_3)
	v_dual_add_f32 v13, v13, v48 :: v_dual_mul_f32 v26, v2, v26
	v_dual_mul_f32 v32, v2, v32 :: v_dual_fmac_f32 v18, v4, v38
	v_pk_mul_f32 v[0:1], v[2:3], v[68:69]
	v_dual_add_f32 v12, v12, v44 :: v_dual_fmac_f32 v36, v3, v37
	v_dual_fmac_f32 v32, v3, v33 :: v_dual_fmac_f32 v26, v3, v27
	v_pk_mul_f32 v[2:3], v[4:5], v[28:29]
	s_delay_alu instid0(VALU_DEP_3) | instskip(NEXT) | instid1(VALU_DEP_3)
	v_dual_add_f32 v0, v1, v0 :: v_dual_fmac_f32 v36, v4, v34
	v_dual_fmac_f32 v18, v5, v39 :: v_dual_fmac_f32 v32, v4, v30
	s_delay_alu instid0(VALU_DEP_4) | instskip(NEXT) | instid1(VALU_DEP_3)
	v_fmac_f32_e32 v26, v4, v24
	v_dual_add_f32 v0, v2, v0 :: v_dual_fmac_f32 v36, v5, v35
	s_delay_alu instid0(VALU_DEP_3) | instskip(NEXT) | instid1(VALU_DEP_2)
	v_dual_add_f32 v15, v15, v18 :: v_dual_fmac_f32 v32, v5, v31
	v_dual_fmac_f32 v26, v5, v25 :: v_dual_add_f32 v0, v3, v0
	v_cmp_le_i32_e32 vcc_lo, s13, v80
	v_add_nc_u64_e32 v[22:23], 16, v[22:23]
	v_dual_add_f32 v14, v14, v36 :: v_dual_add_nc_u32 v79, 0x100, v79
	s_delay_alu instid0(VALU_DEP_4) | instskip(SKIP_2) | instid1(SALU_CYCLE_1)
	v_dual_add_f32 v17, v17, v32 :: v_dual_add_f32 v16, v16, v26
	v_add_f32_e32 v7, v7, v0
	s_or_b32 s9, vcc_lo, s9
	s_and_not1_b32 exec_lo, exec_lo, s9
	s_cbranch_execz .LBB194_832
.LBB194_424:                            ; =>This Inner Loop Header: Depth=1
	global_load_b32 v0, v[22:23], off
	ds_load_b128 v[2:5], v79
	v_mov_b64_e32 v[24:25], 0
	s_mov_b32 s0, exec_lo
	s_wait_loadcnt 0x0
	v_mad_nc_i64_i32 v[28:29], v0, s6, v[20:21]
	v_mov_b64_e32 v[0:1], 0
	global_load_b32 v32, v[28:29], off
	s_wait_loadcnt 0x0
	v_and_b32_e32 v18, 0xff, v32
	s_delay_alu instid0(VALU_DEP_1)
	v_cmpx_ne_u16_e32 0, v18
	s_cbranch_execz .LBB194_432
; %bb.425:                              ;   in Loop: Header=BB194_424 Depth=1
	v_mov_b64_e32 v[24:25], 0x80000000
	s_mov_b32 s11, exec_lo
	v_cmpx_ne_u16_e32 0x80, v18
	s_cbranch_execz .LBB194_431
; %bb.426:                              ;   in Loop: Header=BB194_424 Depth=1
	v_mov_b64_e32 v[24:25], 0x7f800001
	v_and_b32_e32 v26, 0x7f, v32
	s_mov_b32 s14, exec_lo
	s_delay_alu instid0(VALU_DEP_1)
	v_cmpx_ne_u32_e32 0x7f, v26
	s_cbranch_execz .LBB194_430
; %bb.427:                              ;   in Loop: Header=BB194_424 Depth=1
	v_dual_lshrrev_b32 v24, 3, v26 :: v_dual_bitop2_b32 v18, 7, v32 bitop3:0x40
	s_mov_b32 s15, exec_lo
	v_cmpx_gt_u32_e32 8, v26
; %bb.428:                              ;   in Loop: Header=BB194_424 Depth=1
	s_delay_alu instid0(VALU_DEP_2) | instskip(NEXT) | instid1(VALU_DEP_1)
	v_clz_i32_u32_e32 v24, v18
	v_min_u32_e32 v24, 32, v24
	s_delay_alu instid0(VALU_DEP_1) | instskip(NEXT) | instid1(VALU_DEP_1)
	v_subrev_nc_u32_e32 v25, 28, v24
	v_lshlrev_b64_e32 v[26:27], v25, v[18:19]
	s_delay_alu instid0(VALU_DEP_1)
	v_dual_sub_nc_u32 v24, 29, v24 :: v_dual_bitop2_b32 v18, 7, v26 bitop3:0x40
; %bb.429:                              ;   in Loop: Header=BB194_424 Depth=1
	s_or_b32 exec_lo, exec_lo, s15
	s_delay_alu instid0(VALU_DEP_1) | instskip(NEXT) | instid1(VALU_DEP_2)
	v_dual_lshlrev_b32 v25, 24, v32 :: v_dual_lshlrev_b32 v18, 20, v18
	v_lshl_add_u32 v24, v24, 23, 0x3c000000
	s_delay_alu instid0(VALU_DEP_2) | instskip(NEXT) | instid1(VALU_DEP_1)
	v_and_b32_e32 v25, 0x80000000, v25
	v_or3_b32 v18, v18, v25, v24
	s_delay_alu instid0(VALU_DEP_1)
	v_mov_b64_e32 v[24:25], v[18:19]
.LBB194_430:                            ;   in Loop: Header=BB194_424 Depth=1
	s_or_b32 exec_lo, exec_lo, s14
.LBB194_431:                            ;   in Loop: Header=BB194_424 Depth=1
	s_delay_alu instid0(SALU_CYCLE_1)
	s_or_b32 exec_lo, exec_lo, s11
.LBB194_432:                            ;   in Loop: Header=BB194_424 Depth=1
	s_delay_alu instid0(SALU_CYCLE_1) | instskip(SKIP_2) | instid1(VALU_DEP_1)
	s_or_b32 exec_lo, exec_lo, s0
	v_lshrrev_b16 v18, 8, v32
	s_mov_b32 s0, exec_lo
	v_cmpx_ne_u16_e32 0, v18
	s_cbranch_execz .LBB194_440
; %bb.433:                              ;   in Loop: Header=BB194_424 Depth=1
	v_mov_b64_e32 v[0:1], 0x8000000000000000
	s_mov_b32 s11, exec_lo
	v_cmpx_ne_u16_e32 0x80, v18
	s_cbranch_execz .LBB194_439
; %bb.434:                              ;   in Loop: Header=BB194_424 Depth=1
	v_and_b32_e32 v18, 0xffff, v18
	v_mov_b64_e32 v[0:1], 0x7f80000100000000
	s_mov_b32 s14, exec_lo
	s_delay_alu instid0(VALU_DEP_2) | instskip(NEXT) | instid1(VALU_DEP_1)
	v_and_b32_e32 v26, 0x7f, v18
	v_cmpx_ne_u32_e32 0x7f, v26
	s_cbranch_execz .LBB194_438
; %bb.435:                              ;   in Loop: Header=BB194_424 Depth=1
	v_and_b32_e32 v18, 7, v18
	v_lshrrev_b32_e32 v0, 3, v26
	s_mov_b32 s15, exec_lo
	v_cmpx_gt_u32_e32 8, v26
; %bb.436:                              ;   in Loop: Header=BB194_424 Depth=1
	s_delay_alu instid0(VALU_DEP_3) | instskip(NEXT) | instid1(VALU_DEP_1)
	v_clz_i32_u32_e32 v0, v18
	v_min_u32_e32 v0, 32, v0
	s_delay_alu instid0(VALU_DEP_1) | instskip(NEXT) | instid1(VALU_DEP_1)
	v_subrev_nc_u32_e32 v1, 28, v0
	v_lshlrev_b64_e32 v[26:27], v1, v[18:19]
	s_delay_alu instid0(VALU_DEP_1)
	v_dual_sub_nc_u32 v0, 29, v0 :: v_dual_bitop2_b32 v18, 7, v26 bitop3:0x40
; %bb.437:                              ;   in Loop: Header=BB194_424 Depth=1
	s_or_b32 exec_lo, exec_lo, s15
	s_delay_alu instid0(VALU_DEP_1) | instskip(NEXT) | instid1(VALU_DEP_2)
	v_dual_lshlrev_b32 v1, 16, v32 :: v_dual_lshlrev_b32 v18, 20, v18
	v_lshl_add_u32 v0, v0, 23, 0x3c000000
	s_delay_alu instid0(VALU_DEP_2) | instskip(NEXT) | instid1(VALU_DEP_1)
	v_and_b32_e32 v1, 0x80000000, v1
	v_or3_b32 v1, v18, v1, v0
	v_mov_b32_e32 v0, v19
.LBB194_438:                            ;   in Loop: Header=BB194_424 Depth=1
	s_or_b32 exec_lo, exec_lo, s14
.LBB194_439:                            ;   in Loop: Header=BB194_424 Depth=1
	s_delay_alu instid0(SALU_CYCLE_1)
	s_or_b32 exec_lo, exec_lo, s11
.LBB194_440:                            ;   in Loop: Header=BB194_424 Depth=1
	s_delay_alu instid0(SALU_CYCLE_1) | instskip(SKIP_4) | instid1(VALU_DEP_3)
	s_or_b32 exec_lo, exec_lo, s0
	v_lshrrev_b32_e32 v33, 16, v32
	v_mov_b64_e32 v[26:27], 0
	v_mov_b64_e32 v[30:31], 0
	s_mov_b32 s0, exec_lo
	v_and_b32_e32 v18, 0xff, v33
	s_delay_alu instid0(VALU_DEP_1)
	v_cmpx_ne_u16_e32 0, v18
	s_cbranch_execz .LBB194_448
; %bb.441:                              ;   in Loop: Header=BB194_424 Depth=1
	v_mov_b64_e32 v[30:31], 0x80000000
	s_mov_b32 s11, exec_lo
	v_cmpx_ne_u16_e32 0x80, v18
	s_cbranch_execz .LBB194_447
; %bb.442:                              ;   in Loop: Header=BB194_424 Depth=1
	v_mov_b64_e32 v[30:31], 0x7f800001
	v_bfe_u32 v34, v32, 16, 7
	s_mov_b32 s14, exec_lo
	s_delay_alu instid0(VALU_DEP_1)
	v_cmpx_ne_u32_e32 0x7f, v34
	s_cbranch_execz .LBB194_446
; %bb.443:                              ;   in Loop: Header=BB194_424 Depth=1
	v_dual_lshrrev_b32 v30, 3, v34 :: v_dual_bitop2_b32 v18, 7, v33 bitop3:0x40
	s_mov_b32 s15, exec_lo
	v_cmpx_gt_u32_e32 8, v34
; %bb.444:                              ;   in Loop: Header=BB194_424 Depth=1
	s_delay_alu instid0(VALU_DEP_2) | instskip(NEXT) | instid1(VALU_DEP_1)
	v_clz_i32_u32_e32 v30, v18
	v_min_u32_e32 v30, 32, v30
	s_delay_alu instid0(VALU_DEP_1) | instskip(SKIP_1) | instid1(VALU_DEP_2)
	v_subrev_nc_u32_e32 v31, 28, v30
	v_sub_nc_u32_e32 v30, 29, v30
	v_lshlrev_b64_e32 v[34:35], v31, v[18:19]
	s_delay_alu instid0(VALU_DEP_1)
	v_and_b32_e32 v18, 7, v34
; %bb.445:                              ;   in Loop: Header=BB194_424 Depth=1
	s_or_b32 exec_lo, exec_lo, s15
	s_delay_alu instid0(VALU_DEP_1) | instskip(SKIP_1) | instid1(VALU_DEP_2)
	v_dual_lshlrev_b32 v31, 24, v33 :: v_dual_lshlrev_b32 v18, 20, v18
	v_lshl_add_u32 v30, v30, 23, 0x3c000000
	v_and_b32_e32 v31, 0x80000000, v31
	s_delay_alu instid0(VALU_DEP_1) | instskip(NEXT) | instid1(VALU_DEP_1)
	v_or3_b32 v18, v18, v31, v30
	v_mov_b64_e32 v[30:31], v[18:19]
.LBB194_446:                            ;   in Loop: Header=BB194_424 Depth=1
	s_or_b32 exec_lo, exec_lo, s14
.LBB194_447:                            ;   in Loop: Header=BB194_424 Depth=1
	s_delay_alu instid0(SALU_CYCLE_1)
	s_or_b32 exec_lo, exec_lo, s11
.LBB194_448:                            ;   in Loop: Header=BB194_424 Depth=1
	s_delay_alu instid0(SALU_CYCLE_1) | instskip(NEXT) | instid1(SALU_CYCLE_1)
	s_or_b32 exec_lo, exec_lo, s0
	s_mov_b32 s0, exec_lo
	v_cmpx_lt_u32_e32 0xffffff, v32
	s_cbranch_execz .LBB194_456
; %bb.449:                              ;   in Loop: Header=BB194_424 Depth=1
	v_mov_b64_e32 v[26:27], 0x8000000000000000
	v_lshrrev_b32_e32 v33, 24, v32
	s_mov_b32 s11, exec_lo
	s_delay_alu instid0(VALU_DEP_1)
	v_cmpx_ne_u32_e32 0x80, v33
	s_cbranch_execz .LBB194_455
; %bb.450:                              ;   in Loop: Header=BB194_424 Depth=1
	v_mov_b64_e32 v[26:27], 0x7f80000100000000
	v_bfe_u32 v32, v32, 24, 7
	s_mov_b32 s14, exec_lo
	s_delay_alu instid0(VALU_DEP_1)
	v_cmpx_ne_u32_e32 0x7f, v32
	s_cbranch_execz .LBB194_454
; %bb.451:                              ;   in Loop: Header=BB194_424 Depth=1
	v_dual_lshrrev_b32 v26, 3, v32 :: v_dual_bitop2_b32 v18, 7, v33 bitop3:0x40
	s_mov_b32 s15, exec_lo
	v_cmpx_gt_u32_e32 8, v32
; %bb.452:                              ;   in Loop: Header=BB194_424 Depth=1
	s_delay_alu instid0(VALU_DEP_2) | instskip(NEXT) | instid1(VALU_DEP_1)
	v_clz_i32_u32_e32 v26, v18
	v_min_u32_e32 v26, 32, v26
	s_delay_alu instid0(VALU_DEP_1) | instskip(SKIP_1) | instid1(VALU_DEP_2)
	v_subrev_nc_u32_e32 v27, 28, v26
	v_sub_nc_u32_e32 v26, 29, v26
	v_lshlrev_b64_e32 v[34:35], v27, v[18:19]
	s_delay_alu instid0(VALU_DEP_1)
	v_and_b32_e32 v18, 7, v34
; %bb.453:                              ;   in Loop: Header=BB194_424 Depth=1
	s_or_b32 exec_lo, exec_lo, s15
	s_delay_alu instid0(VALU_DEP_1) | instskip(SKIP_1) | instid1(VALU_DEP_2)
	v_dual_lshlrev_b32 v27, 24, v33 :: v_dual_lshlrev_b32 v18, 20, v18
	v_lshl_add_u32 v26, v26, 23, 0x3c000000
	v_and_b32_e32 v27, 0x80000000, v27
	s_delay_alu instid0(VALU_DEP_1)
	v_or3_b32 v27, v18, v27, v26
	v_mov_b32_e32 v26, v19
.LBB194_454:                            ;   in Loop: Header=BB194_424 Depth=1
	s_or_b32 exec_lo, exec_lo, s14
.LBB194_455:                            ;   in Loop: Header=BB194_424 Depth=1
	s_delay_alu instid0(SALU_CYCLE_1)
	s_or_b32 exec_lo, exec_lo, s11
.LBB194_456:                            ;   in Loop: Header=BB194_424 Depth=1
	s_delay_alu instid0(SALU_CYCLE_1)
	s_or_b32 exec_lo, exec_lo, s0
	v_dual_add_nc_u32 v81, 1, v78 :: v_dual_bitop2_b32 v1, v1, v25 bitop3:0x54
	v_dual_add_nc_u32 v73, 2, v78 :: v_dual_bitop2_b32 v0, v0, v24 bitop3:0x54
	v_mov_b64_e32 v[24:25], s[2:3]
	v_dual_add_nc_u32 v72, 3, v78 :: v_dual_bitop2_b32 v31, v27, v31 bitop3:0x54
	v_or_b32_e32 v30, v26, v30
	v_cmp_eq_u32_e32 vcc_lo, s7, v80
	s_delay_alu instid0(VALU_DEP_4) | instskip(NEXT) | instid1(VALU_DEP_3)
	v_pk_mul_f32 v[26:27], v[24:25], v[0:1]
	v_pk_mul_f32 v[24:25], v[24:25], v[30:31]
	s_and_saveexec_b32 s11, vcc_lo
	s_cbranch_execz .LBB194_458
; %bb.457:                              ;   in Loop: Header=BB194_424 Depth=1
	v_cmp_gt_i32_e64 s0, s25, v78
	s_delay_alu instid0(VALU_DEP_1) | instskip(SKIP_1) | instid1(VALU_DEP_1)
	v_cndmask_b32_e64 v26, 0, v26, s0
	v_cmp_gt_i32_e64 s0, s25, v81
	v_cndmask_b32_e64 v27, 0, v27, s0
	v_cmp_gt_i32_e64 s0, s25, v73
	s_delay_alu instid0(VALU_DEP_1) | instskip(SKIP_1) | instid1(VALU_DEP_1)
	v_cndmask_b32_e64 v24, 0, v24, s0
	v_cmp_gt_i32_e64 s0, s25, v72
	v_cndmask_b32_e64 v25, 0, v25, s0
.LBB194_458:                            ;   in Loop: Header=BB194_424 Depth=1
	s_or_b32 exec_lo, exec_lo, s11
	global_load_b32 v36, v[28:29], off offset:128
	v_mov_b64_e32 v[0:1], 0
	v_mov_b64_e32 v[30:31], 0
	s_mov_b32 s11, exec_lo
	s_wait_loadcnt 0x0
	v_and_b32_e32 v18, 0xff, v36
	s_delay_alu instid0(VALU_DEP_1)
	v_cmpx_ne_u16_e32 0, v18
	s_cbranch_execz .LBB194_466
; %bb.459:                              ;   in Loop: Header=BB194_424 Depth=1
	v_mov_b64_e32 v[30:31], 0x80000000
	s_mov_b32 s14, exec_lo
	v_cmpx_ne_u16_e32 0x80, v18
	s_cbranch_execz .LBB194_465
; %bb.460:                              ;   in Loop: Header=BB194_424 Depth=1
	v_mov_b64_e32 v[30:31], 0x7f800001
	v_and_b32_e32 v32, 0x7f, v36
	s_mov_b32 s15, exec_lo
	s_delay_alu instid0(VALU_DEP_1)
	v_cmpx_ne_u32_e32 0x7f, v32
	s_cbranch_execz .LBB194_464
; %bb.461:                              ;   in Loop: Header=BB194_424 Depth=1
	v_and_b32_e32 v18, 7, v36
	v_lshrrev_b32_e32 v30, 3, v32
	s_mov_b32 s16, exec_lo
	v_cmpx_gt_u32_e32 8, v32
; %bb.462:                              ;   in Loop: Header=BB194_424 Depth=1
	s_delay_alu instid0(VALU_DEP_3) | instskip(NEXT) | instid1(VALU_DEP_1)
	v_clz_i32_u32_e32 v30, v18
	v_min_u32_e32 v30, 32, v30
	s_delay_alu instid0(VALU_DEP_1) | instskip(NEXT) | instid1(VALU_DEP_1)
	v_subrev_nc_u32_e32 v31, 28, v30
	v_lshlrev_b64_e32 v[32:33], v31, v[18:19]
	s_delay_alu instid0(VALU_DEP_1)
	v_dual_sub_nc_u32 v30, 29, v30 :: v_dual_bitop2_b32 v18, 7, v32 bitop3:0x40
; %bb.463:                              ;   in Loop: Header=BB194_424 Depth=1
	s_or_b32 exec_lo, exec_lo, s16
	s_delay_alu instid0(VALU_DEP_1) | instskip(NEXT) | instid1(VALU_DEP_2)
	v_dual_lshlrev_b32 v31, 24, v36 :: v_dual_lshlrev_b32 v18, 20, v18
	v_lshl_add_u32 v30, v30, 23, 0x3c000000
	s_delay_alu instid0(VALU_DEP_2) | instskip(NEXT) | instid1(VALU_DEP_1)
	v_and_b32_e32 v31, 0x80000000, v31
	v_or3_b32 v18, v18, v31, v30
	s_delay_alu instid0(VALU_DEP_1)
	v_mov_b64_e32 v[30:31], v[18:19]
.LBB194_464:                            ;   in Loop: Header=BB194_424 Depth=1
	s_or_b32 exec_lo, exec_lo, s15
.LBB194_465:                            ;   in Loop: Header=BB194_424 Depth=1
	s_delay_alu instid0(SALU_CYCLE_1)
	s_or_b32 exec_lo, exec_lo, s14
.LBB194_466:                            ;   in Loop: Header=BB194_424 Depth=1
	s_delay_alu instid0(SALU_CYCLE_1) | instskip(SKIP_2) | instid1(VALU_DEP_1)
	s_or_b32 exec_lo, exec_lo, s11
	v_lshrrev_b16 v18, 8, v36
	s_mov_b32 s11, exec_lo
	v_cmpx_ne_u16_e32 0, v18
	s_cbranch_execz .LBB194_474
; %bb.467:                              ;   in Loop: Header=BB194_424 Depth=1
	v_mov_b64_e32 v[0:1], 0x8000000000000000
	s_mov_b32 s14, exec_lo
	v_cmpx_ne_u16_e32 0x80, v18
	s_cbranch_execz .LBB194_473
; %bb.468:                              ;   in Loop: Header=BB194_424 Depth=1
	v_and_b32_e32 v18, 0xffff, v18
	v_mov_b64_e32 v[0:1], 0x7f80000100000000
	s_mov_b32 s15, exec_lo
	s_delay_alu instid0(VALU_DEP_2) | instskip(NEXT) | instid1(VALU_DEP_1)
	v_and_b32_e32 v32, 0x7f, v18
	v_cmpx_ne_u32_e32 0x7f, v32
	s_cbranch_execz .LBB194_472
; %bb.469:                              ;   in Loop: Header=BB194_424 Depth=1
	v_dual_lshrrev_b32 v0, 3, v32 :: v_dual_bitop2_b32 v18, 7, v18 bitop3:0x40
	s_mov_b32 s16, exec_lo
	v_cmpx_gt_u32_e32 8, v32
; %bb.470:                              ;   in Loop: Header=BB194_424 Depth=1
	s_delay_alu instid0(VALU_DEP_2) | instskip(NEXT) | instid1(VALU_DEP_1)
	v_clz_i32_u32_e32 v0, v18
	v_min_u32_e32 v0, 32, v0
	s_delay_alu instid0(VALU_DEP_1) | instskip(SKIP_1) | instid1(VALU_DEP_2)
	v_subrev_nc_u32_e32 v1, 28, v0
	v_sub_nc_u32_e32 v0, 29, v0
	v_lshlrev_b64_e32 v[32:33], v1, v[18:19]
	s_delay_alu instid0(VALU_DEP_1)
	v_and_b32_e32 v18, 7, v32
; %bb.471:                              ;   in Loop: Header=BB194_424 Depth=1
	s_or_b32 exec_lo, exec_lo, s16
	s_delay_alu instid0(VALU_DEP_1) | instskip(SKIP_1) | instid1(VALU_DEP_2)
	v_dual_lshlrev_b32 v1, 16, v36 :: v_dual_lshlrev_b32 v18, 20, v18
	v_lshl_add_u32 v0, v0, 23, 0x3c000000
	v_and_b32_e32 v1, 0x80000000, v1
	s_delay_alu instid0(VALU_DEP_1)
	v_or3_b32 v1, v18, v1, v0
	v_mov_b32_e32 v0, v19
.LBB194_472:                            ;   in Loop: Header=BB194_424 Depth=1
	s_or_b32 exec_lo, exec_lo, s15
.LBB194_473:                            ;   in Loop: Header=BB194_424 Depth=1
	s_delay_alu instid0(SALU_CYCLE_1)
	s_or_b32 exec_lo, exec_lo, s14
.LBB194_474:                            ;   in Loop: Header=BB194_424 Depth=1
	s_delay_alu instid0(SALU_CYCLE_1) | instskip(SKIP_4) | instid1(VALU_DEP_3)
	s_or_b32 exec_lo, exec_lo, s11
	v_lshrrev_b32_e32 v37, 16, v36
	v_mov_b64_e32 v[32:33], 0
	v_mov_b64_e32 v[34:35], 0
	s_mov_b32 s11, exec_lo
	v_and_b32_e32 v18, 0xff, v37
	s_delay_alu instid0(VALU_DEP_1)
	v_cmpx_ne_u16_e32 0, v18
	s_cbranch_execz .LBB194_482
; %bb.475:                              ;   in Loop: Header=BB194_424 Depth=1
	v_mov_b64_e32 v[34:35], 0x80000000
	s_mov_b32 s14, exec_lo
	v_cmpx_ne_u16_e32 0x80, v18
	s_cbranch_execz .LBB194_481
; %bb.476:                              ;   in Loop: Header=BB194_424 Depth=1
	v_mov_b64_e32 v[34:35], 0x7f800001
	v_bfe_u32 v38, v36, 16, 7
	s_mov_b32 s15, exec_lo
	s_delay_alu instid0(VALU_DEP_1)
	v_cmpx_ne_u32_e32 0x7f, v38
	s_cbranch_execz .LBB194_480
; %bb.477:                              ;   in Loop: Header=BB194_424 Depth=1
	v_dual_lshrrev_b32 v34, 3, v38 :: v_dual_bitop2_b32 v18, 7, v37 bitop3:0x40
	s_mov_b32 s16, exec_lo
	v_cmpx_gt_u32_e32 8, v38
; %bb.478:                              ;   in Loop: Header=BB194_424 Depth=1
	s_delay_alu instid0(VALU_DEP_2) | instskip(NEXT) | instid1(VALU_DEP_1)
	v_clz_i32_u32_e32 v34, v18
	v_min_u32_e32 v34, 32, v34
	s_delay_alu instid0(VALU_DEP_1) | instskip(SKIP_1) | instid1(VALU_DEP_2)
	v_subrev_nc_u32_e32 v35, 28, v34
	v_sub_nc_u32_e32 v34, 29, v34
	v_lshlrev_b64_e32 v[38:39], v35, v[18:19]
	s_delay_alu instid0(VALU_DEP_1)
	v_and_b32_e32 v18, 7, v38
; %bb.479:                              ;   in Loop: Header=BB194_424 Depth=1
	s_or_b32 exec_lo, exec_lo, s16
	s_delay_alu instid0(VALU_DEP_1) | instskip(SKIP_1) | instid1(VALU_DEP_2)
	v_dual_lshlrev_b32 v35, 24, v37 :: v_dual_lshlrev_b32 v18, 20, v18
	v_lshl_add_u32 v34, v34, 23, 0x3c000000
	v_and_b32_e32 v35, 0x80000000, v35
	s_delay_alu instid0(VALU_DEP_1) | instskip(NEXT) | instid1(VALU_DEP_1)
	v_or3_b32 v18, v18, v35, v34
	v_mov_b64_e32 v[34:35], v[18:19]
.LBB194_480:                            ;   in Loop: Header=BB194_424 Depth=1
	s_or_b32 exec_lo, exec_lo, s15
.LBB194_481:                            ;   in Loop: Header=BB194_424 Depth=1
	s_delay_alu instid0(SALU_CYCLE_1)
	s_or_b32 exec_lo, exec_lo, s14
.LBB194_482:                            ;   in Loop: Header=BB194_424 Depth=1
	s_delay_alu instid0(SALU_CYCLE_1) | instskip(NEXT) | instid1(SALU_CYCLE_1)
	s_or_b32 exec_lo, exec_lo, s11
	s_mov_b32 s11, exec_lo
	v_cmpx_lt_u32_e32 0xffffff, v36
	s_cbranch_execz .LBB194_490
; %bb.483:                              ;   in Loop: Header=BB194_424 Depth=1
	v_mov_b64_e32 v[32:33], 0x8000000000000000
	v_lshrrev_b32_e32 v37, 24, v36
	s_mov_b32 s14, exec_lo
	s_delay_alu instid0(VALU_DEP_1)
	v_cmpx_ne_u32_e32 0x80, v37
	s_cbranch_execz .LBB194_489
; %bb.484:                              ;   in Loop: Header=BB194_424 Depth=1
	v_mov_b64_e32 v[32:33], 0x7f80000100000000
	v_bfe_u32 v36, v36, 24, 7
	s_mov_b32 s15, exec_lo
	s_delay_alu instid0(VALU_DEP_1)
	v_cmpx_ne_u32_e32 0x7f, v36
	s_cbranch_execz .LBB194_488
; %bb.485:                              ;   in Loop: Header=BB194_424 Depth=1
	v_dual_lshrrev_b32 v32, 3, v36 :: v_dual_bitop2_b32 v18, 7, v37 bitop3:0x40
	s_mov_b32 s16, exec_lo
	v_cmpx_gt_u32_e32 8, v36
; %bb.486:                              ;   in Loop: Header=BB194_424 Depth=1
	s_delay_alu instid0(VALU_DEP_2) | instskip(NEXT) | instid1(VALU_DEP_1)
	v_clz_i32_u32_e32 v32, v18
	v_min_u32_e32 v32, 32, v32
	s_delay_alu instid0(VALU_DEP_1) | instskip(NEXT) | instid1(VALU_DEP_1)
	v_subrev_nc_u32_e32 v33, 28, v32
	v_lshlrev_b64_e32 v[38:39], v33, v[18:19]
	s_delay_alu instid0(VALU_DEP_1)
	v_dual_sub_nc_u32 v32, 29, v32 :: v_dual_bitop2_b32 v18, 7, v38 bitop3:0x40
; %bb.487:                              ;   in Loop: Header=BB194_424 Depth=1
	s_or_b32 exec_lo, exec_lo, s16
	s_delay_alu instid0(VALU_DEP_1) | instskip(NEXT) | instid1(VALU_DEP_2)
	v_dual_lshlrev_b32 v33, 24, v37 :: v_dual_lshlrev_b32 v18, 20, v18
	v_lshl_add_u32 v32, v32, 23, 0x3c000000
	s_delay_alu instid0(VALU_DEP_2) | instskip(NEXT) | instid1(VALU_DEP_1)
	v_and_b32_e32 v33, 0x80000000, v33
	v_or3_b32 v33, v18, v33, v32
	v_mov_b32_e32 v32, v19
.LBB194_488:                            ;   in Loop: Header=BB194_424 Depth=1
	s_or_b32 exec_lo, exec_lo, s15
.LBB194_489:                            ;   in Loop: Header=BB194_424 Depth=1
	s_delay_alu instid0(SALU_CYCLE_1)
	s_or_b32 exec_lo, exec_lo, s14
.LBB194_490:                            ;   in Loop: Header=BB194_424 Depth=1
	s_delay_alu instid0(SALU_CYCLE_1)
	s_or_b32 exec_lo, exec_lo, s11
	v_or_b32_e32 v1, v1, v31
	v_or_b32_e32 v0, v0, v30
	v_mov_b64_e32 v[30:31], s[2:3]
	v_or_b32_e32 v35, v33, v35
	v_or_b32_e32 v34, v32, v34
	s_delay_alu instid0(VALU_DEP_3) | instskip(NEXT) | instid1(VALU_DEP_2)
	v_pk_mul_f32 v[32:33], v[30:31], v[0:1]
	v_pk_mul_f32 v[30:31], v[30:31], v[34:35]
	s_and_saveexec_b32 s11, vcc_lo
	s_cbranch_execz .LBB194_492
; %bb.491:                              ;   in Loop: Header=BB194_424 Depth=1
	v_cmp_gt_i32_e64 s0, s25, v78
	s_delay_alu instid0(VALU_DEP_1) | instskip(SKIP_1) | instid1(VALU_DEP_1)
	v_cndmask_b32_e64 v32, 0, v32, s0
	v_cmp_gt_i32_e64 s0, s25, v81
	v_cndmask_b32_e64 v33, 0, v33, s0
	v_cmp_gt_i32_e64 s0, s25, v73
	s_delay_alu instid0(VALU_DEP_1) | instskip(SKIP_1) | instid1(VALU_DEP_1)
	v_cndmask_b32_e64 v30, 0, v30, s0
	v_cmp_gt_i32_e64 s0, s25, v72
	v_cndmask_b32_e64 v31, 0, v31, s0
.LBB194_492:                            ;   in Loop: Header=BB194_424 Depth=1
	s_or_b32 exec_lo, exec_lo, s11
	global_load_b32 v40, v[28:29], off offset:256
	v_mov_b64_e32 v[0:1], 0
	v_mov_b64_e32 v[34:35], 0
	s_mov_b32 s11, exec_lo
	s_wait_loadcnt 0x0
	v_and_b32_e32 v18, 0xff, v40
	s_delay_alu instid0(VALU_DEP_1)
	v_cmpx_ne_u16_e32 0, v18
	s_cbranch_execz .LBB194_500
; %bb.493:                              ;   in Loop: Header=BB194_424 Depth=1
	v_mov_b64_e32 v[34:35], 0x80000000
	s_mov_b32 s14, exec_lo
	v_cmpx_ne_u16_e32 0x80, v18
	s_cbranch_execz .LBB194_499
; %bb.494:                              ;   in Loop: Header=BB194_424 Depth=1
	v_mov_b64_e32 v[34:35], 0x7f800001
	v_and_b32_e32 v36, 0x7f, v40
	s_mov_b32 s15, exec_lo
	s_delay_alu instid0(VALU_DEP_1)
	v_cmpx_ne_u32_e32 0x7f, v36
	s_cbranch_execz .LBB194_498
; %bb.495:                              ;   in Loop: Header=BB194_424 Depth=1
	v_and_b32_e32 v18, 7, v40
	v_lshrrev_b32_e32 v34, 3, v36
	s_mov_b32 s16, exec_lo
	v_cmpx_gt_u32_e32 8, v36
; %bb.496:                              ;   in Loop: Header=BB194_424 Depth=1
	s_delay_alu instid0(VALU_DEP_3) | instskip(NEXT) | instid1(VALU_DEP_1)
	v_clz_i32_u32_e32 v34, v18
	v_min_u32_e32 v34, 32, v34
	s_delay_alu instid0(VALU_DEP_1) | instskip(NEXT) | instid1(VALU_DEP_1)
	v_subrev_nc_u32_e32 v35, 28, v34
	v_lshlrev_b64_e32 v[36:37], v35, v[18:19]
	s_delay_alu instid0(VALU_DEP_1)
	v_dual_sub_nc_u32 v34, 29, v34 :: v_dual_bitop2_b32 v18, 7, v36 bitop3:0x40
; %bb.497:                              ;   in Loop: Header=BB194_424 Depth=1
	s_or_b32 exec_lo, exec_lo, s16
	s_delay_alu instid0(VALU_DEP_1) | instskip(NEXT) | instid1(VALU_DEP_2)
	v_dual_lshlrev_b32 v35, 24, v40 :: v_dual_lshlrev_b32 v18, 20, v18
	v_lshl_add_u32 v34, v34, 23, 0x3c000000
	s_delay_alu instid0(VALU_DEP_2) | instskip(NEXT) | instid1(VALU_DEP_1)
	v_and_b32_e32 v35, 0x80000000, v35
	v_or3_b32 v18, v18, v35, v34
	s_delay_alu instid0(VALU_DEP_1)
	v_mov_b64_e32 v[34:35], v[18:19]
.LBB194_498:                            ;   in Loop: Header=BB194_424 Depth=1
	s_or_b32 exec_lo, exec_lo, s15
.LBB194_499:                            ;   in Loop: Header=BB194_424 Depth=1
	s_delay_alu instid0(SALU_CYCLE_1)
	s_or_b32 exec_lo, exec_lo, s14
.LBB194_500:                            ;   in Loop: Header=BB194_424 Depth=1
	s_delay_alu instid0(SALU_CYCLE_1) | instskip(SKIP_2) | instid1(VALU_DEP_1)
	s_or_b32 exec_lo, exec_lo, s11
	v_lshrrev_b16 v18, 8, v40
	s_mov_b32 s11, exec_lo
	v_cmpx_ne_u16_e32 0, v18
	s_cbranch_execz .LBB194_508
; %bb.501:                              ;   in Loop: Header=BB194_424 Depth=1
	v_mov_b64_e32 v[0:1], 0x8000000000000000
	s_mov_b32 s14, exec_lo
	v_cmpx_ne_u16_e32 0x80, v18
	s_cbranch_execz .LBB194_507
; %bb.502:                              ;   in Loop: Header=BB194_424 Depth=1
	v_and_b32_e32 v18, 0xffff, v18
	v_mov_b64_e32 v[0:1], 0x7f80000100000000
	s_mov_b32 s15, exec_lo
	s_delay_alu instid0(VALU_DEP_2) | instskip(NEXT) | instid1(VALU_DEP_1)
	v_and_b32_e32 v36, 0x7f, v18
	v_cmpx_ne_u32_e32 0x7f, v36
	s_cbranch_execz .LBB194_506
; %bb.503:                              ;   in Loop: Header=BB194_424 Depth=1
	v_dual_lshrrev_b32 v0, 3, v36 :: v_dual_bitop2_b32 v18, 7, v18 bitop3:0x40
	s_mov_b32 s16, exec_lo
	v_cmpx_gt_u32_e32 8, v36
; %bb.504:                              ;   in Loop: Header=BB194_424 Depth=1
	s_delay_alu instid0(VALU_DEP_2) | instskip(NEXT) | instid1(VALU_DEP_1)
	v_clz_i32_u32_e32 v0, v18
	v_min_u32_e32 v0, 32, v0
	s_delay_alu instid0(VALU_DEP_1) | instskip(SKIP_1) | instid1(VALU_DEP_2)
	v_subrev_nc_u32_e32 v1, 28, v0
	v_sub_nc_u32_e32 v0, 29, v0
	v_lshlrev_b64_e32 v[36:37], v1, v[18:19]
	s_delay_alu instid0(VALU_DEP_1)
	v_and_b32_e32 v18, 7, v36
; %bb.505:                              ;   in Loop: Header=BB194_424 Depth=1
	s_or_b32 exec_lo, exec_lo, s16
	s_delay_alu instid0(VALU_DEP_1) | instskip(SKIP_1) | instid1(VALU_DEP_2)
	v_dual_lshlrev_b32 v1, 16, v40 :: v_dual_lshlrev_b32 v18, 20, v18
	v_lshl_add_u32 v0, v0, 23, 0x3c000000
	v_and_b32_e32 v1, 0x80000000, v1
	s_delay_alu instid0(VALU_DEP_1)
	v_or3_b32 v1, v18, v1, v0
	v_mov_b32_e32 v0, v19
.LBB194_506:                            ;   in Loop: Header=BB194_424 Depth=1
	s_or_b32 exec_lo, exec_lo, s15
.LBB194_507:                            ;   in Loop: Header=BB194_424 Depth=1
	s_delay_alu instid0(SALU_CYCLE_1)
	s_or_b32 exec_lo, exec_lo, s14
.LBB194_508:                            ;   in Loop: Header=BB194_424 Depth=1
	s_delay_alu instid0(SALU_CYCLE_1) | instskip(SKIP_4) | instid1(VALU_DEP_3)
	s_or_b32 exec_lo, exec_lo, s11
	v_lshrrev_b32_e32 v41, 16, v40
	v_mov_b64_e32 v[36:37], 0
	v_mov_b64_e32 v[38:39], 0
	s_mov_b32 s11, exec_lo
	v_and_b32_e32 v18, 0xff, v41
	s_delay_alu instid0(VALU_DEP_1)
	v_cmpx_ne_u16_e32 0, v18
	s_cbranch_execz .LBB194_516
; %bb.509:                              ;   in Loop: Header=BB194_424 Depth=1
	v_mov_b64_e32 v[38:39], 0x80000000
	s_mov_b32 s14, exec_lo
	v_cmpx_ne_u16_e32 0x80, v18
	s_cbranch_execz .LBB194_515
; %bb.510:                              ;   in Loop: Header=BB194_424 Depth=1
	v_mov_b64_e32 v[38:39], 0x7f800001
	v_bfe_u32 v42, v40, 16, 7
	s_mov_b32 s15, exec_lo
	s_delay_alu instid0(VALU_DEP_1)
	v_cmpx_ne_u32_e32 0x7f, v42
	s_cbranch_execz .LBB194_514
; %bb.511:                              ;   in Loop: Header=BB194_424 Depth=1
	v_dual_lshrrev_b32 v38, 3, v42 :: v_dual_bitop2_b32 v18, 7, v41 bitop3:0x40
	s_mov_b32 s16, exec_lo
	v_cmpx_gt_u32_e32 8, v42
; %bb.512:                              ;   in Loop: Header=BB194_424 Depth=1
	s_delay_alu instid0(VALU_DEP_2) | instskip(NEXT) | instid1(VALU_DEP_1)
	v_clz_i32_u32_e32 v38, v18
	v_min_u32_e32 v38, 32, v38
	s_delay_alu instid0(VALU_DEP_1) | instskip(SKIP_1) | instid1(VALU_DEP_2)
	v_subrev_nc_u32_e32 v39, 28, v38
	v_sub_nc_u32_e32 v38, 29, v38
	v_lshlrev_b64_e32 v[42:43], v39, v[18:19]
	s_delay_alu instid0(VALU_DEP_1)
	v_and_b32_e32 v18, 7, v42
; %bb.513:                              ;   in Loop: Header=BB194_424 Depth=1
	s_or_b32 exec_lo, exec_lo, s16
	s_delay_alu instid0(VALU_DEP_1) | instskip(SKIP_1) | instid1(VALU_DEP_2)
	v_dual_lshlrev_b32 v39, 24, v41 :: v_dual_lshlrev_b32 v18, 20, v18
	v_lshl_add_u32 v38, v38, 23, 0x3c000000
	v_and_b32_e32 v39, 0x80000000, v39
	s_delay_alu instid0(VALU_DEP_1) | instskip(NEXT) | instid1(VALU_DEP_1)
	v_or3_b32 v18, v18, v39, v38
	v_mov_b64_e32 v[38:39], v[18:19]
.LBB194_514:                            ;   in Loop: Header=BB194_424 Depth=1
	s_or_b32 exec_lo, exec_lo, s15
.LBB194_515:                            ;   in Loop: Header=BB194_424 Depth=1
	s_delay_alu instid0(SALU_CYCLE_1)
	s_or_b32 exec_lo, exec_lo, s14
.LBB194_516:                            ;   in Loop: Header=BB194_424 Depth=1
	s_delay_alu instid0(SALU_CYCLE_1) | instskip(NEXT) | instid1(SALU_CYCLE_1)
	s_or_b32 exec_lo, exec_lo, s11
	s_mov_b32 s11, exec_lo
	v_cmpx_lt_u32_e32 0xffffff, v40
	s_cbranch_execz .LBB194_524
; %bb.517:                              ;   in Loop: Header=BB194_424 Depth=1
	v_mov_b64_e32 v[36:37], 0x8000000000000000
	v_lshrrev_b32_e32 v41, 24, v40
	s_mov_b32 s14, exec_lo
	s_delay_alu instid0(VALU_DEP_1)
	v_cmpx_ne_u32_e32 0x80, v41
	s_cbranch_execz .LBB194_523
; %bb.518:                              ;   in Loop: Header=BB194_424 Depth=1
	v_mov_b64_e32 v[36:37], 0x7f80000100000000
	v_bfe_u32 v40, v40, 24, 7
	s_mov_b32 s15, exec_lo
	s_delay_alu instid0(VALU_DEP_1)
	v_cmpx_ne_u32_e32 0x7f, v40
	s_cbranch_execz .LBB194_522
; %bb.519:                              ;   in Loop: Header=BB194_424 Depth=1
	v_dual_lshrrev_b32 v36, 3, v40 :: v_dual_bitop2_b32 v18, 7, v41 bitop3:0x40
	s_mov_b32 s16, exec_lo
	v_cmpx_gt_u32_e32 8, v40
; %bb.520:                              ;   in Loop: Header=BB194_424 Depth=1
	s_delay_alu instid0(VALU_DEP_2) | instskip(NEXT) | instid1(VALU_DEP_1)
	v_clz_i32_u32_e32 v36, v18
	v_min_u32_e32 v36, 32, v36
	s_delay_alu instid0(VALU_DEP_1) | instskip(NEXT) | instid1(VALU_DEP_1)
	v_subrev_nc_u32_e32 v37, 28, v36
	v_lshlrev_b64_e32 v[42:43], v37, v[18:19]
	s_delay_alu instid0(VALU_DEP_1)
	v_dual_sub_nc_u32 v36, 29, v36 :: v_dual_bitop2_b32 v18, 7, v42 bitop3:0x40
; %bb.521:                              ;   in Loop: Header=BB194_424 Depth=1
	s_or_b32 exec_lo, exec_lo, s16
	s_delay_alu instid0(VALU_DEP_1) | instskip(NEXT) | instid1(VALU_DEP_2)
	v_dual_lshlrev_b32 v37, 24, v41 :: v_dual_lshlrev_b32 v18, 20, v18
	v_lshl_add_u32 v36, v36, 23, 0x3c000000
	s_delay_alu instid0(VALU_DEP_2) | instskip(NEXT) | instid1(VALU_DEP_1)
	v_and_b32_e32 v37, 0x80000000, v37
	v_or3_b32 v37, v18, v37, v36
	v_mov_b32_e32 v36, v19
.LBB194_522:                            ;   in Loop: Header=BB194_424 Depth=1
	s_or_b32 exec_lo, exec_lo, s15
.LBB194_523:                            ;   in Loop: Header=BB194_424 Depth=1
	s_delay_alu instid0(SALU_CYCLE_1)
	s_or_b32 exec_lo, exec_lo, s14
.LBB194_524:                            ;   in Loop: Header=BB194_424 Depth=1
	s_delay_alu instid0(SALU_CYCLE_1)
	s_or_b32 exec_lo, exec_lo, s11
	v_or_b32_e32 v1, v1, v35
	v_or_b32_e32 v0, v0, v34
	v_mov_b64_e32 v[34:35], s[2:3]
	v_or_b32_e32 v39, v37, v39
	v_or_b32_e32 v38, v36, v38
	s_delay_alu instid0(VALU_DEP_3) | instskip(NEXT) | instid1(VALU_DEP_2)
	v_pk_mul_f32 v[36:37], v[34:35], v[0:1]
	v_pk_mul_f32 v[34:35], v[34:35], v[38:39]
	s_and_saveexec_b32 s11, vcc_lo
	s_cbranch_execz .LBB194_526
; %bb.525:                              ;   in Loop: Header=BB194_424 Depth=1
	v_cmp_gt_i32_e64 s0, s25, v78
	s_delay_alu instid0(VALU_DEP_1) | instskip(SKIP_1) | instid1(VALU_DEP_1)
	v_cndmask_b32_e64 v36, 0, v36, s0
	v_cmp_gt_i32_e64 s0, s25, v81
	v_cndmask_b32_e64 v37, 0, v37, s0
	v_cmp_gt_i32_e64 s0, s25, v73
	s_delay_alu instid0(VALU_DEP_1) | instskip(SKIP_1) | instid1(VALU_DEP_1)
	v_cndmask_b32_e64 v34, 0, v34, s0
	v_cmp_gt_i32_e64 s0, s25, v72
	v_cndmask_b32_e64 v35, 0, v35, s0
.LBB194_526:                            ;   in Loop: Header=BB194_424 Depth=1
	s_or_b32 exec_lo, exec_lo, s11
	global_load_b32 v44, v[28:29], off offset:384
	v_mov_b64_e32 v[0:1], 0
	v_mov_b64_e32 v[38:39], 0
	s_mov_b32 s11, exec_lo
	s_wait_loadcnt 0x0
	v_and_b32_e32 v18, 0xff, v44
	s_delay_alu instid0(VALU_DEP_1)
	v_cmpx_ne_u16_e32 0, v18
	s_cbranch_execz .LBB194_534
; %bb.527:                              ;   in Loop: Header=BB194_424 Depth=1
	v_mov_b64_e32 v[38:39], 0x80000000
	s_mov_b32 s14, exec_lo
	v_cmpx_ne_u16_e32 0x80, v18
	s_cbranch_execz .LBB194_533
; %bb.528:                              ;   in Loop: Header=BB194_424 Depth=1
	v_mov_b64_e32 v[38:39], 0x7f800001
	v_and_b32_e32 v40, 0x7f, v44
	s_mov_b32 s15, exec_lo
	s_delay_alu instid0(VALU_DEP_1)
	v_cmpx_ne_u32_e32 0x7f, v40
	s_cbranch_execz .LBB194_532
; %bb.529:                              ;   in Loop: Header=BB194_424 Depth=1
	v_and_b32_e32 v18, 7, v44
	v_lshrrev_b32_e32 v38, 3, v40
	s_mov_b32 s16, exec_lo
	v_cmpx_gt_u32_e32 8, v40
; %bb.530:                              ;   in Loop: Header=BB194_424 Depth=1
	s_delay_alu instid0(VALU_DEP_3) | instskip(NEXT) | instid1(VALU_DEP_1)
	v_clz_i32_u32_e32 v38, v18
	v_min_u32_e32 v38, 32, v38
	s_delay_alu instid0(VALU_DEP_1) | instskip(NEXT) | instid1(VALU_DEP_1)
	v_subrev_nc_u32_e32 v39, 28, v38
	v_lshlrev_b64_e32 v[40:41], v39, v[18:19]
	s_delay_alu instid0(VALU_DEP_1)
	v_dual_sub_nc_u32 v38, 29, v38 :: v_dual_bitop2_b32 v18, 7, v40 bitop3:0x40
; %bb.531:                              ;   in Loop: Header=BB194_424 Depth=1
	s_or_b32 exec_lo, exec_lo, s16
	s_delay_alu instid0(VALU_DEP_1) | instskip(NEXT) | instid1(VALU_DEP_2)
	v_dual_lshlrev_b32 v39, 24, v44 :: v_dual_lshlrev_b32 v18, 20, v18
	v_lshl_add_u32 v38, v38, 23, 0x3c000000
	s_delay_alu instid0(VALU_DEP_2) | instskip(NEXT) | instid1(VALU_DEP_1)
	v_and_b32_e32 v39, 0x80000000, v39
	v_or3_b32 v18, v18, v39, v38
	s_delay_alu instid0(VALU_DEP_1)
	v_mov_b64_e32 v[38:39], v[18:19]
.LBB194_532:                            ;   in Loop: Header=BB194_424 Depth=1
	s_or_b32 exec_lo, exec_lo, s15
.LBB194_533:                            ;   in Loop: Header=BB194_424 Depth=1
	s_delay_alu instid0(SALU_CYCLE_1)
	s_or_b32 exec_lo, exec_lo, s14
.LBB194_534:                            ;   in Loop: Header=BB194_424 Depth=1
	s_delay_alu instid0(SALU_CYCLE_1) | instskip(SKIP_2) | instid1(VALU_DEP_1)
	s_or_b32 exec_lo, exec_lo, s11
	v_lshrrev_b16 v18, 8, v44
	s_mov_b32 s11, exec_lo
	v_cmpx_ne_u16_e32 0, v18
	s_cbranch_execz .LBB194_542
; %bb.535:                              ;   in Loop: Header=BB194_424 Depth=1
	v_mov_b64_e32 v[0:1], 0x8000000000000000
	s_mov_b32 s14, exec_lo
	v_cmpx_ne_u16_e32 0x80, v18
	s_cbranch_execz .LBB194_541
; %bb.536:                              ;   in Loop: Header=BB194_424 Depth=1
	v_and_b32_e32 v18, 0xffff, v18
	v_mov_b64_e32 v[0:1], 0x7f80000100000000
	s_mov_b32 s15, exec_lo
	s_delay_alu instid0(VALU_DEP_2) | instskip(NEXT) | instid1(VALU_DEP_1)
	v_and_b32_e32 v40, 0x7f, v18
	v_cmpx_ne_u32_e32 0x7f, v40
	s_cbranch_execz .LBB194_540
; %bb.537:                              ;   in Loop: Header=BB194_424 Depth=1
	v_dual_lshrrev_b32 v0, 3, v40 :: v_dual_bitop2_b32 v18, 7, v18 bitop3:0x40
	s_mov_b32 s16, exec_lo
	v_cmpx_gt_u32_e32 8, v40
; %bb.538:                              ;   in Loop: Header=BB194_424 Depth=1
	s_delay_alu instid0(VALU_DEP_2) | instskip(NEXT) | instid1(VALU_DEP_1)
	v_clz_i32_u32_e32 v0, v18
	v_min_u32_e32 v0, 32, v0
	s_delay_alu instid0(VALU_DEP_1) | instskip(SKIP_1) | instid1(VALU_DEP_2)
	v_subrev_nc_u32_e32 v1, 28, v0
	v_sub_nc_u32_e32 v0, 29, v0
	v_lshlrev_b64_e32 v[40:41], v1, v[18:19]
	s_delay_alu instid0(VALU_DEP_1)
	v_and_b32_e32 v18, 7, v40
; %bb.539:                              ;   in Loop: Header=BB194_424 Depth=1
	s_or_b32 exec_lo, exec_lo, s16
	s_delay_alu instid0(VALU_DEP_1) | instskip(SKIP_1) | instid1(VALU_DEP_2)
	v_dual_lshlrev_b32 v1, 16, v44 :: v_dual_lshlrev_b32 v18, 20, v18
	v_lshl_add_u32 v0, v0, 23, 0x3c000000
	v_and_b32_e32 v1, 0x80000000, v1
	s_delay_alu instid0(VALU_DEP_1)
	v_or3_b32 v1, v18, v1, v0
	v_mov_b32_e32 v0, v19
.LBB194_540:                            ;   in Loop: Header=BB194_424 Depth=1
	s_or_b32 exec_lo, exec_lo, s15
.LBB194_541:                            ;   in Loop: Header=BB194_424 Depth=1
	s_delay_alu instid0(SALU_CYCLE_1)
	s_or_b32 exec_lo, exec_lo, s14
.LBB194_542:                            ;   in Loop: Header=BB194_424 Depth=1
	s_delay_alu instid0(SALU_CYCLE_1) | instskip(SKIP_4) | instid1(VALU_DEP_3)
	s_or_b32 exec_lo, exec_lo, s11
	v_lshrrev_b32_e32 v45, 16, v44
	v_mov_b64_e32 v[40:41], 0
	v_mov_b64_e32 v[42:43], 0
	s_mov_b32 s11, exec_lo
	v_and_b32_e32 v18, 0xff, v45
	s_delay_alu instid0(VALU_DEP_1)
	v_cmpx_ne_u16_e32 0, v18
	s_cbranch_execz .LBB194_550
; %bb.543:                              ;   in Loop: Header=BB194_424 Depth=1
	v_mov_b64_e32 v[42:43], 0x80000000
	s_mov_b32 s14, exec_lo
	v_cmpx_ne_u16_e32 0x80, v18
	s_cbranch_execz .LBB194_549
; %bb.544:                              ;   in Loop: Header=BB194_424 Depth=1
	v_mov_b64_e32 v[42:43], 0x7f800001
	v_bfe_u32 v46, v44, 16, 7
	s_mov_b32 s15, exec_lo
	s_delay_alu instid0(VALU_DEP_1)
	v_cmpx_ne_u32_e32 0x7f, v46
	s_cbranch_execz .LBB194_548
; %bb.545:                              ;   in Loop: Header=BB194_424 Depth=1
	v_dual_lshrrev_b32 v42, 3, v46 :: v_dual_bitop2_b32 v18, 7, v45 bitop3:0x40
	s_mov_b32 s16, exec_lo
	v_cmpx_gt_u32_e32 8, v46
; %bb.546:                              ;   in Loop: Header=BB194_424 Depth=1
	s_delay_alu instid0(VALU_DEP_2) | instskip(NEXT) | instid1(VALU_DEP_1)
	v_clz_i32_u32_e32 v42, v18
	v_min_u32_e32 v42, 32, v42
	s_delay_alu instid0(VALU_DEP_1) | instskip(SKIP_1) | instid1(VALU_DEP_2)
	v_subrev_nc_u32_e32 v43, 28, v42
	v_sub_nc_u32_e32 v42, 29, v42
	v_lshlrev_b64_e32 v[46:47], v43, v[18:19]
	s_delay_alu instid0(VALU_DEP_1)
	v_and_b32_e32 v18, 7, v46
; %bb.547:                              ;   in Loop: Header=BB194_424 Depth=1
	s_or_b32 exec_lo, exec_lo, s16
	s_delay_alu instid0(VALU_DEP_1) | instskip(SKIP_1) | instid1(VALU_DEP_2)
	v_dual_lshlrev_b32 v43, 24, v45 :: v_dual_lshlrev_b32 v18, 20, v18
	v_lshl_add_u32 v42, v42, 23, 0x3c000000
	v_and_b32_e32 v43, 0x80000000, v43
	s_delay_alu instid0(VALU_DEP_1) | instskip(NEXT) | instid1(VALU_DEP_1)
	v_or3_b32 v18, v18, v43, v42
	v_mov_b64_e32 v[42:43], v[18:19]
.LBB194_548:                            ;   in Loop: Header=BB194_424 Depth=1
	s_or_b32 exec_lo, exec_lo, s15
.LBB194_549:                            ;   in Loop: Header=BB194_424 Depth=1
	s_delay_alu instid0(SALU_CYCLE_1)
	s_or_b32 exec_lo, exec_lo, s14
.LBB194_550:                            ;   in Loop: Header=BB194_424 Depth=1
	s_delay_alu instid0(SALU_CYCLE_1) | instskip(NEXT) | instid1(SALU_CYCLE_1)
	s_or_b32 exec_lo, exec_lo, s11
	s_mov_b32 s11, exec_lo
	v_cmpx_lt_u32_e32 0xffffff, v44
	s_cbranch_execz .LBB194_558
; %bb.551:                              ;   in Loop: Header=BB194_424 Depth=1
	v_mov_b64_e32 v[40:41], 0x8000000000000000
	v_lshrrev_b32_e32 v45, 24, v44
	s_mov_b32 s14, exec_lo
	s_delay_alu instid0(VALU_DEP_1)
	v_cmpx_ne_u32_e32 0x80, v45
	s_cbranch_execz .LBB194_557
; %bb.552:                              ;   in Loop: Header=BB194_424 Depth=1
	v_mov_b64_e32 v[40:41], 0x7f80000100000000
	v_bfe_u32 v44, v44, 24, 7
	s_mov_b32 s15, exec_lo
	s_delay_alu instid0(VALU_DEP_1)
	v_cmpx_ne_u32_e32 0x7f, v44
	s_cbranch_execz .LBB194_556
; %bb.553:                              ;   in Loop: Header=BB194_424 Depth=1
	v_dual_lshrrev_b32 v40, 3, v44 :: v_dual_bitop2_b32 v18, 7, v45 bitop3:0x40
	s_mov_b32 s16, exec_lo
	v_cmpx_gt_u32_e32 8, v44
; %bb.554:                              ;   in Loop: Header=BB194_424 Depth=1
	s_delay_alu instid0(VALU_DEP_2) | instskip(NEXT) | instid1(VALU_DEP_1)
	v_clz_i32_u32_e32 v40, v18
	v_min_u32_e32 v40, 32, v40
	s_delay_alu instid0(VALU_DEP_1) | instskip(NEXT) | instid1(VALU_DEP_1)
	v_subrev_nc_u32_e32 v41, 28, v40
	v_lshlrev_b64_e32 v[46:47], v41, v[18:19]
	s_delay_alu instid0(VALU_DEP_1)
	v_dual_sub_nc_u32 v40, 29, v40 :: v_dual_bitop2_b32 v18, 7, v46 bitop3:0x40
; %bb.555:                              ;   in Loop: Header=BB194_424 Depth=1
	s_or_b32 exec_lo, exec_lo, s16
	s_delay_alu instid0(VALU_DEP_1) | instskip(NEXT) | instid1(VALU_DEP_2)
	v_dual_lshlrev_b32 v41, 24, v45 :: v_dual_lshlrev_b32 v18, 20, v18
	v_lshl_add_u32 v40, v40, 23, 0x3c000000
	s_delay_alu instid0(VALU_DEP_2) | instskip(NEXT) | instid1(VALU_DEP_1)
	v_and_b32_e32 v41, 0x80000000, v41
	v_or3_b32 v41, v18, v41, v40
	v_mov_b32_e32 v40, v19
.LBB194_556:                            ;   in Loop: Header=BB194_424 Depth=1
	s_or_b32 exec_lo, exec_lo, s15
.LBB194_557:                            ;   in Loop: Header=BB194_424 Depth=1
	s_delay_alu instid0(SALU_CYCLE_1)
	s_or_b32 exec_lo, exec_lo, s14
.LBB194_558:                            ;   in Loop: Header=BB194_424 Depth=1
	s_delay_alu instid0(SALU_CYCLE_1)
	s_or_b32 exec_lo, exec_lo, s11
	v_or_b32_e32 v1, v1, v39
	v_or_b32_e32 v0, v0, v38
	v_mov_b64_e32 v[38:39], s[2:3]
	v_or_b32_e32 v43, v41, v43
	v_or_b32_e32 v42, v40, v42
	s_delay_alu instid0(VALU_DEP_3) | instskip(NEXT) | instid1(VALU_DEP_2)
	v_pk_mul_f32 v[40:41], v[38:39], v[0:1]
	v_pk_mul_f32 v[38:39], v[38:39], v[42:43]
	s_and_saveexec_b32 s11, vcc_lo
	s_cbranch_execz .LBB194_560
; %bb.559:                              ;   in Loop: Header=BB194_424 Depth=1
	v_cmp_gt_i32_e64 s0, s25, v78
	s_delay_alu instid0(VALU_DEP_1) | instskip(SKIP_1) | instid1(VALU_DEP_1)
	v_cndmask_b32_e64 v40, 0, v40, s0
	v_cmp_gt_i32_e64 s0, s25, v81
	v_cndmask_b32_e64 v41, 0, v41, s0
	v_cmp_gt_i32_e64 s0, s25, v73
	s_delay_alu instid0(VALU_DEP_1) | instskip(SKIP_1) | instid1(VALU_DEP_1)
	v_cndmask_b32_e64 v38, 0, v38, s0
	v_cmp_gt_i32_e64 s0, s25, v72
	v_cndmask_b32_e64 v39, 0, v39, s0
.LBB194_560:                            ;   in Loop: Header=BB194_424 Depth=1
	s_or_b32 exec_lo, exec_lo, s11
	global_load_b32 v48, v[28:29], off offset:512
	v_mov_b64_e32 v[0:1], 0
	v_mov_b64_e32 v[42:43], 0
	s_mov_b32 s11, exec_lo
	s_wait_loadcnt 0x0
	v_and_b32_e32 v18, 0xff, v48
	s_delay_alu instid0(VALU_DEP_1)
	v_cmpx_ne_u16_e32 0, v18
	s_cbranch_execz .LBB194_568
; %bb.561:                              ;   in Loop: Header=BB194_424 Depth=1
	v_mov_b64_e32 v[42:43], 0x80000000
	s_mov_b32 s14, exec_lo
	v_cmpx_ne_u16_e32 0x80, v18
	s_cbranch_execz .LBB194_567
; %bb.562:                              ;   in Loop: Header=BB194_424 Depth=1
	v_mov_b64_e32 v[42:43], 0x7f800001
	v_and_b32_e32 v44, 0x7f, v48
	s_mov_b32 s15, exec_lo
	s_delay_alu instid0(VALU_DEP_1)
	v_cmpx_ne_u32_e32 0x7f, v44
	s_cbranch_execz .LBB194_566
; %bb.563:                              ;   in Loop: Header=BB194_424 Depth=1
	v_and_b32_e32 v18, 7, v48
	v_lshrrev_b32_e32 v42, 3, v44
	s_mov_b32 s16, exec_lo
	v_cmpx_gt_u32_e32 8, v44
; %bb.564:                              ;   in Loop: Header=BB194_424 Depth=1
	s_delay_alu instid0(VALU_DEP_3) | instskip(NEXT) | instid1(VALU_DEP_1)
	v_clz_i32_u32_e32 v42, v18
	v_min_u32_e32 v42, 32, v42
	s_delay_alu instid0(VALU_DEP_1) | instskip(NEXT) | instid1(VALU_DEP_1)
	v_subrev_nc_u32_e32 v43, 28, v42
	v_lshlrev_b64_e32 v[44:45], v43, v[18:19]
	s_delay_alu instid0(VALU_DEP_1)
	v_dual_sub_nc_u32 v42, 29, v42 :: v_dual_bitop2_b32 v18, 7, v44 bitop3:0x40
; %bb.565:                              ;   in Loop: Header=BB194_424 Depth=1
	s_or_b32 exec_lo, exec_lo, s16
	s_delay_alu instid0(VALU_DEP_1) | instskip(NEXT) | instid1(VALU_DEP_2)
	v_dual_lshlrev_b32 v43, 24, v48 :: v_dual_lshlrev_b32 v18, 20, v18
	v_lshl_add_u32 v42, v42, 23, 0x3c000000
	s_delay_alu instid0(VALU_DEP_2) | instskip(NEXT) | instid1(VALU_DEP_1)
	v_and_b32_e32 v43, 0x80000000, v43
	v_or3_b32 v18, v18, v43, v42
	s_delay_alu instid0(VALU_DEP_1)
	v_mov_b64_e32 v[42:43], v[18:19]
.LBB194_566:                            ;   in Loop: Header=BB194_424 Depth=1
	s_or_b32 exec_lo, exec_lo, s15
.LBB194_567:                            ;   in Loop: Header=BB194_424 Depth=1
	s_delay_alu instid0(SALU_CYCLE_1)
	s_or_b32 exec_lo, exec_lo, s14
.LBB194_568:                            ;   in Loop: Header=BB194_424 Depth=1
	s_delay_alu instid0(SALU_CYCLE_1) | instskip(SKIP_2) | instid1(VALU_DEP_1)
	s_or_b32 exec_lo, exec_lo, s11
	v_lshrrev_b16 v18, 8, v48
	s_mov_b32 s11, exec_lo
	v_cmpx_ne_u16_e32 0, v18
	s_cbranch_execz .LBB194_576
; %bb.569:                              ;   in Loop: Header=BB194_424 Depth=1
	v_mov_b64_e32 v[0:1], 0x8000000000000000
	s_mov_b32 s14, exec_lo
	v_cmpx_ne_u16_e32 0x80, v18
	s_cbranch_execz .LBB194_575
; %bb.570:                              ;   in Loop: Header=BB194_424 Depth=1
	v_and_b32_e32 v18, 0xffff, v18
	v_mov_b64_e32 v[0:1], 0x7f80000100000000
	s_mov_b32 s15, exec_lo
	s_delay_alu instid0(VALU_DEP_2) | instskip(NEXT) | instid1(VALU_DEP_1)
	v_and_b32_e32 v44, 0x7f, v18
	v_cmpx_ne_u32_e32 0x7f, v44
	s_cbranch_execz .LBB194_574
; %bb.571:                              ;   in Loop: Header=BB194_424 Depth=1
	v_dual_lshrrev_b32 v0, 3, v44 :: v_dual_bitop2_b32 v18, 7, v18 bitop3:0x40
	s_mov_b32 s16, exec_lo
	v_cmpx_gt_u32_e32 8, v44
; %bb.572:                              ;   in Loop: Header=BB194_424 Depth=1
	s_delay_alu instid0(VALU_DEP_2) | instskip(NEXT) | instid1(VALU_DEP_1)
	v_clz_i32_u32_e32 v0, v18
	v_min_u32_e32 v0, 32, v0
	s_delay_alu instid0(VALU_DEP_1) | instskip(SKIP_1) | instid1(VALU_DEP_2)
	v_subrev_nc_u32_e32 v1, 28, v0
	v_sub_nc_u32_e32 v0, 29, v0
	v_lshlrev_b64_e32 v[44:45], v1, v[18:19]
	s_delay_alu instid0(VALU_DEP_1)
	v_and_b32_e32 v18, 7, v44
; %bb.573:                              ;   in Loop: Header=BB194_424 Depth=1
	s_or_b32 exec_lo, exec_lo, s16
	s_delay_alu instid0(VALU_DEP_1) | instskip(SKIP_1) | instid1(VALU_DEP_2)
	v_dual_lshlrev_b32 v1, 16, v48 :: v_dual_lshlrev_b32 v18, 20, v18
	v_lshl_add_u32 v0, v0, 23, 0x3c000000
	v_and_b32_e32 v1, 0x80000000, v1
	s_delay_alu instid0(VALU_DEP_1)
	v_or3_b32 v1, v18, v1, v0
	v_mov_b32_e32 v0, v19
.LBB194_574:                            ;   in Loop: Header=BB194_424 Depth=1
	s_or_b32 exec_lo, exec_lo, s15
.LBB194_575:                            ;   in Loop: Header=BB194_424 Depth=1
	s_delay_alu instid0(SALU_CYCLE_1)
	s_or_b32 exec_lo, exec_lo, s14
.LBB194_576:                            ;   in Loop: Header=BB194_424 Depth=1
	s_delay_alu instid0(SALU_CYCLE_1) | instskip(SKIP_4) | instid1(VALU_DEP_3)
	s_or_b32 exec_lo, exec_lo, s11
	v_lshrrev_b32_e32 v49, 16, v48
	v_mov_b64_e32 v[44:45], 0
	v_mov_b64_e32 v[46:47], 0
	s_mov_b32 s11, exec_lo
	v_and_b32_e32 v18, 0xff, v49
	s_delay_alu instid0(VALU_DEP_1)
	v_cmpx_ne_u16_e32 0, v18
	s_cbranch_execz .LBB194_584
; %bb.577:                              ;   in Loop: Header=BB194_424 Depth=1
	v_mov_b64_e32 v[46:47], 0x80000000
	s_mov_b32 s14, exec_lo
	v_cmpx_ne_u16_e32 0x80, v18
	s_cbranch_execz .LBB194_583
; %bb.578:                              ;   in Loop: Header=BB194_424 Depth=1
	v_mov_b64_e32 v[46:47], 0x7f800001
	v_bfe_u32 v50, v48, 16, 7
	s_mov_b32 s15, exec_lo
	s_delay_alu instid0(VALU_DEP_1)
	v_cmpx_ne_u32_e32 0x7f, v50
	s_cbranch_execz .LBB194_582
; %bb.579:                              ;   in Loop: Header=BB194_424 Depth=1
	v_dual_lshrrev_b32 v46, 3, v50 :: v_dual_bitop2_b32 v18, 7, v49 bitop3:0x40
	s_mov_b32 s16, exec_lo
	v_cmpx_gt_u32_e32 8, v50
; %bb.580:                              ;   in Loop: Header=BB194_424 Depth=1
	s_delay_alu instid0(VALU_DEP_2) | instskip(NEXT) | instid1(VALU_DEP_1)
	v_clz_i32_u32_e32 v46, v18
	v_min_u32_e32 v46, 32, v46
	s_delay_alu instid0(VALU_DEP_1) | instskip(SKIP_1) | instid1(VALU_DEP_2)
	v_subrev_nc_u32_e32 v47, 28, v46
	v_sub_nc_u32_e32 v46, 29, v46
	v_lshlrev_b64_e32 v[50:51], v47, v[18:19]
	s_delay_alu instid0(VALU_DEP_1)
	v_and_b32_e32 v18, 7, v50
; %bb.581:                              ;   in Loop: Header=BB194_424 Depth=1
	s_or_b32 exec_lo, exec_lo, s16
	s_delay_alu instid0(VALU_DEP_1) | instskip(SKIP_1) | instid1(VALU_DEP_2)
	v_dual_lshlrev_b32 v47, 24, v49 :: v_dual_lshlrev_b32 v18, 20, v18
	v_lshl_add_u32 v46, v46, 23, 0x3c000000
	v_and_b32_e32 v47, 0x80000000, v47
	s_delay_alu instid0(VALU_DEP_1) | instskip(NEXT) | instid1(VALU_DEP_1)
	v_or3_b32 v18, v18, v47, v46
	v_mov_b64_e32 v[46:47], v[18:19]
.LBB194_582:                            ;   in Loop: Header=BB194_424 Depth=1
	s_or_b32 exec_lo, exec_lo, s15
.LBB194_583:                            ;   in Loop: Header=BB194_424 Depth=1
	s_delay_alu instid0(SALU_CYCLE_1)
	s_or_b32 exec_lo, exec_lo, s14
.LBB194_584:                            ;   in Loop: Header=BB194_424 Depth=1
	s_delay_alu instid0(SALU_CYCLE_1) | instskip(NEXT) | instid1(SALU_CYCLE_1)
	s_or_b32 exec_lo, exec_lo, s11
	s_mov_b32 s11, exec_lo
	v_cmpx_lt_u32_e32 0xffffff, v48
	s_cbranch_execz .LBB194_592
; %bb.585:                              ;   in Loop: Header=BB194_424 Depth=1
	v_mov_b64_e32 v[44:45], 0x8000000000000000
	v_lshrrev_b32_e32 v49, 24, v48
	s_mov_b32 s14, exec_lo
	s_delay_alu instid0(VALU_DEP_1)
	v_cmpx_ne_u32_e32 0x80, v49
	s_cbranch_execz .LBB194_591
; %bb.586:                              ;   in Loop: Header=BB194_424 Depth=1
	v_mov_b64_e32 v[44:45], 0x7f80000100000000
	v_bfe_u32 v48, v48, 24, 7
	s_mov_b32 s15, exec_lo
	s_delay_alu instid0(VALU_DEP_1)
	v_cmpx_ne_u32_e32 0x7f, v48
	s_cbranch_execz .LBB194_590
; %bb.587:                              ;   in Loop: Header=BB194_424 Depth=1
	v_dual_lshrrev_b32 v44, 3, v48 :: v_dual_bitop2_b32 v18, 7, v49 bitop3:0x40
	s_mov_b32 s16, exec_lo
	v_cmpx_gt_u32_e32 8, v48
; %bb.588:                              ;   in Loop: Header=BB194_424 Depth=1
	s_delay_alu instid0(VALU_DEP_2) | instskip(NEXT) | instid1(VALU_DEP_1)
	v_clz_i32_u32_e32 v44, v18
	v_min_u32_e32 v44, 32, v44
	s_delay_alu instid0(VALU_DEP_1) | instskip(NEXT) | instid1(VALU_DEP_1)
	v_subrev_nc_u32_e32 v45, 28, v44
	v_lshlrev_b64_e32 v[50:51], v45, v[18:19]
	s_delay_alu instid0(VALU_DEP_1)
	v_dual_sub_nc_u32 v44, 29, v44 :: v_dual_bitop2_b32 v18, 7, v50 bitop3:0x40
; %bb.589:                              ;   in Loop: Header=BB194_424 Depth=1
	s_or_b32 exec_lo, exec_lo, s16
	s_delay_alu instid0(VALU_DEP_1) | instskip(NEXT) | instid1(VALU_DEP_2)
	v_dual_lshlrev_b32 v45, 24, v49 :: v_dual_lshlrev_b32 v18, 20, v18
	v_lshl_add_u32 v44, v44, 23, 0x3c000000
	s_delay_alu instid0(VALU_DEP_2) | instskip(NEXT) | instid1(VALU_DEP_1)
	v_and_b32_e32 v45, 0x80000000, v45
	v_or3_b32 v45, v18, v45, v44
	v_mov_b32_e32 v44, v19
.LBB194_590:                            ;   in Loop: Header=BB194_424 Depth=1
	s_or_b32 exec_lo, exec_lo, s15
.LBB194_591:                            ;   in Loop: Header=BB194_424 Depth=1
	s_delay_alu instid0(SALU_CYCLE_1)
	s_or_b32 exec_lo, exec_lo, s14
.LBB194_592:                            ;   in Loop: Header=BB194_424 Depth=1
	s_delay_alu instid0(SALU_CYCLE_1)
	s_or_b32 exec_lo, exec_lo, s11
	v_or_b32_e32 v1, v1, v43
	v_or_b32_e32 v0, v0, v42
	v_mov_b64_e32 v[42:43], s[2:3]
	v_or_b32_e32 v47, v45, v47
	v_or_b32_e32 v46, v44, v46
	s_delay_alu instid0(VALU_DEP_3) | instskip(NEXT) | instid1(VALU_DEP_2)
	v_pk_mul_f32 v[44:45], v[42:43], v[0:1]
	v_pk_mul_f32 v[42:43], v[42:43], v[46:47]
	s_and_saveexec_b32 s11, vcc_lo
	s_cbranch_execz .LBB194_594
; %bb.593:                              ;   in Loop: Header=BB194_424 Depth=1
	v_cmp_gt_i32_e64 s0, s25, v78
	s_delay_alu instid0(VALU_DEP_1) | instskip(SKIP_1) | instid1(VALU_DEP_1)
	v_cndmask_b32_e64 v44, 0, v44, s0
	v_cmp_gt_i32_e64 s0, s25, v81
	v_cndmask_b32_e64 v45, 0, v45, s0
	v_cmp_gt_i32_e64 s0, s25, v73
	s_delay_alu instid0(VALU_DEP_1) | instskip(SKIP_1) | instid1(VALU_DEP_1)
	v_cndmask_b32_e64 v42, 0, v42, s0
	v_cmp_gt_i32_e64 s0, s25, v72
	v_cndmask_b32_e64 v43, 0, v43, s0
.LBB194_594:                            ;   in Loop: Header=BB194_424 Depth=1
	s_or_b32 exec_lo, exec_lo, s11
	global_load_b32 v52, v[28:29], off offset:640
	v_mov_b64_e32 v[0:1], 0
	v_mov_b64_e32 v[46:47], 0
	s_mov_b32 s11, exec_lo
	s_wait_loadcnt 0x0
	v_and_b32_e32 v18, 0xff, v52
	s_delay_alu instid0(VALU_DEP_1)
	v_cmpx_ne_u16_e32 0, v18
	s_cbranch_execz .LBB194_602
; %bb.595:                              ;   in Loop: Header=BB194_424 Depth=1
	v_mov_b64_e32 v[46:47], 0x80000000
	s_mov_b32 s14, exec_lo
	v_cmpx_ne_u16_e32 0x80, v18
	s_cbranch_execz .LBB194_601
; %bb.596:                              ;   in Loop: Header=BB194_424 Depth=1
	v_mov_b64_e32 v[46:47], 0x7f800001
	v_and_b32_e32 v48, 0x7f, v52
	s_mov_b32 s15, exec_lo
	s_delay_alu instid0(VALU_DEP_1)
	v_cmpx_ne_u32_e32 0x7f, v48
	s_cbranch_execz .LBB194_600
; %bb.597:                              ;   in Loop: Header=BB194_424 Depth=1
	v_and_b32_e32 v18, 7, v52
	v_lshrrev_b32_e32 v46, 3, v48
	s_mov_b32 s16, exec_lo
	v_cmpx_gt_u32_e32 8, v48
; %bb.598:                              ;   in Loop: Header=BB194_424 Depth=1
	s_delay_alu instid0(VALU_DEP_3) | instskip(NEXT) | instid1(VALU_DEP_1)
	v_clz_i32_u32_e32 v46, v18
	v_min_u32_e32 v46, 32, v46
	s_delay_alu instid0(VALU_DEP_1) | instskip(NEXT) | instid1(VALU_DEP_1)
	v_subrev_nc_u32_e32 v47, 28, v46
	v_lshlrev_b64_e32 v[48:49], v47, v[18:19]
	s_delay_alu instid0(VALU_DEP_1)
	v_dual_sub_nc_u32 v46, 29, v46 :: v_dual_bitop2_b32 v18, 7, v48 bitop3:0x40
; %bb.599:                              ;   in Loop: Header=BB194_424 Depth=1
	s_or_b32 exec_lo, exec_lo, s16
	s_delay_alu instid0(VALU_DEP_1) | instskip(NEXT) | instid1(VALU_DEP_2)
	v_dual_lshlrev_b32 v47, 24, v52 :: v_dual_lshlrev_b32 v18, 20, v18
	v_lshl_add_u32 v46, v46, 23, 0x3c000000
	s_delay_alu instid0(VALU_DEP_2) | instskip(NEXT) | instid1(VALU_DEP_1)
	v_and_b32_e32 v47, 0x80000000, v47
	v_or3_b32 v18, v18, v47, v46
	s_delay_alu instid0(VALU_DEP_1)
	v_mov_b64_e32 v[46:47], v[18:19]
.LBB194_600:                            ;   in Loop: Header=BB194_424 Depth=1
	s_or_b32 exec_lo, exec_lo, s15
.LBB194_601:                            ;   in Loop: Header=BB194_424 Depth=1
	s_delay_alu instid0(SALU_CYCLE_1)
	s_or_b32 exec_lo, exec_lo, s14
.LBB194_602:                            ;   in Loop: Header=BB194_424 Depth=1
	s_delay_alu instid0(SALU_CYCLE_1) | instskip(SKIP_2) | instid1(VALU_DEP_1)
	s_or_b32 exec_lo, exec_lo, s11
	v_lshrrev_b16 v18, 8, v52
	s_mov_b32 s11, exec_lo
	v_cmpx_ne_u16_e32 0, v18
	s_cbranch_execz .LBB194_610
; %bb.603:                              ;   in Loop: Header=BB194_424 Depth=1
	v_mov_b64_e32 v[0:1], 0x8000000000000000
	s_mov_b32 s14, exec_lo
	v_cmpx_ne_u16_e32 0x80, v18
	s_cbranch_execz .LBB194_609
; %bb.604:                              ;   in Loop: Header=BB194_424 Depth=1
	v_and_b32_e32 v18, 0xffff, v18
	v_mov_b64_e32 v[0:1], 0x7f80000100000000
	s_mov_b32 s15, exec_lo
	s_delay_alu instid0(VALU_DEP_2) | instskip(NEXT) | instid1(VALU_DEP_1)
	v_and_b32_e32 v48, 0x7f, v18
	v_cmpx_ne_u32_e32 0x7f, v48
	s_cbranch_execz .LBB194_608
; %bb.605:                              ;   in Loop: Header=BB194_424 Depth=1
	v_dual_lshrrev_b32 v0, 3, v48 :: v_dual_bitop2_b32 v18, 7, v18 bitop3:0x40
	s_mov_b32 s16, exec_lo
	v_cmpx_gt_u32_e32 8, v48
; %bb.606:                              ;   in Loop: Header=BB194_424 Depth=1
	s_delay_alu instid0(VALU_DEP_2) | instskip(NEXT) | instid1(VALU_DEP_1)
	v_clz_i32_u32_e32 v0, v18
	v_min_u32_e32 v0, 32, v0
	s_delay_alu instid0(VALU_DEP_1) | instskip(SKIP_1) | instid1(VALU_DEP_2)
	v_subrev_nc_u32_e32 v1, 28, v0
	v_sub_nc_u32_e32 v0, 29, v0
	v_lshlrev_b64_e32 v[48:49], v1, v[18:19]
	s_delay_alu instid0(VALU_DEP_1)
	v_and_b32_e32 v18, 7, v48
; %bb.607:                              ;   in Loop: Header=BB194_424 Depth=1
	s_or_b32 exec_lo, exec_lo, s16
	s_delay_alu instid0(VALU_DEP_1) | instskip(SKIP_1) | instid1(VALU_DEP_2)
	v_dual_lshlrev_b32 v1, 16, v52 :: v_dual_lshlrev_b32 v18, 20, v18
	v_lshl_add_u32 v0, v0, 23, 0x3c000000
	v_and_b32_e32 v1, 0x80000000, v1
	s_delay_alu instid0(VALU_DEP_1)
	v_or3_b32 v1, v18, v1, v0
	v_mov_b32_e32 v0, v19
.LBB194_608:                            ;   in Loop: Header=BB194_424 Depth=1
	s_or_b32 exec_lo, exec_lo, s15
.LBB194_609:                            ;   in Loop: Header=BB194_424 Depth=1
	s_delay_alu instid0(SALU_CYCLE_1)
	s_or_b32 exec_lo, exec_lo, s14
.LBB194_610:                            ;   in Loop: Header=BB194_424 Depth=1
	s_delay_alu instid0(SALU_CYCLE_1) | instskip(SKIP_4) | instid1(VALU_DEP_3)
	s_or_b32 exec_lo, exec_lo, s11
	v_lshrrev_b32_e32 v53, 16, v52
	v_mov_b64_e32 v[48:49], 0
	v_mov_b64_e32 v[50:51], 0
	s_mov_b32 s11, exec_lo
	v_and_b32_e32 v18, 0xff, v53
	s_delay_alu instid0(VALU_DEP_1)
	v_cmpx_ne_u16_e32 0, v18
	s_cbranch_execz .LBB194_618
; %bb.611:                              ;   in Loop: Header=BB194_424 Depth=1
	v_mov_b64_e32 v[50:51], 0x80000000
	s_mov_b32 s14, exec_lo
	v_cmpx_ne_u16_e32 0x80, v18
	s_cbranch_execz .LBB194_617
; %bb.612:                              ;   in Loop: Header=BB194_424 Depth=1
	v_mov_b64_e32 v[50:51], 0x7f800001
	v_bfe_u32 v54, v52, 16, 7
	s_mov_b32 s15, exec_lo
	s_delay_alu instid0(VALU_DEP_1)
	v_cmpx_ne_u32_e32 0x7f, v54
	s_cbranch_execz .LBB194_616
; %bb.613:                              ;   in Loop: Header=BB194_424 Depth=1
	v_dual_lshrrev_b32 v50, 3, v54 :: v_dual_bitop2_b32 v18, 7, v53 bitop3:0x40
	s_mov_b32 s16, exec_lo
	v_cmpx_gt_u32_e32 8, v54
; %bb.614:                              ;   in Loop: Header=BB194_424 Depth=1
	s_delay_alu instid0(VALU_DEP_2) | instskip(NEXT) | instid1(VALU_DEP_1)
	v_clz_i32_u32_e32 v50, v18
	v_min_u32_e32 v50, 32, v50
	s_delay_alu instid0(VALU_DEP_1) | instskip(SKIP_1) | instid1(VALU_DEP_2)
	v_subrev_nc_u32_e32 v51, 28, v50
	v_sub_nc_u32_e32 v50, 29, v50
	v_lshlrev_b64_e32 v[54:55], v51, v[18:19]
	s_delay_alu instid0(VALU_DEP_1)
	v_and_b32_e32 v18, 7, v54
; %bb.615:                              ;   in Loop: Header=BB194_424 Depth=1
	s_or_b32 exec_lo, exec_lo, s16
	s_delay_alu instid0(VALU_DEP_1) | instskip(SKIP_1) | instid1(VALU_DEP_2)
	v_dual_lshlrev_b32 v51, 24, v53 :: v_dual_lshlrev_b32 v18, 20, v18
	v_lshl_add_u32 v50, v50, 23, 0x3c000000
	v_and_b32_e32 v51, 0x80000000, v51
	s_delay_alu instid0(VALU_DEP_1) | instskip(NEXT) | instid1(VALU_DEP_1)
	v_or3_b32 v18, v18, v51, v50
	v_mov_b64_e32 v[50:51], v[18:19]
.LBB194_616:                            ;   in Loop: Header=BB194_424 Depth=1
	s_or_b32 exec_lo, exec_lo, s15
.LBB194_617:                            ;   in Loop: Header=BB194_424 Depth=1
	s_delay_alu instid0(SALU_CYCLE_1)
	s_or_b32 exec_lo, exec_lo, s14
.LBB194_618:                            ;   in Loop: Header=BB194_424 Depth=1
	s_delay_alu instid0(SALU_CYCLE_1) | instskip(NEXT) | instid1(SALU_CYCLE_1)
	s_or_b32 exec_lo, exec_lo, s11
	s_mov_b32 s11, exec_lo
	v_cmpx_lt_u32_e32 0xffffff, v52
	s_cbranch_execz .LBB194_626
; %bb.619:                              ;   in Loop: Header=BB194_424 Depth=1
	v_mov_b64_e32 v[48:49], 0x8000000000000000
	v_lshrrev_b32_e32 v53, 24, v52
	s_mov_b32 s14, exec_lo
	s_delay_alu instid0(VALU_DEP_1)
	v_cmpx_ne_u32_e32 0x80, v53
	s_cbranch_execz .LBB194_625
; %bb.620:                              ;   in Loop: Header=BB194_424 Depth=1
	v_mov_b64_e32 v[48:49], 0x7f80000100000000
	v_bfe_u32 v52, v52, 24, 7
	s_mov_b32 s15, exec_lo
	s_delay_alu instid0(VALU_DEP_1)
	v_cmpx_ne_u32_e32 0x7f, v52
	s_cbranch_execz .LBB194_624
; %bb.621:                              ;   in Loop: Header=BB194_424 Depth=1
	v_dual_lshrrev_b32 v48, 3, v52 :: v_dual_bitop2_b32 v18, 7, v53 bitop3:0x40
	s_mov_b32 s16, exec_lo
	v_cmpx_gt_u32_e32 8, v52
; %bb.622:                              ;   in Loop: Header=BB194_424 Depth=1
	s_delay_alu instid0(VALU_DEP_2) | instskip(NEXT) | instid1(VALU_DEP_1)
	v_clz_i32_u32_e32 v48, v18
	v_min_u32_e32 v48, 32, v48
	s_delay_alu instid0(VALU_DEP_1) | instskip(NEXT) | instid1(VALU_DEP_1)
	v_subrev_nc_u32_e32 v49, 28, v48
	v_lshlrev_b64_e32 v[54:55], v49, v[18:19]
	s_delay_alu instid0(VALU_DEP_1)
	v_dual_sub_nc_u32 v48, 29, v48 :: v_dual_bitop2_b32 v18, 7, v54 bitop3:0x40
; %bb.623:                              ;   in Loop: Header=BB194_424 Depth=1
	s_or_b32 exec_lo, exec_lo, s16
	s_delay_alu instid0(VALU_DEP_1) | instskip(NEXT) | instid1(VALU_DEP_2)
	v_dual_lshlrev_b32 v49, 24, v53 :: v_dual_lshlrev_b32 v18, 20, v18
	v_lshl_add_u32 v48, v48, 23, 0x3c000000
	s_delay_alu instid0(VALU_DEP_2) | instskip(NEXT) | instid1(VALU_DEP_1)
	v_and_b32_e32 v49, 0x80000000, v49
	v_or3_b32 v49, v18, v49, v48
	v_mov_b32_e32 v48, v19
.LBB194_624:                            ;   in Loop: Header=BB194_424 Depth=1
	s_or_b32 exec_lo, exec_lo, s15
.LBB194_625:                            ;   in Loop: Header=BB194_424 Depth=1
	s_delay_alu instid0(SALU_CYCLE_1)
	s_or_b32 exec_lo, exec_lo, s14
.LBB194_626:                            ;   in Loop: Header=BB194_424 Depth=1
	s_delay_alu instid0(SALU_CYCLE_1)
	s_or_b32 exec_lo, exec_lo, s11
	v_or_b32_e32 v1, v1, v47
	v_or_b32_e32 v0, v0, v46
	v_mov_b64_e32 v[46:47], s[2:3]
	v_or_b32_e32 v51, v49, v51
	v_or_b32_e32 v50, v48, v50
	s_delay_alu instid0(VALU_DEP_3) | instskip(NEXT) | instid1(VALU_DEP_2)
	v_pk_mul_f32 v[48:49], v[46:47], v[0:1]
	v_pk_mul_f32 v[46:47], v[46:47], v[50:51]
	s_and_saveexec_b32 s11, vcc_lo
	s_cbranch_execz .LBB194_628
; %bb.627:                              ;   in Loop: Header=BB194_424 Depth=1
	v_cmp_gt_i32_e64 s0, s25, v78
	s_delay_alu instid0(VALU_DEP_1) | instskip(SKIP_1) | instid1(VALU_DEP_1)
	v_cndmask_b32_e64 v48, 0, v48, s0
	v_cmp_gt_i32_e64 s0, s25, v81
	v_cndmask_b32_e64 v49, 0, v49, s0
	v_cmp_gt_i32_e64 s0, s25, v73
	s_delay_alu instid0(VALU_DEP_1) | instskip(SKIP_1) | instid1(VALU_DEP_1)
	v_cndmask_b32_e64 v46, 0, v46, s0
	v_cmp_gt_i32_e64 s0, s25, v72
	v_cndmask_b32_e64 v47, 0, v47, s0
.LBB194_628:                            ;   in Loop: Header=BB194_424 Depth=1
	s_or_b32 exec_lo, exec_lo, s11
	global_load_b32 v56, v[28:29], off offset:768
	v_mov_b64_e32 v[0:1], 0
	v_mov_b64_e32 v[50:51], 0
	s_mov_b32 s11, exec_lo
	s_wait_loadcnt 0x0
	v_and_b32_e32 v18, 0xff, v56
	s_delay_alu instid0(VALU_DEP_1)
	v_cmpx_ne_u16_e32 0, v18
	s_cbranch_execz .LBB194_636
; %bb.629:                              ;   in Loop: Header=BB194_424 Depth=1
	v_mov_b64_e32 v[50:51], 0x80000000
	s_mov_b32 s14, exec_lo
	v_cmpx_ne_u16_e32 0x80, v18
	s_cbranch_execz .LBB194_635
; %bb.630:                              ;   in Loop: Header=BB194_424 Depth=1
	v_mov_b64_e32 v[50:51], 0x7f800001
	v_and_b32_e32 v52, 0x7f, v56
	s_mov_b32 s15, exec_lo
	s_delay_alu instid0(VALU_DEP_1)
	v_cmpx_ne_u32_e32 0x7f, v52
	s_cbranch_execz .LBB194_634
; %bb.631:                              ;   in Loop: Header=BB194_424 Depth=1
	v_and_b32_e32 v18, 7, v56
	v_lshrrev_b32_e32 v50, 3, v52
	s_mov_b32 s16, exec_lo
	v_cmpx_gt_u32_e32 8, v52
; %bb.632:                              ;   in Loop: Header=BB194_424 Depth=1
	s_delay_alu instid0(VALU_DEP_3) | instskip(NEXT) | instid1(VALU_DEP_1)
	v_clz_i32_u32_e32 v50, v18
	v_min_u32_e32 v50, 32, v50
	s_delay_alu instid0(VALU_DEP_1) | instskip(NEXT) | instid1(VALU_DEP_1)
	v_subrev_nc_u32_e32 v51, 28, v50
	v_lshlrev_b64_e32 v[52:53], v51, v[18:19]
	s_delay_alu instid0(VALU_DEP_1)
	v_dual_sub_nc_u32 v50, 29, v50 :: v_dual_bitop2_b32 v18, 7, v52 bitop3:0x40
; %bb.633:                              ;   in Loop: Header=BB194_424 Depth=1
	s_or_b32 exec_lo, exec_lo, s16
	s_delay_alu instid0(VALU_DEP_1) | instskip(NEXT) | instid1(VALU_DEP_2)
	v_dual_lshlrev_b32 v51, 24, v56 :: v_dual_lshlrev_b32 v18, 20, v18
	v_lshl_add_u32 v50, v50, 23, 0x3c000000
	s_delay_alu instid0(VALU_DEP_2) | instskip(NEXT) | instid1(VALU_DEP_1)
	v_and_b32_e32 v51, 0x80000000, v51
	v_or3_b32 v18, v18, v51, v50
	s_delay_alu instid0(VALU_DEP_1)
	v_mov_b64_e32 v[50:51], v[18:19]
.LBB194_634:                            ;   in Loop: Header=BB194_424 Depth=1
	s_or_b32 exec_lo, exec_lo, s15
.LBB194_635:                            ;   in Loop: Header=BB194_424 Depth=1
	s_delay_alu instid0(SALU_CYCLE_1)
	s_or_b32 exec_lo, exec_lo, s14
.LBB194_636:                            ;   in Loop: Header=BB194_424 Depth=1
	s_delay_alu instid0(SALU_CYCLE_1) | instskip(SKIP_2) | instid1(VALU_DEP_1)
	s_or_b32 exec_lo, exec_lo, s11
	v_lshrrev_b16 v18, 8, v56
	s_mov_b32 s11, exec_lo
	v_cmpx_ne_u16_e32 0, v18
	s_cbranch_execz .LBB194_644
; %bb.637:                              ;   in Loop: Header=BB194_424 Depth=1
	v_mov_b64_e32 v[0:1], 0x8000000000000000
	s_mov_b32 s14, exec_lo
	v_cmpx_ne_u16_e32 0x80, v18
	s_cbranch_execz .LBB194_643
; %bb.638:                              ;   in Loop: Header=BB194_424 Depth=1
	v_and_b32_e32 v18, 0xffff, v18
	v_mov_b64_e32 v[0:1], 0x7f80000100000000
	s_mov_b32 s15, exec_lo
	s_delay_alu instid0(VALU_DEP_2) | instskip(NEXT) | instid1(VALU_DEP_1)
	v_and_b32_e32 v52, 0x7f, v18
	v_cmpx_ne_u32_e32 0x7f, v52
	s_cbranch_execz .LBB194_642
; %bb.639:                              ;   in Loop: Header=BB194_424 Depth=1
	v_dual_lshrrev_b32 v0, 3, v52 :: v_dual_bitop2_b32 v18, 7, v18 bitop3:0x40
	s_mov_b32 s16, exec_lo
	v_cmpx_gt_u32_e32 8, v52
; %bb.640:                              ;   in Loop: Header=BB194_424 Depth=1
	s_delay_alu instid0(VALU_DEP_2) | instskip(NEXT) | instid1(VALU_DEP_1)
	v_clz_i32_u32_e32 v0, v18
	v_min_u32_e32 v0, 32, v0
	s_delay_alu instid0(VALU_DEP_1) | instskip(SKIP_1) | instid1(VALU_DEP_2)
	v_subrev_nc_u32_e32 v1, 28, v0
	v_sub_nc_u32_e32 v0, 29, v0
	v_lshlrev_b64_e32 v[52:53], v1, v[18:19]
	s_delay_alu instid0(VALU_DEP_1)
	v_and_b32_e32 v18, 7, v52
; %bb.641:                              ;   in Loop: Header=BB194_424 Depth=1
	s_or_b32 exec_lo, exec_lo, s16
	s_delay_alu instid0(VALU_DEP_1) | instskip(SKIP_1) | instid1(VALU_DEP_2)
	v_dual_lshlrev_b32 v1, 16, v56 :: v_dual_lshlrev_b32 v18, 20, v18
	v_lshl_add_u32 v0, v0, 23, 0x3c000000
	v_and_b32_e32 v1, 0x80000000, v1
	s_delay_alu instid0(VALU_DEP_1)
	v_or3_b32 v1, v18, v1, v0
	v_mov_b32_e32 v0, v19
.LBB194_642:                            ;   in Loop: Header=BB194_424 Depth=1
	s_or_b32 exec_lo, exec_lo, s15
.LBB194_643:                            ;   in Loop: Header=BB194_424 Depth=1
	s_delay_alu instid0(SALU_CYCLE_1)
	s_or_b32 exec_lo, exec_lo, s14
.LBB194_644:                            ;   in Loop: Header=BB194_424 Depth=1
	s_delay_alu instid0(SALU_CYCLE_1) | instskip(SKIP_4) | instid1(VALU_DEP_3)
	s_or_b32 exec_lo, exec_lo, s11
	v_lshrrev_b32_e32 v57, 16, v56
	v_mov_b64_e32 v[52:53], 0
	v_mov_b64_e32 v[54:55], 0
	s_mov_b32 s11, exec_lo
	v_and_b32_e32 v18, 0xff, v57
	s_delay_alu instid0(VALU_DEP_1)
	v_cmpx_ne_u16_e32 0, v18
	s_cbranch_execz .LBB194_652
; %bb.645:                              ;   in Loop: Header=BB194_424 Depth=1
	v_mov_b64_e32 v[54:55], 0x80000000
	s_mov_b32 s14, exec_lo
	v_cmpx_ne_u16_e32 0x80, v18
	s_cbranch_execz .LBB194_651
; %bb.646:                              ;   in Loop: Header=BB194_424 Depth=1
	v_mov_b64_e32 v[54:55], 0x7f800001
	v_bfe_u32 v58, v56, 16, 7
	s_mov_b32 s15, exec_lo
	s_delay_alu instid0(VALU_DEP_1)
	v_cmpx_ne_u32_e32 0x7f, v58
	s_cbranch_execz .LBB194_650
; %bb.647:                              ;   in Loop: Header=BB194_424 Depth=1
	v_dual_lshrrev_b32 v54, 3, v58 :: v_dual_bitop2_b32 v18, 7, v57 bitop3:0x40
	s_mov_b32 s16, exec_lo
	v_cmpx_gt_u32_e32 8, v58
; %bb.648:                              ;   in Loop: Header=BB194_424 Depth=1
	s_delay_alu instid0(VALU_DEP_2) | instskip(NEXT) | instid1(VALU_DEP_1)
	v_clz_i32_u32_e32 v54, v18
	v_min_u32_e32 v54, 32, v54
	s_delay_alu instid0(VALU_DEP_1) | instskip(SKIP_1) | instid1(VALU_DEP_2)
	v_subrev_nc_u32_e32 v55, 28, v54
	v_sub_nc_u32_e32 v54, 29, v54
	v_lshlrev_b64_e32 v[58:59], v55, v[18:19]
	s_delay_alu instid0(VALU_DEP_1)
	v_and_b32_e32 v18, 7, v58
; %bb.649:                              ;   in Loop: Header=BB194_424 Depth=1
	s_or_b32 exec_lo, exec_lo, s16
	s_delay_alu instid0(VALU_DEP_1) | instskip(SKIP_1) | instid1(VALU_DEP_2)
	v_dual_lshlrev_b32 v55, 24, v57 :: v_dual_lshlrev_b32 v18, 20, v18
	v_lshl_add_u32 v54, v54, 23, 0x3c000000
	v_and_b32_e32 v55, 0x80000000, v55
	s_delay_alu instid0(VALU_DEP_1) | instskip(NEXT) | instid1(VALU_DEP_1)
	v_or3_b32 v18, v18, v55, v54
	v_mov_b64_e32 v[54:55], v[18:19]
.LBB194_650:                            ;   in Loop: Header=BB194_424 Depth=1
	s_or_b32 exec_lo, exec_lo, s15
.LBB194_651:                            ;   in Loop: Header=BB194_424 Depth=1
	s_delay_alu instid0(SALU_CYCLE_1)
	s_or_b32 exec_lo, exec_lo, s14
.LBB194_652:                            ;   in Loop: Header=BB194_424 Depth=1
	s_delay_alu instid0(SALU_CYCLE_1) | instskip(NEXT) | instid1(SALU_CYCLE_1)
	s_or_b32 exec_lo, exec_lo, s11
	s_mov_b32 s11, exec_lo
	v_cmpx_lt_u32_e32 0xffffff, v56
	s_cbranch_execz .LBB194_660
; %bb.653:                              ;   in Loop: Header=BB194_424 Depth=1
	v_mov_b64_e32 v[52:53], 0x8000000000000000
	v_lshrrev_b32_e32 v57, 24, v56
	s_mov_b32 s14, exec_lo
	s_delay_alu instid0(VALU_DEP_1)
	v_cmpx_ne_u32_e32 0x80, v57
	s_cbranch_execz .LBB194_659
; %bb.654:                              ;   in Loop: Header=BB194_424 Depth=1
	v_mov_b64_e32 v[52:53], 0x7f80000100000000
	v_bfe_u32 v56, v56, 24, 7
	s_mov_b32 s15, exec_lo
	s_delay_alu instid0(VALU_DEP_1)
	v_cmpx_ne_u32_e32 0x7f, v56
	s_cbranch_execz .LBB194_658
; %bb.655:                              ;   in Loop: Header=BB194_424 Depth=1
	v_dual_lshrrev_b32 v52, 3, v56 :: v_dual_bitop2_b32 v18, 7, v57 bitop3:0x40
	s_mov_b32 s16, exec_lo
	v_cmpx_gt_u32_e32 8, v56
; %bb.656:                              ;   in Loop: Header=BB194_424 Depth=1
	s_delay_alu instid0(VALU_DEP_2) | instskip(NEXT) | instid1(VALU_DEP_1)
	v_clz_i32_u32_e32 v52, v18
	v_min_u32_e32 v52, 32, v52
	s_delay_alu instid0(VALU_DEP_1) | instskip(NEXT) | instid1(VALU_DEP_1)
	v_subrev_nc_u32_e32 v53, 28, v52
	v_lshlrev_b64_e32 v[58:59], v53, v[18:19]
	s_delay_alu instid0(VALU_DEP_1)
	v_dual_sub_nc_u32 v52, 29, v52 :: v_dual_bitop2_b32 v18, 7, v58 bitop3:0x40
; %bb.657:                              ;   in Loop: Header=BB194_424 Depth=1
	s_or_b32 exec_lo, exec_lo, s16
	s_delay_alu instid0(VALU_DEP_1) | instskip(NEXT) | instid1(VALU_DEP_2)
	v_dual_lshlrev_b32 v53, 24, v57 :: v_dual_lshlrev_b32 v18, 20, v18
	v_lshl_add_u32 v52, v52, 23, 0x3c000000
	s_delay_alu instid0(VALU_DEP_2) | instskip(NEXT) | instid1(VALU_DEP_1)
	v_and_b32_e32 v53, 0x80000000, v53
	v_or3_b32 v53, v18, v53, v52
	v_mov_b32_e32 v52, v19
.LBB194_658:                            ;   in Loop: Header=BB194_424 Depth=1
	s_or_b32 exec_lo, exec_lo, s15
.LBB194_659:                            ;   in Loop: Header=BB194_424 Depth=1
	s_delay_alu instid0(SALU_CYCLE_1)
	s_or_b32 exec_lo, exec_lo, s14
.LBB194_660:                            ;   in Loop: Header=BB194_424 Depth=1
	s_delay_alu instid0(SALU_CYCLE_1)
	s_or_b32 exec_lo, exec_lo, s11
	v_or_b32_e32 v1, v1, v51
	v_or_b32_e32 v0, v0, v50
	v_mov_b64_e32 v[50:51], s[2:3]
	v_or_b32_e32 v55, v53, v55
	v_or_b32_e32 v54, v52, v54
	s_delay_alu instid0(VALU_DEP_3) | instskip(NEXT) | instid1(VALU_DEP_2)
	v_pk_mul_f32 v[52:53], v[50:51], v[0:1]
	v_pk_mul_f32 v[50:51], v[50:51], v[54:55]
	s_and_saveexec_b32 s11, vcc_lo
	s_cbranch_execz .LBB194_662
; %bb.661:                              ;   in Loop: Header=BB194_424 Depth=1
	v_cmp_gt_i32_e64 s0, s25, v78
	s_delay_alu instid0(VALU_DEP_1) | instskip(SKIP_1) | instid1(VALU_DEP_1)
	v_cndmask_b32_e64 v52, 0, v52, s0
	v_cmp_gt_i32_e64 s0, s25, v81
	v_cndmask_b32_e64 v53, 0, v53, s0
	v_cmp_gt_i32_e64 s0, s25, v73
	s_delay_alu instid0(VALU_DEP_1) | instskip(SKIP_1) | instid1(VALU_DEP_1)
	v_cndmask_b32_e64 v50, 0, v50, s0
	v_cmp_gt_i32_e64 s0, s25, v72
	v_cndmask_b32_e64 v51, 0, v51, s0
.LBB194_662:                            ;   in Loop: Header=BB194_424 Depth=1
	s_or_b32 exec_lo, exec_lo, s11
	global_load_b32 v60, v[28:29], off offset:896
	v_mov_b64_e32 v[0:1], 0
	v_mov_b64_e32 v[54:55], 0
	s_mov_b32 s11, exec_lo
	s_wait_loadcnt 0x0
	v_and_b32_e32 v18, 0xff, v60
	s_delay_alu instid0(VALU_DEP_1)
	v_cmpx_ne_u16_e32 0, v18
	s_cbranch_execz .LBB194_670
; %bb.663:                              ;   in Loop: Header=BB194_424 Depth=1
	v_mov_b64_e32 v[54:55], 0x80000000
	s_mov_b32 s14, exec_lo
	v_cmpx_ne_u16_e32 0x80, v18
	s_cbranch_execz .LBB194_669
; %bb.664:                              ;   in Loop: Header=BB194_424 Depth=1
	v_mov_b64_e32 v[54:55], 0x7f800001
	v_and_b32_e32 v56, 0x7f, v60
	s_mov_b32 s15, exec_lo
	s_delay_alu instid0(VALU_DEP_1)
	v_cmpx_ne_u32_e32 0x7f, v56
	s_cbranch_execz .LBB194_668
; %bb.665:                              ;   in Loop: Header=BB194_424 Depth=1
	v_and_b32_e32 v18, 7, v60
	v_lshrrev_b32_e32 v54, 3, v56
	s_mov_b32 s16, exec_lo
	v_cmpx_gt_u32_e32 8, v56
; %bb.666:                              ;   in Loop: Header=BB194_424 Depth=1
	s_delay_alu instid0(VALU_DEP_3) | instskip(NEXT) | instid1(VALU_DEP_1)
	v_clz_i32_u32_e32 v54, v18
	v_min_u32_e32 v54, 32, v54
	s_delay_alu instid0(VALU_DEP_1) | instskip(NEXT) | instid1(VALU_DEP_1)
	v_subrev_nc_u32_e32 v55, 28, v54
	v_lshlrev_b64_e32 v[56:57], v55, v[18:19]
	s_delay_alu instid0(VALU_DEP_1)
	v_dual_sub_nc_u32 v54, 29, v54 :: v_dual_bitop2_b32 v18, 7, v56 bitop3:0x40
; %bb.667:                              ;   in Loop: Header=BB194_424 Depth=1
	s_or_b32 exec_lo, exec_lo, s16
	s_delay_alu instid0(VALU_DEP_1) | instskip(NEXT) | instid1(VALU_DEP_2)
	v_dual_lshlrev_b32 v55, 24, v60 :: v_dual_lshlrev_b32 v18, 20, v18
	v_lshl_add_u32 v54, v54, 23, 0x3c000000
	s_delay_alu instid0(VALU_DEP_2) | instskip(NEXT) | instid1(VALU_DEP_1)
	v_and_b32_e32 v55, 0x80000000, v55
	v_or3_b32 v18, v18, v55, v54
	s_delay_alu instid0(VALU_DEP_1)
	v_mov_b64_e32 v[54:55], v[18:19]
.LBB194_668:                            ;   in Loop: Header=BB194_424 Depth=1
	s_or_b32 exec_lo, exec_lo, s15
.LBB194_669:                            ;   in Loop: Header=BB194_424 Depth=1
	s_delay_alu instid0(SALU_CYCLE_1)
	s_or_b32 exec_lo, exec_lo, s14
.LBB194_670:                            ;   in Loop: Header=BB194_424 Depth=1
	s_delay_alu instid0(SALU_CYCLE_1) | instskip(SKIP_2) | instid1(VALU_DEP_1)
	s_or_b32 exec_lo, exec_lo, s11
	v_lshrrev_b16 v18, 8, v60
	s_mov_b32 s11, exec_lo
	v_cmpx_ne_u16_e32 0, v18
	s_cbranch_execz .LBB194_678
; %bb.671:                              ;   in Loop: Header=BB194_424 Depth=1
	v_mov_b64_e32 v[0:1], 0x8000000000000000
	s_mov_b32 s14, exec_lo
	v_cmpx_ne_u16_e32 0x80, v18
	s_cbranch_execz .LBB194_677
; %bb.672:                              ;   in Loop: Header=BB194_424 Depth=1
	v_and_b32_e32 v18, 0xffff, v18
	v_mov_b64_e32 v[0:1], 0x7f80000100000000
	s_mov_b32 s15, exec_lo
	s_delay_alu instid0(VALU_DEP_2) | instskip(NEXT) | instid1(VALU_DEP_1)
	v_and_b32_e32 v56, 0x7f, v18
	v_cmpx_ne_u32_e32 0x7f, v56
	s_cbranch_execz .LBB194_676
; %bb.673:                              ;   in Loop: Header=BB194_424 Depth=1
	v_dual_lshrrev_b32 v0, 3, v56 :: v_dual_bitop2_b32 v18, 7, v18 bitop3:0x40
	s_mov_b32 s16, exec_lo
	v_cmpx_gt_u32_e32 8, v56
; %bb.674:                              ;   in Loop: Header=BB194_424 Depth=1
	s_delay_alu instid0(VALU_DEP_2) | instskip(NEXT) | instid1(VALU_DEP_1)
	v_clz_i32_u32_e32 v0, v18
	v_min_u32_e32 v0, 32, v0
	s_delay_alu instid0(VALU_DEP_1) | instskip(SKIP_1) | instid1(VALU_DEP_2)
	v_subrev_nc_u32_e32 v1, 28, v0
	v_sub_nc_u32_e32 v0, 29, v0
	v_lshlrev_b64_e32 v[56:57], v1, v[18:19]
	s_delay_alu instid0(VALU_DEP_1)
	v_and_b32_e32 v18, 7, v56
; %bb.675:                              ;   in Loop: Header=BB194_424 Depth=1
	s_or_b32 exec_lo, exec_lo, s16
	s_delay_alu instid0(VALU_DEP_1) | instskip(SKIP_1) | instid1(VALU_DEP_2)
	v_dual_lshlrev_b32 v1, 16, v60 :: v_dual_lshlrev_b32 v18, 20, v18
	v_lshl_add_u32 v0, v0, 23, 0x3c000000
	v_and_b32_e32 v1, 0x80000000, v1
	s_delay_alu instid0(VALU_DEP_1)
	v_or3_b32 v1, v18, v1, v0
	v_mov_b32_e32 v0, v19
.LBB194_676:                            ;   in Loop: Header=BB194_424 Depth=1
	s_or_b32 exec_lo, exec_lo, s15
.LBB194_677:                            ;   in Loop: Header=BB194_424 Depth=1
	s_delay_alu instid0(SALU_CYCLE_1)
	s_or_b32 exec_lo, exec_lo, s14
.LBB194_678:                            ;   in Loop: Header=BB194_424 Depth=1
	s_delay_alu instid0(SALU_CYCLE_1) | instskip(SKIP_4) | instid1(VALU_DEP_3)
	s_or_b32 exec_lo, exec_lo, s11
	v_lshrrev_b32_e32 v61, 16, v60
	v_mov_b64_e32 v[56:57], 0
	v_mov_b64_e32 v[58:59], 0
	s_mov_b32 s11, exec_lo
	v_and_b32_e32 v18, 0xff, v61
	s_delay_alu instid0(VALU_DEP_1)
	v_cmpx_ne_u16_e32 0, v18
	s_cbranch_execz .LBB194_686
; %bb.679:                              ;   in Loop: Header=BB194_424 Depth=1
	v_mov_b64_e32 v[58:59], 0x80000000
	s_mov_b32 s14, exec_lo
	v_cmpx_ne_u16_e32 0x80, v18
	s_cbranch_execz .LBB194_685
; %bb.680:                              ;   in Loop: Header=BB194_424 Depth=1
	v_mov_b64_e32 v[58:59], 0x7f800001
	v_bfe_u32 v62, v60, 16, 7
	s_mov_b32 s15, exec_lo
	s_delay_alu instid0(VALU_DEP_1)
	v_cmpx_ne_u32_e32 0x7f, v62
	s_cbranch_execz .LBB194_684
; %bb.681:                              ;   in Loop: Header=BB194_424 Depth=1
	v_dual_lshrrev_b32 v58, 3, v62 :: v_dual_bitop2_b32 v18, 7, v61 bitop3:0x40
	s_mov_b32 s16, exec_lo
	v_cmpx_gt_u32_e32 8, v62
; %bb.682:                              ;   in Loop: Header=BB194_424 Depth=1
	s_delay_alu instid0(VALU_DEP_2) | instskip(NEXT) | instid1(VALU_DEP_1)
	v_clz_i32_u32_e32 v58, v18
	v_min_u32_e32 v58, 32, v58
	s_delay_alu instid0(VALU_DEP_1) | instskip(SKIP_1) | instid1(VALU_DEP_2)
	v_subrev_nc_u32_e32 v59, 28, v58
	v_sub_nc_u32_e32 v58, 29, v58
	v_lshlrev_b64_e32 v[62:63], v59, v[18:19]
	s_delay_alu instid0(VALU_DEP_1)
	v_and_b32_e32 v18, 7, v62
; %bb.683:                              ;   in Loop: Header=BB194_424 Depth=1
	s_or_b32 exec_lo, exec_lo, s16
	s_delay_alu instid0(VALU_DEP_1) | instskip(SKIP_1) | instid1(VALU_DEP_2)
	v_dual_lshlrev_b32 v59, 24, v61 :: v_dual_lshlrev_b32 v18, 20, v18
	v_lshl_add_u32 v58, v58, 23, 0x3c000000
	v_and_b32_e32 v59, 0x80000000, v59
	s_delay_alu instid0(VALU_DEP_1) | instskip(NEXT) | instid1(VALU_DEP_1)
	v_or3_b32 v18, v18, v59, v58
	v_mov_b64_e32 v[58:59], v[18:19]
.LBB194_684:                            ;   in Loop: Header=BB194_424 Depth=1
	s_or_b32 exec_lo, exec_lo, s15
.LBB194_685:                            ;   in Loop: Header=BB194_424 Depth=1
	s_delay_alu instid0(SALU_CYCLE_1)
	s_or_b32 exec_lo, exec_lo, s14
.LBB194_686:                            ;   in Loop: Header=BB194_424 Depth=1
	s_delay_alu instid0(SALU_CYCLE_1) | instskip(NEXT) | instid1(SALU_CYCLE_1)
	s_or_b32 exec_lo, exec_lo, s11
	s_mov_b32 s11, exec_lo
	v_cmpx_lt_u32_e32 0xffffff, v60
	s_cbranch_execz .LBB194_694
; %bb.687:                              ;   in Loop: Header=BB194_424 Depth=1
	v_mov_b64_e32 v[56:57], 0x8000000000000000
	v_lshrrev_b32_e32 v61, 24, v60
	s_mov_b32 s14, exec_lo
	s_delay_alu instid0(VALU_DEP_1)
	v_cmpx_ne_u32_e32 0x80, v61
	s_cbranch_execz .LBB194_693
; %bb.688:                              ;   in Loop: Header=BB194_424 Depth=1
	v_mov_b64_e32 v[56:57], 0x7f80000100000000
	v_bfe_u32 v60, v60, 24, 7
	s_mov_b32 s15, exec_lo
	s_delay_alu instid0(VALU_DEP_1)
	v_cmpx_ne_u32_e32 0x7f, v60
	s_cbranch_execz .LBB194_692
; %bb.689:                              ;   in Loop: Header=BB194_424 Depth=1
	v_dual_lshrrev_b32 v56, 3, v60 :: v_dual_bitop2_b32 v18, 7, v61 bitop3:0x40
	s_mov_b32 s16, exec_lo
	v_cmpx_gt_u32_e32 8, v60
; %bb.690:                              ;   in Loop: Header=BB194_424 Depth=1
	s_delay_alu instid0(VALU_DEP_2) | instskip(NEXT) | instid1(VALU_DEP_1)
	v_clz_i32_u32_e32 v56, v18
	v_min_u32_e32 v56, 32, v56
	s_delay_alu instid0(VALU_DEP_1) | instskip(NEXT) | instid1(VALU_DEP_1)
	v_subrev_nc_u32_e32 v57, 28, v56
	v_lshlrev_b64_e32 v[62:63], v57, v[18:19]
	s_delay_alu instid0(VALU_DEP_1)
	v_dual_sub_nc_u32 v56, 29, v56 :: v_dual_bitop2_b32 v18, 7, v62 bitop3:0x40
; %bb.691:                              ;   in Loop: Header=BB194_424 Depth=1
	s_or_b32 exec_lo, exec_lo, s16
	s_delay_alu instid0(VALU_DEP_1) | instskip(NEXT) | instid1(VALU_DEP_2)
	v_dual_lshlrev_b32 v57, 24, v61 :: v_dual_lshlrev_b32 v18, 20, v18
	v_lshl_add_u32 v56, v56, 23, 0x3c000000
	s_delay_alu instid0(VALU_DEP_2) | instskip(NEXT) | instid1(VALU_DEP_1)
	v_and_b32_e32 v57, 0x80000000, v57
	v_or3_b32 v57, v18, v57, v56
	v_mov_b32_e32 v56, v19
.LBB194_692:                            ;   in Loop: Header=BB194_424 Depth=1
	s_or_b32 exec_lo, exec_lo, s15
.LBB194_693:                            ;   in Loop: Header=BB194_424 Depth=1
	s_delay_alu instid0(SALU_CYCLE_1)
	s_or_b32 exec_lo, exec_lo, s14
.LBB194_694:                            ;   in Loop: Header=BB194_424 Depth=1
	s_delay_alu instid0(SALU_CYCLE_1)
	s_or_b32 exec_lo, exec_lo, s11
	v_or_b32_e32 v1, v1, v55
	v_or_b32_e32 v0, v0, v54
	v_mov_b64_e32 v[54:55], s[2:3]
	v_or_b32_e32 v59, v57, v59
	v_or_b32_e32 v58, v56, v58
	s_delay_alu instid0(VALU_DEP_3) | instskip(NEXT) | instid1(VALU_DEP_2)
	v_pk_mul_f32 v[56:57], v[54:55], v[0:1]
	v_pk_mul_f32 v[54:55], v[54:55], v[58:59]
	s_and_saveexec_b32 s11, vcc_lo
	s_cbranch_execz .LBB194_696
; %bb.695:                              ;   in Loop: Header=BB194_424 Depth=1
	v_cmp_gt_i32_e64 s0, s25, v78
	s_delay_alu instid0(VALU_DEP_1) | instskip(SKIP_1) | instid1(VALU_DEP_1)
	v_cndmask_b32_e64 v56, 0, v56, s0
	v_cmp_gt_i32_e64 s0, s25, v81
	v_cndmask_b32_e64 v57, 0, v57, s0
	v_cmp_gt_i32_e64 s0, s25, v73
	s_delay_alu instid0(VALU_DEP_1) | instskip(SKIP_1) | instid1(VALU_DEP_1)
	v_cndmask_b32_e64 v54, 0, v54, s0
	v_cmp_gt_i32_e64 s0, s25, v72
	v_cndmask_b32_e64 v55, 0, v55, s0
.LBB194_696:                            ;   in Loop: Header=BB194_424 Depth=1
	s_or_b32 exec_lo, exec_lo, s11
	global_load_b32 v64, v[28:29], off offset:1024
	v_mov_b64_e32 v[0:1], 0
	v_mov_b64_e32 v[58:59], 0
	s_mov_b32 s11, exec_lo
	s_wait_loadcnt 0x0
	v_and_b32_e32 v18, 0xff, v64
	s_delay_alu instid0(VALU_DEP_1)
	v_cmpx_ne_u16_e32 0, v18
	s_cbranch_execz .LBB194_704
; %bb.697:                              ;   in Loop: Header=BB194_424 Depth=1
	v_mov_b64_e32 v[58:59], 0x80000000
	s_mov_b32 s14, exec_lo
	v_cmpx_ne_u16_e32 0x80, v18
	s_cbranch_execz .LBB194_703
; %bb.698:                              ;   in Loop: Header=BB194_424 Depth=1
	v_mov_b64_e32 v[58:59], 0x7f800001
	v_and_b32_e32 v60, 0x7f, v64
	s_mov_b32 s15, exec_lo
	s_delay_alu instid0(VALU_DEP_1)
	v_cmpx_ne_u32_e32 0x7f, v60
	s_cbranch_execz .LBB194_702
; %bb.699:                              ;   in Loop: Header=BB194_424 Depth=1
	v_and_b32_e32 v18, 7, v64
	v_lshrrev_b32_e32 v58, 3, v60
	s_mov_b32 s16, exec_lo
	v_cmpx_gt_u32_e32 8, v60
; %bb.700:                              ;   in Loop: Header=BB194_424 Depth=1
	s_delay_alu instid0(VALU_DEP_3) | instskip(NEXT) | instid1(VALU_DEP_1)
	v_clz_i32_u32_e32 v58, v18
	v_min_u32_e32 v58, 32, v58
	s_delay_alu instid0(VALU_DEP_1) | instskip(NEXT) | instid1(VALU_DEP_1)
	v_subrev_nc_u32_e32 v59, 28, v58
	v_lshlrev_b64_e32 v[60:61], v59, v[18:19]
	s_delay_alu instid0(VALU_DEP_1)
	v_dual_sub_nc_u32 v58, 29, v58 :: v_dual_bitop2_b32 v18, 7, v60 bitop3:0x40
; %bb.701:                              ;   in Loop: Header=BB194_424 Depth=1
	s_or_b32 exec_lo, exec_lo, s16
	s_delay_alu instid0(VALU_DEP_1) | instskip(NEXT) | instid1(VALU_DEP_2)
	v_dual_lshlrev_b32 v59, 24, v64 :: v_dual_lshlrev_b32 v18, 20, v18
	v_lshl_add_u32 v58, v58, 23, 0x3c000000
	s_delay_alu instid0(VALU_DEP_2) | instskip(NEXT) | instid1(VALU_DEP_1)
	v_and_b32_e32 v59, 0x80000000, v59
	v_or3_b32 v18, v18, v59, v58
	s_delay_alu instid0(VALU_DEP_1)
	v_mov_b64_e32 v[58:59], v[18:19]
.LBB194_702:                            ;   in Loop: Header=BB194_424 Depth=1
	s_or_b32 exec_lo, exec_lo, s15
.LBB194_703:                            ;   in Loop: Header=BB194_424 Depth=1
	s_delay_alu instid0(SALU_CYCLE_1)
	s_or_b32 exec_lo, exec_lo, s14
.LBB194_704:                            ;   in Loop: Header=BB194_424 Depth=1
	s_delay_alu instid0(SALU_CYCLE_1) | instskip(SKIP_2) | instid1(VALU_DEP_1)
	s_or_b32 exec_lo, exec_lo, s11
	v_lshrrev_b16 v18, 8, v64
	s_mov_b32 s11, exec_lo
	v_cmpx_ne_u16_e32 0, v18
	s_cbranch_execz .LBB194_712
; %bb.705:                              ;   in Loop: Header=BB194_424 Depth=1
	v_mov_b64_e32 v[0:1], 0x8000000000000000
	s_mov_b32 s14, exec_lo
	v_cmpx_ne_u16_e32 0x80, v18
	s_cbranch_execz .LBB194_711
; %bb.706:                              ;   in Loop: Header=BB194_424 Depth=1
	v_and_b32_e32 v18, 0xffff, v18
	v_mov_b64_e32 v[0:1], 0x7f80000100000000
	s_mov_b32 s15, exec_lo
	s_delay_alu instid0(VALU_DEP_2) | instskip(NEXT) | instid1(VALU_DEP_1)
	v_and_b32_e32 v60, 0x7f, v18
	v_cmpx_ne_u32_e32 0x7f, v60
	s_cbranch_execz .LBB194_710
; %bb.707:                              ;   in Loop: Header=BB194_424 Depth=1
	v_dual_lshrrev_b32 v0, 3, v60 :: v_dual_bitop2_b32 v18, 7, v18 bitop3:0x40
	s_mov_b32 s16, exec_lo
	v_cmpx_gt_u32_e32 8, v60
; %bb.708:                              ;   in Loop: Header=BB194_424 Depth=1
	s_delay_alu instid0(VALU_DEP_2) | instskip(NEXT) | instid1(VALU_DEP_1)
	v_clz_i32_u32_e32 v0, v18
	v_min_u32_e32 v0, 32, v0
	s_delay_alu instid0(VALU_DEP_1) | instskip(SKIP_1) | instid1(VALU_DEP_2)
	v_subrev_nc_u32_e32 v1, 28, v0
	v_sub_nc_u32_e32 v0, 29, v0
	v_lshlrev_b64_e32 v[60:61], v1, v[18:19]
	s_delay_alu instid0(VALU_DEP_1)
	v_and_b32_e32 v18, 7, v60
; %bb.709:                              ;   in Loop: Header=BB194_424 Depth=1
	s_or_b32 exec_lo, exec_lo, s16
	s_delay_alu instid0(VALU_DEP_1) | instskip(SKIP_1) | instid1(VALU_DEP_2)
	v_dual_lshlrev_b32 v1, 16, v64 :: v_dual_lshlrev_b32 v18, 20, v18
	v_lshl_add_u32 v0, v0, 23, 0x3c000000
	v_and_b32_e32 v1, 0x80000000, v1
	s_delay_alu instid0(VALU_DEP_1)
	v_or3_b32 v1, v18, v1, v0
	v_mov_b32_e32 v0, v19
.LBB194_710:                            ;   in Loop: Header=BB194_424 Depth=1
	s_or_b32 exec_lo, exec_lo, s15
.LBB194_711:                            ;   in Loop: Header=BB194_424 Depth=1
	s_delay_alu instid0(SALU_CYCLE_1)
	s_or_b32 exec_lo, exec_lo, s14
.LBB194_712:                            ;   in Loop: Header=BB194_424 Depth=1
	s_delay_alu instid0(SALU_CYCLE_1) | instskip(SKIP_4) | instid1(VALU_DEP_3)
	s_or_b32 exec_lo, exec_lo, s11
	v_lshrrev_b32_e32 v65, 16, v64
	v_mov_b64_e32 v[60:61], 0
	v_mov_b64_e32 v[62:63], 0
	s_mov_b32 s11, exec_lo
	v_and_b32_e32 v18, 0xff, v65
	s_delay_alu instid0(VALU_DEP_1)
	v_cmpx_ne_u16_e32 0, v18
	s_cbranch_execz .LBB194_720
; %bb.713:                              ;   in Loop: Header=BB194_424 Depth=1
	v_mov_b64_e32 v[62:63], 0x80000000
	s_mov_b32 s14, exec_lo
	v_cmpx_ne_u16_e32 0x80, v18
	s_cbranch_execz .LBB194_719
; %bb.714:                              ;   in Loop: Header=BB194_424 Depth=1
	v_mov_b64_e32 v[62:63], 0x7f800001
	v_bfe_u32 v66, v64, 16, 7
	s_mov_b32 s15, exec_lo
	s_delay_alu instid0(VALU_DEP_1)
	v_cmpx_ne_u32_e32 0x7f, v66
	s_cbranch_execz .LBB194_718
; %bb.715:                              ;   in Loop: Header=BB194_424 Depth=1
	v_dual_lshrrev_b32 v62, 3, v66 :: v_dual_bitop2_b32 v18, 7, v65 bitop3:0x40
	s_mov_b32 s16, exec_lo
	v_cmpx_gt_u32_e32 8, v66
; %bb.716:                              ;   in Loop: Header=BB194_424 Depth=1
	s_delay_alu instid0(VALU_DEP_2) | instskip(NEXT) | instid1(VALU_DEP_1)
	v_clz_i32_u32_e32 v62, v18
	v_min_u32_e32 v62, 32, v62
	s_delay_alu instid0(VALU_DEP_1) | instskip(SKIP_1) | instid1(VALU_DEP_2)
	v_subrev_nc_u32_e32 v63, 28, v62
	v_sub_nc_u32_e32 v62, 29, v62
	v_lshlrev_b64_e32 v[66:67], v63, v[18:19]
	s_delay_alu instid0(VALU_DEP_1)
	v_and_b32_e32 v18, 7, v66
; %bb.717:                              ;   in Loop: Header=BB194_424 Depth=1
	s_or_b32 exec_lo, exec_lo, s16
	s_delay_alu instid0(VALU_DEP_1) | instskip(SKIP_1) | instid1(VALU_DEP_2)
	v_dual_lshlrev_b32 v63, 24, v65 :: v_dual_lshlrev_b32 v18, 20, v18
	v_lshl_add_u32 v62, v62, 23, 0x3c000000
	v_and_b32_e32 v63, 0x80000000, v63
	s_delay_alu instid0(VALU_DEP_1) | instskip(NEXT) | instid1(VALU_DEP_1)
	v_or3_b32 v18, v18, v63, v62
	v_mov_b64_e32 v[62:63], v[18:19]
.LBB194_718:                            ;   in Loop: Header=BB194_424 Depth=1
	s_or_b32 exec_lo, exec_lo, s15
.LBB194_719:                            ;   in Loop: Header=BB194_424 Depth=1
	s_delay_alu instid0(SALU_CYCLE_1)
	s_or_b32 exec_lo, exec_lo, s14
.LBB194_720:                            ;   in Loop: Header=BB194_424 Depth=1
	s_delay_alu instid0(SALU_CYCLE_1) | instskip(NEXT) | instid1(SALU_CYCLE_1)
	s_or_b32 exec_lo, exec_lo, s11
	s_mov_b32 s11, exec_lo
	v_cmpx_lt_u32_e32 0xffffff, v64
	s_cbranch_execz .LBB194_728
; %bb.721:                              ;   in Loop: Header=BB194_424 Depth=1
	v_mov_b64_e32 v[60:61], 0x8000000000000000
	v_lshrrev_b32_e32 v65, 24, v64
	s_mov_b32 s14, exec_lo
	s_delay_alu instid0(VALU_DEP_1)
	v_cmpx_ne_u32_e32 0x80, v65
	s_cbranch_execz .LBB194_727
; %bb.722:                              ;   in Loop: Header=BB194_424 Depth=1
	v_mov_b64_e32 v[60:61], 0x7f80000100000000
	v_bfe_u32 v64, v64, 24, 7
	s_mov_b32 s15, exec_lo
	s_delay_alu instid0(VALU_DEP_1)
	v_cmpx_ne_u32_e32 0x7f, v64
	s_cbranch_execz .LBB194_726
; %bb.723:                              ;   in Loop: Header=BB194_424 Depth=1
	v_dual_lshrrev_b32 v60, 3, v64 :: v_dual_bitop2_b32 v18, 7, v65 bitop3:0x40
	s_mov_b32 s16, exec_lo
	v_cmpx_gt_u32_e32 8, v64
; %bb.724:                              ;   in Loop: Header=BB194_424 Depth=1
	s_delay_alu instid0(VALU_DEP_2) | instskip(NEXT) | instid1(VALU_DEP_1)
	v_clz_i32_u32_e32 v60, v18
	v_min_u32_e32 v60, 32, v60
	s_delay_alu instid0(VALU_DEP_1) | instskip(NEXT) | instid1(VALU_DEP_1)
	v_subrev_nc_u32_e32 v61, 28, v60
	v_lshlrev_b64_e32 v[66:67], v61, v[18:19]
	s_delay_alu instid0(VALU_DEP_1)
	v_dual_sub_nc_u32 v60, 29, v60 :: v_dual_bitop2_b32 v18, 7, v66 bitop3:0x40
; %bb.725:                              ;   in Loop: Header=BB194_424 Depth=1
	s_or_b32 exec_lo, exec_lo, s16
	s_delay_alu instid0(VALU_DEP_1) | instskip(NEXT) | instid1(VALU_DEP_2)
	v_dual_lshlrev_b32 v61, 24, v65 :: v_dual_lshlrev_b32 v18, 20, v18
	v_lshl_add_u32 v60, v60, 23, 0x3c000000
	s_delay_alu instid0(VALU_DEP_2) | instskip(NEXT) | instid1(VALU_DEP_1)
	v_and_b32_e32 v61, 0x80000000, v61
	v_or3_b32 v61, v18, v61, v60
	v_mov_b32_e32 v60, v19
.LBB194_726:                            ;   in Loop: Header=BB194_424 Depth=1
	s_or_b32 exec_lo, exec_lo, s15
.LBB194_727:                            ;   in Loop: Header=BB194_424 Depth=1
	s_delay_alu instid0(SALU_CYCLE_1)
	s_or_b32 exec_lo, exec_lo, s14
.LBB194_728:                            ;   in Loop: Header=BB194_424 Depth=1
	s_delay_alu instid0(SALU_CYCLE_1)
	s_or_b32 exec_lo, exec_lo, s11
	v_mov_b64_e32 v[64:65], s[2:3]
	v_or_b32_e32 v1, v1, v59
	v_or_b32_e32 v0, v0, v58
	;; [unrolled: 1-line block ×4, first 2 shown]
	s_delay_alu instid0(VALU_DEP_3) | instskip(NEXT) | instid1(VALU_DEP_2)
	v_pk_mul_f32 v[58:59], v[64:65], v[0:1]
	v_pk_mul_f32 v[0:1], v[64:65], v[60:61]
	s_and_saveexec_b32 s11, vcc_lo
	s_cbranch_execz .LBB194_730
; %bb.729:                              ;   in Loop: Header=BB194_424 Depth=1
	v_cmp_gt_i32_e64 s0, s25, v78
	s_delay_alu instid0(VALU_DEP_1) | instskip(SKIP_1) | instid1(VALU_DEP_1)
	v_cndmask_b32_e64 v58, 0, v58, s0
	v_cmp_gt_i32_e64 s0, s25, v81
	v_cndmask_b32_e64 v59, 0, v59, s0
	v_cmp_gt_i32_e64 s0, s25, v73
	s_delay_alu instid0(VALU_DEP_1) | instskip(SKIP_1) | instid1(VALU_DEP_1)
	v_cndmask_b32_e64 v0, 0, v0, s0
	v_cmp_gt_i32_e64 s0, s25, v72
	v_cndmask_b32_e64 v1, 0, v1, s0
.LBB194_730:                            ;   in Loop: Header=BB194_424 Depth=1
	s_or_b32 exec_lo, exec_lo, s11
	global_load_b32 v68, v[28:29], off offset:1152
	v_mov_b64_e32 v[60:61], 0
	v_mov_b64_e32 v[62:63], 0
	s_mov_b32 s11, exec_lo
	s_wait_loadcnt 0x0
	v_and_b32_e32 v18, 0xff, v68
	s_delay_alu instid0(VALU_DEP_1)
	v_cmpx_ne_u16_e32 0, v18
	s_cbranch_execz .LBB194_738
; %bb.731:                              ;   in Loop: Header=BB194_424 Depth=1
	v_mov_b64_e32 v[62:63], 0x80000000
	s_mov_b32 s14, exec_lo
	v_cmpx_ne_u16_e32 0x80, v18
	s_cbranch_execz .LBB194_737
; %bb.732:                              ;   in Loop: Header=BB194_424 Depth=1
	v_mov_b64_e32 v[62:63], 0x7f800001
	v_and_b32_e32 v64, 0x7f, v68
	s_mov_b32 s15, exec_lo
	s_delay_alu instid0(VALU_DEP_1)
	v_cmpx_ne_u32_e32 0x7f, v64
	s_cbranch_execz .LBB194_736
; %bb.733:                              ;   in Loop: Header=BB194_424 Depth=1
	v_and_b32_e32 v18, 7, v68
	v_lshrrev_b32_e32 v62, 3, v64
	s_mov_b32 s16, exec_lo
	v_cmpx_gt_u32_e32 8, v64
; %bb.734:                              ;   in Loop: Header=BB194_424 Depth=1
	s_delay_alu instid0(VALU_DEP_3) | instskip(NEXT) | instid1(VALU_DEP_1)
	v_clz_i32_u32_e32 v62, v18
	v_min_u32_e32 v62, 32, v62
	s_delay_alu instid0(VALU_DEP_1) | instskip(NEXT) | instid1(VALU_DEP_1)
	v_subrev_nc_u32_e32 v63, 28, v62
	v_lshlrev_b64_e32 v[64:65], v63, v[18:19]
	s_delay_alu instid0(VALU_DEP_1)
	v_dual_sub_nc_u32 v62, 29, v62 :: v_dual_bitop2_b32 v18, 7, v64 bitop3:0x40
; %bb.735:                              ;   in Loop: Header=BB194_424 Depth=1
	s_or_b32 exec_lo, exec_lo, s16
	s_delay_alu instid0(VALU_DEP_1) | instskip(NEXT) | instid1(VALU_DEP_2)
	v_dual_lshlrev_b32 v63, 24, v68 :: v_dual_lshlrev_b32 v18, 20, v18
	v_lshl_add_u32 v62, v62, 23, 0x3c000000
	s_delay_alu instid0(VALU_DEP_2) | instskip(NEXT) | instid1(VALU_DEP_1)
	v_and_b32_e32 v63, 0x80000000, v63
	v_or3_b32 v18, v18, v63, v62
	s_delay_alu instid0(VALU_DEP_1)
	v_mov_b64_e32 v[62:63], v[18:19]
.LBB194_736:                            ;   in Loop: Header=BB194_424 Depth=1
	s_or_b32 exec_lo, exec_lo, s15
.LBB194_737:                            ;   in Loop: Header=BB194_424 Depth=1
	s_delay_alu instid0(SALU_CYCLE_1)
	s_or_b32 exec_lo, exec_lo, s14
.LBB194_738:                            ;   in Loop: Header=BB194_424 Depth=1
	s_delay_alu instid0(SALU_CYCLE_1) | instskip(SKIP_2) | instid1(VALU_DEP_1)
	s_or_b32 exec_lo, exec_lo, s11
	v_lshrrev_b16 v18, 8, v68
	s_mov_b32 s11, exec_lo
	v_cmpx_ne_u16_e32 0, v18
	s_cbranch_execz .LBB194_746
; %bb.739:                              ;   in Loop: Header=BB194_424 Depth=1
	v_mov_b64_e32 v[60:61], 0x8000000000000000
	s_mov_b32 s14, exec_lo
	v_cmpx_ne_u16_e32 0x80, v18
	s_cbranch_execz .LBB194_745
; %bb.740:                              ;   in Loop: Header=BB194_424 Depth=1
	v_and_b32_e32 v18, 0xffff, v18
	v_mov_b64_e32 v[60:61], 0x7f80000100000000
	s_mov_b32 s15, exec_lo
	s_delay_alu instid0(VALU_DEP_2) | instskip(NEXT) | instid1(VALU_DEP_1)
	v_and_b32_e32 v64, 0x7f, v18
	v_cmpx_ne_u32_e32 0x7f, v64
	s_cbranch_execz .LBB194_744
; %bb.741:                              ;   in Loop: Header=BB194_424 Depth=1
	v_dual_lshrrev_b32 v60, 3, v64 :: v_dual_bitop2_b32 v18, 7, v18 bitop3:0x40
	s_mov_b32 s16, exec_lo
	v_cmpx_gt_u32_e32 8, v64
; %bb.742:                              ;   in Loop: Header=BB194_424 Depth=1
	s_delay_alu instid0(VALU_DEP_2) | instskip(NEXT) | instid1(VALU_DEP_1)
	v_clz_i32_u32_e32 v60, v18
	v_min_u32_e32 v60, 32, v60
	s_delay_alu instid0(VALU_DEP_1) | instskip(SKIP_1) | instid1(VALU_DEP_2)
	v_subrev_nc_u32_e32 v61, 28, v60
	v_sub_nc_u32_e32 v60, 29, v60
	v_lshlrev_b64_e32 v[64:65], v61, v[18:19]
	s_delay_alu instid0(VALU_DEP_1)
	v_and_b32_e32 v18, 7, v64
; %bb.743:                              ;   in Loop: Header=BB194_424 Depth=1
	s_or_b32 exec_lo, exec_lo, s16
	s_delay_alu instid0(VALU_DEP_1) | instskip(SKIP_1) | instid1(VALU_DEP_2)
	v_dual_lshlrev_b32 v61, 16, v68 :: v_dual_lshlrev_b32 v18, 20, v18
	v_lshl_add_u32 v60, v60, 23, 0x3c000000
	v_and_b32_e32 v61, 0x80000000, v61
	s_delay_alu instid0(VALU_DEP_1)
	v_or3_b32 v61, v18, v61, v60
	v_mov_b32_e32 v60, v19
.LBB194_744:                            ;   in Loop: Header=BB194_424 Depth=1
	s_or_b32 exec_lo, exec_lo, s15
.LBB194_745:                            ;   in Loop: Header=BB194_424 Depth=1
	s_delay_alu instid0(SALU_CYCLE_1)
	s_or_b32 exec_lo, exec_lo, s14
.LBB194_746:                            ;   in Loop: Header=BB194_424 Depth=1
	s_delay_alu instid0(SALU_CYCLE_1) | instskip(SKIP_4) | instid1(VALU_DEP_3)
	s_or_b32 exec_lo, exec_lo, s11
	v_lshrrev_b32_e32 v69, 16, v68
	v_mov_b64_e32 v[64:65], 0
	v_mov_b64_e32 v[66:67], 0
	s_mov_b32 s11, exec_lo
	v_and_b32_e32 v18, 0xff, v69
	s_delay_alu instid0(VALU_DEP_1)
	v_cmpx_ne_u16_e32 0, v18
	s_cbranch_execz .LBB194_754
; %bb.747:                              ;   in Loop: Header=BB194_424 Depth=1
	v_mov_b64_e32 v[66:67], 0x80000000
	s_mov_b32 s14, exec_lo
	v_cmpx_ne_u16_e32 0x80, v18
	s_cbranch_execz .LBB194_753
; %bb.748:                              ;   in Loop: Header=BB194_424 Depth=1
	v_mov_b64_e32 v[66:67], 0x7f800001
	v_bfe_u32 v70, v68, 16, 7
	s_mov_b32 s15, exec_lo
	s_delay_alu instid0(VALU_DEP_1)
	v_cmpx_ne_u32_e32 0x7f, v70
	s_cbranch_execz .LBB194_752
; %bb.749:                              ;   in Loop: Header=BB194_424 Depth=1
	v_dual_lshrrev_b32 v66, 3, v70 :: v_dual_bitop2_b32 v18, 7, v69 bitop3:0x40
	s_mov_b32 s16, exec_lo
	v_cmpx_gt_u32_e32 8, v70
; %bb.750:                              ;   in Loop: Header=BB194_424 Depth=1
	s_delay_alu instid0(VALU_DEP_2) | instskip(NEXT) | instid1(VALU_DEP_1)
	v_clz_i32_u32_e32 v66, v18
	v_min_u32_e32 v66, 32, v66
	s_delay_alu instid0(VALU_DEP_1) | instskip(SKIP_1) | instid1(VALU_DEP_2)
	v_subrev_nc_u32_e32 v67, 28, v66
	v_sub_nc_u32_e32 v66, 29, v66
	v_lshlrev_b64_e32 v[70:71], v67, v[18:19]
	s_delay_alu instid0(VALU_DEP_1)
	v_and_b32_e32 v18, 7, v70
; %bb.751:                              ;   in Loop: Header=BB194_424 Depth=1
	s_or_b32 exec_lo, exec_lo, s16
	s_delay_alu instid0(VALU_DEP_1) | instskip(SKIP_1) | instid1(VALU_DEP_2)
	v_dual_lshlrev_b32 v67, 24, v69 :: v_dual_lshlrev_b32 v18, 20, v18
	v_lshl_add_u32 v66, v66, 23, 0x3c000000
	v_and_b32_e32 v67, 0x80000000, v67
	s_delay_alu instid0(VALU_DEP_1) | instskip(NEXT) | instid1(VALU_DEP_1)
	v_or3_b32 v18, v18, v67, v66
	v_mov_b64_e32 v[66:67], v[18:19]
.LBB194_752:                            ;   in Loop: Header=BB194_424 Depth=1
	s_or_b32 exec_lo, exec_lo, s15
.LBB194_753:                            ;   in Loop: Header=BB194_424 Depth=1
	s_delay_alu instid0(SALU_CYCLE_1)
	s_or_b32 exec_lo, exec_lo, s14
.LBB194_754:                            ;   in Loop: Header=BB194_424 Depth=1
	s_delay_alu instid0(SALU_CYCLE_1) | instskip(NEXT) | instid1(SALU_CYCLE_1)
	s_or_b32 exec_lo, exec_lo, s11
	s_mov_b32 s11, exec_lo
	v_cmpx_lt_u32_e32 0xffffff, v68
	s_cbranch_execz .LBB194_762
; %bb.755:                              ;   in Loop: Header=BB194_424 Depth=1
	v_mov_b64_e32 v[64:65], 0x8000000000000000
	v_lshrrev_b32_e32 v69, 24, v68
	s_mov_b32 s14, exec_lo
	s_delay_alu instid0(VALU_DEP_1)
	v_cmpx_ne_u32_e32 0x80, v69
	s_cbranch_execz .LBB194_761
; %bb.756:                              ;   in Loop: Header=BB194_424 Depth=1
	v_mov_b64_e32 v[64:65], 0x7f80000100000000
	v_bfe_u32 v68, v68, 24, 7
	s_mov_b32 s15, exec_lo
	s_delay_alu instid0(VALU_DEP_1)
	v_cmpx_ne_u32_e32 0x7f, v68
	s_cbranch_execz .LBB194_760
; %bb.757:                              ;   in Loop: Header=BB194_424 Depth=1
	v_dual_lshrrev_b32 v64, 3, v68 :: v_dual_bitop2_b32 v18, 7, v69 bitop3:0x40
	s_mov_b32 s16, exec_lo
	v_cmpx_gt_u32_e32 8, v68
; %bb.758:                              ;   in Loop: Header=BB194_424 Depth=1
	s_delay_alu instid0(VALU_DEP_2) | instskip(NEXT) | instid1(VALU_DEP_1)
	v_clz_i32_u32_e32 v64, v18
	v_min_u32_e32 v64, 32, v64
	s_delay_alu instid0(VALU_DEP_1) | instskip(NEXT) | instid1(VALU_DEP_1)
	v_subrev_nc_u32_e32 v65, 28, v64
	v_lshlrev_b64_e32 v[70:71], v65, v[18:19]
	s_delay_alu instid0(VALU_DEP_1)
	v_dual_sub_nc_u32 v64, 29, v64 :: v_dual_bitop2_b32 v18, 7, v70 bitop3:0x40
; %bb.759:                              ;   in Loop: Header=BB194_424 Depth=1
	s_or_b32 exec_lo, exec_lo, s16
	s_delay_alu instid0(VALU_DEP_1) | instskip(NEXT) | instid1(VALU_DEP_2)
	v_dual_lshlrev_b32 v65, 24, v69 :: v_dual_lshlrev_b32 v18, 20, v18
	v_lshl_add_u32 v64, v64, 23, 0x3c000000
	s_delay_alu instid0(VALU_DEP_2) | instskip(NEXT) | instid1(VALU_DEP_1)
	v_and_b32_e32 v65, 0x80000000, v65
	v_or3_b32 v65, v18, v65, v64
	v_mov_b32_e32 v64, v19
.LBB194_760:                            ;   in Loop: Header=BB194_424 Depth=1
	s_or_b32 exec_lo, exec_lo, s15
.LBB194_761:                            ;   in Loop: Header=BB194_424 Depth=1
	s_delay_alu instid0(SALU_CYCLE_1)
	s_or_b32 exec_lo, exec_lo, s14
.LBB194_762:                            ;   in Loop: Header=BB194_424 Depth=1
	s_delay_alu instid0(SALU_CYCLE_1)
	s_or_b32 exec_lo, exec_lo, s11
	v_mov_b64_e32 v[68:69], s[2:3]
	v_or_b32_e32 v61, v61, v63
	v_or_b32_e32 v60, v60, v62
	;; [unrolled: 1-line block ×4, first 2 shown]
	s_delay_alu instid0(VALU_DEP_3) | instskip(NEXT) | instid1(VALU_DEP_2)
	v_pk_mul_f32 v[62:63], v[68:69], v[60:61]
	v_pk_mul_f32 v[60:61], v[68:69], v[64:65]
	s_and_saveexec_b32 s11, vcc_lo
	s_cbranch_execz .LBB194_764
; %bb.763:                              ;   in Loop: Header=BB194_424 Depth=1
	v_cmp_gt_i32_e64 s0, s25, v78
	s_delay_alu instid0(VALU_DEP_1) | instskip(SKIP_1) | instid1(VALU_DEP_1)
	v_cndmask_b32_e64 v62, 0, v62, s0
	v_cmp_gt_i32_e64 s0, s25, v81
	v_cndmask_b32_e64 v63, 0, v63, s0
	v_cmp_gt_i32_e64 s0, s25, v73
	s_delay_alu instid0(VALU_DEP_1) | instskip(SKIP_1) | instid1(VALU_DEP_1)
	v_cndmask_b32_e64 v60, 0, v60, s0
	v_cmp_gt_i32_e64 s0, s25, v72
	v_cndmask_b32_e64 v61, 0, v61, s0
.LBB194_764:                            ;   in Loop: Header=BB194_424 Depth=1
	s_or_b32 exec_lo, exec_lo, s11
	global_load_b32 v82, v[28:29], off offset:1280
	v_mov_b64_e32 v[64:65], 0
	v_mov_b64_e32 v[66:67], 0
	s_mov_b32 s11, exec_lo
	s_wait_loadcnt 0x0
	v_and_b32_e32 v18, 0xff, v82
	s_delay_alu instid0(VALU_DEP_1)
	v_cmpx_ne_u16_e32 0, v18
	s_cbranch_execz .LBB194_772
; %bb.765:                              ;   in Loop: Header=BB194_424 Depth=1
	v_mov_b64_e32 v[66:67], 0x80000000
	s_mov_b32 s14, exec_lo
	v_cmpx_ne_u16_e32 0x80, v18
	s_cbranch_execz .LBB194_771
; %bb.766:                              ;   in Loop: Header=BB194_424 Depth=1
	v_mov_b64_e32 v[66:67], 0x7f800001
	v_and_b32_e32 v68, 0x7f, v82
	s_mov_b32 s15, exec_lo
	s_delay_alu instid0(VALU_DEP_1)
	v_cmpx_ne_u32_e32 0x7f, v68
	s_cbranch_execz .LBB194_770
; %bb.767:                              ;   in Loop: Header=BB194_424 Depth=1
	v_dual_lshrrev_b32 v66, 3, v68 :: v_dual_bitop2_b32 v18, 7, v82 bitop3:0x40
	s_mov_b32 s16, exec_lo
	v_cmpx_gt_u32_e32 8, v68
; %bb.768:                              ;   in Loop: Header=BB194_424 Depth=1
	s_delay_alu instid0(VALU_DEP_2) | instskip(NEXT) | instid1(VALU_DEP_1)
	v_clz_i32_u32_e32 v66, v18
	v_min_u32_e32 v66, 32, v66
	s_delay_alu instid0(VALU_DEP_1) | instskip(NEXT) | instid1(VALU_DEP_1)
	v_subrev_nc_u32_e32 v67, 28, v66
	v_lshlrev_b64_e32 v[68:69], v67, v[18:19]
	s_delay_alu instid0(VALU_DEP_1)
	v_dual_sub_nc_u32 v66, 29, v66 :: v_dual_bitop2_b32 v18, 7, v68 bitop3:0x40
; %bb.769:                              ;   in Loop: Header=BB194_424 Depth=1
	s_or_b32 exec_lo, exec_lo, s16
	v_lshlrev_b32_e32 v67, 24, v82
	s_delay_alu instid0(VALU_DEP_2) | instskip(NEXT) | instid1(VALU_DEP_3)
	v_lshlrev_b32_e32 v18, 20, v18
	v_lshl_add_u32 v66, v66, 23, 0x3c000000
	s_delay_alu instid0(VALU_DEP_3) | instskip(NEXT) | instid1(VALU_DEP_1)
	v_and_b32_e32 v67, 0x80000000, v67
	v_or3_b32 v18, v18, v67, v66
	s_delay_alu instid0(VALU_DEP_1)
	v_mov_b64_e32 v[66:67], v[18:19]
.LBB194_770:                            ;   in Loop: Header=BB194_424 Depth=1
	s_or_b32 exec_lo, exec_lo, s15
.LBB194_771:                            ;   in Loop: Header=BB194_424 Depth=1
	s_delay_alu instid0(SALU_CYCLE_1)
	s_or_b32 exec_lo, exec_lo, s14
.LBB194_772:                            ;   in Loop: Header=BB194_424 Depth=1
	s_delay_alu instid0(SALU_CYCLE_1) | instskip(SKIP_2) | instid1(VALU_DEP_1)
	s_or_b32 exec_lo, exec_lo, s11
	v_lshrrev_b16 v18, 8, v82
	s_mov_b32 s11, exec_lo
	v_cmpx_ne_u16_e32 0, v18
	s_cbranch_execz .LBB194_780
; %bb.773:                              ;   in Loop: Header=BB194_424 Depth=1
	v_mov_b64_e32 v[64:65], 0x8000000000000000
	s_mov_b32 s14, exec_lo
	v_cmpx_ne_u16_e32 0x80, v18
	s_cbranch_execz .LBB194_779
; %bb.774:                              ;   in Loop: Header=BB194_424 Depth=1
	v_and_b32_e32 v18, 0xffff, v18
	v_mov_b64_e32 v[64:65], 0x7f80000100000000
	s_mov_b32 s15, exec_lo
	s_delay_alu instid0(VALU_DEP_2) | instskip(NEXT) | instid1(VALU_DEP_1)
	v_and_b32_e32 v68, 0x7f, v18
	v_cmpx_ne_u32_e32 0x7f, v68
	s_cbranch_execz .LBB194_778
; %bb.775:                              ;   in Loop: Header=BB194_424 Depth=1
	v_dual_lshrrev_b32 v64, 3, v68 :: v_dual_bitop2_b32 v18, 7, v18 bitop3:0x40
	s_mov_b32 s16, exec_lo
	v_cmpx_gt_u32_e32 8, v68
; %bb.776:                              ;   in Loop: Header=BB194_424 Depth=1
	s_delay_alu instid0(VALU_DEP_2) | instskip(NEXT) | instid1(VALU_DEP_1)
	v_clz_i32_u32_e32 v64, v18
	v_min_u32_e32 v64, 32, v64
	s_delay_alu instid0(VALU_DEP_1) | instskip(SKIP_1) | instid1(VALU_DEP_2)
	v_subrev_nc_u32_e32 v65, 28, v64
	v_sub_nc_u32_e32 v64, 29, v64
	v_lshlrev_b64_e32 v[68:69], v65, v[18:19]
	s_delay_alu instid0(VALU_DEP_1)
	v_and_b32_e32 v18, 7, v68
; %bb.777:                              ;   in Loop: Header=BB194_424 Depth=1
	s_or_b32 exec_lo, exec_lo, s16
	v_lshlrev_b32_e32 v65, 16, v82
	s_delay_alu instid0(VALU_DEP_2) | instskip(SKIP_1) | instid1(VALU_DEP_3)
	v_lshlrev_b32_e32 v18, 20, v18
	v_lshl_add_u32 v64, v64, 23, 0x3c000000
	v_and_b32_e32 v65, 0x80000000, v65
	s_delay_alu instid0(VALU_DEP_1)
	v_or3_b32 v65, v18, v65, v64
	v_mov_b32_e32 v64, v19
.LBB194_778:                            ;   in Loop: Header=BB194_424 Depth=1
	s_or_b32 exec_lo, exec_lo, s15
.LBB194_779:                            ;   in Loop: Header=BB194_424 Depth=1
	s_delay_alu instid0(SALU_CYCLE_1)
	s_or_b32 exec_lo, exec_lo, s14
.LBB194_780:                            ;   in Loop: Header=BB194_424 Depth=1
	s_delay_alu instid0(SALU_CYCLE_1) | instskip(SKIP_4) | instid1(VALU_DEP_3)
	s_or_b32 exec_lo, exec_lo, s11
	v_lshrrev_b32_e32 v83, 16, v82
	v_mov_b64_e32 v[68:69], 0
	v_mov_b64_e32 v[70:71], 0
	s_mov_b32 s11, exec_lo
	v_and_b32_e32 v18, 0xff, v83
	s_delay_alu instid0(VALU_DEP_1)
	v_cmpx_ne_u16_e32 0, v18
	s_cbranch_execz .LBB194_788
; %bb.781:                              ;   in Loop: Header=BB194_424 Depth=1
	v_mov_b64_e32 v[70:71], 0x80000000
	s_mov_b32 s14, exec_lo
	v_cmpx_ne_u16_e32 0x80, v18
	s_cbranch_execz .LBB194_787
; %bb.782:                              ;   in Loop: Header=BB194_424 Depth=1
	v_mov_b64_e32 v[70:71], 0x7f800001
	v_bfe_u32 v84, v82, 16, 7
	s_mov_b32 s15, exec_lo
	s_delay_alu instid0(VALU_DEP_1)
	v_cmpx_ne_u32_e32 0x7f, v84
	s_cbranch_execz .LBB194_786
; %bb.783:                              ;   in Loop: Header=BB194_424 Depth=1
	v_dual_lshrrev_b32 v70, 3, v84 :: v_dual_bitop2_b32 v18, 7, v83 bitop3:0x40
	s_mov_b32 s16, exec_lo
	v_cmpx_gt_u32_e32 8, v84
; %bb.784:                              ;   in Loop: Header=BB194_424 Depth=1
	s_delay_alu instid0(VALU_DEP_2) | instskip(NEXT) | instid1(VALU_DEP_1)
	v_clz_i32_u32_e32 v70, v18
	v_min_u32_e32 v70, 32, v70
	s_delay_alu instid0(VALU_DEP_1) | instskip(NEXT) | instid1(VALU_DEP_1)
	v_subrev_nc_u32_e32 v71, 28, v70
	v_lshlrev_b64_e32 v[84:85], v71, v[18:19]
	s_delay_alu instid0(VALU_DEP_1)
	v_dual_sub_nc_u32 v70, 29, v70 :: v_dual_bitop2_b32 v18, 7, v84 bitop3:0x40
; %bb.785:                              ;   in Loop: Header=BB194_424 Depth=1
	s_or_b32 exec_lo, exec_lo, s16
	s_delay_alu instid0(VALU_DEP_1) | instskip(NEXT) | instid1(VALU_DEP_2)
	v_dual_lshlrev_b32 v71, 24, v83 :: v_dual_lshlrev_b32 v18, 20, v18
	v_lshl_add_u32 v70, v70, 23, 0x3c000000
	s_delay_alu instid0(VALU_DEP_2) | instskip(NEXT) | instid1(VALU_DEP_1)
	v_and_b32_e32 v71, 0x80000000, v71
	v_or3_b32 v18, v18, v71, v70
	s_delay_alu instid0(VALU_DEP_1)
	v_mov_b64_e32 v[70:71], v[18:19]
.LBB194_786:                            ;   in Loop: Header=BB194_424 Depth=1
	s_or_b32 exec_lo, exec_lo, s15
.LBB194_787:                            ;   in Loop: Header=BB194_424 Depth=1
	s_delay_alu instid0(SALU_CYCLE_1)
	s_or_b32 exec_lo, exec_lo, s14
.LBB194_788:                            ;   in Loop: Header=BB194_424 Depth=1
	s_delay_alu instid0(SALU_CYCLE_1) | instskip(NEXT) | instid1(SALU_CYCLE_1)
	s_or_b32 exec_lo, exec_lo, s11
	s_mov_b32 s11, exec_lo
	v_cmpx_lt_u32_e32 0xffffff, v82
	s_cbranch_execz .LBB194_796
; %bb.789:                              ;   in Loop: Header=BB194_424 Depth=1
	v_mov_b64_e32 v[68:69], 0x8000000000000000
	v_lshrrev_b32_e32 v83, 24, v82
	s_mov_b32 s14, exec_lo
	s_delay_alu instid0(VALU_DEP_1)
	v_cmpx_ne_u32_e32 0x80, v83
	s_cbranch_execz .LBB194_795
; %bb.790:                              ;   in Loop: Header=BB194_424 Depth=1
	v_mov_b64_e32 v[68:69], 0x7f80000100000000
	v_bfe_u32 v82, v82, 24, 7
	s_mov_b32 s15, exec_lo
	s_delay_alu instid0(VALU_DEP_1)
	v_cmpx_ne_u32_e32 0x7f, v82
	s_cbranch_execz .LBB194_794
; %bb.791:                              ;   in Loop: Header=BB194_424 Depth=1
	v_dual_lshrrev_b32 v68, 3, v82 :: v_dual_bitop2_b32 v18, 7, v83 bitop3:0x40
	s_mov_b32 s16, exec_lo
	v_cmpx_gt_u32_e32 8, v82
; %bb.792:                              ;   in Loop: Header=BB194_424 Depth=1
	s_delay_alu instid0(VALU_DEP_2) | instskip(NEXT) | instid1(VALU_DEP_1)
	v_clz_i32_u32_e32 v68, v18
	v_min_u32_e32 v68, 32, v68
	s_delay_alu instid0(VALU_DEP_1) | instskip(SKIP_1) | instid1(VALU_DEP_2)
	v_subrev_nc_u32_e32 v69, 28, v68
	v_sub_nc_u32_e32 v68, 29, v68
	v_lshlrev_b64_e32 v[84:85], v69, v[18:19]
	s_delay_alu instid0(VALU_DEP_1)
	v_and_b32_e32 v18, 7, v84
; %bb.793:                              ;   in Loop: Header=BB194_424 Depth=1
	s_or_b32 exec_lo, exec_lo, s16
	s_delay_alu instid0(VALU_DEP_1) | instskip(SKIP_1) | instid1(VALU_DEP_2)
	v_dual_lshlrev_b32 v69, 24, v83 :: v_dual_lshlrev_b32 v18, 20, v18
	v_lshl_add_u32 v68, v68, 23, 0x3c000000
	v_and_b32_e32 v69, 0x80000000, v69
	s_delay_alu instid0(VALU_DEP_1)
	v_or3_b32 v69, v18, v69, v68
	v_mov_b32_e32 v68, v19
.LBB194_794:                            ;   in Loop: Header=BB194_424 Depth=1
	s_or_b32 exec_lo, exec_lo, s15
.LBB194_795:                            ;   in Loop: Header=BB194_424 Depth=1
	s_delay_alu instid0(SALU_CYCLE_1)
	s_or_b32 exec_lo, exec_lo, s14
.LBB194_796:                            ;   in Loop: Header=BB194_424 Depth=1
	s_delay_alu instid0(SALU_CYCLE_1)
	s_or_b32 exec_lo, exec_lo, s11
	v_mov_b64_e32 v[82:83], s[2:3]
	v_or_b32_e32 v65, v65, v67
	v_or_b32_e32 v64, v64, v66
	;; [unrolled: 1-line block ×4, first 2 shown]
	s_delay_alu instid0(VALU_DEP_3) | instskip(NEXT) | instid1(VALU_DEP_2)
	v_pk_mul_f32 v[66:67], v[82:83], v[64:65]
	v_pk_mul_f32 v[64:65], v[82:83], v[68:69]
	s_and_saveexec_b32 s11, vcc_lo
	s_cbranch_execz .LBB194_798
; %bb.797:                              ;   in Loop: Header=BB194_424 Depth=1
	v_cmp_gt_i32_e64 s0, s25, v78
	s_delay_alu instid0(VALU_DEP_1) | instskip(SKIP_1) | instid1(VALU_DEP_1)
	v_cndmask_b32_e64 v66, 0, v66, s0
	v_cmp_gt_i32_e64 s0, s25, v81
	v_cndmask_b32_e64 v67, 0, v67, s0
	v_cmp_gt_i32_e64 s0, s25, v73
	s_delay_alu instid0(VALU_DEP_1) | instskip(SKIP_1) | instid1(VALU_DEP_1)
	v_cndmask_b32_e64 v64, 0, v64, s0
	v_cmp_gt_i32_e64 s0, s25, v72
	v_cndmask_b32_e64 v65, 0, v65, s0
.LBB194_798:                            ;   in Loop: Header=BB194_424 Depth=1
	s_or_b32 exec_lo, exec_lo, s11
	global_load_b32 v82, v[28:29], off offset:1408
	s_wait_xcnt 0x0
	v_mov_b64_e32 v[28:29], 0
	v_mov_b64_e32 v[68:69], 0
	s_mov_b32 s11, exec_lo
	s_wait_loadcnt 0x0
	v_and_b32_e32 v18, 0xff, v82
	s_delay_alu instid0(VALU_DEP_1)
	v_cmpx_ne_u16_e32 0, v18
	s_cbranch_execz .LBB194_806
; %bb.799:                              ;   in Loop: Header=BB194_424 Depth=1
	v_mov_b64_e32 v[68:69], 0x80000000
	s_mov_b32 s14, exec_lo
	v_cmpx_ne_u16_e32 0x80, v18
	s_cbranch_execz .LBB194_805
; %bb.800:                              ;   in Loop: Header=BB194_424 Depth=1
	v_mov_b64_e32 v[68:69], 0x7f800001
	v_and_b32_e32 v70, 0x7f, v82
	s_mov_b32 s15, exec_lo
	s_delay_alu instid0(VALU_DEP_1)
	v_cmpx_ne_u32_e32 0x7f, v70
	s_cbranch_execz .LBB194_804
; %bb.801:                              ;   in Loop: Header=BB194_424 Depth=1
	v_and_b32_e32 v18, 7, v82
	v_lshrrev_b32_e32 v68, 3, v70
	s_mov_b32 s16, exec_lo
	v_cmpx_gt_u32_e32 8, v70
; %bb.802:                              ;   in Loop: Header=BB194_424 Depth=1
	s_delay_alu instid0(VALU_DEP_3) | instskip(NEXT) | instid1(VALU_DEP_1)
	v_clz_i32_u32_e32 v68, v18
	v_min_u32_e32 v68, 32, v68
	s_delay_alu instid0(VALU_DEP_1) | instskip(NEXT) | instid1(VALU_DEP_1)
	v_subrev_nc_u32_e32 v69, 28, v68
	v_lshlrev_b64_e32 v[70:71], v69, v[18:19]
	s_delay_alu instid0(VALU_DEP_1)
	v_dual_sub_nc_u32 v68, 29, v68 :: v_dual_bitop2_b32 v18, 7, v70 bitop3:0x40
; %bb.803:                              ;   in Loop: Header=BB194_424 Depth=1
	s_or_b32 exec_lo, exec_lo, s16
	v_lshlrev_b32_e32 v69, 24, v82
	s_delay_alu instid0(VALU_DEP_2) | instskip(NEXT) | instid1(VALU_DEP_3)
	v_lshlrev_b32_e32 v18, 20, v18
	v_lshl_add_u32 v68, v68, 23, 0x3c000000
	s_delay_alu instid0(VALU_DEP_3) | instskip(NEXT) | instid1(VALU_DEP_1)
	v_and_b32_e32 v69, 0x80000000, v69
	v_or3_b32 v18, v18, v69, v68
	s_delay_alu instid0(VALU_DEP_1)
	v_mov_b64_e32 v[68:69], v[18:19]
.LBB194_804:                            ;   in Loop: Header=BB194_424 Depth=1
	s_or_b32 exec_lo, exec_lo, s15
.LBB194_805:                            ;   in Loop: Header=BB194_424 Depth=1
	s_delay_alu instid0(SALU_CYCLE_1)
	s_or_b32 exec_lo, exec_lo, s14
.LBB194_806:                            ;   in Loop: Header=BB194_424 Depth=1
	s_delay_alu instid0(SALU_CYCLE_1) | instskip(SKIP_2) | instid1(VALU_DEP_1)
	s_or_b32 exec_lo, exec_lo, s11
	v_lshrrev_b16 v18, 8, v82
	s_mov_b32 s11, exec_lo
	v_cmpx_ne_u16_e32 0, v18
	s_cbranch_execz .LBB194_814
; %bb.807:                              ;   in Loop: Header=BB194_424 Depth=1
	v_mov_b64_e32 v[28:29], 0x8000000000000000
	s_mov_b32 s14, exec_lo
	v_cmpx_ne_u16_e32 0x80, v18
	s_cbranch_execz .LBB194_813
; %bb.808:                              ;   in Loop: Header=BB194_424 Depth=1
	v_and_b32_e32 v18, 0xffff, v18
	v_mov_b64_e32 v[28:29], 0x7f80000100000000
	s_mov_b32 s15, exec_lo
	s_delay_alu instid0(VALU_DEP_2) | instskip(NEXT) | instid1(VALU_DEP_1)
	v_and_b32_e32 v70, 0x7f, v18
	v_cmpx_ne_u32_e32 0x7f, v70
	s_cbranch_execz .LBB194_812
; %bb.809:                              ;   in Loop: Header=BB194_424 Depth=1
	v_and_b32_e32 v18, 7, v18
	v_lshrrev_b32_e32 v28, 3, v70
	s_mov_b32 s16, exec_lo
	v_cmpx_gt_u32_e32 8, v70
; %bb.810:                              ;   in Loop: Header=BB194_424 Depth=1
	s_delay_alu instid0(VALU_DEP_3) | instskip(NEXT) | instid1(VALU_DEP_1)
	v_clz_i32_u32_e32 v28, v18
	v_min_u32_e32 v28, 32, v28
	s_delay_alu instid0(VALU_DEP_1) | instskip(NEXT) | instid1(VALU_DEP_1)
	v_subrev_nc_u32_e32 v29, 28, v28
	v_lshlrev_b64_e32 v[70:71], v29, v[18:19]
	s_delay_alu instid0(VALU_DEP_1)
	v_dual_sub_nc_u32 v28, 29, v28 :: v_dual_bitop2_b32 v18, 7, v70 bitop3:0x40
; %bb.811:                              ;   in Loop: Header=BB194_424 Depth=1
	s_or_b32 exec_lo, exec_lo, s16
	v_lshlrev_b32_e32 v29, 16, v82
	s_delay_alu instid0(VALU_DEP_2) | instskip(NEXT) | instid1(VALU_DEP_3)
	v_lshlrev_b32_e32 v18, 20, v18
	v_lshl_add_u32 v28, v28, 23, 0x3c000000
	s_delay_alu instid0(VALU_DEP_3) | instskip(NEXT) | instid1(VALU_DEP_1)
	v_and_b32_e32 v29, 0x80000000, v29
	v_or3_b32 v29, v18, v29, v28
	v_mov_b32_e32 v28, v19
.LBB194_812:                            ;   in Loop: Header=BB194_424 Depth=1
	s_or_b32 exec_lo, exec_lo, s15
.LBB194_813:                            ;   in Loop: Header=BB194_424 Depth=1
	s_delay_alu instid0(SALU_CYCLE_1)
	s_or_b32 exec_lo, exec_lo, s14
.LBB194_814:                            ;   in Loop: Header=BB194_424 Depth=1
	s_delay_alu instid0(SALU_CYCLE_1) | instskip(SKIP_4) | instid1(VALU_DEP_3)
	s_or_b32 exec_lo, exec_lo, s11
	v_lshrrev_b32_e32 v83, 16, v82
	v_mov_b64_e32 v[70:71], 0
	v_mov_b64_e32 v[72:73], 0
	s_mov_b32 s11, exec_lo
	v_and_b32_e32 v18, 0xff, v83
	s_delay_alu instid0(VALU_DEP_1)
	v_cmpx_ne_u16_e32 0, v18
	s_cbranch_execz .LBB194_822
; %bb.815:                              ;   in Loop: Header=BB194_424 Depth=1
	v_mov_b64_e32 v[72:73], 0x80000000
	s_mov_b32 s14, exec_lo
	v_cmpx_ne_u16_e32 0x80, v18
	s_cbranch_execz .LBB194_821
; %bb.816:                              ;   in Loop: Header=BB194_424 Depth=1
	v_mov_b64_e32 v[72:73], 0x7f800001
	v_bfe_u32 v84, v82, 16, 7
	s_mov_b32 s15, exec_lo
	s_delay_alu instid0(VALU_DEP_1)
	v_cmpx_ne_u32_e32 0x7f, v84
	s_cbranch_execz .LBB194_820
; %bb.817:                              ;   in Loop: Header=BB194_424 Depth=1
	v_dual_lshrrev_b32 v72, 3, v84 :: v_dual_bitop2_b32 v18, 7, v83 bitop3:0x40
	s_mov_b32 s16, exec_lo
	v_cmpx_gt_u32_e32 8, v84
; %bb.818:                              ;   in Loop: Header=BB194_424 Depth=1
	s_delay_alu instid0(VALU_DEP_2) | instskip(NEXT) | instid1(VALU_DEP_1)
	v_clz_i32_u32_e32 v72, v18
	v_min_u32_e32 v72, 32, v72
	s_delay_alu instid0(VALU_DEP_1) | instskip(SKIP_1) | instid1(VALU_DEP_2)
	v_subrev_nc_u32_e32 v73, 28, v72
	v_sub_nc_u32_e32 v72, 29, v72
	v_lshlrev_b64_e32 v[84:85], v73, v[18:19]
	s_delay_alu instid0(VALU_DEP_1)
	v_and_b32_e32 v18, 7, v84
; %bb.819:                              ;   in Loop: Header=BB194_424 Depth=1
	s_or_b32 exec_lo, exec_lo, s16
	s_delay_alu instid0(VALU_DEP_1) | instskip(SKIP_1) | instid1(VALU_DEP_2)
	v_dual_lshlrev_b32 v73, 24, v83 :: v_dual_lshlrev_b32 v18, 20, v18
	v_lshl_add_u32 v72, v72, 23, 0x3c000000
	v_and_b32_e32 v73, 0x80000000, v73
	s_delay_alu instid0(VALU_DEP_1) | instskip(NEXT) | instid1(VALU_DEP_1)
	v_or3_b32 v18, v18, v73, v72
	v_mov_b64_e32 v[72:73], v[18:19]
.LBB194_820:                            ;   in Loop: Header=BB194_424 Depth=1
	s_or_b32 exec_lo, exec_lo, s15
.LBB194_821:                            ;   in Loop: Header=BB194_424 Depth=1
	s_delay_alu instid0(SALU_CYCLE_1)
	s_or_b32 exec_lo, exec_lo, s14
.LBB194_822:                            ;   in Loop: Header=BB194_424 Depth=1
	s_delay_alu instid0(SALU_CYCLE_1) | instskip(NEXT) | instid1(SALU_CYCLE_1)
	s_or_b32 exec_lo, exec_lo, s11
	s_mov_b32 s11, exec_lo
	v_cmpx_lt_u32_e32 0xffffff, v82
	s_cbranch_execz .LBB194_830
; %bb.823:                              ;   in Loop: Header=BB194_424 Depth=1
	v_mov_b64_e32 v[70:71], 0x8000000000000000
	v_lshrrev_b32_e32 v83, 24, v82
	s_mov_b32 s14, exec_lo
	s_delay_alu instid0(VALU_DEP_1)
	v_cmpx_ne_u32_e32 0x80, v83
	s_cbranch_execz .LBB194_829
; %bb.824:                              ;   in Loop: Header=BB194_424 Depth=1
	v_mov_b64_e32 v[70:71], 0x7f80000100000000
	v_bfe_u32 v82, v82, 24, 7
	s_mov_b32 s15, exec_lo
	s_delay_alu instid0(VALU_DEP_1)
	v_cmpx_ne_u32_e32 0x7f, v82
	s_cbranch_execz .LBB194_828
; %bb.825:                              ;   in Loop: Header=BB194_424 Depth=1
	v_dual_lshrrev_b32 v70, 3, v82 :: v_dual_bitop2_b32 v18, 7, v83 bitop3:0x40
	s_mov_b32 s16, exec_lo
	v_cmpx_gt_u32_e32 8, v82
; %bb.826:                              ;   in Loop: Header=BB194_424 Depth=1
	s_delay_alu instid0(VALU_DEP_2) | instskip(NEXT) | instid1(VALU_DEP_1)
	v_clz_i32_u32_e32 v70, v18
	v_min_u32_e32 v70, 32, v70
	s_delay_alu instid0(VALU_DEP_1) | instskip(NEXT) | instid1(VALU_DEP_1)
	v_subrev_nc_u32_e32 v71, 28, v70
	v_lshlrev_b64_e32 v[84:85], v71, v[18:19]
	s_delay_alu instid0(VALU_DEP_1)
	v_dual_sub_nc_u32 v70, 29, v70 :: v_dual_bitop2_b32 v18, 7, v84 bitop3:0x40
; %bb.827:                              ;   in Loop: Header=BB194_424 Depth=1
	s_or_b32 exec_lo, exec_lo, s16
	s_delay_alu instid0(VALU_DEP_1) | instskip(NEXT) | instid1(VALU_DEP_2)
	v_dual_lshlrev_b32 v71, 24, v83 :: v_dual_lshlrev_b32 v18, 20, v18
	v_lshl_add_u32 v70, v70, 23, 0x3c000000
	s_delay_alu instid0(VALU_DEP_2) | instskip(NEXT) | instid1(VALU_DEP_1)
	v_and_b32_e32 v71, 0x80000000, v71
	v_or3_b32 v71, v18, v71, v70
	v_mov_b32_e32 v70, v19
.LBB194_828:                            ;   in Loop: Header=BB194_424 Depth=1
	s_or_b32 exec_lo, exec_lo, s15
.LBB194_829:                            ;   in Loop: Header=BB194_424 Depth=1
	s_delay_alu instid0(SALU_CYCLE_1)
	s_or_b32 exec_lo, exec_lo, s14
.LBB194_830:                            ;   in Loop: Header=BB194_424 Depth=1
	s_delay_alu instid0(SALU_CYCLE_1)
	s_or_b32 exec_lo, exec_lo, s11
	v_mov_b64_e32 v[82:83], s[2:3]
	v_or_b32_e32 v29, v29, v69
	v_or_b32_e32 v28, v28, v68
	;; [unrolled: 1-line block ×4, first 2 shown]
	s_delay_alu instid0(VALU_DEP_3) | instskip(NEXT) | instid1(VALU_DEP_2)
	v_pk_mul_f32 v[68:69], v[82:83], v[28:29]
	v_pk_mul_f32 v[28:29], v[82:83], v[70:71]
	s_and_saveexec_b32 s0, vcc_lo
	s_cbranch_execz .LBB194_423
; %bb.831:                              ;   in Loop: Header=BB194_424 Depth=1
	v_cmp_gt_i32_e32 vcc_lo, s10, v81
	v_dual_cndmask_b32 v69, 0, v69, vcc_lo :: v_dual_bitop2_b32 v18, 3, v78 bitop3:0x54
	v_cmp_gt_i32_e32 vcc_lo, s25, v78
	v_dual_cndmask_b32 v68, 0, v68, vcc_lo :: v_dual_bitop2_b32 v70, 2, v78 bitop3:0x54
	s_delay_alu instid0(VALU_DEP_3) | instskip(SKIP_1) | instid1(VALU_DEP_3)
	v_cmp_gt_i32_e32 vcc_lo, s10, v18
	v_cndmask_b32_e32 v29, 0, v29, vcc_lo
	v_cmp_gt_i32_e32 vcc_lo, s25, v70
	v_cndmask_b32_e32 v28, 0, v28, vcc_lo
	s_branch .LBB194_423
.LBB194_832:
	s_or_b32 exec_lo, exec_lo, s9
.LBB194_833:
	s_delay_alu instid0(SALU_CYCLE_1)
	s_or_b32 exec_lo, exec_lo, s1
	ds_bpermute_b32 v0, v75, v16
	ds_bpermute_b32 v1, v75, v17
	;; [unrolled: 1-line block ×12, first 2 shown]
	s_mov_b32 s0, exec_lo
	s_wait_dscnt 0xa
	v_pk_add_f32 v[0:1], v[16:17], v[0:1]
	s_wait_dscnt 0x8
	v_pk_add_f32 v[16:17], v[10:11], v[18:19]
	;; [unrolled: 2-line block ×3, first 2 shown]
	scratch_load_b32 v8, off, off offset:132 ; 4-byte Folded Reload
	s_wait_dscnt 0x4
	v_pk_add_f32 v[2:3], v[14:15], v[2:3]
	ds_bpermute_b32 v24, v76, v16
	s_wait_dscnt 0x3
	v_pk_add_f32 v[4:5], v[12:13], v[4:5]
	ds_bpermute_b32 v25, v76, v17
	;; [unrolled: 3-line block ×3, first 2 shown]
	ds_bpermute_b32 v7, v76, v1
	ds_bpermute_b32 v20, v76, v2
	;; [unrolled: 1-line block ×9, first 2 shown]
	v_and_b32_e32 v14, 28, v74
	s_wait_loadcnt_dscnt 0x0
	s_barrier_signal -1
	s_barrier_wait -1
	v_pk_add_f32 v[4:5], v[4:5], v[22:23]
	v_and_b32_e32 v15, 0x3c3, v8
	v_pk_add_f32 v[8:9], v[0:1], v[6:7]
	v_pk_add_f32 v[6:7], v[2:3], v[20:21]
	;; [unrolled: 1-line block ×4, first 2 shown]
	v_cmpx_ne_u32_e32 64, v15
	s_xor_b32 s0, exec_lo, s0
	s_delay_alu instid0(SALU_CYCLE_1)
	s_or_saveexec_b32 s0, s0
	v_pk_add_f32 v[10:11], v[10:11], v[12:13]
	v_add_nc_u32_e32 v13, 0x1a0, v14
	scratch_load_b32 v14, off, off offset:128 th:TH_LOAD_LU ; 4-byte Folded Reload
	v_lshrrev_b32_e32 v12, 2, v74
	s_wait_loadcnt 0x0
	v_mul_u32_u24_e32 v14, 0x180, v14
	s_xor_b32 exec_lo, exec_lo, s0
	s_cbranch_execz .LBB194_835
; %bb.834:
	s_delay_alu instid0(VALU_DEP_1) | instskip(NEXT) | instid1(VALU_DEP_1)
	v_add_nc_u32_e32 v15, v13, v14
	v_add_nc_u32_e32 v16, 0xfffffd00, v15
	;; [unrolled: 1-line block ×13, first 2 shown]
	ds_store_b32 v16, v8
	ds_store_b32 v17, v9
	;; [unrolled: 1-line block ×12, first 2 shown]
.LBB194_835:
	s_or_b32 exec_lo, exec_lo, s0
	scratch_load_b32 v15, off, off offset:132 ; 4-byte Folded Reload
	v_lshlrev_b32_e32 v12, 2, v12
	s_mov_b32 s1, exec_lo
	v_cmp_eq_u32_e32 vcc_lo, 0, v77
	s_wait_loadcnt_dscnt 0x0
	s_barrier_signal -1
	v_add3_u32 v12, 0x1a0, v14, v12
	s_barrier_wait -1
	v_cmpx_gt_u32_e32 64, v15
	s_cbranch_execz .LBB194_850
; %bb.836:
	s_and_saveexec_b32 s0, vcc_lo
	s_cbranch_execnz .LBB194_870
; %bb.837:
	s_or_b32 exec_lo, exec_lo, s0
	s_and_saveexec_b32 s0, vcc_lo
	s_cbranch_execnz .LBB194_871
.LBB194_838:
	s_or_b32 exec_lo, exec_lo, s0
	s_and_saveexec_b32 s0, vcc_lo
	s_cbranch_execnz .LBB194_872
.LBB194_839:
	s_or_b32 exec_lo, exec_lo, s0
	s_and_saveexec_b32 s0, vcc_lo
	s_cbranch_execnz .LBB194_873
.LBB194_840:
	s_or_b32 exec_lo, exec_lo, s0
	s_and_saveexec_b32 s0, vcc_lo
	s_cbranch_execnz .LBB194_874
.LBB194_841:
	s_or_b32 exec_lo, exec_lo, s0
	s_and_saveexec_b32 s0, vcc_lo
	s_cbranch_execnz .LBB194_875
.LBB194_842:
	s_or_b32 exec_lo, exec_lo, s0
	s_and_saveexec_b32 s0, vcc_lo
	s_cbranch_execnz .LBB194_876
.LBB194_843:
	s_or_b32 exec_lo, exec_lo, s0
	s_and_saveexec_b32 s0, vcc_lo
	s_cbranch_execnz .LBB194_877
.LBB194_844:
	s_or_b32 exec_lo, exec_lo, s0
	s_and_saveexec_b32 s0, vcc_lo
	s_cbranch_execnz .LBB194_878
.LBB194_845:
	s_or_b32 exec_lo, exec_lo, s0
	s_and_saveexec_b32 s0, vcc_lo
	s_cbranch_execnz .LBB194_879
.LBB194_846:
	s_or_b32 exec_lo, exec_lo, s0
	s_and_saveexec_b32 s0, vcc_lo
	s_cbranch_execnz .LBB194_880
.LBB194_847:
	s_or_b32 exec_lo, exec_lo, s0
	s_and_saveexec_b32 s0, vcc_lo
	s_cbranch_execz .LBB194_849
.LBB194_848:
	ds_load_b32 v14, v12 offset:352
	s_wait_dscnt 0x0
	v_add_f32_e32 v11, v11, v14
.LBB194_849:
	s_or_b32 exec_lo, exec_lo, s0
.LBB194_850:
	s_delay_alu instid0(SALU_CYCLE_1) | instskip(SKIP_4) | instid1(VALU_DEP_1)
	s_or_b32 exec_lo, exec_lo, s1
	v_and_b32_e32 v14, 0x3e3, v15
	s_mov_b32 s1, exec_lo
	s_barrier_signal -1
	s_barrier_wait -1
	v_cmpx_eq_u32_e32 32, v14
	s_cbranch_execz .LBB194_852
; %bb.851:
	ds_store_2addr_b32 v13, v8, v9 offset1:8
	ds_store_2addr_b32 v13, v6, v7 offset0:16 offset1:24
	ds_store_2addr_b32 v13, v4, v5 offset0:32 offset1:40
	;; [unrolled: 1-line block ×5, first 2 shown]
.LBB194_852:
	s_or_b32 exec_lo, exec_lo, s1
	s_delay_alu instid0(SALU_CYCLE_1)
	s_mov_b32 s1, exec_lo
	s_wait_dscnt 0x0
	s_barrier_signal -1
	s_barrier_wait -1
	v_cmpx_gt_u32_e32 32, v15
	s_cbranch_execz .LBB194_867
; %bb.853:
	s_and_saveexec_b32 s0, vcc_lo
	s_cbranch_execnz .LBB194_881
; %bb.854:
	s_or_b32 exec_lo, exec_lo, s0
	s_and_saveexec_b32 s0, vcc_lo
	s_cbranch_execnz .LBB194_882
.LBB194_855:
	s_or_b32 exec_lo, exec_lo, s0
	s_and_saveexec_b32 s0, vcc_lo
	s_cbranch_execnz .LBB194_883
.LBB194_856:
	s_or_b32 exec_lo, exec_lo, s0
	s_and_saveexec_b32 s0, vcc_lo
	s_cbranch_execnz .LBB194_884
.LBB194_857:
	s_or_b32 exec_lo, exec_lo, s0
	s_and_saveexec_b32 s0, vcc_lo
	s_cbranch_execnz .LBB194_885
.LBB194_858:
	s_or_b32 exec_lo, exec_lo, s0
	s_and_saveexec_b32 s0, vcc_lo
	s_cbranch_execnz .LBB194_886
.LBB194_859:
	s_or_b32 exec_lo, exec_lo, s0
	s_and_saveexec_b32 s0, vcc_lo
	s_cbranch_execnz .LBB194_887
.LBB194_860:
	s_or_b32 exec_lo, exec_lo, s0
	s_and_saveexec_b32 s0, vcc_lo
	s_cbranch_execnz .LBB194_888
.LBB194_861:
	s_or_b32 exec_lo, exec_lo, s0
	s_and_saveexec_b32 s0, vcc_lo
	s_cbranch_execnz .LBB194_889
.LBB194_862:
	s_or_b32 exec_lo, exec_lo, s0
	s_and_saveexec_b32 s0, vcc_lo
	s_cbranch_execnz .LBB194_890
.LBB194_863:
	s_or_b32 exec_lo, exec_lo, s0
	s_and_saveexec_b32 s0, vcc_lo
	s_cbranch_execnz .LBB194_891
.LBB194_864:
	s_or_b32 exec_lo, exec_lo, s0
	s_and_saveexec_b32 s0, vcc_lo
	s_cbranch_execz .LBB194_866
.LBB194_865:
	ds_load_b32 v12, v12 offset:352
	s_wait_dscnt 0x0
	v_add_f32_e32 v11, v11, v12
.LBB194_866:
	s_or_b32 exec_lo, exec_lo, s0
.LBB194_867:
	s_delay_alu instid0(SALU_CYCLE_1)
	s_or_b32 exec_lo, exec_lo, s1
	s_mov_b32 s1, 0
	s_barrier_signal -1
	s_barrier_wait -1
	s_mov_b32 s0, exec_lo
	v_cmpx_eq_u32_e32 0, v14
	s_cbranch_execz .LBB194_869
; %bb.868:
	s_mul_i32 s0, s24, s8
	s_mul_i32 s2, s8, s12
	;; [unrolled: 1-line block ×3, first 2 shown]
	s_lshr_b32 s8, ttmp7, 16
	s_mul_i32 s6, s0, 0x60
	s_bfe_u32 s0, ttmp6, 0x40014
	s_ashr_i32 s7, s6, 31
	s_add_co_i32 s0, s0, 1
	s_ashr_i32 s3, s2, 31
	s_mul_i32 s0, s8, s0
	s_bfe_u32 s9, ttmp6, 0x40008
	s_lshl_b64 s[6:7], s[6:7], 2
	s_lshl_b64 s[2:3], s[2:3], 2
	s_add_co_i32 s9, s9, s0
	s_cmp_eq_u32 s22, 0
	s_wait_kmcnt 0x0
	s_add_nc_u64 s[4:5], s[4:5], s[6:7]
	s_cselect_b32 s0, s8, s9
	s_add_nc_u64 s[2:3], s[4:5], s[2:3]
	s_mulk_i32 s0, 0x180
	s_delay_alu instid0(SALU_CYCLE_1)
	s_add_nc_u64 s[0:1], s[2:3], s[0:1]
	s_clause 0xb
	global_store_b32 v15, v8, s[0:1]
	global_store_b32 v15, v9, s[0:1] offset:32
	global_store_b32 v15, v6, s[0:1] offset:64
	global_store_b32 v15, v7, s[0:1] offset:96
	global_store_b32 v15, v4, s[0:1] offset:128
	global_store_b32 v15, v5, s[0:1] offset:160
	global_store_b32 v15, v2, s[0:1] offset:192
	global_store_b32 v15, v3, s[0:1] offset:224
	global_store_b32 v15, v0, s[0:1] offset:256
	global_store_b32 v15, v1, s[0:1] offset:288
	global_store_b32 v15, v10, s[0:1] offset:320
	global_store_b32 v15, v11, s[0:1] offset:352
.LBB194_869:
	s_sendmsg sendmsg(MSG_DEALLOC_VGPRS)
	s_endpgm
.LBB194_870:
	ds_load_b32 v14, v12
	s_wait_dscnt 0x0
	v_add_f32_e32 v8, v8, v14
	s_or_b32 exec_lo, exec_lo, s0
	s_and_saveexec_b32 s0, vcc_lo
	s_cbranch_execz .LBB194_838
.LBB194_871:
	ds_load_b32 v14, v12 offset:32
	s_wait_dscnt 0x0
	v_add_f32_e32 v9, v9, v14
	s_or_b32 exec_lo, exec_lo, s0
	s_and_saveexec_b32 s0, vcc_lo
	s_cbranch_execz .LBB194_839
.LBB194_872:
	ds_load_b32 v14, v12 offset:64
	s_wait_dscnt 0x0
	v_add_f32_e32 v6, v6, v14
	s_or_b32 exec_lo, exec_lo, s0
	s_and_saveexec_b32 s0, vcc_lo
	s_cbranch_execz .LBB194_840
.LBB194_873:
	ds_load_b32 v14, v12 offset:96
	s_wait_dscnt 0x0
	v_add_f32_e32 v7, v7, v14
	s_or_b32 exec_lo, exec_lo, s0
	s_and_saveexec_b32 s0, vcc_lo
	s_cbranch_execz .LBB194_841
.LBB194_874:
	ds_load_b32 v14, v12 offset:128
	s_wait_dscnt 0x0
	v_add_f32_e32 v4, v4, v14
	s_or_b32 exec_lo, exec_lo, s0
	s_and_saveexec_b32 s0, vcc_lo
	s_cbranch_execz .LBB194_842
.LBB194_875:
	ds_load_b32 v14, v12 offset:160
	s_wait_dscnt 0x0
	v_add_f32_e32 v5, v5, v14
	s_or_b32 exec_lo, exec_lo, s0
	s_and_saveexec_b32 s0, vcc_lo
	s_cbranch_execz .LBB194_843
.LBB194_876:
	ds_load_b32 v14, v12 offset:192
	s_wait_dscnt 0x0
	v_add_f32_e32 v2, v2, v14
	s_or_b32 exec_lo, exec_lo, s0
	s_and_saveexec_b32 s0, vcc_lo
	s_cbranch_execz .LBB194_844
.LBB194_877:
	ds_load_b32 v14, v12 offset:224
	s_wait_dscnt 0x0
	v_add_f32_e32 v3, v3, v14
	s_or_b32 exec_lo, exec_lo, s0
	s_and_saveexec_b32 s0, vcc_lo
	s_cbranch_execz .LBB194_845
.LBB194_878:
	ds_load_b32 v14, v12 offset:256
	s_wait_dscnt 0x0
	v_add_f32_e32 v0, v0, v14
	s_or_b32 exec_lo, exec_lo, s0
	s_and_saveexec_b32 s0, vcc_lo
	s_cbranch_execz .LBB194_846
.LBB194_879:
	ds_load_b32 v14, v12 offset:288
	s_wait_dscnt 0x0
	v_add_f32_e32 v1, v1, v14
	s_or_b32 exec_lo, exec_lo, s0
	s_and_saveexec_b32 s0, vcc_lo
	s_cbranch_execz .LBB194_847
.LBB194_880:
	ds_load_b32 v14, v12 offset:320
	s_wait_dscnt 0x0
	v_add_f32_e32 v10, v10, v14
	s_or_b32 exec_lo, exec_lo, s0
	s_and_saveexec_b32 s0, vcc_lo
	s_cbranch_execnz .LBB194_848
	s_branch .LBB194_849
.LBB194_881:
	ds_load_b32 v13, v12
	s_wait_dscnt 0x0
	v_add_f32_e32 v8, v8, v13
	s_or_b32 exec_lo, exec_lo, s0
	s_and_saveexec_b32 s0, vcc_lo
	s_cbranch_execz .LBB194_855
.LBB194_882:
	ds_load_b32 v13, v12 offset:32
	s_wait_dscnt 0x0
	v_add_f32_e32 v9, v9, v13
	s_or_b32 exec_lo, exec_lo, s0
	s_and_saveexec_b32 s0, vcc_lo
	s_cbranch_execz .LBB194_856
.LBB194_883:
	ds_load_b32 v13, v12 offset:64
	s_wait_dscnt 0x0
	v_add_f32_e32 v6, v6, v13
	s_or_b32 exec_lo, exec_lo, s0
	s_and_saveexec_b32 s0, vcc_lo
	s_cbranch_execz .LBB194_857
.LBB194_884:
	ds_load_b32 v13, v12 offset:96
	s_wait_dscnt 0x0
	v_add_f32_e32 v7, v7, v13
	s_or_b32 exec_lo, exec_lo, s0
	s_and_saveexec_b32 s0, vcc_lo
	s_cbranch_execz .LBB194_858
.LBB194_885:
	ds_load_b32 v13, v12 offset:128
	s_wait_dscnt 0x0
	v_add_f32_e32 v4, v4, v13
	s_or_b32 exec_lo, exec_lo, s0
	s_and_saveexec_b32 s0, vcc_lo
	s_cbranch_execz .LBB194_859
.LBB194_886:
	ds_load_b32 v13, v12 offset:160
	s_wait_dscnt 0x0
	v_add_f32_e32 v5, v5, v13
	s_or_b32 exec_lo, exec_lo, s0
	s_and_saveexec_b32 s0, vcc_lo
	s_cbranch_execz .LBB194_860
.LBB194_887:
	ds_load_b32 v13, v12 offset:192
	s_wait_dscnt 0x0
	v_add_f32_e32 v2, v2, v13
	s_or_b32 exec_lo, exec_lo, s0
	s_and_saveexec_b32 s0, vcc_lo
	s_cbranch_execz .LBB194_861
.LBB194_888:
	ds_load_b32 v13, v12 offset:224
	s_wait_dscnt 0x0
	v_add_f32_e32 v3, v3, v13
	s_or_b32 exec_lo, exec_lo, s0
	s_and_saveexec_b32 s0, vcc_lo
	s_cbranch_execz .LBB194_862
.LBB194_889:
	ds_load_b32 v13, v12 offset:256
	s_wait_dscnt 0x0
	v_add_f32_e32 v0, v0, v13
	s_or_b32 exec_lo, exec_lo, s0
	s_and_saveexec_b32 s0, vcc_lo
	s_cbranch_execz .LBB194_863
.LBB194_890:
	ds_load_b32 v13, v12 offset:288
	s_wait_dscnt 0x0
	v_add_f32_e32 v1, v1, v13
	s_or_b32 exec_lo, exec_lo, s0
	s_and_saveexec_b32 s0, vcc_lo
	s_cbranch_execz .LBB194_864
.LBB194_891:
	ds_load_b32 v13, v12 offset:320
	s_wait_dscnt 0x0
	v_add_f32_e32 v10, v10, v13
	s_or_b32 exec_lo, exec_lo, s0
	s_and_saveexec_b32 s0, vcc_lo
	s_cbranch_execnz .LBB194_865
	s_branch .LBB194_866
	.section	.rodata,"a",@progbits
	.p2align	6, 0x0
	.amdhsa_kernel _ZN4vllm25paged_attention_v1_kernelIfhLi96ELi16ELi128ELNS_18Fp8KVCacheDataTypeE1ELb0EEEvPT_PKS2_PKT0_S8_ifPKiSA_iPKfiiiSC_SC_iiiii
		.amdhsa_group_segment_fixed_size 416
		.amdhsa_private_segment_fixed_size 152
		.amdhsa_kernarg_size 384
		.amdhsa_user_sgpr_count 2
		.amdhsa_user_sgpr_dispatch_ptr 0
		.amdhsa_user_sgpr_queue_ptr 0
		.amdhsa_user_sgpr_kernarg_segment_ptr 1
		.amdhsa_user_sgpr_dispatch_id 0
		.amdhsa_user_sgpr_kernarg_preload_length 0
		.amdhsa_user_sgpr_kernarg_preload_offset 0
		.amdhsa_user_sgpr_private_segment_size 0
		.amdhsa_wavefront_size32 1
		.amdhsa_uses_dynamic_stack 0
		.amdhsa_enable_private_segment 1
		.amdhsa_system_sgpr_workgroup_id_x 1
		.amdhsa_system_sgpr_workgroup_id_y 1
		.amdhsa_system_sgpr_workgroup_id_z 1
		.amdhsa_system_sgpr_workgroup_info 0
		.amdhsa_system_vgpr_workitem_id 0
		.amdhsa_next_free_vgpr 128
		.amdhsa_next_free_sgpr 32
		.amdhsa_named_barrier_count 0
		.amdhsa_reserve_vcc 1
		.amdhsa_float_round_mode_32 0
		.amdhsa_float_round_mode_16_64 0
		.amdhsa_float_denorm_mode_32 3
		.amdhsa_float_denorm_mode_16_64 3
		.amdhsa_fp16_overflow 0
		.amdhsa_memory_ordered 1
		.amdhsa_forward_progress 1
		.amdhsa_inst_pref_size 247
		.amdhsa_round_robin_scheduling 0
		.amdhsa_exception_fp_ieee_invalid_op 0
		.amdhsa_exception_fp_denorm_src 0
		.amdhsa_exception_fp_ieee_div_zero 0
		.amdhsa_exception_fp_ieee_overflow 0
		.amdhsa_exception_fp_ieee_underflow 0
		.amdhsa_exception_fp_ieee_inexact 0
		.amdhsa_exception_int_div_zero 0
	.end_amdhsa_kernel
	.section	.text._ZN4vllm25paged_attention_v1_kernelIfhLi96ELi16ELi128ELNS_18Fp8KVCacheDataTypeE1ELb0EEEvPT_PKS2_PKT0_S8_ifPKiSA_iPKfiiiSC_SC_iiiii,"axG",@progbits,_ZN4vllm25paged_attention_v1_kernelIfhLi96ELi16ELi128ELNS_18Fp8KVCacheDataTypeE1ELb0EEEvPT_PKS2_PKT0_S8_ifPKiSA_iPKfiiiSC_SC_iiiii,comdat
.Lfunc_end194:
	.size	_ZN4vllm25paged_attention_v1_kernelIfhLi96ELi16ELi128ELNS_18Fp8KVCacheDataTypeE1ELb0EEEvPT_PKS2_PKT0_S8_ifPKiSA_iPKfiiiSC_SC_iiiii, .Lfunc_end194-_ZN4vllm25paged_attention_v1_kernelIfhLi96ELi16ELi128ELNS_18Fp8KVCacheDataTypeE1ELb0EEEvPT_PKS2_PKT0_S8_ifPKiSA_iPKfiiiSC_SC_iiiii
                                        ; -- End function
	.set _ZN4vllm25paged_attention_v1_kernelIfhLi96ELi16ELi128ELNS_18Fp8KVCacheDataTypeE1ELb0EEEvPT_PKS2_PKT0_S8_ifPKiSA_iPKfiiiSC_SC_iiiii.num_vgpr, 128
	.set _ZN4vllm25paged_attention_v1_kernelIfhLi96ELi16ELi128ELNS_18Fp8KVCacheDataTypeE1ELb0EEEvPT_PKS2_PKT0_S8_ifPKiSA_iPKfiiiSC_SC_iiiii.num_agpr, 0
	.set _ZN4vllm25paged_attention_v1_kernelIfhLi96ELi16ELi128ELNS_18Fp8KVCacheDataTypeE1ELb0EEEvPT_PKS2_PKT0_S8_ifPKiSA_iPKfiiiSC_SC_iiiii.numbered_sgpr, 32
	.set _ZN4vllm25paged_attention_v1_kernelIfhLi96ELi16ELi128ELNS_18Fp8KVCacheDataTypeE1ELb0EEEvPT_PKS2_PKT0_S8_ifPKiSA_iPKfiiiSC_SC_iiiii.num_named_barrier, 0
	.set _ZN4vllm25paged_attention_v1_kernelIfhLi96ELi16ELi128ELNS_18Fp8KVCacheDataTypeE1ELb0EEEvPT_PKS2_PKT0_S8_ifPKiSA_iPKfiiiSC_SC_iiiii.private_seg_size, 152
	.set _ZN4vllm25paged_attention_v1_kernelIfhLi96ELi16ELi128ELNS_18Fp8KVCacheDataTypeE1ELb0EEEvPT_PKS2_PKT0_S8_ifPKiSA_iPKfiiiSC_SC_iiiii.uses_vcc, 1
	.set _ZN4vllm25paged_attention_v1_kernelIfhLi96ELi16ELi128ELNS_18Fp8KVCacheDataTypeE1ELb0EEEvPT_PKS2_PKT0_S8_ifPKiSA_iPKfiiiSC_SC_iiiii.uses_flat_scratch, 1
	.set _ZN4vllm25paged_attention_v1_kernelIfhLi96ELi16ELi128ELNS_18Fp8KVCacheDataTypeE1ELb0EEEvPT_PKS2_PKT0_S8_ifPKiSA_iPKfiiiSC_SC_iiiii.has_dyn_sized_stack, 0
	.set _ZN4vllm25paged_attention_v1_kernelIfhLi96ELi16ELi128ELNS_18Fp8KVCacheDataTypeE1ELb0EEEvPT_PKS2_PKT0_S8_ifPKiSA_iPKfiiiSC_SC_iiiii.has_recursion, 0
	.set _ZN4vllm25paged_attention_v1_kernelIfhLi96ELi16ELi128ELNS_18Fp8KVCacheDataTypeE1ELb0EEEvPT_PKS2_PKT0_S8_ifPKiSA_iPKfiiiSC_SC_iiiii.has_indirect_call, 0
	.section	.AMDGPU.csdata,"",@progbits
; Kernel info:
; codeLenInByte = 31496
; TotalNumSgprs: 34
; NumVgprs: 128
; ScratchSize: 152
; MemoryBound: 0
; FloatMode: 240
; IeeeMode: 1
; LDSByteSize: 416 bytes/workgroup (compile time only)
; SGPRBlocks: 0
; VGPRBlocks: 7
; NumSGPRsForWavesPerEU: 34
; NumVGPRsForWavesPerEU: 128
; NamedBarCnt: 0
; Occupancy: 8
; WaveLimiterHint : 1
; COMPUTE_PGM_RSRC2:SCRATCH_EN: 1
; COMPUTE_PGM_RSRC2:USER_SGPR: 2
; COMPUTE_PGM_RSRC2:TRAP_HANDLER: 0
; COMPUTE_PGM_RSRC2:TGID_X_EN: 1
; COMPUTE_PGM_RSRC2:TGID_Y_EN: 1
; COMPUTE_PGM_RSRC2:TGID_Z_EN: 1
; COMPUTE_PGM_RSRC2:TIDIG_COMP_CNT: 0
	.section	.text._ZN4vllm25paged_attention_v1_kernelIfhLi112ELi16ELi128ELNS_18Fp8KVCacheDataTypeE1ELb0EEEvPT_PKS2_PKT0_S8_ifPKiSA_iPKfiiiSC_SC_iiiii,"axG",@progbits,_ZN4vllm25paged_attention_v1_kernelIfhLi112ELi16ELi128ELNS_18Fp8KVCacheDataTypeE1ELb0EEEvPT_PKS2_PKT0_S8_ifPKiSA_iPKfiiiSC_SC_iiiii,comdat
	.protected	_ZN4vllm25paged_attention_v1_kernelIfhLi112ELi16ELi128ELNS_18Fp8KVCacheDataTypeE1ELb0EEEvPT_PKS2_PKT0_S8_ifPKiSA_iPKfiiiSC_SC_iiiii ; -- Begin function _ZN4vllm25paged_attention_v1_kernelIfhLi112ELi16ELi128ELNS_18Fp8KVCacheDataTypeE1ELb0EEEvPT_PKS2_PKT0_S8_ifPKiSA_iPKfiiiSC_SC_iiiii
	.globl	_ZN4vllm25paged_attention_v1_kernelIfhLi112ELi16ELi128ELNS_18Fp8KVCacheDataTypeE1ELb0EEEvPT_PKS2_PKT0_S8_ifPKiSA_iPKfiiiSC_SC_iiiii
	.p2align	8
	.type	_ZN4vllm25paged_attention_v1_kernelIfhLi112ELi16ELi128ELNS_18Fp8KVCacheDataTypeE1ELb0EEEvPT_PKS2_PKT0_S8_ifPKiSA_iPKfiiiSC_SC_iiiii,@function
_ZN4vllm25paged_attention_v1_kernelIfhLi112ELi16ELi128ELNS_18Fp8KVCacheDataTypeE1ELb0EEEvPT_PKS2_PKT0_S8_ifPKiSA_iPKfiiiSC_SC_iiiii: ; @_ZN4vllm25paged_attention_v1_kernelIfhLi112ELi16ELi128ELNS_18Fp8KVCacheDataTypeE1ELb0EEEvPT_PKS2_PKT0_S8_ifPKiSA_iPKfiiiSC_SC_iiiii
; %bb.0:
	s_load_b64 s[18:19], s[0:1], 0x20
	s_bfe_u32 s3, ttmp6, 0x4000c
	s_bfe_u32 s5, ttmp6, 0x40010
	s_and_b32 s4, ttmp7, 0xffff
	s_add_co_i32 s3, s3, 1
	s_add_co_i32 s5, s5, 1
	s_and_b32 s2, ttmp6, 15
	s_bfe_u32 s6, ttmp6, 0x40004
	s_mul_i32 s3, ttmp9, s3
	s_mul_i32 s5, s4, s5
	s_getreg_b32 s22, hwreg(HW_REG_IB_STS2, 6, 4)
	s_add_co_i32 s2, s2, s3
	s_add_co_i32 s3, s6, s5
	s_cmp_eq_u32 s22, 0
	scratch_store_b32 off, v0, off offset:224 ; 4-byte Folded Spill
	s_cselect_b32 s24, s4, s3
	s_cselect_b32 s4, ttmp9, s2
	s_clause 0x1
	s_load_b32 s23, s[0:1], 0x80
	s_load_b64 s[6:7], s[0:1], 0x30
	s_wait_kmcnt 0x0
	s_abs_i32 s2, s18
	s_delay_alu instid0(SALU_CYCLE_1) | instskip(SKIP_1) | instid1(SALU_CYCLE_2)
	s_cvt_f32_u32 s3, s2
	s_sub_co_i32 s5, 0, s2
	v_rcp_iflag_f32_e32 v0, s3
	v_nop
	s_delay_alu instid0(TRANS32_DEP_1) | instskip(SKIP_2) | instid1(SALU_CYCLE_3)
	v_readfirstlane_b32 s3, v0
	s_abs_i32 s8, s23
	s_mul_f32 s3, s3, 0x4f7ffffe
	s_cvt_u32_f32 s3, s3
	s_delay_alu instid0(SALU_CYCLE_3) | instskip(NEXT) | instid1(SALU_CYCLE_1)
	s_mul_i32 s5, s5, s3
	s_mul_hi_u32 s5, s3, s5
	s_delay_alu instid0(SALU_CYCLE_1) | instskip(SKIP_4) | instid1(SALU_CYCLE_1)
	s_add_co_i32 s3, s3, s5
	s_xor_b32 s5, s23, s18
	s_mul_hi_u32 s3, s8, s3
	s_ashr_i32 s5, s5, 31
	s_mul_i32 s9, s3, s2
	s_sub_co_i32 s8, s8, s9
	s_add_co_i32 s9, s3, 1
	s_sub_co_i32 s10, s8, s2
	s_cmp_ge_u32 s8, s2
	s_cselect_b32 s3, s9, s3
	s_cselect_b32 s8, s10, s8
	s_add_co_i32 s9, s3, 1
	s_cmp_ge_u32 s8, s2
	s_cselect_b32 s2, s9, s3
	s_load_b64 s[8:9], s[0:1], 0x40
	s_xor_b32 s2, s2, s5
	s_mov_b32 s3, 0
	s_sub_co_i32 s14, s2, s5
	s_mov_b32 s13, s3
	s_abs_i32 s11, s14
	s_mov_b32 s18, s3
	s_cvt_f32_u32 s2, s11
	s_delay_alu instid0(SALU_CYCLE_3) | instskip(SKIP_1) | instid1(TRANS32_DEP_1)
	v_rcp_iflag_f32_e32 v0, s2
	v_nop
	v_readfirstlane_b32 s2, v0
	s_mul_f32 s2, s2, 0x4f7ffffe
	s_delay_alu instid0(SALU_CYCLE_3) | instskip(SKIP_1) | instid1(SALU_CYCLE_2)
	s_cvt_u32_f32 s5, s2
	s_sub_co_i32 s2, 0, s11
	s_mul_i32 s2, s2, s5
	s_delay_alu instid0(SALU_CYCLE_1)
	s_mul_hi_u32 s10, s5, s2
	s_abs_i32 s2, s4
	s_add_co_i32 s12, s5, s10
	s_wait_kmcnt 0x0
	s_cmp_eq_u64 s[8:9], 0
	s_cbranch_scc1 .LBB195_2
; %bb.1:
	s_ashr_i32 s5, s4, 31
	s_delay_alu instid0(SALU_CYCLE_1) | instskip(NEXT) | instid1(SALU_CYCLE_1)
	s_lshl_b64 s[16:17], s[4:5], 2
	s_add_nc_u64 s[8:9], s[8:9], s[16:17]
	s_load_b32 s18, s[8:9], 0x0
.LBB195_2:
	s_load_b32 s25, s[6:7], s24 offset:0x0 scale_offset
	s_wait_xcnt 0x0
	s_load_b96 s[8:10], s[0:1], 0x48
	scratch_load_b32 v4, off, off offset:224 ; 4-byte Folded Reload
	s_ashr_i32 s5, s4, 31
	s_ashr_i32 s14, s14, 31
	s_mul_u64 s[6:7], s[2:3], s[12:13]
	s_mul_i32 s12, s4, 0x70
	s_mov_b32 s3, exec_lo
	s_wait_loadcnt 0x0
	v_dual_lshlrev_b32 v22, 2, v4 :: v_dual_bitop2_b32 v0, 1, v4 bitop3:0x40
	s_wait_xcnt 0x0
	v_cmpx_gt_u32_e32 56, v4
	s_cbranch_execz .LBB195_4
; %bb.3:
	s_load_b64 s[16:17], s[0:1], 0x8
	s_wait_kmcnt 0x0
	s_mul_i32 s20, s8, s24
	s_ashr_i32 s13, s12, 31
	s_ashr_i32 s21, s20, 31
	v_and_b32_e32 v1, 0xff8, v22
	s_lshl_b64 s[20:21], s[20:21], 2
	s_delay_alu instid0(VALU_DEP_1) | instskip(SKIP_2) | instid1(SALU_CYCLE_1)
	v_mad_u32_u24 v1, 0xe0, v0, v1
	s_add_nc_u64 s[16:17], s[16:17], s[20:21]
	s_lshl_b64 s[20:21], s[12:13], 2
	s_add_nc_u64 s[16:17], s[16:17], s[20:21]
	global_load_b64 v[2:3], v4, s[16:17] scale_offset
	s_wait_loadcnt 0x0
	ds_store_b64 v1, v[2:3]
.LBB195_4:
	s_wait_xcnt 0x0
	s_or_b32 exec_lo, exec_lo, s3
	s_wait_kmcnt 0x0
	s_add_co_i32 s3, s25, 15
	s_load_b32 s4, s[0:1], 0x38
	s_ashr_i32 s6, s3, 31
	s_mul_i32 s8, s7, s11
	s_lshr_b32 s6, s6, 28
	s_sub_co_i32 s2, s2, s8
	s_add_co_i32 s3, s3, s6
	s_xor_b32 s5, s5, s14
	s_ashr_i32 s13, s3, 4
	s_add_co_i32 s3, s7, 1
	s_sub_co_i32 s6, s2, s11
	s_cmp_ge_u32 s2, s11
	v_lshrrev_b32_e32 v1, 5, v4
	s_cselect_b32 s3, s3, s7
	s_cselect_b32 s2, s6, s2
	s_add_co_i32 s6, s3, 1
	s_cmp_ge_u32 s2, s11
	v_mbcnt_lo_u32_b32 v10, -1, 0
	s_cselect_b32 s2, s6, s3
	s_wait_storecnt_dscnt 0x0
	s_xor_b32 s2, s2, s5
	s_wait_kmcnt 0x0
	s_mul_i32 s14, s4, s24
	s_sub_co_i32 s3, s2, s5
	v_cmp_gt_i32_e64 s2, s13, v1
	s_ashr_i32 s15, s14, 31
	s_mov_b32 s4, exec_lo
	s_barrier_signal -1
	scratch_store_b32 off, v1, off offset:228 ; 4-byte Folded Spill
	s_barrier_wait -1
	s_wait_storecnt 0x0
                                        ; implicit-def: $vgpr59
                                        ; implicit-def: $vgpr8
	s_wait_xcnt 0x0
	v_cmpx_le_i32_e64 s13, v1
	s_xor_b32 s4, exec_lo, s4
; %bb.5:
	v_dual_mov_b32 v59, 0 :: v_dual_mov_b32 v8, 32
	v_mbcnt_lo_u32_b32 v10, -1, 0
                                        ; implicit-def: $vgpr0
; %bb.6:
	s_or_saveexec_b32 s26, s4
	s_clause 0x2
	s_load_b32 s8, s[0:1], 0x88
	s_load_b64 s[16:17], s[0:1], 0x28
	s_load_b128 s[4:7], s[0:1], 0x58
	scratch_load_b32 v1, off, off offset:224 ; 4-byte Folded Reload
	v_mov_b32_e32 v3, 0xff7fffff
	s_mul_i32 s10, s3, s10
	s_wait_loadcnt 0x0
	v_lshrrev_b32_e32 v24, 3, v1
	s_xor_b32 exec_lo, exec_lo, s26
	s_cbranch_execz .LBB195_460
; %bb.7:
	s_clause 0x1
	scratch_load_b32 v1, off, off offset:224
	scratch_load_b32 v48, off, off offset:228
	v_mul_u32_u24_e32 v4, 0xe0, v0
	v_dual_mov_b32 v59, 0 :: v_dual_bitop2_b32 v2, 1, v10 bitop3:0x14
	s_load_b64 s[28:29], s[0:1], 0x10
	s_ashr_i32 s11, s10, 31
	ds_load_b128 v[6:9], v4
	ds_load_b128 v[54:57], v4 offset:208
	v_cmp_gt_i32_e32 vcc_lo, 32, v2
	s_wait_kmcnt 0x0
	s_load_b32 s20, s[4:5], 0x0
	s_cmp_neq_f32 s18, 0
	s_mov_b32 s27, s9
	scratch_store_b32 off, v24, off offset:236 ; 4-byte Folded Spill
	v_cndmask_b32_e32 v5, v10, v2, vcc_lo
	s_cselect_b32 s3, -1, 0
	v_cmp_eq_u32_e32 vcc_lo, 0, v0
	scratch_store_b32 off, v10, off offset:240 ; 4-byte Folded Spill
	v_lshlrev_b32_e32 v5, 2, v5
	s_add_nc_u64 s[4:5], s[28:29], s[10:11]
	s_sub_co_i32 s11, 1, s25
	s_wait_dscnt 0x1
	scratch_store_b128 off, v[6:9], off offset:4 ; 16-byte Folded Spill
	s_wait_xcnt 0x0
	ds_load_b128 v[6:9], v4 offset:16
	s_wait_kmcnt 0x0
	s_mov_b32 s21, s20
	s_wait_loadcnt 0x1
	v_bfe_u32 v1, v1, 1, 4
	s_delay_alu instid0(VALU_DEP_1) | instskip(SKIP_2) | instid1(VALU_DEP_2)
	v_lshlrev_b32_e32 v58, 4, v1
	s_wait_loadcnt 0x0
	v_lshl_or_b32 v46, v48, 4, v1
	v_add_nc_u64_e32 v[2:3], s[4:5], v[58:59]
	v_lshlrev_b32_e32 v58, 1, v0
	s_lshl_b64 s[4:5], s[14:15], 2
	s_delay_alu instid0(SALU_CYCLE_1) | instskip(NEXT) | instid1(VALU_DEP_1)
	s_add_nc_u64 s[4:5], s[16:17], s[4:5]
	v_add_nc_u64_e32 v[2:3], v[2:3], v[58:59]
	s_wait_dscnt 0x0
	scratch_store_b128 off, v[6:9], off offset:20 ; 16-byte Folded Spill
	s_wait_xcnt 0x0
	ds_load_b128 v[6:9], v4 offset:32
	scratch_store_b32 off, v22, off offset:232 ; 4-byte Folded Spill
	v_and_b32_e32 v58, 0x7c, v24
	scratch_store_b64 off, v[2:3], off offset:216 ; 8-byte Folded Spill
	v_add_nc_u64_e32 v[62:63], s[4:5], v[58:59]
	s_mov_b32 s5, 0
	s_wait_dscnt 0x0
	scratch_store_b128 off, v[6:9], off offset:36 ; 16-byte Folded Spill
	s_wait_xcnt 0x0
	ds_load_b128 v[6:9], v4 offset:48
	s_wait_dscnt 0x0
	scratch_store_b128 off, v[6:9], off offset:52 ; 16-byte Folded Spill
	s_wait_xcnt 0x0
	ds_load_b128 v[6:9], v4 offset:64
	;; [unrolled: 4-line block ×10, first 2 shown]
	v_lshlrev_b32_e32 v4, 2, v1
	s_delay_alu instid0(VALU_DEP_1) | instskip(NEXT) | instid1(VALU_DEP_1)
	v_lshl_or_b32 v0, v48, 6, v4
	v_add_nc_u32_e32 v47, 0x1e0, v0
	v_mov_b32_e32 v0, 0xff7fffff
	s_clause 0x1
	scratch_store_b32 off, v5, off offset:212
	scratch_store_b32 off, v0, off
	s_wait_dscnt 0x0
	scratch_store_b128 off, v[6:9], off offset:196 ; 16-byte Folded Spill
	s_branch .LBB195_9
.LBB195_8:                              ;   in Loop: Header=BB195_9 Depth=1
	s_wait_xcnt 0x0
	s_or_b32 exec_lo, exec_lo, s28
	v_dual_add_nc_u32 v48, 4, v48 :: v_dual_add_nc_u32 v46, 64, v46
	v_add_nc_u64_e32 v[62:63], 16, v[62:63]
	v_add_nc_u32_e32 v47, 0x100, v47
	s_delay_alu instid0(VALU_DEP_3) | instskip(SKIP_1) | instid1(SALU_CYCLE_1)
	v_cmp_le_i32_e64 s4, s13, v48
	s_or_b32 s5, s4, s5
	s_and_not1_b32 exec_lo, exec_lo, s5
	s_cbranch_execz .LBB195_459
.LBB195_9:                              ; =>This Inner Loop Header: Depth=1
	global_load_b32 v0, v[62:63], off
	scratch_load_b64 v[2:3], off, off offset:216 ; 8-byte Folded Reload
	v_mov_b64_e32 v[64:65], 0
	v_mov_b64_e32 v[66:67], 0
	s_mov_b32 s28, exec_lo
	s_wait_loadcnt 0x0
	v_mad_nc_i64_i32 v[72:73], v0, s27, v[2:3]
	global_load_u16 v0, v[72:73], off
	s_wait_loadcnt_dscnt 0x0
	v_and_b32_e32 v1, 0xff, v0
	v_and_b32_e32 v0, 0xffff, v0
	s_wait_xcnt 0x0
	s_delay_alu instid0(VALU_DEP_2)
	v_cmpx_ne_u16_e32 0, v1
	s_cbranch_execz .LBB195_17
; %bb.10:                               ;   in Loop: Header=BB195_9 Depth=1
	v_mov_b64_e32 v[66:67], 0x80000000
	v_and_b32_e32 v1, 0xff, v0
	s_mov_b32 s29, exec_lo
	s_delay_alu instid0(VALU_DEP_1)
	v_cmpx_ne_u16_e32 0x80, v1
	s_cbranch_execz .LBB195_16
; %bb.11:                               ;   in Loop: Header=BB195_9 Depth=1
	v_mov_b64_e32 v[66:67], 0x7f800001
	v_and_b32_e32 v2, 0x7f, v0
	s_mov_b32 s30, exec_lo
	s_delay_alu instid0(VALU_DEP_1)
	v_cmpx_ne_u32_e32 0x7f, v2
	s_cbranch_execz .LBB195_15
; %bb.12:                               ;   in Loop: Header=BB195_9 Depth=1
	v_dual_lshrrev_b32 v1, 3, v2 :: v_dual_bitop2_b32 v58, 7, v0 bitop3:0x40
	s_mov_b32 s31, exec_lo
	v_cmpx_gt_u32_e32 8, v2
; %bb.13:                               ;   in Loop: Header=BB195_9 Depth=1
	s_delay_alu instid0(VALU_DEP_2) | instskip(NEXT) | instid1(VALU_DEP_1)
	v_clz_i32_u32_e32 v1, v58
	v_min_u32_e32 v1, 32, v1
	s_delay_alu instid0(VALU_DEP_1) | instskip(NEXT) | instid1(VALU_DEP_1)
	v_subrev_nc_u32_e32 v2, 28, v1
	v_lshlrev_b64_e32 v[2:3], v2, v[58:59]
	s_delay_alu instid0(VALU_DEP_1)
	v_dual_sub_nc_u32 v1, 29, v1 :: v_dual_bitop2_b32 v58, 7, v2 bitop3:0x40
; %bb.14:                               ;   in Loop: Header=BB195_9 Depth=1
	s_or_b32 exec_lo, exec_lo, s31
	s_delay_alu instid0(VALU_DEP_1) | instskip(NEXT) | instid1(VALU_DEP_2)
	v_dual_lshlrev_b32 v2, 24, v0 :: v_dual_lshlrev_b32 v3, 20, v58
	v_lshl_add_u32 v1, v1, 23, 0x3c000000
	s_delay_alu instid0(VALU_DEP_2) | instskip(NEXT) | instid1(VALU_DEP_1)
	v_and_b32_e32 v2, 0x80000000, v2
	v_or3_b32 v58, v3, v2, v1
	s_delay_alu instid0(VALU_DEP_1)
	v_mov_b64_e32 v[66:67], v[58:59]
.LBB195_15:                             ;   in Loop: Header=BB195_9 Depth=1
	s_or_b32 exec_lo, exec_lo, s30
.LBB195_16:                             ;   in Loop: Header=BB195_9 Depth=1
	s_delay_alu instid0(SALU_CYCLE_1)
	s_or_b32 exec_lo, exec_lo, s29
.LBB195_17:                             ;   in Loop: Header=BB195_9 Depth=1
	s_delay_alu instid0(SALU_CYCLE_1) | instskip(SKIP_2) | instid1(VALU_DEP_1)
	s_or_b32 exec_lo, exec_lo, s28
	v_lshrrev_b16 v1, 8, v0
	s_mov_b32 s28, exec_lo
	v_cmpx_ne_u16_e32 0, v1
	s_cbranch_execz .LBB195_25
; %bb.18:                               ;   in Loop: Header=BB195_9 Depth=1
	v_mov_b64_e32 v[64:65], 0x8000000000000000
	s_mov_b32 s29, exec_lo
	v_cmpx_ne_u16_e32 0x80, v1
	s_cbranch_execz .LBB195_24
; %bb.19:                               ;   in Loop: Header=BB195_9 Depth=1
	v_and_b32_e32 v1, 0xffff, v1
	v_mov_b64_e32 v[64:65], 0x7f80000100000000
	s_mov_b32 s30, exec_lo
	s_delay_alu instid0(VALU_DEP_2) | instskip(NEXT) | instid1(VALU_DEP_1)
	v_and_b32_e32 v2, 0x7f, v1
	v_cmpx_ne_u32_e32 0x7f, v2
	s_cbranch_execz .LBB195_23
; %bb.20:                               ;   in Loop: Header=BB195_9 Depth=1
	v_dual_lshrrev_b32 v1, 3, v2 :: v_dual_bitop2_b32 v58, 7, v1 bitop3:0x40
	s_mov_b32 s31, exec_lo
	v_cmpx_gt_u32_e32 8, v2
; %bb.21:                               ;   in Loop: Header=BB195_9 Depth=1
	s_delay_alu instid0(VALU_DEP_2) | instskip(NEXT) | instid1(VALU_DEP_1)
	v_clz_i32_u32_e32 v1, v58
	v_min_u32_e32 v1, 32, v1
	s_delay_alu instid0(VALU_DEP_1) | instskip(NEXT) | instid1(VALU_DEP_1)
	v_subrev_nc_u32_e32 v2, 28, v1
	v_lshlrev_b64_e32 v[2:3], v2, v[58:59]
	s_delay_alu instid0(VALU_DEP_1)
	v_dual_sub_nc_u32 v1, 29, v1 :: v_dual_bitop2_b32 v58, 7, v2 bitop3:0x40
; %bb.22:                               ;   in Loop: Header=BB195_9 Depth=1
	s_or_b32 exec_lo, exec_lo, s31
	s_delay_alu instid0(VALU_DEP_1) | instskip(NEXT) | instid1(VALU_DEP_2)
	v_dual_lshlrev_b32 v0, 16, v0 :: v_dual_lshlrev_b32 v2, 20, v58
	v_lshl_add_u32 v1, v1, 23, 0x3c000000
	v_mov_b32_e32 v64, v59
	s_delay_alu instid0(VALU_DEP_3) | instskip(NEXT) | instid1(VALU_DEP_1)
	v_and_b32_e32 v0, 0x80000000, v0
	v_or3_b32 v65, v2, v0, v1
.LBB195_23:                             ;   in Loop: Header=BB195_9 Depth=1
	s_or_b32 exec_lo, exec_lo, s30
.LBB195_24:                             ;   in Loop: Header=BB195_9 Depth=1
	s_delay_alu instid0(SALU_CYCLE_1)
	s_or_b32 exec_lo, exec_lo, s29
.LBB195_25:                             ;   in Loop: Header=BB195_9 Depth=1
	s_delay_alu instid0(SALU_CYCLE_1)
	s_or_b32 exec_lo, exec_lo, s28
	global_load_u16 v0, v[72:73], off offset:4
	v_mov_b64_e32 v[68:69], 0
	v_mov_b64_e32 v[70:71], 0
	s_mov_b32 s28, exec_lo
	s_wait_loadcnt 0x0
	v_and_b32_e32 v1, 0xff, v0
	v_and_b32_e32 v0, 0xffff, v0
	s_wait_xcnt 0x0
	s_delay_alu instid0(VALU_DEP_2)
	v_cmpx_ne_u16_e32 0, v1
	s_cbranch_execz .LBB195_33
; %bb.26:                               ;   in Loop: Header=BB195_9 Depth=1
	v_mov_b64_e32 v[70:71], 0x80000000
	v_and_b32_e32 v1, 0xff, v0
	s_mov_b32 s29, exec_lo
	s_delay_alu instid0(VALU_DEP_1)
	v_cmpx_ne_u16_e32 0x80, v1
	s_cbranch_execz .LBB195_32
; %bb.27:                               ;   in Loop: Header=BB195_9 Depth=1
	v_mov_b64_e32 v[70:71], 0x7f800001
	v_and_b32_e32 v2, 0x7f, v0
	s_mov_b32 s30, exec_lo
	s_delay_alu instid0(VALU_DEP_1)
	v_cmpx_ne_u32_e32 0x7f, v2
	s_cbranch_execz .LBB195_31
; %bb.28:                               ;   in Loop: Header=BB195_9 Depth=1
	v_dual_lshrrev_b32 v1, 3, v2 :: v_dual_bitop2_b32 v58, 7, v0 bitop3:0x40
	s_mov_b32 s31, exec_lo
	v_cmpx_gt_u32_e32 8, v2
; %bb.29:                               ;   in Loop: Header=BB195_9 Depth=1
	s_delay_alu instid0(VALU_DEP_2) | instskip(NEXT) | instid1(VALU_DEP_1)
	v_clz_i32_u32_e32 v1, v58
	v_min_u32_e32 v1, 32, v1
	s_delay_alu instid0(VALU_DEP_1) | instskip(NEXT) | instid1(VALU_DEP_1)
	v_subrev_nc_u32_e32 v2, 28, v1
	v_lshlrev_b64_e32 v[2:3], v2, v[58:59]
	s_delay_alu instid0(VALU_DEP_1)
	v_dual_sub_nc_u32 v1, 29, v1 :: v_dual_bitop2_b32 v58, 7, v2 bitop3:0x40
; %bb.30:                               ;   in Loop: Header=BB195_9 Depth=1
	s_or_b32 exec_lo, exec_lo, s31
	s_delay_alu instid0(VALU_DEP_1) | instskip(NEXT) | instid1(VALU_DEP_2)
	v_dual_lshlrev_b32 v2, 24, v0 :: v_dual_lshlrev_b32 v3, 20, v58
	v_lshl_add_u32 v1, v1, 23, 0x3c000000
	s_delay_alu instid0(VALU_DEP_2) | instskip(NEXT) | instid1(VALU_DEP_1)
	v_and_b32_e32 v2, 0x80000000, v2
	v_or3_b32 v58, v3, v2, v1
	s_delay_alu instid0(VALU_DEP_1)
	v_mov_b64_e32 v[70:71], v[58:59]
.LBB195_31:                             ;   in Loop: Header=BB195_9 Depth=1
	s_or_b32 exec_lo, exec_lo, s30
.LBB195_32:                             ;   in Loop: Header=BB195_9 Depth=1
	s_delay_alu instid0(SALU_CYCLE_1)
	s_or_b32 exec_lo, exec_lo, s29
.LBB195_33:                             ;   in Loop: Header=BB195_9 Depth=1
	s_delay_alu instid0(SALU_CYCLE_1) | instskip(SKIP_2) | instid1(VALU_DEP_1)
	s_or_b32 exec_lo, exec_lo, s28
	v_lshrrev_b16 v1, 8, v0
	s_mov_b32 s28, exec_lo
	v_cmpx_ne_u16_e32 0, v1
	s_cbranch_execz .LBB195_41
; %bb.34:                               ;   in Loop: Header=BB195_9 Depth=1
	v_mov_b64_e32 v[68:69], 0x8000000000000000
	s_mov_b32 s29, exec_lo
	v_cmpx_ne_u16_e32 0x80, v1
	s_cbranch_execz .LBB195_40
; %bb.35:                               ;   in Loop: Header=BB195_9 Depth=1
	v_and_b32_e32 v1, 0xffff, v1
	v_mov_b64_e32 v[68:69], 0x7f80000100000000
	s_mov_b32 s30, exec_lo
	s_delay_alu instid0(VALU_DEP_2) | instskip(NEXT) | instid1(VALU_DEP_1)
	v_and_b32_e32 v2, 0x7f, v1
	v_cmpx_ne_u32_e32 0x7f, v2
	s_cbranch_execz .LBB195_39
; %bb.36:                               ;   in Loop: Header=BB195_9 Depth=1
	v_dual_lshrrev_b32 v1, 3, v2 :: v_dual_bitop2_b32 v58, 7, v1 bitop3:0x40
	s_mov_b32 s31, exec_lo
	v_cmpx_gt_u32_e32 8, v2
; %bb.37:                               ;   in Loop: Header=BB195_9 Depth=1
	s_delay_alu instid0(VALU_DEP_2) | instskip(NEXT) | instid1(VALU_DEP_1)
	v_clz_i32_u32_e32 v1, v58
	v_min_u32_e32 v1, 32, v1
	s_delay_alu instid0(VALU_DEP_1) | instskip(NEXT) | instid1(VALU_DEP_1)
	v_subrev_nc_u32_e32 v2, 28, v1
	v_lshlrev_b64_e32 v[2:3], v2, v[58:59]
	s_delay_alu instid0(VALU_DEP_1)
	v_dual_sub_nc_u32 v1, 29, v1 :: v_dual_bitop2_b32 v58, 7, v2 bitop3:0x40
; %bb.38:                               ;   in Loop: Header=BB195_9 Depth=1
	s_or_b32 exec_lo, exec_lo, s31
	s_delay_alu instid0(VALU_DEP_1) | instskip(NEXT) | instid1(VALU_DEP_2)
	v_dual_lshlrev_b32 v0, 16, v0 :: v_dual_lshlrev_b32 v2, 20, v58
	v_lshl_add_u32 v1, v1, 23, 0x3c000000
	v_mov_b32_e32 v68, v59
	s_delay_alu instid0(VALU_DEP_3) | instskip(NEXT) | instid1(VALU_DEP_1)
	v_and_b32_e32 v0, 0x80000000, v0
	v_or3_b32 v69, v2, v0, v1
.LBB195_39:                             ;   in Loop: Header=BB195_9 Depth=1
	s_or_b32 exec_lo, exec_lo, s30
.LBB195_40:                             ;   in Loop: Header=BB195_9 Depth=1
	s_delay_alu instid0(SALU_CYCLE_1)
	s_or_b32 exec_lo, exec_lo, s29
.LBB195_41:                             ;   in Loop: Header=BB195_9 Depth=1
	s_delay_alu instid0(SALU_CYCLE_1)
	s_or_b32 exec_lo, exec_lo, s28
	global_load_u16 v0, v[72:73], off offset:8
	v_mov_b64_e32 v[74:75], 0
	v_mov_b64_e32 v[76:77], 0
	s_mov_b32 s28, exec_lo
	s_wait_loadcnt 0x0
	v_and_b32_e32 v1, 0xff, v0
	v_and_b32_e32 v0, 0xffff, v0
	s_wait_xcnt 0x0
	s_delay_alu instid0(VALU_DEP_2)
	v_cmpx_ne_u16_e32 0, v1
	s_cbranch_execz .LBB195_49
; %bb.42:                               ;   in Loop: Header=BB195_9 Depth=1
	v_mov_b64_e32 v[76:77], 0x80000000
	v_and_b32_e32 v1, 0xff, v0
	s_mov_b32 s29, exec_lo
	s_delay_alu instid0(VALU_DEP_1)
	v_cmpx_ne_u16_e32 0x80, v1
	s_cbranch_execz .LBB195_48
; %bb.43:                               ;   in Loop: Header=BB195_9 Depth=1
	v_mov_b64_e32 v[76:77], 0x7f800001
	v_and_b32_e32 v2, 0x7f, v0
	s_mov_b32 s30, exec_lo
	s_delay_alu instid0(VALU_DEP_1)
	v_cmpx_ne_u32_e32 0x7f, v2
	s_cbranch_execz .LBB195_47
; %bb.44:                               ;   in Loop: Header=BB195_9 Depth=1
	v_dual_lshrrev_b32 v1, 3, v2 :: v_dual_bitop2_b32 v58, 7, v0 bitop3:0x40
	s_mov_b32 s31, exec_lo
	v_cmpx_gt_u32_e32 8, v2
; %bb.45:                               ;   in Loop: Header=BB195_9 Depth=1
	s_delay_alu instid0(VALU_DEP_2) | instskip(NEXT) | instid1(VALU_DEP_1)
	v_clz_i32_u32_e32 v1, v58
	v_min_u32_e32 v1, 32, v1
	s_delay_alu instid0(VALU_DEP_1) | instskip(NEXT) | instid1(VALU_DEP_1)
	v_subrev_nc_u32_e32 v2, 28, v1
	v_lshlrev_b64_e32 v[2:3], v2, v[58:59]
	s_delay_alu instid0(VALU_DEP_1)
	v_dual_sub_nc_u32 v1, 29, v1 :: v_dual_bitop2_b32 v58, 7, v2 bitop3:0x40
; %bb.46:                               ;   in Loop: Header=BB195_9 Depth=1
	s_or_b32 exec_lo, exec_lo, s31
	s_delay_alu instid0(VALU_DEP_1) | instskip(NEXT) | instid1(VALU_DEP_2)
	v_dual_lshlrev_b32 v2, 24, v0 :: v_dual_lshlrev_b32 v3, 20, v58
	v_lshl_add_u32 v1, v1, 23, 0x3c000000
	s_delay_alu instid0(VALU_DEP_2) | instskip(NEXT) | instid1(VALU_DEP_1)
	v_and_b32_e32 v2, 0x80000000, v2
	v_or3_b32 v58, v3, v2, v1
	s_delay_alu instid0(VALU_DEP_1)
	v_mov_b64_e32 v[76:77], v[58:59]
.LBB195_47:                             ;   in Loop: Header=BB195_9 Depth=1
	s_or_b32 exec_lo, exec_lo, s30
.LBB195_48:                             ;   in Loop: Header=BB195_9 Depth=1
	s_delay_alu instid0(SALU_CYCLE_1)
	s_or_b32 exec_lo, exec_lo, s29
.LBB195_49:                             ;   in Loop: Header=BB195_9 Depth=1
	s_delay_alu instid0(SALU_CYCLE_1) | instskip(SKIP_2) | instid1(VALU_DEP_1)
	s_or_b32 exec_lo, exec_lo, s28
	v_lshrrev_b16 v1, 8, v0
	s_mov_b32 s28, exec_lo
	v_cmpx_ne_u16_e32 0, v1
	s_cbranch_execz .LBB195_57
; %bb.50:                               ;   in Loop: Header=BB195_9 Depth=1
	v_mov_b64_e32 v[74:75], 0x8000000000000000
	s_mov_b32 s29, exec_lo
	v_cmpx_ne_u16_e32 0x80, v1
	s_cbranch_execz .LBB195_56
; %bb.51:                               ;   in Loop: Header=BB195_9 Depth=1
	v_and_b32_e32 v1, 0xffff, v1
	v_mov_b64_e32 v[74:75], 0x7f80000100000000
	s_mov_b32 s30, exec_lo
	s_delay_alu instid0(VALU_DEP_2) | instskip(NEXT) | instid1(VALU_DEP_1)
	v_and_b32_e32 v2, 0x7f, v1
	v_cmpx_ne_u32_e32 0x7f, v2
	s_cbranch_execz .LBB195_55
; %bb.52:                               ;   in Loop: Header=BB195_9 Depth=1
	v_dual_lshrrev_b32 v1, 3, v2 :: v_dual_bitop2_b32 v58, 7, v1 bitop3:0x40
	s_mov_b32 s31, exec_lo
	v_cmpx_gt_u32_e32 8, v2
; %bb.53:                               ;   in Loop: Header=BB195_9 Depth=1
	s_delay_alu instid0(VALU_DEP_2) | instskip(NEXT) | instid1(VALU_DEP_1)
	v_clz_i32_u32_e32 v1, v58
	v_min_u32_e32 v1, 32, v1
	s_delay_alu instid0(VALU_DEP_1) | instskip(NEXT) | instid1(VALU_DEP_1)
	v_subrev_nc_u32_e32 v2, 28, v1
	v_lshlrev_b64_e32 v[2:3], v2, v[58:59]
	s_delay_alu instid0(VALU_DEP_1)
	v_dual_sub_nc_u32 v1, 29, v1 :: v_dual_bitop2_b32 v58, 7, v2 bitop3:0x40
; %bb.54:                               ;   in Loop: Header=BB195_9 Depth=1
	s_or_b32 exec_lo, exec_lo, s31
	s_delay_alu instid0(VALU_DEP_1) | instskip(NEXT) | instid1(VALU_DEP_2)
	v_dual_lshlrev_b32 v0, 16, v0 :: v_dual_lshlrev_b32 v2, 20, v58
	v_lshl_add_u32 v1, v1, 23, 0x3c000000
	v_mov_b32_e32 v74, v59
	s_delay_alu instid0(VALU_DEP_3) | instskip(NEXT) | instid1(VALU_DEP_1)
	v_and_b32_e32 v0, 0x80000000, v0
	v_or3_b32 v75, v2, v0, v1
.LBB195_55:                             ;   in Loop: Header=BB195_9 Depth=1
	s_or_b32 exec_lo, exec_lo, s30
.LBB195_56:                             ;   in Loop: Header=BB195_9 Depth=1
	s_delay_alu instid0(SALU_CYCLE_1)
	s_or_b32 exec_lo, exec_lo, s29
.LBB195_57:                             ;   in Loop: Header=BB195_9 Depth=1
	s_delay_alu instid0(SALU_CYCLE_1)
	s_or_b32 exec_lo, exec_lo, s28
	global_load_u16 v0, v[72:73], off offset:12
	v_mov_b64_e32 v[78:79], 0
	v_mov_b64_e32 v[80:81], 0
	s_mov_b32 s28, exec_lo
	s_wait_loadcnt 0x0
	v_and_b32_e32 v1, 0xff, v0
	v_and_b32_e32 v0, 0xffff, v0
	s_wait_xcnt 0x0
	s_delay_alu instid0(VALU_DEP_2)
	v_cmpx_ne_u16_e32 0, v1
	s_cbranch_execz .LBB195_65
; %bb.58:                               ;   in Loop: Header=BB195_9 Depth=1
	v_mov_b64_e32 v[80:81], 0x80000000
	v_and_b32_e32 v1, 0xff, v0
	s_mov_b32 s29, exec_lo
	s_delay_alu instid0(VALU_DEP_1)
	v_cmpx_ne_u16_e32 0x80, v1
	s_cbranch_execz .LBB195_64
; %bb.59:                               ;   in Loop: Header=BB195_9 Depth=1
	v_mov_b64_e32 v[80:81], 0x7f800001
	v_and_b32_e32 v2, 0x7f, v0
	s_mov_b32 s30, exec_lo
	s_delay_alu instid0(VALU_DEP_1)
	v_cmpx_ne_u32_e32 0x7f, v2
	s_cbranch_execz .LBB195_63
; %bb.60:                               ;   in Loop: Header=BB195_9 Depth=1
	v_dual_lshrrev_b32 v1, 3, v2 :: v_dual_bitop2_b32 v58, 7, v0 bitop3:0x40
	s_mov_b32 s31, exec_lo
	v_cmpx_gt_u32_e32 8, v2
; %bb.61:                               ;   in Loop: Header=BB195_9 Depth=1
	s_delay_alu instid0(VALU_DEP_2) | instskip(NEXT) | instid1(VALU_DEP_1)
	v_clz_i32_u32_e32 v1, v58
	v_min_u32_e32 v1, 32, v1
	s_delay_alu instid0(VALU_DEP_1) | instskip(NEXT) | instid1(VALU_DEP_1)
	v_subrev_nc_u32_e32 v2, 28, v1
	v_lshlrev_b64_e32 v[2:3], v2, v[58:59]
	s_delay_alu instid0(VALU_DEP_1)
	v_dual_sub_nc_u32 v1, 29, v1 :: v_dual_bitop2_b32 v58, 7, v2 bitop3:0x40
; %bb.62:                               ;   in Loop: Header=BB195_9 Depth=1
	s_or_b32 exec_lo, exec_lo, s31
	s_delay_alu instid0(VALU_DEP_1) | instskip(NEXT) | instid1(VALU_DEP_2)
	v_dual_lshlrev_b32 v2, 24, v0 :: v_dual_lshlrev_b32 v3, 20, v58
	v_lshl_add_u32 v1, v1, 23, 0x3c000000
	s_delay_alu instid0(VALU_DEP_2) | instskip(NEXT) | instid1(VALU_DEP_1)
	v_and_b32_e32 v2, 0x80000000, v2
	v_or3_b32 v58, v3, v2, v1
	s_delay_alu instid0(VALU_DEP_1)
	v_mov_b64_e32 v[80:81], v[58:59]
.LBB195_63:                             ;   in Loop: Header=BB195_9 Depth=1
	s_or_b32 exec_lo, exec_lo, s30
.LBB195_64:                             ;   in Loop: Header=BB195_9 Depth=1
	s_delay_alu instid0(SALU_CYCLE_1)
	s_or_b32 exec_lo, exec_lo, s29
.LBB195_65:                             ;   in Loop: Header=BB195_9 Depth=1
	s_delay_alu instid0(SALU_CYCLE_1) | instskip(SKIP_2) | instid1(VALU_DEP_1)
	s_or_b32 exec_lo, exec_lo, s28
	v_lshrrev_b16 v1, 8, v0
	s_mov_b32 s28, exec_lo
	v_cmpx_ne_u16_e32 0, v1
	s_cbranch_execz .LBB195_73
; %bb.66:                               ;   in Loop: Header=BB195_9 Depth=1
	v_mov_b64_e32 v[78:79], 0x8000000000000000
	s_mov_b32 s29, exec_lo
	v_cmpx_ne_u16_e32 0x80, v1
	s_cbranch_execz .LBB195_72
; %bb.67:                               ;   in Loop: Header=BB195_9 Depth=1
	v_and_b32_e32 v1, 0xffff, v1
	v_mov_b64_e32 v[78:79], 0x7f80000100000000
	s_mov_b32 s30, exec_lo
	s_delay_alu instid0(VALU_DEP_2) | instskip(NEXT) | instid1(VALU_DEP_1)
	v_and_b32_e32 v2, 0x7f, v1
	v_cmpx_ne_u32_e32 0x7f, v2
	s_cbranch_execz .LBB195_71
; %bb.68:                               ;   in Loop: Header=BB195_9 Depth=1
	v_dual_lshrrev_b32 v1, 3, v2 :: v_dual_bitop2_b32 v58, 7, v1 bitop3:0x40
	s_mov_b32 s31, exec_lo
	v_cmpx_gt_u32_e32 8, v2
; %bb.69:                               ;   in Loop: Header=BB195_9 Depth=1
	s_delay_alu instid0(VALU_DEP_2) | instskip(NEXT) | instid1(VALU_DEP_1)
	v_clz_i32_u32_e32 v1, v58
	v_min_u32_e32 v1, 32, v1
	s_delay_alu instid0(VALU_DEP_1) | instskip(NEXT) | instid1(VALU_DEP_1)
	v_subrev_nc_u32_e32 v2, 28, v1
	v_lshlrev_b64_e32 v[2:3], v2, v[58:59]
	s_delay_alu instid0(VALU_DEP_1)
	v_dual_sub_nc_u32 v1, 29, v1 :: v_dual_bitop2_b32 v58, 7, v2 bitop3:0x40
; %bb.70:                               ;   in Loop: Header=BB195_9 Depth=1
	s_or_b32 exec_lo, exec_lo, s31
	s_delay_alu instid0(VALU_DEP_1) | instskip(NEXT) | instid1(VALU_DEP_2)
	v_dual_lshlrev_b32 v0, 16, v0 :: v_dual_lshlrev_b32 v2, 20, v58
	v_lshl_add_u32 v1, v1, 23, 0x3c000000
	v_mov_b32_e32 v78, v59
	s_delay_alu instid0(VALU_DEP_3) | instskip(NEXT) | instid1(VALU_DEP_1)
	v_and_b32_e32 v0, 0x80000000, v0
	v_or3_b32 v79, v2, v0, v1
.LBB195_71:                             ;   in Loop: Header=BB195_9 Depth=1
	s_or_b32 exec_lo, exec_lo, s30
.LBB195_72:                             ;   in Loop: Header=BB195_9 Depth=1
	s_delay_alu instid0(SALU_CYCLE_1)
	s_or_b32 exec_lo, exec_lo, s29
.LBB195_73:                             ;   in Loop: Header=BB195_9 Depth=1
	s_delay_alu instid0(SALU_CYCLE_1)
	s_or_b32 exec_lo, exec_lo, s28
	global_load_u16 v0, v[72:73], off offset:256
	v_mov_b64_e32 v[82:83], 0
	v_mov_b64_e32 v[84:85], 0
	s_mov_b32 s28, exec_lo
	s_wait_loadcnt 0x0
	v_and_b32_e32 v1, 0xff, v0
	v_and_b32_e32 v0, 0xffff, v0
	s_wait_xcnt 0x0
	s_delay_alu instid0(VALU_DEP_2)
	v_cmpx_ne_u16_e32 0, v1
	s_cbranch_execz .LBB195_81
; %bb.74:                               ;   in Loop: Header=BB195_9 Depth=1
	v_mov_b64_e32 v[84:85], 0x80000000
	v_and_b32_e32 v1, 0xff, v0
	s_mov_b32 s29, exec_lo
	s_delay_alu instid0(VALU_DEP_1)
	v_cmpx_ne_u16_e32 0x80, v1
	s_cbranch_execz .LBB195_80
; %bb.75:                               ;   in Loop: Header=BB195_9 Depth=1
	v_mov_b64_e32 v[84:85], 0x7f800001
	v_and_b32_e32 v2, 0x7f, v0
	s_mov_b32 s30, exec_lo
	s_delay_alu instid0(VALU_DEP_1)
	v_cmpx_ne_u32_e32 0x7f, v2
	s_cbranch_execz .LBB195_79
; %bb.76:                               ;   in Loop: Header=BB195_9 Depth=1
	v_dual_lshrrev_b32 v1, 3, v2 :: v_dual_bitop2_b32 v58, 7, v0 bitop3:0x40
	s_mov_b32 s31, exec_lo
	v_cmpx_gt_u32_e32 8, v2
; %bb.77:                               ;   in Loop: Header=BB195_9 Depth=1
	s_delay_alu instid0(VALU_DEP_2) | instskip(NEXT) | instid1(VALU_DEP_1)
	v_clz_i32_u32_e32 v1, v58
	v_min_u32_e32 v1, 32, v1
	s_delay_alu instid0(VALU_DEP_1) | instskip(NEXT) | instid1(VALU_DEP_1)
	v_subrev_nc_u32_e32 v2, 28, v1
	v_lshlrev_b64_e32 v[2:3], v2, v[58:59]
	s_delay_alu instid0(VALU_DEP_1)
	v_dual_sub_nc_u32 v1, 29, v1 :: v_dual_bitop2_b32 v58, 7, v2 bitop3:0x40
; %bb.78:                               ;   in Loop: Header=BB195_9 Depth=1
	s_or_b32 exec_lo, exec_lo, s31
	s_delay_alu instid0(VALU_DEP_1) | instskip(NEXT) | instid1(VALU_DEP_2)
	v_dual_lshlrev_b32 v2, 24, v0 :: v_dual_lshlrev_b32 v3, 20, v58
	v_lshl_add_u32 v1, v1, 23, 0x3c000000
	s_delay_alu instid0(VALU_DEP_2) | instskip(NEXT) | instid1(VALU_DEP_1)
	v_and_b32_e32 v2, 0x80000000, v2
	v_or3_b32 v58, v3, v2, v1
	s_delay_alu instid0(VALU_DEP_1)
	v_mov_b64_e32 v[84:85], v[58:59]
.LBB195_79:                             ;   in Loop: Header=BB195_9 Depth=1
	s_or_b32 exec_lo, exec_lo, s30
.LBB195_80:                             ;   in Loop: Header=BB195_9 Depth=1
	s_delay_alu instid0(SALU_CYCLE_1)
	s_or_b32 exec_lo, exec_lo, s29
.LBB195_81:                             ;   in Loop: Header=BB195_9 Depth=1
	s_delay_alu instid0(SALU_CYCLE_1) | instskip(SKIP_2) | instid1(VALU_DEP_1)
	s_or_b32 exec_lo, exec_lo, s28
	v_lshrrev_b16 v1, 8, v0
	s_mov_b32 s28, exec_lo
	v_cmpx_ne_u16_e32 0, v1
	s_cbranch_execz .LBB195_89
; %bb.82:                               ;   in Loop: Header=BB195_9 Depth=1
	v_mov_b64_e32 v[82:83], 0x8000000000000000
	s_mov_b32 s29, exec_lo
	v_cmpx_ne_u16_e32 0x80, v1
	s_cbranch_execz .LBB195_88
; %bb.83:                               ;   in Loop: Header=BB195_9 Depth=1
	v_and_b32_e32 v1, 0xffff, v1
	v_mov_b64_e32 v[82:83], 0x7f80000100000000
	s_mov_b32 s30, exec_lo
	s_delay_alu instid0(VALU_DEP_2) | instskip(NEXT) | instid1(VALU_DEP_1)
	v_and_b32_e32 v2, 0x7f, v1
	v_cmpx_ne_u32_e32 0x7f, v2
	s_cbranch_execz .LBB195_87
; %bb.84:                               ;   in Loop: Header=BB195_9 Depth=1
	v_dual_lshrrev_b32 v1, 3, v2 :: v_dual_bitop2_b32 v58, 7, v1 bitop3:0x40
	s_mov_b32 s31, exec_lo
	v_cmpx_gt_u32_e32 8, v2
; %bb.85:                               ;   in Loop: Header=BB195_9 Depth=1
	s_delay_alu instid0(VALU_DEP_2) | instskip(NEXT) | instid1(VALU_DEP_1)
	v_clz_i32_u32_e32 v1, v58
	v_min_u32_e32 v1, 32, v1
	s_delay_alu instid0(VALU_DEP_1) | instskip(NEXT) | instid1(VALU_DEP_1)
	v_subrev_nc_u32_e32 v2, 28, v1
	v_lshlrev_b64_e32 v[2:3], v2, v[58:59]
	s_delay_alu instid0(VALU_DEP_1)
	v_dual_sub_nc_u32 v1, 29, v1 :: v_dual_bitop2_b32 v58, 7, v2 bitop3:0x40
; %bb.86:                               ;   in Loop: Header=BB195_9 Depth=1
	s_or_b32 exec_lo, exec_lo, s31
	s_delay_alu instid0(VALU_DEP_1) | instskip(NEXT) | instid1(VALU_DEP_2)
	v_dual_lshlrev_b32 v0, 16, v0 :: v_dual_lshlrev_b32 v2, 20, v58
	v_lshl_add_u32 v1, v1, 23, 0x3c000000
	v_mov_b32_e32 v82, v59
	s_delay_alu instid0(VALU_DEP_3) | instskip(NEXT) | instid1(VALU_DEP_1)
	v_and_b32_e32 v0, 0x80000000, v0
	v_or3_b32 v83, v2, v0, v1
.LBB195_87:                             ;   in Loop: Header=BB195_9 Depth=1
	s_or_b32 exec_lo, exec_lo, s30
.LBB195_88:                             ;   in Loop: Header=BB195_9 Depth=1
	s_delay_alu instid0(SALU_CYCLE_1)
	s_or_b32 exec_lo, exec_lo, s29
.LBB195_89:                             ;   in Loop: Header=BB195_9 Depth=1
	s_delay_alu instid0(SALU_CYCLE_1)
	s_or_b32 exec_lo, exec_lo, s28
	global_load_u16 v0, v[72:73], off offset:260
	v_mov_b64_e32 v[86:87], 0
	v_mov_b64_e32 v[88:89], 0
	s_mov_b32 s28, exec_lo
	s_wait_loadcnt 0x0
	v_and_b32_e32 v1, 0xff, v0
	v_and_b32_e32 v0, 0xffff, v0
	s_wait_xcnt 0x0
	s_delay_alu instid0(VALU_DEP_2)
	v_cmpx_ne_u16_e32 0, v1
	s_cbranch_execz .LBB195_97
; %bb.90:                               ;   in Loop: Header=BB195_9 Depth=1
	v_mov_b64_e32 v[88:89], 0x80000000
	v_and_b32_e32 v1, 0xff, v0
	s_mov_b32 s29, exec_lo
	s_delay_alu instid0(VALU_DEP_1)
	v_cmpx_ne_u16_e32 0x80, v1
	s_cbranch_execz .LBB195_96
; %bb.91:                               ;   in Loop: Header=BB195_9 Depth=1
	v_mov_b64_e32 v[88:89], 0x7f800001
	v_and_b32_e32 v2, 0x7f, v0
	s_mov_b32 s30, exec_lo
	s_delay_alu instid0(VALU_DEP_1)
	v_cmpx_ne_u32_e32 0x7f, v2
	s_cbranch_execz .LBB195_95
; %bb.92:                               ;   in Loop: Header=BB195_9 Depth=1
	v_dual_lshrrev_b32 v1, 3, v2 :: v_dual_bitop2_b32 v58, 7, v0 bitop3:0x40
	s_mov_b32 s31, exec_lo
	v_cmpx_gt_u32_e32 8, v2
; %bb.93:                               ;   in Loop: Header=BB195_9 Depth=1
	s_delay_alu instid0(VALU_DEP_2) | instskip(NEXT) | instid1(VALU_DEP_1)
	v_clz_i32_u32_e32 v1, v58
	v_min_u32_e32 v1, 32, v1
	s_delay_alu instid0(VALU_DEP_1) | instskip(NEXT) | instid1(VALU_DEP_1)
	v_subrev_nc_u32_e32 v2, 28, v1
	v_lshlrev_b64_e32 v[2:3], v2, v[58:59]
	s_delay_alu instid0(VALU_DEP_1)
	v_dual_sub_nc_u32 v1, 29, v1 :: v_dual_bitop2_b32 v58, 7, v2 bitop3:0x40
; %bb.94:                               ;   in Loop: Header=BB195_9 Depth=1
	s_or_b32 exec_lo, exec_lo, s31
	s_delay_alu instid0(VALU_DEP_1) | instskip(NEXT) | instid1(VALU_DEP_2)
	v_dual_lshlrev_b32 v2, 24, v0 :: v_dual_lshlrev_b32 v3, 20, v58
	v_lshl_add_u32 v1, v1, 23, 0x3c000000
	s_delay_alu instid0(VALU_DEP_2) | instskip(NEXT) | instid1(VALU_DEP_1)
	v_and_b32_e32 v2, 0x80000000, v2
	v_or3_b32 v58, v3, v2, v1
	s_delay_alu instid0(VALU_DEP_1)
	v_mov_b64_e32 v[88:89], v[58:59]
.LBB195_95:                             ;   in Loop: Header=BB195_9 Depth=1
	s_or_b32 exec_lo, exec_lo, s30
.LBB195_96:                             ;   in Loop: Header=BB195_9 Depth=1
	s_delay_alu instid0(SALU_CYCLE_1)
	s_or_b32 exec_lo, exec_lo, s29
.LBB195_97:                             ;   in Loop: Header=BB195_9 Depth=1
	s_delay_alu instid0(SALU_CYCLE_1) | instskip(SKIP_2) | instid1(VALU_DEP_1)
	s_or_b32 exec_lo, exec_lo, s28
	v_lshrrev_b16 v1, 8, v0
	s_mov_b32 s28, exec_lo
	v_cmpx_ne_u16_e32 0, v1
	s_cbranch_execz .LBB195_105
; %bb.98:                               ;   in Loop: Header=BB195_9 Depth=1
	v_mov_b64_e32 v[86:87], 0x8000000000000000
	s_mov_b32 s29, exec_lo
	v_cmpx_ne_u16_e32 0x80, v1
	s_cbranch_execz .LBB195_104
; %bb.99:                               ;   in Loop: Header=BB195_9 Depth=1
	v_and_b32_e32 v1, 0xffff, v1
	v_mov_b64_e32 v[86:87], 0x7f80000100000000
	s_mov_b32 s30, exec_lo
	s_delay_alu instid0(VALU_DEP_2) | instskip(NEXT) | instid1(VALU_DEP_1)
	v_and_b32_e32 v2, 0x7f, v1
	v_cmpx_ne_u32_e32 0x7f, v2
	s_cbranch_execz .LBB195_103
; %bb.100:                              ;   in Loop: Header=BB195_9 Depth=1
	v_dual_lshrrev_b32 v1, 3, v2 :: v_dual_bitop2_b32 v58, 7, v1 bitop3:0x40
	s_mov_b32 s31, exec_lo
	v_cmpx_gt_u32_e32 8, v2
; %bb.101:                              ;   in Loop: Header=BB195_9 Depth=1
	s_delay_alu instid0(VALU_DEP_2) | instskip(NEXT) | instid1(VALU_DEP_1)
	v_clz_i32_u32_e32 v1, v58
	v_min_u32_e32 v1, 32, v1
	s_delay_alu instid0(VALU_DEP_1) | instskip(NEXT) | instid1(VALU_DEP_1)
	v_subrev_nc_u32_e32 v2, 28, v1
	v_lshlrev_b64_e32 v[2:3], v2, v[58:59]
	s_delay_alu instid0(VALU_DEP_1)
	v_dual_sub_nc_u32 v1, 29, v1 :: v_dual_bitop2_b32 v58, 7, v2 bitop3:0x40
; %bb.102:                              ;   in Loop: Header=BB195_9 Depth=1
	s_or_b32 exec_lo, exec_lo, s31
	s_delay_alu instid0(VALU_DEP_1) | instskip(NEXT) | instid1(VALU_DEP_2)
	v_dual_lshlrev_b32 v0, 16, v0 :: v_dual_lshlrev_b32 v2, 20, v58
	v_lshl_add_u32 v1, v1, 23, 0x3c000000
	v_mov_b32_e32 v86, v59
	s_delay_alu instid0(VALU_DEP_3) | instskip(NEXT) | instid1(VALU_DEP_1)
	v_and_b32_e32 v0, 0x80000000, v0
	v_or3_b32 v87, v2, v0, v1
.LBB195_103:                            ;   in Loop: Header=BB195_9 Depth=1
	s_or_b32 exec_lo, exec_lo, s30
.LBB195_104:                            ;   in Loop: Header=BB195_9 Depth=1
	s_delay_alu instid0(SALU_CYCLE_1)
	s_or_b32 exec_lo, exec_lo, s29
.LBB195_105:                            ;   in Loop: Header=BB195_9 Depth=1
	s_delay_alu instid0(SALU_CYCLE_1)
	s_or_b32 exec_lo, exec_lo, s28
	global_load_u16 v0, v[72:73], off offset:264
	v_mov_b64_e32 v[90:91], 0
	v_mov_b64_e32 v[92:93], 0
	s_mov_b32 s28, exec_lo
	s_wait_loadcnt 0x0
	v_and_b32_e32 v1, 0xff, v0
	v_and_b32_e32 v0, 0xffff, v0
	s_wait_xcnt 0x0
	s_delay_alu instid0(VALU_DEP_2)
	v_cmpx_ne_u16_e32 0, v1
	s_cbranch_execz .LBB195_113
; %bb.106:                              ;   in Loop: Header=BB195_9 Depth=1
	v_mov_b64_e32 v[92:93], 0x80000000
	v_and_b32_e32 v1, 0xff, v0
	s_mov_b32 s29, exec_lo
	s_delay_alu instid0(VALU_DEP_1)
	v_cmpx_ne_u16_e32 0x80, v1
	s_cbranch_execz .LBB195_112
; %bb.107:                              ;   in Loop: Header=BB195_9 Depth=1
	v_mov_b64_e32 v[92:93], 0x7f800001
	v_and_b32_e32 v2, 0x7f, v0
	s_mov_b32 s30, exec_lo
	s_delay_alu instid0(VALU_DEP_1)
	v_cmpx_ne_u32_e32 0x7f, v2
	s_cbranch_execz .LBB195_111
; %bb.108:                              ;   in Loop: Header=BB195_9 Depth=1
	v_dual_lshrrev_b32 v1, 3, v2 :: v_dual_bitop2_b32 v58, 7, v0 bitop3:0x40
	s_mov_b32 s31, exec_lo
	v_cmpx_gt_u32_e32 8, v2
; %bb.109:                              ;   in Loop: Header=BB195_9 Depth=1
	s_delay_alu instid0(VALU_DEP_2) | instskip(NEXT) | instid1(VALU_DEP_1)
	v_clz_i32_u32_e32 v1, v58
	v_min_u32_e32 v1, 32, v1
	s_delay_alu instid0(VALU_DEP_1) | instskip(NEXT) | instid1(VALU_DEP_1)
	v_subrev_nc_u32_e32 v2, 28, v1
	v_lshlrev_b64_e32 v[2:3], v2, v[58:59]
	s_delay_alu instid0(VALU_DEP_1)
	v_dual_sub_nc_u32 v1, 29, v1 :: v_dual_bitop2_b32 v58, 7, v2 bitop3:0x40
; %bb.110:                              ;   in Loop: Header=BB195_9 Depth=1
	s_or_b32 exec_lo, exec_lo, s31
	s_delay_alu instid0(VALU_DEP_1) | instskip(NEXT) | instid1(VALU_DEP_2)
	v_dual_lshlrev_b32 v2, 24, v0 :: v_dual_lshlrev_b32 v3, 20, v58
	v_lshl_add_u32 v1, v1, 23, 0x3c000000
	s_delay_alu instid0(VALU_DEP_2) | instskip(NEXT) | instid1(VALU_DEP_1)
	v_and_b32_e32 v2, 0x80000000, v2
	v_or3_b32 v58, v3, v2, v1
	s_delay_alu instid0(VALU_DEP_1)
	v_mov_b64_e32 v[92:93], v[58:59]
.LBB195_111:                            ;   in Loop: Header=BB195_9 Depth=1
	s_or_b32 exec_lo, exec_lo, s30
.LBB195_112:                            ;   in Loop: Header=BB195_9 Depth=1
	s_delay_alu instid0(SALU_CYCLE_1)
	s_or_b32 exec_lo, exec_lo, s29
.LBB195_113:                            ;   in Loop: Header=BB195_9 Depth=1
	s_delay_alu instid0(SALU_CYCLE_1) | instskip(SKIP_2) | instid1(VALU_DEP_1)
	s_or_b32 exec_lo, exec_lo, s28
	v_lshrrev_b16 v1, 8, v0
	s_mov_b32 s28, exec_lo
	v_cmpx_ne_u16_e32 0, v1
	s_cbranch_execz .LBB195_121
; %bb.114:                              ;   in Loop: Header=BB195_9 Depth=1
	v_mov_b64_e32 v[90:91], 0x8000000000000000
	s_mov_b32 s29, exec_lo
	v_cmpx_ne_u16_e32 0x80, v1
	s_cbranch_execz .LBB195_120
; %bb.115:                              ;   in Loop: Header=BB195_9 Depth=1
	v_and_b32_e32 v1, 0xffff, v1
	v_mov_b64_e32 v[90:91], 0x7f80000100000000
	s_mov_b32 s30, exec_lo
	s_delay_alu instid0(VALU_DEP_2) | instskip(NEXT) | instid1(VALU_DEP_1)
	v_and_b32_e32 v2, 0x7f, v1
	v_cmpx_ne_u32_e32 0x7f, v2
	s_cbranch_execz .LBB195_119
; %bb.116:                              ;   in Loop: Header=BB195_9 Depth=1
	v_dual_lshrrev_b32 v1, 3, v2 :: v_dual_bitop2_b32 v58, 7, v1 bitop3:0x40
	s_mov_b32 s31, exec_lo
	v_cmpx_gt_u32_e32 8, v2
; %bb.117:                              ;   in Loop: Header=BB195_9 Depth=1
	s_delay_alu instid0(VALU_DEP_2) | instskip(NEXT) | instid1(VALU_DEP_1)
	v_clz_i32_u32_e32 v1, v58
	v_min_u32_e32 v1, 32, v1
	s_delay_alu instid0(VALU_DEP_1) | instskip(NEXT) | instid1(VALU_DEP_1)
	v_subrev_nc_u32_e32 v2, 28, v1
	v_lshlrev_b64_e32 v[2:3], v2, v[58:59]
	s_delay_alu instid0(VALU_DEP_1)
	v_dual_sub_nc_u32 v1, 29, v1 :: v_dual_bitop2_b32 v58, 7, v2 bitop3:0x40
; %bb.118:                              ;   in Loop: Header=BB195_9 Depth=1
	s_or_b32 exec_lo, exec_lo, s31
	s_delay_alu instid0(VALU_DEP_1) | instskip(NEXT) | instid1(VALU_DEP_2)
	v_dual_lshlrev_b32 v0, 16, v0 :: v_dual_lshlrev_b32 v2, 20, v58
	v_lshl_add_u32 v1, v1, 23, 0x3c000000
	v_mov_b32_e32 v90, v59
	s_delay_alu instid0(VALU_DEP_3) | instskip(NEXT) | instid1(VALU_DEP_1)
	v_and_b32_e32 v0, 0x80000000, v0
	v_or3_b32 v91, v2, v0, v1
.LBB195_119:                            ;   in Loop: Header=BB195_9 Depth=1
	s_or_b32 exec_lo, exec_lo, s30
.LBB195_120:                            ;   in Loop: Header=BB195_9 Depth=1
	s_delay_alu instid0(SALU_CYCLE_1)
	s_or_b32 exec_lo, exec_lo, s29
.LBB195_121:                            ;   in Loop: Header=BB195_9 Depth=1
	s_delay_alu instid0(SALU_CYCLE_1)
	s_or_b32 exec_lo, exec_lo, s28
	global_load_u16 v0, v[72:73], off offset:268
	v_mov_b64_e32 v[94:95], 0
	v_mov_b64_e32 v[96:97], 0
	s_mov_b32 s28, exec_lo
	s_wait_loadcnt 0x0
	v_and_b32_e32 v1, 0xff, v0
	v_and_b32_e32 v0, 0xffff, v0
	s_wait_xcnt 0x0
	s_delay_alu instid0(VALU_DEP_2)
	v_cmpx_ne_u16_e32 0, v1
	s_cbranch_execz .LBB195_129
; %bb.122:                              ;   in Loop: Header=BB195_9 Depth=1
	v_mov_b64_e32 v[96:97], 0x80000000
	v_and_b32_e32 v1, 0xff, v0
	s_mov_b32 s29, exec_lo
	s_delay_alu instid0(VALU_DEP_1)
	v_cmpx_ne_u16_e32 0x80, v1
	s_cbranch_execz .LBB195_128
; %bb.123:                              ;   in Loop: Header=BB195_9 Depth=1
	v_mov_b64_e32 v[96:97], 0x7f800001
	v_and_b32_e32 v2, 0x7f, v0
	s_mov_b32 s30, exec_lo
	s_delay_alu instid0(VALU_DEP_1)
	v_cmpx_ne_u32_e32 0x7f, v2
	s_cbranch_execz .LBB195_127
; %bb.124:                              ;   in Loop: Header=BB195_9 Depth=1
	v_dual_lshrrev_b32 v1, 3, v2 :: v_dual_bitop2_b32 v58, 7, v0 bitop3:0x40
	s_mov_b32 s31, exec_lo
	v_cmpx_gt_u32_e32 8, v2
; %bb.125:                              ;   in Loop: Header=BB195_9 Depth=1
	s_delay_alu instid0(VALU_DEP_2) | instskip(NEXT) | instid1(VALU_DEP_1)
	v_clz_i32_u32_e32 v1, v58
	v_min_u32_e32 v1, 32, v1
	s_delay_alu instid0(VALU_DEP_1) | instskip(NEXT) | instid1(VALU_DEP_1)
	v_subrev_nc_u32_e32 v2, 28, v1
	v_lshlrev_b64_e32 v[2:3], v2, v[58:59]
	s_delay_alu instid0(VALU_DEP_1)
	v_dual_sub_nc_u32 v1, 29, v1 :: v_dual_bitop2_b32 v58, 7, v2 bitop3:0x40
; %bb.126:                              ;   in Loop: Header=BB195_9 Depth=1
	s_or_b32 exec_lo, exec_lo, s31
	s_delay_alu instid0(VALU_DEP_1) | instskip(NEXT) | instid1(VALU_DEP_2)
	v_dual_lshlrev_b32 v2, 24, v0 :: v_dual_lshlrev_b32 v3, 20, v58
	v_lshl_add_u32 v1, v1, 23, 0x3c000000
	s_delay_alu instid0(VALU_DEP_2) | instskip(NEXT) | instid1(VALU_DEP_1)
	v_and_b32_e32 v2, 0x80000000, v2
	v_or3_b32 v58, v3, v2, v1
	s_delay_alu instid0(VALU_DEP_1)
	v_mov_b64_e32 v[96:97], v[58:59]
.LBB195_127:                            ;   in Loop: Header=BB195_9 Depth=1
	s_or_b32 exec_lo, exec_lo, s30
.LBB195_128:                            ;   in Loop: Header=BB195_9 Depth=1
	s_delay_alu instid0(SALU_CYCLE_1)
	s_or_b32 exec_lo, exec_lo, s29
.LBB195_129:                            ;   in Loop: Header=BB195_9 Depth=1
	s_delay_alu instid0(SALU_CYCLE_1) | instskip(SKIP_2) | instid1(VALU_DEP_1)
	s_or_b32 exec_lo, exec_lo, s28
	v_lshrrev_b16 v1, 8, v0
	s_mov_b32 s28, exec_lo
	v_cmpx_ne_u16_e32 0, v1
	s_cbranch_execz .LBB195_137
; %bb.130:                              ;   in Loop: Header=BB195_9 Depth=1
	v_mov_b64_e32 v[94:95], 0x8000000000000000
	s_mov_b32 s29, exec_lo
	v_cmpx_ne_u16_e32 0x80, v1
	s_cbranch_execz .LBB195_136
; %bb.131:                              ;   in Loop: Header=BB195_9 Depth=1
	v_and_b32_e32 v1, 0xffff, v1
	v_mov_b64_e32 v[94:95], 0x7f80000100000000
	s_mov_b32 s30, exec_lo
	s_delay_alu instid0(VALU_DEP_2) | instskip(NEXT) | instid1(VALU_DEP_1)
	v_and_b32_e32 v2, 0x7f, v1
	v_cmpx_ne_u32_e32 0x7f, v2
	s_cbranch_execz .LBB195_135
; %bb.132:                              ;   in Loop: Header=BB195_9 Depth=1
	v_dual_lshrrev_b32 v1, 3, v2 :: v_dual_bitop2_b32 v58, 7, v1 bitop3:0x40
	s_mov_b32 s31, exec_lo
	v_cmpx_gt_u32_e32 8, v2
; %bb.133:                              ;   in Loop: Header=BB195_9 Depth=1
	s_delay_alu instid0(VALU_DEP_2) | instskip(NEXT) | instid1(VALU_DEP_1)
	v_clz_i32_u32_e32 v1, v58
	v_min_u32_e32 v1, 32, v1
	s_delay_alu instid0(VALU_DEP_1) | instskip(NEXT) | instid1(VALU_DEP_1)
	v_subrev_nc_u32_e32 v2, 28, v1
	v_lshlrev_b64_e32 v[2:3], v2, v[58:59]
	s_delay_alu instid0(VALU_DEP_1)
	v_dual_sub_nc_u32 v1, 29, v1 :: v_dual_bitop2_b32 v58, 7, v2 bitop3:0x40
; %bb.134:                              ;   in Loop: Header=BB195_9 Depth=1
	s_or_b32 exec_lo, exec_lo, s31
	s_delay_alu instid0(VALU_DEP_1) | instskip(NEXT) | instid1(VALU_DEP_2)
	v_dual_lshlrev_b32 v0, 16, v0 :: v_dual_lshlrev_b32 v2, 20, v58
	v_lshl_add_u32 v1, v1, 23, 0x3c000000
	v_mov_b32_e32 v94, v59
	s_delay_alu instid0(VALU_DEP_3) | instskip(NEXT) | instid1(VALU_DEP_1)
	v_and_b32_e32 v0, 0x80000000, v0
	v_or3_b32 v95, v2, v0, v1
.LBB195_135:                            ;   in Loop: Header=BB195_9 Depth=1
	s_or_b32 exec_lo, exec_lo, s30
.LBB195_136:                            ;   in Loop: Header=BB195_9 Depth=1
	s_delay_alu instid0(SALU_CYCLE_1)
	s_or_b32 exec_lo, exec_lo, s29
.LBB195_137:                            ;   in Loop: Header=BB195_9 Depth=1
	s_delay_alu instid0(SALU_CYCLE_1)
	s_or_b32 exec_lo, exec_lo, s28
	global_load_u16 v0, v[72:73], off offset:512
	v_mov_b64_e32 v[98:99], 0
	v_mov_b64_e32 v[100:101], 0
	s_mov_b32 s28, exec_lo
	s_wait_loadcnt 0x0
	v_and_b32_e32 v1, 0xff, v0
	v_and_b32_e32 v0, 0xffff, v0
	s_wait_xcnt 0x0
	s_delay_alu instid0(VALU_DEP_2)
	v_cmpx_ne_u16_e32 0, v1
	s_cbranch_execz .LBB195_145
; %bb.138:                              ;   in Loop: Header=BB195_9 Depth=1
	v_mov_b64_e32 v[100:101], 0x80000000
	v_and_b32_e32 v1, 0xff, v0
	s_mov_b32 s29, exec_lo
	s_delay_alu instid0(VALU_DEP_1)
	v_cmpx_ne_u16_e32 0x80, v1
	s_cbranch_execz .LBB195_144
; %bb.139:                              ;   in Loop: Header=BB195_9 Depth=1
	v_mov_b64_e32 v[100:101], 0x7f800001
	v_and_b32_e32 v2, 0x7f, v0
	s_mov_b32 s30, exec_lo
	s_delay_alu instid0(VALU_DEP_1)
	v_cmpx_ne_u32_e32 0x7f, v2
	s_cbranch_execz .LBB195_143
; %bb.140:                              ;   in Loop: Header=BB195_9 Depth=1
	v_dual_lshrrev_b32 v1, 3, v2 :: v_dual_bitop2_b32 v58, 7, v0 bitop3:0x40
	s_mov_b32 s31, exec_lo
	v_cmpx_gt_u32_e32 8, v2
; %bb.141:                              ;   in Loop: Header=BB195_9 Depth=1
	s_delay_alu instid0(VALU_DEP_2) | instskip(NEXT) | instid1(VALU_DEP_1)
	v_clz_i32_u32_e32 v1, v58
	v_min_u32_e32 v1, 32, v1
	s_delay_alu instid0(VALU_DEP_1) | instskip(NEXT) | instid1(VALU_DEP_1)
	v_subrev_nc_u32_e32 v2, 28, v1
	v_lshlrev_b64_e32 v[2:3], v2, v[58:59]
	s_delay_alu instid0(VALU_DEP_1)
	v_dual_sub_nc_u32 v1, 29, v1 :: v_dual_bitop2_b32 v58, 7, v2 bitop3:0x40
; %bb.142:                              ;   in Loop: Header=BB195_9 Depth=1
	s_or_b32 exec_lo, exec_lo, s31
	s_delay_alu instid0(VALU_DEP_1) | instskip(NEXT) | instid1(VALU_DEP_2)
	v_dual_lshlrev_b32 v2, 24, v0 :: v_dual_lshlrev_b32 v3, 20, v58
	v_lshl_add_u32 v1, v1, 23, 0x3c000000
	s_delay_alu instid0(VALU_DEP_2) | instskip(NEXT) | instid1(VALU_DEP_1)
	v_and_b32_e32 v2, 0x80000000, v2
	v_or3_b32 v58, v3, v2, v1
	s_delay_alu instid0(VALU_DEP_1)
	v_mov_b64_e32 v[100:101], v[58:59]
.LBB195_143:                            ;   in Loop: Header=BB195_9 Depth=1
	s_or_b32 exec_lo, exec_lo, s30
.LBB195_144:                            ;   in Loop: Header=BB195_9 Depth=1
	s_delay_alu instid0(SALU_CYCLE_1)
	s_or_b32 exec_lo, exec_lo, s29
.LBB195_145:                            ;   in Loop: Header=BB195_9 Depth=1
	s_delay_alu instid0(SALU_CYCLE_1) | instskip(SKIP_2) | instid1(VALU_DEP_1)
	s_or_b32 exec_lo, exec_lo, s28
	v_lshrrev_b16 v1, 8, v0
	s_mov_b32 s28, exec_lo
	v_cmpx_ne_u16_e32 0, v1
	s_cbranch_execz .LBB195_153
; %bb.146:                              ;   in Loop: Header=BB195_9 Depth=1
	v_mov_b64_e32 v[98:99], 0x8000000000000000
	s_mov_b32 s29, exec_lo
	v_cmpx_ne_u16_e32 0x80, v1
	s_cbranch_execz .LBB195_152
; %bb.147:                              ;   in Loop: Header=BB195_9 Depth=1
	v_and_b32_e32 v1, 0xffff, v1
	v_mov_b64_e32 v[98:99], 0x7f80000100000000
	s_mov_b32 s30, exec_lo
	s_delay_alu instid0(VALU_DEP_2) | instskip(NEXT) | instid1(VALU_DEP_1)
	v_and_b32_e32 v2, 0x7f, v1
	v_cmpx_ne_u32_e32 0x7f, v2
	s_cbranch_execz .LBB195_151
; %bb.148:                              ;   in Loop: Header=BB195_9 Depth=1
	v_dual_lshrrev_b32 v1, 3, v2 :: v_dual_bitop2_b32 v58, 7, v1 bitop3:0x40
	s_mov_b32 s31, exec_lo
	v_cmpx_gt_u32_e32 8, v2
; %bb.149:                              ;   in Loop: Header=BB195_9 Depth=1
	s_delay_alu instid0(VALU_DEP_2) | instskip(NEXT) | instid1(VALU_DEP_1)
	v_clz_i32_u32_e32 v1, v58
	v_min_u32_e32 v1, 32, v1
	s_delay_alu instid0(VALU_DEP_1) | instskip(NEXT) | instid1(VALU_DEP_1)
	v_subrev_nc_u32_e32 v2, 28, v1
	v_lshlrev_b64_e32 v[2:3], v2, v[58:59]
	s_delay_alu instid0(VALU_DEP_1)
	v_dual_sub_nc_u32 v1, 29, v1 :: v_dual_bitop2_b32 v58, 7, v2 bitop3:0x40
; %bb.150:                              ;   in Loop: Header=BB195_9 Depth=1
	s_or_b32 exec_lo, exec_lo, s31
	s_delay_alu instid0(VALU_DEP_1) | instskip(NEXT) | instid1(VALU_DEP_2)
	v_dual_lshlrev_b32 v0, 16, v0 :: v_dual_lshlrev_b32 v2, 20, v58
	v_lshl_add_u32 v1, v1, 23, 0x3c000000
	v_mov_b32_e32 v98, v59
	s_delay_alu instid0(VALU_DEP_3) | instskip(NEXT) | instid1(VALU_DEP_1)
	v_and_b32_e32 v0, 0x80000000, v0
	v_or3_b32 v99, v2, v0, v1
.LBB195_151:                            ;   in Loop: Header=BB195_9 Depth=1
	s_or_b32 exec_lo, exec_lo, s30
.LBB195_152:                            ;   in Loop: Header=BB195_9 Depth=1
	s_delay_alu instid0(SALU_CYCLE_1)
	s_or_b32 exec_lo, exec_lo, s29
.LBB195_153:                            ;   in Loop: Header=BB195_9 Depth=1
	s_delay_alu instid0(SALU_CYCLE_1)
	s_or_b32 exec_lo, exec_lo, s28
	global_load_u16 v0, v[72:73], off offset:516
	v_mov_b64_e32 v[102:103], 0
	v_mov_b64_e32 v[104:105], 0
	s_mov_b32 s28, exec_lo
	s_wait_loadcnt 0x0
	v_and_b32_e32 v1, 0xff, v0
	v_and_b32_e32 v0, 0xffff, v0
	s_wait_xcnt 0x0
	s_delay_alu instid0(VALU_DEP_2)
	v_cmpx_ne_u16_e32 0, v1
	s_cbranch_execz .LBB195_161
; %bb.154:                              ;   in Loop: Header=BB195_9 Depth=1
	v_mov_b64_e32 v[104:105], 0x80000000
	v_and_b32_e32 v1, 0xff, v0
	s_mov_b32 s29, exec_lo
	s_delay_alu instid0(VALU_DEP_1)
	v_cmpx_ne_u16_e32 0x80, v1
	s_cbranch_execz .LBB195_160
; %bb.155:                              ;   in Loop: Header=BB195_9 Depth=1
	v_mov_b64_e32 v[104:105], 0x7f800001
	v_and_b32_e32 v2, 0x7f, v0
	s_mov_b32 s30, exec_lo
	s_delay_alu instid0(VALU_DEP_1)
	v_cmpx_ne_u32_e32 0x7f, v2
	s_cbranch_execz .LBB195_159
; %bb.156:                              ;   in Loop: Header=BB195_9 Depth=1
	v_dual_lshrrev_b32 v1, 3, v2 :: v_dual_bitop2_b32 v58, 7, v0 bitop3:0x40
	s_mov_b32 s31, exec_lo
	v_cmpx_gt_u32_e32 8, v2
; %bb.157:                              ;   in Loop: Header=BB195_9 Depth=1
	s_delay_alu instid0(VALU_DEP_2) | instskip(NEXT) | instid1(VALU_DEP_1)
	v_clz_i32_u32_e32 v1, v58
	v_min_u32_e32 v1, 32, v1
	s_delay_alu instid0(VALU_DEP_1) | instskip(NEXT) | instid1(VALU_DEP_1)
	v_subrev_nc_u32_e32 v2, 28, v1
	v_lshlrev_b64_e32 v[2:3], v2, v[58:59]
	s_delay_alu instid0(VALU_DEP_1)
	v_dual_sub_nc_u32 v1, 29, v1 :: v_dual_bitop2_b32 v58, 7, v2 bitop3:0x40
; %bb.158:                              ;   in Loop: Header=BB195_9 Depth=1
	s_or_b32 exec_lo, exec_lo, s31
	s_delay_alu instid0(VALU_DEP_1) | instskip(NEXT) | instid1(VALU_DEP_2)
	v_dual_lshlrev_b32 v2, 24, v0 :: v_dual_lshlrev_b32 v3, 20, v58
	v_lshl_add_u32 v1, v1, 23, 0x3c000000
	s_delay_alu instid0(VALU_DEP_2) | instskip(NEXT) | instid1(VALU_DEP_1)
	v_and_b32_e32 v2, 0x80000000, v2
	v_or3_b32 v58, v3, v2, v1
	s_delay_alu instid0(VALU_DEP_1)
	v_mov_b64_e32 v[104:105], v[58:59]
.LBB195_159:                            ;   in Loop: Header=BB195_9 Depth=1
	s_or_b32 exec_lo, exec_lo, s30
.LBB195_160:                            ;   in Loop: Header=BB195_9 Depth=1
	s_delay_alu instid0(SALU_CYCLE_1)
	s_or_b32 exec_lo, exec_lo, s29
.LBB195_161:                            ;   in Loop: Header=BB195_9 Depth=1
	s_delay_alu instid0(SALU_CYCLE_1) | instskip(SKIP_2) | instid1(VALU_DEP_1)
	s_or_b32 exec_lo, exec_lo, s28
	v_lshrrev_b16 v1, 8, v0
	s_mov_b32 s28, exec_lo
	v_cmpx_ne_u16_e32 0, v1
	s_cbranch_execz .LBB195_169
; %bb.162:                              ;   in Loop: Header=BB195_9 Depth=1
	v_mov_b64_e32 v[102:103], 0x8000000000000000
	s_mov_b32 s29, exec_lo
	v_cmpx_ne_u16_e32 0x80, v1
	s_cbranch_execz .LBB195_168
; %bb.163:                              ;   in Loop: Header=BB195_9 Depth=1
	v_and_b32_e32 v1, 0xffff, v1
	v_mov_b64_e32 v[102:103], 0x7f80000100000000
	s_mov_b32 s30, exec_lo
	s_delay_alu instid0(VALU_DEP_2) | instskip(NEXT) | instid1(VALU_DEP_1)
	v_and_b32_e32 v2, 0x7f, v1
	v_cmpx_ne_u32_e32 0x7f, v2
	s_cbranch_execz .LBB195_167
; %bb.164:                              ;   in Loop: Header=BB195_9 Depth=1
	v_dual_lshrrev_b32 v1, 3, v2 :: v_dual_bitop2_b32 v58, 7, v1 bitop3:0x40
	s_mov_b32 s31, exec_lo
	v_cmpx_gt_u32_e32 8, v2
; %bb.165:                              ;   in Loop: Header=BB195_9 Depth=1
	s_delay_alu instid0(VALU_DEP_2) | instskip(NEXT) | instid1(VALU_DEP_1)
	v_clz_i32_u32_e32 v1, v58
	v_min_u32_e32 v1, 32, v1
	s_delay_alu instid0(VALU_DEP_1) | instskip(NEXT) | instid1(VALU_DEP_1)
	v_subrev_nc_u32_e32 v2, 28, v1
	v_lshlrev_b64_e32 v[2:3], v2, v[58:59]
	s_delay_alu instid0(VALU_DEP_1)
	v_dual_sub_nc_u32 v1, 29, v1 :: v_dual_bitop2_b32 v58, 7, v2 bitop3:0x40
; %bb.166:                              ;   in Loop: Header=BB195_9 Depth=1
	s_or_b32 exec_lo, exec_lo, s31
	s_delay_alu instid0(VALU_DEP_1) | instskip(NEXT) | instid1(VALU_DEP_2)
	v_dual_lshlrev_b32 v0, 16, v0 :: v_dual_lshlrev_b32 v2, 20, v58
	v_lshl_add_u32 v1, v1, 23, 0x3c000000
	v_mov_b32_e32 v102, v59
	s_delay_alu instid0(VALU_DEP_3) | instskip(NEXT) | instid1(VALU_DEP_1)
	v_and_b32_e32 v0, 0x80000000, v0
	v_or3_b32 v103, v2, v0, v1
.LBB195_167:                            ;   in Loop: Header=BB195_9 Depth=1
	s_or_b32 exec_lo, exec_lo, s30
.LBB195_168:                            ;   in Loop: Header=BB195_9 Depth=1
	s_delay_alu instid0(SALU_CYCLE_1)
	s_or_b32 exec_lo, exec_lo, s29
.LBB195_169:                            ;   in Loop: Header=BB195_9 Depth=1
	s_delay_alu instid0(SALU_CYCLE_1)
	s_or_b32 exec_lo, exec_lo, s28
	global_load_u16 v0, v[72:73], off offset:520
	v_mov_b64_e32 v[106:107], 0
	v_mov_b64_e32 v[108:109], 0
	s_mov_b32 s28, exec_lo
	s_wait_loadcnt 0x0
	v_and_b32_e32 v1, 0xff, v0
	v_and_b32_e32 v0, 0xffff, v0
	s_wait_xcnt 0x0
	s_delay_alu instid0(VALU_DEP_2)
	v_cmpx_ne_u16_e32 0, v1
	s_cbranch_execz .LBB195_177
; %bb.170:                              ;   in Loop: Header=BB195_9 Depth=1
	v_mov_b64_e32 v[108:109], 0x80000000
	v_and_b32_e32 v1, 0xff, v0
	s_mov_b32 s29, exec_lo
	s_delay_alu instid0(VALU_DEP_1)
	v_cmpx_ne_u16_e32 0x80, v1
	s_cbranch_execz .LBB195_176
; %bb.171:                              ;   in Loop: Header=BB195_9 Depth=1
	v_mov_b64_e32 v[108:109], 0x7f800001
	v_and_b32_e32 v2, 0x7f, v0
	s_mov_b32 s30, exec_lo
	s_delay_alu instid0(VALU_DEP_1)
	v_cmpx_ne_u32_e32 0x7f, v2
	s_cbranch_execz .LBB195_175
; %bb.172:                              ;   in Loop: Header=BB195_9 Depth=1
	v_dual_lshrrev_b32 v1, 3, v2 :: v_dual_bitop2_b32 v58, 7, v0 bitop3:0x40
	s_mov_b32 s31, exec_lo
	v_cmpx_gt_u32_e32 8, v2
; %bb.173:                              ;   in Loop: Header=BB195_9 Depth=1
	s_delay_alu instid0(VALU_DEP_2) | instskip(NEXT) | instid1(VALU_DEP_1)
	v_clz_i32_u32_e32 v1, v58
	v_min_u32_e32 v1, 32, v1
	s_delay_alu instid0(VALU_DEP_1) | instskip(NEXT) | instid1(VALU_DEP_1)
	v_subrev_nc_u32_e32 v2, 28, v1
	v_lshlrev_b64_e32 v[2:3], v2, v[58:59]
	s_delay_alu instid0(VALU_DEP_1)
	v_dual_sub_nc_u32 v1, 29, v1 :: v_dual_bitop2_b32 v58, 7, v2 bitop3:0x40
; %bb.174:                              ;   in Loop: Header=BB195_9 Depth=1
	s_or_b32 exec_lo, exec_lo, s31
	s_delay_alu instid0(VALU_DEP_1) | instskip(NEXT) | instid1(VALU_DEP_2)
	v_dual_lshlrev_b32 v2, 24, v0 :: v_dual_lshlrev_b32 v3, 20, v58
	v_lshl_add_u32 v1, v1, 23, 0x3c000000
	s_delay_alu instid0(VALU_DEP_2) | instskip(NEXT) | instid1(VALU_DEP_1)
	v_and_b32_e32 v2, 0x80000000, v2
	v_or3_b32 v58, v3, v2, v1
	s_delay_alu instid0(VALU_DEP_1)
	v_mov_b64_e32 v[108:109], v[58:59]
.LBB195_175:                            ;   in Loop: Header=BB195_9 Depth=1
	s_or_b32 exec_lo, exec_lo, s30
.LBB195_176:                            ;   in Loop: Header=BB195_9 Depth=1
	s_delay_alu instid0(SALU_CYCLE_1)
	s_or_b32 exec_lo, exec_lo, s29
.LBB195_177:                            ;   in Loop: Header=BB195_9 Depth=1
	s_delay_alu instid0(SALU_CYCLE_1) | instskip(SKIP_2) | instid1(VALU_DEP_1)
	s_or_b32 exec_lo, exec_lo, s28
	v_lshrrev_b16 v1, 8, v0
	s_mov_b32 s28, exec_lo
	v_cmpx_ne_u16_e32 0, v1
	s_cbranch_execz .LBB195_185
; %bb.178:                              ;   in Loop: Header=BB195_9 Depth=1
	v_mov_b64_e32 v[106:107], 0x8000000000000000
	s_mov_b32 s29, exec_lo
	v_cmpx_ne_u16_e32 0x80, v1
	s_cbranch_execz .LBB195_184
; %bb.179:                              ;   in Loop: Header=BB195_9 Depth=1
	v_and_b32_e32 v1, 0xffff, v1
	v_mov_b64_e32 v[106:107], 0x7f80000100000000
	s_mov_b32 s30, exec_lo
	s_delay_alu instid0(VALU_DEP_2) | instskip(NEXT) | instid1(VALU_DEP_1)
	v_and_b32_e32 v2, 0x7f, v1
	v_cmpx_ne_u32_e32 0x7f, v2
	s_cbranch_execz .LBB195_183
; %bb.180:                              ;   in Loop: Header=BB195_9 Depth=1
	v_dual_lshrrev_b32 v1, 3, v2 :: v_dual_bitop2_b32 v58, 7, v1 bitop3:0x40
	s_mov_b32 s31, exec_lo
	v_cmpx_gt_u32_e32 8, v2
; %bb.181:                              ;   in Loop: Header=BB195_9 Depth=1
	s_delay_alu instid0(VALU_DEP_2) | instskip(NEXT) | instid1(VALU_DEP_1)
	v_clz_i32_u32_e32 v1, v58
	v_min_u32_e32 v1, 32, v1
	s_delay_alu instid0(VALU_DEP_1) | instskip(NEXT) | instid1(VALU_DEP_1)
	v_subrev_nc_u32_e32 v2, 28, v1
	v_lshlrev_b64_e32 v[2:3], v2, v[58:59]
	s_delay_alu instid0(VALU_DEP_1)
	v_dual_sub_nc_u32 v1, 29, v1 :: v_dual_bitop2_b32 v58, 7, v2 bitop3:0x40
; %bb.182:                              ;   in Loop: Header=BB195_9 Depth=1
	s_or_b32 exec_lo, exec_lo, s31
	s_delay_alu instid0(VALU_DEP_1) | instskip(NEXT) | instid1(VALU_DEP_2)
	v_dual_lshlrev_b32 v0, 16, v0 :: v_dual_lshlrev_b32 v2, 20, v58
	v_lshl_add_u32 v1, v1, 23, 0x3c000000
	v_mov_b32_e32 v106, v59
	s_delay_alu instid0(VALU_DEP_3) | instskip(NEXT) | instid1(VALU_DEP_1)
	v_and_b32_e32 v0, 0x80000000, v0
	v_or3_b32 v107, v2, v0, v1
.LBB195_183:                            ;   in Loop: Header=BB195_9 Depth=1
	s_or_b32 exec_lo, exec_lo, s30
.LBB195_184:                            ;   in Loop: Header=BB195_9 Depth=1
	s_delay_alu instid0(SALU_CYCLE_1)
	s_or_b32 exec_lo, exec_lo, s29
.LBB195_185:                            ;   in Loop: Header=BB195_9 Depth=1
	s_delay_alu instid0(SALU_CYCLE_1)
	s_or_b32 exec_lo, exec_lo, s28
	global_load_u16 v0, v[72:73], off offset:524
	v_mov_b64_e32 v[110:111], 0
	v_mov_b64_e32 v[112:113], 0
	s_mov_b32 s28, exec_lo
	s_wait_loadcnt 0x0
	v_and_b32_e32 v1, 0xff, v0
	v_and_b32_e32 v0, 0xffff, v0
	s_wait_xcnt 0x0
	s_delay_alu instid0(VALU_DEP_2)
	v_cmpx_ne_u16_e32 0, v1
	s_cbranch_execz .LBB195_193
; %bb.186:                              ;   in Loop: Header=BB195_9 Depth=1
	v_mov_b64_e32 v[112:113], 0x80000000
	v_and_b32_e32 v1, 0xff, v0
	s_mov_b32 s29, exec_lo
	s_delay_alu instid0(VALU_DEP_1)
	v_cmpx_ne_u16_e32 0x80, v1
	s_cbranch_execz .LBB195_192
; %bb.187:                              ;   in Loop: Header=BB195_9 Depth=1
	v_mov_b64_e32 v[112:113], 0x7f800001
	v_and_b32_e32 v2, 0x7f, v0
	s_mov_b32 s30, exec_lo
	s_delay_alu instid0(VALU_DEP_1)
	v_cmpx_ne_u32_e32 0x7f, v2
	s_cbranch_execz .LBB195_191
; %bb.188:                              ;   in Loop: Header=BB195_9 Depth=1
	v_dual_lshrrev_b32 v1, 3, v2 :: v_dual_bitop2_b32 v58, 7, v0 bitop3:0x40
	s_mov_b32 s31, exec_lo
	v_cmpx_gt_u32_e32 8, v2
; %bb.189:                              ;   in Loop: Header=BB195_9 Depth=1
	s_delay_alu instid0(VALU_DEP_2) | instskip(NEXT) | instid1(VALU_DEP_1)
	v_clz_i32_u32_e32 v1, v58
	v_min_u32_e32 v1, 32, v1
	s_delay_alu instid0(VALU_DEP_1) | instskip(NEXT) | instid1(VALU_DEP_1)
	v_subrev_nc_u32_e32 v2, 28, v1
	v_lshlrev_b64_e32 v[2:3], v2, v[58:59]
	s_delay_alu instid0(VALU_DEP_1)
	v_dual_sub_nc_u32 v1, 29, v1 :: v_dual_bitop2_b32 v58, 7, v2 bitop3:0x40
; %bb.190:                              ;   in Loop: Header=BB195_9 Depth=1
	s_or_b32 exec_lo, exec_lo, s31
	s_delay_alu instid0(VALU_DEP_1) | instskip(NEXT) | instid1(VALU_DEP_2)
	v_dual_lshlrev_b32 v2, 24, v0 :: v_dual_lshlrev_b32 v3, 20, v58
	v_lshl_add_u32 v1, v1, 23, 0x3c000000
	s_delay_alu instid0(VALU_DEP_2) | instskip(NEXT) | instid1(VALU_DEP_1)
	v_and_b32_e32 v2, 0x80000000, v2
	v_or3_b32 v58, v3, v2, v1
	s_delay_alu instid0(VALU_DEP_1)
	v_mov_b64_e32 v[112:113], v[58:59]
.LBB195_191:                            ;   in Loop: Header=BB195_9 Depth=1
	s_or_b32 exec_lo, exec_lo, s30
.LBB195_192:                            ;   in Loop: Header=BB195_9 Depth=1
	s_delay_alu instid0(SALU_CYCLE_1)
	s_or_b32 exec_lo, exec_lo, s29
.LBB195_193:                            ;   in Loop: Header=BB195_9 Depth=1
	s_delay_alu instid0(SALU_CYCLE_1) | instskip(SKIP_2) | instid1(VALU_DEP_1)
	s_or_b32 exec_lo, exec_lo, s28
	v_lshrrev_b16 v1, 8, v0
	s_mov_b32 s28, exec_lo
	v_cmpx_ne_u16_e32 0, v1
	s_cbranch_execz .LBB195_201
; %bb.194:                              ;   in Loop: Header=BB195_9 Depth=1
	v_mov_b64_e32 v[110:111], 0x8000000000000000
	s_mov_b32 s29, exec_lo
	v_cmpx_ne_u16_e32 0x80, v1
	s_cbranch_execz .LBB195_200
; %bb.195:                              ;   in Loop: Header=BB195_9 Depth=1
	v_and_b32_e32 v1, 0xffff, v1
	v_mov_b64_e32 v[110:111], 0x7f80000100000000
	s_mov_b32 s30, exec_lo
	s_delay_alu instid0(VALU_DEP_2) | instskip(NEXT) | instid1(VALU_DEP_1)
	v_and_b32_e32 v2, 0x7f, v1
	v_cmpx_ne_u32_e32 0x7f, v2
	s_cbranch_execz .LBB195_199
; %bb.196:                              ;   in Loop: Header=BB195_9 Depth=1
	v_dual_lshrrev_b32 v1, 3, v2 :: v_dual_bitop2_b32 v58, 7, v1 bitop3:0x40
	s_mov_b32 s31, exec_lo
	v_cmpx_gt_u32_e32 8, v2
; %bb.197:                              ;   in Loop: Header=BB195_9 Depth=1
	s_delay_alu instid0(VALU_DEP_2) | instskip(NEXT) | instid1(VALU_DEP_1)
	v_clz_i32_u32_e32 v1, v58
	v_min_u32_e32 v1, 32, v1
	s_delay_alu instid0(VALU_DEP_1) | instskip(NEXT) | instid1(VALU_DEP_1)
	v_subrev_nc_u32_e32 v2, 28, v1
	v_lshlrev_b64_e32 v[2:3], v2, v[58:59]
	s_delay_alu instid0(VALU_DEP_1)
	v_dual_sub_nc_u32 v1, 29, v1 :: v_dual_bitop2_b32 v58, 7, v2 bitop3:0x40
; %bb.198:                              ;   in Loop: Header=BB195_9 Depth=1
	s_or_b32 exec_lo, exec_lo, s31
	s_delay_alu instid0(VALU_DEP_1) | instskip(NEXT) | instid1(VALU_DEP_2)
	v_dual_lshlrev_b32 v0, 16, v0 :: v_dual_lshlrev_b32 v2, 20, v58
	v_lshl_add_u32 v1, v1, 23, 0x3c000000
	v_mov_b32_e32 v110, v59
	s_delay_alu instid0(VALU_DEP_3) | instskip(NEXT) | instid1(VALU_DEP_1)
	v_and_b32_e32 v0, 0x80000000, v0
	v_or3_b32 v111, v2, v0, v1
.LBB195_199:                            ;   in Loop: Header=BB195_9 Depth=1
	s_or_b32 exec_lo, exec_lo, s30
.LBB195_200:                            ;   in Loop: Header=BB195_9 Depth=1
	s_delay_alu instid0(SALU_CYCLE_1)
	s_or_b32 exec_lo, exec_lo, s29
.LBB195_201:                            ;   in Loop: Header=BB195_9 Depth=1
	s_delay_alu instid0(SALU_CYCLE_1)
	s_or_b32 exec_lo, exec_lo, s28
	global_load_u16 v1, v[72:73], off offset:768
	v_mov_b64_e32 v[114:115], 0
	v_mov_b64_e32 v[116:117], 0
	s_mov_b32 s28, exec_lo
	s_wait_loadcnt 0x0
	v_and_b32_e32 v0, 0xffff, v1
	v_and_b32_e32 v1, 0xff, v1
	s_wait_xcnt 0x0
	s_delay_alu instid0(VALU_DEP_1)
	v_cmpx_ne_u16_e32 0, v1
	s_cbranch_execz .LBB195_209
; %bb.202:                              ;   in Loop: Header=BB195_9 Depth=1
	v_mov_b64_e32 v[116:117], 0x80000000
	v_and_b32_e32 v1, 0xff, v0
	s_mov_b32 s29, exec_lo
	s_delay_alu instid0(VALU_DEP_1)
	v_cmpx_ne_u16_e32 0x80, v1
	s_cbranch_execz .LBB195_208
; %bb.203:                              ;   in Loop: Header=BB195_9 Depth=1
	v_mov_b64_e32 v[116:117], 0x7f800001
	v_and_b32_e32 v2, 0x7f, v0
	s_mov_b32 s30, exec_lo
	s_delay_alu instid0(VALU_DEP_1)
	v_cmpx_ne_u32_e32 0x7f, v2
	s_cbranch_execz .LBB195_207
; %bb.204:                              ;   in Loop: Header=BB195_9 Depth=1
	v_dual_lshrrev_b32 v1, 3, v2 :: v_dual_bitop2_b32 v58, 7, v0 bitop3:0x40
	s_mov_b32 s31, exec_lo
	v_cmpx_gt_u32_e32 8, v2
; %bb.205:                              ;   in Loop: Header=BB195_9 Depth=1
	s_delay_alu instid0(VALU_DEP_2) | instskip(NEXT) | instid1(VALU_DEP_1)
	v_clz_i32_u32_e32 v1, v58
	v_min_u32_e32 v1, 32, v1
	s_delay_alu instid0(VALU_DEP_1) | instskip(NEXT) | instid1(VALU_DEP_1)
	v_subrev_nc_u32_e32 v2, 28, v1
	v_lshlrev_b64_e32 v[2:3], v2, v[58:59]
	s_delay_alu instid0(VALU_DEP_1)
	v_dual_sub_nc_u32 v1, 29, v1 :: v_dual_bitop2_b32 v58, 7, v2 bitop3:0x40
; %bb.206:                              ;   in Loop: Header=BB195_9 Depth=1
	s_or_b32 exec_lo, exec_lo, s31
	s_delay_alu instid0(VALU_DEP_1) | instskip(NEXT) | instid1(VALU_DEP_2)
	v_dual_lshlrev_b32 v2, 24, v0 :: v_dual_lshlrev_b32 v3, 20, v58
	v_lshl_add_u32 v1, v1, 23, 0x3c000000
	s_delay_alu instid0(VALU_DEP_2) | instskip(NEXT) | instid1(VALU_DEP_1)
	v_and_b32_e32 v2, 0x80000000, v2
	v_or3_b32 v58, v3, v2, v1
	s_delay_alu instid0(VALU_DEP_1)
	v_mov_b64_e32 v[116:117], v[58:59]
.LBB195_207:                            ;   in Loop: Header=BB195_9 Depth=1
	s_or_b32 exec_lo, exec_lo, s30
.LBB195_208:                            ;   in Loop: Header=BB195_9 Depth=1
	s_delay_alu instid0(SALU_CYCLE_1)
	s_or_b32 exec_lo, exec_lo, s29
.LBB195_209:                            ;   in Loop: Header=BB195_9 Depth=1
	s_delay_alu instid0(SALU_CYCLE_1) | instskip(SKIP_2) | instid1(VALU_DEP_1)
	s_or_b32 exec_lo, exec_lo, s28
	v_lshrrev_b16 v1, 8, v0
	s_mov_b32 s28, exec_lo
	v_cmpx_ne_u16_e32 0, v1
	s_cbranch_execz .LBB195_217
; %bb.210:                              ;   in Loop: Header=BB195_9 Depth=1
	v_mov_b64_e32 v[114:115], 0x8000000000000000
	s_mov_b32 s29, exec_lo
	v_cmpx_ne_u16_e32 0x80, v1
	s_cbranch_execz .LBB195_216
; %bb.211:                              ;   in Loop: Header=BB195_9 Depth=1
	v_and_b32_e32 v1, 0xffff, v1
	v_mov_b64_e32 v[114:115], 0x7f80000100000000
	s_mov_b32 s30, exec_lo
	s_delay_alu instid0(VALU_DEP_2) | instskip(NEXT) | instid1(VALU_DEP_1)
	v_and_b32_e32 v2, 0x7f, v1
	v_cmpx_ne_u32_e32 0x7f, v2
	s_cbranch_execz .LBB195_215
; %bb.212:                              ;   in Loop: Header=BB195_9 Depth=1
	v_dual_lshrrev_b32 v1, 3, v2 :: v_dual_bitop2_b32 v58, 7, v1 bitop3:0x40
	s_mov_b32 s31, exec_lo
	v_cmpx_gt_u32_e32 8, v2
; %bb.213:                              ;   in Loop: Header=BB195_9 Depth=1
	s_delay_alu instid0(VALU_DEP_2) | instskip(NEXT) | instid1(VALU_DEP_1)
	v_clz_i32_u32_e32 v1, v58
	v_min_u32_e32 v1, 32, v1
	s_delay_alu instid0(VALU_DEP_1) | instskip(NEXT) | instid1(VALU_DEP_1)
	v_subrev_nc_u32_e32 v2, 28, v1
	v_lshlrev_b64_e32 v[2:3], v2, v[58:59]
	s_delay_alu instid0(VALU_DEP_1)
	v_dual_sub_nc_u32 v1, 29, v1 :: v_dual_bitop2_b32 v58, 7, v2 bitop3:0x40
; %bb.214:                              ;   in Loop: Header=BB195_9 Depth=1
	s_or_b32 exec_lo, exec_lo, s31
	s_delay_alu instid0(VALU_DEP_1) | instskip(NEXT) | instid1(VALU_DEP_2)
	v_dual_lshlrev_b32 v0, 16, v0 :: v_dual_lshlrev_b32 v2, 20, v58
	v_lshl_add_u32 v1, v1, 23, 0x3c000000
	v_mov_b32_e32 v114, v59
	s_delay_alu instid0(VALU_DEP_3) | instskip(NEXT) | instid1(VALU_DEP_1)
	v_and_b32_e32 v0, 0x80000000, v0
	v_or3_b32 v115, v2, v0, v1
.LBB195_215:                            ;   in Loop: Header=BB195_9 Depth=1
	s_or_b32 exec_lo, exec_lo, s30
.LBB195_216:                            ;   in Loop: Header=BB195_9 Depth=1
	s_delay_alu instid0(SALU_CYCLE_1)
	s_or_b32 exec_lo, exec_lo, s29
.LBB195_217:                            ;   in Loop: Header=BB195_9 Depth=1
	s_delay_alu instid0(SALU_CYCLE_1)
	s_or_b32 exec_lo, exec_lo, s28
	global_load_u16 v1, v[72:73], off offset:772
	v_mov_b64_e32 v[118:119], 0
	v_mov_b64_e32 v[120:121], 0
	s_mov_b32 s28, exec_lo
	s_wait_loadcnt 0x0
	v_and_b32_e32 v0, 0xffff, v1
	v_and_b32_e32 v1, 0xff, v1
	s_wait_xcnt 0x0
	s_delay_alu instid0(VALU_DEP_1)
	v_cmpx_ne_u16_e32 0, v1
	s_cbranch_execz .LBB195_225
; %bb.218:                              ;   in Loop: Header=BB195_9 Depth=1
	v_mov_b64_e32 v[120:121], 0x80000000
	v_and_b32_e32 v1, 0xff, v0
	s_mov_b32 s29, exec_lo
	s_delay_alu instid0(VALU_DEP_1)
	v_cmpx_ne_u16_e32 0x80, v1
	s_cbranch_execz .LBB195_224
; %bb.219:                              ;   in Loop: Header=BB195_9 Depth=1
	v_mov_b64_e32 v[120:121], 0x7f800001
	v_and_b32_e32 v2, 0x7f, v0
	s_mov_b32 s30, exec_lo
	s_delay_alu instid0(VALU_DEP_1)
	v_cmpx_ne_u32_e32 0x7f, v2
	s_cbranch_execz .LBB195_223
; %bb.220:                              ;   in Loop: Header=BB195_9 Depth=1
	v_dual_lshrrev_b32 v1, 3, v2 :: v_dual_bitop2_b32 v58, 7, v0 bitop3:0x40
	s_mov_b32 s31, exec_lo
	v_cmpx_gt_u32_e32 8, v2
; %bb.221:                              ;   in Loop: Header=BB195_9 Depth=1
	s_delay_alu instid0(VALU_DEP_2) | instskip(NEXT) | instid1(VALU_DEP_1)
	v_clz_i32_u32_e32 v1, v58
	v_min_u32_e32 v1, 32, v1
	s_delay_alu instid0(VALU_DEP_1) | instskip(NEXT) | instid1(VALU_DEP_1)
	v_subrev_nc_u32_e32 v2, 28, v1
	v_lshlrev_b64_e32 v[2:3], v2, v[58:59]
	s_delay_alu instid0(VALU_DEP_1)
	v_dual_sub_nc_u32 v1, 29, v1 :: v_dual_bitop2_b32 v58, 7, v2 bitop3:0x40
; %bb.222:                              ;   in Loop: Header=BB195_9 Depth=1
	s_or_b32 exec_lo, exec_lo, s31
	s_delay_alu instid0(VALU_DEP_1) | instskip(NEXT) | instid1(VALU_DEP_2)
	v_dual_lshlrev_b32 v2, 24, v0 :: v_dual_lshlrev_b32 v3, 20, v58
	v_lshl_add_u32 v1, v1, 23, 0x3c000000
	s_delay_alu instid0(VALU_DEP_2) | instskip(NEXT) | instid1(VALU_DEP_1)
	v_and_b32_e32 v2, 0x80000000, v2
	v_or3_b32 v58, v3, v2, v1
	s_delay_alu instid0(VALU_DEP_1)
	v_mov_b64_e32 v[120:121], v[58:59]
.LBB195_223:                            ;   in Loop: Header=BB195_9 Depth=1
	s_or_b32 exec_lo, exec_lo, s30
.LBB195_224:                            ;   in Loop: Header=BB195_9 Depth=1
	s_delay_alu instid0(SALU_CYCLE_1)
	s_or_b32 exec_lo, exec_lo, s29
.LBB195_225:                            ;   in Loop: Header=BB195_9 Depth=1
	s_delay_alu instid0(SALU_CYCLE_1) | instskip(SKIP_2) | instid1(VALU_DEP_1)
	s_or_b32 exec_lo, exec_lo, s28
	v_lshrrev_b16 v1, 8, v0
	s_mov_b32 s28, exec_lo
	v_cmpx_ne_u16_e32 0, v1
	s_cbranch_execz .LBB195_233
; %bb.226:                              ;   in Loop: Header=BB195_9 Depth=1
	v_mov_b64_e32 v[118:119], 0x8000000000000000
	s_mov_b32 s29, exec_lo
	v_cmpx_ne_u16_e32 0x80, v1
	s_cbranch_execz .LBB195_232
; %bb.227:                              ;   in Loop: Header=BB195_9 Depth=1
	v_and_b32_e32 v1, 0xffff, v1
	v_mov_b64_e32 v[118:119], 0x7f80000100000000
	s_mov_b32 s30, exec_lo
	s_delay_alu instid0(VALU_DEP_2) | instskip(NEXT) | instid1(VALU_DEP_1)
	v_and_b32_e32 v2, 0x7f, v1
	v_cmpx_ne_u32_e32 0x7f, v2
	s_cbranch_execz .LBB195_231
; %bb.228:                              ;   in Loop: Header=BB195_9 Depth=1
	v_dual_lshrrev_b32 v1, 3, v2 :: v_dual_bitop2_b32 v58, 7, v1 bitop3:0x40
	s_mov_b32 s31, exec_lo
	v_cmpx_gt_u32_e32 8, v2
; %bb.229:                              ;   in Loop: Header=BB195_9 Depth=1
	s_delay_alu instid0(VALU_DEP_2) | instskip(NEXT) | instid1(VALU_DEP_1)
	v_clz_i32_u32_e32 v1, v58
	v_min_u32_e32 v1, 32, v1
	s_delay_alu instid0(VALU_DEP_1) | instskip(NEXT) | instid1(VALU_DEP_1)
	v_subrev_nc_u32_e32 v2, 28, v1
	v_lshlrev_b64_e32 v[2:3], v2, v[58:59]
	s_delay_alu instid0(VALU_DEP_1)
	v_dual_sub_nc_u32 v1, 29, v1 :: v_dual_bitop2_b32 v58, 7, v2 bitop3:0x40
; %bb.230:                              ;   in Loop: Header=BB195_9 Depth=1
	s_or_b32 exec_lo, exec_lo, s31
	s_delay_alu instid0(VALU_DEP_1) | instskip(NEXT) | instid1(VALU_DEP_2)
	v_dual_lshlrev_b32 v0, 16, v0 :: v_dual_lshlrev_b32 v2, 20, v58
	v_lshl_add_u32 v1, v1, 23, 0x3c000000
	v_mov_b32_e32 v118, v59
	s_delay_alu instid0(VALU_DEP_3) | instskip(NEXT) | instid1(VALU_DEP_1)
	v_and_b32_e32 v0, 0x80000000, v0
	v_or3_b32 v119, v2, v0, v1
.LBB195_231:                            ;   in Loop: Header=BB195_9 Depth=1
	s_or_b32 exec_lo, exec_lo, s30
.LBB195_232:                            ;   in Loop: Header=BB195_9 Depth=1
	s_delay_alu instid0(SALU_CYCLE_1)
	s_or_b32 exec_lo, exec_lo, s29
.LBB195_233:                            ;   in Loop: Header=BB195_9 Depth=1
	s_delay_alu instid0(SALU_CYCLE_1)
	s_or_b32 exec_lo, exec_lo, s28
	global_load_u16 v1, v[72:73], off offset:776
	v_mov_b64_e32 v[122:123], 0
	v_mov_b64_e32 v[124:125], 0
	s_mov_b32 s28, exec_lo
	s_wait_loadcnt 0x0
	v_and_b32_e32 v0, 0xffff, v1
	v_and_b32_e32 v1, 0xff, v1
	s_wait_xcnt 0x0
	s_delay_alu instid0(VALU_DEP_1)
	v_cmpx_ne_u16_e32 0, v1
	s_cbranch_execz .LBB195_241
; %bb.234:                              ;   in Loop: Header=BB195_9 Depth=1
	v_mov_b64_e32 v[124:125], 0x80000000
	v_and_b32_e32 v1, 0xff, v0
	s_mov_b32 s29, exec_lo
	s_delay_alu instid0(VALU_DEP_1)
	v_cmpx_ne_u16_e32 0x80, v1
	s_cbranch_execz .LBB195_240
; %bb.235:                              ;   in Loop: Header=BB195_9 Depth=1
	v_mov_b64_e32 v[124:125], 0x7f800001
	v_and_b32_e32 v2, 0x7f, v0
	s_mov_b32 s30, exec_lo
	s_delay_alu instid0(VALU_DEP_1)
	v_cmpx_ne_u32_e32 0x7f, v2
	s_cbranch_execz .LBB195_239
; %bb.236:                              ;   in Loop: Header=BB195_9 Depth=1
	v_dual_lshrrev_b32 v1, 3, v2 :: v_dual_bitop2_b32 v58, 7, v0 bitop3:0x40
	s_mov_b32 s31, exec_lo
	v_cmpx_gt_u32_e32 8, v2
; %bb.237:                              ;   in Loop: Header=BB195_9 Depth=1
	s_delay_alu instid0(VALU_DEP_2) | instskip(NEXT) | instid1(VALU_DEP_1)
	v_clz_i32_u32_e32 v1, v58
	v_min_u32_e32 v1, 32, v1
	s_delay_alu instid0(VALU_DEP_1) | instskip(NEXT) | instid1(VALU_DEP_1)
	v_subrev_nc_u32_e32 v2, 28, v1
	v_lshlrev_b64_e32 v[2:3], v2, v[58:59]
	s_delay_alu instid0(VALU_DEP_1)
	v_dual_sub_nc_u32 v1, 29, v1 :: v_dual_bitop2_b32 v58, 7, v2 bitop3:0x40
; %bb.238:                              ;   in Loop: Header=BB195_9 Depth=1
	s_or_b32 exec_lo, exec_lo, s31
	s_delay_alu instid0(VALU_DEP_1) | instskip(NEXT) | instid1(VALU_DEP_2)
	v_dual_lshlrev_b32 v2, 24, v0 :: v_dual_lshlrev_b32 v3, 20, v58
	v_lshl_add_u32 v1, v1, 23, 0x3c000000
	s_delay_alu instid0(VALU_DEP_2) | instskip(NEXT) | instid1(VALU_DEP_1)
	v_and_b32_e32 v2, 0x80000000, v2
	v_or3_b32 v58, v3, v2, v1
	s_delay_alu instid0(VALU_DEP_1)
	v_mov_b64_e32 v[124:125], v[58:59]
.LBB195_239:                            ;   in Loop: Header=BB195_9 Depth=1
	s_or_b32 exec_lo, exec_lo, s30
.LBB195_240:                            ;   in Loop: Header=BB195_9 Depth=1
	s_delay_alu instid0(SALU_CYCLE_1)
	s_or_b32 exec_lo, exec_lo, s29
.LBB195_241:                            ;   in Loop: Header=BB195_9 Depth=1
	s_delay_alu instid0(SALU_CYCLE_1) | instskip(SKIP_2) | instid1(VALU_DEP_1)
	s_or_b32 exec_lo, exec_lo, s28
	v_lshrrev_b16 v1, 8, v0
	s_mov_b32 s28, exec_lo
	v_cmpx_ne_u16_e32 0, v1
	s_cbranch_execz .LBB195_249
; %bb.242:                              ;   in Loop: Header=BB195_9 Depth=1
	v_mov_b64_e32 v[122:123], 0x8000000000000000
	s_mov_b32 s29, exec_lo
	v_cmpx_ne_u16_e32 0x80, v1
	s_cbranch_execz .LBB195_248
; %bb.243:                              ;   in Loop: Header=BB195_9 Depth=1
	v_and_b32_e32 v1, 0xffff, v1
	v_mov_b64_e32 v[122:123], 0x7f80000100000000
	s_mov_b32 s30, exec_lo
	s_delay_alu instid0(VALU_DEP_2) | instskip(NEXT) | instid1(VALU_DEP_1)
	v_and_b32_e32 v2, 0x7f, v1
	v_cmpx_ne_u32_e32 0x7f, v2
	s_cbranch_execz .LBB195_247
; %bb.244:                              ;   in Loop: Header=BB195_9 Depth=1
	v_dual_lshrrev_b32 v1, 3, v2 :: v_dual_bitop2_b32 v58, 7, v1 bitop3:0x40
	s_mov_b32 s31, exec_lo
	v_cmpx_gt_u32_e32 8, v2
; %bb.245:                              ;   in Loop: Header=BB195_9 Depth=1
	s_delay_alu instid0(VALU_DEP_2) | instskip(NEXT) | instid1(VALU_DEP_1)
	v_clz_i32_u32_e32 v1, v58
	v_min_u32_e32 v1, 32, v1
	s_delay_alu instid0(VALU_DEP_1) | instskip(NEXT) | instid1(VALU_DEP_1)
	v_subrev_nc_u32_e32 v2, 28, v1
	v_lshlrev_b64_e32 v[2:3], v2, v[58:59]
	s_delay_alu instid0(VALU_DEP_1)
	v_dual_sub_nc_u32 v1, 29, v1 :: v_dual_bitop2_b32 v58, 7, v2 bitop3:0x40
; %bb.246:                              ;   in Loop: Header=BB195_9 Depth=1
	s_or_b32 exec_lo, exec_lo, s31
	s_delay_alu instid0(VALU_DEP_1) | instskip(NEXT) | instid1(VALU_DEP_2)
	v_dual_lshlrev_b32 v0, 16, v0 :: v_dual_lshlrev_b32 v2, 20, v58
	v_lshl_add_u32 v1, v1, 23, 0x3c000000
	v_mov_b32_e32 v122, v59
	s_delay_alu instid0(VALU_DEP_3) | instskip(NEXT) | instid1(VALU_DEP_1)
	v_and_b32_e32 v0, 0x80000000, v0
	v_or3_b32 v123, v2, v0, v1
.LBB195_247:                            ;   in Loop: Header=BB195_9 Depth=1
	s_or_b32 exec_lo, exec_lo, s30
.LBB195_248:                            ;   in Loop: Header=BB195_9 Depth=1
	s_delay_alu instid0(SALU_CYCLE_1)
	s_or_b32 exec_lo, exec_lo, s29
.LBB195_249:                            ;   in Loop: Header=BB195_9 Depth=1
	s_delay_alu instid0(SALU_CYCLE_1)
	s_or_b32 exec_lo, exec_lo, s28
	global_load_u16 v1, v[72:73], off offset:780
	v_mov_b64_e32 v[126:127], 0
	v_mov_b64_e32 v[60:61], 0
	s_mov_b32 s28, exec_lo
	s_wait_loadcnt 0x0
	v_and_b32_e32 v0, 0xffff, v1
	v_and_b32_e32 v1, 0xff, v1
	s_wait_xcnt 0x0
	s_delay_alu instid0(VALU_DEP_1)
	v_cmpx_ne_u16_e32 0, v1
	s_cbranch_execz .LBB195_257
; %bb.250:                              ;   in Loop: Header=BB195_9 Depth=1
	v_mov_b64_e32 v[60:61], 0x80000000
	v_and_b32_e32 v1, 0xff, v0
	s_mov_b32 s29, exec_lo
	s_delay_alu instid0(VALU_DEP_1)
	v_cmpx_ne_u16_e32 0x80, v1
	s_cbranch_execz .LBB195_256
; %bb.251:                              ;   in Loop: Header=BB195_9 Depth=1
	v_mov_b64_e32 v[60:61], 0x7f800001
	v_and_b32_e32 v2, 0x7f, v0
	s_mov_b32 s30, exec_lo
	s_delay_alu instid0(VALU_DEP_1)
	v_cmpx_ne_u32_e32 0x7f, v2
	s_cbranch_execz .LBB195_255
; %bb.252:                              ;   in Loop: Header=BB195_9 Depth=1
	v_dual_lshrrev_b32 v1, 3, v2 :: v_dual_bitop2_b32 v58, 7, v0 bitop3:0x40
	s_mov_b32 s31, exec_lo
	v_cmpx_gt_u32_e32 8, v2
; %bb.253:                              ;   in Loop: Header=BB195_9 Depth=1
	s_delay_alu instid0(VALU_DEP_2) | instskip(NEXT) | instid1(VALU_DEP_1)
	v_clz_i32_u32_e32 v1, v58
	v_min_u32_e32 v1, 32, v1
	s_delay_alu instid0(VALU_DEP_1) | instskip(NEXT) | instid1(VALU_DEP_1)
	v_subrev_nc_u32_e32 v2, 28, v1
	v_lshlrev_b64_e32 v[2:3], v2, v[58:59]
	s_delay_alu instid0(VALU_DEP_1)
	v_dual_sub_nc_u32 v1, 29, v1 :: v_dual_bitop2_b32 v58, 7, v2 bitop3:0x40
; %bb.254:                              ;   in Loop: Header=BB195_9 Depth=1
	s_or_b32 exec_lo, exec_lo, s31
	s_delay_alu instid0(VALU_DEP_1) | instskip(NEXT) | instid1(VALU_DEP_2)
	v_dual_lshlrev_b32 v2, 24, v0 :: v_dual_lshlrev_b32 v3, 20, v58
	v_lshl_add_u32 v1, v1, 23, 0x3c000000
	s_delay_alu instid0(VALU_DEP_2) | instskip(NEXT) | instid1(VALU_DEP_1)
	v_and_b32_e32 v2, 0x80000000, v2
	v_or3_b32 v58, v3, v2, v1
	s_delay_alu instid0(VALU_DEP_1)
	v_mov_b64_e32 v[60:61], v[58:59]
.LBB195_255:                            ;   in Loop: Header=BB195_9 Depth=1
	s_or_b32 exec_lo, exec_lo, s30
.LBB195_256:                            ;   in Loop: Header=BB195_9 Depth=1
	s_delay_alu instid0(SALU_CYCLE_1)
	s_or_b32 exec_lo, exec_lo, s29
.LBB195_257:                            ;   in Loop: Header=BB195_9 Depth=1
	s_delay_alu instid0(SALU_CYCLE_1) | instskip(SKIP_2) | instid1(VALU_DEP_1)
	s_or_b32 exec_lo, exec_lo, s28
	v_lshrrev_b16 v1, 8, v0
	s_mov_b32 s28, exec_lo
	v_cmpx_ne_u16_e32 0, v1
	s_cbranch_execz .LBB195_265
; %bb.258:                              ;   in Loop: Header=BB195_9 Depth=1
	v_mov_b64_e32 v[126:127], 0x8000000000000000
	s_mov_b32 s29, exec_lo
	v_cmpx_ne_u16_e32 0x80, v1
	s_cbranch_execz .LBB195_264
; %bb.259:                              ;   in Loop: Header=BB195_9 Depth=1
	v_and_b32_e32 v1, 0xffff, v1
	v_mov_b64_e32 v[126:127], 0x7f80000100000000
	s_mov_b32 s30, exec_lo
	s_delay_alu instid0(VALU_DEP_2) | instskip(NEXT) | instid1(VALU_DEP_1)
	v_and_b32_e32 v2, 0x7f, v1
	v_cmpx_ne_u32_e32 0x7f, v2
	s_cbranch_execz .LBB195_263
; %bb.260:                              ;   in Loop: Header=BB195_9 Depth=1
	v_dual_lshrrev_b32 v1, 3, v2 :: v_dual_bitop2_b32 v58, 7, v1 bitop3:0x40
	s_mov_b32 s31, exec_lo
	v_cmpx_gt_u32_e32 8, v2
; %bb.261:                              ;   in Loop: Header=BB195_9 Depth=1
	s_delay_alu instid0(VALU_DEP_2) | instskip(NEXT) | instid1(VALU_DEP_1)
	v_clz_i32_u32_e32 v1, v58
	v_min_u32_e32 v1, 32, v1
	s_delay_alu instid0(VALU_DEP_1) | instskip(NEXT) | instid1(VALU_DEP_1)
	v_subrev_nc_u32_e32 v2, 28, v1
	v_lshlrev_b64_e32 v[2:3], v2, v[58:59]
	s_delay_alu instid0(VALU_DEP_1)
	v_dual_sub_nc_u32 v1, 29, v1 :: v_dual_bitop2_b32 v58, 7, v2 bitop3:0x40
; %bb.262:                              ;   in Loop: Header=BB195_9 Depth=1
	s_or_b32 exec_lo, exec_lo, s31
	s_delay_alu instid0(VALU_DEP_1) | instskip(NEXT) | instid1(VALU_DEP_2)
	v_dual_lshlrev_b32 v0, 16, v0 :: v_dual_lshlrev_b32 v2, 20, v58
	v_lshl_add_u32 v1, v1, 23, 0x3c000000
	v_mov_b32_e32 v126, v59
	s_delay_alu instid0(VALU_DEP_3) | instskip(NEXT) | instid1(VALU_DEP_1)
	v_and_b32_e32 v0, 0x80000000, v0
	v_or3_b32 v127, v2, v0, v1
.LBB195_263:                            ;   in Loop: Header=BB195_9 Depth=1
	s_or_b32 exec_lo, exec_lo, s30
.LBB195_264:                            ;   in Loop: Header=BB195_9 Depth=1
	s_delay_alu instid0(SALU_CYCLE_1)
	s_or_b32 exec_lo, exec_lo, s29
.LBB195_265:                            ;   in Loop: Header=BB195_9 Depth=1
	s_delay_alu instid0(SALU_CYCLE_1)
	s_or_b32 exec_lo, exec_lo, s28
	global_load_u16 v0, v[72:73], off offset:1024
	v_mov_b64_e32 v[2:3], 0
	s_wait_loadcnt 0x0
	v_and_b32_e32 v4, 0xffff, v0
	v_and_b32_e32 v0, 0xff, v0
	s_delay_alu instid0(VALU_DEP_1)
	v_cmp_ne_u16_e64 s4, 0, v0
	v_mov_b64_e32 v[0:1], 0
	s_wait_xcnt 0x0
	s_and_saveexec_b32 s28, s4
	s_cbranch_execz .LBB195_273
; %bb.266:                              ;   in Loop: Header=BB195_9 Depth=1
	v_and_b32_e32 v2, 0xff, v4
	s_delay_alu instid0(VALU_DEP_1)
	v_cmp_ne_u16_e64 s4, 0x80, v2
	v_mov_b64_e32 v[2:3], 0x80000000
	s_and_saveexec_b32 s29, s4
	s_cbranch_execz .LBB195_272
; %bb.267:                              ;   in Loop: Header=BB195_9 Depth=1
	v_mov_b64_e32 v[2:3], 0x7f800001
	v_and_b32_e32 v5, 0x7f, v4
	s_mov_b32 s30, exec_lo
	s_delay_alu instid0(VALU_DEP_1)
	v_cmpx_ne_u32_e32 0x7f, v5
	s_cbranch_execz .LBB195_271
; %bb.268:                              ;   in Loop: Header=BB195_9 Depth=1
	v_dual_lshrrev_b32 v2, 3, v5 :: v_dual_bitop2_b32 v58, 7, v4 bitop3:0x40
	s_mov_b32 s31, exec_lo
	v_cmpx_gt_u32_e32 8, v5
; %bb.269:                              ;   in Loop: Header=BB195_9 Depth=1
	s_delay_alu instid0(VALU_DEP_2) | instskip(NEXT) | instid1(VALU_DEP_1)
	v_clz_i32_u32_e32 v2, v58
	v_min_u32_e32 v2, 32, v2
	s_delay_alu instid0(VALU_DEP_1) | instskip(SKIP_1) | instid1(VALU_DEP_2)
	v_subrev_nc_u32_e32 v3, 28, v2
	v_sub_nc_u32_e32 v2, 29, v2
	v_lshlrev_b64_e32 v[6:7], v3, v[58:59]
	s_delay_alu instid0(VALU_DEP_1)
	v_and_b32_e32 v58, 7, v6
; %bb.270:                              ;   in Loop: Header=BB195_9 Depth=1
	s_or_b32 exec_lo, exec_lo, s31
	s_delay_alu instid0(VALU_DEP_1) | instskip(SKIP_1) | instid1(VALU_DEP_2)
	v_dual_lshlrev_b32 v3, 24, v4 :: v_dual_lshlrev_b32 v5, 20, v58
	v_lshl_add_u32 v2, v2, 23, 0x3c000000
	v_and_b32_e32 v3, 0x80000000, v3
	s_delay_alu instid0(VALU_DEP_1) | instskip(NEXT) | instid1(VALU_DEP_1)
	v_or3_b32 v58, v5, v3, v2
	v_mov_b64_e32 v[2:3], v[58:59]
.LBB195_271:                            ;   in Loop: Header=BB195_9 Depth=1
	s_or_b32 exec_lo, exec_lo, s30
.LBB195_272:                            ;   in Loop: Header=BB195_9 Depth=1
	s_delay_alu instid0(SALU_CYCLE_1)
	s_or_b32 exec_lo, exec_lo, s29
.LBB195_273:                            ;   in Loop: Header=BB195_9 Depth=1
	s_delay_alu instid0(SALU_CYCLE_1) | instskip(SKIP_2) | instid1(VALU_DEP_1)
	s_or_b32 exec_lo, exec_lo, s28
	v_lshrrev_b16 v5, 8, v4
	s_mov_b32 s28, exec_lo
	v_cmpx_ne_u16_e32 0, v5
	s_cbranch_execz .LBB195_281
; %bb.274:                              ;   in Loop: Header=BB195_9 Depth=1
	v_mov_b64_e32 v[0:1], 0x8000000000000000
	s_mov_b32 s29, exec_lo
	v_cmpx_ne_u16_e32 0x80, v5
	s_cbranch_execz .LBB195_280
; %bb.275:                              ;   in Loop: Header=BB195_9 Depth=1
	v_and_b32_e32 v6, 0xffff, v5
	v_mov_b64_e32 v[0:1], 0x7f80000100000000
	s_mov_b32 s30, exec_lo
	s_delay_alu instid0(VALU_DEP_2) | instskip(NEXT) | instid1(VALU_DEP_1)
	v_and_b32_e32 v5, 0x7f, v6
	v_cmpx_ne_u32_e32 0x7f, v5
	s_cbranch_execz .LBB195_279
; %bb.276:                              ;   in Loop: Header=BB195_9 Depth=1
	v_dual_lshrrev_b32 v0, 3, v5 :: v_dual_bitop2_b32 v58, 7, v6 bitop3:0x40
	s_mov_b32 s31, exec_lo
	v_cmpx_gt_u32_e32 8, v5
; %bb.277:                              ;   in Loop: Header=BB195_9 Depth=1
	s_delay_alu instid0(VALU_DEP_2) | instskip(NEXT) | instid1(VALU_DEP_1)
	v_clz_i32_u32_e32 v0, v58
	v_min_u32_e32 v0, 32, v0
	s_delay_alu instid0(VALU_DEP_1) | instskip(NEXT) | instid1(VALU_DEP_1)
	v_subrev_nc_u32_e32 v1, 28, v0
	v_lshlrev_b64_e32 v[6:7], v1, v[58:59]
	s_delay_alu instid0(VALU_DEP_1)
	v_dual_sub_nc_u32 v0, 29, v0 :: v_dual_bitop2_b32 v58, 7, v6 bitop3:0x40
; %bb.278:                              ;   in Loop: Header=BB195_9 Depth=1
	s_or_b32 exec_lo, exec_lo, s31
	s_delay_alu instid0(VALU_DEP_1) | instskip(NEXT) | instid1(VALU_DEP_2)
	v_dual_lshlrev_b32 v1, 16, v4 :: v_dual_lshlrev_b32 v4, 20, v58
	v_lshl_add_u32 v0, v0, 23, 0x3c000000
	s_delay_alu instid0(VALU_DEP_2) | instskip(NEXT) | instid1(VALU_DEP_1)
	v_and_b32_e32 v1, 0x80000000, v1
	v_or3_b32 v1, v4, v1, v0
	v_mov_b32_e32 v0, v59
.LBB195_279:                            ;   in Loop: Header=BB195_9 Depth=1
	s_or_b32 exec_lo, exec_lo, s30
.LBB195_280:                            ;   in Loop: Header=BB195_9 Depth=1
	s_delay_alu instid0(SALU_CYCLE_1)
	s_or_b32 exec_lo, exec_lo, s29
.LBB195_281:                            ;   in Loop: Header=BB195_9 Depth=1
	s_delay_alu instid0(SALU_CYCLE_1)
	s_or_b32 exec_lo, exec_lo, s28
	global_load_u16 v4, v[72:73], off offset:1028
	v_mov_b64_e32 v[6:7], 0
	s_wait_loadcnt 0x0
	v_and_b32_e32 v8, 0xffff, v4
	v_and_b32_e32 v4, 0xff, v4
	s_delay_alu instid0(VALU_DEP_1)
	v_cmp_ne_u16_e64 s4, 0, v4
	v_mov_b64_e32 v[4:5], 0
	s_wait_xcnt 0x0
	s_and_saveexec_b32 s28, s4
	s_cbranch_execz .LBB195_289
; %bb.282:                              ;   in Loop: Header=BB195_9 Depth=1
	v_and_b32_e32 v6, 0xff, v8
	s_delay_alu instid0(VALU_DEP_1)
	v_cmp_ne_u16_e64 s4, 0x80, v6
	v_mov_b64_e32 v[6:7], 0x80000000
	s_and_saveexec_b32 s29, s4
	s_cbranch_execz .LBB195_288
; %bb.283:                              ;   in Loop: Header=BB195_9 Depth=1
	v_mov_b64_e32 v[6:7], 0x7f800001
	v_and_b32_e32 v9, 0x7f, v8
	s_mov_b32 s30, exec_lo
	s_delay_alu instid0(VALU_DEP_1)
	v_cmpx_ne_u32_e32 0x7f, v9
	s_cbranch_execz .LBB195_287
; %bb.284:                              ;   in Loop: Header=BB195_9 Depth=1
	v_dual_lshrrev_b32 v6, 3, v9 :: v_dual_bitop2_b32 v58, 7, v8 bitop3:0x40
	s_mov_b32 s31, exec_lo
	v_cmpx_gt_u32_e32 8, v9
; %bb.285:                              ;   in Loop: Header=BB195_9 Depth=1
	s_delay_alu instid0(VALU_DEP_2) | instskip(NEXT) | instid1(VALU_DEP_1)
	v_clz_i32_u32_e32 v6, v58
	v_min_u32_e32 v6, 32, v6
	s_delay_alu instid0(VALU_DEP_1) | instskip(SKIP_1) | instid1(VALU_DEP_2)
	v_subrev_nc_u32_e32 v7, 28, v6
	v_sub_nc_u32_e32 v6, 29, v6
	v_lshlrev_b64_e32 v[10:11], v7, v[58:59]
	s_delay_alu instid0(VALU_DEP_1)
	v_and_b32_e32 v58, 7, v10
; %bb.286:                              ;   in Loop: Header=BB195_9 Depth=1
	s_or_b32 exec_lo, exec_lo, s31
	s_delay_alu instid0(VALU_DEP_1) | instskip(SKIP_1) | instid1(VALU_DEP_2)
	v_dual_lshlrev_b32 v7, 24, v8 :: v_dual_lshlrev_b32 v9, 20, v58
	v_lshl_add_u32 v6, v6, 23, 0x3c000000
	v_and_b32_e32 v7, 0x80000000, v7
	s_delay_alu instid0(VALU_DEP_1) | instskip(NEXT) | instid1(VALU_DEP_1)
	v_or3_b32 v58, v9, v7, v6
	v_mov_b64_e32 v[6:7], v[58:59]
.LBB195_287:                            ;   in Loop: Header=BB195_9 Depth=1
	s_or_b32 exec_lo, exec_lo, s30
.LBB195_288:                            ;   in Loop: Header=BB195_9 Depth=1
	s_delay_alu instid0(SALU_CYCLE_1)
	s_or_b32 exec_lo, exec_lo, s29
.LBB195_289:                            ;   in Loop: Header=BB195_9 Depth=1
	s_delay_alu instid0(SALU_CYCLE_1) | instskip(SKIP_2) | instid1(VALU_DEP_1)
	s_or_b32 exec_lo, exec_lo, s28
	v_lshrrev_b16 v9, 8, v8
	s_mov_b32 s28, exec_lo
	v_cmpx_ne_u16_e32 0, v9
	s_cbranch_execz .LBB195_297
; %bb.290:                              ;   in Loop: Header=BB195_9 Depth=1
	v_mov_b64_e32 v[4:5], 0x8000000000000000
	s_mov_b32 s29, exec_lo
	v_cmpx_ne_u16_e32 0x80, v9
	s_cbranch_execz .LBB195_296
; %bb.291:                              ;   in Loop: Header=BB195_9 Depth=1
	v_and_b32_e32 v10, 0xffff, v9
	v_mov_b64_e32 v[4:5], 0x7f80000100000000
	s_mov_b32 s30, exec_lo
	s_delay_alu instid0(VALU_DEP_2) | instskip(NEXT) | instid1(VALU_DEP_1)
	v_and_b32_e32 v9, 0x7f, v10
	v_cmpx_ne_u32_e32 0x7f, v9
	s_cbranch_execz .LBB195_295
; %bb.292:                              ;   in Loop: Header=BB195_9 Depth=1
	v_dual_lshrrev_b32 v4, 3, v9 :: v_dual_bitop2_b32 v58, 7, v10 bitop3:0x40
	s_mov_b32 s31, exec_lo
	v_cmpx_gt_u32_e32 8, v9
; %bb.293:                              ;   in Loop: Header=BB195_9 Depth=1
	s_delay_alu instid0(VALU_DEP_2) | instskip(NEXT) | instid1(VALU_DEP_1)
	v_clz_i32_u32_e32 v4, v58
	v_min_u32_e32 v4, 32, v4
	s_delay_alu instid0(VALU_DEP_1) | instskip(NEXT) | instid1(VALU_DEP_1)
	v_subrev_nc_u32_e32 v5, 28, v4
	v_lshlrev_b64_e32 v[10:11], v5, v[58:59]
	s_delay_alu instid0(VALU_DEP_1)
	v_dual_sub_nc_u32 v4, 29, v4 :: v_dual_bitop2_b32 v58, 7, v10 bitop3:0x40
; %bb.294:                              ;   in Loop: Header=BB195_9 Depth=1
	s_or_b32 exec_lo, exec_lo, s31
	s_delay_alu instid0(VALU_DEP_1) | instskip(NEXT) | instid1(VALU_DEP_2)
	v_dual_lshlrev_b32 v5, 16, v8 :: v_dual_lshlrev_b32 v8, 20, v58
	v_lshl_add_u32 v4, v4, 23, 0x3c000000
	s_delay_alu instid0(VALU_DEP_2) | instskip(NEXT) | instid1(VALU_DEP_1)
	v_and_b32_e32 v5, 0x80000000, v5
	v_or3_b32 v5, v8, v5, v4
	v_mov_b32_e32 v4, v59
.LBB195_295:                            ;   in Loop: Header=BB195_9 Depth=1
	s_or_b32 exec_lo, exec_lo, s30
.LBB195_296:                            ;   in Loop: Header=BB195_9 Depth=1
	s_delay_alu instid0(SALU_CYCLE_1)
	s_or_b32 exec_lo, exec_lo, s29
.LBB195_297:                            ;   in Loop: Header=BB195_9 Depth=1
	s_delay_alu instid0(SALU_CYCLE_1)
	s_or_b32 exec_lo, exec_lo, s28
	global_load_u16 v8, v[72:73], off offset:1032
	v_mov_b64_e32 v[10:11], 0
	s_wait_loadcnt 0x0
	v_and_b32_e32 v12, 0xffff, v8
	v_and_b32_e32 v8, 0xff, v8
	s_delay_alu instid0(VALU_DEP_1)
	v_cmp_ne_u16_e64 s4, 0, v8
	v_mov_b64_e32 v[8:9], 0
	s_wait_xcnt 0x0
	s_and_saveexec_b32 s28, s4
	s_cbranch_execz .LBB195_305
; %bb.298:                              ;   in Loop: Header=BB195_9 Depth=1
	v_and_b32_e32 v10, 0xff, v12
	s_delay_alu instid0(VALU_DEP_1)
	v_cmp_ne_u16_e64 s4, 0x80, v10
	v_mov_b64_e32 v[10:11], 0x80000000
	s_and_saveexec_b32 s29, s4
	s_cbranch_execz .LBB195_304
; %bb.299:                              ;   in Loop: Header=BB195_9 Depth=1
	v_mov_b64_e32 v[10:11], 0x7f800001
	v_and_b32_e32 v13, 0x7f, v12
	s_mov_b32 s30, exec_lo
	s_delay_alu instid0(VALU_DEP_1)
	v_cmpx_ne_u32_e32 0x7f, v13
	s_cbranch_execz .LBB195_303
; %bb.300:                              ;   in Loop: Header=BB195_9 Depth=1
	v_dual_lshrrev_b32 v10, 3, v13 :: v_dual_bitop2_b32 v58, 7, v12 bitop3:0x40
	s_mov_b32 s31, exec_lo
	v_cmpx_gt_u32_e32 8, v13
; %bb.301:                              ;   in Loop: Header=BB195_9 Depth=1
	s_delay_alu instid0(VALU_DEP_2) | instskip(NEXT) | instid1(VALU_DEP_1)
	v_clz_i32_u32_e32 v10, v58
	v_min_u32_e32 v10, 32, v10
	s_delay_alu instid0(VALU_DEP_1) | instskip(SKIP_1) | instid1(VALU_DEP_2)
	v_subrev_nc_u32_e32 v11, 28, v10
	v_sub_nc_u32_e32 v10, 29, v10
	v_lshlrev_b64_e32 v[14:15], v11, v[58:59]
	s_delay_alu instid0(VALU_DEP_1)
	v_and_b32_e32 v58, 7, v14
; %bb.302:                              ;   in Loop: Header=BB195_9 Depth=1
	s_or_b32 exec_lo, exec_lo, s31
	s_delay_alu instid0(VALU_DEP_1) | instskip(SKIP_1) | instid1(VALU_DEP_2)
	v_dual_lshlrev_b32 v11, 24, v12 :: v_dual_lshlrev_b32 v13, 20, v58
	v_lshl_add_u32 v10, v10, 23, 0x3c000000
	v_and_b32_e32 v11, 0x80000000, v11
	s_delay_alu instid0(VALU_DEP_1) | instskip(NEXT) | instid1(VALU_DEP_1)
	v_or3_b32 v58, v13, v11, v10
	v_mov_b64_e32 v[10:11], v[58:59]
.LBB195_303:                            ;   in Loop: Header=BB195_9 Depth=1
	s_or_b32 exec_lo, exec_lo, s30
.LBB195_304:                            ;   in Loop: Header=BB195_9 Depth=1
	s_delay_alu instid0(SALU_CYCLE_1)
	s_or_b32 exec_lo, exec_lo, s29
.LBB195_305:                            ;   in Loop: Header=BB195_9 Depth=1
	s_delay_alu instid0(SALU_CYCLE_1) | instskip(SKIP_2) | instid1(VALU_DEP_1)
	s_or_b32 exec_lo, exec_lo, s28
	v_lshrrev_b16 v13, 8, v12
	s_mov_b32 s28, exec_lo
	v_cmpx_ne_u16_e32 0, v13
	s_cbranch_execz .LBB195_313
; %bb.306:                              ;   in Loop: Header=BB195_9 Depth=1
	v_mov_b64_e32 v[8:9], 0x8000000000000000
	s_mov_b32 s29, exec_lo
	v_cmpx_ne_u16_e32 0x80, v13
	s_cbranch_execz .LBB195_312
; %bb.307:                              ;   in Loop: Header=BB195_9 Depth=1
	v_and_b32_e32 v14, 0xffff, v13
	v_mov_b64_e32 v[8:9], 0x7f80000100000000
	s_mov_b32 s30, exec_lo
	s_delay_alu instid0(VALU_DEP_2) | instskip(NEXT) | instid1(VALU_DEP_1)
	v_and_b32_e32 v13, 0x7f, v14
	v_cmpx_ne_u32_e32 0x7f, v13
	s_cbranch_execz .LBB195_311
; %bb.308:                              ;   in Loop: Header=BB195_9 Depth=1
	v_dual_lshrrev_b32 v8, 3, v13 :: v_dual_bitop2_b32 v58, 7, v14 bitop3:0x40
	s_mov_b32 s31, exec_lo
	v_cmpx_gt_u32_e32 8, v13
; %bb.309:                              ;   in Loop: Header=BB195_9 Depth=1
	s_delay_alu instid0(VALU_DEP_2) | instskip(NEXT) | instid1(VALU_DEP_1)
	v_clz_i32_u32_e32 v8, v58
	v_min_u32_e32 v8, 32, v8
	s_delay_alu instid0(VALU_DEP_1) | instskip(NEXT) | instid1(VALU_DEP_1)
	v_subrev_nc_u32_e32 v9, 28, v8
	v_lshlrev_b64_e32 v[14:15], v9, v[58:59]
	s_delay_alu instid0(VALU_DEP_1)
	v_dual_sub_nc_u32 v8, 29, v8 :: v_dual_bitop2_b32 v58, 7, v14 bitop3:0x40
; %bb.310:                              ;   in Loop: Header=BB195_9 Depth=1
	s_or_b32 exec_lo, exec_lo, s31
	s_delay_alu instid0(VALU_DEP_1) | instskip(NEXT) | instid1(VALU_DEP_2)
	v_dual_lshlrev_b32 v9, 16, v12 :: v_dual_lshlrev_b32 v12, 20, v58
	v_lshl_add_u32 v8, v8, 23, 0x3c000000
	s_delay_alu instid0(VALU_DEP_2) | instskip(NEXT) | instid1(VALU_DEP_1)
	v_and_b32_e32 v9, 0x80000000, v9
	v_or3_b32 v9, v12, v9, v8
	v_mov_b32_e32 v8, v59
.LBB195_311:                            ;   in Loop: Header=BB195_9 Depth=1
	s_or_b32 exec_lo, exec_lo, s30
.LBB195_312:                            ;   in Loop: Header=BB195_9 Depth=1
	s_delay_alu instid0(SALU_CYCLE_1)
	s_or_b32 exec_lo, exec_lo, s29
.LBB195_313:                            ;   in Loop: Header=BB195_9 Depth=1
	s_delay_alu instid0(SALU_CYCLE_1)
	s_or_b32 exec_lo, exec_lo, s28
	global_load_u16 v12, v[72:73], off offset:1036
	v_mov_b64_e32 v[14:15], 0
	s_wait_loadcnt 0x0
	v_and_b32_e32 v16, 0xffff, v12
	v_and_b32_e32 v12, 0xff, v12
	s_delay_alu instid0(VALU_DEP_1)
	v_cmp_ne_u16_e64 s4, 0, v12
	v_mov_b64_e32 v[12:13], 0
	s_wait_xcnt 0x0
	s_and_saveexec_b32 s28, s4
	s_cbranch_execz .LBB195_321
; %bb.314:                              ;   in Loop: Header=BB195_9 Depth=1
	v_and_b32_e32 v14, 0xff, v16
	s_delay_alu instid0(VALU_DEP_1)
	v_cmp_ne_u16_e64 s4, 0x80, v14
	v_mov_b64_e32 v[14:15], 0x80000000
	s_and_saveexec_b32 s29, s4
	s_cbranch_execz .LBB195_320
; %bb.315:                              ;   in Loop: Header=BB195_9 Depth=1
	v_mov_b64_e32 v[14:15], 0x7f800001
	v_and_b32_e32 v17, 0x7f, v16
	s_mov_b32 s30, exec_lo
	s_delay_alu instid0(VALU_DEP_1)
	v_cmpx_ne_u32_e32 0x7f, v17
	s_cbranch_execz .LBB195_319
; %bb.316:                              ;   in Loop: Header=BB195_9 Depth=1
	v_dual_lshrrev_b32 v14, 3, v17 :: v_dual_bitop2_b32 v58, 7, v16 bitop3:0x40
	s_mov_b32 s31, exec_lo
	v_cmpx_gt_u32_e32 8, v17
; %bb.317:                              ;   in Loop: Header=BB195_9 Depth=1
	s_delay_alu instid0(VALU_DEP_2) | instskip(NEXT) | instid1(VALU_DEP_1)
	v_clz_i32_u32_e32 v14, v58
	v_min_u32_e32 v14, 32, v14
	s_delay_alu instid0(VALU_DEP_1) | instskip(SKIP_1) | instid1(VALU_DEP_2)
	v_subrev_nc_u32_e32 v15, 28, v14
	v_sub_nc_u32_e32 v14, 29, v14
	v_lshlrev_b64_e32 v[18:19], v15, v[58:59]
	s_delay_alu instid0(VALU_DEP_1)
	v_and_b32_e32 v58, 7, v18
; %bb.318:                              ;   in Loop: Header=BB195_9 Depth=1
	s_or_b32 exec_lo, exec_lo, s31
	s_delay_alu instid0(VALU_DEP_1) | instskip(SKIP_1) | instid1(VALU_DEP_2)
	v_dual_lshlrev_b32 v15, 24, v16 :: v_dual_lshlrev_b32 v17, 20, v58
	v_lshl_add_u32 v14, v14, 23, 0x3c000000
	v_and_b32_e32 v15, 0x80000000, v15
	s_delay_alu instid0(VALU_DEP_1) | instskip(NEXT) | instid1(VALU_DEP_1)
	v_or3_b32 v58, v17, v15, v14
	v_mov_b64_e32 v[14:15], v[58:59]
.LBB195_319:                            ;   in Loop: Header=BB195_9 Depth=1
	s_or_b32 exec_lo, exec_lo, s30
.LBB195_320:                            ;   in Loop: Header=BB195_9 Depth=1
	s_delay_alu instid0(SALU_CYCLE_1)
	s_or_b32 exec_lo, exec_lo, s29
.LBB195_321:                            ;   in Loop: Header=BB195_9 Depth=1
	s_delay_alu instid0(SALU_CYCLE_1) | instskip(SKIP_2) | instid1(VALU_DEP_1)
	s_or_b32 exec_lo, exec_lo, s28
	v_lshrrev_b16 v17, 8, v16
	s_mov_b32 s28, exec_lo
	v_cmpx_ne_u16_e32 0, v17
	s_cbranch_execz .LBB195_329
; %bb.322:                              ;   in Loop: Header=BB195_9 Depth=1
	v_mov_b64_e32 v[12:13], 0x8000000000000000
	s_mov_b32 s29, exec_lo
	v_cmpx_ne_u16_e32 0x80, v17
	s_cbranch_execz .LBB195_328
; %bb.323:                              ;   in Loop: Header=BB195_9 Depth=1
	v_and_b32_e32 v18, 0xffff, v17
	v_mov_b64_e32 v[12:13], 0x7f80000100000000
	s_mov_b32 s30, exec_lo
	s_delay_alu instid0(VALU_DEP_2) | instskip(NEXT) | instid1(VALU_DEP_1)
	v_and_b32_e32 v17, 0x7f, v18
	v_cmpx_ne_u32_e32 0x7f, v17
	s_cbranch_execz .LBB195_327
; %bb.324:                              ;   in Loop: Header=BB195_9 Depth=1
	v_dual_lshrrev_b32 v12, 3, v17 :: v_dual_bitop2_b32 v58, 7, v18 bitop3:0x40
	s_mov_b32 s31, exec_lo
	v_cmpx_gt_u32_e32 8, v17
; %bb.325:                              ;   in Loop: Header=BB195_9 Depth=1
	s_delay_alu instid0(VALU_DEP_2) | instskip(NEXT) | instid1(VALU_DEP_1)
	v_clz_i32_u32_e32 v12, v58
	v_min_u32_e32 v12, 32, v12
	s_delay_alu instid0(VALU_DEP_1) | instskip(NEXT) | instid1(VALU_DEP_1)
	v_subrev_nc_u32_e32 v13, 28, v12
	v_lshlrev_b64_e32 v[18:19], v13, v[58:59]
	s_delay_alu instid0(VALU_DEP_1)
	v_dual_sub_nc_u32 v12, 29, v12 :: v_dual_bitop2_b32 v58, 7, v18 bitop3:0x40
; %bb.326:                              ;   in Loop: Header=BB195_9 Depth=1
	s_or_b32 exec_lo, exec_lo, s31
	s_delay_alu instid0(VALU_DEP_1) | instskip(NEXT) | instid1(VALU_DEP_2)
	v_dual_lshlrev_b32 v13, 16, v16 :: v_dual_lshlrev_b32 v16, 20, v58
	v_lshl_add_u32 v12, v12, 23, 0x3c000000
	s_delay_alu instid0(VALU_DEP_2) | instskip(NEXT) | instid1(VALU_DEP_1)
	v_and_b32_e32 v13, 0x80000000, v13
	v_or3_b32 v13, v16, v13, v12
	v_mov_b32_e32 v12, v59
.LBB195_327:                            ;   in Loop: Header=BB195_9 Depth=1
	s_or_b32 exec_lo, exec_lo, s30
.LBB195_328:                            ;   in Loop: Header=BB195_9 Depth=1
	s_delay_alu instid0(SALU_CYCLE_1)
	s_or_b32 exec_lo, exec_lo, s29
.LBB195_329:                            ;   in Loop: Header=BB195_9 Depth=1
	s_delay_alu instid0(SALU_CYCLE_1)
	s_or_b32 exec_lo, exec_lo, s28
	global_load_u16 v16, v[72:73], off offset:1280
	v_mov_b64_e32 v[18:19], 0
	s_wait_loadcnt 0x0
	v_and_b32_e32 v20, 0xffff, v16
	v_and_b32_e32 v16, 0xff, v16
	s_delay_alu instid0(VALU_DEP_1)
	v_cmp_ne_u16_e64 s4, 0, v16
	v_mov_b64_e32 v[16:17], 0
	s_wait_xcnt 0x0
	s_and_saveexec_b32 s28, s4
	s_cbranch_execz .LBB195_337
; %bb.330:                              ;   in Loop: Header=BB195_9 Depth=1
	v_and_b32_e32 v18, 0xff, v20
	s_delay_alu instid0(VALU_DEP_1)
	v_cmp_ne_u16_e64 s4, 0x80, v18
	v_mov_b64_e32 v[18:19], 0x80000000
	s_and_saveexec_b32 s29, s4
	s_cbranch_execz .LBB195_336
; %bb.331:                              ;   in Loop: Header=BB195_9 Depth=1
	v_mov_b64_e32 v[18:19], 0x7f800001
	v_and_b32_e32 v21, 0x7f, v20
	s_mov_b32 s30, exec_lo
	s_delay_alu instid0(VALU_DEP_1)
	v_cmpx_ne_u32_e32 0x7f, v21
	s_cbranch_execz .LBB195_335
; %bb.332:                              ;   in Loop: Header=BB195_9 Depth=1
	v_dual_lshrrev_b32 v18, 3, v21 :: v_dual_bitop2_b32 v58, 7, v20 bitop3:0x40
	s_mov_b32 s31, exec_lo
	v_cmpx_gt_u32_e32 8, v21
; %bb.333:                              ;   in Loop: Header=BB195_9 Depth=1
	s_delay_alu instid0(VALU_DEP_2) | instskip(NEXT) | instid1(VALU_DEP_1)
	v_clz_i32_u32_e32 v18, v58
	v_min_u32_e32 v18, 32, v18
	s_delay_alu instid0(VALU_DEP_1) | instskip(SKIP_1) | instid1(VALU_DEP_2)
	v_subrev_nc_u32_e32 v19, 28, v18
	v_sub_nc_u32_e32 v18, 29, v18
	v_lshlrev_b64_e32 v[22:23], v19, v[58:59]
	s_delay_alu instid0(VALU_DEP_1)
	v_and_b32_e32 v58, 7, v22
; %bb.334:                              ;   in Loop: Header=BB195_9 Depth=1
	s_or_b32 exec_lo, exec_lo, s31
	s_delay_alu instid0(VALU_DEP_1) | instskip(SKIP_1) | instid1(VALU_DEP_2)
	v_dual_lshlrev_b32 v19, 24, v20 :: v_dual_lshlrev_b32 v21, 20, v58
	v_lshl_add_u32 v18, v18, 23, 0x3c000000
	v_and_b32_e32 v19, 0x80000000, v19
	s_delay_alu instid0(VALU_DEP_1) | instskip(NEXT) | instid1(VALU_DEP_1)
	v_or3_b32 v58, v21, v19, v18
	v_mov_b64_e32 v[18:19], v[58:59]
.LBB195_335:                            ;   in Loop: Header=BB195_9 Depth=1
	s_or_b32 exec_lo, exec_lo, s30
.LBB195_336:                            ;   in Loop: Header=BB195_9 Depth=1
	s_delay_alu instid0(SALU_CYCLE_1)
	s_or_b32 exec_lo, exec_lo, s29
.LBB195_337:                            ;   in Loop: Header=BB195_9 Depth=1
	s_delay_alu instid0(SALU_CYCLE_1) | instskip(SKIP_2) | instid1(VALU_DEP_1)
	s_or_b32 exec_lo, exec_lo, s28
	v_lshrrev_b16 v21, 8, v20
	s_mov_b32 s28, exec_lo
	v_cmpx_ne_u16_e32 0, v21
	s_cbranch_execz .LBB195_345
; %bb.338:                              ;   in Loop: Header=BB195_9 Depth=1
	v_mov_b64_e32 v[16:17], 0x8000000000000000
	s_mov_b32 s29, exec_lo
	v_cmpx_ne_u16_e32 0x80, v21
	s_cbranch_execz .LBB195_344
; %bb.339:                              ;   in Loop: Header=BB195_9 Depth=1
	v_and_b32_e32 v22, 0xffff, v21
	v_mov_b64_e32 v[16:17], 0x7f80000100000000
	s_mov_b32 s30, exec_lo
	s_delay_alu instid0(VALU_DEP_2) | instskip(NEXT) | instid1(VALU_DEP_1)
	v_and_b32_e32 v21, 0x7f, v22
	v_cmpx_ne_u32_e32 0x7f, v21
	s_cbranch_execz .LBB195_343
; %bb.340:                              ;   in Loop: Header=BB195_9 Depth=1
	v_dual_lshrrev_b32 v16, 3, v21 :: v_dual_bitop2_b32 v58, 7, v22 bitop3:0x40
	s_mov_b32 s31, exec_lo
	v_cmpx_gt_u32_e32 8, v21
; %bb.341:                              ;   in Loop: Header=BB195_9 Depth=1
	s_delay_alu instid0(VALU_DEP_2) | instskip(NEXT) | instid1(VALU_DEP_1)
	v_clz_i32_u32_e32 v16, v58
	v_min_u32_e32 v16, 32, v16
	s_delay_alu instid0(VALU_DEP_1) | instskip(NEXT) | instid1(VALU_DEP_1)
	v_subrev_nc_u32_e32 v17, 28, v16
	v_lshlrev_b64_e32 v[22:23], v17, v[58:59]
	s_delay_alu instid0(VALU_DEP_1)
	v_dual_sub_nc_u32 v16, 29, v16 :: v_dual_bitop2_b32 v58, 7, v22 bitop3:0x40
; %bb.342:                              ;   in Loop: Header=BB195_9 Depth=1
	s_or_b32 exec_lo, exec_lo, s31
	s_delay_alu instid0(VALU_DEP_1) | instskip(NEXT) | instid1(VALU_DEP_2)
	v_dual_lshlrev_b32 v17, 16, v20 :: v_dual_lshlrev_b32 v20, 20, v58
	v_lshl_add_u32 v16, v16, 23, 0x3c000000
	s_delay_alu instid0(VALU_DEP_2) | instskip(NEXT) | instid1(VALU_DEP_1)
	v_and_b32_e32 v17, 0x80000000, v17
	v_or3_b32 v17, v20, v17, v16
	v_mov_b32_e32 v16, v59
.LBB195_343:                            ;   in Loop: Header=BB195_9 Depth=1
	s_or_b32 exec_lo, exec_lo, s30
.LBB195_344:                            ;   in Loop: Header=BB195_9 Depth=1
	s_delay_alu instid0(SALU_CYCLE_1)
	s_or_b32 exec_lo, exec_lo, s29
.LBB195_345:                            ;   in Loop: Header=BB195_9 Depth=1
	s_delay_alu instid0(SALU_CYCLE_1)
	s_or_b32 exec_lo, exec_lo, s28
	global_load_u16 v20, v[72:73], off offset:1284
	v_mov_b64_e32 v[22:23], 0
	s_wait_loadcnt 0x0
	v_and_b32_e32 v24, 0xffff, v20
	v_and_b32_e32 v20, 0xff, v20
	s_delay_alu instid0(VALU_DEP_1)
	v_cmp_ne_u16_e64 s4, 0, v20
	v_mov_b64_e32 v[20:21], 0
	s_wait_xcnt 0x0
	s_and_saveexec_b32 s28, s4
	s_cbranch_execz .LBB195_353
; %bb.346:                              ;   in Loop: Header=BB195_9 Depth=1
	v_and_b32_e32 v22, 0xff, v24
	s_delay_alu instid0(VALU_DEP_1)
	v_cmp_ne_u16_e64 s4, 0x80, v22
	v_mov_b64_e32 v[22:23], 0x80000000
	s_and_saveexec_b32 s29, s4
	s_cbranch_execz .LBB195_352
; %bb.347:                              ;   in Loop: Header=BB195_9 Depth=1
	v_mov_b64_e32 v[22:23], 0x7f800001
	v_and_b32_e32 v25, 0x7f, v24
	s_mov_b32 s30, exec_lo
	s_delay_alu instid0(VALU_DEP_1)
	v_cmpx_ne_u32_e32 0x7f, v25
	s_cbranch_execz .LBB195_351
; %bb.348:                              ;   in Loop: Header=BB195_9 Depth=1
	v_dual_lshrrev_b32 v22, 3, v25 :: v_dual_bitop2_b32 v58, 7, v24 bitop3:0x40
	s_mov_b32 s31, exec_lo
	v_cmpx_gt_u32_e32 8, v25
; %bb.349:                              ;   in Loop: Header=BB195_9 Depth=1
	s_delay_alu instid0(VALU_DEP_2) | instskip(NEXT) | instid1(VALU_DEP_1)
	v_clz_i32_u32_e32 v22, v58
	v_min_u32_e32 v22, 32, v22
	s_delay_alu instid0(VALU_DEP_1) | instskip(SKIP_1) | instid1(VALU_DEP_2)
	v_subrev_nc_u32_e32 v23, 28, v22
	v_sub_nc_u32_e32 v22, 29, v22
	v_lshlrev_b64_e32 v[26:27], v23, v[58:59]
	s_delay_alu instid0(VALU_DEP_1)
	v_and_b32_e32 v58, 7, v26
; %bb.350:                              ;   in Loop: Header=BB195_9 Depth=1
	s_or_b32 exec_lo, exec_lo, s31
	s_delay_alu instid0(VALU_DEP_1) | instskip(SKIP_1) | instid1(VALU_DEP_2)
	v_dual_lshlrev_b32 v23, 24, v24 :: v_dual_lshlrev_b32 v25, 20, v58
	v_lshl_add_u32 v22, v22, 23, 0x3c000000
	v_and_b32_e32 v23, 0x80000000, v23
	s_delay_alu instid0(VALU_DEP_1) | instskip(NEXT) | instid1(VALU_DEP_1)
	v_or3_b32 v58, v25, v23, v22
	v_mov_b64_e32 v[22:23], v[58:59]
.LBB195_351:                            ;   in Loop: Header=BB195_9 Depth=1
	s_or_b32 exec_lo, exec_lo, s30
.LBB195_352:                            ;   in Loop: Header=BB195_9 Depth=1
	s_delay_alu instid0(SALU_CYCLE_1)
	s_or_b32 exec_lo, exec_lo, s29
.LBB195_353:                            ;   in Loop: Header=BB195_9 Depth=1
	s_delay_alu instid0(SALU_CYCLE_1) | instskip(SKIP_2) | instid1(VALU_DEP_1)
	s_or_b32 exec_lo, exec_lo, s28
	v_lshrrev_b16 v25, 8, v24
	s_mov_b32 s28, exec_lo
	v_cmpx_ne_u16_e32 0, v25
	s_cbranch_execz .LBB195_361
; %bb.354:                              ;   in Loop: Header=BB195_9 Depth=1
	v_mov_b64_e32 v[20:21], 0x8000000000000000
	s_mov_b32 s29, exec_lo
	v_cmpx_ne_u16_e32 0x80, v25
	s_cbranch_execz .LBB195_360
; %bb.355:                              ;   in Loop: Header=BB195_9 Depth=1
	v_and_b32_e32 v26, 0xffff, v25
	v_mov_b64_e32 v[20:21], 0x7f80000100000000
	s_mov_b32 s30, exec_lo
	s_delay_alu instid0(VALU_DEP_2) | instskip(NEXT) | instid1(VALU_DEP_1)
	v_and_b32_e32 v25, 0x7f, v26
	v_cmpx_ne_u32_e32 0x7f, v25
	s_cbranch_execz .LBB195_359
; %bb.356:                              ;   in Loop: Header=BB195_9 Depth=1
	v_dual_lshrrev_b32 v20, 3, v25 :: v_dual_bitop2_b32 v58, 7, v26 bitop3:0x40
	s_mov_b32 s31, exec_lo
	v_cmpx_gt_u32_e32 8, v25
; %bb.357:                              ;   in Loop: Header=BB195_9 Depth=1
	s_delay_alu instid0(VALU_DEP_2) | instskip(NEXT) | instid1(VALU_DEP_1)
	v_clz_i32_u32_e32 v20, v58
	v_min_u32_e32 v20, 32, v20
	s_delay_alu instid0(VALU_DEP_1) | instskip(NEXT) | instid1(VALU_DEP_1)
	v_subrev_nc_u32_e32 v21, 28, v20
	v_lshlrev_b64_e32 v[26:27], v21, v[58:59]
	s_delay_alu instid0(VALU_DEP_1)
	v_dual_sub_nc_u32 v20, 29, v20 :: v_dual_bitop2_b32 v58, 7, v26 bitop3:0x40
; %bb.358:                              ;   in Loop: Header=BB195_9 Depth=1
	s_or_b32 exec_lo, exec_lo, s31
	s_delay_alu instid0(VALU_DEP_1) | instskip(NEXT) | instid1(VALU_DEP_2)
	v_dual_lshlrev_b32 v21, 16, v24 :: v_dual_lshlrev_b32 v24, 20, v58
	v_lshl_add_u32 v20, v20, 23, 0x3c000000
	s_delay_alu instid0(VALU_DEP_2) | instskip(NEXT) | instid1(VALU_DEP_1)
	v_and_b32_e32 v21, 0x80000000, v21
	v_or3_b32 v21, v24, v21, v20
	v_mov_b32_e32 v20, v59
.LBB195_359:                            ;   in Loop: Header=BB195_9 Depth=1
	s_or_b32 exec_lo, exec_lo, s30
.LBB195_360:                            ;   in Loop: Header=BB195_9 Depth=1
	s_delay_alu instid0(SALU_CYCLE_1)
	s_or_b32 exec_lo, exec_lo, s29
.LBB195_361:                            ;   in Loop: Header=BB195_9 Depth=1
	s_delay_alu instid0(SALU_CYCLE_1)
	s_or_b32 exec_lo, exec_lo, s28
	global_load_u16 v24, v[72:73], off offset:1288
	v_mov_b64_e32 v[26:27], 0
	s_wait_loadcnt 0x0
	v_and_b32_e32 v28, 0xffff, v24
	v_and_b32_e32 v24, 0xff, v24
	s_delay_alu instid0(VALU_DEP_1)
	v_cmp_ne_u16_e64 s4, 0, v24
	v_mov_b64_e32 v[24:25], 0
	s_wait_xcnt 0x0
	s_and_saveexec_b32 s28, s4
	s_cbranch_execz .LBB195_369
; %bb.362:                              ;   in Loop: Header=BB195_9 Depth=1
	v_and_b32_e32 v26, 0xff, v28
	s_delay_alu instid0(VALU_DEP_1)
	v_cmp_ne_u16_e64 s4, 0x80, v26
	v_mov_b64_e32 v[26:27], 0x80000000
	s_and_saveexec_b32 s29, s4
	s_cbranch_execz .LBB195_368
; %bb.363:                              ;   in Loop: Header=BB195_9 Depth=1
	v_mov_b64_e32 v[26:27], 0x7f800001
	v_and_b32_e32 v29, 0x7f, v28
	s_mov_b32 s30, exec_lo
	s_delay_alu instid0(VALU_DEP_1)
	v_cmpx_ne_u32_e32 0x7f, v29
	s_cbranch_execz .LBB195_367
; %bb.364:                              ;   in Loop: Header=BB195_9 Depth=1
	v_dual_lshrrev_b32 v26, 3, v29 :: v_dual_bitop2_b32 v58, 7, v28 bitop3:0x40
	s_mov_b32 s31, exec_lo
	v_cmpx_gt_u32_e32 8, v29
; %bb.365:                              ;   in Loop: Header=BB195_9 Depth=1
	s_delay_alu instid0(VALU_DEP_2) | instskip(NEXT) | instid1(VALU_DEP_1)
	v_clz_i32_u32_e32 v26, v58
	v_min_u32_e32 v26, 32, v26
	s_delay_alu instid0(VALU_DEP_1) | instskip(SKIP_1) | instid1(VALU_DEP_2)
	v_subrev_nc_u32_e32 v27, 28, v26
	v_sub_nc_u32_e32 v26, 29, v26
	v_lshlrev_b64_e32 v[30:31], v27, v[58:59]
	s_delay_alu instid0(VALU_DEP_1)
	v_and_b32_e32 v58, 7, v30
; %bb.366:                              ;   in Loop: Header=BB195_9 Depth=1
	s_or_b32 exec_lo, exec_lo, s31
	s_delay_alu instid0(VALU_DEP_1) | instskip(SKIP_1) | instid1(VALU_DEP_2)
	v_dual_lshlrev_b32 v27, 24, v28 :: v_dual_lshlrev_b32 v29, 20, v58
	v_lshl_add_u32 v26, v26, 23, 0x3c000000
	v_and_b32_e32 v27, 0x80000000, v27
	s_delay_alu instid0(VALU_DEP_1) | instskip(NEXT) | instid1(VALU_DEP_1)
	v_or3_b32 v58, v29, v27, v26
	v_mov_b64_e32 v[26:27], v[58:59]
.LBB195_367:                            ;   in Loop: Header=BB195_9 Depth=1
	s_or_b32 exec_lo, exec_lo, s30
.LBB195_368:                            ;   in Loop: Header=BB195_9 Depth=1
	s_delay_alu instid0(SALU_CYCLE_1)
	s_or_b32 exec_lo, exec_lo, s29
.LBB195_369:                            ;   in Loop: Header=BB195_9 Depth=1
	s_delay_alu instid0(SALU_CYCLE_1) | instskip(SKIP_2) | instid1(VALU_DEP_1)
	s_or_b32 exec_lo, exec_lo, s28
	v_lshrrev_b16 v29, 8, v28
	s_mov_b32 s28, exec_lo
	v_cmpx_ne_u16_e32 0, v29
	s_cbranch_execz .LBB195_377
; %bb.370:                              ;   in Loop: Header=BB195_9 Depth=1
	v_mov_b64_e32 v[24:25], 0x8000000000000000
	s_mov_b32 s29, exec_lo
	v_cmpx_ne_u16_e32 0x80, v29
	s_cbranch_execz .LBB195_376
; %bb.371:                              ;   in Loop: Header=BB195_9 Depth=1
	v_and_b32_e32 v30, 0xffff, v29
	v_mov_b64_e32 v[24:25], 0x7f80000100000000
	s_mov_b32 s30, exec_lo
	s_delay_alu instid0(VALU_DEP_2) | instskip(NEXT) | instid1(VALU_DEP_1)
	v_and_b32_e32 v29, 0x7f, v30
	v_cmpx_ne_u32_e32 0x7f, v29
	s_cbranch_execz .LBB195_375
; %bb.372:                              ;   in Loop: Header=BB195_9 Depth=1
	v_dual_lshrrev_b32 v24, 3, v29 :: v_dual_bitop2_b32 v58, 7, v30 bitop3:0x40
	s_mov_b32 s31, exec_lo
	v_cmpx_gt_u32_e32 8, v29
; %bb.373:                              ;   in Loop: Header=BB195_9 Depth=1
	s_delay_alu instid0(VALU_DEP_2) | instskip(NEXT) | instid1(VALU_DEP_1)
	v_clz_i32_u32_e32 v24, v58
	v_min_u32_e32 v24, 32, v24
	s_delay_alu instid0(VALU_DEP_1) | instskip(NEXT) | instid1(VALU_DEP_1)
	v_subrev_nc_u32_e32 v25, 28, v24
	v_lshlrev_b64_e32 v[30:31], v25, v[58:59]
	s_delay_alu instid0(VALU_DEP_1)
	v_dual_sub_nc_u32 v24, 29, v24 :: v_dual_bitop2_b32 v58, 7, v30 bitop3:0x40
; %bb.374:                              ;   in Loop: Header=BB195_9 Depth=1
	s_or_b32 exec_lo, exec_lo, s31
	s_delay_alu instid0(VALU_DEP_1) | instskip(NEXT) | instid1(VALU_DEP_2)
	v_dual_lshlrev_b32 v25, 16, v28 :: v_dual_lshlrev_b32 v28, 20, v58
	v_lshl_add_u32 v24, v24, 23, 0x3c000000
	s_delay_alu instid0(VALU_DEP_2) | instskip(NEXT) | instid1(VALU_DEP_1)
	v_and_b32_e32 v25, 0x80000000, v25
	v_or3_b32 v25, v28, v25, v24
	v_mov_b32_e32 v24, v59
.LBB195_375:                            ;   in Loop: Header=BB195_9 Depth=1
	s_or_b32 exec_lo, exec_lo, s30
.LBB195_376:                            ;   in Loop: Header=BB195_9 Depth=1
	s_delay_alu instid0(SALU_CYCLE_1)
	s_or_b32 exec_lo, exec_lo, s29
.LBB195_377:                            ;   in Loop: Header=BB195_9 Depth=1
	s_delay_alu instid0(SALU_CYCLE_1)
	s_or_b32 exec_lo, exec_lo, s28
	global_load_u16 v28, v[72:73], off offset:1292
	v_mov_b64_e32 v[30:31], 0
	s_wait_loadcnt 0x0
	v_and_b32_e32 v32, 0xffff, v28
	v_and_b32_e32 v28, 0xff, v28
	s_delay_alu instid0(VALU_DEP_1)
	v_cmp_ne_u16_e64 s4, 0, v28
	v_mov_b64_e32 v[28:29], 0
	s_wait_xcnt 0x0
	s_and_saveexec_b32 s28, s4
	s_cbranch_execz .LBB195_385
; %bb.378:                              ;   in Loop: Header=BB195_9 Depth=1
	v_and_b32_e32 v30, 0xff, v32
	s_delay_alu instid0(VALU_DEP_1)
	v_cmp_ne_u16_e64 s4, 0x80, v30
	v_mov_b64_e32 v[30:31], 0x80000000
	s_and_saveexec_b32 s29, s4
	s_cbranch_execz .LBB195_384
; %bb.379:                              ;   in Loop: Header=BB195_9 Depth=1
	v_mov_b64_e32 v[30:31], 0x7f800001
	v_and_b32_e32 v33, 0x7f, v32
	s_mov_b32 s30, exec_lo
	s_delay_alu instid0(VALU_DEP_1)
	v_cmpx_ne_u32_e32 0x7f, v33
	s_cbranch_execz .LBB195_383
; %bb.380:                              ;   in Loop: Header=BB195_9 Depth=1
	v_dual_lshrrev_b32 v30, 3, v33 :: v_dual_bitop2_b32 v58, 7, v32 bitop3:0x40
	s_mov_b32 s31, exec_lo
	v_cmpx_gt_u32_e32 8, v33
; %bb.381:                              ;   in Loop: Header=BB195_9 Depth=1
	s_delay_alu instid0(VALU_DEP_2) | instskip(NEXT) | instid1(VALU_DEP_1)
	v_clz_i32_u32_e32 v30, v58
	v_min_u32_e32 v30, 32, v30
	s_delay_alu instid0(VALU_DEP_1) | instskip(SKIP_1) | instid1(VALU_DEP_2)
	v_subrev_nc_u32_e32 v31, 28, v30
	v_sub_nc_u32_e32 v30, 29, v30
	v_lshlrev_b64_e32 v[34:35], v31, v[58:59]
	s_delay_alu instid0(VALU_DEP_1)
	v_and_b32_e32 v58, 7, v34
; %bb.382:                              ;   in Loop: Header=BB195_9 Depth=1
	s_or_b32 exec_lo, exec_lo, s31
	s_delay_alu instid0(VALU_DEP_1) | instskip(SKIP_1) | instid1(VALU_DEP_2)
	v_dual_lshlrev_b32 v31, 24, v32 :: v_dual_lshlrev_b32 v33, 20, v58
	v_lshl_add_u32 v30, v30, 23, 0x3c000000
	v_and_b32_e32 v31, 0x80000000, v31
	s_delay_alu instid0(VALU_DEP_1) | instskip(NEXT) | instid1(VALU_DEP_1)
	v_or3_b32 v58, v33, v31, v30
	v_mov_b64_e32 v[30:31], v[58:59]
.LBB195_383:                            ;   in Loop: Header=BB195_9 Depth=1
	s_or_b32 exec_lo, exec_lo, s30
.LBB195_384:                            ;   in Loop: Header=BB195_9 Depth=1
	s_delay_alu instid0(SALU_CYCLE_1)
	s_or_b32 exec_lo, exec_lo, s29
.LBB195_385:                            ;   in Loop: Header=BB195_9 Depth=1
	s_delay_alu instid0(SALU_CYCLE_1) | instskip(SKIP_2) | instid1(VALU_DEP_1)
	s_or_b32 exec_lo, exec_lo, s28
	v_lshrrev_b16 v33, 8, v32
	s_mov_b32 s28, exec_lo
	v_cmpx_ne_u16_e32 0, v33
	s_cbranch_execz .LBB195_393
; %bb.386:                              ;   in Loop: Header=BB195_9 Depth=1
	v_mov_b64_e32 v[28:29], 0x8000000000000000
	s_mov_b32 s29, exec_lo
	v_cmpx_ne_u16_e32 0x80, v33
	s_cbranch_execz .LBB195_392
; %bb.387:                              ;   in Loop: Header=BB195_9 Depth=1
	v_and_b32_e32 v34, 0xffff, v33
	v_mov_b64_e32 v[28:29], 0x7f80000100000000
	s_mov_b32 s30, exec_lo
	s_delay_alu instid0(VALU_DEP_2) | instskip(NEXT) | instid1(VALU_DEP_1)
	v_and_b32_e32 v33, 0x7f, v34
	v_cmpx_ne_u32_e32 0x7f, v33
	s_cbranch_execz .LBB195_391
; %bb.388:                              ;   in Loop: Header=BB195_9 Depth=1
	v_dual_lshrrev_b32 v28, 3, v33 :: v_dual_bitop2_b32 v58, 7, v34 bitop3:0x40
	s_mov_b32 s31, exec_lo
	v_cmpx_gt_u32_e32 8, v33
; %bb.389:                              ;   in Loop: Header=BB195_9 Depth=1
	s_delay_alu instid0(VALU_DEP_2) | instskip(NEXT) | instid1(VALU_DEP_1)
	v_clz_i32_u32_e32 v28, v58
	v_min_u32_e32 v28, 32, v28
	s_delay_alu instid0(VALU_DEP_1) | instskip(NEXT) | instid1(VALU_DEP_1)
	v_subrev_nc_u32_e32 v29, 28, v28
	v_lshlrev_b64_e32 v[34:35], v29, v[58:59]
	s_delay_alu instid0(VALU_DEP_1)
	v_dual_sub_nc_u32 v28, 29, v28 :: v_dual_bitop2_b32 v58, 7, v34 bitop3:0x40
; %bb.390:                              ;   in Loop: Header=BB195_9 Depth=1
	s_or_b32 exec_lo, exec_lo, s31
	s_delay_alu instid0(VALU_DEP_1) | instskip(NEXT) | instid1(VALU_DEP_2)
	v_dual_lshlrev_b32 v29, 16, v32 :: v_dual_lshlrev_b32 v32, 20, v58
	v_lshl_add_u32 v28, v28, 23, 0x3c000000
	s_delay_alu instid0(VALU_DEP_2) | instskip(NEXT) | instid1(VALU_DEP_1)
	v_and_b32_e32 v29, 0x80000000, v29
	v_or3_b32 v29, v32, v29, v28
	v_mov_b32_e32 v28, v59
.LBB195_391:                            ;   in Loop: Header=BB195_9 Depth=1
	s_or_b32 exec_lo, exec_lo, s30
.LBB195_392:                            ;   in Loop: Header=BB195_9 Depth=1
	s_delay_alu instid0(SALU_CYCLE_1)
	s_or_b32 exec_lo, exec_lo, s29
.LBB195_393:                            ;   in Loop: Header=BB195_9 Depth=1
	s_delay_alu instid0(SALU_CYCLE_1)
	s_or_b32 exec_lo, exec_lo, s28
	global_load_u16 v32, v[72:73], off offset:1536
	v_mov_b64_e32 v[34:35], 0
	s_wait_loadcnt 0x0
	v_and_b32_e32 v36, 0xffff, v32
	v_and_b32_e32 v32, 0xff, v32
	s_delay_alu instid0(VALU_DEP_1)
	v_cmp_ne_u16_e64 s4, 0, v32
	v_mov_b64_e32 v[32:33], 0
	s_wait_xcnt 0x0
	s_and_saveexec_b32 s28, s4
	s_cbranch_execz .LBB195_401
; %bb.394:                              ;   in Loop: Header=BB195_9 Depth=1
	v_and_b32_e32 v34, 0xff, v36
	s_delay_alu instid0(VALU_DEP_1)
	v_cmp_ne_u16_e64 s4, 0x80, v34
	v_mov_b64_e32 v[34:35], 0x80000000
	s_and_saveexec_b32 s29, s4
	s_cbranch_execz .LBB195_400
; %bb.395:                              ;   in Loop: Header=BB195_9 Depth=1
	v_mov_b64_e32 v[34:35], 0x7f800001
	v_and_b32_e32 v37, 0x7f, v36
	s_mov_b32 s30, exec_lo
	s_delay_alu instid0(VALU_DEP_1)
	v_cmpx_ne_u32_e32 0x7f, v37
	s_cbranch_execz .LBB195_399
; %bb.396:                              ;   in Loop: Header=BB195_9 Depth=1
	v_dual_lshrrev_b32 v34, 3, v37 :: v_dual_bitop2_b32 v58, 7, v36 bitop3:0x40
	s_mov_b32 s31, exec_lo
	v_cmpx_gt_u32_e32 8, v37
; %bb.397:                              ;   in Loop: Header=BB195_9 Depth=1
	s_delay_alu instid0(VALU_DEP_2) | instskip(NEXT) | instid1(VALU_DEP_1)
	v_clz_i32_u32_e32 v34, v58
	v_min_u32_e32 v34, 32, v34
	s_delay_alu instid0(VALU_DEP_1) | instskip(SKIP_1) | instid1(VALU_DEP_2)
	v_subrev_nc_u32_e32 v35, 28, v34
	v_sub_nc_u32_e32 v34, 29, v34
	v_lshlrev_b64_e32 v[38:39], v35, v[58:59]
	s_delay_alu instid0(VALU_DEP_1)
	v_and_b32_e32 v58, 7, v38
; %bb.398:                              ;   in Loop: Header=BB195_9 Depth=1
	s_or_b32 exec_lo, exec_lo, s31
	s_delay_alu instid0(VALU_DEP_1) | instskip(SKIP_1) | instid1(VALU_DEP_2)
	v_dual_lshlrev_b32 v35, 24, v36 :: v_dual_lshlrev_b32 v37, 20, v58
	v_lshl_add_u32 v34, v34, 23, 0x3c000000
	v_and_b32_e32 v35, 0x80000000, v35
	s_delay_alu instid0(VALU_DEP_1) | instskip(NEXT) | instid1(VALU_DEP_1)
	v_or3_b32 v58, v37, v35, v34
	v_mov_b64_e32 v[34:35], v[58:59]
.LBB195_399:                            ;   in Loop: Header=BB195_9 Depth=1
	s_or_b32 exec_lo, exec_lo, s30
.LBB195_400:                            ;   in Loop: Header=BB195_9 Depth=1
	s_delay_alu instid0(SALU_CYCLE_1)
	s_or_b32 exec_lo, exec_lo, s29
.LBB195_401:                            ;   in Loop: Header=BB195_9 Depth=1
	s_delay_alu instid0(SALU_CYCLE_1) | instskip(SKIP_2) | instid1(VALU_DEP_1)
	s_or_b32 exec_lo, exec_lo, s28
	v_lshrrev_b16 v37, 8, v36
	s_mov_b32 s28, exec_lo
	v_cmpx_ne_u16_e32 0, v37
	s_cbranch_execz .LBB195_409
; %bb.402:                              ;   in Loop: Header=BB195_9 Depth=1
	v_mov_b64_e32 v[32:33], 0x8000000000000000
	s_mov_b32 s29, exec_lo
	v_cmpx_ne_u16_e32 0x80, v37
	s_cbranch_execz .LBB195_408
; %bb.403:                              ;   in Loop: Header=BB195_9 Depth=1
	v_and_b32_e32 v38, 0xffff, v37
	v_mov_b64_e32 v[32:33], 0x7f80000100000000
	s_mov_b32 s30, exec_lo
	s_delay_alu instid0(VALU_DEP_2) | instskip(NEXT) | instid1(VALU_DEP_1)
	v_and_b32_e32 v37, 0x7f, v38
	v_cmpx_ne_u32_e32 0x7f, v37
	s_cbranch_execz .LBB195_407
; %bb.404:                              ;   in Loop: Header=BB195_9 Depth=1
	v_dual_lshrrev_b32 v32, 3, v37 :: v_dual_bitop2_b32 v58, 7, v38 bitop3:0x40
	s_mov_b32 s31, exec_lo
	v_cmpx_gt_u32_e32 8, v37
; %bb.405:                              ;   in Loop: Header=BB195_9 Depth=1
	s_delay_alu instid0(VALU_DEP_2) | instskip(NEXT) | instid1(VALU_DEP_1)
	v_clz_i32_u32_e32 v32, v58
	v_min_u32_e32 v32, 32, v32
	s_delay_alu instid0(VALU_DEP_1) | instskip(NEXT) | instid1(VALU_DEP_1)
	v_subrev_nc_u32_e32 v33, 28, v32
	v_lshlrev_b64_e32 v[38:39], v33, v[58:59]
	s_delay_alu instid0(VALU_DEP_1)
	v_dual_sub_nc_u32 v32, 29, v32 :: v_dual_bitop2_b32 v58, 7, v38 bitop3:0x40
; %bb.406:                              ;   in Loop: Header=BB195_9 Depth=1
	s_or_b32 exec_lo, exec_lo, s31
	s_delay_alu instid0(VALU_DEP_1) | instskip(NEXT) | instid1(VALU_DEP_2)
	v_dual_lshlrev_b32 v33, 16, v36 :: v_dual_lshlrev_b32 v36, 20, v58
	v_lshl_add_u32 v32, v32, 23, 0x3c000000
	s_delay_alu instid0(VALU_DEP_2) | instskip(NEXT) | instid1(VALU_DEP_1)
	v_and_b32_e32 v33, 0x80000000, v33
	v_or3_b32 v33, v36, v33, v32
	v_mov_b32_e32 v32, v59
.LBB195_407:                            ;   in Loop: Header=BB195_9 Depth=1
	s_or_b32 exec_lo, exec_lo, s30
.LBB195_408:                            ;   in Loop: Header=BB195_9 Depth=1
	s_delay_alu instid0(SALU_CYCLE_1)
	s_or_b32 exec_lo, exec_lo, s29
.LBB195_409:                            ;   in Loop: Header=BB195_9 Depth=1
	s_delay_alu instid0(SALU_CYCLE_1)
	s_or_b32 exec_lo, exec_lo, s28
	global_load_u16 v36, v[72:73], off offset:1540
	v_mov_b64_e32 v[38:39], 0
	s_wait_loadcnt 0x0
	v_and_b32_e32 v40, 0xffff, v36
	v_and_b32_e32 v36, 0xff, v36
	s_delay_alu instid0(VALU_DEP_1)
	v_cmp_ne_u16_e64 s4, 0, v36
	v_mov_b64_e32 v[36:37], 0
	s_wait_xcnt 0x0
	s_and_saveexec_b32 s28, s4
	s_cbranch_execz .LBB195_417
; %bb.410:                              ;   in Loop: Header=BB195_9 Depth=1
	v_and_b32_e32 v38, 0xff, v40
	s_delay_alu instid0(VALU_DEP_1)
	v_cmp_ne_u16_e64 s4, 0x80, v38
	v_mov_b64_e32 v[38:39], 0x80000000
	s_and_saveexec_b32 s29, s4
	s_cbranch_execz .LBB195_416
; %bb.411:                              ;   in Loop: Header=BB195_9 Depth=1
	v_mov_b64_e32 v[38:39], 0x7f800001
	v_and_b32_e32 v41, 0x7f, v40
	s_mov_b32 s30, exec_lo
	s_delay_alu instid0(VALU_DEP_1)
	v_cmpx_ne_u32_e32 0x7f, v41
	s_cbranch_execz .LBB195_415
; %bb.412:                              ;   in Loop: Header=BB195_9 Depth=1
	v_dual_lshrrev_b32 v38, 3, v41 :: v_dual_bitop2_b32 v58, 7, v40 bitop3:0x40
	s_mov_b32 s31, exec_lo
	v_cmpx_gt_u32_e32 8, v41
; %bb.413:                              ;   in Loop: Header=BB195_9 Depth=1
	s_delay_alu instid0(VALU_DEP_2) | instskip(NEXT) | instid1(VALU_DEP_1)
	v_clz_i32_u32_e32 v38, v58
	v_min_u32_e32 v38, 32, v38
	s_delay_alu instid0(VALU_DEP_1) | instskip(SKIP_1) | instid1(VALU_DEP_2)
	v_subrev_nc_u32_e32 v39, 28, v38
	v_sub_nc_u32_e32 v38, 29, v38
	v_lshlrev_b64_e32 v[42:43], v39, v[58:59]
	s_delay_alu instid0(VALU_DEP_1)
	v_and_b32_e32 v58, 7, v42
; %bb.414:                              ;   in Loop: Header=BB195_9 Depth=1
	s_or_b32 exec_lo, exec_lo, s31
	s_delay_alu instid0(VALU_DEP_1) | instskip(SKIP_1) | instid1(VALU_DEP_2)
	v_dual_lshlrev_b32 v39, 24, v40 :: v_dual_lshlrev_b32 v41, 20, v58
	v_lshl_add_u32 v38, v38, 23, 0x3c000000
	v_and_b32_e32 v39, 0x80000000, v39
	s_delay_alu instid0(VALU_DEP_1) | instskip(NEXT) | instid1(VALU_DEP_1)
	v_or3_b32 v58, v41, v39, v38
	v_mov_b64_e32 v[38:39], v[58:59]
.LBB195_415:                            ;   in Loop: Header=BB195_9 Depth=1
	s_or_b32 exec_lo, exec_lo, s30
.LBB195_416:                            ;   in Loop: Header=BB195_9 Depth=1
	s_delay_alu instid0(SALU_CYCLE_1)
	s_or_b32 exec_lo, exec_lo, s29
.LBB195_417:                            ;   in Loop: Header=BB195_9 Depth=1
	s_delay_alu instid0(SALU_CYCLE_1) | instskip(SKIP_2) | instid1(VALU_DEP_1)
	s_or_b32 exec_lo, exec_lo, s28
	v_lshrrev_b16 v41, 8, v40
	s_mov_b32 s28, exec_lo
	v_cmpx_ne_u16_e32 0, v41
	s_cbranch_execz .LBB195_425
; %bb.418:                              ;   in Loop: Header=BB195_9 Depth=1
	v_mov_b64_e32 v[36:37], 0x8000000000000000
	s_mov_b32 s29, exec_lo
	v_cmpx_ne_u16_e32 0x80, v41
	s_cbranch_execz .LBB195_424
; %bb.419:                              ;   in Loop: Header=BB195_9 Depth=1
	v_and_b32_e32 v42, 0xffff, v41
	v_mov_b64_e32 v[36:37], 0x7f80000100000000
	s_mov_b32 s30, exec_lo
	s_delay_alu instid0(VALU_DEP_2) | instskip(NEXT) | instid1(VALU_DEP_1)
	v_and_b32_e32 v41, 0x7f, v42
	v_cmpx_ne_u32_e32 0x7f, v41
	s_cbranch_execz .LBB195_423
; %bb.420:                              ;   in Loop: Header=BB195_9 Depth=1
	v_dual_lshrrev_b32 v36, 3, v41 :: v_dual_bitop2_b32 v58, 7, v42 bitop3:0x40
	s_mov_b32 s31, exec_lo
	v_cmpx_gt_u32_e32 8, v41
; %bb.421:                              ;   in Loop: Header=BB195_9 Depth=1
	s_delay_alu instid0(VALU_DEP_2) | instskip(NEXT) | instid1(VALU_DEP_1)
	v_clz_i32_u32_e32 v36, v58
	v_min_u32_e32 v36, 32, v36
	s_delay_alu instid0(VALU_DEP_1) | instskip(NEXT) | instid1(VALU_DEP_1)
	v_subrev_nc_u32_e32 v37, 28, v36
	v_lshlrev_b64_e32 v[42:43], v37, v[58:59]
	s_delay_alu instid0(VALU_DEP_1)
	v_dual_sub_nc_u32 v36, 29, v36 :: v_dual_bitop2_b32 v58, 7, v42 bitop3:0x40
; %bb.422:                              ;   in Loop: Header=BB195_9 Depth=1
	s_or_b32 exec_lo, exec_lo, s31
	s_delay_alu instid0(VALU_DEP_1) | instskip(NEXT) | instid1(VALU_DEP_2)
	v_dual_lshlrev_b32 v37, 16, v40 :: v_dual_lshlrev_b32 v40, 20, v58
	v_lshl_add_u32 v36, v36, 23, 0x3c000000
	s_delay_alu instid0(VALU_DEP_2) | instskip(NEXT) | instid1(VALU_DEP_1)
	v_and_b32_e32 v37, 0x80000000, v37
	v_or3_b32 v37, v40, v37, v36
	v_mov_b32_e32 v36, v59
.LBB195_423:                            ;   in Loop: Header=BB195_9 Depth=1
	s_or_b32 exec_lo, exec_lo, s30
.LBB195_424:                            ;   in Loop: Header=BB195_9 Depth=1
	s_delay_alu instid0(SALU_CYCLE_1)
	s_or_b32 exec_lo, exec_lo, s29
.LBB195_425:                            ;   in Loop: Header=BB195_9 Depth=1
	s_delay_alu instid0(SALU_CYCLE_1)
	s_or_b32 exec_lo, exec_lo, s28
	global_load_u16 v40, v[72:73], off offset:1544
	v_mov_b64_e32 v[42:43], 0
	s_wait_loadcnt 0x0
	v_and_b32_e32 v44, 0xffff, v40
	v_and_b32_e32 v40, 0xff, v40
	s_delay_alu instid0(VALU_DEP_1)
	v_cmp_ne_u16_e64 s4, 0, v40
	v_mov_b64_e32 v[40:41], 0
	s_wait_xcnt 0x0
	s_and_saveexec_b32 s28, s4
	s_cbranch_execz .LBB195_433
; %bb.426:                              ;   in Loop: Header=BB195_9 Depth=1
	v_and_b32_e32 v42, 0xff, v44
	s_delay_alu instid0(VALU_DEP_1)
	v_cmp_ne_u16_e64 s4, 0x80, v42
	v_mov_b64_e32 v[42:43], 0x80000000
	s_and_saveexec_b32 s29, s4
	s_cbranch_execz .LBB195_432
; %bb.427:                              ;   in Loop: Header=BB195_9 Depth=1
	v_mov_b64_e32 v[42:43], 0x7f800001
	v_and_b32_e32 v45, 0x7f, v44
	s_mov_b32 s30, exec_lo
	s_delay_alu instid0(VALU_DEP_1)
	v_cmpx_ne_u32_e32 0x7f, v45
	s_cbranch_execz .LBB195_431
; %bb.428:                              ;   in Loop: Header=BB195_9 Depth=1
	v_dual_lshrrev_b32 v42, 3, v45 :: v_dual_bitop2_b32 v58, 7, v44 bitop3:0x40
	s_mov_b32 s31, exec_lo
	v_cmpx_gt_u32_e32 8, v45
; %bb.429:                              ;   in Loop: Header=BB195_9 Depth=1
	s_delay_alu instid0(VALU_DEP_2) | instskip(NEXT) | instid1(VALU_DEP_1)
	v_clz_i32_u32_e32 v42, v58
	v_min_u32_e32 v42, 32, v42
	s_delay_alu instid0(VALU_DEP_1) | instskip(SKIP_1) | instid1(VALU_DEP_2)
	v_subrev_nc_u32_e32 v43, 28, v42
	v_sub_nc_u32_e32 v42, 29, v42
	v_lshlrev_b64_e32 v[50:51], v43, v[58:59]
	s_delay_alu instid0(VALU_DEP_1)
	v_and_b32_e32 v58, 7, v50
; %bb.430:                              ;   in Loop: Header=BB195_9 Depth=1
	s_or_b32 exec_lo, exec_lo, s31
	s_delay_alu instid0(VALU_DEP_1) | instskip(SKIP_1) | instid1(VALU_DEP_2)
	v_dual_lshlrev_b32 v43, 24, v44 :: v_dual_lshlrev_b32 v45, 20, v58
	v_lshl_add_u32 v42, v42, 23, 0x3c000000
	v_and_b32_e32 v43, 0x80000000, v43
	s_delay_alu instid0(VALU_DEP_1) | instskip(NEXT) | instid1(VALU_DEP_1)
	v_or3_b32 v58, v45, v43, v42
	v_mov_b64_e32 v[42:43], v[58:59]
.LBB195_431:                            ;   in Loop: Header=BB195_9 Depth=1
	s_or_b32 exec_lo, exec_lo, s30
.LBB195_432:                            ;   in Loop: Header=BB195_9 Depth=1
	s_delay_alu instid0(SALU_CYCLE_1)
	s_or_b32 exec_lo, exec_lo, s29
.LBB195_433:                            ;   in Loop: Header=BB195_9 Depth=1
	s_delay_alu instid0(SALU_CYCLE_1) | instskip(SKIP_2) | instid1(VALU_DEP_1)
	s_or_b32 exec_lo, exec_lo, s28
	v_lshrrev_b16 v45, 8, v44
	s_mov_b32 s28, exec_lo
	v_cmpx_ne_u16_e32 0, v45
	s_cbranch_execz .LBB195_441
; %bb.434:                              ;   in Loop: Header=BB195_9 Depth=1
	v_mov_b64_e32 v[40:41], 0x8000000000000000
	s_mov_b32 s29, exec_lo
	v_cmpx_ne_u16_e32 0x80, v45
	s_cbranch_execz .LBB195_440
; %bb.435:                              ;   in Loop: Header=BB195_9 Depth=1
	v_and_b32_e32 v49, 0xffff, v45
	v_mov_b64_e32 v[40:41], 0x7f80000100000000
	s_mov_b32 s30, exec_lo
	s_delay_alu instid0(VALU_DEP_2) | instskip(NEXT) | instid1(VALU_DEP_1)
	v_and_b32_e32 v45, 0x7f, v49
	v_cmpx_ne_u32_e32 0x7f, v45
	s_cbranch_execz .LBB195_439
; %bb.436:                              ;   in Loop: Header=BB195_9 Depth=1
	v_and_b32_e32 v58, 7, v49
	v_lshrrev_b32_e32 v40, 3, v45
	s_mov_b32 s31, exec_lo
	v_cmpx_gt_u32_e32 8, v45
; %bb.437:                              ;   in Loop: Header=BB195_9 Depth=1
	s_delay_alu instid0(VALU_DEP_3) | instskip(NEXT) | instid1(VALU_DEP_1)
	v_clz_i32_u32_e32 v40, v58
	v_min_u32_e32 v40, 32, v40
	s_delay_alu instid0(VALU_DEP_1) | instskip(NEXT) | instid1(VALU_DEP_1)
	v_subrev_nc_u32_e32 v41, 28, v40
	v_lshlrev_b64_e32 v[50:51], v41, v[58:59]
	s_delay_alu instid0(VALU_DEP_1)
	v_dual_sub_nc_u32 v40, 29, v40 :: v_dual_bitop2_b32 v58, 7, v50 bitop3:0x40
; %bb.438:                              ;   in Loop: Header=BB195_9 Depth=1
	s_or_b32 exec_lo, exec_lo, s31
	s_delay_alu instid0(VALU_DEP_1) | instskip(NEXT) | instid1(VALU_DEP_2)
	v_dual_lshlrev_b32 v41, 16, v44 :: v_dual_lshlrev_b32 v44, 20, v58
	v_lshl_add_u32 v40, v40, 23, 0x3c000000
	s_delay_alu instid0(VALU_DEP_2) | instskip(NEXT) | instid1(VALU_DEP_1)
	v_and_b32_e32 v41, 0x80000000, v41
	v_or3_b32 v41, v44, v41, v40
	v_mov_b32_e32 v40, v59
.LBB195_439:                            ;   in Loop: Header=BB195_9 Depth=1
	s_or_b32 exec_lo, exec_lo, s30
.LBB195_440:                            ;   in Loop: Header=BB195_9 Depth=1
	s_delay_alu instid0(SALU_CYCLE_1)
	s_or_b32 exec_lo, exec_lo, s29
.LBB195_441:                            ;   in Loop: Header=BB195_9 Depth=1
	s_delay_alu instid0(SALU_CYCLE_1)
	s_or_b32 exec_lo, exec_lo, s28
	global_load_u16 v44, v[72:73], off offset:1548
	s_wait_xcnt 0x0
	v_mov_b64_e32 v[72:73], 0
	s_wait_loadcnt 0x0
	v_and_b32_e32 v49, 0xffff, v44
	v_and_b32_e32 v44, 0xff, v44
	s_delay_alu instid0(VALU_DEP_1)
	v_cmp_ne_u16_e64 s4, 0, v44
	v_mov_b64_e32 v[44:45], 0
	s_and_saveexec_b32 s28, s4
	s_cbranch_execz .LBB195_449
; %bb.442:                              ;   in Loop: Header=BB195_9 Depth=1
	v_mov_b64_e32 v[72:73], 0x80000000
	v_and_b32_e32 v50, 0xff, v49
	s_mov_b32 s29, exec_lo
	s_delay_alu instid0(VALU_DEP_1)
	v_cmpx_ne_u16_e32 0x80, v50
	s_cbranch_execz .LBB195_448
; %bb.443:                              ;   in Loop: Header=BB195_9 Depth=1
	v_mov_b64_e32 v[72:73], 0x7f800001
	v_and_b32_e32 v50, 0x7f, v49
	s_mov_b32 s30, exec_lo
	s_delay_alu instid0(VALU_DEP_1)
	v_cmpx_ne_u32_e32 0x7f, v50
	s_cbranch_execz .LBB195_447
; %bb.444:                              ;   in Loop: Header=BB195_9 Depth=1
	v_dual_lshrrev_b32 v72, 3, v50 :: v_dual_bitop2_b32 v58, 7, v49 bitop3:0x40
	s_mov_b32 s31, exec_lo
	v_cmpx_gt_u32_e32 8, v50
; %bb.445:                              ;   in Loop: Header=BB195_9 Depth=1
	s_delay_alu instid0(VALU_DEP_2) | instskip(NEXT) | instid1(VALU_DEP_1)
	v_clz_i32_u32_e32 v50, v58
	v_min_u32_e32 v52, 32, v50
	s_delay_alu instid0(VALU_DEP_1) | instskip(NEXT) | instid1(VALU_DEP_1)
	v_subrev_nc_u32_e32 v50, 28, v52
	v_lshlrev_b64_e32 v[50:51], v50, v[58:59]
	s_delay_alu instid0(VALU_DEP_1)
	v_dual_sub_nc_u32 v72, 29, v52 :: v_dual_bitop2_b32 v58, 7, v50 bitop3:0x40
; %bb.446:                              ;   in Loop: Header=BB195_9 Depth=1
	s_or_b32 exec_lo, exec_lo, s31
	s_delay_alu instid0(VALU_DEP_1) | instskip(NEXT) | instid1(VALU_DEP_2)
	v_dual_lshlrev_b32 v50, 24, v49 :: v_dual_lshlrev_b32 v51, 20, v58
	v_lshl_add_u32 v52, v72, 23, 0x3c000000
	s_delay_alu instid0(VALU_DEP_2) | instskip(NEXT) | instid1(VALU_DEP_1)
	v_and_b32_e32 v50, 0x80000000, v50
	v_or3_b32 v58, v51, v50, v52
	s_delay_alu instid0(VALU_DEP_1)
	v_mov_b64_e32 v[72:73], v[58:59]
.LBB195_447:                            ;   in Loop: Header=BB195_9 Depth=1
	s_or_b32 exec_lo, exec_lo, s30
.LBB195_448:                            ;   in Loop: Header=BB195_9 Depth=1
	s_delay_alu instid0(SALU_CYCLE_1)
	s_or_b32 exec_lo, exec_lo, s29
.LBB195_449:                            ;   in Loop: Header=BB195_9 Depth=1
	s_delay_alu instid0(SALU_CYCLE_1) | instskip(SKIP_2) | instid1(VALU_DEP_1)
	s_or_b32 exec_lo, exec_lo, s28
	v_lshrrev_b16 v58, 8, v49
	s_mov_b32 s28, exec_lo
	v_cmpx_ne_u16_e32 0, v58
	s_cbranch_execz .LBB195_457
; %bb.450:                              ;   in Loop: Header=BB195_9 Depth=1
	v_mov_b64_e32 v[44:45], 0x8000000000000000
	s_mov_b32 s29, exec_lo
	v_cmpx_ne_u16_e32 0x80, v58
	s_cbranch_execz .LBB195_456
; %bb.451:                              ;   in Loop: Header=BB195_9 Depth=1
	v_and_b32_e32 v51, 0xffff, v58
	v_mov_b64_e32 v[44:45], 0x7f80000100000000
	s_mov_b32 s30, exec_lo
	s_delay_alu instid0(VALU_DEP_2) | instskip(NEXT) | instid1(VALU_DEP_1)
	v_and_b32_e32 v50, 0x7f, v51
	v_cmpx_ne_u32_e32 0x7f, v50
	s_cbranch_execz .LBB195_455
; %bb.452:                              ;   in Loop: Header=BB195_9 Depth=1
	v_dual_lshrrev_b32 v44, 3, v50 :: v_dual_bitop2_b32 v58, 7, v51 bitop3:0x40
	s_mov_b32 s31, exec_lo
	v_cmpx_gt_u32_e32 8, v50
; %bb.453:                              ;   in Loop: Header=BB195_9 Depth=1
	s_delay_alu instid0(VALU_DEP_2) | instskip(NEXT) | instid1(VALU_DEP_1)
	v_clz_i32_u32_e32 v44, v58
	v_min_u32_e32 v44, 32, v44
	s_delay_alu instid0(VALU_DEP_1) | instskip(NEXT) | instid1(VALU_DEP_1)
	v_subrev_nc_u32_e32 v45, 28, v44
	v_lshlrev_b64_e32 v[50:51], v45, v[58:59]
	s_delay_alu instid0(VALU_DEP_1)
	v_dual_sub_nc_u32 v44, 29, v44 :: v_dual_bitop2_b32 v58, 7, v50 bitop3:0x40
; %bb.454:                              ;   in Loop: Header=BB195_9 Depth=1
	s_or_b32 exec_lo, exec_lo, s31
	s_delay_alu instid0(VALU_DEP_1) | instskip(NEXT) | instid1(VALU_DEP_2)
	v_dual_lshlrev_b32 v45, 16, v49 :: v_dual_lshlrev_b32 v49, 20, v58
	v_lshl_add_u32 v44, v44, 23, 0x3c000000
	s_delay_alu instid0(VALU_DEP_2) | instskip(NEXT) | instid1(VALU_DEP_1)
	v_and_b32_e32 v45, 0x80000000, v45
	v_or3_b32 v45, v49, v45, v44
	v_mov_b32_e32 v44, v59
.LBB195_455:                            ;   in Loop: Header=BB195_9 Depth=1
	s_or_b32 exec_lo, exec_lo, s30
.LBB195_456:                            ;   in Loop: Header=BB195_9 Depth=1
	s_delay_alu instid0(SALU_CYCLE_1)
	s_or_b32 exec_lo, exec_lo, s29
.LBB195_457:                            ;   in Loop: Header=BB195_9 Depth=1
	s_delay_alu instid0(SALU_CYCLE_1)
	s_or_b32 exec_lo, exec_lo, s28
	v_or_b32_e32 v53, v111, v113
	v_or_b32_e32 v52, v110, v112
	;; [unrolled: 1-line block ×4, first 2 shown]
	scratch_load_b128 v[108:111], off, off offset:4 ; 16-byte Folded Reload
	v_or_b32_e32 v67, v65, v67
	v_or_b32_e32 v66, v64, v66
	v_mov_b64_e32 v[64:65], s[20:21]
	v_or_b32_e32 v69, v69, v71
	v_or_b32_e32 v68, v68, v70
	;; [unrolled: 1-line block ×6, first 2 shown]
	v_pk_mul_f32 v[68:69], v[64:65], v[68:69]
	v_or_b32_e32 v119, v119, v121
	v_or_b32_e32 v118, v118, v120
	v_pk_mul_f32 v[66:67], v[64:65], v[66:67]
	v_or_b32_e32 v83, v83, v85
	v_or_b32_e32 v82, v82, v84
	;; [unrolled: 1-line block ×8, first 2 shown]
	s_delay_alu instid0(VALU_DEP_3) | instskip(NEXT) | instid1(VALU_DEP_2)
	v_pk_mul_f32 v[0:1], v[64:65], v[0:1]
	v_pk_mul_f32 v[4:5], v[64:65], v[4:5]
	s_wait_loadcnt 0x0
	v_dual_mul_f32 v49, v110, v68 :: v_dual_mul_f32 v58, v111, v69
	scratch_load_b128 v[68:71], off, off offset:20 ; 16-byte Folded Reload
	v_or_b32_e32 v51, v115, v117
	v_dual_fmac_f32 v49, v108, v66 :: v_dual_bitop2_b32 v50, v114, v116 bitop3:0x54
	v_fmac_f32_e32 v58, v109, v67
	v_pk_mul_f32 v[66:67], v[64:65], v[74:75]
	s_delay_alu instid0(VALU_DEP_3) | instskip(SKIP_1) | instid1(VALU_DEP_2)
	v_pk_mul_f32 v[50:51], v[64:65], v[50:51]
	s_wait_loadcnt 0x0
	v_dual_fmac_f32 v49, v68, v66 :: v_dual_fmac_f32 v58, v69, v67
	v_pk_mul_f32 v[66:67], v[64:65], v[78:79]
	v_pk_mul_f32 v[52:53], v[64:65], v[52:53]
	s_delay_alu instid0(VALU_DEP_2) | instskip(SKIP_4) | instid1(VALU_DEP_2)
	v_dual_fmac_f32 v49, v70, v66 :: v_dual_fmac_f32 v58, v71, v67
	scratch_load_b128 v[68:71], off, off offset:36 ; 16-byte Folded Reload
	v_pk_mul_f32 v[66:67], v[64:65], v[82:83]
	v_or_b32_e32 v103, v103, v105
	s_wait_loadcnt 0x0
	v_dual_fmac_f32 v58, v69, v67 :: v_dual_bitop2_b32 v102, v102, v104 bitop3:0x54
	s_delay_alu instid0(VALU_DEP_3) | instskip(SKIP_2) | instid1(VALU_DEP_2)
	v_fmac_f32_e32 v49, v68, v66
	v_pk_mul_f32 v[66:67], v[64:65], v[86:87]
	v_or_b32_e32 v99, v99, v101
	v_dual_fmac_f32 v58, v71, v67 :: v_dual_bitop2_b32 v98, v98, v100 bitop3:0x54
	s_delay_alu instid0(VALU_DEP_3) | instskip(SKIP_3) | instid1(VALU_DEP_1)
	v_fmac_f32_e32 v49, v70, v66
	scratch_load_b128 v[68:71], off, off offset:52 ; 16-byte Folded Reload
	v_or_b32_e32 v91, v91, v93
	v_or_b32_e32 v90, v90, v92
	v_pk_mul_f32 v[66:67], v[64:65], v[90:91]
	v_or_b32_e32 v95, v95, v97
	s_wait_loadcnt 0x0
	s_delay_alu instid0(VALU_DEP_2) | instskip(NEXT) | instid1(VALU_DEP_3)
	v_dual_fmac_f32 v58, v69, v67 :: v_dual_bitop2_b32 v94, v94, v96 bitop3:0x54
	v_fmac_f32_e32 v49, v68, v66
	s_delay_alu instid0(VALU_DEP_2) | instskip(NEXT) | instid1(VALU_DEP_1)
	v_pk_mul_f32 v[66:67], v[64:65], v[94:95]
	v_dual_fmac_f32 v49, v70, v66 :: v_dual_fmac_f32 v58, v71, v67
	scratch_load_b128 v[68:71], off, off offset:68 ; 16-byte Folded Reload
	v_pk_mul_f32 v[66:67], v[64:65], v[98:99]
	s_wait_loadcnt 0x0
	s_delay_alu instid0(VALU_DEP_1) | instskip(SKIP_1) | instid1(VALU_DEP_1)
	v_dual_fmac_f32 v49, v68, v66 :: v_dual_fmac_f32 v58, v69, v67
	v_pk_mul_f32 v[66:67], v[64:65], v[102:103]
	v_dual_fmac_f32 v49, v70, v66 :: v_dual_fmac_f32 v58, v71, v67
	scratch_load_b128 v[68:71], off, off offset:84 ; 16-byte Folded Reload
	v_pk_mul_f32 v[66:67], v[64:65], v[106:107]
	s_wait_loadcnt 0x0
	s_delay_alu instid0(VALU_DEP_1) | instskip(SKIP_1) | instid1(VALU_DEP_2)
	v_dual_fmac_f32 v49, v68, v66 :: v_dual_fmac_f32 v58, v69, v67
	v_pk_mul_f32 v[66:67], v[64:65], v[118:119]
	v_dual_fmac_f32 v49, v70, v52 :: v_dual_fmac_f32 v58, v71, v53
	scratch_load_b128 v[68:71], off, off offset:100 ; 16-byte Folded Reload
	s_wait_loadcnt 0x0
	v_dual_fmac_f32 v49, v68, v50 :: v_dual_fmac_f32 v58, v69, v51
	s_delay_alu instid0(VALU_DEP_1) | instskip(SKIP_3) | instid1(VALU_DEP_1)
	v_dual_fmac_f32 v49, v70, v66 :: v_dual_fmac_f32 v58, v71, v67
	scratch_load_b128 v[66:69], off, off offset:116 ; 16-byte Folded Reload
	v_or_b32_e32 v53, v123, v125
	v_or_b32_e32 v52, v122, v124
	v_pk_mul_f32 v[52:53], v[64:65], v[52:53]
	s_wait_loadcnt 0x0
	s_delay_alu instid0(VALU_DEP_1) | instskip(NEXT) | instid1(VALU_DEP_2)
	v_dual_fmac_f32 v49, v66, v52 :: v_dual_bitop2_b32 v51, v127, v61 bitop3:0x54
	v_dual_fmac_f32 v58, v67, v53 :: v_dual_bitop2_b32 v50, v126, v60 bitop3:0x54
	s_delay_alu instid0(VALU_DEP_1) | instskip(NEXT) | instid1(VALU_DEP_1)
	v_pk_mul_f32 v[2:3], v[64:65], v[50:51]
	v_dual_fmac_f32 v49, v68, v2 :: v_dual_fmac_f32 v58, v69, v3
	v_or_b32_e32 v3, v9, v11
	v_or_b32_e32 v2, v8, v10
	scratch_load_b128 v[6:9], off, off offset:132 ; 16-byte Folded Reload
	v_pk_mul_f32 v[2:3], v[64:65], v[2:3]
	s_wait_loadcnt 0x0
	v_dual_fmac_f32 v49, v6, v0 :: v_dual_fmac_f32 v58, v7, v1
	s_delay_alu instid0(VALU_DEP_1) | instskip(SKIP_4) | instid1(VALU_DEP_1)
	v_dual_fmac_f32 v49, v8, v4 :: v_dual_fmac_f32 v58, v9, v5
	scratch_load_b128 v[6:9], off, off offset:148 ; 16-byte Folded Reload
	s_wait_loadcnt 0x0
	v_dual_fmac_f32 v49, v6, v2 :: v_dual_bitop2_b32 v1, v13, v15 bitop3:0x54
	v_dual_fmac_f32 v58, v7, v3 :: v_dual_bitop2_b32 v0, v12, v14 bitop3:0x54
	v_pk_mul_f32 v[0:1], v[64:65], v[0:1]
	s_delay_alu instid0(VALU_DEP_1) | instskip(SKIP_3) | instid1(VALU_DEP_1)
	v_dual_fmac_f32 v49, v8, v0 :: v_dual_fmac_f32 v58, v9, v1
	scratch_load_b128 v[6:9], off, off offset:164 ; 16-byte Folded Reload
	v_or_b32_e32 v5, v17, v19
	v_or_b32_e32 v4, v16, v18
	v_pk_mul_f32 v[4:5], v[64:65], v[4:5]
	s_wait_loadcnt 0x0
	s_delay_alu instid0(VALU_DEP_1) | instskip(NEXT) | instid1(VALU_DEP_2)
	v_dual_fmac_f32 v49, v6, v4 :: v_dual_bitop2_b32 v3, v21, v23 bitop3:0x54
	v_dual_fmac_f32 v58, v7, v5 :: v_dual_bitop2_b32 v2, v20, v22 bitop3:0x54
	s_delay_alu instid0(VALU_DEP_1) | instskip(NEXT) | instid1(VALU_DEP_1)
	v_pk_mul_f32 v[2:3], v[64:65], v[2:3]
	v_dual_fmac_f32 v49, v8, v2 :: v_dual_fmac_f32 v58, v9, v3
	scratch_load_b128 v[6:9], off, off offset:180 ; 16-byte Folded Reload
	v_or_b32_e32 v1, v25, v27
	v_or_b32_e32 v0, v24, v26
	s_delay_alu instid0(VALU_DEP_1) | instskip(SKIP_1) | instid1(VALU_DEP_1)
	v_pk_mul_f32 v[0:1], v[64:65], v[0:1]
	s_wait_loadcnt 0x0
	v_dual_fmac_f32 v49, v6, v0 :: v_dual_bitop2_b32 v5, v29, v31 bitop3:0x54
	s_delay_alu instid0(VALU_DEP_2) | instskip(NEXT) | instid1(VALU_DEP_1)
	v_dual_fmac_f32 v58, v7, v1 :: v_dual_bitop2_b32 v4, v28, v30 bitop3:0x54
	v_pk_mul_f32 v[4:5], v[64:65], v[4:5]
	s_delay_alu instid0(VALU_DEP_1) | instskip(SKIP_3) | instid1(VALU_DEP_1)
	v_dual_fmac_f32 v49, v8, v4 :: v_dual_fmac_f32 v58, v9, v5
	scratch_load_b128 v[6:9], off, off offset:196 ; 16-byte Folded Reload
	v_or_b32_e32 v3, v33, v35
	v_or_b32_e32 v2, v32, v34
	v_pk_mul_f32 v[2:3], v[64:65], v[2:3]
	s_wait_loadcnt 0x0
	s_delay_alu instid0(VALU_DEP_1) | instskip(NEXT) | instid1(VALU_DEP_2)
	v_dual_fmac_f32 v49, v6, v2 :: v_dual_bitop2_b32 v1, v37, v39 bitop3:0x54
	v_dual_fmac_f32 v58, v7, v3 :: v_dual_bitop2_b32 v0, v36, v38 bitop3:0x54
	s_delay_alu instid0(VALU_DEP_1) | instskip(NEXT) | instid1(VALU_DEP_1)
	v_pk_mul_f32 v[0:1], v[64:65], v[0:1]
	v_dual_fmac_f32 v49, v8, v0 :: v_dual_bitop2_b32 v5, v41, v43 bitop3:0x54
	s_delay_alu instid0(VALU_DEP_2) | instskip(NEXT) | instid1(VALU_DEP_1)
	v_dual_fmac_f32 v58, v9, v1 :: v_dual_bitop2_b32 v4, v40, v42 bitop3:0x54
	v_pk_mul_f32 v[4:5], v[64:65], v[4:5]
	s_delay_alu instid0(VALU_DEP_1) | instskip(NEXT) | instid1(VALU_DEP_2)
	v_dual_fmac_f32 v49, v54, v4 :: v_dual_bitop2_b32 v3, v45, v73 bitop3:0x54
	v_dual_fmac_f32 v58, v55, v5 :: v_dual_bitop2_b32 v2, v44, v72 bitop3:0x54
	s_delay_alu instid0(VALU_DEP_1) | instskip(NEXT) | instid1(VALU_DEP_1)
	v_pk_mul_f32 v[0:1], v[64:65], v[2:3]
	v_fmac_f32_e32 v58, v57, v1
	scratch_load_b32 v1, off, off offset:212 ; 4-byte Folded Reload
	v_fmac_f32_e32 v49, v56, v0
	s_delay_alu instid0(VALU_DEP_1)
	v_add_f32_e32 v0, v49, v58
	s_wait_loadcnt 0x0
	ds_bpermute_b32 v1, v1, v0
	s_wait_xcnt 0x0
	s_and_saveexec_b32 s28, vcc_lo
	s_cbranch_execz .LBB195_8
; %bb.458:                              ;   in Loop: Header=BB195_9 Depth=1
	scratch_load_b32 v3, off, off           ; 4-byte Folded Reload
	s_wait_dscnt 0x0
	v_dual_add_nc_u32 v2, s11, v46 :: v_dual_add_f32 v0, v0, v1
	v_cmp_gt_i32_e64 s4, s25, v46
	s_delay_alu instid0(VALU_DEP_2) | instskip(NEXT) | instid1(VALU_DEP_1)
	v_cvt_f32_i32_e32 v2, v2
	v_mul_f32_e32 v2, s18, v2
	s_wait_loadcnt 0x0
	s_delay_alu instid0(VALU_DEP_1) | instskip(NEXT) | instid1(VALU_DEP_1)
	v_dual_cndmask_b32 v1, 0, v2, s3 :: v_dual_max_num_f32 v2, v3, v3
	v_fmac_f32_e32 v1, s19, v0
	s_delay_alu instid0(VALU_DEP_1) | instskip(NEXT) | instid1(VALU_DEP_1)
	v_dual_max_num_f32 v0, v2, v1 :: v_dual_cndmask_b32 v1, 0, v1, s4
	v_cndmask_b32_e64 v3, v3, v0, s4
	ds_store_b32 v47, v1
	scratch_store_b32 off, v3, off          ; 4-byte Folded Spill
	s_branch .LBB195_8
.LBB195_459:
	s_or_b32 exec_lo, exec_lo, s5
	s_clause 0x3
	scratch_load_b32 v22, off, off offset:232
	scratch_load_b32 v24, off, off offset:236
	;; [unrolled: 1-line block ×3, first 2 shown]
	scratch_load_b32 v3, off, off
	v_mov_b32_e32 v8, 32
.LBB195_460:
	s_wait_xcnt 0x0
	s_or_b32 exec_lo, exec_lo, s26
	s_wait_loadcnt 0x1
	v_xor_b32_e32 v0, 16, v10
	s_wait_kmcnt 0x0
	s_clause 0x1
	s_load_b64 s[4:5], s[0:1], 0x0
	s_load_b64 s[18:19], s[0:1], 0x18
	v_xor_b32_e32 v2, 8, v10
	v_cmp_lt_i32_e32 vcc_lo, v0, v8
	v_cndmask_b32_e32 v0, v10, v0, vcc_lo
	s_delay_alu instid0(VALU_DEP_3) | instskip(NEXT) | instid1(VALU_DEP_2)
	v_cmp_lt_i32_e32 vcc_lo, v2, v8
	v_dual_lshlrev_b32 v0, 2, v0 :: v_dual_cndmask_b32 v2, v10, v2, vcc_lo
	s_wait_loadcnt_dscnt 0x0
	ds_bpermute_b32 v1, v0, v3
	s_wait_dscnt 0x0
	v_dual_max_num_f32 v3, v3, v3 :: v_dual_max_num_f32 v4, v1, v1
	s_delay_alu instid0(VALU_DEP_1)
	v_dual_lshlrev_b32 v1, 2, v2 :: v_dual_max_num_f32 v3, v3, v4
	v_xor_b32_e32 v4, 4, v10
	ds_bpermute_b32 v2, v1, v3
	v_cmp_lt_i32_e32 vcc_lo, v4, v8
	s_wait_dscnt 0x0
	v_max_num_f32_e32 v5, v2, v2
	s_delay_alu instid0(VALU_DEP_1) | instskip(NEXT) | instid1(VALU_DEP_1)
	v_dual_cndmask_b32 v4, v10, v4 :: v_dual_max_num_f32 v3, v3, v5
	v_lshlrev_b32_e32 v2, 2, v4
	ds_bpermute_b32 v4, v2, v3
	s_wait_dscnt 0x0
	v_dual_max_num_f32 v4, v4, v4 :: v_dual_bitop2_b32 v5, 2, v10 bitop3:0x14
	s_delay_alu instid0(VALU_DEP_1) | instskip(NEXT) | instid1(VALU_DEP_2)
	v_cmp_lt_i32_e32 vcc_lo, v5, v8
	v_dual_max_num_f32 v4, v3, v4 :: v_dual_cndmask_b32 v5, v10, v5
	scratch_load_b32 v3, off, off offset:224 ; 4-byte Folded Reload
	s_wait_loadcnt 0x0
	v_dual_lshlrev_b32 v85, 2, v5 :: v_dual_bitop2_b32 v84, 31, v3 bitop3:0x40
	scratch_load_b32 v3, off, off offset:228 ; 4-byte Folded Reload
	ds_bpermute_b32 v5, v85, v4
	v_cmp_eq_u32_e32 vcc_lo, 0, v84
	s_wait_loadcnt 0x0
	v_lshlrev_b32_e32 v3, 2, v3
	s_wait_xcnt 0x0
	s_and_saveexec_b32 s0, vcc_lo
	s_cbranch_execz .LBB195_462
; %bb.461:
	s_wait_dscnt 0x0
	v_dual_max_num_f32 v5, v5, v5 :: v_dual_max_num_f32 v4, v4, v4
	s_delay_alu instid0(VALU_DEP_1)
	v_max_num_f32_e32 v4, v4, v5
	ds_store_b32 v3, v4 offset:448
.LBB195_462:
	s_or_b32 exec_lo, exec_lo, s0
	v_cmp_gt_u32_e64 s0, 4, v84
	s_wait_dscnt 0x0
	v_dual_mov_b32 v5, 0xff7fffff :: v_dual_lshlrev_b32 v4, 2, v84
	s_wait_storecnt 0x0
	s_barrier_signal -1
	s_barrier_wait -1
	s_and_saveexec_b32 s1, s0
; %bb.463:
	ds_load_b32 v5, v4 offset:448
; %bb.464:
	s_or_b32 exec_lo, exec_lo, s1
	s_wait_dscnt 0x0
	ds_bpermute_b32 v6, v85, v5
	v_dual_max_num_f32 v5, v5, v5 :: v_dual_bitop2_b32 v7, 1, v10 bitop3:0x14
	s_delay_alu instid0(VALU_DEP_1) | instskip(SKIP_2) | instid1(VALU_DEP_2)
	v_cmp_lt_i32_e64 s1, v7, v8
	s_wait_dscnt 0x0
	v_max_num_f32_e32 v6, v6, v6
	v_cndmask_b32_e64 v7, v10, v7, s1
	s_lshl_b32 s1, s13, 4
	s_delay_alu instid0(SALU_CYCLE_1) | instskip(NEXT) | instid1(VALU_DEP_1)
	s_min_i32 s11, s1, s25
	v_dual_max_num_f32 v5, v5, v6 :: v_dual_lshlrev_b32 v86, 2, v7
	ds_bpermute_b32 v6, v86, v5
	s_wait_dscnt 0x0
	v_max_num_f32_e32 v6, v6, v6
	s_delay_alu instid0(VALU_DEP_1)
	v_dual_max_num_f32 v5, v5, v6 :: v_dual_lshlrev_b32 v6, 2, v59
	ds_bpermute_b32 v6, v6, v5
	scratch_load_b32 v5, off, off offset:224 ; 4-byte Folded Reload
	s_wait_loadcnt 0x0
	v_cmp_gt_i32_e64 s1, s11, v5
	v_mov_b32_e32 v5, 0
	s_and_saveexec_b32 s20, s1
	s_cbranch_execz .LBB195_468
; %bb.465:
	scratch_load_b32 v8, off, off offset:224 ; 4-byte Folded Reload
	v_mov_b32_e32 v5, 0
	s_mov_b32 s21, 0
	s_wait_loadcnt 0x0
	v_lshl_add_u32 v7, v8, 2, 0x1e0
.LBB195_466:                            ; =>This Inner Loop Header: Depth=1
	ds_load_b32 v9, v7
	v_add_nc_u32_e32 v8, 0x80, v8
	s_delay_alu instid0(VALU_DEP_1) | instskip(SKIP_3) | instid1(VALU_DEP_1)
	v_cmp_le_i32_e64 s3, s11, v8
	s_or_b32 s21, s3, s21
	s_wait_dscnt 0x0
	v_sub_f32_e32 v9, v9, v6
	v_mul_f32_e32 v9, 0x3fb8aa3b, v9
	s_delay_alu instid0(VALU_DEP_1)
	v_exp_f32_e32 v9, v9
	ds_store_b32 v7, v9
	v_nop
	v_add_f32_e32 v5, v5, v9
	v_add_nc_u32_e32 v7, 0x200, v7
	s_and_not1_b32 exec_lo, exec_lo, s21
	s_cbranch_execnz .LBB195_466
; %bb.467:
	s_or_b32 exec_lo, exec_lo, s21
.LBB195_468:
	s_delay_alu instid0(SALU_CYCLE_1)
	s_or_b32 exec_lo, exec_lo, s20
	ds_bpermute_b32 v0, v0, v5
	s_wait_dscnt 0x0
	v_add_f32_e32 v0, v5, v0
	ds_bpermute_b32 v1, v1, v0
	s_wait_dscnt 0x0
	v_add_f32_e32 v0, v0, v1
	;; [unrolled: 3-line block ×5, first 2 shown]
	s_and_saveexec_b32 s3, vcc_lo
; %bb.469:
	ds_store_b32 v3, v0 offset:464
; %bb.470:
	s_or_b32 exec_lo, exec_lo, s3
	s_wait_dscnt 0x0
	s_barrier_signal -1
	s_barrier_wait -1
	s_and_saveexec_b32 s3, s0
; %bb.471:
	ds_load_b32 v0, v4 offset:464
; %bb.472:
	s_or_b32 exec_lo, exec_lo, s3
	s_wait_dscnt 0x0
	ds_bpermute_b32 v1, v85, v0
	s_wait_dscnt 0x0
	v_dual_lshlrev_b32 v2, 2, v10 :: v_dual_add_f32 v0, v0, v1
	ds_bpermute_b32 v1, v86, v0
	s_wait_dscnt 0x0
	v_add_f32_e32 v0, v0, v1
	v_and_b32_e32 v1, 0xffffff80, v2
	ds_bpermute_b32 v0, v1, v0
	s_and_saveexec_b32 s0, s1
	s_cbranch_execz .LBB195_485
; %bb.473:
	s_wait_dscnt 0x0
	v_add_f32_e32 v0, 0x358637bd, v0
	s_mov_b32 s3, -1
	s_mov_b32 s1, exec_lo
	s_delay_alu instid0(VALU_DEP_1) | instskip(NEXT) | instid1(VALU_DEP_1)
	v_div_scale_f32 v1, null, v0, v0, 1.0
	v_rcp_f32_e32 v3, v1
	v_nop
	s_delay_alu instid0(TRANS32_DEP_1) | instskip(NEXT) | instid1(VALU_DEP_1)
	v_fma_f32 v2, -v1, v3, 1.0
	v_fmac_f32_e32 v3, v2, v3
	v_div_scale_f32 v4, vcc_lo, 1.0, v0, 1.0
	s_delay_alu instid0(VALU_DEP_1) | instskip(NEXT) | instid1(VALU_DEP_1)
	v_mul_f32_e32 v5, v4, v3
	v_fma_f32 v2, -v1, v5, v4
	s_delay_alu instid0(VALU_DEP_1) | instskip(NEXT) | instid1(VALU_DEP_1)
	v_fmac_f32_e32 v5, v2, v3
	v_fma_f32 v1, -v1, v5, v4
	scratch_load_b32 v4, off, off offset:224 ; 4-byte Folded Reload
	v_div_fmas_f32 v1, v1, v3, v5
	s_delay_alu instid0(VALU_DEP_1) | instskip(SKIP_3) | instid1(VALU_DEP_2)
	v_div_fixup_f32 v0, v1, v0, 1.0
	s_wait_loadcnt 0x0
	v_xad_u32 v2, v4, -1, s11
	v_mov_b32_e32 v1, v4
	v_cmpx_lt_u32_e32 0x7f, v2
	s_cbranch_execz .LBB195_482
; %bb.474:
	v_dual_mov_b32 v1, v0 :: v_dual_lshrrev_b32 v2, 7, v2
	s_delay_alu instid0(VALU_DEP_1) | instskip(NEXT) | instid1(VALU_DEP_1)
	v_dual_mov_b32 v6, 0 :: v_dual_add_nc_u32 v3, -1, v2
	v_lshrrev_b32_e32 v4, 1, v3
	v_cmp_lt_u32_e32 vcc_lo, 13, v3
	s_delay_alu instid0(VALU_DEP_2)
	v_add_nc_u32_e32 v3, 1, v4
	s_and_saveexec_b32 s3, vcc_lo
	s_cbranch_execz .LBB195_478
; %bb.475:
	scratch_load_b32 v5, off, off offset:224 ; 4-byte Folded Reload
	v_and_b32_e32 v4, -8, v3
	s_mov_b32 s20, 0
	s_mov_b32 s21, 0
	s_wait_loadcnt 0x0
	v_lshl_add_u32 v5, v5, 2, 0x1e0
.LBB195_476:                            ; =>This Inner Loop Header: Depth=1
	ds_load_2addr_stride64_b32 v[6:7], v5 offset1:2
	ds_load_2addr_stride64_b32 v[8:9], v5 offset0:4 offset1:6
	ds_load_2addr_stride64_b32 v[10:11], v5 offset0:8 offset1:10
	;; [unrolled: 1-line block ×7, first 2 shown]
	s_add_co_i32 s21, s21, 16
	v_add_nc_u32_e32 v4, -8, v4
	s_wait_dscnt 0x7
	v_pk_mul_f32 v[6:7], v[0:1], v[6:7]
	s_wait_dscnt 0x6
	v_pk_mul_f32 v[8:9], v[0:1], v[8:9]
	;; [unrolled: 2-line block ×8, first 2 shown]
	ds_store_2addr_stride64_b32 v5, v6, v7 offset1:2
	ds_store_2addr_stride64_b32 v5, v8, v9 offset0:4 offset1:6
	ds_store_2addr_stride64_b32 v5, v10, v11 offset0:8 offset1:10
	;; [unrolled: 1-line block ×7, first 2 shown]
	v_mov_b32_e32 v6, s21
	v_cmp_eq_u32_e32 vcc_lo, 0, v4
	v_add_nc_u32_e32 v5, 0x2000, v5
	s_or_b32 s20, vcc_lo, s20
	s_delay_alu instid0(SALU_CYCLE_1)
	s_and_not1_b32 exec_lo, exec_lo, s20
	s_cbranch_execnz .LBB195_476
; %bb.477:
	s_or_b32 exec_lo, exec_lo, s20
.LBB195_478:
	s_delay_alu instid0(SALU_CYCLE_1) | instskip(NEXT) | instid1(VALU_DEP_1)
	s_or_b32 exec_lo, exec_lo, s3
	v_and_b32_e32 v3, 7, v3
	s_mov_b32 s20, 0
	s_mov_b32 s3, exec_lo
	s_delay_alu instid0(VALU_DEP_1)
	v_cmpx_ne_u32_e32 0, v3
	s_cbranch_execz .LBB195_481
; %bb.479:
	v_lshlrev_b32_e32 v4, 9, v6
	s_delay_alu instid0(VALU_DEP_1)
	v_add3_u32 v4, v4, v22, 0x1e0
.LBB195_480:                            ; =>This Inner Loop Header: Depth=1
	ds_load_2addr_stride64_b32 v[6:7], v4 offset1:2
	v_add_nc_u32_e32 v3, -1, v3
	s_delay_alu instid0(VALU_DEP_1)
	v_cmp_eq_u32_e32 vcc_lo, 0, v3
	s_or_b32 s20, vcc_lo, s20
	s_wait_dscnt 0x0
	v_pk_mul_f32 v[6:7], v[0:1], v[6:7]
	ds_store_2addr_stride64_b32 v4, v6, v7 offset1:2
	v_add_nc_u32_e32 v4, 0x400, v4
	s_and_not1_b32 exec_lo, exec_lo, s20
	s_cbranch_execnz .LBB195_480
.LBB195_481:
	s_or_b32 exec_lo, exec_lo, s3
	v_add_nc_u32_e32 v1, 1, v2
	s_delay_alu instid0(VALU_DEP_1) | instskip(NEXT) | instid1(VALU_DEP_1)
	v_and_b32_e32 v2, 0x3fffffe, v1
	v_cmp_ne_u32_e32 vcc_lo, v1, v2
	scratch_load_b32 v1, off, off offset:224 ; 4-byte Folded Reload
	s_or_not1_b32 s3, vcc_lo, exec_lo
	s_wait_loadcnt 0x0
	v_lshl_add_u32 v1, v2, 7, v1
.LBB195_482:
	s_or_b32 exec_lo, exec_lo, s1
	s_delay_alu instid0(SALU_CYCLE_1)
	s_and_b32 exec_lo, exec_lo, s3
	s_cbranch_execz .LBB195_485
; %bb.483:
	s_delay_alu instid0(VALU_DEP_1)
	v_lshl_add_u32 v2, v1, 2, 0x1e0
	s_mov_b32 s1, 0
.LBB195_484:                            ; =>This Inner Loop Header: Depth=1
	ds_load_b32 v3, v2
	v_add_nc_u32_e32 v1, 0x80, v1
	s_delay_alu instid0(VALU_DEP_1)
	v_cmp_le_i32_e32 vcc_lo, s11, v1
	s_or_b32 s1, vcc_lo, s1
	s_wait_dscnt 0x0
	v_mul_f32_e32 v3, v0, v3
	ds_store_b32 v2, v3
	v_add_nc_u32_e32 v2, 0x200, v2
	s_and_not1_b32 exec_lo, exec_lo, s1
	s_cbranch_execnz .LBB195_484
.LBB195_485:
	s_or_b32 exec_lo, exec_lo, s0
	s_wait_dscnt 0x0
	scratch_load_b32 v0, off, off offset:224 ; 4-byte Folded Reload
	v_dual_mov_b32 v7, 0 :: v_dual_mov_b32 v6, 0
	v_dual_mov_b32 v9, 0 :: v_dual_mov_b32 v8, 0
	;; [unrolled: 1-line block ×7, first 2 shown]
	s_wait_loadcnt 0x0
	s_barrier_signal -1
	s_barrier_wait -1
	v_and_b32_e32 v87, 3, v0
	s_wait_xcnt 0x0
	s_and_saveexec_b32 s1, s2
	s_cbranch_execz .LBB195_965
; %bb.486:
	scratch_load_b32 v90, off, off offset:228 ; 4-byte Folded Reload
	s_load_b32 s2, s[6:7], 0x0
	v_dual_mov_b32 v21, 0 :: v_dual_bitop2_b32 v0, 12, v22 bitop3:0x40
	v_and_b32_e32 v20, 0x7c, v22
	s_ashr_i32 s11, s10, 31
	v_dual_lshlrev_b32 v1, 4, v87 :: v_dual_mov_b32 v7, 0
	s_wait_kmcnt 0x0
	s_add_nc_u64 s[10:11], s[18:19], s[10:11]
	s_lshl_b64 s[14:15], s[14:15], 2
	v_add_nc_u64_e32 v[22:23], s[10:11], v[20:21]
	v_and_b32_e32 v20, 0x7c, v24
	s_add_nc_u64 s[10:11], s[16:17], s[14:15]
	v_dual_mov_b32 v6, 0 :: v_dual_mov_b32 v9, 0
	v_dual_mov_b32 v11, 0 :: v_dual_mov_b32 v10, 0
	s_delay_alu instid0(VALU_DEP_3)
	v_add_nc_u64_e32 v[24:25], s[10:11], v[20:21]
	v_dual_mov_b32 v13, 0 :: v_dual_mov_b32 v12, 0
	v_dual_mov_b32 v15, 0 :: v_dual_mov_b32 v14, 0
	;; [unrolled: 1-line block ×4, first 2 shown]
	s_mov_b32 s6, s9
	s_mov_b32 s3, s2
	s_add_co_i32 s7, s13, -1
	s_mov_b32 s10, s25
	s_mov_b32 s9, 0
	s_wait_loadcnt 0x0
	v_lshl_or_b32 v1, v90, 6, v1
	v_mov_b32_e32 v8, 0
	v_lshl_or_b32 v88, v90, 4, v0
	s_delay_alu instid0(VALU_DEP_3)
	v_add_nc_u32_e32 v89, 0x1e0, v1
	s_branch .LBB195_488
.LBB195_487:                            ;   in Loop: Header=BB195_488 Depth=1
	s_or_b32 exec_lo, exec_lo, s0
	s_wait_dscnt 0x0
	v_mul_f32_e32 v72, v2, v72
	v_mul_f32_e32 v20, v2, v76
	;; [unrolled: 1-line block ×4, first 2 shown]
	v_add_nc_u64_e32 v[24:25], 16, v[24:25]
	v_fmac_f32_e32 v72, v3, v73
	v_fmac_f32_e32 v20, v3, v77
	;; [unrolled: 1-line block ×3, first 2 shown]
	v_dual_fmac_f32 v68, v3, v69 :: v_dual_add_nc_u32 v88, 64, v88
	s_delay_alu instid0(VALU_DEP_3) | instskip(NEXT) | instid1(VALU_DEP_3)
	v_dual_mul_f32 v60, v2, v60 :: v_dual_fmac_f32 v20, v4, v74
	v_fmac_f32_e32 v64, v4, v62
	v_mul_f32_e32 v46, v2, v46
	s_delay_alu instid0(VALU_DEP_3) | instskip(NEXT) | instid1(VALU_DEP_4)
	v_dual_mul_f32 v50, v2, v50 :: v_dual_fmac_f32 v60, v3, v61
	v_fmac_f32_e32 v20, v5, v75
	v_fmac_f32_e32 v72, v4, v70
	s_delay_alu instid0(VALU_DEP_3) | instskip(NEXT) | instid1(VALU_DEP_3)
	v_dual_mul_f32 v54, v2, v54 :: v_dual_fmac_f32 v50, v3, v51
	v_dual_fmac_f32 v60, v4, v58 :: v_dual_add_f32 v6, v6, v20
	v_dual_mul_f32 v20, v2, v56 :: v_dual_fmac_f32 v64, v5, v63
	s_delay_alu instid0(VALU_DEP_4) | instskip(NEXT) | instid1(VALU_DEP_2)
	v_dual_fmac_f32 v72, v5, v71 :: v_dual_mul_f32 v42, v2, v42
	v_dual_fmac_f32 v54, v3, v55 :: v_dual_fmac_f32 v20, v3, v57
	s_delay_alu instid0(VALU_DEP_3) | instskip(NEXT) | instid1(VALU_DEP_3)
	v_dual_add_f32 v11, v11, v64 :: v_dual_fmac_f32 v68, v4, v66
	v_add_f32_e32 v9, v9, v72
	s_delay_alu instid0(VALU_DEP_3) | instskip(NEXT) | instid1(VALU_DEP_4)
	v_dual_fmac_f32 v60, v5, v59 :: v_dual_fmac_f32 v54, v4, v52
	v_dual_fmac_f32 v46, v3, v47 :: v_dual_fmac_f32 v20, v4, v0
	s_delay_alu instid0(VALU_DEP_4) | instskip(NEXT) | instid1(VALU_DEP_3)
	v_dual_fmac_f32 v68, v5, v67 :: v_dual_fmac_f32 v50, v4, v48
	v_dual_add_f32 v10, v10, v60 :: v_dual_fmac_f32 v54, v5, v53
	s_delay_alu instid0(VALU_DEP_3) | instskip(NEXT) | instid1(VALU_DEP_3)
	v_dual_fmac_f32 v46, v4, v44 :: v_dual_fmac_f32 v20, v5, v1
	v_fmac_f32_e32 v50, v5, v49
	v_dual_fmac_f32 v42, v3, v43 :: v_dual_mul_f32 v28, v2, v28
	v_pk_mul_f32 v[0:1], v[2:3], v[78:79]
	s_delay_alu instid0(VALU_DEP_4) | instskip(NEXT) | instid1(VALU_DEP_3)
	v_dual_add_f32 v13, v13, v20 :: v_dual_mul_f32 v20, v2, v38
	v_dual_mul_f32 v34, v2, v34 :: v_dual_fmac_f32 v28, v3, v29
	s_delay_alu instid0(VALU_DEP_3) | instskip(SKIP_1) | instid1(VALU_DEP_4)
	v_dual_add_f32 v0, v1, v0 :: v_dual_add_f32 v12, v12, v54
	v_dual_fmac_f32 v46, v5, v45 :: v_dual_add_f32 v15, v15, v50
	v_fmac_f32_e32 v20, v3, v39
	s_delay_alu instid0(VALU_DEP_4) | instskip(NEXT) | instid1(VALU_DEP_3)
	v_fmac_f32_e32 v34, v3, v35
	v_dual_fmac_f32 v42, v4, v40 :: v_dual_add_f32 v14, v14, v46
	v_pk_mul_f32 v[2:3], v[4:5], v[30:31]
	v_fmac_f32_e32 v28, v4, v26
	s_delay_alu instid0(VALU_DEP_3) | instskip(SKIP_1) | instid1(VALU_DEP_4)
	v_dual_add_f32 v8, v8, v68 :: v_dual_fmac_f32 v42, v5, v41
	v_fmac_f32_e32 v20, v4, v36
	v_add_f32_e32 v0, v2, v0
	v_dual_fmac_f32 v34, v4, v32 :: v_dual_add_nc_u32 v90, 4, v90
	s_delay_alu instid0(VALU_DEP_4) | instskip(NEXT) | instid1(VALU_DEP_3)
	v_add_f32_e32 v17, v17, v42
	v_dual_fmac_f32 v20, v5, v37 :: v_dual_add_f32 v0, v3, v0
	s_delay_alu instid0(VALU_DEP_3) | instskip(NEXT) | instid1(VALU_DEP_4)
	v_dual_fmac_f32 v34, v5, v33 :: v_dual_fmac_f32 v28, v5, v27
	v_cmp_le_i32_e32 vcc_lo, s13, v90
	s_delay_alu instid0(VALU_DEP_3) | instskip(NEXT) | instid1(VALU_DEP_4)
	v_add_f32_e32 v16, v16, v20
	v_add_f32_e32 v7, v7, v0
	s_delay_alu instid0(VALU_DEP_4) | instskip(SKIP_2) | instid1(SALU_CYCLE_1)
	v_dual_add_f32 v19, v19, v34 :: v_dual_add_f32 v18, v18, v28
	v_add_nc_u32_e32 v89, 0x100, v89
	s_or_b32 s9, vcc_lo, s9
	s_and_not1_b32 exec_lo, exec_lo, s9
	s_cbranch_execz .LBB195_964
.LBB195_488:                            ; =>This Inner Loop Header: Depth=1
	global_load_b32 v0, v[24:25], off
	ds_load_b128 v[2:5], v89
	v_mov_b64_e32 v[26:27], 0
	s_mov_b32 s0, exec_lo
	s_wait_loadcnt 0x0
	v_mad_nc_i64_i32 v[30:31], v0, s6, v[22:23]
	v_mov_b64_e32 v[0:1], 0
	global_load_b32 v34, v[30:31], off
	s_wait_loadcnt 0x0
	v_and_b32_e32 v20, 0xff, v34
	s_delay_alu instid0(VALU_DEP_1)
	v_cmpx_ne_u16_e32 0, v20
	s_cbranch_execz .LBB195_496
; %bb.489:                              ;   in Loop: Header=BB195_488 Depth=1
	v_mov_b64_e32 v[26:27], 0x80000000
	s_mov_b32 s11, exec_lo
	v_cmpx_ne_u16_e32 0x80, v20
	s_cbranch_execz .LBB195_495
; %bb.490:                              ;   in Loop: Header=BB195_488 Depth=1
	v_mov_b64_e32 v[26:27], 0x7f800001
	v_and_b32_e32 v28, 0x7f, v34
	s_mov_b32 s14, exec_lo
	s_delay_alu instid0(VALU_DEP_1)
	v_cmpx_ne_u32_e32 0x7f, v28
	s_cbranch_execz .LBB195_494
; %bb.491:                              ;   in Loop: Header=BB195_488 Depth=1
	v_dual_lshrrev_b32 v26, 3, v28 :: v_dual_bitop2_b32 v20, 7, v34 bitop3:0x40
	s_mov_b32 s15, exec_lo
	v_cmpx_gt_u32_e32 8, v28
; %bb.492:                              ;   in Loop: Header=BB195_488 Depth=1
	s_delay_alu instid0(VALU_DEP_2) | instskip(NEXT) | instid1(VALU_DEP_1)
	v_clz_i32_u32_e32 v26, v20
	v_min_u32_e32 v26, 32, v26
	s_delay_alu instid0(VALU_DEP_1) | instskip(NEXT) | instid1(VALU_DEP_1)
	v_subrev_nc_u32_e32 v27, 28, v26
	v_lshlrev_b64_e32 v[28:29], v27, v[20:21]
	s_delay_alu instid0(VALU_DEP_1)
	v_dual_sub_nc_u32 v26, 29, v26 :: v_dual_bitop2_b32 v20, 7, v28 bitop3:0x40
; %bb.493:                              ;   in Loop: Header=BB195_488 Depth=1
	s_or_b32 exec_lo, exec_lo, s15
	s_delay_alu instid0(VALU_DEP_1) | instskip(NEXT) | instid1(VALU_DEP_2)
	v_dual_lshlrev_b32 v27, 24, v34 :: v_dual_lshlrev_b32 v20, 20, v20
	v_lshl_add_u32 v26, v26, 23, 0x3c000000
	s_delay_alu instid0(VALU_DEP_2) | instskip(NEXT) | instid1(VALU_DEP_1)
	v_and_b32_e32 v27, 0x80000000, v27
	v_or3_b32 v20, v20, v27, v26
	s_delay_alu instid0(VALU_DEP_1)
	v_mov_b64_e32 v[26:27], v[20:21]
.LBB195_494:                            ;   in Loop: Header=BB195_488 Depth=1
	s_or_b32 exec_lo, exec_lo, s14
.LBB195_495:                            ;   in Loop: Header=BB195_488 Depth=1
	s_delay_alu instid0(SALU_CYCLE_1)
	s_or_b32 exec_lo, exec_lo, s11
.LBB195_496:                            ;   in Loop: Header=BB195_488 Depth=1
	s_delay_alu instid0(SALU_CYCLE_1) | instskip(SKIP_2) | instid1(VALU_DEP_1)
	s_or_b32 exec_lo, exec_lo, s0
	v_lshrrev_b16 v20, 8, v34
	s_mov_b32 s0, exec_lo
	v_cmpx_ne_u16_e32 0, v20
	s_cbranch_execz .LBB195_504
; %bb.497:                              ;   in Loop: Header=BB195_488 Depth=1
	v_mov_b64_e32 v[0:1], 0x8000000000000000
	s_mov_b32 s11, exec_lo
	v_cmpx_ne_u16_e32 0x80, v20
	s_cbranch_execz .LBB195_503
; %bb.498:                              ;   in Loop: Header=BB195_488 Depth=1
	v_and_b32_e32 v20, 0xffff, v20
	v_mov_b64_e32 v[0:1], 0x7f80000100000000
	s_mov_b32 s14, exec_lo
	s_delay_alu instid0(VALU_DEP_2) | instskip(NEXT) | instid1(VALU_DEP_1)
	v_and_b32_e32 v28, 0x7f, v20
	v_cmpx_ne_u32_e32 0x7f, v28
	s_cbranch_execz .LBB195_502
; %bb.499:                              ;   in Loop: Header=BB195_488 Depth=1
	v_and_b32_e32 v20, 7, v20
	v_lshrrev_b32_e32 v0, 3, v28
	s_mov_b32 s15, exec_lo
	v_cmpx_gt_u32_e32 8, v28
; %bb.500:                              ;   in Loop: Header=BB195_488 Depth=1
	s_delay_alu instid0(VALU_DEP_3) | instskip(NEXT) | instid1(VALU_DEP_1)
	v_clz_i32_u32_e32 v0, v20
	v_min_u32_e32 v0, 32, v0
	s_delay_alu instid0(VALU_DEP_1) | instskip(SKIP_1) | instid1(VALU_DEP_2)
	v_subrev_nc_u32_e32 v1, 28, v0
	v_sub_nc_u32_e32 v0, 29, v0
	v_lshlrev_b64_e32 v[28:29], v1, v[20:21]
	s_delay_alu instid0(VALU_DEP_1)
	v_and_b32_e32 v20, 7, v28
; %bb.501:                              ;   in Loop: Header=BB195_488 Depth=1
	s_or_b32 exec_lo, exec_lo, s15
	s_delay_alu instid0(VALU_DEP_1) | instskip(SKIP_1) | instid1(VALU_DEP_2)
	v_dual_lshlrev_b32 v1, 16, v34 :: v_dual_lshlrev_b32 v20, 20, v20
	v_lshl_add_u32 v0, v0, 23, 0x3c000000
	v_and_b32_e32 v1, 0x80000000, v1
	s_delay_alu instid0(VALU_DEP_1)
	v_or3_b32 v1, v20, v1, v0
	v_mov_b32_e32 v0, v21
.LBB195_502:                            ;   in Loop: Header=BB195_488 Depth=1
	s_or_b32 exec_lo, exec_lo, s14
.LBB195_503:                            ;   in Loop: Header=BB195_488 Depth=1
	s_delay_alu instid0(SALU_CYCLE_1)
	s_or_b32 exec_lo, exec_lo, s11
.LBB195_504:                            ;   in Loop: Header=BB195_488 Depth=1
	s_delay_alu instid0(SALU_CYCLE_1) | instskip(SKIP_4) | instid1(VALU_DEP_3)
	s_or_b32 exec_lo, exec_lo, s0
	v_lshrrev_b32_e32 v35, 16, v34
	v_mov_b64_e32 v[28:29], 0
	v_mov_b64_e32 v[32:33], 0
	s_mov_b32 s0, exec_lo
	v_and_b32_e32 v20, 0xff, v35
	s_delay_alu instid0(VALU_DEP_1)
	v_cmpx_ne_u16_e32 0, v20
	s_cbranch_execz .LBB195_512
; %bb.505:                              ;   in Loop: Header=BB195_488 Depth=1
	v_mov_b64_e32 v[32:33], 0x80000000
	s_mov_b32 s11, exec_lo
	v_cmpx_ne_u16_e32 0x80, v20
	s_cbranch_execz .LBB195_511
; %bb.506:                              ;   in Loop: Header=BB195_488 Depth=1
	v_mov_b64_e32 v[32:33], 0x7f800001
	v_bfe_u32 v36, v34, 16, 7
	s_mov_b32 s14, exec_lo
	s_delay_alu instid0(VALU_DEP_1)
	v_cmpx_ne_u32_e32 0x7f, v36
	s_cbranch_execz .LBB195_510
; %bb.507:                              ;   in Loop: Header=BB195_488 Depth=1
	v_dual_lshrrev_b32 v32, 3, v36 :: v_dual_bitop2_b32 v20, 7, v35 bitop3:0x40
	s_mov_b32 s15, exec_lo
	v_cmpx_gt_u32_e32 8, v36
; %bb.508:                              ;   in Loop: Header=BB195_488 Depth=1
	s_delay_alu instid0(VALU_DEP_2) | instskip(NEXT) | instid1(VALU_DEP_1)
	v_clz_i32_u32_e32 v32, v20
	v_min_u32_e32 v32, 32, v32
	s_delay_alu instid0(VALU_DEP_1) | instskip(SKIP_1) | instid1(VALU_DEP_2)
	v_subrev_nc_u32_e32 v33, 28, v32
	v_sub_nc_u32_e32 v32, 29, v32
	v_lshlrev_b64_e32 v[36:37], v33, v[20:21]
	s_delay_alu instid0(VALU_DEP_1)
	v_and_b32_e32 v20, 7, v36
; %bb.509:                              ;   in Loop: Header=BB195_488 Depth=1
	s_or_b32 exec_lo, exec_lo, s15
	s_delay_alu instid0(VALU_DEP_1) | instskip(SKIP_1) | instid1(VALU_DEP_2)
	v_dual_lshlrev_b32 v33, 24, v35 :: v_dual_lshlrev_b32 v20, 20, v20
	v_lshl_add_u32 v32, v32, 23, 0x3c000000
	v_and_b32_e32 v33, 0x80000000, v33
	s_delay_alu instid0(VALU_DEP_1) | instskip(NEXT) | instid1(VALU_DEP_1)
	v_or3_b32 v20, v20, v33, v32
	v_mov_b64_e32 v[32:33], v[20:21]
.LBB195_510:                            ;   in Loop: Header=BB195_488 Depth=1
	s_or_b32 exec_lo, exec_lo, s14
.LBB195_511:                            ;   in Loop: Header=BB195_488 Depth=1
	s_delay_alu instid0(SALU_CYCLE_1)
	s_or_b32 exec_lo, exec_lo, s11
.LBB195_512:                            ;   in Loop: Header=BB195_488 Depth=1
	s_delay_alu instid0(SALU_CYCLE_1) | instskip(NEXT) | instid1(SALU_CYCLE_1)
	s_or_b32 exec_lo, exec_lo, s0
	s_mov_b32 s0, exec_lo
	v_cmpx_lt_u32_e32 0xffffff, v34
	s_cbranch_execz .LBB195_520
; %bb.513:                              ;   in Loop: Header=BB195_488 Depth=1
	v_mov_b64_e32 v[28:29], 0x8000000000000000
	v_lshrrev_b32_e32 v35, 24, v34
	s_mov_b32 s11, exec_lo
	s_delay_alu instid0(VALU_DEP_1)
	v_cmpx_ne_u32_e32 0x80, v35
	s_cbranch_execz .LBB195_519
; %bb.514:                              ;   in Loop: Header=BB195_488 Depth=1
	v_mov_b64_e32 v[28:29], 0x7f80000100000000
	v_bfe_u32 v34, v34, 24, 7
	s_mov_b32 s14, exec_lo
	s_delay_alu instid0(VALU_DEP_1)
	v_cmpx_ne_u32_e32 0x7f, v34
	s_cbranch_execz .LBB195_518
; %bb.515:                              ;   in Loop: Header=BB195_488 Depth=1
	v_dual_lshrrev_b32 v28, 3, v34 :: v_dual_bitop2_b32 v20, 7, v35 bitop3:0x40
	s_mov_b32 s15, exec_lo
	v_cmpx_gt_u32_e32 8, v34
; %bb.516:                              ;   in Loop: Header=BB195_488 Depth=1
	s_delay_alu instid0(VALU_DEP_2) | instskip(NEXT) | instid1(VALU_DEP_1)
	v_clz_i32_u32_e32 v28, v20
	v_min_u32_e32 v28, 32, v28
	s_delay_alu instid0(VALU_DEP_1) | instskip(SKIP_1) | instid1(VALU_DEP_2)
	v_subrev_nc_u32_e32 v29, 28, v28
	v_sub_nc_u32_e32 v28, 29, v28
	v_lshlrev_b64_e32 v[36:37], v29, v[20:21]
	s_delay_alu instid0(VALU_DEP_1)
	v_and_b32_e32 v20, 7, v36
; %bb.517:                              ;   in Loop: Header=BB195_488 Depth=1
	s_or_b32 exec_lo, exec_lo, s15
	s_delay_alu instid0(VALU_DEP_1) | instskip(SKIP_1) | instid1(VALU_DEP_2)
	v_dual_lshlrev_b32 v29, 24, v35 :: v_dual_lshlrev_b32 v20, 20, v20
	v_lshl_add_u32 v28, v28, 23, 0x3c000000
	v_and_b32_e32 v29, 0x80000000, v29
	s_delay_alu instid0(VALU_DEP_1)
	v_or3_b32 v29, v20, v29, v28
	v_mov_b32_e32 v28, v21
.LBB195_518:                            ;   in Loop: Header=BB195_488 Depth=1
	s_or_b32 exec_lo, exec_lo, s14
.LBB195_519:                            ;   in Loop: Header=BB195_488 Depth=1
	s_delay_alu instid0(SALU_CYCLE_1)
	s_or_b32 exec_lo, exec_lo, s11
.LBB195_520:                            ;   in Loop: Header=BB195_488 Depth=1
	s_delay_alu instid0(SALU_CYCLE_1)
	s_or_b32 exec_lo, exec_lo, s0
	v_dual_add_nc_u32 v91, 1, v88 :: v_dual_bitop2_b32 v1, v1, v27 bitop3:0x54
	v_dual_add_nc_u32 v83, 2, v88 :: v_dual_bitop2_b32 v0, v0, v26 bitop3:0x54
	v_mov_b64_e32 v[26:27], s[2:3]
	v_dual_add_nc_u32 v82, 3, v88 :: v_dual_bitop2_b32 v33, v29, v33 bitop3:0x54
	v_or_b32_e32 v32, v28, v32
	v_cmp_eq_u32_e32 vcc_lo, s7, v90
	s_delay_alu instid0(VALU_DEP_4) | instskip(NEXT) | instid1(VALU_DEP_3)
	v_pk_mul_f32 v[28:29], v[26:27], v[0:1]
	v_pk_mul_f32 v[26:27], v[26:27], v[32:33]
	s_and_saveexec_b32 s11, vcc_lo
	s_cbranch_execz .LBB195_522
; %bb.521:                              ;   in Loop: Header=BB195_488 Depth=1
	v_cmp_gt_i32_e64 s0, s25, v88
	s_delay_alu instid0(VALU_DEP_1) | instskip(SKIP_1) | instid1(VALU_DEP_1)
	v_cndmask_b32_e64 v28, 0, v28, s0
	v_cmp_gt_i32_e64 s0, s25, v91
	v_cndmask_b32_e64 v29, 0, v29, s0
	v_cmp_gt_i32_e64 s0, s25, v83
	s_delay_alu instid0(VALU_DEP_1) | instskip(SKIP_1) | instid1(VALU_DEP_1)
	v_cndmask_b32_e64 v26, 0, v26, s0
	v_cmp_gt_i32_e64 s0, s25, v82
	v_cndmask_b32_e64 v27, 0, v27, s0
.LBB195_522:                            ;   in Loop: Header=BB195_488 Depth=1
	s_or_b32 exec_lo, exec_lo, s11
	global_load_b32 v38, v[30:31], off offset:128
	v_mov_b64_e32 v[0:1], 0
	v_mov_b64_e32 v[32:33], 0
	s_mov_b32 s11, exec_lo
	s_wait_loadcnt 0x0
	v_and_b32_e32 v20, 0xff, v38
	s_delay_alu instid0(VALU_DEP_1)
	v_cmpx_ne_u16_e32 0, v20
	s_cbranch_execz .LBB195_530
; %bb.523:                              ;   in Loop: Header=BB195_488 Depth=1
	v_mov_b64_e32 v[32:33], 0x80000000
	s_mov_b32 s14, exec_lo
	v_cmpx_ne_u16_e32 0x80, v20
	s_cbranch_execz .LBB195_529
; %bb.524:                              ;   in Loop: Header=BB195_488 Depth=1
	v_mov_b64_e32 v[32:33], 0x7f800001
	v_and_b32_e32 v34, 0x7f, v38
	s_mov_b32 s15, exec_lo
	s_delay_alu instid0(VALU_DEP_1)
	v_cmpx_ne_u32_e32 0x7f, v34
	s_cbranch_execz .LBB195_528
; %bb.525:                              ;   in Loop: Header=BB195_488 Depth=1
	v_and_b32_e32 v20, 7, v38
	v_lshrrev_b32_e32 v32, 3, v34
	s_mov_b32 s16, exec_lo
	v_cmpx_gt_u32_e32 8, v34
; %bb.526:                              ;   in Loop: Header=BB195_488 Depth=1
	s_delay_alu instid0(VALU_DEP_3) | instskip(NEXT) | instid1(VALU_DEP_1)
	v_clz_i32_u32_e32 v32, v20
	v_min_u32_e32 v32, 32, v32
	s_delay_alu instid0(VALU_DEP_1) | instskip(NEXT) | instid1(VALU_DEP_1)
	v_subrev_nc_u32_e32 v33, 28, v32
	v_lshlrev_b64_e32 v[34:35], v33, v[20:21]
	s_delay_alu instid0(VALU_DEP_1)
	v_dual_sub_nc_u32 v32, 29, v32 :: v_dual_bitop2_b32 v20, 7, v34 bitop3:0x40
; %bb.527:                              ;   in Loop: Header=BB195_488 Depth=1
	s_or_b32 exec_lo, exec_lo, s16
	s_delay_alu instid0(VALU_DEP_1) | instskip(NEXT) | instid1(VALU_DEP_2)
	v_dual_lshlrev_b32 v33, 24, v38 :: v_dual_lshlrev_b32 v20, 20, v20
	v_lshl_add_u32 v32, v32, 23, 0x3c000000
	s_delay_alu instid0(VALU_DEP_2) | instskip(NEXT) | instid1(VALU_DEP_1)
	v_and_b32_e32 v33, 0x80000000, v33
	v_or3_b32 v20, v20, v33, v32
	s_delay_alu instid0(VALU_DEP_1)
	v_mov_b64_e32 v[32:33], v[20:21]
.LBB195_528:                            ;   in Loop: Header=BB195_488 Depth=1
	s_or_b32 exec_lo, exec_lo, s15
.LBB195_529:                            ;   in Loop: Header=BB195_488 Depth=1
	s_delay_alu instid0(SALU_CYCLE_1)
	s_or_b32 exec_lo, exec_lo, s14
.LBB195_530:                            ;   in Loop: Header=BB195_488 Depth=1
	s_delay_alu instid0(SALU_CYCLE_1) | instskip(SKIP_2) | instid1(VALU_DEP_1)
	s_or_b32 exec_lo, exec_lo, s11
	v_lshrrev_b16 v20, 8, v38
	s_mov_b32 s11, exec_lo
	v_cmpx_ne_u16_e32 0, v20
	s_cbranch_execz .LBB195_538
; %bb.531:                              ;   in Loop: Header=BB195_488 Depth=1
	v_mov_b64_e32 v[0:1], 0x8000000000000000
	s_mov_b32 s14, exec_lo
	v_cmpx_ne_u16_e32 0x80, v20
	s_cbranch_execz .LBB195_537
; %bb.532:                              ;   in Loop: Header=BB195_488 Depth=1
	v_and_b32_e32 v20, 0xffff, v20
	v_mov_b64_e32 v[0:1], 0x7f80000100000000
	s_mov_b32 s15, exec_lo
	s_delay_alu instid0(VALU_DEP_2) | instskip(NEXT) | instid1(VALU_DEP_1)
	v_and_b32_e32 v34, 0x7f, v20
	v_cmpx_ne_u32_e32 0x7f, v34
	s_cbranch_execz .LBB195_536
; %bb.533:                              ;   in Loop: Header=BB195_488 Depth=1
	v_dual_lshrrev_b32 v0, 3, v34 :: v_dual_bitop2_b32 v20, 7, v20 bitop3:0x40
	s_mov_b32 s16, exec_lo
	v_cmpx_gt_u32_e32 8, v34
; %bb.534:                              ;   in Loop: Header=BB195_488 Depth=1
	s_delay_alu instid0(VALU_DEP_2) | instskip(NEXT) | instid1(VALU_DEP_1)
	v_clz_i32_u32_e32 v0, v20
	v_min_u32_e32 v0, 32, v0
	s_delay_alu instid0(VALU_DEP_1) | instskip(NEXT) | instid1(VALU_DEP_1)
	v_subrev_nc_u32_e32 v1, 28, v0
	v_lshlrev_b64_e32 v[34:35], v1, v[20:21]
	s_delay_alu instid0(VALU_DEP_1)
	v_dual_sub_nc_u32 v0, 29, v0 :: v_dual_bitop2_b32 v20, 7, v34 bitop3:0x40
; %bb.535:                              ;   in Loop: Header=BB195_488 Depth=1
	s_or_b32 exec_lo, exec_lo, s16
	s_delay_alu instid0(VALU_DEP_1) | instskip(NEXT) | instid1(VALU_DEP_2)
	v_dual_lshlrev_b32 v1, 16, v38 :: v_dual_lshlrev_b32 v20, 20, v20
	v_lshl_add_u32 v0, v0, 23, 0x3c000000
	s_delay_alu instid0(VALU_DEP_2) | instskip(NEXT) | instid1(VALU_DEP_1)
	v_and_b32_e32 v1, 0x80000000, v1
	v_or3_b32 v1, v20, v1, v0
	v_mov_b32_e32 v0, v21
.LBB195_536:                            ;   in Loop: Header=BB195_488 Depth=1
	s_or_b32 exec_lo, exec_lo, s15
.LBB195_537:                            ;   in Loop: Header=BB195_488 Depth=1
	s_delay_alu instid0(SALU_CYCLE_1)
	s_or_b32 exec_lo, exec_lo, s14
.LBB195_538:                            ;   in Loop: Header=BB195_488 Depth=1
	s_delay_alu instid0(SALU_CYCLE_1) | instskip(SKIP_4) | instid1(VALU_DEP_3)
	s_or_b32 exec_lo, exec_lo, s11
	v_lshrrev_b32_e32 v39, 16, v38
	v_mov_b64_e32 v[34:35], 0
	v_mov_b64_e32 v[36:37], 0
	s_mov_b32 s11, exec_lo
	v_and_b32_e32 v20, 0xff, v39
	s_delay_alu instid0(VALU_DEP_1)
	v_cmpx_ne_u16_e32 0, v20
	s_cbranch_execz .LBB195_546
; %bb.539:                              ;   in Loop: Header=BB195_488 Depth=1
	v_mov_b64_e32 v[36:37], 0x80000000
	s_mov_b32 s14, exec_lo
	v_cmpx_ne_u16_e32 0x80, v20
	s_cbranch_execz .LBB195_545
; %bb.540:                              ;   in Loop: Header=BB195_488 Depth=1
	v_mov_b64_e32 v[36:37], 0x7f800001
	v_bfe_u32 v40, v38, 16, 7
	s_mov_b32 s15, exec_lo
	s_delay_alu instid0(VALU_DEP_1)
	v_cmpx_ne_u32_e32 0x7f, v40
	s_cbranch_execz .LBB195_544
; %bb.541:                              ;   in Loop: Header=BB195_488 Depth=1
	v_dual_lshrrev_b32 v36, 3, v40 :: v_dual_bitop2_b32 v20, 7, v39 bitop3:0x40
	s_mov_b32 s16, exec_lo
	v_cmpx_gt_u32_e32 8, v40
; %bb.542:                              ;   in Loop: Header=BB195_488 Depth=1
	s_delay_alu instid0(VALU_DEP_2) | instskip(NEXT) | instid1(VALU_DEP_1)
	v_clz_i32_u32_e32 v36, v20
	v_min_u32_e32 v36, 32, v36
	s_delay_alu instid0(VALU_DEP_1) | instskip(SKIP_1) | instid1(VALU_DEP_2)
	v_subrev_nc_u32_e32 v37, 28, v36
	v_sub_nc_u32_e32 v36, 29, v36
	v_lshlrev_b64_e32 v[40:41], v37, v[20:21]
	s_delay_alu instid0(VALU_DEP_1)
	v_and_b32_e32 v20, 7, v40
; %bb.543:                              ;   in Loop: Header=BB195_488 Depth=1
	s_or_b32 exec_lo, exec_lo, s16
	s_delay_alu instid0(VALU_DEP_1) | instskip(SKIP_1) | instid1(VALU_DEP_2)
	v_dual_lshlrev_b32 v37, 24, v39 :: v_dual_lshlrev_b32 v20, 20, v20
	v_lshl_add_u32 v36, v36, 23, 0x3c000000
	v_and_b32_e32 v37, 0x80000000, v37
	s_delay_alu instid0(VALU_DEP_1) | instskip(NEXT) | instid1(VALU_DEP_1)
	v_or3_b32 v20, v20, v37, v36
	v_mov_b64_e32 v[36:37], v[20:21]
.LBB195_544:                            ;   in Loop: Header=BB195_488 Depth=1
	s_or_b32 exec_lo, exec_lo, s15
.LBB195_545:                            ;   in Loop: Header=BB195_488 Depth=1
	s_delay_alu instid0(SALU_CYCLE_1)
	s_or_b32 exec_lo, exec_lo, s14
.LBB195_546:                            ;   in Loop: Header=BB195_488 Depth=1
	s_delay_alu instid0(SALU_CYCLE_1) | instskip(NEXT) | instid1(SALU_CYCLE_1)
	s_or_b32 exec_lo, exec_lo, s11
	s_mov_b32 s11, exec_lo
	v_cmpx_lt_u32_e32 0xffffff, v38
	s_cbranch_execz .LBB195_554
; %bb.547:                              ;   in Loop: Header=BB195_488 Depth=1
	v_mov_b64_e32 v[34:35], 0x8000000000000000
	v_lshrrev_b32_e32 v39, 24, v38
	s_mov_b32 s14, exec_lo
	s_delay_alu instid0(VALU_DEP_1)
	v_cmpx_ne_u32_e32 0x80, v39
	s_cbranch_execz .LBB195_553
; %bb.548:                              ;   in Loop: Header=BB195_488 Depth=1
	v_mov_b64_e32 v[34:35], 0x7f80000100000000
	v_bfe_u32 v38, v38, 24, 7
	s_mov_b32 s15, exec_lo
	s_delay_alu instid0(VALU_DEP_1)
	v_cmpx_ne_u32_e32 0x7f, v38
	s_cbranch_execz .LBB195_552
; %bb.549:                              ;   in Loop: Header=BB195_488 Depth=1
	v_dual_lshrrev_b32 v34, 3, v38 :: v_dual_bitop2_b32 v20, 7, v39 bitop3:0x40
	s_mov_b32 s16, exec_lo
	v_cmpx_gt_u32_e32 8, v38
; %bb.550:                              ;   in Loop: Header=BB195_488 Depth=1
	s_delay_alu instid0(VALU_DEP_2) | instskip(NEXT) | instid1(VALU_DEP_1)
	v_clz_i32_u32_e32 v34, v20
	v_min_u32_e32 v34, 32, v34
	s_delay_alu instid0(VALU_DEP_1) | instskip(NEXT) | instid1(VALU_DEP_1)
	v_subrev_nc_u32_e32 v35, 28, v34
	v_lshlrev_b64_e32 v[40:41], v35, v[20:21]
	s_delay_alu instid0(VALU_DEP_1)
	v_dual_sub_nc_u32 v34, 29, v34 :: v_dual_bitop2_b32 v20, 7, v40 bitop3:0x40
; %bb.551:                              ;   in Loop: Header=BB195_488 Depth=1
	s_or_b32 exec_lo, exec_lo, s16
	s_delay_alu instid0(VALU_DEP_1) | instskip(NEXT) | instid1(VALU_DEP_2)
	v_dual_lshlrev_b32 v35, 24, v39 :: v_dual_lshlrev_b32 v20, 20, v20
	v_lshl_add_u32 v34, v34, 23, 0x3c000000
	s_delay_alu instid0(VALU_DEP_2) | instskip(NEXT) | instid1(VALU_DEP_1)
	v_and_b32_e32 v35, 0x80000000, v35
	v_or3_b32 v35, v20, v35, v34
	v_mov_b32_e32 v34, v21
.LBB195_552:                            ;   in Loop: Header=BB195_488 Depth=1
	s_or_b32 exec_lo, exec_lo, s15
.LBB195_553:                            ;   in Loop: Header=BB195_488 Depth=1
	s_delay_alu instid0(SALU_CYCLE_1)
	s_or_b32 exec_lo, exec_lo, s14
.LBB195_554:                            ;   in Loop: Header=BB195_488 Depth=1
	s_delay_alu instid0(SALU_CYCLE_1)
	s_or_b32 exec_lo, exec_lo, s11
	v_or_b32_e32 v1, v1, v33
	v_or_b32_e32 v0, v0, v32
	v_mov_b64_e32 v[32:33], s[2:3]
	v_or_b32_e32 v37, v35, v37
	v_or_b32_e32 v36, v34, v36
	s_delay_alu instid0(VALU_DEP_3) | instskip(NEXT) | instid1(VALU_DEP_2)
	v_pk_mul_f32 v[34:35], v[32:33], v[0:1]
	v_pk_mul_f32 v[32:33], v[32:33], v[36:37]
	s_and_saveexec_b32 s11, vcc_lo
	s_cbranch_execz .LBB195_556
; %bb.555:                              ;   in Loop: Header=BB195_488 Depth=1
	v_cmp_gt_i32_e64 s0, s25, v88
	s_delay_alu instid0(VALU_DEP_1) | instskip(SKIP_1) | instid1(VALU_DEP_1)
	v_cndmask_b32_e64 v34, 0, v34, s0
	v_cmp_gt_i32_e64 s0, s25, v91
	v_cndmask_b32_e64 v35, 0, v35, s0
	v_cmp_gt_i32_e64 s0, s25, v83
	s_delay_alu instid0(VALU_DEP_1) | instskip(SKIP_1) | instid1(VALU_DEP_1)
	v_cndmask_b32_e64 v32, 0, v32, s0
	v_cmp_gt_i32_e64 s0, s25, v82
	v_cndmask_b32_e64 v33, 0, v33, s0
.LBB195_556:                            ;   in Loop: Header=BB195_488 Depth=1
	s_or_b32 exec_lo, exec_lo, s11
	global_load_b32 v42, v[30:31], off offset:256
	v_mov_b64_e32 v[0:1], 0
	v_mov_b64_e32 v[36:37], 0
	s_mov_b32 s11, exec_lo
	s_wait_loadcnt 0x0
	v_and_b32_e32 v20, 0xff, v42
	s_delay_alu instid0(VALU_DEP_1)
	v_cmpx_ne_u16_e32 0, v20
	s_cbranch_execz .LBB195_564
; %bb.557:                              ;   in Loop: Header=BB195_488 Depth=1
	v_mov_b64_e32 v[36:37], 0x80000000
	s_mov_b32 s14, exec_lo
	v_cmpx_ne_u16_e32 0x80, v20
	s_cbranch_execz .LBB195_563
; %bb.558:                              ;   in Loop: Header=BB195_488 Depth=1
	v_mov_b64_e32 v[36:37], 0x7f800001
	v_and_b32_e32 v38, 0x7f, v42
	s_mov_b32 s15, exec_lo
	s_delay_alu instid0(VALU_DEP_1)
	v_cmpx_ne_u32_e32 0x7f, v38
	s_cbranch_execz .LBB195_562
; %bb.559:                              ;   in Loop: Header=BB195_488 Depth=1
	v_and_b32_e32 v20, 7, v42
	v_lshrrev_b32_e32 v36, 3, v38
	s_mov_b32 s16, exec_lo
	v_cmpx_gt_u32_e32 8, v38
; %bb.560:                              ;   in Loop: Header=BB195_488 Depth=1
	s_delay_alu instid0(VALU_DEP_3) | instskip(NEXT) | instid1(VALU_DEP_1)
	v_clz_i32_u32_e32 v36, v20
	v_min_u32_e32 v36, 32, v36
	s_delay_alu instid0(VALU_DEP_1) | instskip(NEXT) | instid1(VALU_DEP_1)
	v_subrev_nc_u32_e32 v37, 28, v36
	v_lshlrev_b64_e32 v[38:39], v37, v[20:21]
	s_delay_alu instid0(VALU_DEP_1)
	v_dual_sub_nc_u32 v36, 29, v36 :: v_dual_bitop2_b32 v20, 7, v38 bitop3:0x40
; %bb.561:                              ;   in Loop: Header=BB195_488 Depth=1
	s_or_b32 exec_lo, exec_lo, s16
	s_delay_alu instid0(VALU_DEP_1) | instskip(NEXT) | instid1(VALU_DEP_2)
	v_dual_lshlrev_b32 v37, 24, v42 :: v_dual_lshlrev_b32 v20, 20, v20
	v_lshl_add_u32 v36, v36, 23, 0x3c000000
	s_delay_alu instid0(VALU_DEP_2) | instskip(NEXT) | instid1(VALU_DEP_1)
	v_and_b32_e32 v37, 0x80000000, v37
	v_or3_b32 v20, v20, v37, v36
	s_delay_alu instid0(VALU_DEP_1)
	v_mov_b64_e32 v[36:37], v[20:21]
.LBB195_562:                            ;   in Loop: Header=BB195_488 Depth=1
	s_or_b32 exec_lo, exec_lo, s15
.LBB195_563:                            ;   in Loop: Header=BB195_488 Depth=1
	s_delay_alu instid0(SALU_CYCLE_1)
	s_or_b32 exec_lo, exec_lo, s14
.LBB195_564:                            ;   in Loop: Header=BB195_488 Depth=1
	s_delay_alu instid0(SALU_CYCLE_1) | instskip(SKIP_2) | instid1(VALU_DEP_1)
	s_or_b32 exec_lo, exec_lo, s11
	v_lshrrev_b16 v20, 8, v42
	s_mov_b32 s11, exec_lo
	v_cmpx_ne_u16_e32 0, v20
	s_cbranch_execz .LBB195_572
; %bb.565:                              ;   in Loop: Header=BB195_488 Depth=1
	v_mov_b64_e32 v[0:1], 0x8000000000000000
	s_mov_b32 s14, exec_lo
	v_cmpx_ne_u16_e32 0x80, v20
	s_cbranch_execz .LBB195_571
; %bb.566:                              ;   in Loop: Header=BB195_488 Depth=1
	v_and_b32_e32 v20, 0xffff, v20
	v_mov_b64_e32 v[0:1], 0x7f80000100000000
	s_mov_b32 s15, exec_lo
	s_delay_alu instid0(VALU_DEP_2) | instskip(NEXT) | instid1(VALU_DEP_1)
	v_and_b32_e32 v38, 0x7f, v20
	v_cmpx_ne_u32_e32 0x7f, v38
	s_cbranch_execz .LBB195_570
; %bb.567:                              ;   in Loop: Header=BB195_488 Depth=1
	v_dual_lshrrev_b32 v0, 3, v38 :: v_dual_bitop2_b32 v20, 7, v20 bitop3:0x40
	s_mov_b32 s16, exec_lo
	v_cmpx_gt_u32_e32 8, v38
; %bb.568:                              ;   in Loop: Header=BB195_488 Depth=1
	s_delay_alu instid0(VALU_DEP_2) | instskip(NEXT) | instid1(VALU_DEP_1)
	v_clz_i32_u32_e32 v0, v20
	v_min_u32_e32 v0, 32, v0
	s_delay_alu instid0(VALU_DEP_1) | instskip(NEXT) | instid1(VALU_DEP_1)
	v_subrev_nc_u32_e32 v1, 28, v0
	v_lshlrev_b64_e32 v[38:39], v1, v[20:21]
	s_delay_alu instid0(VALU_DEP_1)
	v_dual_sub_nc_u32 v0, 29, v0 :: v_dual_bitop2_b32 v20, 7, v38 bitop3:0x40
; %bb.569:                              ;   in Loop: Header=BB195_488 Depth=1
	s_or_b32 exec_lo, exec_lo, s16
	s_delay_alu instid0(VALU_DEP_1) | instskip(NEXT) | instid1(VALU_DEP_2)
	v_dual_lshlrev_b32 v1, 16, v42 :: v_dual_lshlrev_b32 v20, 20, v20
	v_lshl_add_u32 v0, v0, 23, 0x3c000000
	s_delay_alu instid0(VALU_DEP_2) | instskip(NEXT) | instid1(VALU_DEP_1)
	v_and_b32_e32 v1, 0x80000000, v1
	v_or3_b32 v1, v20, v1, v0
	v_mov_b32_e32 v0, v21
.LBB195_570:                            ;   in Loop: Header=BB195_488 Depth=1
	s_or_b32 exec_lo, exec_lo, s15
.LBB195_571:                            ;   in Loop: Header=BB195_488 Depth=1
	s_delay_alu instid0(SALU_CYCLE_1)
	s_or_b32 exec_lo, exec_lo, s14
.LBB195_572:                            ;   in Loop: Header=BB195_488 Depth=1
	s_delay_alu instid0(SALU_CYCLE_1) | instskip(SKIP_4) | instid1(VALU_DEP_3)
	s_or_b32 exec_lo, exec_lo, s11
	v_lshrrev_b32_e32 v43, 16, v42
	v_mov_b64_e32 v[38:39], 0
	v_mov_b64_e32 v[40:41], 0
	s_mov_b32 s11, exec_lo
	v_and_b32_e32 v20, 0xff, v43
	s_delay_alu instid0(VALU_DEP_1)
	v_cmpx_ne_u16_e32 0, v20
	s_cbranch_execz .LBB195_580
; %bb.573:                              ;   in Loop: Header=BB195_488 Depth=1
	v_mov_b64_e32 v[40:41], 0x80000000
	s_mov_b32 s14, exec_lo
	v_cmpx_ne_u16_e32 0x80, v20
	s_cbranch_execz .LBB195_579
; %bb.574:                              ;   in Loop: Header=BB195_488 Depth=1
	v_mov_b64_e32 v[40:41], 0x7f800001
	v_bfe_u32 v44, v42, 16, 7
	s_mov_b32 s15, exec_lo
	s_delay_alu instid0(VALU_DEP_1)
	v_cmpx_ne_u32_e32 0x7f, v44
	s_cbranch_execz .LBB195_578
; %bb.575:                              ;   in Loop: Header=BB195_488 Depth=1
	v_dual_lshrrev_b32 v40, 3, v44 :: v_dual_bitop2_b32 v20, 7, v43 bitop3:0x40
	s_mov_b32 s16, exec_lo
	v_cmpx_gt_u32_e32 8, v44
; %bb.576:                              ;   in Loop: Header=BB195_488 Depth=1
	s_delay_alu instid0(VALU_DEP_2) | instskip(NEXT) | instid1(VALU_DEP_1)
	v_clz_i32_u32_e32 v40, v20
	v_min_u32_e32 v40, 32, v40
	s_delay_alu instid0(VALU_DEP_1) | instskip(SKIP_1) | instid1(VALU_DEP_2)
	v_subrev_nc_u32_e32 v41, 28, v40
	v_sub_nc_u32_e32 v40, 29, v40
	v_lshlrev_b64_e32 v[44:45], v41, v[20:21]
	s_delay_alu instid0(VALU_DEP_1)
	v_and_b32_e32 v20, 7, v44
; %bb.577:                              ;   in Loop: Header=BB195_488 Depth=1
	s_or_b32 exec_lo, exec_lo, s16
	s_delay_alu instid0(VALU_DEP_1) | instskip(SKIP_1) | instid1(VALU_DEP_2)
	v_dual_lshlrev_b32 v41, 24, v43 :: v_dual_lshlrev_b32 v20, 20, v20
	v_lshl_add_u32 v40, v40, 23, 0x3c000000
	v_and_b32_e32 v41, 0x80000000, v41
	s_delay_alu instid0(VALU_DEP_1) | instskip(NEXT) | instid1(VALU_DEP_1)
	v_or3_b32 v20, v20, v41, v40
	v_mov_b64_e32 v[40:41], v[20:21]
.LBB195_578:                            ;   in Loop: Header=BB195_488 Depth=1
	s_or_b32 exec_lo, exec_lo, s15
.LBB195_579:                            ;   in Loop: Header=BB195_488 Depth=1
	s_delay_alu instid0(SALU_CYCLE_1)
	s_or_b32 exec_lo, exec_lo, s14
.LBB195_580:                            ;   in Loop: Header=BB195_488 Depth=1
	s_delay_alu instid0(SALU_CYCLE_1) | instskip(NEXT) | instid1(SALU_CYCLE_1)
	s_or_b32 exec_lo, exec_lo, s11
	s_mov_b32 s11, exec_lo
	v_cmpx_lt_u32_e32 0xffffff, v42
	s_cbranch_execz .LBB195_588
; %bb.581:                              ;   in Loop: Header=BB195_488 Depth=1
	v_mov_b64_e32 v[38:39], 0x8000000000000000
	v_lshrrev_b32_e32 v43, 24, v42
	s_mov_b32 s14, exec_lo
	s_delay_alu instid0(VALU_DEP_1)
	v_cmpx_ne_u32_e32 0x80, v43
	s_cbranch_execz .LBB195_587
; %bb.582:                              ;   in Loop: Header=BB195_488 Depth=1
	v_mov_b64_e32 v[38:39], 0x7f80000100000000
	v_bfe_u32 v42, v42, 24, 7
	s_mov_b32 s15, exec_lo
	s_delay_alu instid0(VALU_DEP_1)
	v_cmpx_ne_u32_e32 0x7f, v42
	s_cbranch_execz .LBB195_586
; %bb.583:                              ;   in Loop: Header=BB195_488 Depth=1
	v_dual_lshrrev_b32 v38, 3, v42 :: v_dual_bitop2_b32 v20, 7, v43 bitop3:0x40
	s_mov_b32 s16, exec_lo
	v_cmpx_gt_u32_e32 8, v42
; %bb.584:                              ;   in Loop: Header=BB195_488 Depth=1
	s_delay_alu instid0(VALU_DEP_2) | instskip(NEXT) | instid1(VALU_DEP_1)
	v_clz_i32_u32_e32 v38, v20
	v_min_u32_e32 v38, 32, v38
	s_delay_alu instid0(VALU_DEP_1) | instskip(NEXT) | instid1(VALU_DEP_1)
	v_subrev_nc_u32_e32 v39, 28, v38
	v_lshlrev_b64_e32 v[44:45], v39, v[20:21]
	s_delay_alu instid0(VALU_DEP_1)
	v_dual_sub_nc_u32 v38, 29, v38 :: v_dual_bitop2_b32 v20, 7, v44 bitop3:0x40
; %bb.585:                              ;   in Loop: Header=BB195_488 Depth=1
	s_or_b32 exec_lo, exec_lo, s16
	s_delay_alu instid0(VALU_DEP_1) | instskip(NEXT) | instid1(VALU_DEP_2)
	v_dual_lshlrev_b32 v39, 24, v43 :: v_dual_lshlrev_b32 v20, 20, v20
	v_lshl_add_u32 v38, v38, 23, 0x3c000000
	s_delay_alu instid0(VALU_DEP_2) | instskip(NEXT) | instid1(VALU_DEP_1)
	v_and_b32_e32 v39, 0x80000000, v39
	v_or3_b32 v39, v20, v39, v38
	v_mov_b32_e32 v38, v21
.LBB195_586:                            ;   in Loop: Header=BB195_488 Depth=1
	s_or_b32 exec_lo, exec_lo, s15
.LBB195_587:                            ;   in Loop: Header=BB195_488 Depth=1
	s_delay_alu instid0(SALU_CYCLE_1)
	s_or_b32 exec_lo, exec_lo, s14
.LBB195_588:                            ;   in Loop: Header=BB195_488 Depth=1
	s_delay_alu instid0(SALU_CYCLE_1)
	s_or_b32 exec_lo, exec_lo, s11
	v_or_b32_e32 v1, v1, v37
	v_or_b32_e32 v0, v0, v36
	v_mov_b64_e32 v[36:37], s[2:3]
	v_or_b32_e32 v41, v39, v41
	v_or_b32_e32 v40, v38, v40
	s_delay_alu instid0(VALU_DEP_3) | instskip(NEXT) | instid1(VALU_DEP_2)
	v_pk_mul_f32 v[38:39], v[36:37], v[0:1]
	v_pk_mul_f32 v[36:37], v[36:37], v[40:41]
	s_and_saveexec_b32 s11, vcc_lo
	s_cbranch_execz .LBB195_590
; %bb.589:                              ;   in Loop: Header=BB195_488 Depth=1
	v_cmp_gt_i32_e64 s0, s25, v88
	s_delay_alu instid0(VALU_DEP_1) | instskip(SKIP_1) | instid1(VALU_DEP_1)
	v_cndmask_b32_e64 v38, 0, v38, s0
	v_cmp_gt_i32_e64 s0, s25, v91
	v_cndmask_b32_e64 v39, 0, v39, s0
	v_cmp_gt_i32_e64 s0, s25, v83
	s_delay_alu instid0(VALU_DEP_1) | instskip(SKIP_1) | instid1(VALU_DEP_1)
	v_cndmask_b32_e64 v36, 0, v36, s0
	v_cmp_gt_i32_e64 s0, s25, v82
	v_cndmask_b32_e64 v37, 0, v37, s0
.LBB195_590:                            ;   in Loop: Header=BB195_488 Depth=1
	s_or_b32 exec_lo, exec_lo, s11
	global_load_b32 v46, v[30:31], off offset:384
	v_mov_b64_e32 v[0:1], 0
	v_mov_b64_e32 v[40:41], 0
	s_mov_b32 s11, exec_lo
	s_wait_loadcnt 0x0
	v_and_b32_e32 v20, 0xff, v46
	s_delay_alu instid0(VALU_DEP_1)
	v_cmpx_ne_u16_e32 0, v20
	s_cbranch_execz .LBB195_598
; %bb.591:                              ;   in Loop: Header=BB195_488 Depth=1
	v_mov_b64_e32 v[40:41], 0x80000000
	s_mov_b32 s14, exec_lo
	v_cmpx_ne_u16_e32 0x80, v20
	s_cbranch_execz .LBB195_597
; %bb.592:                              ;   in Loop: Header=BB195_488 Depth=1
	v_mov_b64_e32 v[40:41], 0x7f800001
	v_and_b32_e32 v42, 0x7f, v46
	s_mov_b32 s15, exec_lo
	s_delay_alu instid0(VALU_DEP_1)
	v_cmpx_ne_u32_e32 0x7f, v42
	s_cbranch_execz .LBB195_596
; %bb.593:                              ;   in Loop: Header=BB195_488 Depth=1
	v_and_b32_e32 v20, 7, v46
	v_lshrrev_b32_e32 v40, 3, v42
	s_mov_b32 s16, exec_lo
	v_cmpx_gt_u32_e32 8, v42
; %bb.594:                              ;   in Loop: Header=BB195_488 Depth=1
	s_delay_alu instid0(VALU_DEP_3) | instskip(NEXT) | instid1(VALU_DEP_1)
	v_clz_i32_u32_e32 v40, v20
	v_min_u32_e32 v40, 32, v40
	s_delay_alu instid0(VALU_DEP_1) | instskip(NEXT) | instid1(VALU_DEP_1)
	v_subrev_nc_u32_e32 v41, 28, v40
	v_lshlrev_b64_e32 v[42:43], v41, v[20:21]
	s_delay_alu instid0(VALU_DEP_1)
	v_dual_sub_nc_u32 v40, 29, v40 :: v_dual_bitop2_b32 v20, 7, v42 bitop3:0x40
; %bb.595:                              ;   in Loop: Header=BB195_488 Depth=1
	s_or_b32 exec_lo, exec_lo, s16
	s_delay_alu instid0(VALU_DEP_1) | instskip(NEXT) | instid1(VALU_DEP_2)
	v_dual_lshlrev_b32 v41, 24, v46 :: v_dual_lshlrev_b32 v20, 20, v20
	v_lshl_add_u32 v40, v40, 23, 0x3c000000
	s_delay_alu instid0(VALU_DEP_2) | instskip(NEXT) | instid1(VALU_DEP_1)
	v_and_b32_e32 v41, 0x80000000, v41
	v_or3_b32 v20, v20, v41, v40
	s_delay_alu instid0(VALU_DEP_1)
	v_mov_b64_e32 v[40:41], v[20:21]
.LBB195_596:                            ;   in Loop: Header=BB195_488 Depth=1
	s_or_b32 exec_lo, exec_lo, s15
.LBB195_597:                            ;   in Loop: Header=BB195_488 Depth=1
	s_delay_alu instid0(SALU_CYCLE_1)
	s_or_b32 exec_lo, exec_lo, s14
.LBB195_598:                            ;   in Loop: Header=BB195_488 Depth=1
	s_delay_alu instid0(SALU_CYCLE_1) | instskip(SKIP_2) | instid1(VALU_DEP_1)
	s_or_b32 exec_lo, exec_lo, s11
	v_lshrrev_b16 v20, 8, v46
	s_mov_b32 s11, exec_lo
	v_cmpx_ne_u16_e32 0, v20
	s_cbranch_execz .LBB195_606
; %bb.599:                              ;   in Loop: Header=BB195_488 Depth=1
	v_mov_b64_e32 v[0:1], 0x8000000000000000
	s_mov_b32 s14, exec_lo
	v_cmpx_ne_u16_e32 0x80, v20
	s_cbranch_execz .LBB195_605
; %bb.600:                              ;   in Loop: Header=BB195_488 Depth=1
	v_and_b32_e32 v20, 0xffff, v20
	v_mov_b64_e32 v[0:1], 0x7f80000100000000
	s_mov_b32 s15, exec_lo
	s_delay_alu instid0(VALU_DEP_2) | instskip(NEXT) | instid1(VALU_DEP_1)
	v_and_b32_e32 v42, 0x7f, v20
	v_cmpx_ne_u32_e32 0x7f, v42
	s_cbranch_execz .LBB195_604
; %bb.601:                              ;   in Loop: Header=BB195_488 Depth=1
	v_dual_lshrrev_b32 v0, 3, v42 :: v_dual_bitop2_b32 v20, 7, v20 bitop3:0x40
	s_mov_b32 s16, exec_lo
	v_cmpx_gt_u32_e32 8, v42
; %bb.602:                              ;   in Loop: Header=BB195_488 Depth=1
	s_delay_alu instid0(VALU_DEP_2) | instskip(NEXT) | instid1(VALU_DEP_1)
	v_clz_i32_u32_e32 v0, v20
	v_min_u32_e32 v0, 32, v0
	s_delay_alu instid0(VALU_DEP_1) | instskip(NEXT) | instid1(VALU_DEP_1)
	v_subrev_nc_u32_e32 v1, 28, v0
	v_lshlrev_b64_e32 v[42:43], v1, v[20:21]
	s_delay_alu instid0(VALU_DEP_1)
	v_dual_sub_nc_u32 v0, 29, v0 :: v_dual_bitop2_b32 v20, 7, v42 bitop3:0x40
; %bb.603:                              ;   in Loop: Header=BB195_488 Depth=1
	s_or_b32 exec_lo, exec_lo, s16
	s_delay_alu instid0(VALU_DEP_1) | instskip(NEXT) | instid1(VALU_DEP_2)
	v_dual_lshlrev_b32 v1, 16, v46 :: v_dual_lshlrev_b32 v20, 20, v20
	v_lshl_add_u32 v0, v0, 23, 0x3c000000
	s_delay_alu instid0(VALU_DEP_2) | instskip(NEXT) | instid1(VALU_DEP_1)
	v_and_b32_e32 v1, 0x80000000, v1
	v_or3_b32 v1, v20, v1, v0
	v_mov_b32_e32 v0, v21
.LBB195_604:                            ;   in Loop: Header=BB195_488 Depth=1
	s_or_b32 exec_lo, exec_lo, s15
.LBB195_605:                            ;   in Loop: Header=BB195_488 Depth=1
	s_delay_alu instid0(SALU_CYCLE_1)
	s_or_b32 exec_lo, exec_lo, s14
.LBB195_606:                            ;   in Loop: Header=BB195_488 Depth=1
	s_delay_alu instid0(SALU_CYCLE_1) | instskip(SKIP_4) | instid1(VALU_DEP_3)
	s_or_b32 exec_lo, exec_lo, s11
	v_lshrrev_b32_e32 v47, 16, v46
	v_mov_b64_e32 v[42:43], 0
	v_mov_b64_e32 v[44:45], 0
	s_mov_b32 s11, exec_lo
	v_and_b32_e32 v20, 0xff, v47
	s_delay_alu instid0(VALU_DEP_1)
	v_cmpx_ne_u16_e32 0, v20
	s_cbranch_execz .LBB195_614
; %bb.607:                              ;   in Loop: Header=BB195_488 Depth=1
	v_mov_b64_e32 v[44:45], 0x80000000
	s_mov_b32 s14, exec_lo
	v_cmpx_ne_u16_e32 0x80, v20
	s_cbranch_execz .LBB195_613
; %bb.608:                              ;   in Loop: Header=BB195_488 Depth=1
	v_mov_b64_e32 v[44:45], 0x7f800001
	v_bfe_u32 v48, v46, 16, 7
	s_mov_b32 s15, exec_lo
	s_delay_alu instid0(VALU_DEP_1)
	v_cmpx_ne_u32_e32 0x7f, v48
	s_cbranch_execz .LBB195_612
; %bb.609:                              ;   in Loop: Header=BB195_488 Depth=1
	v_dual_lshrrev_b32 v44, 3, v48 :: v_dual_bitop2_b32 v20, 7, v47 bitop3:0x40
	s_mov_b32 s16, exec_lo
	v_cmpx_gt_u32_e32 8, v48
; %bb.610:                              ;   in Loop: Header=BB195_488 Depth=1
	s_delay_alu instid0(VALU_DEP_2) | instskip(NEXT) | instid1(VALU_DEP_1)
	v_clz_i32_u32_e32 v44, v20
	v_min_u32_e32 v44, 32, v44
	s_delay_alu instid0(VALU_DEP_1) | instskip(SKIP_1) | instid1(VALU_DEP_2)
	v_subrev_nc_u32_e32 v45, 28, v44
	v_sub_nc_u32_e32 v44, 29, v44
	v_lshlrev_b64_e32 v[48:49], v45, v[20:21]
	s_delay_alu instid0(VALU_DEP_1)
	v_and_b32_e32 v20, 7, v48
; %bb.611:                              ;   in Loop: Header=BB195_488 Depth=1
	s_or_b32 exec_lo, exec_lo, s16
	s_delay_alu instid0(VALU_DEP_1) | instskip(SKIP_1) | instid1(VALU_DEP_2)
	v_dual_lshlrev_b32 v45, 24, v47 :: v_dual_lshlrev_b32 v20, 20, v20
	v_lshl_add_u32 v44, v44, 23, 0x3c000000
	v_and_b32_e32 v45, 0x80000000, v45
	s_delay_alu instid0(VALU_DEP_1) | instskip(NEXT) | instid1(VALU_DEP_1)
	v_or3_b32 v20, v20, v45, v44
	v_mov_b64_e32 v[44:45], v[20:21]
.LBB195_612:                            ;   in Loop: Header=BB195_488 Depth=1
	s_or_b32 exec_lo, exec_lo, s15
.LBB195_613:                            ;   in Loop: Header=BB195_488 Depth=1
	s_delay_alu instid0(SALU_CYCLE_1)
	s_or_b32 exec_lo, exec_lo, s14
.LBB195_614:                            ;   in Loop: Header=BB195_488 Depth=1
	s_delay_alu instid0(SALU_CYCLE_1) | instskip(NEXT) | instid1(SALU_CYCLE_1)
	s_or_b32 exec_lo, exec_lo, s11
	s_mov_b32 s11, exec_lo
	v_cmpx_lt_u32_e32 0xffffff, v46
	s_cbranch_execz .LBB195_622
; %bb.615:                              ;   in Loop: Header=BB195_488 Depth=1
	v_mov_b64_e32 v[42:43], 0x8000000000000000
	v_lshrrev_b32_e32 v47, 24, v46
	s_mov_b32 s14, exec_lo
	s_delay_alu instid0(VALU_DEP_1)
	v_cmpx_ne_u32_e32 0x80, v47
	s_cbranch_execz .LBB195_621
; %bb.616:                              ;   in Loop: Header=BB195_488 Depth=1
	v_mov_b64_e32 v[42:43], 0x7f80000100000000
	v_bfe_u32 v46, v46, 24, 7
	s_mov_b32 s15, exec_lo
	s_delay_alu instid0(VALU_DEP_1)
	v_cmpx_ne_u32_e32 0x7f, v46
	s_cbranch_execz .LBB195_620
; %bb.617:                              ;   in Loop: Header=BB195_488 Depth=1
	v_dual_lshrrev_b32 v42, 3, v46 :: v_dual_bitop2_b32 v20, 7, v47 bitop3:0x40
	s_mov_b32 s16, exec_lo
	v_cmpx_gt_u32_e32 8, v46
; %bb.618:                              ;   in Loop: Header=BB195_488 Depth=1
	s_delay_alu instid0(VALU_DEP_2) | instskip(NEXT) | instid1(VALU_DEP_1)
	v_clz_i32_u32_e32 v42, v20
	v_min_u32_e32 v42, 32, v42
	s_delay_alu instid0(VALU_DEP_1) | instskip(NEXT) | instid1(VALU_DEP_1)
	v_subrev_nc_u32_e32 v43, 28, v42
	v_lshlrev_b64_e32 v[48:49], v43, v[20:21]
	s_delay_alu instid0(VALU_DEP_1)
	v_dual_sub_nc_u32 v42, 29, v42 :: v_dual_bitop2_b32 v20, 7, v48 bitop3:0x40
; %bb.619:                              ;   in Loop: Header=BB195_488 Depth=1
	s_or_b32 exec_lo, exec_lo, s16
	s_delay_alu instid0(VALU_DEP_1) | instskip(NEXT) | instid1(VALU_DEP_2)
	v_dual_lshlrev_b32 v43, 24, v47 :: v_dual_lshlrev_b32 v20, 20, v20
	v_lshl_add_u32 v42, v42, 23, 0x3c000000
	s_delay_alu instid0(VALU_DEP_2) | instskip(NEXT) | instid1(VALU_DEP_1)
	v_and_b32_e32 v43, 0x80000000, v43
	v_or3_b32 v43, v20, v43, v42
	v_mov_b32_e32 v42, v21
.LBB195_620:                            ;   in Loop: Header=BB195_488 Depth=1
	s_or_b32 exec_lo, exec_lo, s15
.LBB195_621:                            ;   in Loop: Header=BB195_488 Depth=1
	s_delay_alu instid0(SALU_CYCLE_1)
	s_or_b32 exec_lo, exec_lo, s14
.LBB195_622:                            ;   in Loop: Header=BB195_488 Depth=1
	s_delay_alu instid0(SALU_CYCLE_1)
	s_or_b32 exec_lo, exec_lo, s11
	v_or_b32_e32 v1, v1, v41
	v_or_b32_e32 v0, v0, v40
	v_mov_b64_e32 v[40:41], s[2:3]
	v_or_b32_e32 v45, v43, v45
	v_or_b32_e32 v44, v42, v44
	s_delay_alu instid0(VALU_DEP_3) | instskip(NEXT) | instid1(VALU_DEP_2)
	v_pk_mul_f32 v[42:43], v[40:41], v[0:1]
	v_pk_mul_f32 v[40:41], v[40:41], v[44:45]
	s_and_saveexec_b32 s11, vcc_lo
	s_cbranch_execz .LBB195_624
; %bb.623:                              ;   in Loop: Header=BB195_488 Depth=1
	v_cmp_gt_i32_e64 s0, s25, v88
	s_delay_alu instid0(VALU_DEP_1) | instskip(SKIP_1) | instid1(VALU_DEP_1)
	v_cndmask_b32_e64 v42, 0, v42, s0
	v_cmp_gt_i32_e64 s0, s25, v91
	v_cndmask_b32_e64 v43, 0, v43, s0
	v_cmp_gt_i32_e64 s0, s25, v83
	s_delay_alu instid0(VALU_DEP_1) | instskip(SKIP_1) | instid1(VALU_DEP_1)
	v_cndmask_b32_e64 v40, 0, v40, s0
	v_cmp_gt_i32_e64 s0, s25, v82
	v_cndmask_b32_e64 v41, 0, v41, s0
.LBB195_624:                            ;   in Loop: Header=BB195_488 Depth=1
	s_or_b32 exec_lo, exec_lo, s11
	global_load_b32 v50, v[30:31], off offset:512
	v_mov_b64_e32 v[0:1], 0
	v_mov_b64_e32 v[44:45], 0
	s_mov_b32 s11, exec_lo
	s_wait_loadcnt 0x0
	v_and_b32_e32 v20, 0xff, v50
	s_delay_alu instid0(VALU_DEP_1)
	v_cmpx_ne_u16_e32 0, v20
	s_cbranch_execz .LBB195_632
; %bb.625:                              ;   in Loop: Header=BB195_488 Depth=1
	v_mov_b64_e32 v[44:45], 0x80000000
	s_mov_b32 s14, exec_lo
	v_cmpx_ne_u16_e32 0x80, v20
	s_cbranch_execz .LBB195_631
; %bb.626:                              ;   in Loop: Header=BB195_488 Depth=1
	v_mov_b64_e32 v[44:45], 0x7f800001
	v_and_b32_e32 v46, 0x7f, v50
	s_mov_b32 s15, exec_lo
	s_delay_alu instid0(VALU_DEP_1)
	v_cmpx_ne_u32_e32 0x7f, v46
	s_cbranch_execz .LBB195_630
; %bb.627:                              ;   in Loop: Header=BB195_488 Depth=1
	v_and_b32_e32 v20, 7, v50
	v_lshrrev_b32_e32 v44, 3, v46
	s_mov_b32 s16, exec_lo
	v_cmpx_gt_u32_e32 8, v46
; %bb.628:                              ;   in Loop: Header=BB195_488 Depth=1
	s_delay_alu instid0(VALU_DEP_3) | instskip(NEXT) | instid1(VALU_DEP_1)
	v_clz_i32_u32_e32 v44, v20
	v_min_u32_e32 v44, 32, v44
	s_delay_alu instid0(VALU_DEP_1) | instskip(NEXT) | instid1(VALU_DEP_1)
	v_subrev_nc_u32_e32 v45, 28, v44
	v_lshlrev_b64_e32 v[46:47], v45, v[20:21]
	s_delay_alu instid0(VALU_DEP_1)
	v_dual_sub_nc_u32 v44, 29, v44 :: v_dual_bitop2_b32 v20, 7, v46 bitop3:0x40
; %bb.629:                              ;   in Loop: Header=BB195_488 Depth=1
	s_or_b32 exec_lo, exec_lo, s16
	s_delay_alu instid0(VALU_DEP_1) | instskip(NEXT) | instid1(VALU_DEP_2)
	v_dual_lshlrev_b32 v45, 24, v50 :: v_dual_lshlrev_b32 v20, 20, v20
	v_lshl_add_u32 v44, v44, 23, 0x3c000000
	s_delay_alu instid0(VALU_DEP_2) | instskip(NEXT) | instid1(VALU_DEP_1)
	v_and_b32_e32 v45, 0x80000000, v45
	v_or3_b32 v20, v20, v45, v44
	s_delay_alu instid0(VALU_DEP_1)
	v_mov_b64_e32 v[44:45], v[20:21]
.LBB195_630:                            ;   in Loop: Header=BB195_488 Depth=1
	s_or_b32 exec_lo, exec_lo, s15
.LBB195_631:                            ;   in Loop: Header=BB195_488 Depth=1
	s_delay_alu instid0(SALU_CYCLE_1)
	s_or_b32 exec_lo, exec_lo, s14
.LBB195_632:                            ;   in Loop: Header=BB195_488 Depth=1
	s_delay_alu instid0(SALU_CYCLE_1) | instskip(SKIP_2) | instid1(VALU_DEP_1)
	s_or_b32 exec_lo, exec_lo, s11
	v_lshrrev_b16 v20, 8, v50
	s_mov_b32 s11, exec_lo
	v_cmpx_ne_u16_e32 0, v20
	s_cbranch_execz .LBB195_640
; %bb.633:                              ;   in Loop: Header=BB195_488 Depth=1
	v_mov_b64_e32 v[0:1], 0x8000000000000000
	s_mov_b32 s14, exec_lo
	v_cmpx_ne_u16_e32 0x80, v20
	s_cbranch_execz .LBB195_639
; %bb.634:                              ;   in Loop: Header=BB195_488 Depth=1
	v_and_b32_e32 v20, 0xffff, v20
	v_mov_b64_e32 v[0:1], 0x7f80000100000000
	s_mov_b32 s15, exec_lo
	s_delay_alu instid0(VALU_DEP_2) | instskip(NEXT) | instid1(VALU_DEP_1)
	v_and_b32_e32 v46, 0x7f, v20
	v_cmpx_ne_u32_e32 0x7f, v46
	s_cbranch_execz .LBB195_638
; %bb.635:                              ;   in Loop: Header=BB195_488 Depth=1
	v_dual_lshrrev_b32 v0, 3, v46 :: v_dual_bitop2_b32 v20, 7, v20 bitop3:0x40
	s_mov_b32 s16, exec_lo
	v_cmpx_gt_u32_e32 8, v46
; %bb.636:                              ;   in Loop: Header=BB195_488 Depth=1
	s_delay_alu instid0(VALU_DEP_2) | instskip(NEXT) | instid1(VALU_DEP_1)
	v_clz_i32_u32_e32 v0, v20
	v_min_u32_e32 v0, 32, v0
	s_delay_alu instid0(VALU_DEP_1) | instskip(NEXT) | instid1(VALU_DEP_1)
	v_subrev_nc_u32_e32 v1, 28, v0
	v_lshlrev_b64_e32 v[46:47], v1, v[20:21]
	s_delay_alu instid0(VALU_DEP_1)
	v_dual_sub_nc_u32 v0, 29, v0 :: v_dual_bitop2_b32 v20, 7, v46 bitop3:0x40
; %bb.637:                              ;   in Loop: Header=BB195_488 Depth=1
	s_or_b32 exec_lo, exec_lo, s16
	s_delay_alu instid0(VALU_DEP_1) | instskip(NEXT) | instid1(VALU_DEP_2)
	v_dual_lshlrev_b32 v1, 16, v50 :: v_dual_lshlrev_b32 v20, 20, v20
	v_lshl_add_u32 v0, v0, 23, 0x3c000000
	s_delay_alu instid0(VALU_DEP_2) | instskip(NEXT) | instid1(VALU_DEP_1)
	v_and_b32_e32 v1, 0x80000000, v1
	v_or3_b32 v1, v20, v1, v0
	v_mov_b32_e32 v0, v21
.LBB195_638:                            ;   in Loop: Header=BB195_488 Depth=1
	s_or_b32 exec_lo, exec_lo, s15
.LBB195_639:                            ;   in Loop: Header=BB195_488 Depth=1
	s_delay_alu instid0(SALU_CYCLE_1)
	s_or_b32 exec_lo, exec_lo, s14
.LBB195_640:                            ;   in Loop: Header=BB195_488 Depth=1
	s_delay_alu instid0(SALU_CYCLE_1) | instskip(SKIP_4) | instid1(VALU_DEP_3)
	s_or_b32 exec_lo, exec_lo, s11
	v_lshrrev_b32_e32 v51, 16, v50
	v_mov_b64_e32 v[46:47], 0
	v_mov_b64_e32 v[48:49], 0
	s_mov_b32 s11, exec_lo
	v_and_b32_e32 v20, 0xff, v51
	s_delay_alu instid0(VALU_DEP_1)
	v_cmpx_ne_u16_e32 0, v20
	s_cbranch_execz .LBB195_648
; %bb.641:                              ;   in Loop: Header=BB195_488 Depth=1
	v_mov_b64_e32 v[48:49], 0x80000000
	s_mov_b32 s14, exec_lo
	v_cmpx_ne_u16_e32 0x80, v20
	s_cbranch_execz .LBB195_647
; %bb.642:                              ;   in Loop: Header=BB195_488 Depth=1
	v_mov_b64_e32 v[48:49], 0x7f800001
	v_bfe_u32 v52, v50, 16, 7
	s_mov_b32 s15, exec_lo
	s_delay_alu instid0(VALU_DEP_1)
	v_cmpx_ne_u32_e32 0x7f, v52
	s_cbranch_execz .LBB195_646
; %bb.643:                              ;   in Loop: Header=BB195_488 Depth=1
	v_dual_lshrrev_b32 v48, 3, v52 :: v_dual_bitop2_b32 v20, 7, v51 bitop3:0x40
	s_mov_b32 s16, exec_lo
	v_cmpx_gt_u32_e32 8, v52
; %bb.644:                              ;   in Loop: Header=BB195_488 Depth=1
	s_delay_alu instid0(VALU_DEP_2) | instskip(NEXT) | instid1(VALU_DEP_1)
	v_clz_i32_u32_e32 v48, v20
	v_min_u32_e32 v48, 32, v48
	s_delay_alu instid0(VALU_DEP_1) | instskip(SKIP_1) | instid1(VALU_DEP_2)
	v_subrev_nc_u32_e32 v49, 28, v48
	v_sub_nc_u32_e32 v48, 29, v48
	v_lshlrev_b64_e32 v[52:53], v49, v[20:21]
	s_delay_alu instid0(VALU_DEP_1)
	v_and_b32_e32 v20, 7, v52
; %bb.645:                              ;   in Loop: Header=BB195_488 Depth=1
	s_or_b32 exec_lo, exec_lo, s16
	s_delay_alu instid0(VALU_DEP_1) | instskip(SKIP_1) | instid1(VALU_DEP_2)
	v_dual_lshlrev_b32 v49, 24, v51 :: v_dual_lshlrev_b32 v20, 20, v20
	v_lshl_add_u32 v48, v48, 23, 0x3c000000
	v_and_b32_e32 v49, 0x80000000, v49
	s_delay_alu instid0(VALU_DEP_1) | instskip(NEXT) | instid1(VALU_DEP_1)
	v_or3_b32 v20, v20, v49, v48
	v_mov_b64_e32 v[48:49], v[20:21]
.LBB195_646:                            ;   in Loop: Header=BB195_488 Depth=1
	s_or_b32 exec_lo, exec_lo, s15
.LBB195_647:                            ;   in Loop: Header=BB195_488 Depth=1
	s_delay_alu instid0(SALU_CYCLE_1)
	s_or_b32 exec_lo, exec_lo, s14
.LBB195_648:                            ;   in Loop: Header=BB195_488 Depth=1
	s_delay_alu instid0(SALU_CYCLE_1) | instskip(NEXT) | instid1(SALU_CYCLE_1)
	s_or_b32 exec_lo, exec_lo, s11
	s_mov_b32 s11, exec_lo
	v_cmpx_lt_u32_e32 0xffffff, v50
	s_cbranch_execz .LBB195_656
; %bb.649:                              ;   in Loop: Header=BB195_488 Depth=1
	v_mov_b64_e32 v[46:47], 0x8000000000000000
	v_lshrrev_b32_e32 v51, 24, v50
	s_mov_b32 s14, exec_lo
	s_delay_alu instid0(VALU_DEP_1)
	v_cmpx_ne_u32_e32 0x80, v51
	s_cbranch_execz .LBB195_655
; %bb.650:                              ;   in Loop: Header=BB195_488 Depth=1
	v_mov_b64_e32 v[46:47], 0x7f80000100000000
	v_bfe_u32 v50, v50, 24, 7
	s_mov_b32 s15, exec_lo
	s_delay_alu instid0(VALU_DEP_1)
	v_cmpx_ne_u32_e32 0x7f, v50
	s_cbranch_execz .LBB195_654
; %bb.651:                              ;   in Loop: Header=BB195_488 Depth=1
	v_dual_lshrrev_b32 v46, 3, v50 :: v_dual_bitop2_b32 v20, 7, v51 bitop3:0x40
	s_mov_b32 s16, exec_lo
	v_cmpx_gt_u32_e32 8, v50
; %bb.652:                              ;   in Loop: Header=BB195_488 Depth=1
	s_delay_alu instid0(VALU_DEP_2) | instskip(NEXT) | instid1(VALU_DEP_1)
	v_clz_i32_u32_e32 v46, v20
	v_min_u32_e32 v46, 32, v46
	s_delay_alu instid0(VALU_DEP_1) | instskip(NEXT) | instid1(VALU_DEP_1)
	v_subrev_nc_u32_e32 v47, 28, v46
	v_lshlrev_b64_e32 v[52:53], v47, v[20:21]
	s_delay_alu instid0(VALU_DEP_1)
	v_dual_sub_nc_u32 v46, 29, v46 :: v_dual_bitop2_b32 v20, 7, v52 bitop3:0x40
; %bb.653:                              ;   in Loop: Header=BB195_488 Depth=1
	s_or_b32 exec_lo, exec_lo, s16
	s_delay_alu instid0(VALU_DEP_1) | instskip(NEXT) | instid1(VALU_DEP_2)
	v_dual_lshlrev_b32 v47, 24, v51 :: v_dual_lshlrev_b32 v20, 20, v20
	v_lshl_add_u32 v46, v46, 23, 0x3c000000
	s_delay_alu instid0(VALU_DEP_2) | instskip(NEXT) | instid1(VALU_DEP_1)
	v_and_b32_e32 v47, 0x80000000, v47
	v_or3_b32 v47, v20, v47, v46
	v_mov_b32_e32 v46, v21
.LBB195_654:                            ;   in Loop: Header=BB195_488 Depth=1
	s_or_b32 exec_lo, exec_lo, s15
.LBB195_655:                            ;   in Loop: Header=BB195_488 Depth=1
	s_delay_alu instid0(SALU_CYCLE_1)
	s_or_b32 exec_lo, exec_lo, s14
.LBB195_656:                            ;   in Loop: Header=BB195_488 Depth=1
	s_delay_alu instid0(SALU_CYCLE_1)
	s_or_b32 exec_lo, exec_lo, s11
	v_or_b32_e32 v1, v1, v45
	v_or_b32_e32 v0, v0, v44
	v_mov_b64_e32 v[44:45], s[2:3]
	v_or_b32_e32 v49, v47, v49
	v_or_b32_e32 v48, v46, v48
	s_delay_alu instid0(VALU_DEP_3) | instskip(NEXT) | instid1(VALU_DEP_2)
	v_pk_mul_f32 v[46:47], v[44:45], v[0:1]
	v_pk_mul_f32 v[44:45], v[44:45], v[48:49]
	s_and_saveexec_b32 s11, vcc_lo
	s_cbranch_execz .LBB195_658
; %bb.657:                              ;   in Loop: Header=BB195_488 Depth=1
	v_cmp_gt_i32_e64 s0, s25, v88
	s_delay_alu instid0(VALU_DEP_1) | instskip(SKIP_1) | instid1(VALU_DEP_1)
	v_cndmask_b32_e64 v46, 0, v46, s0
	v_cmp_gt_i32_e64 s0, s25, v91
	v_cndmask_b32_e64 v47, 0, v47, s0
	v_cmp_gt_i32_e64 s0, s25, v83
	s_delay_alu instid0(VALU_DEP_1) | instskip(SKIP_1) | instid1(VALU_DEP_1)
	v_cndmask_b32_e64 v44, 0, v44, s0
	v_cmp_gt_i32_e64 s0, s25, v82
	v_cndmask_b32_e64 v45, 0, v45, s0
.LBB195_658:                            ;   in Loop: Header=BB195_488 Depth=1
	s_or_b32 exec_lo, exec_lo, s11
	global_load_b32 v54, v[30:31], off offset:640
	v_mov_b64_e32 v[0:1], 0
	v_mov_b64_e32 v[48:49], 0
	s_mov_b32 s11, exec_lo
	s_wait_loadcnt 0x0
	v_and_b32_e32 v20, 0xff, v54
	s_delay_alu instid0(VALU_DEP_1)
	v_cmpx_ne_u16_e32 0, v20
	s_cbranch_execz .LBB195_666
; %bb.659:                              ;   in Loop: Header=BB195_488 Depth=1
	v_mov_b64_e32 v[48:49], 0x80000000
	s_mov_b32 s14, exec_lo
	v_cmpx_ne_u16_e32 0x80, v20
	s_cbranch_execz .LBB195_665
; %bb.660:                              ;   in Loop: Header=BB195_488 Depth=1
	v_mov_b64_e32 v[48:49], 0x7f800001
	v_and_b32_e32 v50, 0x7f, v54
	s_mov_b32 s15, exec_lo
	s_delay_alu instid0(VALU_DEP_1)
	v_cmpx_ne_u32_e32 0x7f, v50
	s_cbranch_execz .LBB195_664
; %bb.661:                              ;   in Loop: Header=BB195_488 Depth=1
	v_and_b32_e32 v20, 7, v54
	v_lshrrev_b32_e32 v48, 3, v50
	s_mov_b32 s16, exec_lo
	v_cmpx_gt_u32_e32 8, v50
; %bb.662:                              ;   in Loop: Header=BB195_488 Depth=1
	s_delay_alu instid0(VALU_DEP_3) | instskip(NEXT) | instid1(VALU_DEP_1)
	v_clz_i32_u32_e32 v48, v20
	v_min_u32_e32 v48, 32, v48
	s_delay_alu instid0(VALU_DEP_1) | instskip(NEXT) | instid1(VALU_DEP_1)
	v_subrev_nc_u32_e32 v49, 28, v48
	v_lshlrev_b64_e32 v[50:51], v49, v[20:21]
	s_delay_alu instid0(VALU_DEP_1)
	v_dual_sub_nc_u32 v48, 29, v48 :: v_dual_bitop2_b32 v20, 7, v50 bitop3:0x40
; %bb.663:                              ;   in Loop: Header=BB195_488 Depth=1
	s_or_b32 exec_lo, exec_lo, s16
	s_delay_alu instid0(VALU_DEP_1) | instskip(NEXT) | instid1(VALU_DEP_2)
	v_dual_lshlrev_b32 v49, 24, v54 :: v_dual_lshlrev_b32 v20, 20, v20
	v_lshl_add_u32 v48, v48, 23, 0x3c000000
	s_delay_alu instid0(VALU_DEP_2) | instskip(NEXT) | instid1(VALU_DEP_1)
	v_and_b32_e32 v49, 0x80000000, v49
	v_or3_b32 v20, v20, v49, v48
	s_delay_alu instid0(VALU_DEP_1)
	v_mov_b64_e32 v[48:49], v[20:21]
.LBB195_664:                            ;   in Loop: Header=BB195_488 Depth=1
	s_or_b32 exec_lo, exec_lo, s15
.LBB195_665:                            ;   in Loop: Header=BB195_488 Depth=1
	s_delay_alu instid0(SALU_CYCLE_1)
	s_or_b32 exec_lo, exec_lo, s14
.LBB195_666:                            ;   in Loop: Header=BB195_488 Depth=1
	s_delay_alu instid0(SALU_CYCLE_1) | instskip(SKIP_2) | instid1(VALU_DEP_1)
	s_or_b32 exec_lo, exec_lo, s11
	v_lshrrev_b16 v20, 8, v54
	s_mov_b32 s11, exec_lo
	v_cmpx_ne_u16_e32 0, v20
	s_cbranch_execz .LBB195_674
; %bb.667:                              ;   in Loop: Header=BB195_488 Depth=1
	v_mov_b64_e32 v[0:1], 0x8000000000000000
	s_mov_b32 s14, exec_lo
	v_cmpx_ne_u16_e32 0x80, v20
	s_cbranch_execz .LBB195_673
; %bb.668:                              ;   in Loop: Header=BB195_488 Depth=1
	v_and_b32_e32 v20, 0xffff, v20
	v_mov_b64_e32 v[0:1], 0x7f80000100000000
	s_mov_b32 s15, exec_lo
	s_delay_alu instid0(VALU_DEP_2) | instskip(NEXT) | instid1(VALU_DEP_1)
	v_and_b32_e32 v50, 0x7f, v20
	v_cmpx_ne_u32_e32 0x7f, v50
	s_cbranch_execz .LBB195_672
; %bb.669:                              ;   in Loop: Header=BB195_488 Depth=1
	v_dual_lshrrev_b32 v0, 3, v50 :: v_dual_bitop2_b32 v20, 7, v20 bitop3:0x40
	s_mov_b32 s16, exec_lo
	v_cmpx_gt_u32_e32 8, v50
; %bb.670:                              ;   in Loop: Header=BB195_488 Depth=1
	s_delay_alu instid0(VALU_DEP_2) | instskip(NEXT) | instid1(VALU_DEP_1)
	v_clz_i32_u32_e32 v0, v20
	v_min_u32_e32 v0, 32, v0
	s_delay_alu instid0(VALU_DEP_1) | instskip(NEXT) | instid1(VALU_DEP_1)
	v_subrev_nc_u32_e32 v1, 28, v0
	v_lshlrev_b64_e32 v[50:51], v1, v[20:21]
	s_delay_alu instid0(VALU_DEP_1)
	v_dual_sub_nc_u32 v0, 29, v0 :: v_dual_bitop2_b32 v20, 7, v50 bitop3:0x40
; %bb.671:                              ;   in Loop: Header=BB195_488 Depth=1
	s_or_b32 exec_lo, exec_lo, s16
	s_delay_alu instid0(VALU_DEP_1) | instskip(NEXT) | instid1(VALU_DEP_2)
	v_dual_lshlrev_b32 v1, 16, v54 :: v_dual_lshlrev_b32 v20, 20, v20
	v_lshl_add_u32 v0, v0, 23, 0x3c000000
	s_delay_alu instid0(VALU_DEP_2) | instskip(NEXT) | instid1(VALU_DEP_1)
	v_and_b32_e32 v1, 0x80000000, v1
	v_or3_b32 v1, v20, v1, v0
	v_mov_b32_e32 v0, v21
.LBB195_672:                            ;   in Loop: Header=BB195_488 Depth=1
	s_or_b32 exec_lo, exec_lo, s15
.LBB195_673:                            ;   in Loop: Header=BB195_488 Depth=1
	s_delay_alu instid0(SALU_CYCLE_1)
	s_or_b32 exec_lo, exec_lo, s14
.LBB195_674:                            ;   in Loop: Header=BB195_488 Depth=1
	s_delay_alu instid0(SALU_CYCLE_1) | instskip(SKIP_4) | instid1(VALU_DEP_3)
	s_or_b32 exec_lo, exec_lo, s11
	v_lshrrev_b32_e32 v55, 16, v54
	v_mov_b64_e32 v[50:51], 0
	v_mov_b64_e32 v[52:53], 0
	s_mov_b32 s11, exec_lo
	v_and_b32_e32 v20, 0xff, v55
	s_delay_alu instid0(VALU_DEP_1)
	v_cmpx_ne_u16_e32 0, v20
	s_cbranch_execz .LBB195_682
; %bb.675:                              ;   in Loop: Header=BB195_488 Depth=1
	v_mov_b64_e32 v[52:53], 0x80000000
	s_mov_b32 s14, exec_lo
	v_cmpx_ne_u16_e32 0x80, v20
	s_cbranch_execz .LBB195_681
; %bb.676:                              ;   in Loop: Header=BB195_488 Depth=1
	v_mov_b64_e32 v[52:53], 0x7f800001
	v_bfe_u32 v56, v54, 16, 7
	s_mov_b32 s15, exec_lo
	s_delay_alu instid0(VALU_DEP_1)
	v_cmpx_ne_u32_e32 0x7f, v56
	s_cbranch_execz .LBB195_680
; %bb.677:                              ;   in Loop: Header=BB195_488 Depth=1
	v_dual_lshrrev_b32 v52, 3, v56 :: v_dual_bitop2_b32 v20, 7, v55 bitop3:0x40
	s_mov_b32 s16, exec_lo
	v_cmpx_gt_u32_e32 8, v56
; %bb.678:                              ;   in Loop: Header=BB195_488 Depth=1
	s_delay_alu instid0(VALU_DEP_2) | instskip(NEXT) | instid1(VALU_DEP_1)
	v_clz_i32_u32_e32 v52, v20
	v_min_u32_e32 v52, 32, v52
	s_delay_alu instid0(VALU_DEP_1) | instskip(SKIP_1) | instid1(VALU_DEP_2)
	v_subrev_nc_u32_e32 v53, 28, v52
	v_sub_nc_u32_e32 v52, 29, v52
	v_lshlrev_b64_e32 v[56:57], v53, v[20:21]
	s_delay_alu instid0(VALU_DEP_1)
	v_and_b32_e32 v20, 7, v56
; %bb.679:                              ;   in Loop: Header=BB195_488 Depth=1
	s_or_b32 exec_lo, exec_lo, s16
	s_delay_alu instid0(VALU_DEP_1) | instskip(SKIP_1) | instid1(VALU_DEP_2)
	v_dual_lshlrev_b32 v53, 24, v55 :: v_dual_lshlrev_b32 v20, 20, v20
	v_lshl_add_u32 v52, v52, 23, 0x3c000000
	v_and_b32_e32 v53, 0x80000000, v53
	s_delay_alu instid0(VALU_DEP_1) | instskip(NEXT) | instid1(VALU_DEP_1)
	v_or3_b32 v20, v20, v53, v52
	v_mov_b64_e32 v[52:53], v[20:21]
.LBB195_680:                            ;   in Loop: Header=BB195_488 Depth=1
	s_or_b32 exec_lo, exec_lo, s15
.LBB195_681:                            ;   in Loop: Header=BB195_488 Depth=1
	s_delay_alu instid0(SALU_CYCLE_1)
	s_or_b32 exec_lo, exec_lo, s14
.LBB195_682:                            ;   in Loop: Header=BB195_488 Depth=1
	s_delay_alu instid0(SALU_CYCLE_1) | instskip(NEXT) | instid1(SALU_CYCLE_1)
	s_or_b32 exec_lo, exec_lo, s11
	s_mov_b32 s11, exec_lo
	v_cmpx_lt_u32_e32 0xffffff, v54
	s_cbranch_execz .LBB195_690
; %bb.683:                              ;   in Loop: Header=BB195_488 Depth=1
	v_mov_b64_e32 v[50:51], 0x8000000000000000
	v_lshrrev_b32_e32 v55, 24, v54
	s_mov_b32 s14, exec_lo
	s_delay_alu instid0(VALU_DEP_1)
	v_cmpx_ne_u32_e32 0x80, v55
	s_cbranch_execz .LBB195_689
; %bb.684:                              ;   in Loop: Header=BB195_488 Depth=1
	v_mov_b64_e32 v[50:51], 0x7f80000100000000
	v_bfe_u32 v54, v54, 24, 7
	s_mov_b32 s15, exec_lo
	s_delay_alu instid0(VALU_DEP_1)
	v_cmpx_ne_u32_e32 0x7f, v54
	s_cbranch_execz .LBB195_688
; %bb.685:                              ;   in Loop: Header=BB195_488 Depth=1
	v_dual_lshrrev_b32 v50, 3, v54 :: v_dual_bitop2_b32 v20, 7, v55 bitop3:0x40
	s_mov_b32 s16, exec_lo
	v_cmpx_gt_u32_e32 8, v54
; %bb.686:                              ;   in Loop: Header=BB195_488 Depth=1
	s_delay_alu instid0(VALU_DEP_2) | instskip(NEXT) | instid1(VALU_DEP_1)
	v_clz_i32_u32_e32 v50, v20
	v_min_u32_e32 v50, 32, v50
	s_delay_alu instid0(VALU_DEP_1) | instskip(NEXT) | instid1(VALU_DEP_1)
	v_subrev_nc_u32_e32 v51, 28, v50
	v_lshlrev_b64_e32 v[56:57], v51, v[20:21]
	s_delay_alu instid0(VALU_DEP_1)
	v_dual_sub_nc_u32 v50, 29, v50 :: v_dual_bitop2_b32 v20, 7, v56 bitop3:0x40
; %bb.687:                              ;   in Loop: Header=BB195_488 Depth=1
	s_or_b32 exec_lo, exec_lo, s16
	s_delay_alu instid0(VALU_DEP_1) | instskip(NEXT) | instid1(VALU_DEP_2)
	v_dual_lshlrev_b32 v51, 24, v55 :: v_dual_lshlrev_b32 v20, 20, v20
	v_lshl_add_u32 v50, v50, 23, 0x3c000000
	s_delay_alu instid0(VALU_DEP_2) | instskip(NEXT) | instid1(VALU_DEP_1)
	v_and_b32_e32 v51, 0x80000000, v51
	v_or3_b32 v51, v20, v51, v50
	v_mov_b32_e32 v50, v21
.LBB195_688:                            ;   in Loop: Header=BB195_488 Depth=1
	s_or_b32 exec_lo, exec_lo, s15
.LBB195_689:                            ;   in Loop: Header=BB195_488 Depth=1
	s_delay_alu instid0(SALU_CYCLE_1)
	s_or_b32 exec_lo, exec_lo, s14
.LBB195_690:                            ;   in Loop: Header=BB195_488 Depth=1
	s_delay_alu instid0(SALU_CYCLE_1)
	s_or_b32 exec_lo, exec_lo, s11
	v_or_b32_e32 v1, v1, v49
	v_or_b32_e32 v0, v0, v48
	v_mov_b64_e32 v[48:49], s[2:3]
	v_or_b32_e32 v53, v51, v53
	v_or_b32_e32 v52, v50, v52
	s_delay_alu instid0(VALU_DEP_3) | instskip(NEXT) | instid1(VALU_DEP_2)
	v_pk_mul_f32 v[50:51], v[48:49], v[0:1]
	v_pk_mul_f32 v[48:49], v[48:49], v[52:53]
	s_and_saveexec_b32 s11, vcc_lo
	s_cbranch_execz .LBB195_692
; %bb.691:                              ;   in Loop: Header=BB195_488 Depth=1
	v_cmp_gt_i32_e64 s0, s25, v88
	s_delay_alu instid0(VALU_DEP_1) | instskip(SKIP_1) | instid1(VALU_DEP_1)
	v_cndmask_b32_e64 v50, 0, v50, s0
	v_cmp_gt_i32_e64 s0, s25, v91
	v_cndmask_b32_e64 v51, 0, v51, s0
	v_cmp_gt_i32_e64 s0, s25, v83
	s_delay_alu instid0(VALU_DEP_1) | instskip(SKIP_1) | instid1(VALU_DEP_1)
	v_cndmask_b32_e64 v48, 0, v48, s0
	v_cmp_gt_i32_e64 s0, s25, v82
	v_cndmask_b32_e64 v49, 0, v49, s0
.LBB195_692:                            ;   in Loop: Header=BB195_488 Depth=1
	s_or_b32 exec_lo, exec_lo, s11
	global_load_b32 v58, v[30:31], off offset:768
	v_mov_b64_e32 v[0:1], 0
	v_mov_b64_e32 v[52:53], 0
	s_mov_b32 s11, exec_lo
	s_wait_loadcnt 0x0
	v_and_b32_e32 v20, 0xff, v58
	s_delay_alu instid0(VALU_DEP_1)
	v_cmpx_ne_u16_e32 0, v20
	s_cbranch_execz .LBB195_700
; %bb.693:                              ;   in Loop: Header=BB195_488 Depth=1
	v_mov_b64_e32 v[52:53], 0x80000000
	s_mov_b32 s14, exec_lo
	v_cmpx_ne_u16_e32 0x80, v20
	s_cbranch_execz .LBB195_699
; %bb.694:                              ;   in Loop: Header=BB195_488 Depth=1
	v_mov_b64_e32 v[52:53], 0x7f800001
	v_and_b32_e32 v54, 0x7f, v58
	s_mov_b32 s15, exec_lo
	s_delay_alu instid0(VALU_DEP_1)
	v_cmpx_ne_u32_e32 0x7f, v54
	s_cbranch_execz .LBB195_698
; %bb.695:                              ;   in Loop: Header=BB195_488 Depth=1
	v_and_b32_e32 v20, 7, v58
	v_lshrrev_b32_e32 v52, 3, v54
	s_mov_b32 s16, exec_lo
	v_cmpx_gt_u32_e32 8, v54
; %bb.696:                              ;   in Loop: Header=BB195_488 Depth=1
	s_delay_alu instid0(VALU_DEP_3) | instskip(NEXT) | instid1(VALU_DEP_1)
	v_clz_i32_u32_e32 v52, v20
	v_min_u32_e32 v52, 32, v52
	s_delay_alu instid0(VALU_DEP_1) | instskip(NEXT) | instid1(VALU_DEP_1)
	v_subrev_nc_u32_e32 v53, 28, v52
	v_lshlrev_b64_e32 v[54:55], v53, v[20:21]
	s_delay_alu instid0(VALU_DEP_1)
	v_dual_sub_nc_u32 v52, 29, v52 :: v_dual_bitop2_b32 v20, 7, v54 bitop3:0x40
; %bb.697:                              ;   in Loop: Header=BB195_488 Depth=1
	s_or_b32 exec_lo, exec_lo, s16
	s_delay_alu instid0(VALU_DEP_1) | instskip(NEXT) | instid1(VALU_DEP_2)
	v_dual_lshlrev_b32 v53, 24, v58 :: v_dual_lshlrev_b32 v20, 20, v20
	v_lshl_add_u32 v52, v52, 23, 0x3c000000
	s_delay_alu instid0(VALU_DEP_2) | instskip(NEXT) | instid1(VALU_DEP_1)
	v_and_b32_e32 v53, 0x80000000, v53
	v_or3_b32 v20, v20, v53, v52
	s_delay_alu instid0(VALU_DEP_1)
	v_mov_b64_e32 v[52:53], v[20:21]
.LBB195_698:                            ;   in Loop: Header=BB195_488 Depth=1
	s_or_b32 exec_lo, exec_lo, s15
.LBB195_699:                            ;   in Loop: Header=BB195_488 Depth=1
	s_delay_alu instid0(SALU_CYCLE_1)
	s_or_b32 exec_lo, exec_lo, s14
.LBB195_700:                            ;   in Loop: Header=BB195_488 Depth=1
	s_delay_alu instid0(SALU_CYCLE_1) | instskip(SKIP_2) | instid1(VALU_DEP_1)
	s_or_b32 exec_lo, exec_lo, s11
	v_lshrrev_b16 v20, 8, v58
	s_mov_b32 s11, exec_lo
	v_cmpx_ne_u16_e32 0, v20
	s_cbranch_execz .LBB195_708
; %bb.701:                              ;   in Loop: Header=BB195_488 Depth=1
	v_mov_b64_e32 v[0:1], 0x8000000000000000
	s_mov_b32 s14, exec_lo
	v_cmpx_ne_u16_e32 0x80, v20
	s_cbranch_execz .LBB195_707
; %bb.702:                              ;   in Loop: Header=BB195_488 Depth=1
	v_and_b32_e32 v20, 0xffff, v20
	v_mov_b64_e32 v[0:1], 0x7f80000100000000
	s_mov_b32 s15, exec_lo
	s_delay_alu instid0(VALU_DEP_2) | instskip(NEXT) | instid1(VALU_DEP_1)
	v_and_b32_e32 v54, 0x7f, v20
	v_cmpx_ne_u32_e32 0x7f, v54
	s_cbranch_execz .LBB195_706
; %bb.703:                              ;   in Loop: Header=BB195_488 Depth=1
	v_dual_lshrrev_b32 v0, 3, v54 :: v_dual_bitop2_b32 v20, 7, v20 bitop3:0x40
	s_mov_b32 s16, exec_lo
	v_cmpx_gt_u32_e32 8, v54
; %bb.704:                              ;   in Loop: Header=BB195_488 Depth=1
	s_delay_alu instid0(VALU_DEP_2) | instskip(NEXT) | instid1(VALU_DEP_1)
	v_clz_i32_u32_e32 v0, v20
	v_min_u32_e32 v0, 32, v0
	s_delay_alu instid0(VALU_DEP_1) | instskip(NEXT) | instid1(VALU_DEP_1)
	v_subrev_nc_u32_e32 v1, 28, v0
	v_lshlrev_b64_e32 v[54:55], v1, v[20:21]
	s_delay_alu instid0(VALU_DEP_1)
	v_dual_sub_nc_u32 v0, 29, v0 :: v_dual_bitop2_b32 v20, 7, v54 bitop3:0x40
; %bb.705:                              ;   in Loop: Header=BB195_488 Depth=1
	s_or_b32 exec_lo, exec_lo, s16
	s_delay_alu instid0(VALU_DEP_1) | instskip(NEXT) | instid1(VALU_DEP_2)
	v_dual_lshlrev_b32 v1, 16, v58 :: v_dual_lshlrev_b32 v20, 20, v20
	v_lshl_add_u32 v0, v0, 23, 0x3c000000
	s_delay_alu instid0(VALU_DEP_2) | instskip(NEXT) | instid1(VALU_DEP_1)
	v_and_b32_e32 v1, 0x80000000, v1
	v_or3_b32 v1, v20, v1, v0
	v_mov_b32_e32 v0, v21
.LBB195_706:                            ;   in Loop: Header=BB195_488 Depth=1
	s_or_b32 exec_lo, exec_lo, s15
.LBB195_707:                            ;   in Loop: Header=BB195_488 Depth=1
	s_delay_alu instid0(SALU_CYCLE_1)
	s_or_b32 exec_lo, exec_lo, s14
.LBB195_708:                            ;   in Loop: Header=BB195_488 Depth=1
	s_delay_alu instid0(SALU_CYCLE_1) | instskip(SKIP_4) | instid1(VALU_DEP_3)
	s_or_b32 exec_lo, exec_lo, s11
	v_lshrrev_b32_e32 v59, 16, v58
	v_mov_b64_e32 v[54:55], 0
	v_mov_b64_e32 v[56:57], 0
	s_mov_b32 s11, exec_lo
	v_and_b32_e32 v20, 0xff, v59
	s_delay_alu instid0(VALU_DEP_1)
	v_cmpx_ne_u16_e32 0, v20
	s_cbranch_execz .LBB195_716
; %bb.709:                              ;   in Loop: Header=BB195_488 Depth=1
	v_mov_b64_e32 v[56:57], 0x80000000
	s_mov_b32 s14, exec_lo
	v_cmpx_ne_u16_e32 0x80, v20
	s_cbranch_execz .LBB195_715
; %bb.710:                              ;   in Loop: Header=BB195_488 Depth=1
	v_mov_b64_e32 v[56:57], 0x7f800001
	v_bfe_u32 v60, v58, 16, 7
	s_mov_b32 s15, exec_lo
	s_delay_alu instid0(VALU_DEP_1)
	v_cmpx_ne_u32_e32 0x7f, v60
	s_cbranch_execz .LBB195_714
; %bb.711:                              ;   in Loop: Header=BB195_488 Depth=1
	v_dual_lshrrev_b32 v56, 3, v60 :: v_dual_bitop2_b32 v20, 7, v59 bitop3:0x40
	s_mov_b32 s16, exec_lo
	v_cmpx_gt_u32_e32 8, v60
; %bb.712:                              ;   in Loop: Header=BB195_488 Depth=1
	s_delay_alu instid0(VALU_DEP_2) | instskip(NEXT) | instid1(VALU_DEP_1)
	v_clz_i32_u32_e32 v56, v20
	v_min_u32_e32 v56, 32, v56
	s_delay_alu instid0(VALU_DEP_1) | instskip(SKIP_1) | instid1(VALU_DEP_2)
	v_subrev_nc_u32_e32 v57, 28, v56
	v_sub_nc_u32_e32 v56, 29, v56
	v_lshlrev_b64_e32 v[60:61], v57, v[20:21]
	s_delay_alu instid0(VALU_DEP_1)
	v_and_b32_e32 v20, 7, v60
; %bb.713:                              ;   in Loop: Header=BB195_488 Depth=1
	s_or_b32 exec_lo, exec_lo, s16
	s_delay_alu instid0(VALU_DEP_1) | instskip(SKIP_1) | instid1(VALU_DEP_2)
	v_dual_lshlrev_b32 v57, 24, v59 :: v_dual_lshlrev_b32 v20, 20, v20
	v_lshl_add_u32 v56, v56, 23, 0x3c000000
	v_and_b32_e32 v57, 0x80000000, v57
	s_delay_alu instid0(VALU_DEP_1) | instskip(NEXT) | instid1(VALU_DEP_1)
	v_or3_b32 v20, v20, v57, v56
	v_mov_b64_e32 v[56:57], v[20:21]
.LBB195_714:                            ;   in Loop: Header=BB195_488 Depth=1
	s_or_b32 exec_lo, exec_lo, s15
.LBB195_715:                            ;   in Loop: Header=BB195_488 Depth=1
	s_delay_alu instid0(SALU_CYCLE_1)
	s_or_b32 exec_lo, exec_lo, s14
.LBB195_716:                            ;   in Loop: Header=BB195_488 Depth=1
	s_delay_alu instid0(SALU_CYCLE_1) | instskip(NEXT) | instid1(SALU_CYCLE_1)
	s_or_b32 exec_lo, exec_lo, s11
	s_mov_b32 s11, exec_lo
	v_cmpx_lt_u32_e32 0xffffff, v58
	s_cbranch_execz .LBB195_724
; %bb.717:                              ;   in Loop: Header=BB195_488 Depth=1
	v_mov_b64_e32 v[54:55], 0x8000000000000000
	v_lshrrev_b32_e32 v59, 24, v58
	s_mov_b32 s14, exec_lo
	s_delay_alu instid0(VALU_DEP_1)
	v_cmpx_ne_u32_e32 0x80, v59
	s_cbranch_execz .LBB195_723
; %bb.718:                              ;   in Loop: Header=BB195_488 Depth=1
	v_mov_b64_e32 v[54:55], 0x7f80000100000000
	v_bfe_u32 v58, v58, 24, 7
	s_mov_b32 s15, exec_lo
	s_delay_alu instid0(VALU_DEP_1)
	v_cmpx_ne_u32_e32 0x7f, v58
	s_cbranch_execz .LBB195_722
; %bb.719:                              ;   in Loop: Header=BB195_488 Depth=1
	v_dual_lshrrev_b32 v54, 3, v58 :: v_dual_bitop2_b32 v20, 7, v59 bitop3:0x40
	s_mov_b32 s16, exec_lo
	v_cmpx_gt_u32_e32 8, v58
; %bb.720:                              ;   in Loop: Header=BB195_488 Depth=1
	s_delay_alu instid0(VALU_DEP_2) | instskip(NEXT) | instid1(VALU_DEP_1)
	v_clz_i32_u32_e32 v54, v20
	v_min_u32_e32 v54, 32, v54
	s_delay_alu instid0(VALU_DEP_1) | instskip(NEXT) | instid1(VALU_DEP_1)
	v_subrev_nc_u32_e32 v55, 28, v54
	v_lshlrev_b64_e32 v[60:61], v55, v[20:21]
	s_delay_alu instid0(VALU_DEP_1)
	v_dual_sub_nc_u32 v54, 29, v54 :: v_dual_bitop2_b32 v20, 7, v60 bitop3:0x40
; %bb.721:                              ;   in Loop: Header=BB195_488 Depth=1
	s_or_b32 exec_lo, exec_lo, s16
	s_delay_alu instid0(VALU_DEP_1) | instskip(NEXT) | instid1(VALU_DEP_2)
	v_dual_lshlrev_b32 v55, 24, v59 :: v_dual_lshlrev_b32 v20, 20, v20
	v_lshl_add_u32 v54, v54, 23, 0x3c000000
	s_delay_alu instid0(VALU_DEP_2) | instskip(NEXT) | instid1(VALU_DEP_1)
	v_and_b32_e32 v55, 0x80000000, v55
	v_or3_b32 v55, v20, v55, v54
	v_mov_b32_e32 v54, v21
.LBB195_722:                            ;   in Loop: Header=BB195_488 Depth=1
	s_or_b32 exec_lo, exec_lo, s15
.LBB195_723:                            ;   in Loop: Header=BB195_488 Depth=1
	s_delay_alu instid0(SALU_CYCLE_1)
	s_or_b32 exec_lo, exec_lo, s14
.LBB195_724:                            ;   in Loop: Header=BB195_488 Depth=1
	s_delay_alu instid0(SALU_CYCLE_1)
	s_or_b32 exec_lo, exec_lo, s11
	v_or_b32_e32 v1, v1, v53
	v_or_b32_e32 v0, v0, v52
	v_mov_b64_e32 v[52:53], s[2:3]
	v_or_b32_e32 v57, v55, v57
	v_or_b32_e32 v56, v54, v56
	s_delay_alu instid0(VALU_DEP_3) | instskip(NEXT) | instid1(VALU_DEP_2)
	v_pk_mul_f32 v[54:55], v[52:53], v[0:1]
	v_pk_mul_f32 v[52:53], v[52:53], v[56:57]
	s_and_saveexec_b32 s11, vcc_lo
	s_cbranch_execz .LBB195_726
; %bb.725:                              ;   in Loop: Header=BB195_488 Depth=1
	v_cmp_gt_i32_e64 s0, s25, v88
	s_delay_alu instid0(VALU_DEP_1) | instskip(SKIP_1) | instid1(VALU_DEP_1)
	v_cndmask_b32_e64 v54, 0, v54, s0
	v_cmp_gt_i32_e64 s0, s25, v91
	v_cndmask_b32_e64 v55, 0, v55, s0
	v_cmp_gt_i32_e64 s0, s25, v83
	s_delay_alu instid0(VALU_DEP_1) | instskip(SKIP_1) | instid1(VALU_DEP_1)
	v_cndmask_b32_e64 v52, 0, v52, s0
	v_cmp_gt_i32_e64 s0, s25, v82
	v_cndmask_b32_e64 v53, 0, v53, s0
.LBB195_726:                            ;   in Loop: Header=BB195_488 Depth=1
	s_or_b32 exec_lo, exec_lo, s11
	global_load_b32 v62, v[30:31], off offset:896
	v_mov_b64_e32 v[0:1], 0
	v_mov_b64_e32 v[56:57], 0
	s_mov_b32 s11, exec_lo
	s_wait_loadcnt 0x0
	v_and_b32_e32 v20, 0xff, v62
	s_delay_alu instid0(VALU_DEP_1)
	v_cmpx_ne_u16_e32 0, v20
	s_cbranch_execz .LBB195_734
; %bb.727:                              ;   in Loop: Header=BB195_488 Depth=1
	v_mov_b64_e32 v[56:57], 0x80000000
	s_mov_b32 s14, exec_lo
	v_cmpx_ne_u16_e32 0x80, v20
	s_cbranch_execz .LBB195_733
; %bb.728:                              ;   in Loop: Header=BB195_488 Depth=1
	v_mov_b64_e32 v[56:57], 0x7f800001
	v_and_b32_e32 v58, 0x7f, v62
	s_mov_b32 s15, exec_lo
	s_delay_alu instid0(VALU_DEP_1)
	v_cmpx_ne_u32_e32 0x7f, v58
	s_cbranch_execz .LBB195_732
; %bb.729:                              ;   in Loop: Header=BB195_488 Depth=1
	v_and_b32_e32 v20, 7, v62
	v_lshrrev_b32_e32 v56, 3, v58
	s_mov_b32 s16, exec_lo
	v_cmpx_gt_u32_e32 8, v58
; %bb.730:                              ;   in Loop: Header=BB195_488 Depth=1
	s_delay_alu instid0(VALU_DEP_3) | instskip(NEXT) | instid1(VALU_DEP_1)
	v_clz_i32_u32_e32 v56, v20
	v_min_u32_e32 v56, 32, v56
	s_delay_alu instid0(VALU_DEP_1) | instskip(NEXT) | instid1(VALU_DEP_1)
	v_subrev_nc_u32_e32 v57, 28, v56
	v_lshlrev_b64_e32 v[58:59], v57, v[20:21]
	s_delay_alu instid0(VALU_DEP_1)
	v_dual_sub_nc_u32 v56, 29, v56 :: v_dual_bitop2_b32 v20, 7, v58 bitop3:0x40
; %bb.731:                              ;   in Loop: Header=BB195_488 Depth=1
	s_or_b32 exec_lo, exec_lo, s16
	s_delay_alu instid0(VALU_DEP_1) | instskip(NEXT) | instid1(VALU_DEP_2)
	v_dual_lshlrev_b32 v57, 24, v62 :: v_dual_lshlrev_b32 v20, 20, v20
	v_lshl_add_u32 v56, v56, 23, 0x3c000000
	s_delay_alu instid0(VALU_DEP_2) | instskip(NEXT) | instid1(VALU_DEP_1)
	v_and_b32_e32 v57, 0x80000000, v57
	v_or3_b32 v20, v20, v57, v56
	s_delay_alu instid0(VALU_DEP_1)
	v_mov_b64_e32 v[56:57], v[20:21]
.LBB195_732:                            ;   in Loop: Header=BB195_488 Depth=1
	s_or_b32 exec_lo, exec_lo, s15
.LBB195_733:                            ;   in Loop: Header=BB195_488 Depth=1
	s_delay_alu instid0(SALU_CYCLE_1)
	s_or_b32 exec_lo, exec_lo, s14
.LBB195_734:                            ;   in Loop: Header=BB195_488 Depth=1
	s_delay_alu instid0(SALU_CYCLE_1) | instskip(SKIP_2) | instid1(VALU_DEP_1)
	s_or_b32 exec_lo, exec_lo, s11
	v_lshrrev_b16 v20, 8, v62
	s_mov_b32 s11, exec_lo
	v_cmpx_ne_u16_e32 0, v20
	s_cbranch_execz .LBB195_742
; %bb.735:                              ;   in Loop: Header=BB195_488 Depth=1
	v_mov_b64_e32 v[0:1], 0x8000000000000000
	s_mov_b32 s14, exec_lo
	v_cmpx_ne_u16_e32 0x80, v20
	s_cbranch_execz .LBB195_741
; %bb.736:                              ;   in Loop: Header=BB195_488 Depth=1
	v_and_b32_e32 v20, 0xffff, v20
	v_mov_b64_e32 v[0:1], 0x7f80000100000000
	s_mov_b32 s15, exec_lo
	s_delay_alu instid0(VALU_DEP_2) | instskip(NEXT) | instid1(VALU_DEP_1)
	v_and_b32_e32 v58, 0x7f, v20
	v_cmpx_ne_u32_e32 0x7f, v58
	s_cbranch_execz .LBB195_740
; %bb.737:                              ;   in Loop: Header=BB195_488 Depth=1
	v_dual_lshrrev_b32 v0, 3, v58 :: v_dual_bitop2_b32 v20, 7, v20 bitop3:0x40
	s_mov_b32 s16, exec_lo
	v_cmpx_gt_u32_e32 8, v58
; %bb.738:                              ;   in Loop: Header=BB195_488 Depth=1
	s_delay_alu instid0(VALU_DEP_2) | instskip(NEXT) | instid1(VALU_DEP_1)
	v_clz_i32_u32_e32 v0, v20
	v_min_u32_e32 v0, 32, v0
	s_delay_alu instid0(VALU_DEP_1) | instskip(NEXT) | instid1(VALU_DEP_1)
	v_subrev_nc_u32_e32 v1, 28, v0
	v_lshlrev_b64_e32 v[58:59], v1, v[20:21]
	s_delay_alu instid0(VALU_DEP_1)
	v_dual_sub_nc_u32 v0, 29, v0 :: v_dual_bitop2_b32 v20, 7, v58 bitop3:0x40
; %bb.739:                              ;   in Loop: Header=BB195_488 Depth=1
	s_or_b32 exec_lo, exec_lo, s16
	s_delay_alu instid0(VALU_DEP_1) | instskip(NEXT) | instid1(VALU_DEP_2)
	v_dual_lshlrev_b32 v1, 16, v62 :: v_dual_lshlrev_b32 v20, 20, v20
	v_lshl_add_u32 v0, v0, 23, 0x3c000000
	s_delay_alu instid0(VALU_DEP_2) | instskip(NEXT) | instid1(VALU_DEP_1)
	v_and_b32_e32 v1, 0x80000000, v1
	v_or3_b32 v1, v20, v1, v0
	v_mov_b32_e32 v0, v21
.LBB195_740:                            ;   in Loop: Header=BB195_488 Depth=1
	s_or_b32 exec_lo, exec_lo, s15
.LBB195_741:                            ;   in Loop: Header=BB195_488 Depth=1
	s_delay_alu instid0(SALU_CYCLE_1)
	s_or_b32 exec_lo, exec_lo, s14
.LBB195_742:                            ;   in Loop: Header=BB195_488 Depth=1
	s_delay_alu instid0(SALU_CYCLE_1) | instskip(SKIP_4) | instid1(VALU_DEP_3)
	s_or_b32 exec_lo, exec_lo, s11
	v_lshrrev_b32_e32 v63, 16, v62
	v_mov_b64_e32 v[58:59], 0
	v_mov_b64_e32 v[60:61], 0
	s_mov_b32 s11, exec_lo
	v_and_b32_e32 v20, 0xff, v63
	s_delay_alu instid0(VALU_DEP_1)
	v_cmpx_ne_u16_e32 0, v20
	s_cbranch_execz .LBB195_750
; %bb.743:                              ;   in Loop: Header=BB195_488 Depth=1
	v_mov_b64_e32 v[60:61], 0x80000000
	s_mov_b32 s14, exec_lo
	v_cmpx_ne_u16_e32 0x80, v20
	s_cbranch_execz .LBB195_749
; %bb.744:                              ;   in Loop: Header=BB195_488 Depth=1
	v_mov_b64_e32 v[60:61], 0x7f800001
	v_bfe_u32 v64, v62, 16, 7
	s_mov_b32 s15, exec_lo
	s_delay_alu instid0(VALU_DEP_1)
	v_cmpx_ne_u32_e32 0x7f, v64
	s_cbranch_execz .LBB195_748
; %bb.745:                              ;   in Loop: Header=BB195_488 Depth=1
	v_dual_lshrrev_b32 v60, 3, v64 :: v_dual_bitop2_b32 v20, 7, v63 bitop3:0x40
	s_mov_b32 s16, exec_lo
	v_cmpx_gt_u32_e32 8, v64
; %bb.746:                              ;   in Loop: Header=BB195_488 Depth=1
	s_delay_alu instid0(VALU_DEP_2) | instskip(NEXT) | instid1(VALU_DEP_1)
	v_clz_i32_u32_e32 v60, v20
	v_min_u32_e32 v60, 32, v60
	s_delay_alu instid0(VALU_DEP_1) | instskip(SKIP_1) | instid1(VALU_DEP_2)
	v_subrev_nc_u32_e32 v61, 28, v60
	v_sub_nc_u32_e32 v60, 29, v60
	v_lshlrev_b64_e32 v[64:65], v61, v[20:21]
	s_delay_alu instid0(VALU_DEP_1)
	v_and_b32_e32 v20, 7, v64
; %bb.747:                              ;   in Loop: Header=BB195_488 Depth=1
	s_or_b32 exec_lo, exec_lo, s16
	s_delay_alu instid0(VALU_DEP_1) | instskip(SKIP_1) | instid1(VALU_DEP_2)
	v_dual_lshlrev_b32 v61, 24, v63 :: v_dual_lshlrev_b32 v20, 20, v20
	v_lshl_add_u32 v60, v60, 23, 0x3c000000
	v_and_b32_e32 v61, 0x80000000, v61
	s_delay_alu instid0(VALU_DEP_1) | instskip(NEXT) | instid1(VALU_DEP_1)
	v_or3_b32 v20, v20, v61, v60
	v_mov_b64_e32 v[60:61], v[20:21]
.LBB195_748:                            ;   in Loop: Header=BB195_488 Depth=1
	s_or_b32 exec_lo, exec_lo, s15
.LBB195_749:                            ;   in Loop: Header=BB195_488 Depth=1
	s_delay_alu instid0(SALU_CYCLE_1)
	s_or_b32 exec_lo, exec_lo, s14
.LBB195_750:                            ;   in Loop: Header=BB195_488 Depth=1
	s_delay_alu instid0(SALU_CYCLE_1) | instskip(NEXT) | instid1(SALU_CYCLE_1)
	s_or_b32 exec_lo, exec_lo, s11
	s_mov_b32 s11, exec_lo
	v_cmpx_lt_u32_e32 0xffffff, v62
	s_cbranch_execz .LBB195_758
; %bb.751:                              ;   in Loop: Header=BB195_488 Depth=1
	v_mov_b64_e32 v[58:59], 0x8000000000000000
	v_lshrrev_b32_e32 v63, 24, v62
	s_mov_b32 s14, exec_lo
	s_delay_alu instid0(VALU_DEP_1)
	v_cmpx_ne_u32_e32 0x80, v63
	s_cbranch_execz .LBB195_757
; %bb.752:                              ;   in Loop: Header=BB195_488 Depth=1
	v_mov_b64_e32 v[58:59], 0x7f80000100000000
	v_bfe_u32 v62, v62, 24, 7
	s_mov_b32 s15, exec_lo
	s_delay_alu instid0(VALU_DEP_1)
	v_cmpx_ne_u32_e32 0x7f, v62
	s_cbranch_execz .LBB195_756
; %bb.753:                              ;   in Loop: Header=BB195_488 Depth=1
	v_dual_lshrrev_b32 v58, 3, v62 :: v_dual_bitop2_b32 v20, 7, v63 bitop3:0x40
	s_mov_b32 s16, exec_lo
	v_cmpx_gt_u32_e32 8, v62
; %bb.754:                              ;   in Loop: Header=BB195_488 Depth=1
	s_delay_alu instid0(VALU_DEP_2) | instskip(NEXT) | instid1(VALU_DEP_1)
	v_clz_i32_u32_e32 v58, v20
	v_min_u32_e32 v58, 32, v58
	s_delay_alu instid0(VALU_DEP_1) | instskip(NEXT) | instid1(VALU_DEP_1)
	v_subrev_nc_u32_e32 v59, 28, v58
	v_lshlrev_b64_e32 v[64:65], v59, v[20:21]
	s_delay_alu instid0(VALU_DEP_1)
	v_dual_sub_nc_u32 v58, 29, v58 :: v_dual_bitop2_b32 v20, 7, v64 bitop3:0x40
; %bb.755:                              ;   in Loop: Header=BB195_488 Depth=1
	s_or_b32 exec_lo, exec_lo, s16
	s_delay_alu instid0(VALU_DEP_1) | instskip(NEXT) | instid1(VALU_DEP_2)
	v_dual_lshlrev_b32 v59, 24, v63 :: v_dual_lshlrev_b32 v20, 20, v20
	v_lshl_add_u32 v58, v58, 23, 0x3c000000
	s_delay_alu instid0(VALU_DEP_2) | instskip(NEXT) | instid1(VALU_DEP_1)
	v_and_b32_e32 v59, 0x80000000, v59
	v_or3_b32 v59, v20, v59, v58
	v_mov_b32_e32 v58, v21
.LBB195_756:                            ;   in Loop: Header=BB195_488 Depth=1
	s_or_b32 exec_lo, exec_lo, s15
.LBB195_757:                            ;   in Loop: Header=BB195_488 Depth=1
	s_delay_alu instid0(SALU_CYCLE_1)
	s_or_b32 exec_lo, exec_lo, s14
.LBB195_758:                            ;   in Loop: Header=BB195_488 Depth=1
	s_delay_alu instid0(SALU_CYCLE_1)
	s_or_b32 exec_lo, exec_lo, s11
	v_mov_b64_e32 v[62:63], s[2:3]
	v_or_b32_e32 v1, v1, v57
	v_or_b32_e32 v0, v0, v56
	;; [unrolled: 1-line block ×4, first 2 shown]
	s_delay_alu instid0(VALU_DEP_3) | instskip(NEXT) | instid1(VALU_DEP_2)
	v_pk_mul_f32 v[56:57], v[62:63], v[0:1]
	v_pk_mul_f32 v[0:1], v[62:63], v[58:59]
	s_and_saveexec_b32 s11, vcc_lo
	s_cbranch_execz .LBB195_760
; %bb.759:                              ;   in Loop: Header=BB195_488 Depth=1
	v_cmp_gt_i32_e64 s0, s25, v88
	s_delay_alu instid0(VALU_DEP_1) | instskip(SKIP_1) | instid1(VALU_DEP_1)
	v_cndmask_b32_e64 v56, 0, v56, s0
	v_cmp_gt_i32_e64 s0, s25, v91
	v_cndmask_b32_e64 v57, 0, v57, s0
	v_cmp_gt_i32_e64 s0, s25, v83
	s_delay_alu instid0(VALU_DEP_1) | instskip(SKIP_1) | instid1(VALU_DEP_1)
	v_cndmask_b32_e64 v0, 0, v0, s0
	v_cmp_gt_i32_e64 s0, s25, v82
	v_cndmask_b32_e64 v1, 0, v1, s0
.LBB195_760:                            ;   in Loop: Header=BB195_488 Depth=1
	s_or_b32 exec_lo, exec_lo, s11
	global_load_b32 v66, v[30:31], off offset:1024
	v_mov_b64_e32 v[58:59], 0
	v_mov_b64_e32 v[60:61], 0
	s_mov_b32 s11, exec_lo
	s_wait_loadcnt 0x0
	v_and_b32_e32 v20, 0xff, v66
	s_delay_alu instid0(VALU_DEP_1)
	v_cmpx_ne_u16_e32 0, v20
	s_cbranch_execz .LBB195_768
; %bb.761:                              ;   in Loop: Header=BB195_488 Depth=1
	v_mov_b64_e32 v[60:61], 0x80000000
	s_mov_b32 s14, exec_lo
	v_cmpx_ne_u16_e32 0x80, v20
	s_cbranch_execz .LBB195_767
; %bb.762:                              ;   in Loop: Header=BB195_488 Depth=1
	v_mov_b64_e32 v[60:61], 0x7f800001
	v_and_b32_e32 v62, 0x7f, v66
	s_mov_b32 s15, exec_lo
	s_delay_alu instid0(VALU_DEP_1)
	v_cmpx_ne_u32_e32 0x7f, v62
	s_cbranch_execz .LBB195_766
; %bb.763:                              ;   in Loop: Header=BB195_488 Depth=1
	v_and_b32_e32 v20, 7, v66
	v_lshrrev_b32_e32 v60, 3, v62
	s_mov_b32 s16, exec_lo
	v_cmpx_gt_u32_e32 8, v62
; %bb.764:                              ;   in Loop: Header=BB195_488 Depth=1
	s_delay_alu instid0(VALU_DEP_3) | instskip(NEXT) | instid1(VALU_DEP_1)
	v_clz_i32_u32_e32 v60, v20
	v_min_u32_e32 v60, 32, v60
	s_delay_alu instid0(VALU_DEP_1) | instskip(NEXT) | instid1(VALU_DEP_1)
	v_subrev_nc_u32_e32 v61, 28, v60
	v_lshlrev_b64_e32 v[62:63], v61, v[20:21]
	s_delay_alu instid0(VALU_DEP_1)
	v_dual_sub_nc_u32 v60, 29, v60 :: v_dual_bitop2_b32 v20, 7, v62 bitop3:0x40
; %bb.765:                              ;   in Loop: Header=BB195_488 Depth=1
	s_or_b32 exec_lo, exec_lo, s16
	s_delay_alu instid0(VALU_DEP_1) | instskip(NEXT) | instid1(VALU_DEP_2)
	v_dual_lshlrev_b32 v61, 24, v66 :: v_dual_lshlrev_b32 v20, 20, v20
	v_lshl_add_u32 v60, v60, 23, 0x3c000000
	s_delay_alu instid0(VALU_DEP_2) | instskip(NEXT) | instid1(VALU_DEP_1)
	v_and_b32_e32 v61, 0x80000000, v61
	v_or3_b32 v20, v20, v61, v60
	s_delay_alu instid0(VALU_DEP_1)
	v_mov_b64_e32 v[60:61], v[20:21]
.LBB195_766:                            ;   in Loop: Header=BB195_488 Depth=1
	s_or_b32 exec_lo, exec_lo, s15
.LBB195_767:                            ;   in Loop: Header=BB195_488 Depth=1
	s_delay_alu instid0(SALU_CYCLE_1)
	s_or_b32 exec_lo, exec_lo, s14
.LBB195_768:                            ;   in Loop: Header=BB195_488 Depth=1
	s_delay_alu instid0(SALU_CYCLE_1) | instskip(SKIP_2) | instid1(VALU_DEP_1)
	s_or_b32 exec_lo, exec_lo, s11
	v_lshrrev_b16 v20, 8, v66
	s_mov_b32 s11, exec_lo
	v_cmpx_ne_u16_e32 0, v20
	s_cbranch_execz .LBB195_776
; %bb.769:                              ;   in Loop: Header=BB195_488 Depth=1
	v_mov_b64_e32 v[58:59], 0x8000000000000000
	s_mov_b32 s14, exec_lo
	v_cmpx_ne_u16_e32 0x80, v20
	s_cbranch_execz .LBB195_775
; %bb.770:                              ;   in Loop: Header=BB195_488 Depth=1
	v_and_b32_e32 v20, 0xffff, v20
	v_mov_b64_e32 v[58:59], 0x7f80000100000000
	s_mov_b32 s15, exec_lo
	s_delay_alu instid0(VALU_DEP_2) | instskip(NEXT) | instid1(VALU_DEP_1)
	v_and_b32_e32 v62, 0x7f, v20
	v_cmpx_ne_u32_e32 0x7f, v62
	s_cbranch_execz .LBB195_774
; %bb.771:                              ;   in Loop: Header=BB195_488 Depth=1
	v_dual_lshrrev_b32 v58, 3, v62 :: v_dual_bitop2_b32 v20, 7, v20 bitop3:0x40
	s_mov_b32 s16, exec_lo
	v_cmpx_gt_u32_e32 8, v62
; %bb.772:                              ;   in Loop: Header=BB195_488 Depth=1
	s_delay_alu instid0(VALU_DEP_2) | instskip(NEXT) | instid1(VALU_DEP_1)
	v_clz_i32_u32_e32 v58, v20
	v_min_u32_e32 v58, 32, v58
	s_delay_alu instid0(VALU_DEP_1) | instskip(SKIP_1) | instid1(VALU_DEP_2)
	v_subrev_nc_u32_e32 v59, 28, v58
	v_sub_nc_u32_e32 v58, 29, v58
	v_lshlrev_b64_e32 v[62:63], v59, v[20:21]
	s_delay_alu instid0(VALU_DEP_1)
	v_and_b32_e32 v20, 7, v62
; %bb.773:                              ;   in Loop: Header=BB195_488 Depth=1
	s_or_b32 exec_lo, exec_lo, s16
	s_delay_alu instid0(VALU_DEP_1) | instskip(SKIP_1) | instid1(VALU_DEP_2)
	v_dual_lshlrev_b32 v59, 16, v66 :: v_dual_lshlrev_b32 v20, 20, v20
	v_lshl_add_u32 v58, v58, 23, 0x3c000000
	v_and_b32_e32 v59, 0x80000000, v59
	s_delay_alu instid0(VALU_DEP_1)
	v_or3_b32 v59, v20, v59, v58
	v_mov_b32_e32 v58, v21
.LBB195_774:                            ;   in Loop: Header=BB195_488 Depth=1
	s_or_b32 exec_lo, exec_lo, s15
.LBB195_775:                            ;   in Loop: Header=BB195_488 Depth=1
	s_delay_alu instid0(SALU_CYCLE_1)
	s_or_b32 exec_lo, exec_lo, s14
.LBB195_776:                            ;   in Loop: Header=BB195_488 Depth=1
	s_delay_alu instid0(SALU_CYCLE_1) | instskip(SKIP_4) | instid1(VALU_DEP_3)
	s_or_b32 exec_lo, exec_lo, s11
	v_lshrrev_b32_e32 v67, 16, v66
	v_mov_b64_e32 v[62:63], 0
	v_mov_b64_e32 v[64:65], 0
	s_mov_b32 s11, exec_lo
	v_and_b32_e32 v20, 0xff, v67
	s_delay_alu instid0(VALU_DEP_1)
	v_cmpx_ne_u16_e32 0, v20
	s_cbranch_execz .LBB195_784
; %bb.777:                              ;   in Loop: Header=BB195_488 Depth=1
	v_mov_b64_e32 v[64:65], 0x80000000
	s_mov_b32 s14, exec_lo
	v_cmpx_ne_u16_e32 0x80, v20
	s_cbranch_execz .LBB195_783
; %bb.778:                              ;   in Loop: Header=BB195_488 Depth=1
	v_mov_b64_e32 v[64:65], 0x7f800001
	v_bfe_u32 v68, v66, 16, 7
	s_mov_b32 s15, exec_lo
	s_delay_alu instid0(VALU_DEP_1)
	v_cmpx_ne_u32_e32 0x7f, v68
	s_cbranch_execz .LBB195_782
; %bb.779:                              ;   in Loop: Header=BB195_488 Depth=1
	v_dual_lshrrev_b32 v64, 3, v68 :: v_dual_bitop2_b32 v20, 7, v67 bitop3:0x40
	s_mov_b32 s16, exec_lo
	v_cmpx_gt_u32_e32 8, v68
; %bb.780:                              ;   in Loop: Header=BB195_488 Depth=1
	s_delay_alu instid0(VALU_DEP_2) | instskip(NEXT) | instid1(VALU_DEP_1)
	v_clz_i32_u32_e32 v64, v20
	v_min_u32_e32 v64, 32, v64
	s_delay_alu instid0(VALU_DEP_1) | instskip(SKIP_1) | instid1(VALU_DEP_2)
	v_subrev_nc_u32_e32 v65, 28, v64
	v_sub_nc_u32_e32 v64, 29, v64
	v_lshlrev_b64_e32 v[68:69], v65, v[20:21]
	s_delay_alu instid0(VALU_DEP_1)
	v_and_b32_e32 v20, 7, v68
; %bb.781:                              ;   in Loop: Header=BB195_488 Depth=1
	s_or_b32 exec_lo, exec_lo, s16
	s_delay_alu instid0(VALU_DEP_1) | instskip(SKIP_1) | instid1(VALU_DEP_2)
	v_dual_lshlrev_b32 v65, 24, v67 :: v_dual_lshlrev_b32 v20, 20, v20
	v_lshl_add_u32 v64, v64, 23, 0x3c000000
	v_and_b32_e32 v65, 0x80000000, v65
	s_delay_alu instid0(VALU_DEP_1) | instskip(NEXT) | instid1(VALU_DEP_1)
	v_or3_b32 v20, v20, v65, v64
	v_mov_b64_e32 v[64:65], v[20:21]
.LBB195_782:                            ;   in Loop: Header=BB195_488 Depth=1
	s_or_b32 exec_lo, exec_lo, s15
.LBB195_783:                            ;   in Loop: Header=BB195_488 Depth=1
	s_delay_alu instid0(SALU_CYCLE_1)
	s_or_b32 exec_lo, exec_lo, s14
.LBB195_784:                            ;   in Loop: Header=BB195_488 Depth=1
	s_delay_alu instid0(SALU_CYCLE_1) | instskip(NEXT) | instid1(SALU_CYCLE_1)
	s_or_b32 exec_lo, exec_lo, s11
	s_mov_b32 s11, exec_lo
	v_cmpx_lt_u32_e32 0xffffff, v66
	s_cbranch_execz .LBB195_792
; %bb.785:                              ;   in Loop: Header=BB195_488 Depth=1
	v_mov_b64_e32 v[62:63], 0x8000000000000000
	v_lshrrev_b32_e32 v67, 24, v66
	s_mov_b32 s14, exec_lo
	s_delay_alu instid0(VALU_DEP_1)
	v_cmpx_ne_u32_e32 0x80, v67
	s_cbranch_execz .LBB195_791
; %bb.786:                              ;   in Loop: Header=BB195_488 Depth=1
	v_mov_b64_e32 v[62:63], 0x7f80000100000000
	v_bfe_u32 v66, v66, 24, 7
	s_mov_b32 s15, exec_lo
	s_delay_alu instid0(VALU_DEP_1)
	v_cmpx_ne_u32_e32 0x7f, v66
	s_cbranch_execz .LBB195_790
; %bb.787:                              ;   in Loop: Header=BB195_488 Depth=1
	v_dual_lshrrev_b32 v62, 3, v66 :: v_dual_bitop2_b32 v20, 7, v67 bitop3:0x40
	s_mov_b32 s16, exec_lo
	v_cmpx_gt_u32_e32 8, v66
; %bb.788:                              ;   in Loop: Header=BB195_488 Depth=1
	s_delay_alu instid0(VALU_DEP_2) | instskip(NEXT) | instid1(VALU_DEP_1)
	v_clz_i32_u32_e32 v62, v20
	v_min_u32_e32 v62, 32, v62
	s_delay_alu instid0(VALU_DEP_1) | instskip(NEXT) | instid1(VALU_DEP_1)
	v_subrev_nc_u32_e32 v63, 28, v62
	v_lshlrev_b64_e32 v[68:69], v63, v[20:21]
	s_delay_alu instid0(VALU_DEP_1)
	v_dual_sub_nc_u32 v62, 29, v62 :: v_dual_bitop2_b32 v20, 7, v68 bitop3:0x40
; %bb.789:                              ;   in Loop: Header=BB195_488 Depth=1
	s_or_b32 exec_lo, exec_lo, s16
	s_delay_alu instid0(VALU_DEP_1) | instskip(NEXT) | instid1(VALU_DEP_2)
	v_dual_lshlrev_b32 v63, 24, v67 :: v_dual_lshlrev_b32 v20, 20, v20
	v_lshl_add_u32 v62, v62, 23, 0x3c000000
	s_delay_alu instid0(VALU_DEP_2) | instskip(NEXT) | instid1(VALU_DEP_1)
	v_and_b32_e32 v63, 0x80000000, v63
	v_or3_b32 v63, v20, v63, v62
	v_mov_b32_e32 v62, v21
.LBB195_790:                            ;   in Loop: Header=BB195_488 Depth=1
	s_or_b32 exec_lo, exec_lo, s15
.LBB195_791:                            ;   in Loop: Header=BB195_488 Depth=1
	s_delay_alu instid0(SALU_CYCLE_1)
	s_or_b32 exec_lo, exec_lo, s14
.LBB195_792:                            ;   in Loop: Header=BB195_488 Depth=1
	s_delay_alu instid0(SALU_CYCLE_1)
	s_or_b32 exec_lo, exec_lo, s11
	v_mov_b64_e32 v[66:67], s[2:3]
	v_or_b32_e32 v59, v59, v61
	v_or_b32_e32 v58, v58, v60
	;; [unrolled: 1-line block ×4, first 2 shown]
	s_delay_alu instid0(VALU_DEP_3) | instskip(NEXT) | instid1(VALU_DEP_2)
	v_pk_mul_f32 v[60:61], v[66:67], v[58:59]
	v_pk_mul_f32 v[58:59], v[66:67], v[62:63]
	s_and_saveexec_b32 s11, vcc_lo
	s_cbranch_execz .LBB195_794
; %bb.793:                              ;   in Loop: Header=BB195_488 Depth=1
	v_cmp_gt_i32_e64 s0, s25, v88
	s_delay_alu instid0(VALU_DEP_1) | instskip(SKIP_1) | instid1(VALU_DEP_1)
	v_cndmask_b32_e64 v60, 0, v60, s0
	v_cmp_gt_i32_e64 s0, s25, v91
	v_cndmask_b32_e64 v61, 0, v61, s0
	v_cmp_gt_i32_e64 s0, s25, v83
	s_delay_alu instid0(VALU_DEP_1) | instskip(SKIP_1) | instid1(VALU_DEP_1)
	v_cndmask_b32_e64 v58, 0, v58, s0
	v_cmp_gt_i32_e64 s0, s25, v82
	v_cndmask_b32_e64 v59, 0, v59, s0
.LBB195_794:                            ;   in Loop: Header=BB195_488 Depth=1
	s_or_b32 exec_lo, exec_lo, s11
	global_load_b32 v70, v[30:31], off offset:1152
	v_mov_b64_e32 v[62:63], 0
	v_mov_b64_e32 v[64:65], 0
	s_mov_b32 s11, exec_lo
	s_wait_loadcnt 0x0
	v_and_b32_e32 v20, 0xff, v70
	s_delay_alu instid0(VALU_DEP_1)
	v_cmpx_ne_u16_e32 0, v20
	s_cbranch_execz .LBB195_802
; %bb.795:                              ;   in Loop: Header=BB195_488 Depth=1
	v_mov_b64_e32 v[64:65], 0x80000000
	s_mov_b32 s14, exec_lo
	v_cmpx_ne_u16_e32 0x80, v20
	s_cbranch_execz .LBB195_801
; %bb.796:                              ;   in Loop: Header=BB195_488 Depth=1
	v_mov_b64_e32 v[64:65], 0x7f800001
	v_and_b32_e32 v66, 0x7f, v70
	s_mov_b32 s15, exec_lo
	s_delay_alu instid0(VALU_DEP_1)
	v_cmpx_ne_u32_e32 0x7f, v66
	s_cbranch_execz .LBB195_800
; %bb.797:                              ;   in Loop: Header=BB195_488 Depth=1
	v_and_b32_e32 v20, 7, v70
	v_lshrrev_b32_e32 v64, 3, v66
	s_mov_b32 s16, exec_lo
	v_cmpx_gt_u32_e32 8, v66
; %bb.798:                              ;   in Loop: Header=BB195_488 Depth=1
	s_delay_alu instid0(VALU_DEP_3) | instskip(NEXT) | instid1(VALU_DEP_1)
	v_clz_i32_u32_e32 v64, v20
	v_min_u32_e32 v64, 32, v64
	s_delay_alu instid0(VALU_DEP_1) | instskip(NEXT) | instid1(VALU_DEP_1)
	v_subrev_nc_u32_e32 v65, 28, v64
	v_lshlrev_b64_e32 v[66:67], v65, v[20:21]
	s_delay_alu instid0(VALU_DEP_1)
	v_dual_sub_nc_u32 v64, 29, v64 :: v_dual_bitop2_b32 v20, 7, v66 bitop3:0x40
; %bb.799:                              ;   in Loop: Header=BB195_488 Depth=1
	s_or_b32 exec_lo, exec_lo, s16
	s_delay_alu instid0(VALU_DEP_1) | instskip(NEXT) | instid1(VALU_DEP_2)
	v_dual_lshlrev_b32 v65, 24, v70 :: v_dual_lshlrev_b32 v20, 20, v20
	v_lshl_add_u32 v64, v64, 23, 0x3c000000
	s_delay_alu instid0(VALU_DEP_2) | instskip(NEXT) | instid1(VALU_DEP_1)
	v_and_b32_e32 v65, 0x80000000, v65
	v_or3_b32 v20, v20, v65, v64
	s_delay_alu instid0(VALU_DEP_1)
	v_mov_b64_e32 v[64:65], v[20:21]
.LBB195_800:                            ;   in Loop: Header=BB195_488 Depth=1
	s_or_b32 exec_lo, exec_lo, s15
.LBB195_801:                            ;   in Loop: Header=BB195_488 Depth=1
	s_delay_alu instid0(SALU_CYCLE_1)
	s_or_b32 exec_lo, exec_lo, s14
.LBB195_802:                            ;   in Loop: Header=BB195_488 Depth=1
	s_delay_alu instid0(SALU_CYCLE_1) | instskip(SKIP_2) | instid1(VALU_DEP_1)
	s_or_b32 exec_lo, exec_lo, s11
	v_lshrrev_b16 v20, 8, v70
	s_mov_b32 s11, exec_lo
	v_cmpx_ne_u16_e32 0, v20
	s_cbranch_execz .LBB195_810
; %bb.803:                              ;   in Loop: Header=BB195_488 Depth=1
	v_mov_b64_e32 v[62:63], 0x8000000000000000
	s_mov_b32 s14, exec_lo
	v_cmpx_ne_u16_e32 0x80, v20
	s_cbranch_execz .LBB195_809
; %bb.804:                              ;   in Loop: Header=BB195_488 Depth=1
	v_and_b32_e32 v20, 0xffff, v20
	v_mov_b64_e32 v[62:63], 0x7f80000100000000
	s_mov_b32 s15, exec_lo
	s_delay_alu instid0(VALU_DEP_2) | instskip(NEXT) | instid1(VALU_DEP_1)
	v_and_b32_e32 v66, 0x7f, v20
	v_cmpx_ne_u32_e32 0x7f, v66
	s_cbranch_execz .LBB195_808
; %bb.805:                              ;   in Loop: Header=BB195_488 Depth=1
	v_dual_lshrrev_b32 v62, 3, v66 :: v_dual_bitop2_b32 v20, 7, v20 bitop3:0x40
	s_mov_b32 s16, exec_lo
	v_cmpx_gt_u32_e32 8, v66
; %bb.806:                              ;   in Loop: Header=BB195_488 Depth=1
	s_delay_alu instid0(VALU_DEP_2) | instskip(NEXT) | instid1(VALU_DEP_1)
	v_clz_i32_u32_e32 v62, v20
	v_min_u32_e32 v62, 32, v62
	s_delay_alu instid0(VALU_DEP_1) | instskip(SKIP_1) | instid1(VALU_DEP_2)
	v_subrev_nc_u32_e32 v63, 28, v62
	v_sub_nc_u32_e32 v62, 29, v62
	v_lshlrev_b64_e32 v[66:67], v63, v[20:21]
	s_delay_alu instid0(VALU_DEP_1)
	v_and_b32_e32 v20, 7, v66
; %bb.807:                              ;   in Loop: Header=BB195_488 Depth=1
	s_or_b32 exec_lo, exec_lo, s16
	s_delay_alu instid0(VALU_DEP_1) | instskip(SKIP_1) | instid1(VALU_DEP_2)
	v_dual_lshlrev_b32 v63, 16, v70 :: v_dual_lshlrev_b32 v20, 20, v20
	v_lshl_add_u32 v62, v62, 23, 0x3c000000
	v_and_b32_e32 v63, 0x80000000, v63
	s_delay_alu instid0(VALU_DEP_1)
	v_or3_b32 v63, v20, v63, v62
	v_mov_b32_e32 v62, v21
.LBB195_808:                            ;   in Loop: Header=BB195_488 Depth=1
	s_or_b32 exec_lo, exec_lo, s15
.LBB195_809:                            ;   in Loop: Header=BB195_488 Depth=1
	s_delay_alu instid0(SALU_CYCLE_1)
	s_or_b32 exec_lo, exec_lo, s14
.LBB195_810:                            ;   in Loop: Header=BB195_488 Depth=1
	s_delay_alu instid0(SALU_CYCLE_1) | instskip(SKIP_4) | instid1(VALU_DEP_3)
	s_or_b32 exec_lo, exec_lo, s11
	v_lshrrev_b32_e32 v71, 16, v70
	v_mov_b64_e32 v[66:67], 0
	v_mov_b64_e32 v[68:69], 0
	s_mov_b32 s11, exec_lo
	v_and_b32_e32 v20, 0xff, v71
	s_delay_alu instid0(VALU_DEP_1)
	v_cmpx_ne_u16_e32 0, v20
	s_cbranch_execz .LBB195_818
; %bb.811:                              ;   in Loop: Header=BB195_488 Depth=1
	v_mov_b64_e32 v[68:69], 0x80000000
	s_mov_b32 s14, exec_lo
	v_cmpx_ne_u16_e32 0x80, v20
	s_cbranch_execz .LBB195_817
; %bb.812:                              ;   in Loop: Header=BB195_488 Depth=1
	v_mov_b64_e32 v[68:69], 0x7f800001
	v_bfe_u32 v72, v70, 16, 7
	s_mov_b32 s15, exec_lo
	s_delay_alu instid0(VALU_DEP_1)
	v_cmpx_ne_u32_e32 0x7f, v72
	s_cbranch_execz .LBB195_816
; %bb.813:                              ;   in Loop: Header=BB195_488 Depth=1
	v_dual_lshrrev_b32 v68, 3, v72 :: v_dual_bitop2_b32 v20, 7, v71 bitop3:0x40
	s_mov_b32 s16, exec_lo
	v_cmpx_gt_u32_e32 8, v72
; %bb.814:                              ;   in Loop: Header=BB195_488 Depth=1
	s_delay_alu instid0(VALU_DEP_2) | instskip(NEXT) | instid1(VALU_DEP_1)
	v_clz_i32_u32_e32 v68, v20
	v_min_u32_e32 v68, 32, v68
	s_delay_alu instid0(VALU_DEP_1) | instskip(SKIP_1) | instid1(VALU_DEP_2)
	v_subrev_nc_u32_e32 v69, 28, v68
	v_sub_nc_u32_e32 v68, 29, v68
	v_lshlrev_b64_e32 v[72:73], v69, v[20:21]
	s_delay_alu instid0(VALU_DEP_1)
	v_and_b32_e32 v20, 7, v72
; %bb.815:                              ;   in Loop: Header=BB195_488 Depth=1
	s_or_b32 exec_lo, exec_lo, s16
	s_delay_alu instid0(VALU_DEP_1) | instskip(SKIP_1) | instid1(VALU_DEP_2)
	v_dual_lshlrev_b32 v69, 24, v71 :: v_dual_lshlrev_b32 v20, 20, v20
	v_lshl_add_u32 v68, v68, 23, 0x3c000000
	v_and_b32_e32 v69, 0x80000000, v69
	s_delay_alu instid0(VALU_DEP_1) | instskip(NEXT) | instid1(VALU_DEP_1)
	v_or3_b32 v20, v20, v69, v68
	v_mov_b64_e32 v[68:69], v[20:21]
.LBB195_816:                            ;   in Loop: Header=BB195_488 Depth=1
	s_or_b32 exec_lo, exec_lo, s15
.LBB195_817:                            ;   in Loop: Header=BB195_488 Depth=1
	s_delay_alu instid0(SALU_CYCLE_1)
	s_or_b32 exec_lo, exec_lo, s14
.LBB195_818:                            ;   in Loop: Header=BB195_488 Depth=1
	s_delay_alu instid0(SALU_CYCLE_1) | instskip(NEXT) | instid1(SALU_CYCLE_1)
	s_or_b32 exec_lo, exec_lo, s11
	s_mov_b32 s11, exec_lo
	v_cmpx_lt_u32_e32 0xffffff, v70
	s_cbranch_execz .LBB195_826
; %bb.819:                              ;   in Loop: Header=BB195_488 Depth=1
	v_mov_b64_e32 v[66:67], 0x8000000000000000
	v_lshrrev_b32_e32 v71, 24, v70
	s_mov_b32 s14, exec_lo
	s_delay_alu instid0(VALU_DEP_1)
	v_cmpx_ne_u32_e32 0x80, v71
	s_cbranch_execz .LBB195_825
; %bb.820:                              ;   in Loop: Header=BB195_488 Depth=1
	v_mov_b64_e32 v[66:67], 0x7f80000100000000
	v_bfe_u32 v70, v70, 24, 7
	s_mov_b32 s15, exec_lo
	s_delay_alu instid0(VALU_DEP_1)
	v_cmpx_ne_u32_e32 0x7f, v70
	s_cbranch_execz .LBB195_824
; %bb.821:                              ;   in Loop: Header=BB195_488 Depth=1
	v_dual_lshrrev_b32 v66, 3, v70 :: v_dual_bitop2_b32 v20, 7, v71 bitop3:0x40
	s_mov_b32 s16, exec_lo
	v_cmpx_gt_u32_e32 8, v70
; %bb.822:                              ;   in Loop: Header=BB195_488 Depth=1
	s_delay_alu instid0(VALU_DEP_2) | instskip(NEXT) | instid1(VALU_DEP_1)
	v_clz_i32_u32_e32 v66, v20
	v_min_u32_e32 v66, 32, v66
	s_delay_alu instid0(VALU_DEP_1) | instskip(NEXT) | instid1(VALU_DEP_1)
	v_subrev_nc_u32_e32 v67, 28, v66
	v_lshlrev_b64_e32 v[72:73], v67, v[20:21]
	s_delay_alu instid0(VALU_DEP_1)
	v_dual_sub_nc_u32 v66, 29, v66 :: v_dual_bitop2_b32 v20, 7, v72 bitop3:0x40
; %bb.823:                              ;   in Loop: Header=BB195_488 Depth=1
	s_or_b32 exec_lo, exec_lo, s16
	s_delay_alu instid0(VALU_DEP_1) | instskip(NEXT) | instid1(VALU_DEP_2)
	v_dual_lshlrev_b32 v67, 24, v71 :: v_dual_lshlrev_b32 v20, 20, v20
	v_lshl_add_u32 v66, v66, 23, 0x3c000000
	s_delay_alu instid0(VALU_DEP_2) | instskip(NEXT) | instid1(VALU_DEP_1)
	v_and_b32_e32 v67, 0x80000000, v67
	v_or3_b32 v67, v20, v67, v66
	v_mov_b32_e32 v66, v21
.LBB195_824:                            ;   in Loop: Header=BB195_488 Depth=1
	s_or_b32 exec_lo, exec_lo, s15
.LBB195_825:                            ;   in Loop: Header=BB195_488 Depth=1
	s_delay_alu instid0(SALU_CYCLE_1)
	s_or_b32 exec_lo, exec_lo, s14
.LBB195_826:                            ;   in Loop: Header=BB195_488 Depth=1
	s_delay_alu instid0(SALU_CYCLE_1)
	s_or_b32 exec_lo, exec_lo, s11
	v_mov_b64_e32 v[70:71], s[2:3]
	v_or_b32_e32 v63, v63, v65
	v_or_b32_e32 v62, v62, v64
	;; [unrolled: 1-line block ×4, first 2 shown]
	s_delay_alu instid0(VALU_DEP_3) | instskip(NEXT) | instid1(VALU_DEP_2)
	v_pk_mul_f32 v[64:65], v[70:71], v[62:63]
	v_pk_mul_f32 v[62:63], v[70:71], v[66:67]
	s_and_saveexec_b32 s11, vcc_lo
	s_cbranch_execz .LBB195_828
; %bb.827:                              ;   in Loop: Header=BB195_488 Depth=1
	v_cmp_gt_i32_e64 s0, s25, v88
	s_delay_alu instid0(VALU_DEP_1) | instskip(SKIP_1) | instid1(VALU_DEP_1)
	v_cndmask_b32_e64 v64, 0, v64, s0
	v_cmp_gt_i32_e64 s0, s25, v91
	v_cndmask_b32_e64 v65, 0, v65, s0
	v_cmp_gt_i32_e64 s0, s25, v83
	s_delay_alu instid0(VALU_DEP_1) | instskip(SKIP_1) | instid1(VALU_DEP_1)
	v_cndmask_b32_e64 v62, 0, v62, s0
	v_cmp_gt_i32_e64 s0, s25, v82
	v_cndmask_b32_e64 v63, 0, v63, s0
.LBB195_828:                            ;   in Loop: Header=BB195_488 Depth=1
	s_or_b32 exec_lo, exec_lo, s11
	global_load_b32 v74, v[30:31], off offset:1280
	v_mov_b64_e32 v[66:67], 0
	v_mov_b64_e32 v[68:69], 0
	s_mov_b32 s11, exec_lo
	s_wait_loadcnt 0x0
	v_and_b32_e32 v20, 0xff, v74
	s_delay_alu instid0(VALU_DEP_1)
	v_cmpx_ne_u16_e32 0, v20
	s_cbranch_execz .LBB195_836
; %bb.829:                              ;   in Loop: Header=BB195_488 Depth=1
	v_mov_b64_e32 v[68:69], 0x80000000
	s_mov_b32 s14, exec_lo
	v_cmpx_ne_u16_e32 0x80, v20
	s_cbranch_execz .LBB195_835
; %bb.830:                              ;   in Loop: Header=BB195_488 Depth=1
	v_mov_b64_e32 v[68:69], 0x7f800001
	v_and_b32_e32 v70, 0x7f, v74
	s_mov_b32 s15, exec_lo
	s_delay_alu instid0(VALU_DEP_1)
	v_cmpx_ne_u32_e32 0x7f, v70
	s_cbranch_execz .LBB195_834
; %bb.831:                              ;   in Loop: Header=BB195_488 Depth=1
	v_and_b32_e32 v20, 7, v74
	v_lshrrev_b32_e32 v68, 3, v70
	s_mov_b32 s16, exec_lo
	v_cmpx_gt_u32_e32 8, v70
; %bb.832:                              ;   in Loop: Header=BB195_488 Depth=1
	s_delay_alu instid0(VALU_DEP_3) | instskip(NEXT) | instid1(VALU_DEP_1)
	v_clz_i32_u32_e32 v68, v20
	v_min_u32_e32 v68, 32, v68
	s_delay_alu instid0(VALU_DEP_1) | instskip(NEXT) | instid1(VALU_DEP_1)
	v_subrev_nc_u32_e32 v69, 28, v68
	v_lshlrev_b64_e32 v[70:71], v69, v[20:21]
	s_delay_alu instid0(VALU_DEP_1)
	v_dual_sub_nc_u32 v68, 29, v68 :: v_dual_bitop2_b32 v20, 7, v70 bitop3:0x40
; %bb.833:                              ;   in Loop: Header=BB195_488 Depth=1
	s_or_b32 exec_lo, exec_lo, s16
	s_delay_alu instid0(VALU_DEP_1) | instskip(NEXT) | instid1(VALU_DEP_2)
	v_dual_lshlrev_b32 v69, 24, v74 :: v_dual_lshlrev_b32 v20, 20, v20
	v_lshl_add_u32 v68, v68, 23, 0x3c000000
	s_delay_alu instid0(VALU_DEP_2) | instskip(NEXT) | instid1(VALU_DEP_1)
	v_and_b32_e32 v69, 0x80000000, v69
	v_or3_b32 v20, v20, v69, v68
	s_delay_alu instid0(VALU_DEP_1)
	v_mov_b64_e32 v[68:69], v[20:21]
.LBB195_834:                            ;   in Loop: Header=BB195_488 Depth=1
	s_or_b32 exec_lo, exec_lo, s15
.LBB195_835:                            ;   in Loop: Header=BB195_488 Depth=1
	s_delay_alu instid0(SALU_CYCLE_1)
	s_or_b32 exec_lo, exec_lo, s14
.LBB195_836:                            ;   in Loop: Header=BB195_488 Depth=1
	s_delay_alu instid0(SALU_CYCLE_1) | instskip(SKIP_2) | instid1(VALU_DEP_1)
	s_or_b32 exec_lo, exec_lo, s11
	v_lshrrev_b16 v20, 8, v74
	s_mov_b32 s11, exec_lo
	v_cmpx_ne_u16_e32 0, v20
	s_cbranch_execz .LBB195_844
; %bb.837:                              ;   in Loop: Header=BB195_488 Depth=1
	v_mov_b64_e32 v[66:67], 0x8000000000000000
	s_mov_b32 s14, exec_lo
	v_cmpx_ne_u16_e32 0x80, v20
	s_cbranch_execz .LBB195_843
; %bb.838:                              ;   in Loop: Header=BB195_488 Depth=1
	v_and_b32_e32 v20, 0xffff, v20
	v_mov_b64_e32 v[66:67], 0x7f80000100000000
	s_mov_b32 s15, exec_lo
	s_delay_alu instid0(VALU_DEP_2) | instskip(NEXT) | instid1(VALU_DEP_1)
	v_and_b32_e32 v70, 0x7f, v20
	v_cmpx_ne_u32_e32 0x7f, v70
	s_cbranch_execz .LBB195_842
; %bb.839:                              ;   in Loop: Header=BB195_488 Depth=1
	v_dual_lshrrev_b32 v66, 3, v70 :: v_dual_bitop2_b32 v20, 7, v20 bitop3:0x40
	s_mov_b32 s16, exec_lo
	v_cmpx_gt_u32_e32 8, v70
; %bb.840:                              ;   in Loop: Header=BB195_488 Depth=1
	s_delay_alu instid0(VALU_DEP_2) | instskip(NEXT) | instid1(VALU_DEP_1)
	v_clz_i32_u32_e32 v66, v20
	v_min_u32_e32 v66, 32, v66
	s_delay_alu instid0(VALU_DEP_1) | instskip(SKIP_1) | instid1(VALU_DEP_2)
	v_subrev_nc_u32_e32 v67, 28, v66
	v_sub_nc_u32_e32 v66, 29, v66
	v_lshlrev_b64_e32 v[70:71], v67, v[20:21]
	s_delay_alu instid0(VALU_DEP_1)
	v_and_b32_e32 v20, 7, v70
; %bb.841:                              ;   in Loop: Header=BB195_488 Depth=1
	s_or_b32 exec_lo, exec_lo, s16
	s_delay_alu instid0(VALU_DEP_1) | instskip(SKIP_1) | instid1(VALU_DEP_2)
	v_dual_lshlrev_b32 v67, 16, v74 :: v_dual_lshlrev_b32 v20, 20, v20
	v_lshl_add_u32 v66, v66, 23, 0x3c000000
	v_and_b32_e32 v67, 0x80000000, v67
	s_delay_alu instid0(VALU_DEP_1)
	v_or3_b32 v67, v20, v67, v66
	v_mov_b32_e32 v66, v21
.LBB195_842:                            ;   in Loop: Header=BB195_488 Depth=1
	s_or_b32 exec_lo, exec_lo, s15
.LBB195_843:                            ;   in Loop: Header=BB195_488 Depth=1
	s_delay_alu instid0(SALU_CYCLE_1)
	s_or_b32 exec_lo, exec_lo, s14
.LBB195_844:                            ;   in Loop: Header=BB195_488 Depth=1
	s_delay_alu instid0(SALU_CYCLE_1) | instskip(SKIP_4) | instid1(VALU_DEP_3)
	s_or_b32 exec_lo, exec_lo, s11
	v_lshrrev_b32_e32 v75, 16, v74
	v_mov_b64_e32 v[70:71], 0
	v_mov_b64_e32 v[72:73], 0
	s_mov_b32 s11, exec_lo
	v_and_b32_e32 v20, 0xff, v75
	s_delay_alu instid0(VALU_DEP_1)
	v_cmpx_ne_u16_e32 0, v20
	s_cbranch_execz .LBB195_852
; %bb.845:                              ;   in Loop: Header=BB195_488 Depth=1
	v_mov_b64_e32 v[72:73], 0x80000000
	s_mov_b32 s14, exec_lo
	v_cmpx_ne_u16_e32 0x80, v20
	s_cbranch_execz .LBB195_851
; %bb.846:                              ;   in Loop: Header=BB195_488 Depth=1
	v_mov_b64_e32 v[72:73], 0x7f800001
	v_bfe_u32 v76, v74, 16, 7
	s_mov_b32 s15, exec_lo
	s_delay_alu instid0(VALU_DEP_1)
	v_cmpx_ne_u32_e32 0x7f, v76
	s_cbranch_execz .LBB195_850
; %bb.847:                              ;   in Loop: Header=BB195_488 Depth=1
	v_dual_lshrrev_b32 v72, 3, v76 :: v_dual_bitop2_b32 v20, 7, v75 bitop3:0x40
	s_mov_b32 s16, exec_lo
	v_cmpx_gt_u32_e32 8, v76
; %bb.848:                              ;   in Loop: Header=BB195_488 Depth=1
	s_delay_alu instid0(VALU_DEP_2) | instskip(NEXT) | instid1(VALU_DEP_1)
	v_clz_i32_u32_e32 v72, v20
	v_min_u32_e32 v72, 32, v72
	s_delay_alu instid0(VALU_DEP_1) | instskip(SKIP_1) | instid1(VALU_DEP_2)
	v_subrev_nc_u32_e32 v73, 28, v72
	v_sub_nc_u32_e32 v72, 29, v72
	v_lshlrev_b64_e32 v[76:77], v73, v[20:21]
	s_delay_alu instid0(VALU_DEP_1)
	v_and_b32_e32 v20, 7, v76
; %bb.849:                              ;   in Loop: Header=BB195_488 Depth=1
	s_or_b32 exec_lo, exec_lo, s16
	s_delay_alu instid0(VALU_DEP_1) | instskip(SKIP_1) | instid1(VALU_DEP_2)
	v_dual_lshlrev_b32 v73, 24, v75 :: v_dual_lshlrev_b32 v20, 20, v20
	v_lshl_add_u32 v72, v72, 23, 0x3c000000
	v_and_b32_e32 v73, 0x80000000, v73
	s_delay_alu instid0(VALU_DEP_1) | instskip(NEXT) | instid1(VALU_DEP_1)
	v_or3_b32 v20, v20, v73, v72
	v_mov_b64_e32 v[72:73], v[20:21]
.LBB195_850:                            ;   in Loop: Header=BB195_488 Depth=1
	s_or_b32 exec_lo, exec_lo, s15
.LBB195_851:                            ;   in Loop: Header=BB195_488 Depth=1
	s_delay_alu instid0(SALU_CYCLE_1)
	s_or_b32 exec_lo, exec_lo, s14
.LBB195_852:                            ;   in Loop: Header=BB195_488 Depth=1
	s_delay_alu instid0(SALU_CYCLE_1) | instskip(NEXT) | instid1(SALU_CYCLE_1)
	s_or_b32 exec_lo, exec_lo, s11
	s_mov_b32 s11, exec_lo
	v_cmpx_lt_u32_e32 0xffffff, v74
	s_cbranch_execz .LBB195_860
; %bb.853:                              ;   in Loop: Header=BB195_488 Depth=1
	v_mov_b64_e32 v[70:71], 0x8000000000000000
	v_lshrrev_b32_e32 v75, 24, v74
	s_mov_b32 s14, exec_lo
	s_delay_alu instid0(VALU_DEP_1)
	v_cmpx_ne_u32_e32 0x80, v75
	s_cbranch_execz .LBB195_859
; %bb.854:                              ;   in Loop: Header=BB195_488 Depth=1
	v_mov_b64_e32 v[70:71], 0x7f80000100000000
	v_bfe_u32 v74, v74, 24, 7
	s_mov_b32 s15, exec_lo
	s_delay_alu instid0(VALU_DEP_1)
	v_cmpx_ne_u32_e32 0x7f, v74
	s_cbranch_execz .LBB195_858
; %bb.855:                              ;   in Loop: Header=BB195_488 Depth=1
	v_dual_lshrrev_b32 v70, 3, v74 :: v_dual_bitop2_b32 v20, 7, v75 bitop3:0x40
	s_mov_b32 s16, exec_lo
	v_cmpx_gt_u32_e32 8, v74
; %bb.856:                              ;   in Loop: Header=BB195_488 Depth=1
	s_delay_alu instid0(VALU_DEP_2) | instskip(NEXT) | instid1(VALU_DEP_1)
	v_clz_i32_u32_e32 v70, v20
	v_min_u32_e32 v70, 32, v70
	s_delay_alu instid0(VALU_DEP_1) | instskip(NEXT) | instid1(VALU_DEP_1)
	v_subrev_nc_u32_e32 v71, 28, v70
	v_lshlrev_b64_e32 v[76:77], v71, v[20:21]
	s_delay_alu instid0(VALU_DEP_1)
	v_dual_sub_nc_u32 v70, 29, v70 :: v_dual_bitop2_b32 v20, 7, v76 bitop3:0x40
; %bb.857:                              ;   in Loop: Header=BB195_488 Depth=1
	s_or_b32 exec_lo, exec_lo, s16
	s_delay_alu instid0(VALU_DEP_1) | instskip(NEXT) | instid1(VALU_DEP_2)
	v_dual_lshlrev_b32 v71, 24, v75 :: v_dual_lshlrev_b32 v20, 20, v20
	v_lshl_add_u32 v70, v70, 23, 0x3c000000
	s_delay_alu instid0(VALU_DEP_2) | instskip(NEXT) | instid1(VALU_DEP_1)
	v_and_b32_e32 v71, 0x80000000, v71
	v_or3_b32 v71, v20, v71, v70
	v_mov_b32_e32 v70, v21
.LBB195_858:                            ;   in Loop: Header=BB195_488 Depth=1
	s_or_b32 exec_lo, exec_lo, s15
.LBB195_859:                            ;   in Loop: Header=BB195_488 Depth=1
	s_delay_alu instid0(SALU_CYCLE_1)
	s_or_b32 exec_lo, exec_lo, s14
.LBB195_860:                            ;   in Loop: Header=BB195_488 Depth=1
	s_delay_alu instid0(SALU_CYCLE_1)
	s_or_b32 exec_lo, exec_lo, s11
	v_mov_b64_e32 v[74:75], s[2:3]
	v_or_b32_e32 v67, v67, v69
	v_or_b32_e32 v66, v66, v68
	v_or_b32_e32 v71, v71, v73
	v_or_b32_e32 v70, v70, v72
	s_delay_alu instid0(VALU_DEP_3) | instskip(NEXT) | instid1(VALU_DEP_2)
	v_pk_mul_f32 v[68:69], v[74:75], v[66:67]
	v_pk_mul_f32 v[66:67], v[74:75], v[70:71]
	s_and_saveexec_b32 s11, vcc_lo
	s_cbranch_execz .LBB195_862
; %bb.861:                              ;   in Loop: Header=BB195_488 Depth=1
	v_cmp_gt_i32_e64 s0, s25, v88
	s_delay_alu instid0(VALU_DEP_1) | instskip(SKIP_1) | instid1(VALU_DEP_1)
	v_cndmask_b32_e64 v68, 0, v68, s0
	v_cmp_gt_i32_e64 s0, s25, v91
	v_cndmask_b32_e64 v69, 0, v69, s0
	v_cmp_gt_i32_e64 s0, s25, v83
	s_delay_alu instid0(VALU_DEP_1) | instskip(SKIP_1) | instid1(VALU_DEP_1)
	v_cndmask_b32_e64 v66, 0, v66, s0
	v_cmp_gt_i32_e64 s0, s25, v82
	v_cndmask_b32_e64 v67, 0, v67, s0
.LBB195_862:                            ;   in Loop: Header=BB195_488 Depth=1
	s_or_b32 exec_lo, exec_lo, s11
	global_load_b32 v78, v[30:31], off offset:1408
	v_mov_b64_e32 v[70:71], 0
	v_mov_b64_e32 v[72:73], 0
	s_mov_b32 s11, exec_lo
	s_wait_loadcnt 0x0
	v_and_b32_e32 v20, 0xff, v78
	s_delay_alu instid0(VALU_DEP_1)
	v_cmpx_ne_u16_e32 0, v20
	s_cbranch_execz .LBB195_870
; %bb.863:                              ;   in Loop: Header=BB195_488 Depth=1
	v_mov_b64_e32 v[72:73], 0x80000000
	s_mov_b32 s14, exec_lo
	v_cmpx_ne_u16_e32 0x80, v20
	s_cbranch_execz .LBB195_869
; %bb.864:                              ;   in Loop: Header=BB195_488 Depth=1
	v_mov_b64_e32 v[72:73], 0x7f800001
	v_and_b32_e32 v74, 0x7f, v78
	s_mov_b32 s15, exec_lo
	s_delay_alu instid0(VALU_DEP_1)
	v_cmpx_ne_u32_e32 0x7f, v74
	s_cbranch_execz .LBB195_868
; %bb.865:                              ;   in Loop: Header=BB195_488 Depth=1
	v_and_b32_e32 v20, 7, v78
	v_lshrrev_b32_e32 v72, 3, v74
	s_mov_b32 s16, exec_lo
	v_cmpx_gt_u32_e32 8, v74
; %bb.866:                              ;   in Loop: Header=BB195_488 Depth=1
	s_delay_alu instid0(VALU_DEP_3) | instskip(NEXT) | instid1(VALU_DEP_1)
	v_clz_i32_u32_e32 v72, v20
	v_min_u32_e32 v72, 32, v72
	s_delay_alu instid0(VALU_DEP_1) | instskip(NEXT) | instid1(VALU_DEP_1)
	v_subrev_nc_u32_e32 v73, 28, v72
	v_lshlrev_b64_e32 v[74:75], v73, v[20:21]
	s_delay_alu instid0(VALU_DEP_1)
	v_dual_sub_nc_u32 v72, 29, v72 :: v_dual_bitop2_b32 v20, 7, v74 bitop3:0x40
; %bb.867:                              ;   in Loop: Header=BB195_488 Depth=1
	s_or_b32 exec_lo, exec_lo, s16
	s_delay_alu instid0(VALU_DEP_1) | instskip(NEXT) | instid1(VALU_DEP_2)
	v_dual_lshlrev_b32 v73, 24, v78 :: v_dual_lshlrev_b32 v20, 20, v20
	v_lshl_add_u32 v72, v72, 23, 0x3c000000
	s_delay_alu instid0(VALU_DEP_2) | instskip(NEXT) | instid1(VALU_DEP_1)
	v_and_b32_e32 v73, 0x80000000, v73
	v_or3_b32 v20, v20, v73, v72
	s_delay_alu instid0(VALU_DEP_1)
	v_mov_b64_e32 v[72:73], v[20:21]
.LBB195_868:                            ;   in Loop: Header=BB195_488 Depth=1
	s_or_b32 exec_lo, exec_lo, s15
.LBB195_869:                            ;   in Loop: Header=BB195_488 Depth=1
	s_delay_alu instid0(SALU_CYCLE_1)
	s_or_b32 exec_lo, exec_lo, s14
.LBB195_870:                            ;   in Loop: Header=BB195_488 Depth=1
	s_delay_alu instid0(SALU_CYCLE_1) | instskip(SKIP_2) | instid1(VALU_DEP_1)
	s_or_b32 exec_lo, exec_lo, s11
	v_lshrrev_b16 v20, 8, v78
	s_mov_b32 s11, exec_lo
	v_cmpx_ne_u16_e32 0, v20
	s_cbranch_execz .LBB195_878
; %bb.871:                              ;   in Loop: Header=BB195_488 Depth=1
	v_mov_b64_e32 v[70:71], 0x8000000000000000
	s_mov_b32 s14, exec_lo
	v_cmpx_ne_u16_e32 0x80, v20
	s_cbranch_execz .LBB195_877
; %bb.872:                              ;   in Loop: Header=BB195_488 Depth=1
	v_and_b32_e32 v20, 0xffff, v20
	v_mov_b64_e32 v[70:71], 0x7f80000100000000
	s_mov_b32 s15, exec_lo
	s_delay_alu instid0(VALU_DEP_2) | instskip(NEXT) | instid1(VALU_DEP_1)
	v_and_b32_e32 v74, 0x7f, v20
	v_cmpx_ne_u32_e32 0x7f, v74
	s_cbranch_execz .LBB195_876
; %bb.873:                              ;   in Loop: Header=BB195_488 Depth=1
	v_dual_lshrrev_b32 v70, 3, v74 :: v_dual_bitop2_b32 v20, 7, v20 bitop3:0x40
	s_mov_b32 s16, exec_lo
	v_cmpx_gt_u32_e32 8, v74
; %bb.874:                              ;   in Loop: Header=BB195_488 Depth=1
	s_delay_alu instid0(VALU_DEP_2) | instskip(NEXT) | instid1(VALU_DEP_1)
	v_clz_i32_u32_e32 v70, v20
	v_min_u32_e32 v70, 32, v70
	s_delay_alu instid0(VALU_DEP_1) | instskip(SKIP_1) | instid1(VALU_DEP_2)
	v_subrev_nc_u32_e32 v71, 28, v70
	v_sub_nc_u32_e32 v70, 29, v70
	v_lshlrev_b64_e32 v[74:75], v71, v[20:21]
	s_delay_alu instid0(VALU_DEP_1)
	v_and_b32_e32 v20, 7, v74
; %bb.875:                              ;   in Loop: Header=BB195_488 Depth=1
	s_or_b32 exec_lo, exec_lo, s16
	s_delay_alu instid0(VALU_DEP_1) | instskip(SKIP_1) | instid1(VALU_DEP_2)
	v_dual_lshlrev_b32 v71, 16, v78 :: v_dual_lshlrev_b32 v20, 20, v20
	v_lshl_add_u32 v70, v70, 23, 0x3c000000
	v_and_b32_e32 v71, 0x80000000, v71
	s_delay_alu instid0(VALU_DEP_1)
	v_or3_b32 v71, v20, v71, v70
	v_mov_b32_e32 v70, v21
.LBB195_876:                            ;   in Loop: Header=BB195_488 Depth=1
	s_or_b32 exec_lo, exec_lo, s15
.LBB195_877:                            ;   in Loop: Header=BB195_488 Depth=1
	s_delay_alu instid0(SALU_CYCLE_1)
	s_or_b32 exec_lo, exec_lo, s14
.LBB195_878:                            ;   in Loop: Header=BB195_488 Depth=1
	s_delay_alu instid0(SALU_CYCLE_1) | instskip(SKIP_4) | instid1(VALU_DEP_3)
	s_or_b32 exec_lo, exec_lo, s11
	v_lshrrev_b32_e32 v79, 16, v78
	v_mov_b64_e32 v[74:75], 0
	v_mov_b64_e32 v[76:77], 0
	s_mov_b32 s11, exec_lo
	v_and_b32_e32 v20, 0xff, v79
	s_delay_alu instid0(VALU_DEP_1)
	v_cmpx_ne_u16_e32 0, v20
	s_cbranch_execz .LBB195_886
; %bb.879:                              ;   in Loop: Header=BB195_488 Depth=1
	v_mov_b64_e32 v[76:77], 0x80000000
	s_mov_b32 s14, exec_lo
	v_cmpx_ne_u16_e32 0x80, v20
	s_cbranch_execz .LBB195_885
; %bb.880:                              ;   in Loop: Header=BB195_488 Depth=1
	v_mov_b64_e32 v[76:77], 0x7f800001
	v_bfe_u32 v80, v78, 16, 7
	s_mov_b32 s15, exec_lo
	s_delay_alu instid0(VALU_DEP_1)
	v_cmpx_ne_u32_e32 0x7f, v80
	s_cbranch_execz .LBB195_884
; %bb.881:                              ;   in Loop: Header=BB195_488 Depth=1
	v_dual_lshrrev_b32 v76, 3, v80 :: v_dual_bitop2_b32 v20, 7, v79 bitop3:0x40
	s_mov_b32 s16, exec_lo
	v_cmpx_gt_u32_e32 8, v80
; %bb.882:                              ;   in Loop: Header=BB195_488 Depth=1
	s_delay_alu instid0(VALU_DEP_2) | instskip(NEXT) | instid1(VALU_DEP_1)
	v_clz_i32_u32_e32 v76, v20
	v_min_u32_e32 v76, 32, v76
	s_delay_alu instid0(VALU_DEP_1) | instskip(SKIP_1) | instid1(VALU_DEP_2)
	v_subrev_nc_u32_e32 v77, 28, v76
	v_sub_nc_u32_e32 v76, 29, v76
	v_lshlrev_b64_e32 v[80:81], v77, v[20:21]
	s_delay_alu instid0(VALU_DEP_1)
	v_and_b32_e32 v20, 7, v80
; %bb.883:                              ;   in Loop: Header=BB195_488 Depth=1
	s_or_b32 exec_lo, exec_lo, s16
	s_delay_alu instid0(VALU_DEP_1) | instskip(SKIP_1) | instid1(VALU_DEP_2)
	v_dual_lshlrev_b32 v77, 24, v79 :: v_dual_lshlrev_b32 v20, 20, v20
	v_lshl_add_u32 v76, v76, 23, 0x3c000000
	v_and_b32_e32 v77, 0x80000000, v77
	s_delay_alu instid0(VALU_DEP_1) | instskip(NEXT) | instid1(VALU_DEP_1)
	v_or3_b32 v20, v20, v77, v76
	v_mov_b64_e32 v[76:77], v[20:21]
.LBB195_884:                            ;   in Loop: Header=BB195_488 Depth=1
	s_or_b32 exec_lo, exec_lo, s15
.LBB195_885:                            ;   in Loop: Header=BB195_488 Depth=1
	s_delay_alu instid0(SALU_CYCLE_1)
	s_or_b32 exec_lo, exec_lo, s14
.LBB195_886:                            ;   in Loop: Header=BB195_488 Depth=1
	s_delay_alu instid0(SALU_CYCLE_1) | instskip(NEXT) | instid1(SALU_CYCLE_1)
	s_or_b32 exec_lo, exec_lo, s11
	s_mov_b32 s11, exec_lo
	v_cmpx_lt_u32_e32 0xffffff, v78
	s_cbranch_execz .LBB195_894
; %bb.887:                              ;   in Loop: Header=BB195_488 Depth=1
	v_mov_b64_e32 v[74:75], 0x8000000000000000
	v_lshrrev_b32_e32 v79, 24, v78
	s_mov_b32 s14, exec_lo
	s_delay_alu instid0(VALU_DEP_1)
	v_cmpx_ne_u32_e32 0x80, v79
	s_cbranch_execz .LBB195_893
; %bb.888:                              ;   in Loop: Header=BB195_488 Depth=1
	v_mov_b64_e32 v[74:75], 0x7f80000100000000
	v_bfe_u32 v78, v78, 24, 7
	s_mov_b32 s15, exec_lo
	s_delay_alu instid0(VALU_DEP_1)
	v_cmpx_ne_u32_e32 0x7f, v78
	s_cbranch_execz .LBB195_892
; %bb.889:                              ;   in Loop: Header=BB195_488 Depth=1
	v_dual_lshrrev_b32 v74, 3, v78 :: v_dual_bitop2_b32 v20, 7, v79 bitop3:0x40
	s_mov_b32 s16, exec_lo
	v_cmpx_gt_u32_e32 8, v78
; %bb.890:                              ;   in Loop: Header=BB195_488 Depth=1
	s_delay_alu instid0(VALU_DEP_2) | instskip(NEXT) | instid1(VALU_DEP_1)
	v_clz_i32_u32_e32 v74, v20
	v_min_u32_e32 v74, 32, v74
	s_delay_alu instid0(VALU_DEP_1) | instskip(NEXT) | instid1(VALU_DEP_1)
	v_subrev_nc_u32_e32 v75, 28, v74
	v_lshlrev_b64_e32 v[80:81], v75, v[20:21]
	s_delay_alu instid0(VALU_DEP_1)
	v_dual_sub_nc_u32 v74, 29, v74 :: v_dual_bitop2_b32 v20, 7, v80 bitop3:0x40
; %bb.891:                              ;   in Loop: Header=BB195_488 Depth=1
	s_or_b32 exec_lo, exec_lo, s16
	s_delay_alu instid0(VALU_DEP_1) | instskip(NEXT) | instid1(VALU_DEP_2)
	v_dual_lshlrev_b32 v75, 24, v79 :: v_dual_lshlrev_b32 v20, 20, v20
	v_lshl_add_u32 v74, v74, 23, 0x3c000000
	s_delay_alu instid0(VALU_DEP_2) | instskip(NEXT) | instid1(VALU_DEP_1)
	v_and_b32_e32 v75, 0x80000000, v75
	v_or3_b32 v75, v20, v75, v74
	v_mov_b32_e32 v74, v21
.LBB195_892:                            ;   in Loop: Header=BB195_488 Depth=1
	s_or_b32 exec_lo, exec_lo, s15
.LBB195_893:                            ;   in Loop: Header=BB195_488 Depth=1
	s_delay_alu instid0(SALU_CYCLE_1)
	s_or_b32 exec_lo, exec_lo, s14
.LBB195_894:                            ;   in Loop: Header=BB195_488 Depth=1
	s_delay_alu instid0(SALU_CYCLE_1)
	s_or_b32 exec_lo, exec_lo, s11
	v_mov_b64_e32 v[78:79], s[2:3]
	v_or_b32_e32 v71, v71, v73
	v_or_b32_e32 v70, v70, v72
	;; [unrolled: 1-line block ×4, first 2 shown]
	s_delay_alu instid0(VALU_DEP_3) | instskip(NEXT) | instid1(VALU_DEP_2)
	v_pk_mul_f32 v[72:73], v[78:79], v[70:71]
	v_pk_mul_f32 v[70:71], v[78:79], v[74:75]
	s_and_saveexec_b32 s11, vcc_lo
	s_cbranch_execz .LBB195_896
; %bb.895:                              ;   in Loop: Header=BB195_488 Depth=1
	v_cmp_gt_i32_e64 s0, s25, v88
	s_delay_alu instid0(VALU_DEP_1) | instskip(SKIP_1) | instid1(VALU_DEP_1)
	v_cndmask_b32_e64 v72, 0, v72, s0
	v_cmp_gt_i32_e64 s0, s25, v91
	v_cndmask_b32_e64 v73, 0, v73, s0
	v_cmp_gt_i32_e64 s0, s25, v83
	s_delay_alu instid0(VALU_DEP_1) | instskip(SKIP_1) | instid1(VALU_DEP_1)
	v_cndmask_b32_e64 v70, 0, v70, s0
	v_cmp_gt_i32_e64 s0, s25, v82
	v_cndmask_b32_e64 v71, 0, v71, s0
.LBB195_896:                            ;   in Loop: Header=BB195_488 Depth=1
	s_or_b32 exec_lo, exec_lo, s11
	global_load_b32 v92, v[30:31], off offset:1536
	v_mov_b64_e32 v[74:75], 0
	v_mov_b64_e32 v[76:77], 0
	s_mov_b32 s11, exec_lo
	s_wait_loadcnt 0x0
	v_and_b32_e32 v20, 0xff, v92
	s_delay_alu instid0(VALU_DEP_1)
	v_cmpx_ne_u16_e32 0, v20
	s_cbranch_execz .LBB195_904
; %bb.897:                              ;   in Loop: Header=BB195_488 Depth=1
	v_mov_b64_e32 v[76:77], 0x80000000
	s_mov_b32 s14, exec_lo
	v_cmpx_ne_u16_e32 0x80, v20
	s_cbranch_execz .LBB195_903
; %bb.898:                              ;   in Loop: Header=BB195_488 Depth=1
	v_mov_b64_e32 v[76:77], 0x7f800001
	v_and_b32_e32 v78, 0x7f, v92
	s_mov_b32 s15, exec_lo
	s_delay_alu instid0(VALU_DEP_1)
	v_cmpx_ne_u32_e32 0x7f, v78
	s_cbranch_execz .LBB195_902
; %bb.899:                              ;   in Loop: Header=BB195_488 Depth=1
	v_dual_lshrrev_b32 v76, 3, v78 :: v_dual_bitop2_b32 v20, 7, v92 bitop3:0x40
	s_mov_b32 s16, exec_lo
	v_cmpx_gt_u32_e32 8, v78
; %bb.900:                              ;   in Loop: Header=BB195_488 Depth=1
	s_delay_alu instid0(VALU_DEP_2) | instskip(NEXT) | instid1(VALU_DEP_1)
	v_clz_i32_u32_e32 v76, v20
	v_min_u32_e32 v76, 32, v76
	s_delay_alu instid0(VALU_DEP_1) | instskip(NEXT) | instid1(VALU_DEP_1)
	v_subrev_nc_u32_e32 v77, 28, v76
	v_lshlrev_b64_e32 v[78:79], v77, v[20:21]
	s_delay_alu instid0(VALU_DEP_1)
	v_dual_sub_nc_u32 v76, 29, v76 :: v_dual_bitop2_b32 v20, 7, v78 bitop3:0x40
; %bb.901:                              ;   in Loop: Header=BB195_488 Depth=1
	s_or_b32 exec_lo, exec_lo, s16
	v_lshlrev_b32_e32 v77, 24, v92
	s_delay_alu instid0(VALU_DEP_2) | instskip(NEXT) | instid1(VALU_DEP_3)
	v_lshlrev_b32_e32 v20, 20, v20
	v_lshl_add_u32 v76, v76, 23, 0x3c000000
	s_delay_alu instid0(VALU_DEP_3) | instskip(NEXT) | instid1(VALU_DEP_1)
	v_and_b32_e32 v77, 0x80000000, v77
	v_or3_b32 v20, v20, v77, v76
	s_delay_alu instid0(VALU_DEP_1)
	v_mov_b64_e32 v[76:77], v[20:21]
.LBB195_902:                            ;   in Loop: Header=BB195_488 Depth=1
	s_or_b32 exec_lo, exec_lo, s15
.LBB195_903:                            ;   in Loop: Header=BB195_488 Depth=1
	s_delay_alu instid0(SALU_CYCLE_1)
	s_or_b32 exec_lo, exec_lo, s14
.LBB195_904:                            ;   in Loop: Header=BB195_488 Depth=1
	s_delay_alu instid0(SALU_CYCLE_1) | instskip(SKIP_2) | instid1(VALU_DEP_1)
	s_or_b32 exec_lo, exec_lo, s11
	v_lshrrev_b16 v20, 8, v92
	s_mov_b32 s11, exec_lo
	v_cmpx_ne_u16_e32 0, v20
	s_cbranch_execz .LBB195_912
; %bb.905:                              ;   in Loop: Header=BB195_488 Depth=1
	v_mov_b64_e32 v[74:75], 0x8000000000000000
	s_mov_b32 s14, exec_lo
	v_cmpx_ne_u16_e32 0x80, v20
	s_cbranch_execz .LBB195_911
; %bb.906:                              ;   in Loop: Header=BB195_488 Depth=1
	v_and_b32_e32 v20, 0xffff, v20
	v_mov_b64_e32 v[74:75], 0x7f80000100000000
	s_mov_b32 s15, exec_lo
	s_delay_alu instid0(VALU_DEP_2) | instskip(NEXT) | instid1(VALU_DEP_1)
	v_and_b32_e32 v78, 0x7f, v20
	v_cmpx_ne_u32_e32 0x7f, v78
	s_cbranch_execz .LBB195_910
; %bb.907:                              ;   in Loop: Header=BB195_488 Depth=1
	v_dual_lshrrev_b32 v74, 3, v78 :: v_dual_bitop2_b32 v20, 7, v20 bitop3:0x40
	s_mov_b32 s16, exec_lo
	v_cmpx_gt_u32_e32 8, v78
; %bb.908:                              ;   in Loop: Header=BB195_488 Depth=1
	s_delay_alu instid0(VALU_DEP_2) | instskip(NEXT) | instid1(VALU_DEP_1)
	v_clz_i32_u32_e32 v74, v20
	v_min_u32_e32 v74, 32, v74
	s_delay_alu instid0(VALU_DEP_1) | instskip(SKIP_1) | instid1(VALU_DEP_2)
	v_subrev_nc_u32_e32 v75, 28, v74
	v_sub_nc_u32_e32 v74, 29, v74
	v_lshlrev_b64_e32 v[78:79], v75, v[20:21]
	s_delay_alu instid0(VALU_DEP_1)
	v_and_b32_e32 v20, 7, v78
; %bb.909:                              ;   in Loop: Header=BB195_488 Depth=1
	s_or_b32 exec_lo, exec_lo, s16
	v_lshlrev_b32_e32 v75, 16, v92
	s_delay_alu instid0(VALU_DEP_2) | instskip(SKIP_1) | instid1(VALU_DEP_3)
	v_lshlrev_b32_e32 v20, 20, v20
	v_lshl_add_u32 v74, v74, 23, 0x3c000000
	v_and_b32_e32 v75, 0x80000000, v75
	s_delay_alu instid0(VALU_DEP_1)
	v_or3_b32 v75, v20, v75, v74
	v_mov_b32_e32 v74, v21
.LBB195_910:                            ;   in Loop: Header=BB195_488 Depth=1
	s_or_b32 exec_lo, exec_lo, s15
.LBB195_911:                            ;   in Loop: Header=BB195_488 Depth=1
	s_delay_alu instid0(SALU_CYCLE_1)
	s_or_b32 exec_lo, exec_lo, s14
.LBB195_912:                            ;   in Loop: Header=BB195_488 Depth=1
	s_delay_alu instid0(SALU_CYCLE_1) | instskip(SKIP_4) | instid1(VALU_DEP_3)
	s_or_b32 exec_lo, exec_lo, s11
	v_lshrrev_b32_e32 v93, 16, v92
	v_mov_b64_e32 v[78:79], 0
	v_mov_b64_e32 v[80:81], 0
	s_mov_b32 s11, exec_lo
	v_and_b32_e32 v20, 0xff, v93
	s_delay_alu instid0(VALU_DEP_1)
	v_cmpx_ne_u16_e32 0, v20
	s_cbranch_execz .LBB195_920
; %bb.913:                              ;   in Loop: Header=BB195_488 Depth=1
	v_mov_b64_e32 v[80:81], 0x80000000
	s_mov_b32 s14, exec_lo
	v_cmpx_ne_u16_e32 0x80, v20
	s_cbranch_execz .LBB195_919
; %bb.914:                              ;   in Loop: Header=BB195_488 Depth=1
	v_mov_b64_e32 v[80:81], 0x7f800001
	v_bfe_u32 v94, v92, 16, 7
	s_mov_b32 s15, exec_lo
	s_delay_alu instid0(VALU_DEP_1)
	v_cmpx_ne_u32_e32 0x7f, v94
	s_cbranch_execz .LBB195_918
; %bb.915:                              ;   in Loop: Header=BB195_488 Depth=1
	v_dual_lshrrev_b32 v80, 3, v94 :: v_dual_bitop2_b32 v20, 7, v93 bitop3:0x40
	s_mov_b32 s16, exec_lo
	v_cmpx_gt_u32_e32 8, v94
; %bb.916:                              ;   in Loop: Header=BB195_488 Depth=1
	s_delay_alu instid0(VALU_DEP_2) | instskip(NEXT) | instid1(VALU_DEP_1)
	v_clz_i32_u32_e32 v80, v20
	v_min_u32_e32 v80, 32, v80
	s_delay_alu instid0(VALU_DEP_1) | instskip(NEXT) | instid1(VALU_DEP_1)
	v_subrev_nc_u32_e32 v81, 28, v80
	v_lshlrev_b64_e32 v[94:95], v81, v[20:21]
	s_delay_alu instid0(VALU_DEP_1)
	v_dual_sub_nc_u32 v80, 29, v80 :: v_dual_bitop2_b32 v20, 7, v94 bitop3:0x40
; %bb.917:                              ;   in Loop: Header=BB195_488 Depth=1
	s_or_b32 exec_lo, exec_lo, s16
	s_delay_alu instid0(VALU_DEP_1) | instskip(NEXT) | instid1(VALU_DEP_2)
	v_dual_lshlrev_b32 v81, 24, v93 :: v_dual_lshlrev_b32 v20, 20, v20
	v_lshl_add_u32 v80, v80, 23, 0x3c000000
	s_delay_alu instid0(VALU_DEP_2) | instskip(NEXT) | instid1(VALU_DEP_1)
	v_and_b32_e32 v81, 0x80000000, v81
	v_or3_b32 v20, v20, v81, v80
	s_delay_alu instid0(VALU_DEP_1)
	v_mov_b64_e32 v[80:81], v[20:21]
.LBB195_918:                            ;   in Loop: Header=BB195_488 Depth=1
	s_or_b32 exec_lo, exec_lo, s15
.LBB195_919:                            ;   in Loop: Header=BB195_488 Depth=1
	s_delay_alu instid0(SALU_CYCLE_1)
	s_or_b32 exec_lo, exec_lo, s14
.LBB195_920:                            ;   in Loop: Header=BB195_488 Depth=1
	s_delay_alu instid0(SALU_CYCLE_1) | instskip(NEXT) | instid1(SALU_CYCLE_1)
	s_or_b32 exec_lo, exec_lo, s11
	s_mov_b32 s11, exec_lo
	v_cmpx_lt_u32_e32 0xffffff, v92
	s_cbranch_execz .LBB195_928
; %bb.921:                              ;   in Loop: Header=BB195_488 Depth=1
	v_mov_b64_e32 v[78:79], 0x8000000000000000
	v_lshrrev_b32_e32 v93, 24, v92
	s_mov_b32 s14, exec_lo
	s_delay_alu instid0(VALU_DEP_1)
	v_cmpx_ne_u32_e32 0x80, v93
	s_cbranch_execz .LBB195_927
; %bb.922:                              ;   in Loop: Header=BB195_488 Depth=1
	v_mov_b64_e32 v[78:79], 0x7f80000100000000
	v_bfe_u32 v92, v92, 24, 7
	s_mov_b32 s15, exec_lo
	s_delay_alu instid0(VALU_DEP_1)
	v_cmpx_ne_u32_e32 0x7f, v92
	s_cbranch_execz .LBB195_926
; %bb.923:                              ;   in Loop: Header=BB195_488 Depth=1
	v_dual_lshrrev_b32 v78, 3, v92 :: v_dual_bitop2_b32 v20, 7, v93 bitop3:0x40
	s_mov_b32 s16, exec_lo
	v_cmpx_gt_u32_e32 8, v92
; %bb.924:                              ;   in Loop: Header=BB195_488 Depth=1
	s_delay_alu instid0(VALU_DEP_2) | instskip(NEXT) | instid1(VALU_DEP_1)
	v_clz_i32_u32_e32 v78, v20
	v_min_u32_e32 v78, 32, v78
	s_delay_alu instid0(VALU_DEP_1) | instskip(SKIP_1) | instid1(VALU_DEP_2)
	v_subrev_nc_u32_e32 v79, 28, v78
	v_sub_nc_u32_e32 v78, 29, v78
	v_lshlrev_b64_e32 v[94:95], v79, v[20:21]
	s_delay_alu instid0(VALU_DEP_1)
	v_and_b32_e32 v20, 7, v94
; %bb.925:                              ;   in Loop: Header=BB195_488 Depth=1
	s_or_b32 exec_lo, exec_lo, s16
	s_delay_alu instid0(VALU_DEP_1) | instskip(SKIP_1) | instid1(VALU_DEP_2)
	v_dual_lshlrev_b32 v79, 24, v93 :: v_dual_lshlrev_b32 v20, 20, v20
	v_lshl_add_u32 v78, v78, 23, 0x3c000000
	v_and_b32_e32 v79, 0x80000000, v79
	s_delay_alu instid0(VALU_DEP_1)
	v_or3_b32 v79, v20, v79, v78
	v_mov_b32_e32 v78, v21
.LBB195_926:                            ;   in Loop: Header=BB195_488 Depth=1
	s_or_b32 exec_lo, exec_lo, s15
.LBB195_927:                            ;   in Loop: Header=BB195_488 Depth=1
	s_delay_alu instid0(SALU_CYCLE_1)
	s_or_b32 exec_lo, exec_lo, s14
.LBB195_928:                            ;   in Loop: Header=BB195_488 Depth=1
	s_delay_alu instid0(SALU_CYCLE_1)
	s_or_b32 exec_lo, exec_lo, s11
	v_mov_b64_e32 v[92:93], s[2:3]
	v_or_b32_e32 v75, v75, v77
	v_or_b32_e32 v74, v74, v76
	;; [unrolled: 1-line block ×4, first 2 shown]
	s_delay_alu instid0(VALU_DEP_3) | instskip(NEXT) | instid1(VALU_DEP_2)
	v_pk_mul_f32 v[76:77], v[92:93], v[74:75]
	v_pk_mul_f32 v[74:75], v[92:93], v[78:79]
	s_and_saveexec_b32 s11, vcc_lo
	s_cbranch_execz .LBB195_930
; %bb.929:                              ;   in Loop: Header=BB195_488 Depth=1
	v_cmp_gt_i32_e64 s0, s25, v88
	s_delay_alu instid0(VALU_DEP_1) | instskip(SKIP_1) | instid1(VALU_DEP_1)
	v_cndmask_b32_e64 v76, 0, v76, s0
	v_cmp_gt_i32_e64 s0, s25, v91
	v_cndmask_b32_e64 v77, 0, v77, s0
	v_cmp_gt_i32_e64 s0, s25, v83
	s_delay_alu instid0(VALU_DEP_1) | instskip(SKIP_1) | instid1(VALU_DEP_1)
	v_cndmask_b32_e64 v74, 0, v74, s0
	v_cmp_gt_i32_e64 s0, s25, v82
	v_cndmask_b32_e64 v75, 0, v75, s0
.LBB195_930:                            ;   in Loop: Header=BB195_488 Depth=1
	s_or_b32 exec_lo, exec_lo, s11
	global_load_b32 v92, v[30:31], off offset:1664
	s_wait_xcnt 0x0
	v_mov_b64_e32 v[30:31], 0
	v_mov_b64_e32 v[78:79], 0
	s_mov_b32 s11, exec_lo
	s_wait_loadcnt 0x0
	v_and_b32_e32 v20, 0xff, v92
	s_delay_alu instid0(VALU_DEP_1)
	v_cmpx_ne_u16_e32 0, v20
	s_cbranch_execz .LBB195_938
; %bb.931:                              ;   in Loop: Header=BB195_488 Depth=1
	v_mov_b64_e32 v[78:79], 0x80000000
	s_mov_b32 s14, exec_lo
	v_cmpx_ne_u16_e32 0x80, v20
	s_cbranch_execz .LBB195_937
; %bb.932:                              ;   in Loop: Header=BB195_488 Depth=1
	v_mov_b64_e32 v[78:79], 0x7f800001
	v_and_b32_e32 v80, 0x7f, v92
	s_mov_b32 s15, exec_lo
	s_delay_alu instid0(VALU_DEP_1)
	v_cmpx_ne_u32_e32 0x7f, v80
	s_cbranch_execz .LBB195_936
; %bb.933:                              ;   in Loop: Header=BB195_488 Depth=1
	v_and_b32_e32 v20, 7, v92
	v_lshrrev_b32_e32 v78, 3, v80
	s_mov_b32 s16, exec_lo
	v_cmpx_gt_u32_e32 8, v80
; %bb.934:                              ;   in Loop: Header=BB195_488 Depth=1
	s_delay_alu instid0(VALU_DEP_3) | instskip(NEXT) | instid1(VALU_DEP_1)
	v_clz_i32_u32_e32 v78, v20
	v_min_u32_e32 v78, 32, v78
	s_delay_alu instid0(VALU_DEP_1) | instskip(NEXT) | instid1(VALU_DEP_1)
	v_subrev_nc_u32_e32 v79, 28, v78
	v_lshlrev_b64_e32 v[80:81], v79, v[20:21]
	s_delay_alu instid0(VALU_DEP_1)
	v_dual_sub_nc_u32 v78, 29, v78 :: v_dual_bitop2_b32 v20, 7, v80 bitop3:0x40
; %bb.935:                              ;   in Loop: Header=BB195_488 Depth=1
	s_or_b32 exec_lo, exec_lo, s16
	v_lshlrev_b32_e32 v79, 24, v92
	s_delay_alu instid0(VALU_DEP_2) | instskip(NEXT) | instid1(VALU_DEP_3)
	v_lshlrev_b32_e32 v20, 20, v20
	v_lshl_add_u32 v78, v78, 23, 0x3c000000
	s_delay_alu instid0(VALU_DEP_3) | instskip(NEXT) | instid1(VALU_DEP_1)
	v_and_b32_e32 v79, 0x80000000, v79
	v_or3_b32 v20, v20, v79, v78
	s_delay_alu instid0(VALU_DEP_1)
	v_mov_b64_e32 v[78:79], v[20:21]
.LBB195_936:                            ;   in Loop: Header=BB195_488 Depth=1
	s_or_b32 exec_lo, exec_lo, s15
.LBB195_937:                            ;   in Loop: Header=BB195_488 Depth=1
	s_delay_alu instid0(SALU_CYCLE_1)
	s_or_b32 exec_lo, exec_lo, s14
.LBB195_938:                            ;   in Loop: Header=BB195_488 Depth=1
	s_delay_alu instid0(SALU_CYCLE_1) | instskip(SKIP_2) | instid1(VALU_DEP_1)
	s_or_b32 exec_lo, exec_lo, s11
	v_lshrrev_b16 v20, 8, v92
	s_mov_b32 s11, exec_lo
	v_cmpx_ne_u16_e32 0, v20
	s_cbranch_execz .LBB195_946
; %bb.939:                              ;   in Loop: Header=BB195_488 Depth=1
	v_mov_b64_e32 v[30:31], 0x8000000000000000
	s_mov_b32 s14, exec_lo
	v_cmpx_ne_u16_e32 0x80, v20
	s_cbranch_execz .LBB195_945
; %bb.940:                              ;   in Loop: Header=BB195_488 Depth=1
	v_and_b32_e32 v20, 0xffff, v20
	v_mov_b64_e32 v[30:31], 0x7f80000100000000
	s_mov_b32 s15, exec_lo
	s_delay_alu instid0(VALU_DEP_2) | instskip(NEXT) | instid1(VALU_DEP_1)
	v_and_b32_e32 v80, 0x7f, v20
	v_cmpx_ne_u32_e32 0x7f, v80
	s_cbranch_execz .LBB195_944
; %bb.941:                              ;   in Loop: Header=BB195_488 Depth=1
	v_and_b32_e32 v20, 7, v20
	v_lshrrev_b32_e32 v30, 3, v80
	s_mov_b32 s16, exec_lo
	v_cmpx_gt_u32_e32 8, v80
; %bb.942:                              ;   in Loop: Header=BB195_488 Depth=1
	s_delay_alu instid0(VALU_DEP_3) | instskip(NEXT) | instid1(VALU_DEP_1)
	v_clz_i32_u32_e32 v30, v20
	v_min_u32_e32 v30, 32, v30
	s_delay_alu instid0(VALU_DEP_1) | instskip(NEXT) | instid1(VALU_DEP_1)
	v_subrev_nc_u32_e32 v31, 28, v30
	v_lshlrev_b64_e32 v[80:81], v31, v[20:21]
	s_delay_alu instid0(VALU_DEP_1)
	v_dual_sub_nc_u32 v30, 29, v30 :: v_dual_bitop2_b32 v20, 7, v80 bitop3:0x40
; %bb.943:                              ;   in Loop: Header=BB195_488 Depth=1
	s_or_b32 exec_lo, exec_lo, s16
	v_lshlrev_b32_e32 v31, 16, v92
	s_delay_alu instid0(VALU_DEP_2) | instskip(NEXT) | instid1(VALU_DEP_3)
	v_lshlrev_b32_e32 v20, 20, v20
	v_lshl_add_u32 v30, v30, 23, 0x3c000000
	s_delay_alu instid0(VALU_DEP_3) | instskip(NEXT) | instid1(VALU_DEP_1)
	v_and_b32_e32 v31, 0x80000000, v31
	v_or3_b32 v31, v20, v31, v30
	v_mov_b32_e32 v30, v21
.LBB195_944:                            ;   in Loop: Header=BB195_488 Depth=1
	s_or_b32 exec_lo, exec_lo, s15
.LBB195_945:                            ;   in Loop: Header=BB195_488 Depth=1
	s_delay_alu instid0(SALU_CYCLE_1)
	s_or_b32 exec_lo, exec_lo, s14
.LBB195_946:                            ;   in Loop: Header=BB195_488 Depth=1
	s_delay_alu instid0(SALU_CYCLE_1) | instskip(SKIP_4) | instid1(VALU_DEP_3)
	s_or_b32 exec_lo, exec_lo, s11
	v_lshrrev_b32_e32 v93, 16, v92
	v_mov_b64_e32 v[80:81], 0
	v_mov_b64_e32 v[82:83], 0
	s_mov_b32 s11, exec_lo
	v_and_b32_e32 v20, 0xff, v93
	s_delay_alu instid0(VALU_DEP_1)
	v_cmpx_ne_u16_e32 0, v20
	s_cbranch_execz .LBB195_954
; %bb.947:                              ;   in Loop: Header=BB195_488 Depth=1
	v_mov_b64_e32 v[82:83], 0x80000000
	s_mov_b32 s14, exec_lo
	v_cmpx_ne_u16_e32 0x80, v20
	s_cbranch_execz .LBB195_953
; %bb.948:                              ;   in Loop: Header=BB195_488 Depth=1
	v_mov_b64_e32 v[82:83], 0x7f800001
	v_bfe_u32 v94, v92, 16, 7
	s_mov_b32 s15, exec_lo
	s_delay_alu instid0(VALU_DEP_1)
	v_cmpx_ne_u32_e32 0x7f, v94
	s_cbranch_execz .LBB195_952
; %bb.949:                              ;   in Loop: Header=BB195_488 Depth=1
	v_dual_lshrrev_b32 v82, 3, v94 :: v_dual_bitop2_b32 v20, 7, v93 bitop3:0x40
	s_mov_b32 s16, exec_lo
	v_cmpx_gt_u32_e32 8, v94
; %bb.950:                              ;   in Loop: Header=BB195_488 Depth=1
	s_delay_alu instid0(VALU_DEP_2) | instskip(NEXT) | instid1(VALU_DEP_1)
	v_clz_i32_u32_e32 v82, v20
	v_min_u32_e32 v82, 32, v82
	s_delay_alu instid0(VALU_DEP_1) | instskip(SKIP_1) | instid1(VALU_DEP_2)
	v_subrev_nc_u32_e32 v83, 28, v82
	v_sub_nc_u32_e32 v82, 29, v82
	v_lshlrev_b64_e32 v[94:95], v83, v[20:21]
	s_delay_alu instid0(VALU_DEP_1)
	v_and_b32_e32 v20, 7, v94
; %bb.951:                              ;   in Loop: Header=BB195_488 Depth=1
	s_or_b32 exec_lo, exec_lo, s16
	s_delay_alu instid0(VALU_DEP_1) | instskip(SKIP_1) | instid1(VALU_DEP_2)
	v_dual_lshlrev_b32 v83, 24, v93 :: v_dual_lshlrev_b32 v20, 20, v20
	v_lshl_add_u32 v82, v82, 23, 0x3c000000
	v_and_b32_e32 v83, 0x80000000, v83
	s_delay_alu instid0(VALU_DEP_1) | instskip(NEXT) | instid1(VALU_DEP_1)
	v_or3_b32 v20, v20, v83, v82
	v_mov_b64_e32 v[82:83], v[20:21]
.LBB195_952:                            ;   in Loop: Header=BB195_488 Depth=1
	s_or_b32 exec_lo, exec_lo, s15
.LBB195_953:                            ;   in Loop: Header=BB195_488 Depth=1
	s_delay_alu instid0(SALU_CYCLE_1)
	s_or_b32 exec_lo, exec_lo, s14
.LBB195_954:                            ;   in Loop: Header=BB195_488 Depth=1
	s_delay_alu instid0(SALU_CYCLE_1) | instskip(NEXT) | instid1(SALU_CYCLE_1)
	s_or_b32 exec_lo, exec_lo, s11
	s_mov_b32 s11, exec_lo
	v_cmpx_lt_u32_e32 0xffffff, v92
	s_cbranch_execz .LBB195_962
; %bb.955:                              ;   in Loop: Header=BB195_488 Depth=1
	v_mov_b64_e32 v[80:81], 0x8000000000000000
	v_lshrrev_b32_e32 v93, 24, v92
	s_mov_b32 s14, exec_lo
	s_delay_alu instid0(VALU_DEP_1)
	v_cmpx_ne_u32_e32 0x80, v93
	s_cbranch_execz .LBB195_961
; %bb.956:                              ;   in Loop: Header=BB195_488 Depth=1
	v_mov_b64_e32 v[80:81], 0x7f80000100000000
	v_bfe_u32 v92, v92, 24, 7
	s_mov_b32 s15, exec_lo
	s_delay_alu instid0(VALU_DEP_1)
	v_cmpx_ne_u32_e32 0x7f, v92
	s_cbranch_execz .LBB195_960
; %bb.957:                              ;   in Loop: Header=BB195_488 Depth=1
	v_dual_lshrrev_b32 v80, 3, v92 :: v_dual_bitop2_b32 v20, 7, v93 bitop3:0x40
	s_mov_b32 s16, exec_lo
	v_cmpx_gt_u32_e32 8, v92
; %bb.958:                              ;   in Loop: Header=BB195_488 Depth=1
	s_delay_alu instid0(VALU_DEP_2) | instskip(NEXT) | instid1(VALU_DEP_1)
	v_clz_i32_u32_e32 v80, v20
	v_min_u32_e32 v80, 32, v80
	s_delay_alu instid0(VALU_DEP_1) | instskip(NEXT) | instid1(VALU_DEP_1)
	v_subrev_nc_u32_e32 v81, 28, v80
	v_lshlrev_b64_e32 v[94:95], v81, v[20:21]
	s_delay_alu instid0(VALU_DEP_1)
	v_dual_sub_nc_u32 v80, 29, v80 :: v_dual_bitop2_b32 v20, 7, v94 bitop3:0x40
; %bb.959:                              ;   in Loop: Header=BB195_488 Depth=1
	s_or_b32 exec_lo, exec_lo, s16
	s_delay_alu instid0(VALU_DEP_1) | instskip(NEXT) | instid1(VALU_DEP_2)
	v_dual_lshlrev_b32 v81, 24, v93 :: v_dual_lshlrev_b32 v20, 20, v20
	v_lshl_add_u32 v80, v80, 23, 0x3c000000
	s_delay_alu instid0(VALU_DEP_2) | instskip(NEXT) | instid1(VALU_DEP_1)
	v_and_b32_e32 v81, 0x80000000, v81
	v_or3_b32 v81, v20, v81, v80
	v_mov_b32_e32 v80, v21
.LBB195_960:                            ;   in Loop: Header=BB195_488 Depth=1
	s_or_b32 exec_lo, exec_lo, s15
.LBB195_961:                            ;   in Loop: Header=BB195_488 Depth=1
	s_delay_alu instid0(SALU_CYCLE_1)
	s_or_b32 exec_lo, exec_lo, s14
.LBB195_962:                            ;   in Loop: Header=BB195_488 Depth=1
	s_delay_alu instid0(SALU_CYCLE_1)
	s_or_b32 exec_lo, exec_lo, s11
	v_mov_b64_e32 v[92:93], s[2:3]
	v_or_b32_e32 v31, v31, v79
	v_or_b32_e32 v30, v30, v78
	;; [unrolled: 1-line block ×4, first 2 shown]
	s_delay_alu instid0(VALU_DEP_3) | instskip(NEXT) | instid1(VALU_DEP_2)
	v_pk_mul_f32 v[78:79], v[92:93], v[30:31]
	v_pk_mul_f32 v[30:31], v[92:93], v[80:81]
	s_and_saveexec_b32 s0, vcc_lo
	s_cbranch_execz .LBB195_487
; %bb.963:                              ;   in Loop: Header=BB195_488 Depth=1
	v_cmp_gt_i32_e32 vcc_lo, s10, v91
	v_dual_cndmask_b32 v79, 0, v79, vcc_lo :: v_dual_bitop2_b32 v20, 3, v88 bitop3:0x54
	v_cmp_gt_i32_e32 vcc_lo, s25, v88
	v_dual_cndmask_b32 v78, 0, v78, vcc_lo :: v_dual_bitop2_b32 v80, 2, v88 bitop3:0x54
	s_delay_alu instid0(VALU_DEP_3) | instskip(SKIP_1) | instid1(VALU_DEP_3)
	v_cmp_gt_i32_e32 vcc_lo, s10, v20
	v_cndmask_b32_e32 v31, 0, v31, vcc_lo
	v_cmp_gt_i32_e32 vcc_lo, s25, v80
	v_cndmask_b32_e32 v30, 0, v30, vcc_lo
	s_branch .LBB195_487
.LBB195_964:
	s_or_b32 exec_lo, exec_lo, s9
.LBB195_965:
	s_delay_alu instid0(SALU_CYCLE_1)
	s_or_b32 exec_lo, exec_lo, s1
	ds_bpermute_b32 v0, v85, v18
	ds_bpermute_b32 v1, v85, v19
	;; [unrolled: 1-line block ×14, first 2 shown]
	s_mov_b32 s0, exec_lo
	s_wait_dscnt 0xc
	v_pk_add_f32 v[0:1], v[18:19], v[0:1]
	s_wait_dscnt 0xa
	v_pk_add_f32 v[18:19], v[12:13], v[20:21]
	;; [unrolled: 2-line block ×3, first 2 shown]
	scratch_load_b32 v6, off, off offset:224 ; 4-byte Folded Reload
	s_wait_dscnt 0x6
	v_pk_add_f32 v[2:3], v[16:17], v[2:3]
	ds_bpermute_b32 v30, v86, v18
	s_wait_dscnt 0x5
	v_pk_add_f32 v[4:5], v[14:15], v[4:5]
	ds_bpermute_b32 v31, v86, v19
	;; [unrolled: 3-line block ×4, first 2 shown]
	ds_bpermute_b32 v9, v86, v1
	ds_bpermute_b32 v24, v86, v2
	;; [unrolled: 1-line block ×10, first 2 shown]
	v_and_b32_e32 v16, 28, v84
	s_wait_loadcnt_dscnt 0x0
	s_barrier_signal -1
	s_barrier_wait -1
	v_pk_add_f32 v[10:11], v[0:1], v[8:9]
	v_pk_add_f32 v[8:9], v[2:3], v[24:25]
	;; [unrolled: 1-line block ×4, first 2 shown]
	v_and_b32_e32 v17, 0x3c3, v6
	v_pk_add_f32 v[6:7], v[4:5], v[28:29]
	v_pk_add_f32 v[4:5], v[18:19], v[30:31]
	s_delay_alu instid0(VALU_DEP_3) | instskip(SKIP_1) | instid1(SALU_CYCLE_1)
	v_cmpx_ne_u32_e32 64, v17
	s_xor_b32 s0, exec_lo, s0
	s_or_saveexec_b32 s0, s0
	v_pk_add_f32 v[12:13], v[12:13], v[14:15]
	v_add_nc_u32_e32 v15, 0x1e0, v16
	scratch_load_b32 v16, off, off offset:228 th:TH_LOAD_LU ; 4-byte Folded Reload
	v_lshrrev_b32_e32 v14, 2, v84
	s_wait_loadcnt 0x0
	v_mul_u32_u24_e32 v16, 0x1c0, v16
	s_xor_b32 exec_lo, exec_lo, s0
	s_cbranch_execz .LBB195_967
; %bb.966:
	s_delay_alu instid0(VALU_DEP_1) | instskip(NEXT) | instid1(VALU_DEP_1)
	v_add_nc_u32_e32 v17, v15, v16
	v_add_nc_u32_e32 v18, 0xfffffc80, v17
	;; [unrolled: 1-line block ×9, first 2 shown]
	ds_store_b32 v18, v10
	ds_store_b32 v19, v11
	;; [unrolled: 1-line block ×8, first 2 shown]
	v_add_nc_u32_e32 v18, 0xfffffd80, v17
	v_add_nc_u32_e32 v19, 0xfffffda0, v17
	;; [unrolled: 1-line block ×6, first 2 shown]
	ds_store_b32 v18, v2
	ds_store_b32 v19, v3
	;; [unrolled: 1-line block ×6, first 2 shown]
.LBB195_967:
	s_or_b32 exec_lo, exec_lo, s0
	v_lshlrev_b32_e32 v14, 2, v14
	s_mov_b32 s1, exec_lo
	v_cmp_eq_u32_e32 vcc_lo, 0, v87
	s_delay_alu instid0(VALU_DEP_2)
	v_add3_u32 v14, 0x1e0, v16, v14
	scratch_load_b32 v16, off, off offset:224 ; 4-byte Folded Reload
	s_wait_loadcnt_dscnt 0x0
	s_barrier_signal -1
	s_barrier_wait -1
	v_cmpx_gt_u32_e32 64, v16
	s_cbranch_execz .LBB195_984
; %bb.968:
	s_and_saveexec_b32 s0, vcc_lo
	s_cbranch_execnz .LBB195_1006
; %bb.969:
	s_or_b32 exec_lo, exec_lo, s0
	s_and_saveexec_b32 s0, vcc_lo
	s_cbranch_execnz .LBB195_1007
.LBB195_970:
	s_or_b32 exec_lo, exec_lo, s0
	s_and_saveexec_b32 s0, vcc_lo
	s_cbranch_execnz .LBB195_1008
.LBB195_971:
	s_or_b32 exec_lo, exec_lo, s0
	s_and_saveexec_b32 s0, vcc_lo
	s_cbranch_execnz .LBB195_1009
.LBB195_972:
	s_or_b32 exec_lo, exec_lo, s0
	s_and_saveexec_b32 s0, vcc_lo
	s_cbranch_execnz .LBB195_1010
.LBB195_973:
	s_or_b32 exec_lo, exec_lo, s0
	s_and_saveexec_b32 s0, vcc_lo
	s_cbranch_execnz .LBB195_1011
.LBB195_974:
	s_or_b32 exec_lo, exec_lo, s0
	s_and_saveexec_b32 s0, vcc_lo
	s_cbranch_execnz .LBB195_1012
.LBB195_975:
	s_or_b32 exec_lo, exec_lo, s0
	s_and_saveexec_b32 s0, vcc_lo
	s_cbranch_execnz .LBB195_1013
.LBB195_976:
	s_or_b32 exec_lo, exec_lo, s0
	s_and_saveexec_b32 s0, vcc_lo
	s_cbranch_execnz .LBB195_1014
.LBB195_977:
	s_or_b32 exec_lo, exec_lo, s0
	s_and_saveexec_b32 s0, vcc_lo
	s_cbranch_execnz .LBB195_1015
.LBB195_978:
	s_or_b32 exec_lo, exec_lo, s0
	s_and_saveexec_b32 s0, vcc_lo
	s_cbranch_execnz .LBB195_1016
.LBB195_979:
	s_or_b32 exec_lo, exec_lo, s0
	s_and_saveexec_b32 s0, vcc_lo
	s_cbranch_execnz .LBB195_1017
.LBB195_980:
	s_or_b32 exec_lo, exec_lo, s0
	s_and_saveexec_b32 s0, vcc_lo
	s_cbranch_execnz .LBB195_1018
.LBB195_981:
	s_or_b32 exec_lo, exec_lo, s0
	s_and_saveexec_b32 s0, vcc_lo
	s_cbranch_execz .LBB195_983
.LBB195_982:
	ds_load_b32 v16, v14 offset:416
	s_wait_dscnt 0x0
	v_add_f32_e32 v13, v13, v16
.LBB195_983:
	s_or_b32 exec_lo, exec_lo, s0
.LBB195_984:
	s_delay_alu instid0(SALU_CYCLE_1)
	s_or_b32 exec_lo, exec_lo, s1
	scratch_load_b32 v16, off, off offset:224 ; 4-byte Folded Reload
	s_mov_b32 s1, exec_lo
	s_wait_loadcnt 0x0
	s_barrier_signal -1
	s_barrier_wait -1
	v_and_b32_e32 v16, 0x3e3, v16
	s_wait_xcnt 0x0
	s_delay_alu instid0(VALU_DEP_1)
	v_cmpx_eq_u32_e32 32, v16
	s_cbranch_execz .LBB195_986
; %bb.985:
	ds_store_2addr_b32 v15, v10, v11 offset1:8
	ds_store_2addr_b32 v15, v8, v9 offset0:16 offset1:24
	ds_store_2addr_b32 v15, v6, v7 offset0:32 offset1:40
	ds_store_2addr_b32 v15, v4, v5 offset0:48 offset1:56
	ds_store_2addr_b32 v15, v2, v3 offset0:64 offset1:72
	ds_store_2addr_b32 v15, v0, v1 offset0:80 offset1:88
	ds_store_2addr_b32 v15, v12, v13 offset0:96 offset1:104
.LBB195_986:
	s_or_b32 exec_lo, exec_lo, s1
	scratch_load_b32 v15, off, off offset:224 ; 4-byte Folded Reload
	s_mov_b32 s1, exec_lo
	s_wait_loadcnt_dscnt 0x0
	s_barrier_signal -1
	s_barrier_wait -1
	v_cmpx_gt_u32_e32 32, v15
	s_cbranch_execz .LBB195_1003
; %bb.987:
	s_and_saveexec_b32 s0, vcc_lo
	s_cbranch_execnz .LBB195_1019
; %bb.988:
	s_or_b32 exec_lo, exec_lo, s0
	s_and_saveexec_b32 s0, vcc_lo
	s_cbranch_execnz .LBB195_1020
.LBB195_989:
	s_or_b32 exec_lo, exec_lo, s0
	s_and_saveexec_b32 s0, vcc_lo
	s_cbranch_execnz .LBB195_1021
.LBB195_990:
	s_or_b32 exec_lo, exec_lo, s0
	s_and_saveexec_b32 s0, vcc_lo
	s_cbranch_execnz .LBB195_1022
.LBB195_991:
	s_or_b32 exec_lo, exec_lo, s0
	s_and_saveexec_b32 s0, vcc_lo
	s_cbranch_execnz .LBB195_1023
.LBB195_992:
	s_or_b32 exec_lo, exec_lo, s0
	s_and_saveexec_b32 s0, vcc_lo
	s_cbranch_execnz .LBB195_1024
.LBB195_993:
	s_or_b32 exec_lo, exec_lo, s0
	s_and_saveexec_b32 s0, vcc_lo
	s_cbranch_execnz .LBB195_1025
.LBB195_994:
	s_or_b32 exec_lo, exec_lo, s0
	s_and_saveexec_b32 s0, vcc_lo
	s_cbranch_execnz .LBB195_1026
.LBB195_995:
	s_or_b32 exec_lo, exec_lo, s0
	s_and_saveexec_b32 s0, vcc_lo
	s_cbranch_execnz .LBB195_1027
.LBB195_996:
	s_or_b32 exec_lo, exec_lo, s0
	s_and_saveexec_b32 s0, vcc_lo
	s_cbranch_execnz .LBB195_1028
.LBB195_997:
	s_or_b32 exec_lo, exec_lo, s0
	s_and_saveexec_b32 s0, vcc_lo
	s_cbranch_execnz .LBB195_1029
.LBB195_998:
	s_or_b32 exec_lo, exec_lo, s0
	s_and_saveexec_b32 s0, vcc_lo
	s_cbranch_execnz .LBB195_1030
.LBB195_999:
	s_or_b32 exec_lo, exec_lo, s0
	s_and_saveexec_b32 s0, vcc_lo
	s_cbranch_execnz .LBB195_1031
.LBB195_1000:
	s_or_b32 exec_lo, exec_lo, s0
	s_and_saveexec_b32 s0, vcc_lo
	s_cbranch_execz .LBB195_1002
.LBB195_1001:
	ds_load_b32 v14, v14 offset:416
	s_wait_dscnt 0x0
	v_add_f32_e32 v13, v13, v14
.LBB195_1002:
	s_or_b32 exec_lo, exec_lo, s0
.LBB195_1003:
	s_delay_alu instid0(SALU_CYCLE_1)
	s_or_b32 exec_lo, exec_lo, s1
	s_mov_b32 s1, 0
	s_barrier_signal -1
	s_barrier_wait -1
	s_mov_b32 s0, exec_lo
	v_cmpx_eq_u32_e32 0, v16
	s_cbranch_execz .LBB195_1005
; %bb.1004:
	scratch_load_b32 v14, off, off offset:224 th:TH_LOAD_LU ; 4-byte Folded Reload
	s_mul_i32 s0, s24, s8
	s_mul_i32 s2, s8, s12
	;; [unrolled: 1-line block ×3, first 2 shown]
	s_lshr_b32 s8, ttmp7, 16
	s_mul_i32 s6, s0, 0x70
	s_bfe_u32 s0, ttmp6, 0x40014
	s_ashr_i32 s7, s6, 31
	s_add_co_i32 s0, s0, 1
	s_ashr_i32 s3, s2, 31
	s_mul_i32 s0, s8, s0
	s_bfe_u32 s9, ttmp6, 0x40008
	s_lshl_b64 s[6:7], s[6:7], 2
	s_lshl_b64 s[2:3], s[2:3], 2
	s_add_co_i32 s9, s9, s0
	s_cmp_eq_u32 s22, 0
	s_wait_kmcnt 0x0
	s_add_nc_u64 s[4:5], s[4:5], s[6:7]
	s_cselect_b32 s0, s8, s9
	s_add_nc_u64 s[2:3], s[4:5], s[2:3]
	s_mulk_i32 s0, 0x1c0
	s_delay_alu instid0(SALU_CYCLE_1)
	s_add_nc_u64 s[0:1], s[2:3], s[0:1]
	s_wait_loadcnt 0x0
	s_clause 0xd
	global_store_b32 v14, v10, s[0:1]
	global_store_b32 v14, v11, s[0:1] offset:32
	global_store_b32 v14, v8, s[0:1] offset:64
	;; [unrolled: 1-line block ×13, first 2 shown]
.LBB195_1005:
	s_sendmsg sendmsg(MSG_DEALLOC_VGPRS)
	s_endpgm
.LBB195_1006:
	ds_load_b32 v16, v14
	s_wait_dscnt 0x0
	v_add_f32_e32 v10, v10, v16
	s_or_b32 exec_lo, exec_lo, s0
	s_and_saveexec_b32 s0, vcc_lo
	s_cbranch_execz .LBB195_970
.LBB195_1007:
	ds_load_b32 v16, v14 offset:32
	s_wait_dscnt 0x0
	v_add_f32_e32 v11, v11, v16
	s_or_b32 exec_lo, exec_lo, s0
	s_and_saveexec_b32 s0, vcc_lo
	s_cbranch_execz .LBB195_971
.LBB195_1008:
	ds_load_b32 v16, v14 offset:64
	s_wait_dscnt 0x0
	v_add_f32_e32 v8, v8, v16
	s_or_b32 exec_lo, exec_lo, s0
	s_and_saveexec_b32 s0, vcc_lo
	s_cbranch_execz .LBB195_972
.LBB195_1009:
	ds_load_b32 v16, v14 offset:96
	s_wait_dscnt 0x0
	v_add_f32_e32 v9, v9, v16
	s_or_b32 exec_lo, exec_lo, s0
	s_and_saveexec_b32 s0, vcc_lo
	s_cbranch_execz .LBB195_973
.LBB195_1010:
	ds_load_b32 v16, v14 offset:128
	s_wait_dscnt 0x0
	v_add_f32_e32 v6, v6, v16
	s_or_b32 exec_lo, exec_lo, s0
	s_and_saveexec_b32 s0, vcc_lo
	s_cbranch_execz .LBB195_974
.LBB195_1011:
	ds_load_b32 v16, v14 offset:160
	s_wait_dscnt 0x0
	v_add_f32_e32 v7, v7, v16
	s_or_b32 exec_lo, exec_lo, s0
	s_and_saveexec_b32 s0, vcc_lo
	s_cbranch_execz .LBB195_975
.LBB195_1012:
	ds_load_b32 v16, v14 offset:192
	s_wait_dscnt 0x0
	v_add_f32_e32 v4, v4, v16
	s_or_b32 exec_lo, exec_lo, s0
	s_and_saveexec_b32 s0, vcc_lo
	s_cbranch_execz .LBB195_976
.LBB195_1013:
	ds_load_b32 v16, v14 offset:224
	s_wait_dscnt 0x0
	v_add_f32_e32 v5, v5, v16
	s_or_b32 exec_lo, exec_lo, s0
	s_and_saveexec_b32 s0, vcc_lo
	s_cbranch_execz .LBB195_977
.LBB195_1014:
	ds_load_b32 v16, v14 offset:256
	s_wait_dscnt 0x0
	v_add_f32_e32 v2, v2, v16
	s_or_b32 exec_lo, exec_lo, s0
	s_and_saveexec_b32 s0, vcc_lo
	s_cbranch_execz .LBB195_978
.LBB195_1015:
	ds_load_b32 v16, v14 offset:288
	s_wait_dscnt 0x0
	v_add_f32_e32 v3, v3, v16
	s_or_b32 exec_lo, exec_lo, s0
	s_and_saveexec_b32 s0, vcc_lo
	s_cbranch_execz .LBB195_979
.LBB195_1016:
	ds_load_b32 v16, v14 offset:320
	s_wait_dscnt 0x0
	v_add_f32_e32 v0, v0, v16
	s_or_b32 exec_lo, exec_lo, s0
	s_and_saveexec_b32 s0, vcc_lo
	s_cbranch_execz .LBB195_980
.LBB195_1017:
	ds_load_b32 v16, v14 offset:352
	s_wait_dscnt 0x0
	v_add_f32_e32 v1, v1, v16
	s_or_b32 exec_lo, exec_lo, s0
	s_and_saveexec_b32 s0, vcc_lo
	s_cbranch_execz .LBB195_981
.LBB195_1018:
	ds_load_b32 v16, v14 offset:384
	s_wait_dscnt 0x0
	v_add_f32_e32 v12, v12, v16
	s_or_b32 exec_lo, exec_lo, s0
	s_and_saveexec_b32 s0, vcc_lo
	s_cbranch_execnz .LBB195_982
	s_branch .LBB195_983
.LBB195_1019:
	ds_load_b32 v15, v14
	s_wait_dscnt 0x0
	v_add_f32_e32 v10, v10, v15
	s_or_b32 exec_lo, exec_lo, s0
	s_and_saveexec_b32 s0, vcc_lo
	s_cbranch_execz .LBB195_989
.LBB195_1020:
	ds_load_b32 v15, v14 offset:32
	s_wait_dscnt 0x0
	v_add_f32_e32 v11, v11, v15
	s_or_b32 exec_lo, exec_lo, s0
	s_and_saveexec_b32 s0, vcc_lo
	s_cbranch_execz .LBB195_990
.LBB195_1021:
	ds_load_b32 v15, v14 offset:64
	s_wait_dscnt 0x0
	v_add_f32_e32 v8, v8, v15
	s_or_b32 exec_lo, exec_lo, s0
	s_and_saveexec_b32 s0, vcc_lo
	s_cbranch_execz .LBB195_991
.LBB195_1022:
	ds_load_b32 v15, v14 offset:96
	s_wait_dscnt 0x0
	v_add_f32_e32 v9, v9, v15
	s_or_b32 exec_lo, exec_lo, s0
	s_and_saveexec_b32 s0, vcc_lo
	s_cbranch_execz .LBB195_992
.LBB195_1023:
	ds_load_b32 v15, v14 offset:128
	s_wait_dscnt 0x0
	v_add_f32_e32 v6, v6, v15
	s_or_b32 exec_lo, exec_lo, s0
	s_and_saveexec_b32 s0, vcc_lo
	s_cbranch_execz .LBB195_993
.LBB195_1024:
	ds_load_b32 v15, v14 offset:160
	s_wait_dscnt 0x0
	v_add_f32_e32 v7, v7, v15
	s_or_b32 exec_lo, exec_lo, s0
	s_and_saveexec_b32 s0, vcc_lo
	s_cbranch_execz .LBB195_994
.LBB195_1025:
	ds_load_b32 v15, v14 offset:192
	s_wait_dscnt 0x0
	v_add_f32_e32 v4, v4, v15
	s_or_b32 exec_lo, exec_lo, s0
	s_and_saveexec_b32 s0, vcc_lo
	s_cbranch_execz .LBB195_995
.LBB195_1026:
	ds_load_b32 v15, v14 offset:224
	s_wait_dscnt 0x0
	v_add_f32_e32 v5, v5, v15
	s_or_b32 exec_lo, exec_lo, s0
	s_and_saveexec_b32 s0, vcc_lo
	s_cbranch_execz .LBB195_996
.LBB195_1027:
	ds_load_b32 v15, v14 offset:256
	s_wait_dscnt 0x0
	v_add_f32_e32 v2, v2, v15
	s_or_b32 exec_lo, exec_lo, s0
	s_and_saveexec_b32 s0, vcc_lo
	s_cbranch_execz .LBB195_997
.LBB195_1028:
	ds_load_b32 v15, v14 offset:288
	s_wait_dscnt 0x0
	v_add_f32_e32 v3, v3, v15
	s_or_b32 exec_lo, exec_lo, s0
	s_and_saveexec_b32 s0, vcc_lo
	s_cbranch_execz .LBB195_998
.LBB195_1029:
	ds_load_b32 v15, v14 offset:320
	s_wait_dscnt 0x0
	v_add_f32_e32 v0, v0, v15
	s_or_b32 exec_lo, exec_lo, s0
	s_and_saveexec_b32 s0, vcc_lo
	s_cbranch_execz .LBB195_999
.LBB195_1030:
	ds_load_b32 v15, v14 offset:352
	s_wait_dscnt 0x0
	v_add_f32_e32 v1, v1, v15
	s_or_b32 exec_lo, exec_lo, s0
	s_and_saveexec_b32 s0, vcc_lo
	s_cbranch_execz .LBB195_1000
.LBB195_1031:
	ds_load_b32 v15, v14 offset:384
	s_wait_dscnt 0x0
	v_add_f32_e32 v12, v12, v15
	s_or_b32 exec_lo, exec_lo, s0
	s_and_saveexec_b32 s0, vcc_lo
	s_cbranch_execnz .LBB195_1001
	s_branch .LBB195_1002
	.section	.rodata,"a",@progbits
	.p2align	6, 0x0
	.amdhsa_kernel _ZN4vllm25paged_attention_v1_kernelIfhLi112ELi16ELi128ELNS_18Fp8KVCacheDataTypeE1ELb0EEEvPT_PKS2_PKT0_S8_ifPKiSA_iPKfiiiSC_SC_iiiii
		.amdhsa_group_segment_fixed_size 480
		.amdhsa_private_segment_fixed_size 248
		.amdhsa_kernarg_size 384
		.amdhsa_user_sgpr_count 2
		.amdhsa_user_sgpr_dispatch_ptr 0
		.amdhsa_user_sgpr_queue_ptr 0
		.amdhsa_user_sgpr_kernarg_segment_ptr 1
		.amdhsa_user_sgpr_dispatch_id 0
		.amdhsa_user_sgpr_kernarg_preload_length 0
		.amdhsa_user_sgpr_kernarg_preload_offset 0
		.amdhsa_user_sgpr_private_segment_size 0
		.amdhsa_wavefront_size32 1
		.amdhsa_uses_dynamic_stack 0
		.amdhsa_enable_private_segment 1
		.amdhsa_system_sgpr_workgroup_id_x 1
		.amdhsa_system_sgpr_workgroup_id_y 1
		.amdhsa_system_sgpr_workgroup_id_z 1
		.amdhsa_system_sgpr_workgroup_info 0
		.amdhsa_system_vgpr_workitem_id 0
		.amdhsa_next_free_vgpr 128
		.amdhsa_next_free_sgpr 32
		.amdhsa_named_barrier_count 0
		.amdhsa_reserve_vcc 1
		.amdhsa_float_round_mode_32 0
		.amdhsa_float_round_mode_16_64 0
		.amdhsa_float_denorm_mode_32 3
		.amdhsa_float_denorm_mode_16_64 3
		.amdhsa_fp16_overflow 0
		.amdhsa_memory_ordered 1
		.amdhsa_forward_progress 1
		.amdhsa_inst_pref_size 255
		.amdhsa_round_robin_scheduling 0
		.amdhsa_exception_fp_ieee_invalid_op 0
		.amdhsa_exception_fp_denorm_src 0
		.amdhsa_exception_fp_ieee_div_zero 0
		.amdhsa_exception_fp_ieee_overflow 0
		.amdhsa_exception_fp_ieee_underflow 0
		.amdhsa_exception_fp_ieee_inexact 0
		.amdhsa_exception_int_div_zero 0
	.end_amdhsa_kernel
	.section	.text._ZN4vllm25paged_attention_v1_kernelIfhLi112ELi16ELi128ELNS_18Fp8KVCacheDataTypeE1ELb0EEEvPT_PKS2_PKT0_S8_ifPKiSA_iPKfiiiSC_SC_iiiii,"axG",@progbits,_ZN4vllm25paged_attention_v1_kernelIfhLi112ELi16ELi128ELNS_18Fp8KVCacheDataTypeE1ELb0EEEvPT_PKS2_PKT0_S8_ifPKiSA_iPKfiiiSC_SC_iiiii,comdat
.Lfunc_end195:
	.size	_ZN4vllm25paged_attention_v1_kernelIfhLi112ELi16ELi128ELNS_18Fp8KVCacheDataTypeE1ELb0EEEvPT_PKS2_PKT0_S8_ifPKiSA_iPKfiiiSC_SC_iiiii, .Lfunc_end195-_ZN4vllm25paged_attention_v1_kernelIfhLi112ELi16ELi128ELNS_18Fp8KVCacheDataTypeE1ELb0EEEvPT_PKS2_PKT0_S8_ifPKiSA_iPKfiiiSC_SC_iiiii
                                        ; -- End function
	.set _ZN4vllm25paged_attention_v1_kernelIfhLi112ELi16ELi128ELNS_18Fp8KVCacheDataTypeE1ELb0EEEvPT_PKS2_PKT0_S8_ifPKiSA_iPKfiiiSC_SC_iiiii.num_vgpr, 128
	.set _ZN4vllm25paged_attention_v1_kernelIfhLi112ELi16ELi128ELNS_18Fp8KVCacheDataTypeE1ELb0EEEvPT_PKS2_PKT0_S8_ifPKiSA_iPKfiiiSC_SC_iiiii.num_agpr, 0
	.set _ZN4vllm25paged_attention_v1_kernelIfhLi112ELi16ELi128ELNS_18Fp8KVCacheDataTypeE1ELb0EEEvPT_PKS2_PKT0_S8_ifPKiSA_iPKfiiiSC_SC_iiiii.numbered_sgpr, 32
	.set _ZN4vllm25paged_attention_v1_kernelIfhLi112ELi16ELi128ELNS_18Fp8KVCacheDataTypeE1ELb0EEEvPT_PKS2_PKT0_S8_ifPKiSA_iPKfiiiSC_SC_iiiii.num_named_barrier, 0
	.set _ZN4vllm25paged_attention_v1_kernelIfhLi112ELi16ELi128ELNS_18Fp8KVCacheDataTypeE1ELb0EEEvPT_PKS2_PKT0_S8_ifPKiSA_iPKfiiiSC_SC_iiiii.private_seg_size, 248
	.set _ZN4vllm25paged_attention_v1_kernelIfhLi112ELi16ELi128ELNS_18Fp8KVCacheDataTypeE1ELb0EEEvPT_PKS2_PKT0_S8_ifPKiSA_iPKfiiiSC_SC_iiiii.uses_vcc, 1
	.set _ZN4vllm25paged_attention_v1_kernelIfhLi112ELi16ELi128ELNS_18Fp8KVCacheDataTypeE1ELb0EEEvPT_PKS2_PKT0_S8_ifPKiSA_iPKfiiiSC_SC_iiiii.uses_flat_scratch, 1
	.set _ZN4vllm25paged_attention_v1_kernelIfhLi112ELi16ELi128ELNS_18Fp8KVCacheDataTypeE1ELb0EEEvPT_PKS2_PKT0_S8_ifPKiSA_iPKfiiiSC_SC_iiiii.has_dyn_sized_stack, 0
	.set _ZN4vllm25paged_attention_v1_kernelIfhLi112ELi16ELi128ELNS_18Fp8KVCacheDataTypeE1ELb0EEEvPT_PKS2_PKT0_S8_ifPKiSA_iPKfiiiSC_SC_iiiii.has_recursion, 0
	.set _ZN4vllm25paged_attention_v1_kernelIfhLi112ELi16ELi128ELNS_18Fp8KVCacheDataTypeE1ELb0EEEvPT_PKS2_PKT0_S8_ifPKiSA_iPKfiiiSC_SC_iiiii.has_indirect_call, 0
	.section	.AMDGPU.csdata,"",@progbits
; Kernel info:
; codeLenInByte = 36472
; TotalNumSgprs: 34
; NumVgprs: 128
; ScratchSize: 248
; MemoryBound: 0
; FloatMode: 240
; IeeeMode: 1
; LDSByteSize: 480 bytes/workgroup (compile time only)
; SGPRBlocks: 0
; VGPRBlocks: 7
; NumSGPRsForWavesPerEU: 34
; NumVGPRsForWavesPerEU: 128
; NamedBarCnt: 0
; Occupancy: 8
; WaveLimiterHint : 1
; COMPUTE_PGM_RSRC2:SCRATCH_EN: 1
; COMPUTE_PGM_RSRC2:USER_SGPR: 2
; COMPUTE_PGM_RSRC2:TRAP_HANDLER: 0
; COMPUTE_PGM_RSRC2:TGID_X_EN: 1
; COMPUTE_PGM_RSRC2:TGID_Y_EN: 1
; COMPUTE_PGM_RSRC2:TGID_Z_EN: 1
; COMPUTE_PGM_RSRC2:TIDIG_COMP_CNT: 0
	.section	.text._ZN4vllm25paged_attention_v1_kernelIfhLi120ELi16ELi128ELNS_18Fp8KVCacheDataTypeE1ELb0EEEvPT_PKS2_PKT0_S8_ifPKiSA_iPKfiiiSC_SC_iiiii,"axG",@progbits,_ZN4vllm25paged_attention_v1_kernelIfhLi120ELi16ELi128ELNS_18Fp8KVCacheDataTypeE1ELb0EEEvPT_PKS2_PKT0_S8_ifPKiSA_iPKfiiiSC_SC_iiiii,comdat
	.protected	_ZN4vllm25paged_attention_v1_kernelIfhLi120ELi16ELi128ELNS_18Fp8KVCacheDataTypeE1ELb0EEEvPT_PKS2_PKT0_S8_ifPKiSA_iPKfiiiSC_SC_iiiii ; -- Begin function _ZN4vllm25paged_attention_v1_kernelIfhLi120ELi16ELi128ELNS_18Fp8KVCacheDataTypeE1ELb0EEEvPT_PKS2_PKT0_S8_ifPKiSA_iPKfiiiSC_SC_iiiii
	.globl	_ZN4vllm25paged_attention_v1_kernelIfhLi120ELi16ELi128ELNS_18Fp8KVCacheDataTypeE1ELb0EEEvPT_PKS2_PKT0_S8_ifPKiSA_iPKfiiiSC_SC_iiiii
	.p2align	8
	.type	_ZN4vllm25paged_attention_v1_kernelIfhLi120ELi16ELi128ELNS_18Fp8KVCacheDataTypeE1ELb0EEEvPT_PKS2_PKT0_S8_ifPKiSA_iPKfiiiSC_SC_iiiii,@function
_ZN4vllm25paged_attention_v1_kernelIfhLi120ELi16ELi128ELNS_18Fp8KVCacheDataTypeE1ELb0EEEvPT_PKS2_PKT0_S8_ifPKiSA_iPKfiiiSC_SC_iiiii: ; @_ZN4vllm25paged_attention_v1_kernelIfhLi120ELi16ELi128ELNS_18Fp8KVCacheDataTypeE1ELb0EEEvPT_PKS2_PKT0_S8_ifPKiSA_iPKfiiiSC_SC_iiiii
; %bb.0:
	s_load_b64 s[18:19], s[0:1], 0x20
	s_bfe_u32 s3, ttmp6, 0x4000c
	s_bfe_u32 s5, ttmp6, 0x40010
	s_and_b32 s4, ttmp7, 0xffff
	s_add_co_i32 s3, s3, 1
	s_add_co_i32 s5, s5, 1
	s_and_b32 s2, ttmp6, 15
	s_bfe_u32 s6, ttmp6, 0x40004
	s_mul_i32 s3, ttmp9, s3
	s_mul_i32 s5, s4, s5
	s_getreg_b32 s22, hwreg(HW_REG_IB_STS2, 6, 4)
	s_add_co_i32 s2, s2, s3
	s_add_co_i32 s3, s6, s5
	s_cmp_eq_u32 s22, 0
	scratch_store_b32 off, v0, off offset:264 ; 4-byte Folded Spill
	s_cselect_b32 s24, s4, s3
	s_cselect_b32 s4, ttmp9, s2
	s_clause 0x1
	s_load_b32 s23, s[0:1], 0x80
	s_load_b64 s[6:7], s[0:1], 0x30
	s_wait_kmcnt 0x0
	s_abs_i32 s2, s18
	s_delay_alu instid0(SALU_CYCLE_1) | instskip(SKIP_1) | instid1(SALU_CYCLE_2)
	s_cvt_f32_u32 s3, s2
	s_sub_co_i32 s5, 0, s2
	v_rcp_iflag_f32_e32 v0, s3
	v_nop
	s_delay_alu instid0(TRANS32_DEP_1) | instskip(SKIP_2) | instid1(SALU_CYCLE_3)
	v_readfirstlane_b32 s3, v0
	s_abs_i32 s8, s23
	s_mul_f32 s3, s3, 0x4f7ffffe
	s_cvt_u32_f32 s3, s3
	s_delay_alu instid0(SALU_CYCLE_3) | instskip(NEXT) | instid1(SALU_CYCLE_1)
	s_mul_i32 s5, s5, s3
	s_mul_hi_u32 s5, s3, s5
	s_delay_alu instid0(SALU_CYCLE_1) | instskip(SKIP_4) | instid1(SALU_CYCLE_1)
	s_add_co_i32 s3, s3, s5
	s_xor_b32 s5, s23, s18
	s_mul_hi_u32 s3, s8, s3
	s_ashr_i32 s5, s5, 31
	s_mul_i32 s9, s3, s2
	s_sub_co_i32 s8, s8, s9
	s_add_co_i32 s9, s3, 1
	s_sub_co_i32 s10, s8, s2
	s_cmp_ge_u32 s8, s2
	s_cselect_b32 s3, s9, s3
	s_cselect_b32 s8, s10, s8
	s_add_co_i32 s9, s3, 1
	s_cmp_ge_u32 s8, s2
	s_cselect_b32 s2, s9, s3
	s_load_b64 s[8:9], s[0:1], 0x40
	s_xor_b32 s2, s2, s5
	s_mov_b32 s3, 0
	s_sub_co_i32 s14, s2, s5
	s_mov_b32 s13, s3
	s_abs_i32 s11, s14
	s_mov_b32 s18, s3
	s_cvt_f32_u32 s2, s11
	s_delay_alu instid0(SALU_CYCLE_3) | instskip(SKIP_1) | instid1(TRANS32_DEP_1)
	v_rcp_iflag_f32_e32 v0, s2
	v_nop
	v_readfirstlane_b32 s2, v0
	s_mul_f32 s2, s2, 0x4f7ffffe
	s_delay_alu instid0(SALU_CYCLE_3) | instskip(SKIP_1) | instid1(SALU_CYCLE_2)
	s_cvt_u32_f32 s5, s2
	s_sub_co_i32 s2, 0, s11
	s_mul_i32 s2, s2, s5
	s_delay_alu instid0(SALU_CYCLE_1)
	s_mul_hi_u32 s10, s5, s2
	s_abs_i32 s2, s4
	s_add_co_i32 s12, s5, s10
	s_wait_kmcnt 0x0
	s_cmp_eq_u64 s[8:9], 0
	s_cbranch_scc1 .LBB196_2
; %bb.1:
	s_ashr_i32 s5, s4, 31
	s_delay_alu instid0(SALU_CYCLE_1) | instskip(NEXT) | instid1(SALU_CYCLE_1)
	s_lshl_b64 s[16:17], s[4:5], 2
	s_add_nc_u64 s[8:9], s[8:9], s[16:17]
	s_load_b32 s18, s[8:9], 0x0
.LBB196_2:
	s_load_b32 s25, s[6:7], s24 offset:0x0 scale_offset
	s_wait_xcnt 0x0
	s_load_b96 s[8:10], s[0:1], 0x48
	scratch_load_b32 v4, off, off offset:264 ; 4-byte Folded Reload
	s_ashr_i32 s5, s4, 31
	s_ashr_i32 s14, s14, 31
	s_mul_u64 s[6:7], s[2:3], s[12:13]
	s_mul_i32 s12, s4, 0x78
	s_mov_b32 s3, exec_lo
	s_wait_loadcnt 0x0
	v_dual_lshlrev_b32 v22, 2, v4 :: v_dual_bitop2_b32 v0, 1, v4 bitop3:0x40
	s_wait_xcnt 0x0
	v_cmpx_gt_u32_e32 60, v4
	s_cbranch_execz .LBB196_4
; %bb.3:
	s_load_b64 s[16:17], s[0:1], 0x8
	s_wait_kmcnt 0x0
	s_mul_i32 s20, s8, s24
	s_ashr_i32 s13, s12, 31
	s_ashr_i32 s21, s20, 31
	v_and_b32_e32 v1, 0xff8, v22
	s_lshl_b64 s[20:21], s[20:21], 2
	s_delay_alu instid0(VALU_DEP_1) | instskip(SKIP_2) | instid1(SALU_CYCLE_1)
	v_mad_u32_u24 v1, 0xf0, v0, v1
	s_add_nc_u64 s[16:17], s[16:17], s[20:21]
	s_lshl_b64 s[20:21], s[12:13], 2
	s_add_nc_u64 s[16:17], s[16:17], s[20:21]
	global_load_b64 v[2:3], v4, s[16:17] scale_offset
	s_wait_loadcnt 0x0
	ds_store_b64 v1, v[2:3]
.LBB196_4:
	s_wait_xcnt 0x0
	s_or_b32 exec_lo, exec_lo, s3
	s_wait_kmcnt 0x0
	s_add_co_i32 s3, s25, 15
	s_load_b32 s4, s[0:1], 0x38
	s_ashr_i32 s6, s3, 31
	s_mul_i32 s8, s7, s11
	s_lshr_b32 s6, s6, 28
	s_sub_co_i32 s2, s2, s8
	s_add_co_i32 s3, s3, s6
	s_xor_b32 s5, s5, s14
	s_ashr_i32 s13, s3, 4
	s_add_co_i32 s3, s7, 1
	s_sub_co_i32 s6, s2, s11
	s_cmp_ge_u32 s2, s11
	v_lshrrev_b32_e32 v1, 5, v4
	s_cselect_b32 s3, s3, s7
	s_cselect_b32 s2, s6, s2
	s_add_co_i32 s6, s3, 1
	s_cmp_ge_u32 s2, s11
	v_mbcnt_lo_u32_b32 v10, -1, 0
	s_cselect_b32 s2, s6, s3
	s_wait_storecnt_dscnt 0x0
	s_xor_b32 s2, s2, s5
	s_wait_kmcnt 0x0
	s_mul_i32 s14, s4, s24
	s_sub_co_i32 s3, s2, s5
	v_cmp_gt_i32_e64 s2, s13, v1
	s_ashr_i32 s15, s14, 31
	s_mov_b32 s4, exec_lo
	s_barrier_signal -1
	scratch_store_b32 off, v1, off offset:268 ; 4-byte Folded Spill
	s_barrier_wait -1
	s_wait_storecnt 0x0
                                        ; implicit-def: $vgpr63
                                        ; implicit-def: $vgpr8
	s_wait_xcnt 0x0
	v_cmpx_le_i32_e64 s13, v1
	s_xor_b32 s4, exec_lo, s4
; %bb.5:
	v_dual_mov_b32 v63, 0 :: v_dual_mov_b32 v8, 32
	v_mbcnt_lo_u32_b32 v10, -1, 0
                                        ; implicit-def: $vgpr0
; %bb.6:
	s_or_saveexec_b32 s26, s4
	s_clause 0x2
	s_load_b32 s8, s[0:1], 0x88
	s_load_b64 s[16:17], s[0:1], 0x28
	s_load_b128 s[4:7], s[0:1], 0x58
	scratch_load_b32 v1, off, off offset:264 ; 4-byte Folded Reload
	v_mov_b32_e32 v3, 0xff7fffff
	s_mul_i32 s10, s3, s10
	s_wait_loadcnt 0x0
	v_lshrrev_b32_e32 v24, 3, v1
	s_xor_b32 exec_lo, exec_lo, s26
	s_cbranch_execz .LBB196_492
; %bb.7:
	s_clause 0x1
	scratch_load_b32 v1, off, off offset:264
	scratch_load_b32 v60, off, off offset:268
	v_mul_u32_u24_e32 v4, 0xf0, v0
	v_dual_mov_b32 v63, 0 :: v_dual_bitop2_b32 v2, 1, v10 bitop3:0x14
	s_load_b64 s[28:29], s[0:1], 0x10
	s_ashr_i32 s11, s10, 31
	ds_load_b128 v[6:9], v4
	s_wait_kmcnt 0x0
	s_load_b32 s20, s[4:5], 0x0
	v_cmp_gt_i32_e32 vcc_lo, 32, v2
	s_cmp_neq_f32 s18, 0
	s_mov_b32 s27, s9
	s_clause 0x1
	scratch_store_b32 off, v24, off offset:276
	scratch_store_b32 off, v10, off offset:280
	v_cndmask_b32_e32 v5, v10, v2, vcc_lo
	s_cselect_b32 s3, -1, 0
	v_cmp_eq_u32_e32 vcc_lo, 0, v0
	s_delay_alu instid0(VALU_DEP_2)
	v_lshlrev_b32_e32 v5, 2, v5
	s_add_nc_u64 s[4:5], s[28:29], s[10:11]
	s_sub_co_i32 s11, 1, s25
	s_wait_dscnt 0x0
	scratch_store_b128 off, v[6:9], off offset:12 ; 16-byte Folded Spill
	s_wait_xcnt 0x0
	ds_load_b128 v[6:9], v4 offset:16
	s_wait_kmcnt 0x0
	s_mov_b32 s21, s20
	s_wait_loadcnt 0x1
	v_bfe_u32 v1, v1, 1, 4
	s_delay_alu instid0(VALU_DEP_1) | instskip(SKIP_2) | instid1(VALU_DEP_2)
	v_lshlrev_b32_e32 v62, 4, v1
	s_wait_loadcnt 0x0
	v_lshl_or_b32 v58, v60, 4, v1
	v_add_nc_u64_e32 v[2:3], s[4:5], v[62:63]
	v_lshlrev_b32_e32 v62, 1, v0
	s_lshl_b64 s[4:5], s[14:15], 2
	s_delay_alu instid0(SALU_CYCLE_1) | instskip(NEXT) | instid1(VALU_DEP_1)
	s_add_nc_u64 s[4:5], s[16:17], s[4:5]
	v_add_nc_u64_e32 v[2:3], v[2:3], v[62:63]
	s_wait_dscnt 0x0
	scratch_store_b128 off, v[6:9], off offset:28 ; 16-byte Folded Spill
	s_wait_xcnt 0x0
	ds_load_b128 v[6:9], v4 offset:32
	scratch_store_b32 off, v22, off offset:272 ; 4-byte Folded Spill
	v_and_b32_e32 v62, 0x7c, v24
	scratch_store_b64 off, v[2:3], off offset:256 ; 8-byte Folded Spill
	v_add_nc_u64_e32 v[66:67], s[4:5], v[62:63]
	s_mov_b32 s5, 0
	s_wait_dscnt 0x0
	scratch_store_b128 off, v[6:9], off offset:44 ; 16-byte Folded Spill
	s_wait_xcnt 0x0
	ds_load_b128 v[6:9], v4 offset:48
	s_wait_dscnt 0x0
	scratch_store_b128 off, v[6:9], off offset:60 ; 16-byte Folded Spill
	s_wait_xcnt 0x0
	ds_load_b128 v[6:9], v4 offset:64
	;; [unrolled: 4-line block ×12, first 2 shown]
	v_lshlrev_b32_e32 v4, 2, v1
	s_delay_alu instid0(VALU_DEP_1) | instskip(NEXT) | instid1(VALU_DEP_1)
	v_lshl_or_b32 v0, v60, 6, v4
	v_add_nc_u32_e32 v59, 0x200, v0
	v_mov_b32_e32 v0, 0xff7fffff
	s_clause 0x1
	scratch_store_b32 off, v5, off offset:252
	scratch_store_b32 off, v0, off offset:8
	s_wait_dscnt 0x0
	scratch_store_b128 off, v[6:9], off offset:236 ; 16-byte Folded Spill
	s_branch .LBB196_9
.LBB196_8:                              ;   in Loop: Header=BB196_9 Depth=1
	s_wait_xcnt 0x0
	s_or_b32 exec_lo, exec_lo, s28
	v_dual_add_nc_u32 v60, 4, v60 :: v_dual_add_nc_u32 v58, 64, v58
	v_add_nc_u64_e32 v[66:67], 16, v[66:67]
	v_add_nc_u32_e32 v59, 0x100, v59
	s_delay_alu instid0(VALU_DEP_3) | instskip(SKIP_1) | instid1(SALU_CYCLE_1)
	v_cmp_le_i32_e64 s4, s13, v60
	s_or_b32 s5, s4, s5
	s_and_not1_b32 exec_lo, exec_lo, s5
	s_cbranch_execz .LBB196_491
.LBB196_9:                              ; =>This Inner Loop Header: Depth=1
	global_load_b32 v0, v[66:67], off
	scratch_load_b64 v[2:3], off, off offset:256 ; 8-byte Folded Reload
	v_mov_b64_e32 v[68:69], 0
	v_mov_b64_e32 v[74:75], 0
	s_mov_b32 s28, exec_lo
	s_wait_loadcnt 0x0
	v_mad_nc_i64_i32 v[76:77], v0, s27, v[2:3]
	global_load_u16 v0, v[76:77], off
	s_wait_loadcnt_dscnt 0x0
	v_and_b32_e32 v1, 0xff, v0
	v_and_b32_e32 v0, 0xffff, v0
	s_wait_xcnt 0x0
	s_delay_alu instid0(VALU_DEP_2)
	v_cmpx_ne_u16_e32 0, v1
	s_cbranch_execz .LBB196_17
; %bb.10:                               ;   in Loop: Header=BB196_9 Depth=1
	v_mov_b64_e32 v[74:75], 0x80000000
	v_and_b32_e32 v1, 0xff, v0
	s_mov_b32 s29, exec_lo
	s_delay_alu instid0(VALU_DEP_1)
	v_cmpx_ne_u16_e32 0x80, v1
	s_cbranch_execz .LBB196_16
; %bb.11:                               ;   in Loop: Header=BB196_9 Depth=1
	v_mov_b64_e32 v[74:75], 0x7f800001
	v_and_b32_e32 v2, 0x7f, v0
	s_mov_b32 s30, exec_lo
	s_delay_alu instid0(VALU_DEP_1)
	v_cmpx_ne_u32_e32 0x7f, v2
	s_cbranch_execz .LBB196_15
; %bb.12:                               ;   in Loop: Header=BB196_9 Depth=1
	v_dual_lshrrev_b32 v1, 3, v2 :: v_dual_bitop2_b32 v62, 7, v0 bitop3:0x40
	s_mov_b32 s31, exec_lo
	v_cmpx_gt_u32_e32 8, v2
; %bb.13:                               ;   in Loop: Header=BB196_9 Depth=1
	s_delay_alu instid0(VALU_DEP_2) | instskip(NEXT) | instid1(VALU_DEP_1)
	v_clz_i32_u32_e32 v1, v62
	v_min_u32_e32 v1, 32, v1
	s_delay_alu instid0(VALU_DEP_1) | instskip(NEXT) | instid1(VALU_DEP_1)
	v_subrev_nc_u32_e32 v2, 28, v1
	v_lshlrev_b64_e32 v[2:3], v2, v[62:63]
	s_delay_alu instid0(VALU_DEP_1)
	v_dual_sub_nc_u32 v1, 29, v1 :: v_dual_bitop2_b32 v62, 7, v2 bitop3:0x40
; %bb.14:                               ;   in Loop: Header=BB196_9 Depth=1
	s_or_b32 exec_lo, exec_lo, s31
	s_delay_alu instid0(VALU_DEP_1) | instskip(NEXT) | instid1(VALU_DEP_2)
	v_dual_lshlrev_b32 v2, 24, v0 :: v_dual_lshlrev_b32 v3, 20, v62
	v_lshl_add_u32 v1, v1, 23, 0x3c000000
	s_delay_alu instid0(VALU_DEP_2) | instskip(NEXT) | instid1(VALU_DEP_1)
	v_and_b32_e32 v2, 0x80000000, v2
	v_or3_b32 v62, v3, v2, v1
	s_delay_alu instid0(VALU_DEP_1)
	v_mov_b64_e32 v[74:75], v[62:63]
.LBB196_15:                             ;   in Loop: Header=BB196_9 Depth=1
	s_or_b32 exec_lo, exec_lo, s30
.LBB196_16:                             ;   in Loop: Header=BB196_9 Depth=1
	s_delay_alu instid0(SALU_CYCLE_1)
	s_or_b32 exec_lo, exec_lo, s29
.LBB196_17:                             ;   in Loop: Header=BB196_9 Depth=1
	s_delay_alu instid0(SALU_CYCLE_1) | instskip(SKIP_2) | instid1(VALU_DEP_1)
	s_or_b32 exec_lo, exec_lo, s28
	v_lshrrev_b16 v1, 8, v0
	s_mov_b32 s28, exec_lo
	v_cmpx_ne_u16_e32 0, v1
	s_cbranch_execz .LBB196_25
; %bb.18:                               ;   in Loop: Header=BB196_9 Depth=1
	v_mov_b64_e32 v[68:69], 0x8000000000000000
	s_mov_b32 s29, exec_lo
	v_cmpx_ne_u16_e32 0x80, v1
	s_cbranch_execz .LBB196_24
; %bb.19:                               ;   in Loop: Header=BB196_9 Depth=1
	v_and_b32_e32 v1, 0xffff, v1
	v_mov_b64_e32 v[68:69], 0x7f80000100000000
	s_mov_b32 s30, exec_lo
	s_delay_alu instid0(VALU_DEP_2) | instskip(NEXT) | instid1(VALU_DEP_1)
	v_and_b32_e32 v2, 0x7f, v1
	v_cmpx_ne_u32_e32 0x7f, v2
	s_cbranch_execz .LBB196_23
; %bb.20:                               ;   in Loop: Header=BB196_9 Depth=1
	v_dual_lshrrev_b32 v1, 3, v2 :: v_dual_bitop2_b32 v62, 7, v1 bitop3:0x40
	s_mov_b32 s31, exec_lo
	v_cmpx_gt_u32_e32 8, v2
; %bb.21:                               ;   in Loop: Header=BB196_9 Depth=1
	s_delay_alu instid0(VALU_DEP_2) | instskip(NEXT) | instid1(VALU_DEP_1)
	v_clz_i32_u32_e32 v1, v62
	v_min_u32_e32 v1, 32, v1
	s_delay_alu instid0(VALU_DEP_1) | instskip(NEXT) | instid1(VALU_DEP_1)
	v_subrev_nc_u32_e32 v2, 28, v1
	v_lshlrev_b64_e32 v[2:3], v2, v[62:63]
	s_delay_alu instid0(VALU_DEP_1)
	v_dual_sub_nc_u32 v1, 29, v1 :: v_dual_bitop2_b32 v62, 7, v2 bitop3:0x40
; %bb.22:                               ;   in Loop: Header=BB196_9 Depth=1
	s_or_b32 exec_lo, exec_lo, s31
	s_delay_alu instid0(VALU_DEP_1) | instskip(NEXT) | instid1(VALU_DEP_2)
	v_dual_lshlrev_b32 v0, 16, v0 :: v_dual_lshlrev_b32 v2, 20, v62
	v_lshl_add_u32 v1, v1, 23, 0x3c000000
	v_mov_b32_e32 v68, v63
	s_delay_alu instid0(VALU_DEP_3) | instskip(NEXT) | instid1(VALU_DEP_1)
	v_and_b32_e32 v0, 0x80000000, v0
	v_or3_b32 v69, v2, v0, v1
.LBB196_23:                             ;   in Loop: Header=BB196_9 Depth=1
	s_or_b32 exec_lo, exec_lo, s30
.LBB196_24:                             ;   in Loop: Header=BB196_9 Depth=1
	s_delay_alu instid0(SALU_CYCLE_1)
	s_or_b32 exec_lo, exec_lo, s29
.LBB196_25:                             ;   in Loop: Header=BB196_9 Depth=1
	s_delay_alu instid0(SALU_CYCLE_1)
	s_or_b32 exec_lo, exec_lo, s28
	global_load_u16 v0, v[76:77], off offset:4
	v_mov_b64_e32 v[72:73], 0
	v_mov_b64_e32 v[2:3], 0
	s_mov_b32 s28, exec_lo
	scratch_store_b64 off, v[2:3], off      ; 8-byte Folded Spill
	s_wait_loadcnt 0x0
	v_and_b32_e32 v1, 0xff, v0
	v_and_b32_e32 v0, 0xffff, v0
	s_wait_xcnt 0x0
	s_delay_alu instid0(VALU_DEP_2)
	v_cmpx_ne_u16_e32 0, v1
	s_cbranch_execz .LBB196_33
; %bb.26:                               ;   in Loop: Header=BB196_9 Depth=1
	v_mov_b64_e32 v[2:3], 0x80000000
	v_and_b32_e32 v1, 0xff, v0
	s_mov_b32 s29, exec_lo
	scratch_store_b64 off, v[2:3], off      ; 8-byte Folded Spill
	s_wait_xcnt 0x0
	v_cmpx_ne_u16_e32 0x80, v1
	s_cbranch_execz .LBB196_32
; %bb.27:                               ;   in Loop: Header=BB196_9 Depth=1
	v_mov_b64_e32 v[4:5], 0x7f800001
	v_and_b32_e32 v2, 0x7f, v0
	s_mov_b32 s30, exec_lo
	scratch_store_b64 off, v[4:5], off      ; 8-byte Folded Spill
	s_wait_xcnt 0x0
	v_cmpx_ne_u32_e32 0x7f, v2
	s_cbranch_execz .LBB196_31
; %bb.28:                               ;   in Loop: Header=BB196_9 Depth=1
	v_dual_lshrrev_b32 v1, 3, v2 :: v_dual_bitop2_b32 v62, 7, v0 bitop3:0x40
	s_mov_b32 s31, exec_lo
	v_cmpx_gt_u32_e32 8, v2
; %bb.29:                               ;   in Loop: Header=BB196_9 Depth=1
	s_delay_alu instid0(VALU_DEP_2) | instskip(NEXT) | instid1(VALU_DEP_1)
	v_clz_i32_u32_e32 v1, v62
	v_min_u32_e32 v1, 32, v1
	s_delay_alu instid0(VALU_DEP_1) | instskip(NEXT) | instid1(VALU_DEP_1)
	v_subrev_nc_u32_e32 v2, 28, v1
	v_lshlrev_b64_e32 v[2:3], v2, v[62:63]
	s_delay_alu instid0(VALU_DEP_1)
	v_dual_sub_nc_u32 v1, 29, v1 :: v_dual_bitop2_b32 v62, 7, v2 bitop3:0x40
; %bb.30:                               ;   in Loop: Header=BB196_9 Depth=1
	s_or_b32 exec_lo, exec_lo, s31
	s_delay_alu instid0(VALU_DEP_1) | instskip(NEXT) | instid1(VALU_DEP_2)
	v_dual_lshlrev_b32 v2, 24, v0 :: v_dual_lshlrev_b32 v3, 20, v62
	v_lshl_add_u32 v1, v1, 23, 0x3c000000
	s_delay_alu instid0(VALU_DEP_2) | instskip(NEXT) | instid1(VALU_DEP_1)
	v_and_b32_e32 v2, 0x80000000, v2
	v_or3_b32 v62, v3, v2, v1
	scratch_store_b64 off, v[62:63], off    ; 8-byte Folded Spill
.LBB196_31:                             ;   in Loop: Header=BB196_9 Depth=1
	s_wait_xcnt 0x0
	s_or_b32 exec_lo, exec_lo, s30
.LBB196_32:                             ;   in Loop: Header=BB196_9 Depth=1
	s_delay_alu instid0(SALU_CYCLE_1)
	s_or_b32 exec_lo, exec_lo, s29
.LBB196_33:                             ;   in Loop: Header=BB196_9 Depth=1
	s_delay_alu instid0(SALU_CYCLE_1) | instskip(SKIP_2) | instid1(VALU_DEP_1)
	s_or_b32 exec_lo, exec_lo, s28
	v_lshrrev_b16 v1, 8, v0
	s_mov_b32 s28, exec_lo
	v_cmpx_ne_u16_e32 0, v1
	s_cbranch_execz .LBB196_41
; %bb.34:                               ;   in Loop: Header=BB196_9 Depth=1
	v_mov_b64_e32 v[72:73], 0x8000000000000000
	s_mov_b32 s29, exec_lo
	v_cmpx_ne_u16_e32 0x80, v1
	s_cbranch_execz .LBB196_40
; %bb.35:                               ;   in Loop: Header=BB196_9 Depth=1
	v_and_b32_e32 v1, 0xffff, v1
	v_mov_b64_e32 v[72:73], 0x7f80000100000000
	s_mov_b32 s30, exec_lo
	s_delay_alu instid0(VALU_DEP_2) | instskip(NEXT) | instid1(VALU_DEP_1)
	v_and_b32_e32 v2, 0x7f, v1
	v_cmpx_ne_u32_e32 0x7f, v2
	s_cbranch_execz .LBB196_39
; %bb.36:                               ;   in Loop: Header=BB196_9 Depth=1
	v_dual_lshrrev_b32 v1, 3, v2 :: v_dual_bitop2_b32 v62, 7, v1 bitop3:0x40
	s_mov_b32 s31, exec_lo
	v_cmpx_gt_u32_e32 8, v2
; %bb.37:                               ;   in Loop: Header=BB196_9 Depth=1
	s_delay_alu instid0(VALU_DEP_2) | instskip(NEXT) | instid1(VALU_DEP_1)
	v_clz_i32_u32_e32 v1, v62
	v_min_u32_e32 v1, 32, v1
	s_delay_alu instid0(VALU_DEP_1) | instskip(NEXT) | instid1(VALU_DEP_1)
	v_subrev_nc_u32_e32 v2, 28, v1
	v_lshlrev_b64_e32 v[2:3], v2, v[62:63]
	s_delay_alu instid0(VALU_DEP_1)
	v_dual_sub_nc_u32 v1, 29, v1 :: v_dual_bitop2_b32 v62, 7, v2 bitop3:0x40
; %bb.38:                               ;   in Loop: Header=BB196_9 Depth=1
	s_or_b32 exec_lo, exec_lo, s31
	s_delay_alu instid0(VALU_DEP_1) | instskip(NEXT) | instid1(VALU_DEP_2)
	v_dual_lshlrev_b32 v0, 16, v0 :: v_dual_lshlrev_b32 v2, 20, v62
	v_lshl_add_u32 v1, v1, 23, 0x3c000000
	v_mov_b32_e32 v72, v63
	s_delay_alu instid0(VALU_DEP_3) | instskip(NEXT) | instid1(VALU_DEP_1)
	v_and_b32_e32 v0, 0x80000000, v0
	v_or3_b32 v73, v2, v0, v1
.LBB196_39:                             ;   in Loop: Header=BB196_9 Depth=1
	s_or_b32 exec_lo, exec_lo, s30
.LBB196_40:                             ;   in Loop: Header=BB196_9 Depth=1
	s_delay_alu instid0(SALU_CYCLE_1)
	s_or_b32 exec_lo, exec_lo, s29
.LBB196_41:                             ;   in Loop: Header=BB196_9 Depth=1
	s_delay_alu instid0(SALU_CYCLE_1)
	s_or_b32 exec_lo, exec_lo, s28
	global_load_u16 v0, v[76:77], off offset:8
	v_mov_b64_e32 v[78:79], 0
	v_mov_b64_e32 v[80:81], 0
	s_mov_b32 s28, exec_lo
	s_wait_loadcnt 0x0
	v_and_b32_e32 v1, 0xff, v0
	v_and_b32_e32 v0, 0xffff, v0
	s_wait_xcnt 0x0
	s_delay_alu instid0(VALU_DEP_2)
	v_cmpx_ne_u16_e32 0, v1
	s_cbranch_execz .LBB196_49
; %bb.42:                               ;   in Loop: Header=BB196_9 Depth=1
	v_mov_b64_e32 v[80:81], 0x80000000
	v_and_b32_e32 v1, 0xff, v0
	s_mov_b32 s29, exec_lo
	s_delay_alu instid0(VALU_DEP_1)
	v_cmpx_ne_u16_e32 0x80, v1
	s_cbranch_execz .LBB196_48
; %bb.43:                               ;   in Loop: Header=BB196_9 Depth=1
	v_mov_b64_e32 v[80:81], 0x7f800001
	v_and_b32_e32 v2, 0x7f, v0
	s_mov_b32 s30, exec_lo
	s_delay_alu instid0(VALU_DEP_1)
	v_cmpx_ne_u32_e32 0x7f, v2
	s_cbranch_execz .LBB196_47
; %bb.44:                               ;   in Loop: Header=BB196_9 Depth=1
	v_dual_lshrrev_b32 v1, 3, v2 :: v_dual_bitop2_b32 v62, 7, v0 bitop3:0x40
	s_mov_b32 s31, exec_lo
	v_cmpx_gt_u32_e32 8, v2
; %bb.45:                               ;   in Loop: Header=BB196_9 Depth=1
	s_delay_alu instid0(VALU_DEP_2) | instskip(NEXT) | instid1(VALU_DEP_1)
	v_clz_i32_u32_e32 v1, v62
	v_min_u32_e32 v1, 32, v1
	s_delay_alu instid0(VALU_DEP_1) | instskip(NEXT) | instid1(VALU_DEP_1)
	v_subrev_nc_u32_e32 v2, 28, v1
	v_lshlrev_b64_e32 v[2:3], v2, v[62:63]
	s_delay_alu instid0(VALU_DEP_1)
	v_dual_sub_nc_u32 v1, 29, v1 :: v_dual_bitop2_b32 v62, 7, v2 bitop3:0x40
; %bb.46:                               ;   in Loop: Header=BB196_9 Depth=1
	s_or_b32 exec_lo, exec_lo, s31
	s_delay_alu instid0(VALU_DEP_1) | instskip(NEXT) | instid1(VALU_DEP_2)
	v_dual_lshlrev_b32 v2, 24, v0 :: v_dual_lshlrev_b32 v3, 20, v62
	v_lshl_add_u32 v1, v1, 23, 0x3c000000
	s_delay_alu instid0(VALU_DEP_2) | instskip(NEXT) | instid1(VALU_DEP_1)
	v_and_b32_e32 v2, 0x80000000, v2
	v_or3_b32 v62, v3, v2, v1
	s_delay_alu instid0(VALU_DEP_1)
	v_mov_b64_e32 v[80:81], v[62:63]
.LBB196_47:                             ;   in Loop: Header=BB196_9 Depth=1
	s_or_b32 exec_lo, exec_lo, s30
.LBB196_48:                             ;   in Loop: Header=BB196_9 Depth=1
	s_delay_alu instid0(SALU_CYCLE_1)
	s_or_b32 exec_lo, exec_lo, s29
.LBB196_49:                             ;   in Loop: Header=BB196_9 Depth=1
	s_delay_alu instid0(SALU_CYCLE_1) | instskip(SKIP_2) | instid1(VALU_DEP_1)
	s_or_b32 exec_lo, exec_lo, s28
	v_lshrrev_b16 v1, 8, v0
	s_mov_b32 s28, exec_lo
	v_cmpx_ne_u16_e32 0, v1
	s_cbranch_execz .LBB196_57
; %bb.50:                               ;   in Loop: Header=BB196_9 Depth=1
	v_mov_b64_e32 v[78:79], 0x8000000000000000
	s_mov_b32 s29, exec_lo
	v_cmpx_ne_u16_e32 0x80, v1
	s_cbranch_execz .LBB196_56
; %bb.51:                               ;   in Loop: Header=BB196_9 Depth=1
	v_and_b32_e32 v1, 0xffff, v1
	v_mov_b64_e32 v[78:79], 0x7f80000100000000
	s_mov_b32 s30, exec_lo
	s_delay_alu instid0(VALU_DEP_2) | instskip(NEXT) | instid1(VALU_DEP_1)
	v_and_b32_e32 v2, 0x7f, v1
	v_cmpx_ne_u32_e32 0x7f, v2
	s_cbranch_execz .LBB196_55
; %bb.52:                               ;   in Loop: Header=BB196_9 Depth=1
	v_dual_lshrrev_b32 v1, 3, v2 :: v_dual_bitop2_b32 v62, 7, v1 bitop3:0x40
	s_mov_b32 s31, exec_lo
	v_cmpx_gt_u32_e32 8, v2
; %bb.53:                               ;   in Loop: Header=BB196_9 Depth=1
	s_delay_alu instid0(VALU_DEP_2) | instskip(NEXT) | instid1(VALU_DEP_1)
	v_clz_i32_u32_e32 v1, v62
	v_min_u32_e32 v1, 32, v1
	s_delay_alu instid0(VALU_DEP_1) | instskip(NEXT) | instid1(VALU_DEP_1)
	v_subrev_nc_u32_e32 v2, 28, v1
	v_lshlrev_b64_e32 v[2:3], v2, v[62:63]
	s_delay_alu instid0(VALU_DEP_1)
	v_dual_sub_nc_u32 v1, 29, v1 :: v_dual_bitop2_b32 v62, 7, v2 bitop3:0x40
; %bb.54:                               ;   in Loop: Header=BB196_9 Depth=1
	s_or_b32 exec_lo, exec_lo, s31
	s_delay_alu instid0(VALU_DEP_1) | instskip(NEXT) | instid1(VALU_DEP_2)
	v_dual_lshlrev_b32 v0, 16, v0 :: v_dual_lshlrev_b32 v2, 20, v62
	v_lshl_add_u32 v1, v1, 23, 0x3c000000
	v_mov_b32_e32 v78, v63
	s_delay_alu instid0(VALU_DEP_3) | instskip(NEXT) | instid1(VALU_DEP_1)
	v_and_b32_e32 v0, 0x80000000, v0
	v_or3_b32 v79, v2, v0, v1
.LBB196_55:                             ;   in Loop: Header=BB196_9 Depth=1
	s_or_b32 exec_lo, exec_lo, s30
.LBB196_56:                             ;   in Loop: Header=BB196_9 Depth=1
	s_delay_alu instid0(SALU_CYCLE_1)
	s_or_b32 exec_lo, exec_lo, s29
.LBB196_57:                             ;   in Loop: Header=BB196_9 Depth=1
	s_delay_alu instid0(SALU_CYCLE_1)
	s_or_b32 exec_lo, exec_lo, s28
	global_load_u16 v0, v[76:77], off offset:12
	v_mov_b64_e32 v[82:83], 0
	v_mov_b64_e32 v[84:85], 0
	s_mov_b32 s28, exec_lo
	s_wait_loadcnt 0x0
	v_and_b32_e32 v1, 0xff, v0
	v_and_b32_e32 v0, 0xffff, v0
	s_wait_xcnt 0x0
	s_delay_alu instid0(VALU_DEP_2)
	v_cmpx_ne_u16_e32 0, v1
	s_cbranch_execz .LBB196_65
; %bb.58:                               ;   in Loop: Header=BB196_9 Depth=1
	v_mov_b64_e32 v[84:85], 0x80000000
	v_and_b32_e32 v1, 0xff, v0
	s_mov_b32 s29, exec_lo
	s_delay_alu instid0(VALU_DEP_1)
	v_cmpx_ne_u16_e32 0x80, v1
	s_cbranch_execz .LBB196_64
; %bb.59:                               ;   in Loop: Header=BB196_9 Depth=1
	v_mov_b64_e32 v[84:85], 0x7f800001
	v_and_b32_e32 v2, 0x7f, v0
	s_mov_b32 s30, exec_lo
	s_delay_alu instid0(VALU_DEP_1)
	v_cmpx_ne_u32_e32 0x7f, v2
	s_cbranch_execz .LBB196_63
; %bb.60:                               ;   in Loop: Header=BB196_9 Depth=1
	v_dual_lshrrev_b32 v1, 3, v2 :: v_dual_bitop2_b32 v62, 7, v0 bitop3:0x40
	s_mov_b32 s31, exec_lo
	v_cmpx_gt_u32_e32 8, v2
; %bb.61:                               ;   in Loop: Header=BB196_9 Depth=1
	s_delay_alu instid0(VALU_DEP_2) | instskip(NEXT) | instid1(VALU_DEP_1)
	v_clz_i32_u32_e32 v1, v62
	v_min_u32_e32 v1, 32, v1
	s_delay_alu instid0(VALU_DEP_1) | instskip(NEXT) | instid1(VALU_DEP_1)
	v_subrev_nc_u32_e32 v2, 28, v1
	v_lshlrev_b64_e32 v[2:3], v2, v[62:63]
	s_delay_alu instid0(VALU_DEP_1)
	v_dual_sub_nc_u32 v1, 29, v1 :: v_dual_bitop2_b32 v62, 7, v2 bitop3:0x40
; %bb.62:                               ;   in Loop: Header=BB196_9 Depth=1
	s_or_b32 exec_lo, exec_lo, s31
	s_delay_alu instid0(VALU_DEP_1) | instskip(NEXT) | instid1(VALU_DEP_2)
	v_dual_lshlrev_b32 v2, 24, v0 :: v_dual_lshlrev_b32 v3, 20, v62
	v_lshl_add_u32 v1, v1, 23, 0x3c000000
	s_delay_alu instid0(VALU_DEP_2) | instskip(NEXT) | instid1(VALU_DEP_1)
	v_and_b32_e32 v2, 0x80000000, v2
	v_or3_b32 v62, v3, v2, v1
	s_delay_alu instid0(VALU_DEP_1)
	v_mov_b64_e32 v[84:85], v[62:63]
.LBB196_63:                             ;   in Loop: Header=BB196_9 Depth=1
	s_or_b32 exec_lo, exec_lo, s30
.LBB196_64:                             ;   in Loop: Header=BB196_9 Depth=1
	s_delay_alu instid0(SALU_CYCLE_1)
	s_or_b32 exec_lo, exec_lo, s29
.LBB196_65:                             ;   in Loop: Header=BB196_9 Depth=1
	s_delay_alu instid0(SALU_CYCLE_1) | instskip(SKIP_2) | instid1(VALU_DEP_1)
	s_or_b32 exec_lo, exec_lo, s28
	v_lshrrev_b16 v1, 8, v0
	s_mov_b32 s28, exec_lo
	v_cmpx_ne_u16_e32 0, v1
	s_cbranch_execz .LBB196_73
; %bb.66:                               ;   in Loop: Header=BB196_9 Depth=1
	v_mov_b64_e32 v[82:83], 0x8000000000000000
	s_mov_b32 s29, exec_lo
	v_cmpx_ne_u16_e32 0x80, v1
	s_cbranch_execz .LBB196_72
; %bb.67:                               ;   in Loop: Header=BB196_9 Depth=1
	v_and_b32_e32 v1, 0xffff, v1
	v_mov_b64_e32 v[82:83], 0x7f80000100000000
	s_mov_b32 s30, exec_lo
	s_delay_alu instid0(VALU_DEP_2) | instskip(NEXT) | instid1(VALU_DEP_1)
	v_and_b32_e32 v2, 0x7f, v1
	v_cmpx_ne_u32_e32 0x7f, v2
	s_cbranch_execz .LBB196_71
; %bb.68:                               ;   in Loop: Header=BB196_9 Depth=1
	v_dual_lshrrev_b32 v1, 3, v2 :: v_dual_bitop2_b32 v62, 7, v1 bitop3:0x40
	s_mov_b32 s31, exec_lo
	v_cmpx_gt_u32_e32 8, v2
; %bb.69:                               ;   in Loop: Header=BB196_9 Depth=1
	s_delay_alu instid0(VALU_DEP_2) | instskip(NEXT) | instid1(VALU_DEP_1)
	v_clz_i32_u32_e32 v1, v62
	v_min_u32_e32 v1, 32, v1
	s_delay_alu instid0(VALU_DEP_1) | instskip(NEXT) | instid1(VALU_DEP_1)
	v_subrev_nc_u32_e32 v2, 28, v1
	v_lshlrev_b64_e32 v[2:3], v2, v[62:63]
	s_delay_alu instid0(VALU_DEP_1)
	v_dual_sub_nc_u32 v1, 29, v1 :: v_dual_bitop2_b32 v62, 7, v2 bitop3:0x40
; %bb.70:                               ;   in Loop: Header=BB196_9 Depth=1
	s_or_b32 exec_lo, exec_lo, s31
	s_delay_alu instid0(VALU_DEP_1) | instskip(NEXT) | instid1(VALU_DEP_2)
	v_dual_lshlrev_b32 v0, 16, v0 :: v_dual_lshlrev_b32 v2, 20, v62
	v_lshl_add_u32 v1, v1, 23, 0x3c000000
	v_mov_b32_e32 v82, v63
	s_delay_alu instid0(VALU_DEP_3) | instskip(NEXT) | instid1(VALU_DEP_1)
	v_and_b32_e32 v0, 0x80000000, v0
	v_or3_b32 v83, v2, v0, v1
.LBB196_71:                             ;   in Loop: Header=BB196_9 Depth=1
	s_or_b32 exec_lo, exec_lo, s30
.LBB196_72:                             ;   in Loop: Header=BB196_9 Depth=1
	s_delay_alu instid0(SALU_CYCLE_1)
	s_or_b32 exec_lo, exec_lo, s29
.LBB196_73:                             ;   in Loop: Header=BB196_9 Depth=1
	s_delay_alu instid0(SALU_CYCLE_1)
	s_or_b32 exec_lo, exec_lo, s28
	global_load_u16 v0, v[76:77], off offset:256
	v_mov_b64_e32 v[86:87], 0
	v_mov_b64_e32 v[88:89], 0
	s_mov_b32 s28, exec_lo
	s_wait_loadcnt 0x0
	v_and_b32_e32 v1, 0xff, v0
	v_and_b32_e32 v0, 0xffff, v0
	s_wait_xcnt 0x0
	s_delay_alu instid0(VALU_DEP_2)
	v_cmpx_ne_u16_e32 0, v1
	s_cbranch_execz .LBB196_81
; %bb.74:                               ;   in Loop: Header=BB196_9 Depth=1
	v_mov_b64_e32 v[88:89], 0x80000000
	v_and_b32_e32 v1, 0xff, v0
	s_mov_b32 s29, exec_lo
	s_delay_alu instid0(VALU_DEP_1)
	v_cmpx_ne_u16_e32 0x80, v1
	s_cbranch_execz .LBB196_80
; %bb.75:                               ;   in Loop: Header=BB196_9 Depth=1
	v_mov_b64_e32 v[88:89], 0x7f800001
	v_and_b32_e32 v2, 0x7f, v0
	s_mov_b32 s30, exec_lo
	s_delay_alu instid0(VALU_DEP_1)
	v_cmpx_ne_u32_e32 0x7f, v2
	s_cbranch_execz .LBB196_79
; %bb.76:                               ;   in Loop: Header=BB196_9 Depth=1
	v_dual_lshrrev_b32 v1, 3, v2 :: v_dual_bitop2_b32 v62, 7, v0 bitop3:0x40
	s_mov_b32 s31, exec_lo
	v_cmpx_gt_u32_e32 8, v2
; %bb.77:                               ;   in Loop: Header=BB196_9 Depth=1
	s_delay_alu instid0(VALU_DEP_2) | instskip(NEXT) | instid1(VALU_DEP_1)
	v_clz_i32_u32_e32 v1, v62
	v_min_u32_e32 v1, 32, v1
	s_delay_alu instid0(VALU_DEP_1) | instskip(NEXT) | instid1(VALU_DEP_1)
	v_subrev_nc_u32_e32 v2, 28, v1
	v_lshlrev_b64_e32 v[2:3], v2, v[62:63]
	s_delay_alu instid0(VALU_DEP_1)
	v_dual_sub_nc_u32 v1, 29, v1 :: v_dual_bitop2_b32 v62, 7, v2 bitop3:0x40
; %bb.78:                               ;   in Loop: Header=BB196_9 Depth=1
	s_or_b32 exec_lo, exec_lo, s31
	s_delay_alu instid0(VALU_DEP_1) | instskip(NEXT) | instid1(VALU_DEP_2)
	v_dual_lshlrev_b32 v2, 24, v0 :: v_dual_lshlrev_b32 v3, 20, v62
	v_lshl_add_u32 v1, v1, 23, 0x3c000000
	s_delay_alu instid0(VALU_DEP_2) | instskip(NEXT) | instid1(VALU_DEP_1)
	v_and_b32_e32 v2, 0x80000000, v2
	v_or3_b32 v62, v3, v2, v1
	s_delay_alu instid0(VALU_DEP_1)
	v_mov_b64_e32 v[88:89], v[62:63]
.LBB196_79:                             ;   in Loop: Header=BB196_9 Depth=1
	s_or_b32 exec_lo, exec_lo, s30
.LBB196_80:                             ;   in Loop: Header=BB196_9 Depth=1
	s_delay_alu instid0(SALU_CYCLE_1)
	s_or_b32 exec_lo, exec_lo, s29
.LBB196_81:                             ;   in Loop: Header=BB196_9 Depth=1
	s_delay_alu instid0(SALU_CYCLE_1) | instskip(SKIP_2) | instid1(VALU_DEP_1)
	s_or_b32 exec_lo, exec_lo, s28
	v_lshrrev_b16 v1, 8, v0
	s_mov_b32 s28, exec_lo
	v_cmpx_ne_u16_e32 0, v1
	s_cbranch_execz .LBB196_89
; %bb.82:                               ;   in Loop: Header=BB196_9 Depth=1
	v_mov_b64_e32 v[86:87], 0x8000000000000000
	s_mov_b32 s29, exec_lo
	v_cmpx_ne_u16_e32 0x80, v1
	s_cbranch_execz .LBB196_88
; %bb.83:                               ;   in Loop: Header=BB196_9 Depth=1
	v_and_b32_e32 v1, 0xffff, v1
	v_mov_b64_e32 v[86:87], 0x7f80000100000000
	s_mov_b32 s30, exec_lo
	s_delay_alu instid0(VALU_DEP_2) | instskip(NEXT) | instid1(VALU_DEP_1)
	v_and_b32_e32 v2, 0x7f, v1
	v_cmpx_ne_u32_e32 0x7f, v2
	s_cbranch_execz .LBB196_87
; %bb.84:                               ;   in Loop: Header=BB196_9 Depth=1
	v_dual_lshrrev_b32 v1, 3, v2 :: v_dual_bitop2_b32 v62, 7, v1 bitop3:0x40
	s_mov_b32 s31, exec_lo
	v_cmpx_gt_u32_e32 8, v2
; %bb.85:                               ;   in Loop: Header=BB196_9 Depth=1
	s_delay_alu instid0(VALU_DEP_2) | instskip(NEXT) | instid1(VALU_DEP_1)
	v_clz_i32_u32_e32 v1, v62
	v_min_u32_e32 v1, 32, v1
	s_delay_alu instid0(VALU_DEP_1) | instskip(NEXT) | instid1(VALU_DEP_1)
	v_subrev_nc_u32_e32 v2, 28, v1
	v_lshlrev_b64_e32 v[2:3], v2, v[62:63]
	s_delay_alu instid0(VALU_DEP_1)
	v_dual_sub_nc_u32 v1, 29, v1 :: v_dual_bitop2_b32 v62, 7, v2 bitop3:0x40
; %bb.86:                               ;   in Loop: Header=BB196_9 Depth=1
	s_or_b32 exec_lo, exec_lo, s31
	s_delay_alu instid0(VALU_DEP_1) | instskip(NEXT) | instid1(VALU_DEP_2)
	v_dual_lshlrev_b32 v0, 16, v0 :: v_dual_lshlrev_b32 v2, 20, v62
	v_lshl_add_u32 v1, v1, 23, 0x3c000000
	v_mov_b32_e32 v86, v63
	s_delay_alu instid0(VALU_DEP_3) | instskip(NEXT) | instid1(VALU_DEP_1)
	v_and_b32_e32 v0, 0x80000000, v0
	v_or3_b32 v87, v2, v0, v1
.LBB196_87:                             ;   in Loop: Header=BB196_9 Depth=1
	s_or_b32 exec_lo, exec_lo, s30
.LBB196_88:                             ;   in Loop: Header=BB196_9 Depth=1
	s_delay_alu instid0(SALU_CYCLE_1)
	s_or_b32 exec_lo, exec_lo, s29
.LBB196_89:                             ;   in Loop: Header=BB196_9 Depth=1
	s_delay_alu instid0(SALU_CYCLE_1)
	s_or_b32 exec_lo, exec_lo, s28
	global_load_u16 v0, v[76:77], off offset:260
	v_mov_b64_e32 v[90:91], 0
	v_mov_b64_e32 v[92:93], 0
	s_mov_b32 s28, exec_lo
	s_wait_loadcnt 0x0
	v_and_b32_e32 v1, 0xff, v0
	v_and_b32_e32 v0, 0xffff, v0
	s_wait_xcnt 0x0
	s_delay_alu instid0(VALU_DEP_2)
	v_cmpx_ne_u16_e32 0, v1
	s_cbranch_execz .LBB196_97
; %bb.90:                               ;   in Loop: Header=BB196_9 Depth=1
	v_mov_b64_e32 v[92:93], 0x80000000
	v_and_b32_e32 v1, 0xff, v0
	s_mov_b32 s29, exec_lo
	s_delay_alu instid0(VALU_DEP_1)
	v_cmpx_ne_u16_e32 0x80, v1
	s_cbranch_execz .LBB196_96
; %bb.91:                               ;   in Loop: Header=BB196_9 Depth=1
	v_mov_b64_e32 v[92:93], 0x7f800001
	v_and_b32_e32 v2, 0x7f, v0
	s_mov_b32 s30, exec_lo
	s_delay_alu instid0(VALU_DEP_1)
	v_cmpx_ne_u32_e32 0x7f, v2
	s_cbranch_execz .LBB196_95
; %bb.92:                               ;   in Loop: Header=BB196_9 Depth=1
	v_dual_lshrrev_b32 v1, 3, v2 :: v_dual_bitop2_b32 v62, 7, v0 bitop3:0x40
	s_mov_b32 s31, exec_lo
	v_cmpx_gt_u32_e32 8, v2
; %bb.93:                               ;   in Loop: Header=BB196_9 Depth=1
	s_delay_alu instid0(VALU_DEP_2) | instskip(NEXT) | instid1(VALU_DEP_1)
	v_clz_i32_u32_e32 v1, v62
	v_min_u32_e32 v1, 32, v1
	s_delay_alu instid0(VALU_DEP_1) | instskip(NEXT) | instid1(VALU_DEP_1)
	v_subrev_nc_u32_e32 v2, 28, v1
	v_lshlrev_b64_e32 v[2:3], v2, v[62:63]
	s_delay_alu instid0(VALU_DEP_1)
	v_dual_sub_nc_u32 v1, 29, v1 :: v_dual_bitop2_b32 v62, 7, v2 bitop3:0x40
; %bb.94:                               ;   in Loop: Header=BB196_9 Depth=1
	s_or_b32 exec_lo, exec_lo, s31
	s_delay_alu instid0(VALU_DEP_1) | instskip(NEXT) | instid1(VALU_DEP_2)
	v_dual_lshlrev_b32 v2, 24, v0 :: v_dual_lshlrev_b32 v3, 20, v62
	v_lshl_add_u32 v1, v1, 23, 0x3c000000
	s_delay_alu instid0(VALU_DEP_2) | instskip(NEXT) | instid1(VALU_DEP_1)
	v_and_b32_e32 v2, 0x80000000, v2
	v_or3_b32 v62, v3, v2, v1
	s_delay_alu instid0(VALU_DEP_1)
	v_mov_b64_e32 v[92:93], v[62:63]
.LBB196_95:                             ;   in Loop: Header=BB196_9 Depth=1
	s_or_b32 exec_lo, exec_lo, s30
.LBB196_96:                             ;   in Loop: Header=BB196_9 Depth=1
	s_delay_alu instid0(SALU_CYCLE_1)
	s_or_b32 exec_lo, exec_lo, s29
.LBB196_97:                             ;   in Loop: Header=BB196_9 Depth=1
	s_delay_alu instid0(SALU_CYCLE_1) | instskip(SKIP_2) | instid1(VALU_DEP_1)
	s_or_b32 exec_lo, exec_lo, s28
	v_lshrrev_b16 v1, 8, v0
	s_mov_b32 s28, exec_lo
	v_cmpx_ne_u16_e32 0, v1
	s_cbranch_execz .LBB196_105
; %bb.98:                               ;   in Loop: Header=BB196_9 Depth=1
	v_mov_b64_e32 v[90:91], 0x8000000000000000
	s_mov_b32 s29, exec_lo
	v_cmpx_ne_u16_e32 0x80, v1
	s_cbranch_execz .LBB196_104
; %bb.99:                               ;   in Loop: Header=BB196_9 Depth=1
	v_and_b32_e32 v1, 0xffff, v1
	v_mov_b64_e32 v[90:91], 0x7f80000100000000
	s_mov_b32 s30, exec_lo
	s_delay_alu instid0(VALU_DEP_2) | instskip(NEXT) | instid1(VALU_DEP_1)
	v_and_b32_e32 v2, 0x7f, v1
	v_cmpx_ne_u32_e32 0x7f, v2
	s_cbranch_execz .LBB196_103
; %bb.100:                              ;   in Loop: Header=BB196_9 Depth=1
	v_dual_lshrrev_b32 v1, 3, v2 :: v_dual_bitop2_b32 v62, 7, v1 bitop3:0x40
	s_mov_b32 s31, exec_lo
	v_cmpx_gt_u32_e32 8, v2
; %bb.101:                              ;   in Loop: Header=BB196_9 Depth=1
	s_delay_alu instid0(VALU_DEP_2) | instskip(NEXT) | instid1(VALU_DEP_1)
	v_clz_i32_u32_e32 v1, v62
	v_min_u32_e32 v1, 32, v1
	s_delay_alu instid0(VALU_DEP_1) | instskip(NEXT) | instid1(VALU_DEP_1)
	v_subrev_nc_u32_e32 v2, 28, v1
	v_lshlrev_b64_e32 v[2:3], v2, v[62:63]
	s_delay_alu instid0(VALU_DEP_1)
	v_dual_sub_nc_u32 v1, 29, v1 :: v_dual_bitop2_b32 v62, 7, v2 bitop3:0x40
; %bb.102:                              ;   in Loop: Header=BB196_9 Depth=1
	s_or_b32 exec_lo, exec_lo, s31
	s_delay_alu instid0(VALU_DEP_1) | instskip(NEXT) | instid1(VALU_DEP_2)
	v_dual_lshlrev_b32 v0, 16, v0 :: v_dual_lshlrev_b32 v2, 20, v62
	v_lshl_add_u32 v1, v1, 23, 0x3c000000
	v_mov_b32_e32 v90, v63
	s_delay_alu instid0(VALU_DEP_3) | instskip(NEXT) | instid1(VALU_DEP_1)
	v_and_b32_e32 v0, 0x80000000, v0
	v_or3_b32 v91, v2, v0, v1
.LBB196_103:                            ;   in Loop: Header=BB196_9 Depth=1
	s_or_b32 exec_lo, exec_lo, s30
.LBB196_104:                            ;   in Loop: Header=BB196_9 Depth=1
	s_delay_alu instid0(SALU_CYCLE_1)
	s_or_b32 exec_lo, exec_lo, s29
.LBB196_105:                            ;   in Loop: Header=BB196_9 Depth=1
	s_delay_alu instid0(SALU_CYCLE_1)
	s_or_b32 exec_lo, exec_lo, s28
	global_load_u16 v0, v[76:77], off offset:264
	v_mov_b64_e32 v[94:95], 0
	v_mov_b64_e32 v[96:97], 0
	s_mov_b32 s28, exec_lo
	s_wait_loadcnt 0x0
	v_and_b32_e32 v1, 0xff, v0
	v_and_b32_e32 v0, 0xffff, v0
	s_wait_xcnt 0x0
	s_delay_alu instid0(VALU_DEP_2)
	v_cmpx_ne_u16_e32 0, v1
	s_cbranch_execz .LBB196_113
; %bb.106:                              ;   in Loop: Header=BB196_9 Depth=1
	v_mov_b64_e32 v[96:97], 0x80000000
	v_and_b32_e32 v1, 0xff, v0
	s_mov_b32 s29, exec_lo
	s_delay_alu instid0(VALU_DEP_1)
	v_cmpx_ne_u16_e32 0x80, v1
	s_cbranch_execz .LBB196_112
; %bb.107:                              ;   in Loop: Header=BB196_9 Depth=1
	v_mov_b64_e32 v[96:97], 0x7f800001
	v_and_b32_e32 v2, 0x7f, v0
	s_mov_b32 s30, exec_lo
	s_delay_alu instid0(VALU_DEP_1)
	v_cmpx_ne_u32_e32 0x7f, v2
	s_cbranch_execz .LBB196_111
; %bb.108:                              ;   in Loop: Header=BB196_9 Depth=1
	v_dual_lshrrev_b32 v1, 3, v2 :: v_dual_bitop2_b32 v62, 7, v0 bitop3:0x40
	s_mov_b32 s31, exec_lo
	v_cmpx_gt_u32_e32 8, v2
; %bb.109:                              ;   in Loop: Header=BB196_9 Depth=1
	s_delay_alu instid0(VALU_DEP_2) | instskip(NEXT) | instid1(VALU_DEP_1)
	v_clz_i32_u32_e32 v1, v62
	v_min_u32_e32 v1, 32, v1
	s_delay_alu instid0(VALU_DEP_1) | instskip(NEXT) | instid1(VALU_DEP_1)
	v_subrev_nc_u32_e32 v2, 28, v1
	v_lshlrev_b64_e32 v[2:3], v2, v[62:63]
	s_delay_alu instid0(VALU_DEP_1)
	v_dual_sub_nc_u32 v1, 29, v1 :: v_dual_bitop2_b32 v62, 7, v2 bitop3:0x40
; %bb.110:                              ;   in Loop: Header=BB196_9 Depth=1
	s_or_b32 exec_lo, exec_lo, s31
	s_delay_alu instid0(VALU_DEP_1) | instskip(NEXT) | instid1(VALU_DEP_2)
	v_dual_lshlrev_b32 v2, 24, v0 :: v_dual_lshlrev_b32 v3, 20, v62
	v_lshl_add_u32 v1, v1, 23, 0x3c000000
	s_delay_alu instid0(VALU_DEP_2) | instskip(NEXT) | instid1(VALU_DEP_1)
	v_and_b32_e32 v2, 0x80000000, v2
	v_or3_b32 v62, v3, v2, v1
	s_delay_alu instid0(VALU_DEP_1)
	v_mov_b64_e32 v[96:97], v[62:63]
.LBB196_111:                            ;   in Loop: Header=BB196_9 Depth=1
	s_or_b32 exec_lo, exec_lo, s30
.LBB196_112:                            ;   in Loop: Header=BB196_9 Depth=1
	s_delay_alu instid0(SALU_CYCLE_1)
	s_or_b32 exec_lo, exec_lo, s29
.LBB196_113:                            ;   in Loop: Header=BB196_9 Depth=1
	s_delay_alu instid0(SALU_CYCLE_1) | instskip(SKIP_2) | instid1(VALU_DEP_1)
	s_or_b32 exec_lo, exec_lo, s28
	v_lshrrev_b16 v1, 8, v0
	s_mov_b32 s28, exec_lo
	v_cmpx_ne_u16_e32 0, v1
	s_cbranch_execz .LBB196_121
; %bb.114:                              ;   in Loop: Header=BB196_9 Depth=1
	v_mov_b64_e32 v[94:95], 0x8000000000000000
	s_mov_b32 s29, exec_lo
	v_cmpx_ne_u16_e32 0x80, v1
	s_cbranch_execz .LBB196_120
; %bb.115:                              ;   in Loop: Header=BB196_9 Depth=1
	v_and_b32_e32 v1, 0xffff, v1
	v_mov_b64_e32 v[94:95], 0x7f80000100000000
	s_mov_b32 s30, exec_lo
	s_delay_alu instid0(VALU_DEP_2) | instskip(NEXT) | instid1(VALU_DEP_1)
	v_and_b32_e32 v2, 0x7f, v1
	v_cmpx_ne_u32_e32 0x7f, v2
	s_cbranch_execz .LBB196_119
; %bb.116:                              ;   in Loop: Header=BB196_9 Depth=1
	v_dual_lshrrev_b32 v1, 3, v2 :: v_dual_bitop2_b32 v62, 7, v1 bitop3:0x40
	s_mov_b32 s31, exec_lo
	v_cmpx_gt_u32_e32 8, v2
; %bb.117:                              ;   in Loop: Header=BB196_9 Depth=1
	s_delay_alu instid0(VALU_DEP_2) | instskip(NEXT) | instid1(VALU_DEP_1)
	v_clz_i32_u32_e32 v1, v62
	v_min_u32_e32 v1, 32, v1
	s_delay_alu instid0(VALU_DEP_1) | instskip(NEXT) | instid1(VALU_DEP_1)
	v_subrev_nc_u32_e32 v2, 28, v1
	v_lshlrev_b64_e32 v[2:3], v2, v[62:63]
	s_delay_alu instid0(VALU_DEP_1)
	v_dual_sub_nc_u32 v1, 29, v1 :: v_dual_bitop2_b32 v62, 7, v2 bitop3:0x40
; %bb.118:                              ;   in Loop: Header=BB196_9 Depth=1
	s_or_b32 exec_lo, exec_lo, s31
	s_delay_alu instid0(VALU_DEP_1) | instskip(NEXT) | instid1(VALU_DEP_2)
	v_dual_lshlrev_b32 v0, 16, v0 :: v_dual_lshlrev_b32 v2, 20, v62
	v_lshl_add_u32 v1, v1, 23, 0x3c000000
	v_mov_b32_e32 v94, v63
	s_delay_alu instid0(VALU_DEP_3) | instskip(NEXT) | instid1(VALU_DEP_1)
	v_and_b32_e32 v0, 0x80000000, v0
	v_or3_b32 v95, v2, v0, v1
.LBB196_119:                            ;   in Loop: Header=BB196_9 Depth=1
	s_or_b32 exec_lo, exec_lo, s30
.LBB196_120:                            ;   in Loop: Header=BB196_9 Depth=1
	s_delay_alu instid0(SALU_CYCLE_1)
	s_or_b32 exec_lo, exec_lo, s29
.LBB196_121:                            ;   in Loop: Header=BB196_9 Depth=1
	s_delay_alu instid0(SALU_CYCLE_1)
	s_or_b32 exec_lo, exec_lo, s28
	global_load_u16 v0, v[76:77], off offset:268
	v_mov_b64_e32 v[98:99], 0
	v_mov_b64_e32 v[100:101], 0
	s_mov_b32 s28, exec_lo
	s_wait_loadcnt 0x0
	v_and_b32_e32 v1, 0xff, v0
	v_and_b32_e32 v0, 0xffff, v0
	s_wait_xcnt 0x0
	s_delay_alu instid0(VALU_DEP_2)
	v_cmpx_ne_u16_e32 0, v1
	s_cbranch_execz .LBB196_129
; %bb.122:                              ;   in Loop: Header=BB196_9 Depth=1
	v_mov_b64_e32 v[100:101], 0x80000000
	v_and_b32_e32 v1, 0xff, v0
	s_mov_b32 s29, exec_lo
	s_delay_alu instid0(VALU_DEP_1)
	v_cmpx_ne_u16_e32 0x80, v1
	s_cbranch_execz .LBB196_128
; %bb.123:                              ;   in Loop: Header=BB196_9 Depth=1
	v_mov_b64_e32 v[100:101], 0x7f800001
	v_and_b32_e32 v2, 0x7f, v0
	s_mov_b32 s30, exec_lo
	s_delay_alu instid0(VALU_DEP_1)
	v_cmpx_ne_u32_e32 0x7f, v2
	s_cbranch_execz .LBB196_127
; %bb.124:                              ;   in Loop: Header=BB196_9 Depth=1
	v_dual_lshrrev_b32 v1, 3, v2 :: v_dual_bitop2_b32 v62, 7, v0 bitop3:0x40
	s_mov_b32 s31, exec_lo
	v_cmpx_gt_u32_e32 8, v2
; %bb.125:                              ;   in Loop: Header=BB196_9 Depth=1
	s_delay_alu instid0(VALU_DEP_2) | instskip(NEXT) | instid1(VALU_DEP_1)
	v_clz_i32_u32_e32 v1, v62
	v_min_u32_e32 v1, 32, v1
	s_delay_alu instid0(VALU_DEP_1) | instskip(NEXT) | instid1(VALU_DEP_1)
	v_subrev_nc_u32_e32 v2, 28, v1
	v_lshlrev_b64_e32 v[2:3], v2, v[62:63]
	s_delay_alu instid0(VALU_DEP_1)
	v_dual_sub_nc_u32 v1, 29, v1 :: v_dual_bitop2_b32 v62, 7, v2 bitop3:0x40
; %bb.126:                              ;   in Loop: Header=BB196_9 Depth=1
	s_or_b32 exec_lo, exec_lo, s31
	s_delay_alu instid0(VALU_DEP_1) | instskip(NEXT) | instid1(VALU_DEP_2)
	v_dual_lshlrev_b32 v2, 24, v0 :: v_dual_lshlrev_b32 v3, 20, v62
	v_lshl_add_u32 v1, v1, 23, 0x3c000000
	s_delay_alu instid0(VALU_DEP_2) | instskip(NEXT) | instid1(VALU_DEP_1)
	v_and_b32_e32 v2, 0x80000000, v2
	v_or3_b32 v62, v3, v2, v1
	s_delay_alu instid0(VALU_DEP_1)
	v_mov_b64_e32 v[100:101], v[62:63]
.LBB196_127:                            ;   in Loop: Header=BB196_9 Depth=1
	s_or_b32 exec_lo, exec_lo, s30
.LBB196_128:                            ;   in Loop: Header=BB196_9 Depth=1
	s_delay_alu instid0(SALU_CYCLE_1)
	s_or_b32 exec_lo, exec_lo, s29
.LBB196_129:                            ;   in Loop: Header=BB196_9 Depth=1
	s_delay_alu instid0(SALU_CYCLE_1) | instskip(SKIP_2) | instid1(VALU_DEP_1)
	s_or_b32 exec_lo, exec_lo, s28
	v_lshrrev_b16 v1, 8, v0
	s_mov_b32 s28, exec_lo
	v_cmpx_ne_u16_e32 0, v1
	s_cbranch_execz .LBB196_137
; %bb.130:                              ;   in Loop: Header=BB196_9 Depth=1
	v_mov_b64_e32 v[98:99], 0x8000000000000000
	s_mov_b32 s29, exec_lo
	v_cmpx_ne_u16_e32 0x80, v1
	s_cbranch_execz .LBB196_136
; %bb.131:                              ;   in Loop: Header=BB196_9 Depth=1
	v_and_b32_e32 v1, 0xffff, v1
	v_mov_b64_e32 v[98:99], 0x7f80000100000000
	s_mov_b32 s30, exec_lo
	s_delay_alu instid0(VALU_DEP_2) | instskip(NEXT) | instid1(VALU_DEP_1)
	v_and_b32_e32 v2, 0x7f, v1
	v_cmpx_ne_u32_e32 0x7f, v2
	s_cbranch_execz .LBB196_135
; %bb.132:                              ;   in Loop: Header=BB196_9 Depth=1
	v_dual_lshrrev_b32 v1, 3, v2 :: v_dual_bitop2_b32 v62, 7, v1 bitop3:0x40
	s_mov_b32 s31, exec_lo
	v_cmpx_gt_u32_e32 8, v2
; %bb.133:                              ;   in Loop: Header=BB196_9 Depth=1
	s_delay_alu instid0(VALU_DEP_2) | instskip(NEXT) | instid1(VALU_DEP_1)
	v_clz_i32_u32_e32 v1, v62
	v_min_u32_e32 v1, 32, v1
	s_delay_alu instid0(VALU_DEP_1) | instskip(NEXT) | instid1(VALU_DEP_1)
	v_subrev_nc_u32_e32 v2, 28, v1
	v_lshlrev_b64_e32 v[2:3], v2, v[62:63]
	s_delay_alu instid0(VALU_DEP_1)
	v_dual_sub_nc_u32 v1, 29, v1 :: v_dual_bitop2_b32 v62, 7, v2 bitop3:0x40
; %bb.134:                              ;   in Loop: Header=BB196_9 Depth=1
	s_or_b32 exec_lo, exec_lo, s31
	s_delay_alu instid0(VALU_DEP_1) | instskip(NEXT) | instid1(VALU_DEP_2)
	v_dual_lshlrev_b32 v0, 16, v0 :: v_dual_lshlrev_b32 v2, 20, v62
	v_lshl_add_u32 v1, v1, 23, 0x3c000000
	v_mov_b32_e32 v98, v63
	s_delay_alu instid0(VALU_DEP_3) | instskip(NEXT) | instid1(VALU_DEP_1)
	v_and_b32_e32 v0, 0x80000000, v0
	v_or3_b32 v99, v2, v0, v1
.LBB196_135:                            ;   in Loop: Header=BB196_9 Depth=1
	s_or_b32 exec_lo, exec_lo, s30
.LBB196_136:                            ;   in Loop: Header=BB196_9 Depth=1
	s_delay_alu instid0(SALU_CYCLE_1)
	s_or_b32 exec_lo, exec_lo, s29
.LBB196_137:                            ;   in Loop: Header=BB196_9 Depth=1
	s_delay_alu instid0(SALU_CYCLE_1)
	s_or_b32 exec_lo, exec_lo, s28
	global_load_u16 v0, v[76:77], off offset:512
	v_mov_b64_e32 v[102:103], 0
	v_mov_b64_e32 v[104:105], 0
	s_mov_b32 s28, exec_lo
	s_wait_loadcnt 0x0
	v_and_b32_e32 v1, 0xff, v0
	v_and_b32_e32 v0, 0xffff, v0
	s_wait_xcnt 0x0
	s_delay_alu instid0(VALU_DEP_2)
	v_cmpx_ne_u16_e32 0, v1
	s_cbranch_execz .LBB196_145
; %bb.138:                              ;   in Loop: Header=BB196_9 Depth=1
	v_mov_b64_e32 v[104:105], 0x80000000
	v_and_b32_e32 v1, 0xff, v0
	s_mov_b32 s29, exec_lo
	s_delay_alu instid0(VALU_DEP_1)
	v_cmpx_ne_u16_e32 0x80, v1
	s_cbranch_execz .LBB196_144
; %bb.139:                              ;   in Loop: Header=BB196_9 Depth=1
	v_mov_b64_e32 v[104:105], 0x7f800001
	v_and_b32_e32 v2, 0x7f, v0
	s_mov_b32 s30, exec_lo
	s_delay_alu instid0(VALU_DEP_1)
	v_cmpx_ne_u32_e32 0x7f, v2
	s_cbranch_execz .LBB196_143
; %bb.140:                              ;   in Loop: Header=BB196_9 Depth=1
	v_dual_lshrrev_b32 v1, 3, v2 :: v_dual_bitop2_b32 v62, 7, v0 bitop3:0x40
	s_mov_b32 s31, exec_lo
	v_cmpx_gt_u32_e32 8, v2
; %bb.141:                              ;   in Loop: Header=BB196_9 Depth=1
	s_delay_alu instid0(VALU_DEP_2) | instskip(NEXT) | instid1(VALU_DEP_1)
	v_clz_i32_u32_e32 v1, v62
	v_min_u32_e32 v1, 32, v1
	s_delay_alu instid0(VALU_DEP_1) | instskip(NEXT) | instid1(VALU_DEP_1)
	v_subrev_nc_u32_e32 v2, 28, v1
	v_lshlrev_b64_e32 v[2:3], v2, v[62:63]
	s_delay_alu instid0(VALU_DEP_1)
	v_dual_sub_nc_u32 v1, 29, v1 :: v_dual_bitop2_b32 v62, 7, v2 bitop3:0x40
; %bb.142:                              ;   in Loop: Header=BB196_9 Depth=1
	s_or_b32 exec_lo, exec_lo, s31
	s_delay_alu instid0(VALU_DEP_1) | instskip(NEXT) | instid1(VALU_DEP_2)
	v_dual_lshlrev_b32 v2, 24, v0 :: v_dual_lshlrev_b32 v3, 20, v62
	v_lshl_add_u32 v1, v1, 23, 0x3c000000
	s_delay_alu instid0(VALU_DEP_2) | instskip(NEXT) | instid1(VALU_DEP_1)
	v_and_b32_e32 v2, 0x80000000, v2
	v_or3_b32 v62, v3, v2, v1
	s_delay_alu instid0(VALU_DEP_1)
	v_mov_b64_e32 v[104:105], v[62:63]
.LBB196_143:                            ;   in Loop: Header=BB196_9 Depth=1
	s_or_b32 exec_lo, exec_lo, s30
.LBB196_144:                            ;   in Loop: Header=BB196_9 Depth=1
	s_delay_alu instid0(SALU_CYCLE_1)
	s_or_b32 exec_lo, exec_lo, s29
.LBB196_145:                            ;   in Loop: Header=BB196_9 Depth=1
	s_delay_alu instid0(SALU_CYCLE_1) | instskip(SKIP_2) | instid1(VALU_DEP_1)
	s_or_b32 exec_lo, exec_lo, s28
	v_lshrrev_b16 v1, 8, v0
	s_mov_b32 s28, exec_lo
	v_cmpx_ne_u16_e32 0, v1
	s_cbranch_execz .LBB196_153
; %bb.146:                              ;   in Loop: Header=BB196_9 Depth=1
	v_mov_b64_e32 v[102:103], 0x8000000000000000
	s_mov_b32 s29, exec_lo
	v_cmpx_ne_u16_e32 0x80, v1
	s_cbranch_execz .LBB196_152
; %bb.147:                              ;   in Loop: Header=BB196_9 Depth=1
	v_and_b32_e32 v1, 0xffff, v1
	v_mov_b64_e32 v[102:103], 0x7f80000100000000
	s_mov_b32 s30, exec_lo
	s_delay_alu instid0(VALU_DEP_2) | instskip(NEXT) | instid1(VALU_DEP_1)
	v_and_b32_e32 v2, 0x7f, v1
	v_cmpx_ne_u32_e32 0x7f, v2
	s_cbranch_execz .LBB196_151
; %bb.148:                              ;   in Loop: Header=BB196_9 Depth=1
	v_dual_lshrrev_b32 v1, 3, v2 :: v_dual_bitop2_b32 v62, 7, v1 bitop3:0x40
	s_mov_b32 s31, exec_lo
	v_cmpx_gt_u32_e32 8, v2
; %bb.149:                              ;   in Loop: Header=BB196_9 Depth=1
	s_delay_alu instid0(VALU_DEP_2) | instskip(NEXT) | instid1(VALU_DEP_1)
	v_clz_i32_u32_e32 v1, v62
	v_min_u32_e32 v1, 32, v1
	s_delay_alu instid0(VALU_DEP_1) | instskip(NEXT) | instid1(VALU_DEP_1)
	v_subrev_nc_u32_e32 v2, 28, v1
	v_lshlrev_b64_e32 v[2:3], v2, v[62:63]
	s_delay_alu instid0(VALU_DEP_1)
	v_dual_sub_nc_u32 v1, 29, v1 :: v_dual_bitop2_b32 v62, 7, v2 bitop3:0x40
; %bb.150:                              ;   in Loop: Header=BB196_9 Depth=1
	s_or_b32 exec_lo, exec_lo, s31
	s_delay_alu instid0(VALU_DEP_1) | instskip(NEXT) | instid1(VALU_DEP_2)
	v_dual_lshlrev_b32 v0, 16, v0 :: v_dual_lshlrev_b32 v2, 20, v62
	v_lshl_add_u32 v1, v1, 23, 0x3c000000
	v_mov_b32_e32 v102, v63
	s_delay_alu instid0(VALU_DEP_3) | instskip(NEXT) | instid1(VALU_DEP_1)
	v_and_b32_e32 v0, 0x80000000, v0
	v_or3_b32 v103, v2, v0, v1
.LBB196_151:                            ;   in Loop: Header=BB196_9 Depth=1
	s_or_b32 exec_lo, exec_lo, s30
.LBB196_152:                            ;   in Loop: Header=BB196_9 Depth=1
	s_delay_alu instid0(SALU_CYCLE_1)
	s_or_b32 exec_lo, exec_lo, s29
.LBB196_153:                            ;   in Loop: Header=BB196_9 Depth=1
	s_delay_alu instid0(SALU_CYCLE_1)
	s_or_b32 exec_lo, exec_lo, s28
	global_load_u16 v0, v[76:77], off offset:516
	v_mov_b64_e32 v[106:107], 0
	v_mov_b64_e32 v[108:109], 0
	s_mov_b32 s28, exec_lo
	s_wait_loadcnt 0x0
	v_and_b32_e32 v1, 0xff, v0
	v_and_b32_e32 v0, 0xffff, v0
	s_wait_xcnt 0x0
	s_delay_alu instid0(VALU_DEP_2)
	v_cmpx_ne_u16_e32 0, v1
	s_cbranch_execz .LBB196_161
; %bb.154:                              ;   in Loop: Header=BB196_9 Depth=1
	v_mov_b64_e32 v[108:109], 0x80000000
	v_and_b32_e32 v1, 0xff, v0
	s_mov_b32 s29, exec_lo
	s_delay_alu instid0(VALU_DEP_1)
	v_cmpx_ne_u16_e32 0x80, v1
	s_cbranch_execz .LBB196_160
; %bb.155:                              ;   in Loop: Header=BB196_9 Depth=1
	v_mov_b64_e32 v[108:109], 0x7f800001
	v_and_b32_e32 v2, 0x7f, v0
	s_mov_b32 s30, exec_lo
	s_delay_alu instid0(VALU_DEP_1)
	v_cmpx_ne_u32_e32 0x7f, v2
	s_cbranch_execz .LBB196_159
; %bb.156:                              ;   in Loop: Header=BB196_9 Depth=1
	v_dual_lshrrev_b32 v1, 3, v2 :: v_dual_bitop2_b32 v62, 7, v0 bitop3:0x40
	s_mov_b32 s31, exec_lo
	v_cmpx_gt_u32_e32 8, v2
; %bb.157:                              ;   in Loop: Header=BB196_9 Depth=1
	s_delay_alu instid0(VALU_DEP_2) | instskip(NEXT) | instid1(VALU_DEP_1)
	v_clz_i32_u32_e32 v1, v62
	v_min_u32_e32 v1, 32, v1
	s_delay_alu instid0(VALU_DEP_1) | instskip(NEXT) | instid1(VALU_DEP_1)
	v_subrev_nc_u32_e32 v2, 28, v1
	v_lshlrev_b64_e32 v[2:3], v2, v[62:63]
	s_delay_alu instid0(VALU_DEP_1)
	v_dual_sub_nc_u32 v1, 29, v1 :: v_dual_bitop2_b32 v62, 7, v2 bitop3:0x40
; %bb.158:                              ;   in Loop: Header=BB196_9 Depth=1
	s_or_b32 exec_lo, exec_lo, s31
	s_delay_alu instid0(VALU_DEP_1) | instskip(NEXT) | instid1(VALU_DEP_2)
	v_dual_lshlrev_b32 v2, 24, v0 :: v_dual_lshlrev_b32 v3, 20, v62
	v_lshl_add_u32 v1, v1, 23, 0x3c000000
	s_delay_alu instid0(VALU_DEP_2) | instskip(NEXT) | instid1(VALU_DEP_1)
	v_and_b32_e32 v2, 0x80000000, v2
	v_or3_b32 v62, v3, v2, v1
	s_delay_alu instid0(VALU_DEP_1)
	v_mov_b64_e32 v[108:109], v[62:63]
.LBB196_159:                            ;   in Loop: Header=BB196_9 Depth=1
	s_or_b32 exec_lo, exec_lo, s30
.LBB196_160:                            ;   in Loop: Header=BB196_9 Depth=1
	s_delay_alu instid0(SALU_CYCLE_1)
	s_or_b32 exec_lo, exec_lo, s29
.LBB196_161:                            ;   in Loop: Header=BB196_9 Depth=1
	s_delay_alu instid0(SALU_CYCLE_1) | instskip(SKIP_2) | instid1(VALU_DEP_1)
	s_or_b32 exec_lo, exec_lo, s28
	v_lshrrev_b16 v1, 8, v0
	s_mov_b32 s28, exec_lo
	v_cmpx_ne_u16_e32 0, v1
	s_cbranch_execz .LBB196_169
; %bb.162:                              ;   in Loop: Header=BB196_9 Depth=1
	v_mov_b64_e32 v[106:107], 0x8000000000000000
	s_mov_b32 s29, exec_lo
	v_cmpx_ne_u16_e32 0x80, v1
	s_cbranch_execz .LBB196_168
; %bb.163:                              ;   in Loop: Header=BB196_9 Depth=1
	v_and_b32_e32 v1, 0xffff, v1
	v_mov_b64_e32 v[106:107], 0x7f80000100000000
	s_mov_b32 s30, exec_lo
	s_delay_alu instid0(VALU_DEP_2) | instskip(NEXT) | instid1(VALU_DEP_1)
	v_and_b32_e32 v2, 0x7f, v1
	v_cmpx_ne_u32_e32 0x7f, v2
	s_cbranch_execz .LBB196_167
; %bb.164:                              ;   in Loop: Header=BB196_9 Depth=1
	v_dual_lshrrev_b32 v1, 3, v2 :: v_dual_bitop2_b32 v62, 7, v1 bitop3:0x40
	s_mov_b32 s31, exec_lo
	v_cmpx_gt_u32_e32 8, v2
; %bb.165:                              ;   in Loop: Header=BB196_9 Depth=1
	s_delay_alu instid0(VALU_DEP_2) | instskip(NEXT) | instid1(VALU_DEP_1)
	v_clz_i32_u32_e32 v1, v62
	v_min_u32_e32 v1, 32, v1
	s_delay_alu instid0(VALU_DEP_1) | instskip(NEXT) | instid1(VALU_DEP_1)
	v_subrev_nc_u32_e32 v2, 28, v1
	v_lshlrev_b64_e32 v[2:3], v2, v[62:63]
	s_delay_alu instid0(VALU_DEP_1)
	v_dual_sub_nc_u32 v1, 29, v1 :: v_dual_bitop2_b32 v62, 7, v2 bitop3:0x40
; %bb.166:                              ;   in Loop: Header=BB196_9 Depth=1
	s_or_b32 exec_lo, exec_lo, s31
	s_delay_alu instid0(VALU_DEP_1) | instskip(NEXT) | instid1(VALU_DEP_2)
	v_dual_lshlrev_b32 v0, 16, v0 :: v_dual_lshlrev_b32 v2, 20, v62
	v_lshl_add_u32 v1, v1, 23, 0x3c000000
	v_mov_b32_e32 v106, v63
	s_delay_alu instid0(VALU_DEP_3) | instskip(NEXT) | instid1(VALU_DEP_1)
	v_and_b32_e32 v0, 0x80000000, v0
	v_or3_b32 v107, v2, v0, v1
.LBB196_167:                            ;   in Loop: Header=BB196_9 Depth=1
	s_or_b32 exec_lo, exec_lo, s30
.LBB196_168:                            ;   in Loop: Header=BB196_9 Depth=1
	s_delay_alu instid0(SALU_CYCLE_1)
	s_or_b32 exec_lo, exec_lo, s29
.LBB196_169:                            ;   in Loop: Header=BB196_9 Depth=1
	s_delay_alu instid0(SALU_CYCLE_1)
	s_or_b32 exec_lo, exec_lo, s28
	global_load_u16 v0, v[76:77], off offset:520
	v_mov_b64_e32 v[110:111], 0
	v_mov_b64_e32 v[112:113], 0
	s_mov_b32 s28, exec_lo
	s_wait_loadcnt 0x0
	v_and_b32_e32 v1, 0xff, v0
	v_and_b32_e32 v0, 0xffff, v0
	s_wait_xcnt 0x0
	s_delay_alu instid0(VALU_DEP_2)
	v_cmpx_ne_u16_e32 0, v1
	s_cbranch_execz .LBB196_177
; %bb.170:                              ;   in Loop: Header=BB196_9 Depth=1
	v_mov_b64_e32 v[112:113], 0x80000000
	v_and_b32_e32 v1, 0xff, v0
	s_mov_b32 s29, exec_lo
	s_delay_alu instid0(VALU_DEP_1)
	v_cmpx_ne_u16_e32 0x80, v1
	s_cbranch_execz .LBB196_176
; %bb.171:                              ;   in Loop: Header=BB196_9 Depth=1
	v_mov_b64_e32 v[112:113], 0x7f800001
	v_and_b32_e32 v2, 0x7f, v0
	s_mov_b32 s30, exec_lo
	s_delay_alu instid0(VALU_DEP_1)
	v_cmpx_ne_u32_e32 0x7f, v2
	s_cbranch_execz .LBB196_175
; %bb.172:                              ;   in Loop: Header=BB196_9 Depth=1
	v_dual_lshrrev_b32 v1, 3, v2 :: v_dual_bitop2_b32 v62, 7, v0 bitop3:0x40
	s_mov_b32 s31, exec_lo
	v_cmpx_gt_u32_e32 8, v2
; %bb.173:                              ;   in Loop: Header=BB196_9 Depth=1
	s_delay_alu instid0(VALU_DEP_2) | instskip(NEXT) | instid1(VALU_DEP_1)
	v_clz_i32_u32_e32 v1, v62
	v_min_u32_e32 v1, 32, v1
	s_delay_alu instid0(VALU_DEP_1) | instskip(NEXT) | instid1(VALU_DEP_1)
	v_subrev_nc_u32_e32 v2, 28, v1
	v_lshlrev_b64_e32 v[2:3], v2, v[62:63]
	s_delay_alu instid0(VALU_DEP_1)
	v_dual_sub_nc_u32 v1, 29, v1 :: v_dual_bitop2_b32 v62, 7, v2 bitop3:0x40
; %bb.174:                              ;   in Loop: Header=BB196_9 Depth=1
	s_or_b32 exec_lo, exec_lo, s31
	s_delay_alu instid0(VALU_DEP_1) | instskip(NEXT) | instid1(VALU_DEP_2)
	v_dual_lshlrev_b32 v2, 24, v0 :: v_dual_lshlrev_b32 v3, 20, v62
	v_lshl_add_u32 v1, v1, 23, 0x3c000000
	s_delay_alu instid0(VALU_DEP_2) | instskip(NEXT) | instid1(VALU_DEP_1)
	v_and_b32_e32 v2, 0x80000000, v2
	v_or3_b32 v62, v3, v2, v1
	s_delay_alu instid0(VALU_DEP_1)
	v_mov_b64_e32 v[112:113], v[62:63]
.LBB196_175:                            ;   in Loop: Header=BB196_9 Depth=1
	s_or_b32 exec_lo, exec_lo, s30
.LBB196_176:                            ;   in Loop: Header=BB196_9 Depth=1
	s_delay_alu instid0(SALU_CYCLE_1)
	s_or_b32 exec_lo, exec_lo, s29
.LBB196_177:                            ;   in Loop: Header=BB196_9 Depth=1
	s_delay_alu instid0(SALU_CYCLE_1) | instskip(SKIP_2) | instid1(VALU_DEP_1)
	s_or_b32 exec_lo, exec_lo, s28
	v_lshrrev_b16 v1, 8, v0
	s_mov_b32 s28, exec_lo
	v_cmpx_ne_u16_e32 0, v1
	s_cbranch_execz .LBB196_185
; %bb.178:                              ;   in Loop: Header=BB196_9 Depth=1
	v_mov_b64_e32 v[110:111], 0x8000000000000000
	s_mov_b32 s29, exec_lo
	v_cmpx_ne_u16_e32 0x80, v1
	s_cbranch_execz .LBB196_184
; %bb.179:                              ;   in Loop: Header=BB196_9 Depth=1
	v_and_b32_e32 v1, 0xffff, v1
	v_mov_b64_e32 v[110:111], 0x7f80000100000000
	s_mov_b32 s30, exec_lo
	s_delay_alu instid0(VALU_DEP_2) | instskip(NEXT) | instid1(VALU_DEP_1)
	v_and_b32_e32 v2, 0x7f, v1
	v_cmpx_ne_u32_e32 0x7f, v2
	s_cbranch_execz .LBB196_183
; %bb.180:                              ;   in Loop: Header=BB196_9 Depth=1
	v_dual_lshrrev_b32 v1, 3, v2 :: v_dual_bitop2_b32 v62, 7, v1 bitop3:0x40
	s_mov_b32 s31, exec_lo
	v_cmpx_gt_u32_e32 8, v2
; %bb.181:                              ;   in Loop: Header=BB196_9 Depth=1
	s_delay_alu instid0(VALU_DEP_2) | instskip(NEXT) | instid1(VALU_DEP_1)
	v_clz_i32_u32_e32 v1, v62
	v_min_u32_e32 v1, 32, v1
	s_delay_alu instid0(VALU_DEP_1) | instskip(NEXT) | instid1(VALU_DEP_1)
	v_subrev_nc_u32_e32 v2, 28, v1
	v_lshlrev_b64_e32 v[2:3], v2, v[62:63]
	s_delay_alu instid0(VALU_DEP_1)
	v_dual_sub_nc_u32 v1, 29, v1 :: v_dual_bitop2_b32 v62, 7, v2 bitop3:0x40
; %bb.182:                              ;   in Loop: Header=BB196_9 Depth=1
	s_or_b32 exec_lo, exec_lo, s31
	s_delay_alu instid0(VALU_DEP_1) | instskip(NEXT) | instid1(VALU_DEP_2)
	v_dual_lshlrev_b32 v0, 16, v0 :: v_dual_lshlrev_b32 v2, 20, v62
	v_lshl_add_u32 v1, v1, 23, 0x3c000000
	v_mov_b32_e32 v110, v63
	s_delay_alu instid0(VALU_DEP_3) | instskip(NEXT) | instid1(VALU_DEP_1)
	v_and_b32_e32 v0, 0x80000000, v0
	v_or3_b32 v111, v2, v0, v1
.LBB196_183:                            ;   in Loop: Header=BB196_9 Depth=1
	s_or_b32 exec_lo, exec_lo, s30
.LBB196_184:                            ;   in Loop: Header=BB196_9 Depth=1
	s_delay_alu instid0(SALU_CYCLE_1)
	s_or_b32 exec_lo, exec_lo, s29
.LBB196_185:                            ;   in Loop: Header=BB196_9 Depth=1
	s_delay_alu instid0(SALU_CYCLE_1)
	s_or_b32 exec_lo, exec_lo, s28
	global_load_u16 v1, v[76:77], off offset:524
	v_mov_b64_e32 v[114:115], 0
	v_mov_b64_e32 v[116:117], 0
	s_mov_b32 s28, exec_lo
	s_wait_loadcnt 0x0
	v_and_b32_e32 v0, 0xffff, v1
	v_and_b32_e32 v1, 0xff, v1
	s_wait_xcnt 0x0
	s_delay_alu instid0(VALU_DEP_1)
	v_cmpx_ne_u16_e32 0, v1
	s_cbranch_execz .LBB196_193
; %bb.186:                              ;   in Loop: Header=BB196_9 Depth=1
	v_mov_b64_e32 v[116:117], 0x80000000
	v_and_b32_e32 v1, 0xff, v0
	s_mov_b32 s29, exec_lo
	s_delay_alu instid0(VALU_DEP_1)
	v_cmpx_ne_u16_e32 0x80, v1
	s_cbranch_execz .LBB196_192
; %bb.187:                              ;   in Loop: Header=BB196_9 Depth=1
	v_mov_b64_e32 v[116:117], 0x7f800001
	v_and_b32_e32 v2, 0x7f, v0
	s_mov_b32 s30, exec_lo
	s_delay_alu instid0(VALU_DEP_1)
	v_cmpx_ne_u32_e32 0x7f, v2
	s_cbranch_execz .LBB196_191
; %bb.188:                              ;   in Loop: Header=BB196_9 Depth=1
	v_dual_lshrrev_b32 v1, 3, v2 :: v_dual_bitop2_b32 v62, 7, v0 bitop3:0x40
	s_mov_b32 s31, exec_lo
	v_cmpx_gt_u32_e32 8, v2
; %bb.189:                              ;   in Loop: Header=BB196_9 Depth=1
	s_delay_alu instid0(VALU_DEP_2) | instskip(NEXT) | instid1(VALU_DEP_1)
	v_clz_i32_u32_e32 v1, v62
	v_min_u32_e32 v1, 32, v1
	s_delay_alu instid0(VALU_DEP_1) | instskip(NEXT) | instid1(VALU_DEP_1)
	v_subrev_nc_u32_e32 v2, 28, v1
	v_lshlrev_b64_e32 v[2:3], v2, v[62:63]
	s_delay_alu instid0(VALU_DEP_1)
	v_dual_sub_nc_u32 v1, 29, v1 :: v_dual_bitop2_b32 v62, 7, v2 bitop3:0x40
; %bb.190:                              ;   in Loop: Header=BB196_9 Depth=1
	s_or_b32 exec_lo, exec_lo, s31
	s_delay_alu instid0(VALU_DEP_1) | instskip(NEXT) | instid1(VALU_DEP_2)
	v_dual_lshlrev_b32 v2, 24, v0 :: v_dual_lshlrev_b32 v3, 20, v62
	v_lshl_add_u32 v1, v1, 23, 0x3c000000
	s_delay_alu instid0(VALU_DEP_2) | instskip(NEXT) | instid1(VALU_DEP_1)
	v_and_b32_e32 v2, 0x80000000, v2
	v_or3_b32 v62, v3, v2, v1
	s_delay_alu instid0(VALU_DEP_1)
	v_mov_b64_e32 v[116:117], v[62:63]
.LBB196_191:                            ;   in Loop: Header=BB196_9 Depth=1
	s_or_b32 exec_lo, exec_lo, s30
.LBB196_192:                            ;   in Loop: Header=BB196_9 Depth=1
	s_delay_alu instid0(SALU_CYCLE_1)
	s_or_b32 exec_lo, exec_lo, s29
.LBB196_193:                            ;   in Loop: Header=BB196_9 Depth=1
	s_delay_alu instid0(SALU_CYCLE_1) | instskip(SKIP_2) | instid1(VALU_DEP_1)
	s_or_b32 exec_lo, exec_lo, s28
	v_lshrrev_b16 v1, 8, v0
	s_mov_b32 s28, exec_lo
	v_cmpx_ne_u16_e32 0, v1
	s_cbranch_execz .LBB196_201
; %bb.194:                              ;   in Loop: Header=BB196_9 Depth=1
	v_mov_b64_e32 v[114:115], 0x8000000000000000
	s_mov_b32 s29, exec_lo
	v_cmpx_ne_u16_e32 0x80, v1
	s_cbranch_execz .LBB196_200
; %bb.195:                              ;   in Loop: Header=BB196_9 Depth=1
	v_and_b32_e32 v1, 0xffff, v1
	v_mov_b64_e32 v[114:115], 0x7f80000100000000
	s_mov_b32 s30, exec_lo
	s_delay_alu instid0(VALU_DEP_2) | instskip(NEXT) | instid1(VALU_DEP_1)
	v_and_b32_e32 v2, 0x7f, v1
	v_cmpx_ne_u32_e32 0x7f, v2
	s_cbranch_execz .LBB196_199
; %bb.196:                              ;   in Loop: Header=BB196_9 Depth=1
	v_dual_lshrrev_b32 v1, 3, v2 :: v_dual_bitop2_b32 v62, 7, v1 bitop3:0x40
	s_mov_b32 s31, exec_lo
	v_cmpx_gt_u32_e32 8, v2
; %bb.197:                              ;   in Loop: Header=BB196_9 Depth=1
	s_delay_alu instid0(VALU_DEP_2) | instskip(NEXT) | instid1(VALU_DEP_1)
	v_clz_i32_u32_e32 v1, v62
	v_min_u32_e32 v1, 32, v1
	s_delay_alu instid0(VALU_DEP_1) | instskip(NEXT) | instid1(VALU_DEP_1)
	v_subrev_nc_u32_e32 v2, 28, v1
	v_lshlrev_b64_e32 v[2:3], v2, v[62:63]
	s_delay_alu instid0(VALU_DEP_1)
	v_dual_sub_nc_u32 v1, 29, v1 :: v_dual_bitop2_b32 v62, 7, v2 bitop3:0x40
; %bb.198:                              ;   in Loop: Header=BB196_9 Depth=1
	s_or_b32 exec_lo, exec_lo, s31
	s_delay_alu instid0(VALU_DEP_1) | instskip(NEXT) | instid1(VALU_DEP_2)
	v_dual_lshlrev_b32 v0, 16, v0 :: v_dual_lshlrev_b32 v2, 20, v62
	v_lshl_add_u32 v1, v1, 23, 0x3c000000
	v_mov_b32_e32 v114, v63
	s_delay_alu instid0(VALU_DEP_3) | instskip(NEXT) | instid1(VALU_DEP_1)
	v_and_b32_e32 v0, 0x80000000, v0
	v_or3_b32 v115, v2, v0, v1
.LBB196_199:                            ;   in Loop: Header=BB196_9 Depth=1
	s_or_b32 exec_lo, exec_lo, s30
.LBB196_200:                            ;   in Loop: Header=BB196_9 Depth=1
	s_delay_alu instid0(SALU_CYCLE_1)
	s_or_b32 exec_lo, exec_lo, s29
.LBB196_201:                            ;   in Loop: Header=BB196_9 Depth=1
	s_delay_alu instid0(SALU_CYCLE_1)
	s_or_b32 exec_lo, exec_lo, s28
	global_load_u16 v1, v[76:77], off offset:768
	v_mov_b64_e32 v[118:119], 0
	v_mov_b64_e32 v[120:121], 0
	s_mov_b32 s28, exec_lo
	s_wait_loadcnt 0x0
	v_and_b32_e32 v0, 0xffff, v1
	v_and_b32_e32 v1, 0xff, v1
	s_wait_xcnt 0x0
	s_delay_alu instid0(VALU_DEP_1)
	v_cmpx_ne_u16_e32 0, v1
	s_cbranch_execz .LBB196_209
; %bb.202:                              ;   in Loop: Header=BB196_9 Depth=1
	v_mov_b64_e32 v[120:121], 0x80000000
	v_and_b32_e32 v1, 0xff, v0
	s_mov_b32 s29, exec_lo
	s_delay_alu instid0(VALU_DEP_1)
	v_cmpx_ne_u16_e32 0x80, v1
	s_cbranch_execz .LBB196_208
; %bb.203:                              ;   in Loop: Header=BB196_9 Depth=1
	v_mov_b64_e32 v[120:121], 0x7f800001
	v_and_b32_e32 v2, 0x7f, v0
	s_mov_b32 s30, exec_lo
	s_delay_alu instid0(VALU_DEP_1)
	v_cmpx_ne_u32_e32 0x7f, v2
	s_cbranch_execz .LBB196_207
; %bb.204:                              ;   in Loop: Header=BB196_9 Depth=1
	v_dual_lshrrev_b32 v1, 3, v2 :: v_dual_bitop2_b32 v62, 7, v0 bitop3:0x40
	s_mov_b32 s31, exec_lo
	v_cmpx_gt_u32_e32 8, v2
; %bb.205:                              ;   in Loop: Header=BB196_9 Depth=1
	s_delay_alu instid0(VALU_DEP_2) | instskip(NEXT) | instid1(VALU_DEP_1)
	v_clz_i32_u32_e32 v1, v62
	v_min_u32_e32 v1, 32, v1
	s_delay_alu instid0(VALU_DEP_1) | instskip(NEXT) | instid1(VALU_DEP_1)
	v_subrev_nc_u32_e32 v2, 28, v1
	v_lshlrev_b64_e32 v[2:3], v2, v[62:63]
	s_delay_alu instid0(VALU_DEP_1)
	v_dual_sub_nc_u32 v1, 29, v1 :: v_dual_bitop2_b32 v62, 7, v2 bitop3:0x40
; %bb.206:                              ;   in Loop: Header=BB196_9 Depth=1
	s_or_b32 exec_lo, exec_lo, s31
	s_delay_alu instid0(VALU_DEP_1) | instskip(NEXT) | instid1(VALU_DEP_2)
	v_dual_lshlrev_b32 v2, 24, v0 :: v_dual_lshlrev_b32 v3, 20, v62
	v_lshl_add_u32 v1, v1, 23, 0x3c000000
	s_delay_alu instid0(VALU_DEP_2) | instskip(NEXT) | instid1(VALU_DEP_1)
	v_and_b32_e32 v2, 0x80000000, v2
	v_or3_b32 v62, v3, v2, v1
	s_delay_alu instid0(VALU_DEP_1)
	v_mov_b64_e32 v[120:121], v[62:63]
.LBB196_207:                            ;   in Loop: Header=BB196_9 Depth=1
	s_or_b32 exec_lo, exec_lo, s30
.LBB196_208:                            ;   in Loop: Header=BB196_9 Depth=1
	s_delay_alu instid0(SALU_CYCLE_1)
	s_or_b32 exec_lo, exec_lo, s29
.LBB196_209:                            ;   in Loop: Header=BB196_9 Depth=1
	s_delay_alu instid0(SALU_CYCLE_1) | instskip(SKIP_2) | instid1(VALU_DEP_1)
	s_or_b32 exec_lo, exec_lo, s28
	v_lshrrev_b16 v1, 8, v0
	s_mov_b32 s28, exec_lo
	v_cmpx_ne_u16_e32 0, v1
	s_cbranch_execz .LBB196_217
; %bb.210:                              ;   in Loop: Header=BB196_9 Depth=1
	v_mov_b64_e32 v[118:119], 0x8000000000000000
	s_mov_b32 s29, exec_lo
	v_cmpx_ne_u16_e32 0x80, v1
	s_cbranch_execz .LBB196_216
; %bb.211:                              ;   in Loop: Header=BB196_9 Depth=1
	v_and_b32_e32 v1, 0xffff, v1
	v_mov_b64_e32 v[118:119], 0x7f80000100000000
	s_mov_b32 s30, exec_lo
	s_delay_alu instid0(VALU_DEP_2) | instskip(NEXT) | instid1(VALU_DEP_1)
	v_and_b32_e32 v2, 0x7f, v1
	v_cmpx_ne_u32_e32 0x7f, v2
	s_cbranch_execz .LBB196_215
; %bb.212:                              ;   in Loop: Header=BB196_9 Depth=1
	v_dual_lshrrev_b32 v1, 3, v2 :: v_dual_bitop2_b32 v62, 7, v1 bitop3:0x40
	s_mov_b32 s31, exec_lo
	v_cmpx_gt_u32_e32 8, v2
; %bb.213:                              ;   in Loop: Header=BB196_9 Depth=1
	s_delay_alu instid0(VALU_DEP_2) | instskip(NEXT) | instid1(VALU_DEP_1)
	v_clz_i32_u32_e32 v1, v62
	v_min_u32_e32 v1, 32, v1
	s_delay_alu instid0(VALU_DEP_1) | instskip(NEXT) | instid1(VALU_DEP_1)
	v_subrev_nc_u32_e32 v2, 28, v1
	v_lshlrev_b64_e32 v[2:3], v2, v[62:63]
	s_delay_alu instid0(VALU_DEP_1)
	v_dual_sub_nc_u32 v1, 29, v1 :: v_dual_bitop2_b32 v62, 7, v2 bitop3:0x40
; %bb.214:                              ;   in Loop: Header=BB196_9 Depth=1
	s_or_b32 exec_lo, exec_lo, s31
	s_delay_alu instid0(VALU_DEP_1) | instskip(NEXT) | instid1(VALU_DEP_2)
	v_dual_lshlrev_b32 v0, 16, v0 :: v_dual_lshlrev_b32 v2, 20, v62
	v_lshl_add_u32 v1, v1, 23, 0x3c000000
	v_mov_b32_e32 v118, v63
	s_delay_alu instid0(VALU_DEP_3) | instskip(NEXT) | instid1(VALU_DEP_1)
	v_and_b32_e32 v0, 0x80000000, v0
	v_or3_b32 v119, v2, v0, v1
.LBB196_215:                            ;   in Loop: Header=BB196_9 Depth=1
	s_or_b32 exec_lo, exec_lo, s30
.LBB196_216:                            ;   in Loop: Header=BB196_9 Depth=1
	s_delay_alu instid0(SALU_CYCLE_1)
	s_or_b32 exec_lo, exec_lo, s29
.LBB196_217:                            ;   in Loop: Header=BB196_9 Depth=1
	s_delay_alu instid0(SALU_CYCLE_1)
	s_or_b32 exec_lo, exec_lo, s28
	global_load_u16 v1, v[76:77], off offset:772
	v_mov_b64_e32 v[122:123], 0
	v_mov_b64_e32 v[124:125], 0
	s_mov_b32 s28, exec_lo
	s_wait_loadcnt 0x0
	v_and_b32_e32 v0, 0xffff, v1
	v_and_b32_e32 v1, 0xff, v1
	s_wait_xcnt 0x0
	s_delay_alu instid0(VALU_DEP_1)
	v_cmpx_ne_u16_e32 0, v1
	s_cbranch_execz .LBB196_225
; %bb.218:                              ;   in Loop: Header=BB196_9 Depth=1
	v_mov_b64_e32 v[124:125], 0x80000000
	v_and_b32_e32 v1, 0xff, v0
	s_mov_b32 s29, exec_lo
	s_delay_alu instid0(VALU_DEP_1)
	v_cmpx_ne_u16_e32 0x80, v1
	s_cbranch_execz .LBB196_224
; %bb.219:                              ;   in Loop: Header=BB196_9 Depth=1
	v_mov_b64_e32 v[124:125], 0x7f800001
	v_and_b32_e32 v2, 0x7f, v0
	s_mov_b32 s30, exec_lo
	s_delay_alu instid0(VALU_DEP_1)
	v_cmpx_ne_u32_e32 0x7f, v2
	s_cbranch_execz .LBB196_223
; %bb.220:                              ;   in Loop: Header=BB196_9 Depth=1
	v_dual_lshrrev_b32 v1, 3, v2 :: v_dual_bitop2_b32 v62, 7, v0 bitop3:0x40
	s_mov_b32 s31, exec_lo
	v_cmpx_gt_u32_e32 8, v2
; %bb.221:                              ;   in Loop: Header=BB196_9 Depth=1
	s_delay_alu instid0(VALU_DEP_2) | instskip(NEXT) | instid1(VALU_DEP_1)
	v_clz_i32_u32_e32 v1, v62
	v_min_u32_e32 v1, 32, v1
	s_delay_alu instid0(VALU_DEP_1) | instskip(NEXT) | instid1(VALU_DEP_1)
	v_subrev_nc_u32_e32 v2, 28, v1
	v_lshlrev_b64_e32 v[2:3], v2, v[62:63]
	s_delay_alu instid0(VALU_DEP_1)
	v_dual_sub_nc_u32 v1, 29, v1 :: v_dual_bitop2_b32 v62, 7, v2 bitop3:0x40
; %bb.222:                              ;   in Loop: Header=BB196_9 Depth=1
	s_or_b32 exec_lo, exec_lo, s31
	s_delay_alu instid0(VALU_DEP_1) | instskip(NEXT) | instid1(VALU_DEP_2)
	v_dual_lshlrev_b32 v2, 24, v0 :: v_dual_lshlrev_b32 v3, 20, v62
	v_lshl_add_u32 v1, v1, 23, 0x3c000000
	s_delay_alu instid0(VALU_DEP_2) | instskip(NEXT) | instid1(VALU_DEP_1)
	v_and_b32_e32 v2, 0x80000000, v2
	v_or3_b32 v62, v3, v2, v1
	s_delay_alu instid0(VALU_DEP_1)
	v_mov_b64_e32 v[124:125], v[62:63]
.LBB196_223:                            ;   in Loop: Header=BB196_9 Depth=1
	s_or_b32 exec_lo, exec_lo, s30
.LBB196_224:                            ;   in Loop: Header=BB196_9 Depth=1
	s_delay_alu instid0(SALU_CYCLE_1)
	s_or_b32 exec_lo, exec_lo, s29
.LBB196_225:                            ;   in Loop: Header=BB196_9 Depth=1
	s_delay_alu instid0(SALU_CYCLE_1) | instskip(SKIP_2) | instid1(VALU_DEP_1)
	s_or_b32 exec_lo, exec_lo, s28
	v_lshrrev_b16 v1, 8, v0
	s_mov_b32 s28, exec_lo
	v_cmpx_ne_u16_e32 0, v1
	s_cbranch_execz .LBB196_233
; %bb.226:                              ;   in Loop: Header=BB196_9 Depth=1
	v_mov_b64_e32 v[122:123], 0x8000000000000000
	s_mov_b32 s29, exec_lo
	v_cmpx_ne_u16_e32 0x80, v1
	s_cbranch_execz .LBB196_232
; %bb.227:                              ;   in Loop: Header=BB196_9 Depth=1
	v_and_b32_e32 v1, 0xffff, v1
	v_mov_b64_e32 v[122:123], 0x7f80000100000000
	s_mov_b32 s30, exec_lo
	s_delay_alu instid0(VALU_DEP_2) | instskip(NEXT) | instid1(VALU_DEP_1)
	v_and_b32_e32 v2, 0x7f, v1
	v_cmpx_ne_u32_e32 0x7f, v2
	s_cbranch_execz .LBB196_231
; %bb.228:                              ;   in Loop: Header=BB196_9 Depth=1
	v_dual_lshrrev_b32 v1, 3, v2 :: v_dual_bitop2_b32 v62, 7, v1 bitop3:0x40
	s_mov_b32 s31, exec_lo
	v_cmpx_gt_u32_e32 8, v2
; %bb.229:                              ;   in Loop: Header=BB196_9 Depth=1
	s_delay_alu instid0(VALU_DEP_2) | instskip(NEXT) | instid1(VALU_DEP_1)
	v_clz_i32_u32_e32 v1, v62
	v_min_u32_e32 v1, 32, v1
	s_delay_alu instid0(VALU_DEP_1) | instskip(NEXT) | instid1(VALU_DEP_1)
	v_subrev_nc_u32_e32 v2, 28, v1
	v_lshlrev_b64_e32 v[2:3], v2, v[62:63]
	s_delay_alu instid0(VALU_DEP_1)
	v_dual_sub_nc_u32 v1, 29, v1 :: v_dual_bitop2_b32 v62, 7, v2 bitop3:0x40
; %bb.230:                              ;   in Loop: Header=BB196_9 Depth=1
	s_or_b32 exec_lo, exec_lo, s31
	s_delay_alu instid0(VALU_DEP_1) | instskip(NEXT) | instid1(VALU_DEP_2)
	v_dual_lshlrev_b32 v0, 16, v0 :: v_dual_lshlrev_b32 v2, 20, v62
	v_lshl_add_u32 v1, v1, 23, 0x3c000000
	v_mov_b32_e32 v122, v63
	s_delay_alu instid0(VALU_DEP_3) | instskip(NEXT) | instid1(VALU_DEP_1)
	v_and_b32_e32 v0, 0x80000000, v0
	v_or3_b32 v123, v2, v0, v1
.LBB196_231:                            ;   in Loop: Header=BB196_9 Depth=1
	s_or_b32 exec_lo, exec_lo, s30
.LBB196_232:                            ;   in Loop: Header=BB196_9 Depth=1
	s_delay_alu instid0(SALU_CYCLE_1)
	s_or_b32 exec_lo, exec_lo, s29
.LBB196_233:                            ;   in Loop: Header=BB196_9 Depth=1
	s_delay_alu instid0(SALU_CYCLE_1)
	s_or_b32 exec_lo, exec_lo, s28
	global_load_u16 v1, v[76:77], off offset:776
	v_mov_b64_e32 v[126:127], 0
	v_mov_b64_e32 v[64:65], 0
	s_mov_b32 s28, exec_lo
	s_wait_loadcnt 0x0
	v_and_b32_e32 v0, 0xffff, v1
	v_and_b32_e32 v1, 0xff, v1
	s_wait_xcnt 0x0
	s_delay_alu instid0(VALU_DEP_1)
	v_cmpx_ne_u16_e32 0, v1
	s_cbranch_execz .LBB196_241
; %bb.234:                              ;   in Loop: Header=BB196_9 Depth=1
	v_mov_b64_e32 v[64:65], 0x80000000
	v_and_b32_e32 v1, 0xff, v0
	s_mov_b32 s29, exec_lo
	s_delay_alu instid0(VALU_DEP_1)
	v_cmpx_ne_u16_e32 0x80, v1
	s_cbranch_execz .LBB196_240
; %bb.235:                              ;   in Loop: Header=BB196_9 Depth=1
	v_mov_b64_e32 v[64:65], 0x7f800001
	v_and_b32_e32 v2, 0x7f, v0
	s_mov_b32 s30, exec_lo
	s_delay_alu instid0(VALU_DEP_1)
	v_cmpx_ne_u32_e32 0x7f, v2
	s_cbranch_execz .LBB196_239
; %bb.236:                              ;   in Loop: Header=BB196_9 Depth=1
	v_dual_lshrrev_b32 v1, 3, v2 :: v_dual_bitop2_b32 v62, 7, v0 bitop3:0x40
	s_mov_b32 s31, exec_lo
	v_cmpx_gt_u32_e32 8, v2
; %bb.237:                              ;   in Loop: Header=BB196_9 Depth=1
	s_delay_alu instid0(VALU_DEP_2) | instskip(NEXT) | instid1(VALU_DEP_1)
	v_clz_i32_u32_e32 v1, v62
	v_min_u32_e32 v1, 32, v1
	s_delay_alu instid0(VALU_DEP_1) | instskip(NEXT) | instid1(VALU_DEP_1)
	v_subrev_nc_u32_e32 v2, 28, v1
	v_lshlrev_b64_e32 v[2:3], v2, v[62:63]
	s_delay_alu instid0(VALU_DEP_1)
	v_dual_sub_nc_u32 v1, 29, v1 :: v_dual_bitop2_b32 v62, 7, v2 bitop3:0x40
; %bb.238:                              ;   in Loop: Header=BB196_9 Depth=1
	s_or_b32 exec_lo, exec_lo, s31
	s_delay_alu instid0(VALU_DEP_1) | instskip(NEXT) | instid1(VALU_DEP_2)
	v_dual_lshlrev_b32 v2, 24, v0 :: v_dual_lshlrev_b32 v3, 20, v62
	v_lshl_add_u32 v1, v1, 23, 0x3c000000
	s_delay_alu instid0(VALU_DEP_2) | instskip(NEXT) | instid1(VALU_DEP_1)
	v_and_b32_e32 v2, 0x80000000, v2
	v_or3_b32 v62, v3, v2, v1
	s_delay_alu instid0(VALU_DEP_1)
	v_mov_b64_e32 v[64:65], v[62:63]
.LBB196_239:                            ;   in Loop: Header=BB196_9 Depth=1
	s_or_b32 exec_lo, exec_lo, s30
.LBB196_240:                            ;   in Loop: Header=BB196_9 Depth=1
	s_delay_alu instid0(SALU_CYCLE_1)
	s_or_b32 exec_lo, exec_lo, s29
.LBB196_241:                            ;   in Loop: Header=BB196_9 Depth=1
	s_delay_alu instid0(SALU_CYCLE_1) | instskip(SKIP_2) | instid1(VALU_DEP_1)
	s_or_b32 exec_lo, exec_lo, s28
	v_lshrrev_b16 v1, 8, v0
	s_mov_b32 s28, exec_lo
	v_cmpx_ne_u16_e32 0, v1
	s_cbranch_execz .LBB196_249
; %bb.242:                              ;   in Loop: Header=BB196_9 Depth=1
	v_mov_b64_e32 v[126:127], 0x8000000000000000
	s_mov_b32 s29, exec_lo
	v_cmpx_ne_u16_e32 0x80, v1
	s_cbranch_execz .LBB196_248
; %bb.243:                              ;   in Loop: Header=BB196_9 Depth=1
	v_and_b32_e32 v1, 0xffff, v1
	v_mov_b64_e32 v[126:127], 0x7f80000100000000
	s_mov_b32 s30, exec_lo
	s_delay_alu instid0(VALU_DEP_2) | instskip(NEXT) | instid1(VALU_DEP_1)
	v_and_b32_e32 v2, 0x7f, v1
	v_cmpx_ne_u32_e32 0x7f, v2
	s_cbranch_execz .LBB196_247
; %bb.244:                              ;   in Loop: Header=BB196_9 Depth=1
	v_dual_lshrrev_b32 v1, 3, v2 :: v_dual_bitop2_b32 v62, 7, v1 bitop3:0x40
	s_mov_b32 s31, exec_lo
	v_cmpx_gt_u32_e32 8, v2
; %bb.245:                              ;   in Loop: Header=BB196_9 Depth=1
	s_delay_alu instid0(VALU_DEP_2) | instskip(NEXT) | instid1(VALU_DEP_1)
	v_clz_i32_u32_e32 v1, v62
	v_min_u32_e32 v1, 32, v1
	s_delay_alu instid0(VALU_DEP_1) | instskip(NEXT) | instid1(VALU_DEP_1)
	v_subrev_nc_u32_e32 v2, 28, v1
	v_lshlrev_b64_e32 v[2:3], v2, v[62:63]
	s_delay_alu instid0(VALU_DEP_1)
	v_dual_sub_nc_u32 v1, 29, v1 :: v_dual_bitop2_b32 v62, 7, v2 bitop3:0x40
; %bb.246:                              ;   in Loop: Header=BB196_9 Depth=1
	s_or_b32 exec_lo, exec_lo, s31
	s_delay_alu instid0(VALU_DEP_1) | instskip(NEXT) | instid1(VALU_DEP_2)
	v_dual_lshlrev_b32 v0, 16, v0 :: v_dual_lshlrev_b32 v2, 20, v62
	v_lshl_add_u32 v1, v1, 23, 0x3c000000
	v_mov_b32_e32 v126, v63
	s_delay_alu instid0(VALU_DEP_3) | instskip(NEXT) | instid1(VALU_DEP_1)
	v_and_b32_e32 v0, 0x80000000, v0
	v_or3_b32 v127, v2, v0, v1
.LBB196_247:                            ;   in Loop: Header=BB196_9 Depth=1
	s_or_b32 exec_lo, exec_lo, s30
.LBB196_248:                            ;   in Loop: Header=BB196_9 Depth=1
	s_delay_alu instid0(SALU_CYCLE_1)
	s_or_b32 exec_lo, exec_lo, s29
.LBB196_249:                            ;   in Loop: Header=BB196_9 Depth=1
	s_delay_alu instid0(SALU_CYCLE_1)
	s_or_b32 exec_lo, exec_lo, s28
	global_load_u16 v0, v[76:77], off offset:780
	v_mov_b64_e32 v[2:3], 0
	s_wait_loadcnt 0x0
	v_and_b32_e32 v4, 0xffff, v0
	v_and_b32_e32 v0, 0xff, v0
	s_delay_alu instid0(VALU_DEP_1)
	v_cmp_ne_u16_e64 s4, 0, v0
	v_mov_b64_e32 v[0:1], 0
	s_wait_xcnt 0x0
	s_and_saveexec_b32 s28, s4
	s_cbranch_execz .LBB196_257
; %bb.250:                              ;   in Loop: Header=BB196_9 Depth=1
	v_and_b32_e32 v2, 0xff, v4
	s_delay_alu instid0(VALU_DEP_1)
	v_cmp_ne_u16_e64 s4, 0x80, v2
	v_mov_b64_e32 v[2:3], 0x80000000
	s_and_saveexec_b32 s29, s4
	s_cbranch_execz .LBB196_256
; %bb.251:                              ;   in Loop: Header=BB196_9 Depth=1
	v_mov_b64_e32 v[2:3], 0x7f800001
	v_and_b32_e32 v5, 0x7f, v4
	s_mov_b32 s30, exec_lo
	s_delay_alu instid0(VALU_DEP_1)
	v_cmpx_ne_u32_e32 0x7f, v5
	s_cbranch_execz .LBB196_255
; %bb.252:                              ;   in Loop: Header=BB196_9 Depth=1
	v_dual_lshrrev_b32 v2, 3, v5 :: v_dual_bitop2_b32 v62, 7, v4 bitop3:0x40
	s_mov_b32 s31, exec_lo
	v_cmpx_gt_u32_e32 8, v5
; %bb.253:                              ;   in Loop: Header=BB196_9 Depth=1
	s_delay_alu instid0(VALU_DEP_2) | instskip(NEXT) | instid1(VALU_DEP_1)
	v_clz_i32_u32_e32 v2, v62
	v_min_u32_e32 v2, 32, v2
	s_delay_alu instid0(VALU_DEP_1) | instskip(SKIP_1) | instid1(VALU_DEP_2)
	v_subrev_nc_u32_e32 v3, 28, v2
	v_sub_nc_u32_e32 v2, 29, v2
	v_lshlrev_b64_e32 v[6:7], v3, v[62:63]
	s_delay_alu instid0(VALU_DEP_1)
	v_and_b32_e32 v62, 7, v6
; %bb.254:                              ;   in Loop: Header=BB196_9 Depth=1
	s_or_b32 exec_lo, exec_lo, s31
	s_delay_alu instid0(VALU_DEP_1) | instskip(SKIP_1) | instid1(VALU_DEP_2)
	v_dual_lshlrev_b32 v3, 24, v4 :: v_dual_lshlrev_b32 v5, 20, v62
	v_lshl_add_u32 v2, v2, 23, 0x3c000000
	v_and_b32_e32 v3, 0x80000000, v3
	s_delay_alu instid0(VALU_DEP_1) | instskip(NEXT) | instid1(VALU_DEP_1)
	v_or3_b32 v62, v5, v3, v2
	v_mov_b64_e32 v[2:3], v[62:63]
.LBB196_255:                            ;   in Loop: Header=BB196_9 Depth=1
	s_or_b32 exec_lo, exec_lo, s30
.LBB196_256:                            ;   in Loop: Header=BB196_9 Depth=1
	s_delay_alu instid0(SALU_CYCLE_1)
	s_or_b32 exec_lo, exec_lo, s29
.LBB196_257:                            ;   in Loop: Header=BB196_9 Depth=1
	s_delay_alu instid0(SALU_CYCLE_1) | instskip(SKIP_2) | instid1(VALU_DEP_1)
	s_or_b32 exec_lo, exec_lo, s28
	v_lshrrev_b16 v5, 8, v4
	s_mov_b32 s28, exec_lo
	v_cmpx_ne_u16_e32 0, v5
	s_cbranch_execz .LBB196_265
; %bb.258:                              ;   in Loop: Header=BB196_9 Depth=1
	v_mov_b64_e32 v[0:1], 0x8000000000000000
	s_mov_b32 s29, exec_lo
	v_cmpx_ne_u16_e32 0x80, v5
	s_cbranch_execz .LBB196_264
; %bb.259:                              ;   in Loop: Header=BB196_9 Depth=1
	v_and_b32_e32 v6, 0xffff, v5
	v_mov_b64_e32 v[0:1], 0x7f80000100000000
	s_mov_b32 s30, exec_lo
	s_delay_alu instid0(VALU_DEP_2) | instskip(NEXT) | instid1(VALU_DEP_1)
	v_and_b32_e32 v5, 0x7f, v6
	v_cmpx_ne_u32_e32 0x7f, v5
	s_cbranch_execz .LBB196_263
; %bb.260:                              ;   in Loop: Header=BB196_9 Depth=1
	v_dual_lshrrev_b32 v0, 3, v5 :: v_dual_bitop2_b32 v62, 7, v6 bitop3:0x40
	s_mov_b32 s31, exec_lo
	v_cmpx_gt_u32_e32 8, v5
; %bb.261:                              ;   in Loop: Header=BB196_9 Depth=1
	s_delay_alu instid0(VALU_DEP_2) | instskip(NEXT) | instid1(VALU_DEP_1)
	v_clz_i32_u32_e32 v0, v62
	v_min_u32_e32 v0, 32, v0
	s_delay_alu instid0(VALU_DEP_1) | instskip(NEXT) | instid1(VALU_DEP_1)
	v_subrev_nc_u32_e32 v1, 28, v0
	v_lshlrev_b64_e32 v[6:7], v1, v[62:63]
	s_delay_alu instid0(VALU_DEP_1)
	v_dual_sub_nc_u32 v0, 29, v0 :: v_dual_bitop2_b32 v62, 7, v6 bitop3:0x40
; %bb.262:                              ;   in Loop: Header=BB196_9 Depth=1
	s_or_b32 exec_lo, exec_lo, s31
	s_delay_alu instid0(VALU_DEP_1) | instskip(NEXT) | instid1(VALU_DEP_2)
	v_dual_lshlrev_b32 v1, 16, v4 :: v_dual_lshlrev_b32 v4, 20, v62
	v_lshl_add_u32 v0, v0, 23, 0x3c000000
	s_delay_alu instid0(VALU_DEP_2) | instskip(NEXT) | instid1(VALU_DEP_1)
	v_and_b32_e32 v1, 0x80000000, v1
	v_or3_b32 v1, v4, v1, v0
	v_mov_b32_e32 v0, v63
.LBB196_263:                            ;   in Loop: Header=BB196_9 Depth=1
	s_or_b32 exec_lo, exec_lo, s30
.LBB196_264:                            ;   in Loop: Header=BB196_9 Depth=1
	s_delay_alu instid0(SALU_CYCLE_1)
	s_or_b32 exec_lo, exec_lo, s29
.LBB196_265:                            ;   in Loop: Header=BB196_9 Depth=1
	s_delay_alu instid0(SALU_CYCLE_1)
	s_or_b32 exec_lo, exec_lo, s28
	global_load_u16 v5, v[76:77], off offset:1024
	v_mov_b64_e32 v[8:9], 0
	v_mov_b64_e32 v[10:11], 0
	s_mov_b32 s28, exec_lo
	s_wait_loadcnt 0x0
	v_and_b32_e32 v4, 0xffff, v5
	v_and_b32_e32 v5, 0xff, v5
	s_wait_xcnt 0x0
	s_delay_alu instid0(VALU_DEP_1)
	v_cmpx_ne_u16_e32 0, v5
	s_cbranch_execz .LBB196_273
; %bb.266:                              ;   in Loop: Header=BB196_9 Depth=1
	v_mov_b64_e32 v[10:11], 0x80000000
	v_and_b32_e32 v5, 0xff, v4
	s_mov_b32 s29, exec_lo
	s_delay_alu instid0(VALU_DEP_1)
	v_cmpx_ne_u16_e32 0x80, v5
	s_cbranch_execz .LBB196_272
; %bb.267:                              ;   in Loop: Header=BB196_9 Depth=1
	v_mov_b64_e32 v[10:11], 0x7f800001
	v_and_b32_e32 v6, 0x7f, v4
	s_mov_b32 s30, exec_lo
	s_delay_alu instid0(VALU_DEP_1)
	v_cmpx_ne_u32_e32 0x7f, v6
	s_cbranch_execz .LBB196_271
; %bb.268:                              ;   in Loop: Header=BB196_9 Depth=1
	v_dual_lshrrev_b32 v5, 3, v6 :: v_dual_bitop2_b32 v62, 7, v4 bitop3:0x40
	s_mov_b32 s31, exec_lo
	v_cmpx_gt_u32_e32 8, v6
; %bb.269:                              ;   in Loop: Header=BB196_9 Depth=1
	s_delay_alu instid0(VALU_DEP_2) | instskip(NEXT) | instid1(VALU_DEP_1)
	v_clz_i32_u32_e32 v5, v62
	v_min_u32_e32 v5, 32, v5
	s_delay_alu instid0(VALU_DEP_1) | instskip(NEXT) | instid1(VALU_DEP_1)
	v_subrev_nc_u32_e32 v6, 28, v5
	v_lshlrev_b64_e32 v[6:7], v6, v[62:63]
	s_delay_alu instid0(VALU_DEP_1)
	v_dual_sub_nc_u32 v5, 29, v5 :: v_dual_bitop2_b32 v62, 7, v6 bitop3:0x40
; %bb.270:                              ;   in Loop: Header=BB196_9 Depth=1
	s_or_b32 exec_lo, exec_lo, s31
	s_delay_alu instid0(VALU_DEP_1) | instskip(NEXT) | instid1(VALU_DEP_2)
	v_dual_lshlrev_b32 v6, 24, v4 :: v_dual_lshlrev_b32 v7, 20, v62
	v_lshl_add_u32 v5, v5, 23, 0x3c000000
	s_delay_alu instid0(VALU_DEP_2) | instskip(NEXT) | instid1(VALU_DEP_1)
	v_and_b32_e32 v6, 0x80000000, v6
	v_or3_b32 v62, v7, v6, v5
	s_delay_alu instid0(VALU_DEP_1)
	v_mov_b64_e32 v[10:11], v[62:63]
.LBB196_271:                            ;   in Loop: Header=BB196_9 Depth=1
	s_or_b32 exec_lo, exec_lo, s30
.LBB196_272:                            ;   in Loop: Header=BB196_9 Depth=1
	s_delay_alu instid0(SALU_CYCLE_1)
	s_or_b32 exec_lo, exec_lo, s29
.LBB196_273:                            ;   in Loop: Header=BB196_9 Depth=1
	s_delay_alu instid0(SALU_CYCLE_1) | instskip(SKIP_2) | instid1(VALU_DEP_1)
	s_or_b32 exec_lo, exec_lo, s28
	v_lshrrev_b16 v5, 8, v4
	s_mov_b32 s28, exec_lo
	v_cmpx_ne_u16_e32 0, v5
	s_cbranch_execz .LBB196_281
; %bb.274:                              ;   in Loop: Header=BB196_9 Depth=1
	v_mov_b64_e32 v[8:9], 0x8000000000000000
	s_mov_b32 s29, exec_lo
	v_cmpx_ne_u16_e32 0x80, v5
	s_cbranch_execz .LBB196_280
; %bb.275:                              ;   in Loop: Header=BB196_9 Depth=1
	v_and_b32_e32 v5, 0xffff, v5
	v_mov_b64_e32 v[8:9], 0x7f80000100000000
	s_mov_b32 s30, exec_lo
	s_delay_alu instid0(VALU_DEP_2) | instskip(NEXT) | instid1(VALU_DEP_1)
	v_and_b32_e32 v6, 0x7f, v5
	v_cmpx_ne_u32_e32 0x7f, v6
	s_cbranch_execz .LBB196_279
; %bb.276:                              ;   in Loop: Header=BB196_9 Depth=1
	v_dual_lshrrev_b32 v5, 3, v6 :: v_dual_bitop2_b32 v62, 7, v5 bitop3:0x40
	s_mov_b32 s31, exec_lo
	v_cmpx_gt_u32_e32 8, v6
; %bb.277:                              ;   in Loop: Header=BB196_9 Depth=1
	s_delay_alu instid0(VALU_DEP_2) | instskip(NEXT) | instid1(VALU_DEP_1)
	v_clz_i32_u32_e32 v5, v62
	v_min_u32_e32 v5, 32, v5
	s_delay_alu instid0(VALU_DEP_1) | instskip(NEXT) | instid1(VALU_DEP_1)
	v_subrev_nc_u32_e32 v6, 28, v5
	v_lshlrev_b64_e32 v[6:7], v6, v[62:63]
	s_delay_alu instid0(VALU_DEP_1)
	v_dual_sub_nc_u32 v5, 29, v5 :: v_dual_bitop2_b32 v62, 7, v6 bitop3:0x40
; %bb.278:                              ;   in Loop: Header=BB196_9 Depth=1
	s_or_b32 exec_lo, exec_lo, s31
	s_delay_alu instid0(VALU_DEP_1) | instskip(NEXT) | instid1(VALU_DEP_2)
	v_dual_lshlrev_b32 v4, 16, v4 :: v_dual_lshlrev_b32 v6, 20, v62
	v_lshl_add_u32 v5, v5, 23, 0x3c000000
	v_mov_b32_e32 v8, v63
	s_delay_alu instid0(VALU_DEP_3) | instskip(NEXT) | instid1(VALU_DEP_1)
	v_and_b32_e32 v4, 0x80000000, v4
	v_or3_b32 v9, v6, v4, v5
.LBB196_279:                            ;   in Loop: Header=BB196_9 Depth=1
	s_or_b32 exec_lo, exec_lo, s30
.LBB196_280:                            ;   in Loop: Header=BB196_9 Depth=1
	s_delay_alu instid0(SALU_CYCLE_1)
	s_or_b32 exec_lo, exec_lo, s29
.LBB196_281:                            ;   in Loop: Header=BB196_9 Depth=1
	s_delay_alu instid0(SALU_CYCLE_1)
	s_or_b32 exec_lo, exec_lo, s28
	global_load_u16 v4, v[76:77], off offset:1028
	v_mov_b64_e32 v[6:7], 0
	s_wait_loadcnt 0x0
	v_and_b32_e32 v12, 0xffff, v4
	v_and_b32_e32 v4, 0xff, v4
	s_delay_alu instid0(VALU_DEP_1)
	v_cmp_ne_u16_e64 s4, 0, v4
	v_mov_b64_e32 v[4:5], 0
	s_wait_xcnt 0x0
	s_and_saveexec_b32 s28, s4
	s_cbranch_execz .LBB196_289
; %bb.282:                              ;   in Loop: Header=BB196_9 Depth=1
	v_and_b32_e32 v6, 0xff, v12
	s_delay_alu instid0(VALU_DEP_1)
	v_cmp_ne_u16_e64 s4, 0x80, v6
	v_mov_b64_e32 v[6:7], 0x80000000
	s_and_saveexec_b32 s29, s4
	s_cbranch_execz .LBB196_288
; %bb.283:                              ;   in Loop: Header=BB196_9 Depth=1
	v_mov_b64_e32 v[6:7], 0x7f800001
	v_and_b32_e32 v13, 0x7f, v12
	s_mov_b32 s30, exec_lo
	s_delay_alu instid0(VALU_DEP_1)
	v_cmpx_ne_u32_e32 0x7f, v13
	s_cbranch_execz .LBB196_287
; %bb.284:                              ;   in Loop: Header=BB196_9 Depth=1
	v_dual_lshrrev_b32 v6, 3, v13 :: v_dual_bitop2_b32 v62, 7, v12 bitop3:0x40
	s_mov_b32 s31, exec_lo
	v_cmpx_gt_u32_e32 8, v13
; %bb.285:                              ;   in Loop: Header=BB196_9 Depth=1
	s_delay_alu instid0(VALU_DEP_2) | instskip(NEXT) | instid1(VALU_DEP_1)
	v_clz_i32_u32_e32 v6, v62
	v_min_u32_e32 v6, 32, v6
	s_delay_alu instid0(VALU_DEP_1) | instskip(SKIP_1) | instid1(VALU_DEP_2)
	v_subrev_nc_u32_e32 v7, 28, v6
	v_sub_nc_u32_e32 v6, 29, v6
	v_lshlrev_b64_e32 v[14:15], v7, v[62:63]
	s_delay_alu instid0(VALU_DEP_1)
	v_and_b32_e32 v62, 7, v14
; %bb.286:                              ;   in Loop: Header=BB196_9 Depth=1
	s_or_b32 exec_lo, exec_lo, s31
	s_delay_alu instid0(VALU_DEP_1) | instskip(SKIP_1) | instid1(VALU_DEP_2)
	v_dual_lshlrev_b32 v7, 24, v12 :: v_dual_lshlrev_b32 v13, 20, v62
	v_lshl_add_u32 v6, v6, 23, 0x3c000000
	v_and_b32_e32 v7, 0x80000000, v7
	s_delay_alu instid0(VALU_DEP_1) | instskip(NEXT) | instid1(VALU_DEP_1)
	v_or3_b32 v62, v13, v7, v6
	v_mov_b64_e32 v[6:7], v[62:63]
.LBB196_287:                            ;   in Loop: Header=BB196_9 Depth=1
	s_or_b32 exec_lo, exec_lo, s30
.LBB196_288:                            ;   in Loop: Header=BB196_9 Depth=1
	s_delay_alu instid0(SALU_CYCLE_1)
	s_or_b32 exec_lo, exec_lo, s29
.LBB196_289:                            ;   in Loop: Header=BB196_9 Depth=1
	s_delay_alu instid0(SALU_CYCLE_1) | instskip(SKIP_2) | instid1(VALU_DEP_1)
	s_or_b32 exec_lo, exec_lo, s28
	v_lshrrev_b16 v13, 8, v12
	s_mov_b32 s28, exec_lo
	v_cmpx_ne_u16_e32 0, v13
	s_cbranch_execz .LBB196_297
; %bb.290:                              ;   in Loop: Header=BB196_9 Depth=1
	v_mov_b64_e32 v[4:5], 0x8000000000000000
	s_mov_b32 s29, exec_lo
	v_cmpx_ne_u16_e32 0x80, v13
	s_cbranch_execz .LBB196_296
; %bb.291:                              ;   in Loop: Header=BB196_9 Depth=1
	v_and_b32_e32 v14, 0xffff, v13
	v_mov_b64_e32 v[4:5], 0x7f80000100000000
	s_mov_b32 s30, exec_lo
	s_delay_alu instid0(VALU_DEP_2) | instskip(NEXT) | instid1(VALU_DEP_1)
	v_and_b32_e32 v13, 0x7f, v14
	v_cmpx_ne_u32_e32 0x7f, v13
	s_cbranch_execz .LBB196_295
; %bb.292:                              ;   in Loop: Header=BB196_9 Depth=1
	v_dual_lshrrev_b32 v4, 3, v13 :: v_dual_bitop2_b32 v62, 7, v14 bitop3:0x40
	s_mov_b32 s31, exec_lo
	v_cmpx_gt_u32_e32 8, v13
; %bb.293:                              ;   in Loop: Header=BB196_9 Depth=1
	s_delay_alu instid0(VALU_DEP_2) | instskip(NEXT) | instid1(VALU_DEP_1)
	v_clz_i32_u32_e32 v4, v62
	v_min_u32_e32 v4, 32, v4
	s_delay_alu instid0(VALU_DEP_1) | instskip(NEXT) | instid1(VALU_DEP_1)
	v_subrev_nc_u32_e32 v5, 28, v4
	v_lshlrev_b64_e32 v[14:15], v5, v[62:63]
	s_delay_alu instid0(VALU_DEP_1)
	v_dual_sub_nc_u32 v4, 29, v4 :: v_dual_bitop2_b32 v62, 7, v14 bitop3:0x40
; %bb.294:                              ;   in Loop: Header=BB196_9 Depth=1
	s_or_b32 exec_lo, exec_lo, s31
	s_delay_alu instid0(VALU_DEP_1) | instskip(NEXT) | instid1(VALU_DEP_2)
	v_dual_lshlrev_b32 v5, 16, v12 :: v_dual_lshlrev_b32 v12, 20, v62
	v_lshl_add_u32 v4, v4, 23, 0x3c000000
	s_delay_alu instid0(VALU_DEP_2) | instskip(NEXT) | instid1(VALU_DEP_1)
	v_and_b32_e32 v5, 0x80000000, v5
	v_or3_b32 v5, v12, v5, v4
	v_mov_b32_e32 v4, v63
.LBB196_295:                            ;   in Loop: Header=BB196_9 Depth=1
	s_or_b32 exec_lo, exec_lo, s30
.LBB196_296:                            ;   in Loop: Header=BB196_9 Depth=1
	s_delay_alu instid0(SALU_CYCLE_1)
	s_or_b32 exec_lo, exec_lo, s29
.LBB196_297:                            ;   in Loop: Header=BB196_9 Depth=1
	s_delay_alu instid0(SALU_CYCLE_1)
	s_or_b32 exec_lo, exec_lo, s28
	global_load_u16 v12, v[76:77], off offset:1032
	v_mov_b64_e32 v[14:15], 0
	s_wait_loadcnt 0x0
	v_and_b32_e32 v16, 0xffff, v12
	v_and_b32_e32 v12, 0xff, v12
	s_delay_alu instid0(VALU_DEP_1)
	v_cmp_ne_u16_e64 s4, 0, v12
	v_mov_b64_e32 v[12:13], 0
	s_wait_xcnt 0x0
	s_and_saveexec_b32 s28, s4
	s_cbranch_execz .LBB196_305
; %bb.298:                              ;   in Loop: Header=BB196_9 Depth=1
	v_and_b32_e32 v14, 0xff, v16
	s_delay_alu instid0(VALU_DEP_1)
	v_cmp_ne_u16_e64 s4, 0x80, v14
	v_mov_b64_e32 v[14:15], 0x80000000
	s_and_saveexec_b32 s29, s4
	s_cbranch_execz .LBB196_304
; %bb.299:                              ;   in Loop: Header=BB196_9 Depth=1
	v_mov_b64_e32 v[14:15], 0x7f800001
	v_and_b32_e32 v17, 0x7f, v16
	s_mov_b32 s30, exec_lo
	s_delay_alu instid0(VALU_DEP_1)
	v_cmpx_ne_u32_e32 0x7f, v17
	s_cbranch_execz .LBB196_303
; %bb.300:                              ;   in Loop: Header=BB196_9 Depth=1
	v_dual_lshrrev_b32 v14, 3, v17 :: v_dual_bitop2_b32 v62, 7, v16 bitop3:0x40
	s_mov_b32 s31, exec_lo
	v_cmpx_gt_u32_e32 8, v17
; %bb.301:                              ;   in Loop: Header=BB196_9 Depth=1
	s_delay_alu instid0(VALU_DEP_2) | instskip(NEXT) | instid1(VALU_DEP_1)
	v_clz_i32_u32_e32 v14, v62
	v_min_u32_e32 v14, 32, v14
	s_delay_alu instid0(VALU_DEP_1) | instskip(SKIP_1) | instid1(VALU_DEP_2)
	v_subrev_nc_u32_e32 v15, 28, v14
	v_sub_nc_u32_e32 v14, 29, v14
	v_lshlrev_b64_e32 v[18:19], v15, v[62:63]
	s_delay_alu instid0(VALU_DEP_1)
	v_and_b32_e32 v62, 7, v18
; %bb.302:                              ;   in Loop: Header=BB196_9 Depth=1
	s_or_b32 exec_lo, exec_lo, s31
	s_delay_alu instid0(VALU_DEP_1) | instskip(SKIP_1) | instid1(VALU_DEP_2)
	v_dual_lshlrev_b32 v15, 24, v16 :: v_dual_lshlrev_b32 v17, 20, v62
	v_lshl_add_u32 v14, v14, 23, 0x3c000000
	v_and_b32_e32 v15, 0x80000000, v15
	s_delay_alu instid0(VALU_DEP_1) | instskip(NEXT) | instid1(VALU_DEP_1)
	v_or3_b32 v62, v17, v15, v14
	v_mov_b64_e32 v[14:15], v[62:63]
.LBB196_303:                            ;   in Loop: Header=BB196_9 Depth=1
	s_or_b32 exec_lo, exec_lo, s30
.LBB196_304:                            ;   in Loop: Header=BB196_9 Depth=1
	s_delay_alu instid0(SALU_CYCLE_1)
	s_or_b32 exec_lo, exec_lo, s29
.LBB196_305:                            ;   in Loop: Header=BB196_9 Depth=1
	s_delay_alu instid0(SALU_CYCLE_1) | instskip(SKIP_2) | instid1(VALU_DEP_1)
	s_or_b32 exec_lo, exec_lo, s28
	v_lshrrev_b16 v17, 8, v16
	s_mov_b32 s28, exec_lo
	v_cmpx_ne_u16_e32 0, v17
	s_cbranch_execz .LBB196_313
; %bb.306:                              ;   in Loop: Header=BB196_9 Depth=1
	v_mov_b64_e32 v[12:13], 0x8000000000000000
	s_mov_b32 s29, exec_lo
	v_cmpx_ne_u16_e32 0x80, v17
	s_cbranch_execz .LBB196_312
; %bb.307:                              ;   in Loop: Header=BB196_9 Depth=1
	v_and_b32_e32 v18, 0xffff, v17
	v_mov_b64_e32 v[12:13], 0x7f80000100000000
	s_mov_b32 s30, exec_lo
	s_delay_alu instid0(VALU_DEP_2) | instskip(NEXT) | instid1(VALU_DEP_1)
	v_and_b32_e32 v17, 0x7f, v18
	v_cmpx_ne_u32_e32 0x7f, v17
	s_cbranch_execz .LBB196_311
; %bb.308:                              ;   in Loop: Header=BB196_9 Depth=1
	v_dual_lshrrev_b32 v12, 3, v17 :: v_dual_bitop2_b32 v62, 7, v18 bitop3:0x40
	s_mov_b32 s31, exec_lo
	v_cmpx_gt_u32_e32 8, v17
; %bb.309:                              ;   in Loop: Header=BB196_9 Depth=1
	s_delay_alu instid0(VALU_DEP_2) | instskip(NEXT) | instid1(VALU_DEP_1)
	v_clz_i32_u32_e32 v12, v62
	v_min_u32_e32 v12, 32, v12
	s_delay_alu instid0(VALU_DEP_1) | instskip(NEXT) | instid1(VALU_DEP_1)
	v_subrev_nc_u32_e32 v13, 28, v12
	v_lshlrev_b64_e32 v[18:19], v13, v[62:63]
	s_delay_alu instid0(VALU_DEP_1)
	v_dual_sub_nc_u32 v12, 29, v12 :: v_dual_bitop2_b32 v62, 7, v18 bitop3:0x40
; %bb.310:                              ;   in Loop: Header=BB196_9 Depth=1
	s_or_b32 exec_lo, exec_lo, s31
	s_delay_alu instid0(VALU_DEP_1) | instskip(NEXT) | instid1(VALU_DEP_2)
	v_dual_lshlrev_b32 v13, 16, v16 :: v_dual_lshlrev_b32 v16, 20, v62
	v_lshl_add_u32 v12, v12, 23, 0x3c000000
	s_delay_alu instid0(VALU_DEP_2) | instskip(NEXT) | instid1(VALU_DEP_1)
	v_and_b32_e32 v13, 0x80000000, v13
	v_or3_b32 v13, v16, v13, v12
	v_mov_b32_e32 v12, v63
.LBB196_311:                            ;   in Loop: Header=BB196_9 Depth=1
	s_or_b32 exec_lo, exec_lo, s30
.LBB196_312:                            ;   in Loop: Header=BB196_9 Depth=1
	s_delay_alu instid0(SALU_CYCLE_1)
	s_or_b32 exec_lo, exec_lo, s29
.LBB196_313:                            ;   in Loop: Header=BB196_9 Depth=1
	s_delay_alu instid0(SALU_CYCLE_1)
	s_or_b32 exec_lo, exec_lo, s28
	global_load_u16 v16, v[76:77], off offset:1036
	v_mov_b64_e32 v[18:19], 0
	s_wait_loadcnt 0x0
	v_and_b32_e32 v20, 0xffff, v16
	v_and_b32_e32 v16, 0xff, v16
	s_delay_alu instid0(VALU_DEP_1)
	v_cmp_ne_u16_e64 s4, 0, v16
	v_mov_b64_e32 v[16:17], 0
	s_wait_xcnt 0x0
	s_and_saveexec_b32 s28, s4
	s_cbranch_execz .LBB196_321
; %bb.314:                              ;   in Loop: Header=BB196_9 Depth=1
	v_and_b32_e32 v18, 0xff, v20
	s_delay_alu instid0(VALU_DEP_1)
	v_cmp_ne_u16_e64 s4, 0x80, v18
	v_mov_b64_e32 v[18:19], 0x80000000
	s_and_saveexec_b32 s29, s4
	s_cbranch_execz .LBB196_320
; %bb.315:                              ;   in Loop: Header=BB196_9 Depth=1
	v_mov_b64_e32 v[18:19], 0x7f800001
	v_and_b32_e32 v21, 0x7f, v20
	s_mov_b32 s30, exec_lo
	s_delay_alu instid0(VALU_DEP_1)
	v_cmpx_ne_u32_e32 0x7f, v21
	s_cbranch_execz .LBB196_319
; %bb.316:                              ;   in Loop: Header=BB196_9 Depth=1
	v_dual_lshrrev_b32 v18, 3, v21 :: v_dual_bitop2_b32 v62, 7, v20 bitop3:0x40
	s_mov_b32 s31, exec_lo
	v_cmpx_gt_u32_e32 8, v21
; %bb.317:                              ;   in Loop: Header=BB196_9 Depth=1
	s_delay_alu instid0(VALU_DEP_2) | instskip(NEXT) | instid1(VALU_DEP_1)
	v_clz_i32_u32_e32 v18, v62
	v_min_u32_e32 v18, 32, v18
	s_delay_alu instid0(VALU_DEP_1) | instskip(SKIP_1) | instid1(VALU_DEP_2)
	v_subrev_nc_u32_e32 v19, 28, v18
	v_sub_nc_u32_e32 v18, 29, v18
	v_lshlrev_b64_e32 v[22:23], v19, v[62:63]
	s_delay_alu instid0(VALU_DEP_1)
	v_and_b32_e32 v62, 7, v22
; %bb.318:                              ;   in Loop: Header=BB196_9 Depth=1
	s_or_b32 exec_lo, exec_lo, s31
	s_delay_alu instid0(VALU_DEP_1) | instskip(SKIP_1) | instid1(VALU_DEP_2)
	v_dual_lshlrev_b32 v19, 24, v20 :: v_dual_lshlrev_b32 v21, 20, v62
	v_lshl_add_u32 v18, v18, 23, 0x3c000000
	v_and_b32_e32 v19, 0x80000000, v19
	s_delay_alu instid0(VALU_DEP_1) | instskip(NEXT) | instid1(VALU_DEP_1)
	v_or3_b32 v62, v21, v19, v18
	v_mov_b64_e32 v[18:19], v[62:63]
.LBB196_319:                            ;   in Loop: Header=BB196_9 Depth=1
	s_or_b32 exec_lo, exec_lo, s30
.LBB196_320:                            ;   in Loop: Header=BB196_9 Depth=1
	s_delay_alu instid0(SALU_CYCLE_1)
	s_or_b32 exec_lo, exec_lo, s29
.LBB196_321:                            ;   in Loop: Header=BB196_9 Depth=1
	s_delay_alu instid0(SALU_CYCLE_1) | instskip(SKIP_2) | instid1(VALU_DEP_1)
	s_or_b32 exec_lo, exec_lo, s28
	v_lshrrev_b16 v21, 8, v20
	s_mov_b32 s28, exec_lo
	v_cmpx_ne_u16_e32 0, v21
	s_cbranch_execz .LBB196_329
; %bb.322:                              ;   in Loop: Header=BB196_9 Depth=1
	v_mov_b64_e32 v[16:17], 0x8000000000000000
	s_mov_b32 s29, exec_lo
	v_cmpx_ne_u16_e32 0x80, v21
	s_cbranch_execz .LBB196_328
; %bb.323:                              ;   in Loop: Header=BB196_9 Depth=1
	v_and_b32_e32 v22, 0xffff, v21
	v_mov_b64_e32 v[16:17], 0x7f80000100000000
	s_mov_b32 s30, exec_lo
	s_delay_alu instid0(VALU_DEP_2) | instskip(NEXT) | instid1(VALU_DEP_1)
	v_and_b32_e32 v21, 0x7f, v22
	v_cmpx_ne_u32_e32 0x7f, v21
	s_cbranch_execz .LBB196_327
; %bb.324:                              ;   in Loop: Header=BB196_9 Depth=1
	v_dual_lshrrev_b32 v16, 3, v21 :: v_dual_bitop2_b32 v62, 7, v22 bitop3:0x40
	s_mov_b32 s31, exec_lo
	v_cmpx_gt_u32_e32 8, v21
; %bb.325:                              ;   in Loop: Header=BB196_9 Depth=1
	s_delay_alu instid0(VALU_DEP_2) | instskip(NEXT) | instid1(VALU_DEP_1)
	v_clz_i32_u32_e32 v16, v62
	v_min_u32_e32 v16, 32, v16
	s_delay_alu instid0(VALU_DEP_1) | instskip(NEXT) | instid1(VALU_DEP_1)
	v_subrev_nc_u32_e32 v17, 28, v16
	v_lshlrev_b64_e32 v[22:23], v17, v[62:63]
	s_delay_alu instid0(VALU_DEP_1)
	v_dual_sub_nc_u32 v16, 29, v16 :: v_dual_bitop2_b32 v62, 7, v22 bitop3:0x40
; %bb.326:                              ;   in Loop: Header=BB196_9 Depth=1
	s_or_b32 exec_lo, exec_lo, s31
	s_delay_alu instid0(VALU_DEP_1) | instskip(NEXT) | instid1(VALU_DEP_2)
	v_dual_lshlrev_b32 v17, 16, v20 :: v_dual_lshlrev_b32 v20, 20, v62
	v_lshl_add_u32 v16, v16, 23, 0x3c000000
	s_delay_alu instid0(VALU_DEP_2) | instskip(NEXT) | instid1(VALU_DEP_1)
	v_and_b32_e32 v17, 0x80000000, v17
	v_or3_b32 v17, v20, v17, v16
	v_mov_b32_e32 v16, v63
.LBB196_327:                            ;   in Loop: Header=BB196_9 Depth=1
	s_or_b32 exec_lo, exec_lo, s30
.LBB196_328:                            ;   in Loop: Header=BB196_9 Depth=1
	s_delay_alu instid0(SALU_CYCLE_1)
	s_or_b32 exec_lo, exec_lo, s29
.LBB196_329:                            ;   in Loop: Header=BB196_9 Depth=1
	s_delay_alu instid0(SALU_CYCLE_1)
	s_or_b32 exec_lo, exec_lo, s28
	global_load_u16 v20, v[76:77], off offset:1280
	v_mov_b64_e32 v[22:23], 0
	s_wait_loadcnt 0x0
	v_and_b32_e32 v24, 0xffff, v20
	v_and_b32_e32 v20, 0xff, v20
	s_delay_alu instid0(VALU_DEP_1)
	v_cmp_ne_u16_e64 s4, 0, v20
	v_mov_b64_e32 v[20:21], 0
	s_wait_xcnt 0x0
	s_and_saveexec_b32 s28, s4
	s_cbranch_execz .LBB196_337
; %bb.330:                              ;   in Loop: Header=BB196_9 Depth=1
	v_and_b32_e32 v22, 0xff, v24
	s_delay_alu instid0(VALU_DEP_1)
	v_cmp_ne_u16_e64 s4, 0x80, v22
	v_mov_b64_e32 v[22:23], 0x80000000
	s_and_saveexec_b32 s29, s4
	s_cbranch_execz .LBB196_336
; %bb.331:                              ;   in Loop: Header=BB196_9 Depth=1
	v_mov_b64_e32 v[22:23], 0x7f800001
	v_and_b32_e32 v25, 0x7f, v24
	s_mov_b32 s30, exec_lo
	s_delay_alu instid0(VALU_DEP_1)
	v_cmpx_ne_u32_e32 0x7f, v25
	s_cbranch_execz .LBB196_335
; %bb.332:                              ;   in Loop: Header=BB196_9 Depth=1
	v_dual_lshrrev_b32 v22, 3, v25 :: v_dual_bitop2_b32 v62, 7, v24 bitop3:0x40
	s_mov_b32 s31, exec_lo
	v_cmpx_gt_u32_e32 8, v25
; %bb.333:                              ;   in Loop: Header=BB196_9 Depth=1
	s_delay_alu instid0(VALU_DEP_2) | instskip(NEXT) | instid1(VALU_DEP_1)
	v_clz_i32_u32_e32 v22, v62
	v_min_u32_e32 v22, 32, v22
	s_delay_alu instid0(VALU_DEP_1) | instskip(SKIP_1) | instid1(VALU_DEP_2)
	v_subrev_nc_u32_e32 v23, 28, v22
	v_sub_nc_u32_e32 v22, 29, v22
	v_lshlrev_b64_e32 v[26:27], v23, v[62:63]
	s_delay_alu instid0(VALU_DEP_1)
	v_and_b32_e32 v62, 7, v26
; %bb.334:                              ;   in Loop: Header=BB196_9 Depth=1
	s_or_b32 exec_lo, exec_lo, s31
	s_delay_alu instid0(VALU_DEP_1) | instskip(SKIP_1) | instid1(VALU_DEP_2)
	v_dual_lshlrev_b32 v23, 24, v24 :: v_dual_lshlrev_b32 v25, 20, v62
	v_lshl_add_u32 v22, v22, 23, 0x3c000000
	v_and_b32_e32 v23, 0x80000000, v23
	s_delay_alu instid0(VALU_DEP_1) | instskip(NEXT) | instid1(VALU_DEP_1)
	v_or3_b32 v62, v25, v23, v22
	v_mov_b64_e32 v[22:23], v[62:63]
.LBB196_335:                            ;   in Loop: Header=BB196_9 Depth=1
	s_or_b32 exec_lo, exec_lo, s30
.LBB196_336:                            ;   in Loop: Header=BB196_9 Depth=1
	s_delay_alu instid0(SALU_CYCLE_1)
	s_or_b32 exec_lo, exec_lo, s29
.LBB196_337:                            ;   in Loop: Header=BB196_9 Depth=1
	s_delay_alu instid0(SALU_CYCLE_1) | instskip(SKIP_2) | instid1(VALU_DEP_1)
	s_or_b32 exec_lo, exec_lo, s28
	v_lshrrev_b16 v25, 8, v24
	s_mov_b32 s28, exec_lo
	v_cmpx_ne_u16_e32 0, v25
	s_cbranch_execz .LBB196_345
; %bb.338:                              ;   in Loop: Header=BB196_9 Depth=1
	v_mov_b64_e32 v[20:21], 0x8000000000000000
	s_mov_b32 s29, exec_lo
	v_cmpx_ne_u16_e32 0x80, v25
	s_cbranch_execz .LBB196_344
; %bb.339:                              ;   in Loop: Header=BB196_9 Depth=1
	v_and_b32_e32 v26, 0xffff, v25
	v_mov_b64_e32 v[20:21], 0x7f80000100000000
	s_mov_b32 s30, exec_lo
	s_delay_alu instid0(VALU_DEP_2) | instskip(NEXT) | instid1(VALU_DEP_1)
	v_and_b32_e32 v25, 0x7f, v26
	v_cmpx_ne_u32_e32 0x7f, v25
	s_cbranch_execz .LBB196_343
; %bb.340:                              ;   in Loop: Header=BB196_9 Depth=1
	v_dual_lshrrev_b32 v20, 3, v25 :: v_dual_bitop2_b32 v62, 7, v26 bitop3:0x40
	s_mov_b32 s31, exec_lo
	v_cmpx_gt_u32_e32 8, v25
; %bb.341:                              ;   in Loop: Header=BB196_9 Depth=1
	s_delay_alu instid0(VALU_DEP_2) | instskip(NEXT) | instid1(VALU_DEP_1)
	v_clz_i32_u32_e32 v20, v62
	v_min_u32_e32 v20, 32, v20
	s_delay_alu instid0(VALU_DEP_1) | instskip(NEXT) | instid1(VALU_DEP_1)
	v_subrev_nc_u32_e32 v21, 28, v20
	v_lshlrev_b64_e32 v[26:27], v21, v[62:63]
	s_delay_alu instid0(VALU_DEP_1)
	v_dual_sub_nc_u32 v20, 29, v20 :: v_dual_bitop2_b32 v62, 7, v26 bitop3:0x40
; %bb.342:                              ;   in Loop: Header=BB196_9 Depth=1
	s_or_b32 exec_lo, exec_lo, s31
	s_delay_alu instid0(VALU_DEP_1) | instskip(NEXT) | instid1(VALU_DEP_2)
	v_dual_lshlrev_b32 v21, 16, v24 :: v_dual_lshlrev_b32 v24, 20, v62
	v_lshl_add_u32 v20, v20, 23, 0x3c000000
	s_delay_alu instid0(VALU_DEP_2) | instskip(NEXT) | instid1(VALU_DEP_1)
	v_and_b32_e32 v21, 0x80000000, v21
	v_or3_b32 v21, v24, v21, v20
	v_mov_b32_e32 v20, v63
.LBB196_343:                            ;   in Loop: Header=BB196_9 Depth=1
	s_or_b32 exec_lo, exec_lo, s30
.LBB196_344:                            ;   in Loop: Header=BB196_9 Depth=1
	s_delay_alu instid0(SALU_CYCLE_1)
	s_or_b32 exec_lo, exec_lo, s29
.LBB196_345:                            ;   in Loop: Header=BB196_9 Depth=1
	s_delay_alu instid0(SALU_CYCLE_1)
	s_or_b32 exec_lo, exec_lo, s28
	global_load_u16 v24, v[76:77], off offset:1284
	v_mov_b64_e32 v[26:27], 0
	s_wait_loadcnt 0x0
	v_and_b32_e32 v28, 0xffff, v24
	v_and_b32_e32 v24, 0xff, v24
	s_delay_alu instid0(VALU_DEP_1)
	v_cmp_ne_u16_e64 s4, 0, v24
	v_mov_b64_e32 v[24:25], 0
	s_wait_xcnt 0x0
	s_and_saveexec_b32 s28, s4
	s_cbranch_execz .LBB196_353
; %bb.346:                              ;   in Loop: Header=BB196_9 Depth=1
	v_and_b32_e32 v26, 0xff, v28
	s_delay_alu instid0(VALU_DEP_1)
	v_cmp_ne_u16_e64 s4, 0x80, v26
	v_mov_b64_e32 v[26:27], 0x80000000
	s_and_saveexec_b32 s29, s4
	s_cbranch_execz .LBB196_352
; %bb.347:                              ;   in Loop: Header=BB196_9 Depth=1
	v_mov_b64_e32 v[26:27], 0x7f800001
	v_and_b32_e32 v29, 0x7f, v28
	s_mov_b32 s30, exec_lo
	s_delay_alu instid0(VALU_DEP_1)
	v_cmpx_ne_u32_e32 0x7f, v29
	s_cbranch_execz .LBB196_351
; %bb.348:                              ;   in Loop: Header=BB196_9 Depth=1
	v_dual_lshrrev_b32 v26, 3, v29 :: v_dual_bitop2_b32 v62, 7, v28 bitop3:0x40
	s_mov_b32 s31, exec_lo
	v_cmpx_gt_u32_e32 8, v29
; %bb.349:                              ;   in Loop: Header=BB196_9 Depth=1
	s_delay_alu instid0(VALU_DEP_2) | instskip(NEXT) | instid1(VALU_DEP_1)
	v_clz_i32_u32_e32 v26, v62
	v_min_u32_e32 v26, 32, v26
	s_delay_alu instid0(VALU_DEP_1) | instskip(SKIP_1) | instid1(VALU_DEP_2)
	v_subrev_nc_u32_e32 v27, 28, v26
	v_sub_nc_u32_e32 v26, 29, v26
	v_lshlrev_b64_e32 v[30:31], v27, v[62:63]
	s_delay_alu instid0(VALU_DEP_1)
	v_and_b32_e32 v62, 7, v30
; %bb.350:                              ;   in Loop: Header=BB196_9 Depth=1
	s_or_b32 exec_lo, exec_lo, s31
	s_delay_alu instid0(VALU_DEP_1) | instskip(SKIP_1) | instid1(VALU_DEP_2)
	v_dual_lshlrev_b32 v27, 24, v28 :: v_dual_lshlrev_b32 v29, 20, v62
	v_lshl_add_u32 v26, v26, 23, 0x3c000000
	v_and_b32_e32 v27, 0x80000000, v27
	s_delay_alu instid0(VALU_DEP_1) | instskip(NEXT) | instid1(VALU_DEP_1)
	v_or3_b32 v62, v29, v27, v26
	v_mov_b64_e32 v[26:27], v[62:63]
.LBB196_351:                            ;   in Loop: Header=BB196_9 Depth=1
	s_or_b32 exec_lo, exec_lo, s30
.LBB196_352:                            ;   in Loop: Header=BB196_9 Depth=1
	s_delay_alu instid0(SALU_CYCLE_1)
	s_or_b32 exec_lo, exec_lo, s29
.LBB196_353:                            ;   in Loop: Header=BB196_9 Depth=1
	s_delay_alu instid0(SALU_CYCLE_1) | instskip(SKIP_2) | instid1(VALU_DEP_1)
	s_or_b32 exec_lo, exec_lo, s28
	v_lshrrev_b16 v29, 8, v28
	s_mov_b32 s28, exec_lo
	v_cmpx_ne_u16_e32 0, v29
	s_cbranch_execz .LBB196_361
; %bb.354:                              ;   in Loop: Header=BB196_9 Depth=1
	v_mov_b64_e32 v[24:25], 0x8000000000000000
	s_mov_b32 s29, exec_lo
	v_cmpx_ne_u16_e32 0x80, v29
	s_cbranch_execz .LBB196_360
; %bb.355:                              ;   in Loop: Header=BB196_9 Depth=1
	v_and_b32_e32 v30, 0xffff, v29
	v_mov_b64_e32 v[24:25], 0x7f80000100000000
	s_mov_b32 s30, exec_lo
	s_delay_alu instid0(VALU_DEP_2) | instskip(NEXT) | instid1(VALU_DEP_1)
	v_and_b32_e32 v29, 0x7f, v30
	v_cmpx_ne_u32_e32 0x7f, v29
	s_cbranch_execz .LBB196_359
; %bb.356:                              ;   in Loop: Header=BB196_9 Depth=1
	v_dual_lshrrev_b32 v24, 3, v29 :: v_dual_bitop2_b32 v62, 7, v30 bitop3:0x40
	s_mov_b32 s31, exec_lo
	v_cmpx_gt_u32_e32 8, v29
; %bb.357:                              ;   in Loop: Header=BB196_9 Depth=1
	s_delay_alu instid0(VALU_DEP_2) | instskip(NEXT) | instid1(VALU_DEP_1)
	v_clz_i32_u32_e32 v24, v62
	v_min_u32_e32 v24, 32, v24
	s_delay_alu instid0(VALU_DEP_1) | instskip(NEXT) | instid1(VALU_DEP_1)
	v_subrev_nc_u32_e32 v25, 28, v24
	v_lshlrev_b64_e32 v[30:31], v25, v[62:63]
	s_delay_alu instid0(VALU_DEP_1)
	v_dual_sub_nc_u32 v24, 29, v24 :: v_dual_bitop2_b32 v62, 7, v30 bitop3:0x40
; %bb.358:                              ;   in Loop: Header=BB196_9 Depth=1
	s_or_b32 exec_lo, exec_lo, s31
	s_delay_alu instid0(VALU_DEP_1) | instskip(NEXT) | instid1(VALU_DEP_2)
	v_dual_lshlrev_b32 v25, 16, v28 :: v_dual_lshlrev_b32 v28, 20, v62
	v_lshl_add_u32 v24, v24, 23, 0x3c000000
	s_delay_alu instid0(VALU_DEP_2) | instskip(NEXT) | instid1(VALU_DEP_1)
	v_and_b32_e32 v25, 0x80000000, v25
	v_or3_b32 v25, v28, v25, v24
	v_mov_b32_e32 v24, v63
.LBB196_359:                            ;   in Loop: Header=BB196_9 Depth=1
	s_or_b32 exec_lo, exec_lo, s30
.LBB196_360:                            ;   in Loop: Header=BB196_9 Depth=1
	s_delay_alu instid0(SALU_CYCLE_1)
	s_or_b32 exec_lo, exec_lo, s29
.LBB196_361:                            ;   in Loop: Header=BB196_9 Depth=1
	s_delay_alu instid0(SALU_CYCLE_1)
	s_or_b32 exec_lo, exec_lo, s28
	global_load_u16 v28, v[76:77], off offset:1288
	v_mov_b64_e32 v[30:31], 0
	s_wait_loadcnt 0x0
	v_and_b32_e32 v32, 0xffff, v28
	v_and_b32_e32 v28, 0xff, v28
	s_delay_alu instid0(VALU_DEP_1)
	v_cmp_ne_u16_e64 s4, 0, v28
	v_mov_b64_e32 v[28:29], 0
	s_wait_xcnt 0x0
	s_and_saveexec_b32 s28, s4
	s_cbranch_execz .LBB196_369
; %bb.362:                              ;   in Loop: Header=BB196_9 Depth=1
	v_and_b32_e32 v30, 0xff, v32
	s_delay_alu instid0(VALU_DEP_1)
	v_cmp_ne_u16_e64 s4, 0x80, v30
	v_mov_b64_e32 v[30:31], 0x80000000
	s_and_saveexec_b32 s29, s4
	s_cbranch_execz .LBB196_368
; %bb.363:                              ;   in Loop: Header=BB196_9 Depth=1
	v_mov_b64_e32 v[30:31], 0x7f800001
	v_and_b32_e32 v33, 0x7f, v32
	s_mov_b32 s30, exec_lo
	s_delay_alu instid0(VALU_DEP_1)
	v_cmpx_ne_u32_e32 0x7f, v33
	s_cbranch_execz .LBB196_367
; %bb.364:                              ;   in Loop: Header=BB196_9 Depth=1
	v_dual_lshrrev_b32 v30, 3, v33 :: v_dual_bitop2_b32 v62, 7, v32 bitop3:0x40
	s_mov_b32 s31, exec_lo
	v_cmpx_gt_u32_e32 8, v33
; %bb.365:                              ;   in Loop: Header=BB196_9 Depth=1
	s_delay_alu instid0(VALU_DEP_2) | instskip(NEXT) | instid1(VALU_DEP_1)
	v_clz_i32_u32_e32 v30, v62
	v_min_u32_e32 v30, 32, v30
	s_delay_alu instid0(VALU_DEP_1) | instskip(SKIP_1) | instid1(VALU_DEP_2)
	v_subrev_nc_u32_e32 v31, 28, v30
	v_sub_nc_u32_e32 v30, 29, v30
	v_lshlrev_b64_e32 v[34:35], v31, v[62:63]
	s_delay_alu instid0(VALU_DEP_1)
	v_and_b32_e32 v62, 7, v34
; %bb.366:                              ;   in Loop: Header=BB196_9 Depth=1
	s_or_b32 exec_lo, exec_lo, s31
	s_delay_alu instid0(VALU_DEP_1) | instskip(SKIP_1) | instid1(VALU_DEP_2)
	v_dual_lshlrev_b32 v31, 24, v32 :: v_dual_lshlrev_b32 v33, 20, v62
	v_lshl_add_u32 v30, v30, 23, 0x3c000000
	v_and_b32_e32 v31, 0x80000000, v31
	s_delay_alu instid0(VALU_DEP_1) | instskip(NEXT) | instid1(VALU_DEP_1)
	v_or3_b32 v62, v33, v31, v30
	v_mov_b64_e32 v[30:31], v[62:63]
.LBB196_367:                            ;   in Loop: Header=BB196_9 Depth=1
	s_or_b32 exec_lo, exec_lo, s30
.LBB196_368:                            ;   in Loop: Header=BB196_9 Depth=1
	s_delay_alu instid0(SALU_CYCLE_1)
	s_or_b32 exec_lo, exec_lo, s29
.LBB196_369:                            ;   in Loop: Header=BB196_9 Depth=1
	s_delay_alu instid0(SALU_CYCLE_1) | instskip(SKIP_2) | instid1(VALU_DEP_1)
	s_or_b32 exec_lo, exec_lo, s28
	v_lshrrev_b16 v33, 8, v32
	s_mov_b32 s28, exec_lo
	v_cmpx_ne_u16_e32 0, v33
	s_cbranch_execz .LBB196_377
; %bb.370:                              ;   in Loop: Header=BB196_9 Depth=1
	v_mov_b64_e32 v[28:29], 0x8000000000000000
	s_mov_b32 s29, exec_lo
	v_cmpx_ne_u16_e32 0x80, v33
	s_cbranch_execz .LBB196_376
; %bb.371:                              ;   in Loop: Header=BB196_9 Depth=1
	v_and_b32_e32 v34, 0xffff, v33
	v_mov_b64_e32 v[28:29], 0x7f80000100000000
	s_mov_b32 s30, exec_lo
	s_delay_alu instid0(VALU_DEP_2) | instskip(NEXT) | instid1(VALU_DEP_1)
	v_and_b32_e32 v33, 0x7f, v34
	v_cmpx_ne_u32_e32 0x7f, v33
	s_cbranch_execz .LBB196_375
; %bb.372:                              ;   in Loop: Header=BB196_9 Depth=1
	v_dual_lshrrev_b32 v28, 3, v33 :: v_dual_bitop2_b32 v62, 7, v34 bitop3:0x40
	s_mov_b32 s31, exec_lo
	v_cmpx_gt_u32_e32 8, v33
; %bb.373:                              ;   in Loop: Header=BB196_9 Depth=1
	s_delay_alu instid0(VALU_DEP_2) | instskip(NEXT) | instid1(VALU_DEP_1)
	v_clz_i32_u32_e32 v28, v62
	v_min_u32_e32 v28, 32, v28
	s_delay_alu instid0(VALU_DEP_1) | instskip(NEXT) | instid1(VALU_DEP_1)
	v_subrev_nc_u32_e32 v29, 28, v28
	v_lshlrev_b64_e32 v[34:35], v29, v[62:63]
	s_delay_alu instid0(VALU_DEP_1)
	v_dual_sub_nc_u32 v28, 29, v28 :: v_dual_bitop2_b32 v62, 7, v34 bitop3:0x40
; %bb.374:                              ;   in Loop: Header=BB196_9 Depth=1
	s_or_b32 exec_lo, exec_lo, s31
	s_delay_alu instid0(VALU_DEP_1) | instskip(NEXT) | instid1(VALU_DEP_2)
	v_dual_lshlrev_b32 v29, 16, v32 :: v_dual_lshlrev_b32 v32, 20, v62
	v_lshl_add_u32 v28, v28, 23, 0x3c000000
	s_delay_alu instid0(VALU_DEP_2) | instskip(NEXT) | instid1(VALU_DEP_1)
	v_and_b32_e32 v29, 0x80000000, v29
	v_or3_b32 v29, v32, v29, v28
	v_mov_b32_e32 v28, v63
.LBB196_375:                            ;   in Loop: Header=BB196_9 Depth=1
	s_or_b32 exec_lo, exec_lo, s30
.LBB196_376:                            ;   in Loop: Header=BB196_9 Depth=1
	s_delay_alu instid0(SALU_CYCLE_1)
	s_or_b32 exec_lo, exec_lo, s29
.LBB196_377:                            ;   in Loop: Header=BB196_9 Depth=1
	s_delay_alu instid0(SALU_CYCLE_1)
	s_or_b32 exec_lo, exec_lo, s28
	global_load_u16 v32, v[76:77], off offset:1292
	v_mov_b64_e32 v[34:35], 0
	s_wait_loadcnt 0x0
	v_and_b32_e32 v36, 0xffff, v32
	v_and_b32_e32 v32, 0xff, v32
	s_delay_alu instid0(VALU_DEP_1)
	v_cmp_ne_u16_e64 s4, 0, v32
	v_mov_b64_e32 v[32:33], 0
	s_wait_xcnt 0x0
	s_and_saveexec_b32 s28, s4
	s_cbranch_execz .LBB196_385
; %bb.378:                              ;   in Loop: Header=BB196_9 Depth=1
	v_and_b32_e32 v34, 0xff, v36
	s_delay_alu instid0(VALU_DEP_1)
	v_cmp_ne_u16_e64 s4, 0x80, v34
	v_mov_b64_e32 v[34:35], 0x80000000
	s_and_saveexec_b32 s29, s4
	s_cbranch_execz .LBB196_384
; %bb.379:                              ;   in Loop: Header=BB196_9 Depth=1
	v_mov_b64_e32 v[34:35], 0x7f800001
	v_and_b32_e32 v37, 0x7f, v36
	s_mov_b32 s30, exec_lo
	s_delay_alu instid0(VALU_DEP_1)
	v_cmpx_ne_u32_e32 0x7f, v37
	s_cbranch_execz .LBB196_383
; %bb.380:                              ;   in Loop: Header=BB196_9 Depth=1
	v_dual_lshrrev_b32 v34, 3, v37 :: v_dual_bitop2_b32 v62, 7, v36 bitop3:0x40
	s_mov_b32 s31, exec_lo
	v_cmpx_gt_u32_e32 8, v37
; %bb.381:                              ;   in Loop: Header=BB196_9 Depth=1
	s_delay_alu instid0(VALU_DEP_2) | instskip(NEXT) | instid1(VALU_DEP_1)
	v_clz_i32_u32_e32 v34, v62
	v_min_u32_e32 v34, 32, v34
	s_delay_alu instid0(VALU_DEP_1) | instskip(SKIP_1) | instid1(VALU_DEP_2)
	v_subrev_nc_u32_e32 v35, 28, v34
	v_sub_nc_u32_e32 v34, 29, v34
	v_lshlrev_b64_e32 v[38:39], v35, v[62:63]
	s_delay_alu instid0(VALU_DEP_1)
	v_and_b32_e32 v62, 7, v38
; %bb.382:                              ;   in Loop: Header=BB196_9 Depth=1
	s_or_b32 exec_lo, exec_lo, s31
	s_delay_alu instid0(VALU_DEP_1) | instskip(SKIP_1) | instid1(VALU_DEP_2)
	v_dual_lshlrev_b32 v35, 24, v36 :: v_dual_lshlrev_b32 v37, 20, v62
	v_lshl_add_u32 v34, v34, 23, 0x3c000000
	v_and_b32_e32 v35, 0x80000000, v35
	s_delay_alu instid0(VALU_DEP_1) | instskip(NEXT) | instid1(VALU_DEP_1)
	v_or3_b32 v62, v37, v35, v34
	v_mov_b64_e32 v[34:35], v[62:63]
.LBB196_383:                            ;   in Loop: Header=BB196_9 Depth=1
	s_or_b32 exec_lo, exec_lo, s30
.LBB196_384:                            ;   in Loop: Header=BB196_9 Depth=1
	s_delay_alu instid0(SALU_CYCLE_1)
	s_or_b32 exec_lo, exec_lo, s29
.LBB196_385:                            ;   in Loop: Header=BB196_9 Depth=1
	s_delay_alu instid0(SALU_CYCLE_1) | instskip(SKIP_2) | instid1(VALU_DEP_1)
	s_or_b32 exec_lo, exec_lo, s28
	v_lshrrev_b16 v37, 8, v36
	s_mov_b32 s28, exec_lo
	v_cmpx_ne_u16_e32 0, v37
	s_cbranch_execz .LBB196_393
; %bb.386:                              ;   in Loop: Header=BB196_9 Depth=1
	v_mov_b64_e32 v[32:33], 0x8000000000000000
	s_mov_b32 s29, exec_lo
	v_cmpx_ne_u16_e32 0x80, v37
	s_cbranch_execz .LBB196_392
; %bb.387:                              ;   in Loop: Header=BB196_9 Depth=1
	v_and_b32_e32 v38, 0xffff, v37
	v_mov_b64_e32 v[32:33], 0x7f80000100000000
	s_mov_b32 s30, exec_lo
	s_delay_alu instid0(VALU_DEP_2) | instskip(NEXT) | instid1(VALU_DEP_1)
	v_and_b32_e32 v37, 0x7f, v38
	v_cmpx_ne_u32_e32 0x7f, v37
	s_cbranch_execz .LBB196_391
; %bb.388:                              ;   in Loop: Header=BB196_9 Depth=1
	v_dual_lshrrev_b32 v32, 3, v37 :: v_dual_bitop2_b32 v62, 7, v38 bitop3:0x40
	s_mov_b32 s31, exec_lo
	v_cmpx_gt_u32_e32 8, v37
; %bb.389:                              ;   in Loop: Header=BB196_9 Depth=1
	s_delay_alu instid0(VALU_DEP_2) | instskip(NEXT) | instid1(VALU_DEP_1)
	v_clz_i32_u32_e32 v32, v62
	v_min_u32_e32 v32, 32, v32
	s_delay_alu instid0(VALU_DEP_1) | instskip(NEXT) | instid1(VALU_DEP_1)
	v_subrev_nc_u32_e32 v33, 28, v32
	v_lshlrev_b64_e32 v[38:39], v33, v[62:63]
	s_delay_alu instid0(VALU_DEP_1)
	v_dual_sub_nc_u32 v32, 29, v32 :: v_dual_bitop2_b32 v62, 7, v38 bitop3:0x40
; %bb.390:                              ;   in Loop: Header=BB196_9 Depth=1
	s_or_b32 exec_lo, exec_lo, s31
	s_delay_alu instid0(VALU_DEP_1) | instskip(NEXT) | instid1(VALU_DEP_2)
	v_dual_lshlrev_b32 v33, 16, v36 :: v_dual_lshlrev_b32 v36, 20, v62
	v_lshl_add_u32 v32, v32, 23, 0x3c000000
	s_delay_alu instid0(VALU_DEP_2) | instskip(NEXT) | instid1(VALU_DEP_1)
	v_and_b32_e32 v33, 0x80000000, v33
	v_or3_b32 v33, v36, v33, v32
	v_mov_b32_e32 v32, v63
.LBB196_391:                            ;   in Loop: Header=BB196_9 Depth=1
	s_or_b32 exec_lo, exec_lo, s30
.LBB196_392:                            ;   in Loop: Header=BB196_9 Depth=1
	s_delay_alu instid0(SALU_CYCLE_1)
	s_or_b32 exec_lo, exec_lo, s29
.LBB196_393:                            ;   in Loop: Header=BB196_9 Depth=1
	s_delay_alu instid0(SALU_CYCLE_1)
	s_or_b32 exec_lo, exec_lo, s28
	global_load_u16 v36, v[76:77], off offset:1536
	v_mov_b64_e32 v[38:39], 0
	s_wait_loadcnt 0x0
	v_and_b32_e32 v40, 0xffff, v36
	v_and_b32_e32 v36, 0xff, v36
	s_delay_alu instid0(VALU_DEP_1)
	v_cmp_ne_u16_e64 s4, 0, v36
	v_mov_b64_e32 v[36:37], 0
	s_wait_xcnt 0x0
	s_and_saveexec_b32 s28, s4
	s_cbranch_execz .LBB196_401
; %bb.394:                              ;   in Loop: Header=BB196_9 Depth=1
	v_and_b32_e32 v38, 0xff, v40
	s_delay_alu instid0(VALU_DEP_1)
	v_cmp_ne_u16_e64 s4, 0x80, v38
	v_mov_b64_e32 v[38:39], 0x80000000
	s_and_saveexec_b32 s29, s4
	s_cbranch_execz .LBB196_400
; %bb.395:                              ;   in Loop: Header=BB196_9 Depth=1
	v_mov_b64_e32 v[38:39], 0x7f800001
	v_and_b32_e32 v41, 0x7f, v40
	s_mov_b32 s30, exec_lo
	s_delay_alu instid0(VALU_DEP_1)
	v_cmpx_ne_u32_e32 0x7f, v41
	s_cbranch_execz .LBB196_399
; %bb.396:                              ;   in Loop: Header=BB196_9 Depth=1
	v_dual_lshrrev_b32 v38, 3, v41 :: v_dual_bitop2_b32 v62, 7, v40 bitop3:0x40
	s_mov_b32 s31, exec_lo
	v_cmpx_gt_u32_e32 8, v41
; %bb.397:                              ;   in Loop: Header=BB196_9 Depth=1
	s_delay_alu instid0(VALU_DEP_2) | instskip(NEXT) | instid1(VALU_DEP_1)
	v_clz_i32_u32_e32 v38, v62
	v_min_u32_e32 v38, 32, v38
	s_delay_alu instid0(VALU_DEP_1) | instskip(SKIP_1) | instid1(VALU_DEP_2)
	v_subrev_nc_u32_e32 v39, 28, v38
	v_sub_nc_u32_e32 v38, 29, v38
	v_lshlrev_b64_e32 v[42:43], v39, v[62:63]
	s_delay_alu instid0(VALU_DEP_1)
	v_and_b32_e32 v62, 7, v42
; %bb.398:                              ;   in Loop: Header=BB196_9 Depth=1
	s_or_b32 exec_lo, exec_lo, s31
	s_delay_alu instid0(VALU_DEP_1) | instskip(SKIP_1) | instid1(VALU_DEP_2)
	v_dual_lshlrev_b32 v39, 24, v40 :: v_dual_lshlrev_b32 v41, 20, v62
	v_lshl_add_u32 v38, v38, 23, 0x3c000000
	v_and_b32_e32 v39, 0x80000000, v39
	s_delay_alu instid0(VALU_DEP_1) | instskip(NEXT) | instid1(VALU_DEP_1)
	v_or3_b32 v62, v41, v39, v38
	v_mov_b64_e32 v[38:39], v[62:63]
.LBB196_399:                            ;   in Loop: Header=BB196_9 Depth=1
	s_or_b32 exec_lo, exec_lo, s30
.LBB196_400:                            ;   in Loop: Header=BB196_9 Depth=1
	s_delay_alu instid0(SALU_CYCLE_1)
	s_or_b32 exec_lo, exec_lo, s29
.LBB196_401:                            ;   in Loop: Header=BB196_9 Depth=1
	s_delay_alu instid0(SALU_CYCLE_1) | instskip(SKIP_2) | instid1(VALU_DEP_1)
	s_or_b32 exec_lo, exec_lo, s28
	v_lshrrev_b16 v41, 8, v40
	s_mov_b32 s28, exec_lo
	v_cmpx_ne_u16_e32 0, v41
	s_cbranch_execz .LBB196_409
; %bb.402:                              ;   in Loop: Header=BB196_9 Depth=1
	v_mov_b64_e32 v[36:37], 0x8000000000000000
	s_mov_b32 s29, exec_lo
	v_cmpx_ne_u16_e32 0x80, v41
	s_cbranch_execz .LBB196_408
; %bb.403:                              ;   in Loop: Header=BB196_9 Depth=1
	v_and_b32_e32 v42, 0xffff, v41
	v_mov_b64_e32 v[36:37], 0x7f80000100000000
	s_mov_b32 s30, exec_lo
	s_delay_alu instid0(VALU_DEP_2) | instskip(NEXT) | instid1(VALU_DEP_1)
	v_and_b32_e32 v41, 0x7f, v42
	v_cmpx_ne_u32_e32 0x7f, v41
	s_cbranch_execz .LBB196_407
; %bb.404:                              ;   in Loop: Header=BB196_9 Depth=1
	v_dual_lshrrev_b32 v36, 3, v41 :: v_dual_bitop2_b32 v62, 7, v42 bitop3:0x40
	s_mov_b32 s31, exec_lo
	v_cmpx_gt_u32_e32 8, v41
; %bb.405:                              ;   in Loop: Header=BB196_9 Depth=1
	s_delay_alu instid0(VALU_DEP_2) | instskip(NEXT) | instid1(VALU_DEP_1)
	v_clz_i32_u32_e32 v36, v62
	v_min_u32_e32 v36, 32, v36
	s_delay_alu instid0(VALU_DEP_1) | instskip(NEXT) | instid1(VALU_DEP_1)
	v_subrev_nc_u32_e32 v37, 28, v36
	v_lshlrev_b64_e32 v[42:43], v37, v[62:63]
	s_delay_alu instid0(VALU_DEP_1)
	v_dual_sub_nc_u32 v36, 29, v36 :: v_dual_bitop2_b32 v62, 7, v42 bitop3:0x40
; %bb.406:                              ;   in Loop: Header=BB196_9 Depth=1
	s_or_b32 exec_lo, exec_lo, s31
	s_delay_alu instid0(VALU_DEP_1) | instskip(NEXT) | instid1(VALU_DEP_2)
	v_dual_lshlrev_b32 v37, 16, v40 :: v_dual_lshlrev_b32 v40, 20, v62
	v_lshl_add_u32 v36, v36, 23, 0x3c000000
	s_delay_alu instid0(VALU_DEP_2) | instskip(NEXT) | instid1(VALU_DEP_1)
	v_and_b32_e32 v37, 0x80000000, v37
	v_or3_b32 v37, v40, v37, v36
	v_mov_b32_e32 v36, v63
.LBB196_407:                            ;   in Loop: Header=BB196_9 Depth=1
	s_or_b32 exec_lo, exec_lo, s30
.LBB196_408:                            ;   in Loop: Header=BB196_9 Depth=1
	s_delay_alu instid0(SALU_CYCLE_1)
	s_or_b32 exec_lo, exec_lo, s29
.LBB196_409:                            ;   in Loop: Header=BB196_9 Depth=1
	s_delay_alu instid0(SALU_CYCLE_1)
	s_or_b32 exec_lo, exec_lo, s28
	global_load_u16 v40, v[76:77], off offset:1540
	v_mov_b64_e32 v[42:43], 0
	s_wait_loadcnt 0x0
	v_and_b32_e32 v44, 0xffff, v40
	v_and_b32_e32 v40, 0xff, v40
	s_delay_alu instid0(VALU_DEP_1)
	v_cmp_ne_u16_e64 s4, 0, v40
	v_mov_b64_e32 v[40:41], 0
	s_wait_xcnt 0x0
	s_and_saveexec_b32 s28, s4
	s_cbranch_execz .LBB196_417
; %bb.410:                              ;   in Loop: Header=BB196_9 Depth=1
	v_and_b32_e32 v42, 0xff, v44
	s_delay_alu instid0(VALU_DEP_1)
	v_cmp_ne_u16_e64 s4, 0x80, v42
	v_mov_b64_e32 v[42:43], 0x80000000
	s_and_saveexec_b32 s29, s4
	s_cbranch_execz .LBB196_416
; %bb.411:                              ;   in Loop: Header=BB196_9 Depth=1
	v_mov_b64_e32 v[42:43], 0x7f800001
	v_and_b32_e32 v45, 0x7f, v44
	s_mov_b32 s30, exec_lo
	s_delay_alu instid0(VALU_DEP_1)
	v_cmpx_ne_u32_e32 0x7f, v45
	s_cbranch_execz .LBB196_415
; %bb.412:                              ;   in Loop: Header=BB196_9 Depth=1
	v_dual_lshrrev_b32 v42, 3, v45 :: v_dual_bitop2_b32 v62, 7, v44 bitop3:0x40
	s_mov_b32 s31, exec_lo
	v_cmpx_gt_u32_e32 8, v45
; %bb.413:                              ;   in Loop: Header=BB196_9 Depth=1
	s_delay_alu instid0(VALU_DEP_2) | instskip(NEXT) | instid1(VALU_DEP_1)
	v_clz_i32_u32_e32 v42, v62
	v_min_u32_e32 v42, 32, v42
	s_delay_alu instid0(VALU_DEP_1) | instskip(SKIP_1) | instid1(VALU_DEP_2)
	v_subrev_nc_u32_e32 v43, 28, v42
	v_sub_nc_u32_e32 v42, 29, v42
	v_lshlrev_b64_e32 v[46:47], v43, v[62:63]
	s_delay_alu instid0(VALU_DEP_1)
	v_and_b32_e32 v62, 7, v46
; %bb.414:                              ;   in Loop: Header=BB196_9 Depth=1
	s_or_b32 exec_lo, exec_lo, s31
	s_delay_alu instid0(VALU_DEP_1) | instskip(SKIP_1) | instid1(VALU_DEP_2)
	v_dual_lshlrev_b32 v43, 24, v44 :: v_dual_lshlrev_b32 v45, 20, v62
	v_lshl_add_u32 v42, v42, 23, 0x3c000000
	v_and_b32_e32 v43, 0x80000000, v43
	s_delay_alu instid0(VALU_DEP_1) | instskip(NEXT) | instid1(VALU_DEP_1)
	v_or3_b32 v62, v45, v43, v42
	v_mov_b64_e32 v[42:43], v[62:63]
.LBB196_415:                            ;   in Loop: Header=BB196_9 Depth=1
	s_or_b32 exec_lo, exec_lo, s30
.LBB196_416:                            ;   in Loop: Header=BB196_9 Depth=1
	s_delay_alu instid0(SALU_CYCLE_1)
	s_or_b32 exec_lo, exec_lo, s29
.LBB196_417:                            ;   in Loop: Header=BB196_9 Depth=1
	s_delay_alu instid0(SALU_CYCLE_1) | instskip(SKIP_2) | instid1(VALU_DEP_1)
	s_or_b32 exec_lo, exec_lo, s28
	v_lshrrev_b16 v45, 8, v44
	s_mov_b32 s28, exec_lo
	v_cmpx_ne_u16_e32 0, v45
	s_cbranch_execz .LBB196_425
; %bb.418:                              ;   in Loop: Header=BB196_9 Depth=1
	v_mov_b64_e32 v[40:41], 0x8000000000000000
	s_mov_b32 s29, exec_lo
	v_cmpx_ne_u16_e32 0x80, v45
	s_cbranch_execz .LBB196_424
; %bb.419:                              ;   in Loop: Header=BB196_9 Depth=1
	v_and_b32_e32 v46, 0xffff, v45
	v_mov_b64_e32 v[40:41], 0x7f80000100000000
	s_mov_b32 s30, exec_lo
	s_delay_alu instid0(VALU_DEP_2) | instskip(NEXT) | instid1(VALU_DEP_1)
	v_and_b32_e32 v45, 0x7f, v46
	v_cmpx_ne_u32_e32 0x7f, v45
	s_cbranch_execz .LBB196_423
; %bb.420:                              ;   in Loop: Header=BB196_9 Depth=1
	v_dual_lshrrev_b32 v40, 3, v45 :: v_dual_bitop2_b32 v62, 7, v46 bitop3:0x40
	s_mov_b32 s31, exec_lo
	v_cmpx_gt_u32_e32 8, v45
; %bb.421:                              ;   in Loop: Header=BB196_9 Depth=1
	s_delay_alu instid0(VALU_DEP_2) | instskip(NEXT) | instid1(VALU_DEP_1)
	v_clz_i32_u32_e32 v40, v62
	v_min_u32_e32 v40, 32, v40
	s_delay_alu instid0(VALU_DEP_1) | instskip(NEXT) | instid1(VALU_DEP_1)
	v_subrev_nc_u32_e32 v41, 28, v40
	v_lshlrev_b64_e32 v[46:47], v41, v[62:63]
	s_delay_alu instid0(VALU_DEP_1)
	v_dual_sub_nc_u32 v40, 29, v40 :: v_dual_bitop2_b32 v62, 7, v46 bitop3:0x40
; %bb.422:                              ;   in Loop: Header=BB196_9 Depth=1
	s_or_b32 exec_lo, exec_lo, s31
	s_delay_alu instid0(VALU_DEP_1) | instskip(NEXT) | instid1(VALU_DEP_2)
	v_dual_lshlrev_b32 v41, 16, v44 :: v_dual_lshlrev_b32 v44, 20, v62
	v_lshl_add_u32 v40, v40, 23, 0x3c000000
	s_delay_alu instid0(VALU_DEP_2) | instskip(NEXT) | instid1(VALU_DEP_1)
	v_and_b32_e32 v41, 0x80000000, v41
	v_or3_b32 v41, v44, v41, v40
	v_mov_b32_e32 v40, v63
.LBB196_423:                            ;   in Loop: Header=BB196_9 Depth=1
	s_or_b32 exec_lo, exec_lo, s30
.LBB196_424:                            ;   in Loop: Header=BB196_9 Depth=1
	s_delay_alu instid0(SALU_CYCLE_1)
	s_or_b32 exec_lo, exec_lo, s29
.LBB196_425:                            ;   in Loop: Header=BB196_9 Depth=1
	s_delay_alu instid0(SALU_CYCLE_1)
	s_or_b32 exec_lo, exec_lo, s28
	global_load_u16 v44, v[76:77], off offset:1544
	v_mov_b64_e32 v[46:47], 0
	s_wait_loadcnt 0x0
	v_and_b32_e32 v48, 0xffff, v44
	v_and_b32_e32 v44, 0xff, v44
	s_delay_alu instid0(VALU_DEP_1)
	v_cmp_ne_u16_e64 s4, 0, v44
	v_mov_b64_e32 v[44:45], 0
	s_wait_xcnt 0x0
	s_and_saveexec_b32 s28, s4
	s_cbranch_execz .LBB196_433
; %bb.426:                              ;   in Loop: Header=BB196_9 Depth=1
	v_and_b32_e32 v46, 0xff, v48
	s_delay_alu instid0(VALU_DEP_1)
	v_cmp_ne_u16_e64 s4, 0x80, v46
	v_mov_b64_e32 v[46:47], 0x80000000
	s_and_saveexec_b32 s29, s4
	s_cbranch_execz .LBB196_432
; %bb.427:                              ;   in Loop: Header=BB196_9 Depth=1
	v_mov_b64_e32 v[46:47], 0x7f800001
	v_and_b32_e32 v49, 0x7f, v48
	s_mov_b32 s30, exec_lo
	s_delay_alu instid0(VALU_DEP_1)
	v_cmpx_ne_u32_e32 0x7f, v49
	s_cbranch_execz .LBB196_431
; %bb.428:                              ;   in Loop: Header=BB196_9 Depth=1
	v_dual_lshrrev_b32 v46, 3, v49 :: v_dual_bitop2_b32 v62, 7, v48 bitop3:0x40
	s_mov_b32 s31, exec_lo
	v_cmpx_gt_u32_e32 8, v49
; %bb.429:                              ;   in Loop: Header=BB196_9 Depth=1
	s_delay_alu instid0(VALU_DEP_2) | instskip(NEXT) | instid1(VALU_DEP_1)
	v_clz_i32_u32_e32 v46, v62
	v_min_u32_e32 v46, 32, v46
	s_delay_alu instid0(VALU_DEP_1) | instskip(SKIP_1) | instid1(VALU_DEP_2)
	v_subrev_nc_u32_e32 v47, 28, v46
	v_sub_nc_u32_e32 v46, 29, v46
	v_lshlrev_b64_e32 v[50:51], v47, v[62:63]
	s_delay_alu instid0(VALU_DEP_1)
	v_and_b32_e32 v62, 7, v50
; %bb.430:                              ;   in Loop: Header=BB196_9 Depth=1
	s_or_b32 exec_lo, exec_lo, s31
	s_delay_alu instid0(VALU_DEP_1) | instskip(SKIP_1) | instid1(VALU_DEP_2)
	v_dual_lshlrev_b32 v47, 24, v48 :: v_dual_lshlrev_b32 v49, 20, v62
	v_lshl_add_u32 v46, v46, 23, 0x3c000000
	v_and_b32_e32 v47, 0x80000000, v47
	s_delay_alu instid0(VALU_DEP_1) | instskip(NEXT) | instid1(VALU_DEP_1)
	v_or3_b32 v62, v49, v47, v46
	v_mov_b64_e32 v[46:47], v[62:63]
.LBB196_431:                            ;   in Loop: Header=BB196_9 Depth=1
	s_or_b32 exec_lo, exec_lo, s30
.LBB196_432:                            ;   in Loop: Header=BB196_9 Depth=1
	s_delay_alu instid0(SALU_CYCLE_1)
	s_or_b32 exec_lo, exec_lo, s29
.LBB196_433:                            ;   in Loop: Header=BB196_9 Depth=1
	s_delay_alu instid0(SALU_CYCLE_1) | instskip(SKIP_2) | instid1(VALU_DEP_1)
	s_or_b32 exec_lo, exec_lo, s28
	v_lshrrev_b16 v49, 8, v48
	s_mov_b32 s28, exec_lo
	v_cmpx_ne_u16_e32 0, v49
	s_cbranch_execz .LBB196_441
; %bb.434:                              ;   in Loop: Header=BB196_9 Depth=1
	v_mov_b64_e32 v[44:45], 0x8000000000000000
	s_mov_b32 s29, exec_lo
	v_cmpx_ne_u16_e32 0x80, v49
	s_cbranch_execz .LBB196_440
; %bb.435:                              ;   in Loop: Header=BB196_9 Depth=1
	v_and_b32_e32 v50, 0xffff, v49
	v_mov_b64_e32 v[44:45], 0x7f80000100000000
	s_mov_b32 s30, exec_lo
	s_delay_alu instid0(VALU_DEP_2) | instskip(NEXT) | instid1(VALU_DEP_1)
	v_and_b32_e32 v49, 0x7f, v50
	v_cmpx_ne_u32_e32 0x7f, v49
	s_cbranch_execz .LBB196_439
; %bb.436:                              ;   in Loop: Header=BB196_9 Depth=1
	v_dual_lshrrev_b32 v44, 3, v49 :: v_dual_bitop2_b32 v62, 7, v50 bitop3:0x40
	s_mov_b32 s31, exec_lo
	v_cmpx_gt_u32_e32 8, v49
; %bb.437:                              ;   in Loop: Header=BB196_9 Depth=1
	s_delay_alu instid0(VALU_DEP_2) | instskip(NEXT) | instid1(VALU_DEP_1)
	v_clz_i32_u32_e32 v44, v62
	v_min_u32_e32 v44, 32, v44
	s_delay_alu instid0(VALU_DEP_1) | instskip(NEXT) | instid1(VALU_DEP_1)
	v_subrev_nc_u32_e32 v45, 28, v44
	v_lshlrev_b64_e32 v[50:51], v45, v[62:63]
	s_delay_alu instid0(VALU_DEP_1)
	v_dual_sub_nc_u32 v44, 29, v44 :: v_dual_bitop2_b32 v62, 7, v50 bitop3:0x40
; %bb.438:                              ;   in Loop: Header=BB196_9 Depth=1
	s_or_b32 exec_lo, exec_lo, s31
	s_delay_alu instid0(VALU_DEP_1) | instskip(NEXT) | instid1(VALU_DEP_2)
	v_dual_lshlrev_b32 v45, 16, v48 :: v_dual_lshlrev_b32 v48, 20, v62
	v_lshl_add_u32 v44, v44, 23, 0x3c000000
	s_delay_alu instid0(VALU_DEP_2) | instskip(NEXT) | instid1(VALU_DEP_1)
	v_and_b32_e32 v45, 0x80000000, v45
	v_or3_b32 v45, v48, v45, v44
	v_mov_b32_e32 v44, v63
.LBB196_439:                            ;   in Loop: Header=BB196_9 Depth=1
	s_or_b32 exec_lo, exec_lo, s30
.LBB196_440:                            ;   in Loop: Header=BB196_9 Depth=1
	s_delay_alu instid0(SALU_CYCLE_1)
	s_or_b32 exec_lo, exec_lo, s29
.LBB196_441:                            ;   in Loop: Header=BB196_9 Depth=1
	s_delay_alu instid0(SALU_CYCLE_1)
	s_or_b32 exec_lo, exec_lo, s28
	global_load_u16 v48, v[76:77], off offset:1548
	v_mov_b64_e32 v[50:51], 0
	s_wait_loadcnt 0x0
	v_and_b32_e32 v52, 0xffff, v48
	v_and_b32_e32 v48, 0xff, v48
	s_delay_alu instid0(VALU_DEP_1)
	v_cmp_ne_u16_e64 s4, 0, v48
	v_mov_b64_e32 v[48:49], 0
	s_wait_xcnt 0x0
	s_and_saveexec_b32 s28, s4
	s_cbranch_execz .LBB196_449
; %bb.442:                              ;   in Loop: Header=BB196_9 Depth=1
	v_and_b32_e32 v50, 0xff, v52
	s_delay_alu instid0(VALU_DEP_1)
	v_cmp_ne_u16_e64 s4, 0x80, v50
	v_mov_b64_e32 v[50:51], 0x80000000
	s_and_saveexec_b32 s29, s4
	s_cbranch_execz .LBB196_448
; %bb.443:                              ;   in Loop: Header=BB196_9 Depth=1
	v_mov_b64_e32 v[50:51], 0x7f800001
	v_and_b32_e32 v53, 0x7f, v52
	s_mov_b32 s30, exec_lo
	s_delay_alu instid0(VALU_DEP_1)
	v_cmpx_ne_u32_e32 0x7f, v53
	s_cbranch_execz .LBB196_447
; %bb.444:                              ;   in Loop: Header=BB196_9 Depth=1
	v_dual_lshrrev_b32 v50, 3, v53 :: v_dual_bitop2_b32 v62, 7, v52 bitop3:0x40
	s_mov_b32 s31, exec_lo
	v_cmpx_gt_u32_e32 8, v53
; %bb.445:                              ;   in Loop: Header=BB196_9 Depth=1
	s_delay_alu instid0(VALU_DEP_2) | instskip(NEXT) | instid1(VALU_DEP_1)
	v_clz_i32_u32_e32 v50, v62
	v_min_u32_e32 v50, 32, v50
	s_delay_alu instid0(VALU_DEP_1) | instskip(SKIP_1) | instid1(VALU_DEP_2)
	v_subrev_nc_u32_e32 v51, 28, v50
	v_sub_nc_u32_e32 v50, 29, v50
	v_lshlrev_b64_e32 v[54:55], v51, v[62:63]
	s_delay_alu instid0(VALU_DEP_1)
	v_and_b32_e32 v62, 7, v54
; %bb.446:                              ;   in Loop: Header=BB196_9 Depth=1
	s_or_b32 exec_lo, exec_lo, s31
	s_delay_alu instid0(VALU_DEP_1) | instskip(SKIP_1) | instid1(VALU_DEP_2)
	v_dual_lshlrev_b32 v51, 24, v52 :: v_dual_lshlrev_b32 v53, 20, v62
	v_lshl_add_u32 v50, v50, 23, 0x3c000000
	v_and_b32_e32 v51, 0x80000000, v51
	s_delay_alu instid0(VALU_DEP_1) | instskip(NEXT) | instid1(VALU_DEP_1)
	v_or3_b32 v62, v53, v51, v50
	v_mov_b64_e32 v[50:51], v[62:63]
.LBB196_447:                            ;   in Loop: Header=BB196_9 Depth=1
	s_or_b32 exec_lo, exec_lo, s30
.LBB196_448:                            ;   in Loop: Header=BB196_9 Depth=1
	s_delay_alu instid0(SALU_CYCLE_1)
	s_or_b32 exec_lo, exec_lo, s29
.LBB196_449:                            ;   in Loop: Header=BB196_9 Depth=1
	s_delay_alu instid0(SALU_CYCLE_1) | instskip(SKIP_2) | instid1(VALU_DEP_1)
	s_or_b32 exec_lo, exec_lo, s28
	v_lshrrev_b16 v53, 8, v52
	s_mov_b32 s28, exec_lo
	v_cmpx_ne_u16_e32 0, v53
	s_cbranch_execz .LBB196_457
; %bb.450:                              ;   in Loop: Header=BB196_9 Depth=1
	v_mov_b64_e32 v[48:49], 0x8000000000000000
	s_mov_b32 s29, exec_lo
	v_cmpx_ne_u16_e32 0x80, v53
	s_cbranch_execz .LBB196_456
; %bb.451:                              ;   in Loop: Header=BB196_9 Depth=1
	v_and_b32_e32 v54, 0xffff, v53
	v_mov_b64_e32 v[48:49], 0x7f80000100000000
	s_mov_b32 s30, exec_lo
	s_delay_alu instid0(VALU_DEP_2) | instskip(NEXT) | instid1(VALU_DEP_1)
	v_and_b32_e32 v53, 0x7f, v54
	v_cmpx_ne_u32_e32 0x7f, v53
	s_cbranch_execz .LBB196_455
; %bb.452:                              ;   in Loop: Header=BB196_9 Depth=1
	v_dual_lshrrev_b32 v48, 3, v53 :: v_dual_bitop2_b32 v62, 7, v54 bitop3:0x40
	s_mov_b32 s31, exec_lo
	v_cmpx_gt_u32_e32 8, v53
; %bb.453:                              ;   in Loop: Header=BB196_9 Depth=1
	s_delay_alu instid0(VALU_DEP_2) | instskip(NEXT) | instid1(VALU_DEP_1)
	v_clz_i32_u32_e32 v48, v62
	v_min_u32_e32 v48, 32, v48
	s_delay_alu instid0(VALU_DEP_1) | instskip(NEXT) | instid1(VALU_DEP_1)
	v_subrev_nc_u32_e32 v49, 28, v48
	v_lshlrev_b64_e32 v[54:55], v49, v[62:63]
	s_delay_alu instid0(VALU_DEP_1)
	v_dual_sub_nc_u32 v48, 29, v48 :: v_dual_bitop2_b32 v62, 7, v54 bitop3:0x40
; %bb.454:                              ;   in Loop: Header=BB196_9 Depth=1
	s_or_b32 exec_lo, exec_lo, s31
	s_delay_alu instid0(VALU_DEP_1) | instskip(NEXT) | instid1(VALU_DEP_2)
	v_dual_lshlrev_b32 v49, 16, v52 :: v_dual_lshlrev_b32 v52, 20, v62
	v_lshl_add_u32 v48, v48, 23, 0x3c000000
	s_delay_alu instid0(VALU_DEP_2) | instskip(NEXT) | instid1(VALU_DEP_1)
	v_and_b32_e32 v49, 0x80000000, v49
	v_or3_b32 v49, v52, v49, v48
	v_mov_b32_e32 v48, v63
.LBB196_455:                            ;   in Loop: Header=BB196_9 Depth=1
	s_or_b32 exec_lo, exec_lo, s30
.LBB196_456:                            ;   in Loop: Header=BB196_9 Depth=1
	s_delay_alu instid0(SALU_CYCLE_1)
	s_or_b32 exec_lo, exec_lo, s29
.LBB196_457:                            ;   in Loop: Header=BB196_9 Depth=1
	s_delay_alu instid0(SALU_CYCLE_1)
	s_or_b32 exec_lo, exec_lo, s28
	global_load_u16 v52, v[76:77], off offset:1792
	v_mov_b64_e32 v[54:55], 0
	s_wait_loadcnt 0x0
	v_and_b32_e32 v56, 0xffff, v52
	v_and_b32_e32 v52, 0xff, v52
	s_delay_alu instid0(VALU_DEP_1)
	v_cmp_ne_u16_e64 s4, 0, v52
	v_mov_b64_e32 v[52:53], 0
	s_wait_xcnt 0x0
	s_and_saveexec_b32 s28, s4
	s_cbranch_execz .LBB196_465
; %bb.458:                              ;   in Loop: Header=BB196_9 Depth=1
	v_and_b32_e32 v54, 0xff, v56
	s_delay_alu instid0(VALU_DEP_1)
	v_cmp_ne_u16_e64 s4, 0x80, v54
	v_mov_b64_e32 v[54:55], 0x80000000
	s_and_saveexec_b32 s29, s4
	s_cbranch_execz .LBB196_464
; %bb.459:                              ;   in Loop: Header=BB196_9 Depth=1
	v_mov_b64_e32 v[54:55], 0x7f800001
	v_and_b32_e32 v57, 0x7f, v56
	s_mov_b32 s30, exec_lo
	s_delay_alu instid0(VALU_DEP_1)
	v_cmpx_ne_u32_e32 0x7f, v57
	s_cbranch_execz .LBB196_463
; %bb.460:                              ;   in Loop: Header=BB196_9 Depth=1
	v_dual_lshrrev_b32 v54, 3, v57 :: v_dual_bitop2_b32 v62, 7, v56 bitop3:0x40
	s_mov_b32 s31, exec_lo
	v_cmpx_gt_u32_e32 8, v57
; %bb.461:                              ;   in Loop: Header=BB196_9 Depth=1
	s_delay_alu instid0(VALU_DEP_2) | instskip(NEXT) | instid1(VALU_DEP_1)
	v_clz_i32_u32_e32 v54, v62
	v_min_u32_e32 v54, 32, v54
	s_delay_alu instid0(VALU_DEP_1) | instskip(SKIP_1) | instid1(VALU_DEP_2)
	v_subrev_nc_u32_e32 v55, 28, v54
	v_sub_nc_u32_e32 v54, 29, v54
	v_lshlrev_b64_e32 v[70:71], v55, v[62:63]
	s_delay_alu instid0(VALU_DEP_1)
	v_and_b32_e32 v62, 7, v70
; %bb.462:                              ;   in Loop: Header=BB196_9 Depth=1
	s_or_b32 exec_lo, exec_lo, s31
	s_delay_alu instid0(VALU_DEP_1) | instskip(SKIP_1) | instid1(VALU_DEP_2)
	v_dual_lshlrev_b32 v55, 24, v56 :: v_dual_lshlrev_b32 v57, 20, v62
	v_lshl_add_u32 v54, v54, 23, 0x3c000000
	v_and_b32_e32 v55, 0x80000000, v55
	s_delay_alu instid0(VALU_DEP_1) | instskip(NEXT) | instid1(VALU_DEP_1)
	v_or3_b32 v62, v57, v55, v54
	v_mov_b64_e32 v[54:55], v[62:63]
.LBB196_463:                            ;   in Loop: Header=BB196_9 Depth=1
	s_or_b32 exec_lo, exec_lo, s30
.LBB196_464:                            ;   in Loop: Header=BB196_9 Depth=1
	s_delay_alu instid0(SALU_CYCLE_1)
	s_or_b32 exec_lo, exec_lo, s29
.LBB196_465:                            ;   in Loop: Header=BB196_9 Depth=1
	s_delay_alu instid0(SALU_CYCLE_1) | instskip(SKIP_2) | instid1(VALU_DEP_1)
	s_or_b32 exec_lo, exec_lo, s28
	v_lshrrev_b16 v57, 8, v56
	s_mov_b32 s28, exec_lo
	v_cmpx_ne_u16_e32 0, v57
	s_cbranch_execz .LBB196_473
; %bb.466:                              ;   in Loop: Header=BB196_9 Depth=1
	v_mov_b64_e32 v[52:53], 0x8000000000000000
	s_mov_b32 s29, exec_lo
	v_cmpx_ne_u16_e32 0x80, v57
	s_cbranch_execz .LBB196_472
; %bb.467:                              ;   in Loop: Header=BB196_9 Depth=1
	v_and_b32_e32 v61, 0xffff, v57
	v_mov_b64_e32 v[52:53], 0x7f80000100000000
	s_mov_b32 s30, exec_lo
	s_delay_alu instid0(VALU_DEP_2) | instskip(NEXT) | instid1(VALU_DEP_1)
	v_and_b32_e32 v57, 0x7f, v61
	v_cmpx_ne_u32_e32 0x7f, v57
	s_cbranch_execz .LBB196_471
; %bb.468:                              ;   in Loop: Header=BB196_9 Depth=1
	v_and_b32_e32 v62, 7, v61
	v_lshrrev_b32_e32 v52, 3, v57
	s_mov_b32 s31, exec_lo
	v_cmpx_gt_u32_e32 8, v57
; %bb.469:                              ;   in Loop: Header=BB196_9 Depth=1
	s_delay_alu instid0(VALU_DEP_3) | instskip(NEXT) | instid1(VALU_DEP_1)
	v_clz_i32_u32_e32 v52, v62
	v_min_u32_e32 v52, 32, v52
	s_delay_alu instid0(VALU_DEP_1) | instskip(NEXT) | instid1(VALU_DEP_1)
	v_subrev_nc_u32_e32 v53, 28, v52
	v_lshlrev_b64_e32 v[70:71], v53, v[62:63]
	s_delay_alu instid0(VALU_DEP_1)
	v_dual_sub_nc_u32 v52, 29, v52 :: v_dual_bitop2_b32 v62, 7, v70 bitop3:0x40
; %bb.470:                              ;   in Loop: Header=BB196_9 Depth=1
	s_or_b32 exec_lo, exec_lo, s31
	s_delay_alu instid0(VALU_DEP_1) | instskip(NEXT) | instid1(VALU_DEP_2)
	v_dual_lshlrev_b32 v53, 16, v56 :: v_dual_lshlrev_b32 v56, 20, v62
	v_lshl_add_u32 v52, v52, 23, 0x3c000000
	s_delay_alu instid0(VALU_DEP_2) | instskip(NEXT) | instid1(VALU_DEP_1)
	v_and_b32_e32 v53, 0x80000000, v53
	v_or3_b32 v53, v56, v53, v52
	v_mov_b32_e32 v52, v63
.LBB196_471:                            ;   in Loop: Header=BB196_9 Depth=1
	s_or_b32 exec_lo, exec_lo, s30
.LBB196_472:                            ;   in Loop: Header=BB196_9 Depth=1
	s_delay_alu instid0(SALU_CYCLE_1)
	s_or_b32 exec_lo, exec_lo, s29
.LBB196_473:                            ;   in Loop: Header=BB196_9 Depth=1
	s_delay_alu instid0(SALU_CYCLE_1)
	s_or_b32 exec_lo, exec_lo, s28
	global_load_u16 v56, v[76:77], off offset:1796
	s_wait_xcnt 0x0
	v_mov_b64_e32 v[76:77], 0
	s_wait_loadcnt 0x0
	v_and_b32_e32 v61, 0xffff, v56
	v_and_b32_e32 v56, 0xff, v56
	s_delay_alu instid0(VALU_DEP_1)
	v_cmp_ne_u16_e64 s4, 0, v56
	v_mov_b64_e32 v[56:57], 0
	s_and_saveexec_b32 s28, s4
	s_cbranch_execz .LBB196_481
; %bb.474:                              ;   in Loop: Header=BB196_9 Depth=1
	v_mov_b64_e32 v[76:77], 0x80000000
	v_and_b32_e32 v62, 0xff, v61
	s_mov_b32 s29, exec_lo
	s_delay_alu instid0(VALU_DEP_1)
	v_cmpx_ne_u16_e32 0x80, v62
	s_cbranch_execz .LBB196_480
; %bb.475:                              ;   in Loop: Header=BB196_9 Depth=1
	v_mov_b64_e32 v[76:77], 0x7f800001
	v_and_b32_e32 v70, 0x7f, v61
	s_mov_b32 s30, exec_lo
	s_delay_alu instid0(VALU_DEP_1)
	v_cmpx_ne_u32_e32 0x7f, v70
	s_cbranch_execz .LBB196_479
; %bb.476:                              ;   in Loop: Header=BB196_9 Depth=1
	v_dual_lshrrev_b32 v76, 3, v70 :: v_dual_bitop2_b32 v62, 7, v61 bitop3:0x40
	s_mov_b32 s31, exec_lo
	v_cmpx_gt_u32_e32 8, v70
; %bb.477:                              ;   in Loop: Header=BB196_9 Depth=1
	s_delay_alu instid0(VALU_DEP_2) | instskip(NEXT) | instid1(VALU_DEP_1)
	v_clz_i32_u32_e32 v70, v62
	v_min_u32_e32 v76, 32, v70
	s_delay_alu instid0(VALU_DEP_1) | instskip(NEXT) | instid1(VALU_DEP_1)
	v_subrev_nc_u32_e32 v70, 28, v76
	v_lshlrev_b64_e32 v[70:71], v70, v[62:63]
	s_delay_alu instid0(VALU_DEP_1)
	v_dual_sub_nc_u32 v76, 29, v76 :: v_dual_bitop2_b32 v62, 7, v70 bitop3:0x40
; %bb.478:                              ;   in Loop: Header=BB196_9 Depth=1
	s_or_b32 exec_lo, exec_lo, s31
	s_delay_alu instid0(VALU_DEP_1) | instskip(NEXT) | instid1(VALU_DEP_2)
	v_dual_lshlrev_b32 v70, 24, v61 :: v_dual_lshlrev_b32 v62, 20, v62
	v_lshl_add_u32 v71, v76, 23, 0x3c000000
	s_delay_alu instid0(VALU_DEP_2) | instskip(NEXT) | instid1(VALU_DEP_1)
	v_and_b32_e32 v70, 0x80000000, v70
	v_or3_b32 v62, v62, v70, v71
	s_delay_alu instid0(VALU_DEP_1)
	v_mov_b64_e32 v[76:77], v[62:63]
.LBB196_479:                            ;   in Loop: Header=BB196_9 Depth=1
	s_or_b32 exec_lo, exec_lo, s30
.LBB196_480:                            ;   in Loop: Header=BB196_9 Depth=1
	s_delay_alu instid0(SALU_CYCLE_1)
	s_or_b32 exec_lo, exec_lo, s29
.LBB196_481:                            ;   in Loop: Header=BB196_9 Depth=1
	s_delay_alu instid0(SALU_CYCLE_1) | instskip(SKIP_2) | instid1(VALU_DEP_1)
	s_or_b32 exec_lo, exec_lo, s28
	v_lshrrev_b16 v62, 8, v61
	s_mov_b32 s28, exec_lo
	v_cmpx_ne_u16_e32 0, v62
	s_cbranch_execz .LBB196_489
; %bb.482:                              ;   in Loop: Header=BB196_9 Depth=1
	v_mov_b64_e32 v[56:57], 0x8000000000000000
	s_mov_b32 s29, exec_lo
	v_cmpx_ne_u16_e32 0x80, v62
	s_cbranch_execz .LBB196_488
; %bb.483:                              ;   in Loop: Header=BB196_9 Depth=1
	v_and_b32_e32 v62, 0xffff, v62
	v_mov_b64_e32 v[56:57], 0x7f80000100000000
	s_mov_b32 s30, exec_lo
	s_delay_alu instid0(VALU_DEP_2) | instskip(NEXT) | instid1(VALU_DEP_1)
	v_and_b32_e32 v70, 0x7f, v62
	v_cmpx_ne_u32_e32 0x7f, v70
	s_cbranch_execz .LBB196_487
; %bb.484:                              ;   in Loop: Header=BB196_9 Depth=1
	v_and_b32_e32 v62, 7, v62
	v_lshrrev_b32_e32 v56, 3, v70
	s_mov_b32 s31, exec_lo
	v_cmpx_gt_u32_e32 8, v70
; %bb.485:                              ;   in Loop: Header=BB196_9 Depth=1
	s_delay_alu instid0(VALU_DEP_3) | instskip(NEXT) | instid1(VALU_DEP_1)
	v_clz_i32_u32_e32 v56, v62
	v_min_u32_e32 v56, 32, v56
	s_delay_alu instid0(VALU_DEP_1) | instskip(NEXT) | instid1(VALU_DEP_1)
	v_subrev_nc_u32_e32 v57, 28, v56
	v_lshlrev_b64_e32 v[70:71], v57, v[62:63]
	s_delay_alu instid0(VALU_DEP_1)
	v_dual_sub_nc_u32 v56, 29, v56 :: v_dual_bitop2_b32 v62, 7, v70 bitop3:0x40
; %bb.486:                              ;   in Loop: Header=BB196_9 Depth=1
	s_or_b32 exec_lo, exec_lo, s31
	s_delay_alu instid0(VALU_DEP_1) | instskip(NEXT) | instid1(VALU_DEP_2)
	v_dual_lshlrev_b32 v57, 16, v61 :: v_dual_lshlrev_b32 v61, 20, v62
	v_lshl_add_u32 v56, v56, 23, 0x3c000000
	s_delay_alu instid0(VALU_DEP_2) | instskip(NEXT) | instid1(VALU_DEP_1)
	v_and_b32_e32 v57, 0x80000000, v57
	v_or3_b32 v57, v61, v57, v56
	v_mov_b32_e32 v56, v63
.LBB196_487:                            ;   in Loop: Header=BB196_9 Depth=1
	s_or_b32 exec_lo, exec_lo, s30
.LBB196_488:                            ;   in Loop: Header=BB196_9 Depth=1
	s_delay_alu instid0(SALU_CYCLE_1)
	s_or_b32 exec_lo, exec_lo, s29
.LBB196_489:                            ;   in Loop: Header=BB196_9 Depth=1
	s_delay_alu instid0(SALU_CYCLE_1)
	s_or_b32 exec_lo, exec_lo, s28
	v_or_b32_e32 v9, v9, v11
	v_or_b32_e32 v8, v8, v10
	;; [unrolled: 1-line block ×4, first 2 shown]
	scratch_load_b64 v[0:1], off, off th:TH_LOAD_LU ; 8-byte Folded Reload
	v_or_b32_e32 v69, v69, v75
	v_or_b32_e32 v68, v68, v74
	;; [unrolled: 1-line block ×16, first 2 shown]
	s_wait_loadcnt 0x0
	v_or_b32_e32 v3, v73, v1
	v_or_b32_e32 v2, v72, v0
	scratch_load_b128 v[72:75], off, off offset:12 ; 16-byte Folded Reload
	v_mov_b64_e32 v[0:1], s[20:21]
	s_delay_alu instid0(VALU_DEP_1) | instskip(SKIP_3) | instid1(VALU_DEP_3)
	v_pk_mul_f32 v[2:3], v[0:1], v[2:3]
	v_pk_mul_f32 v[68:69], v[0:1], v[68:69]
	v_pk_mul_f32 v[4:5], v[0:1], v[4:5]
	s_wait_loadcnt 0x0
	v_dual_mul_f32 v2, v74, v2 :: v_dual_mul_f32 v3, v75, v3
	v_pk_mul_f32 v[6:7], v[0:1], v[8:9]
	v_or_b32_e32 v9, v13, v15
	v_or_b32_e32 v8, v12, v14
	s_delay_alu instid0(VALU_DEP_4)
	v_dual_fmac_f32 v2, v72, v68 :: v_dual_fmac_f32 v3, v73, v69
	scratch_load_b128 v[72:75], off, off offset:28 ; 16-byte Folded Reload
	v_pk_mul_f32 v[68:69], v[0:1], v[78:79]
	v_or_b32_e32 v65, v127, v65
	v_or_b32_e32 v64, v126, v64
	v_pk_mul_f32 v[10:11], v[0:1], v[10:11]
	v_pk_mul_f32 v[8:9], v[0:1], v[8:9]
	s_wait_loadcnt 0x0
	v_dual_fmac_f32 v2, v72, v68 :: v_dual_fmac_f32 v3, v73, v69
	v_pk_mul_f32 v[68:69], v[0:1], v[82:83]
	v_or_b32_e32 v71, v123, v125
	v_or_b32_e32 v70, v122, v124
	v_pk_mul_f32 v[64:65], v[0:1], v[64:65]
	s_delay_alu instid0(VALU_DEP_4) | instskip(SKIP_4) | instid1(VALU_DEP_2)
	v_dual_fmac_f32 v2, v74, v68 :: v_dual_fmac_f32 v3, v75, v69
	scratch_load_b128 v[72:75], off, off offset:44 ; 16-byte Folded Reload
	v_pk_mul_f32 v[68:69], v[0:1], v[86:87]
	v_or_b32_e32 v119, v119, v121
	s_wait_loadcnt 0x0
	v_dual_fmac_f32 v3, v73, v69 :: v_dual_bitop2_b32 v118, v118, v120 bitop3:0x54
	s_delay_alu instid0(VALU_DEP_3) | instskip(SKIP_2) | instid1(VALU_DEP_2)
	v_fmac_f32_e32 v2, v72, v68
	v_pk_mul_f32 v[68:69], v[0:1], v[90:91]
	v_or_b32_e32 v115, v115, v117
	v_dual_fmac_f32 v3, v75, v69 :: v_dual_bitop2_b32 v114, v114, v116 bitop3:0x54
	s_delay_alu instid0(VALU_DEP_3) | instskip(SKIP_4) | instid1(VALU_DEP_2)
	v_fmac_f32_e32 v2, v74, v68
	scratch_load_b128 v[72:75], off, off offset:60 ; 16-byte Folded Reload
	v_pk_mul_f32 v[68:69], v[0:1], v[94:95]
	v_or_b32_e32 v111, v111, v113
	s_wait_loadcnt 0x0
	v_dual_fmac_f32 v3, v73, v69 :: v_dual_bitop2_b32 v110, v110, v112 bitop3:0x54
	s_delay_alu instid0(VALU_DEP_3) | instskip(SKIP_2) | instid1(VALU_DEP_2)
	v_fmac_f32_e32 v2, v72, v68
	v_pk_mul_f32 v[68:69], v[0:1], v[98:99]
	v_or_b32_e32 v107, v107, v109
	v_dual_fmac_f32 v3, v75, v69 :: v_dual_bitop2_b32 v106, v106, v108 bitop3:0x54
	s_delay_alu instid0(VALU_DEP_3) | instskip(SKIP_3) | instid1(VALU_DEP_1)
	v_fmac_f32_e32 v2, v74, v68
	scratch_load_b128 v[72:75], off, off offset:76 ; 16-byte Folded Reload
	v_or_b32_e32 v103, v103, v105
	v_or_b32_e32 v102, v102, v104
	v_pk_mul_f32 v[68:69], v[0:1], v[102:103]
	s_wait_loadcnt 0x0
	s_delay_alu instid0(VALU_DEP_1) | instskip(SKIP_1) | instid1(VALU_DEP_1)
	v_dual_fmac_f32 v2, v72, v68 :: v_dual_fmac_f32 v3, v73, v69
	v_pk_mul_f32 v[68:69], v[0:1], v[106:107]
	v_dual_fmac_f32 v2, v74, v68 :: v_dual_fmac_f32 v3, v75, v69
	scratch_load_b128 v[72:75], off, off offset:92 ; 16-byte Folded Reload
	v_pk_mul_f32 v[68:69], v[0:1], v[110:111]
	s_wait_loadcnt 0x0
	s_delay_alu instid0(VALU_DEP_1) | instskip(SKIP_1) | instid1(VALU_DEP_1)
	v_dual_fmac_f32 v2, v72, v68 :: v_dual_fmac_f32 v3, v73, v69
	v_pk_mul_f32 v[68:69], v[0:1], v[114:115]
	v_dual_fmac_f32 v2, v74, v68 :: v_dual_fmac_f32 v3, v75, v69
	scratch_load_b128 v[72:75], off, off offset:108 ; 16-byte Folded Reload
	;; [unrolled: 7-line block ×3, first 2 shown]
	s_wait_loadcnt 0x0
	v_dual_fmac_f32 v2, v68, v64 :: v_dual_fmac_f32 v3, v69, v65
	s_delay_alu instid0(VALU_DEP_1) | instskip(SKIP_3) | instid1(VALU_DEP_1)
	v_dual_fmac_f32 v2, v70, v10 :: v_dual_fmac_f32 v3, v71, v11
	scratch_load_b128 v[10:13], off, off offset:140 ; 16-byte Folded Reload
	s_wait_loadcnt 0x0
	v_dual_fmac_f32 v2, v10, v6 :: v_dual_fmac_f32 v3, v11, v7
	v_dual_fmac_f32 v2, v12, v4 :: v_dual_fmac_f32 v3, v13, v5
	scratch_load_b128 v[10:13], off, off offset:156 ; 16-byte Folded Reload
	s_wait_loadcnt 0x0
	v_dual_fmac_f32 v2, v10, v8 :: v_dual_bitop2_b32 v7, v17, v19 bitop3:0x54
	v_dual_fmac_f32 v3, v11, v9 :: v_dual_bitop2_b32 v6, v16, v18 bitop3:0x54
	s_delay_alu instid0(VALU_DEP_1) | instskip(NEXT) | instid1(VALU_DEP_1)
	v_pk_mul_f32 v[6:7], v[0:1], v[6:7]
	v_dual_fmac_f32 v2, v12, v6 :: v_dual_fmac_f32 v3, v13, v7
	scratch_load_b128 v[10:13], off, off offset:172 ; 16-byte Folded Reload
	v_or_b32_e32 v5, v21, v23
	v_or_b32_e32 v4, v20, v22
	s_delay_alu instid0(VALU_DEP_1) | instskip(SKIP_1) | instid1(VALU_DEP_1)
	v_pk_mul_f32 v[4:5], v[0:1], v[4:5]
	s_wait_loadcnt 0x0
	v_dual_fmac_f32 v2, v10, v4 :: v_dual_bitop2_b32 v9, v25, v27 bitop3:0x54
	s_delay_alu instid0(VALU_DEP_2) | instskip(NEXT) | instid1(VALU_DEP_1)
	v_dual_fmac_f32 v3, v11, v5 :: v_dual_bitop2_b32 v8, v24, v26 bitop3:0x54
	v_pk_mul_f32 v[8:9], v[0:1], v[8:9]
	s_delay_alu instid0(VALU_DEP_1) | instskip(SKIP_3) | instid1(VALU_DEP_1)
	v_dual_fmac_f32 v2, v12, v8 :: v_dual_fmac_f32 v3, v13, v9
	scratch_load_b128 v[10:13], off, off offset:188 ; 16-byte Folded Reload
	v_or_b32_e32 v7, v29, v31
	v_or_b32_e32 v6, v28, v30
	v_pk_mul_f32 v[6:7], v[0:1], v[6:7]
	s_wait_loadcnt 0x0
	s_delay_alu instid0(VALU_DEP_1) | instskip(NEXT) | instid1(VALU_DEP_2)
	v_dual_fmac_f32 v2, v10, v6 :: v_dual_bitop2_b32 v5, v33, v35 bitop3:0x54
	v_dual_fmac_f32 v3, v11, v7 :: v_dual_bitop2_b32 v4, v32, v34 bitop3:0x54
	s_delay_alu instid0(VALU_DEP_1) | instskip(NEXT) | instid1(VALU_DEP_1)
	v_pk_mul_f32 v[4:5], v[0:1], v[4:5]
	v_dual_fmac_f32 v2, v12, v4 :: v_dual_fmac_f32 v3, v13, v5
	scratch_load_b128 v[10:13], off, off offset:204 ; 16-byte Folded Reload
	v_or_b32_e32 v9, v37, v39
	v_or_b32_e32 v8, v36, v38
	s_delay_alu instid0(VALU_DEP_1) | instskip(SKIP_1) | instid1(VALU_DEP_1)
	v_pk_mul_f32 v[8:9], v[0:1], v[8:9]
	s_wait_loadcnt 0x0
	v_dual_fmac_f32 v2, v10, v8 :: v_dual_bitop2_b32 v7, v41, v43 bitop3:0x54
	s_delay_alu instid0(VALU_DEP_2) | instskip(NEXT) | instid1(VALU_DEP_1)
	v_dual_fmac_f32 v3, v11, v9 :: v_dual_bitop2_b32 v6, v40, v42 bitop3:0x54
	v_pk_mul_f32 v[6:7], v[0:1], v[6:7]
	s_delay_alu instid0(VALU_DEP_1) | instskip(SKIP_3) | instid1(VALU_DEP_1)
	v_dual_fmac_f32 v2, v12, v6 :: v_dual_fmac_f32 v3, v13, v7
	scratch_load_b128 v[10:13], off, off offset:220 ; 16-byte Folded Reload
	v_or_b32_e32 v5, v45, v47
	v_or_b32_e32 v4, v44, v46
	v_pk_mul_f32 v[4:5], v[0:1], v[4:5]
	s_wait_loadcnt 0x0
	s_delay_alu instid0(VALU_DEP_1) | instskip(NEXT) | instid1(VALU_DEP_2)
	v_dual_fmac_f32 v2, v10, v4 :: v_dual_bitop2_b32 v9, v49, v51 bitop3:0x54
	v_dual_fmac_f32 v3, v11, v5 :: v_dual_bitop2_b32 v8, v48, v50 bitop3:0x54
	s_delay_alu instid0(VALU_DEP_1) | instskip(NEXT) | instid1(VALU_DEP_1)
	v_pk_mul_f32 v[8:9], v[0:1], v[8:9]
	v_dual_fmac_f32 v2, v12, v8 :: v_dual_fmac_f32 v3, v13, v9
	scratch_load_b128 v[8:11], off, off offset:236 ; 16-byte Folded Reload
	v_or_b32_e32 v7, v53, v55
	v_or_b32_e32 v6, v52, v54
	s_delay_alu instid0(VALU_DEP_1) | instskip(SKIP_1) | instid1(VALU_DEP_1)
	v_pk_mul_f32 v[6:7], v[0:1], v[6:7]
	s_wait_loadcnt 0x0
	v_dual_fmac_f32 v2, v8, v6 :: v_dual_bitop2_b32 v5, v57, v77 bitop3:0x54
	s_delay_alu instid0(VALU_DEP_2) | instskip(NEXT) | instid1(VALU_DEP_1)
	v_dual_fmac_f32 v3, v9, v7 :: v_dual_bitop2_b32 v4, v56, v76 bitop3:0x54
	v_pk_mul_f32 v[0:1], v[0:1], v[4:5]
	s_delay_alu instid0(VALU_DEP_1) | instskip(SKIP_2) | instid1(VALU_DEP_1)
	v_fmac_f32_e32 v3, v11, v1
	scratch_load_b32 v1, off, off offset:252 ; 4-byte Folded Reload
	v_fmac_f32_e32 v2, v10, v0
	v_add_f32_e32 v0, v2, v3
	s_wait_loadcnt 0x0
	ds_bpermute_b32 v1, v1, v0
	s_wait_xcnt 0x0
	s_and_saveexec_b32 s28, vcc_lo
	s_cbranch_execz .LBB196_8
; %bb.490:                              ;   in Loop: Header=BB196_9 Depth=1
	scratch_load_b32 v3, off, off offset:8  ; 4-byte Folded Reload
	s_wait_dscnt 0x0
	v_dual_add_nc_u32 v2, s11, v58 :: v_dual_add_f32 v0, v0, v1
	v_cmp_gt_i32_e64 s4, s25, v58
	s_delay_alu instid0(VALU_DEP_2) | instskip(NEXT) | instid1(VALU_DEP_1)
	v_cvt_f32_i32_e32 v2, v2
	v_mul_f32_e32 v2, s18, v2
	s_wait_loadcnt 0x0
	s_delay_alu instid0(VALU_DEP_1) | instskip(NEXT) | instid1(VALU_DEP_1)
	v_dual_cndmask_b32 v1, 0, v2, s3 :: v_dual_max_num_f32 v2, v3, v3
	v_fmac_f32_e32 v1, s19, v0
	s_delay_alu instid0(VALU_DEP_1) | instskip(NEXT) | instid1(VALU_DEP_1)
	v_dual_max_num_f32 v0, v2, v1 :: v_dual_cndmask_b32 v1, 0, v1, s4
	v_cndmask_b32_e64 v3, v3, v0, s4
	ds_store_b32 v59, v1
	scratch_store_b32 off, v3, off offset:8 ; 4-byte Folded Spill
	s_branch .LBB196_8
.LBB196_491:
	s_or_b32 exec_lo, exec_lo, s5
	s_clause 0x3
	scratch_load_b32 v22, off, off offset:272
	scratch_load_b32 v24, off, off offset:276
	;; [unrolled: 1-line block ×4, first 2 shown]
	v_mov_b32_e32 v8, 32
.LBB196_492:
	s_wait_xcnt 0x0
	s_or_b32 exec_lo, exec_lo, s26
	s_wait_loadcnt 0x1
	v_xor_b32_e32 v0, 16, v10
	s_wait_kmcnt 0x0
	s_clause 0x1
	s_load_b64 s[4:5], s[0:1], 0x0
	s_load_b64 s[18:19], s[0:1], 0x18
	v_xor_b32_e32 v2, 8, v10
	v_cmp_lt_i32_e32 vcc_lo, v0, v8
	v_cndmask_b32_e32 v0, v10, v0, vcc_lo
	s_delay_alu instid0(VALU_DEP_3) | instskip(NEXT) | instid1(VALU_DEP_2)
	v_cmp_lt_i32_e32 vcc_lo, v2, v8
	v_dual_lshlrev_b32 v0, 2, v0 :: v_dual_cndmask_b32 v2, v10, v2, vcc_lo
	s_wait_loadcnt_dscnt 0x0
	ds_bpermute_b32 v1, v0, v3
	s_wait_dscnt 0x0
	v_dual_max_num_f32 v3, v3, v3 :: v_dual_max_num_f32 v4, v1, v1
	s_delay_alu instid0(VALU_DEP_1)
	v_dual_lshlrev_b32 v1, 2, v2 :: v_dual_max_num_f32 v3, v3, v4
	v_xor_b32_e32 v4, 4, v10
	ds_bpermute_b32 v2, v1, v3
	v_cmp_lt_i32_e32 vcc_lo, v4, v8
	s_wait_dscnt 0x0
	v_max_num_f32_e32 v5, v2, v2
	s_delay_alu instid0(VALU_DEP_1) | instskip(NEXT) | instid1(VALU_DEP_1)
	v_dual_cndmask_b32 v4, v10, v4 :: v_dual_max_num_f32 v3, v3, v5
	v_lshlrev_b32_e32 v2, 2, v4
	ds_bpermute_b32 v4, v2, v3
	s_wait_dscnt 0x0
	v_dual_max_num_f32 v4, v4, v4 :: v_dual_bitop2_b32 v5, 2, v10 bitop3:0x14
	s_delay_alu instid0(VALU_DEP_1) | instskip(NEXT) | instid1(VALU_DEP_2)
	v_cmp_lt_i32_e32 vcc_lo, v5, v8
	v_dual_max_num_f32 v4, v3, v4 :: v_dual_cndmask_b32 v5, v10, v5
	scratch_load_b32 v3, off, off offset:264 ; 4-byte Folded Reload
	s_wait_loadcnt 0x0
	v_dual_lshlrev_b32 v89, 2, v5 :: v_dual_bitop2_b32 v88, 31, v3 bitop3:0x40
	scratch_load_b32 v3, off, off offset:268 ; 4-byte Folded Reload
	ds_bpermute_b32 v5, v89, v4
	v_cmp_eq_u32_e32 vcc_lo, 0, v88
	s_wait_loadcnt 0x0
	v_lshlrev_b32_e32 v3, 2, v3
	s_wait_xcnt 0x0
	s_and_saveexec_b32 s0, vcc_lo
	s_cbranch_execz .LBB196_494
; %bb.493:
	s_wait_dscnt 0x0
	v_dual_max_num_f32 v5, v5, v5 :: v_dual_max_num_f32 v4, v4, v4
	s_delay_alu instid0(VALU_DEP_1)
	v_max_num_f32_e32 v4, v4, v5
	ds_store_b32 v3, v4 offset:480
.LBB196_494:
	s_or_b32 exec_lo, exec_lo, s0
	v_cmp_gt_u32_e64 s0, 4, v88
	s_wait_dscnt 0x0
	v_dual_mov_b32 v5, 0xff7fffff :: v_dual_lshlrev_b32 v4, 2, v88
	s_wait_storecnt 0x0
	s_barrier_signal -1
	s_barrier_wait -1
	s_and_saveexec_b32 s1, s0
; %bb.495:
	ds_load_b32 v5, v4 offset:480
; %bb.496:
	s_or_b32 exec_lo, exec_lo, s1
	s_wait_dscnt 0x0
	ds_bpermute_b32 v6, v89, v5
	v_dual_max_num_f32 v5, v5, v5 :: v_dual_bitop2_b32 v7, 1, v10 bitop3:0x14
	s_delay_alu instid0(VALU_DEP_1) | instskip(SKIP_2) | instid1(VALU_DEP_2)
	v_cmp_lt_i32_e64 s1, v7, v8
	s_wait_dscnt 0x0
	v_max_num_f32_e32 v6, v6, v6
	v_cndmask_b32_e64 v7, v10, v7, s1
	s_lshl_b32 s1, s13, 4
	s_delay_alu instid0(SALU_CYCLE_1) | instskip(NEXT) | instid1(VALU_DEP_1)
	s_min_i32 s11, s1, s25
	v_dual_max_num_f32 v5, v5, v6 :: v_dual_lshlrev_b32 v90, 2, v7
	ds_bpermute_b32 v6, v90, v5
	s_wait_dscnt 0x0
	v_max_num_f32_e32 v6, v6, v6
	s_delay_alu instid0(VALU_DEP_1)
	v_dual_max_num_f32 v5, v5, v6 :: v_dual_lshlrev_b32 v6, 2, v63
	ds_bpermute_b32 v6, v6, v5
	scratch_load_b32 v5, off, off offset:264 ; 4-byte Folded Reload
	s_wait_loadcnt 0x0
	v_cmp_gt_i32_e64 s1, s11, v5
	v_mov_b32_e32 v5, 0
	s_and_saveexec_b32 s20, s1
	s_cbranch_execz .LBB196_500
; %bb.497:
	scratch_load_b32 v8, off, off offset:264 ; 4-byte Folded Reload
	v_mov_b32_e32 v5, 0
	s_mov_b32 s21, 0
	s_wait_loadcnt 0x0
	v_lshl_add_u32 v7, v8, 2, 0x200
.LBB196_498:                            ; =>This Inner Loop Header: Depth=1
	ds_load_b32 v9, v7
	v_add_nc_u32_e32 v8, 0x80, v8
	s_delay_alu instid0(VALU_DEP_1) | instskip(SKIP_3) | instid1(VALU_DEP_1)
	v_cmp_le_i32_e64 s3, s11, v8
	s_or_b32 s21, s3, s21
	s_wait_dscnt 0x0
	v_sub_f32_e32 v9, v9, v6
	v_mul_f32_e32 v9, 0x3fb8aa3b, v9
	s_delay_alu instid0(VALU_DEP_1)
	v_exp_f32_e32 v9, v9
	ds_store_b32 v7, v9
	v_nop
	v_add_f32_e32 v5, v5, v9
	v_add_nc_u32_e32 v7, 0x200, v7
	s_and_not1_b32 exec_lo, exec_lo, s21
	s_cbranch_execnz .LBB196_498
; %bb.499:
	s_or_b32 exec_lo, exec_lo, s21
.LBB196_500:
	s_delay_alu instid0(SALU_CYCLE_1)
	s_or_b32 exec_lo, exec_lo, s20
	ds_bpermute_b32 v0, v0, v5
	s_wait_dscnt 0x0
	v_add_f32_e32 v0, v5, v0
	ds_bpermute_b32 v1, v1, v0
	s_wait_dscnt 0x0
	v_add_f32_e32 v0, v0, v1
	;; [unrolled: 3-line block ×5, first 2 shown]
	s_and_saveexec_b32 s3, vcc_lo
; %bb.501:
	ds_store_b32 v3, v0 offset:496
; %bb.502:
	s_or_b32 exec_lo, exec_lo, s3
	s_wait_dscnt 0x0
	s_barrier_signal -1
	s_barrier_wait -1
	s_and_saveexec_b32 s3, s0
; %bb.503:
	ds_load_b32 v0, v4 offset:496
; %bb.504:
	s_or_b32 exec_lo, exec_lo, s3
	s_wait_dscnt 0x0
	ds_bpermute_b32 v1, v89, v0
	s_wait_dscnt 0x0
	v_dual_lshlrev_b32 v2, 2, v10 :: v_dual_add_f32 v0, v0, v1
	ds_bpermute_b32 v1, v90, v0
	s_wait_dscnt 0x0
	v_add_f32_e32 v0, v0, v1
	v_and_b32_e32 v1, 0xffffff80, v2
	ds_bpermute_b32 v0, v1, v0
	s_and_saveexec_b32 s0, s1
	s_cbranch_execz .LBB196_517
; %bb.505:
	s_wait_dscnt 0x0
	v_add_f32_e32 v0, 0x358637bd, v0
	s_mov_b32 s3, -1
	s_mov_b32 s1, exec_lo
	s_delay_alu instid0(VALU_DEP_1) | instskip(NEXT) | instid1(VALU_DEP_1)
	v_div_scale_f32 v1, null, v0, v0, 1.0
	v_rcp_f32_e32 v3, v1
	v_nop
	s_delay_alu instid0(TRANS32_DEP_1) | instskip(NEXT) | instid1(VALU_DEP_1)
	v_fma_f32 v2, -v1, v3, 1.0
	v_fmac_f32_e32 v3, v2, v3
	v_div_scale_f32 v4, vcc_lo, 1.0, v0, 1.0
	s_delay_alu instid0(VALU_DEP_1) | instskip(NEXT) | instid1(VALU_DEP_1)
	v_mul_f32_e32 v5, v4, v3
	v_fma_f32 v2, -v1, v5, v4
	s_delay_alu instid0(VALU_DEP_1) | instskip(NEXT) | instid1(VALU_DEP_1)
	v_fmac_f32_e32 v5, v2, v3
	v_fma_f32 v1, -v1, v5, v4
	scratch_load_b32 v4, off, off offset:264 ; 4-byte Folded Reload
	v_div_fmas_f32 v1, v1, v3, v5
	s_delay_alu instid0(VALU_DEP_1) | instskip(SKIP_3) | instid1(VALU_DEP_2)
	v_div_fixup_f32 v0, v1, v0, 1.0
	s_wait_loadcnt 0x0
	v_xad_u32 v2, v4, -1, s11
	v_mov_b32_e32 v1, v4
	v_cmpx_lt_u32_e32 0x7f, v2
	s_cbranch_execz .LBB196_514
; %bb.506:
	v_dual_mov_b32 v1, v0 :: v_dual_lshrrev_b32 v2, 7, v2
	s_delay_alu instid0(VALU_DEP_1) | instskip(NEXT) | instid1(VALU_DEP_1)
	v_dual_mov_b32 v6, 0 :: v_dual_add_nc_u32 v3, -1, v2
	v_lshrrev_b32_e32 v4, 1, v3
	v_cmp_lt_u32_e32 vcc_lo, 13, v3
	s_delay_alu instid0(VALU_DEP_2)
	v_add_nc_u32_e32 v3, 1, v4
	s_and_saveexec_b32 s3, vcc_lo
	s_cbranch_execz .LBB196_510
; %bb.507:
	scratch_load_b32 v5, off, off offset:264 ; 4-byte Folded Reload
	v_and_b32_e32 v4, -8, v3
	s_mov_b32 s20, 0
	s_mov_b32 s21, 0
	s_wait_loadcnt 0x0
	v_lshl_add_u32 v5, v5, 2, 0x200
.LBB196_508:                            ; =>This Inner Loop Header: Depth=1
	ds_load_2addr_stride64_b32 v[6:7], v5 offset1:2
	ds_load_2addr_stride64_b32 v[8:9], v5 offset0:4 offset1:6
	ds_load_2addr_stride64_b32 v[10:11], v5 offset0:8 offset1:10
	;; [unrolled: 1-line block ×7, first 2 shown]
	s_add_co_i32 s21, s21, 16
	v_add_nc_u32_e32 v4, -8, v4
	s_wait_dscnt 0x7
	v_pk_mul_f32 v[6:7], v[0:1], v[6:7]
	s_wait_dscnt 0x6
	v_pk_mul_f32 v[8:9], v[0:1], v[8:9]
	;; [unrolled: 2-line block ×8, first 2 shown]
	ds_store_2addr_stride64_b32 v5, v6, v7 offset1:2
	ds_store_2addr_stride64_b32 v5, v8, v9 offset0:4 offset1:6
	ds_store_2addr_stride64_b32 v5, v10, v11 offset0:8 offset1:10
	;; [unrolled: 1-line block ×7, first 2 shown]
	v_mov_b32_e32 v6, s21
	v_cmp_eq_u32_e32 vcc_lo, 0, v4
	v_add_nc_u32_e32 v5, 0x2000, v5
	s_or_b32 s20, vcc_lo, s20
	s_delay_alu instid0(SALU_CYCLE_1)
	s_and_not1_b32 exec_lo, exec_lo, s20
	s_cbranch_execnz .LBB196_508
; %bb.509:
	s_or_b32 exec_lo, exec_lo, s20
.LBB196_510:
	s_delay_alu instid0(SALU_CYCLE_1) | instskip(NEXT) | instid1(VALU_DEP_1)
	s_or_b32 exec_lo, exec_lo, s3
	v_and_b32_e32 v3, 7, v3
	s_mov_b32 s20, 0
	s_mov_b32 s3, exec_lo
	s_delay_alu instid0(VALU_DEP_1)
	v_cmpx_ne_u32_e32 0, v3
	s_cbranch_execz .LBB196_513
; %bb.511:
	v_lshlrev_b32_e32 v4, 9, v6
	s_delay_alu instid0(VALU_DEP_1)
	v_add3_u32 v4, v4, v22, 0x200
.LBB196_512:                            ; =>This Inner Loop Header: Depth=1
	ds_load_2addr_stride64_b32 v[6:7], v4 offset1:2
	v_add_nc_u32_e32 v3, -1, v3
	s_delay_alu instid0(VALU_DEP_1)
	v_cmp_eq_u32_e32 vcc_lo, 0, v3
	s_or_b32 s20, vcc_lo, s20
	s_wait_dscnt 0x0
	v_pk_mul_f32 v[6:7], v[0:1], v[6:7]
	ds_store_2addr_stride64_b32 v4, v6, v7 offset1:2
	v_add_nc_u32_e32 v4, 0x400, v4
	s_and_not1_b32 exec_lo, exec_lo, s20
	s_cbranch_execnz .LBB196_512
.LBB196_513:
	s_or_b32 exec_lo, exec_lo, s3
	v_add_nc_u32_e32 v1, 1, v2
	s_delay_alu instid0(VALU_DEP_1) | instskip(NEXT) | instid1(VALU_DEP_1)
	v_and_b32_e32 v2, 0x3fffffe, v1
	v_cmp_ne_u32_e32 vcc_lo, v1, v2
	scratch_load_b32 v1, off, off offset:264 ; 4-byte Folded Reload
	s_or_not1_b32 s3, vcc_lo, exec_lo
	s_wait_loadcnt 0x0
	v_lshl_add_u32 v1, v2, 7, v1
.LBB196_514:
	s_or_b32 exec_lo, exec_lo, s1
	s_delay_alu instid0(SALU_CYCLE_1)
	s_and_b32 exec_lo, exec_lo, s3
	s_cbranch_execz .LBB196_517
; %bb.515:
	s_delay_alu instid0(VALU_DEP_1)
	v_lshl_add_u32 v2, v1, 2, 0x200
	s_mov_b32 s1, 0
.LBB196_516:                            ; =>This Inner Loop Header: Depth=1
	ds_load_b32 v3, v2
	v_add_nc_u32_e32 v1, 0x80, v1
	s_delay_alu instid0(VALU_DEP_1)
	v_cmp_le_i32_e32 vcc_lo, s11, v1
	s_or_b32 s1, vcc_lo, s1
	s_wait_dscnt 0x0
	v_mul_f32_e32 v3, v0, v3
	ds_store_b32 v2, v3
	v_add_nc_u32_e32 v2, 0x200, v2
	s_and_not1_b32 exec_lo, exec_lo, s1
	s_cbranch_execnz .LBB196_516
.LBB196_517:
	s_or_b32 exec_lo, exec_lo, s0
	s_wait_dscnt 0x0
	scratch_load_b32 v0, off, off offset:264 ; 4-byte Folded Reload
	v_dual_mov_b32 v7, 0 :: v_dual_mov_b32 v6, 0
	v_dual_mov_b32 v9, 0 :: v_dual_mov_b32 v8, 0
	;; [unrolled: 1-line block ×7, first 2 shown]
	v_mov_b32_e32 v92, 0
	s_wait_loadcnt 0x0
	s_barrier_signal -1
	s_barrier_wait -1
	v_and_b32_e32 v91, 3, v0
	s_wait_xcnt 0x0
	s_and_saveexec_b32 s1, s2
	s_cbranch_execz .LBB196_1031
; %bb.518:
	scratch_load_b32 v95, off, off offset:268 ; 4-byte Folded Reload
	s_load_b32 s2, s[6:7], 0x0
	v_dual_mov_b32 v21, 0 :: v_dual_bitop2_b32 v0, 12, v22 bitop3:0x40
	v_and_b32_e32 v20, 0x7c, v22
	s_ashr_i32 s11, s10, 31
	v_dual_mov_b32 v92, 0 :: v_dual_lshlrev_b32 v1, 4, v91
	s_wait_kmcnt 0x0
	s_add_nc_u64 s[10:11], s[18:19], s[10:11]
	s_lshl_b64 s[14:15], s[14:15], 2
	v_add_nc_u64_e32 v[22:23], s[10:11], v[20:21]
	v_and_b32_e32 v20, 0x7c, v24
	s_add_nc_u64 s[10:11], s[16:17], s[14:15]
	v_dual_mov_b32 v7, 0 :: v_dual_mov_b32 v6, 0
	v_dual_mov_b32 v8, 0 :: v_dual_mov_b32 v11, 0
	s_delay_alu instid0(VALU_DEP_3)
	v_add_nc_u64_e32 v[24:25], s[10:11], v[20:21]
	v_dual_mov_b32 v10, 0 :: v_dual_mov_b32 v13, 0
	v_dual_mov_b32 v12, 0 :: v_dual_mov_b32 v15, 0
	;; [unrolled: 1-line block ×4, first 2 shown]
	v_mov_b32_e32 v18, 0
	s_mov_b32 s6, s9
	s_mov_b32 s3, s2
	s_add_co_i32 s7, s13, -1
	s_mov_b32 s10, s25
	s_mov_b32 s9, 0
	s_wait_loadcnt 0x0
	v_lshl_or_b32 v1, v95, 6, v1
	v_mov_b32_e32 v9, 0
	v_lshl_or_b32 v93, v95, 4, v0
	s_delay_alu instid0(VALU_DEP_3)
	v_add_nc_u32_e32 v94, 0x200, v1
	s_branch .LBB196_520
.LBB196_519:                            ;   in Loop: Header=BB196_520 Depth=1
	s_or_b32 exec_lo, exec_lo, s0
	s_wait_dscnt 0x0
	v_mul_f32_e32 v76, v2, v76
	v_mul_f32_e32 v20, v2, v80
	;; [unrolled: 1-line block ×4, first 2 shown]
	v_add_nc_u64_e32 v[24:25], 16, v[24:25]
	v_fmac_f32_e32 v76, v3, v77
	v_dual_fmac_f32 v20, v3, v81 :: v_dual_mul_f32 v64, v2, v64
	v_fmac_f32_e32 v68, v3, v69
	v_fmac_f32_e32 v72, v3, v73
	v_add_nc_u32_e32 v94, 0x100, v94
	s_delay_alu instid0(VALU_DEP_4) | instskip(SKIP_1) | instid1(VALU_DEP_2)
	v_dual_fmac_f32 v20, v4, v78 :: v_dual_mul_f32 v60, v2, v60
	v_dual_fmac_f32 v64, v3, v65 :: v_dual_mul_f32 v46, v2, v46
	v_dual_mul_f32 v54, v2, v54 :: v_dual_fmac_f32 v20, v5, v79
	v_fmac_f32_e32 v76, v4, v74
	s_delay_alu instid0(VALU_DEP_3) | instskip(NEXT) | instid1(VALU_DEP_3)
	v_fmac_f32_e32 v64, v4, v62
	v_dual_fmac_f32 v60, v3, v61 :: v_dual_fmac_f32 v54, v3, v55
	s_delay_alu instid0(VALU_DEP_4) | instskip(NEXT) | instid1(VALU_DEP_3)
	v_add_f32_e32 v7, v7, v20
	v_dual_mul_f32 v20, v2, v56 :: v_dual_fmac_f32 v64, v5, v63
	v_dual_fmac_f32 v76, v5, v75 :: v_dual_mul_f32 v50, v2, v50
	s_delay_alu instid0(VALU_DEP_4) | instskip(NEXT) | instid1(VALU_DEP_3)
	v_fmac_f32_e32 v60, v4, v58
	v_dual_fmac_f32 v20, v3, v57 :: v_dual_fmac_f32 v46, v3, v47
	s_delay_alu instid0(VALU_DEP_4) | instskip(NEXT) | instid1(VALU_DEP_4)
	v_dual_add_f32 v11, v11, v64 :: v_dual_fmac_f32 v72, v4, v70
	v_add_f32_e32 v6, v6, v76
	s_delay_alu instid0(VALU_DEP_3) | instskip(SKIP_1) | instid1(VALU_DEP_4)
	v_dual_mul_f32 v42, v2, v42 :: v_dual_fmac_f32 v46, v4, v44
	v_fmac_f32_e32 v50, v3, v51
	v_fmac_f32_e32 v72, v5, v71
	;; [unrolled: 1-line block ×3, first 2 shown]
	v_dual_fmac_f32 v60, v5, v59 :: v_dual_fmac_f32 v54, v4, v52
	v_fmac_f32_e32 v20, v4, v0
	s_delay_alu instid0(VALU_DEP_4) | instskip(NEXT) | instid1(VALU_DEP_4)
	v_add_f32_e32 v9, v9, v72
	v_dual_fmac_f32 v68, v5, v67 :: v_dual_mul_f32 v28, v2, v28
	s_delay_alu instid0(VALU_DEP_4) | instskip(NEXT) | instid1(VALU_DEP_4)
	v_fmac_f32_e32 v54, v5, v53
	v_dual_fmac_f32 v50, v4, v48 :: v_dual_fmac_f32 v20, v5, v1
	v_dual_fmac_f32 v46, v5, v45 :: v_dual_add_f32 v10, v10, v60
	s_delay_alu instid0(VALU_DEP_2) | instskip(NEXT) | instid1(VALU_DEP_3)
	v_dual_add_f32 v12, v12, v54 :: v_dual_fmac_f32 v50, v5, v49
	v_dual_add_f32 v13, v13, v20 :: v_dual_fmac_f32 v42, v3, v43
	s_delay_alu instid0(VALU_DEP_3) | instskip(SKIP_4) | instid1(VALU_DEP_4)
	v_add_f32_e32 v14, v14, v46
	v_mul_f32_e32 v20, v2, v38
	v_mul_f32_e32 v34, v2, v34
	v_pk_mul_f32 v[0:1], v[2:3], v[82:83]
	v_dual_fmac_f32 v42, v4, v40 :: v_dual_fmac_f32 v28, v3, v29
	v_fmac_f32_e32 v20, v3, v39
	s_delay_alu instid0(VALU_DEP_4) | instskip(SKIP_2) | instid1(VALU_DEP_4)
	v_fmac_f32_e32 v34, v3, v35
	v_pk_mul_f32 v[2:3], v[4:5], v[30:31]
	v_add_f32_e32 v0, v1, v0
	v_dual_fmac_f32 v42, v5, v41 :: v_dual_fmac_f32 v20, v4, v36
	s_delay_alu instid0(VALU_DEP_4) | instskip(NEXT) | instid1(VALU_DEP_2)
	v_dual_fmac_f32 v34, v4, v32 :: v_dual_fmac_f32 v28, v4, v26
	v_dual_add_f32 v0, v2, v0 :: v_dual_add_f32 v17, v17, v42
	s_delay_alu instid0(VALU_DEP_3) | instskip(NEXT) | instid1(VALU_DEP_3)
	v_fmac_f32_e32 v20, v5, v37
	v_dual_fmac_f32 v34, v5, v33 :: v_dual_fmac_f32 v28, v5, v27
	s_delay_alu instid0(VALU_DEP_3) | instskip(NEXT) | instid1(VALU_DEP_3)
	v_dual_add_f32 v0, v3, v0 :: v_dual_add_nc_u32 v95, 4, v95
	v_add_f32_e32 v16, v16, v20
	v_dual_add_f32 v8, v8, v68 :: v_dual_add_f32 v15, v15, v50
	s_delay_alu instid0(VALU_DEP_4) | instskip(NEXT) | instid1(VALU_DEP_4)
	v_dual_add_f32 v19, v19, v34 :: v_dual_add_f32 v18, v18, v28
	v_cmp_le_i32_e32 vcc_lo, s13, v95
	v_dual_add_f32 v92, v92, v0 :: v_dual_add_nc_u32 v93, 64, v93
	s_or_b32 s9, vcc_lo, s9
	s_delay_alu instid0(SALU_CYCLE_1)
	s_and_not1_b32 exec_lo, exec_lo, s9
	s_cbranch_execz .LBB196_1030
.LBB196_520:                            ; =>This Inner Loop Header: Depth=1
	global_load_b32 v0, v[24:25], off
	ds_load_b128 v[2:5], v94
	v_mov_b64_e32 v[26:27], 0
	s_mov_b32 s0, exec_lo
	s_wait_loadcnt 0x0
	v_mad_nc_i64_i32 v[30:31], v0, s6, v[22:23]
	v_mov_b64_e32 v[0:1], 0
	global_load_b32 v34, v[30:31], off
	s_wait_loadcnt 0x0
	v_and_b32_e32 v20, 0xff, v34
	s_delay_alu instid0(VALU_DEP_1)
	v_cmpx_ne_u16_e32 0, v20
	s_cbranch_execz .LBB196_528
; %bb.521:                              ;   in Loop: Header=BB196_520 Depth=1
	v_mov_b64_e32 v[26:27], 0x80000000
	s_mov_b32 s11, exec_lo
	v_cmpx_ne_u16_e32 0x80, v20
	s_cbranch_execz .LBB196_527
; %bb.522:                              ;   in Loop: Header=BB196_520 Depth=1
	v_mov_b64_e32 v[26:27], 0x7f800001
	v_and_b32_e32 v28, 0x7f, v34
	s_mov_b32 s14, exec_lo
	s_delay_alu instid0(VALU_DEP_1)
	v_cmpx_ne_u32_e32 0x7f, v28
	s_cbranch_execz .LBB196_526
; %bb.523:                              ;   in Loop: Header=BB196_520 Depth=1
	v_dual_lshrrev_b32 v26, 3, v28 :: v_dual_bitop2_b32 v20, 7, v34 bitop3:0x40
	s_mov_b32 s15, exec_lo
	v_cmpx_gt_u32_e32 8, v28
; %bb.524:                              ;   in Loop: Header=BB196_520 Depth=1
	s_delay_alu instid0(VALU_DEP_2) | instskip(NEXT) | instid1(VALU_DEP_1)
	v_clz_i32_u32_e32 v26, v20
	v_min_u32_e32 v26, 32, v26
	s_delay_alu instid0(VALU_DEP_1) | instskip(NEXT) | instid1(VALU_DEP_1)
	v_subrev_nc_u32_e32 v27, 28, v26
	v_lshlrev_b64_e32 v[28:29], v27, v[20:21]
	s_delay_alu instid0(VALU_DEP_1)
	v_dual_sub_nc_u32 v26, 29, v26 :: v_dual_bitop2_b32 v20, 7, v28 bitop3:0x40
; %bb.525:                              ;   in Loop: Header=BB196_520 Depth=1
	s_or_b32 exec_lo, exec_lo, s15
	s_delay_alu instid0(VALU_DEP_1) | instskip(NEXT) | instid1(VALU_DEP_2)
	v_dual_lshlrev_b32 v27, 24, v34 :: v_dual_lshlrev_b32 v20, 20, v20
	v_lshl_add_u32 v26, v26, 23, 0x3c000000
	s_delay_alu instid0(VALU_DEP_2) | instskip(NEXT) | instid1(VALU_DEP_1)
	v_and_b32_e32 v27, 0x80000000, v27
	v_or3_b32 v20, v20, v27, v26
	s_delay_alu instid0(VALU_DEP_1)
	v_mov_b64_e32 v[26:27], v[20:21]
.LBB196_526:                            ;   in Loop: Header=BB196_520 Depth=1
	s_or_b32 exec_lo, exec_lo, s14
.LBB196_527:                            ;   in Loop: Header=BB196_520 Depth=1
	s_delay_alu instid0(SALU_CYCLE_1)
	s_or_b32 exec_lo, exec_lo, s11
.LBB196_528:                            ;   in Loop: Header=BB196_520 Depth=1
	s_delay_alu instid0(SALU_CYCLE_1) | instskip(SKIP_2) | instid1(VALU_DEP_1)
	s_or_b32 exec_lo, exec_lo, s0
	v_lshrrev_b16 v20, 8, v34
	s_mov_b32 s0, exec_lo
	v_cmpx_ne_u16_e32 0, v20
	s_cbranch_execz .LBB196_536
; %bb.529:                              ;   in Loop: Header=BB196_520 Depth=1
	v_mov_b64_e32 v[0:1], 0x8000000000000000
	s_mov_b32 s11, exec_lo
	v_cmpx_ne_u16_e32 0x80, v20
	s_cbranch_execz .LBB196_535
; %bb.530:                              ;   in Loop: Header=BB196_520 Depth=1
	v_and_b32_e32 v20, 0xffff, v20
	v_mov_b64_e32 v[0:1], 0x7f80000100000000
	s_mov_b32 s14, exec_lo
	s_delay_alu instid0(VALU_DEP_2) | instskip(NEXT) | instid1(VALU_DEP_1)
	v_and_b32_e32 v28, 0x7f, v20
	v_cmpx_ne_u32_e32 0x7f, v28
	s_cbranch_execz .LBB196_534
; %bb.531:                              ;   in Loop: Header=BB196_520 Depth=1
	v_and_b32_e32 v20, 7, v20
	v_lshrrev_b32_e32 v0, 3, v28
	s_mov_b32 s15, exec_lo
	v_cmpx_gt_u32_e32 8, v28
; %bb.532:                              ;   in Loop: Header=BB196_520 Depth=1
	s_delay_alu instid0(VALU_DEP_3) | instskip(NEXT) | instid1(VALU_DEP_1)
	v_clz_i32_u32_e32 v0, v20
	v_min_u32_e32 v0, 32, v0
	s_delay_alu instid0(VALU_DEP_1) | instskip(SKIP_1) | instid1(VALU_DEP_2)
	v_subrev_nc_u32_e32 v1, 28, v0
	v_sub_nc_u32_e32 v0, 29, v0
	v_lshlrev_b64_e32 v[28:29], v1, v[20:21]
	s_delay_alu instid0(VALU_DEP_1)
	v_and_b32_e32 v20, 7, v28
; %bb.533:                              ;   in Loop: Header=BB196_520 Depth=1
	s_or_b32 exec_lo, exec_lo, s15
	s_delay_alu instid0(VALU_DEP_1) | instskip(SKIP_1) | instid1(VALU_DEP_2)
	v_dual_lshlrev_b32 v1, 16, v34 :: v_dual_lshlrev_b32 v20, 20, v20
	v_lshl_add_u32 v0, v0, 23, 0x3c000000
	v_and_b32_e32 v1, 0x80000000, v1
	s_delay_alu instid0(VALU_DEP_1)
	v_or3_b32 v1, v20, v1, v0
	v_mov_b32_e32 v0, v21
.LBB196_534:                            ;   in Loop: Header=BB196_520 Depth=1
	s_or_b32 exec_lo, exec_lo, s14
.LBB196_535:                            ;   in Loop: Header=BB196_520 Depth=1
	s_delay_alu instid0(SALU_CYCLE_1)
	s_or_b32 exec_lo, exec_lo, s11
.LBB196_536:                            ;   in Loop: Header=BB196_520 Depth=1
	s_delay_alu instid0(SALU_CYCLE_1) | instskip(SKIP_4) | instid1(VALU_DEP_3)
	s_or_b32 exec_lo, exec_lo, s0
	v_lshrrev_b32_e32 v35, 16, v34
	v_mov_b64_e32 v[28:29], 0
	v_mov_b64_e32 v[32:33], 0
	s_mov_b32 s0, exec_lo
	v_and_b32_e32 v20, 0xff, v35
	s_delay_alu instid0(VALU_DEP_1)
	v_cmpx_ne_u16_e32 0, v20
	s_cbranch_execz .LBB196_544
; %bb.537:                              ;   in Loop: Header=BB196_520 Depth=1
	v_mov_b64_e32 v[32:33], 0x80000000
	s_mov_b32 s11, exec_lo
	v_cmpx_ne_u16_e32 0x80, v20
	s_cbranch_execz .LBB196_543
; %bb.538:                              ;   in Loop: Header=BB196_520 Depth=1
	v_mov_b64_e32 v[32:33], 0x7f800001
	v_bfe_u32 v36, v34, 16, 7
	s_mov_b32 s14, exec_lo
	s_delay_alu instid0(VALU_DEP_1)
	v_cmpx_ne_u32_e32 0x7f, v36
	s_cbranch_execz .LBB196_542
; %bb.539:                              ;   in Loop: Header=BB196_520 Depth=1
	v_dual_lshrrev_b32 v32, 3, v36 :: v_dual_bitop2_b32 v20, 7, v35 bitop3:0x40
	s_mov_b32 s15, exec_lo
	v_cmpx_gt_u32_e32 8, v36
; %bb.540:                              ;   in Loop: Header=BB196_520 Depth=1
	s_delay_alu instid0(VALU_DEP_2) | instskip(NEXT) | instid1(VALU_DEP_1)
	v_clz_i32_u32_e32 v32, v20
	v_min_u32_e32 v32, 32, v32
	s_delay_alu instid0(VALU_DEP_1) | instskip(SKIP_1) | instid1(VALU_DEP_2)
	v_subrev_nc_u32_e32 v33, 28, v32
	v_sub_nc_u32_e32 v32, 29, v32
	v_lshlrev_b64_e32 v[36:37], v33, v[20:21]
	s_delay_alu instid0(VALU_DEP_1)
	v_and_b32_e32 v20, 7, v36
; %bb.541:                              ;   in Loop: Header=BB196_520 Depth=1
	s_or_b32 exec_lo, exec_lo, s15
	s_delay_alu instid0(VALU_DEP_1) | instskip(SKIP_1) | instid1(VALU_DEP_2)
	v_dual_lshlrev_b32 v33, 24, v35 :: v_dual_lshlrev_b32 v20, 20, v20
	v_lshl_add_u32 v32, v32, 23, 0x3c000000
	v_and_b32_e32 v33, 0x80000000, v33
	s_delay_alu instid0(VALU_DEP_1) | instskip(NEXT) | instid1(VALU_DEP_1)
	v_or3_b32 v20, v20, v33, v32
	v_mov_b64_e32 v[32:33], v[20:21]
.LBB196_542:                            ;   in Loop: Header=BB196_520 Depth=1
	s_or_b32 exec_lo, exec_lo, s14
.LBB196_543:                            ;   in Loop: Header=BB196_520 Depth=1
	s_delay_alu instid0(SALU_CYCLE_1)
	s_or_b32 exec_lo, exec_lo, s11
.LBB196_544:                            ;   in Loop: Header=BB196_520 Depth=1
	s_delay_alu instid0(SALU_CYCLE_1) | instskip(NEXT) | instid1(SALU_CYCLE_1)
	s_or_b32 exec_lo, exec_lo, s0
	s_mov_b32 s0, exec_lo
	v_cmpx_lt_u32_e32 0xffffff, v34
	s_cbranch_execz .LBB196_552
; %bb.545:                              ;   in Loop: Header=BB196_520 Depth=1
	v_mov_b64_e32 v[28:29], 0x8000000000000000
	v_lshrrev_b32_e32 v35, 24, v34
	s_mov_b32 s11, exec_lo
	s_delay_alu instid0(VALU_DEP_1)
	v_cmpx_ne_u32_e32 0x80, v35
	s_cbranch_execz .LBB196_551
; %bb.546:                              ;   in Loop: Header=BB196_520 Depth=1
	v_mov_b64_e32 v[28:29], 0x7f80000100000000
	v_bfe_u32 v34, v34, 24, 7
	s_mov_b32 s14, exec_lo
	s_delay_alu instid0(VALU_DEP_1)
	v_cmpx_ne_u32_e32 0x7f, v34
	s_cbranch_execz .LBB196_550
; %bb.547:                              ;   in Loop: Header=BB196_520 Depth=1
	v_dual_lshrrev_b32 v28, 3, v34 :: v_dual_bitop2_b32 v20, 7, v35 bitop3:0x40
	s_mov_b32 s15, exec_lo
	v_cmpx_gt_u32_e32 8, v34
; %bb.548:                              ;   in Loop: Header=BB196_520 Depth=1
	s_delay_alu instid0(VALU_DEP_2) | instskip(NEXT) | instid1(VALU_DEP_1)
	v_clz_i32_u32_e32 v28, v20
	v_min_u32_e32 v28, 32, v28
	s_delay_alu instid0(VALU_DEP_1) | instskip(SKIP_1) | instid1(VALU_DEP_2)
	v_subrev_nc_u32_e32 v29, 28, v28
	v_sub_nc_u32_e32 v28, 29, v28
	v_lshlrev_b64_e32 v[36:37], v29, v[20:21]
	s_delay_alu instid0(VALU_DEP_1)
	v_and_b32_e32 v20, 7, v36
; %bb.549:                              ;   in Loop: Header=BB196_520 Depth=1
	s_or_b32 exec_lo, exec_lo, s15
	s_delay_alu instid0(VALU_DEP_1) | instskip(SKIP_1) | instid1(VALU_DEP_2)
	v_dual_lshlrev_b32 v29, 24, v35 :: v_dual_lshlrev_b32 v20, 20, v20
	v_lshl_add_u32 v28, v28, 23, 0x3c000000
	v_and_b32_e32 v29, 0x80000000, v29
	s_delay_alu instid0(VALU_DEP_1)
	v_or3_b32 v29, v20, v29, v28
	v_mov_b32_e32 v28, v21
.LBB196_550:                            ;   in Loop: Header=BB196_520 Depth=1
	s_or_b32 exec_lo, exec_lo, s14
.LBB196_551:                            ;   in Loop: Header=BB196_520 Depth=1
	s_delay_alu instid0(SALU_CYCLE_1)
	s_or_b32 exec_lo, exec_lo, s11
.LBB196_552:                            ;   in Loop: Header=BB196_520 Depth=1
	s_delay_alu instid0(SALU_CYCLE_1)
	s_or_b32 exec_lo, exec_lo, s0
	v_dual_add_nc_u32 v96, 1, v93 :: v_dual_bitop2_b32 v1, v1, v27 bitop3:0x54
	v_dual_add_nc_u32 v87, 2, v93 :: v_dual_bitop2_b32 v0, v0, v26 bitop3:0x54
	v_mov_b64_e32 v[26:27], s[2:3]
	v_or_b32_e32 v33, v29, v33
	v_dual_add_nc_u32 v86, 3, v93 :: v_dual_bitop2_b32 v32, v28, v32 bitop3:0x54
	v_cmp_eq_u32_e32 vcc_lo, s7, v95
	s_delay_alu instid0(VALU_DEP_4) | instskip(NEXT) | instid1(VALU_DEP_3)
	v_pk_mul_f32 v[28:29], v[26:27], v[0:1]
	v_pk_mul_f32 v[26:27], v[26:27], v[32:33]
	s_and_saveexec_b32 s11, vcc_lo
	s_cbranch_execz .LBB196_554
; %bb.553:                              ;   in Loop: Header=BB196_520 Depth=1
	v_cmp_gt_i32_e64 s0, s25, v93
	s_delay_alu instid0(VALU_DEP_1) | instskip(SKIP_1) | instid1(VALU_DEP_1)
	v_cndmask_b32_e64 v28, 0, v28, s0
	v_cmp_gt_i32_e64 s0, s25, v96
	v_cndmask_b32_e64 v29, 0, v29, s0
	v_cmp_gt_i32_e64 s0, s25, v87
	s_delay_alu instid0(VALU_DEP_1) | instskip(SKIP_1) | instid1(VALU_DEP_1)
	v_cndmask_b32_e64 v26, 0, v26, s0
	v_cmp_gt_i32_e64 s0, s25, v86
	v_cndmask_b32_e64 v27, 0, v27, s0
.LBB196_554:                            ;   in Loop: Header=BB196_520 Depth=1
	s_or_b32 exec_lo, exec_lo, s11
	global_load_b32 v38, v[30:31], off offset:128
	v_mov_b64_e32 v[0:1], 0
	v_mov_b64_e32 v[32:33], 0
	s_mov_b32 s11, exec_lo
	s_wait_loadcnt 0x0
	v_and_b32_e32 v20, 0xff, v38
	s_delay_alu instid0(VALU_DEP_1)
	v_cmpx_ne_u16_e32 0, v20
	s_cbranch_execz .LBB196_562
; %bb.555:                              ;   in Loop: Header=BB196_520 Depth=1
	v_mov_b64_e32 v[32:33], 0x80000000
	s_mov_b32 s14, exec_lo
	v_cmpx_ne_u16_e32 0x80, v20
	s_cbranch_execz .LBB196_561
; %bb.556:                              ;   in Loop: Header=BB196_520 Depth=1
	v_mov_b64_e32 v[32:33], 0x7f800001
	v_and_b32_e32 v34, 0x7f, v38
	s_mov_b32 s15, exec_lo
	s_delay_alu instid0(VALU_DEP_1)
	v_cmpx_ne_u32_e32 0x7f, v34
	s_cbranch_execz .LBB196_560
; %bb.557:                              ;   in Loop: Header=BB196_520 Depth=1
	v_and_b32_e32 v20, 7, v38
	v_lshrrev_b32_e32 v32, 3, v34
	s_mov_b32 s16, exec_lo
	v_cmpx_gt_u32_e32 8, v34
; %bb.558:                              ;   in Loop: Header=BB196_520 Depth=1
	s_delay_alu instid0(VALU_DEP_3) | instskip(NEXT) | instid1(VALU_DEP_1)
	v_clz_i32_u32_e32 v32, v20
	v_min_u32_e32 v32, 32, v32
	s_delay_alu instid0(VALU_DEP_1) | instskip(NEXT) | instid1(VALU_DEP_1)
	v_subrev_nc_u32_e32 v33, 28, v32
	v_lshlrev_b64_e32 v[34:35], v33, v[20:21]
	s_delay_alu instid0(VALU_DEP_1)
	v_dual_sub_nc_u32 v32, 29, v32 :: v_dual_bitop2_b32 v20, 7, v34 bitop3:0x40
; %bb.559:                              ;   in Loop: Header=BB196_520 Depth=1
	s_or_b32 exec_lo, exec_lo, s16
	s_delay_alu instid0(VALU_DEP_1) | instskip(NEXT) | instid1(VALU_DEP_2)
	v_dual_lshlrev_b32 v33, 24, v38 :: v_dual_lshlrev_b32 v20, 20, v20
	v_lshl_add_u32 v32, v32, 23, 0x3c000000
	s_delay_alu instid0(VALU_DEP_2) | instskip(NEXT) | instid1(VALU_DEP_1)
	v_and_b32_e32 v33, 0x80000000, v33
	v_or3_b32 v20, v20, v33, v32
	s_delay_alu instid0(VALU_DEP_1)
	v_mov_b64_e32 v[32:33], v[20:21]
.LBB196_560:                            ;   in Loop: Header=BB196_520 Depth=1
	s_or_b32 exec_lo, exec_lo, s15
.LBB196_561:                            ;   in Loop: Header=BB196_520 Depth=1
	s_delay_alu instid0(SALU_CYCLE_1)
	s_or_b32 exec_lo, exec_lo, s14
.LBB196_562:                            ;   in Loop: Header=BB196_520 Depth=1
	s_delay_alu instid0(SALU_CYCLE_1) | instskip(SKIP_2) | instid1(VALU_DEP_1)
	s_or_b32 exec_lo, exec_lo, s11
	v_lshrrev_b16 v20, 8, v38
	s_mov_b32 s11, exec_lo
	v_cmpx_ne_u16_e32 0, v20
	s_cbranch_execz .LBB196_570
; %bb.563:                              ;   in Loop: Header=BB196_520 Depth=1
	v_mov_b64_e32 v[0:1], 0x8000000000000000
	s_mov_b32 s14, exec_lo
	v_cmpx_ne_u16_e32 0x80, v20
	s_cbranch_execz .LBB196_569
; %bb.564:                              ;   in Loop: Header=BB196_520 Depth=1
	v_and_b32_e32 v20, 0xffff, v20
	v_mov_b64_e32 v[0:1], 0x7f80000100000000
	s_mov_b32 s15, exec_lo
	s_delay_alu instid0(VALU_DEP_2) | instskip(NEXT) | instid1(VALU_DEP_1)
	v_and_b32_e32 v34, 0x7f, v20
	v_cmpx_ne_u32_e32 0x7f, v34
	s_cbranch_execz .LBB196_568
; %bb.565:                              ;   in Loop: Header=BB196_520 Depth=1
	v_dual_lshrrev_b32 v0, 3, v34 :: v_dual_bitop2_b32 v20, 7, v20 bitop3:0x40
	s_mov_b32 s16, exec_lo
	v_cmpx_gt_u32_e32 8, v34
; %bb.566:                              ;   in Loop: Header=BB196_520 Depth=1
	s_delay_alu instid0(VALU_DEP_2) | instskip(NEXT) | instid1(VALU_DEP_1)
	v_clz_i32_u32_e32 v0, v20
	v_min_u32_e32 v0, 32, v0
	s_delay_alu instid0(VALU_DEP_1) | instskip(NEXT) | instid1(VALU_DEP_1)
	v_subrev_nc_u32_e32 v1, 28, v0
	v_lshlrev_b64_e32 v[34:35], v1, v[20:21]
	s_delay_alu instid0(VALU_DEP_1)
	v_dual_sub_nc_u32 v0, 29, v0 :: v_dual_bitop2_b32 v20, 7, v34 bitop3:0x40
; %bb.567:                              ;   in Loop: Header=BB196_520 Depth=1
	s_or_b32 exec_lo, exec_lo, s16
	s_delay_alu instid0(VALU_DEP_1) | instskip(NEXT) | instid1(VALU_DEP_2)
	v_dual_lshlrev_b32 v1, 16, v38 :: v_dual_lshlrev_b32 v20, 20, v20
	v_lshl_add_u32 v0, v0, 23, 0x3c000000
	s_delay_alu instid0(VALU_DEP_2) | instskip(NEXT) | instid1(VALU_DEP_1)
	v_and_b32_e32 v1, 0x80000000, v1
	v_or3_b32 v1, v20, v1, v0
	v_mov_b32_e32 v0, v21
.LBB196_568:                            ;   in Loop: Header=BB196_520 Depth=1
	s_or_b32 exec_lo, exec_lo, s15
.LBB196_569:                            ;   in Loop: Header=BB196_520 Depth=1
	s_delay_alu instid0(SALU_CYCLE_1)
	s_or_b32 exec_lo, exec_lo, s14
.LBB196_570:                            ;   in Loop: Header=BB196_520 Depth=1
	s_delay_alu instid0(SALU_CYCLE_1) | instskip(SKIP_4) | instid1(VALU_DEP_3)
	s_or_b32 exec_lo, exec_lo, s11
	v_lshrrev_b32_e32 v39, 16, v38
	v_mov_b64_e32 v[34:35], 0
	v_mov_b64_e32 v[36:37], 0
	s_mov_b32 s11, exec_lo
	v_and_b32_e32 v20, 0xff, v39
	s_delay_alu instid0(VALU_DEP_1)
	v_cmpx_ne_u16_e32 0, v20
	s_cbranch_execz .LBB196_578
; %bb.571:                              ;   in Loop: Header=BB196_520 Depth=1
	v_mov_b64_e32 v[36:37], 0x80000000
	s_mov_b32 s14, exec_lo
	v_cmpx_ne_u16_e32 0x80, v20
	s_cbranch_execz .LBB196_577
; %bb.572:                              ;   in Loop: Header=BB196_520 Depth=1
	v_mov_b64_e32 v[36:37], 0x7f800001
	v_bfe_u32 v40, v38, 16, 7
	s_mov_b32 s15, exec_lo
	s_delay_alu instid0(VALU_DEP_1)
	v_cmpx_ne_u32_e32 0x7f, v40
	s_cbranch_execz .LBB196_576
; %bb.573:                              ;   in Loop: Header=BB196_520 Depth=1
	v_dual_lshrrev_b32 v36, 3, v40 :: v_dual_bitop2_b32 v20, 7, v39 bitop3:0x40
	s_mov_b32 s16, exec_lo
	v_cmpx_gt_u32_e32 8, v40
; %bb.574:                              ;   in Loop: Header=BB196_520 Depth=1
	s_delay_alu instid0(VALU_DEP_2) | instskip(NEXT) | instid1(VALU_DEP_1)
	v_clz_i32_u32_e32 v36, v20
	v_min_u32_e32 v36, 32, v36
	s_delay_alu instid0(VALU_DEP_1) | instskip(SKIP_1) | instid1(VALU_DEP_2)
	v_subrev_nc_u32_e32 v37, 28, v36
	v_sub_nc_u32_e32 v36, 29, v36
	v_lshlrev_b64_e32 v[40:41], v37, v[20:21]
	s_delay_alu instid0(VALU_DEP_1)
	v_and_b32_e32 v20, 7, v40
; %bb.575:                              ;   in Loop: Header=BB196_520 Depth=1
	s_or_b32 exec_lo, exec_lo, s16
	s_delay_alu instid0(VALU_DEP_1) | instskip(SKIP_1) | instid1(VALU_DEP_2)
	v_dual_lshlrev_b32 v37, 24, v39 :: v_dual_lshlrev_b32 v20, 20, v20
	v_lshl_add_u32 v36, v36, 23, 0x3c000000
	v_and_b32_e32 v37, 0x80000000, v37
	s_delay_alu instid0(VALU_DEP_1) | instskip(NEXT) | instid1(VALU_DEP_1)
	v_or3_b32 v20, v20, v37, v36
	v_mov_b64_e32 v[36:37], v[20:21]
.LBB196_576:                            ;   in Loop: Header=BB196_520 Depth=1
	s_or_b32 exec_lo, exec_lo, s15
.LBB196_577:                            ;   in Loop: Header=BB196_520 Depth=1
	s_delay_alu instid0(SALU_CYCLE_1)
	s_or_b32 exec_lo, exec_lo, s14
.LBB196_578:                            ;   in Loop: Header=BB196_520 Depth=1
	s_delay_alu instid0(SALU_CYCLE_1) | instskip(NEXT) | instid1(SALU_CYCLE_1)
	s_or_b32 exec_lo, exec_lo, s11
	s_mov_b32 s11, exec_lo
	v_cmpx_lt_u32_e32 0xffffff, v38
	s_cbranch_execz .LBB196_586
; %bb.579:                              ;   in Loop: Header=BB196_520 Depth=1
	v_mov_b64_e32 v[34:35], 0x8000000000000000
	v_lshrrev_b32_e32 v39, 24, v38
	s_mov_b32 s14, exec_lo
	s_delay_alu instid0(VALU_DEP_1)
	v_cmpx_ne_u32_e32 0x80, v39
	s_cbranch_execz .LBB196_585
; %bb.580:                              ;   in Loop: Header=BB196_520 Depth=1
	v_mov_b64_e32 v[34:35], 0x7f80000100000000
	v_bfe_u32 v38, v38, 24, 7
	s_mov_b32 s15, exec_lo
	s_delay_alu instid0(VALU_DEP_1)
	v_cmpx_ne_u32_e32 0x7f, v38
	s_cbranch_execz .LBB196_584
; %bb.581:                              ;   in Loop: Header=BB196_520 Depth=1
	v_dual_lshrrev_b32 v34, 3, v38 :: v_dual_bitop2_b32 v20, 7, v39 bitop3:0x40
	s_mov_b32 s16, exec_lo
	v_cmpx_gt_u32_e32 8, v38
; %bb.582:                              ;   in Loop: Header=BB196_520 Depth=1
	s_delay_alu instid0(VALU_DEP_2) | instskip(NEXT) | instid1(VALU_DEP_1)
	v_clz_i32_u32_e32 v34, v20
	v_min_u32_e32 v34, 32, v34
	s_delay_alu instid0(VALU_DEP_1) | instskip(NEXT) | instid1(VALU_DEP_1)
	v_subrev_nc_u32_e32 v35, 28, v34
	v_lshlrev_b64_e32 v[40:41], v35, v[20:21]
	s_delay_alu instid0(VALU_DEP_1)
	v_dual_sub_nc_u32 v34, 29, v34 :: v_dual_bitop2_b32 v20, 7, v40 bitop3:0x40
; %bb.583:                              ;   in Loop: Header=BB196_520 Depth=1
	s_or_b32 exec_lo, exec_lo, s16
	s_delay_alu instid0(VALU_DEP_1) | instskip(NEXT) | instid1(VALU_DEP_2)
	v_dual_lshlrev_b32 v35, 24, v39 :: v_dual_lshlrev_b32 v20, 20, v20
	v_lshl_add_u32 v34, v34, 23, 0x3c000000
	s_delay_alu instid0(VALU_DEP_2) | instskip(NEXT) | instid1(VALU_DEP_1)
	v_and_b32_e32 v35, 0x80000000, v35
	v_or3_b32 v35, v20, v35, v34
	v_mov_b32_e32 v34, v21
.LBB196_584:                            ;   in Loop: Header=BB196_520 Depth=1
	s_or_b32 exec_lo, exec_lo, s15
.LBB196_585:                            ;   in Loop: Header=BB196_520 Depth=1
	s_delay_alu instid0(SALU_CYCLE_1)
	s_or_b32 exec_lo, exec_lo, s14
.LBB196_586:                            ;   in Loop: Header=BB196_520 Depth=1
	s_delay_alu instid0(SALU_CYCLE_1)
	s_or_b32 exec_lo, exec_lo, s11
	v_or_b32_e32 v1, v1, v33
	v_or_b32_e32 v0, v0, v32
	v_mov_b64_e32 v[32:33], s[2:3]
	v_or_b32_e32 v37, v35, v37
	v_or_b32_e32 v36, v34, v36
	s_delay_alu instid0(VALU_DEP_3) | instskip(NEXT) | instid1(VALU_DEP_2)
	v_pk_mul_f32 v[34:35], v[32:33], v[0:1]
	v_pk_mul_f32 v[32:33], v[32:33], v[36:37]
	s_and_saveexec_b32 s11, vcc_lo
	s_cbranch_execz .LBB196_588
; %bb.587:                              ;   in Loop: Header=BB196_520 Depth=1
	v_cmp_gt_i32_e64 s0, s25, v93
	s_delay_alu instid0(VALU_DEP_1) | instskip(SKIP_1) | instid1(VALU_DEP_1)
	v_cndmask_b32_e64 v34, 0, v34, s0
	v_cmp_gt_i32_e64 s0, s25, v96
	v_cndmask_b32_e64 v35, 0, v35, s0
	v_cmp_gt_i32_e64 s0, s25, v87
	s_delay_alu instid0(VALU_DEP_1) | instskip(SKIP_1) | instid1(VALU_DEP_1)
	v_cndmask_b32_e64 v32, 0, v32, s0
	v_cmp_gt_i32_e64 s0, s25, v86
	v_cndmask_b32_e64 v33, 0, v33, s0
.LBB196_588:                            ;   in Loop: Header=BB196_520 Depth=1
	s_or_b32 exec_lo, exec_lo, s11
	global_load_b32 v42, v[30:31], off offset:256
	v_mov_b64_e32 v[0:1], 0
	v_mov_b64_e32 v[36:37], 0
	s_mov_b32 s11, exec_lo
	s_wait_loadcnt 0x0
	v_and_b32_e32 v20, 0xff, v42
	s_delay_alu instid0(VALU_DEP_1)
	v_cmpx_ne_u16_e32 0, v20
	s_cbranch_execz .LBB196_596
; %bb.589:                              ;   in Loop: Header=BB196_520 Depth=1
	v_mov_b64_e32 v[36:37], 0x80000000
	s_mov_b32 s14, exec_lo
	v_cmpx_ne_u16_e32 0x80, v20
	s_cbranch_execz .LBB196_595
; %bb.590:                              ;   in Loop: Header=BB196_520 Depth=1
	v_mov_b64_e32 v[36:37], 0x7f800001
	v_and_b32_e32 v38, 0x7f, v42
	s_mov_b32 s15, exec_lo
	s_delay_alu instid0(VALU_DEP_1)
	v_cmpx_ne_u32_e32 0x7f, v38
	s_cbranch_execz .LBB196_594
; %bb.591:                              ;   in Loop: Header=BB196_520 Depth=1
	v_and_b32_e32 v20, 7, v42
	v_lshrrev_b32_e32 v36, 3, v38
	s_mov_b32 s16, exec_lo
	v_cmpx_gt_u32_e32 8, v38
; %bb.592:                              ;   in Loop: Header=BB196_520 Depth=1
	s_delay_alu instid0(VALU_DEP_3) | instskip(NEXT) | instid1(VALU_DEP_1)
	v_clz_i32_u32_e32 v36, v20
	v_min_u32_e32 v36, 32, v36
	s_delay_alu instid0(VALU_DEP_1) | instskip(NEXT) | instid1(VALU_DEP_1)
	v_subrev_nc_u32_e32 v37, 28, v36
	v_lshlrev_b64_e32 v[38:39], v37, v[20:21]
	s_delay_alu instid0(VALU_DEP_1)
	v_dual_sub_nc_u32 v36, 29, v36 :: v_dual_bitop2_b32 v20, 7, v38 bitop3:0x40
; %bb.593:                              ;   in Loop: Header=BB196_520 Depth=1
	s_or_b32 exec_lo, exec_lo, s16
	s_delay_alu instid0(VALU_DEP_1) | instskip(NEXT) | instid1(VALU_DEP_2)
	v_dual_lshlrev_b32 v37, 24, v42 :: v_dual_lshlrev_b32 v20, 20, v20
	v_lshl_add_u32 v36, v36, 23, 0x3c000000
	s_delay_alu instid0(VALU_DEP_2) | instskip(NEXT) | instid1(VALU_DEP_1)
	v_and_b32_e32 v37, 0x80000000, v37
	v_or3_b32 v20, v20, v37, v36
	s_delay_alu instid0(VALU_DEP_1)
	v_mov_b64_e32 v[36:37], v[20:21]
.LBB196_594:                            ;   in Loop: Header=BB196_520 Depth=1
	s_or_b32 exec_lo, exec_lo, s15
.LBB196_595:                            ;   in Loop: Header=BB196_520 Depth=1
	s_delay_alu instid0(SALU_CYCLE_1)
	s_or_b32 exec_lo, exec_lo, s14
.LBB196_596:                            ;   in Loop: Header=BB196_520 Depth=1
	s_delay_alu instid0(SALU_CYCLE_1) | instskip(SKIP_2) | instid1(VALU_DEP_1)
	s_or_b32 exec_lo, exec_lo, s11
	v_lshrrev_b16 v20, 8, v42
	s_mov_b32 s11, exec_lo
	v_cmpx_ne_u16_e32 0, v20
	s_cbranch_execz .LBB196_604
; %bb.597:                              ;   in Loop: Header=BB196_520 Depth=1
	v_mov_b64_e32 v[0:1], 0x8000000000000000
	s_mov_b32 s14, exec_lo
	v_cmpx_ne_u16_e32 0x80, v20
	s_cbranch_execz .LBB196_603
; %bb.598:                              ;   in Loop: Header=BB196_520 Depth=1
	v_and_b32_e32 v20, 0xffff, v20
	v_mov_b64_e32 v[0:1], 0x7f80000100000000
	s_mov_b32 s15, exec_lo
	s_delay_alu instid0(VALU_DEP_2) | instskip(NEXT) | instid1(VALU_DEP_1)
	v_and_b32_e32 v38, 0x7f, v20
	v_cmpx_ne_u32_e32 0x7f, v38
	s_cbranch_execz .LBB196_602
; %bb.599:                              ;   in Loop: Header=BB196_520 Depth=1
	v_dual_lshrrev_b32 v0, 3, v38 :: v_dual_bitop2_b32 v20, 7, v20 bitop3:0x40
	s_mov_b32 s16, exec_lo
	v_cmpx_gt_u32_e32 8, v38
; %bb.600:                              ;   in Loop: Header=BB196_520 Depth=1
	s_delay_alu instid0(VALU_DEP_2) | instskip(NEXT) | instid1(VALU_DEP_1)
	v_clz_i32_u32_e32 v0, v20
	v_min_u32_e32 v0, 32, v0
	s_delay_alu instid0(VALU_DEP_1) | instskip(NEXT) | instid1(VALU_DEP_1)
	v_subrev_nc_u32_e32 v1, 28, v0
	v_lshlrev_b64_e32 v[38:39], v1, v[20:21]
	s_delay_alu instid0(VALU_DEP_1)
	v_dual_sub_nc_u32 v0, 29, v0 :: v_dual_bitop2_b32 v20, 7, v38 bitop3:0x40
; %bb.601:                              ;   in Loop: Header=BB196_520 Depth=1
	s_or_b32 exec_lo, exec_lo, s16
	s_delay_alu instid0(VALU_DEP_1) | instskip(NEXT) | instid1(VALU_DEP_2)
	v_dual_lshlrev_b32 v1, 16, v42 :: v_dual_lshlrev_b32 v20, 20, v20
	v_lshl_add_u32 v0, v0, 23, 0x3c000000
	s_delay_alu instid0(VALU_DEP_2) | instskip(NEXT) | instid1(VALU_DEP_1)
	v_and_b32_e32 v1, 0x80000000, v1
	v_or3_b32 v1, v20, v1, v0
	v_mov_b32_e32 v0, v21
.LBB196_602:                            ;   in Loop: Header=BB196_520 Depth=1
	s_or_b32 exec_lo, exec_lo, s15
.LBB196_603:                            ;   in Loop: Header=BB196_520 Depth=1
	s_delay_alu instid0(SALU_CYCLE_1)
	s_or_b32 exec_lo, exec_lo, s14
.LBB196_604:                            ;   in Loop: Header=BB196_520 Depth=1
	s_delay_alu instid0(SALU_CYCLE_1) | instskip(SKIP_4) | instid1(VALU_DEP_3)
	s_or_b32 exec_lo, exec_lo, s11
	v_lshrrev_b32_e32 v43, 16, v42
	v_mov_b64_e32 v[38:39], 0
	v_mov_b64_e32 v[40:41], 0
	s_mov_b32 s11, exec_lo
	v_and_b32_e32 v20, 0xff, v43
	s_delay_alu instid0(VALU_DEP_1)
	v_cmpx_ne_u16_e32 0, v20
	s_cbranch_execz .LBB196_612
; %bb.605:                              ;   in Loop: Header=BB196_520 Depth=1
	v_mov_b64_e32 v[40:41], 0x80000000
	s_mov_b32 s14, exec_lo
	v_cmpx_ne_u16_e32 0x80, v20
	s_cbranch_execz .LBB196_611
; %bb.606:                              ;   in Loop: Header=BB196_520 Depth=1
	v_mov_b64_e32 v[40:41], 0x7f800001
	v_bfe_u32 v44, v42, 16, 7
	s_mov_b32 s15, exec_lo
	s_delay_alu instid0(VALU_DEP_1)
	v_cmpx_ne_u32_e32 0x7f, v44
	s_cbranch_execz .LBB196_610
; %bb.607:                              ;   in Loop: Header=BB196_520 Depth=1
	v_dual_lshrrev_b32 v40, 3, v44 :: v_dual_bitop2_b32 v20, 7, v43 bitop3:0x40
	s_mov_b32 s16, exec_lo
	v_cmpx_gt_u32_e32 8, v44
; %bb.608:                              ;   in Loop: Header=BB196_520 Depth=1
	s_delay_alu instid0(VALU_DEP_2) | instskip(NEXT) | instid1(VALU_DEP_1)
	v_clz_i32_u32_e32 v40, v20
	v_min_u32_e32 v40, 32, v40
	s_delay_alu instid0(VALU_DEP_1) | instskip(SKIP_1) | instid1(VALU_DEP_2)
	v_subrev_nc_u32_e32 v41, 28, v40
	v_sub_nc_u32_e32 v40, 29, v40
	v_lshlrev_b64_e32 v[44:45], v41, v[20:21]
	s_delay_alu instid0(VALU_DEP_1)
	v_and_b32_e32 v20, 7, v44
; %bb.609:                              ;   in Loop: Header=BB196_520 Depth=1
	s_or_b32 exec_lo, exec_lo, s16
	s_delay_alu instid0(VALU_DEP_1) | instskip(SKIP_1) | instid1(VALU_DEP_2)
	v_dual_lshlrev_b32 v41, 24, v43 :: v_dual_lshlrev_b32 v20, 20, v20
	v_lshl_add_u32 v40, v40, 23, 0x3c000000
	v_and_b32_e32 v41, 0x80000000, v41
	s_delay_alu instid0(VALU_DEP_1) | instskip(NEXT) | instid1(VALU_DEP_1)
	v_or3_b32 v20, v20, v41, v40
	v_mov_b64_e32 v[40:41], v[20:21]
.LBB196_610:                            ;   in Loop: Header=BB196_520 Depth=1
	s_or_b32 exec_lo, exec_lo, s15
.LBB196_611:                            ;   in Loop: Header=BB196_520 Depth=1
	s_delay_alu instid0(SALU_CYCLE_1)
	s_or_b32 exec_lo, exec_lo, s14
.LBB196_612:                            ;   in Loop: Header=BB196_520 Depth=1
	s_delay_alu instid0(SALU_CYCLE_1) | instskip(NEXT) | instid1(SALU_CYCLE_1)
	s_or_b32 exec_lo, exec_lo, s11
	s_mov_b32 s11, exec_lo
	v_cmpx_lt_u32_e32 0xffffff, v42
	s_cbranch_execz .LBB196_620
; %bb.613:                              ;   in Loop: Header=BB196_520 Depth=1
	v_mov_b64_e32 v[38:39], 0x8000000000000000
	v_lshrrev_b32_e32 v43, 24, v42
	s_mov_b32 s14, exec_lo
	s_delay_alu instid0(VALU_DEP_1)
	v_cmpx_ne_u32_e32 0x80, v43
	s_cbranch_execz .LBB196_619
; %bb.614:                              ;   in Loop: Header=BB196_520 Depth=1
	v_mov_b64_e32 v[38:39], 0x7f80000100000000
	v_bfe_u32 v42, v42, 24, 7
	s_mov_b32 s15, exec_lo
	s_delay_alu instid0(VALU_DEP_1)
	v_cmpx_ne_u32_e32 0x7f, v42
	s_cbranch_execz .LBB196_618
; %bb.615:                              ;   in Loop: Header=BB196_520 Depth=1
	v_dual_lshrrev_b32 v38, 3, v42 :: v_dual_bitop2_b32 v20, 7, v43 bitop3:0x40
	s_mov_b32 s16, exec_lo
	v_cmpx_gt_u32_e32 8, v42
; %bb.616:                              ;   in Loop: Header=BB196_520 Depth=1
	s_delay_alu instid0(VALU_DEP_2) | instskip(NEXT) | instid1(VALU_DEP_1)
	v_clz_i32_u32_e32 v38, v20
	v_min_u32_e32 v38, 32, v38
	s_delay_alu instid0(VALU_DEP_1) | instskip(NEXT) | instid1(VALU_DEP_1)
	v_subrev_nc_u32_e32 v39, 28, v38
	v_lshlrev_b64_e32 v[44:45], v39, v[20:21]
	s_delay_alu instid0(VALU_DEP_1)
	v_dual_sub_nc_u32 v38, 29, v38 :: v_dual_bitop2_b32 v20, 7, v44 bitop3:0x40
; %bb.617:                              ;   in Loop: Header=BB196_520 Depth=1
	s_or_b32 exec_lo, exec_lo, s16
	s_delay_alu instid0(VALU_DEP_1) | instskip(NEXT) | instid1(VALU_DEP_2)
	v_dual_lshlrev_b32 v39, 24, v43 :: v_dual_lshlrev_b32 v20, 20, v20
	v_lshl_add_u32 v38, v38, 23, 0x3c000000
	s_delay_alu instid0(VALU_DEP_2) | instskip(NEXT) | instid1(VALU_DEP_1)
	v_and_b32_e32 v39, 0x80000000, v39
	v_or3_b32 v39, v20, v39, v38
	v_mov_b32_e32 v38, v21
.LBB196_618:                            ;   in Loop: Header=BB196_520 Depth=1
	s_or_b32 exec_lo, exec_lo, s15
.LBB196_619:                            ;   in Loop: Header=BB196_520 Depth=1
	s_delay_alu instid0(SALU_CYCLE_1)
	s_or_b32 exec_lo, exec_lo, s14
.LBB196_620:                            ;   in Loop: Header=BB196_520 Depth=1
	s_delay_alu instid0(SALU_CYCLE_1)
	s_or_b32 exec_lo, exec_lo, s11
	v_or_b32_e32 v1, v1, v37
	v_or_b32_e32 v0, v0, v36
	v_mov_b64_e32 v[36:37], s[2:3]
	v_or_b32_e32 v41, v39, v41
	v_or_b32_e32 v40, v38, v40
	s_delay_alu instid0(VALU_DEP_3) | instskip(NEXT) | instid1(VALU_DEP_2)
	v_pk_mul_f32 v[38:39], v[36:37], v[0:1]
	v_pk_mul_f32 v[36:37], v[36:37], v[40:41]
	s_and_saveexec_b32 s11, vcc_lo
	s_cbranch_execz .LBB196_622
; %bb.621:                              ;   in Loop: Header=BB196_520 Depth=1
	v_cmp_gt_i32_e64 s0, s25, v93
	s_delay_alu instid0(VALU_DEP_1) | instskip(SKIP_1) | instid1(VALU_DEP_1)
	v_cndmask_b32_e64 v38, 0, v38, s0
	v_cmp_gt_i32_e64 s0, s25, v96
	v_cndmask_b32_e64 v39, 0, v39, s0
	v_cmp_gt_i32_e64 s0, s25, v87
	s_delay_alu instid0(VALU_DEP_1) | instskip(SKIP_1) | instid1(VALU_DEP_1)
	v_cndmask_b32_e64 v36, 0, v36, s0
	v_cmp_gt_i32_e64 s0, s25, v86
	v_cndmask_b32_e64 v37, 0, v37, s0
.LBB196_622:                            ;   in Loop: Header=BB196_520 Depth=1
	s_or_b32 exec_lo, exec_lo, s11
	global_load_b32 v46, v[30:31], off offset:384
	v_mov_b64_e32 v[0:1], 0
	v_mov_b64_e32 v[40:41], 0
	s_mov_b32 s11, exec_lo
	s_wait_loadcnt 0x0
	v_and_b32_e32 v20, 0xff, v46
	s_delay_alu instid0(VALU_DEP_1)
	v_cmpx_ne_u16_e32 0, v20
	s_cbranch_execz .LBB196_630
; %bb.623:                              ;   in Loop: Header=BB196_520 Depth=1
	v_mov_b64_e32 v[40:41], 0x80000000
	s_mov_b32 s14, exec_lo
	v_cmpx_ne_u16_e32 0x80, v20
	s_cbranch_execz .LBB196_629
; %bb.624:                              ;   in Loop: Header=BB196_520 Depth=1
	v_mov_b64_e32 v[40:41], 0x7f800001
	v_and_b32_e32 v42, 0x7f, v46
	s_mov_b32 s15, exec_lo
	s_delay_alu instid0(VALU_DEP_1)
	v_cmpx_ne_u32_e32 0x7f, v42
	s_cbranch_execz .LBB196_628
; %bb.625:                              ;   in Loop: Header=BB196_520 Depth=1
	v_and_b32_e32 v20, 7, v46
	v_lshrrev_b32_e32 v40, 3, v42
	s_mov_b32 s16, exec_lo
	v_cmpx_gt_u32_e32 8, v42
; %bb.626:                              ;   in Loop: Header=BB196_520 Depth=1
	s_delay_alu instid0(VALU_DEP_3) | instskip(NEXT) | instid1(VALU_DEP_1)
	v_clz_i32_u32_e32 v40, v20
	v_min_u32_e32 v40, 32, v40
	s_delay_alu instid0(VALU_DEP_1) | instskip(NEXT) | instid1(VALU_DEP_1)
	v_subrev_nc_u32_e32 v41, 28, v40
	v_lshlrev_b64_e32 v[42:43], v41, v[20:21]
	s_delay_alu instid0(VALU_DEP_1)
	v_dual_sub_nc_u32 v40, 29, v40 :: v_dual_bitop2_b32 v20, 7, v42 bitop3:0x40
; %bb.627:                              ;   in Loop: Header=BB196_520 Depth=1
	s_or_b32 exec_lo, exec_lo, s16
	s_delay_alu instid0(VALU_DEP_1) | instskip(NEXT) | instid1(VALU_DEP_2)
	v_dual_lshlrev_b32 v41, 24, v46 :: v_dual_lshlrev_b32 v20, 20, v20
	v_lshl_add_u32 v40, v40, 23, 0x3c000000
	s_delay_alu instid0(VALU_DEP_2) | instskip(NEXT) | instid1(VALU_DEP_1)
	v_and_b32_e32 v41, 0x80000000, v41
	v_or3_b32 v20, v20, v41, v40
	s_delay_alu instid0(VALU_DEP_1)
	v_mov_b64_e32 v[40:41], v[20:21]
.LBB196_628:                            ;   in Loop: Header=BB196_520 Depth=1
	s_or_b32 exec_lo, exec_lo, s15
.LBB196_629:                            ;   in Loop: Header=BB196_520 Depth=1
	s_delay_alu instid0(SALU_CYCLE_1)
	s_or_b32 exec_lo, exec_lo, s14
.LBB196_630:                            ;   in Loop: Header=BB196_520 Depth=1
	s_delay_alu instid0(SALU_CYCLE_1) | instskip(SKIP_2) | instid1(VALU_DEP_1)
	s_or_b32 exec_lo, exec_lo, s11
	v_lshrrev_b16 v20, 8, v46
	s_mov_b32 s11, exec_lo
	v_cmpx_ne_u16_e32 0, v20
	s_cbranch_execz .LBB196_638
; %bb.631:                              ;   in Loop: Header=BB196_520 Depth=1
	v_mov_b64_e32 v[0:1], 0x8000000000000000
	s_mov_b32 s14, exec_lo
	v_cmpx_ne_u16_e32 0x80, v20
	s_cbranch_execz .LBB196_637
; %bb.632:                              ;   in Loop: Header=BB196_520 Depth=1
	v_and_b32_e32 v20, 0xffff, v20
	v_mov_b64_e32 v[0:1], 0x7f80000100000000
	s_mov_b32 s15, exec_lo
	s_delay_alu instid0(VALU_DEP_2) | instskip(NEXT) | instid1(VALU_DEP_1)
	v_and_b32_e32 v42, 0x7f, v20
	v_cmpx_ne_u32_e32 0x7f, v42
	s_cbranch_execz .LBB196_636
; %bb.633:                              ;   in Loop: Header=BB196_520 Depth=1
	v_dual_lshrrev_b32 v0, 3, v42 :: v_dual_bitop2_b32 v20, 7, v20 bitop3:0x40
	s_mov_b32 s16, exec_lo
	v_cmpx_gt_u32_e32 8, v42
; %bb.634:                              ;   in Loop: Header=BB196_520 Depth=1
	s_delay_alu instid0(VALU_DEP_2) | instskip(NEXT) | instid1(VALU_DEP_1)
	v_clz_i32_u32_e32 v0, v20
	v_min_u32_e32 v0, 32, v0
	s_delay_alu instid0(VALU_DEP_1) | instskip(NEXT) | instid1(VALU_DEP_1)
	v_subrev_nc_u32_e32 v1, 28, v0
	v_lshlrev_b64_e32 v[42:43], v1, v[20:21]
	s_delay_alu instid0(VALU_DEP_1)
	v_dual_sub_nc_u32 v0, 29, v0 :: v_dual_bitop2_b32 v20, 7, v42 bitop3:0x40
; %bb.635:                              ;   in Loop: Header=BB196_520 Depth=1
	s_or_b32 exec_lo, exec_lo, s16
	s_delay_alu instid0(VALU_DEP_1) | instskip(NEXT) | instid1(VALU_DEP_2)
	v_dual_lshlrev_b32 v1, 16, v46 :: v_dual_lshlrev_b32 v20, 20, v20
	v_lshl_add_u32 v0, v0, 23, 0x3c000000
	s_delay_alu instid0(VALU_DEP_2) | instskip(NEXT) | instid1(VALU_DEP_1)
	v_and_b32_e32 v1, 0x80000000, v1
	v_or3_b32 v1, v20, v1, v0
	v_mov_b32_e32 v0, v21
.LBB196_636:                            ;   in Loop: Header=BB196_520 Depth=1
	s_or_b32 exec_lo, exec_lo, s15
.LBB196_637:                            ;   in Loop: Header=BB196_520 Depth=1
	s_delay_alu instid0(SALU_CYCLE_1)
	s_or_b32 exec_lo, exec_lo, s14
.LBB196_638:                            ;   in Loop: Header=BB196_520 Depth=1
	s_delay_alu instid0(SALU_CYCLE_1) | instskip(SKIP_4) | instid1(VALU_DEP_3)
	s_or_b32 exec_lo, exec_lo, s11
	v_lshrrev_b32_e32 v47, 16, v46
	v_mov_b64_e32 v[42:43], 0
	v_mov_b64_e32 v[44:45], 0
	s_mov_b32 s11, exec_lo
	v_and_b32_e32 v20, 0xff, v47
	s_delay_alu instid0(VALU_DEP_1)
	v_cmpx_ne_u16_e32 0, v20
	s_cbranch_execz .LBB196_646
; %bb.639:                              ;   in Loop: Header=BB196_520 Depth=1
	v_mov_b64_e32 v[44:45], 0x80000000
	s_mov_b32 s14, exec_lo
	v_cmpx_ne_u16_e32 0x80, v20
	s_cbranch_execz .LBB196_645
; %bb.640:                              ;   in Loop: Header=BB196_520 Depth=1
	v_mov_b64_e32 v[44:45], 0x7f800001
	v_bfe_u32 v48, v46, 16, 7
	s_mov_b32 s15, exec_lo
	s_delay_alu instid0(VALU_DEP_1)
	v_cmpx_ne_u32_e32 0x7f, v48
	s_cbranch_execz .LBB196_644
; %bb.641:                              ;   in Loop: Header=BB196_520 Depth=1
	v_dual_lshrrev_b32 v44, 3, v48 :: v_dual_bitop2_b32 v20, 7, v47 bitop3:0x40
	s_mov_b32 s16, exec_lo
	v_cmpx_gt_u32_e32 8, v48
; %bb.642:                              ;   in Loop: Header=BB196_520 Depth=1
	s_delay_alu instid0(VALU_DEP_2) | instskip(NEXT) | instid1(VALU_DEP_1)
	v_clz_i32_u32_e32 v44, v20
	v_min_u32_e32 v44, 32, v44
	s_delay_alu instid0(VALU_DEP_1) | instskip(SKIP_1) | instid1(VALU_DEP_2)
	v_subrev_nc_u32_e32 v45, 28, v44
	v_sub_nc_u32_e32 v44, 29, v44
	v_lshlrev_b64_e32 v[48:49], v45, v[20:21]
	s_delay_alu instid0(VALU_DEP_1)
	v_and_b32_e32 v20, 7, v48
; %bb.643:                              ;   in Loop: Header=BB196_520 Depth=1
	s_or_b32 exec_lo, exec_lo, s16
	s_delay_alu instid0(VALU_DEP_1) | instskip(SKIP_1) | instid1(VALU_DEP_2)
	v_dual_lshlrev_b32 v45, 24, v47 :: v_dual_lshlrev_b32 v20, 20, v20
	v_lshl_add_u32 v44, v44, 23, 0x3c000000
	v_and_b32_e32 v45, 0x80000000, v45
	s_delay_alu instid0(VALU_DEP_1) | instskip(NEXT) | instid1(VALU_DEP_1)
	v_or3_b32 v20, v20, v45, v44
	v_mov_b64_e32 v[44:45], v[20:21]
.LBB196_644:                            ;   in Loop: Header=BB196_520 Depth=1
	s_or_b32 exec_lo, exec_lo, s15
.LBB196_645:                            ;   in Loop: Header=BB196_520 Depth=1
	s_delay_alu instid0(SALU_CYCLE_1)
	s_or_b32 exec_lo, exec_lo, s14
.LBB196_646:                            ;   in Loop: Header=BB196_520 Depth=1
	s_delay_alu instid0(SALU_CYCLE_1) | instskip(NEXT) | instid1(SALU_CYCLE_1)
	s_or_b32 exec_lo, exec_lo, s11
	s_mov_b32 s11, exec_lo
	v_cmpx_lt_u32_e32 0xffffff, v46
	s_cbranch_execz .LBB196_654
; %bb.647:                              ;   in Loop: Header=BB196_520 Depth=1
	v_mov_b64_e32 v[42:43], 0x8000000000000000
	v_lshrrev_b32_e32 v47, 24, v46
	s_mov_b32 s14, exec_lo
	s_delay_alu instid0(VALU_DEP_1)
	v_cmpx_ne_u32_e32 0x80, v47
	s_cbranch_execz .LBB196_653
; %bb.648:                              ;   in Loop: Header=BB196_520 Depth=1
	v_mov_b64_e32 v[42:43], 0x7f80000100000000
	v_bfe_u32 v46, v46, 24, 7
	s_mov_b32 s15, exec_lo
	s_delay_alu instid0(VALU_DEP_1)
	v_cmpx_ne_u32_e32 0x7f, v46
	s_cbranch_execz .LBB196_652
; %bb.649:                              ;   in Loop: Header=BB196_520 Depth=1
	v_dual_lshrrev_b32 v42, 3, v46 :: v_dual_bitop2_b32 v20, 7, v47 bitop3:0x40
	s_mov_b32 s16, exec_lo
	v_cmpx_gt_u32_e32 8, v46
; %bb.650:                              ;   in Loop: Header=BB196_520 Depth=1
	s_delay_alu instid0(VALU_DEP_2) | instskip(NEXT) | instid1(VALU_DEP_1)
	v_clz_i32_u32_e32 v42, v20
	v_min_u32_e32 v42, 32, v42
	s_delay_alu instid0(VALU_DEP_1) | instskip(NEXT) | instid1(VALU_DEP_1)
	v_subrev_nc_u32_e32 v43, 28, v42
	v_lshlrev_b64_e32 v[48:49], v43, v[20:21]
	s_delay_alu instid0(VALU_DEP_1)
	v_dual_sub_nc_u32 v42, 29, v42 :: v_dual_bitop2_b32 v20, 7, v48 bitop3:0x40
; %bb.651:                              ;   in Loop: Header=BB196_520 Depth=1
	s_or_b32 exec_lo, exec_lo, s16
	s_delay_alu instid0(VALU_DEP_1) | instskip(NEXT) | instid1(VALU_DEP_2)
	v_dual_lshlrev_b32 v43, 24, v47 :: v_dual_lshlrev_b32 v20, 20, v20
	v_lshl_add_u32 v42, v42, 23, 0x3c000000
	s_delay_alu instid0(VALU_DEP_2) | instskip(NEXT) | instid1(VALU_DEP_1)
	v_and_b32_e32 v43, 0x80000000, v43
	v_or3_b32 v43, v20, v43, v42
	v_mov_b32_e32 v42, v21
.LBB196_652:                            ;   in Loop: Header=BB196_520 Depth=1
	s_or_b32 exec_lo, exec_lo, s15
.LBB196_653:                            ;   in Loop: Header=BB196_520 Depth=1
	s_delay_alu instid0(SALU_CYCLE_1)
	s_or_b32 exec_lo, exec_lo, s14
.LBB196_654:                            ;   in Loop: Header=BB196_520 Depth=1
	s_delay_alu instid0(SALU_CYCLE_1)
	s_or_b32 exec_lo, exec_lo, s11
	v_or_b32_e32 v1, v1, v41
	v_or_b32_e32 v0, v0, v40
	v_mov_b64_e32 v[40:41], s[2:3]
	v_or_b32_e32 v45, v43, v45
	v_or_b32_e32 v44, v42, v44
	s_delay_alu instid0(VALU_DEP_3) | instskip(NEXT) | instid1(VALU_DEP_2)
	v_pk_mul_f32 v[42:43], v[40:41], v[0:1]
	v_pk_mul_f32 v[40:41], v[40:41], v[44:45]
	s_and_saveexec_b32 s11, vcc_lo
	s_cbranch_execz .LBB196_656
; %bb.655:                              ;   in Loop: Header=BB196_520 Depth=1
	v_cmp_gt_i32_e64 s0, s25, v93
	s_delay_alu instid0(VALU_DEP_1) | instskip(SKIP_1) | instid1(VALU_DEP_1)
	v_cndmask_b32_e64 v42, 0, v42, s0
	v_cmp_gt_i32_e64 s0, s25, v96
	v_cndmask_b32_e64 v43, 0, v43, s0
	v_cmp_gt_i32_e64 s0, s25, v87
	s_delay_alu instid0(VALU_DEP_1) | instskip(SKIP_1) | instid1(VALU_DEP_1)
	v_cndmask_b32_e64 v40, 0, v40, s0
	v_cmp_gt_i32_e64 s0, s25, v86
	v_cndmask_b32_e64 v41, 0, v41, s0
.LBB196_656:                            ;   in Loop: Header=BB196_520 Depth=1
	s_or_b32 exec_lo, exec_lo, s11
	global_load_b32 v50, v[30:31], off offset:512
	v_mov_b64_e32 v[0:1], 0
	v_mov_b64_e32 v[44:45], 0
	s_mov_b32 s11, exec_lo
	s_wait_loadcnt 0x0
	v_and_b32_e32 v20, 0xff, v50
	s_delay_alu instid0(VALU_DEP_1)
	v_cmpx_ne_u16_e32 0, v20
	s_cbranch_execz .LBB196_664
; %bb.657:                              ;   in Loop: Header=BB196_520 Depth=1
	v_mov_b64_e32 v[44:45], 0x80000000
	s_mov_b32 s14, exec_lo
	v_cmpx_ne_u16_e32 0x80, v20
	s_cbranch_execz .LBB196_663
; %bb.658:                              ;   in Loop: Header=BB196_520 Depth=1
	v_mov_b64_e32 v[44:45], 0x7f800001
	v_and_b32_e32 v46, 0x7f, v50
	s_mov_b32 s15, exec_lo
	s_delay_alu instid0(VALU_DEP_1)
	v_cmpx_ne_u32_e32 0x7f, v46
	s_cbranch_execz .LBB196_662
; %bb.659:                              ;   in Loop: Header=BB196_520 Depth=1
	v_and_b32_e32 v20, 7, v50
	v_lshrrev_b32_e32 v44, 3, v46
	s_mov_b32 s16, exec_lo
	v_cmpx_gt_u32_e32 8, v46
; %bb.660:                              ;   in Loop: Header=BB196_520 Depth=1
	s_delay_alu instid0(VALU_DEP_3) | instskip(NEXT) | instid1(VALU_DEP_1)
	v_clz_i32_u32_e32 v44, v20
	v_min_u32_e32 v44, 32, v44
	s_delay_alu instid0(VALU_DEP_1) | instskip(NEXT) | instid1(VALU_DEP_1)
	v_subrev_nc_u32_e32 v45, 28, v44
	v_lshlrev_b64_e32 v[46:47], v45, v[20:21]
	s_delay_alu instid0(VALU_DEP_1)
	v_dual_sub_nc_u32 v44, 29, v44 :: v_dual_bitop2_b32 v20, 7, v46 bitop3:0x40
; %bb.661:                              ;   in Loop: Header=BB196_520 Depth=1
	s_or_b32 exec_lo, exec_lo, s16
	s_delay_alu instid0(VALU_DEP_1) | instskip(NEXT) | instid1(VALU_DEP_2)
	v_dual_lshlrev_b32 v45, 24, v50 :: v_dual_lshlrev_b32 v20, 20, v20
	v_lshl_add_u32 v44, v44, 23, 0x3c000000
	s_delay_alu instid0(VALU_DEP_2) | instskip(NEXT) | instid1(VALU_DEP_1)
	v_and_b32_e32 v45, 0x80000000, v45
	v_or3_b32 v20, v20, v45, v44
	s_delay_alu instid0(VALU_DEP_1)
	v_mov_b64_e32 v[44:45], v[20:21]
.LBB196_662:                            ;   in Loop: Header=BB196_520 Depth=1
	s_or_b32 exec_lo, exec_lo, s15
.LBB196_663:                            ;   in Loop: Header=BB196_520 Depth=1
	s_delay_alu instid0(SALU_CYCLE_1)
	s_or_b32 exec_lo, exec_lo, s14
.LBB196_664:                            ;   in Loop: Header=BB196_520 Depth=1
	s_delay_alu instid0(SALU_CYCLE_1) | instskip(SKIP_2) | instid1(VALU_DEP_1)
	s_or_b32 exec_lo, exec_lo, s11
	v_lshrrev_b16 v20, 8, v50
	s_mov_b32 s11, exec_lo
	v_cmpx_ne_u16_e32 0, v20
	s_cbranch_execz .LBB196_672
; %bb.665:                              ;   in Loop: Header=BB196_520 Depth=1
	v_mov_b64_e32 v[0:1], 0x8000000000000000
	s_mov_b32 s14, exec_lo
	v_cmpx_ne_u16_e32 0x80, v20
	s_cbranch_execz .LBB196_671
; %bb.666:                              ;   in Loop: Header=BB196_520 Depth=1
	v_and_b32_e32 v20, 0xffff, v20
	v_mov_b64_e32 v[0:1], 0x7f80000100000000
	s_mov_b32 s15, exec_lo
	s_delay_alu instid0(VALU_DEP_2) | instskip(NEXT) | instid1(VALU_DEP_1)
	v_and_b32_e32 v46, 0x7f, v20
	v_cmpx_ne_u32_e32 0x7f, v46
	s_cbranch_execz .LBB196_670
; %bb.667:                              ;   in Loop: Header=BB196_520 Depth=1
	v_dual_lshrrev_b32 v0, 3, v46 :: v_dual_bitop2_b32 v20, 7, v20 bitop3:0x40
	s_mov_b32 s16, exec_lo
	v_cmpx_gt_u32_e32 8, v46
; %bb.668:                              ;   in Loop: Header=BB196_520 Depth=1
	s_delay_alu instid0(VALU_DEP_2) | instskip(NEXT) | instid1(VALU_DEP_1)
	v_clz_i32_u32_e32 v0, v20
	v_min_u32_e32 v0, 32, v0
	s_delay_alu instid0(VALU_DEP_1) | instskip(NEXT) | instid1(VALU_DEP_1)
	v_subrev_nc_u32_e32 v1, 28, v0
	v_lshlrev_b64_e32 v[46:47], v1, v[20:21]
	s_delay_alu instid0(VALU_DEP_1)
	v_dual_sub_nc_u32 v0, 29, v0 :: v_dual_bitop2_b32 v20, 7, v46 bitop3:0x40
; %bb.669:                              ;   in Loop: Header=BB196_520 Depth=1
	s_or_b32 exec_lo, exec_lo, s16
	s_delay_alu instid0(VALU_DEP_1) | instskip(NEXT) | instid1(VALU_DEP_2)
	v_dual_lshlrev_b32 v1, 16, v50 :: v_dual_lshlrev_b32 v20, 20, v20
	v_lshl_add_u32 v0, v0, 23, 0x3c000000
	s_delay_alu instid0(VALU_DEP_2) | instskip(NEXT) | instid1(VALU_DEP_1)
	v_and_b32_e32 v1, 0x80000000, v1
	v_or3_b32 v1, v20, v1, v0
	v_mov_b32_e32 v0, v21
.LBB196_670:                            ;   in Loop: Header=BB196_520 Depth=1
	s_or_b32 exec_lo, exec_lo, s15
.LBB196_671:                            ;   in Loop: Header=BB196_520 Depth=1
	s_delay_alu instid0(SALU_CYCLE_1)
	s_or_b32 exec_lo, exec_lo, s14
.LBB196_672:                            ;   in Loop: Header=BB196_520 Depth=1
	s_delay_alu instid0(SALU_CYCLE_1) | instskip(SKIP_4) | instid1(VALU_DEP_3)
	s_or_b32 exec_lo, exec_lo, s11
	v_lshrrev_b32_e32 v51, 16, v50
	v_mov_b64_e32 v[46:47], 0
	v_mov_b64_e32 v[48:49], 0
	s_mov_b32 s11, exec_lo
	v_and_b32_e32 v20, 0xff, v51
	s_delay_alu instid0(VALU_DEP_1)
	v_cmpx_ne_u16_e32 0, v20
	s_cbranch_execz .LBB196_680
; %bb.673:                              ;   in Loop: Header=BB196_520 Depth=1
	v_mov_b64_e32 v[48:49], 0x80000000
	s_mov_b32 s14, exec_lo
	v_cmpx_ne_u16_e32 0x80, v20
	s_cbranch_execz .LBB196_679
; %bb.674:                              ;   in Loop: Header=BB196_520 Depth=1
	v_mov_b64_e32 v[48:49], 0x7f800001
	v_bfe_u32 v52, v50, 16, 7
	s_mov_b32 s15, exec_lo
	s_delay_alu instid0(VALU_DEP_1)
	v_cmpx_ne_u32_e32 0x7f, v52
	s_cbranch_execz .LBB196_678
; %bb.675:                              ;   in Loop: Header=BB196_520 Depth=1
	v_dual_lshrrev_b32 v48, 3, v52 :: v_dual_bitop2_b32 v20, 7, v51 bitop3:0x40
	s_mov_b32 s16, exec_lo
	v_cmpx_gt_u32_e32 8, v52
; %bb.676:                              ;   in Loop: Header=BB196_520 Depth=1
	s_delay_alu instid0(VALU_DEP_2) | instskip(NEXT) | instid1(VALU_DEP_1)
	v_clz_i32_u32_e32 v48, v20
	v_min_u32_e32 v48, 32, v48
	s_delay_alu instid0(VALU_DEP_1) | instskip(SKIP_1) | instid1(VALU_DEP_2)
	v_subrev_nc_u32_e32 v49, 28, v48
	v_sub_nc_u32_e32 v48, 29, v48
	v_lshlrev_b64_e32 v[52:53], v49, v[20:21]
	s_delay_alu instid0(VALU_DEP_1)
	v_and_b32_e32 v20, 7, v52
; %bb.677:                              ;   in Loop: Header=BB196_520 Depth=1
	s_or_b32 exec_lo, exec_lo, s16
	s_delay_alu instid0(VALU_DEP_1) | instskip(SKIP_1) | instid1(VALU_DEP_2)
	v_dual_lshlrev_b32 v49, 24, v51 :: v_dual_lshlrev_b32 v20, 20, v20
	v_lshl_add_u32 v48, v48, 23, 0x3c000000
	v_and_b32_e32 v49, 0x80000000, v49
	s_delay_alu instid0(VALU_DEP_1) | instskip(NEXT) | instid1(VALU_DEP_1)
	v_or3_b32 v20, v20, v49, v48
	v_mov_b64_e32 v[48:49], v[20:21]
.LBB196_678:                            ;   in Loop: Header=BB196_520 Depth=1
	s_or_b32 exec_lo, exec_lo, s15
.LBB196_679:                            ;   in Loop: Header=BB196_520 Depth=1
	s_delay_alu instid0(SALU_CYCLE_1)
	s_or_b32 exec_lo, exec_lo, s14
.LBB196_680:                            ;   in Loop: Header=BB196_520 Depth=1
	s_delay_alu instid0(SALU_CYCLE_1) | instskip(NEXT) | instid1(SALU_CYCLE_1)
	s_or_b32 exec_lo, exec_lo, s11
	s_mov_b32 s11, exec_lo
	v_cmpx_lt_u32_e32 0xffffff, v50
	s_cbranch_execz .LBB196_688
; %bb.681:                              ;   in Loop: Header=BB196_520 Depth=1
	v_mov_b64_e32 v[46:47], 0x8000000000000000
	v_lshrrev_b32_e32 v51, 24, v50
	s_mov_b32 s14, exec_lo
	s_delay_alu instid0(VALU_DEP_1)
	v_cmpx_ne_u32_e32 0x80, v51
	s_cbranch_execz .LBB196_687
; %bb.682:                              ;   in Loop: Header=BB196_520 Depth=1
	v_mov_b64_e32 v[46:47], 0x7f80000100000000
	v_bfe_u32 v50, v50, 24, 7
	s_mov_b32 s15, exec_lo
	s_delay_alu instid0(VALU_DEP_1)
	v_cmpx_ne_u32_e32 0x7f, v50
	s_cbranch_execz .LBB196_686
; %bb.683:                              ;   in Loop: Header=BB196_520 Depth=1
	v_dual_lshrrev_b32 v46, 3, v50 :: v_dual_bitop2_b32 v20, 7, v51 bitop3:0x40
	s_mov_b32 s16, exec_lo
	v_cmpx_gt_u32_e32 8, v50
; %bb.684:                              ;   in Loop: Header=BB196_520 Depth=1
	s_delay_alu instid0(VALU_DEP_2) | instskip(NEXT) | instid1(VALU_DEP_1)
	v_clz_i32_u32_e32 v46, v20
	v_min_u32_e32 v46, 32, v46
	s_delay_alu instid0(VALU_DEP_1) | instskip(NEXT) | instid1(VALU_DEP_1)
	v_subrev_nc_u32_e32 v47, 28, v46
	v_lshlrev_b64_e32 v[52:53], v47, v[20:21]
	s_delay_alu instid0(VALU_DEP_1)
	v_dual_sub_nc_u32 v46, 29, v46 :: v_dual_bitop2_b32 v20, 7, v52 bitop3:0x40
; %bb.685:                              ;   in Loop: Header=BB196_520 Depth=1
	s_or_b32 exec_lo, exec_lo, s16
	s_delay_alu instid0(VALU_DEP_1) | instskip(NEXT) | instid1(VALU_DEP_2)
	v_dual_lshlrev_b32 v47, 24, v51 :: v_dual_lshlrev_b32 v20, 20, v20
	v_lshl_add_u32 v46, v46, 23, 0x3c000000
	s_delay_alu instid0(VALU_DEP_2) | instskip(NEXT) | instid1(VALU_DEP_1)
	v_and_b32_e32 v47, 0x80000000, v47
	v_or3_b32 v47, v20, v47, v46
	v_mov_b32_e32 v46, v21
.LBB196_686:                            ;   in Loop: Header=BB196_520 Depth=1
	s_or_b32 exec_lo, exec_lo, s15
.LBB196_687:                            ;   in Loop: Header=BB196_520 Depth=1
	s_delay_alu instid0(SALU_CYCLE_1)
	s_or_b32 exec_lo, exec_lo, s14
.LBB196_688:                            ;   in Loop: Header=BB196_520 Depth=1
	s_delay_alu instid0(SALU_CYCLE_1)
	s_or_b32 exec_lo, exec_lo, s11
	v_or_b32_e32 v1, v1, v45
	v_or_b32_e32 v0, v0, v44
	v_mov_b64_e32 v[44:45], s[2:3]
	v_or_b32_e32 v49, v47, v49
	v_or_b32_e32 v48, v46, v48
	s_delay_alu instid0(VALU_DEP_3) | instskip(NEXT) | instid1(VALU_DEP_2)
	v_pk_mul_f32 v[46:47], v[44:45], v[0:1]
	v_pk_mul_f32 v[44:45], v[44:45], v[48:49]
	s_and_saveexec_b32 s11, vcc_lo
	s_cbranch_execz .LBB196_690
; %bb.689:                              ;   in Loop: Header=BB196_520 Depth=1
	v_cmp_gt_i32_e64 s0, s25, v93
	s_delay_alu instid0(VALU_DEP_1) | instskip(SKIP_1) | instid1(VALU_DEP_1)
	v_cndmask_b32_e64 v46, 0, v46, s0
	v_cmp_gt_i32_e64 s0, s25, v96
	v_cndmask_b32_e64 v47, 0, v47, s0
	v_cmp_gt_i32_e64 s0, s25, v87
	s_delay_alu instid0(VALU_DEP_1) | instskip(SKIP_1) | instid1(VALU_DEP_1)
	v_cndmask_b32_e64 v44, 0, v44, s0
	v_cmp_gt_i32_e64 s0, s25, v86
	v_cndmask_b32_e64 v45, 0, v45, s0
.LBB196_690:                            ;   in Loop: Header=BB196_520 Depth=1
	s_or_b32 exec_lo, exec_lo, s11
	global_load_b32 v54, v[30:31], off offset:640
	v_mov_b64_e32 v[0:1], 0
	v_mov_b64_e32 v[48:49], 0
	s_mov_b32 s11, exec_lo
	s_wait_loadcnt 0x0
	v_and_b32_e32 v20, 0xff, v54
	s_delay_alu instid0(VALU_DEP_1)
	v_cmpx_ne_u16_e32 0, v20
	s_cbranch_execz .LBB196_698
; %bb.691:                              ;   in Loop: Header=BB196_520 Depth=1
	v_mov_b64_e32 v[48:49], 0x80000000
	s_mov_b32 s14, exec_lo
	v_cmpx_ne_u16_e32 0x80, v20
	s_cbranch_execz .LBB196_697
; %bb.692:                              ;   in Loop: Header=BB196_520 Depth=1
	v_mov_b64_e32 v[48:49], 0x7f800001
	v_and_b32_e32 v50, 0x7f, v54
	s_mov_b32 s15, exec_lo
	s_delay_alu instid0(VALU_DEP_1)
	v_cmpx_ne_u32_e32 0x7f, v50
	s_cbranch_execz .LBB196_696
; %bb.693:                              ;   in Loop: Header=BB196_520 Depth=1
	v_and_b32_e32 v20, 7, v54
	v_lshrrev_b32_e32 v48, 3, v50
	s_mov_b32 s16, exec_lo
	v_cmpx_gt_u32_e32 8, v50
; %bb.694:                              ;   in Loop: Header=BB196_520 Depth=1
	s_delay_alu instid0(VALU_DEP_3) | instskip(NEXT) | instid1(VALU_DEP_1)
	v_clz_i32_u32_e32 v48, v20
	v_min_u32_e32 v48, 32, v48
	s_delay_alu instid0(VALU_DEP_1) | instskip(NEXT) | instid1(VALU_DEP_1)
	v_subrev_nc_u32_e32 v49, 28, v48
	v_lshlrev_b64_e32 v[50:51], v49, v[20:21]
	s_delay_alu instid0(VALU_DEP_1)
	v_dual_sub_nc_u32 v48, 29, v48 :: v_dual_bitop2_b32 v20, 7, v50 bitop3:0x40
; %bb.695:                              ;   in Loop: Header=BB196_520 Depth=1
	s_or_b32 exec_lo, exec_lo, s16
	s_delay_alu instid0(VALU_DEP_1) | instskip(NEXT) | instid1(VALU_DEP_2)
	v_dual_lshlrev_b32 v49, 24, v54 :: v_dual_lshlrev_b32 v20, 20, v20
	v_lshl_add_u32 v48, v48, 23, 0x3c000000
	s_delay_alu instid0(VALU_DEP_2) | instskip(NEXT) | instid1(VALU_DEP_1)
	v_and_b32_e32 v49, 0x80000000, v49
	v_or3_b32 v20, v20, v49, v48
	s_delay_alu instid0(VALU_DEP_1)
	v_mov_b64_e32 v[48:49], v[20:21]
.LBB196_696:                            ;   in Loop: Header=BB196_520 Depth=1
	s_or_b32 exec_lo, exec_lo, s15
.LBB196_697:                            ;   in Loop: Header=BB196_520 Depth=1
	s_delay_alu instid0(SALU_CYCLE_1)
	s_or_b32 exec_lo, exec_lo, s14
.LBB196_698:                            ;   in Loop: Header=BB196_520 Depth=1
	s_delay_alu instid0(SALU_CYCLE_1) | instskip(SKIP_2) | instid1(VALU_DEP_1)
	s_or_b32 exec_lo, exec_lo, s11
	v_lshrrev_b16 v20, 8, v54
	s_mov_b32 s11, exec_lo
	v_cmpx_ne_u16_e32 0, v20
	s_cbranch_execz .LBB196_706
; %bb.699:                              ;   in Loop: Header=BB196_520 Depth=1
	v_mov_b64_e32 v[0:1], 0x8000000000000000
	s_mov_b32 s14, exec_lo
	v_cmpx_ne_u16_e32 0x80, v20
	s_cbranch_execz .LBB196_705
; %bb.700:                              ;   in Loop: Header=BB196_520 Depth=1
	v_and_b32_e32 v20, 0xffff, v20
	v_mov_b64_e32 v[0:1], 0x7f80000100000000
	s_mov_b32 s15, exec_lo
	s_delay_alu instid0(VALU_DEP_2) | instskip(NEXT) | instid1(VALU_DEP_1)
	v_and_b32_e32 v50, 0x7f, v20
	v_cmpx_ne_u32_e32 0x7f, v50
	s_cbranch_execz .LBB196_704
; %bb.701:                              ;   in Loop: Header=BB196_520 Depth=1
	v_dual_lshrrev_b32 v0, 3, v50 :: v_dual_bitop2_b32 v20, 7, v20 bitop3:0x40
	s_mov_b32 s16, exec_lo
	v_cmpx_gt_u32_e32 8, v50
; %bb.702:                              ;   in Loop: Header=BB196_520 Depth=1
	s_delay_alu instid0(VALU_DEP_2) | instskip(NEXT) | instid1(VALU_DEP_1)
	v_clz_i32_u32_e32 v0, v20
	v_min_u32_e32 v0, 32, v0
	s_delay_alu instid0(VALU_DEP_1) | instskip(NEXT) | instid1(VALU_DEP_1)
	v_subrev_nc_u32_e32 v1, 28, v0
	v_lshlrev_b64_e32 v[50:51], v1, v[20:21]
	s_delay_alu instid0(VALU_DEP_1)
	v_dual_sub_nc_u32 v0, 29, v0 :: v_dual_bitop2_b32 v20, 7, v50 bitop3:0x40
; %bb.703:                              ;   in Loop: Header=BB196_520 Depth=1
	s_or_b32 exec_lo, exec_lo, s16
	s_delay_alu instid0(VALU_DEP_1) | instskip(NEXT) | instid1(VALU_DEP_2)
	v_dual_lshlrev_b32 v1, 16, v54 :: v_dual_lshlrev_b32 v20, 20, v20
	v_lshl_add_u32 v0, v0, 23, 0x3c000000
	s_delay_alu instid0(VALU_DEP_2) | instskip(NEXT) | instid1(VALU_DEP_1)
	v_and_b32_e32 v1, 0x80000000, v1
	v_or3_b32 v1, v20, v1, v0
	v_mov_b32_e32 v0, v21
.LBB196_704:                            ;   in Loop: Header=BB196_520 Depth=1
	s_or_b32 exec_lo, exec_lo, s15
.LBB196_705:                            ;   in Loop: Header=BB196_520 Depth=1
	s_delay_alu instid0(SALU_CYCLE_1)
	s_or_b32 exec_lo, exec_lo, s14
.LBB196_706:                            ;   in Loop: Header=BB196_520 Depth=1
	s_delay_alu instid0(SALU_CYCLE_1) | instskip(SKIP_4) | instid1(VALU_DEP_3)
	s_or_b32 exec_lo, exec_lo, s11
	v_lshrrev_b32_e32 v55, 16, v54
	v_mov_b64_e32 v[50:51], 0
	v_mov_b64_e32 v[52:53], 0
	s_mov_b32 s11, exec_lo
	v_and_b32_e32 v20, 0xff, v55
	s_delay_alu instid0(VALU_DEP_1)
	v_cmpx_ne_u16_e32 0, v20
	s_cbranch_execz .LBB196_714
; %bb.707:                              ;   in Loop: Header=BB196_520 Depth=1
	v_mov_b64_e32 v[52:53], 0x80000000
	s_mov_b32 s14, exec_lo
	v_cmpx_ne_u16_e32 0x80, v20
	s_cbranch_execz .LBB196_713
; %bb.708:                              ;   in Loop: Header=BB196_520 Depth=1
	v_mov_b64_e32 v[52:53], 0x7f800001
	v_bfe_u32 v56, v54, 16, 7
	s_mov_b32 s15, exec_lo
	s_delay_alu instid0(VALU_DEP_1)
	v_cmpx_ne_u32_e32 0x7f, v56
	s_cbranch_execz .LBB196_712
; %bb.709:                              ;   in Loop: Header=BB196_520 Depth=1
	v_dual_lshrrev_b32 v52, 3, v56 :: v_dual_bitop2_b32 v20, 7, v55 bitop3:0x40
	s_mov_b32 s16, exec_lo
	v_cmpx_gt_u32_e32 8, v56
; %bb.710:                              ;   in Loop: Header=BB196_520 Depth=1
	s_delay_alu instid0(VALU_DEP_2) | instskip(NEXT) | instid1(VALU_DEP_1)
	v_clz_i32_u32_e32 v52, v20
	v_min_u32_e32 v52, 32, v52
	s_delay_alu instid0(VALU_DEP_1) | instskip(SKIP_1) | instid1(VALU_DEP_2)
	v_subrev_nc_u32_e32 v53, 28, v52
	v_sub_nc_u32_e32 v52, 29, v52
	v_lshlrev_b64_e32 v[56:57], v53, v[20:21]
	s_delay_alu instid0(VALU_DEP_1)
	v_and_b32_e32 v20, 7, v56
; %bb.711:                              ;   in Loop: Header=BB196_520 Depth=1
	s_or_b32 exec_lo, exec_lo, s16
	s_delay_alu instid0(VALU_DEP_1) | instskip(SKIP_1) | instid1(VALU_DEP_2)
	v_dual_lshlrev_b32 v53, 24, v55 :: v_dual_lshlrev_b32 v20, 20, v20
	v_lshl_add_u32 v52, v52, 23, 0x3c000000
	v_and_b32_e32 v53, 0x80000000, v53
	s_delay_alu instid0(VALU_DEP_1) | instskip(NEXT) | instid1(VALU_DEP_1)
	v_or3_b32 v20, v20, v53, v52
	v_mov_b64_e32 v[52:53], v[20:21]
.LBB196_712:                            ;   in Loop: Header=BB196_520 Depth=1
	s_or_b32 exec_lo, exec_lo, s15
.LBB196_713:                            ;   in Loop: Header=BB196_520 Depth=1
	s_delay_alu instid0(SALU_CYCLE_1)
	s_or_b32 exec_lo, exec_lo, s14
.LBB196_714:                            ;   in Loop: Header=BB196_520 Depth=1
	s_delay_alu instid0(SALU_CYCLE_1) | instskip(NEXT) | instid1(SALU_CYCLE_1)
	s_or_b32 exec_lo, exec_lo, s11
	s_mov_b32 s11, exec_lo
	v_cmpx_lt_u32_e32 0xffffff, v54
	s_cbranch_execz .LBB196_722
; %bb.715:                              ;   in Loop: Header=BB196_520 Depth=1
	v_mov_b64_e32 v[50:51], 0x8000000000000000
	v_lshrrev_b32_e32 v55, 24, v54
	s_mov_b32 s14, exec_lo
	s_delay_alu instid0(VALU_DEP_1)
	v_cmpx_ne_u32_e32 0x80, v55
	s_cbranch_execz .LBB196_721
; %bb.716:                              ;   in Loop: Header=BB196_520 Depth=1
	v_mov_b64_e32 v[50:51], 0x7f80000100000000
	v_bfe_u32 v54, v54, 24, 7
	s_mov_b32 s15, exec_lo
	s_delay_alu instid0(VALU_DEP_1)
	v_cmpx_ne_u32_e32 0x7f, v54
	s_cbranch_execz .LBB196_720
; %bb.717:                              ;   in Loop: Header=BB196_520 Depth=1
	v_dual_lshrrev_b32 v50, 3, v54 :: v_dual_bitop2_b32 v20, 7, v55 bitop3:0x40
	s_mov_b32 s16, exec_lo
	v_cmpx_gt_u32_e32 8, v54
; %bb.718:                              ;   in Loop: Header=BB196_520 Depth=1
	s_delay_alu instid0(VALU_DEP_2) | instskip(NEXT) | instid1(VALU_DEP_1)
	v_clz_i32_u32_e32 v50, v20
	v_min_u32_e32 v50, 32, v50
	s_delay_alu instid0(VALU_DEP_1) | instskip(NEXT) | instid1(VALU_DEP_1)
	v_subrev_nc_u32_e32 v51, 28, v50
	v_lshlrev_b64_e32 v[56:57], v51, v[20:21]
	s_delay_alu instid0(VALU_DEP_1)
	v_dual_sub_nc_u32 v50, 29, v50 :: v_dual_bitop2_b32 v20, 7, v56 bitop3:0x40
; %bb.719:                              ;   in Loop: Header=BB196_520 Depth=1
	s_or_b32 exec_lo, exec_lo, s16
	s_delay_alu instid0(VALU_DEP_1) | instskip(NEXT) | instid1(VALU_DEP_2)
	v_dual_lshlrev_b32 v51, 24, v55 :: v_dual_lshlrev_b32 v20, 20, v20
	v_lshl_add_u32 v50, v50, 23, 0x3c000000
	s_delay_alu instid0(VALU_DEP_2) | instskip(NEXT) | instid1(VALU_DEP_1)
	v_and_b32_e32 v51, 0x80000000, v51
	v_or3_b32 v51, v20, v51, v50
	v_mov_b32_e32 v50, v21
.LBB196_720:                            ;   in Loop: Header=BB196_520 Depth=1
	s_or_b32 exec_lo, exec_lo, s15
.LBB196_721:                            ;   in Loop: Header=BB196_520 Depth=1
	s_delay_alu instid0(SALU_CYCLE_1)
	s_or_b32 exec_lo, exec_lo, s14
.LBB196_722:                            ;   in Loop: Header=BB196_520 Depth=1
	s_delay_alu instid0(SALU_CYCLE_1)
	s_or_b32 exec_lo, exec_lo, s11
	v_or_b32_e32 v1, v1, v49
	v_or_b32_e32 v0, v0, v48
	v_mov_b64_e32 v[48:49], s[2:3]
	v_or_b32_e32 v53, v51, v53
	v_or_b32_e32 v52, v50, v52
	s_delay_alu instid0(VALU_DEP_3) | instskip(NEXT) | instid1(VALU_DEP_2)
	v_pk_mul_f32 v[50:51], v[48:49], v[0:1]
	v_pk_mul_f32 v[48:49], v[48:49], v[52:53]
	s_and_saveexec_b32 s11, vcc_lo
	s_cbranch_execz .LBB196_724
; %bb.723:                              ;   in Loop: Header=BB196_520 Depth=1
	v_cmp_gt_i32_e64 s0, s25, v93
	s_delay_alu instid0(VALU_DEP_1) | instskip(SKIP_1) | instid1(VALU_DEP_1)
	v_cndmask_b32_e64 v50, 0, v50, s0
	v_cmp_gt_i32_e64 s0, s25, v96
	v_cndmask_b32_e64 v51, 0, v51, s0
	v_cmp_gt_i32_e64 s0, s25, v87
	s_delay_alu instid0(VALU_DEP_1) | instskip(SKIP_1) | instid1(VALU_DEP_1)
	v_cndmask_b32_e64 v48, 0, v48, s0
	v_cmp_gt_i32_e64 s0, s25, v86
	v_cndmask_b32_e64 v49, 0, v49, s0
.LBB196_724:                            ;   in Loop: Header=BB196_520 Depth=1
	s_or_b32 exec_lo, exec_lo, s11
	global_load_b32 v58, v[30:31], off offset:768
	v_mov_b64_e32 v[0:1], 0
	v_mov_b64_e32 v[52:53], 0
	s_mov_b32 s11, exec_lo
	s_wait_loadcnt 0x0
	v_and_b32_e32 v20, 0xff, v58
	s_delay_alu instid0(VALU_DEP_1)
	v_cmpx_ne_u16_e32 0, v20
	s_cbranch_execz .LBB196_732
; %bb.725:                              ;   in Loop: Header=BB196_520 Depth=1
	v_mov_b64_e32 v[52:53], 0x80000000
	s_mov_b32 s14, exec_lo
	v_cmpx_ne_u16_e32 0x80, v20
	s_cbranch_execz .LBB196_731
; %bb.726:                              ;   in Loop: Header=BB196_520 Depth=1
	v_mov_b64_e32 v[52:53], 0x7f800001
	v_and_b32_e32 v54, 0x7f, v58
	s_mov_b32 s15, exec_lo
	s_delay_alu instid0(VALU_DEP_1)
	v_cmpx_ne_u32_e32 0x7f, v54
	s_cbranch_execz .LBB196_730
; %bb.727:                              ;   in Loop: Header=BB196_520 Depth=1
	v_and_b32_e32 v20, 7, v58
	v_lshrrev_b32_e32 v52, 3, v54
	s_mov_b32 s16, exec_lo
	v_cmpx_gt_u32_e32 8, v54
; %bb.728:                              ;   in Loop: Header=BB196_520 Depth=1
	s_delay_alu instid0(VALU_DEP_3) | instskip(NEXT) | instid1(VALU_DEP_1)
	v_clz_i32_u32_e32 v52, v20
	v_min_u32_e32 v52, 32, v52
	s_delay_alu instid0(VALU_DEP_1) | instskip(NEXT) | instid1(VALU_DEP_1)
	v_subrev_nc_u32_e32 v53, 28, v52
	v_lshlrev_b64_e32 v[54:55], v53, v[20:21]
	s_delay_alu instid0(VALU_DEP_1)
	v_dual_sub_nc_u32 v52, 29, v52 :: v_dual_bitop2_b32 v20, 7, v54 bitop3:0x40
; %bb.729:                              ;   in Loop: Header=BB196_520 Depth=1
	s_or_b32 exec_lo, exec_lo, s16
	s_delay_alu instid0(VALU_DEP_1) | instskip(NEXT) | instid1(VALU_DEP_2)
	v_dual_lshlrev_b32 v53, 24, v58 :: v_dual_lshlrev_b32 v20, 20, v20
	v_lshl_add_u32 v52, v52, 23, 0x3c000000
	s_delay_alu instid0(VALU_DEP_2) | instskip(NEXT) | instid1(VALU_DEP_1)
	v_and_b32_e32 v53, 0x80000000, v53
	v_or3_b32 v20, v20, v53, v52
	s_delay_alu instid0(VALU_DEP_1)
	v_mov_b64_e32 v[52:53], v[20:21]
.LBB196_730:                            ;   in Loop: Header=BB196_520 Depth=1
	s_or_b32 exec_lo, exec_lo, s15
.LBB196_731:                            ;   in Loop: Header=BB196_520 Depth=1
	s_delay_alu instid0(SALU_CYCLE_1)
	s_or_b32 exec_lo, exec_lo, s14
.LBB196_732:                            ;   in Loop: Header=BB196_520 Depth=1
	s_delay_alu instid0(SALU_CYCLE_1) | instskip(SKIP_2) | instid1(VALU_DEP_1)
	s_or_b32 exec_lo, exec_lo, s11
	v_lshrrev_b16 v20, 8, v58
	s_mov_b32 s11, exec_lo
	v_cmpx_ne_u16_e32 0, v20
	s_cbranch_execz .LBB196_740
; %bb.733:                              ;   in Loop: Header=BB196_520 Depth=1
	v_mov_b64_e32 v[0:1], 0x8000000000000000
	s_mov_b32 s14, exec_lo
	v_cmpx_ne_u16_e32 0x80, v20
	s_cbranch_execz .LBB196_739
; %bb.734:                              ;   in Loop: Header=BB196_520 Depth=1
	v_and_b32_e32 v20, 0xffff, v20
	v_mov_b64_e32 v[0:1], 0x7f80000100000000
	s_mov_b32 s15, exec_lo
	s_delay_alu instid0(VALU_DEP_2) | instskip(NEXT) | instid1(VALU_DEP_1)
	v_and_b32_e32 v54, 0x7f, v20
	v_cmpx_ne_u32_e32 0x7f, v54
	s_cbranch_execz .LBB196_738
; %bb.735:                              ;   in Loop: Header=BB196_520 Depth=1
	v_dual_lshrrev_b32 v0, 3, v54 :: v_dual_bitop2_b32 v20, 7, v20 bitop3:0x40
	s_mov_b32 s16, exec_lo
	v_cmpx_gt_u32_e32 8, v54
; %bb.736:                              ;   in Loop: Header=BB196_520 Depth=1
	s_delay_alu instid0(VALU_DEP_2) | instskip(NEXT) | instid1(VALU_DEP_1)
	v_clz_i32_u32_e32 v0, v20
	v_min_u32_e32 v0, 32, v0
	s_delay_alu instid0(VALU_DEP_1) | instskip(NEXT) | instid1(VALU_DEP_1)
	v_subrev_nc_u32_e32 v1, 28, v0
	v_lshlrev_b64_e32 v[54:55], v1, v[20:21]
	s_delay_alu instid0(VALU_DEP_1)
	v_dual_sub_nc_u32 v0, 29, v0 :: v_dual_bitop2_b32 v20, 7, v54 bitop3:0x40
; %bb.737:                              ;   in Loop: Header=BB196_520 Depth=1
	s_or_b32 exec_lo, exec_lo, s16
	s_delay_alu instid0(VALU_DEP_1) | instskip(NEXT) | instid1(VALU_DEP_2)
	v_dual_lshlrev_b32 v1, 16, v58 :: v_dual_lshlrev_b32 v20, 20, v20
	v_lshl_add_u32 v0, v0, 23, 0x3c000000
	s_delay_alu instid0(VALU_DEP_2) | instskip(NEXT) | instid1(VALU_DEP_1)
	v_and_b32_e32 v1, 0x80000000, v1
	v_or3_b32 v1, v20, v1, v0
	v_mov_b32_e32 v0, v21
.LBB196_738:                            ;   in Loop: Header=BB196_520 Depth=1
	s_or_b32 exec_lo, exec_lo, s15
.LBB196_739:                            ;   in Loop: Header=BB196_520 Depth=1
	s_delay_alu instid0(SALU_CYCLE_1)
	s_or_b32 exec_lo, exec_lo, s14
.LBB196_740:                            ;   in Loop: Header=BB196_520 Depth=1
	s_delay_alu instid0(SALU_CYCLE_1) | instskip(SKIP_4) | instid1(VALU_DEP_3)
	s_or_b32 exec_lo, exec_lo, s11
	v_lshrrev_b32_e32 v59, 16, v58
	v_mov_b64_e32 v[54:55], 0
	v_mov_b64_e32 v[56:57], 0
	s_mov_b32 s11, exec_lo
	v_and_b32_e32 v20, 0xff, v59
	s_delay_alu instid0(VALU_DEP_1)
	v_cmpx_ne_u16_e32 0, v20
	s_cbranch_execz .LBB196_748
; %bb.741:                              ;   in Loop: Header=BB196_520 Depth=1
	v_mov_b64_e32 v[56:57], 0x80000000
	s_mov_b32 s14, exec_lo
	v_cmpx_ne_u16_e32 0x80, v20
	s_cbranch_execz .LBB196_747
; %bb.742:                              ;   in Loop: Header=BB196_520 Depth=1
	v_mov_b64_e32 v[56:57], 0x7f800001
	v_bfe_u32 v60, v58, 16, 7
	s_mov_b32 s15, exec_lo
	s_delay_alu instid0(VALU_DEP_1)
	v_cmpx_ne_u32_e32 0x7f, v60
	s_cbranch_execz .LBB196_746
; %bb.743:                              ;   in Loop: Header=BB196_520 Depth=1
	v_dual_lshrrev_b32 v56, 3, v60 :: v_dual_bitop2_b32 v20, 7, v59 bitop3:0x40
	s_mov_b32 s16, exec_lo
	v_cmpx_gt_u32_e32 8, v60
; %bb.744:                              ;   in Loop: Header=BB196_520 Depth=1
	s_delay_alu instid0(VALU_DEP_2) | instskip(NEXT) | instid1(VALU_DEP_1)
	v_clz_i32_u32_e32 v56, v20
	v_min_u32_e32 v56, 32, v56
	s_delay_alu instid0(VALU_DEP_1) | instskip(SKIP_1) | instid1(VALU_DEP_2)
	v_subrev_nc_u32_e32 v57, 28, v56
	v_sub_nc_u32_e32 v56, 29, v56
	v_lshlrev_b64_e32 v[60:61], v57, v[20:21]
	s_delay_alu instid0(VALU_DEP_1)
	v_and_b32_e32 v20, 7, v60
; %bb.745:                              ;   in Loop: Header=BB196_520 Depth=1
	s_or_b32 exec_lo, exec_lo, s16
	s_delay_alu instid0(VALU_DEP_1) | instskip(SKIP_1) | instid1(VALU_DEP_2)
	v_dual_lshlrev_b32 v57, 24, v59 :: v_dual_lshlrev_b32 v20, 20, v20
	v_lshl_add_u32 v56, v56, 23, 0x3c000000
	v_and_b32_e32 v57, 0x80000000, v57
	s_delay_alu instid0(VALU_DEP_1) | instskip(NEXT) | instid1(VALU_DEP_1)
	v_or3_b32 v20, v20, v57, v56
	v_mov_b64_e32 v[56:57], v[20:21]
.LBB196_746:                            ;   in Loop: Header=BB196_520 Depth=1
	s_or_b32 exec_lo, exec_lo, s15
.LBB196_747:                            ;   in Loop: Header=BB196_520 Depth=1
	s_delay_alu instid0(SALU_CYCLE_1)
	s_or_b32 exec_lo, exec_lo, s14
.LBB196_748:                            ;   in Loop: Header=BB196_520 Depth=1
	s_delay_alu instid0(SALU_CYCLE_1) | instskip(NEXT) | instid1(SALU_CYCLE_1)
	s_or_b32 exec_lo, exec_lo, s11
	s_mov_b32 s11, exec_lo
	v_cmpx_lt_u32_e32 0xffffff, v58
	s_cbranch_execz .LBB196_756
; %bb.749:                              ;   in Loop: Header=BB196_520 Depth=1
	v_mov_b64_e32 v[54:55], 0x8000000000000000
	v_lshrrev_b32_e32 v59, 24, v58
	s_mov_b32 s14, exec_lo
	s_delay_alu instid0(VALU_DEP_1)
	v_cmpx_ne_u32_e32 0x80, v59
	s_cbranch_execz .LBB196_755
; %bb.750:                              ;   in Loop: Header=BB196_520 Depth=1
	v_mov_b64_e32 v[54:55], 0x7f80000100000000
	v_bfe_u32 v58, v58, 24, 7
	s_mov_b32 s15, exec_lo
	s_delay_alu instid0(VALU_DEP_1)
	v_cmpx_ne_u32_e32 0x7f, v58
	s_cbranch_execz .LBB196_754
; %bb.751:                              ;   in Loop: Header=BB196_520 Depth=1
	v_dual_lshrrev_b32 v54, 3, v58 :: v_dual_bitop2_b32 v20, 7, v59 bitop3:0x40
	s_mov_b32 s16, exec_lo
	v_cmpx_gt_u32_e32 8, v58
; %bb.752:                              ;   in Loop: Header=BB196_520 Depth=1
	s_delay_alu instid0(VALU_DEP_2) | instskip(NEXT) | instid1(VALU_DEP_1)
	v_clz_i32_u32_e32 v54, v20
	v_min_u32_e32 v54, 32, v54
	s_delay_alu instid0(VALU_DEP_1) | instskip(NEXT) | instid1(VALU_DEP_1)
	v_subrev_nc_u32_e32 v55, 28, v54
	v_lshlrev_b64_e32 v[60:61], v55, v[20:21]
	s_delay_alu instid0(VALU_DEP_1)
	v_dual_sub_nc_u32 v54, 29, v54 :: v_dual_bitop2_b32 v20, 7, v60 bitop3:0x40
; %bb.753:                              ;   in Loop: Header=BB196_520 Depth=1
	s_or_b32 exec_lo, exec_lo, s16
	s_delay_alu instid0(VALU_DEP_1) | instskip(NEXT) | instid1(VALU_DEP_2)
	v_dual_lshlrev_b32 v55, 24, v59 :: v_dual_lshlrev_b32 v20, 20, v20
	v_lshl_add_u32 v54, v54, 23, 0x3c000000
	s_delay_alu instid0(VALU_DEP_2) | instskip(NEXT) | instid1(VALU_DEP_1)
	v_and_b32_e32 v55, 0x80000000, v55
	v_or3_b32 v55, v20, v55, v54
	v_mov_b32_e32 v54, v21
.LBB196_754:                            ;   in Loop: Header=BB196_520 Depth=1
	s_or_b32 exec_lo, exec_lo, s15
.LBB196_755:                            ;   in Loop: Header=BB196_520 Depth=1
	s_delay_alu instid0(SALU_CYCLE_1)
	s_or_b32 exec_lo, exec_lo, s14
.LBB196_756:                            ;   in Loop: Header=BB196_520 Depth=1
	s_delay_alu instid0(SALU_CYCLE_1)
	s_or_b32 exec_lo, exec_lo, s11
	v_or_b32_e32 v1, v1, v53
	v_or_b32_e32 v0, v0, v52
	v_mov_b64_e32 v[52:53], s[2:3]
	v_or_b32_e32 v57, v55, v57
	v_or_b32_e32 v56, v54, v56
	s_delay_alu instid0(VALU_DEP_3) | instskip(NEXT) | instid1(VALU_DEP_2)
	v_pk_mul_f32 v[54:55], v[52:53], v[0:1]
	v_pk_mul_f32 v[52:53], v[52:53], v[56:57]
	s_and_saveexec_b32 s11, vcc_lo
	s_cbranch_execz .LBB196_758
; %bb.757:                              ;   in Loop: Header=BB196_520 Depth=1
	v_cmp_gt_i32_e64 s0, s25, v93
	s_delay_alu instid0(VALU_DEP_1) | instskip(SKIP_1) | instid1(VALU_DEP_1)
	v_cndmask_b32_e64 v54, 0, v54, s0
	v_cmp_gt_i32_e64 s0, s25, v96
	v_cndmask_b32_e64 v55, 0, v55, s0
	v_cmp_gt_i32_e64 s0, s25, v87
	s_delay_alu instid0(VALU_DEP_1) | instskip(SKIP_1) | instid1(VALU_DEP_1)
	v_cndmask_b32_e64 v52, 0, v52, s0
	v_cmp_gt_i32_e64 s0, s25, v86
	v_cndmask_b32_e64 v53, 0, v53, s0
.LBB196_758:                            ;   in Loop: Header=BB196_520 Depth=1
	s_or_b32 exec_lo, exec_lo, s11
	global_load_b32 v62, v[30:31], off offset:896
	v_mov_b64_e32 v[0:1], 0
	v_mov_b64_e32 v[56:57], 0
	s_mov_b32 s11, exec_lo
	s_wait_loadcnt 0x0
	v_and_b32_e32 v20, 0xff, v62
	s_delay_alu instid0(VALU_DEP_1)
	v_cmpx_ne_u16_e32 0, v20
	s_cbranch_execz .LBB196_766
; %bb.759:                              ;   in Loop: Header=BB196_520 Depth=1
	v_mov_b64_e32 v[56:57], 0x80000000
	s_mov_b32 s14, exec_lo
	v_cmpx_ne_u16_e32 0x80, v20
	s_cbranch_execz .LBB196_765
; %bb.760:                              ;   in Loop: Header=BB196_520 Depth=1
	v_mov_b64_e32 v[56:57], 0x7f800001
	v_and_b32_e32 v58, 0x7f, v62
	s_mov_b32 s15, exec_lo
	s_delay_alu instid0(VALU_DEP_1)
	v_cmpx_ne_u32_e32 0x7f, v58
	s_cbranch_execz .LBB196_764
; %bb.761:                              ;   in Loop: Header=BB196_520 Depth=1
	v_and_b32_e32 v20, 7, v62
	v_lshrrev_b32_e32 v56, 3, v58
	s_mov_b32 s16, exec_lo
	v_cmpx_gt_u32_e32 8, v58
; %bb.762:                              ;   in Loop: Header=BB196_520 Depth=1
	s_delay_alu instid0(VALU_DEP_3) | instskip(NEXT) | instid1(VALU_DEP_1)
	v_clz_i32_u32_e32 v56, v20
	v_min_u32_e32 v56, 32, v56
	s_delay_alu instid0(VALU_DEP_1) | instskip(NEXT) | instid1(VALU_DEP_1)
	v_subrev_nc_u32_e32 v57, 28, v56
	v_lshlrev_b64_e32 v[58:59], v57, v[20:21]
	s_delay_alu instid0(VALU_DEP_1)
	v_dual_sub_nc_u32 v56, 29, v56 :: v_dual_bitop2_b32 v20, 7, v58 bitop3:0x40
; %bb.763:                              ;   in Loop: Header=BB196_520 Depth=1
	s_or_b32 exec_lo, exec_lo, s16
	s_delay_alu instid0(VALU_DEP_1) | instskip(NEXT) | instid1(VALU_DEP_2)
	v_dual_lshlrev_b32 v57, 24, v62 :: v_dual_lshlrev_b32 v20, 20, v20
	v_lshl_add_u32 v56, v56, 23, 0x3c000000
	s_delay_alu instid0(VALU_DEP_2) | instskip(NEXT) | instid1(VALU_DEP_1)
	v_and_b32_e32 v57, 0x80000000, v57
	v_or3_b32 v20, v20, v57, v56
	s_delay_alu instid0(VALU_DEP_1)
	v_mov_b64_e32 v[56:57], v[20:21]
.LBB196_764:                            ;   in Loop: Header=BB196_520 Depth=1
	s_or_b32 exec_lo, exec_lo, s15
.LBB196_765:                            ;   in Loop: Header=BB196_520 Depth=1
	s_delay_alu instid0(SALU_CYCLE_1)
	s_or_b32 exec_lo, exec_lo, s14
.LBB196_766:                            ;   in Loop: Header=BB196_520 Depth=1
	s_delay_alu instid0(SALU_CYCLE_1) | instskip(SKIP_2) | instid1(VALU_DEP_1)
	s_or_b32 exec_lo, exec_lo, s11
	v_lshrrev_b16 v20, 8, v62
	s_mov_b32 s11, exec_lo
	v_cmpx_ne_u16_e32 0, v20
	s_cbranch_execz .LBB196_774
; %bb.767:                              ;   in Loop: Header=BB196_520 Depth=1
	v_mov_b64_e32 v[0:1], 0x8000000000000000
	s_mov_b32 s14, exec_lo
	v_cmpx_ne_u16_e32 0x80, v20
	s_cbranch_execz .LBB196_773
; %bb.768:                              ;   in Loop: Header=BB196_520 Depth=1
	v_and_b32_e32 v20, 0xffff, v20
	v_mov_b64_e32 v[0:1], 0x7f80000100000000
	s_mov_b32 s15, exec_lo
	s_delay_alu instid0(VALU_DEP_2) | instskip(NEXT) | instid1(VALU_DEP_1)
	v_and_b32_e32 v58, 0x7f, v20
	v_cmpx_ne_u32_e32 0x7f, v58
	s_cbranch_execz .LBB196_772
; %bb.769:                              ;   in Loop: Header=BB196_520 Depth=1
	v_dual_lshrrev_b32 v0, 3, v58 :: v_dual_bitop2_b32 v20, 7, v20 bitop3:0x40
	s_mov_b32 s16, exec_lo
	v_cmpx_gt_u32_e32 8, v58
; %bb.770:                              ;   in Loop: Header=BB196_520 Depth=1
	s_delay_alu instid0(VALU_DEP_2) | instskip(NEXT) | instid1(VALU_DEP_1)
	v_clz_i32_u32_e32 v0, v20
	v_min_u32_e32 v0, 32, v0
	s_delay_alu instid0(VALU_DEP_1) | instskip(NEXT) | instid1(VALU_DEP_1)
	v_subrev_nc_u32_e32 v1, 28, v0
	v_lshlrev_b64_e32 v[58:59], v1, v[20:21]
	s_delay_alu instid0(VALU_DEP_1)
	v_dual_sub_nc_u32 v0, 29, v0 :: v_dual_bitop2_b32 v20, 7, v58 bitop3:0x40
; %bb.771:                              ;   in Loop: Header=BB196_520 Depth=1
	s_or_b32 exec_lo, exec_lo, s16
	s_delay_alu instid0(VALU_DEP_1) | instskip(NEXT) | instid1(VALU_DEP_2)
	v_dual_lshlrev_b32 v1, 16, v62 :: v_dual_lshlrev_b32 v20, 20, v20
	v_lshl_add_u32 v0, v0, 23, 0x3c000000
	s_delay_alu instid0(VALU_DEP_2) | instskip(NEXT) | instid1(VALU_DEP_1)
	v_and_b32_e32 v1, 0x80000000, v1
	v_or3_b32 v1, v20, v1, v0
	v_mov_b32_e32 v0, v21
.LBB196_772:                            ;   in Loop: Header=BB196_520 Depth=1
	s_or_b32 exec_lo, exec_lo, s15
.LBB196_773:                            ;   in Loop: Header=BB196_520 Depth=1
	s_delay_alu instid0(SALU_CYCLE_1)
	s_or_b32 exec_lo, exec_lo, s14
.LBB196_774:                            ;   in Loop: Header=BB196_520 Depth=1
	s_delay_alu instid0(SALU_CYCLE_1) | instskip(SKIP_4) | instid1(VALU_DEP_3)
	s_or_b32 exec_lo, exec_lo, s11
	v_lshrrev_b32_e32 v63, 16, v62
	v_mov_b64_e32 v[58:59], 0
	v_mov_b64_e32 v[60:61], 0
	s_mov_b32 s11, exec_lo
	v_and_b32_e32 v20, 0xff, v63
	s_delay_alu instid0(VALU_DEP_1)
	v_cmpx_ne_u16_e32 0, v20
	s_cbranch_execz .LBB196_782
; %bb.775:                              ;   in Loop: Header=BB196_520 Depth=1
	v_mov_b64_e32 v[60:61], 0x80000000
	s_mov_b32 s14, exec_lo
	v_cmpx_ne_u16_e32 0x80, v20
	s_cbranch_execz .LBB196_781
; %bb.776:                              ;   in Loop: Header=BB196_520 Depth=1
	v_mov_b64_e32 v[60:61], 0x7f800001
	v_bfe_u32 v64, v62, 16, 7
	s_mov_b32 s15, exec_lo
	s_delay_alu instid0(VALU_DEP_1)
	v_cmpx_ne_u32_e32 0x7f, v64
	s_cbranch_execz .LBB196_780
; %bb.777:                              ;   in Loop: Header=BB196_520 Depth=1
	v_dual_lshrrev_b32 v60, 3, v64 :: v_dual_bitop2_b32 v20, 7, v63 bitop3:0x40
	s_mov_b32 s16, exec_lo
	v_cmpx_gt_u32_e32 8, v64
; %bb.778:                              ;   in Loop: Header=BB196_520 Depth=1
	s_delay_alu instid0(VALU_DEP_2) | instskip(NEXT) | instid1(VALU_DEP_1)
	v_clz_i32_u32_e32 v60, v20
	v_min_u32_e32 v60, 32, v60
	s_delay_alu instid0(VALU_DEP_1) | instskip(SKIP_1) | instid1(VALU_DEP_2)
	v_subrev_nc_u32_e32 v61, 28, v60
	v_sub_nc_u32_e32 v60, 29, v60
	v_lshlrev_b64_e32 v[64:65], v61, v[20:21]
	s_delay_alu instid0(VALU_DEP_1)
	v_and_b32_e32 v20, 7, v64
; %bb.779:                              ;   in Loop: Header=BB196_520 Depth=1
	s_or_b32 exec_lo, exec_lo, s16
	s_delay_alu instid0(VALU_DEP_1) | instskip(SKIP_1) | instid1(VALU_DEP_2)
	v_dual_lshlrev_b32 v61, 24, v63 :: v_dual_lshlrev_b32 v20, 20, v20
	v_lshl_add_u32 v60, v60, 23, 0x3c000000
	v_and_b32_e32 v61, 0x80000000, v61
	s_delay_alu instid0(VALU_DEP_1) | instskip(NEXT) | instid1(VALU_DEP_1)
	v_or3_b32 v20, v20, v61, v60
	v_mov_b64_e32 v[60:61], v[20:21]
.LBB196_780:                            ;   in Loop: Header=BB196_520 Depth=1
	s_or_b32 exec_lo, exec_lo, s15
.LBB196_781:                            ;   in Loop: Header=BB196_520 Depth=1
	s_delay_alu instid0(SALU_CYCLE_1)
	s_or_b32 exec_lo, exec_lo, s14
.LBB196_782:                            ;   in Loop: Header=BB196_520 Depth=1
	s_delay_alu instid0(SALU_CYCLE_1) | instskip(NEXT) | instid1(SALU_CYCLE_1)
	s_or_b32 exec_lo, exec_lo, s11
	s_mov_b32 s11, exec_lo
	v_cmpx_lt_u32_e32 0xffffff, v62
	s_cbranch_execz .LBB196_790
; %bb.783:                              ;   in Loop: Header=BB196_520 Depth=1
	v_mov_b64_e32 v[58:59], 0x8000000000000000
	v_lshrrev_b32_e32 v63, 24, v62
	s_mov_b32 s14, exec_lo
	s_delay_alu instid0(VALU_DEP_1)
	v_cmpx_ne_u32_e32 0x80, v63
	s_cbranch_execz .LBB196_789
; %bb.784:                              ;   in Loop: Header=BB196_520 Depth=1
	v_mov_b64_e32 v[58:59], 0x7f80000100000000
	v_bfe_u32 v62, v62, 24, 7
	s_mov_b32 s15, exec_lo
	s_delay_alu instid0(VALU_DEP_1)
	v_cmpx_ne_u32_e32 0x7f, v62
	s_cbranch_execz .LBB196_788
; %bb.785:                              ;   in Loop: Header=BB196_520 Depth=1
	v_dual_lshrrev_b32 v58, 3, v62 :: v_dual_bitop2_b32 v20, 7, v63 bitop3:0x40
	s_mov_b32 s16, exec_lo
	v_cmpx_gt_u32_e32 8, v62
; %bb.786:                              ;   in Loop: Header=BB196_520 Depth=1
	s_delay_alu instid0(VALU_DEP_2) | instskip(NEXT) | instid1(VALU_DEP_1)
	v_clz_i32_u32_e32 v58, v20
	v_min_u32_e32 v58, 32, v58
	s_delay_alu instid0(VALU_DEP_1) | instskip(NEXT) | instid1(VALU_DEP_1)
	v_subrev_nc_u32_e32 v59, 28, v58
	v_lshlrev_b64_e32 v[64:65], v59, v[20:21]
	s_delay_alu instid0(VALU_DEP_1)
	v_dual_sub_nc_u32 v58, 29, v58 :: v_dual_bitop2_b32 v20, 7, v64 bitop3:0x40
; %bb.787:                              ;   in Loop: Header=BB196_520 Depth=1
	s_or_b32 exec_lo, exec_lo, s16
	s_delay_alu instid0(VALU_DEP_1) | instskip(NEXT) | instid1(VALU_DEP_2)
	v_dual_lshlrev_b32 v59, 24, v63 :: v_dual_lshlrev_b32 v20, 20, v20
	v_lshl_add_u32 v58, v58, 23, 0x3c000000
	s_delay_alu instid0(VALU_DEP_2) | instskip(NEXT) | instid1(VALU_DEP_1)
	v_and_b32_e32 v59, 0x80000000, v59
	v_or3_b32 v59, v20, v59, v58
	v_mov_b32_e32 v58, v21
.LBB196_788:                            ;   in Loop: Header=BB196_520 Depth=1
	s_or_b32 exec_lo, exec_lo, s15
.LBB196_789:                            ;   in Loop: Header=BB196_520 Depth=1
	s_delay_alu instid0(SALU_CYCLE_1)
	s_or_b32 exec_lo, exec_lo, s14
.LBB196_790:                            ;   in Loop: Header=BB196_520 Depth=1
	s_delay_alu instid0(SALU_CYCLE_1)
	s_or_b32 exec_lo, exec_lo, s11
	v_mov_b64_e32 v[62:63], s[2:3]
	v_or_b32_e32 v1, v1, v57
	v_or_b32_e32 v0, v0, v56
	;; [unrolled: 1-line block ×4, first 2 shown]
	s_delay_alu instid0(VALU_DEP_3) | instskip(NEXT) | instid1(VALU_DEP_2)
	v_pk_mul_f32 v[56:57], v[62:63], v[0:1]
	v_pk_mul_f32 v[0:1], v[62:63], v[58:59]
	s_and_saveexec_b32 s11, vcc_lo
	s_cbranch_execz .LBB196_792
; %bb.791:                              ;   in Loop: Header=BB196_520 Depth=1
	v_cmp_gt_i32_e64 s0, s25, v93
	s_delay_alu instid0(VALU_DEP_1) | instskip(SKIP_1) | instid1(VALU_DEP_1)
	v_cndmask_b32_e64 v56, 0, v56, s0
	v_cmp_gt_i32_e64 s0, s25, v96
	v_cndmask_b32_e64 v57, 0, v57, s0
	v_cmp_gt_i32_e64 s0, s25, v87
	s_delay_alu instid0(VALU_DEP_1) | instskip(SKIP_1) | instid1(VALU_DEP_1)
	v_cndmask_b32_e64 v0, 0, v0, s0
	v_cmp_gt_i32_e64 s0, s25, v86
	v_cndmask_b32_e64 v1, 0, v1, s0
.LBB196_792:                            ;   in Loop: Header=BB196_520 Depth=1
	s_or_b32 exec_lo, exec_lo, s11
	global_load_b32 v66, v[30:31], off offset:1024
	v_mov_b64_e32 v[58:59], 0
	v_mov_b64_e32 v[60:61], 0
	s_mov_b32 s11, exec_lo
	s_wait_loadcnt 0x0
	v_and_b32_e32 v20, 0xff, v66
	s_delay_alu instid0(VALU_DEP_1)
	v_cmpx_ne_u16_e32 0, v20
	s_cbranch_execz .LBB196_800
; %bb.793:                              ;   in Loop: Header=BB196_520 Depth=1
	v_mov_b64_e32 v[60:61], 0x80000000
	s_mov_b32 s14, exec_lo
	v_cmpx_ne_u16_e32 0x80, v20
	s_cbranch_execz .LBB196_799
; %bb.794:                              ;   in Loop: Header=BB196_520 Depth=1
	v_mov_b64_e32 v[60:61], 0x7f800001
	v_and_b32_e32 v62, 0x7f, v66
	s_mov_b32 s15, exec_lo
	s_delay_alu instid0(VALU_DEP_1)
	v_cmpx_ne_u32_e32 0x7f, v62
	s_cbranch_execz .LBB196_798
; %bb.795:                              ;   in Loop: Header=BB196_520 Depth=1
	v_and_b32_e32 v20, 7, v66
	v_lshrrev_b32_e32 v60, 3, v62
	s_mov_b32 s16, exec_lo
	v_cmpx_gt_u32_e32 8, v62
; %bb.796:                              ;   in Loop: Header=BB196_520 Depth=1
	s_delay_alu instid0(VALU_DEP_3) | instskip(NEXT) | instid1(VALU_DEP_1)
	v_clz_i32_u32_e32 v60, v20
	v_min_u32_e32 v60, 32, v60
	s_delay_alu instid0(VALU_DEP_1) | instskip(NEXT) | instid1(VALU_DEP_1)
	v_subrev_nc_u32_e32 v61, 28, v60
	v_lshlrev_b64_e32 v[62:63], v61, v[20:21]
	s_delay_alu instid0(VALU_DEP_1)
	v_dual_sub_nc_u32 v60, 29, v60 :: v_dual_bitop2_b32 v20, 7, v62 bitop3:0x40
; %bb.797:                              ;   in Loop: Header=BB196_520 Depth=1
	s_or_b32 exec_lo, exec_lo, s16
	s_delay_alu instid0(VALU_DEP_1) | instskip(NEXT) | instid1(VALU_DEP_2)
	v_dual_lshlrev_b32 v61, 24, v66 :: v_dual_lshlrev_b32 v20, 20, v20
	v_lshl_add_u32 v60, v60, 23, 0x3c000000
	s_delay_alu instid0(VALU_DEP_2) | instskip(NEXT) | instid1(VALU_DEP_1)
	v_and_b32_e32 v61, 0x80000000, v61
	v_or3_b32 v20, v20, v61, v60
	s_delay_alu instid0(VALU_DEP_1)
	v_mov_b64_e32 v[60:61], v[20:21]
.LBB196_798:                            ;   in Loop: Header=BB196_520 Depth=1
	s_or_b32 exec_lo, exec_lo, s15
.LBB196_799:                            ;   in Loop: Header=BB196_520 Depth=1
	s_delay_alu instid0(SALU_CYCLE_1)
	s_or_b32 exec_lo, exec_lo, s14
.LBB196_800:                            ;   in Loop: Header=BB196_520 Depth=1
	s_delay_alu instid0(SALU_CYCLE_1) | instskip(SKIP_2) | instid1(VALU_DEP_1)
	s_or_b32 exec_lo, exec_lo, s11
	v_lshrrev_b16 v20, 8, v66
	s_mov_b32 s11, exec_lo
	v_cmpx_ne_u16_e32 0, v20
	s_cbranch_execz .LBB196_808
; %bb.801:                              ;   in Loop: Header=BB196_520 Depth=1
	v_mov_b64_e32 v[58:59], 0x8000000000000000
	s_mov_b32 s14, exec_lo
	v_cmpx_ne_u16_e32 0x80, v20
	s_cbranch_execz .LBB196_807
; %bb.802:                              ;   in Loop: Header=BB196_520 Depth=1
	v_and_b32_e32 v20, 0xffff, v20
	v_mov_b64_e32 v[58:59], 0x7f80000100000000
	s_mov_b32 s15, exec_lo
	s_delay_alu instid0(VALU_DEP_2) | instskip(NEXT) | instid1(VALU_DEP_1)
	v_and_b32_e32 v62, 0x7f, v20
	v_cmpx_ne_u32_e32 0x7f, v62
	s_cbranch_execz .LBB196_806
; %bb.803:                              ;   in Loop: Header=BB196_520 Depth=1
	v_dual_lshrrev_b32 v58, 3, v62 :: v_dual_bitop2_b32 v20, 7, v20 bitop3:0x40
	s_mov_b32 s16, exec_lo
	v_cmpx_gt_u32_e32 8, v62
; %bb.804:                              ;   in Loop: Header=BB196_520 Depth=1
	s_delay_alu instid0(VALU_DEP_2) | instskip(NEXT) | instid1(VALU_DEP_1)
	v_clz_i32_u32_e32 v58, v20
	v_min_u32_e32 v58, 32, v58
	s_delay_alu instid0(VALU_DEP_1) | instskip(SKIP_1) | instid1(VALU_DEP_2)
	v_subrev_nc_u32_e32 v59, 28, v58
	v_sub_nc_u32_e32 v58, 29, v58
	v_lshlrev_b64_e32 v[62:63], v59, v[20:21]
	s_delay_alu instid0(VALU_DEP_1)
	v_and_b32_e32 v20, 7, v62
; %bb.805:                              ;   in Loop: Header=BB196_520 Depth=1
	s_or_b32 exec_lo, exec_lo, s16
	s_delay_alu instid0(VALU_DEP_1) | instskip(SKIP_1) | instid1(VALU_DEP_2)
	v_dual_lshlrev_b32 v59, 16, v66 :: v_dual_lshlrev_b32 v20, 20, v20
	v_lshl_add_u32 v58, v58, 23, 0x3c000000
	v_and_b32_e32 v59, 0x80000000, v59
	s_delay_alu instid0(VALU_DEP_1)
	v_or3_b32 v59, v20, v59, v58
	v_mov_b32_e32 v58, v21
.LBB196_806:                            ;   in Loop: Header=BB196_520 Depth=1
	s_or_b32 exec_lo, exec_lo, s15
.LBB196_807:                            ;   in Loop: Header=BB196_520 Depth=1
	s_delay_alu instid0(SALU_CYCLE_1)
	s_or_b32 exec_lo, exec_lo, s14
.LBB196_808:                            ;   in Loop: Header=BB196_520 Depth=1
	s_delay_alu instid0(SALU_CYCLE_1) | instskip(SKIP_4) | instid1(VALU_DEP_3)
	s_or_b32 exec_lo, exec_lo, s11
	v_lshrrev_b32_e32 v67, 16, v66
	v_mov_b64_e32 v[62:63], 0
	v_mov_b64_e32 v[64:65], 0
	s_mov_b32 s11, exec_lo
	v_and_b32_e32 v20, 0xff, v67
	s_delay_alu instid0(VALU_DEP_1)
	v_cmpx_ne_u16_e32 0, v20
	s_cbranch_execz .LBB196_816
; %bb.809:                              ;   in Loop: Header=BB196_520 Depth=1
	v_mov_b64_e32 v[64:65], 0x80000000
	s_mov_b32 s14, exec_lo
	v_cmpx_ne_u16_e32 0x80, v20
	s_cbranch_execz .LBB196_815
; %bb.810:                              ;   in Loop: Header=BB196_520 Depth=1
	v_mov_b64_e32 v[64:65], 0x7f800001
	v_bfe_u32 v68, v66, 16, 7
	s_mov_b32 s15, exec_lo
	s_delay_alu instid0(VALU_DEP_1)
	v_cmpx_ne_u32_e32 0x7f, v68
	s_cbranch_execz .LBB196_814
; %bb.811:                              ;   in Loop: Header=BB196_520 Depth=1
	v_dual_lshrrev_b32 v64, 3, v68 :: v_dual_bitop2_b32 v20, 7, v67 bitop3:0x40
	s_mov_b32 s16, exec_lo
	v_cmpx_gt_u32_e32 8, v68
; %bb.812:                              ;   in Loop: Header=BB196_520 Depth=1
	s_delay_alu instid0(VALU_DEP_2) | instskip(NEXT) | instid1(VALU_DEP_1)
	v_clz_i32_u32_e32 v64, v20
	v_min_u32_e32 v64, 32, v64
	s_delay_alu instid0(VALU_DEP_1) | instskip(SKIP_1) | instid1(VALU_DEP_2)
	v_subrev_nc_u32_e32 v65, 28, v64
	v_sub_nc_u32_e32 v64, 29, v64
	v_lshlrev_b64_e32 v[68:69], v65, v[20:21]
	s_delay_alu instid0(VALU_DEP_1)
	v_and_b32_e32 v20, 7, v68
; %bb.813:                              ;   in Loop: Header=BB196_520 Depth=1
	s_or_b32 exec_lo, exec_lo, s16
	s_delay_alu instid0(VALU_DEP_1) | instskip(SKIP_1) | instid1(VALU_DEP_2)
	v_dual_lshlrev_b32 v65, 24, v67 :: v_dual_lshlrev_b32 v20, 20, v20
	v_lshl_add_u32 v64, v64, 23, 0x3c000000
	v_and_b32_e32 v65, 0x80000000, v65
	s_delay_alu instid0(VALU_DEP_1) | instskip(NEXT) | instid1(VALU_DEP_1)
	v_or3_b32 v20, v20, v65, v64
	v_mov_b64_e32 v[64:65], v[20:21]
.LBB196_814:                            ;   in Loop: Header=BB196_520 Depth=1
	s_or_b32 exec_lo, exec_lo, s15
.LBB196_815:                            ;   in Loop: Header=BB196_520 Depth=1
	s_delay_alu instid0(SALU_CYCLE_1)
	s_or_b32 exec_lo, exec_lo, s14
.LBB196_816:                            ;   in Loop: Header=BB196_520 Depth=1
	s_delay_alu instid0(SALU_CYCLE_1) | instskip(NEXT) | instid1(SALU_CYCLE_1)
	s_or_b32 exec_lo, exec_lo, s11
	s_mov_b32 s11, exec_lo
	v_cmpx_lt_u32_e32 0xffffff, v66
	s_cbranch_execz .LBB196_824
; %bb.817:                              ;   in Loop: Header=BB196_520 Depth=1
	v_mov_b64_e32 v[62:63], 0x8000000000000000
	v_lshrrev_b32_e32 v67, 24, v66
	s_mov_b32 s14, exec_lo
	s_delay_alu instid0(VALU_DEP_1)
	v_cmpx_ne_u32_e32 0x80, v67
	s_cbranch_execz .LBB196_823
; %bb.818:                              ;   in Loop: Header=BB196_520 Depth=1
	v_mov_b64_e32 v[62:63], 0x7f80000100000000
	v_bfe_u32 v66, v66, 24, 7
	s_mov_b32 s15, exec_lo
	s_delay_alu instid0(VALU_DEP_1)
	v_cmpx_ne_u32_e32 0x7f, v66
	s_cbranch_execz .LBB196_822
; %bb.819:                              ;   in Loop: Header=BB196_520 Depth=1
	v_dual_lshrrev_b32 v62, 3, v66 :: v_dual_bitop2_b32 v20, 7, v67 bitop3:0x40
	s_mov_b32 s16, exec_lo
	v_cmpx_gt_u32_e32 8, v66
; %bb.820:                              ;   in Loop: Header=BB196_520 Depth=1
	s_delay_alu instid0(VALU_DEP_2) | instskip(NEXT) | instid1(VALU_DEP_1)
	v_clz_i32_u32_e32 v62, v20
	v_min_u32_e32 v62, 32, v62
	s_delay_alu instid0(VALU_DEP_1) | instskip(NEXT) | instid1(VALU_DEP_1)
	v_subrev_nc_u32_e32 v63, 28, v62
	v_lshlrev_b64_e32 v[68:69], v63, v[20:21]
	s_delay_alu instid0(VALU_DEP_1)
	v_dual_sub_nc_u32 v62, 29, v62 :: v_dual_bitop2_b32 v20, 7, v68 bitop3:0x40
; %bb.821:                              ;   in Loop: Header=BB196_520 Depth=1
	s_or_b32 exec_lo, exec_lo, s16
	s_delay_alu instid0(VALU_DEP_1) | instskip(NEXT) | instid1(VALU_DEP_2)
	v_dual_lshlrev_b32 v63, 24, v67 :: v_dual_lshlrev_b32 v20, 20, v20
	v_lshl_add_u32 v62, v62, 23, 0x3c000000
	s_delay_alu instid0(VALU_DEP_2) | instskip(NEXT) | instid1(VALU_DEP_1)
	v_and_b32_e32 v63, 0x80000000, v63
	v_or3_b32 v63, v20, v63, v62
	v_mov_b32_e32 v62, v21
.LBB196_822:                            ;   in Loop: Header=BB196_520 Depth=1
	s_or_b32 exec_lo, exec_lo, s15
.LBB196_823:                            ;   in Loop: Header=BB196_520 Depth=1
	s_delay_alu instid0(SALU_CYCLE_1)
	s_or_b32 exec_lo, exec_lo, s14
.LBB196_824:                            ;   in Loop: Header=BB196_520 Depth=1
	s_delay_alu instid0(SALU_CYCLE_1)
	s_or_b32 exec_lo, exec_lo, s11
	v_mov_b64_e32 v[66:67], s[2:3]
	v_or_b32_e32 v59, v59, v61
	v_or_b32_e32 v58, v58, v60
	v_or_b32_e32 v63, v63, v65
	v_or_b32_e32 v62, v62, v64
	s_delay_alu instid0(VALU_DEP_3) | instskip(NEXT) | instid1(VALU_DEP_2)
	v_pk_mul_f32 v[60:61], v[66:67], v[58:59]
	v_pk_mul_f32 v[58:59], v[66:67], v[62:63]
	s_and_saveexec_b32 s11, vcc_lo
	s_cbranch_execz .LBB196_826
; %bb.825:                              ;   in Loop: Header=BB196_520 Depth=1
	v_cmp_gt_i32_e64 s0, s25, v93
	s_delay_alu instid0(VALU_DEP_1) | instskip(SKIP_1) | instid1(VALU_DEP_1)
	v_cndmask_b32_e64 v60, 0, v60, s0
	v_cmp_gt_i32_e64 s0, s25, v96
	v_cndmask_b32_e64 v61, 0, v61, s0
	v_cmp_gt_i32_e64 s0, s25, v87
	s_delay_alu instid0(VALU_DEP_1) | instskip(SKIP_1) | instid1(VALU_DEP_1)
	v_cndmask_b32_e64 v58, 0, v58, s0
	v_cmp_gt_i32_e64 s0, s25, v86
	v_cndmask_b32_e64 v59, 0, v59, s0
.LBB196_826:                            ;   in Loop: Header=BB196_520 Depth=1
	s_or_b32 exec_lo, exec_lo, s11
	global_load_b32 v70, v[30:31], off offset:1152
	v_mov_b64_e32 v[62:63], 0
	v_mov_b64_e32 v[64:65], 0
	s_mov_b32 s11, exec_lo
	s_wait_loadcnt 0x0
	v_and_b32_e32 v20, 0xff, v70
	s_delay_alu instid0(VALU_DEP_1)
	v_cmpx_ne_u16_e32 0, v20
	s_cbranch_execz .LBB196_834
; %bb.827:                              ;   in Loop: Header=BB196_520 Depth=1
	v_mov_b64_e32 v[64:65], 0x80000000
	s_mov_b32 s14, exec_lo
	v_cmpx_ne_u16_e32 0x80, v20
	s_cbranch_execz .LBB196_833
; %bb.828:                              ;   in Loop: Header=BB196_520 Depth=1
	v_mov_b64_e32 v[64:65], 0x7f800001
	v_and_b32_e32 v66, 0x7f, v70
	s_mov_b32 s15, exec_lo
	s_delay_alu instid0(VALU_DEP_1)
	v_cmpx_ne_u32_e32 0x7f, v66
	s_cbranch_execz .LBB196_832
; %bb.829:                              ;   in Loop: Header=BB196_520 Depth=1
	v_and_b32_e32 v20, 7, v70
	v_lshrrev_b32_e32 v64, 3, v66
	s_mov_b32 s16, exec_lo
	v_cmpx_gt_u32_e32 8, v66
; %bb.830:                              ;   in Loop: Header=BB196_520 Depth=1
	s_delay_alu instid0(VALU_DEP_3) | instskip(NEXT) | instid1(VALU_DEP_1)
	v_clz_i32_u32_e32 v64, v20
	v_min_u32_e32 v64, 32, v64
	s_delay_alu instid0(VALU_DEP_1) | instskip(NEXT) | instid1(VALU_DEP_1)
	v_subrev_nc_u32_e32 v65, 28, v64
	v_lshlrev_b64_e32 v[66:67], v65, v[20:21]
	s_delay_alu instid0(VALU_DEP_1)
	v_dual_sub_nc_u32 v64, 29, v64 :: v_dual_bitop2_b32 v20, 7, v66 bitop3:0x40
; %bb.831:                              ;   in Loop: Header=BB196_520 Depth=1
	s_or_b32 exec_lo, exec_lo, s16
	s_delay_alu instid0(VALU_DEP_1) | instskip(NEXT) | instid1(VALU_DEP_2)
	v_dual_lshlrev_b32 v65, 24, v70 :: v_dual_lshlrev_b32 v20, 20, v20
	v_lshl_add_u32 v64, v64, 23, 0x3c000000
	s_delay_alu instid0(VALU_DEP_2) | instskip(NEXT) | instid1(VALU_DEP_1)
	v_and_b32_e32 v65, 0x80000000, v65
	v_or3_b32 v20, v20, v65, v64
	s_delay_alu instid0(VALU_DEP_1)
	v_mov_b64_e32 v[64:65], v[20:21]
.LBB196_832:                            ;   in Loop: Header=BB196_520 Depth=1
	s_or_b32 exec_lo, exec_lo, s15
.LBB196_833:                            ;   in Loop: Header=BB196_520 Depth=1
	s_delay_alu instid0(SALU_CYCLE_1)
	s_or_b32 exec_lo, exec_lo, s14
.LBB196_834:                            ;   in Loop: Header=BB196_520 Depth=1
	s_delay_alu instid0(SALU_CYCLE_1) | instskip(SKIP_2) | instid1(VALU_DEP_1)
	s_or_b32 exec_lo, exec_lo, s11
	v_lshrrev_b16 v20, 8, v70
	s_mov_b32 s11, exec_lo
	v_cmpx_ne_u16_e32 0, v20
	s_cbranch_execz .LBB196_842
; %bb.835:                              ;   in Loop: Header=BB196_520 Depth=1
	v_mov_b64_e32 v[62:63], 0x8000000000000000
	s_mov_b32 s14, exec_lo
	v_cmpx_ne_u16_e32 0x80, v20
	s_cbranch_execz .LBB196_841
; %bb.836:                              ;   in Loop: Header=BB196_520 Depth=1
	v_and_b32_e32 v20, 0xffff, v20
	v_mov_b64_e32 v[62:63], 0x7f80000100000000
	s_mov_b32 s15, exec_lo
	s_delay_alu instid0(VALU_DEP_2) | instskip(NEXT) | instid1(VALU_DEP_1)
	v_and_b32_e32 v66, 0x7f, v20
	v_cmpx_ne_u32_e32 0x7f, v66
	s_cbranch_execz .LBB196_840
; %bb.837:                              ;   in Loop: Header=BB196_520 Depth=1
	v_dual_lshrrev_b32 v62, 3, v66 :: v_dual_bitop2_b32 v20, 7, v20 bitop3:0x40
	s_mov_b32 s16, exec_lo
	v_cmpx_gt_u32_e32 8, v66
; %bb.838:                              ;   in Loop: Header=BB196_520 Depth=1
	s_delay_alu instid0(VALU_DEP_2) | instskip(NEXT) | instid1(VALU_DEP_1)
	v_clz_i32_u32_e32 v62, v20
	v_min_u32_e32 v62, 32, v62
	s_delay_alu instid0(VALU_DEP_1) | instskip(SKIP_1) | instid1(VALU_DEP_2)
	v_subrev_nc_u32_e32 v63, 28, v62
	v_sub_nc_u32_e32 v62, 29, v62
	v_lshlrev_b64_e32 v[66:67], v63, v[20:21]
	s_delay_alu instid0(VALU_DEP_1)
	v_and_b32_e32 v20, 7, v66
; %bb.839:                              ;   in Loop: Header=BB196_520 Depth=1
	s_or_b32 exec_lo, exec_lo, s16
	s_delay_alu instid0(VALU_DEP_1) | instskip(SKIP_1) | instid1(VALU_DEP_2)
	v_dual_lshlrev_b32 v63, 16, v70 :: v_dual_lshlrev_b32 v20, 20, v20
	v_lshl_add_u32 v62, v62, 23, 0x3c000000
	v_and_b32_e32 v63, 0x80000000, v63
	s_delay_alu instid0(VALU_DEP_1)
	v_or3_b32 v63, v20, v63, v62
	v_mov_b32_e32 v62, v21
.LBB196_840:                            ;   in Loop: Header=BB196_520 Depth=1
	s_or_b32 exec_lo, exec_lo, s15
.LBB196_841:                            ;   in Loop: Header=BB196_520 Depth=1
	s_delay_alu instid0(SALU_CYCLE_1)
	s_or_b32 exec_lo, exec_lo, s14
.LBB196_842:                            ;   in Loop: Header=BB196_520 Depth=1
	s_delay_alu instid0(SALU_CYCLE_1) | instskip(SKIP_4) | instid1(VALU_DEP_3)
	s_or_b32 exec_lo, exec_lo, s11
	v_lshrrev_b32_e32 v71, 16, v70
	v_mov_b64_e32 v[66:67], 0
	v_mov_b64_e32 v[68:69], 0
	s_mov_b32 s11, exec_lo
	v_and_b32_e32 v20, 0xff, v71
	s_delay_alu instid0(VALU_DEP_1)
	v_cmpx_ne_u16_e32 0, v20
	s_cbranch_execz .LBB196_850
; %bb.843:                              ;   in Loop: Header=BB196_520 Depth=1
	v_mov_b64_e32 v[68:69], 0x80000000
	s_mov_b32 s14, exec_lo
	v_cmpx_ne_u16_e32 0x80, v20
	s_cbranch_execz .LBB196_849
; %bb.844:                              ;   in Loop: Header=BB196_520 Depth=1
	v_mov_b64_e32 v[68:69], 0x7f800001
	v_bfe_u32 v72, v70, 16, 7
	s_mov_b32 s15, exec_lo
	s_delay_alu instid0(VALU_DEP_1)
	v_cmpx_ne_u32_e32 0x7f, v72
	s_cbranch_execz .LBB196_848
; %bb.845:                              ;   in Loop: Header=BB196_520 Depth=1
	v_dual_lshrrev_b32 v68, 3, v72 :: v_dual_bitop2_b32 v20, 7, v71 bitop3:0x40
	s_mov_b32 s16, exec_lo
	v_cmpx_gt_u32_e32 8, v72
; %bb.846:                              ;   in Loop: Header=BB196_520 Depth=1
	s_delay_alu instid0(VALU_DEP_2) | instskip(NEXT) | instid1(VALU_DEP_1)
	v_clz_i32_u32_e32 v68, v20
	v_min_u32_e32 v68, 32, v68
	s_delay_alu instid0(VALU_DEP_1) | instskip(SKIP_1) | instid1(VALU_DEP_2)
	v_subrev_nc_u32_e32 v69, 28, v68
	v_sub_nc_u32_e32 v68, 29, v68
	v_lshlrev_b64_e32 v[72:73], v69, v[20:21]
	s_delay_alu instid0(VALU_DEP_1)
	v_and_b32_e32 v20, 7, v72
; %bb.847:                              ;   in Loop: Header=BB196_520 Depth=1
	s_or_b32 exec_lo, exec_lo, s16
	s_delay_alu instid0(VALU_DEP_1) | instskip(SKIP_1) | instid1(VALU_DEP_2)
	v_dual_lshlrev_b32 v69, 24, v71 :: v_dual_lshlrev_b32 v20, 20, v20
	v_lshl_add_u32 v68, v68, 23, 0x3c000000
	v_and_b32_e32 v69, 0x80000000, v69
	s_delay_alu instid0(VALU_DEP_1) | instskip(NEXT) | instid1(VALU_DEP_1)
	v_or3_b32 v20, v20, v69, v68
	v_mov_b64_e32 v[68:69], v[20:21]
.LBB196_848:                            ;   in Loop: Header=BB196_520 Depth=1
	s_or_b32 exec_lo, exec_lo, s15
.LBB196_849:                            ;   in Loop: Header=BB196_520 Depth=1
	s_delay_alu instid0(SALU_CYCLE_1)
	s_or_b32 exec_lo, exec_lo, s14
.LBB196_850:                            ;   in Loop: Header=BB196_520 Depth=1
	s_delay_alu instid0(SALU_CYCLE_1) | instskip(NEXT) | instid1(SALU_CYCLE_1)
	s_or_b32 exec_lo, exec_lo, s11
	s_mov_b32 s11, exec_lo
	v_cmpx_lt_u32_e32 0xffffff, v70
	s_cbranch_execz .LBB196_858
; %bb.851:                              ;   in Loop: Header=BB196_520 Depth=1
	v_mov_b64_e32 v[66:67], 0x8000000000000000
	v_lshrrev_b32_e32 v71, 24, v70
	s_mov_b32 s14, exec_lo
	s_delay_alu instid0(VALU_DEP_1)
	v_cmpx_ne_u32_e32 0x80, v71
	s_cbranch_execz .LBB196_857
; %bb.852:                              ;   in Loop: Header=BB196_520 Depth=1
	v_mov_b64_e32 v[66:67], 0x7f80000100000000
	v_bfe_u32 v70, v70, 24, 7
	s_mov_b32 s15, exec_lo
	s_delay_alu instid0(VALU_DEP_1)
	v_cmpx_ne_u32_e32 0x7f, v70
	s_cbranch_execz .LBB196_856
; %bb.853:                              ;   in Loop: Header=BB196_520 Depth=1
	v_dual_lshrrev_b32 v66, 3, v70 :: v_dual_bitop2_b32 v20, 7, v71 bitop3:0x40
	s_mov_b32 s16, exec_lo
	v_cmpx_gt_u32_e32 8, v70
; %bb.854:                              ;   in Loop: Header=BB196_520 Depth=1
	s_delay_alu instid0(VALU_DEP_2) | instskip(NEXT) | instid1(VALU_DEP_1)
	v_clz_i32_u32_e32 v66, v20
	v_min_u32_e32 v66, 32, v66
	s_delay_alu instid0(VALU_DEP_1) | instskip(NEXT) | instid1(VALU_DEP_1)
	v_subrev_nc_u32_e32 v67, 28, v66
	v_lshlrev_b64_e32 v[72:73], v67, v[20:21]
	s_delay_alu instid0(VALU_DEP_1)
	v_dual_sub_nc_u32 v66, 29, v66 :: v_dual_bitop2_b32 v20, 7, v72 bitop3:0x40
; %bb.855:                              ;   in Loop: Header=BB196_520 Depth=1
	s_or_b32 exec_lo, exec_lo, s16
	s_delay_alu instid0(VALU_DEP_1) | instskip(NEXT) | instid1(VALU_DEP_2)
	v_dual_lshlrev_b32 v67, 24, v71 :: v_dual_lshlrev_b32 v20, 20, v20
	v_lshl_add_u32 v66, v66, 23, 0x3c000000
	s_delay_alu instid0(VALU_DEP_2) | instskip(NEXT) | instid1(VALU_DEP_1)
	v_and_b32_e32 v67, 0x80000000, v67
	v_or3_b32 v67, v20, v67, v66
	v_mov_b32_e32 v66, v21
.LBB196_856:                            ;   in Loop: Header=BB196_520 Depth=1
	s_or_b32 exec_lo, exec_lo, s15
.LBB196_857:                            ;   in Loop: Header=BB196_520 Depth=1
	s_delay_alu instid0(SALU_CYCLE_1)
	s_or_b32 exec_lo, exec_lo, s14
.LBB196_858:                            ;   in Loop: Header=BB196_520 Depth=1
	s_delay_alu instid0(SALU_CYCLE_1)
	s_or_b32 exec_lo, exec_lo, s11
	v_mov_b64_e32 v[70:71], s[2:3]
	v_or_b32_e32 v63, v63, v65
	v_or_b32_e32 v62, v62, v64
	;; [unrolled: 1-line block ×4, first 2 shown]
	s_delay_alu instid0(VALU_DEP_3) | instskip(NEXT) | instid1(VALU_DEP_2)
	v_pk_mul_f32 v[64:65], v[70:71], v[62:63]
	v_pk_mul_f32 v[62:63], v[70:71], v[66:67]
	s_and_saveexec_b32 s11, vcc_lo
	s_cbranch_execz .LBB196_860
; %bb.859:                              ;   in Loop: Header=BB196_520 Depth=1
	v_cmp_gt_i32_e64 s0, s25, v93
	s_delay_alu instid0(VALU_DEP_1) | instskip(SKIP_1) | instid1(VALU_DEP_1)
	v_cndmask_b32_e64 v64, 0, v64, s0
	v_cmp_gt_i32_e64 s0, s25, v96
	v_cndmask_b32_e64 v65, 0, v65, s0
	v_cmp_gt_i32_e64 s0, s25, v87
	s_delay_alu instid0(VALU_DEP_1) | instskip(SKIP_1) | instid1(VALU_DEP_1)
	v_cndmask_b32_e64 v62, 0, v62, s0
	v_cmp_gt_i32_e64 s0, s25, v86
	v_cndmask_b32_e64 v63, 0, v63, s0
.LBB196_860:                            ;   in Loop: Header=BB196_520 Depth=1
	s_or_b32 exec_lo, exec_lo, s11
	global_load_b32 v74, v[30:31], off offset:1280
	v_mov_b64_e32 v[66:67], 0
	v_mov_b64_e32 v[68:69], 0
	s_mov_b32 s11, exec_lo
	s_wait_loadcnt 0x0
	v_and_b32_e32 v20, 0xff, v74
	s_delay_alu instid0(VALU_DEP_1)
	v_cmpx_ne_u16_e32 0, v20
	s_cbranch_execz .LBB196_868
; %bb.861:                              ;   in Loop: Header=BB196_520 Depth=1
	v_mov_b64_e32 v[68:69], 0x80000000
	s_mov_b32 s14, exec_lo
	v_cmpx_ne_u16_e32 0x80, v20
	s_cbranch_execz .LBB196_867
; %bb.862:                              ;   in Loop: Header=BB196_520 Depth=1
	v_mov_b64_e32 v[68:69], 0x7f800001
	v_and_b32_e32 v70, 0x7f, v74
	s_mov_b32 s15, exec_lo
	s_delay_alu instid0(VALU_DEP_1)
	v_cmpx_ne_u32_e32 0x7f, v70
	s_cbranch_execz .LBB196_866
; %bb.863:                              ;   in Loop: Header=BB196_520 Depth=1
	v_and_b32_e32 v20, 7, v74
	v_lshrrev_b32_e32 v68, 3, v70
	s_mov_b32 s16, exec_lo
	v_cmpx_gt_u32_e32 8, v70
; %bb.864:                              ;   in Loop: Header=BB196_520 Depth=1
	s_delay_alu instid0(VALU_DEP_3) | instskip(NEXT) | instid1(VALU_DEP_1)
	v_clz_i32_u32_e32 v68, v20
	v_min_u32_e32 v68, 32, v68
	s_delay_alu instid0(VALU_DEP_1) | instskip(NEXT) | instid1(VALU_DEP_1)
	v_subrev_nc_u32_e32 v69, 28, v68
	v_lshlrev_b64_e32 v[70:71], v69, v[20:21]
	s_delay_alu instid0(VALU_DEP_1)
	v_dual_sub_nc_u32 v68, 29, v68 :: v_dual_bitop2_b32 v20, 7, v70 bitop3:0x40
; %bb.865:                              ;   in Loop: Header=BB196_520 Depth=1
	s_or_b32 exec_lo, exec_lo, s16
	s_delay_alu instid0(VALU_DEP_1) | instskip(NEXT) | instid1(VALU_DEP_2)
	v_dual_lshlrev_b32 v69, 24, v74 :: v_dual_lshlrev_b32 v20, 20, v20
	v_lshl_add_u32 v68, v68, 23, 0x3c000000
	s_delay_alu instid0(VALU_DEP_2) | instskip(NEXT) | instid1(VALU_DEP_1)
	v_and_b32_e32 v69, 0x80000000, v69
	v_or3_b32 v20, v20, v69, v68
	s_delay_alu instid0(VALU_DEP_1)
	v_mov_b64_e32 v[68:69], v[20:21]
.LBB196_866:                            ;   in Loop: Header=BB196_520 Depth=1
	s_or_b32 exec_lo, exec_lo, s15
.LBB196_867:                            ;   in Loop: Header=BB196_520 Depth=1
	s_delay_alu instid0(SALU_CYCLE_1)
	s_or_b32 exec_lo, exec_lo, s14
.LBB196_868:                            ;   in Loop: Header=BB196_520 Depth=1
	s_delay_alu instid0(SALU_CYCLE_1) | instskip(SKIP_2) | instid1(VALU_DEP_1)
	s_or_b32 exec_lo, exec_lo, s11
	v_lshrrev_b16 v20, 8, v74
	s_mov_b32 s11, exec_lo
	v_cmpx_ne_u16_e32 0, v20
	s_cbranch_execz .LBB196_876
; %bb.869:                              ;   in Loop: Header=BB196_520 Depth=1
	v_mov_b64_e32 v[66:67], 0x8000000000000000
	s_mov_b32 s14, exec_lo
	v_cmpx_ne_u16_e32 0x80, v20
	s_cbranch_execz .LBB196_875
; %bb.870:                              ;   in Loop: Header=BB196_520 Depth=1
	v_and_b32_e32 v20, 0xffff, v20
	v_mov_b64_e32 v[66:67], 0x7f80000100000000
	s_mov_b32 s15, exec_lo
	s_delay_alu instid0(VALU_DEP_2) | instskip(NEXT) | instid1(VALU_DEP_1)
	v_and_b32_e32 v70, 0x7f, v20
	v_cmpx_ne_u32_e32 0x7f, v70
	s_cbranch_execz .LBB196_874
; %bb.871:                              ;   in Loop: Header=BB196_520 Depth=1
	v_dual_lshrrev_b32 v66, 3, v70 :: v_dual_bitop2_b32 v20, 7, v20 bitop3:0x40
	s_mov_b32 s16, exec_lo
	v_cmpx_gt_u32_e32 8, v70
; %bb.872:                              ;   in Loop: Header=BB196_520 Depth=1
	s_delay_alu instid0(VALU_DEP_2) | instskip(NEXT) | instid1(VALU_DEP_1)
	v_clz_i32_u32_e32 v66, v20
	v_min_u32_e32 v66, 32, v66
	s_delay_alu instid0(VALU_DEP_1) | instskip(SKIP_1) | instid1(VALU_DEP_2)
	v_subrev_nc_u32_e32 v67, 28, v66
	v_sub_nc_u32_e32 v66, 29, v66
	v_lshlrev_b64_e32 v[70:71], v67, v[20:21]
	s_delay_alu instid0(VALU_DEP_1)
	v_and_b32_e32 v20, 7, v70
; %bb.873:                              ;   in Loop: Header=BB196_520 Depth=1
	s_or_b32 exec_lo, exec_lo, s16
	s_delay_alu instid0(VALU_DEP_1) | instskip(SKIP_1) | instid1(VALU_DEP_2)
	v_dual_lshlrev_b32 v67, 16, v74 :: v_dual_lshlrev_b32 v20, 20, v20
	v_lshl_add_u32 v66, v66, 23, 0x3c000000
	v_and_b32_e32 v67, 0x80000000, v67
	s_delay_alu instid0(VALU_DEP_1)
	v_or3_b32 v67, v20, v67, v66
	v_mov_b32_e32 v66, v21
.LBB196_874:                            ;   in Loop: Header=BB196_520 Depth=1
	s_or_b32 exec_lo, exec_lo, s15
.LBB196_875:                            ;   in Loop: Header=BB196_520 Depth=1
	s_delay_alu instid0(SALU_CYCLE_1)
	s_or_b32 exec_lo, exec_lo, s14
.LBB196_876:                            ;   in Loop: Header=BB196_520 Depth=1
	s_delay_alu instid0(SALU_CYCLE_1) | instskip(SKIP_4) | instid1(VALU_DEP_3)
	s_or_b32 exec_lo, exec_lo, s11
	v_lshrrev_b32_e32 v75, 16, v74
	v_mov_b64_e32 v[70:71], 0
	v_mov_b64_e32 v[72:73], 0
	s_mov_b32 s11, exec_lo
	v_and_b32_e32 v20, 0xff, v75
	s_delay_alu instid0(VALU_DEP_1)
	v_cmpx_ne_u16_e32 0, v20
	s_cbranch_execz .LBB196_884
; %bb.877:                              ;   in Loop: Header=BB196_520 Depth=1
	v_mov_b64_e32 v[72:73], 0x80000000
	s_mov_b32 s14, exec_lo
	v_cmpx_ne_u16_e32 0x80, v20
	s_cbranch_execz .LBB196_883
; %bb.878:                              ;   in Loop: Header=BB196_520 Depth=1
	v_mov_b64_e32 v[72:73], 0x7f800001
	v_bfe_u32 v76, v74, 16, 7
	s_mov_b32 s15, exec_lo
	s_delay_alu instid0(VALU_DEP_1)
	v_cmpx_ne_u32_e32 0x7f, v76
	s_cbranch_execz .LBB196_882
; %bb.879:                              ;   in Loop: Header=BB196_520 Depth=1
	v_dual_lshrrev_b32 v72, 3, v76 :: v_dual_bitop2_b32 v20, 7, v75 bitop3:0x40
	s_mov_b32 s16, exec_lo
	v_cmpx_gt_u32_e32 8, v76
; %bb.880:                              ;   in Loop: Header=BB196_520 Depth=1
	s_delay_alu instid0(VALU_DEP_2) | instskip(NEXT) | instid1(VALU_DEP_1)
	v_clz_i32_u32_e32 v72, v20
	v_min_u32_e32 v72, 32, v72
	s_delay_alu instid0(VALU_DEP_1) | instskip(SKIP_1) | instid1(VALU_DEP_2)
	v_subrev_nc_u32_e32 v73, 28, v72
	v_sub_nc_u32_e32 v72, 29, v72
	v_lshlrev_b64_e32 v[76:77], v73, v[20:21]
	s_delay_alu instid0(VALU_DEP_1)
	v_and_b32_e32 v20, 7, v76
; %bb.881:                              ;   in Loop: Header=BB196_520 Depth=1
	s_or_b32 exec_lo, exec_lo, s16
	s_delay_alu instid0(VALU_DEP_1) | instskip(SKIP_1) | instid1(VALU_DEP_2)
	v_dual_lshlrev_b32 v73, 24, v75 :: v_dual_lshlrev_b32 v20, 20, v20
	v_lshl_add_u32 v72, v72, 23, 0x3c000000
	v_and_b32_e32 v73, 0x80000000, v73
	s_delay_alu instid0(VALU_DEP_1) | instskip(NEXT) | instid1(VALU_DEP_1)
	v_or3_b32 v20, v20, v73, v72
	v_mov_b64_e32 v[72:73], v[20:21]
.LBB196_882:                            ;   in Loop: Header=BB196_520 Depth=1
	s_or_b32 exec_lo, exec_lo, s15
.LBB196_883:                            ;   in Loop: Header=BB196_520 Depth=1
	s_delay_alu instid0(SALU_CYCLE_1)
	s_or_b32 exec_lo, exec_lo, s14
.LBB196_884:                            ;   in Loop: Header=BB196_520 Depth=1
	s_delay_alu instid0(SALU_CYCLE_1) | instskip(NEXT) | instid1(SALU_CYCLE_1)
	s_or_b32 exec_lo, exec_lo, s11
	s_mov_b32 s11, exec_lo
	v_cmpx_lt_u32_e32 0xffffff, v74
	s_cbranch_execz .LBB196_892
; %bb.885:                              ;   in Loop: Header=BB196_520 Depth=1
	v_mov_b64_e32 v[70:71], 0x8000000000000000
	v_lshrrev_b32_e32 v75, 24, v74
	s_mov_b32 s14, exec_lo
	s_delay_alu instid0(VALU_DEP_1)
	v_cmpx_ne_u32_e32 0x80, v75
	s_cbranch_execz .LBB196_891
; %bb.886:                              ;   in Loop: Header=BB196_520 Depth=1
	v_mov_b64_e32 v[70:71], 0x7f80000100000000
	v_bfe_u32 v74, v74, 24, 7
	s_mov_b32 s15, exec_lo
	s_delay_alu instid0(VALU_DEP_1)
	v_cmpx_ne_u32_e32 0x7f, v74
	s_cbranch_execz .LBB196_890
; %bb.887:                              ;   in Loop: Header=BB196_520 Depth=1
	v_dual_lshrrev_b32 v70, 3, v74 :: v_dual_bitop2_b32 v20, 7, v75 bitop3:0x40
	s_mov_b32 s16, exec_lo
	v_cmpx_gt_u32_e32 8, v74
; %bb.888:                              ;   in Loop: Header=BB196_520 Depth=1
	s_delay_alu instid0(VALU_DEP_2) | instskip(NEXT) | instid1(VALU_DEP_1)
	v_clz_i32_u32_e32 v70, v20
	v_min_u32_e32 v70, 32, v70
	s_delay_alu instid0(VALU_DEP_1) | instskip(NEXT) | instid1(VALU_DEP_1)
	v_subrev_nc_u32_e32 v71, 28, v70
	v_lshlrev_b64_e32 v[76:77], v71, v[20:21]
	s_delay_alu instid0(VALU_DEP_1)
	v_dual_sub_nc_u32 v70, 29, v70 :: v_dual_bitop2_b32 v20, 7, v76 bitop3:0x40
; %bb.889:                              ;   in Loop: Header=BB196_520 Depth=1
	s_or_b32 exec_lo, exec_lo, s16
	s_delay_alu instid0(VALU_DEP_1) | instskip(NEXT) | instid1(VALU_DEP_2)
	v_dual_lshlrev_b32 v71, 24, v75 :: v_dual_lshlrev_b32 v20, 20, v20
	v_lshl_add_u32 v70, v70, 23, 0x3c000000
	s_delay_alu instid0(VALU_DEP_2) | instskip(NEXT) | instid1(VALU_DEP_1)
	v_and_b32_e32 v71, 0x80000000, v71
	v_or3_b32 v71, v20, v71, v70
	v_mov_b32_e32 v70, v21
.LBB196_890:                            ;   in Loop: Header=BB196_520 Depth=1
	s_or_b32 exec_lo, exec_lo, s15
.LBB196_891:                            ;   in Loop: Header=BB196_520 Depth=1
	s_delay_alu instid0(SALU_CYCLE_1)
	s_or_b32 exec_lo, exec_lo, s14
.LBB196_892:                            ;   in Loop: Header=BB196_520 Depth=1
	s_delay_alu instid0(SALU_CYCLE_1)
	s_or_b32 exec_lo, exec_lo, s11
	v_mov_b64_e32 v[74:75], s[2:3]
	v_or_b32_e32 v67, v67, v69
	v_or_b32_e32 v66, v66, v68
	v_or_b32_e32 v71, v71, v73
	v_or_b32_e32 v70, v70, v72
	s_delay_alu instid0(VALU_DEP_3) | instskip(NEXT) | instid1(VALU_DEP_2)
	v_pk_mul_f32 v[68:69], v[74:75], v[66:67]
	v_pk_mul_f32 v[66:67], v[74:75], v[70:71]
	s_and_saveexec_b32 s11, vcc_lo
	s_cbranch_execz .LBB196_894
; %bb.893:                              ;   in Loop: Header=BB196_520 Depth=1
	v_cmp_gt_i32_e64 s0, s25, v93
	s_delay_alu instid0(VALU_DEP_1) | instskip(SKIP_1) | instid1(VALU_DEP_1)
	v_cndmask_b32_e64 v68, 0, v68, s0
	v_cmp_gt_i32_e64 s0, s25, v96
	v_cndmask_b32_e64 v69, 0, v69, s0
	v_cmp_gt_i32_e64 s0, s25, v87
	s_delay_alu instid0(VALU_DEP_1) | instskip(SKIP_1) | instid1(VALU_DEP_1)
	v_cndmask_b32_e64 v66, 0, v66, s0
	v_cmp_gt_i32_e64 s0, s25, v86
	v_cndmask_b32_e64 v67, 0, v67, s0
.LBB196_894:                            ;   in Loop: Header=BB196_520 Depth=1
	s_or_b32 exec_lo, exec_lo, s11
	global_load_b32 v78, v[30:31], off offset:1408
	v_mov_b64_e32 v[70:71], 0
	v_mov_b64_e32 v[72:73], 0
	s_mov_b32 s11, exec_lo
	s_wait_loadcnt 0x0
	v_and_b32_e32 v20, 0xff, v78
	s_delay_alu instid0(VALU_DEP_1)
	v_cmpx_ne_u16_e32 0, v20
	s_cbranch_execz .LBB196_902
; %bb.895:                              ;   in Loop: Header=BB196_520 Depth=1
	v_mov_b64_e32 v[72:73], 0x80000000
	s_mov_b32 s14, exec_lo
	v_cmpx_ne_u16_e32 0x80, v20
	s_cbranch_execz .LBB196_901
; %bb.896:                              ;   in Loop: Header=BB196_520 Depth=1
	v_mov_b64_e32 v[72:73], 0x7f800001
	v_and_b32_e32 v74, 0x7f, v78
	s_mov_b32 s15, exec_lo
	s_delay_alu instid0(VALU_DEP_1)
	v_cmpx_ne_u32_e32 0x7f, v74
	s_cbranch_execz .LBB196_900
; %bb.897:                              ;   in Loop: Header=BB196_520 Depth=1
	v_and_b32_e32 v20, 7, v78
	v_lshrrev_b32_e32 v72, 3, v74
	s_mov_b32 s16, exec_lo
	v_cmpx_gt_u32_e32 8, v74
; %bb.898:                              ;   in Loop: Header=BB196_520 Depth=1
	s_delay_alu instid0(VALU_DEP_3) | instskip(NEXT) | instid1(VALU_DEP_1)
	v_clz_i32_u32_e32 v72, v20
	v_min_u32_e32 v72, 32, v72
	s_delay_alu instid0(VALU_DEP_1) | instskip(NEXT) | instid1(VALU_DEP_1)
	v_subrev_nc_u32_e32 v73, 28, v72
	v_lshlrev_b64_e32 v[74:75], v73, v[20:21]
	s_delay_alu instid0(VALU_DEP_1)
	v_dual_sub_nc_u32 v72, 29, v72 :: v_dual_bitop2_b32 v20, 7, v74 bitop3:0x40
; %bb.899:                              ;   in Loop: Header=BB196_520 Depth=1
	s_or_b32 exec_lo, exec_lo, s16
	s_delay_alu instid0(VALU_DEP_1) | instskip(NEXT) | instid1(VALU_DEP_2)
	v_dual_lshlrev_b32 v73, 24, v78 :: v_dual_lshlrev_b32 v20, 20, v20
	v_lshl_add_u32 v72, v72, 23, 0x3c000000
	s_delay_alu instid0(VALU_DEP_2) | instskip(NEXT) | instid1(VALU_DEP_1)
	v_and_b32_e32 v73, 0x80000000, v73
	v_or3_b32 v20, v20, v73, v72
	s_delay_alu instid0(VALU_DEP_1)
	v_mov_b64_e32 v[72:73], v[20:21]
.LBB196_900:                            ;   in Loop: Header=BB196_520 Depth=1
	s_or_b32 exec_lo, exec_lo, s15
.LBB196_901:                            ;   in Loop: Header=BB196_520 Depth=1
	s_delay_alu instid0(SALU_CYCLE_1)
	s_or_b32 exec_lo, exec_lo, s14
.LBB196_902:                            ;   in Loop: Header=BB196_520 Depth=1
	s_delay_alu instid0(SALU_CYCLE_1) | instskip(SKIP_2) | instid1(VALU_DEP_1)
	s_or_b32 exec_lo, exec_lo, s11
	v_lshrrev_b16 v20, 8, v78
	s_mov_b32 s11, exec_lo
	v_cmpx_ne_u16_e32 0, v20
	s_cbranch_execz .LBB196_910
; %bb.903:                              ;   in Loop: Header=BB196_520 Depth=1
	v_mov_b64_e32 v[70:71], 0x8000000000000000
	s_mov_b32 s14, exec_lo
	v_cmpx_ne_u16_e32 0x80, v20
	s_cbranch_execz .LBB196_909
; %bb.904:                              ;   in Loop: Header=BB196_520 Depth=1
	v_and_b32_e32 v20, 0xffff, v20
	v_mov_b64_e32 v[70:71], 0x7f80000100000000
	s_mov_b32 s15, exec_lo
	s_delay_alu instid0(VALU_DEP_2) | instskip(NEXT) | instid1(VALU_DEP_1)
	v_and_b32_e32 v74, 0x7f, v20
	v_cmpx_ne_u32_e32 0x7f, v74
	s_cbranch_execz .LBB196_908
; %bb.905:                              ;   in Loop: Header=BB196_520 Depth=1
	v_dual_lshrrev_b32 v70, 3, v74 :: v_dual_bitop2_b32 v20, 7, v20 bitop3:0x40
	s_mov_b32 s16, exec_lo
	v_cmpx_gt_u32_e32 8, v74
; %bb.906:                              ;   in Loop: Header=BB196_520 Depth=1
	s_delay_alu instid0(VALU_DEP_2) | instskip(NEXT) | instid1(VALU_DEP_1)
	v_clz_i32_u32_e32 v70, v20
	v_min_u32_e32 v70, 32, v70
	s_delay_alu instid0(VALU_DEP_1) | instskip(SKIP_1) | instid1(VALU_DEP_2)
	v_subrev_nc_u32_e32 v71, 28, v70
	v_sub_nc_u32_e32 v70, 29, v70
	v_lshlrev_b64_e32 v[74:75], v71, v[20:21]
	s_delay_alu instid0(VALU_DEP_1)
	v_and_b32_e32 v20, 7, v74
; %bb.907:                              ;   in Loop: Header=BB196_520 Depth=1
	s_or_b32 exec_lo, exec_lo, s16
	s_delay_alu instid0(VALU_DEP_1) | instskip(SKIP_1) | instid1(VALU_DEP_2)
	v_dual_lshlrev_b32 v71, 16, v78 :: v_dual_lshlrev_b32 v20, 20, v20
	v_lshl_add_u32 v70, v70, 23, 0x3c000000
	v_and_b32_e32 v71, 0x80000000, v71
	s_delay_alu instid0(VALU_DEP_1)
	v_or3_b32 v71, v20, v71, v70
	v_mov_b32_e32 v70, v21
.LBB196_908:                            ;   in Loop: Header=BB196_520 Depth=1
	s_or_b32 exec_lo, exec_lo, s15
.LBB196_909:                            ;   in Loop: Header=BB196_520 Depth=1
	s_delay_alu instid0(SALU_CYCLE_1)
	s_or_b32 exec_lo, exec_lo, s14
.LBB196_910:                            ;   in Loop: Header=BB196_520 Depth=1
	s_delay_alu instid0(SALU_CYCLE_1) | instskip(SKIP_4) | instid1(VALU_DEP_3)
	s_or_b32 exec_lo, exec_lo, s11
	v_lshrrev_b32_e32 v79, 16, v78
	v_mov_b64_e32 v[74:75], 0
	v_mov_b64_e32 v[76:77], 0
	s_mov_b32 s11, exec_lo
	v_and_b32_e32 v20, 0xff, v79
	s_delay_alu instid0(VALU_DEP_1)
	v_cmpx_ne_u16_e32 0, v20
	s_cbranch_execz .LBB196_918
; %bb.911:                              ;   in Loop: Header=BB196_520 Depth=1
	v_mov_b64_e32 v[76:77], 0x80000000
	s_mov_b32 s14, exec_lo
	v_cmpx_ne_u16_e32 0x80, v20
	s_cbranch_execz .LBB196_917
; %bb.912:                              ;   in Loop: Header=BB196_520 Depth=1
	v_mov_b64_e32 v[76:77], 0x7f800001
	v_bfe_u32 v80, v78, 16, 7
	s_mov_b32 s15, exec_lo
	s_delay_alu instid0(VALU_DEP_1)
	v_cmpx_ne_u32_e32 0x7f, v80
	s_cbranch_execz .LBB196_916
; %bb.913:                              ;   in Loop: Header=BB196_520 Depth=1
	v_dual_lshrrev_b32 v76, 3, v80 :: v_dual_bitop2_b32 v20, 7, v79 bitop3:0x40
	s_mov_b32 s16, exec_lo
	v_cmpx_gt_u32_e32 8, v80
; %bb.914:                              ;   in Loop: Header=BB196_520 Depth=1
	s_delay_alu instid0(VALU_DEP_2) | instskip(NEXT) | instid1(VALU_DEP_1)
	v_clz_i32_u32_e32 v76, v20
	v_min_u32_e32 v76, 32, v76
	s_delay_alu instid0(VALU_DEP_1) | instskip(SKIP_1) | instid1(VALU_DEP_2)
	v_subrev_nc_u32_e32 v77, 28, v76
	v_sub_nc_u32_e32 v76, 29, v76
	v_lshlrev_b64_e32 v[80:81], v77, v[20:21]
	s_delay_alu instid0(VALU_DEP_1)
	v_and_b32_e32 v20, 7, v80
; %bb.915:                              ;   in Loop: Header=BB196_520 Depth=1
	s_or_b32 exec_lo, exec_lo, s16
	s_delay_alu instid0(VALU_DEP_1) | instskip(SKIP_1) | instid1(VALU_DEP_2)
	v_dual_lshlrev_b32 v77, 24, v79 :: v_dual_lshlrev_b32 v20, 20, v20
	v_lshl_add_u32 v76, v76, 23, 0x3c000000
	v_and_b32_e32 v77, 0x80000000, v77
	s_delay_alu instid0(VALU_DEP_1) | instskip(NEXT) | instid1(VALU_DEP_1)
	v_or3_b32 v20, v20, v77, v76
	v_mov_b64_e32 v[76:77], v[20:21]
.LBB196_916:                            ;   in Loop: Header=BB196_520 Depth=1
	s_or_b32 exec_lo, exec_lo, s15
.LBB196_917:                            ;   in Loop: Header=BB196_520 Depth=1
	s_delay_alu instid0(SALU_CYCLE_1)
	s_or_b32 exec_lo, exec_lo, s14
.LBB196_918:                            ;   in Loop: Header=BB196_520 Depth=1
	s_delay_alu instid0(SALU_CYCLE_1) | instskip(NEXT) | instid1(SALU_CYCLE_1)
	s_or_b32 exec_lo, exec_lo, s11
	s_mov_b32 s11, exec_lo
	v_cmpx_lt_u32_e32 0xffffff, v78
	s_cbranch_execz .LBB196_926
; %bb.919:                              ;   in Loop: Header=BB196_520 Depth=1
	v_mov_b64_e32 v[74:75], 0x8000000000000000
	v_lshrrev_b32_e32 v79, 24, v78
	s_mov_b32 s14, exec_lo
	s_delay_alu instid0(VALU_DEP_1)
	v_cmpx_ne_u32_e32 0x80, v79
	s_cbranch_execz .LBB196_925
; %bb.920:                              ;   in Loop: Header=BB196_520 Depth=1
	v_mov_b64_e32 v[74:75], 0x7f80000100000000
	v_bfe_u32 v78, v78, 24, 7
	s_mov_b32 s15, exec_lo
	s_delay_alu instid0(VALU_DEP_1)
	v_cmpx_ne_u32_e32 0x7f, v78
	s_cbranch_execz .LBB196_924
; %bb.921:                              ;   in Loop: Header=BB196_520 Depth=1
	v_dual_lshrrev_b32 v74, 3, v78 :: v_dual_bitop2_b32 v20, 7, v79 bitop3:0x40
	s_mov_b32 s16, exec_lo
	v_cmpx_gt_u32_e32 8, v78
; %bb.922:                              ;   in Loop: Header=BB196_520 Depth=1
	s_delay_alu instid0(VALU_DEP_2) | instskip(NEXT) | instid1(VALU_DEP_1)
	v_clz_i32_u32_e32 v74, v20
	v_min_u32_e32 v74, 32, v74
	s_delay_alu instid0(VALU_DEP_1) | instskip(NEXT) | instid1(VALU_DEP_1)
	v_subrev_nc_u32_e32 v75, 28, v74
	v_lshlrev_b64_e32 v[80:81], v75, v[20:21]
	s_delay_alu instid0(VALU_DEP_1)
	v_dual_sub_nc_u32 v74, 29, v74 :: v_dual_bitop2_b32 v20, 7, v80 bitop3:0x40
; %bb.923:                              ;   in Loop: Header=BB196_520 Depth=1
	s_or_b32 exec_lo, exec_lo, s16
	s_delay_alu instid0(VALU_DEP_1) | instskip(NEXT) | instid1(VALU_DEP_2)
	v_dual_lshlrev_b32 v75, 24, v79 :: v_dual_lshlrev_b32 v20, 20, v20
	v_lshl_add_u32 v74, v74, 23, 0x3c000000
	s_delay_alu instid0(VALU_DEP_2) | instskip(NEXT) | instid1(VALU_DEP_1)
	v_and_b32_e32 v75, 0x80000000, v75
	v_or3_b32 v75, v20, v75, v74
	v_mov_b32_e32 v74, v21
.LBB196_924:                            ;   in Loop: Header=BB196_520 Depth=1
	s_or_b32 exec_lo, exec_lo, s15
.LBB196_925:                            ;   in Loop: Header=BB196_520 Depth=1
	s_delay_alu instid0(SALU_CYCLE_1)
	s_or_b32 exec_lo, exec_lo, s14
.LBB196_926:                            ;   in Loop: Header=BB196_520 Depth=1
	s_delay_alu instid0(SALU_CYCLE_1)
	s_or_b32 exec_lo, exec_lo, s11
	v_mov_b64_e32 v[78:79], s[2:3]
	v_or_b32_e32 v71, v71, v73
	v_or_b32_e32 v70, v70, v72
	;; [unrolled: 1-line block ×4, first 2 shown]
	s_delay_alu instid0(VALU_DEP_3) | instskip(NEXT) | instid1(VALU_DEP_2)
	v_pk_mul_f32 v[72:73], v[78:79], v[70:71]
	v_pk_mul_f32 v[70:71], v[78:79], v[74:75]
	s_and_saveexec_b32 s11, vcc_lo
	s_cbranch_execz .LBB196_928
; %bb.927:                              ;   in Loop: Header=BB196_520 Depth=1
	v_cmp_gt_i32_e64 s0, s25, v93
	s_delay_alu instid0(VALU_DEP_1) | instskip(SKIP_1) | instid1(VALU_DEP_1)
	v_cndmask_b32_e64 v72, 0, v72, s0
	v_cmp_gt_i32_e64 s0, s25, v96
	v_cndmask_b32_e64 v73, 0, v73, s0
	v_cmp_gt_i32_e64 s0, s25, v87
	s_delay_alu instid0(VALU_DEP_1) | instskip(SKIP_1) | instid1(VALU_DEP_1)
	v_cndmask_b32_e64 v70, 0, v70, s0
	v_cmp_gt_i32_e64 s0, s25, v86
	v_cndmask_b32_e64 v71, 0, v71, s0
.LBB196_928:                            ;   in Loop: Header=BB196_520 Depth=1
	s_or_b32 exec_lo, exec_lo, s11
	global_load_b32 v82, v[30:31], off offset:1536
	v_mov_b64_e32 v[74:75], 0
	v_mov_b64_e32 v[76:77], 0
	s_mov_b32 s11, exec_lo
	s_wait_loadcnt 0x0
	v_and_b32_e32 v20, 0xff, v82
	s_delay_alu instid0(VALU_DEP_1)
	v_cmpx_ne_u16_e32 0, v20
	s_cbranch_execz .LBB196_936
; %bb.929:                              ;   in Loop: Header=BB196_520 Depth=1
	v_mov_b64_e32 v[76:77], 0x80000000
	s_mov_b32 s14, exec_lo
	v_cmpx_ne_u16_e32 0x80, v20
	s_cbranch_execz .LBB196_935
; %bb.930:                              ;   in Loop: Header=BB196_520 Depth=1
	v_mov_b64_e32 v[76:77], 0x7f800001
	v_and_b32_e32 v78, 0x7f, v82
	s_mov_b32 s15, exec_lo
	s_delay_alu instid0(VALU_DEP_1)
	v_cmpx_ne_u32_e32 0x7f, v78
	s_cbranch_execz .LBB196_934
; %bb.931:                              ;   in Loop: Header=BB196_520 Depth=1
	v_and_b32_e32 v20, 7, v82
	v_lshrrev_b32_e32 v76, 3, v78
	s_mov_b32 s16, exec_lo
	v_cmpx_gt_u32_e32 8, v78
; %bb.932:                              ;   in Loop: Header=BB196_520 Depth=1
	s_delay_alu instid0(VALU_DEP_3) | instskip(NEXT) | instid1(VALU_DEP_1)
	v_clz_i32_u32_e32 v76, v20
	v_min_u32_e32 v76, 32, v76
	s_delay_alu instid0(VALU_DEP_1) | instskip(NEXT) | instid1(VALU_DEP_1)
	v_subrev_nc_u32_e32 v77, 28, v76
	v_lshlrev_b64_e32 v[78:79], v77, v[20:21]
	s_delay_alu instid0(VALU_DEP_1)
	v_dual_sub_nc_u32 v76, 29, v76 :: v_dual_bitop2_b32 v20, 7, v78 bitop3:0x40
; %bb.933:                              ;   in Loop: Header=BB196_520 Depth=1
	s_or_b32 exec_lo, exec_lo, s16
	s_delay_alu instid0(VALU_DEP_1) | instskip(NEXT) | instid1(VALU_DEP_2)
	v_dual_lshlrev_b32 v77, 24, v82 :: v_dual_lshlrev_b32 v20, 20, v20
	v_lshl_add_u32 v76, v76, 23, 0x3c000000
	s_delay_alu instid0(VALU_DEP_2) | instskip(NEXT) | instid1(VALU_DEP_1)
	v_and_b32_e32 v77, 0x80000000, v77
	v_or3_b32 v20, v20, v77, v76
	s_delay_alu instid0(VALU_DEP_1)
	v_mov_b64_e32 v[76:77], v[20:21]
.LBB196_934:                            ;   in Loop: Header=BB196_520 Depth=1
	s_or_b32 exec_lo, exec_lo, s15
.LBB196_935:                            ;   in Loop: Header=BB196_520 Depth=1
	s_delay_alu instid0(SALU_CYCLE_1)
	s_or_b32 exec_lo, exec_lo, s14
.LBB196_936:                            ;   in Loop: Header=BB196_520 Depth=1
	s_delay_alu instid0(SALU_CYCLE_1) | instskip(SKIP_2) | instid1(VALU_DEP_1)
	s_or_b32 exec_lo, exec_lo, s11
	v_lshrrev_b16 v20, 8, v82
	s_mov_b32 s11, exec_lo
	v_cmpx_ne_u16_e32 0, v20
	s_cbranch_execz .LBB196_944
; %bb.937:                              ;   in Loop: Header=BB196_520 Depth=1
	v_mov_b64_e32 v[74:75], 0x8000000000000000
	s_mov_b32 s14, exec_lo
	v_cmpx_ne_u16_e32 0x80, v20
	s_cbranch_execz .LBB196_943
; %bb.938:                              ;   in Loop: Header=BB196_520 Depth=1
	v_and_b32_e32 v20, 0xffff, v20
	v_mov_b64_e32 v[74:75], 0x7f80000100000000
	s_mov_b32 s15, exec_lo
	s_delay_alu instid0(VALU_DEP_2) | instskip(NEXT) | instid1(VALU_DEP_1)
	v_and_b32_e32 v78, 0x7f, v20
	v_cmpx_ne_u32_e32 0x7f, v78
	s_cbranch_execz .LBB196_942
; %bb.939:                              ;   in Loop: Header=BB196_520 Depth=1
	v_dual_lshrrev_b32 v74, 3, v78 :: v_dual_bitop2_b32 v20, 7, v20 bitop3:0x40
	s_mov_b32 s16, exec_lo
	v_cmpx_gt_u32_e32 8, v78
; %bb.940:                              ;   in Loop: Header=BB196_520 Depth=1
	s_delay_alu instid0(VALU_DEP_2) | instskip(NEXT) | instid1(VALU_DEP_1)
	v_clz_i32_u32_e32 v74, v20
	v_min_u32_e32 v74, 32, v74
	s_delay_alu instid0(VALU_DEP_1) | instskip(SKIP_1) | instid1(VALU_DEP_2)
	v_subrev_nc_u32_e32 v75, 28, v74
	v_sub_nc_u32_e32 v74, 29, v74
	v_lshlrev_b64_e32 v[78:79], v75, v[20:21]
	s_delay_alu instid0(VALU_DEP_1)
	v_and_b32_e32 v20, 7, v78
; %bb.941:                              ;   in Loop: Header=BB196_520 Depth=1
	s_or_b32 exec_lo, exec_lo, s16
	s_delay_alu instid0(VALU_DEP_1) | instskip(SKIP_1) | instid1(VALU_DEP_2)
	v_dual_lshlrev_b32 v75, 16, v82 :: v_dual_lshlrev_b32 v20, 20, v20
	v_lshl_add_u32 v74, v74, 23, 0x3c000000
	v_and_b32_e32 v75, 0x80000000, v75
	s_delay_alu instid0(VALU_DEP_1)
	v_or3_b32 v75, v20, v75, v74
	v_mov_b32_e32 v74, v21
.LBB196_942:                            ;   in Loop: Header=BB196_520 Depth=1
	s_or_b32 exec_lo, exec_lo, s15
.LBB196_943:                            ;   in Loop: Header=BB196_520 Depth=1
	s_delay_alu instid0(SALU_CYCLE_1)
	s_or_b32 exec_lo, exec_lo, s14
.LBB196_944:                            ;   in Loop: Header=BB196_520 Depth=1
	s_delay_alu instid0(SALU_CYCLE_1) | instskip(SKIP_4) | instid1(VALU_DEP_3)
	s_or_b32 exec_lo, exec_lo, s11
	v_lshrrev_b32_e32 v83, 16, v82
	v_mov_b64_e32 v[78:79], 0
	v_mov_b64_e32 v[80:81], 0
	s_mov_b32 s11, exec_lo
	v_and_b32_e32 v20, 0xff, v83
	s_delay_alu instid0(VALU_DEP_1)
	v_cmpx_ne_u16_e32 0, v20
	s_cbranch_execz .LBB196_952
; %bb.945:                              ;   in Loop: Header=BB196_520 Depth=1
	v_mov_b64_e32 v[80:81], 0x80000000
	s_mov_b32 s14, exec_lo
	v_cmpx_ne_u16_e32 0x80, v20
	s_cbranch_execz .LBB196_951
; %bb.946:                              ;   in Loop: Header=BB196_520 Depth=1
	v_mov_b64_e32 v[80:81], 0x7f800001
	v_bfe_u32 v84, v82, 16, 7
	s_mov_b32 s15, exec_lo
	s_delay_alu instid0(VALU_DEP_1)
	v_cmpx_ne_u32_e32 0x7f, v84
	s_cbranch_execz .LBB196_950
; %bb.947:                              ;   in Loop: Header=BB196_520 Depth=1
	v_dual_lshrrev_b32 v80, 3, v84 :: v_dual_bitop2_b32 v20, 7, v83 bitop3:0x40
	s_mov_b32 s16, exec_lo
	v_cmpx_gt_u32_e32 8, v84
; %bb.948:                              ;   in Loop: Header=BB196_520 Depth=1
	s_delay_alu instid0(VALU_DEP_2) | instskip(NEXT) | instid1(VALU_DEP_1)
	v_clz_i32_u32_e32 v80, v20
	v_min_u32_e32 v80, 32, v80
	s_delay_alu instid0(VALU_DEP_1) | instskip(SKIP_1) | instid1(VALU_DEP_2)
	v_subrev_nc_u32_e32 v81, 28, v80
	v_sub_nc_u32_e32 v80, 29, v80
	v_lshlrev_b64_e32 v[84:85], v81, v[20:21]
	s_delay_alu instid0(VALU_DEP_1)
	v_and_b32_e32 v20, 7, v84
; %bb.949:                              ;   in Loop: Header=BB196_520 Depth=1
	s_or_b32 exec_lo, exec_lo, s16
	s_delay_alu instid0(VALU_DEP_1) | instskip(SKIP_1) | instid1(VALU_DEP_2)
	v_dual_lshlrev_b32 v81, 24, v83 :: v_dual_lshlrev_b32 v20, 20, v20
	v_lshl_add_u32 v80, v80, 23, 0x3c000000
	v_and_b32_e32 v81, 0x80000000, v81
	s_delay_alu instid0(VALU_DEP_1) | instskip(NEXT) | instid1(VALU_DEP_1)
	v_or3_b32 v20, v20, v81, v80
	v_mov_b64_e32 v[80:81], v[20:21]
.LBB196_950:                            ;   in Loop: Header=BB196_520 Depth=1
	s_or_b32 exec_lo, exec_lo, s15
.LBB196_951:                            ;   in Loop: Header=BB196_520 Depth=1
	s_delay_alu instid0(SALU_CYCLE_1)
	s_or_b32 exec_lo, exec_lo, s14
.LBB196_952:                            ;   in Loop: Header=BB196_520 Depth=1
	s_delay_alu instid0(SALU_CYCLE_1) | instskip(NEXT) | instid1(SALU_CYCLE_1)
	s_or_b32 exec_lo, exec_lo, s11
	s_mov_b32 s11, exec_lo
	v_cmpx_lt_u32_e32 0xffffff, v82
	s_cbranch_execz .LBB196_960
; %bb.953:                              ;   in Loop: Header=BB196_520 Depth=1
	v_mov_b64_e32 v[78:79], 0x8000000000000000
	v_lshrrev_b32_e32 v83, 24, v82
	s_mov_b32 s14, exec_lo
	s_delay_alu instid0(VALU_DEP_1)
	v_cmpx_ne_u32_e32 0x80, v83
	s_cbranch_execz .LBB196_959
; %bb.954:                              ;   in Loop: Header=BB196_520 Depth=1
	v_mov_b64_e32 v[78:79], 0x7f80000100000000
	v_bfe_u32 v82, v82, 24, 7
	s_mov_b32 s15, exec_lo
	s_delay_alu instid0(VALU_DEP_1)
	v_cmpx_ne_u32_e32 0x7f, v82
	s_cbranch_execz .LBB196_958
; %bb.955:                              ;   in Loop: Header=BB196_520 Depth=1
	v_dual_lshrrev_b32 v78, 3, v82 :: v_dual_bitop2_b32 v20, 7, v83 bitop3:0x40
	s_mov_b32 s16, exec_lo
	v_cmpx_gt_u32_e32 8, v82
; %bb.956:                              ;   in Loop: Header=BB196_520 Depth=1
	s_delay_alu instid0(VALU_DEP_2) | instskip(NEXT) | instid1(VALU_DEP_1)
	v_clz_i32_u32_e32 v78, v20
	v_min_u32_e32 v78, 32, v78
	s_delay_alu instid0(VALU_DEP_1) | instskip(NEXT) | instid1(VALU_DEP_1)
	v_subrev_nc_u32_e32 v79, 28, v78
	v_lshlrev_b64_e32 v[84:85], v79, v[20:21]
	s_delay_alu instid0(VALU_DEP_1)
	v_dual_sub_nc_u32 v78, 29, v78 :: v_dual_bitop2_b32 v20, 7, v84 bitop3:0x40
; %bb.957:                              ;   in Loop: Header=BB196_520 Depth=1
	s_or_b32 exec_lo, exec_lo, s16
	s_delay_alu instid0(VALU_DEP_1) | instskip(NEXT) | instid1(VALU_DEP_2)
	v_dual_lshlrev_b32 v79, 24, v83 :: v_dual_lshlrev_b32 v20, 20, v20
	v_lshl_add_u32 v78, v78, 23, 0x3c000000
	s_delay_alu instid0(VALU_DEP_2) | instskip(NEXT) | instid1(VALU_DEP_1)
	v_and_b32_e32 v79, 0x80000000, v79
	v_or3_b32 v79, v20, v79, v78
	v_mov_b32_e32 v78, v21
.LBB196_958:                            ;   in Loop: Header=BB196_520 Depth=1
	s_or_b32 exec_lo, exec_lo, s15
.LBB196_959:                            ;   in Loop: Header=BB196_520 Depth=1
	s_delay_alu instid0(SALU_CYCLE_1)
	s_or_b32 exec_lo, exec_lo, s14
.LBB196_960:                            ;   in Loop: Header=BB196_520 Depth=1
	s_delay_alu instid0(SALU_CYCLE_1)
	s_or_b32 exec_lo, exec_lo, s11
	v_mov_b64_e32 v[82:83], s[2:3]
	v_or_b32_e32 v75, v75, v77
	v_or_b32_e32 v74, v74, v76
	;; [unrolled: 1-line block ×4, first 2 shown]
	s_delay_alu instid0(VALU_DEP_3) | instskip(NEXT) | instid1(VALU_DEP_2)
	v_pk_mul_f32 v[76:77], v[82:83], v[74:75]
	v_pk_mul_f32 v[74:75], v[82:83], v[78:79]
	s_and_saveexec_b32 s11, vcc_lo
	s_cbranch_execz .LBB196_962
; %bb.961:                              ;   in Loop: Header=BB196_520 Depth=1
	v_cmp_gt_i32_e64 s0, s25, v93
	s_delay_alu instid0(VALU_DEP_1) | instskip(SKIP_1) | instid1(VALU_DEP_1)
	v_cndmask_b32_e64 v76, 0, v76, s0
	v_cmp_gt_i32_e64 s0, s25, v96
	v_cndmask_b32_e64 v77, 0, v77, s0
	v_cmp_gt_i32_e64 s0, s25, v87
	s_delay_alu instid0(VALU_DEP_1) | instskip(SKIP_1) | instid1(VALU_DEP_1)
	v_cndmask_b32_e64 v74, 0, v74, s0
	v_cmp_gt_i32_e64 s0, s25, v86
	v_cndmask_b32_e64 v75, 0, v75, s0
.LBB196_962:                            ;   in Loop: Header=BB196_520 Depth=1
	s_or_b32 exec_lo, exec_lo, s11
	global_load_b32 v97, v[30:31], off offset:1664
	v_mov_b64_e32 v[78:79], 0
	v_mov_b64_e32 v[80:81], 0
	s_mov_b32 s11, exec_lo
	s_wait_loadcnt 0x0
	v_and_b32_e32 v20, 0xff, v97
	s_delay_alu instid0(VALU_DEP_1)
	v_cmpx_ne_u16_e32 0, v20
	s_cbranch_execz .LBB196_970
; %bb.963:                              ;   in Loop: Header=BB196_520 Depth=1
	v_mov_b64_e32 v[80:81], 0x80000000
	s_mov_b32 s14, exec_lo
	v_cmpx_ne_u16_e32 0x80, v20
	s_cbranch_execz .LBB196_969
; %bb.964:                              ;   in Loop: Header=BB196_520 Depth=1
	v_mov_b64_e32 v[80:81], 0x7f800001
	v_and_b32_e32 v82, 0x7f, v97
	s_mov_b32 s15, exec_lo
	s_delay_alu instid0(VALU_DEP_1)
	v_cmpx_ne_u32_e32 0x7f, v82
	s_cbranch_execz .LBB196_968
; %bb.965:                              ;   in Loop: Header=BB196_520 Depth=1
	v_dual_lshrrev_b32 v80, 3, v82 :: v_dual_bitop2_b32 v20, 7, v97 bitop3:0x40
	s_mov_b32 s16, exec_lo
	v_cmpx_gt_u32_e32 8, v82
; %bb.966:                              ;   in Loop: Header=BB196_520 Depth=1
	s_delay_alu instid0(VALU_DEP_2) | instskip(NEXT) | instid1(VALU_DEP_1)
	v_clz_i32_u32_e32 v80, v20
	v_min_u32_e32 v80, 32, v80
	s_delay_alu instid0(VALU_DEP_1) | instskip(NEXT) | instid1(VALU_DEP_1)
	v_subrev_nc_u32_e32 v81, 28, v80
	v_lshlrev_b64_e32 v[82:83], v81, v[20:21]
	s_delay_alu instid0(VALU_DEP_1)
	v_dual_sub_nc_u32 v80, 29, v80 :: v_dual_bitop2_b32 v20, 7, v82 bitop3:0x40
; %bb.967:                              ;   in Loop: Header=BB196_520 Depth=1
	s_or_b32 exec_lo, exec_lo, s16
	s_delay_alu instid0(VALU_DEP_1) | instskip(NEXT) | instid1(VALU_DEP_2)
	v_dual_lshlrev_b32 v81, 24, v97 :: v_dual_lshlrev_b32 v20, 20, v20
	v_lshl_add_u32 v80, v80, 23, 0x3c000000
	s_delay_alu instid0(VALU_DEP_2) | instskip(NEXT) | instid1(VALU_DEP_1)
	v_and_b32_e32 v81, 0x80000000, v81
	v_or3_b32 v20, v20, v81, v80
	s_delay_alu instid0(VALU_DEP_1)
	v_mov_b64_e32 v[80:81], v[20:21]
.LBB196_968:                            ;   in Loop: Header=BB196_520 Depth=1
	s_or_b32 exec_lo, exec_lo, s15
.LBB196_969:                            ;   in Loop: Header=BB196_520 Depth=1
	s_delay_alu instid0(SALU_CYCLE_1)
	s_or_b32 exec_lo, exec_lo, s14
.LBB196_970:                            ;   in Loop: Header=BB196_520 Depth=1
	s_delay_alu instid0(SALU_CYCLE_1) | instskip(SKIP_2) | instid1(VALU_DEP_1)
	s_or_b32 exec_lo, exec_lo, s11
	v_lshrrev_b16 v20, 8, v97
	s_mov_b32 s11, exec_lo
	v_cmpx_ne_u16_e32 0, v20
	s_cbranch_execz .LBB196_978
; %bb.971:                              ;   in Loop: Header=BB196_520 Depth=1
	v_mov_b64_e32 v[78:79], 0x8000000000000000
	s_mov_b32 s14, exec_lo
	v_cmpx_ne_u16_e32 0x80, v20
	s_cbranch_execz .LBB196_977
; %bb.972:                              ;   in Loop: Header=BB196_520 Depth=1
	v_and_b32_e32 v20, 0xffff, v20
	v_mov_b64_e32 v[78:79], 0x7f80000100000000
	s_mov_b32 s15, exec_lo
	s_delay_alu instid0(VALU_DEP_2) | instskip(NEXT) | instid1(VALU_DEP_1)
	v_and_b32_e32 v82, 0x7f, v20
	v_cmpx_ne_u32_e32 0x7f, v82
	s_cbranch_execz .LBB196_976
; %bb.973:                              ;   in Loop: Header=BB196_520 Depth=1
	v_dual_lshrrev_b32 v78, 3, v82 :: v_dual_bitop2_b32 v20, 7, v20 bitop3:0x40
	s_mov_b32 s16, exec_lo
	v_cmpx_gt_u32_e32 8, v82
; %bb.974:                              ;   in Loop: Header=BB196_520 Depth=1
	s_delay_alu instid0(VALU_DEP_2) | instskip(NEXT) | instid1(VALU_DEP_1)
	v_clz_i32_u32_e32 v78, v20
	v_min_u32_e32 v78, 32, v78
	s_delay_alu instid0(VALU_DEP_1) | instskip(SKIP_1) | instid1(VALU_DEP_2)
	v_subrev_nc_u32_e32 v79, 28, v78
	v_sub_nc_u32_e32 v78, 29, v78
	v_lshlrev_b64_e32 v[82:83], v79, v[20:21]
	s_delay_alu instid0(VALU_DEP_1)
	v_and_b32_e32 v20, 7, v82
; %bb.975:                              ;   in Loop: Header=BB196_520 Depth=1
	s_or_b32 exec_lo, exec_lo, s16
	s_delay_alu instid0(VALU_DEP_1) | instskip(SKIP_1) | instid1(VALU_DEP_2)
	v_dual_lshlrev_b32 v79, 16, v97 :: v_dual_lshlrev_b32 v20, 20, v20
	v_lshl_add_u32 v78, v78, 23, 0x3c000000
	v_and_b32_e32 v79, 0x80000000, v79
	s_delay_alu instid0(VALU_DEP_1)
	v_or3_b32 v79, v20, v79, v78
	v_mov_b32_e32 v78, v21
.LBB196_976:                            ;   in Loop: Header=BB196_520 Depth=1
	s_or_b32 exec_lo, exec_lo, s15
.LBB196_977:                            ;   in Loop: Header=BB196_520 Depth=1
	s_delay_alu instid0(SALU_CYCLE_1)
	s_or_b32 exec_lo, exec_lo, s14
.LBB196_978:                            ;   in Loop: Header=BB196_520 Depth=1
	s_delay_alu instid0(SALU_CYCLE_1) | instskip(SKIP_4) | instid1(VALU_DEP_3)
	s_or_b32 exec_lo, exec_lo, s11
	v_lshrrev_b32_e32 v98, 16, v97
	v_mov_b64_e32 v[82:83], 0
	v_mov_b64_e32 v[84:85], 0
	s_mov_b32 s11, exec_lo
	v_and_b32_e32 v20, 0xff, v98
	s_delay_alu instid0(VALU_DEP_1)
	v_cmpx_ne_u16_e32 0, v20
	s_cbranch_execz .LBB196_986
; %bb.979:                              ;   in Loop: Header=BB196_520 Depth=1
	v_mov_b64_e32 v[84:85], 0x80000000
	s_mov_b32 s14, exec_lo
	v_cmpx_ne_u16_e32 0x80, v20
	s_cbranch_execz .LBB196_985
; %bb.980:                              ;   in Loop: Header=BB196_520 Depth=1
	v_mov_b64_e32 v[84:85], 0x7f800001
	v_bfe_u32 v99, v97, 16, 7
	s_mov_b32 s15, exec_lo
	s_delay_alu instid0(VALU_DEP_1)
	v_cmpx_ne_u32_e32 0x7f, v99
	s_cbranch_execz .LBB196_984
; %bb.981:                              ;   in Loop: Header=BB196_520 Depth=1
	v_dual_lshrrev_b32 v84, 3, v99 :: v_dual_bitop2_b32 v20, 7, v98 bitop3:0x40
	s_mov_b32 s16, exec_lo
	v_cmpx_gt_u32_e32 8, v99
; %bb.982:                              ;   in Loop: Header=BB196_520 Depth=1
	s_delay_alu instid0(VALU_DEP_2) | instskip(NEXT) | instid1(VALU_DEP_1)
	v_clz_i32_u32_e32 v84, v20
	v_min_u32_e32 v84, 32, v84
	s_delay_alu instid0(VALU_DEP_1) | instskip(SKIP_1) | instid1(VALU_DEP_2)
	v_subrev_nc_u32_e32 v85, 28, v84
	v_sub_nc_u32_e32 v84, 29, v84
	v_lshlrev_b64_e32 v[100:101], v85, v[20:21]
	s_delay_alu instid0(VALU_DEP_1)
	v_and_b32_e32 v20, 7, v100
; %bb.983:                              ;   in Loop: Header=BB196_520 Depth=1
	s_or_b32 exec_lo, exec_lo, s16
	s_delay_alu instid0(VALU_DEP_1) | instskip(SKIP_1) | instid1(VALU_DEP_2)
	v_dual_lshlrev_b32 v85, 24, v98 :: v_dual_lshlrev_b32 v20, 20, v20
	v_lshl_add_u32 v84, v84, 23, 0x3c000000
	v_and_b32_e32 v85, 0x80000000, v85
	s_delay_alu instid0(VALU_DEP_1) | instskip(NEXT) | instid1(VALU_DEP_1)
	v_or3_b32 v20, v20, v85, v84
	v_mov_b64_e32 v[84:85], v[20:21]
.LBB196_984:                            ;   in Loop: Header=BB196_520 Depth=1
	s_or_b32 exec_lo, exec_lo, s15
.LBB196_985:                            ;   in Loop: Header=BB196_520 Depth=1
	s_delay_alu instid0(SALU_CYCLE_1)
	s_or_b32 exec_lo, exec_lo, s14
.LBB196_986:                            ;   in Loop: Header=BB196_520 Depth=1
	s_delay_alu instid0(SALU_CYCLE_1) | instskip(NEXT) | instid1(SALU_CYCLE_1)
	s_or_b32 exec_lo, exec_lo, s11
	s_mov_b32 s11, exec_lo
	v_cmpx_lt_u32_e32 0xffffff, v97
	s_cbranch_execz .LBB196_994
; %bb.987:                              ;   in Loop: Header=BB196_520 Depth=1
	v_mov_b64_e32 v[82:83], 0x8000000000000000
	v_lshrrev_b32_e32 v98, 24, v97
	s_mov_b32 s14, exec_lo
	s_delay_alu instid0(VALU_DEP_1)
	v_cmpx_ne_u32_e32 0x80, v98
	s_cbranch_execz .LBB196_993
; %bb.988:                              ;   in Loop: Header=BB196_520 Depth=1
	v_mov_b64_e32 v[82:83], 0x7f80000100000000
	v_bfe_u32 v97, v97, 24, 7
	s_mov_b32 s15, exec_lo
	s_delay_alu instid0(VALU_DEP_1)
	v_cmpx_ne_u32_e32 0x7f, v97
	s_cbranch_execz .LBB196_992
; %bb.989:                              ;   in Loop: Header=BB196_520 Depth=1
	v_dual_lshrrev_b32 v82, 3, v97 :: v_dual_bitop2_b32 v20, 7, v98 bitop3:0x40
	s_mov_b32 s16, exec_lo
	v_cmpx_gt_u32_e32 8, v97
; %bb.990:                              ;   in Loop: Header=BB196_520 Depth=1
	s_delay_alu instid0(VALU_DEP_2) | instskip(NEXT) | instid1(VALU_DEP_1)
	v_clz_i32_u32_e32 v82, v20
	v_min_u32_e32 v82, 32, v82
	s_delay_alu instid0(VALU_DEP_1) | instskip(NEXT) | instid1(VALU_DEP_1)
	v_subrev_nc_u32_e32 v83, 28, v82
	v_lshlrev_b64_e32 v[100:101], v83, v[20:21]
	s_delay_alu instid0(VALU_DEP_1)
	v_dual_sub_nc_u32 v82, 29, v82 :: v_dual_bitop2_b32 v20, 7, v100 bitop3:0x40
; %bb.991:                              ;   in Loop: Header=BB196_520 Depth=1
	s_or_b32 exec_lo, exec_lo, s16
	s_delay_alu instid0(VALU_DEP_1) | instskip(NEXT) | instid1(VALU_DEP_2)
	v_dual_lshlrev_b32 v83, 24, v98 :: v_dual_lshlrev_b32 v20, 20, v20
	v_lshl_add_u32 v82, v82, 23, 0x3c000000
	s_delay_alu instid0(VALU_DEP_2) | instskip(NEXT) | instid1(VALU_DEP_1)
	v_and_b32_e32 v83, 0x80000000, v83
	v_or3_b32 v83, v20, v83, v82
	v_mov_b32_e32 v82, v21
.LBB196_992:                            ;   in Loop: Header=BB196_520 Depth=1
	s_or_b32 exec_lo, exec_lo, s15
.LBB196_993:                            ;   in Loop: Header=BB196_520 Depth=1
	s_delay_alu instid0(SALU_CYCLE_1)
	s_or_b32 exec_lo, exec_lo, s14
.LBB196_994:                            ;   in Loop: Header=BB196_520 Depth=1
	s_delay_alu instid0(SALU_CYCLE_1)
	s_or_b32 exec_lo, exec_lo, s11
	v_mov_b64_e32 v[98:99], s[2:3]
	v_or_b32_e32 v79, v79, v81
	v_or_b32_e32 v78, v78, v80
	;; [unrolled: 1-line block ×4, first 2 shown]
	s_delay_alu instid0(VALU_DEP_3) | instskip(NEXT) | instid1(VALU_DEP_2)
	v_pk_mul_f32 v[80:81], v[98:99], v[78:79]
	v_pk_mul_f32 v[78:79], v[98:99], v[82:83]
	s_and_saveexec_b32 s11, vcc_lo
	s_cbranch_execz .LBB196_996
; %bb.995:                              ;   in Loop: Header=BB196_520 Depth=1
	v_cmp_gt_i32_e64 s0, s25, v93
	s_delay_alu instid0(VALU_DEP_1) | instskip(SKIP_1) | instid1(VALU_DEP_1)
	v_cndmask_b32_e64 v80, 0, v80, s0
	v_cmp_gt_i32_e64 s0, s25, v96
	v_cndmask_b32_e64 v81, 0, v81, s0
	v_cmp_gt_i32_e64 s0, s25, v87
	s_delay_alu instid0(VALU_DEP_1) | instskip(SKIP_1) | instid1(VALU_DEP_1)
	v_cndmask_b32_e64 v78, 0, v78, s0
	v_cmp_gt_i32_e64 s0, s25, v86
	v_cndmask_b32_e64 v79, 0, v79, s0
.LBB196_996:                            ;   in Loop: Header=BB196_520 Depth=1
	s_or_b32 exec_lo, exec_lo, s11
	global_load_b32 v97, v[30:31], off offset:1792
	s_wait_xcnt 0x0
	v_mov_b64_e32 v[30:31], 0
	v_mov_b64_e32 v[82:83], 0
	s_mov_b32 s11, exec_lo
	s_wait_loadcnt 0x0
	v_and_b32_e32 v20, 0xff, v97
	s_delay_alu instid0(VALU_DEP_1)
	v_cmpx_ne_u16_e32 0, v20
	s_cbranch_execz .LBB196_1004
; %bb.997:                              ;   in Loop: Header=BB196_520 Depth=1
	v_mov_b64_e32 v[82:83], 0x80000000
	s_mov_b32 s14, exec_lo
	v_cmpx_ne_u16_e32 0x80, v20
	s_cbranch_execz .LBB196_1003
; %bb.998:                              ;   in Loop: Header=BB196_520 Depth=1
	v_mov_b64_e32 v[82:83], 0x7f800001
	v_and_b32_e32 v84, 0x7f, v97
	s_mov_b32 s15, exec_lo
	s_delay_alu instid0(VALU_DEP_1)
	v_cmpx_ne_u32_e32 0x7f, v84
	s_cbranch_execz .LBB196_1002
; %bb.999:                              ;   in Loop: Header=BB196_520 Depth=1
	v_dual_lshrrev_b32 v82, 3, v84 :: v_dual_bitop2_b32 v20, 7, v97 bitop3:0x40
	s_mov_b32 s16, exec_lo
	v_cmpx_gt_u32_e32 8, v84
; %bb.1000:                             ;   in Loop: Header=BB196_520 Depth=1
	s_delay_alu instid0(VALU_DEP_2) | instskip(NEXT) | instid1(VALU_DEP_1)
	v_clz_i32_u32_e32 v82, v20
	v_min_u32_e32 v82, 32, v82
	s_delay_alu instid0(VALU_DEP_1) | instskip(NEXT) | instid1(VALU_DEP_1)
	v_subrev_nc_u32_e32 v83, 28, v82
	v_lshlrev_b64_e32 v[84:85], v83, v[20:21]
	s_delay_alu instid0(VALU_DEP_1)
	v_dual_sub_nc_u32 v82, 29, v82 :: v_dual_bitop2_b32 v20, 7, v84 bitop3:0x40
; %bb.1001:                             ;   in Loop: Header=BB196_520 Depth=1
	s_or_b32 exec_lo, exec_lo, s16
	s_delay_alu instid0(VALU_DEP_1) | instskip(NEXT) | instid1(VALU_DEP_2)
	v_dual_lshlrev_b32 v83, 24, v97 :: v_dual_lshlrev_b32 v20, 20, v20
	v_lshl_add_u32 v82, v82, 23, 0x3c000000
	s_delay_alu instid0(VALU_DEP_2) | instskip(NEXT) | instid1(VALU_DEP_1)
	v_and_b32_e32 v83, 0x80000000, v83
	v_or3_b32 v20, v20, v83, v82
	s_delay_alu instid0(VALU_DEP_1)
	v_mov_b64_e32 v[82:83], v[20:21]
.LBB196_1002:                           ;   in Loop: Header=BB196_520 Depth=1
	s_or_b32 exec_lo, exec_lo, s15
.LBB196_1003:                           ;   in Loop: Header=BB196_520 Depth=1
	s_delay_alu instid0(SALU_CYCLE_1)
	s_or_b32 exec_lo, exec_lo, s14
.LBB196_1004:                           ;   in Loop: Header=BB196_520 Depth=1
	s_delay_alu instid0(SALU_CYCLE_1) | instskip(SKIP_2) | instid1(VALU_DEP_1)
	s_or_b32 exec_lo, exec_lo, s11
	v_lshrrev_b16 v20, 8, v97
	s_mov_b32 s11, exec_lo
	v_cmpx_ne_u16_e32 0, v20
	s_cbranch_execz .LBB196_1012
; %bb.1005:                             ;   in Loop: Header=BB196_520 Depth=1
	v_mov_b64_e32 v[30:31], 0x8000000000000000
	s_mov_b32 s14, exec_lo
	v_cmpx_ne_u16_e32 0x80, v20
	s_cbranch_execz .LBB196_1011
; %bb.1006:                             ;   in Loop: Header=BB196_520 Depth=1
	v_and_b32_e32 v20, 0xffff, v20
	v_mov_b64_e32 v[30:31], 0x7f80000100000000
	s_mov_b32 s15, exec_lo
	s_delay_alu instid0(VALU_DEP_2) | instskip(NEXT) | instid1(VALU_DEP_1)
	v_and_b32_e32 v84, 0x7f, v20
	v_cmpx_ne_u32_e32 0x7f, v84
	s_cbranch_execz .LBB196_1010
; %bb.1007:                             ;   in Loop: Header=BB196_520 Depth=1
	v_and_b32_e32 v20, 7, v20
	v_lshrrev_b32_e32 v30, 3, v84
	s_mov_b32 s16, exec_lo
	v_cmpx_gt_u32_e32 8, v84
; %bb.1008:                             ;   in Loop: Header=BB196_520 Depth=1
	s_delay_alu instid0(VALU_DEP_3) | instskip(NEXT) | instid1(VALU_DEP_1)
	v_clz_i32_u32_e32 v30, v20
	v_min_u32_e32 v30, 32, v30
	s_delay_alu instid0(VALU_DEP_1) | instskip(NEXT) | instid1(VALU_DEP_1)
	v_subrev_nc_u32_e32 v31, 28, v30
	v_lshlrev_b64_e32 v[84:85], v31, v[20:21]
	s_delay_alu instid0(VALU_DEP_1)
	v_dual_sub_nc_u32 v30, 29, v30 :: v_dual_bitop2_b32 v20, 7, v84 bitop3:0x40
; %bb.1009:                             ;   in Loop: Header=BB196_520 Depth=1
	s_or_b32 exec_lo, exec_lo, s16
	s_delay_alu instid0(VALU_DEP_1) | instskip(NEXT) | instid1(VALU_DEP_2)
	v_dual_lshlrev_b32 v31, 16, v97 :: v_dual_lshlrev_b32 v20, 20, v20
	v_lshl_add_u32 v30, v30, 23, 0x3c000000
	s_delay_alu instid0(VALU_DEP_2) | instskip(NEXT) | instid1(VALU_DEP_1)
	v_and_b32_e32 v31, 0x80000000, v31
	v_or3_b32 v31, v20, v31, v30
	v_mov_b32_e32 v30, v21
.LBB196_1010:                           ;   in Loop: Header=BB196_520 Depth=1
	s_or_b32 exec_lo, exec_lo, s15
.LBB196_1011:                           ;   in Loop: Header=BB196_520 Depth=1
	s_delay_alu instid0(SALU_CYCLE_1)
	s_or_b32 exec_lo, exec_lo, s14
.LBB196_1012:                           ;   in Loop: Header=BB196_520 Depth=1
	s_delay_alu instid0(SALU_CYCLE_1) | instskip(SKIP_4) | instid1(VALU_DEP_3)
	s_or_b32 exec_lo, exec_lo, s11
	v_lshrrev_b32_e32 v98, 16, v97
	v_mov_b64_e32 v[84:85], 0
	v_mov_b64_e32 v[86:87], 0
	s_mov_b32 s11, exec_lo
	v_and_b32_e32 v20, 0xff, v98
	s_delay_alu instid0(VALU_DEP_1)
	v_cmpx_ne_u16_e32 0, v20
	s_cbranch_execz .LBB196_1020
; %bb.1013:                             ;   in Loop: Header=BB196_520 Depth=1
	v_mov_b64_e32 v[86:87], 0x80000000
	s_mov_b32 s14, exec_lo
	v_cmpx_ne_u16_e32 0x80, v20
	s_cbranch_execz .LBB196_1019
; %bb.1014:                             ;   in Loop: Header=BB196_520 Depth=1
	v_mov_b64_e32 v[86:87], 0x7f800001
	v_bfe_u32 v99, v97, 16, 7
	s_mov_b32 s15, exec_lo
	s_delay_alu instid0(VALU_DEP_1)
	v_cmpx_ne_u32_e32 0x7f, v99
	s_cbranch_execz .LBB196_1018
; %bb.1015:                             ;   in Loop: Header=BB196_520 Depth=1
	v_dual_lshrrev_b32 v86, 3, v99 :: v_dual_bitop2_b32 v20, 7, v98 bitop3:0x40
	s_mov_b32 s16, exec_lo
	v_cmpx_gt_u32_e32 8, v99
; %bb.1016:                             ;   in Loop: Header=BB196_520 Depth=1
	s_delay_alu instid0(VALU_DEP_2) | instskip(NEXT) | instid1(VALU_DEP_1)
	v_clz_i32_u32_e32 v86, v20
	v_min_u32_e32 v86, 32, v86
	s_delay_alu instid0(VALU_DEP_1) | instskip(NEXT) | instid1(VALU_DEP_1)
	v_subrev_nc_u32_e32 v87, 28, v86
	v_lshlrev_b64_e32 v[100:101], v87, v[20:21]
	s_delay_alu instid0(VALU_DEP_1)
	v_dual_sub_nc_u32 v86, 29, v86 :: v_dual_bitop2_b32 v20, 7, v100 bitop3:0x40
; %bb.1017:                             ;   in Loop: Header=BB196_520 Depth=1
	s_or_b32 exec_lo, exec_lo, s16
	s_delay_alu instid0(VALU_DEP_1) | instskip(NEXT) | instid1(VALU_DEP_2)
	v_dual_lshlrev_b32 v87, 24, v98 :: v_dual_lshlrev_b32 v20, 20, v20
	v_lshl_add_u32 v86, v86, 23, 0x3c000000
	s_delay_alu instid0(VALU_DEP_2) | instskip(NEXT) | instid1(VALU_DEP_1)
	v_and_b32_e32 v87, 0x80000000, v87
	v_or3_b32 v20, v20, v87, v86
	s_delay_alu instid0(VALU_DEP_1)
	v_mov_b64_e32 v[86:87], v[20:21]
.LBB196_1018:                           ;   in Loop: Header=BB196_520 Depth=1
	s_or_b32 exec_lo, exec_lo, s15
.LBB196_1019:                           ;   in Loop: Header=BB196_520 Depth=1
	s_delay_alu instid0(SALU_CYCLE_1)
	s_or_b32 exec_lo, exec_lo, s14
.LBB196_1020:                           ;   in Loop: Header=BB196_520 Depth=1
	s_delay_alu instid0(SALU_CYCLE_1) | instskip(NEXT) | instid1(SALU_CYCLE_1)
	s_or_b32 exec_lo, exec_lo, s11
	s_mov_b32 s11, exec_lo
	v_cmpx_lt_u32_e32 0xffffff, v97
	s_cbranch_execz .LBB196_1028
; %bb.1021:                             ;   in Loop: Header=BB196_520 Depth=1
	v_mov_b64_e32 v[84:85], 0x8000000000000000
	v_lshrrev_b32_e32 v98, 24, v97
	s_mov_b32 s14, exec_lo
	s_delay_alu instid0(VALU_DEP_1)
	v_cmpx_ne_u32_e32 0x80, v98
	s_cbranch_execz .LBB196_1027
; %bb.1022:                             ;   in Loop: Header=BB196_520 Depth=1
	v_mov_b64_e32 v[84:85], 0x7f80000100000000
	v_bfe_u32 v97, v97, 24, 7
	s_mov_b32 s15, exec_lo
	s_delay_alu instid0(VALU_DEP_1)
	v_cmpx_ne_u32_e32 0x7f, v97
	s_cbranch_execz .LBB196_1026
; %bb.1023:                             ;   in Loop: Header=BB196_520 Depth=1
	v_dual_lshrrev_b32 v84, 3, v97 :: v_dual_bitop2_b32 v20, 7, v98 bitop3:0x40
	s_mov_b32 s16, exec_lo
	v_cmpx_gt_u32_e32 8, v97
; %bb.1024:                             ;   in Loop: Header=BB196_520 Depth=1
	s_delay_alu instid0(VALU_DEP_2) | instskip(NEXT) | instid1(VALU_DEP_1)
	v_clz_i32_u32_e32 v84, v20
	v_min_u32_e32 v84, 32, v84
	s_delay_alu instid0(VALU_DEP_1) | instskip(SKIP_1) | instid1(VALU_DEP_2)
	v_subrev_nc_u32_e32 v85, 28, v84
	v_sub_nc_u32_e32 v84, 29, v84
	v_lshlrev_b64_e32 v[100:101], v85, v[20:21]
	s_delay_alu instid0(VALU_DEP_1)
	v_and_b32_e32 v20, 7, v100
; %bb.1025:                             ;   in Loop: Header=BB196_520 Depth=1
	s_or_b32 exec_lo, exec_lo, s16
	s_delay_alu instid0(VALU_DEP_1) | instskip(SKIP_1) | instid1(VALU_DEP_2)
	v_dual_lshlrev_b32 v85, 24, v98 :: v_dual_lshlrev_b32 v20, 20, v20
	v_lshl_add_u32 v84, v84, 23, 0x3c000000
	v_and_b32_e32 v85, 0x80000000, v85
	s_delay_alu instid0(VALU_DEP_1)
	v_or3_b32 v85, v20, v85, v84
	v_mov_b32_e32 v84, v21
.LBB196_1026:                           ;   in Loop: Header=BB196_520 Depth=1
	s_or_b32 exec_lo, exec_lo, s15
.LBB196_1027:                           ;   in Loop: Header=BB196_520 Depth=1
	s_delay_alu instid0(SALU_CYCLE_1)
	s_or_b32 exec_lo, exec_lo, s14
.LBB196_1028:                           ;   in Loop: Header=BB196_520 Depth=1
	s_delay_alu instid0(SALU_CYCLE_1)
	s_or_b32 exec_lo, exec_lo, s11
	v_mov_b64_e32 v[98:99], s[2:3]
	v_or_b32_e32 v31, v31, v83
	v_or_b32_e32 v30, v30, v82
	;; [unrolled: 1-line block ×4, first 2 shown]
	s_delay_alu instid0(VALU_DEP_3) | instskip(NEXT) | instid1(VALU_DEP_2)
	v_pk_mul_f32 v[82:83], v[98:99], v[30:31]
	v_pk_mul_f32 v[30:31], v[98:99], v[84:85]
	s_and_saveexec_b32 s0, vcc_lo
	s_cbranch_execz .LBB196_519
; %bb.1029:                             ;   in Loop: Header=BB196_520 Depth=1
	v_cmp_gt_i32_e32 vcc_lo, s10, v96
	v_dual_cndmask_b32 v83, 0, v83, vcc_lo :: v_dual_bitop2_b32 v20, 3, v93 bitop3:0x54
	v_cmp_gt_i32_e32 vcc_lo, s25, v93
	v_dual_cndmask_b32 v82, 0, v82, vcc_lo :: v_dual_bitop2_b32 v84, 2, v93 bitop3:0x54
	s_delay_alu instid0(VALU_DEP_3) | instskip(SKIP_1) | instid1(VALU_DEP_3)
	v_cmp_gt_i32_e32 vcc_lo, s10, v20
	v_cndmask_b32_e32 v31, 0, v31, vcc_lo
	v_cmp_gt_i32_e32 vcc_lo, s25, v84
	v_cndmask_b32_e32 v30, 0, v30, vcc_lo
	s_branch .LBB196_519
.LBB196_1030:
	s_or_b32 exec_lo, exec_lo, s9
.LBB196_1031:
	s_delay_alu instid0(SALU_CYCLE_1)
	s_or_b32 exec_lo, exec_lo, s1
	ds_bpermute_b32 v26, v89, v6
	ds_bpermute_b32 v27, v89, v7
	;; [unrolled: 1-line block ×15, first 2 shown]
	s_mov_b32 s0, exec_lo
	s_wait_dscnt 0xd
	v_pk_add_f32 v[26:27], v[6:7], v[26:27]
	scratch_load_b32 v6, off, off offset:264 ; 4-byte Folded Reload
	s_wait_dscnt 0xb
	v_pk_add_f32 v[0:1], v[18:19], v[0:1]
	s_wait_loadcnt_dscnt 0x0
	v_pk_add_f32 v[2:3], v[16:17], v[2:3]
	ds_bpermute_b32 v34, v90, v26
	v_pk_add_f32 v[4:5], v[14:15], v[4:5]
	ds_bpermute_b32 v35, v90, v27
	;; [unrolled: 2-line block ×5, first 2 shown]
	ds_bpermute_b32 v21, v90, v3
	ds_bpermute_b32 v22, v90, v4
	;; [unrolled: 1-line block ×9, first 2 shown]
	v_add_f32_e32 v14, v92, v36
	s_barrier_signal -1
	s_barrier_wait -1
	s_wait_dscnt 0x0
	ds_bpermute_b32 v15, v90, v14
	v_pk_add_f32 v[12:13], v[0:1], v[10:11]
	v_pk_add_f32 v[10:11], v[2:3], v[20:21]
	;; [unrolled: 1-line block ×6, first 2 shown]
	v_and_b32_e32 v36, 0x3c3, v6
	v_pk_add_f32 v[6:7], v[16:17], v[28:29]
	v_and_b32_e32 v16, 28, v88
	s_delay_alu instid0(VALU_DEP_3) | instskip(SKIP_1) | instid1(SALU_CYCLE_1)
	v_cmpx_ne_u32_e32 64, v36
	s_xor_b32 s0, exec_lo, s0
	s_or_saveexec_b32 s0, s0
	scratch_load_b32 v17, off, off offset:268 th:TH_LOAD_LU ; 4-byte Folded Reload
	s_wait_dscnt 0x0
	v_dual_add_f32 v14, v14, v15 :: v_dual_lshrrev_b32 v15, 2, v88
	v_add_nc_u32_e32 v16, 0x200, v16
	s_wait_loadcnt 0x0
	v_mul_u32_u24_e32 v17, 0x1e0, v17
	s_xor_b32 exec_lo, exec_lo, s0
	s_cbranch_execz .LBB196_1033
; %bb.1032:
	s_delay_alu instid0(VALU_DEP_1) | instskip(NEXT) | instid1(VALU_DEP_1)
	v_add_nc_u32_e32 v18, v16, v17
	v_add_nc_u32_e32 v19, 0xfffffc40, v18
	;; [unrolled: 1-line block ×9, first 2 shown]
	ds_store_b32 v19, v12
	ds_store_b32 v20, v13
	;; [unrolled: 1-line block ×8, first 2 shown]
	v_add_nc_u32_e32 v19, 0xfffffd40, v18
	v_add_nc_u32_e32 v20, 0xfffffd60, v18
	;; [unrolled: 1-line block ×7, first 2 shown]
	ds_store_b32 v19, v4
	ds_store_b32 v20, v5
	;; [unrolled: 1-line block ×7, first 2 shown]
.LBB196_1033:
	s_or_b32 exec_lo, exec_lo, s0
	v_lshlrev_b32_e32 v15, 2, v15
	s_mov_b32 s1, exec_lo
	v_cmp_eq_u32_e32 vcc_lo, 0, v91
	s_delay_alu instid0(VALU_DEP_2)
	v_add3_u32 v15, 0x200, v17, v15
	scratch_load_b32 v17, off, off offset:264 ; 4-byte Folded Reload
	s_wait_loadcnt_dscnt 0x0
	s_barrier_signal -1
	s_barrier_wait -1
	v_cmpx_gt_u32_e32 64, v17
	s_cbranch_execz .LBB196_1051
; %bb.1034:
	s_and_saveexec_b32 s0, vcc_lo
	s_cbranch_execnz .LBB196_1074
; %bb.1035:
	s_or_b32 exec_lo, exec_lo, s0
	s_and_saveexec_b32 s0, vcc_lo
	s_cbranch_execnz .LBB196_1075
.LBB196_1036:
	s_or_b32 exec_lo, exec_lo, s0
	s_and_saveexec_b32 s0, vcc_lo
	s_cbranch_execnz .LBB196_1076
.LBB196_1037:
	s_or_b32 exec_lo, exec_lo, s0
	s_and_saveexec_b32 s0, vcc_lo
	s_cbranch_execnz .LBB196_1077
.LBB196_1038:
	s_or_b32 exec_lo, exec_lo, s0
	s_and_saveexec_b32 s0, vcc_lo
	s_cbranch_execnz .LBB196_1078
.LBB196_1039:
	s_or_b32 exec_lo, exec_lo, s0
	s_and_saveexec_b32 s0, vcc_lo
	s_cbranch_execnz .LBB196_1079
.LBB196_1040:
	s_or_b32 exec_lo, exec_lo, s0
	s_and_saveexec_b32 s0, vcc_lo
	s_cbranch_execnz .LBB196_1080
.LBB196_1041:
	s_or_b32 exec_lo, exec_lo, s0
	s_and_saveexec_b32 s0, vcc_lo
	s_cbranch_execnz .LBB196_1081
.LBB196_1042:
	s_or_b32 exec_lo, exec_lo, s0
	s_and_saveexec_b32 s0, vcc_lo
	s_cbranch_execnz .LBB196_1082
.LBB196_1043:
	s_or_b32 exec_lo, exec_lo, s0
	s_and_saveexec_b32 s0, vcc_lo
	s_cbranch_execnz .LBB196_1083
.LBB196_1044:
	s_or_b32 exec_lo, exec_lo, s0
	s_and_saveexec_b32 s0, vcc_lo
	s_cbranch_execnz .LBB196_1084
.LBB196_1045:
	s_or_b32 exec_lo, exec_lo, s0
	s_and_saveexec_b32 s0, vcc_lo
	s_cbranch_execnz .LBB196_1085
.LBB196_1046:
	s_or_b32 exec_lo, exec_lo, s0
	s_and_saveexec_b32 s0, vcc_lo
	s_cbranch_execnz .LBB196_1086
.LBB196_1047:
	s_or_b32 exec_lo, exec_lo, s0
	s_and_saveexec_b32 s0, vcc_lo
	s_cbranch_execnz .LBB196_1087
.LBB196_1048:
	s_or_b32 exec_lo, exec_lo, s0
	s_and_saveexec_b32 s0, vcc_lo
	s_cbranch_execz .LBB196_1050
.LBB196_1049:
	ds_load_b32 v17, v15 offset:448
	s_wait_dscnt 0x0
	v_add_f32_e32 v14, v14, v17
.LBB196_1050:
	s_or_b32 exec_lo, exec_lo, s0
.LBB196_1051:
	s_delay_alu instid0(SALU_CYCLE_1)
	s_or_b32 exec_lo, exec_lo, s1
	scratch_load_b32 v17, off, off offset:264 ; 4-byte Folded Reload
	s_mov_b32 s1, exec_lo
	s_wait_loadcnt 0x0
	s_barrier_signal -1
	s_barrier_wait -1
	v_and_b32_e32 v17, 0x3e3, v17
	s_wait_xcnt 0x0
	s_delay_alu instid0(VALU_DEP_1)
	v_cmpx_eq_u32_e32 32, v17
	s_cbranch_execz .LBB196_1053
; %bb.1052:
	ds_store_2addr_b32 v16, v12, v13 offset1:8
	ds_store_2addr_b32 v16, v10, v11 offset0:16 offset1:24
	ds_store_2addr_b32 v16, v8, v9 offset0:32 offset1:40
	;; [unrolled: 1-line block ×6, first 2 shown]
	ds_store_b32 v16, v14 offset:448
.LBB196_1053:
	s_or_b32 exec_lo, exec_lo, s1
	scratch_load_b32 v16, off, off offset:264 ; 4-byte Folded Reload
	s_mov_b32 s1, exec_lo
	s_wait_loadcnt_dscnt 0x0
	s_barrier_signal -1
	s_barrier_wait -1
	v_cmpx_gt_u32_e32 32, v16
	s_cbranch_execz .LBB196_1071
; %bb.1054:
	s_and_saveexec_b32 s0, vcc_lo
	s_cbranch_execnz .LBB196_1088
; %bb.1055:
	s_or_b32 exec_lo, exec_lo, s0
	s_and_saveexec_b32 s0, vcc_lo
	s_cbranch_execnz .LBB196_1089
.LBB196_1056:
	s_or_b32 exec_lo, exec_lo, s0
	s_and_saveexec_b32 s0, vcc_lo
	s_cbranch_execnz .LBB196_1090
.LBB196_1057:
	s_or_b32 exec_lo, exec_lo, s0
	s_and_saveexec_b32 s0, vcc_lo
	s_cbranch_execnz .LBB196_1091
.LBB196_1058:
	s_or_b32 exec_lo, exec_lo, s0
	s_and_saveexec_b32 s0, vcc_lo
	s_cbranch_execnz .LBB196_1092
.LBB196_1059:
	s_or_b32 exec_lo, exec_lo, s0
	s_and_saveexec_b32 s0, vcc_lo
	s_cbranch_execnz .LBB196_1093
.LBB196_1060:
	s_or_b32 exec_lo, exec_lo, s0
	s_and_saveexec_b32 s0, vcc_lo
	s_cbranch_execnz .LBB196_1094
.LBB196_1061:
	s_or_b32 exec_lo, exec_lo, s0
	s_and_saveexec_b32 s0, vcc_lo
	s_cbranch_execnz .LBB196_1095
.LBB196_1062:
	s_or_b32 exec_lo, exec_lo, s0
	s_and_saveexec_b32 s0, vcc_lo
	s_cbranch_execnz .LBB196_1096
.LBB196_1063:
	s_or_b32 exec_lo, exec_lo, s0
	s_and_saveexec_b32 s0, vcc_lo
	s_cbranch_execnz .LBB196_1097
.LBB196_1064:
	s_or_b32 exec_lo, exec_lo, s0
	s_and_saveexec_b32 s0, vcc_lo
	s_cbranch_execnz .LBB196_1098
.LBB196_1065:
	s_or_b32 exec_lo, exec_lo, s0
	s_and_saveexec_b32 s0, vcc_lo
	s_cbranch_execnz .LBB196_1099
.LBB196_1066:
	s_or_b32 exec_lo, exec_lo, s0
	s_and_saveexec_b32 s0, vcc_lo
	s_cbranch_execnz .LBB196_1100
.LBB196_1067:
	s_or_b32 exec_lo, exec_lo, s0
	s_and_saveexec_b32 s0, vcc_lo
	s_cbranch_execnz .LBB196_1101
.LBB196_1068:
	s_or_b32 exec_lo, exec_lo, s0
	s_and_saveexec_b32 s0, vcc_lo
	s_cbranch_execz .LBB196_1070
.LBB196_1069:
	ds_load_b32 v15, v15 offset:448
	s_wait_dscnt 0x0
	v_add_f32_e32 v14, v14, v15
.LBB196_1070:
	s_or_b32 exec_lo, exec_lo, s0
.LBB196_1071:
	s_delay_alu instid0(SALU_CYCLE_1)
	s_or_b32 exec_lo, exec_lo, s1
	s_mov_b32 s1, 0
	s_barrier_signal -1
	s_barrier_wait -1
	s_mov_b32 s0, exec_lo
	v_cmpx_eq_u32_e32 0, v17
	s_cbranch_execz .LBB196_1073
; %bb.1072:
	scratch_load_b32 v15, off, off offset:264 th:TH_LOAD_LU ; 4-byte Folded Reload
	s_mul_i32 s0, s24, s8
	s_mul_i32 s2, s8, s12
	;; [unrolled: 1-line block ×3, first 2 shown]
	s_lshr_b32 s8, ttmp7, 16
	s_mul_i32 s6, s0, 0x78
	s_bfe_u32 s0, ttmp6, 0x40014
	s_ashr_i32 s7, s6, 31
	s_add_co_i32 s0, s0, 1
	s_ashr_i32 s3, s2, 31
	s_mul_i32 s0, s8, s0
	s_bfe_u32 s9, ttmp6, 0x40008
	s_lshl_b64 s[6:7], s[6:7], 2
	s_lshl_b64 s[2:3], s[2:3], 2
	s_add_co_i32 s9, s9, s0
	s_cmp_eq_u32 s22, 0
	s_wait_kmcnt 0x0
	s_add_nc_u64 s[4:5], s[4:5], s[6:7]
	s_cselect_b32 s0, s8, s9
	s_add_nc_u64 s[2:3], s[4:5], s[2:3]
	s_mulk_i32 s0, 0x1e0
	s_delay_alu instid0(SALU_CYCLE_1)
	s_add_nc_u64 s[0:1], s[2:3], s[0:1]
	s_wait_loadcnt 0x0
	s_clause 0xe
	global_store_b32 v15, v12, s[0:1]
	global_store_b32 v15, v13, s[0:1] offset:32
	global_store_b32 v15, v10, s[0:1] offset:64
	;; [unrolled: 1-line block ×14, first 2 shown]
.LBB196_1073:
	s_sendmsg sendmsg(MSG_DEALLOC_VGPRS)
	s_endpgm
.LBB196_1074:
	ds_load_b32 v17, v15
	s_wait_dscnt 0x0
	v_add_f32_e32 v12, v12, v17
	s_or_b32 exec_lo, exec_lo, s0
	s_and_saveexec_b32 s0, vcc_lo
	s_cbranch_execz .LBB196_1036
.LBB196_1075:
	ds_load_b32 v17, v15 offset:32
	s_wait_dscnt 0x0
	v_add_f32_e32 v13, v13, v17
	s_or_b32 exec_lo, exec_lo, s0
	s_and_saveexec_b32 s0, vcc_lo
	s_cbranch_execz .LBB196_1037
.LBB196_1076:
	ds_load_b32 v17, v15 offset:64
	s_wait_dscnt 0x0
	v_add_f32_e32 v10, v10, v17
	s_or_b32 exec_lo, exec_lo, s0
	s_and_saveexec_b32 s0, vcc_lo
	s_cbranch_execz .LBB196_1038
.LBB196_1077:
	ds_load_b32 v17, v15 offset:96
	s_wait_dscnt 0x0
	v_add_f32_e32 v11, v11, v17
	s_or_b32 exec_lo, exec_lo, s0
	s_and_saveexec_b32 s0, vcc_lo
	s_cbranch_execz .LBB196_1039
.LBB196_1078:
	ds_load_b32 v17, v15 offset:128
	s_wait_dscnt 0x0
	v_add_f32_e32 v8, v8, v17
	s_or_b32 exec_lo, exec_lo, s0
	s_and_saveexec_b32 s0, vcc_lo
	s_cbranch_execz .LBB196_1040
.LBB196_1079:
	ds_load_b32 v17, v15 offset:160
	s_wait_dscnt 0x0
	v_add_f32_e32 v9, v9, v17
	s_or_b32 exec_lo, exec_lo, s0
	s_and_saveexec_b32 s0, vcc_lo
	s_cbranch_execz .LBB196_1041
.LBB196_1080:
	ds_load_b32 v17, v15 offset:192
	s_wait_dscnt 0x0
	v_add_f32_e32 v6, v6, v17
	s_or_b32 exec_lo, exec_lo, s0
	s_and_saveexec_b32 s0, vcc_lo
	s_cbranch_execz .LBB196_1042
.LBB196_1081:
	ds_load_b32 v17, v15 offset:224
	s_wait_dscnt 0x0
	v_add_f32_e32 v7, v7, v17
	s_or_b32 exec_lo, exec_lo, s0
	s_and_saveexec_b32 s0, vcc_lo
	s_cbranch_execz .LBB196_1043
.LBB196_1082:
	ds_load_b32 v17, v15 offset:256
	s_wait_dscnt 0x0
	v_add_f32_e32 v4, v4, v17
	s_or_b32 exec_lo, exec_lo, s0
	s_and_saveexec_b32 s0, vcc_lo
	s_cbranch_execz .LBB196_1044
.LBB196_1083:
	ds_load_b32 v17, v15 offset:288
	s_wait_dscnt 0x0
	v_add_f32_e32 v5, v5, v17
	s_or_b32 exec_lo, exec_lo, s0
	s_and_saveexec_b32 s0, vcc_lo
	s_cbranch_execz .LBB196_1045
.LBB196_1084:
	ds_load_b32 v17, v15 offset:320
	s_wait_dscnt 0x0
	v_add_f32_e32 v2, v2, v17
	s_or_b32 exec_lo, exec_lo, s0
	s_and_saveexec_b32 s0, vcc_lo
	s_cbranch_execz .LBB196_1046
.LBB196_1085:
	ds_load_b32 v17, v15 offset:352
	s_wait_dscnt 0x0
	v_add_f32_e32 v3, v3, v17
	s_or_b32 exec_lo, exec_lo, s0
	s_and_saveexec_b32 s0, vcc_lo
	s_cbranch_execz .LBB196_1047
.LBB196_1086:
	ds_load_b32 v17, v15 offset:384
	s_wait_dscnt 0x0
	v_add_f32_e32 v0, v0, v17
	s_or_b32 exec_lo, exec_lo, s0
	s_and_saveexec_b32 s0, vcc_lo
	s_cbranch_execz .LBB196_1048
.LBB196_1087:
	ds_load_b32 v17, v15 offset:416
	s_wait_dscnt 0x0
	v_add_f32_e32 v1, v1, v17
	s_or_b32 exec_lo, exec_lo, s0
	s_and_saveexec_b32 s0, vcc_lo
	s_cbranch_execnz .LBB196_1049
	s_branch .LBB196_1050
.LBB196_1088:
	ds_load_b32 v16, v15
	s_wait_dscnt 0x0
	v_add_f32_e32 v12, v12, v16
	s_or_b32 exec_lo, exec_lo, s0
	s_and_saveexec_b32 s0, vcc_lo
	s_cbranch_execz .LBB196_1056
.LBB196_1089:
	ds_load_b32 v16, v15 offset:32
	s_wait_dscnt 0x0
	v_add_f32_e32 v13, v13, v16
	s_or_b32 exec_lo, exec_lo, s0
	s_and_saveexec_b32 s0, vcc_lo
	s_cbranch_execz .LBB196_1057
.LBB196_1090:
	ds_load_b32 v16, v15 offset:64
	s_wait_dscnt 0x0
	v_add_f32_e32 v10, v10, v16
	s_or_b32 exec_lo, exec_lo, s0
	s_and_saveexec_b32 s0, vcc_lo
	s_cbranch_execz .LBB196_1058
.LBB196_1091:
	ds_load_b32 v16, v15 offset:96
	s_wait_dscnt 0x0
	v_add_f32_e32 v11, v11, v16
	s_or_b32 exec_lo, exec_lo, s0
	s_and_saveexec_b32 s0, vcc_lo
	s_cbranch_execz .LBB196_1059
.LBB196_1092:
	ds_load_b32 v16, v15 offset:128
	s_wait_dscnt 0x0
	v_add_f32_e32 v8, v8, v16
	s_or_b32 exec_lo, exec_lo, s0
	s_and_saveexec_b32 s0, vcc_lo
	s_cbranch_execz .LBB196_1060
.LBB196_1093:
	ds_load_b32 v16, v15 offset:160
	s_wait_dscnt 0x0
	v_add_f32_e32 v9, v9, v16
	s_or_b32 exec_lo, exec_lo, s0
	s_and_saveexec_b32 s0, vcc_lo
	s_cbranch_execz .LBB196_1061
.LBB196_1094:
	ds_load_b32 v16, v15 offset:192
	s_wait_dscnt 0x0
	v_add_f32_e32 v6, v6, v16
	s_or_b32 exec_lo, exec_lo, s0
	s_and_saveexec_b32 s0, vcc_lo
	s_cbranch_execz .LBB196_1062
.LBB196_1095:
	ds_load_b32 v16, v15 offset:224
	s_wait_dscnt 0x0
	v_add_f32_e32 v7, v7, v16
	s_or_b32 exec_lo, exec_lo, s0
	s_and_saveexec_b32 s0, vcc_lo
	s_cbranch_execz .LBB196_1063
.LBB196_1096:
	ds_load_b32 v16, v15 offset:256
	s_wait_dscnt 0x0
	v_add_f32_e32 v4, v4, v16
	s_or_b32 exec_lo, exec_lo, s0
	s_and_saveexec_b32 s0, vcc_lo
	s_cbranch_execz .LBB196_1064
.LBB196_1097:
	ds_load_b32 v16, v15 offset:288
	s_wait_dscnt 0x0
	v_add_f32_e32 v5, v5, v16
	s_or_b32 exec_lo, exec_lo, s0
	s_and_saveexec_b32 s0, vcc_lo
	s_cbranch_execz .LBB196_1065
.LBB196_1098:
	ds_load_b32 v16, v15 offset:320
	s_wait_dscnt 0x0
	v_add_f32_e32 v2, v2, v16
	s_or_b32 exec_lo, exec_lo, s0
	s_and_saveexec_b32 s0, vcc_lo
	s_cbranch_execz .LBB196_1066
.LBB196_1099:
	ds_load_b32 v16, v15 offset:352
	s_wait_dscnt 0x0
	v_add_f32_e32 v3, v3, v16
	s_or_b32 exec_lo, exec_lo, s0
	s_and_saveexec_b32 s0, vcc_lo
	s_cbranch_execz .LBB196_1067
.LBB196_1100:
	ds_load_b32 v16, v15 offset:384
	s_wait_dscnt 0x0
	v_add_f32_e32 v0, v0, v16
	s_or_b32 exec_lo, exec_lo, s0
	s_and_saveexec_b32 s0, vcc_lo
	s_cbranch_execz .LBB196_1068
.LBB196_1101:
	ds_load_b32 v16, v15 offset:416
	s_wait_dscnt 0x0
	v_add_f32_e32 v1, v1, v16
	s_or_b32 exec_lo, exec_lo, s0
	s_and_saveexec_b32 s0, vcc_lo
	s_cbranch_execnz .LBB196_1069
	s_branch .LBB196_1070
	.section	.rodata,"a",@progbits
	.p2align	6, 0x0
	.amdhsa_kernel _ZN4vllm25paged_attention_v1_kernelIfhLi120ELi16ELi128ELNS_18Fp8KVCacheDataTypeE1ELb0EEEvPT_PKS2_PKT0_S8_ifPKiSA_iPKfiiiSC_SC_iiiii
		.amdhsa_group_segment_fixed_size 512
		.amdhsa_private_segment_fixed_size 288
		.amdhsa_kernarg_size 384
		.amdhsa_user_sgpr_count 2
		.amdhsa_user_sgpr_dispatch_ptr 0
		.amdhsa_user_sgpr_queue_ptr 0
		.amdhsa_user_sgpr_kernarg_segment_ptr 1
		.amdhsa_user_sgpr_dispatch_id 0
		.amdhsa_user_sgpr_kernarg_preload_length 0
		.amdhsa_user_sgpr_kernarg_preload_offset 0
		.amdhsa_user_sgpr_private_segment_size 0
		.amdhsa_wavefront_size32 1
		.amdhsa_uses_dynamic_stack 0
		.amdhsa_enable_private_segment 1
		.amdhsa_system_sgpr_workgroup_id_x 1
		.amdhsa_system_sgpr_workgroup_id_y 1
		.amdhsa_system_sgpr_workgroup_id_z 1
		.amdhsa_system_sgpr_workgroup_info 0
		.amdhsa_system_vgpr_workitem_id 0
		.amdhsa_next_free_vgpr 128
		.amdhsa_next_free_sgpr 32
		.amdhsa_named_barrier_count 0
		.amdhsa_reserve_vcc 1
		.amdhsa_float_round_mode_32 0
		.amdhsa_float_round_mode_16_64 0
		.amdhsa_float_denorm_mode_32 3
		.amdhsa_float_denorm_mode_16_64 3
		.amdhsa_fp16_overflow 0
		.amdhsa_memory_ordered 1
		.amdhsa_forward_progress 1
		.amdhsa_inst_pref_size 255
		.amdhsa_round_robin_scheduling 0
		.amdhsa_exception_fp_ieee_invalid_op 0
		.amdhsa_exception_fp_denorm_src 0
		.amdhsa_exception_fp_ieee_div_zero 0
		.amdhsa_exception_fp_ieee_overflow 0
		.amdhsa_exception_fp_ieee_underflow 0
		.amdhsa_exception_fp_ieee_inexact 0
		.amdhsa_exception_int_div_zero 0
	.end_amdhsa_kernel
	.section	.text._ZN4vllm25paged_attention_v1_kernelIfhLi120ELi16ELi128ELNS_18Fp8KVCacheDataTypeE1ELb0EEEvPT_PKS2_PKT0_S8_ifPKiSA_iPKfiiiSC_SC_iiiii,"axG",@progbits,_ZN4vllm25paged_attention_v1_kernelIfhLi120ELi16ELi128ELNS_18Fp8KVCacheDataTypeE1ELb0EEEvPT_PKS2_PKT0_S8_ifPKiSA_iPKfiiiSC_SC_iiiii,comdat
.Lfunc_end196:
	.size	_ZN4vllm25paged_attention_v1_kernelIfhLi120ELi16ELi128ELNS_18Fp8KVCacheDataTypeE1ELb0EEEvPT_PKS2_PKT0_S8_ifPKiSA_iPKfiiiSC_SC_iiiii, .Lfunc_end196-_ZN4vllm25paged_attention_v1_kernelIfhLi120ELi16ELi128ELNS_18Fp8KVCacheDataTypeE1ELb0EEEvPT_PKS2_PKT0_S8_ifPKiSA_iPKfiiiSC_SC_iiiii
                                        ; -- End function
	.set _ZN4vllm25paged_attention_v1_kernelIfhLi120ELi16ELi128ELNS_18Fp8KVCacheDataTypeE1ELb0EEEvPT_PKS2_PKT0_S8_ifPKiSA_iPKfiiiSC_SC_iiiii.num_vgpr, 128
	.set _ZN4vllm25paged_attention_v1_kernelIfhLi120ELi16ELi128ELNS_18Fp8KVCacheDataTypeE1ELb0EEEvPT_PKS2_PKT0_S8_ifPKiSA_iPKfiiiSC_SC_iiiii.num_agpr, 0
	.set _ZN4vllm25paged_attention_v1_kernelIfhLi120ELi16ELi128ELNS_18Fp8KVCacheDataTypeE1ELb0EEEvPT_PKS2_PKT0_S8_ifPKiSA_iPKfiiiSC_SC_iiiii.numbered_sgpr, 32
	.set _ZN4vllm25paged_attention_v1_kernelIfhLi120ELi16ELi128ELNS_18Fp8KVCacheDataTypeE1ELb0EEEvPT_PKS2_PKT0_S8_ifPKiSA_iPKfiiiSC_SC_iiiii.num_named_barrier, 0
	.set _ZN4vllm25paged_attention_v1_kernelIfhLi120ELi16ELi128ELNS_18Fp8KVCacheDataTypeE1ELb0EEEvPT_PKS2_PKT0_S8_ifPKiSA_iPKfiiiSC_SC_iiiii.private_seg_size, 288
	.set _ZN4vllm25paged_attention_v1_kernelIfhLi120ELi16ELi128ELNS_18Fp8KVCacheDataTypeE1ELb0EEEvPT_PKS2_PKT0_S8_ifPKiSA_iPKfiiiSC_SC_iiiii.uses_vcc, 1
	.set _ZN4vllm25paged_attention_v1_kernelIfhLi120ELi16ELi128ELNS_18Fp8KVCacheDataTypeE1ELb0EEEvPT_PKS2_PKT0_S8_ifPKiSA_iPKfiiiSC_SC_iiiii.uses_flat_scratch, 1
	.set _ZN4vllm25paged_attention_v1_kernelIfhLi120ELi16ELi128ELNS_18Fp8KVCacheDataTypeE1ELb0EEEvPT_PKS2_PKT0_S8_ifPKiSA_iPKfiiiSC_SC_iiiii.has_dyn_sized_stack, 0
	.set _ZN4vllm25paged_attention_v1_kernelIfhLi120ELi16ELi128ELNS_18Fp8KVCacheDataTypeE1ELb0EEEvPT_PKS2_PKT0_S8_ifPKiSA_iPKfiiiSC_SC_iiiii.has_recursion, 0
	.set _ZN4vllm25paged_attention_v1_kernelIfhLi120ELi16ELi128ELNS_18Fp8KVCacheDataTypeE1ELb0EEEvPT_PKS2_PKT0_S8_ifPKiSA_iPKfiiiSC_SC_iiiii.has_indirect_call, 0
	.section	.AMDGPU.csdata,"",@progbits
; Kernel info:
; codeLenInByte = 38876
; TotalNumSgprs: 34
; NumVgprs: 128
; ScratchSize: 288
; MemoryBound: 0
; FloatMode: 240
; IeeeMode: 1
; LDSByteSize: 512 bytes/workgroup (compile time only)
; SGPRBlocks: 0
; VGPRBlocks: 7
; NumSGPRsForWavesPerEU: 34
; NumVGPRsForWavesPerEU: 128
; NamedBarCnt: 0
; Occupancy: 8
; WaveLimiterHint : 1
; COMPUTE_PGM_RSRC2:SCRATCH_EN: 1
; COMPUTE_PGM_RSRC2:USER_SGPR: 2
; COMPUTE_PGM_RSRC2:TRAP_HANDLER: 0
; COMPUTE_PGM_RSRC2:TGID_X_EN: 1
; COMPUTE_PGM_RSRC2:TGID_Y_EN: 1
; COMPUTE_PGM_RSRC2:TGID_Z_EN: 1
; COMPUTE_PGM_RSRC2:TIDIG_COMP_CNT: 0
	.section	.text._ZN4vllm25paged_attention_v1_kernelIfhLi128ELi16ELi128ELNS_18Fp8KVCacheDataTypeE1ELb0EEEvPT_PKS2_PKT0_S8_ifPKiSA_iPKfiiiSC_SC_iiiii,"axG",@progbits,_ZN4vllm25paged_attention_v1_kernelIfhLi128ELi16ELi128ELNS_18Fp8KVCacheDataTypeE1ELb0EEEvPT_PKS2_PKT0_S8_ifPKiSA_iPKfiiiSC_SC_iiiii,comdat
	.protected	_ZN4vllm25paged_attention_v1_kernelIfhLi128ELi16ELi128ELNS_18Fp8KVCacheDataTypeE1ELb0EEEvPT_PKS2_PKT0_S8_ifPKiSA_iPKfiiiSC_SC_iiiii ; -- Begin function _ZN4vllm25paged_attention_v1_kernelIfhLi128ELi16ELi128ELNS_18Fp8KVCacheDataTypeE1ELb0EEEvPT_PKS2_PKT0_S8_ifPKiSA_iPKfiiiSC_SC_iiiii
	.globl	_ZN4vllm25paged_attention_v1_kernelIfhLi128ELi16ELi128ELNS_18Fp8KVCacheDataTypeE1ELb0EEEvPT_PKS2_PKT0_S8_ifPKiSA_iPKfiiiSC_SC_iiiii
	.p2align	8
	.type	_ZN4vllm25paged_attention_v1_kernelIfhLi128ELi16ELi128ELNS_18Fp8KVCacheDataTypeE1ELb0EEEvPT_PKS2_PKT0_S8_ifPKiSA_iPKfiiiSC_SC_iiiii,@function
_ZN4vllm25paged_attention_v1_kernelIfhLi128ELi16ELi128ELNS_18Fp8KVCacheDataTypeE1ELb0EEEvPT_PKS2_PKT0_S8_ifPKiSA_iPKfiiiSC_SC_iiiii: ; @_ZN4vllm25paged_attention_v1_kernelIfhLi128ELi16ELi128ELNS_18Fp8KVCacheDataTypeE1ELb0EEEvPT_PKS2_PKT0_S8_ifPKiSA_iPKfiiiSC_SC_iiiii
; %bb.0:
	s_load_b64 s[10:11], s[0:1], 0x20
	s_bfe_u32 s3, ttmp6, 0x4000c
	s_bfe_u32 s5, ttmp6, 0x40010
	s_and_b32 s4, ttmp7, 0xffff
	s_add_co_i32 s3, s3, 1
	s_add_co_i32 s5, s5, 1
	s_and_b32 s2, ttmp6, 15
	s_bfe_u32 s6, ttmp6, 0x40004
	s_mul_i32 s3, ttmp9, s3
	s_mul_i32 s5, s4, s5
	s_getreg_b32 s22, hwreg(HW_REG_IB_STS2, 6, 4)
	s_add_co_i32 s7, s2, s3
	s_add_co_i32 s6, s6, s5
	s_cmp_eq_u32 s22, 0
	scratch_store_b32 off, v0, off offset:312 ; 4-byte Folded Spill
	s_cselect_b32 s24, s4, s6
	s_cselect_b32 s6, ttmp9, s7
	s_clause 0x1
	s_load_b32 s23, s[0:1], 0x80
	s_load_b64 s[2:3], s[0:1], 0x30
	s_wait_kmcnt 0x0
	s_abs_i32 s4, s10
	s_delay_alu instid0(SALU_CYCLE_1) | instskip(SKIP_1) | instid1(SALU_CYCLE_2)
	s_cvt_f32_u32 s5, s4
	s_sub_co_i32 s7, 0, s4
	v_rcp_iflag_f32_e32 v0, s5
	v_nop
	s_delay_alu instid0(TRANS32_DEP_1) | instskip(SKIP_2) | instid1(SALU_CYCLE_3)
	v_readfirstlane_b32 s5, v0
	s_abs_i32 s8, s23
	s_mul_f32 s5, s5, 0x4f7ffffe
	s_cvt_u32_f32 s5, s5
	s_delay_alu instid0(SALU_CYCLE_3) | instskip(NEXT) | instid1(SALU_CYCLE_1)
	s_mul_i32 s7, s7, s5
	s_mul_hi_u32 s7, s5, s7
	s_delay_alu instid0(SALU_CYCLE_1) | instskip(SKIP_4) | instid1(SALU_CYCLE_1)
	s_add_co_i32 s5, s5, s7
	s_xor_b32 s7, s23, s10
	s_mul_hi_u32 s5, s8, s5
	s_ashr_i32 s7, s7, 31
	s_mul_i32 s9, s5, s4
	s_sub_co_i32 s8, s8, s9
	s_add_co_i32 s9, s5, 1
	s_sub_co_i32 s10, s8, s4
	s_cmp_ge_u32 s8, s4
	s_cselect_b32 s5, s9, s5
	s_cselect_b32 s8, s10, s8
	s_add_co_i32 s9, s5, 1
	s_cmp_ge_u32 s8, s4
	s_cselect_b32 s4, s9, s5
	s_load_b64 s[8:9], s[0:1], 0x40
	s_xor_b32 s4, s4, s7
	s_mov_b32 s5, 0
	s_sub_co_i32 s14, s4, s7
	s_mov_b32 s13, s5
	s_abs_i32 s16, s14
	s_mov_b32 s26, s5
	s_cvt_f32_u32 s4, s16
	s_delay_alu instid0(SALU_CYCLE_3) | instskip(SKIP_1) | instid1(TRANS32_DEP_1)
	v_rcp_iflag_f32_e32 v0, s4
	v_nop
	v_readfirstlane_b32 s4, v0
	s_mul_f32 s4, s4, 0x4f7ffffe
	s_delay_alu instid0(SALU_CYCLE_3) | instskip(SKIP_1) | instid1(SALU_CYCLE_2)
	s_cvt_u32_f32 s7, s4
	s_sub_co_i32 s4, 0, s16
	s_mul_i32 s4, s4, s7
	s_delay_alu instid0(SALU_CYCLE_1)
	s_mul_hi_u32 s10, s7, s4
	s_abs_i32 s4, s6
	s_add_co_i32 s12, s7, s10
	s_wait_kmcnt 0x0
	s_cmp_eq_u64 s[8:9], 0
	s_cbranch_scc1 .LBB197_2
; %bb.1:
	s_ashr_i32 s7, s6, 31
	s_delay_alu instid0(SALU_CYCLE_1) | instskip(NEXT) | instid1(SALU_CYCLE_1)
	s_lshl_b64 s[18:19], s[6:7], 2
	s_add_nc_u64 s[8:9], s[8:9], s[18:19]
	s_load_b32 s26, s[8:9], 0x0
.LBB197_2:
	s_load_b32 s25, s[2:3], s24 offset:0x0 scale_offset
	s_wait_xcnt 0x0
	s_load_b96 s[8:10], s[0:1], 0x48
	scratch_load_b32 v4, off, off offset:312 ; 4-byte Folded Reload
	s_ashr_i32 s3, s6, 31
	s_ashr_i32 s7, s14, 31
	s_mul_u64 s[14:15], s[4:5], s[12:13]
	s_lshl_b32 s12, s6, 7
	s_wait_loadcnt 0x0
	v_dual_lshlrev_b32 v22, 2, v4 :: v_dual_bitop2_b32 v0, 1, v4 bitop3:0x40
	v_cmp_gt_u32_e64 s2, 64, v4
	s_wait_xcnt 0x0
	s_and_saveexec_b32 s5, s2
	s_cbranch_execz .LBB197_4
; %bb.3:
	s_load_b64 s[18:19], s[0:1], 0x8
	s_wait_kmcnt 0x0
	s_mul_i32 s20, s8, s24
	s_ashr_i32 s13, s12, 31
	s_ashr_i32 s21, s20, 31
	v_and_b32_e32 v1, 0xff8, v22
	s_lshl_b64 s[20:21], s[20:21], 2
	s_delay_alu instid0(VALU_DEP_1) | instskip(SKIP_2) | instid1(SALU_CYCLE_1)
	v_lshl_add_u32 v1, v0, 8, v1
	s_add_nc_u64 s[18:19], s[18:19], s[20:21]
	s_lshl_b64 s[20:21], s[12:13], 2
	s_add_nc_u64 s[18:19], s[18:19], s[20:21]
	global_load_b64 v[2:3], v4, s[18:19] scale_offset
	s_wait_loadcnt 0x0
	ds_store_b64 v1, v[2:3]
.LBB197_4:
	s_wait_xcnt 0x0
	s_or_b32 exec_lo, exec_lo, s5
	s_wait_kmcnt 0x0
	s_add_co_i32 s5, s25, 15
	s_load_b32 s6, s[0:1], 0x38
	s_ashr_i32 s8, s5, 31
	s_xor_b32 s3, s3, s7
	s_lshr_b32 s7, s8, 28
	s_mul_i32 s8, s15, s16
	s_add_co_i32 s5, s5, s7
	s_sub_co_i32 s4, s4, s8
	s_ashr_i32 s13, s5, 4
	s_add_co_i32 s5, s15, 1
	s_sub_co_i32 s7, s4, s16
	s_cmp_ge_u32 s4, s16
	v_lshrrev_b32_e32 v1, 5, v4
	s_cselect_b32 s5, s5, s15
	s_cselect_b32 s4, s7, s4
	s_add_co_i32 s7, s5, 1
	s_cmp_ge_u32 s4, s16
	v_mbcnt_lo_u32_b32 v10, -1, 0
	s_cselect_b32 s4, s7, s5
	s_wait_storecnt_dscnt 0x0
	s_xor_b32 s4, s4, s3
	s_wait_kmcnt 0x0
	s_mul_i32 s14, s6, s24
	s_sub_co_i32 s18, s4, s3
	v_cmp_gt_i32_e64 s3, s13, v1
	s_ashr_i32 s15, s14, 31
	s_mov_b32 s4, exec_lo
	s_barrier_signal -1
	scratch_store_b32 off, v1, off offset:316 ; 4-byte Folded Spill
	s_barrier_wait -1
	s_wait_storecnt 0x0
                                        ; implicit-def: $vgpr67
                                        ; implicit-def: $vgpr8
	s_wait_xcnt 0x0
	v_cmpx_le_i32_e64 s13, v1
	s_xor_b32 s4, exec_lo, s4
; %bb.5:
	v_dual_mov_b32 v67, 0 :: v_dual_mov_b32 v8, 32
	v_mbcnt_lo_u32_b32 v10, -1, 0
                                        ; implicit-def: $vgpr0
; %bb.6:
	s_or_saveexec_b32 s27, s4
	s_clause 0x2
	s_load_b32 s8, s[0:1], 0x88
	s_load_b64 s[16:17], s[0:1], 0x28
	s_load_b128 s[4:7], s[0:1], 0x58
	scratch_load_b32 v1, off, off offset:312 ; 4-byte Folded Reload
	v_mov_b32_e32 v3, 0xff7fffff
	s_mul_i32 s18, s18, s10
	s_wait_loadcnt 0x0
	v_lshrrev_b32_e32 v26, 3, v1
	s_xor_b32 exec_lo, exec_lo, s27
	s_cbranch_execz .LBB197_524
; %bb.7:
	s_clause 0x1
	scratch_load_b32 v1, off, off offset:312
	scratch_load_b32 v84, off, off offset:316
	v_dual_mov_b32 v67, 0 :: v_dual_lshlrev_b32 v4, 8, v0
	s_load_b64 s[28:29], s[0:1], 0x10
	s_ashr_i32 s19, s18, 31
	s_wait_kmcnt 0x0
	s_load_b32 s20, s[4:5], 0x0
	ds_load_b128 v[6:9], v4
	s_cmp_neq_f32 s26, 0
	s_mov_b32 s10, s9
	s_clause 0x1
	scratch_store_b32 off, v26, off offset:324
	scratch_store_b32 off, v10, off offset:328
	s_add_nc_u64 s[4:5], s[28:29], s[18:19]
	s_mov_b32 s19, 0
	s_wait_kmcnt 0x0
	s_mov_b32 s21, s20
	s_wait_loadcnt 0x1
	v_bfe_u32 v1, v1, 1, 4
	s_delay_alu instid0(VALU_DEP_1) | instskip(NEXT) | instid1(VALU_DEP_1)
	v_dual_lshlrev_b32 v66, 4, v1 :: v_dual_bitop2_b32 v2, 1, v10 bitop3:0x14
	v_cmp_gt_i32_e32 vcc_lo, 32, v2
	s_wait_loadcnt 0x0
	v_lshl_or_b32 v72, v84, 4, v1
	v_cndmask_b32_e32 v5, v10, v2, vcc_lo
	v_add_nc_u64_e32 v[2:3], s[4:5], v[66:67]
	v_lshlrev_b32_e32 v66, 1, v0
	s_cselect_b32 s4, -1, 0
	s_lshl_b64 s[28:29], s[14:15], 2
	v_lshlrev_b32_e32 v5, 2, v5
	s_wait_dscnt 0x0
	scratch_store_b128 off, v[6:9], off offset:44 ; 16-byte Folded Spill
	s_wait_xcnt 0x0
	ds_load_b128 v[6:9], v4 offset:16
	v_add_nc_u64_e32 v[2:3], v[2:3], v[66:67]
	v_and_b32_e32 v66, 0x7c, v26
	v_cmp_eq_u32_e32 vcc_lo, 0, v0
	s_add_nc_u64 s[28:29], s[16:17], s[28:29]
	s_delay_alu instid0(VALU_DEP_2) | instid1(SALU_CYCLE_1)
	v_add_nc_u64_e32 v[70:71], s[28:29], v[66:67]
	s_sub_co_i32 s28, 1, s25
	scratch_store_b64 off, v[2:3], off offset:304 ; 8-byte Folded Spill
	s_wait_dscnt 0x0
	scratch_store_b128 off, v[6:9], off offset:60 ; 16-byte Folded Spill
	s_wait_xcnt 0x0
	ds_load_b128 v[6:9], v4 offset:32
	scratch_store_b32 off, v22, off offset:320 ; 4-byte Folded Spill
	s_wait_dscnt 0x0
	scratch_store_b128 off, v[6:9], off offset:76 ; 16-byte Folded Spill
	s_wait_xcnt 0x0
	ds_load_b128 v[6:9], v4 offset:48
	s_wait_dscnt 0x0
	scratch_store_b128 off, v[6:9], off offset:92 ; 16-byte Folded Spill
	s_wait_xcnt 0x0
	ds_load_b128 v[6:9], v4 offset:64
	;; [unrolled: 4-line block ×13, first 2 shown]
	v_lshlrev_b32_e32 v4, 2, v1
	s_delay_alu instid0(VALU_DEP_1) | instskip(NEXT) | instid1(VALU_DEP_1)
	v_lshl_or_b32 v0, v84, 6, v4
	v_add_nc_u32_e32 v73, 0x220, v0
	v_mov_b32_e32 v0, 0xff7fffff
	s_clause 0x1
	scratch_store_b32 off, v5, off offset:300
	scratch_store_b32 off, v0, off offset:40
	s_wait_dscnt 0x0
	scratch_store_b128 off, v[6:9], off offset:284 ; 16-byte Folded Spill
	s_branch .LBB197_9
.LBB197_8:                              ;   in Loop: Header=BB197_9 Depth=1
	s_wait_xcnt 0x0
	s_or_b32 exec_lo, exec_lo, s29
	v_add_nc_u32_e32 v84, 4, v84
	v_add_nc_u64_e32 v[70:71], 16, v[70:71]
	v_add_nc_u32_e32 v72, 64, v72
	v_add_nc_u32_e32 v73, 0x100, v73
	s_delay_alu instid0(VALU_DEP_4) | instskip(SKIP_1) | instid1(SALU_CYCLE_1)
	v_cmp_le_i32_e64 s5, s13, v84
	s_or_b32 s19, s5, s19
	s_and_not1_b32 exec_lo, exec_lo, s19
	s_cbranch_execz .LBB197_523
.LBB197_9:                              ; =>This Inner Loop Header: Depth=1
	global_load_b32 v0, v[70:71], off
	scratch_load_b64 v[2:3], off, off offset:304 ; 8-byte Folded Reload
	v_mov_b64_e32 v[88:89], 0
	s_mov_b32 s29, exec_lo
	s_wait_loadcnt 0x0
	v_mad_nc_i64_i32 v[80:81], v0, s10, v[2:3]
	v_mov_b64_e32 v[2:3], 0
	scratch_store_b64 off, v[2:3], off      ; 8-byte Folded Spill
	global_load_u16 v0, v[80:81], off
	s_wait_loadcnt_dscnt 0x0
	v_and_b32_e32 v1, 0xff, v0
	v_and_b32_e32 v0, 0xffff, v0
	s_wait_xcnt 0x0
	s_delay_alu instid0(VALU_DEP_2)
	v_cmpx_ne_u16_e32 0, v1
	s_cbranch_execz .LBB197_17
; %bb.10:                               ;   in Loop: Header=BB197_9 Depth=1
	v_mov_b64_e32 v[2:3], 0x80000000
	v_and_b32_e32 v1, 0xff, v0
	s_mov_b32 s30, exec_lo
	scratch_store_b64 off, v[2:3], off      ; 8-byte Folded Spill
	s_wait_xcnt 0x0
	v_cmpx_ne_u16_e32 0x80, v1
	s_cbranch_execz .LBB197_16
; %bb.11:                               ;   in Loop: Header=BB197_9 Depth=1
	v_mov_b64_e32 v[4:5], 0x7f800001
	v_and_b32_e32 v2, 0x7f, v0
	s_mov_b32 s31, exec_lo
	scratch_store_b64 off, v[4:5], off      ; 8-byte Folded Spill
	s_wait_xcnt 0x0
	v_cmpx_ne_u32_e32 0x7f, v2
	s_cbranch_execz .LBB197_15
; %bb.12:                               ;   in Loop: Header=BB197_9 Depth=1
	v_dual_lshrrev_b32 v1, 3, v2 :: v_dual_bitop2_b32 v66, 7, v0 bitop3:0x40
	s_mov_b32 s33, exec_lo
	v_cmpx_gt_u32_e32 8, v2
; %bb.13:                               ;   in Loop: Header=BB197_9 Depth=1
	s_delay_alu instid0(VALU_DEP_2) | instskip(NEXT) | instid1(VALU_DEP_1)
	v_clz_i32_u32_e32 v1, v66
	v_min_u32_e32 v1, 32, v1
	s_delay_alu instid0(VALU_DEP_1) | instskip(NEXT) | instid1(VALU_DEP_1)
	v_subrev_nc_u32_e32 v2, 28, v1
	v_lshlrev_b64_e32 v[2:3], v2, v[66:67]
	s_delay_alu instid0(VALU_DEP_1)
	v_dual_sub_nc_u32 v1, 29, v1 :: v_dual_bitop2_b32 v66, 7, v2 bitop3:0x40
; %bb.14:                               ;   in Loop: Header=BB197_9 Depth=1
	s_or_b32 exec_lo, exec_lo, s33
	s_delay_alu instid0(VALU_DEP_1) | instskip(NEXT) | instid1(VALU_DEP_2)
	v_dual_lshlrev_b32 v2, 24, v0 :: v_dual_lshlrev_b32 v3, 20, v66
	v_lshl_add_u32 v1, v1, 23, 0x3c000000
	s_delay_alu instid0(VALU_DEP_2) | instskip(NEXT) | instid1(VALU_DEP_1)
	v_and_b32_e32 v2, 0x80000000, v2
	v_or3_b32 v66, v3, v2, v1
	scratch_store_b64 off, v[66:67], off    ; 8-byte Folded Spill
.LBB197_15:                             ;   in Loop: Header=BB197_9 Depth=1
	s_wait_xcnt 0x0
	s_or_b32 exec_lo, exec_lo, s31
.LBB197_16:                             ;   in Loop: Header=BB197_9 Depth=1
	s_delay_alu instid0(SALU_CYCLE_1)
	s_or_b32 exec_lo, exec_lo, s30
.LBB197_17:                             ;   in Loop: Header=BB197_9 Depth=1
	s_delay_alu instid0(SALU_CYCLE_1) | instskip(SKIP_2) | instid1(VALU_DEP_1)
	s_or_b32 exec_lo, exec_lo, s29
	v_lshrrev_b16 v1, 8, v0
	s_mov_b32 s29, exec_lo
	v_cmpx_ne_u16_e32 0, v1
	s_cbranch_execz .LBB197_25
; %bb.18:                               ;   in Loop: Header=BB197_9 Depth=1
	v_mov_b64_e32 v[88:89], 0x8000000000000000
	s_mov_b32 s30, exec_lo
	v_cmpx_ne_u16_e32 0x80, v1
	s_cbranch_execz .LBB197_24
; %bb.19:                               ;   in Loop: Header=BB197_9 Depth=1
	v_and_b32_e32 v1, 0xffff, v1
	v_mov_b64_e32 v[88:89], 0x7f80000100000000
	s_mov_b32 s31, exec_lo
	s_delay_alu instid0(VALU_DEP_2) | instskip(NEXT) | instid1(VALU_DEP_1)
	v_and_b32_e32 v2, 0x7f, v1
	v_cmpx_ne_u32_e32 0x7f, v2
	s_cbranch_execz .LBB197_23
; %bb.20:                               ;   in Loop: Header=BB197_9 Depth=1
	v_dual_lshrrev_b32 v1, 3, v2 :: v_dual_bitop2_b32 v66, 7, v1 bitop3:0x40
	s_mov_b32 s33, exec_lo
	v_cmpx_gt_u32_e32 8, v2
; %bb.21:                               ;   in Loop: Header=BB197_9 Depth=1
	s_delay_alu instid0(VALU_DEP_2) | instskip(NEXT) | instid1(VALU_DEP_1)
	v_clz_i32_u32_e32 v1, v66
	v_min_u32_e32 v1, 32, v1
	s_delay_alu instid0(VALU_DEP_1) | instskip(NEXT) | instid1(VALU_DEP_1)
	v_subrev_nc_u32_e32 v2, 28, v1
	v_lshlrev_b64_e32 v[2:3], v2, v[66:67]
	s_delay_alu instid0(VALU_DEP_1)
	v_dual_sub_nc_u32 v1, 29, v1 :: v_dual_bitop2_b32 v66, 7, v2 bitop3:0x40
; %bb.22:                               ;   in Loop: Header=BB197_9 Depth=1
	s_or_b32 exec_lo, exec_lo, s33
	s_delay_alu instid0(VALU_DEP_1) | instskip(NEXT) | instid1(VALU_DEP_2)
	v_dual_lshlrev_b32 v0, 16, v0 :: v_dual_lshlrev_b32 v2, 20, v66
	v_lshl_add_u32 v1, v1, 23, 0x3c000000
	v_mov_b32_e32 v88, v67
	s_delay_alu instid0(VALU_DEP_3) | instskip(NEXT) | instid1(VALU_DEP_1)
	v_and_b32_e32 v0, 0x80000000, v0
	v_or3_b32 v89, v2, v0, v1
.LBB197_23:                             ;   in Loop: Header=BB197_9 Depth=1
	s_or_b32 exec_lo, exec_lo, s31
.LBB197_24:                             ;   in Loop: Header=BB197_9 Depth=1
	s_delay_alu instid0(SALU_CYCLE_1)
	s_or_b32 exec_lo, exec_lo, s30
.LBB197_25:                             ;   in Loop: Header=BB197_9 Depth=1
	s_delay_alu instid0(SALU_CYCLE_1)
	s_or_b32 exec_lo, exec_lo, s29
	global_load_u16 v0, v[80:81], off offset:4
	v_mov_b64_e32 v[2:3], 0
	s_mov_b32 s29, exec_lo
	scratch_store_b64 off, v[2:3], off offset:8 ; 8-byte Folded Spill
	s_wait_xcnt 0x0
	v_mov_b64_e32 v[2:3], 0
	scratch_store_b64 off, v[2:3], off offset:16 ; 8-byte Folded Spill
	s_wait_loadcnt 0x0
	v_and_b32_e32 v1, 0xff, v0
	v_and_b32_e32 v0, 0xffff, v0
	s_wait_xcnt 0x0
	s_delay_alu instid0(VALU_DEP_2)
	v_cmpx_ne_u16_e32 0, v1
	s_cbranch_execz .LBB197_33
; %bb.26:                               ;   in Loop: Header=BB197_9 Depth=1
	v_mov_b64_e32 v[2:3], 0x80000000
	v_and_b32_e32 v1, 0xff, v0
	s_mov_b32 s30, exec_lo
	scratch_store_b64 off, v[2:3], off offset:16 ; 8-byte Folded Spill
	s_wait_xcnt 0x0
	v_cmpx_ne_u16_e32 0x80, v1
	s_cbranch_execz .LBB197_32
; %bb.27:                               ;   in Loop: Header=BB197_9 Depth=1
	v_mov_b64_e32 v[4:5], 0x7f800001
	v_and_b32_e32 v2, 0x7f, v0
	s_mov_b32 s31, exec_lo
	scratch_store_b64 off, v[4:5], off offset:16 ; 8-byte Folded Spill
	s_wait_xcnt 0x0
	v_cmpx_ne_u32_e32 0x7f, v2
	s_cbranch_execz .LBB197_31
; %bb.28:                               ;   in Loop: Header=BB197_9 Depth=1
	v_dual_lshrrev_b32 v1, 3, v2 :: v_dual_bitop2_b32 v66, 7, v0 bitop3:0x40
	s_mov_b32 s33, exec_lo
	v_cmpx_gt_u32_e32 8, v2
; %bb.29:                               ;   in Loop: Header=BB197_9 Depth=1
	s_delay_alu instid0(VALU_DEP_2) | instskip(NEXT) | instid1(VALU_DEP_1)
	v_clz_i32_u32_e32 v1, v66
	v_min_u32_e32 v1, 32, v1
	s_delay_alu instid0(VALU_DEP_1) | instskip(NEXT) | instid1(VALU_DEP_1)
	v_subrev_nc_u32_e32 v2, 28, v1
	v_lshlrev_b64_e32 v[2:3], v2, v[66:67]
	s_delay_alu instid0(VALU_DEP_1)
	v_dual_sub_nc_u32 v1, 29, v1 :: v_dual_bitop2_b32 v66, 7, v2 bitop3:0x40
; %bb.30:                               ;   in Loop: Header=BB197_9 Depth=1
	s_or_b32 exec_lo, exec_lo, s33
	s_delay_alu instid0(VALU_DEP_1) | instskip(NEXT) | instid1(VALU_DEP_2)
	v_dual_lshlrev_b32 v2, 24, v0 :: v_dual_lshlrev_b32 v3, 20, v66
	v_lshl_add_u32 v1, v1, 23, 0x3c000000
	s_delay_alu instid0(VALU_DEP_2) | instskip(NEXT) | instid1(VALU_DEP_1)
	v_and_b32_e32 v2, 0x80000000, v2
	v_or3_b32 v66, v3, v2, v1
	scratch_store_b64 off, v[66:67], off offset:16 ; 8-byte Folded Spill
.LBB197_31:                             ;   in Loop: Header=BB197_9 Depth=1
	s_wait_xcnt 0x0
	s_or_b32 exec_lo, exec_lo, s31
.LBB197_32:                             ;   in Loop: Header=BB197_9 Depth=1
	s_delay_alu instid0(SALU_CYCLE_1)
	s_or_b32 exec_lo, exec_lo, s30
.LBB197_33:                             ;   in Loop: Header=BB197_9 Depth=1
	s_delay_alu instid0(SALU_CYCLE_1) | instskip(SKIP_2) | instid1(VALU_DEP_1)
	s_or_b32 exec_lo, exec_lo, s29
	v_lshrrev_b16 v1, 8, v0
	s_mov_b32 s29, exec_lo
	v_cmpx_ne_u16_e32 0, v1
	s_cbranch_execz .LBB197_41
; %bb.34:                               ;   in Loop: Header=BB197_9 Depth=1
	v_mov_b64_e32 v[2:3], 0x8000000000000000
	s_mov_b32 s30, exec_lo
	scratch_store_b64 off, v[2:3], off offset:8 ; 8-byte Folded Spill
	s_wait_xcnt 0x0
	v_cmpx_ne_u16_e32 0x80, v1
	s_cbranch_execz .LBB197_40
; %bb.35:                               ;   in Loop: Header=BB197_9 Depth=1
	v_and_b32_e32 v1, 0xffff, v1
	v_mov_b64_e32 v[4:5], 0x7f80000100000000
	s_mov_b32 s31, exec_lo
	s_delay_alu instid0(VALU_DEP_2)
	v_and_b32_e32 v2, 0x7f, v1
	scratch_store_b64 off, v[4:5], off offset:8 ; 8-byte Folded Spill
	s_wait_xcnt 0x0
	v_cmpx_ne_u32_e32 0x7f, v2
	s_cbranch_execz .LBB197_39
; %bb.36:                               ;   in Loop: Header=BB197_9 Depth=1
	v_dual_lshrrev_b32 v1, 3, v2 :: v_dual_bitop2_b32 v66, 7, v1 bitop3:0x40
	s_mov_b32 s33, exec_lo
	v_cmpx_gt_u32_e32 8, v2
; %bb.37:                               ;   in Loop: Header=BB197_9 Depth=1
	s_delay_alu instid0(VALU_DEP_2) | instskip(NEXT) | instid1(VALU_DEP_1)
	v_clz_i32_u32_e32 v1, v66
	v_min_u32_e32 v1, 32, v1
	s_delay_alu instid0(VALU_DEP_1) | instskip(NEXT) | instid1(VALU_DEP_1)
	v_subrev_nc_u32_e32 v2, 28, v1
	v_lshlrev_b64_e32 v[2:3], v2, v[66:67]
	s_delay_alu instid0(VALU_DEP_1)
	v_dual_sub_nc_u32 v1, 29, v1 :: v_dual_bitop2_b32 v66, 7, v2 bitop3:0x40
; %bb.38:                               ;   in Loop: Header=BB197_9 Depth=1
	s_or_b32 exec_lo, exec_lo, s33
	s_delay_alu instid0(VALU_DEP_1) | instskip(NEXT) | instid1(VALU_DEP_2)
	v_dual_lshlrev_b32 v0, 16, v0 :: v_dual_lshlrev_b32 v2, 20, v66
	v_lshl_add_u32 v1, v1, 23, 0x3c000000
	s_delay_alu instid0(VALU_DEP_2) | instskip(NEXT) | instid1(VALU_DEP_1)
	v_and_b32_e32 v0, 0x80000000, v0
	v_or3_b32 v1, v2, v0, v1
	v_mov_b32_e32 v0, v67
	scratch_store_b64 off, v[0:1], off offset:8 ; 8-byte Folded Spill
.LBB197_39:                             ;   in Loop: Header=BB197_9 Depth=1
	s_wait_xcnt 0x0
	s_or_b32 exec_lo, exec_lo, s31
.LBB197_40:                             ;   in Loop: Header=BB197_9 Depth=1
	s_delay_alu instid0(SALU_CYCLE_1)
	s_or_b32 exec_lo, exec_lo, s30
.LBB197_41:                             ;   in Loop: Header=BB197_9 Depth=1
	s_delay_alu instid0(SALU_CYCLE_1)
	s_or_b32 exec_lo, exec_lo, s29
	global_load_u16 v0, v[80:81], off offset:8
	v_mov_b64_e32 v[82:83], 0
	v_mov_b64_e32 v[2:3], 0
	s_mov_b32 s29, exec_lo
	scratch_store_b64 off, v[2:3], off offset:24 ; 8-byte Folded Spill
	s_wait_loadcnt 0x0
	v_and_b32_e32 v1, 0xff, v0
	v_and_b32_e32 v0, 0xffff, v0
	s_wait_xcnt 0x0
	s_delay_alu instid0(VALU_DEP_2)
	v_cmpx_ne_u16_e32 0, v1
	s_cbranch_execz .LBB197_49
; %bb.42:                               ;   in Loop: Header=BB197_9 Depth=1
	v_mov_b64_e32 v[2:3], 0x80000000
	v_and_b32_e32 v1, 0xff, v0
	s_mov_b32 s30, exec_lo
	scratch_store_b64 off, v[2:3], off offset:24 ; 8-byte Folded Spill
	s_wait_xcnt 0x0
	v_cmpx_ne_u16_e32 0x80, v1
	s_cbranch_execz .LBB197_48
; %bb.43:                               ;   in Loop: Header=BB197_9 Depth=1
	v_mov_b64_e32 v[4:5], 0x7f800001
	v_and_b32_e32 v2, 0x7f, v0
	s_mov_b32 s31, exec_lo
	scratch_store_b64 off, v[4:5], off offset:24 ; 8-byte Folded Spill
	s_wait_xcnt 0x0
	v_cmpx_ne_u32_e32 0x7f, v2
	s_cbranch_execz .LBB197_47
; %bb.44:                               ;   in Loop: Header=BB197_9 Depth=1
	v_dual_lshrrev_b32 v1, 3, v2 :: v_dual_bitop2_b32 v66, 7, v0 bitop3:0x40
	s_mov_b32 s33, exec_lo
	v_cmpx_gt_u32_e32 8, v2
; %bb.45:                               ;   in Loop: Header=BB197_9 Depth=1
	s_delay_alu instid0(VALU_DEP_2) | instskip(NEXT) | instid1(VALU_DEP_1)
	v_clz_i32_u32_e32 v1, v66
	v_min_u32_e32 v1, 32, v1
	s_delay_alu instid0(VALU_DEP_1) | instskip(NEXT) | instid1(VALU_DEP_1)
	v_subrev_nc_u32_e32 v2, 28, v1
	v_lshlrev_b64_e32 v[2:3], v2, v[66:67]
	s_delay_alu instid0(VALU_DEP_1)
	v_dual_sub_nc_u32 v1, 29, v1 :: v_dual_bitop2_b32 v66, 7, v2 bitop3:0x40
; %bb.46:                               ;   in Loop: Header=BB197_9 Depth=1
	s_or_b32 exec_lo, exec_lo, s33
	s_delay_alu instid0(VALU_DEP_1) | instskip(NEXT) | instid1(VALU_DEP_2)
	v_dual_lshlrev_b32 v2, 24, v0 :: v_dual_lshlrev_b32 v3, 20, v66
	v_lshl_add_u32 v1, v1, 23, 0x3c000000
	s_delay_alu instid0(VALU_DEP_2) | instskip(NEXT) | instid1(VALU_DEP_1)
	v_and_b32_e32 v2, 0x80000000, v2
	v_or3_b32 v66, v3, v2, v1
	scratch_store_b64 off, v[66:67], off offset:24 ; 8-byte Folded Spill
.LBB197_47:                             ;   in Loop: Header=BB197_9 Depth=1
	s_wait_xcnt 0x0
	s_or_b32 exec_lo, exec_lo, s31
.LBB197_48:                             ;   in Loop: Header=BB197_9 Depth=1
	s_delay_alu instid0(SALU_CYCLE_1)
	s_or_b32 exec_lo, exec_lo, s30
.LBB197_49:                             ;   in Loop: Header=BB197_9 Depth=1
	s_delay_alu instid0(SALU_CYCLE_1) | instskip(SKIP_2) | instid1(VALU_DEP_1)
	s_or_b32 exec_lo, exec_lo, s29
	v_lshrrev_b16 v1, 8, v0
	s_mov_b32 s29, exec_lo
	v_cmpx_ne_u16_e32 0, v1
	s_cbranch_execz .LBB197_57
; %bb.50:                               ;   in Loop: Header=BB197_9 Depth=1
	v_mov_b64_e32 v[82:83], 0x8000000000000000
	s_mov_b32 s30, exec_lo
	v_cmpx_ne_u16_e32 0x80, v1
	s_cbranch_execz .LBB197_56
; %bb.51:                               ;   in Loop: Header=BB197_9 Depth=1
	v_and_b32_e32 v1, 0xffff, v1
	v_mov_b64_e32 v[82:83], 0x7f80000100000000
	s_mov_b32 s31, exec_lo
	s_delay_alu instid0(VALU_DEP_2) | instskip(NEXT) | instid1(VALU_DEP_1)
	v_and_b32_e32 v2, 0x7f, v1
	v_cmpx_ne_u32_e32 0x7f, v2
	s_cbranch_execz .LBB197_55
; %bb.52:                               ;   in Loop: Header=BB197_9 Depth=1
	v_dual_lshrrev_b32 v1, 3, v2 :: v_dual_bitop2_b32 v66, 7, v1 bitop3:0x40
	s_mov_b32 s33, exec_lo
	v_cmpx_gt_u32_e32 8, v2
; %bb.53:                               ;   in Loop: Header=BB197_9 Depth=1
	s_delay_alu instid0(VALU_DEP_2) | instskip(NEXT) | instid1(VALU_DEP_1)
	v_clz_i32_u32_e32 v1, v66
	v_min_u32_e32 v1, 32, v1
	s_delay_alu instid0(VALU_DEP_1) | instskip(NEXT) | instid1(VALU_DEP_1)
	v_subrev_nc_u32_e32 v2, 28, v1
	v_lshlrev_b64_e32 v[2:3], v2, v[66:67]
	s_delay_alu instid0(VALU_DEP_1)
	v_dual_sub_nc_u32 v1, 29, v1 :: v_dual_bitop2_b32 v66, 7, v2 bitop3:0x40
; %bb.54:                               ;   in Loop: Header=BB197_9 Depth=1
	s_or_b32 exec_lo, exec_lo, s33
	s_delay_alu instid0(VALU_DEP_1) | instskip(NEXT) | instid1(VALU_DEP_2)
	v_dual_lshlrev_b32 v0, 16, v0 :: v_dual_lshlrev_b32 v2, 20, v66
	v_lshl_add_u32 v1, v1, 23, 0x3c000000
	v_mov_b32_e32 v82, v67
	s_delay_alu instid0(VALU_DEP_3) | instskip(NEXT) | instid1(VALU_DEP_1)
	v_and_b32_e32 v0, 0x80000000, v0
	v_or3_b32 v83, v2, v0, v1
.LBB197_55:                             ;   in Loop: Header=BB197_9 Depth=1
	s_or_b32 exec_lo, exec_lo, s31
.LBB197_56:                             ;   in Loop: Header=BB197_9 Depth=1
	s_delay_alu instid0(SALU_CYCLE_1)
	s_or_b32 exec_lo, exec_lo, s30
.LBB197_57:                             ;   in Loop: Header=BB197_9 Depth=1
	s_delay_alu instid0(SALU_CYCLE_1)
	s_or_b32 exec_lo, exec_lo, s29
	global_load_u16 v0, v[80:81], off offset:12
	v_mov_b64_e32 v[86:87], 0
	v_mov_b64_e32 v[2:3], 0
	s_mov_b32 s29, exec_lo
	scratch_store_b64 off, v[2:3], off offset:32 ; 8-byte Folded Spill
	s_wait_loadcnt 0x0
	v_and_b32_e32 v1, 0xff, v0
	v_and_b32_e32 v0, 0xffff, v0
	s_wait_xcnt 0x0
	s_delay_alu instid0(VALU_DEP_2)
	v_cmpx_ne_u16_e32 0, v1
	s_cbranch_execz .LBB197_65
; %bb.58:                               ;   in Loop: Header=BB197_9 Depth=1
	v_mov_b64_e32 v[2:3], 0x80000000
	v_and_b32_e32 v1, 0xff, v0
	s_mov_b32 s30, exec_lo
	scratch_store_b64 off, v[2:3], off offset:32 ; 8-byte Folded Spill
	s_wait_xcnt 0x0
	v_cmpx_ne_u16_e32 0x80, v1
	s_cbranch_execz .LBB197_64
; %bb.59:                               ;   in Loop: Header=BB197_9 Depth=1
	v_mov_b64_e32 v[4:5], 0x7f800001
	v_and_b32_e32 v2, 0x7f, v0
	s_mov_b32 s31, exec_lo
	scratch_store_b64 off, v[4:5], off offset:32 ; 8-byte Folded Spill
	s_wait_xcnt 0x0
	v_cmpx_ne_u32_e32 0x7f, v2
	s_cbranch_execz .LBB197_63
; %bb.60:                               ;   in Loop: Header=BB197_9 Depth=1
	v_dual_lshrrev_b32 v1, 3, v2 :: v_dual_bitop2_b32 v66, 7, v0 bitop3:0x40
	s_mov_b32 s33, exec_lo
	v_cmpx_gt_u32_e32 8, v2
; %bb.61:                               ;   in Loop: Header=BB197_9 Depth=1
	s_delay_alu instid0(VALU_DEP_2) | instskip(NEXT) | instid1(VALU_DEP_1)
	v_clz_i32_u32_e32 v1, v66
	v_min_u32_e32 v1, 32, v1
	s_delay_alu instid0(VALU_DEP_1) | instskip(NEXT) | instid1(VALU_DEP_1)
	v_subrev_nc_u32_e32 v2, 28, v1
	v_lshlrev_b64_e32 v[2:3], v2, v[66:67]
	s_delay_alu instid0(VALU_DEP_1)
	v_dual_sub_nc_u32 v1, 29, v1 :: v_dual_bitop2_b32 v66, 7, v2 bitop3:0x40
; %bb.62:                               ;   in Loop: Header=BB197_9 Depth=1
	s_or_b32 exec_lo, exec_lo, s33
	s_delay_alu instid0(VALU_DEP_1) | instskip(NEXT) | instid1(VALU_DEP_2)
	v_dual_lshlrev_b32 v2, 24, v0 :: v_dual_lshlrev_b32 v3, 20, v66
	v_lshl_add_u32 v1, v1, 23, 0x3c000000
	s_delay_alu instid0(VALU_DEP_2) | instskip(NEXT) | instid1(VALU_DEP_1)
	v_and_b32_e32 v2, 0x80000000, v2
	v_or3_b32 v66, v3, v2, v1
	scratch_store_b64 off, v[66:67], off offset:32 ; 8-byte Folded Spill
.LBB197_63:                             ;   in Loop: Header=BB197_9 Depth=1
	s_wait_xcnt 0x0
	s_or_b32 exec_lo, exec_lo, s31
.LBB197_64:                             ;   in Loop: Header=BB197_9 Depth=1
	s_delay_alu instid0(SALU_CYCLE_1)
	s_or_b32 exec_lo, exec_lo, s30
.LBB197_65:                             ;   in Loop: Header=BB197_9 Depth=1
	s_delay_alu instid0(SALU_CYCLE_1) | instskip(SKIP_2) | instid1(VALU_DEP_1)
	s_or_b32 exec_lo, exec_lo, s29
	v_lshrrev_b16 v1, 8, v0
	s_mov_b32 s29, exec_lo
	v_cmpx_ne_u16_e32 0, v1
	s_cbranch_execz .LBB197_73
; %bb.66:                               ;   in Loop: Header=BB197_9 Depth=1
	v_mov_b64_e32 v[86:87], 0x8000000000000000
	s_mov_b32 s30, exec_lo
	v_cmpx_ne_u16_e32 0x80, v1
	s_cbranch_execz .LBB197_72
; %bb.67:                               ;   in Loop: Header=BB197_9 Depth=1
	v_and_b32_e32 v1, 0xffff, v1
	v_mov_b64_e32 v[86:87], 0x7f80000100000000
	s_mov_b32 s31, exec_lo
	s_delay_alu instid0(VALU_DEP_2) | instskip(NEXT) | instid1(VALU_DEP_1)
	v_and_b32_e32 v2, 0x7f, v1
	v_cmpx_ne_u32_e32 0x7f, v2
	s_cbranch_execz .LBB197_71
; %bb.68:                               ;   in Loop: Header=BB197_9 Depth=1
	v_dual_lshrrev_b32 v1, 3, v2 :: v_dual_bitop2_b32 v66, 7, v1 bitop3:0x40
	s_mov_b32 s33, exec_lo
	v_cmpx_gt_u32_e32 8, v2
; %bb.69:                               ;   in Loop: Header=BB197_9 Depth=1
	s_delay_alu instid0(VALU_DEP_2) | instskip(NEXT) | instid1(VALU_DEP_1)
	v_clz_i32_u32_e32 v1, v66
	v_min_u32_e32 v1, 32, v1
	s_delay_alu instid0(VALU_DEP_1) | instskip(NEXT) | instid1(VALU_DEP_1)
	v_subrev_nc_u32_e32 v2, 28, v1
	v_lshlrev_b64_e32 v[2:3], v2, v[66:67]
	s_delay_alu instid0(VALU_DEP_1)
	v_dual_sub_nc_u32 v1, 29, v1 :: v_dual_bitop2_b32 v66, 7, v2 bitop3:0x40
; %bb.70:                               ;   in Loop: Header=BB197_9 Depth=1
	s_or_b32 exec_lo, exec_lo, s33
	s_delay_alu instid0(VALU_DEP_1) | instskip(NEXT) | instid1(VALU_DEP_2)
	v_dual_lshlrev_b32 v0, 16, v0 :: v_dual_lshlrev_b32 v2, 20, v66
	v_lshl_add_u32 v1, v1, 23, 0x3c000000
	v_mov_b32_e32 v86, v67
	s_delay_alu instid0(VALU_DEP_3) | instskip(NEXT) | instid1(VALU_DEP_1)
	v_and_b32_e32 v0, 0x80000000, v0
	v_or3_b32 v87, v2, v0, v1
.LBB197_71:                             ;   in Loop: Header=BB197_9 Depth=1
	s_or_b32 exec_lo, exec_lo, s31
.LBB197_72:                             ;   in Loop: Header=BB197_9 Depth=1
	s_delay_alu instid0(SALU_CYCLE_1)
	s_or_b32 exec_lo, exec_lo, s30
.LBB197_73:                             ;   in Loop: Header=BB197_9 Depth=1
	s_delay_alu instid0(SALU_CYCLE_1)
	s_or_b32 exec_lo, exec_lo, s29
	global_load_u16 v0, v[80:81], off offset:256
	v_mov_b64_e32 v[90:91], 0
	v_mov_b64_e32 v[92:93], 0
	s_mov_b32 s29, exec_lo
	s_wait_loadcnt 0x0
	v_and_b32_e32 v1, 0xff, v0
	v_and_b32_e32 v0, 0xffff, v0
	s_wait_xcnt 0x0
	s_delay_alu instid0(VALU_DEP_2)
	v_cmpx_ne_u16_e32 0, v1
	s_cbranch_execz .LBB197_81
; %bb.74:                               ;   in Loop: Header=BB197_9 Depth=1
	v_mov_b64_e32 v[92:93], 0x80000000
	v_and_b32_e32 v1, 0xff, v0
	s_mov_b32 s30, exec_lo
	s_delay_alu instid0(VALU_DEP_1)
	v_cmpx_ne_u16_e32 0x80, v1
	s_cbranch_execz .LBB197_80
; %bb.75:                               ;   in Loop: Header=BB197_9 Depth=1
	v_mov_b64_e32 v[92:93], 0x7f800001
	v_and_b32_e32 v2, 0x7f, v0
	s_mov_b32 s31, exec_lo
	s_delay_alu instid0(VALU_DEP_1)
	v_cmpx_ne_u32_e32 0x7f, v2
	s_cbranch_execz .LBB197_79
; %bb.76:                               ;   in Loop: Header=BB197_9 Depth=1
	v_dual_lshrrev_b32 v1, 3, v2 :: v_dual_bitop2_b32 v66, 7, v0 bitop3:0x40
	s_mov_b32 s33, exec_lo
	v_cmpx_gt_u32_e32 8, v2
; %bb.77:                               ;   in Loop: Header=BB197_9 Depth=1
	s_delay_alu instid0(VALU_DEP_2) | instskip(NEXT) | instid1(VALU_DEP_1)
	v_clz_i32_u32_e32 v1, v66
	v_min_u32_e32 v1, 32, v1
	s_delay_alu instid0(VALU_DEP_1) | instskip(NEXT) | instid1(VALU_DEP_1)
	v_subrev_nc_u32_e32 v2, 28, v1
	v_lshlrev_b64_e32 v[2:3], v2, v[66:67]
	s_delay_alu instid0(VALU_DEP_1)
	v_dual_sub_nc_u32 v1, 29, v1 :: v_dual_bitop2_b32 v66, 7, v2 bitop3:0x40
; %bb.78:                               ;   in Loop: Header=BB197_9 Depth=1
	s_or_b32 exec_lo, exec_lo, s33
	s_delay_alu instid0(VALU_DEP_1) | instskip(NEXT) | instid1(VALU_DEP_2)
	v_dual_lshlrev_b32 v2, 24, v0 :: v_dual_lshlrev_b32 v3, 20, v66
	v_lshl_add_u32 v1, v1, 23, 0x3c000000
	s_delay_alu instid0(VALU_DEP_2) | instskip(NEXT) | instid1(VALU_DEP_1)
	v_and_b32_e32 v2, 0x80000000, v2
	v_or3_b32 v66, v3, v2, v1
	s_delay_alu instid0(VALU_DEP_1)
	v_mov_b64_e32 v[92:93], v[66:67]
.LBB197_79:                             ;   in Loop: Header=BB197_9 Depth=1
	s_or_b32 exec_lo, exec_lo, s31
.LBB197_80:                             ;   in Loop: Header=BB197_9 Depth=1
	s_delay_alu instid0(SALU_CYCLE_1)
	s_or_b32 exec_lo, exec_lo, s30
.LBB197_81:                             ;   in Loop: Header=BB197_9 Depth=1
	s_delay_alu instid0(SALU_CYCLE_1) | instskip(SKIP_2) | instid1(VALU_DEP_1)
	s_or_b32 exec_lo, exec_lo, s29
	v_lshrrev_b16 v1, 8, v0
	s_mov_b32 s29, exec_lo
	v_cmpx_ne_u16_e32 0, v1
	s_cbranch_execz .LBB197_89
; %bb.82:                               ;   in Loop: Header=BB197_9 Depth=1
	v_mov_b64_e32 v[90:91], 0x8000000000000000
	s_mov_b32 s30, exec_lo
	v_cmpx_ne_u16_e32 0x80, v1
	s_cbranch_execz .LBB197_88
; %bb.83:                               ;   in Loop: Header=BB197_9 Depth=1
	v_and_b32_e32 v1, 0xffff, v1
	v_mov_b64_e32 v[90:91], 0x7f80000100000000
	s_mov_b32 s31, exec_lo
	s_delay_alu instid0(VALU_DEP_2) | instskip(NEXT) | instid1(VALU_DEP_1)
	v_and_b32_e32 v2, 0x7f, v1
	v_cmpx_ne_u32_e32 0x7f, v2
	s_cbranch_execz .LBB197_87
; %bb.84:                               ;   in Loop: Header=BB197_9 Depth=1
	v_dual_lshrrev_b32 v1, 3, v2 :: v_dual_bitop2_b32 v66, 7, v1 bitop3:0x40
	s_mov_b32 s33, exec_lo
	v_cmpx_gt_u32_e32 8, v2
; %bb.85:                               ;   in Loop: Header=BB197_9 Depth=1
	s_delay_alu instid0(VALU_DEP_2) | instskip(NEXT) | instid1(VALU_DEP_1)
	v_clz_i32_u32_e32 v1, v66
	v_min_u32_e32 v1, 32, v1
	s_delay_alu instid0(VALU_DEP_1) | instskip(NEXT) | instid1(VALU_DEP_1)
	v_subrev_nc_u32_e32 v2, 28, v1
	v_lshlrev_b64_e32 v[2:3], v2, v[66:67]
	s_delay_alu instid0(VALU_DEP_1)
	v_dual_sub_nc_u32 v1, 29, v1 :: v_dual_bitop2_b32 v66, 7, v2 bitop3:0x40
; %bb.86:                               ;   in Loop: Header=BB197_9 Depth=1
	s_or_b32 exec_lo, exec_lo, s33
	s_delay_alu instid0(VALU_DEP_1) | instskip(NEXT) | instid1(VALU_DEP_2)
	v_dual_lshlrev_b32 v0, 16, v0 :: v_dual_lshlrev_b32 v2, 20, v66
	v_lshl_add_u32 v1, v1, 23, 0x3c000000
	v_mov_b32_e32 v90, v67
	s_delay_alu instid0(VALU_DEP_3) | instskip(NEXT) | instid1(VALU_DEP_1)
	v_and_b32_e32 v0, 0x80000000, v0
	v_or3_b32 v91, v2, v0, v1
.LBB197_87:                             ;   in Loop: Header=BB197_9 Depth=1
	s_or_b32 exec_lo, exec_lo, s31
.LBB197_88:                             ;   in Loop: Header=BB197_9 Depth=1
	s_delay_alu instid0(SALU_CYCLE_1)
	s_or_b32 exec_lo, exec_lo, s30
.LBB197_89:                             ;   in Loop: Header=BB197_9 Depth=1
	s_delay_alu instid0(SALU_CYCLE_1)
	s_or_b32 exec_lo, exec_lo, s29
	global_load_u16 v0, v[80:81], off offset:260
	v_mov_b64_e32 v[94:95], 0
	v_mov_b64_e32 v[96:97], 0
	s_mov_b32 s29, exec_lo
	s_wait_loadcnt 0x0
	v_and_b32_e32 v1, 0xff, v0
	v_and_b32_e32 v0, 0xffff, v0
	s_wait_xcnt 0x0
	s_delay_alu instid0(VALU_DEP_2)
	v_cmpx_ne_u16_e32 0, v1
	s_cbranch_execz .LBB197_97
; %bb.90:                               ;   in Loop: Header=BB197_9 Depth=1
	v_mov_b64_e32 v[96:97], 0x80000000
	v_and_b32_e32 v1, 0xff, v0
	s_mov_b32 s30, exec_lo
	s_delay_alu instid0(VALU_DEP_1)
	v_cmpx_ne_u16_e32 0x80, v1
	s_cbranch_execz .LBB197_96
; %bb.91:                               ;   in Loop: Header=BB197_9 Depth=1
	v_mov_b64_e32 v[96:97], 0x7f800001
	v_and_b32_e32 v2, 0x7f, v0
	s_mov_b32 s31, exec_lo
	s_delay_alu instid0(VALU_DEP_1)
	v_cmpx_ne_u32_e32 0x7f, v2
	s_cbranch_execz .LBB197_95
; %bb.92:                               ;   in Loop: Header=BB197_9 Depth=1
	v_dual_lshrrev_b32 v1, 3, v2 :: v_dual_bitop2_b32 v66, 7, v0 bitop3:0x40
	s_mov_b32 s33, exec_lo
	v_cmpx_gt_u32_e32 8, v2
; %bb.93:                               ;   in Loop: Header=BB197_9 Depth=1
	s_delay_alu instid0(VALU_DEP_2) | instskip(NEXT) | instid1(VALU_DEP_1)
	v_clz_i32_u32_e32 v1, v66
	v_min_u32_e32 v1, 32, v1
	s_delay_alu instid0(VALU_DEP_1) | instskip(NEXT) | instid1(VALU_DEP_1)
	v_subrev_nc_u32_e32 v2, 28, v1
	v_lshlrev_b64_e32 v[2:3], v2, v[66:67]
	s_delay_alu instid0(VALU_DEP_1)
	v_dual_sub_nc_u32 v1, 29, v1 :: v_dual_bitop2_b32 v66, 7, v2 bitop3:0x40
; %bb.94:                               ;   in Loop: Header=BB197_9 Depth=1
	s_or_b32 exec_lo, exec_lo, s33
	s_delay_alu instid0(VALU_DEP_1) | instskip(NEXT) | instid1(VALU_DEP_2)
	v_dual_lshlrev_b32 v2, 24, v0 :: v_dual_lshlrev_b32 v3, 20, v66
	v_lshl_add_u32 v1, v1, 23, 0x3c000000
	s_delay_alu instid0(VALU_DEP_2) | instskip(NEXT) | instid1(VALU_DEP_1)
	v_and_b32_e32 v2, 0x80000000, v2
	v_or3_b32 v66, v3, v2, v1
	s_delay_alu instid0(VALU_DEP_1)
	v_mov_b64_e32 v[96:97], v[66:67]
.LBB197_95:                             ;   in Loop: Header=BB197_9 Depth=1
	s_or_b32 exec_lo, exec_lo, s31
.LBB197_96:                             ;   in Loop: Header=BB197_9 Depth=1
	s_delay_alu instid0(SALU_CYCLE_1)
	s_or_b32 exec_lo, exec_lo, s30
.LBB197_97:                             ;   in Loop: Header=BB197_9 Depth=1
	s_delay_alu instid0(SALU_CYCLE_1) | instskip(SKIP_2) | instid1(VALU_DEP_1)
	s_or_b32 exec_lo, exec_lo, s29
	v_lshrrev_b16 v1, 8, v0
	s_mov_b32 s29, exec_lo
	v_cmpx_ne_u16_e32 0, v1
	s_cbranch_execz .LBB197_105
; %bb.98:                               ;   in Loop: Header=BB197_9 Depth=1
	v_mov_b64_e32 v[94:95], 0x8000000000000000
	s_mov_b32 s30, exec_lo
	v_cmpx_ne_u16_e32 0x80, v1
	s_cbranch_execz .LBB197_104
; %bb.99:                               ;   in Loop: Header=BB197_9 Depth=1
	v_and_b32_e32 v1, 0xffff, v1
	v_mov_b64_e32 v[94:95], 0x7f80000100000000
	s_mov_b32 s31, exec_lo
	s_delay_alu instid0(VALU_DEP_2) | instskip(NEXT) | instid1(VALU_DEP_1)
	v_and_b32_e32 v2, 0x7f, v1
	v_cmpx_ne_u32_e32 0x7f, v2
	s_cbranch_execz .LBB197_103
; %bb.100:                              ;   in Loop: Header=BB197_9 Depth=1
	v_dual_lshrrev_b32 v1, 3, v2 :: v_dual_bitop2_b32 v66, 7, v1 bitop3:0x40
	s_mov_b32 s33, exec_lo
	v_cmpx_gt_u32_e32 8, v2
; %bb.101:                              ;   in Loop: Header=BB197_9 Depth=1
	s_delay_alu instid0(VALU_DEP_2) | instskip(NEXT) | instid1(VALU_DEP_1)
	v_clz_i32_u32_e32 v1, v66
	v_min_u32_e32 v1, 32, v1
	s_delay_alu instid0(VALU_DEP_1) | instskip(NEXT) | instid1(VALU_DEP_1)
	v_subrev_nc_u32_e32 v2, 28, v1
	v_lshlrev_b64_e32 v[2:3], v2, v[66:67]
	s_delay_alu instid0(VALU_DEP_1)
	v_dual_sub_nc_u32 v1, 29, v1 :: v_dual_bitop2_b32 v66, 7, v2 bitop3:0x40
; %bb.102:                              ;   in Loop: Header=BB197_9 Depth=1
	s_or_b32 exec_lo, exec_lo, s33
	s_delay_alu instid0(VALU_DEP_1) | instskip(NEXT) | instid1(VALU_DEP_2)
	v_dual_lshlrev_b32 v0, 16, v0 :: v_dual_lshlrev_b32 v2, 20, v66
	v_lshl_add_u32 v1, v1, 23, 0x3c000000
	v_mov_b32_e32 v94, v67
	s_delay_alu instid0(VALU_DEP_3) | instskip(NEXT) | instid1(VALU_DEP_1)
	v_and_b32_e32 v0, 0x80000000, v0
	v_or3_b32 v95, v2, v0, v1
.LBB197_103:                            ;   in Loop: Header=BB197_9 Depth=1
	s_or_b32 exec_lo, exec_lo, s31
.LBB197_104:                            ;   in Loop: Header=BB197_9 Depth=1
	s_delay_alu instid0(SALU_CYCLE_1)
	s_or_b32 exec_lo, exec_lo, s30
.LBB197_105:                            ;   in Loop: Header=BB197_9 Depth=1
	s_delay_alu instid0(SALU_CYCLE_1)
	s_or_b32 exec_lo, exec_lo, s29
	global_load_u16 v0, v[80:81], off offset:264
	v_mov_b64_e32 v[98:99], 0
	v_mov_b64_e32 v[100:101], 0
	s_mov_b32 s29, exec_lo
	s_wait_loadcnt 0x0
	v_and_b32_e32 v1, 0xff, v0
	v_and_b32_e32 v0, 0xffff, v0
	s_wait_xcnt 0x0
	s_delay_alu instid0(VALU_DEP_2)
	v_cmpx_ne_u16_e32 0, v1
	s_cbranch_execz .LBB197_113
; %bb.106:                              ;   in Loop: Header=BB197_9 Depth=1
	v_mov_b64_e32 v[100:101], 0x80000000
	v_and_b32_e32 v1, 0xff, v0
	s_mov_b32 s30, exec_lo
	s_delay_alu instid0(VALU_DEP_1)
	v_cmpx_ne_u16_e32 0x80, v1
	s_cbranch_execz .LBB197_112
; %bb.107:                              ;   in Loop: Header=BB197_9 Depth=1
	v_mov_b64_e32 v[100:101], 0x7f800001
	v_and_b32_e32 v2, 0x7f, v0
	s_mov_b32 s31, exec_lo
	s_delay_alu instid0(VALU_DEP_1)
	v_cmpx_ne_u32_e32 0x7f, v2
	s_cbranch_execz .LBB197_111
; %bb.108:                              ;   in Loop: Header=BB197_9 Depth=1
	v_dual_lshrrev_b32 v1, 3, v2 :: v_dual_bitop2_b32 v66, 7, v0 bitop3:0x40
	s_mov_b32 s33, exec_lo
	v_cmpx_gt_u32_e32 8, v2
; %bb.109:                              ;   in Loop: Header=BB197_9 Depth=1
	s_delay_alu instid0(VALU_DEP_2) | instskip(NEXT) | instid1(VALU_DEP_1)
	v_clz_i32_u32_e32 v1, v66
	v_min_u32_e32 v1, 32, v1
	s_delay_alu instid0(VALU_DEP_1) | instskip(NEXT) | instid1(VALU_DEP_1)
	v_subrev_nc_u32_e32 v2, 28, v1
	v_lshlrev_b64_e32 v[2:3], v2, v[66:67]
	s_delay_alu instid0(VALU_DEP_1)
	v_dual_sub_nc_u32 v1, 29, v1 :: v_dual_bitop2_b32 v66, 7, v2 bitop3:0x40
; %bb.110:                              ;   in Loop: Header=BB197_9 Depth=1
	s_or_b32 exec_lo, exec_lo, s33
	s_delay_alu instid0(VALU_DEP_1) | instskip(NEXT) | instid1(VALU_DEP_2)
	v_dual_lshlrev_b32 v2, 24, v0 :: v_dual_lshlrev_b32 v3, 20, v66
	v_lshl_add_u32 v1, v1, 23, 0x3c000000
	s_delay_alu instid0(VALU_DEP_2) | instskip(NEXT) | instid1(VALU_DEP_1)
	v_and_b32_e32 v2, 0x80000000, v2
	v_or3_b32 v66, v3, v2, v1
	s_delay_alu instid0(VALU_DEP_1)
	v_mov_b64_e32 v[100:101], v[66:67]
.LBB197_111:                            ;   in Loop: Header=BB197_9 Depth=1
	s_or_b32 exec_lo, exec_lo, s31
.LBB197_112:                            ;   in Loop: Header=BB197_9 Depth=1
	s_delay_alu instid0(SALU_CYCLE_1)
	s_or_b32 exec_lo, exec_lo, s30
.LBB197_113:                            ;   in Loop: Header=BB197_9 Depth=1
	s_delay_alu instid0(SALU_CYCLE_1) | instskip(SKIP_2) | instid1(VALU_DEP_1)
	s_or_b32 exec_lo, exec_lo, s29
	v_lshrrev_b16 v1, 8, v0
	s_mov_b32 s29, exec_lo
	v_cmpx_ne_u16_e32 0, v1
	s_cbranch_execz .LBB197_121
; %bb.114:                              ;   in Loop: Header=BB197_9 Depth=1
	v_mov_b64_e32 v[98:99], 0x8000000000000000
	s_mov_b32 s30, exec_lo
	v_cmpx_ne_u16_e32 0x80, v1
	s_cbranch_execz .LBB197_120
; %bb.115:                              ;   in Loop: Header=BB197_9 Depth=1
	v_and_b32_e32 v1, 0xffff, v1
	v_mov_b64_e32 v[98:99], 0x7f80000100000000
	s_mov_b32 s31, exec_lo
	s_delay_alu instid0(VALU_DEP_2) | instskip(NEXT) | instid1(VALU_DEP_1)
	v_and_b32_e32 v2, 0x7f, v1
	v_cmpx_ne_u32_e32 0x7f, v2
	s_cbranch_execz .LBB197_119
; %bb.116:                              ;   in Loop: Header=BB197_9 Depth=1
	v_dual_lshrrev_b32 v1, 3, v2 :: v_dual_bitop2_b32 v66, 7, v1 bitop3:0x40
	s_mov_b32 s33, exec_lo
	v_cmpx_gt_u32_e32 8, v2
; %bb.117:                              ;   in Loop: Header=BB197_9 Depth=1
	s_delay_alu instid0(VALU_DEP_2) | instskip(NEXT) | instid1(VALU_DEP_1)
	v_clz_i32_u32_e32 v1, v66
	v_min_u32_e32 v1, 32, v1
	s_delay_alu instid0(VALU_DEP_1) | instskip(NEXT) | instid1(VALU_DEP_1)
	v_subrev_nc_u32_e32 v2, 28, v1
	v_lshlrev_b64_e32 v[2:3], v2, v[66:67]
	s_delay_alu instid0(VALU_DEP_1)
	v_dual_sub_nc_u32 v1, 29, v1 :: v_dual_bitop2_b32 v66, 7, v2 bitop3:0x40
; %bb.118:                              ;   in Loop: Header=BB197_9 Depth=1
	s_or_b32 exec_lo, exec_lo, s33
	s_delay_alu instid0(VALU_DEP_1) | instskip(NEXT) | instid1(VALU_DEP_2)
	v_dual_lshlrev_b32 v0, 16, v0 :: v_dual_lshlrev_b32 v2, 20, v66
	v_lshl_add_u32 v1, v1, 23, 0x3c000000
	v_mov_b32_e32 v98, v67
	s_delay_alu instid0(VALU_DEP_3) | instskip(NEXT) | instid1(VALU_DEP_1)
	v_and_b32_e32 v0, 0x80000000, v0
	v_or3_b32 v99, v2, v0, v1
.LBB197_119:                            ;   in Loop: Header=BB197_9 Depth=1
	s_or_b32 exec_lo, exec_lo, s31
.LBB197_120:                            ;   in Loop: Header=BB197_9 Depth=1
	s_delay_alu instid0(SALU_CYCLE_1)
	s_or_b32 exec_lo, exec_lo, s30
.LBB197_121:                            ;   in Loop: Header=BB197_9 Depth=1
	s_delay_alu instid0(SALU_CYCLE_1)
	s_or_b32 exec_lo, exec_lo, s29
	global_load_u16 v0, v[80:81], off offset:268
	v_mov_b64_e32 v[102:103], 0
	v_mov_b64_e32 v[104:105], 0
	s_mov_b32 s29, exec_lo
	s_wait_loadcnt 0x0
	v_and_b32_e32 v1, 0xff, v0
	v_and_b32_e32 v0, 0xffff, v0
	s_wait_xcnt 0x0
	s_delay_alu instid0(VALU_DEP_2)
	v_cmpx_ne_u16_e32 0, v1
	s_cbranch_execz .LBB197_129
; %bb.122:                              ;   in Loop: Header=BB197_9 Depth=1
	v_mov_b64_e32 v[104:105], 0x80000000
	v_and_b32_e32 v1, 0xff, v0
	s_mov_b32 s30, exec_lo
	s_delay_alu instid0(VALU_DEP_1)
	v_cmpx_ne_u16_e32 0x80, v1
	s_cbranch_execz .LBB197_128
; %bb.123:                              ;   in Loop: Header=BB197_9 Depth=1
	v_mov_b64_e32 v[104:105], 0x7f800001
	v_and_b32_e32 v2, 0x7f, v0
	s_mov_b32 s31, exec_lo
	s_delay_alu instid0(VALU_DEP_1)
	v_cmpx_ne_u32_e32 0x7f, v2
	s_cbranch_execz .LBB197_127
; %bb.124:                              ;   in Loop: Header=BB197_9 Depth=1
	v_dual_lshrrev_b32 v1, 3, v2 :: v_dual_bitop2_b32 v66, 7, v0 bitop3:0x40
	s_mov_b32 s33, exec_lo
	v_cmpx_gt_u32_e32 8, v2
; %bb.125:                              ;   in Loop: Header=BB197_9 Depth=1
	s_delay_alu instid0(VALU_DEP_2) | instskip(NEXT) | instid1(VALU_DEP_1)
	v_clz_i32_u32_e32 v1, v66
	v_min_u32_e32 v1, 32, v1
	s_delay_alu instid0(VALU_DEP_1) | instskip(NEXT) | instid1(VALU_DEP_1)
	v_subrev_nc_u32_e32 v2, 28, v1
	v_lshlrev_b64_e32 v[2:3], v2, v[66:67]
	s_delay_alu instid0(VALU_DEP_1)
	v_dual_sub_nc_u32 v1, 29, v1 :: v_dual_bitop2_b32 v66, 7, v2 bitop3:0x40
; %bb.126:                              ;   in Loop: Header=BB197_9 Depth=1
	s_or_b32 exec_lo, exec_lo, s33
	s_delay_alu instid0(VALU_DEP_1) | instskip(NEXT) | instid1(VALU_DEP_2)
	v_dual_lshlrev_b32 v2, 24, v0 :: v_dual_lshlrev_b32 v3, 20, v66
	v_lshl_add_u32 v1, v1, 23, 0x3c000000
	s_delay_alu instid0(VALU_DEP_2) | instskip(NEXT) | instid1(VALU_DEP_1)
	v_and_b32_e32 v2, 0x80000000, v2
	v_or3_b32 v66, v3, v2, v1
	s_delay_alu instid0(VALU_DEP_1)
	v_mov_b64_e32 v[104:105], v[66:67]
.LBB197_127:                            ;   in Loop: Header=BB197_9 Depth=1
	s_or_b32 exec_lo, exec_lo, s31
.LBB197_128:                            ;   in Loop: Header=BB197_9 Depth=1
	s_delay_alu instid0(SALU_CYCLE_1)
	s_or_b32 exec_lo, exec_lo, s30
.LBB197_129:                            ;   in Loop: Header=BB197_9 Depth=1
	s_delay_alu instid0(SALU_CYCLE_1) | instskip(SKIP_2) | instid1(VALU_DEP_1)
	s_or_b32 exec_lo, exec_lo, s29
	v_lshrrev_b16 v1, 8, v0
	s_mov_b32 s29, exec_lo
	v_cmpx_ne_u16_e32 0, v1
	s_cbranch_execz .LBB197_137
; %bb.130:                              ;   in Loop: Header=BB197_9 Depth=1
	v_mov_b64_e32 v[102:103], 0x8000000000000000
	s_mov_b32 s30, exec_lo
	v_cmpx_ne_u16_e32 0x80, v1
	s_cbranch_execz .LBB197_136
; %bb.131:                              ;   in Loop: Header=BB197_9 Depth=1
	v_and_b32_e32 v1, 0xffff, v1
	v_mov_b64_e32 v[102:103], 0x7f80000100000000
	s_mov_b32 s31, exec_lo
	s_delay_alu instid0(VALU_DEP_2) | instskip(NEXT) | instid1(VALU_DEP_1)
	v_and_b32_e32 v2, 0x7f, v1
	v_cmpx_ne_u32_e32 0x7f, v2
	s_cbranch_execz .LBB197_135
; %bb.132:                              ;   in Loop: Header=BB197_9 Depth=1
	v_dual_lshrrev_b32 v1, 3, v2 :: v_dual_bitop2_b32 v66, 7, v1 bitop3:0x40
	s_mov_b32 s33, exec_lo
	v_cmpx_gt_u32_e32 8, v2
; %bb.133:                              ;   in Loop: Header=BB197_9 Depth=1
	s_delay_alu instid0(VALU_DEP_2) | instskip(NEXT) | instid1(VALU_DEP_1)
	v_clz_i32_u32_e32 v1, v66
	v_min_u32_e32 v1, 32, v1
	s_delay_alu instid0(VALU_DEP_1) | instskip(NEXT) | instid1(VALU_DEP_1)
	v_subrev_nc_u32_e32 v2, 28, v1
	v_lshlrev_b64_e32 v[2:3], v2, v[66:67]
	s_delay_alu instid0(VALU_DEP_1)
	v_dual_sub_nc_u32 v1, 29, v1 :: v_dual_bitop2_b32 v66, 7, v2 bitop3:0x40
; %bb.134:                              ;   in Loop: Header=BB197_9 Depth=1
	s_or_b32 exec_lo, exec_lo, s33
	s_delay_alu instid0(VALU_DEP_1) | instskip(NEXT) | instid1(VALU_DEP_2)
	v_dual_lshlrev_b32 v0, 16, v0 :: v_dual_lshlrev_b32 v2, 20, v66
	v_lshl_add_u32 v1, v1, 23, 0x3c000000
	v_mov_b32_e32 v102, v67
	s_delay_alu instid0(VALU_DEP_3) | instskip(NEXT) | instid1(VALU_DEP_1)
	v_and_b32_e32 v0, 0x80000000, v0
	v_or3_b32 v103, v2, v0, v1
.LBB197_135:                            ;   in Loop: Header=BB197_9 Depth=1
	s_or_b32 exec_lo, exec_lo, s31
.LBB197_136:                            ;   in Loop: Header=BB197_9 Depth=1
	s_delay_alu instid0(SALU_CYCLE_1)
	s_or_b32 exec_lo, exec_lo, s30
.LBB197_137:                            ;   in Loop: Header=BB197_9 Depth=1
	s_delay_alu instid0(SALU_CYCLE_1)
	s_or_b32 exec_lo, exec_lo, s29
	global_load_u16 v0, v[80:81], off offset:512
	v_mov_b64_e32 v[106:107], 0
	v_mov_b64_e32 v[108:109], 0
	s_mov_b32 s29, exec_lo
	s_wait_loadcnt 0x0
	v_and_b32_e32 v1, 0xff, v0
	v_and_b32_e32 v0, 0xffff, v0
	s_wait_xcnt 0x0
	s_delay_alu instid0(VALU_DEP_2)
	v_cmpx_ne_u16_e32 0, v1
	s_cbranch_execz .LBB197_145
; %bb.138:                              ;   in Loop: Header=BB197_9 Depth=1
	v_mov_b64_e32 v[108:109], 0x80000000
	v_and_b32_e32 v1, 0xff, v0
	s_mov_b32 s30, exec_lo
	s_delay_alu instid0(VALU_DEP_1)
	v_cmpx_ne_u16_e32 0x80, v1
	s_cbranch_execz .LBB197_144
; %bb.139:                              ;   in Loop: Header=BB197_9 Depth=1
	v_mov_b64_e32 v[108:109], 0x7f800001
	v_and_b32_e32 v2, 0x7f, v0
	s_mov_b32 s31, exec_lo
	s_delay_alu instid0(VALU_DEP_1)
	v_cmpx_ne_u32_e32 0x7f, v2
	s_cbranch_execz .LBB197_143
; %bb.140:                              ;   in Loop: Header=BB197_9 Depth=1
	v_dual_lshrrev_b32 v1, 3, v2 :: v_dual_bitop2_b32 v66, 7, v0 bitop3:0x40
	s_mov_b32 s33, exec_lo
	v_cmpx_gt_u32_e32 8, v2
; %bb.141:                              ;   in Loop: Header=BB197_9 Depth=1
	s_delay_alu instid0(VALU_DEP_2) | instskip(NEXT) | instid1(VALU_DEP_1)
	v_clz_i32_u32_e32 v1, v66
	v_min_u32_e32 v1, 32, v1
	s_delay_alu instid0(VALU_DEP_1) | instskip(NEXT) | instid1(VALU_DEP_1)
	v_subrev_nc_u32_e32 v2, 28, v1
	v_lshlrev_b64_e32 v[2:3], v2, v[66:67]
	s_delay_alu instid0(VALU_DEP_1)
	v_dual_sub_nc_u32 v1, 29, v1 :: v_dual_bitop2_b32 v66, 7, v2 bitop3:0x40
; %bb.142:                              ;   in Loop: Header=BB197_9 Depth=1
	s_or_b32 exec_lo, exec_lo, s33
	s_delay_alu instid0(VALU_DEP_1) | instskip(NEXT) | instid1(VALU_DEP_2)
	v_dual_lshlrev_b32 v2, 24, v0 :: v_dual_lshlrev_b32 v3, 20, v66
	v_lshl_add_u32 v1, v1, 23, 0x3c000000
	s_delay_alu instid0(VALU_DEP_2) | instskip(NEXT) | instid1(VALU_DEP_1)
	v_and_b32_e32 v2, 0x80000000, v2
	v_or3_b32 v66, v3, v2, v1
	s_delay_alu instid0(VALU_DEP_1)
	v_mov_b64_e32 v[108:109], v[66:67]
.LBB197_143:                            ;   in Loop: Header=BB197_9 Depth=1
	s_or_b32 exec_lo, exec_lo, s31
.LBB197_144:                            ;   in Loop: Header=BB197_9 Depth=1
	s_delay_alu instid0(SALU_CYCLE_1)
	s_or_b32 exec_lo, exec_lo, s30
.LBB197_145:                            ;   in Loop: Header=BB197_9 Depth=1
	s_delay_alu instid0(SALU_CYCLE_1) | instskip(SKIP_2) | instid1(VALU_DEP_1)
	s_or_b32 exec_lo, exec_lo, s29
	v_lshrrev_b16 v1, 8, v0
	s_mov_b32 s29, exec_lo
	v_cmpx_ne_u16_e32 0, v1
	s_cbranch_execz .LBB197_153
; %bb.146:                              ;   in Loop: Header=BB197_9 Depth=1
	v_mov_b64_e32 v[106:107], 0x8000000000000000
	s_mov_b32 s30, exec_lo
	v_cmpx_ne_u16_e32 0x80, v1
	s_cbranch_execz .LBB197_152
; %bb.147:                              ;   in Loop: Header=BB197_9 Depth=1
	v_and_b32_e32 v1, 0xffff, v1
	v_mov_b64_e32 v[106:107], 0x7f80000100000000
	s_mov_b32 s31, exec_lo
	s_delay_alu instid0(VALU_DEP_2) | instskip(NEXT) | instid1(VALU_DEP_1)
	v_and_b32_e32 v2, 0x7f, v1
	v_cmpx_ne_u32_e32 0x7f, v2
	s_cbranch_execz .LBB197_151
; %bb.148:                              ;   in Loop: Header=BB197_9 Depth=1
	v_dual_lshrrev_b32 v1, 3, v2 :: v_dual_bitop2_b32 v66, 7, v1 bitop3:0x40
	s_mov_b32 s33, exec_lo
	v_cmpx_gt_u32_e32 8, v2
; %bb.149:                              ;   in Loop: Header=BB197_9 Depth=1
	s_delay_alu instid0(VALU_DEP_2) | instskip(NEXT) | instid1(VALU_DEP_1)
	v_clz_i32_u32_e32 v1, v66
	v_min_u32_e32 v1, 32, v1
	s_delay_alu instid0(VALU_DEP_1) | instskip(NEXT) | instid1(VALU_DEP_1)
	v_subrev_nc_u32_e32 v2, 28, v1
	v_lshlrev_b64_e32 v[2:3], v2, v[66:67]
	s_delay_alu instid0(VALU_DEP_1)
	v_dual_sub_nc_u32 v1, 29, v1 :: v_dual_bitop2_b32 v66, 7, v2 bitop3:0x40
; %bb.150:                              ;   in Loop: Header=BB197_9 Depth=1
	s_or_b32 exec_lo, exec_lo, s33
	s_delay_alu instid0(VALU_DEP_1) | instskip(NEXT) | instid1(VALU_DEP_2)
	v_dual_lshlrev_b32 v0, 16, v0 :: v_dual_lshlrev_b32 v2, 20, v66
	v_lshl_add_u32 v1, v1, 23, 0x3c000000
	v_mov_b32_e32 v106, v67
	s_delay_alu instid0(VALU_DEP_3) | instskip(NEXT) | instid1(VALU_DEP_1)
	v_and_b32_e32 v0, 0x80000000, v0
	v_or3_b32 v107, v2, v0, v1
.LBB197_151:                            ;   in Loop: Header=BB197_9 Depth=1
	s_or_b32 exec_lo, exec_lo, s31
.LBB197_152:                            ;   in Loop: Header=BB197_9 Depth=1
	s_delay_alu instid0(SALU_CYCLE_1)
	s_or_b32 exec_lo, exec_lo, s30
.LBB197_153:                            ;   in Loop: Header=BB197_9 Depth=1
	s_delay_alu instid0(SALU_CYCLE_1)
	s_or_b32 exec_lo, exec_lo, s29
	global_load_u16 v0, v[80:81], off offset:516
	v_mov_b64_e32 v[110:111], 0
	v_mov_b64_e32 v[112:113], 0
	s_mov_b32 s29, exec_lo
	s_wait_loadcnt 0x0
	v_and_b32_e32 v1, 0xff, v0
	v_and_b32_e32 v0, 0xffff, v0
	s_wait_xcnt 0x0
	s_delay_alu instid0(VALU_DEP_2)
	v_cmpx_ne_u16_e32 0, v1
	s_cbranch_execz .LBB197_161
; %bb.154:                              ;   in Loop: Header=BB197_9 Depth=1
	v_mov_b64_e32 v[112:113], 0x80000000
	v_and_b32_e32 v1, 0xff, v0
	s_mov_b32 s30, exec_lo
	s_delay_alu instid0(VALU_DEP_1)
	v_cmpx_ne_u16_e32 0x80, v1
	s_cbranch_execz .LBB197_160
; %bb.155:                              ;   in Loop: Header=BB197_9 Depth=1
	v_mov_b64_e32 v[112:113], 0x7f800001
	v_and_b32_e32 v2, 0x7f, v0
	s_mov_b32 s31, exec_lo
	s_delay_alu instid0(VALU_DEP_1)
	v_cmpx_ne_u32_e32 0x7f, v2
	s_cbranch_execz .LBB197_159
; %bb.156:                              ;   in Loop: Header=BB197_9 Depth=1
	v_dual_lshrrev_b32 v1, 3, v2 :: v_dual_bitop2_b32 v66, 7, v0 bitop3:0x40
	s_mov_b32 s33, exec_lo
	v_cmpx_gt_u32_e32 8, v2
; %bb.157:                              ;   in Loop: Header=BB197_9 Depth=1
	s_delay_alu instid0(VALU_DEP_2) | instskip(NEXT) | instid1(VALU_DEP_1)
	v_clz_i32_u32_e32 v1, v66
	v_min_u32_e32 v1, 32, v1
	s_delay_alu instid0(VALU_DEP_1) | instskip(NEXT) | instid1(VALU_DEP_1)
	v_subrev_nc_u32_e32 v2, 28, v1
	v_lshlrev_b64_e32 v[2:3], v2, v[66:67]
	s_delay_alu instid0(VALU_DEP_1)
	v_dual_sub_nc_u32 v1, 29, v1 :: v_dual_bitop2_b32 v66, 7, v2 bitop3:0x40
; %bb.158:                              ;   in Loop: Header=BB197_9 Depth=1
	s_or_b32 exec_lo, exec_lo, s33
	s_delay_alu instid0(VALU_DEP_1) | instskip(NEXT) | instid1(VALU_DEP_2)
	v_dual_lshlrev_b32 v2, 24, v0 :: v_dual_lshlrev_b32 v3, 20, v66
	v_lshl_add_u32 v1, v1, 23, 0x3c000000
	s_delay_alu instid0(VALU_DEP_2) | instskip(NEXT) | instid1(VALU_DEP_1)
	v_and_b32_e32 v2, 0x80000000, v2
	v_or3_b32 v66, v3, v2, v1
	s_delay_alu instid0(VALU_DEP_1)
	v_mov_b64_e32 v[112:113], v[66:67]
.LBB197_159:                            ;   in Loop: Header=BB197_9 Depth=1
	s_or_b32 exec_lo, exec_lo, s31
.LBB197_160:                            ;   in Loop: Header=BB197_9 Depth=1
	s_delay_alu instid0(SALU_CYCLE_1)
	s_or_b32 exec_lo, exec_lo, s30
.LBB197_161:                            ;   in Loop: Header=BB197_9 Depth=1
	s_delay_alu instid0(SALU_CYCLE_1) | instskip(SKIP_2) | instid1(VALU_DEP_1)
	s_or_b32 exec_lo, exec_lo, s29
	v_lshrrev_b16 v1, 8, v0
	s_mov_b32 s29, exec_lo
	v_cmpx_ne_u16_e32 0, v1
	s_cbranch_execz .LBB197_169
; %bb.162:                              ;   in Loop: Header=BB197_9 Depth=1
	v_mov_b64_e32 v[110:111], 0x8000000000000000
	s_mov_b32 s30, exec_lo
	v_cmpx_ne_u16_e32 0x80, v1
	s_cbranch_execz .LBB197_168
; %bb.163:                              ;   in Loop: Header=BB197_9 Depth=1
	v_and_b32_e32 v1, 0xffff, v1
	v_mov_b64_e32 v[110:111], 0x7f80000100000000
	s_mov_b32 s31, exec_lo
	s_delay_alu instid0(VALU_DEP_2) | instskip(NEXT) | instid1(VALU_DEP_1)
	v_and_b32_e32 v2, 0x7f, v1
	v_cmpx_ne_u32_e32 0x7f, v2
	s_cbranch_execz .LBB197_167
; %bb.164:                              ;   in Loop: Header=BB197_9 Depth=1
	v_dual_lshrrev_b32 v1, 3, v2 :: v_dual_bitop2_b32 v66, 7, v1 bitop3:0x40
	s_mov_b32 s33, exec_lo
	v_cmpx_gt_u32_e32 8, v2
; %bb.165:                              ;   in Loop: Header=BB197_9 Depth=1
	s_delay_alu instid0(VALU_DEP_2) | instskip(NEXT) | instid1(VALU_DEP_1)
	v_clz_i32_u32_e32 v1, v66
	v_min_u32_e32 v1, 32, v1
	s_delay_alu instid0(VALU_DEP_1) | instskip(NEXT) | instid1(VALU_DEP_1)
	v_subrev_nc_u32_e32 v2, 28, v1
	v_lshlrev_b64_e32 v[2:3], v2, v[66:67]
	s_delay_alu instid0(VALU_DEP_1)
	v_dual_sub_nc_u32 v1, 29, v1 :: v_dual_bitop2_b32 v66, 7, v2 bitop3:0x40
; %bb.166:                              ;   in Loop: Header=BB197_9 Depth=1
	s_or_b32 exec_lo, exec_lo, s33
	s_delay_alu instid0(VALU_DEP_1) | instskip(NEXT) | instid1(VALU_DEP_2)
	v_dual_lshlrev_b32 v0, 16, v0 :: v_dual_lshlrev_b32 v2, 20, v66
	v_lshl_add_u32 v1, v1, 23, 0x3c000000
	v_mov_b32_e32 v110, v67
	s_delay_alu instid0(VALU_DEP_3) | instskip(NEXT) | instid1(VALU_DEP_1)
	v_and_b32_e32 v0, 0x80000000, v0
	v_or3_b32 v111, v2, v0, v1
.LBB197_167:                            ;   in Loop: Header=BB197_9 Depth=1
	s_or_b32 exec_lo, exec_lo, s31
.LBB197_168:                            ;   in Loop: Header=BB197_9 Depth=1
	s_delay_alu instid0(SALU_CYCLE_1)
	s_or_b32 exec_lo, exec_lo, s30
.LBB197_169:                            ;   in Loop: Header=BB197_9 Depth=1
	s_delay_alu instid0(SALU_CYCLE_1)
	s_or_b32 exec_lo, exec_lo, s29
	global_load_u16 v1, v[80:81], off offset:520
	v_mov_b64_e32 v[114:115], 0
	v_mov_b64_e32 v[116:117], 0
	s_mov_b32 s29, exec_lo
	s_wait_loadcnt 0x0
	v_and_b32_e32 v0, 0xffff, v1
	v_and_b32_e32 v1, 0xff, v1
	s_wait_xcnt 0x0
	s_delay_alu instid0(VALU_DEP_1)
	v_cmpx_ne_u16_e32 0, v1
	s_cbranch_execz .LBB197_177
; %bb.170:                              ;   in Loop: Header=BB197_9 Depth=1
	v_mov_b64_e32 v[116:117], 0x80000000
	v_and_b32_e32 v1, 0xff, v0
	s_mov_b32 s30, exec_lo
	s_delay_alu instid0(VALU_DEP_1)
	v_cmpx_ne_u16_e32 0x80, v1
	s_cbranch_execz .LBB197_176
; %bb.171:                              ;   in Loop: Header=BB197_9 Depth=1
	v_mov_b64_e32 v[116:117], 0x7f800001
	v_and_b32_e32 v2, 0x7f, v0
	s_mov_b32 s31, exec_lo
	s_delay_alu instid0(VALU_DEP_1)
	v_cmpx_ne_u32_e32 0x7f, v2
	s_cbranch_execz .LBB197_175
; %bb.172:                              ;   in Loop: Header=BB197_9 Depth=1
	v_dual_lshrrev_b32 v1, 3, v2 :: v_dual_bitop2_b32 v66, 7, v0 bitop3:0x40
	s_mov_b32 s33, exec_lo
	v_cmpx_gt_u32_e32 8, v2
; %bb.173:                              ;   in Loop: Header=BB197_9 Depth=1
	s_delay_alu instid0(VALU_DEP_2) | instskip(NEXT) | instid1(VALU_DEP_1)
	v_clz_i32_u32_e32 v1, v66
	v_min_u32_e32 v1, 32, v1
	s_delay_alu instid0(VALU_DEP_1) | instskip(NEXT) | instid1(VALU_DEP_1)
	v_subrev_nc_u32_e32 v2, 28, v1
	v_lshlrev_b64_e32 v[2:3], v2, v[66:67]
	s_delay_alu instid0(VALU_DEP_1)
	v_dual_sub_nc_u32 v1, 29, v1 :: v_dual_bitop2_b32 v66, 7, v2 bitop3:0x40
; %bb.174:                              ;   in Loop: Header=BB197_9 Depth=1
	s_or_b32 exec_lo, exec_lo, s33
	s_delay_alu instid0(VALU_DEP_1) | instskip(NEXT) | instid1(VALU_DEP_2)
	v_dual_lshlrev_b32 v2, 24, v0 :: v_dual_lshlrev_b32 v3, 20, v66
	v_lshl_add_u32 v1, v1, 23, 0x3c000000
	s_delay_alu instid0(VALU_DEP_2) | instskip(NEXT) | instid1(VALU_DEP_1)
	v_and_b32_e32 v2, 0x80000000, v2
	v_or3_b32 v66, v3, v2, v1
	s_delay_alu instid0(VALU_DEP_1)
	v_mov_b64_e32 v[116:117], v[66:67]
.LBB197_175:                            ;   in Loop: Header=BB197_9 Depth=1
	s_or_b32 exec_lo, exec_lo, s31
.LBB197_176:                            ;   in Loop: Header=BB197_9 Depth=1
	s_delay_alu instid0(SALU_CYCLE_1)
	s_or_b32 exec_lo, exec_lo, s30
.LBB197_177:                            ;   in Loop: Header=BB197_9 Depth=1
	s_delay_alu instid0(SALU_CYCLE_1) | instskip(SKIP_2) | instid1(VALU_DEP_1)
	s_or_b32 exec_lo, exec_lo, s29
	v_lshrrev_b16 v1, 8, v0
	s_mov_b32 s29, exec_lo
	v_cmpx_ne_u16_e32 0, v1
	s_cbranch_execz .LBB197_185
; %bb.178:                              ;   in Loop: Header=BB197_9 Depth=1
	v_mov_b64_e32 v[114:115], 0x8000000000000000
	s_mov_b32 s30, exec_lo
	v_cmpx_ne_u16_e32 0x80, v1
	s_cbranch_execz .LBB197_184
; %bb.179:                              ;   in Loop: Header=BB197_9 Depth=1
	v_and_b32_e32 v1, 0xffff, v1
	v_mov_b64_e32 v[114:115], 0x7f80000100000000
	s_mov_b32 s31, exec_lo
	s_delay_alu instid0(VALU_DEP_2) | instskip(NEXT) | instid1(VALU_DEP_1)
	v_and_b32_e32 v2, 0x7f, v1
	v_cmpx_ne_u32_e32 0x7f, v2
	s_cbranch_execz .LBB197_183
; %bb.180:                              ;   in Loop: Header=BB197_9 Depth=1
	v_dual_lshrrev_b32 v1, 3, v2 :: v_dual_bitop2_b32 v66, 7, v1 bitop3:0x40
	s_mov_b32 s33, exec_lo
	v_cmpx_gt_u32_e32 8, v2
; %bb.181:                              ;   in Loop: Header=BB197_9 Depth=1
	s_delay_alu instid0(VALU_DEP_2) | instskip(NEXT) | instid1(VALU_DEP_1)
	v_clz_i32_u32_e32 v1, v66
	v_min_u32_e32 v1, 32, v1
	s_delay_alu instid0(VALU_DEP_1) | instskip(NEXT) | instid1(VALU_DEP_1)
	v_subrev_nc_u32_e32 v2, 28, v1
	v_lshlrev_b64_e32 v[2:3], v2, v[66:67]
	s_delay_alu instid0(VALU_DEP_1)
	v_dual_sub_nc_u32 v1, 29, v1 :: v_dual_bitop2_b32 v66, 7, v2 bitop3:0x40
; %bb.182:                              ;   in Loop: Header=BB197_9 Depth=1
	s_or_b32 exec_lo, exec_lo, s33
	s_delay_alu instid0(VALU_DEP_1) | instskip(NEXT) | instid1(VALU_DEP_2)
	v_dual_lshlrev_b32 v0, 16, v0 :: v_dual_lshlrev_b32 v2, 20, v66
	v_lshl_add_u32 v1, v1, 23, 0x3c000000
	v_mov_b32_e32 v114, v67
	s_delay_alu instid0(VALU_DEP_3) | instskip(NEXT) | instid1(VALU_DEP_1)
	v_and_b32_e32 v0, 0x80000000, v0
	v_or3_b32 v115, v2, v0, v1
.LBB197_183:                            ;   in Loop: Header=BB197_9 Depth=1
	s_or_b32 exec_lo, exec_lo, s31
.LBB197_184:                            ;   in Loop: Header=BB197_9 Depth=1
	s_delay_alu instid0(SALU_CYCLE_1)
	s_or_b32 exec_lo, exec_lo, s30
.LBB197_185:                            ;   in Loop: Header=BB197_9 Depth=1
	s_delay_alu instid0(SALU_CYCLE_1)
	s_or_b32 exec_lo, exec_lo, s29
	global_load_u16 v1, v[80:81], off offset:524
	v_mov_b64_e32 v[118:119], 0
	v_mov_b64_e32 v[120:121], 0
	s_mov_b32 s29, exec_lo
	s_wait_loadcnt 0x0
	v_and_b32_e32 v0, 0xffff, v1
	v_and_b32_e32 v1, 0xff, v1
	s_wait_xcnt 0x0
	s_delay_alu instid0(VALU_DEP_1)
	v_cmpx_ne_u16_e32 0, v1
	s_cbranch_execz .LBB197_193
; %bb.186:                              ;   in Loop: Header=BB197_9 Depth=1
	v_mov_b64_e32 v[120:121], 0x80000000
	v_and_b32_e32 v1, 0xff, v0
	s_mov_b32 s30, exec_lo
	s_delay_alu instid0(VALU_DEP_1)
	v_cmpx_ne_u16_e32 0x80, v1
	s_cbranch_execz .LBB197_192
; %bb.187:                              ;   in Loop: Header=BB197_9 Depth=1
	v_mov_b64_e32 v[120:121], 0x7f800001
	v_and_b32_e32 v2, 0x7f, v0
	s_mov_b32 s31, exec_lo
	s_delay_alu instid0(VALU_DEP_1)
	v_cmpx_ne_u32_e32 0x7f, v2
	s_cbranch_execz .LBB197_191
; %bb.188:                              ;   in Loop: Header=BB197_9 Depth=1
	v_dual_lshrrev_b32 v1, 3, v2 :: v_dual_bitop2_b32 v66, 7, v0 bitop3:0x40
	s_mov_b32 s33, exec_lo
	v_cmpx_gt_u32_e32 8, v2
; %bb.189:                              ;   in Loop: Header=BB197_9 Depth=1
	s_delay_alu instid0(VALU_DEP_2) | instskip(NEXT) | instid1(VALU_DEP_1)
	v_clz_i32_u32_e32 v1, v66
	v_min_u32_e32 v1, 32, v1
	s_delay_alu instid0(VALU_DEP_1) | instskip(NEXT) | instid1(VALU_DEP_1)
	v_subrev_nc_u32_e32 v2, 28, v1
	v_lshlrev_b64_e32 v[2:3], v2, v[66:67]
	s_delay_alu instid0(VALU_DEP_1)
	v_dual_sub_nc_u32 v1, 29, v1 :: v_dual_bitop2_b32 v66, 7, v2 bitop3:0x40
; %bb.190:                              ;   in Loop: Header=BB197_9 Depth=1
	s_or_b32 exec_lo, exec_lo, s33
	s_delay_alu instid0(VALU_DEP_1) | instskip(NEXT) | instid1(VALU_DEP_2)
	v_dual_lshlrev_b32 v2, 24, v0 :: v_dual_lshlrev_b32 v3, 20, v66
	v_lshl_add_u32 v1, v1, 23, 0x3c000000
	s_delay_alu instid0(VALU_DEP_2) | instskip(NEXT) | instid1(VALU_DEP_1)
	v_and_b32_e32 v2, 0x80000000, v2
	v_or3_b32 v66, v3, v2, v1
	s_delay_alu instid0(VALU_DEP_1)
	v_mov_b64_e32 v[120:121], v[66:67]
.LBB197_191:                            ;   in Loop: Header=BB197_9 Depth=1
	s_or_b32 exec_lo, exec_lo, s31
.LBB197_192:                            ;   in Loop: Header=BB197_9 Depth=1
	s_delay_alu instid0(SALU_CYCLE_1)
	s_or_b32 exec_lo, exec_lo, s30
.LBB197_193:                            ;   in Loop: Header=BB197_9 Depth=1
	s_delay_alu instid0(SALU_CYCLE_1) | instskip(SKIP_2) | instid1(VALU_DEP_1)
	s_or_b32 exec_lo, exec_lo, s29
	v_lshrrev_b16 v1, 8, v0
	s_mov_b32 s29, exec_lo
	v_cmpx_ne_u16_e32 0, v1
	s_cbranch_execz .LBB197_201
; %bb.194:                              ;   in Loop: Header=BB197_9 Depth=1
	v_mov_b64_e32 v[118:119], 0x8000000000000000
	s_mov_b32 s30, exec_lo
	v_cmpx_ne_u16_e32 0x80, v1
	s_cbranch_execz .LBB197_200
; %bb.195:                              ;   in Loop: Header=BB197_9 Depth=1
	v_and_b32_e32 v1, 0xffff, v1
	v_mov_b64_e32 v[118:119], 0x7f80000100000000
	s_mov_b32 s31, exec_lo
	s_delay_alu instid0(VALU_DEP_2) | instskip(NEXT) | instid1(VALU_DEP_1)
	v_and_b32_e32 v2, 0x7f, v1
	v_cmpx_ne_u32_e32 0x7f, v2
	s_cbranch_execz .LBB197_199
; %bb.196:                              ;   in Loop: Header=BB197_9 Depth=1
	v_dual_lshrrev_b32 v1, 3, v2 :: v_dual_bitop2_b32 v66, 7, v1 bitop3:0x40
	s_mov_b32 s33, exec_lo
	v_cmpx_gt_u32_e32 8, v2
; %bb.197:                              ;   in Loop: Header=BB197_9 Depth=1
	s_delay_alu instid0(VALU_DEP_2) | instskip(NEXT) | instid1(VALU_DEP_1)
	v_clz_i32_u32_e32 v1, v66
	v_min_u32_e32 v1, 32, v1
	s_delay_alu instid0(VALU_DEP_1) | instskip(NEXT) | instid1(VALU_DEP_1)
	v_subrev_nc_u32_e32 v2, 28, v1
	v_lshlrev_b64_e32 v[2:3], v2, v[66:67]
	s_delay_alu instid0(VALU_DEP_1)
	v_dual_sub_nc_u32 v1, 29, v1 :: v_dual_bitop2_b32 v66, 7, v2 bitop3:0x40
; %bb.198:                              ;   in Loop: Header=BB197_9 Depth=1
	s_or_b32 exec_lo, exec_lo, s33
	s_delay_alu instid0(VALU_DEP_1) | instskip(NEXT) | instid1(VALU_DEP_2)
	v_dual_lshlrev_b32 v0, 16, v0 :: v_dual_lshlrev_b32 v2, 20, v66
	v_lshl_add_u32 v1, v1, 23, 0x3c000000
	v_mov_b32_e32 v118, v67
	s_delay_alu instid0(VALU_DEP_3) | instskip(NEXT) | instid1(VALU_DEP_1)
	v_and_b32_e32 v0, 0x80000000, v0
	v_or3_b32 v119, v2, v0, v1
.LBB197_199:                            ;   in Loop: Header=BB197_9 Depth=1
	s_or_b32 exec_lo, exec_lo, s31
.LBB197_200:                            ;   in Loop: Header=BB197_9 Depth=1
	s_delay_alu instid0(SALU_CYCLE_1)
	s_or_b32 exec_lo, exec_lo, s30
.LBB197_201:                            ;   in Loop: Header=BB197_9 Depth=1
	s_delay_alu instid0(SALU_CYCLE_1)
	s_or_b32 exec_lo, exec_lo, s29
	global_load_u16 v1, v[80:81], off offset:768
	v_mov_b64_e32 v[122:123], 0
	v_mov_b64_e32 v[124:125], 0
	s_mov_b32 s29, exec_lo
	s_wait_loadcnt 0x0
	v_and_b32_e32 v0, 0xffff, v1
	v_and_b32_e32 v1, 0xff, v1
	s_wait_xcnt 0x0
	s_delay_alu instid0(VALU_DEP_1)
	v_cmpx_ne_u16_e32 0, v1
	s_cbranch_execz .LBB197_209
; %bb.202:                              ;   in Loop: Header=BB197_9 Depth=1
	v_mov_b64_e32 v[124:125], 0x80000000
	v_and_b32_e32 v1, 0xff, v0
	s_mov_b32 s30, exec_lo
	s_delay_alu instid0(VALU_DEP_1)
	v_cmpx_ne_u16_e32 0x80, v1
	s_cbranch_execz .LBB197_208
; %bb.203:                              ;   in Loop: Header=BB197_9 Depth=1
	v_mov_b64_e32 v[124:125], 0x7f800001
	v_and_b32_e32 v2, 0x7f, v0
	s_mov_b32 s31, exec_lo
	s_delay_alu instid0(VALU_DEP_1)
	v_cmpx_ne_u32_e32 0x7f, v2
	s_cbranch_execz .LBB197_207
; %bb.204:                              ;   in Loop: Header=BB197_9 Depth=1
	v_dual_lshrrev_b32 v1, 3, v2 :: v_dual_bitop2_b32 v66, 7, v0 bitop3:0x40
	s_mov_b32 s33, exec_lo
	v_cmpx_gt_u32_e32 8, v2
; %bb.205:                              ;   in Loop: Header=BB197_9 Depth=1
	s_delay_alu instid0(VALU_DEP_2) | instskip(NEXT) | instid1(VALU_DEP_1)
	v_clz_i32_u32_e32 v1, v66
	v_min_u32_e32 v1, 32, v1
	s_delay_alu instid0(VALU_DEP_1) | instskip(NEXT) | instid1(VALU_DEP_1)
	v_subrev_nc_u32_e32 v2, 28, v1
	v_lshlrev_b64_e32 v[2:3], v2, v[66:67]
	s_delay_alu instid0(VALU_DEP_1)
	v_dual_sub_nc_u32 v1, 29, v1 :: v_dual_bitop2_b32 v66, 7, v2 bitop3:0x40
; %bb.206:                              ;   in Loop: Header=BB197_9 Depth=1
	s_or_b32 exec_lo, exec_lo, s33
	s_delay_alu instid0(VALU_DEP_1) | instskip(NEXT) | instid1(VALU_DEP_2)
	v_dual_lshlrev_b32 v2, 24, v0 :: v_dual_lshlrev_b32 v3, 20, v66
	v_lshl_add_u32 v1, v1, 23, 0x3c000000
	s_delay_alu instid0(VALU_DEP_2) | instskip(NEXT) | instid1(VALU_DEP_1)
	v_and_b32_e32 v2, 0x80000000, v2
	v_or3_b32 v66, v3, v2, v1
	s_delay_alu instid0(VALU_DEP_1)
	v_mov_b64_e32 v[124:125], v[66:67]
.LBB197_207:                            ;   in Loop: Header=BB197_9 Depth=1
	s_or_b32 exec_lo, exec_lo, s31
.LBB197_208:                            ;   in Loop: Header=BB197_9 Depth=1
	s_delay_alu instid0(SALU_CYCLE_1)
	s_or_b32 exec_lo, exec_lo, s30
.LBB197_209:                            ;   in Loop: Header=BB197_9 Depth=1
	s_delay_alu instid0(SALU_CYCLE_1) | instskip(SKIP_2) | instid1(VALU_DEP_1)
	s_or_b32 exec_lo, exec_lo, s29
	v_lshrrev_b16 v1, 8, v0
	s_mov_b32 s29, exec_lo
	v_cmpx_ne_u16_e32 0, v1
	s_cbranch_execz .LBB197_217
; %bb.210:                              ;   in Loop: Header=BB197_9 Depth=1
	v_mov_b64_e32 v[122:123], 0x8000000000000000
	s_mov_b32 s30, exec_lo
	v_cmpx_ne_u16_e32 0x80, v1
	s_cbranch_execz .LBB197_216
; %bb.211:                              ;   in Loop: Header=BB197_9 Depth=1
	v_and_b32_e32 v1, 0xffff, v1
	v_mov_b64_e32 v[122:123], 0x7f80000100000000
	s_mov_b32 s31, exec_lo
	s_delay_alu instid0(VALU_DEP_2) | instskip(NEXT) | instid1(VALU_DEP_1)
	v_and_b32_e32 v2, 0x7f, v1
	v_cmpx_ne_u32_e32 0x7f, v2
	s_cbranch_execz .LBB197_215
; %bb.212:                              ;   in Loop: Header=BB197_9 Depth=1
	v_dual_lshrrev_b32 v1, 3, v2 :: v_dual_bitop2_b32 v66, 7, v1 bitop3:0x40
	s_mov_b32 s33, exec_lo
	v_cmpx_gt_u32_e32 8, v2
; %bb.213:                              ;   in Loop: Header=BB197_9 Depth=1
	s_delay_alu instid0(VALU_DEP_2) | instskip(NEXT) | instid1(VALU_DEP_1)
	v_clz_i32_u32_e32 v1, v66
	v_min_u32_e32 v1, 32, v1
	s_delay_alu instid0(VALU_DEP_1) | instskip(NEXT) | instid1(VALU_DEP_1)
	v_subrev_nc_u32_e32 v2, 28, v1
	v_lshlrev_b64_e32 v[2:3], v2, v[66:67]
	s_delay_alu instid0(VALU_DEP_1)
	v_dual_sub_nc_u32 v1, 29, v1 :: v_dual_bitop2_b32 v66, 7, v2 bitop3:0x40
; %bb.214:                              ;   in Loop: Header=BB197_9 Depth=1
	s_or_b32 exec_lo, exec_lo, s33
	s_delay_alu instid0(VALU_DEP_1) | instskip(NEXT) | instid1(VALU_DEP_2)
	v_dual_lshlrev_b32 v0, 16, v0 :: v_dual_lshlrev_b32 v2, 20, v66
	v_lshl_add_u32 v1, v1, 23, 0x3c000000
	v_mov_b32_e32 v122, v67
	s_delay_alu instid0(VALU_DEP_3) | instskip(NEXT) | instid1(VALU_DEP_1)
	v_and_b32_e32 v0, 0x80000000, v0
	v_or3_b32 v123, v2, v0, v1
.LBB197_215:                            ;   in Loop: Header=BB197_9 Depth=1
	s_or_b32 exec_lo, exec_lo, s31
.LBB197_216:                            ;   in Loop: Header=BB197_9 Depth=1
	s_delay_alu instid0(SALU_CYCLE_1)
	s_or_b32 exec_lo, exec_lo, s30
.LBB197_217:                            ;   in Loop: Header=BB197_9 Depth=1
	s_delay_alu instid0(SALU_CYCLE_1)
	s_or_b32 exec_lo, exec_lo, s29
	global_load_u16 v1, v[80:81], off offset:772
	v_mov_b64_e32 v[126:127], 0
	v_mov_b64_e32 v[68:69], 0
	s_mov_b32 s29, exec_lo
	s_wait_loadcnt 0x0
	v_and_b32_e32 v0, 0xffff, v1
	v_and_b32_e32 v1, 0xff, v1
	s_wait_xcnt 0x0
	s_delay_alu instid0(VALU_DEP_1)
	v_cmpx_ne_u16_e32 0, v1
	s_cbranch_execz .LBB197_225
; %bb.218:                              ;   in Loop: Header=BB197_9 Depth=1
	v_mov_b64_e32 v[68:69], 0x80000000
	v_and_b32_e32 v1, 0xff, v0
	s_mov_b32 s30, exec_lo
	s_delay_alu instid0(VALU_DEP_1)
	v_cmpx_ne_u16_e32 0x80, v1
	s_cbranch_execz .LBB197_224
; %bb.219:                              ;   in Loop: Header=BB197_9 Depth=1
	v_mov_b64_e32 v[68:69], 0x7f800001
	v_and_b32_e32 v2, 0x7f, v0
	s_mov_b32 s31, exec_lo
	s_delay_alu instid0(VALU_DEP_1)
	v_cmpx_ne_u32_e32 0x7f, v2
	s_cbranch_execz .LBB197_223
; %bb.220:                              ;   in Loop: Header=BB197_9 Depth=1
	v_dual_lshrrev_b32 v1, 3, v2 :: v_dual_bitop2_b32 v66, 7, v0 bitop3:0x40
	s_mov_b32 s33, exec_lo
	v_cmpx_gt_u32_e32 8, v2
; %bb.221:                              ;   in Loop: Header=BB197_9 Depth=1
	s_delay_alu instid0(VALU_DEP_2) | instskip(NEXT) | instid1(VALU_DEP_1)
	v_clz_i32_u32_e32 v1, v66
	v_min_u32_e32 v1, 32, v1
	s_delay_alu instid0(VALU_DEP_1) | instskip(NEXT) | instid1(VALU_DEP_1)
	v_subrev_nc_u32_e32 v2, 28, v1
	v_lshlrev_b64_e32 v[2:3], v2, v[66:67]
	s_delay_alu instid0(VALU_DEP_1)
	v_dual_sub_nc_u32 v1, 29, v1 :: v_dual_bitop2_b32 v66, 7, v2 bitop3:0x40
; %bb.222:                              ;   in Loop: Header=BB197_9 Depth=1
	s_or_b32 exec_lo, exec_lo, s33
	s_delay_alu instid0(VALU_DEP_1) | instskip(NEXT) | instid1(VALU_DEP_2)
	v_dual_lshlrev_b32 v2, 24, v0 :: v_dual_lshlrev_b32 v3, 20, v66
	v_lshl_add_u32 v1, v1, 23, 0x3c000000
	s_delay_alu instid0(VALU_DEP_2) | instskip(NEXT) | instid1(VALU_DEP_1)
	v_and_b32_e32 v2, 0x80000000, v2
	v_or3_b32 v66, v3, v2, v1
	s_delay_alu instid0(VALU_DEP_1)
	v_mov_b64_e32 v[68:69], v[66:67]
.LBB197_223:                            ;   in Loop: Header=BB197_9 Depth=1
	s_or_b32 exec_lo, exec_lo, s31
.LBB197_224:                            ;   in Loop: Header=BB197_9 Depth=1
	s_delay_alu instid0(SALU_CYCLE_1)
	s_or_b32 exec_lo, exec_lo, s30
.LBB197_225:                            ;   in Loop: Header=BB197_9 Depth=1
	s_delay_alu instid0(SALU_CYCLE_1) | instskip(SKIP_2) | instid1(VALU_DEP_1)
	s_or_b32 exec_lo, exec_lo, s29
	v_lshrrev_b16 v1, 8, v0
	s_mov_b32 s29, exec_lo
	v_cmpx_ne_u16_e32 0, v1
	s_cbranch_execz .LBB197_233
; %bb.226:                              ;   in Loop: Header=BB197_9 Depth=1
	v_mov_b64_e32 v[126:127], 0x8000000000000000
	s_mov_b32 s30, exec_lo
	v_cmpx_ne_u16_e32 0x80, v1
	s_cbranch_execz .LBB197_232
; %bb.227:                              ;   in Loop: Header=BB197_9 Depth=1
	v_and_b32_e32 v1, 0xffff, v1
	v_mov_b64_e32 v[126:127], 0x7f80000100000000
	s_mov_b32 s31, exec_lo
	s_delay_alu instid0(VALU_DEP_2) | instskip(NEXT) | instid1(VALU_DEP_1)
	v_and_b32_e32 v2, 0x7f, v1
	v_cmpx_ne_u32_e32 0x7f, v2
	s_cbranch_execz .LBB197_231
; %bb.228:                              ;   in Loop: Header=BB197_9 Depth=1
	v_dual_lshrrev_b32 v1, 3, v2 :: v_dual_bitop2_b32 v66, 7, v1 bitop3:0x40
	s_mov_b32 s33, exec_lo
	v_cmpx_gt_u32_e32 8, v2
; %bb.229:                              ;   in Loop: Header=BB197_9 Depth=1
	s_delay_alu instid0(VALU_DEP_2) | instskip(NEXT) | instid1(VALU_DEP_1)
	v_clz_i32_u32_e32 v1, v66
	v_min_u32_e32 v1, 32, v1
	s_delay_alu instid0(VALU_DEP_1) | instskip(NEXT) | instid1(VALU_DEP_1)
	v_subrev_nc_u32_e32 v2, 28, v1
	v_lshlrev_b64_e32 v[2:3], v2, v[66:67]
	s_delay_alu instid0(VALU_DEP_1)
	v_dual_sub_nc_u32 v1, 29, v1 :: v_dual_bitop2_b32 v66, 7, v2 bitop3:0x40
; %bb.230:                              ;   in Loop: Header=BB197_9 Depth=1
	s_or_b32 exec_lo, exec_lo, s33
	s_delay_alu instid0(VALU_DEP_1) | instskip(NEXT) | instid1(VALU_DEP_2)
	v_dual_lshlrev_b32 v0, 16, v0 :: v_dual_lshlrev_b32 v2, 20, v66
	v_lshl_add_u32 v1, v1, 23, 0x3c000000
	v_mov_b32_e32 v126, v67
	s_delay_alu instid0(VALU_DEP_3) | instskip(NEXT) | instid1(VALU_DEP_1)
	v_and_b32_e32 v0, 0x80000000, v0
	v_or3_b32 v127, v2, v0, v1
.LBB197_231:                            ;   in Loop: Header=BB197_9 Depth=1
	s_or_b32 exec_lo, exec_lo, s31
.LBB197_232:                            ;   in Loop: Header=BB197_9 Depth=1
	s_delay_alu instid0(SALU_CYCLE_1)
	s_or_b32 exec_lo, exec_lo, s30
.LBB197_233:                            ;   in Loop: Header=BB197_9 Depth=1
	s_delay_alu instid0(SALU_CYCLE_1)
	s_or_b32 exec_lo, exec_lo, s29
	global_load_u16 v0, v[80:81], off offset:776
	v_mov_b64_e32 v[2:3], 0
	s_wait_loadcnt 0x0
	v_and_b32_e32 v4, 0xffff, v0
	v_and_b32_e32 v0, 0xff, v0
	s_delay_alu instid0(VALU_DEP_1)
	v_cmp_ne_u16_e64 s5, 0, v0
	v_mov_b64_e32 v[0:1], 0
	s_wait_xcnt 0x0
	s_and_saveexec_b32 s29, s5
	s_cbranch_execz .LBB197_241
; %bb.234:                              ;   in Loop: Header=BB197_9 Depth=1
	v_and_b32_e32 v2, 0xff, v4
	s_delay_alu instid0(VALU_DEP_1)
	v_cmp_ne_u16_e64 s5, 0x80, v2
	v_mov_b64_e32 v[2:3], 0x80000000
	s_and_saveexec_b32 s30, s5
	s_cbranch_execz .LBB197_240
; %bb.235:                              ;   in Loop: Header=BB197_9 Depth=1
	v_mov_b64_e32 v[2:3], 0x7f800001
	v_and_b32_e32 v5, 0x7f, v4
	s_mov_b32 s31, exec_lo
	s_delay_alu instid0(VALU_DEP_1)
	v_cmpx_ne_u32_e32 0x7f, v5
	s_cbranch_execz .LBB197_239
; %bb.236:                              ;   in Loop: Header=BB197_9 Depth=1
	v_dual_lshrrev_b32 v2, 3, v5 :: v_dual_bitop2_b32 v66, 7, v4 bitop3:0x40
	s_mov_b32 s33, exec_lo
	v_cmpx_gt_u32_e32 8, v5
; %bb.237:                              ;   in Loop: Header=BB197_9 Depth=1
	s_delay_alu instid0(VALU_DEP_2) | instskip(NEXT) | instid1(VALU_DEP_1)
	v_clz_i32_u32_e32 v2, v66
	v_min_u32_e32 v2, 32, v2
	s_delay_alu instid0(VALU_DEP_1) | instskip(SKIP_1) | instid1(VALU_DEP_2)
	v_subrev_nc_u32_e32 v3, 28, v2
	v_sub_nc_u32_e32 v2, 29, v2
	v_lshlrev_b64_e32 v[6:7], v3, v[66:67]
	s_delay_alu instid0(VALU_DEP_1)
	v_and_b32_e32 v66, 7, v6
; %bb.238:                              ;   in Loop: Header=BB197_9 Depth=1
	s_or_b32 exec_lo, exec_lo, s33
	s_delay_alu instid0(VALU_DEP_1) | instskip(SKIP_1) | instid1(VALU_DEP_2)
	v_dual_lshlrev_b32 v3, 24, v4 :: v_dual_lshlrev_b32 v5, 20, v66
	v_lshl_add_u32 v2, v2, 23, 0x3c000000
	v_and_b32_e32 v3, 0x80000000, v3
	s_delay_alu instid0(VALU_DEP_1) | instskip(NEXT) | instid1(VALU_DEP_1)
	v_or3_b32 v66, v5, v3, v2
	v_mov_b64_e32 v[2:3], v[66:67]
.LBB197_239:                            ;   in Loop: Header=BB197_9 Depth=1
	s_or_b32 exec_lo, exec_lo, s31
.LBB197_240:                            ;   in Loop: Header=BB197_9 Depth=1
	s_delay_alu instid0(SALU_CYCLE_1)
	s_or_b32 exec_lo, exec_lo, s30
.LBB197_241:                            ;   in Loop: Header=BB197_9 Depth=1
	s_delay_alu instid0(SALU_CYCLE_1) | instskip(SKIP_2) | instid1(VALU_DEP_1)
	s_or_b32 exec_lo, exec_lo, s29
	v_lshrrev_b16 v5, 8, v4
	s_mov_b32 s29, exec_lo
	v_cmpx_ne_u16_e32 0, v5
	s_cbranch_execz .LBB197_249
; %bb.242:                              ;   in Loop: Header=BB197_9 Depth=1
	v_mov_b64_e32 v[0:1], 0x8000000000000000
	s_mov_b32 s30, exec_lo
	v_cmpx_ne_u16_e32 0x80, v5
	s_cbranch_execz .LBB197_248
; %bb.243:                              ;   in Loop: Header=BB197_9 Depth=1
	v_and_b32_e32 v6, 0xffff, v5
	v_mov_b64_e32 v[0:1], 0x7f80000100000000
	s_mov_b32 s31, exec_lo
	s_delay_alu instid0(VALU_DEP_2) | instskip(NEXT) | instid1(VALU_DEP_1)
	v_and_b32_e32 v5, 0x7f, v6
	v_cmpx_ne_u32_e32 0x7f, v5
	s_cbranch_execz .LBB197_247
; %bb.244:                              ;   in Loop: Header=BB197_9 Depth=1
	v_dual_lshrrev_b32 v0, 3, v5 :: v_dual_bitop2_b32 v66, 7, v6 bitop3:0x40
	s_mov_b32 s33, exec_lo
	v_cmpx_gt_u32_e32 8, v5
; %bb.245:                              ;   in Loop: Header=BB197_9 Depth=1
	s_delay_alu instid0(VALU_DEP_2) | instskip(NEXT) | instid1(VALU_DEP_1)
	v_clz_i32_u32_e32 v0, v66
	v_min_u32_e32 v0, 32, v0
	s_delay_alu instid0(VALU_DEP_1) | instskip(NEXT) | instid1(VALU_DEP_1)
	v_subrev_nc_u32_e32 v1, 28, v0
	v_lshlrev_b64_e32 v[6:7], v1, v[66:67]
	s_delay_alu instid0(VALU_DEP_1)
	v_dual_sub_nc_u32 v0, 29, v0 :: v_dual_bitop2_b32 v66, 7, v6 bitop3:0x40
; %bb.246:                              ;   in Loop: Header=BB197_9 Depth=1
	s_or_b32 exec_lo, exec_lo, s33
	s_delay_alu instid0(VALU_DEP_1) | instskip(NEXT) | instid1(VALU_DEP_2)
	v_dual_lshlrev_b32 v1, 16, v4 :: v_dual_lshlrev_b32 v4, 20, v66
	v_lshl_add_u32 v0, v0, 23, 0x3c000000
	s_delay_alu instid0(VALU_DEP_2) | instskip(NEXT) | instid1(VALU_DEP_1)
	v_and_b32_e32 v1, 0x80000000, v1
	v_or3_b32 v1, v4, v1, v0
	v_mov_b32_e32 v0, v67
.LBB197_247:                            ;   in Loop: Header=BB197_9 Depth=1
	s_or_b32 exec_lo, exec_lo, s31
.LBB197_248:                            ;   in Loop: Header=BB197_9 Depth=1
	s_delay_alu instid0(SALU_CYCLE_1)
	s_or_b32 exec_lo, exec_lo, s30
.LBB197_249:                            ;   in Loop: Header=BB197_9 Depth=1
	s_delay_alu instid0(SALU_CYCLE_1)
	s_or_b32 exec_lo, exec_lo, s29
	global_load_u16 v4, v[80:81], off offset:780
	v_mov_b64_e32 v[6:7], 0
	s_wait_loadcnt 0x0
	v_and_b32_e32 v8, 0xffff, v4
	v_and_b32_e32 v4, 0xff, v4
	s_delay_alu instid0(VALU_DEP_1)
	v_cmp_ne_u16_e64 s5, 0, v4
	v_mov_b64_e32 v[4:5], 0
	s_wait_xcnt 0x0
	s_and_saveexec_b32 s29, s5
	s_cbranch_execz .LBB197_257
; %bb.250:                              ;   in Loop: Header=BB197_9 Depth=1
	v_and_b32_e32 v6, 0xff, v8
	s_delay_alu instid0(VALU_DEP_1)
	v_cmp_ne_u16_e64 s5, 0x80, v6
	v_mov_b64_e32 v[6:7], 0x80000000
	s_and_saveexec_b32 s30, s5
	s_cbranch_execz .LBB197_256
; %bb.251:                              ;   in Loop: Header=BB197_9 Depth=1
	v_mov_b64_e32 v[6:7], 0x7f800001
	v_and_b32_e32 v9, 0x7f, v8
	s_mov_b32 s31, exec_lo
	s_delay_alu instid0(VALU_DEP_1)
	v_cmpx_ne_u32_e32 0x7f, v9
	s_cbranch_execz .LBB197_255
; %bb.252:                              ;   in Loop: Header=BB197_9 Depth=1
	v_dual_lshrrev_b32 v6, 3, v9 :: v_dual_bitop2_b32 v66, 7, v8 bitop3:0x40
	s_mov_b32 s33, exec_lo
	v_cmpx_gt_u32_e32 8, v9
; %bb.253:                              ;   in Loop: Header=BB197_9 Depth=1
	s_delay_alu instid0(VALU_DEP_2) | instskip(NEXT) | instid1(VALU_DEP_1)
	v_clz_i32_u32_e32 v6, v66
	v_min_u32_e32 v6, 32, v6
	s_delay_alu instid0(VALU_DEP_1) | instskip(SKIP_1) | instid1(VALU_DEP_2)
	v_subrev_nc_u32_e32 v7, 28, v6
	v_sub_nc_u32_e32 v6, 29, v6
	v_lshlrev_b64_e32 v[10:11], v7, v[66:67]
	s_delay_alu instid0(VALU_DEP_1)
	v_and_b32_e32 v66, 7, v10
; %bb.254:                              ;   in Loop: Header=BB197_9 Depth=1
	s_or_b32 exec_lo, exec_lo, s33
	s_delay_alu instid0(VALU_DEP_1) | instskip(SKIP_1) | instid1(VALU_DEP_2)
	v_dual_lshlrev_b32 v7, 24, v8 :: v_dual_lshlrev_b32 v9, 20, v66
	v_lshl_add_u32 v6, v6, 23, 0x3c000000
	v_and_b32_e32 v7, 0x80000000, v7
	s_delay_alu instid0(VALU_DEP_1) | instskip(NEXT) | instid1(VALU_DEP_1)
	v_or3_b32 v66, v9, v7, v6
	v_mov_b64_e32 v[6:7], v[66:67]
.LBB197_255:                            ;   in Loop: Header=BB197_9 Depth=1
	s_or_b32 exec_lo, exec_lo, s31
.LBB197_256:                            ;   in Loop: Header=BB197_9 Depth=1
	s_delay_alu instid0(SALU_CYCLE_1)
	s_or_b32 exec_lo, exec_lo, s30
.LBB197_257:                            ;   in Loop: Header=BB197_9 Depth=1
	s_delay_alu instid0(SALU_CYCLE_1) | instskip(SKIP_2) | instid1(VALU_DEP_1)
	s_or_b32 exec_lo, exec_lo, s29
	v_lshrrev_b16 v9, 8, v8
	s_mov_b32 s29, exec_lo
	v_cmpx_ne_u16_e32 0, v9
	s_cbranch_execz .LBB197_265
; %bb.258:                              ;   in Loop: Header=BB197_9 Depth=1
	v_mov_b64_e32 v[4:5], 0x8000000000000000
	s_mov_b32 s30, exec_lo
	v_cmpx_ne_u16_e32 0x80, v9
	s_cbranch_execz .LBB197_264
; %bb.259:                              ;   in Loop: Header=BB197_9 Depth=1
	v_and_b32_e32 v10, 0xffff, v9
	v_mov_b64_e32 v[4:5], 0x7f80000100000000
	s_mov_b32 s31, exec_lo
	s_delay_alu instid0(VALU_DEP_2) | instskip(NEXT) | instid1(VALU_DEP_1)
	v_and_b32_e32 v9, 0x7f, v10
	v_cmpx_ne_u32_e32 0x7f, v9
	s_cbranch_execz .LBB197_263
; %bb.260:                              ;   in Loop: Header=BB197_9 Depth=1
	v_dual_lshrrev_b32 v4, 3, v9 :: v_dual_bitop2_b32 v66, 7, v10 bitop3:0x40
	s_mov_b32 s33, exec_lo
	v_cmpx_gt_u32_e32 8, v9
; %bb.261:                              ;   in Loop: Header=BB197_9 Depth=1
	s_delay_alu instid0(VALU_DEP_2) | instskip(NEXT) | instid1(VALU_DEP_1)
	v_clz_i32_u32_e32 v4, v66
	v_min_u32_e32 v4, 32, v4
	s_delay_alu instid0(VALU_DEP_1) | instskip(NEXT) | instid1(VALU_DEP_1)
	v_subrev_nc_u32_e32 v5, 28, v4
	v_lshlrev_b64_e32 v[10:11], v5, v[66:67]
	s_delay_alu instid0(VALU_DEP_1)
	v_dual_sub_nc_u32 v4, 29, v4 :: v_dual_bitop2_b32 v66, 7, v10 bitop3:0x40
; %bb.262:                              ;   in Loop: Header=BB197_9 Depth=1
	s_or_b32 exec_lo, exec_lo, s33
	s_delay_alu instid0(VALU_DEP_1) | instskip(NEXT) | instid1(VALU_DEP_2)
	v_dual_lshlrev_b32 v5, 16, v8 :: v_dual_lshlrev_b32 v8, 20, v66
	v_lshl_add_u32 v4, v4, 23, 0x3c000000
	s_delay_alu instid0(VALU_DEP_2) | instskip(NEXT) | instid1(VALU_DEP_1)
	v_and_b32_e32 v5, 0x80000000, v5
	v_or3_b32 v5, v8, v5, v4
	v_mov_b32_e32 v4, v67
.LBB197_263:                            ;   in Loop: Header=BB197_9 Depth=1
	s_or_b32 exec_lo, exec_lo, s31
.LBB197_264:                            ;   in Loop: Header=BB197_9 Depth=1
	s_delay_alu instid0(SALU_CYCLE_1)
	s_or_b32 exec_lo, exec_lo, s30
.LBB197_265:                            ;   in Loop: Header=BB197_9 Depth=1
	s_delay_alu instid0(SALU_CYCLE_1)
	s_or_b32 exec_lo, exec_lo, s29
	global_load_u16 v8, v[80:81], off offset:1024
	v_mov_b64_e32 v[10:11], 0
	s_wait_loadcnt 0x0
	v_and_b32_e32 v12, 0xffff, v8
	v_and_b32_e32 v8, 0xff, v8
	s_delay_alu instid0(VALU_DEP_1)
	v_cmp_ne_u16_e64 s5, 0, v8
	v_mov_b64_e32 v[8:9], 0
	s_wait_xcnt 0x0
	s_and_saveexec_b32 s29, s5
	s_cbranch_execz .LBB197_273
; %bb.266:                              ;   in Loop: Header=BB197_9 Depth=1
	v_and_b32_e32 v10, 0xff, v12
	s_delay_alu instid0(VALU_DEP_1)
	v_cmp_ne_u16_e64 s5, 0x80, v10
	v_mov_b64_e32 v[10:11], 0x80000000
	s_and_saveexec_b32 s30, s5
	s_cbranch_execz .LBB197_272
; %bb.267:                              ;   in Loop: Header=BB197_9 Depth=1
	v_mov_b64_e32 v[10:11], 0x7f800001
	v_and_b32_e32 v13, 0x7f, v12
	s_mov_b32 s31, exec_lo
	s_delay_alu instid0(VALU_DEP_1)
	v_cmpx_ne_u32_e32 0x7f, v13
	s_cbranch_execz .LBB197_271
; %bb.268:                              ;   in Loop: Header=BB197_9 Depth=1
	v_dual_lshrrev_b32 v10, 3, v13 :: v_dual_bitop2_b32 v66, 7, v12 bitop3:0x40
	s_mov_b32 s33, exec_lo
	v_cmpx_gt_u32_e32 8, v13
; %bb.269:                              ;   in Loop: Header=BB197_9 Depth=1
	s_delay_alu instid0(VALU_DEP_2) | instskip(NEXT) | instid1(VALU_DEP_1)
	v_clz_i32_u32_e32 v10, v66
	v_min_u32_e32 v10, 32, v10
	s_delay_alu instid0(VALU_DEP_1) | instskip(SKIP_1) | instid1(VALU_DEP_2)
	v_subrev_nc_u32_e32 v11, 28, v10
	v_sub_nc_u32_e32 v10, 29, v10
	v_lshlrev_b64_e32 v[14:15], v11, v[66:67]
	s_delay_alu instid0(VALU_DEP_1)
	v_and_b32_e32 v66, 7, v14
; %bb.270:                              ;   in Loop: Header=BB197_9 Depth=1
	s_or_b32 exec_lo, exec_lo, s33
	s_delay_alu instid0(VALU_DEP_1) | instskip(SKIP_1) | instid1(VALU_DEP_2)
	v_dual_lshlrev_b32 v11, 24, v12 :: v_dual_lshlrev_b32 v13, 20, v66
	v_lshl_add_u32 v10, v10, 23, 0x3c000000
	v_and_b32_e32 v11, 0x80000000, v11
	s_delay_alu instid0(VALU_DEP_1) | instskip(NEXT) | instid1(VALU_DEP_1)
	v_or3_b32 v66, v13, v11, v10
	v_mov_b64_e32 v[10:11], v[66:67]
.LBB197_271:                            ;   in Loop: Header=BB197_9 Depth=1
	s_or_b32 exec_lo, exec_lo, s31
.LBB197_272:                            ;   in Loop: Header=BB197_9 Depth=1
	s_delay_alu instid0(SALU_CYCLE_1)
	s_or_b32 exec_lo, exec_lo, s30
.LBB197_273:                            ;   in Loop: Header=BB197_9 Depth=1
	s_delay_alu instid0(SALU_CYCLE_1) | instskip(SKIP_2) | instid1(VALU_DEP_1)
	s_or_b32 exec_lo, exec_lo, s29
	v_lshrrev_b16 v13, 8, v12
	s_mov_b32 s29, exec_lo
	v_cmpx_ne_u16_e32 0, v13
	s_cbranch_execz .LBB197_281
; %bb.274:                              ;   in Loop: Header=BB197_9 Depth=1
	v_mov_b64_e32 v[8:9], 0x8000000000000000
	s_mov_b32 s30, exec_lo
	v_cmpx_ne_u16_e32 0x80, v13
	s_cbranch_execz .LBB197_280
; %bb.275:                              ;   in Loop: Header=BB197_9 Depth=1
	v_and_b32_e32 v14, 0xffff, v13
	v_mov_b64_e32 v[8:9], 0x7f80000100000000
	s_mov_b32 s31, exec_lo
	s_delay_alu instid0(VALU_DEP_2) | instskip(NEXT) | instid1(VALU_DEP_1)
	v_and_b32_e32 v13, 0x7f, v14
	v_cmpx_ne_u32_e32 0x7f, v13
	s_cbranch_execz .LBB197_279
; %bb.276:                              ;   in Loop: Header=BB197_9 Depth=1
	v_dual_lshrrev_b32 v8, 3, v13 :: v_dual_bitop2_b32 v66, 7, v14 bitop3:0x40
	s_mov_b32 s33, exec_lo
	v_cmpx_gt_u32_e32 8, v13
; %bb.277:                              ;   in Loop: Header=BB197_9 Depth=1
	s_delay_alu instid0(VALU_DEP_2) | instskip(NEXT) | instid1(VALU_DEP_1)
	v_clz_i32_u32_e32 v8, v66
	v_min_u32_e32 v8, 32, v8
	s_delay_alu instid0(VALU_DEP_1) | instskip(NEXT) | instid1(VALU_DEP_1)
	v_subrev_nc_u32_e32 v9, 28, v8
	v_lshlrev_b64_e32 v[14:15], v9, v[66:67]
	s_delay_alu instid0(VALU_DEP_1)
	v_dual_sub_nc_u32 v8, 29, v8 :: v_dual_bitop2_b32 v66, 7, v14 bitop3:0x40
; %bb.278:                              ;   in Loop: Header=BB197_9 Depth=1
	s_or_b32 exec_lo, exec_lo, s33
	s_delay_alu instid0(VALU_DEP_1) | instskip(NEXT) | instid1(VALU_DEP_2)
	v_dual_lshlrev_b32 v9, 16, v12 :: v_dual_lshlrev_b32 v12, 20, v66
	v_lshl_add_u32 v8, v8, 23, 0x3c000000
	s_delay_alu instid0(VALU_DEP_2) | instskip(NEXT) | instid1(VALU_DEP_1)
	v_and_b32_e32 v9, 0x80000000, v9
	v_or3_b32 v9, v12, v9, v8
	v_mov_b32_e32 v8, v67
.LBB197_279:                            ;   in Loop: Header=BB197_9 Depth=1
	s_or_b32 exec_lo, exec_lo, s31
.LBB197_280:                            ;   in Loop: Header=BB197_9 Depth=1
	s_delay_alu instid0(SALU_CYCLE_1)
	s_or_b32 exec_lo, exec_lo, s30
.LBB197_281:                            ;   in Loop: Header=BB197_9 Depth=1
	s_delay_alu instid0(SALU_CYCLE_1)
	s_or_b32 exec_lo, exec_lo, s29
	global_load_u16 v12, v[80:81], off offset:1028
	v_mov_b64_e32 v[14:15], 0
	s_wait_loadcnt 0x0
	v_and_b32_e32 v16, 0xffff, v12
	v_and_b32_e32 v12, 0xff, v12
	s_delay_alu instid0(VALU_DEP_1)
	v_cmp_ne_u16_e64 s5, 0, v12
	v_mov_b64_e32 v[12:13], 0
	s_wait_xcnt 0x0
	s_and_saveexec_b32 s29, s5
	s_cbranch_execz .LBB197_289
; %bb.282:                              ;   in Loop: Header=BB197_9 Depth=1
	v_and_b32_e32 v14, 0xff, v16
	s_delay_alu instid0(VALU_DEP_1)
	v_cmp_ne_u16_e64 s5, 0x80, v14
	v_mov_b64_e32 v[14:15], 0x80000000
	s_and_saveexec_b32 s30, s5
	s_cbranch_execz .LBB197_288
; %bb.283:                              ;   in Loop: Header=BB197_9 Depth=1
	v_mov_b64_e32 v[14:15], 0x7f800001
	v_and_b32_e32 v17, 0x7f, v16
	s_mov_b32 s31, exec_lo
	s_delay_alu instid0(VALU_DEP_1)
	v_cmpx_ne_u32_e32 0x7f, v17
	s_cbranch_execz .LBB197_287
; %bb.284:                              ;   in Loop: Header=BB197_9 Depth=1
	v_dual_lshrrev_b32 v14, 3, v17 :: v_dual_bitop2_b32 v66, 7, v16 bitop3:0x40
	s_mov_b32 s33, exec_lo
	v_cmpx_gt_u32_e32 8, v17
; %bb.285:                              ;   in Loop: Header=BB197_9 Depth=1
	s_delay_alu instid0(VALU_DEP_2) | instskip(NEXT) | instid1(VALU_DEP_1)
	v_clz_i32_u32_e32 v14, v66
	v_min_u32_e32 v14, 32, v14
	s_delay_alu instid0(VALU_DEP_1) | instskip(SKIP_1) | instid1(VALU_DEP_2)
	v_subrev_nc_u32_e32 v15, 28, v14
	v_sub_nc_u32_e32 v14, 29, v14
	v_lshlrev_b64_e32 v[18:19], v15, v[66:67]
	s_delay_alu instid0(VALU_DEP_1)
	v_and_b32_e32 v66, 7, v18
; %bb.286:                              ;   in Loop: Header=BB197_9 Depth=1
	s_or_b32 exec_lo, exec_lo, s33
	s_delay_alu instid0(VALU_DEP_1) | instskip(SKIP_1) | instid1(VALU_DEP_2)
	v_dual_lshlrev_b32 v15, 24, v16 :: v_dual_lshlrev_b32 v17, 20, v66
	v_lshl_add_u32 v14, v14, 23, 0x3c000000
	v_and_b32_e32 v15, 0x80000000, v15
	s_delay_alu instid0(VALU_DEP_1) | instskip(NEXT) | instid1(VALU_DEP_1)
	v_or3_b32 v66, v17, v15, v14
	v_mov_b64_e32 v[14:15], v[66:67]
.LBB197_287:                            ;   in Loop: Header=BB197_9 Depth=1
	s_or_b32 exec_lo, exec_lo, s31
.LBB197_288:                            ;   in Loop: Header=BB197_9 Depth=1
	s_delay_alu instid0(SALU_CYCLE_1)
	s_or_b32 exec_lo, exec_lo, s30
.LBB197_289:                            ;   in Loop: Header=BB197_9 Depth=1
	s_delay_alu instid0(SALU_CYCLE_1) | instskip(SKIP_2) | instid1(VALU_DEP_1)
	s_or_b32 exec_lo, exec_lo, s29
	v_lshrrev_b16 v17, 8, v16
	s_mov_b32 s29, exec_lo
	v_cmpx_ne_u16_e32 0, v17
	s_cbranch_execz .LBB197_297
; %bb.290:                              ;   in Loop: Header=BB197_9 Depth=1
	v_mov_b64_e32 v[12:13], 0x8000000000000000
	s_mov_b32 s30, exec_lo
	v_cmpx_ne_u16_e32 0x80, v17
	s_cbranch_execz .LBB197_296
; %bb.291:                              ;   in Loop: Header=BB197_9 Depth=1
	v_and_b32_e32 v18, 0xffff, v17
	v_mov_b64_e32 v[12:13], 0x7f80000100000000
	s_mov_b32 s31, exec_lo
	s_delay_alu instid0(VALU_DEP_2) | instskip(NEXT) | instid1(VALU_DEP_1)
	v_and_b32_e32 v17, 0x7f, v18
	v_cmpx_ne_u32_e32 0x7f, v17
	s_cbranch_execz .LBB197_295
; %bb.292:                              ;   in Loop: Header=BB197_9 Depth=1
	v_dual_lshrrev_b32 v12, 3, v17 :: v_dual_bitop2_b32 v66, 7, v18 bitop3:0x40
	s_mov_b32 s33, exec_lo
	v_cmpx_gt_u32_e32 8, v17
; %bb.293:                              ;   in Loop: Header=BB197_9 Depth=1
	s_delay_alu instid0(VALU_DEP_2) | instskip(NEXT) | instid1(VALU_DEP_1)
	v_clz_i32_u32_e32 v12, v66
	v_min_u32_e32 v12, 32, v12
	s_delay_alu instid0(VALU_DEP_1) | instskip(NEXT) | instid1(VALU_DEP_1)
	v_subrev_nc_u32_e32 v13, 28, v12
	v_lshlrev_b64_e32 v[18:19], v13, v[66:67]
	s_delay_alu instid0(VALU_DEP_1)
	v_dual_sub_nc_u32 v12, 29, v12 :: v_dual_bitop2_b32 v66, 7, v18 bitop3:0x40
; %bb.294:                              ;   in Loop: Header=BB197_9 Depth=1
	s_or_b32 exec_lo, exec_lo, s33
	s_delay_alu instid0(VALU_DEP_1) | instskip(NEXT) | instid1(VALU_DEP_2)
	v_dual_lshlrev_b32 v13, 16, v16 :: v_dual_lshlrev_b32 v16, 20, v66
	v_lshl_add_u32 v12, v12, 23, 0x3c000000
	s_delay_alu instid0(VALU_DEP_2) | instskip(NEXT) | instid1(VALU_DEP_1)
	v_and_b32_e32 v13, 0x80000000, v13
	v_or3_b32 v13, v16, v13, v12
	v_mov_b32_e32 v12, v67
.LBB197_295:                            ;   in Loop: Header=BB197_9 Depth=1
	s_or_b32 exec_lo, exec_lo, s31
.LBB197_296:                            ;   in Loop: Header=BB197_9 Depth=1
	s_delay_alu instid0(SALU_CYCLE_1)
	s_or_b32 exec_lo, exec_lo, s30
.LBB197_297:                            ;   in Loop: Header=BB197_9 Depth=1
	s_delay_alu instid0(SALU_CYCLE_1)
	s_or_b32 exec_lo, exec_lo, s29
	global_load_u16 v16, v[80:81], off offset:1032
	v_mov_b64_e32 v[18:19], 0
	s_wait_loadcnt 0x0
	v_and_b32_e32 v20, 0xffff, v16
	v_and_b32_e32 v16, 0xff, v16
	s_delay_alu instid0(VALU_DEP_1)
	v_cmp_ne_u16_e64 s5, 0, v16
	v_mov_b64_e32 v[16:17], 0
	s_wait_xcnt 0x0
	s_and_saveexec_b32 s29, s5
	s_cbranch_execz .LBB197_305
; %bb.298:                              ;   in Loop: Header=BB197_9 Depth=1
	v_and_b32_e32 v18, 0xff, v20
	s_delay_alu instid0(VALU_DEP_1)
	v_cmp_ne_u16_e64 s5, 0x80, v18
	v_mov_b64_e32 v[18:19], 0x80000000
	s_and_saveexec_b32 s30, s5
	s_cbranch_execz .LBB197_304
; %bb.299:                              ;   in Loop: Header=BB197_9 Depth=1
	v_mov_b64_e32 v[18:19], 0x7f800001
	v_and_b32_e32 v21, 0x7f, v20
	s_mov_b32 s31, exec_lo
	s_delay_alu instid0(VALU_DEP_1)
	v_cmpx_ne_u32_e32 0x7f, v21
	s_cbranch_execz .LBB197_303
; %bb.300:                              ;   in Loop: Header=BB197_9 Depth=1
	v_dual_lshrrev_b32 v18, 3, v21 :: v_dual_bitop2_b32 v66, 7, v20 bitop3:0x40
	s_mov_b32 s33, exec_lo
	v_cmpx_gt_u32_e32 8, v21
; %bb.301:                              ;   in Loop: Header=BB197_9 Depth=1
	s_delay_alu instid0(VALU_DEP_2) | instskip(NEXT) | instid1(VALU_DEP_1)
	v_clz_i32_u32_e32 v18, v66
	v_min_u32_e32 v18, 32, v18
	s_delay_alu instid0(VALU_DEP_1) | instskip(SKIP_1) | instid1(VALU_DEP_2)
	v_subrev_nc_u32_e32 v19, 28, v18
	v_sub_nc_u32_e32 v18, 29, v18
	v_lshlrev_b64_e32 v[22:23], v19, v[66:67]
	s_delay_alu instid0(VALU_DEP_1)
	v_and_b32_e32 v66, 7, v22
; %bb.302:                              ;   in Loop: Header=BB197_9 Depth=1
	s_or_b32 exec_lo, exec_lo, s33
	s_delay_alu instid0(VALU_DEP_1) | instskip(SKIP_1) | instid1(VALU_DEP_2)
	v_dual_lshlrev_b32 v19, 24, v20 :: v_dual_lshlrev_b32 v21, 20, v66
	v_lshl_add_u32 v18, v18, 23, 0x3c000000
	v_and_b32_e32 v19, 0x80000000, v19
	s_delay_alu instid0(VALU_DEP_1) | instskip(NEXT) | instid1(VALU_DEP_1)
	v_or3_b32 v66, v21, v19, v18
	v_mov_b64_e32 v[18:19], v[66:67]
.LBB197_303:                            ;   in Loop: Header=BB197_9 Depth=1
	s_or_b32 exec_lo, exec_lo, s31
.LBB197_304:                            ;   in Loop: Header=BB197_9 Depth=1
	s_delay_alu instid0(SALU_CYCLE_1)
	s_or_b32 exec_lo, exec_lo, s30
.LBB197_305:                            ;   in Loop: Header=BB197_9 Depth=1
	s_delay_alu instid0(SALU_CYCLE_1) | instskip(SKIP_2) | instid1(VALU_DEP_1)
	s_or_b32 exec_lo, exec_lo, s29
	v_lshrrev_b16 v21, 8, v20
	s_mov_b32 s29, exec_lo
	v_cmpx_ne_u16_e32 0, v21
	s_cbranch_execz .LBB197_313
; %bb.306:                              ;   in Loop: Header=BB197_9 Depth=1
	v_mov_b64_e32 v[16:17], 0x8000000000000000
	s_mov_b32 s30, exec_lo
	v_cmpx_ne_u16_e32 0x80, v21
	s_cbranch_execz .LBB197_312
; %bb.307:                              ;   in Loop: Header=BB197_9 Depth=1
	v_and_b32_e32 v22, 0xffff, v21
	v_mov_b64_e32 v[16:17], 0x7f80000100000000
	s_mov_b32 s31, exec_lo
	s_delay_alu instid0(VALU_DEP_2) | instskip(NEXT) | instid1(VALU_DEP_1)
	v_and_b32_e32 v21, 0x7f, v22
	v_cmpx_ne_u32_e32 0x7f, v21
	s_cbranch_execz .LBB197_311
; %bb.308:                              ;   in Loop: Header=BB197_9 Depth=1
	v_dual_lshrrev_b32 v16, 3, v21 :: v_dual_bitop2_b32 v66, 7, v22 bitop3:0x40
	s_mov_b32 s33, exec_lo
	v_cmpx_gt_u32_e32 8, v21
; %bb.309:                              ;   in Loop: Header=BB197_9 Depth=1
	s_delay_alu instid0(VALU_DEP_2) | instskip(NEXT) | instid1(VALU_DEP_1)
	v_clz_i32_u32_e32 v16, v66
	v_min_u32_e32 v16, 32, v16
	s_delay_alu instid0(VALU_DEP_1) | instskip(NEXT) | instid1(VALU_DEP_1)
	v_subrev_nc_u32_e32 v17, 28, v16
	v_lshlrev_b64_e32 v[22:23], v17, v[66:67]
	s_delay_alu instid0(VALU_DEP_1)
	v_dual_sub_nc_u32 v16, 29, v16 :: v_dual_bitop2_b32 v66, 7, v22 bitop3:0x40
; %bb.310:                              ;   in Loop: Header=BB197_9 Depth=1
	s_or_b32 exec_lo, exec_lo, s33
	s_delay_alu instid0(VALU_DEP_1) | instskip(NEXT) | instid1(VALU_DEP_2)
	v_dual_lshlrev_b32 v17, 16, v20 :: v_dual_lshlrev_b32 v20, 20, v66
	v_lshl_add_u32 v16, v16, 23, 0x3c000000
	s_delay_alu instid0(VALU_DEP_2) | instskip(NEXT) | instid1(VALU_DEP_1)
	v_and_b32_e32 v17, 0x80000000, v17
	v_or3_b32 v17, v20, v17, v16
	v_mov_b32_e32 v16, v67
.LBB197_311:                            ;   in Loop: Header=BB197_9 Depth=1
	s_or_b32 exec_lo, exec_lo, s31
.LBB197_312:                            ;   in Loop: Header=BB197_9 Depth=1
	s_delay_alu instid0(SALU_CYCLE_1)
	s_or_b32 exec_lo, exec_lo, s30
.LBB197_313:                            ;   in Loop: Header=BB197_9 Depth=1
	s_delay_alu instid0(SALU_CYCLE_1)
	s_or_b32 exec_lo, exec_lo, s29
	global_load_u16 v21, v[80:81], off offset:1036
	v_mov_b64_e32 v[24:25], 0
	v_mov_b64_e32 v[26:27], 0
	s_mov_b32 s29, exec_lo
	s_wait_loadcnt 0x0
	v_and_b32_e32 v20, 0xffff, v21
	v_and_b32_e32 v21, 0xff, v21
	s_wait_xcnt 0x0
	s_delay_alu instid0(VALU_DEP_1)
	v_cmpx_ne_u16_e32 0, v21
	s_cbranch_execz .LBB197_321
; %bb.314:                              ;   in Loop: Header=BB197_9 Depth=1
	v_mov_b64_e32 v[26:27], 0x80000000
	v_and_b32_e32 v21, 0xff, v20
	s_mov_b32 s30, exec_lo
	s_delay_alu instid0(VALU_DEP_1)
	v_cmpx_ne_u16_e32 0x80, v21
	s_cbranch_execz .LBB197_320
; %bb.315:                              ;   in Loop: Header=BB197_9 Depth=1
	v_mov_b64_e32 v[26:27], 0x7f800001
	v_and_b32_e32 v22, 0x7f, v20
	s_mov_b32 s31, exec_lo
	s_delay_alu instid0(VALU_DEP_1)
	v_cmpx_ne_u32_e32 0x7f, v22
	s_cbranch_execz .LBB197_319
; %bb.316:                              ;   in Loop: Header=BB197_9 Depth=1
	v_dual_lshrrev_b32 v21, 3, v22 :: v_dual_bitop2_b32 v66, 7, v20 bitop3:0x40
	s_mov_b32 s33, exec_lo
	v_cmpx_gt_u32_e32 8, v22
; %bb.317:                              ;   in Loop: Header=BB197_9 Depth=1
	s_delay_alu instid0(VALU_DEP_2) | instskip(NEXT) | instid1(VALU_DEP_1)
	v_clz_i32_u32_e32 v21, v66
	v_min_u32_e32 v21, 32, v21
	s_delay_alu instid0(VALU_DEP_1) | instskip(NEXT) | instid1(VALU_DEP_1)
	v_subrev_nc_u32_e32 v22, 28, v21
	v_lshlrev_b64_e32 v[22:23], v22, v[66:67]
	s_delay_alu instid0(VALU_DEP_1)
	v_dual_sub_nc_u32 v21, 29, v21 :: v_dual_bitop2_b32 v66, 7, v22 bitop3:0x40
; %bb.318:                              ;   in Loop: Header=BB197_9 Depth=1
	s_or_b32 exec_lo, exec_lo, s33
	s_delay_alu instid0(VALU_DEP_1) | instskip(NEXT) | instid1(VALU_DEP_2)
	v_dual_lshlrev_b32 v22, 24, v20 :: v_dual_lshlrev_b32 v23, 20, v66
	v_lshl_add_u32 v21, v21, 23, 0x3c000000
	s_delay_alu instid0(VALU_DEP_2) | instskip(NEXT) | instid1(VALU_DEP_1)
	v_and_b32_e32 v22, 0x80000000, v22
	v_or3_b32 v66, v23, v22, v21
	s_delay_alu instid0(VALU_DEP_1)
	v_mov_b64_e32 v[26:27], v[66:67]
.LBB197_319:                            ;   in Loop: Header=BB197_9 Depth=1
	s_or_b32 exec_lo, exec_lo, s31
.LBB197_320:                            ;   in Loop: Header=BB197_9 Depth=1
	s_delay_alu instid0(SALU_CYCLE_1)
	s_or_b32 exec_lo, exec_lo, s30
.LBB197_321:                            ;   in Loop: Header=BB197_9 Depth=1
	s_delay_alu instid0(SALU_CYCLE_1) | instskip(SKIP_2) | instid1(VALU_DEP_1)
	s_or_b32 exec_lo, exec_lo, s29
	v_lshrrev_b16 v21, 8, v20
	s_mov_b32 s29, exec_lo
	v_cmpx_ne_u16_e32 0, v21
	s_cbranch_execz .LBB197_329
; %bb.322:                              ;   in Loop: Header=BB197_9 Depth=1
	v_mov_b64_e32 v[24:25], 0x8000000000000000
	s_mov_b32 s30, exec_lo
	v_cmpx_ne_u16_e32 0x80, v21
	s_cbranch_execz .LBB197_328
; %bb.323:                              ;   in Loop: Header=BB197_9 Depth=1
	v_and_b32_e32 v21, 0xffff, v21
	v_mov_b64_e32 v[24:25], 0x7f80000100000000
	s_mov_b32 s31, exec_lo
	s_delay_alu instid0(VALU_DEP_2) | instskip(NEXT) | instid1(VALU_DEP_1)
	v_and_b32_e32 v22, 0x7f, v21
	v_cmpx_ne_u32_e32 0x7f, v22
	s_cbranch_execz .LBB197_327
; %bb.324:                              ;   in Loop: Header=BB197_9 Depth=1
	v_dual_lshrrev_b32 v21, 3, v22 :: v_dual_bitop2_b32 v66, 7, v21 bitop3:0x40
	s_mov_b32 s33, exec_lo
	v_cmpx_gt_u32_e32 8, v22
; %bb.325:                              ;   in Loop: Header=BB197_9 Depth=1
	s_delay_alu instid0(VALU_DEP_2) | instskip(NEXT) | instid1(VALU_DEP_1)
	v_clz_i32_u32_e32 v21, v66
	v_min_u32_e32 v21, 32, v21
	s_delay_alu instid0(VALU_DEP_1) | instskip(NEXT) | instid1(VALU_DEP_1)
	v_subrev_nc_u32_e32 v22, 28, v21
	v_lshlrev_b64_e32 v[22:23], v22, v[66:67]
	s_delay_alu instid0(VALU_DEP_1)
	v_dual_sub_nc_u32 v21, 29, v21 :: v_dual_bitop2_b32 v66, 7, v22 bitop3:0x40
; %bb.326:                              ;   in Loop: Header=BB197_9 Depth=1
	s_or_b32 exec_lo, exec_lo, s33
	s_delay_alu instid0(VALU_DEP_1) | instskip(NEXT) | instid1(VALU_DEP_2)
	v_dual_lshlrev_b32 v20, 16, v20 :: v_dual_lshlrev_b32 v22, 20, v66
	v_lshl_add_u32 v21, v21, 23, 0x3c000000
	v_mov_b32_e32 v24, v67
	s_delay_alu instid0(VALU_DEP_3) | instskip(NEXT) | instid1(VALU_DEP_1)
	v_and_b32_e32 v20, 0x80000000, v20
	v_or3_b32 v25, v22, v20, v21
.LBB197_327:                            ;   in Loop: Header=BB197_9 Depth=1
	s_or_b32 exec_lo, exec_lo, s31
.LBB197_328:                            ;   in Loop: Header=BB197_9 Depth=1
	s_delay_alu instid0(SALU_CYCLE_1)
	s_or_b32 exec_lo, exec_lo, s30
.LBB197_329:                            ;   in Loop: Header=BB197_9 Depth=1
	s_delay_alu instid0(SALU_CYCLE_1)
	s_or_b32 exec_lo, exec_lo, s29
	global_load_u16 v20, v[80:81], off offset:1280
	v_mov_b64_e32 v[22:23], 0
	s_wait_loadcnt 0x0
	v_and_b32_e32 v28, 0xffff, v20
	v_and_b32_e32 v20, 0xff, v20
	s_delay_alu instid0(VALU_DEP_1)
	v_cmp_ne_u16_e64 s5, 0, v20
	v_mov_b64_e32 v[20:21], 0
	s_wait_xcnt 0x0
	s_and_saveexec_b32 s29, s5
	s_cbranch_execz .LBB197_337
; %bb.330:                              ;   in Loop: Header=BB197_9 Depth=1
	v_and_b32_e32 v22, 0xff, v28
	s_delay_alu instid0(VALU_DEP_1)
	v_cmp_ne_u16_e64 s5, 0x80, v22
	v_mov_b64_e32 v[22:23], 0x80000000
	s_and_saveexec_b32 s30, s5
	s_cbranch_execz .LBB197_336
; %bb.331:                              ;   in Loop: Header=BB197_9 Depth=1
	v_mov_b64_e32 v[22:23], 0x7f800001
	v_and_b32_e32 v29, 0x7f, v28
	s_mov_b32 s31, exec_lo
	s_delay_alu instid0(VALU_DEP_1)
	v_cmpx_ne_u32_e32 0x7f, v29
	s_cbranch_execz .LBB197_335
; %bb.332:                              ;   in Loop: Header=BB197_9 Depth=1
	v_dual_lshrrev_b32 v22, 3, v29 :: v_dual_bitop2_b32 v66, 7, v28 bitop3:0x40
	s_mov_b32 s33, exec_lo
	v_cmpx_gt_u32_e32 8, v29
; %bb.333:                              ;   in Loop: Header=BB197_9 Depth=1
	s_delay_alu instid0(VALU_DEP_2) | instskip(NEXT) | instid1(VALU_DEP_1)
	v_clz_i32_u32_e32 v22, v66
	v_min_u32_e32 v22, 32, v22
	s_delay_alu instid0(VALU_DEP_1) | instskip(SKIP_1) | instid1(VALU_DEP_2)
	v_subrev_nc_u32_e32 v23, 28, v22
	v_sub_nc_u32_e32 v22, 29, v22
	v_lshlrev_b64_e32 v[30:31], v23, v[66:67]
	s_delay_alu instid0(VALU_DEP_1)
	v_and_b32_e32 v66, 7, v30
; %bb.334:                              ;   in Loop: Header=BB197_9 Depth=1
	s_or_b32 exec_lo, exec_lo, s33
	s_delay_alu instid0(VALU_DEP_1) | instskip(SKIP_1) | instid1(VALU_DEP_2)
	v_dual_lshlrev_b32 v23, 24, v28 :: v_dual_lshlrev_b32 v29, 20, v66
	v_lshl_add_u32 v22, v22, 23, 0x3c000000
	v_and_b32_e32 v23, 0x80000000, v23
	s_delay_alu instid0(VALU_DEP_1) | instskip(NEXT) | instid1(VALU_DEP_1)
	v_or3_b32 v66, v29, v23, v22
	v_mov_b64_e32 v[22:23], v[66:67]
.LBB197_335:                            ;   in Loop: Header=BB197_9 Depth=1
	s_or_b32 exec_lo, exec_lo, s31
.LBB197_336:                            ;   in Loop: Header=BB197_9 Depth=1
	s_delay_alu instid0(SALU_CYCLE_1)
	s_or_b32 exec_lo, exec_lo, s30
.LBB197_337:                            ;   in Loop: Header=BB197_9 Depth=1
	s_delay_alu instid0(SALU_CYCLE_1) | instskip(SKIP_2) | instid1(VALU_DEP_1)
	s_or_b32 exec_lo, exec_lo, s29
	v_lshrrev_b16 v29, 8, v28
	s_mov_b32 s29, exec_lo
	v_cmpx_ne_u16_e32 0, v29
	s_cbranch_execz .LBB197_345
; %bb.338:                              ;   in Loop: Header=BB197_9 Depth=1
	v_mov_b64_e32 v[20:21], 0x8000000000000000
	s_mov_b32 s30, exec_lo
	v_cmpx_ne_u16_e32 0x80, v29
	s_cbranch_execz .LBB197_344
; %bb.339:                              ;   in Loop: Header=BB197_9 Depth=1
	v_and_b32_e32 v30, 0xffff, v29
	v_mov_b64_e32 v[20:21], 0x7f80000100000000
	s_mov_b32 s31, exec_lo
	s_delay_alu instid0(VALU_DEP_2) | instskip(NEXT) | instid1(VALU_DEP_1)
	v_and_b32_e32 v29, 0x7f, v30
	v_cmpx_ne_u32_e32 0x7f, v29
	s_cbranch_execz .LBB197_343
; %bb.340:                              ;   in Loop: Header=BB197_9 Depth=1
	v_dual_lshrrev_b32 v20, 3, v29 :: v_dual_bitop2_b32 v66, 7, v30 bitop3:0x40
	s_mov_b32 s33, exec_lo
	v_cmpx_gt_u32_e32 8, v29
; %bb.341:                              ;   in Loop: Header=BB197_9 Depth=1
	s_delay_alu instid0(VALU_DEP_2) | instskip(NEXT) | instid1(VALU_DEP_1)
	v_clz_i32_u32_e32 v20, v66
	v_min_u32_e32 v20, 32, v20
	s_delay_alu instid0(VALU_DEP_1) | instskip(NEXT) | instid1(VALU_DEP_1)
	v_subrev_nc_u32_e32 v21, 28, v20
	v_lshlrev_b64_e32 v[30:31], v21, v[66:67]
	s_delay_alu instid0(VALU_DEP_1)
	v_dual_sub_nc_u32 v20, 29, v20 :: v_dual_bitop2_b32 v66, 7, v30 bitop3:0x40
; %bb.342:                              ;   in Loop: Header=BB197_9 Depth=1
	s_or_b32 exec_lo, exec_lo, s33
	s_delay_alu instid0(VALU_DEP_1) | instskip(NEXT) | instid1(VALU_DEP_2)
	v_dual_lshlrev_b32 v21, 16, v28 :: v_dual_lshlrev_b32 v28, 20, v66
	v_lshl_add_u32 v20, v20, 23, 0x3c000000
	s_delay_alu instid0(VALU_DEP_2) | instskip(NEXT) | instid1(VALU_DEP_1)
	v_and_b32_e32 v21, 0x80000000, v21
	v_or3_b32 v21, v28, v21, v20
	v_mov_b32_e32 v20, v67
.LBB197_343:                            ;   in Loop: Header=BB197_9 Depth=1
	s_or_b32 exec_lo, exec_lo, s31
.LBB197_344:                            ;   in Loop: Header=BB197_9 Depth=1
	s_delay_alu instid0(SALU_CYCLE_1)
	s_or_b32 exec_lo, exec_lo, s30
.LBB197_345:                            ;   in Loop: Header=BB197_9 Depth=1
	s_delay_alu instid0(SALU_CYCLE_1)
	s_or_b32 exec_lo, exec_lo, s29
	global_load_u16 v28, v[80:81], off offset:1284
	v_mov_b64_e32 v[30:31], 0
	s_wait_loadcnt 0x0
	v_and_b32_e32 v32, 0xffff, v28
	v_and_b32_e32 v28, 0xff, v28
	s_delay_alu instid0(VALU_DEP_1)
	v_cmp_ne_u16_e64 s5, 0, v28
	v_mov_b64_e32 v[28:29], 0
	s_wait_xcnt 0x0
	s_and_saveexec_b32 s29, s5
	s_cbranch_execz .LBB197_353
; %bb.346:                              ;   in Loop: Header=BB197_9 Depth=1
	v_and_b32_e32 v30, 0xff, v32
	s_delay_alu instid0(VALU_DEP_1)
	v_cmp_ne_u16_e64 s5, 0x80, v30
	v_mov_b64_e32 v[30:31], 0x80000000
	s_and_saveexec_b32 s30, s5
	s_cbranch_execz .LBB197_352
; %bb.347:                              ;   in Loop: Header=BB197_9 Depth=1
	v_mov_b64_e32 v[30:31], 0x7f800001
	v_and_b32_e32 v33, 0x7f, v32
	s_mov_b32 s31, exec_lo
	s_delay_alu instid0(VALU_DEP_1)
	v_cmpx_ne_u32_e32 0x7f, v33
	s_cbranch_execz .LBB197_351
; %bb.348:                              ;   in Loop: Header=BB197_9 Depth=1
	v_dual_lshrrev_b32 v30, 3, v33 :: v_dual_bitop2_b32 v66, 7, v32 bitop3:0x40
	s_mov_b32 s33, exec_lo
	v_cmpx_gt_u32_e32 8, v33
; %bb.349:                              ;   in Loop: Header=BB197_9 Depth=1
	s_delay_alu instid0(VALU_DEP_2) | instskip(NEXT) | instid1(VALU_DEP_1)
	v_clz_i32_u32_e32 v30, v66
	v_min_u32_e32 v30, 32, v30
	s_delay_alu instid0(VALU_DEP_1) | instskip(SKIP_1) | instid1(VALU_DEP_2)
	v_subrev_nc_u32_e32 v31, 28, v30
	v_sub_nc_u32_e32 v30, 29, v30
	v_lshlrev_b64_e32 v[34:35], v31, v[66:67]
	s_delay_alu instid0(VALU_DEP_1)
	v_and_b32_e32 v66, 7, v34
; %bb.350:                              ;   in Loop: Header=BB197_9 Depth=1
	s_or_b32 exec_lo, exec_lo, s33
	s_delay_alu instid0(VALU_DEP_1) | instskip(SKIP_1) | instid1(VALU_DEP_2)
	v_dual_lshlrev_b32 v31, 24, v32 :: v_dual_lshlrev_b32 v33, 20, v66
	v_lshl_add_u32 v30, v30, 23, 0x3c000000
	v_and_b32_e32 v31, 0x80000000, v31
	s_delay_alu instid0(VALU_DEP_1) | instskip(NEXT) | instid1(VALU_DEP_1)
	v_or3_b32 v66, v33, v31, v30
	v_mov_b64_e32 v[30:31], v[66:67]
.LBB197_351:                            ;   in Loop: Header=BB197_9 Depth=1
	s_or_b32 exec_lo, exec_lo, s31
.LBB197_352:                            ;   in Loop: Header=BB197_9 Depth=1
	s_delay_alu instid0(SALU_CYCLE_1)
	s_or_b32 exec_lo, exec_lo, s30
.LBB197_353:                            ;   in Loop: Header=BB197_9 Depth=1
	s_delay_alu instid0(SALU_CYCLE_1) | instskip(SKIP_2) | instid1(VALU_DEP_1)
	s_or_b32 exec_lo, exec_lo, s29
	v_lshrrev_b16 v33, 8, v32
	s_mov_b32 s29, exec_lo
	v_cmpx_ne_u16_e32 0, v33
	s_cbranch_execz .LBB197_361
; %bb.354:                              ;   in Loop: Header=BB197_9 Depth=1
	v_mov_b64_e32 v[28:29], 0x8000000000000000
	s_mov_b32 s30, exec_lo
	v_cmpx_ne_u16_e32 0x80, v33
	s_cbranch_execz .LBB197_360
; %bb.355:                              ;   in Loop: Header=BB197_9 Depth=1
	v_and_b32_e32 v34, 0xffff, v33
	v_mov_b64_e32 v[28:29], 0x7f80000100000000
	s_mov_b32 s31, exec_lo
	s_delay_alu instid0(VALU_DEP_2) | instskip(NEXT) | instid1(VALU_DEP_1)
	v_and_b32_e32 v33, 0x7f, v34
	v_cmpx_ne_u32_e32 0x7f, v33
	s_cbranch_execz .LBB197_359
; %bb.356:                              ;   in Loop: Header=BB197_9 Depth=1
	v_dual_lshrrev_b32 v28, 3, v33 :: v_dual_bitop2_b32 v66, 7, v34 bitop3:0x40
	s_mov_b32 s33, exec_lo
	v_cmpx_gt_u32_e32 8, v33
; %bb.357:                              ;   in Loop: Header=BB197_9 Depth=1
	s_delay_alu instid0(VALU_DEP_2) | instskip(NEXT) | instid1(VALU_DEP_1)
	v_clz_i32_u32_e32 v28, v66
	v_min_u32_e32 v28, 32, v28
	s_delay_alu instid0(VALU_DEP_1) | instskip(NEXT) | instid1(VALU_DEP_1)
	v_subrev_nc_u32_e32 v29, 28, v28
	v_lshlrev_b64_e32 v[34:35], v29, v[66:67]
	s_delay_alu instid0(VALU_DEP_1)
	v_dual_sub_nc_u32 v28, 29, v28 :: v_dual_bitop2_b32 v66, 7, v34 bitop3:0x40
; %bb.358:                              ;   in Loop: Header=BB197_9 Depth=1
	s_or_b32 exec_lo, exec_lo, s33
	s_delay_alu instid0(VALU_DEP_1) | instskip(NEXT) | instid1(VALU_DEP_2)
	v_dual_lshlrev_b32 v29, 16, v32 :: v_dual_lshlrev_b32 v32, 20, v66
	v_lshl_add_u32 v28, v28, 23, 0x3c000000
	s_delay_alu instid0(VALU_DEP_2) | instskip(NEXT) | instid1(VALU_DEP_1)
	v_and_b32_e32 v29, 0x80000000, v29
	v_or3_b32 v29, v32, v29, v28
	v_mov_b32_e32 v28, v67
.LBB197_359:                            ;   in Loop: Header=BB197_9 Depth=1
	s_or_b32 exec_lo, exec_lo, s31
.LBB197_360:                            ;   in Loop: Header=BB197_9 Depth=1
	s_delay_alu instid0(SALU_CYCLE_1)
	s_or_b32 exec_lo, exec_lo, s30
.LBB197_361:                            ;   in Loop: Header=BB197_9 Depth=1
	s_delay_alu instid0(SALU_CYCLE_1)
	s_or_b32 exec_lo, exec_lo, s29
	global_load_u16 v32, v[80:81], off offset:1288
	v_mov_b64_e32 v[34:35], 0
	s_wait_loadcnt 0x0
	v_and_b32_e32 v36, 0xffff, v32
	v_and_b32_e32 v32, 0xff, v32
	s_delay_alu instid0(VALU_DEP_1)
	v_cmp_ne_u16_e64 s5, 0, v32
	v_mov_b64_e32 v[32:33], 0
	s_wait_xcnt 0x0
	s_and_saveexec_b32 s29, s5
	s_cbranch_execz .LBB197_369
; %bb.362:                              ;   in Loop: Header=BB197_9 Depth=1
	v_and_b32_e32 v34, 0xff, v36
	s_delay_alu instid0(VALU_DEP_1)
	v_cmp_ne_u16_e64 s5, 0x80, v34
	v_mov_b64_e32 v[34:35], 0x80000000
	s_and_saveexec_b32 s30, s5
	s_cbranch_execz .LBB197_368
; %bb.363:                              ;   in Loop: Header=BB197_9 Depth=1
	v_mov_b64_e32 v[34:35], 0x7f800001
	v_and_b32_e32 v37, 0x7f, v36
	s_mov_b32 s31, exec_lo
	s_delay_alu instid0(VALU_DEP_1)
	v_cmpx_ne_u32_e32 0x7f, v37
	s_cbranch_execz .LBB197_367
; %bb.364:                              ;   in Loop: Header=BB197_9 Depth=1
	v_dual_lshrrev_b32 v34, 3, v37 :: v_dual_bitop2_b32 v66, 7, v36 bitop3:0x40
	s_mov_b32 s33, exec_lo
	v_cmpx_gt_u32_e32 8, v37
; %bb.365:                              ;   in Loop: Header=BB197_9 Depth=1
	s_delay_alu instid0(VALU_DEP_2) | instskip(NEXT) | instid1(VALU_DEP_1)
	v_clz_i32_u32_e32 v34, v66
	v_min_u32_e32 v34, 32, v34
	s_delay_alu instid0(VALU_DEP_1) | instskip(SKIP_1) | instid1(VALU_DEP_2)
	v_subrev_nc_u32_e32 v35, 28, v34
	v_sub_nc_u32_e32 v34, 29, v34
	v_lshlrev_b64_e32 v[38:39], v35, v[66:67]
	s_delay_alu instid0(VALU_DEP_1)
	v_and_b32_e32 v66, 7, v38
; %bb.366:                              ;   in Loop: Header=BB197_9 Depth=1
	s_or_b32 exec_lo, exec_lo, s33
	s_delay_alu instid0(VALU_DEP_1) | instskip(SKIP_1) | instid1(VALU_DEP_2)
	v_dual_lshlrev_b32 v35, 24, v36 :: v_dual_lshlrev_b32 v37, 20, v66
	v_lshl_add_u32 v34, v34, 23, 0x3c000000
	v_and_b32_e32 v35, 0x80000000, v35
	s_delay_alu instid0(VALU_DEP_1) | instskip(NEXT) | instid1(VALU_DEP_1)
	v_or3_b32 v66, v37, v35, v34
	v_mov_b64_e32 v[34:35], v[66:67]
.LBB197_367:                            ;   in Loop: Header=BB197_9 Depth=1
	s_or_b32 exec_lo, exec_lo, s31
.LBB197_368:                            ;   in Loop: Header=BB197_9 Depth=1
	s_delay_alu instid0(SALU_CYCLE_1)
	s_or_b32 exec_lo, exec_lo, s30
.LBB197_369:                            ;   in Loop: Header=BB197_9 Depth=1
	s_delay_alu instid0(SALU_CYCLE_1) | instskip(SKIP_2) | instid1(VALU_DEP_1)
	s_or_b32 exec_lo, exec_lo, s29
	v_lshrrev_b16 v37, 8, v36
	s_mov_b32 s29, exec_lo
	v_cmpx_ne_u16_e32 0, v37
	s_cbranch_execz .LBB197_377
; %bb.370:                              ;   in Loop: Header=BB197_9 Depth=1
	v_mov_b64_e32 v[32:33], 0x8000000000000000
	s_mov_b32 s30, exec_lo
	v_cmpx_ne_u16_e32 0x80, v37
	s_cbranch_execz .LBB197_376
; %bb.371:                              ;   in Loop: Header=BB197_9 Depth=1
	v_and_b32_e32 v38, 0xffff, v37
	v_mov_b64_e32 v[32:33], 0x7f80000100000000
	s_mov_b32 s31, exec_lo
	s_delay_alu instid0(VALU_DEP_2) | instskip(NEXT) | instid1(VALU_DEP_1)
	v_and_b32_e32 v37, 0x7f, v38
	v_cmpx_ne_u32_e32 0x7f, v37
	s_cbranch_execz .LBB197_375
; %bb.372:                              ;   in Loop: Header=BB197_9 Depth=1
	v_dual_lshrrev_b32 v32, 3, v37 :: v_dual_bitop2_b32 v66, 7, v38 bitop3:0x40
	s_mov_b32 s33, exec_lo
	v_cmpx_gt_u32_e32 8, v37
; %bb.373:                              ;   in Loop: Header=BB197_9 Depth=1
	s_delay_alu instid0(VALU_DEP_2) | instskip(NEXT) | instid1(VALU_DEP_1)
	v_clz_i32_u32_e32 v32, v66
	v_min_u32_e32 v32, 32, v32
	s_delay_alu instid0(VALU_DEP_1) | instskip(NEXT) | instid1(VALU_DEP_1)
	v_subrev_nc_u32_e32 v33, 28, v32
	v_lshlrev_b64_e32 v[38:39], v33, v[66:67]
	s_delay_alu instid0(VALU_DEP_1)
	v_dual_sub_nc_u32 v32, 29, v32 :: v_dual_bitop2_b32 v66, 7, v38 bitop3:0x40
; %bb.374:                              ;   in Loop: Header=BB197_9 Depth=1
	s_or_b32 exec_lo, exec_lo, s33
	s_delay_alu instid0(VALU_DEP_1) | instskip(NEXT) | instid1(VALU_DEP_2)
	v_dual_lshlrev_b32 v33, 16, v36 :: v_dual_lshlrev_b32 v36, 20, v66
	v_lshl_add_u32 v32, v32, 23, 0x3c000000
	s_delay_alu instid0(VALU_DEP_2) | instskip(NEXT) | instid1(VALU_DEP_1)
	v_and_b32_e32 v33, 0x80000000, v33
	v_or3_b32 v33, v36, v33, v32
	v_mov_b32_e32 v32, v67
.LBB197_375:                            ;   in Loop: Header=BB197_9 Depth=1
	s_or_b32 exec_lo, exec_lo, s31
.LBB197_376:                            ;   in Loop: Header=BB197_9 Depth=1
	s_delay_alu instid0(SALU_CYCLE_1)
	s_or_b32 exec_lo, exec_lo, s30
.LBB197_377:                            ;   in Loop: Header=BB197_9 Depth=1
	s_delay_alu instid0(SALU_CYCLE_1)
	s_or_b32 exec_lo, exec_lo, s29
	global_load_u16 v36, v[80:81], off offset:1292
	v_mov_b64_e32 v[38:39], 0
	s_wait_loadcnt 0x0
	v_and_b32_e32 v40, 0xffff, v36
	v_and_b32_e32 v36, 0xff, v36
	s_delay_alu instid0(VALU_DEP_1)
	v_cmp_ne_u16_e64 s5, 0, v36
	v_mov_b64_e32 v[36:37], 0
	s_wait_xcnt 0x0
	s_and_saveexec_b32 s29, s5
	s_cbranch_execz .LBB197_385
; %bb.378:                              ;   in Loop: Header=BB197_9 Depth=1
	v_and_b32_e32 v38, 0xff, v40
	s_delay_alu instid0(VALU_DEP_1)
	v_cmp_ne_u16_e64 s5, 0x80, v38
	v_mov_b64_e32 v[38:39], 0x80000000
	s_and_saveexec_b32 s30, s5
	s_cbranch_execz .LBB197_384
; %bb.379:                              ;   in Loop: Header=BB197_9 Depth=1
	v_mov_b64_e32 v[38:39], 0x7f800001
	v_and_b32_e32 v41, 0x7f, v40
	s_mov_b32 s31, exec_lo
	s_delay_alu instid0(VALU_DEP_1)
	v_cmpx_ne_u32_e32 0x7f, v41
	s_cbranch_execz .LBB197_383
; %bb.380:                              ;   in Loop: Header=BB197_9 Depth=1
	v_dual_lshrrev_b32 v38, 3, v41 :: v_dual_bitop2_b32 v66, 7, v40 bitop3:0x40
	s_mov_b32 s33, exec_lo
	v_cmpx_gt_u32_e32 8, v41
; %bb.381:                              ;   in Loop: Header=BB197_9 Depth=1
	s_delay_alu instid0(VALU_DEP_2) | instskip(NEXT) | instid1(VALU_DEP_1)
	v_clz_i32_u32_e32 v38, v66
	v_min_u32_e32 v38, 32, v38
	s_delay_alu instid0(VALU_DEP_1) | instskip(SKIP_1) | instid1(VALU_DEP_2)
	v_subrev_nc_u32_e32 v39, 28, v38
	v_sub_nc_u32_e32 v38, 29, v38
	v_lshlrev_b64_e32 v[42:43], v39, v[66:67]
	s_delay_alu instid0(VALU_DEP_1)
	v_and_b32_e32 v66, 7, v42
; %bb.382:                              ;   in Loop: Header=BB197_9 Depth=1
	s_or_b32 exec_lo, exec_lo, s33
	s_delay_alu instid0(VALU_DEP_1) | instskip(SKIP_1) | instid1(VALU_DEP_2)
	v_dual_lshlrev_b32 v39, 24, v40 :: v_dual_lshlrev_b32 v41, 20, v66
	v_lshl_add_u32 v38, v38, 23, 0x3c000000
	v_and_b32_e32 v39, 0x80000000, v39
	s_delay_alu instid0(VALU_DEP_1) | instskip(NEXT) | instid1(VALU_DEP_1)
	v_or3_b32 v66, v41, v39, v38
	v_mov_b64_e32 v[38:39], v[66:67]
.LBB197_383:                            ;   in Loop: Header=BB197_9 Depth=1
	s_or_b32 exec_lo, exec_lo, s31
.LBB197_384:                            ;   in Loop: Header=BB197_9 Depth=1
	s_delay_alu instid0(SALU_CYCLE_1)
	s_or_b32 exec_lo, exec_lo, s30
.LBB197_385:                            ;   in Loop: Header=BB197_9 Depth=1
	s_delay_alu instid0(SALU_CYCLE_1) | instskip(SKIP_2) | instid1(VALU_DEP_1)
	s_or_b32 exec_lo, exec_lo, s29
	v_lshrrev_b16 v41, 8, v40
	s_mov_b32 s29, exec_lo
	v_cmpx_ne_u16_e32 0, v41
	s_cbranch_execz .LBB197_393
; %bb.386:                              ;   in Loop: Header=BB197_9 Depth=1
	v_mov_b64_e32 v[36:37], 0x8000000000000000
	s_mov_b32 s30, exec_lo
	v_cmpx_ne_u16_e32 0x80, v41
	s_cbranch_execz .LBB197_392
; %bb.387:                              ;   in Loop: Header=BB197_9 Depth=1
	v_and_b32_e32 v42, 0xffff, v41
	v_mov_b64_e32 v[36:37], 0x7f80000100000000
	s_mov_b32 s31, exec_lo
	s_delay_alu instid0(VALU_DEP_2) | instskip(NEXT) | instid1(VALU_DEP_1)
	v_and_b32_e32 v41, 0x7f, v42
	v_cmpx_ne_u32_e32 0x7f, v41
	s_cbranch_execz .LBB197_391
; %bb.388:                              ;   in Loop: Header=BB197_9 Depth=1
	v_dual_lshrrev_b32 v36, 3, v41 :: v_dual_bitop2_b32 v66, 7, v42 bitop3:0x40
	s_mov_b32 s33, exec_lo
	v_cmpx_gt_u32_e32 8, v41
; %bb.389:                              ;   in Loop: Header=BB197_9 Depth=1
	s_delay_alu instid0(VALU_DEP_2) | instskip(NEXT) | instid1(VALU_DEP_1)
	v_clz_i32_u32_e32 v36, v66
	v_min_u32_e32 v36, 32, v36
	s_delay_alu instid0(VALU_DEP_1) | instskip(NEXT) | instid1(VALU_DEP_1)
	v_subrev_nc_u32_e32 v37, 28, v36
	v_lshlrev_b64_e32 v[42:43], v37, v[66:67]
	s_delay_alu instid0(VALU_DEP_1)
	v_dual_sub_nc_u32 v36, 29, v36 :: v_dual_bitop2_b32 v66, 7, v42 bitop3:0x40
; %bb.390:                              ;   in Loop: Header=BB197_9 Depth=1
	s_or_b32 exec_lo, exec_lo, s33
	s_delay_alu instid0(VALU_DEP_1) | instskip(NEXT) | instid1(VALU_DEP_2)
	v_dual_lshlrev_b32 v37, 16, v40 :: v_dual_lshlrev_b32 v40, 20, v66
	v_lshl_add_u32 v36, v36, 23, 0x3c000000
	s_delay_alu instid0(VALU_DEP_2) | instskip(NEXT) | instid1(VALU_DEP_1)
	v_and_b32_e32 v37, 0x80000000, v37
	v_or3_b32 v37, v40, v37, v36
	v_mov_b32_e32 v36, v67
.LBB197_391:                            ;   in Loop: Header=BB197_9 Depth=1
	s_or_b32 exec_lo, exec_lo, s31
.LBB197_392:                            ;   in Loop: Header=BB197_9 Depth=1
	s_delay_alu instid0(SALU_CYCLE_1)
	s_or_b32 exec_lo, exec_lo, s30
.LBB197_393:                            ;   in Loop: Header=BB197_9 Depth=1
	s_delay_alu instid0(SALU_CYCLE_1)
	s_or_b32 exec_lo, exec_lo, s29
	global_load_u16 v40, v[80:81], off offset:1536
	v_mov_b64_e32 v[42:43], 0
	s_wait_loadcnt 0x0
	v_and_b32_e32 v44, 0xffff, v40
	v_and_b32_e32 v40, 0xff, v40
	s_delay_alu instid0(VALU_DEP_1)
	v_cmp_ne_u16_e64 s5, 0, v40
	v_mov_b64_e32 v[40:41], 0
	s_wait_xcnt 0x0
	s_and_saveexec_b32 s29, s5
	s_cbranch_execz .LBB197_401
; %bb.394:                              ;   in Loop: Header=BB197_9 Depth=1
	v_and_b32_e32 v42, 0xff, v44
	s_delay_alu instid0(VALU_DEP_1)
	v_cmp_ne_u16_e64 s5, 0x80, v42
	v_mov_b64_e32 v[42:43], 0x80000000
	s_and_saveexec_b32 s30, s5
	s_cbranch_execz .LBB197_400
; %bb.395:                              ;   in Loop: Header=BB197_9 Depth=1
	v_mov_b64_e32 v[42:43], 0x7f800001
	v_and_b32_e32 v45, 0x7f, v44
	s_mov_b32 s31, exec_lo
	s_delay_alu instid0(VALU_DEP_1)
	v_cmpx_ne_u32_e32 0x7f, v45
	s_cbranch_execz .LBB197_399
; %bb.396:                              ;   in Loop: Header=BB197_9 Depth=1
	v_dual_lshrrev_b32 v42, 3, v45 :: v_dual_bitop2_b32 v66, 7, v44 bitop3:0x40
	s_mov_b32 s33, exec_lo
	v_cmpx_gt_u32_e32 8, v45
; %bb.397:                              ;   in Loop: Header=BB197_9 Depth=1
	s_delay_alu instid0(VALU_DEP_2) | instskip(NEXT) | instid1(VALU_DEP_1)
	v_clz_i32_u32_e32 v42, v66
	v_min_u32_e32 v42, 32, v42
	s_delay_alu instid0(VALU_DEP_1) | instskip(SKIP_1) | instid1(VALU_DEP_2)
	v_subrev_nc_u32_e32 v43, 28, v42
	v_sub_nc_u32_e32 v42, 29, v42
	v_lshlrev_b64_e32 v[46:47], v43, v[66:67]
	s_delay_alu instid0(VALU_DEP_1)
	v_and_b32_e32 v66, 7, v46
; %bb.398:                              ;   in Loop: Header=BB197_9 Depth=1
	s_or_b32 exec_lo, exec_lo, s33
	s_delay_alu instid0(VALU_DEP_1) | instskip(SKIP_1) | instid1(VALU_DEP_2)
	v_dual_lshlrev_b32 v43, 24, v44 :: v_dual_lshlrev_b32 v45, 20, v66
	v_lshl_add_u32 v42, v42, 23, 0x3c000000
	v_and_b32_e32 v43, 0x80000000, v43
	s_delay_alu instid0(VALU_DEP_1) | instskip(NEXT) | instid1(VALU_DEP_1)
	v_or3_b32 v66, v45, v43, v42
	v_mov_b64_e32 v[42:43], v[66:67]
.LBB197_399:                            ;   in Loop: Header=BB197_9 Depth=1
	s_or_b32 exec_lo, exec_lo, s31
.LBB197_400:                            ;   in Loop: Header=BB197_9 Depth=1
	s_delay_alu instid0(SALU_CYCLE_1)
	s_or_b32 exec_lo, exec_lo, s30
.LBB197_401:                            ;   in Loop: Header=BB197_9 Depth=1
	s_delay_alu instid0(SALU_CYCLE_1) | instskip(SKIP_2) | instid1(VALU_DEP_1)
	s_or_b32 exec_lo, exec_lo, s29
	v_lshrrev_b16 v45, 8, v44
	s_mov_b32 s29, exec_lo
	v_cmpx_ne_u16_e32 0, v45
	s_cbranch_execz .LBB197_409
; %bb.402:                              ;   in Loop: Header=BB197_9 Depth=1
	v_mov_b64_e32 v[40:41], 0x8000000000000000
	s_mov_b32 s30, exec_lo
	v_cmpx_ne_u16_e32 0x80, v45
	s_cbranch_execz .LBB197_408
; %bb.403:                              ;   in Loop: Header=BB197_9 Depth=1
	v_and_b32_e32 v46, 0xffff, v45
	v_mov_b64_e32 v[40:41], 0x7f80000100000000
	s_mov_b32 s31, exec_lo
	s_delay_alu instid0(VALU_DEP_2) | instskip(NEXT) | instid1(VALU_DEP_1)
	v_and_b32_e32 v45, 0x7f, v46
	v_cmpx_ne_u32_e32 0x7f, v45
	s_cbranch_execz .LBB197_407
; %bb.404:                              ;   in Loop: Header=BB197_9 Depth=1
	v_dual_lshrrev_b32 v40, 3, v45 :: v_dual_bitop2_b32 v66, 7, v46 bitop3:0x40
	s_mov_b32 s33, exec_lo
	v_cmpx_gt_u32_e32 8, v45
; %bb.405:                              ;   in Loop: Header=BB197_9 Depth=1
	s_delay_alu instid0(VALU_DEP_2) | instskip(NEXT) | instid1(VALU_DEP_1)
	v_clz_i32_u32_e32 v40, v66
	v_min_u32_e32 v40, 32, v40
	s_delay_alu instid0(VALU_DEP_1) | instskip(NEXT) | instid1(VALU_DEP_1)
	v_subrev_nc_u32_e32 v41, 28, v40
	v_lshlrev_b64_e32 v[46:47], v41, v[66:67]
	s_delay_alu instid0(VALU_DEP_1)
	v_dual_sub_nc_u32 v40, 29, v40 :: v_dual_bitop2_b32 v66, 7, v46 bitop3:0x40
; %bb.406:                              ;   in Loop: Header=BB197_9 Depth=1
	s_or_b32 exec_lo, exec_lo, s33
	s_delay_alu instid0(VALU_DEP_1) | instskip(NEXT) | instid1(VALU_DEP_2)
	v_dual_lshlrev_b32 v41, 16, v44 :: v_dual_lshlrev_b32 v44, 20, v66
	v_lshl_add_u32 v40, v40, 23, 0x3c000000
	s_delay_alu instid0(VALU_DEP_2) | instskip(NEXT) | instid1(VALU_DEP_1)
	v_and_b32_e32 v41, 0x80000000, v41
	v_or3_b32 v41, v44, v41, v40
	v_mov_b32_e32 v40, v67
.LBB197_407:                            ;   in Loop: Header=BB197_9 Depth=1
	s_or_b32 exec_lo, exec_lo, s31
.LBB197_408:                            ;   in Loop: Header=BB197_9 Depth=1
	s_delay_alu instid0(SALU_CYCLE_1)
	s_or_b32 exec_lo, exec_lo, s30
.LBB197_409:                            ;   in Loop: Header=BB197_9 Depth=1
	s_delay_alu instid0(SALU_CYCLE_1)
	s_or_b32 exec_lo, exec_lo, s29
	global_load_u16 v44, v[80:81], off offset:1540
	v_mov_b64_e32 v[46:47], 0
	s_wait_loadcnt 0x0
	v_and_b32_e32 v48, 0xffff, v44
	v_and_b32_e32 v44, 0xff, v44
	s_delay_alu instid0(VALU_DEP_1)
	v_cmp_ne_u16_e64 s5, 0, v44
	v_mov_b64_e32 v[44:45], 0
	s_wait_xcnt 0x0
	s_and_saveexec_b32 s29, s5
	s_cbranch_execz .LBB197_417
; %bb.410:                              ;   in Loop: Header=BB197_9 Depth=1
	v_and_b32_e32 v46, 0xff, v48
	s_delay_alu instid0(VALU_DEP_1)
	v_cmp_ne_u16_e64 s5, 0x80, v46
	v_mov_b64_e32 v[46:47], 0x80000000
	s_and_saveexec_b32 s30, s5
	s_cbranch_execz .LBB197_416
; %bb.411:                              ;   in Loop: Header=BB197_9 Depth=1
	v_mov_b64_e32 v[46:47], 0x7f800001
	v_and_b32_e32 v49, 0x7f, v48
	s_mov_b32 s31, exec_lo
	s_delay_alu instid0(VALU_DEP_1)
	v_cmpx_ne_u32_e32 0x7f, v49
	s_cbranch_execz .LBB197_415
; %bb.412:                              ;   in Loop: Header=BB197_9 Depth=1
	v_dual_lshrrev_b32 v46, 3, v49 :: v_dual_bitop2_b32 v66, 7, v48 bitop3:0x40
	s_mov_b32 s33, exec_lo
	v_cmpx_gt_u32_e32 8, v49
; %bb.413:                              ;   in Loop: Header=BB197_9 Depth=1
	s_delay_alu instid0(VALU_DEP_2) | instskip(NEXT) | instid1(VALU_DEP_1)
	v_clz_i32_u32_e32 v46, v66
	v_min_u32_e32 v46, 32, v46
	s_delay_alu instid0(VALU_DEP_1) | instskip(SKIP_1) | instid1(VALU_DEP_2)
	v_subrev_nc_u32_e32 v47, 28, v46
	v_sub_nc_u32_e32 v46, 29, v46
	v_lshlrev_b64_e32 v[50:51], v47, v[66:67]
	s_delay_alu instid0(VALU_DEP_1)
	v_and_b32_e32 v66, 7, v50
; %bb.414:                              ;   in Loop: Header=BB197_9 Depth=1
	s_or_b32 exec_lo, exec_lo, s33
	s_delay_alu instid0(VALU_DEP_1) | instskip(SKIP_1) | instid1(VALU_DEP_2)
	v_dual_lshlrev_b32 v47, 24, v48 :: v_dual_lshlrev_b32 v49, 20, v66
	v_lshl_add_u32 v46, v46, 23, 0x3c000000
	v_and_b32_e32 v47, 0x80000000, v47
	s_delay_alu instid0(VALU_DEP_1) | instskip(NEXT) | instid1(VALU_DEP_1)
	v_or3_b32 v66, v49, v47, v46
	v_mov_b64_e32 v[46:47], v[66:67]
.LBB197_415:                            ;   in Loop: Header=BB197_9 Depth=1
	s_or_b32 exec_lo, exec_lo, s31
.LBB197_416:                            ;   in Loop: Header=BB197_9 Depth=1
	s_delay_alu instid0(SALU_CYCLE_1)
	s_or_b32 exec_lo, exec_lo, s30
.LBB197_417:                            ;   in Loop: Header=BB197_9 Depth=1
	s_delay_alu instid0(SALU_CYCLE_1) | instskip(SKIP_2) | instid1(VALU_DEP_1)
	s_or_b32 exec_lo, exec_lo, s29
	v_lshrrev_b16 v49, 8, v48
	s_mov_b32 s29, exec_lo
	v_cmpx_ne_u16_e32 0, v49
	s_cbranch_execz .LBB197_425
; %bb.418:                              ;   in Loop: Header=BB197_9 Depth=1
	v_mov_b64_e32 v[44:45], 0x8000000000000000
	s_mov_b32 s30, exec_lo
	v_cmpx_ne_u16_e32 0x80, v49
	s_cbranch_execz .LBB197_424
; %bb.419:                              ;   in Loop: Header=BB197_9 Depth=1
	v_and_b32_e32 v50, 0xffff, v49
	v_mov_b64_e32 v[44:45], 0x7f80000100000000
	s_mov_b32 s31, exec_lo
	s_delay_alu instid0(VALU_DEP_2) | instskip(NEXT) | instid1(VALU_DEP_1)
	v_and_b32_e32 v49, 0x7f, v50
	v_cmpx_ne_u32_e32 0x7f, v49
	s_cbranch_execz .LBB197_423
; %bb.420:                              ;   in Loop: Header=BB197_9 Depth=1
	v_dual_lshrrev_b32 v44, 3, v49 :: v_dual_bitop2_b32 v66, 7, v50 bitop3:0x40
	s_mov_b32 s33, exec_lo
	v_cmpx_gt_u32_e32 8, v49
; %bb.421:                              ;   in Loop: Header=BB197_9 Depth=1
	s_delay_alu instid0(VALU_DEP_2) | instskip(NEXT) | instid1(VALU_DEP_1)
	v_clz_i32_u32_e32 v44, v66
	v_min_u32_e32 v44, 32, v44
	s_delay_alu instid0(VALU_DEP_1) | instskip(NEXT) | instid1(VALU_DEP_1)
	v_subrev_nc_u32_e32 v45, 28, v44
	v_lshlrev_b64_e32 v[50:51], v45, v[66:67]
	s_delay_alu instid0(VALU_DEP_1)
	v_dual_sub_nc_u32 v44, 29, v44 :: v_dual_bitop2_b32 v66, 7, v50 bitop3:0x40
; %bb.422:                              ;   in Loop: Header=BB197_9 Depth=1
	s_or_b32 exec_lo, exec_lo, s33
	s_delay_alu instid0(VALU_DEP_1) | instskip(NEXT) | instid1(VALU_DEP_2)
	v_dual_lshlrev_b32 v45, 16, v48 :: v_dual_lshlrev_b32 v48, 20, v66
	v_lshl_add_u32 v44, v44, 23, 0x3c000000
	s_delay_alu instid0(VALU_DEP_2) | instskip(NEXT) | instid1(VALU_DEP_1)
	v_and_b32_e32 v45, 0x80000000, v45
	v_or3_b32 v45, v48, v45, v44
	v_mov_b32_e32 v44, v67
.LBB197_423:                            ;   in Loop: Header=BB197_9 Depth=1
	s_or_b32 exec_lo, exec_lo, s31
.LBB197_424:                            ;   in Loop: Header=BB197_9 Depth=1
	s_delay_alu instid0(SALU_CYCLE_1)
	s_or_b32 exec_lo, exec_lo, s30
.LBB197_425:                            ;   in Loop: Header=BB197_9 Depth=1
	s_delay_alu instid0(SALU_CYCLE_1)
	s_or_b32 exec_lo, exec_lo, s29
	global_load_u16 v48, v[80:81], off offset:1544
	v_mov_b64_e32 v[50:51], 0
	s_wait_loadcnt 0x0
	v_and_b32_e32 v52, 0xffff, v48
	v_and_b32_e32 v48, 0xff, v48
	s_delay_alu instid0(VALU_DEP_1)
	v_cmp_ne_u16_e64 s5, 0, v48
	v_mov_b64_e32 v[48:49], 0
	s_wait_xcnt 0x0
	s_and_saveexec_b32 s29, s5
	s_cbranch_execz .LBB197_433
; %bb.426:                              ;   in Loop: Header=BB197_9 Depth=1
	v_and_b32_e32 v50, 0xff, v52
	s_delay_alu instid0(VALU_DEP_1)
	v_cmp_ne_u16_e64 s5, 0x80, v50
	v_mov_b64_e32 v[50:51], 0x80000000
	s_and_saveexec_b32 s30, s5
	s_cbranch_execz .LBB197_432
; %bb.427:                              ;   in Loop: Header=BB197_9 Depth=1
	v_mov_b64_e32 v[50:51], 0x7f800001
	v_and_b32_e32 v53, 0x7f, v52
	s_mov_b32 s31, exec_lo
	s_delay_alu instid0(VALU_DEP_1)
	v_cmpx_ne_u32_e32 0x7f, v53
	s_cbranch_execz .LBB197_431
; %bb.428:                              ;   in Loop: Header=BB197_9 Depth=1
	v_dual_lshrrev_b32 v50, 3, v53 :: v_dual_bitop2_b32 v66, 7, v52 bitop3:0x40
	s_mov_b32 s33, exec_lo
	v_cmpx_gt_u32_e32 8, v53
; %bb.429:                              ;   in Loop: Header=BB197_9 Depth=1
	s_delay_alu instid0(VALU_DEP_2) | instskip(NEXT) | instid1(VALU_DEP_1)
	v_clz_i32_u32_e32 v50, v66
	v_min_u32_e32 v50, 32, v50
	s_delay_alu instid0(VALU_DEP_1) | instskip(SKIP_1) | instid1(VALU_DEP_2)
	v_subrev_nc_u32_e32 v51, 28, v50
	v_sub_nc_u32_e32 v50, 29, v50
	v_lshlrev_b64_e32 v[54:55], v51, v[66:67]
	s_delay_alu instid0(VALU_DEP_1)
	v_and_b32_e32 v66, 7, v54
; %bb.430:                              ;   in Loop: Header=BB197_9 Depth=1
	s_or_b32 exec_lo, exec_lo, s33
	s_delay_alu instid0(VALU_DEP_1) | instskip(SKIP_1) | instid1(VALU_DEP_2)
	v_dual_lshlrev_b32 v51, 24, v52 :: v_dual_lshlrev_b32 v53, 20, v66
	v_lshl_add_u32 v50, v50, 23, 0x3c000000
	v_and_b32_e32 v51, 0x80000000, v51
	s_delay_alu instid0(VALU_DEP_1) | instskip(NEXT) | instid1(VALU_DEP_1)
	v_or3_b32 v66, v53, v51, v50
	v_mov_b64_e32 v[50:51], v[66:67]
.LBB197_431:                            ;   in Loop: Header=BB197_9 Depth=1
	s_or_b32 exec_lo, exec_lo, s31
.LBB197_432:                            ;   in Loop: Header=BB197_9 Depth=1
	s_delay_alu instid0(SALU_CYCLE_1)
	s_or_b32 exec_lo, exec_lo, s30
.LBB197_433:                            ;   in Loop: Header=BB197_9 Depth=1
	s_delay_alu instid0(SALU_CYCLE_1) | instskip(SKIP_2) | instid1(VALU_DEP_1)
	s_or_b32 exec_lo, exec_lo, s29
	v_lshrrev_b16 v53, 8, v52
	s_mov_b32 s29, exec_lo
	v_cmpx_ne_u16_e32 0, v53
	s_cbranch_execz .LBB197_441
; %bb.434:                              ;   in Loop: Header=BB197_9 Depth=1
	v_mov_b64_e32 v[48:49], 0x8000000000000000
	s_mov_b32 s30, exec_lo
	v_cmpx_ne_u16_e32 0x80, v53
	s_cbranch_execz .LBB197_440
; %bb.435:                              ;   in Loop: Header=BB197_9 Depth=1
	v_and_b32_e32 v54, 0xffff, v53
	v_mov_b64_e32 v[48:49], 0x7f80000100000000
	s_mov_b32 s31, exec_lo
	s_delay_alu instid0(VALU_DEP_2) | instskip(NEXT) | instid1(VALU_DEP_1)
	v_and_b32_e32 v53, 0x7f, v54
	v_cmpx_ne_u32_e32 0x7f, v53
	s_cbranch_execz .LBB197_439
; %bb.436:                              ;   in Loop: Header=BB197_9 Depth=1
	v_dual_lshrrev_b32 v48, 3, v53 :: v_dual_bitop2_b32 v66, 7, v54 bitop3:0x40
	s_mov_b32 s33, exec_lo
	v_cmpx_gt_u32_e32 8, v53
; %bb.437:                              ;   in Loop: Header=BB197_9 Depth=1
	s_delay_alu instid0(VALU_DEP_2) | instskip(NEXT) | instid1(VALU_DEP_1)
	v_clz_i32_u32_e32 v48, v66
	v_min_u32_e32 v48, 32, v48
	s_delay_alu instid0(VALU_DEP_1) | instskip(NEXT) | instid1(VALU_DEP_1)
	v_subrev_nc_u32_e32 v49, 28, v48
	v_lshlrev_b64_e32 v[54:55], v49, v[66:67]
	s_delay_alu instid0(VALU_DEP_1)
	v_dual_sub_nc_u32 v48, 29, v48 :: v_dual_bitop2_b32 v66, 7, v54 bitop3:0x40
; %bb.438:                              ;   in Loop: Header=BB197_9 Depth=1
	s_or_b32 exec_lo, exec_lo, s33
	s_delay_alu instid0(VALU_DEP_1) | instskip(NEXT) | instid1(VALU_DEP_2)
	v_dual_lshlrev_b32 v49, 16, v52 :: v_dual_lshlrev_b32 v52, 20, v66
	v_lshl_add_u32 v48, v48, 23, 0x3c000000
	s_delay_alu instid0(VALU_DEP_2) | instskip(NEXT) | instid1(VALU_DEP_1)
	v_and_b32_e32 v49, 0x80000000, v49
	v_or3_b32 v49, v52, v49, v48
	v_mov_b32_e32 v48, v67
.LBB197_439:                            ;   in Loop: Header=BB197_9 Depth=1
	s_or_b32 exec_lo, exec_lo, s31
.LBB197_440:                            ;   in Loop: Header=BB197_9 Depth=1
	s_delay_alu instid0(SALU_CYCLE_1)
	s_or_b32 exec_lo, exec_lo, s30
.LBB197_441:                            ;   in Loop: Header=BB197_9 Depth=1
	s_delay_alu instid0(SALU_CYCLE_1)
	s_or_b32 exec_lo, exec_lo, s29
	global_load_u16 v52, v[80:81], off offset:1548
	v_mov_b64_e32 v[54:55], 0
	s_wait_loadcnt 0x0
	v_and_b32_e32 v56, 0xffff, v52
	v_and_b32_e32 v52, 0xff, v52
	s_delay_alu instid0(VALU_DEP_1)
	v_cmp_ne_u16_e64 s5, 0, v52
	v_mov_b64_e32 v[52:53], 0
	s_wait_xcnt 0x0
	s_and_saveexec_b32 s29, s5
	s_cbranch_execz .LBB197_449
; %bb.442:                              ;   in Loop: Header=BB197_9 Depth=1
	v_and_b32_e32 v54, 0xff, v56
	s_delay_alu instid0(VALU_DEP_1)
	v_cmp_ne_u16_e64 s5, 0x80, v54
	v_mov_b64_e32 v[54:55], 0x80000000
	s_and_saveexec_b32 s30, s5
	s_cbranch_execz .LBB197_448
; %bb.443:                              ;   in Loop: Header=BB197_9 Depth=1
	v_mov_b64_e32 v[54:55], 0x7f800001
	v_and_b32_e32 v57, 0x7f, v56
	s_mov_b32 s31, exec_lo
	s_delay_alu instid0(VALU_DEP_1)
	v_cmpx_ne_u32_e32 0x7f, v57
	s_cbranch_execz .LBB197_447
; %bb.444:                              ;   in Loop: Header=BB197_9 Depth=1
	v_dual_lshrrev_b32 v54, 3, v57 :: v_dual_bitop2_b32 v66, 7, v56 bitop3:0x40
	s_mov_b32 s33, exec_lo
	v_cmpx_gt_u32_e32 8, v57
; %bb.445:                              ;   in Loop: Header=BB197_9 Depth=1
	s_delay_alu instid0(VALU_DEP_2) | instskip(NEXT) | instid1(VALU_DEP_1)
	v_clz_i32_u32_e32 v54, v66
	v_min_u32_e32 v54, 32, v54
	s_delay_alu instid0(VALU_DEP_1) | instskip(SKIP_1) | instid1(VALU_DEP_2)
	v_subrev_nc_u32_e32 v55, 28, v54
	v_sub_nc_u32_e32 v54, 29, v54
	v_lshlrev_b64_e32 v[58:59], v55, v[66:67]
	s_delay_alu instid0(VALU_DEP_1)
	v_and_b32_e32 v66, 7, v58
; %bb.446:                              ;   in Loop: Header=BB197_9 Depth=1
	s_or_b32 exec_lo, exec_lo, s33
	s_delay_alu instid0(VALU_DEP_1) | instskip(SKIP_1) | instid1(VALU_DEP_2)
	v_dual_lshlrev_b32 v55, 24, v56 :: v_dual_lshlrev_b32 v57, 20, v66
	v_lshl_add_u32 v54, v54, 23, 0x3c000000
	v_and_b32_e32 v55, 0x80000000, v55
	s_delay_alu instid0(VALU_DEP_1) | instskip(NEXT) | instid1(VALU_DEP_1)
	v_or3_b32 v66, v57, v55, v54
	v_mov_b64_e32 v[54:55], v[66:67]
.LBB197_447:                            ;   in Loop: Header=BB197_9 Depth=1
	s_or_b32 exec_lo, exec_lo, s31
.LBB197_448:                            ;   in Loop: Header=BB197_9 Depth=1
	s_delay_alu instid0(SALU_CYCLE_1)
	s_or_b32 exec_lo, exec_lo, s30
.LBB197_449:                            ;   in Loop: Header=BB197_9 Depth=1
	s_delay_alu instid0(SALU_CYCLE_1) | instskip(SKIP_2) | instid1(VALU_DEP_1)
	s_or_b32 exec_lo, exec_lo, s29
	v_lshrrev_b16 v57, 8, v56
	s_mov_b32 s29, exec_lo
	v_cmpx_ne_u16_e32 0, v57
	s_cbranch_execz .LBB197_457
; %bb.450:                              ;   in Loop: Header=BB197_9 Depth=1
	v_mov_b64_e32 v[52:53], 0x8000000000000000
	s_mov_b32 s30, exec_lo
	v_cmpx_ne_u16_e32 0x80, v57
	s_cbranch_execz .LBB197_456
; %bb.451:                              ;   in Loop: Header=BB197_9 Depth=1
	v_and_b32_e32 v58, 0xffff, v57
	v_mov_b64_e32 v[52:53], 0x7f80000100000000
	s_mov_b32 s31, exec_lo
	s_delay_alu instid0(VALU_DEP_2) | instskip(NEXT) | instid1(VALU_DEP_1)
	v_and_b32_e32 v57, 0x7f, v58
	v_cmpx_ne_u32_e32 0x7f, v57
	s_cbranch_execz .LBB197_455
; %bb.452:                              ;   in Loop: Header=BB197_9 Depth=1
	v_dual_lshrrev_b32 v52, 3, v57 :: v_dual_bitop2_b32 v66, 7, v58 bitop3:0x40
	s_mov_b32 s33, exec_lo
	v_cmpx_gt_u32_e32 8, v57
; %bb.453:                              ;   in Loop: Header=BB197_9 Depth=1
	s_delay_alu instid0(VALU_DEP_2) | instskip(NEXT) | instid1(VALU_DEP_1)
	v_clz_i32_u32_e32 v52, v66
	v_min_u32_e32 v52, 32, v52
	s_delay_alu instid0(VALU_DEP_1) | instskip(NEXT) | instid1(VALU_DEP_1)
	v_subrev_nc_u32_e32 v53, 28, v52
	v_lshlrev_b64_e32 v[58:59], v53, v[66:67]
	s_delay_alu instid0(VALU_DEP_1)
	v_dual_sub_nc_u32 v52, 29, v52 :: v_dual_bitop2_b32 v66, 7, v58 bitop3:0x40
; %bb.454:                              ;   in Loop: Header=BB197_9 Depth=1
	s_or_b32 exec_lo, exec_lo, s33
	s_delay_alu instid0(VALU_DEP_1) | instskip(NEXT) | instid1(VALU_DEP_2)
	v_dual_lshlrev_b32 v53, 16, v56 :: v_dual_lshlrev_b32 v56, 20, v66
	v_lshl_add_u32 v52, v52, 23, 0x3c000000
	s_delay_alu instid0(VALU_DEP_2) | instskip(NEXT) | instid1(VALU_DEP_1)
	v_and_b32_e32 v53, 0x80000000, v53
	v_or3_b32 v53, v56, v53, v52
	v_mov_b32_e32 v52, v67
.LBB197_455:                            ;   in Loop: Header=BB197_9 Depth=1
	s_or_b32 exec_lo, exec_lo, s31
.LBB197_456:                            ;   in Loop: Header=BB197_9 Depth=1
	s_delay_alu instid0(SALU_CYCLE_1)
	s_or_b32 exec_lo, exec_lo, s30
.LBB197_457:                            ;   in Loop: Header=BB197_9 Depth=1
	s_delay_alu instid0(SALU_CYCLE_1)
	s_or_b32 exec_lo, exec_lo, s29
	global_load_u16 v56, v[80:81], off offset:1792
	v_mov_b64_e32 v[58:59], 0
	s_wait_loadcnt 0x0
	v_and_b32_e32 v60, 0xffff, v56
	v_and_b32_e32 v56, 0xff, v56
	s_delay_alu instid0(VALU_DEP_1)
	v_cmp_ne_u16_e64 s5, 0, v56
	v_mov_b64_e32 v[56:57], 0
	s_wait_xcnt 0x0
	s_and_saveexec_b32 s29, s5
	s_cbranch_execz .LBB197_465
; %bb.458:                              ;   in Loop: Header=BB197_9 Depth=1
	v_and_b32_e32 v58, 0xff, v60
	s_delay_alu instid0(VALU_DEP_1)
	v_cmp_ne_u16_e64 s5, 0x80, v58
	v_mov_b64_e32 v[58:59], 0x80000000
	s_and_saveexec_b32 s30, s5
	s_cbranch_execz .LBB197_464
; %bb.459:                              ;   in Loop: Header=BB197_9 Depth=1
	v_mov_b64_e32 v[58:59], 0x7f800001
	v_and_b32_e32 v61, 0x7f, v60
	s_mov_b32 s31, exec_lo
	s_delay_alu instid0(VALU_DEP_1)
	v_cmpx_ne_u32_e32 0x7f, v61
	s_cbranch_execz .LBB197_463
; %bb.460:                              ;   in Loop: Header=BB197_9 Depth=1
	v_dual_lshrrev_b32 v58, 3, v61 :: v_dual_bitop2_b32 v66, 7, v60 bitop3:0x40
	s_mov_b32 s33, exec_lo
	v_cmpx_gt_u32_e32 8, v61
; %bb.461:                              ;   in Loop: Header=BB197_9 Depth=1
	s_delay_alu instid0(VALU_DEP_2) | instskip(NEXT) | instid1(VALU_DEP_1)
	v_clz_i32_u32_e32 v58, v66
	v_min_u32_e32 v58, 32, v58
	s_delay_alu instid0(VALU_DEP_1) | instskip(SKIP_1) | instid1(VALU_DEP_2)
	v_subrev_nc_u32_e32 v59, 28, v58
	v_sub_nc_u32_e32 v58, 29, v58
	v_lshlrev_b64_e32 v[62:63], v59, v[66:67]
	s_delay_alu instid0(VALU_DEP_1)
	v_and_b32_e32 v66, 7, v62
; %bb.462:                              ;   in Loop: Header=BB197_9 Depth=1
	s_or_b32 exec_lo, exec_lo, s33
	s_delay_alu instid0(VALU_DEP_1) | instskip(SKIP_1) | instid1(VALU_DEP_2)
	v_dual_lshlrev_b32 v59, 24, v60 :: v_dual_lshlrev_b32 v61, 20, v66
	v_lshl_add_u32 v58, v58, 23, 0x3c000000
	v_and_b32_e32 v59, 0x80000000, v59
	s_delay_alu instid0(VALU_DEP_1) | instskip(NEXT) | instid1(VALU_DEP_1)
	v_or3_b32 v66, v61, v59, v58
	v_mov_b64_e32 v[58:59], v[66:67]
.LBB197_463:                            ;   in Loop: Header=BB197_9 Depth=1
	s_or_b32 exec_lo, exec_lo, s31
.LBB197_464:                            ;   in Loop: Header=BB197_9 Depth=1
	s_delay_alu instid0(SALU_CYCLE_1)
	s_or_b32 exec_lo, exec_lo, s30
.LBB197_465:                            ;   in Loop: Header=BB197_9 Depth=1
	s_delay_alu instid0(SALU_CYCLE_1) | instskip(SKIP_2) | instid1(VALU_DEP_1)
	s_or_b32 exec_lo, exec_lo, s29
	v_lshrrev_b16 v61, 8, v60
	s_mov_b32 s29, exec_lo
	v_cmpx_ne_u16_e32 0, v61
	s_cbranch_execz .LBB197_473
; %bb.466:                              ;   in Loop: Header=BB197_9 Depth=1
	v_mov_b64_e32 v[56:57], 0x8000000000000000
	s_mov_b32 s30, exec_lo
	v_cmpx_ne_u16_e32 0x80, v61
	s_cbranch_execz .LBB197_472
; %bb.467:                              ;   in Loop: Header=BB197_9 Depth=1
	v_and_b32_e32 v62, 0xffff, v61
	v_mov_b64_e32 v[56:57], 0x7f80000100000000
	s_mov_b32 s31, exec_lo
	s_delay_alu instid0(VALU_DEP_2) | instskip(NEXT) | instid1(VALU_DEP_1)
	v_and_b32_e32 v61, 0x7f, v62
	v_cmpx_ne_u32_e32 0x7f, v61
	s_cbranch_execz .LBB197_471
; %bb.468:                              ;   in Loop: Header=BB197_9 Depth=1
	v_dual_lshrrev_b32 v56, 3, v61 :: v_dual_bitop2_b32 v66, 7, v62 bitop3:0x40
	s_mov_b32 s33, exec_lo
	v_cmpx_gt_u32_e32 8, v61
; %bb.469:                              ;   in Loop: Header=BB197_9 Depth=1
	s_delay_alu instid0(VALU_DEP_2) | instskip(NEXT) | instid1(VALU_DEP_1)
	v_clz_i32_u32_e32 v56, v66
	v_min_u32_e32 v56, 32, v56
	s_delay_alu instid0(VALU_DEP_1) | instskip(NEXT) | instid1(VALU_DEP_1)
	v_subrev_nc_u32_e32 v57, 28, v56
	v_lshlrev_b64_e32 v[62:63], v57, v[66:67]
	s_delay_alu instid0(VALU_DEP_1)
	v_dual_sub_nc_u32 v56, 29, v56 :: v_dual_bitop2_b32 v66, 7, v62 bitop3:0x40
; %bb.470:                              ;   in Loop: Header=BB197_9 Depth=1
	s_or_b32 exec_lo, exec_lo, s33
	s_delay_alu instid0(VALU_DEP_1) | instskip(NEXT) | instid1(VALU_DEP_2)
	v_dual_lshlrev_b32 v57, 16, v60 :: v_dual_lshlrev_b32 v60, 20, v66
	v_lshl_add_u32 v56, v56, 23, 0x3c000000
	s_delay_alu instid0(VALU_DEP_2) | instskip(NEXT) | instid1(VALU_DEP_1)
	v_and_b32_e32 v57, 0x80000000, v57
	v_or3_b32 v57, v60, v57, v56
	v_mov_b32_e32 v56, v67
.LBB197_471:                            ;   in Loop: Header=BB197_9 Depth=1
	s_or_b32 exec_lo, exec_lo, s31
.LBB197_472:                            ;   in Loop: Header=BB197_9 Depth=1
	s_delay_alu instid0(SALU_CYCLE_1)
	s_or_b32 exec_lo, exec_lo, s30
.LBB197_473:                            ;   in Loop: Header=BB197_9 Depth=1
	s_delay_alu instid0(SALU_CYCLE_1)
	s_or_b32 exec_lo, exec_lo, s29
	global_load_u16 v60, v[80:81], off offset:1796
	v_mov_b64_e32 v[62:63], 0
	s_wait_loadcnt 0x0
	v_and_b32_e32 v64, 0xffff, v60
	v_and_b32_e32 v60, 0xff, v60
	s_delay_alu instid0(VALU_DEP_1)
	v_cmp_ne_u16_e64 s5, 0, v60
	v_mov_b64_e32 v[60:61], 0
	s_wait_xcnt 0x0
	s_and_saveexec_b32 s29, s5
	s_cbranch_execz .LBB197_481
; %bb.474:                              ;   in Loop: Header=BB197_9 Depth=1
	v_and_b32_e32 v62, 0xff, v64
	s_delay_alu instid0(VALU_DEP_1)
	v_cmp_ne_u16_e64 s5, 0x80, v62
	v_mov_b64_e32 v[62:63], 0x80000000
	s_and_saveexec_b32 s30, s5
	s_cbranch_execz .LBB197_480
; %bb.475:                              ;   in Loop: Header=BB197_9 Depth=1
	v_mov_b64_e32 v[62:63], 0x7f800001
	v_and_b32_e32 v65, 0x7f, v64
	s_mov_b32 s31, exec_lo
	s_delay_alu instid0(VALU_DEP_1)
	v_cmpx_ne_u32_e32 0x7f, v65
	s_cbranch_execz .LBB197_479
; %bb.476:                              ;   in Loop: Header=BB197_9 Depth=1
	v_dual_lshrrev_b32 v62, 3, v65 :: v_dual_bitop2_b32 v66, 7, v64 bitop3:0x40
	s_mov_b32 s33, exec_lo
	v_cmpx_gt_u32_e32 8, v65
; %bb.477:                              ;   in Loop: Header=BB197_9 Depth=1
	s_delay_alu instid0(VALU_DEP_2) | instskip(NEXT) | instid1(VALU_DEP_1)
	v_clz_i32_u32_e32 v62, v66
	v_min_u32_e32 v62, 32, v62
	s_delay_alu instid0(VALU_DEP_1) | instskip(SKIP_1) | instid1(VALU_DEP_2)
	v_subrev_nc_u32_e32 v63, 28, v62
	v_sub_nc_u32_e32 v62, 29, v62
	v_lshlrev_b64_e32 v[74:75], v63, v[66:67]
	s_delay_alu instid0(VALU_DEP_1)
	v_and_b32_e32 v66, 7, v74
; %bb.478:                              ;   in Loop: Header=BB197_9 Depth=1
	s_or_b32 exec_lo, exec_lo, s33
	s_delay_alu instid0(VALU_DEP_1) | instskip(SKIP_1) | instid1(VALU_DEP_2)
	v_dual_lshlrev_b32 v63, 24, v64 :: v_dual_lshlrev_b32 v65, 20, v66
	v_lshl_add_u32 v62, v62, 23, 0x3c000000
	v_and_b32_e32 v63, 0x80000000, v63
	s_delay_alu instid0(VALU_DEP_1) | instskip(NEXT) | instid1(VALU_DEP_1)
	v_or3_b32 v66, v65, v63, v62
	v_mov_b64_e32 v[62:63], v[66:67]
.LBB197_479:                            ;   in Loop: Header=BB197_9 Depth=1
	s_or_b32 exec_lo, exec_lo, s31
.LBB197_480:                            ;   in Loop: Header=BB197_9 Depth=1
	s_delay_alu instid0(SALU_CYCLE_1)
	s_or_b32 exec_lo, exec_lo, s30
.LBB197_481:                            ;   in Loop: Header=BB197_9 Depth=1
	s_delay_alu instid0(SALU_CYCLE_1) | instskip(SKIP_2) | instid1(VALU_DEP_1)
	s_or_b32 exec_lo, exec_lo, s29
	v_lshrrev_b16 v65, 8, v64
	s_mov_b32 s29, exec_lo
	v_cmpx_ne_u16_e32 0, v65
	s_cbranch_execz .LBB197_489
; %bb.482:                              ;   in Loop: Header=BB197_9 Depth=1
	v_mov_b64_e32 v[60:61], 0x8000000000000000
	s_mov_b32 s30, exec_lo
	v_cmpx_ne_u16_e32 0x80, v65
	s_cbranch_execz .LBB197_488
; %bb.483:                              ;   in Loop: Header=BB197_9 Depth=1
	v_and_b32_e32 v66, 0xffff, v65
	v_mov_b64_e32 v[60:61], 0x7f80000100000000
	s_mov_b32 s31, exec_lo
	s_delay_alu instid0(VALU_DEP_2) | instskip(NEXT) | instid1(VALU_DEP_1)
	v_and_b32_e32 v65, 0x7f, v66
	v_cmpx_ne_u32_e32 0x7f, v65
	s_cbranch_execz .LBB197_487
; %bb.484:                              ;   in Loop: Header=BB197_9 Depth=1
	v_dual_lshrrev_b32 v60, 3, v65 :: v_dual_bitop2_b32 v66, 7, v66 bitop3:0x40
	s_mov_b32 s33, exec_lo
	v_cmpx_gt_u32_e32 8, v65
; %bb.485:                              ;   in Loop: Header=BB197_9 Depth=1
	s_delay_alu instid0(VALU_DEP_2) | instskip(NEXT) | instid1(VALU_DEP_1)
	v_clz_i32_u32_e32 v60, v66
	v_min_u32_e32 v60, 32, v60
	s_delay_alu instid0(VALU_DEP_1) | instskip(NEXT) | instid1(VALU_DEP_1)
	v_subrev_nc_u32_e32 v61, 28, v60
	v_lshlrev_b64_e32 v[74:75], v61, v[66:67]
	s_delay_alu instid0(VALU_DEP_1)
	v_dual_sub_nc_u32 v60, 29, v60 :: v_dual_bitop2_b32 v66, 7, v74 bitop3:0x40
; %bb.486:                              ;   in Loop: Header=BB197_9 Depth=1
	s_or_b32 exec_lo, exec_lo, s33
	s_delay_alu instid0(VALU_DEP_1) | instskip(NEXT) | instid1(VALU_DEP_2)
	v_dual_lshlrev_b32 v61, 16, v64 :: v_dual_lshlrev_b32 v64, 20, v66
	v_lshl_add_u32 v60, v60, 23, 0x3c000000
	s_delay_alu instid0(VALU_DEP_2) | instskip(NEXT) | instid1(VALU_DEP_1)
	v_and_b32_e32 v61, 0x80000000, v61
	v_or3_b32 v61, v64, v61, v60
	v_mov_b32_e32 v60, v67
.LBB197_487:                            ;   in Loop: Header=BB197_9 Depth=1
	s_or_b32 exec_lo, exec_lo, s31
.LBB197_488:                            ;   in Loop: Header=BB197_9 Depth=1
	s_delay_alu instid0(SALU_CYCLE_1)
	s_or_b32 exec_lo, exec_lo, s30
.LBB197_489:                            ;   in Loop: Header=BB197_9 Depth=1
	s_delay_alu instid0(SALU_CYCLE_1)
	s_or_b32 exec_lo, exec_lo, s29
	global_load_u16 v64, v[80:81], off offset:1800
	v_mov_b64_e32 v[74:75], 0
	s_wait_loadcnt 0x0
	v_and_b32_e32 v78, 0xffff, v64
	v_and_b32_e32 v64, 0xff, v64
	s_delay_alu instid0(VALU_DEP_1)
	v_cmp_ne_u16_e64 s5, 0, v64
	v_mov_b64_e32 v[64:65], 0
	s_wait_xcnt 0x0
	s_and_saveexec_b32 s29, s5
	s_cbranch_execz .LBB197_497
; %bb.490:                              ;   in Loop: Header=BB197_9 Depth=1
	v_mov_b64_e32 v[74:75], 0x80000000
	v_and_b32_e32 v66, 0xff, v78
	s_mov_b32 s30, exec_lo
	s_delay_alu instid0(VALU_DEP_1)
	v_cmpx_ne_u16_e32 0x80, v66
	s_cbranch_execz .LBB197_496
; %bb.491:                              ;   in Loop: Header=BB197_9 Depth=1
	v_mov_b64_e32 v[74:75], 0x7f800001
	v_and_b32_e32 v79, 0x7f, v78
	s_mov_b32 s31, exec_lo
	s_delay_alu instid0(VALU_DEP_1)
	v_cmpx_ne_u32_e32 0x7f, v79
	s_cbranch_execz .LBB197_495
; %bb.492:                              ;   in Loop: Header=BB197_9 Depth=1
	v_dual_lshrrev_b32 v74, 3, v79 :: v_dual_bitop2_b32 v66, 7, v78 bitop3:0x40
	s_mov_b32 s33, exec_lo
	v_cmpx_gt_u32_e32 8, v79
; %bb.493:                              ;   in Loop: Header=BB197_9 Depth=1
	s_delay_alu instid0(VALU_DEP_2) | instskip(NEXT) | instid1(VALU_DEP_1)
	v_clz_i32_u32_e32 v74, v66
	v_min_u32_e32 v74, 32, v74
	s_delay_alu instid0(VALU_DEP_1) | instskip(NEXT) | instid1(VALU_DEP_1)
	v_subrev_nc_u32_e32 v75, 28, v74
	v_lshlrev_b64_e32 v[76:77], v75, v[66:67]
	s_delay_alu instid0(VALU_DEP_1)
	v_dual_sub_nc_u32 v74, 29, v74 :: v_dual_bitop2_b32 v66, 7, v76 bitop3:0x40
; %bb.494:                              ;   in Loop: Header=BB197_9 Depth=1
	s_or_b32 exec_lo, exec_lo, s33
	v_lshlrev_b32_e32 v75, 24, v78
	s_delay_alu instid0(VALU_DEP_2) | instskip(NEXT) | instid1(VALU_DEP_3)
	v_lshlrev_b32_e32 v66, 20, v66
	v_lshl_add_u32 v74, v74, 23, 0x3c000000
	s_delay_alu instid0(VALU_DEP_3) | instskip(NEXT) | instid1(VALU_DEP_1)
	v_and_b32_e32 v75, 0x80000000, v75
	v_or3_b32 v66, v66, v75, v74
	s_delay_alu instid0(VALU_DEP_1)
	v_mov_b64_e32 v[74:75], v[66:67]
.LBB197_495:                            ;   in Loop: Header=BB197_9 Depth=1
	s_or_b32 exec_lo, exec_lo, s31
.LBB197_496:                            ;   in Loop: Header=BB197_9 Depth=1
	s_delay_alu instid0(SALU_CYCLE_1)
	s_or_b32 exec_lo, exec_lo, s30
.LBB197_497:                            ;   in Loop: Header=BB197_9 Depth=1
	s_delay_alu instid0(SALU_CYCLE_1) | instskip(SKIP_2) | instid1(VALU_DEP_1)
	s_or_b32 exec_lo, exec_lo, s29
	v_lshrrev_b16 v66, 8, v78
	s_mov_b32 s29, exec_lo
	v_cmpx_ne_u16_e32 0, v66
	s_cbranch_execz .LBB197_505
; %bb.498:                              ;   in Loop: Header=BB197_9 Depth=1
	v_mov_b64_e32 v[64:65], 0x8000000000000000
	s_mov_b32 s30, exec_lo
	v_cmpx_ne_u16_e32 0x80, v66
	s_cbranch_execz .LBB197_504
; %bb.499:                              ;   in Loop: Header=BB197_9 Depth=1
	v_and_b32_e32 v66, 0xffff, v66
	v_mov_b64_e32 v[64:65], 0x7f80000100000000
	s_mov_b32 s31, exec_lo
	s_delay_alu instid0(VALU_DEP_2) | instskip(NEXT) | instid1(VALU_DEP_1)
	v_and_b32_e32 v79, 0x7f, v66
	v_cmpx_ne_u32_e32 0x7f, v79
	s_cbranch_execz .LBB197_503
; %bb.500:                              ;   in Loop: Header=BB197_9 Depth=1
	v_dual_lshrrev_b32 v64, 3, v79 :: v_dual_bitop2_b32 v66, 7, v66 bitop3:0x40
	s_mov_b32 s33, exec_lo
	v_cmpx_gt_u32_e32 8, v79
; %bb.501:                              ;   in Loop: Header=BB197_9 Depth=1
	s_delay_alu instid0(VALU_DEP_2) | instskip(NEXT) | instid1(VALU_DEP_1)
	v_clz_i32_u32_e32 v64, v66
	v_min_u32_e32 v64, 32, v64
	s_delay_alu instid0(VALU_DEP_1) | instskip(SKIP_1) | instid1(VALU_DEP_2)
	v_subrev_nc_u32_e32 v65, 28, v64
	v_sub_nc_u32_e32 v64, 29, v64
	v_lshlrev_b64_e32 v[76:77], v65, v[66:67]
	s_delay_alu instid0(VALU_DEP_1)
	v_and_b32_e32 v66, 7, v76
; %bb.502:                              ;   in Loop: Header=BB197_9 Depth=1
	s_or_b32 exec_lo, exec_lo, s33
	v_lshlrev_b32_e32 v65, 16, v78
	s_delay_alu instid0(VALU_DEP_2) | instskip(SKIP_1) | instid1(VALU_DEP_3)
	v_lshlrev_b32_e32 v66, 20, v66
	v_lshl_add_u32 v64, v64, 23, 0x3c000000
	v_and_b32_e32 v65, 0x80000000, v65
	s_delay_alu instid0(VALU_DEP_1)
	v_or3_b32 v65, v66, v65, v64
	v_mov_b32_e32 v64, v67
.LBB197_503:                            ;   in Loop: Header=BB197_9 Depth=1
	s_or_b32 exec_lo, exec_lo, s31
.LBB197_504:                            ;   in Loop: Header=BB197_9 Depth=1
	s_delay_alu instid0(SALU_CYCLE_1)
	s_or_b32 exec_lo, exec_lo, s30
.LBB197_505:                            ;   in Loop: Header=BB197_9 Depth=1
	s_delay_alu instid0(SALU_CYCLE_1)
	s_or_b32 exec_lo, exec_lo, s29
	global_load_u16 v66, v[80:81], off offset:1804
	s_wait_xcnt 0x0
	v_mov_b64_e32 v[80:81], 0
	v_mov_b64_e32 v[78:79], 0
	s_mov_b32 s29, exec_lo
	s_wait_loadcnt 0x0
	v_and_b32_e32 v85, 0xffff, v66
	v_and_b32_e32 v66, 0xff, v66
	s_delay_alu instid0(VALU_DEP_1)
	v_cmpx_ne_u16_e32 0, v66
	s_cbranch_execz .LBB197_513
; %bb.506:                              ;   in Loop: Header=BB197_9 Depth=1
	v_mov_b64_e32 v[78:79], 0x80000000
	v_and_b32_e32 v66, 0xff, v85
	s_mov_b32 s30, exec_lo
	s_delay_alu instid0(VALU_DEP_1)
	v_cmpx_ne_u16_e32 0x80, v66
	s_cbranch_execz .LBB197_512
; %bb.507:                              ;   in Loop: Header=BB197_9 Depth=1
	v_mov_b64_e32 v[78:79], 0x7f800001
	v_and_b32_e32 v76, 0x7f, v85
	s_mov_b32 s31, exec_lo
	s_delay_alu instid0(VALU_DEP_1)
	v_cmpx_ne_u32_e32 0x7f, v76
	s_cbranch_execz .LBB197_511
; %bb.508:                              ;   in Loop: Header=BB197_9 Depth=1
	v_dual_lshrrev_b32 v78, 3, v76 :: v_dual_bitop2_b32 v66, 7, v85 bitop3:0x40
	s_mov_b32 s33, exec_lo
	v_cmpx_gt_u32_e32 8, v76
; %bb.509:                              ;   in Loop: Header=BB197_9 Depth=1
	s_delay_alu instid0(VALU_DEP_2) | instskip(NEXT) | instid1(VALU_DEP_1)
	v_clz_i32_u32_e32 v76, v66
	v_min_u32_e32 v78, 32, v76
	s_delay_alu instid0(VALU_DEP_1) | instskip(NEXT) | instid1(VALU_DEP_1)
	v_subrev_nc_u32_e32 v76, 28, v78
	v_lshlrev_b64_e32 v[76:77], v76, v[66:67]
	s_delay_alu instid0(VALU_DEP_1)
	v_dual_sub_nc_u32 v78, 29, v78 :: v_dual_bitop2_b32 v66, 7, v76 bitop3:0x40
; %bb.510:                              ;   in Loop: Header=BB197_9 Depth=1
	s_or_b32 exec_lo, exec_lo, s33
	s_delay_alu instid0(VALU_DEP_1) | instskip(NEXT) | instid1(VALU_DEP_2)
	v_dual_lshlrev_b32 v76, 24, v85 :: v_dual_lshlrev_b32 v66, 20, v66
	v_lshl_add_u32 v77, v78, 23, 0x3c000000
	s_delay_alu instid0(VALU_DEP_2) | instskip(NEXT) | instid1(VALU_DEP_1)
	v_and_b32_e32 v76, 0x80000000, v76
	v_or3_b32 v66, v66, v76, v77
	s_delay_alu instid0(VALU_DEP_1)
	v_mov_b64_e32 v[78:79], v[66:67]
.LBB197_511:                            ;   in Loop: Header=BB197_9 Depth=1
	s_or_b32 exec_lo, exec_lo, s31
.LBB197_512:                            ;   in Loop: Header=BB197_9 Depth=1
	s_delay_alu instid0(SALU_CYCLE_1)
	s_or_b32 exec_lo, exec_lo, s30
.LBB197_513:                            ;   in Loop: Header=BB197_9 Depth=1
	s_delay_alu instid0(SALU_CYCLE_1) | instskip(SKIP_2) | instid1(VALU_DEP_1)
	s_or_b32 exec_lo, exec_lo, s29
	v_lshrrev_b16 v66, 8, v85
	s_mov_b32 s29, exec_lo
	v_cmpx_ne_u16_e32 0, v66
	s_cbranch_execz .LBB197_521
; %bb.514:                              ;   in Loop: Header=BB197_9 Depth=1
	v_mov_b64_e32 v[80:81], 0x8000000000000000
	s_mov_b32 s30, exec_lo
	v_cmpx_ne_u16_e32 0x80, v66
	s_cbranch_execz .LBB197_520
; %bb.515:                              ;   in Loop: Header=BB197_9 Depth=1
	v_and_b32_e32 v66, 0xffff, v66
	v_mov_b64_e32 v[80:81], 0x7f80000100000000
	s_mov_b32 s31, exec_lo
	s_delay_alu instid0(VALU_DEP_2) | instskip(NEXT) | instid1(VALU_DEP_1)
	v_and_b32_e32 v76, 0x7f, v66
	v_cmpx_ne_u32_e32 0x7f, v76
	s_cbranch_execz .LBB197_519
; %bb.516:                              ;   in Loop: Header=BB197_9 Depth=1
	v_dual_lshrrev_b32 v80, 3, v76 :: v_dual_bitop2_b32 v66, 7, v66 bitop3:0x40
	s_mov_b32 s33, exec_lo
	v_cmpx_gt_u32_e32 8, v76
; %bb.517:                              ;   in Loop: Header=BB197_9 Depth=1
	s_delay_alu instid0(VALU_DEP_2) | instskip(NEXT) | instid1(VALU_DEP_1)
	v_clz_i32_u32_e32 v76, v66
	v_min_u32_e32 v80, 32, v76
	s_delay_alu instid0(VALU_DEP_1) | instskip(SKIP_1) | instid1(VALU_DEP_2)
	v_subrev_nc_u32_e32 v76, 28, v80
	v_sub_nc_u32_e32 v80, 29, v80
	v_lshlrev_b64_e32 v[76:77], v76, v[66:67]
	s_delay_alu instid0(VALU_DEP_1)
	v_and_b32_e32 v66, 7, v76
; %bb.518:                              ;   in Loop: Header=BB197_9 Depth=1
	s_or_b32 exec_lo, exec_lo, s33
	s_delay_alu instid0(VALU_DEP_1) | instskip(SKIP_2) | instid1(VALU_DEP_3)
	v_dual_lshlrev_b32 v76, 16, v85 :: v_dual_lshlrev_b32 v66, 20, v66
	v_lshl_add_u32 v77, v80, 23, 0x3c000000
	v_mov_b32_e32 v80, v67
	v_and_b32_e32 v76, 0x80000000, v76
	s_delay_alu instid0(VALU_DEP_1)
	v_or3_b32 v81, v66, v76, v77
.LBB197_519:                            ;   in Loop: Header=BB197_9 Depth=1
	s_or_b32 exec_lo, exec_lo, s31
.LBB197_520:                            ;   in Loop: Header=BB197_9 Depth=1
	s_delay_alu instid0(SALU_CYCLE_1)
	s_or_b32 exec_lo, exec_lo, s30
.LBB197_521:                            ;   in Loop: Header=BB197_9 Depth=1
	s_delay_alu instid0(SALU_CYCLE_1)
	s_or_b32 exec_lo, exec_lo, s29
	v_or_b32_e32 v5, v5, v7
	v_or_b32_e32 v4, v4, v6
	;; [unrolled: 1-line block ×4, first 2 shown]
	scratch_load_b64 v[0:1], off, off offset:32 th:TH_LOAD_LU ; 8-byte Folded Reload
	v_or_b32_e32 v77, v107, v109
	v_or_b32_e32 v76, v106, v108
	;; [unrolled: 1-line block ×10, first 2 shown]
	s_wait_loadcnt 0x0
	v_or_b32_e32 v87, v87, v1
	v_or_b32_e32 v86, v86, v0
	scratch_load_b64 v[0:1], off, off offset:24 th:TH_LOAD_LU ; 8-byte Folded Reload
	s_wait_loadcnt 0x0
	v_or_b32_e32 v83, v83, v1
	v_or_b32_e32 v82, v82, v0
	s_clause 0x2
	scratch_load_b64 v[0:1], off, off offset:8 th:TH_LOAD_LU
	scratch_load_b64 v[2:3], off, off offset:16 th:TH_LOAD_LU
	scratch_load_b128 v[104:107], off, off offset:44
	s_wait_loadcnt 0x1
	v_or_b32_e32 v3, v1, v3
	v_or_b32_e32 v2, v0, v2
	scratch_load_b64 v[0:1], off, off th:TH_LOAD_LU ; 8-byte Folded Reload
	s_wait_loadcnt 0x0
	v_or_b32_e32 v89, v89, v1
	v_or_b32_e32 v88, v88, v0
	v_mov_b64_e32 v[0:1], s[20:21]
	s_delay_alu instid0(VALU_DEP_1)
	v_pk_mul_f32 v[2:3], v[0:1], v[2:3]
	v_or_b32_e32 v25, v25, v27
	v_or_b32_e32 v24, v24, v26
	v_pk_mul_f32 v[88:89], v[0:1], v[88:89]
	v_pk_mul_f32 v[82:83], v[0:1], v[82:83]
	v_dual_mul_f32 v2, v106, v2 :: v_dual_mul_f32 v3, v107, v3
	v_or_b32_e32 v17, v17, v19
	v_or_b32_e32 v16, v16, v18
	v_pk_mul_f32 v[76:77], v[0:1], v[76:77]
	s_delay_alu instid0(VALU_DEP_4)
	v_dual_fmac_f32 v2, v104, v88 :: v_dual_fmac_f32 v3, v105, v89
	scratch_load_b128 v[104:107], off, off offset:60 ; 16-byte Folded Reload
	v_or_b32_e32 v13, v13, v15
	s_wait_loadcnt 0x0
	v_dual_fmac_f32 v3, v105, v83 :: v_dual_bitop2_b32 v12, v12, v14 bitop3:0x54
	v_fmac_f32_e32 v2, v104, v82
	v_pk_mul_f32 v[82:83], v[0:1], v[86:87]
	scratch_load_b128 v[86:89], off, off offset:76 ; 16-byte Folded Reload
	v_or_b32_e32 v9, v9, v11
	v_dual_fmac_f32 v3, v107, v83 :: v_dual_bitop2_b32 v8, v8, v10 bitop3:0x54
	v_fmac_f32_e32 v2, v106, v82
	v_pk_mul_f32 v[82:83], v[0:1], v[90:91]
	s_wait_loadcnt 0x0
	s_delay_alu instid0(VALU_DEP_1) | instskip(SKIP_2) | instid1(VALU_DEP_2)
	v_dual_fmac_f32 v2, v86, v82 :: v_dual_fmac_f32 v3, v87, v83
	v_pk_mul_f32 v[82:83], v[0:1], v[94:95]
	v_pk_mul_f32 v[4:5], v[0:1], v[4:5]
	v_dual_fmac_f32 v2, v88, v82 :: v_dual_fmac_f32 v3, v89, v83
	scratch_load_b128 v[86:89], off, off offset:92 ; 16-byte Folded Reload
	v_pk_mul_f32 v[82:83], v[0:1], v[98:99]
	v_or_b32_e32 v11, v127, v69
	v_or_b32_e32 v10, v126, v68
	;; [unrolled: 1-line block ×4, first 2 shown]
	v_pk_mul_f32 v[6:7], v[0:1], v[6:7]
	s_delay_alu instid0(VALU_DEP_2)
	v_pk_mul_f32 v[68:69], v[0:1], v[68:69]
	s_wait_loadcnt 0x0
	v_dual_fmac_f32 v2, v86, v82 :: v_dual_fmac_f32 v3, v87, v83
	v_pk_mul_f32 v[82:83], v[0:1], v[102:103]
	v_or_b32_e32 v15, v123, v125
	v_or_b32_e32 v14, v122, v124
	v_pk_mul_f32 v[10:11], v[0:1], v[10:11]
	s_delay_alu instid0(VALU_DEP_4)
	v_dual_fmac_f32 v2, v88, v82 :: v_dual_fmac_f32 v3, v89, v83
	scratch_load_b128 v[86:89], off, off offset:108 ; 16-byte Folded Reload
	v_or_b32_e32 v19, v119, v121
	v_or_b32_e32 v18, v118, v120
	v_pk_mul_f32 v[14:15], v[0:1], v[14:15]
	s_wait_loadcnt 0x0
	v_dual_fmac_f32 v2, v86, v76 :: v_dual_fmac_f32 v3, v87, v77
	v_or_b32_e32 v27, v115, v117
	v_or_b32_e32 v26, v114, v116
	v_pk_mul_f32 v[18:19], v[0:1], v[18:19]
	s_delay_alu instid0(VALU_DEP_4) | instskip(SKIP_3) | instid1(VALU_DEP_1)
	v_dual_fmac_f32 v2, v88, v68 :: v_dual_fmac_f32 v3, v89, v69
	scratch_load_b128 v[86:89], off, off offset:124 ; 16-byte Folded Reload
	v_pk_mul_f32 v[26:27], v[0:1], v[26:27]
	s_wait_loadcnt 0x0
	v_dual_fmac_f32 v2, v86, v26 :: v_dual_fmac_f32 v3, v87, v27
	s_delay_alu instid0(VALU_DEP_1) | instskip(SKIP_3) | instid1(VALU_DEP_1)
	v_dual_fmac_f32 v2, v88, v18 :: v_dual_fmac_f32 v3, v89, v19
	scratch_load_b128 v[86:89], off, off offset:140 ; 16-byte Folded Reload
	s_wait_loadcnt 0x0
	v_dual_fmac_f32 v2, v86, v14 :: v_dual_fmac_f32 v3, v87, v15
	v_dual_fmac_f32 v2, v88, v10 :: v_dual_fmac_f32 v3, v89, v11
	scratch_load_b128 v[86:89], off, off offset:156 ; 16-byte Folded Reload
	s_wait_loadcnt 0x0
	v_dual_fmac_f32 v2, v86, v6 :: v_dual_fmac_f32 v3, v87, v7
	s_delay_alu instid0(VALU_DEP_1)
	v_dual_fmac_f32 v2, v88, v4 :: v_dual_fmac_f32 v3, v89, v5
	v_pk_mul_f32 v[4:5], v[0:1], v[8:9]
	scratch_load_b128 v[6:9], off, off offset:172 ; 16-byte Folded Reload
	s_wait_loadcnt 0x0
	v_dual_fmac_f32 v2, v6, v4 :: v_dual_fmac_f32 v3, v7, v5
	v_pk_mul_f32 v[4:5], v[0:1], v[12:13]
	scratch_load_b128 v[10:13], off, off offset:188 ; 16-byte Folded Reload
	v_pk_mul_f32 v[6:7], v[0:1], v[16:17]
	v_dual_fmac_f32 v2, v8, v4 :: v_dual_fmac_f32 v3, v9, v5
	v_pk_mul_f32 v[8:9], v[0:1], v[24:25]
	s_wait_loadcnt 0x0
	s_delay_alu instid0(VALU_DEP_2) | instskip(NEXT) | instid1(VALU_DEP_1)
	v_dual_fmac_f32 v2, v10, v6 :: v_dual_fmac_f32 v3, v11, v7
	v_dual_fmac_f32 v2, v12, v8 :: v_dual_fmac_f32 v3, v13, v9
	scratch_load_b128 v[10:13], off, off offset:204 ; 16-byte Folded Reload
	v_or_b32_e32 v5, v21, v23
	v_or_b32_e32 v4, v20, v22
	s_delay_alu instid0(VALU_DEP_1) | instskip(SKIP_1) | instid1(VALU_DEP_1)
	v_pk_mul_f32 v[4:5], v[0:1], v[4:5]
	s_wait_loadcnt 0x0
	v_dual_fmac_f32 v2, v10, v4 :: v_dual_bitop2_b32 v7, v29, v31 bitop3:0x54
	s_delay_alu instid0(VALU_DEP_2) | instskip(NEXT) | instid1(VALU_DEP_1)
	v_dual_fmac_f32 v3, v11, v5 :: v_dual_bitop2_b32 v6, v28, v30 bitop3:0x54
	v_pk_mul_f32 v[6:7], v[0:1], v[6:7]
	s_delay_alu instid0(VALU_DEP_1) | instskip(SKIP_3) | instid1(VALU_DEP_1)
	v_dual_fmac_f32 v2, v12, v6 :: v_dual_fmac_f32 v3, v13, v7
	scratch_load_b128 v[10:13], off, off offset:220 ; 16-byte Folded Reload
	v_or_b32_e32 v9, v33, v35
	v_or_b32_e32 v8, v32, v34
	v_pk_mul_f32 v[8:9], v[0:1], v[8:9]
	s_wait_loadcnt 0x0
	s_delay_alu instid0(VALU_DEP_1) | instskip(NEXT) | instid1(VALU_DEP_2)
	v_dual_fmac_f32 v2, v10, v8 :: v_dual_bitop2_b32 v5, v37, v39 bitop3:0x54
	v_dual_fmac_f32 v3, v11, v9 :: v_dual_bitop2_b32 v4, v36, v38 bitop3:0x54
	s_delay_alu instid0(VALU_DEP_1) | instskip(NEXT) | instid1(VALU_DEP_1)
	v_pk_mul_f32 v[4:5], v[0:1], v[4:5]
	v_dual_fmac_f32 v2, v12, v4 :: v_dual_fmac_f32 v3, v13, v5
	scratch_load_b128 v[10:13], off, off offset:236 ; 16-byte Folded Reload
	v_or_b32_e32 v7, v41, v43
	v_or_b32_e32 v6, v40, v42
	s_delay_alu instid0(VALU_DEP_1) | instskip(SKIP_1) | instid1(VALU_DEP_1)
	v_pk_mul_f32 v[6:7], v[0:1], v[6:7]
	s_wait_loadcnt 0x0
	v_dual_fmac_f32 v2, v10, v6 :: v_dual_bitop2_b32 v9, v45, v47 bitop3:0x54
	s_delay_alu instid0(VALU_DEP_2) | instskip(NEXT) | instid1(VALU_DEP_1)
	v_dual_fmac_f32 v3, v11, v7 :: v_dual_bitop2_b32 v8, v44, v46 bitop3:0x54
	v_pk_mul_f32 v[8:9], v[0:1], v[8:9]
	s_delay_alu instid0(VALU_DEP_1) | instskip(SKIP_3) | instid1(VALU_DEP_1)
	v_dual_fmac_f32 v2, v12, v8 :: v_dual_fmac_f32 v3, v13, v9
	scratch_load_b128 v[10:13], off, off offset:252 ; 16-byte Folded Reload
	v_or_b32_e32 v5, v49, v51
	v_or_b32_e32 v4, v48, v50
	v_pk_mul_f32 v[4:5], v[0:1], v[4:5]
	s_wait_loadcnt 0x0
	s_delay_alu instid0(VALU_DEP_1) | instskip(NEXT) | instid1(VALU_DEP_2)
	v_dual_fmac_f32 v2, v10, v4 :: v_dual_bitop2_b32 v7, v53, v55 bitop3:0x54
	v_dual_fmac_f32 v3, v11, v5 :: v_dual_bitop2_b32 v6, v52, v54 bitop3:0x54
	s_delay_alu instid0(VALU_DEP_1) | instskip(NEXT) | instid1(VALU_DEP_1)
	v_pk_mul_f32 v[6:7], v[0:1], v[6:7]
	v_dual_fmac_f32 v2, v12, v6 :: v_dual_fmac_f32 v3, v13, v7
	scratch_load_b128 v[10:13], off, off offset:268 ; 16-byte Folded Reload
	v_or_b32_e32 v9, v57, v59
	v_or_b32_e32 v8, v56, v58
	s_delay_alu instid0(VALU_DEP_1) | instskip(SKIP_1) | instid1(VALU_DEP_1)
	v_pk_mul_f32 v[8:9], v[0:1], v[8:9]
	s_wait_loadcnt 0x0
	v_dual_fmac_f32 v2, v10, v8 :: v_dual_bitop2_b32 v5, v61, v63 bitop3:0x54
	s_delay_alu instid0(VALU_DEP_2) | instskip(SKIP_2) | instid1(VALU_DEP_3)
	v_dual_fmac_f32 v3, v11, v9 :: v_dual_bitop2_b32 v4, v60, v62 bitop3:0x54
	v_or_b32_e32 v9, v81, v79
	v_or_b32_e32 v8, v80, v78
	v_pk_mul_f32 v[4:5], v[0:1], v[4:5]
	s_delay_alu instid0(VALU_DEP_1) | instskip(NEXT) | instid1(VALU_DEP_2)
	v_dual_fmac_f32 v2, v12, v4 :: v_dual_bitop2_b32 v7, v65, v75 bitop3:0x54
	v_dual_fmac_f32 v3, v13, v5 :: v_dual_bitop2_b32 v6, v64, v74 bitop3:0x54
	s_delay_alu instid0(VALU_DEP_1) | instskip(SKIP_4) | instid1(VALU_DEP_1)
	v_pk_mul_f32 v[6:7], v[0:1], v[6:7]
	v_pk_mul_f32 v[0:1], v[0:1], v[8:9]
	scratch_load_b128 v[8:11], off, off offset:284 ; 16-byte Folded Reload
	s_wait_loadcnt 0x0
	v_dual_fmac_f32 v3, v9, v7 :: v_dual_fmac_f32 v2, v8, v6
	v_fmac_f32_e32 v3, v11, v1
	scratch_load_b32 v1, off, off offset:300 ; 4-byte Folded Reload
	v_fmac_f32_e32 v2, v10, v0
	s_delay_alu instid0(VALU_DEP_1)
	v_add_f32_e32 v0, v2, v3
	s_wait_loadcnt 0x0
	ds_bpermute_b32 v1, v1, v0
	s_wait_xcnt 0x0
	s_and_saveexec_b32 s29, vcc_lo
	s_cbranch_execz .LBB197_8
; %bb.522:                              ;   in Loop: Header=BB197_9 Depth=1
	scratch_load_b32 v3, off, off offset:40 ; 4-byte Folded Reload
	s_wait_dscnt 0x0
	v_dual_add_nc_u32 v2, s28, v72 :: v_dual_add_f32 v0, v0, v1
	v_cmp_gt_i32_e64 s5, s25, v72
	s_delay_alu instid0(VALU_DEP_2) | instskip(NEXT) | instid1(VALU_DEP_1)
	v_cvt_f32_i32_e32 v2, v2
	v_mul_f32_e32 v2, s26, v2
	s_wait_loadcnt 0x0
	s_delay_alu instid0(VALU_DEP_1) | instskip(NEXT) | instid1(VALU_DEP_1)
	v_dual_cndmask_b32 v1, 0, v2, s4 :: v_dual_max_num_f32 v2, v3, v3
	v_fmac_f32_e32 v1, s11, v0
	s_delay_alu instid0(VALU_DEP_1) | instskip(NEXT) | instid1(VALU_DEP_1)
	v_dual_max_num_f32 v0, v2, v1 :: v_dual_cndmask_b32 v1, 0, v1, s5
	v_cndmask_b32_e64 v3, v3, v0, s5
	ds_store_b32 v73, v1
	scratch_store_b32 off, v3, off offset:40 ; 4-byte Folded Spill
	s_branch .LBB197_8
.LBB197_523:
	s_or_b32 exec_lo, exec_lo, s19
	s_clause 0x3
	scratch_load_b32 v22, off, off offset:320
	scratch_load_b32 v26, off, off offset:324
	;; [unrolled: 1-line block ×4, first 2 shown]
	v_mov_b32_e32 v8, 32
.LBB197_524:
	s_wait_xcnt 0x0
	s_or_b32 exec_lo, exec_lo, s27
	s_wait_loadcnt 0x1
	v_xor_b32_e32 v0, 16, v10
	s_clause 0x1
	s_load_b64 s[10:11], s[0:1], 0x0
	s_load_b64 s[20:21], s[0:1], 0x18
	v_xor_b32_e32 v2, 8, v10
	v_cmp_lt_i32_e32 vcc_lo, v0, v8
	v_cndmask_b32_e32 v0, v10, v0, vcc_lo
	s_delay_alu instid0(VALU_DEP_3) | instskip(NEXT) | instid1(VALU_DEP_2)
	v_cmp_lt_i32_e32 vcc_lo, v2, v8
	v_dual_lshlrev_b32 v0, 2, v0 :: v_dual_cndmask_b32 v2, v10, v2, vcc_lo
	s_wait_loadcnt_dscnt 0x0
	ds_bpermute_b32 v1, v0, v3
	s_wait_dscnt 0x0
	v_dual_max_num_f32 v3, v3, v3 :: v_dual_max_num_f32 v4, v1, v1
	s_delay_alu instid0(VALU_DEP_1)
	v_dual_lshlrev_b32 v1, 2, v2 :: v_dual_max_num_f32 v3, v3, v4
	v_xor_b32_e32 v4, 4, v10
	ds_bpermute_b32 v2, v1, v3
	v_cmp_lt_i32_e32 vcc_lo, v4, v8
	s_wait_dscnt 0x0
	v_max_num_f32_e32 v5, v2, v2
	s_delay_alu instid0(VALU_DEP_1) | instskip(NEXT) | instid1(VALU_DEP_1)
	v_dual_cndmask_b32 v4, v10, v4 :: v_dual_max_num_f32 v3, v3, v5
	v_lshlrev_b32_e32 v2, 2, v4
	ds_bpermute_b32 v4, v2, v3
	s_wait_dscnt 0x0
	v_dual_max_num_f32 v4, v4, v4 :: v_dual_bitop2_b32 v5, 2, v10 bitop3:0x14
	s_delay_alu instid0(VALU_DEP_1) | instskip(NEXT) | instid1(VALU_DEP_2)
	v_cmp_lt_i32_e32 vcc_lo, v5, v8
	v_dual_max_num_f32 v4, v3, v4 :: v_dual_cndmask_b32 v5, v10, v5
	scratch_load_b32 v3, off, off offset:312 ; 4-byte Folded Reload
	s_wait_loadcnt 0x0
	v_dual_lshlrev_b32 v95, 2, v5 :: v_dual_bitop2_b32 v94, 31, v3 bitop3:0x40
	scratch_load_b32 v3, off, off offset:316 ; 4-byte Folded Reload
	ds_bpermute_b32 v5, v95, v4
	v_cmp_eq_u32_e32 vcc_lo, 0, v94
	s_wait_loadcnt 0x0
	v_lshlrev_b32_e32 v3, 2, v3
	s_wait_xcnt 0x0
	s_and_saveexec_b32 s0, vcc_lo
	s_cbranch_execz .LBB197_526
; %bb.525:
	s_wait_dscnt 0x0
	v_dual_max_num_f32 v5, v5, v5 :: v_dual_max_num_f32 v4, v4, v4
	s_delay_alu instid0(VALU_DEP_1)
	v_max_num_f32_e32 v4, v4, v5
	ds_store_b32 v3, v4 offset:512
.LBB197_526:
	s_or_b32 exec_lo, exec_lo, s0
	v_cmp_gt_u32_e64 s0, 4, v94
	s_wait_dscnt 0x0
	v_dual_mov_b32 v5, 0xff7fffff :: v_dual_lshlrev_b32 v4, 2, v94
	s_wait_storecnt 0x0
	s_barrier_signal -1
	s_barrier_wait -1
	s_and_saveexec_b32 s1, s0
; %bb.527:
	ds_load_b32 v5, v4 offset:512
; %bb.528:
	s_or_b32 exec_lo, exec_lo, s1
	s_wait_dscnt 0x0
	ds_bpermute_b32 v6, v95, v5
	v_dual_max_num_f32 v5, v5, v5 :: v_dual_bitop2_b32 v7, 1, v10 bitop3:0x14
	s_delay_alu instid0(VALU_DEP_1) | instskip(SKIP_2) | instid1(VALU_DEP_2)
	v_cmp_lt_i32_e64 s1, v7, v8
	s_wait_dscnt 0x0
	v_max_num_f32_e32 v6, v6, v6
	v_cndmask_b32_e64 v7, v10, v7, s1
	s_lshl_b32 s1, s13, 4
	s_wait_kmcnt 0x0
	s_min_i32 s5, s1, s25
	s_delay_alu instid0(VALU_DEP_1) | instskip(SKIP_3) | instid1(VALU_DEP_1)
	v_dual_max_num_f32 v5, v5, v6 :: v_dual_lshlrev_b32 v96, 2, v7
	ds_bpermute_b32 v6, v96, v5
	s_wait_dscnt 0x0
	v_max_num_f32_e32 v6, v6, v6
	v_dual_max_num_f32 v5, v5, v6 :: v_dual_lshlrev_b32 v6, 2, v67
	ds_bpermute_b32 v6, v6, v5
	scratch_load_b32 v5, off, off offset:312 ; 4-byte Folded Reload
	s_wait_loadcnt 0x0
	v_cmp_gt_i32_e64 s1, s5, v5
	v_mov_b32_e32 v5, 0
	s_and_saveexec_b32 s19, s1
	s_cbranch_execz .LBB197_532
; %bb.529:
	scratch_load_b32 v8, off, off offset:312 ; 4-byte Folded Reload
	v_mov_b32_e32 v5, 0
	s_mov_b32 s26, 0
	s_wait_loadcnt 0x0
	v_lshl_add_u32 v7, v8, 2, 0x220
.LBB197_530:                            ; =>This Inner Loop Header: Depth=1
	ds_load_b32 v9, v7
	v_add_nc_u32_e32 v8, 0x80, v8
	s_delay_alu instid0(VALU_DEP_1) | instskip(SKIP_3) | instid1(VALU_DEP_1)
	v_cmp_le_i32_e64 s4, s5, v8
	s_or_b32 s26, s4, s26
	s_wait_dscnt 0x0
	v_sub_f32_e32 v9, v9, v6
	v_mul_f32_e32 v9, 0x3fb8aa3b, v9
	s_delay_alu instid0(VALU_DEP_1)
	v_exp_f32_e32 v9, v9
	ds_store_b32 v7, v9
	v_nop
	v_add_f32_e32 v5, v5, v9
	v_add_nc_u32_e32 v7, 0x200, v7
	s_and_not1_b32 exec_lo, exec_lo, s26
	s_cbranch_execnz .LBB197_530
; %bb.531:
	s_or_b32 exec_lo, exec_lo, s26
.LBB197_532:
	s_delay_alu instid0(SALU_CYCLE_1)
	s_or_b32 exec_lo, exec_lo, s19
	ds_bpermute_b32 v0, v0, v5
	s_wait_dscnt 0x0
	v_add_f32_e32 v0, v5, v0
	ds_bpermute_b32 v1, v1, v0
	s_wait_dscnt 0x0
	v_add_f32_e32 v0, v0, v1
	;; [unrolled: 3-line block ×5, first 2 shown]
	s_and_saveexec_b32 s4, vcc_lo
; %bb.533:
	ds_store_b32 v3, v0 offset:528
; %bb.534:
	s_or_b32 exec_lo, exec_lo, s4
	s_wait_dscnt 0x0
	s_barrier_signal -1
	s_barrier_wait -1
	s_and_saveexec_b32 s4, s0
; %bb.535:
	ds_load_b32 v0, v4 offset:528
; %bb.536:
	s_or_b32 exec_lo, exec_lo, s4
	s_wait_dscnt 0x0
	ds_bpermute_b32 v1, v95, v0
	s_wait_dscnt 0x0
	v_dual_lshlrev_b32 v2, 2, v10 :: v_dual_add_f32 v0, v0, v1
	ds_bpermute_b32 v1, v96, v0
	s_wait_dscnt 0x0
	v_add_f32_e32 v0, v0, v1
	v_and_b32_e32 v1, 0xffffff80, v2
	ds_bpermute_b32 v0, v1, v0
	s_and_saveexec_b32 s0, s1
	s_cbranch_execz .LBB197_549
; %bb.537:
	s_wait_dscnt 0x0
	v_add_f32_e32 v0, 0x358637bd, v0
	s_mov_b32 s4, -1
	s_mov_b32 s1, exec_lo
	s_delay_alu instid0(VALU_DEP_1) | instskip(NEXT) | instid1(VALU_DEP_1)
	v_div_scale_f32 v1, null, v0, v0, 1.0
	v_rcp_f32_e32 v3, v1
	v_nop
	s_delay_alu instid0(TRANS32_DEP_1) | instskip(NEXT) | instid1(VALU_DEP_1)
	v_fma_f32 v2, -v1, v3, 1.0
	v_fmac_f32_e32 v3, v2, v3
	v_div_scale_f32 v4, vcc_lo, 1.0, v0, 1.0
	s_delay_alu instid0(VALU_DEP_1) | instskip(NEXT) | instid1(VALU_DEP_1)
	v_mul_f32_e32 v5, v4, v3
	v_fma_f32 v2, -v1, v5, v4
	s_delay_alu instid0(VALU_DEP_1) | instskip(NEXT) | instid1(VALU_DEP_1)
	v_fmac_f32_e32 v5, v2, v3
	v_fma_f32 v1, -v1, v5, v4
	scratch_load_b32 v4, off, off offset:312 ; 4-byte Folded Reload
	v_div_fmas_f32 v1, v1, v3, v5
	s_delay_alu instid0(VALU_DEP_1) | instskip(SKIP_3) | instid1(VALU_DEP_2)
	v_div_fixup_f32 v0, v1, v0, 1.0
	s_wait_loadcnt 0x0
	v_xad_u32 v2, v4, -1, s5
	v_mov_b32_e32 v1, v4
	v_cmpx_lt_u32_e32 0x7f, v2
	s_cbranch_execz .LBB197_546
; %bb.538:
	v_dual_mov_b32 v1, v0 :: v_dual_lshrrev_b32 v2, 7, v2
	s_delay_alu instid0(VALU_DEP_1) | instskip(NEXT) | instid1(VALU_DEP_1)
	v_dual_mov_b32 v6, 0 :: v_dual_add_nc_u32 v3, -1, v2
	v_lshrrev_b32_e32 v4, 1, v3
	v_cmp_lt_u32_e32 vcc_lo, 13, v3
	s_delay_alu instid0(VALU_DEP_2)
	v_add_nc_u32_e32 v3, 1, v4
	s_and_saveexec_b32 s4, vcc_lo
	s_cbranch_execz .LBB197_542
; %bb.539:
	scratch_load_b32 v5, off, off offset:312 ; 4-byte Folded Reload
	v_and_b32_e32 v4, -8, v3
	s_mov_b32 s19, 0
	s_mov_b32 s26, 0
	s_wait_loadcnt 0x0
	v_lshl_add_u32 v5, v5, 2, 0x220
.LBB197_540:                            ; =>This Inner Loop Header: Depth=1
	ds_load_2addr_stride64_b32 v[6:7], v5 offset1:2
	ds_load_2addr_stride64_b32 v[8:9], v5 offset0:4 offset1:6
	ds_load_2addr_stride64_b32 v[10:11], v5 offset0:8 offset1:10
	;; [unrolled: 1-line block ×7, first 2 shown]
	s_add_co_i32 s26, s26, 16
	v_add_nc_u32_e32 v4, -8, v4
	s_wait_dscnt 0x7
	v_pk_mul_f32 v[6:7], v[0:1], v[6:7]
	s_wait_dscnt 0x6
	v_pk_mul_f32 v[8:9], v[0:1], v[8:9]
	s_wait_dscnt 0x5
	v_pk_mul_f32 v[10:11], v[0:1], v[10:11]
	s_wait_dscnt 0x4
	v_pk_mul_f32 v[12:13], v[0:1], v[12:13]
	s_wait_dscnt 0x3
	v_pk_mul_f32 v[14:15], v[0:1], v[14:15]
	s_wait_dscnt 0x2
	v_pk_mul_f32 v[16:17], v[0:1], v[16:17]
	s_wait_dscnt 0x1
	v_pk_mul_f32 v[18:19], v[0:1], v[18:19]
	s_wait_dscnt 0x0
	v_pk_mul_f32 v[20:21], v[0:1], v[20:21]
	ds_store_2addr_stride64_b32 v5, v6, v7 offset1:2
	ds_store_2addr_stride64_b32 v5, v8, v9 offset0:4 offset1:6
	ds_store_2addr_stride64_b32 v5, v10, v11 offset0:8 offset1:10
	;; [unrolled: 1-line block ×7, first 2 shown]
	v_mov_b32_e32 v6, s26
	v_cmp_eq_u32_e32 vcc_lo, 0, v4
	v_add_nc_u32_e32 v5, 0x2000, v5
	s_or_b32 s19, vcc_lo, s19
	s_delay_alu instid0(SALU_CYCLE_1)
	s_and_not1_b32 exec_lo, exec_lo, s19
	s_cbranch_execnz .LBB197_540
; %bb.541:
	s_or_b32 exec_lo, exec_lo, s19
.LBB197_542:
	s_delay_alu instid0(SALU_CYCLE_1) | instskip(NEXT) | instid1(VALU_DEP_1)
	s_or_b32 exec_lo, exec_lo, s4
	v_and_b32_e32 v3, 7, v3
	s_mov_b32 s19, 0
	s_mov_b32 s4, exec_lo
	s_delay_alu instid0(VALU_DEP_1)
	v_cmpx_ne_u32_e32 0, v3
	s_cbranch_execz .LBB197_545
; %bb.543:
	v_lshlrev_b32_e32 v4, 9, v6
	s_delay_alu instid0(VALU_DEP_1)
	v_add3_u32 v4, v4, v22, 0x220
.LBB197_544:                            ; =>This Inner Loop Header: Depth=1
	ds_load_2addr_stride64_b32 v[6:7], v4 offset1:2
	v_add_nc_u32_e32 v3, -1, v3
	s_delay_alu instid0(VALU_DEP_1)
	v_cmp_eq_u32_e32 vcc_lo, 0, v3
	s_or_b32 s19, vcc_lo, s19
	s_wait_dscnt 0x0
	v_pk_mul_f32 v[6:7], v[0:1], v[6:7]
	ds_store_2addr_stride64_b32 v4, v6, v7 offset1:2
	v_add_nc_u32_e32 v4, 0x400, v4
	s_and_not1_b32 exec_lo, exec_lo, s19
	s_cbranch_execnz .LBB197_544
.LBB197_545:
	s_or_b32 exec_lo, exec_lo, s4
	v_add_nc_u32_e32 v1, 1, v2
	s_delay_alu instid0(VALU_DEP_1) | instskip(NEXT) | instid1(VALU_DEP_1)
	v_and_b32_e32 v2, 0x3fffffe, v1
	v_cmp_ne_u32_e32 vcc_lo, v1, v2
	scratch_load_b32 v1, off, off offset:312 ; 4-byte Folded Reload
	s_or_not1_b32 s4, vcc_lo, exec_lo
	s_wait_loadcnt 0x0
	v_lshl_add_u32 v1, v2, 7, v1
.LBB197_546:
	s_or_b32 exec_lo, exec_lo, s1
	s_delay_alu instid0(SALU_CYCLE_1)
	s_and_b32 exec_lo, exec_lo, s4
	s_cbranch_execz .LBB197_549
; %bb.547:
	s_delay_alu instid0(VALU_DEP_1)
	v_lshl_add_u32 v2, v1, 2, 0x220
	s_mov_b32 s1, 0
.LBB197_548:                            ; =>This Inner Loop Header: Depth=1
	ds_load_b32 v3, v2
	v_add_nc_u32_e32 v1, 0x80, v1
	s_delay_alu instid0(VALU_DEP_1)
	v_cmp_le_i32_e32 vcc_lo, s5, v1
	s_or_b32 s1, vcc_lo, s1
	s_wait_dscnt 0x0
	v_mul_f32_e32 v3, v0, v3
	ds_store_b32 v2, v3
	v_add_nc_u32_e32 v2, 0x200, v2
	s_and_not1_b32 exec_lo, exec_lo, s1
	s_cbranch_execnz .LBB197_548
.LBB197_549:
	s_or_b32 exec_lo, exec_lo, s0
	s_wait_dscnt 0x0
	scratch_load_b32 v0, off, off offset:312 ; 4-byte Folded Reload
	v_dual_mov_b32 v7, 0 :: v_dual_mov_b32 v6, 0
	v_dual_mov_b32 v9, 0 :: v_dual_mov_b32 v8, 0
	;; [unrolled: 1-line block ×8, first 2 shown]
	s_wait_loadcnt 0x0
	s_barrier_signal -1
	s_barrier_wait -1
	v_and_b32_e32 v97, 3, v0
	s_wait_xcnt 0x0
	s_and_saveexec_b32 s1, s3
	s_cbranch_execz .LBB197_1097
; %bb.550:
	scratch_load_b32 v100, off, off offset:316 ; 4-byte Folded Reload
	s_load_b32 s4, s[6:7], 0x0
	v_dual_mov_b32 v23, 0 :: v_dual_bitop2_b32 v0, 12, v22 bitop3:0x40
	v_and_b32_e32 v22, 0x7c, v22
	s_ashr_i32 s19, s18, 31
	v_dual_lshlrev_b32 v1, 4, v97 :: v_dual_mov_b32 v7, 0
	s_wait_xcnt 0x0
	s_lshl_b64 s[6:7], s[14:15], 2
	s_add_nc_u64 s[14:15], s[20:21], s[18:19]
	s_add_nc_u64 s[6:7], s[16:17], s[6:7]
	v_add_nc_u64_e32 v[24:25], s[14:15], v[22:23]
	v_and_b32_e32 v22, 0x7c, v26
	v_dual_mov_b32 v6, 0 :: v_dual_mov_b32 v9, 0
	v_dual_mov_b32 v11, 0 :: v_dual_mov_b32 v10, 0
	s_delay_alu instid0(VALU_DEP_3)
	v_add_nc_u64_e32 v[26:27], s[6:7], v[22:23]
	v_dual_mov_b32 v13, 0 :: v_dual_mov_b32 v12, 0
	v_dual_mov_b32 v15, 0 :: v_dual_mov_b32 v14, 0
	;; [unrolled: 1-line block ×5, first 2 shown]
	s_mov_b32 s3, s9
	s_wait_kmcnt 0x0
	s_mov_b32 s5, s4
	s_add_co_i32 s6, s13, -1
	s_mov_b32 s9, s25
	s_mov_b32 s7, 0
	s_wait_loadcnt 0x0
	v_lshl_or_b32 v1, v100, 6, v1
	v_mov_b32_e32 v8, 0
	v_lshl_or_b32 v98, v100, 4, v0
	s_delay_alu instid0(VALU_DEP_3)
	v_add_nc_u32_e32 v99, 0x220, v1
	s_branch .LBB197_552
.LBB197_551:                            ;   in Loop: Header=BB197_552 Depth=1
	s_or_b32 exec_lo, exec_lo, s0
	s_wait_dscnt 0x0
	v_mul_f32_e32 v82, v2, v82
	v_dual_mul_f32 v22, v2, v86 :: v_dual_add_nc_u32 v100, 4, v100
	v_add_nc_u32_e32 v98, 64, v98
	v_add_nc_u64_e32 v[26:27], 16, v[26:27]
	s_delay_alu instid0(VALU_DEP_4) | instskip(NEXT) | instid1(VALU_DEP_4)
	v_fmac_f32_e32 v82, v3, v83
	v_dual_fmac_f32 v22, v3, v87 :: v_dual_mul_f32 v78, v2, v78
	v_mul_f32_e32 v70, v2, v70
	v_cmp_le_i32_e32 vcc_lo, s13, v100
	s_delay_alu instid0(VALU_DEP_4) | instskip(NEXT) | instid1(VALU_DEP_4)
	v_fmac_f32_e32 v82, v4, v80
	v_dual_fmac_f32 v22, v4, v84 :: v_dual_mul_f32 v74, v2, v74
	v_dual_fmac_f32 v78, v3, v79 :: v_dual_mul_f32 v66, v2, v66
	s_delay_alu instid0(VALU_DEP_3) | instskip(SKIP_1) | instid1(VALU_DEP_3)
	v_fmac_f32_e32 v82, v5, v81
	s_or_b32 s7, vcc_lo, s7
	v_dual_fmac_f32 v74, v3, v75 :: v_dual_mul_f32 v52, v2, v52
	v_dual_mul_f32 v0, v2, v0 :: v_dual_mul_f32 v58, v2, v58
	v_mul_f32_e32 v48, v2, v48
	s_delay_alu instid0(VALU_DEP_3) | instskip(NEXT) | instid1(VALU_DEP_3)
	v_dual_fmac_f32 v74, v4, v72 :: v_dual_fmac_f32 v52, v3, v53
	v_dual_fmac_f32 v0, v3, v1 :: v_dual_fmac_f32 v58, v3, v59
	s_delay_alu instid0(VALU_DEP_3) | instskip(NEXT) | instid1(VALU_DEP_3)
	v_fmac_f32_e32 v48, v3, v49
	v_fmac_f32_e32 v74, v5, v73
	s_delay_alu instid0(VALU_DEP_3) | instskip(NEXT) | instid1(VALU_DEP_3)
	v_dual_fmac_f32 v78, v4, v76 :: v_dual_fmac_f32 v0, v4, v54
	v_dual_fmac_f32 v58, v4, v56 :: v_dual_fmac_f32 v48, v4, v46
	s_delay_alu instid0(VALU_DEP_2) | instskip(SKIP_1) | instid1(VALU_DEP_3)
	v_dual_add_f32 v11, v11, v74 :: v_dual_fmac_f32 v78, v5, v77
	v_dual_fmac_f32 v22, v5, v85 :: v_dual_fmac_f32 v52, v4, v50
	v_dual_fmac_f32 v58, v5, v57 :: v_dual_fmac_f32 v0, v5, v55
	s_delay_alu instid0(VALU_DEP_3) | instskip(NEXT) | instid1(VALU_DEP_3)
	v_dual_add_f32 v8, v8, v78 :: v_dual_fmac_f32 v70, v3, v71
	v_add_f32_e32 v6, v6, v22
	v_dual_mul_f32 v22, v2, v62 :: v_dual_fmac_f32 v66, v3, v67
	v_add_f32_e32 v9, v9, v82
	v_dual_fmac_f32 v52, v5, v51 :: v_dual_add_f32 v15, v15, v58
	s_delay_alu instid0(VALU_DEP_3) | instskip(NEXT) | instid1(VALU_DEP_4)
	v_fmac_f32_e32 v22, v3, v63
	v_dual_fmac_f32 v66, v4, v64 :: v_dual_mul_f32 v30, v2, v30
	s_delay_alu instid0(VALU_DEP_2) | instskip(NEXT) | instid1(VALU_DEP_2)
	v_dual_fmac_f32 v22, v4, v60 :: v_dual_add_nc_u32 v99, 0x100, v99
	v_fmac_f32_e32 v66, v5, v65
	v_fmac_f32_e32 v70, v4, v68
	s_delay_alu instid0(VALU_DEP_4) | instskip(NEXT) | instid1(VALU_DEP_4)
	v_fmac_f32_e32 v30, v3, v31
	v_fmac_f32_e32 v22, v5, v61
	s_delay_alu instid0(VALU_DEP_4) | instskip(NEXT) | instid1(VALU_DEP_2)
	v_add_f32_e32 v13, v13, v66
	v_dual_fmac_f32 v70, v5, v69 :: v_dual_add_f32 v12, v12, v22
	v_dual_mul_f32 v22, v2, v44 :: v_dual_fmac_f32 v48, v5, v47
	v_add_f32_e32 v14, v14, v0
	v_add_f32_e32 v17, v17, v52
	v_pk_mul_f32 v[0:1], v[2:3], v[88:89]
	s_delay_alu instid0(VALU_DEP_4) | instskip(SKIP_2) | instid1(VALU_DEP_3)
	v_dual_fmac_f32 v22, v3, v45 :: v_dual_add_f32 v16, v16, v48
	v_mul_f32_e32 v40, v2, v40
	v_add_f32_e32 v10, v10, v70
	v_dual_fmac_f32 v22, v4, v42 :: v_dual_mul_f32 v36, v2, v36
	s_delay_alu instid0(VALU_DEP_3) | instskip(NEXT) | instid1(VALU_DEP_2)
	v_dual_fmac_f32 v40, v3, v41 :: v_dual_add_f32 v0, v1, v0
	v_fmac_f32_e32 v36, v3, v37
	v_pk_mul_f32 v[2:3], v[4:5], v[32:33]
	s_delay_alu instid0(VALU_DEP_3) | instskip(NEXT) | instid1(VALU_DEP_3)
	v_dual_fmac_f32 v22, v5, v43 :: v_dual_fmac_f32 v40, v4, v38
	v_dual_fmac_f32 v36, v4, v34 :: v_dual_fmac_f32 v30, v4, v28
	s_delay_alu instid0(VALU_DEP_2) | instskip(NEXT) | instid1(VALU_DEP_3)
	v_dual_add_f32 v19, v19, v22 :: v_dual_add_f32 v0, v2, v0
	v_fmac_f32_e32 v40, v5, v39
	s_delay_alu instid0(VALU_DEP_3) | instskip(NEXT) | instid1(VALU_DEP_3)
	v_dual_fmac_f32 v36, v5, v35 :: v_dual_fmac_f32 v30, v5, v29
	v_add_f32_e32 v0, v3, v0
	s_delay_alu instid0(VALU_DEP_3) | instskip(NEXT) | instid1(VALU_DEP_3)
	v_add_f32_e32 v18, v18, v40
	v_dual_add_f32 v21, v21, v36 :: v_dual_add_f32 v20, v20, v30
	s_delay_alu instid0(VALU_DEP_3)
	v_add_f32_e32 v7, v7, v0
	s_and_not1_b32 exec_lo, exec_lo, s7
	s_cbranch_execz .LBB197_1096
.LBB197_552:                            ; =>This Inner Loop Header: Depth=1
	global_load_b32 v0, v[26:27], off
	ds_load_b128 v[2:5], v99
	v_mov_b64_e32 v[28:29], 0
	s_mov_b32 s0, exec_lo
	s_wait_loadcnt 0x0
	v_mad_nc_i64_i32 v[32:33], v0, s3, v[24:25]
	v_mov_b64_e32 v[0:1], 0
	global_load_b32 v36, v[32:33], off
	s_wait_loadcnt 0x0
	v_and_b32_e32 v22, 0xff, v36
	s_delay_alu instid0(VALU_DEP_1)
	v_cmpx_ne_u16_e32 0, v22
	s_cbranch_execz .LBB197_560
; %bb.553:                              ;   in Loop: Header=BB197_552 Depth=1
	v_mov_b64_e32 v[28:29], 0x80000000
	s_mov_b32 s14, exec_lo
	v_cmpx_ne_u16_e32 0x80, v22
	s_cbranch_execz .LBB197_559
; %bb.554:                              ;   in Loop: Header=BB197_552 Depth=1
	v_mov_b64_e32 v[28:29], 0x7f800001
	v_and_b32_e32 v30, 0x7f, v36
	s_mov_b32 s15, exec_lo
	s_delay_alu instid0(VALU_DEP_1)
	v_cmpx_ne_u32_e32 0x7f, v30
	s_cbranch_execz .LBB197_558
; %bb.555:                              ;   in Loop: Header=BB197_552 Depth=1
	v_dual_lshrrev_b32 v28, 3, v30 :: v_dual_bitop2_b32 v22, 7, v36 bitop3:0x40
	s_mov_b32 s16, exec_lo
	v_cmpx_gt_u32_e32 8, v30
; %bb.556:                              ;   in Loop: Header=BB197_552 Depth=1
	s_delay_alu instid0(VALU_DEP_2) | instskip(NEXT) | instid1(VALU_DEP_1)
	v_clz_i32_u32_e32 v28, v22
	v_min_u32_e32 v28, 32, v28
	s_delay_alu instid0(VALU_DEP_1) | instskip(NEXT) | instid1(VALU_DEP_1)
	v_subrev_nc_u32_e32 v29, 28, v28
	v_lshlrev_b64_e32 v[30:31], v29, v[22:23]
	s_delay_alu instid0(VALU_DEP_1)
	v_dual_sub_nc_u32 v28, 29, v28 :: v_dual_bitop2_b32 v22, 7, v30 bitop3:0x40
; %bb.557:                              ;   in Loop: Header=BB197_552 Depth=1
	s_or_b32 exec_lo, exec_lo, s16
	s_delay_alu instid0(VALU_DEP_1) | instskip(NEXT) | instid1(VALU_DEP_2)
	v_dual_lshlrev_b32 v29, 24, v36 :: v_dual_lshlrev_b32 v22, 20, v22
	v_lshl_add_u32 v28, v28, 23, 0x3c000000
	s_delay_alu instid0(VALU_DEP_2) | instskip(NEXT) | instid1(VALU_DEP_1)
	v_and_b32_e32 v29, 0x80000000, v29
	v_or3_b32 v22, v22, v29, v28
	s_delay_alu instid0(VALU_DEP_1)
	v_mov_b64_e32 v[28:29], v[22:23]
.LBB197_558:                            ;   in Loop: Header=BB197_552 Depth=1
	s_or_b32 exec_lo, exec_lo, s15
.LBB197_559:                            ;   in Loop: Header=BB197_552 Depth=1
	s_delay_alu instid0(SALU_CYCLE_1)
	s_or_b32 exec_lo, exec_lo, s14
.LBB197_560:                            ;   in Loop: Header=BB197_552 Depth=1
	s_delay_alu instid0(SALU_CYCLE_1) | instskip(SKIP_2) | instid1(VALU_DEP_1)
	s_or_b32 exec_lo, exec_lo, s0
	v_lshrrev_b16 v22, 8, v36
	s_mov_b32 s0, exec_lo
	v_cmpx_ne_u16_e32 0, v22
	s_cbranch_execz .LBB197_568
; %bb.561:                              ;   in Loop: Header=BB197_552 Depth=1
	v_mov_b64_e32 v[0:1], 0x8000000000000000
	s_mov_b32 s14, exec_lo
	v_cmpx_ne_u16_e32 0x80, v22
	s_cbranch_execz .LBB197_567
; %bb.562:                              ;   in Loop: Header=BB197_552 Depth=1
	v_and_b32_e32 v22, 0xffff, v22
	v_mov_b64_e32 v[0:1], 0x7f80000100000000
	s_mov_b32 s15, exec_lo
	s_delay_alu instid0(VALU_DEP_2) | instskip(NEXT) | instid1(VALU_DEP_1)
	v_and_b32_e32 v30, 0x7f, v22
	v_cmpx_ne_u32_e32 0x7f, v30
	s_cbranch_execz .LBB197_566
; %bb.563:                              ;   in Loop: Header=BB197_552 Depth=1
	v_and_b32_e32 v22, 7, v22
	v_lshrrev_b32_e32 v0, 3, v30
	s_mov_b32 s16, exec_lo
	v_cmpx_gt_u32_e32 8, v30
; %bb.564:                              ;   in Loop: Header=BB197_552 Depth=1
	s_delay_alu instid0(VALU_DEP_3) | instskip(NEXT) | instid1(VALU_DEP_1)
	v_clz_i32_u32_e32 v0, v22
	v_min_u32_e32 v0, 32, v0
	s_delay_alu instid0(VALU_DEP_1) | instskip(NEXT) | instid1(VALU_DEP_1)
	v_subrev_nc_u32_e32 v1, 28, v0
	v_lshlrev_b64_e32 v[30:31], v1, v[22:23]
	s_delay_alu instid0(VALU_DEP_1)
	v_dual_sub_nc_u32 v0, 29, v0 :: v_dual_bitop2_b32 v22, 7, v30 bitop3:0x40
; %bb.565:                              ;   in Loop: Header=BB197_552 Depth=1
	s_or_b32 exec_lo, exec_lo, s16
	s_delay_alu instid0(VALU_DEP_1) | instskip(NEXT) | instid1(VALU_DEP_2)
	v_dual_lshlrev_b32 v1, 16, v36 :: v_dual_lshlrev_b32 v22, 20, v22
	v_lshl_add_u32 v0, v0, 23, 0x3c000000
	s_delay_alu instid0(VALU_DEP_2) | instskip(NEXT) | instid1(VALU_DEP_1)
	v_and_b32_e32 v1, 0x80000000, v1
	v_or3_b32 v1, v22, v1, v0
	v_mov_b32_e32 v0, v23
.LBB197_566:                            ;   in Loop: Header=BB197_552 Depth=1
	s_or_b32 exec_lo, exec_lo, s15
.LBB197_567:                            ;   in Loop: Header=BB197_552 Depth=1
	s_delay_alu instid0(SALU_CYCLE_1)
	s_or_b32 exec_lo, exec_lo, s14
.LBB197_568:                            ;   in Loop: Header=BB197_552 Depth=1
	s_delay_alu instid0(SALU_CYCLE_1) | instskip(SKIP_4) | instid1(VALU_DEP_3)
	s_or_b32 exec_lo, exec_lo, s0
	v_lshrrev_b32_e32 v37, 16, v36
	v_mov_b64_e32 v[30:31], 0
	v_mov_b64_e32 v[34:35], 0
	s_mov_b32 s0, exec_lo
	v_and_b32_e32 v22, 0xff, v37
	s_delay_alu instid0(VALU_DEP_1)
	v_cmpx_ne_u16_e32 0, v22
	s_cbranch_execz .LBB197_576
; %bb.569:                              ;   in Loop: Header=BB197_552 Depth=1
	v_mov_b64_e32 v[34:35], 0x80000000
	s_mov_b32 s14, exec_lo
	v_cmpx_ne_u16_e32 0x80, v22
	s_cbranch_execz .LBB197_575
; %bb.570:                              ;   in Loop: Header=BB197_552 Depth=1
	v_mov_b64_e32 v[34:35], 0x7f800001
	v_bfe_u32 v38, v36, 16, 7
	s_mov_b32 s15, exec_lo
	s_delay_alu instid0(VALU_DEP_1)
	v_cmpx_ne_u32_e32 0x7f, v38
	s_cbranch_execz .LBB197_574
; %bb.571:                              ;   in Loop: Header=BB197_552 Depth=1
	v_dual_lshrrev_b32 v34, 3, v38 :: v_dual_bitop2_b32 v22, 7, v37 bitop3:0x40
	s_mov_b32 s16, exec_lo
	v_cmpx_gt_u32_e32 8, v38
; %bb.572:                              ;   in Loop: Header=BB197_552 Depth=1
	s_delay_alu instid0(VALU_DEP_2) | instskip(NEXT) | instid1(VALU_DEP_1)
	v_clz_i32_u32_e32 v34, v22
	v_min_u32_e32 v34, 32, v34
	s_delay_alu instid0(VALU_DEP_1) | instskip(SKIP_1) | instid1(VALU_DEP_2)
	v_subrev_nc_u32_e32 v35, 28, v34
	v_sub_nc_u32_e32 v34, 29, v34
	v_lshlrev_b64_e32 v[38:39], v35, v[22:23]
	s_delay_alu instid0(VALU_DEP_1)
	v_and_b32_e32 v22, 7, v38
; %bb.573:                              ;   in Loop: Header=BB197_552 Depth=1
	s_or_b32 exec_lo, exec_lo, s16
	s_delay_alu instid0(VALU_DEP_1) | instskip(SKIP_1) | instid1(VALU_DEP_2)
	v_dual_lshlrev_b32 v35, 24, v37 :: v_dual_lshlrev_b32 v22, 20, v22
	v_lshl_add_u32 v34, v34, 23, 0x3c000000
	v_and_b32_e32 v35, 0x80000000, v35
	s_delay_alu instid0(VALU_DEP_1) | instskip(NEXT) | instid1(VALU_DEP_1)
	v_or3_b32 v22, v22, v35, v34
	v_mov_b64_e32 v[34:35], v[22:23]
.LBB197_574:                            ;   in Loop: Header=BB197_552 Depth=1
	s_or_b32 exec_lo, exec_lo, s15
.LBB197_575:                            ;   in Loop: Header=BB197_552 Depth=1
	s_delay_alu instid0(SALU_CYCLE_1)
	s_or_b32 exec_lo, exec_lo, s14
.LBB197_576:                            ;   in Loop: Header=BB197_552 Depth=1
	s_delay_alu instid0(SALU_CYCLE_1) | instskip(NEXT) | instid1(SALU_CYCLE_1)
	s_or_b32 exec_lo, exec_lo, s0
	s_mov_b32 s0, exec_lo
	v_cmpx_lt_u32_e32 0xffffff, v36
	s_cbranch_execz .LBB197_584
; %bb.577:                              ;   in Loop: Header=BB197_552 Depth=1
	v_mov_b64_e32 v[30:31], 0x8000000000000000
	v_lshrrev_b32_e32 v37, 24, v36
	s_mov_b32 s14, exec_lo
	s_delay_alu instid0(VALU_DEP_1)
	v_cmpx_ne_u32_e32 0x80, v37
	s_cbranch_execz .LBB197_583
; %bb.578:                              ;   in Loop: Header=BB197_552 Depth=1
	v_mov_b64_e32 v[30:31], 0x7f80000100000000
	v_bfe_u32 v36, v36, 24, 7
	s_mov_b32 s15, exec_lo
	s_delay_alu instid0(VALU_DEP_1)
	v_cmpx_ne_u32_e32 0x7f, v36
	s_cbranch_execz .LBB197_582
; %bb.579:                              ;   in Loop: Header=BB197_552 Depth=1
	v_dual_lshrrev_b32 v30, 3, v36 :: v_dual_bitop2_b32 v22, 7, v37 bitop3:0x40
	s_mov_b32 s16, exec_lo
	v_cmpx_gt_u32_e32 8, v36
; %bb.580:                              ;   in Loop: Header=BB197_552 Depth=1
	s_delay_alu instid0(VALU_DEP_2) | instskip(NEXT) | instid1(VALU_DEP_1)
	v_clz_i32_u32_e32 v30, v22
	v_min_u32_e32 v30, 32, v30
	s_delay_alu instid0(VALU_DEP_1) | instskip(SKIP_1) | instid1(VALU_DEP_2)
	v_subrev_nc_u32_e32 v31, 28, v30
	v_sub_nc_u32_e32 v30, 29, v30
	v_lshlrev_b64_e32 v[38:39], v31, v[22:23]
	s_delay_alu instid0(VALU_DEP_1)
	v_and_b32_e32 v22, 7, v38
; %bb.581:                              ;   in Loop: Header=BB197_552 Depth=1
	s_or_b32 exec_lo, exec_lo, s16
	s_delay_alu instid0(VALU_DEP_1) | instskip(SKIP_1) | instid1(VALU_DEP_2)
	v_dual_lshlrev_b32 v31, 24, v37 :: v_dual_lshlrev_b32 v22, 20, v22
	v_lshl_add_u32 v30, v30, 23, 0x3c000000
	v_and_b32_e32 v31, 0x80000000, v31
	s_delay_alu instid0(VALU_DEP_1)
	v_or3_b32 v31, v22, v31, v30
	v_mov_b32_e32 v30, v23
.LBB197_582:                            ;   in Loop: Header=BB197_552 Depth=1
	s_or_b32 exec_lo, exec_lo, s15
.LBB197_583:                            ;   in Loop: Header=BB197_552 Depth=1
	s_delay_alu instid0(SALU_CYCLE_1)
	s_or_b32 exec_lo, exec_lo, s14
.LBB197_584:                            ;   in Loop: Header=BB197_552 Depth=1
	s_delay_alu instid0(SALU_CYCLE_1)
	s_or_b32 exec_lo, exec_lo, s0
	v_dual_add_nc_u32 v101, 1, v98 :: v_dual_bitop2_b32 v1, v1, v29 bitop3:0x54
	v_dual_add_nc_u32 v93, 2, v98 :: v_dual_bitop2_b32 v0, v0, v28 bitop3:0x54
	v_mov_b64_e32 v[28:29], s[4:5]
	v_dual_add_nc_u32 v92, 3, v98 :: v_dual_bitop2_b32 v35, v31, v35 bitop3:0x54
	v_or_b32_e32 v34, v30, v34
	v_cmp_eq_u32_e32 vcc_lo, s6, v100
	s_delay_alu instid0(VALU_DEP_4) | instskip(NEXT) | instid1(VALU_DEP_3)
	v_pk_mul_f32 v[30:31], v[28:29], v[0:1]
	v_pk_mul_f32 v[28:29], v[28:29], v[34:35]
	s_and_saveexec_b32 s14, vcc_lo
	s_cbranch_execz .LBB197_586
; %bb.585:                              ;   in Loop: Header=BB197_552 Depth=1
	v_cmp_gt_i32_e64 s0, s25, v98
	s_delay_alu instid0(VALU_DEP_1) | instskip(SKIP_1) | instid1(VALU_DEP_1)
	v_cndmask_b32_e64 v30, 0, v30, s0
	v_cmp_gt_i32_e64 s0, s25, v101
	v_cndmask_b32_e64 v31, 0, v31, s0
	v_cmp_gt_i32_e64 s0, s25, v93
	s_delay_alu instid0(VALU_DEP_1) | instskip(SKIP_1) | instid1(VALU_DEP_1)
	v_cndmask_b32_e64 v28, 0, v28, s0
	v_cmp_gt_i32_e64 s0, s25, v92
	v_cndmask_b32_e64 v29, 0, v29, s0
.LBB197_586:                            ;   in Loop: Header=BB197_552 Depth=1
	s_or_b32 exec_lo, exec_lo, s14
	global_load_b32 v40, v[32:33], off offset:128
	v_mov_b64_e32 v[0:1], 0
	v_mov_b64_e32 v[34:35], 0
	s_mov_b32 s14, exec_lo
	s_wait_loadcnt 0x0
	v_and_b32_e32 v22, 0xff, v40
	s_delay_alu instid0(VALU_DEP_1)
	v_cmpx_ne_u16_e32 0, v22
	s_cbranch_execz .LBB197_594
; %bb.587:                              ;   in Loop: Header=BB197_552 Depth=1
	v_mov_b64_e32 v[34:35], 0x80000000
	s_mov_b32 s15, exec_lo
	v_cmpx_ne_u16_e32 0x80, v22
	s_cbranch_execz .LBB197_593
; %bb.588:                              ;   in Loop: Header=BB197_552 Depth=1
	v_mov_b64_e32 v[34:35], 0x7f800001
	v_and_b32_e32 v36, 0x7f, v40
	s_mov_b32 s16, exec_lo
	s_delay_alu instid0(VALU_DEP_1)
	v_cmpx_ne_u32_e32 0x7f, v36
	s_cbranch_execz .LBB197_592
; %bb.589:                              ;   in Loop: Header=BB197_552 Depth=1
	v_and_b32_e32 v22, 7, v40
	v_lshrrev_b32_e32 v34, 3, v36
	s_mov_b32 s17, exec_lo
	v_cmpx_gt_u32_e32 8, v36
; %bb.590:                              ;   in Loop: Header=BB197_552 Depth=1
	s_delay_alu instid0(VALU_DEP_3) | instskip(NEXT) | instid1(VALU_DEP_1)
	v_clz_i32_u32_e32 v34, v22
	v_min_u32_e32 v34, 32, v34
	s_delay_alu instid0(VALU_DEP_1) | instskip(NEXT) | instid1(VALU_DEP_1)
	v_subrev_nc_u32_e32 v35, 28, v34
	v_lshlrev_b64_e32 v[36:37], v35, v[22:23]
	s_delay_alu instid0(VALU_DEP_1)
	v_dual_sub_nc_u32 v34, 29, v34 :: v_dual_bitop2_b32 v22, 7, v36 bitop3:0x40
; %bb.591:                              ;   in Loop: Header=BB197_552 Depth=1
	s_or_b32 exec_lo, exec_lo, s17
	s_delay_alu instid0(VALU_DEP_1) | instskip(NEXT) | instid1(VALU_DEP_2)
	v_dual_lshlrev_b32 v35, 24, v40 :: v_dual_lshlrev_b32 v22, 20, v22
	v_lshl_add_u32 v34, v34, 23, 0x3c000000
	s_delay_alu instid0(VALU_DEP_2) | instskip(NEXT) | instid1(VALU_DEP_1)
	v_and_b32_e32 v35, 0x80000000, v35
	v_or3_b32 v22, v22, v35, v34
	s_delay_alu instid0(VALU_DEP_1)
	v_mov_b64_e32 v[34:35], v[22:23]
.LBB197_592:                            ;   in Loop: Header=BB197_552 Depth=1
	s_or_b32 exec_lo, exec_lo, s16
.LBB197_593:                            ;   in Loop: Header=BB197_552 Depth=1
	s_delay_alu instid0(SALU_CYCLE_1)
	s_or_b32 exec_lo, exec_lo, s15
.LBB197_594:                            ;   in Loop: Header=BB197_552 Depth=1
	s_delay_alu instid0(SALU_CYCLE_1) | instskip(SKIP_2) | instid1(VALU_DEP_1)
	s_or_b32 exec_lo, exec_lo, s14
	v_lshrrev_b16 v22, 8, v40
	s_mov_b32 s14, exec_lo
	v_cmpx_ne_u16_e32 0, v22
	s_cbranch_execz .LBB197_602
; %bb.595:                              ;   in Loop: Header=BB197_552 Depth=1
	v_mov_b64_e32 v[0:1], 0x8000000000000000
	s_mov_b32 s15, exec_lo
	v_cmpx_ne_u16_e32 0x80, v22
	s_cbranch_execz .LBB197_601
; %bb.596:                              ;   in Loop: Header=BB197_552 Depth=1
	v_and_b32_e32 v22, 0xffff, v22
	v_mov_b64_e32 v[0:1], 0x7f80000100000000
	s_mov_b32 s16, exec_lo
	s_delay_alu instid0(VALU_DEP_2) | instskip(NEXT) | instid1(VALU_DEP_1)
	v_and_b32_e32 v36, 0x7f, v22
	v_cmpx_ne_u32_e32 0x7f, v36
	s_cbranch_execz .LBB197_600
; %bb.597:                              ;   in Loop: Header=BB197_552 Depth=1
	v_dual_lshrrev_b32 v0, 3, v36 :: v_dual_bitop2_b32 v22, 7, v22 bitop3:0x40
	s_mov_b32 s17, exec_lo
	v_cmpx_gt_u32_e32 8, v36
; %bb.598:                              ;   in Loop: Header=BB197_552 Depth=1
	s_delay_alu instid0(VALU_DEP_2) | instskip(NEXT) | instid1(VALU_DEP_1)
	v_clz_i32_u32_e32 v0, v22
	v_min_u32_e32 v0, 32, v0
	s_delay_alu instid0(VALU_DEP_1) | instskip(SKIP_1) | instid1(VALU_DEP_2)
	v_subrev_nc_u32_e32 v1, 28, v0
	v_sub_nc_u32_e32 v0, 29, v0
	v_lshlrev_b64_e32 v[36:37], v1, v[22:23]
	s_delay_alu instid0(VALU_DEP_1)
	v_and_b32_e32 v22, 7, v36
; %bb.599:                              ;   in Loop: Header=BB197_552 Depth=1
	s_or_b32 exec_lo, exec_lo, s17
	s_delay_alu instid0(VALU_DEP_1) | instskip(SKIP_1) | instid1(VALU_DEP_2)
	v_dual_lshlrev_b32 v1, 16, v40 :: v_dual_lshlrev_b32 v22, 20, v22
	v_lshl_add_u32 v0, v0, 23, 0x3c000000
	v_and_b32_e32 v1, 0x80000000, v1
	s_delay_alu instid0(VALU_DEP_1)
	v_or3_b32 v1, v22, v1, v0
	v_mov_b32_e32 v0, v23
.LBB197_600:                            ;   in Loop: Header=BB197_552 Depth=1
	s_or_b32 exec_lo, exec_lo, s16
.LBB197_601:                            ;   in Loop: Header=BB197_552 Depth=1
	s_delay_alu instid0(SALU_CYCLE_1)
	s_or_b32 exec_lo, exec_lo, s15
.LBB197_602:                            ;   in Loop: Header=BB197_552 Depth=1
	s_delay_alu instid0(SALU_CYCLE_1) | instskip(SKIP_4) | instid1(VALU_DEP_3)
	s_or_b32 exec_lo, exec_lo, s14
	v_lshrrev_b32_e32 v41, 16, v40
	v_mov_b64_e32 v[36:37], 0
	v_mov_b64_e32 v[38:39], 0
	s_mov_b32 s14, exec_lo
	v_and_b32_e32 v22, 0xff, v41
	s_delay_alu instid0(VALU_DEP_1)
	v_cmpx_ne_u16_e32 0, v22
	s_cbranch_execz .LBB197_610
; %bb.603:                              ;   in Loop: Header=BB197_552 Depth=1
	v_mov_b64_e32 v[38:39], 0x80000000
	s_mov_b32 s15, exec_lo
	v_cmpx_ne_u16_e32 0x80, v22
	s_cbranch_execz .LBB197_609
; %bb.604:                              ;   in Loop: Header=BB197_552 Depth=1
	v_mov_b64_e32 v[38:39], 0x7f800001
	v_bfe_u32 v42, v40, 16, 7
	s_mov_b32 s16, exec_lo
	s_delay_alu instid0(VALU_DEP_1)
	v_cmpx_ne_u32_e32 0x7f, v42
	s_cbranch_execz .LBB197_608
; %bb.605:                              ;   in Loop: Header=BB197_552 Depth=1
	v_dual_lshrrev_b32 v38, 3, v42 :: v_dual_bitop2_b32 v22, 7, v41 bitop3:0x40
	s_mov_b32 s17, exec_lo
	v_cmpx_gt_u32_e32 8, v42
; %bb.606:                              ;   in Loop: Header=BB197_552 Depth=1
	s_delay_alu instid0(VALU_DEP_2) | instskip(NEXT) | instid1(VALU_DEP_1)
	v_clz_i32_u32_e32 v38, v22
	v_min_u32_e32 v38, 32, v38
	s_delay_alu instid0(VALU_DEP_1) | instskip(SKIP_1) | instid1(VALU_DEP_2)
	v_subrev_nc_u32_e32 v39, 28, v38
	v_sub_nc_u32_e32 v38, 29, v38
	v_lshlrev_b64_e32 v[42:43], v39, v[22:23]
	s_delay_alu instid0(VALU_DEP_1)
	v_and_b32_e32 v22, 7, v42
; %bb.607:                              ;   in Loop: Header=BB197_552 Depth=1
	s_or_b32 exec_lo, exec_lo, s17
	s_delay_alu instid0(VALU_DEP_1) | instskip(SKIP_1) | instid1(VALU_DEP_2)
	v_dual_lshlrev_b32 v39, 24, v41 :: v_dual_lshlrev_b32 v22, 20, v22
	v_lshl_add_u32 v38, v38, 23, 0x3c000000
	v_and_b32_e32 v39, 0x80000000, v39
	s_delay_alu instid0(VALU_DEP_1) | instskip(NEXT) | instid1(VALU_DEP_1)
	v_or3_b32 v22, v22, v39, v38
	v_mov_b64_e32 v[38:39], v[22:23]
.LBB197_608:                            ;   in Loop: Header=BB197_552 Depth=1
	s_or_b32 exec_lo, exec_lo, s16
.LBB197_609:                            ;   in Loop: Header=BB197_552 Depth=1
	s_delay_alu instid0(SALU_CYCLE_1)
	s_or_b32 exec_lo, exec_lo, s15
.LBB197_610:                            ;   in Loop: Header=BB197_552 Depth=1
	s_delay_alu instid0(SALU_CYCLE_1) | instskip(NEXT) | instid1(SALU_CYCLE_1)
	s_or_b32 exec_lo, exec_lo, s14
	s_mov_b32 s14, exec_lo
	v_cmpx_lt_u32_e32 0xffffff, v40
	s_cbranch_execz .LBB197_618
; %bb.611:                              ;   in Loop: Header=BB197_552 Depth=1
	v_mov_b64_e32 v[36:37], 0x8000000000000000
	v_lshrrev_b32_e32 v41, 24, v40
	s_mov_b32 s15, exec_lo
	s_delay_alu instid0(VALU_DEP_1)
	v_cmpx_ne_u32_e32 0x80, v41
	s_cbranch_execz .LBB197_617
; %bb.612:                              ;   in Loop: Header=BB197_552 Depth=1
	v_mov_b64_e32 v[36:37], 0x7f80000100000000
	v_bfe_u32 v40, v40, 24, 7
	s_mov_b32 s16, exec_lo
	s_delay_alu instid0(VALU_DEP_1)
	v_cmpx_ne_u32_e32 0x7f, v40
	s_cbranch_execz .LBB197_616
; %bb.613:                              ;   in Loop: Header=BB197_552 Depth=1
	v_dual_lshrrev_b32 v36, 3, v40 :: v_dual_bitop2_b32 v22, 7, v41 bitop3:0x40
	s_mov_b32 s17, exec_lo
	v_cmpx_gt_u32_e32 8, v40
; %bb.614:                              ;   in Loop: Header=BB197_552 Depth=1
	s_delay_alu instid0(VALU_DEP_2) | instskip(NEXT) | instid1(VALU_DEP_1)
	v_clz_i32_u32_e32 v36, v22
	v_min_u32_e32 v36, 32, v36
	s_delay_alu instid0(VALU_DEP_1) | instskip(NEXT) | instid1(VALU_DEP_1)
	v_subrev_nc_u32_e32 v37, 28, v36
	v_lshlrev_b64_e32 v[42:43], v37, v[22:23]
	s_delay_alu instid0(VALU_DEP_1)
	v_dual_sub_nc_u32 v36, 29, v36 :: v_dual_bitop2_b32 v22, 7, v42 bitop3:0x40
; %bb.615:                              ;   in Loop: Header=BB197_552 Depth=1
	s_or_b32 exec_lo, exec_lo, s17
	s_delay_alu instid0(VALU_DEP_1) | instskip(NEXT) | instid1(VALU_DEP_2)
	v_dual_lshlrev_b32 v37, 24, v41 :: v_dual_lshlrev_b32 v22, 20, v22
	v_lshl_add_u32 v36, v36, 23, 0x3c000000
	s_delay_alu instid0(VALU_DEP_2) | instskip(NEXT) | instid1(VALU_DEP_1)
	v_and_b32_e32 v37, 0x80000000, v37
	v_or3_b32 v37, v22, v37, v36
	v_mov_b32_e32 v36, v23
.LBB197_616:                            ;   in Loop: Header=BB197_552 Depth=1
	s_or_b32 exec_lo, exec_lo, s16
.LBB197_617:                            ;   in Loop: Header=BB197_552 Depth=1
	s_delay_alu instid0(SALU_CYCLE_1)
	s_or_b32 exec_lo, exec_lo, s15
.LBB197_618:                            ;   in Loop: Header=BB197_552 Depth=1
	s_delay_alu instid0(SALU_CYCLE_1)
	s_or_b32 exec_lo, exec_lo, s14
	v_or_b32_e32 v1, v1, v35
	v_or_b32_e32 v0, v0, v34
	v_mov_b64_e32 v[34:35], s[4:5]
	v_or_b32_e32 v39, v37, v39
	v_or_b32_e32 v38, v36, v38
	s_delay_alu instid0(VALU_DEP_3) | instskip(NEXT) | instid1(VALU_DEP_2)
	v_pk_mul_f32 v[36:37], v[34:35], v[0:1]
	v_pk_mul_f32 v[34:35], v[34:35], v[38:39]
	s_and_saveexec_b32 s14, vcc_lo
	s_cbranch_execz .LBB197_620
; %bb.619:                              ;   in Loop: Header=BB197_552 Depth=1
	v_cmp_gt_i32_e64 s0, s25, v98
	s_delay_alu instid0(VALU_DEP_1) | instskip(SKIP_1) | instid1(VALU_DEP_1)
	v_cndmask_b32_e64 v36, 0, v36, s0
	v_cmp_gt_i32_e64 s0, s25, v101
	v_cndmask_b32_e64 v37, 0, v37, s0
	v_cmp_gt_i32_e64 s0, s25, v93
	s_delay_alu instid0(VALU_DEP_1) | instskip(SKIP_1) | instid1(VALU_DEP_1)
	v_cndmask_b32_e64 v34, 0, v34, s0
	v_cmp_gt_i32_e64 s0, s25, v92
	v_cndmask_b32_e64 v35, 0, v35, s0
.LBB197_620:                            ;   in Loop: Header=BB197_552 Depth=1
	s_or_b32 exec_lo, exec_lo, s14
	global_load_b32 v44, v[32:33], off offset:256
	v_mov_b64_e32 v[0:1], 0
	v_mov_b64_e32 v[38:39], 0
	s_mov_b32 s14, exec_lo
	s_wait_loadcnt 0x0
	v_and_b32_e32 v22, 0xff, v44
	s_delay_alu instid0(VALU_DEP_1)
	v_cmpx_ne_u16_e32 0, v22
	s_cbranch_execz .LBB197_628
; %bb.621:                              ;   in Loop: Header=BB197_552 Depth=1
	v_mov_b64_e32 v[38:39], 0x80000000
	s_mov_b32 s15, exec_lo
	v_cmpx_ne_u16_e32 0x80, v22
	s_cbranch_execz .LBB197_627
; %bb.622:                              ;   in Loop: Header=BB197_552 Depth=1
	v_mov_b64_e32 v[38:39], 0x7f800001
	v_and_b32_e32 v40, 0x7f, v44
	s_mov_b32 s16, exec_lo
	s_delay_alu instid0(VALU_DEP_1)
	v_cmpx_ne_u32_e32 0x7f, v40
	s_cbranch_execz .LBB197_626
; %bb.623:                              ;   in Loop: Header=BB197_552 Depth=1
	v_and_b32_e32 v22, 7, v44
	v_lshrrev_b32_e32 v38, 3, v40
	s_mov_b32 s17, exec_lo
	v_cmpx_gt_u32_e32 8, v40
; %bb.624:                              ;   in Loop: Header=BB197_552 Depth=1
	s_delay_alu instid0(VALU_DEP_3) | instskip(NEXT) | instid1(VALU_DEP_1)
	v_clz_i32_u32_e32 v38, v22
	v_min_u32_e32 v38, 32, v38
	s_delay_alu instid0(VALU_DEP_1) | instskip(NEXT) | instid1(VALU_DEP_1)
	v_subrev_nc_u32_e32 v39, 28, v38
	v_lshlrev_b64_e32 v[40:41], v39, v[22:23]
	s_delay_alu instid0(VALU_DEP_1)
	v_dual_sub_nc_u32 v38, 29, v38 :: v_dual_bitop2_b32 v22, 7, v40 bitop3:0x40
; %bb.625:                              ;   in Loop: Header=BB197_552 Depth=1
	s_or_b32 exec_lo, exec_lo, s17
	s_delay_alu instid0(VALU_DEP_1) | instskip(NEXT) | instid1(VALU_DEP_2)
	v_dual_lshlrev_b32 v39, 24, v44 :: v_dual_lshlrev_b32 v22, 20, v22
	v_lshl_add_u32 v38, v38, 23, 0x3c000000
	s_delay_alu instid0(VALU_DEP_2) | instskip(NEXT) | instid1(VALU_DEP_1)
	v_and_b32_e32 v39, 0x80000000, v39
	v_or3_b32 v22, v22, v39, v38
	s_delay_alu instid0(VALU_DEP_1)
	v_mov_b64_e32 v[38:39], v[22:23]
.LBB197_626:                            ;   in Loop: Header=BB197_552 Depth=1
	s_or_b32 exec_lo, exec_lo, s16
.LBB197_627:                            ;   in Loop: Header=BB197_552 Depth=1
	s_delay_alu instid0(SALU_CYCLE_1)
	s_or_b32 exec_lo, exec_lo, s15
.LBB197_628:                            ;   in Loop: Header=BB197_552 Depth=1
	s_delay_alu instid0(SALU_CYCLE_1) | instskip(SKIP_2) | instid1(VALU_DEP_1)
	s_or_b32 exec_lo, exec_lo, s14
	v_lshrrev_b16 v22, 8, v44
	s_mov_b32 s14, exec_lo
	v_cmpx_ne_u16_e32 0, v22
	s_cbranch_execz .LBB197_636
; %bb.629:                              ;   in Loop: Header=BB197_552 Depth=1
	v_mov_b64_e32 v[0:1], 0x8000000000000000
	s_mov_b32 s15, exec_lo
	v_cmpx_ne_u16_e32 0x80, v22
	s_cbranch_execz .LBB197_635
; %bb.630:                              ;   in Loop: Header=BB197_552 Depth=1
	v_and_b32_e32 v22, 0xffff, v22
	v_mov_b64_e32 v[0:1], 0x7f80000100000000
	s_mov_b32 s16, exec_lo
	s_delay_alu instid0(VALU_DEP_2) | instskip(NEXT) | instid1(VALU_DEP_1)
	v_and_b32_e32 v40, 0x7f, v22
	v_cmpx_ne_u32_e32 0x7f, v40
	s_cbranch_execz .LBB197_634
; %bb.631:                              ;   in Loop: Header=BB197_552 Depth=1
	v_dual_lshrrev_b32 v0, 3, v40 :: v_dual_bitop2_b32 v22, 7, v22 bitop3:0x40
	s_mov_b32 s17, exec_lo
	v_cmpx_gt_u32_e32 8, v40
; %bb.632:                              ;   in Loop: Header=BB197_552 Depth=1
	s_delay_alu instid0(VALU_DEP_2) | instskip(NEXT) | instid1(VALU_DEP_1)
	v_clz_i32_u32_e32 v0, v22
	v_min_u32_e32 v0, 32, v0
	s_delay_alu instid0(VALU_DEP_1) | instskip(SKIP_1) | instid1(VALU_DEP_2)
	v_subrev_nc_u32_e32 v1, 28, v0
	v_sub_nc_u32_e32 v0, 29, v0
	v_lshlrev_b64_e32 v[40:41], v1, v[22:23]
	s_delay_alu instid0(VALU_DEP_1)
	v_and_b32_e32 v22, 7, v40
; %bb.633:                              ;   in Loop: Header=BB197_552 Depth=1
	s_or_b32 exec_lo, exec_lo, s17
	s_delay_alu instid0(VALU_DEP_1) | instskip(SKIP_1) | instid1(VALU_DEP_2)
	v_dual_lshlrev_b32 v1, 16, v44 :: v_dual_lshlrev_b32 v22, 20, v22
	v_lshl_add_u32 v0, v0, 23, 0x3c000000
	v_and_b32_e32 v1, 0x80000000, v1
	s_delay_alu instid0(VALU_DEP_1)
	v_or3_b32 v1, v22, v1, v0
	v_mov_b32_e32 v0, v23
.LBB197_634:                            ;   in Loop: Header=BB197_552 Depth=1
	s_or_b32 exec_lo, exec_lo, s16
.LBB197_635:                            ;   in Loop: Header=BB197_552 Depth=1
	s_delay_alu instid0(SALU_CYCLE_1)
	s_or_b32 exec_lo, exec_lo, s15
.LBB197_636:                            ;   in Loop: Header=BB197_552 Depth=1
	s_delay_alu instid0(SALU_CYCLE_1) | instskip(SKIP_4) | instid1(VALU_DEP_3)
	s_or_b32 exec_lo, exec_lo, s14
	v_lshrrev_b32_e32 v45, 16, v44
	v_mov_b64_e32 v[40:41], 0
	v_mov_b64_e32 v[42:43], 0
	s_mov_b32 s14, exec_lo
	v_and_b32_e32 v22, 0xff, v45
	s_delay_alu instid0(VALU_DEP_1)
	v_cmpx_ne_u16_e32 0, v22
	s_cbranch_execz .LBB197_644
; %bb.637:                              ;   in Loop: Header=BB197_552 Depth=1
	v_mov_b64_e32 v[42:43], 0x80000000
	s_mov_b32 s15, exec_lo
	v_cmpx_ne_u16_e32 0x80, v22
	s_cbranch_execz .LBB197_643
; %bb.638:                              ;   in Loop: Header=BB197_552 Depth=1
	v_mov_b64_e32 v[42:43], 0x7f800001
	v_bfe_u32 v46, v44, 16, 7
	s_mov_b32 s16, exec_lo
	s_delay_alu instid0(VALU_DEP_1)
	v_cmpx_ne_u32_e32 0x7f, v46
	s_cbranch_execz .LBB197_642
; %bb.639:                              ;   in Loop: Header=BB197_552 Depth=1
	v_dual_lshrrev_b32 v42, 3, v46 :: v_dual_bitop2_b32 v22, 7, v45 bitop3:0x40
	s_mov_b32 s17, exec_lo
	v_cmpx_gt_u32_e32 8, v46
; %bb.640:                              ;   in Loop: Header=BB197_552 Depth=1
	s_delay_alu instid0(VALU_DEP_2) | instskip(NEXT) | instid1(VALU_DEP_1)
	v_clz_i32_u32_e32 v42, v22
	v_min_u32_e32 v42, 32, v42
	s_delay_alu instid0(VALU_DEP_1) | instskip(SKIP_1) | instid1(VALU_DEP_2)
	v_subrev_nc_u32_e32 v43, 28, v42
	v_sub_nc_u32_e32 v42, 29, v42
	v_lshlrev_b64_e32 v[46:47], v43, v[22:23]
	s_delay_alu instid0(VALU_DEP_1)
	v_and_b32_e32 v22, 7, v46
; %bb.641:                              ;   in Loop: Header=BB197_552 Depth=1
	s_or_b32 exec_lo, exec_lo, s17
	s_delay_alu instid0(VALU_DEP_1) | instskip(SKIP_1) | instid1(VALU_DEP_2)
	v_dual_lshlrev_b32 v43, 24, v45 :: v_dual_lshlrev_b32 v22, 20, v22
	v_lshl_add_u32 v42, v42, 23, 0x3c000000
	v_and_b32_e32 v43, 0x80000000, v43
	s_delay_alu instid0(VALU_DEP_1) | instskip(NEXT) | instid1(VALU_DEP_1)
	v_or3_b32 v22, v22, v43, v42
	v_mov_b64_e32 v[42:43], v[22:23]
.LBB197_642:                            ;   in Loop: Header=BB197_552 Depth=1
	s_or_b32 exec_lo, exec_lo, s16
.LBB197_643:                            ;   in Loop: Header=BB197_552 Depth=1
	s_delay_alu instid0(SALU_CYCLE_1)
	s_or_b32 exec_lo, exec_lo, s15
.LBB197_644:                            ;   in Loop: Header=BB197_552 Depth=1
	s_delay_alu instid0(SALU_CYCLE_1) | instskip(NEXT) | instid1(SALU_CYCLE_1)
	s_or_b32 exec_lo, exec_lo, s14
	s_mov_b32 s14, exec_lo
	v_cmpx_lt_u32_e32 0xffffff, v44
	s_cbranch_execz .LBB197_652
; %bb.645:                              ;   in Loop: Header=BB197_552 Depth=1
	v_mov_b64_e32 v[40:41], 0x8000000000000000
	v_lshrrev_b32_e32 v45, 24, v44
	s_mov_b32 s15, exec_lo
	s_delay_alu instid0(VALU_DEP_1)
	v_cmpx_ne_u32_e32 0x80, v45
	s_cbranch_execz .LBB197_651
; %bb.646:                              ;   in Loop: Header=BB197_552 Depth=1
	v_mov_b64_e32 v[40:41], 0x7f80000100000000
	v_bfe_u32 v44, v44, 24, 7
	s_mov_b32 s16, exec_lo
	s_delay_alu instid0(VALU_DEP_1)
	v_cmpx_ne_u32_e32 0x7f, v44
	s_cbranch_execz .LBB197_650
; %bb.647:                              ;   in Loop: Header=BB197_552 Depth=1
	v_dual_lshrrev_b32 v40, 3, v44 :: v_dual_bitop2_b32 v22, 7, v45 bitop3:0x40
	s_mov_b32 s17, exec_lo
	v_cmpx_gt_u32_e32 8, v44
; %bb.648:                              ;   in Loop: Header=BB197_552 Depth=1
	s_delay_alu instid0(VALU_DEP_2) | instskip(NEXT) | instid1(VALU_DEP_1)
	v_clz_i32_u32_e32 v40, v22
	v_min_u32_e32 v40, 32, v40
	s_delay_alu instid0(VALU_DEP_1) | instskip(NEXT) | instid1(VALU_DEP_1)
	v_subrev_nc_u32_e32 v41, 28, v40
	v_lshlrev_b64_e32 v[46:47], v41, v[22:23]
	s_delay_alu instid0(VALU_DEP_1)
	v_dual_sub_nc_u32 v40, 29, v40 :: v_dual_bitop2_b32 v22, 7, v46 bitop3:0x40
; %bb.649:                              ;   in Loop: Header=BB197_552 Depth=1
	s_or_b32 exec_lo, exec_lo, s17
	s_delay_alu instid0(VALU_DEP_1) | instskip(NEXT) | instid1(VALU_DEP_2)
	v_dual_lshlrev_b32 v41, 24, v45 :: v_dual_lshlrev_b32 v22, 20, v22
	v_lshl_add_u32 v40, v40, 23, 0x3c000000
	s_delay_alu instid0(VALU_DEP_2) | instskip(NEXT) | instid1(VALU_DEP_1)
	v_and_b32_e32 v41, 0x80000000, v41
	v_or3_b32 v41, v22, v41, v40
	v_mov_b32_e32 v40, v23
.LBB197_650:                            ;   in Loop: Header=BB197_552 Depth=1
	s_or_b32 exec_lo, exec_lo, s16
.LBB197_651:                            ;   in Loop: Header=BB197_552 Depth=1
	s_delay_alu instid0(SALU_CYCLE_1)
	s_or_b32 exec_lo, exec_lo, s15
.LBB197_652:                            ;   in Loop: Header=BB197_552 Depth=1
	s_delay_alu instid0(SALU_CYCLE_1)
	s_or_b32 exec_lo, exec_lo, s14
	v_or_b32_e32 v1, v1, v39
	v_or_b32_e32 v0, v0, v38
	v_mov_b64_e32 v[38:39], s[4:5]
	v_or_b32_e32 v43, v41, v43
	v_or_b32_e32 v42, v40, v42
	s_delay_alu instid0(VALU_DEP_3) | instskip(NEXT) | instid1(VALU_DEP_2)
	v_pk_mul_f32 v[40:41], v[38:39], v[0:1]
	v_pk_mul_f32 v[38:39], v[38:39], v[42:43]
	s_and_saveexec_b32 s14, vcc_lo
	s_cbranch_execz .LBB197_654
; %bb.653:                              ;   in Loop: Header=BB197_552 Depth=1
	v_cmp_gt_i32_e64 s0, s25, v98
	s_delay_alu instid0(VALU_DEP_1) | instskip(SKIP_1) | instid1(VALU_DEP_1)
	v_cndmask_b32_e64 v40, 0, v40, s0
	v_cmp_gt_i32_e64 s0, s25, v101
	v_cndmask_b32_e64 v41, 0, v41, s0
	v_cmp_gt_i32_e64 s0, s25, v93
	s_delay_alu instid0(VALU_DEP_1) | instskip(SKIP_1) | instid1(VALU_DEP_1)
	v_cndmask_b32_e64 v38, 0, v38, s0
	v_cmp_gt_i32_e64 s0, s25, v92
	v_cndmask_b32_e64 v39, 0, v39, s0
.LBB197_654:                            ;   in Loop: Header=BB197_552 Depth=1
	s_or_b32 exec_lo, exec_lo, s14
	global_load_b32 v48, v[32:33], off offset:384
	v_mov_b64_e32 v[0:1], 0
	v_mov_b64_e32 v[42:43], 0
	s_mov_b32 s14, exec_lo
	s_wait_loadcnt 0x0
	v_and_b32_e32 v22, 0xff, v48
	s_delay_alu instid0(VALU_DEP_1)
	v_cmpx_ne_u16_e32 0, v22
	s_cbranch_execz .LBB197_662
; %bb.655:                              ;   in Loop: Header=BB197_552 Depth=1
	v_mov_b64_e32 v[42:43], 0x80000000
	s_mov_b32 s15, exec_lo
	v_cmpx_ne_u16_e32 0x80, v22
	s_cbranch_execz .LBB197_661
; %bb.656:                              ;   in Loop: Header=BB197_552 Depth=1
	v_mov_b64_e32 v[42:43], 0x7f800001
	v_and_b32_e32 v44, 0x7f, v48
	s_mov_b32 s16, exec_lo
	s_delay_alu instid0(VALU_DEP_1)
	v_cmpx_ne_u32_e32 0x7f, v44
	s_cbranch_execz .LBB197_660
; %bb.657:                              ;   in Loop: Header=BB197_552 Depth=1
	v_and_b32_e32 v22, 7, v48
	v_lshrrev_b32_e32 v42, 3, v44
	s_mov_b32 s17, exec_lo
	v_cmpx_gt_u32_e32 8, v44
; %bb.658:                              ;   in Loop: Header=BB197_552 Depth=1
	s_delay_alu instid0(VALU_DEP_3) | instskip(NEXT) | instid1(VALU_DEP_1)
	v_clz_i32_u32_e32 v42, v22
	v_min_u32_e32 v42, 32, v42
	s_delay_alu instid0(VALU_DEP_1) | instskip(NEXT) | instid1(VALU_DEP_1)
	v_subrev_nc_u32_e32 v43, 28, v42
	v_lshlrev_b64_e32 v[44:45], v43, v[22:23]
	s_delay_alu instid0(VALU_DEP_1)
	v_dual_sub_nc_u32 v42, 29, v42 :: v_dual_bitop2_b32 v22, 7, v44 bitop3:0x40
; %bb.659:                              ;   in Loop: Header=BB197_552 Depth=1
	s_or_b32 exec_lo, exec_lo, s17
	s_delay_alu instid0(VALU_DEP_1) | instskip(NEXT) | instid1(VALU_DEP_2)
	v_dual_lshlrev_b32 v43, 24, v48 :: v_dual_lshlrev_b32 v22, 20, v22
	v_lshl_add_u32 v42, v42, 23, 0x3c000000
	s_delay_alu instid0(VALU_DEP_2) | instskip(NEXT) | instid1(VALU_DEP_1)
	v_and_b32_e32 v43, 0x80000000, v43
	v_or3_b32 v22, v22, v43, v42
	s_delay_alu instid0(VALU_DEP_1)
	v_mov_b64_e32 v[42:43], v[22:23]
.LBB197_660:                            ;   in Loop: Header=BB197_552 Depth=1
	s_or_b32 exec_lo, exec_lo, s16
.LBB197_661:                            ;   in Loop: Header=BB197_552 Depth=1
	s_delay_alu instid0(SALU_CYCLE_1)
	s_or_b32 exec_lo, exec_lo, s15
.LBB197_662:                            ;   in Loop: Header=BB197_552 Depth=1
	s_delay_alu instid0(SALU_CYCLE_1) | instskip(SKIP_2) | instid1(VALU_DEP_1)
	s_or_b32 exec_lo, exec_lo, s14
	v_lshrrev_b16 v22, 8, v48
	s_mov_b32 s14, exec_lo
	v_cmpx_ne_u16_e32 0, v22
	s_cbranch_execz .LBB197_670
; %bb.663:                              ;   in Loop: Header=BB197_552 Depth=1
	v_mov_b64_e32 v[0:1], 0x8000000000000000
	s_mov_b32 s15, exec_lo
	v_cmpx_ne_u16_e32 0x80, v22
	s_cbranch_execz .LBB197_669
; %bb.664:                              ;   in Loop: Header=BB197_552 Depth=1
	v_and_b32_e32 v22, 0xffff, v22
	v_mov_b64_e32 v[0:1], 0x7f80000100000000
	s_mov_b32 s16, exec_lo
	s_delay_alu instid0(VALU_DEP_2) | instskip(NEXT) | instid1(VALU_DEP_1)
	v_and_b32_e32 v44, 0x7f, v22
	v_cmpx_ne_u32_e32 0x7f, v44
	s_cbranch_execz .LBB197_668
; %bb.665:                              ;   in Loop: Header=BB197_552 Depth=1
	v_dual_lshrrev_b32 v0, 3, v44 :: v_dual_bitop2_b32 v22, 7, v22 bitop3:0x40
	s_mov_b32 s17, exec_lo
	v_cmpx_gt_u32_e32 8, v44
; %bb.666:                              ;   in Loop: Header=BB197_552 Depth=1
	s_delay_alu instid0(VALU_DEP_2) | instskip(NEXT) | instid1(VALU_DEP_1)
	v_clz_i32_u32_e32 v0, v22
	v_min_u32_e32 v0, 32, v0
	s_delay_alu instid0(VALU_DEP_1) | instskip(SKIP_1) | instid1(VALU_DEP_2)
	v_subrev_nc_u32_e32 v1, 28, v0
	v_sub_nc_u32_e32 v0, 29, v0
	v_lshlrev_b64_e32 v[44:45], v1, v[22:23]
	s_delay_alu instid0(VALU_DEP_1)
	v_and_b32_e32 v22, 7, v44
; %bb.667:                              ;   in Loop: Header=BB197_552 Depth=1
	s_or_b32 exec_lo, exec_lo, s17
	s_delay_alu instid0(VALU_DEP_1) | instskip(SKIP_1) | instid1(VALU_DEP_2)
	v_dual_lshlrev_b32 v1, 16, v48 :: v_dual_lshlrev_b32 v22, 20, v22
	v_lshl_add_u32 v0, v0, 23, 0x3c000000
	v_and_b32_e32 v1, 0x80000000, v1
	s_delay_alu instid0(VALU_DEP_1)
	v_or3_b32 v1, v22, v1, v0
	v_mov_b32_e32 v0, v23
.LBB197_668:                            ;   in Loop: Header=BB197_552 Depth=1
	s_or_b32 exec_lo, exec_lo, s16
.LBB197_669:                            ;   in Loop: Header=BB197_552 Depth=1
	s_delay_alu instid0(SALU_CYCLE_1)
	s_or_b32 exec_lo, exec_lo, s15
.LBB197_670:                            ;   in Loop: Header=BB197_552 Depth=1
	s_delay_alu instid0(SALU_CYCLE_1) | instskip(SKIP_4) | instid1(VALU_DEP_3)
	s_or_b32 exec_lo, exec_lo, s14
	v_lshrrev_b32_e32 v49, 16, v48
	v_mov_b64_e32 v[44:45], 0
	v_mov_b64_e32 v[46:47], 0
	s_mov_b32 s14, exec_lo
	v_and_b32_e32 v22, 0xff, v49
	s_delay_alu instid0(VALU_DEP_1)
	v_cmpx_ne_u16_e32 0, v22
	s_cbranch_execz .LBB197_678
; %bb.671:                              ;   in Loop: Header=BB197_552 Depth=1
	v_mov_b64_e32 v[46:47], 0x80000000
	s_mov_b32 s15, exec_lo
	v_cmpx_ne_u16_e32 0x80, v22
	s_cbranch_execz .LBB197_677
; %bb.672:                              ;   in Loop: Header=BB197_552 Depth=1
	v_mov_b64_e32 v[46:47], 0x7f800001
	v_bfe_u32 v50, v48, 16, 7
	s_mov_b32 s16, exec_lo
	s_delay_alu instid0(VALU_DEP_1)
	v_cmpx_ne_u32_e32 0x7f, v50
	s_cbranch_execz .LBB197_676
; %bb.673:                              ;   in Loop: Header=BB197_552 Depth=1
	v_dual_lshrrev_b32 v46, 3, v50 :: v_dual_bitop2_b32 v22, 7, v49 bitop3:0x40
	s_mov_b32 s17, exec_lo
	v_cmpx_gt_u32_e32 8, v50
; %bb.674:                              ;   in Loop: Header=BB197_552 Depth=1
	s_delay_alu instid0(VALU_DEP_2) | instskip(NEXT) | instid1(VALU_DEP_1)
	v_clz_i32_u32_e32 v46, v22
	v_min_u32_e32 v46, 32, v46
	s_delay_alu instid0(VALU_DEP_1) | instskip(SKIP_1) | instid1(VALU_DEP_2)
	v_subrev_nc_u32_e32 v47, 28, v46
	v_sub_nc_u32_e32 v46, 29, v46
	v_lshlrev_b64_e32 v[50:51], v47, v[22:23]
	s_delay_alu instid0(VALU_DEP_1)
	v_and_b32_e32 v22, 7, v50
; %bb.675:                              ;   in Loop: Header=BB197_552 Depth=1
	s_or_b32 exec_lo, exec_lo, s17
	s_delay_alu instid0(VALU_DEP_1) | instskip(SKIP_1) | instid1(VALU_DEP_2)
	v_dual_lshlrev_b32 v47, 24, v49 :: v_dual_lshlrev_b32 v22, 20, v22
	v_lshl_add_u32 v46, v46, 23, 0x3c000000
	v_and_b32_e32 v47, 0x80000000, v47
	s_delay_alu instid0(VALU_DEP_1) | instskip(NEXT) | instid1(VALU_DEP_1)
	v_or3_b32 v22, v22, v47, v46
	v_mov_b64_e32 v[46:47], v[22:23]
.LBB197_676:                            ;   in Loop: Header=BB197_552 Depth=1
	s_or_b32 exec_lo, exec_lo, s16
.LBB197_677:                            ;   in Loop: Header=BB197_552 Depth=1
	s_delay_alu instid0(SALU_CYCLE_1)
	s_or_b32 exec_lo, exec_lo, s15
.LBB197_678:                            ;   in Loop: Header=BB197_552 Depth=1
	s_delay_alu instid0(SALU_CYCLE_1) | instskip(NEXT) | instid1(SALU_CYCLE_1)
	s_or_b32 exec_lo, exec_lo, s14
	s_mov_b32 s14, exec_lo
	v_cmpx_lt_u32_e32 0xffffff, v48
	s_cbranch_execz .LBB197_686
; %bb.679:                              ;   in Loop: Header=BB197_552 Depth=1
	v_mov_b64_e32 v[44:45], 0x8000000000000000
	v_lshrrev_b32_e32 v49, 24, v48
	s_mov_b32 s15, exec_lo
	s_delay_alu instid0(VALU_DEP_1)
	v_cmpx_ne_u32_e32 0x80, v49
	s_cbranch_execz .LBB197_685
; %bb.680:                              ;   in Loop: Header=BB197_552 Depth=1
	v_mov_b64_e32 v[44:45], 0x7f80000100000000
	v_bfe_u32 v48, v48, 24, 7
	s_mov_b32 s16, exec_lo
	s_delay_alu instid0(VALU_DEP_1)
	v_cmpx_ne_u32_e32 0x7f, v48
	s_cbranch_execz .LBB197_684
; %bb.681:                              ;   in Loop: Header=BB197_552 Depth=1
	v_dual_lshrrev_b32 v44, 3, v48 :: v_dual_bitop2_b32 v22, 7, v49 bitop3:0x40
	s_mov_b32 s17, exec_lo
	v_cmpx_gt_u32_e32 8, v48
; %bb.682:                              ;   in Loop: Header=BB197_552 Depth=1
	s_delay_alu instid0(VALU_DEP_2) | instskip(NEXT) | instid1(VALU_DEP_1)
	v_clz_i32_u32_e32 v44, v22
	v_min_u32_e32 v44, 32, v44
	s_delay_alu instid0(VALU_DEP_1) | instskip(NEXT) | instid1(VALU_DEP_1)
	v_subrev_nc_u32_e32 v45, 28, v44
	v_lshlrev_b64_e32 v[50:51], v45, v[22:23]
	s_delay_alu instid0(VALU_DEP_1)
	v_dual_sub_nc_u32 v44, 29, v44 :: v_dual_bitop2_b32 v22, 7, v50 bitop3:0x40
; %bb.683:                              ;   in Loop: Header=BB197_552 Depth=1
	s_or_b32 exec_lo, exec_lo, s17
	s_delay_alu instid0(VALU_DEP_1) | instskip(NEXT) | instid1(VALU_DEP_2)
	v_dual_lshlrev_b32 v45, 24, v49 :: v_dual_lshlrev_b32 v22, 20, v22
	v_lshl_add_u32 v44, v44, 23, 0x3c000000
	s_delay_alu instid0(VALU_DEP_2) | instskip(NEXT) | instid1(VALU_DEP_1)
	v_and_b32_e32 v45, 0x80000000, v45
	v_or3_b32 v45, v22, v45, v44
	v_mov_b32_e32 v44, v23
.LBB197_684:                            ;   in Loop: Header=BB197_552 Depth=1
	s_or_b32 exec_lo, exec_lo, s16
.LBB197_685:                            ;   in Loop: Header=BB197_552 Depth=1
	s_delay_alu instid0(SALU_CYCLE_1)
	s_or_b32 exec_lo, exec_lo, s15
.LBB197_686:                            ;   in Loop: Header=BB197_552 Depth=1
	s_delay_alu instid0(SALU_CYCLE_1)
	s_or_b32 exec_lo, exec_lo, s14
	v_or_b32_e32 v1, v1, v43
	v_or_b32_e32 v0, v0, v42
	v_mov_b64_e32 v[42:43], s[4:5]
	v_or_b32_e32 v47, v45, v47
	v_or_b32_e32 v46, v44, v46
	s_delay_alu instid0(VALU_DEP_3) | instskip(NEXT) | instid1(VALU_DEP_2)
	v_pk_mul_f32 v[44:45], v[42:43], v[0:1]
	v_pk_mul_f32 v[42:43], v[42:43], v[46:47]
	s_and_saveexec_b32 s14, vcc_lo
	s_cbranch_execz .LBB197_688
; %bb.687:                              ;   in Loop: Header=BB197_552 Depth=1
	v_cmp_gt_i32_e64 s0, s25, v98
	s_delay_alu instid0(VALU_DEP_1) | instskip(SKIP_1) | instid1(VALU_DEP_1)
	v_cndmask_b32_e64 v44, 0, v44, s0
	v_cmp_gt_i32_e64 s0, s25, v101
	v_cndmask_b32_e64 v45, 0, v45, s0
	v_cmp_gt_i32_e64 s0, s25, v93
	s_delay_alu instid0(VALU_DEP_1) | instskip(SKIP_1) | instid1(VALU_DEP_1)
	v_cndmask_b32_e64 v42, 0, v42, s0
	v_cmp_gt_i32_e64 s0, s25, v92
	v_cndmask_b32_e64 v43, 0, v43, s0
.LBB197_688:                            ;   in Loop: Header=BB197_552 Depth=1
	s_or_b32 exec_lo, exec_lo, s14
	global_load_b32 v52, v[32:33], off offset:512
	v_mov_b64_e32 v[0:1], 0
	v_mov_b64_e32 v[46:47], 0
	s_mov_b32 s14, exec_lo
	s_wait_loadcnt 0x0
	v_and_b32_e32 v22, 0xff, v52
	s_delay_alu instid0(VALU_DEP_1)
	v_cmpx_ne_u16_e32 0, v22
	s_cbranch_execz .LBB197_696
; %bb.689:                              ;   in Loop: Header=BB197_552 Depth=1
	v_mov_b64_e32 v[46:47], 0x80000000
	s_mov_b32 s15, exec_lo
	v_cmpx_ne_u16_e32 0x80, v22
	s_cbranch_execz .LBB197_695
; %bb.690:                              ;   in Loop: Header=BB197_552 Depth=1
	v_mov_b64_e32 v[46:47], 0x7f800001
	v_and_b32_e32 v48, 0x7f, v52
	s_mov_b32 s16, exec_lo
	s_delay_alu instid0(VALU_DEP_1)
	v_cmpx_ne_u32_e32 0x7f, v48
	s_cbranch_execz .LBB197_694
; %bb.691:                              ;   in Loop: Header=BB197_552 Depth=1
	v_and_b32_e32 v22, 7, v52
	v_lshrrev_b32_e32 v46, 3, v48
	s_mov_b32 s17, exec_lo
	v_cmpx_gt_u32_e32 8, v48
; %bb.692:                              ;   in Loop: Header=BB197_552 Depth=1
	s_delay_alu instid0(VALU_DEP_3) | instskip(NEXT) | instid1(VALU_DEP_1)
	v_clz_i32_u32_e32 v46, v22
	v_min_u32_e32 v46, 32, v46
	s_delay_alu instid0(VALU_DEP_1) | instskip(NEXT) | instid1(VALU_DEP_1)
	v_subrev_nc_u32_e32 v47, 28, v46
	v_lshlrev_b64_e32 v[48:49], v47, v[22:23]
	s_delay_alu instid0(VALU_DEP_1)
	v_dual_sub_nc_u32 v46, 29, v46 :: v_dual_bitop2_b32 v22, 7, v48 bitop3:0x40
; %bb.693:                              ;   in Loop: Header=BB197_552 Depth=1
	s_or_b32 exec_lo, exec_lo, s17
	s_delay_alu instid0(VALU_DEP_1) | instskip(NEXT) | instid1(VALU_DEP_2)
	v_dual_lshlrev_b32 v47, 24, v52 :: v_dual_lshlrev_b32 v22, 20, v22
	v_lshl_add_u32 v46, v46, 23, 0x3c000000
	s_delay_alu instid0(VALU_DEP_2) | instskip(NEXT) | instid1(VALU_DEP_1)
	v_and_b32_e32 v47, 0x80000000, v47
	v_or3_b32 v22, v22, v47, v46
	s_delay_alu instid0(VALU_DEP_1)
	v_mov_b64_e32 v[46:47], v[22:23]
.LBB197_694:                            ;   in Loop: Header=BB197_552 Depth=1
	s_or_b32 exec_lo, exec_lo, s16
.LBB197_695:                            ;   in Loop: Header=BB197_552 Depth=1
	s_delay_alu instid0(SALU_CYCLE_1)
	s_or_b32 exec_lo, exec_lo, s15
.LBB197_696:                            ;   in Loop: Header=BB197_552 Depth=1
	s_delay_alu instid0(SALU_CYCLE_1) | instskip(SKIP_2) | instid1(VALU_DEP_1)
	s_or_b32 exec_lo, exec_lo, s14
	v_lshrrev_b16 v22, 8, v52
	s_mov_b32 s14, exec_lo
	v_cmpx_ne_u16_e32 0, v22
	s_cbranch_execz .LBB197_704
; %bb.697:                              ;   in Loop: Header=BB197_552 Depth=1
	v_mov_b64_e32 v[0:1], 0x8000000000000000
	s_mov_b32 s15, exec_lo
	v_cmpx_ne_u16_e32 0x80, v22
	s_cbranch_execz .LBB197_703
; %bb.698:                              ;   in Loop: Header=BB197_552 Depth=1
	v_and_b32_e32 v22, 0xffff, v22
	v_mov_b64_e32 v[0:1], 0x7f80000100000000
	s_mov_b32 s16, exec_lo
	s_delay_alu instid0(VALU_DEP_2) | instskip(NEXT) | instid1(VALU_DEP_1)
	v_and_b32_e32 v48, 0x7f, v22
	v_cmpx_ne_u32_e32 0x7f, v48
	s_cbranch_execz .LBB197_702
; %bb.699:                              ;   in Loop: Header=BB197_552 Depth=1
	v_dual_lshrrev_b32 v0, 3, v48 :: v_dual_bitop2_b32 v22, 7, v22 bitop3:0x40
	s_mov_b32 s17, exec_lo
	v_cmpx_gt_u32_e32 8, v48
; %bb.700:                              ;   in Loop: Header=BB197_552 Depth=1
	s_delay_alu instid0(VALU_DEP_2) | instskip(NEXT) | instid1(VALU_DEP_1)
	v_clz_i32_u32_e32 v0, v22
	v_min_u32_e32 v0, 32, v0
	s_delay_alu instid0(VALU_DEP_1) | instskip(SKIP_1) | instid1(VALU_DEP_2)
	v_subrev_nc_u32_e32 v1, 28, v0
	v_sub_nc_u32_e32 v0, 29, v0
	v_lshlrev_b64_e32 v[48:49], v1, v[22:23]
	s_delay_alu instid0(VALU_DEP_1)
	v_and_b32_e32 v22, 7, v48
; %bb.701:                              ;   in Loop: Header=BB197_552 Depth=1
	s_or_b32 exec_lo, exec_lo, s17
	s_delay_alu instid0(VALU_DEP_1) | instskip(SKIP_1) | instid1(VALU_DEP_2)
	v_dual_lshlrev_b32 v1, 16, v52 :: v_dual_lshlrev_b32 v22, 20, v22
	v_lshl_add_u32 v0, v0, 23, 0x3c000000
	v_and_b32_e32 v1, 0x80000000, v1
	s_delay_alu instid0(VALU_DEP_1)
	v_or3_b32 v1, v22, v1, v0
	v_mov_b32_e32 v0, v23
.LBB197_702:                            ;   in Loop: Header=BB197_552 Depth=1
	s_or_b32 exec_lo, exec_lo, s16
.LBB197_703:                            ;   in Loop: Header=BB197_552 Depth=1
	s_delay_alu instid0(SALU_CYCLE_1)
	s_or_b32 exec_lo, exec_lo, s15
.LBB197_704:                            ;   in Loop: Header=BB197_552 Depth=1
	s_delay_alu instid0(SALU_CYCLE_1) | instskip(SKIP_4) | instid1(VALU_DEP_3)
	s_or_b32 exec_lo, exec_lo, s14
	v_lshrrev_b32_e32 v53, 16, v52
	v_mov_b64_e32 v[48:49], 0
	v_mov_b64_e32 v[50:51], 0
	s_mov_b32 s14, exec_lo
	v_and_b32_e32 v22, 0xff, v53
	s_delay_alu instid0(VALU_DEP_1)
	v_cmpx_ne_u16_e32 0, v22
	s_cbranch_execz .LBB197_712
; %bb.705:                              ;   in Loop: Header=BB197_552 Depth=1
	v_mov_b64_e32 v[50:51], 0x80000000
	s_mov_b32 s15, exec_lo
	v_cmpx_ne_u16_e32 0x80, v22
	s_cbranch_execz .LBB197_711
; %bb.706:                              ;   in Loop: Header=BB197_552 Depth=1
	v_mov_b64_e32 v[50:51], 0x7f800001
	v_bfe_u32 v54, v52, 16, 7
	s_mov_b32 s16, exec_lo
	s_delay_alu instid0(VALU_DEP_1)
	v_cmpx_ne_u32_e32 0x7f, v54
	s_cbranch_execz .LBB197_710
; %bb.707:                              ;   in Loop: Header=BB197_552 Depth=1
	v_dual_lshrrev_b32 v50, 3, v54 :: v_dual_bitop2_b32 v22, 7, v53 bitop3:0x40
	s_mov_b32 s17, exec_lo
	v_cmpx_gt_u32_e32 8, v54
; %bb.708:                              ;   in Loop: Header=BB197_552 Depth=1
	s_delay_alu instid0(VALU_DEP_2) | instskip(NEXT) | instid1(VALU_DEP_1)
	v_clz_i32_u32_e32 v50, v22
	v_min_u32_e32 v50, 32, v50
	s_delay_alu instid0(VALU_DEP_1) | instskip(SKIP_1) | instid1(VALU_DEP_2)
	v_subrev_nc_u32_e32 v51, 28, v50
	v_sub_nc_u32_e32 v50, 29, v50
	v_lshlrev_b64_e32 v[54:55], v51, v[22:23]
	s_delay_alu instid0(VALU_DEP_1)
	v_and_b32_e32 v22, 7, v54
; %bb.709:                              ;   in Loop: Header=BB197_552 Depth=1
	s_or_b32 exec_lo, exec_lo, s17
	s_delay_alu instid0(VALU_DEP_1) | instskip(SKIP_1) | instid1(VALU_DEP_2)
	v_dual_lshlrev_b32 v51, 24, v53 :: v_dual_lshlrev_b32 v22, 20, v22
	v_lshl_add_u32 v50, v50, 23, 0x3c000000
	v_and_b32_e32 v51, 0x80000000, v51
	s_delay_alu instid0(VALU_DEP_1) | instskip(NEXT) | instid1(VALU_DEP_1)
	v_or3_b32 v22, v22, v51, v50
	v_mov_b64_e32 v[50:51], v[22:23]
.LBB197_710:                            ;   in Loop: Header=BB197_552 Depth=1
	s_or_b32 exec_lo, exec_lo, s16
.LBB197_711:                            ;   in Loop: Header=BB197_552 Depth=1
	s_delay_alu instid0(SALU_CYCLE_1)
	s_or_b32 exec_lo, exec_lo, s15
.LBB197_712:                            ;   in Loop: Header=BB197_552 Depth=1
	s_delay_alu instid0(SALU_CYCLE_1) | instskip(NEXT) | instid1(SALU_CYCLE_1)
	s_or_b32 exec_lo, exec_lo, s14
	s_mov_b32 s14, exec_lo
	v_cmpx_lt_u32_e32 0xffffff, v52
	s_cbranch_execz .LBB197_720
; %bb.713:                              ;   in Loop: Header=BB197_552 Depth=1
	v_mov_b64_e32 v[48:49], 0x8000000000000000
	v_lshrrev_b32_e32 v53, 24, v52
	s_mov_b32 s15, exec_lo
	s_delay_alu instid0(VALU_DEP_1)
	v_cmpx_ne_u32_e32 0x80, v53
	s_cbranch_execz .LBB197_719
; %bb.714:                              ;   in Loop: Header=BB197_552 Depth=1
	v_mov_b64_e32 v[48:49], 0x7f80000100000000
	v_bfe_u32 v52, v52, 24, 7
	s_mov_b32 s16, exec_lo
	s_delay_alu instid0(VALU_DEP_1)
	v_cmpx_ne_u32_e32 0x7f, v52
	s_cbranch_execz .LBB197_718
; %bb.715:                              ;   in Loop: Header=BB197_552 Depth=1
	v_dual_lshrrev_b32 v48, 3, v52 :: v_dual_bitop2_b32 v22, 7, v53 bitop3:0x40
	s_mov_b32 s17, exec_lo
	v_cmpx_gt_u32_e32 8, v52
; %bb.716:                              ;   in Loop: Header=BB197_552 Depth=1
	s_delay_alu instid0(VALU_DEP_2) | instskip(NEXT) | instid1(VALU_DEP_1)
	v_clz_i32_u32_e32 v48, v22
	v_min_u32_e32 v48, 32, v48
	s_delay_alu instid0(VALU_DEP_1) | instskip(NEXT) | instid1(VALU_DEP_1)
	v_subrev_nc_u32_e32 v49, 28, v48
	v_lshlrev_b64_e32 v[54:55], v49, v[22:23]
	s_delay_alu instid0(VALU_DEP_1)
	v_dual_sub_nc_u32 v48, 29, v48 :: v_dual_bitop2_b32 v22, 7, v54 bitop3:0x40
; %bb.717:                              ;   in Loop: Header=BB197_552 Depth=1
	s_or_b32 exec_lo, exec_lo, s17
	s_delay_alu instid0(VALU_DEP_1) | instskip(NEXT) | instid1(VALU_DEP_2)
	v_dual_lshlrev_b32 v49, 24, v53 :: v_dual_lshlrev_b32 v22, 20, v22
	v_lshl_add_u32 v48, v48, 23, 0x3c000000
	s_delay_alu instid0(VALU_DEP_2) | instskip(NEXT) | instid1(VALU_DEP_1)
	v_and_b32_e32 v49, 0x80000000, v49
	v_or3_b32 v49, v22, v49, v48
	v_mov_b32_e32 v48, v23
.LBB197_718:                            ;   in Loop: Header=BB197_552 Depth=1
	s_or_b32 exec_lo, exec_lo, s16
.LBB197_719:                            ;   in Loop: Header=BB197_552 Depth=1
	s_delay_alu instid0(SALU_CYCLE_1)
	s_or_b32 exec_lo, exec_lo, s15
.LBB197_720:                            ;   in Loop: Header=BB197_552 Depth=1
	s_delay_alu instid0(SALU_CYCLE_1)
	s_or_b32 exec_lo, exec_lo, s14
	v_or_b32_e32 v1, v1, v47
	v_or_b32_e32 v0, v0, v46
	v_mov_b64_e32 v[46:47], s[4:5]
	v_or_b32_e32 v51, v49, v51
	v_or_b32_e32 v50, v48, v50
	s_delay_alu instid0(VALU_DEP_3) | instskip(NEXT) | instid1(VALU_DEP_2)
	v_pk_mul_f32 v[48:49], v[46:47], v[0:1]
	v_pk_mul_f32 v[46:47], v[46:47], v[50:51]
	s_and_saveexec_b32 s14, vcc_lo
	s_cbranch_execz .LBB197_722
; %bb.721:                              ;   in Loop: Header=BB197_552 Depth=1
	v_cmp_gt_i32_e64 s0, s25, v98
	s_delay_alu instid0(VALU_DEP_1) | instskip(SKIP_1) | instid1(VALU_DEP_1)
	v_cndmask_b32_e64 v48, 0, v48, s0
	v_cmp_gt_i32_e64 s0, s25, v101
	v_cndmask_b32_e64 v49, 0, v49, s0
	v_cmp_gt_i32_e64 s0, s25, v93
	s_delay_alu instid0(VALU_DEP_1) | instskip(SKIP_1) | instid1(VALU_DEP_1)
	v_cndmask_b32_e64 v46, 0, v46, s0
	v_cmp_gt_i32_e64 s0, s25, v92
	v_cndmask_b32_e64 v47, 0, v47, s0
.LBB197_722:                            ;   in Loop: Header=BB197_552 Depth=1
	s_or_b32 exec_lo, exec_lo, s14
	global_load_b32 v56, v[32:33], off offset:640
	v_mov_b64_e32 v[0:1], 0
	v_mov_b64_e32 v[50:51], 0
	s_mov_b32 s14, exec_lo
	s_wait_loadcnt 0x0
	v_and_b32_e32 v22, 0xff, v56
	s_delay_alu instid0(VALU_DEP_1)
	v_cmpx_ne_u16_e32 0, v22
	s_cbranch_execz .LBB197_730
; %bb.723:                              ;   in Loop: Header=BB197_552 Depth=1
	v_mov_b64_e32 v[50:51], 0x80000000
	s_mov_b32 s15, exec_lo
	v_cmpx_ne_u16_e32 0x80, v22
	s_cbranch_execz .LBB197_729
; %bb.724:                              ;   in Loop: Header=BB197_552 Depth=1
	v_mov_b64_e32 v[50:51], 0x7f800001
	v_and_b32_e32 v52, 0x7f, v56
	s_mov_b32 s16, exec_lo
	s_delay_alu instid0(VALU_DEP_1)
	v_cmpx_ne_u32_e32 0x7f, v52
	s_cbranch_execz .LBB197_728
; %bb.725:                              ;   in Loop: Header=BB197_552 Depth=1
	v_and_b32_e32 v22, 7, v56
	v_lshrrev_b32_e32 v50, 3, v52
	s_mov_b32 s17, exec_lo
	v_cmpx_gt_u32_e32 8, v52
; %bb.726:                              ;   in Loop: Header=BB197_552 Depth=1
	s_delay_alu instid0(VALU_DEP_3) | instskip(NEXT) | instid1(VALU_DEP_1)
	v_clz_i32_u32_e32 v50, v22
	v_min_u32_e32 v50, 32, v50
	s_delay_alu instid0(VALU_DEP_1) | instskip(NEXT) | instid1(VALU_DEP_1)
	v_subrev_nc_u32_e32 v51, 28, v50
	v_lshlrev_b64_e32 v[52:53], v51, v[22:23]
	s_delay_alu instid0(VALU_DEP_1)
	v_dual_sub_nc_u32 v50, 29, v50 :: v_dual_bitop2_b32 v22, 7, v52 bitop3:0x40
; %bb.727:                              ;   in Loop: Header=BB197_552 Depth=1
	s_or_b32 exec_lo, exec_lo, s17
	s_delay_alu instid0(VALU_DEP_1) | instskip(NEXT) | instid1(VALU_DEP_2)
	v_dual_lshlrev_b32 v51, 24, v56 :: v_dual_lshlrev_b32 v22, 20, v22
	v_lshl_add_u32 v50, v50, 23, 0x3c000000
	s_delay_alu instid0(VALU_DEP_2) | instskip(NEXT) | instid1(VALU_DEP_1)
	v_and_b32_e32 v51, 0x80000000, v51
	v_or3_b32 v22, v22, v51, v50
	s_delay_alu instid0(VALU_DEP_1)
	v_mov_b64_e32 v[50:51], v[22:23]
.LBB197_728:                            ;   in Loop: Header=BB197_552 Depth=1
	s_or_b32 exec_lo, exec_lo, s16
.LBB197_729:                            ;   in Loop: Header=BB197_552 Depth=1
	s_delay_alu instid0(SALU_CYCLE_1)
	s_or_b32 exec_lo, exec_lo, s15
.LBB197_730:                            ;   in Loop: Header=BB197_552 Depth=1
	s_delay_alu instid0(SALU_CYCLE_1) | instskip(SKIP_2) | instid1(VALU_DEP_1)
	s_or_b32 exec_lo, exec_lo, s14
	v_lshrrev_b16 v22, 8, v56
	s_mov_b32 s14, exec_lo
	v_cmpx_ne_u16_e32 0, v22
	s_cbranch_execz .LBB197_738
; %bb.731:                              ;   in Loop: Header=BB197_552 Depth=1
	v_mov_b64_e32 v[0:1], 0x8000000000000000
	s_mov_b32 s15, exec_lo
	v_cmpx_ne_u16_e32 0x80, v22
	s_cbranch_execz .LBB197_737
; %bb.732:                              ;   in Loop: Header=BB197_552 Depth=1
	v_and_b32_e32 v22, 0xffff, v22
	v_mov_b64_e32 v[0:1], 0x7f80000100000000
	s_mov_b32 s16, exec_lo
	s_delay_alu instid0(VALU_DEP_2) | instskip(NEXT) | instid1(VALU_DEP_1)
	v_and_b32_e32 v52, 0x7f, v22
	v_cmpx_ne_u32_e32 0x7f, v52
	s_cbranch_execz .LBB197_736
; %bb.733:                              ;   in Loop: Header=BB197_552 Depth=1
	v_dual_lshrrev_b32 v0, 3, v52 :: v_dual_bitop2_b32 v22, 7, v22 bitop3:0x40
	s_mov_b32 s17, exec_lo
	v_cmpx_gt_u32_e32 8, v52
; %bb.734:                              ;   in Loop: Header=BB197_552 Depth=1
	s_delay_alu instid0(VALU_DEP_2) | instskip(NEXT) | instid1(VALU_DEP_1)
	v_clz_i32_u32_e32 v0, v22
	v_min_u32_e32 v0, 32, v0
	s_delay_alu instid0(VALU_DEP_1) | instskip(SKIP_1) | instid1(VALU_DEP_2)
	v_subrev_nc_u32_e32 v1, 28, v0
	v_sub_nc_u32_e32 v0, 29, v0
	v_lshlrev_b64_e32 v[52:53], v1, v[22:23]
	s_delay_alu instid0(VALU_DEP_1)
	v_and_b32_e32 v22, 7, v52
; %bb.735:                              ;   in Loop: Header=BB197_552 Depth=1
	s_or_b32 exec_lo, exec_lo, s17
	s_delay_alu instid0(VALU_DEP_1) | instskip(SKIP_1) | instid1(VALU_DEP_2)
	v_dual_lshlrev_b32 v1, 16, v56 :: v_dual_lshlrev_b32 v22, 20, v22
	v_lshl_add_u32 v0, v0, 23, 0x3c000000
	v_and_b32_e32 v1, 0x80000000, v1
	s_delay_alu instid0(VALU_DEP_1)
	v_or3_b32 v1, v22, v1, v0
	v_mov_b32_e32 v0, v23
.LBB197_736:                            ;   in Loop: Header=BB197_552 Depth=1
	s_or_b32 exec_lo, exec_lo, s16
.LBB197_737:                            ;   in Loop: Header=BB197_552 Depth=1
	s_delay_alu instid0(SALU_CYCLE_1)
	s_or_b32 exec_lo, exec_lo, s15
.LBB197_738:                            ;   in Loop: Header=BB197_552 Depth=1
	s_delay_alu instid0(SALU_CYCLE_1) | instskip(SKIP_4) | instid1(VALU_DEP_3)
	s_or_b32 exec_lo, exec_lo, s14
	v_lshrrev_b32_e32 v57, 16, v56
	v_mov_b64_e32 v[52:53], 0
	v_mov_b64_e32 v[54:55], 0
	s_mov_b32 s14, exec_lo
	v_and_b32_e32 v22, 0xff, v57
	s_delay_alu instid0(VALU_DEP_1)
	v_cmpx_ne_u16_e32 0, v22
	s_cbranch_execz .LBB197_746
; %bb.739:                              ;   in Loop: Header=BB197_552 Depth=1
	v_mov_b64_e32 v[54:55], 0x80000000
	s_mov_b32 s15, exec_lo
	v_cmpx_ne_u16_e32 0x80, v22
	s_cbranch_execz .LBB197_745
; %bb.740:                              ;   in Loop: Header=BB197_552 Depth=1
	v_mov_b64_e32 v[54:55], 0x7f800001
	v_bfe_u32 v58, v56, 16, 7
	s_mov_b32 s16, exec_lo
	s_delay_alu instid0(VALU_DEP_1)
	v_cmpx_ne_u32_e32 0x7f, v58
	s_cbranch_execz .LBB197_744
; %bb.741:                              ;   in Loop: Header=BB197_552 Depth=1
	v_dual_lshrrev_b32 v54, 3, v58 :: v_dual_bitop2_b32 v22, 7, v57 bitop3:0x40
	s_mov_b32 s17, exec_lo
	v_cmpx_gt_u32_e32 8, v58
; %bb.742:                              ;   in Loop: Header=BB197_552 Depth=1
	s_delay_alu instid0(VALU_DEP_2) | instskip(NEXT) | instid1(VALU_DEP_1)
	v_clz_i32_u32_e32 v54, v22
	v_min_u32_e32 v54, 32, v54
	s_delay_alu instid0(VALU_DEP_1) | instskip(SKIP_1) | instid1(VALU_DEP_2)
	v_subrev_nc_u32_e32 v55, 28, v54
	v_sub_nc_u32_e32 v54, 29, v54
	v_lshlrev_b64_e32 v[58:59], v55, v[22:23]
	s_delay_alu instid0(VALU_DEP_1)
	v_and_b32_e32 v22, 7, v58
; %bb.743:                              ;   in Loop: Header=BB197_552 Depth=1
	s_or_b32 exec_lo, exec_lo, s17
	s_delay_alu instid0(VALU_DEP_1) | instskip(SKIP_1) | instid1(VALU_DEP_2)
	v_dual_lshlrev_b32 v55, 24, v57 :: v_dual_lshlrev_b32 v22, 20, v22
	v_lshl_add_u32 v54, v54, 23, 0x3c000000
	v_and_b32_e32 v55, 0x80000000, v55
	s_delay_alu instid0(VALU_DEP_1) | instskip(NEXT) | instid1(VALU_DEP_1)
	v_or3_b32 v22, v22, v55, v54
	v_mov_b64_e32 v[54:55], v[22:23]
.LBB197_744:                            ;   in Loop: Header=BB197_552 Depth=1
	s_or_b32 exec_lo, exec_lo, s16
.LBB197_745:                            ;   in Loop: Header=BB197_552 Depth=1
	s_delay_alu instid0(SALU_CYCLE_1)
	s_or_b32 exec_lo, exec_lo, s15
.LBB197_746:                            ;   in Loop: Header=BB197_552 Depth=1
	s_delay_alu instid0(SALU_CYCLE_1) | instskip(NEXT) | instid1(SALU_CYCLE_1)
	s_or_b32 exec_lo, exec_lo, s14
	s_mov_b32 s14, exec_lo
	v_cmpx_lt_u32_e32 0xffffff, v56
	s_cbranch_execz .LBB197_754
; %bb.747:                              ;   in Loop: Header=BB197_552 Depth=1
	v_mov_b64_e32 v[52:53], 0x8000000000000000
	v_lshrrev_b32_e32 v57, 24, v56
	s_mov_b32 s15, exec_lo
	s_delay_alu instid0(VALU_DEP_1)
	v_cmpx_ne_u32_e32 0x80, v57
	s_cbranch_execz .LBB197_753
; %bb.748:                              ;   in Loop: Header=BB197_552 Depth=1
	v_mov_b64_e32 v[52:53], 0x7f80000100000000
	v_bfe_u32 v56, v56, 24, 7
	s_mov_b32 s16, exec_lo
	s_delay_alu instid0(VALU_DEP_1)
	v_cmpx_ne_u32_e32 0x7f, v56
	s_cbranch_execz .LBB197_752
; %bb.749:                              ;   in Loop: Header=BB197_552 Depth=1
	v_dual_lshrrev_b32 v52, 3, v56 :: v_dual_bitop2_b32 v22, 7, v57 bitop3:0x40
	s_mov_b32 s17, exec_lo
	v_cmpx_gt_u32_e32 8, v56
; %bb.750:                              ;   in Loop: Header=BB197_552 Depth=1
	s_delay_alu instid0(VALU_DEP_2) | instskip(NEXT) | instid1(VALU_DEP_1)
	v_clz_i32_u32_e32 v52, v22
	v_min_u32_e32 v52, 32, v52
	s_delay_alu instid0(VALU_DEP_1) | instskip(NEXT) | instid1(VALU_DEP_1)
	v_subrev_nc_u32_e32 v53, 28, v52
	v_lshlrev_b64_e32 v[58:59], v53, v[22:23]
	s_delay_alu instid0(VALU_DEP_1)
	v_dual_sub_nc_u32 v52, 29, v52 :: v_dual_bitop2_b32 v22, 7, v58 bitop3:0x40
; %bb.751:                              ;   in Loop: Header=BB197_552 Depth=1
	s_or_b32 exec_lo, exec_lo, s17
	s_delay_alu instid0(VALU_DEP_1) | instskip(NEXT) | instid1(VALU_DEP_2)
	v_dual_lshlrev_b32 v53, 24, v57 :: v_dual_lshlrev_b32 v22, 20, v22
	v_lshl_add_u32 v52, v52, 23, 0x3c000000
	s_delay_alu instid0(VALU_DEP_2) | instskip(NEXT) | instid1(VALU_DEP_1)
	v_and_b32_e32 v53, 0x80000000, v53
	v_or3_b32 v53, v22, v53, v52
	v_mov_b32_e32 v52, v23
.LBB197_752:                            ;   in Loop: Header=BB197_552 Depth=1
	s_or_b32 exec_lo, exec_lo, s16
.LBB197_753:                            ;   in Loop: Header=BB197_552 Depth=1
	s_delay_alu instid0(SALU_CYCLE_1)
	s_or_b32 exec_lo, exec_lo, s15
.LBB197_754:                            ;   in Loop: Header=BB197_552 Depth=1
	s_delay_alu instid0(SALU_CYCLE_1)
	s_or_b32 exec_lo, exec_lo, s14
	v_or_b32_e32 v1, v1, v51
	v_or_b32_e32 v0, v0, v50
	v_mov_b64_e32 v[50:51], s[4:5]
	v_or_b32_e32 v55, v53, v55
	v_or_b32_e32 v54, v52, v54
	s_delay_alu instid0(VALU_DEP_3) | instskip(NEXT) | instid1(VALU_DEP_2)
	v_pk_mul_f32 v[52:53], v[50:51], v[0:1]
	v_pk_mul_f32 v[50:51], v[50:51], v[54:55]
	s_and_saveexec_b32 s14, vcc_lo
	s_cbranch_execz .LBB197_756
; %bb.755:                              ;   in Loop: Header=BB197_552 Depth=1
	v_cmp_gt_i32_e64 s0, s25, v98
	s_delay_alu instid0(VALU_DEP_1) | instskip(SKIP_1) | instid1(VALU_DEP_1)
	v_cndmask_b32_e64 v52, 0, v52, s0
	v_cmp_gt_i32_e64 s0, s25, v101
	v_cndmask_b32_e64 v53, 0, v53, s0
	v_cmp_gt_i32_e64 s0, s25, v93
	s_delay_alu instid0(VALU_DEP_1) | instskip(SKIP_1) | instid1(VALU_DEP_1)
	v_cndmask_b32_e64 v50, 0, v50, s0
	v_cmp_gt_i32_e64 s0, s25, v92
	v_cndmask_b32_e64 v51, 0, v51, s0
.LBB197_756:                            ;   in Loop: Header=BB197_552 Depth=1
	s_or_b32 exec_lo, exec_lo, s14
	global_load_b32 v60, v[32:33], off offset:768
	v_mov_b64_e32 v[0:1], 0
	v_mov_b64_e32 v[54:55], 0
	s_mov_b32 s14, exec_lo
	s_wait_loadcnt 0x0
	v_and_b32_e32 v22, 0xff, v60
	s_delay_alu instid0(VALU_DEP_1)
	v_cmpx_ne_u16_e32 0, v22
	s_cbranch_execz .LBB197_764
; %bb.757:                              ;   in Loop: Header=BB197_552 Depth=1
	v_mov_b64_e32 v[54:55], 0x80000000
	s_mov_b32 s15, exec_lo
	v_cmpx_ne_u16_e32 0x80, v22
	s_cbranch_execz .LBB197_763
; %bb.758:                              ;   in Loop: Header=BB197_552 Depth=1
	v_mov_b64_e32 v[54:55], 0x7f800001
	v_and_b32_e32 v56, 0x7f, v60
	s_mov_b32 s16, exec_lo
	s_delay_alu instid0(VALU_DEP_1)
	v_cmpx_ne_u32_e32 0x7f, v56
	s_cbranch_execz .LBB197_762
; %bb.759:                              ;   in Loop: Header=BB197_552 Depth=1
	v_and_b32_e32 v22, 7, v60
	v_lshrrev_b32_e32 v54, 3, v56
	s_mov_b32 s17, exec_lo
	v_cmpx_gt_u32_e32 8, v56
; %bb.760:                              ;   in Loop: Header=BB197_552 Depth=1
	s_delay_alu instid0(VALU_DEP_3) | instskip(NEXT) | instid1(VALU_DEP_1)
	v_clz_i32_u32_e32 v54, v22
	v_min_u32_e32 v54, 32, v54
	s_delay_alu instid0(VALU_DEP_1) | instskip(NEXT) | instid1(VALU_DEP_1)
	v_subrev_nc_u32_e32 v55, 28, v54
	v_lshlrev_b64_e32 v[56:57], v55, v[22:23]
	s_delay_alu instid0(VALU_DEP_1)
	v_dual_sub_nc_u32 v54, 29, v54 :: v_dual_bitop2_b32 v22, 7, v56 bitop3:0x40
; %bb.761:                              ;   in Loop: Header=BB197_552 Depth=1
	s_or_b32 exec_lo, exec_lo, s17
	s_delay_alu instid0(VALU_DEP_1) | instskip(NEXT) | instid1(VALU_DEP_2)
	v_dual_lshlrev_b32 v55, 24, v60 :: v_dual_lshlrev_b32 v22, 20, v22
	v_lshl_add_u32 v54, v54, 23, 0x3c000000
	s_delay_alu instid0(VALU_DEP_2) | instskip(NEXT) | instid1(VALU_DEP_1)
	v_and_b32_e32 v55, 0x80000000, v55
	v_or3_b32 v22, v22, v55, v54
	s_delay_alu instid0(VALU_DEP_1)
	v_mov_b64_e32 v[54:55], v[22:23]
.LBB197_762:                            ;   in Loop: Header=BB197_552 Depth=1
	s_or_b32 exec_lo, exec_lo, s16
.LBB197_763:                            ;   in Loop: Header=BB197_552 Depth=1
	s_delay_alu instid0(SALU_CYCLE_1)
	s_or_b32 exec_lo, exec_lo, s15
.LBB197_764:                            ;   in Loop: Header=BB197_552 Depth=1
	s_delay_alu instid0(SALU_CYCLE_1) | instskip(SKIP_2) | instid1(VALU_DEP_1)
	s_or_b32 exec_lo, exec_lo, s14
	v_lshrrev_b16 v22, 8, v60
	s_mov_b32 s14, exec_lo
	v_cmpx_ne_u16_e32 0, v22
	s_cbranch_execz .LBB197_772
; %bb.765:                              ;   in Loop: Header=BB197_552 Depth=1
	v_mov_b64_e32 v[0:1], 0x8000000000000000
	s_mov_b32 s15, exec_lo
	v_cmpx_ne_u16_e32 0x80, v22
	s_cbranch_execz .LBB197_771
; %bb.766:                              ;   in Loop: Header=BB197_552 Depth=1
	v_and_b32_e32 v22, 0xffff, v22
	v_mov_b64_e32 v[0:1], 0x7f80000100000000
	s_mov_b32 s16, exec_lo
	s_delay_alu instid0(VALU_DEP_2) | instskip(NEXT) | instid1(VALU_DEP_1)
	v_and_b32_e32 v56, 0x7f, v22
	v_cmpx_ne_u32_e32 0x7f, v56
	s_cbranch_execz .LBB197_770
; %bb.767:                              ;   in Loop: Header=BB197_552 Depth=1
	v_dual_lshrrev_b32 v0, 3, v56 :: v_dual_bitop2_b32 v22, 7, v22 bitop3:0x40
	s_mov_b32 s17, exec_lo
	v_cmpx_gt_u32_e32 8, v56
; %bb.768:                              ;   in Loop: Header=BB197_552 Depth=1
	s_delay_alu instid0(VALU_DEP_2) | instskip(NEXT) | instid1(VALU_DEP_1)
	v_clz_i32_u32_e32 v0, v22
	v_min_u32_e32 v0, 32, v0
	s_delay_alu instid0(VALU_DEP_1) | instskip(SKIP_1) | instid1(VALU_DEP_2)
	v_subrev_nc_u32_e32 v1, 28, v0
	v_sub_nc_u32_e32 v0, 29, v0
	v_lshlrev_b64_e32 v[56:57], v1, v[22:23]
	s_delay_alu instid0(VALU_DEP_1)
	v_and_b32_e32 v22, 7, v56
; %bb.769:                              ;   in Loop: Header=BB197_552 Depth=1
	s_or_b32 exec_lo, exec_lo, s17
	s_delay_alu instid0(VALU_DEP_1) | instskip(SKIP_1) | instid1(VALU_DEP_2)
	v_dual_lshlrev_b32 v1, 16, v60 :: v_dual_lshlrev_b32 v22, 20, v22
	v_lshl_add_u32 v0, v0, 23, 0x3c000000
	v_and_b32_e32 v1, 0x80000000, v1
	s_delay_alu instid0(VALU_DEP_1)
	v_or3_b32 v1, v22, v1, v0
	v_mov_b32_e32 v0, v23
.LBB197_770:                            ;   in Loop: Header=BB197_552 Depth=1
	s_or_b32 exec_lo, exec_lo, s16
.LBB197_771:                            ;   in Loop: Header=BB197_552 Depth=1
	s_delay_alu instid0(SALU_CYCLE_1)
	s_or_b32 exec_lo, exec_lo, s15
.LBB197_772:                            ;   in Loop: Header=BB197_552 Depth=1
	s_delay_alu instid0(SALU_CYCLE_1) | instskip(SKIP_4) | instid1(VALU_DEP_3)
	s_or_b32 exec_lo, exec_lo, s14
	v_lshrrev_b32_e32 v61, 16, v60
	v_mov_b64_e32 v[56:57], 0
	v_mov_b64_e32 v[58:59], 0
	s_mov_b32 s14, exec_lo
	v_and_b32_e32 v22, 0xff, v61
	s_delay_alu instid0(VALU_DEP_1)
	v_cmpx_ne_u16_e32 0, v22
	s_cbranch_execz .LBB197_780
; %bb.773:                              ;   in Loop: Header=BB197_552 Depth=1
	v_mov_b64_e32 v[58:59], 0x80000000
	s_mov_b32 s15, exec_lo
	v_cmpx_ne_u16_e32 0x80, v22
	s_cbranch_execz .LBB197_779
; %bb.774:                              ;   in Loop: Header=BB197_552 Depth=1
	v_mov_b64_e32 v[58:59], 0x7f800001
	v_bfe_u32 v62, v60, 16, 7
	s_mov_b32 s16, exec_lo
	s_delay_alu instid0(VALU_DEP_1)
	v_cmpx_ne_u32_e32 0x7f, v62
	s_cbranch_execz .LBB197_778
; %bb.775:                              ;   in Loop: Header=BB197_552 Depth=1
	v_dual_lshrrev_b32 v58, 3, v62 :: v_dual_bitop2_b32 v22, 7, v61 bitop3:0x40
	s_mov_b32 s17, exec_lo
	v_cmpx_gt_u32_e32 8, v62
; %bb.776:                              ;   in Loop: Header=BB197_552 Depth=1
	s_delay_alu instid0(VALU_DEP_2) | instskip(NEXT) | instid1(VALU_DEP_1)
	v_clz_i32_u32_e32 v58, v22
	v_min_u32_e32 v58, 32, v58
	s_delay_alu instid0(VALU_DEP_1) | instskip(SKIP_1) | instid1(VALU_DEP_2)
	v_subrev_nc_u32_e32 v59, 28, v58
	v_sub_nc_u32_e32 v58, 29, v58
	v_lshlrev_b64_e32 v[62:63], v59, v[22:23]
	s_delay_alu instid0(VALU_DEP_1)
	v_and_b32_e32 v22, 7, v62
; %bb.777:                              ;   in Loop: Header=BB197_552 Depth=1
	s_or_b32 exec_lo, exec_lo, s17
	s_delay_alu instid0(VALU_DEP_1) | instskip(SKIP_1) | instid1(VALU_DEP_2)
	v_dual_lshlrev_b32 v59, 24, v61 :: v_dual_lshlrev_b32 v22, 20, v22
	v_lshl_add_u32 v58, v58, 23, 0x3c000000
	v_and_b32_e32 v59, 0x80000000, v59
	s_delay_alu instid0(VALU_DEP_1) | instskip(NEXT) | instid1(VALU_DEP_1)
	v_or3_b32 v22, v22, v59, v58
	v_mov_b64_e32 v[58:59], v[22:23]
.LBB197_778:                            ;   in Loop: Header=BB197_552 Depth=1
	s_or_b32 exec_lo, exec_lo, s16
.LBB197_779:                            ;   in Loop: Header=BB197_552 Depth=1
	s_delay_alu instid0(SALU_CYCLE_1)
	s_or_b32 exec_lo, exec_lo, s15
.LBB197_780:                            ;   in Loop: Header=BB197_552 Depth=1
	s_delay_alu instid0(SALU_CYCLE_1) | instskip(NEXT) | instid1(SALU_CYCLE_1)
	s_or_b32 exec_lo, exec_lo, s14
	s_mov_b32 s14, exec_lo
	v_cmpx_lt_u32_e32 0xffffff, v60
	s_cbranch_execz .LBB197_788
; %bb.781:                              ;   in Loop: Header=BB197_552 Depth=1
	v_mov_b64_e32 v[56:57], 0x8000000000000000
	v_lshrrev_b32_e32 v61, 24, v60
	s_mov_b32 s15, exec_lo
	s_delay_alu instid0(VALU_DEP_1)
	v_cmpx_ne_u32_e32 0x80, v61
	s_cbranch_execz .LBB197_787
; %bb.782:                              ;   in Loop: Header=BB197_552 Depth=1
	v_mov_b64_e32 v[56:57], 0x7f80000100000000
	v_bfe_u32 v60, v60, 24, 7
	s_mov_b32 s16, exec_lo
	s_delay_alu instid0(VALU_DEP_1)
	v_cmpx_ne_u32_e32 0x7f, v60
	s_cbranch_execz .LBB197_786
; %bb.783:                              ;   in Loop: Header=BB197_552 Depth=1
	v_dual_lshrrev_b32 v56, 3, v60 :: v_dual_bitop2_b32 v22, 7, v61 bitop3:0x40
	s_mov_b32 s17, exec_lo
	v_cmpx_gt_u32_e32 8, v60
; %bb.784:                              ;   in Loop: Header=BB197_552 Depth=1
	s_delay_alu instid0(VALU_DEP_2) | instskip(NEXT) | instid1(VALU_DEP_1)
	v_clz_i32_u32_e32 v56, v22
	v_min_u32_e32 v56, 32, v56
	s_delay_alu instid0(VALU_DEP_1) | instskip(NEXT) | instid1(VALU_DEP_1)
	v_subrev_nc_u32_e32 v57, 28, v56
	v_lshlrev_b64_e32 v[62:63], v57, v[22:23]
	s_delay_alu instid0(VALU_DEP_1)
	v_dual_sub_nc_u32 v56, 29, v56 :: v_dual_bitop2_b32 v22, 7, v62 bitop3:0x40
; %bb.785:                              ;   in Loop: Header=BB197_552 Depth=1
	s_or_b32 exec_lo, exec_lo, s17
	s_delay_alu instid0(VALU_DEP_1) | instskip(NEXT) | instid1(VALU_DEP_2)
	v_dual_lshlrev_b32 v57, 24, v61 :: v_dual_lshlrev_b32 v22, 20, v22
	v_lshl_add_u32 v56, v56, 23, 0x3c000000
	s_delay_alu instid0(VALU_DEP_2) | instskip(NEXT) | instid1(VALU_DEP_1)
	v_and_b32_e32 v57, 0x80000000, v57
	v_or3_b32 v57, v22, v57, v56
	v_mov_b32_e32 v56, v23
.LBB197_786:                            ;   in Loop: Header=BB197_552 Depth=1
	s_or_b32 exec_lo, exec_lo, s16
.LBB197_787:                            ;   in Loop: Header=BB197_552 Depth=1
	s_delay_alu instid0(SALU_CYCLE_1)
	s_or_b32 exec_lo, exec_lo, s15
.LBB197_788:                            ;   in Loop: Header=BB197_552 Depth=1
	s_delay_alu instid0(SALU_CYCLE_1)
	s_or_b32 exec_lo, exec_lo, s14
	v_or_b32_e32 v1, v1, v55
	v_or_b32_e32 v0, v0, v54
	v_mov_b64_e32 v[54:55], s[4:5]
	v_or_b32_e32 v57, v57, v59
	v_or_b32_e32 v56, v56, v58
	s_delay_alu instid0(VALU_DEP_3) | instskip(NEXT) | instid1(VALU_DEP_2)
	v_pk_mul_f32 v[0:1], v[54:55], v[0:1]
	v_pk_mul_f32 v[54:55], v[54:55], v[56:57]
	s_and_saveexec_b32 s14, vcc_lo
	s_cbranch_execz .LBB197_790
; %bb.789:                              ;   in Loop: Header=BB197_552 Depth=1
	v_cmp_gt_i32_e64 s0, s25, v98
	s_delay_alu instid0(VALU_DEP_1) | instskip(SKIP_1) | instid1(VALU_DEP_1)
	v_cndmask_b32_e64 v0, 0, v0, s0
	v_cmp_gt_i32_e64 s0, s25, v101
	v_cndmask_b32_e64 v1, 0, v1, s0
	v_cmp_gt_i32_e64 s0, s25, v93
	s_delay_alu instid0(VALU_DEP_1) | instskip(SKIP_1) | instid1(VALU_DEP_1)
	v_cndmask_b32_e64 v54, 0, v54, s0
	v_cmp_gt_i32_e64 s0, s25, v92
	v_cndmask_b32_e64 v55, 0, v55, s0
.LBB197_790:                            ;   in Loop: Header=BB197_552 Depth=1
	s_or_b32 exec_lo, exec_lo, s14
	global_load_b32 v64, v[32:33], off offset:896
	v_mov_b64_e32 v[56:57], 0
	v_mov_b64_e32 v[58:59], 0
	s_mov_b32 s14, exec_lo
	s_wait_loadcnt 0x0
	v_and_b32_e32 v22, 0xff, v64
	s_delay_alu instid0(VALU_DEP_1)
	v_cmpx_ne_u16_e32 0, v22
	s_cbranch_execz .LBB197_798
; %bb.791:                              ;   in Loop: Header=BB197_552 Depth=1
	v_mov_b64_e32 v[58:59], 0x80000000
	s_mov_b32 s15, exec_lo
	v_cmpx_ne_u16_e32 0x80, v22
	s_cbranch_execz .LBB197_797
; %bb.792:                              ;   in Loop: Header=BB197_552 Depth=1
	v_mov_b64_e32 v[58:59], 0x7f800001
	v_and_b32_e32 v60, 0x7f, v64
	s_mov_b32 s16, exec_lo
	s_delay_alu instid0(VALU_DEP_1)
	v_cmpx_ne_u32_e32 0x7f, v60
	s_cbranch_execz .LBB197_796
; %bb.793:                              ;   in Loop: Header=BB197_552 Depth=1
	v_and_b32_e32 v22, 7, v64
	v_lshrrev_b32_e32 v58, 3, v60
	s_mov_b32 s17, exec_lo
	v_cmpx_gt_u32_e32 8, v60
; %bb.794:                              ;   in Loop: Header=BB197_552 Depth=1
	s_delay_alu instid0(VALU_DEP_3) | instskip(NEXT) | instid1(VALU_DEP_1)
	v_clz_i32_u32_e32 v58, v22
	v_min_u32_e32 v58, 32, v58
	s_delay_alu instid0(VALU_DEP_1) | instskip(NEXT) | instid1(VALU_DEP_1)
	v_subrev_nc_u32_e32 v59, 28, v58
	v_lshlrev_b64_e32 v[60:61], v59, v[22:23]
	s_delay_alu instid0(VALU_DEP_1)
	v_dual_sub_nc_u32 v58, 29, v58 :: v_dual_bitop2_b32 v22, 7, v60 bitop3:0x40
; %bb.795:                              ;   in Loop: Header=BB197_552 Depth=1
	s_or_b32 exec_lo, exec_lo, s17
	s_delay_alu instid0(VALU_DEP_1) | instskip(NEXT) | instid1(VALU_DEP_2)
	v_dual_lshlrev_b32 v59, 24, v64 :: v_dual_lshlrev_b32 v22, 20, v22
	v_lshl_add_u32 v58, v58, 23, 0x3c000000
	s_delay_alu instid0(VALU_DEP_2) | instskip(NEXT) | instid1(VALU_DEP_1)
	v_and_b32_e32 v59, 0x80000000, v59
	v_or3_b32 v22, v22, v59, v58
	s_delay_alu instid0(VALU_DEP_1)
	v_mov_b64_e32 v[58:59], v[22:23]
.LBB197_796:                            ;   in Loop: Header=BB197_552 Depth=1
	s_or_b32 exec_lo, exec_lo, s16
.LBB197_797:                            ;   in Loop: Header=BB197_552 Depth=1
	s_delay_alu instid0(SALU_CYCLE_1)
	s_or_b32 exec_lo, exec_lo, s15
.LBB197_798:                            ;   in Loop: Header=BB197_552 Depth=1
	s_delay_alu instid0(SALU_CYCLE_1) | instskip(SKIP_2) | instid1(VALU_DEP_1)
	s_or_b32 exec_lo, exec_lo, s14
	v_lshrrev_b16 v22, 8, v64
	s_mov_b32 s14, exec_lo
	v_cmpx_ne_u16_e32 0, v22
	s_cbranch_execz .LBB197_806
; %bb.799:                              ;   in Loop: Header=BB197_552 Depth=1
	v_mov_b64_e32 v[56:57], 0x8000000000000000
	s_mov_b32 s15, exec_lo
	v_cmpx_ne_u16_e32 0x80, v22
	s_cbranch_execz .LBB197_805
; %bb.800:                              ;   in Loop: Header=BB197_552 Depth=1
	v_and_b32_e32 v22, 0xffff, v22
	v_mov_b64_e32 v[56:57], 0x7f80000100000000
	s_mov_b32 s16, exec_lo
	s_delay_alu instid0(VALU_DEP_2) | instskip(NEXT) | instid1(VALU_DEP_1)
	v_and_b32_e32 v60, 0x7f, v22
	v_cmpx_ne_u32_e32 0x7f, v60
	s_cbranch_execz .LBB197_804
; %bb.801:                              ;   in Loop: Header=BB197_552 Depth=1
	v_dual_lshrrev_b32 v56, 3, v60 :: v_dual_bitop2_b32 v22, 7, v22 bitop3:0x40
	s_mov_b32 s17, exec_lo
	v_cmpx_gt_u32_e32 8, v60
; %bb.802:                              ;   in Loop: Header=BB197_552 Depth=1
	s_delay_alu instid0(VALU_DEP_2) | instskip(NEXT) | instid1(VALU_DEP_1)
	v_clz_i32_u32_e32 v56, v22
	v_min_u32_e32 v56, 32, v56
	s_delay_alu instid0(VALU_DEP_1) | instskip(SKIP_1) | instid1(VALU_DEP_2)
	v_subrev_nc_u32_e32 v57, 28, v56
	v_sub_nc_u32_e32 v56, 29, v56
	v_lshlrev_b64_e32 v[60:61], v57, v[22:23]
	s_delay_alu instid0(VALU_DEP_1)
	v_and_b32_e32 v22, 7, v60
; %bb.803:                              ;   in Loop: Header=BB197_552 Depth=1
	s_or_b32 exec_lo, exec_lo, s17
	s_delay_alu instid0(VALU_DEP_1) | instskip(SKIP_1) | instid1(VALU_DEP_2)
	v_dual_lshlrev_b32 v57, 16, v64 :: v_dual_lshlrev_b32 v22, 20, v22
	v_lshl_add_u32 v56, v56, 23, 0x3c000000
	v_and_b32_e32 v57, 0x80000000, v57
	s_delay_alu instid0(VALU_DEP_1)
	v_or3_b32 v57, v22, v57, v56
	v_mov_b32_e32 v56, v23
.LBB197_804:                            ;   in Loop: Header=BB197_552 Depth=1
	s_or_b32 exec_lo, exec_lo, s16
.LBB197_805:                            ;   in Loop: Header=BB197_552 Depth=1
	s_delay_alu instid0(SALU_CYCLE_1)
	s_or_b32 exec_lo, exec_lo, s15
.LBB197_806:                            ;   in Loop: Header=BB197_552 Depth=1
	s_delay_alu instid0(SALU_CYCLE_1) | instskip(SKIP_4) | instid1(VALU_DEP_3)
	s_or_b32 exec_lo, exec_lo, s14
	v_lshrrev_b32_e32 v65, 16, v64
	v_mov_b64_e32 v[60:61], 0
	v_mov_b64_e32 v[62:63], 0
	s_mov_b32 s14, exec_lo
	v_and_b32_e32 v22, 0xff, v65
	s_delay_alu instid0(VALU_DEP_1)
	v_cmpx_ne_u16_e32 0, v22
	s_cbranch_execz .LBB197_814
; %bb.807:                              ;   in Loop: Header=BB197_552 Depth=1
	v_mov_b64_e32 v[62:63], 0x80000000
	s_mov_b32 s15, exec_lo
	v_cmpx_ne_u16_e32 0x80, v22
	s_cbranch_execz .LBB197_813
; %bb.808:                              ;   in Loop: Header=BB197_552 Depth=1
	v_mov_b64_e32 v[62:63], 0x7f800001
	v_bfe_u32 v66, v64, 16, 7
	s_mov_b32 s16, exec_lo
	s_delay_alu instid0(VALU_DEP_1)
	v_cmpx_ne_u32_e32 0x7f, v66
	s_cbranch_execz .LBB197_812
; %bb.809:                              ;   in Loop: Header=BB197_552 Depth=1
	v_dual_lshrrev_b32 v62, 3, v66 :: v_dual_bitop2_b32 v22, 7, v65 bitop3:0x40
	s_mov_b32 s17, exec_lo
	v_cmpx_gt_u32_e32 8, v66
; %bb.810:                              ;   in Loop: Header=BB197_552 Depth=1
	s_delay_alu instid0(VALU_DEP_2) | instskip(NEXT) | instid1(VALU_DEP_1)
	v_clz_i32_u32_e32 v62, v22
	v_min_u32_e32 v62, 32, v62
	s_delay_alu instid0(VALU_DEP_1) | instskip(SKIP_1) | instid1(VALU_DEP_2)
	v_subrev_nc_u32_e32 v63, 28, v62
	v_sub_nc_u32_e32 v62, 29, v62
	v_lshlrev_b64_e32 v[66:67], v63, v[22:23]
	s_delay_alu instid0(VALU_DEP_1)
	v_and_b32_e32 v22, 7, v66
; %bb.811:                              ;   in Loop: Header=BB197_552 Depth=1
	s_or_b32 exec_lo, exec_lo, s17
	s_delay_alu instid0(VALU_DEP_1) | instskip(SKIP_1) | instid1(VALU_DEP_2)
	v_dual_lshlrev_b32 v63, 24, v65 :: v_dual_lshlrev_b32 v22, 20, v22
	v_lshl_add_u32 v62, v62, 23, 0x3c000000
	v_and_b32_e32 v63, 0x80000000, v63
	s_delay_alu instid0(VALU_DEP_1) | instskip(NEXT) | instid1(VALU_DEP_1)
	v_or3_b32 v22, v22, v63, v62
	v_mov_b64_e32 v[62:63], v[22:23]
.LBB197_812:                            ;   in Loop: Header=BB197_552 Depth=1
	s_or_b32 exec_lo, exec_lo, s16
.LBB197_813:                            ;   in Loop: Header=BB197_552 Depth=1
	s_delay_alu instid0(SALU_CYCLE_1)
	s_or_b32 exec_lo, exec_lo, s15
.LBB197_814:                            ;   in Loop: Header=BB197_552 Depth=1
	s_delay_alu instid0(SALU_CYCLE_1) | instskip(NEXT) | instid1(SALU_CYCLE_1)
	s_or_b32 exec_lo, exec_lo, s14
	s_mov_b32 s14, exec_lo
	v_cmpx_lt_u32_e32 0xffffff, v64
	s_cbranch_execz .LBB197_822
; %bb.815:                              ;   in Loop: Header=BB197_552 Depth=1
	v_mov_b64_e32 v[60:61], 0x8000000000000000
	v_lshrrev_b32_e32 v65, 24, v64
	s_mov_b32 s15, exec_lo
	s_delay_alu instid0(VALU_DEP_1)
	v_cmpx_ne_u32_e32 0x80, v65
	s_cbranch_execz .LBB197_821
; %bb.816:                              ;   in Loop: Header=BB197_552 Depth=1
	v_mov_b64_e32 v[60:61], 0x7f80000100000000
	v_bfe_u32 v64, v64, 24, 7
	s_mov_b32 s16, exec_lo
	s_delay_alu instid0(VALU_DEP_1)
	v_cmpx_ne_u32_e32 0x7f, v64
	s_cbranch_execz .LBB197_820
; %bb.817:                              ;   in Loop: Header=BB197_552 Depth=1
	v_dual_lshrrev_b32 v60, 3, v64 :: v_dual_bitop2_b32 v22, 7, v65 bitop3:0x40
	s_mov_b32 s17, exec_lo
	v_cmpx_gt_u32_e32 8, v64
; %bb.818:                              ;   in Loop: Header=BB197_552 Depth=1
	s_delay_alu instid0(VALU_DEP_2) | instskip(NEXT) | instid1(VALU_DEP_1)
	v_clz_i32_u32_e32 v60, v22
	v_min_u32_e32 v60, 32, v60
	s_delay_alu instid0(VALU_DEP_1) | instskip(NEXT) | instid1(VALU_DEP_1)
	v_subrev_nc_u32_e32 v61, 28, v60
	v_lshlrev_b64_e32 v[66:67], v61, v[22:23]
	s_delay_alu instid0(VALU_DEP_1)
	v_dual_sub_nc_u32 v60, 29, v60 :: v_dual_bitop2_b32 v22, 7, v66 bitop3:0x40
; %bb.819:                              ;   in Loop: Header=BB197_552 Depth=1
	s_or_b32 exec_lo, exec_lo, s17
	s_delay_alu instid0(VALU_DEP_1) | instskip(NEXT) | instid1(VALU_DEP_2)
	v_dual_lshlrev_b32 v61, 24, v65 :: v_dual_lshlrev_b32 v22, 20, v22
	v_lshl_add_u32 v60, v60, 23, 0x3c000000
	s_delay_alu instid0(VALU_DEP_2) | instskip(NEXT) | instid1(VALU_DEP_1)
	v_and_b32_e32 v61, 0x80000000, v61
	v_or3_b32 v61, v22, v61, v60
	v_mov_b32_e32 v60, v23
.LBB197_820:                            ;   in Loop: Header=BB197_552 Depth=1
	s_or_b32 exec_lo, exec_lo, s16
.LBB197_821:                            ;   in Loop: Header=BB197_552 Depth=1
	s_delay_alu instid0(SALU_CYCLE_1)
	s_or_b32 exec_lo, exec_lo, s15
.LBB197_822:                            ;   in Loop: Header=BB197_552 Depth=1
	s_delay_alu instid0(SALU_CYCLE_1)
	s_or_b32 exec_lo, exec_lo, s14
	v_mov_b64_e32 v[64:65], s[4:5]
	v_or_b32_e32 v57, v57, v59
	v_or_b32_e32 v56, v56, v58
	v_or_b32_e32 v61, v61, v63
	v_or_b32_e32 v60, v60, v62
	s_delay_alu instid0(VALU_DEP_3) | instskip(NEXT) | instid1(VALU_DEP_2)
	v_pk_mul_f32 v[58:59], v[64:65], v[56:57]
	v_pk_mul_f32 v[56:57], v[64:65], v[60:61]
	s_and_saveexec_b32 s14, vcc_lo
	s_cbranch_execz .LBB197_824
; %bb.823:                              ;   in Loop: Header=BB197_552 Depth=1
	v_cmp_gt_i32_e64 s0, s25, v98
	s_delay_alu instid0(VALU_DEP_1) | instskip(SKIP_1) | instid1(VALU_DEP_1)
	v_cndmask_b32_e64 v58, 0, v58, s0
	v_cmp_gt_i32_e64 s0, s25, v101
	v_cndmask_b32_e64 v59, 0, v59, s0
	v_cmp_gt_i32_e64 s0, s25, v93
	s_delay_alu instid0(VALU_DEP_1) | instskip(SKIP_1) | instid1(VALU_DEP_1)
	v_cndmask_b32_e64 v56, 0, v56, s0
	v_cmp_gt_i32_e64 s0, s25, v92
	v_cndmask_b32_e64 v57, 0, v57, s0
.LBB197_824:                            ;   in Loop: Header=BB197_552 Depth=1
	s_or_b32 exec_lo, exec_lo, s14
	global_load_b32 v68, v[32:33], off offset:1024
	v_mov_b64_e32 v[60:61], 0
	v_mov_b64_e32 v[62:63], 0
	s_mov_b32 s14, exec_lo
	s_wait_loadcnt 0x0
	v_and_b32_e32 v22, 0xff, v68
	s_delay_alu instid0(VALU_DEP_1)
	v_cmpx_ne_u16_e32 0, v22
	s_cbranch_execz .LBB197_832
; %bb.825:                              ;   in Loop: Header=BB197_552 Depth=1
	v_mov_b64_e32 v[62:63], 0x80000000
	s_mov_b32 s15, exec_lo
	v_cmpx_ne_u16_e32 0x80, v22
	s_cbranch_execz .LBB197_831
; %bb.826:                              ;   in Loop: Header=BB197_552 Depth=1
	v_mov_b64_e32 v[62:63], 0x7f800001
	v_and_b32_e32 v64, 0x7f, v68
	s_mov_b32 s16, exec_lo
	s_delay_alu instid0(VALU_DEP_1)
	v_cmpx_ne_u32_e32 0x7f, v64
	s_cbranch_execz .LBB197_830
; %bb.827:                              ;   in Loop: Header=BB197_552 Depth=1
	v_and_b32_e32 v22, 7, v68
	v_lshrrev_b32_e32 v62, 3, v64
	s_mov_b32 s17, exec_lo
	v_cmpx_gt_u32_e32 8, v64
; %bb.828:                              ;   in Loop: Header=BB197_552 Depth=1
	s_delay_alu instid0(VALU_DEP_3) | instskip(NEXT) | instid1(VALU_DEP_1)
	v_clz_i32_u32_e32 v62, v22
	v_min_u32_e32 v62, 32, v62
	s_delay_alu instid0(VALU_DEP_1) | instskip(NEXT) | instid1(VALU_DEP_1)
	v_subrev_nc_u32_e32 v63, 28, v62
	v_lshlrev_b64_e32 v[64:65], v63, v[22:23]
	s_delay_alu instid0(VALU_DEP_1)
	v_dual_sub_nc_u32 v62, 29, v62 :: v_dual_bitop2_b32 v22, 7, v64 bitop3:0x40
; %bb.829:                              ;   in Loop: Header=BB197_552 Depth=1
	s_or_b32 exec_lo, exec_lo, s17
	s_delay_alu instid0(VALU_DEP_1) | instskip(NEXT) | instid1(VALU_DEP_2)
	v_dual_lshlrev_b32 v63, 24, v68 :: v_dual_lshlrev_b32 v22, 20, v22
	v_lshl_add_u32 v62, v62, 23, 0x3c000000
	s_delay_alu instid0(VALU_DEP_2) | instskip(NEXT) | instid1(VALU_DEP_1)
	v_and_b32_e32 v63, 0x80000000, v63
	v_or3_b32 v22, v22, v63, v62
	s_delay_alu instid0(VALU_DEP_1)
	v_mov_b64_e32 v[62:63], v[22:23]
.LBB197_830:                            ;   in Loop: Header=BB197_552 Depth=1
	s_or_b32 exec_lo, exec_lo, s16
.LBB197_831:                            ;   in Loop: Header=BB197_552 Depth=1
	s_delay_alu instid0(SALU_CYCLE_1)
	s_or_b32 exec_lo, exec_lo, s15
.LBB197_832:                            ;   in Loop: Header=BB197_552 Depth=1
	s_delay_alu instid0(SALU_CYCLE_1) | instskip(SKIP_2) | instid1(VALU_DEP_1)
	s_or_b32 exec_lo, exec_lo, s14
	v_lshrrev_b16 v22, 8, v68
	s_mov_b32 s14, exec_lo
	v_cmpx_ne_u16_e32 0, v22
	s_cbranch_execz .LBB197_840
; %bb.833:                              ;   in Loop: Header=BB197_552 Depth=1
	v_mov_b64_e32 v[60:61], 0x8000000000000000
	s_mov_b32 s15, exec_lo
	v_cmpx_ne_u16_e32 0x80, v22
	s_cbranch_execz .LBB197_839
; %bb.834:                              ;   in Loop: Header=BB197_552 Depth=1
	v_and_b32_e32 v22, 0xffff, v22
	v_mov_b64_e32 v[60:61], 0x7f80000100000000
	s_mov_b32 s16, exec_lo
	s_delay_alu instid0(VALU_DEP_2) | instskip(NEXT) | instid1(VALU_DEP_1)
	v_and_b32_e32 v64, 0x7f, v22
	v_cmpx_ne_u32_e32 0x7f, v64
	s_cbranch_execz .LBB197_838
; %bb.835:                              ;   in Loop: Header=BB197_552 Depth=1
	v_dual_lshrrev_b32 v60, 3, v64 :: v_dual_bitop2_b32 v22, 7, v22 bitop3:0x40
	s_mov_b32 s17, exec_lo
	v_cmpx_gt_u32_e32 8, v64
; %bb.836:                              ;   in Loop: Header=BB197_552 Depth=1
	s_delay_alu instid0(VALU_DEP_2) | instskip(NEXT) | instid1(VALU_DEP_1)
	v_clz_i32_u32_e32 v60, v22
	v_min_u32_e32 v60, 32, v60
	s_delay_alu instid0(VALU_DEP_1) | instskip(SKIP_1) | instid1(VALU_DEP_2)
	v_subrev_nc_u32_e32 v61, 28, v60
	v_sub_nc_u32_e32 v60, 29, v60
	v_lshlrev_b64_e32 v[64:65], v61, v[22:23]
	s_delay_alu instid0(VALU_DEP_1)
	v_and_b32_e32 v22, 7, v64
; %bb.837:                              ;   in Loop: Header=BB197_552 Depth=1
	s_or_b32 exec_lo, exec_lo, s17
	s_delay_alu instid0(VALU_DEP_1) | instskip(SKIP_1) | instid1(VALU_DEP_2)
	v_dual_lshlrev_b32 v61, 16, v68 :: v_dual_lshlrev_b32 v22, 20, v22
	v_lshl_add_u32 v60, v60, 23, 0x3c000000
	v_and_b32_e32 v61, 0x80000000, v61
	s_delay_alu instid0(VALU_DEP_1)
	v_or3_b32 v61, v22, v61, v60
	v_mov_b32_e32 v60, v23
.LBB197_838:                            ;   in Loop: Header=BB197_552 Depth=1
	s_or_b32 exec_lo, exec_lo, s16
.LBB197_839:                            ;   in Loop: Header=BB197_552 Depth=1
	s_delay_alu instid0(SALU_CYCLE_1)
	s_or_b32 exec_lo, exec_lo, s15
.LBB197_840:                            ;   in Loop: Header=BB197_552 Depth=1
	s_delay_alu instid0(SALU_CYCLE_1) | instskip(SKIP_4) | instid1(VALU_DEP_3)
	s_or_b32 exec_lo, exec_lo, s14
	v_lshrrev_b32_e32 v69, 16, v68
	v_mov_b64_e32 v[64:65], 0
	v_mov_b64_e32 v[66:67], 0
	s_mov_b32 s14, exec_lo
	v_and_b32_e32 v22, 0xff, v69
	s_delay_alu instid0(VALU_DEP_1)
	v_cmpx_ne_u16_e32 0, v22
	s_cbranch_execz .LBB197_848
; %bb.841:                              ;   in Loop: Header=BB197_552 Depth=1
	v_mov_b64_e32 v[66:67], 0x80000000
	s_mov_b32 s15, exec_lo
	v_cmpx_ne_u16_e32 0x80, v22
	s_cbranch_execz .LBB197_847
; %bb.842:                              ;   in Loop: Header=BB197_552 Depth=1
	v_mov_b64_e32 v[66:67], 0x7f800001
	v_bfe_u32 v70, v68, 16, 7
	s_mov_b32 s16, exec_lo
	s_delay_alu instid0(VALU_DEP_1)
	v_cmpx_ne_u32_e32 0x7f, v70
	s_cbranch_execz .LBB197_846
; %bb.843:                              ;   in Loop: Header=BB197_552 Depth=1
	v_dual_lshrrev_b32 v66, 3, v70 :: v_dual_bitop2_b32 v22, 7, v69 bitop3:0x40
	s_mov_b32 s17, exec_lo
	v_cmpx_gt_u32_e32 8, v70
; %bb.844:                              ;   in Loop: Header=BB197_552 Depth=1
	s_delay_alu instid0(VALU_DEP_2) | instskip(NEXT) | instid1(VALU_DEP_1)
	v_clz_i32_u32_e32 v66, v22
	v_min_u32_e32 v66, 32, v66
	s_delay_alu instid0(VALU_DEP_1) | instskip(SKIP_1) | instid1(VALU_DEP_2)
	v_subrev_nc_u32_e32 v67, 28, v66
	v_sub_nc_u32_e32 v66, 29, v66
	v_lshlrev_b64_e32 v[70:71], v67, v[22:23]
	s_delay_alu instid0(VALU_DEP_1)
	v_and_b32_e32 v22, 7, v70
; %bb.845:                              ;   in Loop: Header=BB197_552 Depth=1
	s_or_b32 exec_lo, exec_lo, s17
	s_delay_alu instid0(VALU_DEP_1) | instskip(SKIP_1) | instid1(VALU_DEP_2)
	v_dual_lshlrev_b32 v67, 24, v69 :: v_dual_lshlrev_b32 v22, 20, v22
	v_lshl_add_u32 v66, v66, 23, 0x3c000000
	v_and_b32_e32 v67, 0x80000000, v67
	s_delay_alu instid0(VALU_DEP_1) | instskip(NEXT) | instid1(VALU_DEP_1)
	v_or3_b32 v22, v22, v67, v66
	v_mov_b64_e32 v[66:67], v[22:23]
.LBB197_846:                            ;   in Loop: Header=BB197_552 Depth=1
	s_or_b32 exec_lo, exec_lo, s16
.LBB197_847:                            ;   in Loop: Header=BB197_552 Depth=1
	s_delay_alu instid0(SALU_CYCLE_1)
	s_or_b32 exec_lo, exec_lo, s15
.LBB197_848:                            ;   in Loop: Header=BB197_552 Depth=1
	s_delay_alu instid0(SALU_CYCLE_1) | instskip(NEXT) | instid1(SALU_CYCLE_1)
	s_or_b32 exec_lo, exec_lo, s14
	s_mov_b32 s14, exec_lo
	v_cmpx_lt_u32_e32 0xffffff, v68
	s_cbranch_execz .LBB197_856
; %bb.849:                              ;   in Loop: Header=BB197_552 Depth=1
	v_mov_b64_e32 v[64:65], 0x8000000000000000
	v_lshrrev_b32_e32 v69, 24, v68
	s_mov_b32 s15, exec_lo
	s_delay_alu instid0(VALU_DEP_1)
	v_cmpx_ne_u32_e32 0x80, v69
	s_cbranch_execz .LBB197_855
; %bb.850:                              ;   in Loop: Header=BB197_552 Depth=1
	v_mov_b64_e32 v[64:65], 0x7f80000100000000
	v_bfe_u32 v68, v68, 24, 7
	s_mov_b32 s16, exec_lo
	s_delay_alu instid0(VALU_DEP_1)
	v_cmpx_ne_u32_e32 0x7f, v68
	s_cbranch_execz .LBB197_854
; %bb.851:                              ;   in Loop: Header=BB197_552 Depth=1
	v_dual_lshrrev_b32 v64, 3, v68 :: v_dual_bitop2_b32 v22, 7, v69 bitop3:0x40
	s_mov_b32 s17, exec_lo
	v_cmpx_gt_u32_e32 8, v68
; %bb.852:                              ;   in Loop: Header=BB197_552 Depth=1
	s_delay_alu instid0(VALU_DEP_2) | instskip(NEXT) | instid1(VALU_DEP_1)
	v_clz_i32_u32_e32 v64, v22
	v_min_u32_e32 v64, 32, v64
	s_delay_alu instid0(VALU_DEP_1) | instskip(NEXT) | instid1(VALU_DEP_1)
	v_subrev_nc_u32_e32 v65, 28, v64
	v_lshlrev_b64_e32 v[70:71], v65, v[22:23]
	s_delay_alu instid0(VALU_DEP_1)
	v_dual_sub_nc_u32 v64, 29, v64 :: v_dual_bitop2_b32 v22, 7, v70 bitop3:0x40
; %bb.853:                              ;   in Loop: Header=BB197_552 Depth=1
	s_or_b32 exec_lo, exec_lo, s17
	s_delay_alu instid0(VALU_DEP_1) | instskip(NEXT) | instid1(VALU_DEP_2)
	v_dual_lshlrev_b32 v65, 24, v69 :: v_dual_lshlrev_b32 v22, 20, v22
	v_lshl_add_u32 v64, v64, 23, 0x3c000000
	s_delay_alu instid0(VALU_DEP_2) | instskip(NEXT) | instid1(VALU_DEP_1)
	v_and_b32_e32 v65, 0x80000000, v65
	v_or3_b32 v65, v22, v65, v64
	v_mov_b32_e32 v64, v23
.LBB197_854:                            ;   in Loop: Header=BB197_552 Depth=1
	s_or_b32 exec_lo, exec_lo, s16
.LBB197_855:                            ;   in Loop: Header=BB197_552 Depth=1
	s_delay_alu instid0(SALU_CYCLE_1)
	s_or_b32 exec_lo, exec_lo, s15
.LBB197_856:                            ;   in Loop: Header=BB197_552 Depth=1
	s_delay_alu instid0(SALU_CYCLE_1)
	s_or_b32 exec_lo, exec_lo, s14
	v_mov_b64_e32 v[68:69], s[4:5]
	v_or_b32_e32 v61, v61, v63
	v_or_b32_e32 v60, v60, v62
	;; [unrolled: 1-line block ×4, first 2 shown]
	s_delay_alu instid0(VALU_DEP_3) | instskip(NEXT) | instid1(VALU_DEP_2)
	v_pk_mul_f32 v[62:63], v[68:69], v[60:61]
	v_pk_mul_f32 v[60:61], v[68:69], v[64:65]
	s_and_saveexec_b32 s14, vcc_lo
	s_cbranch_execz .LBB197_858
; %bb.857:                              ;   in Loop: Header=BB197_552 Depth=1
	v_cmp_gt_i32_e64 s0, s25, v98
	s_delay_alu instid0(VALU_DEP_1) | instskip(SKIP_1) | instid1(VALU_DEP_1)
	v_cndmask_b32_e64 v62, 0, v62, s0
	v_cmp_gt_i32_e64 s0, s25, v101
	v_cndmask_b32_e64 v63, 0, v63, s0
	v_cmp_gt_i32_e64 s0, s25, v93
	s_delay_alu instid0(VALU_DEP_1) | instskip(SKIP_1) | instid1(VALU_DEP_1)
	v_cndmask_b32_e64 v60, 0, v60, s0
	v_cmp_gt_i32_e64 s0, s25, v92
	v_cndmask_b32_e64 v61, 0, v61, s0
.LBB197_858:                            ;   in Loop: Header=BB197_552 Depth=1
	s_or_b32 exec_lo, exec_lo, s14
	global_load_b32 v72, v[32:33], off offset:1152
	v_mov_b64_e32 v[64:65], 0
	v_mov_b64_e32 v[66:67], 0
	s_mov_b32 s14, exec_lo
	s_wait_loadcnt 0x0
	v_and_b32_e32 v22, 0xff, v72
	s_delay_alu instid0(VALU_DEP_1)
	v_cmpx_ne_u16_e32 0, v22
	s_cbranch_execz .LBB197_866
; %bb.859:                              ;   in Loop: Header=BB197_552 Depth=1
	v_mov_b64_e32 v[66:67], 0x80000000
	s_mov_b32 s15, exec_lo
	v_cmpx_ne_u16_e32 0x80, v22
	s_cbranch_execz .LBB197_865
; %bb.860:                              ;   in Loop: Header=BB197_552 Depth=1
	v_mov_b64_e32 v[66:67], 0x7f800001
	v_and_b32_e32 v68, 0x7f, v72
	s_mov_b32 s16, exec_lo
	s_delay_alu instid0(VALU_DEP_1)
	v_cmpx_ne_u32_e32 0x7f, v68
	s_cbranch_execz .LBB197_864
; %bb.861:                              ;   in Loop: Header=BB197_552 Depth=1
	v_and_b32_e32 v22, 7, v72
	v_lshrrev_b32_e32 v66, 3, v68
	s_mov_b32 s17, exec_lo
	v_cmpx_gt_u32_e32 8, v68
; %bb.862:                              ;   in Loop: Header=BB197_552 Depth=1
	s_delay_alu instid0(VALU_DEP_3) | instskip(NEXT) | instid1(VALU_DEP_1)
	v_clz_i32_u32_e32 v66, v22
	v_min_u32_e32 v66, 32, v66
	s_delay_alu instid0(VALU_DEP_1) | instskip(NEXT) | instid1(VALU_DEP_1)
	v_subrev_nc_u32_e32 v67, 28, v66
	v_lshlrev_b64_e32 v[68:69], v67, v[22:23]
	s_delay_alu instid0(VALU_DEP_1)
	v_dual_sub_nc_u32 v66, 29, v66 :: v_dual_bitop2_b32 v22, 7, v68 bitop3:0x40
; %bb.863:                              ;   in Loop: Header=BB197_552 Depth=1
	s_or_b32 exec_lo, exec_lo, s17
	s_delay_alu instid0(VALU_DEP_1) | instskip(NEXT) | instid1(VALU_DEP_2)
	v_dual_lshlrev_b32 v67, 24, v72 :: v_dual_lshlrev_b32 v22, 20, v22
	v_lshl_add_u32 v66, v66, 23, 0x3c000000
	s_delay_alu instid0(VALU_DEP_2) | instskip(NEXT) | instid1(VALU_DEP_1)
	v_and_b32_e32 v67, 0x80000000, v67
	v_or3_b32 v22, v22, v67, v66
	s_delay_alu instid0(VALU_DEP_1)
	v_mov_b64_e32 v[66:67], v[22:23]
.LBB197_864:                            ;   in Loop: Header=BB197_552 Depth=1
	s_or_b32 exec_lo, exec_lo, s16
.LBB197_865:                            ;   in Loop: Header=BB197_552 Depth=1
	s_delay_alu instid0(SALU_CYCLE_1)
	s_or_b32 exec_lo, exec_lo, s15
.LBB197_866:                            ;   in Loop: Header=BB197_552 Depth=1
	s_delay_alu instid0(SALU_CYCLE_1) | instskip(SKIP_2) | instid1(VALU_DEP_1)
	s_or_b32 exec_lo, exec_lo, s14
	v_lshrrev_b16 v22, 8, v72
	s_mov_b32 s14, exec_lo
	v_cmpx_ne_u16_e32 0, v22
	s_cbranch_execz .LBB197_874
; %bb.867:                              ;   in Loop: Header=BB197_552 Depth=1
	v_mov_b64_e32 v[64:65], 0x8000000000000000
	s_mov_b32 s15, exec_lo
	v_cmpx_ne_u16_e32 0x80, v22
	s_cbranch_execz .LBB197_873
; %bb.868:                              ;   in Loop: Header=BB197_552 Depth=1
	v_and_b32_e32 v22, 0xffff, v22
	v_mov_b64_e32 v[64:65], 0x7f80000100000000
	s_mov_b32 s16, exec_lo
	s_delay_alu instid0(VALU_DEP_2) | instskip(NEXT) | instid1(VALU_DEP_1)
	v_and_b32_e32 v68, 0x7f, v22
	v_cmpx_ne_u32_e32 0x7f, v68
	s_cbranch_execz .LBB197_872
; %bb.869:                              ;   in Loop: Header=BB197_552 Depth=1
	v_dual_lshrrev_b32 v64, 3, v68 :: v_dual_bitop2_b32 v22, 7, v22 bitop3:0x40
	s_mov_b32 s17, exec_lo
	v_cmpx_gt_u32_e32 8, v68
; %bb.870:                              ;   in Loop: Header=BB197_552 Depth=1
	s_delay_alu instid0(VALU_DEP_2) | instskip(NEXT) | instid1(VALU_DEP_1)
	v_clz_i32_u32_e32 v64, v22
	v_min_u32_e32 v64, 32, v64
	s_delay_alu instid0(VALU_DEP_1) | instskip(SKIP_1) | instid1(VALU_DEP_2)
	v_subrev_nc_u32_e32 v65, 28, v64
	v_sub_nc_u32_e32 v64, 29, v64
	v_lshlrev_b64_e32 v[68:69], v65, v[22:23]
	s_delay_alu instid0(VALU_DEP_1)
	v_and_b32_e32 v22, 7, v68
; %bb.871:                              ;   in Loop: Header=BB197_552 Depth=1
	s_or_b32 exec_lo, exec_lo, s17
	s_delay_alu instid0(VALU_DEP_1) | instskip(SKIP_1) | instid1(VALU_DEP_2)
	v_dual_lshlrev_b32 v65, 16, v72 :: v_dual_lshlrev_b32 v22, 20, v22
	v_lshl_add_u32 v64, v64, 23, 0x3c000000
	v_and_b32_e32 v65, 0x80000000, v65
	s_delay_alu instid0(VALU_DEP_1)
	v_or3_b32 v65, v22, v65, v64
	v_mov_b32_e32 v64, v23
.LBB197_872:                            ;   in Loop: Header=BB197_552 Depth=1
	s_or_b32 exec_lo, exec_lo, s16
.LBB197_873:                            ;   in Loop: Header=BB197_552 Depth=1
	s_delay_alu instid0(SALU_CYCLE_1)
	s_or_b32 exec_lo, exec_lo, s15
.LBB197_874:                            ;   in Loop: Header=BB197_552 Depth=1
	s_delay_alu instid0(SALU_CYCLE_1) | instskip(SKIP_4) | instid1(VALU_DEP_3)
	s_or_b32 exec_lo, exec_lo, s14
	v_lshrrev_b32_e32 v73, 16, v72
	v_mov_b64_e32 v[68:69], 0
	v_mov_b64_e32 v[70:71], 0
	s_mov_b32 s14, exec_lo
	v_and_b32_e32 v22, 0xff, v73
	s_delay_alu instid0(VALU_DEP_1)
	v_cmpx_ne_u16_e32 0, v22
	s_cbranch_execz .LBB197_882
; %bb.875:                              ;   in Loop: Header=BB197_552 Depth=1
	v_mov_b64_e32 v[70:71], 0x80000000
	s_mov_b32 s15, exec_lo
	v_cmpx_ne_u16_e32 0x80, v22
	s_cbranch_execz .LBB197_881
; %bb.876:                              ;   in Loop: Header=BB197_552 Depth=1
	v_mov_b64_e32 v[70:71], 0x7f800001
	v_bfe_u32 v74, v72, 16, 7
	s_mov_b32 s16, exec_lo
	s_delay_alu instid0(VALU_DEP_1)
	v_cmpx_ne_u32_e32 0x7f, v74
	s_cbranch_execz .LBB197_880
; %bb.877:                              ;   in Loop: Header=BB197_552 Depth=1
	v_dual_lshrrev_b32 v70, 3, v74 :: v_dual_bitop2_b32 v22, 7, v73 bitop3:0x40
	s_mov_b32 s17, exec_lo
	v_cmpx_gt_u32_e32 8, v74
; %bb.878:                              ;   in Loop: Header=BB197_552 Depth=1
	s_delay_alu instid0(VALU_DEP_2) | instskip(NEXT) | instid1(VALU_DEP_1)
	v_clz_i32_u32_e32 v70, v22
	v_min_u32_e32 v70, 32, v70
	s_delay_alu instid0(VALU_DEP_1) | instskip(SKIP_1) | instid1(VALU_DEP_2)
	v_subrev_nc_u32_e32 v71, 28, v70
	v_sub_nc_u32_e32 v70, 29, v70
	v_lshlrev_b64_e32 v[74:75], v71, v[22:23]
	s_delay_alu instid0(VALU_DEP_1)
	v_and_b32_e32 v22, 7, v74
; %bb.879:                              ;   in Loop: Header=BB197_552 Depth=1
	s_or_b32 exec_lo, exec_lo, s17
	s_delay_alu instid0(VALU_DEP_1) | instskip(SKIP_1) | instid1(VALU_DEP_2)
	v_dual_lshlrev_b32 v71, 24, v73 :: v_dual_lshlrev_b32 v22, 20, v22
	v_lshl_add_u32 v70, v70, 23, 0x3c000000
	v_and_b32_e32 v71, 0x80000000, v71
	s_delay_alu instid0(VALU_DEP_1) | instskip(NEXT) | instid1(VALU_DEP_1)
	v_or3_b32 v22, v22, v71, v70
	v_mov_b64_e32 v[70:71], v[22:23]
.LBB197_880:                            ;   in Loop: Header=BB197_552 Depth=1
	s_or_b32 exec_lo, exec_lo, s16
.LBB197_881:                            ;   in Loop: Header=BB197_552 Depth=1
	s_delay_alu instid0(SALU_CYCLE_1)
	s_or_b32 exec_lo, exec_lo, s15
.LBB197_882:                            ;   in Loop: Header=BB197_552 Depth=1
	s_delay_alu instid0(SALU_CYCLE_1) | instskip(NEXT) | instid1(SALU_CYCLE_1)
	s_or_b32 exec_lo, exec_lo, s14
	s_mov_b32 s14, exec_lo
	v_cmpx_lt_u32_e32 0xffffff, v72
	s_cbranch_execz .LBB197_890
; %bb.883:                              ;   in Loop: Header=BB197_552 Depth=1
	v_mov_b64_e32 v[68:69], 0x8000000000000000
	v_lshrrev_b32_e32 v73, 24, v72
	s_mov_b32 s15, exec_lo
	s_delay_alu instid0(VALU_DEP_1)
	v_cmpx_ne_u32_e32 0x80, v73
	s_cbranch_execz .LBB197_889
; %bb.884:                              ;   in Loop: Header=BB197_552 Depth=1
	v_mov_b64_e32 v[68:69], 0x7f80000100000000
	v_bfe_u32 v72, v72, 24, 7
	s_mov_b32 s16, exec_lo
	s_delay_alu instid0(VALU_DEP_1)
	v_cmpx_ne_u32_e32 0x7f, v72
	s_cbranch_execz .LBB197_888
; %bb.885:                              ;   in Loop: Header=BB197_552 Depth=1
	v_dual_lshrrev_b32 v68, 3, v72 :: v_dual_bitop2_b32 v22, 7, v73 bitop3:0x40
	s_mov_b32 s17, exec_lo
	v_cmpx_gt_u32_e32 8, v72
; %bb.886:                              ;   in Loop: Header=BB197_552 Depth=1
	s_delay_alu instid0(VALU_DEP_2) | instskip(NEXT) | instid1(VALU_DEP_1)
	v_clz_i32_u32_e32 v68, v22
	v_min_u32_e32 v68, 32, v68
	s_delay_alu instid0(VALU_DEP_1) | instskip(NEXT) | instid1(VALU_DEP_1)
	v_subrev_nc_u32_e32 v69, 28, v68
	v_lshlrev_b64_e32 v[74:75], v69, v[22:23]
	s_delay_alu instid0(VALU_DEP_1)
	v_dual_sub_nc_u32 v68, 29, v68 :: v_dual_bitop2_b32 v22, 7, v74 bitop3:0x40
; %bb.887:                              ;   in Loop: Header=BB197_552 Depth=1
	s_or_b32 exec_lo, exec_lo, s17
	s_delay_alu instid0(VALU_DEP_1) | instskip(NEXT) | instid1(VALU_DEP_2)
	v_dual_lshlrev_b32 v69, 24, v73 :: v_dual_lshlrev_b32 v22, 20, v22
	v_lshl_add_u32 v68, v68, 23, 0x3c000000
	s_delay_alu instid0(VALU_DEP_2) | instskip(NEXT) | instid1(VALU_DEP_1)
	v_and_b32_e32 v69, 0x80000000, v69
	v_or3_b32 v69, v22, v69, v68
	v_mov_b32_e32 v68, v23
.LBB197_888:                            ;   in Loop: Header=BB197_552 Depth=1
	s_or_b32 exec_lo, exec_lo, s16
.LBB197_889:                            ;   in Loop: Header=BB197_552 Depth=1
	s_delay_alu instid0(SALU_CYCLE_1)
	s_or_b32 exec_lo, exec_lo, s15
.LBB197_890:                            ;   in Loop: Header=BB197_552 Depth=1
	s_delay_alu instid0(SALU_CYCLE_1)
	s_or_b32 exec_lo, exec_lo, s14
	v_mov_b64_e32 v[72:73], s[4:5]
	v_or_b32_e32 v65, v65, v67
	v_or_b32_e32 v64, v64, v66
	;; [unrolled: 1-line block ×4, first 2 shown]
	s_delay_alu instid0(VALU_DEP_3) | instskip(NEXT) | instid1(VALU_DEP_2)
	v_pk_mul_f32 v[66:67], v[72:73], v[64:65]
	v_pk_mul_f32 v[64:65], v[72:73], v[68:69]
	s_and_saveexec_b32 s14, vcc_lo
	s_cbranch_execz .LBB197_892
; %bb.891:                              ;   in Loop: Header=BB197_552 Depth=1
	v_cmp_gt_i32_e64 s0, s25, v98
	s_delay_alu instid0(VALU_DEP_1) | instskip(SKIP_1) | instid1(VALU_DEP_1)
	v_cndmask_b32_e64 v66, 0, v66, s0
	v_cmp_gt_i32_e64 s0, s25, v101
	v_cndmask_b32_e64 v67, 0, v67, s0
	v_cmp_gt_i32_e64 s0, s25, v93
	s_delay_alu instid0(VALU_DEP_1) | instskip(SKIP_1) | instid1(VALU_DEP_1)
	v_cndmask_b32_e64 v64, 0, v64, s0
	v_cmp_gt_i32_e64 s0, s25, v92
	v_cndmask_b32_e64 v65, 0, v65, s0
.LBB197_892:                            ;   in Loop: Header=BB197_552 Depth=1
	s_or_b32 exec_lo, exec_lo, s14
	global_load_b32 v76, v[32:33], off offset:1280
	v_mov_b64_e32 v[68:69], 0
	v_mov_b64_e32 v[70:71], 0
	s_mov_b32 s14, exec_lo
	s_wait_loadcnt 0x0
	v_and_b32_e32 v22, 0xff, v76
	s_delay_alu instid0(VALU_DEP_1)
	v_cmpx_ne_u16_e32 0, v22
	s_cbranch_execz .LBB197_900
; %bb.893:                              ;   in Loop: Header=BB197_552 Depth=1
	v_mov_b64_e32 v[70:71], 0x80000000
	s_mov_b32 s15, exec_lo
	v_cmpx_ne_u16_e32 0x80, v22
	s_cbranch_execz .LBB197_899
; %bb.894:                              ;   in Loop: Header=BB197_552 Depth=1
	v_mov_b64_e32 v[70:71], 0x7f800001
	v_and_b32_e32 v72, 0x7f, v76
	s_mov_b32 s16, exec_lo
	s_delay_alu instid0(VALU_DEP_1)
	v_cmpx_ne_u32_e32 0x7f, v72
	s_cbranch_execz .LBB197_898
; %bb.895:                              ;   in Loop: Header=BB197_552 Depth=1
	v_and_b32_e32 v22, 7, v76
	v_lshrrev_b32_e32 v70, 3, v72
	s_mov_b32 s17, exec_lo
	v_cmpx_gt_u32_e32 8, v72
; %bb.896:                              ;   in Loop: Header=BB197_552 Depth=1
	s_delay_alu instid0(VALU_DEP_3) | instskip(NEXT) | instid1(VALU_DEP_1)
	v_clz_i32_u32_e32 v70, v22
	v_min_u32_e32 v70, 32, v70
	s_delay_alu instid0(VALU_DEP_1) | instskip(NEXT) | instid1(VALU_DEP_1)
	v_subrev_nc_u32_e32 v71, 28, v70
	v_lshlrev_b64_e32 v[72:73], v71, v[22:23]
	s_delay_alu instid0(VALU_DEP_1)
	v_dual_sub_nc_u32 v70, 29, v70 :: v_dual_bitop2_b32 v22, 7, v72 bitop3:0x40
; %bb.897:                              ;   in Loop: Header=BB197_552 Depth=1
	s_or_b32 exec_lo, exec_lo, s17
	s_delay_alu instid0(VALU_DEP_1) | instskip(NEXT) | instid1(VALU_DEP_2)
	v_dual_lshlrev_b32 v71, 24, v76 :: v_dual_lshlrev_b32 v22, 20, v22
	v_lshl_add_u32 v70, v70, 23, 0x3c000000
	s_delay_alu instid0(VALU_DEP_2) | instskip(NEXT) | instid1(VALU_DEP_1)
	v_and_b32_e32 v71, 0x80000000, v71
	v_or3_b32 v22, v22, v71, v70
	s_delay_alu instid0(VALU_DEP_1)
	v_mov_b64_e32 v[70:71], v[22:23]
.LBB197_898:                            ;   in Loop: Header=BB197_552 Depth=1
	s_or_b32 exec_lo, exec_lo, s16
.LBB197_899:                            ;   in Loop: Header=BB197_552 Depth=1
	s_delay_alu instid0(SALU_CYCLE_1)
	s_or_b32 exec_lo, exec_lo, s15
.LBB197_900:                            ;   in Loop: Header=BB197_552 Depth=1
	s_delay_alu instid0(SALU_CYCLE_1) | instskip(SKIP_2) | instid1(VALU_DEP_1)
	s_or_b32 exec_lo, exec_lo, s14
	v_lshrrev_b16 v22, 8, v76
	s_mov_b32 s14, exec_lo
	v_cmpx_ne_u16_e32 0, v22
	s_cbranch_execz .LBB197_908
; %bb.901:                              ;   in Loop: Header=BB197_552 Depth=1
	v_mov_b64_e32 v[68:69], 0x8000000000000000
	s_mov_b32 s15, exec_lo
	v_cmpx_ne_u16_e32 0x80, v22
	s_cbranch_execz .LBB197_907
; %bb.902:                              ;   in Loop: Header=BB197_552 Depth=1
	v_and_b32_e32 v22, 0xffff, v22
	v_mov_b64_e32 v[68:69], 0x7f80000100000000
	s_mov_b32 s16, exec_lo
	s_delay_alu instid0(VALU_DEP_2) | instskip(NEXT) | instid1(VALU_DEP_1)
	v_and_b32_e32 v72, 0x7f, v22
	v_cmpx_ne_u32_e32 0x7f, v72
	s_cbranch_execz .LBB197_906
; %bb.903:                              ;   in Loop: Header=BB197_552 Depth=1
	v_dual_lshrrev_b32 v68, 3, v72 :: v_dual_bitop2_b32 v22, 7, v22 bitop3:0x40
	s_mov_b32 s17, exec_lo
	v_cmpx_gt_u32_e32 8, v72
; %bb.904:                              ;   in Loop: Header=BB197_552 Depth=1
	s_delay_alu instid0(VALU_DEP_2) | instskip(NEXT) | instid1(VALU_DEP_1)
	v_clz_i32_u32_e32 v68, v22
	v_min_u32_e32 v68, 32, v68
	s_delay_alu instid0(VALU_DEP_1) | instskip(SKIP_1) | instid1(VALU_DEP_2)
	v_subrev_nc_u32_e32 v69, 28, v68
	v_sub_nc_u32_e32 v68, 29, v68
	v_lshlrev_b64_e32 v[72:73], v69, v[22:23]
	s_delay_alu instid0(VALU_DEP_1)
	v_and_b32_e32 v22, 7, v72
; %bb.905:                              ;   in Loop: Header=BB197_552 Depth=1
	s_or_b32 exec_lo, exec_lo, s17
	s_delay_alu instid0(VALU_DEP_1) | instskip(SKIP_1) | instid1(VALU_DEP_2)
	v_dual_lshlrev_b32 v69, 16, v76 :: v_dual_lshlrev_b32 v22, 20, v22
	v_lshl_add_u32 v68, v68, 23, 0x3c000000
	v_and_b32_e32 v69, 0x80000000, v69
	s_delay_alu instid0(VALU_DEP_1)
	v_or3_b32 v69, v22, v69, v68
	v_mov_b32_e32 v68, v23
.LBB197_906:                            ;   in Loop: Header=BB197_552 Depth=1
	s_or_b32 exec_lo, exec_lo, s16
.LBB197_907:                            ;   in Loop: Header=BB197_552 Depth=1
	s_delay_alu instid0(SALU_CYCLE_1)
	s_or_b32 exec_lo, exec_lo, s15
.LBB197_908:                            ;   in Loop: Header=BB197_552 Depth=1
	s_delay_alu instid0(SALU_CYCLE_1) | instskip(SKIP_4) | instid1(VALU_DEP_3)
	s_or_b32 exec_lo, exec_lo, s14
	v_lshrrev_b32_e32 v77, 16, v76
	v_mov_b64_e32 v[72:73], 0
	v_mov_b64_e32 v[74:75], 0
	s_mov_b32 s14, exec_lo
	v_and_b32_e32 v22, 0xff, v77
	s_delay_alu instid0(VALU_DEP_1)
	v_cmpx_ne_u16_e32 0, v22
	s_cbranch_execz .LBB197_916
; %bb.909:                              ;   in Loop: Header=BB197_552 Depth=1
	v_mov_b64_e32 v[74:75], 0x80000000
	s_mov_b32 s15, exec_lo
	v_cmpx_ne_u16_e32 0x80, v22
	s_cbranch_execz .LBB197_915
; %bb.910:                              ;   in Loop: Header=BB197_552 Depth=1
	v_mov_b64_e32 v[74:75], 0x7f800001
	v_bfe_u32 v78, v76, 16, 7
	s_mov_b32 s16, exec_lo
	s_delay_alu instid0(VALU_DEP_1)
	v_cmpx_ne_u32_e32 0x7f, v78
	s_cbranch_execz .LBB197_914
; %bb.911:                              ;   in Loop: Header=BB197_552 Depth=1
	v_dual_lshrrev_b32 v74, 3, v78 :: v_dual_bitop2_b32 v22, 7, v77 bitop3:0x40
	s_mov_b32 s17, exec_lo
	v_cmpx_gt_u32_e32 8, v78
; %bb.912:                              ;   in Loop: Header=BB197_552 Depth=1
	s_delay_alu instid0(VALU_DEP_2) | instskip(NEXT) | instid1(VALU_DEP_1)
	v_clz_i32_u32_e32 v74, v22
	v_min_u32_e32 v74, 32, v74
	s_delay_alu instid0(VALU_DEP_1) | instskip(SKIP_1) | instid1(VALU_DEP_2)
	v_subrev_nc_u32_e32 v75, 28, v74
	v_sub_nc_u32_e32 v74, 29, v74
	v_lshlrev_b64_e32 v[78:79], v75, v[22:23]
	s_delay_alu instid0(VALU_DEP_1)
	v_and_b32_e32 v22, 7, v78
; %bb.913:                              ;   in Loop: Header=BB197_552 Depth=1
	s_or_b32 exec_lo, exec_lo, s17
	s_delay_alu instid0(VALU_DEP_1) | instskip(SKIP_1) | instid1(VALU_DEP_2)
	v_dual_lshlrev_b32 v75, 24, v77 :: v_dual_lshlrev_b32 v22, 20, v22
	v_lshl_add_u32 v74, v74, 23, 0x3c000000
	v_and_b32_e32 v75, 0x80000000, v75
	s_delay_alu instid0(VALU_DEP_1) | instskip(NEXT) | instid1(VALU_DEP_1)
	v_or3_b32 v22, v22, v75, v74
	v_mov_b64_e32 v[74:75], v[22:23]
.LBB197_914:                            ;   in Loop: Header=BB197_552 Depth=1
	s_or_b32 exec_lo, exec_lo, s16
.LBB197_915:                            ;   in Loop: Header=BB197_552 Depth=1
	s_delay_alu instid0(SALU_CYCLE_1)
	s_or_b32 exec_lo, exec_lo, s15
.LBB197_916:                            ;   in Loop: Header=BB197_552 Depth=1
	s_delay_alu instid0(SALU_CYCLE_1) | instskip(NEXT) | instid1(SALU_CYCLE_1)
	s_or_b32 exec_lo, exec_lo, s14
	s_mov_b32 s14, exec_lo
	v_cmpx_lt_u32_e32 0xffffff, v76
	s_cbranch_execz .LBB197_924
; %bb.917:                              ;   in Loop: Header=BB197_552 Depth=1
	v_mov_b64_e32 v[72:73], 0x8000000000000000
	v_lshrrev_b32_e32 v77, 24, v76
	s_mov_b32 s15, exec_lo
	s_delay_alu instid0(VALU_DEP_1)
	v_cmpx_ne_u32_e32 0x80, v77
	s_cbranch_execz .LBB197_923
; %bb.918:                              ;   in Loop: Header=BB197_552 Depth=1
	v_mov_b64_e32 v[72:73], 0x7f80000100000000
	v_bfe_u32 v76, v76, 24, 7
	s_mov_b32 s16, exec_lo
	s_delay_alu instid0(VALU_DEP_1)
	v_cmpx_ne_u32_e32 0x7f, v76
	s_cbranch_execz .LBB197_922
; %bb.919:                              ;   in Loop: Header=BB197_552 Depth=1
	v_dual_lshrrev_b32 v72, 3, v76 :: v_dual_bitop2_b32 v22, 7, v77 bitop3:0x40
	s_mov_b32 s17, exec_lo
	v_cmpx_gt_u32_e32 8, v76
; %bb.920:                              ;   in Loop: Header=BB197_552 Depth=1
	s_delay_alu instid0(VALU_DEP_2) | instskip(NEXT) | instid1(VALU_DEP_1)
	v_clz_i32_u32_e32 v72, v22
	v_min_u32_e32 v72, 32, v72
	s_delay_alu instid0(VALU_DEP_1) | instskip(NEXT) | instid1(VALU_DEP_1)
	v_subrev_nc_u32_e32 v73, 28, v72
	v_lshlrev_b64_e32 v[78:79], v73, v[22:23]
	s_delay_alu instid0(VALU_DEP_1)
	v_dual_sub_nc_u32 v72, 29, v72 :: v_dual_bitop2_b32 v22, 7, v78 bitop3:0x40
; %bb.921:                              ;   in Loop: Header=BB197_552 Depth=1
	s_or_b32 exec_lo, exec_lo, s17
	s_delay_alu instid0(VALU_DEP_1) | instskip(NEXT) | instid1(VALU_DEP_2)
	v_dual_lshlrev_b32 v73, 24, v77 :: v_dual_lshlrev_b32 v22, 20, v22
	v_lshl_add_u32 v72, v72, 23, 0x3c000000
	s_delay_alu instid0(VALU_DEP_2) | instskip(NEXT) | instid1(VALU_DEP_1)
	v_and_b32_e32 v73, 0x80000000, v73
	v_or3_b32 v73, v22, v73, v72
	v_mov_b32_e32 v72, v23
.LBB197_922:                            ;   in Loop: Header=BB197_552 Depth=1
	s_or_b32 exec_lo, exec_lo, s16
.LBB197_923:                            ;   in Loop: Header=BB197_552 Depth=1
	s_delay_alu instid0(SALU_CYCLE_1)
	s_or_b32 exec_lo, exec_lo, s15
.LBB197_924:                            ;   in Loop: Header=BB197_552 Depth=1
	s_delay_alu instid0(SALU_CYCLE_1)
	s_or_b32 exec_lo, exec_lo, s14
	v_mov_b64_e32 v[76:77], s[4:5]
	v_or_b32_e32 v69, v69, v71
	v_or_b32_e32 v68, v68, v70
	;; [unrolled: 1-line block ×4, first 2 shown]
	s_delay_alu instid0(VALU_DEP_3) | instskip(NEXT) | instid1(VALU_DEP_2)
	v_pk_mul_f32 v[70:71], v[76:77], v[68:69]
	v_pk_mul_f32 v[68:69], v[76:77], v[72:73]
	s_and_saveexec_b32 s14, vcc_lo
	s_cbranch_execz .LBB197_926
; %bb.925:                              ;   in Loop: Header=BB197_552 Depth=1
	v_cmp_gt_i32_e64 s0, s25, v98
	s_delay_alu instid0(VALU_DEP_1) | instskip(SKIP_1) | instid1(VALU_DEP_1)
	v_cndmask_b32_e64 v70, 0, v70, s0
	v_cmp_gt_i32_e64 s0, s25, v101
	v_cndmask_b32_e64 v71, 0, v71, s0
	v_cmp_gt_i32_e64 s0, s25, v93
	s_delay_alu instid0(VALU_DEP_1) | instskip(SKIP_1) | instid1(VALU_DEP_1)
	v_cndmask_b32_e64 v68, 0, v68, s0
	v_cmp_gt_i32_e64 s0, s25, v92
	v_cndmask_b32_e64 v69, 0, v69, s0
.LBB197_926:                            ;   in Loop: Header=BB197_552 Depth=1
	s_or_b32 exec_lo, exec_lo, s14
	global_load_b32 v80, v[32:33], off offset:1408
	v_mov_b64_e32 v[72:73], 0
	v_mov_b64_e32 v[74:75], 0
	s_mov_b32 s14, exec_lo
	s_wait_loadcnt 0x0
	v_and_b32_e32 v22, 0xff, v80
	s_delay_alu instid0(VALU_DEP_1)
	v_cmpx_ne_u16_e32 0, v22
	s_cbranch_execz .LBB197_934
; %bb.927:                              ;   in Loop: Header=BB197_552 Depth=1
	v_mov_b64_e32 v[74:75], 0x80000000
	s_mov_b32 s15, exec_lo
	v_cmpx_ne_u16_e32 0x80, v22
	s_cbranch_execz .LBB197_933
; %bb.928:                              ;   in Loop: Header=BB197_552 Depth=1
	v_mov_b64_e32 v[74:75], 0x7f800001
	v_and_b32_e32 v76, 0x7f, v80
	s_mov_b32 s16, exec_lo
	s_delay_alu instid0(VALU_DEP_1)
	v_cmpx_ne_u32_e32 0x7f, v76
	s_cbranch_execz .LBB197_932
; %bb.929:                              ;   in Loop: Header=BB197_552 Depth=1
	v_and_b32_e32 v22, 7, v80
	v_lshrrev_b32_e32 v74, 3, v76
	s_mov_b32 s17, exec_lo
	v_cmpx_gt_u32_e32 8, v76
; %bb.930:                              ;   in Loop: Header=BB197_552 Depth=1
	s_delay_alu instid0(VALU_DEP_3) | instskip(NEXT) | instid1(VALU_DEP_1)
	v_clz_i32_u32_e32 v74, v22
	v_min_u32_e32 v74, 32, v74
	s_delay_alu instid0(VALU_DEP_1) | instskip(NEXT) | instid1(VALU_DEP_1)
	v_subrev_nc_u32_e32 v75, 28, v74
	v_lshlrev_b64_e32 v[76:77], v75, v[22:23]
	s_delay_alu instid0(VALU_DEP_1)
	v_dual_sub_nc_u32 v74, 29, v74 :: v_dual_bitop2_b32 v22, 7, v76 bitop3:0x40
; %bb.931:                              ;   in Loop: Header=BB197_552 Depth=1
	s_or_b32 exec_lo, exec_lo, s17
	s_delay_alu instid0(VALU_DEP_1) | instskip(NEXT) | instid1(VALU_DEP_2)
	v_dual_lshlrev_b32 v75, 24, v80 :: v_dual_lshlrev_b32 v22, 20, v22
	v_lshl_add_u32 v74, v74, 23, 0x3c000000
	s_delay_alu instid0(VALU_DEP_2) | instskip(NEXT) | instid1(VALU_DEP_1)
	v_and_b32_e32 v75, 0x80000000, v75
	v_or3_b32 v22, v22, v75, v74
	s_delay_alu instid0(VALU_DEP_1)
	v_mov_b64_e32 v[74:75], v[22:23]
.LBB197_932:                            ;   in Loop: Header=BB197_552 Depth=1
	s_or_b32 exec_lo, exec_lo, s16
.LBB197_933:                            ;   in Loop: Header=BB197_552 Depth=1
	s_delay_alu instid0(SALU_CYCLE_1)
	s_or_b32 exec_lo, exec_lo, s15
.LBB197_934:                            ;   in Loop: Header=BB197_552 Depth=1
	s_delay_alu instid0(SALU_CYCLE_1) | instskip(SKIP_2) | instid1(VALU_DEP_1)
	s_or_b32 exec_lo, exec_lo, s14
	v_lshrrev_b16 v22, 8, v80
	s_mov_b32 s14, exec_lo
	v_cmpx_ne_u16_e32 0, v22
	s_cbranch_execz .LBB197_942
; %bb.935:                              ;   in Loop: Header=BB197_552 Depth=1
	v_mov_b64_e32 v[72:73], 0x8000000000000000
	s_mov_b32 s15, exec_lo
	v_cmpx_ne_u16_e32 0x80, v22
	s_cbranch_execz .LBB197_941
; %bb.936:                              ;   in Loop: Header=BB197_552 Depth=1
	v_and_b32_e32 v22, 0xffff, v22
	v_mov_b64_e32 v[72:73], 0x7f80000100000000
	s_mov_b32 s16, exec_lo
	s_delay_alu instid0(VALU_DEP_2) | instskip(NEXT) | instid1(VALU_DEP_1)
	v_and_b32_e32 v76, 0x7f, v22
	v_cmpx_ne_u32_e32 0x7f, v76
	s_cbranch_execz .LBB197_940
; %bb.937:                              ;   in Loop: Header=BB197_552 Depth=1
	v_dual_lshrrev_b32 v72, 3, v76 :: v_dual_bitop2_b32 v22, 7, v22 bitop3:0x40
	s_mov_b32 s17, exec_lo
	v_cmpx_gt_u32_e32 8, v76
; %bb.938:                              ;   in Loop: Header=BB197_552 Depth=1
	s_delay_alu instid0(VALU_DEP_2) | instskip(NEXT) | instid1(VALU_DEP_1)
	v_clz_i32_u32_e32 v72, v22
	v_min_u32_e32 v72, 32, v72
	s_delay_alu instid0(VALU_DEP_1) | instskip(SKIP_1) | instid1(VALU_DEP_2)
	v_subrev_nc_u32_e32 v73, 28, v72
	v_sub_nc_u32_e32 v72, 29, v72
	v_lshlrev_b64_e32 v[76:77], v73, v[22:23]
	s_delay_alu instid0(VALU_DEP_1)
	v_and_b32_e32 v22, 7, v76
; %bb.939:                              ;   in Loop: Header=BB197_552 Depth=1
	s_or_b32 exec_lo, exec_lo, s17
	s_delay_alu instid0(VALU_DEP_1) | instskip(SKIP_1) | instid1(VALU_DEP_2)
	v_dual_lshlrev_b32 v73, 16, v80 :: v_dual_lshlrev_b32 v22, 20, v22
	v_lshl_add_u32 v72, v72, 23, 0x3c000000
	v_and_b32_e32 v73, 0x80000000, v73
	s_delay_alu instid0(VALU_DEP_1)
	v_or3_b32 v73, v22, v73, v72
	v_mov_b32_e32 v72, v23
.LBB197_940:                            ;   in Loop: Header=BB197_552 Depth=1
	s_or_b32 exec_lo, exec_lo, s16
.LBB197_941:                            ;   in Loop: Header=BB197_552 Depth=1
	s_delay_alu instid0(SALU_CYCLE_1)
	s_or_b32 exec_lo, exec_lo, s15
.LBB197_942:                            ;   in Loop: Header=BB197_552 Depth=1
	s_delay_alu instid0(SALU_CYCLE_1) | instskip(SKIP_4) | instid1(VALU_DEP_3)
	s_or_b32 exec_lo, exec_lo, s14
	v_lshrrev_b32_e32 v81, 16, v80
	v_mov_b64_e32 v[76:77], 0
	v_mov_b64_e32 v[78:79], 0
	s_mov_b32 s14, exec_lo
	v_and_b32_e32 v22, 0xff, v81
	s_delay_alu instid0(VALU_DEP_1)
	v_cmpx_ne_u16_e32 0, v22
	s_cbranch_execz .LBB197_950
; %bb.943:                              ;   in Loop: Header=BB197_552 Depth=1
	v_mov_b64_e32 v[78:79], 0x80000000
	s_mov_b32 s15, exec_lo
	v_cmpx_ne_u16_e32 0x80, v22
	s_cbranch_execz .LBB197_949
; %bb.944:                              ;   in Loop: Header=BB197_552 Depth=1
	v_mov_b64_e32 v[78:79], 0x7f800001
	v_bfe_u32 v82, v80, 16, 7
	s_mov_b32 s16, exec_lo
	s_delay_alu instid0(VALU_DEP_1)
	v_cmpx_ne_u32_e32 0x7f, v82
	s_cbranch_execz .LBB197_948
; %bb.945:                              ;   in Loop: Header=BB197_552 Depth=1
	v_dual_lshrrev_b32 v78, 3, v82 :: v_dual_bitop2_b32 v22, 7, v81 bitop3:0x40
	s_mov_b32 s17, exec_lo
	v_cmpx_gt_u32_e32 8, v82
; %bb.946:                              ;   in Loop: Header=BB197_552 Depth=1
	s_delay_alu instid0(VALU_DEP_2) | instskip(NEXT) | instid1(VALU_DEP_1)
	v_clz_i32_u32_e32 v78, v22
	v_min_u32_e32 v78, 32, v78
	s_delay_alu instid0(VALU_DEP_1) | instskip(SKIP_1) | instid1(VALU_DEP_2)
	v_subrev_nc_u32_e32 v79, 28, v78
	v_sub_nc_u32_e32 v78, 29, v78
	v_lshlrev_b64_e32 v[82:83], v79, v[22:23]
	s_delay_alu instid0(VALU_DEP_1)
	v_and_b32_e32 v22, 7, v82
; %bb.947:                              ;   in Loop: Header=BB197_552 Depth=1
	s_or_b32 exec_lo, exec_lo, s17
	s_delay_alu instid0(VALU_DEP_1) | instskip(SKIP_1) | instid1(VALU_DEP_2)
	v_dual_lshlrev_b32 v79, 24, v81 :: v_dual_lshlrev_b32 v22, 20, v22
	v_lshl_add_u32 v78, v78, 23, 0x3c000000
	v_and_b32_e32 v79, 0x80000000, v79
	s_delay_alu instid0(VALU_DEP_1) | instskip(NEXT) | instid1(VALU_DEP_1)
	v_or3_b32 v22, v22, v79, v78
	v_mov_b64_e32 v[78:79], v[22:23]
.LBB197_948:                            ;   in Loop: Header=BB197_552 Depth=1
	s_or_b32 exec_lo, exec_lo, s16
.LBB197_949:                            ;   in Loop: Header=BB197_552 Depth=1
	s_delay_alu instid0(SALU_CYCLE_1)
	s_or_b32 exec_lo, exec_lo, s15
.LBB197_950:                            ;   in Loop: Header=BB197_552 Depth=1
	s_delay_alu instid0(SALU_CYCLE_1) | instskip(NEXT) | instid1(SALU_CYCLE_1)
	s_or_b32 exec_lo, exec_lo, s14
	s_mov_b32 s14, exec_lo
	v_cmpx_lt_u32_e32 0xffffff, v80
	s_cbranch_execz .LBB197_958
; %bb.951:                              ;   in Loop: Header=BB197_552 Depth=1
	v_mov_b64_e32 v[76:77], 0x8000000000000000
	v_lshrrev_b32_e32 v81, 24, v80
	s_mov_b32 s15, exec_lo
	s_delay_alu instid0(VALU_DEP_1)
	v_cmpx_ne_u32_e32 0x80, v81
	s_cbranch_execz .LBB197_957
; %bb.952:                              ;   in Loop: Header=BB197_552 Depth=1
	v_mov_b64_e32 v[76:77], 0x7f80000100000000
	v_bfe_u32 v80, v80, 24, 7
	s_mov_b32 s16, exec_lo
	s_delay_alu instid0(VALU_DEP_1)
	v_cmpx_ne_u32_e32 0x7f, v80
	s_cbranch_execz .LBB197_956
; %bb.953:                              ;   in Loop: Header=BB197_552 Depth=1
	v_dual_lshrrev_b32 v76, 3, v80 :: v_dual_bitop2_b32 v22, 7, v81 bitop3:0x40
	s_mov_b32 s17, exec_lo
	v_cmpx_gt_u32_e32 8, v80
; %bb.954:                              ;   in Loop: Header=BB197_552 Depth=1
	s_delay_alu instid0(VALU_DEP_2) | instskip(NEXT) | instid1(VALU_DEP_1)
	v_clz_i32_u32_e32 v76, v22
	v_min_u32_e32 v76, 32, v76
	s_delay_alu instid0(VALU_DEP_1) | instskip(NEXT) | instid1(VALU_DEP_1)
	v_subrev_nc_u32_e32 v77, 28, v76
	v_lshlrev_b64_e32 v[82:83], v77, v[22:23]
	s_delay_alu instid0(VALU_DEP_1)
	v_dual_sub_nc_u32 v76, 29, v76 :: v_dual_bitop2_b32 v22, 7, v82 bitop3:0x40
; %bb.955:                              ;   in Loop: Header=BB197_552 Depth=1
	s_or_b32 exec_lo, exec_lo, s17
	s_delay_alu instid0(VALU_DEP_1) | instskip(NEXT) | instid1(VALU_DEP_2)
	v_dual_lshlrev_b32 v77, 24, v81 :: v_dual_lshlrev_b32 v22, 20, v22
	v_lshl_add_u32 v76, v76, 23, 0x3c000000
	s_delay_alu instid0(VALU_DEP_2) | instskip(NEXT) | instid1(VALU_DEP_1)
	v_and_b32_e32 v77, 0x80000000, v77
	v_or3_b32 v77, v22, v77, v76
	v_mov_b32_e32 v76, v23
.LBB197_956:                            ;   in Loop: Header=BB197_552 Depth=1
	s_or_b32 exec_lo, exec_lo, s16
.LBB197_957:                            ;   in Loop: Header=BB197_552 Depth=1
	s_delay_alu instid0(SALU_CYCLE_1)
	s_or_b32 exec_lo, exec_lo, s15
.LBB197_958:                            ;   in Loop: Header=BB197_552 Depth=1
	s_delay_alu instid0(SALU_CYCLE_1)
	s_or_b32 exec_lo, exec_lo, s14
	v_mov_b64_e32 v[80:81], s[4:5]
	v_or_b32_e32 v73, v73, v75
	v_or_b32_e32 v72, v72, v74
	;; [unrolled: 1-line block ×4, first 2 shown]
	s_delay_alu instid0(VALU_DEP_3) | instskip(NEXT) | instid1(VALU_DEP_2)
	v_pk_mul_f32 v[74:75], v[80:81], v[72:73]
	v_pk_mul_f32 v[72:73], v[80:81], v[76:77]
	s_and_saveexec_b32 s14, vcc_lo
	s_cbranch_execz .LBB197_960
; %bb.959:                              ;   in Loop: Header=BB197_552 Depth=1
	v_cmp_gt_i32_e64 s0, s25, v98
	s_delay_alu instid0(VALU_DEP_1) | instskip(SKIP_1) | instid1(VALU_DEP_1)
	v_cndmask_b32_e64 v74, 0, v74, s0
	v_cmp_gt_i32_e64 s0, s25, v101
	v_cndmask_b32_e64 v75, 0, v75, s0
	v_cmp_gt_i32_e64 s0, s25, v93
	s_delay_alu instid0(VALU_DEP_1) | instskip(SKIP_1) | instid1(VALU_DEP_1)
	v_cndmask_b32_e64 v72, 0, v72, s0
	v_cmp_gt_i32_e64 s0, s25, v92
	v_cndmask_b32_e64 v73, 0, v73, s0
.LBB197_960:                            ;   in Loop: Header=BB197_552 Depth=1
	s_or_b32 exec_lo, exec_lo, s14
	global_load_b32 v84, v[32:33], off offset:1536
	v_mov_b64_e32 v[76:77], 0
	v_mov_b64_e32 v[78:79], 0
	s_mov_b32 s14, exec_lo
	s_wait_loadcnt 0x0
	v_and_b32_e32 v22, 0xff, v84
	s_delay_alu instid0(VALU_DEP_1)
	v_cmpx_ne_u16_e32 0, v22
	s_cbranch_execz .LBB197_968
; %bb.961:                              ;   in Loop: Header=BB197_552 Depth=1
	v_mov_b64_e32 v[78:79], 0x80000000
	s_mov_b32 s15, exec_lo
	v_cmpx_ne_u16_e32 0x80, v22
	s_cbranch_execz .LBB197_967
; %bb.962:                              ;   in Loop: Header=BB197_552 Depth=1
	v_mov_b64_e32 v[78:79], 0x7f800001
	v_and_b32_e32 v80, 0x7f, v84
	s_mov_b32 s16, exec_lo
	s_delay_alu instid0(VALU_DEP_1)
	v_cmpx_ne_u32_e32 0x7f, v80
	s_cbranch_execz .LBB197_966
; %bb.963:                              ;   in Loop: Header=BB197_552 Depth=1
	v_and_b32_e32 v22, 7, v84
	v_lshrrev_b32_e32 v78, 3, v80
	s_mov_b32 s17, exec_lo
	v_cmpx_gt_u32_e32 8, v80
; %bb.964:                              ;   in Loop: Header=BB197_552 Depth=1
	s_delay_alu instid0(VALU_DEP_3) | instskip(NEXT) | instid1(VALU_DEP_1)
	v_clz_i32_u32_e32 v78, v22
	v_min_u32_e32 v78, 32, v78
	s_delay_alu instid0(VALU_DEP_1) | instskip(NEXT) | instid1(VALU_DEP_1)
	v_subrev_nc_u32_e32 v79, 28, v78
	v_lshlrev_b64_e32 v[80:81], v79, v[22:23]
	s_delay_alu instid0(VALU_DEP_1)
	v_dual_sub_nc_u32 v78, 29, v78 :: v_dual_bitop2_b32 v22, 7, v80 bitop3:0x40
; %bb.965:                              ;   in Loop: Header=BB197_552 Depth=1
	s_or_b32 exec_lo, exec_lo, s17
	s_delay_alu instid0(VALU_DEP_1) | instskip(NEXT) | instid1(VALU_DEP_2)
	v_dual_lshlrev_b32 v79, 24, v84 :: v_dual_lshlrev_b32 v22, 20, v22
	v_lshl_add_u32 v78, v78, 23, 0x3c000000
	s_delay_alu instid0(VALU_DEP_2) | instskip(NEXT) | instid1(VALU_DEP_1)
	v_and_b32_e32 v79, 0x80000000, v79
	v_or3_b32 v22, v22, v79, v78
	s_delay_alu instid0(VALU_DEP_1)
	v_mov_b64_e32 v[78:79], v[22:23]
.LBB197_966:                            ;   in Loop: Header=BB197_552 Depth=1
	s_or_b32 exec_lo, exec_lo, s16
.LBB197_967:                            ;   in Loop: Header=BB197_552 Depth=1
	s_delay_alu instid0(SALU_CYCLE_1)
	s_or_b32 exec_lo, exec_lo, s15
.LBB197_968:                            ;   in Loop: Header=BB197_552 Depth=1
	s_delay_alu instid0(SALU_CYCLE_1) | instskip(SKIP_2) | instid1(VALU_DEP_1)
	s_or_b32 exec_lo, exec_lo, s14
	v_lshrrev_b16 v22, 8, v84
	s_mov_b32 s14, exec_lo
	v_cmpx_ne_u16_e32 0, v22
	s_cbranch_execz .LBB197_976
; %bb.969:                              ;   in Loop: Header=BB197_552 Depth=1
	v_mov_b64_e32 v[76:77], 0x8000000000000000
	s_mov_b32 s15, exec_lo
	v_cmpx_ne_u16_e32 0x80, v22
	s_cbranch_execz .LBB197_975
; %bb.970:                              ;   in Loop: Header=BB197_552 Depth=1
	v_and_b32_e32 v22, 0xffff, v22
	v_mov_b64_e32 v[76:77], 0x7f80000100000000
	s_mov_b32 s16, exec_lo
	s_delay_alu instid0(VALU_DEP_2) | instskip(NEXT) | instid1(VALU_DEP_1)
	v_and_b32_e32 v80, 0x7f, v22
	v_cmpx_ne_u32_e32 0x7f, v80
	s_cbranch_execz .LBB197_974
; %bb.971:                              ;   in Loop: Header=BB197_552 Depth=1
	v_dual_lshrrev_b32 v76, 3, v80 :: v_dual_bitop2_b32 v22, 7, v22 bitop3:0x40
	s_mov_b32 s17, exec_lo
	v_cmpx_gt_u32_e32 8, v80
; %bb.972:                              ;   in Loop: Header=BB197_552 Depth=1
	s_delay_alu instid0(VALU_DEP_2) | instskip(NEXT) | instid1(VALU_DEP_1)
	v_clz_i32_u32_e32 v76, v22
	v_min_u32_e32 v76, 32, v76
	s_delay_alu instid0(VALU_DEP_1) | instskip(SKIP_1) | instid1(VALU_DEP_2)
	v_subrev_nc_u32_e32 v77, 28, v76
	v_sub_nc_u32_e32 v76, 29, v76
	v_lshlrev_b64_e32 v[80:81], v77, v[22:23]
	s_delay_alu instid0(VALU_DEP_1)
	v_and_b32_e32 v22, 7, v80
; %bb.973:                              ;   in Loop: Header=BB197_552 Depth=1
	s_or_b32 exec_lo, exec_lo, s17
	s_delay_alu instid0(VALU_DEP_1) | instskip(SKIP_1) | instid1(VALU_DEP_2)
	v_dual_lshlrev_b32 v77, 16, v84 :: v_dual_lshlrev_b32 v22, 20, v22
	v_lshl_add_u32 v76, v76, 23, 0x3c000000
	v_and_b32_e32 v77, 0x80000000, v77
	s_delay_alu instid0(VALU_DEP_1)
	v_or3_b32 v77, v22, v77, v76
	v_mov_b32_e32 v76, v23
.LBB197_974:                            ;   in Loop: Header=BB197_552 Depth=1
	s_or_b32 exec_lo, exec_lo, s16
.LBB197_975:                            ;   in Loop: Header=BB197_552 Depth=1
	s_delay_alu instid0(SALU_CYCLE_1)
	s_or_b32 exec_lo, exec_lo, s15
.LBB197_976:                            ;   in Loop: Header=BB197_552 Depth=1
	s_delay_alu instid0(SALU_CYCLE_1) | instskip(SKIP_4) | instid1(VALU_DEP_3)
	s_or_b32 exec_lo, exec_lo, s14
	v_lshrrev_b32_e32 v85, 16, v84
	v_mov_b64_e32 v[80:81], 0
	v_mov_b64_e32 v[82:83], 0
	s_mov_b32 s14, exec_lo
	v_and_b32_e32 v22, 0xff, v85
	s_delay_alu instid0(VALU_DEP_1)
	v_cmpx_ne_u16_e32 0, v22
	s_cbranch_execz .LBB197_984
; %bb.977:                              ;   in Loop: Header=BB197_552 Depth=1
	v_mov_b64_e32 v[82:83], 0x80000000
	s_mov_b32 s15, exec_lo
	v_cmpx_ne_u16_e32 0x80, v22
	s_cbranch_execz .LBB197_983
; %bb.978:                              ;   in Loop: Header=BB197_552 Depth=1
	v_mov_b64_e32 v[82:83], 0x7f800001
	v_bfe_u32 v86, v84, 16, 7
	s_mov_b32 s16, exec_lo
	s_delay_alu instid0(VALU_DEP_1)
	v_cmpx_ne_u32_e32 0x7f, v86
	s_cbranch_execz .LBB197_982
; %bb.979:                              ;   in Loop: Header=BB197_552 Depth=1
	v_dual_lshrrev_b32 v82, 3, v86 :: v_dual_bitop2_b32 v22, 7, v85 bitop3:0x40
	s_mov_b32 s17, exec_lo
	v_cmpx_gt_u32_e32 8, v86
; %bb.980:                              ;   in Loop: Header=BB197_552 Depth=1
	s_delay_alu instid0(VALU_DEP_2) | instskip(NEXT) | instid1(VALU_DEP_1)
	v_clz_i32_u32_e32 v82, v22
	v_min_u32_e32 v82, 32, v82
	s_delay_alu instid0(VALU_DEP_1) | instskip(SKIP_1) | instid1(VALU_DEP_2)
	v_subrev_nc_u32_e32 v83, 28, v82
	v_sub_nc_u32_e32 v82, 29, v82
	v_lshlrev_b64_e32 v[86:87], v83, v[22:23]
	s_delay_alu instid0(VALU_DEP_1)
	v_and_b32_e32 v22, 7, v86
; %bb.981:                              ;   in Loop: Header=BB197_552 Depth=1
	s_or_b32 exec_lo, exec_lo, s17
	s_delay_alu instid0(VALU_DEP_1) | instskip(SKIP_1) | instid1(VALU_DEP_2)
	v_dual_lshlrev_b32 v83, 24, v85 :: v_dual_lshlrev_b32 v22, 20, v22
	v_lshl_add_u32 v82, v82, 23, 0x3c000000
	v_and_b32_e32 v83, 0x80000000, v83
	s_delay_alu instid0(VALU_DEP_1) | instskip(NEXT) | instid1(VALU_DEP_1)
	v_or3_b32 v22, v22, v83, v82
	v_mov_b64_e32 v[82:83], v[22:23]
.LBB197_982:                            ;   in Loop: Header=BB197_552 Depth=1
	s_or_b32 exec_lo, exec_lo, s16
.LBB197_983:                            ;   in Loop: Header=BB197_552 Depth=1
	s_delay_alu instid0(SALU_CYCLE_1)
	s_or_b32 exec_lo, exec_lo, s15
.LBB197_984:                            ;   in Loop: Header=BB197_552 Depth=1
	s_delay_alu instid0(SALU_CYCLE_1) | instskip(NEXT) | instid1(SALU_CYCLE_1)
	s_or_b32 exec_lo, exec_lo, s14
	s_mov_b32 s14, exec_lo
	v_cmpx_lt_u32_e32 0xffffff, v84
	s_cbranch_execz .LBB197_992
; %bb.985:                              ;   in Loop: Header=BB197_552 Depth=1
	v_mov_b64_e32 v[80:81], 0x8000000000000000
	v_lshrrev_b32_e32 v85, 24, v84
	s_mov_b32 s15, exec_lo
	s_delay_alu instid0(VALU_DEP_1)
	v_cmpx_ne_u32_e32 0x80, v85
	s_cbranch_execz .LBB197_991
; %bb.986:                              ;   in Loop: Header=BB197_552 Depth=1
	v_mov_b64_e32 v[80:81], 0x7f80000100000000
	v_bfe_u32 v84, v84, 24, 7
	s_mov_b32 s16, exec_lo
	s_delay_alu instid0(VALU_DEP_1)
	v_cmpx_ne_u32_e32 0x7f, v84
	s_cbranch_execz .LBB197_990
; %bb.987:                              ;   in Loop: Header=BB197_552 Depth=1
	v_dual_lshrrev_b32 v80, 3, v84 :: v_dual_bitop2_b32 v22, 7, v85 bitop3:0x40
	s_mov_b32 s17, exec_lo
	v_cmpx_gt_u32_e32 8, v84
; %bb.988:                              ;   in Loop: Header=BB197_552 Depth=1
	s_delay_alu instid0(VALU_DEP_2) | instskip(NEXT) | instid1(VALU_DEP_1)
	v_clz_i32_u32_e32 v80, v22
	v_min_u32_e32 v80, 32, v80
	s_delay_alu instid0(VALU_DEP_1) | instskip(NEXT) | instid1(VALU_DEP_1)
	v_subrev_nc_u32_e32 v81, 28, v80
	v_lshlrev_b64_e32 v[86:87], v81, v[22:23]
	s_delay_alu instid0(VALU_DEP_1)
	v_dual_sub_nc_u32 v80, 29, v80 :: v_dual_bitop2_b32 v22, 7, v86 bitop3:0x40
; %bb.989:                              ;   in Loop: Header=BB197_552 Depth=1
	s_or_b32 exec_lo, exec_lo, s17
	s_delay_alu instid0(VALU_DEP_1) | instskip(NEXT) | instid1(VALU_DEP_2)
	v_dual_lshlrev_b32 v81, 24, v85 :: v_dual_lshlrev_b32 v22, 20, v22
	v_lshl_add_u32 v80, v80, 23, 0x3c000000
	s_delay_alu instid0(VALU_DEP_2) | instskip(NEXT) | instid1(VALU_DEP_1)
	v_and_b32_e32 v81, 0x80000000, v81
	v_or3_b32 v81, v22, v81, v80
	v_mov_b32_e32 v80, v23
.LBB197_990:                            ;   in Loop: Header=BB197_552 Depth=1
	s_or_b32 exec_lo, exec_lo, s16
.LBB197_991:                            ;   in Loop: Header=BB197_552 Depth=1
	s_delay_alu instid0(SALU_CYCLE_1)
	s_or_b32 exec_lo, exec_lo, s15
.LBB197_992:                            ;   in Loop: Header=BB197_552 Depth=1
	s_delay_alu instid0(SALU_CYCLE_1)
	s_or_b32 exec_lo, exec_lo, s14
	v_mov_b64_e32 v[84:85], s[4:5]
	v_or_b32_e32 v77, v77, v79
	v_or_b32_e32 v76, v76, v78
	;; [unrolled: 1-line block ×4, first 2 shown]
	s_delay_alu instid0(VALU_DEP_3) | instskip(NEXT) | instid1(VALU_DEP_2)
	v_pk_mul_f32 v[78:79], v[84:85], v[76:77]
	v_pk_mul_f32 v[76:77], v[84:85], v[80:81]
	s_and_saveexec_b32 s14, vcc_lo
	s_cbranch_execz .LBB197_994
; %bb.993:                              ;   in Loop: Header=BB197_552 Depth=1
	v_cmp_gt_i32_e64 s0, s25, v98
	s_delay_alu instid0(VALU_DEP_1) | instskip(SKIP_1) | instid1(VALU_DEP_1)
	v_cndmask_b32_e64 v78, 0, v78, s0
	v_cmp_gt_i32_e64 s0, s25, v101
	v_cndmask_b32_e64 v79, 0, v79, s0
	v_cmp_gt_i32_e64 s0, s25, v93
	s_delay_alu instid0(VALU_DEP_1) | instskip(SKIP_1) | instid1(VALU_DEP_1)
	v_cndmask_b32_e64 v76, 0, v76, s0
	v_cmp_gt_i32_e64 s0, s25, v92
	v_cndmask_b32_e64 v77, 0, v77, s0
.LBB197_994:                            ;   in Loop: Header=BB197_552 Depth=1
	s_or_b32 exec_lo, exec_lo, s14
	global_load_b32 v88, v[32:33], off offset:1664
	v_mov_b64_e32 v[80:81], 0
	v_mov_b64_e32 v[82:83], 0
	s_mov_b32 s14, exec_lo
	s_wait_loadcnt 0x0
	v_and_b32_e32 v22, 0xff, v88
	s_delay_alu instid0(VALU_DEP_1)
	v_cmpx_ne_u16_e32 0, v22
	s_cbranch_execz .LBB197_1002
; %bb.995:                              ;   in Loop: Header=BB197_552 Depth=1
	v_mov_b64_e32 v[82:83], 0x80000000
	s_mov_b32 s15, exec_lo
	v_cmpx_ne_u16_e32 0x80, v22
	s_cbranch_execz .LBB197_1001
; %bb.996:                              ;   in Loop: Header=BB197_552 Depth=1
	v_mov_b64_e32 v[82:83], 0x7f800001
	v_and_b32_e32 v84, 0x7f, v88
	s_mov_b32 s16, exec_lo
	s_delay_alu instid0(VALU_DEP_1)
	v_cmpx_ne_u32_e32 0x7f, v84
	s_cbranch_execz .LBB197_1000
; %bb.997:                              ;   in Loop: Header=BB197_552 Depth=1
	v_and_b32_e32 v22, 7, v88
	v_lshrrev_b32_e32 v82, 3, v84
	s_mov_b32 s17, exec_lo
	v_cmpx_gt_u32_e32 8, v84
; %bb.998:                              ;   in Loop: Header=BB197_552 Depth=1
	s_delay_alu instid0(VALU_DEP_3) | instskip(NEXT) | instid1(VALU_DEP_1)
	v_clz_i32_u32_e32 v82, v22
	v_min_u32_e32 v82, 32, v82
	s_delay_alu instid0(VALU_DEP_1) | instskip(NEXT) | instid1(VALU_DEP_1)
	v_subrev_nc_u32_e32 v83, 28, v82
	v_lshlrev_b64_e32 v[84:85], v83, v[22:23]
	s_delay_alu instid0(VALU_DEP_1)
	v_dual_sub_nc_u32 v82, 29, v82 :: v_dual_bitop2_b32 v22, 7, v84 bitop3:0x40
; %bb.999:                              ;   in Loop: Header=BB197_552 Depth=1
	s_or_b32 exec_lo, exec_lo, s17
	s_delay_alu instid0(VALU_DEP_1) | instskip(NEXT) | instid1(VALU_DEP_2)
	v_dual_lshlrev_b32 v83, 24, v88 :: v_dual_lshlrev_b32 v22, 20, v22
	v_lshl_add_u32 v82, v82, 23, 0x3c000000
	s_delay_alu instid0(VALU_DEP_2) | instskip(NEXT) | instid1(VALU_DEP_1)
	v_and_b32_e32 v83, 0x80000000, v83
	v_or3_b32 v22, v22, v83, v82
	s_delay_alu instid0(VALU_DEP_1)
	v_mov_b64_e32 v[82:83], v[22:23]
.LBB197_1000:                           ;   in Loop: Header=BB197_552 Depth=1
	s_or_b32 exec_lo, exec_lo, s16
.LBB197_1001:                           ;   in Loop: Header=BB197_552 Depth=1
	s_delay_alu instid0(SALU_CYCLE_1)
	s_or_b32 exec_lo, exec_lo, s15
.LBB197_1002:                           ;   in Loop: Header=BB197_552 Depth=1
	s_delay_alu instid0(SALU_CYCLE_1) | instskip(SKIP_2) | instid1(VALU_DEP_1)
	s_or_b32 exec_lo, exec_lo, s14
	v_lshrrev_b16 v22, 8, v88
	s_mov_b32 s14, exec_lo
	v_cmpx_ne_u16_e32 0, v22
	s_cbranch_execz .LBB197_1010
; %bb.1003:                             ;   in Loop: Header=BB197_552 Depth=1
	v_mov_b64_e32 v[80:81], 0x8000000000000000
	s_mov_b32 s15, exec_lo
	v_cmpx_ne_u16_e32 0x80, v22
	s_cbranch_execz .LBB197_1009
; %bb.1004:                             ;   in Loop: Header=BB197_552 Depth=1
	v_and_b32_e32 v22, 0xffff, v22
	v_mov_b64_e32 v[80:81], 0x7f80000100000000
	s_mov_b32 s16, exec_lo
	s_delay_alu instid0(VALU_DEP_2) | instskip(NEXT) | instid1(VALU_DEP_1)
	v_and_b32_e32 v84, 0x7f, v22
	v_cmpx_ne_u32_e32 0x7f, v84
	s_cbranch_execz .LBB197_1008
; %bb.1005:                             ;   in Loop: Header=BB197_552 Depth=1
	v_dual_lshrrev_b32 v80, 3, v84 :: v_dual_bitop2_b32 v22, 7, v22 bitop3:0x40
	s_mov_b32 s17, exec_lo
	v_cmpx_gt_u32_e32 8, v84
; %bb.1006:                             ;   in Loop: Header=BB197_552 Depth=1
	s_delay_alu instid0(VALU_DEP_2) | instskip(NEXT) | instid1(VALU_DEP_1)
	v_clz_i32_u32_e32 v80, v22
	v_min_u32_e32 v80, 32, v80
	s_delay_alu instid0(VALU_DEP_1) | instskip(SKIP_1) | instid1(VALU_DEP_2)
	v_subrev_nc_u32_e32 v81, 28, v80
	v_sub_nc_u32_e32 v80, 29, v80
	v_lshlrev_b64_e32 v[84:85], v81, v[22:23]
	s_delay_alu instid0(VALU_DEP_1)
	v_and_b32_e32 v22, 7, v84
; %bb.1007:                             ;   in Loop: Header=BB197_552 Depth=1
	s_or_b32 exec_lo, exec_lo, s17
	s_delay_alu instid0(VALU_DEP_1) | instskip(SKIP_1) | instid1(VALU_DEP_2)
	v_dual_lshlrev_b32 v81, 16, v88 :: v_dual_lshlrev_b32 v22, 20, v22
	v_lshl_add_u32 v80, v80, 23, 0x3c000000
	v_and_b32_e32 v81, 0x80000000, v81
	s_delay_alu instid0(VALU_DEP_1)
	v_or3_b32 v81, v22, v81, v80
	v_mov_b32_e32 v80, v23
.LBB197_1008:                           ;   in Loop: Header=BB197_552 Depth=1
	s_or_b32 exec_lo, exec_lo, s16
.LBB197_1009:                           ;   in Loop: Header=BB197_552 Depth=1
	s_delay_alu instid0(SALU_CYCLE_1)
	s_or_b32 exec_lo, exec_lo, s15
.LBB197_1010:                           ;   in Loop: Header=BB197_552 Depth=1
	s_delay_alu instid0(SALU_CYCLE_1) | instskip(SKIP_4) | instid1(VALU_DEP_3)
	s_or_b32 exec_lo, exec_lo, s14
	v_lshrrev_b32_e32 v89, 16, v88
	v_mov_b64_e32 v[84:85], 0
	v_mov_b64_e32 v[86:87], 0
	s_mov_b32 s14, exec_lo
	v_and_b32_e32 v22, 0xff, v89
	s_delay_alu instid0(VALU_DEP_1)
	v_cmpx_ne_u16_e32 0, v22
	s_cbranch_execz .LBB197_1018
; %bb.1011:                             ;   in Loop: Header=BB197_552 Depth=1
	v_mov_b64_e32 v[86:87], 0x80000000
	s_mov_b32 s15, exec_lo
	v_cmpx_ne_u16_e32 0x80, v22
	s_cbranch_execz .LBB197_1017
; %bb.1012:                             ;   in Loop: Header=BB197_552 Depth=1
	v_mov_b64_e32 v[86:87], 0x7f800001
	v_bfe_u32 v90, v88, 16, 7
	s_mov_b32 s16, exec_lo
	s_delay_alu instid0(VALU_DEP_1)
	v_cmpx_ne_u32_e32 0x7f, v90
	s_cbranch_execz .LBB197_1016
; %bb.1013:                             ;   in Loop: Header=BB197_552 Depth=1
	v_dual_lshrrev_b32 v86, 3, v90 :: v_dual_bitop2_b32 v22, 7, v89 bitop3:0x40
	s_mov_b32 s17, exec_lo
	v_cmpx_gt_u32_e32 8, v90
; %bb.1014:                             ;   in Loop: Header=BB197_552 Depth=1
	s_delay_alu instid0(VALU_DEP_2) | instskip(NEXT) | instid1(VALU_DEP_1)
	v_clz_i32_u32_e32 v86, v22
	v_min_u32_e32 v86, 32, v86
	s_delay_alu instid0(VALU_DEP_1) | instskip(SKIP_1) | instid1(VALU_DEP_2)
	v_subrev_nc_u32_e32 v87, 28, v86
	v_sub_nc_u32_e32 v86, 29, v86
	v_lshlrev_b64_e32 v[90:91], v87, v[22:23]
	s_delay_alu instid0(VALU_DEP_1)
	v_and_b32_e32 v22, 7, v90
; %bb.1015:                             ;   in Loop: Header=BB197_552 Depth=1
	s_or_b32 exec_lo, exec_lo, s17
	s_delay_alu instid0(VALU_DEP_1) | instskip(SKIP_1) | instid1(VALU_DEP_2)
	v_dual_lshlrev_b32 v87, 24, v89 :: v_dual_lshlrev_b32 v22, 20, v22
	v_lshl_add_u32 v86, v86, 23, 0x3c000000
	v_and_b32_e32 v87, 0x80000000, v87
	s_delay_alu instid0(VALU_DEP_1) | instskip(NEXT) | instid1(VALU_DEP_1)
	v_or3_b32 v22, v22, v87, v86
	v_mov_b64_e32 v[86:87], v[22:23]
.LBB197_1016:                           ;   in Loop: Header=BB197_552 Depth=1
	s_or_b32 exec_lo, exec_lo, s16
.LBB197_1017:                           ;   in Loop: Header=BB197_552 Depth=1
	s_delay_alu instid0(SALU_CYCLE_1)
	s_or_b32 exec_lo, exec_lo, s15
.LBB197_1018:                           ;   in Loop: Header=BB197_552 Depth=1
	s_delay_alu instid0(SALU_CYCLE_1) | instskip(NEXT) | instid1(SALU_CYCLE_1)
	s_or_b32 exec_lo, exec_lo, s14
	s_mov_b32 s14, exec_lo
	v_cmpx_lt_u32_e32 0xffffff, v88
	s_cbranch_execz .LBB197_1026
; %bb.1019:                             ;   in Loop: Header=BB197_552 Depth=1
	v_mov_b64_e32 v[84:85], 0x8000000000000000
	v_lshrrev_b32_e32 v89, 24, v88
	s_mov_b32 s15, exec_lo
	s_delay_alu instid0(VALU_DEP_1)
	v_cmpx_ne_u32_e32 0x80, v89
	s_cbranch_execz .LBB197_1025
; %bb.1020:                             ;   in Loop: Header=BB197_552 Depth=1
	v_mov_b64_e32 v[84:85], 0x7f80000100000000
	v_bfe_u32 v88, v88, 24, 7
	s_mov_b32 s16, exec_lo
	s_delay_alu instid0(VALU_DEP_1)
	v_cmpx_ne_u32_e32 0x7f, v88
	s_cbranch_execz .LBB197_1024
; %bb.1021:                             ;   in Loop: Header=BB197_552 Depth=1
	v_dual_lshrrev_b32 v84, 3, v88 :: v_dual_bitop2_b32 v22, 7, v89 bitop3:0x40
	s_mov_b32 s17, exec_lo
	v_cmpx_gt_u32_e32 8, v88
; %bb.1022:                             ;   in Loop: Header=BB197_552 Depth=1
	s_delay_alu instid0(VALU_DEP_2) | instskip(NEXT) | instid1(VALU_DEP_1)
	v_clz_i32_u32_e32 v84, v22
	v_min_u32_e32 v84, 32, v84
	s_delay_alu instid0(VALU_DEP_1) | instskip(NEXT) | instid1(VALU_DEP_1)
	v_subrev_nc_u32_e32 v85, 28, v84
	v_lshlrev_b64_e32 v[90:91], v85, v[22:23]
	s_delay_alu instid0(VALU_DEP_1)
	v_dual_sub_nc_u32 v84, 29, v84 :: v_dual_bitop2_b32 v22, 7, v90 bitop3:0x40
; %bb.1023:                             ;   in Loop: Header=BB197_552 Depth=1
	s_or_b32 exec_lo, exec_lo, s17
	s_delay_alu instid0(VALU_DEP_1) | instskip(NEXT) | instid1(VALU_DEP_2)
	v_dual_lshlrev_b32 v85, 24, v89 :: v_dual_lshlrev_b32 v22, 20, v22
	v_lshl_add_u32 v84, v84, 23, 0x3c000000
	s_delay_alu instid0(VALU_DEP_2) | instskip(NEXT) | instid1(VALU_DEP_1)
	v_and_b32_e32 v85, 0x80000000, v85
	v_or3_b32 v85, v22, v85, v84
	v_mov_b32_e32 v84, v23
.LBB197_1024:                           ;   in Loop: Header=BB197_552 Depth=1
	s_or_b32 exec_lo, exec_lo, s16
.LBB197_1025:                           ;   in Loop: Header=BB197_552 Depth=1
	s_delay_alu instid0(SALU_CYCLE_1)
	s_or_b32 exec_lo, exec_lo, s15
.LBB197_1026:                           ;   in Loop: Header=BB197_552 Depth=1
	s_delay_alu instid0(SALU_CYCLE_1)
	s_or_b32 exec_lo, exec_lo, s14
	v_mov_b64_e32 v[88:89], s[4:5]
	v_or_b32_e32 v81, v81, v83
	v_or_b32_e32 v80, v80, v82
	;; [unrolled: 1-line block ×4, first 2 shown]
	s_delay_alu instid0(VALU_DEP_3) | instskip(NEXT) | instid1(VALU_DEP_2)
	v_pk_mul_f32 v[82:83], v[88:89], v[80:81]
	v_pk_mul_f32 v[80:81], v[88:89], v[84:85]
	s_and_saveexec_b32 s14, vcc_lo
	s_cbranch_execz .LBB197_1028
; %bb.1027:                             ;   in Loop: Header=BB197_552 Depth=1
	v_cmp_gt_i32_e64 s0, s25, v98
	s_delay_alu instid0(VALU_DEP_1) | instskip(SKIP_1) | instid1(VALU_DEP_1)
	v_cndmask_b32_e64 v82, 0, v82, s0
	v_cmp_gt_i32_e64 s0, s25, v101
	v_cndmask_b32_e64 v83, 0, v83, s0
	v_cmp_gt_i32_e64 s0, s25, v93
	s_delay_alu instid0(VALU_DEP_1) | instskip(SKIP_1) | instid1(VALU_DEP_1)
	v_cndmask_b32_e64 v80, 0, v80, s0
	v_cmp_gt_i32_e64 s0, s25, v92
	v_cndmask_b32_e64 v81, 0, v81, s0
.LBB197_1028:                           ;   in Loop: Header=BB197_552 Depth=1
	s_or_b32 exec_lo, exec_lo, s14
	global_load_b32 v102, v[32:33], off offset:1792
	v_mov_b64_e32 v[84:85], 0
	v_mov_b64_e32 v[86:87], 0
	s_mov_b32 s14, exec_lo
	s_wait_loadcnt 0x0
	v_and_b32_e32 v22, 0xff, v102
	s_delay_alu instid0(VALU_DEP_1)
	v_cmpx_ne_u16_e32 0, v22
	s_cbranch_execz .LBB197_1036
; %bb.1029:                             ;   in Loop: Header=BB197_552 Depth=1
	v_mov_b64_e32 v[86:87], 0x80000000
	s_mov_b32 s15, exec_lo
	v_cmpx_ne_u16_e32 0x80, v22
	s_cbranch_execz .LBB197_1035
; %bb.1030:                             ;   in Loop: Header=BB197_552 Depth=1
	v_mov_b64_e32 v[86:87], 0x7f800001
	v_and_b32_e32 v88, 0x7f, v102
	s_mov_b32 s16, exec_lo
	s_delay_alu instid0(VALU_DEP_1)
	v_cmpx_ne_u32_e32 0x7f, v88
	s_cbranch_execz .LBB197_1034
; %bb.1031:                             ;   in Loop: Header=BB197_552 Depth=1
	v_dual_lshrrev_b32 v86, 3, v88 :: v_dual_bitop2_b32 v22, 7, v102 bitop3:0x40
	s_mov_b32 s17, exec_lo
	v_cmpx_gt_u32_e32 8, v88
; %bb.1032:                             ;   in Loop: Header=BB197_552 Depth=1
	s_delay_alu instid0(VALU_DEP_2) | instskip(NEXT) | instid1(VALU_DEP_1)
	v_clz_i32_u32_e32 v86, v22
	v_min_u32_e32 v86, 32, v86
	s_delay_alu instid0(VALU_DEP_1) | instskip(NEXT) | instid1(VALU_DEP_1)
	v_subrev_nc_u32_e32 v87, 28, v86
	v_lshlrev_b64_e32 v[88:89], v87, v[22:23]
	s_delay_alu instid0(VALU_DEP_1)
	v_dual_sub_nc_u32 v86, 29, v86 :: v_dual_bitop2_b32 v22, 7, v88 bitop3:0x40
; %bb.1033:                             ;   in Loop: Header=BB197_552 Depth=1
	s_or_b32 exec_lo, exec_lo, s17
	v_lshlrev_b32_e32 v87, 24, v102
	s_delay_alu instid0(VALU_DEP_2) | instskip(NEXT) | instid1(VALU_DEP_3)
	v_lshlrev_b32_e32 v22, 20, v22
	v_lshl_add_u32 v86, v86, 23, 0x3c000000
	s_delay_alu instid0(VALU_DEP_3) | instskip(NEXT) | instid1(VALU_DEP_1)
	v_and_b32_e32 v87, 0x80000000, v87
	v_or3_b32 v22, v22, v87, v86
	s_delay_alu instid0(VALU_DEP_1)
	v_mov_b64_e32 v[86:87], v[22:23]
.LBB197_1034:                           ;   in Loop: Header=BB197_552 Depth=1
	s_or_b32 exec_lo, exec_lo, s16
.LBB197_1035:                           ;   in Loop: Header=BB197_552 Depth=1
	s_delay_alu instid0(SALU_CYCLE_1)
	s_or_b32 exec_lo, exec_lo, s15
.LBB197_1036:                           ;   in Loop: Header=BB197_552 Depth=1
	s_delay_alu instid0(SALU_CYCLE_1) | instskip(SKIP_2) | instid1(VALU_DEP_1)
	s_or_b32 exec_lo, exec_lo, s14
	v_lshrrev_b16 v22, 8, v102
	s_mov_b32 s14, exec_lo
	v_cmpx_ne_u16_e32 0, v22
	s_cbranch_execz .LBB197_1044
; %bb.1037:                             ;   in Loop: Header=BB197_552 Depth=1
	v_mov_b64_e32 v[84:85], 0x8000000000000000
	s_mov_b32 s15, exec_lo
	v_cmpx_ne_u16_e32 0x80, v22
	s_cbranch_execz .LBB197_1043
; %bb.1038:                             ;   in Loop: Header=BB197_552 Depth=1
	v_and_b32_e32 v22, 0xffff, v22
	v_mov_b64_e32 v[84:85], 0x7f80000100000000
	s_mov_b32 s16, exec_lo
	s_delay_alu instid0(VALU_DEP_2) | instskip(NEXT) | instid1(VALU_DEP_1)
	v_and_b32_e32 v88, 0x7f, v22
	v_cmpx_ne_u32_e32 0x7f, v88
	s_cbranch_execz .LBB197_1042
; %bb.1039:                             ;   in Loop: Header=BB197_552 Depth=1
	v_dual_lshrrev_b32 v84, 3, v88 :: v_dual_bitop2_b32 v22, 7, v22 bitop3:0x40
	s_mov_b32 s17, exec_lo
	v_cmpx_gt_u32_e32 8, v88
; %bb.1040:                             ;   in Loop: Header=BB197_552 Depth=1
	s_delay_alu instid0(VALU_DEP_2) | instskip(NEXT) | instid1(VALU_DEP_1)
	v_clz_i32_u32_e32 v84, v22
	v_min_u32_e32 v84, 32, v84
	s_delay_alu instid0(VALU_DEP_1) | instskip(SKIP_1) | instid1(VALU_DEP_2)
	v_subrev_nc_u32_e32 v85, 28, v84
	v_sub_nc_u32_e32 v84, 29, v84
	v_lshlrev_b64_e32 v[88:89], v85, v[22:23]
	s_delay_alu instid0(VALU_DEP_1)
	v_and_b32_e32 v22, 7, v88
; %bb.1041:                             ;   in Loop: Header=BB197_552 Depth=1
	s_or_b32 exec_lo, exec_lo, s17
	v_lshlrev_b32_e32 v85, 16, v102
	s_delay_alu instid0(VALU_DEP_2) | instskip(SKIP_1) | instid1(VALU_DEP_3)
	v_lshlrev_b32_e32 v22, 20, v22
	v_lshl_add_u32 v84, v84, 23, 0x3c000000
	v_and_b32_e32 v85, 0x80000000, v85
	s_delay_alu instid0(VALU_DEP_1)
	v_or3_b32 v85, v22, v85, v84
	v_mov_b32_e32 v84, v23
.LBB197_1042:                           ;   in Loop: Header=BB197_552 Depth=1
	s_or_b32 exec_lo, exec_lo, s16
.LBB197_1043:                           ;   in Loop: Header=BB197_552 Depth=1
	s_delay_alu instid0(SALU_CYCLE_1)
	s_or_b32 exec_lo, exec_lo, s15
.LBB197_1044:                           ;   in Loop: Header=BB197_552 Depth=1
	s_delay_alu instid0(SALU_CYCLE_1) | instskip(SKIP_4) | instid1(VALU_DEP_3)
	s_or_b32 exec_lo, exec_lo, s14
	v_lshrrev_b32_e32 v103, 16, v102
	v_mov_b64_e32 v[88:89], 0
	v_mov_b64_e32 v[90:91], 0
	s_mov_b32 s14, exec_lo
	v_and_b32_e32 v22, 0xff, v103
	s_delay_alu instid0(VALU_DEP_1)
	v_cmpx_ne_u16_e32 0, v22
	s_cbranch_execz .LBB197_1052
; %bb.1045:                             ;   in Loop: Header=BB197_552 Depth=1
	v_mov_b64_e32 v[90:91], 0x80000000
	s_mov_b32 s15, exec_lo
	v_cmpx_ne_u16_e32 0x80, v22
	s_cbranch_execz .LBB197_1051
; %bb.1046:                             ;   in Loop: Header=BB197_552 Depth=1
	v_mov_b64_e32 v[90:91], 0x7f800001
	v_bfe_u32 v104, v102, 16, 7
	s_mov_b32 s16, exec_lo
	s_delay_alu instid0(VALU_DEP_1)
	v_cmpx_ne_u32_e32 0x7f, v104
	s_cbranch_execz .LBB197_1050
; %bb.1047:                             ;   in Loop: Header=BB197_552 Depth=1
	v_dual_lshrrev_b32 v90, 3, v104 :: v_dual_bitop2_b32 v22, 7, v103 bitop3:0x40
	s_mov_b32 s17, exec_lo
	v_cmpx_gt_u32_e32 8, v104
; %bb.1048:                             ;   in Loop: Header=BB197_552 Depth=1
	s_delay_alu instid0(VALU_DEP_2) | instskip(NEXT) | instid1(VALU_DEP_1)
	v_clz_i32_u32_e32 v90, v22
	v_min_u32_e32 v90, 32, v90
	s_delay_alu instid0(VALU_DEP_1) | instskip(NEXT) | instid1(VALU_DEP_1)
	v_subrev_nc_u32_e32 v91, 28, v90
	v_lshlrev_b64_e32 v[104:105], v91, v[22:23]
	s_delay_alu instid0(VALU_DEP_1)
	v_dual_sub_nc_u32 v90, 29, v90 :: v_dual_bitop2_b32 v22, 7, v104 bitop3:0x40
; %bb.1049:                             ;   in Loop: Header=BB197_552 Depth=1
	s_or_b32 exec_lo, exec_lo, s17
	s_delay_alu instid0(VALU_DEP_1) | instskip(NEXT) | instid1(VALU_DEP_2)
	v_dual_lshlrev_b32 v91, 24, v103 :: v_dual_lshlrev_b32 v22, 20, v22
	v_lshl_add_u32 v90, v90, 23, 0x3c000000
	s_delay_alu instid0(VALU_DEP_2) | instskip(NEXT) | instid1(VALU_DEP_1)
	v_and_b32_e32 v91, 0x80000000, v91
	v_or3_b32 v22, v22, v91, v90
	s_delay_alu instid0(VALU_DEP_1)
	v_mov_b64_e32 v[90:91], v[22:23]
.LBB197_1050:                           ;   in Loop: Header=BB197_552 Depth=1
	s_or_b32 exec_lo, exec_lo, s16
.LBB197_1051:                           ;   in Loop: Header=BB197_552 Depth=1
	s_delay_alu instid0(SALU_CYCLE_1)
	s_or_b32 exec_lo, exec_lo, s15
.LBB197_1052:                           ;   in Loop: Header=BB197_552 Depth=1
	s_delay_alu instid0(SALU_CYCLE_1) | instskip(NEXT) | instid1(SALU_CYCLE_1)
	s_or_b32 exec_lo, exec_lo, s14
	s_mov_b32 s14, exec_lo
	v_cmpx_lt_u32_e32 0xffffff, v102
	s_cbranch_execz .LBB197_1060
; %bb.1053:                             ;   in Loop: Header=BB197_552 Depth=1
	v_mov_b64_e32 v[88:89], 0x8000000000000000
	v_lshrrev_b32_e32 v103, 24, v102
	s_mov_b32 s15, exec_lo
	s_delay_alu instid0(VALU_DEP_1)
	v_cmpx_ne_u32_e32 0x80, v103
	s_cbranch_execz .LBB197_1059
; %bb.1054:                             ;   in Loop: Header=BB197_552 Depth=1
	v_mov_b64_e32 v[88:89], 0x7f80000100000000
	v_bfe_u32 v102, v102, 24, 7
	s_mov_b32 s16, exec_lo
	s_delay_alu instid0(VALU_DEP_1)
	v_cmpx_ne_u32_e32 0x7f, v102
	s_cbranch_execz .LBB197_1058
; %bb.1055:                             ;   in Loop: Header=BB197_552 Depth=1
	v_dual_lshrrev_b32 v88, 3, v102 :: v_dual_bitop2_b32 v22, 7, v103 bitop3:0x40
	s_mov_b32 s17, exec_lo
	v_cmpx_gt_u32_e32 8, v102
; %bb.1056:                             ;   in Loop: Header=BB197_552 Depth=1
	s_delay_alu instid0(VALU_DEP_2) | instskip(NEXT) | instid1(VALU_DEP_1)
	v_clz_i32_u32_e32 v88, v22
	v_min_u32_e32 v88, 32, v88
	s_delay_alu instid0(VALU_DEP_1) | instskip(SKIP_1) | instid1(VALU_DEP_2)
	v_subrev_nc_u32_e32 v89, 28, v88
	v_sub_nc_u32_e32 v88, 29, v88
	v_lshlrev_b64_e32 v[104:105], v89, v[22:23]
	s_delay_alu instid0(VALU_DEP_1)
	v_and_b32_e32 v22, 7, v104
; %bb.1057:                             ;   in Loop: Header=BB197_552 Depth=1
	s_or_b32 exec_lo, exec_lo, s17
	s_delay_alu instid0(VALU_DEP_1) | instskip(SKIP_1) | instid1(VALU_DEP_2)
	v_dual_lshlrev_b32 v89, 24, v103 :: v_dual_lshlrev_b32 v22, 20, v22
	v_lshl_add_u32 v88, v88, 23, 0x3c000000
	v_and_b32_e32 v89, 0x80000000, v89
	s_delay_alu instid0(VALU_DEP_1)
	v_or3_b32 v89, v22, v89, v88
	v_mov_b32_e32 v88, v23
.LBB197_1058:                           ;   in Loop: Header=BB197_552 Depth=1
	s_or_b32 exec_lo, exec_lo, s16
.LBB197_1059:                           ;   in Loop: Header=BB197_552 Depth=1
	s_delay_alu instid0(SALU_CYCLE_1)
	s_or_b32 exec_lo, exec_lo, s15
.LBB197_1060:                           ;   in Loop: Header=BB197_552 Depth=1
	s_delay_alu instid0(SALU_CYCLE_1)
	s_or_b32 exec_lo, exec_lo, s14
	v_mov_b64_e32 v[102:103], s[4:5]
	v_or_b32_e32 v85, v85, v87
	v_or_b32_e32 v84, v84, v86
	;; [unrolled: 1-line block ×4, first 2 shown]
	s_delay_alu instid0(VALU_DEP_3) | instskip(NEXT) | instid1(VALU_DEP_2)
	v_pk_mul_f32 v[86:87], v[102:103], v[84:85]
	v_pk_mul_f32 v[84:85], v[102:103], v[88:89]
	s_and_saveexec_b32 s14, vcc_lo
	s_cbranch_execz .LBB197_1062
; %bb.1061:                             ;   in Loop: Header=BB197_552 Depth=1
	v_cmp_gt_i32_e64 s0, s25, v98
	s_delay_alu instid0(VALU_DEP_1) | instskip(SKIP_1) | instid1(VALU_DEP_1)
	v_cndmask_b32_e64 v86, 0, v86, s0
	v_cmp_gt_i32_e64 s0, s25, v101
	v_cndmask_b32_e64 v87, 0, v87, s0
	v_cmp_gt_i32_e64 s0, s25, v93
	s_delay_alu instid0(VALU_DEP_1) | instskip(SKIP_1) | instid1(VALU_DEP_1)
	v_cndmask_b32_e64 v84, 0, v84, s0
	v_cmp_gt_i32_e64 s0, s25, v92
	v_cndmask_b32_e64 v85, 0, v85, s0
.LBB197_1062:                           ;   in Loop: Header=BB197_552 Depth=1
	s_or_b32 exec_lo, exec_lo, s14
	global_load_b32 v102, v[32:33], off offset:1920
	s_wait_xcnt 0x0
	v_mov_b64_e32 v[32:33], 0
	v_mov_b64_e32 v[88:89], 0
	s_mov_b32 s14, exec_lo
	s_wait_loadcnt 0x0
	v_and_b32_e32 v22, 0xff, v102
	s_delay_alu instid0(VALU_DEP_1)
	v_cmpx_ne_u16_e32 0, v22
	s_cbranch_execz .LBB197_1070
; %bb.1063:                             ;   in Loop: Header=BB197_552 Depth=1
	v_mov_b64_e32 v[88:89], 0x80000000
	s_mov_b32 s15, exec_lo
	v_cmpx_ne_u16_e32 0x80, v22
	s_cbranch_execz .LBB197_1069
; %bb.1064:                             ;   in Loop: Header=BB197_552 Depth=1
	v_mov_b64_e32 v[88:89], 0x7f800001
	v_and_b32_e32 v90, 0x7f, v102
	s_mov_b32 s16, exec_lo
	s_delay_alu instid0(VALU_DEP_1)
	v_cmpx_ne_u32_e32 0x7f, v90
	s_cbranch_execz .LBB197_1068
; %bb.1065:                             ;   in Loop: Header=BB197_552 Depth=1
	v_and_b32_e32 v22, 7, v102
	v_lshrrev_b32_e32 v88, 3, v90
	s_mov_b32 s17, exec_lo
	v_cmpx_gt_u32_e32 8, v90
; %bb.1066:                             ;   in Loop: Header=BB197_552 Depth=1
	s_delay_alu instid0(VALU_DEP_3) | instskip(NEXT) | instid1(VALU_DEP_1)
	v_clz_i32_u32_e32 v88, v22
	v_min_u32_e32 v88, 32, v88
	s_delay_alu instid0(VALU_DEP_1) | instskip(NEXT) | instid1(VALU_DEP_1)
	v_subrev_nc_u32_e32 v89, 28, v88
	v_lshlrev_b64_e32 v[90:91], v89, v[22:23]
	s_delay_alu instid0(VALU_DEP_1)
	v_dual_sub_nc_u32 v88, 29, v88 :: v_dual_bitop2_b32 v22, 7, v90 bitop3:0x40
; %bb.1067:                             ;   in Loop: Header=BB197_552 Depth=1
	s_or_b32 exec_lo, exec_lo, s17
	v_lshlrev_b32_e32 v89, 24, v102
	s_delay_alu instid0(VALU_DEP_2) | instskip(NEXT) | instid1(VALU_DEP_3)
	v_lshlrev_b32_e32 v22, 20, v22
	v_lshl_add_u32 v88, v88, 23, 0x3c000000
	s_delay_alu instid0(VALU_DEP_3) | instskip(NEXT) | instid1(VALU_DEP_1)
	v_and_b32_e32 v89, 0x80000000, v89
	v_or3_b32 v22, v22, v89, v88
	s_delay_alu instid0(VALU_DEP_1)
	v_mov_b64_e32 v[88:89], v[22:23]
.LBB197_1068:                           ;   in Loop: Header=BB197_552 Depth=1
	s_or_b32 exec_lo, exec_lo, s16
.LBB197_1069:                           ;   in Loop: Header=BB197_552 Depth=1
	s_delay_alu instid0(SALU_CYCLE_1)
	s_or_b32 exec_lo, exec_lo, s15
.LBB197_1070:                           ;   in Loop: Header=BB197_552 Depth=1
	s_delay_alu instid0(SALU_CYCLE_1) | instskip(SKIP_2) | instid1(VALU_DEP_1)
	s_or_b32 exec_lo, exec_lo, s14
	v_lshrrev_b16 v22, 8, v102
	s_mov_b32 s14, exec_lo
	v_cmpx_ne_u16_e32 0, v22
	s_cbranch_execz .LBB197_1078
; %bb.1071:                             ;   in Loop: Header=BB197_552 Depth=1
	v_mov_b64_e32 v[32:33], 0x8000000000000000
	s_mov_b32 s15, exec_lo
	v_cmpx_ne_u16_e32 0x80, v22
	s_cbranch_execz .LBB197_1077
; %bb.1072:                             ;   in Loop: Header=BB197_552 Depth=1
	v_and_b32_e32 v22, 0xffff, v22
	v_mov_b64_e32 v[32:33], 0x7f80000100000000
	s_mov_b32 s16, exec_lo
	s_delay_alu instid0(VALU_DEP_2) | instskip(NEXT) | instid1(VALU_DEP_1)
	v_and_b32_e32 v90, 0x7f, v22
	v_cmpx_ne_u32_e32 0x7f, v90
	s_cbranch_execz .LBB197_1076
; %bb.1073:                             ;   in Loop: Header=BB197_552 Depth=1
	v_and_b32_e32 v22, 7, v22
	v_lshrrev_b32_e32 v32, 3, v90
	s_mov_b32 s17, exec_lo
	v_cmpx_gt_u32_e32 8, v90
; %bb.1074:                             ;   in Loop: Header=BB197_552 Depth=1
	s_delay_alu instid0(VALU_DEP_3) | instskip(NEXT) | instid1(VALU_DEP_1)
	v_clz_i32_u32_e32 v32, v22
	v_min_u32_e32 v32, 32, v32
	s_delay_alu instid0(VALU_DEP_1) | instskip(NEXT) | instid1(VALU_DEP_1)
	v_subrev_nc_u32_e32 v33, 28, v32
	v_lshlrev_b64_e32 v[90:91], v33, v[22:23]
	s_delay_alu instid0(VALU_DEP_1)
	v_dual_sub_nc_u32 v32, 29, v32 :: v_dual_bitop2_b32 v22, 7, v90 bitop3:0x40
; %bb.1075:                             ;   in Loop: Header=BB197_552 Depth=1
	s_or_b32 exec_lo, exec_lo, s17
	v_lshlrev_b32_e32 v33, 16, v102
	s_delay_alu instid0(VALU_DEP_2) | instskip(NEXT) | instid1(VALU_DEP_3)
	v_lshlrev_b32_e32 v22, 20, v22
	v_lshl_add_u32 v32, v32, 23, 0x3c000000
	s_delay_alu instid0(VALU_DEP_3) | instskip(NEXT) | instid1(VALU_DEP_1)
	v_and_b32_e32 v33, 0x80000000, v33
	v_or3_b32 v33, v22, v33, v32
	v_mov_b32_e32 v32, v23
.LBB197_1076:                           ;   in Loop: Header=BB197_552 Depth=1
	s_or_b32 exec_lo, exec_lo, s16
.LBB197_1077:                           ;   in Loop: Header=BB197_552 Depth=1
	s_delay_alu instid0(SALU_CYCLE_1)
	s_or_b32 exec_lo, exec_lo, s15
.LBB197_1078:                           ;   in Loop: Header=BB197_552 Depth=1
	s_delay_alu instid0(SALU_CYCLE_1) | instskip(SKIP_4) | instid1(VALU_DEP_3)
	s_or_b32 exec_lo, exec_lo, s14
	v_lshrrev_b32_e32 v103, 16, v102
	v_mov_b64_e32 v[90:91], 0
	v_mov_b64_e32 v[92:93], 0
	s_mov_b32 s14, exec_lo
	v_and_b32_e32 v22, 0xff, v103
	s_delay_alu instid0(VALU_DEP_1)
	v_cmpx_ne_u16_e32 0, v22
	s_cbranch_execz .LBB197_1086
; %bb.1079:                             ;   in Loop: Header=BB197_552 Depth=1
	v_mov_b64_e32 v[92:93], 0x80000000
	s_mov_b32 s15, exec_lo
	v_cmpx_ne_u16_e32 0x80, v22
	s_cbranch_execz .LBB197_1085
; %bb.1080:                             ;   in Loop: Header=BB197_552 Depth=1
	v_mov_b64_e32 v[92:93], 0x7f800001
	v_bfe_u32 v104, v102, 16, 7
	s_mov_b32 s16, exec_lo
	s_delay_alu instid0(VALU_DEP_1)
	v_cmpx_ne_u32_e32 0x7f, v104
	s_cbranch_execz .LBB197_1084
; %bb.1081:                             ;   in Loop: Header=BB197_552 Depth=1
	v_dual_lshrrev_b32 v92, 3, v104 :: v_dual_bitop2_b32 v22, 7, v103 bitop3:0x40
	s_mov_b32 s17, exec_lo
	v_cmpx_gt_u32_e32 8, v104
; %bb.1082:                             ;   in Loop: Header=BB197_552 Depth=1
	s_delay_alu instid0(VALU_DEP_2) | instskip(NEXT) | instid1(VALU_DEP_1)
	v_clz_i32_u32_e32 v92, v22
	v_min_u32_e32 v92, 32, v92
	s_delay_alu instid0(VALU_DEP_1) | instskip(SKIP_1) | instid1(VALU_DEP_2)
	v_subrev_nc_u32_e32 v93, 28, v92
	v_sub_nc_u32_e32 v92, 29, v92
	v_lshlrev_b64_e32 v[104:105], v93, v[22:23]
	s_delay_alu instid0(VALU_DEP_1)
	v_and_b32_e32 v22, 7, v104
; %bb.1083:                             ;   in Loop: Header=BB197_552 Depth=1
	s_or_b32 exec_lo, exec_lo, s17
	s_delay_alu instid0(VALU_DEP_1) | instskip(SKIP_1) | instid1(VALU_DEP_2)
	v_dual_lshlrev_b32 v93, 24, v103 :: v_dual_lshlrev_b32 v22, 20, v22
	v_lshl_add_u32 v92, v92, 23, 0x3c000000
	v_and_b32_e32 v93, 0x80000000, v93
	s_delay_alu instid0(VALU_DEP_1) | instskip(NEXT) | instid1(VALU_DEP_1)
	v_or3_b32 v22, v22, v93, v92
	v_mov_b64_e32 v[92:93], v[22:23]
.LBB197_1084:                           ;   in Loop: Header=BB197_552 Depth=1
	s_or_b32 exec_lo, exec_lo, s16
.LBB197_1085:                           ;   in Loop: Header=BB197_552 Depth=1
	s_delay_alu instid0(SALU_CYCLE_1)
	s_or_b32 exec_lo, exec_lo, s15
.LBB197_1086:                           ;   in Loop: Header=BB197_552 Depth=1
	s_delay_alu instid0(SALU_CYCLE_1) | instskip(NEXT) | instid1(SALU_CYCLE_1)
	s_or_b32 exec_lo, exec_lo, s14
	s_mov_b32 s14, exec_lo
	v_cmpx_lt_u32_e32 0xffffff, v102
	s_cbranch_execz .LBB197_1094
; %bb.1087:                             ;   in Loop: Header=BB197_552 Depth=1
	v_mov_b64_e32 v[90:91], 0x8000000000000000
	v_lshrrev_b32_e32 v103, 24, v102
	s_mov_b32 s15, exec_lo
	s_delay_alu instid0(VALU_DEP_1)
	v_cmpx_ne_u32_e32 0x80, v103
	s_cbranch_execz .LBB197_1093
; %bb.1088:                             ;   in Loop: Header=BB197_552 Depth=1
	v_mov_b64_e32 v[90:91], 0x7f80000100000000
	v_bfe_u32 v102, v102, 24, 7
	s_mov_b32 s16, exec_lo
	s_delay_alu instid0(VALU_DEP_1)
	v_cmpx_ne_u32_e32 0x7f, v102
	s_cbranch_execz .LBB197_1092
; %bb.1089:                             ;   in Loop: Header=BB197_552 Depth=1
	v_dual_lshrrev_b32 v90, 3, v102 :: v_dual_bitop2_b32 v22, 7, v103 bitop3:0x40
	s_mov_b32 s17, exec_lo
	v_cmpx_gt_u32_e32 8, v102
; %bb.1090:                             ;   in Loop: Header=BB197_552 Depth=1
	s_delay_alu instid0(VALU_DEP_2) | instskip(NEXT) | instid1(VALU_DEP_1)
	v_clz_i32_u32_e32 v90, v22
	v_min_u32_e32 v90, 32, v90
	s_delay_alu instid0(VALU_DEP_1) | instskip(NEXT) | instid1(VALU_DEP_1)
	v_subrev_nc_u32_e32 v91, 28, v90
	v_lshlrev_b64_e32 v[104:105], v91, v[22:23]
	s_delay_alu instid0(VALU_DEP_1)
	v_dual_sub_nc_u32 v90, 29, v90 :: v_dual_bitop2_b32 v22, 7, v104 bitop3:0x40
; %bb.1091:                             ;   in Loop: Header=BB197_552 Depth=1
	s_or_b32 exec_lo, exec_lo, s17
	s_delay_alu instid0(VALU_DEP_1) | instskip(NEXT) | instid1(VALU_DEP_2)
	v_dual_lshlrev_b32 v91, 24, v103 :: v_dual_lshlrev_b32 v22, 20, v22
	v_lshl_add_u32 v90, v90, 23, 0x3c000000
	s_delay_alu instid0(VALU_DEP_2) | instskip(NEXT) | instid1(VALU_DEP_1)
	v_and_b32_e32 v91, 0x80000000, v91
	v_or3_b32 v91, v22, v91, v90
	v_mov_b32_e32 v90, v23
.LBB197_1092:                           ;   in Loop: Header=BB197_552 Depth=1
	s_or_b32 exec_lo, exec_lo, s16
.LBB197_1093:                           ;   in Loop: Header=BB197_552 Depth=1
	s_delay_alu instid0(SALU_CYCLE_1)
	s_or_b32 exec_lo, exec_lo, s15
.LBB197_1094:                           ;   in Loop: Header=BB197_552 Depth=1
	s_delay_alu instid0(SALU_CYCLE_1)
	s_or_b32 exec_lo, exec_lo, s14
	v_mov_b64_e32 v[102:103], s[4:5]
	v_or_b32_e32 v33, v33, v89
	v_or_b32_e32 v32, v32, v88
	;; [unrolled: 1-line block ×4, first 2 shown]
	s_delay_alu instid0(VALU_DEP_3) | instskip(NEXT) | instid1(VALU_DEP_2)
	v_pk_mul_f32 v[88:89], v[102:103], v[32:33]
	v_pk_mul_f32 v[32:33], v[102:103], v[90:91]
	s_and_saveexec_b32 s0, vcc_lo
	s_cbranch_execz .LBB197_551
; %bb.1095:                             ;   in Loop: Header=BB197_552 Depth=1
	v_cmp_gt_i32_e32 vcc_lo, s9, v101
	v_dual_cndmask_b32 v89, 0, v89, vcc_lo :: v_dual_bitop2_b32 v22, 3, v98 bitop3:0x54
	v_cmp_gt_i32_e32 vcc_lo, s25, v98
	v_dual_cndmask_b32 v88, 0, v88, vcc_lo :: v_dual_bitop2_b32 v90, 2, v98 bitop3:0x54
	s_delay_alu instid0(VALU_DEP_3) | instskip(SKIP_1) | instid1(VALU_DEP_3)
	v_cmp_gt_i32_e32 vcc_lo, s9, v22
	v_cndmask_b32_e32 v33, 0, v33, vcc_lo
	v_cmp_gt_i32_e32 vcc_lo, s25, v90
	v_cndmask_b32_e32 v32, 0, v32, vcc_lo
	s_branch .LBB197_551
.LBB197_1096:
	s_or_b32 exec_lo, exec_lo, s7
.LBB197_1097:
	s_delay_alu instid0(SALU_CYCLE_1)
	s_or_b32 exec_lo, exec_lo, s1
	ds_bpermute_b32 v2, v95, v18
	ds_bpermute_b32 v3, v95, v19
	;; [unrolled: 1-line block ×16, first 2 shown]
	s_mov_b32 s0, exec_lo
	s_wait_dscnt 0xe
	v_pk_add_f32 v[2:3], v[18:19], v[2:3]
	s_wait_dscnt 0xc
	v_pk_add_f32 v[18:19], v[14:15], v[22:23]
	;; [unrolled: 2-line block ×3, first 2 shown]
	scratch_load_b32 v6, off, off offset:312 ; 4-byte Folded Reload
	s_wait_dscnt 0x8
	v_pk_add_f32 v[0:1], v[20:21], v[0:1]
	ds_bpermute_b32 v22, v96, v2
	s_wait_dscnt 0x7
	v_pk_add_f32 v[4:5], v[16:17], v[4:5]
	ds_bpermute_b32 v23, v96, v3
	;; [unrolled: 3-line block ×5, first 2 shown]
	ds_bpermute_b32 v33, v96, v5
	ds_bpermute_b32 v34, v96, v18
	;; [unrolled: 1-line block ×11, first 2 shown]
	s_wait_loadcnt_dscnt 0x0
	s_barrier_signal -1
	v_pk_add_f32 v[10:11], v[2:3], v[22:23]
	s_barrier_wait -1
	v_pk_add_f32 v[12:13], v[0:1], v[20:21]
	v_pk_add_f32 v[8:9], v[4:5], v[32:33]
	;; [unrolled: 1-line block ×5, first 2 shown]
	v_and_b32_e32 v30, 0x3c3, v6
	v_pk_add_f32 v[6:7], v[18:19], v[34:35]
	v_and_b32_e32 v18, 28, v94
	s_delay_alu instid0(VALU_DEP_3) | instskip(SKIP_1) | instid1(SALU_CYCLE_1)
	v_cmpx_ne_u32_e32 64, v30
	s_xor_b32 s0, exec_lo, s0
	s_or_saveexec_b32 s0, s0
	v_pk_add_f32 v[14:15], v[14:15], v[16:17]
	v_add_nc_u32_e32 v17, 0x220, v18
	scratch_load_b32 v18, off, off offset:316 th:TH_LOAD_LU ; 4-byte Folded Reload
	v_lshrrev_b32_e32 v16, 2, v94
	s_wait_loadcnt 0x0
	v_lshlrev_b32_e32 v18, 9, v18
	s_xor_b32 exec_lo, exec_lo, s0
	s_cbranch_execz .LBB197_1099
; %bb.1098:
	s_delay_alu instid0(VALU_DEP_1) | instskip(NEXT) | instid1(VALU_DEP_1)
	v_add_nc_u32_e32 v19, v17, v18
	v_add_nc_u32_e32 v20, 0xfffffc00, v19
	;; [unrolled: 1-line block ×9, first 2 shown]
	ds_store_b32 v20, v12
	ds_store_b32 v21, v13
	;; [unrolled: 1-line block ×8, first 2 shown]
	v_add_nc_u32_e32 v20, 0xfffffd00, v19
	v_add_nc_u32_e32 v21, 0xfffffd20, v19
	;; [unrolled: 1-line block ×8, first 2 shown]
	ds_store_b32 v20, v4
	ds_store_b32 v21, v5
	;; [unrolled: 1-line block ×8, first 2 shown]
.LBB197_1099:
	s_or_b32 exec_lo, exec_lo, s0
	v_lshlrev_b32_e32 v16, 2, v16
	v_cmp_eq_u32_e32 vcc_lo, 0, v97
	s_wait_dscnt 0x0
	s_barrier_signal -1
	s_barrier_wait -1
	v_add3_u32 v16, 0x220, v18, v16
	s_and_saveexec_b32 s0, s2
	s_cbranch_execz .LBB197_1118
; %bb.1100:
	s_and_saveexec_b32 s1, vcc_lo
	s_cbranch_execnz .LBB197_1142
; %bb.1101:
	s_or_b32 exec_lo, exec_lo, s1
	s_and_saveexec_b32 s1, vcc_lo
	s_cbranch_execnz .LBB197_1143
.LBB197_1102:
	s_or_b32 exec_lo, exec_lo, s1
	s_and_saveexec_b32 s1, vcc_lo
	s_cbranch_execnz .LBB197_1144
.LBB197_1103:
	s_or_b32 exec_lo, exec_lo, s1
	s_and_saveexec_b32 s1, vcc_lo
	s_cbranch_execnz .LBB197_1145
.LBB197_1104:
	s_or_b32 exec_lo, exec_lo, s1
	s_and_saveexec_b32 s1, vcc_lo
	s_cbranch_execnz .LBB197_1146
.LBB197_1105:
	s_or_b32 exec_lo, exec_lo, s1
	s_and_saveexec_b32 s1, vcc_lo
	s_cbranch_execnz .LBB197_1147
.LBB197_1106:
	s_or_b32 exec_lo, exec_lo, s1
	s_and_saveexec_b32 s1, vcc_lo
	s_cbranch_execnz .LBB197_1148
.LBB197_1107:
	s_or_b32 exec_lo, exec_lo, s1
	s_and_saveexec_b32 s1, vcc_lo
	s_cbranch_execnz .LBB197_1149
.LBB197_1108:
	s_or_b32 exec_lo, exec_lo, s1
	s_and_saveexec_b32 s1, vcc_lo
	s_cbranch_execnz .LBB197_1150
.LBB197_1109:
	s_or_b32 exec_lo, exec_lo, s1
	s_and_saveexec_b32 s1, vcc_lo
	s_cbranch_execnz .LBB197_1151
.LBB197_1110:
	s_or_b32 exec_lo, exec_lo, s1
	s_and_saveexec_b32 s1, vcc_lo
	s_cbranch_execnz .LBB197_1152
.LBB197_1111:
	s_or_b32 exec_lo, exec_lo, s1
	s_and_saveexec_b32 s1, vcc_lo
	s_cbranch_execnz .LBB197_1153
.LBB197_1112:
	s_or_b32 exec_lo, exec_lo, s1
	s_and_saveexec_b32 s1, vcc_lo
	s_cbranch_execnz .LBB197_1154
.LBB197_1113:
	s_or_b32 exec_lo, exec_lo, s1
	s_and_saveexec_b32 s1, vcc_lo
	s_cbranch_execnz .LBB197_1155
.LBB197_1114:
	s_or_b32 exec_lo, exec_lo, s1
	s_and_saveexec_b32 s1, vcc_lo
	s_cbranch_execnz .LBB197_1156
.LBB197_1115:
	s_or_b32 exec_lo, exec_lo, s1
	s_and_saveexec_b32 s1, vcc_lo
	s_cbranch_execz .LBB197_1117
.LBB197_1116:
	ds_load_b32 v18, v16 offset:480
	s_wait_dscnt 0x0
	v_add_f32_e32 v15, v15, v18
.LBB197_1117:
	s_or_b32 exec_lo, exec_lo, s1
.LBB197_1118:
	s_delay_alu instid0(SALU_CYCLE_1)
	s_or_b32 exec_lo, exec_lo, s0
	scratch_load_b32 v18, off, off offset:312 ; 4-byte Folded Reload
	s_mov_b32 s1, exec_lo
	s_wait_loadcnt 0x0
	s_barrier_signal -1
	s_barrier_wait -1
	v_and_b32_e32 v18, 0x3e3, v18
	s_wait_xcnt 0x0
	s_delay_alu instid0(VALU_DEP_1)
	v_cmpx_eq_u32_e32 32, v18
	s_cbranch_execz .LBB197_1120
; %bb.1119:
	ds_store_2addr_b32 v17, v12, v13 offset1:8
	ds_store_2addr_b32 v17, v10, v11 offset0:16 offset1:24
	ds_store_2addr_b32 v17, v8, v9 offset0:32 offset1:40
	;; [unrolled: 1-line block ×7, first 2 shown]
.LBB197_1120:
	s_or_b32 exec_lo, exec_lo, s1
	scratch_load_b32 v17, off, off offset:312 ; 4-byte Folded Reload
	s_mov_b32 s1, exec_lo
	s_wait_loadcnt_dscnt 0x0
	s_barrier_signal -1
	s_barrier_wait -1
	v_cmpx_gt_u32_e32 32, v17
	s_cbranch_execz .LBB197_1139
; %bb.1121:
	s_and_saveexec_b32 s0, vcc_lo
	s_cbranch_execnz .LBB197_1157
; %bb.1122:
	s_or_b32 exec_lo, exec_lo, s0
	s_and_saveexec_b32 s0, vcc_lo
	s_cbranch_execnz .LBB197_1158
.LBB197_1123:
	s_or_b32 exec_lo, exec_lo, s0
	s_and_saveexec_b32 s0, vcc_lo
	s_cbranch_execnz .LBB197_1159
.LBB197_1124:
	s_or_b32 exec_lo, exec_lo, s0
	s_and_saveexec_b32 s0, vcc_lo
	s_cbranch_execnz .LBB197_1160
.LBB197_1125:
	s_or_b32 exec_lo, exec_lo, s0
	s_and_saveexec_b32 s0, vcc_lo
	s_cbranch_execnz .LBB197_1161
.LBB197_1126:
	s_or_b32 exec_lo, exec_lo, s0
	s_and_saveexec_b32 s0, vcc_lo
	s_cbranch_execnz .LBB197_1162
.LBB197_1127:
	s_or_b32 exec_lo, exec_lo, s0
	s_and_saveexec_b32 s0, vcc_lo
	s_cbranch_execnz .LBB197_1163
.LBB197_1128:
	s_or_b32 exec_lo, exec_lo, s0
	s_and_saveexec_b32 s0, vcc_lo
	s_cbranch_execnz .LBB197_1164
.LBB197_1129:
	s_or_b32 exec_lo, exec_lo, s0
	s_and_saveexec_b32 s0, vcc_lo
	s_cbranch_execnz .LBB197_1165
.LBB197_1130:
	s_or_b32 exec_lo, exec_lo, s0
	s_and_saveexec_b32 s0, vcc_lo
	s_cbranch_execnz .LBB197_1166
.LBB197_1131:
	s_or_b32 exec_lo, exec_lo, s0
	s_and_saveexec_b32 s0, vcc_lo
	s_cbranch_execnz .LBB197_1167
.LBB197_1132:
	s_or_b32 exec_lo, exec_lo, s0
	s_and_saveexec_b32 s0, vcc_lo
	s_cbranch_execnz .LBB197_1168
.LBB197_1133:
	s_or_b32 exec_lo, exec_lo, s0
	s_and_saveexec_b32 s0, vcc_lo
	s_cbranch_execnz .LBB197_1169
.LBB197_1134:
	s_or_b32 exec_lo, exec_lo, s0
	s_and_saveexec_b32 s0, vcc_lo
	s_cbranch_execnz .LBB197_1170
.LBB197_1135:
	s_or_b32 exec_lo, exec_lo, s0
	s_and_saveexec_b32 s0, vcc_lo
	s_cbranch_execnz .LBB197_1171
.LBB197_1136:
	s_or_b32 exec_lo, exec_lo, s0
	s_and_saveexec_b32 s0, vcc_lo
	s_cbranch_execz .LBB197_1138
.LBB197_1137:
	ds_load_b32 v16, v16 offset:480
	s_wait_dscnt 0x0
	v_add_f32_e32 v15, v15, v16
.LBB197_1138:
	s_or_b32 exec_lo, exec_lo, s0
.LBB197_1139:
	s_delay_alu instid0(SALU_CYCLE_1)
	s_or_b32 exec_lo, exec_lo, s1
	s_mov_b32 s1, 0
	s_barrier_signal -1
	s_barrier_wait -1
	s_mov_b32 s0, exec_lo
	v_cmpx_eq_u32_e32 0, v18
	s_cbranch_execz .LBB197_1141
; %bb.1140:
	scratch_load_b32 v16, off, off offset:312 th:TH_LOAD_LU ; 4-byte Folded Reload
	s_mul_i32 s0, s24, s8
	s_mul_i32 s2, s8, s12
	;; [unrolled: 1-line block ×3, first 2 shown]
	s_lshr_b32 s6, ttmp7, 16
	s_lshl_b32 s4, s0, 7
	s_bfe_u32 s0, ttmp6, 0x40014
	s_ashr_i32 s5, s4, 31
	s_add_co_i32 s0, s0, 1
	s_ashr_i32 s3, s2, 31
	s_mul_i32 s0, s6, s0
	s_bfe_u32 s7, ttmp6, 0x40008
	s_lshl_b64 s[4:5], s[4:5], 2
	s_lshl_b64 s[2:3], s[2:3], 2
	s_add_co_i32 s7, s7, s0
	s_cmp_eq_u32 s22, 0
	s_add_nc_u64 s[4:5], s[10:11], s[4:5]
	s_cselect_b32 s0, s6, s7
	s_add_nc_u64 s[2:3], s[4:5], s[2:3]
	s_lshl_b32 s0, s0, 9
	s_delay_alu instid0(SALU_CYCLE_1)
	s_add_nc_u64 s[0:1], s[2:3], s[0:1]
	s_wait_loadcnt 0x0
	s_clause 0xf
	global_store_b32 v16, v12, s[0:1]
	global_store_b32 v16, v13, s[0:1] offset:32
	global_store_b32 v16, v10, s[0:1] offset:64
	;; [unrolled: 1-line block ×15, first 2 shown]
.LBB197_1141:
	s_sendmsg sendmsg(MSG_DEALLOC_VGPRS)
	s_endpgm
.LBB197_1142:
	ds_load_b32 v18, v16
	s_wait_dscnt 0x0
	v_add_f32_e32 v12, v12, v18
	s_or_b32 exec_lo, exec_lo, s1
	s_and_saveexec_b32 s1, vcc_lo
	s_cbranch_execz .LBB197_1102
.LBB197_1143:
	ds_load_b32 v18, v16 offset:32
	s_wait_dscnt 0x0
	v_add_f32_e32 v13, v13, v18
	s_or_b32 exec_lo, exec_lo, s1
	s_and_saveexec_b32 s1, vcc_lo
	s_cbranch_execz .LBB197_1103
.LBB197_1144:
	ds_load_b32 v18, v16 offset:64
	s_wait_dscnt 0x0
	v_add_f32_e32 v10, v10, v18
	s_or_b32 exec_lo, exec_lo, s1
	s_and_saveexec_b32 s1, vcc_lo
	s_cbranch_execz .LBB197_1104
.LBB197_1145:
	ds_load_b32 v18, v16 offset:96
	s_wait_dscnt 0x0
	v_add_f32_e32 v11, v11, v18
	s_or_b32 exec_lo, exec_lo, s1
	s_and_saveexec_b32 s1, vcc_lo
	s_cbranch_execz .LBB197_1105
.LBB197_1146:
	ds_load_b32 v18, v16 offset:128
	s_wait_dscnt 0x0
	v_add_f32_e32 v8, v8, v18
	s_or_b32 exec_lo, exec_lo, s1
	s_and_saveexec_b32 s1, vcc_lo
	s_cbranch_execz .LBB197_1106
.LBB197_1147:
	ds_load_b32 v18, v16 offset:160
	s_wait_dscnt 0x0
	v_add_f32_e32 v9, v9, v18
	s_or_b32 exec_lo, exec_lo, s1
	s_and_saveexec_b32 s1, vcc_lo
	s_cbranch_execz .LBB197_1107
.LBB197_1148:
	ds_load_b32 v18, v16 offset:192
	s_wait_dscnt 0x0
	v_add_f32_e32 v6, v6, v18
	s_or_b32 exec_lo, exec_lo, s1
	s_and_saveexec_b32 s1, vcc_lo
	s_cbranch_execz .LBB197_1108
.LBB197_1149:
	ds_load_b32 v18, v16 offset:224
	s_wait_dscnt 0x0
	v_add_f32_e32 v7, v7, v18
	s_or_b32 exec_lo, exec_lo, s1
	s_and_saveexec_b32 s1, vcc_lo
	s_cbranch_execz .LBB197_1109
.LBB197_1150:
	ds_load_b32 v18, v16 offset:256
	s_wait_dscnt 0x0
	v_add_f32_e32 v4, v4, v18
	s_or_b32 exec_lo, exec_lo, s1
	s_and_saveexec_b32 s1, vcc_lo
	s_cbranch_execz .LBB197_1110
.LBB197_1151:
	ds_load_b32 v18, v16 offset:288
	s_wait_dscnt 0x0
	v_add_f32_e32 v5, v5, v18
	s_or_b32 exec_lo, exec_lo, s1
	s_and_saveexec_b32 s1, vcc_lo
	s_cbranch_execz .LBB197_1111
.LBB197_1152:
	ds_load_b32 v18, v16 offset:320
	s_wait_dscnt 0x0
	v_add_f32_e32 v2, v2, v18
	s_or_b32 exec_lo, exec_lo, s1
	s_and_saveexec_b32 s1, vcc_lo
	s_cbranch_execz .LBB197_1112
.LBB197_1153:
	ds_load_b32 v18, v16 offset:352
	s_wait_dscnt 0x0
	v_add_f32_e32 v3, v3, v18
	s_or_b32 exec_lo, exec_lo, s1
	s_and_saveexec_b32 s1, vcc_lo
	s_cbranch_execz .LBB197_1113
.LBB197_1154:
	ds_load_b32 v18, v16 offset:384
	s_wait_dscnt 0x0
	v_add_f32_e32 v0, v0, v18
	s_or_b32 exec_lo, exec_lo, s1
	s_and_saveexec_b32 s1, vcc_lo
	s_cbranch_execz .LBB197_1114
.LBB197_1155:
	ds_load_b32 v18, v16 offset:416
	s_wait_dscnt 0x0
	v_add_f32_e32 v1, v1, v18
	s_or_b32 exec_lo, exec_lo, s1
	s_and_saveexec_b32 s1, vcc_lo
	s_cbranch_execz .LBB197_1115
.LBB197_1156:
	ds_load_b32 v18, v16 offset:448
	s_wait_dscnt 0x0
	v_add_f32_e32 v14, v14, v18
	s_or_b32 exec_lo, exec_lo, s1
	s_and_saveexec_b32 s1, vcc_lo
	s_cbranch_execnz .LBB197_1116
	s_branch .LBB197_1117
.LBB197_1157:
	ds_load_b32 v17, v16
	s_wait_dscnt 0x0
	v_add_f32_e32 v12, v12, v17
	s_or_b32 exec_lo, exec_lo, s0
	s_and_saveexec_b32 s0, vcc_lo
	s_cbranch_execz .LBB197_1123
.LBB197_1158:
	ds_load_b32 v17, v16 offset:32
	s_wait_dscnt 0x0
	v_add_f32_e32 v13, v13, v17
	s_or_b32 exec_lo, exec_lo, s0
	s_and_saveexec_b32 s0, vcc_lo
	s_cbranch_execz .LBB197_1124
.LBB197_1159:
	ds_load_b32 v17, v16 offset:64
	s_wait_dscnt 0x0
	v_add_f32_e32 v10, v10, v17
	s_or_b32 exec_lo, exec_lo, s0
	s_and_saveexec_b32 s0, vcc_lo
	s_cbranch_execz .LBB197_1125
.LBB197_1160:
	ds_load_b32 v17, v16 offset:96
	s_wait_dscnt 0x0
	v_add_f32_e32 v11, v11, v17
	s_or_b32 exec_lo, exec_lo, s0
	s_and_saveexec_b32 s0, vcc_lo
	s_cbranch_execz .LBB197_1126
.LBB197_1161:
	ds_load_b32 v17, v16 offset:128
	s_wait_dscnt 0x0
	v_add_f32_e32 v8, v8, v17
	s_or_b32 exec_lo, exec_lo, s0
	s_and_saveexec_b32 s0, vcc_lo
	s_cbranch_execz .LBB197_1127
.LBB197_1162:
	ds_load_b32 v17, v16 offset:160
	s_wait_dscnt 0x0
	v_add_f32_e32 v9, v9, v17
	s_or_b32 exec_lo, exec_lo, s0
	s_and_saveexec_b32 s0, vcc_lo
	s_cbranch_execz .LBB197_1128
.LBB197_1163:
	ds_load_b32 v17, v16 offset:192
	s_wait_dscnt 0x0
	v_add_f32_e32 v6, v6, v17
	s_or_b32 exec_lo, exec_lo, s0
	s_and_saveexec_b32 s0, vcc_lo
	s_cbranch_execz .LBB197_1129
.LBB197_1164:
	ds_load_b32 v17, v16 offset:224
	s_wait_dscnt 0x0
	v_add_f32_e32 v7, v7, v17
	s_or_b32 exec_lo, exec_lo, s0
	s_and_saveexec_b32 s0, vcc_lo
	s_cbranch_execz .LBB197_1130
.LBB197_1165:
	ds_load_b32 v17, v16 offset:256
	s_wait_dscnt 0x0
	v_add_f32_e32 v4, v4, v17
	s_or_b32 exec_lo, exec_lo, s0
	s_and_saveexec_b32 s0, vcc_lo
	s_cbranch_execz .LBB197_1131
.LBB197_1166:
	ds_load_b32 v17, v16 offset:288
	s_wait_dscnt 0x0
	v_add_f32_e32 v5, v5, v17
	s_or_b32 exec_lo, exec_lo, s0
	s_and_saveexec_b32 s0, vcc_lo
	s_cbranch_execz .LBB197_1132
.LBB197_1167:
	ds_load_b32 v17, v16 offset:320
	s_wait_dscnt 0x0
	v_add_f32_e32 v2, v2, v17
	s_or_b32 exec_lo, exec_lo, s0
	s_and_saveexec_b32 s0, vcc_lo
	s_cbranch_execz .LBB197_1133
.LBB197_1168:
	ds_load_b32 v17, v16 offset:352
	s_wait_dscnt 0x0
	v_add_f32_e32 v3, v3, v17
	s_or_b32 exec_lo, exec_lo, s0
	s_and_saveexec_b32 s0, vcc_lo
	s_cbranch_execz .LBB197_1134
.LBB197_1169:
	ds_load_b32 v17, v16 offset:384
	s_wait_dscnt 0x0
	v_add_f32_e32 v0, v0, v17
	s_or_b32 exec_lo, exec_lo, s0
	s_and_saveexec_b32 s0, vcc_lo
	s_cbranch_execz .LBB197_1135
.LBB197_1170:
	ds_load_b32 v17, v16 offset:416
	s_wait_dscnt 0x0
	v_add_f32_e32 v1, v1, v17
	s_or_b32 exec_lo, exec_lo, s0
	s_and_saveexec_b32 s0, vcc_lo
	s_cbranch_execz .LBB197_1136
.LBB197_1171:
	ds_load_b32 v17, v16 offset:448
	s_wait_dscnt 0x0
	v_add_f32_e32 v14, v14, v17
	s_or_b32 exec_lo, exec_lo, s0
	s_and_saveexec_b32 s0, vcc_lo
	s_cbranch_execnz .LBB197_1137
	s_branch .LBB197_1138
	.section	.rodata,"a",@progbits
	.p2align	6, 0x0
	.amdhsa_kernel _ZN4vllm25paged_attention_v1_kernelIfhLi128ELi16ELi128ELNS_18Fp8KVCacheDataTypeE1ELb0EEEvPT_PKS2_PKT0_S8_ifPKiSA_iPKfiiiSC_SC_iiiii
		.amdhsa_group_segment_fixed_size 544
		.amdhsa_private_segment_fixed_size 336
		.amdhsa_kernarg_size 384
		.amdhsa_user_sgpr_count 2
		.amdhsa_user_sgpr_dispatch_ptr 0
		.amdhsa_user_sgpr_queue_ptr 0
		.amdhsa_user_sgpr_kernarg_segment_ptr 1
		.amdhsa_user_sgpr_dispatch_id 0
		.amdhsa_user_sgpr_kernarg_preload_length 0
		.amdhsa_user_sgpr_kernarg_preload_offset 0
		.amdhsa_user_sgpr_private_segment_size 0
		.amdhsa_wavefront_size32 1
		.amdhsa_uses_dynamic_stack 0
		.amdhsa_enable_private_segment 1
		.amdhsa_system_sgpr_workgroup_id_x 1
		.amdhsa_system_sgpr_workgroup_id_y 1
		.amdhsa_system_sgpr_workgroup_id_z 1
		.amdhsa_system_sgpr_workgroup_info 0
		.amdhsa_system_vgpr_workitem_id 0
		.amdhsa_next_free_vgpr 128
		.amdhsa_next_free_sgpr 34
		.amdhsa_named_barrier_count 0
		.amdhsa_reserve_vcc 1
		.amdhsa_float_round_mode_32 0
		.amdhsa_float_round_mode_16_64 0
		.amdhsa_float_denorm_mode_32 3
		.amdhsa_float_denorm_mode_16_64 3
		.amdhsa_fp16_overflow 0
		.amdhsa_memory_ordered 1
		.amdhsa_forward_progress 1
		.amdhsa_inst_pref_size 255
		.amdhsa_round_robin_scheduling 0
		.amdhsa_exception_fp_ieee_invalid_op 0
		.amdhsa_exception_fp_denorm_src 0
		.amdhsa_exception_fp_ieee_div_zero 0
		.amdhsa_exception_fp_ieee_overflow 0
		.amdhsa_exception_fp_ieee_underflow 0
		.amdhsa_exception_fp_ieee_inexact 0
		.amdhsa_exception_int_div_zero 0
	.end_amdhsa_kernel
	.section	.text._ZN4vllm25paged_attention_v1_kernelIfhLi128ELi16ELi128ELNS_18Fp8KVCacheDataTypeE1ELb0EEEvPT_PKS2_PKT0_S8_ifPKiSA_iPKfiiiSC_SC_iiiii,"axG",@progbits,_ZN4vllm25paged_attention_v1_kernelIfhLi128ELi16ELi128ELNS_18Fp8KVCacheDataTypeE1ELb0EEEvPT_PKS2_PKT0_S8_ifPKiSA_iPKfiiiSC_SC_iiiii,comdat
.Lfunc_end197:
	.size	_ZN4vllm25paged_attention_v1_kernelIfhLi128ELi16ELi128ELNS_18Fp8KVCacheDataTypeE1ELb0EEEvPT_PKS2_PKT0_S8_ifPKiSA_iPKfiiiSC_SC_iiiii, .Lfunc_end197-_ZN4vllm25paged_attention_v1_kernelIfhLi128ELi16ELi128ELNS_18Fp8KVCacheDataTypeE1ELb0EEEvPT_PKS2_PKT0_S8_ifPKiSA_iPKfiiiSC_SC_iiiii
                                        ; -- End function
	.set _ZN4vllm25paged_attention_v1_kernelIfhLi128ELi16ELi128ELNS_18Fp8KVCacheDataTypeE1ELb0EEEvPT_PKS2_PKT0_S8_ifPKiSA_iPKfiiiSC_SC_iiiii.num_vgpr, 128
	.set _ZN4vllm25paged_attention_v1_kernelIfhLi128ELi16ELi128ELNS_18Fp8KVCacheDataTypeE1ELb0EEEvPT_PKS2_PKT0_S8_ifPKiSA_iPKfiiiSC_SC_iiiii.num_agpr, 0
	.set _ZN4vllm25paged_attention_v1_kernelIfhLi128ELi16ELi128ELNS_18Fp8KVCacheDataTypeE1ELb0EEEvPT_PKS2_PKT0_S8_ifPKiSA_iPKfiiiSC_SC_iiiii.numbered_sgpr, 34
	.set _ZN4vllm25paged_attention_v1_kernelIfhLi128ELi16ELi128ELNS_18Fp8KVCacheDataTypeE1ELb0EEEvPT_PKS2_PKT0_S8_ifPKiSA_iPKfiiiSC_SC_iiiii.num_named_barrier, 0
	.set _ZN4vllm25paged_attention_v1_kernelIfhLi128ELi16ELi128ELNS_18Fp8KVCacheDataTypeE1ELb0EEEvPT_PKS2_PKT0_S8_ifPKiSA_iPKfiiiSC_SC_iiiii.private_seg_size, 336
	.set _ZN4vllm25paged_attention_v1_kernelIfhLi128ELi16ELi128ELNS_18Fp8KVCacheDataTypeE1ELb0EEEvPT_PKS2_PKT0_S8_ifPKiSA_iPKfiiiSC_SC_iiiii.uses_vcc, 1
	.set _ZN4vllm25paged_attention_v1_kernelIfhLi128ELi16ELi128ELNS_18Fp8KVCacheDataTypeE1ELb0EEEvPT_PKS2_PKT0_S8_ifPKiSA_iPKfiiiSC_SC_iiiii.uses_flat_scratch, 1
	.set _ZN4vllm25paged_attention_v1_kernelIfhLi128ELi16ELi128ELNS_18Fp8KVCacheDataTypeE1ELb0EEEvPT_PKS2_PKT0_S8_ifPKiSA_iPKfiiiSC_SC_iiiii.has_dyn_sized_stack, 0
	.set _ZN4vllm25paged_attention_v1_kernelIfhLi128ELi16ELi128ELNS_18Fp8KVCacheDataTypeE1ELb0EEEvPT_PKS2_PKT0_S8_ifPKiSA_iPKfiiiSC_SC_iiiii.has_recursion, 0
	.set _ZN4vllm25paged_attention_v1_kernelIfhLi128ELi16ELi128ELNS_18Fp8KVCacheDataTypeE1ELb0EEEvPT_PKS2_PKT0_S8_ifPKiSA_iPKfiiiSC_SC_iiiii.has_indirect_call, 0
	.section	.AMDGPU.csdata,"",@progbits
; Kernel info:
; codeLenInByte = 41384
; TotalNumSgprs: 36
; NumVgprs: 128
; ScratchSize: 336
; MemoryBound: 0
; FloatMode: 240
; IeeeMode: 1
; LDSByteSize: 544 bytes/workgroup (compile time only)
; SGPRBlocks: 0
; VGPRBlocks: 7
; NumSGPRsForWavesPerEU: 36
; NumVGPRsForWavesPerEU: 128
; NamedBarCnt: 0
; Occupancy: 8
; WaveLimiterHint : 1
; COMPUTE_PGM_RSRC2:SCRATCH_EN: 1
; COMPUTE_PGM_RSRC2:USER_SGPR: 2
; COMPUTE_PGM_RSRC2:TRAP_HANDLER: 0
; COMPUTE_PGM_RSRC2:TGID_X_EN: 1
; COMPUTE_PGM_RSRC2:TGID_Y_EN: 1
; COMPUTE_PGM_RSRC2:TGID_Z_EN: 1
; COMPUTE_PGM_RSRC2:TIDIG_COMP_CNT: 0
	.text
	.p2align	2                               ; -- Begin function _ZN4vllm22paged_attention_kernelIfhLi192ELi16ELi128ELNS_18Fp8KVCacheDataTypeE1ELb0ELi0EEEvPfS2_PT_PKS3_PKT0_S9_ifPKiSB_iPKfiiiSD_SD_iiiii
	.type	_ZN4vllm22paged_attention_kernelIfhLi192ELi16ELi128ELNS_18Fp8KVCacheDataTypeE1ELb0ELi0EEEvPfS2_PT_PKS3_PKT0_S9_ifPKiSB_iPKfiiiSD_SD_iiiii,@function
_ZN4vllm22paged_attention_kernelIfhLi192ELi16ELi128ELNS_18Fp8KVCacheDataTypeE1ELb0ELi0EEEvPfS2_PT_PKS3_PKT0_S9_ifPKiSB_iPKfiiiSD_SD_iiiii: ; @_ZN4vllm22paged_attention_kernelIfhLi192ELi16ELi128ELNS_18Fp8KVCacheDataTypeE1ELb0ELi0EEEvPfS2_PT_PKS3_PKT0_S9_ifPKiSB_iPKfiiiSD_SD_iiiii
; %bb.0:
	s_wait_loadcnt_dscnt 0x0
	s_wait_kmcnt 0x0
	s_clause 0x2f
	scratch_store_b32 off, v40, s32 offset:188
	; meta instruction
	scratch_store_b32 off, v41, s32 offset:184
	; meta instruction
	;; [unrolled: 2-line block ×47, first 2 shown]
	scratch_store_b32 off, v127, s32
	s_bfe_u32 s0, ttmp6, 0x4000c
	s_bfe_u32 s2, ttmp6, 0x40010
	s_add_co_i32 s0, s0, 1
	s_and_b32 s1, ttmp6, 15
	s_mul_i32 s0, ttmp9, s0
	s_and_b32 s3, ttmp7, 0xffff
	s_add_co_i32 s2, s2, 1
	s_add_co_i32 s0, s1, s0
	s_mul_i32 s1, s3, s2
	s_bfe_u32 s2, ttmp6, 0x40004
	s_getreg_b32 s12, hwreg(HW_REG_IB_STS2, 6, 4)
	s_add_co_i32 s2, s2, s1
	s_cmp_eq_u32 s12, 0
	s_mov_b32 s1, 0
	s_cselect_b32 s13, s3, s2
	s_cselect_b32 s2, ttmp9, s0
	s_lshl_b32 s0, s13, 2
	v_dual_mov_b32 v53, v7 :: v_dual_mov_b32 v52, v6
	v_add_nc_u64_e32 v[6:7], s[0:1], v[12:13]
	s_clause 0x3
	scratch_store_b64 off, v[20:21], s32 offset:512
	scratch_store_b64 off, v[18:19], s32 offset:496
	scratch_store_b32 off, v9, s32 offset:932
	scratch_store_b64 off, v[0:1], s32 offset:940
	s_wait_xcnt 0x0
	v_dual_mov_b32 v1, 0 :: v_dual_mov_b32 v25, v16
	v_mov_b32_e32 v24, v15
	flat_load_b32 v16, v[6:7]
	s_wait_xcnt 0x0
	v_sub_nc_u32_e32 v6, 0, v8
	global_load_u16 v0, v1, s[8:9] offset:22
	s_clause 0x1
	s_load_u16 s0, s[8:9], 0x12
	s_load_b32 s3, s[8:9], 0x0
	v_dual_mov_b32 v51, v11 :: v_dual_mov_b32 v50, v10
	v_max_i32_e32 v6, v8, v6
	s_mov_b32 s6, s15
	s_mov_b32 s4, exec_lo
	s_delay_alu instid0(VALU_DEP_1) | instskip(NEXT) | instid1(VALU_DEP_1)
	v_cvt_f32_u32_e32 v7, v6
	v_rcp_iflag_f32_e32 v7, v7
	s_wait_kmcnt 0x0
	s_cmp_lg_u32 s0, 0
	v_nop
	s_delay_alu instid0(TRANS32_DEP_1) | instskip(SKIP_2) | instid1(SALU_CYCLE_1)
	v_mul_f32_e32 v7, 0x4f7ffffe, v7
	v_sub_nc_u32_e32 v9, 0, v6
	s_cselect_b32 s0, -1, 0
	s_cmp_lg_u32 s0, 0
	s_delay_alu instid0(VALU_DEP_2) | instskip(SKIP_1) | instid1(SALU_CYCLE_1)
	v_cvt_u32_f32_e32 v7, v7
	s_add_co_ci_u32 s14, s3, 0
	s_abs_i32 s0, s14
	v_xor_b32_e32 v8, s14, v8
	s_delay_alu instid0(VALU_DEP_2) | instskip(NEXT) | instid1(VALU_DEP_2)
	v_mul_lo_u32 v9, v9, v7
	v_ashrrev_i32_e32 v8, 31, v8
	s_delay_alu instid0(VALU_DEP_2) | instskip(NEXT) | instid1(VALU_DEP_1)
	v_mul_hi_u32 v9, v7, v9
	v_add_nc_u32_e32 v7, v7, v9
	s_delay_alu instid0(VALU_DEP_1) | instskip(NEXT) | instid1(VALU_DEP_1)
	v_mul_hi_u32 v7, s0, v7
	v_mul_lo_u32 v9, v7, v6
	s_delay_alu instid0(VALU_DEP_1) | instskip(SKIP_1) | instid1(VALU_DEP_1)
	v_dual_add_nc_u32 v10, 1, v7 :: v_dual_sub_nc_u32 v9, s0, v9
	s_abs_i32 s0, s2
	v_sub_nc_u32_e32 v11, v9, v6
	v_cmp_ge_u32_e32 vcc_lo, v9, v6
	s_delay_alu instid0(VALU_DEP_2) | instskip(NEXT) | instid1(VALU_DEP_1)
	v_dual_cndmask_b32 v7, v7, v10, vcc_lo :: v_dual_cndmask_b32 v9, v9, v11, vcc_lo
	v_add_nc_u32_e32 v10, 1, v7
	s_delay_alu instid0(VALU_DEP_2) | instskip(NEXT) | instid1(VALU_DEP_2)
	v_cmp_ge_u32_e32 vcc_lo, v9, v6
	v_cndmask_b32_e32 v6, v7, v10, vcc_lo
	s_delay_alu instid0(VALU_DEP_1) | instskip(NEXT) | instid1(VALU_DEP_1)
	v_xor_b32_e32 v6, v6, v8
	v_sub_nc_u32_e32 v7, v6, v8
	s_delay_alu instid0(VALU_DEP_1) | instskip(NEXT) | instid1(VALU_DEP_1)
	v_sub_nc_u32_e32 v6, 0, v7
	v_max_i32_e32 v6, v7, v6
	s_delay_alu instid0(VALU_DEP_1) | instskip(SKIP_1) | instid1(VALU_DEP_2)
	v_cvt_f32_u32_e32 v8, v6
	v_sub_nc_u32_e32 v9, 0, v6
	v_rcp_iflag_f32_e32 v8, v8
	v_nop
	s_delay_alu instid0(TRANS32_DEP_1) | instskip(NEXT) | instid1(VALU_DEP_1)
	v_mul_f32_e32 v8, 0x4f7ffffe, v8
	v_cvt_u32_f32_e32 v8, v8
	s_delay_alu instid0(VALU_DEP_1) | instskip(NEXT) | instid1(VALU_DEP_1)
	v_mul_lo_u32 v9, v9, v8
	v_mul_hi_u32 v9, v8, v9
	s_wait_loadcnt 0x0
	v_readfirstlane_b32 s15, v0
	s_delay_alu instid0(VALU_DEP_2)
	v_dual_add_nc_u32 v0, v8, v9 :: v_dual_mov_b32 v8, v1
	scratch_store_b32 off, v8, s32 offset:928 ; 4-byte Folded Spill
	s_wait_xcnt 0x0
	v_cmpx_ne_u64_e32 0, v[24:25]
	s_cbranch_execz .LBB198_2
; %bb.1:
	s_ashr_i32 s3, s2, 31
	s_delay_alu instid0(SALU_CYCLE_1)
	v_lshl_add_u64 v[8:9], s[2:3], 2, v[24:25]
	flat_load_b32 v8, v[8:9]
	s_wait_loadcnt_dscnt 0x0
	scratch_store_b32 off, v8, s32 offset:928 ; 4-byte Folded Spill
.LBB198_2:
	s_wait_xcnt 0x0
	s_or_b32 exec_lo, exec_lo, s4
	v_mul_u64_e32 v[0:1], s[0:1], v[0:1]
	v_and_b32_e32 v12, 0x3ff, v31
	v_ashrrev_i32_e32 v7, 31, v7
	v_and_b32_e32 v0, 1, v31
	s_ashr_i32 s1, s2, 31
	s_mul_i32 s4, s2, 0xc0
	v_lshlrev_b32_e32 v64, 2, v12
	s_mov_b32 s2, exec_lo
	v_cmpx_gt_u32_e32 0x60, v12
	s_cbranch_execz .LBB198_4
; %bb.3:
	v_mul_lo_u32 v8, v17, s13
	s_ashr_i32 s5, s4, 31
	s_delay_alu instid0(VALU_DEP_1) | instskip(NEXT) | instid1(VALU_DEP_1)
	v_ashrrev_i32_e32 v9, 31, v8
	v_lshl_add_u64 v[2:3], v[8:9], 2, v[2:3]
	v_dual_mov_b32 v9, 0 :: v_dual_lshlrev_b32 v8, 3, v12
	s_delay_alu instid0(VALU_DEP_2) | instskip(NEXT) | instid1(VALU_DEP_1)
	v_lshl_add_u64 v[2:3], s[4:5], 2, v[2:3]
	v_add_nc_u64_e32 v[2:3], v[2:3], v[8:9]
	v_and_b32_e32 v8, 0xff8, v64
	s_delay_alu instid0(VALU_DEP_1)
	v_mad_u32_u24 v8, 0x180, v0, v8
	flat_load_b64 v[2:3], v[2:3]
	s_wait_loadcnt_dscnt 0x0
	ds_store_b64 v8, v[2:3]
.LBB198_4:
	s_wait_xcnt 0x0
	s_or_b32 exec_lo, exec_lo, s2
	v_mul_lo_u32 v2, v1, v6
	s_wait_dscnt 0x0
	v_add_nc_u32_e32 v3, 15, v16
	v_mul_lo_u32 v54, v14, s13
	v_mbcnt_lo_u32_b32 v11, -1, 0
                                        ; implicit-def: $vgpr109
	s_delay_alu instid0(VALU_DEP_4) | instskip(NEXT) | instid1(VALU_DEP_4)
	v_dual_sub_nc_u32 v2, s0, v2 :: v_dual_bitop2_b32 v7, s1, v7 bitop3:0x14
	v_dual_add_nc_u32 v8, 1, v1 :: v_dual_ashrrev_i32 v9, 31, v3
	s_delay_alu instid0(VALU_DEP_2) | instskip(NEXT) | instid1(VALU_DEP_2)
	v_cmp_ge_u32_e32 vcc_lo, v2, v6
	v_dual_cndmask_b32 v1, v1, v8 :: v_dual_sub_nc_u32 v10, v2, v6
	s_delay_alu instid0(VALU_DEP_1) | instskip(NEXT) | instid1(VALU_DEP_2)
	v_dual_lshrrev_b32 v8, 28, v9 :: v_dual_cndmask_b32 v2, v2, v10, vcc_lo
	v_add_nc_u32_e32 v9, 1, v1
	s_delay_alu instid0(VALU_DEP_2) | instskip(NEXT) | instid1(VALU_DEP_3)
	v_cmp_ge_u32_e32 vcc_lo, v2, v6
	v_add_nc_u32_e32 v3, v3, v8
                                        ; implicit-def: $vgpr8
	s_delay_alu instid0(VALU_DEP_3) | instskip(NEXT) | instid1(VALU_DEP_1)
	v_dual_cndmask_b32 v1, v1, v9 :: v_dual_mov_b32 v2, v12
	v_xor_b32_e32 v1, v1, v7
	scratch_store_b64 off, v[2:3], s32 offset:920 ; 8-byte Folded Spill
	s_wait_xcnt 0x0
	v_dual_lshrrev_b32 v2, 5, v12 :: v_dual_ashrrev_i32 v3, 4, v3
	v_dual_ashrrev_i32 v55, 31, v54 :: v_dual_sub_nc_u32 v1, v1, v7
	s_clause 0x1
	scratch_store_b32 off, v2, s32 offset:936
	scratch_store_b32 off, v3, s32 offset:192
	v_cmp_ge_i32_e64 s0, v2, v3
	s_wait_storecnt 0x0
	s_barrier_signal -1
	s_barrier_wait -1
	s_wait_xcnt 0x0
	s_and_saveexec_b32 s1, s0
	s_delay_alu instid0(SALU_CYCLE_1)
	s_xor_b32 s1, exec_lo, s1
	s_cbranch_execz .LBB198_6
; %bb.5:
	v_dual_mov_b32 v109, 0 :: v_dual_mov_b32 v8, 32
	v_mbcnt_lo_u32_b32 v11, -1, 0
                                        ; implicit-def: $vgpr0
                                        ; kill: killed $vgpr0
                                        ; implicit-def: $vgpr0
                                        ; kill: killed $vgpr0
                                        ; implicit-def: $vgpr0
                                        ; implicit-def: $vgpr4
	scratch_store_b64 off, v[0:1], s32 offset:512 ; 8-byte Folded Spill
                                        ; implicit-def: $vgpr0
.LBB198_6:
	s_wait_xcnt 0x0
	s_or_saveexec_b32 s3, s1
	scratch_load_b64 v[2:3], off, s32 offset:920 ; 8-byte Folded Reload
	s_load_b32 s5, s[8:9], 0x8
	v_mul_lo_u32 v66, v1, v19
	v_mov_b32_e32 v6, 0xff7fffff
	s_wait_xcnt 0x0
	s_get_pc_i64 s[8:9]
	s_add_nc_u64 s[8:9], s[8:9], llvm.amdgcn.dynlds.offset.table@rel64+4
	s_delay_alu instid0(VALU_DEP_2)
	v_ashrrev_i32_e32 v67, 31, v66
	s_wait_loadcnt 0x0
	v_lshrrev_b32_e32 v17, 3, v2
	s_xor_b32 exec_lo, exec_lo, s3
	s_cbranch_execz .LBB198_780
; %bb.7:
	v_bfe_u32 v1, v2, 1, 4
	v_add_nc_u64_e32 v[2:3], v[4:5], v[66:67]
	v_mov_b32_e32 v109, 0
	v_mul_u32_u24_e32 v6, 0x180, v0
	s_clause 0x2
	scratch_store_b32 off, v64, s32 offset:980
	scratch_store_b64 off, v[52:53], s32 offset:964
	scratch_store_b64 off, v[22:23], s32 offset:956
	v_lshlrev_b32_e32 v108, 4, v1
	s_clause 0x1
	scratch_store_b64 off, v[66:67], s32 offset:988
	scratch_store_b32 off, v11, s32 offset:996
	ds_load_b128 v[12:15], v6
	s_ashr_i32 s7, s6, 31
	v_add_nc_u64_e32 v[2:3], v[2:3], v[108:109]
	v_dual_lshlrev_b32 v108, 1, v0 :: v_dual_bitop2_b32 v4, 1, v11 bitop3:0x14
	s_lshl_b64 s[10:11], s[6:7], 2
	s_mov_b32 s7, 0
	s_add_nc_u64 s[10:11], s[8:9], s[10:11]
	s_delay_alu instid0(VALU_DEP_1) | instskip(NEXT) | instid1(VALU_DEP_3)
	v_cmp_gt_i32_e32 vcc_lo, 32, v4
	v_add_nc_u64_e32 v[2:3], v[2:3], v[108:109]
	v_and_b32_e32 v108, 0x7c, v17
	v_cndmask_b32_e32 v4, v11, v4, vcc_lo
	s_wait_xcnt 0x0
	ds_load_b128 v[8:11], v6 offset:192
	v_cmp_eq_u32_e32 vcc_lo, 0, v0
	s_wait_dscnt 0x1
	scratch_store_b128 off, v[12:15], s32 offset:524 ; 16-byte Folded Spill
	s_wait_xcnt 0x0
	ds_load_b128 v[12:15], v6 offset:16
	s_wait_dscnt 0x1
	scratch_store_b128 off, v[8:11], s32 offset:716 ; 16-byte Folded Spill
	s_wait_xcnt 0x0
	ds_load_b128 v[8:11], v6 offset:208
	;; [unrolled: 4-line block ×22, first 2 shown]
	s_wait_dscnt 0x1
	scratch_store_b128 off, v[12:15], s32 offset:700 ; 16-byte Folded Spill
	s_wait_dscnt 0x0
	s_clause 0x2
	scratch_store_b128 off, v[6:9], s32 offset:892
	scratch_store_b64 off, v[2:3], s32 offset:908
	scratch_store_b32 off, v17, s32 offset:984
	s_wait_xcnt 0x1
	v_lshlrev_b32_e32 v2, 2, v4
	s_clause 0x3
	scratch_store_b32 off, v2, s32 offset:916
	scratch_store_b64 off, v[54:55], s32 offset:972
	scratch_load_b32 v0, off, s32 offset:928
	scratch_load_b32 v123, off, s32 offset:936
	s_wait_xcnt 0x3
	v_lshl_add_u64 v[2:3], v[54:55], 2, v[108:109]
	s_delay_alu instid0(VALU_DEP_1)
	v_add_nc_u64_e32 v[2:3], v[50:51], v[2:3]
	s_wait_loadcnt 0x1
	v_cmp_neq_f32_e64 s1, 0, v0
	v_lshlrev_b32_e32 v0, 2, v1
	s_wait_loadcnt 0x0
	v_lshl_or_b32 v17, v123, 4, v1
	s_delay_alu instid0(VALU_DEP_2)
	v_lshl_or_b32 v0, v123, 6, v0
	s_clause 0x1
	scratch_store_b64 off, v[50:51], s32 offset:948
	scratch_store_b32 off, v0, s32 offset:492
	s_wait_xcnt 0x0
	v_mov_b32_e32 v0, 0xff7fffff
	scratch_store_b32 off, v0, s32 offset:520 ; 4-byte Folded Spill
	s_branch .LBB198_9
.LBB198_8:                              ;   in Loop: Header=BB198_9 Depth=1
	s_wait_xcnt 0x0
	s_or_b32 exec_lo, exec_lo, s16
	s_clause 0x1
	scratch_load_b32 v0, off, s32 offset:192
	scratch_load_b64 v[2:3], off, s32 offset:504 th:TH_LOAD_LU
	v_dual_add_nc_u32 v123, 4, v123 :: v_dual_add_nc_u32 v17, 64, v17
	s_wait_loadcnt 0x1
	s_delay_alu instid0(VALU_DEP_1)
	v_cmp_ge_i32_e64 s2, v123, v0
	scratch_load_b32 v0, off, s32 offset:492 ; 4-byte Folded Reload
	s_wait_loadcnt 0x1
	v_add_nc_u64_e32 v[2:3], 16, v[2:3]
	s_or_b32 s7, s2, s7
	s_wait_loadcnt 0x0
	v_add_nc_u32_e32 v0, 0x100, v0
	scratch_store_b32 off, v0, s32 offset:492 ; 4-byte Folded Spill
	s_wait_xcnt 0x0
	s_and_not1_b32 exec_lo, exec_lo, s7
	s_cbranch_execz .LBB198_779
.LBB198_9:                              ; =>This Inner Loop Header: Depth=1
	scratch_store_b64 off, v[2:3], s32 offset:504 ; 8-byte Folded Spill
	flat_load_b32 v0, v[2:3]
	scratch_load_b64 v[2:3], off, s32 offset:512 ; 8-byte Folded Reload
	v_mov_b64_e32 v[120:121], 0
	s_mov_b32 s16, exec_lo
	s_wait_loadcnt 0x0
	flat_load_b32 v122, v[2:3]
	s_clause 0x1
	scratch_load_b64 v[2:3], off, s32 offset:496
	scratch_load_b64 v[4:5], off, s32 offset:908
	s_wait_loadcnt_dscnt 0x1
	v_mad_nc_i64_i32 v[10:11], v0, v2, v[4:5]
	v_mov_b64_e32 v[2:3], 0
	scratch_store_b64 off, v[2:3], s32 offset:196 ; 8-byte Folded Spill
	flat_load_u16 v1, v[10:11]
	s_wait_loadcnt_dscnt 0x0
	v_and_b32_e32 v0, 0xffff, v1
	v_and_b32_e32 v1, 0xff, v1
	s_wait_xcnt 0x0
	s_delay_alu instid0(VALU_DEP_1)
	v_cmpx_ne_u16_e32 0, v1
	s_cbranch_execz .LBB198_17
; %bb.10:                               ;   in Loop: Header=BB198_9 Depth=1
	v_mov_b64_e32 v[2:3], 0x80000000
	v_and_b32_e32 v1, 0xff, v0
	s_mov_b32 s17, exec_lo
	scratch_store_b64 off, v[2:3], s32 offset:196 ; 8-byte Folded Spill
	s_wait_xcnt 0x0
	v_cmpx_ne_u16_e32 0x80, v1
	s_cbranch_execz .LBB198_16
; %bb.11:                               ;   in Loop: Header=BB198_9 Depth=1
	v_mov_b64_e32 v[4:5], 0x7f800001
	v_and_b32_e32 v2, 0x7f, v0
	s_mov_b32 s18, exec_lo
	scratch_store_b64 off, v[4:5], s32 offset:196 ; 8-byte Folded Spill
	s_wait_xcnt 0x0
	v_cmpx_ne_u32_e32 0x7f, v2
	s_cbranch_execz .LBB198_15
; %bb.12:                               ;   in Loop: Header=BB198_9 Depth=1
	v_dual_lshrrev_b32 v1, 3, v2 :: v_dual_bitop2_b32 v108, 7, v0 bitop3:0x40
	s_mov_b32 s19, exec_lo
	v_cmpx_gt_u32_e32 8, v2
; %bb.13:                               ;   in Loop: Header=BB198_9 Depth=1
	s_delay_alu instid0(VALU_DEP_2) | instskip(NEXT) | instid1(VALU_DEP_1)
	v_clz_i32_u32_e32 v1, v108
	v_min_u32_e32 v1, 32, v1
	s_delay_alu instid0(VALU_DEP_1) | instskip(NEXT) | instid1(VALU_DEP_1)
	v_subrev_nc_u32_e32 v2, 28, v1
	v_lshlrev_b64_e32 v[2:3], v2, v[108:109]
	s_delay_alu instid0(VALU_DEP_1)
	v_dual_sub_nc_u32 v1, 29, v1 :: v_dual_bitop2_b32 v108, 7, v2 bitop3:0x40
; %bb.14:                               ;   in Loop: Header=BB198_9 Depth=1
	s_or_b32 exec_lo, exec_lo, s19
	v_lshlrev_b32_e32 v2, 24, v0
	s_delay_alu instid0(VALU_DEP_2) | instskip(NEXT) | instid1(VALU_DEP_3)
	v_lshlrev_b32_e32 v3, 20, v108
	v_lshl_add_u32 v1, v1, 23, 0x3c000000
	s_delay_alu instid0(VALU_DEP_3) | instskip(NEXT) | instid1(VALU_DEP_1)
	v_and_b32_e32 v2, 0x80000000, v2
	v_or3_b32 v108, v3, v2, v1
	scratch_store_b64 off, v[108:109], s32 offset:196 ; 8-byte Folded Spill
.LBB198_15:                             ;   in Loop: Header=BB198_9 Depth=1
	s_wait_xcnt 0x0
	s_or_b32 exec_lo, exec_lo, s18
.LBB198_16:                             ;   in Loop: Header=BB198_9 Depth=1
	s_delay_alu instid0(SALU_CYCLE_1)
	s_or_b32 exec_lo, exec_lo, s17
.LBB198_17:                             ;   in Loop: Header=BB198_9 Depth=1
	s_delay_alu instid0(SALU_CYCLE_1) | instskip(SKIP_2) | instid1(VALU_DEP_1)
	s_or_b32 exec_lo, exec_lo, s16
	v_lshrrev_b16 v1, 8, v0
	s_mov_b32 s16, exec_lo
	v_cmpx_ne_u16_e32 0, v1
	s_cbranch_execz .LBB198_25
; %bb.18:                               ;   in Loop: Header=BB198_9 Depth=1
	v_mov_b64_e32 v[120:121], 0x8000000000000000
	s_mov_b32 s17, exec_lo
	v_cmpx_ne_u16_e32 0x80, v1
	s_cbranch_execz .LBB198_24
; %bb.19:                               ;   in Loop: Header=BB198_9 Depth=1
	v_and_b32_e32 v1, 0xffff, v1
	v_mov_b64_e32 v[120:121], 0x7f80000100000000
	s_mov_b32 s18, exec_lo
	s_delay_alu instid0(VALU_DEP_2) | instskip(NEXT) | instid1(VALU_DEP_1)
	v_and_b32_e32 v2, 0x7f, v1
	v_cmpx_ne_u32_e32 0x7f, v2
	s_cbranch_execz .LBB198_23
; %bb.20:                               ;   in Loop: Header=BB198_9 Depth=1
	v_dual_lshrrev_b32 v1, 3, v2 :: v_dual_bitop2_b32 v108, 7, v1 bitop3:0x40
	s_mov_b32 s19, exec_lo
	v_cmpx_gt_u32_e32 8, v2
; %bb.21:                               ;   in Loop: Header=BB198_9 Depth=1
	s_delay_alu instid0(VALU_DEP_2) | instskip(NEXT) | instid1(VALU_DEP_1)
	v_clz_i32_u32_e32 v1, v108
	v_min_u32_e32 v1, 32, v1
	s_delay_alu instid0(VALU_DEP_1) | instskip(NEXT) | instid1(VALU_DEP_1)
	v_subrev_nc_u32_e32 v2, 28, v1
	v_lshlrev_b64_e32 v[2:3], v2, v[108:109]
	s_delay_alu instid0(VALU_DEP_1)
	v_dual_sub_nc_u32 v1, 29, v1 :: v_dual_bitop2_b32 v108, 7, v2 bitop3:0x40
; %bb.22:                               ;   in Loop: Header=BB198_9 Depth=1
	s_or_b32 exec_lo, exec_lo, s19
	v_dual_lshlrev_b32 v0, 16, v0 :: v_dual_mov_b32 v120, v109
	s_delay_alu instid0(VALU_DEP_2) | instskip(NEXT) | instid1(VALU_DEP_3)
	v_lshlrev_b32_e32 v2, 20, v108
	v_lshl_add_u32 v1, v1, 23, 0x3c000000
	s_delay_alu instid0(VALU_DEP_3) | instskip(NEXT) | instid1(VALU_DEP_1)
	v_and_b32_e32 v0, 0x80000000, v0
	v_or3_b32 v121, v2, v0, v1
.LBB198_23:                             ;   in Loop: Header=BB198_9 Depth=1
	s_or_b32 exec_lo, exec_lo, s18
.LBB198_24:                             ;   in Loop: Header=BB198_9 Depth=1
	s_delay_alu instid0(SALU_CYCLE_1)
	s_or_b32 exec_lo, exec_lo, s17
.LBB198_25:                             ;   in Loop: Header=BB198_9 Depth=1
	s_delay_alu instid0(SALU_CYCLE_1)
	s_or_b32 exec_lo, exec_lo, s16
	flat_load_u16 v1, v[10:11] offset:4
	v_mov_b64_e32 v[2:3], 0
	s_mov_b32 s16, exec_lo
	scratch_store_b64 off, v[2:3], s32 offset:204 ; 8-byte Folded Spill
	s_wait_xcnt 0x0
	v_mov_b64_e32 v[2:3], 0
	scratch_store_b64 off, v[2:3], s32 offset:212 ; 8-byte Folded Spill
	s_wait_loadcnt_dscnt 0x0
	v_and_b32_e32 v0, 0xffff, v1
	v_and_b32_e32 v1, 0xff, v1
	s_wait_xcnt 0x0
	s_delay_alu instid0(VALU_DEP_1)
	v_cmpx_ne_u16_e32 0, v1
	s_cbranch_execz .LBB198_33
; %bb.26:                               ;   in Loop: Header=BB198_9 Depth=1
	v_mov_b64_e32 v[2:3], 0x80000000
	v_and_b32_e32 v1, 0xff, v0
	s_mov_b32 s17, exec_lo
	scratch_store_b64 off, v[2:3], s32 offset:212 ; 8-byte Folded Spill
	s_wait_xcnt 0x0
	v_cmpx_ne_u16_e32 0x80, v1
	s_cbranch_execz .LBB198_32
; %bb.27:                               ;   in Loop: Header=BB198_9 Depth=1
	v_mov_b64_e32 v[4:5], 0x7f800001
	v_and_b32_e32 v2, 0x7f, v0
	s_mov_b32 s18, exec_lo
	scratch_store_b64 off, v[4:5], s32 offset:212 ; 8-byte Folded Spill
	s_wait_xcnt 0x0
	v_cmpx_ne_u32_e32 0x7f, v2
	s_cbranch_execz .LBB198_31
; %bb.28:                               ;   in Loop: Header=BB198_9 Depth=1
	v_dual_lshrrev_b32 v1, 3, v2 :: v_dual_bitop2_b32 v108, 7, v0 bitop3:0x40
	s_mov_b32 s19, exec_lo
	v_cmpx_gt_u32_e32 8, v2
; %bb.29:                               ;   in Loop: Header=BB198_9 Depth=1
	s_delay_alu instid0(VALU_DEP_2) | instskip(NEXT) | instid1(VALU_DEP_1)
	v_clz_i32_u32_e32 v1, v108
	v_min_u32_e32 v1, 32, v1
	s_delay_alu instid0(VALU_DEP_1) | instskip(NEXT) | instid1(VALU_DEP_1)
	v_subrev_nc_u32_e32 v2, 28, v1
	v_lshlrev_b64_e32 v[2:3], v2, v[108:109]
	s_delay_alu instid0(VALU_DEP_1)
	v_dual_sub_nc_u32 v1, 29, v1 :: v_dual_bitop2_b32 v108, 7, v2 bitop3:0x40
; %bb.30:                               ;   in Loop: Header=BB198_9 Depth=1
	s_or_b32 exec_lo, exec_lo, s19
	v_lshlrev_b32_e32 v2, 24, v0
	s_delay_alu instid0(VALU_DEP_2) | instskip(NEXT) | instid1(VALU_DEP_3)
	v_lshlrev_b32_e32 v3, 20, v108
	v_lshl_add_u32 v1, v1, 23, 0x3c000000
	s_delay_alu instid0(VALU_DEP_3) | instskip(NEXT) | instid1(VALU_DEP_1)
	v_and_b32_e32 v2, 0x80000000, v2
	v_or3_b32 v108, v3, v2, v1
	scratch_store_b64 off, v[108:109], s32 offset:212 ; 8-byte Folded Spill
.LBB198_31:                             ;   in Loop: Header=BB198_9 Depth=1
	s_wait_xcnt 0x0
	s_or_b32 exec_lo, exec_lo, s18
.LBB198_32:                             ;   in Loop: Header=BB198_9 Depth=1
	s_delay_alu instid0(SALU_CYCLE_1)
	s_or_b32 exec_lo, exec_lo, s17
.LBB198_33:                             ;   in Loop: Header=BB198_9 Depth=1
	s_delay_alu instid0(SALU_CYCLE_1) | instskip(SKIP_2) | instid1(VALU_DEP_1)
	s_or_b32 exec_lo, exec_lo, s16
	v_lshrrev_b16 v1, 8, v0
	s_mov_b32 s16, exec_lo
	v_cmpx_ne_u16_e32 0, v1
	s_cbranch_execz .LBB198_41
; %bb.34:                               ;   in Loop: Header=BB198_9 Depth=1
	v_mov_b64_e32 v[2:3], 0x8000000000000000
	s_mov_b32 s17, exec_lo
	scratch_store_b64 off, v[2:3], s32 offset:204 ; 8-byte Folded Spill
	s_wait_xcnt 0x0
	v_cmpx_ne_u16_e32 0x80, v1
	s_cbranch_execz .LBB198_40
; %bb.35:                               ;   in Loop: Header=BB198_9 Depth=1
	v_and_b32_e32 v1, 0xffff, v1
	v_mov_b64_e32 v[4:5], 0x7f80000100000000
	s_mov_b32 s18, exec_lo
	s_delay_alu instid0(VALU_DEP_2)
	v_and_b32_e32 v2, 0x7f, v1
	scratch_store_b64 off, v[4:5], s32 offset:204 ; 8-byte Folded Spill
	s_wait_xcnt 0x0
	v_cmpx_ne_u32_e32 0x7f, v2
	s_cbranch_execz .LBB198_39
; %bb.36:                               ;   in Loop: Header=BB198_9 Depth=1
	v_dual_lshrrev_b32 v1, 3, v2 :: v_dual_bitop2_b32 v108, 7, v1 bitop3:0x40
	s_mov_b32 s19, exec_lo
	v_cmpx_gt_u32_e32 8, v2
; %bb.37:                               ;   in Loop: Header=BB198_9 Depth=1
	s_delay_alu instid0(VALU_DEP_2) | instskip(NEXT) | instid1(VALU_DEP_1)
	v_clz_i32_u32_e32 v1, v108
	v_min_u32_e32 v1, 32, v1
	s_delay_alu instid0(VALU_DEP_1) | instskip(NEXT) | instid1(VALU_DEP_1)
	v_subrev_nc_u32_e32 v2, 28, v1
	v_lshlrev_b64_e32 v[2:3], v2, v[108:109]
	s_delay_alu instid0(VALU_DEP_1)
	v_dual_sub_nc_u32 v1, 29, v1 :: v_dual_bitop2_b32 v108, 7, v2 bitop3:0x40
; %bb.38:                               ;   in Loop: Header=BB198_9 Depth=1
	s_or_b32 exec_lo, exec_lo, s19
	v_lshlrev_b32_e32 v0, 16, v0
	s_delay_alu instid0(VALU_DEP_2) | instskip(NEXT) | instid1(VALU_DEP_3)
	v_lshlrev_b32_e32 v2, 20, v108
	v_lshl_add_u32 v1, v1, 23, 0x3c000000
	s_delay_alu instid0(VALU_DEP_3) | instskip(NEXT) | instid1(VALU_DEP_1)
	v_and_b32_e32 v0, 0x80000000, v0
	v_or3_b32 v1, v2, v0, v1
	v_mov_b32_e32 v0, v109
	scratch_store_b64 off, v[0:1], s32 offset:204 ; 8-byte Folded Spill
.LBB198_39:                             ;   in Loop: Header=BB198_9 Depth=1
	s_wait_xcnt 0x0
	s_or_b32 exec_lo, exec_lo, s18
.LBB198_40:                             ;   in Loop: Header=BB198_9 Depth=1
	s_delay_alu instid0(SALU_CYCLE_1)
	s_or_b32 exec_lo, exec_lo, s17
.LBB198_41:                             ;   in Loop: Header=BB198_9 Depth=1
	s_delay_alu instid0(SALU_CYCLE_1)
	s_or_b32 exec_lo, exec_lo, s16
	flat_load_u16 v1, v[10:11] offset:8
	v_mov_b64_e32 v[2:3], 0
	s_mov_b32 s16, exec_lo
	scratch_store_b64 off, v[2:3], s32 offset:220 ; 8-byte Folded Spill
	s_wait_xcnt 0x0
	v_mov_b64_e32 v[2:3], 0
	scratch_store_b64 off, v[2:3], s32 offset:228 ; 8-byte Folded Spill
	s_wait_loadcnt_dscnt 0x0
	v_and_b32_e32 v0, 0xffff, v1
	v_and_b32_e32 v1, 0xff, v1
	s_wait_xcnt 0x0
	s_delay_alu instid0(VALU_DEP_1)
	v_cmpx_ne_u16_e32 0, v1
	s_cbranch_execz .LBB198_49
; %bb.42:                               ;   in Loop: Header=BB198_9 Depth=1
	v_mov_b64_e32 v[2:3], 0x80000000
	v_and_b32_e32 v1, 0xff, v0
	s_mov_b32 s17, exec_lo
	scratch_store_b64 off, v[2:3], s32 offset:228 ; 8-byte Folded Spill
	s_wait_xcnt 0x0
	v_cmpx_ne_u16_e32 0x80, v1
	s_cbranch_execz .LBB198_48
; %bb.43:                               ;   in Loop: Header=BB198_9 Depth=1
	v_mov_b64_e32 v[4:5], 0x7f800001
	v_and_b32_e32 v2, 0x7f, v0
	s_mov_b32 s18, exec_lo
	scratch_store_b64 off, v[4:5], s32 offset:228 ; 8-byte Folded Spill
	s_wait_xcnt 0x0
	v_cmpx_ne_u32_e32 0x7f, v2
	s_cbranch_execz .LBB198_47
; %bb.44:                               ;   in Loop: Header=BB198_9 Depth=1
	v_dual_lshrrev_b32 v1, 3, v2 :: v_dual_bitop2_b32 v108, 7, v0 bitop3:0x40
	s_mov_b32 s19, exec_lo
	v_cmpx_gt_u32_e32 8, v2
; %bb.45:                               ;   in Loop: Header=BB198_9 Depth=1
	s_delay_alu instid0(VALU_DEP_2) | instskip(NEXT) | instid1(VALU_DEP_1)
	v_clz_i32_u32_e32 v1, v108
	v_min_u32_e32 v1, 32, v1
	s_delay_alu instid0(VALU_DEP_1) | instskip(NEXT) | instid1(VALU_DEP_1)
	v_subrev_nc_u32_e32 v2, 28, v1
	v_lshlrev_b64_e32 v[2:3], v2, v[108:109]
	s_delay_alu instid0(VALU_DEP_1)
	v_dual_sub_nc_u32 v1, 29, v1 :: v_dual_bitop2_b32 v108, 7, v2 bitop3:0x40
; %bb.46:                               ;   in Loop: Header=BB198_9 Depth=1
	s_or_b32 exec_lo, exec_lo, s19
	v_lshlrev_b32_e32 v2, 24, v0
	s_delay_alu instid0(VALU_DEP_2) | instskip(NEXT) | instid1(VALU_DEP_3)
	v_lshlrev_b32_e32 v3, 20, v108
	v_lshl_add_u32 v1, v1, 23, 0x3c000000
	s_delay_alu instid0(VALU_DEP_3) | instskip(NEXT) | instid1(VALU_DEP_1)
	v_and_b32_e32 v2, 0x80000000, v2
	v_or3_b32 v108, v3, v2, v1
	scratch_store_b64 off, v[108:109], s32 offset:228 ; 8-byte Folded Spill
.LBB198_47:                             ;   in Loop: Header=BB198_9 Depth=1
	s_wait_xcnt 0x0
	s_or_b32 exec_lo, exec_lo, s18
.LBB198_48:                             ;   in Loop: Header=BB198_9 Depth=1
	s_delay_alu instid0(SALU_CYCLE_1)
	s_or_b32 exec_lo, exec_lo, s17
.LBB198_49:                             ;   in Loop: Header=BB198_9 Depth=1
	s_delay_alu instid0(SALU_CYCLE_1) | instskip(SKIP_2) | instid1(VALU_DEP_1)
	s_or_b32 exec_lo, exec_lo, s16
	v_lshrrev_b16 v1, 8, v0
	s_mov_b32 s16, exec_lo
	v_cmpx_ne_u16_e32 0, v1
	s_cbranch_execz .LBB198_57
; %bb.50:                               ;   in Loop: Header=BB198_9 Depth=1
	v_mov_b64_e32 v[2:3], 0x8000000000000000
	s_mov_b32 s17, exec_lo
	scratch_store_b64 off, v[2:3], s32 offset:220 ; 8-byte Folded Spill
	s_wait_xcnt 0x0
	v_cmpx_ne_u16_e32 0x80, v1
	s_cbranch_execz .LBB198_56
; %bb.51:                               ;   in Loop: Header=BB198_9 Depth=1
	v_and_b32_e32 v1, 0xffff, v1
	v_mov_b64_e32 v[4:5], 0x7f80000100000000
	s_mov_b32 s18, exec_lo
	s_delay_alu instid0(VALU_DEP_2)
	v_and_b32_e32 v2, 0x7f, v1
	scratch_store_b64 off, v[4:5], s32 offset:220 ; 8-byte Folded Spill
	s_wait_xcnt 0x0
	v_cmpx_ne_u32_e32 0x7f, v2
	s_cbranch_execz .LBB198_55
; %bb.52:                               ;   in Loop: Header=BB198_9 Depth=1
	v_dual_lshrrev_b32 v1, 3, v2 :: v_dual_bitop2_b32 v108, 7, v1 bitop3:0x40
	s_mov_b32 s19, exec_lo
	v_cmpx_gt_u32_e32 8, v2
; %bb.53:                               ;   in Loop: Header=BB198_9 Depth=1
	s_delay_alu instid0(VALU_DEP_2) | instskip(NEXT) | instid1(VALU_DEP_1)
	v_clz_i32_u32_e32 v1, v108
	v_min_u32_e32 v1, 32, v1
	s_delay_alu instid0(VALU_DEP_1) | instskip(NEXT) | instid1(VALU_DEP_1)
	v_subrev_nc_u32_e32 v2, 28, v1
	v_lshlrev_b64_e32 v[2:3], v2, v[108:109]
	s_delay_alu instid0(VALU_DEP_1)
	v_dual_sub_nc_u32 v1, 29, v1 :: v_dual_bitop2_b32 v108, 7, v2 bitop3:0x40
; %bb.54:                               ;   in Loop: Header=BB198_9 Depth=1
	s_or_b32 exec_lo, exec_lo, s19
	v_lshlrev_b32_e32 v0, 16, v0
	s_delay_alu instid0(VALU_DEP_2) | instskip(NEXT) | instid1(VALU_DEP_3)
	v_lshlrev_b32_e32 v2, 20, v108
	v_lshl_add_u32 v1, v1, 23, 0x3c000000
	s_delay_alu instid0(VALU_DEP_3) | instskip(NEXT) | instid1(VALU_DEP_1)
	v_and_b32_e32 v0, 0x80000000, v0
	v_or3_b32 v1, v2, v0, v1
	v_mov_b32_e32 v0, v109
	scratch_store_b64 off, v[0:1], s32 offset:220 ; 8-byte Folded Spill
.LBB198_55:                             ;   in Loop: Header=BB198_9 Depth=1
	s_wait_xcnt 0x0
	s_or_b32 exec_lo, exec_lo, s18
.LBB198_56:                             ;   in Loop: Header=BB198_9 Depth=1
	s_delay_alu instid0(SALU_CYCLE_1)
	s_or_b32 exec_lo, exec_lo, s17
.LBB198_57:                             ;   in Loop: Header=BB198_9 Depth=1
	s_delay_alu instid0(SALU_CYCLE_1)
	s_or_b32 exec_lo, exec_lo, s16
	flat_load_u16 v1, v[10:11] offset:12
	v_mov_b64_e32 v[2:3], 0
	s_mov_b32 s16, exec_lo
	scratch_store_b64 off, v[2:3], s32 offset:236 ; 8-byte Folded Spill
	s_wait_xcnt 0x0
	v_mov_b64_e32 v[2:3], 0
	scratch_store_b64 off, v[2:3], s32 offset:244 ; 8-byte Folded Spill
	s_wait_loadcnt_dscnt 0x0
	v_and_b32_e32 v0, 0xffff, v1
	v_and_b32_e32 v1, 0xff, v1
	s_wait_xcnt 0x0
	s_delay_alu instid0(VALU_DEP_1)
	v_cmpx_ne_u16_e32 0, v1
	s_cbranch_execz .LBB198_65
; %bb.58:                               ;   in Loop: Header=BB198_9 Depth=1
	v_mov_b64_e32 v[2:3], 0x80000000
	v_and_b32_e32 v1, 0xff, v0
	s_mov_b32 s17, exec_lo
	scratch_store_b64 off, v[2:3], s32 offset:244 ; 8-byte Folded Spill
	s_wait_xcnt 0x0
	v_cmpx_ne_u16_e32 0x80, v1
	s_cbranch_execz .LBB198_64
; %bb.59:                               ;   in Loop: Header=BB198_9 Depth=1
	v_mov_b64_e32 v[4:5], 0x7f800001
	v_and_b32_e32 v2, 0x7f, v0
	s_mov_b32 s18, exec_lo
	scratch_store_b64 off, v[4:5], s32 offset:244 ; 8-byte Folded Spill
	s_wait_xcnt 0x0
	v_cmpx_ne_u32_e32 0x7f, v2
	s_cbranch_execz .LBB198_63
; %bb.60:                               ;   in Loop: Header=BB198_9 Depth=1
	v_dual_lshrrev_b32 v1, 3, v2 :: v_dual_bitop2_b32 v108, 7, v0 bitop3:0x40
	s_mov_b32 s19, exec_lo
	v_cmpx_gt_u32_e32 8, v2
; %bb.61:                               ;   in Loop: Header=BB198_9 Depth=1
	s_delay_alu instid0(VALU_DEP_2) | instskip(NEXT) | instid1(VALU_DEP_1)
	v_clz_i32_u32_e32 v1, v108
	v_min_u32_e32 v1, 32, v1
	s_delay_alu instid0(VALU_DEP_1) | instskip(NEXT) | instid1(VALU_DEP_1)
	v_subrev_nc_u32_e32 v2, 28, v1
	v_lshlrev_b64_e32 v[2:3], v2, v[108:109]
	s_delay_alu instid0(VALU_DEP_1)
	v_dual_sub_nc_u32 v1, 29, v1 :: v_dual_bitop2_b32 v108, 7, v2 bitop3:0x40
; %bb.62:                               ;   in Loop: Header=BB198_9 Depth=1
	s_or_b32 exec_lo, exec_lo, s19
	v_lshlrev_b32_e32 v2, 24, v0
	s_delay_alu instid0(VALU_DEP_2) | instskip(NEXT) | instid1(VALU_DEP_3)
	v_lshlrev_b32_e32 v3, 20, v108
	v_lshl_add_u32 v1, v1, 23, 0x3c000000
	s_delay_alu instid0(VALU_DEP_3) | instskip(NEXT) | instid1(VALU_DEP_1)
	v_and_b32_e32 v2, 0x80000000, v2
	v_or3_b32 v108, v3, v2, v1
	scratch_store_b64 off, v[108:109], s32 offset:244 ; 8-byte Folded Spill
.LBB198_63:                             ;   in Loop: Header=BB198_9 Depth=1
	s_wait_xcnt 0x0
	s_or_b32 exec_lo, exec_lo, s18
.LBB198_64:                             ;   in Loop: Header=BB198_9 Depth=1
	s_delay_alu instid0(SALU_CYCLE_1)
	s_or_b32 exec_lo, exec_lo, s17
.LBB198_65:                             ;   in Loop: Header=BB198_9 Depth=1
	s_delay_alu instid0(SALU_CYCLE_1) | instskip(SKIP_2) | instid1(VALU_DEP_1)
	s_or_b32 exec_lo, exec_lo, s16
	v_lshrrev_b16 v1, 8, v0
	s_mov_b32 s16, exec_lo
	v_cmpx_ne_u16_e32 0, v1
	s_cbranch_execz .LBB198_73
; %bb.66:                               ;   in Loop: Header=BB198_9 Depth=1
	v_mov_b64_e32 v[2:3], 0x8000000000000000
	s_mov_b32 s17, exec_lo
	scratch_store_b64 off, v[2:3], s32 offset:236 ; 8-byte Folded Spill
	s_wait_xcnt 0x0
	v_cmpx_ne_u16_e32 0x80, v1
	s_cbranch_execz .LBB198_72
; %bb.67:                               ;   in Loop: Header=BB198_9 Depth=1
	v_and_b32_e32 v1, 0xffff, v1
	v_mov_b64_e32 v[4:5], 0x7f80000100000000
	s_mov_b32 s18, exec_lo
	s_delay_alu instid0(VALU_DEP_2)
	v_and_b32_e32 v2, 0x7f, v1
	scratch_store_b64 off, v[4:5], s32 offset:236 ; 8-byte Folded Spill
	s_wait_xcnt 0x0
	v_cmpx_ne_u32_e32 0x7f, v2
	s_cbranch_execz .LBB198_71
; %bb.68:                               ;   in Loop: Header=BB198_9 Depth=1
	v_dual_lshrrev_b32 v1, 3, v2 :: v_dual_bitop2_b32 v108, 7, v1 bitop3:0x40
	s_mov_b32 s19, exec_lo
	v_cmpx_gt_u32_e32 8, v2
; %bb.69:                               ;   in Loop: Header=BB198_9 Depth=1
	s_delay_alu instid0(VALU_DEP_2) | instskip(NEXT) | instid1(VALU_DEP_1)
	v_clz_i32_u32_e32 v1, v108
	v_min_u32_e32 v1, 32, v1
	s_delay_alu instid0(VALU_DEP_1) | instskip(NEXT) | instid1(VALU_DEP_1)
	v_subrev_nc_u32_e32 v2, 28, v1
	v_lshlrev_b64_e32 v[2:3], v2, v[108:109]
	s_delay_alu instid0(VALU_DEP_1)
	v_dual_sub_nc_u32 v1, 29, v1 :: v_dual_bitop2_b32 v108, 7, v2 bitop3:0x40
; %bb.70:                               ;   in Loop: Header=BB198_9 Depth=1
	s_or_b32 exec_lo, exec_lo, s19
	v_lshlrev_b32_e32 v0, 16, v0
	s_delay_alu instid0(VALU_DEP_2) | instskip(NEXT) | instid1(VALU_DEP_3)
	v_lshlrev_b32_e32 v2, 20, v108
	v_lshl_add_u32 v1, v1, 23, 0x3c000000
	s_delay_alu instid0(VALU_DEP_3) | instskip(NEXT) | instid1(VALU_DEP_1)
	v_and_b32_e32 v0, 0x80000000, v0
	v_or3_b32 v1, v2, v0, v1
	v_mov_b32_e32 v0, v109
	scratch_store_b64 off, v[0:1], s32 offset:236 ; 8-byte Folded Spill
.LBB198_71:                             ;   in Loop: Header=BB198_9 Depth=1
	s_wait_xcnt 0x0
	s_or_b32 exec_lo, exec_lo, s18
.LBB198_72:                             ;   in Loop: Header=BB198_9 Depth=1
	s_delay_alu instid0(SALU_CYCLE_1)
	s_or_b32 exec_lo, exec_lo, s17
.LBB198_73:                             ;   in Loop: Header=BB198_9 Depth=1
	s_delay_alu instid0(SALU_CYCLE_1)
	s_or_b32 exec_lo, exec_lo, s16
	flat_load_u16 v1, v[10:11] offset:256
	v_mov_b64_e32 v[2:3], 0
	s_mov_b32 s16, exec_lo
	scratch_store_b64 off, v[2:3], s32 offset:252 ; 8-byte Folded Spill
	s_wait_xcnt 0x0
	v_mov_b64_e32 v[2:3], 0
	scratch_store_b64 off, v[2:3], s32 offset:260 ; 8-byte Folded Spill
	s_wait_loadcnt_dscnt 0x0
	v_and_b32_e32 v0, 0xffff, v1
	v_and_b32_e32 v1, 0xff, v1
	s_wait_xcnt 0x0
	s_delay_alu instid0(VALU_DEP_1)
	v_cmpx_ne_u16_e32 0, v1
	s_cbranch_execz .LBB198_81
; %bb.74:                               ;   in Loop: Header=BB198_9 Depth=1
	v_mov_b64_e32 v[2:3], 0x80000000
	v_and_b32_e32 v1, 0xff, v0
	s_mov_b32 s17, exec_lo
	scratch_store_b64 off, v[2:3], s32 offset:260 ; 8-byte Folded Spill
	s_wait_xcnt 0x0
	v_cmpx_ne_u16_e32 0x80, v1
	s_cbranch_execz .LBB198_80
; %bb.75:                               ;   in Loop: Header=BB198_9 Depth=1
	v_mov_b64_e32 v[4:5], 0x7f800001
	v_and_b32_e32 v2, 0x7f, v0
	s_mov_b32 s18, exec_lo
	scratch_store_b64 off, v[4:5], s32 offset:260 ; 8-byte Folded Spill
	s_wait_xcnt 0x0
	v_cmpx_ne_u32_e32 0x7f, v2
	s_cbranch_execz .LBB198_79
; %bb.76:                               ;   in Loop: Header=BB198_9 Depth=1
	v_dual_lshrrev_b32 v1, 3, v2 :: v_dual_bitop2_b32 v108, 7, v0 bitop3:0x40
	s_mov_b32 s19, exec_lo
	v_cmpx_gt_u32_e32 8, v2
; %bb.77:                               ;   in Loop: Header=BB198_9 Depth=1
	s_delay_alu instid0(VALU_DEP_2) | instskip(NEXT) | instid1(VALU_DEP_1)
	v_clz_i32_u32_e32 v1, v108
	v_min_u32_e32 v1, 32, v1
	s_delay_alu instid0(VALU_DEP_1) | instskip(NEXT) | instid1(VALU_DEP_1)
	v_subrev_nc_u32_e32 v2, 28, v1
	v_lshlrev_b64_e32 v[2:3], v2, v[108:109]
	s_delay_alu instid0(VALU_DEP_1)
	v_dual_sub_nc_u32 v1, 29, v1 :: v_dual_bitop2_b32 v108, 7, v2 bitop3:0x40
; %bb.78:                               ;   in Loop: Header=BB198_9 Depth=1
	s_or_b32 exec_lo, exec_lo, s19
	v_lshlrev_b32_e32 v2, 24, v0
	s_delay_alu instid0(VALU_DEP_2) | instskip(NEXT) | instid1(VALU_DEP_3)
	v_lshlrev_b32_e32 v3, 20, v108
	v_lshl_add_u32 v1, v1, 23, 0x3c000000
	s_delay_alu instid0(VALU_DEP_3) | instskip(NEXT) | instid1(VALU_DEP_1)
	v_and_b32_e32 v2, 0x80000000, v2
	v_or3_b32 v108, v3, v2, v1
	scratch_store_b64 off, v[108:109], s32 offset:260 ; 8-byte Folded Spill
.LBB198_79:                             ;   in Loop: Header=BB198_9 Depth=1
	s_wait_xcnt 0x0
	s_or_b32 exec_lo, exec_lo, s18
.LBB198_80:                             ;   in Loop: Header=BB198_9 Depth=1
	s_delay_alu instid0(SALU_CYCLE_1)
	s_or_b32 exec_lo, exec_lo, s17
.LBB198_81:                             ;   in Loop: Header=BB198_9 Depth=1
	s_delay_alu instid0(SALU_CYCLE_1) | instskip(SKIP_2) | instid1(VALU_DEP_1)
	s_or_b32 exec_lo, exec_lo, s16
	v_lshrrev_b16 v1, 8, v0
	s_mov_b32 s16, exec_lo
	v_cmpx_ne_u16_e32 0, v1
	s_cbranch_execz .LBB198_89
; %bb.82:                               ;   in Loop: Header=BB198_9 Depth=1
	v_mov_b64_e32 v[2:3], 0x8000000000000000
	s_mov_b32 s17, exec_lo
	scratch_store_b64 off, v[2:3], s32 offset:252 ; 8-byte Folded Spill
	s_wait_xcnt 0x0
	v_cmpx_ne_u16_e32 0x80, v1
	s_cbranch_execz .LBB198_88
; %bb.83:                               ;   in Loop: Header=BB198_9 Depth=1
	v_and_b32_e32 v1, 0xffff, v1
	v_mov_b64_e32 v[4:5], 0x7f80000100000000
	s_mov_b32 s18, exec_lo
	s_delay_alu instid0(VALU_DEP_2)
	v_and_b32_e32 v2, 0x7f, v1
	scratch_store_b64 off, v[4:5], s32 offset:252 ; 8-byte Folded Spill
	s_wait_xcnt 0x0
	v_cmpx_ne_u32_e32 0x7f, v2
	s_cbranch_execz .LBB198_87
; %bb.84:                               ;   in Loop: Header=BB198_9 Depth=1
	v_dual_lshrrev_b32 v1, 3, v2 :: v_dual_bitop2_b32 v108, 7, v1 bitop3:0x40
	s_mov_b32 s19, exec_lo
	v_cmpx_gt_u32_e32 8, v2
; %bb.85:                               ;   in Loop: Header=BB198_9 Depth=1
	s_delay_alu instid0(VALU_DEP_2) | instskip(NEXT) | instid1(VALU_DEP_1)
	v_clz_i32_u32_e32 v1, v108
	v_min_u32_e32 v1, 32, v1
	s_delay_alu instid0(VALU_DEP_1) | instskip(NEXT) | instid1(VALU_DEP_1)
	v_subrev_nc_u32_e32 v2, 28, v1
	v_lshlrev_b64_e32 v[2:3], v2, v[108:109]
	s_delay_alu instid0(VALU_DEP_1)
	v_dual_sub_nc_u32 v1, 29, v1 :: v_dual_bitop2_b32 v108, 7, v2 bitop3:0x40
; %bb.86:                               ;   in Loop: Header=BB198_9 Depth=1
	s_or_b32 exec_lo, exec_lo, s19
	v_lshlrev_b32_e32 v0, 16, v0
	s_delay_alu instid0(VALU_DEP_2) | instskip(NEXT) | instid1(VALU_DEP_3)
	v_lshlrev_b32_e32 v2, 20, v108
	v_lshl_add_u32 v1, v1, 23, 0x3c000000
	s_delay_alu instid0(VALU_DEP_3) | instskip(NEXT) | instid1(VALU_DEP_1)
	v_and_b32_e32 v0, 0x80000000, v0
	v_or3_b32 v1, v2, v0, v1
	v_mov_b32_e32 v0, v109
	scratch_store_b64 off, v[0:1], s32 offset:252 ; 8-byte Folded Spill
.LBB198_87:                             ;   in Loop: Header=BB198_9 Depth=1
	s_wait_xcnt 0x0
	s_or_b32 exec_lo, exec_lo, s18
.LBB198_88:                             ;   in Loop: Header=BB198_9 Depth=1
	s_delay_alu instid0(SALU_CYCLE_1)
	s_or_b32 exec_lo, exec_lo, s17
.LBB198_89:                             ;   in Loop: Header=BB198_9 Depth=1
	s_delay_alu instid0(SALU_CYCLE_1)
	s_or_b32 exec_lo, exec_lo, s16
	flat_load_u16 v1, v[10:11] offset:260
	v_mov_b64_e32 v[2:3], 0
	s_mov_b32 s16, exec_lo
	scratch_store_b64 off, v[2:3], s32 offset:268 ; 8-byte Folded Spill
	s_wait_xcnt 0x0
	v_mov_b64_e32 v[2:3], 0
	scratch_store_b64 off, v[2:3], s32 offset:276 ; 8-byte Folded Spill
	s_wait_loadcnt_dscnt 0x0
	v_and_b32_e32 v0, 0xffff, v1
	v_and_b32_e32 v1, 0xff, v1
	s_wait_xcnt 0x0
	s_delay_alu instid0(VALU_DEP_1)
	v_cmpx_ne_u16_e32 0, v1
	s_cbranch_execz .LBB198_97
; %bb.90:                               ;   in Loop: Header=BB198_9 Depth=1
	v_mov_b64_e32 v[2:3], 0x80000000
	v_and_b32_e32 v1, 0xff, v0
	s_mov_b32 s17, exec_lo
	scratch_store_b64 off, v[2:3], s32 offset:276 ; 8-byte Folded Spill
	s_wait_xcnt 0x0
	v_cmpx_ne_u16_e32 0x80, v1
	s_cbranch_execz .LBB198_96
; %bb.91:                               ;   in Loop: Header=BB198_9 Depth=1
	v_mov_b64_e32 v[4:5], 0x7f800001
	v_and_b32_e32 v2, 0x7f, v0
	s_mov_b32 s18, exec_lo
	scratch_store_b64 off, v[4:5], s32 offset:276 ; 8-byte Folded Spill
	s_wait_xcnt 0x0
	v_cmpx_ne_u32_e32 0x7f, v2
	s_cbranch_execz .LBB198_95
; %bb.92:                               ;   in Loop: Header=BB198_9 Depth=1
	v_dual_lshrrev_b32 v1, 3, v2 :: v_dual_bitop2_b32 v108, 7, v0 bitop3:0x40
	s_mov_b32 s19, exec_lo
	v_cmpx_gt_u32_e32 8, v2
; %bb.93:                               ;   in Loop: Header=BB198_9 Depth=1
	s_delay_alu instid0(VALU_DEP_2) | instskip(NEXT) | instid1(VALU_DEP_1)
	v_clz_i32_u32_e32 v1, v108
	v_min_u32_e32 v1, 32, v1
	s_delay_alu instid0(VALU_DEP_1) | instskip(NEXT) | instid1(VALU_DEP_1)
	v_subrev_nc_u32_e32 v2, 28, v1
	v_lshlrev_b64_e32 v[2:3], v2, v[108:109]
	s_delay_alu instid0(VALU_DEP_1)
	v_dual_sub_nc_u32 v1, 29, v1 :: v_dual_bitop2_b32 v108, 7, v2 bitop3:0x40
; %bb.94:                               ;   in Loop: Header=BB198_9 Depth=1
	s_or_b32 exec_lo, exec_lo, s19
	v_lshlrev_b32_e32 v2, 24, v0
	s_delay_alu instid0(VALU_DEP_2) | instskip(NEXT) | instid1(VALU_DEP_3)
	v_lshlrev_b32_e32 v3, 20, v108
	v_lshl_add_u32 v1, v1, 23, 0x3c000000
	s_delay_alu instid0(VALU_DEP_3) | instskip(NEXT) | instid1(VALU_DEP_1)
	v_and_b32_e32 v2, 0x80000000, v2
	v_or3_b32 v108, v3, v2, v1
	scratch_store_b64 off, v[108:109], s32 offset:276 ; 8-byte Folded Spill
.LBB198_95:                             ;   in Loop: Header=BB198_9 Depth=1
	s_wait_xcnt 0x0
	s_or_b32 exec_lo, exec_lo, s18
.LBB198_96:                             ;   in Loop: Header=BB198_9 Depth=1
	s_delay_alu instid0(SALU_CYCLE_1)
	s_or_b32 exec_lo, exec_lo, s17
.LBB198_97:                             ;   in Loop: Header=BB198_9 Depth=1
	s_delay_alu instid0(SALU_CYCLE_1) | instskip(SKIP_2) | instid1(VALU_DEP_1)
	s_or_b32 exec_lo, exec_lo, s16
	v_lshrrev_b16 v1, 8, v0
	s_mov_b32 s16, exec_lo
	v_cmpx_ne_u16_e32 0, v1
	s_cbranch_execz .LBB198_105
; %bb.98:                               ;   in Loop: Header=BB198_9 Depth=1
	v_mov_b64_e32 v[2:3], 0x8000000000000000
	s_mov_b32 s17, exec_lo
	scratch_store_b64 off, v[2:3], s32 offset:268 ; 8-byte Folded Spill
	s_wait_xcnt 0x0
	v_cmpx_ne_u16_e32 0x80, v1
	s_cbranch_execz .LBB198_104
; %bb.99:                               ;   in Loop: Header=BB198_9 Depth=1
	v_and_b32_e32 v1, 0xffff, v1
	v_mov_b64_e32 v[4:5], 0x7f80000100000000
	s_mov_b32 s18, exec_lo
	s_delay_alu instid0(VALU_DEP_2)
	v_and_b32_e32 v2, 0x7f, v1
	scratch_store_b64 off, v[4:5], s32 offset:268 ; 8-byte Folded Spill
	s_wait_xcnt 0x0
	v_cmpx_ne_u32_e32 0x7f, v2
	s_cbranch_execz .LBB198_103
; %bb.100:                              ;   in Loop: Header=BB198_9 Depth=1
	v_dual_lshrrev_b32 v1, 3, v2 :: v_dual_bitop2_b32 v108, 7, v1 bitop3:0x40
	s_mov_b32 s19, exec_lo
	v_cmpx_gt_u32_e32 8, v2
; %bb.101:                              ;   in Loop: Header=BB198_9 Depth=1
	s_delay_alu instid0(VALU_DEP_2) | instskip(NEXT) | instid1(VALU_DEP_1)
	v_clz_i32_u32_e32 v1, v108
	v_min_u32_e32 v1, 32, v1
	s_delay_alu instid0(VALU_DEP_1) | instskip(NEXT) | instid1(VALU_DEP_1)
	v_subrev_nc_u32_e32 v2, 28, v1
	v_lshlrev_b64_e32 v[2:3], v2, v[108:109]
	s_delay_alu instid0(VALU_DEP_1)
	v_dual_sub_nc_u32 v1, 29, v1 :: v_dual_bitop2_b32 v108, 7, v2 bitop3:0x40
; %bb.102:                              ;   in Loop: Header=BB198_9 Depth=1
	s_or_b32 exec_lo, exec_lo, s19
	v_lshlrev_b32_e32 v0, 16, v0
	s_delay_alu instid0(VALU_DEP_2) | instskip(NEXT) | instid1(VALU_DEP_3)
	v_lshlrev_b32_e32 v2, 20, v108
	v_lshl_add_u32 v1, v1, 23, 0x3c000000
	s_delay_alu instid0(VALU_DEP_3) | instskip(NEXT) | instid1(VALU_DEP_1)
	v_and_b32_e32 v0, 0x80000000, v0
	v_or3_b32 v1, v2, v0, v1
	v_mov_b32_e32 v0, v109
	scratch_store_b64 off, v[0:1], s32 offset:268 ; 8-byte Folded Spill
.LBB198_103:                            ;   in Loop: Header=BB198_9 Depth=1
	s_wait_xcnt 0x0
	s_or_b32 exec_lo, exec_lo, s18
.LBB198_104:                            ;   in Loop: Header=BB198_9 Depth=1
	s_delay_alu instid0(SALU_CYCLE_1)
	s_or_b32 exec_lo, exec_lo, s17
.LBB198_105:                            ;   in Loop: Header=BB198_9 Depth=1
	s_delay_alu instid0(SALU_CYCLE_1)
	s_or_b32 exec_lo, exec_lo, s16
	flat_load_u16 v1, v[10:11] offset:264
	v_mov_b64_e32 v[2:3], 0
	s_mov_b32 s16, exec_lo
	scratch_store_b64 off, v[2:3], s32 offset:284 ; 8-byte Folded Spill
	s_wait_xcnt 0x0
	v_mov_b64_e32 v[2:3], 0
	scratch_store_b64 off, v[2:3], s32 offset:292 ; 8-byte Folded Spill
	s_wait_loadcnt_dscnt 0x0
	v_and_b32_e32 v0, 0xffff, v1
	v_and_b32_e32 v1, 0xff, v1
	s_wait_xcnt 0x0
	s_delay_alu instid0(VALU_DEP_1)
	v_cmpx_ne_u16_e32 0, v1
	s_cbranch_execz .LBB198_113
; %bb.106:                              ;   in Loop: Header=BB198_9 Depth=1
	v_mov_b64_e32 v[2:3], 0x80000000
	v_and_b32_e32 v1, 0xff, v0
	s_mov_b32 s17, exec_lo
	scratch_store_b64 off, v[2:3], s32 offset:292 ; 8-byte Folded Spill
	s_wait_xcnt 0x0
	v_cmpx_ne_u16_e32 0x80, v1
	s_cbranch_execz .LBB198_112
; %bb.107:                              ;   in Loop: Header=BB198_9 Depth=1
	v_mov_b64_e32 v[4:5], 0x7f800001
	v_and_b32_e32 v2, 0x7f, v0
	s_mov_b32 s18, exec_lo
	scratch_store_b64 off, v[4:5], s32 offset:292 ; 8-byte Folded Spill
	s_wait_xcnt 0x0
	v_cmpx_ne_u32_e32 0x7f, v2
	s_cbranch_execz .LBB198_111
; %bb.108:                              ;   in Loop: Header=BB198_9 Depth=1
	v_dual_lshrrev_b32 v1, 3, v2 :: v_dual_bitop2_b32 v108, 7, v0 bitop3:0x40
	s_mov_b32 s19, exec_lo
	v_cmpx_gt_u32_e32 8, v2
; %bb.109:                              ;   in Loop: Header=BB198_9 Depth=1
	s_delay_alu instid0(VALU_DEP_2) | instskip(NEXT) | instid1(VALU_DEP_1)
	v_clz_i32_u32_e32 v1, v108
	v_min_u32_e32 v1, 32, v1
	s_delay_alu instid0(VALU_DEP_1) | instskip(NEXT) | instid1(VALU_DEP_1)
	v_subrev_nc_u32_e32 v2, 28, v1
	v_lshlrev_b64_e32 v[2:3], v2, v[108:109]
	s_delay_alu instid0(VALU_DEP_1)
	v_dual_sub_nc_u32 v1, 29, v1 :: v_dual_bitop2_b32 v108, 7, v2 bitop3:0x40
; %bb.110:                              ;   in Loop: Header=BB198_9 Depth=1
	s_or_b32 exec_lo, exec_lo, s19
	v_lshlrev_b32_e32 v2, 24, v0
	s_delay_alu instid0(VALU_DEP_2) | instskip(NEXT) | instid1(VALU_DEP_3)
	v_lshlrev_b32_e32 v3, 20, v108
	v_lshl_add_u32 v1, v1, 23, 0x3c000000
	s_delay_alu instid0(VALU_DEP_3) | instskip(NEXT) | instid1(VALU_DEP_1)
	v_and_b32_e32 v2, 0x80000000, v2
	v_or3_b32 v108, v3, v2, v1
	scratch_store_b64 off, v[108:109], s32 offset:292 ; 8-byte Folded Spill
.LBB198_111:                            ;   in Loop: Header=BB198_9 Depth=1
	s_wait_xcnt 0x0
	s_or_b32 exec_lo, exec_lo, s18
.LBB198_112:                            ;   in Loop: Header=BB198_9 Depth=1
	s_delay_alu instid0(SALU_CYCLE_1)
	s_or_b32 exec_lo, exec_lo, s17
.LBB198_113:                            ;   in Loop: Header=BB198_9 Depth=1
	s_delay_alu instid0(SALU_CYCLE_1) | instskip(SKIP_2) | instid1(VALU_DEP_1)
	s_or_b32 exec_lo, exec_lo, s16
	v_lshrrev_b16 v1, 8, v0
	s_mov_b32 s16, exec_lo
	v_cmpx_ne_u16_e32 0, v1
	s_cbranch_execz .LBB198_121
; %bb.114:                              ;   in Loop: Header=BB198_9 Depth=1
	v_mov_b64_e32 v[2:3], 0x8000000000000000
	s_mov_b32 s17, exec_lo
	scratch_store_b64 off, v[2:3], s32 offset:284 ; 8-byte Folded Spill
	s_wait_xcnt 0x0
	v_cmpx_ne_u16_e32 0x80, v1
	s_cbranch_execz .LBB198_120
; %bb.115:                              ;   in Loop: Header=BB198_9 Depth=1
	v_and_b32_e32 v1, 0xffff, v1
	v_mov_b64_e32 v[4:5], 0x7f80000100000000
	s_mov_b32 s18, exec_lo
	s_delay_alu instid0(VALU_DEP_2)
	v_and_b32_e32 v2, 0x7f, v1
	scratch_store_b64 off, v[4:5], s32 offset:284 ; 8-byte Folded Spill
	s_wait_xcnt 0x0
	v_cmpx_ne_u32_e32 0x7f, v2
	s_cbranch_execz .LBB198_119
; %bb.116:                              ;   in Loop: Header=BB198_9 Depth=1
	v_dual_lshrrev_b32 v1, 3, v2 :: v_dual_bitop2_b32 v108, 7, v1 bitop3:0x40
	s_mov_b32 s19, exec_lo
	v_cmpx_gt_u32_e32 8, v2
; %bb.117:                              ;   in Loop: Header=BB198_9 Depth=1
	s_delay_alu instid0(VALU_DEP_2) | instskip(NEXT) | instid1(VALU_DEP_1)
	v_clz_i32_u32_e32 v1, v108
	v_min_u32_e32 v1, 32, v1
	s_delay_alu instid0(VALU_DEP_1) | instskip(NEXT) | instid1(VALU_DEP_1)
	v_subrev_nc_u32_e32 v2, 28, v1
	v_lshlrev_b64_e32 v[2:3], v2, v[108:109]
	s_delay_alu instid0(VALU_DEP_1)
	v_dual_sub_nc_u32 v1, 29, v1 :: v_dual_bitop2_b32 v108, 7, v2 bitop3:0x40
; %bb.118:                              ;   in Loop: Header=BB198_9 Depth=1
	s_or_b32 exec_lo, exec_lo, s19
	v_lshlrev_b32_e32 v0, 16, v0
	s_delay_alu instid0(VALU_DEP_2) | instskip(NEXT) | instid1(VALU_DEP_3)
	v_lshlrev_b32_e32 v2, 20, v108
	v_lshl_add_u32 v1, v1, 23, 0x3c000000
	s_delay_alu instid0(VALU_DEP_3) | instskip(NEXT) | instid1(VALU_DEP_1)
	v_and_b32_e32 v0, 0x80000000, v0
	v_or3_b32 v1, v2, v0, v1
	v_mov_b32_e32 v0, v109
	scratch_store_b64 off, v[0:1], s32 offset:284 ; 8-byte Folded Spill
.LBB198_119:                            ;   in Loop: Header=BB198_9 Depth=1
	s_wait_xcnt 0x0
	s_or_b32 exec_lo, exec_lo, s18
.LBB198_120:                            ;   in Loop: Header=BB198_9 Depth=1
	s_delay_alu instid0(SALU_CYCLE_1)
	s_or_b32 exec_lo, exec_lo, s17
.LBB198_121:                            ;   in Loop: Header=BB198_9 Depth=1
	s_delay_alu instid0(SALU_CYCLE_1)
	s_or_b32 exec_lo, exec_lo, s16
	flat_load_u16 v1, v[10:11] offset:268
	v_mov_b64_e32 v[2:3], 0
	s_mov_b32 s16, exec_lo
	scratch_store_b64 off, v[2:3], s32 offset:300 ; 8-byte Folded Spill
	s_wait_xcnt 0x0
	v_mov_b64_e32 v[2:3], 0
	scratch_store_b64 off, v[2:3], s32 offset:308 ; 8-byte Folded Spill
	s_wait_loadcnt_dscnt 0x0
	v_and_b32_e32 v0, 0xffff, v1
	v_and_b32_e32 v1, 0xff, v1
	s_wait_xcnt 0x0
	s_delay_alu instid0(VALU_DEP_1)
	v_cmpx_ne_u16_e32 0, v1
	s_cbranch_execz .LBB198_129
; %bb.122:                              ;   in Loop: Header=BB198_9 Depth=1
	v_mov_b64_e32 v[2:3], 0x80000000
	v_and_b32_e32 v1, 0xff, v0
	s_mov_b32 s17, exec_lo
	scratch_store_b64 off, v[2:3], s32 offset:308 ; 8-byte Folded Spill
	s_wait_xcnt 0x0
	v_cmpx_ne_u16_e32 0x80, v1
	s_cbranch_execz .LBB198_128
; %bb.123:                              ;   in Loop: Header=BB198_9 Depth=1
	v_mov_b64_e32 v[4:5], 0x7f800001
	v_and_b32_e32 v2, 0x7f, v0
	s_mov_b32 s18, exec_lo
	scratch_store_b64 off, v[4:5], s32 offset:308 ; 8-byte Folded Spill
	s_wait_xcnt 0x0
	v_cmpx_ne_u32_e32 0x7f, v2
	s_cbranch_execz .LBB198_127
; %bb.124:                              ;   in Loop: Header=BB198_9 Depth=1
	v_dual_lshrrev_b32 v1, 3, v2 :: v_dual_bitop2_b32 v108, 7, v0 bitop3:0x40
	s_mov_b32 s19, exec_lo
	v_cmpx_gt_u32_e32 8, v2
; %bb.125:                              ;   in Loop: Header=BB198_9 Depth=1
	s_delay_alu instid0(VALU_DEP_2) | instskip(NEXT) | instid1(VALU_DEP_1)
	v_clz_i32_u32_e32 v1, v108
	v_min_u32_e32 v1, 32, v1
	s_delay_alu instid0(VALU_DEP_1) | instskip(NEXT) | instid1(VALU_DEP_1)
	v_subrev_nc_u32_e32 v2, 28, v1
	v_lshlrev_b64_e32 v[2:3], v2, v[108:109]
	s_delay_alu instid0(VALU_DEP_1)
	v_dual_sub_nc_u32 v1, 29, v1 :: v_dual_bitop2_b32 v108, 7, v2 bitop3:0x40
; %bb.126:                              ;   in Loop: Header=BB198_9 Depth=1
	s_or_b32 exec_lo, exec_lo, s19
	v_lshlrev_b32_e32 v2, 24, v0
	s_delay_alu instid0(VALU_DEP_2) | instskip(NEXT) | instid1(VALU_DEP_3)
	v_lshlrev_b32_e32 v3, 20, v108
	v_lshl_add_u32 v1, v1, 23, 0x3c000000
	s_delay_alu instid0(VALU_DEP_3) | instskip(NEXT) | instid1(VALU_DEP_1)
	v_and_b32_e32 v2, 0x80000000, v2
	v_or3_b32 v108, v3, v2, v1
	scratch_store_b64 off, v[108:109], s32 offset:308 ; 8-byte Folded Spill
.LBB198_127:                            ;   in Loop: Header=BB198_9 Depth=1
	s_wait_xcnt 0x0
	s_or_b32 exec_lo, exec_lo, s18
.LBB198_128:                            ;   in Loop: Header=BB198_9 Depth=1
	s_delay_alu instid0(SALU_CYCLE_1)
	s_or_b32 exec_lo, exec_lo, s17
.LBB198_129:                            ;   in Loop: Header=BB198_9 Depth=1
	s_delay_alu instid0(SALU_CYCLE_1) | instskip(SKIP_2) | instid1(VALU_DEP_1)
	s_or_b32 exec_lo, exec_lo, s16
	v_lshrrev_b16 v1, 8, v0
	s_mov_b32 s16, exec_lo
	v_cmpx_ne_u16_e32 0, v1
	s_cbranch_execz .LBB198_137
; %bb.130:                              ;   in Loop: Header=BB198_9 Depth=1
	v_mov_b64_e32 v[2:3], 0x8000000000000000
	s_mov_b32 s17, exec_lo
	scratch_store_b64 off, v[2:3], s32 offset:300 ; 8-byte Folded Spill
	s_wait_xcnt 0x0
	v_cmpx_ne_u16_e32 0x80, v1
	s_cbranch_execz .LBB198_136
; %bb.131:                              ;   in Loop: Header=BB198_9 Depth=1
	v_and_b32_e32 v1, 0xffff, v1
	v_mov_b64_e32 v[4:5], 0x7f80000100000000
	s_mov_b32 s18, exec_lo
	s_delay_alu instid0(VALU_DEP_2)
	v_and_b32_e32 v2, 0x7f, v1
	scratch_store_b64 off, v[4:5], s32 offset:300 ; 8-byte Folded Spill
	s_wait_xcnt 0x0
	v_cmpx_ne_u32_e32 0x7f, v2
	s_cbranch_execz .LBB198_135
; %bb.132:                              ;   in Loop: Header=BB198_9 Depth=1
	v_dual_lshrrev_b32 v1, 3, v2 :: v_dual_bitop2_b32 v108, 7, v1 bitop3:0x40
	s_mov_b32 s19, exec_lo
	v_cmpx_gt_u32_e32 8, v2
; %bb.133:                              ;   in Loop: Header=BB198_9 Depth=1
	s_delay_alu instid0(VALU_DEP_2) | instskip(NEXT) | instid1(VALU_DEP_1)
	v_clz_i32_u32_e32 v1, v108
	v_min_u32_e32 v1, 32, v1
	s_delay_alu instid0(VALU_DEP_1) | instskip(NEXT) | instid1(VALU_DEP_1)
	v_subrev_nc_u32_e32 v2, 28, v1
	v_lshlrev_b64_e32 v[2:3], v2, v[108:109]
	s_delay_alu instid0(VALU_DEP_1)
	v_dual_sub_nc_u32 v1, 29, v1 :: v_dual_bitop2_b32 v108, 7, v2 bitop3:0x40
; %bb.134:                              ;   in Loop: Header=BB198_9 Depth=1
	s_or_b32 exec_lo, exec_lo, s19
	v_lshlrev_b32_e32 v0, 16, v0
	s_delay_alu instid0(VALU_DEP_2) | instskip(NEXT) | instid1(VALU_DEP_3)
	v_lshlrev_b32_e32 v2, 20, v108
	v_lshl_add_u32 v1, v1, 23, 0x3c000000
	s_delay_alu instid0(VALU_DEP_3) | instskip(NEXT) | instid1(VALU_DEP_1)
	v_and_b32_e32 v0, 0x80000000, v0
	v_or3_b32 v1, v2, v0, v1
	v_mov_b32_e32 v0, v109
	scratch_store_b64 off, v[0:1], s32 offset:300 ; 8-byte Folded Spill
.LBB198_135:                            ;   in Loop: Header=BB198_9 Depth=1
	s_wait_xcnt 0x0
	s_or_b32 exec_lo, exec_lo, s18
.LBB198_136:                            ;   in Loop: Header=BB198_9 Depth=1
	s_delay_alu instid0(SALU_CYCLE_1)
	s_or_b32 exec_lo, exec_lo, s17
.LBB198_137:                            ;   in Loop: Header=BB198_9 Depth=1
	s_delay_alu instid0(SALU_CYCLE_1)
	s_or_b32 exec_lo, exec_lo, s16
	flat_load_u16 v1, v[10:11] offset:512
	v_mov_b64_e32 v[2:3], 0
	s_mov_b32 s16, exec_lo
	scratch_store_b64 off, v[2:3], s32 offset:316 ; 8-byte Folded Spill
	s_wait_xcnt 0x0
	v_mov_b64_e32 v[2:3], 0
	scratch_store_b64 off, v[2:3], s32 offset:324 ; 8-byte Folded Spill
	s_wait_loadcnt_dscnt 0x0
	v_and_b32_e32 v0, 0xffff, v1
	v_and_b32_e32 v1, 0xff, v1
	s_wait_xcnt 0x0
	s_delay_alu instid0(VALU_DEP_1)
	v_cmpx_ne_u16_e32 0, v1
	s_cbranch_execz .LBB198_145
; %bb.138:                              ;   in Loop: Header=BB198_9 Depth=1
	v_mov_b64_e32 v[2:3], 0x80000000
	v_and_b32_e32 v1, 0xff, v0
	s_mov_b32 s17, exec_lo
	scratch_store_b64 off, v[2:3], s32 offset:324 ; 8-byte Folded Spill
	s_wait_xcnt 0x0
	v_cmpx_ne_u16_e32 0x80, v1
	s_cbranch_execz .LBB198_144
; %bb.139:                              ;   in Loop: Header=BB198_9 Depth=1
	v_mov_b64_e32 v[4:5], 0x7f800001
	v_and_b32_e32 v2, 0x7f, v0
	s_mov_b32 s18, exec_lo
	scratch_store_b64 off, v[4:5], s32 offset:324 ; 8-byte Folded Spill
	s_wait_xcnt 0x0
	v_cmpx_ne_u32_e32 0x7f, v2
	s_cbranch_execz .LBB198_143
; %bb.140:                              ;   in Loop: Header=BB198_9 Depth=1
	v_dual_lshrrev_b32 v1, 3, v2 :: v_dual_bitop2_b32 v108, 7, v0 bitop3:0x40
	s_mov_b32 s19, exec_lo
	v_cmpx_gt_u32_e32 8, v2
; %bb.141:                              ;   in Loop: Header=BB198_9 Depth=1
	s_delay_alu instid0(VALU_DEP_2) | instskip(NEXT) | instid1(VALU_DEP_1)
	v_clz_i32_u32_e32 v1, v108
	v_min_u32_e32 v1, 32, v1
	s_delay_alu instid0(VALU_DEP_1) | instskip(NEXT) | instid1(VALU_DEP_1)
	v_subrev_nc_u32_e32 v2, 28, v1
	v_lshlrev_b64_e32 v[2:3], v2, v[108:109]
	s_delay_alu instid0(VALU_DEP_1)
	v_dual_sub_nc_u32 v1, 29, v1 :: v_dual_bitop2_b32 v108, 7, v2 bitop3:0x40
; %bb.142:                              ;   in Loop: Header=BB198_9 Depth=1
	s_or_b32 exec_lo, exec_lo, s19
	v_lshlrev_b32_e32 v2, 24, v0
	s_delay_alu instid0(VALU_DEP_2) | instskip(NEXT) | instid1(VALU_DEP_3)
	v_lshlrev_b32_e32 v3, 20, v108
	v_lshl_add_u32 v1, v1, 23, 0x3c000000
	s_delay_alu instid0(VALU_DEP_3) | instskip(NEXT) | instid1(VALU_DEP_1)
	v_and_b32_e32 v2, 0x80000000, v2
	v_or3_b32 v108, v3, v2, v1
	scratch_store_b64 off, v[108:109], s32 offset:324 ; 8-byte Folded Spill
.LBB198_143:                            ;   in Loop: Header=BB198_9 Depth=1
	s_wait_xcnt 0x0
	s_or_b32 exec_lo, exec_lo, s18
.LBB198_144:                            ;   in Loop: Header=BB198_9 Depth=1
	s_delay_alu instid0(SALU_CYCLE_1)
	s_or_b32 exec_lo, exec_lo, s17
.LBB198_145:                            ;   in Loop: Header=BB198_9 Depth=1
	s_delay_alu instid0(SALU_CYCLE_1) | instskip(SKIP_2) | instid1(VALU_DEP_1)
	s_or_b32 exec_lo, exec_lo, s16
	v_lshrrev_b16 v1, 8, v0
	s_mov_b32 s16, exec_lo
	v_cmpx_ne_u16_e32 0, v1
	s_cbranch_execz .LBB198_153
; %bb.146:                              ;   in Loop: Header=BB198_9 Depth=1
	v_mov_b64_e32 v[2:3], 0x8000000000000000
	s_mov_b32 s17, exec_lo
	scratch_store_b64 off, v[2:3], s32 offset:316 ; 8-byte Folded Spill
	s_wait_xcnt 0x0
	v_cmpx_ne_u16_e32 0x80, v1
	s_cbranch_execz .LBB198_152
; %bb.147:                              ;   in Loop: Header=BB198_9 Depth=1
	v_and_b32_e32 v1, 0xffff, v1
	v_mov_b64_e32 v[4:5], 0x7f80000100000000
	s_mov_b32 s18, exec_lo
	s_delay_alu instid0(VALU_DEP_2)
	v_and_b32_e32 v2, 0x7f, v1
	scratch_store_b64 off, v[4:5], s32 offset:316 ; 8-byte Folded Spill
	s_wait_xcnt 0x0
	v_cmpx_ne_u32_e32 0x7f, v2
	s_cbranch_execz .LBB198_151
; %bb.148:                              ;   in Loop: Header=BB198_9 Depth=1
	v_dual_lshrrev_b32 v1, 3, v2 :: v_dual_bitop2_b32 v108, 7, v1 bitop3:0x40
	s_mov_b32 s19, exec_lo
	v_cmpx_gt_u32_e32 8, v2
; %bb.149:                              ;   in Loop: Header=BB198_9 Depth=1
	s_delay_alu instid0(VALU_DEP_2) | instskip(NEXT) | instid1(VALU_DEP_1)
	v_clz_i32_u32_e32 v1, v108
	v_min_u32_e32 v1, 32, v1
	s_delay_alu instid0(VALU_DEP_1) | instskip(NEXT) | instid1(VALU_DEP_1)
	v_subrev_nc_u32_e32 v2, 28, v1
	v_lshlrev_b64_e32 v[2:3], v2, v[108:109]
	s_delay_alu instid0(VALU_DEP_1)
	v_dual_sub_nc_u32 v1, 29, v1 :: v_dual_bitop2_b32 v108, 7, v2 bitop3:0x40
; %bb.150:                              ;   in Loop: Header=BB198_9 Depth=1
	s_or_b32 exec_lo, exec_lo, s19
	v_lshlrev_b32_e32 v0, 16, v0
	s_delay_alu instid0(VALU_DEP_2) | instskip(NEXT) | instid1(VALU_DEP_3)
	v_lshlrev_b32_e32 v2, 20, v108
	v_lshl_add_u32 v1, v1, 23, 0x3c000000
	s_delay_alu instid0(VALU_DEP_3) | instskip(NEXT) | instid1(VALU_DEP_1)
	v_and_b32_e32 v0, 0x80000000, v0
	v_or3_b32 v1, v2, v0, v1
	v_mov_b32_e32 v0, v109
	scratch_store_b64 off, v[0:1], s32 offset:316 ; 8-byte Folded Spill
.LBB198_151:                            ;   in Loop: Header=BB198_9 Depth=1
	s_wait_xcnt 0x0
	s_or_b32 exec_lo, exec_lo, s18
.LBB198_152:                            ;   in Loop: Header=BB198_9 Depth=1
	s_delay_alu instid0(SALU_CYCLE_1)
	s_or_b32 exec_lo, exec_lo, s17
.LBB198_153:                            ;   in Loop: Header=BB198_9 Depth=1
	s_delay_alu instid0(SALU_CYCLE_1)
	s_or_b32 exec_lo, exec_lo, s16
	flat_load_u16 v1, v[10:11] offset:516
	v_mov_b64_e32 v[2:3], 0
	s_mov_b32 s16, exec_lo
	scratch_store_b64 off, v[2:3], s32 offset:332 ; 8-byte Folded Spill
	s_wait_xcnt 0x0
	v_mov_b64_e32 v[2:3], 0
	scratch_store_b64 off, v[2:3], s32 offset:340 ; 8-byte Folded Spill
	s_wait_loadcnt_dscnt 0x0
	v_and_b32_e32 v0, 0xffff, v1
	v_and_b32_e32 v1, 0xff, v1
	s_wait_xcnt 0x0
	s_delay_alu instid0(VALU_DEP_1)
	v_cmpx_ne_u16_e32 0, v1
	s_cbranch_execz .LBB198_161
; %bb.154:                              ;   in Loop: Header=BB198_9 Depth=1
	v_mov_b64_e32 v[2:3], 0x80000000
	v_and_b32_e32 v1, 0xff, v0
	s_mov_b32 s17, exec_lo
	scratch_store_b64 off, v[2:3], s32 offset:340 ; 8-byte Folded Spill
	s_wait_xcnt 0x0
	v_cmpx_ne_u16_e32 0x80, v1
	s_cbranch_execz .LBB198_160
; %bb.155:                              ;   in Loop: Header=BB198_9 Depth=1
	v_mov_b64_e32 v[4:5], 0x7f800001
	v_and_b32_e32 v2, 0x7f, v0
	s_mov_b32 s18, exec_lo
	scratch_store_b64 off, v[4:5], s32 offset:340 ; 8-byte Folded Spill
	s_wait_xcnt 0x0
	v_cmpx_ne_u32_e32 0x7f, v2
	s_cbranch_execz .LBB198_159
; %bb.156:                              ;   in Loop: Header=BB198_9 Depth=1
	v_dual_lshrrev_b32 v1, 3, v2 :: v_dual_bitop2_b32 v108, 7, v0 bitop3:0x40
	s_mov_b32 s19, exec_lo
	v_cmpx_gt_u32_e32 8, v2
; %bb.157:                              ;   in Loop: Header=BB198_9 Depth=1
	s_delay_alu instid0(VALU_DEP_2) | instskip(NEXT) | instid1(VALU_DEP_1)
	v_clz_i32_u32_e32 v1, v108
	v_min_u32_e32 v1, 32, v1
	s_delay_alu instid0(VALU_DEP_1) | instskip(NEXT) | instid1(VALU_DEP_1)
	v_subrev_nc_u32_e32 v2, 28, v1
	v_lshlrev_b64_e32 v[2:3], v2, v[108:109]
	s_delay_alu instid0(VALU_DEP_1)
	v_dual_sub_nc_u32 v1, 29, v1 :: v_dual_bitop2_b32 v108, 7, v2 bitop3:0x40
; %bb.158:                              ;   in Loop: Header=BB198_9 Depth=1
	s_or_b32 exec_lo, exec_lo, s19
	v_lshlrev_b32_e32 v2, 24, v0
	s_delay_alu instid0(VALU_DEP_2) | instskip(NEXT) | instid1(VALU_DEP_3)
	v_lshlrev_b32_e32 v3, 20, v108
	v_lshl_add_u32 v1, v1, 23, 0x3c000000
	s_delay_alu instid0(VALU_DEP_3) | instskip(NEXT) | instid1(VALU_DEP_1)
	v_and_b32_e32 v2, 0x80000000, v2
	v_or3_b32 v108, v3, v2, v1
	scratch_store_b64 off, v[108:109], s32 offset:340 ; 8-byte Folded Spill
.LBB198_159:                            ;   in Loop: Header=BB198_9 Depth=1
	s_wait_xcnt 0x0
	s_or_b32 exec_lo, exec_lo, s18
.LBB198_160:                            ;   in Loop: Header=BB198_9 Depth=1
	s_delay_alu instid0(SALU_CYCLE_1)
	s_or_b32 exec_lo, exec_lo, s17
.LBB198_161:                            ;   in Loop: Header=BB198_9 Depth=1
	s_delay_alu instid0(SALU_CYCLE_1) | instskip(SKIP_2) | instid1(VALU_DEP_1)
	s_or_b32 exec_lo, exec_lo, s16
	v_lshrrev_b16 v1, 8, v0
	s_mov_b32 s16, exec_lo
	v_cmpx_ne_u16_e32 0, v1
	s_cbranch_execz .LBB198_169
; %bb.162:                              ;   in Loop: Header=BB198_9 Depth=1
	v_mov_b64_e32 v[2:3], 0x8000000000000000
	s_mov_b32 s17, exec_lo
	scratch_store_b64 off, v[2:3], s32 offset:332 ; 8-byte Folded Spill
	s_wait_xcnt 0x0
	v_cmpx_ne_u16_e32 0x80, v1
	s_cbranch_execz .LBB198_168
; %bb.163:                              ;   in Loop: Header=BB198_9 Depth=1
	v_and_b32_e32 v1, 0xffff, v1
	v_mov_b64_e32 v[4:5], 0x7f80000100000000
	s_mov_b32 s18, exec_lo
	s_delay_alu instid0(VALU_DEP_2)
	v_and_b32_e32 v2, 0x7f, v1
	scratch_store_b64 off, v[4:5], s32 offset:332 ; 8-byte Folded Spill
	s_wait_xcnt 0x0
	v_cmpx_ne_u32_e32 0x7f, v2
	s_cbranch_execz .LBB198_167
; %bb.164:                              ;   in Loop: Header=BB198_9 Depth=1
	v_dual_lshrrev_b32 v1, 3, v2 :: v_dual_bitop2_b32 v108, 7, v1 bitop3:0x40
	s_mov_b32 s19, exec_lo
	v_cmpx_gt_u32_e32 8, v2
; %bb.165:                              ;   in Loop: Header=BB198_9 Depth=1
	s_delay_alu instid0(VALU_DEP_2) | instskip(NEXT) | instid1(VALU_DEP_1)
	v_clz_i32_u32_e32 v1, v108
	v_min_u32_e32 v1, 32, v1
	s_delay_alu instid0(VALU_DEP_1) | instskip(NEXT) | instid1(VALU_DEP_1)
	v_subrev_nc_u32_e32 v2, 28, v1
	v_lshlrev_b64_e32 v[2:3], v2, v[108:109]
	s_delay_alu instid0(VALU_DEP_1)
	v_dual_sub_nc_u32 v1, 29, v1 :: v_dual_bitop2_b32 v108, 7, v2 bitop3:0x40
; %bb.166:                              ;   in Loop: Header=BB198_9 Depth=1
	s_or_b32 exec_lo, exec_lo, s19
	v_lshlrev_b32_e32 v0, 16, v0
	s_delay_alu instid0(VALU_DEP_2) | instskip(NEXT) | instid1(VALU_DEP_3)
	v_lshlrev_b32_e32 v2, 20, v108
	v_lshl_add_u32 v1, v1, 23, 0x3c000000
	s_delay_alu instid0(VALU_DEP_3) | instskip(NEXT) | instid1(VALU_DEP_1)
	v_and_b32_e32 v0, 0x80000000, v0
	v_or3_b32 v1, v2, v0, v1
	v_mov_b32_e32 v0, v109
	scratch_store_b64 off, v[0:1], s32 offset:332 ; 8-byte Folded Spill
.LBB198_167:                            ;   in Loop: Header=BB198_9 Depth=1
	s_wait_xcnt 0x0
	s_or_b32 exec_lo, exec_lo, s18
.LBB198_168:                            ;   in Loop: Header=BB198_9 Depth=1
	s_delay_alu instid0(SALU_CYCLE_1)
	s_or_b32 exec_lo, exec_lo, s17
.LBB198_169:                            ;   in Loop: Header=BB198_9 Depth=1
	s_delay_alu instid0(SALU_CYCLE_1)
	s_or_b32 exec_lo, exec_lo, s16
	flat_load_u16 v1, v[10:11] offset:520
	v_mov_b64_e32 v[2:3], 0
	s_mov_b32 s16, exec_lo
	scratch_store_b64 off, v[2:3], s32 offset:348 ; 8-byte Folded Spill
	s_wait_xcnt 0x0
	v_mov_b64_e32 v[2:3], 0
	scratch_store_b64 off, v[2:3], s32 offset:356 ; 8-byte Folded Spill
	s_wait_loadcnt_dscnt 0x0
	v_and_b32_e32 v0, 0xffff, v1
	v_and_b32_e32 v1, 0xff, v1
	s_wait_xcnt 0x0
	s_delay_alu instid0(VALU_DEP_1)
	v_cmpx_ne_u16_e32 0, v1
	s_cbranch_execz .LBB198_177
; %bb.170:                              ;   in Loop: Header=BB198_9 Depth=1
	v_mov_b64_e32 v[2:3], 0x80000000
	v_and_b32_e32 v1, 0xff, v0
	s_mov_b32 s17, exec_lo
	scratch_store_b64 off, v[2:3], s32 offset:356 ; 8-byte Folded Spill
	s_wait_xcnt 0x0
	v_cmpx_ne_u16_e32 0x80, v1
	s_cbranch_execz .LBB198_176
; %bb.171:                              ;   in Loop: Header=BB198_9 Depth=1
	v_mov_b64_e32 v[4:5], 0x7f800001
	v_and_b32_e32 v2, 0x7f, v0
	s_mov_b32 s18, exec_lo
	scratch_store_b64 off, v[4:5], s32 offset:356 ; 8-byte Folded Spill
	s_wait_xcnt 0x0
	v_cmpx_ne_u32_e32 0x7f, v2
	s_cbranch_execz .LBB198_175
; %bb.172:                              ;   in Loop: Header=BB198_9 Depth=1
	v_dual_lshrrev_b32 v1, 3, v2 :: v_dual_bitop2_b32 v108, 7, v0 bitop3:0x40
	s_mov_b32 s19, exec_lo
	v_cmpx_gt_u32_e32 8, v2
; %bb.173:                              ;   in Loop: Header=BB198_9 Depth=1
	s_delay_alu instid0(VALU_DEP_2) | instskip(NEXT) | instid1(VALU_DEP_1)
	v_clz_i32_u32_e32 v1, v108
	v_min_u32_e32 v1, 32, v1
	s_delay_alu instid0(VALU_DEP_1) | instskip(NEXT) | instid1(VALU_DEP_1)
	v_subrev_nc_u32_e32 v2, 28, v1
	v_lshlrev_b64_e32 v[2:3], v2, v[108:109]
	s_delay_alu instid0(VALU_DEP_1)
	v_dual_sub_nc_u32 v1, 29, v1 :: v_dual_bitop2_b32 v108, 7, v2 bitop3:0x40
; %bb.174:                              ;   in Loop: Header=BB198_9 Depth=1
	s_or_b32 exec_lo, exec_lo, s19
	v_lshlrev_b32_e32 v2, 24, v0
	s_delay_alu instid0(VALU_DEP_2) | instskip(NEXT) | instid1(VALU_DEP_3)
	v_lshlrev_b32_e32 v3, 20, v108
	v_lshl_add_u32 v1, v1, 23, 0x3c000000
	s_delay_alu instid0(VALU_DEP_3) | instskip(NEXT) | instid1(VALU_DEP_1)
	v_and_b32_e32 v2, 0x80000000, v2
	v_or3_b32 v108, v3, v2, v1
	scratch_store_b64 off, v[108:109], s32 offset:356 ; 8-byte Folded Spill
.LBB198_175:                            ;   in Loop: Header=BB198_9 Depth=1
	s_wait_xcnt 0x0
	s_or_b32 exec_lo, exec_lo, s18
.LBB198_176:                            ;   in Loop: Header=BB198_9 Depth=1
	s_delay_alu instid0(SALU_CYCLE_1)
	s_or_b32 exec_lo, exec_lo, s17
.LBB198_177:                            ;   in Loop: Header=BB198_9 Depth=1
	s_delay_alu instid0(SALU_CYCLE_1) | instskip(SKIP_2) | instid1(VALU_DEP_1)
	s_or_b32 exec_lo, exec_lo, s16
	v_lshrrev_b16 v1, 8, v0
	s_mov_b32 s16, exec_lo
	v_cmpx_ne_u16_e32 0, v1
	s_cbranch_execz .LBB198_185
; %bb.178:                              ;   in Loop: Header=BB198_9 Depth=1
	v_mov_b64_e32 v[2:3], 0x8000000000000000
	s_mov_b32 s17, exec_lo
	scratch_store_b64 off, v[2:3], s32 offset:348 ; 8-byte Folded Spill
	s_wait_xcnt 0x0
	v_cmpx_ne_u16_e32 0x80, v1
	s_cbranch_execz .LBB198_184
; %bb.179:                              ;   in Loop: Header=BB198_9 Depth=1
	v_and_b32_e32 v1, 0xffff, v1
	v_mov_b64_e32 v[4:5], 0x7f80000100000000
	s_mov_b32 s18, exec_lo
	s_delay_alu instid0(VALU_DEP_2)
	v_and_b32_e32 v2, 0x7f, v1
	scratch_store_b64 off, v[4:5], s32 offset:348 ; 8-byte Folded Spill
	s_wait_xcnt 0x0
	v_cmpx_ne_u32_e32 0x7f, v2
	s_cbranch_execz .LBB198_183
; %bb.180:                              ;   in Loop: Header=BB198_9 Depth=1
	v_dual_lshrrev_b32 v1, 3, v2 :: v_dual_bitop2_b32 v108, 7, v1 bitop3:0x40
	s_mov_b32 s19, exec_lo
	v_cmpx_gt_u32_e32 8, v2
; %bb.181:                              ;   in Loop: Header=BB198_9 Depth=1
	s_delay_alu instid0(VALU_DEP_2) | instskip(NEXT) | instid1(VALU_DEP_1)
	v_clz_i32_u32_e32 v1, v108
	v_min_u32_e32 v1, 32, v1
	s_delay_alu instid0(VALU_DEP_1) | instskip(NEXT) | instid1(VALU_DEP_1)
	v_subrev_nc_u32_e32 v2, 28, v1
	v_lshlrev_b64_e32 v[2:3], v2, v[108:109]
	s_delay_alu instid0(VALU_DEP_1)
	v_dual_sub_nc_u32 v1, 29, v1 :: v_dual_bitop2_b32 v108, 7, v2 bitop3:0x40
; %bb.182:                              ;   in Loop: Header=BB198_9 Depth=1
	s_or_b32 exec_lo, exec_lo, s19
	v_lshlrev_b32_e32 v0, 16, v0
	s_delay_alu instid0(VALU_DEP_2) | instskip(NEXT) | instid1(VALU_DEP_3)
	v_lshlrev_b32_e32 v2, 20, v108
	v_lshl_add_u32 v1, v1, 23, 0x3c000000
	s_delay_alu instid0(VALU_DEP_3) | instskip(NEXT) | instid1(VALU_DEP_1)
	v_and_b32_e32 v0, 0x80000000, v0
	v_or3_b32 v1, v2, v0, v1
	v_mov_b32_e32 v0, v109
	scratch_store_b64 off, v[0:1], s32 offset:348 ; 8-byte Folded Spill
.LBB198_183:                            ;   in Loop: Header=BB198_9 Depth=1
	s_wait_xcnt 0x0
	s_or_b32 exec_lo, exec_lo, s18
.LBB198_184:                            ;   in Loop: Header=BB198_9 Depth=1
	s_delay_alu instid0(SALU_CYCLE_1)
	s_or_b32 exec_lo, exec_lo, s17
.LBB198_185:                            ;   in Loop: Header=BB198_9 Depth=1
	s_delay_alu instid0(SALU_CYCLE_1)
	s_or_b32 exec_lo, exec_lo, s16
	flat_load_u16 v1, v[10:11] offset:524
	v_mov_b64_e32 v[2:3], 0
	s_mov_b32 s16, exec_lo
	scratch_store_b64 off, v[2:3], s32 offset:364 ; 8-byte Folded Spill
	s_wait_xcnt 0x0
	v_mov_b64_e32 v[2:3], 0
	scratch_store_b64 off, v[2:3], s32 offset:372 ; 8-byte Folded Spill
	s_wait_loadcnt_dscnt 0x0
	v_and_b32_e32 v0, 0xffff, v1
	v_and_b32_e32 v1, 0xff, v1
	s_wait_xcnt 0x0
	s_delay_alu instid0(VALU_DEP_1)
	v_cmpx_ne_u16_e32 0, v1
	s_cbranch_execz .LBB198_193
; %bb.186:                              ;   in Loop: Header=BB198_9 Depth=1
	v_mov_b64_e32 v[2:3], 0x80000000
	v_and_b32_e32 v1, 0xff, v0
	s_mov_b32 s17, exec_lo
	scratch_store_b64 off, v[2:3], s32 offset:372 ; 8-byte Folded Spill
	s_wait_xcnt 0x0
	v_cmpx_ne_u16_e32 0x80, v1
	s_cbranch_execz .LBB198_192
; %bb.187:                              ;   in Loop: Header=BB198_9 Depth=1
	v_mov_b64_e32 v[4:5], 0x7f800001
	v_and_b32_e32 v2, 0x7f, v0
	s_mov_b32 s18, exec_lo
	scratch_store_b64 off, v[4:5], s32 offset:372 ; 8-byte Folded Spill
	s_wait_xcnt 0x0
	v_cmpx_ne_u32_e32 0x7f, v2
	s_cbranch_execz .LBB198_191
; %bb.188:                              ;   in Loop: Header=BB198_9 Depth=1
	v_dual_lshrrev_b32 v1, 3, v2 :: v_dual_bitop2_b32 v108, 7, v0 bitop3:0x40
	s_mov_b32 s19, exec_lo
	v_cmpx_gt_u32_e32 8, v2
; %bb.189:                              ;   in Loop: Header=BB198_9 Depth=1
	s_delay_alu instid0(VALU_DEP_2) | instskip(NEXT) | instid1(VALU_DEP_1)
	v_clz_i32_u32_e32 v1, v108
	v_min_u32_e32 v1, 32, v1
	s_delay_alu instid0(VALU_DEP_1) | instskip(NEXT) | instid1(VALU_DEP_1)
	v_subrev_nc_u32_e32 v2, 28, v1
	v_lshlrev_b64_e32 v[2:3], v2, v[108:109]
	s_delay_alu instid0(VALU_DEP_1)
	v_dual_sub_nc_u32 v1, 29, v1 :: v_dual_bitop2_b32 v108, 7, v2 bitop3:0x40
; %bb.190:                              ;   in Loop: Header=BB198_9 Depth=1
	s_or_b32 exec_lo, exec_lo, s19
	v_lshlrev_b32_e32 v2, 24, v0
	s_delay_alu instid0(VALU_DEP_2) | instskip(NEXT) | instid1(VALU_DEP_3)
	v_lshlrev_b32_e32 v3, 20, v108
	v_lshl_add_u32 v1, v1, 23, 0x3c000000
	s_delay_alu instid0(VALU_DEP_3) | instskip(NEXT) | instid1(VALU_DEP_1)
	v_and_b32_e32 v2, 0x80000000, v2
	v_or3_b32 v108, v3, v2, v1
	scratch_store_b64 off, v[108:109], s32 offset:372 ; 8-byte Folded Spill
.LBB198_191:                            ;   in Loop: Header=BB198_9 Depth=1
	s_wait_xcnt 0x0
	s_or_b32 exec_lo, exec_lo, s18
.LBB198_192:                            ;   in Loop: Header=BB198_9 Depth=1
	s_delay_alu instid0(SALU_CYCLE_1)
	s_or_b32 exec_lo, exec_lo, s17
.LBB198_193:                            ;   in Loop: Header=BB198_9 Depth=1
	s_delay_alu instid0(SALU_CYCLE_1) | instskip(SKIP_2) | instid1(VALU_DEP_1)
	s_or_b32 exec_lo, exec_lo, s16
	v_lshrrev_b16 v1, 8, v0
	s_mov_b32 s16, exec_lo
	v_cmpx_ne_u16_e32 0, v1
	s_cbranch_execz .LBB198_201
; %bb.194:                              ;   in Loop: Header=BB198_9 Depth=1
	v_mov_b64_e32 v[2:3], 0x8000000000000000
	s_mov_b32 s17, exec_lo
	scratch_store_b64 off, v[2:3], s32 offset:364 ; 8-byte Folded Spill
	s_wait_xcnt 0x0
	v_cmpx_ne_u16_e32 0x80, v1
	s_cbranch_execz .LBB198_200
; %bb.195:                              ;   in Loop: Header=BB198_9 Depth=1
	v_and_b32_e32 v1, 0xffff, v1
	v_mov_b64_e32 v[4:5], 0x7f80000100000000
	s_mov_b32 s18, exec_lo
	s_delay_alu instid0(VALU_DEP_2)
	v_and_b32_e32 v2, 0x7f, v1
	scratch_store_b64 off, v[4:5], s32 offset:364 ; 8-byte Folded Spill
	s_wait_xcnt 0x0
	v_cmpx_ne_u32_e32 0x7f, v2
	s_cbranch_execz .LBB198_199
; %bb.196:                              ;   in Loop: Header=BB198_9 Depth=1
	v_dual_lshrrev_b32 v1, 3, v2 :: v_dual_bitop2_b32 v108, 7, v1 bitop3:0x40
	s_mov_b32 s19, exec_lo
	v_cmpx_gt_u32_e32 8, v2
; %bb.197:                              ;   in Loop: Header=BB198_9 Depth=1
	s_delay_alu instid0(VALU_DEP_2) | instskip(NEXT) | instid1(VALU_DEP_1)
	v_clz_i32_u32_e32 v1, v108
	v_min_u32_e32 v1, 32, v1
	s_delay_alu instid0(VALU_DEP_1) | instskip(NEXT) | instid1(VALU_DEP_1)
	v_subrev_nc_u32_e32 v2, 28, v1
	v_lshlrev_b64_e32 v[2:3], v2, v[108:109]
	s_delay_alu instid0(VALU_DEP_1)
	v_dual_sub_nc_u32 v1, 29, v1 :: v_dual_bitop2_b32 v108, 7, v2 bitop3:0x40
; %bb.198:                              ;   in Loop: Header=BB198_9 Depth=1
	s_or_b32 exec_lo, exec_lo, s19
	v_lshlrev_b32_e32 v0, 16, v0
	s_delay_alu instid0(VALU_DEP_2) | instskip(NEXT) | instid1(VALU_DEP_3)
	v_lshlrev_b32_e32 v2, 20, v108
	v_lshl_add_u32 v1, v1, 23, 0x3c000000
	s_delay_alu instid0(VALU_DEP_3) | instskip(NEXT) | instid1(VALU_DEP_1)
	v_and_b32_e32 v0, 0x80000000, v0
	v_or3_b32 v1, v2, v0, v1
	v_mov_b32_e32 v0, v109
	scratch_store_b64 off, v[0:1], s32 offset:364 ; 8-byte Folded Spill
.LBB198_199:                            ;   in Loop: Header=BB198_9 Depth=1
	s_wait_xcnt 0x0
	s_or_b32 exec_lo, exec_lo, s18
.LBB198_200:                            ;   in Loop: Header=BB198_9 Depth=1
	s_delay_alu instid0(SALU_CYCLE_1)
	s_or_b32 exec_lo, exec_lo, s17
.LBB198_201:                            ;   in Loop: Header=BB198_9 Depth=1
	s_delay_alu instid0(SALU_CYCLE_1)
	s_or_b32 exec_lo, exec_lo, s16
	flat_load_u16 v1, v[10:11] offset:768
	v_mov_b64_e32 v[2:3], 0
	s_mov_b32 s16, exec_lo
	scratch_store_b64 off, v[2:3], s32 offset:380 ; 8-byte Folded Spill
	s_wait_xcnt 0x0
	v_mov_b64_e32 v[2:3], 0
	scratch_store_b64 off, v[2:3], s32 offset:388 ; 8-byte Folded Spill
	s_wait_loadcnt_dscnt 0x0
	v_and_b32_e32 v0, 0xffff, v1
	v_and_b32_e32 v1, 0xff, v1
	s_wait_xcnt 0x0
	s_delay_alu instid0(VALU_DEP_1)
	v_cmpx_ne_u16_e32 0, v1
	s_cbranch_execz .LBB198_209
; %bb.202:                              ;   in Loop: Header=BB198_9 Depth=1
	v_mov_b64_e32 v[2:3], 0x80000000
	v_and_b32_e32 v1, 0xff, v0
	s_mov_b32 s17, exec_lo
	scratch_store_b64 off, v[2:3], s32 offset:388 ; 8-byte Folded Spill
	s_wait_xcnt 0x0
	v_cmpx_ne_u16_e32 0x80, v1
	s_cbranch_execz .LBB198_208
; %bb.203:                              ;   in Loop: Header=BB198_9 Depth=1
	v_mov_b64_e32 v[4:5], 0x7f800001
	v_and_b32_e32 v2, 0x7f, v0
	s_mov_b32 s18, exec_lo
	scratch_store_b64 off, v[4:5], s32 offset:388 ; 8-byte Folded Spill
	s_wait_xcnt 0x0
	v_cmpx_ne_u32_e32 0x7f, v2
	s_cbranch_execz .LBB198_207
; %bb.204:                              ;   in Loop: Header=BB198_9 Depth=1
	v_dual_lshrrev_b32 v1, 3, v2 :: v_dual_bitop2_b32 v108, 7, v0 bitop3:0x40
	s_mov_b32 s19, exec_lo
	v_cmpx_gt_u32_e32 8, v2
; %bb.205:                              ;   in Loop: Header=BB198_9 Depth=1
	s_delay_alu instid0(VALU_DEP_2) | instskip(NEXT) | instid1(VALU_DEP_1)
	v_clz_i32_u32_e32 v1, v108
	v_min_u32_e32 v1, 32, v1
	s_delay_alu instid0(VALU_DEP_1) | instskip(NEXT) | instid1(VALU_DEP_1)
	v_subrev_nc_u32_e32 v2, 28, v1
	v_lshlrev_b64_e32 v[2:3], v2, v[108:109]
	s_delay_alu instid0(VALU_DEP_1)
	v_dual_sub_nc_u32 v1, 29, v1 :: v_dual_bitop2_b32 v108, 7, v2 bitop3:0x40
; %bb.206:                              ;   in Loop: Header=BB198_9 Depth=1
	s_or_b32 exec_lo, exec_lo, s19
	v_lshlrev_b32_e32 v2, 24, v0
	s_delay_alu instid0(VALU_DEP_2) | instskip(NEXT) | instid1(VALU_DEP_3)
	v_lshlrev_b32_e32 v3, 20, v108
	v_lshl_add_u32 v1, v1, 23, 0x3c000000
	s_delay_alu instid0(VALU_DEP_3) | instskip(NEXT) | instid1(VALU_DEP_1)
	v_and_b32_e32 v2, 0x80000000, v2
	v_or3_b32 v108, v3, v2, v1
	scratch_store_b64 off, v[108:109], s32 offset:388 ; 8-byte Folded Spill
.LBB198_207:                            ;   in Loop: Header=BB198_9 Depth=1
	s_wait_xcnt 0x0
	s_or_b32 exec_lo, exec_lo, s18
.LBB198_208:                            ;   in Loop: Header=BB198_9 Depth=1
	s_delay_alu instid0(SALU_CYCLE_1)
	s_or_b32 exec_lo, exec_lo, s17
.LBB198_209:                            ;   in Loop: Header=BB198_9 Depth=1
	s_delay_alu instid0(SALU_CYCLE_1) | instskip(SKIP_2) | instid1(VALU_DEP_1)
	s_or_b32 exec_lo, exec_lo, s16
	v_lshrrev_b16 v1, 8, v0
	s_mov_b32 s16, exec_lo
	v_cmpx_ne_u16_e32 0, v1
	s_cbranch_execz .LBB198_217
; %bb.210:                              ;   in Loop: Header=BB198_9 Depth=1
	v_mov_b64_e32 v[2:3], 0x8000000000000000
	s_mov_b32 s17, exec_lo
	scratch_store_b64 off, v[2:3], s32 offset:380 ; 8-byte Folded Spill
	s_wait_xcnt 0x0
	v_cmpx_ne_u16_e32 0x80, v1
	s_cbranch_execz .LBB198_216
; %bb.211:                              ;   in Loop: Header=BB198_9 Depth=1
	v_and_b32_e32 v1, 0xffff, v1
	v_mov_b64_e32 v[4:5], 0x7f80000100000000
	s_mov_b32 s18, exec_lo
	s_delay_alu instid0(VALU_DEP_2)
	v_and_b32_e32 v2, 0x7f, v1
	scratch_store_b64 off, v[4:5], s32 offset:380 ; 8-byte Folded Spill
	s_wait_xcnt 0x0
	v_cmpx_ne_u32_e32 0x7f, v2
	s_cbranch_execz .LBB198_215
; %bb.212:                              ;   in Loop: Header=BB198_9 Depth=1
	v_dual_lshrrev_b32 v1, 3, v2 :: v_dual_bitop2_b32 v108, 7, v1 bitop3:0x40
	s_mov_b32 s19, exec_lo
	v_cmpx_gt_u32_e32 8, v2
; %bb.213:                              ;   in Loop: Header=BB198_9 Depth=1
	s_delay_alu instid0(VALU_DEP_2) | instskip(NEXT) | instid1(VALU_DEP_1)
	v_clz_i32_u32_e32 v1, v108
	v_min_u32_e32 v1, 32, v1
	s_delay_alu instid0(VALU_DEP_1) | instskip(NEXT) | instid1(VALU_DEP_1)
	v_subrev_nc_u32_e32 v2, 28, v1
	v_lshlrev_b64_e32 v[2:3], v2, v[108:109]
	s_delay_alu instid0(VALU_DEP_1)
	v_dual_sub_nc_u32 v1, 29, v1 :: v_dual_bitop2_b32 v108, 7, v2 bitop3:0x40
; %bb.214:                              ;   in Loop: Header=BB198_9 Depth=1
	s_or_b32 exec_lo, exec_lo, s19
	v_lshlrev_b32_e32 v0, 16, v0
	s_delay_alu instid0(VALU_DEP_2) | instskip(NEXT) | instid1(VALU_DEP_3)
	v_lshlrev_b32_e32 v2, 20, v108
	v_lshl_add_u32 v1, v1, 23, 0x3c000000
	s_delay_alu instid0(VALU_DEP_3) | instskip(NEXT) | instid1(VALU_DEP_1)
	v_and_b32_e32 v0, 0x80000000, v0
	v_or3_b32 v1, v2, v0, v1
	v_mov_b32_e32 v0, v109
	scratch_store_b64 off, v[0:1], s32 offset:380 ; 8-byte Folded Spill
.LBB198_215:                            ;   in Loop: Header=BB198_9 Depth=1
	s_wait_xcnt 0x0
	s_or_b32 exec_lo, exec_lo, s18
.LBB198_216:                            ;   in Loop: Header=BB198_9 Depth=1
	s_delay_alu instid0(SALU_CYCLE_1)
	s_or_b32 exec_lo, exec_lo, s17
.LBB198_217:                            ;   in Loop: Header=BB198_9 Depth=1
	s_delay_alu instid0(SALU_CYCLE_1)
	s_or_b32 exec_lo, exec_lo, s16
	flat_load_u16 v1, v[10:11] offset:772
	v_mov_b64_e32 v[2:3], 0
	s_mov_b32 s16, exec_lo
	scratch_store_b64 off, v[2:3], s32 offset:396 ; 8-byte Folded Spill
	s_wait_xcnt 0x0
	v_mov_b64_e32 v[2:3], 0
	scratch_store_b64 off, v[2:3], s32 offset:404 ; 8-byte Folded Spill
	s_wait_loadcnt_dscnt 0x0
	v_and_b32_e32 v0, 0xffff, v1
	v_and_b32_e32 v1, 0xff, v1
	s_wait_xcnt 0x0
	s_delay_alu instid0(VALU_DEP_1)
	v_cmpx_ne_u16_e32 0, v1
	s_cbranch_execz .LBB198_225
; %bb.218:                              ;   in Loop: Header=BB198_9 Depth=1
	v_mov_b64_e32 v[2:3], 0x80000000
	v_and_b32_e32 v1, 0xff, v0
	s_mov_b32 s17, exec_lo
	scratch_store_b64 off, v[2:3], s32 offset:404 ; 8-byte Folded Spill
	s_wait_xcnt 0x0
	v_cmpx_ne_u16_e32 0x80, v1
	s_cbranch_execz .LBB198_224
; %bb.219:                              ;   in Loop: Header=BB198_9 Depth=1
	v_mov_b64_e32 v[4:5], 0x7f800001
	v_and_b32_e32 v2, 0x7f, v0
	s_mov_b32 s18, exec_lo
	scratch_store_b64 off, v[4:5], s32 offset:404 ; 8-byte Folded Spill
	s_wait_xcnt 0x0
	v_cmpx_ne_u32_e32 0x7f, v2
	s_cbranch_execz .LBB198_223
; %bb.220:                              ;   in Loop: Header=BB198_9 Depth=1
	v_dual_lshrrev_b32 v1, 3, v2 :: v_dual_bitop2_b32 v108, 7, v0 bitop3:0x40
	s_mov_b32 s19, exec_lo
	v_cmpx_gt_u32_e32 8, v2
; %bb.221:                              ;   in Loop: Header=BB198_9 Depth=1
	s_delay_alu instid0(VALU_DEP_2) | instskip(NEXT) | instid1(VALU_DEP_1)
	v_clz_i32_u32_e32 v1, v108
	v_min_u32_e32 v1, 32, v1
	s_delay_alu instid0(VALU_DEP_1) | instskip(NEXT) | instid1(VALU_DEP_1)
	v_subrev_nc_u32_e32 v2, 28, v1
	v_lshlrev_b64_e32 v[2:3], v2, v[108:109]
	s_delay_alu instid0(VALU_DEP_1)
	v_dual_sub_nc_u32 v1, 29, v1 :: v_dual_bitop2_b32 v108, 7, v2 bitop3:0x40
; %bb.222:                              ;   in Loop: Header=BB198_9 Depth=1
	s_or_b32 exec_lo, exec_lo, s19
	v_lshlrev_b32_e32 v2, 24, v0
	s_delay_alu instid0(VALU_DEP_2) | instskip(NEXT) | instid1(VALU_DEP_3)
	v_lshlrev_b32_e32 v3, 20, v108
	v_lshl_add_u32 v1, v1, 23, 0x3c000000
	s_delay_alu instid0(VALU_DEP_3) | instskip(NEXT) | instid1(VALU_DEP_1)
	v_and_b32_e32 v2, 0x80000000, v2
	v_or3_b32 v108, v3, v2, v1
	scratch_store_b64 off, v[108:109], s32 offset:404 ; 8-byte Folded Spill
.LBB198_223:                            ;   in Loop: Header=BB198_9 Depth=1
	s_wait_xcnt 0x0
	s_or_b32 exec_lo, exec_lo, s18
.LBB198_224:                            ;   in Loop: Header=BB198_9 Depth=1
	s_delay_alu instid0(SALU_CYCLE_1)
	s_or_b32 exec_lo, exec_lo, s17
.LBB198_225:                            ;   in Loop: Header=BB198_9 Depth=1
	s_delay_alu instid0(SALU_CYCLE_1) | instskip(SKIP_2) | instid1(VALU_DEP_1)
	s_or_b32 exec_lo, exec_lo, s16
	v_lshrrev_b16 v1, 8, v0
	s_mov_b32 s16, exec_lo
	v_cmpx_ne_u16_e32 0, v1
	s_cbranch_execz .LBB198_233
; %bb.226:                              ;   in Loop: Header=BB198_9 Depth=1
	v_mov_b64_e32 v[2:3], 0x8000000000000000
	s_mov_b32 s17, exec_lo
	scratch_store_b64 off, v[2:3], s32 offset:396 ; 8-byte Folded Spill
	s_wait_xcnt 0x0
	v_cmpx_ne_u16_e32 0x80, v1
	s_cbranch_execz .LBB198_232
; %bb.227:                              ;   in Loop: Header=BB198_9 Depth=1
	v_and_b32_e32 v1, 0xffff, v1
	v_mov_b64_e32 v[4:5], 0x7f80000100000000
	s_mov_b32 s18, exec_lo
	s_delay_alu instid0(VALU_DEP_2)
	v_and_b32_e32 v2, 0x7f, v1
	scratch_store_b64 off, v[4:5], s32 offset:396 ; 8-byte Folded Spill
	s_wait_xcnt 0x0
	v_cmpx_ne_u32_e32 0x7f, v2
	s_cbranch_execz .LBB198_231
; %bb.228:                              ;   in Loop: Header=BB198_9 Depth=1
	v_dual_lshrrev_b32 v1, 3, v2 :: v_dual_bitop2_b32 v108, 7, v1 bitop3:0x40
	s_mov_b32 s19, exec_lo
	v_cmpx_gt_u32_e32 8, v2
; %bb.229:                              ;   in Loop: Header=BB198_9 Depth=1
	s_delay_alu instid0(VALU_DEP_2) | instskip(NEXT) | instid1(VALU_DEP_1)
	v_clz_i32_u32_e32 v1, v108
	v_min_u32_e32 v1, 32, v1
	s_delay_alu instid0(VALU_DEP_1) | instskip(NEXT) | instid1(VALU_DEP_1)
	v_subrev_nc_u32_e32 v2, 28, v1
	v_lshlrev_b64_e32 v[2:3], v2, v[108:109]
	s_delay_alu instid0(VALU_DEP_1)
	v_dual_sub_nc_u32 v1, 29, v1 :: v_dual_bitop2_b32 v108, 7, v2 bitop3:0x40
; %bb.230:                              ;   in Loop: Header=BB198_9 Depth=1
	s_or_b32 exec_lo, exec_lo, s19
	v_lshlrev_b32_e32 v0, 16, v0
	s_delay_alu instid0(VALU_DEP_2) | instskip(NEXT) | instid1(VALU_DEP_3)
	v_lshlrev_b32_e32 v2, 20, v108
	v_lshl_add_u32 v1, v1, 23, 0x3c000000
	s_delay_alu instid0(VALU_DEP_3) | instskip(NEXT) | instid1(VALU_DEP_1)
	v_and_b32_e32 v0, 0x80000000, v0
	v_or3_b32 v1, v2, v0, v1
	v_mov_b32_e32 v0, v109
	scratch_store_b64 off, v[0:1], s32 offset:396 ; 8-byte Folded Spill
.LBB198_231:                            ;   in Loop: Header=BB198_9 Depth=1
	s_wait_xcnt 0x0
	s_or_b32 exec_lo, exec_lo, s18
.LBB198_232:                            ;   in Loop: Header=BB198_9 Depth=1
	s_delay_alu instid0(SALU_CYCLE_1)
	s_or_b32 exec_lo, exec_lo, s17
.LBB198_233:                            ;   in Loop: Header=BB198_9 Depth=1
	s_delay_alu instid0(SALU_CYCLE_1)
	s_or_b32 exec_lo, exec_lo, s16
	flat_load_u16 v1, v[10:11] offset:776
	v_mov_b64_e32 v[2:3], 0
	s_mov_b32 s16, exec_lo
	scratch_store_b64 off, v[2:3], s32 offset:412 ; 8-byte Folded Spill
	s_wait_xcnt 0x0
	v_mov_b64_e32 v[2:3], 0
	scratch_store_b64 off, v[2:3], s32 offset:420 ; 8-byte Folded Spill
	s_wait_loadcnt_dscnt 0x0
	v_and_b32_e32 v0, 0xffff, v1
	v_and_b32_e32 v1, 0xff, v1
	s_wait_xcnt 0x0
	s_delay_alu instid0(VALU_DEP_1)
	v_cmpx_ne_u16_e32 0, v1
	s_cbranch_execz .LBB198_241
; %bb.234:                              ;   in Loop: Header=BB198_9 Depth=1
	v_mov_b64_e32 v[2:3], 0x80000000
	v_and_b32_e32 v1, 0xff, v0
	s_mov_b32 s17, exec_lo
	scratch_store_b64 off, v[2:3], s32 offset:420 ; 8-byte Folded Spill
	s_wait_xcnt 0x0
	v_cmpx_ne_u16_e32 0x80, v1
	s_cbranch_execz .LBB198_240
; %bb.235:                              ;   in Loop: Header=BB198_9 Depth=1
	v_mov_b64_e32 v[4:5], 0x7f800001
	v_and_b32_e32 v2, 0x7f, v0
	s_mov_b32 s18, exec_lo
	scratch_store_b64 off, v[4:5], s32 offset:420 ; 8-byte Folded Spill
	s_wait_xcnt 0x0
	v_cmpx_ne_u32_e32 0x7f, v2
	s_cbranch_execz .LBB198_239
; %bb.236:                              ;   in Loop: Header=BB198_9 Depth=1
	v_dual_lshrrev_b32 v1, 3, v2 :: v_dual_bitop2_b32 v108, 7, v0 bitop3:0x40
	s_mov_b32 s19, exec_lo
	v_cmpx_gt_u32_e32 8, v2
; %bb.237:                              ;   in Loop: Header=BB198_9 Depth=1
	s_delay_alu instid0(VALU_DEP_2) | instskip(NEXT) | instid1(VALU_DEP_1)
	v_clz_i32_u32_e32 v1, v108
	v_min_u32_e32 v1, 32, v1
	s_delay_alu instid0(VALU_DEP_1) | instskip(NEXT) | instid1(VALU_DEP_1)
	v_subrev_nc_u32_e32 v2, 28, v1
	v_lshlrev_b64_e32 v[2:3], v2, v[108:109]
	s_delay_alu instid0(VALU_DEP_1)
	v_dual_sub_nc_u32 v1, 29, v1 :: v_dual_bitop2_b32 v108, 7, v2 bitop3:0x40
; %bb.238:                              ;   in Loop: Header=BB198_9 Depth=1
	s_or_b32 exec_lo, exec_lo, s19
	v_lshlrev_b32_e32 v2, 24, v0
	s_delay_alu instid0(VALU_DEP_2) | instskip(NEXT) | instid1(VALU_DEP_3)
	v_lshlrev_b32_e32 v3, 20, v108
	v_lshl_add_u32 v1, v1, 23, 0x3c000000
	s_delay_alu instid0(VALU_DEP_3) | instskip(NEXT) | instid1(VALU_DEP_1)
	v_and_b32_e32 v2, 0x80000000, v2
	v_or3_b32 v108, v3, v2, v1
	scratch_store_b64 off, v[108:109], s32 offset:420 ; 8-byte Folded Spill
.LBB198_239:                            ;   in Loop: Header=BB198_9 Depth=1
	s_wait_xcnt 0x0
	s_or_b32 exec_lo, exec_lo, s18
.LBB198_240:                            ;   in Loop: Header=BB198_9 Depth=1
	s_delay_alu instid0(SALU_CYCLE_1)
	s_or_b32 exec_lo, exec_lo, s17
.LBB198_241:                            ;   in Loop: Header=BB198_9 Depth=1
	s_delay_alu instid0(SALU_CYCLE_1) | instskip(SKIP_2) | instid1(VALU_DEP_1)
	s_or_b32 exec_lo, exec_lo, s16
	v_lshrrev_b16 v1, 8, v0
	s_mov_b32 s16, exec_lo
	v_cmpx_ne_u16_e32 0, v1
	s_cbranch_execz .LBB198_249
; %bb.242:                              ;   in Loop: Header=BB198_9 Depth=1
	v_mov_b64_e32 v[2:3], 0x8000000000000000
	s_mov_b32 s17, exec_lo
	scratch_store_b64 off, v[2:3], s32 offset:412 ; 8-byte Folded Spill
	s_wait_xcnt 0x0
	v_cmpx_ne_u16_e32 0x80, v1
	s_cbranch_execz .LBB198_248
; %bb.243:                              ;   in Loop: Header=BB198_9 Depth=1
	v_and_b32_e32 v1, 0xffff, v1
	v_mov_b64_e32 v[4:5], 0x7f80000100000000
	s_mov_b32 s18, exec_lo
	s_delay_alu instid0(VALU_DEP_2)
	v_and_b32_e32 v2, 0x7f, v1
	scratch_store_b64 off, v[4:5], s32 offset:412 ; 8-byte Folded Spill
	s_wait_xcnt 0x0
	v_cmpx_ne_u32_e32 0x7f, v2
	s_cbranch_execz .LBB198_247
; %bb.244:                              ;   in Loop: Header=BB198_9 Depth=1
	v_dual_lshrrev_b32 v1, 3, v2 :: v_dual_bitop2_b32 v108, 7, v1 bitop3:0x40
	s_mov_b32 s19, exec_lo
	v_cmpx_gt_u32_e32 8, v2
; %bb.245:                              ;   in Loop: Header=BB198_9 Depth=1
	s_delay_alu instid0(VALU_DEP_2) | instskip(NEXT) | instid1(VALU_DEP_1)
	v_clz_i32_u32_e32 v1, v108
	v_min_u32_e32 v1, 32, v1
	s_delay_alu instid0(VALU_DEP_1) | instskip(NEXT) | instid1(VALU_DEP_1)
	v_subrev_nc_u32_e32 v2, 28, v1
	v_lshlrev_b64_e32 v[2:3], v2, v[108:109]
	s_delay_alu instid0(VALU_DEP_1)
	v_dual_sub_nc_u32 v1, 29, v1 :: v_dual_bitop2_b32 v108, 7, v2 bitop3:0x40
; %bb.246:                              ;   in Loop: Header=BB198_9 Depth=1
	s_or_b32 exec_lo, exec_lo, s19
	v_lshlrev_b32_e32 v0, 16, v0
	s_delay_alu instid0(VALU_DEP_2) | instskip(NEXT) | instid1(VALU_DEP_3)
	v_lshlrev_b32_e32 v2, 20, v108
	v_lshl_add_u32 v1, v1, 23, 0x3c000000
	s_delay_alu instid0(VALU_DEP_3) | instskip(NEXT) | instid1(VALU_DEP_1)
	v_and_b32_e32 v0, 0x80000000, v0
	v_or3_b32 v1, v2, v0, v1
	v_mov_b32_e32 v0, v109
	scratch_store_b64 off, v[0:1], s32 offset:412 ; 8-byte Folded Spill
.LBB198_247:                            ;   in Loop: Header=BB198_9 Depth=1
	s_wait_xcnt 0x0
	s_or_b32 exec_lo, exec_lo, s18
.LBB198_248:                            ;   in Loop: Header=BB198_9 Depth=1
	s_delay_alu instid0(SALU_CYCLE_1)
	s_or_b32 exec_lo, exec_lo, s17
.LBB198_249:                            ;   in Loop: Header=BB198_9 Depth=1
	s_delay_alu instid0(SALU_CYCLE_1)
	s_or_b32 exec_lo, exec_lo, s16
	flat_load_u16 v1, v[10:11] offset:780
	v_mov_b64_e32 v[2:3], 0
	s_mov_b32 s16, exec_lo
	scratch_store_b64 off, v[2:3], s32 offset:428 ; 8-byte Folded Spill
	s_wait_xcnt 0x0
	v_mov_b64_e32 v[2:3], 0
	scratch_store_b64 off, v[2:3], s32 offset:436 ; 8-byte Folded Spill
	s_wait_loadcnt_dscnt 0x0
	v_and_b32_e32 v0, 0xffff, v1
	v_and_b32_e32 v1, 0xff, v1
	s_wait_xcnt 0x0
	s_delay_alu instid0(VALU_DEP_1)
	v_cmpx_ne_u16_e32 0, v1
	s_cbranch_execz .LBB198_257
; %bb.250:                              ;   in Loop: Header=BB198_9 Depth=1
	v_mov_b64_e32 v[2:3], 0x80000000
	v_and_b32_e32 v1, 0xff, v0
	s_mov_b32 s17, exec_lo
	scratch_store_b64 off, v[2:3], s32 offset:436 ; 8-byte Folded Spill
	s_wait_xcnt 0x0
	v_cmpx_ne_u16_e32 0x80, v1
	s_cbranch_execz .LBB198_256
; %bb.251:                              ;   in Loop: Header=BB198_9 Depth=1
	v_mov_b64_e32 v[4:5], 0x7f800001
	v_and_b32_e32 v2, 0x7f, v0
	s_mov_b32 s18, exec_lo
	scratch_store_b64 off, v[4:5], s32 offset:436 ; 8-byte Folded Spill
	s_wait_xcnt 0x0
	v_cmpx_ne_u32_e32 0x7f, v2
	s_cbranch_execz .LBB198_255
; %bb.252:                              ;   in Loop: Header=BB198_9 Depth=1
	v_dual_lshrrev_b32 v1, 3, v2 :: v_dual_bitop2_b32 v108, 7, v0 bitop3:0x40
	s_mov_b32 s19, exec_lo
	v_cmpx_gt_u32_e32 8, v2
; %bb.253:                              ;   in Loop: Header=BB198_9 Depth=1
	s_delay_alu instid0(VALU_DEP_2) | instskip(NEXT) | instid1(VALU_DEP_1)
	v_clz_i32_u32_e32 v1, v108
	v_min_u32_e32 v1, 32, v1
	s_delay_alu instid0(VALU_DEP_1) | instskip(NEXT) | instid1(VALU_DEP_1)
	v_subrev_nc_u32_e32 v2, 28, v1
	v_lshlrev_b64_e32 v[2:3], v2, v[108:109]
	s_delay_alu instid0(VALU_DEP_1)
	v_dual_sub_nc_u32 v1, 29, v1 :: v_dual_bitop2_b32 v108, 7, v2 bitop3:0x40
; %bb.254:                              ;   in Loop: Header=BB198_9 Depth=1
	s_or_b32 exec_lo, exec_lo, s19
	v_lshlrev_b32_e32 v2, 24, v0
	s_delay_alu instid0(VALU_DEP_2) | instskip(NEXT) | instid1(VALU_DEP_3)
	v_lshlrev_b32_e32 v3, 20, v108
	v_lshl_add_u32 v1, v1, 23, 0x3c000000
	s_delay_alu instid0(VALU_DEP_3) | instskip(NEXT) | instid1(VALU_DEP_1)
	v_and_b32_e32 v2, 0x80000000, v2
	v_or3_b32 v108, v3, v2, v1
	scratch_store_b64 off, v[108:109], s32 offset:436 ; 8-byte Folded Spill
.LBB198_255:                            ;   in Loop: Header=BB198_9 Depth=1
	s_wait_xcnt 0x0
	s_or_b32 exec_lo, exec_lo, s18
.LBB198_256:                            ;   in Loop: Header=BB198_9 Depth=1
	s_delay_alu instid0(SALU_CYCLE_1)
	s_or_b32 exec_lo, exec_lo, s17
.LBB198_257:                            ;   in Loop: Header=BB198_9 Depth=1
	s_delay_alu instid0(SALU_CYCLE_1) | instskip(SKIP_2) | instid1(VALU_DEP_1)
	s_or_b32 exec_lo, exec_lo, s16
	v_lshrrev_b16 v1, 8, v0
	s_mov_b32 s16, exec_lo
	v_cmpx_ne_u16_e32 0, v1
	s_cbranch_execz .LBB198_265
; %bb.258:                              ;   in Loop: Header=BB198_9 Depth=1
	v_mov_b64_e32 v[2:3], 0x8000000000000000
	s_mov_b32 s17, exec_lo
	scratch_store_b64 off, v[2:3], s32 offset:428 ; 8-byte Folded Spill
	s_wait_xcnt 0x0
	v_cmpx_ne_u16_e32 0x80, v1
	s_cbranch_execz .LBB198_264
; %bb.259:                              ;   in Loop: Header=BB198_9 Depth=1
	v_and_b32_e32 v1, 0xffff, v1
	v_mov_b64_e32 v[4:5], 0x7f80000100000000
	s_mov_b32 s18, exec_lo
	s_delay_alu instid0(VALU_DEP_2)
	v_and_b32_e32 v2, 0x7f, v1
	scratch_store_b64 off, v[4:5], s32 offset:428 ; 8-byte Folded Spill
	s_wait_xcnt 0x0
	v_cmpx_ne_u32_e32 0x7f, v2
	s_cbranch_execz .LBB198_263
; %bb.260:                              ;   in Loop: Header=BB198_9 Depth=1
	v_dual_lshrrev_b32 v1, 3, v2 :: v_dual_bitop2_b32 v108, 7, v1 bitop3:0x40
	s_mov_b32 s19, exec_lo
	v_cmpx_gt_u32_e32 8, v2
; %bb.261:                              ;   in Loop: Header=BB198_9 Depth=1
	s_delay_alu instid0(VALU_DEP_2) | instskip(NEXT) | instid1(VALU_DEP_1)
	v_clz_i32_u32_e32 v1, v108
	v_min_u32_e32 v1, 32, v1
	s_delay_alu instid0(VALU_DEP_1) | instskip(NEXT) | instid1(VALU_DEP_1)
	v_subrev_nc_u32_e32 v2, 28, v1
	v_lshlrev_b64_e32 v[2:3], v2, v[108:109]
	s_delay_alu instid0(VALU_DEP_1)
	v_dual_sub_nc_u32 v1, 29, v1 :: v_dual_bitop2_b32 v108, 7, v2 bitop3:0x40
; %bb.262:                              ;   in Loop: Header=BB198_9 Depth=1
	s_or_b32 exec_lo, exec_lo, s19
	v_lshlrev_b32_e32 v0, 16, v0
	s_delay_alu instid0(VALU_DEP_2) | instskip(NEXT) | instid1(VALU_DEP_3)
	v_lshlrev_b32_e32 v2, 20, v108
	v_lshl_add_u32 v1, v1, 23, 0x3c000000
	s_delay_alu instid0(VALU_DEP_3) | instskip(NEXT) | instid1(VALU_DEP_1)
	v_and_b32_e32 v0, 0x80000000, v0
	v_or3_b32 v1, v2, v0, v1
	v_mov_b32_e32 v0, v109
	scratch_store_b64 off, v[0:1], s32 offset:428 ; 8-byte Folded Spill
.LBB198_263:                            ;   in Loop: Header=BB198_9 Depth=1
	s_wait_xcnt 0x0
	s_or_b32 exec_lo, exec_lo, s18
.LBB198_264:                            ;   in Loop: Header=BB198_9 Depth=1
	s_delay_alu instid0(SALU_CYCLE_1)
	s_or_b32 exec_lo, exec_lo, s17
.LBB198_265:                            ;   in Loop: Header=BB198_9 Depth=1
	s_delay_alu instid0(SALU_CYCLE_1)
	s_or_b32 exec_lo, exec_lo, s16
	flat_load_u16 v1, v[10:11] offset:1024
	v_mov_b64_e32 v[2:3], 0
	s_mov_b32 s16, exec_lo
	scratch_store_b64 off, v[2:3], s32 offset:444 ; 8-byte Folded Spill
	s_wait_xcnt 0x0
	v_mov_b64_e32 v[2:3], 0
	scratch_store_b64 off, v[2:3], s32 offset:452 ; 8-byte Folded Spill
	s_wait_loadcnt_dscnt 0x0
	v_and_b32_e32 v0, 0xffff, v1
	v_and_b32_e32 v1, 0xff, v1
	s_wait_xcnt 0x0
	s_delay_alu instid0(VALU_DEP_1)
	v_cmpx_ne_u16_e32 0, v1
	s_cbranch_execz .LBB198_273
; %bb.266:                              ;   in Loop: Header=BB198_9 Depth=1
	v_mov_b64_e32 v[2:3], 0x80000000
	v_and_b32_e32 v1, 0xff, v0
	s_mov_b32 s17, exec_lo
	scratch_store_b64 off, v[2:3], s32 offset:452 ; 8-byte Folded Spill
	s_wait_xcnt 0x0
	v_cmpx_ne_u16_e32 0x80, v1
	s_cbranch_execz .LBB198_272
; %bb.267:                              ;   in Loop: Header=BB198_9 Depth=1
	v_mov_b64_e32 v[4:5], 0x7f800001
	v_and_b32_e32 v2, 0x7f, v0
	s_mov_b32 s18, exec_lo
	scratch_store_b64 off, v[4:5], s32 offset:452 ; 8-byte Folded Spill
	s_wait_xcnt 0x0
	v_cmpx_ne_u32_e32 0x7f, v2
	s_cbranch_execz .LBB198_271
; %bb.268:                              ;   in Loop: Header=BB198_9 Depth=1
	v_dual_lshrrev_b32 v1, 3, v2 :: v_dual_bitop2_b32 v108, 7, v0 bitop3:0x40
	s_mov_b32 s19, exec_lo
	v_cmpx_gt_u32_e32 8, v2
; %bb.269:                              ;   in Loop: Header=BB198_9 Depth=1
	s_delay_alu instid0(VALU_DEP_2) | instskip(NEXT) | instid1(VALU_DEP_1)
	v_clz_i32_u32_e32 v1, v108
	v_min_u32_e32 v1, 32, v1
	s_delay_alu instid0(VALU_DEP_1) | instskip(NEXT) | instid1(VALU_DEP_1)
	v_subrev_nc_u32_e32 v2, 28, v1
	v_lshlrev_b64_e32 v[2:3], v2, v[108:109]
	s_delay_alu instid0(VALU_DEP_1)
	v_dual_sub_nc_u32 v1, 29, v1 :: v_dual_bitop2_b32 v108, 7, v2 bitop3:0x40
; %bb.270:                              ;   in Loop: Header=BB198_9 Depth=1
	s_or_b32 exec_lo, exec_lo, s19
	v_lshlrev_b32_e32 v2, 24, v0
	s_delay_alu instid0(VALU_DEP_2) | instskip(NEXT) | instid1(VALU_DEP_3)
	v_lshlrev_b32_e32 v3, 20, v108
	v_lshl_add_u32 v1, v1, 23, 0x3c000000
	s_delay_alu instid0(VALU_DEP_3) | instskip(NEXT) | instid1(VALU_DEP_1)
	v_and_b32_e32 v2, 0x80000000, v2
	v_or3_b32 v108, v3, v2, v1
	scratch_store_b64 off, v[108:109], s32 offset:452 ; 8-byte Folded Spill
.LBB198_271:                            ;   in Loop: Header=BB198_9 Depth=1
	s_wait_xcnt 0x0
	s_or_b32 exec_lo, exec_lo, s18
.LBB198_272:                            ;   in Loop: Header=BB198_9 Depth=1
	s_delay_alu instid0(SALU_CYCLE_1)
	s_or_b32 exec_lo, exec_lo, s17
.LBB198_273:                            ;   in Loop: Header=BB198_9 Depth=1
	s_delay_alu instid0(SALU_CYCLE_1) | instskip(SKIP_2) | instid1(VALU_DEP_1)
	s_or_b32 exec_lo, exec_lo, s16
	v_lshrrev_b16 v1, 8, v0
	s_mov_b32 s16, exec_lo
	v_cmpx_ne_u16_e32 0, v1
	s_cbranch_execz .LBB198_281
; %bb.274:                              ;   in Loop: Header=BB198_9 Depth=1
	v_mov_b64_e32 v[2:3], 0x8000000000000000
	s_mov_b32 s17, exec_lo
	scratch_store_b64 off, v[2:3], s32 offset:444 ; 8-byte Folded Spill
	s_wait_xcnt 0x0
	v_cmpx_ne_u16_e32 0x80, v1
	s_cbranch_execz .LBB198_280
; %bb.275:                              ;   in Loop: Header=BB198_9 Depth=1
	v_and_b32_e32 v1, 0xffff, v1
	v_mov_b64_e32 v[4:5], 0x7f80000100000000
	s_mov_b32 s18, exec_lo
	s_delay_alu instid0(VALU_DEP_2)
	v_and_b32_e32 v2, 0x7f, v1
	scratch_store_b64 off, v[4:5], s32 offset:444 ; 8-byte Folded Spill
	s_wait_xcnt 0x0
	v_cmpx_ne_u32_e32 0x7f, v2
	s_cbranch_execz .LBB198_279
; %bb.276:                              ;   in Loop: Header=BB198_9 Depth=1
	v_dual_lshrrev_b32 v1, 3, v2 :: v_dual_bitop2_b32 v108, 7, v1 bitop3:0x40
	s_mov_b32 s19, exec_lo
	v_cmpx_gt_u32_e32 8, v2
; %bb.277:                              ;   in Loop: Header=BB198_9 Depth=1
	s_delay_alu instid0(VALU_DEP_2) | instskip(NEXT) | instid1(VALU_DEP_1)
	v_clz_i32_u32_e32 v1, v108
	v_min_u32_e32 v1, 32, v1
	s_delay_alu instid0(VALU_DEP_1) | instskip(NEXT) | instid1(VALU_DEP_1)
	v_subrev_nc_u32_e32 v2, 28, v1
	v_lshlrev_b64_e32 v[2:3], v2, v[108:109]
	s_delay_alu instid0(VALU_DEP_1)
	v_dual_sub_nc_u32 v1, 29, v1 :: v_dual_bitop2_b32 v108, 7, v2 bitop3:0x40
; %bb.278:                              ;   in Loop: Header=BB198_9 Depth=1
	s_or_b32 exec_lo, exec_lo, s19
	v_lshlrev_b32_e32 v0, 16, v0
	s_delay_alu instid0(VALU_DEP_2) | instskip(NEXT) | instid1(VALU_DEP_3)
	v_lshlrev_b32_e32 v2, 20, v108
	v_lshl_add_u32 v1, v1, 23, 0x3c000000
	s_delay_alu instid0(VALU_DEP_3) | instskip(NEXT) | instid1(VALU_DEP_1)
	v_and_b32_e32 v0, 0x80000000, v0
	v_or3_b32 v1, v2, v0, v1
	v_mov_b32_e32 v0, v109
	scratch_store_b64 off, v[0:1], s32 offset:444 ; 8-byte Folded Spill
.LBB198_279:                            ;   in Loop: Header=BB198_9 Depth=1
	s_wait_xcnt 0x0
	s_or_b32 exec_lo, exec_lo, s18
.LBB198_280:                            ;   in Loop: Header=BB198_9 Depth=1
	s_delay_alu instid0(SALU_CYCLE_1)
	s_or_b32 exec_lo, exec_lo, s17
.LBB198_281:                            ;   in Loop: Header=BB198_9 Depth=1
	s_delay_alu instid0(SALU_CYCLE_1)
	s_or_b32 exec_lo, exec_lo, s16
	flat_load_u16 v1, v[10:11] offset:1028
	v_mov_b64_e32 v[2:3], 0
	s_mov_b32 s16, exec_lo
	scratch_store_b64 off, v[2:3], s32 offset:460 ; 8-byte Folded Spill
	s_wait_xcnt 0x0
	v_mov_b64_e32 v[2:3], 0
	scratch_store_b64 off, v[2:3], s32 offset:468 ; 8-byte Folded Spill
	s_wait_loadcnt_dscnt 0x0
	v_and_b32_e32 v0, 0xffff, v1
	v_and_b32_e32 v1, 0xff, v1
	s_wait_xcnt 0x0
	s_delay_alu instid0(VALU_DEP_1)
	v_cmpx_ne_u16_e32 0, v1
	s_cbranch_execz .LBB198_289
; %bb.282:                              ;   in Loop: Header=BB198_9 Depth=1
	v_mov_b64_e32 v[2:3], 0x80000000
	v_and_b32_e32 v1, 0xff, v0
	s_mov_b32 s17, exec_lo
	scratch_store_b64 off, v[2:3], s32 offset:468 ; 8-byte Folded Spill
	s_wait_xcnt 0x0
	v_cmpx_ne_u16_e32 0x80, v1
	s_cbranch_execz .LBB198_288
; %bb.283:                              ;   in Loop: Header=BB198_9 Depth=1
	v_mov_b64_e32 v[4:5], 0x7f800001
	v_and_b32_e32 v2, 0x7f, v0
	s_mov_b32 s18, exec_lo
	scratch_store_b64 off, v[4:5], s32 offset:468 ; 8-byte Folded Spill
	s_wait_xcnt 0x0
	v_cmpx_ne_u32_e32 0x7f, v2
	s_cbranch_execz .LBB198_287
; %bb.284:                              ;   in Loop: Header=BB198_9 Depth=1
	v_dual_lshrrev_b32 v1, 3, v2 :: v_dual_bitop2_b32 v108, 7, v0 bitop3:0x40
	s_mov_b32 s19, exec_lo
	v_cmpx_gt_u32_e32 8, v2
; %bb.285:                              ;   in Loop: Header=BB198_9 Depth=1
	s_delay_alu instid0(VALU_DEP_2) | instskip(NEXT) | instid1(VALU_DEP_1)
	v_clz_i32_u32_e32 v1, v108
	v_min_u32_e32 v1, 32, v1
	s_delay_alu instid0(VALU_DEP_1) | instskip(NEXT) | instid1(VALU_DEP_1)
	v_subrev_nc_u32_e32 v2, 28, v1
	v_lshlrev_b64_e32 v[2:3], v2, v[108:109]
	s_delay_alu instid0(VALU_DEP_1)
	v_dual_sub_nc_u32 v1, 29, v1 :: v_dual_bitop2_b32 v108, 7, v2 bitop3:0x40
; %bb.286:                              ;   in Loop: Header=BB198_9 Depth=1
	s_or_b32 exec_lo, exec_lo, s19
	v_lshlrev_b32_e32 v2, 24, v0
	s_delay_alu instid0(VALU_DEP_2) | instskip(NEXT) | instid1(VALU_DEP_3)
	v_lshlrev_b32_e32 v3, 20, v108
	v_lshl_add_u32 v1, v1, 23, 0x3c000000
	s_delay_alu instid0(VALU_DEP_3) | instskip(NEXT) | instid1(VALU_DEP_1)
	v_and_b32_e32 v2, 0x80000000, v2
	v_or3_b32 v108, v3, v2, v1
	scratch_store_b64 off, v[108:109], s32 offset:468 ; 8-byte Folded Spill
.LBB198_287:                            ;   in Loop: Header=BB198_9 Depth=1
	s_wait_xcnt 0x0
	s_or_b32 exec_lo, exec_lo, s18
.LBB198_288:                            ;   in Loop: Header=BB198_9 Depth=1
	s_delay_alu instid0(SALU_CYCLE_1)
	s_or_b32 exec_lo, exec_lo, s17
.LBB198_289:                            ;   in Loop: Header=BB198_9 Depth=1
	s_delay_alu instid0(SALU_CYCLE_1) | instskip(SKIP_2) | instid1(VALU_DEP_1)
	s_or_b32 exec_lo, exec_lo, s16
	v_lshrrev_b16 v1, 8, v0
	s_mov_b32 s16, exec_lo
	v_cmpx_ne_u16_e32 0, v1
	s_cbranch_execz .LBB198_297
; %bb.290:                              ;   in Loop: Header=BB198_9 Depth=1
	v_mov_b64_e32 v[2:3], 0x8000000000000000
	s_mov_b32 s17, exec_lo
	scratch_store_b64 off, v[2:3], s32 offset:460 ; 8-byte Folded Spill
	s_wait_xcnt 0x0
	v_cmpx_ne_u16_e32 0x80, v1
	s_cbranch_execz .LBB198_296
; %bb.291:                              ;   in Loop: Header=BB198_9 Depth=1
	v_and_b32_e32 v1, 0xffff, v1
	v_mov_b64_e32 v[4:5], 0x7f80000100000000
	s_mov_b32 s18, exec_lo
	s_delay_alu instid0(VALU_DEP_2)
	v_and_b32_e32 v2, 0x7f, v1
	scratch_store_b64 off, v[4:5], s32 offset:460 ; 8-byte Folded Spill
	s_wait_xcnt 0x0
	v_cmpx_ne_u32_e32 0x7f, v2
	s_cbranch_execz .LBB198_295
; %bb.292:                              ;   in Loop: Header=BB198_9 Depth=1
	v_dual_lshrrev_b32 v1, 3, v2 :: v_dual_bitop2_b32 v108, 7, v1 bitop3:0x40
	s_mov_b32 s19, exec_lo
	v_cmpx_gt_u32_e32 8, v2
; %bb.293:                              ;   in Loop: Header=BB198_9 Depth=1
	s_delay_alu instid0(VALU_DEP_2) | instskip(NEXT) | instid1(VALU_DEP_1)
	v_clz_i32_u32_e32 v1, v108
	v_min_u32_e32 v1, 32, v1
	s_delay_alu instid0(VALU_DEP_1) | instskip(NEXT) | instid1(VALU_DEP_1)
	v_subrev_nc_u32_e32 v2, 28, v1
	v_lshlrev_b64_e32 v[2:3], v2, v[108:109]
	s_delay_alu instid0(VALU_DEP_1)
	v_dual_sub_nc_u32 v1, 29, v1 :: v_dual_bitop2_b32 v108, 7, v2 bitop3:0x40
; %bb.294:                              ;   in Loop: Header=BB198_9 Depth=1
	s_or_b32 exec_lo, exec_lo, s19
	v_lshlrev_b32_e32 v0, 16, v0
	s_delay_alu instid0(VALU_DEP_2) | instskip(NEXT) | instid1(VALU_DEP_3)
	v_lshlrev_b32_e32 v2, 20, v108
	v_lshl_add_u32 v1, v1, 23, 0x3c000000
	s_delay_alu instid0(VALU_DEP_3) | instskip(NEXT) | instid1(VALU_DEP_1)
	v_and_b32_e32 v0, 0x80000000, v0
	v_or3_b32 v1, v2, v0, v1
	v_mov_b32_e32 v0, v109
	scratch_store_b64 off, v[0:1], s32 offset:460 ; 8-byte Folded Spill
.LBB198_295:                            ;   in Loop: Header=BB198_9 Depth=1
	s_wait_xcnt 0x0
	s_or_b32 exec_lo, exec_lo, s18
.LBB198_296:                            ;   in Loop: Header=BB198_9 Depth=1
	s_delay_alu instid0(SALU_CYCLE_1)
	s_or_b32 exec_lo, exec_lo, s17
.LBB198_297:                            ;   in Loop: Header=BB198_9 Depth=1
	s_delay_alu instid0(SALU_CYCLE_1)
	s_or_b32 exec_lo, exec_lo, s16
	flat_load_u16 v1, v[10:11] offset:1032
	v_mov_b64_e32 v[100:101], 0
	v_mov_b64_e32 v[2:3], 0
	s_mov_b32 s16, exec_lo
	scratch_store_b64 off, v[2:3], s32 offset:476 ; 8-byte Folded Spill
	s_wait_loadcnt_dscnt 0x0
	v_and_b32_e32 v0, 0xffff, v1
	v_and_b32_e32 v1, 0xff, v1
	s_wait_xcnt 0x0
	s_delay_alu instid0(VALU_DEP_1)
	v_cmpx_ne_u16_e32 0, v1
	s_cbranch_execz .LBB198_305
; %bb.298:                              ;   in Loop: Header=BB198_9 Depth=1
	v_mov_b64_e32 v[2:3], 0x80000000
	v_and_b32_e32 v1, 0xff, v0
	s_mov_b32 s17, exec_lo
	scratch_store_b64 off, v[2:3], s32 offset:476 ; 8-byte Folded Spill
	s_wait_xcnt 0x0
	v_cmpx_ne_u16_e32 0x80, v1
	s_cbranch_execz .LBB198_304
; %bb.299:                              ;   in Loop: Header=BB198_9 Depth=1
	v_mov_b64_e32 v[4:5], 0x7f800001
	v_and_b32_e32 v2, 0x7f, v0
	s_mov_b32 s18, exec_lo
	scratch_store_b64 off, v[4:5], s32 offset:476 ; 8-byte Folded Spill
	s_wait_xcnt 0x0
	v_cmpx_ne_u32_e32 0x7f, v2
	s_cbranch_execz .LBB198_303
; %bb.300:                              ;   in Loop: Header=BB198_9 Depth=1
	v_dual_lshrrev_b32 v1, 3, v2 :: v_dual_bitop2_b32 v108, 7, v0 bitop3:0x40
	s_mov_b32 s19, exec_lo
	v_cmpx_gt_u32_e32 8, v2
; %bb.301:                              ;   in Loop: Header=BB198_9 Depth=1
	s_delay_alu instid0(VALU_DEP_2) | instskip(NEXT) | instid1(VALU_DEP_1)
	v_clz_i32_u32_e32 v1, v108
	v_min_u32_e32 v1, 32, v1
	s_delay_alu instid0(VALU_DEP_1) | instskip(NEXT) | instid1(VALU_DEP_1)
	v_subrev_nc_u32_e32 v2, 28, v1
	v_lshlrev_b64_e32 v[2:3], v2, v[108:109]
	s_delay_alu instid0(VALU_DEP_1)
	v_dual_sub_nc_u32 v1, 29, v1 :: v_dual_bitop2_b32 v108, 7, v2 bitop3:0x40
; %bb.302:                              ;   in Loop: Header=BB198_9 Depth=1
	s_or_b32 exec_lo, exec_lo, s19
	v_lshlrev_b32_e32 v2, 24, v0
	s_delay_alu instid0(VALU_DEP_2) | instskip(NEXT) | instid1(VALU_DEP_3)
	v_lshlrev_b32_e32 v3, 20, v108
	v_lshl_add_u32 v1, v1, 23, 0x3c000000
	s_delay_alu instid0(VALU_DEP_3) | instskip(NEXT) | instid1(VALU_DEP_1)
	v_and_b32_e32 v2, 0x80000000, v2
	v_or3_b32 v108, v3, v2, v1
	scratch_store_b64 off, v[108:109], s32 offset:476 ; 8-byte Folded Spill
.LBB198_303:                            ;   in Loop: Header=BB198_9 Depth=1
	s_wait_xcnt 0x0
	s_or_b32 exec_lo, exec_lo, s18
.LBB198_304:                            ;   in Loop: Header=BB198_9 Depth=1
	s_delay_alu instid0(SALU_CYCLE_1)
	s_or_b32 exec_lo, exec_lo, s17
.LBB198_305:                            ;   in Loop: Header=BB198_9 Depth=1
	s_delay_alu instid0(SALU_CYCLE_1) | instskip(SKIP_2) | instid1(VALU_DEP_1)
	s_or_b32 exec_lo, exec_lo, s16
	v_lshrrev_b16 v1, 8, v0
	s_mov_b32 s16, exec_lo
	v_cmpx_ne_u16_e32 0, v1
	s_cbranch_execz .LBB198_313
; %bb.306:                              ;   in Loop: Header=BB198_9 Depth=1
	v_mov_b64_e32 v[100:101], 0x8000000000000000
	s_mov_b32 s17, exec_lo
	v_cmpx_ne_u16_e32 0x80, v1
	s_cbranch_execz .LBB198_312
; %bb.307:                              ;   in Loop: Header=BB198_9 Depth=1
	v_and_b32_e32 v1, 0xffff, v1
	v_mov_b64_e32 v[100:101], 0x7f80000100000000
	s_mov_b32 s18, exec_lo
	s_delay_alu instid0(VALU_DEP_2) | instskip(NEXT) | instid1(VALU_DEP_1)
	v_and_b32_e32 v2, 0x7f, v1
	v_cmpx_ne_u32_e32 0x7f, v2
	s_cbranch_execz .LBB198_311
; %bb.308:                              ;   in Loop: Header=BB198_9 Depth=1
	v_dual_lshrrev_b32 v1, 3, v2 :: v_dual_bitop2_b32 v108, 7, v1 bitop3:0x40
	s_mov_b32 s19, exec_lo
	v_cmpx_gt_u32_e32 8, v2
; %bb.309:                              ;   in Loop: Header=BB198_9 Depth=1
	s_delay_alu instid0(VALU_DEP_2) | instskip(NEXT) | instid1(VALU_DEP_1)
	v_clz_i32_u32_e32 v1, v108
	v_min_u32_e32 v1, 32, v1
	s_delay_alu instid0(VALU_DEP_1) | instskip(NEXT) | instid1(VALU_DEP_1)
	v_subrev_nc_u32_e32 v2, 28, v1
	v_lshlrev_b64_e32 v[2:3], v2, v[108:109]
	s_delay_alu instid0(VALU_DEP_1)
	v_dual_sub_nc_u32 v1, 29, v1 :: v_dual_bitop2_b32 v108, 7, v2 bitop3:0x40
; %bb.310:                              ;   in Loop: Header=BB198_9 Depth=1
	s_or_b32 exec_lo, exec_lo, s19
	v_dual_lshlrev_b32 v0, 16, v0 :: v_dual_mov_b32 v100, v109
	s_delay_alu instid0(VALU_DEP_2) | instskip(NEXT) | instid1(VALU_DEP_3)
	v_lshlrev_b32_e32 v2, 20, v108
	v_lshl_add_u32 v1, v1, 23, 0x3c000000
	s_delay_alu instid0(VALU_DEP_3) | instskip(NEXT) | instid1(VALU_DEP_1)
	v_and_b32_e32 v0, 0x80000000, v0
	v_or3_b32 v101, v2, v0, v1
.LBB198_311:                            ;   in Loop: Header=BB198_9 Depth=1
	s_or_b32 exec_lo, exec_lo, s18
.LBB198_312:                            ;   in Loop: Header=BB198_9 Depth=1
	s_delay_alu instid0(SALU_CYCLE_1)
	s_or_b32 exec_lo, exec_lo, s17
.LBB198_313:                            ;   in Loop: Header=BB198_9 Depth=1
	s_delay_alu instid0(SALU_CYCLE_1)
	s_or_b32 exec_lo, exec_lo, s16
	flat_load_u16 v1, v[10:11] offset:1036
	v_mov_b64_e32 v[112:113], 0
	v_mov_b64_e32 v[2:3], 0
	s_mov_b32 s16, exec_lo
	scratch_store_b64 off, v[2:3], s32 offset:484 ; 8-byte Folded Spill
	s_wait_loadcnt_dscnt 0x0
	v_and_b32_e32 v0, 0xffff, v1
	v_and_b32_e32 v1, 0xff, v1
	s_wait_xcnt 0x0
	s_delay_alu instid0(VALU_DEP_1)
	v_cmpx_ne_u16_e32 0, v1
	s_cbranch_execz .LBB198_321
; %bb.314:                              ;   in Loop: Header=BB198_9 Depth=1
	v_mov_b64_e32 v[2:3], 0x80000000
	v_and_b32_e32 v1, 0xff, v0
	s_mov_b32 s17, exec_lo
	scratch_store_b64 off, v[2:3], s32 offset:484 ; 8-byte Folded Spill
	s_wait_xcnt 0x0
	v_cmpx_ne_u16_e32 0x80, v1
	s_cbranch_execz .LBB198_320
; %bb.315:                              ;   in Loop: Header=BB198_9 Depth=1
	v_mov_b64_e32 v[4:5], 0x7f800001
	v_and_b32_e32 v2, 0x7f, v0
	s_mov_b32 s18, exec_lo
	scratch_store_b64 off, v[4:5], s32 offset:484 ; 8-byte Folded Spill
	s_wait_xcnt 0x0
	v_cmpx_ne_u32_e32 0x7f, v2
	s_cbranch_execz .LBB198_319
; %bb.316:                              ;   in Loop: Header=BB198_9 Depth=1
	v_dual_lshrrev_b32 v1, 3, v2 :: v_dual_bitop2_b32 v108, 7, v0 bitop3:0x40
	s_mov_b32 s19, exec_lo
	v_cmpx_gt_u32_e32 8, v2
; %bb.317:                              ;   in Loop: Header=BB198_9 Depth=1
	s_delay_alu instid0(VALU_DEP_2) | instskip(NEXT) | instid1(VALU_DEP_1)
	v_clz_i32_u32_e32 v1, v108
	v_min_u32_e32 v1, 32, v1
	s_delay_alu instid0(VALU_DEP_1) | instskip(NEXT) | instid1(VALU_DEP_1)
	v_subrev_nc_u32_e32 v2, 28, v1
	v_lshlrev_b64_e32 v[2:3], v2, v[108:109]
	s_delay_alu instid0(VALU_DEP_1)
	v_dual_sub_nc_u32 v1, 29, v1 :: v_dual_bitop2_b32 v108, 7, v2 bitop3:0x40
; %bb.318:                              ;   in Loop: Header=BB198_9 Depth=1
	s_or_b32 exec_lo, exec_lo, s19
	v_lshlrev_b32_e32 v2, 24, v0
	s_delay_alu instid0(VALU_DEP_2) | instskip(NEXT) | instid1(VALU_DEP_3)
	v_lshlrev_b32_e32 v3, 20, v108
	v_lshl_add_u32 v1, v1, 23, 0x3c000000
	s_delay_alu instid0(VALU_DEP_3) | instskip(NEXT) | instid1(VALU_DEP_1)
	v_and_b32_e32 v2, 0x80000000, v2
	v_or3_b32 v108, v3, v2, v1
	scratch_store_b64 off, v[108:109], s32 offset:484 ; 8-byte Folded Spill
.LBB198_319:                            ;   in Loop: Header=BB198_9 Depth=1
	s_wait_xcnt 0x0
	s_or_b32 exec_lo, exec_lo, s18
.LBB198_320:                            ;   in Loop: Header=BB198_9 Depth=1
	s_delay_alu instid0(SALU_CYCLE_1)
	s_or_b32 exec_lo, exec_lo, s17
.LBB198_321:                            ;   in Loop: Header=BB198_9 Depth=1
	s_delay_alu instid0(SALU_CYCLE_1) | instskip(SKIP_2) | instid1(VALU_DEP_1)
	s_or_b32 exec_lo, exec_lo, s16
	v_lshrrev_b16 v1, 8, v0
	s_mov_b32 s16, exec_lo
	v_cmpx_ne_u16_e32 0, v1
	s_cbranch_execz .LBB198_329
; %bb.322:                              ;   in Loop: Header=BB198_9 Depth=1
	v_mov_b64_e32 v[112:113], 0x8000000000000000
	s_mov_b32 s17, exec_lo
	v_cmpx_ne_u16_e32 0x80, v1
	s_cbranch_execz .LBB198_328
; %bb.323:                              ;   in Loop: Header=BB198_9 Depth=1
	v_and_b32_e32 v1, 0xffff, v1
	v_mov_b64_e32 v[112:113], 0x7f80000100000000
	s_mov_b32 s18, exec_lo
	s_delay_alu instid0(VALU_DEP_2) | instskip(NEXT) | instid1(VALU_DEP_1)
	v_and_b32_e32 v2, 0x7f, v1
	v_cmpx_ne_u32_e32 0x7f, v2
	s_cbranch_execz .LBB198_327
; %bb.324:                              ;   in Loop: Header=BB198_9 Depth=1
	v_dual_lshrrev_b32 v1, 3, v2 :: v_dual_bitop2_b32 v108, 7, v1 bitop3:0x40
	s_mov_b32 s19, exec_lo
	v_cmpx_gt_u32_e32 8, v2
; %bb.325:                              ;   in Loop: Header=BB198_9 Depth=1
	s_delay_alu instid0(VALU_DEP_2) | instskip(NEXT) | instid1(VALU_DEP_1)
	v_clz_i32_u32_e32 v1, v108
	v_min_u32_e32 v1, 32, v1
	s_delay_alu instid0(VALU_DEP_1) | instskip(NEXT) | instid1(VALU_DEP_1)
	v_subrev_nc_u32_e32 v2, 28, v1
	v_lshlrev_b64_e32 v[2:3], v2, v[108:109]
	s_delay_alu instid0(VALU_DEP_1)
	v_dual_sub_nc_u32 v1, 29, v1 :: v_dual_bitop2_b32 v108, 7, v2 bitop3:0x40
; %bb.326:                              ;   in Loop: Header=BB198_9 Depth=1
	s_or_b32 exec_lo, exec_lo, s19
	v_dual_lshlrev_b32 v0, 16, v0 :: v_dual_mov_b32 v112, v109
	s_delay_alu instid0(VALU_DEP_2) | instskip(NEXT) | instid1(VALU_DEP_3)
	v_lshlrev_b32_e32 v2, 20, v108
	v_lshl_add_u32 v1, v1, 23, 0x3c000000
	s_delay_alu instid0(VALU_DEP_3) | instskip(NEXT) | instid1(VALU_DEP_1)
	v_and_b32_e32 v0, 0x80000000, v0
	v_or3_b32 v113, v2, v0, v1
.LBB198_327:                            ;   in Loop: Header=BB198_9 Depth=1
	s_or_b32 exec_lo, exec_lo, s18
.LBB198_328:                            ;   in Loop: Header=BB198_9 Depth=1
	s_delay_alu instid0(SALU_CYCLE_1)
	s_or_b32 exec_lo, exec_lo, s17
.LBB198_329:                            ;   in Loop: Header=BB198_9 Depth=1
	s_delay_alu instid0(SALU_CYCLE_1)
	s_or_b32 exec_lo, exec_lo, s16
	flat_load_u16 v1, v[10:11] offset:1280
	v_mov_b64_e32 v[116:117], 0
	v_mov_b64_e32 v[118:119], 0
	s_mov_b32 s16, exec_lo
	s_wait_loadcnt_dscnt 0x0
	v_and_b32_e32 v0, 0xffff, v1
	v_and_b32_e32 v1, 0xff, v1
	s_wait_xcnt 0x0
	s_delay_alu instid0(VALU_DEP_1)
	v_cmpx_ne_u16_e32 0, v1
	s_cbranch_execz .LBB198_337
; %bb.330:                              ;   in Loop: Header=BB198_9 Depth=1
	v_mov_b64_e32 v[118:119], 0x80000000
	v_and_b32_e32 v1, 0xff, v0
	s_mov_b32 s17, exec_lo
	s_delay_alu instid0(VALU_DEP_1)
	v_cmpx_ne_u16_e32 0x80, v1
	s_cbranch_execz .LBB198_336
; %bb.331:                              ;   in Loop: Header=BB198_9 Depth=1
	v_mov_b64_e32 v[118:119], 0x7f800001
	v_and_b32_e32 v2, 0x7f, v0
	s_mov_b32 s18, exec_lo
	s_delay_alu instid0(VALU_DEP_1)
	v_cmpx_ne_u32_e32 0x7f, v2
	s_cbranch_execz .LBB198_335
; %bb.332:                              ;   in Loop: Header=BB198_9 Depth=1
	v_dual_lshrrev_b32 v1, 3, v2 :: v_dual_bitop2_b32 v108, 7, v0 bitop3:0x40
	s_mov_b32 s19, exec_lo
	v_cmpx_gt_u32_e32 8, v2
; %bb.333:                              ;   in Loop: Header=BB198_9 Depth=1
	s_delay_alu instid0(VALU_DEP_2) | instskip(NEXT) | instid1(VALU_DEP_1)
	v_clz_i32_u32_e32 v1, v108
	v_min_u32_e32 v1, 32, v1
	s_delay_alu instid0(VALU_DEP_1) | instskip(NEXT) | instid1(VALU_DEP_1)
	v_subrev_nc_u32_e32 v2, 28, v1
	v_lshlrev_b64_e32 v[2:3], v2, v[108:109]
	s_delay_alu instid0(VALU_DEP_1)
	v_dual_sub_nc_u32 v1, 29, v1 :: v_dual_bitop2_b32 v108, 7, v2 bitop3:0x40
; %bb.334:                              ;   in Loop: Header=BB198_9 Depth=1
	s_or_b32 exec_lo, exec_lo, s19
	v_lshlrev_b32_e32 v2, 24, v0
	s_delay_alu instid0(VALU_DEP_2) | instskip(NEXT) | instid1(VALU_DEP_3)
	v_lshlrev_b32_e32 v3, 20, v108
	v_lshl_add_u32 v1, v1, 23, 0x3c000000
	s_delay_alu instid0(VALU_DEP_3) | instskip(NEXT) | instid1(VALU_DEP_1)
	v_and_b32_e32 v2, 0x80000000, v2
	v_or3_b32 v108, v3, v2, v1
	s_delay_alu instid0(VALU_DEP_1)
	v_mov_b64_e32 v[118:119], v[108:109]
.LBB198_335:                            ;   in Loop: Header=BB198_9 Depth=1
	s_or_b32 exec_lo, exec_lo, s18
.LBB198_336:                            ;   in Loop: Header=BB198_9 Depth=1
	s_delay_alu instid0(SALU_CYCLE_1)
	s_or_b32 exec_lo, exec_lo, s17
.LBB198_337:                            ;   in Loop: Header=BB198_9 Depth=1
	s_delay_alu instid0(SALU_CYCLE_1) | instskip(SKIP_2) | instid1(VALU_DEP_1)
	s_or_b32 exec_lo, exec_lo, s16
	v_lshrrev_b16 v1, 8, v0
	s_mov_b32 s16, exec_lo
	v_cmpx_ne_u16_e32 0, v1
	s_cbranch_execz .LBB198_345
; %bb.338:                              ;   in Loop: Header=BB198_9 Depth=1
	v_mov_b64_e32 v[116:117], 0x8000000000000000
	s_mov_b32 s17, exec_lo
	v_cmpx_ne_u16_e32 0x80, v1
	s_cbranch_execz .LBB198_344
; %bb.339:                              ;   in Loop: Header=BB198_9 Depth=1
	v_and_b32_e32 v1, 0xffff, v1
	v_mov_b64_e32 v[116:117], 0x7f80000100000000
	s_mov_b32 s18, exec_lo
	s_delay_alu instid0(VALU_DEP_2) | instskip(NEXT) | instid1(VALU_DEP_1)
	v_and_b32_e32 v2, 0x7f, v1
	v_cmpx_ne_u32_e32 0x7f, v2
	s_cbranch_execz .LBB198_343
; %bb.340:                              ;   in Loop: Header=BB198_9 Depth=1
	v_dual_lshrrev_b32 v1, 3, v2 :: v_dual_bitop2_b32 v108, 7, v1 bitop3:0x40
	s_mov_b32 s19, exec_lo
	v_cmpx_gt_u32_e32 8, v2
; %bb.341:                              ;   in Loop: Header=BB198_9 Depth=1
	s_delay_alu instid0(VALU_DEP_2) | instskip(NEXT) | instid1(VALU_DEP_1)
	v_clz_i32_u32_e32 v1, v108
	v_min_u32_e32 v1, 32, v1
	s_delay_alu instid0(VALU_DEP_1) | instskip(NEXT) | instid1(VALU_DEP_1)
	v_subrev_nc_u32_e32 v2, 28, v1
	v_lshlrev_b64_e32 v[2:3], v2, v[108:109]
	s_delay_alu instid0(VALU_DEP_1)
	v_dual_sub_nc_u32 v1, 29, v1 :: v_dual_bitop2_b32 v108, 7, v2 bitop3:0x40
; %bb.342:                              ;   in Loop: Header=BB198_9 Depth=1
	s_or_b32 exec_lo, exec_lo, s19
	v_dual_lshlrev_b32 v0, 16, v0 :: v_dual_mov_b32 v116, v109
	s_delay_alu instid0(VALU_DEP_2) | instskip(NEXT) | instid1(VALU_DEP_3)
	v_lshlrev_b32_e32 v2, 20, v108
	v_lshl_add_u32 v1, v1, 23, 0x3c000000
	s_delay_alu instid0(VALU_DEP_3) | instskip(NEXT) | instid1(VALU_DEP_1)
	v_and_b32_e32 v0, 0x80000000, v0
	v_or3_b32 v117, v2, v0, v1
.LBB198_343:                            ;   in Loop: Header=BB198_9 Depth=1
	s_or_b32 exec_lo, exec_lo, s18
.LBB198_344:                            ;   in Loop: Header=BB198_9 Depth=1
	s_delay_alu instid0(SALU_CYCLE_1)
	s_or_b32 exec_lo, exec_lo, s17
.LBB198_345:                            ;   in Loop: Header=BB198_9 Depth=1
	s_delay_alu instid0(SALU_CYCLE_1)
	s_or_b32 exec_lo, exec_lo, s16
	flat_load_u16 v1, v[10:11] offset:1284
	v_mov_b64_e32 v[40:41], 0
	v_mov_b64_e32 v[42:43], 0
	s_mov_b32 s16, exec_lo
	s_wait_loadcnt_dscnt 0x0
	v_and_b32_e32 v0, 0xffff, v1
	v_and_b32_e32 v1, 0xff, v1
	s_wait_xcnt 0x0
	s_delay_alu instid0(VALU_DEP_1)
	v_cmpx_ne_u16_e32 0, v1
	s_cbranch_execz .LBB198_353
; %bb.346:                              ;   in Loop: Header=BB198_9 Depth=1
	v_mov_b64_e32 v[42:43], 0x80000000
	v_and_b32_e32 v1, 0xff, v0
	s_mov_b32 s17, exec_lo
	s_delay_alu instid0(VALU_DEP_1)
	v_cmpx_ne_u16_e32 0x80, v1
	s_cbranch_execz .LBB198_352
; %bb.347:                              ;   in Loop: Header=BB198_9 Depth=1
	v_mov_b64_e32 v[42:43], 0x7f800001
	v_and_b32_e32 v2, 0x7f, v0
	s_mov_b32 s18, exec_lo
	s_delay_alu instid0(VALU_DEP_1)
	v_cmpx_ne_u32_e32 0x7f, v2
	s_cbranch_execz .LBB198_351
; %bb.348:                              ;   in Loop: Header=BB198_9 Depth=1
	v_dual_lshrrev_b32 v1, 3, v2 :: v_dual_bitop2_b32 v108, 7, v0 bitop3:0x40
	s_mov_b32 s19, exec_lo
	v_cmpx_gt_u32_e32 8, v2
; %bb.349:                              ;   in Loop: Header=BB198_9 Depth=1
	s_delay_alu instid0(VALU_DEP_2) | instskip(NEXT) | instid1(VALU_DEP_1)
	v_clz_i32_u32_e32 v1, v108
	v_min_u32_e32 v1, 32, v1
	s_delay_alu instid0(VALU_DEP_1) | instskip(NEXT) | instid1(VALU_DEP_1)
	v_subrev_nc_u32_e32 v2, 28, v1
	v_lshlrev_b64_e32 v[2:3], v2, v[108:109]
	s_delay_alu instid0(VALU_DEP_1)
	v_dual_sub_nc_u32 v1, 29, v1 :: v_dual_bitop2_b32 v108, 7, v2 bitop3:0x40
; %bb.350:                              ;   in Loop: Header=BB198_9 Depth=1
	s_or_b32 exec_lo, exec_lo, s19
	v_lshlrev_b32_e32 v2, 24, v0
	s_delay_alu instid0(VALU_DEP_2) | instskip(NEXT) | instid1(VALU_DEP_3)
	v_lshlrev_b32_e32 v3, 20, v108
	v_lshl_add_u32 v1, v1, 23, 0x3c000000
	s_delay_alu instid0(VALU_DEP_3) | instskip(NEXT) | instid1(VALU_DEP_1)
	v_and_b32_e32 v2, 0x80000000, v2
	v_or3_b32 v108, v3, v2, v1
	s_delay_alu instid0(VALU_DEP_1)
	v_mov_b64_e32 v[42:43], v[108:109]
.LBB198_351:                            ;   in Loop: Header=BB198_9 Depth=1
	s_or_b32 exec_lo, exec_lo, s18
.LBB198_352:                            ;   in Loop: Header=BB198_9 Depth=1
	s_delay_alu instid0(SALU_CYCLE_1)
	s_or_b32 exec_lo, exec_lo, s17
.LBB198_353:                            ;   in Loop: Header=BB198_9 Depth=1
	s_delay_alu instid0(SALU_CYCLE_1) | instskip(SKIP_2) | instid1(VALU_DEP_1)
	s_or_b32 exec_lo, exec_lo, s16
	v_lshrrev_b16 v1, 8, v0
	s_mov_b32 s16, exec_lo
	v_cmpx_ne_u16_e32 0, v1
	s_cbranch_execz .LBB198_361
; %bb.354:                              ;   in Loop: Header=BB198_9 Depth=1
	v_mov_b64_e32 v[40:41], 0x8000000000000000
	s_mov_b32 s17, exec_lo
	v_cmpx_ne_u16_e32 0x80, v1
	s_cbranch_execz .LBB198_360
; %bb.355:                              ;   in Loop: Header=BB198_9 Depth=1
	v_and_b32_e32 v1, 0xffff, v1
	v_mov_b64_e32 v[40:41], 0x7f80000100000000
	s_mov_b32 s18, exec_lo
	s_delay_alu instid0(VALU_DEP_2) | instskip(NEXT) | instid1(VALU_DEP_1)
	v_and_b32_e32 v2, 0x7f, v1
	v_cmpx_ne_u32_e32 0x7f, v2
	s_cbranch_execz .LBB198_359
; %bb.356:                              ;   in Loop: Header=BB198_9 Depth=1
	v_dual_lshrrev_b32 v1, 3, v2 :: v_dual_bitop2_b32 v108, 7, v1 bitop3:0x40
	s_mov_b32 s19, exec_lo
	v_cmpx_gt_u32_e32 8, v2
; %bb.357:                              ;   in Loop: Header=BB198_9 Depth=1
	s_delay_alu instid0(VALU_DEP_2) | instskip(NEXT) | instid1(VALU_DEP_1)
	v_clz_i32_u32_e32 v1, v108
	v_min_u32_e32 v1, 32, v1
	s_delay_alu instid0(VALU_DEP_1) | instskip(NEXT) | instid1(VALU_DEP_1)
	v_subrev_nc_u32_e32 v2, 28, v1
	v_lshlrev_b64_e32 v[2:3], v2, v[108:109]
	s_delay_alu instid0(VALU_DEP_1)
	v_dual_sub_nc_u32 v1, 29, v1 :: v_dual_bitop2_b32 v108, 7, v2 bitop3:0x40
; %bb.358:                              ;   in Loop: Header=BB198_9 Depth=1
	s_or_b32 exec_lo, exec_lo, s19
	v_dual_lshlrev_b32 v0, 16, v0 :: v_dual_mov_b32 v40, v109
	s_delay_alu instid0(VALU_DEP_2) | instskip(NEXT) | instid1(VALU_DEP_3)
	v_lshlrev_b32_e32 v2, 20, v108
	v_lshl_add_u32 v1, v1, 23, 0x3c000000
	s_delay_alu instid0(VALU_DEP_3) | instskip(NEXT) | instid1(VALU_DEP_1)
	v_and_b32_e32 v0, 0x80000000, v0
	v_or3_b32 v41, v2, v0, v1
.LBB198_359:                            ;   in Loop: Header=BB198_9 Depth=1
	s_or_b32 exec_lo, exec_lo, s18
.LBB198_360:                            ;   in Loop: Header=BB198_9 Depth=1
	s_delay_alu instid0(SALU_CYCLE_1)
	s_or_b32 exec_lo, exec_lo, s17
.LBB198_361:                            ;   in Loop: Header=BB198_9 Depth=1
	s_delay_alu instid0(SALU_CYCLE_1)
	s_or_b32 exec_lo, exec_lo, s16
	flat_load_u16 v1, v[10:11] offset:1288
	v_mov_b64_e32 v[44:45], 0
	v_mov_b64_e32 v[46:47], 0
	s_mov_b32 s16, exec_lo
	s_wait_loadcnt_dscnt 0x0
	v_and_b32_e32 v0, 0xffff, v1
	v_and_b32_e32 v1, 0xff, v1
	s_wait_xcnt 0x0
	s_delay_alu instid0(VALU_DEP_1)
	v_cmpx_ne_u16_e32 0, v1
	s_cbranch_execz .LBB198_369
; %bb.362:                              ;   in Loop: Header=BB198_9 Depth=1
	v_mov_b64_e32 v[46:47], 0x80000000
	v_and_b32_e32 v1, 0xff, v0
	s_mov_b32 s17, exec_lo
	s_delay_alu instid0(VALU_DEP_1)
	v_cmpx_ne_u16_e32 0x80, v1
	s_cbranch_execz .LBB198_368
; %bb.363:                              ;   in Loop: Header=BB198_9 Depth=1
	v_mov_b64_e32 v[46:47], 0x7f800001
	v_and_b32_e32 v2, 0x7f, v0
	s_mov_b32 s18, exec_lo
	s_delay_alu instid0(VALU_DEP_1)
	v_cmpx_ne_u32_e32 0x7f, v2
	s_cbranch_execz .LBB198_367
; %bb.364:                              ;   in Loop: Header=BB198_9 Depth=1
	v_dual_lshrrev_b32 v1, 3, v2 :: v_dual_bitop2_b32 v108, 7, v0 bitop3:0x40
	s_mov_b32 s19, exec_lo
	v_cmpx_gt_u32_e32 8, v2
; %bb.365:                              ;   in Loop: Header=BB198_9 Depth=1
	s_delay_alu instid0(VALU_DEP_2) | instskip(NEXT) | instid1(VALU_DEP_1)
	v_clz_i32_u32_e32 v1, v108
	v_min_u32_e32 v1, 32, v1
	s_delay_alu instid0(VALU_DEP_1) | instskip(NEXT) | instid1(VALU_DEP_1)
	v_subrev_nc_u32_e32 v2, 28, v1
	v_lshlrev_b64_e32 v[2:3], v2, v[108:109]
	s_delay_alu instid0(VALU_DEP_1)
	v_dual_sub_nc_u32 v1, 29, v1 :: v_dual_bitop2_b32 v108, 7, v2 bitop3:0x40
; %bb.366:                              ;   in Loop: Header=BB198_9 Depth=1
	s_or_b32 exec_lo, exec_lo, s19
	v_lshlrev_b32_e32 v2, 24, v0
	s_delay_alu instid0(VALU_DEP_2) | instskip(NEXT) | instid1(VALU_DEP_3)
	v_lshlrev_b32_e32 v3, 20, v108
	v_lshl_add_u32 v1, v1, 23, 0x3c000000
	s_delay_alu instid0(VALU_DEP_3) | instskip(NEXT) | instid1(VALU_DEP_1)
	v_and_b32_e32 v2, 0x80000000, v2
	v_or3_b32 v108, v3, v2, v1
	s_delay_alu instid0(VALU_DEP_1)
	v_mov_b64_e32 v[46:47], v[108:109]
.LBB198_367:                            ;   in Loop: Header=BB198_9 Depth=1
	s_or_b32 exec_lo, exec_lo, s18
.LBB198_368:                            ;   in Loop: Header=BB198_9 Depth=1
	s_delay_alu instid0(SALU_CYCLE_1)
	s_or_b32 exec_lo, exec_lo, s17
.LBB198_369:                            ;   in Loop: Header=BB198_9 Depth=1
	s_delay_alu instid0(SALU_CYCLE_1) | instskip(SKIP_2) | instid1(VALU_DEP_1)
	s_or_b32 exec_lo, exec_lo, s16
	v_lshrrev_b16 v1, 8, v0
	s_mov_b32 s16, exec_lo
	v_cmpx_ne_u16_e32 0, v1
	s_cbranch_execz .LBB198_377
; %bb.370:                              ;   in Loop: Header=BB198_9 Depth=1
	v_mov_b64_e32 v[44:45], 0x8000000000000000
	s_mov_b32 s17, exec_lo
	v_cmpx_ne_u16_e32 0x80, v1
	s_cbranch_execz .LBB198_376
; %bb.371:                              ;   in Loop: Header=BB198_9 Depth=1
	v_and_b32_e32 v1, 0xffff, v1
	v_mov_b64_e32 v[44:45], 0x7f80000100000000
	s_mov_b32 s18, exec_lo
	s_delay_alu instid0(VALU_DEP_2) | instskip(NEXT) | instid1(VALU_DEP_1)
	v_and_b32_e32 v2, 0x7f, v1
	v_cmpx_ne_u32_e32 0x7f, v2
	s_cbranch_execz .LBB198_375
; %bb.372:                              ;   in Loop: Header=BB198_9 Depth=1
	v_dual_lshrrev_b32 v1, 3, v2 :: v_dual_bitop2_b32 v108, 7, v1 bitop3:0x40
	s_mov_b32 s19, exec_lo
	v_cmpx_gt_u32_e32 8, v2
; %bb.373:                              ;   in Loop: Header=BB198_9 Depth=1
	s_delay_alu instid0(VALU_DEP_2) | instskip(NEXT) | instid1(VALU_DEP_1)
	v_clz_i32_u32_e32 v1, v108
	v_min_u32_e32 v1, 32, v1
	s_delay_alu instid0(VALU_DEP_1) | instskip(NEXT) | instid1(VALU_DEP_1)
	v_subrev_nc_u32_e32 v2, 28, v1
	v_lshlrev_b64_e32 v[2:3], v2, v[108:109]
	s_delay_alu instid0(VALU_DEP_1)
	v_dual_sub_nc_u32 v1, 29, v1 :: v_dual_bitop2_b32 v108, 7, v2 bitop3:0x40
; %bb.374:                              ;   in Loop: Header=BB198_9 Depth=1
	s_or_b32 exec_lo, exec_lo, s19
	v_dual_lshlrev_b32 v0, 16, v0 :: v_dual_mov_b32 v44, v109
	s_delay_alu instid0(VALU_DEP_2) | instskip(NEXT) | instid1(VALU_DEP_3)
	v_lshlrev_b32_e32 v2, 20, v108
	v_lshl_add_u32 v1, v1, 23, 0x3c000000
	s_delay_alu instid0(VALU_DEP_3) | instskip(NEXT) | instid1(VALU_DEP_1)
	v_and_b32_e32 v0, 0x80000000, v0
	v_or3_b32 v45, v2, v0, v1
.LBB198_375:                            ;   in Loop: Header=BB198_9 Depth=1
	s_or_b32 exec_lo, exec_lo, s18
.LBB198_376:                            ;   in Loop: Header=BB198_9 Depth=1
	s_delay_alu instid0(SALU_CYCLE_1)
	s_or_b32 exec_lo, exec_lo, s17
.LBB198_377:                            ;   in Loop: Header=BB198_9 Depth=1
	s_delay_alu instid0(SALU_CYCLE_1)
	s_or_b32 exec_lo, exec_lo, s16
	flat_load_u16 v1, v[10:11] offset:1292
	v_mov_b64_e32 v[56:57], 0
	v_mov_b64_e32 v[58:59], 0
	s_mov_b32 s16, exec_lo
	s_wait_loadcnt_dscnt 0x0
	v_and_b32_e32 v0, 0xffff, v1
	v_and_b32_e32 v1, 0xff, v1
	s_wait_xcnt 0x0
	s_delay_alu instid0(VALU_DEP_1)
	v_cmpx_ne_u16_e32 0, v1
	s_cbranch_execz .LBB198_385
; %bb.378:                              ;   in Loop: Header=BB198_9 Depth=1
	v_mov_b64_e32 v[58:59], 0x80000000
	v_and_b32_e32 v1, 0xff, v0
	s_mov_b32 s17, exec_lo
	s_delay_alu instid0(VALU_DEP_1)
	v_cmpx_ne_u16_e32 0x80, v1
	s_cbranch_execz .LBB198_384
; %bb.379:                              ;   in Loop: Header=BB198_9 Depth=1
	v_mov_b64_e32 v[58:59], 0x7f800001
	v_and_b32_e32 v2, 0x7f, v0
	s_mov_b32 s18, exec_lo
	s_delay_alu instid0(VALU_DEP_1)
	v_cmpx_ne_u32_e32 0x7f, v2
	s_cbranch_execz .LBB198_383
; %bb.380:                              ;   in Loop: Header=BB198_9 Depth=1
	v_dual_lshrrev_b32 v1, 3, v2 :: v_dual_bitop2_b32 v108, 7, v0 bitop3:0x40
	s_mov_b32 s19, exec_lo
	v_cmpx_gt_u32_e32 8, v2
; %bb.381:                              ;   in Loop: Header=BB198_9 Depth=1
	s_delay_alu instid0(VALU_DEP_2) | instskip(NEXT) | instid1(VALU_DEP_1)
	v_clz_i32_u32_e32 v1, v108
	v_min_u32_e32 v1, 32, v1
	s_delay_alu instid0(VALU_DEP_1) | instskip(NEXT) | instid1(VALU_DEP_1)
	v_subrev_nc_u32_e32 v2, 28, v1
	v_lshlrev_b64_e32 v[2:3], v2, v[108:109]
	s_delay_alu instid0(VALU_DEP_1)
	v_dual_sub_nc_u32 v1, 29, v1 :: v_dual_bitop2_b32 v108, 7, v2 bitop3:0x40
; %bb.382:                              ;   in Loop: Header=BB198_9 Depth=1
	s_or_b32 exec_lo, exec_lo, s19
	v_lshlrev_b32_e32 v2, 24, v0
	s_delay_alu instid0(VALU_DEP_2) | instskip(NEXT) | instid1(VALU_DEP_3)
	v_lshlrev_b32_e32 v3, 20, v108
	v_lshl_add_u32 v1, v1, 23, 0x3c000000
	s_delay_alu instid0(VALU_DEP_3) | instskip(NEXT) | instid1(VALU_DEP_1)
	v_and_b32_e32 v2, 0x80000000, v2
	v_or3_b32 v108, v3, v2, v1
	s_delay_alu instid0(VALU_DEP_1)
	v_mov_b64_e32 v[58:59], v[108:109]
.LBB198_383:                            ;   in Loop: Header=BB198_9 Depth=1
	s_or_b32 exec_lo, exec_lo, s18
.LBB198_384:                            ;   in Loop: Header=BB198_9 Depth=1
	s_delay_alu instid0(SALU_CYCLE_1)
	s_or_b32 exec_lo, exec_lo, s17
.LBB198_385:                            ;   in Loop: Header=BB198_9 Depth=1
	s_delay_alu instid0(SALU_CYCLE_1) | instskip(SKIP_2) | instid1(VALU_DEP_1)
	s_or_b32 exec_lo, exec_lo, s16
	v_lshrrev_b16 v1, 8, v0
	s_mov_b32 s16, exec_lo
	v_cmpx_ne_u16_e32 0, v1
	s_cbranch_execz .LBB198_393
; %bb.386:                              ;   in Loop: Header=BB198_9 Depth=1
	v_mov_b64_e32 v[56:57], 0x8000000000000000
	s_mov_b32 s17, exec_lo
	v_cmpx_ne_u16_e32 0x80, v1
	s_cbranch_execz .LBB198_392
; %bb.387:                              ;   in Loop: Header=BB198_9 Depth=1
	v_and_b32_e32 v1, 0xffff, v1
	v_mov_b64_e32 v[56:57], 0x7f80000100000000
	s_mov_b32 s18, exec_lo
	s_delay_alu instid0(VALU_DEP_2) | instskip(NEXT) | instid1(VALU_DEP_1)
	v_and_b32_e32 v2, 0x7f, v1
	v_cmpx_ne_u32_e32 0x7f, v2
	s_cbranch_execz .LBB198_391
; %bb.388:                              ;   in Loop: Header=BB198_9 Depth=1
	v_dual_lshrrev_b32 v1, 3, v2 :: v_dual_bitop2_b32 v108, 7, v1 bitop3:0x40
	s_mov_b32 s19, exec_lo
	v_cmpx_gt_u32_e32 8, v2
; %bb.389:                              ;   in Loop: Header=BB198_9 Depth=1
	s_delay_alu instid0(VALU_DEP_2) | instskip(NEXT) | instid1(VALU_DEP_1)
	v_clz_i32_u32_e32 v1, v108
	v_min_u32_e32 v1, 32, v1
	s_delay_alu instid0(VALU_DEP_1) | instskip(NEXT) | instid1(VALU_DEP_1)
	v_subrev_nc_u32_e32 v2, 28, v1
	v_lshlrev_b64_e32 v[2:3], v2, v[108:109]
	s_delay_alu instid0(VALU_DEP_1)
	v_dual_sub_nc_u32 v1, 29, v1 :: v_dual_bitop2_b32 v108, 7, v2 bitop3:0x40
; %bb.390:                              ;   in Loop: Header=BB198_9 Depth=1
	s_or_b32 exec_lo, exec_lo, s19
	v_dual_lshlrev_b32 v0, 16, v0 :: v_dual_mov_b32 v56, v109
	s_delay_alu instid0(VALU_DEP_2) | instskip(NEXT) | instid1(VALU_DEP_3)
	v_lshlrev_b32_e32 v2, 20, v108
	v_lshl_add_u32 v1, v1, 23, 0x3c000000
	s_delay_alu instid0(VALU_DEP_3) | instskip(NEXT) | instid1(VALU_DEP_1)
	v_and_b32_e32 v0, 0x80000000, v0
	v_or3_b32 v57, v2, v0, v1
.LBB198_391:                            ;   in Loop: Header=BB198_9 Depth=1
	s_or_b32 exec_lo, exec_lo, s18
.LBB198_392:                            ;   in Loop: Header=BB198_9 Depth=1
	s_delay_alu instid0(SALU_CYCLE_1)
	s_or_b32 exec_lo, exec_lo, s17
.LBB198_393:                            ;   in Loop: Header=BB198_9 Depth=1
	s_delay_alu instid0(SALU_CYCLE_1)
	s_or_b32 exec_lo, exec_lo, s16
	flat_load_u16 v1, v[10:11] offset:1536
	v_mov_b64_e32 v[60:61], 0
	v_mov_b64_e32 v[62:63], 0
	s_mov_b32 s16, exec_lo
	s_wait_loadcnt_dscnt 0x0
	v_and_b32_e32 v0, 0xffff, v1
	v_and_b32_e32 v1, 0xff, v1
	s_wait_xcnt 0x0
	s_delay_alu instid0(VALU_DEP_1)
	v_cmpx_ne_u16_e32 0, v1
	s_cbranch_execz .LBB198_401
; %bb.394:                              ;   in Loop: Header=BB198_9 Depth=1
	v_mov_b64_e32 v[62:63], 0x80000000
	v_and_b32_e32 v1, 0xff, v0
	s_mov_b32 s17, exec_lo
	s_delay_alu instid0(VALU_DEP_1)
	v_cmpx_ne_u16_e32 0x80, v1
	s_cbranch_execz .LBB198_400
; %bb.395:                              ;   in Loop: Header=BB198_9 Depth=1
	v_mov_b64_e32 v[62:63], 0x7f800001
	v_and_b32_e32 v2, 0x7f, v0
	s_mov_b32 s18, exec_lo
	s_delay_alu instid0(VALU_DEP_1)
	v_cmpx_ne_u32_e32 0x7f, v2
	s_cbranch_execz .LBB198_399
; %bb.396:                              ;   in Loop: Header=BB198_9 Depth=1
	v_dual_lshrrev_b32 v1, 3, v2 :: v_dual_bitop2_b32 v108, 7, v0 bitop3:0x40
	s_mov_b32 s19, exec_lo
	v_cmpx_gt_u32_e32 8, v2
; %bb.397:                              ;   in Loop: Header=BB198_9 Depth=1
	s_delay_alu instid0(VALU_DEP_2) | instskip(NEXT) | instid1(VALU_DEP_1)
	v_clz_i32_u32_e32 v1, v108
	v_min_u32_e32 v1, 32, v1
	s_delay_alu instid0(VALU_DEP_1) | instskip(NEXT) | instid1(VALU_DEP_1)
	v_subrev_nc_u32_e32 v2, 28, v1
	v_lshlrev_b64_e32 v[2:3], v2, v[108:109]
	s_delay_alu instid0(VALU_DEP_1)
	v_dual_sub_nc_u32 v1, 29, v1 :: v_dual_bitop2_b32 v108, 7, v2 bitop3:0x40
; %bb.398:                              ;   in Loop: Header=BB198_9 Depth=1
	s_or_b32 exec_lo, exec_lo, s19
	v_lshlrev_b32_e32 v2, 24, v0
	s_delay_alu instid0(VALU_DEP_2) | instskip(NEXT) | instid1(VALU_DEP_3)
	v_lshlrev_b32_e32 v3, 20, v108
	v_lshl_add_u32 v1, v1, 23, 0x3c000000
	s_delay_alu instid0(VALU_DEP_3) | instskip(NEXT) | instid1(VALU_DEP_1)
	v_and_b32_e32 v2, 0x80000000, v2
	v_or3_b32 v108, v3, v2, v1
	s_delay_alu instid0(VALU_DEP_1)
	v_mov_b64_e32 v[62:63], v[108:109]
.LBB198_399:                            ;   in Loop: Header=BB198_9 Depth=1
	s_or_b32 exec_lo, exec_lo, s18
.LBB198_400:                            ;   in Loop: Header=BB198_9 Depth=1
	s_delay_alu instid0(SALU_CYCLE_1)
	s_or_b32 exec_lo, exec_lo, s17
.LBB198_401:                            ;   in Loop: Header=BB198_9 Depth=1
	s_delay_alu instid0(SALU_CYCLE_1) | instskip(SKIP_2) | instid1(VALU_DEP_1)
	s_or_b32 exec_lo, exec_lo, s16
	v_lshrrev_b16 v1, 8, v0
	s_mov_b32 s16, exec_lo
	v_cmpx_ne_u16_e32 0, v1
	s_cbranch_execz .LBB198_409
; %bb.402:                              ;   in Loop: Header=BB198_9 Depth=1
	v_mov_b64_e32 v[60:61], 0x8000000000000000
	s_mov_b32 s17, exec_lo
	v_cmpx_ne_u16_e32 0x80, v1
	s_cbranch_execz .LBB198_408
; %bb.403:                              ;   in Loop: Header=BB198_9 Depth=1
	v_and_b32_e32 v1, 0xffff, v1
	v_mov_b64_e32 v[60:61], 0x7f80000100000000
	s_mov_b32 s18, exec_lo
	s_delay_alu instid0(VALU_DEP_2) | instskip(NEXT) | instid1(VALU_DEP_1)
	v_and_b32_e32 v2, 0x7f, v1
	v_cmpx_ne_u32_e32 0x7f, v2
	s_cbranch_execz .LBB198_407
; %bb.404:                              ;   in Loop: Header=BB198_9 Depth=1
	v_dual_lshrrev_b32 v1, 3, v2 :: v_dual_bitop2_b32 v108, 7, v1 bitop3:0x40
	s_mov_b32 s19, exec_lo
	v_cmpx_gt_u32_e32 8, v2
; %bb.405:                              ;   in Loop: Header=BB198_9 Depth=1
	s_delay_alu instid0(VALU_DEP_2) | instskip(NEXT) | instid1(VALU_DEP_1)
	v_clz_i32_u32_e32 v1, v108
	v_min_u32_e32 v1, 32, v1
	s_delay_alu instid0(VALU_DEP_1) | instskip(NEXT) | instid1(VALU_DEP_1)
	v_subrev_nc_u32_e32 v2, 28, v1
	v_lshlrev_b64_e32 v[2:3], v2, v[108:109]
	s_delay_alu instid0(VALU_DEP_1)
	v_dual_sub_nc_u32 v1, 29, v1 :: v_dual_bitop2_b32 v108, 7, v2 bitop3:0x40
; %bb.406:                              ;   in Loop: Header=BB198_9 Depth=1
	s_or_b32 exec_lo, exec_lo, s19
	v_dual_lshlrev_b32 v0, 16, v0 :: v_dual_mov_b32 v60, v109
	s_delay_alu instid0(VALU_DEP_2) | instskip(NEXT) | instid1(VALU_DEP_3)
	v_lshlrev_b32_e32 v2, 20, v108
	v_lshl_add_u32 v1, v1, 23, 0x3c000000
	s_delay_alu instid0(VALU_DEP_3) | instskip(NEXT) | instid1(VALU_DEP_1)
	v_and_b32_e32 v0, 0x80000000, v0
	v_or3_b32 v61, v2, v0, v1
.LBB198_407:                            ;   in Loop: Header=BB198_9 Depth=1
	s_or_b32 exec_lo, exec_lo, s18
.LBB198_408:                            ;   in Loop: Header=BB198_9 Depth=1
	s_delay_alu instid0(SALU_CYCLE_1)
	s_or_b32 exec_lo, exec_lo, s17
.LBB198_409:                            ;   in Loop: Header=BB198_9 Depth=1
	s_delay_alu instid0(SALU_CYCLE_1)
	s_or_b32 exec_lo, exec_lo, s16
	flat_load_u16 v1, v[10:11] offset:1540
	v_mov_b64_e32 v[72:73], 0
	v_mov_b64_e32 v[74:75], 0
	s_mov_b32 s16, exec_lo
	s_wait_loadcnt_dscnt 0x0
	v_and_b32_e32 v0, 0xffff, v1
	v_and_b32_e32 v1, 0xff, v1
	s_wait_xcnt 0x0
	s_delay_alu instid0(VALU_DEP_1)
	v_cmpx_ne_u16_e32 0, v1
	s_cbranch_execz .LBB198_417
; %bb.410:                              ;   in Loop: Header=BB198_9 Depth=1
	v_mov_b64_e32 v[74:75], 0x80000000
	v_and_b32_e32 v1, 0xff, v0
	s_mov_b32 s17, exec_lo
	s_delay_alu instid0(VALU_DEP_1)
	v_cmpx_ne_u16_e32 0x80, v1
	s_cbranch_execz .LBB198_416
; %bb.411:                              ;   in Loop: Header=BB198_9 Depth=1
	v_mov_b64_e32 v[74:75], 0x7f800001
	v_and_b32_e32 v2, 0x7f, v0
	s_mov_b32 s18, exec_lo
	s_delay_alu instid0(VALU_DEP_1)
	v_cmpx_ne_u32_e32 0x7f, v2
	s_cbranch_execz .LBB198_415
; %bb.412:                              ;   in Loop: Header=BB198_9 Depth=1
	v_dual_lshrrev_b32 v1, 3, v2 :: v_dual_bitop2_b32 v108, 7, v0 bitop3:0x40
	s_mov_b32 s19, exec_lo
	v_cmpx_gt_u32_e32 8, v2
; %bb.413:                              ;   in Loop: Header=BB198_9 Depth=1
	s_delay_alu instid0(VALU_DEP_2) | instskip(NEXT) | instid1(VALU_DEP_1)
	v_clz_i32_u32_e32 v1, v108
	v_min_u32_e32 v1, 32, v1
	s_delay_alu instid0(VALU_DEP_1) | instskip(NEXT) | instid1(VALU_DEP_1)
	v_subrev_nc_u32_e32 v2, 28, v1
	v_lshlrev_b64_e32 v[2:3], v2, v[108:109]
	s_delay_alu instid0(VALU_DEP_1)
	v_dual_sub_nc_u32 v1, 29, v1 :: v_dual_bitop2_b32 v108, 7, v2 bitop3:0x40
; %bb.414:                              ;   in Loop: Header=BB198_9 Depth=1
	s_or_b32 exec_lo, exec_lo, s19
	v_lshlrev_b32_e32 v2, 24, v0
	s_delay_alu instid0(VALU_DEP_2) | instskip(NEXT) | instid1(VALU_DEP_3)
	v_lshlrev_b32_e32 v3, 20, v108
	v_lshl_add_u32 v1, v1, 23, 0x3c000000
	s_delay_alu instid0(VALU_DEP_3) | instskip(NEXT) | instid1(VALU_DEP_1)
	v_and_b32_e32 v2, 0x80000000, v2
	v_or3_b32 v108, v3, v2, v1
	s_delay_alu instid0(VALU_DEP_1)
	v_mov_b64_e32 v[74:75], v[108:109]
.LBB198_415:                            ;   in Loop: Header=BB198_9 Depth=1
	s_or_b32 exec_lo, exec_lo, s18
.LBB198_416:                            ;   in Loop: Header=BB198_9 Depth=1
	s_delay_alu instid0(SALU_CYCLE_1)
	s_or_b32 exec_lo, exec_lo, s17
.LBB198_417:                            ;   in Loop: Header=BB198_9 Depth=1
	s_delay_alu instid0(SALU_CYCLE_1) | instskip(SKIP_2) | instid1(VALU_DEP_1)
	s_or_b32 exec_lo, exec_lo, s16
	v_lshrrev_b16 v1, 8, v0
	s_mov_b32 s16, exec_lo
	v_cmpx_ne_u16_e32 0, v1
	s_cbranch_execz .LBB198_425
; %bb.418:                              ;   in Loop: Header=BB198_9 Depth=1
	v_mov_b64_e32 v[72:73], 0x8000000000000000
	s_mov_b32 s17, exec_lo
	v_cmpx_ne_u16_e32 0x80, v1
	s_cbranch_execz .LBB198_424
; %bb.419:                              ;   in Loop: Header=BB198_9 Depth=1
	v_and_b32_e32 v1, 0xffff, v1
	v_mov_b64_e32 v[72:73], 0x7f80000100000000
	s_mov_b32 s18, exec_lo
	s_delay_alu instid0(VALU_DEP_2) | instskip(NEXT) | instid1(VALU_DEP_1)
	v_and_b32_e32 v2, 0x7f, v1
	v_cmpx_ne_u32_e32 0x7f, v2
	s_cbranch_execz .LBB198_423
; %bb.420:                              ;   in Loop: Header=BB198_9 Depth=1
	v_dual_lshrrev_b32 v1, 3, v2 :: v_dual_bitop2_b32 v108, 7, v1 bitop3:0x40
	s_mov_b32 s19, exec_lo
	v_cmpx_gt_u32_e32 8, v2
; %bb.421:                              ;   in Loop: Header=BB198_9 Depth=1
	s_delay_alu instid0(VALU_DEP_2) | instskip(NEXT) | instid1(VALU_DEP_1)
	v_clz_i32_u32_e32 v1, v108
	v_min_u32_e32 v1, 32, v1
	s_delay_alu instid0(VALU_DEP_1) | instskip(NEXT) | instid1(VALU_DEP_1)
	v_subrev_nc_u32_e32 v2, 28, v1
	v_lshlrev_b64_e32 v[2:3], v2, v[108:109]
	s_delay_alu instid0(VALU_DEP_1)
	v_dual_sub_nc_u32 v1, 29, v1 :: v_dual_bitop2_b32 v108, 7, v2 bitop3:0x40
; %bb.422:                              ;   in Loop: Header=BB198_9 Depth=1
	s_or_b32 exec_lo, exec_lo, s19
	v_dual_lshlrev_b32 v0, 16, v0 :: v_dual_mov_b32 v72, v109
	s_delay_alu instid0(VALU_DEP_2) | instskip(NEXT) | instid1(VALU_DEP_3)
	v_lshlrev_b32_e32 v2, 20, v108
	v_lshl_add_u32 v1, v1, 23, 0x3c000000
	s_delay_alu instid0(VALU_DEP_3) | instskip(NEXT) | instid1(VALU_DEP_1)
	v_and_b32_e32 v0, 0x80000000, v0
	v_or3_b32 v73, v2, v0, v1
.LBB198_423:                            ;   in Loop: Header=BB198_9 Depth=1
	s_or_b32 exec_lo, exec_lo, s18
.LBB198_424:                            ;   in Loop: Header=BB198_9 Depth=1
	s_delay_alu instid0(SALU_CYCLE_1)
	s_or_b32 exec_lo, exec_lo, s17
.LBB198_425:                            ;   in Loop: Header=BB198_9 Depth=1
	s_delay_alu instid0(SALU_CYCLE_1)
	s_or_b32 exec_lo, exec_lo, s16
	flat_load_u16 v1, v[10:11] offset:1544
	v_mov_b64_e32 v[76:77], 0
	v_mov_b64_e32 v[78:79], 0
	s_mov_b32 s16, exec_lo
	s_wait_loadcnt_dscnt 0x0
	v_and_b32_e32 v0, 0xffff, v1
	v_and_b32_e32 v1, 0xff, v1
	s_wait_xcnt 0x0
	s_delay_alu instid0(VALU_DEP_1)
	v_cmpx_ne_u16_e32 0, v1
	s_cbranch_execz .LBB198_433
; %bb.426:                              ;   in Loop: Header=BB198_9 Depth=1
	v_mov_b64_e32 v[78:79], 0x80000000
	v_and_b32_e32 v1, 0xff, v0
	s_mov_b32 s17, exec_lo
	s_delay_alu instid0(VALU_DEP_1)
	v_cmpx_ne_u16_e32 0x80, v1
	s_cbranch_execz .LBB198_432
; %bb.427:                              ;   in Loop: Header=BB198_9 Depth=1
	v_mov_b64_e32 v[78:79], 0x7f800001
	v_and_b32_e32 v2, 0x7f, v0
	s_mov_b32 s18, exec_lo
	s_delay_alu instid0(VALU_DEP_1)
	v_cmpx_ne_u32_e32 0x7f, v2
	s_cbranch_execz .LBB198_431
; %bb.428:                              ;   in Loop: Header=BB198_9 Depth=1
	v_dual_lshrrev_b32 v1, 3, v2 :: v_dual_bitop2_b32 v108, 7, v0 bitop3:0x40
	s_mov_b32 s19, exec_lo
	v_cmpx_gt_u32_e32 8, v2
; %bb.429:                              ;   in Loop: Header=BB198_9 Depth=1
	s_delay_alu instid0(VALU_DEP_2) | instskip(NEXT) | instid1(VALU_DEP_1)
	v_clz_i32_u32_e32 v1, v108
	v_min_u32_e32 v1, 32, v1
	s_delay_alu instid0(VALU_DEP_1) | instskip(NEXT) | instid1(VALU_DEP_1)
	v_subrev_nc_u32_e32 v2, 28, v1
	v_lshlrev_b64_e32 v[2:3], v2, v[108:109]
	s_delay_alu instid0(VALU_DEP_1)
	v_dual_sub_nc_u32 v1, 29, v1 :: v_dual_bitop2_b32 v108, 7, v2 bitop3:0x40
; %bb.430:                              ;   in Loop: Header=BB198_9 Depth=1
	s_or_b32 exec_lo, exec_lo, s19
	v_lshlrev_b32_e32 v2, 24, v0
	s_delay_alu instid0(VALU_DEP_2) | instskip(NEXT) | instid1(VALU_DEP_3)
	v_lshlrev_b32_e32 v3, 20, v108
	v_lshl_add_u32 v1, v1, 23, 0x3c000000
	s_delay_alu instid0(VALU_DEP_3) | instskip(NEXT) | instid1(VALU_DEP_1)
	v_and_b32_e32 v2, 0x80000000, v2
	v_or3_b32 v108, v3, v2, v1
	s_delay_alu instid0(VALU_DEP_1)
	v_mov_b64_e32 v[78:79], v[108:109]
.LBB198_431:                            ;   in Loop: Header=BB198_9 Depth=1
	s_or_b32 exec_lo, exec_lo, s18
.LBB198_432:                            ;   in Loop: Header=BB198_9 Depth=1
	s_delay_alu instid0(SALU_CYCLE_1)
	s_or_b32 exec_lo, exec_lo, s17
.LBB198_433:                            ;   in Loop: Header=BB198_9 Depth=1
	s_delay_alu instid0(SALU_CYCLE_1) | instskip(SKIP_2) | instid1(VALU_DEP_1)
	s_or_b32 exec_lo, exec_lo, s16
	v_lshrrev_b16 v1, 8, v0
	s_mov_b32 s16, exec_lo
	v_cmpx_ne_u16_e32 0, v1
	s_cbranch_execz .LBB198_441
; %bb.434:                              ;   in Loop: Header=BB198_9 Depth=1
	v_mov_b64_e32 v[76:77], 0x8000000000000000
	s_mov_b32 s17, exec_lo
	v_cmpx_ne_u16_e32 0x80, v1
	s_cbranch_execz .LBB198_440
; %bb.435:                              ;   in Loop: Header=BB198_9 Depth=1
	v_and_b32_e32 v1, 0xffff, v1
	v_mov_b64_e32 v[76:77], 0x7f80000100000000
	s_mov_b32 s18, exec_lo
	s_delay_alu instid0(VALU_DEP_2) | instskip(NEXT) | instid1(VALU_DEP_1)
	v_and_b32_e32 v2, 0x7f, v1
	v_cmpx_ne_u32_e32 0x7f, v2
	s_cbranch_execz .LBB198_439
; %bb.436:                              ;   in Loop: Header=BB198_9 Depth=1
	v_dual_lshrrev_b32 v1, 3, v2 :: v_dual_bitop2_b32 v108, 7, v1 bitop3:0x40
	s_mov_b32 s19, exec_lo
	v_cmpx_gt_u32_e32 8, v2
; %bb.437:                              ;   in Loop: Header=BB198_9 Depth=1
	s_delay_alu instid0(VALU_DEP_2) | instskip(NEXT) | instid1(VALU_DEP_1)
	v_clz_i32_u32_e32 v1, v108
	v_min_u32_e32 v1, 32, v1
	s_delay_alu instid0(VALU_DEP_1) | instskip(NEXT) | instid1(VALU_DEP_1)
	v_subrev_nc_u32_e32 v2, 28, v1
	v_lshlrev_b64_e32 v[2:3], v2, v[108:109]
	s_delay_alu instid0(VALU_DEP_1)
	v_dual_sub_nc_u32 v1, 29, v1 :: v_dual_bitop2_b32 v108, 7, v2 bitop3:0x40
; %bb.438:                              ;   in Loop: Header=BB198_9 Depth=1
	s_or_b32 exec_lo, exec_lo, s19
	v_dual_lshlrev_b32 v0, 16, v0 :: v_dual_mov_b32 v76, v109
	s_delay_alu instid0(VALU_DEP_2) | instskip(NEXT) | instid1(VALU_DEP_3)
	v_lshlrev_b32_e32 v2, 20, v108
	v_lshl_add_u32 v1, v1, 23, 0x3c000000
	s_delay_alu instid0(VALU_DEP_3) | instskip(NEXT) | instid1(VALU_DEP_1)
	v_and_b32_e32 v0, 0x80000000, v0
	v_or3_b32 v77, v2, v0, v1
.LBB198_439:                            ;   in Loop: Header=BB198_9 Depth=1
	s_or_b32 exec_lo, exec_lo, s18
.LBB198_440:                            ;   in Loop: Header=BB198_9 Depth=1
	s_delay_alu instid0(SALU_CYCLE_1)
	s_or_b32 exec_lo, exec_lo, s17
.LBB198_441:                            ;   in Loop: Header=BB198_9 Depth=1
	s_delay_alu instid0(SALU_CYCLE_1)
	s_or_b32 exec_lo, exec_lo, s16
	flat_load_u16 v1, v[10:11] offset:1548
	v_mov_b64_e32 v[88:89], 0
	v_mov_b64_e32 v[90:91], 0
	s_mov_b32 s16, exec_lo
	s_wait_loadcnt_dscnt 0x0
	v_and_b32_e32 v0, 0xffff, v1
	v_and_b32_e32 v1, 0xff, v1
	s_wait_xcnt 0x0
	s_delay_alu instid0(VALU_DEP_1)
	v_cmpx_ne_u16_e32 0, v1
	s_cbranch_execz .LBB198_449
; %bb.442:                              ;   in Loop: Header=BB198_9 Depth=1
	v_mov_b64_e32 v[90:91], 0x80000000
	v_and_b32_e32 v1, 0xff, v0
	s_mov_b32 s17, exec_lo
	s_delay_alu instid0(VALU_DEP_1)
	v_cmpx_ne_u16_e32 0x80, v1
	s_cbranch_execz .LBB198_448
; %bb.443:                              ;   in Loop: Header=BB198_9 Depth=1
	v_mov_b64_e32 v[90:91], 0x7f800001
	v_and_b32_e32 v2, 0x7f, v0
	s_mov_b32 s18, exec_lo
	s_delay_alu instid0(VALU_DEP_1)
	v_cmpx_ne_u32_e32 0x7f, v2
	s_cbranch_execz .LBB198_447
; %bb.444:                              ;   in Loop: Header=BB198_9 Depth=1
	v_dual_lshrrev_b32 v1, 3, v2 :: v_dual_bitop2_b32 v108, 7, v0 bitop3:0x40
	s_mov_b32 s19, exec_lo
	v_cmpx_gt_u32_e32 8, v2
; %bb.445:                              ;   in Loop: Header=BB198_9 Depth=1
	s_delay_alu instid0(VALU_DEP_2) | instskip(NEXT) | instid1(VALU_DEP_1)
	v_clz_i32_u32_e32 v1, v108
	v_min_u32_e32 v1, 32, v1
	s_delay_alu instid0(VALU_DEP_1) | instskip(NEXT) | instid1(VALU_DEP_1)
	v_subrev_nc_u32_e32 v2, 28, v1
	v_lshlrev_b64_e32 v[2:3], v2, v[108:109]
	s_delay_alu instid0(VALU_DEP_1)
	v_dual_sub_nc_u32 v1, 29, v1 :: v_dual_bitop2_b32 v108, 7, v2 bitop3:0x40
; %bb.446:                              ;   in Loop: Header=BB198_9 Depth=1
	s_or_b32 exec_lo, exec_lo, s19
	v_lshlrev_b32_e32 v2, 24, v0
	s_delay_alu instid0(VALU_DEP_2) | instskip(NEXT) | instid1(VALU_DEP_3)
	v_lshlrev_b32_e32 v3, 20, v108
	v_lshl_add_u32 v1, v1, 23, 0x3c000000
	s_delay_alu instid0(VALU_DEP_3) | instskip(NEXT) | instid1(VALU_DEP_1)
	v_and_b32_e32 v2, 0x80000000, v2
	v_or3_b32 v108, v3, v2, v1
	s_delay_alu instid0(VALU_DEP_1)
	v_mov_b64_e32 v[90:91], v[108:109]
.LBB198_447:                            ;   in Loop: Header=BB198_9 Depth=1
	s_or_b32 exec_lo, exec_lo, s18
.LBB198_448:                            ;   in Loop: Header=BB198_9 Depth=1
	s_delay_alu instid0(SALU_CYCLE_1)
	s_or_b32 exec_lo, exec_lo, s17
.LBB198_449:                            ;   in Loop: Header=BB198_9 Depth=1
	s_delay_alu instid0(SALU_CYCLE_1) | instskip(SKIP_2) | instid1(VALU_DEP_1)
	s_or_b32 exec_lo, exec_lo, s16
	v_lshrrev_b16 v1, 8, v0
	s_mov_b32 s16, exec_lo
	v_cmpx_ne_u16_e32 0, v1
	s_cbranch_execz .LBB198_457
; %bb.450:                              ;   in Loop: Header=BB198_9 Depth=1
	v_mov_b64_e32 v[88:89], 0x8000000000000000
	s_mov_b32 s17, exec_lo
	v_cmpx_ne_u16_e32 0x80, v1
	s_cbranch_execz .LBB198_456
; %bb.451:                              ;   in Loop: Header=BB198_9 Depth=1
	v_and_b32_e32 v1, 0xffff, v1
	v_mov_b64_e32 v[88:89], 0x7f80000100000000
	s_mov_b32 s18, exec_lo
	s_delay_alu instid0(VALU_DEP_2) | instskip(NEXT) | instid1(VALU_DEP_1)
	v_and_b32_e32 v2, 0x7f, v1
	v_cmpx_ne_u32_e32 0x7f, v2
	s_cbranch_execz .LBB198_455
; %bb.452:                              ;   in Loop: Header=BB198_9 Depth=1
	v_dual_lshrrev_b32 v1, 3, v2 :: v_dual_bitop2_b32 v108, 7, v1 bitop3:0x40
	s_mov_b32 s19, exec_lo
	v_cmpx_gt_u32_e32 8, v2
; %bb.453:                              ;   in Loop: Header=BB198_9 Depth=1
	s_delay_alu instid0(VALU_DEP_2) | instskip(NEXT) | instid1(VALU_DEP_1)
	v_clz_i32_u32_e32 v1, v108
	v_min_u32_e32 v1, 32, v1
	s_delay_alu instid0(VALU_DEP_1) | instskip(NEXT) | instid1(VALU_DEP_1)
	v_subrev_nc_u32_e32 v2, 28, v1
	v_lshlrev_b64_e32 v[2:3], v2, v[108:109]
	s_delay_alu instid0(VALU_DEP_1)
	v_dual_sub_nc_u32 v1, 29, v1 :: v_dual_bitop2_b32 v108, 7, v2 bitop3:0x40
; %bb.454:                              ;   in Loop: Header=BB198_9 Depth=1
	s_or_b32 exec_lo, exec_lo, s19
	v_dual_lshlrev_b32 v0, 16, v0 :: v_dual_mov_b32 v88, v109
	s_delay_alu instid0(VALU_DEP_2) | instskip(NEXT) | instid1(VALU_DEP_3)
	v_lshlrev_b32_e32 v2, 20, v108
	v_lshl_add_u32 v1, v1, 23, 0x3c000000
	s_delay_alu instid0(VALU_DEP_3) | instskip(NEXT) | instid1(VALU_DEP_1)
	v_and_b32_e32 v0, 0x80000000, v0
	v_or3_b32 v89, v2, v0, v1
.LBB198_455:                            ;   in Loop: Header=BB198_9 Depth=1
	s_or_b32 exec_lo, exec_lo, s18
.LBB198_456:                            ;   in Loop: Header=BB198_9 Depth=1
	s_delay_alu instid0(SALU_CYCLE_1)
	s_or_b32 exec_lo, exec_lo, s17
.LBB198_457:                            ;   in Loop: Header=BB198_9 Depth=1
	s_delay_alu instid0(SALU_CYCLE_1)
	s_or_b32 exec_lo, exec_lo, s16
	flat_load_u16 v1, v[10:11] offset:1792
	v_mov_b64_e32 v[92:93], 0
	v_mov_b64_e32 v[94:95], 0
	s_mov_b32 s16, exec_lo
	s_wait_loadcnt_dscnt 0x0
	v_and_b32_e32 v0, 0xffff, v1
	v_and_b32_e32 v1, 0xff, v1
	s_wait_xcnt 0x0
	s_delay_alu instid0(VALU_DEP_1)
	v_cmpx_ne_u16_e32 0, v1
	s_cbranch_execz .LBB198_465
; %bb.458:                              ;   in Loop: Header=BB198_9 Depth=1
	v_mov_b64_e32 v[94:95], 0x80000000
	v_and_b32_e32 v1, 0xff, v0
	s_mov_b32 s17, exec_lo
	s_delay_alu instid0(VALU_DEP_1)
	v_cmpx_ne_u16_e32 0x80, v1
	s_cbranch_execz .LBB198_464
; %bb.459:                              ;   in Loop: Header=BB198_9 Depth=1
	v_mov_b64_e32 v[94:95], 0x7f800001
	v_and_b32_e32 v2, 0x7f, v0
	s_mov_b32 s18, exec_lo
	s_delay_alu instid0(VALU_DEP_1)
	v_cmpx_ne_u32_e32 0x7f, v2
	s_cbranch_execz .LBB198_463
; %bb.460:                              ;   in Loop: Header=BB198_9 Depth=1
	v_dual_lshrrev_b32 v1, 3, v2 :: v_dual_bitop2_b32 v108, 7, v0 bitop3:0x40
	s_mov_b32 s19, exec_lo
	v_cmpx_gt_u32_e32 8, v2
; %bb.461:                              ;   in Loop: Header=BB198_9 Depth=1
	s_delay_alu instid0(VALU_DEP_2) | instskip(NEXT) | instid1(VALU_DEP_1)
	v_clz_i32_u32_e32 v1, v108
	v_min_u32_e32 v1, 32, v1
	s_delay_alu instid0(VALU_DEP_1) | instskip(NEXT) | instid1(VALU_DEP_1)
	v_subrev_nc_u32_e32 v2, 28, v1
	v_lshlrev_b64_e32 v[2:3], v2, v[108:109]
	s_delay_alu instid0(VALU_DEP_1)
	v_dual_sub_nc_u32 v1, 29, v1 :: v_dual_bitop2_b32 v108, 7, v2 bitop3:0x40
; %bb.462:                              ;   in Loop: Header=BB198_9 Depth=1
	s_or_b32 exec_lo, exec_lo, s19
	v_lshlrev_b32_e32 v2, 24, v0
	s_delay_alu instid0(VALU_DEP_2) | instskip(NEXT) | instid1(VALU_DEP_3)
	v_lshlrev_b32_e32 v3, 20, v108
	v_lshl_add_u32 v1, v1, 23, 0x3c000000
	s_delay_alu instid0(VALU_DEP_3) | instskip(NEXT) | instid1(VALU_DEP_1)
	v_and_b32_e32 v2, 0x80000000, v2
	v_or3_b32 v108, v3, v2, v1
	s_delay_alu instid0(VALU_DEP_1)
	v_mov_b64_e32 v[94:95], v[108:109]
.LBB198_463:                            ;   in Loop: Header=BB198_9 Depth=1
	s_or_b32 exec_lo, exec_lo, s18
.LBB198_464:                            ;   in Loop: Header=BB198_9 Depth=1
	s_delay_alu instid0(SALU_CYCLE_1)
	s_or_b32 exec_lo, exec_lo, s17
.LBB198_465:                            ;   in Loop: Header=BB198_9 Depth=1
	s_delay_alu instid0(SALU_CYCLE_1) | instskip(SKIP_2) | instid1(VALU_DEP_1)
	s_or_b32 exec_lo, exec_lo, s16
	v_lshrrev_b16 v1, 8, v0
	s_mov_b32 s16, exec_lo
	v_cmpx_ne_u16_e32 0, v1
	s_cbranch_execz .LBB198_473
; %bb.466:                              ;   in Loop: Header=BB198_9 Depth=1
	v_mov_b64_e32 v[92:93], 0x8000000000000000
	s_mov_b32 s17, exec_lo
	v_cmpx_ne_u16_e32 0x80, v1
	s_cbranch_execz .LBB198_472
; %bb.467:                              ;   in Loop: Header=BB198_9 Depth=1
	v_and_b32_e32 v1, 0xffff, v1
	v_mov_b64_e32 v[92:93], 0x7f80000100000000
	s_mov_b32 s18, exec_lo
	s_delay_alu instid0(VALU_DEP_2) | instskip(NEXT) | instid1(VALU_DEP_1)
	v_and_b32_e32 v2, 0x7f, v1
	v_cmpx_ne_u32_e32 0x7f, v2
	s_cbranch_execz .LBB198_471
; %bb.468:                              ;   in Loop: Header=BB198_9 Depth=1
	v_dual_lshrrev_b32 v1, 3, v2 :: v_dual_bitop2_b32 v108, 7, v1 bitop3:0x40
	s_mov_b32 s19, exec_lo
	v_cmpx_gt_u32_e32 8, v2
; %bb.469:                              ;   in Loop: Header=BB198_9 Depth=1
	s_delay_alu instid0(VALU_DEP_2) | instskip(NEXT) | instid1(VALU_DEP_1)
	v_clz_i32_u32_e32 v1, v108
	v_min_u32_e32 v1, 32, v1
	s_delay_alu instid0(VALU_DEP_1) | instskip(NEXT) | instid1(VALU_DEP_1)
	v_subrev_nc_u32_e32 v2, 28, v1
	v_lshlrev_b64_e32 v[2:3], v2, v[108:109]
	s_delay_alu instid0(VALU_DEP_1)
	v_dual_sub_nc_u32 v1, 29, v1 :: v_dual_bitop2_b32 v108, 7, v2 bitop3:0x40
; %bb.470:                              ;   in Loop: Header=BB198_9 Depth=1
	s_or_b32 exec_lo, exec_lo, s19
	v_dual_lshlrev_b32 v0, 16, v0 :: v_dual_mov_b32 v92, v109
	s_delay_alu instid0(VALU_DEP_2) | instskip(NEXT) | instid1(VALU_DEP_3)
	v_lshlrev_b32_e32 v2, 20, v108
	v_lshl_add_u32 v1, v1, 23, 0x3c000000
	s_delay_alu instid0(VALU_DEP_3) | instskip(NEXT) | instid1(VALU_DEP_1)
	v_and_b32_e32 v0, 0x80000000, v0
	v_or3_b32 v93, v2, v0, v1
.LBB198_471:                            ;   in Loop: Header=BB198_9 Depth=1
	s_or_b32 exec_lo, exec_lo, s18
.LBB198_472:                            ;   in Loop: Header=BB198_9 Depth=1
	s_delay_alu instid0(SALU_CYCLE_1)
	s_or_b32 exec_lo, exec_lo, s17
.LBB198_473:                            ;   in Loop: Header=BB198_9 Depth=1
	s_delay_alu instid0(SALU_CYCLE_1)
	s_or_b32 exec_lo, exec_lo, s16
	flat_load_u16 v1, v[10:11] offset:1796
	v_mov_b64_e32 v[126:127], 0
	v_mov_b64_e32 v[20:21], 0
	s_mov_b32 s16, exec_lo
	s_wait_loadcnt_dscnt 0x0
	v_and_b32_e32 v0, 0xffff, v1
	v_and_b32_e32 v1, 0xff, v1
	s_wait_xcnt 0x0
	s_delay_alu instid0(VALU_DEP_1)
	v_cmpx_ne_u16_e32 0, v1
	s_cbranch_execz .LBB198_481
; %bb.474:                              ;   in Loop: Header=BB198_9 Depth=1
	v_mov_b64_e32 v[20:21], 0x80000000
	v_and_b32_e32 v1, 0xff, v0
	s_mov_b32 s17, exec_lo
	s_delay_alu instid0(VALU_DEP_1)
	v_cmpx_ne_u16_e32 0x80, v1
	s_cbranch_execz .LBB198_480
; %bb.475:                              ;   in Loop: Header=BB198_9 Depth=1
	v_mov_b64_e32 v[20:21], 0x7f800001
	v_and_b32_e32 v2, 0x7f, v0
	s_mov_b32 s18, exec_lo
	s_delay_alu instid0(VALU_DEP_1)
	v_cmpx_ne_u32_e32 0x7f, v2
	s_cbranch_execz .LBB198_479
; %bb.476:                              ;   in Loop: Header=BB198_9 Depth=1
	v_dual_lshrrev_b32 v1, 3, v2 :: v_dual_bitop2_b32 v108, 7, v0 bitop3:0x40
	s_mov_b32 s19, exec_lo
	v_cmpx_gt_u32_e32 8, v2
; %bb.477:                              ;   in Loop: Header=BB198_9 Depth=1
	s_delay_alu instid0(VALU_DEP_2) | instskip(NEXT) | instid1(VALU_DEP_1)
	v_clz_i32_u32_e32 v1, v108
	v_min_u32_e32 v1, 32, v1
	s_delay_alu instid0(VALU_DEP_1) | instskip(NEXT) | instid1(VALU_DEP_1)
	v_subrev_nc_u32_e32 v2, 28, v1
	v_lshlrev_b64_e32 v[2:3], v2, v[108:109]
	s_delay_alu instid0(VALU_DEP_1)
	v_dual_sub_nc_u32 v1, 29, v1 :: v_dual_bitop2_b32 v108, 7, v2 bitop3:0x40
; %bb.478:                              ;   in Loop: Header=BB198_9 Depth=1
	s_or_b32 exec_lo, exec_lo, s19
	v_lshlrev_b32_e32 v2, 24, v0
	s_delay_alu instid0(VALU_DEP_2) | instskip(NEXT) | instid1(VALU_DEP_3)
	v_lshlrev_b32_e32 v3, 20, v108
	v_lshl_add_u32 v1, v1, 23, 0x3c000000
	s_delay_alu instid0(VALU_DEP_3) | instskip(NEXT) | instid1(VALU_DEP_1)
	v_and_b32_e32 v2, 0x80000000, v2
	v_or3_b32 v108, v3, v2, v1
	s_delay_alu instid0(VALU_DEP_1)
	v_mov_b64_e32 v[20:21], v[108:109]
.LBB198_479:                            ;   in Loop: Header=BB198_9 Depth=1
	s_or_b32 exec_lo, exec_lo, s18
.LBB198_480:                            ;   in Loop: Header=BB198_9 Depth=1
	s_delay_alu instid0(SALU_CYCLE_1)
	s_or_b32 exec_lo, exec_lo, s17
.LBB198_481:                            ;   in Loop: Header=BB198_9 Depth=1
	s_delay_alu instid0(SALU_CYCLE_1) | instskip(SKIP_2) | instid1(VALU_DEP_1)
	s_or_b32 exec_lo, exec_lo, s16
	v_lshrrev_b16 v1, 8, v0
	s_mov_b32 s16, exec_lo
	v_cmpx_ne_u16_e32 0, v1
	s_cbranch_execz .LBB198_489
; %bb.482:                              ;   in Loop: Header=BB198_9 Depth=1
	v_mov_b64_e32 v[126:127], 0x8000000000000000
	s_mov_b32 s17, exec_lo
	v_cmpx_ne_u16_e32 0x80, v1
	s_cbranch_execz .LBB198_488
; %bb.483:                              ;   in Loop: Header=BB198_9 Depth=1
	v_and_b32_e32 v1, 0xffff, v1
	v_mov_b64_e32 v[126:127], 0x7f80000100000000
	s_mov_b32 s18, exec_lo
	s_delay_alu instid0(VALU_DEP_2) | instskip(NEXT) | instid1(VALU_DEP_1)
	v_and_b32_e32 v2, 0x7f, v1
	v_cmpx_ne_u32_e32 0x7f, v2
	s_cbranch_execz .LBB198_487
; %bb.484:                              ;   in Loop: Header=BB198_9 Depth=1
	v_dual_lshrrev_b32 v1, 3, v2 :: v_dual_bitop2_b32 v108, 7, v1 bitop3:0x40
	s_mov_b32 s19, exec_lo
	v_cmpx_gt_u32_e32 8, v2
; %bb.485:                              ;   in Loop: Header=BB198_9 Depth=1
	s_delay_alu instid0(VALU_DEP_2) | instskip(NEXT) | instid1(VALU_DEP_1)
	v_clz_i32_u32_e32 v1, v108
	v_min_u32_e32 v1, 32, v1
	s_delay_alu instid0(VALU_DEP_1) | instskip(NEXT) | instid1(VALU_DEP_1)
	v_subrev_nc_u32_e32 v2, 28, v1
	v_lshlrev_b64_e32 v[2:3], v2, v[108:109]
	s_delay_alu instid0(VALU_DEP_1)
	v_dual_sub_nc_u32 v1, 29, v1 :: v_dual_bitop2_b32 v108, 7, v2 bitop3:0x40
; %bb.486:                              ;   in Loop: Header=BB198_9 Depth=1
	s_or_b32 exec_lo, exec_lo, s19
	v_dual_lshlrev_b32 v0, 16, v0 :: v_dual_mov_b32 v126, v109
	s_delay_alu instid0(VALU_DEP_2) | instskip(NEXT) | instid1(VALU_DEP_3)
	v_lshlrev_b32_e32 v2, 20, v108
	v_lshl_add_u32 v1, v1, 23, 0x3c000000
	s_delay_alu instid0(VALU_DEP_3) | instskip(NEXT) | instid1(VALU_DEP_1)
	v_and_b32_e32 v0, 0x80000000, v0
	v_or3_b32 v127, v2, v0, v1
.LBB198_487:                            ;   in Loop: Header=BB198_9 Depth=1
	s_or_b32 exec_lo, exec_lo, s18
.LBB198_488:                            ;   in Loop: Header=BB198_9 Depth=1
	s_delay_alu instid0(SALU_CYCLE_1)
	s_or_b32 exec_lo, exec_lo, s17
.LBB198_489:                            ;   in Loop: Header=BB198_9 Depth=1
	s_delay_alu instid0(SALU_CYCLE_1)
	s_or_b32 exec_lo, exec_lo, s16
	flat_load_u16 v0, v[10:11] offset:1800
	v_mov_b64_e32 v[6:7], 0
	s_wait_loadcnt_dscnt 0x0
	v_and_b32_e32 v2, 0xffff, v0
	v_and_b32_e32 v0, 0xff, v0
	s_delay_alu instid0(VALU_DEP_1)
	v_cmp_ne_u16_e64 s2, 0, v0
	v_mov_b64_e32 v[0:1], 0
	s_wait_xcnt 0x0
	s_and_saveexec_b32 s16, s2
	s_cbranch_execz .LBB198_497
; %bb.490:                              ;   in Loop: Header=BB198_9 Depth=1
	v_mov_b64_e32 v[6:7], 0x80000000
	v_and_b32_e32 v3, 0xff, v2
	s_mov_b32 s17, exec_lo
	s_delay_alu instid0(VALU_DEP_1)
	v_cmpx_ne_u16_e32 0x80, v3
	s_cbranch_execz .LBB198_496
; %bb.491:                              ;   in Loop: Header=BB198_9 Depth=1
	v_mov_b64_e32 v[6:7], 0x7f800001
	v_and_b32_e32 v4, 0x7f, v2
	s_mov_b32 s18, exec_lo
	s_delay_alu instid0(VALU_DEP_1)
	v_cmpx_ne_u32_e32 0x7f, v4
	s_cbranch_execz .LBB198_495
; %bb.492:                              ;   in Loop: Header=BB198_9 Depth=1
	v_dual_lshrrev_b32 v3, 3, v4 :: v_dual_bitop2_b32 v108, 7, v2 bitop3:0x40
	s_mov_b32 s19, exec_lo
	v_cmpx_gt_u32_e32 8, v4
; %bb.493:                              ;   in Loop: Header=BB198_9 Depth=1
	s_delay_alu instid0(VALU_DEP_2) | instskip(NEXT) | instid1(VALU_DEP_1)
	v_clz_i32_u32_e32 v3, v108
	v_min_u32_e32 v3, 32, v3
	s_delay_alu instid0(VALU_DEP_1) | instskip(NEXT) | instid1(VALU_DEP_1)
	v_subrev_nc_u32_e32 v4, 28, v3
	v_lshlrev_b64_e32 v[4:5], v4, v[108:109]
	s_delay_alu instid0(VALU_DEP_1)
	v_dual_sub_nc_u32 v3, 29, v3 :: v_dual_bitop2_b32 v108, 7, v4 bitop3:0x40
; %bb.494:                              ;   in Loop: Header=BB198_9 Depth=1
	s_or_b32 exec_lo, exec_lo, s19
	s_delay_alu instid0(VALU_DEP_1) | instskip(NEXT) | instid1(VALU_DEP_2)
	v_dual_lshlrev_b32 v4, 24, v2 :: v_dual_lshlrev_b32 v5, 20, v108
	v_lshl_add_u32 v3, v3, 23, 0x3c000000
	s_delay_alu instid0(VALU_DEP_2) | instskip(NEXT) | instid1(VALU_DEP_1)
	v_and_b32_e32 v4, 0x80000000, v4
	v_or3_b32 v108, v5, v4, v3
	s_delay_alu instid0(VALU_DEP_1)
	v_mov_b64_e32 v[6:7], v[108:109]
.LBB198_495:                            ;   in Loop: Header=BB198_9 Depth=1
	s_or_b32 exec_lo, exec_lo, s18
.LBB198_496:                            ;   in Loop: Header=BB198_9 Depth=1
	s_delay_alu instid0(SALU_CYCLE_1)
	s_or_b32 exec_lo, exec_lo, s17
.LBB198_497:                            ;   in Loop: Header=BB198_9 Depth=1
	s_delay_alu instid0(SALU_CYCLE_1) | instskip(SKIP_2) | instid1(VALU_DEP_1)
	s_or_b32 exec_lo, exec_lo, s16
	v_lshrrev_b16 v3, 8, v2
	s_mov_b32 s16, exec_lo
	v_cmpx_ne_u16_e32 0, v3
	s_cbranch_execz .LBB198_505
; %bb.498:                              ;   in Loop: Header=BB198_9 Depth=1
	v_mov_b64_e32 v[0:1], 0x8000000000000000
	s_mov_b32 s17, exec_lo
	v_cmpx_ne_u16_e32 0x80, v3
	s_cbranch_execz .LBB198_504
; %bb.499:                              ;   in Loop: Header=BB198_9 Depth=1
	v_and_b32_e32 v4, 0xffff, v3
	v_mov_b64_e32 v[0:1], 0x7f80000100000000
	s_mov_b32 s18, exec_lo
	s_delay_alu instid0(VALU_DEP_2) | instskip(NEXT) | instid1(VALU_DEP_1)
	v_and_b32_e32 v3, 0x7f, v4
	v_cmpx_ne_u32_e32 0x7f, v3
	s_cbranch_execz .LBB198_503
; %bb.500:                              ;   in Loop: Header=BB198_9 Depth=1
	v_dual_lshrrev_b32 v0, 3, v3 :: v_dual_bitop2_b32 v108, 7, v4 bitop3:0x40
	s_mov_b32 s19, exec_lo
	v_cmpx_gt_u32_e32 8, v3
; %bb.501:                              ;   in Loop: Header=BB198_9 Depth=1
	s_delay_alu instid0(VALU_DEP_2) | instskip(NEXT) | instid1(VALU_DEP_1)
	v_clz_i32_u32_e32 v0, v108
	v_min_u32_e32 v0, 32, v0
	s_delay_alu instid0(VALU_DEP_1) | instskip(SKIP_1) | instid1(VALU_DEP_2)
	v_subrev_nc_u32_e32 v1, 28, v0
	v_sub_nc_u32_e32 v0, 29, v0
	v_lshlrev_b64_e32 v[4:5], v1, v[108:109]
	s_delay_alu instid0(VALU_DEP_1)
	v_and_b32_e32 v108, 7, v4
; %bb.502:                              ;   in Loop: Header=BB198_9 Depth=1
	s_or_b32 exec_lo, exec_lo, s19
	s_delay_alu instid0(VALU_DEP_1) | instskip(SKIP_1) | instid1(VALU_DEP_2)
	v_dual_lshlrev_b32 v1, 16, v2 :: v_dual_lshlrev_b32 v2, 20, v108
	v_lshl_add_u32 v0, v0, 23, 0x3c000000
	v_and_b32_e32 v1, 0x80000000, v1
	s_delay_alu instid0(VALU_DEP_1)
	v_or3_b32 v1, v2, v1, v0
	v_mov_b32_e32 v0, v109
.LBB198_503:                            ;   in Loop: Header=BB198_9 Depth=1
	s_or_b32 exec_lo, exec_lo, s18
.LBB198_504:                            ;   in Loop: Header=BB198_9 Depth=1
	s_delay_alu instid0(SALU_CYCLE_1)
	s_or_b32 exec_lo, exec_lo, s17
.LBB198_505:                            ;   in Loop: Header=BB198_9 Depth=1
	s_delay_alu instid0(SALU_CYCLE_1)
	s_or_b32 exec_lo, exec_lo, s16
	flat_load_u16 v3, v[10:11] offset:1804
	v_mov_b64_e32 v[124:125], 0
	v_mov_b64_e32 v[8:9], 0
	s_mov_b32 s16, exec_lo
	s_wait_loadcnt_dscnt 0x0
	v_and_b32_e32 v2, 0xffff, v3
	v_and_b32_e32 v3, 0xff, v3
	s_wait_xcnt 0x0
	s_delay_alu instid0(VALU_DEP_1)
	v_cmpx_ne_u16_e32 0, v3
	s_cbranch_execz .LBB198_513
; %bb.506:                              ;   in Loop: Header=BB198_9 Depth=1
	v_mov_b64_e32 v[8:9], 0x80000000
	v_and_b32_e32 v3, 0xff, v2
	s_mov_b32 s17, exec_lo
	s_delay_alu instid0(VALU_DEP_1)
	v_cmpx_ne_u16_e32 0x80, v3
	s_cbranch_execz .LBB198_512
; %bb.507:                              ;   in Loop: Header=BB198_9 Depth=1
	v_mov_b64_e32 v[8:9], 0x7f800001
	v_and_b32_e32 v4, 0x7f, v2
	s_mov_b32 s18, exec_lo
	s_delay_alu instid0(VALU_DEP_1)
	v_cmpx_ne_u32_e32 0x7f, v4
	s_cbranch_execz .LBB198_511
; %bb.508:                              ;   in Loop: Header=BB198_9 Depth=1
	v_dual_lshrrev_b32 v3, 3, v4 :: v_dual_bitop2_b32 v108, 7, v2 bitop3:0x40
	s_mov_b32 s19, exec_lo
	v_cmpx_gt_u32_e32 8, v4
; %bb.509:                              ;   in Loop: Header=BB198_9 Depth=1
	s_delay_alu instid0(VALU_DEP_2) | instskip(NEXT) | instid1(VALU_DEP_1)
	v_clz_i32_u32_e32 v3, v108
	v_min_u32_e32 v3, 32, v3
	s_delay_alu instid0(VALU_DEP_1) | instskip(NEXT) | instid1(VALU_DEP_1)
	v_subrev_nc_u32_e32 v4, 28, v3
	v_lshlrev_b64_e32 v[4:5], v4, v[108:109]
	s_delay_alu instid0(VALU_DEP_1)
	v_dual_sub_nc_u32 v3, 29, v3 :: v_dual_bitop2_b32 v108, 7, v4 bitop3:0x40
; %bb.510:                              ;   in Loop: Header=BB198_9 Depth=1
	s_or_b32 exec_lo, exec_lo, s19
	s_delay_alu instid0(VALU_DEP_1) | instskip(NEXT) | instid1(VALU_DEP_2)
	v_dual_lshlrev_b32 v4, 24, v2 :: v_dual_lshlrev_b32 v5, 20, v108
	v_lshl_add_u32 v3, v3, 23, 0x3c000000
	s_delay_alu instid0(VALU_DEP_2) | instskip(NEXT) | instid1(VALU_DEP_1)
	v_and_b32_e32 v4, 0x80000000, v4
	v_or3_b32 v108, v5, v4, v3
	s_delay_alu instid0(VALU_DEP_1)
	v_mov_b64_e32 v[8:9], v[108:109]
.LBB198_511:                            ;   in Loop: Header=BB198_9 Depth=1
	s_or_b32 exec_lo, exec_lo, s18
.LBB198_512:                            ;   in Loop: Header=BB198_9 Depth=1
	s_delay_alu instid0(SALU_CYCLE_1)
	s_or_b32 exec_lo, exec_lo, s17
.LBB198_513:                            ;   in Loop: Header=BB198_9 Depth=1
	s_delay_alu instid0(SALU_CYCLE_1) | instskip(SKIP_2) | instid1(VALU_DEP_1)
	s_or_b32 exec_lo, exec_lo, s16
	v_lshrrev_b16 v3, 8, v2
	s_mov_b32 s16, exec_lo
	v_cmpx_ne_u16_e32 0, v3
	s_cbranch_execz .LBB198_521
; %bb.514:                              ;   in Loop: Header=BB198_9 Depth=1
	v_mov_b64_e32 v[124:125], 0x8000000000000000
	s_mov_b32 s17, exec_lo
	v_cmpx_ne_u16_e32 0x80, v3
	s_cbranch_execz .LBB198_520
; %bb.515:                              ;   in Loop: Header=BB198_9 Depth=1
	v_and_b32_e32 v3, 0xffff, v3
	v_mov_b64_e32 v[124:125], 0x7f80000100000000
	s_mov_b32 s18, exec_lo
	s_delay_alu instid0(VALU_DEP_2) | instskip(NEXT) | instid1(VALU_DEP_1)
	v_and_b32_e32 v4, 0x7f, v3
	v_cmpx_ne_u32_e32 0x7f, v4
	s_cbranch_execz .LBB198_519
; %bb.516:                              ;   in Loop: Header=BB198_9 Depth=1
	v_dual_lshrrev_b32 v3, 3, v4 :: v_dual_bitop2_b32 v108, 7, v3 bitop3:0x40
	s_mov_b32 s19, exec_lo
	v_cmpx_gt_u32_e32 8, v4
; %bb.517:                              ;   in Loop: Header=BB198_9 Depth=1
	s_delay_alu instid0(VALU_DEP_2) | instskip(NEXT) | instid1(VALU_DEP_1)
	v_clz_i32_u32_e32 v3, v108
	v_min_u32_e32 v3, 32, v3
	s_delay_alu instid0(VALU_DEP_1) | instskip(NEXT) | instid1(VALU_DEP_1)
	v_subrev_nc_u32_e32 v4, 28, v3
	v_lshlrev_b64_e32 v[4:5], v4, v[108:109]
	s_delay_alu instid0(VALU_DEP_1)
	v_dual_sub_nc_u32 v3, 29, v3 :: v_dual_bitop2_b32 v108, 7, v4 bitop3:0x40
; %bb.518:                              ;   in Loop: Header=BB198_9 Depth=1
	s_or_b32 exec_lo, exec_lo, s19
	s_delay_alu instid0(VALU_DEP_1) | instskip(NEXT) | instid1(VALU_DEP_2)
	v_dual_lshlrev_b32 v2, 16, v2 :: v_dual_lshlrev_b32 v4, 20, v108
	v_lshl_add_u32 v3, v3, 23, 0x3c000000
	v_mov_b32_e32 v124, v109
	s_delay_alu instid0(VALU_DEP_3) | instskip(NEXT) | instid1(VALU_DEP_1)
	v_and_b32_e32 v2, 0x80000000, v2
	v_or3_b32 v125, v4, v2, v3
.LBB198_519:                            ;   in Loop: Header=BB198_9 Depth=1
	s_or_b32 exec_lo, exec_lo, s18
.LBB198_520:                            ;   in Loop: Header=BB198_9 Depth=1
	s_delay_alu instid0(SALU_CYCLE_1)
	s_or_b32 exec_lo, exec_lo, s17
.LBB198_521:                            ;   in Loop: Header=BB198_9 Depth=1
	s_delay_alu instid0(SALU_CYCLE_1)
	s_or_b32 exec_lo, exec_lo, s16
	flat_load_u16 v3, v[10:11] offset:2048
	v_mov_b64_e32 v[104:105], 0
	v_mov_b64_e32 v[22:23], 0
	s_mov_b32 s16, exec_lo
	s_wait_loadcnt_dscnt 0x0
	v_and_b32_e32 v2, 0xffff, v3
	v_and_b32_e32 v3, 0xff, v3
	s_wait_xcnt 0x0
	s_delay_alu instid0(VALU_DEP_1)
	v_cmpx_ne_u16_e32 0, v3
	s_cbranch_execz .LBB198_529
; %bb.522:                              ;   in Loop: Header=BB198_9 Depth=1
	v_mov_b64_e32 v[22:23], 0x80000000
	v_and_b32_e32 v3, 0xff, v2
	s_mov_b32 s17, exec_lo
	s_delay_alu instid0(VALU_DEP_1)
	v_cmpx_ne_u16_e32 0x80, v3
	s_cbranch_execz .LBB198_528
; %bb.523:                              ;   in Loop: Header=BB198_9 Depth=1
	v_mov_b64_e32 v[22:23], 0x7f800001
	v_and_b32_e32 v4, 0x7f, v2
	s_mov_b32 s18, exec_lo
	s_delay_alu instid0(VALU_DEP_1)
	v_cmpx_ne_u32_e32 0x7f, v4
	s_cbranch_execz .LBB198_527
; %bb.524:                              ;   in Loop: Header=BB198_9 Depth=1
	v_dual_lshrrev_b32 v3, 3, v4 :: v_dual_bitop2_b32 v108, 7, v2 bitop3:0x40
	s_mov_b32 s19, exec_lo
	v_cmpx_gt_u32_e32 8, v4
; %bb.525:                              ;   in Loop: Header=BB198_9 Depth=1
	s_delay_alu instid0(VALU_DEP_2) | instskip(NEXT) | instid1(VALU_DEP_1)
	v_clz_i32_u32_e32 v3, v108
	v_min_u32_e32 v3, 32, v3
	s_delay_alu instid0(VALU_DEP_1) | instskip(NEXT) | instid1(VALU_DEP_1)
	v_subrev_nc_u32_e32 v4, 28, v3
	v_lshlrev_b64_e32 v[4:5], v4, v[108:109]
	s_delay_alu instid0(VALU_DEP_1)
	v_dual_sub_nc_u32 v3, 29, v3 :: v_dual_bitop2_b32 v108, 7, v4 bitop3:0x40
; %bb.526:                              ;   in Loop: Header=BB198_9 Depth=1
	s_or_b32 exec_lo, exec_lo, s19
	s_delay_alu instid0(VALU_DEP_1) | instskip(NEXT) | instid1(VALU_DEP_2)
	v_dual_lshlrev_b32 v4, 24, v2 :: v_dual_lshlrev_b32 v5, 20, v108
	v_lshl_add_u32 v3, v3, 23, 0x3c000000
	s_delay_alu instid0(VALU_DEP_2) | instskip(NEXT) | instid1(VALU_DEP_1)
	v_and_b32_e32 v4, 0x80000000, v4
	v_or3_b32 v108, v5, v4, v3
	s_delay_alu instid0(VALU_DEP_1)
	v_mov_b64_e32 v[22:23], v[108:109]
.LBB198_527:                            ;   in Loop: Header=BB198_9 Depth=1
	s_or_b32 exec_lo, exec_lo, s18
.LBB198_528:                            ;   in Loop: Header=BB198_9 Depth=1
	s_delay_alu instid0(SALU_CYCLE_1)
	s_or_b32 exec_lo, exec_lo, s17
.LBB198_529:                            ;   in Loop: Header=BB198_9 Depth=1
	s_delay_alu instid0(SALU_CYCLE_1) | instskip(SKIP_2) | instid1(VALU_DEP_1)
	s_or_b32 exec_lo, exec_lo, s16
	v_lshrrev_b16 v3, 8, v2
	s_mov_b32 s16, exec_lo
	v_cmpx_ne_u16_e32 0, v3
	s_cbranch_execz .LBB198_537
; %bb.530:                              ;   in Loop: Header=BB198_9 Depth=1
	v_mov_b64_e32 v[104:105], 0x8000000000000000
	s_mov_b32 s17, exec_lo
	v_cmpx_ne_u16_e32 0x80, v3
	s_cbranch_execz .LBB198_536
; %bb.531:                              ;   in Loop: Header=BB198_9 Depth=1
	v_and_b32_e32 v3, 0xffff, v3
	v_mov_b64_e32 v[104:105], 0x7f80000100000000
	s_mov_b32 s18, exec_lo
	s_delay_alu instid0(VALU_DEP_2) | instskip(NEXT) | instid1(VALU_DEP_1)
	v_and_b32_e32 v4, 0x7f, v3
	v_cmpx_ne_u32_e32 0x7f, v4
	s_cbranch_execz .LBB198_535
; %bb.532:                              ;   in Loop: Header=BB198_9 Depth=1
	v_dual_lshrrev_b32 v3, 3, v4 :: v_dual_bitop2_b32 v108, 7, v3 bitop3:0x40
	s_mov_b32 s19, exec_lo
	v_cmpx_gt_u32_e32 8, v4
; %bb.533:                              ;   in Loop: Header=BB198_9 Depth=1
	s_delay_alu instid0(VALU_DEP_2) | instskip(NEXT) | instid1(VALU_DEP_1)
	v_clz_i32_u32_e32 v3, v108
	v_min_u32_e32 v3, 32, v3
	s_delay_alu instid0(VALU_DEP_1) | instskip(NEXT) | instid1(VALU_DEP_1)
	v_subrev_nc_u32_e32 v4, 28, v3
	v_lshlrev_b64_e32 v[4:5], v4, v[108:109]
	s_delay_alu instid0(VALU_DEP_1)
	v_dual_sub_nc_u32 v3, 29, v3 :: v_dual_bitop2_b32 v108, 7, v4 bitop3:0x40
; %bb.534:                              ;   in Loop: Header=BB198_9 Depth=1
	s_or_b32 exec_lo, exec_lo, s19
	s_delay_alu instid0(VALU_DEP_1) | instskip(NEXT) | instid1(VALU_DEP_2)
	v_dual_lshlrev_b32 v2, 16, v2 :: v_dual_lshlrev_b32 v4, 20, v108
	v_lshl_add_u32 v3, v3, 23, 0x3c000000
	v_mov_b32_e32 v104, v109
	s_delay_alu instid0(VALU_DEP_3) | instskip(NEXT) | instid1(VALU_DEP_1)
	v_and_b32_e32 v2, 0x80000000, v2
	v_or3_b32 v105, v4, v2, v3
.LBB198_535:                            ;   in Loop: Header=BB198_9 Depth=1
	s_or_b32 exec_lo, exec_lo, s18
.LBB198_536:                            ;   in Loop: Header=BB198_9 Depth=1
	s_delay_alu instid0(SALU_CYCLE_1)
	s_or_b32 exec_lo, exec_lo, s17
.LBB198_537:                            ;   in Loop: Header=BB198_9 Depth=1
	s_delay_alu instid0(SALU_CYCLE_1)
	s_or_b32 exec_lo, exec_lo, s16
	flat_load_u16 v3, v[10:11] offset:2052
	v_mov_b64_e32 v[106:107], 0
	v_mov_b64_e32 v[4:5], 0
	s_mov_b32 s16, exec_lo
	s_wait_loadcnt_dscnt 0x0
	v_and_b32_e32 v2, 0xffff, v3
	v_and_b32_e32 v3, 0xff, v3
	s_wait_xcnt 0x0
	s_delay_alu instid0(VALU_DEP_1)
	v_cmpx_ne_u16_e32 0, v3
	s_cbranch_execz .LBB198_545
; %bb.538:                              ;   in Loop: Header=BB198_9 Depth=1
	v_mov_b64_e32 v[4:5], 0x80000000
	v_and_b32_e32 v3, 0xff, v2
	s_mov_b32 s17, exec_lo
	s_delay_alu instid0(VALU_DEP_1)
	v_cmpx_ne_u16_e32 0x80, v3
	s_cbranch_execz .LBB198_544
; %bb.539:                              ;   in Loop: Header=BB198_9 Depth=1
	v_mov_b64_e32 v[4:5], 0x7f800001
	v_and_b32_e32 v12, 0x7f, v2
	s_mov_b32 s18, exec_lo
	s_delay_alu instid0(VALU_DEP_1)
	v_cmpx_ne_u32_e32 0x7f, v12
	s_cbranch_execz .LBB198_543
; %bb.540:                              ;   in Loop: Header=BB198_9 Depth=1
	v_dual_lshrrev_b32 v3, 3, v12 :: v_dual_bitop2_b32 v108, 7, v2 bitop3:0x40
	s_mov_b32 s19, exec_lo
	v_cmpx_gt_u32_e32 8, v12
; %bb.541:                              ;   in Loop: Header=BB198_9 Depth=1
	s_delay_alu instid0(VALU_DEP_2) | instskip(NEXT) | instid1(VALU_DEP_1)
	v_clz_i32_u32_e32 v3, v108
	v_min_u32_e32 v3, 32, v3
	s_delay_alu instid0(VALU_DEP_1) | instskip(NEXT) | instid1(VALU_DEP_1)
	v_subrev_nc_u32_e32 v4, 28, v3
	v_lshlrev_b64_e32 v[4:5], v4, v[108:109]
	s_delay_alu instid0(VALU_DEP_1)
	v_dual_sub_nc_u32 v3, 29, v3 :: v_dual_bitop2_b32 v108, 7, v4 bitop3:0x40
; %bb.542:                              ;   in Loop: Header=BB198_9 Depth=1
	s_or_b32 exec_lo, exec_lo, s19
	s_delay_alu instid0(VALU_DEP_1) | instskip(NEXT) | instid1(VALU_DEP_2)
	v_dual_lshlrev_b32 v4, 24, v2 :: v_dual_lshlrev_b32 v5, 20, v108
	v_lshl_add_u32 v3, v3, 23, 0x3c000000
	s_delay_alu instid0(VALU_DEP_2) | instskip(NEXT) | instid1(VALU_DEP_1)
	v_and_b32_e32 v4, 0x80000000, v4
	v_or3_b32 v108, v5, v4, v3
	s_delay_alu instid0(VALU_DEP_1)
	v_mov_b64_e32 v[4:5], v[108:109]
.LBB198_543:                            ;   in Loop: Header=BB198_9 Depth=1
	s_or_b32 exec_lo, exec_lo, s18
.LBB198_544:                            ;   in Loop: Header=BB198_9 Depth=1
	s_delay_alu instid0(SALU_CYCLE_1)
	s_or_b32 exec_lo, exec_lo, s17
.LBB198_545:                            ;   in Loop: Header=BB198_9 Depth=1
	s_delay_alu instid0(SALU_CYCLE_1) | instskip(SKIP_2) | instid1(VALU_DEP_1)
	s_or_b32 exec_lo, exec_lo, s16
	v_lshrrev_b16 v3, 8, v2
	s_mov_b32 s16, exec_lo
	v_cmpx_ne_u16_e32 0, v3
	s_cbranch_execz .LBB198_553
; %bb.546:                              ;   in Loop: Header=BB198_9 Depth=1
	v_mov_b64_e32 v[106:107], 0x8000000000000000
	s_mov_b32 s17, exec_lo
	v_cmpx_ne_u16_e32 0x80, v3
	s_cbranch_execz .LBB198_552
; %bb.547:                              ;   in Loop: Header=BB198_9 Depth=1
	v_and_b32_e32 v3, 0xffff, v3
	v_mov_b64_e32 v[106:107], 0x7f80000100000000
	s_mov_b32 s18, exec_lo
	s_delay_alu instid0(VALU_DEP_2) | instskip(NEXT) | instid1(VALU_DEP_1)
	v_and_b32_e32 v12, 0x7f, v3
	v_cmpx_ne_u32_e32 0x7f, v12
	s_cbranch_execz .LBB198_551
; %bb.548:                              ;   in Loop: Header=BB198_9 Depth=1
	v_dual_lshrrev_b32 v3, 3, v12 :: v_dual_bitop2_b32 v108, 7, v3 bitop3:0x40
	s_mov_b32 s19, exec_lo
	v_cmpx_gt_u32_e32 8, v12
; %bb.549:                              ;   in Loop: Header=BB198_9 Depth=1
	s_delay_alu instid0(VALU_DEP_2) | instskip(NEXT) | instid1(VALU_DEP_1)
	v_clz_i32_u32_e32 v3, v108
	v_min_u32_e32 v3, 32, v3
	s_delay_alu instid0(VALU_DEP_1) | instskip(NEXT) | instid1(VALU_DEP_1)
	v_subrev_nc_u32_e32 v12, 28, v3
	v_lshlrev_b64_e32 v[12:13], v12, v[108:109]
	s_delay_alu instid0(VALU_DEP_1)
	v_dual_sub_nc_u32 v3, 29, v3 :: v_dual_bitop2_b32 v108, 7, v12 bitop3:0x40
; %bb.550:                              ;   in Loop: Header=BB198_9 Depth=1
	s_or_b32 exec_lo, exec_lo, s19
	s_delay_alu instid0(VALU_DEP_1) | instskip(NEXT) | instid1(VALU_DEP_2)
	v_dual_lshlrev_b32 v2, 16, v2 :: v_dual_lshlrev_b32 v12, 20, v108
	v_lshl_add_u32 v3, v3, 23, 0x3c000000
	v_mov_b32_e32 v106, v109
	s_delay_alu instid0(VALU_DEP_3) | instskip(NEXT) | instid1(VALU_DEP_1)
	v_and_b32_e32 v2, 0x80000000, v2
	v_or3_b32 v107, v12, v2, v3
.LBB198_551:                            ;   in Loop: Header=BB198_9 Depth=1
	s_or_b32 exec_lo, exec_lo, s18
.LBB198_552:                            ;   in Loop: Header=BB198_9 Depth=1
	s_delay_alu instid0(SALU_CYCLE_1)
	s_or_b32 exec_lo, exec_lo, s17
.LBB198_553:                            ;   in Loop: Header=BB198_9 Depth=1
	s_delay_alu instid0(SALU_CYCLE_1)
	s_or_b32 exec_lo, exec_lo, s16
	flat_load_u16 v3, v[10:11] offset:2056
	v_mov_b64_e32 v[110:111], 0
	v_mov_b64_e32 v[14:15], 0
	s_mov_b32 s16, exec_lo
	s_wait_loadcnt_dscnt 0x0
	v_and_b32_e32 v2, 0xffff, v3
	v_and_b32_e32 v3, 0xff, v3
	s_wait_xcnt 0x0
	s_delay_alu instid0(VALU_DEP_1)
	v_cmpx_ne_u16_e32 0, v3
	s_cbranch_execz .LBB198_561
; %bb.554:                              ;   in Loop: Header=BB198_9 Depth=1
	v_mov_b64_e32 v[14:15], 0x80000000
	v_and_b32_e32 v3, 0xff, v2
	s_mov_b32 s17, exec_lo
	s_delay_alu instid0(VALU_DEP_1)
	v_cmpx_ne_u16_e32 0x80, v3
	s_cbranch_execz .LBB198_560
; %bb.555:                              ;   in Loop: Header=BB198_9 Depth=1
	v_mov_b64_e32 v[14:15], 0x7f800001
	v_and_b32_e32 v12, 0x7f, v2
	s_mov_b32 s18, exec_lo
	s_delay_alu instid0(VALU_DEP_1)
	v_cmpx_ne_u32_e32 0x7f, v12
	s_cbranch_execz .LBB198_559
; %bb.556:                              ;   in Loop: Header=BB198_9 Depth=1
	v_dual_lshrrev_b32 v3, 3, v12 :: v_dual_bitop2_b32 v108, 7, v2 bitop3:0x40
	s_mov_b32 s19, exec_lo
	v_cmpx_gt_u32_e32 8, v12
; %bb.557:                              ;   in Loop: Header=BB198_9 Depth=1
	s_delay_alu instid0(VALU_DEP_2) | instskip(NEXT) | instid1(VALU_DEP_1)
	v_clz_i32_u32_e32 v3, v108
	v_min_u32_e32 v3, 32, v3
	s_delay_alu instid0(VALU_DEP_1) | instskip(NEXT) | instid1(VALU_DEP_1)
	v_subrev_nc_u32_e32 v12, 28, v3
	v_lshlrev_b64_e32 v[12:13], v12, v[108:109]
	s_delay_alu instid0(VALU_DEP_1)
	v_dual_sub_nc_u32 v3, 29, v3 :: v_dual_bitop2_b32 v108, 7, v12 bitop3:0x40
; %bb.558:                              ;   in Loop: Header=BB198_9 Depth=1
	s_or_b32 exec_lo, exec_lo, s19
	s_delay_alu instid0(VALU_DEP_1) | instskip(NEXT) | instid1(VALU_DEP_2)
	v_dual_lshlrev_b32 v12, 24, v2 :: v_dual_lshlrev_b32 v13, 20, v108
	v_lshl_add_u32 v3, v3, 23, 0x3c000000
	s_delay_alu instid0(VALU_DEP_2) | instskip(NEXT) | instid1(VALU_DEP_1)
	v_and_b32_e32 v12, 0x80000000, v12
	v_or3_b32 v108, v13, v12, v3
	s_delay_alu instid0(VALU_DEP_1)
	v_mov_b64_e32 v[14:15], v[108:109]
.LBB198_559:                            ;   in Loop: Header=BB198_9 Depth=1
	s_or_b32 exec_lo, exec_lo, s18
.LBB198_560:                            ;   in Loop: Header=BB198_9 Depth=1
	s_delay_alu instid0(SALU_CYCLE_1)
	s_or_b32 exec_lo, exec_lo, s17
.LBB198_561:                            ;   in Loop: Header=BB198_9 Depth=1
	s_delay_alu instid0(SALU_CYCLE_1) | instskip(SKIP_2) | instid1(VALU_DEP_1)
	s_or_b32 exec_lo, exec_lo, s16
	v_lshrrev_b16 v3, 8, v2
	s_mov_b32 s16, exec_lo
	v_cmpx_ne_u16_e32 0, v3
	s_cbranch_execz .LBB198_569
; %bb.562:                              ;   in Loop: Header=BB198_9 Depth=1
	v_mov_b64_e32 v[110:111], 0x8000000000000000
	s_mov_b32 s17, exec_lo
	v_cmpx_ne_u16_e32 0x80, v3
	s_cbranch_execz .LBB198_568
; %bb.563:                              ;   in Loop: Header=BB198_9 Depth=1
	v_and_b32_e32 v3, 0xffff, v3
	v_mov_b64_e32 v[110:111], 0x7f80000100000000
	s_mov_b32 s18, exec_lo
	s_delay_alu instid0(VALU_DEP_2) | instskip(NEXT) | instid1(VALU_DEP_1)
	v_and_b32_e32 v12, 0x7f, v3
	v_cmpx_ne_u32_e32 0x7f, v12
	s_cbranch_execz .LBB198_567
; %bb.564:                              ;   in Loop: Header=BB198_9 Depth=1
	v_dual_lshrrev_b32 v3, 3, v12 :: v_dual_bitop2_b32 v108, 7, v3 bitop3:0x40
	s_mov_b32 s19, exec_lo
	v_cmpx_gt_u32_e32 8, v12
; %bb.565:                              ;   in Loop: Header=BB198_9 Depth=1
	s_delay_alu instid0(VALU_DEP_2) | instskip(NEXT) | instid1(VALU_DEP_1)
	v_clz_i32_u32_e32 v3, v108
	v_min_u32_e32 v3, 32, v3
	s_delay_alu instid0(VALU_DEP_1) | instskip(NEXT) | instid1(VALU_DEP_1)
	v_subrev_nc_u32_e32 v12, 28, v3
	v_lshlrev_b64_e32 v[12:13], v12, v[108:109]
	s_delay_alu instid0(VALU_DEP_1)
	v_dual_sub_nc_u32 v3, 29, v3 :: v_dual_bitop2_b32 v108, 7, v12 bitop3:0x40
; %bb.566:                              ;   in Loop: Header=BB198_9 Depth=1
	s_or_b32 exec_lo, exec_lo, s19
	s_delay_alu instid0(VALU_DEP_1) | instskip(NEXT) | instid1(VALU_DEP_2)
	v_dual_lshlrev_b32 v2, 16, v2 :: v_dual_lshlrev_b32 v12, 20, v108
	v_lshl_add_u32 v3, v3, 23, 0x3c000000
	v_mov_b32_e32 v110, v109
	s_delay_alu instid0(VALU_DEP_3) | instskip(NEXT) | instid1(VALU_DEP_1)
	v_and_b32_e32 v2, 0x80000000, v2
	v_or3_b32 v111, v12, v2, v3
.LBB198_567:                            ;   in Loop: Header=BB198_9 Depth=1
	s_or_b32 exec_lo, exec_lo, s18
.LBB198_568:                            ;   in Loop: Header=BB198_9 Depth=1
	s_delay_alu instid0(SALU_CYCLE_1)
	s_or_b32 exec_lo, exec_lo, s17
.LBB198_569:                            ;   in Loop: Header=BB198_9 Depth=1
	s_delay_alu instid0(SALU_CYCLE_1)
	s_or_b32 exec_lo, exec_lo, s16
	flat_load_u16 v3, v[10:11] offset:2060
	v_mov_b64_e32 v[18:19], 0
	v_mov_b64_e32 v[26:27], 0
	s_mov_b32 s16, exec_lo
	s_wait_loadcnt_dscnt 0x0
	v_and_b32_e32 v2, 0xffff, v3
	v_and_b32_e32 v3, 0xff, v3
	s_wait_xcnt 0x0
	s_delay_alu instid0(VALU_DEP_1)
	v_cmpx_ne_u16_e32 0, v3
	s_cbranch_execz .LBB198_577
; %bb.570:                              ;   in Loop: Header=BB198_9 Depth=1
	v_mov_b64_e32 v[26:27], 0x80000000
	v_and_b32_e32 v3, 0xff, v2
	s_mov_b32 s17, exec_lo
	s_delay_alu instid0(VALU_DEP_1)
	v_cmpx_ne_u16_e32 0x80, v3
	s_cbranch_execz .LBB198_576
; %bb.571:                              ;   in Loop: Header=BB198_9 Depth=1
	v_mov_b64_e32 v[26:27], 0x7f800001
	v_and_b32_e32 v12, 0x7f, v2
	s_mov_b32 s18, exec_lo
	s_delay_alu instid0(VALU_DEP_1)
	v_cmpx_ne_u32_e32 0x7f, v12
	s_cbranch_execz .LBB198_575
; %bb.572:                              ;   in Loop: Header=BB198_9 Depth=1
	v_dual_lshrrev_b32 v3, 3, v12 :: v_dual_bitop2_b32 v108, 7, v2 bitop3:0x40
	s_mov_b32 s19, exec_lo
	v_cmpx_gt_u32_e32 8, v12
; %bb.573:                              ;   in Loop: Header=BB198_9 Depth=1
	s_delay_alu instid0(VALU_DEP_2) | instskip(NEXT) | instid1(VALU_DEP_1)
	v_clz_i32_u32_e32 v3, v108
	v_min_u32_e32 v3, 32, v3
	s_delay_alu instid0(VALU_DEP_1) | instskip(NEXT) | instid1(VALU_DEP_1)
	v_subrev_nc_u32_e32 v12, 28, v3
	v_lshlrev_b64_e32 v[12:13], v12, v[108:109]
	s_delay_alu instid0(VALU_DEP_1)
	v_dual_sub_nc_u32 v3, 29, v3 :: v_dual_bitop2_b32 v108, 7, v12 bitop3:0x40
; %bb.574:                              ;   in Loop: Header=BB198_9 Depth=1
	s_or_b32 exec_lo, exec_lo, s19
	s_delay_alu instid0(VALU_DEP_1) | instskip(NEXT) | instid1(VALU_DEP_2)
	v_dual_lshlrev_b32 v12, 24, v2 :: v_dual_lshlrev_b32 v13, 20, v108
	v_lshl_add_u32 v3, v3, 23, 0x3c000000
	s_delay_alu instid0(VALU_DEP_2) | instskip(NEXT) | instid1(VALU_DEP_1)
	v_and_b32_e32 v12, 0x80000000, v12
	v_or3_b32 v108, v13, v12, v3
	s_delay_alu instid0(VALU_DEP_1)
	v_mov_b64_e32 v[26:27], v[108:109]
.LBB198_575:                            ;   in Loop: Header=BB198_9 Depth=1
	s_or_b32 exec_lo, exec_lo, s18
.LBB198_576:                            ;   in Loop: Header=BB198_9 Depth=1
	s_delay_alu instid0(SALU_CYCLE_1)
	s_or_b32 exec_lo, exec_lo, s17
.LBB198_577:                            ;   in Loop: Header=BB198_9 Depth=1
	s_delay_alu instid0(SALU_CYCLE_1) | instskip(SKIP_2) | instid1(VALU_DEP_1)
	s_or_b32 exec_lo, exec_lo, s16
	v_lshrrev_b16 v3, 8, v2
	s_mov_b32 s16, exec_lo
	v_cmpx_ne_u16_e32 0, v3
	s_cbranch_execz .LBB198_585
; %bb.578:                              ;   in Loop: Header=BB198_9 Depth=1
	v_mov_b64_e32 v[18:19], 0x8000000000000000
	s_mov_b32 s17, exec_lo
	v_cmpx_ne_u16_e32 0x80, v3
	s_cbranch_execz .LBB198_584
; %bb.579:                              ;   in Loop: Header=BB198_9 Depth=1
	v_and_b32_e32 v3, 0xffff, v3
	v_mov_b64_e32 v[18:19], 0x7f80000100000000
	s_mov_b32 s18, exec_lo
	s_delay_alu instid0(VALU_DEP_2) | instskip(NEXT) | instid1(VALU_DEP_1)
	v_and_b32_e32 v12, 0x7f, v3
	v_cmpx_ne_u32_e32 0x7f, v12
	s_cbranch_execz .LBB198_583
; %bb.580:                              ;   in Loop: Header=BB198_9 Depth=1
	v_dual_lshrrev_b32 v3, 3, v12 :: v_dual_bitop2_b32 v108, 7, v3 bitop3:0x40
	s_mov_b32 s19, exec_lo
	v_cmpx_gt_u32_e32 8, v12
; %bb.581:                              ;   in Loop: Header=BB198_9 Depth=1
	s_delay_alu instid0(VALU_DEP_2) | instskip(NEXT) | instid1(VALU_DEP_1)
	v_clz_i32_u32_e32 v3, v108
	v_min_u32_e32 v3, 32, v3
	s_delay_alu instid0(VALU_DEP_1) | instskip(NEXT) | instid1(VALU_DEP_1)
	v_subrev_nc_u32_e32 v12, 28, v3
	v_lshlrev_b64_e32 v[12:13], v12, v[108:109]
	s_delay_alu instid0(VALU_DEP_1)
	v_dual_sub_nc_u32 v3, 29, v3 :: v_dual_bitop2_b32 v108, 7, v12 bitop3:0x40
; %bb.582:                              ;   in Loop: Header=BB198_9 Depth=1
	s_or_b32 exec_lo, exec_lo, s19
	s_delay_alu instid0(VALU_DEP_1) | instskip(NEXT) | instid1(VALU_DEP_2)
	v_dual_lshlrev_b32 v2, 16, v2 :: v_dual_lshlrev_b32 v12, 20, v108
	v_lshl_add_u32 v3, v3, 23, 0x3c000000
	v_mov_b32_e32 v18, v109
	s_delay_alu instid0(VALU_DEP_3) | instskip(NEXT) | instid1(VALU_DEP_1)
	v_and_b32_e32 v2, 0x80000000, v2
	v_or3_b32 v19, v12, v2, v3
.LBB198_583:                            ;   in Loop: Header=BB198_9 Depth=1
	s_or_b32 exec_lo, exec_lo, s18
.LBB198_584:                            ;   in Loop: Header=BB198_9 Depth=1
	s_delay_alu instid0(SALU_CYCLE_1)
	s_or_b32 exec_lo, exec_lo, s17
.LBB198_585:                            ;   in Loop: Header=BB198_9 Depth=1
	s_delay_alu instid0(SALU_CYCLE_1)
	s_or_b32 exec_lo, exec_lo, s16
	flat_load_u16 v2, v[10:11] offset:2304
	v_mov_b64_e32 v[30:31], 0
	s_wait_loadcnt_dscnt 0x0
	v_and_b32_e32 v12, 0xffff, v2
	v_and_b32_e32 v2, 0xff, v2
	s_delay_alu instid0(VALU_DEP_1)
	v_cmp_ne_u16_e64 s2, 0, v2
	v_mov_b64_e32 v[2:3], 0
	s_wait_xcnt 0x0
	s_and_saveexec_b32 s16, s2
	s_cbranch_execz .LBB198_593
; %bb.586:                              ;   in Loop: Header=BB198_9 Depth=1
	v_mov_b64_e32 v[30:31], 0x80000000
	v_and_b32_e32 v13, 0xff, v12
	s_mov_b32 s17, exec_lo
	s_delay_alu instid0(VALU_DEP_1)
	v_cmpx_ne_u16_e32 0x80, v13
	s_cbranch_execz .LBB198_592
; %bb.587:                              ;   in Loop: Header=BB198_9 Depth=1
	v_mov_b64_e32 v[30:31], 0x7f800001
	v_and_b32_e32 v24, 0x7f, v12
	s_mov_b32 s18, exec_lo
	s_delay_alu instid0(VALU_DEP_1)
	v_cmpx_ne_u32_e32 0x7f, v24
	s_cbranch_execz .LBB198_591
; %bb.588:                              ;   in Loop: Header=BB198_9 Depth=1
	v_and_b32_e32 v108, 7, v12
	v_lshrrev_b32_e32 v13, 3, v24
	s_mov_b32 s19, exec_lo
	v_cmpx_gt_u32_e32 8, v24
; %bb.589:                              ;   in Loop: Header=BB198_9 Depth=1
	s_delay_alu instid0(VALU_DEP_3) | instskip(NEXT) | instid1(VALU_DEP_1)
	v_clz_i32_u32_e32 v13, v108
	v_min_u32_e32 v13, 32, v13
	s_delay_alu instid0(VALU_DEP_1) | instskip(NEXT) | instid1(VALU_DEP_1)
	v_subrev_nc_u32_e32 v24, 28, v13
	v_lshlrev_b64_e32 v[24:25], v24, v[108:109]
	s_delay_alu instid0(VALU_DEP_1)
	v_dual_sub_nc_u32 v13, 29, v13 :: v_dual_bitop2_b32 v108, 7, v24 bitop3:0x40
; %bb.590:                              ;   in Loop: Header=BB198_9 Depth=1
	s_or_b32 exec_lo, exec_lo, s19
	v_lshlrev_b32_e32 v24, 24, v12
	s_delay_alu instid0(VALU_DEP_2) | instskip(NEXT) | instid1(VALU_DEP_3)
	v_lshlrev_b32_e32 v25, 20, v108
	v_lshl_add_u32 v13, v13, 23, 0x3c000000
	s_delay_alu instid0(VALU_DEP_3) | instskip(NEXT) | instid1(VALU_DEP_1)
	v_and_b32_e32 v24, 0x80000000, v24
	v_or3_b32 v108, v25, v24, v13
	s_delay_alu instid0(VALU_DEP_1)
	v_mov_b64_e32 v[30:31], v[108:109]
.LBB198_591:                            ;   in Loop: Header=BB198_9 Depth=1
	s_or_b32 exec_lo, exec_lo, s18
.LBB198_592:                            ;   in Loop: Header=BB198_9 Depth=1
	s_delay_alu instid0(SALU_CYCLE_1)
	s_or_b32 exec_lo, exec_lo, s17
.LBB198_593:                            ;   in Loop: Header=BB198_9 Depth=1
	s_delay_alu instid0(SALU_CYCLE_1) | instskip(SKIP_2) | instid1(VALU_DEP_1)
	s_or_b32 exec_lo, exec_lo, s16
	v_lshrrev_b16 v13, 8, v12
	s_mov_b32 s16, exec_lo
	v_cmpx_ne_u16_e32 0, v13
	s_cbranch_execz .LBB198_601
; %bb.594:                              ;   in Loop: Header=BB198_9 Depth=1
	v_mov_b64_e32 v[2:3], 0x8000000000000000
	s_mov_b32 s17, exec_lo
	v_cmpx_ne_u16_e32 0x80, v13
	s_cbranch_execz .LBB198_600
; %bb.595:                              ;   in Loop: Header=BB198_9 Depth=1
	v_and_b32_e32 v24, 0xffff, v13
	v_mov_b64_e32 v[2:3], 0x7f80000100000000
	s_mov_b32 s18, exec_lo
	s_delay_alu instid0(VALU_DEP_2) | instskip(NEXT) | instid1(VALU_DEP_1)
	v_and_b32_e32 v13, 0x7f, v24
	v_cmpx_ne_u32_e32 0x7f, v13
	s_cbranch_execz .LBB198_599
; %bb.596:                              ;   in Loop: Header=BB198_9 Depth=1
	v_dual_lshrrev_b32 v2, 3, v13 :: v_dual_bitop2_b32 v108, 7, v24 bitop3:0x40
	s_mov_b32 s19, exec_lo
	v_cmpx_gt_u32_e32 8, v13
; %bb.597:                              ;   in Loop: Header=BB198_9 Depth=1
	s_delay_alu instid0(VALU_DEP_2) | instskip(NEXT) | instid1(VALU_DEP_1)
	v_clz_i32_u32_e32 v2, v108
	v_min_u32_e32 v2, 32, v2
	s_delay_alu instid0(VALU_DEP_1) | instskip(NEXT) | instid1(VALU_DEP_1)
	v_subrev_nc_u32_e32 v3, 28, v2
	v_lshlrev_b64_e32 v[24:25], v3, v[108:109]
	s_delay_alu instid0(VALU_DEP_1)
	v_dual_sub_nc_u32 v2, 29, v2 :: v_dual_bitop2_b32 v108, 7, v24 bitop3:0x40
; %bb.598:                              ;   in Loop: Header=BB198_9 Depth=1
	s_or_b32 exec_lo, exec_lo, s19
	v_lshlrev_b32_e32 v3, 16, v12
	s_delay_alu instid0(VALU_DEP_2) | instskip(NEXT) | instid1(VALU_DEP_3)
	v_lshlrev_b32_e32 v12, 20, v108
	v_lshl_add_u32 v2, v2, 23, 0x3c000000
	s_delay_alu instid0(VALU_DEP_3) | instskip(NEXT) | instid1(VALU_DEP_1)
	v_and_b32_e32 v3, 0x80000000, v3
	v_or3_b32 v3, v12, v3, v2
	v_mov_b32_e32 v2, v109
.LBB198_599:                            ;   in Loop: Header=BB198_9 Depth=1
	s_or_b32 exec_lo, exec_lo, s18
.LBB198_600:                            ;   in Loop: Header=BB198_9 Depth=1
	s_delay_alu instid0(SALU_CYCLE_1)
	s_or_b32 exec_lo, exec_lo, s17
.LBB198_601:                            ;   in Loop: Header=BB198_9 Depth=1
	s_delay_alu instid0(SALU_CYCLE_1)
	s_or_b32 exec_lo, exec_lo, s16
	flat_load_u16 v12, v[10:11] offset:2308
	v_mov_b64_e32 v[34:35], 0
	s_wait_loadcnt_dscnt 0x0
	v_and_b32_e32 v24, 0xffff, v12
	v_and_b32_e32 v12, 0xff, v12
	s_delay_alu instid0(VALU_DEP_1)
	v_cmp_ne_u16_e64 s2, 0, v12
	v_mov_b64_e32 v[12:13], 0
	s_wait_xcnt 0x0
	s_and_saveexec_b32 s16, s2
	s_cbranch_execz .LBB198_609
; %bb.602:                              ;   in Loop: Header=BB198_9 Depth=1
	v_mov_b64_e32 v[34:35], 0x80000000
	v_and_b32_e32 v25, 0xff, v24
	s_mov_b32 s17, exec_lo
	s_delay_alu instid0(VALU_DEP_1)
	v_cmpx_ne_u16_e32 0x80, v25
	s_cbranch_execz .LBB198_608
; %bb.603:                              ;   in Loop: Header=BB198_9 Depth=1
	v_mov_b64_e32 v[34:35], 0x7f800001
	v_and_b32_e32 v28, 0x7f, v24
	s_mov_b32 s18, exec_lo
	s_delay_alu instid0(VALU_DEP_1)
	v_cmpx_ne_u32_e32 0x7f, v28
	s_cbranch_execz .LBB198_607
; %bb.604:                              ;   in Loop: Header=BB198_9 Depth=1
	v_and_b32_e32 v108, 7, v24
	v_lshrrev_b32_e32 v25, 3, v28
	s_mov_b32 s19, exec_lo
	v_cmpx_gt_u32_e32 8, v28
; %bb.605:                              ;   in Loop: Header=BB198_9 Depth=1
	s_delay_alu instid0(VALU_DEP_3) | instskip(NEXT) | instid1(VALU_DEP_1)
	v_clz_i32_u32_e32 v25, v108
	v_min_u32_e32 v25, 32, v25
	s_delay_alu instid0(VALU_DEP_1) | instskip(NEXT) | instid1(VALU_DEP_1)
	v_subrev_nc_u32_e32 v28, 28, v25
	v_lshlrev_b64_e32 v[28:29], v28, v[108:109]
	s_delay_alu instid0(VALU_DEP_1)
	v_dual_sub_nc_u32 v25, 29, v25 :: v_dual_bitop2_b32 v108, 7, v28 bitop3:0x40
; %bb.606:                              ;   in Loop: Header=BB198_9 Depth=1
	s_or_b32 exec_lo, exec_lo, s19
	v_lshlrev_b32_e32 v28, 24, v24
	s_delay_alu instid0(VALU_DEP_2) | instskip(NEXT) | instid1(VALU_DEP_3)
	v_lshlrev_b32_e32 v29, 20, v108
	v_lshl_add_u32 v25, v25, 23, 0x3c000000
	s_delay_alu instid0(VALU_DEP_3) | instskip(NEXT) | instid1(VALU_DEP_1)
	v_and_b32_e32 v28, 0x80000000, v28
	v_or3_b32 v108, v29, v28, v25
	s_delay_alu instid0(VALU_DEP_1)
	v_mov_b64_e32 v[34:35], v[108:109]
.LBB198_607:                            ;   in Loop: Header=BB198_9 Depth=1
	s_or_b32 exec_lo, exec_lo, s18
.LBB198_608:                            ;   in Loop: Header=BB198_9 Depth=1
	s_delay_alu instid0(SALU_CYCLE_1)
	s_or_b32 exec_lo, exec_lo, s17
.LBB198_609:                            ;   in Loop: Header=BB198_9 Depth=1
	s_delay_alu instid0(SALU_CYCLE_1) | instskip(SKIP_2) | instid1(VALU_DEP_1)
	s_or_b32 exec_lo, exec_lo, s16
	v_lshrrev_b16 v25, 8, v24
	s_mov_b32 s16, exec_lo
	v_cmpx_ne_u16_e32 0, v25
	s_cbranch_execz .LBB198_617
; %bb.610:                              ;   in Loop: Header=BB198_9 Depth=1
	v_mov_b64_e32 v[12:13], 0x8000000000000000
	s_mov_b32 s17, exec_lo
	v_cmpx_ne_u16_e32 0x80, v25
	s_cbranch_execz .LBB198_616
; %bb.611:                              ;   in Loop: Header=BB198_9 Depth=1
	v_and_b32_e32 v28, 0xffff, v25
	v_mov_b64_e32 v[12:13], 0x7f80000100000000
	s_mov_b32 s18, exec_lo
	s_delay_alu instid0(VALU_DEP_2) | instskip(NEXT) | instid1(VALU_DEP_1)
	v_and_b32_e32 v25, 0x7f, v28
	v_cmpx_ne_u32_e32 0x7f, v25
	s_cbranch_execz .LBB198_615
; %bb.612:                              ;   in Loop: Header=BB198_9 Depth=1
	v_dual_lshrrev_b32 v12, 3, v25 :: v_dual_bitop2_b32 v108, 7, v28 bitop3:0x40
	s_mov_b32 s19, exec_lo
	v_cmpx_gt_u32_e32 8, v25
; %bb.613:                              ;   in Loop: Header=BB198_9 Depth=1
	s_delay_alu instid0(VALU_DEP_2) | instskip(NEXT) | instid1(VALU_DEP_1)
	v_clz_i32_u32_e32 v12, v108
	v_min_u32_e32 v12, 32, v12
	s_delay_alu instid0(VALU_DEP_1) | instskip(SKIP_1) | instid1(VALU_DEP_2)
	v_subrev_nc_u32_e32 v13, 28, v12
	v_sub_nc_u32_e32 v12, 29, v12
	v_lshlrev_b64_e32 v[28:29], v13, v[108:109]
	s_delay_alu instid0(VALU_DEP_1)
	v_and_b32_e32 v108, 7, v28
; %bb.614:                              ;   in Loop: Header=BB198_9 Depth=1
	s_or_b32 exec_lo, exec_lo, s19
	v_lshlrev_b32_e32 v13, 16, v24
	s_delay_alu instid0(VALU_DEP_2) | instskip(SKIP_1) | instid1(VALU_DEP_3)
	v_lshlrev_b32_e32 v24, 20, v108
	v_lshl_add_u32 v12, v12, 23, 0x3c000000
	v_and_b32_e32 v13, 0x80000000, v13
	s_delay_alu instid0(VALU_DEP_1)
	v_or3_b32 v13, v24, v13, v12
	v_mov_b32_e32 v12, v109
.LBB198_615:                            ;   in Loop: Header=BB198_9 Depth=1
	s_or_b32 exec_lo, exec_lo, s18
.LBB198_616:                            ;   in Loop: Header=BB198_9 Depth=1
	s_delay_alu instid0(SALU_CYCLE_1)
	s_or_b32 exec_lo, exec_lo, s17
.LBB198_617:                            ;   in Loop: Header=BB198_9 Depth=1
	s_delay_alu instid0(SALU_CYCLE_1)
	s_or_b32 exec_lo, exec_lo, s16
	flat_load_u16 v24, v[10:11] offset:2312
	v_mov_b64_e32 v[28:29], 0
	s_wait_loadcnt_dscnt 0x0
	v_and_b32_e32 v32, 0xffff, v24
	v_and_b32_e32 v24, 0xff, v24
	s_delay_alu instid0(VALU_DEP_1)
	v_cmp_ne_u16_e64 s2, 0, v24
	v_mov_b64_e32 v[24:25], 0
	s_wait_xcnt 0x0
	s_and_saveexec_b32 s16, s2
	s_cbranch_execz .LBB198_625
; %bb.618:                              ;   in Loop: Header=BB198_9 Depth=1
	v_and_b32_e32 v28, 0xff, v32
	s_delay_alu instid0(VALU_DEP_1)
	v_cmp_ne_u16_e64 s2, 0x80, v28
	v_mov_b64_e32 v[28:29], 0x80000000
	s_and_saveexec_b32 s17, s2
	s_cbranch_execz .LBB198_624
; %bb.619:                              ;   in Loop: Header=BB198_9 Depth=1
	v_mov_b64_e32 v[28:29], 0x7f800001
	v_and_b32_e32 v33, 0x7f, v32
	s_mov_b32 s18, exec_lo
	s_delay_alu instid0(VALU_DEP_1)
	v_cmpx_ne_u32_e32 0x7f, v33
	s_cbranch_execz .LBB198_623
; %bb.620:                              ;   in Loop: Header=BB198_9 Depth=1
	v_dual_lshrrev_b32 v28, 3, v33 :: v_dual_bitop2_b32 v108, 7, v32 bitop3:0x40
	s_mov_b32 s19, exec_lo
	v_cmpx_gt_u32_e32 8, v33
; %bb.621:                              ;   in Loop: Header=BB198_9 Depth=1
	s_delay_alu instid0(VALU_DEP_2) | instskip(NEXT) | instid1(VALU_DEP_1)
	v_clz_i32_u32_e32 v28, v108
	v_min_u32_e32 v28, 32, v28
	s_delay_alu instid0(VALU_DEP_1) | instskip(SKIP_1) | instid1(VALU_DEP_2)
	v_subrev_nc_u32_e32 v29, 28, v28
	v_sub_nc_u32_e32 v28, 29, v28
	v_lshlrev_b64_e32 v[36:37], v29, v[108:109]
	s_delay_alu instid0(VALU_DEP_1)
	v_and_b32_e32 v108, 7, v36
; %bb.622:                              ;   in Loop: Header=BB198_9 Depth=1
	s_or_b32 exec_lo, exec_lo, s19
	v_lshlrev_b32_e32 v29, 24, v32
	s_delay_alu instid0(VALU_DEP_2) | instskip(SKIP_1) | instid1(VALU_DEP_3)
	v_lshlrev_b32_e32 v33, 20, v108
	v_lshl_add_u32 v28, v28, 23, 0x3c000000
	v_and_b32_e32 v29, 0x80000000, v29
	s_delay_alu instid0(VALU_DEP_1) | instskip(NEXT) | instid1(VALU_DEP_1)
	v_or3_b32 v108, v33, v29, v28
	v_mov_b64_e32 v[28:29], v[108:109]
.LBB198_623:                            ;   in Loop: Header=BB198_9 Depth=1
	s_or_b32 exec_lo, exec_lo, s18
.LBB198_624:                            ;   in Loop: Header=BB198_9 Depth=1
	s_delay_alu instid0(SALU_CYCLE_1)
	s_or_b32 exec_lo, exec_lo, s17
.LBB198_625:                            ;   in Loop: Header=BB198_9 Depth=1
	s_delay_alu instid0(SALU_CYCLE_1) | instskip(SKIP_2) | instid1(VALU_DEP_1)
	s_or_b32 exec_lo, exec_lo, s16
	v_lshrrev_b16 v33, 8, v32
	s_mov_b32 s16, exec_lo
	v_cmpx_ne_u16_e32 0, v33
	s_cbranch_execz .LBB198_633
; %bb.626:                              ;   in Loop: Header=BB198_9 Depth=1
	v_mov_b64_e32 v[24:25], 0x8000000000000000
	s_mov_b32 s17, exec_lo
	v_cmpx_ne_u16_e32 0x80, v33
	s_cbranch_execz .LBB198_632
; %bb.627:                              ;   in Loop: Header=BB198_9 Depth=1
	v_and_b32_e32 v36, 0xffff, v33
	v_mov_b64_e32 v[24:25], 0x7f80000100000000
	s_mov_b32 s18, exec_lo
	s_delay_alu instid0(VALU_DEP_2) | instskip(NEXT) | instid1(VALU_DEP_1)
	v_and_b32_e32 v33, 0x7f, v36
	v_cmpx_ne_u32_e32 0x7f, v33
	s_cbranch_execz .LBB198_631
; %bb.628:                              ;   in Loop: Header=BB198_9 Depth=1
	v_dual_lshrrev_b32 v24, 3, v33 :: v_dual_bitop2_b32 v108, 7, v36 bitop3:0x40
	s_mov_b32 s19, exec_lo
	v_cmpx_gt_u32_e32 8, v33
; %bb.629:                              ;   in Loop: Header=BB198_9 Depth=1
	s_delay_alu instid0(VALU_DEP_2) | instskip(NEXT) | instid1(VALU_DEP_1)
	v_clz_i32_u32_e32 v24, v108
	v_min_u32_e32 v24, 32, v24
	s_delay_alu instid0(VALU_DEP_1) | instskip(SKIP_1) | instid1(VALU_DEP_2)
	v_subrev_nc_u32_e32 v25, 28, v24
	v_sub_nc_u32_e32 v24, 29, v24
	v_lshlrev_b64_e32 v[36:37], v25, v[108:109]
	s_delay_alu instid0(VALU_DEP_1)
	v_and_b32_e32 v108, 7, v36
; %bb.630:                              ;   in Loop: Header=BB198_9 Depth=1
	s_or_b32 exec_lo, exec_lo, s19
	v_lshlrev_b32_e32 v25, 16, v32
	s_delay_alu instid0(VALU_DEP_2) | instskip(SKIP_1) | instid1(VALU_DEP_3)
	v_lshlrev_b32_e32 v32, 20, v108
	v_lshl_add_u32 v24, v24, 23, 0x3c000000
	v_and_b32_e32 v25, 0x80000000, v25
	s_delay_alu instid0(VALU_DEP_1)
	v_or3_b32 v25, v32, v25, v24
	v_mov_b32_e32 v24, v109
.LBB198_631:                            ;   in Loop: Header=BB198_9 Depth=1
	s_or_b32 exec_lo, exec_lo, s18
.LBB198_632:                            ;   in Loop: Header=BB198_9 Depth=1
	s_delay_alu instid0(SALU_CYCLE_1)
	s_or_b32 exec_lo, exec_lo, s17
.LBB198_633:                            ;   in Loop: Header=BB198_9 Depth=1
	s_delay_alu instid0(SALU_CYCLE_1)
	s_or_b32 exec_lo, exec_lo, s16
	flat_load_u16 v32, v[10:11] offset:2316
	v_mov_b64_e32 v[38:39], 0
	s_wait_loadcnt_dscnt 0x0
	v_and_b32_e32 v36, 0xffff, v32
	v_and_b32_e32 v32, 0xff, v32
	s_delay_alu instid0(VALU_DEP_1)
	v_cmp_ne_u16_e64 s2, 0, v32
	v_mov_b64_e32 v[32:33], 0
	s_wait_xcnt 0x0
	s_and_saveexec_b32 s16, s2
	s_cbranch_execz .LBB198_641
; %bb.634:                              ;   in Loop: Header=BB198_9 Depth=1
	v_and_b32_e32 v32, 0xff, v36
	s_delay_alu instid0(VALU_DEP_1)
	v_cmp_ne_u16_e64 s2, 0x80, v32
	v_mov_b64_e32 v[32:33], 0x80000000
	s_and_saveexec_b32 s17, s2
	s_cbranch_execz .LBB198_640
; %bb.635:                              ;   in Loop: Header=BB198_9 Depth=1
	v_mov_b64_e32 v[32:33], 0x7f800001
	v_and_b32_e32 v37, 0x7f, v36
	s_mov_b32 s18, exec_lo
	s_delay_alu instid0(VALU_DEP_1)
	v_cmpx_ne_u32_e32 0x7f, v37
	s_cbranch_execz .LBB198_639
; %bb.636:                              ;   in Loop: Header=BB198_9 Depth=1
	v_dual_lshrrev_b32 v32, 3, v37 :: v_dual_bitop2_b32 v108, 7, v36 bitop3:0x40
	s_mov_b32 s19, exec_lo
	v_cmpx_gt_u32_e32 8, v37
; %bb.637:                              ;   in Loop: Header=BB198_9 Depth=1
	s_delay_alu instid0(VALU_DEP_2) | instskip(NEXT) | instid1(VALU_DEP_1)
	v_clz_i32_u32_e32 v32, v108
	v_min_u32_e32 v32, 32, v32
	s_delay_alu instid0(VALU_DEP_1) | instskip(SKIP_1) | instid1(VALU_DEP_2)
	v_subrev_nc_u32_e32 v33, 28, v32
	v_sub_nc_u32_e32 v32, 29, v32
	v_lshlrev_b64_e32 v[48:49], v33, v[108:109]
	s_delay_alu instid0(VALU_DEP_1)
	v_and_b32_e32 v108, 7, v48
; %bb.638:                              ;   in Loop: Header=BB198_9 Depth=1
	s_or_b32 exec_lo, exec_lo, s19
	v_lshlrev_b32_e32 v33, 24, v36
	s_delay_alu instid0(VALU_DEP_2) | instskip(SKIP_1) | instid1(VALU_DEP_3)
	v_lshlrev_b32_e32 v37, 20, v108
	v_lshl_add_u32 v32, v32, 23, 0x3c000000
	v_and_b32_e32 v33, 0x80000000, v33
	s_delay_alu instid0(VALU_DEP_1) | instskip(NEXT) | instid1(VALU_DEP_1)
	v_or3_b32 v108, v37, v33, v32
	v_mov_b64_e32 v[32:33], v[108:109]
.LBB198_639:                            ;   in Loop: Header=BB198_9 Depth=1
	s_or_b32 exec_lo, exec_lo, s18
.LBB198_640:                            ;   in Loop: Header=BB198_9 Depth=1
	s_delay_alu instid0(SALU_CYCLE_1)
	s_or_b32 exec_lo, exec_lo, s17
.LBB198_641:                            ;   in Loop: Header=BB198_9 Depth=1
	s_delay_alu instid0(SALU_CYCLE_1) | instskip(SKIP_2) | instid1(VALU_DEP_1)
	s_or_b32 exec_lo, exec_lo, s16
	v_lshrrev_b16 v37, 8, v36
	s_mov_b32 s16, exec_lo
	v_cmpx_ne_u16_e32 0, v37
	s_cbranch_execz .LBB198_649
; %bb.642:                              ;   in Loop: Header=BB198_9 Depth=1
	v_mov_b64_e32 v[38:39], 0x8000000000000000
	s_mov_b32 s17, exec_lo
	v_cmpx_ne_u16_e32 0x80, v37
	s_cbranch_execz .LBB198_648
; %bb.643:                              ;   in Loop: Header=BB198_9 Depth=1
	v_and_b32_e32 v37, 0xffff, v37
	v_mov_b64_e32 v[38:39], 0x7f80000100000000
	s_mov_b32 s18, exec_lo
	s_delay_alu instid0(VALU_DEP_2) | instskip(NEXT) | instid1(VALU_DEP_1)
	v_and_b32_e32 v48, 0x7f, v37
	v_cmpx_ne_u32_e32 0x7f, v48
	s_cbranch_execz .LBB198_647
; %bb.644:                              ;   in Loop: Header=BB198_9 Depth=1
	v_dual_lshrrev_b32 v37, 3, v48 :: v_dual_bitop2_b32 v108, 7, v37 bitop3:0x40
	s_mov_b32 s19, exec_lo
	v_cmpx_gt_u32_e32 8, v48
; %bb.645:                              ;   in Loop: Header=BB198_9 Depth=1
	s_delay_alu instid0(VALU_DEP_2) | instskip(NEXT) | instid1(VALU_DEP_1)
	v_clz_i32_u32_e32 v37, v108
	v_min_u32_e32 v37, 32, v37
	s_delay_alu instid0(VALU_DEP_1) | instskip(NEXT) | instid1(VALU_DEP_1)
	v_subrev_nc_u32_e32 v38, 28, v37
	v_lshlrev_b64_e32 v[38:39], v38, v[108:109]
	s_delay_alu instid0(VALU_DEP_1)
	v_dual_sub_nc_u32 v37, 29, v37 :: v_dual_bitop2_b32 v108, 7, v38 bitop3:0x40
; %bb.646:                              ;   in Loop: Header=BB198_9 Depth=1
	s_or_b32 exec_lo, exec_lo, s19
	v_lshlrev_b32_e32 v36, 16, v36
	s_delay_alu instid0(VALU_DEP_2) | instskip(NEXT) | instid1(VALU_DEP_3)
	v_lshlrev_b32_e32 v38, 20, v108
	v_lshl_add_u32 v37, v37, 23, 0x3c000000
	s_delay_alu instid0(VALU_DEP_3) | instskip(NEXT) | instid1(VALU_DEP_1)
	v_and_b32_e32 v36, 0x80000000, v36
	v_or3_b32 v39, v38, v36, v37
	v_mov_b32_e32 v38, v109
.LBB198_647:                            ;   in Loop: Header=BB198_9 Depth=1
	s_or_b32 exec_lo, exec_lo, s18
.LBB198_648:                            ;   in Loop: Header=BB198_9 Depth=1
	s_delay_alu instid0(SALU_CYCLE_1)
	s_or_b32 exec_lo, exec_lo, s17
.LBB198_649:                            ;   in Loop: Header=BB198_9 Depth=1
	s_delay_alu instid0(SALU_CYCLE_1)
	s_or_b32 exec_lo, exec_lo, s16
	flat_load_u16 v36, v[10:11] offset:2560
	v_mov_b64_e32 v[50:51], 0
	s_wait_loadcnt_dscnt 0x0
	v_and_b32_e32 v48, 0xffff, v36
	v_and_b32_e32 v36, 0xff, v36
	s_delay_alu instid0(VALU_DEP_1)
	v_cmp_ne_u16_e64 s2, 0, v36
	v_mov_b64_e32 v[36:37], 0
	s_wait_xcnt 0x0
	s_and_saveexec_b32 s16, s2
	s_cbranch_execz .LBB198_657
; %bb.650:                              ;   in Loop: Header=BB198_9 Depth=1
	v_and_b32_e32 v36, 0xff, v48
	s_delay_alu instid0(VALU_DEP_1)
	v_cmp_ne_u16_e64 s2, 0x80, v36
	v_mov_b64_e32 v[36:37], 0x80000000
	s_and_saveexec_b32 s17, s2
	s_cbranch_execz .LBB198_656
; %bb.651:                              ;   in Loop: Header=BB198_9 Depth=1
	v_mov_b64_e32 v[36:37], 0x7f800001
	v_and_b32_e32 v49, 0x7f, v48
	s_mov_b32 s18, exec_lo
	s_delay_alu instid0(VALU_DEP_1)
	v_cmpx_ne_u32_e32 0x7f, v49
	s_cbranch_execz .LBB198_655
; %bb.652:                              ;   in Loop: Header=BB198_9 Depth=1
	v_dual_lshrrev_b32 v36, 3, v49 :: v_dual_bitop2_b32 v108, 7, v48 bitop3:0x40
	s_mov_b32 s19, exec_lo
	v_cmpx_gt_u32_e32 8, v49
; %bb.653:                              ;   in Loop: Header=BB198_9 Depth=1
	s_delay_alu instid0(VALU_DEP_2) | instskip(NEXT) | instid1(VALU_DEP_1)
	v_clz_i32_u32_e32 v36, v108
	v_min_u32_e32 v36, 32, v36
	s_delay_alu instid0(VALU_DEP_1) | instskip(SKIP_1) | instid1(VALU_DEP_2)
	v_subrev_nc_u32_e32 v37, 28, v36
	v_sub_nc_u32_e32 v36, 29, v36
	v_lshlrev_b64_e32 v[52:53], v37, v[108:109]
	s_delay_alu instid0(VALU_DEP_1)
	v_and_b32_e32 v108, 7, v52
; %bb.654:                              ;   in Loop: Header=BB198_9 Depth=1
	s_or_b32 exec_lo, exec_lo, s19
	v_lshlrev_b32_e32 v37, 24, v48
	s_delay_alu instid0(VALU_DEP_2) | instskip(SKIP_1) | instid1(VALU_DEP_3)
	v_lshlrev_b32_e32 v49, 20, v108
	v_lshl_add_u32 v36, v36, 23, 0x3c000000
	v_and_b32_e32 v37, 0x80000000, v37
	s_delay_alu instid0(VALU_DEP_1) | instskip(NEXT) | instid1(VALU_DEP_1)
	v_or3_b32 v108, v49, v37, v36
	v_mov_b64_e32 v[36:37], v[108:109]
.LBB198_655:                            ;   in Loop: Header=BB198_9 Depth=1
	s_or_b32 exec_lo, exec_lo, s18
.LBB198_656:                            ;   in Loop: Header=BB198_9 Depth=1
	s_delay_alu instid0(SALU_CYCLE_1)
	s_or_b32 exec_lo, exec_lo, s17
.LBB198_657:                            ;   in Loop: Header=BB198_9 Depth=1
	s_delay_alu instid0(SALU_CYCLE_1) | instskip(SKIP_2) | instid1(VALU_DEP_1)
	s_or_b32 exec_lo, exec_lo, s16
	v_lshrrev_b16 v49, 8, v48
	s_mov_b32 s16, exec_lo
	v_cmpx_ne_u16_e32 0, v49
	s_cbranch_execz .LBB198_665
; %bb.658:                              ;   in Loop: Header=BB198_9 Depth=1
	v_mov_b64_e32 v[50:51], 0x8000000000000000
	s_mov_b32 s17, exec_lo
	v_cmpx_ne_u16_e32 0x80, v49
	s_cbranch_execz .LBB198_664
; %bb.659:                              ;   in Loop: Header=BB198_9 Depth=1
	v_and_b32_e32 v49, 0xffff, v49
	v_mov_b64_e32 v[50:51], 0x7f80000100000000
	s_mov_b32 s18, exec_lo
	s_delay_alu instid0(VALU_DEP_2) | instskip(NEXT) | instid1(VALU_DEP_1)
	v_and_b32_e32 v52, 0x7f, v49
	v_cmpx_ne_u32_e32 0x7f, v52
	s_cbranch_execz .LBB198_663
; %bb.660:                              ;   in Loop: Header=BB198_9 Depth=1
	v_dual_lshrrev_b32 v49, 3, v52 :: v_dual_bitop2_b32 v108, 7, v49 bitop3:0x40
	s_mov_b32 s19, exec_lo
	v_cmpx_gt_u32_e32 8, v52
; %bb.661:                              ;   in Loop: Header=BB198_9 Depth=1
	s_delay_alu instid0(VALU_DEP_2) | instskip(NEXT) | instid1(VALU_DEP_1)
	v_clz_i32_u32_e32 v49, v108
	v_min_u32_e32 v49, 32, v49
	s_delay_alu instid0(VALU_DEP_1) | instskip(NEXT) | instid1(VALU_DEP_1)
	v_subrev_nc_u32_e32 v50, 28, v49
	v_lshlrev_b64_e32 v[50:51], v50, v[108:109]
	s_delay_alu instid0(VALU_DEP_1)
	v_dual_sub_nc_u32 v49, 29, v49 :: v_dual_bitop2_b32 v108, 7, v50 bitop3:0x40
; %bb.662:                              ;   in Loop: Header=BB198_9 Depth=1
	s_or_b32 exec_lo, exec_lo, s19
	v_lshlrev_b32_e32 v48, 16, v48
	s_delay_alu instid0(VALU_DEP_2) | instskip(NEXT) | instid1(VALU_DEP_3)
	v_lshlrev_b32_e32 v50, 20, v108
	v_lshl_add_u32 v49, v49, 23, 0x3c000000
	s_delay_alu instid0(VALU_DEP_3) | instskip(NEXT) | instid1(VALU_DEP_1)
	v_and_b32_e32 v48, 0x80000000, v48
	v_or3_b32 v51, v50, v48, v49
	v_mov_b32_e32 v50, v109
.LBB198_663:                            ;   in Loop: Header=BB198_9 Depth=1
	s_or_b32 exec_lo, exec_lo, s18
.LBB198_664:                            ;   in Loop: Header=BB198_9 Depth=1
	s_delay_alu instid0(SALU_CYCLE_1)
	s_or_b32 exec_lo, exec_lo, s17
.LBB198_665:                            ;   in Loop: Header=BB198_9 Depth=1
	s_delay_alu instid0(SALU_CYCLE_1)
	s_or_b32 exec_lo, exec_lo, s16
	flat_load_u16 v48, v[10:11] offset:2564
	v_mov_b64_e32 v[54:55], 0
	s_wait_loadcnt_dscnt 0x0
	v_and_b32_e32 v52, 0xffff, v48
	v_and_b32_e32 v48, 0xff, v48
	s_delay_alu instid0(VALU_DEP_1)
	v_cmp_ne_u16_e64 s2, 0, v48
	v_mov_b64_e32 v[48:49], 0
	s_wait_xcnt 0x0
	s_and_saveexec_b32 s16, s2
	s_cbranch_execz .LBB198_673
; %bb.666:                              ;   in Loop: Header=BB198_9 Depth=1
	v_and_b32_e32 v48, 0xff, v52
	s_delay_alu instid0(VALU_DEP_1)
	v_cmp_ne_u16_e64 s2, 0x80, v48
	v_mov_b64_e32 v[48:49], 0x80000000
	s_and_saveexec_b32 s17, s2
	s_cbranch_execz .LBB198_672
; %bb.667:                              ;   in Loop: Header=BB198_9 Depth=1
	v_mov_b64_e32 v[48:49], 0x7f800001
	v_and_b32_e32 v53, 0x7f, v52
	s_mov_b32 s18, exec_lo
	s_delay_alu instid0(VALU_DEP_1)
	v_cmpx_ne_u32_e32 0x7f, v53
	s_cbranch_execz .LBB198_671
; %bb.668:                              ;   in Loop: Header=BB198_9 Depth=1
	v_dual_lshrrev_b32 v48, 3, v53 :: v_dual_bitop2_b32 v108, 7, v52 bitop3:0x40
	s_mov_b32 s19, exec_lo
	v_cmpx_gt_u32_e32 8, v53
; %bb.669:                              ;   in Loop: Header=BB198_9 Depth=1
	s_delay_alu instid0(VALU_DEP_2) | instskip(NEXT) | instid1(VALU_DEP_1)
	v_clz_i32_u32_e32 v48, v108
	v_min_u32_e32 v48, 32, v48
	s_delay_alu instid0(VALU_DEP_1) | instskip(SKIP_1) | instid1(VALU_DEP_2)
	v_subrev_nc_u32_e32 v49, 28, v48
	v_sub_nc_u32_e32 v48, 29, v48
	v_lshlrev_b64_e32 v[64:65], v49, v[108:109]
	s_delay_alu instid0(VALU_DEP_1)
	v_and_b32_e32 v108, 7, v64
; %bb.670:                              ;   in Loop: Header=BB198_9 Depth=1
	s_or_b32 exec_lo, exec_lo, s19
	v_lshlrev_b32_e32 v49, 24, v52
	s_delay_alu instid0(VALU_DEP_2) | instskip(SKIP_1) | instid1(VALU_DEP_3)
	v_lshlrev_b32_e32 v53, 20, v108
	v_lshl_add_u32 v48, v48, 23, 0x3c000000
	v_and_b32_e32 v49, 0x80000000, v49
	s_delay_alu instid0(VALU_DEP_1) | instskip(NEXT) | instid1(VALU_DEP_1)
	v_or3_b32 v108, v53, v49, v48
	v_mov_b64_e32 v[48:49], v[108:109]
.LBB198_671:                            ;   in Loop: Header=BB198_9 Depth=1
	s_or_b32 exec_lo, exec_lo, s18
.LBB198_672:                            ;   in Loop: Header=BB198_9 Depth=1
	s_delay_alu instid0(SALU_CYCLE_1)
	s_or_b32 exec_lo, exec_lo, s17
.LBB198_673:                            ;   in Loop: Header=BB198_9 Depth=1
	s_delay_alu instid0(SALU_CYCLE_1) | instskip(SKIP_2) | instid1(VALU_DEP_1)
	s_or_b32 exec_lo, exec_lo, s16
	v_lshrrev_b16 v53, 8, v52
	s_mov_b32 s16, exec_lo
	v_cmpx_ne_u16_e32 0, v53
	s_cbranch_execz .LBB198_681
; %bb.674:                              ;   in Loop: Header=BB198_9 Depth=1
	v_mov_b64_e32 v[54:55], 0x8000000000000000
	s_mov_b32 s17, exec_lo
	v_cmpx_ne_u16_e32 0x80, v53
	s_cbranch_execz .LBB198_680
; %bb.675:                              ;   in Loop: Header=BB198_9 Depth=1
	v_and_b32_e32 v53, 0xffff, v53
	v_mov_b64_e32 v[54:55], 0x7f80000100000000
	s_mov_b32 s18, exec_lo
	s_delay_alu instid0(VALU_DEP_2) | instskip(NEXT) | instid1(VALU_DEP_1)
	v_and_b32_e32 v64, 0x7f, v53
	v_cmpx_ne_u32_e32 0x7f, v64
	s_cbranch_execz .LBB198_679
; %bb.676:                              ;   in Loop: Header=BB198_9 Depth=1
	v_dual_lshrrev_b32 v53, 3, v64 :: v_dual_bitop2_b32 v108, 7, v53 bitop3:0x40
	s_mov_b32 s19, exec_lo
	v_cmpx_gt_u32_e32 8, v64
; %bb.677:                              ;   in Loop: Header=BB198_9 Depth=1
	s_delay_alu instid0(VALU_DEP_2) | instskip(NEXT) | instid1(VALU_DEP_1)
	v_clz_i32_u32_e32 v53, v108
	v_min_u32_e32 v53, 32, v53
	s_delay_alu instid0(VALU_DEP_1) | instskip(NEXT) | instid1(VALU_DEP_1)
	v_subrev_nc_u32_e32 v54, 28, v53
	v_lshlrev_b64_e32 v[54:55], v54, v[108:109]
	s_delay_alu instid0(VALU_DEP_1)
	v_dual_sub_nc_u32 v53, 29, v53 :: v_dual_bitop2_b32 v108, 7, v54 bitop3:0x40
; %bb.678:                              ;   in Loop: Header=BB198_9 Depth=1
	s_or_b32 exec_lo, exec_lo, s19
	v_lshlrev_b32_e32 v52, 16, v52
	s_delay_alu instid0(VALU_DEP_2) | instskip(NEXT) | instid1(VALU_DEP_3)
	v_lshlrev_b32_e32 v54, 20, v108
	v_lshl_add_u32 v53, v53, 23, 0x3c000000
	s_delay_alu instid0(VALU_DEP_3) | instskip(NEXT) | instid1(VALU_DEP_1)
	v_and_b32_e32 v52, 0x80000000, v52
	v_or3_b32 v55, v54, v52, v53
	v_mov_b32_e32 v54, v109
.LBB198_679:                            ;   in Loop: Header=BB198_9 Depth=1
	s_or_b32 exec_lo, exec_lo, s18
.LBB198_680:                            ;   in Loop: Header=BB198_9 Depth=1
	s_delay_alu instid0(SALU_CYCLE_1)
	s_or_b32 exec_lo, exec_lo, s17
.LBB198_681:                            ;   in Loop: Header=BB198_9 Depth=1
	s_delay_alu instid0(SALU_CYCLE_1)
	s_or_b32 exec_lo, exec_lo, s16
	flat_load_u16 v53, v[10:11] offset:2568
	v_mov_b64_e32 v[70:71], 0
	v_mov_b64_e32 v[64:65], 0
	s_mov_b32 s16, exec_lo
	s_wait_loadcnt_dscnt 0x0
	v_and_b32_e32 v52, 0xffff, v53
	v_and_b32_e32 v53, 0xff, v53
	s_wait_xcnt 0x0
	s_delay_alu instid0(VALU_DEP_1)
	v_cmpx_ne_u16_e32 0, v53
	s_cbranch_execz .LBB198_689
; %bb.682:                              ;   in Loop: Header=BB198_9 Depth=1
	v_mov_b64_e32 v[64:65], 0x80000000
	v_and_b32_e32 v53, 0xff, v52
	s_mov_b32 s17, exec_lo
	s_delay_alu instid0(VALU_DEP_1)
	v_cmpx_ne_u16_e32 0x80, v53
	s_cbranch_execz .LBB198_688
; %bb.683:                              ;   in Loop: Header=BB198_9 Depth=1
	v_mov_b64_e32 v[64:65], 0x7f800001
	v_and_b32_e32 v66, 0x7f, v52
	s_mov_b32 s18, exec_lo
	s_delay_alu instid0(VALU_DEP_1)
	v_cmpx_ne_u32_e32 0x7f, v66
	s_cbranch_execz .LBB198_687
; %bb.684:                              ;   in Loop: Header=BB198_9 Depth=1
	v_dual_lshrrev_b32 v53, 3, v66 :: v_dual_bitop2_b32 v108, 7, v52 bitop3:0x40
	s_mov_b32 s19, exec_lo
	v_cmpx_gt_u32_e32 8, v66
; %bb.685:                              ;   in Loop: Header=BB198_9 Depth=1
	s_delay_alu instid0(VALU_DEP_2) | instskip(NEXT) | instid1(VALU_DEP_1)
	v_clz_i32_u32_e32 v53, v108
	v_min_u32_e32 v53, 32, v53
	s_delay_alu instid0(VALU_DEP_1) | instskip(NEXT) | instid1(VALU_DEP_1)
	v_subrev_nc_u32_e32 v64, 28, v53
	v_lshlrev_b64_e32 v[64:65], v64, v[108:109]
	s_delay_alu instid0(VALU_DEP_1)
	v_dual_sub_nc_u32 v53, 29, v53 :: v_dual_bitop2_b32 v108, 7, v64 bitop3:0x40
; %bb.686:                              ;   in Loop: Header=BB198_9 Depth=1
	s_or_b32 exec_lo, exec_lo, s19
	v_lshlrev_b32_e32 v64, 24, v52
	s_delay_alu instid0(VALU_DEP_2) | instskip(NEXT) | instid1(VALU_DEP_3)
	v_lshlrev_b32_e32 v65, 20, v108
	v_lshl_add_u32 v53, v53, 23, 0x3c000000
	s_delay_alu instid0(VALU_DEP_3) | instskip(NEXT) | instid1(VALU_DEP_1)
	v_and_b32_e32 v64, 0x80000000, v64
	v_or3_b32 v108, v65, v64, v53
	s_delay_alu instid0(VALU_DEP_1)
	v_mov_b64_e32 v[64:65], v[108:109]
.LBB198_687:                            ;   in Loop: Header=BB198_9 Depth=1
	s_or_b32 exec_lo, exec_lo, s18
.LBB198_688:                            ;   in Loop: Header=BB198_9 Depth=1
	s_delay_alu instid0(SALU_CYCLE_1)
	s_or_b32 exec_lo, exec_lo, s17
.LBB198_689:                            ;   in Loop: Header=BB198_9 Depth=1
	s_delay_alu instid0(SALU_CYCLE_1) | instskip(SKIP_2) | instid1(VALU_DEP_1)
	s_or_b32 exec_lo, exec_lo, s16
	v_lshrrev_b16 v53, 8, v52
	s_mov_b32 s16, exec_lo
	v_cmpx_ne_u16_e32 0, v53
	s_cbranch_execz .LBB198_697
; %bb.690:                              ;   in Loop: Header=BB198_9 Depth=1
	v_mov_b64_e32 v[70:71], 0x8000000000000000
	s_mov_b32 s17, exec_lo
	v_cmpx_ne_u16_e32 0x80, v53
	s_cbranch_execz .LBB198_696
; %bb.691:                              ;   in Loop: Header=BB198_9 Depth=1
	v_and_b32_e32 v53, 0xffff, v53
	v_mov_b64_e32 v[70:71], 0x7f80000100000000
	s_mov_b32 s18, exec_lo
	s_delay_alu instid0(VALU_DEP_2) | instskip(NEXT) | instid1(VALU_DEP_1)
	v_and_b32_e32 v66, 0x7f, v53
	v_cmpx_ne_u32_e32 0x7f, v66
	s_cbranch_execz .LBB198_695
; %bb.692:                              ;   in Loop: Header=BB198_9 Depth=1
	v_dual_lshrrev_b32 v53, 3, v66 :: v_dual_bitop2_b32 v108, 7, v53 bitop3:0x40
	s_mov_b32 s19, exec_lo
	v_cmpx_gt_u32_e32 8, v66
; %bb.693:                              ;   in Loop: Header=BB198_9 Depth=1
	s_delay_alu instid0(VALU_DEP_2) | instskip(NEXT) | instid1(VALU_DEP_1)
	v_clz_i32_u32_e32 v53, v108
	v_min_u32_e32 v53, 32, v53
	s_delay_alu instid0(VALU_DEP_1) | instskip(NEXT) | instid1(VALU_DEP_1)
	v_subrev_nc_u32_e32 v66, 28, v53
	v_lshlrev_b64_e32 v[66:67], v66, v[108:109]
	s_delay_alu instid0(VALU_DEP_1)
	v_dual_sub_nc_u32 v53, 29, v53 :: v_dual_bitop2_b32 v108, 7, v66 bitop3:0x40
; %bb.694:                              ;   in Loop: Header=BB198_9 Depth=1
	s_or_b32 exec_lo, exec_lo, s19
	v_dual_lshlrev_b32 v52, 16, v52 :: v_dual_mov_b32 v70, v109
	s_delay_alu instid0(VALU_DEP_2) | instskip(NEXT) | instid1(VALU_DEP_3)
	v_lshlrev_b32_e32 v66, 20, v108
	v_lshl_add_u32 v53, v53, 23, 0x3c000000
	s_delay_alu instid0(VALU_DEP_3) | instskip(NEXT) | instid1(VALU_DEP_1)
	v_and_b32_e32 v52, 0x80000000, v52
	v_or3_b32 v71, v66, v52, v53
.LBB198_695:                            ;   in Loop: Header=BB198_9 Depth=1
	s_or_b32 exec_lo, exec_lo, s18
.LBB198_696:                            ;   in Loop: Header=BB198_9 Depth=1
	s_delay_alu instid0(SALU_CYCLE_1)
	s_or_b32 exec_lo, exec_lo, s17
.LBB198_697:                            ;   in Loop: Header=BB198_9 Depth=1
	s_delay_alu instid0(SALU_CYCLE_1)
	s_or_b32 exec_lo, exec_lo, s16
	flat_load_u16 v53, v[10:11] offset:2572
	v_mov_b64_e32 v[98:99], 0
	v_mov_b64_e32 v[84:85], 0
	s_mov_b32 s16, exec_lo
	s_wait_loadcnt_dscnt 0x0
	v_and_b32_e32 v52, 0xffff, v53
	v_and_b32_e32 v53, 0xff, v53
	s_wait_xcnt 0x0
	s_delay_alu instid0(VALU_DEP_1)
	v_cmpx_ne_u16_e32 0, v53
	s_cbranch_execz .LBB198_705
; %bb.698:                              ;   in Loop: Header=BB198_9 Depth=1
	v_mov_b64_e32 v[84:85], 0x80000000
	v_and_b32_e32 v53, 0xff, v52
	s_mov_b32 s17, exec_lo
	s_delay_alu instid0(VALU_DEP_1)
	v_cmpx_ne_u16_e32 0x80, v53
	s_cbranch_execz .LBB198_704
; %bb.699:                              ;   in Loop: Header=BB198_9 Depth=1
	v_mov_b64_e32 v[84:85], 0x7f800001
	v_and_b32_e32 v66, 0x7f, v52
	s_mov_b32 s18, exec_lo
	s_delay_alu instid0(VALU_DEP_1)
	v_cmpx_ne_u32_e32 0x7f, v66
	s_cbranch_execz .LBB198_703
; %bb.700:                              ;   in Loop: Header=BB198_9 Depth=1
	v_dual_lshrrev_b32 v53, 3, v66 :: v_dual_bitop2_b32 v108, 7, v52 bitop3:0x40
	s_mov_b32 s19, exec_lo
	v_cmpx_gt_u32_e32 8, v66
; %bb.701:                              ;   in Loop: Header=BB198_9 Depth=1
	s_delay_alu instid0(VALU_DEP_2) | instskip(NEXT) | instid1(VALU_DEP_1)
	v_clz_i32_u32_e32 v53, v108
	v_min_u32_e32 v53, 32, v53
	s_delay_alu instid0(VALU_DEP_1) | instskip(NEXT) | instid1(VALU_DEP_1)
	v_subrev_nc_u32_e32 v66, 28, v53
	v_lshlrev_b64_e32 v[66:67], v66, v[108:109]
	s_delay_alu instid0(VALU_DEP_1)
	v_dual_sub_nc_u32 v53, 29, v53 :: v_dual_bitop2_b32 v108, 7, v66 bitop3:0x40
; %bb.702:                              ;   in Loop: Header=BB198_9 Depth=1
	s_or_b32 exec_lo, exec_lo, s19
	v_lshlrev_b32_e32 v66, 24, v52
	s_delay_alu instid0(VALU_DEP_2) | instskip(NEXT) | instid1(VALU_DEP_3)
	v_lshlrev_b32_e32 v67, 20, v108
	v_lshl_add_u32 v53, v53, 23, 0x3c000000
	s_delay_alu instid0(VALU_DEP_3) | instskip(NEXT) | instid1(VALU_DEP_1)
	v_and_b32_e32 v66, 0x80000000, v66
	v_or3_b32 v108, v67, v66, v53
	s_delay_alu instid0(VALU_DEP_1)
	v_mov_b64_e32 v[84:85], v[108:109]
.LBB198_703:                            ;   in Loop: Header=BB198_9 Depth=1
	s_or_b32 exec_lo, exec_lo, s18
.LBB198_704:                            ;   in Loop: Header=BB198_9 Depth=1
	s_delay_alu instid0(SALU_CYCLE_1)
	s_or_b32 exec_lo, exec_lo, s17
.LBB198_705:                            ;   in Loop: Header=BB198_9 Depth=1
	s_delay_alu instid0(SALU_CYCLE_1) | instskip(SKIP_2) | instid1(VALU_DEP_1)
	s_or_b32 exec_lo, exec_lo, s16
	v_lshrrev_b16 v53, 8, v52
	s_mov_b32 s16, exec_lo
	v_cmpx_ne_u16_e32 0, v53
	s_cbranch_execz .LBB198_713
; %bb.706:                              ;   in Loop: Header=BB198_9 Depth=1
	v_mov_b64_e32 v[98:99], 0x8000000000000000
	s_mov_b32 s17, exec_lo
	v_cmpx_ne_u16_e32 0x80, v53
	s_cbranch_execz .LBB198_712
; %bb.707:                              ;   in Loop: Header=BB198_9 Depth=1
	v_and_b32_e32 v53, 0xffff, v53
	v_mov_b64_e32 v[98:99], 0x7f80000100000000
	s_mov_b32 s18, exec_lo
	s_delay_alu instid0(VALU_DEP_2) | instskip(NEXT) | instid1(VALU_DEP_1)
	v_and_b32_e32 v66, 0x7f, v53
	v_cmpx_ne_u32_e32 0x7f, v66
	s_cbranch_execz .LBB198_711
; %bb.708:                              ;   in Loop: Header=BB198_9 Depth=1
	v_dual_lshrrev_b32 v53, 3, v66 :: v_dual_bitop2_b32 v108, 7, v53 bitop3:0x40
	s_mov_b32 s19, exec_lo
	v_cmpx_gt_u32_e32 8, v66
; %bb.709:                              ;   in Loop: Header=BB198_9 Depth=1
	s_delay_alu instid0(VALU_DEP_2) | instskip(NEXT) | instid1(VALU_DEP_1)
	v_clz_i32_u32_e32 v53, v108
	v_min_u32_e32 v53, 32, v53
	s_delay_alu instid0(VALU_DEP_1) | instskip(NEXT) | instid1(VALU_DEP_1)
	v_subrev_nc_u32_e32 v66, 28, v53
	v_lshlrev_b64_e32 v[66:67], v66, v[108:109]
	s_delay_alu instid0(VALU_DEP_1)
	v_dual_sub_nc_u32 v53, 29, v53 :: v_dual_bitop2_b32 v108, 7, v66 bitop3:0x40
; %bb.710:                              ;   in Loop: Header=BB198_9 Depth=1
	s_or_b32 exec_lo, exec_lo, s19
	v_dual_lshlrev_b32 v52, 16, v52 :: v_dual_mov_b32 v98, v109
	s_delay_alu instid0(VALU_DEP_2) | instskip(NEXT) | instid1(VALU_DEP_3)
	v_lshlrev_b32_e32 v66, 20, v108
	v_lshl_add_u32 v53, v53, 23, 0x3c000000
	s_delay_alu instid0(VALU_DEP_3) | instskip(NEXT) | instid1(VALU_DEP_1)
	v_and_b32_e32 v52, 0x80000000, v52
	v_or3_b32 v99, v66, v52, v53
.LBB198_711:                            ;   in Loop: Header=BB198_9 Depth=1
	s_or_b32 exec_lo, exec_lo, s18
.LBB198_712:                            ;   in Loop: Header=BB198_9 Depth=1
	s_delay_alu instid0(SALU_CYCLE_1)
	s_or_b32 exec_lo, exec_lo, s17
.LBB198_713:                            ;   in Loop: Header=BB198_9 Depth=1
	s_delay_alu instid0(SALU_CYCLE_1)
	s_or_b32 exec_lo, exec_lo, s16
	flat_load_u16 v52, v[10:11] offset:2816
	v_mov_b64_e32 v[66:67], 0
	s_wait_loadcnt_dscnt 0x0
	v_and_b32_e32 v68, 0xffff, v52
	v_and_b32_e32 v52, 0xff, v52
	s_delay_alu instid0(VALU_DEP_1)
	v_cmp_ne_u16_e64 s2, 0, v52
	v_mov_b64_e32 v[52:53], 0
	s_wait_xcnt 0x0
	s_and_saveexec_b32 s16, s2
	s_cbranch_execz .LBB198_721
; %bb.714:                              ;   in Loop: Header=BB198_9 Depth=1
	v_and_b32_e32 v52, 0xff, v68
	s_delay_alu instid0(VALU_DEP_1)
	v_cmp_ne_u16_e64 s2, 0x80, v52
	v_mov_b64_e32 v[52:53], 0x80000000
	s_and_saveexec_b32 s17, s2
	s_cbranch_execz .LBB198_720
; %bb.715:                              ;   in Loop: Header=BB198_9 Depth=1
	v_mov_b64_e32 v[52:53], 0x7f800001
	v_and_b32_e32 v69, 0x7f, v68
	s_mov_b32 s18, exec_lo
	s_delay_alu instid0(VALU_DEP_1)
	v_cmpx_ne_u32_e32 0x7f, v69
	s_cbranch_execz .LBB198_719
; %bb.716:                              ;   in Loop: Header=BB198_9 Depth=1
	v_dual_lshrrev_b32 v52, 3, v69 :: v_dual_bitop2_b32 v108, 7, v68 bitop3:0x40
	s_mov_b32 s19, exec_lo
	v_cmpx_gt_u32_e32 8, v69
; %bb.717:                              ;   in Loop: Header=BB198_9 Depth=1
	s_delay_alu instid0(VALU_DEP_2) | instskip(NEXT) | instid1(VALU_DEP_1)
	v_clz_i32_u32_e32 v52, v108
	v_min_u32_e32 v52, 32, v52
	s_delay_alu instid0(VALU_DEP_1) | instskip(SKIP_1) | instid1(VALU_DEP_2)
	v_subrev_nc_u32_e32 v53, 28, v52
	v_sub_nc_u32_e32 v52, 29, v52
	v_lshlrev_b64_e32 v[80:81], v53, v[108:109]
	s_delay_alu instid0(VALU_DEP_1)
	v_and_b32_e32 v108, 7, v80
; %bb.718:                              ;   in Loop: Header=BB198_9 Depth=1
	s_or_b32 exec_lo, exec_lo, s19
	v_lshlrev_b32_e32 v53, 24, v68
	s_delay_alu instid0(VALU_DEP_2) | instskip(SKIP_1) | instid1(VALU_DEP_3)
	v_lshlrev_b32_e32 v69, 20, v108
	v_lshl_add_u32 v52, v52, 23, 0x3c000000
	v_and_b32_e32 v53, 0x80000000, v53
	s_delay_alu instid0(VALU_DEP_1) | instskip(NEXT) | instid1(VALU_DEP_1)
	v_or3_b32 v108, v69, v53, v52
	v_mov_b64_e32 v[52:53], v[108:109]
.LBB198_719:                            ;   in Loop: Header=BB198_9 Depth=1
	s_or_b32 exec_lo, exec_lo, s18
.LBB198_720:                            ;   in Loop: Header=BB198_9 Depth=1
	s_delay_alu instid0(SALU_CYCLE_1)
	s_or_b32 exec_lo, exec_lo, s17
.LBB198_721:                            ;   in Loop: Header=BB198_9 Depth=1
	s_delay_alu instid0(SALU_CYCLE_1) | instskip(SKIP_2) | instid1(VALU_DEP_1)
	s_or_b32 exec_lo, exec_lo, s16
	v_lshrrev_b16 v69, 8, v68
	s_mov_b32 s16, exec_lo
	v_cmpx_ne_u16_e32 0, v69
	s_cbranch_execz .LBB198_729
; %bb.722:                              ;   in Loop: Header=BB198_9 Depth=1
	v_mov_b64_e32 v[66:67], 0x8000000000000000
	s_mov_b32 s17, exec_lo
	v_cmpx_ne_u16_e32 0x80, v69
	s_cbranch_execz .LBB198_728
; %bb.723:                              ;   in Loop: Header=BB198_9 Depth=1
	v_and_b32_e32 v80, 0xffff, v69
	v_mov_b64_e32 v[66:67], 0x7f80000100000000
	s_mov_b32 s18, exec_lo
	s_delay_alu instid0(VALU_DEP_2) | instskip(NEXT) | instid1(VALU_DEP_1)
	v_and_b32_e32 v69, 0x7f, v80
	v_cmpx_ne_u32_e32 0x7f, v69
	s_cbranch_execz .LBB198_727
; %bb.724:                              ;   in Loop: Header=BB198_9 Depth=1
	v_dual_lshrrev_b32 v66, 3, v69 :: v_dual_bitop2_b32 v108, 7, v80 bitop3:0x40
	s_mov_b32 s19, exec_lo
	v_cmpx_gt_u32_e32 8, v69
; %bb.725:                              ;   in Loop: Header=BB198_9 Depth=1
	s_delay_alu instid0(VALU_DEP_2) | instskip(NEXT) | instid1(VALU_DEP_1)
	v_clz_i32_u32_e32 v66, v108
	v_min_u32_e32 v66, 32, v66
	s_delay_alu instid0(VALU_DEP_1) | instskip(NEXT) | instid1(VALU_DEP_1)
	v_subrev_nc_u32_e32 v67, 28, v66
	v_lshlrev_b64_e32 v[80:81], v67, v[108:109]
	s_delay_alu instid0(VALU_DEP_1)
	v_dual_sub_nc_u32 v66, 29, v66 :: v_dual_bitop2_b32 v108, 7, v80 bitop3:0x40
; %bb.726:                              ;   in Loop: Header=BB198_9 Depth=1
	s_or_b32 exec_lo, exec_lo, s19
	v_lshlrev_b32_e32 v67, 16, v68
	s_delay_alu instid0(VALU_DEP_2) | instskip(NEXT) | instid1(VALU_DEP_3)
	v_lshlrev_b32_e32 v68, 20, v108
	v_lshl_add_u32 v66, v66, 23, 0x3c000000
	s_delay_alu instid0(VALU_DEP_3) | instskip(NEXT) | instid1(VALU_DEP_1)
	v_and_b32_e32 v67, 0x80000000, v67
	v_or3_b32 v67, v68, v67, v66
	v_mov_b32_e32 v66, v109
.LBB198_727:                            ;   in Loop: Header=BB198_9 Depth=1
	s_or_b32 exec_lo, exec_lo, s18
.LBB198_728:                            ;   in Loop: Header=BB198_9 Depth=1
	s_delay_alu instid0(SALU_CYCLE_1)
	s_or_b32 exec_lo, exec_lo, s17
.LBB198_729:                            ;   in Loop: Header=BB198_9 Depth=1
	s_delay_alu instid0(SALU_CYCLE_1)
	s_or_b32 exec_lo, exec_lo, s16
	flat_load_u16 v68, v[10:11] offset:2820
	v_mov_b64_e32 v[82:83], 0
	s_wait_loadcnt_dscnt 0x0
	v_and_b32_e32 v80, 0xffff, v68
	v_and_b32_e32 v68, 0xff, v68
	s_delay_alu instid0(VALU_DEP_1)
	v_cmp_ne_u16_e64 s2, 0, v68
	v_mov_b64_e32 v[68:69], 0
	s_wait_xcnt 0x0
	s_and_saveexec_b32 s16, s2
	s_cbranch_execz .LBB198_737
; %bb.730:                              ;   in Loop: Header=BB198_9 Depth=1
	v_and_b32_e32 v68, 0xff, v80
	s_delay_alu instid0(VALU_DEP_1)
	v_cmp_ne_u16_e64 s2, 0x80, v68
	v_mov_b64_e32 v[68:69], 0x80000000
	s_and_saveexec_b32 s17, s2
	s_cbranch_execz .LBB198_736
; %bb.731:                              ;   in Loop: Header=BB198_9 Depth=1
	v_mov_b64_e32 v[68:69], 0x7f800001
	v_and_b32_e32 v81, 0x7f, v80
	s_mov_b32 s18, exec_lo
	s_delay_alu instid0(VALU_DEP_1)
	v_cmpx_ne_u32_e32 0x7f, v81
	s_cbranch_execz .LBB198_735
; %bb.732:                              ;   in Loop: Header=BB198_9 Depth=1
	v_dual_lshrrev_b32 v68, 3, v81 :: v_dual_bitop2_b32 v108, 7, v80 bitop3:0x40
	s_mov_b32 s19, exec_lo
	v_cmpx_gt_u32_e32 8, v81
; %bb.733:                              ;   in Loop: Header=BB198_9 Depth=1
	s_delay_alu instid0(VALU_DEP_2) | instskip(NEXT) | instid1(VALU_DEP_1)
	v_clz_i32_u32_e32 v68, v108
	v_min_u32_e32 v68, 32, v68
	s_delay_alu instid0(VALU_DEP_1) | instskip(NEXT) | instid1(VALU_DEP_1)
	v_subrev_nc_u32_e32 v69, 28, v68
	v_lshlrev_b64_e32 v[86:87], v69, v[108:109]
	s_delay_alu instid0(VALU_DEP_1)
	v_dual_sub_nc_u32 v68, 29, v68 :: v_dual_bitop2_b32 v108, 7, v86 bitop3:0x40
; %bb.734:                              ;   in Loop: Header=BB198_9 Depth=1
	s_or_b32 exec_lo, exec_lo, s19
	v_lshlrev_b32_e32 v69, 24, v80
	s_delay_alu instid0(VALU_DEP_2) | instskip(NEXT) | instid1(VALU_DEP_3)
	v_lshlrev_b32_e32 v81, 20, v108
	v_lshl_add_u32 v68, v68, 23, 0x3c000000
	s_delay_alu instid0(VALU_DEP_3) | instskip(NEXT) | instid1(VALU_DEP_1)
	v_and_b32_e32 v69, 0x80000000, v69
	v_or3_b32 v108, v81, v69, v68
	s_delay_alu instid0(VALU_DEP_1)
	v_mov_b64_e32 v[68:69], v[108:109]
.LBB198_735:                            ;   in Loop: Header=BB198_9 Depth=1
	s_or_b32 exec_lo, exec_lo, s18
.LBB198_736:                            ;   in Loop: Header=BB198_9 Depth=1
	s_delay_alu instid0(SALU_CYCLE_1)
	s_or_b32 exec_lo, exec_lo, s17
.LBB198_737:                            ;   in Loop: Header=BB198_9 Depth=1
	s_delay_alu instid0(SALU_CYCLE_1) | instskip(SKIP_2) | instid1(VALU_DEP_1)
	s_or_b32 exec_lo, exec_lo, s16
	v_lshrrev_b16 v81, 8, v80
	s_mov_b32 s16, exec_lo
	v_cmpx_ne_u16_e32 0, v81
	s_cbranch_execz .LBB198_745
; %bb.738:                              ;   in Loop: Header=BB198_9 Depth=1
	v_mov_b64_e32 v[82:83], 0x8000000000000000
	s_mov_b32 s17, exec_lo
	v_cmpx_ne_u16_e32 0x80, v81
	s_cbranch_execz .LBB198_744
; %bb.739:                              ;   in Loop: Header=BB198_9 Depth=1
	v_and_b32_e32 v81, 0xffff, v81
	v_mov_b64_e32 v[82:83], 0x7f80000100000000
	s_mov_b32 s18, exec_lo
	s_delay_alu instid0(VALU_DEP_2) | instskip(NEXT) | instid1(VALU_DEP_1)
	v_and_b32_e32 v86, 0x7f, v81
	v_cmpx_ne_u32_e32 0x7f, v86
	s_cbranch_execz .LBB198_743
; %bb.740:                              ;   in Loop: Header=BB198_9 Depth=1
	v_dual_lshrrev_b32 v81, 3, v86 :: v_dual_bitop2_b32 v108, 7, v81 bitop3:0x40
	s_mov_b32 s19, exec_lo
	v_cmpx_gt_u32_e32 8, v86
; %bb.741:                              ;   in Loop: Header=BB198_9 Depth=1
	s_delay_alu instid0(VALU_DEP_2) | instskip(NEXT) | instid1(VALU_DEP_1)
	v_clz_i32_u32_e32 v81, v108
	v_min_u32_e32 v81, 32, v81
	s_delay_alu instid0(VALU_DEP_1) | instskip(NEXT) | instid1(VALU_DEP_1)
	v_subrev_nc_u32_e32 v82, 28, v81
	v_lshlrev_b64_e32 v[82:83], v82, v[108:109]
	s_delay_alu instid0(VALU_DEP_1)
	v_dual_sub_nc_u32 v81, 29, v81 :: v_dual_bitop2_b32 v108, 7, v82 bitop3:0x40
; %bb.742:                              ;   in Loop: Header=BB198_9 Depth=1
	s_or_b32 exec_lo, exec_lo, s19
	v_lshlrev_b32_e32 v80, 16, v80
	s_delay_alu instid0(VALU_DEP_2) | instskip(NEXT) | instid1(VALU_DEP_3)
	v_lshlrev_b32_e32 v82, 20, v108
	v_lshl_add_u32 v81, v81, 23, 0x3c000000
	s_delay_alu instid0(VALU_DEP_3) | instskip(NEXT) | instid1(VALU_DEP_1)
	v_and_b32_e32 v80, 0x80000000, v80
	v_or3_b32 v83, v82, v80, v81
	v_mov_b32_e32 v82, v109
.LBB198_743:                            ;   in Loop: Header=BB198_9 Depth=1
	s_or_b32 exec_lo, exec_lo, s18
.LBB198_744:                            ;   in Loop: Header=BB198_9 Depth=1
	s_delay_alu instid0(SALU_CYCLE_1)
	s_or_b32 exec_lo, exec_lo, s17
.LBB198_745:                            ;   in Loop: Header=BB198_9 Depth=1
	s_delay_alu instid0(SALU_CYCLE_1)
	s_or_b32 exec_lo, exec_lo, s16
	flat_load_u16 v80, v[10:11] offset:2824
	v_mov_b64_e32 v[86:87], 0
	s_wait_loadcnt_dscnt 0x0
	v_and_b32_e32 v102, 0xffff, v80
	v_and_b32_e32 v80, 0xff, v80
	s_delay_alu instid0(VALU_DEP_1)
	v_cmp_ne_u16_e64 s2, 0, v80
	v_mov_b64_e32 v[80:81], 0
	s_wait_xcnt 0x0
	s_and_saveexec_b32 s16, s2
	s_cbranch_execz .LBB198_753
; %bb.746:                              ;   in Loop: Header=BB198_9 Depth=1
	v_and_b32_e32 v80, 0xff, v102
	s_delay_alu instid0(VALU_DEP_1)
	v_cmp_ne_u16_e64 s2, 0x80, v80
	v_mov_b64_e32 v[80:81], 0x80000000
	s_and_saveexec_b32 s17, s2
	s_cbranch_execz .LBB198_752
; %bb.747:                              ;   in Loop: Header=BB198_9 Depth=1
	v_mov_b64_e32 v[80:81], 0x7f800001
	v_and_b32_e32 v96, 0x7f, v102
	s_mov_b32 s18, exec_lo
	s_delay_alu instid0(VALU_DEP_1)
	v_cmpx_ne_u32_e32 0x7f, v96
	s_cbranch_execz .LBB198_751
; %bb.748:                              ;   in Loop: Header=BB198_9 Depth=1
	v_dual_lshrrev_b32 v80, 3, v96 :: v_dual_bitop2_b32 v108, 7, v102 bitop3:0x40
	s_mov_b32 s19, exec_lo
	v_cmpx_gt_u32_e32 8, v96
; %bb.749:                              ;   in Loop: Header=BB198_9 Depth=1
	s_delay_alu instid0(VALU_DEP_2) | instskip(NEXT) | instid1(VALU_DEP_1)
	v_clz_i32_u32_e32 v80, v108
	v_min_u32_e32 v80, 32, v80
	s_delay_alu instid0(VALU_DEP_1) | instskip(SKIP_1) | instid1(VALU_DEP_2)
	v_subrev_nc_u32_e32 v81, 28, v80
	v_sub_nc_u32_e32 v80, 29, v80
	v_lshlrev_b64_e32 v[96:97], v81, v[108:109]
	s_delay_alu instid0(VALU_DEP_1)
	v_and_b32_e32 v108, 7, v96
; %bb.750:                              ;   in Loop: Header=BB198_9 Depth=1
	s_or_b32 exec_lo, exec_lo, s19
	s_delay_alu instid0(VALU_DEP_1) | instskip(SKIP_1) | instid1(VALU_DEP_2)
	v_dual_lshlrev_b32 v81, 24, v102 :: v_dual_lshlrev_b32 v96, 20, v108
	v_lshl_add_u32 v80, v80, 23, 0x3c000000
	v_and_b32_e32 v81, 0x80000000, v81
	s_delay_alu instid0(VALU_DEP_1) | instskip(NEXT) | instid1(VALU_DEP_1)
	v_or3_b32 v108, v96, v81, v80
	v_mov_b64_e32 v[80:81], v[108:109]
.LBB198_751:                            ;   in Loop: Header=BB198_9 Depth=1
	s_or_b32 exec_lo, exec_lo, s18
.LBB198_752:                            ;   in Loop: Header=BB198_9 Depth=1
	s_delay_alu instid0(SALU_CYCLE_1)
	s_or_b32 exec_lo, exec_lo, s17
.LBB198_753:                            ;   in Loop: Header=BB198_9 Depth=1
	s_delay_alu instid0(SALU_CYCLE_1) | instskip(SKIP_2) | instid1(VALU_DEP_1)
	s_or_b32 exec_lo, exec_lo, s16
	v_lshrrev_b16 v96, 8, v102
	s_mov_b32 s16, exec_lo
	v_cmpx_ne_u16_e32 0, v96
	s_cbranch_execz .LBB198_761
; %bb.754:                              ;   in Loop: Header=BB198_9 Depth=1
	v_mov_b64_e32 v[86:87], 0x8000000000000000
	s_mov_b32 s17, exec_lo
	v_cmpx_ne_u16_e32 0x80, v96
	s_cbranch_execz .LBB198_760
; %bb.755:                              ;   in Loop: Header=BB198_9 Depth=1
	v_and_b32_e32 v97, 0xffff, v96
	v_mov_b64_e32 v[86:87], 0x7f80000100000000
	s_mov_b32 s18, exec_lo
	s_delay_alu instid0(VALU_DEP_2) | instskip(NEXT) | instid1(VALU_DEP_1)
	v_and_b32_e32 v96, 0x7f, v97
	v_cmpx_ne_u32_e32 0x7f, v96
	s_cbranch_execz .LBB198_759
; %bb.756:                              ;   in Loop: Header=BB198_9 Depth=1
	v_dual_lshrrev_b32 v86, 3, v96 :: v_dual_bitop2_b32 v108, 7, v97 bitop3:0x40
	s_mov_b32 s19, exec_lo
	v_cmpx_gt_u32_e32 8, v96
; %bb.757:                              ;   in Loop: Header=BB198_9 Depth=1
	s_delay_alu instid0(VALU_DEP_2) | instskip(NEXT) | instid1(VALU_DEP_1)
	v_clz_i32_u32_e32 v86, v108
	v_min_u32_e32 v86, 32, v86
	s_delay_alu instid0(VALU_DEP_1) | instskip(NEXT) | instid1(VALU_DEP_1)
	v_subrev_nc_u32_e32 v87, 28, v86
	v_lshlrev_b64_e32 v[96:97], v87, v[108:109]
	s_delay_alu instid0(VALU_DEP_1)
	v_dual_sub_nc_u32 v86, 29, v86 :: v_dual_bitop2_b32 v108, 7, v96 bitop3:0x40
; %bb.758:                              ;   in Loop: Header=BB198_9 Depth=1
	s_or_b32 exec_lo, exec_lo, s19
	s_delay_alu instid0(VALU_DEP_1) | instskip(NEXT) | instid1(VALU_DEP_2)
	v_dual_lshlrev_b32 v87, 16, v102 :: v_dual_lshlrev_b32 v96, 20, v108
	v_lshl_add_u32 v86, v86, 23, 0x3c000000
	s_delay_alu instid0(VALU_DEP_2) | instskip(NEXT) | instid1(VALU_DEP_1)
	v_and_b32_e32 v87, 0x80000000, v87
	v_or3_b32 v87, v96, v87, v86
	v_mov_b32_e32 v86, v109
.LBB198_759:                            ;   in Loop: Header=BB198_9 Depth=1
	s_or_b32 exec_lo, exec_lo, s18
.LBB198_760:                            ;   in Loop: Header=BB198_9 Depth=1
	s_delay_alu instid0(SALU_CYCLE_1)
	s_or_b32 exec_lo, exec_lo, s17
.LBB198_761:                            ;   in Loop: Header=BB198_9 Depth=1
	s_delay_alu instid0(SALU_CYCLE_1)
	s_or_b32 exec_lo, exec_lo, s16
	flat_load_u16 v10, v[10:11] offset:2828
	v_mov_b64_e32 v[102:103], 0
	s_wait_loadcnt_dscnt 0x0
	v_and_b32_e32 v96, 0xffff, v10
	s_wait_xcnt 0x0
	v_and_b32_e32 v10, 0xff, v10
	s_delay_alu instid0(VALU_DEP_1)
	v_cmp_ne_u16_e64 s2, 0, v10
	v_mov_b64_e32 v[10:11], 0
	s_and_saveexec_b32 s16, s2
	s_cbranch_execz .LBB198_769
; %bb.762:                              ;   in Loop: Header=BB198_9 Depth=1
	v_mov_b64_e32 v[102:103], 0x80000000
	v_and_b32_e32 v97, 0xff, v96
	s_mov_b32 s17, exec_lo
	s_delay_alu instid0(VALU_DEP_1)
	v_cmpx_ne_u16_e32 0x80, v97
	s_cbranch_execz .LBB198_768
; %bb.763:                              ;   in Loop: Header=BB198_9 Depth=1
	v_mov_b64_e32 v[102:103], 0x7f800001
	v_and_b32_e32 v114, 0x7f, v96
	s_mov_b32 s18, exec_lo
	s_delay_alu instid0(VALU_DEP_1)
	v_cmpx_ne_u32_e32 0x7f, v114
	s_cbranch_execz .LBB198_767
; %bb.764:                              ;   in Loop: Header=BB198_9 Depth=1
	v_dual_lshrrev_b32 v97, 3, v114 :: v_dual_bitop2_b32 v108, 7, v96 bitop3:0x40
	s_mov_b32 s19, exec_lo
	v_cmpx_gt_u32_e32 8, v114
; %bb.765:                              ;   in Loop: Header=BB198_9 Depth=1
	s_delay_alu instid0(VALU_DEP_2) | instskip(NEXT) | instid1(VALU_DEP_1)
	v_clz_i32_u32_e32 v97, v108
	v_min_u32_e32 v97, 32, v97
	s_delay_alu instid0(VALU_DEP_1) | instskip(NEXT) | instid1(VALU_DEP_1)
	v_subrev_nc_u32_e32 v102, 28, v97
	v_lshlrev_b64_e32 v[102:103], v102, v[108:109]
	s_delay_alu instid0(VALU_DEP_1)
	v_dual_sub_nc_u32 v97, 29, v97 :: v_dual_bitop2_b32 v108, 7, v102 bitop3:0x40
; %bb.766:                              ;   in Loop: Header=BB198_9 Depth=1
	s_or_b32 exec_lo, exec_lo, s19
	v_lshlrev_b32_e32 v102, 24, v96
	s_delay_alu instid0(VALU_DEP_2) | instskip(NEXT) | instid1(VALU_DEP_3)
	v_lshlrev_b32_e32 v103, 20, v108
	v_lshl_add_u32 v97, v97, 23, 0x3c000000
	s_delay_alu instid0(VALU_DEP_3) | instskip(NEXT) | instid1(VALU_DEP_1)
	v_and_b32_e32 v102, 0x80000000, v102
	v_or3_b32 v108, v103, v102, v97
	s_delay_alu instid0(VALU_DEP_1)
	v_mov_b64_e32 v[102:103], v[108:109]
.LBB198_767:                            ;   in Loop: Header=BB198_9 Depth=1
	s_or_b32 exec_lo, exec_lo, s18
.LBB198_768:                            ;   in Loop: Header=BB198_9 Depth=1
	s_delay_alu instid0(SALU_CYCLE_1)
	s_or_b32 exec_lo, exec_lo, s17
.LBB198_769:                            ;   in Loop: Header=BB198_9 Depth=1
	s_delay_alu instid0(SALU_CYCLE_1) | instskip(SKIP_2) | instid1(VALU_DEP_1)
	s_or_b32 exec_lo, exec_lo, s16
	v_lshrrev_b16 v97, 8, v96
	s_mov_b32 s16, exec_lo
	v_cmpx_ne_u16_e32 0, v97
	s_cbranch_execz .LBB198_777
; %bb.770:                              ;   in Loop: Header=BB198_9 Depth=1
	v_mov_b64_e32 v[10:11], 0x8000000000000000
	s_mov_b32 s17, exec_lo
	v_cmpx_ne_u16_e32 0x80, v97
	s_cbranch_execz .LBB198_776
; %bb.771:                              ;   in Loop: Header=BB198_9 Depth=1
	v_and_b32_e32 v114, 0xffff, v97
	v_mov_b64_e32 v[10:11], 0x7f80000100000000
	s_mov_b32 s18, exec_lo
	s_delay_alu instid0(VALU_DEP_2) | instskip(NEXT) | instid1(VALU_DEP_1)
	v_and_b32_e32 v97, 0x7f, v114
	v_cmpx_ne_u32_e32 0x7f, v97
	s_cbranch_execz .LBB198_775
; %bb.772:                              ;   in Loop: Header=BB198_9 Depth=1
	v_dual_lshrrev_b32 v10, 3, v97 :: v_dual_bitop2_b32 v108, 7, v114 bitop3:0x40
	s_mov_b32 s19, exec_lo
	v_cmpx_gt_u32_e32 8, v97
; %bb.773:                              ;   in Loop: Header=BB198_9 Depth=1
	s_delay_alu instid0(VALU_DEP_2) | instskip(NEXT) | instid1(VALU_DEP_1)
	v_clz_i32_u32_e32 v10, v108
	v_min_u32_e32 v10, 32, v10
	s_delay_alu instid0(VALU_DEP_1) | instskip(SKIP_1) | instid1(VALU_DEP_2)
	v_subrev_nc_u32_e32 v11, 28, v10
	v_sub_nc_u32_e32 v10, 29, v10
	v_lshlrev_b64_e32 v[114:115], v11, v[108:109]
	s_delay_alu instid0(VALU_DEP_1)
	v_and_b32_e32 v108, 7, v114
; %bb.774:                              ;   in Loop: Header=BB198_9 Depth=1
	s_or_b32 exec_lo, exec_lo, s19
	v_lshlrev_b32_e32 v11, 16, v96
	s_delay_alu instid0(VALU_DEP_2) | instskip(SKIP_1) | instid1(VALU_DEP_3)
	v_lshlrev_b32_e32 v96, 20, v108
	v_lshl_add_u32 v10, v10, 23, 0x3c000000
	v_and_b32_e32 v11, 0x80000000, v11
	s_delay_alu instid0(VALU_DEP_1)
	v_or3_b32 v11, v96, v11, v10
	v_mov_b32_e32 v10, v109
.LBB198_775:                            ;   in Loop: Header=BB198_9 Depth=1
	s_or_b32 exec_lo, exec_lo, s18
.LBB198_776:                            ;   in Loop: Header=BB198_9 Depth=1
	s_delay_alu instid0(SALU_CYCLE_1)
	s_or_b32 exec_lo, exec_lo, s17
.LBB198_777:                            ;   in Loop: Header=BB198_9 Depth=1
	s_delay_alu instid0(SALU_CYCLE_1)
	s_or_b32 exec_lo, exec_lo, s16
	scratch_load_b64 v[96:97], off, s32 offset:484 th:TH_LOAD_LU ; 8-byte Folded Reload
	v_or_b32_e32 v85, v99, v85
	v_or_b32_e32 v84, v98, v84
	;; [unrolled: 1-line block ×14, first 2 shown]
	v_pk_mul_f32 v[54:55], v[122:123], v[54:55] op_sel_hi:[0,1]
	v_or_b32_e32 v51, v45, v47
	v_or_b32_e32 v50, v44, v46
	v_pk_mul_f32 v[70:71], v[122:123], v[70:71] op_sel_hi:[0,1]
	v_or_b32_e32 v39, v57, v59
	v_or_b32_e32 v38, v56, v58
	v_or_b32_e32 v13, v13, v35
	v_or_b32_e32 v12, v12, v34
	v_or_b32_e32 v35, v61, v63
	v_or_b32_e32 v34, v60, v62
	s_wait_loadcnt 0x0
	v_or_b32_e32 v99, v113, v97
	v_or_b32_e32 v98, v112, v96
	scratch_load_b64 v[96:97], off, s32 offset:476 th:TH_LOAD_LU ; 8-byte Folded Reload
	s_wait_loadcnt 0x0
	v_or_b32_e32 v101, v101, v97
	v_or_b32_e32 v100, v100, v96
	s_clause 0x1
	scratch_load_b64 v[96:97], off, s32 offset:460 th:TH_LOAD_LU
	scratch_load_b64 v[112:113], off, s32 offset:468 th:TH_LOAD_LU
	s_wait_loadcnt 0x0
	v_or_b32_e32 v97, v97, v113
	v_or_b32_e32 v96, v96, v112
	s_clause 0x1
	scratch_load_b64 v[112:113], off, s32 offset:444 th:TH_LOAD_LU
	scratch_load_b64 v[114:115], off, s32 offset:452 th:TH_LOAD_LU
	v_pk_mul_f32 v[96:97], v[122:123], v[96:97] op_sel_hi:[0,1]
	s_wait_loadcnt 0x0
	v_or_b32_e32 v113, v113, v115
	v_or_b32_e32 v112, v112, v114
	s_clause 0x1
	scratch_load_b64 v[114:115], off, s32 offset:428 th:TH_LOAD_LU
	scratch_load_b64 v[116:117], off, s32 offset:436 th:TH_LOAD_LU
	v_pk_mul_f32 v[112:113], v[122:123], v[112:113] op_sel_hi:[0,1]
	;; [unrolled: 7-line block ×5, first 2 shown]
	v_or_b32_e32 v1, v1, v7
	v_or_b32_e32 v0, v0, v6
	;; [unrolled: 1-line block ×6, first 2 shown]
	s_wait_loadcnt 0x0
	v_or_b32_e32 v43, v115, v43
	v_or_b32_e32 v42, v114, v42
	s_clause 0x1
	scratch_load_b64 v[114:115], off, s32 offset:364 th:TH_LOAD_LU
	scratch_load_b64 v[44:45], off, s32 offset:372 th:TH_LOAD_LU
	v_pk_mul_f32 v[42:43], v[122:123], v[42:43] op_sel_hi:[0,1]
	s_wait_loadcnt 0x0
	v_or_b32_e32 v45, v115, v45
	v_or_b32_e32 v44, v114, v44
	s_clause 0x1
	scratch_load_b64 v[114:115], off, s32 offset:348 th:TH_LOAD_LU
	scratch_load_b64 v[46:47], off, s32 offset:356 th:TH_LOAD_LU
	v_pk_mul_f32 v[44:45], v[122:123], v[44:45] op_sel_hi:[0,1]
	;; [unrolled: 7-line block ×5, first 2 shown]
	v_or_b32_e32 v19, v19, v27
	v_or_b32_e32 v18, v18, v26
	;; [unrolled: 1-line block ×4, first 2 shown]
	s_wait_loadcnt 0x0
	v_or_b32_e32 v61, v115, v61
	v_or_b32_e32 v60, v114, v60
	s_clause 0x1
	scratch_load_b64 v[114:115], off, s32 offset:284 th:TH_LOAD_LU
	scratch_load_b64 v[62:63], off, s32 offset:292 th:TH_LOAD_LU
	v_pk_mul_f32 v[60:61], v[122:123], v[60:61] op_sel_hi:[0,1]
	v_or_b32_e32 v3, v3, v31
	v_or_b32_e32 v2, v2, v30
	;; [unrolled: 1-line block ×4, first 2 shown]
	s_wait_loadcnt 0x0
	v_or_b32_e32 v63, v115, v63
	v_or_b32_e32 v62, v114, v62
	s_clause 0x1
	scratch_load_b64 v[114:115], off, s32 offset:268 th:TH_LOAD_LU
	scratch_load_b64 v[72:73], off, s32 offset:276 th:TH_LOAD_LU
	v_pk_mul_f32 v[62:63], v[122:123], v[62:63] op_sel_hi:[0,1]
	s_wait_loadcnt 0x0
	v_or_b32_e32 v73, v115, v73
	v_or_b32_e32 v72, v114, v72
	s_clause 0x1
	scratch_load_b64 v[114:115], off, s32 offset:252 th:TH_LOAD_LU
	scratch_load_b64 v[74:75], off, s32 offset:260 th:TH_LOAD_LU
	v_pk_mul_f32 v[72:73], v[122:123], v[72:73] op_sel_hi:[0,1]
	v_or_b32_e32 v25, v25, v29
	v_or_b32_e32 v24, v24, v28
	;; [unrolled: 1-line block ×4, first 2 shown]
	s_wait_loadcnt 0x0
	v_or_b32_e32 v75, v115, v75
	v_or_b32_e32 v74, v114, v74
	s_clause 0x1
	scratch_load_b64 v[114:115], off, s32 offset:236 th:TH_LOAD_LU
	scratch_load_b64 v[76:77], off, s32 offset:244 th:TH_LOAD_LU
	v_pk_mul_f32 v[74:75], v[122:123], v[74:75] op_sel_hi:[0,1]
	s_wait_loadcnt 0x0
	v_or_b32_e32 v77, v115, v77
	v_or_b32_e32 v76, v114, v76
	s_clause 0x1
	scratch_load_b64 v[114:115], off, s32 offset:204 th:TH_LOAD_LU
	scratch_load_b64 v[78:79], off, s32 offset:212 th:TH_LOAD_LU
	v_pk_mul_f32 v[76:77], v[122:123], v[76:77] op_sel_hi:[0,1]
	s_wait_loadcnt 0x0
	v_or_b32_e32 v115, v115, v79
	v_or_b32_e32 v114, v114, v78
	s_clause 0x2
	scratch_load_b64 v[78:79], off, s32 offset:220 th:TH_LOAD_LU
	scratch_load_b64 v[88:89], off, s32 offset:228 th:TH_LOAD_LU
	scratch_load_b128 v[90:93], off, s32 offset:524
	v_pk_mul_f32 v[114:115], v[122:123], v[114:115] op_sel_hi:[0,1]
	s_wait_loadcnt 0x1
	v_or_b32_e32 v79, v79, v89
	v_or_b32_e32 v78, v78, v88
	scratch_load_b64 v[88:89], off, s32 offset:196 th:TH_LOAD_LU ; 8-byte Folded Reload
	s_wait_loadcnt 0x1
	v_dual_mul_f32 v114, v92, v114 :: v_dual_mul_f32 v115, v93, v115
	v_pk_mul_f32 v[78:79], v[122:123], v[78:79] op_sel_hi:[0,1]
	s_wait_loadcnt 0x0
	v_or_b32_e32 v89, v121, v89
	v_or_b32_e32 v88, v120, v88
	s_delay_alu instid0(VALU_DEP_1) | instskip(NEXT) | instid1(VALU_DEP_1)
	v_pk_mul_f32 v[88:89], v[122:123], v[88:89] op_sel_hi:[0,1]
	v_dual_fmac_f32 v114, v90, v88 :: v_dual_fmac_f32 v115, v91, v89
	scratch_load_b128 v[88:91], off, s32 offset:540 ; 16-byte Folded Reload
	s_wait_loadcnt 0x0
	v_dual_fmac_f32 v114, v88, v78 :: v_dual_fmac_f32 v115, v89, v79
	s_delay_alu instid0(VALU_DEP_1) | instskip(SKIP_3) | instid1(VALU_DEP_1)
	v_dual_fmac_f32 v114, v90, v76 :: v_dual_fmac_f32 v115, v91, v77
	scratch_load_b128 v[76:79], off, s32 offset:556 ; 16-byte Folded Reload
	s_wait_loadcnt 0x0
	v_dual_fmac_f32 v114, v76, v74 :: v_dual_fmac_f32 v115, v77, v75
	v_dual_fmac_f32 v114, v78, v72 :: v_dual_fmac_f32 v115, v79, v73
	scratch_load_b128 v[72:75], off, s32 offset:572 ; 16-byte Folded Reload
	s_wait_loadcnt 0x0
	v_dual_fmac_f32 v114, v72, v62 :: v_dual_fmac_f32 v115, v73, v63
	s_delay_alu instid0(VALU_DEP_1)
	v_dual_fmac_f32 v114, v74, v60 :: v_dual_fmac_f32 v115, v75, v61
	scratch_load_b128 v[60:63], off, s32 offset:588 ; 16-byte Folded Reload
	s_wait_loadcnt 0x0
	v_dual_fmac_f32 v114, v60, v58 :: v_dual_fmac_f32 v115, v61, v59
	v_or_b32_e32 v15, v111, v15
	v_or_b32_e32 v14, v110, v14
	s_delay_alu instid0(VALU_DEP_3)
	v_dual_fmac_f32 v114, v62, v56 :: v_dual_fmac_f32 v115, v63, v57
	scratch_load_b128 v[56:59], off, s32 offset:604 ; 16-byte Folded Reload
	v_or_b32_e32 v5, v107, v5
	s_wait_loadcnt 0x0
	v_dual_fmac_f32 v115, v57, v47 :: v_dual_bitop2_b32 v4, v106, v4 bitop3:0x54
	v_dual_fmac_f32 v114, v56, v46 :: v_dual_bitop2_b32 v23, v105, v23 bitop3:0x54
	s_delay_alu instid0(VALU_DEP_2) | instskip(NEXT) | instid1(VALU_DEP_2)
	v_dual_fmac_f32 v115, v59, v45 :: v_dual_bitop2_b32 v22, v104, v22 bitop3:0x54
	v_fmac_f32_e32 v114, v58, v44
	scratch_load_b128 v[44:47], off, s32 offset:620 ; 16-byte Folded Reload
	v_or_b32_e32 v9, v125, v9
	s_wait_loadcnt 0x0
	v_dual_fmac_f32 v115, v45, v43 :: v_dual_bitop2_b32 v8, v124, v8 bitop3:0x54
	s_delay_alu instid0(VALU_DEP_1) | instskip(NEXT) | instid1(VALU_DEP_1)
	v_dual_fmac_f32 v114, v44, v42 :: v_dual_fmac_f32 v115, v47, v41
	v_fmac_f32_e32 v114, v46, v40
	scratch_load_b128 v[40:43], off, s32 offset:636 ; 16-byte Folded Reload
	v_pk_mul_f32 v[0:1], v[122:123], v[0:1] op_sel_hi:[0,1]
	s_wait_loadcnt 0x0
	v_dual_fmac_f32 v114, v40, v118 :: v_dual_fmac_f32 v115, v41, v119
	v_pk_mul_f32 v[6:7], v[122:123], v[6:7] op_sel_hi:[0,1]
	s_delay_alu instid0(VALU_DEP_2)
	v_dual_fmac_f32 v114, v42, v116 :: v_dual_fmac_f32 v115, v43, v117
	scratch_load_b128 v[116:119], off, s32 offset:652 ; 16-byte Folded Reload
	v_pk_mul_f32 v[20:21], v[122:123], v[20:21] op_sel_hi:[0,1]
	s_wait_loadcnt 0x0
	v_dual_fmac_f32 v114, v116, v112 :: v_dual_fmac_f32 v115, v117, v113
	v_pk_mul_f32 v[26:27], v[122:123], v[26:27] op_sel_hi:[0,1]
	s_delay_alu instid0(VALU_DEP_2) | instskip(SKIP_4) | instid1(VALU_DEP_2)
	v_dual_fmac_f32 v114, v118, v96 :: v_dual_fmac_f32 v115, v119, v97
	scratch_load_b128 v[116:119], off, s32 offset:668 ; 16-byte Folded Reload
	v_pk_mul_f32 v[96:97], v[122:123], v[100:101] op_sel_hi:[0,1]
	v_pk_mul_f32 v[28:29], v[122:123], v[28:29] op_sel_hi:[0,1]
	s_wait_loadcnt 0x0
	v_dual_fmac_f32 v114, v116, v96 :: v_dual_fmac_f32 v115, v117, v97
	v_pk_mul_f32 v[96:97], v[122:123], v[98:99] op_sel_hi:[0,1]
	v_pk_mul_f32 v[30:31], v[122:123], v[30:31] op_sel_hi:[0,1]
	s_delay_alu instid0(VALU_DEP_2)
	v_dual_fmac_f32 v114, v118, v96 :: v_dual_fmac_f32 v115, v119, v97
	scratch_load_b128 v[96:99], off, s32 offset:684 ; 16-byte Folded Reload
	v_pk_mul_f32 v[34:35], v[122:123], v[34:35] op_sel_hi:[0,1]
	s_wait_loadcnt 0x0
	v_dual_fmac_f32 v114, v96, v70 :: v_dual_fmac_f32 v115, v97, v71
	v_pk_mul_f32 v[38:39], v[122:123], v[38:39] op_sel_hi:[0,1]
	s_delay_alu instid0(VALU_DEP_2) | instskip(SKIP_3) | instid1(VALU_DEP_1)
	v_dual_fmac_f32 v114, v98, v54 :: v_dual_fmac_f32 v115, v99, v55
	scratch_load_b128 v[96:99], off, s32 offset:700 ; 16-byte Folded Reload
	v_pk_mul_f32 v[50:51], v[122:123], v[50:51] op_sel_hi:[0,1]
	s_wait_loadcnt 0x0
	v_dual_fmac_f32 v114, v96, v50 :: v_dual_fmac_f32 v115, v97, v51
	s_delay_alu instid0(VALU_DEP_1) | instskip(SKIP_3) | instid1(VALU_DEP_1)
	v_dual_fmac_f32 v114, v98, v38 :: v_dual_fmac_f32 v115, v99, v39
	scratch_load_b128 v[96:99], off, s32 offset:716 ; 16-byte Folded Reload
	s_wait_loadcnt 0x0
	v_dual_fmac_f32 v114, v96, v34 :: v_dual_fmac_f32 v115, v97, v35
	v_dual_fmac_f32 v114, v98, v30 :: v_dual_fmac_f32 v115, v99, v31
	scratch_load_b128 v[96:99], off, s32 offset:732 ; 16-byte Folded Reload
	s_wait_loadcnt 0x0
	v_dual_fmac_f32 v114, v96, v28 :: v_dual_fmac_f32 v115, v97, v29
	s_delay_alu instid0(VALU_DEP_1) | instskip(SKIP_3) | instid1(VALU_DEP_1)
	v_dual_fmac_f32 v114, v98, v26 :: v_dual_fmac_f32 v115, v99, v27
	scratch_load_b128 v[26:29], off, s32 offset:748 ; 16-byte Folded Reload
	s_wait_loadcnt 0x0
	v_dual_fmac_f32 v114, v26, v20 :: v_dual_fmac_f32 v115, v27, v21
	v_dual_fmac_f32 v114, v28, v6 :: v_dual_fmac_f32 v115, v29, v7
	scratch_load_b128 v[26:29], off, s32 offset:764 ; 16-byte Folded Reload
	s_wait_loadcnt 0x0
	v_dual_fmac_f32 v114, v26, v0 :: v_dual_fmac_f32 v115, v27, v1
	v_pk_mul_f32 v[0:1], v[122:123], v[8:9] op_sel_hi:[0,1]
	scratch_load_b128 v[6:9], off, s32 offset:780 ; 16-byte Folded Reload
	v_dual_fmac_f32 v114, v28, v0 :: v_dual_fmac_f32 v115, v29, v1
	v_pk_mul_f32 v[0:1], v[122:123], v[22:23] op_sel_hi:[0,1]
	s_wait_loadcnt 0x0
	s_delay_alu instid0(VALU_DEP_1)
	v_dual_fmac_f32 v114, v6, v0 :: v_dual_fmac_f32 v115, v7, v1
	v_pk_mul_f32 v[0:1], v[122:123], v[4:5] op_sel_hi:[0,1]
	scratch_load_b128 v[4:7], off, s32 offset:796 ; 16-byte Folded Reload
	v_dual_fmac_f32 v114, v8, v0 :: v_dual_fmac_f32 v115, v9, v1
	v_pk_mul_f32 v[0:1], v[122:123], v[14:15] op_sel_hi:[0,1]
	s_wait_loadcnt 0x0
	s_delay_alu instid0(VALU_DEP_1) | instskip(SKIP_1) | instid1(VALU_DEP_1)
	v_dual_fmac_f32 v114, v4, v0 :: v_dual_fmac_f32 v115, v5, v1
	v_pk_mul_f32 v[0:1], v[122:123], v[18:19] op_sel_hi:[0,1]
	v_dual_fmac_f32 v114, v6, v0 :: v_dual_fmac_f32 v115, v7, v1
	v_pk_mul_f32 v[0:1], v[122:123], v[2:3] op_sel_hi:[0,1]
	s_clause 0x1
	scratch_load_b128 v[2:5], off, s32 offset:812
	scratch_load_b128 v[6:9], off, s32 offset:860
	s_wait_loadcnt 0x1
	v_dual_fmac_f32 v114, v2, v0 :: v_dual_fmac_f32 v115, v3, v1
	v_pk_mul_f32 v[0:1], v[122:123], v[12:13] op_sel_hi:[0,1]
	s_delay_alu instid0(VALU_DEP_1) | instskip(SKIP_3) | instid1(VALU_DEP_1)
	v_dual_fmac_f32 v114, v4, v0 :: v_dual_fmac_f32 v115, v5, v1
	scratch_load_b128 v[2:5], off, s32 offset:828 ; 16-byte Folded Reload
	v_pk_mul_f32 v[0:1], v[122:123], v[24:25] op_sel_hi:[0,1]
	s_wait_loadcnt 0x0
	v_dual_fmac_f32 v114, v2, v0 :: v_dual_fmac_f32 v115, v3, v1
	v_pk_mul_f32 v[0:1], v[122:123], v[32:33] op_sel_hi:[0,1]
	s_delay_alu instid0(VALU_DEP_1) | instskip(SKIP_3) | instid1(VALU_DEP_1)
	v_dual_fmac_f32 v114, v4, v0 :: v_dual_fmac_f32 v115, v5, v1
	scratch_load_b128 v[2:5], off, s32 offset:844 ; 16-byte Folded Reload
	v_pk_mul_f32 v[0:1], v[122:123], v[36:37] op_sel_hi:[0,1]
	s_wait_loadcnt 0x0
	v_dual_fmac_f32 v114, v2, v0 :: v_dual_fmac_f32 v115, v3, v1
	v_pk_mul_f32 v[2:3], v[122:123], v[48:49] op_sel_hi:[0,1]
	v_pk_mul_f32 v[0:1], v[122:123], v[64:65] op_sel_hi:[0,1]
	s_delay_alu instid0(VALU_DEP_2) | instskip(SKIP_1) | instid1(VALU_DEP_2)
	v_dual_fmac_f32 v114, v4, v2 :: v_dual_fmac_f32 v115, v5, v3
	v_pk_mul_f32 v[2:3], v[122:123], v[84:85] op_sel_hi:[0,1]
	v_dual_fmac_f32 v114, v6, v0 :: v_dual_fmac_f32 v115, v7, v1
	s_delay_alu instid0(VALU_DEP_1) | instskip(SKIP_3) | instid1(VALU_DEP_1)
	v_dual_fmac_f32 v114, v8, v2 :: v_dual_fmac_f32 v115, v9, v3
	scratch_load_b128 v[6:9], off, s32 offset:876 ; 16-byte Folded Reload
	v_or_b32_e32 v5, v67, v53
	v_or_b32_e32 v4, v66, v52
	v_pk_mul_f32 v[4:5], v[122:123], v[4:5] op_sel_hi:[0,1]
	s_wait_loadcnt 0x0
	s_delay_alu instid0(VALU_DEP_1) | instskip(NEXT) | instid1(VALU_DEP_2)
	v_dual_fmac_f32 v114, v6, v4 :: v_dual_bitop2_b32 v1, v83, v69 bitop3:0x54
	v_dual_fmac_f32 v115, v7, v5 :: v_dual_bitop2_b32 v0, v82, v68 bitop3:0x54
	v_or_b32_e32 v5, v11, v103
	v_or_b32_e32 v4, v10, v102
	s_delay_alu instid0(VALU_DEP_3) | instskip(NEXT) | instid1(VALU_DEP_1)
	v_pk_mul_f32 v[0:1], v[122:123], v[0:1] op_sel_hi:[0,1]
	v_dual_fmac_f32 v114, v8, v0 :: v_dual_fmac_f32 v115, v9, v1
	s_delay_alu instid0(VALU_DEP_3) | instskip(SKIP_3) | instid1(VALU_DEP_1)
	v_pk_mul_f32 v[0:1], v[122:123], v[4:5] op_sel_hi:[0,1]
	scratch_load_b128 v[4:7], off, s32 offset:892 ; 16-byte Folded Reload
	v_or_b32_e32 v3, v87, v81
	v_or_b32_e32 v2, v86, v80
	v_pk_mul_f32 v[2:3], v[122:123], v[2:3] op_sel_hi:[0,1]
	s_wait_loadcnt 0x0
	s_delay_alu instid0(VALU_DEP_1) | instskip(NEXT) | instid1(VALU_DEP_1)
	v_dual_fmac_f32 v115, v5, v3 :: v_dual_fmac_f32 v114, v4, v2
	v_fmac_f32_e32 v115, v7, v1
	scratch_load_b32 v1, off, s32 offset:916 ; 4-byte Folded Reload
	v_fmac_f32_e32 v114, v6, v0
	s_delay_alu instid0(VALU_DEP_1)
	v_add_f32_e32 v0, v114, v115
	s_wait_loadcnt 0x0
	ds_bpermute_b32 v1, v1, v0
	s_wait_xcnt 0x0
	s_and_saveexec_b32 s16, vcc_lo
	s_cbranch_execz .LBB198_8
; %bb.778:                              ;   in Loop: Header=BB198_9 Depth=1
	scratch_load_b32 v3, off, s32 offset:928 ; 4-byte Folded Reload
	s_wait_dscnt 0x0
	v_dual_sub_nc_u32 v2, 1, v16 :: v_dual_add_f32 v0, v0, v1
	s_load_b32 s17, s[10:11], 0x0
	v_cmp_lt_i32_e64 s2, v17, v16
	s_delay_alu instid0(VALU_DEP_2) | instskip(NEXT) | instid1(VALU_DEP_1)
	v_add_nc_u32_e32 v2, v2, v17
	v_cvt_f32_i32_e32 v2, v2
	s_wait_loadcnt 0x0
	s_delay_alu instid0(VALU_DEP_1)
	v_mul_f32_e32 v2, v3, v2
	scratch_load_b32 v3, off, s32 offset:520 ; 4-byte Folded Reload
	v_cndmask_b32_e64 v1, 0, v2, s1
	scratch_load_b32 v2, off, s32 offset:932 ; 4-byte Folded Reload
	s_wait_loadcnt 0x0
	v_fmac_f32_e32 v1, v2, v0
	scratch_load_b32 v2, off, s32 offset:492 ; 4-byte Folded Reload
	v_max_num_f32_e32 v0, v3, v3
	s_delay_alu instid0(VALU_DEP_1) | instskip(NEXT) | instid1(VALU_DEP_1)
	v_max_num_f32_e32 v0, v0, v1
	v_dual_cndmask_b32 v3, v3, v0, s2 :: v_dual_cndmask_b32 v1, 0, v1, s2
	scratch_store_b32 off, v3, s32 offset:520 ; 4-byte Folded Spill
	s_wait_loadcnt 0x0
	s_wait_kmcnt 0x0
	v_add_nc_u32_e32 v2, s17, v2
	ds_store_b32 v2, v1
	s_branch .LBB198_8
.LBB198_779:
	s_or_b32 exec_lo, exec_lo, s7
	s_clause 0x8
	scratch_load_b64 v[50:51], off, s32 offset:948
	scratch_load_b64 v[22:23], off, s32 offset:956
	scratch_load_b64 v[52:53], off, s32 offset:964
	scratch_load_b64 v[54:55], off, s32 offset:972
	scratch_load_b32 v64, off, s32 offset:980
	scratch_load_b32 v17, off, s32 offset:984
	scratch_load_b64 v[66:67], off, s32 offset:988
	scratch_load_b32 v11, off, s32 offset:996
	scratch_load_b32 v6, off, s32 offset:520
	v_mov_b32_e32 v8, 32
.LBB198_780:
	s_wait_xcnt 0x0
	s_or_b32 exec_lo, exec_lo, s3
	s_wait_loadcnt 0x0
	v_dual_max_num_f32 v3, v6, v6 :: v_dual_bitop2_b32 v0, 16, v11 bitop3:0x14
	v_xor_b32_e32 v2, 8, v11
	s_delay_alu instid0(VALU_DEP_2) | instskip(SKIP_1) | instid1(VALU_DEP_3)
	v_cmp_lt_i32_e32 vcc_lo, v0, v8
	v_cndmask_b32_e32 v0, v11, v0, vcc_lo
	v_cmp_lt_i32_e32 vcc_lo, v2, v8
	s_delay_alu instid0(VALU_DEP_2)
	v_dual_lshlrev_b32 v0, 2, v0 :: v_dual_cndmask_b32 v2, v11, v2, vcc_lo
	s_wait_dscnt 0x0
	ds_bpermute_b32 v1, v0, v6
	scratch_load_b64 v[6:7], off, s32 offset:920 ; 8-byte Folded Reload
	s_wait_dscnt 0x0
	v_dual_max_num_f32 v4, v1, v1 :: v_dual_lshlrev_b32 v1, 2, v2
	s_delay_alu instid0(VALU_DEP_1) | instskip(SKIP_4) | instid1(VALU_DEP_1)
	v_dual_max_num_f32 v2, v3, v4 :: v_dual_bitop2_b32 v4, 4, v11 bitop3:0x14
	ds_bpermute_b32 v3, v1, v2
	v_cmp_lt_i32_e32 vcc_lo, v4, v8
	s_wait_dscnt 0x0
	v_max_num_f32_e32 v5, v3, v3
	v_dual_cndmask_b32 v4, v11, v4, vcc_lo :: v_dual_max_num_f32 v2, v2, v5
	s_delay_alu instid0(VALU_DEP_1) | instskip(SKIP_3) | instid1(VALU_DEP_1)
	v_lshlrev_b32_e32 v3, 2, v4
	ds_bpermute_b32 v4, v3, v2
	s_wait_dscnt 0x0
	v_dual_max_num_f32 v4, v4, v4 :: v_dual_bitop2_b32 v5, 2, v11 bitop3:0x14
	v_cmp_lt_i32_e32 vcc_lo, v5, v8
	s_delay_alu instid0(VALU_DEP_2)
	v_dual_max_num_f32 v2, v2, v4 :: v_dual_cndmask_b32 v5, v11, v5
	scratch_load_b32 v4, off, s32 offset:936 ; 4-byte Folded Reload
	s_wait_loadcnt 0x1
	v_dual_lshlrev_b32 v65, 2, v5 :: v_dual_bitop2_b32 v28, 31, v6 bitop3:0x40
	ds_bpermute_b32 v5, v65, v2
	v_cmp_eq_u32_e32 vcc_lo, 0, v28
	s_wait_loadcnt 0x0
	v_lshlrev_b32_e32 v4, 2, v4
	s_wait_xcnt 0x0
	s_and_saveexec_b32 s1, vcc_lo
	s_cbranch_execz .LBB198_782
; %bb.781:
	s_wait_dscnt 0x0
	v_dual_max_num_f32 v5, v5, v5 :: v_dual_max_num_f32 v2, v2, v2
	s_delay_alu instid0(VALU_DEP_1)
	v_max_num_f32_e32 v2, v2, v5
	ds_store_b32 v4, v2 offset:768
.LBB198_782:
	s_or_b32 exec_lo, exec_lo, s1
	v_cmp_gt_u32_e64 s1, 4, v28
	s_wait_dscnt 0x0
	v_dual_mov_b32 v2, 0xff7fffff :: v_dual_lshlrev_b32 v5, 2, v28
	s_wait_storecnt 0x0
	s_barrier_signal -1
	s_barrier_wait -1
	s_and_saveexec_b32 s2, s1
; %bb.783:
	ds_load_b32 v2, v5 offset:768
; %bb.784:
	s_or_b32 exec_lo, exec_lo, s2
	s_wait_dscnt 0x0
	ds_bpermute_b32 v6, v65, v2
	v_dual_max_num_f32 v2, v2, v2 :: v_dual_bitop2_b32 v7, 1, v11 bitop3:0x14
	s_delay_alu instid0(VALU_DEP_1) | instskip(SKIP_3) | instid1(VALU_DEP_1)
	v_cmp_lt_i32_e64 s2, v7, v8
	scratch_load_b64 v[8:9], off, s32 offset:920 ; 8-byte Folded Reload
	s_wait_dscnt 0x0
	v_dual_cndmask_b32 v7, v11, v7, s2 :: v_dual_max_num_f32 v6, v6, v6
	v_dual_mov_b32 v7, 0 :: v_dual_lshlrev_b32 v10, 2, v7
	s_delay_alu instid0(VALU_DEP_2) | instskip(SKIP_3) | instid1(VALU_DEP_1)
	v_max_num_f32_e32 v2, v2, v6
	ds_bpermute_b32 v6, v10, v2
	s_wait_dscnt 0x0
	v_max_num_f32_e32 v6, v6, v6
	v_dual_max_num_f32 v2, v2, v6 :: v_dual_lshlrev_b32 v6, 2, v109
	ds_bpermute_b32 v6, v6, v2
	scratch_load_b32 v2, off, s32 offset:192 ; 4-byte Folded Reload
	s_wait_loadcnt 0x0
	v_lshlrev_b32_e32 v2, 4, v2
	s_delay_alu instid0(VALU_DEP_1) | instskip(NEXT) | instid1(VALU_DEP_1)
	v_min_i32_e32 v2, v2, v16
	v_cmp_lt_i32_e64 s2, v8, v2
	s_and_saveexec_b32 s10, s2
	s_cbranch_execz .LBB198_788
; %bb.785:
	scratch_load_b64 v[8:9], off, s32 offset:920 ; 8-byte Folded Reload
	s_ashr_i32 s7, s6, 31
	v_dual_mov_b32 v12, v10 :: v_dual_mov_b32 v7, 0
	s_lshl_b64 s[16:17], s[6:7], 2
	s_mov_b32 s7, 0
	s_add_nc_u64 s[16:17], s[8:9], s[16:17]
	s_load_b32 s3, s[16:17], 0x0
	s_wait_loadcnt 0x0
	v_mov_b32_e32 v10, v8
	s_wait_kmcnt 0x0
	s_delay_alu instid0(VALU_DEP_1)
	v_lshl_add_u32 v8, v10, 2, s3
	v_mov_b32_e32 v9, v10
.LBB198_786:                            ; =>This Inner Loop Header: Depth=1
	ds_load_b32 v10, v8
	v_add_nc_u32_e32 v9, 0x80, v9
	s_delay_alu instid0(VALU_DEP_1) | instskip(SKIP_3) | instid1(VALU_DEP_1)
	v_cmp_ge_i32_e64 s3, v9, v2
	s_or_b32 s7, s3, s7
	s_wait_dscnt 0x0
	v_sub_f32_e32 v10, v10, v6
	v_mul_f32_e32 v10, 0x3fb8aa3b, v10
	s_delay_alu instid0(VALU_DEP_1)
	v_exp_f32_e32 v10, v10
	ds_store_b32 v8, v10
	v_nop
	v_dual_add_f32 v7, v7, v10 :: v_dual_add_nc_u32 v8, 0x200, v8
	s_and_not1_b32 exec_lo, exec_lo, s7
	s_cbranch_execnz .LBB198_786
; %bb.787:
	s_or_b32 exec_lo, exec_lo, s7
	v_mov_b32_e32 v10, v12
.LBB198_788:
	s_or_b32 exec_lo, exec_lo, s10
	ds_bpermute_b32 v0, v0, v7
	s_wait_dscnt 0x0
	v_add_f32_e32 v0, v7, v0
	ds_bpermute_b32 v1, v1, v0
	s_wait_dscnt 0x0
	v_add_f32_e32 v0, v0, v1
	;; [unrolled: 3-line block ×5, first 2 shown]
	s_and_saveexec_b32 s3, vcc_lo
; %bb.789:
	ds_store_b32 v4, v0 offset:784
; %bb.790:
	s_or_b32 exec_lo, exec_lo, s3
	s_wait_dscnt 0x0
	s_barrier_signal -1
	s_barrier_wait -1
	s_and_saveexec_b32 s3, s1
; %bb.791:
	ds_load_b32 v0, v5 offset:784
; %bb.792:
	s_or_b32 exec_lo, exec_lo, s3
	s_wait_dscnt 0x0
	ds_bpermute_b32 v1, v65, v0
	s_wait_dscnt 0x0
	v_dual_add_f32 v0, v0, v1 :: v_dual_lshlrev_b32 v3, 2, v11
	ds_bpermute_b32 v1, v10, v0
	s_wait_dscnt 0x0
	v_add_f32_e32 v0, v0, v1
	v_and_b32_e32 v1, 0xffffff80, v3
	ds_bpermute_b32 v0, v1, v0
	s_and_saveexec_b32 s1, s2
	s_cbranch_execz .LBB198_805
; %bb.793:
	scratch_load_b64 v[8:9], off, s32 offset:920 ; 8-byte Folded Reload
	s_wait_dscnt 0x0
	v_add_f32_e32 v0, 0x358637bd, v0
	s_mov_b32 s3, -1
	s_mov_b32 s2, exec_lo
	s_delay_alu instid0(VALU_DEP_1) | instskip(SKIP_1) | instid1(VALU_DEP_2)
	v_div_scale_f32 v1, null, v0, v0, 1.0
	v_div_scale_f32 v5, vcc_lo, 1.0, v0, 1.0
	v_rcp_f32_e32 v4, v1
	v_nop
	s_delay_alu instid0(TRANS32_DEP_1) | instskip(NEXT) | instid1(VALU_DEP_1)
	v_fma_f32 v3, -v1, v4, 1.0
	v_fmac_f32_e32 v4, v3, v4
	s_delay_alu instid0(VALU_DEP_1) | instskip(NEXT) | instid1(VALU_DEP_1)
	v_mul_f32_e32 v6, v5, v4
	v_fma_f32 v3, -v1, v6, v5
	s_delay_alu instid0(VALU_DEP_1) | instskip(NEXT) | instid1(VALU_DEP_1)
	v_fmac_f32_e32 v6, v3, v4
	v_fma_f32 v1, -v1, v6, v5
	s_delay_alu instid0(VALU_DEP_1) | instskip(NEXT) | instid1(VALU_DEP_1)
	v_div_fmas_f32 v1, v1, v4, v6
	v_div_fixup_f32 v0, v1, v0, 1.0
	s_wait_loadcnt 0x0
	v_xad_u32 v3, v8, -1, v2
	v_mov_b32_e32 v1, v8
	s_delay_alu instid0(VALU_DEP_2)
	v_cmpx_lt_u32_e32 0x7f, v3
	s_cbranch_execz .LBB198_802
; %bb.794:
	v_dual_lshrrev_b32 v3, 7, v3 :: v_dual_mov_b32 v1, v0
	s_delay_alu instid0(VALU_DEP_1) | instskip(NEXT) | instid1(VALU_DEP_1)
	v_dual_mov_b32 v7, 0 :: v_dual_add_nc_u32 v4, -1, v3
	v_lshrrev_b32_e32 v5, 1, v4
	v_cmp_lt_u32_e32 vcc_lo, 13, v4
	s_delay_alu instid0(VALU_DEP_2)
	v_add_nc_u32_e32 v4, 1, v5
	s_and_saveexec_b32 s3, vcc_lo
	s_cbranch_execz .LBB198_798
; %bb.795:
	scratch_load_b64 v[6:7], off, s32 offset:920 ; 8-byte Folded Reload
	s_ashr_i32 s7, s6, 31
	v_dual_mov_b32 v29, v10 :: v_dual_bitop2_b32 v5, -8, v4 bitop3:0x40
	s_lshl_b64 s[10:11], s[6:7], 2
	s_delay_alu instid0(SALU_CYCLE_1)
	s_add_nc_u64 s[10:11], s[8:9], s[10:11]
	s_load_b32 s7, s[10:11], 0x0
	s_wait_xcnt 0x0
	s_mov_b32 s10, 0
	s_wait_loadcnt 0x0
	s_wait_kmcnt 0x0
	v_lshl_add_u32 v6, v6, 2, s7
	s_mov_b32 s7, 0
.LBB198_796:                            ; =>This Inner Loop Header: Depth=1
	ds_load_2addr_stride64_b32 v[8:9], v6 offset1:2
	ds_load_2addr_stride64_b32 v[10:11], v6 offset0:4 offset1:6
	ds_load_2addr_stride64_b32 v[12:13], v6 offset0:8 offset1:10
	;; [unrolled: 1-line block ×7, first 2 shown]
	s_add_co_i32 s10, s10, 16
	s_delay_alu instid0(SALU_CYCLE_1) | instskip(NEXT) | instid1(VALU_DEP_1)
	v_dual_add_nc_u32 v5, -8, v5 :: v_dual_mov_b32 v7, s10
	v_cmp_eq_u32_e32 vcc_lo, 0, v5
	s_or_b32 s7, vcc_lo, s7
	s_wait_dscnt 0x7
	v_pk_mul_f32 v[8:9], v[0:1], v[8:9]
	s_wait_dscnt 0x6
	v_pk_mul_f32 v[10:11], v[0:1], v[10:11]
	;; [unrolled: 2-line block ×8, first 2 shown]
	ds_store_2addr_stride64_b32 v6, v8, v9 offset1:2
	ds_store_2addr_stride64_b32 v6, v10, v11 offset0:4 offset1:6
	ds_store_2addr_stride64_b32 v6, v12, v13 offset0:8 offset1:10
	;; [unrolled: 1-line block ×7, first 2 shown]
	v_add_nc_u32_e32 v6, 0x2000, v6
	s_and_not1_b32 exec_lo, exec_lo, s7
	s_cbranch_execnz .LBB198_796
; %bb.797:
	s_or_b32 exec_lo, exec_lo, s7
	v_mov_b32_e32 v10, v29
.LBB198_798:
	s_or_b32 exec_lo, exec_lo, s3
	s_delay_alu instid0(VALU_DEP_1) | instskip(SKIP_2) | instid1(VALU_DEP_1)
	v_and_b32_e32 v4, 7, v4
	s_mov_b32 s10, 0
	s_mov_b32 s3, exec_lo
	v_cmpx_ne_u32_e32 0, v4
	s_cbranch_execz .LBB198_801
; %bb.799:
	s_ashr_i32 s7, s6, 31
	v_lshlrev_b32_e32 v5, 9, v7
	s_lshl_b64 s[16:17], s[6:7], 2
	s_delay_alu instid0(SALU_CYCLE_1)
	s_add_nc_u64 s[16:17], s[8:9], s[16:17]
	s_load_b32 s7, s[16:17], 0x0
	s_wait_kmcnt 0x0
	v_add3_u32 v5, v5, v64, s7
.LBB198_800:                            ; =>This Inner Loop Header: Depth=1
	ds_load_2addr_stride64_b32 v[6:7], v5 offset1:2
	v_add_nc_u32_e32 v4, -1, v4
	s_delay_alu instid0(VALU_DEP_1)
	v_cmp_eq_u32_e32 vcc_lo, 0, v4
	s_or_b32 s10, vcc_lo, s10
	s_wait_dscnt 0x0
	v_pk_mul_f32 v[6:7], v[0:1], v[6:7]
	ds_store_2addr_stride64_b32 v5, v6, v7 offset1:2
	v_add_nc_u32_e32 v5, 0x400, v5
	s_and_not1_b32 exec_lo, exec_lo, s10
	s_cbranch_execnz .LBB198_800
.LBB198_801:
	s_or_b32 exec_lo, exec_lo, s3
	scratch_load_b64 v[4:5], off, s32 offset:920 ; 8-byte Folded Reload
	v_add_nc_u32_e32 v1, 1, v3
	s_delay_alu instid0(VALU_DEP_1) | instskip(NEXT) | instid1(VALU_DEP_1)
	v_and_b32_e32 v3, 0x3fffffe, v1
	v_cmp_ne_u32_e32 vcc_lo, v1, v3
	s_or_not1_b32 s3, vcc_lo, exec_lo
	s_wait_loadcnt 0x0
	v_lshl_add_u32 v1, v3, 7, v4
.LBB198_802:
	s_or_b32 exec_lo, exec_lo, s2
	s_delay_alu instid0(SALU_CYCLE_1)
	s_and_b32 exec_lo, exec_lo, s3
	s_cbranch_execz .LBB198_805
; %bb.803:
	s_ashr_i32 s7, s6, 31
	s_delay_alu instid0(SALU_CYCLE_1) | instskip(NEXT) | instid1(SALU_CYCLE_1)
	s_lshl_b64 s[2:3], s[6:7], 2
	s_add_nc_u64 s[2:3], s[8:9], s[2:3]
	s_load_b32 s2, s[2:3], 0x0
	s_wait_kmcnt 0x0
	v_lshl_add_u32 v3, v1, 2, s2
	s_mov_b32 s2, 0
.LBB198_804:                            ; =>This Inner Loop Header: Depth=1
	ds_load_b32 v4, v3
	s_wait_dscnt 0x0
	v_dual_mul_f32 v4, v0, v4 :: v_dual_add_nc_u32 v1, 0x80, v1
	s_delay_alu instid0(VALU_DEP_1) | instskip(SKIP_3) | instid1(SALU_CYCLE_1)
	v_cmp_ge_i32_e32 vcc_lo, v1, v2
	ds_store_b32 v3, v4
	v_add_nc_u32_e32 v3, 0x200, v3
	s_or_b32 s2, vcc_lo, s2
	s_and_not1_b32 exec_lo, exec_lo, s2
	s_cbranch_execnz .LBB198_804
.LBB198_805:
	s_or_b32 exec_lo, exec_lo, s1
	s_wait_dscnt 0x0
	s_barrier_signal -1
	s_barrier_wait -1
	s_and_saveexec_b32 s1, s0
	s_delay_alu instid0(SALU_CYCLE_1)
	s_xor_b32 s0, exec_lo, s1
	s_cbranch_execz .LBB198_807
; %bb.806:
	s_ashr_i32 s7, s6, 31
                                        ; implicit-def: $vgpr0
                                        ; implicit-def: $vgpr16
                                        ; kill: killed $vgpr0
                                        ; implicit-def: $vgpr0
	scratch_store_b64 off, v[0:1], s32 offset:496 ; 8-byte Folded Spill
                                        ; implicit-def: $vgpr54_vgpr55
                                        ; implicit-def: $vgpr22_vgpr23
                                        ; implicit-def: $vgpr50_vgpr51
                                        ; implicit-def: $vgpr52_vgpr53
                                        ; implicit-def: $vgpr66
                                        ; implicit-def: $vgpr17
                                        ; implicit-def: $vgpr64
.LBB198_807:
	s_wait_xcnt 0x0
	s_or_saveexec_b32 s1, s0
	scratch_load_b64 v[2:3], off, s32 offset:920 ; 8-byte Folded Reload
	v_mov_b64_e32 v[0:1], s[6:7]
	v_dual_mov_b32 v13, 0 :: v_dual_mov_b32 v12, 0
	v_dual_mov_b32 v15, 0 :: v_dual_mov_b32 v14, 0
	;; [unrolled: 1-line block ×11, first 2 shown]
	s_wait_loadcnt 0x0
	v_dual_mov_b32 v31, 0 :: v_dual_bitop2_b32 v2, 3, v2 bitop3:0x40
	scratch_store_b32 off, v28, s32 offset:284 ; 4-byte Folded Spill
	s_wait_xcnt 0x0
	v_mov_b32_e32 v28, 0
	scratch_store_b32 off, v2, s32 offset:276 ; 4-byte Folded Spill
	s_wait_xcnt 0x0
	s_xor_b32 exec_lo, exec_lo, s1
	s_cbranch_execz .LBB198_1627
; %bb.808:
	s_clause 0x2
	scratch_store_b32 off, v10, s32 offset:300
	scratch_store_b32 off, v65, s32 offset:292
	scratch_load_b32 v3, off, s32 offset:276
	v_add_nc_u64_e32 v[0:1], v[52:53], v[66:67]
	scratch_load_b32 v67, off, s32 offset:936 ; 4-byte Folded Reload
	flat_load_b32 v22, v[22:23]
	s_ashr_i32 s7, s6, 31
	s_wait_xcnt 0x3
	v_dual_mov_b32 v65, 0 :: v_dual_bitop2_b32 v2, 12, v64 bitop3:0x40
	s_lshl_b64 s[2:3], s[6:7], 2
	v_and_b32_e32 v64, 0x7c, v64
	s_add_nc_u64 s[2:3], s[8:9], s[2:3]
	v_mov_b32_e32 v81, v16
	s_load_b32 s0, s[2:3], 0x0
	v_dual_mov_b32 v13, 0 :: v_dual_mov_b32 v12, 0
	v_add_nc_u64_e32 v[0:1], v[0:1], v[64:65]
	v_and_b32_e32 v64, 0x7c, v17
	v_dual_mov_b32 v15, 0 :: v_dual_mov_b32 v14, 0
	v_dual_mov_b32 v21, 0 :: v_dual_mov_b32 v20, 0
	;; [unrolled: 1-line block ×3, first 2 shown]
	scratch_store_b64 off, v[0:1], s32 offset:260 ; 8-byte Folded Spill
	s_wait_xcnt 0x0
	v_lshl_add_u64 v[0:1], v[54:55], 2, v[64:65]
	v_dual_mov_b32 v27, 0 :: v_dual_mov_b32 v26, 0
	v_dual_mov_b32 v29, 0 :: v_dual_mov_b32 v28, 0
	s_delay_alu instid0(VALU_DEP_3)
	v_add_nc_u64_e32 v[10:11], v[50:51], v[0:1]
	v_dual_mov_b32 v31, 0 :: v_dual_mov_b32 v30, 0
	v_dual_mov_b32 v33, 0 :: v_dual_mov_b32 v32, 0
	;; [unrolled: 1-line block ×6, first 2 shown]
	v_mov_b32_e32 v1, v16
	s_mov_b32 s2, 0
	scratch_store_b64 off, v[0:1], s32 offset:268 ; 8-byte Folded Spill
	s_wait_loadcnt 0x2
	v_lshlrev_b32_e32 v3, 4, v3
	s_wait_loadcnt 0x1
	v_lshl_or_b32 v17, v67, 4, v2
	s_wait_loadcnt_dscnt 0x0
	v_mov_b32_e32 v23, v22
	v_lshl_or_b32 v3, v67, 6, v3
	s_wait_kmcnt 0x0
	s_delay_alu instid0(VALU_DEP_1)
	v_add_nc_u32_e32 v66, s0, v3
	s_branch .LBB198_810
.LBB198_809:                            ;   in Loop: Header=BB198_810 Depth=1
	s_or_b32 exec_lo, exec_lo, s3
	v_mul_f32_e32 v1, v3, v1
	v_mul_f32_e32 v7, v3, v121
	;; [unrolled: 1-line block ×3, first 2 shown]
	s_clause 0x2
	scratch_load_b64 v[18:19], off, s32 offset:252 th:TH_LOAD_LU
	scratch_load_b64 v[68:69], off, s32 offset:236 th:TH_LOAD_LU
	;; [unrolled: 1-line block ×3, first 2 shown]
	v_dual_fmac_f32 v1, v2, v0 :: v_dual_mul_f32 v0, v3, v9
	v_fmac_f32_e32 v7, v2, v120
	v_fmac_f32_e32 v6, v2, v124
	v_add_nc_u64_e32 v[10:11], 16, v[10:11]
	s_delay_alu instid0(VALU_DEP_4) | instskip(SKIP_2) | instid1(VALU_DEP_3)
	v_dual_fmac_f32 v1, v4, v50 :: v_dual_fmac_f32 v0, v2, v8
	v_mul_f32_e32 v8, v3, v109
	v_add_nc_u32_e32 v17, 64, v17
	v_dual_fmac_f32 v1, v5, v51 :: v_dual_add_nc_u32 v66, 0x100, v66
	scratch_load_b64 v[50:51], off, s32 offset:220 th:TH_LOAD_LU ; 8-byte Folded Reload
	v_fmac_f32_e32 v0, v4, v126
	v_dual_fmac_f32 v6, v4, v122 :: v_dual_fmac_f32 v8, v2, v108
	s_delay_alu instid0(VALU_DEP_2) | instskip(NEXT) | instid1(VALU_DEP_2)
	v_dual_fmac_f32 v0, v5, v127 :: v_dual_fmac_f32 v7, v4, v110
	v_dual_fmac_f32 v6, v5, v123 :: v_dual_add_f32 v12, v12, v1
	s_delay_alu instid0(VALU_DEP_2) | instskip(NEXT) | instid1(VALU_DEP_3)
	v_dual_fmac_f32 v8, v4, v106 :: v_dual_add_f32 v15, v15, v0
	v_dual_fmac_f32 v7, v5, v111 :: v_dual_mul_f32 v0, v3, v105
	s_delay_alu instid0(VALU_DEP_3) | instskip(NEXT) | instid1(VALU_DEP_2)
	v_dual_mul_f32 v1, v3, v93 :: v_dual_add_f32 v14, v14, v6
	v_dual_add_f32 v21, v21, v7 :: v_dual_fmac_f32 v0, v2, v104
	s_delay_alu instid0(VALU_DEP_2) | instskip(NEXT) | instid1(VALU_DEP_1)
	v_dual_mul_f32 v6, v3, v89 :: v_dual_fmac_f32 v1, v2, v92
	v_dual_mul_f32 v7, v3, v77 :: v_dual_fmac_f32 v6, v2, v88
	s_delay_alu instid0(VALU_DEP_1) | instskip(NEXT) | instid1(VALU_DEP_3)
	v_dual_fmac_f32 v8, v5, v107 :: v_dual_fmac_f32 v7, v2, v76
	v_fmac_f32_e32 v1, v4, v90
	v_fmac_f32_e32 v0, v4, v94
	s_delay_alu instid0(VALU_DEP_4) | instskip(NEXT) | instid1(VALU_DEP_4)
	v_fmac_f32_e32 v6, v4, v78
	v_dual_add_f32 v20, v20, v8 :: v_dual_mul_f32 v8, v3, v73
	s_delay_alu instid0(VALU_DEP_4) | instskip(NEXT) | instid1(VALU_DEP_4)
	v_fmac_f32_e32 v1, v5, v91
	v_dual_fmac_f32 v0, v5, v95 :: v_dual_fmac_f32 v7, v4, v74
	s_delay_alu instid0(VALU_DEP_3) | instskip(NEXT) | instid1(VALU_DEP_2)
	v_dual_fmac_f32 v6, v5, v79 :: v_dual_fmac_f32 v8, v2, v72
	v_dual_add_f32 v24, v24, v1 :: v_dual_add_f32 v25, v25, v0
	s_delay_alu instid0(VALU_DEP_2) | instskip(SKIP_3) | instid1(VALU_DEP_4)
	v_dual_fmac_f32 v7, v5, v75 :: v_dual_add_f32 v27, v27, v6
	v_mul_f32_e32 v0, v3, v61
	v_mul_f32_e32 v6, v3, v45
	v_dual_mul_f32 v1, v3, v57 :: v_dual_fmac_f32 v8, v4, v62
	v_dual_add_f32 v26, v26, v7 :: v_dual_mul_f32 v7, v3, v41
	s_delay_alu instid0(VALU_DEP_4) | instskip(NEXT) | instid1(VALU_DEP_3)
	v_fmac_f32_e32 v0, v2, v60
	v_dual_fmac_f32 v6, v2, v44 :: v_dual_fmac_f32 v8, v5, v63
	s_delay_alu instid0(VALU_DEP_4) | instskip(NEXT) | instid1(VALU_DEP_3)
	v_fmac_f32_e32 v1, v2, v56
	v_dual_fmac_f32 v7, v2, v40 :: v_dual_fmac_f32 v0, v4, v58
	s_delay_alu instid0(VALU_DEP_3) | instskip(NEXT) | instid1(VALU_DEP_3)
	v_dual_fmac_f32 v6, v4, v42 :: v_dual_add_f32 v29, v29, v8
	v_fmac_f32_e32 v1, v4, v46
	s_delay_alu instid0(VALU_DEP_3) | instskip(NEXT) | instid1(VALU_DEP_3)
	v_dual_fmac_f32 v7, v4, v118 :: v_dual_fmac_f32 v0, v5, v59
	v_dual_fmac_f32 v6, v5, v43 :: v_dual_mul_f32 v8, v3, v117
	s_delay_alu instid0(VALU_DEP_3) | instskip(NEXT) | instid1(VALU_DEP_3)
	v_fmac_f32_e32 v1, v5, v47
	v_dual_fmac_f32 v7, v5, v119 :: v_dual_add_f32 v28, v28, v0
	s_delay_alu instid0(VALU_DEP_3) | instskip(NEXT) | instid1(VALU_DEP_3)
	v_add_f32_e32 v30, v30, v6
	v_dual_fmac_f32 v8, v2, v116 :: v_dual_add_f32 v31, v31, v1
	s_delay_alu instid0(VALU_DEP_3) | instskip(NEXT) | instid1(VALU_DEP_2)
	v_dual_add_f32 v33, v33, v7 :: v_dual_mul_f32 v0, v3, v113
	v_dual_fmac_f32 v8, v4, v114 :: v_dual_mul_f32 v1, v3, v101
	s_delay_alu instid0(VALU_DEP_2) | instskip(NEXT) | instid1(VALU_DEP_2)
	v_dual_fmac_f32 v0, v2, v112 :: v_dual_mul_f32 v6, v3, v97
	v_dual_fmac_f32 v1, v2, v100 :: v_dual_mul_f32 v7, v3, v85
	s_delay_alu instid0(VALU_DEP_2) | instskip(NEXT) | instid1(VALU_DEP_2)
	v_dual_fmac_f32 v6, v2, v96 :: v_dual_fmac_f32 v8, v5, v115
	v_dual_fmac_f32 v1, v4, v98 :: v_dual_fmac_f32 v7, v2, v84
	s_delay_alu instid0(VALU_DEP_4) | instskip(NEXT) | instid1(VALU_DEP_3)
	v_fmac_f32_e32 v0, v4, v102
	v_fmac_f32_e32 v6, v4, v86
	s_delay_alu instid0(VALU_DEP_3) | instskip(NEXT) | instid1(VALU_DEP_3)
	v_dual_add_f32 v32, v32, v8 :: v_dual_fmac_f32 v1, v5, v99
	v_dual_fmac_f32 v0, v5, v103 :: v_dual_fmac_f32 v7, v4, v82
	s_delay_alu instid0(VALU_DEP_1) | instskip(NEXT) | instid1(VALU_DEP_2)
	v_dual_add_f32 v34, v34, v1 :: v_dual_add_f32 v35, v35, v0
	v_fmac_f32_e32 v7, v5, v83
	v_pk_mul_f32 v[0:1], v[2:3], v[52:53]
	scratch_load_b64 v[52:53], off, s32 offset:228 th:TH_LOAD_LU ; 8-byte Folded Reload
	v_add_f32_e32 v36, v36, v7
	s_wait_loadcnt 0x4
	v_dual_add_f32 v0, v0, v1 :: v_dual_mul_f32 v8, v3, v19
	s_delay_alu instid0(VALU_DEP_1) | instskip(SKIP_4) | instid1(VALU_DEP_1)
	v_dual_fmac_f32 v6, v5, v87 :: v_dual_fmac_f32 v8, v2, v18
	scratch_load_b64 v[18:19], off, s32 offset:204 th:TH_LOAD_LU ; 8-byte Folded Reload
	s_wait_loadcnt 0x4
	v_dual_add_f32 v37, v37, v6 :: v_dual_mul_f32 v6, v3, v69
	s_wait_loadcnt 0x3
	v_dual_fmac_f32 v8, v4, v70 :: v_dual_fmac_f32 v6, v2, v68
	s_wait_loadcnt 0x2
	v_mul_f32_e32 v7, v3, v51
	s_delay_alu instid0(VALU_DEP_1) | instskip(SKIP_4) | instid1(VALU_DEP_1)
	v_dual_fmac_f32 v8, v5, v71 :: v_dual_fmac_f32 v7, v2, v50
	scratch_load_b64 v[50:51], off, s32 offset:212 th:TH_LOAD_LU ; 8-byte Folded Reload
	v_add_f32_e32 v39, v39, v8
	s_wait_loadcnt 0x1
	v_mul_f32_e32 v9, v3, v19
	v_fmac_f32_e32 v9, v2, v18
	v_pk_mul_f32 v[2:3], v[4:5], v[54:55]
	scratch_load_b64 v[18:19], off, s32 offset:196 th:TH_LOAD_LU ; 8-byte Folded Reload
	s_wait_loadcnt 0x1
	v_dual_fmac_f32 v6, v4, v52 :: v_dual_fmac_f32 v7, v4, v50
	s_delay_alu instid0(VALU_DEP_1) | instskip(NEXT) | instid1(VALU_DEP_1)
	v_dual_add_f32 v0, v2, v0 :: v_dual_fmac_f32 v6, v5, v53
	v_dual_fmac_f32 v7, v5, v51 :: v_dual_add_f32 v0, v3, v0
	s_delay_alu instid0(VALU_DEP_1) | instskip(NEXT) | instid1(VALU_DEP_2)
	v_dual_add_f32 v38, v38, v6 :: v_dual_add_f32 v49, v49, v7
	v_add_f32_e32 v13, v13, v0
	scratch_load_b32 v0, off, s32 offset:192 ; 4-byte Folded Reload
	s_wait_loadcnt 0x1
	v_fmac_f32_e32 v9, v4, v18
	s_delay_alu instid0(VALU_DEP_1) | instskip(NEXT) | instid1(VALU_DEP_1)
	v_fmac_f32_e32 v9, v5, v19
	v_dual_add_f32 v48, v48, v9 :: v_dual_add_nc_u32 v67, 4, v67
	s_wait_loadcnt 0x0
	s_delay_alu instid0(VALU_DEP_1)
	v_cmp_ge_i32_e32 vcc_lo, v67, v0
	s_or_b32 s2, vcc_lo, s2
	s_wait_xcnt 0x0
	s_and_not1_b32 exec_lo, exec_lo, s2
	s_cbranch_execz .LBB198_1626
.LBB198_810:                            ; =>This Inner Loop Header: Depth=1
	flat_load_b32 v0, v[10:11]
	s_clause 0x1
	scratch_load_b64 v[2:3], off, s32 offset:496
	scratch_load_b64 v[4:5], off, s32 offset:260
	v_mov_b64_e32 v[8:9], 0
	s_mov_b32 s0, exec_lo
	s_wait_loadcnt_dscnt 0x0
	v_mad_nc_i64_i32 v[54:55], v0, v2, v[4:5]
	ds_load_b128 v[2:5], v66
	v_mov_b64_e32 v[0:1], 0
	flat_load_b32 v6, v[54:55]
	s_wait_loadcnt_dscnt 0x0
	v_and_b32_e32 v7, 0xff, v6
	s_wait_xcnt 0x0
	s_delay_alu instid0(VALU_DEP_1)
	v_cmpx_ne_u16_e32 0, v7
	s_cbranch_execz .LBB198_818
; %bb.811:                              ;   in Loop: Header=BB198_810 Depth=1
	v_mov_b64_e32 v[8:9], 0x80000000
	s_mov_b32 s3, exec_lo
	v_cmpx_ne_u16_e32 0x80, v7
	s_cbranch_execz .LBB198_817
; %bb.812:                              ;   in Loop: Header=BB198_810 Depth=1
	v_mov_b64_e32 v[8:9], 0x7f800001
	v_and_b32_e32 v18, 0x7f, v6
	s_mov_b32 s10, exec_lo
	s_delay_alu instid0(VALU_DEP_1)
	v_cmpx_ne_u32_e32 0x7f, v18
	s_cbranch_execz .LBB198_816
; %bb.813:                              ;   in Loop: Header=BB198_810 Depth=1
	v_and_b32_e32 v64, 7, v6
	v_lshrrev_b32_e32 v7, 3, v18
	s_mov_b32 s11, exec_lo
	v_cmpx_gt_u32_e32 8, v18
; %bb.814:                              ;   in Loop: Header=BB198_810 Depth=1
	s_delay_alu instid0(VALU_DEP_3) | instskip(NEXT) | instid1(VALU_DEP_1)
	v_clz_i32_u32_e32 v7, v64
	v_min_u32_e32 v7, 32, v7
	s_delay_alu instid0(VALU_DEP_1) | instskip(NEXT) | instid1(VALU_DEP_1)
	v_subrev_nc_u32_e32 v8, 28, v7
	v_lshlrev_b64_e32 v[8:9], v8, v[64:65]
	s_delay_alu instid0(VALU_DEP_1)
	v_dual_sub_nc_u32 v7, 29, v7 :: v_dual_bitop2_b32 v64, 7, v8 bitop3:0x40
; %bb.815:                              ;   in Loop: Header=BB198_810 Depth=1
	s_or_b32 exec_lo, exec_lo, s11
	s_delay_alu instid0(VALU_DEP_1) | instskip(NEXT) | instid1(VALU_DEP_2)
	v_dual_lshlrev_b32 v8, 24, v6 :: v_dual_lshlrev_b32 v9, 20, v64
	v_lshl_add_u32 v7, v7, 23, 0x3c000000
	s_delay_alu instid0(VALU_DEP_2) | instskip(NEXT) | instid1(VALU_DEP_1)
	v_and_b32_e32 v8, 0x80000000, v8
	v_or3_b32 v64, v9, v8, v7
	s_delay_alu instid0(VALU_DEP_1)
	v_mov_b64_e32 v[8:9], v[64:65]
.LBB198_816:                            ;   in Loop: Header=BB198_810 Depth=1
	s_or_b32 exec_lo, exec_lo, s10
.LBB198_817:                            ;   in Loop: Header=BB198_810 Depth=1
	s_delay_alu instid0(SALU_CYCLE_1)
	s_or_b32 exec_lo, exec_lo, s3
.LBB198_818:                            ;   in Loop: Header=BB198_810 Depth=1
	s_delay_alu instid0(SALU_CYCLE_1) | instskip(SKIP_2) | instid1(VALU_DEP_1)
	s_or_b32 exec_lo, exec_lo, s0
	v_lshrrev_b16 v7, 8, v6
	s_mov_b32 s0, exec_lo
	v_cmpx_ne_u16_e32 0, v7
	s_cbranch_execz .LBB198_826
; %bb.819:                              ;   in Loop: Header=BB198_810 Depth=1
	v_mov_b64_e32 v[0:1], 0x8000000000000000
	s_mov_b32 s3, exec_lo
	v_cmpx_ne_u16_e32 0x80, v7
	s_cbranch_execz .LBB198_825
; %bb.820:                              ;   in Loop: Header=BB198_810 Depth=1
	v_and_b32_e32 v18, 0xffff, v7
	v_mov_b64_e32 v[0:1], 0x7f80000100000000
	s_mov_b32 s10, exec_lo
	s_delay_alu instid0(VALU_DEP_2) | instskip(NEXT) | instid1(VALU_DEP_1)
	v_and_b32_e32 v7, 0x7f, v18
	v_cmpx_ne_u32_e32 0x7f, v7
	s_cbranch_execz .LBB198_824
; %bb.821:                              ;   in Loop: Header=BB198_810 Depth=1
	v_dual_lshrrev_b32 v0, 3, v7 :: v_dual_bitop2_b32 v64, 7, v18 bitop3:0x40
	s_mov_b32 s11, exec_lo
	v_cmpx_gt_u32_e32 8, v7
; %bb.822:                              ;   in Loop: Header=BB198_810 Depth=1
	s_delay_alu instid0(VALU_DEP_2) | instskip(NEXT) | instid1(VALU_DEP_1)
	v_clz_i32_u32_e32 v0, v64
	v_min_u32_e32 v0, 32, v0
	s_delay_alu instid0(VALU_DEP_1) | instskip(NEXT) | instid1(VALU_DEP_1)
	v_subrev_nc_u32_e32 v1, 28, v0
	v_lshlrev_b64_e32 v[18:19], v1, v[64:65]
	s_delay_alu instid0(VALU_DEP_1)
	v_dual_sub_nc_u32 v0, 29, v0 :: v_dual_bitop2_b32 v64, 7, v18 bitop3:0x40
; %bb.823:                              ;   in Loop: Header=BB198_810 Depth=1
	s_or_b32 exec_lo, exec_lo, s11
	s_delay_alu instid0(VALU_DEP_1) | instskip(NEXT) | instid1(VALU_DEP_2)
	v_dual_lshlrev_b32 v1, 16, v6 :: v_dual_lshlrev_b32 v7, 20, v64
	v_lshl_add_u32 v0, v0, 23, 0x3c000000
	s_delay_alu instid0(VALU_DEP_2) | instskip(NEXT) | instid1(VALU_DEP_1)
	v_and_b32_e32 v1, 0x80000000, v1
	v_or3_b32 v1, v7, v1, v0
	v_mov_b32_e32 v0, v65
.LBB198_824:                            ;   in Loop: Header=BB198_810 Depth=1
	s_or_b32 exec_lo, exec_lo, s10
.LBB198_825:                            ;   in Loop: Header=BB198_810 Depth=1
	s_delay_alu instid0(SALU_CYCLE_1)
	s_or_b32 exec_lo, exec_lo, s3
.LBB198_826:                            ;   in Loop: Header=BB198_810 Depth=1
	s_delay_alu instid0(SALU_CYCLE_1) | instskip(SKIP_4) | instid1(VALU_DEP_3)
	s_or_b32 exec_lo, exec_lo, s0
	v_lshrrev_b32_e32 v7, 16, v6
	v_mov_b64_e32 v[18:19], 0
	v_mov_b64_e32 v[50:51], 0
	s_mov_b32 s0, exec_lo
	v_and_b32_e32 v52, 0xff, v7
	s_delay_alu instid0(VALU_DEP_1)
	v_cmpx_ne_u16_e32 0, v52
	s_cbranch_execz .LBB198_834
; %bb.827:                              ;   in Loop: Header=BB198_810 Depth=1
	v_mov_b64_e32 v[50:51], 0x80000000
	s_mov_b32 s3, exec_lo
	v_cmpx_ne_u16_e32 0x80, v52
	s_cbranch_execz .LBB198_833
; %bb.828:                              ;   in Loop: Header=BB198_810 Depth=1
	v_mov_b64_e32 v[50:51], 0x7f800001
	v_bfe_u32 v52, v6, 16, 7
	s_mov_b32 s10, exec_lo
	s_delay_alu instid0(VALU_DEP_1)
	v_cmpx_ne_u32_e32 0x7f, v52
	s_cbranch_execz .LBB198_832
; %bb.829:                              ;   in Loop: Header=BB198_810 Depth=1
	v_dual_lshrrev_b32 v50, 3, v52 :: v_dual_bitop2_b32 v64, 7, v7 bitop3:0x40
	s_mov_b32 s11, exec_lo
	v_cmpx_gt_u32_e32 8, v52
; %bb.830:                              ;   in Loop: Header=BB198_810 Depth=1
	s_delay_alu instid0(VALU_DEP_2) | instskip(NEXT) | instid1(VALU_DEP_1)
	v_clz_i32_u32_e32 v50, v64
	v_min_u32_e32 v50, 32, v50
	s_delay_alu instid0(VALU_DEP_1) | instskip(NEXT) | instid1(VALU_DEP_1)
	v_subrev_nc_u32_e32 v51, 28, v50
	v_lshlrev_b64_e32 v[52:53], v51, v[64:65]
	s_delay_alu instid0(VALU_DEP_1)
	v_dual_sub_nc_u32 v50, 29, v50 :: v_dual_bitop2_b32 v64, 7, v52 bitop3:0x40
; %bb.831:                              ;   in Loop: Header=BB198_810 Depth=1
	s_or_b32 exec_lo, exec_lo, s11
	s_delay_alu instid0(VALU_DEP_1) | instskip(NEXT) | instid1(VALU_DEP_2)
	v_dual_lshlrev_b32 v7, 24, v7 :: v_dual_lshlrev_b32 v51, 20, v64
	v_lshl_add_u32 v50, v50, 23, 0x3c000000
	s_delay_alu instid0(VALU_DEP_2) | instskip(NEXT) | instid1(VALU_DEP_1)
	v_and_b32_e32 v7, 0x80000000, v7
	v_or3_b32 v64, v51, v7, v50
	s_delay_alu instid0(VALU_DEP_1)
	v_mov_b64_e32 v[50:51], v[64:65]
.LBB198_832:                            ;   in Loop: Header=BB198_810 Depth=1
	s_or_b32 exec_lo, exec_lo, s10
.LBB198_833:                            ;   in Loop: Header=BB198_810 Depth=1
	s_delay_alu instid0(SALU_CYCLE_1)
	s_or_b32 exec_lo, exec_lo, s3
.LBB198_834:                            ;   in Loop: Header=BB198_810 Depth=1
	s_delay_alu instid0(SALU_CYCLE_1) | instskip(NEXT) | instid1(SALU_CYCLE_1)
	s_or_b32 exec_lo, exec_lo, s0
	s_mov_b32 s0, exec_lo
	v_cmpx_lt_u32_e32 0xffffff, v6
	s_cbranch_execz .LBB198_842
; %bb.835:                              ;   in Loop: Header=BB198_810 Depth=1
	v_mov_b64_e32 v[18:19], 0x8000000000000000
	v_lshrrev_b32_e32 v7, 24, v6
	s_mov_b32 s3, exec_lo
	s_delay_alu instid0(VALU_DEP_1)
	v_cmpx_ne_u32_e32 0x80, v7
	s_cbranch_execz .LBB198_841
; %bb.836:                              ;   in Loop: Header=BB198_810 Depth=1
	v_mov_b64_e32 v[18:19], 0x7f80000100000000
	v_bfe_u32 v52, v6, 24, 7
	s_mov_b32 s10, exec_lo
	s_delay_alu instid0(VALU_DEP_1)
	v_cmpx_ne_u32_e32 0x7f, v52
	s_cbranch_execz .LBB198_840
; %bb.837:                              ;   in Loop: Header=BB198_810 Depth=1
	v_dual_lshrrev_b32 v6, 3, v52 :: v_dual_bitop2_b32 v64, 7, v7 bitop3:0x40
	s_mov_b32 s11, exec_lo
	v_cmpx_gt_u32_e32 8, v52
; %bb.838:                              ;   in Loop: Header=BB198_810 Depth=1
	s_delay_alu instid0(VALU_DEP_2) | instskip(NEXT) | instid1(VALU_DEP_1)
	v_clz_i32_u32_e32 v6, v64
	v_min_u32_e32 v6, 32, v6
	s_delay_alu instid0(VALU_DEP_1) | instskip(SKIP_1) | instid1(VALU_DEP_2)
	v_subrev_nc_u32_e32 v18, 28, v6
	v_sub_nc_u32_e32 v6, 29, v6
	v_lshlrev_b64_e32 v[18:19], v18, v[64:65]
	s_delay_alu instid0(VALU_DEP_1)
	v_and_b32_e32 v64, 7, v18
; %bb.839:                              ;   in Loop: Header=BB198_810 Depth=1
	s_or_b32 exec_lo, exec_lo, s11
	s_delay_alu instid0(VALU_DEP_1) | instskip(SKIP_1) | instid1(VALU_DEP_2)
	v_dual_lshlrev_b32 v7, 24, v7 :: v_dual_lshlrev_b32 v18, 20, v64
	v_lshl_add_u32 v6, v6, 23, 0x3c000000
	v_and_b32_e32 v7, 0x80000000, v7
	s_delay_alu instid0(VALU_DEP_1)
	v_or3_b32 v19, v18, v7, v6
	v_mov_b32_e32 v18, v65
.LBB198_840:                            ;   in Loop: Header=BB198_810 Depth=1
	s_or_b32 exec_lo, exec_lo, s10
.LBB198_841:                            ;   in Loop: Header=BB198_810 Depth=1
	s_delay_alu instid0(SALU_CYCLE_1)
	s_or_b32 exec_lo, exec_lo, s3
.LBB198_842:                            ;   in Loop: Header=BB198_810 Depth=1
	s_delay_alu instid0(SALU_CYCLE_1)
	s_or_b32 exec_lo, exec_lo, s0
	scratch_load_b32 v6, off, s32 offset:192 ; 4-byte Folded Reload
	v_or_b32_e32 v1, v1, v9
	v_dual_add_nc_u32 v68, 1, v17 :: v_dual_bitop2_b32 v0, v0, v8 bitop3:0x54
	v_dual_add_nc_u32 v70, 2, v17 :: v_dual_bitop2_b32 v7, v19, v51 bitop3:0x54
	s_wait_loadcnt 0x0
	v_dual_add_nc_u32 v69, 3, v17 :: v_dual_add_nc_u32 v8, -1, v6
	v_or_b32_e32 v6, v18, v50
	v_pk_mul_f32 v[0:1], v[22:23], v[0:1]
	s_delay_alu instid0(VALU_DEP_3)
	v_cmp_eq_u32_e32 vcc_lo, v8, v67
	scratch_store_b64 off, v[0:1], s32 offset:204 ; 8-byte Folded Spill
	s_wait_xcnt 0x0
	v_pk_mul_f32 v[0:1], v[22:23], v[6:7]
	scratch_store_b64 off, v[0:1], s32 offset:196 ; 8-byte Folded Spill
	s_wait_xcnt 0x0
	s_and_saveexec_b32 s3, vcc_lo
	s_cbranch_execz .LBB198_844
; %bb.843:                              ;   in Loop: Header=BB198_810 Depth=1
	scratch_load_b64 v[0:1], off, s32 offset:204 th:TH_LOAD_LU ; 8-byte Folded Reload
	v_cmp_lt_i32_e64 s0, v17, v16
	s_wait_loadcnt 0x0
	s_delay_alu instid0(VALU_DEP_1) | instskip(SKIP_1) | instid1(VALU_DEP_1)
	v_cndmask_b32_e64 v0, 0, v0, s0
	v_cmp_lt_i32_e64 s0, v68, v16
	v_cndmask_b32_e64 v1, 0, v1, s0
	v_cmp_lt_i32_e64 s0, v70, v16
	s_clause 0x1
	scratch_store_b64 off, v[0:1], s32 offset:204
	scratch_load_b64 v[0:1], off, s32 offset:196 th:TH_LOAD_LU
	s_wait_loadcnt 0x0
	v_cndmask_b32_e64 v0, 0, v0, s0
	v_cmp_lt_i32_e64 s0, v69, v16
	s_delay_alu instid0(VALU_DEP_1)
	v_cndmask_b32_e64 v1, 0, v1, s0
	scratch_store_b64 off, v[0:1], s32 offset:196 ; 8-byte Folded Spill
.LBB198_844:                            ;   in Loop: Header=BB198_810 Depth=1
	s_wait_xcnt 0x0
	s_or_b32 exec_lo, exec_lo, s3
	flat_load_b32 v50, v[54:55] offset:128
	v_mov_b64_e32 v[0:1], 0
	v_mov_b64_e32 v[8:9], 0
	s_mov_b32 s3, exec_lo
	s_wait_loadcnt_dscnt 0x0
	v_and_b32_e32 v6, 0xff, v50
	s_wait_xcnt 0x0
	s_delay_alu instid0(VALU_DEP_1)
	v_cmpx_ne_u16_e32 0, v6
	s_cbranch_execz .LBB198_852
; %bb.845:                              ;   in Loop: Header=BB198_810 Depth=1
	v_mov_b64_e32 v[8:9], 0x80000000
	s_mov_b32 s10, exec_lo
	v_cmpx_ne_u16_e32 0x80, v6
	s_cbranch_execz .LBB198_851
; %bb.846:                              ;   in Loop: Header=BB198_810 Depth=1
	v_mov_b64_e32 v[8:9], 0x7f800001
	v_and_b32_e32 v7, 0x7f, v50
	s_mov_b32 s11, exec_lo
	s_delay_alu instid0(VALU_DEP_1)
	v_cmpx_ne_u32_e32 0x7f, v7
	s_cbranch_execz .LBB198_850
; %bb.847:                              ;   in Loop: Header=BB198_810 Depth=1
	v_dual_lshrrev_b32 v6, 3, v7 :: v_dual_bitop2_b32 v64, 7, v50 bitop3:0x40
	s_mov_b32 s16, exec_lo
	v_cmpx_gt_u32_e32 8, v7
; %bb.848:                              ;   in Loop: Header=BB198_810 Depth=1
	s_delay_alu instid0(VALU_DEP_2) | instskip(NEXT) | instid1(VALU_DEP_1)
	v_clz_i32_u32_e32 v6, v64
	v_min_u32_e32 v6, 32, v6
	s_delay_alu instid0(VALU_DEP_1) | instskip(NEXT) | instid1(VALU_DEP_1)
	v_subrev_nc_u32_e32 v7, 28, v6
	v_lshlrev_b64_e32 v[8:9], v7, v[64:65]
	s_delay_alu instid0(VALU_DEP_1)
	v_dual_sub_nc_u32 v6, 29, v6 :: v_dual_bitop2_b32 v64, 7, v8 bitop3:0x40
; %bb.849:                              ;   in Loop: Header=BB198_810 Depth=1
	s_or_b32 exec_lo, exec_lo, s16
	s_delay_alu instid0(VALU_DEP_1) | instskip(NEXT) | instid1(VALU_DEP_2)
	v_dual_lshlrev_b32 v7, 24, v50 :: v_dual_lshlrev_b32 v8, 20, v64
	v_lshl_add_u32 v6, v6, 23, 0x3c000000
	s_delay_alu instid0(VALU_DEP_2) | instskip(NEXT) | instid1(VALU_DEP_1)
	v_and_b32_e32 v7, 0x80000000, v7
	v_or3_b32 v64, v8, v7, v6
	s_delay_alu instid0(VALU_DEP_1)
	v_mov_b64_e32 v[8:9], v[64:65]
.LBB198_850:                            ;   in Loop: Header=BB198_810 Depth=1
	s_or_b32 exec_lo, exec_lo, s11
.LBB198_851:                            ;   in Loop: Header=BB198_810 Depth=1
	s_delay_alu instid0(SALU_CYCLE_1)
	s_or_b32 exec_lo, exec_lo, s10
.LBB198_852:                            ;   in Loop: Header=BB198_810 Depth=1
	s_delay_alu instid0(SALU_CYCLE_1) | instskip(SKIP_2) | instid1(VALU_DEP_1)
	s_or_b32 exec_lo, exec_lo, s3
	v_lshrrev_b16 v6, 8, v50
	s_mov_b32 s3, exec_lo
	v_cmpx_ne_u16_e32 0, v6
	s_cbranch_execz .LBB198_860
; %bb.853:                              ;   in Loop: Header=BB198_810 Depth=1
	v_mov_b64_e32 v[0:1], 0x8000000000000000
	s_mov_b32 s10, exec_lo
	v_cmpx_ne_u16_e32 0x80, v6
	s_cbranch_execz .LBB198_859
; %bb.854:                              ;   in Loop: Header=BB198_810 Depth=1
	v_and_b32_e32 v7, 0xffff, v6
	v_mov_b64_e32 v[0:1], 0x7f80000100000000
	s_mov_b32 s11, exec_lo
	s_delay_alu instid0(VALU_DEP_2) | instskip(NEXT) | instid1(VALU_DEP_1)
	v_and_b32_e32 v6, 0x7f, v7
	v_cmpx_ne_u32_e32 0x7f, v6
	s_cbranch_execz .LBB198_858
; %bb.855:                              ;   in Loop: Header=BB198_810 Depth=1
	v_dual_lshrrev_b32 v0, 3, v6 :: v_dual_bitop2_b32 v64, 7, v7 bitop3:0x40
	s_mov_b32 s16, exec_lo
	v_cmpx_gt_u32_e32 8, v6
; %bb.856:                              ;   in Loop: Header=BB198_810 Depth=1
	s_delay_alu instid0(VALU_DEP_2) | instskip(NEXT) | instid1(VALU_DEP_1)
	v_clz_i32_u32_e32 v0, v64
	v_min_u32_e32 v0, 32, v0
	s_delay_alu instid0(VALU_DEP_1) | instskip(NEXT) | instid1(VALU_DEP_1)
	v_subrev_nc_u32_e32 v1, 28, v0
	v_lshlrev_b64_e32 v[6:7], v1, v[64:65]
	s_delay_alu instid0(VALU_DEP_1)
	v_dual_sub_nc_u32 v0, 29, v0 :: v_dual_bitop2_b32 v64, 7, v6 bitop3:0x40
; %bb.857:                              ;   in Loop: Header=BB198_810 Depth=1
	s_or_b32 exec_lo, exec_lo, s16
	s_delay_alu instid0(VALU_DEP_1) | instskip(NEXT) | instid1(VALU_DEP_2)
	v_dual_lshlrev_b32 v1, 16, v50 :: v_dual_lshlrev_b32 v6, 20, v64
	v_lshl_add_u32 v0, v0, 23, 0x3c000000
	s_delay_alu instid0(VALU_DEP_2) | instskip(NEXT) | instid1(VALU_DEP_1)
	v_and_b32_e32 v1, 0x80000000, v1
	v_or3_b32 v1, v6, v1, v0
	v_mov_b32_e32 v0, v65
.LBB198_858:                            ;   in Loop: Header=BB198_810 Depth=1
	s_or_b32 exec_lo, exec_lo, s11
.LBB198_859:                            ;   in Loop: Header=BB198_810 Depth=1
	s_delay_alu instid0(SALU_CYCLE_1)
	s_or_b32 exec_lo, exec_lo, s10
.LBB198_860:                            ;   in Loop: Header=BB198_810 Depth=1
	s_delay_alu instid0(SALU_CYCLE_1) | instskip(SKIP_4) | instid1(VALU_DEP_3)
	s_or_b32 exec_lo, exec_lo, s3
	v_lshrrev_b32_e32 v51, 16, v50
	v_mov_b64_e32 v[18:19], 0
	v_mov_b64_e32 v[6:7], 0
	s_mov_b32 s3, exec_lo
	v_and_b32_e32 v52, 0xff, v51
	s_delay_alu instid0(VALU_DEP_1)
	v_cmpx_ne_u16_e32 0, v52
	s_cbranch_execz .LBB198_868
; %bb.861:                              ;   in Loop: Header=BB198_810 Depth=1
	v_mov_b64_e32 v[6:7], 0x80000000
	s_mov_b32 s10, exec_lo
	v_cmpx_ne_u16_e32 0x80, v52
	s_cbranch_execz .LBB198_867
; %bb.862:                              ;   in Loop: Header=BB198_810 Depth=1
	v_mov_b64_e32 v[6:7], 0x7f800001
	v_bfe_u32 v52, v50, 16, 7
	s_mov_b32 s11, exec_lo
	s_delay_alu instid0(VALU_DEP_1)
	v_cmpx_ne_u32_e32 0x7f, v52
	s_cbranch_execz .LBB198_866
; %bb.863:                              ;   in Loop: Header=BB198_810 Depth=1
	v_dual_lshrrev_b32 v6, 3, v52 :: v_dual_bitop2_b32 v64, 7, v51 bitop3:0x40
	s_mov_b32 s16, exec_lo
	v_cmpx_gt_u32_e32 8, v52
; %bb.864:                              ;   in Loop: Header=BB198_810 Depth=1
	s_delay_alu instid0(VALU_DEP_2) | instskip(NEXT) | instid1(VALU_DEP_1)
	v_clz_i32_u32_e32 v6, v64
	v_min_u32_e32 v6, 32, v6
	s_delay_alu instid0(VALU_DEP_1) | instskip(NEXT) | instid1(VALU_DEP_1)
	v_subrev_nc_u32_e32 v7, 28, v6
	v_lshlrev_b64_e32 v[52:53], v7, v[64:65]
	s_delay_alu instid0(VALU_DEP_1)
	v_dual_sub_nc_u32 v6, 29, v6 :: v_dual_bitop2_b32 v64, 7, v52 bitop3:0x40
; %bb.865:                              ;   in Loop: Header=BB198_810 Depth=1
	s_or_b32 exec_lo, exec_lo, s16
	s_delay_alu instid0(VALU_DEP_1) | instskip(NEXT) | instid1(VALU_DEP_2)
	v_dual_lshlrev_b32 v7, 24, v51 :: v_dual_lshlrev_b32 v51, 20, v64
	v_lshl_add_u32 v6, v6, 23, 0x3c000000
	s_delay_alu instid0(VALU_DEP_2) | instskip(NEXT) | instid1(VALU_DEP_1)
	v_and_b32_e32 v7, 0x80000000, v7
	v_or3_b32 v64, v51, v7, v6
	s_delay_alu instid0(VALU_DEP_1)
	v_mov_b64_e32 v[6:7], v[64:65]
.LBB198_866:                            ;   in Loop: Header=BB198_810 Depth=1
	s_or_b32 exec_lo, exec_lo, s11
.LBB198_867:                            ;   in Loop: Header=BB198_810 Depth=1
	s_delay_alu instid0(SALU_CYCLE_1)
	s_or_b32 exec_lo, exec_lo, s10
.LBB198_868:                            ;   in Loop: Header=BB198_810 Depth=1
	s_delay_alu instid0(SALU_CYCLE_1) | instskip(NEXT) | instid1(SALU_CYCLE_1)
	s_or_b32 exec_lo, exec_lo, s3
	s_mov_b32 s3, exec_lo
	v_cmpx_lt_u32_e32 0xffffff, v50
	s_cbranch_execz .LBB198_876
; %bb.869:                              ;   in Loop: Header=BB198_810 Depth=1
	v_mov_b64_e32 v[18:19], 0x8000000000000000
	v_lshrrev_b32_e32 v51, 24, v50
	s_mov_b32 s10, exec_lo
	s_delay_alu instid0(VALU_DEP_1)
	v_cmpx_ne_u32_e32 0x80, v51
	s_cbranch_execz .LBB198_875
; %bb.870:                              ;   in Loop: Header=BB198_810 Depth=1
	v_mov_b64_e32 v[18:19], 0x7f80000100000000
	v_bfe_u32 v50, v50, 24, 7
	s_mov_b32 s11, exec_lo
	s_delay_alu instid0(VALU_DEP_1)
	v_cmpx_ne_u32_e32 0x7f, v50
	s_cbranch_execz .LBB198_874
; %bb.871:                              ;   in Loop: Header=BB198_810 Depth=1
	v_dual_lshrrev_b32 v18, 3, v50 :: v_dual_bitop2_b32 v64, 7, v51 bitop3:0x40
	s_mov_b32 s16, exec_lo
	v_cmpx_gt_u32_e32 8, v50
; %bb.872:                              ;   in Loop: Header=BB198_810 Depth=1
	s_delay_alu instid0(VALU_DEP_2) | instskip(NEXT) | instid1(VALU_DEP_1)
	v_clz_i32_u32_e32 v18, v64
	v_min_u32_e32 v18, 32, v18
	s_delay_alu instid0(VALU_DEP_1) | instskip(NEXT) | instid1(VALU_DEP_1)
	v_subrev_nc_u32_e32 v19, 28, v18
	v_lshlrev_b64_e32 v[52:53], v19, v[64:65]
	s_delay_alu instid0(VALU_DEP_1)
	v_dual_sub_nc_u32 v18, 29, v18 :: v_dual_bitop2_b32 v64, 7, v52 bitop3:0x40
; %bb.873:                              ;   in Loop: Header=BB198_810 Depth=1
	s_or_b32 exec_lo, exec_lo, s16
	s_delay_alu instid0(VALU_DEP_1) | instskip(NEXT) | instid1(VALU_DEP_2)
	v_dual_lshlrev_b32 v19, 24, v51 :: v_dual_lshlrev_b32 v50, 20, v64
	v_lshl_add_u32 v18, v18, 23, 0x3c000000
	s_delay_alu instid0(VALU_DEP_2) | instskip(NEXT) | instid1(VALU_DEP_1)
	v_and_b32_e32 v19, 0x80000000, v19
	v_or3_b32 v19, v50, v19, v18
	v_mov_b32_e32 v18, v65
.LBB198_874:                            ;   in Loop: Header=BB198_810 Depth=1
	s_or_b32 exec_lo, exec_lo, s11
.LBB198_875:                            ;   in Loop: Header=BB198_810 Depth=1
	s_delay_alu instid0(SALU_CYCLE_1)
	s_or_b32 exec_lo, exec_lo, s10
.LBB198_876:                            ;   in Loop: Header=BB198_810 Depth=1
	s_delay_alu instid0(SALU_CYCLE_1) | instskip(SKIP_4) | instid1(VALU_DEP_3)
	s_or_b32 exec_lo, exec_lo, s3
	v_or_b32_e32 v1, v1, v9
	v_or_b32_e32 v0, v0, v8
	;; [unrolled: 1-line block ×4, first 2 shown]
	v_pk_mul_f32 v[0:1], v[22:23], v[0:1]
	scratch_store_b64 off, v[0:1], s32 offset:220 ; 8-byte Folded Spill
	s_wait_xcnt 0x0
	v_pk_mul_f32 v[0:1], v[22:23], v[6:7]
	scratch_store_b64 off, v[0:1], s32 offset:212 ; 8-byte Folded Spill
	s_wait_xcnt 0x0
	s_and_saveexec_b32 s3, vcc_lo
	s_cbranch_execz .LBB198_878
; %bb.877:                              ;   in Loop: Header=BB198_810 Depth=1
	scratch_load_b64 v[0:1], off, s32 offset:220 th:TH_LOAD_LU ; 8-byte Folded Reload
	v_cmp_lt_i32_e64 s0, v17, v16
	s_wait_loadcnt 0x0
	s_delay_alu instid0(VALU_DEP_1) | instskip(SKIP_1) | instid1(VALU_DEP_1)
	v_cndmask_b32_e64 v0, 0, v0, s0
	v_cmp_lt_i32_e64 s0, v68, v16
	v_cndmask_b32_e64 v1, 0, v1, s0
	v_cmp_lt_i32_e64 s0, v70, v16
	s_clause 0x1
	scratch_store_b64 off, v[0:1], s32 offset:220
	scratch_load_b64 v[0:1], off, s32 offset:212 th:TH_LOAD_LU
	s_wait_loadcnt 0x0
	v_cndmask_b32_e64 v0, 0, v0, s0
	v_cmp_lt_i32_e64 s0, v69, v16
	s_delay_alu instid0(VALU_DEP_1)
	v_cndmask_b32_e64 v1, 0, v1, s0
	scratch_store_b64 off, v[0:1], s32 offset:212 ; 8-byte Folded Spill
.LBB198_878:                            ;   in Loop: Header=BB198_810 Depth=1
	s_wait_xcnt 0x0
	s_or_b32 exec_lo, exec_lo, s3
	flat_load_b32 v50, v[54:55] offset:256
	v_mov_b64_e32 v[0:1], 0
	v_mov_b64_e32 v[8:9], 0
	s_mov_b32 s3, exec_lo
	s_wait_loadcnt_dscnt 0x0
	v_and_b32_e32 v6, 0xff, v50
	s_wait_xcnt 0x0
	s_delay_alu instid0(VALU_DEP_1)
	v_cmpx_ne_u16_e32 0, v6
	s_cbranch_execz .LBB198_886
; %bb.879:                              ;   in Loop: Header=BB198_810 Depth=1
	v_mov_b64_e32 v[8:9], 0x80000000
	s_mov_b32 s10, exec_lo
	v_cmpx_ne_u16_e32 0x80, v6
	s_cbranch_execz .LBB198_885
; %bb.880:                              ;   in Loop: Header=BB198_810 Depth=1
	v_mov_b64_e32 v[8:9], 0x7f800001
	v_and_b32_e32 v7, 0x7f, v50
	s_mov_b32 s11, exec_lo
	s_delay_alu instid0(VALU_DEP_1)
	v_cmpx_ne_u32_e32 0x7f, v7
	s_cbranch_execz .LBB198_884
; %bb.881:                              ;   in Loop: Header=BB198_810 Depth=1
	v_dual_lshrrev_b32 v6, 3, v7 :: v_dual_bitop2_b32 v64, 7, v50 bitop3:0x40
	s_mov_b32 s16, exec_lo
	v_cmpx_gt_u32_e32 8, v7
; %bb.882:                              ;   in Loop: Header=BB198_810 Depth=1
	s_delay_alu instid0(VALU_DEP_2) | instskip(NEXT) | instid1(VALU_DEP_1)
	v_clz_i32_u32_e32 v6, v64
	v_min_u32_e32 v6, 32, v6
	s_delay_alu instid0(VALU_DEP_1) | instskip(NEXT) | instid1(VALU_DEP_1)
	v_subrev_nc_u32_e32 v7, 28, v6
	v_lshlrev_b64_e32 v[8:9], v7, v[64:65]
	s_delay_alu instid0(VALU_DEP_1)
	v_dual_sub_nc_u32 v6, 29, v6 :: v_dual_bitop2_b32 v64, 7, v8 bitop3:0x40
; %bb.883:                              ;   in Loop: Header=BB198_810 Depth=1
	s_or_b32 exec_lo, exec_lo, s16
	s_delay_alu instid0(VALU_DEP_1) | instskip(NEXT) | instid1(VALU_DEP_2)
	v_dual_lshlrev_b32 v7, 24, v50 :: v_dual_lshlrev_b32 v8, 20, v64
	v_lshl_add_u32 v6, v6, 23, 0x3c000000
	s_delay_alu instid0(VALU_DEP_2) | instskip(NEXT) | instid1(VALU_DEP_1)
	v_and_b32_e32 v7, 0x80000000, v7
	v_or3_b32 v64, v8, v7, v6
	s_delay_alu instid0(VALU_DEP_1)
	v_mov_b64_e32 v[8:9], v[64:65]
.LBB198_884:                            ;   in Loop: Header=BB198_810 Depth=1
	s_or_b32 exec_lo, exec_lo, s11
.LBB198_885:                            ;   in Loop: Header=BB198_810 Depth=1
	s_delay_alu instid0(SALU_CYCLE_1)
	s_or_b32 exec_lo, exec_lo, s10
.LBB198_886:                            ;   in Loop: Header=BB198_810 Depth=1
	s_delay_alu instid0(SALU_CYCLE_1) | instskip(SKIP_2) | instid1(VALU_DEP_1)
	s_or_b32 exec_lo, exec_lo, s3
	v_lshrrev_b16 v6, 8, v50
	s_mov_b32 s3, exec_lo
	v_cmpx_ne_u16_e32 0, v6
	s_cbranch_execz .LBB198_894
; %bb.887:                              ;   in Loop: Header=BB198_810 Depth=1
	v_mov_b64_e32 v[0:1], 0x8000000000000000
	s_mov_b32 s10, exec_lo
	v_cmpx_ne_u16_e32 0x80, v6
	s_cbranch_execz .LBB198_893
; %bb.888:                              ;   in Loop: Header=BB198_810 Depth=1
	v_and_b32_e32 v7, 0xffff, v6
	v_mov_b64_e32 v[0:1], 0x7f80000100000000
	s_mov_b32 s11, exec_lo
	s_delay_alu instid0(VALU_DEP_2) | instskip(NEXT) | instid1(VALU_DEP_1)
	v_and_b32_e32 v6, 0x7f, v7
	v_cmpx_ne_u32_e32 0x7f, v6
	s_cbranch_execz .LBB198_892
; %bb.889:                              ;   in Loop: Header=BB198_810 Depth=1
	v_dual_lshrrev_b32 v0, 3, v6 :: v_dual_bitop2_b32 v64, 7, v7 bitop3:0x40
	s_mov_b32 s16, exec_lo
	v_cmpx_gt_u32_e32 8, v6
; %bb.890:                              ;   in Loop: Header=BB198_810 Depth=1
	s_delay_alu instid0(VALU_DEP_2) | instskip(NEXT) | instid1(VALU_DEP_1)
	v_clz_i32_u32_e32 v0, v64
	v_min_u32_e32 v0, 32, v0
	s_delay_alu instid0(VALU_DEP_1) | instskip(NEXT) | instid1(VALU_DEP_1)
	v_subrev_nc_u32_e32 v1, 28, v0
	v_lshlrev_b64_e32 v[6:7], v1, v[64:65]
	s_delay_alu instid0(VALU_DEP_1)
	v_dual_sub_nc_u32 v0, 29, v0 :: v_dual_bitop2_b32 v64, 7, v6 bitop3:0x40
; %bb.891:                              ;   in Loop: Header=BB198_810 Depth=1
	s_or_b32 exec_lo, exec_lo, s16
	s_delay_alu instid0(VALU_DEP_1) | instskip(NEXT) | instid1(VALU_DEP_2)
	v_dual_lshlrev_b32 v1, 16, v50 :: v_dual_lshlrev_b32 v6, 20, v64
	v_lshl_add_u32 v0, v0, 23, 0x3c000000
	s_delay_alu instid0(VALU_DEP_2) | instskip(NEXT) | instid1(VALU_DEP_1)
	v_and_b32_e32 v1, 0x80000000, v1
	v_or3_b32 v1, v6, v1, v0
	v_mov_b32_e32 v0, v65
.LBB198_892:                            ;   in Loop: Header=BB198_810 Depth=1
	s_or_b32 exec_lo, exec_lo, s11
.LBB198_893:                            ;   in Loop: Header=BB198_810 Depth=1
	s_delay_alu instid0(SALU_CYCLE_1)
	s_or_b32 exec_lo, exec_lo, s10
.LBB198_894:                            ;   in Loop: Header=BB198_810 Depth=1
	s_delay_alu instid0(SALU_CYCLE_1) | instskip(SKIP_4) | instid1(VALU_DEP_3)
	s_or_b32 exec_lo, exec_lo, s3
	v_lshrrev_b32_e32 v51, 16, v50
	v_mov_b64_e32 v[18:19], 0
	v_mov_b64_e32 v[6:7], 0
	s_mov_b32 s3, exec_lo
	v_and_b32_e32 v52, 0xff, v51
	s_delay_alu instid0(VALU_DEP_1)
	v_cmpx_ne_u16_e32 0, v52
	s_cbranch_execz .LBB198_902
; %bb.895:                              ;   in Loop: Header=BB198_810 Depth=1
	v_mov_b64_e32 v[6:7], 0x80000000
	s_mov_b32 s10, exec_lo
	v_cmpx_ne_u16_e32 0x80, v52
	s_cbranch_execz .LBB198_901
; %bb.896:                              ;   in Loop: Header=BB198_810 Depth=1
	v_mov_b64_e32 v[6:7], 0x7f800001
	v_bfe_u32 v52, v50, 16, 7
	s_mov_b32 s11, exec_lo
	s_delay_alu instid0(VALU_DEP_1)
	v_cmpx_ne_u32_e32 0x7f, v52
	s_cbranch_execz .LBB198_900
; %bb.897:                              ;   in Loop: Header=BB198_810 Depth=1
	v_dual_lshrrev_b32 v6, 3, v52 :: v_dual_bitop2_b32 v64, 7, v51 bitop3:0x40
	s_mov_b32 s16, exec_lo
	v_cmpx_gt_u32_e32 8, v52
; %bb.898:                              ;   in Loop: Header=BB198_810 Depth=1
	s_delay_alu instid0(VALU_DEP_2) | instskip(NEXT) | instid1(VALU_DEP_1)
	v_clz_i32_u32_e32 v6, v64
	v_min_u32_e32 v6, 32, v6
	s_delay_alu instid0(VALU_DEP_1) | instskip(NEXT) | instid1(VALU_DEP_1)
	v_subrev_nc_u32_e32 v7, 28, v6
	v_lshlrev_b64_e32 v[52:53], v7, v[64:65]
	s_delay_alu instid0(VALU_DEP_1)
	v_dual_sub_nc_u32 v6, 29, v6 :: v_dual_bitop2_b32 v64, 7, v52 bitop3:0x40
; %bb.899:                              ;   in Loop: Header=BB198_810 Depth=1
	s_or_b32 exec_lo, exec_lo, s16
	s_delay_alu instid0(VALU_DEP_1) | instskip(NEXT) | instid1(VALU_DEP_2)
	v_dual_lshlrev_b32 v7, 24, v51 :: v_dual_lshlrev_b32 v51, 20, v64
	v_lshl_add_u32 v6, v6, 23, 0x3c000000
	s_delay_alu instid0(VALU_DEP_2) | instskip(NEXT) | instid1(VALU_DEP_1)
	v_and_b32_e32 v7, 0x80000000, v7
	v_or3_b32 v64, v51, v7, v6
	s_delay_alu instid0(VALU_DEP_1)
	v_mov_b64_e32 v[6:7], v[64:65]
.LBB198_900:                            ;   in Loop: Header=BB198_810 Depth=1
	s_or_b32 exec_lo, exec_lo, s11
.LBB198_901:                            ;   in Loop: Header=BB198_810 Depth=1
	s_delay_alu instid0(SALU_CYCLE_1)
	s_or_b32 exec_lo, exec_lo, s10
.LBB198_902:                            ;   in Loop: Header=BB198_810 Depth=1
	s_delay_alu instid0(SALU_CYCLE_1) | instskip(NEXT) | instid1(SALU_CYCLE_1)
	s_or_b32 exec_lo, exec_lo, s3
	s_mov_b32 s3, exec_lo
	v_cmpx_lt_u32_e32 0xffffff, v50
	s_cbranch_execz .LBB198_910
; %bb.903:                              ;   in Loop: Header=BB198_810 Depth=1
	v_mov_b64_e32 v[18:19], 0x8000000000000000
	v_lshrrev_b32_e32 v51, 24, v50
	s_mov_b32 s10, exec_lo
	s_delay_alu instid0(VALU_DEP_1)
	v_cmpx_ne_u32_e32 0x80, v51
	s_cbranch_execz .LBB198_909
; %bb.904:                              ;   in Loop: Header=BB198_810 Depth=1
	v_mov_b64_e32 v[18:19], 0x7f80000100000000
	v_bfe_u32 v50, v50, 24, 7
	s_mov_b32 s11, exec_lo
	s_delay_alu instid0(VALU_DEP_1)
	v_cmpx_ne_u32_e32 0x7f, v50
	s_cbranch_execz .LBB198_908
; %bb.905:                              ;   in Loop: Header=BB198_810 Depth=1
	v_dual_lshrrev_b32 v18, 3, v50 :: v_dual_bitop2_b32 v64, 7, v51 bitop3:0x40
	s_mov_b32 s16, exec_lo
	v_cmpx_gt_u32_e32 8, v50
; %bb.906:                              ;   in Loop: Header=BB198_810 Depth=1
	s_delay_alu instid0(VALU_DEP_2) | instskip(NEXT) | instid1(VALU_DEP_1)
	v_clz_i32_u32_e32 v18, v64
	v_min_u32_e32 v18, 32, v18
	s_delay_alu instid0(VALU_DEP_1) | instskip(NEXT) | instid1(VALU_DEP_1)
	v_subrev_nc_u32_e32 v19, 28, v18
	v_lshlrev_b64_e32 v[52:53], v19, v[64:65]
	s_delay_alu instid0(VALU_DEP_1)
	v_dual_sub_nc_u32 v18, 29, v18 :: v_dual_bitop2_b32 v64, 7, v52 bitop3:0x40
; %bb.907:                              ;   in Loop: Header=BB198_810 Depth=1
	s_or_b32 exec_lo, exec_lo, s16
	s_delay_alu instid0(VALU_DEP_1) | instskip(NEXT) | instid1(VALU_DEP_2)
	v_dual_lshlrev_b32 v19, 24, v51 :: v_dual_lshlrev_b32 v50, 20, v64
	v_lshl_add_u32 v18, v18, 23, 0x3c000000
	s_delay_alu instid0(VALU_DEP_2) | instskip(NEXT) | instid1(VALU_DEP_1)
	v_and_b32_e32 v19, 0x80000000, v19
	v_or3_b32 v19, v50, v19, v18
	v_mov_b32_e32 v18, v65
.LBB198_908:                            ;   in Loop: Header=BB198_810 Depth=1
	s_or_b32 exec_lo, exec_lo, s11
.LBB198_909:                            ;   in Loop: Header=BB198_810 Depth=1
	s_delay_alu instid0(SALU_CYCLE_1)
	s_or_b32 exec_lo, exec_lo, s10
.LBB198_910:                            ;   in Loop: Header=BB198_810 Depth=1
	s_delay_alu instid0(SALU_CYCLE_1) | instskip(SKIP_4) | instid1(VALU_DEP_3)
	s_or_b32 exec_lo, exec_lo, s3
	v_or_b32_e32 v1, v1, v9
	v_or_b32_e32 v0, v0, v8
	;; [unrolled: 1-line block ×4, first 2 shown]
	v_pk_mul_f32 v[0:1], v[22:23], v[0:1]
	scratch_store_b64 off, v[0:1], s32 offset:236 ; 8-byte Folded Spill
	s_wait_xcnt 0x0
	v_pk_mul_f32 v[0:1], v[22:23], v[6:7]
	scratch_store_b64 off, v[0:1], s32 offset:228 ; 8-byte Folded Spill
	s_wait_xcnt 0x0
	s_and_saveexec_b32 s3, vcc_lo
	s_cbranch_execz .LBB198_912
; %bb.911:                              ;   in Loop: Header=BB198_810 Depth=1
	scratch_load_b64 v[0:1], off, s32 offset:236 th:TH_LOAD_LU ; 8-byte Folded Reload
	v_cmp_lt_i32_e64 s0, v17, v16
	s_wait_loadcnt 0x0
	s_delay_alu instid0(VALU_DEP_1) | instskip(SKIP_1) | instid1(VALU_DEP_1)
	v_cndmask_b32_e64 v0, 0, v0, s0
	v_cmp_lt_i32_e64 s0, v68, v16
	v_cndmask_b32_e64 v1, 0, v1, s0
	v_cmp_lt_i32_e64 s0, v70, v16
	s_clause 0x1
	scratch_store_b64 off, v[0:1], s32 offset:236
	scratch_load_b64 v[0:1], off, s32 offset:228 th:TH_LOAD_LU
	s_wait_loadcnt 0x0
	v_cndmask_b32_e64 v0, 0, v0, s0
	v_cmp_lt_i32_e64 s0, v69, v16
	s_delay_alu instid0(VALU_DEP_1)
	v_cndmask_b32_e64 v1, 0, v1, s0
	scratch_store_b64 off, v[0:1], s32 offset:228 ; 8-byte Folded Spill
.LBB198_912:                            ;   in Loop: Header=BB198_810 Depth=1
	s_wait_xcnt 0x0
	s_or_b32 exec_lo, exec_lo, s3
	flat_load_b32 v50, v[54:55] offset:384
	v_mov_b64_e32 v[0:1], 0
	v_mov_b64_e32 v[8:9], 0
	s_mov_b32 s3, exec_lo
	s_wait_loadcnt_dscnt 0x0
	v_and_b32_e32 v6, 0xff, v50
	s_wait_xcnt 0x0
	s_delay_alu instid0(VALU_DEP_1)
	v_cmpx_ne_u16_e32 0, v6
	s_cbranch_execz .LBB198_920
; %bb.913:                              ;   in Loop: Header=BB198_810 Depth=1
	v_mov_b64_e32 v[8:9], 0x80000000
	s_mov_b32 s10, exec_lo
	v_cmpx_ne_u16_e32 0x80, v6
	s_cbranch_execz .LBB198_919
; %bb.914:                              ;   in Loop: Header=BB198_810 Depth=1
	v_mov_b64_e32 v[8:9], 0x7f800001
	v_and_b32_e32 v7, 0x7f, v50
	s_mov_b32 s11, exec_lo
	s_delay_alu instid0(VALU_DEP_1)
	v_cmpx_ne_u32_e32 0x7f, v7
	s_cbranch_execz .LBB198_918
; %bb.915:                              ;   in Loop: Header=BB198_810 Depth=1
	v_dual_lshrrev_b32 v6, 3, v7 :: v_dual_bitop2_b32 v64, 7, v50 bitop3:0x40
	s_mov_b32 s16, exec_lo
	v_cmpx_gt_u32_e32 8, v7
; %bb.916:                              ;   in Loop: Header=BB198_810 Depth=1
	s_delay_alu instid0(VALU_DEP_2) | instskip(NEXT) | instid1(VALU_DEP_1)
	v_clz_i32_u32_e32 v6, v64
	v_min_u32_e32 v6, 32, v6
	s_delay_alu instid0(VALU_DEP_1) | instskip(NEXT) | instid1(VALU_DEP_1)
	v_subrev_nc_u32_e32 v7, 28, v6
	v_lshlrev_b64_e32 v[8:9], v7, v[64:65]
	s_delay_alu instid0(VALU_DEP_1)
	v_dual_sub_nc_u32 v6, 29, v6 :: v_dual_bitop2_b32 v64, 7, v8 bitop3:0x40
; %bb.917:                              ;   in Loop: Header=BB198_810 Depth=1
	s_or_b32 exec_lo, exec_lo, s16
	s_delay_alu instid0(VALU_DEP_1) | instskip(NEXT) | instid1(VALU_DEP_2)
	v_dual_lshlrev_b32 v7, 24, v50 :: v_dual_lshlrev_b32 v8, 20, v64
	v_lshl_add_u32 v6, v6, 23, 0x3c000000
	s_delay_alu instid0(VALU_DEP_2) | instskip(NEXT) | instid1(VALU_DEP_1)
	v_and_b32_e32 v7, 0x80000000, v7
	v_or3_b32 v64, v8, v7, v6
	s_delay_alu instid0(VALU_DEP_1)
	v_mov_b64_e32 v[8:9], v[64:65]
.LBB198_918:                            ;   in Loop: Header=BB198_810 Depth=1
	s_or_b32 exec_lo, exec_lo, s11
.LBB198_919:                            ;   in Loop: Header=BB198_810 Depth=1
	s_delay_alu instid0(SALU_CYCLE_1)
	s_or_b32 exec_lo, exec_lo, s10
.LBB198_920:                            ;   in Loop: Header=BB198_810 Depth=1
	s_delay_alu instid0(SALU_CYCLE_1) | instskip(SKIP_2) | instid1(VALU_DEP_1)
	s_or_b32 exec_lo, exec_lo, s3
	v_lshrrev_b16 v6, 8, v50
	s_mov_b32 s3, exec_lo
	v_cmpx_ne_u16_e32 0, v6
	s_cbranch_execz .LBB198_928
; %bb.921:                              ;   in Loop: Header=BB198_810 Depth=1
	v_mov_b64_e32 v[0:1], 0x8000000000000000
	s_mov_b32 s10, exec_lo
	v_cmpx_ne_u16_e32 0x80, v6
	s_cbranch_execz .LBB198_927
; %bb.922:                              ;   in Loop: Header=BB198_810 Depth=1
	v_and_b32_e32 v7, 0xffff, v6
	v_mov_b64_e32 v[0:1], 0x7f80000100000000
	s_mov_b32 s11, exec_lo
	s_delay_alu instid0(VALU_DEP_2) | instskip(NEXT) | instid1(VALU_DEP_1)
	v_and_b32_e32 v6, 0x7f, v7
	v_cmpx_ne_u32_e32 0x7f, v6
	s_cbranch_execz .LBB198_926
; %bb.923:                              ;   in Loop: Header=BB198_810 Depth=1
	v_dual_lshrrev_b32 v0, 3, v6 :: v_dual_bitop2_b32 v64, 7, v7 bitop3:0x40
	s_mov_b32 s16, exec_lo
	v_cmpx_gt_u32_e32 8, v6
; %bb.924:                              ;   in Loop: Header=BB198_810 Depth=1
	s_delay_alu instid0(VALU_DEP_2) | instskip(NEXT) | instid1(VALU_DEP_1)
	v_clz_i32_u32_e32 v0, v64
	v_min_u32_e32 v0, 32, v0
	s_delay_alu instid0(VALU_DEP_1) | instskip(NEXT) | instid1(VALU_DEP_1)
	v_subrev_nc_u32_e32 v1, 28, v0
	v_lshlrev_b64_e32 v[6:7], v1, v[64:65]
	s_delay_alu instid0(VALU_DEP_1)
	v_dual_sub_nc_u32 v0, 29, v0 :: v_dual_bitop2_b32 v64, 7, v6 bitop3:0x40
; %bb.925:                              ;   in Loop: Header=BB198_810 Depth=1
	s_or_b32 exec_lo, exec_lo, s16
	s_delay_alu instid0(VALU_DEP_1) | instskip(NEXT) | instid1(VALU_DEP_2)
	v_dual_lshlrev_b32 v1, 16, v50 :: v_dual_lshlrev_b32 v6, 20, v64
	v_lshl_add_u32 v0, v0, 23, 0x3c000000
	s_delay_alu instid0(VALU_DEP_2) | instskip(NEXT) | instid1(VALU_DEP_1)
	v_and_b32_e32 v1, 0x80000000, v1
	v_or3_b32 v1, v6, v1, v0
	v_mov_b32_e32 v0, v65
.LBB198_926:                            ;   in Loop: Header=BB198_810 Depth=1
	s_or_b32 exec_lo, exec_lo, s11
.LBB198_927:                            ;   in Loop: Header=BB198_810 Depth=1
	s_delay_alu instid0(SALU_CYCLE_1)
	s_or_b32 exec_lo, exec_lo, s10
.LBB198_928:                            ;   in Loop: Header=BB198_810 Depth=1
	s_delay_alu instid0(SALU_CYCLE_1) | instskip(SKIP_4) | instid1(VALU_DEP_3)
	s_or_b32 exec_lo, exec_lo, s3
	v_lshrrev_b32_e32 v51, 16, v50
	v_mov_b64_e32 v[18:19], 0
	v_mov_b64_e32 v[6:7], 0
	s_mov_b32 s3, exec_lo
	v_and_b32_e32 v52, 0xff, v51
	s_delay_alu instid0(VALU_DEP_1)
	v_cmpx_ne_u16_e32 0, v52
	s_cbranch_execz .LBB198_936
; %bb.929:                              ;   in Loop: Header=BB198_810 Depth=1
	v_mov_b64_e32 v[6:7], 0x80000000
	s_mov_b32 s10, exec_lo
	v_cmpx_ne_u16_e32 0x80, v52
	s_cbranch_execz .LBB198_935
; %bb.930:                              ;   in Loop: Header=BB198_810 Depth=1
	v_mov_b64_e32 v[6:7], 0x7f800001
	v_bfe_u32 v52, v50, 16, 7
	s_mov_b32 s11, exec_lo
	s_delay_alu instid0(VALU_DEP_1)
	v_cmpx_ne_u32_e32 0x7f, v52
	s_cbranch_execz .LBB198_934
; %bb.931:                              ;   in Loop: Header=BB198_810 Depth=1
	v_dual_lshrrev_b32 v6, 3, v52 :: v_dual_bitop2_b32 v64, 7, v51 bitop3:0x40
	s_mov_b32 s16, exec_lo
	v_cmpx_gt_u32_e32 8, v52
; %bb.932:                              ;   in Loop: Header=BB198_810 Depth=1
	s_delay_alu instid0(VALU_DEP_2) | instskip(NEXT) | instid1(VALU_DEP_1)
	v_clz_i32_u32_e32 v6, v64
	v_min_u32_e32 v6, 32, v6
	s_delay_alu instid0(VALU_DEP_1) | instskip(NEXT) | instid1(VALU_DEP_1)
	v_subrev_nc_u32_e32 v7, 28, v6
	v_lshlrev_b64_e32 v[52:53], v7, v[64:65]
	s_delay_alu instid0(VALU_DEP_1)
	v_dual_sub_nc_u32 v6, 29, v6 :: v_dual_bitop2_b32 v64, 7, v52 bitop3:0x40
; %bb.933:                              ;   in Loop: Header=BB198_810 Depth=1
	s_or_b32 exec_lo, exec_lo, s16
	s_delay_alu instid0(VALU_DEP_1) | instskip(NEXT) | instid1(VALU_DEP_2)
	v_dual_lshlrev_b32 v7, 24, v51 :: v_dual_lshlrev_b32 v51, 20, v64
	v_lshl_add_u32 v6, v6, 23, 0x3c000000
	s_delay_alu instid0(VALU_DEP_2) | instskip(NEXT) | instid1(VALU_DEP_1)
	v_and_b32_e32 v7, 0x80000000, v7
	v_or3_b32 v64, v51, v7, v6
	s_delay_alu instid0(VALU_DEP_1)
	v_mov_b64_e32 v[6:7], v[64:65]
.LBB198_934:                            ;   in Loop: Header=BB198_810 Depth=1
	s_or_b32 exec_lo, exec_lo, s11
.LBB198_935:                            ;   in Loop: Header=BB198_810 Depth=1
	s_delay_alu instid0(SALU_CYCLE_1)
	s_or_b32 exec_lo, exec_lo, s10
.LBB198_936:                            ;   in Loop: Header=BB198_810 Depth=1
	s_delay_alu instid0(SALU_CYCLE_1) | instskip(NEXT) | instid1(SALU_CYCLE_1)
	s_or_b32 exec_lo, exec_lo, s3
	s_mov_b32 s3, exec_lo
	v_cmpx_lt_u32_e32 0xffffff, v50
	s_cbranch_execz .LBB198_944
; %bb.937:                              ;   in Loop: Header=BB198_810 Depth=1
	v_mov_b64_e32 v[18:19], 0x8000000000000000
	v_lshrrev_b32_e32 v51, 24, v50
	s_mov_b32 s10, exec_lo
	s_delay_alu instid0(VALU_DEP_1)
	v_cmpx_ne_u32_e32 0x80, v51
	s_cbranch_execz .LBB198_943
; %bb.938:                              ;   in Loop: Header=BB198_810 Depth=1
	v_mov_b64_e32 v[18:19], 0x7f80000100000000
	v_bfe_u32 v50, v50, 24, 7
	s_mov_b32 s11, exec_lo
	s_delay_alu instid0(VALU_DEP_1)
	v_cmpx_ne_u32_e32 0x7f, v50
	s_cbranch_execz .LBB198_942
; %bb.939:                              ;   in Loop: Header=BB198_810 Depth=1
	v_dual_lshrrev_b32 v18, 3, v50 :: v_dual_bitop2_b32 v64, 7, v51 bitop3:0x40
	s_mov_b32 s16, exec_lo
	v_cmpx_gt_u32_e32 8, v50
; %bb.940:                              ;   in Loop: Header=BB198_810 Depth=1
	s_delay_alu instid0(VALU_DEP_2) | instskip(NEXT) | instid1(VALU_DEP_1)
	v_clz_i32_u32_e32 v18, v64
	v_min_u32_e32 v18, 32, v18
	s_delay_alu instid0(VALU_DEP_1) | instskip(NEXT) | instid1(VALU_DEP_1)
	v_subrev_nc_u32_e32 v19, 28, v18
	v_lshlrev_b64_e32 v[52:53], v19, v[64:65]
	s_delay_alu instid0(VALU_DEP_1)
	v_dual_sub_nc_u32 v18, 29, v18 :: v_dual_bitop2_b32 v64, 7, v52 bitop3:0x40
; %bb.941:                              ;   in Loop: Header=BB198_810 Depth=1
	s_or_b32 exec_lo, exec_lo, s16
	s_delay_alu instid0(VALU_DEP_1) | instskip(NEXT) | instid1(VALU_DEP_2)
	v_dual_lshlrev_b32 v19, 24, v51 :: v_dual_lshlrev_b32 v50, 20, v64
	v_lshl_add_u32 v18, v18, 23, 0x3c000000
	s_delay_alu instid0(VALU_DEP_2) | instskip(NEXT) | instid1(VALU_DEP_1)
	v_and_b32_e32 v19, 0x80000000, v19
	v_or3_b32 v19, v50, v19, v18
	v_mov_b32_e32 v18, v65
.LBB198_942:                            ;   in Loop: Header=BB198_810 Depth=1
	s_or_b32 exec_lo, exec_lo, s11
.LBB198_943:                            ;   in Loop: Header=BB198_810 Depth=1
	s_delay_alu instid0(SALU_CYCLE_1)
	s_or_b32 exec_lo, exec_lo, s10
.LBB198_944:                            ;   in Loop: Header=BB198_810 Depth=1
	s_delay_alu instid0(SALU_CYCLE_1) | instskip(SKIP_4) | instid1(VALU_DEP_3)
	s_or_b32 exec_lo, exec_lo, s3
	v_or_b32_e32 v1, v1, v9
	v_or_b32_e32 v0, v0, v8
	v_or_b32_e32 v7, v19, v7
	v_or_b32_e32 v6, v18, v6
	v_pk_mul_f32 v[0:1], v[22:23], v[0:1]
	scratch_store_b64 off, v[0:1], s32 offset:252 ; 8-byte Folded Spill
	s_wait_xcnt 0x0
	v_pk_mul_f32 v[0:1], v[22:23], v[6:7]
	scratch_store_b64 off, v[0:1], s32 offset:244 ; 8-byte Folded Spill
	s_wait_xcnt 0x0
	s_and_saveexec_b32 s3, vcc_lo
	s_cbranch_execz .LBB198_946
; %bb.945:                              ;   in Loop: Header=BB198_810 Depth=1
	scratch_load_b64 v[0:1], off, s32 offset:252 th:TH_LOAD_LU ; 8-byte Folded Reload
	v_cmp_lt_i32_e64 s0, v17, v16
	s_wait_loadcnt 0x0
	s_delay_alu instid0(VALU_DEP_1) | instskip(SKIP_1) | instid1(VALU_DEP_1)
	v_cndmask_b32_e64 v0, 0, v0, s0
	v_cmp_lt_i32_e64 s0, v68, v16
	v_cndmask_b32_e64 v1, 0, v1, s0
	v_cmp_lt_i32_e64 s0, v70, v16
	s_clause 0x1
	scratch_store_b64 off, v[0:1], s32 offset:252
	scratch_load_b64 v[0:1], off, s32 offset:244 th:TH_LOAD_LU
	s_wait_loadcnt 0x0
	v_cndmask_b32_e64 v0, 0, v0, s0
	v_cmp_lt_i32_e64 s0, v69, v16
	s_delay_alu instid0(VALU_DEP_1)
	v_cndmask_b32_e64 v1, 0, v1, s0
	scratch_store_b64 off, v[0:1], s32 offset:244 ; 8-byte Folded Spill
.LBB198_946:                            ;   in Loop: Header=BB198_810 Depth=1
	s_wait_xcnt 0x0
	s_or_b32 exec_lo, exec_lo, s3
	flat_load_b32 v50, v[54:55] offset:512
	v_mov_b64_e32 v[0:1], 0
	v_mov_b64_e32 v[8:9], 0
	s_mov_b32 s3, exec_lo
	s_wait_loadcnt_dscnt 0x0
	v_and_b32_e32 v6, 0xff, v50
	s_wait_xcnt 0x0
	s_delay_alu instid0(VALU_DEP_1)
	v_cmpx_ne_u16_e32 0, v6
	s_cbranch_execz .LBB198_954
; %bb.947:                              ;   in Loop: Header=BB198_810 Depth=1
	v_mov_b64_e32 v[8:9], 0x80000000
	s_mov_b32 s10, exec_lo
	v_cmpx_ne_u16_e32 0x80, v6
	s_cbranch_execz .LBB198_953
; %bb.948:                              ;   in Loop: Header=BB198_810 Depth=1
	v_mov_b64_e32 v[8:9], 0x7f800001
	v_and_b32_e32 v7, 0x7f, v50
	s_mov_b32 s11, exec_lo
	s_delay_alu instid0(VALU_DEP_1)
	v_cmpx_ne_u32_e32 0x7f, v7
	s_cbranch_execz .LBB198_952
; %bb.949:                              ;   in Loop: Header=BB198_810 Depth=1
	v_dual_lshrrev_b32 v6, 3, v7 :: v_dual_bitop2_b32 v64, 7, v50 bitop3:0x40
	s_mov_b32 s16, exec_lo
	v_cmpx_gt_u32_e32 8, v7
; %bb.950:                              ;   in Loop: Header=BB198_810 Depth=1
	s_delay_alu instid0(VALU_DEP_2) | instskip(NEXT) | instid1(VALU_DEP_1)
	v_clz_i32_u32_e32 v6, v64
	v_min_u32_e32 v6, 32, v6
	s_delay_alu instid0(VALU_DEP_1) | instskip(NEXT) | instid1(VALU_DEP_1)
	v_subrev_nc_u32_e32 v7, 28, v6
	v_lshlrev_b64_e32 v[8:9], v7, v[64:65]
	s_delay_alu instid0(VALU_DEP_1)
	v_dual_sub_nc_u32 v6, 29, v6 :: v_dual_bitop2_b32 v64, 7, v8 bitop3:0x40
; %bb.951:                              ;   in Loop: Header=BB198_810 Depth=1
	s_or_b32 exec_lo, exec_lo, s16
	s_delay_alu instid0(VALU_DEP_1) | instskip(NEXT) | instid1(VALU_DEP_2)
	v_dual_lshlrev_b32 v7, 24, v50 :: v_dual_lshlrev_b32 v8, 20, v64
	v_lshl_add_u32 v6, v6, 23, 0x3c000000
	s_delay_alu instid0(VALU_DEP_2) | instskip(NEXT) | instid1(VALU_DEP_1)
	v_and_b32_e32 v7, 0x80000000, v7
	v_or3_b32 v64, v8, v7, v6
	s_delay_alu instid0(VALU_DEP_1)
	v_mov_b64_e32 v[8:9], v[64:65]
.LBB198_952:                            ;   in Loop: Header=BB198_810 Depth=1
	s_or_b32 exec_lo, exec_lo, s11
.LBB198_953:                            ;   in Loop: Header=BB198_810 Depth=1
	s_delay_alu instid0(SALU_CYCLE_1)
	s_or_b32 exec_lo, exec_lo, s10
.LBB198_954:                            ;   in Loop: Header=BB198_810 Depth=1
	s_delay_alu instid0(SALU_CYCLE_1) | instskip(SKIP_2) | instid1(VALU_DEP_1)
	s_or_b32 exec_lo, exec_lo, s3
	v_lshrrev_b16 v6, 8, v50
	s_mov_b32 s3, exec_lo
	v_cmpx_ne_u16_e32 0, v6
	s_cbranch_execz .LBB198_962
; %bb.955:                              ;   in Loop: Header=BB198_810 Depth=1
	v_mov_b64_e32 v[0:1], 0x8000000000000000
	s_mov_b32 s10, exec_lo
	v_cmpx_ne_u16_e32 0x80, v6
	s_cbranch_execz .LBB198_961
; %bb.956:                              ;   in Loop: Header=BB198_810 Depth=1
	v_and_b32_e32 v7, 0xffff, v6
	v_mov_b64_e32 v[0:1], 0x7f80000100000000
	s_mov_b32 s11, exec_lo
	s_delay_alu instid0(VALU_DEP_2) | instskip(NEXT) | instid1(VALU_DEP_1)
	v_and_b32_e32 v6, 0x7f, v7
	v_cmpx_ne_u32_e32 0x7f, v6
	s_cbranch_execz .LBB198_960
; %bb.957:                              ;   in Loop: Header=BB198_810 Depth=1
	v_dual_lshrrev_b32 v0, 3, v6 :: v_dual_bitop2_b32 v64, 7, v7 bitop3:0x40
	s_mov_b32 s16, exec_lo
	v_cmpx_gt_u32_e32 8, v6
; %bb.958:                              ;   in Loop: Header=BB198_810 Depth=1
	s_delay_alu instid0(VALU_DEP_2) | instskip(NEXT) | instid1(VALU_DEP_1)
	v_clz_i32_u32_e32 v0, v64
	v_min_u32_e32 v0, 32, v0
	s_delay_alu instid0(VALU_DEP_1) | instskip(NEXT) | instid1(VALU_DEP_1)
	v_subrev_nc_u32_e32 v1, 28, v0
	v_lshlrev_b64_e32 v[6:7], v1, v[64:65]
	s_delay_alu instid0(VALU_DEP_1)
	v_dual_sub_nc_u32 v0, 29, v0 :: v_dual_bitop2_b32 v64, 7, v6 bitop3:0x40
; %bb.959:                              ;   in Loop: Header=BB198_810 Depth=1
	s_or_b32 exec_lo, exec_lo, s16
	s_delay_alu instid0(VALU_DEP_1) | instskip(NEXT) | instid1(VALU_DEP_2)
	v_dual_lshlrev_b32 v1, 16, v50 :: v_dual_lshlrev_b32 v6, 20, v64
	v_lshl_add_u32 v0, v0, 23, 0x3c000000
	s_delay_alu instid0(VALU_DEP_2) | instskip(NEXT) | instid1(VALU_DEP_1)
	v_and_b32_e32 v1, 0x80000000, v1
	v_or3_b32 v1, v6, v1, v0
	v_mov_b32_e32 v0, v65
.LBB198_960:                            ;   in Loop: Header=BB198_810 Depth=1
	s_or_b32 exec_lo, exec_lo, s11
.LBB198_961:                            ;   in Loop: Header=BB198_810 Depth=1
	s_delay_alu instid0(SALU_CYCLE_1)
	s_or_b32 exec_lo, exec_lo, s10
.LBB198_962:                            ;   in Loop: Header=BB198_810 Depth=1
	s_delay_alu instid0(SALU_CYCLE_1) | instskip(SKIP_4) | instid1(VALU_DEP_3)
	s_or_b32 exec_lo, exec_lo, s3
	v_lshrrev_b32_e32 v51, 16, v50
	v_mov_b64_e32 v[18:19], 0
	v_mov_b64_e32 v[6:7], 0
	s_mov_b32 s3, exec_lo
	v_and_b32_e32 v52, 0xff, v51
	s_delay_alu instid0(VALU_DEP_1)
	v_cmpx_ne_u16_e32 0, v52
	s_cbranch_execz .LBB198_970
; %bb.963:                              ;   in Loop: Header=BB198_810 Depth=1
	v_mov_b64_e32 v[6:7], 0x80000000
	s_mov_b32 s10, exec_lo
	v_cmpx_ne_u16_e32 0x80, v52
	s_cbranch_execz .LBB198_969
; %bb.964:                              ;   in Loop: Header=BB198_810 Depth=1
	v_mov_b64_e32 v[6:7], 0x7f800001
	v_bfe_u32 v52, v50, 16, 7
	s_mov_b32 s11, exec_lo
	s_delay_alu instid0(VALU_DEP_1)
	v_cmpx_ne_u32_e32 0x7f, v52
	s_cbranch_execz .LBB198_968
; %bb.965:                              ;   in Loop: Header=BB198_810 Depth=1
	v_dual_lshrrev_b32 v6, 3, v52 :: v_dual_bitop2_b32 v64, 7, v51 bitop3:0x40
	s_mov_b32 s16, exec_lo
	v_cmpx_gt_u32_e32 8, v52
; %bb.966:                              ;   in Loop: Header=BB198_810 Depth=1
	s_delay_alu instid0(VALU_DEP_2) | instskip(NEXT) | instid1(VALU_DEP_1)
	v_clz_i32_u32_e32 v6, v64
	v_min_u32_e32 v6, 32, v6
	s_delay_alu instid0(VALU_DEP_1) | instskip(NEXT) | instid1(VALU_DEP_1)
	v_subrev_nc_u32_e32 v7, 28, v6
	v_lshlrev_b64_e32 v[52:53], v7, v[64:65]
	s_delay_alu instid0(VALU_DEP_1)
	v_dual_sub_nc_u32 v6, 29, v6 :: v_dual_bitop2_b32 v64, 7, v52 bitop3:0x40
; %bb.967:                              ;   in Loop: Header=BB198_810 Depth=1
	s_or_b32 exec_lo, exec_lo, s16
	s_delay_alu instid0(VALU_DEP_1) | instskip(NEXT) | instid1(VALU_DEP_2)
	v_dual_lshlrev_b32 v7, 24, v51 :: v_dual_lshlrev_b32 v51, 20, v64
	v_lshl_add_u32 v6, v6, 23, 0x3c000000
	s_delay_alu instid0(VALU_DEP_2) | instskip(NEXT) | instid1(VALU_DEP_1)
	v_and_b32_e32 v7, 0x80000000, v7
	v_or3_b32 v64, v51, v7, v6
	s_delay_alu instid0(VALU_DEP_1)
	v_mov_b64_e32 v[6:7], v[64:65]
.LBB198_968:                            ;   in Loop: Header=BB198_810 Depth=1
	s_or_b32 exec_lo, exec_lo, s11
.LBB198_969:                            ;   in Loop: Header=BB198_810 Depth=1
	s_delay_alu instid0(SALU_CYCLE_1)
	s_or_b32 exec_lo, exec_lo, s10
.LBB198_970:                            ;   in Loop: Header=BB198_810 Depth=1
	s_delay_alu instid0(SALU_CYCLE_1) | instskip(NEXT) | instid1(SALU_CYCLE_1)
	s_or_b32 exec_lo, exec_lo, s3
	s_mov_b32 s3, exec_lo
	v_cmpx_lt_u32_e32 0xffffff, v50
	s_cbranch_execz .LBB198_978
; %bb.971:                              ;   in Loop: Header=BB198_810 Depth=1
	v_mov_b64_e32 v[18:19], 0x8000000000000000
	v_lshrrev_b32_e32 v51, 24, v50
	s_mov_b32 s10, exec_lo
	s_delay_alu instid0(VALU_DEP_1)
	v_cmpx_ne_u32_e32 0x80, v51
	s_cbranch_execz .LBB198_977
; %bb.972:                              ;   in Loop: Header=BB198_810 Depth=1
	v_mov_b64_e32 v[18:19], 0x7f80000100000000
	v_bfe_u32 v50, v50, 24, 7
	s_mov_b32 s11, exec_lo
	s_delay_alu instid0(VALU_DEP_1)
	v_cmpx_ne_u32_e32 0x7f, v50
	s_cbranch_execz .LBB198_976
; %bb.973:                              ;   in Loop: Header=BB198_810 Depth=1
	v_dual_lshrrev_b32 v18, 3, v50 :: v_dual_bitop2_b32 v64, 7, v51 bitop3:0x40
	s_mov_b32 s16, exec_lo
	v_cmpx_gt_u32_e32 8, v50
; %bb.974:                              ;   in Loop: Header=BB198_810 Depth=1
	s_delay_alu instid0(VALU_DEP_2) | instskip(NEXT) | instid1(VALU_DEP_1)
	v_clz_i32_u32_e32 v18, v64
	v_min_u32_e32 v18, 32, v18
	s_delay_alu instid0(VALU_DEP_1) | instskip(NEXT) | instid1(VALU_DEP_1)
	v_subrev_nc_u32_e32 v19, 28, v18
	v_lshlrev_b64_e32 v[52:53], v19, v[64:65]
	s_delay_alu instid0(VALU_DEP_1)
	v_dual_sub_nc_u32 v18, 29, v18 :: v_dual_bitop2_b32 v64, 7, v52 bitop3:0x40
; %bb.975:                              ;   in Loop: Header=BB198_810 Depth=1
	s_or_b32 exec_lo, exec_lo, s16
	s_delay_alu instid0(VALU_DEP_1) | instskip(NEXT) | instid1(VALU_DEP_2)
	v_dual_lshlrev_b32 v19, 24, v51 :: v_dual_lshlrev_b32 v50, 20, v64
	v_lshl_add_u32 v18, v18, 23, 0x3c000000
	s_delay_alu instid0(VALU_DEP_2) | instskip(NEXT) | instid1(VALU_DEP_1)
	v_and_b32_e32 v19, 0x80000000, v19
	v_or3_b32 v19, v50, v19, v18
	v_mov_b32_e32 v18, v65
.LBB198_976:                            ;   in Loop: Header=BB198_810 Depth=1
	s_or_b32 exec_lo, exec_lo, s11
.LBB198_977:                            ;   in Loop: Header=BB198_810 Depth=1
	s_delay_alu instid0(SALU_CYCLE_1)
	s_or_b32 exec_lo, exec_lo, s10
.LBB198_978:                            ;   in Loop: Header=BB198_810 Depth=1
	s_delay_alu instid0(SALU_CYCLE_1) | instskip(SKIP_4) | instid1(VALU_DEP_3)
	s_or_b32 exec_lo, exec_lo, s3
	v_or_b32_e32 v1, v1, v9
	v_or_b32_e32 v0, v0, v8
	;; [unrolled: 1-line block ×4, first 2 shown]
	v_pk_mul_f32 v[84:85], v[22:23], v[0:1]
	s_delay_alu instid0(VALU_DEP_2)
	v_pk_mul_f32 v[82:83], v[22:23], v[6:7]
	s_and_saveexec_b32 s3, vcc_lo
	s_cbranch_execz .LBB198_980
; %bb.979:                              ;   in Loop: Header=BB198_810 Depth=1
	v_cmp_lt_i32_e64 s0, v17, v16
	s_delay_alu instid0(VALU_DEP_1) | instskip(SKIP_1) | instid1(VALU_DEP_1)
	v_cndmask_b32_e64 v84, 0, v84, s0
	v_cmp_lt_i32_e64 s0, v68, v16
	v_cndmask_b32_e64 v85, 0, v85, s0
	v_cmp_lt_i32_e64 s0, v70, v16
	s_delay_alu instid0(VALU_DEP_1) | instskip(SKIP_1) | instid1(VALU_DEP_1)
	v_cndmask_b32_e64 v82, 0, v82, s0
	v_cmp_lt_i32_e64 s0, v69, v16
	v_cndmask_b32_e64 v83, 0, v83, s0
.LBB198_980:                            ;   in Loop: Header=BB198_810 Depth=1
	s_or_b32 exec_lo, exec_lo, s3
	flat_load_b32 v50, v[54:55] offset:640
	v_mov_b64_e32 v[0:1], 0
	v_mov_b64_e32 v[8:9], 0
	s_mov_b32 s3, exec_lo
	s_wait_loadcnt_dscnt 0x0
	v_and_b32_e32 v6, 0xff, v50
	s_wait_xcnt 0x0
	s_delay_alu instid0(VALU_DEP_1)
	v_cmpx_ne_u16_e32 0, v6
	s_cbranch_execz .LBB198_988
; %bb.981:                              ;   in Loop: Header=BB198_810 Depth=1
	v_mov_b64_e32 v[8:9], 0x80000000
	s_mov_b32 s10, exec_lo
	v_cmpx_ne_u16_e32 0x80, v6
	s_cbranch_execz .LBB198_987
; %bb.982:                              ;   in Loop: Header=BB198_810 Depth=1
	v_mov_b64_e32 v[8:9], 0x7f800001
	v_and_b32_e32 v7, 0x7f, v50
	s_mov_b32 s11, exec_lo
	s_delay_alu instid0(VALU_DEP_1)
	v_cmpx_ne_u32_e32 0x7f, v7
	s_cbranch_execz .LBB198_986
; %bb.983:                              ;   in Loop: Header=BB198_810 Depth=1
	v_dual_lshrrev_b32 v6, 3, v7 :: v_dual_bitop2_b32 v64, 7, v50 bitop3:0x40
	s_mov_b32 s16, exec_lo
	v_cmpx_gt_u32_e32 8, v7
; %bb.984:                              ;   in Loop: Header=BB198_810 Depth=1
	s_delay_alu instid0(VALU_DEP_2) | instskip(NEXT) | instid1(VALU_DEP_1)
	v_clz_i32_u32_e32 v6, v64
	v_min_u32_e32 v6, 32, v6
	s_delay_alu instid0(VALU_DEP_1) | instskip(NEXT) | instid1(VALU_DEP_1)
	v_subrev_nc_u32_e32 v7, 28, v6
	v_lshlrev_b64_e32 v[8:9], v7, v[64:65]
	s_delay_alu instid0(VALU_DEP_1)
	v_dual_sub_nc_u32 v6, 29, v6 :: v_dual_bitop2_b32 v64, 7, v8 bitop3:0x40
; %bb.985:                              ;   in Loop: Header=BB198_810 Depth=1
	s_or_b32 exec_lo, exec_lo, s16
	s_delay_alu instid0(VALU_DEP_1) | instskip(NEXT) | instid1(VALU_DEP_2)
	v_dual_lshlrev_b32 v7, 24, v50 :: v_dual_lshlrev_b32 v8, 20, v64
	v_lshl_add_u32 v6, v6, 23, 0x3c000000
	s_delay_alu instid0(VALU_DEP_2) | instskip(NEXT) | instid1(VALU_DEP_1)
	v_and_b32_e32 v7, 0x80000000, v7
	v_or3_b32 v64, v8, v7, v6
	s_delay_alu instid0(VALU_DEP_1)
	v_mov_b64_e32 v[8:9], v[64:65]
.LBB198_986:                            ;   in Loop: Header=BB198_810 Depth=1
	s_or_b32 exec_lo, exec_lo, s11
.LBB198_987:                            ;   in Loop: Header=BB198_810 Depth=1
	s_delay_alu instid0(SALU_CYCLE_1)
	s_or_b32 exec_lo, exec_lo, s10
.LBB198_988:                            ;   in Loop: Header=BB198_810 Depth=1
	s_delay_alu instid0(SALU_CYCLE_1) | instskip(SKIP_2) | instid1(VALU_DEP_1)
	s_or_b32 exec_lo, exec_lo, s3
	v_lshrrev_b16 v6, 8, v50
	s_mov_b32 s3, exec_lo
	v_cmpx_ne_u16_e32 0, v6
	s_cbranch_execz .LBB198_996
; %bb.989:                              ;   in Loop: Header=BB198_810 Depth=1
	v_mov_b64_e32 v[0:1], 0x8000000000000000
	s_mov_b32 s10, exec_lo
	v_cmpx_ne_u16_e32 0x80, v6
	s_cbranch_execz .LBB198_995
; %bb.990:                              ;   in Loop: Header=BB198_810 Depth=1
	v_and_b32_e32 v7, 0xffff, v6
	v_mov_b64_e32 v[0:1], 0x7f80000100000000
	s_mov_b32 s11, exec_lo
	s_delay_alu instid0(VALU_DEP_2) | instskip(NEXT) | instid1(VALU_DEP_1)
	v_and_b32_e32 v6, 0x7f, v7
	v_cmpx_ne_u32_e32 0x7f, v6
	s_cbranch_execz .LBB198_994
; %bb.991:                              ;   in Loop: Header=BB198_810 Depth=1
	v_dual_lshrrev_b32 v0, 3, v6 :: v_dual_bitop2_b32 v64, 7, v7 bitop3:0x40
	s_mov_b32 s16, exec_lo
	v_cmpx_gt_u32_e32 8, v6
; %bb.992:                              ;   in Loop: Header=BB198_810 Depth=1
	s_delay_alu instid0(VALU_DEP_2) | instskip(NEXT) | instid1(VALU_DEP_1)
	v_clz_i32_u32_e32 v0, v64
	v_min_u32_e32 v0, 32, v0
	s_delay_alu instid0(VALU_DEP_1) | instskip(NEXT) | instid1(VALU_DEP_1)
	v_subrev_nc_u32_e32 v1, 28, v0
	v_lshlrev_b64_e32 v[6:7], v1, v[64:65]
	s_delay_alu instid0(VALU_DEP_1)
	v_dual_sub_nc_u32 v0, 29, v0 :: v_dual_bitop2_b32 v64, 7, v6 bitop3:0x40
; %bb.993:                              ;   in Loop: Header=BB198_810 Depth=1
	s_or_b32 exec_lo, exec_lo, s16
	s_delay_alu instid0(VALU_DEP_1) | instskip(NEXT) | instid1(VALU_DEP_2)
	v_dual_lshlrev_b32 v1, 16, v50 :: v_dual_lshlrev_b32 v6, 20, v64
	v_lshl_add_u32 v0, v0, 23, 0x3c000000
	s_delay_alu instid0(VALU_DEP_2) | instskip(NEXT) | instid1(VALU_DEP_1)
	v_and_b32_e32 v1, 0x80000000, v1
	v_or3_b32 v1, v6, v1, v0
	v_mov_b32_e32 v0, v65
.LBB198_994:                            ;   in Loop: Header=BB198_810 Depth=1
	s_or_b32 exec_lo, exec_lo, s11
.LBB198_995:                            ;   in Loop: Header=BB198_810 Depth=1
	s_delay_alu instid0(SALU_CYCLE_1)
	s_or_b32 exec_lo, exec_lo, s10
.LBB198_996:                            ;   in Loop: Header=BB198_810 Depth=1
	s_delay_alu instid0(SALU_CYCLE_1) | instskip(SKIP_4) | instid1(VALU_DEP_3)
	s_or_b32 exec_lo, exec_lo, s3
	v_lshrrev_b32_e32 v51, 16, v50
	v_mov_b64_e32 v[18:19], 0
	v_mov_b64_e32 v[6:7], 0
	s_mov_b32 s3, exec_lo
	v_and_b32_e32 v52, 0xff, v51
	s_delay_alu instid0(VALU_DEP_1)
	v_cmpx_ne_u16_e32 0, v52
	s_cbranch_execz .LBB198_1004
; %bb.997:                              ;   in Loop: Header=BB198_810 Depth=1
	v_mov_b64_e32 v[6:7], 0x80000000
	s_mov_b32 s10, exec_lo
	v_cmpx_ne_u16_e32 0x80, v52
	s_cbranch_execz .LBB198_1003
; %bb.998:                              ;   in Loop: Header=BB198_810 Depth=1
	v_mov_b64_e32 v[6:7], 0x7f800001
	v_bfe_u32 v52, v50, 16, 7
	s_mov_b32 s11, exec_lo
	s_delay_alu instid0(VALU_DEP_1)
	v_cmpx_ne_u32_e32 0x7f, v52
	s_cbranch_execz .LBB198_1002
; %bb.999:                              ;   in Loop: Header=BB198_810 Depth=1
	v_dual_lshrrev_b32 v6, 3, v52 :: v_dual_bitop2_b32 v64, 7, v51 bitop3:0x40
	s_mov_b32 s16, exec_lo
	v_cmpx_gt_u32_e32 8, v52
; %bb.1000:                             ;   in Loop: Header=BB198_810 Depth=1
	s_delay_alu instid0(VALU_DEP_2) | instskip(NEXT) | instid1(VALU_DEP_1)
	v_clz_i32_u32_e32 v6, v64
	v_min_u32_e32 v6, 32, v6
	s_delay_alu instid0(VALU_DEP_1) | instskip(NEXT) | instid1(VALU_DEP_1)
	v_subrev_nc_u32_e32 v7, 28, v6
	v_lshlrev_b64_e32 v[52:53], v7, v[64:65]
	s_delay_alu instid0(VALU_DEP_1)
	v_dual_sub_nc_u32 v6, 29, v6 :: v_dual_bitop2_b32 v64, 7, v52 bitop3:0x40
; %bb.1001:                             ;   in Loop: Header=BB198_810 Depth=1
	s_or_b32 exec_lo, exec_lo, s16
	s_delay_alu instid0(VALU_DEP_1) | instskip(NEXT) | instid1(VALU_DEP_2)
	v_dual_lshlrev_b32 v7, 24, v51 :: v_dual_lshlrev_b32 v51, 20, v64
	v_lshl_add_u32 v6, v6, 23, 0x3c000000
	s_delay_alu instid0(VALU_DEP_2) | instskip(NEXT) | instid1(VALU_DEP_1)
	v_and_b32_e32 v7, 0x80000000, v7
	v_or3_b32 v64, v51, v7, v6
	s_delay_alu instid0(VALU_DEP_1)
	v_mov_b64_e32 v[6:7], v[64:65]
.LBB198_1002:                           ;   in Loop: Header=BB198_810 Depth=1
	s_or_b32 exec_lo, exec_lo, s11
.LBB198_1003:                           ;   in Loop: Header=BB198_810 Depth=1
	s_delay_alu instid0(SALU_CYCLE_1)
	s_or_b32 exec_lo, exec_lo, s10
.LBB198_1004:                           ;   in Loop: Header=BB198_810 Depth=1
	s_delay_alu instid0(SALU_CYCLE_1) | instskip(NEXT) | instid1(SALU_CYCLE_1)
	s_or_b32 exec_lo, exec_lo, s3
	s_mov_b32 s3, exec_lo
	v_cmpx_lt_u32_e32 0xffffff, v50
	s_cbranch_execz .LBB198_1012
; %bb.1005:                             ;   in Loop: Header=BB198_810 Depth=1
	v_mov_b64_e32 v[18:19], 0x8000000000000000
	v_lshrrev_b32_e32 v51, 24, v50
	s_mov_b32 s10, exec_lo
	s_delay_alu instid0(VALU_DEP_1)
	v_cmpx_ne_u32_e32 0x80, v51
	s_cbranch_execz .LBB198_1011
; %bb.1006:                             ;   in Loop: Header=BB198_810 Depth=1
	v_mov_b64_e32 v[18:19], 0x7f80000100000000
	v_bfe_u32 v50, v50, 24, 7
	s_mov_b32 s11, exec_lo
	s_delay_alu instid0(VALU_DEP_1)
	v_cmpx_ne_u32_e32 0x7f, v50
	s_cbranch_execz .LBB198_1010
; %bb.1007:                             ;   in Loop: Header=BB198_810 Depth=1
	v_dual_lshrrev_b32 v18, 3, v50 :: v_dual_bitop2_b32 v64, 7, v51 bitop3:0x40
	s_mov_b32 s16, exec_lo
	v_cmpx_gt_u32_e32 8, v50
; %bb.1008:                             ;   in Loop: Header=BB198_810 Depth=1
	s_delay_alu instid0(VALU_DEP_2) | instskip(NEXT) | instid1(VALU_DEP_1)
	v_clz_i32_u32_e32 v18, v64
	v_min_u32_e32 v18, 32, v18
	s_delay_alu instid0(VALU_DEP_1) | instskip(NEXT) | instid1(VALU_DEP_1)
	v_subrev_nc_u32_e32 v19, 28, v18
	v_lshlrev_b64_e32 v[52:53], v19, v[64:65]
	s_delay_alu instid0(VALU_DEP_1)
	v_dual_sub_nc_u32 v18, 29, v18 :: v_dual_bitop2_b32 v64, 7, v52 bitop3:0x40
; %bb.1009:                             ;   in Loop: Header=BB198_810 Depth=1
	s_or_b32 exec_lo, exec_lo, s16
	s_delay_alu instid0(VALU_DEP_1) | instskip(NEXT) | instid1(VALU_DEP_2)
	v_dual_lshlrev_b32 v19, 24, v51 :: v_dual_lshlrev_b32 v50, 20, v64
	v_lshl_add_u32 v18, v18, 23, 0x3c000000
	s_delay_alu instid0(VALU_DEP_2) | instskip(NEXT) | instid1(VALU_DEP_1)
	v_and_b32_e32 v19, 0x80000000, v19
	v_or3_b32 v19, v50, v19, v18
	v_mov_b32_e32 v18, v65
.LBB198_1010:                           ;   in Loop: Header=BB198_810 Depth=1
	s_or_b32 exec_lo, exec_lo, s11
.LBB198_1011:                           ;   in Loop: Header=BB198_810 Depth=1
	s_delay_alu instid0(SALU_CYCLE_1)
	s_or_b32 exec_lo, exec_lo, s10
.LBB198_1012:                           ;   in Loop: Header=BB198_810 Depth=1
	s_delay_alu instid0(SALU_CYCLE_1) | instskip(SKIP_4) | instid1(VALU_DEP_3)
	s_or_b32 exec_lo, exec_lo, s3
	v_or_b32_e32 v1, v1, v9
	v_or_b32_e32 v0, v0, v8
	;; [unrolled: 1-line block ×4, first 2 shown]
	v_pk_mul_f32 v[96:97], v[22:23], v[0:1]
	s_delay_alu instid0(VALU_DEP_2)
	v_pk_mul_f32 v[86:87], v[22:23], v[6:7]
	s_and_saveexec_b32 s3, vcc_lo
	s_cbranch_execz .LBB198_1014
; %bb.1013:                             ;   in Loop: Header=BB198_810 Depth=1
	v_cmp_lt_i32_e64 s0, v17, v16
	s_delay_alu instid0(VALU_DEP_1) | instskip(SKIP_1) | instid1(VALU_DEP_1)
	v_cndmask_b32_e64 v96, 0, v96, s0
	v_cmp_lt_i32_e64 s0, v68, v16
	v_cndmask_b32_e64 v97, 0, v97, s0
	v_cmp_lt_i32_e64 s0, v70, v16
	s_delay_alu instid0(VALU_DEP_1) | instskip(SKIP_1) | instid1(VALU_DEP_1)
	v_cndmask_b32_e64 v86, 0, v86, s0
	v_cmp_lt_i32_e64 s0, v69, v16
	v_cndmask_b32_e64 v87, 0, v87, s0
.LBB198_1014:                           ;   in Loop: Header=BB198_810 Depth=1
	s_or_b32 exec_lo, exec_lo, s3
	flat_load_b32 v50, v[54:55] offset:768
	v_mov_b64_e32 v[0:1], 0
	v_mov_b64_e32 v[8:9], 0
	s_mov_b32 s3, exec_lo
	s_wait_loadcnt_dscnt 0x0
	v_and_b32_e32 v6, 0xff, v50
	s_wait_xcnt 0x0
	s_delay_alu instid0(VALU_DEP_1)
	v_cmpx_ne_u16_e32 0, v6
	s_cbranch_execz .LBB198_1022
; %bb.1015:                             ;   in Loop: Header=BB198_810 Depth=1
	v_mov_b64_e32 v[8:9], 0x80000000
	s_mov_b32 s10, exec_lo
	v_cmpx_ne_u16_e32 0x80, v6
	s_cbranch_execz .LBB198_1021
; %bb.1016:                             ;   in Loop: Header=BB198_810 Depth=1
	v_mov_b64_e32 v[8:9], 0x7f800001
	v_and_b32_e32 v7, 0x7f, v50
	s_mov_b32 s11, exec_lo
	s_delay_alu instid0(VALU_DEP_1)
	v_cmpx_ne_u32_e32 0x7f, v7
	s_cbranch_execz .LBB198_1020
; %bb.1017:                             ;   in Loop: Header=BB198_810 Depth=1
	v_dual_lshrrev_b32 v6, 3, v7 :: v_dual_bitop2_b32 v64, 7, v50 bitop3:0x40
	s_mov_b32 s16, exec_lo
	v_cmpx_gt_u32_e32 8, v7
; %bb.1018:                             ;   in Loop: Header=BB198_810 Depth=1
	s_delay_alu instid0(VALU_DEP_2) | instskip(NEXT) | instid1(VALU_DEP_1)
	v_clz_i32_u32_e32 v6, v64
	v_min_u32_e32 v6, 32, v6
	s_delay_alu instid0(VALU_DEP_1) | instskip(NEXT) | instid1(VALU_DEP_1)
	v_subrev_nc_u32_e32 v7, 28, v6
	v_lshlrev_b64_e32 v[8:9], v7, v[64:65]
	s_delay_alu instid0(VALU_DEP_1)
	v_dual_sub_nc_u32 v6, 29, v6 :: v_dual_bitop2_b32 v64, 7, v8 bitop3:0x40
; %bb.1019:                             ;   in Loop: Header=BB198_810 Depth=1
	s_or_b32 exec_lo, exec_lo, s16
	s_delay_alu instid0(VALU_DEP_1) | instskip(NEXT) | instid1(VALU_DEP_2)
	v_dual_lshlrev_b32 v7, 24, v50 :: v_dual_lshlrev_b32 v8, 20, v64
	v_lshl_add_u32 v6, v6, 23, 0x3c000000
	s_delay_alu instid0(VALU_DEP_2) | instskip(NEXT) | instid1(VALU_DEP_1)
	v_and_b32_e32 v7, 0x80000000, v7
	v_or3_b32 v64, v8, v7, v6
	s_delay_alu instid0(VALU_DEP_1)
	v_mov_b64_e32 v[8:9], v[64:65]
.LBB198_1020:                           ;   in Loop: Header=BB198_810 Depth=1
	s_or_b32 exec_lo, exec_lo, s11
.LBB198_1021:                           ;   in Loop: Header=BB198_810 Depth=1
	s_delay_alu instid0(SALU_CYCLE_1)
	s_or_b32 exec_lo, exec_lo, s10
.LBB198_1022:                           ;   in Loop: Header=BB198_810 Depth=1
	s_delay_alu instid0(SALU_CYCLE_1) | instskip(SKIP_2) | instid1(VALU_DEP_1)
	s_or_b32 exec_lo, exec_lo, s3
	v_lshrrev_b16 v6, 8, v50
	s_mov_b32 s3, exec_lo
	v_cmpx_ne_u16_e32 0, v6
	s_cbranch_execz .LBB198_1030
; %bb.1023:                             ;   in Loop: Header=BB198_810 Depth=1
	v_mov_b64_e32 v[0:1], 0x8000000000000000
	s_mov_b32 s10, exec_lo
	v_cmpx_ne_u16_e32 0x80, v6
	s_cbranch_execz .LBB198_1029
; %bb.1024:                             ;   in Loop: Header=BB198_810 Depth=1
	v_and_b32_e32 v7, 0xffff, v6
	v_mov_b64_e32 v[0:1], 0x7f80000100000000
	s_mov_b32 s11, exec_lo
	s_delay_alu instid0(VALU_DEP_2) | instskip(NEXT) | instid1(VALU_DEP_1)
	v_and_b32_e32 v6, 0x7f, v7
	v_cmpx_ne_u32_e32 0x7f, v6
	s_cbranch_execz .LBB198_1028
; %bb.1025:                             ;   in Loop: Header=BB198_810 Depth=1
	v_dual_lshrrev_b32 v0, 3, v6 :: v_dual_bitop2_b32 v64, 7, v7 bitop3:0x40
	s_mov_b32 s16, exec_lo
	v_cmpx_gt_u32_e32 8, v6
; %bb.1026:                             ;   in Loop: Header=BB198_810 Depth=1
	s_delay_alu instid0(VALU_DEP_2) | instskip(NEXT) | instid1(VALU_DEP_1)
	v_clz_i32_u32_e32 v0, v64
	v_min_u32_e32 v0, 32, v0
	s_delay_alu instid0(VALU_DEP_1) | instskip(NEXT) | instid1(VALU_DEP_1)
	v_subrev_nc_u32_e32 v1, 28, v0
	v_lshlrev_b64_e32 v[6:7], v1, v[64:65]
	s_delay_alu instid0(VALU_DEP_1)
	v_dual_sub_nc_u32 v0, 29, v0 :: v_dual_bitop2_b32 v64, 7, v6 bitop3:0x40
; %bb.1027:                             ;   in Loop: Header=BB198_810 Depth=1
	s_or_b32 exec_lo, exec_lo, s16
	s_delay_alu instid0(VALU_DEP_1) | instskip(NEXT) | instid1(VALU_DEP_2)
	v_dual_lshlrev_b32 v1, 16, v50 :: v_dual_lshlrev_b32 v6, 20, v64
	v_lshl_add_u32 v0, v0, 23, 0x3c000000
	s_delay_alu instid0(VALU_DEP_2) | instskip(NEXT) | instid1(VALU_DEP_1)
	v_and_b32_e32 v1, 0x80000000, v1
	v_or3_b32 v1, v6, v1, v0
	v_mov_b32_e32 v0, v65
.LBB198_1028:                           ;   in Loop: Header=BB198_810 Depth=1
	s_or_b32 exec_lo, exec_lo, s11
.LBB198_1029:                           ;   in Loop: Header=BB198_810 Depth=1
	s_delay_alu instid0(SALU_CYCLE_1)
	s_or_b32 exec_lo, exec_lo, s10
.LBB198_1030:                           ;   in Loop: Header=BB198_810 Depth=1
	s_delay_alu instid0(SALU_CYCLE_1) | instskip(SKIP_4) | instid1(VALU_DEP_3)
	s_or_b32 exec_lo, exec_lo, s3
	v_lshrrev_b32_e32 v51, 16, v50
	v_mov_b64_e32 v[18:19], 0
	v_mov_b64_e32 v[6:7], 0
	s_mov_b32 s3, exec_lo
	v_and_b32_e32 v52, 0xff, v51
	s_delay_alu instid0(VALU_DEP_1)
	v_cmpx_ne_u16_e32 0, v52
	s_cbranch_execz .LBB198_1038
; %bb.1031:                             ;   in Loop: Header=BB198_810 Depth=1
	v_mov_b64_e32 v[6:7], 0x80000000
	s_mov_b32 s10, exec_lo
	v_cmpx_ne_u16_e32 0x80, v52
	s_cbranch_execz .LBB198_1037
; %bb.1032:                             ;   in Loop: Header=BB198_810 Depth=1
	v_mov_b64_e32 v[6:7], 0x7f800001
	v_bfe_u32 v52, v50, 16, 7
	s_mov_b32 s11, exec_lo
	s_delay_alu instid0(VALU_DEP_1)
	v_cmpx_ne_u32_e32 0x7f, v52
	s_cbranch_execz .LBB198_1036
; %bb.1033:                             ;   in Loop: Header=BB198_810 Depth=1
	v_dual_lshrrev_b32 v6, 3, v52 :: v_dual_bitop2_b32 v64, 7, v51 bitop3:0x40
	s_mov_b32 s16, exec_lo
	v_cmpx_gt_u32_e32 8, v52
; %bb.1034:                             ;   in Loop: Header=BB198_810 Depth=1
	s_delay_alu instid0(VALU_DEP_2) | instskip(NEXT) | instid1(VALU_DEP_1)
	v_clz_i32_u32_e32 v6, v64
	v_min_u32_e32 v6, 32, v6
	s_delay_alu instid0(VALU_DEP_1) | instskip(NEXT) | instid1(VALU_DEP_1)
	v_subrev_nc_u32_e32 v7, 28, v6
	v_lshlrev_b64_e32 v[52:53], v7, v[64:65]
	s_delay_alu instid0(VALU_DEP_1)
	v_dual_sub_nc_u32 v6, 29, v6 :: v_dual_bitop2_b32 v64, 7, v52 bitop3:0x40
; %bb.1035:                             ;   in Loop: Header=BB198_810 Depth=1
	s_or_b32 exec_lo, exec_lo, s16
	s_delay_alu instid0(VALU_DEP_1) | instskip(NEXT) | instid1(VALU_DEP_2)
	v_dual_lshlrev_b32 v7, 24, v51 :: v_dual_lshlrev_b32 v51, 20, v64
	v_lshl_add_u32 v6, v6, 23, 0x3c000000
	s_delay_alu instid0(VALU_DEP_2) | instskip(NEXT) | instid1(VALU_DEP_1)
	v_and_b32_e32 v7, 0x80000000, v7
	v_or3_b32 v64, v51, v7, v6
	s_delay_alu instid0(VALU_DEP_1)
	v_mov_b64_e32 v[6:7], v[64:65]
.LBB198_1036:                           ;   in Loop: Header=BB198_810 Depth=1
	s_or_b32 exec_lo, exec_lo, s11
.LBB198_1037:                           ;   in Loop: Header=BB198_810 Depth=1
	s_delay_alu instid0(SALU_CYCLE_1)
	s_or_b32 exec_lo, exec_lo, s10
.LBB198_1038:                           ;   in Loop: Header=BB198_810 Depth=1
	s_delay_alu instid0(SALU_CYCLE_1) | instskip(NEXT) | instid1(SALU_CYCLE_1)
	s_or_b32 exec_lo, exec_lo, s3
	s_mov_b32 s3, exec_lo
	v_cmpx_lt_u32_e32 0xffffff, v50
	s_cbranch_execz .LBB198_1046
; %bb.1039:                             ;   in Loop: Header=BB198_810 Depth=1
	v_mov_b64_e32 v[18:19], 0x8000000000000000
	v_lshrrev_b32_e32 v51, 24, v50
	s_mov_b32 s10, exec_lo
	s_delay_alu instid0(VALU_DEP_1)
	v_cmpx_ne_u32_e32 0x80, v51
	s_cbranch_execz .LBB198_1045
; %bb.1040:                             ;   in Loop: Header=BB198_810 Depth=1
	v_mov_b64_e32 v[18:19], 0x7f80000100000000
	v_bfe_u32 v50, v50, 24, 7
	s_mov_b32 s11, exec_lo
	s_delay_alu instid0(VALU_DEP_1)
	v_cmpx_ne_u32_e32 0x7f, v50
	s_cbranch_execz .LBB198_1044
; %bb.1041:                             ;   in Loop: Header=BB198_810 Depth=1
	v_dual_lshrrev_b32 v18, 3, v50 :: v_dual_bitop2_b32 v64, 7, v51 bitop3:0x40
	s_mov_b32 s16, exec_lo
	v_cmpx_gt_u32_e32 8, v50
; %bb.1042:                             ;   in Loop: Header=BB198_810 Depth=1
	s_delay_alu instid0(VALU_DEP_2) | instskip(NEXT) | instid1(VALU_DEP_1)
	v_clz_i32_u32_e32 v18, v64
	v_min_u32_e32 v18, 32, v18
	s_delay_alu instid0(VALU_DEP_1) | instskip(NEXT) | instid1(VALU_DEP_1)
	v_subrev_nc_u32_e32 v19, 28, v18
	v_lshlrev_b64_e32 v[52:53], v19, v[64:65]
	s_delay_alu instid0(VALU_DEP_1)
	v_dual_sub_nc_u32 v18, 29, v18 :: v_dual_bitop2_b32 v64, 7, v52 bitop3:0x40
; %bb.1043:                             ;   in Loop: Header=BB198_810 Depth=1
	s_or_b32 exec_lo, exec_lo, s16
	s_delay_alu instid0(VALU_DEP_1) | instskip(NEXT) | instid1(VALU_DEP_2)
	v_dual_lshlrev_b32 v19, 24, v51 :: v_dual_lshlrev_b32 v50, 20, v64
	v_lshl_add_u32 v18, v18, 23, 0x3c000000
	s_delay_alu instid0(VALU_DEP_2) | instskip(NEXT) | instid1(VALU_DEP_1)
	v_and_b32_e32 v19, 0x80000000, v19
	v_or3_b32 v19, v50, v19, v18
	v_mov_b32_e32 v18, v65
.LBB198_1044:                           ;   in Loop: Header=BB198_810 Depth=1
	s_or_b32 exec_lo, exec_lo, s11
.LBB198_1045:                           ;   in Loop: Header=BB198_810 Depth=1
	s_delay_alu instid0(SALU_CYCLE_1)
	s_or_b32 exec_lo, exec_lo, s10
.LBB198_1046:                           ;   in Loop: Header=BB198_810 Depth=1
	s_delay_alu instid0(SALU_CYCLE_1) | instskip(SKIP_4) | instid1(VALU_DEP_3)
	s_or_b32 exec_lo, exec_lo, s3
	v_or_b32_e32 v1, v1, v9
	v_or_b32_e32 v0, v0, v8
	;; [unrolled: 1-line block ×4, first 2 shown]
	v_pk_mul_f32 v[100:101], v[22:23], v[0:1]
	s_delay_alu instid0(VALU_DEP_2)
	v_pk_mul_f32 v[98:99], v[22:23], v[6:7]
	s_and_saveexec_b32 s3, vcc_lo
	s_cbranch_execz .LBB198_1048
; %bb.1047:                             ;   in Loop: Header=BB198_810 Depth=1
	v_cmp_lt_i32_e64 s0, v17, v16
	s_delay_alu instid0(VALU_DEP_1) | instskip(SKIP_1) | instid1(VALU_DEP_1)
	v_cndmask_b32_e64 v100, 0, v100, s0
	v_cmp_lt_i32_e64 s0, v68, v16
	v_cndmask_b32_e64 v101, 0, v101, s0
	v_cmp_lt_i32_e64 s0, v70, v16
	s_delay_alu instid0(VALU_DEP_1) | instskip(SKIP_1) | instid1(VALU_DEP_1)
	v_cndmask_b32_e64 v98, 0, v98, s0
	v_cmp_lt_i32_e64 s0, v69, v16
	v_cndmask_b32_e64 v99, 0, v99, s0
.LBB198_1048:                           ;   in Loop: Header=BB198_810 Depth=1
	s_or_b32 exec_lo, exec_lo, s3
	flat_load_b32 v50, v[54:55] offset:896
	v_mov_b64_e32 v[0:1], 0
	v_mov_b64_e32 v[8:9], 0
	s_mov_b32 s3, exec_lo
	s_wait_loadcnt_dscnt 0x0
	v_and_b32_e32 v6, 0xff, v50
	s_wait_xcnt 0x0
	s_delay_alu instid0(VALU_DEP_1)
	v_cmpx_ne_u16_e32 0, v6
	s_cbranch_execz .LBB198_1056
; %bb.1049:                             ;   in Loop: Header=BB198_810 Depth=1
	v_mov_b64_e32 v[8:9], 0x80000000
	s_mov_b32 s10, exec_lo
	v_cmpx_ne_u16_e32 0x80, v6
	s_cbranch_execz .LBB198_1055
; %bb.1050:                             ;   in Loop: Header=BB198_810 Depth=1
	v_mov_b64_e32 v[8:9], 0x7f800001
	v_and_b32_e32 v7, 0x7f, v50
	s_mov_b32 s11, exec_lo
	s_delay_alu instid0(VALU_DEP_1)
	v_cmpx_ne_u32_e32 0x7f, v7
	s_cbranch_execz .LBB198_1054
; %bb.1051:                             ;   in Loop: Header=BB198_810 Depth=1
	v_dual_lshrrev_b32 v6, 3, v7 :: v_dual_bitop2_b32 v64, 7, v50 bitop3:0x40
	s_mov_b32 s16, exec_lo
	v_cmpx_gt_u32_e32 8, v7
; %bb.1052:                             ;   in Loop: Header=BB198_810 Depth=1
	s_delay_alu instid0(VALU_DEP_2) | instskip(NEXT) | instid1(VALU_DEP_1)
	v_clz_i32_u32_e32 v6, v64
	v_min_u32_e32 v6, 32, v6
	s_delay_alu instid0(VALU_DEP_1) | instskip(NEXT) | instid1(VALU_DEP_1)
	v_subrev_nc_u32_e32 v7, 28, v6
	v_lshlrev_b64_e32 v[8:9], v7, v[64:65]
	s_delay_alu instid0(VALU_DEP_1)
	v_dual_sub_nc_u32 v6, 29, v6 :: v_dual_bitop2_b32 v64, 7, v8 bitop3:0x40
; %bb.1053:                             ;   in Loop: Header=BB198_810 Depth=1
	s_or_b32 exec_lo, exec_lo, s16
	s_delay_alu instid0(VALU_DEP_1) | instskip(NEXT) | instid1(VALU_DEP_2)
	v_dual_lshlrev_b32 v7, 24, v50 :: v_dual_lshlrev_b32 v8, 20, v64
	v_lshl_add_u32 v6, v6, 23, 0x3c000000
	s_delay_alu instid0(VALU_DEP_2) | instskip(NEXT) | instid1(VALU_DEP_1)
	v_and_b32_e32 v7, 0x80000000, v7
	v_or3_b32 v64, v8, v7, v6
	s_delay_alu instid0(VALU_DEP_1)
	v_mov_b64_e32 v[8:9], v[64:65]
.LBB198_1054:                           ;   in Loop: Header=BB198_810 Depth=1
	s_or_b32 exec_lo, exec_lo, s11
.LBB198_1055:                           ;   in Loop: Header=BB198_810 Depth=1
	s_delay_alu instid0(SALU_CYCLE_1)
	s_or_b32 exec_lo, exec_lo, s10
.LBB198_1056:                           ;   in Loop: Header=BB198_810 Depth=1
	s_delay_alu instid0(SALU_CYCLE_1) | instskip(SKIP_2) | instid1(VALU_DEP_1)
	s_or_b32 exec_lo, exec_lo, s3
	v_lshrrev_b16 v6, 8, v50
	s_mov_b32 s3, exec_lo
	v_cmpx_ne_u16_e32 0, v6
	s_cbranch_execz .LBB198_1064
; %bb.1057:                             ;   in Loop: Header=BB198_810 Depth=1
	v_mov_b64_e32 v[0:1], 0x8000000000000000
	s_mov_b32 s10, exec_lo
	v_cmpx_ne_u16_e32 0x80, v6
	s_cbranch_execz .LBB198_1063
; %bb.1058:                             ;   in Loop: Header=BB198_810 Depth=1
	v_and_b32_e32 v7, 0xffff, v6
	v_mov_b64_e32 v[0:1], 0x7f80000100000000
	s_mov_b32 s11, exec_lo
	s_delay_alu instid0(VALU_DEP_2) | instskip(NEXT) | instid1(VALU_DEP_1)
	v_and_b32_e32 v6, 0x7f, v7
	v_cmpx_ne_u32_e32 0x7f, v6
	s_cbranch_execz .LBB198_1062
; %bb.1059:                             ;   in Loop: Header=BB198_810 Depth=1
	v_dual_lshrrev_b32 v0, 3, v6 :: v_dual_bitop2_b32 v64, 7, v7 bitop3:0x40
	s_mov_b32 s16, exec_lo
	v_cmpx_gt_u32_e32 8, v6
; %bb.1060:                             ;   in Loop: Header=BB198_810 Depth=1
	s_delay_alu instid0(VALU_DEP_2) | instskip(NEXT) | instid1(VALU_DEP_1)
	v_clz_i32_u32_e32 v0, v64
	v_min_u32_e32 v0, 32, v0
	s_delay_alu instid0(VALU_DEP_1) | instskip(NEXT) | instid1(VALU_DEP_1)
	v_subrev_nc_u32_e32 v1, 28, v0
	v_lshlrev_b64_e32 v[6:7], v1, v[64:65]
	s_delay_alu instid0(VALU_DEP_1)
	v_dual_sub_nc_u32 v0, 29, v0 :: v_dual_bitop2_b32 v64, 7, v6 bitop3:0x40
; %bb.1061:                             ;   in Loop: Header=BB198_810 Depth=1
	s_or_b32 exec_lo, exec_lo, s16
	s_delay_alu instid0(VALU_DEP_1) | instskip(NEXT) | instid1(VALU_DEP_2)
	v_dual_lshlrev_b32 v1, 16, v50 :: v_dual_lshlrev_b32 v6, 20, v64
	v_lshl_add_u32 v0, v0, 23, 0x3c000000
	s_delay_alu instid0(VALU_DEP_2) | instskip(NEXT) | instid1(VALU_DEP_1)
	v_and_b32_e32 v1, 0x80000000, v1
	v_or3_b32 v1, v6, v1, v0
	v_mov_b32_e32 v0, v65
.LBB198_1062:                           ;   in Loop: Header=BB198_810 Depth=1
	s_or_b32 exec_lo, exec_lo, s11
.LBB198_1063:                           ;   in Loop: Header=BB198_810 Depth=1
	s_delay_alu instid0(SALU_CYCLE_1)
	s_or_b32 exec_lo, exec_lo, s10
.LBB198_1064:                           ;   in Loop: Header=BB198_810 Depth=1
	s_delay_alu instid0(SALU_CYCLE_1) | instskip(SKIP_4) | instid1(VALU_DEP_3)
	s_or_b32 exec_lo, exec_lo, s3
	v_lshrrev_b32_e32 v51, 16, v50
	v_mov_b64_e32 v[18:19], 0
	v_mov_b64_e32 v[6:7], 0
	s_mov_b32 s3, exec_lo
	v_and_b32_e32 v52, 0xff, v51
	s_delay_alu instid0(VALU_DEP_1)
	v_cmpx_ne_u16_e32 0, v52
	s_cbranch_execz .LBB198_1072
; %bb.1065:                             ;   in Loop: Header=BB198_810 Depth=1
	v_mov_b64_e32 v[6:7], 0x80000000
	s_mov_b32 s10, exec_lo
	v_cmpx_ne_u16_e32 0x80, v52
	s_cbranch_execz .LBB198_1071
; %bb.1066:                             ;   in Loop: Header=BB198_810 Depth=1
	v_mov_b64_e32 v[6:7], 0x7f800001
	v_bfe_u32 v52, v50, 16, 7
	s_mov_b32 s11, exec_lo
	s_delay_alu instid0(VALU_DEP_1)
	v_cmpx_ne_u32_e32 0x7f, v52
	s_cbranch_execz .LBB198_1070
; %bb.1067:                             ;   in Loop: Header=BB198_810 Depth=1
	v_dual_lshrrev_b32 v6, 3, v52 :: v_dual_bitop2_b32 v64, 7, v51 bitop3:0x40
	s_mov_b32 s16, exec_lo
	v_cmpx_gt_u32_e32 8, v52
; %bb.1068:                             ;   in Loop: Header=BB198_810 Depth=1
	s_delay_alu instid0(VALU_DEP_2) | instskip(NEXT) | instid1(VALU_DEP_1)
	v_clz_i32_u32_e32 v6, v64
	v_min_u32_e32 v6, 32, v6
	s_delay_alu instid0(VALU_DEP_1) | instskip(NEXT) | instid1(VALU_DEP_1)
	v_subrev_nc_u32_e32 v7, 28, v6
	v_lshlrev_b64_e32 v[52:53], v7, v[64:65]
	s_delay_alu instid0(VALU_DEP_1)
	v_dual_sub_nc_u32 v6, 29, v6 :: v_dual_bitop2_b32 v64, 7, v52 bitop3:0x40
; %bb.1069:                             ;   in Loop: Header=BB198_810 Depth=1
	s_or_b32 exec_lo, exec_lo, s16
	s_delay_alu instid0(VALU_DEP_1) | instskip(NEXT) | instid1(VALU_DEP_2)
	v_dual_lshlrev_b32 v7, 24, v51 :: v_dual_lshlrev_b32 v51, 20, v64
	v_lshl_add_u32 v6, v6, 23, 0x3c000000
	s_delay_alu instid0(VALU_DEP_2) | instskip(NEXT) | instid1(VALU_DEP_1)
	v_and_b32_e32 v7, 0x80000000, v7
	v_or3_b32 v64, v51, v7, v6
	s_delay_alu instid0(VALU_DEP_1)
	v_mov_b64_e32 v[6:7], v[64:65]
.LBB198_1070:                           ;   in Loop: Header=BB198_810 Depth=1
	s_or_b32 exec_lo, exec_lo, s11
.LBB198_1071:                           ;   in Loop: Header=BB198_810 Depth=1
	s_delay_alu instid0(SALU_CYCLE_1)
	s_or_b32 exec_lo, exec_lo, s10
.LBB198_1072:                           ;   in Loop: Header=BB198_810 Depth=1
	s_delay_alu instid0(SALU_CYCLE_1) | instskip(NEXT) | instid1(SALU_CYCLE_1)
	s_or_b32 exec_lo, exec_lo, s3
	s_mov_b32 s3, exec_lo
	v_cmpx_lt_u32_e32 0xffffff, v50
	s_cbranch_execz .LBB198_1080
; %bb.1073:                             ;   in Loop: Header=BB198_810 Depth=1
	v_mov_b64_e32 v[18:19], 0x8000000000000000
	v_lshrrev_b32_e32 v51, 24, v50
	s_mov_b32 s10, exec_lo
	s_delay_alu instid0(VALU_DEP_1)
	v_cmpx_ne_u32_e32 0x80, v51
	s_cbranch_execz .LBB198_1079
; %bb.1074:                             ;   in Loop: Header=BB198_810 Depth=1
	v_mov_b64_e32 v[18:19], 0x7f80000100000000
	v_bfe_u32 v50, v50, 24, 7
	s_mov_b32 s11, exec_lo
	s_delay_alu instid0(VALU_DEP_1)
	v_cmpx_ne_u32_e32 0x7f, v50
	s_cbranch_execz .LBB198_1078
; %bb.1075:                             ;   in Loop: Header=BB198_810 Depth=1
	v_dual_lshrrev_b32 v18, 3, v50 :: v_dual_bitop2_b32 v64, 7, v51 bitop3:0x40
	s_mov_b32 s16, exec_lo
	v_cmpx_gt_u32_e32 8, v50
; %bb.1076:                             ;   in Loop: Header=BB198_810 Depth=1
	s_delay_alu instid0(VALU_DEP_2) | instskip(NEXT) | instid1(VALU_DEP_1)
	v_clz_i32_u32_e32 v18, v64
	v_min_u32_e32 v18, 32, v18
	s_delay_alu instid0(VALU_DEP_1) | instskip(NEXT) | instid1(VALU_DEP_1)
	v_subrev_nc_u32_e32 v19, 28, v18
	v_lshlrev_b64_e32 v[52:53], v19, v[64:65]
	s_delay_alu instid0(VALU_DEP_1)
	v_dual_sub_nc_u32 v18, 29, v18 :: v_dual_bitop2_b32 v64, 7, v52 bitop3:0x40
; %bb.1077:                             ;   in Loop: Header=BB198_810 Depth=1
	s_or_b32 exec_lo, exec_lo, s16
	s_delay_alu instid0(VALU_DEP_1) | instskip(NEXT) | instid1(VALU_DEP_2)
	v_dual_lshlrev_b32 v19, 24, v51 :: v_dual_lshlrev_b32 v50, 20, v64
	v_lshl_add_u32 v18, v18, 23, 0x3c000000
	s_delay_alu instid0(VALU_DEP_2) | instskip(NEXT) | instid1(VALU_DEP_1)
	v_and_b32_e32 v19, 0x80000000, v19
	v_or3_b32 v19, v50, v19, v18
	v_mov_b32_e32 v18, v65
.LBB198_1078:                           ;   in Loop: Header=BB198_810 Depth=1
	s_or_b32 exec_lo, exec_lo, s11
.LBB198_1079:                           ;   in Loop: Header=BB198_810 Depth=1
	s_delay_alu instid0(SALU_CYCLE_1)
	s_or_b32 exec_lo, exec_lo, s10
.LBB198_1080:                           ;   in Loop: Header=BB198_810 Depth=1
	s_delay_alu instid0(SALU_CYCLE_1) | instskip(SKIP_4) | instid1(VALU_DEP_3)
	s_or_b32 exec_lo, exec_lo, s3
	v_or_b32_e32 v1, v1, v9
	v_or_b32_e32 v0, v0, v8
	;; [unrolled: 1-line block ×4, first 2 shown]
	v_pk_mul_f32 v[112:113], v[22:23], v[0:1]
	s_delay_alu instid0(VALU_DEP_2)
	v_pk_mul_f32 v[102:103], v[22:23], v[6:7]
	s_and_saveexec_b32 s3, vcc_lo
	s_cbranch_execz .LBB198_1082
; %bb.1081:                             ;   in Loop: Header=BB198_810 Depth=1
	v_cmp_lt_i32_e64 s0, v17, v16
	s_delay_alu instid0(VALU_DEP_1) | instskip(SKIP_1) | instid1(VALU_DEP_1)
	v_cndmask_b32_e64 v112, 0, v112, s0
	v_cmp_lt_i32_e64 s0, v68, v16
	v_cndmask_b32_e64 v113, 0, v113, s0
	v_cmp_lt_i32_e64 s0, v70, v16
	s_delay_alu instid0(VALU_DEP_1) | instskip(SKIP_1) | instid1(VALU_DEP_1)
	v_cndmask_b32_e64 v102, 0, v102, s0
	v_cmp_lt_i32_e64 s0, v69, v16
	v_cndmask_b32_e64 v103, 0, v103, s0
.LBB198_1082:                           ;   in Loop: Header=BB198_810 Depth=1
	s_or_b32 exec_lo, exec_lo, s3
	flat_load_b32 v50, v[54:55] offset:1024
	v_mov_b64_e32 v[0:1], 0
	v_mov_b64_e32 v[8:9], 0
	s_mov_b32 s3, exec_lo
	s_wait_loadcnt_dscnt 0x0
	v_and_b32_e32 v6, 0xff, v50
	s_wait_xcnt 0x0
	s_delay_alu instid0(VALU_DEP_1)
	v_cmpx_ne_u16_e32 0, v6
	s_cbranch_execz .LBB198_1090
; %bb.1083:                             ;   in Loop: Header=BB198_810 Depth=1
	v_mov_b64_e32 v[8:9], 0x80000000
	s_mov_b32 s10, exec_lo
	v_cmpx_ne_u16_e32 0x80, v6
	s_cbranch_execz .LBB198_1089
; %bb.1084:                             ;   in Loop: Header=BB198_810 Depth=1
	v_mov_b64_e32 v[8:9], 0x7f800001
	v_and_b32_e32 v7, 0x7f, v50
	s_mov_b32 s11, exec_lo
	s_delay_alu instid0(VALU_DEP_1)
	v_cmpx_ne_u32_e32 0x7f, v7
	s_cbranch_execz .LBB198_1088
; %bb.1085:                             ;   in Loop: Header=BB198_810 Depth=1
	v_dual_lshrrev_b32 v6, 3, v7 :: v_dual_bitop2_b32 v64, 7, v50 bitop3:0x40
	s_mov_b32 s16, exec_lo
	v_cmpx_gt_u32_e32 8, v7
; %bb.1086:                             ;   in Loop: Header=BB198_810 Depth=1
	s_delay_alu instid0(VALU_DEP_2) | instskip(NEXT) | instid1(VALU_DEP_1)
	v_clz_i32_u32_e32 v6, v64
	v_min_u32_e32 v6, 32, v6
	s_delay_alu instid0(VALU_DEP_1) | instskip(NEXT) | instid1(VALU_DEP_1)
	v_subrev_nc_u32_e32 v7, 28, v6
	v_lshlrev_b64_e32 v[8:9], v7, v[64:65]
	s_delay_alu instid0(VALU_DEP_1)
	v_dual_sub_nc_u32 v6, 29, v6 :: v_dual_bitop2_b32 v64, 7, v8 bitop3:0x40
; %bb.1087:                             ;   in Loop: Header=BB198_810 Depth=1
	s_or_b32 exec_lo, exec_lo, s16
	s_delay_alu instid0(VALU_DEP_1) | instskip(NEXT) | instid1(VALU_DEP_2)
	v_dual_lshlrev_b32 v7, 24, v50 :: v_dual_lshlrev_b32 v8, 20, v64
	v_lshl_add_u32 v6, v6, 23, 0x3c000000
	s_delay_alu instid0(VALU_DEP_2) | instskip(NEXT) | instid1(VALU_DEP_1)
	v_and_b32_e32 v7, 0x80000000, v7
	v_or3_b32 v64, v8, v7, v6
	s_delay_alu instid0(VALU_DEP_1)
	v_mov_b64_e32 v[8:9], v[64:65]
.LBB198_1088:                           ;   in Loop: Header=BB198_810 Depth=1
	s_or_b32 exec_lo, exec_lo, s11
.LBB198_1089:                           ;   in Loop: Header=BB198_810 Depth=1
	s_delay_alu instid0(SALU_CYCLE_1)
	s_or_b32 exec_lo, exec_lo, s10
.LBB198_1090:                           ;   in Loop: Header=BB198_810 Depth=1
	s_delay_alu instid0(SALU_CYCLE_1) | instskip(SKIP_2) | instid1(VALU_DEP_1)
	s_or_b32 exec_lo, exec_lo, s3
	v_lshrrev_b16 v6, 8, v50
	s_mov_b32 s3, exec_lo
	v_cmpx_ne_u16_e32 0, v6
	s_cbranch_execz .LBB198_1098
; %bb.1091:                             ;   in Loop: Header=BB198_810 Depth=1
	v_mov_b64_e32 v[0:1], 0x8000000000000000
	s_mov_b32 s10, exec_lo
	v_cmpx_ne_u16_e32 0x80, v6
	s_cbranch_execz .LBB198_1097
; %bb.1092:                             ;   in Loop: Header=BB198_810 Depth=1
	v_and_b32_e32 v7, 0xffff, v6
	v_mov_b64_e32 v[0:1], 0x7f80000100000000
	s_mov_b32 s11, exec_lo
	s_delay_alu instid0(VALU_DEP_2) | instskip(NEXT) | instid1(VALU_DEP_1)
	v_and_b32_e32 v6, 0x7f, v7
	v_cmpx_ne_u32_e32 0x7f, v6
	s_cbranch_execz .LBB198_1096
; %bb.1093:                             ;   in Loop: Header=BB198_810 Depth=1
	v_dual_lshrrev_b32 v0, 3, v6 :: v_dual_bitop2_b32 v64, 7, v7 bitop3:0x40
	s_mov_b32 s16, exec_lo
	v_cmpx_gt_u32_e32 8, v6
; %bb.1094:                             ;   in Loop: Header=BB198_810 Depth=1
	s_delay_alu instid0(VALU_DEP_2) | instskip(NEXT) | instid1(VALU_DEP_1)
	v_clz_i32_u32_e32 v0, v64
	v_min_u32_e32 v0, 32, v0
	s_delay_alu instid0(VALU_DEP_1) | instskip(NEXT) | instid1(VALU_DEP_1)
	v_subrev_nc_u32_e32 v1, 28, v0
	v_lshlrev_b64_e32 v[6:7], v1, v[64:65]
	s_delay_alu instid0(VALU_DEP_1)
	v_dual_sub_nc_u32 v0, 29, v0 :: v_dual_bitop2_b32 v64, 7, v6 bitop3:0x40
; %bb.1095:                             ;   in Loop: Header=BB198_810 Depth=1
	s_or_b32 exec_lo, exec_lo, s16
	s_delay_alu instid0(VALU_DEP_1) | instskip(NEXT) | instid1(VALU_DEP_2)
	v_dual_lshlrev_b32 v1, 16, v50 :: v_dual_lshlrev_b32 v6, 20, v64
	v_lshl_add_u32 v0, v0, 23, 0x3c000000
	s_delay_alu instid0(VALU_DEP_2) | instskip(NEXT) | instid1(VALU_DEP_1)
	v_and_b32_e32 v1, 0x80000000, v1
	v_or3_b32 v1, v6, v1, v0
	v_mov_b32_e32 v0, v65
.LBB198_1096:                           ;   in Loop: Header=BB198_810 Depth=1
	s_or_b32 exec_lo, exec_lo, s11
.LBB198_1097:                           ;   in Loop: Header=BB198_810 Depth=1
	s_delay_alu instid0(SALU_CYCLE_1)
	s_or_b32 exec_lo, exec_lo, s10
.LBB198_1098:                           ;   in Loop: Header=BB198_810 Depth=1
	s_delay_alu instid0(SALU_CYCLE_1) | instskip(SKIP_4) | instid1(VALU_DEP_3)
	s_or_b32 exec_lo, exec_lo, s3
	v_lshrrev_b32_e32 v51, 16, v50
	v_mov_b64_e32 v[18:19], 0
	v_mov_b64_e32 v[6:7], 0
	s_mov_b32 s3, exec_lo
	v_and_b32_e32 v52, 0xff, v51
	s_delay_alu instid0(VALU_DEP_1)
	v_cmpx_ne_u16_e32 0, v52
	s_cbranch_execz .LBB198_1106
; %bb.1099:                             ;   in Loop: Header=BB198_810 Depth=1
	v_mov_b64_e32 v[6:7], 0x80000000
	s_mov_b32 s10, exec_lo
	v_cmpx_ne_u16_e32 0x80, v52
	s_cbranch_execz .LBB198_1105
; %bb.1100:                             ;   in Loop: Header=BB198_810 Depth=1
	v_mov_b64_e32 v[6:7], 0x7f800001
	v_bfe_u32 v52, v50, 16, 7
	s_mov_b32 s11, exec_lo
	s_delay_alu instid0(VALU_DEP_1)
	v_cmpx_ne_u32_e32 0x7f, v52
	s_cbranch_execz .LBB198_1104
; %bb.1101:                             ;   in Loop: Header=BB198_810 Depth=1
	v_dual_lshrrev_b32 v6, 3, v52 :: v_dual_bitop2_b32 v64, 7, v51 bitop3:0x40
	s_mov_b32 s16, exec_lo
	v_cmpx_gt_u32_e32 8, v52
; %bb.1102:                             ;   in Loop: Header=BB198_810 Depth=1
	s_delay_alu instid0(VALU_DEP_2) | instskip(NEXT) | instid1(VALU_DEP_1)
	v_clz_i32_u32_e32 v6, v64
	v_min_u32_e32 v6, 32, v6
	s_delay_alu instid0(VALU_DEP_1) | instskip(NEXT) | instid1(VALU_DEP_1)
	v_subrev_nc_u32_e32 v7, 28, v6
	v_lshlrev_b64_e32 v[52:53], v7, v[64:65]
	s_delay_alu instid0(VALU_DEP_1)
	v_dual_sub_nc_u32 v6, 29, v6 :: v_dual_bitop2_b32 v64, 7, v52 bitop3:0x40
; %bb.1103:                             ;   in Loop: Header=BB198_810 Depth=1
	s_or_b32 exec_lo, exec_lo, s16
	s_delay_alu instid0(VALU_DEP_1) | instskip(NEXT) | instid1(VALU_DEP_2)
	v_dual_lshlrev_b32 v7, 24, v51 :: v_dual_lshlrev_b32 v51, 20, v64
	v_lshl_add_u32 v6, v6, 23, 0x3c000000
	s_delay_alu instid0(VALU_DEP_2) | instskip(NEXT) | instid1(VALU_DEP_1)
	v_and_b32_e32 v7, 0x80000000, v7
	v_or3_b32 v64, v51, v7, v6
	s_delay_alu instid0(VALU_DEP_1)
	v_mov_b64_e32 v[6:7], v[64:65]
.LBB198_1104:                           ;   in Loop: Header=BB198_810 Depth=1
	s_or_b32 exec_lo, exec_lo, s11
.LBB198_1105:                           ;   in Loop: Header=BB198_810 Depth=1
	s_delay_alu instid0(SALU_CYCLE_1)
	s_or_b32 exec_lo, exec_lo, s10
.LBB198_1106:                           ;   in Loop: Header=BB198_810 Depth=1
	s_delay_alu instid0(SALU_CYCLE_1) | instskip(NEXT) | instid1(SALU_CYCLE_1)
	s_or_b32 exec_lo, exec_lo, s3
	s_mov_b32 s3, exec_lo
	v_cmpx_lt_u32_e32 0xffffff, v50
	s_cbranch_execz .LBB198_1114
; %bb.1107:                             ;   in Loop: Header=BB198_810 Depth=1
	v_mov_b64_e32 v[18:19], 0x8000000000000000
	v_lshrrev_b32_e32 v51, 24, v50
	s_mov_b32 s10, exec_lo
	s_delay_alu instid0(VALU_DEP_1)
	v_cmpx_ne_u32_e32 0x80, v51
	s_cbranch_execz .LBB198_1113
; %bb.1108:                             ;   in Loop: Header=BB198_810 Depth=1
	v_mov_b64_e32 v[18:19], 0x7f80000100000000
	v_bfe_u32 v50, v50, 24, 7
	s_mov_b32 s11, exec_lo
	s_delay_alu instid0(VALU_DEP_1)
	v_cmpx_ne_u32_e32 0x7f, v50
	s_cbranch_execz .LBB198_1112
; %bb.1109:                             ;   in Loop: Header=BB198_810 Depth=1
	v_dual_lshrrev_b32 v18, 3, v50 :: v_dual_bitop2_b32 v64, 7, v51 bitop3:0x40
	s_mov_b32 s16, exec_lo
	v_cmpx_gt_u32_e32 8, v50
; %bb.1110:                             ;   in Loop: Header=BB198_810 Depth=1
	s_delay_alu instid0(VALU_DEP_2) | instskip(NEXT) | instid1(VALU_DEP_1)
	v_clz_i32_u32_e32 v18, v64
	v_min_u32_e32 v18, 32, v18
	s_delay_alu instid0(VALU_DEP_1) | instskip(NEXT) | instid1(VALU_DEP_1)
	v_subrev_nc_u32_e32 v19, 28, v18
	v_lshlrev_b64_e32 v[52:53], v19, v[64:65]
	s_delay_alu instid0(VALU_DEP_1)
	v_dual_sub_nc_u32 v18, 29, v18 :: v_dual_bitop2_b32 v64, 7, v52 bitop3:0x40
; %bb.1111:                             ;   in Loop: Header=BB198_810 Depth=1
	s_or_b32 exec_lo, exec_lo, s16
	s_delay_alu instid0(VALU_DEP_1) | instskip(NEXT) | instid1(VALU_DEP_2)
	v_dual_lshlrev_b32 v19, 24, v51 :: v_dual_lshlrev_b32 v50, 20, v64
	v_lshl_add_u32 v18, v18, 23, 0x3c000000
	s_delay_alu instid0(VALU_DEP_2) | instskip(NEXT) | instid1(VALU_DEP_1)
	v_and_b32_e32 v19, 0x80000000, v19
	v_or3_b32 v19, v50, v19, v18
	v_mov_b32_e32 v18, v65
.LBB198_1112:                           ;   in Loop: Header=BB198_810 Depth=1
	s_or_b32 exec_lo, exec_lo, s11
.LBB198_1113:                           ;   in Loop: Header=BB198_810 Depth=1
	s_delay_alu instid0(SALU_CYCLE_1)
	s_or_b32 exec_lo, exec_lo, s10
.LBB198_1114:                           ;   in Loop: Header=BB198_810 Depth=1
	s_delay_alu instid0(SALU_CYCLE_1) | instskip(SKIP_4) | instid1(VALU_DEP_3)
	s_or_b32 exec_lo, exec_lo, s3
	v_or_b32_e32 v1, v1, v9
	v_or_b32_e32 v0, v0, v8
	;; [unrolled: 1-line block ×4, first 2 shown]
	v_pk_mul_f32 v[116:117], v[22:23], v[0:1]
	s_delay_alu instid0(VALU_DEP_2)
	v_pk_mul_f32 v[114:115], v[22:23], v[6:7]
	s_and_saveexec_b32 s3, vcc_lo
	s_cbranch_execz .LBB198_1116
; %bb.1115:                             ;   in Loop: Header=BB198_810 Depth=1
	v_cmp_lt_i32_e64 s0, v17, v16
	s_delay_alu instid0(VALU_DEP_1) | instskip(SKIP_1) | instid1(VALU_DEP_1)
	v_cndmask_b32_e64 v116, 0, v116, s0
	v_cmp_lt_i32_e64 s0, v68, v16
	v_cndmask_b32_e64 v117, 0, v117, s0
	v_cmp_lt_i32_e64 s0, v70, v16
	s_delay_alu instid0(VALU_DEP_1) | instskip(SKIP_1) | instid1(VALU_DEP_1)
	v_cndmask_b32_e64 v114, 0, v114, s0
	v_cmp_lt_i32_e64 s0, v69, v16
	v_cndmask_b32_e64 v115, 0, v115, s0
.LBB198_1116:                           ;   in Loop: Header=BB198_810 Depth=1
	s_or_b32 exec_lo, exec_lo, s3
	flat_load_b32 v50, v[54:55] offset:1152
	v_mov_b64_e32 v[0:1], 0
	v_mov_b64_e32 v[8:9], 0
	s_mov_b32 s3, exec_lo
	s_wait_loadcnt_dscnt 0x0
	v_and_b32_e32 v6, 0xff, v50
	s_wait_xcnt 0x0
	s_delay_alu instid0(VALU_DEP_1)
	v_cmpx_ne_u16_e32 0, v6
	s_cbranch_execz .LBB198_1124
; %bb.1117:                             ;   in Loop: Header=BB198_810 Depth=1
	v_mov_b64_e32 v[8:9], 0x80000000
	s_mov_b32 s10, exec_lo
	v_cmpx_ne_u16_e32 0x80, v6
	s_cbranch_execz .LBB198_1123
; %bb.1118:                             ;   in Loop: Header=BB198_810 Depth=1
	v_mov_b64_e32 v[8:9], 0x7f800001
	v_and_b32_e32 v7, 0x7f, v50
	s_mov_b32 s11, exec_lo
	s_delay_alu instid0(VALU_DEP_1)
	v_cmpx_ne_u32_e32 0x7f, v7
	s_cbranch_execz .LBB198_1122
; %bb.1119:                             ;   in Loop: Header=BB198_810 Depth=1
	v_dual_lshrrev_b32 v6, 3, v7 :: v_dual_bitop2_b32 v64, 7, v50 bitop3:0x40
	s_mov_b32 s16, exec_lo
	v_cmpx_gt_u32_e32 8, v7
; %bb.1120:                             ;   in Loop: Header=BB198_810 Depth=1
	s_delay_alu instid0(VALU_DEP_2) | instskip(NEXT) | instid1(VALU_DEP_1)
	v_clz_i32_u32_e32 v6, v64
	v_min_u32_e32 v6, 32, v6
	s_delay_alu instid0(VALU_DEP_1) | instskip(NEXT) | instid1(VALU_DEP_1)
	v_subrev_nc_u32_e32 v7, 28, v6
	v_lshlrev_b64_e32 v[8:9], v7, v[64:65]
	s_delay_alu instid0(VALU_DEP_1)
	v_dual_sub_nc_u32 v6, 29, v6 :: v_dual_bitop2_b32 v64, 7, v8 bitop3:0x40
; %bb.1121:                             ;   in Loop: Header=BB198_810 Depth=1
	s_or_b32 exec_lo, exec_lo, s16
	s_delay_alu instid0(VALU_DEP_1) | instskip(NEXT) | instid1(VALU_DEP_2)
	v_dual_lshlrev_b32 v7, 24, v50 :: v_dual_lshlrev_b32 v8, 20, v64
	v_lshl_add_u32 v6, v6, 23, 0x3c000000
	s_delay_alu instid0(VALU_DEP_2) | instskip(NEXT) | instid1(VALU_DEP_1)
	v_and_b32_e32 v7, 0x80000000, v7
	v_or3_b32 v64, v8, v7, v6
	s_delay_alu instid0(VALU_DEP_1)
	v_mov_b64_e32 v[8:9], v[64:65]
.LBB198_1122:                           ;   in Loop: Header=BB198_810 Depth=1
	s_or_b32 exec_lo, exec_lo, s11
.LBB198_1123:                           ;   in Loop: Header=BB198_810 Depth=1
	s_delay_alu instid0(SALU_CYCLE_1)
	s_or_b32 exec_lo, exec_lo, s10
.LBB198_1124:                           ;   in Loop: Header=BB198_810 Depth=1
	s_delay_alu instid0(SALU_CYCLE_1) | instskip(SKIP_2) | instid1(VALU_DEP_1)
	s_or_b32 exec_lo, exec_lo, s3
	v_lshrrev_b16 v6, 8, v50
	s_mov_b32 s3, exec_lo
	v_cmpx_ne_u16_e32 0, v6
	s_cbranch_execz .LBB198_1132
; %bb.1125:                             ;   in Loop: Header=BB198_810 Depth=1
	v_mov_b64_e32 v[0:1], 0x8000000000000000
	s_mov_b32 s10, exec_lo
	v_cmpx_ne_u16_e32 0x80, v6
	s_cbranch_execz .LBB198_1131
; %bb.1126:                             ;   in Loop: Header=BB198_810 Depth=1
	v_and_b32_e32 v7, 0xffff, v6
	v_mov_b64_e32 v[0:1], 0x7f80000100000000
	s_mov_b32 s11, exec_lo
	s_delay_alu instid0(VALU_DEP_2) | instskip(NEXT) | instid1(VALU_DEP_1)
	v_and_b32_e32 v6, 0x7f, v7
	v_cmpx_ne_u32_e32 0x7f, v6
	s_cbranch_execz .LBB198_1130
; %bb.1127:                             ;   in Loop: Header=BB198_810 Depth=1
	v_dual_lshrrev_b32 v0, 3, v6 :: v_dual_bitop2_b32 v64, 7, v7 bitop3:0x40
	s_mov_b32 s16, exec_lo
	v_cmpx_gt_u32_e32 8, v6
; %bb.1128:                             ;   in Loop: Header=BB198_810 Depth=1
	s_delay_alu instid0(VALU_DEP_2) | instskip(NEXT) | instid1(VALU_DEP_1)
	v_clz_i32_u32_e32 v0, v64
	v_min_u32_e32 v0, 32, v0
	s_delay_alu instid0(VALU_DEP_1) | instskip(NEXT) | instid1(VALU_DEP_1)
	v_subrev_nc_u32_e32 v1, 28, v0
	v_lshlrev_b64_e32 v[6:7], v1, v[64:65]
	s_delay_alu instid0(VALU_DEP_1)
	v_dual_sub_nc_u32 v0, 29, v0 :: v_dual_bitop2_b32 v64, 7, v6 bitop3:0x40
; %bb.1129:                             ;   in Loop: Header=BB198_810 Depth=1
	s_or_b32 exec_lo, exec_lo, s16
	s_delay_alu instid0(VALU_DEP_1) | instskip(NEXT) | instid1(VALU_DEP_2)
	v_dual_lshlrev_b32 v1, 16, v50 :: v_dual_lshlrev_b32 v6, 20, v64
	v_lshl_add_u32 v0, v0, 23, 0x3c000000
	s_delay_alu instid0(VALU_DEP_2) | instskip(NEXT) | instid1(VALU_DEP_1)
	v_and_b32_e32 v1, 0x80000000, v1
	v_or3_b32 v1, v6, v1, v0
	v_mov_b32_e32 v0, v65
.LBB198_1130:                           ;   in Loop: Header=BB198_810 Depth=1
	s_or_b32 exec_lo, exec_lo, s11
.LBB198_1131:                           ;   in Loop: Header=BB198_810 Depth=1
	s_delay_alu instid0(SALU_CYCLE_1)
	s_or_b32 exec_lo, exec_lo, s10
.LBB198_1132:                           ;   in Loop: Header=BB198_810 Depth=1
	s_delay_alu instid0(SALU_CYCLE_1) | instskip(SKIP_4) | instid1(VALU_DEP_3)
	s_or_b32 exec_lo, exec_lo, s3
	v_lshrrev_b32_e32 v51, 16, v50
	v_mov_b64_e32 v[18:19], 0
	v_mov_b64_e32 v[6:7], 0
	s_mov_b32 s3, exec_lo
	v_and_b32_e32 v52, 0xff, v51
	s_delay_alu instid0(VALU_DEP_1)
	v_cmpx_ne_u16_e32 0, v52
	s_cbranch_execz .LBB198_1140
; %bb.1133:                             ;   in Loop: Header=BB198_810 Depth=1
	v_mov_b64_e32 v[6:7], 0x80000000
	s_mov_b32 s10, exec_lo
	v_cmpx_ne_u16_e32 0x80, v52
	s_cbranch_execz .LBB198_1139
; %bb.1134:                             ;   in Loop: Header=BB198_810 Depth=1
	v_mov_b64_e32 v[6:7], 0x7f800001
	v_bfe_u32 v52, v50, 16, 7
	s_mov_b32 s11, exec_lo
	s_delay_alu instid0(VALU_DEP_1)
	v_cmpx_ne_u32_e32 0x7f, v52
	s_cbranch_execz .LBB198_1138
; %bb.1135:                             ;   in Loop: Header=BB198_810 Depth=1
	v_dual_lshrrev_b32 v6, 3, v52 :: v_dual_bitop2_b32 v64, 7, v51 bitop3:0x40
	s_mov_b32 s16, exec_lo
	v_cmpx_gt_u32_e32 8, v52
; %bb.1136:                             ;   in Loop: Header=BB198_810 Depth=1
	s_delay_alu instid0(VALU_DEP_2) | instskip(NEXT) | instid1(VALU_DEP_1)
	v_clz_i32_u32_e32 v6, v64
	v_min_u32_e32 v6, 32, v6
	s_delay_alu instid0(VALU_DEP_1) | instskip(NEXT) | instid1(VALU_DEP_1)
	v_subrev_nc_u32_e32 v7, 28, v6
	v_lshlrev_b64_e32 v[52:53], v7, v[64:65]
	s_delay_alu instid0(VALU_DEP_1)
	v_dual_sub_nc_u32 v6, 29, v6 :: v_dual_bitop2_b32 v64, 7, v52 bitop3:0x40
; %bb.1137:                             ;   in Loop: Header=BB198_810 Depth=1
	s_or_b32 exec_lo, exec_lo, s16
	s_delay_alu instid0(VALU_DEP_1) | instskip(NEXT) | instid1(VALU_DEP_2)
	v_dual_lshlrev_b32 v7, 24, v51 :: v_dual_lshlrev_b32 v51, 20, v64
	v_lshl_add_u32 v6, v6, 23, 0x3c000000
	s_delay_alu instid0(VALU_DEP_2) | instskip(NEXT) | instid1(VALU_DEP_1)
	v_and_b32_e32 v7, 0x80000000, v7
	v_or3_b32 v64, v51, v7, v6
	s_delay_alu instid0(VALU_DEP_1)
	v_mov_b64_e32 v[6:7], v[64:65]
.LBB198_1138:                           ;   in Loop: Header=BB198_810 Depth=1
	s_or_b32 exec_lo, exec_lo, s11
.LBB198_1139:                           ;   in Loop: Header=BB198_810 Depth=1
	s_delay_alu instid0(SALU_CYCLE_1)
	s_or_b32 exec_lo, exec_lo, s10
.LBB198_1140:                           ;   in Loop: Header=BB198_810 Depth=1
	s_delay_alu instid0(SALU_CYCLE_1) | instskip(NEXT) | instid1(SALU_CYCLE_1)
	s_or_b32 exec_lo, exec_lo, s3
	s_mov_b32 s3, exec_lo
	v_cmpx_lt_u32_e32 0xffffff, v50
	s_cbranch_execz .LBB198_1148
; %bb.1141:                             ;   in Loop: Header=BB198_810 Depth=1
	v_mov_b64_e32 v[18:19], 0x8000000000000000
	v_lshrrev_b32_e32 v51, 24, v50
	s_mov_b32 s10, exec_lo
	s_delay_alu instid0(VALU_DEP_1)
	v_cmpx_ne_u32_e32 0x80, v51
	s_cbranch_execz .LBB198_1147
; %bb.1142:                             ;   in Loop: Header=BB198_810 Depth=1
	v_mov_b64_e32 v[18:19], 0x7f80000100000000
	v_bfe_u32 v50, v50, 24, 7
	s_mov_b32 s11, exec_lo
	s_delay_alu instid0(VALU_DEP_1)
	v_cmpx_ne_u32_e32 0x7f, v50
	s_cbranch_execz .LBB198_1146
; %bb.1143:                             ;   in Loop: Header=BB198_810 Depth=1
	v_dual_lshrrev_b32 v18, 3, v50 :: v_dual_bitop2_b32 v64, 7, v51 bitop3:0x40
	s_mov_b32 s16, exec_lo
	v_cmpx_gt_u32_e32 8, v50
; %bb.1144:                             ;   in Loop: Header=BB198_810 Depth=1
	s_delay_alu instid0(VALU_DEP_2) | instskip(NEXT) | instid1(VALU_DEP_1)
	v_clz_i32_u32_e32 v18, v64
	v_min_u32_e32 v18, 32, v18
	s_delay_alu instid0(VALU_DEP_1) | instskip(NEXT) | instid1(VALU_DEP_1)
	v_subrev_nc_u32_e32 v19, 28, v18
	v_lshlrev_b64_e32 v[52:53], v19, v[64:65]
	s_delay_alu instid0(VALU_DEP_1)
	v_dual_sub_nc_u32 v18, 29, v18 :: v_dual_bitop2_b32 v64, 7, v52 bitop3:0x40
; %bb.1145:                             ;   in Loop: Header=BB198_810 Depth=1
	s_or_b32 exec_lo, exec_lo, s16
	s_delay_alu instid0(VALU_DEP_1) | instskip(NEXT) | instid1(VALU_DEP_2)
	v_dual_lshlrev_b32 v19, 24, v51 :: v_dual_lshlrev_b32 v50, 20, v64
	v_lshl_add_u32 v18, v18, 23, 0x3c000000
	s_delay_alu instid0(VALU_DEP_2) | instskip(NEXT) | instid1(VALU_DEP_1)
	v_and_b32_e32 v19, 0x80000000, v19
	v_or3_b32 v19, v50, v19, v18
	v_mov_b32_e32 v18, v65
.LBB198_1146:                           ;   in Loop: Header=BB198_810 Depth=1
	s_or_b32 exec_lo, exec_lo, s11
.LBB198_1147:                           ;   in Loop: Header=BB198_810 Depth=1
	s_delay_alu instid0(SALU_CYCLE_1)
	s_or_b32 exec_lo, exec_lo, s10
.LBB198_1148:                           ;   in Loop: Header=BB198_810 Depth=1
	s_delay_alu instid0(SALU_CYCLE_1) | instskip(SKIP_4) | instid1(VALU_DEP_3)
	s_or_b32 exec_lo, exec_lo, s3
	v_or_b32_e32 v1, v1, v9
	v_or_b32_e32 v0, v0, v8
	;; [unrolled: 1-line block ×4, first 2 shown]
	v_pk_mul_f32 v[40:41], v[22:23], v[0:1]
	s_delay_alu instid0(VALU_DEP_2)
	v_pk_mul_f32 v[118:119], v[22:23], v[6:7]
	s_and_saveexec_b32 s3, vcc_lo
	s_cbranch_execz .LBB198_1150
; %bb.1149:                             ;   in Loop: Header=BB198_810 Depth=1
	v_cmp_lt_i32_e64 s0, v17, v16
	s_delay_alu instid0(VALU_DEP_1) | instskip(SKIP_1) | instid1(VALU_DEP_1)
	v_cndmask_b32_e64 v40, 0, v40, s0
	v_cmp_lt_i32_e64 s0, v68, v16
	v_cndmask_b32_e64 v41, 0, v41, s0
	v_cmp_lt_i32_e64 s0, v70, v16
	s_delay_alu instid0(VALU_DEP_1) | instskip(SKIP_1) | instid1(VALU_DEP_1)
	v_cndmask_b32_e64 v118, 0, v118, s0
	v_cmp_lt_i32_e64 s0, v69, v16
	v_cndmask_b32_e64 v119, 0, v119, s0
.LBB198_1150:                           ;   in Loop: Header=BB198_810 Depth=1
	s_or_b32 exec_lo, exec_lo, s3
	flat_load_b32 v50, v[54:55] offset:1280
	v_mov_b64_e32 v[0:1], 0
	v_mov_b64_e32 v[8:9], 0
	s_mov_b32 s3, exec_lo
	s_wait_loadcnt_dscnt 0x0
	v_and_b32_e32 v6, 0xff, v50
	s_wait_xcnt 0x0
	s_delay_alu instid0(VALU_DEP_1)
	v_cmpx_ne_u16_e32 0, v6
	s_cbranch_execz .LBB198_1158
; %bb.1151:                             ;   in Loop: Header=BB198_810 Depth=1
	v_mov_b64_e32 v[8:9], 0x80000000
	s_mov_b32 s10, exec_lo
	v_cmpx_ne_u16_e32 0x80, v6
	s_cbranch_execz .LBB198_1157
; %bb.1152:                             ;   in Loop: Header=BB198_810 Depth=1
	v_mov_b64_e32 v[8:9], 0x7f800001
	v_and_b32_e32 v7, 0x7f, v50
	s_mov_b32 s11, exec_lo
	s_delay_alu instid0(VALU_DEP_1)
	v_cmpx_ne_u32_e32 0x7f, v7
	s_cbranch_execz .LBB198_1156
; %bb.1153:                             ;   in Loop: Header=BB198_810 Depth=1
	v_dual_lshrrev_b32 v6, 3, v7 :: v_dual_bitop2_b32 v64, 7, v50 bitop3:0x40
	s_mov_b32 s16, exec_lo
	v_cmpx_gt_u32_e32 8, v7
; %bb.1154:                             ;   in Loop: Header=BB198_810 Depth=1
	s_delay_alu instid0(VALU_DEP_2) | instskip(NEXT) | instid1(VALU_DEP_1)
	v_clz_i32_u32_e32 v6, v64
	v_min_u32_e32 v6, 32, v6
	s_delay_alu instid0(VALU_DEP_1) | instskip(NEXT) | instid1(VALU_DEP_1)
	v_subrev_nc_u32_e32 v7, 28, v6
	v_lshlrev_b64_e32 v[8:9], v7, v[64:65]
	s_delay_alu instid0(VALU_DEP_1)
	v_dual_sub_nc_u32 v6, 29, v6 :: v_dual_bitop2_b32 v64, 7, v8 bitop3:0x40
; %bb.1155:                             ;   in Loop: Header=BB198_810 Depth=1
	s_or_b32 exec_lo, exec_lo, s16
	s_delay_alu instid0(VALU_DEP_1) | instskip(NEXT) | instid1(VALU_DEP_2)
	v_dual_lshlrev_b32 v7, 24, v50 :: v_dual_lshlrev_b32 v8, 20, v64
	v_lshl_add_u32 v6, v6, 23, 0x3c000000
	s_delay_alu instid0(VALU_DEP_2) | instskip(NEXT) | instid1(VALU_DEP_1)
	v_and_b32_e32 v7, 0x80000000, v7
	v_or3_b32 v64, v8, v7, v6
	s_delay_alu instid0(VALU_DEP_1)
	v_mov_b64_e32 v[8:9], v[64:65]
.LBB198_1156:                           ;   in Loop: Header=BB198_810 Depth=1
	s_or_b32 exec_lo, exec_lo, s11
.LBB198_1157:                           ;   in Loop: Header=BB198_810 Depth=1
	s_delay_alu instid0(SALU_CYCLE_1)
	s_or_b32 exec_lo, exec_lo, s10
.LBB198_1158:                           ;   in Loop: Header=BB198_810 Depth=1
	s_delay_alu instid0(SALU_CYCLE_1) | instskip(SKIP_2) | instid1(VALU_DEP_1)
	s_or_b32 exec_lo, exec_lo, s3
	v_lshrrev_b16 v6, 8, v50
	s_mov_b32 s3, exec_lo
	v_cmpx_ne_u16_e32 0, v6
	s_cbranch_execz .LBB198_1166
; %bb.1159:                             ;   in Loop: Header=BB198_810 Depth=1
	v_mov_b64_e32 v[0:1], 0x8000000000000000
	s_mov_b32 s10, exec_lo
	v_cmpx_ne_u16_e32 0x80, v6
	s_cbranch_execz .LBB198_1165
; %bb.1160:                             ;   in Loop: Header=BB198_810 Depth=1
	v_and_b32_e32 v7, 0xffff, v6
	v_mov_b64_e32 v[0:1], 0x7f80000100000000
	s_mov_b32 s11, exec_lo
	s_delay_alu instid0(VALU_DEP_2) | instskip(NEXT) | instid1(VALU_DEP_1)
	v_and_b32_e32 v6, 0x7f, v7
	v_cmpx_ne_u32_e32 0x7f, v6
	s_cbranch_execz .LBB198_1164
; %bb.1161:                             ;   in Loop: Header=BB198_810 Depth=1
	v_dual_lshrrev_b32 v0, 3, v6 :: v_dual_bitop2_b32 v64, 7, v7 bitop3:0x40
	s_mov_b32 s16, exec_lo
	v_cmpx_gt_u32_e32 8, v6
; %bb.1162:                             ;   in Loop: Header=BB198_810 Depth=1
	s_delay_alu instid0(VALU_DEP_2) | instskip(NEXT) | instid1(VALU_DEP_1)
	v_clz_i32_u32_e32 v0, v64
	v_min_u32_e32 v0, 32, v0
	s_delay_alu instid0(VALU_DEP_1) | instskip(NEXT) | instid1(VALU_DEP_1)
	v_subrev_nc_u32_e32 v1, 28, v0
	v_lshlrev_b64_e32 v[6:7], v1, v[64:65]
	s_delay_alu instid0(VALU_DEP_1)
	v_dual_sub_nc_u32 v0, 29, v0 :: v_dual_bitop2_b32 v64, 7, v6 bitop3:0x40
; %bb.1163:                             ;   in Loop: Header=BB198_810 Depth=1
	s_or_b32 exec_lo, exec_lo, s16
	s_delay_alu instid0(VALU_DEP_1) | instskip(NEXT) | instid1(VALU_DEP_2)
	v_dual_lshlrev_b32 v1, 16, v50 :: v_dual_lshlrev_b32 v6, 20, v64
	v_lshl_add_u32 v0, v0, 23, 0x3c000000
	s_delay_alu instid0(VALU_DEP_2) | instskip(NEXT) | instid1(VALU_DEP_1)
	v_and_b32_e32 v1, 0x80000000, v1
	v_or3_b32 v1, v6, v1, v0
	v_mov_b32_e32 v0, v65
.LBB198_1164:                           ;   in Loop: Header=BB198_810 Depth=1
	s_or_b32 exec_lo, exec_lo, s11
.LBB198_1165:                           ;   in Loop: Header=BB198_810 Depth=1
	s_delay_alu instid0(SALU_CYCLE_1)
	s_or_b32 exec_lo, exec_lo, s10
.LBB198_1166:                           ;   in Loop: Header=BB198_810 Depth=1
	s_delay_alu instid0(SALU_CYCLE_1) | instskip(SKIP_4) | instid1(VALU_DEP_3)
	s_or_b32 exec_lo, exec_lo, s3
	v_lshrrev_b32_e32 v51, 16, v50
	v_mov_b64_e32 v[18:19], 0
	v_mov_b64_e32 v[6:7], 0
	s_mov_b32 s3, exec_lo
	v_and_b32_e32 v52, 0xff, v51
	s_delay_alu instid0(VALU_DEP_1)
	v_cmpx_ne_u16_e32 0, v52
	s_cbranch_execz .LBB198_1174
; %bb.1167:                             ;   in Loop: Header=BB198_810 Depth=1
	v_mov_b64_e32 v[6:7], 0x80000000
	s_mov_b32 s10, exec_lo
	v_cmpx_ne_u16_e32 0x80, v52
	s_cbranch_execz .LBB198_1173
; %bb.1168:                             ;   in Loop: Header=BB198_810 Depth=1
	v_mov_b64_e32 v[6:7], 0x7f800001
	v_bfe_u32 v52, v50, 16, 7
	s_mov_b32 s11, exec_lo
	s_delay_alu instid0(VALU_DEP_1)
	v_cmpx_ne_u32_e32 0x7f, v52
	s_cbranch_execz .LBB198_1172
; %bb.1169:                             ;   in Loop: Header=BB198_810 Depth=1
	v_dual_lshrrev_b32 v6, 3, v52 :: v_dual_bitop2_b32 v64, 7, v51 bitop3:0x40
	s_mov_b32 s16, exec_lo
	v_cmpx_gt_u32_e32 8, v52
; %bb.1170:                             ;   in Loop: Header=BB198_810 Depth=1
	s_delay_alu instid0(VALU_DEP_2) | instskip(NEXT) | instid1(VALU_DEP_1)
	v_clz_i32_u32_e32 v6, v64
	v_min_u32_e32 v6, 32, v6
	s_delay_alu instid0(VALU_DEP_1) | instskip(NEXT) | instid1(VALU_DEP_1)
	v_subrev_nc_u32_e32 v7, 28, v6
	v_lshlrev_b64_e32 v[52:53], v7, v[64:65]
	s_delay_alu instid0(VALU_DEP_1)
	v_dual_sub_nc_u32 v6, 29, v6 :: v_dual_bitop2_b32 v64, 7, v52 bitop3:0x40
; %bb.1171:                             ;   in Loop: Header=BB198_810 Depth=1
	s_or_b32 exec_lo, exec_lo, s16
	s_delay_alu instid0(VALU_DEP_1) | instskip(NEXT) | instid1(VALU_DEP_2)
	v_dual_lshlrev_b32 v7, 24, v51 :: v_dual_lshlrev_b32 v51, 20, v64
	v_lshl_add_u32 v6, v6, 23, 0x3c000000
	s_delay_alu instid0(VALU_DEP_2) | instskip(NEXT) | instid1(VALU_DEP_1)
	v_and_b32_e32 v7, 0x80000000, v7
	v_or3_b32 v64, v51, v7, v6
	s_delay_alu instid0(VALU_DEP_1)
	v_mov_b64_e32 v[6:7], v[64:65]
.LBB198_1172:                           ;   in Loop: Header=BB198_810 Depth=1
	s_or_b32 exec_lo, exec_lo, s11
.LBB198_1173:                           ;   in Loop: Header=BB198_810 Depth=1
	s_delay_alu instid0(SALU_CYCLE_1)
	s_or_b32 exec_lo, exec_lo, s10
.LBB198_1174:                           ;   in Loop: Header=BB198_810 Depth=1
	s_delay_alu instid0(SALU_CYCLE_1) | instskip(NEXT) | instid1(SALU_CYCLE_1)
	s_or_b32 exec_lo, exec_lo, s3
	s_mov_b32 s3, exec_lo
	v_cmpx_lt_u32_e32 0xffffff, v50
	s_cbranch_execz .LBB198_1182
; %bb.1175:                             ;   in Loop: Header=BB198_810 Depth=1
	v_mov_b64_e32 v[18:19], 0x8000000000000000
	v_lshrrev_b32_e32 v51, 24, v50
	s_mov_b32 s10, exec_lo
	s_delay_alu instid0(VALU_DEP_1)
	v_cmpx_ne_u32_e32 0x80, v51
	s_cbranch_execz .LBB198_1181
; %bb.1176:                             ;   in Loop: Header=BB198_810 Depth=1
	v_mov_b64_e32 v[18:19], 0x7f80000100000000
	v_bfe_u32 v50, v50, 24, 7
	s_mov_b32 s11, exec_lo
	s_delay_alu instid0(VALU_DEP_1)
	v_cmpx_ne_u32_e32 0x7f, v50
	s_cbranch_execz .LBB198_1180
; %bb.1177:                             ;   in Loop: Header=BB198_810 Depth=1
	v_dual_lshrrev_b32 v18, 3, v50 :: v_dual_bitop2_b32 v64, 7, v51 bitop3:0x40
	s_mov_b32 s16, exec_lo
	v_cmpx_gt_u32_e32 8, v50
; %bb.1178:                             ;   in Loop: Header=BB198_810 Depth=1
	s_delay_alu instid0(VALU_DEP_2) | instskip(NEXT) | instid1(VALU_DEP_1)
	v_clz_i32_u32_e32 v18, v64
	v_min_u32_e32 v18, 32, v18
	s_delay_alu instid0(VALU_DEP_1) | instskip(NEXT) | instid1(VALU_DEP_1)
	v_subrev_nc_u32_e32 v19, 28, v18
	v_lshlrev_b64_e32 v[52:53], v19, v[64:65]
	s_delay_alu instid0(VALU_DEP_1)
	v_dual_sub_nc_u32 v18, 29, v18 :: v_dual_bitop2_b32 v64, 7, v52 bitop3:0x40
; %bb.1179:                             ;   in Loop: Header=BB198_810 Depth=1
	s_or_b32 exec_lo, exec_lo, s16
	s_delay_alu instid0(VALU_DEP_1) | instskip(NEXT) | instid1(VALU_DEP_2)
	v_dual_lshlrev_b32 v19, 24, v51 :: v_dual_lshlrev_b32 v50, 20, v64
	v_lshl_add_u32 v18, v18, 23, 0x3c000000
	s_delay_alu instid0(VALU_DEP_2) | instskip(NEXT) | instid1(VALU_DEP_1)
	v_and_b32_e32 v19, 0x80000000, v19
	v_or3_b32 v19, v50, v19, v18
	v_mov_b32_e32 v18, v65
.LBB198_1180:                           ;   in Loop: Header=BB198_810 Depth=1
	s_or_b32 exec_lo, exec_lo, s11
.LBB198_1181:                           ;   in Loop: Header=BB198_810 Depth=1
	s_delay_alu instid0(SALU_CYCLE_1)
	s_or_b32 exec_lo, exec_lo, s10
.LBB198_1182:                           ;   in Loop: Header=BB198_810 Depth=1
	s_delay_alu instid0(SALU_CYCLE_1) | instskip(SKIP_4) | instid1(VALU_DEP_3)
	s_or_b32 exec_lo, exec_lo, s3
	v_or_b32_e32 v1, v1, v9
	v_or_b32_e32 v0, v0, v8
	;; [unrolled: 1-line block ×4, first 2 shown]
	v_pk_mul_f32 v[44:45], v[22:23], v[0:1]
	s_delay_alu instid0(VALU_DEP_2)
	v_pk_mul_f32 v[42:43], v[22:23], v[6:7]
	s_and_saveexec_b32 s3, vcc_lo
	s_cbranch_execz .LBB198_1184
; %bb.1183:                             ;   in Loop: Header=BB198_810 Depth=1
	v_cmp_lt_i32_e64 s0, v17, v16
	s_delay_alu instid0(VALU_DEP_1) | instskip(SKIP_1) | instid1(VALU_DEP_1)
	v_cndmask_b32_e64 v44, 0, v44, s0
	v_cmp_lt_i32_e64 s0, v68, v16
	v_cndmask_b32_e64 v45, 0, v45, s0
	v_cmp_lt_i32_e64 s0, v70, v16
	s_delay_alu instid0(VALU_DEP_1) | instskip(SKIP_1) | instid1(VALU_DEP_1)
	v_cndmask_b32_e64 v42, 0, v42, s0
	v_cmp_lt_i32_e64 s0, v69, v16
	v_cndmask_b32_e64 v43, 0, v43, s0
.LBB198_1184:                           ;   in Loop: Header=BB198_810 Depth=1
	s_or_b32 exec_lo, exec_lo, s3
	flat_load_b32 v50, v[54:55] offset:1408
	v_mov_b64_e32 v[0:1], 0
	v_mov_b64_e32 v[8:9], 0
	s_mov_b32 s3, exec_lo
	s_wait_loadcnt_dscnt 0x0
	v_and_b32_e32 v6, 0xff, v50
	s_wait_xcnt 0x0
	s_delay_alu instid0(VALU_DEP_1)
	v_cmpx_ne_u16_e32 0, v6
	s_cbranch_execz .LBB198_1192
; %bb.1185:                             ;   in Loop: Header=BB198_810 Depth=1
	v_mov_b64_e32 v[8:9], 0x80000000
	s_mov_b32 s10, exec_lo
	v_cmpx_ne_u16_e32 0x80, v6
	s_cbranch_execz .LBB198_1191
; %bb.1186:                             ;   in Loop: Header=BB198_810 Depth=1
	v_mov_b64_e32 v[8:9], 0x7f800001
	v_and_b32_e32 v7, 0x7f, v50
	s_mov_b32 s11, exec_lo
	s_delay_alu instid0(VALU_DEP_1)
	v_cmpx_ne_u32_e32 0x7f, v7
	s_cbranch_execz .LBB198_1190
; %bb.1187:                             ;   in Loop: Header=BB198_810 Depth=1
	v_dual_lshrrev_b32 v6, 3, v7 :: v_dual_bitop2_b32 v64, 7, v50 bitop3:0x40
	s_mov_b32 s16, exec_lo
	v_cmpx_gt_u32_e32 8, v7
; %bb.1188:                             ;   in Loop: Header=BB198_810 Depth=1
	s_delay_alu instid0(VALU_DEP_2) | instskip(NEXT) | instid1(VALU_DEP_1)
	v_clz_i32_u32_e32 v6, v64
	v_min_u32_e32 v6, 32, v6
	s_delay_alu instid0(VALU_DEP_1) | instskip(NEXT) | instid1(VALU_DEP_1)
	v_subrev_nc_u32_e32 v7, 28, v6
	v_lshlrev_b64_e32 v[8:9], v7, v[64:65]
	s_delay_alu instid0(VALU_DEP_1)
	v_dual_sub_nc_u32 v6, 29, v6 :: v_dual_bitop2_b32 v64, 7, v8 bitop3:0x40
; %bb.1189:                             ;   in Loop: Header=BB198_810 Depth=1
	s_or_b32 exec_lo, exec_lo, s16
	s_delay_alu instid0(VALU_DEP_1) | instskip(NEXT) | instid1(VALU_DEP_2)
	v_dual_lshlrev_b32 v7, 24, v50 :: v_dual_lshlrev_b32 v8, 20, v64
	v_lshl_add_u32 v6, v6, 23, 0x3c000000
	s_delay_alu instid0(VALU_DEP_2) | instskip(NEXT) | instid1(VALU_DEP_1)
	v_and_b32_e32 v7, 0x80000000, v7
	v_or3_b32 v64, v8, v7, v6
	s_delay_alu instid0(VALU_DEP_1)
	v_mov_b64_e32 v[8:9], v[64:65]
.LBB198_1190:                           ;   in Loop: Header=BB198_810 Depth=1
	s_or_b32 exec_lo, exec_lo, s11
.LBB198_1191:                           ;   in Loop: Header=BB198_810 Depth=1
	s_delay_alu instid0(SALU_CYCLE_1)
	s_or_b32 exec_lo, exec_lo, s10
.LBB198_1192:                           ;   in Loop: Header=BB198_810 Depth=1
	s_delay_alu instid0(SALU_CYCLE_1) | instskip(SKIP_2) | instid1(VALU_DEP_1)
	s_or_b32 exec_lo, exec_lo, s3
	v_lshrrev_b16 v6, 8, v50
	s_mov_b32 s3, exec_lo
	v_cmpx_ne_u16_e32 0, v6
	s_cbranch_execz .LBB198_1200
; %bb.1193:                             ;   in Loop: Header=BB198_810 Depth=1
	v_mov_b64_e32 v[0:1], 0x8000000000000000
	s_mov_b32 s10, exec_lo
	v_cmpx_ne_u16_e32 0x80, v6
	s_cbranch_execz .LBB198_1199
; %bb.1194:                             ;   in Loop: Header=BB198_810 Depth=1
	v_and_b32_e32 v7, 0xffff, v6
	v_mov_b64_e32 v[0:1], 0x7f80000100000000
	s_mov_b32 s11, exec_lo
	s_delay_alu instid0(VALU_DEP_2) | instskip(NEXT) | instid1(VALU_DEP_1)
	v_and_b32_e32 v6, 0x7f, v7
	v_cmpx_ne_u32_e32 0x7f, v6
	s_cbranch_execz .LBB198_1198
; %bb.1195:                             ;   in Loop: Header=BB198_810 Depth=1
	v_dual_lshrrev_b32 v0, 3, v6 :: v_dual_bitop2_b32 v64, 7, v7 bitop3:0x40
	s_mov_b32 s16, exec_lo
	v_cmpx_gt_u32_e32 8, v6
; %bb.1196:                             ;   in Loop: Header=BB198_810 Depth=1
	s_delay_alu instid0(VALU_DEP_2) | instskip(NEXT) | instid1(VALU_DEP_1)
	v_clz_i32_u32_e32 v0, v64
	v_min_u32_e32 v0, 32, v0
	s_delay_alu instid0(VALU_DEP_1) | instskip(NEXT) | instid1(VALU_DEP_1)
	v_subrev_nc_u32_e32 v1, 28, v0
	v_lshlrev_b64_e32 v[6:7], v1, v[64:65]
	s_delay_alu instid0(VALU_DEP_1)
	v_dual_sub_nc_u32 v0, 29, v0 :: v_dual_bitop2_b32 v64, 7, v6 bitop3:0x40
; %bb.1197:                             ;   in Loop: Header=BB198_810 Depth=1
	s_or_b32 exec_lo, exec_lo, s16
	s_delay_alu instid0(VALU_DEP_1) | instskip(NEXT) | instid1(VALU_DEP_2)
	v_dual_lshlrev_b32 v1, 16, v50 :: v_dual_lshlrev_b32 v6, 20, v64
	v_lshl_add_u32 v0, v0, 23, 0x3c000000
	s_delay_alu instid0(VALU_DEP_2) | instskip(NEXT) | instid1(VALU_DEP_1)
	v_and_b32_e32 v1, 0x80000000, v1
	v_or3_b32 v1, v6, v1, v0
	v_mov_b32_e32 v0, v65
.LBB198_1198:                           ;   in Loop: Header=BB198_810 Depth=1
	s_or_b32 exec_lo, exec_lo, s11
.LBB198_1199:                           ;   in Loop: Header=BB198_810 Depth=1
	s_delay_alu instid0(SALU_CYCLE_1)
	s_or_b32 exec_lo, exec_lo, s10
.LBB198_1200:                           ;   in Loop: Header=BB198_810 Depth=1
	s_delay_alu instid0(SALU_CYCLE_1) | instskip(SKIP_4) | instid1(VALU_DEP_3)
	s_or_b32 exec_lo, exec_lo, s3
	v_lshrrev_b32_e32 v51, 16, v50
	v_mov_b64_e32 v[18:19], 0
	v_mov_b64_e32 v[6:7], 0
	s_mov_b32 s3, exec_lo
	v_and_b32_e32 v52, 0xff, v51
	s_delay_alu instid0(VALU_DEP_1)
	v_cmpx_ne_u16_e32 0, v52
	s_cbranch_execz .LBB198_1208
; %bb.1201:                             ;   in Loop: Header=BB198_810 Depth=1
	v_mov_b64_e32 v[6:7], 0x80000000
	s_mov_b32 s10, exec_lo
	v_cmpx_ne_u16_e32 0x80, v52
	s_cbranch_execz .LBB198_1207
; %bb.1202:                             ;   in Loop: Header=BB198_810 Depth=1
	v_mov_b64_e32 v[6:7], 0x7f800001
	v_bfe_u32 v52, v50, 16, 7
	s_mov_b32 s11, exec_lo
	s_delay_alu instid0(VALU_DEP_1)
	v_cmpx_ne_u32_e32 0x7f, v52
	s_cbranch_execz .LBB198_1206
; %bb.1203:                             ;   in Loop: Header=BB198_810 Depth=1
	v_dual_lshrrev_b32 v6, 3, v52 :: v_dual_bitop2_b32 v64, 7, v51 bitop3:0x40
	s_mov_b32 s16, exec_lo
	v_cmpx_gt_u32_e32 8, v52
; %bb.1204:                             ;   in Loop: Header=BB198_810 Depth=1
	s_delay_alu instid0(VALU_DEP_2) | instskip(NEXT) | instid1(VALU_DEP_1)
	v_clz_i32_u32_e32 v6, v64
	v_min_u32_e32 v6, 32, v6
	s_delay_alu instid0(VALU_DEP_1) | instskip(NEXT) | instid1(VALU_DEP_1)
	v_subrev_nc_u32_e32 v7, 28, v6
	v_lshlrev_b64_e32 v[52:53], v7, v[64:65]
	s_delay_alu instid0(VALU_DEP_1)
	v_dual_sub_nc_u32 v6, 29, v6 :: v_dual_bitop2_b32 v64, 7, v52 bitop3:0x40
; %bb.1205:                             ;   in Loop: Header=BB198_810 Depth=1
	s_or_b32 exec_lo, exec_lo, s16
	s_delay_alu instid0(VALU_DEP_1) | instskip(NEXT) | instid1(VALU_DEP_2)
	v_dual_lshlrev_b32 v7, 24, v51 :: v_dual_lshlrev_b32 v51, 20, v64
	v_lshl_add_u32 v6, v6, 23, 0x3c000000
	s_delay_alu instid0(VALU_DEP_2) | instskip(NEXT) | instid1(VALU_DEP_1)
	v_and_b32_e32 v7, 0x80000000, v7
	v_or3_b32 v64, v51, v7, v6
	s_delay_alu instid0(VALU_DEP_1)
	v_mov_b64_e32 v[6:7], v[64:65]
.LBB198_1206:                           ;   in Loop: Header=BB198_810 Depth=1
	s_or_b32 exec_lo, exec_lo, s11
.LBB198_1207:                           ;   in Loop: Header=BB198_810 Depth=1
	s_delay_alu instid0(SALU_CYCLE_1)
	s_or_b32 exec_lo, exec_lo, s10
.LBB198_1208:                           ;   in Loop: Header=BB198_810 Depth=1
	s_delay_alu instid0(SALU_CYCLE_1) | instskip(NEXT) | instid1(SALU_CYCLE_1)
	s_or_b32 exec_lo, exec_lo, s3
	s_mov_b32 s3, exec_lo
	v_cmpx_lt_u32_e32 0xffffff, v50
	s_cbranch_execz .LBB198_1216
; %bb.1209:                             ;   in Loop: Header=BB198_810 Depth=1
	v_mov_b64_e32 v[18:19], 0x8000000000000000
	v_lshrrev_b32_e32 v51, 24, v50
	s_mov_b32 s10, exec_lo
	s_delay_alu instid0(VALU_DEP_1)
	v_cmpx_ne_u32_e32 0x80, v51
	s_cbranch_execz .LBB198_1215
; %bb.1210:                             ;   in Loop: Header=BB198_810 Depth=1
	v_mov_b64_e32 v[18:19], 0x7f80000100000000
	v_bfe_u32 v50, v50, 24, 7
	s_mov_b32 s11, exec_lo
	s_delay_alu instid0(VALU_DEP_1)
	v_cmpx_ne_u32_e32 0x7f, v50
	s_cbranch_execz .LBB198_1214
; %bb.1211:                             ;   in Loop: Header=BB198_810 Depth=1
	v_dual_lshrrev_b32 v18, 3, v50 :: v_dual_bitop2_b32 v64, 7, v51 bitop3:0x40
	s_mov_b32 s16, exec_lo
	v_cmpx_gt_u32_e32 8, v50
; %bb.1212:                             ;   in Loop: Header=BB198_810 Depth=1
	s_delay_alu instid0(VALU_DEP_2) | instskip(NEXT) | instid1(VALU_DEP_1)
	v_clz_i32_u32_e32 v18, v64
	v_min_u32_e32 v18, 32, v18
	s_delay_alu instid0(VALU_DEP_1) | instskip(NEXT) | instid1(VALU_DEP_1)
	v_subrev_nc_u32_e32 v19, 28, v18
	v_lshlrev_b64_e32 v[52:53], v19, v[64:65]
	s_delay_alu instid0(VALU_DEP_1)
	v_dual_sub_nc_u32 v18, 29, v18 :: v_dual_bitop2_b32 v64, 7, v52 bitop3:0x40
; %bb.1213:                             ;   in Loop: Header=BB198_810 Depth=1
	s_or_b32 exec_lo, exec_lo, s16
	s_delay_alu instid0(VALU_DEP_1) | instskip(NEXT) | instid1(VALU_DEP_2)
	v_dual_lshlrev_b32 v19, 24, v51 :: v_dual_lshlrev_b32 v50, 20, v64
	v_lshl_add_u32 v18, v18, 23, 0x3c000000
	s_delay_alu instid0(VALU_DEP_2) | instskip(NEXT) | instid1(VALU_DEP_1)
	v_and_b32_e32 v19, 0x80000000, v19
	v_or3_b32 v19, v50, v19, v18
	v_mov_b32_e32 v18, v65
.LBB198_1214:                           ;   in Loop: Header=BB198_810 Depth=1
	s_or_b32 exec_lo, exec_lo, s11
.LBB198_1215:                           ;   in Loop: Header=BB198_810 Depth=1
	s_delay_alu instid0(SALU_CYCLE_1)
	s_or_b32 exec_lo, exec_lo, s10
.LBB198_1216:                           ;   in Loop: Header=BB198_810 Depth=1
	s_delay_alu instid0(SALU_CYCLE_1) | instskip(SKIP_4) | instid1(VALU_DEP_3)
	s_or_b32 exec_lo, exec_lo, s3
	v_or_b32_e32 v1, v1, v9
	v_or_b32_e32 v0, v0, v8
	;; [unrolled: 1-line block ×4, first 2 shown]
	v_pk_mul_f32 v[56:57], v[22:23], v[0:1]
	s_delay_alu instid0(VALU_DEP_2)
	v_pk_mul_f32 v[46:47], v[22:23], v[6:7]
	s_and_saveexec_b32 s3, vcc_lo
	s_cbranch_execz .LBB198_1218
; %bb.1217:                             ;   in Loop: Header=BB198_810 Depth=1
	v_cmp_lt_i32_e64 s0, v17, v16
	s_delay_alu instid0(VALU_DEP_1) | instskip(SKIP_1) | instid1(VALU_DEP_1)
	v_cndmask_b32_e64 v56, 0, v56, s0
	v_cmp_lt_i32_e64 s0, v68, v16
	v_cndmask_b32_e64 v57, 0, v57, s0
	v_cmp_lt_i32_e64 s0, v70, v16
	s_delay_alu instid0(VALU_DEP_1) | instskip(SKIP_1) | instid1(VALU_DEP_1)
	v_cndmask_b32_e64 v46, 0, v46, s0
	v_cmp_lt_i32_e64 s0, v69, v16
	v_cndmask_b32_e64 v47, 0, v47, s0
.LBB198_1218:                           ;   in Loop: Header=BB198_810 Depth=1
	s_or_b32 exec_lo, exec_lo, s3
	flat_load_b32 v50, v[54:55] offset:1536
	v_mov_b64_e32 v[0:1], 0
	v_mov_b64_e32 v[8:9], 0
	s_mov_b32 s3, exec_lo
	s_wait_loadcnt_dscnt 0x0
	v_and_b32_e32 v6, 0xff, v50
	s_wait_xcnt 0x0
	s_delay_alu instid0(VALU_DEP_1)
	v_cmpx_ne_u16_e32 0, v6
	s_cbranch_execz .LBB198_1226
; %bb.1219:                             ;   in Loop: Header=BB198_810 Depth=1
	v_mov_b64_e32 v[8:9], 0x80000000
	s_mov_b32 s10, exec_lo
	v_cmpx_ne_u16_e32 0x80, v6
	s_cbranch_execz .LBB198_1225
; %bb.1220:                             ;   in Loop: Header=BB198_810 Depth=1
	v_mov_b64_e32 v[8:9], 0x7f800001
	v_and_b32_e32 v7, 0x7f, v50
	s_mov_b32 s11, exec_lo
	s_delay_alu instid0(VALU_DEP_1)
	v_cmpx_ne_u32_e32 0x7f, v7
	s_cbranch_execz .LBB198_1224
; %bb.1221:                             ;   in Loop: Header=BB198_810 Depth=1
	v_dual_lshrrev_b32 v6, 3, v7 :: v_dual_bitop2_b32 v64, 7, v50 bitop3:0x40
	s_mov_b32 s16, exec_lo
	v_cmpx_gt_u32_e32 8, v7
; %bb.1222:                             ;   in Loop: Header=BB198_810 Depth=1
	s_delay_alu instid0(VALU_DEP_2) | instskip(NEXT) | instid1(VALU_DEP_1)
	v_clz_i32_u32_e32 v6, v64
	v_min_u32_e32 v6, 32, v6
	s_delay_alu instid0(VALU_DEP_1) | instskip(NEXT) | instid1(VALU_DEP_1)
	v_subrev_nc_u32_e32 v7, 28, v6
	v_lshlrev_b64_e32 v[8:9], v7, v[64:65]
	s_delay_alu instid0(VALU_DEP_1)
	v_dual_sub_nc_u32 v6, 29, v6 :: v_dual_bitop2_b32 v64, 7, v8 bitop3:0x40
; %bb.1223:                             ;   in Loop: Header=BB198_810 Depth=1
	s_or_b32 exec_lo, exec_lo, s16
	s_delay_alu instid0(VALU_DEP_1) | instskip(NEXT) | instid1(VALU_DEP_2)
	v_dual_lshlrev_b32 v7, 24, v50 :: v_dual_lshlrev_b32 v8, 20, v64
	v_lshl_add_u32 v6, v6, 23, 0x3c000000
	s_delay_alu instid0(VALU_DEP_2) | instskip(NEXT) | instid1(VALU_DEP_1)
	v_and_b32_e32 v7, 0x80000000, v7
	v_or3_b32 v64, v8, v7, v6
	s_delay_alu instid0(VALU_DEP_1)
	v_mov_b64_e32 v[8:9], v[64:65]
.LBB198_1224:                           ;   in Loop: Header=BB198_810 Depth=1
	s_or_b32 exec_lo, exec_lo, s11
.LBB198_1225:                           ;   in Loop: Header=BB198_810 Depth=1
	s_delay_alu instid0(SALU_CYCLE_1)
	s_or_b32 exec_lo, exec_lo, s10
.LBB198_1226:                           ;   in Loop: Header=BB198_810 Depth=1
	s_delay_alu instid0(SALU_CYCLE_1) | instskip(SKIP_2) | instid1(VALU_DEP_1)
	s_or_b32 exec_lo, exec_lo, s3
	v_lshrrev_b16 v6, 8, v50
	s_mov_b32 s3, exec_lo
	v_cmpx_ne_u16_e32 0, v6
	s_cbranch_execz .LBB198_1234
; %bb.1227:                             ;   in Loop: Header=BB198_810 Depth=1
	v_mov_b64_e32 v[0:1], 0x8000000000000000
	s_mov_b32 s10, exec_lo
	v_cmpx_ne_u16_e32 0x80, v6
	s_cbranch_execz .LBB198_1233
; %bb.1228:                             ;   in Loop: Header=BB198_810 Depth=1
	v_and_b32_e32 v7, 0xffff, v6
	v_mov_b64_e32 v[0:1], 0x7f80000100000000
	s_mov_b32 s11, exec_lo
	s_delay_alu instid0(VALU_DEP_2) | instskip(NEXT) | instid1(VALU_DEP_1)
	v_and_b32_e32 v6, 0x7f, v7
	v_cmpx_ne_u32_e32 0x7f, v6
	s_cbranch_execz .LBB198_1232
; %bb.1229:                             ;   in Loop: Header=BB198_810 Depth=1
	v_dual_lshrrev_b32 v0, 3, v6 :: v_dual_bitop2_b32 v64, 7, v7 bitop3:0x40
	s_mov_b32 s16, exec_lo
	v_cmpx_gt_u32_e32 8, v6
; %bb.1230:                             ;   in Loop: Header=BB198_810 Depth=1
	s_delay_alu instid0(VALU_DEP_2) | instskip(NEXT) | instid1(VALU_DEP_1)
	v_clz_i32_u32_e32 v0, v64
	v_min_u32_e32 v0, 32, v0
	s_delay_alu instid0(VALU_DEP_1) | instskip(NEXT) | instid1(VALU_DEP_1)
	v_subrev_nc_u32_e32 v1, 28, v0
	v_lshlrev_b64_e32 v[6:7], v1, v[64:65]
	s_delay_alu instid0(VALU_DEP_1)
	v_dual_sub_nc_u32 v0, 29, v0 :: v_dual_bitop2_b32 v64, 7, v6 bitop3:0x40
; %bb.1231:                             ;   in Loop: Header=BB198_810 Depth=1
	s_or_b32 exec_lo, exec_lo, s16
	s_delay_alu instid0(VALU_DEP_1) | instskip(NEXT) | instid1(VALU_DEP_2)
	v_dual_lshlrev_b32 v1, 16, v50 :: v_dual_lshlrev_b32 v6, 20, v64
	v_lshl_add_u32 v0, v0, 23, 0x3c000000
	s_delay_alu instid0(VALU_DEP_2) | instskip(NEXT) | instid1(VALU_DEP_1)
	v_and_b32_e32 v1, 0x80000000, v1
	v_or3_b32 v1, v6, v1, v0
	v_mov_b32_e32 v0, v65
.LBB198_1232:                           ;   in Loop: Header=BB198_810 Depth=1
	s_or_b32 exec_lo, exec_lo, s11
.LBB198_1233:                           ;   in Loop: Header=BB198_810 Depth=1
	s_delay_alu instid0(SALU_CYCLE_1)
	s_or_b32 exec_lo, exec_lo, s10
.LBB198_1234:                           ;   in Loop: Header=BB198_810 Depth=1
	s_delay_alu instid0(SALU_CYCLE_1) | instskip(SKIP_4) | instid1(VALU_DEP_3)
	s_or_b32 exec_lo, exec_lo, s3
	v_lshrrev_b32_e32 v51, 16, v50
	v_mov_b64_e32 v[18:19], 0
	v_mov_b64_e32 v[6:7], 0
	s_mov_b32 s3, exec_lo
	v_and_b32_e32 v52, 0xff, v51
	s_delay_alu instid0(VALU_DEP_1)
	v_cmpx_ne_u16_e32 0, v52
	s_cbranch_execz .LBB198_1242
; %bb.1235:                             ;   in Loop: Header=BB198_810 Depth=1
	v_mov_b64_e32 v[6:7], 0x80000000
	s_mov_b32 s10, exec_lo
	v_cmpx_ne_u16_e32 0x80, v52
	s_cbranch_execz .LBB198_1241
; %bb.1236:                             ;   in Loop: Header=BB198_810 Depth=1
	v_mov_b64_e32 v[6:7], 0x7f800001
	v_bfe_u32 v52, v50, 16, 7
	s_mov_b32 s11, exec_lo
	s_delay_alu instid0(VALU_DEP_1)
	v_cmpx_ne_u32_e32 0x7f, v52
	s_cbranch_execz .LBB198_1240
; %bb.1237:                             ;   in Loop: Header=BB198_810 Depth=1
	v_dual_lshrrev_b32 v6, 3, v52 :: v_dual_bitop2_b32 v64, 7, v51 bitop3:0x40
	s_mov_b32 s16, exec_lo
	v_cmpx_gt_u32_e32 8, v52
; %bb.1238:                             ;   in Loop: Header=BB198_810 Depth=1
	s_delay_alu instid0(VALU_DEP_2) | instskip(NEXT) | instid1(VALU_DEP_1)
	v_clz_i32_u32_e32 v6, v64
	v_min_u32_e32 v6, 32, v6
	s_delay_alu instid0(VALU_DEP_1) | instskip(NEXT) | instid1(VALU_DEP_1)
	v_subrev_nc_u32_e32 v7, 28, v6
	v_lshlrev_b64_e32 v[52:53], v7, v[64:65]
	s_delay_alu instid0(VALU_DEP_1)
	v_dual_sub_nc_u32 v6, 29, v6 :: v_dual_bitop2_b32 v64, 7, v52 bitop3:0x40
; %bb.1239:                             ;   in Loop: Header=BB198_810 Depth=1
	s_or_b32 exec_lo, exec_lo, s16
	s_delay_alu instid0(VALU_DEP_1) | instskip(NEXT) | instid1(VALU_DEP_2)
	v_dual_lshlrev_b32 v7, 24, v51 :: v_dual_lshlrev_b32 v51, 20, v64
	v_lshl_add_u32 v6, v6, 23, 0x3c000000
	s_delay_alu instid0(VALU_DEP_2) | instskip(NEXT) | instid1(VALU_DEP_1)
	v_and_b32_e32 v7, 0x80000000, v7
	v_or3_b32 v64, v51, v7, v6
	s_delay_alu instid0(VALU_DEP_1)
	v_mov_b64_e32 v[6:7], v[64:65]
.LBB198_1240:                           ;   in Loop: Header=BB198_810 Depth=1
	s_or_b32 exec_lo, exec_lo, s11
.LBB198_1241:                           ;   in Loop: Header=BB198_810 Depth=1
	s_delay_alu instid0(SALU_CYCLE_1)
	s_or_b32 exec_lo, exec_lo, s10
.LBB198_1242:                           ;   in Loop: Header=BB198_810 Depth=1
	s_delay_alu instid0(SALU_CYCLE_1) | instskip(NEXT) | instid1(SALU_CYCLE_1)
	s_or_b32 exec_lo, exec_lo, s3
	s_mov_b32 s3, exec_lo
	v_cmpx_lt_u32_e32 0xffffff, v50
	s_cbranch_execz .LBB198_1250
; %bb.1243:                             ;   in Loop: Header=BB198_810 Depth=1
	v_mov_b64_e32 v[18:19], 0x8000000000000000
	v_lshrrev_b32_e32 v51, 24, v50
	s_mov_b32 s10, exec_lo
	s_delay_alu instid0(VALU_DEP_1)
	v_cmpx_ne_u32_e32 0x80, v51
	s_cbranch_execz .LBB198_1249
; %bb.1244:                             ;   in Loop: Header=BB198_810 Depth=1
	v_mov_b64_e32 v[18:19], 0x7f80000100000000
	v_bfe_u32 v50, v50, 24, 7
	s_mov_b32 s11, exec_lo
	s_delay_alu instid0(VALU_DEP_1)
	v_cmpx_ne_u32_e32 0x7f, v50
	s_cbranch_execz .LBB198_1248
; %bb.1245:                             ;   in Loop: Header=BB198_810 Depth=1
	v_dual_lshrrev_b32 v18, 3, v50 :: v_dual_bitop2_b32 v64, 7, v51 bitop3:0x40
	s_mov_b32 s16, exec_lo
	v_cmpx_gt_u32_e32 8, v50
; %bb.1246:                             ;   in Loop: Header=BB198_810 Depth=1
	s_delay_alu instid0(VALU_DEP_2) | instskip(NEXT) | instid1(VALU_DEP_1)
	v_clz_i32_u32_e32 v18, v64
	v_min_u32_e32 v18, 32, v18
	s_delay_alu instid0(VALU_DEP_1) | instskip(NEXT) | instid1(VALU_DEP_1)
	v_subrev_nc_u32_e32 v19, 28, v18
	v_lshlrev_b64_e32 v[52:53], v19, v[64:65]
	s_delay_alu instid0(VALU_DEP_1)
	v_dual_sub_nc_u32 v18, 29, v18 :: v_dual_bitop2_b32 v64, 7, v52 bitop3:0x40
; %bb.1247:                             ;   in Loop: Header=BB198_810 Depth=1
	s_or_b32 exec_lo, exec_lo, s16
	s_delay_alu instid0(VALU_DEP_1) | instskip(NEXT) | instid1(VALU_DEP_2)
	v_dual_lshlrev_b32 v19, 24, v51 :: v_dual_lshlrev_b32 v50, 20, v64
	v_lshl_add_u32 v18, v18, 23, 0x3c000000
	s_delay_alu instid0(VALU_DEP_2) | instskip(NEXT) | instid1(VALU_DEP_1)
	v_and_b32_e32 v19, 0x80000000, v19
	v_or3_b32 v19, v50, v19, v18
	v_mov_b32_e32 v18, v65
.LBB198_1248:                           ;   in Loop: Header=BB198_810 Depth=1
	s_or_b32 exec_lo, exec_lo, s11
.LBB198_1249:                           ;   in Loop: Header=BB198_810 Depth=1
	s_delay_alu instid0(SALU_CYCLE_1)
	s_or_b32 exec_lo, exec_lo, s10
.LBB198_1250:                           ;   in Loop: Header=BB198_810 Depth=1
	s_delay_alu instid0(SALU_CYCLE_1) | instskip(SKIP_4) | instid1(VALU_DEP_3)
	s_or_b32 exec_lo, exec_lo, s3
	v_or_b32_e32 v1, v1, v9
	v_or_b32_e32 v0, v0, v8
	;; [unrolled: 1-line block ×4, first 2 shown]
	v_pk_mul_f32 v[60:61], v[22:23], v[0:1]
	s_delay_alu instid0(VALU_DEP_2)
	v_pk_mul_f32 v[58:59], v[22:23], v[6:7]
	s_and_saveexec_b32 s3, vcc_lo
	s_cbranch_execz .LBB198_1252
; %bb.1251:                             ;   in Loop: Header=BB198_810 Depth=1
	v_cmp_lt_i32_e64 s0, v17, v16
	s_delay_alu instid0(VALU_DEP_1) | instskip(SKIP_1) | instid1(VALU_DEP_1)
	v_cndmask_b32_e64 v60, 0, v60, s0
	v_cmp_lt_i32_e64 s0, v68, v16
	v_cndmask_b32_e64 v61, 0, v61, s0
	v_cmp_lt_i32_e64 s0, v70, v16
	s_delay_alu instid0(VALU_DEP_1) | instskip(SKIP_1) | instid1(VALU_DEP_1)
	v_cndmask_b32_e64 v58, 0, v58, s0
	v_cmp_lt_i32_e64 s0, v69, v16
	v_cndmask_b32_e64 v59, 0, v59, s0
.LBB198_1252:                           ;   in Loop: Header=BB198_810 Depth=1
	s_or_b32 exec_lo, exec_lo, s3
	flat_load_b32 v50, v[54:55] offset:1664
	v_mov_b64_e32 v[0:1], 0
	v_mov_b64_e32 v[8:9], 0
	s_mov_b32 s3, exec_lo
	s_wait_loadcnt_dscnt 0x0
	v_and_b32_e32 v6, 0xff, v50
	s_wait_xcnt 0x0
	s_delay_alu instid0(VALU_DEP_1)
	v_cmpx_ne_u16_e32 0, v6
	s_cbranch_execz .LBB198_1260
; %bb.1253:                             ;   in Loop: Header=BB198_810 Depth=1
	v_mov_b64_e32 v[8:9], 0x80000000
	s_mov_b32 s10, exec_lo
	v_cmpx_ne_u16_e32 0x80, v6
	s_cbranch_execz .LBB198_1259
; %bb.1254:                             ;   in Loop: Header=BB198_810 Depth=1
	v_mov_b64_e32 v[8:9], 0x7f800001
	v_and_b32_e32 v7, 0x7f, v50
	s_mov_b32 s11, exec_lo
	s_delay_alu instid0(VALU_DEP_1)
	v_cmpx_ne_u32_e32 0x7f, v7
	s_cbranch_execz .LBB198_1258
; %bb.1255:                             ;   in Loop: Header=BB198_810 Depth=1
	v_dual_lshrrev_b32 v6, 3, v7 :: v_dual_bitop2_b32 v64, 7, v50 bitop3:0x40
	s_mov_b32 s16, exec_lo
	v_cmpx_gt_u32_e32 8, v7
; %bb.1256:                             ;   in Loop: Header=BB198_810 Depth=1
	s_delay_alu instid0(VALU_DEP_2) | instskip(NEXT) | instid1(VALU_DEP_1)
	v_clz_i32_u32_e32 v6, v64
	v_min_u32_e32 v6, 32, v6
	s_delay_alu instid0(VALU_DEP_1) | instskip(NEXT) | instid1(VALU_DEP_1)
	v_subrev_nc_u32_e32 v7, 28, v6
	v_lshlrev_b64_e32 v[8:9], v7, v[64:65]
	s_delay_alu instid0(VALU_DEP_1)
	v_dual_sub_nc_u32 v6, 29, v6 :: v_dual_bitop2_b32 v64, 7, v8 bitop3:0x40
; %bb.1257:                             ;   in Loop: Header=BB198_810 Depth=1
	s_or_b32 exec_lo, exec_lo, s16
	s_delay_alu instid0(VALU_DEP_1) | instskip(NEXT) | instid1(VALU_DEP_2)
	v_dual_lshlrev_b32 v7, 24, v50 :: v_dual_lshlrev_b32 v8, 20, v64
	v_lshl_add_u32 v6, v6, 23, 0x3c000000
	s_delay_alu instid0(VALU_DEP_2) | instskip(NEXT) | instid1(VALU_DEP_1)
	v_and_b32_e32 v7, 0x80000000, v7
	v_or3_b32 v64, v8, v7, v6
	s_delay_alu instid0(VALU_DEP_1)
	v_mov_b64_e32 v[8:9], v[64:65]
.LBB198_1258:                           ;   in Loop: Header=BB198_810 Depth=1
	s_or_b32 exec_lo, exec_lo, s11
.LBB198_1259:                           ;   in Loop: Header=BB198_810 Depth=1
	s_delay_alu instid0(SALU_CYCLE_1)
	s_or_b32 exec_lo, exec_lo, s10
.LBB198_1260:                           ;   in Loop: Header=BB198_810 Depth=1
	s_delay_alu instid0(SALU_CYCLE_1) | instskip(SKIP_2) | instid1(VALU_DEP_1)
	s_or_b32 exec_lo, exec_lo, s3
	v_lshrrev_b16 v6, 8, v50
	s_mov_b32 s3, exec_lo
	v_cmpx_ne_u16_e32 0, v6
	s_cbranch_execz .LBB198_1268
; %bb.1261:                             ;   in Loop: Header=BB198_810 Depth=1
	v_mov_b64_e32 v[0:1], 0x8000000000000000
	s_mov_b32 s10, exec_lo
	v_cmpx_ne_u16_e32 0x80, v6
	s_cbranch_execz .LBB198_1267
; %bb.1262:                             ;   in Loop: Header=BB198_810 Depth=1
	v_and_b32_e32 v7, 0xffff, v6
	v_mov_b64_e32 v[0:1], 0x7f80000100000000
	s_mov_b32 s11, exec_lo
	s_delay_alu instid0(VALU_DEP_2) | instskip(NEXT) | instid1(VALU_DEP_1)
	v_and_b32_e32 v6, 0x7f, v7
	v_cmpx_ne_u32_e32 0x7f, v6
	s_cbranch_execz .LBB198_1266
; %bb.1263:                             ;   in Loop: Header=BB198_810 Depth=1
	v_dual_lshrrev_b32 v0, 3, v6 :: v_dual_bitop2_b32 v64, 7, v7 bitop3:0x40
	s_mov_b32 s16, exec_lo
	v_cmpx_gt_u32_e32 8, v6
; %bb.1264:                             ;   in Loop: Header=BB198_810 Depth=1
	s_delay_alu instid0(VALU_DEP_2) | instskip(NEXT) | instid1(VALU_DEP_1)
	v_clz_i32_u32_e32 v0, v64
	v_min_u32_e32 v0, 32, v0
	s_delay_alu instid0(VALU_DEP_1) | instskip(NEXT) | instid1(VALU_DEP_1)
	v_subrev_nc_u32_e32 v1, 28, v0
	v_lshlrev_b64_e32 v[6:7], v1, v[64:65]
	s_delay_alu instid0(VALU_DEP_1)
	v_dual_sub_nc_u32 v0, 29, v0 :: v_dual_bitop2_b32 v64, 7, v6 bitop3:0x40
; %bb.1265:                             ;   in Loop: Header=BB198_810 Depth=1
	s_or_b32 exec_lo, exec_lo, s16
	s_delay_alu instid0(VALU_DEP_1) | instskip(NEXT) | instid1(VALU_DEP_2)
	v_dual_lshlrev_b32 v1, 16, v50 :: v_dual_lshlrev_b32 v6, 20, v64
	v_lshl_add_u32 v0, v0, 23, 0x3c000000
	s_delay_alu instid0(VALU_DEP_2) | instskip(NEXT) | instid1(VALU_DEP_1)
	v_and_b32_e32 v1, 0x80000000, v1
	v_or3_b32 v1, v6, v1, v0
	v_mov_b32_e32 v0, v65
.LBB198_1266:                           ;   in Loop: Header=BB198_810 Depth=1
	s_or_b32 exec_lo, exec_lo, s11
.LBB198_1267:                           ;   in Loop: Header=BB198_810 Depth=1
	s_delay_alu instid0(SALU_CYCLE_1)
	s_or_b32 exec_lo, exec_lo, s10
.LBB198_1268:                           ;   in Loop: Header=BB198_810 Depth=1
	s_delay_alu instid0(SALU_CYCLE_1) | instskip(SKIP_4) | instid1(VALU_DEP_3)
	s_or_b32 exec_lo, exec_lo, s3
	v_lshrrev_b32_e32 v51, 16, v50
	v_mov_b64_e32 v[18:19], 0
	v_mov_b64_e32 v[6:7], 0
	s_mov_b32 s3, exec_lo
	v_and_b32_e32 v52, 0xff, v51
	s_delay_alu instid0(VALU_DEP_1)
	v_cmpx_ne_u16_e32 0, v52
	s_cbranch_execz .LBB198_1276
; %bb.1269:                             ;   in Loop: Header=BB198_810 Depth=1
	v_mov_b64_e32 v[6:7], 0x80000000
	s_mov_b32 s10, exec_lo
	v_cmpx_ne_u16_e32 0x80, v52
	s_cbranch_execz .LBB198_1275
; %bb.1270:                             ;   in Loop: Header=BB198_810 Depth=1
	v_mov_b64_e32 v[6:7], 0x7f800001
	v_bfe_u32 v52, v50, 16, 7
	s_mov_b32 s11, exec_lo
	s_delay_alu instid0(VALU_DEP_1)
	v_cmpx_ne_u32_e32 0x7f, v52
	s_cbranch_execz .LBB198_1274
; %bb.1271:                             ;   in Loop: Header=BB198_810 Depth=1
	v_dual_lshrrev_b32 v6, 3, v52 :: v_dual_bitop2_b32 v64, 7, v51 bitop3:0x40
	s_mov_b32 s16, exec_lo
	v_cmpx_gt_u32_e32 8, v52
; %bb.1272:                             ;   in Loop: Header=BB198_810 Depth=1
	s_delay_alu instid0(VALU_DEP_2) | instskip(NEXT) | instid1(VALU_DEP_1)
	v_clz_i32_u32_e32 v6, v64
	v_min_u32_e32 v6, 32, v6
	s_delay_alu instid0(VALU_DEP_1) | instskip(NEXT) | instid1(VALU_DEP_1)
	v_subrev_nc_u32_e32 v7, 28, v6
	v_lshlrev_b64_e32 v[52:53], v7, v[64:65]
	s_delay_alu instid0(VALU_DEP_1)
	v_dual_sub_nc_u32 v6, 29, v6 :: v_dual_bitop2_b32 v64, 7, v52 bitop3:0x40
; %bb.1273:                             ;   in Loop: Header=BB198_810 Depth=1
	s_or_b32 exec_lo, exec_lo, s16
	s_delay_alu instid0(VALU_DEP_1) | instskip(NEXT) | instid1(VALU_DEP_2)
	v_dual_lshlrev_b32 v7, 24, v51 :: v_dual_lshlrev_b32 v51, 20, v64
	v_lshl_add_u32 v6, v6, 23, 0x3c000000
	s_delay_alu instid0(VALU_DEP_2) | instskip(NEXT) | instid1(VALU_DEP_1)
	v_and_b32_e32 v7, 0x80000000, v7
	v_or3_b32 v64, v51, v7, v6
	s_delay_alu instid0(VALU_DEP_1)
	v_mov_b64_e32 v[6:7], v[64:65]
.LBB198_1274:                           ;   in Loop: Header=BB198_810 Depth=1
	s_or_b32 exec_lo, exec_lo, s11
.LBB198_1275:                           ;   in Loop: Header=BB198_810 Depth=1
	s_delay_alu instid0(SALU_CYCLE_1)
	s_or_b32 exec_lo, exec_lo, s10
.LBB198_1276:                           ;   in Loop: Header=BB198_810 Depth=1
	s_delay_alu instid0(SALU_CYCLE_1) | instskip(NEXT) | instid1(SALU_CYCLE_1)
	s_or_b32 exec_lo, exec_lo, s3
	s_mov_b32 s3, exec_lo
	v_cmpx_lt_u32_e32 0xffffff, v50
	s_cbranch_execz .LBB198_1284
; %bb.1277:                             ;   in Loop: Header=BB198_810 Depth=1
	v_mov_b64_e32 v[18:19], 0x8000000000000000
	v_lshrrev_b32_e32 v51, 24, v50
	s_mov_b32 s10, exec_lo
	s_delay_alu instid0(VALU_DEP_1)
	v_cmpx_ne_u32_e32 0x80, v51
	s_cbranch_execz .LBB198_1283
; %bb.1278:                             ;   in Loop: Header=BB198_810 Depth=1
	v_mov_b64_e32 v[18:19], 0x7f80000100000000
	v_bfe_u32 v50, v50, 24, 7
	s_mov_b32 s11, exec_lo
	s_delay_alu instid0(VALU_DEP_1)
	v_cmpx_ne_u32_e32 0x7f, v50
	s_cbranch_execz .LBB198_1282
; %bb.1279:                             ;   in Loop: Header=BB198_810 Depth=1
	v_dual_lshrrev_b32 v18, 3, v50 :: v_dual_bitop2_b32 v64, 7, v51 bitop3:0x40
	s_mov_b32 s16, exec_lo
	v_cmpx_gt_u32_e32 8, v50
; %bb.1280:                             ;   in Loop: Header=BB198_810 Depth=1
	s_delay_alu instid0(VALU_DEP_2) | instskip(NEXT) | instid1(VALU_DEP_1)
	v_clz_i32_u32_e32 v18, v64
	v_min_u32_e32 v18, 32, v18
	s_delay_alu instid0(VALU_DEP_1) | instskip(NEXT) | instid1(VALU_DEP_1)
	v_subrev_nc_u32_e32 v19, 28, v18
	v_lshlrev_b64_e32 v[52:53], v19, v[64:65]
	s_delay_alu instid0(VALU_DEP_1)
	v_dual_sub_nc_u32 v18, 29, v18 :: v_dual_bitop2_b32 v64, 7, v52 bitop3:0x40
; %bb.1281:                             ;   in Loop: Header=BB198_810 Depth=1
	s_or_b32 exec_lo, exec_lo, s16
	s_delay_alu instid0(VALU_DEP_1) | instskip(NEXT) | instid1(VALU_DEP_2)
	v_dual_lshlrev_b32 v19, 24, v51 :: v_dual_lshlrev_b32 v50, 20, v64
	v_lshl_add_u32 v18, v18, 23, 0x3c000000
	s_delay_alu instid0(VALU_DEP_2) | instskip(NEXT) | instid1(VALU_DEP_1)
	v_and_b32_e32 v19, 0x80000000, v19
	v_or3_b32 v19, v50, v19, v18
	v_mov_b32_e32 v18, v65
.LBB198_1282:                           ;   in Loop: Header=BB198_810 Depth=1
	s_or_b32 exec_lo, exec_lo, s11
.LBB198_1283:                           ;   in Loop: Header=BB198_810 Depth=1
	s_delay_alu instid0(SALU_CYCLE_1)
	s_or_b32 exec_lo, exec_lo, s10
.LBB198_1284:                           ;   in Loop: Header=BB198_810 Depth=1
	s_delay_alu instid0(SALU_CYCLE_1) | instskip(SKIP_4) | instid1(VALU_DEP_3)
	s_or_b32 exec_lo, exec_lo, s3
	v_or_b32_e32 v1, v1, v9
	v_or_b32_e32 v0, v0, v8
	;; [unrolled: 1-line block ×4, first 2 shown]
	v_pk_mul_f32 v[72:73], v[22:23], v[0:1]
	s_delay_alu instid0(VALU_DEP_2)
	v_pk_mul_f32 v[62:63], v[22:23], v[6:7]
	s_and_saveexec_b32 s3, vcc_lo
	s_cbranch_execz .LBB198_1286
; %bb.1285:                             ;   in Loop: Header=BB198_810 Depth=1
	v_cmp_lt_i32_e64 s0, v17, v16
	s_delay_alu instid0(VALU_DEP_1) | instskip(SKIP_1) | instid1(VALU_DEP_1)
	v_cndmask_b32_e64 v72, 0, v72, s0
	v_cmp_lt_i32_e64 s0, v68, v16
	v_cndmask_b32_e64 v73, 0, v73, s0
	v_cmp_lt_i32_e64 s0, v70, v16
	s_delay_alu instid0(VALU_DEP_1) | instskip(SKIP_1) | instid1(VALU_DEP_1)
	v_cndmask_b32_e64 v62, 0, v62, s0
	v_cmp_lt_i32_e64 s0, v69, v16
	v_cndmask_b32_e64 v63, 0, v63, s0
.LBB198_1286:                           ;   in Loop: Header=BB198_810 Depth=1
	s_or_b32 exec_lo, exec_lo, s3
	flat_load_b32 v50, v[54:55] offset:1792
	v_mov_b64_e32 v[0:1], 0
	v_mov_b64_e32 v[8:9], 0
	s_mov_b32 s3, exec_lo
	s_wait_loadcnt_dscnt 0x0
	v_and_b32_e32 v6, 0xff, v50
	s_wait_xcnt 0x0
	s_delay_alu instid0(VALU_DEP_1)
	v_cmpx_ne_u16_e32 0, v6
	s_cbranch_execz .LBB198_1294
; %bb.1287:                             ;   in Loop: Header=BB198_810 Depth=1
	v_mov_b64_e32 v[8:9], 0x80000000
	s_mov_b32 s10, exec_lo
	v_cmpx_ne_u16_e32 0x80, v6
	s_cbranch_execz .LBB198_1293
; %bb.1288:                             ;   in Loop: Header=BB198_810 Depth=1
	v_mov_b64_e32 v[8:9], 0x7f800001
	v_and_b32_e32 v7, 0x7f, v50
	s_mov_b32 s11, exec_lo
	s_delay_alu instid0(VALU_DEP_1)
	v_cmpx_ne_u32_e32 0x7f, v7
	s_cbranch_execz .LBB198_1292
; %bb.1289:                             ;   in Loop: Header=BB198_810 Depth=1
	v_dual_lshrrev_b32 v6, 3, v7 :: v_dual_bitop2_b32 v64, 7, v50 bitop3:0x40
	s_mov_b32 s16, exec_lo
	v_cmpx_gt_u32_e32 8, v7
; %bb.1290:                             ;   in Loop: Header=BB198_810 Depth=1
	s_delay_alu instid0(VALU_DEP_2) | instskip(NEXT) | instid1(VALU_DEP_1)
	v_clz_i32_u32_e32 v6, v64
	v_min_u32_e32 v6, 32, v6
	s_delay_alu instid0(VALU_DEP_1) | instskip(NEXT) | instid1(VALU_DEP_1)
	v_subrev_nc_u32_e32 v7, 28, v6
	v_lshlrev_b64_e32 v[8:9], v7, v[64:65]
	s_delay_alu instid0(VALU_DEP_1)
	v_dual_sub_nc_u32 v6, 29, v6 :: v_dual_bitop2_b32 v64, 7, v8 bitop3:0x40
; %bb.1291:                             ;   in Loop: Header=BB198_810 Depth=1
	s_or_b32 exec_lo, exec_lo, s16
	s_delay_alu instid0(VALU_DEP_1) | instskip(NEXT) | instid1(VALU_DEP_2)
	v_dual_lshlrev_b32 v7, 24, v50 :: v_dual_lshlrev_b32 v8, 20, v64
	v_lshl_add_u32 v6, v6, 23, 0x3c000000
	s_delay_alu instid0(VALU_DEP_2) | instskip(NEXT) | instid1(VALU_DEP_1)
	v_and_b32_e32 v7, 0x80000000, v7
	v_or3_b32 v64, v8, v7, v6
	s_delay_alu instid0(VALU_DEP_1)
	v_mov_b64_e32 v[8:9], v[64:65]
.LBB198_1292:                           ;   in Loop: Header=BB198_810 Depth=1
	s_or_b32 exec_lo, exec_lo, s11
.LBB198_1293:                           ;   in Loop: Header=BB198_810 Depth=1
	s_delay_alu instid0(SALU_CYCLE_1)
	s_or_b32 exec_lo, exec_lo, s10
.LBB198_1294:                           ;   in Loop: Header=BB198_810 Depth=1
	s_delay_alu instid0(SALU_CYCLE_1) | instskip(SKIP_2) | instid1(VALU_DEP_1)
	s_or_b32 exec_lo, exec_lo, s3
	v_lshrrev_b16 v6, 8, v50
	s_mov_b32 s3, exec_lo
	v_cmpx_ne_u16_e32 0, v6
	s_cbranch_execz .LBB198_1302
; %bb.1295:                             ;   in Loop: Header=BB198_810 Depth=1
	v_mov_b64_e32 v[0:1], 0x8000000000000000
	s_mov_b32 s10, exec_lo
	v_cmpx_ne_u16_e32 0x80, v6
	s_cbranch_execz .LBB198_1301
; %bb.1296:                             ;   in Loop: Header=BB198_810 Depth=1
	v_and_b32_e32 v7, 0xffff, v6
	v_mov_b64_e32 v[0:1], 0x7f80000100000000
	s_mov_b32 s11, exec_lo
	s_delay_alu instid0(VALU_DEP_2) | instskip(NEXT) | instid1(VALU_DEP_1)
	v_and_b32_e32 v6, 0x7f, v7
	v_cmpx_ne_u32_e32 0x7f, v6
	s_cbranch_execz .LBB198_1300
; %bb.1297:                             ;   in Loop: Header=BB198_810 Depth=1
	v_dual_lshrrev_b32 v0, 3, v6 :: v_dual_bitop2_b32 v64, 7, v7 bitop3:0x40
	s_mov_b32 s16, exec_lo
	v_cmpx_gt_u32_e32 8, v6
; %bb.1298:                             ;   in Loop: Header=BB198_810 Depth=1
	s_delay_alu instid0(VALU_DEP_2) | instskip(NEXT) | instid1(VALU_DEP_1)
	v_clz_i32_u32_e32 v0, v64
	v_min_u32_e32 v0, 32, v0
	s_delay_alu instid0(VALU_DEP_1) | instskip(NEXT) | instid1(VALU_DEP_1)
	v_subrev_nc_u32_e32 v1, 28, v0
	v_lshlrev_b64_e32 v[6:7], v1, v[64:65]
	s_delay_alu instid0(VALU_DEP_1)
	v_dual_sub_nc_u32 v0, 29, v0 :: v_dual_bitop2_b32 v64, 7, v6 bitop3:0x40
; %bb.1299:                             ;   in Loop: Header=BB198_810 Depth=1
	s_or_b32 exec_lo, exec_lo, s16
	s_delay_alu instid0(VALU_DEP_1) | instskip(NEXT) | instid1(VALU_DEP_2)
	v_dual_lshlrev_b32 v1, 16, v50 :: v_dual_lshlrev_b32 v6, 20, v64
	v_lshl_add_u32 v0, v0, 23, 0x3c000000
	s_delay_alu instid0(VALU_DEP_2) | instskip(NEXT) | instid1(VALU_DEP_1)
	v_and_b32_e32 v1, 0x80000000, v1
	v_or3_b32 v1, v6, v1, v0
	v_mov_b32_e32 v0, v65
.LBB198_1300:                           ;   in Loop: Header=BB198_810 Depth=1
	s_or_b32 exec_lo, exec_lo, s11
.LBB198_1301:                           ;   in Loop: Header=BB198_810 Depth=1
	s_delay_alu instid0(SALU_CYCLE_1)
	s_or_b32 exec_lo, exec_lo, s10
.LBB198_1302:                           ;   in Loop: Header=BB198_810 Depth=1
	s_delay_alu instid0(SALU_CYCLE_1) | instskip(SKIP_4) | instid1(VALU_DEP_3)
	s_or_b32 exec_lo, exec_lo, s3
	v_lshrrev_b32_e32 v51, 16, v50
	v_mov_b64_e32 v[18:19], 0
	v_mov_b64_e32 v[6:7], 0
	s_mov_b32 s3, exec_lo
	v_and_b32_e32 v52, 0xff, v51
	s_delay_alu instid0(VALU_DEP_1)
	v_cmpx_ne_u16_e32 0, v52
	s_cbranch_execz .LBB198_1310
; %bb.1303:                             ;   in Loop: Header=BB198_810 Depth=1
	v_mov_b64_e32 v[6:7], 0x80000000
	s_mov_b32 s10, exec_lo
	v_cmpx_ne_u16_e32 0x80, v52
	s_cbranch_execz .LBB198_1309
; %bb.1304:                             ;   in Loop: Header=BB198_810 Depth=1
	v_mov_b64_e32 v[6:7], 0x7f800001
	v_bfe_u32 v52, v50, 16, 7
	s_mov_b32 s11, exec_lo
	s_delay_alu instid0(VALU_DEP_1)
	v_cmpx_ne_u32_e32 0x7f, v52
	s_cbranch_execz .LBB198_1308
; %bb.1305:                             ;   in Loop: Header=BB198_810 Depth=1
	v_dual_lshrrev_b32 v6, 3, v52 :: v_dual_bitop2_b32 v64, 7, v51 bitop3:0x40
	s_mov_b32 s16, exec_lo
	v_cmpx_gt_u32_e32 8, v52
; %bb.1306:                             ;   in Loop: Header=BB198_810 Depth=1
	s_delay_alu instid0(VALU_DEP_2) | instskip(NEXT) | instid1(VALU_DEP_1)
	v_clz_i32_u32_e32 v6, v64
	v_min_u32_e32 v6, 32, v6
	s_delay_alu instid0(VALU_DEP_1) | instskip(NEXT) | instid1(VALU_DEP_1)
	v_subrev_nc_u32_e32 v7, 28, v6
	v_lshlrev_b64_e32 v[52:53], v7, v[64:65]
	s_delay_alu instid0(VALU_DEP_1)
	v_dual_sub_nc_u32 v6, 29, v6 :: v_dual_bitop2_b32 v64, 7, v52 bitop3:0x40
; %bb.1307:                             ;   in Loop: Header=BB198_810 Depth=1
	s_or_b32 exec_lo, exec_lo, s16
	s_delay_alu instid0(VALU_DEP_1) | instskip(NEXT) | instid1(VALU_DEP_2)
	v_dual_lshlrev_b32 v7, 24, v51 :: v_dual_lshlrev_b32 v51, 20, v64
	v_lshl_add_u32 v6, v6, 23, 0x3c000000
	s_delay_alu instid0(VALU_DEP_2) | instskip(NEXT) | instid1(VALU_DEP_1)
	v_and_b32_e32 v7, 0x80000000, v7
	v_or3_b32 v64, v51, v7, v6
	s_delay_alu instid0(VALU_DEP_1)
	v_mov_b64_e32 v[6:7], v[64:65]
.LBB198_1308:                           ;   in Loop: Header=BB198_810 Depth=1
	s_or_b32 exec_lo, exec_lo, s11
.LBB198_1309:                           ;   in Loop: Header=BB198_810 Depth=1
	s_delay_alu instid0(SALU_CYCLE_1)
	s_or_b32 exec_lo, exec_lo, s10
.LBB198_1310:                           ;   in Loop: Header=BB198_810 Depth=1
	s_delay_alu instid0(SALU_CYCLE_1) | instskip(NEXT) | instid1(SALU_CYCLE_1)
	s_or_b32 exec_lo, exec_lo, s3
	s_mov_b32 s3, exec_lo
	v_cmpx_lt_u32_e32 0xffffff, v50
	s_cbranch_execz .LBB198_1318
; %bb.1311:                             ;   in Loop: Header=BB198_810 Depth=1
	v_mov_b64_e32 v[18:19], 0x8000000000000000
	v_lshrrev_b32_e32 v51, 24, v50
	s_mov_b32 s10, exec_lo
	s_delay_alu instid0(VALU_DEP_1)
	v_cmpx_ne_u32_e32 0x80, v51
	s_cbranch_execz .LBB198_1317
; %bb.1312:                             ;   in Loop: Header=BB198_810 Depth=1
	v_mov_b64_e32 v[18:19], 0x7f80000100000000
	v_bfe_u32 v50, v50, 24, 7
	s_mov_b32 s11, exec_lo
	s_delay_alu instid0(VALU_DEP_1)
	v_cmpx_ne_u32_e32 0x7f, v50
	s_cbranch_execz .LBB198_1316
; %bb.1313:                             ;   in Loop: Header=BB198_810 Depth=1
	v_dual_lshrrev_b32 v18, 3, v50 :: v_dual_bitop2_b32 v64, 7, v51 bitop3:0x40
	s_mov_b32 s16, exec_lo
	v_cmpx_gt_u32_e32 8, v50
; %bb.1314:                             ;   in Loop: Header=BB198_810 Depth=1
	s_delay_alu instid0(VALU_DEP_2) | instskip(NEXT) | instid1(VALU_DEP_1)
	v_clz_i32_u32_e32 v18, v64
	v_min_u32_e32 v18, 32, v18
	s_delay_alu instid0(VALU_DEP_1) | instskip(NEXT) | instid1(VALU_DEP_1)
	v_subrev_nc_u32_e32 v19, 28, v18
	v_lshlrev_b64_e32 v[52:53], v19, v[64:65]
	s_delay_alu instid0(VALU_DEP_1)
	v_dual_sub_nc_u32 v18, 29, v18 :: v_dual_bitop2_b32 v64, 7, v52 bitop3:0x40
; %bb.1315:                             ;   in Loop: Header=BB198_810 Depth=1
	s_or_b32 exec_lo, exec_lo, s16
	s_delay_alu instid0(VALU_DEP_1) | instskip(NEXT) | instid1(VALU_DEP_2)
	v_dual_lshlrev_b32 v19, 24, v51 :: v_dual_lshlrev_b32 v50, 20, v64
	v_lshl_add_u32 v18, v18, 23, 0x3c000000
	s_delay_alu instid0(VALU_DEP_2) | instskip(NEXT) | instid1(VALU_DEP_1)
	v_and_b32_e32 v19, 0x80000000, v19
	v_or3_b32 v19, v50, v19, v18
	v_mov_b32_e32 v18, v65
.LBB198_1316:                           ;   in Loop: Header=BB198_810 Depth=1
	s_or_b32 exec_lo, exec_lo, s11
.LBB198_1317:                           ;   in Loop: Header=BB198_810 Depth=1
	s_delay_alu instid0(SALU_CYCLE_1)
	s_or_b32 exec_lo, exec_lo, s10
.LBB198_1318:                           ;   in Loop: Header=BB198_810 Depth=1
	s_delay_alu instid0(SALU_CYCLE_1) | instskip(SKIP_4) | instid1(VALU_DEP_3)
	s_or_b32 exec_lo, exec_lo, s3
	v_or_b32_e32 v1, v1, v9
	v_or_b32_e32 v0, v0, v8
	;; [unrolled: 1-line block ×4, first 2 shown]
	v_pk_mul_f32 v[76:77], v[22:23], v[0:1]
	s_delay_alu instid0(VALU_DEP_2)
	v_pk_mul_f32 v[74:75], v[22:23], v[6:7]
	s_and_saveexec_b32 s3, vcc_lo
	s_cbranch_execz .LBB198_1320
; %bb.1319:                             ;   in Loop: Header=BB198_810 Depth=1
	v_cmp_lt_i32_e64 s0, v17, v16
	s_delay_alu instid0(VALU_DEP_1) | instskip(SKIP_1) | instid1(VALU_DEP_1)
	v_cndmask_b32_e64 v76, 0, v76, s0
	v_cmp_lt_i32_e64 s0, v68, v16
	v_cndmask_b32_e64 v77, 0, v77, s0
	v_cmp_lt_i32_e64 s0, v70, v16
	s_delay_alu instid0(VALU_DEP_1) | instskip(SKIP_1) | instid1(VALU_DEP_1)
	v_cndmask_b32_e64 v74, 0, v74, s0
	v_cmp_lt_i32_e64 s0, v69, v16
	v_cndmask_b32_e64 v75, 0, v75, s0
.LBB198_1320:                           ;   in Loop: Header=BB198_810 Depth=1
	s_or_b32 exec_lo, exec_lo, s3
	flat_load_b32 v50, v[54:55] offset:1920
	v_mov_b64_e32 v[0:1], 0
	v_mov_b64_e32 v[8:9], 0
	s_mov_b32 s3, exec_lo
	s_wait_loadcnt_dscnt 0x0
	v_and_b32_e32 v6, 0xff, v50
	s_wait_xcnt 0x0
	s_delay_alu instid0(VALU_DEP_1)
	v_cmpx_ne_u16_e32 0, v6
	s_cbranch_execz .LBB198_1328
; %bb.1321:                             ;   in Loop: Header=BB198_810 Depth=1
	v_mov_b64_e32 v[8:9], 0x80000000
	s_mov_b32 s10, exec_lo
	v_cmpx_ne_u16_e32 0x80, v6
	s_cbranch_execz .LBB198_1327
; %bb.1322:                             ;   in Loop: Header=BB198_810 Depth=1
	v_mov_b64_e32 v[8:9], 0x7f800001
	v_and_b32_e32 v7, 0x7f, v50
	s_mov_b32 s11, exec_lo
	s_delay_alu instid0(VALU_DEP_1)
	v_cmpx_ne_u32_e32 0x7f, v7
	s_cbranch_execz .LBB198_1326
; %bb.1323:                             ;   in Loop: Header=BB198_810 Depth=1
	v_dual_lshrrev_b32 v6, 3, v7 :: v_dual_bitop2_b32 v64, 7, v50 bitop3:0x40
	s_mov_b32 s16, exec_lo
	v_cmpx_gt_u32_e32 8, v7
; %bb.1324:                             ;   in Loop: Header=BB198_810 Depth=1
	s_delay_alu instid0(VALU_DEP_2) | instskip(NEXT) | instid1(VALU_DEP_1)
	v_clz_i32_u32_e32 v6, v64
	v_min_u32_e32 v6, 32, v6
	s_delay_alu instid0(VALU_DEP_1) | instskip(NEXT) | instid1(VALU_DEP_1)
	v_subrev_nc_u32_e32 v7, 28, v6
	v_lshlrev_b64_e32 v[8:9], v7, v[64:65]
	s_delay_alu instid0(VALU_DEP_1)
	v_dual_sub_nc_u32 v6, 29, v6 :: v_dual_bitop2_b32 v64, 7, v8 bitop3:0x40
; %bb.1325:                             ;   in Loop: Header=BB198_810 Depth=1
	s_or_b32 exec_lo, exec_lo, s16
	s_delay_alu instid0(VALU_DEP_1) | instskip(NEXT) | instid1(VALU_DEP_2)
	v_dual_lshlrev_b32 v7, 24, v50 :: v_dual_lshlrev_b32 v8, 20, v64
	v_lshl_add_u32 v6, v6, 23, 0x3c000000
	s_delay_alu instid0(VALU_DEP_2) | instskip(NEXT) | instid1(VALU_DEP_1)
	v_and_b32_e32 v7, 0x80000000, v7
	v_or3_b32 v64, v8, v7, v6
	s_delay_alu instid0(VALU_DEP_1)
	v_mov_b64_e32 v[8:9], v[64:65]
.LBB198_1326:                           ;   in Loop: Header=BB198_810 Depth=1
	s_or_b32 exec_lo, exec_lo, s11
.LBB198_1327:                           ;   in Loop: Header=BB198_810 Depth=1
	s_delay_alu instid0(SALU_CYCLE_1)
	s_or_b32 exec_lo, exec_lo, s10
.LBB198_1328:                           ;   in Loop: Header=BB198_810 Depth=1
	s_delay_alu instid0(SALU_CYCLE_1) | instskip(SKIP_2) | instid1(VALU_DEP_1)
	s_or_b32 exec_lo, exec_lo, s3
	v_lshrrev_b16 v6, 8, v50
	s_mov_b32 s3, exec_lo
	v_cmpx_ne_u16_e32 0, v6
	s_cbranch_execz .LBB198_1336
; %bb.1329:                             ;   in Loop: Header=BB198_810 Depth=1
	v_mov_b64_e32 v[0:1], 0x8000000000000000
	s_mov_b32 s10, exec_lo
	v_cmpx_ne_u16_e32 0x80, v6
	s_cbranch_execz .LBB198_1335
; %bb.1330:                             ;   in Loop: Header=BB198_810 Depth=1
	v_and_b32_e32 v7, 0xffff, v6
	v_mov_b64_e32 v[0:1], 0x7f80000100000000
	s_mov_b32 s11, exec_lo
	s_delay_alu instid0(VALU_DEP_2) | instskip(NEXT) | instid1(VALU_DEP_1)
	v_and_b32_e32 v6, 0x7f, v7
	v_cmpx_ne_u32_e32 0x7f, v6
	s_cbranch_execz .LBB198_1334
; %bb.1331:                             ;   in Loop: Header=BB198_810 Depth=1
	v_dual_lshrrev_b32 v0, 3, v6 :: v_dual_bitop2_b32 v64, 7, v7 bitop3:0x40
	s_mov_b32 s16, exec_lo
	v_cmpx_gt_u32_e32 8, v6
; %bb.1332:                             ;   in Loop: Header=BB198_810 Depth=1
	s_delay_alu instid0(VALU_DEP_2) | instskip(NEXT) | instid1(VALU_DEP_1)
	v_clz_i32_u32_e32 v0, v64
	v_min_u32_e32 v0, 32, v0
	s_delay_alu instid0(VALU_DEP_1) | instskip(NEXT) | instid1(VALU_DEP_1)
	v_subrev_nc_u32_e32 v1, 28, v0
	v_lshlrev_b64_e32 v[6:7], v1, v[64:65]
	s_delay_alu instid0(VALU_DEP_1)
	v_dual_sub_nc_u32 v0, 29, v0 :: v_dual_bitop2_b32 v64, 7, v6 bitop3:0x40
; %bb.1333:                             ;   in Loop: Header=BB198_810 Depth=1
	s_or_b32 exec_lo, exec_lo, s16
	s_delay_alu instid0(VALU_DEP_1) | instskip(NEXT) | instid1(VALU_DEP_2)
	v_dual_lshlrev_b32 v1, 16, v50 :: v_dual_lshlrev_b32 v6, 20, v64
	v_lshl_add_u32 v0, v0, 23, 0x3c000000
	s_delay_alu instid0(VALU_DEP_2) | instskip(NEXT) | instid1(VALU_DEP_1)
	v_and_b32_e32 v1, 0x80000000, v1
	v_or3_b32 v1, v6, v1, v0
	v_mov_b32_e32 v0, v65
.LBB198_1334:                           ;   in Loop: Header=BB198_810 Depth=1
	s_or_b32 exec_lo, exec_lo, s11
.LBB198_1335:                           ;   in Loop: Header=BB198_810 Depth=1
	s_delay_alu instid0(SALU_CYCLE_1)
	s_or_b32 exec_lo, exec_lo, s10
.LBB198_1336:                           ;   in Loop: Header=BB198_810 Depth=1
	s_delay_alu instid0(SALU_CYCLE_1) | instskip(SKIP_4) | instid1(VALU_DEP_3)
	s_or_b32 exec_lo, exec_lo, s3
	v_lshrrev_b32_e32 v51, 16, v50
	v_mov_b64_e32 v[18:19], 0
	v_mov_b64_e32 v[6:7], 0
	s_mov_b32 s3, exec_lo
	v_and_b32_e32 v52, 0xff, v51
	s_delay_alu instid0(VALU_DEP_1)
	v_cmpx_ne_u16_e32 0, v52
	s_cbranch_execz .LBB198_1344
; %bb.1337:                             ;   in Loop: Header=BB198_810 Depth=1
	v_mov_b64_e32 v[6:7], 0x80000000
	s_mov_b32 s10, exec_lo
	v_cmpx_ne_u16_e32 0x80, v52
	s_cbranch_execz .LBB198_1343
; %bb.1338:                             ;   in Loop: Header=BB198_810 Depth=1
	v_mov_b64_e32 v[6:7], 0x7f800001
	v_bfe_u32 v52, v50, 16, 7
	s_mov_b32 s11, exec_lo
	s_delay_alu instid0(VALU_DEP_1)
	v_cmpx_ne_u32_e32 0x7f, v52
	s_cbranch_execz .LBB198_1342
; %bb.1339:                             ;   in Loop: Header=BB198_810 Depth=1
	v_dual_lshrrev_b32 v6, 3, v52 :: v_dual_bitop2_b32 v64, 7, v51 bitop3:0x40
	s_mov_b32 s16, exec_lo
	v_cmpx_gt_u32_e32 8, v52
; %bb.1340:                             ;   in Loop: Header=BB198_810 Depth=1
	s_delay_alu instid0(VALU_DEP_2) | instskip(NEXT) | instid1(VALU_DEP_1)
	v_clz_i32_u32_e32 v6, v64
	v_min_u32_e32 v6, 32, v6
	s_delay_alu instid0(VALU_DEP_1) | instskip(NEXT) | instid1(VALU_DEP_1)
	v_subrev_nc_u32_e32 v7, 28, v6
	v_lshlrev_b64_e32 v[52:53], v7, v[64:65]
	s_delay_alu instid0(VALU_DEP_1)
	v_dual_sub_nc_u32 v6, 29, v6 :: v_dual_bitop2_b32 v64, 7, v52 bitop3:0x40
; %bb.1341:                             ;   in Loop: Header=BB198_810 Depth=1
	s_or_b32 exec_lo, exec_lo, s16
	s_delay_alu instid0(VALU_DEP_1) | instskip(NEXT) | instid1(VALU_DEP_2)
	v_dual_lshlrev_b32 v7, 24, v51 :: v_dual_lshlrev_b32 v51, 20, v64
	v_lshl_add_u32 v6, v6, 23, 0x3c000000
	s_delay_alu instid0(VALU_DEP_2) | instskip(NEXT) | instid1(VALU_DEP_1)
	v_and_b32_e32 v7, 0x80000000, v7
	v_or3_b32 v64, v51, v7, v6
	s_delay_alu instid0(VALU_DEP_1)
	v_mov_b64_e32 v[6:7], v[64:65]
.LBB198_1342:                           ;   in Loop: Header=BB198_810 Depth=1
	s_or_b32 exec_lo, exec_lo, s11
.LBB198_1343:                           ;   in Loop: Header=BB198_810 Depth=1
	s_delay_alu instid0(SALU_CYCLE_1)
	s_or_b32 exec_lo, exec_lo, s10
.LBB198_1344:                           ;   in Loop: Header=BB198_810 Depth=1
	s_delay_alu instid0(SALU_CYCLE_1) | instskip(NEXT) | instid1(SALU_CYCLE_1)
	s_or_b32 exec_lo, exec_lo, s3
	s_mov_b32 s3, exec_lo
	v_cmpx_lt_u32_e32 0xffffff, v50
	s_cbranch_execz .LBB198_1352
; %bb.1345:                             ;   in Loop: Header=BB198_810 Depth=1
	v_mov_b64_e32 v[18:19], 0x8000000000000000
	v_lshrrev_b32_e32 v51, 24, v50
	s_mov_b32 s10, exec_lo
	s_delay_alu instid0(VALU_DEP_1)
	v_cmpx_ne_u32_e32 0x80, v51
	s_cbranch_execz .LBB198_1351
; %bb.1346:                             ;   in Loop: Header=BB198_810 Depth=1
	v_mov_b64_e32 v[18:19], 0x7f80000100000000
	v_bfe_u32 v50, v50, 24, 7
	s_mov_b32 s11, exec_lo
	s_delay_alu instid0(VALU_DEP_1)
	v_cmpx_ne_u32_e32 0x7f, v50
	s_cbranch_execz .LBB198_1350
; %bb.1347:                             ;   in Loop: Header=BB198_810 Depth=1
	v_dual_lshrrev_b32 v18, 3, v50 :: v_dual_bitop2_b32 v64, 7, v51 bitop3:0x40
	s_mov_b32 s16, exec_lo
	v_cmpx_gt_u32_e32 8, v50
; %bb.1348:                             ;   in Loop: Header=BB198_810 Depth=1
	s_delay_alu instid0(VALU_DEP_2) | instskip(NEXT) | instid1(VALU_DEP_1)
	v_clz_i32_u32_e32 v18, v64
	v_min_u32_e32 v18, 32, v18
	s_delay_alu instid0(VALU_DEP_1) | instskip(NEXT) | instid1(VALU_DEP_1)
	v_subrev_nc_u32_e32 v19, 28, v18
	v_lshlrev_b64_e32 v[52:53], v19, v[64:65]
	s_delay_alu instid0(VALU_DEP_1)
	v_dual_sub_nc_u32 v18, 29, v18 :: v_dual_bitop2_b32 v64, 7, v52 bitop3:0x40
; %bb.1349:                             ;   in Loop: Header=BB198_810 Depth=1
	s_or_b32 exec_lo, exec_lo, s16
	s_delay_alu instid0(VALU_DEP_1) | instskip(NEXT) | instid1(VALU_DEP_2)
	v_dual_lshlrev_b32 v19, 24, v51 :: v_dual_lshlrev_b32 v50, 20, v64
	v_lshl_add_u32 v18, v18, 23, 0x3c000000
	s_delay_alu instid0(VALU_DEP_2) | instskip(NEXT) | instid1(VALU_DEP_1)
	v_and_b32_e32 v19, 0x80000000, v19
	v_or3_b32 v19, v50, v19, v18
	v_mov_b32_e32 v18, v65
.LBB198_1350:                           ;   in Loop: Header=BB198_810 Depth=1
	s_or_b32 exec_lo, exec_lo, s11
.LBB198_1351:                           ;   in Loop: Header=BB198_810 Depth=1
	s_delay_alu instid0(SALU_CYCLE_1)
	s_or_b32 exec_lo, exec_lo, s10
.LBB198_1352:                           ;   in Loop: Header=BB198_810 Depth=1
	s_delay_alu instid0(SALU_CYCLE_1) | instskip(SKIP_4) | instid1(VALU_DEP_3)
	s_or_b32 exec_lo, exec_lo, s3
	v_or_b32_e32 v1, v1, v9
	v_or_b32_e32 v0, v0, v8
	;; [unrolled: 1-line block ×4, first 2 shown]
	v_pk_mul_f32 v[88:89], v[22:23], v[0:1]
	s_delay_alu instid0(VALU_DEP_2)
	v_pk_mul_f32 v[78:79], v[22:23], v[6:7]
	s_and_saveexec_b32 s3, vcc_lo
	s_cbranch_execz .LBB198_1354
; %bb.1353:                             ;   in Loop: Header=BB198_810 Depth=1
	v_cmp_lt_i32_e64 s0, v17, v16
	s_delay_alu instid0(VALU_DEP_1) | instskip(SKIP_1) | instid1(VALU_DEP_1)
	v_cndmask_b32_e64 v88, 0, v88, s0
	v_cmp_lt_i32_e64 s0, v68, v16
	v_cndmask_b32_e64 v89, 0, v89, s0
	v_cmp_lt_i32_e64 s0, v70, v16
	s_delay_alu instid0(VALU_DEP_1) | instskip(SKIP_1) | instid1(VALU_DEP_1)
	v_cndmask_b32_e64 v78, 0, v78, s0
	v_cmp_lt_i32_e64 s0, v69, v16
	v_cndmask_b32_e64 v79, 0, v79, s0
.LBB198_1354:                           ;   in Loop: Header=BB198_810 Depth=1
	s_or_b32 exec_lo, exec_lo, s3
	flat_load_b32 v6, v[54:55] offset:2048
	v_mov_b64_e32 v[0:1], 0
	v_mov_b64_e32 v[8:9], 0
	s_mov_b32 s3, exec_lo
	s_wait_loadcnt_dscnt 0x0
	v_and_b32_e32 v7, 0xff, v6
	s_wait_xcnt 0x0
	s_delay_alu instid0(VALU_DEP_1)
	v_cmpx_ne_u16_e32 0, v7
	s_cbranch_execz .LBB198_1362
; %bb.1355:                             ;   in Loop: Header=BB198_810 Depth=1
	v_mov_b64_e32 v[8:9], 0x80000000
	s_mov_b32 s10, exec_lo
	v_cmpx_ne_u16_e32 0x80, v7
	s_cbranch_execz .LBB198_1361
; %bb.1356:                             ;   in Loop: Header=BB198_810 Depth=1
	v_mov_b64_e32 v[8:9], 0x7f800001
	v_and_b32_e32 v18, 0x7f, v6
	s_mov_b32 s11, exec_lo
	s_delay_alu instid0(VALU_DEP_1)
	v_cmpx_ne_u32_e32 0x7f, v18
	s_cbranch_execz .LBB198_1360
; %bb.1357:                             ;   in Loop: Header=BB198_810 Depth=1
	v_and_b32_e32 v64, 7, v6
	v_lshrrev_b32_e32 v7, 3, v18
	s_mov_b32 s16, exec_lo
	v_cmpx_gt_u32_e32 8, v18
; %bb.1358:                             ;   in Loop: Header=BB198_810 Depth=1
	s_delay_alu instid0(VALU_DEP_3) | instskip(NEXT) | instid1(VALU_DEP_1)
	v_clz_i32_u32_e32 v7, v64
	v_min_u32_e32 v7, 32, v7
	s_delay_alu instid0(VALU_DEP_1) | instskip(NEXT) | instid1(VALU_DEP_1)
	v_subrev_nc_u32_e32 v8, 28, v7
	v_lshlrev_b64_e32 v[8:9], v8, v[64:65]
	s_delay_alu instid0(VALU_DEP_1)
	v_dual_sub_nc_u32 v7, 29, v7 :: v_dual_bitop2_b32 v64, 7, v8 bitop3:0x40
; %bb.1359:                             ;   in Loop: Header=BB198_810 Depth=1
	s_or_b32 exec_lo, exec_lo, s16
	s_delay_alu instid0(VALU_DEP_1) | instskip(NEXT) | instid1(VALU_DEP_2)
	v_dual_lshlrev_b32 v8, 24, v6 :: v_dual_lshlrev_b32 v9, 20, v64
	v_lshl_add_u32 v7, v7, 23, 0x3c000000
	s_delay_alu instid0(VALU_DEP_2) | instskip(NEXT) | instid1(VALU_DEP_1)
	v_and_b32_e32 v8, 0x80000000, v8
	v_or3_b32 v64, v9, v8, v7
	s_delay_alu instid0(VALU_DEP_1)
	v_mov_b64_e32 v[8:9], v[64:65]
.LBB198_1360:                           ;   in Loop: Header=BB198_810 Depth=1
	s_or_b32 exec_lo, exec_lo, s11
.LBB198_1361:                           ;   in Loop: Header=BB198_810 Depth=1
	s_delay_alu instid0(SALU_CYCLE_1)
	s_or_b32 exec_lo, exec_lo, s10
.LBB198_1362:                           ;   in Loop: Header=BB198_810 Depth=1
	s_delay_alu instid0(SALU_CYCLE_1) | instskip(SKIP_2) | instid1(VALU_DEP_1)
	s_or_b32 exec_lo, exec_lo, s3
	v_lshrrev_b16 v7, 8, v6
	s_mov_b32 s3, exec_lo
	v_cmpx_ne_u16_e32 0, v7
	s_cbranch_execz .LBB198_1370
; %bb.1363:                             ;   in Loop: Header=BB198_810 Depth=1
	v_mov_b64_e32 v[0:1], 0x8000000000000000
	s_mov_b32 s10, exec_lo
	v_cmpx_ne_u16_e32 0x80, v7
	s_cbranch_execz .LBB198_1369
; %bb.1364:                             ;   in Loop: Header=BB198_810 Depth=1
	v_and_b32_e32 v18, 0xffff, v7
	v_mov_b64_e32 v[0:1], 0x7f80000100000000
	s_mov_b32 s11, exec_lo
	s_delay_alu instid0(VALU_DEP_2) | instskip(NEXT) | instid1(VALU_DEP_1)
	v_and_b32_e32 v7, 0x7f, v18
	v_cmpx_ne_u32_e32 0x7f, v7
	s_cbranch_execz .LBB198_1368
; %bb.1365:                             ;   in Loop: Header=BB198_810 Depth=1
	v_dual_lshrrev_b32 v0, 3, v7 :: v_dual_bitop2_b32 v64, 7, v18 bitop3:0x40
	s_mov_b32 s16, exec_lo
	v_cmpx_gt_u32_e32 8, v7
; %bb.1366:                             ;   in Loop: Header=BB198_810 Depth=1
	s_delay_alu instid0(VALU_DEP_2) | instskip(NEXT) | instid1(VALU_DEP_1)
	v_clz_i32_u32_e32 v0, v64
	v_min_u32_e32 v0, 32, v0
	s_delay_alu instid0(VALU_DEP_1) | instskip(NEXT) | instid1(VALU_DEP_1)
	v_subrev_nc_u32_e32 v1, 28, v0
	v_lshlrev_b64_e32 v[18:19], v1, v[64:65]
	s_delay_alu instid0(VALU_DEP_1)
	v_dual_sub_nc_u32 v0, 29, v0 :: v_dual_bitop2_b32 v64, 7, v18 bitop3:0x40
; %bb.1367:                             ;   in Loop: Header=BB198_810 Depth=1
	s_or_b32 exec_lo, exec_lo, s16
	s_delay_alu instid0(VALU_DEP_1) | instskip(NEXT) | instid1(VALU_DEP_2)
	v_dual_lshlrev_b32 v1, 16, v6 :: v_dual_lshlrev_b32 v7, 20, v64
	v_lshl_add_u32 v0, v0, 23, 0x3c000000
	s_delay_alu instid0(VALU_DEP_2) | instskip(NEXT) | instid1(VALU_DEP_1)
	v_and_b32_e32 v1, 0x80000000, v1
	v_or3_b32 v1, v7, v1, v0
	v_mov_b32_e32 v0, v65
.LBB198_1368:                           ;   in Loop: Header=BB198_810 Depth=1
	s_or_b32 exec_lo, exec_lo, s11
.LBB198_1369:                           ;   in Loop: Header=BB198_810 Depth=1
	s_delay_alu instid0(SALU_CYCLE_1)
	s_or_b32 exec_lo, exec_lo, s10
.LBB198_1370:                           ;   in Loop: Header=BB198_810 Depth=1
	s_delay_alu instid0(SALU_CYCLE_1) | instskip(SKIP_4) | instid1(VALU_DEP_3)
	s_or_b32 exec_lo, exec_lo, s3
	v_lshrrev_b32_e32 v7, 16, v6
	v_mov_b64_e32 v[50:51], 0
	v_mov_b64_e32 v[18:19], 0
	s_mov_b32 s3, exec_lo
	v_and_b32_e32 v52, 0xff, v7
	s_delay_alu instid0(VALU_DEP_1)
	v_cmpx_ne_u16_e32 0, v52
	s_cbranch_execz .LBB198_1378
; %bb.1371:                             ;   in Loop: Header=BB198_810 Depth=1
	v_mov_b64_e32 v[18:19], 0x80000000
	s_mov_b32 s10, exec_lo
	v_cmpx_ne_u16_e32 0x80, v52
	s_cbranch_execz .LBB198_1377
; %bb.1372:                             ;   in Loop: Header=BB198_810 Depth=1
	v_mov_b64_e32 v[18:19], 0x7f800001
	v_bfe_u32 v52, v6, 16, 7
	s_mov_b32 s11, exec_lo
	s_delay_alu instid0(VALU_DEP_1)
	v_cmpx_ne_u32_e32 0x7f, v52
	s_cbranch_execz .LBB198_1376
; %bb.1373:                             ;   in Loop: Header=BB198_810 Depth=1
	v_dual_lshrrev_b32 v18, 3, v52 :: v_dual_bitop2_b32 v64, 7, v7 bitop3:0x40
	s_mov_b32 s16, exec_lo
	v_cmpx_gt_u32_e32 8, v52
; %bb.1374:                             ;   in Loop: Header=BB198_810 Depth=1
	s_delay_alu instid0(VALU_DEP_2) | instskip(NEXT) | instid1(VALU_DEP_1)
	v_clz_i32_u32_e32 v18, v64
	v_min_u32_e32 v18, 32, v18
	s_delay_alu instid0(VALU_DEP_1) | instskip(NEXT) | instid1(VALU_DEP_1)
	v_subrev_nc_u32_e32 v19, 28, v18
	v_lshlrev_b64_e32 v[52:53], v19, v[64:65]
	s_delay_alu instid0(VALU_DEP_1)
	v_dual_sub_nc_u32 v18, 29, v18 :: v_dual_bitop2_b32 v64, 7, v52 bitop3:0x40
; %bb.1375:                             ;   in Loop: Header=BB198_810 Depth=1
	s_or_b32 exec_lo, exec_lo, s16
	s_delay_alu instid0(VALU_DEP_1) | instskip(NEXT) | instid1(VALU_DEP_2)
	v_dual_lshlrev_b32 v7, 24, v7 :: v_dual_lshlrev_b32 v19, 20, v64
	v_lshl_add_u32 v18, v18, 23, 0x3c000000
	s_delay_alu instid0(VALU_DEP_2) | instskip(NEXT) | instid1(VALU_DEP_1)
	v_and_b32_e32 v7, 0x80000000, v7
	v_or3_b32 v64, v19, v7, v18
	s_delay_alu instid0(VALU_DEP_1)
	v_mov_b64_e32 v[18:19], v[64:65]
.LBB198_1376:                           ;   in Loop: Header=BB198_810 Depth=1
	s_or_b32 exec_lo, exec_lo, s11
.LBB198_1377:                           ;   in Loop: Header=BB198_810 Depth=1
	s_delay_alu instid0(SALU_CYCLE_1)
	s_or_b32 exec_lo, exec_lo, s10
.LBB198_1378:                           ;   in Loop: Header=BB198_810 Depth=1
	s_delay_alu instid0(SALU_CYCLE_1) | instskip(NEXT) | instid1(SALU_CYCLE_1)
	s_or_b32 exec_lo, exec_lo, s3
	s_mov_b32 s3, exec_lo
	v_cmpx_lt_u32_e32 0xffffff, v6
	s_cbranch_execz .LBB198_1386
; %bb.1379:                             ;   in Loop: Header=BB198_810 Depth=1
	v_mov_b64_e32 v[50:51], 0x8000000000000000
	v_lshrrev_b32_e32 v7, 24, v6
	s_mov_b32 s10, exec_lo
	s_delay_alu instid0(VALU_DEP_1)
	v_cmpx_ne_u32_e32 0x80, v7
	s_cbranch_execz .LBB198_1385
; %bb.1380:                             ;   in Loop: Header=BB198_810 Depth=1
	v_mov_b64_e32 v[50:51], 0x7f80000100000000
	v_bfe_u32 v52, v6, 24, 7
	s_mov_b32 s11, exec_lo
	s_delay_alu instid0(VALU_DEP_1)
	v_cmpx_ne_u32_e32 0x7f, v52
	s_cbranch_execz .LBB198_1384
; %bb.1381:                             ;   in Loop: Header=BB198_810 Depth=1
	v_dual_lshrrev_b32 v6, 3, v52 :: v_dual_bitop2_b32 v64, 7, v7 bitop3:0x40
	s_mov_b32 s16, exec_lo
	v_cmpx_gt_u32_e32 8, v52
; %bb.1382:                             ;   in Loop: Header=BB198_810 Depth=1
	s_delay_alu instid0(VALU_DEP_2) | instskip(NEXT) | instid1(VALU_DEP_1)
	v_clz_i32_u32_e32 v6, v64
	v_min_u32_e32 v6, 32, v6
	s_delay_alu instid0(VALU_DEP_1) | instskip(SKIP_1) | instid1(VALU_DEP_2)
	v_subrev_nc_u32_e32 v50, 28, v6
	v_sub_nc_u32_e32 v6, 29, v6
	v_lshlrev_b64_e32 v[50:51], v50, v[64:65]
	s_delay_alu instid0(VALU_DEP_1)
	v_and_b32_e32 v64, 7, v50
; %bb.1383:                             ;   in Loop: Header=BB198_810 Depth=1
	s_or_b32 exec_lo, exec_lo, s16
	s_delay_alu instid0(VALU_DEP_1) | instskip(SKIP_1) | instid1(VALU_DEP_2)
	v_dual_lshlrev_b32 v7, 24, v7 :: v_dual_lshlrev_b32 v50, 20, v64
	v_lshl_add_u32 v6, v6, 23, 0x3c000000
	v_and_b32_e32 v7, 0x80000000, v7
	s_delay_alu instid0(VALU_DEP_1)
	v_or3_b32 v51, v50, v7, v6
	v_mov_b32_e32 v50, v65
.LBB198_1384:                           ;   in Loop: Header=BB198_810 Depth=1
	s_or_b32 exec_lo, exec_lo, s11
.LBB198_1385:                           ;   in Loop: Header=BB198_810 Depth=1
	s_delay_alu instid0(SALU_CYCLE_1)
	s_or_b32 exec_lo, exec_lo, s10
.LBB198_1386:                           ;   in Loop: Header=BB198_810 Depth=1
	s_delay_alu instid0(SALU_CYCLE_1) | instskip(SKIP_4) | instid1(VALU_DEP_3)
	s_or_b32 exec_lo, exec_lo, s3
	v_or_b32_e32 v1, v1, v9
	v_or_b32_e32 v0, v0, v8
	;; [unrolled: 1-line block ×4, first 2 shown]
	v_pk_mul_f32 v[92:93], v[22:23], v[0:1]
	s_delay_alu instid0(VALU_DEP_2)
	v_pk_mul_f32 v[90:91], v[22:23], v[6:7]
	s_and_saveexec_b32 s3, vcc_lo
	s_cbranch_execz .LBB198_1388
; %bb.1387:                             ;   in Loop: Header=BB198_810 Depth=1
	v_cmp_lt_i32_e64 s0, v17, v16
	s_delay_alu instid0(VALU_DEP_1) | instskip(SKIP_1) | instid1(VALU_DEP_1)
	v_cndmask_b32_e64 v92, 0, v92, s0
	v_cmp_lt_i32_e64 s0, v68, v16
	v_cndmask_b32_e64 v93, 0, v93, s0
	v_cmp_lt_i32_e64 s0, v70, v16
	s_delay_alu instid0(VALU_DEP_1) | instskip(SKIP_1) | instid1(VALU_DEP_1)
	v_cndmask_b32_e64 v90, 0, v90, s0
	v_cmp_lt_i32_e64 s0, v69, v16
	v_cndmask_b32_e64 v91, 0, v91, s0
.LBB198_1388:                           ;   in Loop: Header=BB198_810 Depth=1
	s_or_b32 exec_lo, exec_lo, s3
	flat_load_b32 v6, v[54:55] offset:2176
	v_mov_b64_e32 v[0:1], 0
	v_mov_b64_e32 v[8:9], 0
	s_mov_b32 s3, exec_lo
	s_wait_loadcnt_dscnt 0x0
	v_and_b32_e32 v7, 0xff, v6
	s_wait_xcnt 0x0
	s_delay_alu instid0(VALU_DEP_1)
	v_cmpx_ne_u16_e32 0, v7
	s_cbranch_execz .LBB198_1396
; %bb.1389:                             ;   in Loop: Header=BB198_810 Depth=1
	v_mov_b64_e32 v[8:9], 0x80000000
	s_mov_b32 s10, exec_lo
	v_cmpx_ne_u16_e32 0x80, v7
	s_cbranch_execz .LBB198_1395
; %bb.1390:                             ;   in Loop: Header=BB198_810 Depth=1
	v_mov_b64_e32 v[8:9], 0x7f800001
	v_and_b32_e32 v18, 0x7f, v6
	s_mov_b32 s11, exec_lo
	s_delay_alu instid0(VALU_DEP_1)
	v_cmpx_ne_u32_e32 0x7f, v18
	s_cbranch_execz .LBB198_1394
; %bb.1391:                             ;   in Loop: Header=BB198_810 Depth=1
	v_and_b32_e32 v64, 7, v6
	v_lshrrev_b32_e32 v7, 3, v18
	s_mov_b32 s16, exec_lo
	v_cmpx_gt_u32_e32 8, v18
; %bb.1392:                             ;   in Loop: Header=BB198_810 Depth=1
	s_delay_alu instid0(VALU_DEP_3) | instskip(NEXT) | instid1(VALU_DEP_1)
	v_clz_i32_u32_e32 v7, v64
	v_min_u32_e32 v7, 32, v7
	s_delay_alu instid0(VALU_DEP_1) | instskip(NEXT) | instid1(VALU_DEP_1)
	v_subrev_nc_u32_e32 v8, 28, v7
	v_lshlrev_b64_e32 v[8:9], v8, v[64:65]
	s_delay_alu instid0(VALU_DEP_1)
	v_dual_sub_nc_u32 v7, 29, v7 :: v_dual_bitop2_b32 v64, 7, v8 bitop3:0x40
; %bb.1393:                             ;   in Loop: Header=BB198_810 Depth=1
	s_or_b32 exec_lo, exec_lo, s16
	s_delay_alu instid0(VALU_DEP_1) | instskip(NEXT) | instid1(VALU_DEP_2)
	v_dual_lshlrev_b32 v8, 24, v6 :: v_dual_lshlrev_b32 v9, 20, v64
	v_lshl_add_u32 v7, v7, 23, 0x3c000000
	s_delay_alu instid0(VALU_DEP_2) | instskip(NEXT) | instid1(VALU_DEP_1)
	v_and_b32_e32 v8, 0x80000000, v8
	v_or3_b32 v64, v9, v8, v7
	s_delay_alu instid0(VALU_DEP_1)
	v_mov_b64_e32 v[8:9], v[64:65]
.LBB198_1394:                           ;   in Loop: Header=BB198_810 Depth=1
	s_or_b32 exec_lo, exec_lo, s11
.LBB198_1395:                           ;   in Loop: Header=BB198_810 Depth=1
	s_delay_alu instid0(SALU_CYCLE_1)
	s_or_b32 exec_lo, exec_lo, s10
.LBB198_1396:                           ;   in Loop: Header=BB198_810 Depth=1
	s_delay_alu instid0(SALU_CYCLE_1) | instskip(SKIP_2) | instid1(VALU_DEP_1)
	s_or_b32 exec_lo, exec_lo, s3
	v_lshrrev_b16 v7, 8, v6
	s_mov_b32 s3, exec_lo
	v_cmpx_ne_u16_e32 0, v7
	s_cbranch_execz .LBB198_1404
; %bb.1397:                             ;   in Loop: Header=BB198_810 Depth=1
	v_mov_b64_e32 v[0:1], 0x8000000000000000
	s_mov_b32 s10, exec_lo
	v_cmpx_ne_u16_e32 0x80, v7
	s_cbranch_execz .LBB198_1403
; %bb.1398:                             ;   in Loop: Header=BB198_810 Depth=1
	v_and_b32_e32 v18, 0xffff, v7
	v_mov_b64_e32 v[0:1], 0x7f80000100000000
	s_mov_b32 s11, exec_lo
	s_delay_alu instid0(VALU_DEP_2) | instskip(NEXT) | instid1(VALU_DEP_1)
	v_and_b32_e32 v7, 0x7f, v18
	v_cmpx_ne_u32_e32 0x7f, v7
	s_cbranch_execz .LBB198_1402
; %bb.1399:                             ;   in Loop: Header=BB198_810 Depth=1
	v_dual_lshrrev_b32 v0, 3, v7 :: v_dual_bitop2_b32 v64, 7, v18 bitop3:0x40
	s_mov_b32 s16, exec_lo
	v_cmpx_gt_u32_e32 8, v7
; %bb.1400:                             ;   in Loop: Header=BB198_810 Depth=1
	s_delay_alu instid0(VALU_DEP_2) | instskip(NEXT) | instid1(VALU_DEP_1)
	v_clz_i32_u32_e32 v0, v64
	v_min_u32_e32 v0, 32, v0
	s_delay_alu instid0(VALU_DEP_1) | instskip(NEXT) | instid1(VALU_DEP_1)
	v_subrev_nc_u32_e32 v1, 28, v0
	v_lshlrev_b64_e32 v[18:19], v1, v[64:65]
	s_delay_alu instid0(VALU_DEP_1)
	v_dual_sub_nc_u32 v0, 29, v0 :: v_dual_bitop2_b32 v64, 7, v18 bitop3:0x40
; %bb.1401:                             ;   in Loop: Header=BB198_810 Depth=1
	s_or_b32 exec_lo, exec_lo, s16
	s_delay_alu instid0(VALU_DEP_1) | instskip(NEXT) | instid1(VALU_DEP_2)
	v_dual_lshlrev_b32 v1, 16, v6 :: v_dual_lshlrev_b32 v7, 20, v64
	v_lshl_add_u32 v0, v0, 23, 0x3c000000
	s_delay_alu instid0(VALU_DEP_2) | instskip(NEXT) | instid1(VALU_DEP_1)
	v_and_b32_e32 v1, 0x80000000, v1
	v_or3_b32 v1, v7, v1, v0
	v_mov_b32_e32 v0, v65
.LBB198_1402:                           ;   in Loop: Header=BB198_810 Depth=1
	s_or_b32 exec_lo, exec_lo, s11
.LBB198_1403:                           ;   in Loop: Header=BB198_810 Depth=1
	s_delay_alu instid0(SALU_CYCLE_1)
	s_or_b32 exec_lo, exec_lo, s10
.LBB198_1404:                           ;   in Loop: Header=BB198_810 Depth=1
	s_delay_alu instid0(SALU_CYCLE_1) | instskip(SKIP_4) | instid1(VALU_DEP_3)
	s_or_b32 exec_lo, exec_lo, s3
	v_lshrrev_b32_e32 v7, 16, v6
	v_mov_b64_e32 v[50:51], 0
	v_mov_b64_e32 v[18:19], 0
	s_mov_b32 s3, exec_lo
	v_and_b32_e32 v52, 0xff, v7
	s_delay_alu instid0(VALU_DEP_1)
	v_cmpx_ne_u16_e32 0, v52
	s_cbranch_execz .LBB198_1412
; %bb.1405:                             ;   in Loop: Header=BB198_810 Depth=1
	v_mov_b64_e32 v[18:19], 0x80000000
	s_mov_b32 s10, exec_lo
	v_cmpx_ne_u16_e32 0x80, v52
	s_cbranch_execz .LBB198_1411
; %bb.1406:                             ;   in Loop: Header=BB198_810 Depth=1
	v_mov_b64_e32 v[18:19], 0x7f800001
	v_bfe_u32 v52, v6, 16, 7
	s_mov_b32 s11, exec_lo
	s_delay_alu instid0(VALU_DEP_1)
	v_cmpx_ne_u32_e32 0x7f, v52
	s_cbranch_execz .LBB198_1410
; %bb.1407:                             ;   in Loop: Header=BB198_810 Depth=1
	v_dual_lshrrev_b32 v18, 3, v52 :: v_dual_bitop2_b32 v64, 7, v7 bitop3:0x40
	s_mov_b32 s16, exec_lo
	v_cmpx_gt_u32_e32 8, v52
; %bb.1408:                             ;   in Loop: Header=BB198_810 Depth=1
	s_delay_alu instid0(VALU_DEP_2) | instskip(NEXT) | instid1(VALU_DEP_1)
	v_clz_i32_u32_e32 v18, v64
	v_min_u32_e32 v18, 32, v18
	s_delay_alu instid0(VALU_DEP_1) | instskip(NEXT) | instid1(VALU_DEP_1)
	v_subrev_nc_u32_e32 v19, 28, v18
	v_lshlrev_b64_e32 v[52:53], v19, v[64:65]
	s_delay_alu instid0(VALU_DEP_1)
	v_dual_sub_nc_u32 v18, 29, v18 :: v_dual_bitop2_b32 v64, 7, v52 bitop3:0x40
; %bb.1409:                             ;   in Loop: Header=BB198_810 Depth=1
	s_or_b32 exec_lo, exec_lo, s16
	s_delay_alu instid0(VALU_DEP_1) | instskip(NEXT) | instid1(VALU_DEP_2)
	v_dual_lshlrev_b32 v7, 24, v7 :: v_dual_lshlrev_b32 v19, 20, v64
	v_lshl_add_u32 v18, v18, 23, 0x3c000000
	s_delay_alu instid0(VALU_DEP_2) | instskip(NEXT) | instid1(VALU_DEP_1)
	v_and_b32_e32 v7, 0x80000000, v7
	v_or3_b32 v64, v19, v7, v18
	s_delay_alu instid0(VALU_DEP_1)
	v_mov_b64_e32 v[18:19], v[64:65]
.LBB198_1410:                           ;   in Loop: Header=BB198_810 Depth=1
	s_or_b32 exec_lo, exec_lo, s11
.LBB198_1411:                           ;   in Loop: Header=BB198_810 Depth=1
	s_delay_alu instid0(SALU_CYCLE_1)
	s_or_b32 exec_lo, exec_lo, s10
.LBB198_1412:                           ;   in Loop: Header=BB198_810 Depth=1
	s_delay_alu instid0(SALU_CYCLE_1) | instskip(NEXT) | instid1(SALU_CYCLE_1)
	s_or_b32 exec_lo, exec_lo, s3
	s_mov_b32 s3, exec_lo
	v_cmpx_lt_u32_e32 0xffffff, v6
	s_cbranch_execz .LBB198_1420
; %bb.1413:                             ;   in Loop: Header=BB198_810 Depth=1
	v_mov_b64_e32 v[50:51], 0x8000000000000000
	v_lshrrev_b32_e32 v7, 24, v6
	s_mov_b32 s10, exec_lo
	s_delay_alu instid0(VALU_DEP_1)
	v_cmpx_ne_u32_e32 0x80, v7
	s_cbranch_execz .LBB198_1419
; %bb.1414:                             ;   in Loop: Header=BB198_810 Depth=1
	v_mov_b64_e32 v[50:51], 0x7f80000100000000
	v_bfe_u32 v52, v6, 24, 7
	s_mov_b32 s11, exec_lo
	s_delay_alu instid0(VALU_DEP_1)
	v_cmpx_ne_u32_e32 0x7f, v52
	s_cbranch_execz .LBB198_1418
; %bb.1415:                             ;   in Loop: Header=BB198_810 Depth=1
	v_dual_lshrrev_b32 v6, 3, v52 :: v_dual_bitop2_b32 v64, 7, v7 bitop3:0x40
	s_mov_b32 s16, exec_lo
	v_cmpx_gt_u32_e32 8, v52
; %bb.1416:                             ;   in Loop: Header=BB198_810 Depth=1
	s_delay_alu instid0(VALU_DEP_2) | instskip(NEXT) | instid1(VALU_DEP_1)
	v_clz_i32_u32_e32 v6, v64
	v_min_u32_e32 v6, 32, v6
	s_delay_alu instid0(VALU_DEP_1) | instskip(SKIP_1) | instid1(VALU_DEP_2)
	v_subrev_nc_u32_e32 v50, 28, v6
	v_sub_nc_u32_e32 v6, 29, v6
	v_lshlrev_b64_e32 v[50:51], v50, v[64:65]
	s_delay_alu instid0(VALU_DEP_1)
	v_and_b32_e32 v64, 7, v50
; %bb.1417:                             ;   in Loop: Header=BB198_810 Depth=1
	s_or_b32 exec_lo, exec_lo, s16
	s_delay_alu instid0(VALU_DEP_1) | instskip(SKIP_1) | instid1(VALU_DEP_2)
	v_dual_lshlrev_b32 v7, 24, v7 :: v_dual_lshlrev_b32 v50, 20, v64
	v_lshl_add_u32 v6, v6, 23, 0x3c000000
	v_and_b32_e32 v7, 0x80000000, v7
	s_delay_alu instid0(VALU_DEP_1)
	v_or3_b32 v51, v50, v7, v6
	v_mov_b32_e32 v50, v65
.LBB198_1418:                           ;   in Loop: Header=BB198_810 Depth=1
	s_or_b32 exec_lo, exec_lo, s11
.LBB198_1419:                           ;   in Loop: Header=BB198_810 Depth=1
	s_delay_alu instid0(SALU_CYCLE_1)
	s_or_b32 exec_lo, exec_lo, s10
.LBB198_1420:                           ;   in Loop: Header=BB198_810 Depth=1
	s_delay_alu instid0(SALU_CYCLE_1) | instskip(SKIP_4) | instid1(VALU_DEP_3)
	s_or_b32 exec_lo, exec_lo, s3
	v_or_b32_e32 v1, v1, v9
	v_or_b32_e32 v0, v0, v8
	;; [unrolled: 1-line block ×4, first 2 shown]
	v_pk_mul_f32 v[104:105], v[22:23], v[0:1]
	s_delay_alu instid0(VALU_DEP_2)
	v_pk_mul_f32 v[94:95], v[22:23], v[6:7]
	s_and_saveexec_b32 s3, vcc_lo
	s_cbranch_execz .LBB198_1422
; %bb.1421:                             ;   in Loop: Header=BB198_810 Depth=1
	v_cmp_lt_i32_e64 s0, v17, v16
	s_delay_alu instid0(VALU_DEP_1) | instskip(SKIP_1) | instid1(VALU_DEP_1)
	v_cndmask_b32_e64 v104, 0, v104, s0
	v_cmp_lt_i32_e64 s0, v68, v16
	v_cndmask_b32_e64 v105, 0, v105, s0
	v_cmp_lt_i32_e64 s0, v70, v16
	s_delay_alu instid0(VALU_DEP_1) | instskip(SKIP_1) | instid1(VALU_DEP_1)
	v_cndmask_b32_e64 v94, 0, v94, s0
	v_cmp_lt_i32_e64 s0, v69, v16
	v_cndmask_b32_e64 v95, 0, v95, s0
.LBB198_1422:                           ;   in Loop: Header=BB198_810 Depth=1
	s_or_b32 exec_lo, exec_lo, s3
	flat_load_b32 v6, v[54:55] offset:2304
	v_mov_b64_e32 v[0:1], 0
	v_mov_b64_e32 v[8:9], 0
	s_mov_b32 s3, exec_lo
	s_wait_loadcnt_dscnt 0x0
	v_and_b32_e32 v7, 0xff, v6
	s_wait_xcnt 0x0
	s_delay_alu instid0(VALU_DEP_1)
	v_cmpx_ne_u16_e32 0, v7
	s_cbranch_execz .LBB198_1430
; %bb.1423:                             ;   in Loop: Header=BB198_810 Depth=1
	v_mov_b64_e32 v[8:9], 0x80000000
	s_mov_b32 s10, exec_lo
	v_cmpx_ne_u16_e32 0x80, v7
	s_cbranch_execz .LBB198_1429
; %bb.1424:                             ;   in Loop: Header=BB198_810 Depth=1
	v_mov_b64_e32 v[8:9], 0x7f800001
	v_and_b32_e32 v18, 0x7f, v6
	s_mov_b32 s11, exec_lo
	s_delay_alu instid0(VALU_DEP_1)
	v_cmpx_ne_u32_e32 0x7f, v18
	s_cbranch_execz .LBB198_1428
; %bb.1425:                             ;   in Loop: Header=BB198_810 Depth=1
	v_and_b32_e32 v64, 7, v6
	v_lshrrev_b32_e32 v7, 3, v18
	s_mov_b32 s16, exec_lo
	v_cmpx_gt_u32_e32 8, v18
; %bb.1426:                             ;   in Loop: Header=BB198_810 Depth=1
	s_delay_alu instid0(VALU_DEP_3) | instskip(NEXT) | instid1(VALU_DEP_1)
	v_clz_i32_u32_e32 v7, v64
	v_min_u32_e32 v7, 32, v7
	s_delay_alu instid0(VALU_DEP_1) | instskip(NEXT) | instid1(VALU_DEP_1)
	v_subrev_nc_u32_e32 v8, 28, v7
	v_lshlrev_b64_e32 v[8:9], v8, v[64:65]
	s_delay_alu instid0(VALU_DEP_1)
	v_dual_sub_nc_u32 v7, 29, v7 :: v_dual_bitop2_b32 v64, 7, v8 bitop3:0x40
; %bb.1427:                             ;   in Loop: Header=BB198_810 Depth=1
	s_or_b32 exec_lo, exec_lo, s16
	s_delay_alu instid0(VALU_DEP_1) | instskip(NEXT) | instid1(VALU_DEP_2)
	v_dual_lshlrev_b32 v8, 24, v6 :: v_dual_lshlrev_b32 v9, 20, v64
	v_lshl_add_u32 v7, v7, 23, 0x3c000000
	s_delay_alu instid0(VALU_DEP_2) | instskip(NEXT) | instid1(VALU_DEP_1)
	v_and_b32_e32 v8, 0x80000000, v8
	v_or3_b32 v64, v9, v8, v7
	s_delay_alu instid0(VALU_DEP_1)
	v_mov_b64_e32 v[8:9], v[64:65]
.LBB198_1428:                           ;   in Loop: Header=BB198_810 Depth=1
	s_or_b32 exec_lo, exec_lo, s11
.LBB198_1429:                           ;   in Loop: Header=BB198_810 Depth=1
	s_delay_alu instid0(SALU_CYCLE_1)
	s_or_b32 exec_lo, exec_lo, s10
.LBB198_1430:                           ;   in Loop: Header=BB198_810 Depth=1
	s_delay_alu instid0(SALU_CYCLE_1) | instskip(SKIP_2) | instid1(VALU_DEP_1)
	s_or_b32 exec_lo, exec_lo, s3
	v_lshrrev_b16 v7, 8, v6
	s_mov_b32 s3, exec_lo
	v_cmpx_ne_u16_e32 0, v7
	s_cbranch_execz .LBB198_1438
; %bb.1431:                             ;   in Loop: Header=BB198_810 Depth=1
	v_mov_b64_e32 v[0:1], 0x8000000000000000
	s_mov_b32 s10, exec_lo
	v_cmpx_ne_u16_e32 0x80, v7
	s_cbranch_execz .LBB198_1437
; %bb.1432:                             ;   in Loop: Header=BB198_810 Depth=1
	v_and_b32_e32 v18, 0xffff, v7
	v_mov_b64_e32 v[0:1], 0x7f80000100000000
	s_mov_b32 s11, exec_lo
	s_delay_alu instid0(VALU_DEP_2) | instskip(NEXT) | instid1(VALU_DEP_1)
	v_and_b32_e32 v7, 0x7f, v18
	v_cmpx_ne_u32_e32 0x7f, v7
	s_cbranch_execz .LBB198_1436
; %bb.1433:                             ;   in Loop: Header=BB198_810 Depth=1
	v_dual_lshrrev_b32 v0, 3, v7 :: v_dual_bitop2_b32 v64, 7, v18 bitop3:0x40
	s_mov_b32 s16, exec_lo
	v_cmpx_gt_u32_e32 8, v7
; %bb.1434:                             ;   in Loop: Header=BB198_810 Depth=1
	s_delay_alu instid0(VALU_DEP_2) | instskip(NEXT) | instid1(VALU_DEP_1)
	v_clz_i32_u32_e32 v0, v64
	v_min_u32_e32 v0, 32, v0
	s_delay_alu instid0(VALU_DEP_1) | instskip(NEXT) | instid1(VALU_DEP_1)
	v_subrev_nc_u32_e32 v1, 28, v0
	v_lshlrev_b64_e32 v[18:19], v1, v[64:65]
	s_delay_alu instid0(VALU_DEP_1)
	v_dual_sub_nc_u32 v0, 29, v0 :: v_dual_bitop2_b32 v64, 7, v18 bitop3:0x40
; %bb.1435:                             ;   in Loop: Header=BB198_810 Depth=1
	s_or_b32 exec_lo, exec_lo, s16
	s_delay_alu instid0(VALU_DEP_1) | instskip(NEXT) | instid1(VALU_DEP_2)
	v_dual_lshlrev_b32 v1, 16, v6 :: v_dual_lshlrev_b32 v7, 20, v64
	v_lshl_add_u32 v0, v0, 23, 0x3c000000
	s_delay_alu instid0(VALU_DEP_2) | instskip(NEXT) | instid1(VALU_DEP_1)
	v_and_b32_e32 v1, 0x80000000, v1
	v_or3_b32 v1, v7, v1, v0
	v_mov_b32_e32 v0, v65
.LBB198_1436:                           ;   in Loop: Header=BB198_810 Depth=1
	s_or_b32 exec_lo, exec_lo, s11
.LBB198_1437:                           ;   in Loop: Header=BB198_810 Depth=1
	s_delay_alu instid0(SALU_CYCLE_1)
	s_or_b32 exec_lo, exec_lo, s10
.LBB198_1438:                           ;   in Loop: Header=BB198_810 Depth=1
	s_delay_alu instid0(SALU_CYCLE_1) | instskip(SKIP_4) | instid1(VALU_DEP_3)
	s_or_b32 exec_lo, exec_lo, s3
	v_lshrrev_b32_e32 v7, 16, v6
	v_mov_b64_e32 v[50:51], 0
	v_mov_b64_e32 v[18:19], 0
	s_mov_b32 s3, exec_lo
	v_and_b32_e32 v52, 0xff, v7
	s_delay_alu instid0(VALU_DEP_1)
	v_cmpx_ne_u16_e32 0, v52
	s_cbranch_execz .LBB198_1446
; %bb.1439:                             ;   in Loop: Header=BB198_810 Depth=1
	v_mov_b64_e32 v[18:19], 0x80000000
	s_mov_b32 s10, exec_lo
	v_cmpx_ne_u16_e32 0x80, v52
	s_cbranch_execz .LBB198_1445
; %bb.1440:                             ;   in Loop: Header=BB198_810 Depth=1
	v_mov_b64_e32 v[18:19], 0x7f800001
	v_bfe_u32 v52, v6, 16, 7
	s_mov_b32 s11, exec_lo
	s_delay_alu instid0(VALU_DEP_1)
	v_cmpx_ne_u32_e32 0x7f, v52
	s_cbranch_execz .LBB198_1444
; %bb.1441:                             ;   in Loop: Header=BB198_810 Depth=1
	v_dual_lshrrev_b32 v18, 3, v52 :: v_dual_bitop2_b32 v64, 7, v7 bitop3:0x40
	s_mov_b32 s16, exec_lo
	v_cmpx_gt_u32_e32 8, v52
; %bb.1442:                             ;   in Loop: Header=BB198_810 Depth=1
	s_delay_alu instid0(VALU_DEP_2) | instskip(NEXT) | instid1(VALU_DEP_1)
	v_clz_i32_u32_e32 v18, v64
	v_min_u32_e32 v18, 32, v18
	s_delay_alu instid0(VALU_DEP_1) | instskip(NEXT) | instid1(VALU_DEP_1)
	v_subrev_nc_u32_e32 v19, 28, v18
	v_lshlrev_b64_e32 v[52:53], v19, v[64:65]
	s_delay_alu instid0(VALU_DEP_1)
	v_dual_sub_nc_u32 v18, 29, v18 :: v_dual_bitop2_b32 v64, 7, v52 bitop3:0x40
; %bb.1443:                             ;   in Loop: Header=BB198_810 Depth=1
	s_or_b32 exec_lo, exec_lo, s16
	s_delay_alu instid0(VALU_DEP_1) | instskip(NEXT) | instid1(VALU_DEP_2)
	v_dual_lshlrev_b32 v7, 24, v7 :: v_dual_lshlrev_b32 v19, 20, v64
	v_lshl_add_u32 v18, v18, 23, 0x3c000000
	s_delay_alu instid0(VALU_DEP_2) | instskip(NEXT) | instid1(VALU_DEP_1)
	v_and_b32_e32 v7, 0x80000000, v7
	v_or3_b32 v64, v19, v7, v18
	s_delay_alu instid0(VALU_DEP_1)
	v_mov_b64_e32 v[18:19], v[64:65]
.LBB198_1444:                           ;   in Loop: Header=BB198_810 Depth=1
	s_or_b32 exec_lo, exec_lo, s11
.LBB198_1445:                           ;   in Loop: Header=BB198_810 Depth=1
	s_delay_alu instid0(SALU_CYCLE_1)
	s_or_b32 exec_lo, exec_lo, s10
.LBB198_1446:                           ;   in Loop: Header=BB198_810 Depth=1
	s_delay_alu instid0(SALU_CYCLE_1) | instskip(NEXT) | instid1(SALU_CYCLE_1)
	s_or_b32 exec_lo, exec_lo, s3
	s_mov_b32 s3, exec_lo
	v_cmpx_lt_u32_e32 0xffffff, v6
	s_cbranch_execz .LBB198_1454
; %bb.1447:                             ;   in Loop: Header=BB198_810 Depth=1
	v_mov_b64_e32 v[50:51], 0x8000000000000000
	v_lshrrev_b32_e32 v7, 24, v6
	s_mov_b32 s10, exec_lo
	s_delay_alu instid0(VALU_DEP_1)
	v_cmpx_ne_u32_e32 0x80, v7
	s_cbranch_execz .LBB198_1453
; %bb.1448:                             ;   in Loop: Header=BB198_810 Depth=1
	v_mov_b64_e32 v[50:51], 0x7f80000100000000
	v_bfe_u32 v52, v6, 24, 7
	s_mov_b32 s11, exec_lo
	s_delay_alu instid0(VALU_DEP_1)
	v_cmpx_ne_u32_e32 0x7f, v52
	s_cbranch_execz .LBB198_1452
; %bb.1449:                             ;   in Loop: Header=BB198_810 Depth=1
	v_dual_lshrrev_b32 v6, 3, v52 :: v_dual_bitop2_b32 v64, 7, v7 bitop3:0x40
	s_mov_b32 s16, exec_lo
	v_cmpx_gt_u32_e32 8, v52
; %bb.1450:                             ;   in Loop: Header=BB198_810 Depth=1
	s_delay_alu instid0(VALU_DEP_2) | instskip(NEXT) | instid1(VALU_DEP_1)
	v_clz_i32_u32_e32 v6, v64
	v_min_u32_e32 v6, 32, v6
	s_delay_alu instid0(VALU_DEP_1) | instskip(SKIP_1) | instid1(VALU_DEP_2)
	v_subrev_nc_u32_e32 v50, 28, v6
	v_sub_nc_u32_e32 v6, 29, v6
	v_lshlrev_b64_e32 v[50:51], v50, v[64:65]
	s_delay_alu instid0(VALU_DEP_1)
	v_and_b32_e32 v64, 7, v50
; %bb.1451:                             ;   in Loop: Header=BB198_810 Depth=1
	s_or_b32 exec_lo, exec_lo, s16
	s_delay_alu instid0(VALU_DEP_1) | instskip(SKIP_1) | instid1(VALU_DEP_2)
	v_dual_lshlrev_b32 v7, 24, v7 :: v_dual_lshlrev_b32 v50, 20, v64
	v_lshl_add_u32 v6, v6, 23, 0x3c000000
	v_and_b32_e32 v7, 0x80000000, v7
	s_delay_alu instid0(VALU_DEP_1)
	v_or3_b32 v51, v50, v7, v6
	v_mov_b32_e32 v50, v65
.LBB198_1452:                           ;   in Loop: Header=BB198_810 Depth=1
	s_or_b32 exec_lo, exec_lo, s11
.LBB198_1453:                           ;   in Loop: Header=BB198_810 Depth=1
	s_delay_alu instid0(SALU_CYCLE_1)
	s_or_b32 exec_lo, exec_lo, s10
.LBB198_1454:                           ;   in Loop: Header=BB198_810 Depth=1
	s_delay_alu instid0(SALU_CYCLE_1) | instskip(SKIP_4) | instid1(VALU_DEP_3)
	s_or_b32 exec_lo, exec_lo, s3
	v_or_b32_e32 v1, v1, v9
	v_or_b32_e32 v0, v0, v8
	;; [unrolled: 1-line block ×4, first 2 shown]
	v_pk_mul_f32 v[108:109], v[22:23], v[0:1]
	s_delay_alu instid0(VALU_DEP_2)
	v_pk_mul_f32 v[106:107], v[22:23], v[6:7]
	s_and_saveexec_b32 s3, vcc_lo
	s_cbranch_execz .LBB198_1456
; %bb.1455:                             ;   in Loop: Header=BB198_810 Depth=1
	v_cmp_lt_i32_e64 s0, v17, v16
	s_delay_alu instid0(VALU_DEP_1) | instskip(SKIP_1) | instid1(VALU_DEP_1)
	v_cndmask_b32_e64 v108, 0, v108, s0
	v_cmp_lt_i32_e64 s0, v68, v16
	v_cndmask_b32_e64 v109, 0, v109, s0
	v_cmp_lt_i32_e64 s0, v70, v16
	s_delay_alu instid0(VALU_DEP_1) | instskip(SKIP_1) | instid1(VALU_DEP_1)
	v_cndmask_b32_e64 v106, 0, v106, s0
	v_cmp_lt_i32_e64 s0, v69, v16
	v_cndmask_b32_e64 v107, 0, v107, s0
.LBB198_1456:                           ;   in Loop: Header=BB198_810 Depth=1
	s_or_b32 exec_lo, exec_lo, s3
	flat_load_b32 v6, v[54:55] offset:2432
	v_mov_b64_e32 v[0:1], 0
	v_mov_b64_e32 v[8:9], 0
	s_mov_b32 s3, exec_lo
	s_wait_loadcnt_dscnt 0x0
	v_and_b32_e32 v7, 0xff, v6
	s_wait_xcnt 0x0
	s_delay_alu instid0(VALU_DEP_1)
	v_cmpx_ne_u16_e32 0, v7
	s_cbranch_execz .LBB198_1464
; %bb.1457:                             ;   in Loop: Header=BB198_810 Depth=1
	v_mov_b64_e32 v[8:9], 0x80000000
	s_mov_b32 s10, exec_lo
	v_cmpx_ne_u16_e32 0x80, v7
	s_cbranch_execz .LBB198_1463
; %bb.1458:                             ;   in Loop: Header=BB198_810 Depth=1
	v_mov_b64_e32 v[8:9], 0x7f800001
	v_and_b32_e32 v18, 0x7f, v6
	s_mov_b32 s11, exec_lo
	s_delay_alu instid0(VALU_DEP_1)
	v_cmpx_ne_u32_e32 0x7f, v18
	s_cbranch_execz .LBB198_1462
; %bb.1459:                             ;   in Loop: Header=BB198_810 Depth=1
	v_and_b32_e32 v64, 7, v6
	v_lshrrev_b32_e32 v7, 3, v18
	s_mov_b32 s16, exec_lo
	v_cmpx_gt_u32_e32 8, v18
; %bb.1460:                             ;   in Loop: Header=BB198_810 Depth=1
	s_delay_alu instid0(VALU_DEP_3) | instskip(NEXT) | instid1(VALU_DEP_1)
	v_clz_i32_u32_e32 v7, v64
	v_min_u32_e32 v7, 32, v7
	s_delay_alu instid0(VALU_DEP_1) | instskip(NEXT) | instid1(VALU_DEP_1)
	v_subrev_nc_u32_e32 v8, 28, v7
	v_lshlrev_b64_e32 v[8:9], v8, v[64:65]
	s_delay_alu instid0(VALU_DEP_1)
	v_dual_sub_nc_u32 v7, 29, v7 :: v_dual_bitop2_b32 v64, 7, v8 bitop3:0x40
; %bb.1461:                             ;   in Loop: Header=BB198_810 Depth=1
	s_or_b32 exec_lo, exec_lo, s16
	s_delay_alu instid0(VALU_DEP_1) | instskip(NEXT) | instid1(VALU_DEP_2)
	v_dual_lshlrev_b32 v8, 24, v6 :: v_dual_lshlrev_b32 v9, 20, v64
	v_lshl_add_u32 v7, v7, 23, 0x3c000000
	s_delay_alu instid0(VALU_DEP_2) | instskip(NEXT) | instid1(VALU_DEP_1)
	v_and_b32_e32 v8, 0x80000000, v8
	v_or3_b32 v64, v9, v8, v7
	s_delay_alu instid0(VALU_DEP_1)
	v_mov_b64_e32 v[8:9], v[64:65]
.LBB198_1462:                           ;   in Loop: Header=BB198_810 Depth=1
	s_or_b32 exec_lo, exec_lo, s11
.LBB198_1463:                           ;   in Loop: Header=BB198_810 Depth=1
	s_delay_alu instid0(SALU_CYCLE_1)
	s_or_b32 exec_lo, exec_lo, s10
.LBB198_1464:                           ;   in Loop: Header=BB198_810 Depth=1
	s_delay_alu instid0(SALU_CYCLE_1) | instskip(SKIP_2) | instid1(VALU_DEP_1)
	s_or_b32 exec_lo, exec_lo, s3
	v_lshrrev_b16 v7, 8, v6
	s_mov_b32 s3, exec_lo
	v_cmpx_ne_u16_e32 0, v7
	s_cbranch_execz .LBB198_1472
; %bb.1465:                             ;   in Loop: Header=BB198_810 Depth=1
	v_mov_b64_e32 v[0:1], 0x8000000000000000
	s_mov_b32 s10, exec_lo
	v_cmpx_ne_u16_e32 0x80, v7
	s_cbranch_execz .LBB198_1471
; %bb.1466:                             ;   in Loop: Header=BB198_810 Depth=1
	v_and_b32_e32 v18, 0xffff, v7
	v_mov_b64_e32 v[0:1], 0x7f80000100000000
	s_mov_b32 s11, exec_lo
	s_delay_alu instid0(VALU_DEP_2) | instskip(NEXT) | instid1(VALU_DEP_1)
	v_and_b32_e32 v7, 0x7f, v18
	v_cmpx_ne_u32_e32 0x7f, v7
	s_cbranch_execz .LBB198_1470
; %bb.1467:                             ;   in Loop: Header=BB198_810 Depth=1
	v_dual_lshrrev_b32 v0, 3, v7 :: v_dual_bitop2_b32 v64, 7, v18 bitop3:0x40
	s_mov_b32 s16, exec_lo
	v_cmpx_gt_u32_e32 8, v7
; %bb.1468:                             ;   in Loop: Header=BB198_810 Depth=1
	s_delay_alu instid0(VALU_DEP_2) | instskip(NEXT) | instid1(VALU_DEP_1)
	v_clz_i32_u32_e32 v0, v64
	v_min_u32_e32 v0, 32, v0
	s_delay_alu instid0(VALU_DEP_1) | instskip(NEXT) | instid1(VALU_DEP_1)
	v_subrev_nc_u32_e32 v1, 28, v0
	v_lshlrev_b64_e32 v[18:19], v1, v[64:65]
	s_delay_alu instid0(VALU_DEP_1)
	v_dual_sub_nc_u32 v0, 29, v0 :: v_dual_bitop2_b32 v64, 7, v18 bitop3:0x40
; %bb.1469:                             ;   in Loop: Header=BB198_810 Depth=1
	s_or_b32 exec_lo, exec_lo, s16
	s_delay_alu instid0(VALU_DEP_1) | instskip(NEXT) | instid1(VALU_DEP_2)
	v_dual_lshlrev_b32 v1, 16, v6 :: v_dual_lshlrev_b32 v7, 20, v64
	v_lshl_add_u32 v0, v0, 23, 0x3c000000
	s_delay_alu instid0(VALU_DEP_2) | instskip(NEXT) | instid1(VALU_DEP_1)
	v_and_b32_e32 v1, 0x80000000, v1
	v_or3_b32 v1, v7, v1, v0
	v_mov_b32_e32 v0, v65
.LBB198_1470:                           ;   in Loop: Header=BB198_810 Depth=1
	s_or_b32 exec_lo, exec_lo, s11
.LBB198_1471:                           ;   in Loop: Header=BB198_810 Depth=1
	s_delay_alu instid0(SALU_CYCLE_1)
	s_or_b32 exec_lo, exec_lo, s10
.LBB198_1472:                           ;   in Loop: Header=BB198_810 Depth=1
	s_delay_alu instid0(SALU_CYCLE_1) | instskip(SKIP_4) | instid1(VALU_DEP_3)
	s_or_b32 exec_lo, exec_lo, s3
	v_lshrrev_b32_e32 v7, 16, v6
	v_mov_b64_e32 v[50:51], 0
	v_mov_b64_e32 v[18:19], 0
	s_mov_b32 s3, exec_lo
	v_and_b32_e32 v52, 0xff, v7
	s_delay_alu instid0(VALU_DEP_1)
	v_cmpx_ne_u16_e32 0, v52
	s_cbranch_execz .LBB198_1480
; %bb.1473:                             ;   in Loop: Header=BB198_810 Depth=1
	v_mov_b64_e32 v[18:19], 0x80000000
	s_mov_b32 s10, exec_lo
	v_cmpx_ne_u16_e32 0x80, v52
	s_cbranch_execz .LBB198_1479
; %bb.1474:                             ;   in Loop: Header=BB198_810 Depth=1
	v_mov_b64_e32 v[18:19], 0x7f800001
	v_bfe_u32 v52, v6, 16, 7
	s_mov_b32 s11, exec_lo
	s_delay_alu instid0(VALU_DEP_1)
	v_cmpx_ne_u32_e32 0x7f, v52
	s_cbranch_execz .LBB198_1478
; %bb.1475:                             ;   in Loop: Header=BB198_810 Depth=1
	v_dual_lshrrev_b32 v18, 3, v52 :: v_dual_bitop2_b32 v64, 7, v7 bitop3:0x40
	s_mov_b32 s16, exec_lo
	v_cmpx_gt_u32_e32 8, v52
; %bb.1476:                             ;   in Loop: Header=BB198_810 Depth=1
	s_delay_alu instid0(VALU_DEP_2) | instskip(NEXT) | instid1(VALU_DEP_1)
	v_clz_i32_u32_e32 v18, v64
	v_min_u32_e32 v18, 32, v18
	s_delay_alu instid0(VALU_DEP_1) | instskip(NEXT) | instid1(VALU_DEP_1)
	v_subrev_nc_u32_e32 v19, 28, v18
	v_lshlrev_b64_e32 v[52:53], v19, v[64:65]
	s_delay_alu instid0(VALU_DEP_1)
	v_dual_sub_nc_u32 v18, 29, v18 :: v_dual_bitop2_b32 v64, 7, v52 bitop3:0x40
; %bb.1477:                             ;   in Loop: Header=BB198_810 Depth=1
	s_or_b32 exec_lo, exec_lo, s16
	s_delay_alu instid0(VALU_DEP_1) | instskip(NEXT) | instid1(VALU_DEP_2)
	v_dual_lshlrev_b32 v7, 24, v7 :: v_dual_lshlrev_b32 v19, 20, v64
	v_lshl_add_u32 v18, v18, 23, 0x3c000000
	s_delay_alu instid0(VALU_DEP_2) | instskip(NEXT) | instid1(VALU_DEP_1)
	v_and_b32_e32 v7, 0x80000000, v7
	v_or3_b32 v64, v19, v7, v18
	s_delay_alu instid0(VALU_DEP_1)
	v_mov_b64_e32 v[18:19], v[64:65]
.LBB198_1478:                           ;   in Loop: Header=BB198_810 Depth=1
	s_or_b32 exec_lo, exec_lo, s11
.LBB198_1479:                           ;   in Loop: Header=BB198_810 Depth=1
	s_delay_alu instid0(SALU_CYCLE_1)
	s_or_b32 exec_lo, exec_lo, s10
.LBB198_1480:                           ;   in Loop: Header=BB198_810 Depth=1
	s_delay_alu instid0(SALU_CYCLE_1) | instskip(NEXT) | instid1(SALU_CYCLE_1)
	s_or_b32 exec_lo, exec_lo, s3
	s_mov_b32 s3, exec_lo
	v_cmpx_lt_u32_e32 0xffffff, v6
	s_cbranch_execz .LBB198_1488
; %bb.1481:                             ;   in Loop: Header=BB198_810 Depth=1
	v_mov_b64_e32 v[50:51], 0x8000000000000000
	v_lshrrev_b32_e32 v7, 24, v6
	s_mov_b32 s10, exec_lo
	s_delay_alu instid0(VALU_DEP_1)
	v_cmpx_ne_u32_e32 0x80, v7
	s_cbranch_execz .LBB198_1487
; %bb.1482:                             ;   in Loop: Header=BB198_810 Depth=1
	v_mov_b64_e32 v[50:51], 0x7f80000100000000
	v_bfe_u32 v52, v6, 24, 7
	s_mov_b32 s11, exec_lo
	s_delay_alu instid0(VALU_DEP_1)
	v_cmpx_ne_u32_e32 0x7f, v52
	s_cbranch_execz .LBB198_1486
; %bb.1483:                             ;   in Loop: Header=BB198_810 Depth=1
	v_dual_lshrrev_b32 v6, 3, v52 :: v_dual_bitop2_b32 v64, 7, v7 bitop3:0x40
	s_mov_b32 s16, exec_lo
	v_cmpx_gt_u32_e32 8, v52
; %bb.1484:                             ;   in Loop: Header=BB198_810 Depth=1
	s_delay_alu instid0(VALU_DEP_2) | instskip(NEXT) | instid1(VALU_DEP_1)
	v_clz_i32_u32_e32 v6, v64
	v_min_u32_e32 v6, 32, v6
	s_delay_alu instid0(VALU_DEP_1) | instskip(SKIP_1) | instid1(VALU_DEP_2)
	v_subrev_nc_u32_e32 v50, 28, v6
	v_sub_nc_u32_e32 v6, 29, v6
	v_lshlrev_b64_e32 v[50:51], v50, v[64:65]
	s_delay_alu instid0(VALU_DEP_1)
	v_and_b32_e32 v64, 7, v50
; %bb.1485:                             ;   in Loop: Header=BB198_810 Depth=1
	s_or_b32 exec_lo, exec_lo, s16
	s_delay_alu instid0(VALU_DEP_1) | instskip(SKIP_1) | instid1(VALU_DEP_2)
	v_dual_lshlrev_b32 v7, 24, v7 :: v_dual_lshlrev_b32 v50, 20, v64
	v_lshl_add_u32 v6, v6, 23, 0x3c000000
	v_and_b32_e32 v7, 0x80000000, v7
	s_delay_alu instid0(VALU_DEP_1)
	v_or3_b32 v51, v50, v7, v6
	v_mov_b32_e32 v50, v65
.LBB198_1486:                           ;   in Loop: Header=BB198_810 Depth=1
	s_or_b32 exec_lo, exec_lo, s11
.LBB198_1487:                           ;   in Loop: Header=BB198_810 Depth=1
	s_delay_alu instid0(SALU_CYCLE_1)
	s_or_b32 exec_lo, exec_lo, s10
.LBB198_1488:                           ;   in Loop: Header=BB198_810 Depth=1
	s_delay_alu instid0(SALU_CYCLE_1) | instskip(SKIP_4) | instid1(VALU_DEP_3)
	s_or_b32 exec_lo, exec_lo, s3
	v_or_b32_e32 v1, v1, v9
	v_or_b32_e32 v0, v0, v8
	;; [unrolled: 1-line block ×4, first 2 shown]
	v_pk_mul_f32 v[120:121], v[22:23], v[0:1]
	s_delay_alu instid0(VALU_DEP_2)
	v_pk_mul_f32 v[110:111], v[22:23], v[6:7]
	s_and_saveexec_b32 s3, vcc_lo
	s_cbranch_execz .LBB198_1490
; %bb.1489:                             ;   in Loop: Header=BB198_810 Depth=1
	v_cmp_lt_i32_e64 s0, v17, v16
	s_delay_alu instid0(VALU_DEP_1) | instskip(SKIP_1) | instid1(VALU_DEP_1)
	v_cndmask_b32_e64 v120, 0, v120, s0
	v_cmp_lt_i32_e64 s0, v68, v16
	v_cndmask_b32_e64 v121, 0, v121, s0
	v_cmp_lt_i32_e64 s0, v70, v16
	s_delay_alu instid0(VALU_DEP_1) | instskip(SKIP_1) | instid1(VALU_DEP_1)
	v_cndmask_b32_e64 v110, 0, v110, s0
	v_cmp_lt_i32_e64 s0, v69, v16
	v_cndmask_b32_e64 v111, 0, v111, s0
.LBB198_1490:                           ;   in Loop: Header=BB198_810 Depth=1
	s_or_b32 exec_lo, exec_lo, s3
	flat_load_b32 v6, v[54:55] offset:2560
	v_mov_b64_e32 v[0:1], 0
	v_mov_b64_e32 v[8:9], 0
	s_mov_b32 s3, exec_lo
	s_wait_loadcnt_dscnt 0x0
	v_and_b32_e32 v7, 0xff, v6
	s_wait_xcnt 0x0
	s_delay_alu instid0(VALU_DEP_1)
	v_cmpx_ne_u16_e32 0, v7
	s_cbranch_execz .LBB198_1498
; %bb.1491:                             ;   in Loop: Header=BB198_810 Depth=1
	v_mov_b64_e32 v[8:9], 0x80000000
	s_mov_b32 s10, exec_lo
	v_cmpx_ne_u16_e32 0x80, v7
	s_cbranch_execz .LBB198_1497
; %bb.1492:                             ;   in Loop: Header=BB198_810 Depth=1
	v_mov_b64_e32 v[8:9], 0x7f800001
	v_and_b32_e32 v18, 0x7f, v6
	s_mov_b32 s11, exec_lo
	s_delay_alu instid0(VALU_DEP_1)
	v_cmpx_ne_u32_e32 0x7f, v18
	s_cbranch_execz .LBB198_1496
; %bb.1493:                             ;   in Loop: Header=BB198_810 Depth=1
	v_and_b32_e32 v64, 7, v6
	v_lshrrev_b32_e32 v7, 3, v18
	s_mov_b32 s16, exec_lo
	v_cmpx_gt_u32_e32 8, v18
; %bb.1494:                             ;   in Loop: Header=BB198_810 Depth=1
	s_delay_alu instid0(VALU_DEP_3) | instskip(NEXT) | instid1(VALU_DEP_1)
	v_clz_i32_u32_e32 v7, v64
	v_min_u32_e32 v7, 32, v7
	s_delay_alu instid0(VALU_DEP_1) | instskip(NEXT) | instid1(VALU_DEP_1)
	v_subrev_nc_u32_e32 v8, 28, v7
	v_lshlrev_b64_e32 v[8:9], v8, v[64:65]
	s_delay_alu instid0(VALU_DEP_1)
	v_dual_sub_nc_u32 v7, 29, v7 :: v_dual_bitop2_b32 v64, 7, v8 bitop3:0x40
; %bb.1495:                             ;   in Loop: Header=BB198_810 Depth=1
	s_or_b32 exec_lo, exec_lo, s16
	s_delay_alu instid0(VALU_DEP_1) | instskip(NEXT) | instid1(VALU_DEP_2)
	v_dual_lshlrev_b32 v8, 24, v6 :: v_dual_lshlrev_b32 v9, 20, v64
	v_lshl_add_u32 v7, v7, 23, 0x3c000000
	s_delay_alu instid0(VALU_DEP_2) | instskip(NEXT) | instid1(VALU_DEP_1)
	v_and_b32_e32 v8, 0x80000000, v8
	v_or3_b32 v64, v9, v8, v7
	s_delay_alu instid0(VALU_DEP_1)
	v_mov_b64_e32 v[8:9], v[64:65]
.LBB198_1496:                           ;   in Loop: Header=BB198_810 Depth=1
	s_or_b32 exec_lo, exec_lo, s11
.LBB198_1497:                           ;   in Loop: Header=BB198_810 Depth=1
	s_delay_alu instid0(SALU_CYCLE_1)
	s_or_b32 exec_lo, exec_lo, s10
.LBB198_1498:                           ;   in Loop: Header=BB198_810 Depth=1
	s_delay_alu instid0(SALU_CYCLE_1) | instskip(SKIP_2) | instid1(VALU_DEP_1)
	s_or_b32 exec_lo, exec_lo, s3
	v_lshrrev_b16 v7, 8, v6
	s_mov_b32 s3, exec_lo
	v_cmpx_ne_u16_e32 0, v7
	s_cbranch_execz .LBB198_1506
; %bb.1499:                             ;   in Loop: Header=BB198_810 Depth=1
	v_mov_b64_e32 v[0:1], 0x8000000000000000
	s_mov_b32 s10, exec_lo
	v_cmpx_ne_u16_e32 0x80, v7
	s_cbranch_execz .LBB198_1505
; %bb.1500:                             ;   in Loop: Header=BB198_810 Depth=1
	v_and_b32_e32 v18, 0xffff, v7
	v_mov_b64_e32 v[0:1], 0x7f80000100000000
	s_mov_b32 s11, exec_lo
	s_delay_alu instid0(VALU_DEP_2) | instskip(NEXT) | instid1(VALU_DEP_1)
	v_and_b32_e32 v7, 0x7f, v18
	v_cmpx_ne_u32_e32 0x7f, v7
	s_cbranch_execz .LBB198_1504
; %bb.1501:                             ;   in Loop: Header=BB198_810 Depth=1
	v_dual_lshrrev_b32 v0, 3, v7 :: v_dual_bitop2_b32 v64, 7, v18 bitop3:0x40
	s_mov_b32 s16, exec_lo
	v_cmpx_gt_u32_e32 8, v7
; %bb.1502:                             ;   in Loop: Header=BB198_810 Depth=1
	s_delay_alu instid0(VALU_DEP_2) | instskip(NEXT) | instid1(VALU_DEP_1)
	v_clz_i32_u32_e32 v0, v64
	v_min_u32_e32 v0, 32, v0
	s_delay_alu instid0(VALU_DEP_1) | instskip(NEXT) | instid1(VALU_DEP_1)
	v_subrev_nc_u32_e32 v1, 28, v0
	v_lshlrev_b64_e32 v[18:19], v1, v[64:65]
	s_delay_alu instid0(VALU_DEP_1)
	v_dual_sub_nc_u32 v0, 29, v0 :: v_dual_bitop2_b32 v64, 7, v18 bitop3:0x40
; %bb.1503:                             ;   in Loop: Header=BB198_810 Depth=1
	s_or_b32 exec_lo, exec_lo, s16
	s_delay_alu instid0(VALU_DEP_1) | instskip(NEXT) | instid1(VALU_DEP_2)
	v_dual_lshlrev_b32 v1, 16, v6 :: v_dual_lshlrev_b32 v7, 20, v64
	v_lshl_add_u32 v0, v0, 23, 0x3c000000
	s_delay_alu instid0(VALU_DEP_2) | instskip(NEXT) | instid1(VALU_DEP_1)
	v_and_b32_e32 v1, 0x80000000, v1
	v_or3_b32 v1, v7, v1, v0
	v_mov_b32_e32 v0, v65
.LBB198_1504:                           ;   in Loop: Header=BB198_810 Depth=1
	s_or_b32 exec_lo, exec_lo, s11
.LBB198_1505:                           ;   in Loop: Header=BB198_810 Depth=1
	s_delay_alu instid0(SALU_CYCLE_1)
	s_or_b32 exec_lo, exec_lo, s10
.LBB198_1506:                           ;   in Loop: Header=BB198_810 Depth=1
	s_delay_alu instid0(SALU_CYCLE_1) | instskip(SKIP_4) | instid1(VALU_DEP_3)
	s_or_b32 exec_lo, exec_lo, s3
	v_lshrrev_b32_e32 v7, 16, v6
	v_mov_b64_e32 v[50:51], 0
	v_mov_b64_e32 v[18:19], 0
	s_mov_b32 s3, exec_lo
	v_and_b32_e32 v52, 0xff, v7
	s_delay_alu instid0(VALU_DEP_1)
	v_cmpx_ne_u16_e32 0, v52
	s_cbranch_execz .LBB198_1514
; %bb.1507:                             ;   in Loop: Header=BB198_810 Depth=1
	v_mov_b64_e32 v[18:19], 0x80000000
	s_mov_b32 s10, exec_lo
	v_cmpx_ne_u16_e32 0x80, v52
	s_cbranch_execz .LBB198_1513
; %bb.1508:                             ;   in Loop: Header=BB198_810 Depth=1
	v_mov_b64_e32 v[18:19], 0x7f800001
	v_bfe_u32 v52, v6, 16, 7
	s_mov_b32 s11, exec_lo
	s_delay_alu instid0(VALU_DEP_1)
	v_cmpx_ne_u32_e32 0x7f, v52
	s_cbranch_execz .LBB198_1512
; %bb.1509:                             ;   in Loop: Header=BB198_810 Depth=1
	v_dual_lshrrev_b32 v18, 3, v52 :: v_dual_bitop2_b32 v64, 7, v7 bitop3:0x40
	s_mov_b32 s16, exec_lo
	v_cmpx_gt_u32_e32 8, v52
; %bb.1510:                             ;   in Loop: Header=BB198_810 Depth=1
	s_delay_alu instid0(VALU_DEP_2) | instskip(NEXT) | instid1(VALU_DEP_1)
	v_clz_i32_u32_e32 v18, v64
	v_min_u32_e32 v18, 32, v18
	s_delay_alu instid0(VALU_DEP_1) | instskip(NEXT) | instid1(VALU_DEP_1)
	v_subrev_nc_u32_e32 v19, 28, v18
	v_lshlrev_b64_e32 v[52:53], v19, v[64:65]
	s_delay_alu instid0(VALU_DEP_1)
	v_dual_sub_nc_u32 v18, 29, v18 :: v_dual_bitop2_b32 v64, 7, v52 bitop3:0x40
; %bb.1511:                             ;   in Loop: Header=BB198_810 Depth=1
	s_or_b32 exec_lo, exec_lo, s16
	s_delay_alu instid0(VALU_DEP_1) | instskip(NEXT) | instid1(VALU_DEP_2)
	v_dual_lshlrev_b32 v7, 24, v7 :: v_dual_lshlrev_b32 v19, 20, v64
	v_lshl_add_u32 v18, v18, 23, 0x3c000000
	s_delay_alu instid0(VALU_DEP_2) | instskip(NEXT) | instid1(VALU_DEP_1)
	v_and_b32_e32 v7, 0x80000000, v7
	v_or3_b32 v64, v19, v7, v18
	s_delay_alu instid0(VALU_DEP_1)
	v_mov_b64_e32 v[18:19], v[64:65]
.LBB198_1512:                           ;   in Loop: Header=BB198_810 Depth=1
	s_or_b32 exec_lo, exec_lo, s11
.LBB198_1513:                           ;   in Loop: Header=BB198_810 Depth=1
	s_delay_alu instid0(SALU_CYCLE_1)
	s_or_b32 exec_lo, exec_lo, s10
.LBB198_1514:                           ;   in Loop: Header=BB198_810 Depth=1
	s_delay_alu instid0(SALU_CYCLE_1) | instskip(NEXT) | instid1(SALU_CYCLE_1)
	s_or_b32 exec_lo, exec_lo, s3
	s_mov_b32 s3, exec_lo
	v_cmpx_lt_u32_e32 0xffffff, v6
	s_cbranch_execz .LBB198_1522
; %bb.1515:                             ;   in Loop: Header=BB198_810 Depth=1
	v_mov_b64_e32 v[50:51], 0x8000000000000000
	v_lshrrev_b32_e32 v7, 24, v6
	s_mov_b32 s10, exec_lo
	s_delay_alu instid0(VALU_DEP_1)
	v_cmpx_ne_u32_e32 0x80, v7
	s_cbranch_execz .LBB198_1521
; %bb.1516:                             ;   in Loop: Header=BB198_810 Depth=1
	v_mov_b64_e32 v[50:51], 0x7f80000100000000
	v_bfe_u32 v52, v6, 24, 7
	s_mov_b32 s11, exec_lo
	s_delay_alu instid0(VALU_DEP_1)
	v_cmpx_ne_u32_e32 0x7f, v52
	s_cbranch_execz .LBB198_1520
; %bb.1517:                             ;   in Loop: Header=BB198_810 Depth=1
	v_dual_lshrrev_b32 v6, 3, v52 :: v_dual_bitop2_b32 v64, 7, v7 bitop3:0x40
	s_mov_b32 s16, exec_lo
	v_cmpx_gt_u32_e32 8, v52
; %bb.1518:                             ;   in Loop: Header=BB198_810 Depth=1
	s_delay_alu instid0(VALU_DEP_2) | instskip(NEXT) | instid1(VALU_DEP_1)
	v_clz_i32_u32_e32 v6, v64
	v_min_u32_e32 v6, 32, v6
	s_delay_alu instid0(VALU_DEP_1) | instskip(SKIP_1) | instid1(VALU_DEP_2)
	v_subrev_nc_u32_e32 v50, 28, v6
	v_sub_nc_u32_e32 v6, 29, v6
	v_lshlrev_b64_e32 v[50:51], v50, v[64:65]
	s_delay_alu instid0(VALU_DEP_1)
	v_and_b32_e32 v64, 7, v50
; %bb.1519:                             ;   in Loop: Header=BB198_810 Depth=1
	s_or_b32 exec_lo, exec_lo, s16
	s_delay_alu instid0(VALU_DEP_1) | instskip(SKIP_1) | instid1(VALU_DEP_2)
	v_dual_lshlrev_b32 v7, 24, v7 :: v_dual_lshlrev_b32 v50, 20, v64
	v_lshl_add_u32 v6, v6, 23, 0x3c000000
	v_and_b32_e32 v7, 0x80000000, v7
	s_delay_alu instid0(VALU_DEP_1)
	v_or3_b32 v51, v50, v7, v6
	v_mov_b32_e32 v50, v65
.LBB198_1520:                           ;   in Loop: Header=BB198_810 Depth=1
	s_or_b32 exec_lo, exec_lo, s11
.LBB198_1521:                           ;   in Loop: Header=BB198_810 Depth=1
	s_delay_alu instid0(SALU_CYCLE_1)
	s_or_b32 exec_lo, exec_lo, s10
.LBB198_1522:                           ;   in Loop: Header=BB198_810 Depth=1
	s_delay_alu instid0(SALU_CYCLE_1) | instskip(SKIP_4) | instid1(VALU_DEP_3)
	s_or_b32 exec_lo, exec_lo, s3
	v_or_b32_e32 v1, v1, v9
	v_or_b32_e32 v0, v0, v8
	;; [unrolled: 1-line block ×4, first 2 shown]
	v_pk_mul_f32 v[124:125], v[22:23], v[0:1]
	s_delay_alu instid0(VALU_DEP_2)
	v_pk_mul_f32 v[122:123], v[22:23], v[6:7]
	s_and_saveexec_b32 s3, vcc_lo
	s_cbranch_execz .LBB198_1524
; %bb.1523:                             ;   in Loop: Header=BB198_810 Depth=1
	v_cmp_lt_i32_e64 s0, v17, v16
	s_delay_alu instid0(VALU_DEP_1) | instskip(SKIP_1) | instid1(VALU_DEP_1)
	v_cndmask_b32_e64 v124, 0, v124, s0
	v_cmp_lt_i32_e64 s0, v68, v16
	v_cndmask_b32_e64 v125, 0, v125, s0
	v_cmp_lt_i32_e64 s0, v70, v16
	s_delay_alu instid0(VALU_DEP_1) | instskip(SKIP_1) | instid1(VALU_DEP_1)
	v_cndmask_b32_e64 v122, 0, v122, s0
	v_cmp_lt_i32_e64 s0, v69, v16
	v_cndmask_b32_e64 v123, 0, v123, s0
.LBB198_1524:                           ;   in Loop: Header=BB198_810 Depth=1
	s_or_b32 exec_lo, exec_lo, s3
	flat_load_b32 v6, v[54:55] offset:2688
	v_mov_b64_e32 v[0:1], 0
	v_mov_b64_e32 v[8:9], 0
	s_mov_b32 s3, exec_lo
	s_wait_loadcnt_dscnt 0x0
	v_and_b32_e32 v7, 0xff, v6
	s_wait_xcnt 0x0
	s_delay_alu instid0(VALU_DEP_1)
	v_cmpx_ne_u16_e32 0, v7
	s_cbranch_execz .LBB198_1532
; %bb.1525:                             ;   in Loop: Header=BB198_810 Depth=1
	v_mov_b64_e32 v[8:9], 0x80000000
	s_mov_b32 s10, exec_lo
	v_cmpx_ne_u16_e32 0x80, v7
	s_cbranch_execz .LBB198_1531
; %bb.1526:                             ;   in Loop: Header=BB198_810 Depth=1
	v_mov_b64_e32 v[8:9], 0x7f800001
	v_and_b32_e32 v18, 0x7f, v6
	s_mov_b32 s11, exec_lo
	s_delay_alu instid0(VALU_DEP_1)
	v_cmpx_ne_u32_e32 0x7f, v18
	s_cbranch_execz .LBB198_1530
; %bb.1527:                             ;   in Loop: Header=BB198_810 Depth=1
	v_and_b32_e32 v64, 7, v6
	v_lshrrev_b32_e32 v7, 3, v18
	s_mov_b32 s16, exec_lo
	v_cmpx_gt_u32_e32 8, v18
; %bb.1528:                             ;   in Loop: Header=BB198_810 Depth=1
	s_delay_alu instid0(VALU_DEP_3) | instskip(NEXT) | instid1(VALU_DEP_1)
	v_clz_i32_u32_e32 v7, v64
	v_min_u32_e32 v7, 32, v7
	s_delay_alu instid0(VALU_DEP_1) | instskip(NEXT) | instid1(VALU_DEP_1)
	v_subrev_nc_u32_e32 v8, 28, v7
	v_lshlrev_b64_e32 v[8:9], v8, v[64:65]
	s_delay_alu instid0(VALU_DEP_1)
	v_dual_sub_nc_u32 v7, 29, v7 :: v_dual_bitop2_b32 v64, 7, v8 bitop3:0x40
; %bb.1529:                             ;   in Loop: Header=BB198_810 Depth=1
	s_or_b32 exec_lo, exec_lo, s16
	s_delay_alu instid0(VALU_DEP_1) | instskip(NEXT) | instid1(VALU_DEP_2)
	v_dual_lshlrev_b32 v8, 24, v6 :: v_dual_lshlrev_b32 v9, 20, v64
	v_lshl_add_u32 v7, v7, 23, 0x3c000000
	s_delay_alu instid0(VALU_DEP_2) | instskip(NEXT) | instid1(VALU_DEP_1)
	v_and_b32_e32 v8, 0x80000000, v8
	v_or3_b32 v64, v9, v8, v7
	s_delay_alu instid0(VALU_DEP_1)
	v_mov_b64_e32 v[8:9], v[64:65]
.LBB198_1530:                           ;   in Loop: Header=BB198_810 Depth=1
	s_or_b32 exec_lo, exec_lo, s11
.LBB198_1531:                           ;   in Loop: Header=BB198_810 Depth=1
	s_delay_alu instid0(SALU_CYCLE_1)
	s_or_b32 exec_lo, exec_lo, s10
.LBB198_1532:                           ;   in Loop: Header=BB198_810 Depth=1
	s_delay_alu instid0(SALU_CYCLE_1) | instskip(SKIP_2) | instid1(VALU_DEP_1)
	s_or_b32 exec_lo, exec_lo, s3
	v_lshrrev_b16 v7, 8, v6
	s_mov_b32 s3, exec_lo
	v_cmpx_ne_u16_e32 0, v7
	s_cbranch_execz .LBB198_1540
; %bb.1533:                             ;   in Loop: Header=BB198_810 Depth=1
	v_mov_b64_e32 v[0:1], 0x8000000000000000
	s_mov_b32 s10, exec_lo
	v_cmpx_ne_u16_e32 0x80, v7
	s_cbranch_execz .LBB198_1539
; %bb.1534:                             ;   in Loop: Header=BB198_810 Depth=1
	v_and_b32_e32 v18, 0xffff, v7
	v_mov_b64_e32 v[0:1], 0x7f80000100000000
	s_mov_b32 s11, exec_lo
	s_delay_alu instid0(VALU_DEP_2) | instskip(NEXT) | instid1(VALU_DEP_1)
	v_and_b32_e32 v7, 0x7f, v18
	v_cmpx_ne_u32_e32 0x7f, v7
	s_cbranch_execz .LBB198_1538
; %bb.1535:                             ;   in Loop: Header=BB198_810 Depth=1
	v_dual_lshrrev_b32 v0, 3, v7 :: v_dual_bitop2_b32 v64, 7, v18 bitop3:0x40
	s_mov_b32 s16, exec_lo
	v_cmpx_gt_u32_e32 8, v7
; %bb.1536:                             ;   in Loop: Header=BB198_810 Depth=1
	s_delay_alu instid0(VALU_DEP_2) | instskip(NEXT) | instid1(VALU_DEP_1)
	v_clz_i32_u32_e32 v0, v64
	v_min_u32_e32 v0, 32, v0
	s_delay_alu instid0(VALU_DEP_1) | instskip(NEXT) | instid1(VALU_DEP_1)
	v_subrev_nc_u32_e32 v1, 28, v0
	v_lshlrev_b64_e32 v[18:19], v1, v[64:65]
	s_delay_alu instid0(VALU_DEP_1)
	v_dual_sub_nc_u32 v0, 29, v0 :: v_dual_bitop2_b32 v64, 7, v18 bitop3:0x40
; %bb.1537:                             ;   in Loop: Header=BB198_810 Depth=1
	s_or_b32 exec_lo, exec_lo, s16
	s_delay_alu instid0(VALU_DEP_1) | instskip(NEXT) | instid1(VALU_DEP_2)
	v_dual_lshlrev_b32 v1, 16, v6 :: v_dual_lshlrev_b32 v7, 20, v64
	v_lshl_add_u32 v0, v0, 23, 0x3c000000
	s_delay_alu instid0(VALU_DEP_2) | instskip(NEXT) | instid1(VALU_DEP_1)
	v_and_b32_e32 v1, 0x80000000, v1
	v_or3_b32 v1, v7, v1, v0
	v_mov_b32_e32 v0, v65
.LBB198_1538:                           ;   in Loop: Header=BB198_810 Depth=1
	s_or_b32 exec_lo, exec_lo, s11
.LBB198_1539:                           ;   in Loop: Header=BB198_810 Depth=1
	s_delay_alu instid0(SALU_CYCLE_1)
	s_or_b32 exec_lo, exec_lo, s10
.LBB198_1540:                           ;   in Loop: Header=BB198_810 Depth=1
	s_delay_alu instid0(SALU_CYCLE_1) | instskip(SKIP_4) | instid1(VALU_DEP_3)
	s_or_b32 exec_lo, exec_lo, s3
	v_lshrrev_b32_e32 v7, 16, v6
	v_mov_b64_e32 v[50:51], 0
	v_mov_b64_e32 v[18:19], 0
	s_mov_b32 s3, exec_lo
	v_and_b32_e32 v52, 0xff, v7
	s_delay_alu instid0(VALU_DEP_1)
	v_cmpx_ne_u16_e32 0, v52
	s_cbranch_execz .LBB198_1548
; %bb.1541:                             ;   in Loop: Header=BB198_810 Depth=1
	v_mov_b64_e32 v[18:19], 0x80000000
	s_mov_b32 s10, exec_lo
	v_cmpx_ne_u16_e32 0x80, v52
	s_cbranch_execz .LBB198_1547
; %bb.1542:                             ;   in Loop: Header=BB198_810 Depth=1
	v_mov_b64_e32 v[18:19], 0x7f800001
	v_bfe_u32 v52, v6, 16, 7
	s_mov_b32 s11, exec_lo
	s_delay_alu instid0(VALU_DEP_1)
	v_cmpx_ne_u32_e32 0x7f, v52
	s_cbranch_execz .LBB198_1546
; %bb.1543:                             ;   in Loop: Header=BB198_810 Depth=1
	v_dual_lshrrev_b32 v18, 3, v52 :: v_dual_bitop2_b32 v64, 7, v7 bitop3:0x40
	s_mov_b32 s16, exec_lo
	v_cmpx_gt_u32_e32 8, v52
; %bb.1544:                             ;   in Loop: Header=BB198_810 Depth=1
	s_delay_alu instid0(VALU_DEP_2) | instskip(NEXT) | instid1(VALU_DEP_1)
	v_clz_i32_u32_e32 v18, v64
	v_min_u32_e32 v18, 32, v18
	s_delay_alu instid0(VALU_DEP_1) | instskip(NEXT) | instid1(VALU_DEP_1)
	v_subrev_nc_u32_e32 v19, 28, v18
	v_lshlrev_b64_e32 v[52:53], v19, v[64:65]
	s_delay_alu instid0(VALU_DEP_1)
	v_dual_sub_nc_u32 v18, 29, v18 :: v_dual_bitop2_b32 v64, 7, v52 bitop3:0x40
; %bb.1545:                             ;   in Loop: Header=BB198_810 Depth=1
	s_or_b32 exec_lo, exec_lo, s16
	s_delay_alu instid0(VALU_DEP_1) | instskip(NEXT) | instid1(VALU_DEP_2)
	v_dual_lshlrev_b32 v7, 24, v7 :: v_dual_lshlrev_b32 v19, 20, v64
	v_lshl_add_u32 v18, v18, 23, 0x3c000000
	s_delay_alu instid0(VALU_DEP_2) | instskip(NEXT) | instid1(VALU_DEP_1)
	v_and_b32_e32 v7, 0x80000000, v7
	v_or3_b32 v64, v19, v7, v18
	s_delay_alu instid0(VALU_DEP_1)
	v_mov_b64_e32 v[18:19], v[64:65]
.LBB198_1546:                           ;   in Loop: Header=BB198_810 Depth=1
	s_or_b32 exec_lo, exec_lo, s11
.LBB198_1547:                           ;   in Loop: Header=BB198_810 Depth=1
	s_delay_alu instid0(SALU_CYCLE_1)
	s_or_b32 exec_lo, exec_lo, s10
.LBB198_1548:                           ;   in Loop: Header=BB198_810 Depth=1
	s_delay_alu instid0(SALU_CYCLE_1) | instskip(NEXT) | instid1(SALU_CYCLE_1)
	s_or_b32 exec_lo, exec_lo, s3
	s_mov_b32 s3, exec_lo
	v_cmpx_lt_u32_e32 0xffffff, v6
	s_cbranch_execz .LBB198_1556
; %bb.1549:                             ;   in Loop: Header=BB198_810 Depth=1
	v_mov_b64_e32 v[50:51], 0x8000000000000000
	v_lshrrev_b32_e32 v7, 24, v6
	s_mov_b32 s10, exec_lo
	s_delay_alu instid0(VALU_DEP_1)
	v_cmpx_ne_u32_e32 0x80, v7
	s_cbranch_execz .LBB198_1555
; %bb.1550:                             ;   in Loop: Header=BB198_810 Depth=1
	v_mov_b64_e32 v[50:51], 0x7f80000100000000
	v_bfe_u32 v52, v6, 24, 7
	s_mov_b32 s11, exec_lo
	s_delay_alu instid0(VALU_DEP_1)
	v_cmpx_ne_u32_e32 0x7f, v52
	s_cbranch_execz .LBB198_1554
; %bb.1551:                             ;   in Loop: Header=BB198_810 Depth=1
	v_dual_lshrrev_b32 v6, 3, v52 :: v_dual_bitop2_b32 v64, 7, v7 bitop3:0x40
	s_mov_b32 s16, exec_lo
	v_cmpx_gt_u32_e32 8, v52
; %bb.1552:                             ;   in Loop: Header=BB198_810 Depth=1
	s_delay_alu instid0(VALU_DEP_2) | instskip(NEXT) | instid1(VALU_DEP_1)
	v_clz_i32_u32_e32 v6, v64
	v_min_u32_e32 v6, 32, v6
	s_delay_alu instid0(VALU_DEP_1) | instskip(SKIP_1) | instid1(VALU_DEP_2)
	v_subrev_nc_u32_e32 v50, 28, v6
	v_sub_nc_u32_e32 v6, 29, v6
	v_lshlrev_b64_e32 v[50:51], v50, v[64:65]
	s_delay_alu instid0(VALU_DEP_1)
	v_and_b32_e32 v64, 7, v50
; %bb.1553:                             ;   in Loop: Header=BB198_810 Depth=1
	s_or_b32 exec_lo, exec_lo, s16
	s_delay_alu instid0(VALU_DEP_1) | instskip(SKIP_1) | instid1(VALU_DEP_2)
	v_dual_lshlrev_b32 v7, 24, v7 :: v_dual_lshlrev_b32 v50, 20, v64
	v_lshl_add_u32 v6, v6, 23, 0x3c000000
	v_and_b32_e32 v7, 0x80000000, v7
	s_delay_alu instid0(VALU_DEP_1)
	v_or3_b32 v51, v50, v7, v6
	v_mov_b32_e32 v50, v65
.LBB198_1554:                           ;   in Loop: Header=BB198_810 Depth=1
	s_or_b32 exec_lo, exec_lo, s11
.LBB198_1555:                           ;   in Loop: Header=BB198_810 Depth=1
	s_delay_alu instid0(SALU_CYCLE_1)
	s_or_b32 exec_lo, exec_lo, s10
.LBB198_1556:                           ;   in Loop: Header=BB198_810 Depth=1
	s_delay_alu instid0(SALU_CYCLE_1) | instskip(SKIP_4) | instid1(VALU_DEP_3)
	s_or_b32 exec_lo, exec_lo, s3
	v_or_b32_e32 v1, v1, v9
	v_or_b32_e32 v0, v0, v8
	;; [unrolled: 1-line block ×4, first 2 shown]
	v_pk_mul_f32 v[8:9], v[22:23], v[0:1]
	s_delay_alu instid0(VALU_DEP_2)
	v_pk_mul_f32 v[126:127], v[22:23], v[6:7]
	s_and_saveexec_b32 s3, vcc_lo
	s_cbranch_execz .LBB198_1558
; %bb.1557:                             ;   in Loop: Header=BB198_810 Depth=1
	v_cmp_lt_i32_e64 s0, v17, v16
	s_delay_alu instid0(VALU_DEP_1) | instskip(SKIP_1) | instid1(VALU_DEP_1)
	v_cndmask_b32_e64 v8, 0, v8, s0
	v_cmp_lt_i32_e64 s0, v68, v16
	v_cndmask_b32_e64 v9, 0, v9, s0
	v_cmp_lt_i32_e64 s0, v70, v16
	s_delay_alu instid0(VALU_DEP_1) | instskip(SKIP_1) | instid1(VALU_DEP_1)
	v_cndmask_b32_e64 v126, 0, v126, s0
	v_cmp_lt_i32_e64 s0, v69, v16
	v_cndmask_b32_e64 v127, 0, v127, s0
.LBB198_1558:                           ;   in Loop: Header=BB198_810 Depth=1
	s_or_b32 exec_lo, exec_lo, s3
	flat_load_b32 v6, v[54:55] offset:2816
	v_mov_b64_e32 v[0:1], 0
	v_mov_b64_e32 v[50:51], 0
	s_mov_b32 s3, exec_lo
	s_wait_loadcnt_dscnt 0x0
	v_and_b32_e32 v7, 0xff, v6
	s_wait_xcnt 0x0
	s_delay_alu instid0(VALU_DEP_1)
	v_cmpx_ne_u16_e32 0, v7
	s_cbranch_execz .LBB198_1566
; %bb.1559:                             ;   in Loop: Header=BB198_810 Depth=1
	v_mov_b64_e32 v[50:51], 0x80000000
	s_mov_b32 s10, exec_lo
	v_cmpx_ne_u16_e32 0x80, v7
	s_cbranch_execz .LBB198_1565
; %bb.1560:                             ;   in Loop: Header=BB198_810 Depth=1
	v_mov_b64_e32 v[50:51], 0x7f800001
	v_and_b32_e32 v18, 0x7f, v6
	s_mov_b32 s11, exec_lo
	s_delay_alu instid0(VALU_DEP_1)
	v_cmpx_ne_u32_e32 0x7f, v18
	s_cbranch_execz .LBB198_1564
; %bb.1561:                             ;   in Loop: Header=BB198_810 Depth=1
	v_and_b32_e32 v64, 7, v6
	v_lshrrev_b32_e32 v7, 3, v18
	s_mov_b32 s16, exec_lo
	v_cmpx_gt_u32_e32 8, v18
; %bb.1562:                             ;   in Loop: Header=BB198_810 Depth=1
	s_delay_alu instid0(VALU_DEP_3) | instskip(NEXT) | instid1(VALU_DEP_1)
	v_clz_i32_u32_e32 v7, v64
	v_min_u32_e32 v7, 32, v7
	s_delay_alu instid0(VALU_DEP_1) | instskip(NEXT) | instid1(VALU_DEP_1)
	v_subrev_nc_u32_e32 v18, 28, v7
	v_lshlrev_b64_e32 v[18:19], v18, v[64:65]
	s_delay_alu instid0(VALU_DEP_1)
	v_dual_sub_nc_u32 v7, 29, v7 :: v_dual_bitop2_b32 v64, 7, v18 bitop3:0x40
; %bb.1563:                             ;   in Loop: Header=BB198_810 Depth=1
	s_or_b32 exec_lo, exec_lo, s16
	s_delay_alu instid0(VALU_DEP_1) | instskip(NEXT) | instid1(VALU_DEP_2)
	v_dual_lshlrev_b32 v18, 24, v6 :: v_dual_lshlrev_b32 v19, 20, v64
	v_lshl_add_u32 v7, v7, 23, 0x3c000000
	s_delay_alu instid0(VALU_DEP_2) | instskip(NEXT) | instid1(VALU_DEP_1)
	v_and_b32_e32 v18, 0x80000000, v18
	v_or3_b32 v64, v19, v18, v7
	s_delay_alu instid0(VALU_DEP_1)
	v_mov_b64_e32 v[50:51], v[64:65]
.LBB198_1564:                           ;   in Loop: Header=BB198_810 Depth=1
	s_or_b32 exec_lo, exec_lo, s11
.LBB198_1565:                           ;   in Loop: Header=BB198_810 Depth=1
	s_delay_alu instid0(SALU_CYCLE_1)
	s_or_b32 exec_lo, exec_lo, s10
.LBB198_1566:                           ;   in Loop: Header=BB198_810 Depth=1
	s_delay_alu instid0(SALU_CYCLE_1) | instskip(SKIP_2) | instid1(VALU_DEP_1)
	s_or_b32 exec_lo, exec_lo, s3
	v_lshrrev_b16 v7, 8, v6
	s_mov_b32 s3, exec_lo
	v_cmpx_ne_u16_e32 0, v7
	s_cbranch_execz .LBB198_1574
; %bb.1567:                             ;   in Loop: Header=BB198_810 Depth=1
	v_mov_b64_e32 v[0:1], 0x8000000000000000
	s_mov_b32 s10, exec_lo
	v_cmpx_ne_u16_e32 0x80, v7
	s_cbranch_execz .LBB198_1573
; %bb.1568:                             ;   in Loop: Header=BB198_810 Depth=1
	v_and_b32_e32 v18, 0xffff, v7
	v_mov_b64_e32 v[0:1], 0x7f80000100000000
	s_mov_b32 s11, exec_lo
	s_delay_alu instid0(VALU_DEP_2) | instskip(NEXT) | instid1(VALU_DEP_1)
	v_and_b32_e32 v7, 0x7f, v18
	v_cmpx_ne_u32_e32 0x7f, v7
	s_cbranch_execz .LBB198_1572
; %bb.1569:                             ;   in Loop: Header=BB198_810 Depth=1
	v_dual_lshrrev_b32 v0, 3, v7 :: v_dual_bitop2_b32 v64, 7, v18 bitop3:0x40
	s_mov_b32 s16, exec_lo
	v_cmpx_gt_u32_e32 8, v7
; %bb.1570:                             ;   in Loop: Header=BB198_810 Depth=1
	s_delay_alu instid0(VALU_DEP_2) | instskip(NEXT) | instid1(VALU_DEP_1)
	v_clz_i32_u32_e32 v0, v64
	v_min_u32_e32 v0, 32, v0
	s_delay_alu instid0(VALU_DEP_1) | instskip(NEXT) | instid1(VALU_DEP_1)
	v_subrev_nc_u32_e32 v1, 28, v0
	v_lshlrev_b64_e32 v[18:19], v1, v[64:65]
	s_delay_alu instid0(VALU_DEP_1)
	v_dual_sub_nc_u32 v0, 29, v0 :: v_dual_bitop2_b32 v64, 7, v18 bitop3:0x40
; %bb.1571:                             ;   in Loop: Header=BB198_810 Depth=1
	s_or_b32 exec_lo, exec_lo, s16
	s_delay_alu instid0(VALU_DEP_1) | instskip(NEXT) | instid1(VALU_DEP_2)
	v_dual_lshlrev_b32 v1, 16, v6 :: v_dual_lshlrev_b32 v7, 20, v64
	v_lshl_add_u32 v0, v0, 23, 0x3c000000
	s_delay_alu instid0(VALU_DEP_2) | instskip(NEXT) | instid1(VALU_DEP_1)
	v_and_b32_e32 v1, 0x80000000, v1
	v_or3_b32 v1, v7, v1, v0
	v_mov_b32_e32 v0, v65
.LBB198_1572:                           ;   in Loop: Header=BB198_810 Depth=1
	s_or_b32 exec_lo, exec_lo, s11
.LBB198_1573:                           ;   in Loop: Header=BB198_810 Depth=1
	s_delay_alu instid0(SALU_CYCLE_1)
	s_or_b32 exec_lo, exec_lo, s10
.LBB198_1574:                           ;   in Loop: Header=BB198_810 Depth=1
	s_delay_alu instid0(SALU_CYCLE_1) | instskip(SKIP_4) | instid1(VALU_DEP_3)
	s_or_b32 exec_lo, exec_lo, s3
	v_lshrrev_b32_e32 v7, 16, v6
	v_mov_b64_e32 v[52:53], 0
	v_mov_b64_e32 v[18:19], 0
	s_mov_b32 s3, exec_lo
	v_and_b32_e32 v64, 0xff, v7
	s_delay_alu instid0(VALU_DEP_1)
	v_cmpx_ne_u16_e32 0, v64
	s_cbranch_execz .LBB198_1582
; %bb.1575:                             ;   in Loop: Header=BB198_810 Depth=1
	v_mov_b64_e32 v[18:19], 0x80000000
	s_mov_b32 s10, exec_lo
	v_cmpx_ne_u16_e32 0x80, v64
	s_cbranch_execz .LBB198_1581
; %bb.1576:                             ;   in Loop: Header=BB198_810 Depth=1
	v_mov_b64_e32 v[18:19], 0x7f800001
	v_bfe_u32 v71, v6, 16, 7
	s_mov_b32 s11, exec_lo
	s_delay_alu instid0(VALU_DEP_1)
	v_cmpx_ne_u32_e32 0x7f, v71
	s_cbranch_execz .LBB198_1580
; %bb.1577:                             ;   in Loop: Header=BB198_810 Depth=1
	v_and_b32_e32 v64, 7, v7
	v_lshrrev_b32_e32 v18, 3, v71
	s_mov_b32 s16, exec_lo
	v_cmpx_gt_u32_e32 8, v71
	s_cbranch_execz .LBB198_1579
; %bb.1578:                             ;   in Loop: Header=BB198_810 Depth=1
	v_clz_i32_u32_e32 v18, v64
	s_delay_alu instid0(VALU_DEP_1) | instskip(NEXT) | instid1(VALU_DEP_1)
	v_min_u32_e32 v18, 32, v18
	v_subrev_nc_u32_e32 v19, 28, v18
	s_delay_alu instid0(VALU_DEP_1) | instskip(NEXT) | instid1(VALU_DEP_1)
	v_lshlrev_b64_e32 v[80:81], v19, v[64:65]
	v_dual_sub_nc_u32 v18, 29, v18 :: v_dual_bitop2_b32 v64, 7, v80 bitop3:0x40
	scratch_load_b64 v[80:81], off, s32 offset:268 ; 8-byte Folded Reload
.LBB198_1579:                           ;   in Loop: Header=BB198_810 Depth=1
	s_wait_xcnt 0x0
	s_or_b32 exec_lo, exec_lo, s16
	v_dual_lshlrev_b32 v7, 24, v7 :: v_dual_lshlrev_b32 v19, 20, v64
	v_lshl_add_u32 v18, v18, 23, 0x3c000000
	s_delay_alu instid0(VALU_DEP_2) | instskip(NEXT) | instid1(VALU_DEP_1)
	v_and_b32_e32 v7, 0x80000000, v7
	v_or3_b32 v64, v19, v7, v18
	s_delay_alu instid0(VALU_DEP_1)
	v_mov_b64_e32 v[18:19], v[64:65]
.LBB198_1580:                           ;   in Loop: Header=BB198_810 Depth=1
	s_or_b32 exec_lo, exec_lo, s11
.LBB198_1581:                           ;   in Loop: Header=BB198_810 Depth=1
	s_delay_alu instid0(SALU_CYCLE_1)
	s_or_b32 exec_lo, exec_lo, s10
.LBB198_1582:                           ;   in Loop: Header=BB198_810 Depth=1
	s_delay_alu instid0(SALU_CYCLE_1) | instskip(NEXT) | instid1(SALU_CYCLE_1)
	s_or_b32 exec_lo, exec_lo, s3
	s_mov_b32 s3, exec_lo
	v_cmpx_lt_u32_e32 0xffffff, v6
	s_cbranch_execz .LBB198_1590
; %bb.1583:                             ;   in Loop: Header=BB198_810 Depth=1
	v_mov_b64_e32 v[52:53], 0x8000000000000000
	v_lshrrev_b32_e32 v7, 24, v6
	s_mov_b32 s10, exec_lo
	s_delay_alu instid0(VALU_DEP_1)
	v_cmpx_ne_u32_e32 0x80, v7
	s_cbranch_execz .LBB198_1589
; %bb.1584:                             ;   in Loop: Header=BB198_810 Depth=1
	v_mov_b64_e32 v[52:53], 0x7f80000100000000
	v_bfe_u32 v71, v6, 24, 7
	s_mov_b32 s11, exec_lo
	s_delay_alu instid0(VALU_DEP_1)
	v_cmpx_ne_u32_e32 0x7f, v71
	s_cbranch_execz .LBB198_1588
; %bb.1585:                             ;   in Loop: Header=BB198_810 Depth=1
	v_and_b32_e32 v64, 7, v7
	v_lshrrev_b32_e32 v6, 3, v71
	s_mov_b32 s16, exec_lo
	v_cmpx_gt_u32_e32 8, v71
; %bb.1586:                             ;   in Loop: Header=BB198_810 Depth=1
	s_delay_alu instid0(VALU_DEP_3) | instskip(NEXT) | instid1(VALU_DEP_1)
	v_clz_i32_u32_e32 v6, v64
	v_min_u32_e32 v6, 32, v6
	s_delay_alu instid0(VALU_DEP_1) | instskip(NEXT) | instid1(VALU_DEP_1)
	v_subrev_nc_u32_e32 v52, 28, v6
	v_lshlrev_b64_e32 v[52:53], v52, v[64:65]
	s_delay_alu instid0(VALU_DEP_1)
	v_dual_sub_nc_u32 v6, 29, v6 :: v_dual_bitop2_b32 v64, 7, v52 bitop3:0x40
; %bb.1587:                             ;   in Loop: Header=BB198_810 Depth=1
	s_or_b32 exec_lo, exec_lo, s16
	s_delay_alu instid0(VALU_DEP_1) | instskip(NEXT) | instid1(VALU_DEP_2)
	v_dual_lshlrev_b32 v7, 24, v7 :: v_dual_lshlrev_b32 v52, 20, v64
	v_lshl_add_u32 v6, v6, 23, 0x3c000000
	s_delay_alu instid0(VALU_DEP_2) | instskip(NEXT) | instid1(VALU_DEP_1)
	v_and_b32_e32 v7, 0x80000000, v7
	v_or3_b32 v53, v52, v7, v6
	v_mov_b32_e32 v52, v65
.LBB198_1588:                           ;   in Loop: Header=BB198_810 Depth=1
	s_or_b32 exec_lo, exec_lo, s11
.LBB198_1589:                           ;   in Loop: Header=BB198_810 Depth=1
	s_delay_alu instid0(SALU_CYCLE_1)
	s_or_b32 exec_lo, exec_lo, s10
.LBB198_1590:                           ;   in Loop: Header=BB198_810 Depth=1
	s_delay_alu instid0(SALU_CYCLE_1) | instskip(SKIP_4) | instid1(VALU_DEP_3)
	s_or_b32 exec_lo, exec_lo, s3
	v_or_b32_e32 v1, v1, v51
	v_or_b32_e32 v0, v0, v50
	;; [unrolled: 1-line block ×4, first 2 shown]
	v_pk_mul_f32 v[0:1], v[22:23], v[0:1]
	s_delay_alu instid0(VALU_DEP_2)
	v_pk_mul_f32 v[50:51], v[22:23], v[6:7]
	s_and_saveexec_b32 s3, vcc_lo
	s_cbranch_execz .LBB198_1592
; %bb.1591:                             ;   in Loop: Header=BB198_810 Depth=1
	v_cmp_lt_i32_e64 s0, v17, v16
	s_delay_alu instid0(VALU_DEP_1) | instskip(SKIP_1) | instid1(VALU_DEP_1)
	v_cndmask_b32_e64 v0, 0, v0, s0
	v_cmp_lt_i32_e64 s0, v68, v16
	v_cndmask_b32_e64 v1, 0, v1, s0
	v_cmp_lt_i32_e64 s0, v70, v16
	s_delay_alu instid0(VALU_DEP_1) | instskip(SKIP_1) | instid1(VALU_DEP_1)
	v_cndmask_b32_e64 v50, 0, v50, s0
	v_cmp_lt_i32_e64 s0, v69, v16
	v_cndmask_b32_e64 v51, 0, v51, s0
.LBB198_1592:                           ;   in Loop: Header=BB198_810 Depth=1
	s_or_b32 exec_lo, exec_lo, s3
	flat_load_b32 v69, v[54:55] offset:2944
	v_mov_b64_e32 v[52:53], 0
	s_wait_xcnt 0x0
	v_mov_b64_e32 v[54:55], 0
	s_mov_b32 s3, exec_lo
	s_wait_loadcnt_dscnt 0x0
	v_and_b32_e32 v6, 0xff, v69
	s_delay_alu instid0(VALU_DEP_1)
	v_cmpx_ne_u16_e32 0, v6
	s_cbranch_execz .LBB198_1600
; %bb.1593:                             ;   in Loop: Header=BB198_810 Depth=1
	v_mov_b64_e32 v[54:55], 0x80000000
	s_mov_b32 s10, exec_lo
	v_cmpx_ne_u16_e32 0x80, v6
	s_cbranch_execz .LBB198_1599
; %bb.1594:                             ;   in Loop: Header=BB198_810 Depth=1
	v_mov_b64_e32 v[54:55], 0x7f800001
	v_and_b32_e32 v7, 0x7f, v69
	s_mov_b32 s11, exec_lo
	s_delay_alu instid0(VALU_DEP_1)
	v_cmpx_ne_u32_e32 0x7f, v7
	s_cbranch_execz .LBB198_1598
; %bb.1595:                             ;   in Loop: Header=BB198_810 Depth=1
	v_dual_lshrrev_b32 v6, 3, v7 :: v_dual_bitop2_b32 v64, 7, v69 bitop3:0x40
	s_mov_b32 s16, exec_lo
	v_cmpx_gt_u32_e32 8, v7
; %bb.1596:                             ;   in Loop: Header=BB198_810 Depth=1
	s_delay_alu instid0(VALU_DEP_2) | instskip(NEXT) | instid1(VALU_DEP_1)
	v_clz_i32_u32_e32 v6, v64
	v_min_u32_e32 v6, 32, v6
	s_delay_alu instid0(VALU_DEP_1) | instskip(SKIP_1) | instid1(VALU_DEP_2)
	v_subrev_nc_u32_e32 v7, 28, v6
	v_sub_nc_u32_e32 v6, 29, v6
	v_lshlrev_b64_e32 v[18:19], v7, v[64:65]
	s_delay_alu instid0(VALU_DEP_1)
	v_and_b32_e32 v64, 7, v18
; %bb.1597:                             ;   in Loop: Header=BB198_810 Depth=1
	s_or_b32 exec_lo, exec_lo, s16
	s_delay_alu instid0(VALU_DEP_1) | instskip(SKIP_1) | instid1(VALU_DEP_2)
	v_dual_lshlrev_b32 v7, 24, v69 :: v_dual_lshlrev_b32 v18, 20, v64
	v_lshl_add_u32 v6, v6, 23, 0x3c000000
	v_and_b32_e32 v7, 0x80000000, v7
	s_delay_alu instid0(VALU_DEP_1) | instskip(NEXT) | instid1(VALU_DEP_1)
	v_or3_b32 v64, v18, v7, v6
	v_mov_b64_e32 v[54:55], v[64:65]
.LBB198_1598:                           ;   in Loop: Header=BB198_810 Depth=1
	s_or_b32 exec_lo, exec_lo, s11
.LBB198_1599:                           ;   in Loop: Header=BB198_810 Depth=1
	s_delay_alu instid0(SALU_CYCLE_1)
	s_or_b32 exec_lo, exec_lo, s10
.LBB198_1600:                           ;   in Loop: Header=BB198_810 Depth=1
	s_delay_alu instid0(SALU_CYCLE_1) | instskip(SKIP_2) | instid1(VALU_DEP_1)
	s_or_b32 exec_lo, exec_lo, s3
	v_lshrrev_b16 v6, 8, v69
	s_mov_b32 s3, exec_lo
	v_cmpx_ne_u16_e32 0, v6
	s_cbranch_execz .LBB198_1608
; %bb.1601:                             ;   in Loop: Header=BB198_810 Depth=1
	v_mov_b64_e32 v[52:53], 0x8000000000000000
	s_mov_b32 s10, exec_lo
	v_cmpx_ne_u16_e32 0x80, v6
	s_cbranch_execz .LBB198_1607
; %bb.1602:                             ;   in Loop: Header=BB198_810 Depth=1
	v_and_b32_e32 v6, 0xffff, v6
	v_mov_b64_e32 v[52:53], 0x7f80000100000000
	s_mov_b32 s11, exec_lo
	s_delay_alu instid0(VALU_DEP_2) | instskip(NEXT) | instid1(VALU_DEP_1)
	v_and_b32_e32 v7, 0x7f, v6
	v_cmpx_ne_u32_e32 0x7f, v7
	s_cbranch_execz .LBB198_1606
; %bb.1603:                             ;   in Loop: Header=BB198_810 Depth=1
	v_dual_lshrrev_b32 v6, 3, v7 :: v_dual_bitop2_b32 v64, 7, v6 bitop3:0x40
	s_mov_b32 s16, exec_lo
	v_cmpx_gt_u32_e32 8, v7
; %bb.1604:                             ;   in Loop: Header=BB198_810 Depth=1
	s_delay_alu instid0(VALU_DEP_2) | instskip(NEXT) | instid1(VALU_DEP_1)
	v_clz_i32_u32_e32 v6, v64
	v_min_u32_e32 v6, 32, v6
	s_delay_alu instid0(VALU_DEP_1) | instskip(SKIP_1) | instid1(VALU_DEP_2)
	v_subrev_nc_u32_e32 v7, 28, v6
	v_sub_nc_u32_e32 v6, 29, v6
	v_lshlrev_b64_e32 v[18:19], v7, v[64:65]
	s_delay_alu instid0(VALU_DEP_1)
	v_and_b32_e32 v64, 7, v18
; %bb.1605:                             ;   in Loop: Header=BB198_810 Depth=1
	s_or_b32 exec_lo, exec_lo, s16
	s_delay_alu instid0(VALU_DEP_1) | instskip(SKIP_2) | instid1(VALU_DEP_3)
	v_dual_lshlrev_b32 v7, 16, v69 :: v_dual_lshlrev_b32 v18, 20, v64
	v_lshl_add_u32 v6, v6, 23, 0x3c000000
	v_mov_b32_e32 v52, v65
	v_and_b32_e32 v7, 0x80000000, v7
	s_delay_alu instid0(VALU_DEP_1)
	v_or3_b32 v53, v18, v7, v6
.LBB198_1606:                           ;   in Loop: Header=BB198_810 Depth=1
	s_or_b32 exec_lo, exec_lo, s11
.LBB198_1607:                           ;   in Loop: Header=BB198_810 Depth=1
	s_delay_alu instid0(SALU_CYCLE_1)
	s_or_b32 exec_lo, exec_lo, s10
.LBB198_1608:                           ;   in Loop: Header=BB198_810 Depth=1
	s_delay_alu instid0(SALU_CYCLE_1) | instskip(SKIP_4) | instid1(VALU_DEP_3)
	s_or_b32 exec_lo, exec_lo, s3
	v_lshrrev_b32_e32 v70, 16, v69
	v_mov_b64_e32 v[18:19], 0
	v_mov_b64_e32 v[6:7], 0
	s_mov_b32 s3, exec_lo
	v_and_b32_e32 v64, 0xff, v70
	s_delay_alu instid0(VALU_DEP_1)
	v_cmpx_ne_u16_e32 0, v64
	s_cbranch_execz .LBB198_1616
; %bb.1609:                             ;   in Loop: Header=BB198_810 Depth=1
	v_mov_b64_e32 v[6:7], 0x80000000
	s_mov_b32 s10, exec_lo
	v_cmpx_ne_u16_e32 0x80, v64
	s_cbranch_execz .LBB198_1615
; %bb.1610:                             ;   in Loop: Header=BB198_810 Depth=1
	v_mov_b64_e32 v[6:7], 0x7f800001
	v_bfe_u32 v71, v69, 16, 7
	s_mov_b32 s11, exec_lo
	s_delay_alu instid0(VALU_DEP_1)
	v_cmpx_ne_u32_e32 0x7f, v71
	s_cbranch_execz .LBB198_1614
; %bb.1611:                             ;   in Loop: Header=BB198_810 Depth=1
	v_dual_lshrrev_b32 v6, 3, v71 :: v_dual_bitop2_b32 v64, 7, v70 bitop3:0x40
	s_mov_b32 s16, exec_lo
	v_cmpx_gt_u32_e32 8, v71
	s_cbranch_execz .LBB198_1613
; %bb.1612:                             ;   in Loop: Header=BB198_810 Depth=1
	s_delay_alu instid0(VALU_DEP_2) | instskip(NEXT) | instid1(VALU_DEP_1)
	v_clz_i32_u32_e32 v6, v64
	v_min_u32_e32 v6, 32, v6
	s_delay_alu instid0(VALU_DEP_1) | instskip(NEXT) | instid1(VALU_DEP_1)
	v_subrev_nc_u32_e32 v7, 28, v6
	v_lshlrev_b64_e32 v[80:81], v7, v[64:65]
	s_delay_alu instid0(VALU_DEP_1)
	v_dual_sub_nc_u32 v6, 29, v6 :: v_dual_bitop2_b32 v64, 7, v80 bitop3:0x40
	scratch_load_b64 v[80:81], off, s32 offset:268 ; 8-byte Folded Reload
.LBB198_1613:                           ;   in Loop: Header=BB198_810 Depth=1
	s_wait_xcnt 0x0
	s_or_b32 exec_lo, exec_lo, s16
	v_dual_lshlrev_b32 v7, 24, v70 :: v_dual_lshlrev_b32 v64, 20, v64
	v_lshl_add_u32 v6, v6, 23, 0x3c000000
	s_delay_alu instid0(VALU_DEP_2) | instskip(NEXT) | instid1(VALU_DEP_1)
	v_and_b32_e32 v7, 0x80000000, v7
	v_or3_b32 v64, v64, v7, v6
	s_delay_alu instid0(VALU_DEP_1)
	v_mov_b64_e32 v[6:7], v[64:65]
.LBB198_1614:                           ;   in Loop: Header=BB198_810 Depth=1
	s_or_b32 exec_lo, exec_lo, s11
.LBB198_1615:                           ;   in Loop: Header=BB198_810 Depth=1
	s_delay_alu instid0(SALU_CYCLE_1)
	s_or_b32 exec_lo, exec_lo, s10
.LBB198_1616:                           ;   in Loop: Header=BB198_810 Depth=1
	s_delay_alu instid0(SALU_CYCLE_1) | instskip(NEXT) | instid1(SALU_CYCLE_1)
	s_or_b32 exec_lo, exec_lo, s3
	s_mov_b32 s3, exec_lo
	v_cmpx_lt_u32_e32 0xffffff, v69
	s_cbranch_execz .LBB198_1624
; %bb.1617:                             ;   in Loop: Header=BB198_810 Depth=1
	v_mov_b64_e32 v[18:19], 0x8000000000000000
	v_lshrrev_b32_e32 v70, 24, v69
	s_mov_b32 s10, exec_lo
	s_delay_alu instid0(VALU_DEP_1)
	v_cmpx_ne_u32_e32 0x80, v70
	s_cbranch_execz .LBB198_1623
; %bb.1618:                             ;   in Loop: Header=BB198_810 Depth=1
	v_mov_b64_e32 v[18:19], 0x7f80000100000000
	v_bfe_u32 v69, v69, 24, 7
	s_mov_b32 s11, exec_lo
	s_delay_alu instid0(VALU_DEP_1)
	v_cmpx_ne_u32_e32 0x7f, v69
	s_cbranch_execz .LBB198_1622
; %bb.1619:                             ;   in Loop: Header=BB198_810 Depth=1
	v_dual_lshrrev_b32 v18, 3, v69 :: v_dual_bitop2_b32 v64, 7, v70 bitop3:0x40
	s_mov_b32 s16, exec_lo
	v_cmpx_gt_u32_e32 8, v69
	s_cbranch_execz .LBB198_1621
; %bb.1620:                             ;   in Loop: Header=BB198_810 Depth=1
	s_delay_alu instid0(VALU_DEP_2) | instskip(NEXT) | instid1(VALU_DEP_1)
	v_clz_i32_u32_e32 v18, v64
	v_min_u32_e32 v18, 32, v18
	s_delay_alu instid0(VALU_DEP_1) | instskip(SKIP_1) | instid1(VALU_DEP_1)
	v_subrev_nc_u32_e32 v19, 28, v18
	s_wait_loadcnt 0x0
	v_lshlrev_b64_e32 v[80:81], v19, v[64:65]
	s_delay_alu instid0(VALU_DEP_1)
	v_dual_sub_nc_u32 v18, 29, v18 :: v_dual_bitop2_b32 v64, 7, v80 bitop3:0x40
	scratch_load_b64 v[80:81], off, s32 offset:268 ; 8-byte Folded Reload
.LBB198_1621:                           ;   in Loop: Header=BB198_810 Depth=1
	s_wait_xcnt 0x0
	s_or_b32 exec_lo, exec_lo, s16
	v_dual_lshlrev_b32 v19, 24, v70 :: v_dual_lshlrev_b32 v64, 20, v64
	v_lshl_add_u32 v18, v18, 23, 0x3c000000
	s_delay_alu instid0(VALU_DEP_2) | instskip(NEXT) | instid1(VALU_DEP_1)
	v_and_b32_e32 v19, 0x80000000, v19
	v_or3_b32 v19, v64, v19, v18
	v_mov_b32_e32 v18, v65
.LBB198_1622:                           ;   in Loop: Header=BB198_810 Depth=1
	s_or_b32 exec_lo, exec_lo, s11
.LBB198_1623:                           ;   in Loop: Header=BB198_810 Depth=1
	s_delay_alu instid0(SALU_CYCLE_1)
	s_or_b32 exec_lo, exec_lo, s10
.LBB198_1624:                           ;   in Loop: Header=BB198_810 Depth=1
	s_delay_alu instid0(SALU_CYCLE_1) | instskip(SKIP_4) | instid1(VALU_DEP_3)
	s_or_b32 exec_lo, exec_lo, s3
	v_or_b32_e32 v53, v53, v55
	v_or_b32_e32 v52, v52, v54
	;; [unrolled: 1-line block ×4, first 2 shown]
	v_pk_mul_f32 v[52:53], v[22:23], v[52:53]
	s_delay_alu instid0(VALU_DEP_2)
	v_pk_mul_f32 v[54:55], v[22:23], v[6:7]
	s_and_saveexec_b32 s3, vcc_lo
	s_cbranch_execz .LBB198_809
; %bb.1625:                             ;   in Loop: Header=BB198_810 Depth=1
	v_cmp_lt_i32_e32 vcc_lo, v17, v16
	s_wait_loadcnt 0x0
	v_cmp_lt_i32_e64 s0, v68, v81
	v_or_b32_e32 v6, 3, v17
	v_dual_cndmask_b32 v52, 0, v52, vcc_lo :: v_dual_bitop2_b32 v7, 2, v17 bitop3:0x54
	s_delay_alu instid0(VALU_DEP_3) | instskip(NEXT) | instid1(VALU_DEP_3)
	v_cndmask_b32_e64 v53, 0, v53, s0
	v_cmp_lt_i32_e64 s0, v6, v81
	s_delay_alu instid0(VALU_DEP_3) | instskip(NEXT) | instid1(VALU_DEP_2)
	v_cmp_lt_i32_e32 vcc_lo, v7, v16
	v_dual_cndmask_b32 v55, 0, v55, s0 :: v_dual_cndmask_b32 v54, 0, v54, vcc_lo
	s_branch .LBB198_809
.LBB198_1626:
	s_or_b32 exec_lo, exec_lo, s2
	s_clause 0x1
	scratch_load_b32 v65, off, s32 offset:292
	scratch_load_b32 v10, off, s32 offset:300
	v_mov_b64_e32 v[0:1], s[6:7]
.LBB198_1627:
	s_wait_xcnt 0x0
	s_or_b32 exec_lo, exec_lo, s1
	s_wait_loadcnt 0x1
	ds_bpermute_b32 v4, v65, v36
	ds_bpermute_b32 v5, v65, v37
	v_lshl_add_u64 v[0:1], v[0:1], 2, s[8:9]
	s_wait_storecnt 0x0
	s_wait_loadcnt_dscnt 0x0
	s_barrier_signal -1
	s_barrier_wait -1
	global_load_b32 v50, v[0:1], off
	s_wait_xcnt 0x0
	ds_bpermute_b32 v0, v65, v48
	ds_bpermute_b32 v1, v65, v49
	;; [unrolled: 1-line block ×6, first 2 shown]
	v_mov_b32_e32 v51, v10
	ds_bpermute_b32 v52, v65, v14
	ds_bpermute_b32 v53, v65, v15
	;; [unrolled: 1-line block ×6, first 2 shown]
	v_pk_add_f32 v[4:5], v[36:37], v[4:5]
	ds_bpermute_b32 v36, v65, v26
	ds_bpermute_b32 v37, v65, v27
	;; [unrolled: 1-line block ×3, first 2 shown]
	s_mov_b32 s0, exec_lo
	s_wait_dscnt 0xd
	v_pk_add_f32 v[0:1], v[48:49], v[0:1]
	ds_bpermute_b32 v48, v65, v20
	s_wait_dscnt 0xc
	v_pk_add_f32 v[6:7], v[34:35], v[6:7]
	ds_bpermute_b32 v49, v65, v21
	;; [unrolled: 3-line block ×3, first 2 shown]
	ds_bpermute_b32 v9, v10, v1
	ds_bpermute_b32 v54, v51, v6
	;; [unrolled: 1-line block ×3, first 2 shown]
	s_wait_dscnt 0xd
	v_pk_add_f32 v[52:53], v[14:15], v[52:53]
	s_wait_dscnt 0xb
	v_pk_add_f32 v[2:3], v[38:39], v[2:3]
	ds_bpermute_b32 v10, v65, v32
	ds_bpermute_b32 v34, v65, v24
	;; [unrolled: 1-line block ×3, first 2 shown]
	s_wait_dscnt 0xa
	v_pk_add_f32 v[26:27], v[26:27], v[36:37]
	ds_bpermute_b32 v36, v51, v28
	ds_bpermute_b32 v37, v51, v29
	;; [unrolled: 1-line block ×4, first 2 shown]
	v_pk_add_f32 v[30:31], v[30:31], v[16:17]
	ds_bpermute_b32 v16, v65, v12
	ds_bpermute_b32 v17, v65, v13
	;; [unrolled: 1-line block ×3, first 2 shown]
	s_wait_dscnt 0xe
	v_pk_add_f32 v[48:49], v[20:21], v[48:49]
	ds_bpermute_b32 v67, v51, v27
	s_wait_dscnt 0xd
	v_pk_add_f32 v[20:21], v[0:1], v[8:9]
	scratch_load_b64 v[0:1], off, s32 offset:920 ; 8-byte Folded Reload
	s_wait_dscnt 0xb
	v_pk_add_f32 v[14:15], v[6:7], v[54:55]
	s_wait_dscnt 0xa
	v_pk_add_f32 v[10:11], v[32:33], v[10:11]
	;; [unrolled: 2-line block ×4, first 2 shown]
	scratch_load_b32 v28, off, s32 offset:284 ; 4-byte Folded Reload
	s_wait_dscnt 0x4
	v_pk_add_f32 v[18:19], v[2:3], v[18:19]
	s_wait_dscnt 0x2
	v_pk_add_f32 v[22:23], v[12:13], v[16:17]
	;; [unrolled: 2-line block ×3, first 2 shown]
	s_wait_loadcnt 0x1
	v_and_b32_e32 v27, 0x3c3, v0
	s_wait_loadcnt 0x0
	v_and_b32_e32 v26, 28, v28
	ds_bpermute_b32 v38, v51, v4
	ds_bpermute_b32 v39, v51, v5
	;; [unrolled: 1-line block ×14, first 2 shown]
	s_wait_dscnt 0xc
	v_pk_add_f32 v[16:17], v[4:5], v[38:39]
	s_wait_dscnt 0xa
	v_pk_add_f32 v[12:13], v[10:11], v[32:33]
	;; [unrolled: 2-line block ×6, first 2 shown]
	v_cmpx_ne_u32_e32 64, v27
	s_xor_b32 s0, exec_lo, s0
	s_delay_alu instid0(SALU_CYCLE_1)
	s_or_saveexec_b32 s0, s0
	s_wait_dscnt 0x0
	v_pk_add_f32 v[22:23], v[22:23], v[24:25]
	v_dual_lshrrev_b32 v24, 2, v28 :: v_dual_add_nc_u32 v25, v50, v26
	scratch_load_b32 v26, off, s32 offset:936 th:TH_LOAD_LU ; 4-byte Folded Reload
	s_wait_loadcnt 0x0
	v_mul_u32_u24_e32 v26, 0x300, v26
	s_xor_b32 exec_lo, exec_lo, s0
	s_cbranch_execz .LBB198_1629
; %bb.1628:
	s_delay_alu instid0(VALU_DEP_1) | instskip(NEXT) | instid1(VALU_DEP_1)
	v_add_nc_u32_e32 v27, v25, v26
	v_add_nc_u32_e32 v28, 0xfffffa00, v27
	;; [unrolled: 1-line block ×9, first 2 shown]
	ds_store_b32 v28, v20
	ds_store_b32 v29, v21
	;; [unrolled: 1-line block ×8, first 2 shown]
	v_add_nc_u32_e32 v28, 0xfffffb00, v27
	v_add_nc_u32_e32 v29, 0xfffffb20, v27
	;; [unrolled: 1-line block ×8, first 2 shown]
	ds_store_b32 v28, v12
	ds_store_b32 v29, v13
	;; [unrolled: 1-line block ×8, first 2 shown]
	v_add_nc_u32_e32 v28, 0xfffffc00, v27
	v_add_nc_u32_e32 v29, 0xfffffc20, v27
	;; [unrolled: 1-line block ×8, first 2 shown]
	ds_store_b32 v28, v8
	ds_store_b32 v29, v9
	;; [unrolled: 1-line block ×8, first 2 shown]
.LBB198_1629:
	s_or_b32 exec_lo, exec_lo, s0
	scratch_load_b32 v27, off, s32 offset:276 th:TH_LOAD_LU ; 4-byte Folded Reload
	v_lshlrev_b32_e32 v24, 2, v24
	s_mov_b32 s1, exec_lo
	s_delay_alu instid0(VALU_DEP_1)
	v_add3_u32 v24, v50, v26, v24
	s_wait_loadcnt 0x0
	v_cmp_eq_u32_e32 vcc_lo, 0, v27
	scratch_load_b64 v[26:27], off, s32 offset:920 ; 8-byte Folded Reload
	s_wait_loadcnt_dscnt 0x0
	s_barrier_signal -1
	s_barrier_wait -1
	v_cmpx_gt_u32_e32 64, v26
	s_cbranch_execz .LBB198_1656
; %bb.1630:
	s_and_saveexec_b32 s0, vcc_lo
	s_cbranch_execnz .LBB198_1688
; %bb.1631:
	s_or_b32 exec_lo, exec_lo, s0
	s_and_saveexec_b32 s0, vcc_lo
	s_cbranch_execnz .LBB198_1689
.LBB198_1632:
	s_or_b32 exec_lo, exec_lo, s0
	s_and_saveexec_b32 s0, vcc_lo
	s_cbranch_execnz .LBB198_1690
.LBB198_1633:
	s_or_b32 exec_lo, exec_lo, s0
	s_and_saveexec_b32 s0, vcc_lo
	s_cbranch_execnz .LBB198_1691
.LBB198_1634:
	s_or_b32 exec_lo, exec_lo, s0
	s_and_saveexec_b32 s0, vcc_lo
	s_cbranch_execnz .LBB198_1692
.LBB198_1635:
	s_or_b32 exec_lo, exec_lo, s0
	s_and_saveexec_b32 s0, vcc_lo
	s_cbranch_execnz .LBB198_1693
.LBB198_1636:
	s_or_b32 exec_lo, exec_lo, s0
	s_and_saveexec_b32 s0, vcc_lo
	s_cbranch_execnz .LBB198_1694
.LBB198_1637:
	s_or_b32 exec_lo, exec_lo, s0
	s_and_saveexec_b32 s0, vcc_lo
	s_cbranch_execnz .LBB198_1695
.LBB198_1638:
	s_or_b32 exec_lo, exec_lo, s0
	s_and_saveexec_b32 s0, vcc_lo
	s_cbranch_execnz .LBB198_1696
.LBB198_1639:
	s_or_b32 exec_lo, exec_lo, s0
	s_and_saveexec_b32 s0, vcc_lo
	s_cbranch_execnz .LBB198_1697
.LBB198_1640:
	s_or_b32 exec_lo, exec_lo, s0
	s_and_saveexec_b32 s0, vcc_lo
	s_cbranch_execnz .LBB198_1698
.LBB198_1641:
	s_or_b32 exec_lo, exec_lo, s0
	s_and_saveexec_b32 s0, vcc_lo
	s_cbranch_execnz .LBB198_1699
.LBB198_1642:
	s_or_b32 exec_lo, exec_lo, s0
	s_and_saveexec_b32 s0, vcc_lo
	s_cbranch_execnz .LBB198_1700
.LBB198_1643:
	s_or_b32 exec_lo, exec_lo, s0
	s_and_saveexec_b32 s0, vcc_lo
	s_cbranch_execnz .LBB198_1701
.LBB198_1644:
	s_or_b32 exec_lo, exec_lo, s0
	s_and_saveexec_b32 s0, vcc_lo
	s_cbranch_execnz .LBB198_1702
.LBB198_1645:
	s_or_b32 exec_lo, exec_lo, s0
	s_and_saveexec_b32 s0, vcc_lo
	s_cbranch_execnz .LBB198_1703
.LBB198_1646:
	s_or_b32 exec_lo, exec_lo, s0
	s_and_saveexec_b32 s0, vcc_lo
	s_cbranch_execnz .LBB198_1704
.LBB198_1647:
	s_or_b32 exec_lo, exec_lo, s0
	s_and_saveexec_b32 s0, vcc_lo
	s_cbranch_execnz .LBB198_1705
.LBB198_1648:
	s_or_b32 exec_lo, exec_lo, s0
	s_and_saveexec_b32 s0, vcc_lo
	s_cbranch_execnz .LBB198_1706
.LBB198_1649:
	s_or_b32 exec_lo, exec_lo, s0
	s_and_saveexec_b32 s0, vcc_lo
	s_cbranch_execnz .LBB198_1707
.LBB198_1650:
	s_or_b32 exec_lo, exec_lo, s0
	s_and_saveexec_b32 s0, vcc_lo
	s_cbranch_execnz .LBB198_1708
.LBB198_1651:
	s_or_b32 exec_lo, exec_lo, s0
	s_and_saveexec_b32 s0, vcc_lo
	s_cbranch_execnz .LBB198_1709
.LBB198_1652:
	s_or_b32 exec_lo, exec_lo, s0
	s_and_saveexec_b32 s0, vcc_lo
	s_cbranch_execnz .LBB198_1710
.LBB198_1653:
	s_or_b32 exec_lo, exec_lo, s0
	s_and_saveexec_b32 s0, vcc_lo
	s_cbranch_execz .LBB198_1655
.LBB198_1654:
	ds_load_b32 v26, v24 offset:736
	s_wait_dscnt 0x0
	v_add_f32_e32 v23, v26, v23
.LBB198_1655:
	s_or_b32 exec_lo, exec_lo, s0
.LBB198_1656:
	s_delay_alu instid0(SALU_CYCLE_1)
	s_or_b32 exec_lo, exec_lo, s1
	scratch_load_b64 v[26:27], off, s32 offset:920 ; 8-byte Folded Reload
	s_mov_b32 s1, exec_lo
	s_wait_loadcnt 0x0
	s_barrier_signal -1
	s_barrier_wait -1
	v_and_b32_e32 v26, 0x3e3, v26
	s_wait_xcnt 0x0
	s_delay_alu instid0(VALU_DEP_1)
	v_cmpx_eq_u32_e32 32, v26
	s_cbranch_execz .LBB198_1658
; %bb.1657:
	ds_store_2addr_b32 v25, v20, v21 offset1:8
	ds_store_2addr_b32 v25, v18, v19 offset0:16 offset1:24
	ds_store_2addr_b32 v25, v16, v17 offset0:32 offset1:40
	;; [unrolled: 1-line block ×11, first 2 shown]
.LBB198_1658:
	s_or_b32 exec_lo, exec_lo, s1
	scratch_load_b64 v[28:29], off, s32 offset:920 ; 8-byte Folded Reload
	s_mov_b32 s1, exec_lo
	s_wait_loadcnt_dscnt 0x0
	s_barrier_signal -1
	s_barrier_wait -1
	v_cmpx_gt_u32_e32 32, v28
	s_cbranch_execz .LBB198_1685
; %bb.1659:
	s_and_saveexec_b32 s0, vcc_lo
	s_cbranch_execnz .LBB198_1711
; %bb.1660:
	s_or_b32 exec_lo, exec_lo, s0
	s_and_saveexec_b32 s0, vcc_lo
	s_cbranch_execnz .LBB198_1712
.LBB198_1661:
	s_or_b32 exec_lo, exec_lo, s0
	s_and_saveexec_b32 s0, vcc_lo
	s_cbranch_execnz .LBB198_1713
.LBB198_1662:
	s_or_b32 exec_lo, exec_lo, s0
	s_and_saveexec_b32 s0, vcc_lo
	s_cbranch_execnz .LBB198_1714
.LBB198_1663:
	s_or_b32 exec_lo, exec_lo, s0
	s_and_saveexec_b32 s0, vcc_lo
	s_cbranch_execnz .LBB198_1715
.LBB198_1664:
	s_or_b32 exec_lo, exec_lo, s0
	s_and_saveexec_b32 s0, vcc_lo
	s_cbranch_execnz .LBB198_1716
.LBB198_1665:
	s_or_b32 exec_lo, exec_lo, s0
	s_and_saveexec_b32 s0, vcc_lo
	s_cbranch_execnz .LBB198_1717
.LBB198_1666:
	s_or_b32 exec_lo, exec_lo, s0
	s_and_saveexec_b32 s0, vcc_lo
	s_cbranch_execnz .LBB198_1718
.LBB198_1667:
	s_or_b32 exec_lo, exec_lo, s0
	s_and_saveexec_b32 s0, vcc_lo
	s_cbranch_execnz .LBB198_1719
.LBB198_1668:
	s_or_b32 exec_lo, exec_lo, s0
	s_and_saveexec_b32 s0, vcc_lo
	s_cbranch_execnz .LBB198_1720
.LBB198_1669:
	s_or_b32 exec_lo, exec_lo, s0
	s_and_saveexec_b32 s0, vcc_lo
	s_cbranch_execnz .LBB198_1721
.LBB198_1670:
	s_or_b32 exec_lo, exec_lo, s0
	s_and_saveexec_b32 s0, vcc_lo
	s_cbranch_execnz .LBB198_1722
.LBB198_1671:
	s_or_b32 exec_lo, exec_lo, s0
	s_and_saveexec_b32 s0, vcc_lo
	s_cbranch_execnz .LBB198_1723
.LBB198_1672:
	s_or_b32 exec_lo, exec_lo, s0
	s_and_saveexec_b32 s0, vcc_lo
	s_cbranch_execnz .LBB198_1724
.LBB198_1673:
	s_or_b32 exec_lo, exec_lo, s0
	s_and_saveexec_b32 s0, vcc_lo
	s_cbranch_execnz .LBB198_1725
.LBB198_1674:
	s_or_b32 exec_lo, exec_lo, s0
	s_and_saveexec_b32 s0, vcc_lo
	s_cbranch_execnz .LBB198_1726
.LBB198_1675:
	s_or_b32 exec_lo, exec_lo, s0
	s_and_saveexec_b32 s0, vcc_lo
	s_cbranch_execnz .LBB198_1727
.LBB198_1676:
	s_or_b32 exec_lo, exec_lo, s0
	s_and_saveexec_b32 s0, vcc_lo
	s_cbranch_execnz .LBB198_1728
.LBB198_1677:
	s_or_b32 exec_lo, exec_lo, s0
	s_and_saveexec_b32 s0, vcc_lo
	s_cbranch_execnz .LBB198_1729
.LBB198_1678:
	s_or_b32 exec_lo, exec_lo, s0
	s_and_saveexec_b32 s0, vcc_lo
	s_cbranch_execnz .LBB198_1730
.LBB198_1679:
	s_or_b32 exec_lo, exec_lo, s0
	s_and_saveexec_b32 s0, vcc_lo
	s_cbranch_execnz .LBB198_1731
.LBB198_1680:
	s_or_b32 exec_lo, exec_lo, s0
	s_and_saveexec_b32 s0, vcc_lo
	s_cbranch_execnz .LBB198_1732
.LBB198_1681:
	s_or_b32 exec_lo, exec_lo, s0
	s_and_saveexec_b32 s0, vcc_lo
	s_cbranch_execnz .LBB198_1733
.LBB198_1682:
	s_or_b32 exec_lo, exec_lo, s0
	s_and_saveexec_b32 s0, vcc_lo
	s_cbranch_execz .LBB198_1684
.LBB198_1683:
	ds_load_b32 v24, v24 offset:736
	s_wait_dscnt 0x0
	v_add_f32_e32 v23, v24, v23
.LBB198_1684:
	s_or_b32 exec_lo, exec_lo, s0
.LBB198_1685:
	s_delay_alu instid0(SALU_CYCLE_1)
	s_or_b32 exec_lo, exec_lo, s1
	s_mov_b32 s1, 0
	s_mov_b32 s2, exec_lo
	s_barrier_signal -1
	s_barrier_wait -1
	v_cmpx_eq_u32_e32 0, v26
	s_cbranch_execz .LBB198_1687
; %bb.1686:
	s_clause 0x1
	scratch_load_b64 v[24:25], off, s32 offset:940 th:TH_LOAD_LU
	scratch_load_b64 v[26:27], off, s32 offset:920 th:TH_LOAD_LU
	s_and_b32 s0, 0xffff, s15
	s_wait_loadcnt 0x0
	v_mov_b32_e32 v27, 0
	s_cmp_lg_u32 s0, 0
	s_cselect_b32 s0, -1, 0
	s_delay_alu instid0(SALU_CYCLE_1)
	s_cmp_lg_u32 s0, 0
	s_wait_kmcnt 0x0
	s_add_co_ci_u32 s0, s5, 0
	s_bfe_u32 s8, ttmp6, 0x40014
	s_mul_i32 s5, s0, s13
	s_lshr_b32 s3, ttmp7, 16
	s_mul_i32 s5, s5, s14
	s_add_co_i32 s8, s8, 1
	s_mul_i32 s6, s5, 0xc0
	s_bfe_u32 s9, ttmp6, 0x40008
	s_ashr_i32 s7, s6, 31
	s_mul_i32 s4, s4, s0
	s_mul_i32 s0, s3, s8
	s_ashr_i32 s5, s4, 31
	s_add_co_i32 s9, s9, s0
	s_cmp_eq_u32 s12, 0
	s_cselect_b32 s0, s3, s9
	s_delay_alu instid0(SALU_CYCLE_1) | instskip(SKIP_1) | instid1(VALU_DEP_1)
	s_mulk_i32 s0, 0x300
	v_lshl_add_u64 v[24:25], s[6:7], 2, v[24:25]
	v_lshl_add_u64 v[24:25], s[4:5], 2, v[24:25]
	s_delay_alu instid0(VALU_DEP_1) | instskip(NEXT) | instid1(VALU_DEP_1)
	v_add_nc_u64_e32 v[24:25], s[0:1], v[24:25]
	v_add_nc_u64_e32 v[24:25], v[24:25], v[26:27]
	s_clause 0x17
	flat_store_b32 v[24:25], v20
	flat_store_b32 v[24:25], v21 offset:32
	flat_store_b32 v[24:25], v18 offset:64
	;; [unrolled: 1-line block ×23, first 2 shown]
.LBB198_1687:
	s_wait_xcnt 0x0
	s_or_b32 exec_lo, exec_lo, s2
	s_clause 0x2f
	scratch_load_b32 v127, off, s32
	scratch_load_b32 v126, off, s32 offset:4
	scratch_load_b32 v125, off, s32 offset:8
	;; [unrolled: 1-line block ×47, first 2 shown]
	s_wait_loadcnt_dscnt 0x0
	s_wait_kmcnt 0x0
	s_set_pc_i64 s[30:31]
.LBB198_1688:
	ds_load_b32 v26, v24
	s_wait_dscnt 0x0
	v_add_f32_e32 v20, v26, v20
	s_or_b32 exec_lo, exec_lo, s0
	s_and_saveexec_b32 s0, vcc_lo
	s_cbranch_execz .LBB198_1632
.LBB198_1689:
	ds_load_b32 v26, v24 offset:32
	s_wait_dscnt 0x0
	v_add_f32_e32 v21, v26, v21
	s_or_b32 exec_lo, exec_lo, s0
	s_and_saveexec_b32 s0, vcc_lo
	s_cbranch_execz .LBB198_1633
.LBB198_1690:
	ds_load_b32 v26, v24 offset:64
	s_wait_dscnt 0x0
	v_add_f32_e32 v18, v26, v18
	s_or_b32 exec_lo, exec_lo, s0
	s_and_saveexec_b32 s0, vcc_lo
	s_cbranch_execz .LBB198_1634
.LBB198_1691:
	ds_load_b32 v26, v24 offset:96
	s_wait_dscnt 0x0
	v_add_f32_e32 v19, v26, v19
	s_or_b32 exec_lo, exec_lo, s0
	s_and_saveexec_b32 s0, vcc_lo
	s_cbranch_execz .LBB198_1635
.LBB198_1692:
	ds_load_b32 v26, v24 offset:128
	s_wait_dscnt 0x0
	v_add_f32_e32 v16, v26, v16
	s_or_b32 exec_lo, exec_lo, s0
	s_and_saveexec_b32 s0, vcc_lo
	s_cbranch_execz .LBB198_1636
.LBB198_1693:
	ds_load_b32 v26, v24 offset:160
	s_wait_dscnt 0x0
	v_add_f32_e32 v17, v26, v17
	s_or_b32 exec_lo, exec_lo, s0
	s_and_saveexec_b32 s0, vcc_lo
	s_cbranch_execz .LBB198_1637
.LBB198_1694:
	ds_load_b32 v26, v24 offset:192
	s_wait_dscnt 0x0
	v_add_f32_e32 v14, v26, v14
	s_or_b32 exec_lo, exec_lo, s0
	s_and_saveexec_b32 s0, vcc_lo
	s_cbranch_execz .LBB198_1638
.LBB198_1695:
	ds_load_b32 v26, v24 offset:224
	s_wait_dscnt 0x0
	v_add_f32_e32 v15, v26, v15
	s_or_b32 exec_lo, exec_lo, s0
	s_and_saveexec_b32 s0, vcc_lo
	s_cbranch_execz .LBB198_1639
.LBB198_1696:
	ds_load_b32 v26, v24 offset:256
	s_wait_dscnt 0x0
	v_add_f32_e32 v12, v26, v12
	s_or_b32 exec_lo, exec_lo, s0
	s_and_saveexec_b32 s0, vcc_lo
	s_cbranch_execz .LBB198_1640
.LBB198_1697:
	ds_load_b32 v26, v24 offset:288
	s_wait_dscnt 0x0
	v_add_f32_e32 v13, v26, v13
	s_or_b32 exec_lo, exec_lo, s0
	s_and_saveexec_b32 s0, vcc_lo
	s_cbranch_execz .LBB198_1641
.LBB198_1698:
	ds_load_b32 v26, v24 offset:320
	s_wait_dscnt 0x0
	v_add_f32_e32 v10, v26, v10
	s_or_b32 exec_lo, exec_lo, s0
	s_and_saveexec_b32 s0, vcc_lo
	s_cbranch_execz .LBB198_1642
.LBB198_1699:
	ds_load_b32 v26, v24 offset:352
	s_wait_dscnt 0x0
	v_add_f32_e32 v11, v26, v11
	s_or_b32 exec_lo, exec_lo, s0
	s_and_saveexec_b32 s0, vcc_lo
	s_cbranch_execz .LBB198_1643
.LBB198_1700:
	ds_load_b32 v26, v24 offset:384
	s_wait_dscnt 0x0
	v_add_f32_e32 v6, v26, v6
	s_or_b32 exec_lo, exec_lo, s0
	s_and_saveexec_b32 s0, vcc_lo
	s_cbranch_execz .LBB198_1644
.LBB198_1701:
	ds_load_b32 v26, v24 offset:416
	s_wait_dscnt 0x0
	v_add_f32_e32 v7, v26, v7
	s_or_b32 exec_lo, exec_lo, s0
	s_and_saveexec_b32 s0, vcc_lo
	s_cbranch_execz .LBB198_1645
.LBB198_1702:
	ds_load_b32 v26, v24 offset:448
	s_wait_dscnt 0x0
	v_add_f32_e32 v2, v26, v2
	s_or_b32 exec_lo, exec_lo, s0
	s_and_saveexec_b32 s0, vcc_lo
	s_cbranch_execz .LBB198_1646
.LBB198_1703:
	ds_load_b32 v26, v24 offset:480
	s_wait_dscnt 0x0
	v_add_f32_e32 v3, v26, v3
	s_or_b32 exec_lo, exec_lo, s0
	s_and_saveexec_b32 s0, vcc_lo
	s_cbranch_execz .LBB198_1647
.LBB198_1704:
	ds_load_b32 v26, v24 offset:512
	s_wait_dscnt 0x0
	v_add_f32_e32 v8, v26, v8
	s_or_b32 exec_lo, exec_lo, s0
	s_and_saveexec_b32 s0, vcc_lo
	s_cbranch_execz .LBB198_1648
.LBB198_1705:
	ds_load_b32 v26, v24 offset:544
	s_wait_dscnt 0x0
	v_add_f32_e32 v9, v26, v9
	s_or_b32 exec_lo, exec_lo, s0
	s_and_saveexec_b32 s0, vcc_lo
	s_cbranch_execz .LBB198_1649
.LBB198_1706:
	ds_load_b32 v26, v24 offset:576
	s_wait_dscnt 0x0
	v_add_f32_e32 v4, v26, v4
	s_or_b32 exec_lo, exec_lo, s0
	s_and_saveexec_b32 s0, vcc_lo
	s_cbranch_execz .LBB198_1650
.LBB198_1707:
	ds_load_b32 v26, v24 offset:608
	s_wait_dscnt 0x0
	v_add_f32_e32 v5, v26, v5
	s_or_b32 exec_lo, exec_lo, s0
	s_and_saveexec_b32 s0, vcc_lo
	s_cbranch_execz .LBB198_1651
.LBB198_1708:
	ds_load_b32 v26, v24 offset:640
	s_wait_dscnt 0x0
	v_add_f32_e32 v0, v26, v0
	s_or_b32 exec_lo, exec_lo, s0
	s_and_saveexec_b32 s0, vcc_lo
	s_cbranch_execz .LBB198_1652
.LBB198_1709:
	ds_load_b32 v26, v24 offset:672
	s_wait_dscnt 0x0
	v_add_f32_e32 v1, v26, v1
	s_or_b32 exec_lo, exec_lo, s0
	s_and_saveexec_b32 s0, vcc_lo
	s_cbranch_execz .LBB198_1653
.LBB198_1710:
	ds_load_b32 v26, v24 offset:704
	s_wait_dscnt 0x0
	v_add_f32_e32 v22, v26, v22
	s_or_b32 exec_lo, exec_lo, s0
	s_and_saveexec_b32 s0, vcc_lo
	s_cbranch_execnz .LBB198_1654
	s_branch .LBB198_1655
.LBB198_1711:
	ds_load_b32 v25, v24
	s_wait_dscnt 0x0
	v_add_f32_e32 v20, v25, v20
	s_or_b32 exec_lo, exec_lo, s0
	s_and_saveexec_b32 s0, vcc_lo
	s_cbranch_execz .LBB198_1661
.LBB198_1712:
	ds_load_b32 v25, v24 offset:32
	s_wait_dscnt 0x0
	v_add_f32_e32 v21, v25, v21
	s_or_b32 exec_lo, exec_lo, s0
	s_and_saveexec_b32 s0, vcc_lo
	s_cbranch_execz .LBB198_1662
.LBB198_1713:
	ds_load_b32 v25, v24 offset:64
	s_wait_dscnt 0x0
	v_add_f32_e32 v18, v25, v18
	s_or_b32 exec_lo, exec_lo, s0
	s_and_saveexec_b32 s0, vcc_lo
	s_cbranch_execz .LBB198_1663
.LBB198_1714:
	ds_load_b32 v25, v24 offset:96
	s_wait_dscnt 0x0
	v_add_f32_e32 v19, v25, v19
	s_or_b32 exec_lo, exec_lo, s0
	s_and_saveexec_b32 s0, vcc_lo
	s_cbranch_execz .LBB198_1664
.LBB198_1715:
	ds_load_b32 v25, v24 offset:128
	s_wait_dscnt 0x0
	v_add_f32_e32 v16, v25, v16
	s_or_b32 exec_lo, exec_lo, s0
	s_and_saveexec_b32 s0, vcc_lo
	s_cbranch_execz .LBB198_1665
.LBB198_1716:
	ds_load_b32 v25, v24 offset:160
	s_wait_dscnt 0x0
	v_add_f32_e32 v17, v25, v17
	s_or_b32 exec_lo, exec_lo, s0
	s_and_saveexec_b32 s0, vcc_lo
	s_cbranch_execz .LBB198_1666
.LBB198_1717:
	ds_load_b32 v25, v24 offset:192
	s_wait_dscnt 0x0
	v_add_f32_e32 v14, v25, v14
	s_or_b32 exec_lo, exec_lo, s0
	s_and_saveexec_b32 s0, vcc_lo
	s_cbranch_execz .LBB198_1667
.LBB198_1718:
	ds_load_b32 v25, v24 offset:224
	s_wait_dscnt 0x0
	v_add_f32_e32 v15, v25, v15
	s_or_b32 exec_lo, exec_lo, s0
	s_and_saveexec_b32 s0, vcc_lo
	s_cbranch_execz .LBB198_1668
.LBB198_1719:
	ds_load_b32 v25, v24 offset:256
	s_wait_dscnt 0x0
	v_add_f32_e32 v12, v25, v12
	s_or_b32 exec_lo, exec_lo, s0
	s_and_saveexec_b32 s0, vcc_lo
	s_cbranch_execz .LBB198_1669
.LBB198_1720:
	ds_load_b32 v25, v24 offset:288
	s_wait_dscnt 0x0
	v_add_f32_e32 v13, v25, v13
	s_or_b32 exec_lo, exec_lo, s0
	s_and_saveexec_b32 s0, vcc_lo
	s_cbranch_execz .LBB198_1670
.LBB198_1721:
	ds_load_b32 v25, v24 offset:320
	s_wait_dscnt 0x0
	v_add_f32_e32 v10, v25, v10
	s_or_b32 exec_lo, exec_lo, s0
	s_and_saveexec_b32 s0, vcc_lo
	s_cbranch_execz .LBB198_1671
.LBB198_1722:
	ds_load_b32 v25, v24 offset:352
	s_wait_dscnt 0x0
	v_add_f32_e32 v11, v25, v11
	s_or_b32 exec_lo, exec_lo, s0
	s_and_saveexec_b32 s0, vcc_lo
	s_cbranch_execz .LBB198_1672
.LBB198_1723:
	ds_load_b32 v25, v24 offset:384
	s_wait_dscnt 0x0
	v_add_f32_e32 v6, v25, v6
	s_or_b32 exec_lo, exec_lo, s0
	s_and_saveexec_b32 s0, vcc_lo
	s_cbranch_execz .LBB198_1673
.LBB198_1724:
	ds_load_b32 v25, v24 offset:416
	s_wait_dscnt 0x0
	v_add_f32_e32 v7, v25, v7
	s_or_b32 exec_lo, exec_lo, s0
	s_and_saveexec_b32 s0, vcc_lo
	s_cbranch_execz .LBB198_1674
.LBB198_1725:
	ds_load_b32 v25, v24 offset:448
	s_wait_dscnt 0x0
	v_add_f32_e32 v2, v25, v2
	s_or_b32 exec_lo, exec_lo, s0
	s_and_saveexec_b32 s0, vcc_lo
	s_cbranch_execz .LBB198_1675
.LBB198_1726:
	ds_load_b32 v25, v24 offset:480
	s_wait_dscnt 0x0
	v_add_f32_e32 v3, v25, v3
	s_or_b32 exec_lo, exec_lo, s0
	s_and_saveexec_b32 s0, vcc_lo
	s_cbranch_execz .LBB198_1676
.LBB198_1727:
	ds_load_b32 v25, v24 offset:512
	s_wait_dscnt 0x0
	v_add_f32_e32 v8, v25, v8
	s_or_b32 exec_lo, exec_lo, s0
	s_and_saveexec_b32 s0, vcc_lo
	s_cbranch_execz .LBB198_1677
.LBB198_1728:
	ds_load_b32 v25, v24 offset:544
	s_wait_dscnt 0x0
	v_add_f32_e32 v9, v25, v9
	s_or_b32 exec_lo, exec_lo, s0
	s_and_saveexec_b32 s0, vcc_lo
	s_cbranch_execz .LBB198_1678
.LBB198_1729:
	ds_load_b32 v25, v24 offset:576
	s_wait_dscnt 0x0
	v_add_f32_e32 v4, v25, v4
	s_or_b32 exec_lo, exec_lo, s0
	s_and_saveexec_b32 s0, vcc_lo
	s_cbranch_execz .LBB198_1679
.LBB198_1730:
	ds_load_b32 v25, v24 offset:608
	s_wait_dscnt 0x0
	v_add_f32_e32 v5, v25, v5
	s_or_b32 exec_lo, exec_lo, s0
	s_and_saveexec_b32 s0, vcc_lo
	s_cbranch_execz .LBB198_1680
.LBB198_1731:
	ds_load_b32 v25, v24 offset:640
	s_wait_dscnt 0x0
	v_add_f32_e32 v0, v25, v0
	s_or_b32 exec_lo, exec_lo, s0
	s_and_saveexec_b32 s0, vcc_lo
	s_cbranch_execz .LBB198_1681
.LBB198_1732:
	ds_load_b32 v25, v24 offset:672
	s_wait_dscnt 0x0
	v_add_f32_e32 v1, v25, v1
	s_or_b32 exec_lo, exec_lo, s0
	s_and_saveexec_b32 s0, vcc_lo
	s_cbranch_execz .LBB198_1682
.LBB198_1733:
	ds_load_b32 v25, v24 offset:704
	s_wait_dscnt 0x0
	v_add_f32_e32 v22, v25, v22
	s_or_b32 exec_lo, exec_lo, s0
	s_and_saveexec_b32 s0, vcc_lo
	s_cbranch_execnz .LBB198_1683
	s_branch .LBB198_1684
.Lfunc_end198:
	.size	_ZN4vllm22paged_attention_kernelIfhLi192ELi16ELi128ELNS_18Fp8KVCacheDataTypeE1ELb0ELi0EEEvPfS2_PT_PKS3_PKT0_S9_ifPKiSB_iPKfiiiSD_SD_iiiii, .Lfunc_end198-_ZN4vllm22paged_attention_kernelIfhLi192ELi16ELi128ELNS_18Fp8KVCacheDataTypeE1ELb0ELi0EEEvPfS2_PT_PKS3_PKT0_S9_ifPKiSB_iPKfiiiSD_SD_iiiii
                                        ; -- End function
	.set .L_ZN4vllm22paged_attention_kernelIfhLi192ELi16ELi128ELNS_18Fp8KVCacheDataTypeE1ELb0ELi0EEEvPfS2_PT_PKS3_PKT0_S9_ifPKiSB_iPKfiiiSD_SD_iiiii.num_vgpr, 128
	.set .L_ZN4vllm22paged_attention_kernelIfhLi192ELi16ELi128ELNS_18Fp8KVCacheDataTypeE1ELb0ELi0EEEvPfS2_PT_PKS3_PKT0_S9_ifPKiSB_iPKfiiiSD_SD_iiiii.num_agpr, 0
	.set .L_ZN4vllm22paged_attention_kernelIfhLi192ELi16ELi128ELNS_18Fp8KVCacheDataTypeE1ELb0ELi0EEEvPfS2_PT_PKS3_PKT0_S9_ifPKiSB_iPKfiiiSD_SD_iiiii.numbered_sgpr, 33
	.set .L_ZN4vllm22paged_attention_kernelIfhLi192ELi16ELi128ELNS_18Fp8KVCacheDataTypeE1ELb0ELi0EEEvPfS2_PT_PKS3_PKT0_S9_ifPKiSB_iPKfiiiSD_SD_iiiii.num_named_barrier, 0
	.set .L_ZN4vllm22paged_attention_kernelIfhLi192ELi16ELi128ELNS_18Fp8KVCacheDataTypeE1ELb0ELi0EEEvPfS2_PT_PKS3_PKT0_S9_ifPKiSB_iPKfiiiSD_SD_iiiii.private_seg_size, 1004
	.set .L_ZN4vllm22paged_attention_kernelIfhLi192ELi16ELi128ELNS_18Fp8KVCacheDataTypeE1ELb0ELi0EEEvPfS2_PT_PKS3_PKT0_S9_ifPKiSB_iPKfiiiSD_SD_iiiii.uses_vcc, 1
	.set .L_ZN4vllm22paged_attention_kernelIfhLi192ELi16ELi128ELNS_18Fp8KVCacheDataTypeE1ELb0ELi0EEEvPfS2_PT_PKS3_PKT0_S9_ifPKiSB_iPKfiiiSD_SD_iiiii.uses_flat_scratch, 1
	.set .L_ZN4vllm22paged_attention_kernelIfhLi192ELi16ELi128ELNS_18Fp8KVCacheDataTypeE1ELb0ELi0EEEvPfS2_PT_PKS3_PKT0_S9_ifPKiSB_iPKfiiiSD_SD_iiiii.has_dyn_sized_stack, 0
	.set .L_ZN4vllm22paged_attention_kernelIfhLi192ELi16ELi128ELNS_18Fp8KVCacheDataTypeE1ELb0ELi0EEEvPfS2_PT_PKS3_PKT0_S9_ifPKiSB_iPKfiiiSD_SD_iiiii.has_recursion, 0
	.set .L_ZN4vllm22paged_attention_kernelIfhLi192ELi16ELi128ELNS_18Fp8KVCacheDataTypeE1ELb0ELi0EEEvPfS2_PT_PKS3_PKT0_S9_ifPKiSB_iPKfiiiSD_SD_iiiii.has_indirect_call, 0
	.section	.AMDGPU.csdata,"",@progbits
; Function info:
; codeLenInByte = 65136
; TotalNumSgprs: 35
; NumVgprs: 128
; ScratchSize: 1004
; MemoryBound: 0
	.section	.text._ZN4vllm25paged_attention_v1_kernelIfhLi192ELi16ELi128ELNS_18Fp8KVCacheDataTypeE1ELb0EEEvPT_PKS2_PKT0_S8_ifPKiSA_iPKfiiiSC_SC_iiiii,"axG",@progbits,_ZN4vllm25paged_attention_v1_kernelIfhLi192ELi16ELi128ELNS_18Fp8KVCacheDataTypeE1ELb0EEEvPT_PKS2_PKT0_S8_ifPKiSA_iPKfiiiSC_SC_iiiii,comdat
	.protected	_ZN4vllm25paged_attention_v1_kernelIfhLi192ELi16ELi128ELNS_18Fp8KVCacheDataTypeE1ELb0EEEvPT_PKS2_PKT0_S8_ifPKiSA_iPKfiiiSC_SC_iiiii ; -- Begin function _ZN4vllm25paged_attention_v1_kernelIfhLi192ELi16ELi128ELNS_18Fp8KVCacheDataTypeE1ELb0EEEvPT_PKS2_PKT0_S8_ifPKiSA_iPKfiiiSC_SC_iiiii
	.globl	_ZN4vllm25paged_attention_v1_kernelIfhLi192ELi16ELi128ELNS_18Fp8KVCacheDataTypeE1ELb0EEEvPT_PKS2_PKT0_S8_ifPKiSA_iPKfiiiSC_SC_iiiii
	.p2align	8
	.type	_ZN4vllm25paged_attention_v1_kernelIfhLi192ELi16ELi128ELNS_18Fp8KVCacheDataTypeE1ELb0EEEvPT_PKS2_PKT0_S8_ifPKiSA_iPKfiiiSC_SC_iiiii,@function
_ZN4vllm25paged_attention_v1_kernelIfhLi192ELi16ELi128ELNS_18Fp8KVCacheDataTypeE1ELb0EEEvPT_PKS2_PKT0_S8_ifPKiSA_iPKfiiiSC_SC_iiiii: ; @_ZN4vllm25paged_attention_v1_kernelIfhLi192ELi16ELi128ELNS_18Fp8KVCacheDataTypeE1ELb0EEEvPT_PKS2_PKT0_S8_ifPKiSA_iPKfiiiSC_SC_iiiii
; %bb.0:
	s_clause 0x5
	s_load_b256 s[12:19], s[0:1], 0x0
	s_load_b128 s[4:7], s[0:1], 0x20
	s_load_b96 s[20:22], s[0:1], 0x30
	s_load_b64 s[10:11], s[0:1], 0x40
	s_load_b96 s[28:30], s[0:1], 0x48
	s_load_b128 s[24:27], s[0:1], 0x58
	v_mov_b32_e32 v31, v0
	s_get_pc_i64 s[2:3]
	s_add_nc_u64 s[2:3], s[2:3], _ZN4vllm22paged_attention_kernelIfhLi192ELi16ELi128ELNS_18Fp8KVCacheDataTypeE1ELb0ELi0EEEvPfS2_PT_PKS3_PKT0_S9_ifPKiSB_iPKfiiiSD_SD_iiiii@rel64+4
	s_add_nc_u64 s[8:9], s[0:1], 0x80
	s_mov_b32 s32, 0
	s_wait_kmcnt 0x0
	v_dual_mov_b32 v0, s12 :: v_dual_mov_b32 v1, s13
	v_dual_mov_b32 v2, s14 :: v_dual_mov_b32 v3, s15
	;; [unrolled: 1-line block ×12, first 2 shown]
	s_mov_b32 s15, 22
	s_swap_pc_i64 s[30:31], s[2:3]
	s_endpgm
	.section	.rodata,"a",@progbits
	.p2align	6, 0x0
	.amdhsa_kernel _ZN4vllm25paged_attention_v1_kernelIfhLi192ELi16ELi128ELNS_18Fp8KVCacheDataTypeE1ELb0EEEvPT_PKS2_PKT0_S8_ifPKiSA_iPKfiiiSC_SC_iiiii
		.amdhsa_group_segment_fixed_size 800
		.amdhsa_private_segment_fixed_size 1004
		.amdhsa_kernarg_size 384
		.amdhsa_user_sgpr_count 2
		.amdhsa_user_sgpr_dispatch_ptr 0
		.amdhsa_user_sgpr_queue_ptr 0
		.amdhsa_user_sgpr_kernarg_segment_ptr 1
		.amdhsa_user_sgpr_dispatch_id 0
		.amdhsa_user_sgpr_kernarg_preload_length 0
		.amdhsa_user_sgpr_kernarg_preload_offset 0
		.amdhsa_user_sgpr_private_segment_size 0
		.amdhsa_wavefront_size32 1
		.amdhsa_uses_dynamic_stack 0
		.amdhsa_enable_private_segment 1
		.amdhsa_system_sgpr_workgroup_id_x 1
		.amdhsa_system_sgpr_workgroup_id_y 1
		.amdhsa_system_sgpr_workgroup_id_z 1
		.amdhsa_system_sgpr_workgroup_info 0
		.amdhsa_system_vgpr_workitem_id 0
		.amdhsa_next_free_vgpr 128
		.amdhsa_next_free_sgpr 33
		.amdhsa_named_barrier_count 0
		.amdhsa_reserve_vcc 1
		.amdhsa_float_round_mode_32 0
		.amdhsa_float_round_mode_16_64 0
		.amdhsa_float_denorm_mode_32 3
		.amdhsa_float_denorm_mode_16_64 3
		.amdhsa_fp16_overflow 0
		.amdhsa_memory_ordered 1
		.amdhsa_forward_progress 1
		.amdhsa_inst_pref_size 2
		.amdhsa_round_robin_scheduling 0
		.amdhsa_exception_fp_ieee_invalid_op 0
		.amdhsa_exception_fp_denorm_src 0
		.amdhsa_exception_fp_ieee_div_zero 0
		.amdhsa_exception_fp_ieee_overflow 0
		.amdhsa_exception_fp_ieee_underflow 0
		.amdhsa_exception_fp_ieee_inexact 0
		.amdhsa_exception_int_div_zero 0
	.end_amdhsa_kernel
	.section	.text._ZN4vllm25paged_attention_v1_kernelIfhLi192ELi16ELi128ELNS_18Fp8KVCacheDataTypeE1ELb0EEEvPT_PKS2_PKT0_S8_ifPKiSA_iPKfiiiSC_SC_iiiii,"axG",@progbits,_ZN4vllm25paged_attention_v1_kernelIfhLi192ELi16ELi128ELNS_18Fp8KVCacheDataTypeE1ELb0EEEvPT_PKS2_PKT0_S8_ifPKiSA_iPKfiiiSC_SC_iiiii,comdat
.Lfunc_end199:
	.size	_ZN4vllm25paged_attention_v1_kernelIfhLi192ELi16ELi128ELNS_18Fp8KVCacheDataTypeE1ELb0EEEvPT_PKS2_PKT0_S8_ifPKiSA_iPKfiiiSC_SC_iiiii, .Lfunc_end199-_ZN4vllm25paged_attention_v1_kernelIfhLi192ELi16ELi128ELNS_18Fp8KVCacheDataTypeE1ELb0EEEvPT_PKS2_PKT0_S8_ifPKiSA_iPKfiiiSC_SC_iiiii
                                        ; -- End function
	.set _ZN4vllm25paged_attention_v1_kernelIfhLi192ELi16ELi128ELNS_18Fp8KVCacheDataTypeE1ELb0EEEvPT_PKS2_PKT0_S8_ifPKiSA_iPKfiiiSC_SC_iiiii.num_vgpr, max(32, .L_ZN4vllm22paged_attention_kernelIfhLi192ELi16ELi128ELNS_18Fp8KVCacheDataTypeE1ELb0ELi0EEEvPfS2_PT_PKS3_PKT0_S9_ifPKiSB_iPKfiiiSD_SD_iiiii.num_vgpr)
	.set _ZN4vllm25paged_attention_v1_kernelIfhLi192ELi16ELi128ELNS_18Fp8KVCacheDataTypeE1ELb0EEEvPT_PKS2_PKT0_S8_ifPKiSA_iPKfiiiSC_SC_iiiii.num_agpr, max(0, .L_ZN4vllm22paged_attention_kernelIfhLi192ELi16ELi128ELNS_18Fp8KVCacheDataTypeE1ELb0ELi0EEEvPfS2_PT_PKS3_PKT0_S9_ifPKiSB_iPKfiiiSD_SD_iiiii.num_agpr)
	.set _ZN4vllm25paged_attention_v1_kernelIfhLi192ELi16ELi128ELNS_18Fp8KVCacheDataTypeE1ELb0EEEvPT_PKS2_PKT0_S8_ifPKiSA_iPKfiiiSC_SC_iiiii.numbered_sgpr, max(33, .L_ZN4vllm22paged_attention_kernelIfhLi192ELi16ELi128ELNS_18Fp8KVCacheDataTypeE1ELb0ELi0EEEvPfS2_PT_PKS3_PKT0_S9_ifPKiSB_iPKfiiiSD_SD_iiiii.numbered_sgpr)
	.set _ZN4vllm25paged_attention_v1_kernelIfhLi192ELi16ELi128ELNS_18Fp8KVCacheDataTypeE1ELb0EEEvPT_PKS2_PKT0_S8_ifPKiSA_iPKfiiiSC_SC_iiiii.num_named_barrier, max(0, .L_ZN4vllm22paged_attention_kernelIfhLi192ELi16ELi128ELNS_18Fp8KVCacheDataTypeE1ELb0ELi0EEEvPfS2_PT_PKS3_PKT0_S9_ifPKiSB_iPKfiiiSD_SD_iiiii.num_named_barrier)
	.set _ZN4vllm25paged_attention_v1_kernelIfhLi192ELi16ELi128ELNS_18Fp8KVCacheDataTypeE1ELb0EEEvPT_PKS2_PKT0_S8_ifPKiSA_iPKfiiiSC_SC_iiiii.private_seg_size, 0+max(.L_ZN4vllm22paged_attention_kernelIfhLi192ELi16ELi128ELNS_18Fp8KVCacheDataTypeE1ELb0ELi0EEEvPfS2_PT_PKS3_PKT0_S9_ifPKiSB_iPKfiiiSD_SD_iiiii.private_seg_size)
	.set _ZN4vllm25paged_attention_v1_kernelIfhLi192ELi16ELi128ELNS_18Fp8KVCacheDataTypeE1ELb0EEEvPT_PKS2_PKT0_S8_ifPKiSA_iPKfiiiSC_SC_iiiii.uses_vcc, or(1, .L_ZN4vllm22paged_attention_kernelIfhLi192ELi16ELi128ELNS_18Fp8KVCacheDataTypeE1ELb0ELi0EEEvPfS2_PT_PKS3_PKT0_S9_ifPKiSB_iPKfiiiSD_SD_iiiii.uses_vcc)
	.set _ZN4vllm25paged_attention_v1_kernelIfhLi192ELi16ELi128ELNS_18Fp8KVCacheDataTypeE1ELb0EEEvPT_PKS2_PKT0_S8_ifPKiSA_iPKfiiiSC_SC_iiiii.uses_flat_scratch, or(0, .L_ZN4vllm22paged_attention_kernelIfhLi192ELi16ELi128ELNS_18Fp8KVCacheDataTypeE1ELb0ELi0EEEvPfS2_PT_PKS3_PKT0_S9_ifPKiSB_iPKfiiiSD_SD_iiiii.uses_flat_scratch)
	.set _ZN4vllm25paged_attention_v1_kernelIfhLi192ELi16ELi128ELNS_18Fp8KVCacheDataTypeE1ELb0EEEvPT_PKS2_PKT0_S8_ifPKiSA_iPKfiiiSC_SC_iiiii.has_dyn_sized_stack, or(0, .L_ZN4vllm22paged_attention_kernelIfhLi192ELi16ELi128ELNS_18Fp8KVCacheDataTypeE1ELb0ELi0EEEvPfS2_PT_PKS3_PKT0_S9_ifPKiSB_iPKfiiiSD_SD_iiiii.has_dyn_sized_stack)
	.set _ZN4vllm25paged_attention_v1_kernelIfhLi192ELi16ELi128ELNS_18Fp8KVCacheDataTypeE1ELb0EEEvPT_PKS2_PKT0_S8_ifPKiSA_iPKfiiiSC_SC_iiiii.has_recursion, or(0, .L_ZN4vllm22paged_attention_kernelIfhLi192ELi16ELi128ELNS_18Fp8KVCacheDataTypeE1ELb0ELi0EEEvPfS2_PT_PKS3_PKT0_S9_ifPKiSB_iPKfiiiSD_SD_iiiii.has_recursion)
	.set _ZN4vllm25paged_attention_v1_kernelIfhLi192ELi16ELi128ELNS_18Fp8KVCacheDataTypeE1ELb0EEEvPT_PKS2_PKT0_S8_ifPKiSA_iPKfiiiSC_SC_iiiii.has_indirect_call, or(0, .L_ZN4vllm22paged_attention_kernelIfhLi192ELi16ELi128ELNS_18Fp8KVCacheDataTypeE1ELb0ELi0EEEvPfS2_PT_PKS3_PKT0_S9_ifPKiSB_iPKfiiiSD_SD_iiiii.has_indirect_call)
	.section	.AMDGPU.csdata,"",@progbits
; Kernel info:
; codeLenInByte = 196
; TotalNumSgprs: 35
; NumVgprs: 128
; ScratchSize: 1004
; MemoryBound: 0
; FloatMode: 240
; IeeeMode: 1
; LDSByteSize: 800 bytes/workgroup (compile time only)
; SGPRBlocks: 0
; VGPRBlocks: 7
; NumSGPRsForWavesPerEU: 35
; NumVGPRsForWavesPerEU: 128
; NamedBarCnt: 0
; Occupancy: 8
; WaveLimiterHint : 1
; COMPUTE_PGM_RSRC2:SCRATCH_EN: 1
; COMPUTE_PGM_RSRC2:USER_SGPR: 2
; COMPUTE_PGM_RSRC2:TRAP_HANDLER: 0
; COMPUTE_PGM_RSRC2:TGID_X_EN: 1
; COMPUTE_PGM_RSRC2:TGID_Y_EN: 1
; COMPUTE_PGM_RSRC2:TGID_Z_EN: 1
; COMPUTE_PGM_RSRC2:TIDIG_COMP_CNT: 0
	.text
	.p2align	2                               ; -- Begin function _ZN4vllm22paged_attention_kernelIfhLi256ELi16ELi128ELNS_18Fp8KVCacheDataTypeE1ELb0ELi0EEEvPfS2_PT_PKS3_PKT0_S9_ifPKiSB_iPKfiiiSD_SD_iiiii
	.type	_ZN4vllm22paged_attention_kernelIfhLi256ELi16ELi128ELNS_18Fp8KVCacheDataTypeE1ELb0ELi0EEEvPfS2_PT_PKS3_PKT0_S9_ifPKiSB_iPKfiiiSD_SD_iiiii,@function
_ZN4vllm22paged_attention_kernelIfhLi256ELi16ELi128ELNS_18Fp8KVCacheDataTypeE1ELb0ELi0EEEvPfS2_PT_PKS3_PKT0_S9_ifPKiSB_iPKfiiiSD_SD_iiiii: ; @_ZN4vllm22paged_attention_kernelIfhLi256ELi16ELi128ELNS_18Fp8KVCacheDataTypeE1ELb0ELi0EEEvPfS2_PT_PKS3_PKT0_S9_ifPKiSB_iPKfiiiSD_SD_iiiii
; %bb.0:
	s_wait_loadcnt_dscnt 0x0
	s_wait_kmcnt 0x0
	s_clause 0x2f
	scratch_store_b32 off, v40, s32 offset:188
	; meta instruction
	scratch_store_b32 off, v41, s32 offset:184
	; meta instruction
	;; [unrolled: 2-line block ×47, first 2 shown]
	scratch_store_b32 off, v127, s32
	s_bfe_u32 s0, ttmp6, 0x4000c
	s_bfe_u32 s2, ttmp6, 0x40010
	s_add_co_i32 s0, s0, 1
	s_and_b32 s1, ttmp6, 15
	s_mul_i32 s0, ttmp9, s0
	s_and_b32 s3, ttmp7, 0xffff
	s_add_co_i32 s2, s2, 1
	s_add_co_i32 s0, s1, s0
	s_mul_i32 s1, s3, s2
	s_bfe_u32 s2, ttmp6, 0x40004
	s_getreg_b32 s12, hwreg(HW_REG_IB_STS2, 6, 4)
	s_add_co_i32 s2, s2, s1
	s_cmp_eq_u32 s12, 0
	s_mov_b32 s1, 0
	s_cselect_b32 s13, s3, s2
	s_cselect_b32 s2, ttmp9, s0
	s_lshl_b32 s0, s13, 2
	s_clause 0x6
	scratch_store_b64 off, v[22:23], s32 offset:1420
	scratch_store_b64 off, v[20:21], s32 offset:828
	;; [unrolled: 1-line block ×4, first 2 shown]
	scratch_store_b32 off, v9, s32 offset:1372
	scratch_store_b64 off, v[6:7], s32 offset:1428
	scratch_store_b64 off, v[0:1], s32 offset:1412
	s_wait_xcnt 0x0
	v_add_nc_u64_e32 v[0:1], s[0:1], v[12:13]
	v_mov_b32_e32 v7, 0
	s_clause 0x1
	s_load_u16 s0, s[8:9], 0x12
	s_load_b32 s3, s[8:9], 0x0
	v_dual_mov_b32 v25, v16 :: v_dual_mov_b32 v24, v15
	s_mov_b32 s10, s15
	flat_load_b32 v0, v[0:1]
	s_mov_b32 s4, exec_lo
	s_wait_kmcnt 0x0
	s_cmp_lg_u32 s0, 0
	s_cselect_b32 s0, -1, 0
	s_delay_alu instid0(SALU_CYCLE_1) | instskip(SKIP_1) | instid1(SALU_CYCLE_1)
	s_cmp_lg_u32 s0, 0
	s_add_co_ci_u32 s14, s3, 0
	s_abs_i32 s0, s14
	s_wait_loadcnt_dscnt 0x0
	scratch_store_b64 off, v[0:1], s32 offset:192 ; 8-byte Folded Spill
	s_wait_xcnt 0x0
	v_sub_nc_u32_e32 v0, 0, v8
	global_load_u16 v6, v7, s[8:9] offset:22
	v_max_i32_e32 v0, v8, v0
	v_xor_b32_e32 v8, s14, v8
	s_delay_alu instid0(VALU_DEP_2) | instskip(NEXT) | instid1(VALU_DEP_2)
	v_cvt_f32_u32_e32 v1, v0
	v_ashrrev_i32_e32 v8, 31, v8
	s_delay_alu instid0(VALU_DEP_2) | instskip(SKIP_1) | instid1(TRANS32_DEP_1)
	v_rcp_iflag_f32_e32 v1, v1
	v_nop
	v_mul_f32_e32 v1, 0x4f7ffffe, v1
	v_sub_nc_u32_e32 v9, 0, v0
	s_delay_alu instid0(VALU_DEP_2) | instskip(NEXT) | instid1(VALU_DEP_1)
	v_cvt_u32_f32_e32 v1, v1
	v_mul_lo_u32 v9, v9, v1
	s_delay_alu instid0(VALU_DEP_1) | instskip(NEXT) | instid1(VALU_DEP_1)
	v_mul_hi_u32 v9, v1, v9
	v_add_nc_u32_e32 v1, v1, v9
	s_delay_alu instid0(VALU_DEP_1) | instskip(NEXT) | instid1(VALU_DEP_1)
	v_mul_hi_u32 v1, s0, v1
	v_mul_lo_u32 v9, v1, v0
	v_add_nc_u32_e32 v10, 1, v1
	s_delay_alu instid0(VALU_DEP_2) | instskip(SKIP_1) | instid1(VALU_DEP_1)
	v_sub_nc_u32_e32 v9, s0, v9
	s_abs_i32 s0, s2
	v_cmp_ge_u32_e32 vcc_lo, v9, v0
	s_delay_alu instid0(VALU_DEP_3) | instskip(NEXT) | instid1(VALU_DEP_1)
	v_cndmask_b32_e32 v1, v1, v10, vcc_lo
	v_dual_sub_nc_u32 v11, v9, v0 :: v_dual_add_nc_u32 v10, 1, v1
	s_delay_alu instid0(VALU_DEP_1) | instskip(NEXT) | instid1(VALU_DEP_1)
	v_cndmask_b32_e32 v9, v9, v11, vcc_lo
	v_cmp_ge_u32_e32 vcc_lo, v9, v0
	s_delay_alu instid0(VALU_DEP_3) | instskip(NEXT) | instid1(VALU_DEP_1)
	v_cndmask_b32_e32 v0, v1, v10, vcc_lo
	v_xor_b32_e32 v0, v0, v8
	s_delay_alu instid0(VALU_DEP_1) | instskip(NEXT) | instid1(VALU_DEP_1)
	v_sub_nc_u32_e32 v1, v0, v8
	v_sub_nc_u32_e32 v0, 0, v1
	s_delay_alu instid0(VALU_DEP_1) | instskip(NEXT) | instid1(VALU_DEP_1)
	v_max_i32_e32 v8, v1, v0
	v_cvt_f32_u32_e32 v0, v8
	v_sub_nc_u32_e32 v9, 0, v8
	s_delay_alu instid0(VALU_DEP_2) | instskip(SKIP_1) | instid1(TRANS32_DEP_1)
	v_rcp_iflag_f32_e32 v0, v0
	v_nop
	v_mul_f32_e32 v0, 0x4f7ffffe, v0
	s_delay_alu instid0(VALU_DEP_1) | instskip(NEXT) | instid1(VALU_DEP_1)
	v_cvt_u32_f32_e32 v0, v0
	v_mul_lo_u32 v9, v9, v0
	s_delay_alu instid0(VALU_DEP_1) | instskip(SKIP_2) | instid1(VALU_DEP_2)
	v_mul_hi_u32 v9, v0, v9
	s_wait_loadcnt 0x0
	v_readfirstlane_b32 s15, v6
	v_dual_add_nc_u32 v6, v0, v9 :: v_dual_mov_b32 v0, v7
	scratch_store_b32 off, v0, s32 offset:1360 ; 4-byte Folded Spill
	s_wait_xcnt 0x0
	v_cmpx_ne_u64_e32 0, v[24:25]
	s_cbranch_execz .LBB200_2
; %bb.1:
	s_ashr_i32 s3, s2, 31
	s_delay_alu instid0(SALU_CYCLE_1)
	v_lshl_add_u64 v[10:11], s[2:3], 2, v[24:25]
	flat_load_b32 v0, v[10:11]
	s_wait_loadcnt_dscnt 0x0
	scratch_store_b32 off, v0, s32 offset:1360 ; 4-byte Folded Spill
.LBB200_2:
	s_wait_xcnt 0x0
	s_or_b32 exec_lo, exec_lo, s4
	v_mul_u64_e32 v[6:7], s[0:1], v[6:7]
	v_and_b32_e32 v12, 0x3ff, v31
	v_dual_ashrrev_i32 v6, 31, v1 :: v_dual_bitop2_b32 v1, 1, v31 bitop3:0x40
	s_ashr_i32 s1, s2, 31
	s_lshl_b32 s4, s2, 8
	s_delay_alu instid0(VALU_DEP_2)
	v_lshlrev_b32_e32 v0, 2, v12
	s_mov_b32 s2, exec_lo
	scratch_store_b32 off, v0, s32 offset:1408 ; 4-byte Folded Spill
	s_wait_xcnt 0x0
	v_cmpx_gt_u32_e32 0x80, v12
	s_cbranch_execz .LBB200_4
; %bb.3:
	v_mul_lo_u32 v10, v17, s13
	s_ashr_i32 s5, s4, 31
	v_lshlrev_b32_e32 v0, 2, v12
	s_delay_alu instid0(VALU_DEP_1) | instskip(NEXT) | instid1(VALU_DEP_3)
	v_and_b32_e32 v0, 0xff8, v0
	v_ashrrev_i32_e32 v11, 31, v10
	s_delay_alu instid0(VALU_DEP_2) | instskip(NEXT) | instid1(VALU_DEP_2)
	v_lshl_add_u32 v0, v1, 9, v0
	v_lshl_add_u64 v[2:3], v[10:11], 2, v[2:3]
	v_dual_mov_b32 v11, 0 :: v_dual_lshlrev_b32 v10, 3, v12
	s_delay_alu instid0(VALU_DEP_2) | instskip(NEXT) | instid1(VALU_DEP_1)
	v_lshl_add_u64 v[2:3], s[4:5], 2, v[2:3]
	v_add_nc_u64_e32 v[2:3], v[2:3], v[10:11]
	flat_load_b64 v[2:3], v[2:3]
	s_wait_loadcnt_dscnt 0x0
	ds_store_b64 v0, v[2:3]
.LBB200_4:
	s_wait_xcnt 0x0
	s_or_b32 exec_lo, exec_lo, s2
	scratch_load_b64 v[2:3], off, s32 offset:192 ; 8-byte Folded Reload
	v_mul_lo_u32 v0, v7, v8
                                        ; implicit-def: $vgpr27
	s_delay_alu instid0(VALU_DEP_1) | instskip(NEXT) | instid1(VALU_DEP_1)
	v_dual_sub_nc_u32 v0, s0, v0 :: v_dual_bitop2_b32 v6, s1, v6 bitop3:0x14
	v_cmp_ge_u32_e32 vcc_lo, v0, v8
	s_wait_loadcnt 0x0
	v_dual_add_nc_u32 v2, 15, v2 :: v_dual_add_nc_u32 v3, 1, v7
	s_delay_alu instid0(VALU_DEP_1) | instskip(NEXT) | instid1(VALU_DEP_1)
	v_dual_ashrrev_i32 v9, 31, v2 :: v_dual_sub_nc_u32 v10, v0, v8
	v_dual_cndmask_b32 v3, v7, v3, vcc_lo :: v_dual_lshrrev_b32 v7, 28, v9
	s_delay_alu instid0(VALU_DEP_2) | instskip(SKIP_1) | instid1(VALU_DEP_3)
	v_cndmask_b32_e32 v0, v0, v10, vcc_lo
	v_mul_lo_u32 v10, v14, s13
	v_add_nc_u32_e32 v9, 1, v3
	s_delay_alu instid0(VALU_DEP_3) | instskip(SKIP_1) | instid1(VALU_DEP_3)
	v_cmp_ge_u32_e32 vcc_lo, v0, v8
	v_dual_add_nc_u32 v2, v2, v7 :: v_dual_mov_b32 v8, v12
	v_dual_cndmask_b32 v0, v3, v9 :: v_dual_lshrrev_b32 v3, 5, v12
	s_delay_alu instid0(VALU_DEP_2)
	v_ashrrev_i32_e32 v2, 4, v2
	v_ashrrev_i32_e32 v11, 31, v10
	scratch_store_b64 off, v[8:9], s32 offset:1364 ; 8-byte Folded Spill
	v_xor_b32_e32 v0, v0, v6
	s_clause 0x2
	scratch_store_b64 off, v[10:11], s32 offset:1396
	scratch_store_b32 off, v3, s32 offset:1376
	scratch_store_b32 off, v2, s32 offset:200
	v_cmp_ge_i32_e64 s0, v3, v2
	s_wait_xcnt 0x0
	v_sub_nc_u32_e32 v2, v0, v6
	v_mbcnt_lo_u32_b32 v11, -1, 0
	s_wait_storecnt_dscnt 0x0
	s_barrier_signal -1
	s_barrier_wait -1
                                        ; implicit-def: $vgpr10
	s_and_saveexec_b32 s1, s0
	s_delay_alu instid0(SALU_CYCLE_1)
	s_xor_b32 s1, exec_lo, s1
	s_cbranch_execz .LBB200_6
; %bb.5:
	v_dual_mov_b32 v27, 0 :: v_dual_mov_b32 v10, 32
	v_mbcnt_lo_u32_b32 v11, -1, 0
                                        ; implicit-def: $vgpr0
                                        ; kill: killed $vgpr0
                                        ; implicit-def: $vgpr0
                                        ; kill: killed $vgpr0
                                        ; implicit-def: $vgpr4
                                        ; implicit-def: $vgpr0
	scratch_store_b64 off, v[0:1], s32 offset:828 ; 8-byte Folded Spill
                                        ; implicit-def: $vgpr1
.LBB200_6:
	s_wait_xcnt 0x0
	s_or_saveexec_b32 s3, s1
	v_mul_lo_u32 v2, v2, v19
	v_mov_b32_e32 v0, 0xff7fffff
	s_load_b32 s5, s[8:9], 0x8
	s_get_pc_i64 s[6:7]
	s_add_nc_u64 s[6:7], s[6:7], llvm.amdgcn.dynlds.offset.table@rel64+4
	s_delay_alu instid0(VALU_DEP_2)
	v_ashrrev_i32_e32 v3, 31, v2
	s_clause 0x2
	scratch_store_b32 off, v0, s32 offset:824
	scratch_store_b64 off, v[2:3], s32 offset:1380
	scratch_load_b64 v[2:3], off, s32 offset:1364
	s_wait_loadcnt 0x0
	v_lshrrev_b32_e32 v0, 3, v2
	scratch_store_b32 off, v0, s32 offset:1404 ; 4-byte Folded Spill
	s_wait_xcnt 0x0
	s_xor_b32 exec_lo, exec_lo, s3
	s_cbranch_execz .LBB200_1036
; %bb.7:
	s_clause 0x1
	scratch_load_b64 v[2:3], off, s32 offset:1364
	scratch_store_b32 off, v11, s32 offset:1436
	s_ashr_i32 s11, s10, 31
	s_mov_b32 s16, 0
	s_lshl_b64 s[8:9], s[10:11], 2
	v_mov_b32_e32 v27, 0
	s_add_nc_u64 s[8:9], s[6:7], s[8:9]
	v_lshlrev_b32_e32 v0, 9, v1
	ds_load_b128 v[12:15], v0
	s_wait_loadcnt 0x0
	v_bfe_u32 v6, v2, 1, 4
	scratch_load_b64 v[2:3], off, s32 offset:1380 ; 8-byte Folded Reload
	v_lshlrev_b32_e32 v26, 4, v6
	s_wait_loadcnt 0x0
	v_add_nc_u64_e32 v[2:3], v[4:5], v[2:3]
	v_xor_b32_e32 v4, 1, v11
	s_delay_alu instid0(VALU_DEP_1) | instskip(NEXT) | instid1(VALU_DEP_3)
	v_cmp_gt_i32_e32 vcc_lo, 32, v4
	v_add_nc_u64_e32 v[2:3], v[2:3], v[26:27]
	v_dual_lshlrev_b32 v26, 1, v1 :: v_dual_cndmask_b32 v4, v11, v4, vcc_lo
	s_wait_xcnt 0x1
	ds_load_b128 v[8:11], v0 offset:208
	v_cmp_eq_u32_e32 vcc_lo, 0, v1
	scratch_load_b32 v1, off, s32 offset:1360 ; 4-byte Folded Reload
	s_wait_dscnt 0x1
	scratch_store_b128 off, v[12:15], s32 offset:836 ; 16-byte Folded Spill
	s_wait_xcnt 0x0
	ds_load_b128 v[12:15], v0 offset:16
	s_wait_dscnt 0x1
	scratch_store_b128 off, v[8:11], s32 offset:1048 ; 16-byte Folded Spill
	s_wait_xcnt 0x0
	ds_load_b128 v[8:11], v0 offset:224
	;; [unrolled: 4-line block ×27, first 2 shown]
	s_wait_loadcnt 0x0
	v_cmp_neq_f32_e64 s1, 0, v1
	s_wait_dscnt 0x0
	scratch_store_b128 off, v[8:11], s32 offset:1288 ; 16-byte Folded Spill
	s_wait_xcnt 0x0
	ds_load_b128 v[8:11], v0 offset:464
	s_wait_dscnt 0x0
	scratch_store_b128 off, v[8:11], s32 offset:1304 ; 16-byte Folded Spill
	s_wait_xcnt 0x0
	ds_load_b128 v[8:11], v0 offset:480
	;; [unrolled: 4-line block ×3, first 2 shown]
	v_add_nc_u64_e32 v[0:1], v[2:3], v[26:27]
	s_clause 0x1
	scratch_store_b64 off, v[0:1], s32 offset:1352
	scratch_load_b32 v0, off, s32 offset:1404
	s_wait_loadcnt 0x0
	v_and_b32_e32 v26, 0x7c, v0
	scratch_load_b64 v[0:1], off, s32 offset:1396 ; 8-byte Folded Reload
	s_wait_loadcnt 0x0
	v_lshl_add_u64 v[2:3], v[0:1], 2, v[26:27]
	scratch_load_b64 v[0:1], off, s32 offset:1388 ; 8-byte Folded Reload
	s_wait_loadcnt 0x0
	v_add_nc_u64_e32 v[2:3], v[0:1], v[2:3]
	scratch_load_b32 v1, off, s32 offset:1376 ; 4-byte Folded Reload
	s_wait_loadcnt 0x0
	v_lshl_or_b32 v0, v1, 4, v6
	s_clause 0x1
	scratch_store_b128 off, v[12:15], s32 offset:1028
	scratch_store_b32 off, v0, s32 offset:756
	s_wait_xcnt 0x0
	v_dual_lshlrev_b32 v0, 2, v6 :: v_dual_mov_b32 v6, v1
	v_lshlrev_b32_e32 v4, 2, v4
	s_delay_alu instid0(VALU_DEP_2)
	v_lshl_or_b32 v0, v1, 6, v0
	s_clause 0x1
	scratch_store_b32 off, v4, s32 offset:1044
	scratch_store_b32 off, v0, s32 offset:760
	s_wait_xcnt 0x0
	v_mov_b32_e32 v0, 0xff7fffff
	s_wait_dscnt 0x0
	s_clause 0x1
	scratch_store_b128 off, v[8:11], s32 offset:1336
	scratch_store_b32 off, v0, s32 offset:824
	s_wait_xcnt 0x0
	v_mov_b64_e32 v[0:1], v[2:3]
	s_branch .LBB200_9
.LBB200_8:                              ;   in Loop: Header=BB200_9 Depth=1
	s_wait_xcnt 0x0
	s_or_b32 exec_lo, exec_lo, s11
	s_clause 0x1
	scratch_load_b32 v0, off, s32 offset:200
	scratch_load_b32 v2, off, s32 offset:756
	s_wait_loadcnt 0x2
	v_add_nc_u32_e32 v6, 4, v6
	s_wait_loadcnt 0x1
	s_delay_alu instid0(VALU_DEP_1)
	v_cmp_ge_i32_e64 s2, v6, v0
	s_wait_loadcnt 0x0
	v_add_nc_u32_e32 v2, 64, v2
	scratch_load_b64 v[0:1], off, s32 offset:772 th:TH_LOAD_LU ; 8-byte Folded Reload
	s_or_b32 s16, s2, s16
	s_clause 0x1
	scratch_store_b32 off, v2, s32 offset:756
	scratch_load_b32 v2, off, s32 offset:760
	s_wait_loadcnt 0x1
	v_add_nc_u64_e32 v[0:1], 16, v[0:1]
	s_wait_loadcnt 0x0
	v_add_nc_u32_e32 v2, 0x100, v2
	scratch_store_b32 off, v2, s32 offset:760 ; 4-byte Folded Spill
	s_wait_xcnt 0x0
	s_and_not1_b32 exec_lo, exec_lo, s16
	s_cbranch_execz .LBB200_1035
.LBB200_9:                              ; =>This Inner Loop Header: Depth=1
	s_clause 0x1
	scratch_store_b32 off, v6, s32 offset:780
	scratch_store_b64 off, v[0:1], s32 offset:772
	flat_load_b32 v0, v[0:1]
	s_wait_dscnt 0x1
	scratch_load_b64 v[2:3], off, s32 offset:828 ; 8-byte Folded Reload
	v_mov_b64_e32 v[64:65], 0
	s_wait_loadcnt 0x0
	flat_load_b32 v2, v[2:3]
	s_wait_loadcnt_dscnt 0x0
	s_clause 0x2
	scratch_store_b64 off, v[2:3], s32 offset:784
	scratch_load_b64 v[2:3], off, s32 offset:764
	scratch_load_b64 v[4:5], off, s32 offset:1352
	s_wait_loadcnt 0x0
	v_mad_nc_i64_i32 v[36:37], v0, v2, v[4:5]
	flat_load_u16 v0, v[36:37]
	s_wait_loadcnt_dscnt 0x0
	v_and_b32_e32 v2, 0xffff, v0
	v_and_b32_e32 v0, 0xff, v0
	s_delay_alu instid0(VALU_DEP_1)
	v_cmp_ne_u16_e64 s2, 0, v0
	v_mov_b64_e32 v[0:1], 0
	scratch_store_b64 off, v[0:1], s32 offset:204 ; 8-byte Folded Spill
	s_wait_xcnt 0x0
	s_and_saveexec_b32 s11, s2
	s_cbranch_execz .LBB200_17
; %bb.10:                               ;   in Loop: Header=BB200_9 Depth=1
	v_and_b32_e32 v0, 0xff, v2
	s_delay_alu instid0(VALU_DEP_1)
	v_cmp_ne_u16_e64 s2, 0x80, v0
	v_mov_b64_e32 v[0:1], 0x80000000
	scratch_store_b64 off, v[0:1], s32 offset:204 ; 8-byte Folded Spill
	s_wait_xcnt 0x0
	s_and_saveexec_b32 s17, s2
	s_cbranch_execz .LBB200_16
; %bb.11:                               ;   in Loop: Header=BB200_9 Depth=1
	v_mov_b64_e32 v[0:1], 0x7f800001
	v_and_b32_e32 v4, 0x7f, v2
	s_mov_b32 s18, exec_lo
	scratch_store_b64 off, v[0:1], s32 offset:204 ; 8-byte Folded Spill
	s_wait_xcnt 0x0
	v_cmpx_ne_u32_e32 0x7f, v4
	s_cbranch_execz .LBB200_15
; %bb.12:                               ;   in Loop: Header=BB200_9 Depth=1
	v_dual_lshrrev_b32 v3, 3, v4 :: v_dual_bitop2_b32 v26, 7, v2 bitop3:0x40
	s_mov_b32 s19, exec_lo
	v_cmpx_gt_u32_e32 8, v4
; %bb.13:                               ;   in Loop: Header=BB200_9 Depth=1
	s_delay_alu instid0(VALU_DEP_2) | instskip(NEXT) | instid1(VALU_DEP_1)
	v_clz_i32_u32_e32 v0, v26
	v_min_u32_e32 v0, 32, v0
	s_delay_alu instid0(VALU_DEP_1) | instskip(SKIP_1) | instid1(VALU_DEP_2)
	v_subrev_nc_u32_e32 v1, 28, v0
	v_sub_nc_u32_e32 v3, 29, v0
	v_lshlrev_b64_e32 v[4:5], v1, v[26:27]
	s_delay_alu instid0(VALU_DEP_1)
	v_and_b32_e32 v26, 7, v4
; %bb.14:                               ;   in Loop: Header=BB200_9 Depth=1
	s_or_b32 exec_lo, exec_lo, s19
	v_lshlrev_b32_e32 v0, 24, v2
	s_delay_alu instid0(VALU_DEP_2) | instskip(SKIP_1) | instid1(VALU_DEP_3)
	v_lshlrev_b32_e32 v1, 20, v26
	v_lshl_add_u32 v3, v3, 23, 0x3c000000
	v_and_b32_e32 v0, 0x80000000, v0
	s_delay_alu instid0(VALU_DEP_1)
	v_or3_b32 v26, v1, v0, v3
	scratch_store_b64 off, v[26:27], s32 offset:204 ; 8-byte Folded Spill
.LBB200_15:                             ;   in Loop: Header=BB200_9 Depth=1
	s_wait_xcnt 0x0
	s_or_b32 exec_lo, exec_lo, s18
.LBB200_16:                             ;   in Loop: Header=BB200_9 Depth=1
	s_delay_alu instid0(SALU_CYCLE_1)
	s_or_b32 exec_lo, exec_lo, s17
.LBB200_17:                             ;   in Loop: Header=BB200_9 Depth=1
	s_delay_alu instid0(SALU_CYCLE_1) | instskip(SKIP_2) | instid1(VALU_DEP_1)
	s_or_b32 exec_lo, exec_lo, s11
	v_lshrrev_b16 v3, 8, v2
	s_mov_b32 s11, exec_lo
	v_cmpx_ne_u16_e32 0, v3
	s_cbranch_execz .LBB200_25
; %bb.18:                               ;   in Loop: Header=BB200_9 Depth=1
	v_mov_b64_e32 v[64:65], 0x8000000000000000
	s_mov_b32 s17, exec_lo
	v_cmpx_ne_u16_e32 0x80, v3
	s_cbranch_execz .LBB200_24
; %bb.19:                               ;   in Loop: Header=BB200_9 Depth=1
	v_and_b32_e32 v1, 0xffff, v3
	v_mov_b64_e32 v[64:65], 0x7f80000100000000
	s_mov_b32 s18, exec_lo
	s_delay_alu instid0(VALU_DEP_2) | instskip(NEXT) | instid1(VALU_DEP_1)
	v_and_b32_e32 v4, 0x7f, v1
	v_cmpx_ne_u32_e32 0x7f, v4
	s_cbranch_execz .LBB200_23
; %bb.20:                               ;   in Loop: Header=BB200_9 Depth=1
	v_dual_lshrrev_b32 v3, 3, v4 :: v_dual_bitop2_b32 v26, 7, v1 bitop3:0x40
	s_mov_b32 s19, exec_lo
	v_cmpx_gt_u32_e32 8, v4
; %bb.21:                               ;   in Loop: Header=BB200_9 Depth=1
	s_delay_alu instid0(VALU_DEP_2) | instskip(NEXT) | instid1(VALU_DEP_1)
	v_clz_i32_u32_e32 v0, v26
	v_min_u32_e32 v0, 32, v0
	s_delay_alu instid0(VALU_DEP_1) | instskip(SKIP_1) | instid1(VALU_DEP_2)
	v_subrev_nc_u32_e32 v1, 28, v0
	v_sub_nc_u32_e32 v3, 29, v0
	v_lshlrev_b64_e32 v[4:5], v1, v[26:27]
	s_delay_alu instid0(VALU_DEP_1)
	v_and_b32_e32 v26, 7, v4
; %bb.22:                               ;   in Loop: Header=BB200_9 Depth=1
	s_or_b32 exec_lo, exec_lo, s19
	v_dual_lshlrev_b32 v0, 16, v2 :: v_dual_mov_b32 v64, v27
	s_delay_alu instid0(VALU_DEP_2) | instskip(SKIP_1) | instid1(VALU_DEP_3)
	v_lshlrev_b32_e32 v1, 20, v26
	v_lshl_add_u32 v2, v3, 23, 0x3c000000
	v_and_b32_e32 v0, 0x80000000, v0
	s_delay_alu instid0(VALU_DEP_1)
	v_or3_b32 v65, v1, v0, v2
.LBB200_23:                             ;   in Loop: Header=BB200_9 Depth=1
	s_or_b32 exec_lo, exec_lo, s18
.LBB200_24:                             ;   in Loop: Header=BB200_9 Depth=1
	s_delay_alu instid0(SALU_CYCLE_1)
	s_or_b32 exec_lo, exec_lo, s17
.LBB200_25:                             ;   in Loop: Header=BB200_9 Depth=1
	s_delay_alu instid0(SALU_CYCLE_1) | instskip(SKIP_4) | instid1(VALU_DEP_1)
	s_or_b32 exec_lo, exec_lo, s11
	flat_load_u16 v0, v[36:37] offset:4
	s_wait_loadcnt_dscnt 0x0
	v_and_b32_e32 v2, 0xffff, v0
	v_and_b32_e32 v0, 0xff, v0
	v_cmp_ne_u16_e64 s2, 0, v0
	v_mov_b64_e32 v[0:1], 0
	scratch_store_b64 off, v[0:1], s32 offset:212 ; 8-byte Folded Spill
	s_wait_xcnt 0x0
	v_mov_b64_e32 v[0:1], 0
	scratch_store_b64 off, v[0:1], s32 offset:220 ; 8-byte Folded Spill
	s_wait_xcnt 0x0
	s_and_saveexec_b32 s11, s2
	s_cbranch_execz .LBB200_33
; %bb.26:                               ;   in Loop: Header=BB200_9 Depth=1
	v_and_b32_e32 v0, 0xff, v2
	s_delay_alu instid0(VALU_DEP_1)
	v_cmp_ne_u16_e64 s2, 0x80, v0
	v_mov_b64_e32 v[0:1], 0x80000000
	scratch_store_b64 off, v[0:1], s32 offset:220 ; 8-byte Folded Spill
	s_wait_xcnt 0x0
	s_and_saveexec_b32 s17, s2
	s_cbranch_execz .LBB200_32
; %bb.27:                               ;   in Loop: Header=BB200_9 Depth=1
	v_mov_b64_e32 v[0:1], 0x7f800001
	v_and_b32_e32 v4, 0x7f, v2
	s_mov_b32 s18, exec_lo
	scratch_store_b64 off, v[0:1], s32 offset:220 ; 8-byte Folded Spill
	s_wait_xcnt 0x0
	v_cmpx_ne_u32_e32 0x7f, v4
	s_cbranch_execz .LBB200_31
; %bb.28:                               ;   in Loop: Header=BB200_9 Depth=1
	v_dual_lshrrev_b32 v3, 3, v4 :: v_dual_bitop2_b32 v26, 7, v2 bitop3:0x40
	s_mov_b32 s19, exec_lo
	v_cmpx_gt_u32_e32 8, v4
; %bb.29:                               ;   in Loop: Header=BB200_9 Depth=1
	s_delay_alu instid0(VALU_DEP_2) | instskip(NEXT) | instid1(VALU_DEP_1)
	v_clz_i32_u32_e32 v0, v26
	v_min_u32_e32 v0, 32, v0
	s_delay_alu instid0(VALU_DEP_1) | instskip(SKIP_1) | instid1(VALU_DEP_2)
	v_subrev_nc_u32_e32 v1, 28, v0
	v_sub_nc_u32_e32 v3, 29, v0
	v_lshlrev_b64_e32 v[4:5], v1, v[26:27]
	s_delay_alu instid0(VALU_DEP_1)
	v_and_b32_e32 v26, 7, v4
; %bb.30:                               ;   in Loop: Header=BB200_9 Depth=1
	s_or_b32 exec_lo, exec_lo, s19
	v_lshlrev_b32_e32 v0, 24, v2
	s_delay_alu instid0(VALU_DEP_2) | instskip(SKIP_1) | instid1(VALU_DEP_3)
	v_lshlrev_b32_e32 v1, 20, v26
	v_lshl_add_u32 v3, v3, 23, 0x3c000000
	v_and_b32_e32 v0, 0x80000000, v0
	s_delay_alu instid0(VALU_DEP_1)
	v_or3_b32 v26, v1, v0, v3
	scratch_store_b64 off, v[26:27], s32 offset:220 ; 8-byte Folded Spill
.LBB200_31:                             ;   in Loop: Header=BB200_9 Depth=1
	s_wait_xcnt 0x0
	s_or_b32 exec_lo, exec_lo, s18
.LBB200_32:                             ;   in Loop: Header=BB200_9 Depth=1
	s_delay_alu instid0(SALU_CYCLE_1)
	s_or_b32 exec_lo, exec_lo, s17
.LBB200_33:                             ;   in Loop: Header=BB200_9 Depth=1
	s_delay_alu instid0(SALU_CYCLE_1) | instskip(SKIP_2) | instid1(VALU_DEP_1)
	s_or_b32 exec_lo, exec_lo, s11
	v_lshrrev_b16 v3, 8, v2
	s_mov_b32 s11, exec_lo
	v_cmpx_ne_u16_e32 0, v3
	s_cbranch_execz .LBB200_41
; %bb.34:                               ;   in Loop: Header=BB200_9 Depth=1
	v_mov_b64_e32 v[0:1], 0x8000000000000000
	s_mov_b32 s17, exec_lo
	scratch_store_b64 off, v[0:1], s32 offset:212 ; 8-byte Folded Spill
	s_wait_xcnt 0x0
	v_cmpx_ne_u16_e32 0x80, v3
	s_cbranch_execz .LBB200_40
; %bb.35:                               ;   in Loop: Header=BB200_9 Depth=1
	v_and_b32_e32 v1, 0xffff, v3
	v_mov_b64_e32 v[6:7], 0x7f80000100000000
	s_mov_b32 s18, exec_lo
	s_delay_alu instid0(VALU_DEP_2)
	v_and_b32_e32 v4, 0x7f, v1
	scratch_store_b64 off, v[6:7], s32 offset:212 ; 8-byte Folded Spill
	s_wait_xcnt 0x0
	v_cmpx_ne_u32_e32 0x7f, v4
	s_cbranch_execz .LBB200_39
; %bb.36:                               ;   in Loop: Header=BB200_9 Depth=1
	v_dual_lshrrev_b32 v3, 3, v4 :: v_dual_bitop2_b32 v26, 7, v1 bitop3:0x40
	s_mov_b32 s19, exec_lo
	v_cmpx_gt_u32_e32 8, v4
; %bb.37:                               ;   in Loop: Header=BB200_9 Depth=1
	s_delay_alu instid0(VALU_DEP_2) | instskip(NEXT) | instid1(VALU_DEP_1)
	v_clz_i32_u32_e32 v0, v26
	v_min_u32_e32 v0, 32, v0
	s_delay_alu instid0(VALU_DEP_1) | instskip(SKIP_1) | instid1(VALU_DEP_2)
	v_subrev_nc_u32_e32 v1, 28, v0
	v_sub_nc_u32_e32 v3, 29, v0
	v_lshlrev_b64_e32 v[4:5], v1, v[26:27]
	s_delay_alu instid0(VALU_DEP_1)
	v_and_b32_e32 v26, 7, v4
; %bb.38:                               ;   in Loop: Header=BB200_9 Depth=1
	s_or_b32 exec_lo, exec_lo, s19
	v_lshlrev_b32_e32 v0, 16, v2
	s_delay_alu instid0(VALU_DEP_2) | instskip(SKIP_1) | instid1(VALU_DEP_3)
	v_lshlrev_b32_e32 v1, 20, v26
	v_lshl_add_u32 v2, v3, 23, 0x3c000000
	v_and_b32_e32 v0, 0x80000000, v0
	s_delay_alu instid0(VALU_DEP_1)
	v_or3_b32 v1, v1, v0, v2
	v_mov_b32_e32 v0, v27
	scratch_store_b64 off, v[0:1], s32 offset:212 ; 8-byte Folded Spill
.LBB200_39:                             ;   in Loop: Header=BB200_9 Depth=1
	s_wait_xcnt 0x0
	s_or_b32 exec_lo, exec_lo, s18
.LBB200_40:                             ;   in Loop: Header=BB200_9 Depth=1
	s_delay_alu instid0(SALU_CYCLE_1)
	s_or_b32 exec_lo, exec_lo, s17
.LBB200_41:                             ;   in Loop: Header=BB200_9 Depth=1
	s_delay_alu instid0(SALU_CYCLE_1) | instskip(SKIP_4) | instid1(VALU_DEP_1)
	s_or_b32 exec_lo, exec_lo, s11
	flat_load_u16 v0, v[36:37] offset:8
	s_wait_loadcnt_dscnt 0x0
	v_and_b32_e32 v2, 0xffff, v0
	v_and_b32_e32 v0, 0xff, v0
	v_cmp_ne_u16_e64 s2, 0, v0
	v_mov_b64_e32 v[0:1], 0
	scratch_store_b64 off, v[0:1], s32 offset:228 ; 8-byte Folded Spill
	s_wait_xcnt 0x0
	v_mov_b64_e32 v[0:1], 0
	scratch_store_b64 off, v[0:1], s32 offset:236 ; 8-byte Folded Spill
	s_wait_xcnt 0x0
	s_and_saveexec_b32 s11, s2
	s_cbranch_execz .LBB200_49
; %bb.42:                               ;   in Loop: Header=BB200_9 Depth=1
	v_and_b32_e32 v0, 0xff, v2
	s_delay_alu instid0(VALU_DEP_1)
	v_cmp_ne_u16_e64 s2, 0x80, v0
	v_mov_b64_e32 v[0:1], 0x80000000
	scratch_store_b64 off, v[0:1], s32 offset:236 ; 8-byte Folded Spill
	s_wait_xcnt 0x0
	s_and_saveexec_b32 s17, s2
	s_cbranch_execz .LBB200_48
; %bb.43:                               ;   in Loop: Header=BB200_9 Depth=1
	v_mov_b64_e32 v[0:1], 0x7f800001
	v_and_b32_e32 v4, 0x7f, v2
	s_mov_b32 s18, exec_lo
	scratch_store_b64 off, v[0:1], s32 offset:236 ; 8-byte Folded Spill
	s_wait_xcnt 0x0
	v_cmpx_ne_u32_e32 0x7f, v4
	s_cbranch_execz .LBB200_47
; %bb.44:                               ;   in Loop: Header=BB200_9 Depth=1
	v_dual_lshrrev_b32 v3, 3, v4 :: v_dual_bitop2_b32 v26, 7, v2 bitop3:0x40
	s_mov_b32 s19, exec_lo
	v_cmpx_gt_u32_e32 8, v4
; %bb.45:                               ;   in Loop: Header=BB200_9 Depth=1
	s_delay_alu instid0(VALU_DEP_2) | instskip(NEXT) | instid1(VALU_DEP_1)
	v_clz_i32_u32_e32 v0, v26
	v_min_u32_e32 v0, 32, v0
	s_delay_alu instid0(VALU_DEP_1) | instskip(SKIP_1) | instid1(VALU_DEP_2)
	v_subrev_nc_u32_e32 v1, 28, v0
	v_sub_nc_u32_e32 v3, 29, v0
	v_lshlrev_b64_e32 v[4:5], v1, v[26:27]
	s_delay_alu instid0(VALU_DEP_1)
	v_and_b32_e32 v26, 7, v4
; %bb.46:                               ;   in Loop: Header=BB200_9 Depth=1
	s_or_b32 exec_lo, exec_lo, s19
	v_lshlrev_b32_e32 v0, 24, v2
	s_delay_alu instid0(VALU_DEP_2) | instskip(SKIP_1) | instid1(VALU_DEP_3)
	v_lshlrev_b32_e32 v1, 20, v26
	v_lshl_add_u32 v3, v3, 23, 0x3c000000
	v_and_b32_e32 v0, 0x80000000, v0
	s_delay_alu instid0(VALU_DEP_1)
	v_or3_b32 v26, v1, v0, v3
	scratch_store_b64 off, v[26:27], s32 offset:236 ; 8-byte Folded Spill
.LBB200_47:                             ;   in Loop: Header=BB200_9 Depth=1
	s_wait_xcnt 0x0
	s_or_b32 exec_lo, exec_lo, s18
.LBB200_48:                             ;   in Loop: Header=BB200_9 Depth=1
	s_delay_alu instid0(SALU_CYCLE_1)
	s_or_b32 exec_lo, exec_lo, s17
.LBB200_49:                             ;   in Loop: Header=BB200_9 Depth=1
	s_delay_alu instid0(SALU_CYCLE_1) | instskip(SKIP_2) | instid1(VALU_DEP_1)
	s_or_b32 exec_lo, exec_lo, s11
	v_lshrrev_b16 v3, 8, v2
	s_mov_b32 s11, exec_lo
	v_cmpx_ne_u16_e32 0, v3
	s_cbranch_execz .LBB200_57
; %bb.50:                               ;   in Loop: Header=BB200_9 Depth=1
	v_mov_b64_e32 v[0:1], 0x8000000000000000
	s_mov_b32 s17, exec_lo
	scratch_store_b64 off, v[0:1], s32 offset:228 ; 8-byte Folded Spill
	s_wait_xcnt 0x0
	v_cmpx_ne_u16_e32 0x80, v3
	s_cbranch_execz .LBB200_56
; %bb.51:                               ;   in Loop: Header=BB200_9 Depth=1
	v_and_b32_e32 v1, 0xffff, v3
	v_mov_b64_e32 v[6:7], 0x7f80000100000000
	s_mov_b32 s18, exec_lo
	s_delay_alu instid0(VALU_DEP_2)
	v_and_b32_e32 v4, 0x7f, v1
	scratch_store_b64 off, v[6:7], s32 offset:228 ; 8-byte Folded Spill
	s_wait_xcnt 0x0
	v_cmpx_ne_u32_e32 0x7f, v4
	s_cbranch_execz .LBB200_55
; %bb.52:                               ;   in Loop: Header=BB200_9 Depth=1
	v_dual_lshrrev_b32 v3, 3, v4 :: v_dual_bitop2_b32 v26, 7, v1 bitop3:0x40
	s_mov_b32 s19, exec_lo
	v_cmpx_gt_u32_e32 8, v4
; %bb.53:                               ;   in Loop: Header=BB200_9 Depth=1
	s_delay_alu instid0(VALU_DEP_2) | instskip(NEXT) | instid1(VALU_DEP_1)
	v_clz_i32_u32_e32 v0, v26
	v_min_u32_e32 v0, 32, v0
	s_delay_alu instid0(VALU_DEP_1) | instskip(SKIP_1) | instid1(VALU_DEP_2)
	v_subrev_nc_u32_e32 v1, 28, v0
	v_sub_nc_u32_e32 v3, 29, v0
	v_lshlrev_b64_e32 v[4:5], v1, v[26:27]
	s_delay_alu instid0(VALU_DEP_1)
	v_and_b32_e32 v26, 7, v4
; %bb.54:                               ;   in Loop: Header=BB200_9 Depth=1
	s_or_b32 exec_lo, exec_lo, s19
	v_lshlrev_b32_e32 v0, 16, v2
	s_delay_alu instid0(VALU_DEP_2) | instskip(SKIP_1) | instid1(VALU_DEP_3)
	v_lshlrev_b32_e32 v1, 20, v26
	v_lshl_add_u32 v2, v3, 23, 0x3c000000
	v_and_b32_e32 v0, 0x80000000, v0
	s_delay_alu instid0(VALU_DEP_1)
	v_or3_b32 v1, v1, v0, v2
	v_mov_b32_e32 v0, v27
	scratch_store_b64 off, v[0:1], s32 offset:228 ; 8-byte Folded Spill
.LBB200_55:                             ;   in Loop: Header=BB200_9 Depth=1
	s_wait_xcnt 0x0
	s_or_b32 exec_lo, exec_lo, s18
.LBB200_56:                             ;   in Loop: Header=BB200_9 Depth=1
	s_delay_alu instid0(SALU_CYCLE_1)
	s_or_b32 exec_lo, exec_lo, s17
.LBB200_57:                             ;   in Loop: Header=BB200_9 Depth=1
	s_delay_alu instid0(SALU_CYCLE_1) | instskip(SKIP_4) | instid1(VALU_DEP_1)
	s_or_b32 exec_lo, exec_lo, s11
	flat_load_u16 v0, v[36:37] offset:12
	s_wait_loadcnt_dscnt 0x0
	v_and_b32_e32 v2, 0xffff, v0
	v_and_b32_e32 v0, 0xff, v0
	v_cmp_ne_u16_e64 s2, 0, v0
	v_mov_b64_e32 v[0:1], 0
	scratch_store_b64 off, v[0:1], s32 offset:244 ; 8-byte Folded Spill
	s_wait_xcnt 0x0
	v_mov_b64_e32 v[0:1], 0
	scratch_store_b64 off, v[0:1], s32 offset:252 ; 8-byte Folded Spill
	s_wait_xcnt 0x0
	s_and_saveexec_b32 s11, s2
	s_cbranch_execz .LBB200_65
; %bb.58:                               ;   in Loop: Header=BB200_9 Depth=1
	v_and_b32_e32 v0, 0xff, v2
	s_delay_alu instid0(VALU_DEP_1)
	v_cmp_ne_u16_e64 s2, 0x80, v0
	v_mov_b64_e32 v[0:1], 0x80000000
	scratch_store_b64 off, v[0:1], s32 offset:252 ; 8-byte Folded Spill
	s_wait_xcnt 0x0
	s_and_saveexec_b32 s17, s2
	s_cbranch_execz .LBB200_64
; %bb.59:                               ;   in Loop: Header=BB200_9 Depth=1
	v_mov_b64_e32 v[0:1], 0x7f800001
	v_and_b32_e32 v4, 0x7f, v2
	s_mov_b32 s18, exec_lo
	scratch_store_b64 off, v[0:1], s32 offset:252 ; 8-byte Folded Spill
	s_wait_xcnt 0x0
	v_cmpx_ne_u32_e32 0x7f, v4
	s_cbranch_execz .LBB200_63
; %bb.60:                               ;   in Loop: Header=BB200_9 Depth=1
	v_dual_lshrrev_b32 v3, 3, v4 :: v_dual_bitop2_b32 v26, 7, v2 bitop3:0x40
	s_mov_b32 s19, exec_lo
	v_cmpx_gt_u32_e32 8, v4
; %bb.61:                               ;   in Loop: Header=BB200_9 Depth=1
	s_delay_alu instid0(VALU_DEP_2) | instskip(NEXT) | instid1(VALU_DEP_1)
	v_clz_i32_u32_e32 v0, v26
	v_min_u32_e32 v0, 32, v0
	s_delay_alu instid0(VALU_DEP_1) | instskip(SKIP_1) | instid1(VALU_DEP_2)
	v_subrev_nc_u32_e32 v1, 28, v0
	v_sub_nc_u32_e32 v3, 29, v0
	v_lshlrev_b64_e32 v[4:5], v1, v[26:27]
	s_delay_alu instid0(VALU_DEP_1)
	v_and_b32_e32 v26, 7, v4
; %bb.62:                               ;   in Loop: Header=BB200_9 Depth=1
	s_or_b32 exec_lo, exec_lo, s19
	v_lshlrev_b32_e32 v0, 24, v2
	s_delay_alu instid0(VALU_DEP_2) | instskip(SKIP_1) | instid1(VALU_DEP_3)
	v_lshlrev_b32_e32 v1, 20, v26
	v_lshl_add_u32 v3, v3, 23, 0x3c000000
	v_and_b32_e32 v0, 0x80000000, v0
	s_delay_alu instid0(VALU_DEP_1)
	v_or3_b32 v26, v1, v0, v3
	scratch_store_b64 off, v[26:27], s32 offset:252 ; 8-byte Folded Spill
.LBB200_63:                             ;   in Loop: Header=BB200_9 Depth=1
	s_wait_xcnt 0x0
	s_or_b32 exec_lo, exec_lo, s18
.LBB200_64:                             ;   in Loop: Header=BB200_9 Depth=1
	s_delay_alu instid0(SALU_CYCLE_1)
	s_or_b32 exec_lo, exec_lo, s17
.LBB200_65:                             ;   in Loop: Header=BB200_9 Depth=1
	s_delay_alu instid0(SALU_CYCLE_1) | instskip(SKIP_2) | instid1(VALU_DEP_1)
	s_or_b32 exec_lo, exec_lo, s11
	v_lshrrev_b16 v3, 8, v2
	s_mov_b32 s11, exec_lo
	v_cmpx_ne_u16_e32 0, v3
	s_cbranch_execz .LBB200_73
; %bb.66:                               ;   in Loop: Header=BB200_9 Depth=1
	v_mov_b64_e32 v[0:1], 0x8000000000000000
	s_mov_b32 s17, exec_lo
	scratch_store_b64 off, v[0:1], s32 offset:244 ; 8-byte Folded Spill
	s_wait_xcnt 0x0
	v_cmpx_ne_u16_e32 0x80, v3
	s_cbranch_execz .LBB200_72
; %bb.67:                               ;   in Loop: Header=BB200_9 Depth=1
	v_and_b32_e32 v1, 0xffff, v3
	v_mov_b64_e32 v[6:7], 0x7f80000100000000
	s_mov_b32 s18, exec_lo
	s_delay_alu instid0(VALU_DEP_2)
	v_and_b32_e32 v4, 0x7f, v1
	scratch_store_b64 off, v[6:7], s32 offset:244 ; 8-byte Folded Spill
	s_wait_xcnt 0x0
	v_cmpx_ne_u32_e32 0x7f, v4
	s_cbranch_execz .LBB200_71
; %bb.68:                               ;   in Loop: Header=BB200_9 Depth=1
	v_dual_lshrrev_b32 v3, 3, v4 :: v_dual_bitop2_b32 v26, 7, v1 bitop3:0x40
	s_mov_b32 s19, exec_lo
	v_cmpx_gt_u32_e32 8, v4
; %bb.69:                               ;   in Loop: Header=BB200_9 Depth=1
	s_delay_alu instid0(VALU_DEP_2) | instskip(NEXT) | instid1(VALU_DEP_1)
	v_clz_i32_u32_e32 v0, v26
	v_min_u32_e32 v0, 32, v0
	s_delay_alu instid0(VALU_DEP_1) | instskip(SKIP_1) | instid1(VALU_DEP_2)
	v_subrev_nc_u32_e32 v1, 28, v0
	v_sub_nc_u32_e32 v3, 29, v0
	v_lshlrev_b64_e32 v[4:5], v1, v[26:27]
	s_delay_alu instid0(VALU_DEP_1)
	v_and_b32_e32 v26, 7, v4
; %bb.70:                               ;   in Loop: Header=BB200_9 Depth=1
	s_or_b32 exec_lo, exec_lo, s19
	v_lshlrev_b32_e32 v0, 16, v2
	s_delay_alu instid0(VALU_DEP_2) | instskip(SKIP_1) | instid1(VALU_DEP_3)
	v_lshlrev_b32_e32 v1, 20, v26
	v_lshl_add_u32 v2, v3, 23, 0x3c000000
	v_and_b32_e32 v0, 0x80000000, v0
	s_delay_alu instid0(VALU_DEP_1)
	v_or3_b32 v1, v1, v0, v2
	v_mov_b32_e32 v0, v27
	scratch_store_b64 off, v[0:1], s32 offset:244 ; 8-byte Folded Spill
.LBB200_71:                             ;   in Loop: Header=BB200_9 Depth=1
	s_wait_xcnt 0x0
	s_or_b32 exec_lo, exec_lo, s18
.LBB200_72:                             ;   in Loop: Header=BB200_9 Depth=1
	s_delay_alu instid0(SALU_CYCLE_1)
	s_or_b32 exec_lo, exec_lo, s17
.LBB200_73:                             ;   in Loop: Header=BB200_9 Depth=1
	s_delay_alu instid0(SALU_CYCLE_1) | instskip(SKIP_4) | instid1(VALU_DEP_1)
	s_or_b32 exec_lo, exec_lo, s11
	flat_load_u16 v0, v[36:37] offset:256
	s_wait_loadcnt_dscnt 0x0
	v_and_b32_e32 v2, 0xffff, v0
	v_and_b32_e32 v0, 0xff, v0
	v_cmp_ne_u16_e64 s2, 0, v0
	v_mov_b64_e32 v[0:1], 0
	scratch_store_b64 off, v[0:1], s32 offset:260 ; 8-byte Folded Spill
	s_wait_xcnt 0x0
	v_mov_b64_e32 v[0:1], 0
	scratch_store_b64 off, v[0:1], s32 offset:268 ; 8-byte Folded Spill
	s_wait_xcnt 0x0
	s_and_saveexec_b32 s11, s2
	s_cbranch_execz .LBB200_81
; %bb.74:                               ;   in Loop: Header=BB200_9 Depth=1
	v_and_b32_e32 v0, 0xff, v2
	s_delay_alu instid0(VALU_DEP_1)
	v_cmp_ne_u16_e64 s2, 0x80, v0
	v_mov_b64_e32 v[0:1], 0x80000000
	scratch_store_b64 off, v[0:1], s32 offset:268 ; 8-byte Folded Spill
	s_wait_xcnt 0x0
	s_and_saveexec_b32 s17, s2
	s_cbranch_execz .LBB200_80
; %bb.75:                               ;   in Loop: Header=BB200_9 Depth=1
	v_mov_b64_e32 v[0:1], 0x7f800001
	v_and_b32_e32 v4, 0x7f, v2
	s_mov_b32 s18, exec_lo
	scratch_store_b64 off, v[0:1], s32 offset:268 ; 8-byte Folded Spill
	s_wait_xcnt 0x0
	v_cmpx_ne_u32_e32 0x7f, v4
	s_cbranch_execz .LBB200_79
; %bb.76:                               ;   in Loop: Header=BB200_9 Depth=1
	v_dual_lshrrev_b32 v3, 3, v4 :: v_dual_bitop2_b32 v26, 7, v2 bitop3:0x40
	s_mov_b32 s19, exec_lo
	v_cmpx_gt_u32_e32 8, v4
; %bb.77:                               ;   in Loop: Header=BB200_9 Depth=1
	s_delay_alu instid0(VALU_DEP_2) | instskip(NEXT) | instid1(VALU_DEP_1)
	v_clz_i32_u32_e32 v0, v26
	v_min_u32_e32 v0, 32, v0
	s_delay_alu instid0(VALU_DEP_1) | instskip(SKIP_1) | instid1(VALU_DEP_2)
	v_subrev_nc_u32_e32 v1, 28, v0
	v_sub_nc_u32_e32 v3, 29, v0
	v_lshlrev_b64_e32 v[4:5], v1, v[26:27]
	s_delay_alu instid0(VALU_DEP_1)
	v_and_b32_e32 v26, 7, v4
; %bb.78:                               ;   in Loop: Header=BB200_9 Depth=1
	s_or_b32 exec_lo, exec_lo, s19
	v_lshlrev_b32_e32 v0, 24, v2
	s_delay_alu instid0(VALU_DEP_2) | instskip(SKIP_1) | instid1(VALU_DEP_3)
	v_lshlrev_b32_e32 v1, 20, v26
	v_lshl_add_u32 v3, v3, 23, 0x3c000000
	v_and_b32_e32 v0, 0x80000000, v0
	s_delay_alu instid0(VALU_DEP_1)
	v_or3_b32 v26, v1, v0, v3
	scratch_store_b64 off, v[26:27], s32 offset:268 ; 8-byte Folded Spill
.LBB200_79:                             ;   in Loop: Header=BB200_9 Depth=1
	s_wait_xcnt 0x0
	s_or_b32 exec_lo, exec_lo, s18
.LBB200_80:                             ;   in Loop: Header=BB200_9 Depth=1
	s_delay_alu instid0(SALU_CYCLE_1)
	s_or_b32 exec_lo, exec_lo, s17
.LBB200_81:                             ;   in Loop: Header=BB200_9 Depth=1
	s_delay_alu instid0(SALU_CYCLE_1) | instskip(SKIP_2) | instid1(VALU_DEP_1)
	s_or_b32 exec_lo, exec_lo, s11
	v_lshrrev_b16 v3, 8, v2
	s_mov_b32 s11, exec_lo
	v_cmpx_ne_u16_e32 0, v3
	s_cbranch_execz .LBB200_89
; %bb.82:                               ;   in Loop: Header=BB200_9 Depth=1
	v_mov_b64_e32 v[0:1], 0x8000000000000000
	s_mov_b32 s17, exec_lo
	scratch_store_b64 off, v[0:1], s32 offset:260 ; 8-byte Folded Spill
	s_wait_xcnt 0x0
	v_cmpx_ne_u16_e32 0x80, v3
	s_cbranch_execz .LBB200_88
; %bb.83:                               ;   in Loop: Header=BB200_9 Depth=1
	v_and_b32_e32 v1, 0xffff, v3
	v_mov_b64_e32 v[6:7], 0x7f80000100000000
	s_mov_b32 s18, exec_lo
	s_delay_alu instid0(VALU_DEP_2)
	v_and_b32_e32 v4, 0x7f, v1
	scratch_store_b64 off, v[6:7], s32 offset:260 ; 8-byte Folded Spill
	s_wait_xcnt 0x0
	v_cmpx_ne_u32_e32 0x7f, v4
	s_cbranch_execz .LBB200_87
; %bb.84:                               ;   in Loop: Header=BB200_9 Depth=1
	v_dual_lshrrev_b32 v3, 3, v4 :: v_dual_bitop2_b32 v26, 7, v1 bitop3:0x40
	s_mov_b32 s19, exec_lo
	v_cmpx_gt_u32_e32 8, v4
; %bb.85:                               ;   in Loop: Header=BB200_9 Depth=1
	s_delay_alu instid0(VALU_DEP_2) | instskip(NEXT) | instid1(VALU_DEP_1)
	v_clz_i32_u32_e32 v0, v26
	v_min_u32_e32 v0, 32, v0
	s_delay_alu instid0(VALU_DEP_1) | instskip(SKIP_1) | instid1(VALU_DEP_2)
	v_subrev_nc_u32_e32 v1, 28, v0
	v_sub_nc_u32_e32 v3, 29, v0
	v_lshlrev_b64_e32 v[4:5], v1, v[26:27]
	s_delay_alu instid0(VALU_DEP_1)
	v_and_b32_e32 v26, 7, v4
; %bb.86:                               ;   in Loop: Header=BB200_9 Depth=1
	s_or_b32 exec_lo, exec_lo, s19
	v_lshlrev_b32_e32 v0, 16, v2
	s_delay_alu instid0(VALU_DEP_2) | instskip(SKIP_1) | instid1(VALU_DEP_3)
	v_lshlrev_b32_e32 v1, 20, v26
	v_lshl_add_u32 v2, v3, 23, 0x3c000000
	v_and_b32_e32 v0, 0x80000000, v0
	s_delay_alu instid0(VALU_DEP_1)
	v_or3_b32 v1, v1, v0, v2
	v_mov_b32_e32 v0, v27
	scratch_store_b64 off, v[0:1], s32 offset:260 ; 8-byte Folded Spill
.LBB200_87:                             ;   in Loop: Header=BB200_9 Depth=1
	s_wait_xcnt 0x0
	s_or_b32 exec_lo, exec_lo, s18
.LBB200_88:                             ;   in Loop: Header=BB200_9 Depth=1
	s_delay_alu instid0(SALU_CYCLE_1)
	s_or_b32 exec_lo, exec_lo, s17
.LBB200_89:                             ;   in Loop: Header=BB200_9 Depth=1
	s_delay_alu instid0(SALU_CYCLE_1) | instskip(SKIP_4) | instid1(VALU_DEP_1)
	s_or_b32 exec_lo, exec_lo, s11
	flat_load_u16 v0, v[36:37] offset:260
	s_wait_loadcnt_dscnt 0x0
	v_and_b32_e32 v2, 0xffff, v0
	v_and_b32_e32 v0, 0xff, v0
	v_cmp_ne_u16_e64 s2, 0, v0
	v_mov_b64_e32 v[0:1], 0
	scratch_store_b64 off, v[0:1], s32 offset:276 ; 8-byte Folded Spill
	s_wait_xcnt 0x0
	v_mov_b64_e32 v[0:1], 0
	scratch_store_b64 off, v[0:1], s32 offset:284 ; 8-byte Folded Spill
	s_wait_xcnt 0x0
	s_and_saveexec_b32 s11, s2
	s_cbranch_execz .LBB200_97
; %bb.90:                               ;   in Loop: Header=BB200_9 Depth=1
	v_and_b32_e32 v0, 0xff, v2
	s_delay_alu instid0(VALU_DEP_1)
	v_cmp_ne_u16_e64 s2, 0x80, v0
	v_mov_b64_e32 v[0:1], 0x80000000
	scratch_store_b64 off, v[0:1], s32 offset:284 ; 8-byte Folded Spill
	s_wait_xcnt 0x0
	s_and_saveexec_b32 s17, s2
	s_cbranch_execz .LBB200_96
; %bb.91:                               ;   in Loop: Header=BB200_9 Depth=1
	v_mov_b64_e32 v[0:1], 0x7f800001
	v_and_b32_e32 v4, 0x7f, v2
	s_mov_b32 s18, exec_lo
	scratch_store_b64 off, v[0:1], s32 offset:284 ; 8-byte Folded Spill
	s_wait_xcnt 0x0
	v_cmpx_ne_u32_e32 0x7f, v4
	s_cbranch_execz .LBB200_95
; %bb.92:                               ;   in Loop: Header=BB200_9 Depth=1
	v_dual_lshrrev_b32 v3, 3, v4 :: v_dual_bitop2_b32 v26, 7, v2 bitop3:0x40
	s_mov_b32 s19, exec_lo
	v_cmpx_gt_u32_e32 8, v4
; %bb.93:                               ;   in Loop: Header=BB200_9 Depth=1
	s_delay_alu instid0(VALU_DEP_2) | instskip(NEXT) | instid1(VALU_DEP_1)
	v_clz_i32_u32_e32 v0, v26
	v_min_u32_e32 v0, 32, v0
	s_delay_alu instid0(VALU_DEP_1) | instskip(SKIP_1) | instid1(VALU_DEP_2)
	v_subrev_nc_u32_e32 v1, 28, v0
	v_sub_nc_u32_e32 v3, 29, v0
	v_lshlrev_b64_e32 v[4:5], v1, v[26:27]
	s_delay_alu instid0(VALU_DEP_1)
	v_and_b32_e32 v26, 7, v4
; %bb.94:                               ;   in Loop: Header=BB200_9 Depth=1
	s_or_b32 exec_lo, exec_lo, s19
	v_lshlrev_b32_e32 v0, 24, v2
	s_delay_alu instid0(VALU_DEP_2) | instskip(SKIP_1) | instid1(VALU_DEP_3)
	v_lshlrev_b32_e32 v1, 20, v26
	v_lshl_add_u32 v3, v3, 23, 0x3c000000
	v_and_b32_e32 v0, 0x80000000, v0
	s_delay_alu instid0(VALU_DEP_1)
	v_or3_b32 v26, v1, v0, v3
	scratch_store_b64 off, v[26:27], s32 offset:284 ; 8-byte Folded Spill
.LBB200_95:                             ;   in Loop: Header=BB200_9 Depth=1
	s_wait_xcnt 0x0
	s_or_b32 exec_lo, exec_lo, s18
.LBB200_96:                             ;   in Loop: Header=BB200_9 Depth=1
	s_delay_alu instid0(SALU_CYCLE_1)
	s_or_b32 exec_lo, exec_lo, s17
.LBB200_97:                             ;   in Loop: Header=BB200_9 Depth=1
	s_delay_alu instid0(SALU_CYCLE_1) | instskip(SKIP_2) | instid1(VALU_DEP_1)
	s_or_b32 exec_lo, exec_lo, s11
	v_lshrrev_b16 v3, 8, v2
	s_mov_b32 s11, exec_lo
	v_cmpx_ne_u16_e32 0, v3
	s_cbranch_execz .LBB200_105
; %bb.98:                               ;   in Loop: Header=BB200_9 Depth=1
	v_mov_b64_e32 v[0:1], 0x8000000000000000
	s_mov_b32 s17, exec_lo
	scratch_store_b64 off, v[0:1], s32 offset:276 ; 8-byte Folded Spill
	s_wait_xcnt 0x0
	v_cmpx_ne_u16_e32 0x80, v3
	s_cbranch_execz .LBB200_104
; %bb.99:                               ;   in Loop: Header=BB200_9 Depth=1
	v_and_b32_e32 v1, 0xffff, v3
	v_mov_b64_e32 v[6:7], 0x7f80000100000000
	s_mov_b32 s18, exec_lo
	s_delay_alu instid0(VALU_DEP_2)
	v_and_b32_e32 v4, 0x7f, v1
	scratch_store_b64 off, v[6:7], s32 offset:276 ; 8-byte Folded Spill
	s_wait_xcnt 0x0
	v_cmpx_ne_u32_e32 0x7f, v4
	s_cbranch_execz .LBB200_103
; %bb.100:                              ;   in Loop: Header=BB200_9 Depth=1
	v_dual_lshrrev_b32 v3, 3, v4 :: v_dual_bitop2_b32 v26, 7, v1 bitop3:0x40
	s_mov_b32 s19, exec_lo
	v_cmpx_gt_u32_e32 8, v4
; %bb.101:                              ;   in Loop: Header=BB200_9 Depth=1
	s_delay_alu instid0(VALU_DEP_2) | instskip(NEXT) | instid1(VALU_DEP_1)
	v_clz_i32_u32_e32 v0, v26
	v_min_u32_e32 v0, 32, v0
	s_delay_alu instid0(VALU_DEP_1) | instskip(SKIP_1) | instid1(VALU_DEP_2)
	v_subrev_nc_u32_e32 v1, 28, v0
	v_sub_nc_u32_e32 v3, 29, v0
	v_lshlrev_b64_e32 v[4:5], v1, v[26:27]
	s_delay_alu instid0(VALU_DEP_1)
	v_and_b32_e32 v26, 7, v4
; %bb.102:                              ;   in Loop: Header=BB200_9 Depth=1
	s_or_b32 exec_lo, exec_lo, s19
	v_lshlrev_b32_e32 v0, 16, v2
	s_delay_alu instid0(VALU_DEP_2) | instskip(SKIP_1) | instid1(VALU_DEP_3)
	v_lshlrev_b32_e32 v1, 20, v26
	v_lshl_add_u32 v2, v3, 23, 0x3c000000
	v_and_b32_e32 v0, 0x80000000, v0
	s_delay_alu instid0(VALU_DEP_1)
	v_or3_b32 v1, v1, v0, v2
	v_mov_b32_e32 v0, v27
	scratch_store_b64 off, v[0:1], s32 offset:276 ; 8-byte Folded Spill
.LBB200_103:                            ;   in Loop: Header=BB200_9 Depth=1
	s_wait_xcnt 0x0
	s_or_b32 exec_lo, exec_lo, s18
.LBB200_104:                            ;   in Loop: Header=BB200_9 Depth=1
	s_delay_alu instid0(SALU_CYCLE_1)
	s_or_b32 exec_lo, exec_lo, s17
.LBB200_105:                            ;   in Loop: Header=BB200_9 Depth=1
	s_delay_alu instid0(SALU_CYCLE_1) | instskip(SKIP_4) | instid1(VALU_DEP_1)
	s_or_b32 exec_lo, exec_lo, s11
	flat_load_u16 v0, v[36:37] offset:264
	s_wait_loadcnt_dscnt 0x0
	v_and_b32_e32 v2, 0xffff, v0
	v_and_b32_e32 v0, 0xff, v0
	v_cmp_ne_u16_e64 s2, 0, v0
	v_mov_b64_e32 v[0:1], 0
	scratch_store_b64 off, v[0:1], s32 offset:292 ; 8-byte Folded Spill
	s_wait_xcnt 0x0
	v_mov_b64_e32 v[0:1], 0
	scratch_store_b64 off, v[0:1], s32 offset:300 ; 8-byte Folded Spill
	s_wait_xcnt 0x0
	s_and_saveexec_b32 s11, s2
	s_cbranch_execz .LBB200_113
; %bb.106:                              ;   in Loop: Header=BB200_9 Depth=1
	v_and_b32_e32 v0, 0xff, v2
	s_delay_alu instid0(VALU_DEP_1)
	v_cmp_ne_u16_e64 s2, 0x80, v0
	v_mov_b64_e32 v[0:1], 0x80000000
	scratch_store_b64 off, v[0:1], s32 offset:300 ; 8-byte Folded Spill
	s_wait_xcnt 0x0
	s_and_saveexec_b32 s17, s2
	s_cbranch_execz .LBB200_112
; %bb.107:                              ;   in Loop: Header=BB200_9 Depth=1
	v_mov_b64_e32 v[0:1], 0x7f800001
	v_and_b32_e32 v4, 0x7f, v2
	s_mov_b32 s18, exec_lo
	scratch_store_b64 off, v[0:1], s32 offset:300 ; 8-byte Folded Spill
	s_wait_xcnt 0x0
	v_cmpx_ne_u32_e32 0x7f, v4
	s_cbranch_execz .LBB200_111
; %bb.108:                              ;   in Loop: Header=BB200_9 Depth=1
	v_dual_lshrrev_b32 v3, 3, v4 :: v_dual_bitop2_b32 v26, 7, v2 bitop3:0x40
	s_mov_b32 s19, exec_lo
	v_cmpx_gt_u32_e32 8, v4
; %bb.109:                              ;   in Loop: Header=BB200_9 Depth=1
	s_delay_alu instid0(VALU_DEP_2) | instskip(NEXT) | instid1(VALU_DEP_1)
	v_clz_i32_u32_e32 v0, v26
	v_min_u32_e32 v0, 32, v0
	s_delay_alu instid0(VALU_DEP_1) | instskip(SKIP_1) | instid1(VALU_DEP_2)
	v_subrev_nc_u32_e32 v1, 28, v0
	v_sub_nc_u32_e32 v3, 29, v0
	v_lshlrev_b64_e32 v[4:5], v1, v[26:27]
	s_delay_alu instid0(VALU_DEP_1)
	v_and_b32_e32 v26, 7, v4
; %bb.110:                              ;   in Loop: Header=BB200_9 Depth=1
	s_or_b32 exec_lo, exec_lo, s19
	v_lshlrev_b32_e32 v0, 24, v2
	s_delay_alu instid0(VALU_DEP_2) | instskip(SKIP_1) | instid1(VALU_DEP_3)
	v_lshlrev_b32_e32 v1, 20, v26
	v_lshl_add_u32 v3, v3, 23, 0x3c000000
	v_and_b32_e32 v0, 0x80000000, v0
	s_delay_alu instid0(VALU_DEP_1)
	v_or3_b32 v26, v1, v0, v3
	scratch_store_b64 off, v[26:27], s32 offset:300 ; 8-byte Folded Spill
.LBB200_111:                            ;   in Loop: Header=BB200_9 Depth=1
	s_wait_xcnt 0x0
	s_or_b32 exec_lo, exec_lo, s18
.LBB200_112:                            ;   in Loop: Header=BB200_9 Depth=1
	s_delay_alu instid0(SALU_CYCLE_1)
	s_or_b32 exec_lo, exec_lo, s17
.LBB200_113:                            ;   in Loop: Header=BB200_9 Depth=1
	s_delay_alu instid0(SALU_CYCLE_1) | instskip(SKIP_2) | instid1(VALU_DEP_1)
	s_or_b32 exec_lo, exec_lo, s11
	v_lshrrev_b16 v3, 8, v2
	s_mov_b32 s11, exec_lo
	v_cmpx_ne_u16_e32 0, v3
	s_cbranch_execz .LBB200_121
; %bb.114:                              ;   in Loop: Header=BB200_9 Depth=1
	v_mov_b64_e32 v[0:1], 0x8000000000000000
	s_mov_b32 s17, exec_lo
	scratch_store_b64 off, v[0:1], s32 offset:292 ; 8-byte Folded Spill
	s_wait_xcnt 0x0
	v_cmpx_ne_u16_e32 0x80, v3
	s_cbranch_execz .LBB200_120
; %bb.115:                              ;   in Loop: Header=BB200_9 Depth=1
	v_and_b32_e32 v1, 0xffff, v3
	v_mov_b64_e32 v[6:7], 0x7f80000100000000
	s_mov_b32 s18, exec_lo
	s_delay_alu instid0(VALU_DEP_2)
	v_and_b32_e32 v4, 0x7f, v1
	scratch_store_b64 off, v[6:7], s32 offset:292 ; 8-byte Folded Spill
	s_wait_xcnt 0x0
	v_cmpx_ne_u32_e32 0x7f, v4
	s_cbranch_execz .LBB200_119
; %bb.116:                              ;   in Loop: Header=BB200_9 Depth=1
	v_dual_lshrrev_b32 v3, 3, v4 :: v_dual_bitop2_b32 v26, 7, v1 bitop3:0x40
	s_mov_b32 s19, exec_lo
	v_cmpx_gt_u32_e32 8, v4
; %bb.117:                              ;   in Loop: Header=BB200_9 Depth=1
	s_delay_alu instid0(VALU_DEP_2) | instskip(NEXT) | instid1(VALU_DEP_1)
	v_clz_i32_u32_e32 v0, v26
	v_min_u32_e32 v0, 32, v0
	s_delay_alu instid0(VALU_DEP_1) | instskip(SKIP_1) | instid1(VALU_DEP_2)
	v_subrev_nc_u32_e32 v1, 28, v0
	v_sub_nc_u32_e32 v3, 29, v0
	v_lshlrev_b64_e32 v[4:5], v1, v[26:27]
	s_delay_alu instid0(VALU_DEP_1)
	v_and_b32_e32 v26, 7, v4
; %bb.118:                              ;   in Loop: Header=BB200_9 Depth=1
	s_or_b32 exec_lo, exec_lo, s19
	v_lshlrev_b32_e32 v0, 16, v2
	s_delay_alu instid0(VALU_DEP_2) | instskip(SKIP_1) | instid1(VALU_DEP_3)
	v_lshlrev_b32_e32 v1, 20, v26
	v_lshl_add_u32 v2, v3, 23, 0x3c000000
	v_and_b32_e32 v0, 0x80000000, v0
	s_delay_alu instid0(VALU_DEP_1)
	v_or3_b32 v1, v1, v0, v2
	v_mov_b32_e32 v0, v27
	scratch_store_b64 off, v[0:1], s32 offset:292 ; 8-byte Folded Spill
.LBB200_119:                            ;   in Loop: Header=BB200_9 Depth=1
	s_wait_xcnt 0x0
	s_or_b32 exec_lo, exec_lo, s18
.LBB200_120:                            ;   in Loop: Header=BB200_9 Depth=1
	s_delay_alu instid0(SALU_CYCLE_1)
	s_or_b32 exec_lo, exec_lo, s17
.LBB200_121:                            ;   in Loop: Header=BB200_9 Depth=1
	s_delay_alu instid0(SALU_CYCLE_1) | instskip(SKIP_4) | instid1(VALU_DEP_1)
	s_or_b32 exec_lo, exec_lo, s11
	flat_load_u16 v0, v[36:37] offset:268
	s_wait_loadcnt_dscnt 0x0
	v_and_b32_e32 v2, 0xffff, v0
	v_and_b32_e32 v0, 0xff, v0
	v_cmp_ne_u16_e64 s2, 0, v0
	v_mov_b64_e32 v[0:1], 0
	scratch_store_b64 off, v[0:1], s32 offset:308 ; 8-byte Folded Spill
	s_wait_xcnt 0x0
	v_mov_b64_e32 v[0:1], 0
	scratch_store_b64 off, v[0:1], s32 offset:316 ; 8-byte Folded Spill
	s_wait_xcnt 0x0
	s_and_saveexec_b32 s11, s2
	s_cbranch_execz .LBB200_129
; %bb.122:                              ;   in Loop: Header=BB200_9 Depth=1
	v_and_b32_e32 v0, 0xff, v2
	s_delay_alu instid0(VALU_DEP_1)
	v_cmp_ne_u16_e64 s2, 0x80, v0
	v_mov_b64_e32 v[0:1], 0x80000000
	scratch_store_b64 off, v[0:1], s32 offset:316 ; 8-byte Folded Spill
	s_wait_xcnt 0x0
	s_and_saveexec_b32 s17, s2
	s_cbranch_execz .LBB200_128
; %bb.123:                              ;   in Loop: Header=BB200_9 Depth=1
	v_mov_b64_e32 v[0:1], 0x7f800001
	v_and_b32_e32 v4, 0x7f, v2
	s_mov_b32 s18, exec_lo
	scratch_store_b64 off, v[0:1], s32 offset:316 ; 8-byte Folded Spill
	s_wait_xcnt 0x0
	v_cmpx_ne_u32_e32 0x7f, v4
	s_cbranch_execz .LBB200_127
; %bb.124:                              ;   in Loop: Header=BB200_9 Depth=1
	v_dual_lshrrev_b32 v3, 3, v4 :: v_dual_bitop2_b32 v26, 7, v2 bitop3:0x40
	s_mov_b32 s19, exec_lo
	v_cmpx_gt_u32_e32 8, v4
; %bb.125:                              ;   in Loop: Header=BB200_9 Depth=1
	s_delay_alu instid0(VALU_DEP_2) | instskip(NEXT) | instid1(VALU_DEP_1)
	v_clz_i32_u32_e32 v0, v26
	v_min_u32_e32 v0, 32, v0
	s_delay_alu instid0(VALU_DEP_1) | instskip(SKIP_1) | instid1(VALU_DEP_2)
	v_subrev_nc_u32_e32 v1, 28, v0
	v_sub_nc_u32_e32 v3, 29, v0
	v_lshlrev_b64_e32 v[4:5], v1, v[26:27]
	s_delay_alu instid0(VALU_DEP_1)
	v_and_b32_e32 v26, 7, v4
; %bb.126:                              ;   in Loop: Header=BB200_9 Depth=1
	s_or_b32 exec_lo, exec_lo, s19
	v_lshlrev_b32_e32 v0, 24, v2
	s_delay_alu instid0(VALU_DEP_2) | instskip(SKIP_1) | instid1(VALU_DEP_3)
	v_lshlrev_b32_e32 v1, 20, v26
	v_lshl_add_u32 v3, v3, 23, 0x3c000000
	v_and_b32_e32 v0, 0x80000000, v0
	s_delay_alu instid0(VALU_DEP_1)
	v_or3_b32 v26, v1, v0, v3
	scratch_store_b64 off, v[26:27], s32 offset:316 ; 8-byte Folded Spill
.LBB200_127:                            ;   in Loop: Header=BB200_9 Depth=1
	s_wait_xcnt 0x0
	s_or_b32 exec_lo, exec_lo, s18
.LBB200_128:                            ;   in Loop: Header=BB200_9 Depth=1
	s_delay_alu instid0(SALU_CYCLE_1)
	s_or_b32 exec_lo, exec_lo, s17
.LBB200_129:                            ;   in Loop: Header=BB200_9 Depth=1
	s_delay_alu instid0(SALU_CYCLE_1) | instskip(SKIP_2) | instid1(VALU_DEP_1)
	s_or_b32 exec_lo, exec_lo, s11
	v_lshrrev_b16 v3, 8, v2
	s_mov_b32 s11, exec_lo
	v_cmpx_ne_u16_e32 0, v3
	s_cbranch_execz .LBB200_137
; %bb.130:                              ;   in Loop: Header=BB200_9 Depth=1
	v_mov_b64_e32 v[0:1], 0x8000000000000000
	s_mov_b32 s17, exec_lo
	scratch_store_b64 off, v[0:1], s32 offset:308 ; 8-byte Folded Spill
	s_wait_xcnt 0x0
	v_cmpx_ne_u16_e32 0x80, v3
	s_cbranch_execz .LBB200_136
; %bb.131:                              ;   in Loop: Header=BB200_9 Depth=1
	v_and_b32_e32 v1, 0xffff, v3
	v_mov_b64_e32 v[6:7], 0x7f80000100000000
	s_mov_b32 s18, exec_lo
	s_delay_alu instid0(VALU_DEP_2)
	v_and_b32_e32 v4, 0x7f, v1
	scratch_store_b64 off, v[6:7], s32 offset:308 ; 8-byte Folded Spill
	s_wait_xcnt 0x0
	v_cmpx_ne_u32_e32 0x7f, v4
	s_cbranch_execz .LBB200_135
; %bb.132:                              ;   in Loop: Header=BB200_9 Depth=1
	v_dual_lshrrev_b32 v3, 3, v4 :: v_dual_bitop2_b32 v26, 7, v1 bitop3:0x40
	s_mov_b32 s19, exec_lo
	v_cmpx_gt_u32_e32 8, v4
; %bb.133:                              ;   in Loop: Header=BB200_9 Depth=1
	s_delay_alu instid0(VALU_DEP_2) | instskip(NEXT) | instid1(VALU_DEP_1)
	v_clz_i32_u32_e32 v0, v26
	v_min_u32_e32 v0, 32, v0
	s_delay_alu instid0(VALU_DEP_1) | instskip(SKIP_1) | instid1(VALU_DEP_2)
	v_subrev_nc_u32_e32 v1, 28, v0
	v_sub_nc_u32_e32 v3, 29, v0
	v_lshlrev_b64_e32 v[4:5], v1, v[26:27]
	s_delay_alu instid0(VALU_DEP_1)
	v_and_b32_e32 v26, 7, v4
; %bb.134:                              ;   in Loop: Header=BB200_9 Depth=1
	s_or_b32 exec_lo, exec_lo, s19
	v_lshlrev_b32_e32 v0, 16, v2
	s_delay_alu instid0(VALU_DEP_2) | instskip(SKIP_1) | instid1(VALU_DEP_3)
	v_lshlrev_b32_e32 v1, 20, v26
	v_lshl_add_u32 v2, v3, 23, 0x3c000000
	v_and_b32_e32 v0, 0x80000000, v0
	s_delay_alu instid0(VALU_DEP_1)
	v_or3_b32 v1, v1, v0, v2
	v_mov_b32_e32 v0, v27
	scratch_store_b64 off, v[0:1], s32 offset:308 ; 8-byte Folded Spill
.LBB200_135:                            ;   in Loop: Header=BB200_9 Depth=1
	s_wait_xcnt 0x0
	s_or_b32 exec_lo, exec_lo, s18
.LBB200_136:                            ;   in Loop: Header=BB200_9 Depth=1
	s_delay_alu instid0(SALU_CYCLE_1)
	s_or_b32 exec_lo, exec_lo, s17
.LBB200_137:                            ;   in Loop: Header=BB200_9 Depth=1
	s_delay_alu instid0(SALU_CYCLE_1) | instskip(SKIP_4) | instid1(VALU_DEP_1)
	s_or_b32 exec_lo, exec_lo, s11
	flat_load_u16 v0, v[36:37] offset:512
	s_wait_loadcnt_dscnt 0x0
	v_and_b32_e32 v2, 0xffff, v0
	v_and_b32_e32 v0, 0xff, v0
	v_cmp_ne_u16_e64 s2, 0, v0
	v_mov_b64_e32 v[0:1], 0
	scratch_store_b64 off, v[0:1], s32 offset:324 ; 8-byte Folded Spill
	s_wait_xcnt 0x0
	v_mov_b64_e32 v[0:1], 0
	scratch_store_b64 off, v[0:1], s32 offset:332 ; 8-byte Folded Spill
	s_wait_xcnt 0x0
	s_and_saveexec_b32 s11, s2
	s_cbranch_execz .LBB200_145
; %bb.138:                              ;   in Loop: Header=BB200_9 Depth=1
	v_and_b32_e32 v0, 0xff, v2
	s_delay_alu instid0(VALU_DEP_1)
	v_cmp_ne_u16_e64 s2, 0x80, v0
	v_mov_b64_e32 v[0:1], 0x80000000
	scratch_store_b64 off, v[0:1], s32 offset:332 ; 8-byte Folded Spill
	s_wait_xcnt 0x0
	s_and_saveexec_b32 s17, s2
	s_cbranch_execz .LBB200_144
; %bb.139:                              ;   in Loop: Header=BB200_9 Depth=1
	v_mov_b64_e32 v[0:1], 0x7f800001
	v_and_b32_e32 v4, 0x7f, v2
	s_mov_b32 s18, exec_lo
	scratch_store_b64 off, v[0:1], s32 offset:332 ; 8-byte Folded Spill
	s_wait_xcnt 0x0
	v_cmpx_ne_u32_e32 0x7f, v4
	s_cbranch_execz .LBB200_143
; %bb.140:                              ;   in Loop: Header=BB200_9 Depth=1
	v_dual_lshrrev_b32 v3, 3, v4 :: v_dual_bitop2_b32 v26, 7, v2 bitop3:0x40
	s_mov_b32 s19, exec_lo
	v_cmpx_gt_u32_e32 8, v4
; %bb.141:                              ;   in Loop: Header=BB200_9 Depth=1
	s_delay_alu instid0(VALU_DEP_2) | instskip(NEXT) | instid1(VALU_DEP_1)
	v_clz_i32_u32_e32 v0, v26
	v_min_u32_e32 v0, 32, v0
	s_delay_alu instid0(VALU_DEP_1) | instskip(SKIP_1) | instid1(VALU_DEP_2)
	v_subrev_nc_u32_e32 v1, 28, v0
	v_sub_nc_u32_e32 v3, 29, v0
	v_lshlrev_b64_e32 v[4:5], v1, v[26:27]
	s_delay_alu instid0(VALU_DEP_1)
	v_and_b32_e32 v26, 7, v4
; %bb.142:                              ;   in Loop: Header=BB200_9 Depth=1
	s_or_b32 exec_lo, exec_lo, s19
	v_lshlrev_b32_e32 v0, 24, v2
	s_delay_alu instid0(VALU_DEP_2) | instskip(SKIP_1) | instid1(VALU_DEP_3)
	v_lshlrev_b32_e32 v1, 20, v26
	v_lshl_add_u32 v3, v3, 23, 0x3c000000
	v_and_b32_e32 v0, 0x80000000, v0
	s_delay_alu instid0(VALU_DEP_1)
	v_or3_b32 v26, v1, v0, v3
	scratch_store_b64 off, v[26:27], s32 offset:332 ; 8-byte Folded Spill
.LBB200_143:                            ;   in Loop: Header=BB200_9 Depth=1
	s_wait_xcnt 0x0
	s_or_b32 exec_lo, exec_lo, s18
.LBB200_144:                            ;   in Loop: Header=BB200_9 Depth=1
	s_delay_alu instid0(SALU_CYCLE_1)
	s_or_b32 exec_lo, exec_lo, s17
.LBB200_145:                            ;   in Loop: Header=BB200_9 Depth=1
	s_delay_alu instid0(SALU_CYCLE_1) | instskip(SKIP_2) | instid1(VALU_DEP_1)
	s_or_b32 exec_lo, exec_lo, s11
	v_lshrrev_b16 v3, 8, v2
	s_mov_b32 s11, exec_lo
	v_cmpx_ne_u16_e32 0, v3
	s_cbranch_execz .LBB200_153
; %bb.146:                              ;   in Loop: Header=BB200_9 Depth=1
	v_mov_b64_e32 v[0:1], 0x8000000000000000
	s_mov_b32 s17, exec_lo
	scratch_store_b64 off, v[0:1], s32 offset:324 ; 8-byte Folded Spill
	s_wait_xcnt 0x0
	v_cmpx_ne_u16_e32 0x80, v3
	s_cbranch_execz .LBB200_152
; %bb.147:                              ;   in Loop: Header=BB200_9 Depth=1
	v_and_b32_e32 v1, 0xffff, v3
	v_mov_b64_e32 v[6:7], 0x7f80000100000000
	s_mov_b32 s18, exec_lo
	s_delay_alu instid0(VALU_DEP_2)
	v_and_b32_e32 v4, 0x7f, v1
	scratch_store_b64 off, v[6:7], s32 offset:324 ; 8-byte Folded Spill
	s_wait_xcnt 0x0
	v_cmpx_ne_u32_e32 0x7f, v4
	s_cbranch_execz .LBB200_151
; %bb.148:                              ;   in Loop: Header=BB200_9 Depth=1
	v_dual_lshrrev_b32 v3, 3, v4 :: v_dual_bitop2_b32 v26, 7, v1 bitop3:0x40
	s_mov_b32 s19, exec_lo
	v_cmpx_gt_u32_e32 8, v4
; %bb.149:                              ;   in Loop: Header=BB200_9 Depth=1
	s_delay_alu instid0(VALU_DEP_2) | instskip(NEXT) | instid1(VALU_DEP_1)
	v_clz_i32_u32_e32 v0, v26
	v_min_u32_e32 v0, 32, v0
	s_delay_alu instid0(VALU_DEP_1) | instskip(SKIP_1) | instid1(VALU_DEP_2)
	v_subrev_nc_u32_e32 v1, 28, v0
	v_sub_nc_u32_e32 v3, 29, v0
	v_lshlrev_b64_e32 v[4:5], v1, v[26:27]
	s_delay_alu instid0(VALU_DEP_1)
	v_and_b32_e32 v26, 7, v4
; %bb.150:                              ;   in Loop: Header=BB200_9 Depth=1
	s_or_b32 exec_lo, exec_lo, s19
	v_lshlrev_b32_e32 v0, 16, v2
	s_delay_alu instid0(VALU_DEP_2) | instskip(SKIP_1) | instid1(VALU_DEP_3)
	v_lshlrev_b32_e32 v1, 20, v26
	v_lshl_add_u32 v2, v3, 23, 0x3c000000
	v_and_b32_e32 v0, 0x80000000, v0
	s_delay_alu instid0(VALU_DEP_1)
	v_or3_b32 v1, v1, v0, v2
	v_mov_b32_e32 v0, v27
	scratch_store_b64 off, v[0:1], s32 offset:324 ; 8-byte Folded Spill
.LBB200_151:                            ;   in Loop: Header=BB200_9 Depth=1
	s_wait_xcnt 0x0
	s_or_b32 exec_lo, exec_lo, s18
.LBB200_152:                            ;   in Loop: Header=BB200_9 Depth=1
	s_delay_alu instid0(SALU_CYCLE_1)
	s_or_b32 exec_lo, exec_lo, s17
.LBB200_153:                            ;   in Loop: Header=BB200_9 Depth=1
	s_delay_alu instid0(SALU_CYCLE_1) | instskip(SKIP_4) | instid1(VALU_DEP_1)
	s_or_b32 exec_lo, exec_lo, s11
	flat_load_u16 v0, v[36:37] offset:516
	s_wait_loadcnt_dscnt 0x0
	v_and_b32_e32 v2, 0xffff, v0
	v_and_b32_e32 v0, 0xff, v0
	v_cmp_ne_u16_e64 s2, 0, v0
	v_mov_b64_e32 v[0:1], 0
	scratch_store_b64 off, v[0:1], s32 offset:340 ; 8-byte Folded Spill
	s_wait_xcnt 0x0
	v_mov_b64_e32 v[0:1], 0
	scratch_store_b64 off, v[0:1], s32 offset:348 ; 8-byte Folded Spill
	s_wait_xcnt 0x0
	s_and_saveexec_b32 s11, s2
	s_cbranch_execz .LBB200_161
; %bb.154:                              ;   in Loop: Header=BB200_9 Depth=1
	v_and_b32_e32 v0, 0xff, v2
	s_delay_alu instid0(VALU_DEP_1)
	v_cmp_ne_u16_e64 s2, 0x80, v0
	v_mov_b64_e32 v[0:1], 0x80000000
	scratch_store_b64 off, v[0:1], s32 offset:348 ; 8-byte Folded Spill
	s_wait_xcnt 0x0
	s_and_saveexec_b32 s17, s2
	s_cbranch_execz .LBB200_160
; %bb.155:                              ;   in Loop: Header=BB200_9 Depth=1
	v_mov_b64_e32 v[0:1], 0x7f800001
	v_and_b32_e32 v4, 0x7f, v2
	s_mov_b32 s18, exec_lo
	scratch_store_b64 off, v[0:1], s32 offset:348 ; 8-byte Folded Spill
	s_wait_xcnt 0x0
	v_cmpx_ne_u32_e32 0x7f, v4
	s_cbranch_execz .LBB200_159
; %bb.156:                              ;   in Loop: Header=BB200_9 Depth=1
	v_dual_lshrrev_b32 v3, 3, v4 :: v_dual_bitop2_b32 v26, 7, v2 bitop3:0x40
	s_mov_b32 s19, exec_lo
	v_cmpx_gt_u32_e32 8, v4
; %bb.157:                              ;   in Loop: Header=BB200_9 Depth=1
	s_delay_alu instid0(VALU_DEP_2) | instskip(NEXT) | instid1(VALU_DEP_1)
	v_clz_i32_u32_e32 v0, v26
	v_min_u32_e32 v0, 32, v0
	s_delay_alu instid0(VALU_DEP_1) | instskip(SKIP_1) | instid1(VALU_DEP_2)
	v_subrev_nc_u32_e32 v1, 28, v0
	v_sub_nc_u32_e32 v3, 29, v0
	v_lshlrev_b64_e32 v[4:5], v1, v[26:27]
	s_delay_alu instid0(VALU_DEP_1)
	v_and_b32_e32 v26, 7, v4
; %bb.158:                              ;   in Loop: Header=BB200_9 Depth=1
	s_or_b32 exec_lo, exec_lo, s19
	v_lshlrev_b32_e32 v0, 24, v2
	s_delay_alu instid0(VALU_DEP_2) | instskip(SKIP_1) | instid1(VALU_DEP_3)
	v_lshlrev_b32_e32 v1, 20, v26
	v_lshl_add_u32 v3, v3, 23, 0x3c000000
	v_and_b32_e32 v0, 0x80000000, v0
	s_delay_alu instid0(VALU_DEP_1)
	v_or3_b32 v26, v1, v0, v3
	scratch_store_b64 off, v[26:27], s32 offset:348 ; 8-byte Folded Spill
.LBB200_159:                            ;   in Loop: Header=BB200_9 Depth=1
	s_wait_xcnt 0x0
	s_or_b32 exec_lo, exec_lo, s18
.LBB200_160:                            ;   in Loop: Header=BB200_9 Depth=1
	s_delay_alu instid0(SALU_CYCLE_1)
	s_or_b32 exec_lo, exec_lo, s17
.LBB200_161:                            ;   in Loop: Header=BB200_9 Depth=1
	s_delay_alu instid0(SALU_CYCLE_1) | instskip(SKIP_2) | instid1(VALU_DEP_1)
	s_or_b32 exec_lo, exec_lo, s11
	v_lshrrev_b16 v3, 8, v2
	s_mov_b32 s11, exec_lo
	v_cmpx_ne_u16_e32 0, v3
	s_cbranch_execz .LBB200_169
; %bb.162:                              ;   in Loop: Header=BB200_9 Depth=1
	v_mov_b64_e32 v[0:1], 0x8000000000000000
	s_mov_b32 s17, exec_lo
	scratch_store_b64 off, v[0:1], s32 offset:340 ; 8-byte Folded Spill
	s_wait_xcnt 0x0
	v_cmpx_ne_u16_e32 0x80, v3
	s_cbranch_execz .LBB200_168
; %bb.163:                              ;   in Loop: Header=BB200_9 Depth=1
	v_and_b32_e32 v1, 0xffff, v3
	v_mov_b64_e32 v[6:7], 0x7f80000100000000
	s_mov_b32 s18, exec_lo
	s_delay_alu instid0(VALU_DEP_2)
	v_and_b32_e32 v4, 0x7f, v1
	scratch_store_b64 off, v[6:7], s32 offset:340 ; 8-byte Folded Spill
	s_wait_xcnt 0x0
	v_cmpx_ne_u32_e32 0x7f, v4
	s_cbranch_execz .LBB200_167
; %bb.164:                              ;   in Loop: Header=BB200_9 Depth=1
	v_dual_lshrrev_b32 v3, 3, v4 :: v_dual_bitop2_b32 v26, 7, v1 bitop3:0x40
	s_mov_b32 s19, exec_lo
	v_cmpx_gt_u32_e32 8, v4
; %bb.165:                              ;   in Loop: Header=BB200_9 Depth=1
	s_delay_alu instid0(VALU_DEP_2) | instskip(NEXT) | instid1(VALU_DEP_1)
	v_clz_i32_u32_e32 v0, v26
	v_min_u32_e32 v0, 32, v0
	s_delay_alu instid0(VALU_DEP_1) | instskip(SKIP_1) | instid1(VALU_DEP_2)
	v_subrev_nc_u32_e32 v1, 28, v0
	v_sub_nc_u32_e32 v3, 29, v0
	v_lshlrev_b64_e32 v[4:5], v1, v[26:27]
	s_delay_alu instid0(VALU_DEP_1)
	v_and_b32_e32 v26, 7, v4
; %bb.166:                              ;   in Loop: Header=BB200_9 Depth=1
	s_or_b32 exec_lo, exec_lo, s19
	v_lshlrev_b32_e32 v0, 16, v2
	s_delay_alu instid0(VALU_DEP_2) | instskip(SKIP_1) | instid1(VALU_DEP_3)
	v_lshlrev_b32_e32 v1, 20, v26
	v_lshl_add_u32 v2, v3, 23, 0x3c000000
	v_and_b32_e32 v0, 0x80000000, v0
	s_delay_alu instid0(VALU_DEP_1)
	v_or3_b32 v1, v1, v0, v2
	v_mov_b32_e32 v0, v27
	scratch_store_b64 off, v[0:1], s32 offset:340 ; 8-byte Folded Spill
.LBB200_167:                            ;   in Loop: Header=BB200_9 Depth=1
	s_wait_xcnt 0x0
	s_or_b32 exec_lo, exec_lo, s18
.LBB200_168:                            ;   in Loop: Header=BB200_9 Depth=1
	s_delay_alu instid0(SALU_CYCLE_1)
	s_or_b32 exec_lo, exec_lo, s17
.LBB200_169:                            ;   in Loop: Header=BB200_9 Depth=1
	s_delay_alu instid0(SALU_CYCLE_1) | instskip(SKIP_4) | instid1(VALU_DEP_1)
	s_or_b32 exec_lo, exec_lo, s11
	flat_load_u16 v0, v[36:37] offset:520
	s_wait_loadcnt_dscnt 0x0
	v_and_b32_e32 v2, 0xffff, v0
	v_and_b32_e32 v0, 0xff, v0
	v_cmp_ne_u16_e64 s2, 0, v0
	v_mov_b64_e32 v[0:1], 0
	scratch_store_b64 off, v[0:1], s32 offset:356 ; 8-byte Folded Spill
	s_wait_xcnt 0x0
	v_mov_b64_e32 v[0:1], 0
	scratch_store_b64 off, v[0:1], s32 offset:364 ; 8-byte Folded Spill
	s_wait_xcnt 0x0
	s_and_saveexec_b32 s11, s2
	s_cbranch_execz .LBB200_177
; %bb.170:                              ;   in Loop: Header=BB200_9 Depth=1
	v_and_b32_e32 v0, 0xff, v2
	s_delay_alu instid0(VALU_DEP_1)
	v_cmp_ne_u16_e64 s2, 0x80, v0
	v_mov_b64_e32 v[0:1], 0x80000000
	scratch_store_b64 off, v[0:1], s32 offset:364 ; 8-byte Folded Spill
	s_wait_xcnt 0x0
	s_and_saveexec_b32 s17, s2
	s_cbranch_execz .LBB200_176
; %bb.171:                              ;   in Loop: Header=BB200_9 Depth=1
	v_mov_b64_e32 v[0:1], 0x7f800001
	v_and_b32_e32 v4, 0x7f, v2
	s_mov_b32 s18, exec_lo
	scratch_store_b64 off, v[0:1], s32 offset:364 ; 8-byte Folded Spill
	s_wait_xcnt 0x0
	v_cmpx_ne_u32_e32 0x7f, v4
	s_cbranch_execz .LBB200_175
; %bb.172:                              ;   in Loop: Header=BB200_9 Depth=1
	v_dual_lshrrev_b32 v3, 3, v4 :: v_dual_bitop2_b32 v26, 7, v2 bitop3:0x40
	s_mov_b32 s19, exec_lo
	v_cmpx_gt_u32_e32 8, v4
; %bb.173:                              ;   in Loop: Header=BB200_9 Depth=1
	s_delay_alu instid0(VALU_DEP_2) | instskip(NEXT) | instid1(VALU_DEP_1)
	v_clz_i32_u32_e32 v0, v26
	v_min_u32_e32 v0, 32, v0
	s_delay_alu instid0(VALU_DEP_1) | instskip(SKIP_1) | instid1(VALU_DEP_2)
	v_subrev_nc_u32_e32 v1, 28, v0
	v_sub_nc_u32_e32 v3, 29, v0
	v_lshlrev_b64_e32 v[4:5], v1, v[26:27]
	s_delay_alu instid0(VALU_DEP_1)
	v_and_b32_e32 v26, 7, v4
; %bb.174:                              ;   in Loop: Header=BB200_9 Depth=1
	s_or_b32 exec_lo, exec_lo, s19
	v_lshlrev_b32_e32 v0, 24, v2
	s_delay_alu instid0(VALU_DEP_2) | instskip(SKIP_1) | instid1(VALU_DEP_3)
	v_lshlrev_b32_e32 v1, 20, v26
	v_lshl_add_u32 v3, v3, 23, 0x3c000000
	v_and_b32_e32 v0, 0x80000000, v0
	s_delay_alu instid0(VALU_DEP_1)
	v_or3_b32 v26, v1, v0, v3
	scratch_store_b64 off, v[26:27], s32 offset:364 ; 8-byte Folded Spill
.LBB200_175:                            ;   in Loop: Header=BB200_9 Depth=1
	s_wait_xcnt 0x0
	s_or_b32 exec_lo, exec_lo, s18
.LBB200_176:                            ;   in Loop: Header=BB200_9 Depth=1
	s_delay_alu instid0(SALU_CYCLE_1)
	s_or_b32 exec_lo, exec_lo, s17
.LBB200_177:                            ;   in Loop: Header=BB200_9 Depth=1
	s_delay_alu instid0(SALU_CYCLE_1) | instskip(SKIP_2) | instid1(VALU_DEP_1)
	s_or_b32 exec_lo, exec_lo, s11
	v_lshrrev_b16 v3, 8, v2
	s_mov_b32 s11, exec_lo
	v_cmpx_ne_u16_e32 0, v3
	s_cbranch_execz .LBB200_185
; %bb.178:                              ;   in Loop: Header=BB200_9 Depth=1
	v_mov_b64_e32 v[0:1], 0x8000000000000000
	s_mov_b32 s17, exec_lo
	scratch_store_b64 off, v[0:1], s32 offset:356 ; 8-byte Folded Spill
	s_wait_xcnt 0x0
	v_cmpx_ne_u16_e32 0x80, v3
	s_cbranch_execz .LBB200_184
; %bb.179:                              ;   in Loop: Header=BB200_9 Depth=1
	v_and_b32_e32 v1, 0xffff, v3
	v_mov_b64_e32 v[6:7], 0x7f80000100000000
	s_mov_b32 s18, exec_lo
	s_delay_alu instid0(VALU_DEP_2)
	v_and_b32_e32 v4, 0x7f, v1
	scratch_store_b64 off, v[6:7], s32 offset:356 ; 8-byte Folded Spill
	s_wait_xcnt 0x0
	v_cmpx_ne_u32_e32 0x7f, v4
	s_cbranch_execz .LBB200_183
; %bb.180:                              ;   in Loop: Header=BB200_9 Depth=1
	v_dual_lshrrev_b32 v3, 3, v4 :: v_dual_bitop2_b32 v26, 7, v1 bitop3:0x40
	s_mov_b32 s19, exec_lo
	v_cmpx_gt_u32_e32 8, v4
; %bb.181:                              ;   in Loop: Header=BB200_9 Depth=1
	s_delay_alu instid0(VALU_DEP_2) | instskip(NEXT) | instid1(VALU_DEP_1)
	v_clz_i32_u32_e32 v0, v26
	v_min_u32_e32 v0, 32, v0
	s_delay_alu instid0(VALU_DEP_1) | instskip(SKIP_1) | instid1(VALU_DEP_2)
	v_subrev_nc_u32_e32 v1, 28, v0
	v_sub_nc_u32_e32 v3, 29, v0
	v_lshlrev_b64_e32 v[4:5], v1, v[26:27]
	s_delay_alu instid0(VALU_DEP_1)
	v_and_b32_e32 v26, 7, v4
; %bb.182:                              ;   in Loop: Header=BB200_9 Depth=1
	s_or_b32 exec_lo, exec_lo, s19
	v_lshlrev_b32_e32 v0, 16, v2
	s_delay_alu instid0(VALU_DEP_2) | instskip(SKIP_1) | instid1(VALU_DEP_3)
	v_lshlrev_b32_e32 v1, 20, v26
	v_lshl_add_u32 v2, v3, 23, 0x3c000000
	v_and_b32_e32 v0, 0x80000000, v0
	s_delay_alu instid0(VALU_DEP_1)
	v_or3_b32 v1, v1, v0, v2
	v_mov_b32_e32 v0, v27
	scratch_store_b64 off, v[0:1], s32 offset:356 ; 8-byte Folded Spill
.LBB200_183:                            ;   in Loop: Header=BB200_9 Depth=1
	s_wait_xcnt 0x0
	s_or_b32 exec_lo, exec_lo, s18
.LBB200_184:                            ;   in Loop: Header=BB200_9 Depth=1
	s_delay_alu instid0(SALU_CYCLE_1)
	s_or_b32 exec_lo, exec_lo, s17
.LBB200_185:                            ;   in Loop: Header=BB200_9 Depth=1
	s_delay_alu instid0(SALU_CYCLE_1) | instskip(SKIP_4) | instid1(VALU_DEP_1)
	s_or_b32 exec_lo, exec_lo, s11
	flat_load_u16 v0, v[36:37] offset:524
	s_wait_loadcnt_dscnt 0x0
	v_and_b32_e32 v2, 0xffff, v0
	v_and_b32_e32 v0, 0xff, v0
	v_cmp_ne_u16_e64 s2, 0, v0
	v_mov_b64_e32 v[0:1], 0
	scratch_store_b64 off, v[0:1], s32 offset:372 ; 8-byte Folded Spill
	s_wait_xcnt 0x0
	v_mov_b64_e32 v[0:1], 0
	scratch_store_b64 off, v[0:1], s32 offset:380 ; 8-byte Folded Spill
	s_wait_xcnt 0x0
	s_and_saveexec_b32 s11, s2
	s_cbranch_execz .LBB200_193
; %bb.186:                              ;   in Loop: Header=BB200_9 Depth=1
	v_and_b32_e32 v0, 0xff, v2
	s_delay_alu instid0(VALU_DEP_1)
	v_cmp_ne_u16_e64 s2, 0x80, v0
	v_mov_b64_e32 v[0:1], 0x80000000
	scratch_store_b64 off, v[0:1], s32 offset:380 ; 8-byte Folded Spill
	s_wait_xcnt 0x0
	s_and_saveexec_b32 s17, s2
	s_cbranch_execz .LBB200_192
; %bb.187:                              ;   in Loop: Header=BB200_9 Depth=1
	v_mov_b64_e32 v[0:1], 0x7f800001
	v_and_b32_e32 v4, 0x7f, v2
	s_mov_b32 s18, exec_lo
	scratch_store_b64 off, v[0:1], s32 offset:380 ; 8-byte Folded Spill
	s_wait_xcnt 0x0
	v_cmpx_ne_u32_e32 0x7f, v4
	s_cbranch_execz .LBB200_191
; %bb.188:                              ;   in Loop: Header=BB200_9 Depth=1
	v_dual_lshrrev_b32 v3, 3, v4 :: v_dual_bitop2_b32 v26, 7, v2 bitop3:0x40
	s_mov_b32 s19, exec_lo
	v_cmpx_gt_u32_e32 8, v4
; %bb.189:                              ;   in Loop: Header=BB200_9 Depth=1
	s_delay_alu instid0(VALU_DEP_2) | instskip(NEXT) | instid1(VALU_DEP_1)
	v_clz_i32_u32_e32 v0, v26
	v_min_u32_e32 v0, 32, v0
	s_delay_alu instid0(VALU_DEP_1) | instskip(SKIP_1) | instid1(VALU_DEP_2)
	v_subrev_nc_u32_e32 v1, 28, v0
	v_sub_nc_u32_e32 v3, 29, v0
	v_lshlrev_b64_e32 v[4:5], v1, v[26:27]
	s_delay_alu instid0(VALU_DEP_1)
	v_and_b32_e32 v26, 7, v4
; %bb.190:                              ;   in Loop: Header=BB200_9 Depth=1
	s_or_b32 exec_lo, exec_lo, s19
	v_lshlrev_b32_e32 v0, 24, v2
	s_delay_alu instid0(VALU_DEP_2) | instskip(SKIP_1) | instid1(VALU_DEP_3)
	v_lshlrev_b32_e32 v1, 20, v26
	v_lshl_add_u32 v3, v3, 23, 0x3c000000
	v_and_b32_e32 v0, 0x80000000, v0
	s_delay_alu instid0(VALU_DEP_1)
	v_or3_b32 v26, v1, v0, v3
	scratch_store_b64 off, v[26:27], s32 offset:380 ; 8-byte Folded Spill
.LBB200_191:                            ;   in Loop: Header=BB200_9 Depth=1
	s_wait_xcnt 0x0
	s_or_b32 exec_lo, exec_lo, s18
.LBB200_192:                            ;   in Loop: Header=BB200_9 Depth=1
	s_delay_alu instid0(SALU_CYCLE_1)
	s_or_b32 exec_lo, exec_lo, s17
.LBB200_193:                            ;   in Loop: Header=BB200_9 Depth=1
	s_delay_alu instid0(SALU_CYCLE_1) | instskip(SKIP_2) | instid1(VALU_DEP_1)
	s_or_b32 exec_lo, exec_lo, s11
	v_lshrrev_b16 v3, 8, v2
	s_mov_b32 s11, exec_lo
	v_cmpx_ne_u16_e32 0, v3
	s_cbranch_execz .LBB200_201
; %bb.194:                              ;   in Loop: Header=BB200_9 Depth=1
	v_mov_b64_e32 v[0:1], 0x8000000000000000
	s_mov_b32 s17, exec_lo
	scratch_store_b64 off, v[0:1], s32 offset:372 ; 8-byte Folded Spill
	s_wait_xcnt 0x0
	v_cmpx_ne_u16_e32 0x80, v3
	s_cbranch_execz .LBB200_200
; %bb.195:                              ;   in Loop: Header=BB200_9 Depth=1
	v_and_b32_e32 v1, 0xffff, v3
	v_mov_b64_e32 v[6:7], 0x7f80000100000000
	s_mov_b32 s18, exec_lo
	s_delay_alu instid0(VALU_DEP_2)
	v_and_b32_e32 v4, 0x7f, v1
	scratch_store_b64 off, v[6:7], s32 offset:372 ; 8-byte Folded Spill
	s_wait_xcnt 0x0
	v_cmpx_ne_u32_e32 0x7f, v4
	s_cbranch_execz .LBB200_199
; %bb.196:                              ;   in Loop: Header=BB200_9 Depth=1
	v_dual_lshrrev_b32 v3, 3, v4 :: v_dual_bitop2_b32 v26, 7, v1 bitop3:0x40
	s_mov_b32 s19, exec_lo
	v_cmpx_gt_u32_e32 8, v4
; %bb.197:                              ;   in Loop: Header=BB200_9 Depth=1
	s_delay_alu instid0(VALU_DEP_2) | instskip(NEXT) | instid1(VALU_DEP_1)
	v_clz_i32_u32_e32 v0, v26
	v_min_u32_e32 v0, 32, v0
	s_delay_alu instid0(VALU_DEP_1) | instskip(SKIP_1) | instid1(VALU_DEP_2)
	v_subrev_nc_u32_e32 v1, 28, v0
	v_sub_nc_u32_e32 v3, 29, v0
	v_lshlrev_b64_e32 v[4:5], v1, v[26:27]
	s_delay_alu instid0(VALU_DEP_1)
	v_and_b32_e32 v26, 7, v4
; %bb.198:                              ;   in Loop: Header=BB200_9 Depth=1
	s_or_b32 exec_lo, exec_lo, s19
	v_lshlrev_b32_e32 v0, 16, v2
	s_delay_alu instid0(VALU_DEP_2) | instskip(SKIP_1) | instid1(VALU_DEP_3)
	v_lshlrev_b32_e32 v1, 20, v26
	v_lshl_add_u32 v2, v3, 23, 0x3c000000
	v_and_b32_e32 v0, 0x80000000, v0
	s_delay_alu instid0(VALU_DEP_1)
	v_or3_b32 v1, v1, v0, v2
	v_mov_b32_e32 v0, v27
	scratch_store_b64 off, v[0:1], s32 offset:372 ; 8-byte Folded Spill
.LBB200_199:                            ;   in Loop: Header=BB200_9 Depth=1
	s_wait_xcnt 0x0
	s_or_b32 exec_lo, exec_lo, s18
.LBB200_200:                            ;   in Loop: Header=BB200_9 Depth=1
	s_delay_alu instid0(SALU_CYCLE_1)
	s_or_b32 exec_lo, exec_lo, s17
.LBB200_201:                            ;   in Loop: Header=BB200_9 Depth=1
	s_delay_alu instid0(SALU_CYCLE_1) | instskip(SKIP_4) | instid1(VALU_DEP_1)
	s_or_b32 exec_lo, exec_lo, s11
	flat_load_u16 v0, v[36:37] offset:768
	s_wait_loadcnt_dscnt 0x0
	v_and_b32_e32 v2, 0xffff, v0
	v_and_b32_e32 v0, 0xff, v0
	v_cmp_ne_u16_e64 s2, 0, v0
	v_mov_b64_e32 v[0:1], 0
	scratch_store_b64 off, v[0:1], s32 offset:388 ; 8-byte Folded Spill
	s_wait_xcnt 0x0
	v_mov_b64_e32 v[0:1], 0
	scratch_store_b64 off, v[0:1], s32 offset:396 ; 8-byte Folded Spill
	s_wait_xcnt 0x0
	s_and_saveexec_b32 s11, s2
	s_cbranch_execz .LBB200_209
; %bb.202:                              ;   in Loop: Header=BB200_9 Depth=1
	v_and_b32_e32 v0, 0xff, v2
	s_delay_alu instid0(VALU_DEP_1)
	v_cmp_ne_u16_e64 s2, 0x80, v0
	v_mov_b64_e32 v[0:1], 0x80000000
	scratch_store_b64 off, v[0:1], s32 offset:396 ; 8-byte Folded Spill
	s_wait_xcnt 0x0
	s_and_saveexec_b32 s17, s2
	s_cbranch_execz .LBB200_208
; %bb.203:                              ;   in Loop: Header=BB200_9 Depth=1
	v_mov_b64_e32 v[0:1], 0x7f800001
	v_and_b32_e32 v4, 0x7f, v2
	s_mov_b32 s18, exec_lo
	scratch_store_b64 off, v[0:1], s32 offset:396 ; 8-byte Folded Spill
	s_wait_xcnt 0x0
	v_cmpx_ne_u32_e32 0x7f, v4
	s_cbranch_execz .LBB200_207
; %bb.204:                              ;   in Loop: Header=BB200_9 Depth=1
	v_dual_lshrrev_b32 v3, 3, v4 :: v_dual_bitop2_b32 v26, 7, v2 bitop3:0x40
	s_mov_b32 s19, exec_lo
	v_cmpx_gt_u32_e32 8, v4
; %bb.205:                              ;   in Loop: Header=BB200_9 Depth=1
	s_delay_alu instid0(VALU_DEP_2) | instskip(NEXT) | instid1(VALU_DEP_1)
	v_clz_i32_u32_e32 v0, v26
	v_min_u32_e32 v0, 32, v0
	s_delay_alu instid0(VALU_DEP_1) | instskip(SKIP_1) | instid1(VALU_DEP_2)
	v_subrev_nc_u32_e32 v1, 28, v0
	v_sub_nc_u32_e32 v3, 29, v0
	v_lshlrev_b64_e32 v[4:5], v1, v[26:27]
	s_delay_alu instid0(VALU_DEP_1)
	v_and_b32_e32 v26, 7, v4
; %bb.206:                              ;   in Loop: Header=BB200_9 Depth=1
	s_or_b32 exec_lo, exec_lo, s19
	v_lshlrev_b32_e32 v0, 24, v2
	s_delay_alu instid0(VALU_DEP_2) | instskip(SKIP_1) | instid1(VALU_DEP_3)
	v_lshlrev_b32_e32 v1, 20, v26
	v_lshl_add_u32 v3, v3, 23, 0x3c000000
	v_and_b32_e32 v0, 0x80000000, v0
	s_delay_alu instid0(VALU_DEP_1)
	v_or3_b32 v26, v1, v0, v3
	scratch_store_b64 off, v[26:27], s32 offset:396 ; 8-byte Folded Spill
.LBB200_207:                            ;   in Loop: Header=BB200_9 Depth=1
	s_wait_xcnt 0x0
	s_or_b32 exec_lo, exec_lo, s18
.LBB200_208:                            ;   in Loop: Header=BB200_9 Depth=1
	s_delay_alu instid0(SALU_CYCLE_1)
	s_or_b32 exec_lo, exec_lo, s17
.LBB200_209:                            ;   in Loop: Header=BB200_9 Depth=1
	s_delay_alu instid0(SALU_CYCLE_1) | instskip(SKIP_2) | instid1(VALU_DEP_1)
	s_or_b32 exec_lo, exec_lo, s11
	v_lshrrev_b16 v3, 8, v2
	s_mov_b32 s11, exec_lo
	v_cmpx_ne_u16_e32 0, v3
	s_cbranch_execz .LBB200_217
; %bb.210:                              ;   in Loop: Header=BB200_9 Depth=1
	v_mov_b64_e32 v[0:1], 0x8000000000000000
	s_mov_b32 s17, exec_lo
	scratch_store_b64 off, v[0:1], s32 offset:388 ; 8-byte Folded Spill
	s_wait_xcnt 0x0
	v_cmpx_ne_u16_e32 0x80, v3
	s_cbranch_execz .LBB200_216
; %bb.211:                              ;   in Loop: Header=BB200_9 Depth=1
	v_and_b32_e32 v1, 0xffff, v3
	v_mov_b64_e32 v[6:7], 0x7f80000100000000
	s_mov_b32 s18, exec_lo
	s_delay_alu instid0(VALU_DEP_2)
	v_and_b32_e32 v4, 0x7f, v1
	scratch_store_b64 off, v[6:7], s32 offset:388 ; 8-byte Folded Spill
	s_wait_xcnt 0x0
	v_cmpx_ne_u32_e32 0x7f, v4
	s_cbranch_execz .LBB200_215
; %bb.212:                              ;   in Loop: Header=BB200_9 Depth=1
	v_dual_lshrrev_b32 v3, 3, v4 :: v_dual_bitop2_b32 v26, 7, v1 bitop3:0x40
	s_mov_b32 s19, exec_lo
	v_cmpx_gt_u32_e32 8, v4
; %bb.213:                              ;   in Loop: Header=BB200_9 Depth=1
	s_delay_alu instid0(VALU_DEP_2) | instskip(NEXT) | instid1(VALU_DEP_1)
	v_clz_i32_u32_e32 v0, v26
	v_min_u32_e32 v0, 32, v0
	s_delay_alu instid0(VALU_DEP_1) | instskip(SKIP_1) | instid1(VALU_DEP_2)
	v_subrev_nc_u32_e32 v1, 28, v0
	v_sub_nc_u32_e32 v3, 29, v0
	v_lshlrev_b64_e32 v[4:5], v1, v[26:27]
	s_delay_alu instid0(VALU_DEP_1)
	v_and_b32_e32 v26, 7, v4
; %bb.214:                              ;   in Loop: Header=BB200_9 Depth=1
	s_or_b32 exec_lo, exec_lo, s19
	v_lshlrev_b32_e32 v0, 16, v2
	s_delay_alu instid0(VALU_DEP_2) | instskip(SKIP_1) | instid1(VALU_DEP_3)
	v_lshlrev_b32_e32 v1, 20, v26
	v_lshl_add_u32 v2, v3, 23, 0x3c000000
	v_and_b32_e32 v0, 0x80000000, v0
	s_delay_alu instid0(VALU_DEP_1)
	v_or3_b32 v1, v1, v0, v2
	v_mov_b32_e32 v0, v27
	scratch_store_b64 off, v[0:1], s32 offset:388 ; 8-byte Folded Spill
.LBB200_215:                            ;   in Loop: Header=BB200_9 Depth=1
	s_wait_xcnt 0x0
	s_or_b32 exec_lo, exec_lo, s18
.LBB200_216:                            ;   in Loop: Header=BB200_9 Depth=1
	s_delay_alu instid0(SALU_CYCLE_1)
	s_or_b32 exec_lo, exec_lo, s17
.LBB200_217:                            ;   in Loop: Header=BB200_9 Depth=1
	s_delay_alu instid0(SALU_CYCLE_1) | instskip(SKIP_4) | instid1(VALU_DEP_1)
	s_or_b32 exec_lo, exec_lo, s11
	flat_load_u16 v0, v[36:37] offset:772
	s_wait_loadcnt_dscnt 0x0
	v_and_b32_e32 v2, 0xffff, v0
	v_and_b32_e32 v0, 0xff, v0
	v_cmp_ne_u16_e64 s2, 0, v0
	v_mov_b64_e32 v[0:1], 0
	scratch_store_b64 off, v[0:1], s32 offset:404 ; 8-byte Folded Spill
	s_wait_xcnt 0x0
	v_mov_b64_e32 v[0:1], 0
	scratch_store_b64 off, v[0:1], s32 offset:412 ; 8-byte Folded Spill
	s_wait_xcnt 0x0
	s_and_saveexec_b32 s11, s2
	s_cbranch_execz .LBB200_225
; %bb.218:                              ;   in Loop: Header=BB200_9 Depth=1
	v_and_b32_e32 v0, 0xff, v2
	s_delay_alu instid0(VALU_DEP_1)
	v_cmp_ne_u16_e64 s2, 0x80, v0
	v_mov_b64_e32 v[0:1], 0x80000000
	scratch_store_b64 off, v[0:1], s32 offset:412 ; 8-byte Folded Spill
	s_wait_xcnt 0x0
	s_and_saveexec_b32 s17, s2
	s_cbranch_execz .LBB200_224
; %bb.219:                              ;   in Loop: Header=BB200_9 Depth=1
	v_mov_b64_e32 v[0:1], 0x7f800001
	v_and_b32_e32 v4, 0x7f, v2
	s_mov_b32 s18, exec_lo
	scratch_store_b64 off, v[0:1], s32 offset:412 ; 8-byte Folded Spill
	s_wait_xcnt 0x0
	v_cmpx_ne_u32_e32 0x7f, v4
	s_cbranch_execz .LBB200_223
; %bb.220:                              ;   in Loop: Header=BB200_9 Depth=1
	v_dual_lshrrev_b32 v3, 3, v4 :: v_dual_bitop2_b32 v26, 7, v2 bitop3:0x40
	s_mov_b32 s19, exec_lo
	v_cmpx_gt_u32_e32 8, v4
; %bb.221:                              ;   in Loop: Header=BB200_9 Depth=1
	s_delay_alu instid0(VALU_DEP_2) | instskip(NEXT) | instid1(VALU_DEP_1)
	v_clz_i32_u32_e32 v0, v26
	v_min_u32_e32 v0, 32, v0
	s_delay_alu instid0(VALU_DEP_1) | instskip(SKIP_1) | instid1(VALU_DEP_2)
	v_subrev_nc_u32_e32 v1, 28, v0
	v_sub_nc_u32_e32 v3, 29, v0
	v_lshlrev_b64_e32 v[4:5], v1, v[26:27]
	s_delay_alu instid0(VALU_DEP_1)
	v_and_b32_e32 v26, 7, v4
; %bb.222:                              ;   in Loop: Header=BB200_9 Depth=1
	s_or_b32 exec_lo, exec_lo, s19
	v_lshlrev_b32_e32 v0, 24, v2
	s_delay_alu instid0(VALU_DEP_2) | instskip(SKIP_1) | instid1(VALU_DEP_3)
	v_lshlrev_b32_e32 v1, 20, v26
	v_lshl_add_u32 v3, v3, 23, 0x3c000000
	v_and_b32_e32 v0, 0x80000000, v0
	s_delay_alu instid0(VALU_DEP_1)
	v_or3_b32 v26, v1, v0, v3
	scratch_store_b64 off, v[26:27], s32 offset:412 ; 8-byte Folded Spill
.LBB200_223:                            ;   in Loop: Header=BB200_9 Depth=1
	s_wait_xcnt 0x0
	s_or_b32 exec_lo, exec_lo, s18
.LBB200_224:                            ;   in Loop: Header=BB200_9 Depth=1
	s_delay_alu instid0(SALU_CYCLE_1)
	s_or_b32 exec_lo, exec_lo, s17
.LBB200_225:                            ;   in Loop: Header=BB200_9 Depth=1
	s_delay_alu instid0(SALU_CYCLE_1) | instskip(SKIP_2) | instid1(VALU_DEP_1)
	s_or_b32 exec_lo, exec_lo, s11
	v_lshrrev_b16 v3, 8, v2
	s_mov_b32 s11, exec_lo
	v_cmpx_ne_u16_e32 0, v3
	s_cbranch_execz .LBB200_233
; %bb.226:                              ;   in Loop: Header=BB200_9 Depth=1
	v_mov_b64_e32 v[0:1], 0x8000000000000000
	s_mov_b32 s17, exec_lo
	scratch_store_b64 off, v[0:1], s32 offset:404 ; 8-byte Folded Spill
	s_wait_xcnt 0x0
	v_cmpx_ne_u16_e32 0x80, v3
	s_cbranch_execz .LBB200_232
; %bb.227:                              ;   in Loop: Header=BB200_9 Depth=1
	v_and_b32_e32 v1, 0xffff, v3
	v_mov_b64_e32 v[6:7], 0x7f80000100000000
	s_mov_b32 s18, exec_lo
	s_delay_alu instid0(VALU_DEP_2)
	v_and_b32_e32 v4, 0x7f, v1
	scratch_store_b64 off, v[6:7], s32 offset:404 ; 8-byte Folded Spill
	s_wait_xcnt 0x0
	v_cmpx_ne_u32_e32 0x7f, v4
	s_cbranch_execz .LBB200_231
; %bb.228:                              ;   in Loop: Header=BB200_9 Depth=1
	v_dual_lshrrev_b32 v3, 3, v4 :: v_dual_bitop2_b32 v26, 7, v1 bitop3:0x40
	s_mov_b32 s19, exec_lo
	v_cmpx_gt_u32_e32 8, v4
; %bb.229:                              ;   in Loop: Header=BB200_9 Depth=1
	s_delay_alu instid0(VALU_DEP_2) | instskip(NEXT) | instid1(VALU_DEP_1)
	v_clz_i32_u32_e32 v0, v26
	v_min_u32_e32 v0, 32, v0
	s_delay_alu instid0(VALU_DEP_1) | instskip(SKIP_1) | instid1(VALU_DEP_2)
	v_subrev_nc_u32_e32 v1, 28, v0
	v_sub_nc_u32_e32 v3, 29, v0
	v_lshlrev_b64_e32 v[4:5], v1, v[26:27]
	s_delay_alu instid0(VALU_DEP_1)
	v_and_b32_e32 v26, 7, v4
; %bb.230:                              ;   in Loop: Header=BB200_9 Depth=1
	s_or_b32 exec_lo, exec_lo, s19
	v_lshlrev_b32_e32 v0, 16, v2
	s_delay_alu instid0(VALU_DEP_2) | instskip(SKIP_1) | instid1(VALU_DEP_3)
	v_lshlrev_b32_e32 v1, 20, v26
	v_lshl_add_u32 v2, v3, 23, 0x3c000000
	v_and_b32_e32 v0, 0x80000000, v0
	s_delay_alu instid0(VALU_DEP_1)
	v_or3_b32 v1, v1, v0, v2
	v_mov_b32_e32 v0, v27
	scratch_store_b64 off, v[0:1], s32 offset:404 ; 8-byte Folded Spill
.LBB200_231:                            ;   in Loop: Header=BB200_9 Depth=1
	s_wait_xcnt 0x0
	s_or_b32 exec_lo, exec_lo, s18
.LBB200_232:                            ;   in Loop: Header=BB200_9 Depth=1
	s_delay_alu instid0(SALU_CYCLE_1)
	s_or_b32 exec_lo, exec_lo, s17
.LBB200_233:                            ;   in Loop: Header=BB200_9 Depth=1
	s_delay_alu instid0(SALU_CYCLE_1) | instskip(SKIP_4) | instid1(VALU_DEP_1)
	s_or_b32 exec_lo, exec_lo, s11
	flat_load_u16 v0, v[36:37] offset:776
	s_wait_loadcnt_dscnt 0x0
	v_and_b32_e32 v2, 0xffff, v0
	v_and_b32_e32 v0, 0xff, v0
	v_cmp_ne_u16_e64 s2, 0, v0
	v_mov_b64_e32 v[0:1], 0
	scratch_store_b64 off, v[0:1], s32 offset:420 ; 8-byte Folded Spill
	s_wait_xcnt 0x0
	v_mov_b64_e32 v[0:1], 0
	scratch_store_b64 off, v[0:1], s32 offset:428 ; 8-byte Folded Spill
	s_wait_xcnt 0x0
	s_and_saveexec_b32 s11, s2
	s_cbranch_execz .LBB200_241
; %bb.234:                              ;   in Loop: Header=BB200_9 Depth=1
	v_and_b32_e32 v0, 0xff, v2
	s_delay_alu instid0(VALU_DEP_1)
	v_cmp_ne_u16_e64 s2, 0x80, v0
	v_mov_b64_e32 v[0:1], 0x80000000
	scratch_store_b64 off, v[0:1], s32 offset:428 ; 8-byte Folded Spill
	s_wait_xcnt 0x0
	s_and_saveexec_b32 s17, s2
	s_cbranch_execz .LBB200_240
; %bb.235:                              ;   in Loop: Header=BB200_9 Depth=1
	v_mov_b64_e32 v[0:1], 0x7f800001
	v_and_b32_e32 v4, 0x7f, v2
	s_mov_b32 s18, exec_lo
	scratch_store_b64 off, v[0:1], s32 offset:428 ; 8-byte Folded Spill
	s_wait_xcnt 0x0
	v_cmpx_ne_u32_e32 0x7f, v4
	s_cbranch_execz .LBB200_239
; %bb.236:                              ;   in Loop: Header=BB200_9 Depth=1
	v_dual_lshrrev_b32 v3, 3, v4 :: v_dual_bitop2_b32 v26, 7, v2 bitop3:0x40
	s_mov_b32 s19, exec_lo
	v_cmpx_gt_u32_e32 8, v4
; %bb.237:                              ;   in Loop: Header=BB200_9 Depth=1
	s_delay_alu instid0(VALU_DEP_2) | instskip(NEXT) | instid1(VALU_DEP_1)
	v_clz_i32_u32_e32 v0, v26
	v_min_u32_e32 v0, 32, v0
	s_delay_alu instid0(VALU_DEP_1) | instskip(SKIP_1) | instid1(VALU_DEP_2)
	v_subrev_nc_u32_e32 v1, 28, v0
	v_sub_nc_u32_e32 v3, 29, v0
	v_lshlrev_b64_e32 v[4:5], v1, v[26:27]
	s_delay_alu instid0(VALU_DEP_1)
	v_and_b32_e32 v26, 7, v4
; %bb.238:                              ;   in Loop: Header=BB200_9 Depth=1
	s_or_b32 exec_lo, exec_lo, s19
	v_lshlrev_b32_e32 v0, 24, v2
	s_delay_alu instid0(VALU_DEP_2) | instskip(SKIP_1) | instid1(VALU_DEP_3)
	v_lshlrev_b32_e32 v1, 20, v26
	v_lshl_add_u32 v3, v3, 23, 0x3c000000
	v_and_b32_e32 v0, 0x80000000, v0
	s_delay_alu instid0(VALU_DEP_1)
	v_or3_b32 v26, v1, v0, v3
	scratch_store_b64 off, v[26:27], s32 offset:428 ; 8-byte Folded Spill
.LBB200_239:                            ;   in Loop: Header=BB200_9 Depth=1
	s_wait_xcnt 0x0
	s_or_b32 exec_lo, exec_lo, s18
.LBB200_240:                            ;   in Loop: Header=BB200_9 Depth=1
	s_delay_alu instid0(SALU_CYCLE_1)
	s_or_b32 exec_lo, exec_lo, s17
.LBB200_241:                            ;   in Loop: Header=BB200_9 Depth=1
	s_delay_alu instid0(SALU_CYCLE_1) | instskip(SKIP_2) | instid1(VALU_DEP_1)
	s_or_b32 exec_lo, exec_lo, s11
	v_lshrrev_b16 v3, 8, v2
	s_mov_b32 s11, exec_lo
	v_cmpx_ne_u16_e32 0, v3
	s_cbranch_execz .LBB200_249
; %bb.242:                              ;   in Loop: Header=BB200_9 Depth=1
	v_mov_b64_e32 v[0:1], 0x8000000000000000
	s_mov_b32 s17, exec_lo
	scratch_store_b64 off, v[0:1], s32 offset:420 ; 8-byte Folded Spill
	s_wait_xcnt 0x0
	v_cmpx_ne_u16_e32 0x80, v3
	s_cbranch_execz .LBB200_248
; %bb.243:                              ;   in Loop: Header=BB200_9 Depth=1
	v_and_b32_e32 v1, 0xffff, v3
	v_mov_b64_e32 v[6:7], 0x7f80000100000000
	s_mov_b32 s18, exec_lo
	s_delay_alu instid0(VALU_DEP_2)
	v_and_b32_e32 v4, 0x7f, v1
	scratch_store_b64 off, v[6:7], s32 offset:420 ; 8-byte Folded Spill
	s_wait_xcnt 0x0
	v_cmpx_ne_u32_e32 0x7f, v4
	s_cbranch_execz .LBB200_247
; %bb.244:                              ;   in Loop: Header=BB200_9 Depth=1
	v_dual_lshrrev_b32 v3, 3, v4 :: v_dual_bitop2_b32 v26, 7, v1 bitop3:0x40
	s_mov_b32 s19, exec_lo
	v_cmpx_gt_u32_e32 8, v4
; %bb.245:                              ;   in Loop: Header=BB200_9 Depth=1
	s_delay_alu instid0(VALU_DEP_2) | instskip(NEXT) | instid1(VALU_DEP_1)
	v_clz_i32_u32_e32 v0, v26
	v_min_u32_e32 v0, 32, v0
	s_delay_alu instid0(VALU_DEP_1) | instskip(SKIP_1) | instid1(VALU_DEP_2)
	v_subrev_nc_u32_e32 v1, 28, v0
	v_sub_nc_u32_e32 v3, 29, v0
	v_lshlrev_b64_e32 v[4:5], v1, v[26:27]
	s_delay_alu instid0(VALU_DEP_1)
	v_and_b32_e32 v26, 7, v4
; %bb.246:                              ;   in Loop: Header=BB200_9 Depth=1
	s_or_b32 exec_lo, exec_lo, s19
	v_lshlrev_b32_e32 v0, 16, v2
	s_delay_alu instid0(VALU_DEP_2) | instskip(SKIP_1) | instid1(VALU_DEP_3)
	v_lshlrev_b32_e32 v1, 20, v26
	v_lshl_add_u32 v2, v3, 23, 0x3c000000
	v_and_b32_e32 v0, 0x80000000, v0
	s_delay_alu instid0(VALU_DEP_1)
	v_or3_b32 v1, v1, v0, v2
	v_mov_b32_e32 v0, v27
	scratch_store_b64 off, v[0:1], s32 offset:420 ; 8-byte Folded Spill
.LBB200_247:                            ;   in Loop: Header=BB200_9 Depth=1
	s_wait_xcnt 0x0
	s_or_b32 exec_lo, exec_lo, s18
.LBB200_248:                            ;   in Loop: Header=BB200_9 Depth=1
	s_delay_alu instid0(SALU_CYCLE_1)
	s_or_b32 exec_lo, exec_lo, s17
.LBB200_249:                            ;   in Loop: Header=BB200_9 Depth=1
	s_delay_alu instid0(SALU_CYCLE_1) | instskip(SKIP_4) | instid1(VALU_DEP_1)
	s_or_b32 exec_lo, exec_lo, s11
	flat_load_u16 v0, v[36:37] offset:780
	s_wait_loadcnt_dscnt 0x0
	v_and_b32_e32 v2, 0xffff, v0
	v_and_b32_e32 v0, 0xff, v0
	v_cmp_ne_u16_e64 s2, 0, v0
	v_mov_b64_e32 v[0:1], 0
	scratch_store_b64 off, v[0:1], s32 offset:436 ; 8-byte Folded Spill
	s_wait_xcnt 0x0
	v_mov_b64_e32 v[0:1], 0
	scratch_store_b64 off, v[0:1], s32 offset:444 ; 8-byte Folded Spill
	s_wait_xcnt 0x0
	s_and_saveexec_b32 s11, s2
	s_cbranch_execz .LBB200_257
; %bb.250:                              ;   in Loop: Header=BB200_9 Depth=1
	v_and_b32_e32 v0, 0xff, v2
	s_delay_alu instid0(VALU_DEP_1)
	v_cmp_ne_u16_e64 s2, 0x80, v0
	v_mov_b64_e32 v[0:1], 0x80000000
	scratch_store_b64 off, v[0:1], s32 offset:444 ; 8-byte Folded Spill
	s_wait_xcnt 0x0
	s_and_saveexec_b32 s17, s2
	s_cbranch_execz .LBB200_256
; %bb.251:                              ;   in Loop: Header=BB200_9 Depth=1
	v_mov_b64_e32 v[0:1], 0x7f800001
	v_and_b32_e32 v4, 0x7f, v2
	s_mov_b32 s18, exec_lo
	scratch_store_b64 off, v[0:1], s32 offset:444 ; 8-byte Folded Spill
	s_wait_xcnt 0x0
	v_cmpx_ne_u32_e32 0x7f, v4
	s_cbranch_execz .LBB200_255
; %bb.252:                              ;   in Loop: Header=BB200_9 Depth=1
	v_dual_lshrrev_b32 v3, 3, v4 :: v_dual_bitop2_b32 v26, 7, v2 bitop3:0x40
	s_mov_b32 s19, exec_lo
	v_cmpx_gt_u32_e32 8, v4
; %bb.253:                              ;   in Loop: Header=BB200_9 Depth=1
	s_delay_alu instid0(VALU_DEP_2) | instskip(NEXT) | instid1(VALU_DEP_1)
	v_clz_i32_u32_e32 v0, v26
	v_min_u32_e32 v0, 32, v0
	s_delay_alu instid0(VALU_DEP_1) | instskip(SKIP_1) | instid1(VALU_DEP_2)
	v_subrev_nc_u32_e32 v1, 28, v0
	v_sub_nc_u32_e32 v3, 29, v0
	v_lshlrev_b64_e32 v[4:5], v1, v[26:27]
	s_delay_alu instid0(VALU_DEP_1)
	v_and_b32_e32 v26, 7, v4
; %bb.254:                              ;   in Loop: Header=BB200_9 Depth=1
	s_or_b32 exec_lo, exec_lo, s19
	v_lshlrev_b32_e32 v0, 24, v2
	s_delay_alu instid0(VALU_DEP_2) | instskip(SKIP_1) | instid1(VALU_DEP_3)
	v_lshlrev_b32_e32 v1, 20, v26
	v_lshl_add_u32 v3, v3, 23, 0x3c000000
	v_and_b32_e32 v0, 0x80000000, v0
	s_delay_alu instid0(VALU_DEP_1)
	v_or3_b32 v26, v1, v0, v3
	scratch_store_b64 off, v[26:27], s32 offset:444 ; 8-byte Folded Spill
.LBB200_255:                            ;   in Loop: Header=BB200_9 Depth=1
	s_wait_xcnt 0x0
	s_or_b32 exec_lo, exec_lo, s18
.LBB200_256:                            ;   in Loop: Header=BB200_9 Depth=1
	s_delay_alu instid0(SALU_CYCLE_1)
	s_or_b32 exec_lo, exec_lo, s17
.LBB200_257:                            ;   in Loop: Header=BB200_9 Depth=1
	s_delay_alu instid0(SALU_CYCLE_1) | instskip(SKIP_2) | instid1(VALU_DEP_1)
	s_or_b32 exec_lo, exec_lo, s11
	v_lshrrev_b16 v3, 8, v2
	s_mov_b32 s11, exec_lo
	v_cmpx_ne_u16_e32 0, v3
	s_cbranch_execz .LBB200_265
; %bb.258:                              ;   in Loop: Header=BB200_9 Depth=1
	v_mov_b64_e32 v[0:1], 0x8000000000000000
	s_mov_b32 s17, exec_lo
	scratch_store_b64 off, v[0:1], s32 offset:436 ; 8-byte Folded Spill
	s_wait_xcnt 0x0
	v_cmpx_ne_u16_e32 0x80, v3
	s_cbranch_execz .LBB200_264
; %bb.259:                              ;   in Loop: Header=BB200_9 Depth=1
	v_and_b32_e32 v1, 0xffff, v3
	v_mov_b64_e32 v[6:7], 0x7f80000100000000
	s_mov_b32 s18, exec_lo
	s_delay_alu instid0(VALU_DEP_2)
	v_and_b32_e32 v4, 0x7f, v1
	scratch_store_b64 off, v[6:7], s32 offset:436 ; 8-byte Folded Spill
	s_wait_xcnt 0x0
	v_cmpx_ne_u32_e32 0x7f, v4
	s_cbranch_execz .LBB200_263
; %bb.260:                              ;   in Loop: Header=BB200_9 Depth=1
	v_dual_lshrrev_b32 v3, 3, v4 :: v_dual_bitop2_b32 v26, 7, v1 bitop3:0x40
	s_mov_b32 s19, exec_lo
	v_cmpx_gt_u32_e32 8, v4
; %bb.261:                              ;   in Loop: Header=BB200_9 Depth=1
	s_delay_alu instid0(VALU_DEP_2) | instskip(NEXT) | instid1(VALU_DEP_1)
	v_clz_i32_u32_e32 v0, v26
	v_min_u32_e32 v0, 32, v0
	s_delay_alu instid0(VALU_DEP_1) | instskip(SKIP_1) | instid1(VALU_DEP_2)
	v_subrev_nc_u32_e32 v1, 28, v0
	v_sub_nc_u32_e32 v3, 29, v0
	v_lshlrev_b64_e32 v[4:5], v1, v[26:27]
	s_delay_alu instid0(VALU_DEP_1)
	v_and_b32_e32 v26, 7, v4
; %bb.262:                              ;   in Loop: Header=BB200_9 Depth=1
	s_or_b32 exec_lo, exec_lo, s19
	v_lshlrev_b32_e32 v0, 16, v2
	s_delay_alu instid0(VALU_DEP_2) | instskip(SKIP_1) | instid1(VALU_DEP_3)
	v_lshlrev_b32_e32 v1, 20, v26
	v_lshl_add_u32 v2, v3, 23, 0x3c000000
	v_and_b32_e32 v0, 0x80000000, v0
	s_delay_alu instid0(VALU_DEP_1)
	v_or3_b32 v1, v1, v0, v2
	v_mov_b32_e32 v0, v27
	scratch_store_b64 off, v[0:1], s32 offset:436 ; 8-byte Folded Spill
.LBB200_263:                            ;   in Loop: Header=BB200_9 Depth=1
	s_wait_xcnt 0x0
	s_or_b32 exec_lo, exec_lo, s18
.LBB200_264:                            ;   in Loop: Header=BB200_9 Depth=1
	s_delay_alu instid0(SALU_CYCLE_1)
	s_or_b32 exec_lo, exec_lo, s17
.LBB200_265:                            ;   in Loop: Header=BB200_9 Depth=1
	s_delay_alu instid0(SALU_CYCLE_1) | instskip(SKIP_4) | instid1(VALU_DEP_1)
	s_or_b32 exec_lo, exec_lo, s11
	flat_load_u16 v0, v[36:37] offset:1024
	s_wait_loadcnt_dscnt 0x0
	v_and_b32_e32 v2, 0xffff, v0
	v_and_b32_e32 v0, 0xff, v0
	v_cmp_ne_u16_e64 s2, 0, v0
	v_mov_b64_e32 v[0:1], 0
	scratch_store_b64 off, v[0:1], s32 offset:452 ; 8-byte Folded Spill
	s_wait_xcnt 0x0
	v_mov_b64_e32 v[0:1], 0
	scratch_store_b64 off, v[0:1], s32 offset:460 ; 8-byte Folded Spill
	s_wait_xcnt 0x0
	s_and_saveexec_b32 s11, s2
	s_cbranch_execz .LBB200_273
; %bb.266:                              ;   in Loop: Header=BB200_9 Depth=1
	v_and_b32_e32 v0, 0xff, v2
	s_delay_alu instid0(VALU_DEP_1)
	v_cmp_ne_u16_e64 s2, 0x80, v0
	v_mov_b64_e32 v[0:1], 0x80000000
	scratch_store_b64 off, v[0:1], s32 offset:460 ; 8-byte Folded Spill
	s_wait_xcnt 0x0
	s_and_saveexec_b32 s17, s2
	s_cbranch_execz .LBB200_272
; %bb.267:                              ;   in Loop: Header=BB200_9 Depth=1
	v_mov_b64_e32 v[0:1], 0x7f800001
	v_and_b32_e32 v4, 0x7f, v2
	s_mov_b32 s18, exec_lo
	scratch_store_b64 off, v[0:1], s32 offset:460 ; 8-byte Folded Spill
	s_wait_xcnt 0x0
	v_cmpx_ne_u32_e32 0x7f, v4
	s_cbranch_execz .LBB200_271
; %bb.268:                              ;   in Loop: Header=BB200_9 Depth=1
	v_dual_lshrrev_b32 v3, 3, v4 :: v_dual_bitop2_b32 v26, 7, v2 bitop3:0x40
	s_mov_b32 s19, exec_lo
	v_cmpx_gt_u32_e32 8, v4
; %bb.269:                              ;   in Loop: Header=BB200_9 Depth=1
	s_delay_alu instid0(VALU_DEP_2) | instskip(NEXT) | instid1(VALU_DEP_1)
	v_clz_i32_u32_e32 v0, v26
	v_min_u32_e32 v0, 32, v0
	s_delay_alu instid0(VALU_DEP_1) | instskip(SKIP_1) | instid1(VALU_DEP_2)
	v_subrev_nc_u32_e32 v1, 28, v0
	v_sub_nc_u32_e32 v3, 29, v0
	v_lshlrev_b64_e32 v[4:5], v1, v[26:27]
	s_delay_alu instid0(VALU_DEP_1)
	v_and_b32_e32 v26, 7, v4
; %bb.270:                              ;   in Loop: Header=BB200_9 Depth=1
	s_or_b32 exec_lo, exec_lo, s19
	v_lshlrev_b32_e32 v0, 24, v2
	s_delay_alu instid0(VALU_DEP_2) | instskip(SKIP_1) | instid1(VALU_DEP_3)
	v_lshlrev_b32_e32 v1, 20, v26
	v_lshl_add_u32 v3, v3, 23, 0x3c000000
	v_and_b32_e32 v0, 0x80000000, v0
	s_delay_alu instid0(VALU_DEP_1)
	v_or3_b32 v26, v1, v0, v3
	scratch_store_b64 off, v[26:27], s32 offset:460 ; 8-byte Folded Spill
.LBB200_271:                            ;   in Loop: Header=BB200_9 Depth=1
	s_wait_xcnt 0x0
	s_or_b32 exec_lo, exec_lo, s18
.LBB200_272:                            ;   in Loop: Header=BB200_9 Depth=1
	s_delay_alu instid0(SALU_CYCLE_1)
	s_or_b32 exec_lo, exec_lo, s17
.LBB200_273:                            ;   in Loop: Header=BB200_9 Depth=1
	s_delay_alu instid0(SALU_CYCLE_1) | instskip(SKIP_2) | instid1(VALU_DEP_1)
	s_or_b32 exec_lo, exec_lo, s11
	v_lshrrev_b16 v3, 8, v2
	s_mov_b32 s11, exec_lo
	v_cmpx_ne_u16_e32 0, v3
	s_cbranch_execz .LBB200_281
; %bb.274:                              ;   in Loop: Header=BB200_9 Depth=1
	v_mov_b64_e32 v[0:1], 0x8000000000000000
	s_mov_b32 s17, exec_lo
	scratch_store_b64 off, v[0:1], s32 offset:452 ; 8-byte Folded Spill
	s_wait_xcnt 0x0
	v_cmpx_ne_u16_e32 0x80, v3
	s_cbranch_execz .LBB200_280
; %bb.275:                              ;   in Loop: Header=BB200_9 Depth=1
	v_and_b32_e32 v1, 0xffff, v3
	v_mov_b64_e32 v[6:7], 0x7f80000100000000
	s_mov_b32 s18, exec_lo
	s_delay_alu instid0(VALU_DEP_2)
	v_and_b32_e32 v4, 0x7f, v1
	scratch_store_b64 off, v[6:7], s32 offset:452 ; 8-byte Folded Spill
	s_wait_xcnt 0x0
	v_cmpx_ne_u32_e32 0x7f, v4
	s_cbranch_execz .LBB200_279
; %bb.276:                              ;   in Loop: Header=BB200_9 Depth=1
	v_dual_lshrrev_b32 v3, 3, v4 :: v_dual_bitop2_b32 v26, 7, v1 bitop3:0x40
	s_mov_b32 s19, exec_lo
	v_cmpx_gt_u32_e32 8, v4
; %bb.277:                              ;   in Loop: Header=BB200_9 Depth=1
	s_delay_alu instid0(VALU_DEP_2) | instskip(NEXT) | instid1(VALU_DEP_1)
	v_clz_i32_u32_e32 v0, v26
	v_min_u32_e32 v0, 32, v0
	s_delay_alu instid0(VALU_DEP_1) | instskip(SKIP_1) | instid1(VALU_DEP_2)
	v_subrev_nc_u32_e32 v1, 28, v0
	v_sub_nc_u32_e32 v3, 29, v0
	v_lshlrev_b64_e32 v[4:5], v1, v[26:27]
	s_delay_alu instid0(VALU_DEP_1)
	v_and_b32_e32 v26, 7, v4
; %bb.278:                              ;   in Loop: Header=BB200_9 Depth=1
	s_or_b32 exec_lo, exec_lo, s19
	v_lshlrev_b32_e32 v0, 16, v2
	s_delay_alu instid0(VALU_DEP_2) | instskip(SKIP_1) | instid1(VALU_DEP_3)
	v_lshlrev_b32_e32 v1, 20, v26
	v_lshl_add_u32 v2, v3, 23, 0x3c000000
	v_and_b32_e32 v0, 0x80000000, v0
	s_delay_alu instid0(VALU_DEP_1)
	v_or3_b32 v1, v1, v0, v2
	v_mov_b32_e32 v0, v27
	scratch_store_b64 off, v[0:1], s32 offset:452 ; 8-byte Folded Spill
.LBB200_279:                            ;   in Loop: Header=BB200_9 Depth=1
	s_wait_xcnt 0x0
	s_or_b32 exec_lo, exec_lo, s18
.LBB200_280:                            ;   in Loop: Header=BB200_9 Depth=1
	s_delay_alu instid0(SALU_CYCLE_1)
	s_or_b32 exec_lo, exec_lo, s17
.LBB200_281:                            ;   in Loop: Header=BB200_9 Depth=1
	s_delay_alu instid0(SALU_CYCLE_1) | instskip(SKIP_4) | instid1(VALU_DEP_1)
	s_or_b32 exec_lo, exec_lo, s11
	flat_load_u16 v0, v[36:37] offset:1028
	s_wait_loadcnt_dscnt 0x0
	v_and_b32_e32 v2, 0xffff, v0
	v_and_b32_e32 v0, 0xff, v0
	v_cmp_ne_u16_e64 s2, 0, v0
	v_mov_b64_e32 v[0:1], 0
	scratch_store_b64 off, v[0:1], s32 offset:468 ; 8-byte Folded Spill
	s_wait_xcnt 0x0
	v_mov_b64_e32 v[0:1], 0
	scratch_store_b64 off, v[0:1], s32 offset:476 ; 8-byte Folded Spill
	s_wait_xcnt 0x0
	s_and_saveexec_b32 s11, s2
	s_cbranch_execz .LBB200_289
; %bb.282:                              ;   in Loop: Header=BB200_9 Depth=1
	v_and_b32_e32 v0, 0xff, v2
	s_delay_alu instid0(VALU_DEP_1)
	v_cmp_ne_u16_e64 s2, 0x80, v0
	v_mov_b64_e32 v[0:1], 0x80000000
	scratch_store_b64 off, v[0:1], s32 offset:476 ; 8-byte Folded Spill
	s_wait_xcnt 0x0
	s_and_saveexec_b32 s17, s2
	s_cbranch_execz .LBB200_288
; %bb.283:                              ;   in Loop: Header=BB200_9 Depth=1
	v_mov_b64_e32 v[0:1], 0x7f800001
	v_and_b32_e32 v4, 0x7f, v2
	s_mov_b32 s18, exec_lo
	scratch_store_b64 off, v[0:1], s32 offset:476 ; 8-byte Folded Spill
	s_wait_xcnt 0x0
	v_cmpx_ne_u32_e32 0x7f, v4
	s_cbranch_execz .LBB200_287
; %bb.284:                              ;   in Loop: Header=BB200_9 Depth=1
	v_dual_lshrrev_b32 v3, 3, v4 :: v_dual_bitop2_b32 v26, 7, v2 bitop3:0x40
	s_mov_b32 s19, exec_lo
	v_cmpx_gt_u32_e32 8, v4
; %bb.285:                              ;   in Loop: Header=BB200_9 Depth=1
	s_delay_alu instid0(VALU_DEP_2) | instskip(NEXT) | instid1(VALU_DEP_1)
	v_clz_i32_u32_e32 v0, v26
	v_min_u32_e32 v0, 32, v0
	s_delay_alu instid0(VALU_DEP_1) | instskip(SKIP_1) | instid1(VALU_DEP_2)
	v_subrev_nc_u32_e32 v1, 28, v0
	v_sub_nc_u32_e32 v3, 29, v0
	v_lshlrev_b64_e32 v[4:5], v1, v[26:27]
	s_delay_alu instid0(VALU_DEP_1)
	v_and_b32_e32 v26, 7, v4
; %bb.286:                              ;   in Loop: Header=BB200_9 Depth=1
	s_or_b32 exec_lo, exec_lo, s19
	v_lshlrev_b32_e32 v0, 24, v2
	s_delay_alu instid0(VALU_DEP_2) | instskip(SKIP_1) | instid1(VALU_DEP_3)
	v_lshlrev_b32_e32 v1, 20, v26
	v_lshl_add_u32 v3, v3, 23, 0x3c000000
	v_and_b32_e32 v0, 0x80000000, v0
	s_delay_alu instid0(VALU_DEP_1)
	v_or3_b32 v26, v1, v0, v3
	scratch_store_b64 off, v[26:27], s32 offset:476 ; 8-byte Folded Spill
.LBB200_287:                            ;   in Loop: Header=BB200_9 Depth=1
	s_wait_xcnt 0x0
	s_or_b32 exec_lo, exec_lo, s18
.LBB200_288:                            ;   in Loop: Header=BB200_9 Depth=1
	s_delay_alu instid0(SALU_CYCLE_1)
	s_or_b32 exec_lo, exec_lo, s17
.LBB200_289:                            ;   in Loop: Header=BB200_9 Depth=1
	s_delay_alu instid0(SALU_CYCLE_1) | instskip(SKIP_2) | instid1(VALU_DEP_1)
	s_or_b32 exec_lo, exec_lo, s11
	v_lshrrev_b16 v3, 8, v2
	s_mov_b32 s11, exec_lo
	v_cmpx_ne_u16_e32 0, v3
	s_cbranch_execz .LBB200_297
; %bb.290:                              ;   in Loop: Header=BB200_9 Depth=1
	v_mov_b64_e32 v[0:1], 0x8000000000000000
	s_mov_b32 s17, exec_lo
	scratch_store_b64 off, v[0:1], s32 offset:468 ; 8-byte Folded Spill
	s_wait_xcnt 0x0
	v_cmpx_ne_u16_e32 0x80, v3
	s_cbranch_execz .LBB200_296
; %bb.291:                              ;   in Loop: Header=BB200_9 Depth=1
	v_and_b32_e32 v1, 0xffff, v3
	v_mov_b64_e32 v[6:7], 0x7f80000100000000
	s_mov_b32 s18, exec_lo
	s_delay_alu instid0(VALU_DEP_2)
	v_and_b32_e32 v4, 0x7f, v1
	scratch_store_b64 off, v[6:7], s32 offset:468 ; 8-byte Folded Spill
	s_wait_xcnt 0x0
	v_cmpx_ne_u32_e32 0x7f, v4
	s_cbranch_execz .LBB200_295
; %bb.292:                              ;   in Loop: Header=BB200_9 Depth=1
	v_dual_lshrrev_b32 v3, 3, v4 :: v_dual_bitop2_b32 v26, 7, v1 bitop3:0x40
	s_mov_b32 s19, exec_lo
	v_cmpx_gt_u32_e32 8, v4
; %bb.293:                              ;   in Loop: Header=BB200_9 Depth=1
	s_delay_alu instid0(VALU_DEP_2) | instskip(NEXT) | instid1(VALU_DEP_1)
	v_clz_i32_u32_e32 v0, v26
	v_min_u32_e32 v0, 32, v0
	s_delay_alu instid0(VALU_DEP_1) | instskip(SKIP_1) | instid1(VALU_DEP_2)
	v_subrev_nc_u32_e32 v1, 28, v0
	v_sub_nc_u32_e32 v3, 29, v0
	v_lshlrev_b64_e32 v[4:5], v1, v[26:27]
	s_delay_alu instid0(VALU_DEP_1)
	v_and_b32_e32 v26, 7, v4
; %bb.294:                              ;   in Loop: Header=BB200_9 Depth=1
	s_or_b32 exec_lo, exec_lo, s19
	v_lshlrev_b32_e32 v0, 16, v2
	s_delay_alu instid0(VALU_DEP_2) | instskip(SKIP_1) | instid1(VALU_DEP_3)
	v_lshlrev_b32_e32 v1, 20, v26
	v_lshl_add_u32 v2, v3, 23, 0x3c000000
	v_and_b32_e32 v0, 0x80000000, v0
	s_delay_alu instid0(VALU_DEP_1)
	v_or3_b32 v1, v1, v0, v2
	v_mov_b32_e32 v0, v27
	scratch_store_b64 off, v[0:1], s32 offset:468 ; 8-byte Folded Spill
.LBB200_295:                            ;   in Loop: Header=BB200_9 Depth=1
	s_wait_xcnt 0x0
	s_or_b32 exec_lo, exec_lo, s18
.LBB200_296:                            ;   in Loop: Header=BB200_9 Depth=1
	s_delay_alu instid0(SALU_CYCLE_1)
	s_or_b32 exec_lo, exec_lo, s17
.LBB200_297:                            ;   in Loop: Header=BB200_9 Depth=1
	s_delay_alu instid0(SALU_CYCLE_1) | instskip(SKIP_4) | instid1(VALU_DEP_1)
	s_or_b32 exec_lo, exec_lo, s11
	flat_load_u16 v0, v[36:37] offset:1032
	s_wait_loadcnt_dscnt 0x0
	v_and_b32_e32 v2, 0xffff, v0
	v_and_b32_e32 v0, 0xff, v0
	v_cmp_ne_u16_e64 s2, 0, v0
	v_mov_b64_e32 v[0:1], 0
	scratch_store_b64 off, v[0:1], s32 offset:484 ; 8-byte Folded Spill
	s_wait_xcnt 0x0
	v_mov_b64_e32 v[0:1], 0
	scratch_store_b64 off, v[0:1], s32 offset:492 ; 8-byte Folded Spill
	s_wait_xcnt 0x0
	s_and_saveexec_b32 s11, s2
	s_cbranch_execz .LBB200_305
; %bb.298:                              ;   in Loop: Header=BB200_9 Depth=1
	v_and_b32_e32 v0, 0xff, v2
	s_delay_alu instid0(VALU_DEP_1)
	v_cmp_ne_u16_e64 s2, 0x80, v0
	v_mov_b64_e32 v[0:1], 0x80000000
	scratch_store_b64 off, v[0:1], s32 offset:492 ; 8-byte Folded Spill
	s_wait_xcnt 0x0
	s_and_saveexec_b32 s17, s2
	s_cbranch_execz .LBB200_304
; %bb.299:                              ;   in Loop: Header=BB200_9 Depth=1
	v_mov_b64_e32 v[0:1], 0x7f800001
	v_and_b32_e32 v4, 0x7f, v2
	s_mov_b32 s18, exec_lo
	scratch_store_b64 off, v[0:1], s32 offset:492 ; 8-byte Folded Spill
	s_wait_xcnt 0x0
	v_cmpx_ne_u32_e32 0x7f, v4
	s_cbranch_execz .LBB200_303
; %bb.300:                              ;   in Loop: Header=BB200_9 Depth=1
	v_dual_lshrrev_b32 v3, 3, v4 :: v_dual_bitop2_b32 v26, 7, v2 bitop3:0x40
	s_mov_b32 s19, exec_lo
	v_cmpx_gt_u32_e32 8, v4
; %bb.301:                              ;   in Loop: Header=BB200_9 Depth=1
	s_delay_alu instid0(VALU_DEP_2) | instskip(NEXT) | instid1(VALU_DEP_1)
	v_clz_i32_u32_e32 v0, v26
	v_min_u32_e32 v0, 32, v0
	s_delay_alu instid0(VALU_DEP_1) | instskip(SKIP_1) | instid1(VALU_DEP_2)
	v_subrev_nc_u32_e32 v1, 28, v0
	v_sub_nc_u32_e32 v3, 29, v0
	v_lshlrev_b64_e32 v[4:5], v1, v[26:27]
	s_delay_alu instid0(VALU_DEP_1)
	v_and_b32_e32 v26, 7, v4
; %bb.302:                              ;   in Loop: Header=BB200_9 Depth=1
	s_or_b32 exec_lo, exec_lo, s19
	v_lshlrev_b32_e32 v0, 24, v2
	s_delay_alu instid0(VALU_DEP_2) | instskip(SKIP_1) | instid1(VALU_DEP_3)
	v_lshlrev_b32_e32 v1, 20, v26
	v_lshl_add_u32 v3, v3, 23, 0x3c000000
	v_and_b32_e32 v0, 0x80000000, v0
	s_delay_alu instid0(VALU_DEP_1)
	v_or3_b32 v26, v1, v0, v3
	scratch_store_b64 off, v[26:27], s32 offset:492 ; 8-byte Folded Spill
.LBB200_303:                            ;   in Loop: Header=BB200_9 Depth=1
	s_wait_xcnt 0x0
	s_or_b32 exec_lo, exec_lo, s18
.LBB200_304:                            ;   in Loop: Header=BB200_9 Depth=1
	s_delay_alu instid0(SALU_CYCLE_1)
	s_or_b32 exec_lo, exec_lo, s17
.LBB200_305:                            ;   in Loop: Header=BB200_9 Depth=1
	s_delay_alu instid0(SALU_CYCLE_1) | instskip(SKIP_2) | instid1(VALU_DEP_1)
	s_or_b32 exec_lo, exec_lo, s11
	v_lshrrev_b16 v3, 8, v2
	s_mov_b32 s11, exec_lo
	v_cmpx_ne_u16_e32 0, v3
	s_cbranch_execz .LBB200_313
; %bb.306:                              ;   in Loop: Header=BB200_9 Depth=1
	v_mov_b64_e32 v[0:1], 0x8000000000000000
	s_mov_b32 s17, exec_lo
	scratch_store_b64 off, v[0:1], s32 offset:484 ; 8-byte Folded Spill
	s_wait_xcnt 0x0
	v_cmpx_ne_u16_e32 0x80, v3
	s_cbranch_execz .LBB200_312
; %bb.307:                              ;   in Loop: Header=BB200_9 Depth=1
	v_and_b32_e32 v1, 0xffff, v3
	v_mov_b64_e32 v[6:7], 0x7f80000100000000
	s_mov_b32 s18, exec_lo
	s_delay_alu instid0(VALU_DEP_2)
	v_and_b32_e32 v4, 0x7f, v1
	scratch_store_b64 off, v[6:7], s32 offset:484 ; 8-byte Folded Spill
	s_wait_xcnt 0x0
	v_cmpx_ne_u32_e32 0x7f, v4
	s_cbranch_execz .LBB200_311
; %bb.308:                              ;   in Loop: Header=BB200_9 Depth=1
	v_dual_lshrrev_b32 v3, 3, v4 :: v_dual_bitop2_b32 v26, 7, v1 bitop3:0x40
	s_mov_b32 s19, exec_lo
	v_cmpx_gt_u32_e32 8, v4
; %bb.309:                              ;   in Loop: Header=BB200_9 Depth=1
	s_delay_alu instid0(VALU_DEP_2) | instskip(NEXT) | instid1(VALU_DEP_1)
	v_clz_i32_u32_e32 v0, v26
	v_min_u32_e32 v0, 32, v0
	s_delay_alu instid0(VALU_DEP_1) | instskip(SKIP_1) | instid1(VALU_DEP_2)
	v_subrev_nc_u32_e32 v1, 28, v0
	v_sub_nc_u32_e32 v3, 29, v0
	v_lshlrev_b64_e32 v[4:5], v1, v[26:27]
	s_delay_alu instid0(VALU_DEP_1)
	v_and_b32_e32 v26, 7, v4
; %bb.310:                              ;   in Loop: Header=BB200_9 Depth=1
	s_or_b32 exec_lo, exec_lo, s19
	v_lshlrev_b32_e32 v0, 16, v2
	s_delay_alu instid0(VALU_DEP_2) | instskip(SKIP_1) | instid1(VALU_DEP_3)
	v_lshlrev_b32_e32 v1, 20, v26
	v_lshl_add_u32 v2, v3, 23, 0x3c000000
	v_and_b32_e32 v0, 0x80000000, v0
	s_delay_alu instid0(VALU_DEP_1)
	v_or3_b32 v1, v1, v0, v2
	v_mov_b32_e32 v0, v27
	scratch_store_b64 off, v[0:1], s32 offset:484 ; 8-byte Folded Spill
.LBB200_311:                            ;   in Loop: Header=BB200_9 Depth=1
	s_wait_xcnt 0x0
	s_or_b32 exec_lo, exec_lo, s18
.LBB200_312:                            ;   in Loop: Header=BB200_9 Depth=1
	s_delay_alu instid0(SALU_CYCLE_1)
	s_or_b32 exec_lo, exec_lo, s17
.LBB200_313:                            ;   in Loop: Header=BB200_9 Depth=1
	s_delay_alu instid0(SALU_CYCLE_1) | instskip(SKIP_4) | instid1(VALU_DEP_1)
	s_or_b32 exec_lo, exec_lo, s11
	flat_load_u16 v0, v[36:37] offset:1036
	s_wait_loadcnt_dscnt 0x0
	v_and_b32_e32 v2, 0xffff, v0
	v_and_b32_e32 v0, 0xff, v0
	v_cmp_ne_u16_e64 s2, 0, v0
	v_mov_b64_e32 v[0:1], 0
	scratch_store_b64 off, v[0:1], s32 offset:500 ; 8-byte Folded Spill
	s_wait_xcnt 0x0
	v_mov_b64_e32 v[0:1], 0
	scratch_store_b64 off, v[0:1], s32 offset:508 ; 8-byte Folded Spill
	s_wait_xcnt 0x0
	s_and_saveexec_b32 s11, s2
	s_cbranch_execz .LBB200_321
; %bb.314:                              ;   in Loop: Header=BB200_9 Depth=1
	v_and_b32_e32 v0, 0xff, v2
	s_delay_alu instid0(VALU_DEP_1)
	v_cmp_ne_u16_e64 s2, 0x80, v0
	v_mov_b64_e32 v[0:1], 0x80000000
	scratch_store_b64 off, v[0:1], s32 offset:508 ; 8-byte Folded Spill
	s_wait_xcnt 0x0
	s_and_saveexec_b32 s17, s2
	s_cbranch_execz .LBB200_320
; %bb.315:                              ;   in Loop: Header=BB200_9 Depth=1
	v_mov_b64_e32 v[0:1], 0x7f800001
	v_and_b32_e32 v4, 0x7f, v2
	s_mov_b32 s18, exec_lo
	scratch_store_b64 off, v[0:1], s32 offset:508 ; 8-byte Folded Spill
	s_wait_xcnt 0x0
	v_cmpx_ne_u32_e32 0x7f, v4
	s_cbranch_execz .LBB200_319
; %bb.316:                              ;   in Loop: Header=BB200_9 Depth=1
	v_dual_lshrrev_b32 v3, 3, v4 :: v_dual_bitop2_b32 v26, 7, v2 bitop3:0x40
	s_mov_b32 s19, exec_lo
	v_cmpx_gt_u32_e32 8, v4
; %bb.317:                              ;   in Loop: Header=BB200_9 Depth=1
	s_delay_alu instid0(VALU_DEP_2) | instskip(NEXT) | instid1(VALU_DEP_1)
	v_clz_i32_u32_e32 v0, v26
	v_min_u32_e32 v0, 32, v0
	s_delay_alu instid0(VALU_DEP_1) | instskip(SKIP_1) | instid1(VALU_DEP_2)
	v_subrev_nc_u32_e32 v1, 28, v0
	v_sub_nc_u32_e32 v3, 29, v0
	v_lshlrev_b64_e32 v[4:5], v1, v[26:27]
	s_delay_alu instid0(VALU_DEP_1)
	v_and_b32_e32 v26, 7, v4
; %bb.318:                              ;   in Loop: Header=BB200_9 Depth=1
	s_or_b32 exec_lo, exec_lo, s19
	v_lshlrev_b32_e32 v0, 24, v2
	s_delay_alu instid0(VALU_DEP_2) | instskip(SKIP_1) | instid1(VALU_DEP_3)
	v_lshlrev_b32_e32 v1, 20, v26
	v_lshl_add_u32 v3, v3, 23, 0x3c000000
	v_and_b32_e32 v0, 0x80000000, v0
	s_delay_alu instid0(VALU_DEP_1)
	v_or3_b32 v26, v1, v0, v3
	scratch_store_b64 off, v[26:27], s32 offset:508 ; 8-byte Folded Spill
.LBB200_319:                            ;   in Loop: Header=BB200_9 Depth=1
	s_wait_xcnt 0x0
	s_or_b32 exec_lo, exec_lo, s18
.LBB200_320:                            ;   in Loop: Header=BB200_9 Depth=1
	s_delay_alu instid0(SALU_CYCLE_1)
	s_or_b32 exec_lo, exec_lo, s17
.LBB200_321:                            ;   in Loop: Header=BB200_9 Depth=1
	s_delay_alu instid0(SALU_CYCLE_1) | instskip(SKIP_2) | instid1(VALU_DEP_1)
	s_or_b32 exec_lo, exec_lo, s11
	v_lshrrev_b16 v3, 8, v2
	s_mov_b32 s11, exec_lo
	v_cmpx_ne_u16_e32 0, v3
	s_cbranch_execz .LBB200_329
; %bb.322:                              ;   in Loop: Header=BB200_9 Depth=1
	v_mov_b64_e32 v[0:1], 0x8000000000000000
	s_mov_b32 s17, exec_lo
	scratch_store_b64 off, v[0:1], s32 offset:500 ; 8-byte Folded Spill
	s_wait_xcnt 0x0
	v_cmpx_ne_u16_e32 0x80, v3
	s_cbranch_execz .LBB200_328
; %bb.323:                              ;   in Loop: Header=BB200_9 Depth=1
	v_and_b32_e32 v1, 0xffff, v3
	v_mov_b64_e32 v[6:7], 0x7f80000100000000
	s_mov_b32 s18, exec_lo
	s_delay_alu instid0(VALU_DEP_2)
	v_and_b32_e32 v4, 0x7f, v1
	scratch_store_b64 off, v[6:7], s32 offset:500 ; 8-byte Folded Spill
	s_wait_xcnt 0x0
	v_cmpx_ne_u32_e32 0x7f, v4
	s_cbranch_execz .LBB200_327
; %bb.324:                              ;   in Loop: Header=BB200_9 Depth=1
	v_dual_lshrrev_b32 v3, 3, v4 :: v_dual_bitop2_b32 v26, 7, v1 bitop3:0x40
	s_mov_b32 s19, exec_lo
	v_cmpx_gt_u32_e32 8, v4
; %bb.325:                              ;   in Loop: Header=BB200_9 Depth=1
	s_delay_alu instid0(VALU_DEP_2) | instskip(NEXT) | instid1(VALU_DEP_1)
	v_clz_i32_u32_e32 v0, v26
	v_min_u32_e32 v0, 32, v0
	s_delay_alu instid0(VALU_DEP_1) | instskip(SKIP_1) | instid1(VALU_DEP_2)
	v_subrev_nc_u32_e32 v1, 28, v0
	v_sub_nc_u32_e32 v3, 29, v0
	v_lshlrev_b64_e32 v[4:5], v1, v[26:27]
	s_delay_alu instid0(VALU_DEP_1)
	v_and_b32_e32 v26, 7, v4
; %bb.326:                              ;   in Loop: Header=BB200_9 Depth=1
	s_or_b32 exec_lo, exec_lo, s19
	v_lshlrev_b32_e32 v0, 16, v2
	s_delay_alu instid0(VALU_DEP_2) | instskip(SKIP_1) | instid1(VALU_DEP_3)
	v_lshlrev_b32_e32 v1, 20, v26
	v_lshl_add_u32 v2, v3, 23, 0x3c000000
	v_and_b32_e32 v0, 0x80000000, v0
	s_delay_alu instid0(VALU_DEP_1)
	v_or3_b32 v1, v1, v0, v2
	v_mov_b32_e32 v0, v27
	scratch_store_b64 off, v[0:1], s32 offset:500 ; 8-byte Folded Spill
.LBB200_327:                            ;   in Loop: Header=BB200_9 Depth=1
	s_wait_xcnt 0x0
	s_or_b32 exec_lo, exec_lo, s18
.LBB200_328:                            ;   in Loop: Header=BB200_9 Depth=1
	s_delay_alu instid0(SALU_CYCLE_1)
	s_or_b32 exec_lo, exec_lo, s17
.LBB200_329:                            ;   in Loop: Header=BB200_9 Depth=1
	s_delay_alu instid0(SALU_CYCLE_1) | instskip(SKIP_4) | instid1(VALU_DEP_1)
	s_or_b32 exec_lo, exec_lo, s11
	flat_load_u16 v0, v[36:37] offset:1280
	s_wait_loadcnt_dscnt 0x0
	v_and_b32_e32 v2, 0xffff, v0
	v_and_b32_e32 v0, 0xff, v0
	v_cmp_ne_u16_e64 s2, 0, v0
	v_mov_b64_e32 v[0:1], 0
	scratch_store_b64 off, v[0:1], s32 offset:516 ; 8-byte Folded Spill
	s_wait_xcnt 0x0
	v_mov_b64_e32 v[0:1], 0
	scratch_store_b64 off, v[0:1], s32 offset:524 ; 8-byte Folded Spill
	s_wait_xcnt 0x0
	s_and_saveexec_b32 s11, s2
	s_cbranch_execz .LBB200_337
; %bb.330:                              ;   in Loop: Header=BB200_9 Depth=1
	v_and_b32_e32 v0, 0xff, v2
	s_delay_alu instid0(VALU_DEP_1)
	v_cmp_ne_u16_e64 s2, 0x80, v0
	v_mov_b64_e32 v[0:1], 0x80000000
	scratch_store_b64 off, v[0:1], s32 offset:524 ; 8-byte Folded Spill
	s_wait_xcnt 0x0
	s_and_saveexec_b32 s17, s2
	s_cbranch_execz .LBB200_336
; %bb.331:                              ;   in Loop: Header=BB200_9 Depth=1
	v_mov_b64_e32 v[0:1], 0x7f800001
	v_and_b32_e32 v4, 0x7f, v2
	s_mov_b32 s18, exec_lo
	scratch_store_b64 off, v[0:1], s32 offset:524 ; 8-byte Folded Spill
	s_wait_xcnt 0x0
	v_cmpx_ne_u32_e32 0x7f, v4
	s_cbranch_execz .LBB200_335
; %bb.332:                              ;   in Loop: Header=BB200_9 Depth=1
	v_dual_lshrrev_b32 v3, 3, v4 :: v_dual_bitop2_b32 v26, 7, v2 bitop3:0x40
	s_mov_b32 s19, exec_lo
	v_cmpx_gt_u32_e32 8, v4
; %bb.333:                              ;   in Loop: Header=BB200_9 Depth=1
	s_delay_alu instid0(VALU_DEP_2) | instskip(NEXT) | instid1(VALU_DEP_1)
	v_clz_i32_u32_e32 v0, v26
	v_min_u32_e32 v0, 32, v0
	s_delay_alu instid0(VALU_DEP_1) | instskip(SKIP_1) | instid1(VALU_DEP_2)
	v_subrev_nc_u32_e32 v1, 28, v0
	v_sub_nc_u32_e32 v3, 29, v0
	v_lshlrev_b64_e32 v[4:5], v1, v[26:27]
	s_delay_alu instid0(VALU_DEP_1)
	v_and_b32_e32 v26, 7, v4
; %bb.334:                              ;   in Loop: Header=BB200_9 Depth=1
	s_or_b32 exec_lo, exec_lo, s19
	v_lshlrev_b32_e32 v0, 24, v2
	s_delay_alu instid0(VALU_DEP_2) | instskip(SKIP_1) | instid1(VALU_DEP_3)
	v_lshlrev_b32_e32 v1, 20, v26
	v_lshl_add_u32 v3, v3, 23, 0x3c000000
	v_and_b32_e32 v0, 0x80000000, v0
	s_delay_alu instid0(VALU_DEP_1)
	v_or3_b32 v26, v1, v0, v3
	scratch_store_b64 off, v[26:27], s32 offset:524 ; 8-byte Folded Spill
.LBB200_335:                            ;   in Loop: Header=BB200_9 Depth=1
	s_wait_xcnt 0x0
	s_or_b32 exec_lo, exec_lo, s18
.LBB200_336:                            ;   in Loop: Header=BB200_9 Depth=1
	s_delay_alu instid0(SALU_CYCLE_1)
	s_or_b32 exec_lo, exec_lo, s17
.LBB200_337:                            ;   in Loop: Header=BB200_9 Depth=1
	s_delay_alu instid0(SALU_CYCLE_1) | instskip(SKIP_2) | instid1(VALU_DEP_1)
	s_or_b32 exec_lo, exec_lo, s11
	v_lshrrev_b16 v3, 8, v2
	s_mov_b32 s11, exec_lo
	v_cmpx_ne_u16_e32 0, v3
	s_cbranch_execz .LBB200_345
; %bb.338:                              ;   in Loop: Header=BB200_9 Depth=1
	v_mov_b64_e32 v[0:1], 0x8000000000000000
	s_mov_b32 s17, exec_lo
	scratch_store_b64 off, v[0:1], s32 offset:516 ; 8-byte Folded Spill
	s_wait_xcnt 0x0
	v_cmpx_ne_u16_e32 0x80, v3
	s_cbranch_execz .LBB200_344
; %bb.339:                              ;   in Loop: Header=BB200_9 Depth=1
	v_and_b32_e32 v1, 0xffff, v3
	v_mov_b64_e32 v[6:7], 0x7f80000100000000
	s_mov_b32 s18, exec_lo
	s_delay_alu instid0(VALU_DEP_2)
	v_and_b32_e32 v4, 0x7f, v1
	scratch_store_b64 off, v[6:7], s32 offset:516 ; 8-byte Folded Spill
	s_wait_xcnt 0x0
	v_cmpx_ne_u32_e32 0x7f, v4
	s_cbranch_execz .LBB200_343
; %bb.340:                              ;   in Loop: Header=BB200_9 Depth=1
	v_dual_lshrrev_b32 v3, 3, v4 :: v_dual_bitop2_b32 v26, 7, v1 bitop3:0x40
	s_mov_b32 s19, exec_lo
	v_cmpx_gt_u32_e32 8, v4
; %bb.341:                              ;   in Loop: Header=BB200_9 Depth=1
	s_delay_alu instid0(VALU_DEP_2) | instskip(NEXT) | instid1(VALU_DEP_1)
	v_clz_i32_u32_e32 v0, v26
	v_min_u32_e32 v0, 32, v0
	s_delay_alu instid0(VALU_DEP_1) | instskip(SKIP_1) | instid1(VALU_DEP_2)
	v_subrev_nc_u32_e32 v1, 28, v0
	v_sub_nc_u32_e32 v3, 29, v0
	v_lshlrev_b64_e32 v[4:5], v1, v[26:27]
	s_delay_alu instid0(VALU_DEP_1)
	v_and_b32_e32 v26, 7, v4
; %bb.342:                              ;   in Loop: Header=BB200_9 Depth=1
	s_or_b32 exec_lo, exec_lo, s19
	v_lshlrev_b32_e32 v0, 16, v2
	s_delay_alu instid0(VALU_DEP_2) | instskip(SKIP_1) | instid1(VALU_DEP_3)
	v_lshlrev_b32_e32 v1, 20, v26
	v_lshl_add_u32 v2, v3, 23, 0x3c000000
	v_and_b32_e32 v0, 0x80000000, v0
	s_delay_alu instid0(VALU_DEP_1)
	v_or3_b32 v1, v1, v0, v2
	v_mov_b32_e32 v0, v27
	scratch_store_b64 off, v[0:1], s32 offset:516 ; 8-byte Folded Spill
.LBB200_343:                            ;   in Loop: Header=BB200_9 Depth=1
	s_wait_xcnt 0x0
	s_or_b32 exec_lo, exec_lo, s18
.LBB200_344:                            ;   in Loop: Header=BB200_9 Depth=1
	s_delay_alu instid0(SALU_CYCLE_1)
	s_or_b32 exec_lo, exec_lo, s17
.LBB200_345:                            ;   in Loop: Header=BB200_9 Depth=1
	s_delay_alu instid0(SALU_CYCLE_1) | instskip(SKIP_4) | instid1(VALU_DEP_1)
	s_or_b32 exec_lo, exec_lo, s11
	flat_load_u16 v0, v[36:37] offset:1284
	s_wait_loadcnt_dscnt 0x0
	v_and_b32_e32 v2, 0xffff, v0
	v_and_b32_e32 v0, 0xff, v0
	v_cmp_ne_u16_e64 s2, 0, v0
	v_mov_b64_e32 v[0:1], 0
	scratch_store_b64 off, v[0:1], s32 offset:532 ; 8-byte Folded Spill
	s_wait_xcnt 0x0
	v_mov_b64_e32 v[0:1], 0
	scratch_store_b64 off, v[0:1], s32 offset:540 ; 8-byte Folded Spill
	s_wait_xcnt 0x0
	s_and_saveexec_b32 s11, s2
	s_cbranch_execz .LBB200_353
; %bb.346:                              ;   in Loop: Header=BB200_9 Depth=1
	v_and_b32_e32 v0, 0xff, v2
	s_delay_alu instid0(VALU_DEP_1)
	v_cmp_ne_u16_e64 s2, 0x80, v0
	v_mov_b64_e32 v[0:1], 0x80000000
	scratch_store_b64 off, v[0:1], s32 offset:540 ; 8-byte Folded Spill
	s_wait_xcnt 0x0
	s_and_saveexec_b32 s17, s2
	s_cbranch_execz .LBB200_352
; %bb.347:                              ;   in Loop: Header=BB200_9 Depth=1
	v_mov_b64_e32 v[0:1], 0x7f800001
	v_and_b32_e32 v4, 0x7f, v2
	s_mov_b32 s18, exec_lo
	scratch_store_b64 off, v[0:1], s32 offset:540 ; 8-byte Folded Spill
	s_wait_xcnt 0x0
	v_cmpx_ne_u32_e32 0x7f, v4
	s_cbranch_execz .LBB200_351
; %bb.348:                              ;   in Loop: Header=BB200_9 Depth=1
	v_dual_lshrrev_b32 v3, 3, v4 :: v_dual_bitop2_b32 v26, 7, v2 bitop3:0x40
	s_mov_b32 s19, exec_lo
	v_cmpx_gt_u32_e32 8, v4
; %bb.349:                              ;   in Loop: Header=BB200_9 Depth=1
	s_delay_alu instid0(VALU_DEP_2) | instskip(NEXT) | instid1(VALU_DEP_1)
	v_clz_i32_u32_e32 v0, v26
	v_min_u32_e32 v0, 32, v0
	s_delay_alu instid0(VALU_DEP_1) | instskip(SKIP_1) | instid1(VALU_DEP_2)
	v_subrev_nc_u32_e32 v1, 28, v0
	v_sub_nc_u32_e32 v3, 29, v0
	v_lshlrev_b64_e32 v[4:5], v1, v[26:27]
	s_delay_alu instid0(VALU_DEP_1)
	v_and_b32_e32 v26, 7, v4
; %bb.350:                              ;   in Loop: Header=BB200_9 Depth=1
	s_or_b32 exec_lo, exec_lo, s19
	v_lshlrev_b32_e32 v0, 24, v2
	s_delay_alu instid0(VALU_DEP_2) | instskip(SKIP_1) | instid1(VALU_DEP_3)
	v_lshlrev_b32_e32 v1, 20, v26
	v_lshl_add_u32 v3, v3, 23, 0x3c000000
	v_and_b32_e32 v0, 0x80000000, v0
	s_delay_alu instid0(VALU_DEP_1)
	v_or3_b32 v26, v1, v0, v3
	scratch_store_b64 off, v[26:27], s32 offset:540 ; 8-byte Folded Spill
.LBB200_351:                            ;   in Loop: Header=BB200_9 Depth=1
	s_wait_xcnt 0x0
	s_or_b32 exec_lo, exec_lo, s18
.LBB200_352:                            ;   in Loop: Header=BB200_9 Depth=1
	s_delay_alu instid0(SALU_CYCLE_1)
	s_or_b32 exec_lo, exec_lo, s17
.LBB200_353:                            ;   in Loop: Header=BB200_9 Depth=1
	s_delay_alu instid0(SALU_CYCLE_1) | instskip(SKIP_2) | instid1(VALU_DEP_1)
	s_or_b32 exec_lo, exec_lo, s11
	v_lshrrev_b16 v3, 8, v2
	s_mov_b32 s11, exec_lo
	v_cmpx_ne_u16_e32 0, v3
	s_cbranch_execz .LBB200_361
; %bb.354:                              ;   in Loop: Header=BB200_9 Depth=1
	v_mov_b64_e32 v[0:1], 0x8000000000000000
	s_mov_b32 s17, exec_lo
	scratch_store_b64 off, v[0:1], s32 offset:532 ; 8-byte Folded Spill
	s_wait_xcnt 0x0
	v_cmpx_ne_u16_e32 0x80, v3
	s_cbranch_execz .LBB200_360
; %bb.355:                              ;   in Loop: Header=BB200_9 Depth=1
	v_and_b32_e32 v1, 0xffff, v3
	v_mov_b64_e32 v[6:7], 0x7f80000100000000
	s_mov_b32 s18, exec_lo
	s_delay_alu instid0(VALU_DEP_2)
	v_and_b32_e32 v4, 0x7f, v1
	scratch_store_b64 off, v[6:7], s32 offset:532 ; 8-byte Folded Spill
	s_wait_xcnt 0x0
	v_cmpx_ne_u32_e32 0x7f, v4
	s_cbranch_execz .LBB200_359
; %bb.356:                              ;   in Loop: Header=BB200_9 Depth=1
	v_dual_lshrrev_b32 v3, 3, v4 :: v_dual_bitop2_b32 v26, 7, v1 bitop3:0x40
	s_mov_b32 s19, exec_lo
	v_cmpx_gt_u32_e32 8, v4
; %bb.357:                              ;   in Loop: Header=BB200_9 Depth=1
	s_delay_alu instid0(VALU_DEP_2) | instskip(NEXT) | instid1(VALU_DEP_1)
	v_clz_i32_u32_e32 v0, v26
	v_min_u32_e32 v0, 32, v0
	s_delay_alu instid0(VALU_DEP_1) | instskip(SKIP_1) | instid1(VALU_DEP_2)
	v_subrev_nc_u32_e32 v1, 28, v0
	v_sub_nc_u32_e32 v3, 29, v0
	v_lshlrev_b64_e32 v[4:5], v1, v[26:27]
	s_delay_alu instid0(VALU_DEP_1)
	v_and_b32_e32 v26, 7, v4
; %bb.358:                              ;   in Loop: Header=BB200_9 Depth=1
	s_or_b32 exec_lo, exec_lo, s19
	v_lshlrev_b32_e32 v0, 16, v2
	s_delay_alu instid0(VALU_DEP_2) | instskip(SKIP_1) | instid1(VALU_DEP_3)
	v_lshlrev_b32_e32 v1, 20, v26
	v_lshl_add_u32 v2, v3, 23, 0x3c000000
	v_and_b32_e32 v0, 0x80000000, v0
	s_delay_alu instid0(VALU_DEP_1)
	v_or3_b32 v1, v1, v0, v2
	v_mov_b32_e32 v0, v27
	scratch_store_b64 off, v[0:1], s32 offset:532 ; 8-byte Folded Spill
.LBB200_359:                            ;   in Loop: Header=BB200_9 Depth=1
	s_wait_xcnt 0x0
	s_or_b32 exec_lo, exec_lo, s18
.LBB200_360:                            ;   in Loop: Header=BB200_9 Depth=1
	s_delay_alu instid0(SALU_CYCLE_1)
	s_or_b32 exec_lo, exec_lo, s17
.LBB200_361:                            ;   in Loop: Header=BB200_9 Depth=1
	s_delay_alu instid0(SALU_CYCLE_1) | instskip(SKIP_4) | instid1(VALU_DEP_1)
	s_or_b32 exec_lo, exec_lo, s11
	flat_load_u16 v0, v[36:37] offset:1288
	s_wait_loadcnt_dscnt 0x0
	v_and_b32_e32 v2, 0xffff, v0
	v_and_b32_e32 v0, 0xff, v0
	v_cmp_ne_u16_e64 s2, 0, v0
	v_mov_b64_e32 v[0:1], 0
	scratch_store_b64 off, v[0:1], s32 offset:548 ; 8-byte Folded Spill
	s_wait_xcnt 0x0
	v_mov_b64_e32 v[0:1], 0
	scratch_store_b64 off, v[0:1], s32 offset:556 ; 8-byte Folded Spill
	s_wait_xcnt 0x0
	s_and_saveexec_b32 s11, s2
	s_cbranch_execz .LBB200_369
; %bb.362:                              ;   in Loop: Header=BB200_9 Depth=1
	v_and_b32_e32 v0, 0xff, v2
	s_delay_alu instid0(VALU_DEP_1)
	v_cmp_ne_u16_e64 s2, 0x80, v0
	v_mov_b64_e32 v[0:1], 0x80000000
	scratch_store_b64 off, v[0:1], s32 offset:556 ; 8-byte Folded Spill
	s_wait_xcnt 0x0
	s_and_saveexec_b32 s17, s2
	s_cbranch_execz .LBB200_368
; %bb.363:                              ;   in Loop: Header=BB200_9 Depth=1
	v_mov_b64_e32 v[0:1], 0x7f800001
	v_and_b32_e32 v4, 0x7f, v2
	s_mov_b32 s18, exec_lo
	scratch_store_b64 off, v[0:1], s32 offset:556 ; 8-byte Folded Spill
	s_wait_xcnt 0x0
	v_cmpx_ne_u32_e32 0x7f, v4
	s_cbranch_execz .LBB200_367
; %bb.364:                              ;   in Loop: Header=BB200_9 Depth=1
	v_dual_lshrrev_b32 v3, 3, v4 :: v_dual_bitop2_b32 v26, 7, v2 bitop3:0x40
	s_mov_b32 s19, exec_lo
	v_cmpx_gt_u32_e32 8, v4
; %bb.365:                              ;   in Loop: Header=BB200_9 Depth=1
	s_delay_alu instid0(VALU_DEP_2) | instskip(NEXT) | instid1(VALU_DEP_1)
	v_clz_i32_u32_e32 v0, v26
	v_min_u32_e32 v0, 32, v0
	s_delay_alu instid0(VALU_DEP_1) | instskip(SKIP_1) | instid1(VALU_DEP_2)
	v_subrev_nc_u32_e32 v1, 28, v0
	v_sub_nc_u32_e32 v3, 29, v0
	v_lshlrev_b64_e32 v[4:5], v1, v[26:27]
	s_delay_alu instid0(VALU_DEP_1)
	v_and_b32_e32 v26, 7, v4
; %bb.366:                              ;   in Loop: Header=BB200_9 Depth=1
	s_or_b32 exec_lo, exec_lo, s19
	v_lshlrev_b32_e32 v0, 24, v2
	s_delay_alu instid0(VALU_DEP_2) | instskip(SKIP_1) | instid1(VALU_DEP_3)
	v_lshlrev_b32_e32 v1, 20, v26
	v_lshl_add_u32 v3, v3, 23, 0x3c000000
	v_and_b32_e32 v0, 0x80000000, v0
	s_delay_alu instid0(VALU_DEP_1)
	v_or3_b32 v26, v1, v0, v3
	scratch_store_b64 off, v[26:27], s32 offset:556 ; 8-byte Folded Spill
.LBB200_367:                            ;   in Loop: Header=BB200_9 Depth=1
	s_wait_xcnt 0x0
	s_or_b32 exec_lo, exec_lo, s18
.LBB200_368:                            ;   in Loop: Header=BB200_9 Depth=1
	s_delay_alu instid0(SALU_CYCLE_1)
	s_or_b32 exec_lo, exec_lo, s17
.LBB200_369:                            ;   in Loop: Header=BB200_9 Depth=1
	s_delay_alu instid0(SALU_CYCLE_1) | instskip(SKIP_2) | instid1(VALU_DEP_1)
	s_or_b32 exec_lo, exec_lo, s11
	v_lshrrev_b16 v3, 8, v2
	s_mov_b32 s11, exec_lo
	v_cmpx_ne_u16_e32 0, v3
	s_cbranch_execz .LBB200_377
; %bb.370:                              ;   in Loop: Header=BB200_9 Depth=1
	v_mov_b64_e32 v[0:1], 0x8000000000000000
	s_mov_b32 s17, exec_lo
	scratch_store_b64 off, v[0:1], s32 offset:548 ; 8-byte Folded Spill
	s_wait_xcnt 0x0
	v_cmpx_ne_u16_e32 0x80, v3
	s_cbranch_execz .LBB200_376
; %bb.371:                              ;   in Loop: Header=BB200_9 Depth=1
	v_and_b32_e32 v1, 0xffff, v3
	v_mov_b64_e32 v[6:7], 0x7f80000100000000
	s_mov_b32 s18, exec_lo
	s_delay_alu instid0(VALU_DEP_2)
	v_and_b32_e32 v4, 0x7f, v1
	scratch_store_b64 off, v[6:7], s32 offset:548 ; 8-byte Folded Spill
	s_wait_xcnt 0x0
	v_cmpx_ne_u32_e32 0x7f, v4
	s_cbranch_execz .LBB200_375
; %bb.372:                              ;   in Loop: Header=BB200_9 Depth=1
	v_dual_lshrrev_b32 v3, 3, v4 :: v_dual_bitop2_b32 v26, 7, v1 bitop3:0x40
	s_mov_b32 s19, exec_lo
	v_cmpx_gt_u32_e32 8, v4
; %bb.373:                              ;   in Loop: Header=BB200_9 Depth=1
	s_delay_alu instid0(VALU_DEP_2) | instskip(NEXT) | instid1(VALU_DEP_1)
	v_clz_i32_u32_e32 v0, v26
	v_min_u32_e32 v0, 32, v0
	s_delay_alu instid0(VALU_DEP_1) | instskip(SKIP_1) | instid1(VALU_DEP_2)
	v_subrev_nc_u32_e32 v1, 28, v0
	v_sub_nc_u32_e32 v3, 29, v0
	v_lshlrev_b64_e32 v[4:5], v1, v[26:27]
	s_delay_alu instid0(VALU_DEP_1)
	v_and_b32_e32 v26, 7, v4
; %bb.374:                              ;   in Loop: Header=BB200_9 Depth=1
	s_or_b32 exec_lo, exec_lo, s19
	v_lshlrev_b32_e32 v0, 16, v2
	s_delay_alu instid0(VALU_DEP_2) | instskip(SKIP_1) | instid1(VALU_DEP_3)
	v_lshlrev_b32_e32 v1, 20, v26
	v_lshl_add_u32 v2, v3, 23, 0x3c000000
	v_and_b32_e32 v0, 0x80000000, v0
	s_delay_alu instid0(VALU_DEP_1)
	v_or3_b32 v1, v1, v0, v2
	v_mov_b32_e32 v0, v27
	scratch_store_b64 off, v[0:1], s32 offset:548 ; 8-byte Folded Spill
.LBB200_375:                            ;   in Loop: Header=BB200_9 Depth=1
	s_wait_xcnt 0x0
	s_or_b32 exec_lo, exec_lo, s18
.LBB200_376:                            ;   in Loop: Header=BB200_9 Depth=1
	s_delay_alu instid0(SALU_CYCLE_1)
	s_or_b32 exec_lo, exec_lo, s17
.LBB200_377:                            ;   in Loop: Header=BB200_9 Depth=1
	s_delay_alu instid0(SALU_CYCLE_1) | instskip(SKIP_4) | instid1(VALU_DEP_1)
	s_or_b32 exec_lo, exec_lo, s11
	flat_load_u16 v0, v[36:37] offset:1292
	s_wait_loadcnt_dscnt 0x0
	v_and_b32_e32 v2, 0xffff, v0
	v_and_b32_e32 v0, 0xff, v0
	v_cmp_ne_u16_e64 s2, 0, v0
	v_mov_b64_e32 v[0:1], 0
	scratch_store_b64 off, v[0:1], s32 offset:564 ; 8-byte Folded Spill
	s_wait_xcnt 0x0
	v_mov_b64_e32 v[0:1], 0
	scratch_store_b64 off, v[0:1], s32 offset:572 ; 8-byte Folded Spill
	s_wait_xcnt 0x0
	s_and_saveexec_b32 s11, s2
	s_cbranch_execz .LBB200_385
; %bb.378:                              ;   in Loop: Header=BB200_9 Depth=1
	v_and_b32_e32 v0, 0xff, v2
	s_delay_alu instid0(VALU_DEP_1)
	v_cmp_ne_u16_e64 s2, 0x80, v0
	v_mov_b64_e32 v[0:1], 0x80000000
	scratch_store_b64 off, v[0:1], s32 offset:572 ; 8-byte Folded Spill
	s_wait_xcnt 0x0
	s_and_saveexec_b32 s17, s2
	s_cbranch_execz .LBB200_384
; %bb.379:                              ;   in Loop: Header=BB200_9 Depth=1
	v_mov_b64_e32 v[0:1], 0x7f800001
	v_and_b32_e32 v4, 0x7f, v2
	s_mov_b32 s18, exec_lo
	scratch_store_b64 off, v[0:1], s32 offset:572 ; 8-byte Folded Spill
	s_wait_xcnt 0x0
	v_cmpx_ne_u32_e32 0x7f, v4
	s_cbranch_execz .LBB200_383
; %bb.380:                              ;   in Loop: Header=BB200_9 Depth=1
	v_dual_lshrrev_b32 v3, 3, v4 :: v_dual_bitop2_b32 v26, 7, v2 bitop3:0x40
	s_mov_b32 s19, exec_lo
	v_cmpx_gt_u32_e32 8, v4
; %bb.381:                              ;   in Loop: Header=BB200_9 Depth=1
	s_delay_alu instid0(VALU_DEP_2) | instskip(NEXT) | instid1(VALU_DEP_1)
	v_clz_i32_u32_e32 v0, v26
	v_min_u32_e32 v0, 32, v0
	s_delay_alu instid0(VALU_DEP_1) | instskip(SKIP_1) | instid1(VALU_DEP_2)
	v_subrev_nc_u32_e32 v1, 28, v0
	v_sub_nc_u32_e32 v3, 29, v0
	v_lshlrev_b64_e32 v[4:5], v1, v[26:27]
	s_delay_alu instid0(VALU_DEP_1)
	v_and_b32_e32 v26, 7, v4
; %bb.382:                              ;   in Loop: Header=BB200_9 Depth=1
	s_or_b32 exec_lo, exec_lo, s19
	v_lshlrev_b32_e32 v0, 24, v2
	s_delay_alu instid0(VALU_DEP_2) | instskip(SKIP_1) | instid1(VALU_DEP_3)
	v_lshlrev_b32_e32 v1, 20, v26
	v_lshl_add_u32 v3, v3, 23, 0x3c000000
	v_and_b32_e32 v0, 0x80000000, v0
	s_delay_alu instid0(VALU_DEP_1)
	v_or3_b32 v26, v1, v0, v3
	scratch_store_b64 off, v[26:27], s32 offset:572 ; 8-byte Folded Spill
.LBB200_383:                            ;   in Loop: Header=BB200_9 Depth=1
	s_wait_xcnt 0x0
	s_or_b32 exec_lo, exec_lo, s18
.LBB200_384:                            ;   in Loop: Header=BB200_9 Depth=1
	s_delay_alu instid0(SALU_CYCLE_1)
	s_or_b32 exec_lo, exec_lo, s17
.LBB200_385:                            ;   in Loop: Header=BB200_9 Depth=1
	s_delay_alu instid0(SALU_CYCLE_1) | instskip(SKIP_2) | instid1(VALU_DEP_1)
	s_or_b32 exec_lo, exec_lo, s11
	v_lshrrev_b16 v3, 8, v2
	s_mov_b32 s11, exec_lo
	v_cmpx_ne_u16_e32 0, v3
	s_cbranch_execz .LBB200_393
; %bb.386:                              ;   in Loop: Header=BB200_9 Depth=1
	v_mov_b64_e32 v[0:1], 0x8000000000000000
	s_mov_b32 s17, exec_lo
	scratch_store_b64 off, v[0:1], s32 offset:564 ; 8-byte Folded Spill
	s_wait_xcnt 0x0
	v_cmpx_ne_u16_e32 0x80, v3
	s_cbranch_execz .LBB200_392
; %bb.387:                              ;   in Loop: Header=BB200_9 Depth=1
	v_and_b32_e32 v1, 0xffff, v3
	v_mov_b64_e32 v[6:7], 0x7f80000100000000
	s_mov_b32 s18, exec_lo
	s_delay_alu instid0(VALU_DEP_2)
	v_and_b32_e32 v4, 0x7f, v1
	scratch_store_b64 off, v[6:7], s32 offset:564 ; 8-byte Folded Spill
	s_wait_xcnt 0x0
	v_cmpx_ne_u32_e32 0x7f, v4
	s_cbranch_execz .LBB200_391
; %bb.388:                              ;   in Loop: Header=BB200_9 Depth=1
	v_dual_lshrrev_b32 v3, 3, v4 :: v_dual_bitop2_b32 v26, 7, v1 bitop3:0x40
	s_mov_b32 s19, exec_lo
	v_cmpx_gt_u32_e32 8, v4
; %bb.389:                              ;   in Loop: Header=BB200_9 Depth=1
	s_delay_alu instid0(VALU_DEP_2) | instskip(NEXT) | instid1(VALU_DEP_1)
	v_clz_i32_u32_e32 v0, v26
	v_min_u32_e32 v0, 32, v0
	s_delay_alu instid0(VALU_DEP_1) | instskip(SKIP_1) | instid1(VALU_DEP_2)
	v_subrev_nc_u32_e32 v1, 28, v0
	v_sub_nc_u32_e32 v3, 29, v0
	v_lshlrev_b64_e32 v[4:5], v1, v[26:27]
	s_delay_alu instid0(VALU_DEP_1)
	v_and_b32_e32 v26, 7, v4
; %bb.390:                              ;   in Loop: Header=BB200_9 Depth=1
	s_or_b32 exec_lo, exec_lo, s19
	v_lshlrev_b32_e32 v0, 16, v2
	s_delay_alu instid0(VALU_DEP_2) | instskip(SKIP_1) | instid1(VALU_DEP_3)
	v_lshlrev_b32_e32 v1, 20, v26
	v_lshl_add_u32 v2, v3, 23, 0x3c000000
	v_and_b32_e32 v0, 0x80000000, v0
	s_delay_alu instid0(VALU_DEP_1)
	v_or3_b32 v1, v1, v0, v2
	v_mov_b32_e32 v0, v27
	scratch_store_b64 off, v[0:1], s32 offset:564 ; 8-byte Folded Spill
.LBB200_391:                            ;   in Loop: Header=BB200_9 Depth=1
	s_wait_xcnt 0x0
	s_or_b32 exec_lo, exec_lo, s18
.LBB200_392:                            ;   in Loop: Header=BB200_9 Depth=1
	s_delay_alu instid0(SALU_CYCLE_1)
	s_or_b32 exec_lo, exec_lo, s17
.LBB200_393:                            ;   in Loop: Header=BB200_9 Depth=1
	s_delay_alu instid0(SALU_CYCLE_1) | instskip(SKIP_4) | instid1(VALU_DEP_1)
	s_or_b32 exec_lo, exec_lo, s11
	flat_load_u16 v0, v[36:37] offset:1536
	s_wait_loadcnt_dscnt 0x0
	v_and_b32_e32 v2, 0xffff, v0
	v_and_b32_e32 v0, 0xff, v0
	v_cmp_ne_u16_e64 s2, 0, v0
	v_mov_b64_e32 v[0:1], 0
	scratch_store_b64 off, v[0:1], s32 offset:580 ; 8-byte Folded Spill
	s_wait_xcnt 0x0
	v_mov_b64_e32 v[0:1], 0
	scratch_store_b64 off, v[0:1], s32 offset:588 ; 8-byte Folded Spill
	s_wait_xcnt 0x0
	s_and_saveexec_b32 s11, s2
	s_cbranch_execz .LBB200_401
; %bb.394:                              ;   in Loop: Header=BB200_9 Depth=1
	v_and_b32_e32 v0, 0xff, v2
	s_delay_alu instid0(VALU_DEP_1)
	v_cmp_ne_u16_e64 s2, 0x80, v0
	v_mov_b64_e32 v[0:1], 0x80000000
	scratch_store_b64 off, v[0:1], s32 offset:588 ; 8-byte Folded Spill
	s_wait_xcnt 0x0
	s_and_saveexec_b32 s17, s2
	s_cbranch_execz .LBB200_400
; %bb.395:                              ;   in Loop: Header=BB200_9 Depth=1
	v_mov_b64_e32 v[0:1], 0x7f800001
	v_and_b32_e32 v4, 0x7f, v2
	s_mov_b32 s18, exec_lo
	scratch_store_b64 off, v[0:1], s32 offset:588 ; 8-byte Folded Spill
	s_wait_xcnt 0x0
	v_cmpx_ne_u32_e32 0x7f, v4
	s_cbranch_execz .LBB200_399
; %bb.396:                              ;   in Loop: Header=BB200_9 Depth=1
	v_dual_lshrrev_b32 v3, 3, v4 :: v_dual_bitop2_b32 v26, 7, v2 bitop3:0x40
	s_mov_b32 s19, exec_lo
	v_cmpx_gt_u32_e32 8, v4
; %bb.397:                              ;   in Loop: Header=BB200_9 Depth=1
	s_delay_alu instid0(VALU_DEP_2) | instskip(NEXT) | instid1(VALU_DEP_1)
	v_clz_i32_u32_e32 v0, v26
	v_min_u32_e32 v0, 32, v0
	s_delay_alu instid0(VALU_DEP_1) | instskip(SKIP_1) | instid1(VALU_DEP_2)
	v_subrev_nc_u32_e32 v1, 28, v0
	v_sub_nc_u32_e32 v3, 29, v0
	v_lshlrev_b64_e32 v[4:5], v1, v[26:27]
	s_delay_alu instid0(VALU_DEP_1)
	v_and_b32_e32 v26, 7, v4
; %bb.398:                              ;   in Loop: Header=BB200_9 Depth=1
	s_or_b32 exec_lo, exec_lo, s19
	v_lshlrev_b32_e32 v0, 24, v2
	s_delay_alu instid0(VALU_DEP_2) | instskip(SKIP_1) | instid1(VALU_DEP_3)
	v_lshlrev_b32_e32 v1, 20, v26
	v_lshl_add_u32 v3, v3, 23, 0x3c000000
	v_and_b32_e32 v0, 0x80000000, v0
	s_delay_alu instid0(VALU_DEP_1)
	v_or3_b32 v26, v1, v0, v3
	scratch_store_b64 off, v[26:27], s32 offset:588 ; 8-byte Folded Spill
.LBB200_399:                            ;   in Loop: Header=BB200_9 Depth=1
	s_wait_xcnt 0x0
	s_or_b32 exec_lo, exec_lo, s18
.LBB200_400:                            ;   in Loop: Header=BB200_9 Depth=1
	s_delay_alu instid0(SALU_CYCLE_1)
	s_or_b32 exec_lo, exec_lo, s17
.LBB200_401:                            ;   in Loop: Header=BB200_9 Depth=1
	s_delay_alu instid0(SALU_CYCLE_1) | instskip(SKIP_2) | instid1(VALU_DEP_1)
	s_or_b32 exec_lo, exec_lo, s11
	v_lshrrev_b16 v3, 8, v2
	s_mov_b32 s11, exec_lo
	v_cmpx_ne_u16_e32 0, v3
	s_cbranch_execz .LBB200_409
; %bb.402:                              ;   in Loop: Header=BB200_9 Depth=1
	v_mov_b64_e32 v[0:1], 0x8000000000000000
	s_mov_b32 s17, exec_lo
	scratch_store_b64 off, v[0:1], s32 offset:580 ; 8-byte Folded Spill
	s_wait_xcnt 0x0
	v_cmpx_ne_u16_e32 0x80, v3
	s_cbranch_execz .LBB200_408
; %bb.403:                              ;   in Loop: Header=BB200_9 Depth=1
	v_and_b32_e32 v1, 0xffff, v3
	v_mov_b64_e32 v[6:7], 0x7f80000100000000
	s_mov_b32 s18, exec_lo
	s_delay_alu instid0(VALU_DEP_2)
	v_and_b32_e32 v4, 0x7f, v1
	scratch_store_b64 off, v[6:7], s32 offset:580 ; 8-byte Folded Spill
	s_wait_xcnt 0x0
	v_cmpx_ne_u32_e32 0x7f, v4
	s_cbranch_execz .LBB200_407
; %bb.404:                              ;   in Loop: Header=BB200_9 Depth=1
	v_dual_lshrrev_b32 v3, 3, v4 :: v_dual_bitop2_b32 v26, 7, v1 bitop3:0x40
	s_mov_b32 s19, exec_lo
	v_cmpx_gt_u32_e32 8, v4
; %bb.405:                              ;   in Loop: Header=BB200_9 Depth=1
	s_delay_alu instid0(VALU_DEP_2) | instskip(NEXT) | instid1(VALU_DEP_1)
	v_clz_i32_u32_e32 v0, v26
	v_min_u32_e32 v0, 32, v0
	s_delay_alu instid0(VALU_DEP_1) | instskip(SKIP_1) | instid1(VALU_DEP_2)
	v_subrev_nc_u32_e32 v1, 28, v0
	v_sub_nc_u32_e32 v3, 29, v0
	v_lshlrev_b64_e32 v[4:5], v1, v[26:27]
	s_delay_alu instid0(VALU_DEP_1)
	v_and_b32_e32 v26, 7, v4
; %bb.406:                              ;   in Loop: Header=BB200_9 Depth=1
	s_or_b32 exec_lo, exec_lo, s19
	v_lshlrev_b32_e32 v0, 16, v2
	s_delay_alu instid0(VALU_DEP_2) | instskip(SKIP_1) | instid1(VALU_DEP_3)
	v_lshlrev_b32_e32 v1, 20, v26
	v_lshl_add_u32 v2, v3, 23, 0x3c000000
	v_and_b32_e32 v0, 0x80000000, v0
	s_delay_alu instid0(VALU_DEP_1)
	v_or3_b32 v1, v1, v0, v2
	v_mov_b32_e32 v0, v27
	scratch_store_b64 off, v[0:1], s32 offset:580 ; 8-byte Folded Spill
.LBB200_407:                            ;   in Loop: Header=BB200_9 Depth=1
	s_wait_xcnt 0x0
	s_or_b32 exec_lo, exec_lo, s18
.LBB200_408:                            ;   in Loop: Header=BB200_9 Depth=1
	s_delay_alu instid0(SALU_CYCLE_1)
	s_or_b32 exec_lo, exec_lo, s17
.LBB200_409:                            ;   in Loop: Header=BB200_9 Depth=1
	s_delay_alu instid0(SALU_CYCLE_1) | instskip(SKIP_4) | instid1(VALU_DEP_1)
	s_or_b32 exec_lo, exec_lo, s11
	flat_load_u16 v0, v[36:37] offset:1540
	s_wait_loadcnt_dscnt 0x0
	v_and_b32_e32 v2, 0xffff, v0
	v_and_b32_e32 v0, 0xff, v0
	v_cmp_ne_u16_e64 s2, 0, v0
	v_mov_b64_e32 v[0:1], 0
	scratch_store_b64 off, v[0:1], s32 offset:596 ; 8-byte Folded Spill
	s_wait_xcnt 0x0
	v_mov_b64_e32 v[0:1], 0
	scratch_store_b64 off, v[0:1], s32 offset:604 ; 8-byte Folded Spill
	s_wait_xcnt 0x0
	s_and_saveexec_b32 s11, s2
	s_cbranch_execz .LBB200_417
; %bb.410:                              ;   in Loop: Header=BB200_9 Depth=1
	v_and_b32_e32 v0, 0xff, v2
	s_delay_alu instid0(VALU_DEP_1)
	v_cmp_ne_u16_e64 s2, 0x80, v0
	v_mov_b64_e32 v[0:1], 0x80000000
	scratch_store_b64 off, v[0:1], s32 offset:604 ; 8-byte Folded Spill
	s_wait_xcnt 0x0
	s_and_saveexec_b32 s17, s2
	s_cbranch_execz .LBB200_416
; %bb.411:                              ;   in Loop: Header=BB200_9 Depth=1
	v_mov_b64_e32 v[0:1], 0x7f800001
	v_and_b32_e32 v4, 0x7f, v2
	s_mov_b32 s18, exec_lo
	scratch_store_b64 off, v[0:1], s32 offset:604 ; 8-byte Folded Spill
	s_wait_xcnt 0x0
	v_cmpx_ne_u32_e32 0x7f, v4
	s_cbranch_execz .LBB200_415
; %bb.412:                              ;   in Loop: Header=BB200_9 Depth=1
	v_dual_lshrrev_b32 v3, 3, v4 :: v_dual_bitop2_b32 v26, 7, v2 bitop3:0x40
	s_mov_b32 s19, exec_lo
	v_cmpx_gt_u32_e32 8, v4
; %bb.413:                              ;   in Loop: Header=BB200_9 Depth=1
	s_delay_alu instid0(VALU_DEP_2) | instskip(NEXT) | instid1(VALU_DEP_1)
	v_clz_i32_u32_e32 v0, v26
	v_min_u32_e32 v0, 32, v0
	s_delay_alu instid0(VALU_DEP_1) | instskip(SKIP_1) | instid1(VALU_DEP_2)
	v_subrev_nc_u32_e32 v1, 28, v0
	v_sub_nc_u32_e32 v3, 29, v0
	v_lshlrev_b64_e32 v[4:5], v1, v[26:27]
	s_delay_alu instid0(VALU_DEP_1)
	v_and_b32_e32 v26, 7, v4
; %bb.414:                              ;   in Loop: Header=BB200_9 Depth=1
	s_or_b32 exec_lo, exec_lo, s19
	v_lshlrev_b32_e32 v0, 24, v2
	s_delay_alu instid0(VALU_DEP_2) | instskip(SKIP_1) | instid1(VALU_DEP_3)
	v_lshlrev_b32_e32 v1, 20, v26
	v_lshl_add_u32 v3, v3, 23, 0x3c000000
	v_and_b32_e32 v0, 0x80000000, v0
	s_delay_alu instid0(VALU_DEP_1)
	v_or3_b32 v26, v1, v0, v3
	scratch_store_b64 off, v[26:27], s32 offset:604 ; 8-byte Folded Spill
.LBB200_415:                            ;   in Loop: Header=BB200_9 Depth=1
	s_wait_xcnt 0x0
	s_or_b32 exec_lo, exec_lo, s18
.LBB200_416:                            ;   in Loop: Header=BB200_9 Depth=1
	s_delay_alu instid0(SALU_CYCLE_1)
	s_or_b32 exec_lo, exec_lo, s17
.LBB200_417:                            ;   in Loop: Header=BB200_9 Depth=1
	s_delay_alu instid0(SALU_CYCLE_1) | instskip(SKIP_2) | instid1(VALU_DEP_1)
	s_or_b32 exec_lo, exec_lo, s11
	v_lshrrev_b16 v3, 8, v2
	s_mov_b32 s11, exec_lo
	v_cmpx_ne_u16_e32 0, v3
	s_cbranch_execz .LBB200_425
; %bb.418:                              ;   in Loop: Header=BB200_9 Depth=1
	v_mov_b64_e32 v[0:1], 0x8000000000000000
	s_mov_b32 s17, exec_lo
	scratch_store_b64 off, v[0:1], s32 offset:596 ; 8-byte Folded Spill
	s_wait_xcnt 0x0
	v_cmpx_ne_u16_e32 0x80, v3
	s_cbranch_execz .LBB200_424
; %bb.419:                              ;   in Loop: Header=BB200_9 Depth=1
	v_and_b32_e32 v1, 0xffff, v3
	v_mov_b64_e32 v[6:7], 0x7f80000100000000
	s_mov_b32 s18, exec_lo
	s_delay_alu instid0(VALU_DEP_2)
	v_and_b32_e32 v4, 0x7f, v1
	scratch_store_b64 off, v[6:7], s32 offset:596 ; 8-byte Folded Spill
	s_wait_xcnt 0x0
	v_cmpx_ne_u32_e32 0x7f, v4
	s_cbranch_execz .LBB200_423
; %bb.420:                              ;   in Loop: Header=BB200_9 Depth=1
	v_dual_lshrrev_b32 v3, 3, v4 :: v_dual_bitop2_b32 v26, 7, v1 bitop3:0x40
	s_mov_b32 s19, exec_lo
	v_cmpx_gt_u32_e32 8, v4
; %bb.421:                              ;   in Loop: Header=BB200_9 Depth=1
	s_delay_alu instid0(VALU_DEP_2) | instskip(NEXT) | instid1(VALU_DEP_1)
	v_clz_i32_u32_e32 v0, v26
	v_min_u32_e32 v0, 32, v0
	s_delay_alu instid0(VALU_DEP_1) | instskip(SKIP_1) | instid1(VALU_DEP_2)
	v_subrev_nc_u32_e32 v1, 28, v0
	v_sub_nc_u32_e32 v3, 29, v0
	v_lshlrev_b64_e32 v[4:5], v1, v[26:27]
	s_delay_alu instid0(VALU_DEP_1)
	v_and_b32_e32 v26, 7, v4
; %bb.422:                              ;   in Loop: Header=BB200_9 Depth=1
	s_or_b32 exec_lo, exec_lo, s19
	v_lshlrev_b32_e32 v0, 16, v2
	s_delay_alu instid0(VALU_DEP_2) | instskip(SKIP_1) | instid1(VALU_DEP_3)
	v_lshlrev_b32_e32 v1, 20, v26
	v_lshl_add_u32 v2, v3, 23, 0x3c000000
	v_and_b32_e32 v0, 0x80000000, v0
	s_delay_alu instid0(VALU_DEP_1)
	v_or3_b32 v1, v1, v0, v2
	v_mov_b32_e32 v0, v27
	scratch_store_b64 off, v[0:1], s32 offset:596 ; 8-byte Folded Spill
.LBB200_423:                            ;   in Loop: Header=BB200_9 Depth=1
	s_wait_xcnt 0x0
	s_or_b32 exec_lo, exec_lo, s18
.LBB200_424:                            ;   in Loop: Header=BB200_9 Depth=1
	s_delay_alu instid0(SALU_CYCLE_1)
	s_or_b32 exec_lo, exec_lo, s17
.LBB200_425:                            ;   in Loop: Header=BB200_9 Depth=1
	s_delay_alu instid0(SALU_CYCLE_1) | instskip(SKIP_4) | instid1(VALU_DEP_1)
	s_or_b32 exec_lo, exec_lo, s11
	flat_load_u16 v0, v[36:37] offset:1544
	s_wait_loadcnt_dscnt 0x0
	v_and_b32_e32 v2, 0xffff, v0
	v_and_b32_e32 v0, 0xff, v0
	v_cmp_ne_u16_e64 s2, 0, v0
	v_mov_b64_e32 v[0:1], 0
	scratch_store_b64 off, v[0:1], s32 offset:612 ; 8-byte Folded Spill
	s_wait_xcnt 0x0
	v_mov_b64_e32 v[0:1], 0
	scratch_store_b64 off, v[0:1], s32 offset:620 ; 8-byte Folded Spill
	s_wait_xcnt 0x0
	s_and_saveexec_b32 s11, s2
	s_cbranch_execz .LBB200_433
; %bb.426:                              ;   in Loop: Header=BB200_9 Depth=1
	v_and_b32_e32 v0, 0xff, v2
	s_delay_alu instid0(VALU_DEP_1)
	v_cmp_ne_u16_e64 s2, 0x80, v0
	v_mov_b64_e32 v[0:1], 0x80000000
	scratch_store_b64 off, v[0:1], s32 offset:620 ; 8-byte Folded Spill
	s_wait_xcnt 0x0
	s_and_saveexec_b32 s17, s2
	s_cbranch_execz .LBB200_432
; %bb.427:                              ;   in Loop: Header=BB200_9 Depth=1
	v_mov_b64_e32 v[0:1], 0x7f800001
	v_and_b32_e32 v4, 0x7f, v2
	s_mov_b32 s18, exec_lo
	scratch_store_b64 off, v[0:1], s32 offset:620 ; 8-byte Folded Spill
	s_wait_xcnt 0x0
	v_cmpx_ne_u32_e32 0x7f, v4
	s_cbranch_execz .LBB200_431
; %bb.428:                              ;   in Loop: Header=BB200_9 Depth=1
	v_dual_lshrrev_b32 v3, 3, v4 :: v_dual_bitop2_b32 v26, 7, v2 bitop3:0x40
	s_mov_b32 s19, exec_lo
	v_cmpx_gt_u32_e32 8, v4
; %bb.429:                              ;   in Loop: Header=BB200_9 Depth=1
	s_delay_alu instid0(VALU_DEP_2) | instskip(NEXT) | instid1(VALU_DEP_1)
	v_clz_i32_u32_e32 v0, v26
	v_min_u32_e32 v0, 32, v0
	s_delay_alu instid0(VALU_DEP_1) | instskip(SKIP_1) | instid1(VALU_DEP_2)
	v_subrev_nc_u32_e32 v1, 28, v0
	v_sub_nc_u32_e32 v3, 29, v0
	v_lshlrev_b64_e32 v[4:5], v1, v[26:27]
	s_delay_alu instid0(VALU_DEP_1)
	v_and_b32_e32 v26, 7, v4
; %bb.430:                              ;   in Loop: Header=BB200_9 Depth=1
	s_or_b32 exec_lo, exec_lo, s19
	v_lshlrev_b32_e32 v0, 24, v2
	s_delay_alu instid0(VALU_DEP_2) | instskip(SKIP_1) | instid1(VALU_DEP_3)
	v_lshlrev_b32_e32 v1, 20, v26
	v_lshl_add_u32 v3, v3, 23, 0x3c000000
	v_and_b32_e32 v0, 0x80000000, v0
	s_delay_alu instid0(VALU_DEP_1)
	v_or3_b32 v26, v1, v0, v3
	scratch_store_b64 off, v[26:27], s32 offset:620 ; 8-byte Folded Spill
.LBB200_431:                            ;   in Loop: Header=BB200_9 Depth=1
	s_wait_xcnt 0x0
	s_or_b32 exec_lo, exec_lo, s18
.LBB200_432:                            ;   in Loop: Header=BB200_9 Depth=1
	s_delay_alu instid0(SALU_CYCLE_1)
	s_or_b32 exec_lo, exec_lo, s17
.LBB200_433:                            ;   in Loop: Header=BB200_9 Depth=1
	s_delay_alu instid0(SALU_CYCLE_1) | instskip(SKIP_2) | instid1(VALU_DEP_1)
	s_or_b32 exec_lo, exec_lo, s11
	v_lshrrev_b16 v3, 8, v2
	s_mov_b32 s11, exec_lo
	v_cmpx_ne_u16_e32 0, v3
	s_cbranch_execz .LBB200_441
; %bb.434:                              ;   in Loop: Header=BB200_9 Depth=1
	v_mov_b64_e32 v[0:1], 0x8000000000000000
	s_mov_b32 s17, exec_lo
	scratch_store_b64 off, v[0:1], s32 offset:612 ; 8-byte Folded Spill
	s_wait_xcnt 0x0
	v_cmpx_ne_u16_e32 0x80, v3
	s_cbranch_execz .LBB200_440
; %bb.435:                              ;   in Loop: Header=BB200_9 Depth=1
	v_and_b32_e32 v1, 0xffff, v3
	v_mov_b64_e32 v[6:7], 0x7f80000100000000
	s_mov_b32 s18, exec_lo
	s_delay_alu instid0(VALU_DEP_2)
	v_and_b32_e32 v4, 0x7f, v1
	scratch_store_b64 off, v[6:7], s32 offset:612 ; 8-byte Folded Spill
	s_wait_xcnt 0x0
	v_cmpx_ne_u32_e32 0x7f, v4
	s_cbranch_execz .LBB200_439
; %bb.436:                              ;   in Loop: Header=BB200_9 Depth=1
	v_dual_lshrrev_b32 v3, 3, v4 :: v_dual_bitop2_b32 v26, 7, v1 bitop3:0x40
	s_mov_b32 s19, exec_lo
	v_cmpx_gt_u32_e32 8, v4
; %bb.437:                              ;   in Loop: Header=BB200_9 Depth=1
	s_delay_alu instid0(VALU_DEP_2) | instskip(NEXT) | instid1(VALU_DEP_1)
	v_clz_i32_u32_e32 v0, v26
	v_min_u32_e32 v0, 32, v0
	s_delay_alu instid0(VALU_DEP_1) | instskip(SKIP_1) | instid1(VALU_DEP_2)
	v_subrev_nc_u32_e32 v1, 28, v0
	v_sub_nc_u32_e32 v3, 29, v0
	v_lshlrev_b64_e32 v[4:5], v1, v[26:27]
	s_delay_alu instid0(VALU_DEP_1)
	v_and_b32_e32 v26, 7, v4
; %bb.438:                              ;   in Loop: Header=BB200_9 Depth=1
	s_or_b32 exec_lo, exec_lo, s19
	v_lshlrev_b32_e32 v0, 16, v2
	s_delay_alu instid0(VALU_DEP_2) | instskip(SKIP_1) | instid1(VALU_DEP_3)
	v_lshlrev_b32_e32 v1, 20, v26
	v_lshl_add_u32 v2, v3, 23, 0x3c000000
	v_and_b32_e32 v0, 0x80000000, v0
	s_delay_alu instid0(VALU_DEP_1)
	v_or3_b32 v1, v1, v0, v2
	v_mov_b32_e32 v0, v27
	scratch_store_b64 off, v[0:1], s32 offset:612 ; 8-byte Folded Spill
.LBB200_439:                            ;   in Loop: Header=BB200_9 Depth=1
	s_wait_xcnt 0x0
	s_or_b32 exec_lo, exec_lo, s18
.LBB200_440:                            ;   in Loop: Header=BB200_9 Depth=1
	s_delay_alu instid0(SALU_CYCLE_1)
	s_or_b32 exec_lo, exec_lo, s17
.LBB200_441:                            ;   in Loop: Header=BB200_9 Depth=1
	s_delay_alu instid0(SALU_CYCLE_1) | instskip(SKIP_4) | instid1(VALU_DEP_1)
	s_or_b32 exec_lo, exec_lo, s11
	flat_load_u16 v0, v[36:37] offset:1548
	s_wait_loadcnt_dscnt 0x0
	v_and_b32_e32 v2, 0xffff, v0
	v_and_b32_e32 v0, 0xff, v0
	v_cmp_ne_u16_e64 s2, 0, v0
	v_mov_b64_e32 v[0:1], 0
	scratch_store_b64 off, v[0:1], s32 offset:628 ; 8-byte Folded Spill
	s_wait_xcnt 0x0
	v_mov_b64_e32 v[0:1], 0
	scratch_store_b64 off, v[0:1], s32 offset:636 ; 8-byte Folded Spill
	s_wait_xcnt 0x0
	s_and_saveexec_b32 s11, s2
	s_cbranch_execz .LBB200_449
; %bb.442:                              ;   in Loop: Header=BB200_9 Depth=1
	v_and_b32_e32 v0, 0xff, v2
	s_delay_alu instid0(VALU_DEP_1)
	v_cmp_ne_u16_e64 s2, 0x80, v0
	v_mov_b64_e32 v[0:1], 0x80000000
	scratch_store_b64 off, v[0:1], s32 offset:636 ; 8-byte Folded Spill
	s_wait_xcnt 0x0
	s_and_saveexec_b32 s17, s2
	s_cbranch_execz .LBB200_448
; %bb.443:                              ;   in Loop: Header=BB200_9 Depth=1
	v_mov_b64_e32 v[0:1], 0x7f800001
	v_and_b32_e32 v4, 0x7f, v2
	s_mov_b32 s18, exec_lo
	scratch_store_b64 off, v[0:1], s32 offset:636 ; 8-byte Folded Spill
	s_wait_xcnt 0x0
	v_cmpx_ne_u32_e32 0x7f, v4
	s_cbranch_execz .LBB200_447
; %bb.444:                              ;   in Loop: Header=BB200_9 Depth=1
	v_dual_lshrrev_b32 v3, 3, v4 :: v_dual_bitop2_b32 v26, 7, v2 bitop3:0x40
	s_mov_b32 s19, exec_lo
	v_cmpx_gt_u32_e32 8, v4
; %bb.445:                              ;   in Loop: Header=BB200_9 Depth=1
	s_delay_alu instid0(VALU_DEP_2) | instskip(NEXT) | instid1(VALU_DEP_1)
	v_clz_i32_u32_e32 v0, v26
	v_min_u32_e32 v0, 32, v0
	s_delay_alu instid0(VALU_DEP_1) | instskip(SKIP_1) | instid1(VALU_DEP_2)
	v_subrev_nc_u32_e32 v1, 28, v0
	v_sub_nc_u32_e32 v3, 29, v0
	v_lshlrev_b64_e32 v[4:5], v1, v[26:27]
	s_delay_alu instid0(VALU_DEP_1)
	v_and_b32_e32 v26, 7, v4
; %bb.446:                              ;   in Loop: Header=BB200_9 Depth=1
	s_or_b32 exec_lo, exec_lo, s19
	v_lshlrev_b32_e32 v0, 24, v2
	s_delay_alu instid0(VALU_DEP_2) | instskip(SKIP_1) | instid1(VALU_DEP_3)
	v_lshlrev_b32_e32 v1, 20, v26
	v_lshl_add_u32 v3, v3, 23, 0x3c000000
	v_and_b32_e32 v0, 0x80000000, v0
	s_delay_alu instid0(VALU_DEP_1)
	v_or3_b32 v26, v1, v0, v3
	scratch_store_b64 off, v[26:27], s32 offset:636 ; 8-byte Folded Spill
.LBB200_447:                            ;   in Loop: Header=BB200_9 Depth=1
	s_wait_xcnt 0x0
	s_or_b32 exec_lo, exec_lo, s18
.LBB200_448:                            ;   in Loop: Header=BB200_9 Depth=1
	s_delay_alu instid0(SALU_CYCLE_1)
	s_or_b32 exec_lo, exec_lo, s17
.LBB200_449:                            ;   in Loop: Header=BB200_9 Depth=1
	s_delay_alu instid0(SALU_CYCLE_1) | instskip(SKIP_2) | instid1(VALU_DEP_1)
	s_or_b32 exec_lo, exec_lo, s11
	v_lshrrev_b16 v3, 8, v2
	s_mov_b32 s11, exec_lo
	v_cmpx_ne_u16_e32 0, v3
	s_cbranch_execz .LBB200_457
; %bb.450:                              ;   in Loop: Header=BB200_9 Depth=1
	v_mov_b64_e32 v[0:1], 0x8000000000000000
	s_mov_b32 s17, exec_lo
	scratch_store_b64 off, v[0:1], s32 offset:628 ; 8-byte Folded Spill
	s_wait_xcnt 0x0
	v_cmpx_ne_u16_e32 0x80, v3
	s_cbranch_execz .LBB200_456
; %bb.451:                              ;   in Loop: Header=BB200_9 Depth=1
	v_and_b32_e32 v1, 0xffff, v3
	v_mov_b64_e32 v[6:7], 0x7f80000100000000
	s_mov_b32 s18, exec_lo
	s_delay_alu instid0(VALU_DEP_2)
	v_and_b32_e32 v4, 0x7f, v1
	scratch_store_b64 off, v[6:7], s32 offset:628 ; 8-byte Folded Spill
	s_wait_xcnt 0x0
	v_cmpx_ne_u32_e32 0x7f, v4
	s_cbranch_execz .LBB200_455
; %bb.452:                              ;   in Loop: Header=BB200_9 Depth=1
	v_dual_lshrrev_b32 v3, 3, v4 :: v_dual_bitop2_b32 v26, 7, v1 bitop3:0x40
	s_mov_b32 s19, exec_lo
	v_cmpx_gt_u32_e32 8, v4
; %bb.453:                              ;   in Loop: Header=BB200_9 Depth=1
	s_delay_alu instid0(VALU_DEP_2) | instskip(NEXT) | instid1(VALU_DEP_1)
	v_clz_i32_u32_e32 v0, v26
	v_min_u32_e32 v0, 32, v0
	s_delay_alu instid0(VALU_DEP_1) | instskip(SKIP_1) | instid1(VALU_DEP_2)
	v_subrev_nc_u32_e32 v1, 28, v0
	v_sub_nc_u32_e32 v3, 29, v0
	v_lshlrev_b64_e32 v[4:5], v1, v[26:27]
	s_delay_alu instid0(VALU_DEP_1)
	v_and_b32_e32 v26, 7, v4
; %bb.454:                              ;   in Loop: Header=BB200_9 Depth=1
	s_or_b32 exec_lo, exec_lo, s19
	v_lshlrev_b32_e32 v0, 16, v2
	s_delay_alu instid0(VALU_DEP_2) | instskip(SKIP_1) | instid1(VALU_DEP_3)
	v_lshlrev_b32_e32 v1, 20, v26
	v_lshl_add_u32 v2, v3, 23, 0x3c000000
	v_and_b32_e32 v0, 0x80000000, v0
	s_delay_alu instid0(VALU_DEP_1)
	v_or3_b32 v1, v1, v0, v2
	v_mov_b32_e32 v0, v27
	scratch_store_b64 off, v[0:1], s32 offset:628 ; 8-byte Folded Spill
.LBB200_455:                            ;   in Loop: Header=BB200_9 Depth=1
	s_wait_xcnt 0x0
	s_or_b32 exec_lo, exec_lo, s18
.LBB200_456:                            ;   in Loop: Header=BB200_9 Depth=1
	s_delay_alu instid0(SALU_CYCLE_1)
	s_or_b32 exec_lo, exec_lo, s17
.LBB200_457:                            ;   in Loop: Header=BB200_9 Depth=1
	s_delay_alu instid0(SALU_CYCLE_1) | instskip(SKIP_4) | instid1(VALU_DEP_1)
	s_or_b32 exec_lo, exec_lo, s11
	flat_load_u16 v0, v[36:37] offset:1792
	s_wait_loadcnt_dscnt 0x0
	v_and_b32_e32 v2, 0xffff, v0
	v_and_b32_e32 v0, 0xff, v0
	v_cmp_ne_u16_e64 s2, 0, v0
	v_mov_b64_e32 v[0:1], 0
	scratch_store_b64 off, v[0:1], s32 offset:644 ; 8-byte Folded Spill
	s_wait_xcnt 0x0
	v_mov_b64_e32 v[0:1], 0
	scratch_store_b64 off, v[0:1], s32 offset:652 ; 8-byte Folded Spill
	s_wait_xcnt 0x0
	s_and_saveexec_b32 s11, s2
	s_cbranch_execz .LBB200_465
; %bb.458:                              ;   in Loop: Header=BB200_9 Depth=1
	v_and_b32_e32 v0, 0xff, v2
	s_delay_alu instid0(VALU_DEP_1)
	v_cmp_ne_u16_e64 s2, 0x80, v0
	v_mov_b64_e32 v[0:1], 0x80000000
	scratch_store_b64 off, v[0:1], s32 offset:652 ; 8-byte Folded Spill
	s_wait_xcnt 0x0
	s_and_saveexec_b32 s17, s2
	s_cbranch_execz .LBB200_464
; %bb.459:                              ;   in Loop: Header=BB200_9 Depth=1
	v_mov_b64_e32 v[0:1], 0x7f800001
	v_and_b32_e32 v4, 0x7f, v2
	s_mov_b32 s18, exec_lo
	scratch_store_b64 off, v[0:1], s32 offset:652 ; 8-byte Folded Spill
	s_wait_xcnt 0x0
	v_cmpx_ne_u32_e32 0x7f, v4
	s_cbranch_execz .LBB200_463
; %bb.460:                              ;   in Loop: Header=BB200_9 Depth=1
	v_dual_lshrrev_b32 v3, 3, v4 :: v_dual_bitop2_b32 v26, 7, v2 bitop3:0x40
	s_mov_b32 s19, exec_lo
	v_cmpx_gt_u32_e32 8, v4
; %bb.461:                              ;   in Loop: Header=BB200_9 Depth=1
	s_delay_alu instid0(VALU_DEP_2) | instskip(NEXT) | instid1(VALU_DEP_1)
	v_clz_i32_u32_e32 v0, v26
	v_min_u32_e32 v0, 32, v0
	s_delay_alu instid0(VALU_DEP_1) | instskip(SKIP_1) | instid1(VALU_DEP_2)
	v_subrev_nc_u32_e32 v1, 28, v0
	v_sub_nc_u32_e32 v3, 29, v0
	v_lshlrev_b64_e32 v[4:5], v1, v[26:27]
	s_delay_alu instid0(VALU_DEP_1)
	v_and_b32_e32 v26, 7, v4
; %bb.462:                              ;   in Loop: Header=BB200_9 Depth=1
	s_or_b32 exec_lo, exec_lo, s19
	v_lshlrev_b32_e32 v0, 24, v2
	s_delay_alu instid0(VALU_DEP_2) | instskip(SKIP_1) | instid1(VALU_DEP_3)
	v_lshlrev_b32_e32 v1, 20, v26
	v_lshl_add_u32 v3, v3, 23, 0x3c000000
	v_and_b32_e32 v0, 0x80000000, v0
	s_delay_alu instid0(VALU_DEP_1)
	v_or3_b32 v26, v1, v0, v3
	scratch_store_b64 off, v[26:27], s32 offset:652 ; 8-byte Folded Spill
.LBB200_463:                            ;   in Loop: Header=BB200_9 Depth=1
	s_wait_xcnt 0x0
	s_or_b32 exec_lo, exec_lo, s18
.LBB200_464:                            ;   in Loop: Header=BB200_9 Depth=1
	s_delay_alu instid0(SALU_CYCLE_1)
	s_or_b32 exec_lo, exec_lo, s17
.LBB200_465:                            ;   in Loop: Header=BB200_9 Depth=1
	s_delay_alu instid0(SALU_CYCLE_1) | instskip(SKIP_2) | instid1(VALU_DEP_1)
	s_or_b32 exec_lo, exec_lo, s11
	v_lshrrev_b16 v3, 8, v2
	s_mov_b32 s11, exec_lo
	v_cmpx_ne_u16_e32 0, v3
	s_cbranch_execz .LBB200_473
; %bb.466:                              ;   in Loop: Header=BB200_9 Depth=1
	v_mov_b64_e32 v[0:1], 0x8000000000000000
	s_mov_b32 s17, exec_lo
	scratch_store_b64 off, v[0:1], s32 offset:644 ; 8-byte Folded Spill
	s_wait_xcnt 0x0
	v_cmpx_ne_u16_e32 0x80, v3
	s_cbranch_execz .LBB200_472
; %bb.467:                              ;   in Loop: Header=BB200_9 Depth=1
	v_and_b32_e32 v1, 0xffff, v3
	v_mov_b64_e32 v[6:7], 0x7f80000100000000
	s_mov_b32 s18, exec_lo
	s_delay_alu instid0(VALU_DEP_2)
	v_and_b32_e32 v4, 0x7f, v1
	scratch_store_b64 off, v[6:7], s32 offset:644 ; 8-byte Folded Spill
	s_wait_xcnt 0x0
	v_cmpx_ne_u32_e32 0x7f, v4
	s_cbranch_execz .LBB200_471
; %bb.468:                              ;   in Loop: Header=BB200_9 Depth=1
	v_dual_lshrrev_b32 v3, 3, v4 :: v_dual_bitop2_b32 v26, 7, v1 bitop3:0x40
	s_mov_b32 s19, exec_lo
	v_cmpx_gt_u32_e32 8, v4
; %bb.469:                              ;   in Loop: Header=BB200_9 Depth=1
	s_delay_alu instid0(VALU_DEP_2) | instskip(NEXT) | instid1(VALU_DEP_1)
	v_clz_i32_u32_e32 v0, v26
	v_min_u32_e32 v0, 32, v0
	s_delay_alu instid0(VALU_DEP_1) | instskip(SKIP_1) | instid1(VALU_DEP_2)
	v_subrev_nc_u32_e32 v1, 28, v0
	v_sub_nc_u32_e32 v3, 29, v0
	v_lshlrev_b64_e32 v[4:5], v1, v[26:27]
	s_delay_alu instid0(VALU_DEP_1)
	v_and_b32_e32 v26, 7, v4
; %bb.470:                              ;   in Loop: Header=BB200_9 Depth=1
	s_or_b32 exec_lo, exec_lo, s19
	v_lshlrev_b32_e32 v0, 16, v2
	s_delay_alu instid0(VALU_DEP_2) | instskip(SKIP_1) | instid1(VALU_DEP_3)
	v_lshlrev_b32_e32 v1, 20, v26
	v_lshl_add_u32 v2, v3, 23, 0x3c000000
	v_and_b32_e32 v0, 0x80000000, v0
	s_delay_alu instid0(VALU_DEP_1)
	v_or3_b32 v1, v1, v0, v2
	v_mov_b32_e32 v0, v27
	scratch_store_b64 off, v[0:1], s32 offset:644 ; 8-byte Folded Spill
.LBB200_471:                            ;   in Loop: Header=BB200_9 Depth=1
	s_wait_xcnt 0x0
	s_or_b32 exec_lo, exec_lo, s18
.LBB200_472:                            ;   in Loop: Header=BB200_9 Depth=1
	s_delay_alu instid0(SALU_CYCLE_1)
	s_or_b32 exec_lo, exec_lo, s17
.LBB200_473:                            ;   in Loop: Header=BB200_9 Depth=1
	s_delay_alu instid0(SALU_CYCLE_1) | instskip(SKIP_4) | instid1(VALU_DEP_1)
	s_or_b32 exec_lo, exec_lo, s11
	flat_load_u16 v0, v[36:37] offset:1796
	s_wait_loadcnt_dscnt 0x0
	v_and_b32_e32 v2, 0xffff, v0
	v_and_b32_e32 v0, 0xff, v0
	v_cmp_ne_u16_e64 s2, 0, v0
	v_mov_b64_e32 v[0:1], 0
	scratch_store_b64 off, v[0:1], s32 offset:660 ; 8-byte Folded Spill
	s_wait_xcnt 0x0
	v_mov_b64_e32 v[0:1], 0
	scratch_store_b64 off, v[0:1], s32 offset:668 ; 8-byte Folded Spill
	s_wait_xcnt 0x0
	s_and_saveexec_b32 s11, s2
	s_cbranch_execz .LBB200_481
; %bb.474:                              ;   in Loop: Header=BB200_9 Depth=1
	v_and_b32_e32 v0, 0xff, v2
	s_delay_alu instid0(VALU_DEP_1)
	v_cmp_ne_u16_e64 s2, 0x80, v0
	v_mov_b64_e32 v[0:1], 0x80000000
	scratch_store_b64 off, v[0:1], s32 offset:668 ; 8-byte Folded Spill
	s_wait_xcnt 0x0
	s_and_saveexec_b32 s17, s2
	s_cbranch_execz .LBB200_480
; %bb.475:                              ;   in Loop: Header=BB200_9 Depth=1
	v_mov_b64_e32 v[0:1], 0x7f800001
	v_and_b32_e32 v4, 0x7f, v2
	s_mov_b32 s18, exec_lo
	scratch_store_b64 off, v[0:1], s32 offset:668 ; 8-byte Folded Spill
	s_wait_xcnt 0x0
	v_cmpx_ne_u32_e32 0x7f, v4
	s_cbranch_execz .LBB200_479
; %bb.476:                              ;   in Loop: Header=BB200_9 Depth=1
	v_dual_lshrrev_b32 v3, 3, v4 :: v_dual_bitop2_b32 v26, 7, v2 bitop3:0x40
	s_mov_b32 s19, exec_lo
	v_cmpx_gt_u32_e32 8, v4
; %bb.477:                              ;   in Loop: Header=BB200_9 Depth=1
	s_delay_alu instid0(VALU_DEP_2) | instskip(NEXT) | instid1(VALU_DEP_1)
	v_clz_i32_u32_e32 v0, v26
	v_min_u32_e32 v0, 32, v0
	s_delay_alu instid0(VALU_DEP_1) | instskip(SKIP_1) | instid1(VALU_DEP_2)
	v_subrev_nc_u32_e32 v1, 28, v0
	v_sub_nc_u32_e32 v3, 29, v0
	v_lshlrev_b64_e32 v[4:5], v1, v[26:27]
	s_delay_alu instid0(VALU_DEP_1)
	v_and_b32_e32 v26, 7, v4
; %bb.478:                              ;   in Loop: Header=BB200_9 Depth=1
	s_or_b32 exec_lo, exec_lo, s19
	v_lshlrev_b32_e32 v0, 24, v2
	s_delay_alu instid0(VALU_DEP_2) | instskip(SKIP_1) | instid1(VALU_DEP_3)
	v_lshlrev_b32_e32 v1, 20, v26
	v_lshl_add_u32 v3, v3, 23, 0x3c000000
	v_and_b32_e32 v0, 0x80000000, v0
	s_delay_alu instid0(VALU_DEP_1)
	v_or3_b32 v26, v1, v0, v3
	scratch_store_b64 off, v[26:27], s32 offset:668 ; 8-byte Folded Spill
.LBB200_479:                            ;   in Loop: Header=BB200_9 Depth=1
	s_wait_xcnt 0x0
	s_or_b32 exec_lo, exec_lo, s18
.LBB200_480:                            ;   in Loop: Header=BB200_9 Depth=1
	s_delay_alu instid0(SALU_CYCLE_1)
	s_or_b32 exec_lo, exec_lo, s17
.LBB200_481:                            ;   in Loop: Header=BB200_9 Depth=1
	s_delay_alu instid0(SALU_CYCLE_1) | instskip(SKIP_2) | instid1(VALU_DEP_1)
	s_or_b32 exec_lo, exec_lo, s11
	v_lshrrev_b16 v3, 8, v2
	s_mov_b32 s11, exec_lo
	v_cmpx_ne_u16_e32 0, v3
	s_cbranch_execz .LBB200_489
; %bb.482:                              ;   in Loop: Header=BB200_9 Depth=1
	v_mov_b64_e32 v[0:1], 0x8000000000000000
	s_mov_b32 s17, exec_lo
	scratch_store_b64 off, v[0:1], s32 offset:660 ; 8-byte Folded Spill
	s_wait_xcnt 0x0
	v_cmpx_ne_u16_e32 0x80, v3
	s_cbranch_execz .LBB200_488
; %bb.483:                              ;   in Loop: Header=BB200_9 Depth=1
	v_and_b32_e32 v1, 0xffff, v3
	v_mov_b64_e32 v[6:7], 0x7f80000100000000
	s_mov_b32 s18, exec_lo
	s_delay_alu instid0(VALU_DEP_2)
	v_and_b32_e32 v4, 0x7f, v1
	scratch_store_b64 off, v[6:7], s32 offset:660 ; 8-byte Folded Spill
	s_wait_xcnt 0x0
	v_cmpx_ne_u32_e32 0x7f, v4
	s_cbranch_execz .LBB200_487
; %bb.484:                              ;   in Loop: Header=BB200_9 Depth=1
	v_dual_lshrrev_b32 v3, 3, v4 :: v_dual_bitop2_b32 v26, 7, v1 bitop3:0x40
	s_mov_b32 s19, exec_lo
	v_cmpx_gt_u32_e32 8, v4
; %bb.485:                              ;   in Loop: Header=BB200_9 Depth=1
	s_delay_alu instid0(VALU_DEP_2) | instskip(NEXT) | instid1(VALU_DEP_1)
	v_clz_i32_u32_e32 v0, v26
	v_min_u32_e32 v0, 32, v0
	s_delay_alu instid0(VALU_DEP_1) | instskip(SKIP_1) | instid1(VALU_DEP_2)
	v_subrev_nc_u32_e32 v1, 28, v0
	v_sub_nc_u32_e32 v3, 29, v0
	v_lshlrev_b64_e32 v[4:5], v1, v[26:27]
	s_delay_alu instid0(VALU_DEP_1)
	v_and_b32_e32 v26, 7, v4
; %bb.486:                              ;   in Loop: Header=BB200_9 Depth=1
	s_or_b32 exec_lo, exec_lo, s19
	v_lshlrev_b32_e32 v0, 16, v2
	s_delay_alu instid0(VALU_DEP_2) | instskip(SKIP_1) | instid1(VALU_DEP_3)
	v_lshlrev_b32_e32 v1, 20, v26
	v_lshl_add_u32 v2, v3, 23, 0x3c000000
	v_and_b32_e32 v0, 0x80000000, v0
	s_delay_alu instid0(VALU_DEP_1)
	v_or3_b32 v1, v1, v0, v2
	v_mov_b32_e32 v0, v27
	scratch_store_b64 off, v[0:1], s32 offset:660 ; 8-byte Folded Spill
.LBB200_487:                            ;   in Loop: Header=BB200_9 Depth=1
	s_wait_xcnt 0x0
	s_or_b32 exec_lo, exec_lo, s18
.LBB200_488:                            ;   in Loop: Header=BB200_9 Depth=1
	s_delay_alu instid0(SALU_CYCLE_1)
	s_or_b32 exec_lo, exec_lo, s17
.LBB200_489:                            ;   in Loop: Header=BB200_9 Depth=1
	s_delay_alu instid0(SALU_CYCLE_1) | instskip(SKIP_4) | instid1(VALU_DEP_1)
	s_or_b32 exec_lo, exec_lo, s11
	flat_load_u16 v0, v[36:37] offset:1800
	s_wait_loadcnt_dscnt 0x0
	v_and_b32_e32 v2, 0xffff, v0
	v_and_b32_e32 v0, 0xff, v0
	v_cmp_ne_u16_e64 s2, 0, v0
	v_mov_b64_e32 v[0:1], 0
	scratch_store_b64 off, v[0:1], s32 offset:676 ; 8-byte Folded Spill
	s_wait_xcnt 0x0
	v_mov_b64_e32 v[0:1], 0
	scratch_store_b64 off, v[0:1], s32 offset:684 ; 8-byte Folded Spill
	s_wait_xcnt 0x0
	s_and_saveexec_b32 s11, s2
	s_cbranch_execz .LBB200_497
; %bb.490:                              ;   in Loop: Header=BB200_9 Depth=1
	v_and_b32_e32 v0, 0xff, v2
	s_delay_alu instid0(VALU_DEP_1)
	v_cmp_ne_u16_e64 s2, 0x80, v0
	v_mov_b64_e32 v[0:1], 0x80000000
	scratch_store_b64 off, v[0:1], s32 offset:684 ; 8-byte Folded Spill
	s_wait_xcnt 0x0
	s_and_saveexec_b32 s17, s2
	s_cbranch_execz .LBB200_496
; %bb.491:                              ;   in Loop: Header=BB200_9 Depth=1
	v_mov_b64_e32 v[0:1], 0x7f800001
	v_and_b32_e32 v4, 0x7f, v2
	s_mov_b32 s18, exec_lo
	scratch_store_b64 off, v[0:1], s32 offset:684 ; 8-byte Folded Spill
	s_wait_xcnt 0x0
	v_cmpx_ne_u32_e32 0x7f, v4
	s_cbranch_execz .LBB200_495
; %bb.492:                              ;   in Loop: Header=BB200_9 Depth=1
	v_dual_lshrrev_b32 v3, 3, v4 :: v_dual_bitop2_b32 v26, 7, v2 bitop3:0x40
	s_mov_b32 s19, exec_lo
	v_cmpx_gt_u32_e32 8, v4
; %bb.493:                              ;   in Loop: Header=BB200_9 Depth=1
	s_delay_alu instid0(VALU_DEP_2) | instskip(NEXT) | instid1(VALU_DEP_1)
	v_clz_i32_u32_e32 v0, v26
	v_min_u32_e32 v0, 32, v0
	s_delay_alu instid0(VALU_DEP_1) | instskip(SKIP_1) | instid1(VALU_DEP_2)
	v_subrev_nc_u32_e32 v1, 28, v0
	v_sub_nc_u32_e32 v3, 29, v0
	v_lshlrev_b64_e32 v[4:5], v1, v[26:27]
	s_delay_alu instid0(VALU_DEP_1)
	v_and_b32_e32 v26, 7, v4
; %bb.494:                              ;   in Loop: Header=BB200_9 Depth=1
	s_or_b32 exec_lo, exec_lo, s19
	v_lshlrev_b32_e32 v0, 24, v2
	s_delay_alu instid0(VALU_DEP_2) | instskip(SKIP_1) | instid1(VALU_DEP_3)
	v_lshlrev_b32_e32 v1, 20, v26
	v_lshl_add_u32 v3, v3, 23, 0x3c000000
	v_and_b32_e32 v0, 0x80000000, v0
	s_delay_alu instid0(VALU_DEP_1)
	v_or3_b32 v26, v1, v0, v3
	scratch_store_b64 off, v[26:27], s32 offset:684 ; 8-byte Folded Spill
.LBB200_495:                            ;   in Loop: Header=BB200_9 Depth=1
	s_wait_xcnt 0x0
	s_or_b32 exec_lo, exec_lo, s18
.LBB200_496:                            ;   in Loop: Header=BB200_9 Depth=1
	s_delay_alu instid0(SALU_CYCLE_1)
	s_or_b32 exec_lo, exec_lo, s17
.LBB200_497:                            ;   in Loop: Header=BB200_9 Depth=1
	s_delay_alu instid0(SALU_CYCLE_1) | instskip(SKIP_2) | instid1(VALU_DEP_1)
	s_or_b32 exec_lo, exec_lo, s11
	v_lshrrev_b16 v3, 8, v2
	s_mov_b32 s11, exec_lo
	v_cmpx_ne_u16_e32 0, v3
	s_cbranch_execz .LBB200_505
; %bb.498:                              ;   in Loop: Header=BB200_9 Depth=1
	v_mov_b64_e32 v[0:1], 0x8000000000000000
	s_mov_b32 s17, exec_lo
	scratch_store_b64 off, v[0:1], s32 offset:676 ; 8-byte Folded Spill
	s_wait_xcnt 0x0
	v_cmpx_ne_u16_e32 0x80, v3
	s_cbranch_execz .LBB200_504
; %bb.499:                              ;   in Loop: Header=BB200_9 Depth=1
	v_and_b32_e32 v1, 0xffff, v3
	v_mov_b64_e32 v[6:7], 0x7f80000100000000
	s_mov_b32 s18, exec_lo
	s_delay_alu instid0(VALU_DEP_2)
	v_and_b32_e32 v4, 0x7f, v1
	scratch_store_b64 off, v[6:7], s32 offset:676 ; 8-byte Folded Spill
	s_wait_xcnt 0x0
	v_cmpx_ne_u32_e32 0x7f, v4
	s_cbranch_execz .LBB200_503
; %bb.500:                              ;   in Loop: Header=BB200_9 Depth=1
	v_dual_lshrrev_b32 v3, 3, v4 :: v_dual_bitop2_b32 v26, 7, v1 bitop3:0x40
	s_mov_b32 s19, exec_lo
	v_cmpx_gt_u32_e32 8, v4
; %bb.501:                              ;   in Loop: Header=BB200_9 Depth=1
	s_delay_alu instid0(VALU_DEP_2) | instskip(NEXT) | instid1(VALU_DEP_1)
	v_clz_i32_u32_e32 v0, v26
	v_min_u32_e32 v0, 32, v0
	s_delay_alu instid0(VALU_DEP_1) | instskip(SKIP_1) | instid1(VALU_DEP_2)
	v_subrev_nc_u32_e32 v1, 28, v0
	v_sub_nc_u32_e32 v3, 29, v0
	v_lshlrev_b64_e32 v[4:5], v1, v[26:27]
	s_delay_alu instid0(VALU_DEP_1)
	v_and_b32_e32 v26, 7, v4
; %bb.502:                              ;   in Loop: Header=BB200_9 Depth=1
	s_or_b32 exec_lo, exec_lo, s19
	v_lshlrev_b32_e32 v0, 16, v2
	s_delay_alu instid0(VALU_DEP_2) | instskip(SKIP_1) | instid1(VALU_DEP_3)
	v_lshlrev_b32_e32 v1, 20, v26
	v_lshl_add_u32 v2, v3, 23, 0x3c000000
	v_and_b32_e32 v0, 0x80000000, v0
	s_delay_alu instid0(VALU_DEP_1)
	v_or3_b32 v1, v1, v0, v2
	v_mov_b32_e32 v0, v27
	scratch_store_b64 off, v[0:1], s32 offset:676 ; 8-byte Folded Spill
.LBB200_503:                            ;   in Loop: Header=BB200_9 Depth=1
	s_wait_xcnt 0x0
	s_or_b32 exec_lo, exec_lo, s18
.LBB200_504:                            ;   in Loop: Header=BB200_9 Depth=1
	s_delay_alu instid0(SALU_CYCLE_1)
	s_or_b32 exec_lo, exec_lo, s17
.LBB200_505:                            ;   in Loop: Header=BB200_9 Depth=1
	s_delay_alu instid0(SALU_CYCLE_1) | instskip(SKIP_4) | instid1(VALU_DEP_1)
	s_or_b32 exec_lo, exec_lo, s11
	flat_load_u16 v0, v[36:37] offset:1804
	s_wait_loadcnt_dscnt 0x0
	v_and_b32_e32 v2, 0xffff, v0
	v_and_b32_e32 v0, 0xff, v0
	v_cmp_ne_u16_e64 s2, 0, v0
	v_mov_b64_e32 v[0:1], 0
	scratch_store_b64 off, v[0:1], s32 offset:692 ; 8-byte Folded Spill
	s_wait_xcnt 0x0
	v_mov_b64_e32 v[0:1], 0
	scratch_store_b64 off, v[0:1], s32 offset:700 ; 8-byte Folded Spill
	s_wait_xcnt 0x0
	s_and_saveexec_b32 s11, s2
	s_cbranch_execz .LBB200_513
; %bb.506:                              ;   in Loop: Header=BB200_9 Depth=1
	v_and_b32_e32 v0, 0xff, v2
	s_delay_alu instid0(VALU_DEP_1)
	v_cmp_ne_u16_e64 s2, 0x80, v0
	v_mov_b64_e32 v[0:1], 0x80000000
	scratch_store_b64 off, v[0:1], s32 offset:700 ; 8-byte Folded Spill
	s_wait_xcnt 0x0
	s_and_saveexec_b32 s17, s2
	s_cbranch_execz .LBB200_512
; %bb.507:                              ;   in Loop: Header=BB200_9 Depth=1
	v_mov_b64_e32 v[0:1], 0x7f800001
	v_and_b32_e32 v4, 0x7f, v2
	s_mov_b32 s18, exec_lo
	scratch_store_b64 off, v[0:1], s32 offset:700 ; 8-byte Folded Spill
	s_wait_xcnt 0x0
	v_cmpx_ne_u32_e32 0x7f, v4
	s_cbranch_execz .LBB200_511
; %bb.508:                              ;   in Loop: Header=BB200_9 Depth=1
	v_dual_lshrrev_b32 v3, 3, v4 :: v_dual_bitop2_b32 v26, 7, v2 bitop3:0x40
	s_mov_b32 s19, exec_lo
	v_cmpx_gt_u32_e32 8, v4
; %bb.509:                              ;   in Loop: Header=BB200_9 Depth=1
	s_delay_alu instid0(VALU_DEP_2) | instskip(NEXT) | instid1(VALU_DEP_1)
	v_clz_i32_u32_e32 v0, v26
	v_min_u32_e32 v0, 32, v0
	s_delay_alu instid0(VALU_DEP_1) | instskip(SKIP_1) | instid1(VALU_DEP_2)
	v_subrev_nc_u32_e32 v1, 28, v0
	v_sub_nc_u32_e32 v3, 29, v0
	v_lshlrev_b64_e32 v[4:5], v1, v[26:27]
	s_delay_alu instid0(VALU_DEP_1)
	v_and_b32_e32 v26, 7, v4
; %bb.510:                              ;   in Loop: Header=BB200_9 Depth=1
	s_or_b32 exec_lo, exec_lo, s19
	v_lshlrev_b32_e32 v0, 24, v2
	s_delay_alu instid0(VALU_DEP_2) | instskip(SKIP_1) | instid1(VALU_DEP_3)
	v_lshlrev_b32_e32 v1, 20, v26
	v_lshl_add_u32 v3, v3, 23, 0x3c000000
	v_and_b32_e32 v0, 0x80000000, v0
	s_delay_alu instid0(VALU_DEP_1)
	v_or3_b32 v26, v1, v0, v3
	scratch_store_b64 off, v[26:27], s32 offset:700 ; 8-byte Folded Spill
.LBB200_511:                            ;   in Loop: Header=BB200_9 Depth=1
	s_wait_xcnt 0x0
	s_or_b32 exec_lo, exec_lo, s18
.LBB200_512:                            ;   in Loop: Header=BB200_9 Depth=1
	s_delay_alu instid0(SALU_CYCLE_1)
	s_or_b32 exec_lo, exec_lo, s17
.LBB200_513:                            ;   in Loop: Header=BB200_9 Depth=1
	s_delay_alu instid0(SALU_CYCLE_1) | instskip(SKIP_2) | instid1(VALU_DEP_1)
	s_or_b32 exec_lo, exec_lo, s11
	v_lshrrev_b16 v3, 8, v2
	s_mov_b32 s11, exec_lo
	v_cmpx_ne_u16_e32 0, v3
	s_cbranch_execz .LBB200_521
; %bb.514:                              ;   in Loop: Header=BB200_9 Depth=1
	v_mov_b64_e32 v[0:1], 0x8000000000000000
	s_mov_b32 s17, exec_lo
	scratch_store_b64 off, v[0:1], s32 offset:692 ; 8-byte Folded Spill
	s_wait_xcnt 0x0
	v_cmpx_ne_u16_e32 0x80, v3
	s_cbranch_execz .LBB200_520
; %bb.515:                              ;   in Loop: Header=BB200_9 Depth=1
	v_and_b32_e32 v1, 0xffff, v3
	v_mov_b64_e32 v[6:7], 0x7f80000100000000
	s_mov_b32 s18, exec_lo
	s_delay_alu instid0(VALU_DEP_2)
	v_and_b32_e32 v4, 0x7f, v1
	scratch_store_b64 off, v[6:7], s32 offset:692 ; 8-byte Folded Spill
	s_wait_xcnt 0x0
	v_cmpx_ne_u32_e32 0x7f, v4
	s_cbranch_execz .LBB200_519
; %bb.516:                              ;   in Loop: Header=BB200_9 Depth=1
	v_dual_lshrrev_b32 v3, 3, v4 :: v_dual_bitop2_b32 v26, 7, v1 bitop3:0x40
	s_mov_b32 s19, exec_lo
	v_cmpx_gt_u32_e32 8, v4
; %bb.517:                              ;   in Loop: Header=BB200_9 Depth=1
	s_delay_alu instid0(VALU_DEP_2) | instskip(NEXT) | instid1(VALU_DEP_1)
	v_clz_i32_u32_e32 v0, v26
	v_min_u32_e32 v0, 32, v0
	s_delay_alu instid0(VALU_DEP_1) | instskip(SKIP_1) | instid1(VALU_DEP_2)
	v_subrev_nc_u32_e32 v1, 28, v0
	v_sub_nc_u32_e32 v3, 29, v0
	v_lshlrev_b64_e32 v[4:5], v1, v[26:27]
	s_delay_alu instid0(VALU_DEP_1)
	v_and_b32_e32 v26, 7, v4
; %bb.518:                              ;   in Loop: Header=BB200_9 Depth=1
	s_or_b32 exec_lo, exec_lo, s19
	v_lshlrev_b32_e32 v0, 16, v2
	s_delay_alu instid0(VALU_DEP_2) | instskip(SKIP_1) | instid1(VALU_DEP_3)
	v_lshlrev_b32_e32 v1, 20, v26
	v_lshl_add_u32 v2, v3, 23, 0x3c000000
	v_and_b32_e32 v0, 0x80000000, v0
	s_delay_alu instid0(VALU_DEP_1)
	v_or3_b32 v1, v1, v0, v2
	v_mov_b32_e32 v0, v27
	scratch_store_b64 off, v[0:1], s32 offset:692 ; 8-byte Folded Spill
.LBB200_519:                            ;   in Loop: Header=BB200_9 Depth=1
	s_wait_xcnt 0x0
	s_or_b32 exec_lo, exec_lo, s18
.LBB200_520:                            ;   in Loop: Header=BB200_9 Depth=1
	s_delay_alu instid0(SALU_CYCLE_1)
	s_or_b32 exec_lo, exec_lo, s17
.LBB200_521:                            ;   in Loop: Header=BB200_9 Depth=1
	s_delay_alu instid0(SALU_CYCLE_1) | instskip(SKIP_4) | instid1(VALU_DEP_1)
	s_or_b32 exec_lo, exec_lo, s11
	flat_load_u16 v0, v[36:37] offset:2048
	s_wait_loadcnt_dscnt 0x0
	v_and_b32_e32 v2, 0xffff, v0
	v_and_b32_e32 v0, 0xff, v0
	v_cmp_ne_u16_e64 s2, 0, v0
	v_mov_b64_e32 v[0:1], 0
	scratch_store_b64 off, v[0:1], s32 offset:708 ; 8-byte Folded Spill
	s_wait_xcnt 0x0
	v_mov_b64_e32 v[0:1], 0
	scratch_store_b64 off, v[0:1], s32 offset:716 ; 8-byte Folded Spill
	s_wait_xcnt 0x0
	s_and_saveexec_b32 s11, s2
	s_cbranch_execz .LBB200_529
; %bb.522:                              ;   in Loop: Header=BB200_9 Depth=1
	v_and_b32_e32 v0, 0xff, v2
	s_delay_alu instid0(VALU_DEP_1)
	v_cmp_ne_u16_e64 s2, 0x80, v0
	v_mov_b64_e32 v[0:1], 0x80000000
	scratch_store_b64 off, v[0:1], s32 offset:716 ; 8-byte Folded Spill
	s_wait_xcnt 0x0
	s_and_saveexec_b32 s17, s2
	s_cbranch_execz .LBB200_528
; %bb.523:                              ;   in Loop: Header=BB200_9 Depth=1
	v_mov_b64_e32 v[0:1], 0x7f800001
	v_and_b32_e32 v4, 0x7f, v2
	s_mov_b32 s18, exec_lo
	scratch_store_b64 off, v[0:1], s32 offset:716 ; 8-byte Folded Spill
	s_wait_xcnt 0x0
	v_cmpx_ne_u32_e32 0x7f, v4
	s_cbranch_execz .LBB200_527
; %bb.524:                              ;   in Loop: Header=BB200_9 Depth=1
	v_dual_lshrrev_b32 v3, 3, v4 :: v_dual_bitop2_b32 v26, 7, v2 bitop3:0x40
	s_mov_b32 s19, exec_lo
	v_cmpx_gt_u32_e32 8, v4
; %bb.525:                              ;   in Loop: Header=BB200_9 Depth=1
	s_delay_alu instid0(VALU_DEP_2) | instskip(NEXT) | instid1(VALU_DEP_1)
	v_clz_i32_u32_e32 v0, v26
	v_min_u32_e32 v0, 32, v0
	s_delay_alu instid0(VALU_DEP_1) | instskip(SKIP_1) | instid1(VALU_DEP_2)
	v_subrev_nc_u32_e32 v1, 28, v0
	v_sub_nc_u32_e32 v3, 29, v0
	v_lshlrev_b64_e32 v[4:5], v1, v[26:27]
	s_delay_alu instid0(VALU_DEP_1)
	v_and_b32_e32 v26, 7, v4
; %bb.526:                              ;   in Loop: Header=BB200_9 Depth=1
	s_or_b32 exec_lo, exec_lo, s19
	v_lshlrev_b32_e32 v0, 24, v2
	s_delay_alu instid0(VALU_DEP_2) | instskip(SKIP_1) | instid1(VALU_DEP_3)
	v_lshlrev_b32_e32 v1, 20, v26
	v_lshl_add_u32 v3, v3, 23, 0x3c000000
	v_and_b32_e32 v0, 0x80000000, v0
	s_delay_alu instid0(VALU_DEP_1)
	v_or3_b32 v26, v1, v0, v3
	scratch_store_b64 off, v[26:27], s32 offset:716 ; 8-byte Folded Spill
.LBB200_527:                            ;   in Loop: Header=BB200_9 Depth=1
	s_wait_xcnt 0x0
	s_or_b32 exec_lo, exec_lo, s18
.LBB200_528:                            ;   in Loop: Header=BB200_9 Depth=1
	s_delay_alu instid0(SALU_CYCLE_1)
	s_or_b32 exec_lo, exec_lo, s17
.LBB200_529:                            ;   in Loop: Header=BB200_9 Depth=1
	s_delay_alu instid0(SALU_CYCLE_1) | instskip(SKIP_2) | instid1(VALU_DEP_1)
	s_or_b32 exec_lo, exec_lo, s11
	v_lshrrev_b16 v3, 8, v2
	s_mov_b32 s11, exec_lo
	v_cmpx_ne_u16_e32 0, v3
	s_cbranch_execz .LBB200_537
; %bb.530:                              ;   in Loop: Header=BB200_9 Depth=1
	v_mov_b64_e32 v[0:1], 0x8000000000000000
	s_mov_b32 s17, exec_lo
	scratch_store_b64 off, v[0:1], s32 offset:708 ; 8-byte Folded Spill
	s_wait_xcnt 0x0
	v_cmpx_ne_u16_e32 0x80, v3
	s_cbranch_execz .LBB200_536
; %bb.531:                              ;   in Loop: Header=BB200_9 Depth=1
	v_and_b32_e32 v1, 0xffff, v3
	v_mov_b64_e32 v[6:7], 0x7f80000100000000
	s_mov_b32 s18, exec_lo
	s_delay_alu instid0(VALU_DEP_2)
	v_and_b32_e32 v4, 0x7f, v1
	scratch_store_b64 off, v[6:7], s32 offset:708 ; 8-byte Folded Spill
	s_wait_xcnt 0x0
	v_cmpx_ne_u32_e32 0x7f, v4
	s_cbranch_execz .LBB200_535
; %bb.532:                              ;   in Loop: Header=BB200_9 Depth=1
	v_dual_lshrrev_b32 v3, 3, v4 :: v_dual_bitop2_b32 v26, 7, v1 bitop3:0x40
	s_mov_b32 s19, exec_lo
	v_cmpx_gt_u32_e32 8, v4
; %bb.533:                              ;   in Loop: Header=BB200_9 Depth=1
	s_delay_alu instid0(VALU_DEP_2) | instskip(NEXT) | instid1(VALU_DEP_1)
	v_clz_i32_u32_e32 v0, v26
	v_min_u32_e32 v0, 32, v0
	s_delay_alu instid0(VALU_DEP_1) | instskip(SKIP_1) | instid1(VALU_DEP_2)
	v_subrev_nc_u32_e32 v1, 28, v0
	v_sub_nc_u32_e32 v3, 29, v0
	v_lshlrev_b64_e32 v[4:5], v1, v[26:27]
	s_delay_alu instid0(VALU_DEP_1)
	v_and_b32_e32 v26, 7, v4
; %bb.534:                              ;   in Loop: Header=BB200_9 Depth=1
	s_or_b32 exec_lo, exec_lo, s19
	v_lshlrev_b32_e32 v0, 16, v2
	s_delay_alu instid0(VALU_DEP_2) | instskip(SKIP_1) | instid1(VALU_DEP_3)
	v_lshlrev_b32_e32 v1, 20, v26
	v_lshl_add_u32 v2, v3, 23, 0x3c000000
	v_and_b32_e32 v0, 0x80000000, v0
	s_delay_alu instid0(VALU_DEP_1)
	v_or3_b32 v1, v1, v0, v2
	v_mov_b32_e32 v0, v27
	scratch_store_b64 off, v[0:1], s32 offset:708 ; 8-byte Folded Spill
.LBB200_535:                            ;   in Loop: Header=BB200_9 Depth=1
	s_wait_xcnt 0x0
	s_or_b32 exec_lo, exec_lo, s18
.LBB200_536:                            ;   in Loop: Header=BB200_9 Depth=1
	s_delay_alu instid0(SALU_CYCLE_1)
	s_or_b32 exec_lo, exec_lo, s17
.LBB200_537:                            ;   in Loop: Header=BB200_9 Depth=1
	s_delay_alu instid0(SALU_CYCLE_1) | instskip(SKIP_4) | instid1(VALU_DEP_1)
	s_or_b32 exec_lo, exec_lo, s11
	flat_load_u16 v0, v[36:37] offset:2052
	s_wait_loadcnt_dscnt 0x0
	v_and_b32_e32 v2, 0xffff, v0
	v_and_b32_e32 v0, 0xff, v0
	v_cmp_ne_u16_e64 s2, 0, v0
	v_mov_b64_e32 v[0:1], 0
	scratch_store_b64 off, v[0:1], s32 offset:724 ; 8-byte Folded Spill
	s_wait_xcnt 0x0
	v_mov_b64_e32 v[0:1], 0
	scratch_store_b64 off, v[0:1], s32 offset:732 ; 8-byte Folded Spill
	s_wait_xcnt 0x0
	s_and_saveexec_b32 s11, s2
	s_cbranch_execz .LBB200_545
; %bb.538:                              ;   in Loop: Header=BB200_9 Depth=1
	v_and_b32_e32 v0, 0xff, v2
	s_delay_alu instid0(VALU_DEP_1)
	v_cmp_ne_u16_e64 s2, 0x80, v0
	v_mov_b64_e32 v[0:1], 0x80000000
	scratch_store_b64 off, v[0:1], s32 offset:732 ; 8-byte Folded Spill
	s_wait_xcnt 0x0
	s_and_saveexec_b32 s17, s2
	s_cbranch_execz .LBB200_544
; %bb.539:                              ;   in Loop: Header=BB200_9 Depth=1
	v_mov_b64_e32 v[0:1], 0x7f800001
	v_and_b32_e32 v4, 0x7f, v2
	s_mov_b32 s18, exec_lo
	scratch_store_b64 off, v[0:1], s32 offset:732 ; 8-byte Folded Spill
	s_wait_xcnt 0x0
	v_cmpx_ne_u32_e32 0x7f, v4
	s_cbranch_execz .LBB200_543
; %bb.540:                              ;   in Loop: Header=BB200_9 Depth=1
	v_dual_lshrrev_b32 v3, 3, v4 :: v_dual_bitop2_b32 v26, 7, v2 bitop3:0x40
	s_mov_b32 s19, exec_lo
	v_cmpx_gt_u32_e32 8, v4
; %bb.541:                              ;   in Loop: Header=BB200_9 Depth=1
	s_delay_alu instid0(VALU_DEP_2) | instskip(NEXT) | instid1(VALU_DEP_1)
	v_clz_i32_u32_e32 v0, v26
	v_min_u32_e32 v0, 32, v0
	s_delay_alu instid0(VALU_DEP_1) | instskip(SKIP_1) | instid1(VALU_DEP_2)
	v_subrev_nc_u32_e32 v1, 28, v0
	v_sub_nc_u32_e32 v3, 29, v0
	v_lshlrev_b64_e32 v[4:5], v1, v[26:27]
	s_delay_alu instid0(VALU_DEP_1)
	v_and_b32_e32 v26, 7, v4
; %bb.542:                              ;   in Loop: Header=BB200_9 Depth=1
	s_or_b32 exec_lo, exec_lo, s19
	v_lshlrev_b32_e32 v0, 24, v2
	s_delay_alu instid0(VALU_DEP_2) | instskip(SKIP_1) | instid1(VALU_DEP_3)
	v_lshlrev_b32_e32 v1, 20, v26
	v_lshl_add_u32 v3, v3, 23, 0x3c000000
	v_and_b32_e32 v0, 0x80000000, v0
	s_delay_alu instid0(VALU_DEP_1)
	v_or3_b32 v26, v1, v0, v3
	scratch_store_b64 off, v[26:27], s32 offset:732 ; 8-byte Folded Spill
.LBB200_543:                            ;   in Loop: Header=BB200_9 Depth=1
	s_wait_xcnt 0x0
	s_or_b32 exec_lo, exec_lo, s18
.LBB200_544:                            ;   in Loop: Header=BB200_9 Depth=1
	s_delay_alu instid0(SALU_CYCLE_1)
	s_or_b32 exec_lo, exec_lo, s17
.LBB200_545:                            ;   in Loop: Header=BB200_9 Depth=1
	s_delay_alu instid0(SALU_CYCLE_1) | instskip(SKIP_2) | instid1(VALU_DEP_1)
	s_or_b32 exec_lo, exec_lo, s11
	v_lshrrev_b16 v3, 8, v2
	s_mov_b32 s11, exec_lo
	v_cmpx_ne_u16_e32 0, v3
	s_cbranch_execz .LBB200_553
; %bb.546:                              ;   in Loop: Header=BB200_9 Depth=1
	v_mov_b64_e32 v[0:1], 0x8000000000000000
	s_mov_b32 s17, exec_lo
	scratch_store_b64 off, v[0:1], s32 offset:724 ; 8-byte Folded Spill
	s_wait_xcnt 0x0
	v_cmpx_ne_u16_e32 0x80, v3
	s_cbranch_execz .LBB200_552
; %bb.547:                              ;   in Loop: Header=BB200_9 Depth=1
	v_and_b32_e32 v1, 0xffff, v3
	v_mov_b64_e32 v[6:7], 0x7f80000100000000
	s_mov_b32 s18, exec_lo
	s_delay_alu instid0(VALU_DEP_2)
	v_and_b32_e32 v4, 0x7f, v1
	scratch_store_b64 off, v[6:7], s32 offset:724 ; 8-byte Folded Spill
	s_wait_xcnt 0x0
	v_cmpx_ne_u32_e32 0x7f, v4
	s_cbranch_execz .LBB200_551
; %bb.548:                              ;   in Loop: Header=BB200_9 Depth=1
	v_dual_lshrrev_b32 v3, 3, v4 :: v_dual_bitop2_b32 v26, 7, v1 bitop3:0x40
	s_mov_b32 s19, exec_lo
	v_cmpx_gt_u32_e32 8, v4
; %bb.549:                              ;   in Loop: Header=BB200_9 Depth=1
	s_delay_alu instid0(VALU_DEP_2) | instskip(NEXT) | instid1(VALU_DEP_1)
	v_clz_i32_u32_e32 v0, v26
	v_min_u32_e32 v0, 32, v0
	s_delay_alu instid0(VALU_DEP_1) | instskip(SKIP_1) | instid1(VALU_DEP_2)
	v_subrev_nc_u32_e32 v1, 28, v0
	v_sub_nc_u32_e32 v3, 29, v0
	v_lshlrev_b64_e32 v[4:5], v1, v[26:27]
	s_delay_alu instid0(VALU_DEP_1)
	v_and_b32_e32 v26, 7, v4
; %bb.550:                              ;   in Loop: Header=BB200_9 Depth=1
	s_or_b32 exec_lo, exec_lo, s19
	v_lshlrev_b32_e32 v0, 16, v2
	s_delay_alu instid0(VALU_DEP_2) | instskip(SKIP_1) | instid1(VALU_DEP_3)
	v_lshlrev_b32_e32 v1, 20, v26
	v_lshl_add_u32 v2, v3, 23, 0x3c000000
	v_and_b32_e32 v0, 0x80000000, v0
	s_delay_alu instid0(VALU_DEP_1)
	v_or3_b32 v1, v1, v0, v2
	v_mov_b32_e32 v0, v27
	scratch_store_b64 off, v[0:1], s32 offset:724 ; 8-byte Folded Spill
.LBB200_551:                            ;   in Loop: Header=BB200_9 Depth=1
	s_wait_xcnt 0x0
	s_or_b32 exec_lo, exec_lo, s18
.LBB200_552:                            ;   in Loop: Header=BB200_9 Depth=1
	s_delay_alu instid0(SALU_CYCLE_1)
	s_or_b32 exec_lo, exec_lo, s17
.LBB200_553:                            ;   in Loop: Header=BB200_9 Depth=1
	s_delay_alu instid0(SALU_CYCLE_1)
	s_or_b32 exec_lo, exec_lo, s11
	flat_load_u16 v0, v[36:37] offset:2056
	v_mov_b64_e32 v[68:69], 0
	s_wait_loadcnt_dscnt 0x0
	v_and_b32_e32 v2, 0xffff, v0
	v_and_b32_e32 v0, 0xff, v0
	s_delay_alu instid0(VALU_DEP_1)
	v_cmp_ne_u16_e64 s2, 0, v0
	v_mov_b64_e32 v[0:1], 0
	scratch_store_b64 off, v[0:1], s32 offset:740 ; 8-byte Folded Spill
	s_wait_xcnt 0x0
	s_and_saveexec_b32 s11, s2
	s_cbranch_execz .LBB200_561
; %bb.554:                              ;   in Loop: Header=BB200_9 Depth=1
	v_and_b32_e32 v0, 0xff, v2
	s_delay_alu instid0(VALU_DEP_1)
	v_cmp_ne_u16_e64 s2, 0x80, v0
	v_mov_b64_e32 v[0:1], 0x80000000
	scratch_store_b64 off, v[0:1], s32 offset:740 ; 8-byte Folded Spill
	s_wait_xcnt 0x0
	s_and_saveexec_b32 s17, s2
	s_cbranch_execz .LBB200_560
; %bb.555:                              ;   in Loop: Header=BB200_9 Depth=1
	v_mov_b64_e32 v[0:1], 0x7f800001
	v_and_b32_e32 v4, 0x7f, v2
	s_mov_b32 s18, exec_lo
	scratch_store_b64 off, v[0:1], s32 offset:740 ; 8-byte Folded Spill
	s_wait_xcnt 0x0
	v_cmpx_ne_u32_e32 0x7f, v4
	s_cbranch_execz .LBB200_559
; %bb.556:                              ;   in Loop: Header=BB200_9 Depth=1
	v_dual_lshrrev_b32 v3, 3, v4 :: v_dual_bitop2_b32 v26, 7, v2 bitop3:0x40
	s_mov_b32 s19, exec_lo
	v_cmpx_gt_u32_e32 8, v4
; %bb.557:                              ;   in Loop: Header=BB200_9 Depth=1
	s_delay_alu instid0(VALU_DEP_2) | instskip(NEXT) | instid1(VALU_DEP_1)
	v_clz_i32_u32_e32 v0, v26
	v_min_u32_e32 v0, 32, v0
	s_delay_alu instid0(VALU_DEP_1) | instskip(SKIP_1) | instid1(VALU_DEP_2)
	v_subrev_nc_u32_e32 v1, 28, v0
	v_sub_nc_u32_e32 v3, 29, v0
	v_lshlrev_b64_e32 v[4:5], v1, v[26:27]
	s_delay_alu instid0(VALU_DEP_1)
	v_and_b32_e32 v26, 7, v4
; %bb.558:                              ;   in Loop: Header=BB200_9 Depth=1
	s_or_b32 exec_lo, exec_lo, s19
	v_lshlrev_b32_e32 v0, 24, v2
	s_delay_alu instid0(VALU_DEP_2) | instskip(SKIP_1) | instid1(VALU_DEP_3)
	v_lshlrev_b32_e32 v1, 20, v26
	v_lshl_add_u32 v3, v3, 23, 0x3c000000
	v_and_b32_e32 v0, 0x80000000, v0
	s_delay_alu instid0(VALU_DEP_1)
	v_or3_b32 v26, v1, v0, v3
	scratch_store_b64 off, v[26:27], s32 offset:740 ; 8-byte Folded Spill
.LBB200_559:                            ;   in Loop: Header=BB200_9 Depth=1
	s_wait_xcnt 0x0
	s_or_b32 exec_lo, exec_lo, s18
.LBB200_560:                            ;   in Loop: Header=BB200_9 Depth=1
	s_delay_alu instid0(SALU_CYCLE_1)
	s_or_b32 exec_lo, exec_lo, s17
.LBB200_561:                            ;   in Loop: Header=BB200_9 Depth=1
	s_delay_alu instid0(SALU_CYCLE_1) | instskip(SKIP_2) | instid1(VALU_DEP_1)
	s_or_b32 exec_lo, exec_lo, s11
	v_lshrrev_b16 v3, 8, v2
	s_mov_b32 s11, exec_lo
	v_cmpx_ne_u16_e32 0, v3
	s_cbranch_execz .LBB200_569
; %bb.562:                              ;   in Loop: Header=BB200_9 Depth=1
	v_mov_b64_e32 v[68:69], 0x8000000000000000
	s_mov_b32 s17, exec_lo
	v_cmpx_ne_u16_e32 0x80, v3
	s_cbranch_execz .LBB200_568
; %bb.563:                              ;   in Loop: Header=BB200_9 Depth=1
	v_and_b32_e32 v1, 0xffff, v3
	v_mov_b64_e32 v[68:69], 0x7f80000100000000
	s_mov_b32 s18, exec_lo
	s_delay_alu instid0(VALU_DEP_2) | instskip(NEXT) | instid1(VALU_DEP_1)
	v_and_b32_e32 v4, 0x7f, v1
	v_cmpx_ne_u32_e32 0x7f, v4
	s_cbranch_execz .LBB200_567
; %bb.564:                              ;   in Loop: Header=BB200_9 Depth=1
	v_dual_lshrrev_b32 v3, 3, v4 :: v_dual_bitop2_b32 v26, 7, v1 bitop3:0x40
	s_mov_b32 s19, exec_lo
	v_cmpx_gt_u32_e32 8, v4
; %bb.565:                              ;   in Loop: Header=BB200_9 Depth=1
	s_delay_alu instid0(VALU_DEP_2) | instskip(NEXT) | instid1(VALU_DEP_1)
	v_clz_i32_u32_e32 v0, v26
	v_min_u32_e32 v0, 32, v0
	s_delay_alu instid0(VALU_DEP_1) | instskip(SKIP_1) | instid1(VALU_DEP_2)
	v_subrev_nc_u32_e32 v1, 28, v0
	v_sub_nc_u32_e32 v3, 29, v0
	v_lshlrev_b64_e32 v[4:5], v1, v[26:27]
	s_delay_alu instid0(VALU_DEP_1)
	v_and_b32_e32 v26, 7, v4
; %bb.566:                              ;   in Loop: Header=BB200_9 Depth=1
	s_or_b32 exec_lo, exec_lo, s19
	v_dual_lshlrev_b32 v0, 16, v2 :: v_dual_mov_b32 v68, v27
	s_delay_alu instid0(VALU_DEP_2) | instskip(SKIP_1) | instid1(VALU_DEP_3)
	v_lshlrev_b32_e32 v1, 20, v26
	v_lshl_add_u32 v2, v3, 23, 0x3c000000
	v_and_b32_e32 v0, 0x80000000, v0
	s_delay_alu instid0(VALU_DEP_1)
	v_or3_b32 v69, v1, v0, v2
.LBB200_567:                            ;   in Loop: Header=BB200_9 Depth=1
	s_or_b32 exec_lo, exec_lo, s18
.LBB200_568:                            ;   in Loop: Header=BB200_9 Depth=1
	s_delay_alu instid0(SALU_CYCLE_1)
	s_or_b32 exec_lo, exec_lo, s17
.LBB200_569:                            ;   in Loop: Header=BB200_9 Depth=1
	s_delay_alu instid0(SALU_CYCLE_1)
	s_or_b32 exec_lo, exec_lo, s11
	flat_load_u16 v0, v[36:37] offset:2060
	v_mov_b64_e32 v[80:81], 0
	s_wait_loadcnt_dscnt 0x0
	v_and_b32_e32 v2, 0xffff, v0
	v_and_b32_e32 v0, 0xff, v0
	s_delay_alu instid0(VALU_DEP_1)
	v_cmp_ne_u16_e64 s2, 0, v0
	v_mov_b64_e32 v[0:1], 0
	scratch_store_b64 off, v[0:1], s32 offset:748 ; 8-byte Folded Spill
	s_wait_xcnt 0x0
	s_and_saveexec_b32 s11, s2
	s_cbranch_execz .LBB200_577
; %bb.570:                              ;   in Loop: Header=BB200_9 Depth=1
	v_and_b32_e32 v0, 0xff, v2
	s_delay_alu instid0(VALU_DEP_1)
	v_cmp_ne_u16_e64 s2, 0x80, v0
	v_mov_b64_e32 v[0:1], 0x80000000
	scratch_store_b64 off, v[0:1], s32 offset:748 ; 8-byte Folded Spill
	s_wait_xcnt 0x0
	s_and_saveexec_b32 s17, s2
	s_cbranch_execz .LBB200_576
; %bb.571:                              ;   in Loop: Header=BB200_9 Depth=1
	v_mov_b64_e32 v[0:1], 0x7f800001
	v_and_b32_e32 v4, 0x7f, v2
	s_mov_b32 s18, exec_lo
	scratch_store_b64 off, v[0:1], s32 offset:748 ; 8-byte Folded Spill
	s_wait_xcnt 0x0
	v_cmpx_ne_u32_e32 0x7f, v4
	s_cbranch_execz .LBB200_575
; %bb.572:                              ;   in Loop: Header=BB200_9 Depth=1
	v_dual_lshrrev_b32 v3, 3, v4 :: v_dual_bitop2_b32 v26, 7, v2 bitop3:0x40
	s_mov_b32 s19, exec_lo
	v_cmpx_gt_u32_e32 8, v4
; %bb.573:                              ;   in Loop: Header=BB200_9 Depth=1
	s_delay_alu instid0(VALU_DEP_2) | instskip(NEXT) | instid1(VALU_DEP_1)
	v_clz_i32_u32_e32 v0, v26
	v_min_u32_e32 v0, 32, v0
	s_delay_alu instid0(VALU_DEP_1) | instskip(SKIP_1) | instid1(VALU_DEP_2)
	v_subrev_nc_u32_e32 v1, 28, v0
	v_sub_nc_u32_e32 v3, 29, v0
	v_lshlrev_b64_e32 v[4:5], v1, v[26:27]
	s_delay_alu instid0(VALU_DEP_1)
	v_and_b32_e32 v26, 7, v4
; %bb.574:                              ;   in Loop: Header=BB200_9 Depth=1
	s_or_b32 exec_lo, exec_lo, s19
	v_lshlrev_b32_e32 v0, 24, v2
	s_delay_alu instid0(VALU_DEP_2) | instskip(SKIP_1) | instid1(VALU_DEP_3)
	v_lshlrev_b32_e32 v1, 20, v26
	v_lshl_add_u32 v3, v3, 23, 0x3c000000
	v_and_b32_e32 v0, 0x80000000, v0
	s_delay_alu instid0(VALU_DEP_1)
	v_or3_b32 v26, v1, v0, v3
	scratch_store_b64 off, v[26:27], s32 offset:748 ; 8-byte Folded Spill
.LBB200_575:                            ;   in Loop: Header=BB200_9 Depth=1
	s_wait_xcnt 0x0
	s_or_b32 exec_lo, exec_lo, s18
.LBB200_576:                            ;   in Loop: Header=BB200_9 Depth=1
	s_delay_alu instid0(SALU_CYCLE_1)
	s_or_b32 exec_lo, exec_lo, s17
.LBB200_577:                            ;   in Loop: Header=BB200_9 Depth=1
	s_delay_alu instid0(SALU_CYCLE_1) | instskip(SKIP_2) | instid1(VALU_DEP_1)
	s_or_b32 exec_lo, exec_lo, s11
	v_lshrrev_b16 v3, 8, v2
	s_mov_b32 s11, exec_lo
	v_cmpx_ne_u16_e32 0, v3
	s_cbranch_execz .LBB200_585
; %bb.578:                              ;   in Loop: Header=BB200_9 Depth=1
	v_mov_b64_e32 v[80:81], 0x8000000000000000
	s_mov_b32 s17, exec_lo
	v_cmpx_ne_u16_e32 0x80, v3
	s_cbranch_execz .LBB200_584
; %bb.579:                              ;   in Loop: Header=BB200_9 Depth=1
	v_and_b32_e32 v1, 0xffff, v3
	v_mov_b64_e32 v[80:81], 0x7f80000100000000
	s_mov_b32 s18, exec_lo
	s_delay_alu instid0(VALU_DEP_2) | instskip(NEXT) | instid1(VALU_DEP_1)
	v_and_b32_e32 v4, 0x7f, v1
	v_cmpx_ne_u32_e32 0x7f, v4
	s_cbranch_execz .LBB200_583
; %bb.580:                              ;   in Loop: Header=BB200_9 Depth=1
	v_dual_lshrrev_b32 v3, 3, v4 :: v_dual_bitop2_b32 v26, 7, v1 bitop3:0x40
	s_mov_b32 s19, exec_lo
	v_cmpx_gt_u32_e32 8, v4
; %bb.581:                              ;   in Loop: Header=BB200_9 Depth=1
	s_delay_alu instid0(VALU_DEP_2) | instskip(NEXT) | instid1(VALU_DEP_1)
	v_clz_i32_u32_e32 v0, v26
	v_min_u32_e32 v0, 32, v0
	s_delay_alu instid0(VALU_DEP_1) | instskip(SKIP_1) | instid1(VALU_DEP_2)
	v_subrev_nc_u32_e32 v1, 28, v0
	v_sub_nc_u32_e32 v3, 29, v0
	v_lshlrev_b64_e32 v[4:5], v1, v[26:27]
	s_delay_alu instid0(VALU_DEP_1)
	v_and_b32_e32 v26, 7, v4
; %bb.582:                              ;   in Loop: Header=BB200_9 Depth=1
	s_or_b32 exec_lo, exec_lo, s19
	v_dual_lshlrev_b32 v0, 16, v2 :: v_dual_mov_b32 v80, v27
	s_delay_alu instid0(VALU_DEP_2) | instskip(SKIP_1) | instid1(VALU_DEP_3)
	v_lshlrev_b32_e32 v1, 20, v26
	v_lshl_add_u32 v2, v3, 23, 0x3c000000
	v_and_b32_e32 v0, 0x80000000, v0
	s_delay_alu instid0(VALU_DEP_1)
	v_or3_b32 v81, v1, v0, v2
.LBB200_583:                            ;   in Loop: Header=BB200_9 Depth=1
	s_or_b32 exec_lo, exec_lo, s18
.LBB200_584:                            ;   in Loop: Header=BB200_9 Depth=1
	s_delay_alu instid0(SALU_CYCLE_1)
	s_or_b32 exec_lo, exec_lo, s17
.LBB200_585:                            ;   in Loop: Header=BB200_9 Depth=1
	s_delay_alu instid0(SALU_CYCLE_1)
	s_or_b32 exec_lo, exec_lo, s11
	flat_load_u16 v0, v[36:37] offset:2304
	v_mov_b64_e32 v[54:55], 0
	v_mov_b64_e32 v[38:39], 0
	s_mov_b32 s11, exec_lo
	s_wait_loadcnt_dscnt 0x0
	v_and_b32_e32 v2, 0xffff, v0
	v_and_b32_e32 v0, 0xff, v0
	s_wait_xcnt 0x0
	s_delay_alu instid0(VALU_DEP_1)
	v_cmpx_ne_u16_e32 0, v0
	s_cbranch_execz .LBB200_593
; %bb.586:                              ;   in Loop: Header=BB200_9 Depth=1
	v_mov_b64_e32 v[38:39], 0x80000000
	v_and_b32_e32 v0, 0xff, v2
	s_mov_b32 s17, exec_lo
	s_delay_alu instid0(VALU_DEP_1)
	v_cmpx_ne_u16_e32 0x80, v0
	s_cbranch_execz .LBB200_592
; %bb.587:                              ;   in Loop: Header=BB200_9 Depth=1
	v_mov_b64_e32 v[38:39], 0x7f800001
	v_and_b32_e32 v4, 0x7f, v2
	s_mov_b32 s18, exec_lo
	s_delay_alu instid0(VALU_DEP_1)
	v_cmpx_ne_u32_e32 0x7f, v4
	s_cbranch_execz .LBB200_591
; %bb.588:                              ;   in Loop: Header=BB200_9 Depth=1
	v_dual_lshrrev_b32 v3, 3, v4 :: v_dual_bitop2_b32 v26, 7, v2 bitop3:0x40
	s_mov_b32 s19, exec_lo
	v_cmpx_gt_u32_e32 8, v4
; %bb.589:                              ;   in Loop: Header=BB200_9 Depth=1
	s_delay_alu instid0(VALU_DEP_2) | instskip(NEXT) | instid1(VALU_DEP_1)
	v_clz_i32_u32_e32 v0, v26
	v_min_u32_e32 v0, 32, v0
	s_delay_alu instid0(VALU_DEP_1) | instskip(SKIP_1) | instid1(VALU_DEP_2)
	v_subrev_nc_u32_e32 v1, 28, v0
	v_sub_nc_u32_e32 v3, 29, v0
	v_lshlrev_b64_e32 v[4:5], v1, v[26:27]
	s_delay_alu instid0(VALU_DEP_1)
	v_and_b32_e32 v26, 7, v4
; %bb.590:                              ;   in Loop: Header=BB200_9 Depth=1
	s_or_b32 exec_lo, exec_lo, s19
	v_lshlrev_b32_e32 v0, 24, v2
	s_delay_alu instid0(VALU_DEP_2) | instskip(SKIP_1) | instid1(VALU_DEP_3)
	v_lshlrev_b32_e32 v1, 20, v26
	v_lshl_add_u32 v3, v3, 23, 0x3c000000
	v_and_b32_e32 v0, 0x80000000, v0
	s_delay_alu instid0(VALU_DEP_1) | instskip(NEXT) | instid1(VALU_DEP_1)
	v_or3_b32 v26, v1, v0, v3
	v_mov_b64_e32 v[38:39], v[26:27]
.LBB200_591:                            ;   in Loop: Header=BB200_9 Depth=1
	s_or_b32 exec_lo, exec_lo, s18
.LBB200_592:                            ;   in Loop: Header=BB200_9 Depth=1
	s_delay_alu instid0(SALU_CYCLE_1)
	s_or_b32 exec_lo, exec_lo, s17
.LBB200_593:                            ;   in Loop: Header=BB200_9 Depth=1
	s_delay_alu instid0(SALU_CYCLE_1) | instskip(SKIP_2) | instid1(VALU_DEP_1)
	s_or_b32 exec_lo, exec_lo, s11
	v_lshrrev_b16 v3, 8, v2
	s_mov_b32 s11, exec_lo
	v_cmpx_ne_u16_e32 0, v3
	s_cbranch_execz .LBB200_601
; %bb.594:                              ;   in Loop: Header=BB200_9 Depth=1
	v_mov_b64_e32 v[54:55], 0x8000000000000000
	s_mov_b32 s17, exec_lo
	v_cmpx_ne_u16_e32 0x80, v3
	s_cbranch_execz .LBB200_600
; %bb.595:                              ;   in Loop: Header=BB200_9 Depth=1
	v_and_b32_e32 v1, 0xffff, v3
	v_mov_b64_e32 v[54:55], 0x7f80000100000000
	s_mov_b32 s18, exec_lo
	s_delay_alu instid0(VALU_DEP_2) | instskip(NEXT) | instid1(VALU_DEP_1)
	v_and_b32_e32 v4, 0x7f, v1
	v_cmpx_ne_u32_e32 0x7f, v4
	s_cbranch_execz .LBB200_599
; %bb.596:                              ;   in Loop: Header=BB200_9 Depth=1
	v_dual_lshrrev_b32 v3, 3, v4 :: v_dual_bitop2_b32 v26, 7, v1 bitop3:0x40
	s_mov_b32 s19, exec_lo
	v_cmpx_gt_u32_e32 8, v4
; %bb.597:                              ;   in Loop: Header=BB200_9 Depth=1
	s_delay_alu instid0(VALU_DEP_2) | instskip(NEXT) | instid1(VALU_DEP_1)
	v_clz_i32_u32_e32 v0, v26
	v_min_u32_e32 v0, 32, v0
	s_delay_alu instid0(VALU_DEP_1) | instskip(SKIP_1) | instid1(VALU_DEP_2)
	v_subrev_nc_u32_e32 v1, 28, v0
	v_sub_nc_u32_e32 v3, 29, v0
	v_lshlrev_b64_e32 v[4:5], v1, v[26:27]
	s_delay_alu instid0(VALU_DEP_1)
	v_and_b32_e32 v26, 7, v4
; %bb.598:                              ;   in Loop: Header=BB200_9 Depth=1
	s_or_b32 exec_lo, exec_lo, s19
	v_dual_lshlrev_b32 v0, 16, v2 :: v_dual_mov_b32 v54, v27
	s_delay_alu instid0(VALU_DEP_2) | instskip(SKIP_1) | instid1(VALU_DEP_3)
	v_lshlrev_b32_e32 v1, 20, v26
	v_lshl_add_u32 v2, v3, 23, 0x3c000000
	v_and_b32_e32 v0, 0x80000000, v0
	s_delay_alu instid0(VALU_DEP_1)
	v_or3_b32 v55, v1, v0, v2
.LBB200_599:                            ;   in Loop: Header=BB200_9 Depth=1
	s_or_b32 exec_lo, exec_lo, s18
.LBB200_600:                            ;   in Loop: Header=BB200_9 Depth=1
	s_delay_alu instid0(SALU_CYCLE_1)
	s_or_b32 exec_lo, exec_lo, s17
.LBB200_601:                            ;   in Loop: Header=BB200_9 Depth=1
	s_delay_alu instid0(SALU_CYCLE_1)
	s_or_b32 exec_lo, exec_lo, s11
	flat_load_u16 v0, v[36:37] offset:2308
	v_mov_b64_e32 v[66:67], 0
	v_mov_b64_e32 v[96:97], 0
	s_mov_b32 s11, exec_lo
	s_wait_loadcnt_dscnt 0x0
	v_and_b32_e32 v2, 0xffff, v0
	v_and_b32_e32 v0, 0xff, v0
	s_wait_xcnt 0x0
	s_delay_alu instid0(VALU_DEP_1)
	v_cmpx_ne_u16_e32 0, v0
	s_cbranch_execz .LBB200_609
; %bb.602:                              ;   in Loop: Header=BB200_9 Depth=1
	v_mov_b64_e32 v[96:97], 0x80000000
	v_and_b32_e32 v0, 0xff, v2
	s_mov_b32 s17, exec_lo
	s_delay_alu instid0(VALU_DEP_1)
	v_cmpx_ne_u16_e32 0x80, v0
	s_cbranch_execz .LBB200_608
; %bb.603:                              ;   in Loop: Header=BB200_9 Depth=1
	v_mov_b64_e32 v[96:97], 0x7f800001
	v_and_b32_e32 v4, 0x7f, v2
	s_mov_b32 s18, exec_lo
	s_delay_alu instid0(VALU_DEP_1)
	v_cmpx_ne_u32_e32 0x7f, v4
	s_cbranch_execz .LBB200_607
; %bb.604:                              ;   in Loop: Header=BB200_9 Depth=1
	v_dual_lshrrev_b32 v3, 3, v4 :: v_dual_bitop2_b32 v26, 7, v2 bitop3:0x40
	s_mov_b32 s19, exec_lo
	v_cmpx_gt_u32_e32 8, v4
; %bb.605:                              ;   in Loop: Header=BB200_9 Depth=1
	s_delay_alu instid0(VALU_DEP_2) | instskip(NEXT) | instid1(VALU_DEP_1)
	v_clz_i32_u32_e32 v0, v26
	v_min_u32_e32 v0, 32, v0
	s_delay_alu instid0(VALU_DEP_1) | instskip(SKIP_1) | instid1(VALU_DEP_2)
	v_subrev_nc_u32_e32 v1, 28, v0
	v_sub_nc_u32_e32 v3, 29, v0
	v_lshlrev_b64_e32 v[4:5], v1, v[26:27]
	s_delay_alu instid0(VALU_DEP_1)
	v_and_b32_e32 v26, 7, v4
; %bb.606:                              ;   in Loop: Header=BB200_9 Depth=1
	s_or_b32 exec_lo, exec_lo, s19
	v_lshlrev_b32_e32 v0, 24, v2
	s_delay_alu instid0(VALU_DEP_2) | instskip(SKIP_1) | instid1(VALU_DEP_3)
	v_lshlrev_b32_e32 v1, 20, v26
	v_lshl_add_u32 v3, v3, 23, 0x3c000000
	v_and_b32_e32 v0, 0x80000000, v0
	s_delay_alu instid0(VALU_DEP_1) | instskip(NEXT) | instid1(VALU_DEP_1)
	v_or3_b32 v26, v1, v0, v3
	v_mov_b64_e32 v[96:97], v[26:27]
.LBB200_607:                            ;   in Loop: Header=BB200_9 Depth=1
	s_or_b32 exec_lo, exec_lo, s18
.LBB200_608:                            ;   in Loop: Header=BB200_9 Depth=1
	s_delay_alu instid0(SALU_CYCLE_1)
	s_or_b32 exec_lo, exec_lo, s17
.LBB200_609:                            ;   in Loop: Header=BB200_9 Depth=1
	s_delay_alu instid0(SALU_CYCLE_1) | instskip(SKIP_2) | instid1(VALU_DEP_1)
	s_or_b32 exec_lo, exec_lo, s11
	v_lshrrev_b16 v3, 8, v2
	s_mov_b32 s11, exec_lo
	v_cmpx_ne_u16_e32 0, v3
	s_cbranch_execz .LBB200_617
; %bb.610:                              ;   in Loop: Header=BB200_9 Depth=1
	v_mov_b64_e32 v[66:67], 0x8000000000000000
	s_mov_b32 s17, exec_lo
	v_cmpx_ne_u16_e32 0x80, v3
	s_cbranch_execz .LBB200_616
; %bb.611:                              ;   in Loop: Header=BB200_9 Depth=1
	v_and_b32_e32 v1, 0xffff, v3
	v_mov_b64_e32 v[66:67], 0x7f80000100000000
	s_mov_b32 s18, exec_lo
	s_delay_alu instid0(VALU_DEP_2) | instskip(NEXT) | instid1(VALU_DEP_1)
	v_and_b32_e32 v4, 0x7f, v1
	v_cmpx_ne_u32_e32 0x7f, v4
	s_cbranch_execz .LBB200_615
; %bb.612:                              ;   in Loop: Header=BB200_9 Depth=1
	v_dual_lshrrev_b32 v3, 3, v4 :: v_dual_bitop2_b32 v26, 7, v1 bitop3:0x40
	s_mov_b32 s19, exec_lo
	v_cmpx_gt_u32_e32 8, v4
; %bb.613:                              ;   in Loop: Header=BB200_9 Depth=1
	s_delay_alu instid0(VALU_DEP_2) | instskip(NEXT) | instid1(VALU_DEP_1)
	v_clz_i32_u32_e32 v0, v26
	v_min_u32_e32 v0, 32, v0
	s_delay_alu instid0(VALU_DEP_1) | instskip(SKIP_1) | instid1(VALU_DEP_2)
	v_subrev_nc_u32_e32 v1, 28, v0
	v_sub_nc_u32_e32 v3, 29, v0
	v_lshlrev_b64_e32 v[4:5], v1, v[26:27]
	s_delay_alu instid0(VALU_DEP_1)
	v_and_b32_e32 v26, 7, v4
; %bb.614:                              ;   in Loop: Header=BB200_9 Depth=1
	s_or_b32 exec_lo, exec_lo, s19
	v_dual_lshlrev_b32 v0, 16, v2 :: v_dual_mov_b32 v66, v27
	s_delay_alu instid0(VALU_DEP_2) | instskip(SKIP_1) | instid1(VALU_DEP_3)
	v_lshlrev_b32_e32 v1, 20, v26
	v_lshl_add_u32 v2, v3, 23, 0x3c000000
	v_and_b32_e32 v0, 0x80000000, v0
	s_delay_alu instid0(VALU_DEP_1)
	v_or3_b32 v67, v1, v0, v2
.LBB200_615:                            ;   in Loop: Header=BB200_9 Depth=1
	s_or_b32 exec_lo, exec_lo, s18
.LBB200_616:                            ;   in Loop: Header=BB200_9 Depth=1
	s_delay_alu instid0(SALU_CYCLE_1)
	s_or_b32 exec_lo, exec_lo, s17
.LBB200_617:                            ;   in Loop: Header=BB200_9 Depth=1
	s_delay_alu instid0(SALU_CYCLE_1)
	s_or_b32 exec_lo, exec_lo, s11
	flat_load_u16 v0, v[36:37] offset:2312
	v_mov_b64_e32 v[70:71], 0
	v_mov_b64_e32 v[100:101], 0
	s_mov_b32 s11, exec_lo
	s_wait_loadcnt_dscnt 0x0
	v_and_b32_e32 v2, 0xffff, v0
	v_and_b32_e32 v0, 0xff, v0
	s_wait_xcnt 0x0
	s_delay_alu instid0(VALU_DEP_1)
	v_cmpx_ne_u16_e32 0, v0
	s_cbranch_execz .LBB200_625
; %bb.618:                              ;   in Loop: Header=BB200_9 Depth=1
	v_mov_b64_e32 v[100:101], 0x80000000
	v_and_b32_e32 v0, 0xff, v2
	s_mov_b32 s17, exec_lo
	s_delay_alu instid0(VALU_DEP_1)
	v_cmpx_ne_u16_e32 0x80, v0
	s_cbranch_execz .LBB200_624
; %bb.619:                              ;   in Loop: Header=BB200_9 Depth=1
	v_mov_b64_e32 v[100:101], 0x7f800001
	v_and_b32_e32 v4, 0x7f, v2
	s_mov_b32 s18, exec_lo
	s_delay_alu instid0(VALU_DEP_1)
	v_cmpx_ne_u32_e32 0x7f, v4
	s_cbranch_execz .LBB200_623
; %bb.620:                              ;   in Loop: Header=BB200_9 Depth=1
	v_dual_lshrrev_b32 v3, 3, v4 :: v_dual_bitop2_b32 v26, 7, v2 bitop3:0x40
	s_mov_b32 s19, exec_lo
	v_cmpx_gt_u32_e32 8, v4
; %bb.621:                              ;   in Loop: Header=BB200_9 Depth=1
	s_delay_alu instid0(VALU_DEP_2) | instskip(NEXT) | instid1(VALU_DEP_1)
	v_clz_i32_u32_e32 v0, v26
	v_min_u32_e32 v0, 32, v0
	s_delay_alu instid0(VALU_DEP_1) | instskip(SKIP_1) | instid1(VALU_DEP_2)
	v_subrev_nc_u32_e32 v1, 28, v0
	v_sub_nc_u32_e32 v3, 29, v0
	v_lshlrev_b64_e32 v[4:5], v1, v[26:27]
	s_delay_alu instid0(VALU_DEP_1)
	v_and_b32_e32 v26, 7, v4
; %bb.622:                              ;   in Loop: Header=BB200_9 Depth=1
	s_or_b32 exec_lo, exec_lo, s19
	v_lshlrev_b32_e32 v0, 24, v2
	s_delay_alu instid0(VALU_DEP_2) | instskip(SKIP_1) | instid1(VALU_DEP_3)
	v_lshlrev_b32_e32 v1, 20, v26
	v_lshl_add_u32 v3, v3, 23, 0x3c000000
	v_and_b32_e32 v0, 0x80000000, v0
	s_delay_alu instid0(VALU_DEP_1) | instskip(NEXT) | instid1(VALU_DEP_1)
	v_or3_b32 v26, v1, v0, v3
	v_mov_b64_e32 v[100:101], v[26:27]
.LBB200_623:                            ;   in Loop: Header=BB200_9 Depth=1
	s_or_b32 exec_lo, exec_lo, s18
.LBB200_624:                            ;   in Loop: Header=BB200_9 Depth=1
	s_delay_alu instid0(SALU_CYCLE_1)
	s_or_b32 exec_lo, exec_lo, s17
.LBB200_625:                            ;   in Loop: Header=BB200_9 Depth=1
	s_delay_alu instid0(SALU_CYCLE_1) | instskip(SKIP_2) | instid1(VALU_DEP_1)
	s_or_b32 exec_lo, exec_lo, s11
	v_lshrrev_b16 v3, 8, v2
	s_mov_b32 s11, exec_lo
	v_cmpx_ne_u16_e32 0, v3
	s_cbranch_execz .LBB200_633
; %bb.626:                              ;   in Loop: Header=BB200_9 Depth=1
	v_mov_b64_e32 v[70:71], 0x8000000000000000
	s_mov_b32 s17, exec_lo
	v_cmpx_ne_u16_e32 0x80, v3
	s_cbranch_execz .LBB200_632
; %bb.627:                              ;   in Loop: Header=BB200_9 Depth=1
	v_and_b32_e32 v1, 0xffff, v3
	v_mov_b64_e32 v[70:71], 0x7f80000100000000
	s_mov_b32 s18, exec_lo
	s_delay_alu instid0(VALU_DEP_2) | instskip(NEXT) | instid1(VALU_DEP_1)
	v_and_b32_e32 v4, 0x7f, v1
	v_cmpx_ne_u32_e32 0x7f, v4
	s_cbranch_execz .LBB200_631
; %bb.628:                              ;   in Loop: Header=BB200_9 Depth=1
	v_dual_lshrrev_b32 v3, 3, v4 :: v_dual_bitop2_b32 v26, 7, v1 bitop3:0x40
	s_mov_b32 s19, exec_lo
	v_cmpx_gt_u32_e32 8, v4
; %bb.629:                              ;   in Loop: Header=BB200_9 Depth=1
	s_delay_alu instid0(VALU_DEP_2) | instskip(NEXT) | instid1(VALU_DEP_1)
	v_clz_i32_u32_e32 v0, v26
	v_min_u32_e32 v0, 32, v0
	s_delay_alu instid0(VALU_DEP_1) | instskip(SKIP_1) | instid1(VALU_DEP_2)
	v_subrev_nc_u32_e32 v1, 28, v0
	v_sub_nc_u32_e32 v3, 29, v0
	v_lshlrev_b64_e32 v[4:5], v1, v[26:27]
	s_delay_alu instid0(VALU_DEP_1)
	v_and_b32_e32 v26, 7, v4
; %bb.630:                              ;   in Loop: Header=BB200_9 Depth=1
	s_or_b32 exec_lo, exec_lo, s19
	v_dual_lshlrev_b32 v0, 16, v2 :: v_dual_mov_b32 v70, v27
	s_delay_alu instid0(VALU_DEP_2) | instskip(SKIP_1) | instid1(VALU_DEP_3)
	v_lshlrev_b32_e32 v1, 20, v26
	v_lshl_add_u32 v2, v3, 23, 0x3c000000
	v_and_b32_e32 v0, 0x80000000, v0
	s_delay_alu instid0(VALU_DEP_1)
	v_or3_b32 v71, v1, v0, v2
.LBB200_631:                            ;   in Loop: Header=BB200_9 Depth=1
	s_or_b32 exec_lo, exec_lo, s18
.LBB200_632:                            ;   in Loop: Header=BB200_9 Depth=1
	s_delay_alu instid0(SALU_CYCLE_1)
	s_or_b32 exec_lo, exec_lo, s17
.LBB200_633:                            ;   in Loop: Header=BB200_9 Depth=1
	s_delay_alu instid0(SALU_CYCLE_1)
	s_or_b32 exec_lo, exec_lo, s11
	flat_load_u16 v0, v[36:37] offset:2316
	v_mov_b64_e32 v[82:83], 0
	v_mov_b64_e32 v[112:113], 0
	s_mov_b32 s11, exec_lo
	s_wait_loadcnt_dscnt 0x0
	v_and_b32_e32 v2, 0xffff, v0
	v_and_b32_e32 v0, 0xff, v0
	s_wait_xcnt 0x0
	s_delay_alu instid0(VALU_DEP_1)
	v_cmpx_ne_u16_e32 0, v0
	s_cbranch_execz .LBB200_641
; %bb.634:                              ;   in Loop: Header=BB200_9 Depth=1
	v_mov_b64_e32 v[112:113], 0x80000000
	v_and_b32_e32 v0, 0xff, v2
	s_mov_b32 s17, exec_lo
	s_delay_alu instid0(VALU_DEP_1)
	v_cmpx_ne_u16_e32 0x80, v0
	s_cbranch_execz .LBB200_640
; %bb.635:                              ;   in Loop: Header=BB200_9 Depth=1
	v_mov_b64_e32 v[112:113], 0x7f800001
	v_and_b32_e32 v4, 0x7f, v2
	s_mov_b32 s18, exec_lo
	s_delay_alu instid0(VALU_DEP_1)
	v_cmpx_ne_u32_e32 0x7f, v4
	s_cbranch_execz .LBB200_639
; %bb.636:                              ;   in Loop: Header=BB200_9 Depth=1
	v_dual_lshrrev_b32 v3, 3, v4 :: v_dual_bitop2_b32 v26, 7, v2 bitop3:0x40
	s_mov_b32 s19, exec_lo
	v_cmpx_gt_u32_e32 8, v4
; %bb.637:                              ;   in Loop: Header=BB200_9 Depth=1
	s_delay_alu instid0(VALU_DEP_2) | instskip(NEXT) | instid1(VALU_DEP_1)
	v_clz_i32_u32_e32 v0, v26
	v_min_u32_e32 v0, 32, v0
	s_delay_alu instid0(VALU_DEP_1) | instskip(SKIP_1) | instid1(VALU_DEP_2)
	v_subrev_nc_u32_e32 v1, 28, v0
	v_sub_nc_u32_e32 v3, 29, v0
	v_lshlrev_b64_e32 v[4:5], v1, v[26:27]
	s_delay_alu instid0(VALU_DEP_1)
	v_and_b32_e32 v26, 7, v4
; %bb.638:                              ;   in Loop: Header=BB200_9 Depth=1
	s_or_b32 exec_lo, exec_lo, s19
	v_lshlrev_b32_e32 v0, 24, v2
	s_delay_alu instid0(VALU_DEP_2) | instskip(SKIP_1) | instid1(VALU_DEP_3)
	v_lshlrev_b32_e32 v1, 20, v26
	v_lshl_add_u32 v3, v3, 23, 0x3c000000
	v_and_b32_e32 v0, 0x80000000, v0
	s_delay_alu instid0(VALU_DEP_1) | instskip(NEXT) | instid1(VALU_DEP_1)
	v_or3_b32 v26, v1, v0, v3
	v_mov_b64_e32 v[112:113], v[26:27]
.LBB200_639:                            ;   in Loop: Header=BB200_9 Depth=1
	s_or_b32 exec_lo, exec_lo, s18
.LBB200_640:                            ;   in Loop: Header=BB200_9 Depth=1
	s_delay_alu instid0(SALU_CYCLE_1)
	s_or_b32 exec_lo, exec_lo, s17
.LBB200_641:                            ;   in Loop: Header=BB200_9 Depth=1
	s_delay_alu instid0(SALU_CYCLE_1) | instskip(SKIP_2) | instid1(VALU_DEP_1)
	s_or_b32 exec_lo, exec_lo, s11
	v_lshrrev_b16 v3, 8, v2
	s_mov_b32 s11, exec_lo
	v_cmpx_ne_u16_e32 0, v3
	s_cbranch_execz .LBB200_649
; %bb.642:                              ;   in Loop: Header=BB200_9 Depth=1
	v_mov_b64_e32 v[82:83], 0x8000000000000000
	s_mov_b32 s17, exec_lo
	v_cmpx_ne_u16_e32 0x80, v3
	s_cbranch_execz .LBB200_648
; %bb.643:                              ;   in Loop: Header=BB200_9 Depth=1
	v_and_b32_e32 v1, 0xffff, v3
	v_mov_b64_e32 v[82:83], 0x7f80000100000000
	s_mov_b32 s18, exec_lo
	s_delay_alu instid0(VALU_DEP_2) | instskip(NEXT) | instid1(VALU_DEP_1)
	v_and_b32_e32 v4, 0x7f, v1
	v_cmpx_ne_u32_e32 0x7f, v4
	s_cbranch_execz .LBB200_647
; %bb.644:                              ;   in Loop: Header=BB200_9 Depth=1
	v_dual_lshrrev_b32 v3, 3, v4 :: v_dual_bitop2_b32 v26, 7, v1 bitop3:0x40
	s_mov_b32 s19, exec_lo
	v_cmpx_gt_u32_e32 8, v4
; %bb.645:                              ;   in Loop: Header=BB200_9 Depth=1
	s_delay_alu instid0(VALU_DEP_2) | instskip(NEXT) | instid1(VALU_DEP_1)
	v_clz_i32_u32_e32 v0, v26
	v_min_u32_e32 v0, 32, v0
	s_delay_alu instid0(VALU_DEP_1) | instskip(SKIP_1) | instid1(VALU_DEP_2)
	v_subrev_nc_u32_e32 v1, 28, v0
	v_sub_nc_u32_e32 v3, 29, v0
	v_lshlrev_b64_e32 v[4:5], v1, v[26:27]
	s_delay_alu instid0(VALU_DEP_1)
	v_and_b32_e32 v26, 7, v4
; %bb.646:                              ;   in Loop: Header=BB200_9 Depth=1
	s_or_b32 exec_lo, exec_lo, s19
	v_dual_lshlrev_b32 v0, 16, v2 :: v_dual_mov_b32 v82, v27
	s_delay_alu instid0(VALU_DEP_2) | instskip(SKIP_1) | instid1(VALU_DEP_3)
	v_lshlrev_b32_e32 v1, 20, v26
	v_lshl_add_u32 v2, v3, 23, 0x3c000000
	v_and_b32_e32 v0, 0x80000000, v0
	s_delay_alu instid0(VALU_DEP_1)
	v_or3_b32 v83, v1, v0, v2
.LBB200_647:                            ;   in Loop: Header=BB200_9 Depth=1
	s_or_b32 exec_lo, exec_lo, s18
.LBB200_648:                            ;   in Loop: Header=BB200_9 Depth=1
	s_delay_alu instid0(SALU_CYCLE_1)
	s_or_b32 exec_lo, exec_lo, s17
.LBB200_649:                            ;   in Loop: Header=BB200_9 Depth=1
	s_delay_alu instid0(SALU_CYCLE_1)
	s_or_b32 exec_lo, exec_lo, s11
	flat_load_u16 v0, v[36:37] offset:2560
	v_mov_b64_e32 v[86:87], 0
	v_mov_b64_e32 v[116:117], 0
	s_mov_b32 s11, exec_lo
	s_wait_loadcnt_dscnt 0x0
	v_and_b32_e32 v2, 0xffff, v0
	v_and_b32_e32 v0, 0xff, v0
	s_wait_xcnt 0x0
	s_delay_alu instid0(VALU_DEP_1)
	v_cmpx_ne_u16_e32 0, v0
	s_cbranch_execz .LBB200_657
; %bb.650:                              ;   in Loop: Header=BB200_9 Depth=1
	v_mov_b64_e32 v[116:117], 0x80000000
	v_and_b32_e32 v0, 0xff, v2
	s_mov_b32 s17, exec_lo
	s_delay_alu instid0(VALU_DEP_1)
	v_cmpx_ne_u16_e32 0x80, v0
	s_cbranch_execz .LBB200_656
; %bb.651:                              ;   in Loop: Header=BB200_9 Depth=1
	v_mov_b64_e32 v[116:117], 0x7f800001
	v_and_b32_e32 v4, 0x7f, v2
	s_mov_b32 s18, exec_lo
	s_delay_alu instid0(VALU_DEP_1)
	v_cmpx_ne_u32_e32 0x7f, v4
	s_cbranch_execz .LBB200_655
; %bb.652:                              ;   in Loop: Header=BB200_9 Depth=1
	v_dual_lshrrev_b32 v3, 3, v4 :: v_dual_bitop2_b32 v26, 7, v2 bitop3:0x40
	s_mov_b32 s19, exec_lo
	v_cmpx_gt_u32_e32 8, v4
; %bb.653:                              ;   in Loop: Header=BB200_9 Depth=1
	s_delay_alu instid0(VALU_DEP_2) | instskip(NEXT) | instid1(VALU_DEP_1)
	v_clz_i32_u32_e32 v0, v26
	v_min_u32_e32 v0, 32, v0
	s_delay_alu instid0(VALU_DEP_1) | instskip(SKIP_1) | instid1(VALU_DEP_2)
	v_subrev_nc_u32_e32 v1, 28, v0
	v_sub_nc_u32_e32 v3, 29, v0
	v_lshlrev_b64_e32 v[4:5], v1, v[26:27]
	s_delay_alu instid0(VALU_DEP_1)
	v_and_b32_e32 v26, 7, v4
; %bb.654:                              ;   in Loop: Header=BB200_9 Depth=1
	s_or_b32 exec_lo, exec_lo, s19
	v_lshlrev_b32_e32 v0, 24, v2
	s_delay_alu instid0(VALU_DEP_2) | instskip(SKIP_1) | instid1(VALU_DEP_3)
	v_lshlrev_b32_e32 v1, 20, v26
	v_lshl_add_u32 v3, v3, 23, 0x3c000000
	v_and_b32_e32 v0, 0x80000000, v0
	s_delay_alu instid0(VALU_DEP_1) | instskip(NEXT) | instid1(VALU_DEP_1)
	v_or3_b32 v26, v1, v0, v3
	v_mov_b64_e32 v[116:117], v[26:27]
.LBB200_655:                            ;   in Loop: Header=BB200_9 Depth=1
	s_or_b32 exec_lo, exec_lo, s18
.LBB200_656:                            ;   in Loop: Header=BB200_9 Depth=1
	s_delay_alu instid0(SALU_CYCLE_1)
	s_or_b32 exec_lo, exec_lo, s17
.LBB200_657:                            ;   in Loop: Header=BB200_9 Depth=1
	s_delay_alu instid0(SALU_CYCLE_1) | instskip(SKIP_2) | instid1(VALU_DEP_1)
	s_or_b32 exec_lo, exec_lo, s11
	v_lshrrev_b16 v3, 8, v2
	s_mov_b32 s11, exec_lo
	v_cmpx_ne_u16_e32 0, v3
	s_cbranch_execz .LBB200_665
; %bb.658:                              ;   in Loop: Header=BB200_9 Depth=1
	v_mov_b64_e32 v[86:87], 0x8000000000000000
	s_mov_b32 s17, exec_lo
	v_cmpx_ne_u16_e32 0x80, v3
	s_cbranch_execz .LBB200_664
; %bb.659:                              ;   in Loop: Header=BB200_9 Depth=1
	v_and_b32_e32 v1, 0xffff, v3
	v_mov_b64_e32 v[86:87], 0x7f80000100000000
	s_mov_b32 s18, exec_lo
	s_delay_alu instid0(VALU_DEP_2) | instskip(NEXT) | instid1(VALU_DEP_1)
	v_and_b32_e32 v4, 0x7f, v1
	v_cmpx_ne_u32_e32 0x7f, v4
	s_cbranch_execz .LBB200_663
; %bb.660:                              ;   in Loop: Header=BB200_9 Depth=1
	v_dual_lshrrev_b32 v3, 3, v4 :: v_dual_bitop2_b32 v26, 7, v1 bitop3:0x40
	s_mov_b32 s19, exec_lo
	v_cmpx_gt_u32_e32 8, v4
; %bb.661:                              ;   in Loop: Header=BB200_9 Depth=1
	s_delay_alu instid0(VALU_DEP_2) | instskip(NEXT) | instid1(VALU_DEP_1)
	v_clz_i32_u32_e32 v0, v26
	v_min_u32_e32 v0, 32, v0
	s_delay_alu instid0(VALU_DEP_1) | instskip(SKIP_1) | instid1(VALU_DEP_2)
	v_subrev_nc_u32_e32 v1, 28, v0
	v_sub_nc_u32_e32 v3, 29, v0
	v_lshlrev_b64_e32 v[4:5], v1, v[26:27]
	s_delay_alu instid0(VALU_DEP_1)
	v_and_b32_e32 v26, 7, v4
; %bb.662:                              ;   in Loop: Header=BB200_9 Depth=1
	s_or_b32 exec_lo, exec_lo, s19
	v_dual_lshlrev_b32 v0, 16, v2 :: v_dual_mov_b32 v86, v27
	s_delay_alu instid0(VALU_DEP_2) | instskip(SKIP_1) | instid1(VALU_DEP_3)
	v_lshlrev_b32_e32 v1, 20, v26
	v_lshl_add_u32 v2, v3, 23, 0x3c000000
	v_and_b32_e32 v0, 0x80000000, v0
	s_delay_alu instid0(VALU_DEP_1)
	v_or3_b32 v87, v1, v0, v2
.LBB200_663:                            ;   in Loop: Header=BB200_9 Depth=1
	s_or_b32 exec_lo, exec_lo, s18
.LBB200_664:                            ;   in Loop: Header=BB200_9 Depth=1
	s_delay_alu instid0(SALU_CYCLE_1)
	s_or_b32 exec_lo, exec_lo, s17
.LBB200_665:                            ;   in Loop: Header=BB200_9 Depth=1
	s_delay_alu instid0(SALU_CYCLE_1)
	s_or_b32 exec_lo, exec_lo, s11
	flat_load_u16 v0, v[36:37] offset:2564
	v_mov_b64_e32 v[98:99], 0
	v_mov_b64_e32 v[40:41], 0
	s_mov_b32 s11, exec_lo
	s_wait_loadcnt_dscnt 0x0
	v_and_b32_e32 v2, 0xffff, v0
	v_and_b32_e32 v0, 0xff, v0
	s_wait_xcnt 0x0
	s_delay_alu instid0(VALU_DEP_1)
	v_cmpx_ne_u16_e32 0, v0
	s_cbranch_execz .LBB200_673
; %bb.666:                              ;   in Loop: Header=BB200_9 Depth=1
	v_mov_b64_e32 v[40:41], 0x80000000
	v_and_b32_e32 v0, 0xff, v2
	s_mov_b32 s17, exec_lo
	s_delay_alu instid0(VALU_DEP_1)
	v_cmpx_ne_u16_e32 0x80, v0
	s_cbranch_execz .LBB200_672
; %bb.667:                              ;   in Loop: Header=BB200_9 Depth=1
	v_mov_b64_e32 v[40:41], 0x7f800001
	v_and_b32_e32 v4, 0x7f, v2
	s_mov_b32 s18, exec_lo
	s_delay_alu instid0(VALU_DEP_1)
	v_cmpx_ne_u32_e32 0x7f, v4
	s_cbranch_execz .LBB200_671
; %bb.668:                              ;   in Loop: Header=BB200_9 Depth=1
	v_dual_lshrrev_b32 v3, 3, v4 :: v_dual_bitop2_b32 v26, 7, v2 bitop3:0x40
	s_mov_b32 s19, exec_lo
	v_cmpx_gt_u32_e32 8, v4
; %bb.669:                              ;   in Loop: Header=BB200_9 Depth=1
	s_delay_alu instid0(VALU_DEP_2) | instskip(NEXT) | instid1(VALU_DEP_1)
	v_clz_i32_u32_e32 v0, v26
	v_min_u32_e32 v0, 32, v0
	s_delay_alu instid0(VALU_DEP_1) | instskip(SKIP_1) | instid1(VALU_DEP_2)
	v_subrev_nc_u32_e32 v1, 28, v0
	v_sub_nc_u32_e32 v3, 29, v0
	v_lshlrev_b64_e32 v[4:5], v1, v[26:27]
	s_delay_alu instid0(VALU_DEP_1)
	v_and_b32_e32 v26, 7, v4
; %bb.670:                              ;   in Loop: Header=BB200_9 Depth=1
	s_or_b32 exec_lo, exec_lo, s19
	v_lshlrev_b32_e32 v0, 24, v2
	s_delay_alu instid0(VALU_DEP_2) | instskip(SKIP_1) | instid1(VALU_DEP_3)
	v_lshlrev_b32_e32 v1, 20, v26
	v_lshl_add_u32 v3, v3, 23, 0x3c000000
	v_and_b32_e32 v0, 0x80000000, v0
	s_delay_alu instid0(VALU_DEP_1) | instskip(NEXT) | instid1(VALU_DEP_1)
	v_or3_b32 v26, v1, v0, v3
	v_mov_b64_e32 v[40:41], v[26:27]
.LBB200_671:                            ;   in Loop: Header=BB200_9 Depth=1
	s_or_b32 exec_lo, exec_lo, s18
.LBB200_672:                            ;   in Loop: Header=BB200_9 Depth=1
	s_delay_alu instid0(SALU_CYCLE_1)
	s_or_b32 exec_lo, exec_lo, s17
.LBB200_673:                            ;   in Loop: Header=BB200_9 Depth=1
	s_delay_alu instid0(SALU_CYCLE_1) | instskip(SKIP_2) | instid1(VALU_DEP_1)
	s_or_b32 exec_lo, exec_lo, s11
	v_lshrrev_b16 v3, 8, v2
	s_mov_b32 s11, exec_lo
	v_cmpx_ne_u16_e32 0, v3
	s_cbranch_execz .LBB200_681
; %bb.674:                              ;   in Loop: Header=BB200_9 Depth=1
	v_mov_b64_e32 v[98:99], 0x8000000000000000
	s_mov_b32 s17, exec_lo
	v_cmpx_ne_u16_e32 0x80, v3
	s_cbranch_execz .LBB200_680
; %bb.675:                              ;   in Loop: Header=BB200_9 Depth=1
	v_and_b32_e32 v1, 0xffff, v3
	v_mov_b64_e32 v[98:99], 0x7f80000100000000
	s_mov_b32 s18, exec_lo
	s_delay_alu instid0(VALU_DEP_2) | instskip(NEXT) | instid1(VALU_DEP_1)
	v_and_b32_e32 v4, 0x7f, v1
	v_cmpx_ne_u32_e32 0x7f, v4
	s_cbranch_execz .LBB200_679
; %bb.676:                              ;   in Loop: Header=BB200_9 Depth=1
	v_dual_lshrrev_b32 v3, 3, v4 :: v_dual_bitop2_b32 v26, 7, v1 bitop3:0x40
	s_mov_b32 s19, exec_lo
	v_cmpx_gt_u32_e32 8, v4
; %bb.677:                              ;   in Loop: Header=BB200_9 Depth=1
	s_delay_alu instid0(VALU_DEP_2) | instskip(NEXT) | instid1(VALU_DEP_1)
	v_clz_i32_u32_e32 v0, v26
	v_min_u32_e32 v0, 32, v0
	s_delay_alu instid0(VALU_DEP_1) | instskip(SKIP_1) | instid1(VALU_DEP_2)
	v_subrev_nc_u32_e32 v1, 28, v0
	v_sub_nc_u32_e32 v3, 29, v0
	v_lshlrev_b64_e32 v[4:5], v1, v[26:27]
	s_delay_alu instid0(VALU_DEP_1)
	v_and_b32_e32 v26, 7, v4
; %bb.678:                              ;   in Loop: Header=BB200_9 Depth=1
	s_or_b32 exec_lo, exec_lo, s19
	v_dual_lshlrev_b32 v0, 16, v2 :: v_dual_mov_b32 v98, v27
	s_delay_alu instid0(VALU_DEP_2) | instskip(SKIP_1) | instid1(VALU_DEP_3)
	v_lshlrev_b32_e32 v1, 20, v26
	v_lshl_add_u32 v2, v3, 23, 0x3c000000
	v_and_b32_e32 v0, 0x80000000, v0
	s_delay_alu instid0(VALU_DEP_1)
	v_or3_b32 v99, v1, v0, v2
.LBB200_679:                            ;   in Loop: Header=BB200_9 Depth=1
	s_or_b32 exec_lo, exec_lo, s18
.LBB200_680:                            ;   in Loop: Header=BB200_9 Depth=1
	s_delay_alu instid0(SALU_CYCLE_1)
	s_or_b32 exec_lo, exec_lo, s17
.LBB200_681:                            ;   in Loop: Header=BB200_9 Depth=1
	s_delay_alu instid0(SALU_CYCLE_1)
	s_or_b32 exec_lo, exec_lo, s11
	flat_load_u16 v0, v[36:37] offset:2568
	v_mov_b64_e32 v[102:103], 0
	v_mov_b64_e32 v[44:45], 0
	s_mov_b32 s11, exec_lo
	s_wait_loadcnt_dscnt 0x0
	v_and_b32_e32 v2, 0xffff, v0
	v_and_b32_e32 v0, 0xff, v0
	s_wait_xcnt 0x0
	s_delay_alu instid0(VALU_DEP_1)
	v_cmpx_ne_u16_e32 0, v0
	s_cbranch_execz .LBB200_689
; %bb.682:                              ;   in Loop: Header=BB200_9 Depth=1
	v_mov_b64_e32 v[44:45], 0x80000000
	v_and_b32_e32 v0, 0xff, v2
	s_mov_b32 s17, exec_lo
	s_delay_alu instid0(VALU_DEP_1)
	v_cmpx_ne_u16_e32 0x80, v0
	s_cbranch_execz .LBB200_688
; %bb.683:                              ;   in Loop: Header=BB200_9 Depth=1
	v_mov_b64_e32 v[44:45], 0x7f800001
	v_and_b32_e32 v4, 0x7f, v2
	s_mov_b32 s18, exec_lo
	s_delay_alu instid0(VALU_DEP_1)
	v_cmpx_ne_u32_e32 0x7f, v4
	s_cbranch_execz .LBB200_687
; %bb.684:                              ;   in Loop: Header=BB200_9 Depth=1
	v_dual_lshrrev_b32 v3, 3, v4 :: v_dual_bitop2_b32 v26, 7, v2 bitop3:0x40
	s_mov_b32 s19, exec_lo
	v_cmpx_gt_u32_e32 8, v4
; %bb.685:                              ;   in Loop: Header=BB200_9 Depth=1
	s_delay_alu instid0(VALU_DEP_2) | instskip(NEXT) | instid1(VALU_DEP_1)
	v_clz_i32_u32_e32 v0, v26
	v_min_u32_e32 v0, 32, v0
	s_delay_alu instid0(VALU_DEP_1) | instskip(SKIP_1) | instid1(VALU_DEP_2)
	v_subrev_nc_u32_e32 v1, 28, v0
	v_sub_nc_u32_e32 v3, 29, v0
	v_lshlrev_b64_e32 v[4:5], v1, v[26:27]
	s_delay_alu instid0(VALU_DEP_1)
	v_and_b32_e32 v26, 7, v4
; %bb.686:                              ;   in Loop: Header=BB200_9 Depth=1
	s_or_b32 exec_lo, exec_lo, s19
	v_lshlrev_b32_e32 v0, 24, v2
	s_delay_alu instid0(VALU_DEP_2) | instskip(SKIP_1) | instid1(VALU_DEP_3)
	v_lshlrev_b32_e32 v1, 20, v26
	v_lshl_add_u32 v3, v3, 23, 0x3c000000
	v_and_b32_e32 v0, 0x80000000, v0
	s_delay_alu instid0(VALU_DEP_1) | instskip(NEXT) | instid1(VALU_DEP_1)
	v_or3_b32 v26, v1, v0, v3
	v_mov_b64_e32 v[44:45], v[26:27]
.LBB200_687:                            ;   in Loop: Header=BB200_9 Depth=1
	s_or_b32 exec_lo, exec_lo, s18
.LBB200_688:                            ;   in Loop: Header=BB200_9 Depth=1
	s_delay_alu instid0(SALU_CYCLE_1)
	s_or_b32 exec_lo, exec_lo, s17
.LBB200_689:                            ;   in Loop: Header=BB200_9 Depth=1
	s_delay_alu instid0(SALU_CYCLE_1) | instskip(SKIP_2) | instid1(VALU_DEP_1)
	s_or_b32 exec_lo, exec_lo, s11
	v_lshrrev_b16 v3, 8, v2
	s_mov_b32 s11, exec_lo
	v_cmpx_ne_u16_e32 0, v3
	s_cbranch_execz .LBB200_697
; %bb.690:                              ;   in Loop: Header=BB200_9 Depth=1
	v_mov_b64_e32 v[102:103], 0x8000000000000000
	s_mov_b32 s17, exec_lo
	v_cmpx_ne_u16_e32 0x80, v3
	s_cbranch_execz .LBB200_696
; %bb.691:                              ;   in Loop: Header=BB200_9 Depth=1
	v_and_b32_e32 v1, 0xffff, v3
	v_mov_b64_e32 v[102:103], 0x7f80000100000000
	s_mov_b32 s18, exec_lo
	s_delay_alu instid0(VALU_DEP_2) | instskip(NEXT) | instid1(VALU_DEP_1)
	v_and_b32_e32 v4, 0x7f, v1
	v_cmpx_ne_u32_e32 0x7f, v4
	s_cbranch_execz .LBB200_695
; %bb.692:                              ;   in Loop: Header=BB200_9 Depth=1
	v_dual_lshrrev_b32 v3, 3, v4 :: v_dual_bitop2_b32 v26, 7, v1 bitop3:0x40
	s_mov_b32 s19, exec_lo
	v_cmpx_gt_u32_e32 8, v4
; %bb.693:                              ;   in Loop: Header=BB200_9 Depth=1
	s_delay_alu instid0(VALU_DEP_2) | instskip(NEXT) | instid1(VALU_DEP_1)
	v_clz_i32_u32_e32 v0, v26
	v_min_u32_e32 v0, 32, v0
	s_delay_alu instid0(VALU_DEP_1) | instskip(SKIP_1) | instid1(VALU_DEP_2)
	v_subrev_nc_u32_e32 v1, 28, v0
	v_sub_nc_u32_e32 v3, 29, v0
	v_lshlrev_b64_e32 v[4:5], v1, v[26:27]
	s_delay_alu instid0(VALU_DEP_1)
	v_and_b32_e32 v26, 7, v4
; %bb.694:                              ;   in Loop: Header=BB200_9 Depth=1
	s_or_b32 exec_lo, exec_lo, s19
	v_dual_lshlrev_b32 v0, 16, v2 :: v_dual_mov_b32 v102, v27
	s_delay_alu instid0(VALU_DEP_2) | instskip(SKIP_1) | instid1(VALU_DEP_3)
	v_lshlrev_b32_e32 v1, 20, v26
	v_lshl_add_u32 v2, v3, 23, 0x3c000000
	v_and_b32_e32 v0, 0x80000000, v0
	s_delay_alu instid0(VALU_DEP_1)
	v_or3_b32 v103, v1, v0, v2
.LBB200_695:                            ;   in Loop: Header=BB200_9 Depth=1
	s_or_b32 exec_lo, exec_lo, s18
.LBB200_696:                            ;   in Loop: Header=BB200_9 Depth=1
	s_delay_alu instid0(SALU_CYCLE_1)
	s_or_b32 exec_lo, exec_lo, s17
.LBB200_697:                            ;   in Loop: Header=BB200_9 Depth=1
	s_delay_alu instid0(SALU_CYCLE_1)
	s_or_b32 exec_lo, exec_lo, s11
	flat_load_u16 v0, v[36:37] offset:2572
	v_mov_b64_e32 v[114:115], 0
	v_mov_b64_e32 v[56:57], 0
	s_mov_b32 s11, exec_lo
	s_wait_loadcnt_dscnt 0x0
	v_and_b32_e32 v2, 0xffff, v0
	v_and_b32_e32 v0, 0xff, v0
	s_wait_xcnt 0x0
	s_delay_alu instid0(VALU_DEP_1)
	v_cmpx_ne_u16_e32 0, v0
	s_cbranch_execz .LBB200_705
; %bb.698:                              ;   in Loop: Header=BB200_9 Depth=1
	v_mov_b64_e32 v[56:57], 0x80000000
	v_and_b32_e32 v0, 0xff, v2
	s_mov_b32 s17, exec_lo
	s_delay_alu instid0(VALU_DEP_1)
	v_cmpx_ne_u16_e32 0x80, v0
	s_cbranch_execz .LBB200_704
; %bb.699:                              ;   in Loop: Header=BB200_9 Depth=1
	v_mov_b64_e32 v[56:57], 0x7f800001
	v_and_b32_e32 v4, 0x7f, v2
	s_mov_b32 s18, exec_lo
	s_delay_alu instid0(VALU_DEP_1)
	v_cmpx_ne_u32_e32 0x7f, v4
	s_cbranch_execz .LBB200_703
; %bb.700:                              ;   in Loop: Header=BB200_9 Depth=1
	v_dual_lshrrev_b32 v3, 3, v4 :: v_dual_bitop2_b32 v26, 7, v2 bitop3:0x40
	s_mov_b32 s19, exec_lo
	v_cmpx_gt_u32_e32 8, v4
; %bb.701:                              ;   in Loop: Header=BB200_9 Depth=1
	s_delay_alu instid0(VALU_DEP_2) | instskip(NEXT) | instid1(VALU_DEP_1)
	v_clz_i32_u32_e32 v0, v26
	v_min_u32_e32 v0, 32, v0
	s_delay_alu instid0(VALU_DEP_1) | instskip(SKIP_1) | instid1(VALU_DEP_2)
	v_subrev_nc_u32_e32 v1, 28, v0
	v_sub_nc_u32_e32 v3, 29, v0
	v_lshlrev_b64_e32 v[4:5], v1, v[26:27]
	s_delay_alu instid0(VALU_DEP_1)
	v_and_b32_e32 v26, 7, v4
; %bb.702:                              ;   in Loop: Header=BB200_9 Depth=1
	s_or_b32 exec_lo, exec_lo, s19
	v_lshlrev_b32_e32 v0, 24, v2
	s_delay_alu instid0(VALU_DEP_2) | instskip(SKIP_1) | instid1(VALU_DEP_3)
	v_lshlrev_b32_e32 v1, 20, v26
	v_lshl_add_u32 v3, v3, 23, 0x3c000000
	v_and_b32_e32 v0, 0x80000000, v0
	s_delay_alu instid0(VALU_DEP_1) | instskip(NEXT) | instid1(VALU_DEP_1)
	v_or3_b32 v26, v1, v0, v3
	v_mov_b64_e32 v[56:57], v[26:27]
.LBB200_703:                            ;   in Loop: Header=BB200_9 Depth=1
	s_or_b32 exec_lo, exec_lo, s18
.LBB200_704:                            ;   in Loop: Header=BB200_9 Depth=1
	s_delay_alu instid0(SALU_CYCLE_1)
	s_or_b32 exec_lo, exec_lo, s17
.LBB200_705:                            ;   in Loop: Header=BB200_9 Depth=1
	s_delay_alu instid0(SALU_CYCLE_1) | instskip(SKIP_2) | instid1(VALU_DEP_1)
	s_or_b32 exec_lo, exec_lo, s11
	v_lshrrev_b16 v3, 8, v2
	s_mov_b32 s11, exec_lo
	v_cmpx_ne_u16_e32 0, v3
	s_cbranch_execz .LBB200_713
; %bb.706:                              ;   in Loop: Header=BB200_9 Depth=1
	v_mov_b64_e32 v[114:115], 0x8000000000000000
	s_mov_b32 s17, exec_lo
	v_cmpx_ne_u16_e32 0x80, v3
	s_cbranch_execz .LBB200_712
; %bb.707:                              ;   in Loop: Header=BB200_9 Depth=1
	v_and_b32_e32 v1, 0xffff, v3
	v_mov_b64_e32 v[114:115], 0x7f80000100000000
	s_mov_b32 s18, exec_lo
	s_delay_alu instid0(VALU_DEP_2) | instskip(NEXT) | instid1(VALU_DEP_1)
	v_and_b32_e32 v4, 0x7f, v1
	v_cmpx_ne_u32_e32 0x7f, v4
	s_cbranch_execz .LBB200_711
; %bb.708:                              ;   in Loop: Header=BB200_9 Depth=1
	v_dual_lshrrev_b32 v3, 3, v4 :: v_dual_bitop2_b32 v26, 7, v1 bitop3:0x40
	s_mov_b32 s19, exec_lo
	v_cmpx_gt_u32_e32 8, v4
; %bb.709:                              ;   in Loop: Header=BB200_9 Depth=1
	s_delay_alu instid0(VALU_DEP_2) | instskip(NEXT) | instid1(VALU_DEP_1)
	v_clz_i32_u32_e32 v0, v26
	v_min_u32_e32 v0, 32, v0
	s_delay_alu instid0(VALU_DEP_1) | instskip(SKIP_1) | instid1(VALU_DEP_2)
	v_subrev_nc_u32_e32 v1, 28, v0
	v_sub_nc_u32_e32 v3, 29, v0
	v_lshlrev_b64_e32 v[4:5], v1, v[26:27]
	s_delay_alu instid0(VALU_DEP_1)
	v_and_b32_e32 v26, 7, v4
; %bb.710:                              ;   in Loop: Header=BB200_9 Depth=1
	s_or_b32 exec_lo, exec_lo, s19
	v_dual_lshlrev_b32 v0, 16, v2 :: v_dual_mov_b32 v114, v27
	s_delay_alu instid0(VALU_DEP_2) | instskip(SKIP_1) | instid1(VALU_DEP_3)
	v_lshlrev_b32_e32 v1, 20, v26
	v_lshl_add_u32 v2, v3, 23, 0x3c000000
	v_and_b32_e32 v0, 0x80000000, v0
	s_delay_alu instid0(VALU_DEP_1)
	v_or3_b32 v115, v1, v0, v2
.LBB200_711:                            ;   in Loop: Header=BB200_9 Depth=1
	s_or_b32 exec_lo, exec_lo, s18
.LBB200_712:                            ;   in Loop: Header=BB200_9 Depth=1
	s_delay_alu instid0(SALU_CYCLE_1)
	s_or_b32 exec_lo, exec_lo, s17
.LBB200_713:                            ;   in Loop: Header=BB200_9 Depth=1
	s_delay_alu instid0(SALU_CYCLE_1)
	s_or_b32 exec_lo, exec_lo, s11
	flat_load_u16 v0, v[36:37] offset:2816
	v_mov_b64_e32 v[118:119], 0
	v_mov_b64_e32 v[60:61], 0
	s_mov_b32 s11, exec_lo
	s_wait_loadcnt_dscnt 0x0
	v_and_b32_e32 v2, 0xffff, v0
	v_and_b32_e32 v0, 0xff, v0
	s_wait_xcnt 0x0
	s_delay_alu instid0(VALU_DEP_1)
	v_cmpx_ne_u16_e32 0, v0
	s_cbranch_execz .LBB200_721
; %bb.714:                              ;   in Loop: Header=BB200_9 Depth=1
	v_mov_b64_e32 v[60:61], 0x80000000
	v_and_b32_e32 v0, 0xff, v2
	s_mov_b32 s17, exec_lo
	s_delay_alu instid0(VALU_DEP_1)
	v_cmpx_ne_u16_e32 0x80, v0
	s_cbranch_execz .LBB200_720
; %bb.715:                              ;   in Loop: Header=BB200_9 Depth=1
	v_mov_b64_e32 v[60:61], 0x7f800001
	v_and_b32_e32 v4, 0x7f, v2
	s_mov_b32 s18, exec_lo
	s_delay_alu instid0(VALU_DEP_1)
	v_cmpx_ne_u32_e32 0x7f, v4
	s_cbranch_execz .LBB200_719
; %bb.716:                              ;   in Loop: Header=BB200_9 Depth=1
	v_dual_lshrrev_b32 v3, 3, v4 :: v_dual_bitop2_b32 v26, 7, v2 bitop3:0x40
	s_mov_b32 s19, exec_lo
	v_cmpx_gt_u32_e32 8, v4
; %bb.717:                              ;   in Loop: Header=BB200_9 Depth=1
	s_delay_alu instid0(VALU_DEP_2) | instskip(NEXT) | instid1(VALU_DEP_1)
	v_clz_i32_u32_e32 v0, v26
	v_min_u32_e32 v0, 32, v0
	s_delay_alu instid0(VALU_DEP_1) | instskip(SKIP_1) | instid1(VALU_DEP_2)
	v_subrev_nc_u32_e32 v1, 28, v0
	v_sub_nc_u32_e32 v3, 29, v0
	v_lshlrev_b64_e32 v[4:5], v1, v[26:27]
	s_delay_alu instid0(VALU_DEP_1)
	v_and_b32_e32 v26, 7, v4
; %bb.718:                              ;   in Loop: Header=BB200_9 Depth=1
	s_or_b32 exec_lo, exec_lo, s19
	v_lshlrev_b32_e32 v0, 24, v2
	s_delay_alu instid0(VALU_DEP_2) | instskip(SKIP_1) | instid1(VALU_DEP_3)
	v_lshlrev_b32_e32 v1, 20, v26
	v_lshl_add_u32 v3, v3, 23, 0x3c000000
	v_and_b32_e32 v0, 0x80000000, v0
	s_delay_alu instid0(VALU_DEP_1) | instskip(NEXT) | instid1(VALU_DEP_1)
	v_or3_b32 v26, v1, v0, v3
	v_mov_b64_e32 v[60:61], v[26:27]
.LBB200_719:                            ;   in Loop: Header=BB200_9 Depth=1
	s_or_b32 exec_lo, exec_lo, s18
.LBB200_720:                            ;   in Loop: Header=BB200_9 Depth=1
	s_delay_alu instid0(SALU_CYCLE_1)
	s_or_b32 exec_lo, exec_lo, s17
.LBB200_721:                            ;   in Loop: Header=BB200_9 Depth=1
	s_delay_alu instid0(SALU_CYCLE_1) | instskip(SKIP_2) | instid1(VALU_DEP_1)
	s_or_b32 exec_lo, exec_lo, s11
	v_lshrrev_b16 v3, 8, v2
	s_mov_b32 s11, exec_lo
	v_cmpx_ne_u16_e32 0, v3
	s_cbranch_execz .LBB200_729
; %bb.722:                              ;   in Loop: Header=BB200_9 Depth=1
	v_mov_b64_e32 v[118:119], 0x8000000000000000
	s_mov_b32 s17, exec_lo
	v_cmpx_ne_u16_e32 0x80, v3
	s_cbranch_execz .LBB200_728
; %bb.723:                              ;   in Loop: Header=BB200_9 Depth=1
	v_and_b32_e32 v1, 0xffff, v3
	v_mov_b64_e32 v[118:119], 0x7f80000100000000
	s_mov_b32 s18, exec_lo
	s_delay_alu instid0(VALU_DEP_2) | instskip(NEXT) | instid1(VALU_DEP_1)
	v_and_b32_e32 v4, 0x7f, v1
	v_cmpx_ne_u32_e32 0x7f, v4
	s_cbranch_execz .LBB200_727
; %bb.724:                              ;   in Loop: Header=BB200_9 Depth=1
	v_dual_lshrrev_b32 v3, 3, v4 :: v_dual_bitop2_b32 v26, 7, v1 bitop3:0x40
	s_mov_b32 s19, exec_lo
	v_cmpx_gt_u32_e32 8, v4
; %bb.725:                              ;   in Loop: Header=BB200_9 Depth=1
	s_delay_alu instid0(VALU_DEP_2) | instskip(NEXT) | instid1(VALU_DEP_1)
	v_clz_i32_u32_e32 v0, v26
	v_min_u32_e32 v0, 32, v0
	s_delay_alu instid0(VALU_DEP_1) | instskip(SKIP_1) | instid1(VALU_DEP_2)
	v_subrev_nc_u32_e32 v1, 28, v0
	v_sub_nc_u32_e32 v3, 29, v0
	v_lshlrev_b64_e32 v[4:5], v1, v[26:27]
	s_delay_alu instid0(VALU_DEP_1)
	v_and_b32_e32 v26, 7, v4
; %bb.726:                              ;   in Loop: Header=BB200_9 Depth=1
	s_or_b32 exec_lo, exec_lo, s19
	v_dual_lshlrev_b32 v0, 16, v2 :: v_dual_mov_b32 v118, v27
	s_delay_alu instid0(VALU_DEP_2) | instskip(SKIP_1) | instid1(VALU_DEP_3)
	v_lshlrev_b32_e32 v1, 20, v26
	v_lshl_add_u32 v2, v3, 23, 0x3c000000
	v_and_b32_e32 v0, 0x80000000, v0
	s_delay_alu instid0(VALU_DEP_1)
	v_or3_b32 v119, v1, v0, v2
.LBB200_727:                            ;   in Loop: Header=BB200_9 Depth=1
	s_or_b32 exec_lo, exec_lo, s18
.LBB200_728:                            ;   in Loop: Header=BB200_9 Depth=1
	s_delay_alu instid0(SALU_CYCLE_1)
	s_or_b32 exec_lo, exec_lo, s17
.LBB200_729:                            ;   in Loop: Header=BB200_9 Depth=1
	s_delay_alu instid0(SALU_CYCLE_1)
	s_or_b32 exec_lo, exec_lo, s11
	flat_load_u16 v0, v[36:37] offset:2820
	v_mov_b64_e32 v[42:43], 0
	v_mov_b64_e32 v[72:73], 0
	s_mov_b32 s11, exec_lo
	s_wait_loadcnt_dscnt 0x0
	v_and_b32_e32 v2, 0xffff, v0
	v_and_b32_e32 v0, 0xff, v0
	s_wait_xcnt 0x0
	s_delay_alu instid0(VALU_DEP_1)
	v_cmpx_ne_u16_e32 0, v0
	s_cbranch_execz .LBB200_737
; %bb.730:                              ;   in Loop: Header=BB200_9 Depth=1
	v_mov_b64_e32 v[72:73], 0x80000000
	v_and_b32_e32 v0, 0xff, v2
	s_mov_b32 s17, exec_lo
	s_delay_alu instid0(VALU_DEP_1)
	v_cmpx_ne_u16_e32 0x80, v0
	s_cbranch_execz .LBB200_736
; %bb.731:                              ;   in Loop: Header=BB200_9 Depth=1
	v_mov_b64_e32 v[72:73], 0x7f800001
	v_and_b32_e32 v4, 0x7f, v2
	s_mov_b32 s18, exec_lo
	s_delay_alu instid0(VALU_DEP_1)
	v_cmpx_ne_u32_e32 0x7f, v4
	s_cbranch_execz .LBB200_735
; %bb.732:                              ;   in Loop: Header=BB200_9 Depth=1
	v_dual_lshrrev_b32 v3, 3, v4 :: v_dual_bitop2_b32 v26, 7, v2 bitop3:0x40
	s_mov_b32 s19, exec_lo
	v_cmpx_gt_u32_e32 8, v4
; %bb.733:                              ;   in Loop: Header=BB200_9 Depth=1
	s_delay_alu instid0(VALU_DEP_2) | instskip(NEXT) | instid1(VALU_DEP_1)
	v_clz_i32_u32_e32 v0, v26
	v_min_u32_e32 v0, 32, v0
	s_delay_alu instid0(VALU_DEP_1) | instskip(SKIP_1) | instid1(VALU_DEP_2)
	v_subrev_nc_u32_e32 v1, 28, v0
	v_sub_nc_u32_e32 v3, 29, v0
	v_lshlrev_b64_e32 v[4:5], v1, v[26:27]
	s_delay_alu instid0(VALU_DEP_1)
	v_and_b32_e32 v26, 7, v4
; %bb.734:                              ;   in Loop: Header=BB200_9 Depth=1
	s_or_b32 exec_lo, exec_lo, s19
	v_lshlrev_b32_e32 v0, 24, v2
	s_delay_alu instid0(VALU_DEP_2) | instskip(SKIP_1) | instid1(VALU_DEP_3)
	v_lshlrev_b32_e32 v1, 20, v26
	v_lshl_add_u32 v3, v3, 23, 0x3c000000
	v_and_b32_e32 v0, 0x80000000, v0
	s_delay_alu instid0(VALU_DEP_1) | instskip(NEXT) | instid1(VALU_DEP_1)
	v_or3_b32 v26, v1, v0, v3
	v_mov_b64_e32 v[72:73], v[26:27]
.LBB200_735:                            ;   in Loop: Header=BB200_9 Depth=1
	s_or_b32 exec_lo, exec_lo, s18
.LBB200_736:                            ;   in Loop: Header=BB200_9 Depth=1
	s_delay_alu instid0(SALU_CYCLE_1)
	s_or_b32 exec_lo, exec_lo, s17
.LBB200_737:                            ;   in Loop: Header=BB200_9 Depth=1
	s_delay_alu instid0(SALU_CYCLE_1) | instskip(SKIP_2) | instid1(VALU_DEP_1)
	s_or_b32 exec_lo, exec_lo, s11
	v_lshrrev_b16 v3, 8, v2
	s_mov_b32 s11, exec_lo
	v_cmpx_ne_u16_e32 0, v3
	s_cbranch_execz .LBB200_745
; %bb.738:                              ;   in Loop: Header=BB200_9 Depth=1
	v_mov_b64_e32 v[42:43], 0x8000000000000000
	s_mov_b32 s17, exec_lo
	v_cmpx_ne_u16_e32 0x80, v3
	s_cbranch_execz .LBB200_744
; %bb.739:                              ;   in Loop: Header=BB200_9 Depth=1
	v_and_b32_e32 v1, 0xffff, v3
	v_mov_b64_e32 v[42:43], 0x7f80000100000000
	s_mov_b32 s18, exec_lo
	s_delay_alu instid0(VALU_DEP_2) | instskip(NEXT) | instid1(VALU_DEP_1)
	v_and_b32_e32 v4, 0x7f, v1
	v_cmpx_ne_u32_e32 0x7f, v4
	s_cbranch_execz .LBB200_743
; %bb.740:                              ;   in Loop: Header=BB200_9 Depth=1
	v_dual_lshrrev_b32 v3, 3, v4 :: v_dual_bitop2_b32 v26, 7, v1 bitop3:0x40
	s_mov_b32 s19, exec_lo
	v_cmpx_gt_u32_e32 8, v4
; %bb.741:                              ;   in Loop: Header=BB200_9 Depth=1
	s_delay_alu instid0(VALU_DEP_2) | instskip(NEXT) | instid1(VALU_DEP_1)
	v_clz_i32_u32_e32 v0, v26
	v_min_u32_e32 v0, 32, v0
	s_delay_alu instid0(VALU_DEP_1) | instskip(SKIP_1) | instid1(VALU_DEP_2)
	v_subrev_nc_u32_e32 v1, 28, v0
	v_sub_nc_u32_e32 v3, 29, v0
	v_lshlrev_b64_e32 v[4:5], v1, v[26:27]
	s_delay_alu instid0(VALU_DEP_1)
	v_and_b32_e32 v26, 7, v4
; %bb.742:                              ;   in Loop: Header=BB200_9 Depth=1
	s_or_b32 exec_lo, exec_lo, s19
	v_dual_lshlrev_b32 v0, 16, v2 :: v_dual_mov_b32 v42, v27
	s_delay_alu instid0(VALU_DEP_2) | instskip(SKIP_1) | instid1(VALU_DEP_3)
	v_lshlrev_b32_e32 v1, 20, v26
	v_lshl_add_u32 v2, v3, 23, 0x3c000000
	v_and_b32_e32 v0, 0x80000000, v0
	s_delay_alu instid0(VALU_DEP_1)
	v_or3_b32 v43, v1, v0, v2
.LBB200_743:                            ;   in Loop: Header=BB200_9 Depth=1
	s_or_b32 exec_lo, exec_lo, s18
.LBB200_744:                            ;   in Loop: Header=BB200_9 Depth=1
	s_delay_alu instid0(SALU_CYCLE_1)
	s_or_b32 exec_lo, exec_lo, s17
.LBB200_745:                            ;   in Loop: Header=BB200_9 Depth=1
	s_delay_alu instid0(SALU_CYCLE_1)
	s_or_b32 exec_lo, exec_lo, s11
	flat_load_u16 v0, v[36:37] offset:2824
	v_mov_b64_e32 v[46:47], 0
	v_mov_b64_e32 v[76:77], 0
	s_mov_b32 s11, exec_lo
	s_wait_loadcnt_dscnt 0x0
	v_and_b32_e32 v2, 0xffff, v0
	v_and_b32_e32 v0, 0xff, v0
	s_wait_xcnt 0x0
	s_delay_alu instid0(VALU_DEP_1)
	v_cmpx_ne_u16_e32 0, v0
	s_cbranch_execz .LBB200_753
; %bb.746:                              ;   in Loop: Header=BB200_9 Depth=1
	v_mov_b64_e32 v[76:77], 0x80000000
	v_and_b32_e32 v0, 0xff, v2
	s_mov_b32 s17, exec_lo
	s_delay_alu instid0(VALU_DEP_1)
	v_cmpx_ne_u16_e32 0x80, v0
	s_cbranch_execz .LBB200_752
; %bb.747:                              ;   in Loop: Header=BB200_9 Depth=1
	v_mov_b64_e32 v[76:77], 0x7f800001
	v_and_b32_e32 v4, 0x7f, v2
	s_mov_b32 s18, exec_lo
	s_delay_alu instid0(VALU_DEP_1)
	v_cmpx_ne_u32_e32 0x7f, v4
	s_cbranch_execz .LBB200_751
; %bb.748:                              ;   in Loop: Header=BB200_9 Depth=1
	v_dual_lshrrev_b32 v3, 3, v4 :: v_dual_bitop2_b32 v26, 7, v2 bitop3:0x40
	s_mov_b32 s19, exec_lo
	v_cmpx_gt_u32_e32 8, v4
; %bb.749:                              ;   in Loop: Header=BB200_9 Depth=1
	s_delay_alu instid0(VALU_DEP_2) | instskip(NEXT) | instid1(VALU_DEP_1)
	v_clz_i32_u32_e32 v0, v26
	v_min_u32_e32 v0, 32, v0
	s_delay_alu instid0(VALU_DEP_1) | instskip(SKIP_1) | instid1(VALU_DEP_2)
	v_subrev_nc_u32_e32 v1, 28, v0
	v_sub_nc_u32_e32 v3, 29, v0
	v_lshlrev_b64_e32 v[4:5], v1, v[26:27]
	s_delay_alu instid0(VALU_DEP_1)
	v_and_b32_e32 v26, 7, v4
; %bb.750:                              ;   in Loop: Header=BB200_9 Depth=1
	s_or_b32 exec_lo, exec_lo, s19
	v_lshlrev_b32_e32 v0, 24, v2
	s_delay_alu instid0(VALU_DEP_2) | instskip(SKIP_1) | instid1(VALU_DEP_3)
	v_lshlrev_b32_e32 v1, 20, v26
	v_lshl_add_u32 v3, v3, 23, 0x3c000000
	v_and_b32_e32 v0, 0x80000000, v0
	s_delay_alu instid0(VALU_DEP_1) | instskip(NEXT) | instid1(VALU_DEP_1)
	v_or3_b32 v26, v1, v0, v3
	v_mov_b64_e32 v[76:77], v[26:27]
.LBB200_751:                            ;   in Loop: Header=BB200_9 Depth=1
	s_or_b32 exec_lo, exec_lo, s18
.LBB200_752:                            ;   in Loop: Header=BB200_9 Depth=1
	s_delay_alu instid0(SALU_CYCLE_1)
	s_or_b32 exec_lo, exec_lo, s17
.LBB200_753:                            ;   in Loop: Header=BB200_9 Depth=1
	s_delay_alu instid0(SALU_CYCLE_1) | instskip(SKIP_2) | instid1(VALU_DEP_1)
	s_or_b32 exec_lo, exec_lo, s11
	v_lshrrev_b16 v3, 8, v2
	s_mov_b32 s11, exec_lo
	v_cmpx_ne_u16_e32 0, v3
	s_cbranch_execz .LBB200_761
; %bb.754:                              ;   in Loop: Header=BB200_9 Depth=1
	v_mov_b64_e32 v[46:47], 0x8000000000000000
	s_mov_b32 s17, exec_lo
	v_cmpx_ne_u16_e32 0x80, v3
	s_cbranch_execz .LBB200_760
; %bb.755:                              ;   in Loop: Header=BB200_9 Depth=1
	v_and_b32_e32 v1, 0xffff, v3
	v_mov_b64_e32 v[46:47], 0x7f80000100000000
	s_mov_b32 s18, exec_lo
	s_delay_alu instid0(VALU_DEP_2) | instskip(NEXT) | instid1(VALU_DEP_1)
	v_and_b32_e32 v4, 0x7f, v1
	v_cmpx_ne_u32_e32 0x7f, v4
	s_cbranch_execz .LBB200_759
; %bb.756:                              ;   in Loop: Header=BB200_9 Depth=1
	v_dual_lshrrev_b32 v3, 3, v4 :: v_dual_bitop2_b32 v26, 7, v1 bitop3:0x40
	s_mov_b32 s19, exec_lo
	v_cmpx_gt_u32_e32 8, v4
; %bb.757:                              ;   in Loop: Header=BB200_9 Depth=1
	s_delay_alu instid0(VALU_DEP_2) | instskip(NEXT) | instid1(VALU_DEP_1)
	v_clz_i32_u32_e32 v0, v26
	v_min_u32_e32 v0, 32, v0
	s_delay_alu instid0(VALU_DEP_1) | instskip(SKIP_1) | instid1(VALU_DEP_2)
	v_subrev_nc_u32_e32 v1, 28, v0
	v_sub_nc_u32_e32 v3, 29, v0
	v_lshlrev_b64_e32 v[4:5], v1, v[26:27]
	s_delay_alu instid0(VALU_DEP_1)
	v_and_b32_e32 v26, 7, v4
; %bb.758:                              ;   in Loop: Header=BB200_9 Depth=1
	s_or_b32 exec_lo, exec_lo, s19
	v_dual_lshlrev_b32 v0, 16, v2 :: v_dual_mov_b32 v46, v27
	s_delay_alu instid0(VALU_DEP_2) | instskip(SKIP_1) | instid1(VALU_DEP_3)
	v_lshlrev_b32_e32 v1, 20, v26
	v_lshl_add_u32 v2, v3, 23, 0x3c000000
	v_and_b32_e32 v0, 0x80000000, v0
	s_delay_alu instid0(VALU_DEP_1)
	v_or3_b32 v47, v1, v0, v2
.LBB200_759:                            ;   in Loop: Header=BB200_9 Depth=1
	s_or_b32 exec_lo, exec_lo, s18
.LBB200_760:                            ;   in Loop: Header=BB200_9 Depth=1
	s_delay_alu instid0(SALU_CYCLE_1)
	s_or_b32 exec_lo, exec_lo, s17
.LBB200_761:                            ;   in Loop: Header=BB200_9 Depth=1
	s_delay_alu instid0(SALU_CYCLE_1)
	s_or_b32 exec_lo, exec_lo, s11
	flat_load_u16 v0, v[36:37] offset:2828
	v_mov_b64_e32 v[58:59], 0
	v_mov_b64_e32 v[88:89], 0
	s_mov_b32 s11, exec_lo
	s_wait_loadcnt_dscnt 0x0
	v_and_b32_e32 v2, 0xffff, v0
	v_and_b32_e32 v0, 0xff, v0
	s_wait_xcnt 0x0
	s_delay_alu instid0(VALU_DEP_1)
	v_cmpx_ne_u16_e32 0, v0
	s_cbranch_execz .LBB200_769
; %bb.762:                              ;   in Loop: Header=BB200_9 Depth=1
	v_mov_b64_e32 v[88:89], 0x80000000
	v_and_b32_e32 v0, 0xff, v2
	s_mov_b32 s17, exec_lo
	s_delay_alu instid0(VALU_DEP_1)
	v_cmpx_ne_u16_e32 0x80, v0
	s_cbranch_execz .LBB200_768
; %bb.763:                              ;   in Loop: Header=BB200_9 Depth=1
	v_mov_b64_e32 v[88:89], 0x7f800001
	v_and_b32_e32 v4, 0x7f, v2
	s_mov_b32 s18, exec_lo
	s_delay_alu instid0(VALU_DEP_1)
	v_cmpx_ne_u32_e32 0x7f, v4
	s_cbranch_execz .LBB200_767
; %bb.764:                              ;   in Loop: Header=BB200_9 Depth=1
	v_dual_lshrrev_b32 v3, 3, v4 :: v_dual_bitop2_b32 v26, 7, v2 bitop3:0x40
	s_mov_b32 s19, exec_lo
	v_cmpx_gt_u32_e32 8, v4
; %bb.765:                              ;   in Loop: Header=BB200_9 Depth=1
	s_delay_alu instid0(VALU_DEP_2) | instskip(NEXT) | instid1(VALU_DEP_1)
	v_clz_i32_u32_e32 v0, v26
	v_min_u32_e32 v0, 32, v0
	s_delay_alu instid0(VALU_DEP_1) | instskip(SKIP_1) | instid1(VALU_DEP_2)
	v_subrev_nc_u32_e32 v1, 28, v0
	v_sub_nc_u32_e32 v3, 29, v0
	v_lshlrev_b64_e32 v[4:5], v1, v[26:27]
	s_delay_alu instid0(VALU_DEP_1)
	v_and_b32_e32 v26, 7, v4
; %bb.766:                              ;   in Loop: Header=BB200_9 Depth=1
	s_or_b32 exec_lo, exec_lo, s19
	v_lshlrev_b32_e32 v0, 24, v2
	s_delay_alu instid0(VALU_DEP_2) | instskip(SKIP_1) | instid1(VALU_DEP_3)
	v_lshlrev_b32_e32 v1, 20, v26
	v_lshl_add_u32 v3, v3, 23, 0x3c000000
	v_and_b32_e32 v0, 0x80000000, v0
	s_delay_alu instid0(VALU_DEP_1) | instskip(NEXT) | instid1(VALU_DEP_1)
	v_or3_b32 v26, v1, v0, v3
	v_mov_b64_e32 v[88:89], v[26:27]
.LBB200_767:                            ;   in Loop: Header=BB200_9 Depth=1
	s_or_b32 exec_lo, exec_lo, s18
.LBB200_768:                            ;   in Loop: Header=BB200_9 Depth=1
	s_delay_alu instid0(SALU_CYCLE_1)
	s_or_b32 exec_lo, exec_lo, s17
.LBB200_769:                            ;   in Loop: Header=BB200_9 Depth=1
	s_delay_alu instid0(SALU_CYCLE_1) | instskip(SKIP_2) | instid1(VALU_DEP_1)
	s_or_b32 exec_lo, exec_lo, s11
	v_lshrrev_b16 v3, 8, v2
	s_mov_b32 s11, exec_lo
	v_cmpx_ne_u16_e32 0, v3
	s_cbranch_execz .LBB200_777
; %bb.770:                              ;   in Loop: Header=BB200_9 Depth=1
	v_mov_b64_e32 v[58:59], 0x8000000000000000
	s_mov_b32 s17, exec_lo
	v_cmpx_ne_u16_e32 0x80, v3
	s_cbranch_execz .LBB200_776
; %bb.771:                              ;   in Loop: Header=BB200_9 Depth=1
	v_and_b32_e32 v1, 0xffff, v3
	v_mov_b64_e32 v[58:59], 0x7f80000100000000
	s_mov_b32 s18, exec_lo
	s_delay_alu instid0(VALU_DEP_2) | instskip(NEXT) | instid1(VALU_DEP_1)
	v_and_b32_e32 v4, 0x7f, v1
	v_cmpx_ne_u32_e32 0x7f, v4
	s_cbranch_execz .LBB200_775
; %bb.772:                              ;   in Loop: Header=BB200_9 Depth=1
	v_dual_lshrrev_b32 v3, 3, v4 :: v_dual_bitop2_b32 v26, 7, v1 bitop3:0x40
	s_mov_b32 s19, exec_lo
	v_cmpx_gt_u32_e32 8, v4
; %bb.773:                              ;   in Loop: Header=BB200_9 Depth=1
	s_delay_alu instid0(VALU_DEP_2) | instskip(NEXT) | instid1(VALU_DEP_1)
	v_clz_i32_u32_e32 v0, v26
	v_min_u32_e32 v0, 32, v0
	s_delay_alu instid0(VALU_DEP_1) | instskip(SKIP_1) | instid1(VALU_DEP_2)
	v_subrev_nc_u32_e32 v1, 28, v0
	v_sub_nc_u32_e32 v3, 29, v0
	v_lshlrev_b64_e32 v[4:5], v1, v[26:27]
	s_delay_alu instid0(VALU_DEP_1)
	v_and_b32_e32 v26, 7, v4
; %bb.774:                              ;   in Loop: Header=BB200_9 Depth=1
	s_or_b32 exec_lo, exec_lo, s19
	v_dual_lshlrev_b32 v0, 16, v2 :: v_dual_mov_b32 v58, v27
	s_delay_alu instid0(VALU_DEP_2) | instskip(SKIP_1) | instid1(VALU_DEP_3)
	v_lshlrev_b32_e32 v1, 20, v26
	v_lshl_add_u32 v2, v3, 23, 0x3c000000
	v_and_b32_e32 v0, 0x80000000, v0
	s_delay_alu instid0(VALU_DEP_1)
	v_or3_b32 v59, v1, v0, v2
.LBB200_775:                            ;   in Loop: Header=BB200_9 Depth=1
	s_or_b32 exec_lo, exec_lo, s18
.LBB200_776:                            ;   in Loop: Header=BB200_9 Depth=1
	s_delay_alu instid0(SALU_CYCLE_1)
	s_or_b32 exec_lo, exec_lo, s17
.LBB200_777:                            ;   in Loop: Header=BB200_9 Depth=1
	s_delay_alu instid0(SALU_CYCLE_1)
	s_or_b32 exec_lo, exec_lo, s11
	flat_load_u16 v0, v[36:37] offset:3072
	v_mov_b64_e32 v[62:63], 0
	v_mov_b64_e32 v[92:93], 0
	s_mov_b32 s11, exec_lo
	s_wait_loadcnt_dscnt 0x0
	v_and_b32_e32 v2, 0xffff, v0
	v_and_b32_e32 v0, 0xff, v0
	s_wait_xcnt 0x0
	s_delay_alu instid0(VALU_DEP_1)
	v_cmpx_ne_u16_e32 0, v0
	s_cbranch_execz .LBB200_785
; %bb.778:                              ;   in Loop: Header=BB200_9 Depth=1
	v_mov_b64_e32 v[92:93], 0x80000000
	v_and_b32_e32 v0, 0xff, v2
	s_mov_b32 s17, exec_lo
	s_delay_alu instid0(VALU_DEP_1)
	v_cmpx_ne_u16_e32 0x80, v0
	s_cbranch_execz .LBB200_784
; %bb.779:                              ;   in Loop: Header=BB200_9 Depth=1
	v_mov_b64_e32 v[92:93], 0x7f800001
	v_and_b32_e32 v4, 0x7f, v2
	s_mov_b32 s18, exec_lo
	s_delay_alu instid0(VALU_DEP_1)
	v_cmpx_ne_u32_e32 0x7f, v4
	s_cbranch_execz .LBB200_783
; %bb.780:                              ;   in Loop: Header=BB200_9 Depth=1
	v_dual_lshrrev_b32 v3, 3, v4 :: v_dual_bitop2_b32 v26, 7, v2 bitop3:0x40
	s_mov_b32 s19, exec_lo
	v_cmpx_gt_u32_e32 8, v4
; %bb.781:                              ;   in Loop: Header=BB200_9 Depth=1
	s_delay_alu instid0(VALU_DEP_2) | instskip(NEXT) | instid1(VALU_DEP_1)
	v_clz_i32_u32_e32 v0, v26
	v_min_u32_e32 v0, 32, v0
	s_delay_alu instid0(VALU_DEP_1) | instskip(SKIP_1) | instid1(VALU_DEP_2)
	v_subrev_nc_u32_e32 v1, 28, v0
	v_sub_nc_u32_e32 v3, 29, v0
	v_lshlrev_b64_e32 v[4:5], v1, v[26:27]
	s_delay_alu instid0(VALU_DEP_1)
	v_and_b32_e32 v26, 7, v4
; %bb.782:                              ;   in Loop: Header=BB200_9 Depth=1
	s_or_b32 exec_lo, exec_lo, s19
	v_lshlrev_b32_e32 v0, 24, v2
	s_delay_alu instid0(VALU_DEP_2) | instskip(SKIP_1) | instid1(VALU_DEP_3)
	v_lshlrev_b32_e32 v1, 20, v26
	v_lshl_add_u32 v3, v3, 23, 0x3c000000
	v_and_b32_e32 v0, 0x80000000, v0
	s_delay_alu instid0(VALU_DEP_1) | instskip(NEXT) | instid1(VALU_DEP_1)
	v_or3_b32 v26, v1, v0, v3
	v_mov_b64_e32 v[92:93], v[26:27]
.LBB200_783:                            ;   in Loop: Header=BB200_9 Depth=1
	s_or_b32 exec_lo, exec_lo, s18
.LBB200_784:                            ;   in Loop: Header=BB200_9 Depth=1
	s_delay_alu instid0(SALU_CYCLE_1)
	s_or_b32 exec_lo, exec_lo, s17
.LBB200_785:                            ;   in Loop: Header=BB200_9 Depth=1
	s_delay_alu instid0(SALU_CYCLE_1) | instskip(SKIP_2) | instid1(VALU_DEP_1)
	s_or_b32 exec_lo, exec_lo, s11
	v_lshrrev_b16 v3, 8, v2
	s_mov_b32 s11, exec_lo
	v_cmpx_ne_u16_e32 0, v3
	s_cbranch_execz .LBB200_793
; %bb.786:                              ;   in Loop: Header=BB200_9 Depth=1
	v_mov_b64_e32 v[62:63], 0x8000000000000000
	s_mov_b32 s17, exec_lo
	v_cmpx_ne_u16_e32 0x80, v3
	s_cbranch_execz .LBB200_792
; %bb.787:                              ;   in Loop: Header=BB200_9 Depth=1
	v_and_b32_e32 v1, 0xffff, v3
	v_mov_b64_e32 v[62:63], 0x7f80000100000000
	s_mov_b32 s18, exec_lo
	s_delay_alu instid0(VALU_DEP_2) | instskip(NEXT) | instid1(VALU_DEP_1)
	v_and_b32_e32 v4, 0x7f, v1
	v_cmpx_ne_u32_e32 0x7f, v4
	s_cbranch_execz .LBB200_791
; %bb.788:                              ;   in Loop: Header=BB200_9 Depth=1
	v_dual_lshrrev_b32 v3, 3, v4 :: v_dual_bitop2_b32 v26, 7, v1 bitop3:0x40
	s_mov_b32 s19, exec_lo
	v_cmpx_gt_u32_e32 8, v4
; %bb.789:                              ;   in Loop: Header=BB200_9 Depth=1
	s_delay_alu instid0(VALU_DEP_2) | instskip(NEXT) | instid1(VALU_DEP_1)
	v_clz_i32_u32_e32 v0, v26
	v_min_u32_e32 v0, 32, v0
	s_delay_alu instid0(VALU_DEP_1) | instskip(SKIP_1) | instid1(VALU_DEP_2)
	v_subrev_nc_u32_e32 v1, 28, v0
	v_sub_nc_u32_e32 v3, 29, v0
	v_lshlrev_b64_e32 v[4:5], v1, v[26:27]
	s_delay_alu instid0(VALU_DEP_1)
	v_and_b32_e32 v26, 7, v4
; %bb.790:                              ;   in Loop: Header=BB200_9 Depth=1
	s_or_b32 exec_lo, exec_lo, s19
	v_dual_lshlrev_b32 v0, 16, v2 :: v_dual_mov_b32 v62, v27
	s_delay_alu instid0(VALU_DEP_2) | instskip(SKIP_1) | instid1(VALU_DEP_3)
	v_lshlrev_b32_e32 v1, 20, v26
	v_lshl_add_u32 v2, v3, 23, 0x3c000000
	v_and_b32_e32 v0, 0x80000000, v0
	s_delay_alu instid0(VALU_DEP_1)
	v_or3_b32 v63, v1, v0, v2
.LBB200_791:                            ;   in Loop: Header=BB200_9 Depth=1
	s_or_b32 exec_lo, exec_lo, s18
.LBB200_792:                            ;   in Loop: Header=BB200_9 Depth=1
	s_delay_alu instid0(SALU_CYCLE_1)
	s_or_b32 exec_lo, exec_lo, s17
.LBB200_793:                            ;   in Loop: Header=BB200_9 Depth=1
	s_delay_alu instid0(SALU_CYCLE_1)
	s_or_b32 exec_lo, exec_lo, s11
	flat_load_u16 v0, v[36:37] offset:3076
	v_mov_b64_e32 v[74:75], 0
	v_mov_b64_e32 v[104:105], 0
	s_mov_b32 s11, exec_lo
	s_wait_loadcnt_dscnt 0x0
	v_and_b32_e32 v2, 0xffff, v0
	v_and_b32_e32 v0, 0xff, v0
	s_wait_xcnt 0x0
	s_delay_alu instid0(VALU_DEP_1)
	v_cmpx_ne_u16_e32 0, v0
	s_cbranch_execz .LBB200_801
; %bb.794:                              ;   in Loop: Header=BB200_9 Depth=1
	v_mov_b64_e32 v[104:105], 0x80000000
	v_and_b32_e32 v0, 0xff, v2
	s_mov_b32 s17, exec_lo
	s_delay_alu instid0(VALU_DEP_1)
	v_cmpx_ne_u16_e32 0x80, v0
	s_cbranch_execz .LBB200_800
; %bb.795:                              ;   in Loop: Header=BB200_9 Depth=1
	v_mov_b64_e32 v[104:105], 0x7f800001
	v_and_b32_e32 v4, 0x7f, v2
	s_mov_b32 s18, exec_lo
	s_delay_alu instid0(VALU_DEP_1)
	v_cmpx_ne_u32_e32 0x7f, v4
	s_cbranch_execz .LBB200_799
; %bb.796:                              ;   in Loop: Header=BB200_9 Depth=1
	v_dual_lshrrev_b32 v3, 3, v4 :: v_dual_bitop2_b32 v26, 7, v2 bitop3:0x40
	s_mov_b32 s19, exec_lo
	v_cmpx_gt_u32_e32 8, v4
; %bb.797:                              ;   in Loop: Header=BB200_9 Depth=1
	s_delay_alu instid0(VALU_DEP_2) | instskip(NEXT) | instid1(VALU_DEP_1)
	v_clz_i32_u32_e32 v0, v26
	v_min_u32_e32 v0, 32, v0
	s_delay_alu instid0(VALU_DEP_1) | instskip(SKIP_1) | instid1(VALU_DEP_2)
	v_subrev_nc_u32_e32 v1, 28, v0
	v_sub_nc_u32_e32 v3, 29, v0
	v_lshlrev_b64_e32 v[4:5], v1, v[26:27]
	s_delay_alu instid0(VALU_DEP_1)
	v_and_b32_e32 v26, 7, v4
; %bb.798:                              ;   in Loop: Header=BB200_9 Depth=1
	s_or_b32 exec_lo, exec_lo, s19
	v_lshlrev_b32_e32 v0, 24, v2
	s_delay_alu instid0(VALU_DEP_2) | instskip(SKIP_1) | instid1(VALU_DEP_3)
	v_lshlrev_b32_e32 v1, 20, v26
	v_lshl_add_u32 v3, v3, 23, 0x3c000000
	v_and_b32_e32 v0, 0x80000000, v0
	s_delay_alu instid0(VALU_DEP_1) | instskip(NEXT) | instid1(VALU_DEP_1)
	v_or3_b32 v26, v1, v0, v3
	v_mov_b64_e32 v[104:105], v[26:27]
.LBB200_799:                            ;   in Loop: Header=BB200_9 Depth=1
	s_or_b32 exec_lo, exec_lo, s18
.LBB200_800:                            ;   in Loop: Header=BB200_9 Depth=1
	s_delay_alu instid0(SALU_CYCLE_1)
	s_or_b32 exec_lo, exec_lo, s17
.LBB200_801:                            ;   in Loop: Header=BB200_9 Depth=1
	s_delay_alu instid0(SALU_CYCLE_1) | instskip(SKIP_2) | instid1(VALU_DEP_1)
	s_or_b32 exec_lo, exec_lo, s11
	v_lshrrev_b16 v3, 8, v2
	s_mov_b32 s11, exec_lo
	v_cmpx_ne_u16_e32 0, v3
	s_cbranch_execz .LBB200_809
; %bb.802:                              ;   in Loop: Header=BB200_9 Depth=1
	v_mov_b64_e32 v[74:75], 0x8000000000000000
	s_mov_b32 s17, exec_lo
	v_cmpx_ne_u16_e32 0x80, v3
	s_cbranch_execz .LBB200_808
; %bb.803:                              ;   in Loop: Header=BB200_9 Depth=1
	v_and_b32_e32 v1, 0xffff, v3
	v_mov_b64_e32 v[74:75], 0x7f80000100000000
	s_mov_b32 s18, exec_lo
	s_delay_alu instid0(VALU_DEP_2) | instskip(NEXT) | instid1(VALU_DEP_1)
	v_and_b32_e32 v4, 0x7f, v1
	v_cmpx_ne_u32_e32 0x7f, v4
	s_cbranch_execz .LBB200_807
; %bb.804:                              ;   in Loop: Header=BB200_9 Depth=1
	v_dual_lshrrev_b32 v3, 3, v4 :: v_dual_bitop2_b32 v26, 7, v1 bitop3:0x40
	s_mov_b32 s19, exec_lo
	v_cmpx_gt_u32_e32 8, v4
; %bb.805:                              ;   in Loop: Header=BB200_9 Depth=1
	s_delay_alu instid0(VALU_DEP_2) | instskip(NEXT) | instid1(VALU_DEP_1)
	v_clz_i32_u32_e32 v0, v26
	v_min_u32_e32 v0, 32, v0
	s_delay_alu instid0(VALU_DEP_1) | instskip(SKIP_1) | instid1(VALU_DEP_2)
	v_subrev_nc_u32_e32 v1, 28, v0
	v_sub_nc_u32_e32 v3, 29, v0
	v_lshlrev_b64_e32 v[4:5], v1, v[26:27]
	s_delay_alu instid0(VALU_DEP_1)
	v_and_b32_e32 v26, 7, v4
; %bb.806:                              ;   in Loop: Header=BB200_9 Depth=1
	s_or_b32 exec_lo, exec_lo, s19
	v_dual_lshlrev_b32 v0, 16, v2 :: v_dual_mov_b32 v74, v27
	s_delay_alu instid0(VALU_DEP_2) | instskip(SKIP_1) | instid1(VALU_DEP_3)
	v_lshlrev_b32_e32 v1, 20, v26
	v_lshl_add_u32 v2, v3, 23, 0x3c000000
	v_and_b32_e32 v0, 0x80000000, v0
	s_delay_alu instid0(VALU_DEP_1)
	v_or3_b32 v75, v1, v0, v2
.LBB200_807:                            ;   in Loop: Header=BB200_9 Depth=1
	s_or_b32 exec_lo, exec_lo, s18
.LBB200_808:                            ;   in Loop: Header=BB200_9 Depth=1
	s_delay_alu instid0(SALU_CYCLE_1)
	s_or_b32 exec_lo, exec_lo, s17
.LBB200_809:                            ;   in Loop: Header=BB200_9 Depth=1
	s_delay_alu instid0(SALU_CYCLE_1)
	s_or_b32 exec_lo, exec_lo, s11
	flat_load_u16 v0, v[36:37] offset:3080
	v_mov_b64_e32 v[78:79], 0
	v_mov_b64_e32 v[108:109], 0
	s_mov_b32 s11, exec_lo
	s_wait_loadcnt_dscnt 0x0
	v_and_b32_e32 v2, 0xffff, v0
	v_and_b32_e32 v0, 0xff, v0
	s_wait_xcnt 0x0
	s_delay_alu instid0(VALU_DEP_1)
	v_cmpx_ne_u16_e32 0, v0
	s_cbranch_execz .LBB200_817
; %bb.810:                              ;   in Loop: Header=BB200_9 Depth=1
	v_mov_b64_e32 v[108:109], 0x80000000
	v_and_b32_e32 v0, 0xff, v2
	s_mov_b32 s17, exec_lo
	s_delay_alu instid0(VALU_DEP_1)
	v_cmpx_ne_u16_e32 0x80, v0
	s_cbranch_execz .LBB200_816
; %bb.811:                              ;   in Loop: Header=BB200_9 Depth=1
	v_mov_b64_e32 v[108:109], 0x7f800001
	v_and_b32_e32 v4, 0x7f, v2
	s_mov_b32 s18, exec_lo
	s_delay_alu instid0(VALU_DEP_1)
	v_cmpx_ne_u32_e32 0x7f, v4
	s_cbranch_execz .LBB200_815
; %bb.812:                              ;   in Loop: Header=BB200_9 Depth=1
	v_dual_lshrrev_b32 v3, 3, v4 :: v_dual_bitop2_b32 v26, 7, v2 bitop3:0x40
	s_mov_b32 s19, exec_lo
	v_cmpx_gt_u32_e32 8, v4
; %bb.813:                              ;   in Loop: Header=BB200_9 Depth=1
	s_delay_alu instid0(VALU_DEP_2) | instskip(NEXT) | instid1(VALU_DEP_1)
	v_clz_i32_u32_e32 v0, v26
	v_min_u32_e32 v0, 32, v0
	s_delay_alu instid0(VALU_DEP_1) | instskip(SKIP_1) | instid1(VALU_DEP_2)
	v_subrev_nc_u32_e32 v1, 28, v0
	v_sub_nc_u32_e32 v3, 29, v0
	v_lshlrev_b64_e32 v[4:5], v1, v[26:27]
	s_delay_alu instid0(VALU_DEP_1)
	v_and_b32_e32 v26, 7, v4
; %bb.814:                              ;   in Loop: Header=BB200_9 Depth=1
	s_or_b32 exec_lo, exec_lo, s19
	v_lshlrev_b32_e32 v0, 24, v2
	s_delay_alu instid0(VALU_DEP_2) | instskip(SKIP_1) | instid1(VALU_DEP_3)
	v_lshlrev_b32_e32 v1, 20, v26
	v_lshl_add_u32 v3, v3, 23, 0x3c000000
	v_and_b32_e32 v0, 0x80000000, v0
	s_delay_alu instid0(VALU_DEP_1) | instskip(NEXT) | instid1(VALU_DEP_1)
	v_or3_b32 v26, v1, v0, v3
	v_mov_b64_e32 v[108:109], v[26:27]
.LBB200_815:                            ;   in Loop: Header=BB200_9 Depth=1
	s_or_b32 exec_lo, exec_lo, s18
.LBB200_816:                            ;   in Loop: Header=BB200_9 Depth=1
	s_delay_alu instid0(SALU_CYCLE_1)
	s_or_b32 exec_lo, exec_lo, s17
.LBB200_817:                            ;   in Loop: Header=BB200_9 Depth=1
	s_delay_alu instid0(SALU_CYCLE_1) | instskip(SKIP_2) | instid1(VALU_DEP_1)
	s_or_b32 exec_lo, exec_lo, s11
	v_lshrrev_b16 v3, 8, v2
	s_mov_b32 s11, exec_lo
	v_cmpx_ne_u16_e32 0, v3
	s_cbranch_execz .LBB200_825
; %bb.818:                              ;   in Loop: Header=BB200_9 Depth=1
	v_mov_b64_e32 v[78:79], 0x8000000000000000
	s_mov_b32 s17, exec_lo
	v_cmpx_ne_u16_e32 0x80, v3
	s_cbranch_execz .LBB200_824
; %bb.819:                              ;   in Loop: Header=BB200_9 Depth=1
	v_and_b32_e32 v1, 0xffff, v3
	v_mov_b64_e32 v[78:79], 0x7f80000100000000
	s_mov_b32 s18, exec_lo
	s_delay_alu instid0(VALU_DEP_2) | instskip(NEXT) | instid1(VALU_DEP_1)
	v_and_b32_e32 v4, 0x7f, v1
	v_cmpx_ne_u32_e32 0x7f, v4
	s_cbranch_execz .LBB200_823
; %bb.820:                              ;   in Loop: Header=BB200_9 Depth=1
	v_dual_lshrrev_b32 v3, 3, v4 :: v_dual_bitop2_b32 v26, 7, v1 bitop3:0x40
	s_mov_b32 s19, exec_lo
	v_cmpx_gt_u32_e32 8, v4
; %bb.821:                              ;   in Loop: Header=BB200_9 Depth=1
	s_delay_alu instid0(VALU_DEP_2) | instskip(NEXT) | instid1(VALU_DEP_1)
	v_clz_i32_u32_e32 v0, v26
	v_min_u32_e32 v0, 32, v0
	s_delay_alu instid0(VALU_DEP_1) | instskip(SKIP_1) | instid1(VALU_DEP_2)
	v_subrev_nc_u32_e32 v1, 28, v0
	v_sub_nc_u32_e32 v3, 29, v0
	v_lshlrev_b64_e32 v[4:5], v1, v[26:27]
	s_delay_alu instid0(VALU_DEP_1)
	v_and_b32_e32 v26, 7, v4
; %bb.822:                              ;   in Loop: Header=BB200_9 Depth=1
	s_or_b32 exec_lo, exec_lo, s19
	v_dual_lshlrev_b32 v0, 16, v2 :: v_dual_mov_b32 v78, v27
	s_delay_alu instid0(VALU_DEP_2) | instskip(SKIP_1) | instid1(VALU_DEP_3)
	v_lshlrev_b32_e32 v1, 20, v26
	v_lshl_add_u32 v2, v3, 23, 0x3c000000
	v_and_b32_e32 v0, 0x80000000, v0
	s_delay_alu instid0(VALU_DEP_1)
	v_or3_b32 v79, v1, v0, v2
.LBB200_823:                            ;   in Loop: Header=BB200_9 Depth=1
	s_or_b32 exec_lo, exec_lo, s18
.LBB200_824:                            ;   in Loop: Header=BB200_9 Depth=1
	s_delay_alu instid0(SALU_CYCLE_1)
	s_or_b32 exec_lo, exec_lo, s17
.LBB200_825:                            ;   in Loop: Header=BB200_9 Depth=1
	s_delay_alu instid0(SALU_CYCLE_1)
	s_or_b32 exec_lo, exec_lo, s11
	flat_load_u16 v0, v[36:37] offset:3084
	v_mov_b64_e32 v[90:91], 0
	v_mov_b64_e32 v[120:121], 0
	s_mov_b32 s11, exec_lo
	s_wait_loadcnt_dscnt 0x0
	v_and_b32_e32 v2, 0xffff, v0
	v_and_b32_e32 v0, 0xff, v0
	s_wait_xcnt 0x0
	s_delay_alu instid0(VALU_DEP_1)
	v_cmpx_ne_u16_e32 0, v0
	s_cbranch_execz .LBB200_833
; %bb.826:                              ;   in Loop: Header=BB200_9 Depth=1
	v_mov_b64_e32 v[120:121], 0x80000000
	v_and_b32_e32 v0, 0xff, v2
	s_mov_b32 s17, exec_lo
	s_delay_alu instid0(VALU_DEP_1)
	v_cmpx_ne_u16_e32 0x80, v0
	s_cbranch_execz .LBB200_832
; %bb.827:                              ;   in Loop: Header=BB200_9 Depth=1
	v_mov_b64_e32 v[120:121], 0x7f800001
	v_and_b32_e32 v4, 0x7f, v2
	s_mov_b32 s18, exec_lo
	s_delay_alu instid0(VALU_DEP_1)
	v_cmpx_ne_u32_e32 0x7f, v4
	s_cbranch_execz .LBB200_831
; %bb.828:                              ;   in Loop: Header=BB200_9 Depth=1
	v_dual_lshrrev_b32 v3, 3, v4 :: v_dual_bitop2_b32 v26, 7, v2 bitop3:0x40
	s_mov_b32 s19, exec_lo
	v_cmpx_gt_u32_e32 8, v4
; %bb.829:                              ;   in Loop: Header=BB200_9 Depth=1
	s_delay_alu instid0(VALU_DEP_2) | instskip(NEXT) | instid1(VALU_DEP_1)
	v_clz_i32_u32_e32 v0, v26
	v_min_u32_e32 v0, 32, v0
	s_delay_alu instid0(VALU_DEP_1) | instskip(SKIP_1) | instid1(VALU_DEP_2)
	v_subrev_nc_u32_e32 v1, 28, v0
	v_sub_nc_u32_e32 v3, 29, v0
	v_lshlrev_b64_e32 v[4:5], v1, v[26:27]
	s_delay_alu instid0(VALU_DEP_1)
	v_and_b32_e32 v26, 7, v4
; %bb.830:                              ;   in Loop: Header=BB200_9 Depth=1
	s_or_b32 exec_lo, exec_lo, s19
	v_lshlrev_b32_e32 v0, 24, v2
	s_delay_alu instid0(VALU_DEP_2) | instskip(SKIP_1) | instid1(VALU_DEP_3)
	v_lshlrev_b32_e32 v1, 20, v26
	v_lshl_add_u32 v3, v3, 23, 0x3c000000
	v_and_b32_e32 v0, 0x80000000, v0
	s_delay_alu instid0(VALU_DEP_1) | instskip(NEXT) | instid1(VALU_DEP_1)
	v_or3_b32 v26, v1, v0, v3
	v_mov_b64_e32 v[120:121], v[26:27]
.LBB200_831:                            ;   in Loop: Header=BB200_9 Depth=1
	s_or_b32 exec_lo, exec_lo, s18
.LBB200_832:                            ;   in Loop: Header=BB200_9 Depth=1
	s_delay_alu instid0(SALU_CYCLE_1)
	s_or_b32 exec_lo, exec_lo, s17
.LBB200_833:                            ;   in Loop: Header=BB200_9 Depth=1
	s_delay_alu instid0(SALU_CYCLE_1) | instskip(SKIP_2) | instid1(VALU_DEP_1)
	s_or_b32 exec_lo, exec_lo, s11
	v_lshrrev_b16 v3, 8, v2
	s_mov_b32 s11, exec_lo
	v_cmpx_ne_u16_e32 0, v3
	s_cbranch_execz .LBB200_841
; %bb.834:                              ;   in Loop: Header=BB200_9 Depth=1
	v_mov_b64_e32 v[90:91], 0x8000000000000000
	s_mov_b32 s17, exec_lo
	v_cmpx_ne_u16_e32 0x80, v3
	s_cbranch_execz .LBB200_840
; %bb.835:                              ;   in Loop: Header=BB200_9 Depth=1
	v_and_b32_e32 v1, 0xffff, v3
	v_mov_b64_e32 v[90:91], 0x7f80000100000000
	s_mov_b32 s18, exec_lo
	s_delay_alu instid0(VALU_DEP_2) | instskip(NEXT) | instid1(VALU_DEP_1)
	v_and_b32_e32 v4, 0x7f, v1
	v_cmpx_ne_u32_e32 0x7f, v4
	s_cbranch_execz .LBB200_839
; %bb.836:                              ;   in Loop: Header=BB200_9 Depth=1
	v_dual_lshrrev_b32 v3, 3, v4 :: v_dual_bitop2_b32 v26, 7, v1 bitop3:0x40
	s_mov_b32 s19, exec_lo
	v_cmpx_gt_u32_e32 8, v4
; %bb.837:                              ;   in Loop: Header=BB200_9 Depth=1
	s_delay_alu instid0(VALU_DEP_2) | instskip(NEXT) | instid1(VALU_DEP_1)
	v_clz_i32_u32_e32 v0, v26
	v_min_u32_e32 v0, 32, v0
	s_delay_alu instid0(VALU_DEP_1) | instskip(SKIP_1) | instid1(VALU_DEP_2)
	v_subrev_nc_u32_e32 v1, 28, v0
	v_sub_nc_u32_e32 v3, 29, v0
	v_lshlrev_b64_e32 v[4:5], v1, v[26:27]
	s_delay_alu instid0(VALU_DEP_1)
	v_and_b32_e32 v26, 7, v4
; %bb.838:                              ;   in Loop: Header=BB200_9 Depth=1
	s_or_b32 exec_lo, exec_lo, s19
	v_dual_lshlrev_b32 v0, 16, v2 :: v_dual_mov_b32 v90, v27
	s_delay_alu instid0(VALU_DEP_2) | instskip(SKIP_1) | instid1(VALU_DEP_3)
	v_lshlrev_b32_e32 v1, 20, v26
	v_lshl_add_u32 v2, v3, 23, 0x3c000000
	v_and_b32_e32 v0, 0x80000000, v0
	s_delay_alu instid0(VALU_DEP_1)
	v_or3_b32 v91, v1, v0, v2
.LBB200_839:                            ;   in Loop: Header=BB200_9 Depth=1
	s_or_b32 exec_lo, exec_lo, s18
.LBB200_840:                            ;   in Loop: Header=BB200_9 Depth=1
	s_delay_alu instid0(SALU_CYCLE_1)
	s_or_b32 exec_lo, exec_lo, s17
.LBB200_841:                            ;   in Loop: Header=BB200_9 Depth=1
	s_delay_alu instid0(SALU_CYCLE_1)
	s_or_b32 exec_lo, exec_lo, s11
	flat_load_u16 v0, v[36:37] offset:3328
	v_mov_b64_e32 v[94:95], 0
	v_mov_b64_e32 v[124:125], 0
	s_mov_b32 s11, exec_lo
	s_wait_loadcnt_dscnt 0x0
	v_and_b32_e32 v2, 0xffff, v0
	v_and_b32_e32 v0, 0xff, v0
	s_wait_xcnt 0x0
	s_delay_alu instid0(VALU_DEP_1)
	v_cmpx_ne_u16_e32 0, v0
	s_cbranch_execz .LBB200_849
; %bb.842:                              ;   in Loop: Header=BB200_9 Depth=1
	v_mov_b64_e32 v[124:125], 0x80000000
	v_and_b32_e32 v0, 0xff, v2
	s_mov_b32 s17, exec_lo
	s_delay_alu instid0(VALU_DEP_1)
	v_cmpx_ne_u16_e32 0x80, v0
	s_cbranch_execz .LBB200_848
; %bb.843:                              ;   in Loop: Header=BB200_9 Depth=1
	v_mov_b64_e32 v[124:125], 0x7f800001
	v_and_b32_e32 v4, 0x7f, v2
	s_mov_b32 s18, exec_lo
	s_delay_alu instid0(VALU_DEP_1)
	v_cmpx_ne_u32_e32 0x7f, v4
	s_cbranch_execz .LBB200_847
; %bb.844:                              ;   in Loop: Header=BB200_9 Depth=1
	v_dual_lshrrev_b32 v3, 3, v4 :: v_dual_bitop2_b32 v26, 7, v2 bitop3:0x40
	s_mov_b32 s19, exec_lo
	v_cmpx_gt_u32_e32 8, v4
; %bb.845:                              ;   in Loop: Header=BB200_9 Depth=1
	s_delay_alu instid0(VALU_DEP_2) | instskip(NEXT) | instid1(VALU_DEP_1)
	v_clz_i32_u32_e32 v0, v26
	v_min_u32_e32 v0, 32, v0
	s_delay_alu instid0(VALU_DEP_1) | instskip(SKIP_1) | instid1(VALU_DEP_2)
	v_subrev_nc_u32_e32 v1, 28, v0
	v_sub_nc_u32_e32 v3, 29, v0
	v_lshlrev_b64_e32 v[4:5], v1, v[26:27]
	s_delay_alu instid0(VALU_DEP_1)
	v_and_b32_e32 v26, 7, v4
; %bb.846:                              ;   in Loop: Header=BB200_9 Depth=1
	s_or_b32 exec_lo, exec_lo, s19
	v_lshlrev_b32_e32 v0, 24, v2
	s_delay_alu instid0(VALU_DEP_2) | instskip(SKIP_1) | instid1(VALU_DEP_3)
	v_lshlrev_b32_e32 v1, 20, v26
	v_lshl_add_u32 v3, v3, 23, 0x3c000000
	v_and_b32_e32 v0, 0x80000000, v0
	s_delay_alu instid0(VALU_DEP_1) | instskip(NEXT) | instid1(VALU_DEP_1)
	v_or3_b32 v26, v1, v0, v3
	v_mov_b64_e32 v[124:125], v[26:27]
.LBB200_847:                            ;   in Loop: Header=BB200_9 Depth=1
	s_or_b32 exec_lo, exec_lo, s18
.LBB200_848:                            ;   in Loop: Header=BB200_9 Depth=1
	s_delay_alu instid0(SALU_CYCLE_1)
	s_or_b32 exec_lo, exec_lo, s17
.LBB200_849:                            ;   in Loop: Header=BB200_9 Depth=1
	s_delay_alu instid0(SALU_CYCLE_1) | instskip(SKIP_2) | instid1(VALU_DEP_1)
	s_or_b32 exec_lo, exec_lo, s11
	v_lshrrev_b16 v3, 8, v2
	s_mov_b32 s11, exec_lo
	v_cmpx_ne_u16_e32 0, v3
	s_cbranch_execz .LBB200_857
; %bb.850:                              ;   in Loop: Header=BB200_9 Depth=1
	v_mov_b64_e32 v[94:95], 0x8000000000000000
	s_mov_b32 s17, exec_lo
	v_cmpx_ne_u16_e32 0x80, v3
	s_cbranch_execz .LBB200_856
; %bb.851:                              ;   in Loop: Header=BB200_9 Depth=1
	v_and_b32_e32 v1, 0xffff, v3
	v_mov_b64_e32 v[94:95], 0x7f80000100000000
	s_mov_b32 s18, exec_lo
	s_delay_alu instid0(VALU_DEP_2) | instskip(NEXT) | instid1(VALU_DEP_1)
	v_and_b32_e32 v4, 0x7f, v1
	v_cmpx_ne_u32_e32 0x7f, v4
	s_cbranch_execz .LBB200_855
; %bb.852:                              ;   in Loop: Header=BB200_9 Depth=1
	v_dual_lshrrev_b32 v3, 3, v4 :: v_dual_bitop2_b32 v26, 7, v1 bitop3:0x40
	s_mov_b32 s19, exec_lo
	v_cmpx_gt_u32_e32 8, v4
; %bb.853:                              ;   in Loop: Header=BB200_9 Depth=1
	s_delay_alu instid0(VALU_DEP_2) | instskip(NEXT) | instid1(VALU_DEP_1)
	v_clz_i32_u32_e32 v0, v26
	v_min_u32_e32 v0, 32, v0
	s_delay_alu instid0(VALU_DEP_1) | instskip(SKIP_1) | instid1(VALU_DEP_2)
	v_subrev_nc_u32_e32 v1, 28, v0
	v_sub_nc_u32_e32 v3, 29, v0
	v_lshlrev_b64_e32 v[4:5], v1, v[26:27]
	s_delay_alu instid0(VALU_DEP_1)
	v_and_b32_e32 v26, 7, v4
; %bb.854:                              ;   in Loop: Header=BB200_9 Depth=1
	s_or_b32 exec_lo, exec_lo, s19
	v_dual_lshlrev_b32 v0, 16, v2 :: v_dual_mov_b32 v94, v27
	s_delay_alu instid0(VALU_DEP_2) | instskip(SKIP_1) | instid1(VALU_DEP_3)
	v_lshlrev_b32_e32 v1, 20, v26
	v_lshl_add_u32 v2, v3, 23, 0x3c000000
	v_and_b32_e32 v0, 0x80000000, v0
	s_delay_alu instid0(VALU_DEP_1)
	v_or3_b32 v95, v1, v0, v2
.LBB200_855:                            ;   in Loop: Header=BB200_9 Depth=1
	s_or_b32 exec_lo, exec_lo, s18
.LBB200_856:                            ;   in Loop: Header=BB200_9 Depth=1
	s_delay_alu instid0(SALU_CYCLE_1)
	s_or_b32 exec_lo, exec_lo, s17
.LBB200_857:                            ;   in Loop: Header=BB200_9 Depth=1
	s_delay_alu instid0(SALU_CYCLE_1)
	s_or_b32 exec_lo, exec_lo, s11
	flat_load_u16 v0, v[36:37] offset:3332
	v_mov_b64_e32 v[106:107], 0
	v_mov_b64_e32 v[50:51], 0
	s_mov_b32 s11, exec_lo
	s_wait_loadcnt_dscnt 0x0
	v_and_b32_e32 v4, 0xffff, v0
	v_and_b32_e32 v0, 0xff, v0
	s_wait_xcnt 0x0
	s_delay_alu instid0(VALU_DEP_1)
	v_cmpx_ne_u16_e32 0, v0
	s_cbranch_execz .LBB200_865
; %bb.858:                              ;   in Loop: Header=BB200_9 Depth=1
	v_mov_b64_e32 v[50:51], 0x80000000
	v_and_b32_e32 v0, 0xff, v4
	s_mov_b32 s17, exec_lo
	s_delay_alu instid0(VALU_DEP_1)
	v_cmpx_ne_u16_e32 0x80, v0
	s_cbranch_execz .LBB200_864
; %bb.859:                              ;   in Loop: Header=BB200_9 Depth=1
	v_mov_b64_e32 v[50:51], 0x7f800001
	v_and_b32_e32 v5, 0x7f, v4
	s_mov_b32 s18, exec_lo
	s_delay_alu instid0(VALU_DEP_1)
	v_cmpx_ne_u32_e32 0x7f, v5
	s_cbranch_execz .LBB200_863
; %bb.860:                              ;   in Loop: Header=BB200_9 Depth=1
	v_dual_lshrrev_b32 v2, 3, v5 :: v_dual_bitop2_b32 v26, 7, v4 bitop3:0x40
	s_mov_b32 s19, exec_lo
	v_cmpx_gt_u32_e32 8, v5
; %bb.861:                              ;   in Loop: Header=BB200_9 Depth=1
	s_delay_alu instid0(VALU_DEP_2) | instskip(NEXT) | instid1(VALU_DEP_1)
	v_clz_i32_u32_e32 v0, v26
	v_min_u32_e32 v0, 32, v0
	s_delay_alu instid0(VALU_DEP_1) | instskip(NEXT) | instid1(VALU_DEP_1)
	v_subrev_nc_u32_e32 v1, 28, v0
	v_lshlrev_b64_e32 v[6:7], v1, v[26:27]
	s_delay_alu instid0(VALU_DEP_1)
	v_dual_sub_nc_u32 v2, 29, v0 :: v_dual_bitop2_b32 v26, 7, v6 bitop3:0x40
; %bb.862:                              ;   in Loop: Header=BB200_9 Depth=1
	s_or_b32 exec_lo, exec_lo, s19
	s_delay_alu instid0(VALU_DEP_1) | instskip(NEXT) | instid1(VALU_DEP_2)
	v_dual_lshlrev_b32 v0, 24, v4 :: v_dual_lshlrev_b32 v1, 20, v26
	v_lshl_add_u32 v2, v2, 23, 0x3c000000
	s_delay_alu instid0(VALU_DEP_2) | instskip(NEXT) | instid1(VALU_DEP_1)
	v_and_b32_e32 v0, 0x80000000, v0
	v_or3_b32 v26, v1, v0, v2
	s_delay_alu instid0(VALU_DEP_1)
	v_mov_b64_e32 v[50:51], v[26:27]
.LBB200_863:                            ;   in Loop: Header=BB200_9 Depth=1
	s_or_b32 exec_lo, exec_lo, s18
.LBB200_864:                            ;   in Loop: Header=BB200_9 Depth=1
	s_delay_alu instid0(SALU_CYCLE_1)
	s_or_b32 exec_lo, exec_lo, s17
.LBB200_865:                            ;   in Loop: Header=BB200_9 Depth=1
	s_delay_alu instid0(SALU_CYCLE_1) | instskip(SKIP_2) | instid1(VALU_DEP_1)
	s_or_b32 exec_lo, exec_lo, s11
	v_lshrrev_b16 v5, 8, v4
	s_mov_b32 s11, exec_lo
	v_cmpx_ne_u16_e32 0, v5
	s_cbranch_execz .LBB200_873
; %bb.866:                              ;   in Loop: Header=BB200_9 Depth=1
	v_mov_b64_e32 v[106:107], 0x8000000000000000
	s_mov_b32 s17, exec_lo
	v_cmpx_ne_u16_e32 0x80, v5
	s_cbranch_execz .LBB200_872
; %bb.867:                              ;   in Loop: Header=BB200_9 Depth=1
	v_and_b32_e32 v1, 0xffff, v5
	v_mov_b64_e32 v[106:107], 0x7f80000100000000
	s_mov_b32 s18, exec_lo
	s_delay_alu instid0(VALU_DEP_2) | instskip(NEXT) | instid1(VALU_DEP_1)
	v_and_b32_e32 v6, 0x7f, v1
	v_cmpx_ne_u32_e32 0x7f, v6
	s_cbranch_execz .LBB200_871
; %bb.868:                              ;   in Loop: Header=BB200_9 Depth=1
	v_dual_lshrrev_b32 v5, 3, v6 :: v_dual_bitop2_b32 v26, 7, v1 bitop3:0x40
	s_mov_b32 s19, exec_lo
	v_cmpx_gt_u32_e32 8, v6
; %bb.869:                              ;   in Loop: Header=BB200_9 Depth=1
	s_delay_alu instid0(VALU_DEP_2) | instskip(NEXT) | instid1(VALU_DEP_1)
	v_clz_i32_u32_e32 v0, v26
	v_min_u32_e32 v0, 32, v0
	s_delay_alu instid0(VALU_DEP_1) | instskip(NEXT) | instid1(VALU_DEP_1)
	v_subrev_nc_u32_e32 v1, 28, v0
	v_lshlrev_b64_e32 v[6:7], v1, v[26:27]
	s_delay_alu instid0(VALU_DEP_1)
	v_dual_sub_nc_u32 v5, 29, v0 :: v_dual_bitop2_b32 v26, 7, v6 bitop3:0x40
; %bb.870:                              ;   in Loop: Header=BB200_9 Depth=1
	s_or_b32 exec_lo, exec_lo, s19
	s_delay_alu instid0(VALU_DEP_1) | instskip(NEXT) | instid1(VALU_DEP_2)
	v_dual_lshlrev_b32 v0, 16, v4 :: v_dual_lshlrev_b32 v1, 20, v26
	v_lshl_add_u32 v4, v5, 23, 0x3c000000
	v_mov_b32_e32 v106, v27
	s_delay_alu instid0(VALU_DEP_3) | instskip(NEXT) | instid1(VALU_DEP_1)
	v_and_b32_e32 v0, 0x80000000, v0
	v_or3_b32 v107, v1, v0, v4
.LBB200_871:                            ;   in Loop: Header=BB200_9 Depth=1
	s_or_b32 exec_lo, exec_lo, s18
.LBB200_872:                            ;   in Loop: Header=BB200_9 Depth=1
	s_delay_alu instid0(SALU_CYCLE_1)
	s_or_b32 exec_lo, exec_lo, s17
.LBB200_873:                            ;   in Loop: Header=BB200_9 Depth=1
	s_delay_alu instid0(SALU_CYCLE_1)
	s_or_b32 exec_lo, exec_lo, s11
	flat_load_u16 v0, v[36:37] offset:3336
	v_mov_b64_e32 v[110:111], 0
	v_mov_b64_e32 v[122:123], 0
	s_mov_b32 s11, exec_lo
	s_wait_loadcnt_dscnt 0x0
	v_and_b32_e32 v4, 0xffff, v0
	v_and_b32_e32 v0, 0xff, v0
	s_wait_xcnt 0x0
	s_delay_alu instid0(VALU_DEP_1)
	v_cmpx_ne_u16_e32 0, v0
	s_cbranch_execz .LBB200_881
; %bb.874:                              ;   in Loop: Header=BB200_9 Depth=1
	v_mov_b64_e32 v[122:123], 0x80000000
	v_and_b32_e32 v0, 0xff, v4
	s_mov_b32 s17, exec_lo
	s_delay_alu instid0(VALU_DEP_1)
	v_cmpx_ne_u16_e32 0x80, v0
	s_cbranch_execz .LBB200_880
; %bb.875:                              ;   in Loop: Header=BB200_9 Depth=1
	v_mov_b64_e32 v[122:123], 0x7f800001
	v_and_b32_e32 v6, 0x7f, v4
	s_mov_b32 s18, exec_lo
	s_delay_alu instid0(VALU_DEP_1)
	v_cmpx_ne_u32_e32 0x7f, v6
	s_cbranch_execz .LBB200_879
; %bb.876:                              ;   in Loop: Header=BB200_9 Depth=1
	v_dual_lshrrev_b32 v5, 3, v6 :: v_dual_bitop2_b32 v26, 7, v4 bitop3:0x40
	s_mov_b32 s19, exec_lo
	v_cmpx_gt_u32_e32 8, v6
; %bb.877:                              ;   in Loop: Header=BB200_9 Depth=1
	s_delay_alu instid0(VALU_DEP_2) | instskip(NEXT) | instid1(VALU_DEP_1)
	v_clz_i32_u32_e32 v0, v26
	v_min_u32_e32 v0, 32, v0
	s_delay_alu instid0(VALU_DEP_1) | instskip(NEXT) | instid1(VALU_DEP_1)
	v_subrev_nc_u32_e32 v1, 28, v0
	v_lshlrev_b64_e32 v[6:7], v1, v[26:27]
	s_delay_alu instid0(VALU_DEP_1)
	v_dual_sub_nc_u32 v5, 29, v0 :: v_dual_bitop2_b32 v26, 7, v6 bitop3:0x40
; %bb.878:                              ;   in Loop: Header=BB200_9 Depth=1
	s_or_b32 exec_lo, exec_lo, s19
	s_delay_alu instid0(VALU_DEP_1) | instskip(NEXT) | instid1(VALU_DEP_2)
	v_dual_lshlrev_b32 v0, 24, v4 :: v_dual_lshlrev_b32 v1, 20, v26
	v_lshl_add_u32 v5, v5, 23, 0x3c000000
	s_delay_alu instid0(VALU_DEP_2) | instskip(NEXT) | instid1(VALU_DEP_1)
	v_and_b32_e32 v0, 0x80000000, v0
	v_or3_b32 v26, v1, v0, v5
	s_delay_alu instid0(VALU_DEP_1)
	v_mov_b64_e32 v[122:123], v[26:27]
.LBB200_879:                            ;   in Loop: Header=BB200_9 Depth=1
	s_or_b32 exec_lo, exec_lo, s18
.LBB200_880:                            ;   in Loop: Header=BB200_9 Depth=1
	s_delay_alu instid0(SALU_CYCLE_1)
	s_or_b32 exec_lo, exec_lo, s17
.LBB200_881:                            ;   in Loop: Header=BB200_9 Depth=1
	s_delay_alu instid0(SALU_CYCLE_1) | instskip(SKIP_2) | instid1(VALU_DEP_1)
	s_or_b32 exec_lo, exec_lo, s11
	v_lshrrev_b16 v5, 8, v4
	s_mov_b32 s11, exec_lo
	v_cmpx_ne_u16_e32 0, v5
	s_cbranch_execz .LBB200_889
; %bb.882:                              ;   in Loop: Header=BB200_9 Depth=1
	v_mov_b64_e32 v[110:111], 0x8000000000000000
	s_mov_b32 s17, exec_lo
	v_cmpx_ne_u16_e32 0x80, v5
	s_cbranch_execz .LBB200_888
; %bb.883:                              ;   in Loop: Header=BB200_9 Depth=1
	v_and_b32_e32 v1, 0xffff, v5
	v_mov_b64_e32 v[110:111], 0x7f80000100000000
	s_mov_b32 s18, exec_lo
	s_delay_alu instid0(VALU_DEP_2) | instskip(NEXT) | instid1(VALU_DEP_1)
	v_and_b32_e32 v6, 0x7f, v1
	v_cmpx_ne_u32_e32 0x7f, v6
	s_cbranch_execz .LBB200_887
; %bb.884:                              ;   in Loop: Header=BB200_9 Depth=1
	v_dual_lshrrev_b32 v5, 3, v6 :: v_dual_bitop2_b32 v26, 7, v1 bitop3:0x40
	s_mov_b32 s19, exec_lo
	v_cmpx_gt_u32_e32 8, v6
; %bb.885:                              ;   in Loop: Header=BB200_9 Depth=1
	s_delay_alu instid0(VALU_DEP_2) | instskip(NEXT) | instid1(VALU_DEP_1)
	v_clz_i32_u32_e32 v0, v26
	v_min_u32_e32 v0, 32, v0
	s_delay_alu instid0(VALU_DEP_1) | instskip(NEXT) | instid1(VALU_DEP_1)
	v_subrev_nc_u32_e32 v1, 28, v0
	v_lshlrev_b64_e32 v[6:7], v1, v[26:27]
	s_delay_alu instid0(VALU_DEP_1)
	v_dual_sub_nc_u32 v5, 29, v0 :: v_dual_bitop2_b32 v26, 7, v6 bitop3:0x40
; %bb.886:                              ;   in Loop: Header=BB200_9 Depth=1
	s_or_b32 exec_lo, exec_lo, s19
	s_delay_alu instid0(VALU_DEP_1) | instskip(NEXT) | instid1(VALU_DEP_2)
	v_dual_lshlrev_b32 v0, 16, v4 :: v_dual_lshlrev_b32 v1, 20, v26
	v_lshl_add_u32 v4, v5, 23, 0x3c000000
	v_mov_b32_e32 v110, v27
	s_delay_alu instid0(VALU_DEP_3) | instskip(NEXT) | instid1(VALU_DEP_1)
	v_and_b32_e32 v0, 0x80000000, v0
	v_or3_b32 v111, v1, v0, v4
.LBB200_887:                            ;   in Loop: Header=BB200_9 Depth=1
	s_or_b32 exec_lo, exec_lo, s18
.LBB200_888:                            ;   in Loop: Header=BB200_9 Depth=1
	s_delay_alu instid0(SALU_CYCLE_1)
	s_or_b32 exec_lo, exec_lo, s17
.LBB200_889:                            ;   in Loop: Header=BB200_9 Depth=1
	s_delay_alu instid0(SALU_CYCLE_1)
	s_or_b32 exec_lo, exec_lo, s11
	flat_load_u16 v0, v[36:37] offset:3340
	v_mov_b64_e32 v[16:17], 0
	v_mov_b64_e32 v[14:15], 0
	s_mov_b32 s11, exec_lo
	s_wait_loadcnt_dscnt 0x0
	v_and_b32_e32 v4, 0xffff, v0
	v_and_b32_e32 v0, 0xff, v0
	s_wait_xcnt 0x0
	s_delay_alu instid0(VALU_DEP_1)
	v_cmpx_ne_u16_e32 0, v0
	s_cbranch_execz .LBB200_897
; %bb.890:                              ;   in Loop: Header=BB200_9 Depth=1
	v_mov_b64_e32 v[14:15], 0x80000000
	v_and_b32_e32 v0, 0xff, v4
	s_mov_b32 s17, exec_lo
	s_delay_alu instid0(VALU_DEP_1)
	v_cmpx_ne_u16_e32 0x80, v0
	s_cbranch_execz .LBB200_896
; %bb.891:                              ;   in Loop: Header=BB200_9 Depth=1
	v_mov_b64_e32 v[14:15], 0x7f800001
	v_and_b32_e32 v6, 0x7f, v4
	s_mov_b32 s18, exec_lo
	s_delay_alu instid0(VALU_DEP_1)
	v_cmpx_ne_u32_e32 0x7f, v6
	s_cbranch_execz .LBB200_895
; %bb.892:                              ;   in Loop: Header=BB200_9 Depth=1
	v_dual_lshrrev_b32 v5, 3, v6 :: v_dual_bitop2_b32 v26, 7, v4 bitop3:0x40
	s_mov_b32 s19, exec_lo
	v_cmpx_gt_u32_e32 8, v6
; %bb.893:                              ;   in Loop: Header=BB200_9 Depth=1
	s_delay_alu instid0(VALU_DEP_2) | instskip(NEXT) | instid1(VALU_DEP_1)
	v_clz_i32_u32_e32 v0, v26
	v_min_u32_e32 v0, 32, v0
	s_delay_alu instid0(VALU_DEP_1) | instskip(NEXT) | instid1(VALU_DEP_1)
	v_subrev_nc_u32_e32 v1, 28, v0
	v_lshlrev_b64_e32 v[6:7], v1, v[26:27]
	s_delay_alu instid0(VALU_DEP_1)
	v_dual_sub_nc_u32 v5, 29, v0 :: v_dual_bitop2_b32 v26, 7, v6 bitop3:0x40
; %bb.894:                              ;   in Loop: Header=BB200_9 Depth=1
	s_or_b32 exec_lo, exec_lo, s19
	s_delay_alu instid0(VALU_DEP_1) | instskip(NEXT) | instid1(VALU_DEP_2)
	v_dual_lshlrev_b32 v0, 24, v4 :: v_dual_lshlrev_b32 v1, 20, v26
	v_lshl_add_u32 v5, v5, 23, 0x3c000000
	s_delay_alu instid0(VALU_DEP_2) | instskip(NEXT) | instid1(VALU_DEP_1)
	v_and_b32_e32 v0, 0x80000000, v0
	v_or3_b32 v26, v1, v0, v5
	s_delay_alu instid0(VALU_DEP_1)
	v_mov_b64_e32 v[14:15], v[26:27]
.LBB200_895:                            ;   in Loop: Header=BB200_9 Depth=1
	s_or_b32 exec_lo, exec_lo, s18
.LBB200_896:                            ;   in Loop: Header=BB200_9 Depth=1
	s_delay_alu instid0(SALU_CYCLE_1)
	s_or_b32 exec_lo, exec_lo, s17
.LBB200_897:                            ;   in Loop: Header=BB200_9 Depth=1
	s_delay_alu instid0(SALU_CYCLE_1) | instskip(SKIP_2) | instid1(VALU_DEP_1)
	s_or_b32 exec_lo, exec_lo, s11
	v_lshrrev_b16 v5, 8, v4
	s_mov_b32 s11, exec_lo
	v_cmpx_ne_u16_e32 0, v5
	s_cbranch_execz .LBB200_905
; %bb.898:                              ;   in Loop: Header=BB200_9 Depth=1
	v_mov_b64_e32 v[16:17], 0x8000000000000000
	s_mov_b32 s17, exec_lo
	v_cmpx_ne_u16_e32 0x80, v5
	s_cbranch_execz .LBB200_904
; %bb.899:                              ;   in Loop: Header=BB200_9 Depth=1
	v_and_b32_e32 v1, 0xffff, v5
	v_mov_b64_e32 v[16:17], 0x7f80000100000000
	s_mov_b32 s18, exec_lo
	s_delay_alu instid0(VALU_DEP_2) | instskip(NEXT) | instid1(VALU_DEP_1)
	v_and_b32_e32 v6, 0x7f, v1
	v_cmpx_ne_u32_e32 0x7f, v6
	s_cbranch_execz .LBB200_903
; %bb.900:                              ;   in Loop: Header=BB200_9 Depth=1
	v_dual_lshrrev_b32 v5, 3, v6 :: v_dual_bitop2_b32 v26, 7, v1 bitop3:0x40
	s_mov_b32 s19, exec_lo
	v_cmpx_gt_u32_e32 8, v6
; %bb.901:                              ;   in Loop: Header=BB200_9 Depth=1
	s_delay_alu instid0(VALU_DEP_2) | instskip(NEXT) | instid1(VALU_DEP_1)
	v_clz_i32_u32_e32 v0, v26
	v_min_u32_e32 v0, 32, v0
	s_delay_alu instid0(VALU_DEP_1) | instskip(NEXT) | instid1(VALU_DEP_1)
	v_subrev_nc_u32_e32 v1, 28, v0
	v_lshlrev_b64_e32 v[6:7], v1, v[26:27]
	s_delay_alu instid0(VALU_DEP_1)
	v_dual_sub_nc_u32 v5, 29, v0 :: v_dual_bitop2_b32 v26, 7, v6 bitop3:0x40
; %bb.902:                              ;   in Loop: Header=BB200_9 Depth=1
	s_or_b32 exec_lo, exec_lo, s19
	s_delay_alu instid0(VALU_DEP_1) | instskip(NEXT) | instid1(VALU_DEP_2)
	v_dual_lshlrev_b32 v0, 16, v4 :: v_dual_lshlrev_b32 v1, 20, v26
	v_lshl_add_u32 v4, v5, 23, 0x3c000000
	v_mov_b32_e32 v16, v27
	s_delay_alu instid0(VALU_DEP_3) | instskip(NEXT) | instid1(VALU_DEP_1)
	v_and_b32_e32 v0, 0x80000000, v0
	v_or3_b32 v17, v1, v0, v4
.LBB200_903:                            ;   in Loop: Header=BB200_9 Depth=1
	s_or_b32 exec_lo, exec_lo, s18
.LBB200_904:                            ;   in Loop: Header=BB200_9 Depth=1
	s_delay_alu instid0(SALU_CYCLE_1)
	s_or_b32 exec_lo, exec_lo, s17
.LBB200_905:                            ;   in Loop: Header=BB200_9 Depth=1
	s_delay_alu instid0(SALU_CYCLE_1)
	s_or_b32 exec_lo, exec_lo, s11
	flat_load_u16 v0, v[36:37] offset:3584
	v_mov_b64_e32 v[126:127], 0
	v_mov_b64_e32 v[12:13], 0
	s_mov_b32 s11, exec_lo
	s_wait_loadcnt_dscnt 0x0
	v_and_b32_e32 v4, 0xffff, v0
	v_and_b32_e32 v0, 0xff, v0
	s_wait_xcnt 0x0
	s_delay_alu instid0(VALU_DEP_1)
	v_cmpx_ne_u16_e32 0, v0
	s_cbranch_execz .LBB200_913
; %bb.906:                              ;   in Loop: Header=BB200_9 Depth=1
	v_mov_b64_e32 v[12:13], 0x80000000
	v_and_b32_e32 v0, 0xff, v4
	s_mov_b32 s17, exec_lo
	s_delay_alu instid0(VALU_DEP_1)
	v_cmpx_ne_u16_e32 0x80, v0
	s_cbranch_execz .LBB200_912
; %bb.907:                              ;   in Loop: Header=BB200_9 Depth=1
	v_mov_b64_e32 v[12:13], 0x7f800001
	v_and_b32_e32 v6, 0x7f, v4
	s_mov_b32 s18, exec_lo
	s_delay_alu instid0(VALU_DEP_1)
	v_cmpx_ne_u32_e32 0x7f, v6
	s_cbranch_execz .LBB200_911
; %bb.908:                              ;   in Loop: Header=BB200_9 Depth=1
	v_dual_lshrrev_b32 v5, 3, v6 :: v_dual_bitop2_b32 v26, 7, v4 bitop3:0x40
	s_mov_b32 s19, exec_lo
	v_cmpx_gt_u32_e32 8, v6
; %bb.909:                              ;   in Loop: Header=BB200_9 Depth=1
	s_delay_alu instid0(VALU_DEP_2) | instskip(NEXT) | instid1(VALU_DEP_1)
	v_clz_i32_u32_e32 v0, v26
	v_min_u32_e32 v0, 32, v0
	s_delay_alu instid0(VALU_DEP_1) | instskip(NEXT) | instid1(VALU_DEP_1)
	v_subrev_nc_u32_e32 v1, 28, v0
	v_lshlrev_b64_e32 v[6:7], v1, v[26:27]
	s_delay_alu instid0(VALU_DEP_1)
	v_dual_sub_nc_u32 v5, 29, v0 :: v_dual_bitop2_b32 v26, 7, v6 bitop3:0x40
; %bb.910:                              ;   in Loop: Header=BB200_9 Depth=1
	s_or_b32 exec_lo, exec_lo, s19
	s_delay_alu instid0(VALU_DEP_1) | instskip(NEXT) | instid1(VALU_DEP_2)
	v_dual_lshlrev_b32 v0, 24, v4 :: v_dual_lshlrev_b32 v1, 20, v26
	v_lshl_add_u32 v5, v5, 23, 0x3c000000
	s_delay_alu instid0(VALU_DEP_2) | instskip(NEXT) | instid1(VALU_DEP_1)
	v_and_b32_e32 v0, 0x80000000, v0
	v_or3_b32 v26, v1, v0, v5
	s_delay_alu instid0(VALU_DEP_1)
	v_mov_b64_e32 v[12:13], v[26:27]
.LBB200_911:                            ;   in Loop: Header=BB200_9 Depth=1
	s_or_b32 exec_lo, exec_lo, s18
.LBB200_912:                            ;   in Loop: Header=BB200_9 Depth=1
	s_delay_alu instid0(SALU_CYCLE_1)
	s_or_b32 exec_lo, exec_lo, s17
.LBB200_913:                            ;   in Loop: Header=BB200_9 Depth=1
	s_delay_alu instid0(SALU_CYCLE_1) | instskip(SKIP_2) | instid1(VALU_DEP_1)
	s_or_b32 exec_lo, exec_lo, s11
	v_lshrrev_b16 v5, 8, v4
	s_mov_b32 s11, exec_lo
	v_cmpx_ne_u16_e32 0, v5
	s_cbranch_execz .LBB200_921
; %bb.914:                              ;   in Loop: Header=BB200_9 Depth=1
	v_mov_b64_e32 v[126:127], 0x8000000000000000
	s_mov_b32 s17, exec_lo
	v_cmpx_ne_u16_e32 0x80, v5
	s_cbranch_execz .LBB200_920
; %bb.915:                              ;   in Loop: Header=BB200_9 Depth=1
	v_and_b32_e32 v1, 0xffff, v5
	v_mov_b64_e32 v[126:127], 0x7f80000100000000
	s_mov_b32 s18, exec_lo
	s_delay_alu instid0(VALU_DEP_2) | instskip(NEXT) | instid1(VALU_DEP_1)
	v_and_b32_e32 v6, 0x7f, v1
	v_cmpx_ne_u32_e32 0x7f, v6
	s_cbranch_execz .LBB200_919
; %bb.916:                              ;   in Loop: Header=BB200_9 Depth=1
	v_dual_lshrrev_b32 v5, 3, v6 :: v_dual_bitop2_b32 v26, 7, v1 bitop3:0x40
	s_mov_b32 s19, exec_lo
	v_cmpx_gt_u32_e32 8, v6
; %bb.917:                              ;   in Loop: Header=BB200_9 Depth=1
	s_delay_alu instid0(VALU_DEP_2) | instskip(NEXT) | instid1(VALU_DEP_1)
	v_clz_i32_u32_e32 v0, v26
	v_min_u32_e32 v0, 32, v0
	s_delay_alu instid0(VALU_DEP_1) | instskip(NEXT) | instid1(VALU_DEP_1)
	v_subrev_nc_u32_e32 v1, 28, v0
	v_lshlrev_b64_e32 v[6:7], v1, v[26:27]
	s_delay_alu instid0(VALU_DEP_1)
	v_dual_sub_nc_u32 v5, 29, v0 :: v_dual_bitop2_b32 v26, 7, v6 bitop3:0x40
; %bb.918:                              ;   in Loop: Header=BB200_9 Depth=1
	s_or_b32 exec_lo, exec_lo, s19
	s_delay_alu instid0(VALU_DEP_1) | instskip(NEXT) | instid1(VALU_DEP_2)
	v_dual_lshlrev_b32 v0, 16, v4 :: v_dual_lshlrev_b32 v1, 20, v26
	v_lshl_add_u32 v4, v5, 23, 0x3c000000
	v_mov_b32_e32 v126, v27
	s_delay_alu instid0(VALU_DEP_3) | instskip(NEXT) | instid1(VALU_DEP_1)
	v_and_b32_e32 v0, 0x80000000, v0
	v_or3_b32 v127, v1, v0, v4
.LBB200_919:                            ;   in Loop: Header=BB200_9 Depth=1
	s_or_b32 exec_lo, exec_lo, s18
.LBB200_920:                            ;   in Loop: Header=BB200_9 Depth=1
	s_delay_alu instid0(SALU_CYCLE_1)
	s_or_b32 exec_lo, exec_lo, s17
.LBB200_921:                            ;   in Loop: Header=BB200_9 Depth=1
	s_delay_alu instid0(SALU_CYCLE_1)
	s_or_b32 exec_lo, exec_lo, s11
	flat_load_u16 v0, v[36:37] offset:3588
	v_mov_b64_e32 v[4:5], 0
	v_mov_b64_e32 v[6:7], 0
	s_mov_b32 s11, exec_lo
	s_wait_loadcnt_dscnt 0x0
	v_and_b32_e32 v8, 0xffff, v0
	v_and_b32_e32 v0, 0xff, v0
	s_wait_xcnt 0x0
	s_delay_alu instid0(VALU_DEP_1)
	v_cmpx_ne_u16_e32 0, v0
	s_cbranch_execz .LBB200_929
; %bb.922:                              ;   in Loop: Header=BB200_9 Depth=1
	v_mov_b64_e32 v[6:7], 0x80000000
	v_and_b32_e32 v0, 0xff, v8
	s_mov_b32 s17, exec_lo
	s_delay_alu instid0(VALU_DEP_1)
	v_cmpx_ne_u16_e32 0x80, v0
	s_cbranch_execz .LBB200_928
; %bb.923:                              ;   in Loop: Header=BB200_9 Depth=1
	v_mov_b64_e32 v[6:7], 0x7f800001
	v_and_b32_e32 v9, 0x7f, v8
	s_mov_b32 s18, exec_lo
	s_delay_alu instid0(VALU_DEP_1)
	v_cmpx_ne_u32_e32 0x7f, v9
	s_cbranch_execz .LBB200_927
; %bb.924:                              ;   in Loop: Header=BB200_9 Depth=1
	v_dual_lshrrev_b32 v6, 3, v9 :: v_dual_bitop2_b32 v26, 7, v8 bitop3:0x40
	s_mov_b32 s19, exec_lo
	v_cmpx_gt_u32_e32 8, v9
; %bb.925:                              ;   in Loop: Header=BB200_9 Depth=1
	s_delay_alu instid0(VALU_DEP_2) | instskip(NEXT) | instid1(VALU_DEP_1)
	v_clz_i32_u32_e32 v0, v26
	v_min_u32_e32 v0, 32, v0
	s_delay_alu instid0(VALU_DEP_1) | instskip(NEXT) | instid1(VALU_DEP_1)
	v_subrev_nc_u32_e32 v1, 28, v0
	v_lshlrev_b64_e32 v[10:11], v1, v[26:27]
	s_delay_alu instid0(VALU_DEP_1)
	v_dual_sub_nc_u32 v6, 29, v0 :: v_dual_bitop2_b32 v26, 7, v10 bitop3:0x40
; %bb.926:                              ;   in Loop: Header=BB200_9 Depth=1
	s_or_b32 exec_lo, exec_lo, s19
	s_delay_alu instid0(VALU_DEP_1) | instskip(NEXT) | instid1(VALU_DEP_2)
	v_dual_lshlrev_b32 v0, 24, v8 :: v_dual_lshlrev_b32 v1, 20, v26
	v_lshl_add_u32 v6, v6, 23, 0x3c000000
	s_delay_alu instid0(VALU_DEP_2) | instskip(NEXT) | instid1(VALU_DEP_1)
	v_and_b32_e32 v0, 0x80000000, v0
	v_or3_b32 v26, v1, v0, v6
	s_delay_alu instid0(VALU_DEP_1)
	v_mov_b64_e32 v[6:7], v[26:27]
.LBB200_927:                            ;   in Loop: Header=BB200_9 Depth=1
	s_or_b32 exec_lo, exec_lo, s18
.LBB200_928:                            ;   in Loop: Header=BB200_9 Depth=1
	s_delay_alu instid0(SALU_CYCLE_1)
	s_or_b32 exec_lo, exec_lo, s17
.LBB200_929:                            ;   in Loop: Header=BB200_9 Depth=1
	s_delay_alu instid0(SALU_CYCLE_1) | instskip(SKIP_2) | instid1(VALU_DEP_1)
	s_or_b32 exec_lo, exec_lo, s11
	v_lshrrev_b16 v9, 8, v8
	s_mov_b32 s11, exec_lo
	v_cmpx_ne_u16_e32 0, v9
	s_cbranch_execz .LBB200_937
; %bb.930:                              ;   in Loop: Header=BB200_9 Depth=1
	v_mov_b64_e32 v[4:5], 0x8000000000000000
	s_mov_b32 s17, exec_lo
	v_cmpx_ne_u16_e32 0x80, v9
	s_cbranch_execz .LBB200_936
; %bb.931:                              ;   in Loop: Header=BB200_9 Depth=1
	v_and_b32_e32 v1, 0xffff, v9
	v_mov_b64_e32 v[4:5], 0x7f80000100000000
	s_mov_b32 s18, exec_lo
	s_delay_alu instid0(VALU_DEP_2) | instskip(NEXT) | instid1(VALU_DEP_1)
	v_and_b32_e32 v9, 0x7f, v1
	v_cmpx_ne_u32_e32 0x7f, v9
	s_cbranch_execz .LBB200_935
; %bb.932:                              ;   in Loop: Header=BB200_9 Depth=1
	v_and_b32_e32 v26, 7, v1
	v_lshrrev_b32_e32 v4, 3, v9
	s_mov_b32 s19, exec_lo
	v_cmpx_gt_u32_e32 8, v9
; %bb.933:                              ;   in Loop: Header=BB200_9 Depth=1
	s_delay_alu instid0(VALU_DEP_3) | instskip(NEXT) | instid1(VALU_DEP_1)
	v_clz_i32_u32_e32 v0, v26
	v_min_u32_e32 v0, 32, v0
	s_delay_alu instid0(VALU_DEP_1) | instskip(NEXT) | instid1(VALU_DEP_1)
	v_subrev_nc_u32_e32 v1, 28, v0
	v_lshlrev_b64_e32 v[10:11], v1, v[26:27]
	s_delay_alu instid0(VALU_DEP_1)
	v_dual_sub_nc_u32 v4, 29, v0 :: v_dual_bitop2_b32 v26, 7, v10 bitop3:0x40
; %bb.934:                              ;   in Loop: Header=BB200_9 Depth=1
	s_or_b32 exec_lo, exec_lo, s19
	s_delay_alu instid0(VALU_DEP_1) | instskip(NEXT) | instid1(VALU_DEP_2)
	v_dual_lshlrev_b32 v0, 16, v8 :: v_dual_lshlrev_b32 v1, 20, v26
	v_lshl_add_u32 v4, v4, 23, 0x3c000000
	s_delay_alu instid0(VALU_DEP_2) | instskip(NEXT) | instid1(VALU_DEP_1)
	v_and_b32_e32 v0, 0x80000000, v0
	v_or3_b32 v5, v1, v0, v4
	v_mov_b32_e32 v4, v27
.LBB200_935:                            ;   in Loop: Header=BB200_9 Depth=1
	s_or_b32 exec_lo, exec_lo, s18
.LBB200_936:                            ;   in Loop: Header=BB200_9 Depth=1
	s_delay_alu instid0(SALU_CYCLE_1)
	s_or_b32 exec_lo, exec_lo, s17
.LBB200_937:                            ;   in Loop: Header=BB200_9 Depth=1
	s_delay_alu instid0(SALU_CYCLE_1)
	s_or_b32 exec_lo, exec_lo, s11
	flat_load_u16 v0, v[36:37] offset:3592
	v_mov_b64_e32 v[18:19], 0
	v_mov_b64_e32 v[84:85], 0
	s_mov_b32 s11, exec_lo
	s_wait_loadcnt_dscnt 0x0
	v_and_b32_e32 v8, 0xffff, v0
	v_and_b32_e32 v0, 0xff, v0
	s_wait_xcnt 0x0
	s_delay_alu instid0(VALU_DEP_1)
	v_cmpx_ne_u16_e32 0, v0
	s_cbranch_execz .LBB200_945
; %bb.938:                              ;   in Loop: Header=BB200_9 Depth=1
	v_mov_b64_e32 v[84:85], 0x80000000
	v_and_b32_e32 v0, 0xff, v8
	s_mov_b32 s17, exec_lo
	s_delay_alu instid0(VALU_DEP_1)
	v_cmpx_ne_u16_e32 0x80, v0
	s_cbranch_execz .LBB200_944
; %bb.939:                              ;   in Loop: Header=BB200_9 Depth=1
	v_mov_b64_e32 v[84:85], 0x7f800001
	v_and_b32_e32 v10, 0x7f, v8
	s_mov_b32 s18, exec_lo
	s_delay_alu instid0(VALU_DEP_1)
	v_cmpx_ne_u32_e32 0x7f, v10
	s_cbranch_execz .LBB200_943
; %bb.940:                              ;   in Loop: Header=BB200_9 Depth=1
	v_dual_lshrrev_b32 v9, 3, v10 :: v_dual_bitop2_b32 v26, 7, v8 bitop3:0x40
	s_mov_b32 s19, exec_lo
	v_cmpx_gt_u32_e32 8, v10
; %bb.941:                              ;   in Loop: Header=BB200_9 Depth=1
	s_delay_alu instid0(VALU_DEP_2) | instskip(NEXT) | instid1(VALU_DEP_1)
	v_clz_i32_u32_e32 v0, v26
	v_min_u32_e32 v0, 32, v0
	s_delay_alu instid0(VALU_DEP_1) | instskip(NEXT) | instid1(VALU_DEP_1)
	v_subrev_nc_u32_e32 v1, 28, v0
	v_lshlrev_b64_e32 v[10:11], v1, v[26:27]
	s_delay_alu instid0(VALU_DEP_1)
	v_dual_sub_nc_u32 v9, 29, v0 :: v_dual_bitop2_b32 v26, 7, v10 bitop3:0x40
; %bb.942:                              ;   in Loop: Header=BB200_9 Depth=1
	s_or_b32 exec_lo, exec_lo, s19
	s_delay_alu instid0(VALU_DEP_1) | instskip(NEXT) | instid1(VALU_DEP_2)
	v_dual_lshlrev_b32 v0, 24, v8 :: v_dual_lshlrev_b32 v1, 20, v26
	v_lshl_add_u32 v9, v9, 23, 0x3c000000
	s_delay_alu instid0(VALU_DEP_2) | instskip(NEXT) | instid1(VALU_DEP_1)
	v_and_b32_e32 v0, 0x80000000, v0
	v_or3_b32 v26, v1, v0, v9
	s_delay_alu instid0(VALU_DEP_1)
	v_mov_b64_e32 v[84:85], v[26:27]
.LBB200_943:                            ;   in Loop: Header=BB200_9 Depth=1
	s_or_b32 exec_lo, exec_lo, s18
.LBB200_944:                            ;   in Loop: Header=BB200_9 Depth=1
	s_delay_alu instid0(SALU_CYCLE_1)
	s_or_b32 exec_lo, exec_lo, s17
.LBB200_945:                            ;   in Loop: Header=BB200_9 Depth=1
	s_delay_alu instid0(SALU_CYCLE_1) | instskip(SKIP_2) | instid1(VALU_DEP_1)
	s_or_b32 exec_lo, exec_lo, s11
	v_lshrrev_b16 v9, 8, v8
	s_mov_b32 s11, exec_lo
	v_cmpx_ne_u16_e32 0, v9
	s_cbranch_execz .LBB200_953
; %bb.946:                              ;   in Loop: Header=BB200_9 Depth=1
	v_mov_b64_e32 v[18:19], 0x8000000000000000
	s_mov_b32 s17, exec_lo
	v_cmpx_ne_u16_e32 0x80, v9
	s_cbranch_execz .LBB200_952
; %bb.947:                              ;   in Loop: Header=BB200_9 Depth=1
	v_and_b32_e32 v1, 0xffff, v9
	v_mov_b64_e32 v[18:19], 0x7f80000100000000
	s_mov_b32 s18, exec_lo
	s_delay_alu instid0(VALU_DEP_2) | instskip(NEXT) | instid1(VALU_DEP_1)
	v_and_b32_e32 v10, 0x7f, v1
	v_cmpx_ne_u32_e32 0x7f, v10
	s_cbranch_execz .LBB200_951
; %bb.948:                              ;   in Loop: Header=BB200_9 Depth=1
	v_dual_lshrrev_b32 v9, 3, v10 :: v_dual_bitop2_b32 v26, 7, v1 bitop3:0x40
	s_mov_b32 s19, exec_lo
	v_cmpx_gt_u32_e32 8, v10
; %bb.949:                              ;   in Loop: Header=BB200_9 Depth=1
	s_delay_alu instid0(VALU_DEP_2) | instskip(NEXT) | instid1(VALU_DEP_1)
	v_clz_i32_u32_e32 v0, v26
	v_min_u32_e32 v0, 32, v0
	s_delay_alu instid0(VALU_DEP_1) | instskip(NEXT) | instid1(VALU_DEP_1)
	v_subrev_nc_u32_e32 v1, 28, v0
	v_lshlrev_b64_e32 v[10:11], v1, v[26:27]
	s_delay_alu instid0(VALU_DEP_1)
	v_dual_sub_nc_u32 v9, 29, v0 :: v_dual_bitop2_b32 v26, 7, v10 bitop3:0x40
; %bb.950:                              ;   in Loop: Header=BB200_9 Depth=1
	s_or_b32 exec_lo, exec_lo, s19
	s_delay_alu instid0(VALU_DEP_1) | instskip(NEXT) | instid1(VALU_DEP_2)
	v_dual_lshlrev_b32 v0, 16, v8 :: v_dual_lshlrev_b32 v1, 20, v26
	v_lshl_add_u32 v8, v9, 23, 0x3c000000
	v_mov_b32_e32 v18, v27
	s_delay_alu instid0(VALU_DEP_3) | instskip(NEXT) | instid1(VALU_DEP_1)
	v_and_b32_e32 v0, 0x80000000, v0
	v_or3_b32 v19, v1, v0, v8
.LBB200_951:                            ;   in Loop: Header=BB200_9 Depth=1
	s_or_b32 exec_lo, exec_lo, s18
.LBB200_952:                            ;   in Loop: Header=BB200_9 Depth=1
	s_delay_alu instid0(SALU_CYCLE_1)
	s_or_b32 exec_lo, exec_lo, s17
.LBB200_953:                            ;   in Loop: Header=BB200_9 Depth=1
	s_delay_alu instid0(SALU_CYCLE_1)
	s_or_b32 exec_lo, exec_lo, s11
	flat_load_u16 v0, v[36:37] offset:3596
	v_mov_b64_e32 v[22:23], 0
	v_mov_b64_e32 v[34:35], 0
	s_mov_b32 s11, exec_lo
	s_wait_loadcnt_dscnt 0x0
	v_and_b32_e32 v8, 0xffff, v0
	v_and_b32_e32 v0, 0xff, v0
	s_wait_xcnt 0x0
	s_delay_alu instid0(VALU_DEP_1)
	v_cmpx_ne_u16_e32 0, v0
	s_cbranch_execz .LBB200_961
; %bb.954:                              ;   in Loop: Header=BB200_9 Depth=1
	v_mov_b64_e32 v[34:35], 0x80000000
	v_and_b32_e32 v0, 0xff, v8
	s_mov_b32 s17, exec_lo
	s_delay_alu instid0(VALU_DEP_1)
	v_cmpx_ne_u16_e32 0x80, v0
	s_cbranch_execz .LBB200_960
; %bb.955:                              ;   in Loop: Header=BB200_9 Depth=1
	v_mov_b64_e32 v[34:35], 0x7f800001
	v_and_b32_e32 v10, 0x7f, v8
	s_mov_b32 s18, exec_lo
	s_delay_alu instid0(VALU_DEP_1)
	v_cmpx_ne_u32_e32 0x7f, v10
	s_cbranch_execz .LBB200_959
; %bb.956:                              ;   in Loop: Header=BB200_9 Depth=1
	v_dual_lshrrev_b32 v9, 3, v10 :: v_dual_bitop2_b32 v26, 7, v8 bitop3:0x40
	s_mov_b32 s19, exec_lo
	v_cmpx_gt_u32_e32 8, v10
; %bb.957:                              ;   in Loop: Header=BB200_9 Depth=1
	s_delay_alu instid0(VALU_DEP_2) | instskip(NEXT) | instid1(VALU_DEP_1)
	v_clz_i32_u32_e32 v0, v26
	v_min_u32_e32 v0, 32, v0
	s_delay_alu instid0(VALU_DEP_1) | instskip(NEXT) | instid1(VALU_DEP_1)
	v_subrev_nc_u32_e32 v1, 28, v0
	v_lshlrev_b64_e32 v[10:11], v1, v[26:27]
	s_delay_alu instid0(VALU_DEP_1)
	v_dual_sub_nc_u32 v9, 29, v0 :: v_dual_bitop2_b32 v26, 7, v10 bitop3:0x40
; %bb.958:                              ;   in Loop: Header=BB200_9 Depth=1
	s_or_b32 exec_lo, exec_lo, s19
	s_delay_alu instid0(VALU_DEP_1) | instskip(NEXT) | instid1(VALU_DEP_2)
	v_dual_lshlrev_b32 v0, 24, v8 :: v_dual_lshlrev_b32 v1, 20, v26
	v_lshl_add_u32 v9, v9, 23, 0x3c000000
	s_delay_alu instid0(VALU_DEP_2) | instskip(NEXT) | instid1(VALU_DEP_1)
	v_and_b32_e32 v0, 0x80000000, v0
	v_or3_b32 v26, v1, v0, v9
	s_delay_alu instid0(VALU_DEP_1)
	v_mov_b64_e32 v[34:35], v[26:27]
.LBB200_959:                            ;   in Loop: Header=BB200_9 Depth=1
	s_or_b32 exec_lo, exec_lo, s18
.LBB200_960:                            ;   in Loop: Header=BB200_9 Depth=1
	s_delay_alu instid0(SALU_CYCLE_1)
	s_or_b32 exec_lo, exec_lo, s17
.LBB200_961:                            ;   in Loop: Header=BB200_9 Depth=1
	s_delay_alu instid0(SALU_CYCLE_1) | instskip(SKIP_2) | instid1(VALU_DEP_1)
	s_or_b32 exec_lo, exec_lo, s11
	v_lshrrev_b16 v9, 8, v8
	s_mov_b32 s11, exec_lo
	v_cmpx_ne_u16_e32 0, v9
	s_cbranch_execz .LBB200_969
; %bb.962:                              ;   in Loop: Header=BB200_9 Depth=1
	v_mov_b64_e32 v[22:23], 0x8000000000000000
	s_mov_b32 s17, exec_lo
	v_cmpx_ne_u16_e32 0x80, v9
	s_cbranch_execz .LBB200_968
; %bb.963:                              ;   in Loop: Header=BB200_9 Depth=1
	v_and_b32_e32 v1, 0xffff, v9
	v_mov_b64_e32 v[22:23], 0x7f80000100000000
	s_mov_b32 s18, exec_lo
	s_delay_alu instid0(VALU_DEP_2) | instskip(NEXT) | instid1(VALU_DEP_1)
	v_and_b32_e32 v10, 0x7f, v1
	v_cmpx_ne_u32_e32 0x7f, v10
	s_cbranch_execz .LBB200_967
; %bb.964:                              ;   in Loop: Header=BB200_9 Depth=1
	v_dual_lshrrev_b32 v9, 3, v10 :: v_dual_bitop2_b32 v26, 7, v1 bitop3:0x40
	s_mov_b32 s19, exec_lo
	v_cmpx_gt_u32_e32 8, v10
; %bb.965:                              ;   in Loop: Header=BB200_9 Depth=1
	s_delay_alu instid0(VALU_DEP_2) | instskip(NEXT) | instid1(VALU_DEP_1)
	v_clz_i32_u32_e32 v0, v26
	v_min_u32_e32 v0, 32, v0
	s_delay_alu instid0(VALU_DEP_1) | instskip(NEXT) | instid1(VALU_DEP_1)
	v_subrev_nc_u32_e32 v1, 28, v0
	v_lshlrev_b64_e32 v[10:11], v1, v[26:27]
	s_delay_alu instid0(VALU_DEP_1)
	v_dual_sub_nc_u32 v9, 29, v0 :: v_dual_bitop2_b32 v26, 7, v10 bitop3:0x40
; %bb.966:                              ;   in Loop: Header=BB200_9 Depth=1
	s_or_b32 exec_lo, exec_lo, s19
	s_delay_alu instid0(VALU_DEP_1) | instskip(NEXT) | instid1(VALU_DEP_2)
	v_dual_lshlrev_b32 v0, 16, v8 :: v_dual_lshlrev_b32 v1, 20, v26
	v_lshl_add_u32 v8, v9, 23, 0x3c000000
	v_mov_b32_e32 v22, v27
	s_delay_alu instid0(VALU_DEP_3) | instskip(NEXT) | instid1(VALU_DEP_1)
	v_and_b32_e32 v0, 0x80000000, v0
	v_or3_b32 v23, v1, v0, v8
.LBB200_967:                            ;   in Loop: Header=BB200_9 Depth=1
	s_or_b32 exec_lo, exec_lo, s18
.LBB200_968:                            ;   in Loop: Header=BB200_9 Depth=1
	s_delay_alu instid0(SALU_CYCLE_1)
	s_or_b32 exec_lo, exec_lo, s17
.LBB200_969:                            ;   in Loop: Header=BB200_9 Depth=1
	s_delay_alu instid0(SALU_CYCLE_1)
	s_or_b32 exec_lo, exec_lo, s11
	flat_load_u16 v0, v[36:37] offset:3840
	v_mov_b64_e32 v[8:9], 0
	v_mov_b64_e32 v[24:25], 0
	s_mov_b32 s11, exec_lo
	s_wait_loadcnt_dscnt 0x0
	v_and_b32_e32 v10, 0xffff, v0
	v_and_b32_e32 v0, 0xff, v0
	s_wait_xcnt 0x0
	s_delay_alu instid0(VALU_DEP_1)
	v_cmpx_ne_u16_e32 0, v0
	s_cbranch_execz .LBB200_977
; %bb.970:                              ;   in Loop: Header=BB200_9 Depth=1
	v_mov_b64_e32 v[24:25], 0x80000000
	v_and_b32_e32 v0, 0xff, v10
	s_mov_b32 s17, exec_lo
	s_delay_alu instid0(VALU_DEP_1)
	v_cmpx_ne_u16_e32 0x80, v0
	s_cbranch_execz .LBB200_976
; %bb.971:                              ;   in Loop: Header=BB200_9 Depth=1
	v_mov_b64_e32 v[24:25], 0x7f800001
	v_and_b32_e32 v28, 0x7f, v10
	s_mov_b32 s18, exec_lo
	s_delay_alu instid0(VALU_DEP_1)
	v_cmpx_ne_u32_e32 0x7f, v28
	s_cbranch_execz .LBB200_975
; %bb.972:                              ;   in Loop: Header=BB200_9 Depth=1
	v_dual_lshrrev_b32 v11, 3, v28 :: v_dual_bitop2_b32 v26, 7, v10 bitop3:0x40
	s_mov_b32 s19, exec_lo
	v_cmpx_gt_u32_e32 8, v28
; %bb.973:                              ;   in Loop: Header=BB200_9 Depth=1
	s_delay_alu instid0(VALU_DEP_2) | instskip(NEXT) | instid1(VALU_DEP_1)
	v_clz_i32_u32_e32 v0, v26
	v_min_u32_e32 v0, 32, v0
	s_delay_alu instid0(VALU_DEP_1) | instskip(SKIP_1) | instid1(VALU_DEP_2)
	v_subrev_nc_u32_e32 v1, 28, v0
	v_sub_nc_u32_e32 v11, 29, v0
	v_lshlrev_b64_e32 v[24:25], v1, v[26:27]
	s_delay_alu instid0(VALU_DEP_1)
	v_and_b32_e32 v26, 7, v24
; %bb.974:                              ;   in Loop: Header=BB200_9 Depth=1
	s_or_b32 exec_lo, exec_lo, s19
	v_lshlrev_b32_e32 v0, 24, v10
	s_delay_alu instid0(VALU_DEP_2) | instskip(SKIP_1) | instid1(VALU_DEP_3)
	v_lshlrev_b32_e32 v1, 20, v26
	v_lshl_add_u32 v11, v11, 23, 0x3c000000
	v_and_b32_e32 v0, 0x80000000, v0
	s_delay_alu instid0(VALU_DEP_1) | instskip(NEXT) | instid1(VALU_DEP_1)
	v_or3_b32 v26, v1, v0, v11
	v_mov_b64_e32 v[24:25], v[26:27]
.LBB200_975:                            ;   in Loop: Header=BB200_9 Depth=1
	s_or_b32 exec_lo, exec_lo, s18
.LBB200_976:                            ;   in Loop: Header=BB200_9 Depth=1
	s_delay_alu instid0(SALU_CYCLE_1)
	s_or_b32 exec_lo, exec_lo, s17
.LBB200_977:                            ;   in Loop: Header=BB200_9 Depth=1
	s_delay_alu instid0(SALU_CYCLE_1) | instskip(SKIP_2) | instid1(VALU_DEP_1)
	s_or_b32 exec_lo, exec_lo, s11
	v_lshrrev_b16 v11, 8, v10
	s_mov_b32 s11, exec_lo
	v_cmpx_ne_u16_e32 0, v11
	s_cbranch_execz .LBB200_985
; %bb.978:                              ;   in Loop: Header=BB200_9 Depth=1
	v_mov_b64_e32 v[8:9], 0x8000000000000000
	s_mov_b32 s17, exec_lo
	v_cmpx_ne_u16_e32 0x80, v11
	s_cbranch_execz .LBB200_984
; %bb.979:                              ;   in Loop: Header=BB200_9 Depth=1
	v_and_b32_e32 v1, 0xffff, v11
	v_mov_b64_e32 v[8:9], 0x7f80000100000000
	s_mov_b32 s18, exec_lo
	s_delay_alu instid0(VALU_DEP_2) | instskip(NEXT) | instid1(VALU_DEP_1)
	v_and_b32_e32 v11, 0x7f, v1
	v_cmpx_ne_u32_e32 0x7f, v11
	s_cbranch_execz .LBB200_983
; %bb.980:                              ;   in Loop: Header=BB200_9 Depth=1
	v_dual_lshrrev_b32 v8, 3, v11 :: v_dual_bitop2_b32 v26, 7, v1 bitop3:0x40
	s_mov_b32 s19, exec_lo
	v_cmpx_gt_u32_e32 8, v11
; %bb.981:                              ;   in Loop: Header=BB200_9 Depth=1
	s_delay_alu instid0(VALU_DEP_2) | instskip(NEXT) | instid1(VALU_DEP_1)
	v_clz_i32_u32_e32 v0, v26
	v_min_u32_e32 v0, 32, v0
	s_delay_alu instid0(VALU_DEP_1) | instskip(SKIP_1) | instid1(VALU_DEP_2)
	v_subrev_nc_u32_e32 v1, 28, v0
	v_sub_nc_u32_e32 v8, 29, v0
	v_lshlrev_b64_e32 v[28:29], v1, v[26:27]
	s_delay_alu instid0(VALU_DEP_1)
	v_and_b32_e32 v26, 7, v28
; %bb.982:                              ;   in Loop: Header=BB200_9 Depth=1
	s_or_b32 exec_lo, exec_lo, s19
	v_lshlrev_b32_e32 v0, 16, v10
	s_delay_alu instid0(VALU_DEP_2) | instskip(SKIP_1) | instid1(VALU_DEP_3)
	v_lshlrev_b32_e32 v1, 20, v26
	v_lshl_add_u32 v8, v8, 23, 0x3c000000
	v_and_b32_e32 v0, 0x80000000, v0
	s_delay_alu instid0(VALU_DEP_1)
	v_or3_b32 v9, v1, v0, v8
	v_mov_b32_e32 v8, v27
.LBB200_983:                            ;   in Loop: Header=BB200_9 Depth=1
	s_or_b32 exec_lo, exec_lo, s18
.LBB200_984:                            ;   in Loop: Header=BB200_9 Depth=1
	s_delay_alu instid0(SALU_CYCLE_1)
	s_or_b32 exec_lo, exec_lo, s17
.LBB200_985:                            ;   in Loop: Header=BB200_9 Depth=1
	s_delay_alu instid0(SALU_CYCLE_1)
	s_or_b32 exec_lo, exec_lo, s11
	flat_load_u16 v0, v[36:37] offset:3844
	v_mov_b64_e32 v[30:31], 0
	v_mov_b64_e32 v[28:29], 0
	s_mov_b32 s11, exec_lo
	s_wait_loadcnt_dscnt 0x0
	v_and_b32_e32 v10, 0xffff, v0
	v_and_b32_e32 v0, 0xff, v0
	s_wait_xcnt 0x0
	s_delay_alu instid0(VALU_DEP_1)
	v_cmpx_ne_u16_e32 0, v0
	s_cbranch_execz .LBB200_993
; %bb.986:                              ;   in Loop: Header=BB200_9 Depth=1
	v_mov_b64_e32 v[28:29], 0x80000000
	v_and_b32_e32 v0, 0xff, v10
	s_mov_b32 s17, exec_lo
	s_delay_alu instid0(VALU_DEP_1)
	v_cmpx_ne_u16_e32 0x80, v0
	s_cbranch_execz .LBB200_992
; %bb.987:                              ;   in Loop: Header=BB200_9 Depth=1
	v_mov_b64_e32 v[28:29], 0x7f800001
	v_and_b32_e32 v32, 0x7f, v10
	s_mov_b32 s18, exec_lo
	s_delay_alu instid0(VALU_DEP_1)
	v_cmpx_ne_u32_e32 0x7f, v32
	s_cbranch_execz .LBB200_991
; %bb.988:                              ;   in Loop: Header=BB200_9 Depth=1
	v_dual_lshrrev_b32 v11, 3, v32 :: v_dual_bitop2_b32 v26, 7, v10 bitop3:0x40
	s_mov_b32 s19, exec_lo
	v_cmpx_gt_u32_e32 8, v32
; %bb.989:                              ;   in Loop: Header=BB200_9 Depth=1
	s_delay_alu instid0(VALU_DEP_2) | instskip(NEXT) | instid1(VALU_DEP_1)
	v_clz_i32_u32_e32 v0, v26
	v_min_u32_e32 v0, 32, v0
	s_delay_alu instid0(VALU_DEP_1) | instskip(SKIP_1) | instid1(VALU_DEP_2)
	v_subrev_nc_u32_e32 v1, 28, v0
	v_sub_nc_u32_e32 v11, 29, v0
	v_lshlrev_b64_e32 v[28:29], v1, v[26:27]
	s_delay_alu instid0(VALU_DEP_1)
	v_and_b32_e32 v26, 7, v28
; %bb.990:                              ;   in Loop: Header=BB200_9 Depth=1
	s_or_b32 exec_lo, exec_lo, s19
	v_lshlrev_b32_e32 v0, 24, v10
	s_delay_alu instid0(VALU_DEP_2) | instskip(SKIP_1) | instid1(VALU_DEP_3)
	v_lshlrev_b32_e32 v1, 20, v26
	v_lshl_add_u32 v11, v11, 23, 0x3c000000
	v_and_b32_e32 v0, 0x80000000, v0
	s_delay_alu instid0(VALU_DEP_1) | instskip(NEXT) | instid1(VALU_DEP_1)
	v_or3_b32 v26, v1, v0, v11
	v_mov_b64_e32 v[28:29], v[26:27]
.LBB200_991:                            ;   in Loop: Header=BB200_9 Depth=1
	s_or_b32 exec_lo, exec_lo, s18
.LBB200_992:                            ;   in Loop: Header=BB200_9 Depth=1
	s_delay_alu instid0(SALU_CYCLE_1)
	s_or_b32 exec_lo, exec_lo, s17
.LBB200_993:                            ;   in Loop: Header=BB200_9 Depth=1
	s_delay_alu instid0(SALU_CYCLE_1) | instskip(SKIP_2) | instid1(VALU_DEP_1)
	s_or_b32 exec_lo, exec_lo, s11
	v_lshrrev_b16 v11, 8, v10
	s_mov_b32 s11, exec_lo
	v_cmpx_ne_u16_e32 0, v11
	s_cbranch_execz .LBB200_1001
; %bb.994:                              ;   in Loop: Header=BB200_9 Depth=1
	v_mov_b64_e32 v[30:31], 0x8000000000000000
	s_mov_b32 s17, exec_lo
	v_cmpx_ne_u16_e32 0x80, v11
	s_cbranch_execz .LBB200_1000
; %bb.995:                              ;   in Loop: Header=BB200_9 Depth=1
	v_and_b32_e32 v1, 0xffff, v11
	v_mov_b64_e32 v[30:31], 0x7f80000100000000
	s_mov_b32 s18, exec_lo
	s_delay_alu instid0(VALU_DEP_2) | instskip(NEXT) | instid1(VALU_DEP_1)
	v_and_b32_e32 v32, 0x7f, v1
	v_cmpx_ne_u32_e32 0x7f, v32
	s_cbranch_execz .LBB200_999
; %bb.996:                              ;   in Loop: Header=BB200_9 Depth=1
	v_dual_lshrrev_b32 v11, 3, v32 :: v_dual_bitop2_b32 v26, 7, v1 bitop3:0x40
	s_mov_b32 s19, exec_lo
	v_cmpx_gt_u32_e32 8, v32
; %bb.997:                              ;   in Loop: Header=BB200_9 Depth=1
	s_delay_alu instid0(VALU_DEP_2) | instskip(NEXT) | instid1(VALU_DEP_1)
	v_clz_i32_u32_e32 v0, v26
	v_min_u32_e32 v0, 32, v0
	s_delay_alu instid0(VALU_DEP_1) | instskip(NEXT) | instid1(VALU_DEP_1)
	v_subrev_nc_u32_e32 v1, 28, v0
	v_lshlrev_b64_e32 v[30:31], v1, v[26:27]
	s_delay_alu instid0(VALU_DEP_1)
	v_dual_sub_nc_u32 v11, 29, v0 :: v_dual_bitop2_b32 v26, 7, v30 bitop3:0x40
; %bb.998:                              ;   in Loop: Header=BB200_9 Depth=1
	s_or_b32 exec_lo, exec_lo, s19
	v_dual_lshlrev_b32 v0, 16, v10 :: v_dual_mov_b32 v30, v27
	s_delay_alu instid0(VALU_DEP_2) | instskip(NEXT) | instid1(VALU_DEP_3)
	v_lshlrev_b32_e32 v1, 20, v26
	v_lshl_add_u32 v10, v11, 23, 0x3c000000
	s_delay_alu instid0(VALU_DEP_3) | instskip(NEXT) | instid1(VALU_DEP_1)
	v_and_b32_e32 v0, 0x80000000, v0
	v_or3_b32 v31, v1, v0, v10
.LBB200_999:                            ;   in Loop: Header=BB200_9 Depth=1
	s_or_b32 exec_lo, exec_lo, s18
.LBB200_1000:                           ;   in Loop: Header=BB200_9 Depth=1
	s_delay_alu instid0(SALU_CYCLE_1)
	s_or_b32 exec_lo, exec_lo, s17
.LBB200_1001:                           ;   in Loop: Header=BB200_9 Depth=1
	s_delay_alu instid0(SALU_CYCLE_1)
	s_or_b32 exec_lo, exec_lo, s11
	flat_load_u16 v0, v[36:37] offset:3848
	v_mov_b64_e32 v[52:53], 0
	v_mov_b64_e32 v[10:11], 0
	s_mov_b32 s11, exec_lo
	s_wait_loadcnt_dscnt 0x0
	v_and_b32_e32 v32, 0xffff, v0
	v_and_b32_e32 v0, 0xff, v0
	s_wait_xcnt 0x0
	s_delay_alu instid0(VALU_DEP_1)
	v_cmpx_ne_u16_e32 0, v0
	s_cbranch_execz .LBB200_1009
; %bb.1002:                             ;   in Loop: Header=BB200_9 Depth=1
	v_mov_b64_e32 v[10:11], 0x80000000
	v_and_b32_e32 v0, 0xff, v32
	s_mov_b32 s17, exec_lo
	s_delay_alu instid0(VALU_DEP_1)
	v_cmpx_ne_u16_e32 0x80, v0
	s_cbranch_execz .LBB200_1008
; %bb.1003:                             ;   in Loop: Header=BB200_9 Depth=1
	v_mov_b64_e32 v[10:11], 0x7f800001
	v_and_b32_e32 v33, 0x7f, v32
	s_mov_b32 s18, exec_lo
	s_delay_alu instid0(VALU_DEP_1)
	v_cmpx_ne_u32_e32 0x7f, v33
	s_cbranch_execz .LBB200_1007
; %bb.1004:                             ;   in Loop: Header=BB200_9 Depth=1
	v_dual_lshrrev_b32 v10, 3, v33 :: v_dual_bitop2_b32 v26, 7, v32 bitop3:0x40
	s_mov_b32 s19, exec_lo
	v_cmpx_gt_u32_e32 8, v33
; %bb.1005:                             ;   in Loop: Header=BB200_9 Depth=1
	s_delay_alu instid0(VALU_DEP_2) | instskip(NEXT) | instid1(VALU_DEP_1)
	v_clz_i32_u32_e32 v0, v26
	v_min_u32_e32 v0, 32, v0
	s_delay_alu instid0(VALU_DEP_1) | instskip(SKIP_1) | instid1(VALU_DEP_2)
	v_subrev_nc_u32_e32 v1, 28, v0
	v_sub_nc_u32_e32 v10, 29, v0
	v_lshlrev_b64_e32 v[48:49], v1, v[26:27]
	s_delay_alu instid0(VALU_DEP_1)
	v_and_b32_e32 v26, 7, v48
; %bb.1006:                             ;   in Loop: Header=BB200_9 Depth=1
	s_or_b32 exec_lo, exec_lo, s19
	s_delay_alu instid0(VALU_DEP_1) | instskip(SKIP_1) | instid1(VALU_DEP_2)
	v_dual_lshlrev_b32 v0, 24, v32 :: v_dual_lshlrev_b32 v1, 20, v26
	v_lshl_add_u32 v10, v10, 23, 0x3c000000
	v_and_b32_e32 v0, 0x80000000, v0
	s_delay_alu instid0(VALU_DEP_1) | instskip(NEXT) | instid1(VALU_DEP_1)
	v_or3_b32 v26, v1, v0, v10
	v_mov_b64_e32 v[10:11], v[26:27]
.LBB200_1007:                           ;   in Loop: Header=BB200_9 Depth=1
	s_or_b32 exec_lo, exec_lo, s18
.LBB200_1008:                           ;   in Loop: Header=BB200_9 Depth=1
	s_delay_alu instid0(SALU_CYCLE_1)
	s_or_b32 exec_lo, exec_lo, s17
.LBB200_1009:                           ;   in Loop: Header=BB200_9 Depth=1
	s_delay_alu instid0(SALU_CYCLE_1) | instskip(SKIP_2) | instid1(VALU_DEP_1)
	s_or_b32 exec_lo, exec_lo, s11
	v_lshrrev_b16 v33, 8, v32
	s_mov_b32 s11, exec_lo
	v_cmpx_ne_u16_e32 0, v33
	s_cbranch_execz .LBB200_1017
; %bb.1010:                             ;   in Loop: Header=BB200_9 Depth=1
	v_mov_b64_e32 v[52:53], 0x8000000000000000
	s_mov_b32 s17, exec_lo
	v_cmpx_ne_u16_e32 0x80, v33
	s_cbranch_execz .LBB200_1016
; %bb.1011:                             ;   in Loop: Header=BB200_9 Depth=1
	v_and_b32_e32 v1, 0xffff, v33
	v_mov_b64_e32 v[52:53], 0x7f80000100000000
	s_mov_b32 s18, exec_lo
	s_delay_alu instid0(VALU_DEP_2) | instskip(NEXT) | instid1(VALU_DEP_1)
	v_and_b32_e32 v48, 0x7f, v1
	v_cmpx_ne_u32_e32 0x7f, v48
	s_cbranch_execz .LBB200_1015
; %bb.1012:                             ;   in Loop: Header=BB200_9 Depth=1
	v_dual_lshrrev_b32 v33, 3, v48 :: v_dual_bitop2_b32 v26, 7, v1 bitop3:0x40
	s_mov_b32 s19, exec_lo
	v_cmpx_gt_u32_e32 8, v48
; %bb.1013:                             ;   in Loop: Header=BB200_9 Depth=1
	s_delay_alu instid0(VALU_DEP_2) | instskip(NEXT) | instid1(VALU_DEP_1)
	v_clz_i32_u32_e32 v0, v26
	v_min_u32_e32 v0, 32, v0
	s_delay_alu instid0(VALU_DEP_1) | instskip(SKIP_1) | instid1(VALU_DEP_2)
	v_subrev_nc_u32_e32 v1, 28, v0
	v_sub_nc_u32_e32 v33, 29, v0
	v_lshlrev_b64_e32 v[48:49], v1, v[26:27]
	s_delay_alu instid0(VALU_DEP_1)
	v_and_b32_e32 v26, 7, v48
; %bb.1014:                             ;   in Loop: Header=BB200_9 Depth=1
	s_or_b32 exec_lo, exec_lo, s19
	s_delay_alu instid0(VALU_DEP_1) | instskip(SKIP_2) | instid1(VALU_DEP_3)
	v_dual_lshlrev_b32 v0, 16, v32 :: v_dual_lshlrev_b32 v1, 20, v26
	v_lshl_add_u32 v20, v33, 23, 0x3c000000
	v_mov_b32_e32 v52, v27
	v_and_b32_e32 v0, 0x80000000, v0
	s_delay_alu instid0(VALU_DEP_1)
	v_or3_b32 v53, v1, v0, v20
.LBB200_1015:                           ;   in Loop: Header=BB200_9 Depth=1
	s_or_b32 exec_lo, exec_lo, s18
.LBB200_1016:                           ;   in Loop: Header=BB200_9 Depth=1
	s_delay_alu instid0(SALU_CYCLE_1)
	s_or_b32 exec_lo, exec_lo, s17
.LBB200_1017:                           ;   in Loop: Header=BB200_9 Depth=1
	s_delay_alu instid0(SALU_CYCLE_1)
	s_or_b32 exec_lo, exec_lo, s11
	flat_load_u16 v0, v[36:37] offset:3852
	v_mov_b64_e32 v[48:49], 0
	v_mov_b64_e32 v[32:33], 0
	s_mov_b32 s11, exec_lo
	s_wait_loadcnt_dscnt 0x0
	v_and_b32_e32 v36, 0xffff, v0
	v_and_b32_e32 v0, 0xff, v0
	s_delay_alu instid0(VALU_DEP_1)
	v_cmpx_ne_u16_e32 0, v0
	s_cbranch_execz .LBB200_1025
; %bb.1018:                             ;   in Loop: Header=BB200_9 Depth=1
	v_mov_b64_e32 v[32:33], 0x80000000
	v_and_b32_e32 v0, 0xff, v36
	s_mov_b32 s17, exec_lo
	s_delay_alu instid0(VALU_DEP_1)
	v_cmpx_ne_u16_e32 0x80, v0
	s_cbranch_execz .LBB200_1024
; %bb.1019:                             ;   in Loop: Header=BB200_9 Depth=1
	v_mov_b64_e32 v[32:33], 0x7f800001
	v_and_b32_e32 v37, 0x7f, v36
	s_mov_b32 s18, exec_lo
	s_delay_alu instid0(VALU_DEP_1)
	v_cmpx_ne_u32_e32 0x7f, v37
	s_cbranch_execz .LBB200_1023
; %bb.1020:                             ;   in Loop: Header=BB200_9 Depth=1
	v_dual_lshrrev_b32 v32, 3, v37 :: v_dual_bitop2_b32 v26, 7, v36 bitop3:0x40
	s_mov_b32 s19, exec_lo
	v_cmpx_gt_u32_e32 8, v37
	s_cbranch_execz .LBB200_1022
; %bb.1021:                             ;   in Loop: Header=BB200_9 Depth=1
	s_delay_alu instid0(VALU_DEP_2) | instskip(SKIP_1) | instid1(VALU_DEP_2)
	v_clz_i32_u32_e32 v0, v26
	v_mov_b64_e32 v[2:3], v[64:65]
	v_min_u32_e32 v0, 32, v0
	s_delay_alu instid0(VALU_DEP_1) | instskip(SKIP_1) | instid1(VALU_DEP_2)
	v_subrev_nc_u32_e32 v1, 28, v0
	v_sub_nc_u32_e32 v32, 29, v0
	v_lshlrev_b64_e32 v[64:65], v1, v[26:27]
	s_delay_alu instid0(VALU_DEP_1)
	v_and_b32_e32 v26, 7, v64
	v_mov_b64_e32 v[64:65], v[2:3]
.LBB200_1022:                           ;   in Loop: Header=BB200_9 Depth=1
	s_or_b32 exec_lo, exec_lo, s19
	s_delay_alu instid0(VALU_DEP_2) | instskip(SKIP_1) | instid1(VALU_DEP_2)
	v_dual_lshlrev_b32 v0, 24, v36 :: v_dual_lshlrev_b32 v1, 20, v26
	v_lshl_add_u32 v20, v32, 23, 0x3c000000
	v_and_b32_e32 v0, 0x80000000, v0
	s_delay_alu instid0(VALU_DEP_1) | instskip(NEXT) | instid1(VALU_DEP_1)
	v_or3_b32 v26, v1, v0, v20
	v_mov_b64_e32 v[32:33], v[26:27]
.LBB200_1023:                           ;   in Loop: Header=BB200_9 Depth=1
	s_or_b32 exec_lo, exec_lo, s18
.LBB200_1024:                           ;   in Loop: Header=BB200_9 Depth=1
	s_delay_alu instid0(SALU_CYCLE_1)
	s_or_b32 exec_lo, exec_lo, s17
.LBB200_1025:                           ;   in Loop: Header=BB200_9 Depth=1
	s_delay_alu instid0(SALU_CYCLE_1) | instskip(SKIP_3) | instid1(VALU_DEP_1)
	s_or_b32 exec_lo, exec_lo, s11
	v_mov_b64_e32 v[2:3], v[64:65]
	v_lshrrev_b16 v37, 8, v36
	s_mov_b32 s11, exec_lo
	v_cmpx_ne_u16_e32 0, v37
	s_cbranch_execz .LBB200_1033
; %bb.1026:                             ;   in Loop: Header=BB200_9 Depth=1
	v_mov_b64_e32 v[48:49], 0x8000000000000000
	s_mov_b32 s17, exec_lo
	v_cmpx_ne_u16_e32 0x80, v37
	s_cbranch_execz .LBB200_1032
; %bb.1027:                             ;   in Loop: Header=BB200_9 Depth=1
	v_and_b32_e32 v37, 0xffff, v37
	v_mov_b64_e32 v[48:49], 0x7f80000100000000
	s_mov_b32 s18, exec_lo
	s_delay_alu instid0(VALU_DEP_2) | instskip(NEXT) | instid1(VALU_DEP_1)
	v_and_b32_e32 v1, 0x7f, v37
	v_cmpx_ne_u32_e32 0x7f, v1
	s_cbranch_execz .LBB200_1031
; %bb.1028:                             ;   in Loop: Header=BB200_9 Depth=1
	v_and_b32_e32 v26, 7, v37
	v_lshrrev_b32_e32 v37, 3, v1
	s_mov_b32 s19, exec_lo
	v_cmpx_gt_u32_e32 8, v1
; %bb.1029:                             ;   in Loop: Header=BB200_9 Depth=1
	s_delay_alu instid0(VALU_DEP_3) | instskip(NEXT) | instid1(VALU_DEP_1)
	v_clz_i32_u32_e32 v0, v26
	v_min_u32_e32 v0, 32, v0
	s_delay_alu instid0(VALU_DEP_1) | instskip(SKIP_1) | instid1(VALU_DEP_2)
	v_subrev_nc_u32_e32 v1, 28, v0
	v_sub_nc_u32_e32 v37, 29, v0
	v_lshlrev_b64_e32 v[48:49], v1, v[26:27]
	s_delay_alu instid0(VALU_DEP_1)
	v_and_b32_e32 v26, 7, v48
; %bb.1030:                             ;   in Loop: Header=BB200_9 Depth=1
	s_or_b32 exec_lo, exec_lo, s19
	s_delay_alu instid0(VALU_DEP_1) | instskip(SKIP_2) | instid1(VALU_DEP_3)
	v_dual_lshlrev_b32 v0, 16, v36 :: v_dual_lshlrev_b32 v1, 20, v26
	v_lshl_add_u32 v20, v37, 23, 0x3c000000
	v_mov_b32_e32 v48, v27
	v_and_b32_e32 v0, 0x80000000, v0
	s_delay_alu instid0(VALU_DEP_1)
	v_or3_b32 v49, v1, v0, v20
.LBB200_1031:                           ;   in Loop: Header=BB200_9 Depth=1
	s_or_b32 exec_lo, exec_lo, s18
.LBB200_1032:                           ;   in Loop: Header=BB200_9 Depth=1
	s_delay_alu instid0(SALU_CYCLE_1)
	s_or_b32 exec_lo, exec_lo, s17
.LBB200_1033:                           ;   in Loop: Header=BB200_9 Depth=1
	s_delay_alu instid0(SALU_CYCLE_1)
	s_or_b32 exec_lo, exec_lo, s11
	v_or_b32_e32 v1, v53, v11
	v_or_b32_e32 v0, v52, v10
	v_or_b32_e32 v37, v23, v35
	v_or_b32_e32 v36, v22, v34
	v_or_b32_e32 v23, v5, v7
	v_or_b32_e32 v22, v4, v6
	scratch_store_b64 off, v[0:1], s32 offset:792 ; 8-byte Folded Spill
	s_wait_xcnt 0x0
	v_or_b32_e32 v1, v31, v29
	v_or_b32_e32 v0, v30, v28
	v_or_b32_e32 v7, v107, v51
	v_or_b32_e32 v6, v106, v50
	v_or_b32_e32 v55, v55, v39
	v_or_b32_e32 v54, v54, v38
	scratch_store_b64 off, v[0:1], s32 offset:800 ; 8-byte Folded Spill
	s_wait_xcnt 0x0
	;; [unrolled: 8-line block ×3, first 2 shown]
	v_or_b32_e32 v1, v111, v123
	v_or_b32_e32 v0, v110, v122
	;; [unrolled: 1-line block ×6, first 2 shown]
	s_clause 0x1
	scratch_store_b64 off, v[0:1], s32 offset:816
	scratch_load_b64 v[0:1], off, s32 offset:748 th:TH_LOAD_LU
	v_or_b32_e32 v83, v83, v113
	v_or_b32_e32 v82, v82, v112
	v_or_b32_e32 v87, v87, v117
	v_or_b32_e32 v86, v86, v116
	v_or_b32_e32 v99, v99, v41
	v_or_b32_e32 v98, v98, v40
	v_or_b32_e32 v103, v103, v45
	v_or_b32_e32 v102, v102, v44
	v_or_b32_e32 v115, v115, v57
	v_or_b32_e32 v114, v114, v56
	v_or_b32_e32 v119, v119, v61
	v_or_b32_e32 v118, v118, v60
	v_or_b32_e32 v35, v63, v93
	v_or_b32_e32 v34, v62, v92
	v_or_b32_e32 v43, v43, v73
	v_or_b32_e32 v42, v42, v72
	v_or_b32_e32 v29, v75, v105
	v_or_b32_e32 v28, v74, v104
	v_or_b32_e32 v47, v47, v77
	v_or_b32_e32 v46, v46, v76
	v_or_b32_e32 v9, v17, v15
	v_or_b32_e32 v8, v16, v14
	v_or_b32_e32 v17, v79, v109
	v_or_b32_e32 v16, v78, v108
	v_or_b32_e32 v59, v59, v89
	v_or_b32_e32 v58, v58, v88
	v_or_b32_e32 v25, v91, v121
	v_or_b32_e32 v24, v90, v120
	v_or_b32_e32 v5, v95, v125
	v_or_b32_e32 v4, v94, v124
	v_or_b32_e32 v33, v49, v33
	v_or_b32_e32 v32, v48, v32
	s_wait_loadcnt 0x0
	v_or_b32_e32 v51, v81, v1
	v_or_b32_e32 v50, v80, v0
	scratch_load_b64 v[0:1], off, s32 offset:740 th:TH_LOAD_LU ; 8-byte Folded Reload
	s_wait_loadcnt 0x0
	v_or_b32_e32 v39, v69, v1
	v_or_b32_e32 v38, v68, v0
	s_clause 0x1
	scratch_load_b64 v[0:1], off, s32 offset:724 th:TH_LOAD_LU
	scratch_load_b64 v[10:11], off, s32 offset:732 th:TH_LOAD_LU
	s_wait_loadcnt 0x0
	v_or_b32_e32 v65, v1, v11
	v_or_b32_e32 v64, v0, v10
	s_clause 0x1
	scratch_load_b64 v[0:1], off, s32 offset:708 th:TH_LOAD_LU
	scratch_load_b64 v[10:11], off, s32 offset:716 th:TH_LOAD_LU
	;; [unrolled: 6-line block ×33, first 2 shown]
	s_wait_loadcnt 0x0
	v_or_b32_e32 v85, v1, v13
	v_or_b32_e32 v84, v0, v12
	scratch_load_b64 v[0:1], off, s32 offset:204 th:TH_LOAD_LU ; 8-byte Folded Reload
	s_wait_loadcnt 0x0
	v_or_b32_e32 v13, v3, v1
	v_or_b32_e32 v12, v2, v0
	scratch_load_b64 v[0:1], off, s32 offset:784 th:TH_LOAD_LU ; 8-byte Folded Reload
	s_wait_loadcnt 0x0
	v_mov_b32_e32 v26, v0
	scratch_load_b128 v[0:3], off, s32 offset:836 ; 16-byte Folded Reload
	v_pk_mul_f32 v[48:49], v[26:27], v[84:85] op_sel_hi:[0,1]
	v_pk_mul_f32 v[12:13], v[26:27], v[12:13] op_sel_hi:[0,1]
	s_wait_loadcnt 0x0
	s_delay_alu instid0(VALU_DEP_2) | instskip(NEXT) | instid1(VALU_DEP_1)
	v_dual_mul_f32 v48, v2, v48 :: v_dual_mul_f32 v49, v3, v49
	v_dual_fmac_f32 v48, v0, v12 :: v_dual_fmac_f32 v49, v1, v13
	scratch_load_b128 v[0:3], off, s32 offset:852 ; 16-byte Folded Reload
	v_pk_mul_f32 v[12:13], v[26:27], v[14:15] op_sel_hi:[0,1]
	s_wait_loadcnt 0x0
	s_delay_alu instid0(VALU_DEP_1) | instskip(SKIP_2) | instid1(VALU_DEP_1)
	v_dual_fmac_f32 v48, v0, v12 :: v_dual_fmac_f32 v49, v1, v13
	scratch_load_b128 v[12:15], off, s32 offset:868 ; 16-byte Folded Reload
	v_pk_mul_f32 v[0:1], v[26:27], v[20:21] op_sel_hi:[0,1]
	v_dual_fmac_f32 v48, v2, v0 :: v_dual_fmac_f32 v49, v3, v1
	v_pk_mul_f32 v[0:1], v[26:27], v[126:127] op_sel_hi:[0,1]
	s_wait_loadcnt 0x0
	s_delay_alu instid0(VALU_DEP_1) | instskip(SKIP_1) | instid1(VALU_DEP_1)
	v_dual_fmac_f32 v48, v12, v0 :: v_dual_fmac_f32 v49, v13, v1
	v_pk_mul_f32 v[0:1], v[26:27], v[124:125] op_sel_hi:[0,1]
	v_dual_fmac_f32 v48, v14, v0 :: v_dual_fmac_f32 v49, v15, v1
	scratch_load_b128 v[12:15], off, s32 offset:884 ; 16-byte Folded Reload
	v_pk_mul_f32 v[0:1], v[26:27], v[122:123] op_sel_hi:[0,1]
	s_wait_loadcnt 0x0
	s_delay_alu instid0(VALU_DEP_1) | instskip(SKIP_1) | instid1(VALU_DEP_1)
	v_dual_fmac_f32 v48, v12, v0 :: v_dual_fmac_f32 v49, v13, v1
	v_pk_mul_f32 v[0:1], v[26:27], v[120:121] op_sel_hi:[0,1]
	v_dual_fmac_f32 v48, v14, v0 :: v_dual_fmac_f32 v49, v15, v1
	scratch_load_b128 v[12:15], off, s32 offset:900 ; 16-byte Folded Reload
	;; [unrolled: 7-line block ×13, first 2 shown]
	v_pk_mul_f32 v[0:1], v[26:27], v[68:69] op_sel_hi:[0,1]
	s_wait_loadcnt 0x0
	s_delay_alu instid0(VALU_DEP_1)
	v_dual_fmac_f32 v48, v12, v0 :: v_dual_fmac_f32 v49, v13, v1
	v_pk_mul_f32 v[0:1], v[26:27], v[10:11] op_sel_hi:[0,1]
	scratch_load_b128 v[10:13], off, s32 offset:1096 ; 16-byte Folded Reload
	v_dual_fmac_f32 v48, v14, v0 :: v_dual_fmac_f32 v49, v15, v1
	v_pk_mul_f32 v[0:1], v[26:27], v[52:53] op_sel_hi:[0,1]
	s_wait_loadcnt 0x0
	s_delay_alu instid0(VALU_DEP_1) | instskip(SKIP_1) | instid1(VALU_DEP_1)
	v_dual_fmac_f32 v48, v10, v0 :: v_dual_fmac_f32 v49, v11, v1
	v_pk_mul_f32 v[0:1], v[26:27], v[64:65] op_sel_hi:[0,1]
	v_dual_fmac_f32 v48, v12, v0 :: v_dual_fmac_f32 v49, v13, v1
	scratch_load_b128 v[10:13], off, s32 offset:1112 ; 16-byte Folded Reload
	v_pk_mul_f32 v[0:1], v[26:27], v[38:39] op_sel_hi:[0,1]
	s_wait_loadcnt 0x0
	s_delay_alu instid0(VALU_DEP_1) | instskip(SKIP_1) | instid1(VALU_DEP_1)
	v_dual_fmac_f32 v48, v10, v0 :: v_dual_fmac_f32 v49, v11, v1
	v_pk_mul_f32 v[0:1], v[26:27], v[50:51] op_sel_hi:[0,1]
	v_dual_fmac_f32 v48, v12, v0 :: v_dual_fmac_f32 v49, v13, v1
	scratch_load_b128 v[10:13], off, s32 offset:1128 ; 16-byte Folded Reload
	;; [unrolled: 7-line block ×9, first 2 shown]
	v_pk_mul_f32 v[0:1], v[26:27], v[16:17] op_sel_hi:[0,1]
	s_wait_loadcnt 0x0
	s_delay_alu instid0(VALU_DEP_1) | instskip(SKIP_1) | instid1(VALU_DEP_1)
	v_dual_fmac_f32 v48, v10, v0 :: v_dual_fmac_f32 v49, v11, v1
	v_pk_mul_f32 v[0:1], v[26:27], v[24:25] op_sel_hi:[0,1]
	v_dual_fmac_f32 v48, v12, v0 :: v_dual_fmac_f32 v49, v13, v1
	v_pk_mul_f32 v[0:1], v[26:27], v[4:5] op_sel_hi:[0,1]
	scratch_load_b128 v[2:5], off, s32 offset:1256 ; 16-byte Folded Reload
	s_wait_loadcnt 0x0
	v_dual_fmac_f32 v48, v2, v0 :: v_dual_fmac_f32 v49, v3, v1
	v_pk_mul_f32 v[0:1], v[26:27], v[6:7] op_sel_hi:[0,1]
	s_delay_alu instid0(VALU_DEP_1)
	v_dual_fmac_f32 v48, v4, v0 :: v_dual_fmac_f32 v49, v5, v1
	s_clause 0x1
	scratch_load_b64 v[0:1], off, s32 offset:816 th:TH_LOAD_LU
	scratch_load_b128 v[2:5], off, s32 offset:1272
	s_wait_loadcnt 0x1
	v_pk_mul_f32 v[0:1], v[26:27], v[0:1] op_sel_hi:[0,1]
	s_wait_loadcnt 0x0
	s_delay_alu instid0(VALU_DEP_1) | instskip(SKIP_1) | instid1(VALU_DEP_1)
	v_dual_fmac_f32 v48, v2, v0 :: v_dual_fmac_f32 v49, v3, v1
	v_pk_mul_f32 v[0:1], v[26:27], v[8:9] op_sel_hi:[0,1]
	v_dual_fmac_f32 v48, v4, v0 :: v_dual_fmac_f32 v49, v5, v1
	scratch_load_b128 v[2:5], off, s32 offset:1288 ; 16-byte Folded Reload
	v_pk_mul_f32 v[0:1], v[26:27], v[18:19] op_sel_hi:[0,1]
	s_wait_loadcnt 0x0
	s_delay_alu instid0(VALU_DEP_1) | instskip(SKIP_1) | instid1(VALU_DEP_1)
	v_dual_fmac_f32 v48, v2, v0 :: v_dual_fmac_f32 v49, v3, v1
	v_pk_mul_f32 v[0:1], v[26:27], v[22:23] op_sel_hi:[0,1]
	v_dual_fmac_f32 v48, v4, v0 :: v_dual_fmac_f32 v49, v5, v1
	scratch_load_b128 v[2:5], off, s32 offset:1304 ; 16-byte Folded Reload
	v_pk_mul_f32 v[0:1], v[26:27], v[30:31] op_sel_hi:[0,1]
	s_wait_loadcnt 0x0
	s_delay_alu instid0(VALU_DEP_1) | instskip(SKIP_1) | instid1(VALU_DEP_1)
	v_dual_fmac_f32 v48, v2, v0 :: v_dual_fmac_f32 v49, v3, v1
	v_pk_mul_f32 v[0:1], v[26:27], v[36:37] op_sel_hi:[0,1]
	v_dual_fmac_f32 v48, v4, v0 :: v_dual_fmac_f32 v49, v5, v1
	s_clause 0x1
	scratch_load_b64 v[0:1], off, s32 offset:808 th:TH_LOAD_LU
	scratch_load_b128 v[2:5], off, s32 offset:1320
	s_wait_loadcnt 0x1
	v_pk_mul_f32 v[0:1], v[26:27], v[0:1] op_sel_hi:[0,1]
	s_wait_loadcnt 0x0
	s_delay_alu instid0(VALU_DEP_1) | instskip(SKIP_3) | instid1(VALU_DEP_1)
	v_dual_fmac_f32 v48, v2, v0 :: v_dual_fmac_f32 v49, v3, v1
	scratch_load_b64 v[0:1], off, s32 offset:800 th:TH_LOAD_LU ; 8-byte Folded Reload
	s_wait_loadcnt 0x0
	v_pk_mul_f32 v[0:1], v[26:27], v[0:1] op_sel_hi:[0,1]
	v_dual_fmac_f32 v48, v4, v0 :: v_dual_fmac_f32 v49, v5, v1
	s_clause 0x1
	scratch_load_b64 v[0:1], off, s32 offset:792 th:TH_LOAD_LU
	scratch_load_b128 v[4:7], off, s32 offset:1336
	s_wait_loadcnt 0x1
	v_pk_mul_f32 v[0:1], v[26:27], v[0:1] op_sel_hi:[0,1]
	s_wait_loadcnt 0x0
	s_delay_alu instid0(VALU_DEP_1) | instskip(SKIP_3) | instid1(VALU_DEP_1)
	v_fmac_f32_e32 v48, v4, v0
	scratch_load_b32 v0, off, s32 offset:1044 ; 4-byte Folded Reload
	v_fmac_f32_e32 v49, v5, v1
	v_pk_mul_f32 v[2:3], v[26:27], v[32:33] op_sel_hi:[0,1]
	v_dual_fmac_f32 v48, v6, v2 :: v_dual_fmac_f32 v49, v7, v3
	s_delay_alu instid0(VALU_DEP_1)
	v_add_f32_e32 v2, v48, v49
	s_wait_loadcnt 0x0
	ds_bpermute_b32 v3, v0, v2
	s_wait_xcnt 0x0
	s_mov_b32 s11, exec_lo
	scratch_load_b32 v6, off, s32 offset:780 ; 4-byte Folded Reload
	s_and_b32 s2, s11, vcc_lo
	s_wait_xcnt 0x0
	s_mov_b32 exec_lo, s2
	s_cbranch_execz .LBB200_8
; %bb.1034:                             ;   in Loop: Header=BB200_9 Depth=1
	s_clause 0x1
	scratch_load_b64 v[0:1], off, s32 offset:192
	scratch_load_b32 v5, off, s32 offset:756
	s_wait_loadcnt 0x1
	scratch_load_b32 v1, off, s32 offset:1360 ; 4-byte Folded Reload
	s_load_b32 s17, s[8:9], 0x0
	v_mov_b32_e32 v4, v0
	s_delay_alu instid0(VALU_DEP_1) | instskip(SKIP_1) | instid1(VALU_DEP_1)
	v_sub_nc_u32_e32 v0, 1, v4
	s_wait_loadcnt 0x1
	v_add_nc_u32_e32 v0, v0, v5
	v_cmp_lt_i32_e64 s2, v5, v4
	s_delay_alu instid0(VALU_DEP_2) | instskip(SKIP_1) | instid1(VALU_DEP_1)
	v_cvt_f32_i32_e32 v0, v0
	s_wait_loadcnt_dscnt 0x0
	v_dual_mul_f32 v0, v1, v0 :: v_dual_add_f32 v1, v2, v3
	s_clause 0x1
	scratch_load_b32 v2, off, s32 offset:1372
	scratch_load_b32 v3, off, s32 offset:824
	v_cndmask_b32_e64 v0, 0, v0, s1
	s_wait_loadcnt 0x1
	s_delay_alu instid0(VALU_DEP_1) | instskip(SKIP_3) | instid1(VALU_DEP_1)
	v_fmac_f32_e32 v0, v2, v1
	scratch_load_b32 v2, off, s32 offset:760 ; 4-byte Folded Reload
	s_wait_loadcnt 0x1
	v_max_num_f32_e32 v1, v3, v3
	v_max_num_f32_e32 v1, v1, v0
	s_delay_alu instid0(VALU_DEP_1)
	v_dual_cndmask_b32 v3, v3, v1, s2 :: v_dual_cndmask_b32 v0, 0, v0, s2
	scratch_store_b32 off, v3, s32 offset:824 ; 4-byte Folded Spill
	s_wait_loadcnt 0x0
	s_wait_kmcnt 0x0
	v_add_nc_u32_e32 v2, s17, v2
	ds_store_b32 v2, v0
	s_branch .LBB200_8
.LBB200_1035:
	s_or_b32 exec_lo, exec_lo, s16
	scratch_load_b32 v11, off, s32 offset:1436 ; 4-byte Folded Reload
	v_mov_b32_e32 v10, 32
.LBB200_1036:
	s_wait_xcnt 0x0
	s_or_b32 exec_lo, exec_lo, s3
	s_wait_dscnt 0x0
	s_clause 0x1
	scratch_load_b32 v3, off, s32 offset:824 th:TH_LOAD_LU
	scratch_load_b64 v[8:9], off, s32 offset:1364
	s_wait_loadcnt 0x2
	v_xor_b32_e32 v1, 8, v11
	v_xor_b32_e32 v0, 16, v11
	s_delay_alu instid0(VALU_DEP_1) | instskip(SKIP_2) | instid1(VALU_DEP_1)
	v_cmp_lt_i32_e32 vcc_lo, v0, v10
	v_cndmask_b32_e32 v0, v11, v0, vcc_lo
	s_wait_loadcnt 0x1
	v_dual_lshlrev_b32 v2, 2, v0 :: v_dual_max_num_f32 v4, v3, v3
	ds_bpermute_b32 v0, v2, v3
	s_wait_loadcnt 0x0
	v_and_b32_e32 v39, 31, v8
	s_wait_dscnt 0x0
	v_max_num_f32_e32 v0, v0, v0
	v_cmp_lt_i32_e32 vcc_lo, v1, v10
	s_delay_alu instid0(VALU_DEP_2) | instskip(SKIP_1) | instid1(VALU_DEP_2)
	v_dual_max_num_f32 v0, v4, v0 :: v_dual_bitop2_b32 v4, 4, v11 bitop3:0x14
	v_cndmask_b32_e32 v1, v11, v1, vcc_lo
	v_cmp_lt_i32_e32 vcc_lo, v4, v10
	s_delay_alu instid0(VALU_DEP_2) | instskip(SKIP_3) | instid1(VALU_DEP_1)
	v_lshlrev_b32_e32 v3, 2, v1
	ds_bpermute_b32 v1, v3, v0
	s_wait_dscnt 0x0
	v_dual_cndmask_b32 v4, v11, v4 :: v_dual_max_num_f32 v1, v1, v1
	v_dual_lshlrev_b32 v4, 2, v4 :: v_dual_max_num_f32 v0, v0, v1
	ds_bpermute_b32 v1, v4, v0
	s_wait_dscnt 0x0
	v_dual_max_num_f32 v1, v1, v1 :: v_dual_bitop2_b32 v5, 2, v11 bitop3:0x14
	s_delay_alu instid0(VALU_DEP_1) | instskip(NEXT) | instid1(VALU_DEP_2)
	v_cmp_lt_i32_e32 vcc_lo, v5, v10
	v_max_num_f32_e32 v1, v0, v1
	scratch_load_b32 v0, off, s32 offset:1376 ; 4-byte Folded Reload
	v_cndmask_b32_e32 v5, v11, v5, vcc_lo
	v_cmp_eq_u32_e32 vcc_lo, 0, v39
	s_wait_loadcnt 0x0
	s_delay_alu instid0(VALU_DEP_2)
	v_dual_lshlrev_b32 v100, 2, v5 :: v_dual_lshlrev_b32 v5, 2, v0
	ds_bpermute_b32 v6, v100, v1
	s_wait_xcnt 0x0
	s_and_saveexec_b32 s1, vcc_lo
	s_cbranch_execz .LBB200_1038
; %bb.1037:
	s_wait_dscnt 0x0
	v_dual_max_num_f32 v0, v6, v6 :: v_dual_max_num_f32 v1, v1, v1
	s_delay_alu instid0(VALU_DEP_1)
	v_max_num_f32_e32 v0, v1, v0
	ds_store_b32 v5, v0 offset:1024
.LBB200_1038:
	s_or_b32 exec_lo, exec_lo, s1
	v_cmp_gt_u32_e64 s1, 4, v39
	s_wait_dscnt 0x0
	v_dual_mov_b32 v1, 0xff7fffff :: v_dual_lshlrev_b32 v6, 2, v39
	s_wait_storecnt 0x0
	s_barrier_signal -1
	s_barrier_wait -1
	s_and_saveexec_b32 s2, s1
; %bb.1039:
	ds_load_b32 v1, v6 offset:1024
; %bb.1040:
	s_or_b32 exec_lo, exec_lo, s2
	s_wait_dscnt 0x0
	ds_bpermute_b32 v0, v100, v1
	v_dual_max_num_f32 v1, v1, v1 :: v_dual_bitop2_b32 v7, 1, v11 bitop3:0x14
	s_clause 0x1
	scratch_load_b64 v[12:13], off, s32 offset:1364
	scratch_load_b64 v[8:9], off, s32 offset:192
	v_cmp_lt_i32_e64 s2, v7, v10
	s_wait_dscnt 0x0
	s_delay_alu instid0(VALU_DEP_1) | instskip(NEXT) | instid1(VALU_DEP_1)
	v_dual_cndmask_b32 v7, v11, v7, s2 :: v_dual_max_num_f32 v0, v0, v0
	v_dual_lshlrev_b32 v46, 2, v7 :: v_dual_max_num_f32 v0, v1, v0
	ds_bpermute_b32 v1, v46, v0
	s_wait_dscnt 0x0
	v_max_num_f32_e32 v1, v1, v1
	s_delay_alu instid0(VALU_DEP_1) | instskip(SKIP_4) | instid1(VALU_DEP_1)
	v_dual_max_num_f32 v0, v0, v1 :: v_dual_lshlrev_b32 v1, 2, v27
	ds_bpermute_b32 v7, v1, v0
	scratch_load_b32 v0, off, s32 offset:200 ; 4-byte Folded Reload
	s_wait_loadcnt 0x0
	v_lshlrev_b32_e32 v0, 4, v0
	v_dual_mov_b32 v8, 0 :: v_dual_min_i32 v1, v0, v8
	s_delay_alu instid0(VALU_DEP_1)
	v_cmp_lt_i32_e64 s2, v12, v1
	s_and_saveexec_b32 s8, s2
	s_cbranch_execz .LBB200_1044
; %bb.1041:
	s_ashr_i32 s11, s10, 31
	v_dual_mov_b32 v8, 0 :: v_dual_mov_b32 v10, v12
	s_lshl_b64 s[16:17], s[10:11], 2
	s_mov_b32 s9, 0
	s_add_nc_u64 s[16:17], s[6:7], s[16:17]
	s_load_b32 s3, s[16:17], 0x0
	s_wait_kmcnt 0x0
	v_lshl_add_u32 v9, v12, 2, s3
.LBB200_1042:                           ; =>This Inner Loop Header: Depth=1
	ds_load_b32 v0, v9
	v_add_nc_u32_e32 v10, 0x80, v10
	s_delay_alu instid0(VALU_DEP_1) | instskip(SKIP_3) | instid1(VALU_DEP_1)
	v_cmp_ge_i32_e64 s3, v10, v1
	s_or_b32 s9, s3, s9
	s_wait_dscnt 0x0
	v_sub_f32_e32 v0, v0, v7
	v_mul_f32_e32 v0, 0x3fb8aa3b, v0
	s_delay_alu instid0(VALU_DEP_1)
	v_exp_f32_e32 v0, v0
	ds_store_b32 v9, v0
	v_nop
	v_dual_add_f32 v8, v8, v0 :: v_dual_add_nc_u32 v9, 0x200, v9
	s_and_not1_b32 exec_lo, exec_lo, s9
	s_cbranch_execnz .LBB200_1042
; %bb.1043:
	s_or_b32 exec_lo, exec_lo, s9
.LBB200_1044:
	s_delay_alu instid0(SALU_CYCLE_1)
	s_or_b32 exec_lo, exec_lo, s8
	ds_bpermute_b32 v0, v2, v8
	s_wait_dscnt 0x0
	v_add_f32_e32 v0, v8, v0
	ds_bpermute_b32 v2, v3, v0
	s_wait_dscnt 0x0
	v_add_f32_e32 v0, v0, v2
	;; [unrolled: 3-line block ×5, first 2 shown]
	s_and_saveexec_b32 s3, vcc_lo
; %bb.1045:
	ds_store_b32 v5, v2 offset:1040
; %bb.1046:
	s_or_b32 exec_lo, exec_lo, s3
	s_wait_dscnt 0x0
	s_barrier_signal -1
	s_barrier_wait -1
	s_and_saveexec_b32 s3, s1
; %bb.1047:
	ds_load_b32 v2, v6 offset:1040
; %bb.1048:
	s_or_b32 exec_lo, exec_lo, s3
	s_wait_dscnt 0x0
	ds_bpermute_b32 v0, v100, v2
	s_wait_dscnt 0x0
	v_dual_add_f32 v0, v2, v0 :: v_dual_lshlrev_b32 v3, 2, v11
	ds_bpermute_b32 v2, v46, v0
	s_wait_dscnt 0x0
	v_add_f32_e32 v0, v0, v2
	v_and_b32_e32 v2, 0xffffff80, v3
	ds_bpermute_b32 v2, v2, v0
	s_and_saveexec_b32 s1, s2
	s_cbranch_execz .LBB200_1061
; %bb.1049:
	s_wait_dscnt 0x0
	v_add_f32_e32 v0, 0x358637bd, v2
	s_mov_b32 s3, -1
	s_mov_b32 s2, exec_lo
	s_delay_alu instid0(VALU_DEP_1) | instskip(NEXT) | instid1(VALU_DEP_1)
	v_div_scale_f32 v2, null, v0, v0, 1.0
	v_rcp_f32_e32 v3, v2
	v_nop
	s_delay_alu instid0(TRANS32_DEP_1) | instskip(NEXT) | instid1(VALU_DEP_1)
	v_fma_f32 v4, -v2, v3, 1.0
	v_fmac_f32_e32 v3, v4, v3
	v_div_scale_f32 v5, vcc_lo, 1.0, v0, 1.0
	s_delay_alu instid0(VALU_DEP_1) | instskip(NEXT) | instid1(VALU_DEP_1)
	v_mul_f32_e32 v6, v5, v3
	v_fma_f32 v4, -v2, v6, v5
	s_delay_alu instid0(VALU_DEP_1) | instskip(SKIP_1) | instid1(VALU_DEP_2)
	v_fmac_f32_e32 v6, v4, v3
	v_xad_u32 v4, v12, -1, v1
	v_fma_f32 v2, -v2, v6, v5
	s_delay_alu instid0(VALU_DEP_1) | instskip(SKIP_1) | instid1(VALU_DEP_2)
	v_div_fmas_f32 v2, v2, v3, v6
	v_mov_b32_e32 v3, v12
	v_div_fixup_f32 v2, v2, v0, 1.0
	v_cmpx_lt_u32_e32 0x7f, v4
	s_cbranch_execz .LBB200_1058
; %bb.1050:
	s_delay_alu instid0(VALU_DEP_2) | instskip(SKIP_1) | instid1(VALU_DEP_1)
	v_dual_mov_b32 v3, v2 :: v_dual_lshrrev_b32 v4, 7, v4
	s_mov_b32 s3, exec_lo
	v_dual_mov_b32 v8, 0 :: v_dual_add_nc_u32 v0, -1, v4
	s_delay_alu instid0(VALU_DEP_1) | instskip(NEXT) | instid1(VALU_DEP_1)
	v_lshrrev_b32_e32 v5, 1, v0
	v_add_nc_u32_e32 v5, 1, v5
	v_cmpx_lt_u32_e32 13, v0
	s_cbranch_execz .LBB200_1054
; %bb.1051:
	s_ashr_i32 s11, s10, 31
	s_delay_alu instid0(VALU_DEP_2) | instskip(SKIP_1) | instid1(SALU_CYCLE_1)
	v_and_b32_e32 v6, -8, v5
	s_lshl_b64 s[8:9], s[10:11], 2
	s_add_nc_u64 s[8:9], s[6:7], s[8:9]
	s_load_b32 s8, s[8:9], 0x0
	s_wait_xcnt 0x0
	s_mov_b32 s9, 0
	s_wait_kmcnt 0x0
	v_lshl_add_u32 v7, v12, 2, s8
	s_mov_b32 s8, 0
.LBB200_1052:                           ; =>This Inner Loop Header: Depth=1
	ds_load_2addr_stride64_b32 v[8:9], v7 offset1:2
	ds_load_2addr_stride64_b32 v[10:11], v7 offset0:4 offset1:6
	ds_load_2addr_stride64_b32 v[12:13], v7 offset0:8 offset1:10
	;; [unrolled: 1-line block ×7, first 2 shown]
	s_add_co_i32 s9, s9, 16
	v_add_nc_u32_e32 v6, -8, v6
	s_wait_dscnt 0x7
	v_pk_mul_f32 v[8:9], v[2:3], v[8:9]
	s_wait_dscnt 0x6
	v_pk_mul_f32 v[10:11], v[2:3], v[10:11]
	;; [unrolled: 2-line block ×8, first 2 shown]
	ds_store_2addr_stride64_b32 v7, v8, v9 offset1:2
	ds_store_2addr_stride64_b32 v7, v10, v11 offset0:4 offset1:6
	ds_store_2addr_stride64_b32 v7, v12, v13 offset0:8 offset1:10
	;; [unrolled: 1-line block ×7, first 2 shown]
	v_mov_b32_e32 v8, s9
	v_cmp_eq_u32_e32 vcc_lo, 0, v6
	v_add_nc_u32_e32 v7, 0x2000, v7
	s_or_b32 s8, vcc_lo, s8
	s_delay_alu instid0(SALU_CYCLE_1)
	s_and_not1_b32 exec_lo, exec_lo, s8
	s_cbranch_execnz .LBB200_1052
; %bb.1053:
	s_or_b32 exec_lo, exec_lo, s8
	scratch_load_b64 v[12:13], off, s32 offset:1364 ; 8-byte Folded Reload
.LBB200_1054:
	s_wait_xcnt 0x0
	s_or_b32 exec_lo, exec_lo, s3
	v_and_b32_e32 v5, 7, v5
	s_mov_b32 s8, 0
	s_mov_b32 s3, exec_lo
	s_delay_alu instid0(VALU_DEP_1)
	v_cmpx_ne_u32_e32 0, v5
	s_cbranch_execz .LBB200_1057
; %bb.1055:
	scratch_load_b32 v6, off, s32 offset:1408 ; 4-byte Folded Reload
	s_ashr_i32 s11, s10, 31
	v_lshlrev_b32_e32 v0, 9, v8
	s_lshl_b64 s[16:17], s[10:11], 2
	s_delay_alu instid0(SALU_CYCLE_1)
	s_add_nc_u64 s[16:17], s[6:7], s[16:17]
	s_load_b32 s9, s[16:17], 0x0
	s_wait_loadcnt 0x0
	s_wait_kmcnt 0x0
	v_add3_u32 v6, v0, v6, s9
.LBB200_1056:                           ; =>This Inner Loop Header: Depth=1
	ds_load_2addr_stride64_b32 v[8:9], v6 offset1:2
	v_add_nc_u32_e32 v5, -1, v5
	s_delay_alu instid0(VALU_DEP_1)
	v_cmp_eq_u32_e32 vcc_lo, 0, v5
	s_or_b32 s8, vcc_lo, s8
	s_wait_dscnt 0x0
	v_pk_mul_f32 v[8:9], v[2:3], v[8:9]
	ds_store_2addr_stride64_b32 v6, v8, v9 offset1:2
	v_add_nc_u32_e32 v6, 0x400, v6
	s_and_not1_b32 exec_lo, exec_lo, s8
	s_cbranch_execnz .LBB200_1056
.LBB200_1057:
	s_or_b32 exec_lo, exec_lo, s3
	v_add_nc_u32_e32 v0, 1, v4
	s_delay_alu instid0(VALU_DEP_1) | instskip(NEXT) | instid1(VALU_DEP_1)
	v_and_b32_e32 v3, 0x3fffffe, v0
	v_cmp_ne_u32_e32 vcc_lo, v0, v3
	s_wait_loadcnt 0x0
	v_lshl_add_u32 v3, v3, 7, v12
	s_or_not1_b32 s3, vcc_lo, exec_lo
.LBB200_1058:
	s_or_b32 exec_lo, exec_lo, s2
	s_delay_alu instid0(SALU_CYCLE_1)
	s_and_b32 exec_lo, exec_lo, s3
	s_cbranch_execz .LBB200_1061
; %bb.1059:
	s_ashr_i32 s11, s10, 31
	s_delay_alu instid0(SALU_CYCLE_1) | instskip(NEXT) | instid1(SALU_CYCLE_1)
	s_lshl_b64 s[2:3], s[10:11], 2
	s_add_nc_u64 s[2:3], s[6:7], s[2:3]
	s_load_b32 s2, s[2:3], 0x0
	s_wait_kmcnt 0x0
	v_lshl_add_u32 v4, v3, 2, s2
	s_mov_b32 s2, 0
.LBB200_1060:                           ; =>This Inner Loop Header: Depth=1
	ds_load_b32 v0, v4
	s_wait_dscnt 0x0
	v_dual_mul_f32 v0, v2, v0 :: v_dual_add_nc_u32 v3, 0x80, v3
	s_delay_alu instid0(VALU_DEP_1) | instskip(SKIP_3) | instid1(SALU_CYCLE_1)
	v_cmp_ge_i32_e32 vcc_lo, v3, v1
	ds_store_b32 v4, v0
	v_add_nc_u32_e32 v4, 0x200, v4
	s_or_b32 s2, vcc_lo, s2
	s_and_not1_b32 exec_lo, exec_lo, s2
	s_cbranch_execnz .LBB200_1060
.LBB200_1061:
	s_or_b32 exec_lo, exec_lo, s1
	s_wait_dscnt 0x0
	s_barrier_signal -1
	s_barrier_wait -1
	s_and_saveexec_b32 s1, s0
	s_delay_alu instid0(SALU_CYCLE_1)
	s_xor_b32 s0, exec_lo, s1
	s_cbranch_execz .LBB200_1063
; %bb.1062:
                                        ; implicit-def: $vgpr0
	s_ashr_i32 s11, s10, 31
	s_clause 0x2
	scratch_store_b64 off, v[0:1], s32 offset:192
	; meta instruction
	; meta instruction
	;; [unrolled: 1-line block ×3, first 2 shown]
	scratch_store_b64 off, v[0:1], s32 offset:764
	; meta instruction
	; meta instruction
	;; [unrolled: 1-line block ×9, first 2 shown]
	scratch_store_b64 off, v[0:1], s32 offset:1380
                                        ; implicit-def: $vgpr0
                                        ; kill: killed $vgpr0
                                        ; implicit-def: $vgpr0
                                        ; kill: killed $vgpr0
.LBB200_1063:
	s_wait_xcnt 0x0
	s_or_saveexec_b32 s1, s0
	v_mov_b64_e32 v[2:3], s[10:11]
	v_dual_mov_b32 v7, 0 :: v_dual_bitop2_b32 v47, 3, v12 bitop3:0x40
	v_dual_mov_b32 v6, 0 :: v_dual_mov_b32 v9, 0
	v_dual_mov_b32 v8, 0 :: v_dual_mov_b32 v11, 0
	;; [unrolled: 1-line block ×15, first 2 shown]
	v_mov_b32_e32 v36, 0
	s_xor_b32 exec_lo, exec_lo, s1
	s_cbranch_execz .LBB200_2155
; %bb.1064:
	s_clause 0x3
	scratch_store_b32 off, v46, s32 offset:476
	scratch_store_b32 off, v100, s32 offset:468
	;; [unrolled: 1-line block ×3, first 2 shown]
	scratch_load_b64 v[0:1], off, s32 offset:1420 th:TH_LOAD_LU
	s_ashr_i32 s11, s10, 31
	v_dual_mov_b32 v9, 0 :: v_dual_mov_b32 v8, 0
	s_lshl_b64 s[2:3], s[10:11], 2
	v_dual_mov_b32 v11, 0 :: v_dual_mov_b32 v10, 0
	s_add_nc_u64 s[2:3], s[6:7], s[2:3]
	v_dual_mov_b32 v13, 0 :: v_dual_mov_b32 v12, 0
	v_dual_mov_b32 v15, 0 :: v_dual_mov_b32 v14, 0
	;; [unrolled: 1-line block ×13, first 2 shown]
	s_wait_loadcnt 0x0
	flat_load_b32 v38, v[0:1]
	s_clause 0x2
	scratch_load_b32 v1, off, s32 offset:1408 th:TH_LOAD_LU
	scratch_load_b64 v[2:3], off, s32 offset:1428 th:TH_LOAD_LU
	scratch_load_b64 v[4:5], off, s32 offset:1380 th:TH_LOAD_LU
	s_load_b32 s0, s[2:3], 0x0
	s_wait_xcnt 0x0
	s_mov_b32 s2, 0
	scratch_store_b32 off, v47, s32 offset:484 ; 4-byte Folded Spill
	v_mov_b32_e32 v75, 0
	scratch_load_b32 v91, off, s32 offset:1376 ; 4-byte Folded Reload
	v_dual_mov_b32 v7, 0 :: v_dual_mov_b32 v6, 0
	v_dual_mov_b32 v49, v75 :: v_dual_mov_b32 v51, v75
	s_wait_loadcnt_dscnt 0x300
	v_dual_mov_b32 v39, v38 :: v_dual_bitop2_b32 v0, 12, v1 bitop3:0x40
	s_wait_loadcnt 0x1
	v_add_nc_u64_e32 v[2:3], v[2:3], v[4:5]
	v_and_b32_e32 v48, 0x7c, v1
	v_or_b32_e32 v50, 0xf80, v1
	s_clause 0x4
	scratch_store_b64 off, v[48:49], s32 offset:436
	scratch_store_b64 off, v[2:3], s32 offset:428
	;; [unrolled: 1-line block ×3, first 2 shown]
	scratch_load_b64 v[2:3], off, s32 offset:192
	scratch_load_b64 v[48:49], off, s32 offset:1388 th:TH_LOAD_LU
	s_wait_loadcnt 0x1
	v_mov_b32_e32 v1, v2
	s_clause 0x2
	scratch_load_b64 v[2:3], off, s32 offset:1396 th:TH_LOAD_LU
	scratch_store_b64 off, v[0:1], s32 offset:452
	scratch_load_b32 v1, off, s32 offset:1404 th:TH_LOAD_LU
	s_wait_loadcnt 0x0
	v_and_b32_e32 v74, 0x7c, v1
	v_lshlrev_b32_e32 v1, 4, v47
	s_delay_alu instid0(VALU_DEP_2) | instskip(NEXT) | instid1(VALU_DEP_2)
	v_lshl_add_u64 v[2:3], v[2:3], 2, v[74:75]
	v_lshl_or_b32 v4, v91, 6, v1
	v_lshl_or_b32 v1, v91, 4, v0
	s_delay_alu instid0(VALU_DEP_3) | instskip(SKIP_1) | instid1(VALU_DEP_3)
	v_add_nc_u64_e32 v[2:3], v[48:49], v[2:3]
	s_wait_kmcnt 0x0
	v_add_nc_u32_e32 v90, s0, v4
	s_branch .LBB200_1066
.LBB200_1065:                           ;   in Loop: Header=BB200_1066 Depth=1
	s_wait_xcnt 0x0
	s_or_b32 exec_lo, exec_lo, s3
	v_dual_mul_f32 v0, v3, v59 :: v_dual_mul_f32 v52, v3, v65
	v_add_nc_u32_e32 v1, 64, v1
	v_dual_mul_f32 v53, v3, v47 :: v_dual_add_nc_u32 v90, 0x100, v90
	s_delay_alu instid0(VALU_DEP_3) | instskip(NEXT) | instid1(VALU_DEP_4)
	v_fmac_f32_e32 v0, v2, v58
	v_dual_fmac_f32 v52, v2, v64 :: v_dual_mul_f32 v64, v3, v43
	s_delay_alu instid0(VALU_DEP_3) | instskip(NEXT) | instid1(VALU_DEP_3)
	v_dual_mul_f32 v65, v3, v119 :: v_dual_fmac_f32 v53, v2, v46
	v_dual_fmac_f32 v0, v4, v96 :: v_dual_mul_f32 v96, v3, v115
	s_delay_alu instid0(VALU_DEP_3) | instskip(NEXT) | instid1(VALU_DEP_3)
	v_fmac_f32_e32 v64, v2, v42
	v_fmac_f32_e32 v65, v2, v118
	s_delay_alu instid0(VALU_DEP_3) | instskip(SKIP_1) | instid1(VALU_DEP_4)
	v_dual_fmac_f32 v53, v4, v44 :: v_dual_fmac_f32 v0, v5, v97
	v_fmac_f32_e32 v52, v4, v56
	v_fmac_f32_e32 v64, v4, v40
	s_delay_alu instid0(VALU_DEP_4) | instskip(NEXT) | instid1(VALU_DEP_4)
	v_fmac_f32_e32 v65, v4, v116
	v_dual_fmac_f32 v53, v5, v45 :: v_dual_fmac_f32 v96, v2, v114
	s_delay_alu instid0(VALU_DEP_4) | instskip(NEXT) | instid1(VALU_DEP_4)
	v_fmac_f32_e32 v52, v5, v57
	v_fmac_f32_e32 v64, v5, v41
	s_delay_alu instid0(VALU_DEP_4) | instskip(NEXT) | instid1(VALU_DEP_4)
	v_dual_fmac_f32 v65, v5, v117 :: v_dual_mul_f32 v97, v3, v103
	v_dual_fmac_f32 v96, v4, v112 :: v_dual_mul_f32 v85, v3, v85
	v_mul_f32_e32 v67, v3, v67
	s_delay_alu instid0(VALU_DEP_3) | instskip(NEXT) | instid1(VALU_DEP_3)
	v_dual_mul_f32 v55, v3, v55 :: v_dual_fmac_f32 v97, v2, v102
	v_dual_fmac_f32 v96, v5, v113 :: v_dual_mul_f32 v99, v3, v99
	s_delay_alu instid0(VALU_DEP_4) | instskip(NEXT) | instid1(VALU_DEP_3)
	v_dual_fmac_f32 v85, v2, v84 :: v_dual_mul_f32 v71, v3, v71
	v_dual_fmac_f32 v97, v4, v100 :: v_dual_fmac_f32 v67, v2, v66
	s_delay_alu instid0(VALU_DEP_3) | instskip(NEXT) | instid1(VALU_DEP_3)
	v_dual_mul_f32 v49, v3, v49 :: v_dual_fmac_f32 v99, v2, v98
	v_fmac_f32_e32 v85, v4, v80
	s_delay_alu instid0(VALU_DEP_3) | instskip(SKIP_1) | instid1(VALU_DEP_3)
	v_dual_fmac_f32 v97, v5, v101 :: v_dual_fmac_f32 v71, v2, v70
	v_dual_add_f32 v10, v10, v65 :: v_dual_add_f32 v13, v13, v96
	v_dual_fmac_f32 v99, v4, v86 :: v_dual_fmac_f32 v85, v5, v81
	s_delay_alu instid0(VALU_DEP_3) | instskip(SKIP_1) | instid1(VALU_DEP_3)
	v_fmac_f32_e32 v71, v4, v68
	v_dual_fmac_f32 v55, v2, v54 :: v_dual_fmac_f32 v49, v2, v48
	v_fmac_f32_e32 v99, v5, v87
	v_dual_fmac_f32 v67, v4, v82 :: v_dual_add_f32 v6, v6, v0
	s_delay_alu instid0(VALU_DEP_4) | instskip(NEXT) | instid1(VALU_DEP_3)
	v_fmac_f32_e32 v71, v5, v69
	v_dual_add_f32 v12, v12, v97 :: v_dual_add_f32 v15, v15, v99
	v_dual_add_f32 v14, v14, v85 :: v_dual_fmac_f32 v55, v4, v50
	v_add_f32_e32 v9, v9, v52
	v_dual_fmac_f32 v67, v5, v83 :: v_dual_add_f32 v8, v8, v53
	v_mul_f32_e32 v0, v3, v125
	v_dual_mul_f32 v50, v3, v109 :: v_dual_fmac_f32 v49, v4, v126
	scratch_load_b64 v[52:53], off, s32 offset:356 th:TH_LOAD_LU ; 8-byte Folded Reload
	v_add_f32_e32 v17, v17, v71
	v_dual_fmac_f32 v55, v5, v51 :: v_dual_add_f32 v11, v11, v64
	v_add_f32_e32 v16, v16, v67
	s_clause 0x2
	scratch_load_b64 v[66:67], off, s32 offset:404 th:TH_LOAD_LU
	scratch_load_b64 v[68:69], off, s32 offset:412 th:TH_LOAD_LU
	;; [unrolled: 1-line block ×3, first 2 shown]
	v_dual_fmac_f32 v0, v2, v124 :: v_dual_mul_f32 v48, v3, v121
	v_mul_f32_e32 v51, v3, v105
	v_dual_add_f32 v19, v19, v55 :: v_dual_fmac_f32 v50, v2, v108
	scratch_load_b64 v[54:55], off, s32 offset:372 th:TH_LOAD_LU ; 8-byte Folded Reload
	v_dual_fmac_f32 v48, v2, v120 :: v_dual_fmac_f32 v49, v5, v127
	v_dual_fmac_f32 v51, v2, v104 :: v_dual_fmac_f32 v0, v4, v122
	s_delay_alu instid0(VALU_DEP_2) | instskip(NEXT) | instid1(VALU_DEP_2)
	v_dual_add_f32 v18, v18, v49 :: v_dual_fmac_f32 v50, v4, v106
	v_fmac_f32_e32 v0, v5, v123
	s_delay_alu instid0(VALU_DEP_2) | instskip(NEXT) | instid1(VALU_DEP_1)
	v_dual_fmac_f32 v48, v4, v110 :: v_dual_fmac_f32 v50, v5, v107
	v_dual_fmac_f32 v51, v4, v94 :: v_dual_fmac_f32 v48, v5, v111
	s_delay_alu instid0(VALU_DEP_3) | instskip(NEXT) | instid1(VALU_DEP_2)
	v_dual_mul_f32 v49, v3, v93 :: v_dual_add_f32 v21, v21, v0
	v_dual_add_f32 v23, v23, v50 :: v_dual_fmac_f32 v51, v5, v95
	s_delay_alu instid0(VALU_DEP_3) | instskip(NEXT) | instid1(VALU_DEP_3)
	v_add_f32_e32 v20, v20, v48
	v_fmac_f32_e32 v49, v2, v92
	s_delay_alu instid0(VALU_DEP_3) | instskip(SKIP_2) | instid1(VALU_DEP_1)
	v_add_f32_e32 v22, v22, v51
	s_wait_loadcnt 0x1
	v_dual_mul_f32 v0, v3, v67 :: v_dual_mul_f32 v48, v3, v65
	v_fmac_f32_e32 v0, v2, v66
	scratch_load_b64 v[66:67], off, s32 offset:396 th:TH_LOAD_LU ; 8-byte Folded Reload
	s_wait_loadcnt 0x1
	v_dual_mul_f32 v50, v3, v55 :: v_dual_fmac_f32 v48, v2, v64
	scratch_load_b64 v[64:65], off, s32 offset:380 th:TH_LOAD_LU ; 8-byte Folded Reload
	v_fmac_f32_e32 v50, v2, v54
	scratch_load_b64 v[54:55], off, s32 offset:364 th:TH_LOAD_LU ; 8-byte Folded Reload
	v_dual_fmac_f32 v49, v4, v68 :: v_dual_mul_f32 v51, v3, v53
	s_delay_alu instid0(VALU_DEP_1)
	v_dual_fmac_f32 v49, v5, v69 :: v_dual_fmac_f32 v51, v2, v52
	s_clause 0x1
	scratch_load_b64 v[52:53], off, s32 offset:348 th:TH_LOAD_LU
	scratch_load_b64 v[68:69], off, s32 offset:332 th:TH_LOAD_LU
	s_wait_loadcnt 0x4
	v_dual_fmac_f32 v0, v4, v66 :: v_dual_add_f32 v25, v25, v49
	s_wait_loadcnt 0x2
	v_dual_fmac_f32 v48, v4, v64 :: v_dual_fmac_f32 v50, v4, v54
	s_delay_alu instid0(VALU_DEP_1)
	v_fmac_f32_e32 v48, v5, v65
	scratch_load_b64 v[64:65], off, s32 offset:316 th:TH_LOAD_LU ; 8-byte Folded Reload
	v_fmac_f32_e32 v50, v5, v55
	scratch_load_b64 v[54:55], off, s32 offset:340 th:TH_LOAD_LU ; 8-byte Folded Reload
	v_add_f32_e32 v27, v27, v48
	s_wait_loadcnt 0x3
	v_dual_fmac_f32 v51, v4, v52 :: v_dual_fmac_f32 v0, v5, v67
	s_clause 0x1
	scratch_load_b64 v[66:67], off, s32 offset:324 th:TH_LOAD_LU
	scratch_load_b64 v[48:49], off, s32 offset:284 th:TH_LOAD_LU
	v_dual_add_f32 v26, v26, v50 :: v_dual_fmac_f32 v51, v5, v53
	s_delay_alu instid0(VALU_DEP_1) | instskip(SKIP_3) | instid1(VALU_DEP_1)
	v_dual_add_f32 v24, v24, v0 :: v_dual_add_f32 v29, v29, v51
	s_wait_loadcnt 0x2
	v_mul_f32_e32 v52, v3, v55
	s_wait_loadcnt 0x1
	v_dual_mul_f32 v0, v3, v67 :: v_dual_fmac_f32 v52, v2, v54
	scratch_load_b64 v[54:55], off, s32 offset:300 th:TH_LOAD_LU ; 8-byte Folded Reload
	v_fmac_f32_e32 v0, v2, v66
	scratch_load_b64 v[66:67], off, s32 offset:308 th:TH_LOAD_LU ; 8-byte Folded Reload
	v_mul_f32_e32 v50, v3, v65
	s_delay_alu instid0(VALU_DEP_1) | instskip(SKIP_3) | instid1(VALU_DEP_1)
	v_fmac_f32_e32 v50, v2, v64
	scratch_load_b64 v[64:65], off, s32 offset:292 th:TH_LOAD_LU ; 8-byte Folded Reload
	s_wait_loadcnt 0x1
	v_dual_mul_f32 v51, v3, v55 :: v_dual_fmac_f32 v50, v4, v66
	v_fmac_f32_e32 v51, v2, v54
	scratch_load_b64 v[54:55], off, s32 offset:276 th:TH_LOAD_LU ; 8-byte Folded Reload
	v_mul_f32_e32 v53, v3, v49
	s_delay_alu instid0(VALU_DEP_1) | instskip(SKIP_3) | instid1(VALU_DEP_1)
	v_fmac_f32_e32 v53, v2, v48
	scratch_load_b64 v[48:49], off, s32 offset:204 th:TH_LOAD_LU ; 8-byte Folded Reload
	s_wait_loadcnt 0x1
	v_dual_fmac_f32 v51, v4, v64 :: v_dual_fmac_f32 v53, v4, v54
	v_dual_fmac_f32 v50, v5, v67 :: v_dual_fmac_f32 v51, v5, v65
	s_clause 0x1
	scratch_load_b64 v[66:67], off, s32 offset:252 th:TH_LOAD_LU
	scratch_load_b64 v[64:65], off, s32 offset:236 th:TH_LOAD_LU
	v_fmac_f32_e32 v53, v5, v55
	scratch_load_b64 v[54:55], off, s32 offset:220 th:TH_LOAD_LU ; 8-byte Folded Reload
	s_wait_loadcnt 0x3
	v_dual_fmac_f32 v0, v4, v48 :: v_dual_add_f32 v30, v30, v50
	s_delay_alu instid0(VALU_DEP_1) | instskip(SKIP_3) | instid1(VALU_DEP_2)
	v_fmac_f32_e32 v0, v5, v49
	scratch_load_b64 v[48:49], off, s32 offset:268 th:TH_LOAD_LU ; 8-byte Folded Reload
	v_fmac_f32_e32 v52, v4, v68
	v_dual_add_f32 v31, v31, v0 :: v_dual_add_f32 v32, v32, v53
	v_fmac_f32_e32 v52, v5, v69
	scratch_load_b64 v[68:69], off, s32 offset:260 th:TH_LOAD_LU ; 8-byte Folded Reload
	s_wait_loadcnt 0x4
	v_dual_add_f32 v28, v28, v52 :: v_dual_mul_f32 v0, v3, v67
	s_wait_loadcnt 0x3
	v_mul_f32_e32 v50, v3, v65
	s_wait_loadcnt 0x1
	v_dual_mul_f32 v52, v3, v49 :: v_dual_add_f32 v33, v33, v51
	v_dual_mul_f32 v51, v3, v55 :: v_dual_fmac_f32 v0, v2, v66
	s_delay_alu instid0(VALU_DEP_3)
	v_fmac_f32_e32 v50, v2, v64
	s_clause 0x1
	scratch_load_b64 v[66:67], off, s32 offset:244 th:TH_LOAD_LU
	scratch_load_b64 v[64:65], off, s32 offset:228 th:TH_LOAD_LU
	v_fmac_f32_e32 v52, v2, v48
	v_pk_mul_f32 v[48:49], v[2:3], v[62:63]
	v_fmac_f32_e32 v51, v2, v54
	scratch_load_b64 v[54:55], off, s32 offset:212 th:TH_LOAD_LU ; 8-byte Folded Reload
	v_pk_mul_f32 v[2:3], v[4:5], v[60:61]
	s_wait_loadcnt 0x3
	v_fmac_f32_e32 v52, v4, v68
	s_wait_loadcnt 0x1
	s_delay_alu instid0(VALU_DEP_1) | instskip(NEXT) | instid1(VALU_DEP_1)
	v_dual_fmac_f32 v52, v5, v69 :: v_dual_fmac_f32 v50, v4, v64
	v_dual_add_f32 v48, v48, v49 :: v_dual_add_f32 v35, v35, v52
	s_delay_alu instid0(VALU_DEP_2) | instskip(NEXT) | instid1(VALU_DEP_1)
	v_dual_fmac_f32 v0, v4, v66 :: v_dual_fmac_f32 v50, v5, v65
	v_dual_add_f32 v2, v2, v48 :: v_dual_fmac_f32 v0, v5, v67
	s_delay_alu instid0(VALU_DEP_1) | instskip(NEXT) | instid1(VALU_DEP_2)
	v_dual_add_f32 v2, v3, v2 :: v_dual_add_nc_u32 v91, 4, v91
	v_add_f32_e32 v34, v34, v0
	scratch_load_b32 v0, off, s32 offset:200 ; 4-byte Folded Reload
	s_wait_loadcnt 0x1
	v_fmac_f32_e32 v51, v4, v54
	v_add_f32_e32 v7, v7, v2
	scratch_load_b64 v[2:3], off, s32 offset:420 th:TH_LOAD_LU ; 8-byte Folded Reload
	v_fmac_f32_e32 v51, v5, v55
	s_delay_alu instid0(VALU_DEP_1)
	v_dual_add_f32 v37, v37, v50 :: v_dual_add_f32 v36, v36, v51
	s_wait_loadcnt 0x1
	v_cmp_ge_i32_e32 vcc_lo, v91, v0
	s_wait_loadcnt 0x0
	v_add_nc_u64_e32 v[2:3], 16, v[2:3]
	s_or_b32 s2, vcc_lo, s2
	s_wait_xcnt 0x0
	s_and_not1_b32 exec_lo, exec_lo, s2
	s_cbranch_execz .LBB200_2154
.LBB200_1066:                           ; =>This Inner Loop Header: Depth=1
	scratch_store_b64 off, v[2:3], s32 offset:420 ; 8-byte Folded Spill
	flat_load_b32 v0, v[2:3]
	s_clause 0x1
	scratch_load_b64 v[2:3], off, s32 offset:764
	scratch_load_b64 v[4:5], off, s32 offset:428
	v_mov_b64_e32 v[48:49], 0
	v_mov_b64_e32 v[50:51], 0
	s_mov_b32 s0, exec_lo
	s_wait_loadcnt_dscnt 0x0
	v_mad_nc_i64_i32 v[4:5], v0, v2, v[4:5]
	scratch_load_b64 v[2:3], off, s32 offset:436 ; 8-byte Folded Reload
	v_mov_b64_e32 v[88:89], v[4:5]
	s_wait_loadcnt 0x0
	v_add_nc_u64_e32 v[96:97], v[4:5], v[2:3]
	ds_load_b128 v[2:5], v90
	flat_load_b32 v52, v[96:97]
	s_wait_loadcnt_dscnt 0x0
	v_and_b32_e32 v53, 0xff, v52
	s_wait_xcnt 0x0
	s_delay_alu instid0(VALU_DEP_1)
	v_cmpx_ne_u16_e32 0, v53
	s_cbranch_execz .LBB200_1074
; %bb.1067:                             ;   in Loop: Header=BB200_1066 Depth=1
	v_mov_b64_e32 v[50:51], 0x80000000
	s_mov_b32 s3, exec_lo
	v_cmpx_ne_u16_e32 0x80, v53
	s_cbranch_execz .LBB200_1073
; %bb.1068:                             ;   in Loop: Header=BB200_1066 Depth=1
	v_mov_b64_e32 v[50:51], 0x7f800001
	v_and_b32_e32 v53, 0x7f, v52
	s_mov_b32 s8, exec_lo
	s_delay_alu instid0(VALU_DEP_1)
	v_cmpx_ne_u32_e32 0x7f, v53
	s_cbranch_execz .LBB200_1072
; %bb.1069:                             ;   in Loop: Header=BB200_1066 Depth=1
	v_dual_lshrrev_b32 v50, 3, v53 :: v_dual_bitop2_b32 v74, 7, v52 bitop3:0x40
	s_mov_b32 s9, exec_lo
	v_cmpx_gt_u32_e32 8, v53
; %bb.1070:                             ;   in Loop: Header=BB200_1066 Depth=1
	s_delay_alu instid0(VALU_DEP_2) | instskip(NEXT) | instid1(VALU_DEP_1)
	v_clz_i32_u32_e32 v0, v74
	v_min_u32_e32 v0, 32, v0
	s_delay_alu instid0(VALU_DEP_1) | instskip(NEXT) | instid1(VALU_DEP_1)
	v_subrev_nc_u32_e32 v50, 28, v0
	v_lshlrev_b64_e32 v[54:55], v50, v[74:75]
	s_delay_alu instid0(VALU_DEP_1)
	v_dual_sub_nc_u32 v50, 29, v0 :: v_dual_bitop2_b32 v74, 7, v54 bitop3:0x40
; %bb.1071:                             ;   in Loop: Header=BB200_1066 Depth=1
	s_or_b32 exec_lo, exec_lo, s9
	s_delay_alu instid0(VALU_DEP_1) | instskip(NEXT) | instid1(VALU_DEP_2)
	v_dual_lshlrev_b32 v0, 24, v52 :: v_dual_lshlrev_b32 v51, 20, v74
	v_lshl_add_u32 v50, v50, 23, 0x3c000000
	s_delay_alu instid0(VALU_DEP_2) | instskip(NEXT) | instid1(VALU_DEP_1)
	v_and_b32_e32 v0, 0x80000000, v0
	v_or3_b32 v74, v51, v0, v50
	s_delay_alu instid0(VALU_DEP_1)
	v_mov_b64_e32 v[50:51], v[74:75]
.LBB200_1072:                           ;   in Loop: Header=BB200_1066 Depth=1
	s_or_b32 exec_lo, exec_lo, s8
.LBB200_1073:                           ;   in Loop: Header=BB200_1066 Depth=1
	s_delay_alu instid0(SALU_CYCLE_1)
	s_or_b32 exec_lo, exec_lo, s3
.LBB200_1074:                           ;   in Loop: Header=BB200_1066 Depth=1
	s_delay_alu instid0(SALU_CYCLE_1) | instskip(SKIP_2) | instid1(VALU_DEP_1)
	s_or_b32 exec_lo, exec_lo, s0
	v_lshrrev_b16 v53, 8, v52
	s_mov_b32 s0, exec_lo
	v_cmpx_ne_u16_e32 0, v53
	s_cbranch_execz .LBB200_1082
; %bb.1075:                             ;   in Loop: Header=BB200_1066 Depth=1
	v_mov_b64_e32 v[48:49], 0x8000000000000000
	s_mov_b32 s3, exec_lo
	v_cmpx_ne_u16_e32 0x80, v53
	s_cbranch_execz .LBB200_1081
; %bb.1076:                             ;   in Loop: Header=BB200_1066 Depth=1
	v_and_b32_e32 v54, 0xffff, v53
	v_mov_b64_e32 v[48:49], 0x7f80000100000000
	s_mov_b32 s8, exec_lo
	s_delay_alu instid0(VALU_DEP_2) | instskip(NEXT) | instid1(VALU_DEP_1)
	v_and_b32_e32 v53, 0x7f, v54
	v_cmpx_ne_u32_e32 0x7f, v53
	s_cbranch_execz .LBB200_1080
; %bb.1077:                             ;   in Loop: Header=BB200_1066 Depth=1
	v_dual_lshrrev_b32 v48, 3, v53 :: v_dual_bitop2_b32 v74, 7, v54 bitop3:0x40
	s_mov_b32 s9, exec_lo
	v_cmpx_gt_u32_e32 8, v53
; %bb.1078:                             ;   in Loop: Header=BB200_1066 Depth=1
	s_delay_alu instid0(VALU_DEP_2) | instskip(NEXT) | instid1(VALU_DEP_1)
	v_clz_i32_u32_e32 v0, v74
	v_min_u32_e32 v0, 32, v0
	s_delay_alu instid0(VALU_DEP_1) | instskip(NEXT) | instid1(VALU_DEP_1)
	v_subrev_nc_u32_e32 v48, 28, v0
	v_lshlrev_b64_e32 v[54:55], v48, v[74:75]
	s_delay_alu instid0(VALU_DEP_1)
	v_dual_sub_nc_u32 v48, 29, v0 :: v_dual_bitop2_b32 v74, 7, v54 bitop3:0x40
; %bb.1079:                             ;   in Loop: Header=BB200_1066 Depth=1
	s_or_b32 exec_lo, exec_lo, s9
	s_delay_alu instid0(VALU_DEP_1) | instskip(NEXT) | instid1(VALU_DEP_2)
	v_dual_lshlrev_b32 v0, 16, v52 :: v_dual_lshlrev_b32 v49, 20, v74
	v_lshl_add_u32 v48, v48, 23, 0x3c000000
	s_delay_alu instid0(VALU_DEP_2) | instskip(NEXT) | instid1(VALU_DEP_1)
	v_and_b32_e32 v0, 0x80000000, v0
	v_or3_b32 v49, v49, v0, v48
	v_mov_b32_e32 v48, v75
.LBB200_1080:                           ;   in Loop: Header=BB200_1066 Depth=1
	s_or_b32 exec_lo, exec_lo, s8
.LBB200_1081:                           ;   in Loop: Header=BB200_1066 Depth=1
	s_delay_alu instid0(SALU_CYCLE_1)
	s_or_b32 exec_lo, exec_lo, s3
.LBB200_1082:                           ;   in Loop: Header=BB200_1066 Depth=1
	s_delay_alu instid0(SALU_CYCLE_1) | instskip(SKIP_4) | instid1(VALU_DEP_3)
	s_or_b32 exec_lo, exec_lo, s0
	v_lshrrev_b32_e32 v53, 16, v52
	v_mov_b64_e32 v[54:55], 0
	v_mov_b64_e32 v[64:65], 0
	s_mov_b32 s0, exec_lo
	v_and_b32_e32 v66, 0xff, v53
	s_delay_alu instid0(VALU_DEP_1)
	v_cmpx_ne_u16_e32 0, v66
	s_cbranch_execz .LBB200_1090
; %bb.1083:                             ;   in Loop: Header=BB200_1066 Depth=1
	v_mov_b64_e32 v[64:65], 0x80000000
	s_mov_b32 s3, exec_lo
	v_cmpx_ne_u16_e32 0x80, v66
	s_cbranch_execz .LBB200_1089
; %bb.1084:                             ;   in Loop: Header=BB200_1066 Depth=1
	v_mov_b64_e32 v[64:65], 0x7f800001
	v_bfe_u32 v66, v52, 16, 7
	s_mov_b32 s8, exec_lo
	s_delay_alu instid0(VALU_DEP_1)
	v_cmpx_ne_u32_e32 0x7f, v66
	s_cbranch_execz .LBB200_1088
; %bb.1085:                             ;   in Loop: Header=BB200_1066 Depth=1
	v_dual_lshrrev_b32 v64, 3, v66 :: v_dual_bitop2_b32 v74, 7, v53 bitop3:0x40
	s_mov_b32 s9, exec_lo
	v_cmpx_gt_u32_e32 8, v66
; %bb.1086:                             ;   in Loop: Header=BB200_1066 Depth=1
	s_delay_alu instid0(VALU_DEP_2) | instskip(NEXT) | instid1(VALU_DEP_1)
	v_clz_i32_u32_e32 v0, v74
	v_min_u32_e32 v0, 32, v0
	s_delay_alu instid0(VALU_DEP_1) | instskip(NEXT) | instid1(VALU_DEP_1)
	v_subrev_nc_u32_e32 v64, 28, v0
	v_lshlrev_b64_e32 v[66:67], v64, v[74:75]
	s_delay_alu instid0(VALU_DEP_1)
	v_dual_sub_nc_u32 v64, 29, v0 :: v_dual_bitop2_b32 v74, 7, v66 bitop3:0x40
; %bb.1087:                             ;   in Loop: Header=BB200_1066 Depth=1
	s_or_b32 exec_lo, exec_lo, s9
	s_delay_alu instid0(VALU_DEP_1) | instskip(NEXT) | instid1(VALU_DEP_2)
	v_dual_lshlrev_b32 v0, 24, v53 :: v_dual_lshlrev_b32 v53, 20, v74
	v_lshl_add_u32 v64, v64, 23, 0x3c000000
	s_delay_alu instid0(VALU_DEP_2) | instskip(NEXT) | instid1(VALU_DEP_1)
	v_and_b32_e32 v0, 0x80000000, v0
	v_or3_b32 v74, v53, v0, v64
	s_delay_alu instid0(VALU_DEP_1)
	v_mov_b64_e32 v[64:65], v[74:75]
.LBB200_1088:                           ;   in Loop: Header=BB200_1066 Depth=1
	s_or_b32 exec_lo, exec_lo, s8
.LBB200_1089:                           ;   in Loop: Header=BB200_1066 Depth=1
	s_delay_alu instid0(SALU_CYCLE_1)
	s_or_b32 exec_lo, exec_lo, s3
.LBB200_1090:                           ;   in Loop: Header=BB200_1066 Depth=1
	s_delay_alu instid0(SALU_CYCLE_1) | instskip(NEXT) | instid1(SALU_CYCLE_1)
	s_or_b32 exec_lo, exec_lo, s0
	s_mov_b32 s0, exec_lo
	v_cmpx_lt_u32_e32 0xffffff, v52
	s_cbranch_execz .LBB200_1098
; %bb.1091:                             ;   in Loop: Header=BB200_1066 Depth=1
	v_mov_b64_e32 v[54:55], 0x8000000000000000
	v_lshrrev_b32_e32 v53, 24, v52
	s_mov_b32 s3, exec_lo
	s_delay_alu instid0(VALU_DEP_1)
	v_cmpx_ne_u32_e32 0x80, v53
	s_cbranch_execz .LBB200_1097
; %bb.1092:                             ;   in Loop: Header=BB200_1066 Depth=1
	v_mov_b64_e32 v[54:55], 0x7f80000100000000
	v_bfe_u32 v66, v52, 24, 7
	s_mov_b32 s8, exec_lo
	s_delay_alu instid0(VALU_DEP_1)
	v_cmpx_ne_u32_e32 0x7f, v66
	s_cbranch_execz .LBB200_1096
; %bb.1093:                             ;   in Loop: Header=BB200_1066 Depth=1
	v_dual_lshrrev_b32 v52, 3, v66 :: v_dual_bitop2_b32 v74, 7, v53 bitop3:0x40
	s_mov_b32 s9, exec_lo
	v_cmpx_gt_u32_e32 8, v66
; %bb.1094:                             ;   in Loop: Header=BB200_1066 Depth=1
	s_delay_alu instid0(VALU_DEP_2) | instskip(NEXT) | instid1(VALU_DEP_1)
	v_clz_i32_u32_e32 v0, v74
	v_min_u32_e32 v0, 32, v0
	s_delay_alu instid0(VALU_DEP_1) | instskip(NEXT) | instid1(VALU_DEP_1)
	v_subrev_nc_u32_e32 v52, 28, v0
	v_lshlrev_b64_e32 v[54:55], v52, v[74:75]
	s_delay_alu instid0(VALU_DEP_1)
	v_dual_sub_nc_u32 v52, 29, v0 :: v_dual_bitop2_b32 v74, 7, v54 bitop3:0x40
; %bb.1095:                             ;   in Loop: Header=BB200_1066 Depth=1
	s_or_b32 exec_lo, exec_lo, s9
	s_delay_alu instid0(VALU_DEP_1) | instskip(NEXT) | instid1(VALU_DEP_2)
	v_dual_lshlrev_b32 v0, 24, v53 :: v_dual_lshlrev_b32 v53, 20, v74
	v_lshl_add_u32 v52, v52, 23, 0x3c000000
	v_mov_b32_e32 v54, v75
	s_delay_alu instid0(VALU_DEP_3) | instskip(NEXT) | instid1(VALU_DEP_1)
	v_and_b32_e32 v0, 0x80000000, v0
	v_or3_b32 v55, v53, v0, v52
.LBB200_1096:                           ;   in Loop: Header=BB200_1066 Depth=1
	s_or_b32 exec_lo, exec_lo, s8
.LBB200_1097:                           ;   in Loop: Header=BB200_1066 Depth=1
	s_delay_alu instid0(SALU_CYCLE_1)
	s_or_b32 exec_lo, exec_lo, s3
.LBB200_1098:                           ;   in Loop: Header=BB200_1066 Depth=1
	s_delay_alu instid0(SALU_CYCLE_1)
	s_or_b32 exec_lo, exec_lo, s0
	scratch_load_b32 v0, off, s32 offset:200 ; 4-byte Folded Reload
	v_or_b32_e32 v49, v49, v51
	v_dual_add_nc_u32 v77, 1, v1 :: v_dual_bitop2_b32 v48, v48, v50 bitop3:0x54
	v_or_b32_e32 v51, v55, v65
	v_dual_add_nc_u32 v73, 2, v1 :: v_dual_bitop2_b32 v50, v54, v64 bitop3:0x54
	s_wait_loadcnt 0x0
	v_dual_add_nc_u32 v72, 3, v1 :: v_dual_add_nc_u32 v0, -1, v0
	v_pk_mul_f32 v[48:49], v[38:39], v[48:49]
	s_delay_alu instid0(VALU_DEP_2)
	v_cmp_eq_u32_e32 vcc_lo, v0, v91
	scratch_store_b64 off, v[48:49], s32 offset:220 ; 8-byte Folded Spill
	s_wait_xcnt 0x0
	v_pk_mul_f32 v[48:49], v[38:39], v[50:51]
	scratch_store_b64 off, v[48:49], s32 offset:212 ; 8-byte Folded Spill
	s_wait_xcnt 0x0
	s_and_saveexec_b32 s3, vcc_lo
	s_cbranch_execz .LBB200_1100
; %bb.1099:                             ;   in Loop: Header=BB200_1066 Depth=1
	scratch_load_b64 v[48:49], off, s32 offset:192 ; 8-byte Folded Reload
	s_wait_loadcnt 0x0
	v_mov_b32_e32 v0, v48
	scratch_load_b64 v[48:49], off, s32 offset:220 th:TH_LOAD_LU ; 8-byte Folded Reload
	v_cmp_lt_i32_e64 s0, v1, v0
	s_wait_loadcnt 0x0
	s_delay_alu instid0(VALU_DEP_1) | instskip(SKIP_1) | instid1(VALU_DEP_1)
	v_cndmask_b32_e64 v48, 0, v48, s0
	v_cmp_lt_i32_e64 s0, v77, v0
	v_cndmask_b32_e64 v49, 0, v49, s0
	v_cmp_lt_i32_e64 s0, v73, v0
	s_clause 0x1
	scratch_store_b64 off, v[48:49], s32 offset:220
	scratch_load_b64 v[48:49], off, s32 offset:212 th:TH_LOAD_LU
	s_wait_loadcnt 0x0
	v_cndmask_b32_e64 v48, 0, v48, s0
	v_cmp_lt_i32_e64 s0, v72, v0
	s_delay_alu instid0(VALU_DEP_1)
	v_cndmask_b32_e64 v49, 0, v49, s0
	scratch_store_b64 off, v[48:49], s32 offset:212 ; 8-byte Folded Spill
.LBB200_1100:                           ;   in Loop: Header=BB200_1066 Depth=1
	s_wait_xcnt 0x0
	s_or_b32 exec_lo, exec_lo, s3
	flat_load_b32 v64, v[96:97] offset:128
	v_mov_b64_e32 v[48:49], 0
	v_mov_b64_e32 v[50:51], 0
	s_mov_b32 s3, exec_lo
	s_wait_loadcnt_dscnt 0x0
	v_and_b32_e32 v52, 0xff, v64
	s_wait_xcnt 0x0
	s_delay_alu instid0(VALU_DEP_1)
	v_cmpx_ne_u16_e32 0, v52
	s_cbranch_execz .LBB200_1108
; %bb.1101:                             ;   in Loop: Header=BB200_1066 Depth=1
	v_mov_b64_e32 v[50:51], 0x80000000
	s_mov_b32 s8, exec_lo
	v_cmpx_ne_u16_e32 0x80, v52
	s_cbranch_execz .LBB200_1107
; %bb.1102:                             ;   in Loop: Header=BB200_1066 Depth=1
	v_mov_b64_e32 v[50:51], 0x7f800001
	v_and_b32_e32 v52, 0x7f, v64
	s_mov_b32 s9, exec_lo
	s_delay_alu instid0(VALU_DEP_1)
	v_cmpx_ne_u32_e32 0x7f, v52
	s_cbranch_execz .LBB200_1106
; %bb.1103:                             ;   in Loop: Header=BB200_1066 Depth=1
	v_and_b32_e32 v74, 7, v64
	v_lshrrev_b32_e32 v50, 3, v52
	s_mov_b32 s16, exec_lo
	v_cmpx_gt_u32_e32 8, v52
; %bb.1104:                             ;   in Loop: Header=BB200_1066 Depth=1
	s_delay_alu instid0(VALU_DEP_3) | instskip(NEXT) | instid1(VALU_DEP_1)
	v_clz_i32_u32_e32 v0, v74
	v_min_u32_e32 v0, 32, v0
	s_delay_alu instid0(VALU_DEP_1) | instskip(NEXT) | instid1(VALU_DEP_1)
	v_subrev_nc_u32_e32 v50, 28, v0
	v_lshlrev_b64_e32 v[52:53], v50, v[74:75]
	v_sub_nc_u32_e32 v50, 29, v0
	s_delay_alu instid0(VALU_DEP_2)
	v_and_b32_e32 v74, 7, v52
; %bb.1105:                             ;   in Loop: Header=BB200_1066 Depth=1
	s_or_b32 exec_lo, exec_lo, s16
	s_delay_alu instid0(VALU_DEP_1) | instskip(NEXT) | instid1(VALU_DEP_3)
	v_dual_lshlrev_b32 v0, 24, v64 :: v_dual_lshlrev_b32 v51, 20, v74
	v_lshl_add_u32 v50, v50, 23, 0x3c000000
	s_delay_alu instid0(VALU_DEP_2) | instskip(NEXT) | instid1(VALU_DEP_1)
	v_and_b32_e32 v0, 0x80000000, v0
	v_or3_b32 v74, v51, v0, v50
	s_delay_alu instid0(VALU_DEP_1)
	v_mov_b64_e32 v[50:51], v[74:75]
.LBB200_1106:                           ;   in Loop: Header=BB200_1066 Depth=1
	s_or_b32 exec_lo, exec_lo, s9
.LBB200_1107:                           ;   in Loop: Header=BB200_1066 Depth=1
	s_delay_alu instid0(SALU_CYCLE_1)
	s_or_b32 exec_lo, exec_lo, s8
.LBB200_1108:                           ;   in Loop: Header=BB200_1066 Depth=1
	s_delay_alu instid0(SALU_CYCLE_1) | instskip(SKIP_2) | instid1(VALU_DEP_1)
	s_or_b32 exec_lo, exec_lo, s3
	v_lshrrev_b16 v52, 8, v64
	s_mov_b32 s3, exec_lo
	v_cmpx_ne_u16_e32 0, v52
	s_cbranch_execz .LBB200_1116
; %bb.1109:                             ;   in Loop: Header=BB200_1066 Depth=1
	v_mov_b64_e32 v[48:49], 0x8000000000000000
	s_mov_b32 s8, exec_lo
	v_cmpx_ne_u16_e32 0x80, v52
	s_cbranch_execz .LBB200_1115
; %bb.1110:                             ;   in Loop: Header=BB200_1066 Depth=1
	v_and_b32_e32 v53, 0xffff, v52
	v_mov_b64_e32 v[48:49], 0x7f80000100000000
	s_mov_b32 s9, exec_lo
	s_delay_alu instid0(VALU_DEP_2) | instskip(NEXT) | instid1(VALU_DEP_1)
	v_and_b32_e32 v52, 0x7f, v53
	v_cmpx_ne_u32_e32 0x7f, v52
	s_cbranch_execz .LBB200_1114
; %bb.1111:                             ;   in Loop: Header=BB200_1066 Depth=1
	v_dual_lshrrev_b32 v48, 3, v52 :: v_dual_bitop2_b32 v74, 7, v53 bitop3:0x40
	s_mov_b32 s16, exec_lo
	v_cmpx_gt_u32_e32 8, v52
; %bb.1112:                             ;   in Loop: Header=BB200_1066 Depth=1
	s_delay_alu instid0(VALU_DEP_2) | instskip(NEXT) | instid1(VALU_DEP_1)
	v_clz_i32_u32_e32 v0, v74
	v_min_u32_e32 v0, 32, v0
	s_delay_alu instid0(VALU_DEP_1) | instskip(NEXT) | instid1(VALU_DEP_1)
	v_subrev_nc_u32_e32 v48, 28, v0
	v_lshlrev_b64_e32 v[52:53], v48, v[74:75]
	v_sub_nc_u32_e32 v48, 29, v0
	s_delay_alu instid0(VALU_DEP_2)
	v_and_b32_e32 v74, 7, v52
; %bb.1113:                             ;   in Loop: Header=BB200_1066 Depth=1
	s_or_b32 exec_lo, exec_lo, s16
	s_delay_alu instid0(VALU_DEP_1) | instskip(NEXT) | instid1(VALU_DEP_3)
	v_dual_lshlrev_b32 v0, 16, v64 :: v_dual_lshlrev_b32 v49, 20, v74
	v_lshl_add_u32 v48, v48, 23, 0x3c000000
	s_delay_alu instid0(VALU_DEP_2) | instskip(NEXT) | instid1(VALU_DEP_1)
	v_and_b32_e32 v0, 0x80000000, v0
	v_or3_b32 v49, v49, v0, v48
	v_mov_b32_e32 v48, v75
.LBB200_1114:                           ;   in Loop: Header=BB200_1066 Depth=1
	s_or_b32 exec_lo, exec_lo, s9
.LBB200_1115:                           ;   in Loop: Header=BB200_1066 Depth=1
	s_delay_alu instid0(SALU_CYCLE_1)
	s_or_b32 exec_lo, exec_lo, s8
.LBB200_1116:                           ;   in Loop: Header=BB200_1066 Depth=1
	s_delay_alu instid0(SALU_CYCLE_1) | instskip(SKIP_4) | instid1(VALU_DEP_3)
	s_or_b32 exec_lo, exec_lo, s3
	v_lshrrev_b32_e32 v65, 16, v64
	v_mov_b64_e32 v[54:55], 0
	v_mov_b64_e32 v[52:53], 0
	s_mov_b32 s3, exec_lo
	v_and_b32_e32 v66, 0xff, v65
	s_delay_alu instid0(VALU_DEP_1)
	v_cmpx_ne_u16_e32 0, v66
	s_cbranch_execz .LBB200_1124
; %bb.1117:                             ;   in Loop: Header=BB200_1066 Depth=1
	v_mov_b64_e32 v[52:53], 0x80000000
	s_mov_b32 s8, exec_lo
	v_cmpx_ne_u16_e32 0x80, v66
	s_cbranch_execz .LBB200_1123
; %bb.1118:                             ;   in Loop: Header=BB200_1066 Depth=1
	v_mov_b64_e32 v[52:53], 0x7f800001
	v_bfe_u32 v66, v64, 16, 7
	s_mov_b32 s9, exec_lo
	s_delay_alu instid0(VALU_DEP_1)
	v_cmpx_ne_u32_e32 0x7f, v66
	s_cbranch_execz .LBB200_1122
; %bb.1119:                             ;   in Loop: Header=BB200_1066 Depth=1
	v_dual_lshrrev_b32 v52, 3, v66 :: v_dual_bitop2_b32 v74, 7, v65 bitop3:0x40
	s_mov_b32 s16, exec_lo
	v_cmpx_gt_u32_e32 8, v66
; %bb.1120:                             ;   in Loop: Header=BB200_1066 Depth=1
	s_delay_alu instid0(VALU_DEP_2) | instskip(NEXT) | instid1(VALU_DEP_1)
	v_clz_i32_u32_e32 v0, v74
	v_min_u32_e32 v0, 32, v0
	s_delay_alu instid0(VALU_DEP_1) | instskip(NEXT) | instid1(VALU_DEP_1)
	v_subrev_nc_u32_e32 v52, 28, v0
	v_lshlrev_b64_e32 v[66:67], v52, v[74:75]
	s_delay_alu instid0(VALU_DEP_1)
	v_dual_sub_nc_u32 v52, 29, v0 :: v_dual_bitop2_b32 v74, 7, v66 bitop3:0x40
; %bb.1121:                             ;   in Loop: Header=BB200_1066 Depth=1
	s_or_b32 exec_lo, exec_lo, s16
	s_delay_alu instid0(VALU_DEP_1) | instskip(NEXT) | instid1(VALU_DEP_2)
	v_dual_lshlrev_b32 v0, 24, v65 :: v_dual_lshlrev_b32 v53, 20, v74
	v_lshl_add_u32 v52, v52, 23, 0x3c000000
	s_delay_alu instid0(VALU_DEP_2) | instskip(NEXT) | instid1(VALU_DEP_1)
	v_and_b32_e32 v0, 0x80000000, v0
	v_or3_b32 v74, v53, v0, v52
	s_delay_alu instid0(VALU_DEP_1)
	v_mov_b64_e32 v[52:53], v[74:75]
.LBB200_1122:                           ;   in Loop: Header=BB200_1066 Depth=1
	s_or_b32 exec_lo, exec_lo, s9
.LBB200_1123:                           ;   in Loop: Header=BB200_1066 Depth=1
	s_delay_alu instid0(SALU_CYCLE_1)
	s_or_b32 exec_lo, exec_lo, s8
.LBB200_1124:                           ;   in Loop: Header=BB200_1066 Depth=1
	s_delay_alu instid0(SALU_CYCLE_1) | instskip(NEXT) | instid1(SALU_CYCLE_1)
	s_or_b32 exec_lo, exec_lo, s3
	s_mov_b32 s3, exec_lo
	v_cmpx_lt_u32_e32 0xffffff, v64
	s_cbranch_execz .LBB200_1132
; %bb.1125:                             ;   in Loop: Header=BB200_1066 Depth=1
	v_mov_b64_e32 v[54:55], 0x8000000000000000
	v_lshrrev_b32_e32 v65, 24, v64
	s_mov_b32 s8, exec_lo
	s_delay_alu instid0(VALU_DEP_1)
	v_cmpx_ne_u32_e32 0x80, v65
	s_cbranch_execz .LBB200_1131
; %bb.1126:                             ;   in Loop: Header=BB200_1066 Depth=1
	v_mov_b64_e32 v[54:55], 0x7f80000100000000
	v_bfe_u32 v64, v64, 24, 7
	s_mov_b32 s9, exec_lo
	s_delay_alu instid0(VALU_DEP_1)
	v_cmpx_ne_u32_e32 0x7f, v64
	s_cbranch_execz .LBB200_1130
; %bb.1127:                             ;   in Loop: Header=BB200_1066 Depth=1
	v_dual_lshrrev_b32 v54, 3, v64 :: v_dual_bitop2_b32 v74, 7, v65 bitop3:0x40
	s_mov_b32 s16, exec_lo
	v_cmpx_gt_u32_e32 8, v64
; %bb.1128:                             ;   in Loop: Header=BB200_1066 Depth=1
	s_delay_alu instid0(VALU_DEP_2) | instskip(NEXT) | instid1(VALU_DEP_1)
	v_clz_i32_u32_e32 v0, v74
	v_min_u32_e32 v0, 32, v0
	s_delay_alu instid0(VALU_DEP_1) | instskip(NEXT) | instid1(VALU_DEP_1)
	v_subrev_nc_u32_e32 v54, 28, v0
	v_lshlrev_b64_e32 v[66:67], v54, v[74:75]
	s_delay_alu instid0(VALU_DEP_1)
	v_dual_sub_nc_u32 v54, 29, v0 :: v_dual_bitop2_b32 v74, 7, v66 bitop3:0x40
; %bb.1129:                             ;   in Loop: Header=BB200_1066 Depth=1
	s_or_b32 exec_lo, exec_lo, s16
	s_delay_alu instid0(VALU_DEP_1) | instskip(NEXT) | instid1(VALU_DEP_2)
	v_dual_lshlrev_b32 v0, 24, v65 :: v_dual_lshlrev_b32 v55, 20, v74
	v_lshl_add_u32 v54, v54, 23, 0x3c000000
	s_delay_alu instid0(VALU_DEP_2) | instskip(NEXT) | instid1(VALU_DEP_1)
	v_and_b32_e32 v0, 0x80000000, v0
	v_or3_b32 v55, v55, v0, v54
	v_mov_b32_e32 v54, v75
.LBB200_1130:                           ;   in Loop: Header=BB200_1066 Depth=1
	s_or_b32 exec_lo, exec_lo, s9
.LBB200_1131:                           ;   in Loop: Header=BB200_1066 Depth=1
	s_delay_alu instid0(SALU_CYCLE_1)
	s_or_b32 exec_lo, exec_lo, s8
.LBB200_1132:                           ;   in Loop: Header=BB200_1066 Depth=1
	s_delay_alu instid0(SALU_CYCLE_1) | instskip(SKIP_4) | instid1(VALU_DEP_3)
	s_or_b32 exec_lo, exec_lo, s3
	v_or_b32_e32 v49, v49, v51
	v_or_b32_e32 v48, v48, v50
	;; [unrolled: 1-line block ×4, first 2 shown]
	v_pk_mul_f32 v[48:49], v[38:39], v[48:49]
	scratch_store_b64 off, v[48:49], s32 offset:236 ; 8-byte Folded Spill
	s_wait_xcnt 0x0
	v_pk_mul_f32 v[48:49], v[38:39], v[50:51]
	scratch_store_b64 off, v[48:49], s32 offset:228 ; 8-byte Folded Spill
	s_wait_xcnt 0x0
	s_and_saveexec_b32 s3, vcc_lo
	s_cbranch_execz .LBB200_1134
; %bb.1133:                             ;   in Loop: Header=BB200_1066 Depth=1
	scratch_load_b64 v[48:49], off, s32 offset:192 ; 8-byte Folded Reload
	s_wait_loadcnt 0x0
	v_mov_b32_e32 v0, v48
	scratch_load_b64 v[48:49], off, s32 offset:236 th:TH_LOAD_LU ; 8-byte Folded Reload
	v_cmp_lt_i32_e64 s0, v1, v0
	s_wait_loadcnt 0x0
	s_delay_alu instid0(VALU_DEP_1) | instskip(SKIP_1) | instid1(VALU_DEP_1)
	v_cndmask_b32_e64 v48, 0, v48, s0
	v_cmp_lt_i32_e64 s0, v77, v0
	v_cndmask_b32_e64 v49, 0, v49, s0
	v_cmp_lt_i32_e64 s0, v73, v0
	s_clause 0x1
	scratch_store_b64 off, v[48:49], s32 offset:236
	scratch_load_b64 v[48:49], off, s32 offset:228 th:TH_LOAD_LU
	s_wait_loadcnt 0x0
	v_cndmask_b32_e64 v48, 0, v48, s0
	v_cmp_lt_i32_e64 s0, v72, v0
	s_delay_alu instid0(VALU_DEP_1)
	v_cndmask_b32_e64 v49, 0, v49, s0
	scratch_store_b64 off, v[48:49], s32 offset:228 ; 8-byte Folded Spill
.LBB200_1134:                           ;   in Loop: Header=BB200_1066 Depth=1
	s_wait_xcnt 0x0
	s_or_b32 exec_lo, exec_lo, s3
	flat_load_b32 v64, v[96:97] offset:256
	v_mov_b64_e32 v[48:49], 0
	v_mov_b64_e32 v[50:51], 0
	s_mov_b32 s3, exec_lo
	s_wait_loadcnt_dscnt 0x0
	v_and_b32_e32 v52, 0xff, v64
	s_wait_xcnt 0x0
	s_delay_alu instid0(VALU_DEP_1)
	v_cmpx_ne_u16_e32 0, v52
	s_cbranch_execz .LBB200_1142
; %bb.1135:                             ;   in Loop: Header=BB200_1066 Depth=1
	v_mov_b64_e32 v[50:51], 0x80000000
	s_mov_b32 s8, exec_lo
	v_cmpx_ne_u16_e32 0x80, v52
	s_cbranch_execz .LBB200_1141
; %bb.1136:                             ;   in Loop: Header=BB200_1066 Depth=1
	v_mov_b64_e32 v[50:51], 0x7f800001
	v_and_b32_e32 v52, 0x7f, v64
	s_mov_b32 s9, exec_lo
	s_delay_alu instid0(VALU_DEP_1)
	v_cmpx_ne_u32_e32 0x7f, v52
	s_cbranch_execz .LBB200_1140
; %bb.1137:                             ;   in Loop: Header=BB200_1066 Depth=1
	v_and_b32_e32 v74, 7, v64
	v_lshrrev_b32_e32 v50, 3, v52
	s_mov_b32 s16, exec_lo
	v_cmpx_gt_u32_e32 8, v52
; %bb.1138:                             ;   in Loop: Header=BB200_1066 Depth=1
	s_delay_alu instid0(VALU_DEP_3) | instskip(NEXT) | instid1(VALU_DEP_1)
	v_clz_i32_u32_e32 v0, v74
	v_min_u32_e32 v0, 32, v0
	s_delay_alu instid0(VALU_DEP_1) | instskip(NEXT) | instid1(VALU_DEP_1)
	v_subrev_nc_u32_e32 v50, 28, v0
	v_lshlrev_b64_e32 v[52:53], v50, v[74:75]
	v_sub_nc_u32_e32 v50, 29, v0
	s_delay_alu instid0(VALU_DEP_2)
	v_and_b32_e32 v74, 7, v52
; %bb.1139:                             ;   in Loop: Header=BB200_1066 Depth=1
	s_or_b32 exec_lo, exec_lo, s16
	s_delay_alu instid0(VALU_DEP_1) | instskip(NEXT) | instid1(VALU_DEP_3)
	v_dual_lshlrev_b32 v0, 24, v64 :: v_dual_lshlrev_b32 v51, 20, v74
	v_lshl_add_u32 v50, v50, 23, 0x3c000000
	s_delay_alu instid0(VALU_DEP_2) | instskip(NEXT) | instid1(VALU_DEP_1)
	v_and_b32_e32 v0, 0x80000000, v0
	v_or3_b32 v74, v51, v0, v50
	s_delay_alu instid0(VALU_DEP_1)
	v_mov_b64_e32 v[50:51], v[74:75]
.LBB200_1140:                           ;   in Loop: Header=BB200_1066 Depth=1
	s_or_b32 exec_lo, exec_lo, s9
.LBB200_1141:                           ;   in Loop: Header=BB200_1066 Depth=1
	s_delay_alu instid0(SALU_CYCLE_1)
	s_or_b32 exec_lo, exec_lo, s8
.LBB200_1142:                           ;   in Loop: Header=BB200_1066 Depth=1
	s_delay_alu instid0(SALU_CYCLE_1) | instskip(SKIP_2) | instid1(VALU_DEP_1)
	s_or_b32 exec_lo, exec_lo, s3
	v_lshrrev_b16 v52, 8, v64
	s_mov_b32 s3, exec_lo
	v_cmpx_ne_u16_e32 0, v52
	s_cbranch_execz .LBB200_1150
; %bb.1143:                             ;   in Loop: Header=BB200_1066 Depth=1
	v_mov_b64_e32 v[48:49], 0x8000000000000000
	s_mov_b32 s8, exec_lo
	v_cmpx_ne_u16_e32 0x80, v52
	s_cbranch_execz .LBB200_1149
; %bb.1144:                             ;   in Loop: Header=BB200_1066 Depth=1
	v_and_b32_e32 v53, 0xffff, v52
	v_mov_b64_e32 v[48:49], 0x7f80000100000000
	s_mov_b32 s9, exec_lo
	s_delay_alu instid0(VALU_DEP_2) | instskip(NEXT) | instid1(VALU_DEP_1)
	v_and_b32_e32 v52, 0x7f, v53
	v_cmpx_ne_u32_e32 0x7f, v52
	s_cbranch_execz .LBB200_1148
; %bb.1145:                             ;   in Loop: Header=BB200_1066 Depth=1
	v_dual_lshrrev_b32 v48, 3, v52 :: v_dual_bitop2_b32 v74, 7, v53 bitop3:0x40
	s_mov_b32 s16, exec_lo
	v_cmpx_gt_u32_e32 8, v52
; %bb.1146:                             ;   in Loop: Header=BB200_1066 Depth=1
	s_delay_alu instid0(VALU_DEP_2) | instskip(NEXT) | instid1(VALU_DEP_1)
	v_clz_i32_u32_e32 v0, v74
	v_min_u32_e32 v0, 32, v0
	s_delay_alu instid0(VALU_DEP_1) | instskip(NEXT) | instid1(VALU_DEP_1)
	v_subrev_nc_u32_e32 v48, 28, v0
	v_lshlrev_b64_e32 v[52:53], v48, v[74:75]
	v_sub_nc_u32_e32 v48, 29, v0
	s_delay_alu instid0(VALU_DEP_2)
	v_and_b32_e32 v74, 7, v52
; %bb.1147:                             ;   in Loop: Header=BB200_1066 Depth=1
	s_or_b32 exec_lo, exec_lo, s16
	s_delay_alu instid0(VALU_DEP_1) | instskip(NEXT) | instid1(VALU_DEP_3)
	v_dual_lshlrev_b32 v0, 16, v64 :: v_dual_lshlrev_b32 v49, 20, v74
	v_lshl_add_u32 v48, v48, 23, 0x3c000000
	s_delay_alu instid0(VALU_DEP_2) | instskip(NEXT) | instid1(VALU_DEP_1)
	v_and_b32_e32 v0, 0x80000000, v0
	v_or3_b32 v49, v49, v0, v48
	v_mov_b32_e32 v48, v75
.LBB200_1148:                           ;   in Loop: Header=BB200_1066 Depth=1
	s_or_b32 exec_lo, exec_lo, s9
.LBB200_1149:                           ;   in Loop: Header=BB200_1066 Depth=1
	s_delay_alu instid0(SALU_CYCLE_1)
	s_or_b32 exec_lo, exec_lo, s8
.LBB200_1150:                           ;   in Loop: Header=BB200_1066 Depth=1
	s_delay_alu instid0(SALU_CYCLE_1) | instskip(SKIP_4) | instid1(VALU_DEP_3)
	s_or_b32 exec_lo, exec_lo, s3
	v_lshrrev_b32_e32 v65, 16, v64
	v_mov_b64_e32 v[54:55], 0
	v_mov_b64_e32 v[52:53], 0
	s_mov_b32 s3, exec_lo
	v_and_b32_e32 v66, 0xff, v65
	s_delay_alu instid0(VALU_DEP_1)
	v_cmpx_ne_u16_e32 0, v66
	s_cbranch_execz .LBB200_1158
; %bb.1151:                             ;   in Loop: Header=BB200_1066 Depth=1
	v_mov_b64_e32 v[52:53], 0x80000000
	s_mov_b32 s8, exec_lo
	v_cmpx_ne_u16_e32 0x80, v66
	s_cbranch_execz .LBB200_1157
; %bb.1152:                             ;   in Loop: Header=BB200_1066 Depth=1
	v_mov_b64_e32 v[52:53], 0x7f800001
	v_bfe_u32 v66, v64, 16, 7
	s_mov_b32 s9, exec_lo
	s_delay_alu instid0(VALU_DEP_1)
	v_cmpx_ne_u32_e32 0x7f, v66
	s_cbranch_execz .LBB200_1156
; %bb.1153:                             ;   in Loop: Header=BB200_1066 Depth=1
	v_dual_lshrrev_b32 v52, 3, v66 :: v_dual_bitop2_b32 v74, 7, v65 bitop3:0x40
	s_mov_b32 s16, exec_lo
	v_cmpx_gt_u32_e32 8, v66
; %bb.1154:                             ;   in Loop: Header=BB200_1066 Depth=1
	s_delay_alu instid0(VALU_DEP_2) | instskip(NEXT) | instid1(VALU_DEP_1)
	v_clz_i32_u32_e32 v0, v74
	v_min_u32_e32 v0, 32, v0
	s_delay_alu instid0(VALU_DEP_1) | instskip(NEXT) | instid1(VALU_DEP_1)
	v_subrev_nc_u32_e32 v52, 28, v0
	v_lshlrev_b64_e32 v[66:67], v52, v[74:75]
	s_delay_alu instid0(VALU_DEP_1)
	v_dual_sub_nc_u32 v52, 29, v0 :: v_dual_bitop2_b32 v74, 7, v66 bitop3:0x40
; %bb.1155:                             ;   in Loop: Header=BB200_1066 Depth=1
	s_or_b32 exec_lo, exec_lo, s16
	s_delay_alu instid0(VALU_DEP_1) | instskip(NEXT) | instid1(VALU_DEP_2)
	v_dual_lshlrev_b32 v0, 24, v65 :: v_dual_lshlrev_b32 v53, 20, v74
	v_lshl_add_u32 v52, v52, 23, 0x3c000000
	s_delay_alu instid0(VALU_DEP_2) | instskip(NEXT) | instid1(VALU_DEP_1)
	v_and_b32_e32 v0, 0x80000000, v0
	v_or3_b32 v74, v53, v0, v52
	s_delay_alu instid0(VALU_DEP_1)
	v_mov_b64_e32 v[52:53], v[74:75]
.LBB200_1156:                           ;   in Loop: Header=BB200_1066 Depth=1
	s_or_b32 exec_lo, exec_lo, s9
.LBB200_1157:                           ;   in Loop: Header=BB200_1066 Depth=1
	s_delay_alu instid0(SALU_CYCLE_1)
	s_or_b32 exec_lo, exec_lo, s8
.LBB200_1158:                           ;   in Loop: Header=BB200_1066 Depth=1
	s_delay_alu instid0(SALU_CYCLE_1) | instskip(NEXT) | instid1(SALU_CYCLE_1)
	s_or_b32 exec_lo, exec_lo, s3
	s_mov_b32 s3, exec_lo
	v_cmpx_lt_u32_e32 0xffffff, v64
	s_cbranch_execz .LBB200_1166
; %bb.1159:                             ;   in Loop: Header=BB200_1066 Depth=1
	v_mov_b64_e32 v[54:55], 0x8000000000000000
	v_lshrrev_b32_e32 v65, 24, v64
	s_mov_b32 s8, exec_lo
	s_delay_alu instid0(VALU_DEP_1)
	v_cmpx_ne_u32_e32 0x80, v65
	s_cbranch_execz .LBB200_1165
; %bb.1160:                             ;   in Loop: Header=BB200_1066 Depth=1
	v_mov_b64_e32 v[54:55], 0x7f80000100000000
	v_bfe_u32 v64, v64, 24, 7
	s_mov_b32 s9, exec_lo
	s_delay_alu instid0(VALU_DEP_1)
	v_cmpx_ne_u32_e32 0x7f, v64
	s_cbranch_execz .LBB200_1164
; %bb.1161:                             ;   in Loop: Header=BB200_1066 Depth=1
	v_dual_lshrrev_b32 v54, 3, v64 :: v_dual_bitop2_b32 v74, 7, v65 bitop3:0x40
	s_mov_b32 s16, exec_lo
	v_cmpx_gt_u32_e32 8, v64
; %bb.1162:                             ;   in Loop: Header=BB200_1066 Depth=1
	s_delay_alu instid0(VALU_DEP_2) | instskip(NEXT) | instid1(VALU_DEP_1)
	v_clz_i32_u32_e32 v0, v74
	v_min_u32_e32 v0, 32, v0
	s_delay_alu instid0(VALU_DEP_1) | instskip(NEXT) | instid1(VALU_DEP_1)
	v_subrev_nc_u32_e32 v54, 28, v0
	v_lshlrev_b64_e32 v[66:67], v54, v[74:75]
	s_delay_alu instid0(VALU_DEP_1)
	v_dual_sub_nc_u32 v54, 29, v0 :: v_dual_bitop2_b32 v74, 7, v66 bitop3:0x40
; %bb.1163:                             ;   in Loop: Header=BB200_1066 Depth=1
	s_or_b32 exec_lo, exec_lo, s16
	s_delay_alu instid0(VALU_DEP_1) | instskip(NEXT) | instid1(VALU_DEP_2)
	v_dual_lshlrev_b32 v0, 24, v65 :: v_dual_lshlrev_b32 v55, 20, v74
	v_lshl_add_u32 v54, v54, 23, 0x3c000000
	s_delay_alu instid0(VALU_DEP_2) | instskip(NEXT) | instid1(VALU_DEP_1)
	v_and_b32_e32 v0, 0x80000000, v0
	v_or3_b32 v55, v55, v0, v54
	v_mov_b32_e32 v54, v75
.LBB200_1164:                           ;   in Loop: Header=BB200_1066 Depth=1
	s_or_b32 exec_lo, exec_lo, s9
.LBB200_1165:                           ;   in Loop: Header=BB200_1066 Depth=1
	s_delay_alu instid0(SALU_CYCLE_1)
	s_or_b32 exec_lo, exec_lo, s8
.LBB200_1166:                           ;   in Loop: Header=BB200_1066 Depth=1
	s_delay_alu instid0(SALU_CYCLE_1) | instskip(SKIP_4) | instid1(VALU_DEP_3)
	s_or_b32 exec_lo, exec_lo, s3
	v_or_b32_e32 v49, v49, v51
	v_or_b32_e32 v48, v48, v50
	;; [unrolled: 1-line block ×4, first 2 shown]
	v_pk_mul_f32 v[48:49], v[38:39], v[48:49]
	scratch_store_b64 off, v[48:49], s32 offset:252 ; 8-byte Folded Spill
	s_wait_xcnt 0x0
	v_pk_mul_f32 v[48:49], v[38:39], v[50:51]
	scratch_store_b64 off, v[48:49], s32 offset:244 ; 8-byte Folded Spill
	s_wait_xcnt 0x0
	s_and_saveexec_b32 s3, vcc_lo
	s_cbranch_execz .LBB200_1168
; %bb.1167:                             ;   in Loop: Header=BB200_1066 Depth=1
	scratch_load_b64 v[48:49], off, s32 offset:192 ; 8-byte Folded Reload
	s_wait_loadcnt 0x0
	v_mov_b32_e32 v0, v48
	scratch_load_b64 v[48:49], off, s32 offset:252 th:TH_LOAD_LU ; 8-byte Folded Reload
	v_cmp_lt_i32_e64 s0, v1, v0
	s_wait_loadcnt 0x0
	s_delay_alu instid0(VALU_DEP_1) | instskip(SKIP_1) | instid1(VALU_DEP_1)
	v_cndmask_b32_e64 v48, 0, v48, s0
	v_cmp_lt_i32_e64 s0, v77, v0
	v_cndmask_b32_e64 v49, 0, v49, s0
	v_cmp_lt_i32_e64 s0, v73, v0
	s_clause 0x1
	scratch_store_b64 off, v[48:49], s32 offset:252
	scratch_load_b64 v[48:49], off, s32 offset:244 th:TH_LOAD_LU
	s_wait_loadcnt 0x0
	v_cndmask_b32_e64 v48, 0, v48, s0
	v_cmp_lt_i32_e64 s0, v72, v0
	s_delay_alu instid0(VALU_DEP_1)
	v_cndmask_b32_e64 v49, 0, v49, s0
	scratch_store_b64 off, v[48:49], s32 offset:244 ; 8-byte Folded Spill
.LBB200_1168:                           ;   in Loop: Header=BB200_1066 Depth=1
	s_wait_xcnt 0x0
	s_or_b32 exec_lo, exec_lo, s3
	flat_load_b32 v64, v[96:97] offset:384
	v_mov_b64_e32 v[48:49], 0
	v_mov_b64_e32 v[50:51], 0
	s_mov_b32 s3, exec_lo
	s_wait_loadcnt_dscnt 0x0
	v_and_b32_e32 v52, 0xff, v64
	s_wait_xcnt 0x0
	s_delay_alu instid0(VALU_DEP_1)
	v_cmpx_ne_u16_e32 0, v52
	s_cbranch_execz .LBB200_1176
; %bb.1169:                             ;   in Loop: Header=BB200_1066 Depth=1
	v_mov_b64_e32 v[50:51], 0x80000000
	s_mov_b32 s8, exec_lo
	v_cmpx_ne_u16_e32 0x80, v52
	s_cbranch_execz .LBB200_1175
; %bb.1170:                             ;   in Loop: Header=BB200_1066 Depth=1
	v_mov_b64_e32 v[50:51], 0x7f800001
	v_and_b32_e32 v52, 0x7f, v64
	s_mov_b32 s9, exec_lo
	s_delay_alu instid0(VALU_DEP_1)
	v_cmpx_ne_u32_e32 0x7f, v52
	s_cbranch_execz .LBB200_1174
; %bb.1171:                             ;   in Loop: Header=BB200_1066 Depth=1
	v_and_b32_e32 v74, 7, v64
	v_lshrrev_b32_e32 v50, 3, v52
	s_mov_b32 s16, exec_lo
	v_cmpx_gt_u32_e32 8, v52
; %bb.1172:                             ;   in Loop: Header=BB200_1066 Depth=1
	s_delay_alu instid0(VALU_DEP_3) | instskip(NEXT) | instid1(VALU_DEP_1)
	v_clz_i32_u32_e32 v0, v74
	v_min_u32_e32 v0, 32, v0
	s_delay_alu instid0(VALU_DEP_1) | instskip(NEXT) | instid1(VALU_DEP_1)
	v_subrev_nc_u32_e32 v50, 28, v0
	v_lshlrev_b64_e32 v[52:53], v50, v[74:75]
	v_sub_nc_u32_e32 v50, 29, v0
	s_delay_alu instid0(VALU_DEP_2)
	v_and_b32_e32 v74, 7, v52
; %bb.1173:                             ;   in Loop: Header=BB200_1066 Depth=1
	s_or_b32 exec_lo, exec_lo, s16
	s_delay_alu instid0(VALU_DEP_1) | instskip(NEXT) | instid1(VALU_DEP_3)
	v_dual_lshlrev_b32 v0, 24, v64 :: v_dual_lshlrev_b32 v51, 20, v74
	v_lshl_add_u32 v50, v50, 23, 0x3c000000
	s_delay_alu instid0(VALU_DEP_2) | instskip(NEXT) | instid1(VALU_DEP_1)
	v_and_b32_e32 v0, 0x80000000, v0
	v_or3_b32 v74, v51, v0, v50
	s_delay_alu instid0(VALU_DEP_1)
	v_mov_b64_e32 v[50:51], v[74:75]
.LBB200_1174:                           ;   in Loop: Header=BB200_1066 Depth=1
	s_or_b32 exec_lo, exec_lo, s9
.LBB200_1175:                           ;   in Loop: Header=BB200_1066 Depth=1
	s_delay_alu instid0(SALU_CYCLE_1)
	s_or_b32 exec_lo, exec_lo, s8
.LBB200_1176:                           ;   in Loop: Header=BB200_1066 Depth=1
	s_delay_alu instid0(SALU_CYCLE_1) | instskip(SKIP_2) | instid1(VALU_DEP_1)
	s_or_b32 exec_lo, exec_lo, s3
	v_lshrrev_b16 v52, 8, v64
	s_mov_b32 s3, exec_lo
	v_cmpx_ne_u16_e32 0, v52
	s_cbranch_execz .LBB200_1184
; %bb.1177:                             ;   in Loop: Header=BB200_1066 Depth=1
	v_mov_b64_e32 v[48:49], 0x8000000000000000
	s_mov_b32 s8, exec_lo
	v_cmpx_ne_u16_e32 0x80, v52
	s_cbranch_execz .LBB200_1183
; %bb.1178:                             ;   in Loop: Header=BB200_1066 Depth=1
	v_and_b32_e32 v53, 0xffff, v52
	v_mov_b64_e32 v[48:49], 0x7f80000100000000
	s_mov_b32 s9, exec_lo
	s_delay_alu instid0(VALU_DEP_2) | instskip(NEXT) | instid1(VALU_DEP_1)
	v_and_b32_e32 v52, 0x7f, v53
	v_cmpx_ne_u32_e32 0x7f, v52
	s_cbranch_execz .LBB200_1182
; %bb.1179:                             ;   in Loop: Header=BB200_1066 Depth=1
	v_dual_lshrrev_b32 v48, 3, v52 :: v_dual_bitop2_b32 v74, 7, v53 bitop3:0x40
	s_mov_b32 s16, exec_lo
	v_cmpx_gt_u32_e32 8, v52
; %bb.1180:                             ;   in Loop: Header=BB200_1066 Depth=1
	s_delay_alu instid0(VALU_DEP_2) | instskip(NEXT) | instid1(VALU_DEP_1)
	v_clz_i32_u32_e32 v0, v74
	v_min_u32_e32 v0, 32, v0
	s_delay_alu instid0(VALU_DEP_1) | instskip(NEXT) | instid1(VALU_DEP_1)
	v_subrev_nc_u32_e32 v48, 28, v0
	v_lshlrev_b64_e32 v[52:53], v48, v[74:75]
	v_sub_nc_u32_e32 v48, 29, v0
	s_delay_alu instid0(VALU_DEP_2)
	v_and_b32_e32 v74, 7, v52
; %bb.1181:                             ;   in Loop: Header=BB200_1066 Depth=1
	s_or_b32 exec_lo, exec_lo, s16
	s_delay_alu instid0(VALU_DEP_1) | instskip(NEXT) | instid1(VALU_DEP_3)
	v_dual_lshlrev_b32 v0, 16, v64 :: v_dual_lshlrev_b32 v49, 20, v74
	v_lshl_add_u32 v48, v48, 23, 0x3c000000
	s_delay_alu instid0(VALU_DEP_2) | instskip(NEXT) | instid1(VALU_DEP_1)
	v_and_b32_e32 v0, 0x80000000, v0
	v_or3_b32 v49, v49, v0, v48
	v_mov_b32_e32 v48, v75
.LBB200_1182:                           ;   in Loop: Header=BB200_1066 Depth=1
	s_or_b32 exec_lo, exec_lo, s9
.LBB200_1183:                           ;   in Loop: Header=BB200_1066 Depth=1
	s_delay_alu instid0(SALU_CYCLE_1)
	s_or_b32 exec_lo, exec_lo, s8
.LBB200_1184:                           ;   in Loop: Header=BB200_1066 Depth=1
	s_delay_alu instid0(SALU_CYCLE_1) | instskip(SKIP_4) | instid1(VALU_DEP_3)
	s_or_b32 exec_lo, exec_lo, s3
	v_lshrrev_b32_e32 v65, 16, v64
	v_mov_b64_e32 v[54:55], 0
	v_mov_b64_e32 v[52:53], 0
	s_mov_b32 s3, exec_lo
	v_and_b32_e32 v66, 0xff, v65
	s_delay_alu instid0(VALU_DEP_1)
	v_cmpx_ne_u16_e32 0, v66
	s_cbranch_execz .LBB200_1192
; %bb.1185:                             ;   in Loop: Header=BB200_1066 Depth=1
	v_mov_b64_e32 v[52:53], 0x80000000
	s_mov_b32 s8, exec_lo
	v_cmpx_ne_u16_e32 0x80, v66
	s_cbranch_execz .LBB200_1191
; %bb.1186:                             ;   in Loop: Header=BB200_1066 Depth=1
	v_mov_b64_e32 v[52:53], 0x7f800001
	v_bfe_u32 v66, v64, 16, 7
	s_mov_b32 s9, exec_lo
	s_delay_alu instid0(VALU_DEP_1)
	v_cmpx_ne_u32_e32 0x7f, v66
	s_cbranch_execz .LBB200_1190
; %bb.1187:                             ;   in Loop: Header=BB200_1066 Depth=1
	v_dual_lshrrev_b32 v52, 3, v66 :: v_dual_bitop2_b32 v74, 7, v65 bitop3:0x40
	s_mov_b32 s16, exec_lo
	v_cmpx_gt_u32_e32 8, v66
; %bb.1188:                             ;   in Loop: Header=BB200_1066 Depth=1
	s_delay_alu instid0(VALU_DEP_2) | instskip(NEXT) | instid1(VALU_DEP_1)
	v_clz_i32_u32_e32 v0, v74
	v_min_u32_e32 v0, 32, v0
	s_delay_alu instid0(VALU_DEP_1) | instskip(NEXT) | instid1(VALU_DEP_1)
	v_subrev_nc_u32_e32 v52, 28, v0
	v_lshlrev_b64_e32 v[66:67], v52, v[74:75]
	s_delay_alu instid0(VALU_DEP_1)
	v_dual_sub_nc_u32 v52, 29, v0 :: v_dual_bitop2_b32 v74, 7, v66 bitop3:0x40
; %bb.1189:                             ;   in Loop: Header=BB200_1066 Depth=1
	s_or_b32 exec_lo, exec_lo, s16
	s_delay_alu instid0(VALU_DEP_1) | instskip(NEXT) | instid1(VALU_DEP_2)
	v_dual_lshlrev_b32 v0, 24, v65 :: v_dual_lshlrev_b32 v53, 20, v74
	v_lshl_add_u32 v52, v52, 23, 0x3c000000
	s_delay_alu instid0(VALU_DEP_2) | instskip(NEXT) | instid1(VALU_DEP_1)
	v_and_b32_e32 v0, 0x80000000, v0
	v_or3_b32 v74, v53, v0, v52
	s_delay_alu instid0(VALU_DEP_1)
	v_mov_b64_e32 v[52:53], v[74:75]
.LBB200_1190:                           ;   in Loop: Header=BB200_1066 Depth=1
	s_or_b32 exec_lo, exec_lo, s9
.LBB200_1191:                           ;   in Loop: Header=BB200_1066 Depth=1
	s_delay_alu instid0(SALU_CYCLE_1)
	s_or_b32 exec_lo, exec_lo, s8
.LBB200_1192:                           ;   in Loop: Header=BB200_1066 Depth=1
	s_delay_alu instid0(SALU_CYCLE_1) | instskip(NEXT) | instid1(SALU_CYCLE_1)
	s_or_b32 exec_lo, exec_lo, s3
	s_mov_b32 s3, exec_lo
	v_cmpx_lt_u32_e32 0xffffff, v64
	s_cbranch_execz .LBB200_1200
; %bb.1193:                             ;   in Loop: Header=BB200_1066 Depth=1
	v_mov_b64_e32 v[54:55], 0x8000000000000000
	v_lshrrev_b32_e32 v65, 24, v64
	s_mov_b32 s8, exec_lo
	s_delay_alu instid0(VALU_DEP_1)
	v_cmpx_ne_u32_e32 0x80, v65
	s_cbranch_execz .LBB200_1199
; %bb.1194:                             ;   in Loop: Header=BB200_1066 Depth=1
	v_mov_b64_e32 v[54:55], 0x7f80000100000000
	v_bfe_u32 v64, v64, 24, 7
	s_mov_b32 s9, exec_lo
	s_delay_alu instid0(VALU_DEP_1)
	v_cmpx_ne_u32_e32 0x7f, v64
	s_cbranch_execz .LBB200_1198
; %bb.1195:                             ;   in Loop: Header=BB200_1066 Depth=1
	v_dual_lshrrev_b32 v54, 3, v64 :: v_dual_bitop2_b32 v74, 7, v65 bitop3:0x40
	s_mov_b32 s16, exec_lo
	v_cmpx_gt_u32_e32 8, v64
; %bb.1196:                             ;   in Loop: Header=BB200_1066 Depth=1
	s_delay_alu instid0(VALU_DEP_2) | instskip(NEXT) | instid1(VALU_DEP_1)
	v_clz_i32_u32_e32 v0, v74
	v_min_u32_e32 v0, 32, v0
	s_delay_alu instid0(VALU_DEP_1) | instskip(NEXT) | instid1(VALU_DEP_1)
	v_subrev_nc_u32_e32 v54, 28, v0
	v_lshlrev_b64_e32 v[66:67], v54, v[74:75]
	s_delay_alu instid0(VALU_DEP_1)
	v_dual_sub_nc_u32 v54, 29, v0 :: v_dual_bitop2_b32 v74, 7, v66 bitop3:0x40
; %bb.1197:                             ;   in Loop: Header=BB200_1066 Depth=1
	s_or_b32 exec_lo, exec_lo, s16
	s_delay_alu instid0(VALU_DEP_1) | instskip(NEXT) | instid1(VALU_DEP_2)
	v_dual_lshlrev_b32 v0, 24, v65 :: v_dual_lshlrev_b32 v55, 20, v74
	v_lshl_add_u32 v54, v54, 23, 0x3c000000
	s_delay_alu instid0(VALU_DEP_2) | instskip(NEXT) | instid1(VALU_DEP_1)
	v_and_b32_e32 v0, 0x80000000, v0
	v_or3_b32 v55, v55, v0, v54
	v_mov_b32_e32 v54, v75
.LBB200_1198:                           ;   in Loop: Header=BB200_1066 Depth=1
	s_or_b32 exec_lo, exec_lo, s9
.LBB200_1199:                           ;   in Loop: Header=BB200_1066 Depth=1
	s_delay_alu instid0(SALU_CYCLE_1)
	s_or_b32 exec_lo, exec_lo, s8
.LBB200_1200:                           ;   in Loop: Header=BB200_1066 Depth=1
	s_delay_alu instid0(SALU_CYCLE_1) | instskip(SKIP_4) | instid1(VALU_DEP_3)
	s_or_b32 exec_lo, exec_lo, s3
	v_or_b32_e32 v49, v49, v51
	v_or_b32_e32 v48, v48, v50
	;; [unrolled: 1-line block ×4, first 2 shown]
	v_pk_mul_f32 v[48:49], v[38:39], v[48:49]
	scratch_store_b64 off, v[48:49], s32 offset:268 ; 8-byte Folded Spill
	s_wait_xcnt 0x0
	v_pk_mul_f32 v[48:49], v[38:39], v[50:51]
	scratch_store_b64 off, v[48:49], s32 offset:260 ; 8-byte Folded Spill
	s_wait_xcnt 0x0
	s_and_saveexec_b32 s3, vcc_lo
	s_cbranch_execz .LBB200_1202
; %bb.1201:                             ;   in Loop: Header=BB200_1066 Depth=1
	scratch_load_b64 v[48:49], off, s32 offset:192 ; 8-byte Folded Reload
	s_wait_loadcnt 0x0
	v_mov_b32_e32 v0, v48
	scratch_load_b64 v[48:49], off, s32 offset:268 th:TH_LOAD_LU ; 8-byte Folded Reload
	v_cmp_lt_i32_e64 s0, v1, v0
	s_wait_loadcnt 0x0
	s_delay_alu instid0(VALU_DEP_1) | instskip(SKIP_1) | instid1(VALU_DEP_1)
	v_cndmask_b32_e64 v48, 0, v48, s0
	v_cmp_lt_i32_e64 s0, v77, v0
	v_cndmask_b32_e64 v49, 0, v49, s0
	v_cmp_lt_i32_e64 s0, v73, v0
	s_clause 0x1
	scratch_store_b64 off, v[48:49], s32 offset:268
	scratch_load_b64 v[48:49], off, s32 offset:260 th:TH_LOAD_LU
	s_wait_loadcnt 0x0
	v_cndmask_b32_e64 v48, 0, v48, s0
	v_cmp_lt_i32_e64 s0, v72, v0
	s_delay_alu instid0(VALU_DEP_1)
	v_cndmask_b32_e64 v49, 0, v49, s0
	scratch_store_b64 off, v[48:49], s32 offset:260 ; 8-byte Folded Spill
.LBB200_1202:                           ;   in Loop: Header=BB200_1066 Depth=1
	s_wait_xcnt 0x0
	s_or_b32 exec_lo, exec_lo, s3
	flat_load_b32 v64, v[96:97] offset:512
	v_mov_b64_e32 v[48:49], 0
	v_mov_b64_e32 v[50:51], 0
	s_mov_b32 s3, exec_lo
	s_wait_loadcnt_dscnt 0x0
	v_and_b32_e32 v52, 0xff, v64
	s_wait_xcnt 0x0
	s_delay_alu instid0(VALU_DEP_1)
	v_cmpx_ne_u16_e32 0, v52
	s_cbranch_execz .LBB200_1210
; %bb.1203:                             ;   in Loop: Header=BB200_1066 Depth=1
	v_mov_b64_e32 v[50:51], 0x80000000
	s_mov_b32 s8, exec_lo
	v_cmpx_ne_u16_e32 0x80, v52
	s_cbranch_execz .LBB200_1209
; %bb.1204:                             ;   in Loop: Header=BB200_1066 Depth=1
	v_mov_b64_e32 v[50:51], 0x7f800001
	v_and_b32_e32 v52, 0x7f, v64
	s_mov_b32 s9, exec_lo
	s_delay_alu instid0(VALU_DEP_1)
	v_cmpx_ne_u32_e32 0x7f, v52
	s_cbranch_execz .LBB200_1208
; %bb.1205:                             ;   in Loop: Header=BB200_1066 Depth=1
	v_and_b32_e32 v74, 7, v64
	v_lshrrev_b32_e32 v50, 3, v52
	s_mov_b32 s16, exec_lo
	v_cmpx_gt_u32_e32 8, v52
; %bb.1206:                             ;   in Loop: Header=BB200_1066 Depth=1
	s_delay_alu instid0(VALU_DEP_3) | instskip(NEXT) | instid1(VALU_DEP_1)
	v_clz_i32_u32_e32 v0, v74
	v_min_u32_e32 v0, 32, v0
	s_delay_alu instid0(VALU_DEP_1) | instskip(NEXT) | instid1(VALU_DEP_1)
	v_subrev_nc_u32_e32 v50, 28, v0
	v_lshlrev_b64_e32 v[52:53], v50, v[74:75]
	v_sub_nc_u32_e32 v50, 29, v0
	s_delay_alu instid0(VALU_DEP_2)
	v_and_b32_e32 v74, 7, v52
; %bb.1207:                             ;   in Loop: Header=BB200_1066 Depth=1
	s_or_b32 exec_lo, exec_lo, s16
	s_delay_alu instid0(VALU_DEP_1) | instskip(NEXT) | instid1(VALU_DEP_3)
	v_dual_lshlrev_b32 v0, 24, v64 :: v_dual_lshlrev_b32 v51, 20, v74
	v_lshl_add_u32 v50, v50, 23, 0x3c000000
	s_delay_alu instid0(VALU_DEP_2) | instskip(NEXT) | instid1(VALU_DEP_1)
	v_and_b32_e32 v0, 0x80000000, v0
	v_or3_b32 v74, v51, v0, v50
	s_delay_alu instid0(VALU_DEP_1)
	v_mov_b64_e32 v[50:51], v[74:75]
.LBB200_1208:                           ;   in Loop: Header=BB200_1066 Depth=1
	s_or_b32 exec_lo, exec_lo, s9
.LBB200_1209:                           ;   in Loop: Header=BB200_1066 Depth=1
	s_delay_alu instid0(SALU_CYCLE_1)
	s_or_b32 exec_lo, exec_lo, s8
.LBB200_1210:                           ;   in Loop: Header=BB200_1066 Depth=1
	s_delay_alu instid0(SALU_CYCLE_1) | instskip(SKIP_2) | instid1(VALU_DEP_1)
	s_or_b32 exec_lo, exec_lo, s3
	v_lshrrev_b16 v52, 8, v64
	s_mov_b32 s3, exec_lo
	v_cmpx_ne_u16_e32 0, v52
	s_cbranch_execz .LBB200_1218
; %bb.1211:                             ;   in Loop: Header=BB200_1066 Depth=1
	v_mov_b64_e32 v[48:49], 0x8000000000000000
	s_mov_b32 s8, exec_lo
	v_cmpx_ne_u16_e32 0x80, v52
	s_cbranch_execz .LBB200_1217
; %bb.1212:                             ;   in Loop: Header=BB200_1066 Depth=1
	v_and_b32_e32 v53, 0xffff, v52
	v_mov_b64_e32 v[48:49], 0x7f80000100000000
	s_mov_b32 s9, exec_lo
	s_delay_alu instid0(VALU_DEP_2) | instskip(NEXT) | instid1(VALU_DEP_1)
	v_and_b32_e32 v52, 0x7f, v53
	v_cmpx_ne_u32_e32 0x7f, v52
	s_cbranch_execz .LBB200_1216
; %bb.1213:                             ;   in Loop: Header=BB200_1066 Depth=1
	v_dual_lshrrev_b32 v48, 3, v52 :: v_dual_bitop2_b32 v74, 7, v53 bitop3:0x40
	s_mov_b32 s16, exec_lo
	v_cmpx_gt_u32_e32 8, v52
; %bb.1214:                             ;   in Loop: Header=BB200_1066 Depth=1
	s_delay_alu instid0(VALU_DEP_2) | instskip(NEXT) | instid1(VALU_DEP_1)
	v_clz_i32_u32_e32 v0, v74
	v_min_u32_e32 v0, 32, v0
	s_delay_alu instid0(VALU_DEP_1) | instskip(NEXT) | instid1(VALU_DEP_1)
	v_subrev_nc_u32_e32 v48, 28, v0
	v_lshlrev_b64_e32 v[52:53], v48, v[74:75]
	v_sub_nc_u32_e32 v48, 29, v0
	s_delay_alu instid0(VALU_DEP_2)
	v_and_b32_e32 v74, 7, v52
; %bb.1215:                             ;   in Loop: Header=BB200_1066 Depth=1
	s_or_b32 exec_lo, exec_lo, s16
	s_delay_alu instid0(VALU_DEP_1) | instskip(NEXT) | instid1(VALU_DEP_3)
	v_dual_lshlrev_b32 v0, 16, v64 :: v_dual_lshlrev_b32 v49, 20, v74
	v_lshl_add_u32 v48, v48, 23, 0x3c000000
	s_delay_alu instid0(VALU_DEP_2) | instskip(NEXT) | instid1(VALU_DEP_1)
	v_and_b32_e32 v0, 0x80000000, v0
	v_or3_b32 v49, v49, v0, v48
	v_mov_b32_e32 v48, v75
.LBB200_1216:                           ;   in Loop: Header=BB200_1066 Depth=1
	s_or_b32 exec_lo, exec_lo, s9
.LBB200_1217:                           ;   in Loop: Header=BB200_1066 Depth=1
	s_delay_alu instid0(SALU_CYCLE_1)
	s_or_b32 exec_lo, exec_lo, s8
.LBB200_1218:                           ;   in Loop: Header=BB200_1066 Depth=1
	s_delay_alu instid0(SALU_CYCLE_1) | instskip(SKIP_4) | instid1(VALU_DEP_3)
	s_or_b32 exec_lo, exec_lo, s3
	v_lshrrev_b32_e32 v65, 16, v64
	v_mov_b64_e32 v[54:55], 0
	v_mov_b64_e32 v[52:53], 0
	s_mov_b32 s3, exec_lo
	v_and_b32_e32 v66, 0xff, v65
	s_delay_alu instid0(VALU_DEP_1)
	v_cmpx_ne_u16_e32 0, v66
	s_cbranch_execz .LBB200_1226
; %bb.1219:                             ;   in Loop: Header=BB200_1066 Depth=1
	v_mov_b64_e32 v[52:53], 0x80000000
	s_mov_b32 s8, exec_lo
	v_cmpx_ne_u16_e32 0x80, v66
	s_cbranch_execz .LBB200_1225
; %bb.1220:                             ;   in Loop: Header=BB200_1066 Depth=1
	v_mov_b64_e32 v[52:53], 0x7f800001
	v_bfe_u32 v66, v64, 16, 7
	s_mov_b32 s9, exec_lo
	s_delay_alu instid0(VALU_DEP_1)
	v_cmpx_ne_u32_e32 0x7f, v66
	s_cbranch_execz .LBB200_1224
; %bb.1221:                             ;   in Loop: Header=BB200_1066 Depth=1
	v_dual_lshrrev_b32 v52, 3, v66 :: v_dual_bitop2_b32 v74, 7, v65 bitop3:0x40
	s_mov_b32 s16, exec_lo
	v_cmpx_gt_u32_e32 8, v66
; %bb.1222:                             ;   in Loop: Header=BB200_1066 Depth=1
	s_delay_alu instid0(VALU_DEP_2) | instskip(NEXT) | instid1(VALU_DEP_1)
	v_clz_i32_u32_e32 v0, v74
	v_min_u32_e32 v0, 32, v0
	s_delay_alu instid0(VALU_DEP_1) | instskip(NEXT) | instid1(VALU_DEP_1)
	v_subrev_nc_u32_e32 v52, 28, v0
	v_lshlrev_b64_e32 v[66:67], v52, v[74:75]
	s_delay_alu instid0(VALU_DEP_1)
	v_dual_sub_nc_u32 v52, 29, v0 :: v_dual_bitop2_b32 v74, 7, v66 bitop3:0x40
; %bb.1223:                             ;   in Loop: Header=BB200_1066 Depth=1
	s_or_b32 exec_lo, exec_lo, s16
	s_delay_alu instid0(VALU_DEP_1) | instskip(NEXT) | instid1(VALU_DEP_2)
	v_dual_lshlrev_b32 v0, 24, v65 :: v_dual_lshlrev_b32 v53, 20, v74
	v_lshl_add_u32 v52, v52, 23, 0x3c000000
	s_delay_alu instid0(VALU_DEP_2) | instskip(NEXT) | instid1(VALU_DEP_1)
	v_and_b32_e32 v0, 0x80000000, v0
	v_or3_b32 v74, v53, v0, v52
	s_delay_alu instid0(VALU_DEP_1)
	v_mov_b64_e32 v[52:53], v[74:75]
.LBB200_1224:                           ;   in Loop: Header=BB200_1066 Depth=1
	s_or_b32 exec_lo, exec_lo, s9
.LBB200_1225:                           ;   in Loop: Header=BB200_1066 Depth=1
	s_delay_alu instid0(SALU_CYCLE_1)
	s_or_b32 exec_lo, exec_lo, s8
.LBB200_1226:                           ;   in Loop: Header=BB200_1066 Depth=1
	s_delay_alu instid0(SALU_CYCLE_1) | instskip(NEXT) | instid1(SALU_CYCLE_1)
	s_or_b32 exec_lo, exec_lo, s3
	s_mov_b32 s3, exec_lo
	v_cmpx_lt_u32_e32 0xffffff, v64
	s_cbranch_execz .LBB200_1234
; %bb.1227:                             ;   in Loop: Header=BB200_1066 Depth=1
	v_mov_b64_e32 v[54:55], 0x8000000000000000
	v_lshrrev_b32_e32 v65, 24, v64
	s_mov_b32 s8, exec_lo
	s_delay_alu instid0(VALU_DEP_1)
	v_cmpx_ne_u32_e32 0x80, v65
	s_cbranch_execz .LBB200_1233
; %bb.1228:                             ;   in Loop: Header=BB200_1066 Depth=1
	v_mov_b64_e32 v[54:55], 0x7f80000100000000
	v_bfe_u32 v64, v64, 24, 7
	s_mov_b32 s9, exec_lo
	s_delay_alu instid0(VALU_DEP_1)
	v_cmpx_ne_u32_e32 0x7f, v64
	s_cbranch_execz .LBB200_1232
; %bb.1229:                             ;   in Loop: Header=BB200_1066 Depth=1
	v_dual_lshrrev_b32 v54, 3, v64 :: v_dual_bitop2_b32 v74, 7, v65 bitop3:0x40
	s_mov_b32 s16, exec_lo
	v_cmpx_gt_u32_e32 8, v64
; %bb.1230:                             ;   in Loop: Header=BB200_1066 Depth=1
	s_delay_alu instid0(VALU_DEP_2) | instskip(NEXT) | instid1(VALU_DEP_1)
	v_clz_i32_u32_e32 v0, v74
	v_min_u32_e32 v0, 32, v0
	s_delay_alu instid0(VALU_DEP_1) | instskip(NEXT) | instid1(VALU_DEP_1)
	v_subrev_nc_u32_e32 v54, 28, v0
	v_lshlrev_b64_e32 v[66:67], v54, v[74:75]
	s_delay_alu instid0(VALU_DEP_1)
	v_dual_sub_nc_u32 v54, 29, v0 :: v_dual_bitop2_b32 v74, 7, v66 bitop3:0x40
; %bb.1231:                             ;   in Loop: Header=BB200_1066 Depth=1
	s_or_b32 exec_lo, exec_lo, s16
	s_delay_alu instid0(VALU_DEP_1) | instskip(NEXT) | instid1(VALU_DEP_2)
	v_dual_lshlrev_b32 v0, 24, v65 :: v_dual_lshlrev_b32 v55, 20, v74
	v_lshl_add_u32 v54, v54, 23, 0x3c000000
	s_delay_alu instid0(VALU_DEP_2) | instskip(NEXT) | instid1(VALU_DEP_1)
	v_and_b32_e32 v0, 0x80000000, v0
	v_or3_b32 v55, v55, v0, v54
	v_mov_b32_e32 v54, v75
.LBB200_1232:                           ;   in Loop: Header=BB200_1066 Depth=1
	s_or_b32 exec_lo, exec_lo, s9
.LBB200_1233:                           ;   in Loop: Header=BB200_1066 Depth=1
	s_delay_alu instid0(SALU_CYCLE_1)
	s_or_b32 exec_lo, exec_lo, s8
.LBB200_1234:                           ;   in Loop: Header=BB200_1066 Depth=1
	s_delay_alu instid0(SALU_CYCLE_1) | instskip(SKIP_4) | instid1(VALU_DEP_3)
	s_or_b32 exec_lo, exec_lo, s3
	v_or_b32_e32 v49, v49, v51
	v_or_b32_e32 v48, v48, v50
	;; [unrolled: 1-line block ×4, first 2 shown]
	v_pk_mul_f32 v[48:49], v[38:39], v[48:49]
	scratch_store_b64 off, v[48:49], s32 offset:284 ; 8-byte Folded Spill
	s_wait_xcnt 0x0
	v_pk_mul_f32 v[48:49], v[38:39], v[50:51]
	scratch_store_b64 off, v[48:49], s32 offset:276 ; 8-byte Folded Spill
	s_wait_xcnt 0x0
	s_and_saveexec_b32 s3, vcc_lo
	s_cbranch_execz .LBB200_1236
; %bb.1235:                             ;   in Loop: Header=BB200_1066 Depth=1
	scratch_load_b64 v[48:49], off, s32 offset:192 ; 8-byte Folded Reload
	s_wait_loadcnt 0x0
	v_mov_b32_e32 v0, v48
	scratch_load_b64 v[48:49], off, s32 offset:284 th:TH_LOAD_LU ; 8-byte Folded Reload
	v_cmp_lt_i32_e64 s0, v1, v0
	s_wait_loadcnt 0x0
	s_delay_alu instid0(VALU_DEP_1) | instskip(SKIP_1) | instid1(VALU_DEP_1)
	v_cndmask_b32_e64 v48, 0, v48, s0
	v_cmp_lt_i32_e64 s0, v77, v0
	v_cndmask_b32_e64 v49, 0, v49, s0
	v_cmp_lt_i32_e64 s0, v73, v0
	s_clause 0x1
	scratch_store_b64 off, v[48:49], s32 offset:284
	scratch_load_b64 v[48:49], off, s32 offset:276 th:TH_LOAD_LU
	s_wait_loadcnt 0x0
	v_cndmask_b32_e64 v48, 0, v48, s0
	v_cmp_lt_i32_e64 s0, v72, v0
	s_delay_alu instid0(VALU_DEP_1)
	v_cndmask_b32_e64 v49, 0, v49, s0
	scratch_store_b64 off, v[48:49], s32 offset:276 ; 8-byte Folded Spill
.LBB200_1236:                           ;   in Loop: Header=BB200_1066 Depth=1
	s_wait_xcnt 0x0
	s_or_b32 exec_lo, exec_lo, s3
	flat_load_b32 v64, v[96:97] offset:640
	v_mov_b64_e32 v[48:49], 0
	v_mov_b64_e32 v[50:51], 0
	s_mov_b32 s3, exec_lo
	s_wait_loadcnt_dscnt 0x0
	v_and_b32_e32 v52, 0xff, v64
	s_wait_xcnt 0x0
	s_delay_alu instid0(VALU_DEP_1)
	v_cmpx_ne_u16_e32 0, v52
	s_cbranch_execz .LBB200_1244
; %bb.1237:                             ;   in Loop: Header=BB200_1066 Depth=1
	v_mov_b64_e32 v[50:51], 0x80000000
	s_mov_b32 s8, exec_lo
	v_cmpx_ne_u16_e32 0x80, v52
	s_cbranch_execz .LBB200_1243
; %bb.1238:                             ;   in Loop: Header=BB200_1066 Depth=1
	v_mov_b64_e32 v[50:51], 0x7f800001
	v_and_b32_e32 v52, 0x7f, v64
	s_mov_b32 s9, exec_lo
	s_delay_alu instid0(VALU_DEP_1)
	v_cmpx_ne_u32_e32 0x7f, v52
	s_cbranch_execz .LBB200_1242
; %bb.1239:                             ;   in Loop: Header=BB200_1066 Depth=1
	v_and_b32_e32 v74, 7, v64
	v_lshrrev_b32_e32 v50, 3, v52
	s_mov_b32 s16, exec_lo
	v_cmpx_gt_u32_e32 8, v52
; %bb.1240:                             ;   in Loop: Header=BB200_1066 Depth=1
	s_delay_alu instid0(VALU_DEP_3) | instskip(NEXT) | instid1(VALU_DEP_1)
	v_clz_i32_u32_e32 v0, v74
	v_min_u32_e32 v0, 32, v0
	s_delay_alu instid0(VALU_DEP_1) | instskip(NEXT) | instid1(VALU_DEP_1)
	v_subrev_nc_u32_e32 v50, 28, v0
	v_lshlrev_b64_e32 v[52:53], v50, v[74:75]
	v_sub_nc_u32_e32 v50, 29, v0
	s_delay_alu instid0(VALU_DEP_2)
	v_and_b32_e32 v74, 7, v52
; %bb.1241:                             ;   in Loop: Header=BB200_1066 Depth=1
	s_or_b32 exec_lo, exec_lo, s16
	s_delay_alu instid0(VALU_DEP_1) | instskip(NEXT) | instid1(VALU_DEP_3)
	v_dual_lshlrev_b32 v0, 24, v64 :: v_dual_lshlrev_b32 v51, 20, v74
	v_lshl_add_u32 v50, v50, 23, 0x3c000000
	s_delay_alu instid0(VALU_DEP_2) | instskip(NEXT) | instid1(VALU_DEP_1)
	v_and_b32_e32 v0, 0x80000000, v0
	v_or3_b32 v74, v51, v0, v50
	s_delay_alu instid0(VALU_DEP_1)
	v_mov_b64_e32 v[50:51], v[74:75]
.LBB200_1242:                           ;   in Loop: Header=BB200_1066 Depth=1
	s_or_b32 exec_lo, exec_lo, s9
.LBB200_1243:                           ;   in Loop: Header=BB200_1066 Depth=1
	s_delay_alu instid0(SALU_CYCLE_1)
	s_or_b32 exec_lo, exec_lo, s8
.LBB200_1244:                           ;   in Loop: Header=BB200_1066 Depth=1
	s_delay_alu instid0(SALU_CYCLE_1) | instskip(SKIP_2) | instid1(VALU_DEP_1)
	s_or_b32 exec_lo, exec_lo, s3
	v_lshrrev_b16 v52, 8, v64
	s_mov_b32 s3, exec_lo
	v_cmpx_ne_u16_e32 0, v52
	s_cbranch_execz .LBB200_1252
; %bb.1245:                             ;   in Loop: Header=BB200_1066 Depth=1
	v_mov_b64_e32 v[48:49], 0x8000000000000000
	s_mov_b32 s8, exec_lo
	v_cmpx_ne_u16_e32 0x80, v52
	s_cbranch_execz .LBB200_1251
; %bb.1246:                             ;   in Loop: Header=BB200_1066 Depth=1
	v_and_b32_e32 v53, 0xffff, v52
	v_mov_b64_e32 v[48:49], 0x7f80000100000000
	s_mov_b32 s9, exec_lo
	s_delay_alu instid0(VALU_DEP_2) | instskip(NEXT) | instid1(VALU_DEP_1)
	v_and_b32_e32 v52, 0x7f, v53
	v_cmpx_ne_u32_e32 0x7f, v52
	s_cbranch_execz .LBB200_1250
; %bb.1247:                             ;   in Loop: Header=BB200_1066 Depth=1
	v_dual_lshrrev_b32 v48, 3, v52 :: v_dual_bitop2_b32 v74, 7, v53 bitop3:0x40
	s_mov_b32 s16, exec_lo
	v_cmpx_gt_u32_e32 8, v52
; %bb.1248:                             ;   in Loop: Header=BB200_1066 Depth=1
	s_delay_alu instid0(VALU_DEP_2) | instskip(NEXT) | instid1(VALU_DEP_1)
	v_clz_i32_u32_e32 v0, v74
	v_min_u32_e32 v0, 32, v0
	s_delay_alu instid0(VALU_DEP_1) | instskip(NEXT) | instid1(VALU_DEP_1)
	v_subrev_nc_u32_e32 v48, 28, v0
	v_lshlrev_b64_e32 v[52:53], v48, v[74:75]
	v_sub_nc_u32_e32 v48, 29, v0
	s_delay_alu instid0(VALU_DEP_2)
	v_and_b32_e32 v74, 7, v52
; %bb.1249:                             ;   in Loop: Header=BB200_1066 Depth=1
	s_or_b32 exec_lo, exec_lo, s16
	s_delay_alu instid0(VALU_DEP_1) | instskip(NEXT) | instid1(VALU_DEP_3)
	v_dual_lshlrev_b32 v0, 16, v64 :: v_dual_lshlrev_b32 v49, 20, v74
	v_lshl_add_u32 v48, v48, 23, 0x3c000000
	s_delay_alu instid0(VALU_DEP_2) | instskip(NEXT) | instid1(VALU_DEP_1)
	v_and_b32_e32 v0, 0x80000000, v0
	v_or3_b32 v49, v49, v0, v48
	v_mov_b32_e32 v48, v75
.LBB200_1250:                           ;   in Loop: Header=BB200_1066 Depth=1
	s_or_b32 exec_lo, exec_lo, s9
.LBB200_1251:                           ;   in Loop: Header=BB200_1066 Depth=1
	s_delay_alu instid0(SALU_CYCLE_1)
	s_or_b32 exec_lo, exec_lo, s8
.LBB200_1252:                           ;   in Loop: Header=BB200_1066 Depth=1
	s_delay_alu instid0(SALU_CYCLE_1) | instskip(SKIP_4) | instid1(VALU_DEP_3)
	s_or_b32 exec_lo, exec_lo, s3
	v_lshrrev_b32_e32 v65, 16, v64
	v_mov_b64_e32 v[54:55], 0
	v_mov_b64_e32 v[52:53], 0
	s_mov_b32 s3, exec_lo
	v_and_b32_e32 v66, 0xff, v65
	s_delay_alu instid0(VALU_DEP_1)
	v_cmpx_ne_u16_e32 0, v66
	s_cbranch_execz .LBB200_1260
; %bb.1253:                             ;   in Loop: Header=BB200_1066 Depth=1
	v_mov_b64_e32 v[52:53], 0x80000000
	s_mov_b32 s8, exec_lo
	v_cmpx_ne_u16_e32 0x80, v66
	s_cbranch_execz .LBB200_1259
; %bb.1254:                             ;   in Loop: Header=BB200_1066 Depth=1
	v_mov_b64_e32 v[52:53], 0x7f800001
	v_bfe_u32 v66, v64, 16, 7
	s_mov_b32 s9, exec_lo
	s_delay_alu instid0(VALU_DEP_1)
	v_cmpx_ne_u32_e32 0x7f, v66
	s_cbranch_execz .LBB200_1258
; %bb.1255:                             ;   in Loop: Header=BB200_1066 Depth=1
	v_dual_lshrrev_b32 v52, 3, v66 :: v_dual_bitop2_b32 v74, 7, v65 bitop3:0x40
	s_mov_b32 s16, exec_lo
	v_cmpx_gt_u32_e32 8, v66
; %bb.1256:                             ;   in Loop: Header=BB200_1066 Depth=1
	s_delay_alu instid0(VALU_DEP_2) | instskip(NEXT) | instid1(VALU_DEP_1)
	v_clz_i32_u32_e32 v0, v74
	v_min_u32_e32 v0, 32, v0
	s_delay_alu instid0(VALU_DEP_1) | instskip(NEXT) | instid1(VALU_DEP_1)
	v_subrev_nc_u32_e32 v52, 28, v0
	v_lshlrev_b64_e32 v[66:67], v52, v[74:75]
	s_delay_alu instid0(VALU_DEP_1)
	v_dual_sub_nc_u32 v52, 29, v0 :: v_dual_bitop2_b32 v74, 7, v66 bitop3:0x40
; %bb.1257:                             ;   in Loop: Header=BB200_1066 Depth=1
	s_or_b32 exec_lo, exec_lo, s16
	s_delay_alu instid0(VALU_DEP_1) | instskip(NEXT) | instid1(VALU_DEP_2)
	v_dual_lshlrev_b32 v0, 24, v65 :: v_dual_lshlrev_b32 v53, 20, v74
	v_lshl_add_u32 v52, v52, 23, 0x3c000000
	s_delay_alu instid0(VALU_DEP_2) | instskip(NEXT) | instid1(VALU_DEP_1)
	v_and_b32_e32 v0, 0x80000000, v0
	v_or3_b32 v74, v53, v0, v52
	s_delay_alu instid0(VALU_DEP_1)
	v_mov_b64_e32 v[52:53], v[74:75]
.LBB200_1258:                           ;   in Loop: Header=BB200_1066 Depth=1
	s_or_b32 exec_lo, exec_lo, s9
.LBB200_1259:                           ;   in Loop: Header=BB200_1066 Depth=1
	s_delay_alu instid0(SALU_CYCLE_1)
	s_or_b32 exec_lo, exec_lo, s8
.LBB200_1260:                           ;   in Loop: Header=BB200_1066 Depth=1
	s_delay_alu instid0(SALU_CYCLE_1) | instskip(NEXT) | instid1(SALU_CYCLE_1)
	s_or_b32 exec_lo, exec_lo, s3
	s_mov_b32 s3, exec_lo
	v_cmpx_lt_u32_e32 0xffffff, v64
	s_cbranch_execz .LBB200_1268
; %bb.1261:                             ;   in Loop: Header=BB200_1066 Depth=1
	v_mov_b64_e32 v[54:55], 0x8000000000000000
	v_lshrrev_b32_e32 v65, 24, v64
	s_mov_b32 s8, exec_lo
	s_delay_alu instid0(VALU_DEP_1)
	v_cmpx_ne_u32_e32 0x80, v65
	s_cbranch_execz .LBB200_1267
; %bb.1262:                             ;   in Loop: Header=BB200_1066 Depth=1
	v_mov_b64_e32 v[54:55], 0x7f80000100000000
	v_bfe_u32 v64, v64, 24, 7
	s_mov_b32 s9, exec_lo
	s_delay_alu instid0(VALU_DEP_1)
	v_cmpx_ne_u32_e32 0x7f, v64
	s_cbranch_execz .LBB200_1266
; %bb.1263:                             ;   in Loop: Header=BB200_1066 Depth=1
	v_dual_lshrrev_b32 v54, 3, v64 :: v_dual_bitop2_b32 v74, 7, v65 bitop3:0x40
	s_mov_b32 s16, exec_lo
	v_cmpx_gt_u32_e32 8, v64
; %bb.1264:                             ;   in Loop: Header=BB200_1066 Depth=1
	s_delay_alu instid0(VALU_DEP_2) | instskip(NEXT) | instid1(VALU_DEP_1)
	v_clz_i32_u32_e32 v0, v74
	v_min_u32_e32 v0, 32, v0
	s_delay_alu instid0(VALU_DEP_1) | instskip(NEXT) | instid1(VALU_DEP_1)
	v_subrev_nc_u32_e32 v54, 28, v0
	v_lshlrev_b64_e32 v[66:67], v54, v[74:75]
	s_delay_alu instid0(VALU_DEP_1)
	v_dual_sub_nc_u32 v54, 29, v0 :: v_dual_bitop2_b32 v74, 7, v66 bitop3:0x40
; %bb.1265:                             ;   in Loop: Header=BB200_1066 Depth=1
	s_or_b32 exec_lo, exec_lo, s16
	s_delay_alu instid0(VALU_DEP_1) | instskip(NEXT) | instid1(VALU_DEP_2)
	v_dual_lshlrev_b32 v0, 24, v65 :: v_dual_lshlrev_b32 v55, 20, v74
	v_lshl_add_u32 v54, v54, 23, 0x3c000000
	s_delay_alu instid0(VALU_DEP_2) | instskip(NEXT) | instid1(VALU_DEP_1)
	v_and_b32_e32 v0, 0x80000000, v0
	v_or3_b32 v55, v55, v0, v54
	v_mov_b32_e32 v54, v75
.LBB200_1266:                           ;   in Loop: Header=BB200_1066 Depth=1
	s_or_b32 exec_lo, exec_lo, s9
.LBB200_1267:                           ;   in Loop: Header=BB200_1066 Depth=1
	s_delay_alu instid0(SALU_CYCLE_1)
	s_or_b32 exec_lo, exec_lo, s8
.LBB200_1268:                           ;   in Loop: Header=BB200_1066 Depth=1
	s_delay_alu instid0(SALU_CYCLE_1) | instskip(SKIP_4) | instid1(VALU_DEP_3)
	s_or_b32 exec_lo, exec_lo, s3
	v_or_b32_e32 v49, v49, v51
	v_or_b32_e32 v48, v48, v50
	;; [unrolled: 1-line block ×4, first 2 shown]
	v_pk_mul_f32 v[48:49], v[38:39], v[48:49]
	scratch_store_b64 off, v[48:49], s32 offset:300 ; 8-byte Folded Spill
	s_wait_xcnt 0x0
	v_pk_mul_f32 v[48:49], v[38:39], v[50:51]
	scratch_store_b64 off, v[48:49], s32 offset:292 ; 8-byte Folded Spill
	s_wait_xcnt 0x0
	s_and_saveexec_b32 s3, vcc_lo
	s_cbranch_execz .LBB200_1270
; %bb.1269:                             ;   in Loop: Header=BB200_1066 Depth=1
	scratch_load_b64 v[48:49], off, s32 offset:192 ; 8-byte Folded Reload
	s_wait_loadcnt 0x0
	v_mov_b32_e32 v0, v48
	scratch_load_b64 v[48:49], off, s32 offset:300 th:TH_LOAD_LU ; 8-byte Folded Reload
	v_cmp_lt_i32_e64 s0, v1, v0
	s_wait_loadcnt 0x0
	s_delay_alu instid0(VALU_DEP_1) | instskip(SKIP_1) | instid1(VALU_DEP_1)
	v_cndmask_b32_e64 v48, 0, v48, s0
	v_cmp_lt_i32_e64 s0, v77, v0
	v_cndmask_b32_e64 v49, 0, v49, s0
	v_cmp_lt_i32_e64 s0, v73, v0
	s_clause 0x1
	scratch_store_b64 off, v[48:49], s32 offset:300
	scratch_load_b64 v[48:49], off, s32 offset:292 th:TH_LOAD_LU
	s_wait_loadcnt 0x0
	v_cndmask_b32_e64 v48, 0, v48, s0
	v_cmp_lt_i32_e64 s0, v72, v0
	s_delay_alu instid0(VALU_DEP_1)
	v_cndmask_b32_e64 v49, 0, v49, s0
	scratch_store_b64 off, v[48:49], s32 offset:292 ; 8-byte Folded Spill
.LBB200_1270:                           ;   in Loop: Header=BB200_1066 Depth=1
	s_wait_xcnt 0x0
	s_or_b32 exec_lo, exec_lo, s3
	flat_load_b32 v64, v[96:97] offset:768
	v_mov_b64_e32 v[48:49], 0
	v_mov_b64_e32 v[50:51], 0
	s_mov_b32 s3, exec_lo
	s_wait_loadcnt_dscnt 0x0
	v_and_b32_e32 v52, 0xff, v64
	s_wait_xcnt 0x0
	s_delay_alu instid0(VALU_DEP_1)
	v_cmpx_ne_u16_e32 0, v52
	s_cbranch_execz .LBB200_1278
; %bb.1271:                             ;   in Loop: Header=BB200_1066 Depth=1
	v_mov_b64_e32 v[50:51], 0x80000000
	s_mov_b32 s8, exec_lo
	v_cmpx_ne_u16_e32 0x80, v52
	s_cbranch_execz .LBB200_1277
; %bb.1272:                             ;   in Loop: Header=BB200_1066 Depth=1
	v_mov_b64_e32 v[50:51], 0x7f800001
	v_and_b32_e32 v52, 0x7f, v64
	s_mov_b32 s9, exec_lo
	s_delay_alu instid0(VALU_DEP_1)
	v_cmpx_ne_u32_e32 0x7f, v52
	s_cbranch_execz .LBB200_1276
; %bb.1273:                             ;   in Loop: Header=BB200_1066 Depth=1
	v_and_b32_e32 v74, 7, v64
	v_lshrrev_b32_e32 v50, 3, v52
	s_mov_b32 s16, exec_lo
	v_cmpx_gt_u32_e32 8, v52
; %bb.1274:                             ;   in Loop: Header=BB200_1066 Depth=1
	s_delay_alu instid0(VALU_DEP_3) | instskip(NEXT) | instid1(VALU_DEP_1)
	v_clz_i32_u32_e32 v0, v74
	v_min_u32_e32 v0, 32, v0
	s_delay_alu instid0(VALU_DEP_1) | instskip(NEXT) | instid1(VALU_DEP_1)
	v_subrev_nc_u32_e32 v50, 28, v0
	v_lshlrev_b64_e32 v[52:53], v50, v[74:75]
	v_sub_nc_u32_e32 v50, 29, v0
	s_delay_alu instid0(VALU_DEP_2)
	v_and_b32_e32 v74, 7, v52
; %bb.1275:                             ;   in Loop: Header=BB200_1066 Depth=1
	s_or_b32 exec_lo, exec_lo, s16
	s_delay_alu instid0(VALU_DEP_1) | instskip(NEXT) | instid1(VALU_DEP_3)
	v_dual_lshlrev_b32 v0, 24, v64 :: v_dual_lshlrev_b32 v51, 20, v74
	v_lshl_add_u32 v50, v50, 23, 0x3c000000
	s_delay_alu instid0(VALU_DEP_2) | instskip(NEXT) | instid1(VALU_DEP_1)
	v_and_b32_e32 v0, 0x80000000, v0
	v_or3_b32 v74, v51, v0, v50
	s_delay_alu instid0(VALU_DEP_1)
	v_mov_b64_e32 v[50:51], v[74:75]
.LBB200_1276:                           ;   in Loop: Header=BB200_1066 Depth=1
	s_or_b32 exec_lo, exec_lo, s9
.LBB200_1277:                           ;   in Loop: Header=BB200_1066 Depth=1
	s_delay_alu instid0(SALU_CYCLE_1)
	s_or_b32 exec_lo, exec_lo, s8
.LBB200_1278:                           ;   in Loop: Header=BB200_1066 Depth=1
	s_delay_alu instid0(SALU_CYCLE_1) | instskip(SKIP_2) | instid1(VALU_DEP_1)
	s_or_b32 exec_lo, exec_lo, s3
	v_lshrrev_b16 v52, 8, v64
	s_mov_b32 s3, exec_lo
	v_cmpx_ne_u16_e32 0, v52
	s_cbranch_execz .LBB200_1286
; %bb.1279:                             ;   in Loop: Header=BB200_1066 Depth=1
	v_mov_b64_e32 v[48:49], 0x8000000000000000
	s_mov_b32 s8, exec_lo
	v_cmpx_ne_u16_e32 0x80, v52
	s_cbranch_execz .LBB200_1285
; %bb.1280:                             ;   in Loop: Header=BB200_1066 Depth=1
	v_and_b32_e32 v53, 0xffff, v52
	v_mov_b64_e32 v[48:49], 0x7f80000100000000
	s_mov_b32 s9, exec_lo
	s_delay_alu instid0(VALU_DEP_2) | instskip(NEXT) | instid1(VALU_DEP_1)
	v_and_b32_e32 v52, 0x7f, v53
	v_cmpx_ne_u32_e32 0x7f, v52
	s_cbranch_execz .LBB200_1284
; %bb.1281:                             ;   in Loop: Header=BB200_1066 Depth=1
	v_dual_lshrrev_b32 v48, 3, v52 :: v_dual_bitop2_b32 v74, 7, v53 bitop3:0x40
	s_mov_b32 s16, exec_lo
	v_cmpx_gt_u32_e32 8, v52
; %bb.1282:                             ;   in Loop: Header=BB200_1066 Depth=1
	s_delay_alu instid0(VALU_DEP_2) | instskip(NEXT) | instid1(VALU_DEP_1)
	v_clz_i32_u32_e32 v0, v74
	v_min_u32_e32 v0, 32, v0
	s_delay_alu instid0(VALU_DEP_1) | instskip(NEXT) | instid1(VALU_DEP_1)
	v_subrev_nc_u32_e32 v48, 28, v0
	v_lshlrev_b64_e32 v[52:53], v48, v[74:75]
	v_sub_nc_u32_e32 v48, 29, v0
	s_delay_alu instid0(VALU_DEP_2)
	v_and_b32_e32 v74, 7, v52
; %bb.1283:                             ;   in Loop: Header=BB200_1066 Depth=1
	s_or_b32 exec_lo, exec_lo, s16
	s_delay_alu instid0(VALU_DEP_1) | instskip(NEXT) | instid1(VALU_DEP_3)
	v_dual_lshlrev_b32 v0, 16, v64 :: v_dual_lshlrev_b32 v49, 20, v74
	v_lshl_add_u32 v48, v48, 23, 0x3c000000
	s_delay_alu instid0(VALU_DEP_2) | instskip(NEXT) | instid1(VALU_DEP_1)
	v_and_b32_e32 v0, 0x80000000, v0
	v_or3_b32 v49, v49, v0, v48
	v_mov_b32_e32 v48, v75
.LBB200_1284:                           ;   in Loop: Header=BB200_1066 Depth=1
	s_or_b32 exec_lo, exec_lo, s9
.LBB200_1285:                           ;   in Loop: Header=BB200_1066 Depth=1
	s_delay_alu instid0(SALU_CYCLE_1)
	s_or_b32 exec_lo, exec_lo, s8
.LBB200_1286:                           ;   in Loop: Header=BB200_1066 Depth=1
	s_delay_alu instid0(SALU_CYCLE_1) | instskip(SKIP_4) | instid1(VALU_DEP_3)
	s_or_b32 exec_lo, exec_lo, s3
	v_lshrrev_b32_e32 v65, 16, v64
	v_mov_b64_e32 v[54:55], 0
	v_mov_b64_e32 v[52:53], 0
	s_mov_b32 s3, exec_lo
	v_and_b32_e32 v66, 0xff, v65
	s_delay_alu instid0(VALU_DEP_1)
	v_cmpx_ne_u16_e32 0, v66
	s_cbranch_execz .LBB200_1294
; %bb.1287:                             ;   in Loop: Header=BB200_1066 Depth=1
	v_mov_b64_e32 v[52:53], 0x80000000
	s_mov_b32 s8, exec_lo
	v_cmpx_ne_u16_e32 0x80, v66
	s_cbranch_execz .LBB200_1293
; %bb.1288:                             ;   in Loop: Header=BB200_1066 Depth=1
	v_mov_b64_e32 v[52:53], 0x7f800001
	v_bfe_u32 v66, v64, 16, 7
	s_mov_b32 s9, exec_lo
	s_delay_alu instid0(VALU_DEP_1)
	v_cmpx_ne_u32_e32 0x7f, v66
	s_cbranch_execz .LBB200_1292
; %bb.1289:                             ;   in Loop: Header=BB200_1066 Depth=1
	v_dual_lshrrev_b32 v52, 3, v66 :: v_dual_bitop2_b32 v74, 7, v65 bitop3:0x40
	s_mov_b32 s16, exec_lo
	v_cmpx_gt_u32_e32 8, v66
; %bb.1290:                             ;   in Loop: Header=BB200_1066 Depth=1
	s_delay_alu instid0(VALU_DEP_2) | instskip(NEXT) | instid1(VALU_DEP_1)
	v_clz_i32_u32_e32 v0, v74
	v_min_u32_e32 v0, 32, v0
	s_delay_alu instid0(VALU_DEP_1) | instskip(NEXT) | instid1(VALU_DEP_1)
	v_subrev_nc_u32_e32 v52, 28, v0
	v_lshlrev_b64_e32 v[66:67], v52, v[74:75]
	s_delay_alu instid0(VALU_DEP_1)
	v_dual_sub_nc_u32 v52, 29, v0 :: v_dual_bitop2_b32 v74, 7, v66 bitop3:0x40
; %bb.1291:                             ;   in Loop: Header=BB200_1066 Depth=1
	s_or_b32 exec_lo, exec_lo, s16
	s_delay_alu instid0(VALU_DEP_1) | instskip(NEXT) | instid1(VALU_DEP_2)
	v_dual_lshlrev_b32 v0, 24, v65 :: v_dual_lshlrev_b32 v53, 20, v74
	v_lshl_add_u32 v52, v52, 23, 0x3c000000
	s_delay_alu instid0(VALU_DEP_2) | instskip(NEXT) | instid1(VALU_DEP_1)
	v_and_b32_e32 v0, 0x80000000, v0
	v_or3_b32 v74, v53, v0, v52
	s_delay_alu instid0(VALU_DEP_1)
	v_mov_b64_e32 v[52:53], v[74:75]
.LBB200_1292:                           ;   in Loop: Header=BB200_1066 Depth=1
	s_or_b32 exec_lo, exec_lo, s9
.LBB200_1293:                           ;   in Loop: Header=BB200_1066 Depth=1
	s_delay_alu instid0(SALU_CYCLE_1)
	s_or_b32 exec_lo, exec_lo, s8
.LBB200_1294:                           ;   in Loop: Header=BB200_1066 Depth=1
	s_delay_alu instid0(SALU_CYCLE_1) | instskip(NEXT) | instid1(SALU_CYCLE_1)
	s_or_b32 exec_lo, exec_lo, s3
	s_mov_b32 s3, exec_lo
	v_cmpx_lt_u32_e32 0xffffff, v64
	s_cbranch_execz .LBB200_1302
; %bb.1295:                             ;   in Loop: Header=BB200_1066 Depth=1
	v_mov_b64_e32 v[54:55], 0x8000000000000000
	v_lshrrev_b32_e32 v65, 24, v64
	s_mov_b32 s8, exec_lo
	s_delay_alu instid0(VALU_DEP_1)
	v_cmpx_ne_u32_e32 0x80, v65
	s_cbranch_execz .LBB200_1301
; %bb.1296:                             ;   in Loop: Header=BB200_1066 Depth=1
	v_mov_b64_e32 v[54:55], 0x7f80000100000000
	v_bfe_u32 v64, v64, 24, 7
	s_mov_b32 s9, exec_lo
	s_delay_alu instid0(VALU_DEP_1)
	v_cmpx_ne_u32_e32 0x7f, v64
	s_cbranch_execz .LBB200_1300
; %bb.1297:                             ;   in Loop: Header=BB200_1066 Depth=1
	v_dual_lshrrev_b32 v54, 3, v64 :: v_dual_bitop2_b32 v74, 7, v65 bitop3:0x40
	s_mov_b32 s16, exec_lo
	v_cmpx_gt_u32_e32 8, v64
; %bb.1298:                             ;   in Loop: Header=BB200_1066 Depth=1
	s_delay_alu instid0(VALU_DEP_2) | instskip(NEXT) | instid1(VALU_DEP_1)
	v_clz_i32_u32_e32 v0, v74
	v_min_u32_e32 v0, 32, v0
	s_delay_alu instid0(VALU_DEP_1) | instskip(NEXT) | instid1(VALU_DEP_1)
	v_subrev_nc_u32_e32 v54, 28, v0
	v_lshlrev_b64_e32 v[66:67], v54, v[74:75]
	s_delay_alu instid0(VALU_DEP_1)
	v_dual_sub_nc_u32 v54, 29, v0 :: v_dual_bitop2_b32 v74, 7, v66 bitop3:0x40
; %bb.1299:                             ;   in Loop: Header=BB200_1066 Depth=1
	s_or_b32 exec_lo, exec_lo, s16
	s_delay_alu instid0(VALU_DEP_1) | instskip(NEXT) | instid1(VALU_DEP_2)
	v_dual_lshlrev_b32 v0, 24, v65 :: v_dual_lshlrev_b32 v55, 20, v74
	v_lshl_add_u32 v54, v54, 23, 0x3c000000
	s_delay_alu instid0(VALU_DEP_2) | instskip(NEXT) | instid1(VALU_DEP_1)
	v_and_b32_e32 v0, 0x80000000, v0
	v_or3_b32 v55, v55, v0, v54
	v_mov_b32_e32 v54, v75
.LBB200_1300:                           ;   in Loop: Header=BB200_1066 Depth=1
	s_or_b32 exec_lo, exec_lo, s9
.LBB200_1301:                           ;   in Loop: Header=BB200_1066 Depth=1
	s_delay_alu instid0(SALU_CYCLE_1)
	s_or_b32 exec_lo, exec_lo, s8
.LBB200_1302:                           ;   in Loop: Header=BB200_1066 Depth=1
	s_delay_alu instid0(SALU_CYCLE_1) | instskip(SKIP_4) | instid1(VALU_DEP_3)
	s_or_b32 exec_lo, exec_lo, s3
	v_or_b32_e32 v49, v49, v51
	v_or_b32_e32 v48, v48, v50
	v_or_b32_e32 v51, v55, v53
	v_or_b32_e32 v50, v54, v52
	v_pk_mul_f32 v[48:49], v[38:39], v[48:49]
	scratch_store_b64 off, v[48:49], s32 offset:316 ; 8-byte Folded Spill
	s_wait_xcnt 0x0
	v_pk_mul_f32 v[48:49], v[38:39], v[50:51]
	scratch_store_b64 off, v[48:49], s32 offset:308 ; 8-byte Folded Spill
	s_wait_xcnt 0x0
	s_and_saveexec_b32 s3, vcc_lo
	s_cbranch_execz .LBB200_1304
; %bb.1303:                             ;   in Loop: Header=BB200_1066 Depth=1
	scratch_load_b64 v[48:49], off, s32 offset:192 ; 8-byte Folded Reload
	s_wait_loadcnt 0x0
	v_mov_b32_e32 v0, v48
	scratch_load_b64 v[48:49], off, s32 offset:316 th:TH_LOAD_LU ; 8-byte Folded Reload
	v_cmp_lt_i32_e64 s0, v1, v0
	s_wait_loadcnt 0x0
	s_delay_alu instid0(VALU_DEP_1) | instskip(SKIP_1) | instid1(VALU_DEP_1)
	v_cndmask_b32_e64 v48, 0, v48, s0
	v_cmp_lt_i32_e64 s0, v77, v0
	v_cndmask_b32_e64 v49, 0, v49, s0
	v_cmp_lt_i32_e64 s0, v73, v0
	s_clause 0x1
	scratch_store_b64 off, v[48:49], s32 offset:316
	scratch_load_b64 v[48:49], off, s32 offset:308 th:TH_LOAD_LU
	s_wait_loadcnt 0x0
	v_cndmask_b32_e64 v48, 0, v48, s0
	v_cmp_lt_i32_e64 s0, v72, v0
	s_delay_alu instid0(VALU_DEP_1)
	v_cndmask_b32_e64 v49, 0, v49, s0
	scratch_store_b64 off, v[48:49], s32 offset:308 ; 8-byte Folded Spill
.LBB200_1304:                           ;   in Loop: Header=BB200_1066 Depth=1
	s_wait_xcnt 0x0
	s_or_b32 exec_lo, exec_lo, s3
	flat_load_b32 v64, v[96:97] offset:896
	v_mov_b64_e32 v[48:49], 0
	v_mov_b64_e32 v[50:51], 0
	s_mov_b32 s3, exec_lo
	s_wait_loadcnt_dscnt 0x0
	v_and_b32_e32 v52, 0xff, v64
	s_wait_xcnt 0x0
	s_delay_alu instid0(VALU_DEP_1)
	v_cmpx_ne_u16_e32 0, v52
	s_cbranch_execz .LBB200_1312
; %bb.1305:                             ;   in Loop: Header=BB200_1066 Depth=1
	v_mov_b64_e32 v[50:51], 0x80000000
	s_mov_b32 s8, exec_lo
	v_cmpx_ne_u16_e32 0x80, v52
	s_cbranch_execz .LBB200_1311
; %bb.1306:                             ;   in Loop: Header=BB200_1066 Depth=1
	v_mov_b64_e32 v[50:51], 0x7f800001
	v_and_b32_e32 v52, 0x7f, v64
	s_mov_b32 s9, exec_lo
	s_delay_alu instid0(VALU_DEP_1)
	v_cmpx_ne_u32_e32 0x7f, v52
	s_cbranch_execz .LBB200_1310
; %bb.1307:                             ;   in Loop: Header=BB200_1066 Depth=1
	v_and_b32_e32 v74, 7, v64
	v_lshrrev_b32_e32 v50, 3, v52
	s_mov_b32 s16, exec_lo
	v_cmpx_gt_u32_e32 8, v52
; %bb.1308:                             ;   in Loop: Header=BB200_1066 Depth=1
	s_delay_alu instid0(VALU_DEP_3) | instskip(NEXT) | instid1(VALU_DEP_1)
	v_clz_i32_u32_e32 v0, v74
	v_min_u32_e32 v0, 32, v0
	s_delay_alu instid0(VALU_DEP_1) | instskip(NEXT) | instid1(VALU_DEP_1)
	v_subrev_nc_u32_e32 v50, 28, v0
	v_lshlrev_b64_e32 v[52:53], v50, v[74:75]
	v_sub_nc_u32_e32 v50, 29, v0
	s_delay_alu instid0(VALU_DEP_2)
	v_and_b32_e32 v74, 7, v52
; %bb.1309:                             ;   in Loop: Header=BB200_1066 Depth=1
	s_or_b32 exec_lo, exec_lo, s16
	s_delay_alu instid0(VALU_DEP_1) | instskip(NEXT) | instid1(VALU_DEP_3)
	v_dual_lshlrev_b32 v0, 24, v64 :: v_dual_lshlrev_b32 v51, 20, v74
	v_lshl_add_u32 v50, v50, 23, 0x3c000000
	s_delay_alu instid0(VALU_DEP_2) | instskip(NEXT) | instid1(VALU_DEP_1)
	v_and_b32_e32 v0, 0x80000000, v0
	v_or3_b32 v74, v51, v0, v50
	s_delay_alu instid0(VALU_DEP_1)
	v_mov_b64_e32 v[50:51], v[74:75]
.LBB200_1310:                           ;   in Loop: Header=BB200_1066 Depth=1
	s_or_b32 exec_lo, exec_lo, s9
.LBB200_1311:                           ;   in Loop: Header=BB200_1066 Depth=1
	s_delay_alu instid0(SALU_CYCLE_1)
	s_or_b32 exec_lo, exec_lo, s8
.LBB200_1312:                           ;   in Loop: Header=BB200_1066 Depth=1
	s_delay_alu instid0(SALU_CYCLE_1) | instskip(SKIP_2) | instid1(VALU_DEP_1)
	s_or_b32 exec_lo, exec_lo, s3
	v_lshrrev_b16 v52, 8, v64
	s_mov_b32 s3, exec_lo
	v_cmpx_ne_u16_e32 0, v52
	s_cbranch_execz .LBB200_1320
; %bb.1313:                             ;   in Loop: Header=BB200_1066 Depth=1
	v_mov_b64_e32 v[48:49], 0x8000000000000000
	s_mov_b32 s8, exec_lo
	v_cmpx_ne_u16_e32 0x80, v52
	s_cbranch_execz .LBB200_1319
; %bb.1314:                             ;   in Loop: Header=BB200_1066 Depth=1
	v_and_b32_e32 v53, 0xffff, v52
	v_mov_b64_e32 v[48:49], 0x7f80000100000000
	s_mov_b32 s9, exec_lo
	s_delay_alu instid0(VALU_DEP_2) | instskip(NEXT) | instid1(VALU_DEP_1)
	v_and_b32_e32 v52, 0x7f, v53
	v_cmpx_ne_u32_e32 0x7f, v52
	s_cbranch_execz .LBB200_1318
; %bb.1315:                             ;   in Loop: Header=BB200_1066 Depth=1
	v_dual_lshrrev_b32 v48, 3, v52 :: v_dual_bitop2_b32 v74, 7, v53 bitop3:0x40
	s_mov_b32 s16, exec_lo
	v_cmpx_gt_u32_e32 8, v52
; %bb.1316:                             ;   in Loop: Header=BB200_1066 Depth=1
	s_delay_alu instid0(VALU_DEP_2) | instskip(NEXT) | instid1(VALU_DEP_1)
	v_clz_i32_u32_e32 v0, v74
	v_min_u32_e32 v0, 32, v0
	s_delay_alu instid0(VALU_DEP_1) | instskip(NEXT) | instid1(VALU_DEP_1)
	v_subrev_nc_u32_e32 v48, 28, v0
	v_lshlrev_b64_e32 v[52:53], v48, v[74:75]
	v_sub_nc_u32_e32 v48, 29, v0
	s_delay_alu instid0(VALU_DEP_2)
	v_and_b32_e32 v74, 7, v52
; %bb.1317:                             ;   in Loop: Header=BB200_1066 Depth=1
	s_or_b32 exec_lo, exec_lo, s16
	s_delay_alu instid0(VALU_DEP_1) | instskip(NEXT) | instid1(VALU_DEP_3)
	v_dual_lshlrev_b32 v0, 16, v64 :: v_dual_lshlrev_b32 v49, 20, v74
	v_lshl_add_u32 v48, v48, 23, 0x3c000000
	s_delay_alu instid0(VALU_DEP_2) | instskip(NEXT) | instid1(VALU_DEP_1)
	v_and_b32_e32 v0, 0x80000000, v0
	v_or3_b32 v49, v49, v0, v48
	v_mov_b32_e32 v48, v75
.LBB200_1318:                           ;   in Loop: Header=BB200_1066 Depth=1
	s_or_b32 exec_lo, exec_lo, s9
.LBB200_1319:                           ;   in Loop: Header=BB200_1066 Depth=1
	s_delay_alu instid0(SALU_CYCLE_1)
	s_or_b32 exec_lo, exec_lo, s8
.LBB200_1320:                           ;   in Loop: Header=BB200_1066 Depth=1
	s_delay_alu instid0(SALU_CYCLE_1) | instskip(SKIP_4) | instid1(VALU_DEP_3)
	s_or_b32 exec_lo, exec_lo, s3
	v_lshrrev_b32_e32 v65, 16, v64
	v_mov_b64_e32 v[54:55], 0
	v_mov_b64_e32 v[52:53], 0
	s_mov_b32 s3, exec_lo
	v_and_b32_e32 v66, 0xff, v65
	s_delay_alu instid0(VALU_DEP_1)
	v_cmpx_ne_u16_e32 0, v66
	s_cbranch_execz .LBB200_1328
; %bb.1321:                             ;   in Loop: Header=BB200_1066 Depth=1
	v_mov_b64_e32 v[52:53], 0x80000000
	s_mov_b32 s8, exec_lo
	v_cmpx_ne_u16_e32 0x80, v66
	s_cbranch_execz .LBB200_1327
; %bb.1322:                             ;   in Loop: Header=BB200_1066 Depth=1
	v_mov_b64_e32 v[52:53], 0x7f800001
	v_bfe_u32 v66, v64, 16, 7
	s_mov_b32 s9, exec_lo
	s_delay_alu instid0(VALU_DEP_1)
	v_cmpx_ne_u32_e32 0x7f, v66
	s_cbranch_execz .LBB200_1326
; %bb.1323:                             ;   in Loop: Header=BB200_1066 Depth=1
	v_dual_lshrrev_b32 v52, 3, v66 :: v_dual_bitop2_b32 v74, 7, v65 bitop3:0x40
	s_mov_b32 s16, exec_lo
	v_cmpx_gt_u32_e32 8, v66
; %bb.1324:                             ;   in Loop: Header=BB200_1066 Depth=1
	s_delay_alu instid0(VALU_DEP_2) | instskip(NEXT) | instid1(VALU_DEP_1)
	v_clz_i32_u32_e32 v0, v74
	v_min_u32_e32 v0, 32, v0
	s_delay_alu instid0(VALU_DEP_1) | instskip(NEXT) | instid1(VALU_DEP_1)
	v_subrev_nc_u32_e32 v52, 28, v0
	v_lshlrev_b64_e32 v[66:67], v52, v[74:75]
	s_delay_alu instid0(VALU_DEP_1)
	v_dual_sub_nc_u32 v52, 29, v0 :: v_dual_bitop2_b32 v74, 7, v66 bitop3:0x40
; %bb.1325:                             ;   in Loop: Header=BB200_1066 Depth=1
	s_or_b32 exec_lo, exec_lo, s16
	s_delay_alu instid0(VALU_DEP_1) | instskip(NEXT) | instid1(VALU_DEP_2)
	v_dual_lshlrev_b32 v0, 24, v65 :: v_dual_lshlrev_b32 v53, 20, v74
	v_lshl_add_u32 v52, v52, 23, 0x3c000000
	s_delay_alu instid0(VALU_DEP_2) | instskip(NEXT) | instid1(VALU_DEP_1)
	v_and_b32_e32 v0, 0x80000000, v0
	v_or3_b32 v74, v53, v0, v52
	s_delay_alu instid0(VALU_DEP_1)
	v_mov_b64_e32 v[52:53], v[74:75]
.LBB200_1326:                           ;   in Loop: Header=BB200_1066 Depth=1
	s_or_b32 exec_lo, exec_lo, s9
.LBB200_1327:                           ;   in Loop: Header=BB200_1066 Depth=1
	s_delay_alu instid0(SALU_CYCLE_1)
	s_or_b32 exec_lo, exec_lo, s8
.LBB200_1328:                           ;   in Loop: Header=BB200_1066 Depth=1
	s_delay_alu instid0(SALU_CYCLE_1) | instskip(NEXT) | instid1(SALU_CYCLE_1)
	s_or_b32 exec_lo, exec_lo, s3
	s_mov_b32 s3, exec_lo
	v_cmpx_lt_u32_e32 0xffffff, v64
	s_cbranch_execz .LBB200_1336
; %bb.1329:                             ;   in Loop: Header=BB200_1066 Depth=1
	v_mov_b64_e32 v[54:55], 0x8000000000000000
	v_lshrrev_b32_e32 v65, 24, v64
	s_mov_b32 s8, exec_lo
	s_delay_alu instid0(VALU_DEP_1)
	v_cmpx_ne_u32_e32 0x80, v65
	s_cbranch_execz .LBB200_1335
; %bb.1330:                             ;   in Loop: Header=BB200_1066 Depth=1
	v_mov_b64_e32 v[54:55], 0x7f80000100000000
	v_bfe_u32 v64, v64, 24, 7
	s_mov_b32 s9, exec_lo
	s_delay_alu instid0(VALU_DEP_1)
	v_cmpx_ne_u32_e32 0x7f, v64
	s_cbranch_execz .LBB200_1334
; %bb.1331:                             ;   in Loop: Header=BB200_1066 Depth=1
	v_dual_lshrrev_b32 v54, 3, v64 :: v_dual_bitop2_b32 v74, 7, v65 bitop3:0x40
	s_mov_b32 s16, exec_lo
	v_cmpx_gt_u32_e32 8, v64
; %bb.1332:                             ;   in Loop: Header=BB200_1066 Depth=1
	s_delay_alu instid0(VALU_DEP_2) | instskip(NEXT) | instid1(VALU_DEP_1)
	v_clz_i32_u32_e32 v0, v74
	v_min_u32_e32 v0, 32, v0
	s_delay_alu instid0(VALU_DEP_1) | instskip(NEXT) | instid1(VALU_DEP_1)
	v_subrev_nc_u32_e32 v54, 28, v0
	v_lshlrev_b64_e32 v[66:67], v54, v[74:75]
	s_delay_alu instid0(VALU_DEP_1)
	v_dual_sub_nc_u32 v54, 29, v0 :: v_dual_bitop2_b32 v74, 7, v66 bitop3:0x40
; %bb.1333:                             ;   in Loop: Header=BB200_1066 Depth=1
	s_or_b32 exec_lo, exec_lo, s16
	s_delay_alu instid0(VALU_DEP_1) | instskip(NEXT) | instid1(VALU_DEP_2)
	v_dual_lshlrev_b32 v0, 24, v65 :: v_dual_lshlrev_b32 v55, 20, v74
	v_lshl_add_u32 v54, v54, 23, 0x3c000000
	s_delay_alu instid0(VALU_DEP_2) | instskip(NEXT) | instid1(VALU_DEP_1)
	v_and_b32_e32 v0, 0x80000000, v0
	v_or3_b32 v55, v55, v0, v54
	v_mov_b32_e32 v54, v75
.LBB200_1334:                           ;   in Loop: Header=BB200_1066 Depth=1
	s_or_b32 exec_lo, exec_lo, s9
.LBB200_1335:                           ;   in Loop: Header=BB200_1066 Depth=1
	s_delay_alu instid0(SALU_CYCLE_1)
	s_or_b32 exec_lo, exec_lo, s8
.LBB200_1336:                           ;   in Loop: Header=BB200_1066 Depth=1
	s_delay_alu instid0(SALU_CYCLE_1) | instskip(SKIP_4) | instid1(VALU_DEP_3)
	s_or_b32 exec_lo, exec_lo, s3
	v_or_b32_e32 v49, v49, v51
	v_or_b32_e32 v48, v48, v50
	;; [unrolled: 1-line block ×4, first 2 shown]
	v_pk_mul_f32 v[48:49], v[38:39], v[48:49]
	scratch_store_b64 off, v[48:49], s32 offset:324 ; 8-byte Folded Spill
	s_wait_xcnt 0x0
	v_pk_mul_f32 v[48:49], v[38:39], v[50:51]
	scratch_store_b64 off, v[48:49], s32 offset:204 ; 8-byte Folded Spill
	s_wait_xcnt 0x0
	s_and_saveexec_b32 s3, vcc_lo
	s_cbranch_execz .LBB200_1338
; %bb.1337:                             ;   in Loop: Header=BB200_1066 Depth=1
	scratch_load_b64 v[48:49], off, s32 offset:192 ; 8-byte Folded Reload
	s_wait_loadcnt 0x0
	v_mov_b32_e32 v0, v48
	scratch_load_b64 v[48:49], off, s32 offset:324 th:TH_LOAD_LU ; 8-byte Folded Reload
	v_cmp_lt_i32_e64 s0, v1, v0
	s_wait_loadcnt 0x0
	s_delay_alu instid0(VALU_DEP_1) | instskip(SKIP_1) | instid1(VALU_DEP_1)
	v_cndmask_b32_e64 v48, 0, v48, s0
	v_cmp_lt_i32_e64 s0, v77, v0
	v_cndmask_b32_e64 v49, 0, v49, s0
	v_cmp_lt_i32_e64 s0, v73, v0
	s_clause 0x1
	scratch_store_b64 off, v[48:49], s32 offset:324
	scratch_load_b64 v[48:49], off, s32 offset:204 th:TH_LOAD_LU
	s_wait_loadcnt 0x0
	v_cndmask_b32_e64 v48, 0, v48, s0
	v_cmp_lt_i32_e64 s0, v72, v0
	s_delay_alu instid0(VALU_DEP_1)
	v_cndmask_b32_e64 v49, 0, v49, s0
	scratch_store_b64 off, v[48:49], s32 offset:204 ; 8-byte Folded Spill
.LBB200_1338:                           ;   in Loop: Header=BB200_1066 Depth=1
	s_wait_xcnt 0x0
	s_or_b32 exec_lo, exec_lo, s3
	flat_load_b32 v64, v[96:97] offset:1024
	v_mov_b64_e32 v[48:49], 0
	v_mov_b64_e32 v[50:51], 0
	s_mov_b32 s3, exec_lo
	s_wait_loadcnt_dscnt 0x0
	v_and_b32_e32 v52, 0xff, v64
	s_wait_xcnt 0x0
	s_delay_alu instid0(VALU_DEP_1)
	v_cmpx_ne_u16_e32 0, v52
	s_cbranch_execz .LBB200_1346
; %bb.1339:                             ;   in Loop: Header=BB200_1066 Depth=1
	v_mov_b64_e32 v[50:51], 0x80000000
	s_mov_b32 s8, exec_lo
	v_cmpx_ne_u16_e32 0x80, v52
	s_cbranch_execz .LBB200_1345
; %bb.1340:                             ;   in Loop: Header=BB200_1066 Depth=1
	v_mov_b64_e32 v[50:51], 0x7f800001
	v_and_b32_e32 v52, 0x7f, v64
	s_mov_b32 s9, exec_lo
	s_delay_alu instid0(VALU_DEP_1)
	v_cmpx_ne_u32_e32 0x7f, v52
	s_cbranch_execz .LBB200_1344
; %bb.1341:                             ;   in Loop: Header=BB200_1066 Depth=1
	v_and_b32_e32 v74, 7, v64
	v_lshrrev_b32_e32 v50, 3, v52
	s_mov_b32 s16, exec_lo
	v_cmpx_gt_u32_e32 8, v52
; %bb.1342:                             ;   in Loop: Header=BB200_1066 Depth=1
	s_delay_alu instid0(VALU_DEP_3) | instskip(NEXT) | instid1(VALU_DEP_1)
	v_clz_i32_u32_e32 v0, v74
	v_min_u32_e32 v0, 32, v0
	s_delay_alu instid0(VALU_DEP_1) | instskip(NEXT) | instid1(VALU_DEP_1)
	v_subrev_nc_u32_e32 v50, 28, v0
	v_lshlrev_b64_e32 v[52:53], v50, v[74:75]
	v_sub_nc_u32_e32 v50, 29, v0
	s_delay_alu instid0(VALU_DEP_2)
	v_and_b32_e32 v74, 7, v52
; %bb.1343:                             ;   in Loop: Header=BB200_1066 Depth=1
	s_or_b32 exec_lo, exec_lo, s16
	s_delay_alu instid0(VALU_DEP_1) | instskip(NEXT) | instid1(VALU_DEP_3)
	v_dual_lshlrev_b32 v0, 24, v64 :: v_dual_lshlrev_b32 v51, 20, v74
	v_lshl_add_u32 v50, v50, 23, 0x3c000000
	s_delay_alu instid0(VALU_DEP_2) | instskip(NEXT) | instid1(VALU_DEP_1)
	v_and_b32_e32 v0, 0x80000000, v0
	v_or3_b32 v74, v51, v0, v50
	s_delay_alu instid0(VALU_DEP_1)
	v_mov_b64_e32 v[50:51], v[74:75]
.LBB200_1344:                           ;   in Loop: Header=BB200_1066 Depth=1
	s_or_b32 exec_lo, exec_lo, s9
.LBB200_1345:                           ;   in Loop: Header=BB200_1066 Depth=1
	s_delay_alu instid0(SALU_CYCLE_1)
	s_or_b32 exec_lo, exec_lo, s8
.LBB200_1346:                           ;   in Loop: Header=BB200_1066 Depth=1
	s_delay_alu instid0(SALU_CYCLE_1) | instskip(SKIP_2) | instid1(VALU_DEP_1)
	s_or_b32 exec_lo, exec_lo, s3
	v_lshrrev_b16 v52, 8, v64
	s_mov_b32 s3, exec_lo
	v_cmpx_ne_u16_e32 0, v52
	s_cbranch_execz .LBB200_1354
; %bb.1347:                             ;   in Loop: Header=BB200_1066 Depth=1
	v_mov_b64_e32 v[48:49], 0x8000000000000000
	s_mov_b32 s8, exec_lo
	v_cmpx_ne_u16_e32 0x80, v52
	s_cbranch_execz .LBB200_1353
; %bb.1348:                             ;   in Loop: Header=BB200_1066 Depth=1
	v_and_b32_e32 v53, 0xffff, v52
	v_mov_b64_e32 v[48:49], 0x7f80000100000000
	s_mov_b32 s9, exec_lo
	s_delay_alu instid0(VALU_DEP_2) | instskip(NEXT) | instid1(VALU_DEP_1)
	v_and_b32_e32 v52, 0x7f, v53
	v_cmpx_ne_u32_e32 0x7f, v52
	s_cbranch_execz .LBB200_1352
; %bb.1349:                             ;   in Loop: Header=BB200_1066 Depth=1
	v_dual_lshrrev_b32 v48, 3, v52 :: v_dual_bitop2_b32 v74, 7, v53 bitop3:0x40
	s_mov_b32 s16, exec_lo
	v_cmpx_gt_u32_e32 8, v52
; %bb.1350:                             ;   in Loop: Header=BB200_1066 Depth=1
	s_delay_alu instid0(VALU_DEP_2) | instskip(NEXT) | instid1(VALU_DEP_1)
	v_clz_i32_u32_e32 v0, v74
	v_min_u32_e32 v0, 32, v0
	s_delay_alu instid0(VALU_DEP_1) | instskip(NEXT) | instid1(VALU_DEP_1)
	v_subrev_nc_u32_e32 v48, 28, v0
	v_lshlrev_b64_e32 v[52:53], v48, v[74:75]
	v_sub_nc_u32_e32 v48, 29, v0
	s_delay_alu instid0(VALU_DEP_2)
	v_and_b32_e32 v74, 7, v52
; %bb.1351:                             ;   in Loop: Header=BB200_1066 Depth=1
	s_or_b32 exec_lo, exec_lo, s16
	s_delay_alu instid0(VALU_DEP_1) | instskip(NEXT) | instid1(VALU_DEP_3)
	v_dual_lshlrev_b32 v0, 16, v64 :: v_dual_lshlrev_b32 v49, 20, v74
	v_lshl_add_u32 v48, v48, 23, 0x3c000000
	s_delay_alu instid0(VALU_DEP_2) | instskip(NEXT) | instid1(VALU_DEP_1)
	v_and_b32_e32 v0, 0x80000000, v0
	v_or3_b32 v49, v49, v0, v48
	v_mov_b32_e32 v48, v75
.LBB200_1352:                           ;   in Loop: Header=BB200_1066 Depth=1
	s_or_b32 exec_lo, exec_lo, s9
.LBB200_1353:                           ;   in Loop: Header=BB200_1066 Depth=1
	s_delay_alu instid0(SALU_CYCLE_1)
	s_or_b32 exec_lo, exec_lo, s8
.LBB200_1354:                           ;   in Loop: Header=BB200_1066 Depth=1
	s_delay_alu instid0(SALU_CYCLE_1) | instskip(SKIP_4) | instid1(VALU_DEP_3)
	s_or_b32 exec_lo, exec_lo, s3
	v_lshrrev_b32_e32 v65, 16, v64
	v_mov_b64_e32 v[54:55], 0
	v_mov_b64_e32 v[52:53], 0
	s_mov_b32 s3, exec_lo
	v_and_b32_e32 v66, 0xff, v65
	s_delay_alu instid0(VALU_DEP_1)
	v_cmpx_ne_u16_e32 0, v66
	s_cbranch_execz .LBB200_1362
; %bb.1355:                             ;   in Loop: Header=BB200_1066 Depth=1
	v_mov_b64_e32 v[52:53], 0x80000000
	s_mov_b32 s8, exec_lo
	v_cmpx_ne_u16_e32 0x80, v66
	s_cbranch_execz .LBB200_1361
; %bb.1356:                             ;   in Loop: Header=BB200_1066 Depth=1
	v_mov_b64_e32 v[52:53], 0x7f800001
	v_bfe_u32 v66, v64, 16, 7
	s_mov_b32 s9, exec_lo
	s_delay_alu instid0(VALU_DEP_1)
	v_cmpx_ne_u32_e32 0x7f, v66
	s_cbranch_execz .LBB200_1360
; %bb.1357:                             ;   in Loop: Header=BB200_1066 Depth=1
	v_dual_lshrrev_b32 v52, 3, v66 :: v_dual_bitop2_b32 v74, 7, v65 bitop3:0x40
	s_mov_b32 s16, exec_lo
	v_cmpx_gt_u32_e32 8, v66
; %bb.1358:                             ;   in Loop: Header=BB200_1066 Depth=1
	s_delay_alu instid0(VALU_DEP_2) | instskip(NEXT) | instid1(VALU_DEP_1)
	v_clz_i32_u32_e32 v0, v74
	v_min_u32_e32 v0, 32, v0
	s_delay_alu instid0(VALU_DEP_1) | instskip(NEXT) | instid1(VALU_DEP_1)
	v_subrev_nc_u32_e32 v52, 28, v0
	v_lshlrev_b64_e32 v[66:67], v52, v[74:75]
	s_delay_alu instid0(VALU_DEP_1)
	v_dual_sub_nc_u32 v52, 29, v0 :: v_dual_bitop2_b32 v74, 7, v66 bitop3:0x40
; %bb.1359:                             ;   in Loop: Header=BB200_1066 Depth=1
	s_or_b32 exec_lo, exec_lo, s16
	s_delay_alu instid0(VALU_DEP_1) | instskip(NEXT) | instid1(VALU_DEP_2)
	v_dual_lshlrev_b32 v0, 24, v65 :: v_dual_lshlrev_b32 v53, 20, v74
	v_lshl_add_u32 v52, v52, 23, 0x3c000000
	s_delay_alu instid0(VALU_DEP_2) | instskip(NEXT) | instid1(VALU_DEP_1)
	v_and_b32_e32 v0, 0x80000000, v0
	v_or3_b32 v74, v53, v0, v52
	s_delay_alu instid0(VALU_DEP_1)
	v_mov_b64_e32 v[52:53], v[74:75]
.LBB200_1360:                           ;   in Loop: Header=BB200_1066 Depth=1
	s_or_b32 exec_lo, exec_lo, s9
.LBB200_1361:                           ;   in Loop: Header=BB200_1066 Depth=1
	s_delay_alu instid0(SALU_CYCLE_1)
	s_or_b32 exec_lo, exec_lo, s8
.LBB200_1362:                           ;   in Loop: Header=BB200_1066 Depth=1
	s_delay_alu instid0(SALU_CYCLE_1) | instskip(NEXT) | instid1(SALU_CYCLE_1)
	s_or_b32 exec_lo, exec_lo, s3
	s_mov_b32 s3, exec_lo
	v_cmpx_lt_u32_e32 0xffffff, v64
	s_cbranch_execz .LBB200_1370
; %bb.1363:                             ;   in Loop: Header=BB200_1066 Depth=1
	v_mov_b64_e32 v[54:55], 0x8000000000000000
	v_lshrrev_b32_e32 v65, 24, v64
	s_mov_b32 s8, exec_lo
	s_delay_alu instid0(VALU_DEP_1)
	v_cmpx_ne_u32_e32 0x80, v65
	s_cbranch_execz .LBB200_1369
; %bb.1364:                             ;   in Loop: Header=BB200_1066 Depth=1
	v_mov_b64_e32 v[54:55], 0x7f80000100000000
	v_bfe_u32 v64, v64, 24, 7
	s_mov_b32 s9, exec_lo
	s_delay_alu instid0(VALU_DEP_1)
	v_cmpx_ne_u32_e32 0x7f, v64
	s_cbranch_execz .LBB200_1368
; %bb.1365:                             ;   in Loop: Header=BB200_1066 Depth=1
	v_dual_lshrrev_b32 v54, 3, v64 :: v_dual_bitop2_b32 v74, 7, v65 bitop3:0x40
	s_mov_b32 s16, exec_lo
	v_cmpx_gt_u32_e32 8, v64
; %bb.1366:                             ;   in Loop: Header=BB200_1066 Depth=1
	s_delay_alu instid0(VALU_DEP_2) | instskip(NEXT) | instid1(VALU_DEP_1)
	v_clz_i32_u32_e32 v0, v74
	v_min_u32_e32 v0, 32, v0
	s_delay_alu instid0(VALU_DEP_1) | instskip(NEXT) | instid1(VALU_DEP_1)
	v_subrev_nc_u32_e32 v54, 28, v0
	v_lshlrev_b64_e32 v[66:67], v54, v[74:75]
	s_delay_alu instid0(VALU_DEP_1)
	v_dual_sub_nc_u32 v54, 29, v0 :: v_dual_bitop2_b32 v74, 7, v66 bitop3:0x40
; %bb.1367:                             ;   in Loop: Header=BB200_1066 Depth=1
	s_or_b32 exec_lo, exec_lo, s16
	s_delay_alu instid0(VALU_DEP_1) | instskip(NEXT) | instid1(VALU_DEP_2)
	v_dual_lshlrev_b32 v0, 24, v65 :: v_dual_lshlrev_b32 v55, 20, v74
	v_lshl_add_u32 v54, v54, 23, 0x3c000000
	s_delay_alu instid0(VALU_DEP_2) | instskip(NEXT) | instid1(VALU_DEP_1)
	v_and_b32_e32 v0, 0x80000000, v0
	v_or3_b32 v55, v55, v0, v54
	v_mov_b32_e32 v54, v75
.LBB200_1368:                           ;   in Loop: Header=BB200_1066 Depth=1
	s_or_b32 exec_lo, exec_lo, s9
.LBB200_1369:                           ;   in Loop: Header=BB200_1066 Depth=1
	s_delay_alu instid0(SALU_CYCLE_1)
	s_or_b32 exec_lo, exec_lo, s8
.LBB200_1370:                           ;   in Loop: Header=BB200_1066 Depth=1
	s_delay_alu instid0(SALU_CYCLE_1) | instskip(SKIP_4) | instid1(VALU_DEP_3)
	s_or_b32 exec_lo, exec_lo, s3
	v_or_b32_e32 v49, v49, v51
	v_or_b32_e32 v48, v48, v50
	;; [unrolled: 1-line block ×4, first 2 shown]
	v_pk_mul_f32 v[48:49], v[38:39], v[48:49]
	scratch_store_b64 off, v[48:49], s32 offset:340 ; 8-byte Folded Spill
	s_wait_xcnt 0x0
	v_pk_mul_f32 v[48:49], v[38:39], v[50:51]
	scratch_store_b64 off, v[48:49], s32 offset:332 ; 8-byte Folded Spill
	s_wait_xcnt 0x0
	s_and_saveexec_b32 s3, vcc_lo
	s_cbranch_execz .LBB200_1372
; %bb.1371:                             ;   in Loop: Header=BB200_1066 Depth=1
	scratch_load_b64 v[48:49], off, s32 offset:192 ; 8-byte Folded Reload
	s_wait_loadcnt 0x0
	v_mov_b32_e32 v0, v48
	scratch_load_b64 v[48:49], off, s32 offset:340 th:TH_LOAD_LU ; 8-byte Folded Reload
	v_cmp_lt_i32_e64 s0, v1, v0
	s_wait_loadcnt 0x0
	s_delay_alu instid0(VALU_DEP_1) | instskip(SKIP_1) | instid1(VALU_DEP_1)
	v_cndmask_b32_e64 v48, 0, v48, s0
	v_cmp_lt_i32_e64 s0, v77, v0
	v_cndmask_b32_e64 v49, 0, v49, s0
	v_cmp_lt_i32_e64 s0, v73, v0
	s_clause 0x1
	scratch_store_b64 off, v[48:49], s32 offset:340
	scratch_load_b64 v[48:49], off, s32 offset:332 th:TH_LOAD_LU
	s_wait_loadcnt 0x0
	v_cndmask_b32_e64 v48, 0, v48, s0
	v_cmp_lt_i32_e64 s0, v72, v0
	s_delay_alu instid0(VALU_DEP_1)
	v_cndmask_b32_e64 v49, 0, v49, s0
	scratch_store_b64 off, v[48:49], s32 offset:332 ; 8-byte Folded Spill
.LBB200_1372:                           ;   in Loop: Header=BB200_1066 Depth=1
	s_wait_xcnt 0x0
	s_or_b32 exec_lo, exec_lo, s3
	flat_load_b32 v64, v[96:97] offset:1152
	v_mov_b64_e32 v[48:49], 0
	v_mov_b64_e32 v[50:51], 0
	s_mov_b32 s3, exec_lo
	s_wait_loadcnt_dscnt 0x0
	v_and_b32_e32 v52, 0xff, v64
	s_wait_xcnt 0x0
	s_delay_alu instid0(VALU_DEP_1)
	v_cmpx_ne_u16_e32 0, v52
	s_cbranch_execz .LBB200_1380
; %bb.1373:                             ;   in Loop: Header=BB200_1066 Depth=1
	v_mov_b64_e32 v[50:51], 0x80000000
	s_mov_b32 s8, exec_lo
	v_cmpx_ne_u16_e32 0x80, v52
	s_cbranch_execz .LBB200_1379
; %bb.1374:                             ;   in Loop: Header=BB200_1066 Depth=1
	v_mov_b64_e32 v[50:51], 0x7f800001
	v_and_b32_e32 v52, 0x7f, v64
	s_mov_b32 s9, exec_lo
	s_delay_alu instid0(VALU_DEP_1)
	v_cmpx_ne_u32_e32 0x7f, v52
	s_cbranch_execz .LBB200_1378
; %bb.1375:                             ;   in Loop: Header=BB200_1066 Depth=1
	v_and_b32_e32 v74, 7, v64
	v_lshrrev_b32_e32 v50, 3, v52
	s_mov_b32 s16, exec_lo
	v_cmpx_gt_u32_e32 8, v52
; %bb.1376:                             ;   in Loop: Header=BB200_1066 Depth=1
	s_delay_alu instid0(VALU_DEP_3) | instskip(NEXT) | instid1(VALU_DEP_1)
	v_clz_i32_u32_e32 v0, v74
	v_min_u32_e32 v0, 32, v0
	s_delay_alu instid0(VALU_DEP_1) | instskip(NEXT) | instid1(VALU_DEP_1)
	v_subrev_nc_u32_e32 v50, 28, v0
	v_lshlrev_b64_e32 v[52:53], v50, v[74:75]
	v_sub_nc_u32_e32 v50, 29, v0
	s_delay_alu instid0(VALU_DEP_2)
	v_and_b32_e32 v74, 7, v52
; %bb.1377:                             ;   in Loop: Header=BB200_1066 Depth=1
	s_or_b32 exec_lo, exec_lo, s16
	s_delay_alu instid0(VALU_DEP_1) | instskip(NEXT) | instid1(VALU_DEP_3)
	v_dual_lshlrev_b32 v0, 24, v64 :: v_dual_lshlrev_b32 v51, 20, v74
	v_lshl_add_u32 v50, v50, 23, 0x3c000000
	s_delay_alu instid0(VALU_DEP_2) | instskip(NEXT) | instid1(VALU_DEP_1)
	v_and_b32_e32 v0, 0x80000000, v0
	v_or3_b32 v74, v51, v0, v50
	s_delay_alu instid0(VALU_DEP_1)
	v_mov_b64_e32 v[50:51], v[74:75]
.LBB200_1378:                           ;   in Loop: Header=BB200_1066 Depth=1
	s_or_b32 exec_lo, exec_lo, s9
.LBB200_1379:                           ;   in Loop: Header=BB200_1066 Depth=1
	s_delay_alu instid0(SALU_CYCLE_1)
	s_or_b32 exec_lo, exec_lo, s8
.LBB200_1380:                           ;   in Loop: Header=BB200_1066 Depth=1
	s_delay_alu instid0(SALU_CYCLE_1) | instskip(SKIP_2) | instid1(VALU_DEP_1)
	s_or_b32 exec_lo, exec_lo, s3
	v_lshrrev_b16 v52, 8, v64
	s_mov_b32 s3, exec_lo
	v_cmpx_ne_u16_e32 0, v52
	s_cbranch_execz .LBB200_1388
; %bb.1381:                             ;   in Loop: Header=BB200_1066 Depth=1
	v_mov_b64_e32 v[48:49], 0x8000000000000000
	s_mov_b32 s8, exec_lo
	v_cmpx_ne_u16_e32 0x80, v52
	s_cbranch_execz .LBB200_1387
; %bb.1382:                             ;   in Loop: Header=BB200_1066 Depth=1
	v_and_b32_e32 v53, 0xffff, v52
	v_mov_b64_e32 v[48:49], 0x7f80000100000000
	s_mov_b32 s9, exec_lo
	s_delay_alu instid0(VALU_DEP_2) | instskip(NEXT) | instid1(VALU_DEP_1)
	v_and_b32_e32 v52, 0x7f, v53
	v_cmpx_ne_u32_e32 0x7f, v52
	s_cbranch_execz .LBB200_1386
; %bb.1383:                             ;   in Loop: Header=BB200_1066 Depth=1
	v_dual_lshrrev_b32 v48, 3, v52 :: v_dual_bitop2_b32 v74, 7, v53 bitop3:0x40
	s_mov_b32 s16, exec_lo
	v_cmpx_gt_u32_e32 8, v52
; %bb.1384:                             ;   in Loop: Header=BB200_1066 Depth=1
	s_delay_alu instid0(VALU_DEP_2) | instskip(NEXT) | instid1(VALU_DEP_1)
	v_clz_i32_u32_e32 v0, v74
	v_min_u32_e32 v0, 32, v0
	s_delay_alu instid0(VALU_DEP_1) | instskip(NEXT) | instid1(VALU_DEP_1)
	v_subrev_nc_u32_e32 v48, 28, v0
	v_lshlrev_b64_e32 v[52:53], v48, v[74:75]
	v_sub_nc_u32_e32 v48, 29, v0
	s_delay_alu instid0(VALU_DEP_2)
	v_and_b32_e32 v74, 7, v52
; %bb.1385:                             ;   in Loop: Header=BB200_1066 Depth=1
	s_or_b32 exec_lo, exec_lo, s16
	s_delay_alu instid0(VALU_DEP_1) | instskip(NEXT) | instid1(VALU_DEP_3)
	v_dual_lshlrev_b32 v0, 16, v64 :: v_dual_lshlrev_b32 v49, 20, v74
	v_lshl_add_u32 v48, v48, 23, 0x3c000000
	s_delay_alu instid0(VALU_DEP_2) | instskip(NEXT) | instid1(VALU_DEP_1)
	v_and_b32_e32 v0, 0x80000000, v0
	v_or3_b32 v49, v49, v0, v48
	v_mov_b32_e32 v48, v75
.LBB200_1386:                           ;   in Loop: Header=BB200_1066 Depth=1
	s_or_b32 exec_lo, exec_lo, s9
.LBB200_1387:                           ;   in Loop: Header=BB200_1066 Depth=1
	s_delay_alu instid0(SALU_CYCLE_1)
	s_or_b32 exec_lo, exec_lo, s8
.LBB200_1388:                           ;   in Loop: Header=BB200_1066 Depth=1
	s_delay_alu instid0(SALU_CYCLE_1) | instskip(SKIP_4) | instid1(VALU_DEP_3)
	s_or_b32 exec_lo, exec_lo, s3
	v_lshrrev_b32_e32 v65, 16, v64
	v_mov_b64_e32 v[54:55], 0
	v_mov_b64_e32 v[52:53], 0
	s_mov_b32 s3, exec_lo
	v_and_b32_e32 v66, 0xff, v65
	s_delay_alu instid0(VALU_DEP_1)
	v_cmpx_ne_u16_e32 0, v66
	s_cbranch_execz .LBB200_1396
; %bb.1389:                             ;   in Loop: Header=BB200_1066 Depth=1
	v_mov_b64_e32 v[52:53], 0x80000000
	s_mov_b32 s8, exec_lo
	v_cmpx_ne_u16_e32 0x80, v66
	s_cbranch_execz .LBB200_1395
; %bb.1390:                             ;   in Loop: Header=BB200_1066 Depth=1
	v_mov_b64_e32 v[52:53], 0x7f800001
	v_bfe_u32 v66, v64, 16, 7
	s_mov_b32 s9, exec_lo
	s_delay_alu instid0(VALU_DEP_1)
	v_cmpx_ne_u32_e32 0x7f, v66
	s_cbranch_execz .LBB200_1394
; %bb.1391:                             ;   in Loop: Header=BB200_1066 Depth=1
	v_dual_lshrrev_b32 v52, 3, v66 :: v_dual_bitop2_b32 v74, 7, v65 bitop3:0x40
	s_mov_b32 s16, exec_lo
	v_cmpx_gt_u32_e32 8, v66
; %bb.1392:                             ;   in Loop: Header=BB200_1066 Depth=1
	s_delay_alu instid0(VALU_DEP_2) | instskip(NEXT) | instid1(VALU_DEP_1)
	v_clz_i32_u32_e32 v0, v74
	v_min_u32_e32 v0, 32, v0
	s_delay_alu instid0(VALU_DEP_1) | instskip(NEXT) | instid1(VALU_DEP_1)
	v_subrev_nc_u32_e32 v52, 28, v0
	v_lshlrev_b64_e32 v[66:67], v52, v[74:75]
	s_delay_alu instid0(VALU_DEP_1)
	v_dual_sub_nc_u32 v52, 29, v0 :: v_dual_bitop2_b32 v74, 7, v66 bitop3:0x40
; %bb.1393:                             ;   in Loop: Header=BB200_1066 Depth=1
	s_or_b32 exec_lo, exec_lo, s16
	s_delay_alu instid0(VALU_DEP_1) | instskip(NEXT) | instid1(VALU_DEP_2)
	v_dual_lshlrev_b32 v0, 24, v65 :: v_dual_lshlrev_b32 v53, 20, v74
	v_lshl_add_u32 v52, v52, 23, 0x3c000000
	s_delay_alu instid0(VALU_DEP_2) | instskip(NEXT) | instid1(VALU_DEP_1)
	v_and_b32_e32 v0, 0x80000000, v0
	v_or3_b32 v74, v53, v0, v52
	s_delay_alu instid0(VALU_DEP_1)
	v_mov_b64_e32 v[52:53], v[74:75]
.LBB200_1394:                           ;   in Loop: Header=BB200_1066 Depth=1
	s_or_b32 exec_lo, exec_lo, s9
.LBB200_1395:                           ;   in Loop: Header=BB200_1066 Depth=1
	s_delay_alu instid0(SALU_CYCLE_1)
	s_or_b32 exec_lo, exec_lo, s8
.LBB200_1396:                           ;   in Loop: Header=BB200_1066 Depth=1
	s_delay_alu instid0(SALU_CYCLE_1) | instskip(NEXT) | instid1(SALU_CYCLE_1)
	s_or_b32 exec_lo, exec_lo, s3
	s_mov_b32 s3, exec_lo
	v_cmpx_lt_u32_e32 0xffffff, v64
	s_cbranch_execz .LBB200_1404
; %bb.1397:                             ;   in Loop: Header=BB200_1066 Depth=1
	v_mov_b64_e32 v[54:55], 0x8000000000000000
	v_lshrrev_b32_e32 v65, 24, v64
	s_mov_b32 s8, exec_lo
	s_delay_alu instid0(VALU_DEP_1)
	v_cmpx_ne_u32_e32 0x80, v65
	s_cbranch_execz .LBB200_1403
; %bb.1398:                             ;   in Loop: Header=BB200_1066 Depth=1
	v_mov_b64_e32 v[54:55], 0x7f80000100000000
	v_bfe_u32 v64, v64, 24, 7
	s_mov_b32 s9, exec_lo
	s_delay_alu instid0(VALU_DEP_1)
	v_cmpx_ne_u32_e32 0x7f, v64
	s_cbranch_execz .LBB200_1402
; %bb.1399:                             ;   in Loop: Header=BB200_1066 Depth=1
	v_dual_lshrrev_b32 v54, 3, v64 :: v_dual_bitop2_b32 v74, 7, v65 bitop3:0x40
	s_mov_b32 s16, exec_lo
	v_cmpx_gt_u32_e32 8, v64
; %bb.1400:                             ;   in Loop: Header=BB200_1066 Depth=1
	s_delay_alu instid0(VALU_DEP_2) | instskip(NEXT) | instid1(VALU_DEP_1)
	v_clz_i32_u32_e32 v0, v74
	v_min_u32_e32 v0, 32, v0
	s_delay_alu instid0(VALU_DEP_1) | instskip(NEXT) | instid1(VALU_DEP_1)
	v_subrev_nc_u32_e32 v54, 28, v0
	v_lshlrev_b64_e32 v[66:67], v54, v[74:75]
	s_delay_alu instid0(VALU_DEP_1)
	v_dual_sub_nc_u32 v54, 29, v0 :: v_dual_bitop2_b32 v74, 7, v66 bitop3:0x40
; %bb.1401:                             ;   in Loop: Header=BB200_1066 Depth=1
	s_or_b32 exec_lo, exec_lo, s16
	s_delay_alu instid0(VALU_DEP_1) | instskip(NEXT) | instid1(VALU_DEP_2)
	v_dual_lshlrev_b32 v0, 24, v65 :: v_dual_lshlrev_b32 v55, 20, v74
	v_lshl_add_u32 v54, v54, 23, 0x3c000000
	s_delay_alu instid0(VALU_DEP_2) | instskip(NEXT) | instid1(VALU_DEP_1)
	v_and_b32_e32 v0, 0x80000000, v0
	v_or3_b32 v55, v55, v0, v54
	v_mov_b32_e32 v54, v75
.LBB200_1402:                           ;   in Loop: Header=BB200_1066 Depth=1
	s_or_b32 exec_lo, exec_lo, s9
.LBB200_1403:                           ;   in Loop: Header=BB200_1066 Depth=1
	s_delay_alu instid0(SALU_CYCLE_1)
	s_or_b32 exec_lo, exec_lo, s8
.LBB200_1404:                           ;   in Loop: Header=BB200_1066 Depth=1
	s_delay_alu instid0(SALU_CYCLE_1) | instskip(SKIP_4) | instid1(VALU_DEP_3)
	s_or_b32 exec_lo, exec_lo, s3
	v_or_b32_e32 v49, v49, v51
	v_or_b32_e32 v48, v48, v50
	;; [unrolled: 1-line block ×4, first 2 shown]
	v_pk_mul_f32 v[48:49], v[38:39], v[48:49]
	scratch_store_b64 off, v[48:49], s32 offset:356 ; 8-byte Folded Spill
	s_wait_xcnt 0x0
	v_pk_mul_f32 v[48:49], v[38:39], v[50:51]
	scratch_store_b64 off, v[48:49], s32 offset:348 ; 8-byte Folded Spill
	s_wait_xcnt 0x0
	s_and_saveexec_b32 s3, vcc_lo
	s_cbranch_execz .LBB200_1406
; %bb.1405:                             ;   in Loop: Header=BB200_1066 Depth=1
	scratch_load_b64 v[48:49], off, s32 offset:192 ; 8-byte Folded Reload
	s_wait_loadcnt 0x0
	v_mov_b32_e32 v0, v48
	scratch_load_b64 v[48:49], off, s32 offset:356 th:TH_LOAD_LU ; 8-byte Folded Reload
	v_cmp_lt_i32_e64 s0, v1, v0
	s_wait_loadcnt 0x0
	s_delay_alu instid0(VALU_DEP_1) | instskip(SKIP_1) | instid1(VALU_DEP_1)
	v_cndmask_b32_e64 v48, 0, v48, s0
	v_cmp_lt_i32_e64 s0, v77, v0
	v_cndmask_b32_e64 v49, 0, v49, s0
	v_cmp_lt_i32_e64 s0, v73, v0
	s_clause 0x1
	scratch_store_b64 off, v[48:49], s32 offset:356
	scratch_load_b64 v[48:49], off, s32 offset:348 th:TH_LOAD_LU
	s_wait_loadcnt 0x0
	v_cndmask_b32_e64 v48, 0, v48, s0
	v_cmp_lt_i32_e64 s0, v72, v0
	s_delay_alu instid0(VALU_DEP_1)
	v_cndmask_b32_e64 v49, 0, v49, s0
	scratch_store_b64 off, v[48:49], s32 offset:348 ; 8-byte Folded Spill
.LBB200_1406:                           ;   in Loop: Header=BB200_1066 Depth=1
	s_wait_xcnt 0x0
	s_or_b32 exec_lo, exec_lo, s3
	flat_load_b32 v64, v[96:97] offset:1280
	v_mov_b64_e32 v[48:49], 0
	v_mov_b64_e32 v[50:51], 0
	s_mov_b32 s3, exec_lo
	s_wait_loadcnt_dscnt 0x0
	v_and_b32_e32 v52, 0xff, v64
	s_wait_xcnt 0x0
	s_delay_alu instid0(VALU_DEP_1)
	v_cmpx_ne_u16_e32 0, v52
	s_cbranch_execz .LBB200_1414
; %bb.1407:                             ;   in Loop: Header=BB200_1066 Depth=1
	v_mov_b64_e32 v[50:51], 0x80000000
	s_mov_b32 s8, exec_lo
	v_cmpx_ne_u16_e32 0x80, v52
	s_cbranch_execz .LBB200_1413
; %bb.1408:                             ;   in Loop: Header=BB200_1066 Depth=1
	v_mov_b64_e32 v[50:51], 0x7f800001
	v_and_b32_e32 v52, 0x7f, v64
	s_mov_b32 s9, exec_lo
	s_delay_alu instid0(VALU_DEP_1)
	v_cmpx_ne_u32_e32 0x7f, v52
	s_cbranch_execz .LBB200_1412
; %bb.1409:                             ;   in Loop: Header=BB200_1066 Depth=1
	v_and_b32_e32 v74, 7, v64
	v_lshrrev_b32_e32 v50, 3, v52
	s_mov_b32 s16, exec_lo
	v_cmpx_gt_u32_e32 8, v52
; %bb.1410:                             ;   in Loop: Header=BB200_1066 Depth=1
	s_delay_alu instid0(VALU_DEP_3) | instskip(NEXT) | instid1(VALU_DEP_1)
	v_clz_i32_u32_e32 v0, v74
	v_min_u32_e32 v0, 32, v0
	s_delay_alu instid0(VALU_DEP_1) | instskip(NEXT) | instid1(VALU_DEP_1)
	v_subrev_nc_u32_e32 v50, 28, v0
	v_lshlrev_b64_e32 v[52:53], v50, v[74:75]
	v_sub_nc_u32_e32 v50, 29, v0
	s_delay_alu instid0(VALU_DEP_2)
	v_and_b32_e32 v74, 7, v52
; %bb.1411:                             ;   in Loop: Header=BB200_1066 Depth=1
	s_or_b32 exec_lo, exec_lo, s16
	s_delay_alu instid0(VALU_DEP_1) | instskip(NEXT) | instid1(VALU_DEP_3)
	v_dual_lshlrev_b32 v0, 24, v64 :: v_dual_lshlrev_b32 v51, 20, v74
	v_lshl_add_u32 v50, v50, 23, 0x3c000000
	s_delay_alu instid0(VALU_DEP_2) | instskip(NEXT) | instid1(VALU_DEP_1)
	v_and_b32_e32 v0, 0x80000000, v0
	v_or3_b32 v74, v51, v0, v50
	s_delay_alu instid0(VALU_DEP_1)
	v_mov_b64_e32 v[50:51], v[74:75]
.LBB200_1412:                           ;   in Loop: Header=BB200_1066 Depth=1
	s_or_b32 exec_lo, exec_lo, s9
.LBB200_1413:                           ;   in Loop: Header=BB200_1066 Depth=1
	s_delay_alu instid0(SALU_CYCLE_1)
	s_or_b32 exec_lo, exec_lo, s8
.LBB200_1414:                           ;   in Loop: Header=BB200_1066 Depth=1
	s_delay_alu instid0(SALU_CYCLE_1) | instskip(SKIP_2) | instid1(VALU_DEP_1)
	s_or_b32 exec_lo, exec_lo, s3
	v_lshrrev_b16 v52, 8, v64
	s_mov_b32 s3, exec_lo
	v_cmpx_ne_u16_e32 0, v52
	s_cbranch_execz .LBB200_1422
; %bb.1415:                             ;   in Loop: Header=BB200_1066 Depth=1
	v_mov_b64_e32 v[48:49], 0x8000000000000000
	s_mov_b32 s8, exec_lo
	v_cmpx_ne_u16_e32 0x80, v52
	s_cbranch_execz .LBB200_1421
; %bb.1416:                             ;   in Loop: Header=BB200_1066 Depth=1
	v_and_b32_e32 v53, 0xffff, v52
	v_mov_b64_e32 v[48:49], 0x7f80000100000000
	s_mov_b32 s9, exec_lo
	s_delay_alu instid0(VALU_DEP_2) | instskip(NEXT) | instid1(VALU_DEP_1)
	v_and_b32_e32 v52, 0x7f, v53
	v_cmpx_ne_u32_e32 0x7f, v52
	s_cbranch_execz .LBB200_1420
; %bb.1417:                             ;   in Loop: Header=BB200_1066 Depth=1
	v_dual_lshrrev_b32 v48, 3, v52 :: v_dual_bitop2_b32 v74, 7, v53 bitop3:0x40
	s_mov_b32 s16, exec_lo
	v_cmpx_gt_u32_e32 8, v52
; %bb.1418:                             ;   in Loop: Header=BB200_1066 Depth=1
	s_delay_alu instid0(VALU_DEP_2) | instskip(NEXT) | instid1(VALU_DEP_1)
	v_clz_i32_u32_e32 v0, v74
	v_min_u32_e32 v0, 32, v0
	s_delay_alu instid0(VALU_DEP_1) | instskip(NEXT) | instid1(VALU_DEP_1)
	v_subrev_nc_u32_e32 v48, 28, v0
	v_lshlrev_b64_e32 v[52:53], v48, v[74:75]
	v_sub_nc_u32_e32 v48, 29, v0
	s_delay_alu instid0(VALU_DEP_2)
	v_and_b32_e32 v74, 7, v52
; %bb.1419:                             ;   in Loop: Header=BB200_1066 Depth=1
	s_or_b32 exec_lo, exec_lo, s16
	s_delay_alu instid0(VALU_DEP_1) | instskip(NEXT) | instid1(VALU_DEP_3)
	v_dual_lshlrev_b32 v0, 16, v64 :: v_dual_lshlrev_b32 v49, 20, v74
	v_lshl_add_u32 v48, v48, 23, 0x3c000000
	s_delay_alu instid0(VALU_DEP_2) | instskip(NEXT) | instid1(VALU_DEP_1)
	v_and_b32_e32 v0, 0x80000000, v0
	v_or3_b32 v49, v49, v0, v48
	v_mov_b32_e32 v48, v75
.LBB200_1420:                           ;   in Loop: Header=BB200_1066 Depth=1
	s_or_b32 exec_lo, exec_lo, s9
.LBB200_1421:                           ;   in Loop: Header=BB200_1066 Depth=1
	s_delay_alu instid0(SALU_CYCLE_1)
	s_or_b32 exec_lo, exec_lo, s8
.LBB200_1422:                           ;   in Loop: Header=BB200_1066 Depth=1
	s_delay_alu instid0(SALU_CYCLE_1) | instskip(SKIP_4) | instid1(VALU_DEP_3)
	s_or_b32 exec_lo, exec_lo, s3
	v_lshrrev_b32_e32 v65, 16, v64
	v_mov_b64_e32 v[54:55], 0
	v_mov_b64_e32 v[52:53], 0
	s_mov_b32 s3, exec_lo
	v_and_b32_e32 v66, 0xff, v65
	s_delay_alu instid0(VALU_DEP_1)
	v_cmpx_ne_u16_e32 0, v66
	s_cbranch_execz .LBB200_1430
; %bb.1423:                             ;   in Loop: Header=BB200_1066 Depth=1
	v_mov_b64_e32 v[52:53], 0x80000000
	s_mov_b32 s8, exec_lo
	v_cmpx_ne_u16_e32 0x80, v66
	s_cbranch_execz .LBB200_1429
; %bb.1424:                             ;   in Loop: Header=BB200_1066 Depth=1
	v_mov_b64_e32 v[52:53], 0x7f800001
	v_bfe_u32 v66, v64, 16, 7
	s_mov_b32 s9, exec_lo
	s_delay_alu instid0(VALU_DEP_1)
	v_cmpx_ne_u32_e32 0x7f, v66
	s_cbranch_execz .LBB200_1428
; %bb.1425:                             ;   in Loop: Header=BB200_1066 Depth=1
	v_dual_lshrrev_b32 v52, 3, v66 :: v_dual_bitop2_b32 v74, 7, v65 bitop3:0x40
	s_mov_b32 s16, exec_lo
	v_cmpx_gt_u32_e32 8, v66
; %bb.1426:                             ;   in Loop: Header=BB200_1066 Depth=1
	s_delay_alu instid0(VALU_DEP_2) | instskip(NEXT) | instid1(VALU_DEP_1)
	v_clz_i32_u32_e32 v0, v74
	v_min_u32_e32 v0, 32, v0
	s_delay_alu instid0(VALU_DEP_1) | instskip(NEXT) | instid1(VALU_DEP_1)
	v_subrev_nc_u32_e32 v52, 28, v0
	v_lshlrev_b64_e32 v[66:67], v52, v[74:75]
	s_delay_alu instid0(VALU_DEP_1)
	v_dual_sub_nc_u32 v52, 29, v0 :: v_dual_bitop2_b32 v74, 7, v66 bitop3:0x40
; %bb.1427:                             ;   in Loop: Header=BB200_1066 Depth=1
	s_or_b32 exec_lo, exec_lo, s16
	s_delay_alu instid0(VALU_DEP_1) | instskip(NEXT) | instid1(VALU_DEP_2)
	v_dual_lshlrev_b32 v0, 24, v65 :: v_dual_lshlrev_b32 v53, 20, v74
	v_lshl_add_u32 v52, v52, 23, 0x3c000000
	s_delay_alu instid0(VALU_DEP_2) | instskip(NEXT) | instid1(VALU_DEP_1)
	v_and_b32_e32 v0, 0x80000000, v0
	v_or3_b32 v74, v53, v0, v52
	s_delay_alu instid0(VALU_DEP_1)
	v_mov_b64_e32 v[52:53], v[74:75]
.LBB200_1428:                           ;   in Loop: Header=BB200_1066 Depth=1
	s_or_b32 exec_lo, exec_lo, s9
.LBB200_1429:                           ;   in Loop: Header=BB200_1066 Depth=1
	s_delay_alu instid0(SALU_CYCLE_1)
	s_or_b32 exec_lo, exec_lo, s8
.LBB200_1430:                           ;   in Loop: Header=BB200_1066 Depth=1
	s_delay_alu instid0(SALU_CYCLE_1) | instskip(NEXT) | instid1(SALU_CYCLE_1)
	s_or_b32 exec_lo, exec_lo, s3
	s_mov_b32 s3, exec_lo
	v_cmpx_lt_u32_e32 0xffffff, v64
	s_cbranch_execz .LBB200_1438
; %bb.1431:                             ;   in Loop: Header=BB200_1066 Depth=1
	v_mov_b64_e32 v[54:55], 0x8000000000000000
	v_lshrrev_b32_e32 v65, 24, v64
	s_mov_b32 s8, exec_lo
	s_delay_alu instid0(VALU_DEP_1)
	v_cmpx_ne_u32_e32 0x80, v65
	s_cbranch_execz .LBB200_1437
; %bb.1432:                             ;   in Loop: Header=BB200_1066 Depth=1
	v_mov_b64_e32 v[54:55], 0x7f80000100000000
	v_bfe_u32 v64, v64, 24, 7
	s_mov_b32 s9, exec_lo
	s_delay_alu instid0(VALU_DEP_1)
	v_cmpx_ne_u32_e32 0x7f, v64
	s_cbranch_execz .LBB200_1436
; %bb.1433:                             ;   in Loop: Header=BB200_1066 Depth=1
	v_dual_lshrrev_b32 v54, 3, v64 :: v_dual_bitop2_b32 v74, 7, v65 bitop3:0x40
	s_mov_b32 s16, exec_lo
	v_cmpx_gt_u32_e32 8, v64
; %bb.1434:                             ;   in Loop: Header=BB200_1066 Depth=1
	s_delay_alu instid0(VALU_DEP_2) | instskip(NEXT) | instid1(VALU_DEP_1)
	v_clz_i32_u32_e32 v0, v74
	v_min_u32_e32 v0, 32, v0
	s_delay_alu instid0(VALU_DEP_1) | instskip(NEXT) | instid1(VALU_DEP_1)
	v_subrev_nc_u32_e32 v54, 28, v0
	v_lshlrev_b64_e32 v[66:67], v54, v[74:75]
	s_delay_alu instid0(VALU_DEP_1)
	v_dual_sub_nc_u32 v54, 29, v0 :: v_dual_bitop2_b32 v74, 7, v66 bitop3:0x40
; %bb.1435:                             ;   in Loop: Header=BB200_1066 Depth=1
	s_or_b32 exec_lo, exec_lo, s16
	s_delay_alu instid0(VALU_DEP_1) | instskip(NEXT) | instid1(VALU_DEP_2)
	v_dual_lshlrev_b32 v0, 24, v65 :: v_dual_lshlrev_b32 v55, 20, v74
	v_lshl_add_u32 v54, v54, 23, 0x3c000000
	s_delay_alu instid0(VALU_DEP_2) | instskip(NEXT) | instid1(VALU_DEP_1)
	v_and_b32_e32 v0, 0x80000000, v0
	v_or3_b32 v55, v55, v0, v54
	v_mov_b32_e32 v54, v75
.LBB200_1436:                           ;   in Loop: Header=BB200_1066 Depth=1
	s_or_b32 exec_lo, exec_lo, s9
.LBB200_1437:                           ;   in Loop: Header=BB200_1066 Depth=1
	s_delay_alu instid0(SALU_CYCLE_1)
	s_or_b32 exec_lo, exec_lo, s8
.LBB200_1438:                           ;   in Loop: Header=BB200_1066 Depth=1
	s_delay_alu instid0(SALU_CYCLE_1) | instskip(SKIP_4) | instid1(VALU_DEP_3)
	s_or_b32 exec_lo, exec_lo, s3
	v_or_b32_e32 v49, v49, v51
	v_or_b32_e32 v48, v48, v50
	;; [unrolled: 1-line block ×4, first 2 shown]
	v_pk_mul_f32 v[48:49], v[38:39], v[48:49]
	scratch_store_b64 off, v[48:49], s32 offset:372 ; 8-byte Folded Spill
	s_wait_xcnt 0x0
	v_pk_mul_f32 v[48:49], v[38:39], v[50:51]
	scratch_store_b64 off, v[48:49], s32 offset:364 ; 8-byte Folded Spill
	s_wait_xcnt 0x0
	s_and_saveexec_b32 s3, vcc_lo
	s_cbranch_execz .LBB200_1440
; %bb.1439:                             ;   in Loop: Header=BB200_1066 Depth=1
	scratch_load_b64 v[48:49], off, s32 offset:192 ; 8-byte Folded Reload
	s_wait_loadcnt 0x0
	v_mov_b32_e32 v0, v48
	scratch_load_b64 v[48:49], off, s32 offset:372 th:TH_LOAD_LU ; 8-byte Folded Reload
	v_cmp_lt_i32_e64 s0, v1, v0
	s_wait_loadcnt 0x0
	s_delay_alu instid0(VALU_DEP_1) | instskip(SKIP_1) | instid1(VALU_DEP_1)
	v_cndmask_b32_e64 v48, 0, v48, s0
	v_cmp_lt_i32_e64 s0, v77, v0
	v_cndmask_b32_e64 v49, 0, v49, s0
	v_cmp_lt_i32_e64 s0, v73, v0
	s_clause 0x1
	scratch_store_b64 off, v[48:49], s32 offset:372
	scratch_load_b64 v[48:49], off, s32 offset:364 th:TH_LOAD_LU
	s_wait_loadcnt 0x0
	v_cndmask_b32_e64 v48, 0, v48, s0
	v_cmp_lt_i32_e64 s0, v72, v0
	s_delay_alu instid0(VALU_DEP_1)
	v_cndmask_b32_e64 v49, 0, v49, s0
	scratch_store_b64 off, v[48:49], s32 offset:364 ; 8-byte Folded Spill
.LBB200_1440:                           ;   in Loop: Header=BB200_1066 Depth=1
	s_wait_xcnt 0x0
	s_or_b32 exec_lo, exec_lo, s3
	flat_load_b32 v64, v[96:97] offset:1408
	v_mov_b64_e32 v[48:49], 0
	v_mov_b64_e32 v[50:51], 0
	s_mov_b32 s3, exec_lo
	s_wait_loadcnt_dscnt 0x0
	v_and_b32_e32 v52, 0xff, v64
	s_wait_xcnt 0x0
	s_delay_alu instid0(VALU_DEP_1)
	v_cmpx_ne_u16_e32 0, v52
	s_cbranch_execz .LBB200_1448
; %bb.1441:                             ;   in Loop: Header=BB200_1066 Depth=1
	v_mov_b64_e32 v[50:51], 0x80000000
	s_mov_b32 s8, exec_lo
	v_cmpx_ne_u16_e32 0x80, v52
	s_cbranch_execz .LBB200_1447
; %bb.1442:                             ;   in Loop: Header=BB200_1066 Depth=1
	v_mov_b64_e32 v[50:51], 0x7f800001
	v_and_b32_e32 v52, 0x7f, v64
	s_mov_b32 s9, exec_lo
	s_delay_alu instid0(VALU_DEP_1)
	v_cmpx_ne_u32_e32 0x7f, v52
	s_cbranch_execz .LBB200_1446
; %bb.1443:                             ;   in Loop: Header=BB200_1066 Depth=1
	v_and_b32_e32 v74, 7, v64
	v_lshrrev_b32_e32 v50, 3, v52
	s_mov_b32 s16, exec_lo
	v_cmpx_gt_u32_e32 8, v52
; %bb.1444:                             ;   in Loop: Header=BB200_1066 Depth=1
	s_delay_alu instid0(VALU_DEP_3) | instskip(NEXT) | instid1(VALU_DEP_1)
	v_clz_i32_u32_e32 v0, v74
	v_min_u32_e32 v0, 32, v0
	s_delay_alu instid0(VALU_DEP_1) | instskip(NEXT) | instid1(VALU_DEP_1)
	v_subrev_nc_u32_e32 v50, 28, v0
	v_lshlrev_b64_e32 v[52:53], v50, v[74:75]
	v_sub_nc_u32_e32 v50, 29, v0
	s_delay_alu instid0(VALU_DEP_2)
	v_and_b32_e32 v74, 7, v52
; %bb.1445:                             ;   in Loop: Header=BB200_1066 Depth=1
	s_or_b32 exec_lo, exec_lo, s16
	s_delay_alu instid0(VALU_DEP_1) | instskip(NEXT) | instid1(VALU_DEP_3)
	v_dual_lshlrev_b32 v0, 24, v64 :: v_dual_lshlrev_b32 v51, 20, v74
	v_lshl_add_u32 v50, v50, 23, 0x3c000000
	s_delay_alu instid0(VALU_DEP_2) | instskip(NEXT) | instid1(VALU_DEP_1)
	v_and_b32_e32 v0, 0x80000000, v0
	v_or3_b32 v74, v51, v0, v50
	s_delay_alu instid0(VALU_DEP_1)
	v_mov_b64_e32 v[50:51], v[74:75]
.LBB200_1446:                           ;   in Loop: Header=BB200_1066 Depth=1
	s_or_b32 exec_lo, exec_lo, s9
.LBB200_1447:                           ;   in Loop: Header=BB200_1066 Depth=1
	s_delay_alu instid0(SALU_CYCLE_1)
	s_or_b32 exec_lo, exec_lo, s8
.LBB200_1448:                           ;   in Loop: Header=BB200_1066 Depth=1
	s_delay_alu instid0(SALU_CYCLE_1) | instskip(SKIP_2) | instid1(VALU_DEP_1)
	s_or_b32 exec_lo, exec_lo, s3
	v_lshrrev_b16 v52, 8, v64
	s_mov_b32 s3, exec_lo
	v_cmpx_ne_u16_e32 0, v52
	s_cbranch_execz .LBB200_1456
; %bb.1449:                             ;   in Loop: Header=BB200_1066 Depth=1
	v_mov_b64_e32 v[48:49], 0x8000000000000000
	s_mov_b32 s8, exec_lo
	v_cmpx_ne_u16_e32 0x80, v52
	s_cbranch_execz .LBB200_1455
; %bb.1450:                             ;   in Loop: Header=BB200_1066 Depth=1
	v_and_b32_e32 v53, 0xffff, v52
	v_mov_b64_e32 v[48:49], 0x7f80000100000000
	s_mov_b32 s9, exec_lo
	s_delay_alu instid0(VALU_DEP_2) | instskip(NEXT) | instid1(VALU_DEP_1)
	v_and_b32_e32 v52, 0x7f, v53
	v_cmpx_ne_u32_e32 0x7f, v52
	s_cbranch_execz .LBB200_1454
; %bb.1451:                             ;   in Loop: Header=BB200_1066 Depth=1
	v_dual_lshrrev_b32 v48, 3, v52 :: v_dual_bitop2_b32 v74, 7, v53 bitop3:0x40
	s_mov_b32 s16, exec_lo
	v_cmpx_gt_u32_e32 8, v52
; %bb.1452:                             ;   in Loop: Header=BB200_1066 Depth=1
	s_delay_alu instid0(VALU_DEP_2) | instskip(NEXT) | instid1(VALU_DEP_1)
	v_clz_i32_u32_e32 v0, v74
	v_min_u32_e32 v0, 32, v0
	s_delay_alu instid0(VALU_DEP_1) | instskip(NEXT) | instid1(VALU_DEP_1)
	v_subrev_nc_u32_e32 v48, 28, v0
	v_lshlrev_b64_e32 v[52:53], v48, v[74:75]
	v_sub_nc_u32_e32 v48, 29, v0
	s_delay_alu instid0(VALU_DEP_2)
	v_and_b32_e32 v74, 7, v52
; %bb.1453:                             ;   in Loop: Header=BB200_1066 Depth=1
	s_or_b32 exec_lo, exec_lo, s16
	s_delay_alu instid0(VALU_DEP_1) | instskip(NEXT) | instid1(VALU_DEP_3)
	v_dual_lshlrev_b32 v0, 16, v64 :: v_dual_lshlrev_b32 v49, 20, v74
	v_lshl_add_u32 v48, v48, 23, 0x3c000000
	s_delay_alu instid0(VALU_DEP_2) | instskip(NEXT) | instid1(VALU_DEP_1)
	v_and_b32_e32 v0, 0x80000000, v0
	v_or3_b32 v49, v49, v0, v48
	v_mov_b32_e32 v48, v75
.LBB200_1454:                           ;   in Loop: Header=BB200_1066 Depth=1
	s_or_b32 exec_lo, exec_lo, s9
.LBB200_1455:                           ;   in Loop: Header=BB200_1066 Depth=1
	s_delay_alu instid0(SALU_CYCLE_1)
	s_or_b32 exec_lo, exec_lo, s8
.LBB200_1456:                           ;   in Loop: Header=BB200_1066 Depth=1
	s_delay_alu instid0(SALU_CYCLE_1) | instskip(SKIP_4) | instid1(VALU_DEP_3)
	s_or_b32 exec_lo, exec_lo, s3
	v_lshrrev_b32_e32 v65, 16, v64
	v_mov_b64_e32 v[54:55], 0
	v_mov_b64_e32 v[52:53], 0
	s_mov_b32 s3, exec_lo
	v_and_b32_e32 v66, 0xff, v65
	s_delay_alu instid0(VALU_DEP_1)
	v_cmpx_ne_u16_e32 0, v66
	s_cbranch_execz .LBB200_1464
; %bb.1457:                             ;   in Loop: Header=BB200_1066 Depth=1
	v_mov_b64_e32 v[52:53], 0x80000000
	s_mov_b32 s8, exec_lo
	v_cmpx_ne_u16_e32 0x80, v66
	s_cbranch_execz .LBB200_1463
; %bb.1458:                             ;   in Loop: Header=BB200_1066 Depth=1
	v_mov_b64_e32 v[52:53], 0x7f800001
	v_bfe_u32 v66, v64, 16, 7
	s_mov_b32 s9, exec_lo
	s_delay_alu instid0(VALU_DEP_1)
	v_cmpx_ne_u32_e32 0x7f, v66
	s_cbranch_execz .LBB200_1462
; %bb.1459:                             ;   in Loop: Header=BB200_1066 Depth=1
	v_dual_lshrrev_b32 v52, 3, v66 :: v_dual_bitop2_b32 v74, 7, v65 bitop3:0x40
	s_mov_b32 s16, exec_lo
	v_cmpx_gt_u32_e32 8, v66
; %bb.1460:                             ;   in Loop: Header=BB200_1066 Depth=1
	s_delay_alu instid0(VALU_DEP_2) | instskip(NEXT) | instid1(VALU_DEP_1)
	v_clz_i32_u32_e32 v0, v74
	v_min_u32_e32 v0, 32, v0
	s_delay_alu instid0(VALU_DEP_1) | instskip(NEXT) | instid1(VALU_DEP_1)
	v_subrev_nc_u32_e32 v52, 28, v0
	v_lshlrev_b64_e32 v[66:67], v52, v[74:75]
	s_delay_alu instid0(VALU_DEP_1)
	v_dual_sub_nc_u32 v52, 29, v0 :: v_dual_bitop2_b32 v74, 7, v66 bitop3:0x40
; %bb.1461:                             ;   in Loop: Header=BB200_1066 Depth=1
	s_or_b32 exec_lo, exec_lo, s16
	s_delay_alu instid0(VALU_DEP_1) | instskip(NEXT) | instid1(VALU_DEP_2)
	v_dual_lshlrev_b32 v0, 24, v65 :: v_dual_lshlrev_b32 v53, 20, v74
	v_lshl_add_u32 v52, v52, 23, 0x3c000000
	s_delay_alu instid0(VALU_DEP_2) | instskip(NEXT) | instid1(VALU_DEP_1)
	v_and_b32_e32 v0, 0x80000000, v0
	v_or3_b32 v74, v53, v0, v52
	s_delay_alu instid0(VALU_DEP_1)
	v_mov_b64_e32 v[52:53], v[74:75]
.LBB200_1462:                           ;   in Loop: Header=BB200_1066 Depth=1
	s_or_b32 exec_lo, exec_lo, s9
.LBB200_1463:                           ;   in Loop: Header=BB200_1066 Depth=1
	s_delay_alu instid0(SALU_CYCLE_1)
	s_or_b32 exec_lo, exec_lo, s8
.LBB200_1464:                           ;   in Loop: Header=BB200_1066 Depth=1
	s_delay_alu instid0(SALU_CYCLE_1) | instskip(NEXT) | instid1(SALU_CYCLE_1)
	s_or_b32 exec_lo, exec_lo, s3
	s_mov_b32 s3, exec_lo
	v_cmpx_lt_u32_e32 0xffffff, v64
	s_cbranch_execz .LBB200_1472
; %bb.1465:                             ;   in Loop: Header=BB200_1066 Depth=1
	v_mov_b64_e32 v[54:55], 0x8000000000000000
	v_lshrrev_b32_e32 v65, 24, v64
	s_mov_b32 s8, exec_lo
	s_delay_alu instid0(VALU_DEP_1)
	v_cmpx_ne_u32_e32 0x80, v65
	s_cbranch_execz .LBB200_1471
; %bb.1466:                             ;   in Loop: Header=BB200_1066 Depth=1
	v_mov_b64_e32 v[54:55], 0x7f80000100000000
	v_bfe_u32 v64, v64, 24, 7
	s_mov_b32 s9, exec_lo
	s_delay_alu instid0(VALU_DEP_1)
	v_cmpx_ne_u32_e32 0x7f, v64
	s_cbranch_execz .LBB200_1470
; %bb.1467:                             ;   in Loop: Header=BB200_1066 Depth=1
	v_dual_lshrrev_b32 v54, 3, v64 :: v_dual_bitop2_b32 v74, 7, v65 bitop3:0x40
	s_mov_b32 s16, exec_lo
	v_cmpx_gt_u32_e32 8, v64
; %bb.1468:                             ;   in Loop: Header=BB200_1066 Depth=1
	s_delay_alu instid0(VALU_DEP_2) | instskip(NEXT) | instid1(VALU_DEP_1)
	v_clz_i32_u32_e32 v0, v74
	v_min_u32_e32 v0, 32, v0
	s_delay_alu instid0(VALU_DEP_1) | instskip(NEXT) | instid1(VALU_DEP_1)
	v_subrev_nc_u32_e32 v54, 28, v0
	v_lshlrev_b64_e32 v[66:67], v54, v[74:75]
	s_delay_alu instid0(VALU_DEP_1)
	v_dual_sub_nc_u32 v54, 29, v0 :: v_dual_bitop2_b32 v74, 7, v66 bitop3:0x40
; %bb.1469:                             ;   in Loop: Header=BB200_1066 Depth=1
	s_or_b32 exec_lo, exec_lo, s16
	s_delay_alu instid0(VALU_DEP_1) | instskip(NEXT) | instid1(VALU_DEP_2)
	v_dual_lshlrev_b32 v0, 24, v65 :: v_dual_lshlrev_b32 v55, 20, v74
	v_lshl_add_u32 v54, v54, 23, 0x3c000000
	s_delay_alu instid0(VALU_DEP_2) | instskip(NEXT) | instid1(VALU_DEP_1)
	v_and_b32_e32 v0, 0x80000000, v0
	v_or3_b32 v55, v55, v0, v54
	v_mov_b32_e32 v54, v75
.LBB200_1470:                           ;   in Loop: Header=BB200_1066 Depth=1
	s_or_b32 exec_lo, exec_lo, s9
.LBB200_1471:                           ;   in Loop: Header=BB200_1066 Depth=1
	s_delay_alu instid0(SALU_CYCLE_1)
	s_or_b32 exec_lo, exec_lo, s8
.LBB200_1472:                           ;   in Loop: Header=BB200_1066 Depth=1
	s_delay_alu instid0(SALU_CYCLE_1) | instskip(SKIP_4) | instid1(VALU_DEP_3)
	s_or_b32 exec_lo, exec_lo, s3
	v_or_b32_e32 v49, v49, v51
	v_or_b32_e32 v48, v48, v50
	;; [unrolled: 1-line block ×4, first 2 shown]
	v_pk_mul_f32 v[48:49], v[38:39], v[48:49]
	scratch_store_b64 off, v[48:49], s32 offset:388 ; 8-byte Folded Spill
	s_wait_xcnt 0x0
	v_pk_mul_f32 v[48:49], v[38:39], v[50:51]
	scratch_store_b64 off, v[48:49], s32 offset:380 ; 8-byte Folded Spill
	s_wait_xcnt 0x0
	s_and_saveexec_b32 s3, vcc_lo
	s_cbranch_execz .LBB200_1474
; %bb.1473:                             ;   in Loop: Header=BB200_1066 Depth=1
	scratch_load_b64 v[48:49], off, s32 offset:192 ; 8-byte Folded Reload
	s_wait_loadcnt 0x0
	v_mov_b32_e32 v0, v48
	scratch_load_b64 v[48:49], off, s32 offset:388 th:TH_LOAD_LU ; 8-byte Folded Reload
	v_cmp_lt_i32_e64 s0, v1, v0
	s_wait_loadcnt 0x0
	s_delay_alu instid0(VALU_DEP_1) | instskip(SKIP_1) | instid1(VALU_DEP_1)
	v_cndmask_b32_e64 v48, 0, v48, s0
	v_cmp_lt_i32_e64 s0, v77, v0
	v_cndmask_b32_e64 v49, 0, v49, s0
	v_cmp_lt_i32_e64 s0, v73, v0
	s_clause 0x1
	scratch_store_b64 off, v[48:49], s32 offset:388
	scratch_load_b64 v[48:49], off, s32 offset:380 th:TH_LOAD_LU
	s_wait_loadcnt 0x0
	v_cndmask_b32_e64 v48, 0, v48, s0
	v_cmp_lt_i32_e64 s0, v72, v0
	s_delay_alu instid0(VALU_DEP_1)
	v_cndmask_b32_e64 v49, 0, v49, s0
	scratch_store_b64 off, v[48:49], s32 offset:380 ; 8-byte Folded Spill
.LBB200_1474:                           ;   in Loop: Header=BB200_1066 Depth=1
	s_wait_xcnt 0x0
	s_or_b32 exec_lo, exec_lo, s3
	flat_load_b32 v52, v[96:97] offset:1536
	v_mov_b64_e32 v[48:49], 0
	v_mov_b64_e32 v[50:51], 0
	s_mov_b32 s3, exec_lo
	s_wait_loadcnt_dscnt 0x0
	v_and_b32_e32 v53, 0xff, v52
	s_wait_xcnt 0x0
	s_delay_alu instid0(VALU_DEP_1)
	v_cmpx_ne_u16_e32 0, v53
	s_cbranch_execz .LBB200_1482
; %bb.1475:                             ;   in Loop: Header=BB200_1066 Depth=1
	v_mov_b64_e32 v[50:51], 0x80000000
	s_mov_b32 s8, exec_lo
	v_cmpx_ne_u16_e32 0x80, v53
	s_cbranch_execz .LBB200_1481
; %bb.1476:                             ;   in Loop: Header=BB200_1066 Depth=1
	v_mov_b64_e32 v[50:51], 0x7f800001
	v_and_b32_e32 v53, 0x7f, v52
	s_mov_b32 s9, exec_lo
	s_delay_alu instid0(VALU_DEP_1)
	v_cmpx_ne_u32_e32 0x7f, v53
	s_cbranch_execz .LBB200_1480
; %bb.1477:                             ;   in Loop: Header=BB200_1066 Depth=1
	v_dual_lshrrev_b32 v50, 3, v53 :: v_dual_bitop2_b32 v74, 7, v52 bitop3:0x40
	s_mov_b32 s16, exec_lo
	v_cmpx_gt_u32_e32 8, v53
; %bb.1478:                             ;   in Loop: Header=BB200_1066 Depth=1
	s_delay_alu instid0(VALU_DEP_2) | instskip(NEXT) | instid1(VALU_DEP_1)
	v_clz_i32_u32_e32 v0, v74
	v_min_u32_e32 v0, 32, v0
	s_delay_alu instid0(VALU_DEP_1) | instskip(NEXT) | instid1(VALU_DEP_1)
	v_subrev_nc_u32_e32 v50, 28, v0
	v_lshlrev_b64_e32 v[54:55], v50, v[74:75]
	s_delay_alu instid0(VALU_DEP_1)
	v_dual_sub_nc_u32 v50, 29, v0 :: v_dual_bitop2_b32 v74, 7, v54 bitop3:0x40
; %bb.1479:                             ;   in Loop: Header=BB200_1066 Depth=1
	s_or_b32 exec_lo, exec_lo, s16
	s_delay_alu instid0(VALU_DEP_1) | instskip(NEXT) | instid1(VALU_DEP_2)
	v_dual_lshlrev_b32 v0, 24, v52 :: v_dual_lshlrev_b32 v51, 20, v74
	v_lshl_add_u32 v50, v50, 23, 0x3c000000
	s_delay_alu instid0(VALU_DEP_2) | instskip(NEXT) | instid1(VALU_DEP_1)
	v_and_b32_e32 v0, 0x80000000, v0
	v_or3_b32 v74, v51, v0, v50
	s_delay_alu instid0(VALU_DEP_1)
	v_mov_b64_e32 v[50:51], v[74:75]
.LBB200_1480:                           ;   in Loop: Header=BB200_1066 Depth=1
	s_or_b32 exec_lo, exec_lo, s9
.LBB200_1481:                           ;   in Loop: Header=BB200_1066 Depth=1
	s_delay_alu instid0(SALU_CYCLE_1)
	s_or_b32 exec_lo, exec_lo, s8
.LBB200_1482:                           ;   in Loop: Header=BB200_1066 Depth=1
	s_delay_alu instid0(SALU_CYCLE_1) | instskip(SKIP_2) | instid1(VALU_DEP_1)
	s_or_b32 exec_lo, exec_lo, s3
	v_lshrrev_b16 v53, 8, v52
	s_mov_b32 s3, exec_lo
	v_cmpx_ne_u16_e32 0, v53
	s_cbranch_execz .LBB200_1490
; %bb.1483:                             ;   in Loop: Header=BB200_1066 Depth=1
	v_mov_b64_e32 v[48:49], 0x8000000000000000
	s_mov_b32 s8, exec_lo
	v_cmpx_ne_u16_e32 0x80, v53
	s_cbranch_execz .LBB200_1489
; %bb.1484:                             ;   in Loop: Header=BB200_1066 Depth=1
	v_and_b32_e32 v54, 0xffff, v53
	v_mov_b64_e32 v[48:49], 0x7f80000100000000
	s_mov_b32 s9, exec_lo
	s_delay_alu instid0(VALU_DEP_2) | instskip(NEXT) | instid1(VALU_DEP_1)
	v_and_b32_e32 v53, 0x7f, v54
	v_cmpx_ne_u32_e32 0x7f, v53
	s_cbranch_execz .LBB200_1488
; %bb.1485:                             ;   in Loop: Header=BB200_1066 Depth=1
	v_dual_lshrrev_b32 v48, 3, v53 :: v_dual_bitop2_b32 v74, 7, v54 bitop3:0x40
	s_mov_b32 s16, exec_lo
	v_cmpx_gt_u32_e32 8, v53
; %bb.1486:                             ;   in Loop: Header=BB200_1066 Depth=1
	s_delay_alu instid0(VALU_DEP_2) | instskip(NEXT) | instid1(VALU_DEP_1)
	v_clz_i32_u32_e32 v0, v74
	v_min_u32_e32 v0, 32, v0
	s_delay_alu instid0(VALU_DEP_1) | instskip(NEXT) | instid1(VALU_DEP_1)
	v_subrev_nc_u32_e32 v48, 28, v0
	v_lshlrev_b64_e32 v[54:55], v48, v[74:75]
	s_delay_alu instid0(VALU_DEP_1)
	v_dual_sub_nc_u32 v48, 29, v0 :: v_dual_bitop2_b32 v74, 7, v54 bitop3:0x40
; %bb.1487:                             ;   in Loop: Header=BB200_1066 Depth=1
	s_or_b32 exec_lo, exec_lo, s16
	s_delay_alu instid0(VALU_DEP_1) | instskip(NEXT) | instid1(VALU_DEP_2)
	v_dual_lshlrev_b32 v0, 16, v52 :: v_dual_lshlrev_b32 v49, 20, v74
	v_lshl_add_u32 v48, v48, 23, 0x3c000000
	s_delay_alu instid0(VALU_DEP_2) | instskip(NEXT) | instid1(VALU_DEP_1)
	v_and_b32_e32 v0, 0x80000000, v0
	v_or3_b32 v49, v49, v0, v48
	v_mov_b32_e32 v48, v75
.LBB200_1488:                           ;   in Loop: Header=BB200_1066 Depth=1
	s_or_b32 exec_lo, exec_lo, s9
.LBB200_1489:                           ;   in Loop: Header=BB200_1066 Depth=1
	s_delay_alu instid0(SALU_CYCLE_1)
	s_or_b32 exec_lo, exec_lo, s8
.LBB200_1490:                           ;   in Loop: Header=BB200_1066 Depth=1
	s_delay_alu instid0(SALU_CYCLE_1) | instskip(SKIP_4) | instid1(VALU_DEP_3)
	s_or_b32 exec_lo, exec_lo, s3
	v_lshrrev_b32_e32 v53, 16, v52
	v_mov_b64_e32 v[54:55], 0
	v_mov_b64_e32 v[64:65], 0
	s_mov_b32 s3, exec_lo
	v_and_b32_e32 v66, 0xff, v53
	s_delay_alu instid0(VALU_DEP_1)
	v_cmpx_ne_u16_e32 0, v66
	s_cbranch_execz .LBB200_1498
; %bb.1491:                             ;   in Loop: Header=BB200_1066 Depth=1
	v_mov_b64_e32 v[64:65], 0x80000000
	s_mov_b32 s8, exec_lo
	v_cmpx_ne_u16_e32 0x80, v66
	s_cbranch_execz .LBB200_1497
; %bb.1492:                             ;   in Loop: Header=BB200_1066 Depth=1
	v_mov_b64_e32 v[64:65], 0x7f800001
	v_bfe_u32 v66, v52, 16, 7
	s_mov_b32 s9, exec_lo
	s_delay_alu instid0(VALU_DEP_1)
	v_cmpx_ne_u32_e32 0x7f, v66
	s_cbranch_execz .LBB200_1496
; %bb.1493:                             ;   in Loop: Header=BB200_1066 Depth=1
	v_dual_lshrrev_b32 v64, 3, v66 :: v_dual_bitop2_b32 v74, 7, v53 bitop3:0x40
	s_mov_b32 s16, exec_lo
	v_cmpx_gt_u32_e32 8, v66
; %bb.1494:                             ;   in Loop: Header=BB200_1066 Depth=1
	s_delay_alu instid0(VALU_DEP_2) | instskip(NEXT) | instid1(VALU_DEP_1)
	v_clz_i32_u32_e32 v0, v74
	v_min_u32_e32 v0, 32, v0
	s_delay_alu instid0(VALU_DEP_1) | instskip(NEXT) | instid1(VALU_DEP_1)
	v_subrev_nc_u32_e32 v64, 28, v0
	v_lshlrev_b64_e32 v[66:67], v64, v[74:75]
	s_delay_alu instid0(VALU_DEP_1)
	v_dual_sub_nc_u32 v64, 29, v0 :: v_dual_bitop2_b32 v74, 7, v66 bitop3:0x40
; %bb.1495:                             ;   in Loop: Header=BB200_1066 Depth=1
	s_or_b32 exec_lo, exec_lo, s16
	s_delay_alu instid0(VALU_DEP_1) | instskip(NEXT) | instid1(VALU_DEP_2)
	v_dual_lshlrev_b32 v0, 24, v53 :: v_dual_lshlrev_b32 v53, 20, v74
	v_lshl_add_u32 v64, v64, 23, 0x3c000000
	s_delay_alu instid0(VALU_DEP_2) | instskip(NEXT) | instid1(VALU_DEP_1)
	v_and_b32_e32 v0, 0x80000000, v0
	v_or3_b32 v74, v53, v0, v64
	s_delay_alu instid0(VALU_DEP_1)
	v_mov_b64_e32 v[64:65], v[74:75]
.LBB200_1496:                           ;   in Loop: Header=BB200_1066 Depth=1
	s_or_b32 exec_lo, exec_lo, s9
.LBB200_1497:                           ;   in Loop: Header=BB200_1066 Depth=1
	s_delay_alu instid0(SALU_CYCLE_1)
	s_or_b32 exec_lo, exec_lo, s8
.LBB200_1498:                           ;   in Loop: Header=BB200_1066 Depth=1
	s_delay_alu instid0(SALU_CYCLE_1) | instskip(NEXT) | instid1(SALU_CYCLE_1)
	s_or_b32 exec_lo, exec_lo, s3
	s_mov_b32 s3, exec_lo
	v_cmpx_lt_u32_e32 0xffffff, v52
	s_cbranch_execz .LBB200_1506
; %bb.1499:                             ;   in Loop: Header=BB200_1066 Depth=1
	v_mov_b64_e32 v[54:55], 0x8000000000000000
	v_lshrrev_b32_e32 v53, 24, v52
	s_mov_b32 s8, exec_lo
	s_delay_alu instid0(VALU_DEP_1)
	v_cmpx_ne_u32_e32 0x80, v53
	s_cbranch_execz .LBB200_1505
; %bb.1500:                             ;   in Loop: Header=BB200_1066 Depth=1
	v_mov_b64_e32 v[54:55], 0x7f80000100000000
	v_bfe_u32 v66, v52, 24, 7
	s_mov_b32 s9, exec_lo
	s_delay_alu instid0(VALU_DEP_1)
	v_cmpx_ne_u32_e32 0x7f, v66
	s_cbranch_execz .LBB200_1504
; %bb.1501:                             ;   in Loop: Header=BB200_1066 Depth=1
	v_dual_lshrrev_b32 v52, 3, v66 :: v_dual_bitop2_b32 v74, 7, v53 bitop3:0x40
	s_mov_b32 s16, exec_lo
	v_cmpx_gt_u32_e32 8, v66
; %bb.1502:                             ;   in Loop: Header=BB200_1066 Depth=1
	s_delay_alu instid0(VALU_DEP_2) | instskip(NEXT) | instid1(VALU_DEP_1)
	v_clz_i32_u32_e32 v0, v74
	v_min_u32_e32 v0, 32, v0
	s_delay_alu instid0(VALU_DEP_1) | instskip(NEXT) | instid1(VALU_DEP_1)
	v_subrev_nc_u32_e32 v52, 28, v0
	v_lshlrev_b64_e32 v[54:55], v52, v[74:75]
	s_delay_alu instid0(VALU_DEP_1)
	v_dual_sub_nc_u32 v52, 29, v0 :: v_dual_bitop2_b32 v74, 7, v54 bitop3:0x40
; %bb.1503:                             ;   in Loop: Header=BB200_1066 Depth=1
	s_or_b32 exec_lo, exec_lo, s16
	s_delay_alu instid0(VALU_DEP_1) | instskip(NEXT) | instid1(VALU_DEP_2)
	v_dual_lshlrev_b32 v0, 24, v53 :: v_dual_lshlrev_b32 v53, 20, v74
	v_lshl_add_u32 v52, v52, 23, 0x3c000000
	v_mov_b32_e32 v54, v75
	s_delay_alu instid0(VALU_DEP_3) | instskip(NEXT) | instid1(VALU_DEP_1)
	v_and_b32_e32 v0, 0x80000000, v0
	v_or3_b32 v55, v53, v0, v52
.LBB200_1504:                           ;   in Loop: Header=BB200_1066 Depth=1
	s_or_b32 exec_lo, exec_lo, s9
.LBB200_1505:                           ;   in Loop: Header=BB200_1066 Depth=1
	s_delay_alu instid0(SALU_CYCLE_1)
	s_or_b32 exec_lo, exec_lo, s8
.LBB200_1506:                           ;   in Loop: Header=BB200_1066 Depth=1
	s_delay_alu instid0(SALU_CYCLE_1) | instskip(SKIP_4) | instid1(VALU_DEP_3)
	s_or_b32 exec_lo, exec_lo, s3
	v_or_b32_e32 v49, v49, v51
	v_or_b32_e32 v48, v48, v50
	;; [unrolled: 1-line block ×4, first 2 shown]
	v_pk_mul_f32 v[48:49], v[38:39], v[48:49]
	scratch_store_b64 off, v[48:49], s32 offset:404 ; 8-byte Folded Spill
	s_wait_xcnt 0x0
	v_pk_mul_f32 v[48:49], v[38:39], v[50:51]
	scratch_store_b64 off, v[48:49], s32 offset:396 ; 8-byte Folded Spill
	s_wait_xcnt 0x0
	s_and_saveexec_b32 s3, vcc_lo
	s_cbranch_execz .LBB200_1508
; %bb.1507:                             ;   in Loop: Header=BB200_1066 Depth=1
	scratch_load_b64 v[48:49], off, s32 offset:192 ; 8-byte Folded Reload
	s_wait_loadcnt 0x0
	v_mov_b32_e32 v0, v48
	scratch_load_b64 v[48:49], off, s32 offset:404 th:TH_LOAD_LU ; 8-byte Folded Reload
	v_cmp_lt_i32_e64 s0, v1, v0
	s_wait_loadcnt 0x0
	s_delay_alu instid0(VALU_DEP_1) | instskip(SKIP_1) | instid1(VALU_DEP_1)
	v_cndmask_b32_e64 v48, 0, v48, s0
	v_cmp_lt_i32_e64 s0, v77, v0
	v_cndmask_b32_e64 v49, 0, v49, s0
	v_cmp_lt_i32_e64 s0, v73, v0
	s_clause 0x1
	scratch_store_b64 off, v[48:49], s32 offset:404
	scratch_load_b64 v[48:49], off, s32 offset:396 th:TH_LOAD_LU
	s_wait_loadcnt 0x0
	v_cndmask_b32_e64 v48, 0, v48, s0
	v_cmp_lt_i32_e64 s0, v72, v0
	s_delay_alu instid0(VALU_DEP_1)
	v_cndmask_b32_e64 v49, 0, v49, s0
	scratch_store_b64 off, v[48:49], s32 offset:396 ; 8-byte Folded Spill
.LBB200_1508:                           ;   in Loop: Header=BB200_1066 Depth=1
	s_wait_xcnt 0x0
	s_or_b32 exec_lo, exec_lo, s3
	flat_load_b32 v52, v[96:97] offset:1664
	v_mov_b64_e32 v[48:49], 0
	v_mov_b64_e32 v[50:51], 0
	s_mov_b32 s3, exec_lo
	s_wait_loadcnt_dscnt 0x0
	v_and_b32_e32 v53, 0xff, v52
	s_wait_xcnt 0x0
	s_delay_alu instid0(VALU_DEP_1)
	v_cmpx_ne_u16_e32 0, v53
	s_cbranch_execz .LBB200_1516
; %bb.1509:                             ;   in Loop: Header=BB200_1066 Depth=1
	v_mov_b64_e32 v[50:51], 0x80000000
	s_mov_b32 s8, exec_lo
	v_cmpx_ne_u16_e32 0x80, v53
	s_cbranch_execz .LBB200_1515
; %bb.1510:                             ;   in Loop: Header=BB200_1066 Depth=1
	v_mov_b64_e32 v[50:51], 0x7f800001
	v_and_b32_e32 v53, 0x7f, v52
	s_mov_b32 s9, exec_lo
	s_delay_alu instid0(VALU_DEP_1)
	v_cmpx_ne_u32_e32 0x7f, v53
	s_cbranch_execz .LBB200_1514
; %bb.1511:                             ;   in Loop: Header=BB200_1066 Depth=1
	v_dual_lshrrev_b32 v50, 3, v53 :: v_dual_bitop2_b32 v74, 7, v52 bitop3:0x40
	s_mov_b32 s16, exec_lo
	v_cmpx_gt_u32_e32 8, v53
; %bb.1512:                             ;   in Loop: Header=BB200_1066 Depth=1
	s_delay_alu instid0(VALU_DEP_2) | instskip(NEXT) | instid1(VALU_DEP_1)
	v_clz_i32_u32_e32 v0, v74
	v_min_u32_e32 v0, 32, v0
	s_delay_alu instid0(VALU_DEP_1) | instskip(NEXT) | instid1(VALU_DEP_1)
	v_subrev_nc_u32_e32 v50, 28, v0
	v_lshlrev_b64_e32 v[54:55], v50, v[74:75]
	s_delay_alu instid0(VALU_DEP_1)
	v_dual_sub_nc_u32 v50, 29, v0 :: v_dual_bitop2_b32 v74, 7, v54 bitop3:0x40
; %bb.1513:                             ;   in Loop: Header=BB200_1066 Depth=1
	s_or_b32 exec_lo, exec_lo, s16
	s_delay_alu instid0(VALU_DEP_1) | instskip(NEXT) | instid1(VALU_DEP_2)
	v_dual_lshlrev_b32 v0, 24, v52 :: v_dual_lshlrev_b32 v51, 20, v74
	v_lshl_add_u32 v50, v50, 23, 0x3c000000
	s_delay_alu instid0(VALU_DEP_2) | instskip(NEXT) | instid1(VALU_DEP_1)
	v_and_b32_e32 v0, 0x80000000, v0
	v_or3_b32 v74, v51, v0, v50
	s_delay_alu instid0(VALU_DEP_1)
	v_mov_b64_e32 v[50:51], v[74:75]
.LBB200_1514:                           ;   in Loop: Header=BB200_1066 Depth=1
	s_or_b32 exec_lo, exec_lo, s9
.LBB200_1515:                           ;   in Loop: Header=BB200_1066 Depth=1
	s_delay_alu instid0(SALU_CYCLE_1)
	s_or_b32 exec_lo, exec_lo, s8
.LBB200_1516:                           ;   in Loop: Header=BB200_1066 Depth=1
	s_delay_alu instid0(SALU_CYCLE_1) | instskip(SKIP_2) | instid1(VALU_DEP_1)
	s_or_b32 exec_lo, exec_lo, s3
	v_lshrrev_b16 v53, 8, v52
	s_mov_b32 s3, exec_lo
	v_cmpx_ne_u16_e32 0, v53
	s_cbranch_execz .LBB200_1524
; %bb.1517:                             ;   in Loop: Header=BB200_1066 Depth=1
	v_mov_b64_e32 v[48:49], 0x8000000000000000
	s_mov_b32 s8, exec_lo
	v_cmpx_ne_u16_e32 0x80, v53
	s_cbranch_execz .LBB200_1523
; %bb.1518:                             ;   in Loop: Header=BB200_1066 Depth=1
	v_and_b32_e32 v54, 0xffff, v53
	v_mov_b64_e32 v[48:49], 0x7f80000100000000
	s_mov_b32 s9, exec_lo
	s_delay_alu instid0(VALU_DEP_2) | instskip(NEXT) | instid1(VALU_DEP_1)
	v_and_b32_e32 v53, 0x7f, v54
	v_cmpx_ne_u32_e32 0x7f, v53
	s_cbranch_execz .LBB200_1522
; %bb.1519:                             ;   in Loop: Header=BB200_1066 Depth=1
	v_dual_lshrrev_b32 v48, 3, v53 :: v_dual_bitop2_b32 v74, 7, v54 bitop3:0x40
	s_mov_b32 s16, exec_lo
	v_cmpx_gt_u32_e32 8, v53
; %bb.1520:                             ;   in Loop: Header=BB200_1066 Depth=1
	s_delay_alu instid0(VALU_DEP_2) | instskip(NEXT) | instid1(VALU_DEP_1)
	v_clz_i32_u32_e32 v0, v74
	v_min_u32_e32 v0, 32, v0
	s_delay_alu instid0(VALU_DEP_1) | instskip(NEXT) | instid1(VALU_DEP_1)
	v_subrev_nc_u32_e32 v48, 28, v0
	v_lshlrev_b64_e32 v[54:55], v48, v[74:75]
	s_delay_alu instid0(VALU_DEP_1)
	v_dual_sub_nc_u32 v48, 29, v0 :: v_dual_bitop2_b32 v74, 7, v54 bitop3:0x40
; %bb.1521:                             ;   in Loop: Header=BB200_1066 Depth=1
	s_or_b32 exec_lo, exec_lo, s16
	s_delay_alu instid0(VALU_DEP_1) | instskip(NEXT) | instid1(VALU_DEP_2)
	v_dual_lshlrev_b32 v0, 16, v52 :: v_dual_lshlrev_b32 v49, 20, v74
	v_lshl_add_u32 v48, v48, 23, 0x3c000000
	s_delay_alu instid0(VALU_DEP_2) | instskip(NEXT) | instid1(VALU_DEP_1)
	v_and_b32_e32 v0, 0x80000000, v0
	v_or3_b32 v49, v49, v0, v48
	v_mov_b32_e32 v48, v75
.LBB200_1522:                           ;   in Loop: Header=BB200_1066 Depth=1
	s_or_b32 exec_lo, exec_lo, s9
.LBB200_1523:                           ;   in Loop: Header=BB200_1066 Depth=1
	s_delay_alu instid0(SALU_CYCLE_1)
	s_or_b32 exec_lo, exec_lo, s8
.LBB200_1524:                           ;   in Loop: Header=BB200_1066 Depth=1
	s_delay_alu instid0(SALU_CYCLE_1) | instskip(SKIP_4) | instid1(VALU_DEP_3)
	s_or_b32 exec_lo, exec_lo, s3
	v_lshrrev_b32_e32 v53, 16, v52
	v_mov_b64_e32 v[54:55], 0
	v_mov_b64_e32 v[64:65], 0
	s_mov_b32 s3, exec_lo
	v_and_b32_e32 v66, 0xff, v53
	s_delay_alu instid0(VALU_DEP_1)
	v_cmpx_ne_u16_e32 0, v66
	s_cbranch_execz .LBB200_1532
; %bb.1525:                             ;   in Loop: Header=BB200_1066 Depth=1
	v_mov_b64_e32 v[64:65], 0x80000000
	s_mov_b32 s8, exec_lo
	v_cmpx_ne_u16_e32 0x80, v66
	s_cbranch_execz .LBB200_1531
; %bb.1526:                             ;   in Loop: Header=BB200_1066 Depth=1
	v_mov_b64_e32 v[64:65], 0x7f800001
	v_bfe_u32 v66, v52, 16, 7
	s_mov_b32 s9, exec_lo
	s_delay_alu instid0(VALU_DEP_1)
	v_cmpx_ne_u32_e32 0x7f, v66
	s_cbranch_execz .LBB200_1530
; %bb.1527:                             ;   in Loop: Header=BB200_1066 Depth=1
	v_dual_lshrrev_b32 v64, 3, v66 :: v_dual_bitop2_b32 v74, 7, v53 bitop3:0x40
	s_mov_b32 s16, exec_lo
	v_cmpx_gt_u32_e32 8, v66
; %bb.1528:                             ;   in Loop: Header=BB200_1066 Depth=1
	s_delay_alu instid0(VALU_DEP_2) | instskip(NEXT) | instid1(VALU_DEP_1)
	v_clz_i32_u32_e32 v0, v74
	v_min_u32_e32 v0, 32, v0
	s_delay_alu instid0(VALU_DEP_1) | instskip(NEXT) | instid1(VALU_DEP_1)
	v_subrev_nc_u32_e32 v64, 28, v0
	v_lshlrev_b64_e32 v[66:67], v64, v[74:75]
	s_delay_alu instid0(VALU_DEP_1)
	v_dual_sub_nc_u32 v64, 29, v0 :: v_dual_bitop2_b32 v74, 7, v66 bitop3:0x40
; %bb.1529:                             ;   in Loop: Header=BB200_1066 Depth=1
	s_or_b32 exec_lo, exec_lo, s16
	s_delay_alu instid0(VALU_DEP_1) | instskip(NEXT) | instid1(VALU_DEP_2)
	v_dual_lshlrev_b32 v0, 24, v53 :: v_dual_lshlrev_b32 v53, 20, v74
	v_lshl_add_u32 v64, v64, 23, 0x3c000000
	s_delay_alu instid0(VALU_DEP_2) | instskip(NEXT) | instid1(VALU_DEP_1)
	v_and_b32_e32 v0, 0x80000000, v0
	v_or3_b32 v74, v53, v0, v64
	s_delay_alu instid0(VALU_DEP_1)
	v_mov_b64_e32 v[64:65], v[74:75]
.LBB200_1530:                           ;   in Loop: Header=BB200_1066 Depth=1
	s_or_b32 exec_lo, exec_lo, s9
.LBB200_1531:                           ;   in Loop: Header=BB200_1066 Depth=1
	s_delay_alu instid0(SALU_CYCLE_1)
	s_or_b32 exec_lo, exec_lo, s8
.LBB200_1532:                           ;   in Loop: Header=BB200_1066 Depth=1
	s_delay_alu instid0(SALU_CYCLE_1) | instskip(NEXT) | instid1(SALU_CYCLE_1)
	s_or_b32 exec_lo, exec_lo, s3
	s_mov_b32 s3, exec_lo
	v_cmpx_lt_u32_e32 0xffffff, v52
	s_cbranch_execz .LBB200_1540
; %bb.1533:                             ;   in Loop: Header=BB200_1066 Depth=1
	v_mov_b64_e32 v[54:55], 0x8000000000000000
	v_lshrrev_b32_e32 v53, 24, v52
	s_mov_b32 s8, exec_lo
	s_delay_alu instid0(VALU_DEP_1)
	v_cmpx_ne_u32_e32 0x80, v53
	s_cbranch_execz .LBB200_1539
; %bb.1534:                             ;   in Loop: Header=BB200_1066 Depth=1
	v_mov_b64_e32 v[54:55], 0x7f80000100000000
	v_bfe_u32 v66, v52, 24, 7
	s_mov_b32 s9, exec_lo
	s_delay_alu instid0(VALU_DEP_1)
	v_cmpx_ne_u32_e32 0x7f, v66
	s_cbranch_execz .LBB200_1538
; %bb.1535:                             ;   in Loop: Header=BB200_1066 Depth=1
	v_dual_lshrrev_b32 v52, 3, v66 :: v_dual_bitop2_b32 v74, 7, v53 bitop3:0x40
	s_mov_b32 s16, exec_lo
	v_cmpx_gt_u32_e32 8, v66
; %bb.1536:                             ;   in Loop: Header=BB200_1066 Depth=1
	s_delay_alu instid0(VALU_DEP_2) | instskip(NEXT) | instid1(VALU_DEP_1)
	v_clz_i32_u32_e32 v0, v74
	v_min_u32_e32 v0, 32, v0
	s_delay_alu instid0(VALU_DEP_1) | instskip(NEXT) | instid1(VALU_DEP_1)
	v_subrev_nc_u32_e32 v52, 28, v0
	v_lshlrev_b64_e32 v[54:55], v52, v[74:75]
	s_delay_alu instid0(VALU_DEP_1)
	v_dual_sub_nc_u32 v52, 29, v0 :: v_dual_bitop2_b32 v74, 7, v54 bitop3:0x40
; %bb.1537:                             ;   in Loop: Header=BB200_1066 Depth=1
	s_or_b32 exec_lo, exec_lo, s16
	s_delay_alu instid0(VALU_DEP_1) | instskip(NEXT) | instid1(VALU_DEP_2)
	v_dual_lshlrev_b32 v0, 24, v53 :: v_dual_lshlrev_b32 v53, 20, v74
	v_lshl_add_u32 v52, v52, 23, 0x3c000000
	v_mov_b32_e32 v54, v75
	s_delay_alu instid0(VALU_DEP_3) | instskip(NEXT) | instid1(VALU_DEP_1)
	v_and_b32_e32 v0, 0x80000000, v0
	v_or3_b32 v55, v53, v0, v52
.LBB200_1538:                           ;   in Loop: Header=BB200_1066 Depth=1
	s_or_b32 exec_lo, exec_lo, s9
.LBB200_1539:                           ;   in Loop: Header=BB200_1066 Depth=1
	s_delay_alu instid0(SALU_CYCLE_1)
	s_or_b32 exec_lo, exec_lo, s8
.LBB200_1540:                           ;   in Loop: Header=BB200_1066 Depth=1
	s_delay_alu instid0(SALU_CYCLE_1) | instskip(SKIP_4) | instid1(VALU_DEP_3)
	s_or_b32 exec_lo, exec_lo, s3
	v_or_b32_e32 v49, v49, v51
	v_or_b32_e32 v48, v48, v50
	;; [unrolled: 1-line block ×4, first 2 shown]
	v_pk_mul_f32 v[92:93], v[38:39], v[48:49]
	s_delay_alu instid0(VALU_DEP_2)
	v_pk_mul_f32 v[48:49], v[38:39], v[50:51]
	scratch_store_b64 off, v[48:49], s32 offset:412 ; 8-byte Folded Spill
	s_wait_xcnt 0x0
	s_and_saveexec_b32 s3, vcc_lo
	s_cbranch_execz .LBB200_1542
; %bb.1541:                             ;   in Loop: Header=BB200_1066 Depth=1
	scratch_load_b64 v[48:49], off, s32 offset:192 ; 8-byte Folded Reload
	s_wait_loadcnt 0x0
	v_mov_b32_e32 v0, v48
	scratch_load_b64 v[48:49], off, s32 offset:412 th:TH_LOAD_LU ; 8-byte Folded Reload
	v_cmp_lt_i32_e64 s0, v1, v0
	s_delay_alu instid0(VALU_DEP_1) | instskip(SKIP_1) | instid1(VALU_DEP_1)
	v_cndmask_b32_e64 v92, 0, v92, s0
	v_cmp_lt_i32_e64 s0, v77, v0
	v_cndmask_b32_e64 v93, 0, v93, s0
	v_cmp_lt_i32_e64 s0, v73, v0
	s_wait_loadcnt 0x0
	s_delay_alu instid0(VALU_DEP_1) | instskip(SKIP_1) | instid1(VALU_DEP_1)
	v_cndmask_b32_e64 v48, 0, v48, s0
	v_cmp_lt_i32_e64 s0, v72, v0
	v_cndmask_b32_e64 v49, 0, v49, s0
	scratch_store_b64 off, v[48:49], s32 offset:412 ; 8-byte Folded Spill
.LBB200_1542:                           ;   in Loop: Header=BB200_1066 Depth=1
	s_wait_xcnt 0x0
	s_or_b32 exec_lo, exec_lo, s3
	flat_load_b32 v52, v[96:97] offset:1792
	v_mov_b64_e32 v[48:49], 0
	v_mov_b64_e32 v[50:51], 0
	s_mov_b32 s3, exec_lo
	s_wait_loadcnt_dscnt 0x0
	v_and_b32_e32 v53, 0xff, v52
	s_wait_xcnt 0x0
	s_delay_alu instid0(VALU_DEP_1)
	v_cmpx_ne_u16_e32 0, v53
	s_cbranch_execz .LBB200_1550
; %bb.1543:                             ;   in Loop: Header=BB200_1066 Depth=1
	v_mov_b64_e32 v[50:51], 0x80000000
	s_mov_b32 s8, exec_lo
	v_cmpx_ne_u16_e32 0x80, v53
	s_cbranch_execz .LBB200_1549
; %bb.1544:                             ;   in Loop: Header=BB200_1066 Depth=1
	v_mov_b64_e32 v[50:51], 0x7f800001
	v_and_b32_e32 v53, 0x7f, v52
	s_mov_b32 s9, exec_lo
	s_delay_alu instid0(VALU_DEP_1)
	v_cmpx_ne_u32_e32 0x7f, v53
	s_cbranch_execz .LBB200_1548
; %bb.1545:                             ;   in Loop: Header=BB200_1066 Depth=1
	v_dual_lshrrev_b32 v50, 3, v53 :: v_dual_bitop2_b32 v74, 7, v52 bitop3:0x40
	s_mov_b32 s16, exec_lo
	v_cmpx_gt_u32_e32 8, v53
; %bb.1546:                             ;   in Loop: Header=BB200_1066 Depth=1
	s_delay_alu instid0(VALU_DEP_2) | instskip(NEXT) | instid1(VALU_DEP_1)
	v_clz_i32_u32_e32 v0, v74
	v_min_u32_e32 v0, 32, v0
	s_delay_alu instid0(VALU_DEP_1) | instskip(NEXT) | instid1(VALU_DEP_1)
	v_subrev_nc_u32_e32 v50, 28, v0
	v_lshlrev_b64_e32 v[54:55], v50, v[74:75]
	s_delay_alu instid0(VALU_DEP_1)
	v_dual_sub_nc_u32 v50, 29, v0 :: v_dual_bitop2_b32 v74, 7, v54 bitop3:0x40
; %bb.1547:                             ;   in Loop: Header=BB200_1066 Depth=1
	s_or_b32 exec_lo, exec_lo, s16
	s_delay_alu instid0(VALU_DEP_1) | instskip(NEXT) | instid1(VALU_DEP_2)
	v_dual_lshlrev_b32 v0, 24, v52 :: v_dual_lshlrev_b32 v51, 20, v74
	v_lshl_add_u32 v50, v50, 23, 0x3c000000
	s_delay_alu instid0(VALU_DEP_2) | instskip(NEXT) | instid1(VALU_DEP_1)
	v_and_b32_e32 v0, 0x80000000, v0
	v_or3_b32 v74, v51, v0, v50
	s_delay_alu instid0(VALU_DEP_1)
	v_mov_b64_e32 v[50:51], v[74:75]
.LBB200_1548:                           ;   in Loop: Header=BB200_1066 Depth=1
	s_or_b32 exec_lo, exec_lo, s9
.LBB200_1549:                           ;   in Loop: Header=BB200_1066 Depth=1
	s_delay_alu instid0(SALU_CYCLE_1)
	s_or_b32 exec_lo, exec_lo, s8
.LBB200_1550:                           ;   in Loop: Header=BB200_1066 Depth=1
	s_delay_alu instid0(SALU_CYCLE_1) | instskip(SKIP_2) | instid1(VALU_DEP_1)
	s_or_b32 exec_lo, exec_lo, s3
	v_lshrrev_b16 v53, 8, v52
	s_mov_b32 s3, exec_lo
	v_cmpx_ne_u16_e32 0, v53
	s_cbranch_execz .LBB200_1558
; %bb.1551:                             ;   in Loop: Header=BB200_1066 Depth=1
	v_mov_b64_e32 v[48:49], 0x8000000000000000
	s_mov_b32 s8, exec_lo
	v_cmpx_ne_u16_e32 0x80, v53
	s_cbranch_execz .LBB200_1557
; %bb.1552:                             ;   in Loop: Header=BB200_1066 Depth=1
	v_and_b32_e32 v54, 0xffff, v53
	v_mov_b64_e32 v[48:49], 0x7f80000100000000
	s_mov_b32 s9, exec_lo
	s_delay_alu instid0(VALU_DEP_2) | instskip(NEXT) | instid1(VALU_DEP_1)
	v_and_b32_e32 v53, 0x7f, v54
	v_cmpx_ne_u32_e32 0x7f, v53
	s_cbranch_execz .LBB200_1556
; %bb.1553:                             ;   in Loop: Header=BB200_1066 Depth=1
	v_dual_lshrrev_b32 v48, 3, v53 :: v_dual_bitop2_b32 v74, 7, v54 bitop3:0x40
	s_mov_b32 s16, exec_lo
	v_cmpx_gt_u32_e32 8, v53
; %bb.1554:                             ;   in Loop: Header=BB200_1066 Depth=1
	s_delay_alu instid0(VALU_DEP_2) | instskip(NEXT) | instid1(VALU_DEP_1)
	v_clz_i32_u32_e32 v0, v74
	v_min_u32_e32 v0, 32, v0
	s_delay_alu instid0(VALU_DEP_1) | instskip(NEXT) | instid1(VALU_DEP_1)
	v_subrev_nc_u32_e32 v48, 28, v0
	v_lshlrev_b64_e32 v[54:55], v48, v[74:75]
	s_delay_alu instid0(VALU_DEP_1)
	v_dual_sub_nc_u32 v48, 29, v0 :: v_dual_bitop2_b32 v74, 7, v54 bitop3:0x40
; %bb.1555:                             ;   in Loop: Header=BB200_1066 Depth=1
	s_or_b32 exec_lo, exec_lo, s16
	s_delay_alu instid0(VALU_DEP_1) | instskip(NEXT) | instid1(VALU_DEP_2)
	v_dual_lshlrev_b32 v0, 16, v52 :: v_dual_lshlrev_b32 v49, 20, v74
	v_lshl_add_u32 v48, v48, 23, 0x3c000000
	s_delay_alu instid0(VALU_DEP_2) | instskip(NEXT) | instid1(VALU_DEP_1)
	v_and_b32_e32 v0, 0x80000000, v0
	v_or3_b32 v49, v49, v0, v48
	v_mov_b32_e32 v48, v75
.LBB200_1556:                           ;   in Loop: Header=BB200_1066 Depth=1
	s_or_b32 exec_lo, exec_lo, s9
.LBB200_1557:                           ;   in Loop: Header=BB200_1066 Depth=1
	s_delay_alu instid0(SALU_CYCLE_1)
	s_or_b32 exec_lo, exec_lo, s8
.LBB200_1558:                           ;   in Loop: Header=BB200_1066 Depth=1
	s_delay_alu instid0(SALU_CYCLE_1) | instskip(SKIP_4) | instid1(VALU_DEP_3)
	s_or_b32 exec_lo, exec_lo, s3
	v_lshrrev_b32_e32 v53, 16, v52
	v_mov_b64_e32 v[54:55], 0
	v_mov_b64_e32 v[64:65], 0
	s_mov_b32 s3, exec_lo
	v_and_b32_e32 v66, 0xff, v53
	s_delay_alu instid0(VALU_DEP_1)
	v_cmpx_ne_u16_e32 0, v66
	s_cbranch_execz .LBB200_1566
; %bb.1559:                             ;   in Loop: Header=BB200_1066 Depth=1
	v_mov_b64_e32 v[64:65], 0x80000000
	s_mov_b32 s8, exec_lo
	v_cmpx_ne_u16_e32 0x80, v66
	s_cbranch_execz .LBB200_1565
; %bb.1560:                             ;   in Loop: Header=BB200_1066 Depth=1
	v_mov_b64_e32 v[64:65], 0x7f800001
	v_bfe_u32 v66, v52, 16, 7
	s_mov_b32 s9, exec_lo
	s_delay_alu instid0(VALU_DEP_1)
	v_cmpx_ne_u32_e32 0x7f, v66
	s_cbranch_execz .LBB200_1564
; %bb.1561:                             ;   in Loop: Header=BB200_1066 Depth=1
	v_dual_lshrrev_b32 v64, 3, v66 :: v_dual_bitop2_b32 v74, 7, v53 bitop3:0x40
	s_mov_b32 s16, exec_lo
	v_cmpx_gt_u32_e32 8, v66
; %bb.1562:                             ;   in Loop: Header=BB200_1066 Depth=1
	s_delay_alu instid0(VALU_DEP_2) | instskip(NEXT) | instid1(VALU_DEP_1)
	v_clz_i32_u32_e32 v0, v74
	v_min_u32_e32 v0, 32, v0
	s_delay_alu instid0(VALU_DEP_1) | instskip(NEXT) | instid1(VALU_DEP_1)
	v_subrev_nc_u32_e32 v64, 28, v0
	v_lshlrev_b64_e32 v[66:67], v64, v[74:75]
	s_delay_alu instid0(VALU_DEP_1)
	v_dual_sub_nc_u32 v64, 29, v0 :: v_dual_bitop2_b32 v74, 7, v66 bitop3:0x40
; %bb.1563:                             ;   in Loop: Header=BB200_1066 Depth=1
	s_or_b32 exec_lo, exec_lo, s16
	s_delay_alu instid0(VALU_DEP_1) | instskip(NEXT) | instid1(VALU_DEP_2)
	v_dual_lshlrev_b32 v0, 24, v53 :: v_dual_lshlrev_b32 v53, 20, v74
	v_lshl_add_u32 v64, v64, 23, 0x3c000000
	s_delay_alu instid0(VALU_DEP_2) | instskip(NEXT) | instid1(VALU_DEP_1)
	v_and_b32_e32 v0, 0x80000000, v0
	v_or3_b32 v74, v53, v0, v64
	s_delay_alu instid0(VALU_DEP_1)
	v_mov_b64_e32 v[64:65], v[74:75]
.LBB200_1564:                           ;   in Loop: Header=BB200_1066 Depth=1
	s_or_b32 exec_lo, exec_lo, s9
.LBB200_1565:                           ;   in Loop: Header=BB200_1066 Depth=1
	s_delay_alu instid0(SALU_CYCLE_1)
	s_or_b32 exec_lo, exec_lo, s8
.LBB200_1566:                           ;   in Loop: Header=BB200_1066 Depth=1
	s_delay_alu instid0(SALU_CYCLE_1) | instskip(NEXT) | instid1(SALU_CYCLE_1)
	s_or_b32 exec_lo, exec_lo, s3
	s_mov_b32 s3, exec_lo
	v_cmpx_lt_u32_e32 0xffffff, v52
	s_cbranch_execz .LBB200_1574
; %bb.1567:                             ;   in Loop: Header=BB200_1066 Depth=1
	v_mov_b64_e32 v[54:55], 0x8000000000000000
	v_lshrrev_b32_e32 v53, 24, v52
	s_mov_b32 s8, exec_lo
	s_delay_alu instid0(VALU_DEP_1)
	v_cmpx_ne_u32_e32 0x80, v53
	s_cbranch_execz .LBB200_1573
; %bb.1568:                             ;   in Loop: Header=BB200_1066 Depth=1
	v_mov_b64_e32 v[54:55], 0x7f80000100000000
	v_bfe_u32 v66, v52, 24, 7
	s_mov_b32 s9, exec_lo
	s_delay_alu instid0(VALU_DEP_1)
	v_cmpx_ne_u32_e32 0x7f, v66
	s_cbranch_execz .LBB200_1572
; %bb.1569:                             ;   in Loop: Header=BB200_1066 Depth=1
	v_dual_lshrrev_b32 v52, 3, v66 :: v_dual_bitop2_b32 v74, 7, v53 bitop3:0x40
	s_mov_b32 s16, exec_lo
	v_cmpx_gt_u32_e32 8, v66
; %bb.1570:                             ;   in Loop: Header=BB200_1066 Depth=1
	s_delay_alu instid0(VALU_DEP_2) | instskip(NEXT) | instid1(VALU_DEP_1)
	v_clz_i32_u32_e32 v0, v74
	v_min_u32_e32 v0, 32, v0
	s_delay_alu instid0(VALU_DEP_1) | instskip(NEXT) | instid1(VALU_DEP_1)
	v_subrev_nc_u32_e32 v52, 28, v0
	v_lshlrev_b64_e32 v[54:55], v52, v[74:75]
	s_delay_alu instid0(VALU_DEP_1)
	v_dual_sub_nc_u32 v52, 29, v0 :: v_dual_bitop2_b32 v74, 7, v54 bitop3:0x40
; %bb.1571:                             ;   in Loop: Header=BB200_1066 Depth=1
	s_or_b32 exec_lo, exec_lo, s16
	s_delay_alu instid0(VALU_DEP_1) | instskip(NEXT) | instid1(VALU_DEP_2)
	v_dual_lshlrev_b32 v0, 24, v53 :: v_dual_lshlrev_b32 v53, 20, v74
	v_lshl_add_u32 v52, v52, 23, 0x3c000000
	v_mov_b32_e32 v54, v75
	s_delay_alu instid0(VALU_DEP_3) | instskip(NEXT) | instid1(VALU_DEP_1)
	v_and_b32_e32 v0, 0x80000000, v0
	v_or3_b32 v55, v53, v0, v52
.LBB200_1572:                           ;   in Loop: Header=BB200_1066 Depth=1
	s_or_b32 exec_lo, exec_lo, s9
.LBB200_1573:                           ;   in Loop: Header=BB200_1066 Depth=1
	s_delay_alu instid0(SALU_CYCLE_1)
	s_or_b32 exec_lo, exec_lo, s8
.LBB200_1574:                           ;   in Loop: Header=BB200_1066 Depth=1
	s_delay_alu instid0(SALU_CYCLE_1) | instskip(SKIP_4) | instid1(VALU_DEP_3)
	s_or_b32 exec_lo, exec_lo, s3
	v_or_b32_e32 v49, v49, v51
	v_or_b32_e32 v48, v48, v50
	;; [unrolled: 1-line block ×4, first 2 shown]
	v_pk_mul_f32 v[104:105], v[38:39], v[48:49]
	s_delay_alu instid0(VALU_DEP_2)
	v_pk_mul_f32 v[94:95], v[38:39], v[50:51]
	s_and_saveexec_b32 s3, vcc_lo
	s_cbranch_execz .LBB200_1576
; %bb.1575:                             ;   in Loop: Header=BB200_1066 Depth=1
	scratch_load_b64 v[48:49], off, s32 offset:192 ; 8-byte Folded Reload
	s_wait_loadcnt 0x0
	v_mov_b32_e32 v0, v48
	s_delay_alu instid0(VALU_DEP_1) | instskip(NEXT) | instid1(VALU_DEP_1)
	v_cmp_lt_i32_e64 s0, v1, v0
	v_cndmask_b32_e64 v104, 0, v104, s0
	v_cmp_lt_i32_e64 s0, v77, v0
	s_delay_alu instid0(VALU_DEP_1) | instskip(SKIP_1) | instid1(VALU_DEP_1)
	v_cndmask_b32_e64 v105, 0, v105, s0
	v_cmp_lt_i32_e64 s0, v73, v0
	v_cndmask_b32_e64 v94, 0, v94, s0
	v_cmp_lt_i32_e64 s0, v72, v0
	s_delay_alu instid0(VALU_DEP_1)
	v_cndmask_b32_e64 v95, 0, v95, s0
.LBB200_1576:                           ;   in Loop: Header=BB200_1066 Depth=1
	s_wait_xcnt 0x0
	s_or_b32 exec_lo, exec_lo, s3
	flat_load_b32 v52, v[96:97] offset:1920
	v_mov_b64_e32 v[48:49], 0
	v_mov_b64_e32 v[50:51], 0
	s_mov_b32 s3, exec_lo
	s_wait_loadcnt_dscnt 0x0
	v_and_b32_e32 v53, 0xff, v52
	s_wait_xcnt 0x0
	s_delay_alu instid0(VALU_DEP_1)
	v_cmpx_ne_u16_e32 0, v53
	s_cbranch_execz .LBB200_1584
; %bb.1577:                             ;   in Loop: Header=BB200_1066 Depth=1
	v_mov_b64_e32 v[50:51], 0x80000000
	s_mov_b32 s8, exec_lo
	v_cmpx_ne_u16_e32 0x80, v53
	s_cbranch_execz .LBB200_1583
; %bb.1578:                             ;   in Loop: Header=BB200_1066 Depth=1
	v_mov_b64_e32 v[50:51], 0x7f800001
	v_and_b32_e32 v53, 0x7f, v52
	s_mov_b32 s9, exec_lo
	s_delay_alu instid0(VALU_DEP_1)
	v_cmpx_ne_u32_e32 0x7f, v53
	s_cbranch_execz .LBB200_1582
; %bb.1579:                             ;   in Loop: Header=BB200_1066 Depth=1
	v_dual_lshrrev_b32 v50, 3, v53 :: v_dual_bitop2_b32 v74, 7, v52 bitop3:0x40
	s_mov_b32 s16, exec_lo
	v_cmpx_gt_u32_e32 8, v53
; %bb.1580:                             ;   in Loop: Header=BB200_1066 Depth=1
	s_delay_alu instid0(VALU_DEP_2) | instskip(NEXT) | instid1(VALU_DEP_1)
	v_clz_i32_u32_e32 v0, v74
	v_min_u32_e32 v0, 32, v0
	s_delay_alu instid0(VALU_DEP_1) | instskip(NEXT) | instid1(VALU_DEP_1)
	v_subrev_nc_u32_e32 v50, 28, v0
	v_lshlrev_b64_e32 v[54:55], v50, v[74:75]
	s_delay_alu instid0(VALU_DEP_1)
	v_dual_sub_nc_u32 v50, 29, v0 :: v_dual_bitop2_b32 v74, 7, v54 bitop3:0x40
; %bb.1581:                             ;   in Loop: Header=BB200_1066 Depth=1
	s_or_b32 exec_lo, exec_lo, s16
	s_delay_alu instid0(VALU_DEP_1) | instskip(NEXT) | instid1(VALU_DEP_2)
	v_dual_lshlrev_b32 v0, 24, v52 :: v_dual_lshlrev_b32 v51, 20, v74
	v_lshl_add_u32 v50, v50, 23, 0x3c000000
	s_delay_alu instid0(VALU_DEP_2) | instskip(NEXT) | instid1(VALU_DEP_1)
	v_and_b32_e32 v0, 0x80000000, v0
	v_or3_b32 v74, v51, v0, v50
	s_delay_alu instid0(VALU_DEP_1)
	v_mov_b64_e32 v[50:51], v[74:75]
.LBB200_1582:                           ;   in Loop: Header=BB200_1066 Depth=1
	s_or_b32 exec_lo, exec_lo, s9
.LBB200_1583:                           ;   in Loop: Header=BB200_1066 Depth=1
	s_delay_alu instid0(SALU_CYCLE_1)
	s_or_b32 exec_lo, exec_lo, s8
.LBB200_1584:                           ;   in Loop: Header=BB200_1066 Depth=1
	s_delay_alu instid0(SALU_CYCLE_1) | instskip(SKIP_2) | instid1(VALU_DEP_1)
	s_or_b32 exec_lo, exec_lo, s3
	v_lshrrev_b16 v53, 8, v52
	s_mov_b32 s3, exec_lo
	v_cmpx_ne_u16_e32 0, v53
	s_cbranch_execz .LBB200_1592
; %bb.1585:                             ;   in Loop: Header=BB200_1066 Depth=1
	v_mov_b64_e32 v[48:49], 0x8000000000000000
	s_mov_b32 s8, exec_lo
	v_cmpx_ne_u16_e32 0x80, v53
	s_cbranch_execz .LBB200_1591
; %bb.1586:                             ;   in Loop: Header=BB200_1066 Depth=1
	v_and_b32_e32 v54, 0xffff, v53
	v_mov_b64_e32 v[48:49], 0x7f80000100000000
	s_mov_b32 s9, exec_lo
	s_delay_alu instid0(VALU_DEP_2) | instskip(NEXT) | instid1(VALU_DEP_1)
	v_and_b32_e32 v53, 0x7f, v54
	v_cmpx_ne_u32_e32 0x7f, v53
	s_cbranch_execz .LBB200_1590
; %bb.1587:                             ;   in Loop: Header=BB200_1066 Depth=1
	v_dual_lshrrev_b32 v48, 3, v53 :: v_dual_bitop2_b32 v74, 7, v54 bitop3:0x40
	s_mov_b32 s16, exec_lo
	v_cmpx_gt_u32_e32 8, v53
; %bb.1588:                             ;   in Loop: Header=BB200_1066 Depth=1
	s_delay_alu instid0(VALU_DEP_2) | instskip(NEXT) | instid1(VALU_DEP_1)
	v_clz_i32_u32_e32 v0, v74
	v_min_u32_e32 v0, 32, v0
	s_delay_alu instid0(VALU_DEP_1) | instskip(NEXT) | instid1(VALU_DEP_1)
	v_subrev_nc_u32_e32 v48, 28, v0
	v_lshlrev_b64_e32 v[54:55], v48, v[74:75]
	s_delay_alu instid0(VALU_DEP_1)
	v_dual_sub_nc_u32 v48, 29, v0 :: v_dual_bitop2_b32 v74, 7, v54 bitop3:0x40
; %bb.1589:                             ;   in Loop: Header=BB200_1066 Depth=1
	s_or_b32 exec_lo, exec_lo, s16
	s_delay_alu instid0(VALU_DEP_1) | instskip(NEXT) | instid1(VALU_DEP_2)
	v_dual_lshlrev_b32 v0, 16, v52 :: v_dual_lshlrev_b32 v49, 20, v74
	v_lshl_add_u32 v48, v48, 23, 0x3c000000
	s_delay_alu instid0(VALU_DEP_2) | instskip(NEXT) | instid1(VALU_DEP_1)
	v_and_b32_e32 v0, 0x80000000, v0
	v_or3_b32 v49, v49, v0, v48
	v_mov_b32_e32 v48, v75
.LBB200_1590:                           ;   in Loop: Header=BB200_1066 Depth=1
	s_or_b32 exec_lo, exec_lo, s9
.LBB200_1591:                           ;   in Loop: Header=BB200_1066 Depth=1
	s_delay_alu instid0(SALU_CYCLE_1)
	s_or_b32 exec_lo, exec_lo, s8
.LBB200_1592:                           ;   in Loop: Header=BB200_1066 Depth=1
	s_delay_alu instid0(SALU_CYCLE_1) | instskip(SKIP_4) | instid1(VALU_DEP_3)
	s_or_b32 exec_lo, exec_lo, s3
	v_lshrrev_b32_e32 v53, 16, v52
	v_mov_b64_e32 v[54:55], 0
	v_mov_b64_e32 v[64:65], 0
	s_mov_b32 s3, exec_lo
	v_and_b32_e32 v66, 0xff, v53
	s_delay_alu instid0(VALU_DEP_1)
	v_cmpx_ne_u16_e32 0, v66
	s_cbranch_execz .LBB200_1600
; %bb.1593:                             ;   in Loop: Header=BB200_1066 Depth=1
	v_mov_b64_e32 v[64:65], 0x80000000
	s_mov_b32 s8, exec_lo
	v_cmpx_ne_u16_e32 0x80, v66
	s_cbranch_execz .LBB200_1599
; %bb.1594:                             ;   in Loop: Header=BB200_1066 Depth=1
	v_mov_b64_e32 v[64:65], 0x7f800001
	v_bfe_u32 v66, v52, 16, 7
	s_mov_b32 s9, exec_lo
	s_delay_alu instid0(VALU_DEP_1)
	v_cmpx_ne_u32_e32 0x7f, v66
	s_cbranch_execz .LBB200_1598
; %bb.1595:                             ;   in Loop: Header=BB200_1066 Depth=1
	v_dual_lshrrev_b32 v64, 3, v66 :: v_dual_bitop2_b32 v74, 7, v53 bitop3:0x40
	s_mov_b32 s16, exec_lo
	v_cmpx_gt_u32_e32 8, v66
; %bb.1596:                             ;   in Loop: Header=BB200_1066 Depth=1
	s_delay_alu instid0(VALU_DEP_2) | instskip(NEXT) | instid1(VALU_DEP_1)
	v_clz_i32_u32_e32 v0, v74
	v_min_u32_e32 v0, 32, v0
	s_delay_alu instid0(VALU_DEP_1) | instskip(NEXT) | instid1(VALU_DEP_1)
	v_subrev_nc_u32_e32 v64, 28, v0
	v_lshlrev_b64_e32 v[66:67], v64, v[74:75]
	s_delay_alu instid0(VALU_DEP_1)
	v_dual_sub_nc_u32 v64, 29, v0 :: v_dual_bitop2_b32 v74, 7, v66 bitop3:0x40
; %bb.1597:                             ;   in Loop: Header=BB200_1066 Depth=1
	s_or_b32 exec_lo, exec_lo, s16
	s_delay_alu instid0(VALU_DEP_1) | instskip(NEXT) | instid1(VALU_DEP_2)
	v_dual_lshlrev_b32 v0, 24, v53 :: v_dual_lshlrev_b32 v53, 20, v74
	v_lshl_add_u32 v64, v64, 23, 0x3c000000
	s_delay_alu instid0(VALU_DEP_2) | instskip(NEXT) | instid1(VALU_DEP_1)
	v_and_b32_e32 v0, 0x80000000, v0
	v_or3_b32 v74, v53, v0, v64
	s_delay_alu instid0(VALU_DEP_1)
	v_mov_b64_e32 v[64:65], v[74:75]
.LBB200_1598:                           ;   in Loop: Header=BB200_1066 Depth=1
	s_or_b32 exec_lo, exec_lo, s9
.LBB200_1599:                           ;   in Loop: Header=BB200_1066 Depth=1
	s_delay_alu instid0(SALU_CYCLE_1)
	s_or_b32 exec_lo, exec_lo, s8
.LBB200_1600:                           ;   in Loop: Header=BB200_1066 Depth=1
	s_delay_alu instid0(SALU_CYCLE_1) | instskip(NEXT) | instid1(SALU_CYCLE_1)
	s_or_b32 exec_lo, exec_lo, s3
	s_mov_b32 s3, exec_lo
	v_cmpx_lt_u32_e32 0xffffff, v52
	s_cbranch_execz .LBB200_1608
; %bb.1601:                             ;   in Loop: Header=BB200_1066 Depth=1
	v_mov_b64_e32 v[54:55], 0x8000000000000000
	v_lshrrev_b32_e32 v53, 24, v52
	s_mov_b32 s8, exec_lo
	s_delay_alu instid0(VALU_DEP_1)
	v_cmpx_ne_u32_e32 0x80, v53
	s_cbranch_execz .LBB200_1607
; %bb.1602:                             ;   in Loop: Header=BB200_1066 Depth=1
	v_mov_b64_e32 v[54:55], 0x7f80000100000000
	v_bfe_u32 v66, v52, 24, 7
	s_mov_b32 s9, exec_lo
	s_delay_alu instid0(VALU_DEP_1)
	v_cmpx_ne_u32_e32 0x7f, v66
	s_cbranch_execz .LBB200_1606
; %bb.1603:                             ;   in Loop: Header=BB200_1066 Depth=1
	v_dual_lshrrev_b32 v52, 3, v66 :: v_dual_bitop2_b32 v74, 7, v53 bitop3:0x40
	s_mov_b32 s16, exec_lo
	v_cmpx_gt_u32_e32 8, v66
; %bb.1604:                             ;   in Loop: Header=BB200_1066 Depth=1
	s_delay_alu instid0(VALU_DEP_2) | instskip(NEXT) | instid1(VALU_DEP_1)
	v_clz_i32_u32_e32 v0, v74
	v_min_u32_e32 v0, 32, v0
	s_delay_alu instid0(VALU_DEP_1) | instskip(NEXT) | instid1(VALU_DEP_1)
	v_subrev_nc_u32_e32 v52, 28, v0
	v_lshlrev_b64_e32 v[54:55], v52, v[74:75]
	s_delay_alu instid0(VALU_DEP_1)
	v_dual_sub_nc_u32 v52, 29, v0 :: v_dual_bitop2_b32 v74, 7, v54 bitop3:0x40
; %bb.1605:                             ;   in Loop: Header=BB200_1066 Depth=1
	s_or_b32 exec_lo, exec_lo, s16
	s_delay_alu instid0(VALU_DEP_1) | instskip(NEXT) | instid1(VALU_DEP_2)
	v_dual_lshlrev_b32 v0, 24, v53 :: v_dual_lshlrev_b32 v53, 20, v74
	v_lshl_add_u32 v52, v52, 23, 0x3c000000
	v_mov_b32_e32 v54, v75
	s_delay_alu instid0(VALU_DEP_3) | instskip(NEXT) | instid1(VALU_DEP_1)
	v_and_b32_e32 v0, 0x80000000, v0
	v_or3_b32 v55, v53, v0, v52
.LBB200_1606:                           ;   in Loop: Header=BB200_1066 Depth=1
	s_or_b32 exec_lo, exec_lo, s9
.LBB200_1607:                           ;   in Loop: Header=BB200_1066 Depth=1
	s_delay_alu instid0(SALU_CYCLE_1)
	s_or_b32 exec_lo, exec_lo, s8
.LBB200_1608:                           ;   in Loop: Header=BB200_1066 Depth=1
	s_delay_alu instid0(SALU_CYCLE_1) | instskip(SKIP_4) | instid1(VALU_DEP_3)
	s_or_b32 exec_lo, exec_lo, s3
	v_or_b32_e32 v49, v49, v51
	v_or_b32_e32 v48, v48, v50
	;; [unrolled: 1-line block ×4, first 2 shown]
	v_pk_mul_f32 v[108:109], v[38:39], v[48:49]
	s_delay_alu instid0(VALU_DEP_2)
	v_pk_mul_f32 v[106:107], v[38:39], v[50:51]
	s_and_saveexec_b32 s3, vcc_lo
	s_cbranch_execz .LBB200_1610
; %bb.1609:                             ;   in Loop: Header=BB200_1066 Depth=1
	scratch_load_b64 v[48:49], off, s32 offset:192 ; 8-byte Folded Reload
	s_wait_loadcnt 0x0
	v_mov_b32_e32 v0, v48
	s_delay_alu instid0(VALU_DEP_1) | instskip(NEXT) | instid1(VALU_DEP_1)
	v_cmp_lt_i32_e64 s0, v1, v0
	v_cndmask_b32_e64 v108, 0, v108, s0
	v_cmp_lt_i32_e64 s0, v77, v0
	s_delay_alu instid0(VALU_DEP_1) | instskip(SKIP_1) | instid1(VALU_DEP_1)
	v_cndmask_b32_e64 v109, 0, v109, s0
	v_cmp_lt_i32_e64 s0, v73, v0
	v_cndmask_b32_e64 v106, 0, v106, s0
	v_cmp_lt_i32_e64 s0, v72, v0
	s_delay_alu instid0(VALU_DEP_1)
	v_cndmask_b32_e64 v107, 0, v107, s0
.LBB200_1610:                           ;   in Loop: Header=BB200_1066 Depth=1
	s_wait_xcnt 0x0
	s_or_b32 exec_lo, exec_lo, s3
	flat_load_b32 v52, v[96:97] offset:2048
	v_mov_b64_e32 v[48:49], 0
	v_mov_b64_e32 v[50:51], 0
	s_mov_b32 s3, exec_lo
	s_wait_loadcnt_dscnt 0x0
	v_and_b32_e32 v53, 0xff, v52
	s_wait_xcnt 0x0
	s_delay_alu instid0(VALU_DEP_1)
	v_cmpx_ne_u16_e32 0, v53
	s_cbranch_execz .LBB200_1618
; %bb.1611:                             ;   in Loop: Header=BB200_1066 Depth=1
	v_mov_b64_e32 v[50:51], 0x80000000
	s_mov_b32 s8, exec_lo
	v_cmpx_ne_u16_e32 0x80, v53
	s_cbranch_execz .LBB200_1617
; %bb.1612:                             ;   in Loop: Header=BB200_1066 Depth=1
	v_mov_b64_e32 v[50:51], 0x7f800001
	v_and_b32_e32 v53, 0x7f, v52
	s_mov_b32 s9, exec_lo
	s_delay_alu instid0(VALU_DEP_1)
	v_cmpx_ne_u32_e32 0x7f, v53
	s_cbranch_execz .LBB200_1616
; %bb.1613:                             ;   in Loop: Header=BB200_1066 Depth=1
	v_dual_lshrrev_b32 v50, 3, v53 :: v_dual_bitop2_b32 v74, 7, v52 bitop3:0x40
	s_mov_b32 s16, exec_lo
	v_cmpx_gt_u32_e32 8, v53
; %bb.1614:                             ;   in Loop: Header=BB200_1066 Depth=1
	s_delay_alu instid0(VALU_DEP_2) | instskip(NEXT) | instid1(VALU_DEP_1)
	v_clz_i32_u32_e32 v0, v74
	v_min_u32_e32 v0, 32, v0
	s_delay_alu instid0(VALU_DEP_1) | instskip(NEXT) | instid1(VALU_DEP_1)
	v_subrev_nc_u32_e32 v50, 28, v0
	v_lshlrev_b64_e32 v[54:55], v50, v[74:75]
	s_delay_alu instid0(VALU_DEP_1)
	v_dual_sub_nc_u32 v50, 29, v0 :: v_dual_bitop2_b32 v74, 7, v54 bitop3:0x40
; %bb.1615:                             ;   in Loop: Header=BB200_1066 Depth=1
	s_or_b32 exec_lo, exec_lo, s16
	s_delay_alu instid0(VALU_DEP_1) | instskip(NEXT) | instid1(VALU_DEP_2)
	v_dual_lshlrev_b32 v0, 24, v52 :: v_dual_lshlrev_b32 v51, 20, v74
	v_lshl_add_u32 v50, v50, 23, 0x3c000000
	s_delay_alu instid0(VALU_DEP_2) | instskip(NEXT) | instid1(VALU_DEP_1)
	v_and_b32_e32 v0, 0x80000000, v0
	v_or3_b32 v74, v51, v0, v50
	s_delay_alu instid0(VALU_DEP_1)
	v_mov_b64_e32 v[50:51], v[74:75]
.LBB200_1616:                           ;   in Loop: Header=BB200_1066 Depth=1
	s_or_b32 exec_lo, exec_lo, s9
.LBB200_1617:                           ;   in Loop: Header=BB200_1066 Depth=1
	s_delay_alu instid0(SALU_CYCLE_1)
	s_or_b32 exec_lo, exec_lo, s8
.LBB200_1618:                           ;   in Loop: Header=BB200_1066 Depth=1
	s_delay_alu instid0(SALU_CYCLE_1) | instskip(SKIP_2) | instid1(VALU_DEP_1)
	s_or_b32 exec_lo, exec_lo, s3
	v_lshrrev_b16 v53, 8, v52
	s_mov_b32 s3, exec_lo
	v_cmpx_ne_u16_e32 0, v53
	s_cbranch_execz .LBB200_1626
; %bb.1619:                             ;   in Loop: Header=BB200_1066 Depth=1
	v_mov_b64_e32 v[48:49], 0x8000000000000000
	s_mov_b32 s8, exec_lo
	v_cmpx_ne_u16_e32 0x80, v53
	s_cbranch_execz .LBB200_1625
; %bb.1620:                             ;   in Loop: Header=BB200_1066 Depth=1
	v_and_b32_e32 v54, 0xffff, v53
	v_mov_b64_e32 v[48:49], 0x7f80000100000000
	s_mov_b32 s9, exec_lo
	s_delay_alu instid0(VALU_DEP_2) | instskip(NEXT) | instid1(VALU_DEP_1)
	v_and_b32_e32 v53, 0x7f, v54
	v_cmpx_ne_u32_e32 0x7f, v53
	s_cbranch_execz .LBB200_1624
; %bb.1621:                             ;   in Loop: Header=BB200_1066 Depth=1
	v_dual_lshrrev_b32 v48, 3, v53 :: v_dual_bitop2_b32 v74, 7, v54 bitop3:0x40
	s_mov_b32 s16, exec_lo
	v_cmpx_gt_u32_e32 8, v53
; %bb.1622:                             ;   in Loop: Header=BB200_1066 Depth=1
	s_delay_alu instid0(VALU_DEP_2) | instskip(NEXT) | instid1(VALU_DEP_1)
	v_clz_i32_u32_e32 v0, v74
	v_min_u32_e32 v0, 32, v0
	s_delay_alu instid0(VALU_DEP_1) | instskip(NEXT) | instid1(VALU_DEP_1)
	v_subrev_nc_u32_e32 v48, 28, v0
	v_lshlrev_b64_e32 v[54:55], v48, v[74:75]
	s_delay_alu instid0(VALU_DEP_1)
	v_dual_sub_nc_u32 v48, 29, v0 :: v_dual_bitop2_b32 v74, 7, v54 bitop3:0x40
; %bb.1623:                             ;   in Loop: Header=BB200_1066 Depth=1
	s_or_b32 exec_lo, exec_lo, s16
	s_delay_alu instid0(VALU_DEP_1) | instskip(NEXT) | instid1(VALU_DEP_2)
	v_dual_lshlrev_b32 v0, 16, v52 :: v_dual_lshlrev_b32 v49, 20, v74
	v_lshl_add_u32 v48, v48, 23, 0x3c000000
	s_delay_alu instid0(VALU_DEP_2) | instskip(NEXT) | instid1(VALU_DEP_1)
	v_and_b32_e32 v0, 0x80000000, v0
	v_or3_b32 v49, v49, v0, v48
	v_mov_b32_e32 v48, v75
.LBB200_1624:                           ;   in Loop: Header=BB200_1066 Depth=1
	s_or_b32 exec_lo, exec_lo, s9
.LBB200_1625:                           ;   in Loop: Header=BB200_1066 Depth=1
	s_delay_alu instid0(SALU_CYCLE_1)
	s_or_b32 exec_lo, exec_lo, s8
.LBB200_1626:                           ;   in Loop: Header=BB200_1066 Depth=1
	s_delay_alu instid0(SALU_CYCLE_1) | instskip(SKIP_4) | instid1(VALU_DEP_3)
	s_or_b32 exec_lo, exec_lo, s3
	v_lshrrev_b32_e32 v53, 16, v52
	v_mov_b64_e32 v[54:55], 0
	v_mov_b64_e32 v[64:65], 0
	s_mov_b32 s3, exec_lo
	v_and_b32_e32 v66, 0xff, v53
	s_delay_alu instid0(VALU_DEP_1)
	v_cmpx_ne_u16_e32 0, v66
	s_cbranch_execz .LBB200_1634
; %bb.1627:                             ;   in Loop: Header=BB200_1066 Depth=1
	v_mov_b64_e32 v[64:65], 0x80000000
	s_mov_b32 s8, exec_lo
	v_cmpx_ne_u16_e32 0x80, v66
	s_cbranch_execz .LBB200_1633
; %bb.1628:                             ;   in Loop: Header=BB200_1066 Depth=1
	v_mov_b64_e32 v[64:65], 0x7f800001
	v_bfe_u32 v66, v52, 16, 7
	s_mov_b32 s9, exec_lo
	s_delay_alu instid0(VALU_DEP_1)
	v_cmpx_ne_u32_e32 0x7f, v66
	s_cbranch_execz .LBB200_1632
; %bb.1629:                             ;   in Loop: Header=BB200_1066 Depth=1
	v_dual_lshrrev_b32 v64, 3, v66 :: v_dual_bitop2_b32 v74, 7, v53 bitop3:0x40
	s_mov_b32 s16, exec_lo
	v_cmpx_gt_u32_e32 8, v66
; %bb.1630:                             ;   in Loop: Header=BB200_1066 Depth=1
	s_delay_alu instid0(VALU_DEP_2) | instskip(NEXT) | instid1(VALU_DEP_1)
	v_clz_i32_u32_e32 v0, v74
	v_min_u32_e32 v0, 32, v0
	s_delay_alu instid0(VALU_DEP_1) | instskip(NEXT) | instid1(VALU_DEP_1)
	v_subrev_nc_u32_e32 v64, 28, v0
	v_lshlrev_b64_e32 v[66:67], v64, v[74:75]
	s_delay_alu instid0(VALU_DEP_1)
	v_dual_sub_nc_u32 v64, 29, v0 :: v_dual_bitop2_b32 v74, 7, v66 bitop3:0x40
; %bb.1631:                             ;   in Loop: Header=BB200_1066 Depth=1
	s_or_b32 exec_lo, exec_lo, s16
	s_delay_alu instid0(VALU_DEP_1) | instskip(NEXT) | instid1(VALU_DEP_2)
	v_dual_lshlrev_b32 v0, 24, v53 :: v_dual_lshlrev_b32 v53, 20, v74
	v_lshl_add_u32 v64, v64, 23, 0x3c000000
	s_delay_alu instid0(VALU_DEP_2) | instskip(NEXT) | instid1(VALU_DEP_1)
	v_and_b32_e32 v0, 0x80000000, v0
	v_or3_b32 v74, v53, v0, v64
	s_delay_alu instid0(VALU_DEP_1)
	v_mov_b64_e32 v[64:65], v[74:75]
.LBB200_1632:                           ;   in Loop: Header=BB200_1066 Depth=1
	s_or_b32 exec_lo, exec_lo, s9
.LBB200_1633:                           ;   in Loop: Header=BB200_1066 Depth=1
	s_delay_alu instid0(SALU_CYCLE_1)
	s_or_b32 exec_lo, exec_lo, s8
.LBB200_1634:                           ;   in Loop: Header=BB200_1066 Depth=1
	s_delay_alu instid0(SALU_CYCLE_1) | instskip(NEXT) | instid1(SALU_CYCLE_1)
	s_or_b32 exec_lo, exec_lo, s3
	s_mov_b32 s3, exec_lo
	v_cmpx_lt_u32_e32 0xffffff, v52
	s_cbranch_execz .LBB200_1642
; %bb.1635:                             ;   in Loop: Header=BB200_1066 Depth=1
	v_mov_b64_e32 v[54:55], 0x8000000000000000
	v_lshrrev_b32_e32 v53, 24, v52
	s_mov_b32 s8, exec_lo
	s_delay_alu instid0(VALU_DEP_1)
	v_cmpx_ne_u32_e32 0x80, v53
	s_cbranch_execz .LBB200_1641
; %bb.1636:                             ;   in Loop: Header=BB200_1066 Depth=1
	v_mov_b64_e32 v[54:55], 0x7f80000100000000
	v_bfe_u32 v66, v52, 24, 7
	s_mov_b32 s9, exec_lo
	s_delay_alu instid0(VALU_DEP_1)
	v_cmpx_ne_u32_e32 0x7f, v66
	s_cbranch_execz .LBB200_1640
; %bb.1637:                             ;   in Loop: Header=BB200_1066 Depth=1
	v_dual_lshrrev_b32 v52, 3, v66 :: v_dual_bitop2_b32 v74, 7, v53 bitop3:0x40
	s_mov_b32 s16, exec_lo
	v_cmpx_gt_u32_e32 8, v66
; %bb.1638:                             ;   in Loop: Header=BB200_1066 Depth=1
	s_delay_alu instid0(VALU_DEP_2) | instskip(NEXT) | instid1(VALU_DEP_1)
	v_clz_i32_u32_e32 v0, v74
	v_min_u32_e32 v0, 32, v0
	s_delay_alu instid0(VALU_DEP_1) | instskip(NEXT) | instid1(VALU_DEP_1)
	v_subrev_nc_u32_e32 v52, 28, v0
	v_lshlrev_b64_e32 v[54:55], v52, v[74:75]
	s_delay_alu instid0(VALU_DEP_1)
	v_dual_sub_nc_u32 v52, 29, v0 :: v_dual_bitop2_b32 v74, 7, v54 bitop3:0x40
; %bb.1639:                             ;   in Loop: Header=BB200_1066 Depth=1
	s_or_b32 exec_lo, exec_lo, s16
	s_delay_alu instid0(VALU_DEP_1) | instskip(NEXT) | instid1(VALU_DEP_2)
	v_dual_lshlrev_b32 v0, 24, v53 :: v_dual_lshlrev_b32 v53, 20, v74
	v_lshl_add_u32 v52, v52, 23, 0x3c000000
	v_mov_b32_e32 v54, v75
	s_delay_alu instid0(VALU_DEP_3) | instskip(NEXT) | instid1(VALU_DEP_1)
	v_and_b32_e32 v0, 0x80000000, v0
	v_or3_b32 v55, v53, v0, v52
.LBB200_1640:                           ;   in Loop: Header=BB200_1066 Depth=1
	s_or_b32 exec_lo, exec_lo, s9
.LBB200_1641:                           ;   in Loop: Header=BB200_1066 Depth=1
	s_delay_alu instid0(SALU_CYCLE_1)
	s_or_b32 exec_lo, exec_lo, s8
.LBB200_1642:                           ;   in Loop: Header=BB200_1066 Depth=1
	s_delay_alu instid0(SALU_CYCLE_1) | instskip(SKIP_4) | instid1(VALU_DEP_3)
	s_or_b32 exec_lo, exec_lo, s3
	v_or_b32_e32 v49, v49, v51
	v_or_b32_e32 v48, v48, v50
	;; [unrolled: 1-line block ×4, first 2 shown]
	v_pk_mul_f32 v[120:121], v[38:39], v[48:49]
	s_delay_alu instid0(VALU_DEP_2)
	v_pk_mul_f32 v[110:111], v[38:39], v[50:51]
	s_and_saveexec_b32 s3, vcc_lo
	s_cbranch_execz .LBB200_1644
; %bb.1643:                             ;   in Loop: Header=BB200_1066 Depth=1
	scratch_load_b64 v[48:49], off, s32 offset:192 ; 8-byte Folded Reload
	s_wait_loadcnt 0x0
	v_mov_b32_e32 v0, v48
	s_delay_alu instid0(VALU_DEP_1) | instskip(NEXT) | instid1(VALU_DEP_1)
	v_cmp_lt_i32_e64 s0, v1, v0
	v_cndmask_b32_e64 v120, 0, v120, s0
	v_cmp_lt_i32_e64 s0, v77, v0
	s_delay_alu instid0(VALU_DEP_1) | instskip(SKIP_1) | instid1(VALU_DEP_1)
	v_cndmask_b32_e64 v121, 0, v121, s0
	v_cmp_lt_i32_e64 s0, v73, v0
	v_cndmask_b32_e64 v110, 0, v110, s0
	v_cmp_lt_i32_e64 s0, v72, v0
	s_delay_alu instid0(VALU_DEP_1)
	v_cndmask_b32_e64 v111, 0, v111, s0
.LBB200_1644:                           ;   in Loop: Header=BB200_1066 Depth=1
	s_wait_xcnt 0x0
	s_or_b32 exec_lo, exec_lo, s3
	flat_load_b32 v52, v[96:97] offset:2176
	v_mov_b64_e32 v[48:49], 0
	v_mov_b64_e32 v[50:51], 0
	s_mov_b32 s3, exec_lo
	s_wait_loadcnt_dscnt 0x0
	v_and_b32_e32 v53, 0xff, v52
	s_wait_xcnt 0x0
	s_delay_alu instid0(VALU_DEP_1)
	v_cmpx_ne_u16_e32 0, v53
	s_cbranch_execz .LBB200_1652
; %bb.1645:                             ;   in Loop: Header=BB200_1066 Depth=1
	v_mov_b64_e32 v[50:51], 0x80000000
	s_mov_b32 s8, exec_lo
	v_cmpx_ne_u16_e32 0x80, v53
	s_cbranch_execz .LBB200_1651
; %bb.1646:                             ;   in Loop: Header=BB200_1066 Depth=1
	v_mov_b64_e32 v[50:51], 0x7f800001
	v_and_b32_e32 v53, 0x7f, v52
	s_mov_b32 s9, exec_lo
	s_delay_alu instid0(VALU_DEP_1)
	v_cmpx_ne_u32_e32 0x7f, v53
	s_cbranch_execz .LBB200_1650
; %bb.1647:                             ;   in Loop: Header=BB200_1066 Depth=1
	v_dual_lshrrev_b32 v50, 3, v53 :: v_dual_bitop2_b32 v74, 7, v52 bitop3:0x40
	s_mov_b32 s16, exec_lo
	v_cmpx_gt_u32_e32 8, v53
; %bb.1648:                             ;   in Loop: Header=BB200_1066 Depth=1
	s_delay_alu instid0(VALU_DEP_2) | instskip(NEXT) | instid1(VALU_DEP_1)
	v_clz_i32_u32_e32 v0, v74
	v_min_u32_e32 v0, 32, v0
	s_delay_alu instid0(VALU_DEP_1) | instskip(NEXT) | instid1(VALU_DEP_1)
	v_subrev_nc_u32_e32 v50, 28, v0
	v_lshlrev_b64_e32 v[54:55], v50, v[74:75]
	s_delay_alu instid0(VALU_DEP_1)
	v_dual_sub_nc_u32 v50, 29, v0 :: v_dual_bitop2_b32 v74, 7, v54 bitop3:0x40
; %bb.1649:                             ;   in Loop: Header=BB200_1066 Depth=1
	s_or_b32 exec_lo, exec_lo, s16
	s_delay_alu instid0(VALU_DEP_1) | instskip(NEXT) | instid1(VALU_DEP_2)
	v_dual_lshlrev_b32 v0, 24, v52 :: v_dual_lshlrev_b32 v51, 20, v74
	v_lshl_add_u32 v50, v50, 23, 0x3c000000
	s_delay_alu instid0(VALU_DEP_2) | instskip(NEXT) | instid1(VALU_DEP_1)
	v_and_b32_e32 v0, 0x80000000, v0
	v_or3_b32 v74, v51, v0, v50
	s_delay_alu instid0(VALU_DEP_1)
	v_mov_b64_e32 v[50:51], v[74:75]
.LBB200_1650:                           ;   in Loop: Header=BB200_1066 Depth=1
	s_or_b32 exec_lo, exec_lo, s9
.LBB200_1651:                           ;   in Loop: Header=BB200_1066 Depth=1
	s_delay_alu instid0(SALU_CYCLE_1)
	s_or_b32 exec_lo, exec_lo, s8
.LBB200_1652:                           ;   in Loop: Header=BB200_1066 Depth=1
	s_delay_alu instid0(SALU_CYCLE_1) | instskip(SKIP_2) | instid1(VALU_DEP_1)
	s_or_b32 exec_lo, exec_lo, s3
	v_lshrrev_b16 v53, 8, v52
	s_mov_b32 s3, exec_lo
	v_cmpx_ne_u16_e32 0, v53
	s_cbranch_execz .LBB200_1660
; %bb.1653:                             ;   in Loop: Header=BB200_1066 Depth=1
	v_mov_b64_e32 v[48:49], 0x8000000000000000
	s_mov_b32 s8, exec_lo
	v_cmpx_ne_u16_e32 0x80, v53
	s_cbranch_execz .LBB200_1659
; %bb.1654:                             ;   in Loop: Header=BB200_1066 Depth=1
	v_and_b32_e32 v54, 0xffff, v53
	v_mov_b64_e32 v[48:49], 0x7f80000100000000
	s_mov_b32 s9, exec_lo
	s_delay_alu instid0(VALU_DEP_2) | instskip(NEXT) | instid1(VALU_DEP_1)
	v_and_b32_e32 v53, 0x7f, v54
	v_cmpx_ne_u32_e32 0x7f, v53
	s_cbranch_execz .LBB200_1658
; %bb.1655:                             ;   in Loop: Header=BB200_1066 Depth=1
	v_dual_lshrrev_b32 v48, 3, v53 :: v_dual_bitop2_b32 v74, 7, v54 bitop3:0x40
	s_mov_b32 s16, exec_lo
	v_cmpx_gt_u32_e32 8, v53
; %bb.1656:                             ;   in Loop: Header=BB200_1066 Depth=1
	s_delay_alu instid0(VALU_DEP_2) | instskip(NEXT) | instid1(VALU_DEP_1)
	v_clz_i32_u32_e32 v0, v74
	v_min_u32_e32 v0, 32, v0
	s_delay_alu instid0(VALU_DEP_1) | instskip(NEXT) | instid1(VALU_DEP_1)
	v_subrev_nc_u32_e32 v48, 28, v0
	v_lshlrev_b64_e32 v[54:55], v48, v[74:75]
	s_delay_alu instid0(VALU_DEP_1)
	v_dual_sub_nc_u32 v48, 29, v0 :: v_dual_bitop2_b32 v74, 7, v54 bitop3:0x40
; %bb.1657:                             ;   in Loop: Header=BB200_1066 Depth=1
	s_or_b32 exec_lo, exec_lo, s16
	s_delay_alu instid0(VALU_DEP_1) | instskip(NEXT) | instid1(VALU_DEP_2)
	v_dual_lshlrev_b32 v0, 16, v52 :: v_dual_lshlrev_b32 v49, 20, v74
	v_lshl_add_u32 v48, v48, 23, 0x3c000000
	s_delay_alu instid0(VALU_DEP_2) | instskip(NEXT) | instid1(VALU_DEP_1)
	v_and_b32_e32 v0, 0x80000000, v0
	v_or3_b32 v49, v49, v0, v48
	v_mov_b32_e32 v48, v75
.LBB200_1658:                           ;   in Loop: Header=BB200_1066 Depth=1
	s_or_b32 exec_lo, exec_lo, s9
.LBB200_1659:                           ;   in Loop: Header=BB200_1066 Depth=1
	s_delay_alu instid0(SALU_CYCLE_1)
	s_or_b32 exec_lo, exec_lo, s8
.LBB200_1660:                           ;   in Loop: Header=BB200_1066 Depth=1
	s_delay_alu instid0(SALU_CYCLE_1) | instskip(SKIP_4) | instid1(VALU_DEP_3)
	s_or_b32 exec_lo, exec_lo, s3
	v_lshrrev_b32_e32 v53, 16, v52
	v_mov_b64_e32 v[54:55], 0
	v_mov_b64_e32 v[64:65], 0
	s_mov_b32 s3, exec_lo
	v_and_b32_e32 v66, 0xff, v53
	s_delay_alu instid0(VALU_DEP_1)
	v_cmpx_ne_u16_e32 0, v66
	s_cbranch_execz .LBB200_1668
; %bb.1661:                             ;   in Loop: Header=BB200_1066 Depth=1
	v_mov_b64_e32 v[64:65], 0x80000000
	s_mov_b32 s8, exec_lo
	v_cmpx_ne_u16_e32 0x80, v66
	s_cbranch_execz .LBB200_1667
; %bb.1662:                             ;   in Loop: Header=BB200_1066 Depth=1
	v_mov_b64_e32 v[64:65], 0x7f800001
	v_bfe_u32 v66, v52, 16, 7
	s_mov_b32 s9, exec_lo
	s_delay_alu instid0(VALU_DEP_1)
	v_cmpx_ne_u32_e32 0x7f, v66
	s_cbranch_execz .LBB200_1666
; %bb.1663:                             ;   in Loop: Header=BB200_1066 Depth=1
	v_dual_lshrrev_b32 v64, 3, v66 :: v_dual_bitop2_b32 v74, 7, v53 bitop3:0x40
	s_mov_b32 s16, exec_lo
	v_cmpx_gt_u32_e32 8, v66
; %bb.1664:                             ;   in Loop: Header=BB200_1066 Depth=1
	s_delay_alu instid0(VALU_DEP_2) | instskip(NEXT) | instid1(VALU_DEP_1)
	v_clz_i32_u32_e32 v0, v74
	v_min_u32_e32 v0, 32, v0
	s_delay_alu instid0(VALU_DEP_1) | instskip(NEXT) | instid1(VALU_DEP_1)
	v_subrev_nc_u32_e32 v64, 28, v0
	v_lshlrev_b64_e32 v[66:67], v64, v[74:75]
	s_delay_alu instid0(VALU_DEP_1)
	v_dual_sub_nc_u32 v64, 29, v0 :: v_dual_bitop2_b32 v74, 7, v66 bitop3:0x40
; %bb.1665:                             ;   in Loop: Header=BB200_1066 Depth=1
	s_or_b32 exec_lo, exec_lo, s16
	s_delay_alu instid0(VALU_DEP_1) | instskip(NEXT) | instid1(VALU_DEP_2)
	v_dual_lshlrev_b32 v0, 24, v53 :: v_dual_lshlrev_b32 v53, 20, v74
	v_lshl_add_u32 v64, v64, 23, 0x3c000000
	s_delay_alu instid0(VALU_DEP_2) | instskip(NEXT) | instid1(VALU_DEP_1)
	v_and_b32_e32 v0, 0x80000000, v0
	v_or3_b32 v74, v53, v0, v64
	s_delay_alu instid0(VALU_DEP_1)
	v_mov_b64_e32 v[64:65], v[74:75]
.LBB200_1666:                           ;   in Loop: Header=BB200_1066 Depth=1
	s_or_b32 exec_lo, exec_lo, s9
.LBB200_1667:                           ;   in Loop: Header=BB200_1066 Depth=1
	s_delay_alu instid0(SALU_CYCLE_1)
	s_or_b32 exec_lo, exec_lo, s8
.LBB200_1668:                           ;   in Loop: Header=BB200_1066 Depth=1
	s_delay_alu instid0(SALU_CYCLE_1) | instskip(NEXT) | instid1(SALU_CYCLE_1)
	s_or_b32 exec_lo, exec_lo, s3
	s_mov_b32 s3, exec_lo
	v_cmpx_lt_u32_e32 0xffffff, v52
	s_cbranch_execz .LBB200_1676
; %bb.1669:                             ;   in Loop: Header=BB200_1066 Depth=1
	v_mov_b64_e32 v[54:55], 0x8000000000000000
	v_lshrrev_b32_e32 v53, 24, v52
	s_mov_b32 s8, exec_lo
	s_delay_alu instid0(VALU_DEP_1)
	v_cmpx_ne_u32_e32 0x80, v53
	s_cbranch_execz .LBB200_1675
; %bb.1670:                             ;   in Loop: Header=BB200_1066 Depth=1
	v_mov_b64_e32 v[54:55], 0x7f80000100000000
	v_bfe_u32 v66, v52, 24, 7
	s_mov_b32 s9, exec_lo
	s_delay_alu instid0(VALU_DEP_1)
	v_cmpx_ne_u32_e32 0x7f, v66
	s_cbranch_execz .LBB200_1674
; %bb.1671:                             ;   in Loop: Header=BB200_1066 Depth=1
	v_dual_lshrrev_b32 v52, 3, v66 :: v_dual_bitop2_b32 v74, 7, v53 bitop3:0x40
	s_mov_b32 s16, exec_lo
	v_cmpx_gt_u32_e32 8, v66
; %bb.1672:                             ;   in Loop: Header=BB200_1066 Depth=1
	s_delay_alu instid0(VALU_DEP_2) | instskip(NEXT) | instid1(VALU_DEP_1)
	v_clz_i32_u32_e32 v0, v74
	v_min_u32_e32 v0, 32, v0
	s_delay_alu instid0(VALU_DEP_1) | instskip(NEXT) | instid1(VALU_DEP_1)
	v_subrev_nc_u32_e32 v52, 28, v0
	v_lshlrev_b64_e32 v[54:55], v52, v[74:75]
	s_delay_alu instid0(VALU_DEP_1)
	v_dual_sub_nc_u32 v52, 29, v0 :: v_dual_bitop2_b32 v74, 7, v54 bitop3:0x40
; %bb.1673:                             ;   in Loop: Header=BB200_1066 Depth=1
	s_or_b32 exec_lo, exec_lo, s16
	s_delay_alu instid0(VALU_DEP_1) | instskip(NEXT) | instid1(VALU_DEP_2)
	v_dual_lshlrev_b32 v0, 24, v53 :: v_dual_lshlrev_b32 v53, 20, v74
	v_lshl_add_u32 v52, v52, 23, 0x3c000000
	v_mov_b32_e32 v54, v75
	s_delay_alu instid0(VALU_DEP_3) | instskip(NEXT) | instid1(VALU_DEP_1)
	v_and_b32_e32 v0, 0x80000000, v0
	v_or3_b32 v55, v53, v0, v52
.LBB200_1674:                           ;   in Loop: Header=BB200_1066 Depth=1
	s_or_b32 exec_lo, exec_lo, s9
.LBB200_1675:                           ;   in Loop: Header=BB200_1066 Depth=1
	s_delay_alu instid0(SALU_CYCLE_1)
	s_or_b32 exec_lo, exec_lo, s8
.LBB200_1676:                           ;   in Loop: Header=BB200_1066 Depth=1
	s_delay_alu instid0(SALU_CYCLE_1) | instskip(SKIP_4) | instid1(VALU_DEP_3)
	s_or_b32 exec_lo, exec_lo, s3
	v_or_b32_e32 v49, v49, v51
	v_or_b32_e32 v48, v48, v50
	;; [unrolled: 1-line block ×4, first 2 shown]
	v_pk_mul_f32 v[124:125], v[38:39], v[48:49]
	s_delay_alu instid0(VALU_DEP_2)
	v_pk_mul_f32 v[122:123], v[38:39], v[50:51]
	s_and_saveexec_b32 s3, vcc_lo
	s_cbranch_execz .LBB200_1678
; %bb.1677:                             ;   in Loop: Header=BB200_1066 Depth=1
	scratch_load_b64 v[48:49], off, s32 offset:192 ; 8-byte Folded Reload
	s_wait_loadcnt 0x0
	v_mov_b32_e32 v0, v48
	s_delay_alu instid0(VALU_DEP_1) | instskip(NEXT) | instid1(VALU_DEP_1)
	v_cmp_lt_i32_e64 s0, v1, v0
	v_cndmask_b32_e64 v124, 0, v124, s0
	v_cmp_lt_i32_e64 s0, v77, v0
	s_delay_alu instid0(VALU_DEP_1) | instskip(SKIP_1) | instid1(VALU_DEP_1)
	v_cndmask_b32_e64 v125, 0, v125, s0
	v_cmp_lt_i32_e64 s0, v73, v0
	v_cndmask_b32_e64 v122, 0, v122, s0
	v_cmp_lt_i32_e64 s0, v72, v0
	s_delay_alu instid0(VALU_DEP_1)
	v_cndmask_b32_e64 v123, 0, v123, s0
.LBB200_1678:                           ;   in Loop: Header=BB200_1066 Depth=1
	s_wait_xcnt 0x0
	s_or_b32 exec_lo, exec_lo, s3
	flat_load_b32 v52, v[96:97] offset:2304
	v_mov_b64_e32 v[48:49], 0
	v_mov_b64_e32 v[50:51], 0
	s_mov_b32 s3, exec_lo
	s_wait_loadcnt_dscnt 0x0
	v_and_b32_e32 v53, 0xff, v52
	s_wait_xcnt 0x0
	s_delay_alu instid0(VALU_DEP_1)
	v_cmpx_ne_u16_e32 0, v53
	s_cbranch_execz .LBB200_1686
; %bb.1679:                             ;   in Loop: Header=BB200_1066 Depth=1
	v_mov_b64_e32 v[50:51], 0x80000000
	s_mov_b32 s8, exec_lo
	v_cmpx_ne_u16_e32 0x80, v53
	s_cbranch_execz .LBB200_1685
; %bb.1680:                             ;   in Loop: Header=BB200_1066 Depth=1
	v_mov_b64_e32 v[50:51], 0x7f800001
	v_and_b32_e32 v53, 0x7f, v52
	s_mov_b32 s9, exec_lo
	s_delay_alu instid0(VALU_DEP_1)
	v_cmpx_ne_u32_e32 0x7f, v53
	s_cbranch_execz .LBB200_1684
; %bb.1681:                             ;   in Loop: Header=BB200_1066 Depth=1
	v_dual_lshrrev_b32 v50, 3, v53 :: v_dual_bitop2_b32 v74, 7, v52 bitop3:0x40
	s_mov_b32 s16, exec_lo
	v_cmpx_gt_u32_e32 8, v53
; %bb.1682:                             ;   in Loop: Header=BB200_1066 Depth=1
	s_delay_alu instid0(VALU_DEP_2) | instskip(NEXT) | instid1(VALU_DEP_1)
	v_clz_i32_u32_e32 v0, v74
	v_min_u32_e32 v0, 32, v0
	s_delay_alu instid0(VALU_DEP_1) | instskip(NEXT) | instid1(VALU_DEP_1)
	v_subrev_nc_u32_e32 v50, 28, v0
	v_lshlrev_b64_e32 v[54:55], v50, v[74:75]
	s_delay_alu instid0(VALU_DEP_1)
	v_dual_sub_nc_u32 v50, 29, v0 :: v_dual_bitop2_b32 v74, 7, v54 bitop3:0x40
; %bb.1683:                             ;   in Loop: Header=BB200_1066 Depth=1
	s_or_b32 exec_lo, exec_lo, s16
	s_delay_alu instid0(VALU_DEP_1) | instskip(NEXT) | instid1(VALU_DEP_2)
	v_dual_lshlrev_b32 v0, 24, v52 :: v_dual_lshlrev_b32 v51, 20, v74
	v_lshl_add_u32 v50, v50, 23, 0x3c000000
	s_delay_alu instid0(VALU_DEP_2) | instskip(NEXT) | instid1(VALU_DEP_1)
	v_and_b32_e32 v0, 0x80000000, v0
	v_or3_b32 v74, v51, v0, v50
	s_delay_alu instid0(VALU_DEP_1)
	v_mov_b64_e32 v[50:51], v[74:75]
.LBB200_1684:                           ;   in Loop: Header=BB200_1066 Depth=1
	s_or_b32 exec_lo, exec_lo, s9
.LBB200_1685:                           ;   in Loop: Header=BB200_1066 Depth=1
	s_delay_alu instid0(SALU_CYCLE_1)
	s_or_b32 exec_lo, exec_lo, s8
.LBB200_1686:                           ;   in Loop: Header=BB200_1066 Depth=1
	s_delay_alu instid0(SALU_CYCLE_1) | instskip(SKIP_2) | instid1(VALU_DEP_1)
	s_or_b32 exec_lo, exec_lo, s3
	v_lshrrev_b16 v53, 8, v52
	s_mov_b32 s3, exec_lo
	v_cmpx_ne_u16_e32 0, v53
	s_cbranch_execz .LBB200_1694
; %bb.1687:                             ;   in Loop: Header=BB200_1066 Depth=1
	v_mov_b64_e32 v[48:49], 0x8000000000000000
	s_mov_b32 s8, exec_lo
	v_cmpx_ne_u16_e32 0x80, v53
	s_cbranch_execz .LBB200_1693
; %bb.1688:                             ;   in Loop: Header=BB200_1066 Depth=1
	v_and_b32_e32 v54, 0xffff, v53
	v_mov_b64_e32 v[48:49], 0x7f80000100000000
	s_mov_b32 s9, exec_lo
	s_delay_alu instid0(VALU_DEP_2) | instskip(NEXT) | instid1(VALU_DEP_1)
	v_and_b32_e32 v53, 0x7f, v54
	v_cmpx_ne_u32_e32 0x7f, v53
	s_cbranch_execz .LBB200_1692
; %bb.1689:                             ;   in Loop: Header=BB200_1066 Depth=1
	v_dual_lshrrev_b32 v48, 3, v53 :: v_dual_bitop2_b32 v74, 7, v54 bitop3:0x40
	s_mov_b32 s16, exec_lo
	v_cmpx_gt_u32_e32 8, v53
; %bb.1690:                             ;   in Loop: Header=BB200_1066 Depth=1
	s_delay_alu instid0(VALU_DEP_2) | instskip(NEXT) | instid1(VALU_DEP_1)
	v_clz_i32_u32_e32 v0, v74
	v_min_u32_e32 v0, 32, v0
	s_delay_alu instid0(VALU_DEP_1) | instskip(NEXT) | instid1(VALU_DEP_1)
	v_subrev_nc_u32_e32 v48, 28, v0
	v_lshlrev_b64_e32 v[54:55], v48, v[74:75]
	s_delay_alu instid0(VALU_DEP_1)
	v_dual_sub_nc_u32 v48, 29, v0 :: v_dual_bitop2_b32 v74, 7, v54 bitop3:0x40
; %bb.1691:                             ;   in Loop: Header=BB200_1066 Depth=1
	s_or_b32 exec_lo, exec_lo, s16
	s_delay_alu instid0(VALU_DEP_1) | instskip(NEXT) | instid1(VALU_DEP_2)
	v_dual_lshlrev_b32 v0, 16, v52 :: v_dual_lshlrev_b32 v49, 20, v74
	v_lshl_add_u32 v48, v48, 23, 0x3c000000
	s_delay_alu instid0(VALU_DEP_2) | instskip(NEXT) | instid1(VALU_DEP_1)
	v_and_b32_e32 v0, 0x80000000, v0
	v_or3_b32 v49, v49, v0, v48
	v_mov_b32_e32 v48, v75
.LBB200_1692:                           ;   in Loop: Header=BB200_1066 Depth=1
	s_or_b32 exec_lo, exec_lo, s9
.LBB200_1693:                           ;   in Loop: Header=BB200_1066 Depth=1
	s_delay_alu instid0(SALU_CYCLE_1)
	s_or_b32 exec_lo, exec_lo, s8
.LBB200_1694:                           ;   in Loop: Header=BB200_1066 Depth=1
	s_delay_alu instid0(SALU_CYCLE_1) | instskip(SKIP_4) | instid1(VALU_DEP_3)
	s_or_b32 exec_lo, exec_lo, s3
	v_lshrrev_b32_e32 v53, 16, v52
	v_mov_b64_e32 v[54:55], 0
	v_mov_b64_e32 v[64:65], 0
	s_mov_b32 s3, exec_lo
	v_and_b32_e32 v66, 0xff, v53
	s_delay_alu instid0(VALU_DEP_1)
	v_cmpx_ne_u16_e32 0, v66
	s_cbranch_execz .LBB200_1702
; %bb.1695:                             ;   in Loop: Header=BB200_1066 Depth=1
	v_mov_b64_e32 v[64:65], 0x80000000
	s_mov_b32 s8, exec_lo
	v_cmpx_ne_u16_e32 0x80, v66
	s_cbranch_execz .LBB200_1701
; %bb.1696:                             ;   in Loop: Header=BB200_1066 Depth=1
	v_mov_b64_e32 v[64:65], 0x7f800001
	v_bfe_u32 v66, v52, 16, 7
	s_mov_b32 s9, exec_lo
	s_delay_alu instid0(VALU_DEP_1)
	v_cmpx_ne_u32_e32 0x7f, v66
	s_cbranch_execz .LBB200_1700
; %bb.1697:                             ;   in Loop: Header=BB200_1066 Depth=1
	v_dual_lshrrev_b32 v64, 3, v66 :: v_dual_bitop2_b32 v74, 7, v53 bitop3:0x40
	s_mov_b32 s16, exec_lo
	v_cmpx_gt_u32_e32 8, v66
; %bb.1698:                             ;   in Loop: Header=BB200_1066 Depth=1
	s_delay_alu instid0(VALU_DEP_2) | instskip(NEXT) | instid1(VALU_DEP_1)
	v_clz_i32_u32_e32 v0, v74
	v_min_u32_e32 v0, 32, v0
	s_delay_alu instid0(VALU_DEP_1) | instskip(NEXT) | instid1(VALU_DEP_1)
	v_subrev_nc_u32_e32 v64, 28, v0
	v_lshlrev_b64_e32 v[66:67], v64, v[74:75]
	s_delay_alu instid0(VALU_DEP_1)
	v_dual_sub_nc_u32 v64, 29, v0 :: v_dual_bitop2_b32 v74, 7, v66 bitop3:0x40
; %bb.1699:                             ;   in Loop: Header=BB200_1066 Depth=1
	s_or_b32 exec_lo, exec_lo, s16
	s_delay_alu instid0(VALU_DEP_1) | instskip(NEXT) | instid1(VALU_DEP_2)
	v_dual_lshlrev_b32 v0, 24, v53 :: v_dual_lshlrev_b32 v53, 20, v74
	v_lshl_add_u32 v64, v64, 23, 0x3c000000
	s_delay_alu instid0(VALU_DEP_2) | instskip(NEXT) | instid1(VALU_DEP_1)
	v_and_b32_e32 v0, 0x80000000, v0
	v_or3_b32 v74, v53, v0, v64
	s_delay_alu instid0(VALU_DEP_1)
	v_mov_b64_e32 v[64:65], v[74:75]
.LBB200_1700:                           ;   in Loop: Header=BB200_1066 Depth=1
	s_or_b32 exec_lo, exec_lo, s9
.LBB200_1701:                           ;   in Loop: Header=BB200_1066 Depth=1
	s_delay_alu instid0(SALU_CYCLE_1)
	s_or_b32 exec_lo, exec_lo, s8
.LBB200_1702:                           ;   in Loop: Header=BB200_1066 Depth=1
	s_delay_alu instid0(SALU_CYCLE_1) | instskip(NEXT) | instid1(SALU_CYCLE_1)
	s_or_b32 exec_lo, exec_lo, s3
	s_mov_b32 s3, exec_lo
	v_cmpx_lt_u32_e32 0xffffff, v52
	s_cbranch_execz .LBB200_1710
; %bb.1703:                             ;   in Loop: Header=BB200_1066 Depth=1
	v_mov_b64_e32 v[54:55], 0x8000000000000000
	v_lshrrev_b32_e32 v53, 24, v52
	s_mov_b32 s8, exec_lo
	s_delay_alu instid0(VALU_DEP_1)
	v_cmpx_ne_u32_e32 0x80, v53
	s_cbranch_execz .LBB200_1709
; %bb.1704:                             ;   in Loop: Header=BB200_1066 Depth=1
	v_mov_b64_e32 v[54:55], 0x7f80000100000000
	v_bfe_u32 v66, v52, 24, 7
	s_mov_b32 s9, exec_lo
	s_delay_alu instid0(VALU_DEP_1)
	v_cmpx_ne_u32_e32 0x7f, v66
	s_cbranch_execz .LBB200_1708
; %bb.1705:                             ;   in Loop: Header=BB200_1066 Depth=1
	v_dual_lshrrev_b32 v52, 3, v66 :: v_dual_bitop2_b32 v74, 7, v53 bitop3:0x40
	s_mov_b32 s16, exec_lo
	v_cmpx_gt_u32_e32 8, v66
; %bb.1706:                             ;   in Loop: Header=BB200_1066 Depth=1
	s_delay_alu instid0(VALU_DEP_2) | instskip(NEXT) | instid1(VALU_DEP_1)
	v_clz_i32_u32_e32 v0, v74
	v_min_u32_e32 v0, 32, v0
	s_delay_alu instid0(VALU_DEP_1) | instskip(NEXT) | instid1(VALU_DEP_1)
	v_subrev_nc_u32_e32 v52, 28, v0
	v_lshlrev_b64_e32 v[54:55], v52, v[74:75]
	s_delay_alu instid0(VALU_DEP_1)
	v_dual_sub_nc_u32 v52, 29, v0 :: v_dual_bitop2_b32 v74, 7, v54 bitop3:0x40
; %bb.1707:                             ;   in Loop: Header=BB200_1066 Depth=1
	s_or_b32 exec_lo, exec_lo, s16
	s_delay_alu instid0(VALU_DEP_1) | instskip(NEXT) | instid1(VALU_DEP_2)
	v_dual_lshlrev_b32 v0, 24, v53 :: v_dual_lshlrev_b32 v53, 20, v74
	v_lshl_add_u32 v52, v52, 23, 0x3c000000
	v_mov_b32_e32 v54, v75
	s_delay_alu instid0(VALU_DEP_3) | instskip(NEXT) | instid1(VALU_DEP_1)
	v_and_b32_e32 v0, 0x80000000, v0
	v_or3_b32 v55, v53, v0, v52
.LBB200_1708:                           ;   in Loop: Header=BB200_1066 Depth=1
	s_or_b32 exec_lo, exec_lo, s9
.LBB200_1709:                           ;   in Loop: Header=BB200_1066 Depth=1
	s_delay_alu instid0(SALU_CYCLE_1)
	s_or_b32 exec_lo, exec_lo, s8
.LBB200_1710:                           ;   in Loop: Header=BB200_1066 Depth=1
	s_delay_alu instid0(SALU_CYCLE_1) | instskip(SKIP_4) | instid1(VALU_DEP_3)
	s_or_b32 exec_lo, exec_lo, s3
	v_or_b32_e32 v49, v49, v51
	v_or_b32_e32 v48, v48, v50
	;; [unrolled: 1-line block ×4, first 2 shown]
	v_pk_mul_f32 v[48:49], v[38:39], v[48:49]
	s_delay_alu instid0(VALU_DEP_2)
	v_pk_mul_f32 v[126:127], v[38:39], v[50:51]
	s_and_saveexec_b32 s3, vcc_lo
	s_cbranch_execz .LBB200_1712
; %bb.1711:                             ;   in Loop: Header=BB200_1066 Depth=1
	scratch_load_b64 v[50:51], off, s32 offset:192 ; 8-byte Folded Reload
	s_wait_loadcnt 0x0
	v_mov_b32_e32 v0, v50
	s_delay_alu instid0(VALU_DEP_1) | instskip(NEXT) | instid1(VALU_DEP_1)
	v_cmp_lt_i32_e64 s0, v1, v0
	v_cndmask_b32_e64 v48, 0, v48, s0
	v_cmp_lt_i32_e64 s0, v77, v0
	s_delay_alu instid0(VALU_DEP_1) | instskip(SKIP_1) | instid1(VALU_DEP_1)
	v_cndmask_b32_e64 v49, 0, v49, s0
	v_cmp_lt_i32_e64 s0, v73, v0
	v_cndmask_b32_e64 v126, 0, v126, s0
	v_cmp_lt_i32_e64 s0, v72, v0
	s_delay_alu instid0(VALU_DEP_1)
	v_cndmask_b32_e64 v127, 0, v127, s0
.LBB200_1712:                           ;   in Loop: Header=BB200_1066 Depth=1
	s_wait_xcnt 0x0
	s_or_b32 exec_lo, exec_lo, s3
	flat_load_b32 v52, v[96:97] offset:2432
	v_mov_b64_e32 v[50:51], 0
	v_mov_b64_e32 v[54:55], 0
	s_mov_b32 s3, exec_lo
	s_wait_loadcnt_dscnt 0x0
	v_and_b32_e32 v53, 0xff, v52
	s_wait_xcnt 0x0
	s_delay_alu instid0(VALU_DEP_1)
	v_cmpx_ne_u16_e32 0, v53
	s_cbranch_execz .LBB200_1720
; %bb.1713:                             ;   in Loop: Header=BB200_1066 Depth=1
	v_mov_b64_e32 v[54:55], 0x80000000
	s_mov_b32 s8, exec_lo
	v_cmpx_ne_u16_e32 0x80, v53
	s_cbranch_execz .LBB200_1719
; %bb.1714:                             ;   in Loop: Header=BB200_1066 Depth=1
	v_mov_b64_e32 v[54:55], 0x7f800001
	v_and_b32_e32 v64, 0x7f, v52
	s_mov_b32 s9, exec_lo
	s_delay_alu instid0(VALU_DEP_1)
	v_cmpx_ne_u32_e32 0x7f, v64
	s_cbranch_execz .LBB200_1718
; %bb.1715:                             ;   in Loop: Header=BB200_1066 Depth=1
	v_and_b32_e32 v74, 7, v52
	v_lshrrev_b32_e32 v53, 3, v64
	s_mov_b32 s16, exec_lo
	v_cmpx_gt_u32_e32 8, v64
; %bb.1716:                             ;   in Loop: Header=BB200_1066 Depth=1
	s_delay_alu instid0(VALU_DEP_3) | instskip(NEXT) | instid1(VALU_DEP_1)
	v_clz_i32_u32_e32 v0, v74
	v_min_u32_e32 v0, 32, v0
	s_delay_alu instid0(VALU_DEP_1) | instskip(NEXT) | instid1(VALU_DEP_1)
	v_subrev_nc_u32_e32 v53, 28, v0
	v_lshlrev_b64_e32 v[54:55], v53, v[74:75]
	s_delay_alu instid0(VALU_DEP_1)
	v_dual_sub_nc_u32 v53, 29, v0 :: v_dual_bitop2_b32 v74, 7, v54 bitop3:0x40
; %bb.1717:                             ;   in Loop: Header=BB200_1066 Depth=1
	s_or_b32 exec_lo, exec_lo, s16
	s_delay_alu instid0(VALU_DEP_1) | instskip(NEXT) | instid1(VALU_DEP_2)
	v_dual_lshlrev_b32 v0, 24, v52 :: v_dual_lshlrev_b32 v54, 20, v74
	v_lshl_add_u32 v53, v53, 23, 0x3c000000
	s_delay_alu instid0(VALU_DEP_2) | instskip(NEXT) | instid1(VALU_DEP_1)
	v_and_b32_e32 v0, 0x80000000, v0
	v_or3_b32 v74, v54, v0, v53
	s_delay_alu instid0(VALU_DEP_1)
	v_mov_b64_e32 v[54:55], v[74:75]
.LBB200_1718:                           ;   in Loop: Header=BB200_1066 Depth=1
	s_or_b32 exec_lo, exec_lo, s9
.LBB200_1719:                           ;   in Loop: Header=BB200_1066 Depth=1
	s_delay_alu instid0(SALU_CYCLE_1)
	s_or_b32 exec_lo, exec_lo, s8
.LBB200_1720:                           ;   in Loop: Header=BB200_1066 Depth=1
	s_delay_alu instid0(SALU_CYCLE_1) | instskip(SKIP_2) | instid1(VALU_DEP_1)
	s_or_b32 exec_lo, exec_lo, s3
	v_lshrrev_b16 v53, 8, v52
	s_mov_b32 s3, exec_lo
	v_cmpx_ne_u16_e32 0, v53
	s_cbranch_execz .LBB200_1728
; %bb.1721:                             ;   in Loop: Header=BB200_1066 Depth=1
	v_mov_b64_e32 v[50:51], 0x8000000000000000
	s_mov_b32 s8, exec_lo
	v_cmpx_ne_u16_e32 0x80, v53
	s_cbranch_execz .LBB200_1727
; %bb.1722:                             ;   in Loop: Header=BB200_1066 Depth=1
	v_and_b32_e32 v64, 0xffff, v53
	v_mov_b64_e32 v[50:51], 0x7f80000100000000
	s_mov_b32 s9, exec_lo
	s_delay_alu instid0(VALU_DEP_2) | instskip(NEXT) | instid1(VALU_DEP_1)
	v_and_b32_e32 v53, 0x7f, v64
	v_cmpx_ne_u32_e32 0x7f, v53
	s_cbranch_execz .LBB200_1726
; %bb.1723:                             ;   in Loop: Header=BB200_1066 Depth=1
	v_dual_lshrrev_b32 v50, 3, v53 :: v_dual_bitop2_b32 v74, 7, v64 bitop3:0x40
	s_mov_b32 s16, exec_lo
	v_cmpx_gt_u32_e32 8, v53
; %bb.1724:                             ;   in Loop: Header=BB200_1066 Depth=1
	s_delay_alu instid0(VALU_DEP_2) | instskip(NEXT) | instid1(VALU_DEP_1)
	v_clz_i32_u32_e32 v0, v74
	v_min_u32_e32 v0, 32, v0
	s_delay_alu instid0(VALU_DEP_1) | instskip(NEXT) | instid1(VALU_DEP_1)
	v_subrev_nc_u32_e32 v50, 28, v0
	v_lshlrev_b64_e32 v[64:65], v50, v[74:75]
	v_sub_nc_u32_e32 v50, 29, v0
	s_delay_alu instid0(VALU_DEP_2)
	v_and_b32_e32 v74, 7, v64
; %bb.1725:                             ;   in Loop: Header=BB200_1066 Depth=1
	s_or_b32 exec_lo, exec_lo, s16
	s_delay_alu instid0(VALU_DEP_1) | instskip(NEXT) | instid1(VALU_DEP_3)
	v_dual_lshlrev_b32 v0, 16, v52 :: v_dual_lshlrev_b32 v51, 20, v74
	v_lshl_add_u32 v50, v50, 23, 0x3c000000
	s_delay_alu instid0(VALU_DEP_2) | instskip(NEXT) | instid1(VALU_DEP_1)
	v_and_b32_e32 v0, 0x80000000, v0
	v_or3_b32 v51, v51, v0, v50
	v_mov_b32_e32 v50, v75
.LBB200_1726:                           ;   in Loop: Header=BB200_1066 Depth=1
	s_or_b32 exec_lo, exec_lo, s9
.LBB200_1727:                           ;   in Loop: Header=BB200_1066 Depth=1
	s_delay_alu instid0(SALU_CYCLE_1)
	s_or_b32 exec_lo, exec_lo, s8
.LBB200_1728:                           ;   in Loop: Header=BB200_1066 Depth=1
	s_delay_alu instid0(SALU_CYCLE_1) | instskip(SKIP_4) | instid1(VALU_DEP_3)
	s_or_b32 exec_lo, exec_lo, s3
	v_lshrrev_b32_e32 v53, 16, v52
	v_mov_b64_e32 v[64:65], 0
	v_mov_b64_e32 v[66:67], 0
	s_mov_b32 s3, exec_lo
	v_and_b32_e32 v68, 0xff, v53
	s_delay_alu instid0(VALU_DEP_1)
	v_cmpx_ne_u16_e32 0, v68
	s_cbranch_execz .LBB200_1736
; %bb.1729:                             ;   in Loop: Header=BB200_1066 Depth=1
	v_mov_b64_e32 v[66:67], 0x80000000
	s_mov_b32 s8, exec_lo
	v_cmpx_ne_u16_e32 0x80, v68
	s_cbranch_execz .LBB200_1735
; %bb.1730:                             ;   in Loop: Header=BB200_1066 Depth=1
	v_mov_b64_e32 v[66:67], 0x7f800001
	v_bfe_u32 v68, v52, 16, 7
	s_mov_b32 s9, exec_lo
	s_delay_alu instid0(VALU_DEP_1)
	v_cmpx_ne_u32_e32 0x7f, v68
	s_cbranch_execz .LBB200_1734
; %bb.1731:                             ;   in Loop: Header=BB200_1066 Depth=1
	v_dual_lshrrev_b32 v66, 3, v68 :: v_dual_bitop2_b32 v74, 7, v53 bitop3:0x40
	s_mov_b32 s16, exec_lo
	v_cmpx_gt_u32_e32 8, v68
; %bb.1732:                             ;   in Loop: Header=BB200_1066 Depth=1
	s_delay_alu instid0(VALU_DEP_2) | instskip(NEXT) | instid1(VALU_DEP_1)
	v_clz_i32_u32_e32 v0, v74
	v_min_u32_e32 v0, 32, v0
	s_delay_alu instid0(VALU_DEP_1) | instskip(NEXT) | instid1(VALU_DEP_1)
	v_subrev_nc_u32_e32 v66, 28, v0
	v_lshlrev_b64_e32 v[68:69], v66, v[74:75]
	v_sub_nc_u32_e32 v66, 29, v0
	s_delay_alu instid0(VALU_DEP_2)
	v_and_b32_e32 v74, 7, v68
; %bb.1733:                             ;   in Loop: Header=BB200_1066 Depth=1
	s_or_b32 exec_lo, exec_lo, s16
	s_delay_alu instid0(VALU_DEP_1) | instskip(NEXT) | instid1(VALU_DEP_3)
	v_dual_lshlrev_b32 v0, 24, v53 :: v_dual_lshlrev_b32 v53, 20, v74
	v_lshl_add_u32 v66, v66, 23, 0x3c000000
	s_delay_alu instid0(VALU_DEP_2) | instskip(NEXT) | instid1(VALU_DEP_1)
	v_and_b32_e32 v0, 0x80000000, v0
	v_or3_b32 v74, v53, v0, v66
	s_delay_alu instid0(VALU_DEP_1)
	v_mov_b64_e32 v[66:67], v[74:75]
.LBB200_1734:                           ;   in Loop: Header=BB200_1066 Depth=1
	s_or_b32 exec_lo, exec_lo, s9
.LBB200_1735:                           ;   in Loop: Header=BB200_1066 Depth=1
	s_delay_alu instid0(SALU_CYCLE_1)
	s_or_b32 exec_lo, exec_lo, s8
.LBB200_1736:                           ;   in Loop: Header=BB200_1066 Depth=1
	s_delay_alu instid0(SALU_CYCLE_1) | instskip(NEXT) | instid1(SALU_CYCLE_1)
	s_or_b32 exec_lo, exec_lo, s3
	s_mov_b32 s3, exec_lo
	v_cmpx_lt_u32_e32 0xffffff, v52
	s_cbranch_execz .LBB200_1744
; %bb.1737:                             ;   in Loop: Header=BB200_1066 Depth=1
	v_mov_b64_e32 v[64:65], 0x8000000000000000
	v_lshrrev_b32_e32 v53, 24, v52
	s_mov_b32 s8, exec_lo
	s_delay_alu instid0(VALU_DEP_1)
	v_cmpx_ne_u32_e32 0x80, v53
	s_cbranch_execz .LBB200_1743
; %bb.1738:                             ;   in Loop: Header=BB200_1066 Depth=1
	v_mov_b64_e32 v[64:65], 0x7f80000100000000
	v_bfe_u32 v68, v52, 24, 7
	s_mov_b32 s9, exec_lo
	s_delay_alu instid0(VALU_DEP_1)
	v_cmpx_ne_u32_e32 0x7f, v68
	s_cbranch_execz .LBB200_1742
; %bb.1739:                             ;   in Loop: Header=BB200_1066 Depth=1
	v_dual_lshrrev_b32 v52, 3, v68 :: v_dual_bitop2_b32 v74, 7, v53 bitop3:0x40
	s_mov_b32 s16, exec_lo
	v_cmpx_gt_u32_e32 8, v68
; %bb.1740:                             ;   in Loop: Header=BB200_1066 Depth=1
	s_delay_alu instid0(VALU_DEP_2) | instskip(NEXT) | instid1(VALU_DEP_1)
	v_clz_i32_u32_e32 v0, v74
	v_min_u32_e32 v0, 32, v0
	s_delay_alu instid0(VALU_DEP_1) | instskip(NEXT) | instid1(VALU_DEP_1)
	v_subrev_nc_u32_e32 v52, 28, v0
	v_lshlrev_b64_e32 v[64:65], v52, v[74:75]
	v_sub_nc_u32_e32 v52, 29, v0
	s_delay_alu instid0(VALU_DEP_2)
	v_and_b32_e32 v74, 7, v64
; %bb.1741:                             ;   in Loop: Header=BB200_1066 Depth=1
	s_or_b32 exec_lo, exec_lo, s16
	s_delay_alu instid0(VALU_DEP_1) | instskip(NEXT) | instid1(VALU_DEP_3)
	v_dual_lshlrev_b32 v0, 24, v53 :: v_dual_lshlrev_b32 v53, 20, v74
	v_lshl_add_u32 v52, v52, 23, 0x3c000000
	v_mov_b32_e32 v64, v75
	s_delay_alu instid0(VALU_DEP_3) | instskip(NEXT) | instid1(VALU_DEP_1)
	v_and_b32_e32 v0, 0x80000000, v0
	v_or3_b32 v65, v53, v0, v52
.LBB200_1742:                           ;   in Loop: Header=BB200_1066 Depth=1
	s_or_b32 exec_lo, exec_lo, s9
.LBB200_1743:                           ;   in Loop: Header=BB200_1066 Depth=1
	s_delay_alu instid0(SALU_CYCLE_1)
	s_or_b32 exec_lo, exec_lo, s8
.LBB200_1744:                           ;   in Loop: Header=BB200_1066 Depth=1
	s_delay_alu instid0(SALU_CYCLE_1) | instskip(SKIP_4) | instid1(VALU_DEP_3)
	s_or_b32 exec_lo, exec_lo, s3
	v_or_b32_e32 v51, v51, v55
	v_or_b32_e32 v50, v50, v54
	;; [unrolled: 1-line block ×4, first 2 shown]
	v_pk_mul_f32 v[54:55], v[38:39], v[50:51]
	s_delay_alu instid0(VALU_DEP_2)
	v_pk_mul_f32 v[50:51], v[38:39], v[52:53]
	s_and_saveexec_b32 s3, vcc_lo
	s_cbranch_execz .LBB200_1746
; %bb.1745:                             ;   in Loop: Header=BB200_1066 Depth=1
	scratch_load_b64 v[52:53], off, s32 offset:192 ; 8-byte Folded Reload
	s_wait_loadcnt 0x0
	v_mov_b32_e32 v0, v52
	s_delay_alu instid0(VALU_DEP_1) | instskip(NEXT) | instid1(VALU_DEP_1)
	v_cmp_lt_i32_e64 s0, v1, v0
	v_cndmask_b32_e64 v54, 0, v54, s0
	v_cmp_lt_i32_e64 s0, v77, v0
	s_delay_alu instid0(VALU_DEP_1) | instskip(SKIP_1) | instid1(VALU_DEP_1)
	v_cndmask_b32_e64 v55, 0, v55, s0
	v_cmp_lt_i32_e64 s0, v73, v0
	v_cndmask_b32_e64 v50, 0, v50, s0
	v_cmp_lt_i32_e64 s0, v72, v0
	s_delay_alu instid0(VALU_DEP_1)
	v_cndmask_b32_e64 v51, 0, v51, s0
.LBB200_1746:                           ;   in Loop: Header=BB200_1066 Depth=1
	s_wait_xcnt 0x0
	s_or_b32 exec_lo, exec_lo, s3
	flat_load_b32 v52, v[96:97] offset:2560
	v_mov_b64_e32 v[64:65], 0
	v_mov_b64_e32 v[66:67], 0
	s_mov_b32 s3, exec_lo
	s_wait_loadcnt_dscnt 0x0
	v_and_b32_e32 v53, 0xff, v52
	s_wait_xcnt 0x0
	s_delay_alu instid0(VALU_DEP_1)
	v_cmpx_ne_u16_e32 0, v53
	s_cbranch_execz .LBB200_1754
; %bb.1747:                             ;   in Loop: Header=BB200_1066 Depth=1
	v_mov_b64_e32 v[66:67], 0x80000000
	s_mov_b32 s8, exec_lo
	v_cmpx_ne_u16_e32 0x80, v53
	s_cbranch_execz .LBB200_1753
; %bb.1748:                             ;   in Loop: Header=BB200_1066 Depth=1
	v_mov_b64_e32 v[66:67], 0x7f800001
	v_and_b32_e32 v68, 0x7f, v52
	s_mov_b32 s9, exec_lo
	s_delay_alu instid0(VALU_DEP_1)
	v_cmpx_ne_u32_e32 0x7f, v68
	s_cbranch_execz .LBB200_1752
; %bb.1749:                             ;   in Loop: Header=BB200_1066 Depth=1
	v_and_b32_e32 v74, 7, v52
	v_lshrrev_b32_e32 v53, 3, v68
	s_mov_b32 s16, exec_lo
	v_cmpx_gt_u32_e32 8, v68
; %bb.1750:                             ;   in Loop: Header=BB200_1066 Depth=1
	s_delay_alu instid0(VALU_DEP_3) | instskip(NEXT) | instid1(VALU_DEP_1)
	v_clz_i32_u32_e32 v0, v74
	v_min_u32_e32 v0, 32, v0
	s_delay_alu instid0(VALU_DEP_1) | instskip(NEXT) | instid1(VALU_DEP_1)
	v_subrev_nc_u32_e32 v53, 28, v0
	v_lshlrev_b64_e32 v[66:67], v53, v[74:75]
	s_delay_alu instid0(VALU_DEP_1)
	v_dual_sub_nc_u32 v53, 29, v0 :: v_dual_bitop2_b32 v74, 7, v66 bitop3:0x40
; %bb.1751:                             ;   in Loop: Header=BB200_1066 Depth=1
	s_or_b32 exec_lo, exec_lo, s16
	s_delay_alu instid0(VALU_DEP_1) | instskip(NEXT) | instid1(VALU_DEP_2)
	v_dual_lshlrev_b32 v0, 24, v52 :: v_dual_lshlrev_b32 v66, 20, v74
	v_lshl_add_u32 v53, v53, 23, 0x3c000000
	s_delay_alu instid0(VALU_DEP_2) | instskip(NEXT) | instid1(VALU_DEP_1)
	v_and_b32_e32 v0, 0x80000000, v0
	v_or3_b32 v74, v66, v0, v53
	s_delay_alu instid0(VALU_DEP_1)
	v_mov_b64_e32 v[66:67], v[74:75]
.LBB200_1752:                           ;   in Loop: Header=BB200_1066 Depth=1
	s_or_b32 exec_lo, exec_lo, s9
.LBB200_1753:                           ;   in Loop: Header=BB200_1066 Depth=1
	s_delay_alu instid0(SALU_CYCLE_1)
	s_or_b32 exec_lo, exec_lo, s8
.LBB200_1754:                           ;   in Loop: Header=BB200_1066 Depth=1
	s_delay_alu instid0(SALU_CYCLE_1) | instskip(SKIP_2) | instid1(VALU_DEP_1)
	s_or_b32 exec_lo, exec_lo, s3
	v_lshrrev_b16 v53, 8, v52
	s_mov_b32 s3, exec_lo
	v_cmpx_ne_u16_e32 0, v53
	s_cbranch_execz .LBB200_1762
; %bb.1755:                             ;   in Loop: Header=BB200_1066 Depth=1
	v_mov_b64_e32 v[64:65], 0x8000000000000000
	s_mov_b32 s8, exec_lo
	v_cmpx_ne_u16_e32 0x80, v53
	s_cbranch_execz .LBB200_1761
; %bb.1756:                             ;   in Loop: Header=BB200_1066 Depth=1
	v_and_b32_e32 v53, 0xffff, v53
	v_mov_b64_e32 v[64:65], 0x7f80000100000000
	s_mov_b32 s9, exec_lo
	s_delay_alu instid0(VALU_DEP_2) | instskip(NEXT) | instid1(VALU_DEP_1)
	v_and_b32_e32 v68, 0x7f, v53
	v_cmpx_ne_u32_e32 0x7f, v68
	s_cbranch_execz .LBB200_1760
; %bb.1757:                             ;   in Loop: Header=BB200_1066 Depth=1
	v_dual_lshrrev_b32 v53, 3, v68 :: v_dual_bitop2_b32 v74, 7, v53 bitop3:0x40
	s_mov_b32 s16, exec_lo
	v_cmpx_gt_u32_e32 8, v68
; %bb.1758:                             ;   in Loop: Header=BB200_1066 Depth=1
	s_delay_alu instid0(VALU_DEP_2) | instskip(NEXT) | instid1(VALU_DEP_1)
	v_clz_i32_u32_e32 v0, v74
	v_min_u32_e32 v0, 32, v0
	s_delay_alu instid0(VALU_DEP_1) | instskip(NEXT) | instid1(VALU_DEP_1)
	v_subrev_nc_u32_e32 v53, 28, v0
	v_lshlrev_b64_e32 v[64:65], v53, v[74:75]
	v_sub_nc_u32_e32 v53, 29, v0
	s_delay_alu instid0(VALU_DEP_2)
	v_and_b32_e32 v74, 7, v64
; %bb.1759:                             ;   in Loop: Header=BB200_1066 Depth=1
	s_or_b32 exec_lo, exec_lo, s16
	s_delay_alu instid0(VALU_DEP_1) | instskip(NEXT) | instid1(VALU_DEP_3)
	v_dual_lshlrev_b32 v0, 16, v52 :: v_dual_lshlrev_b32 v64, 20, v74
	v_lshl_add_u32 v53, v53, 23, 0x3c000000
	s_delay_alu instid0(VALU_DEP_2) | instskip(NEXT) | instid1(VALU_DEP_1)
	v_and_b32_e32 v0, 0x80000000, v0
	v_or3_b32 v65, v64, v0, v53
	v_mov_b32_e32 v64, v75
.LBB200_1760:                           ;   in Loop: Header=BB200_1066 Depth=1
	s_or_b32 exec_lo, exec_lo, s9
.LBB200_1761:                           ;   in Loop: Header=BB200_1066 Depth=1
	s_delay_alu instid0(SALU_CYCLE_1)
	s_or_b32 exec_lo, exec_lo, s8
.LBB200_1762:                           ;   in Loop: Header=BB200_1066 Depth=1
	s_delay_alu instid0(SALU_CYCLE_1) | instskip(SKIP_4) | instid1(VALU_DEP_3)
	s_or_b32 exec_lo, exec_lo, s3
	v_lshrrev_b32_e32 v53, 16, v52
	v_mov_b64_e32 v[68:69], 0
	v_mov_b64_e32 v[70:71], 0
	s_mov_b32 s3, exec_lo
	v_and_b32_e32 v80, 0xff, v53
	s_delay_alu instid0(VALU_DEP_1)
	v_cmpx_ne_u16_e32 0, v80
	s_cbranch_execz .LBB200_1770
; %bb.1763:                             ;   in Loop: Header=BB200_1066 Depth=1
	v_mov_b64_e32 v[70:71], 0x80000000
	s_mov_b32 s8, exec_lo
	v_cmpx_ne_u16_e32 0x80, v80
	s_cbranch_execz .LBB200_1769
; %bb.1764:                             ;   in Loop: Header=BB200_1066 Depth=1
	v_mov_b64_e32 v[70:71], 0x7f800001
	v_bfe_u32 v80, v52, 16, 7
	s_mov_b32 s9, exec_lo
	s_delay_alu instid0(VALU_DEP_1)
	v_cmpx_ne_u32_e32 0x7f, v80
	s_cbranch_execz .LBB200_1768
; %bb.1765:                             ;   in Loop: Header=BB200_1066 Depth=1
	v_dual_lshrrev_b32 v70, 3, v80 :: v_dual_bitop2_b32 v74, 7, v53 bitop3:0x40
	s_mov_b32 s16, exec_lo
	v_cmpx_gt_u32_e32 8, v80
; %bb.1766:                             ;   in Loop: Header=BB200_1066 Depth=1
	s_delay_alu instid0(VALU_DEP_2) | instskip(NEXT) | instid1(VALU_DEP_1)
	v_clz_i32_u32_e32 v0, v74
	v_min_u32_e32 v0, 32, v0
	s_delay_alu instid0(VALU_DEP_1) | instskip(NEXT) | instid1(VALU_DEP_1)
	v_subrev_nc_u32_e32 v70, 28, v0
	v_lshlrev_b64_e32 v[80:81], v70, v[74:75]
	v_sub_nc_u32_e32 v70, 29, v0
	s_delay_alu instid0(VALU_DEP_2)
	v_and_b32_e32 v74, 7, v80
; %bb.1767:                             ;   in Loop: Header=BB200_1066 Depth=1
	s_or_b32 exec_lo, exec_lo, s16
	s_delay_alu instid0(VALU_DEP_1) | instskip(NEXT) | instid1(VALU_DEP_3)
	v_dual_lshlrev_b32 v0, 24, v53 :: v_dual_lshlrev_b32 v53, 20, v74
	v_lshl_add_u32 v70, v70, 23, 0x3c000000
	s_delay_alu instid0(VALU_DEP_2) | instskip(NEXT) | instid1(VALU_DEP_1)
	v_and_b32_e32 v0, 0x80000000, v0
	v_or3_b32 v74, v53, v0, v70
	s_delay_alu instid0(VALU_DEP_1)
	v_mov_b64_e32 v[70:71], v[74:75]
.LBB200_1768:                           ;   in Loop: Header=BB200_1066 Depth=1
	s_or_b32 exec_lo, exec_lo, s9
.LBB200_1769:                           ;   in Loop: Header=BB200_1066 Depth=1
	s_delay_alu instid0(SALU_CYCLE_1)
	s_or_b32 exec_lo, exec_lo, s8
.LBB200_1770:                           ;   in Loop: Header=BB200_1066 Depth=1
	s_delay_alu instid0(SALU_CYCLE_1) | instskip(NEXT) | instid1(SALU_CYCLE_1)
	s_or_b32 exec_lo, exec_lo, s3
	s_mov_b32 s3, exec_lo
	v_cmpx_lt_u32_e32 0xffffff, v52
	s_cbranch_execz .LBB200_1778
; %bb.1771:                             ;   in Loop: Header=BB200_1066 Depth=1
	v_mov_b64_e32 v[68:69], 0x8000000000000000
	v_lshrrev_b32_e32 v53, 24, v52
	s_mov_b32 s8, exec_lo
	s_delay_alu instid0(VALU_DEP_1)
	v_cmpx_ne_u32_e32 0x80, v53
	s_cbranch_execz .LBB200_1777
; %bb.1772:                             ;   in Loop: Header=BB200_1066 Depth=1
	v_mov_b64_e32 v[68:69], 0x7f80000100000000
	v_bfe_u32 v80, v52, 24, 7
	s_mov_b32 s9, exec_lo
	s_delay_alu instid0(VALU_DEP_1)
	v_cmpx_ne_u32_e32 0x7f, v80
	s_cbranch_execz .LBB200_1776
; %bb.1773:                             ;   in Loop: Header=BB200_1066 Depth=1
	v_dual_lshrrev_b32 v52, 3, v80 :: v_dual_bitop2_b32 v74, 7, v53 bitop3:0x40
	s_mov_b32 s16, exec_lo
	v_cmpx_gt_u32_e32 8, v80
; %bb.1774:                             ;   in Loop: Header=BB200_1066 Depth=1
	s_delay_alu instid0(VALU_DEP_2) | instskip(NEXT) | instid1(VALU_DEP_1)
	v_clz_i32_u32_e32 v0, v74
	v_min_u32_e32 v0, 32, v0
	s_delay_alu instid0(VALU_DEP_1) | instskip(NEXT) | instid1(VALU_DEP_1)
	v_subrev_nc_u32_e32 v52, 28, v0
	v_lshlrev_b64_e32 v[68:69], v52, v[74:75]
	v_sub_nc_u32_e32 v52, 29, v0
	s_delay_alu instid0(VALU_DEP_2)
	v_and_b32_e32 v74, 7, v68
; %bb.1775:                             ;   in Loop: Header=BB200_1066 Depth=1
	s_or_b32 exec_lo, exec_lo, s16
	s_delay_alu instid0(VALU_DEP_1) | instskip(NEXT) | instid1(VALU_DEP_3)
	v_dual_lshlrev_b32 v0, 24, v53 :: v_dual_lshlrev_b32 v53, 20, v74
	v_lshl_add_u32 v52, v52, 23, 0x3c000000
	v_mov_b32_e32 v68, v75
	s_delay_alu instid0(VALU_DEP_3) | instskip(NEXT) | instid1(VALU_DEP_1)
	v_and_b32_e32 v0, 0x80000000, v0
	v_or3_b32 v69, v53, v0, v52
.LBB200_1776:                           ;   in Loop: Header=BB200_1066 Depth=1
	s_or_b32 exec_lo, exec_lo, s9
.LBB200_1777:                           ;   in Loop: Header=BB200_1066 Depth=1
	s_delay_alu instid0(SALU_CYCLE_1)
	s_or_b32 exec_lo, exec_lo, s8
.LBB200_1778:                           ;   in Loop: Header=BB200_1066 Depth=1
	s_delay_alu instid0(SALU_CYCLE_1) | instskip(SKIP_4) | instid1(VALU_DEP_3)
	s_or_b32 exec_lo, exec_lo, s3
	v_or_b32_e32 v53, v65, v67
	v_or_b32_e32 v52, v64, v66
	;; [unrolled: 1-line block ×4, first 2 shown]
	v_pk_mul_f32 v[66:67], v[38:39], v[52:53]
	s_delay_alu instid0(VALU_DEP_2)
	v_pk_mul_f32 v[82:83], v[38:39], v[64:65]
	s_and_saveexec_b32 s3, vcc_lo
	s_cbranch_execz .LBB200_1780
; %bb.1779:                             ;   in Loop: Header=BB200_1066 Depth=1
	scratch_load_b64 v[52:53], off, s32 offset:192 ; 8-byte Folded Reload
	s_wait_loadcnt 0x0
	v_mov_b32_e32 v0, v52
	s_delay_alu instid0(VALU_DEP_1) | instskip(NEXT) | instid1(VALU_DEP_1)
	v_cmp_lt_i32_e64 s0, v1, v0
	v_cndmask_b32_e64 v66, 0, v66, s0
	v_cmp_lt_i32_e64 s0, v77, v0
	s_delay_alu instid0(VALU_DEP_1) | instskip(SKIP_1) | instid1(VALU_DEP_1)
	v_cndmask_b32_e64 v67, 0, v67, s0
	v_cmp_lt_i32_e64 s0, v73, v0
	v_cndmask_b32_e64 v82, 0, v82, s0
	v_cmp_lt_i32_e64 s0, v72, v0
	s_delay_alu instid0(VALU_DEP_1)
	v_cndmask_b32_e64 v83, 0, v83, s0
.LBB200_1780:                           ;   in Loop: Header=BB200_1066 Depth=1
	s_wait_xcnt 0x0
	s_or_b32 exec_lo, exec_lo, s3
	flat_load_b32 v52, v[96:97] offset:2688
	v_mov_b64_e32 v[64:65], 0
	v_mov_b64_e32 v[68:69], 0
	s_mov_b32 s3, exec_lo
	s_wait_loadcnt_dscnt 0x0
	v_and_b32_e32 v53, 0xff, v52
	s_wait_xcnt 0x0
	s_delay_alu instid0(VALU_DEP_1)
	v_cmpx_ne_u16_e32 0, v53
	s_cbranch_execz .LBB200_1788
; %bb.1781:                             ;   in Loop: Header=BB200_1066 Depth=1
	v_mov_b64_e32 v[68:69], 0x80000000
	s_mov_b32 s8, exec_lo
	v_cmpx_ne_u16_e32 0x80, v53
	s_cbranch_execz .LBB200_1787
; %bb.1782:                             ;   in Loop: Header=BB200_1066 Depth=1
	v_mov_b64_e32 v[68:69], 0x7f800001
	v_and_b32_e32 v70, 0x7f, v52
	s_mov_b32 s9, exec_lo
	s_delay_alu instid0(VALU_DEP_1)
	v_cmpx_ne_u32_e32 0x7f, v70
	s_cbranch_execz .LBB200_1786
; %bb.1783:                             ;   in Loop: Header=BB200_1066 Depth=1
	v_dual_lshrrev_b32 v53, 3, v70 :: v_dual_bitop2_b32 v74, 7, v52 bitop3:0x40
	s_mov_b32 s16, exec_lo
	v_cmpx_gt_u32_e32 8, v70
; %bb.1784:                             ;   in Loop: Header=BB200_1066 Depth=1
	s_delay_alu instid0(VALU_DEP_2) | instskip(NEXT) | instid1(VALU_DEP_1)
	v_clz_i32_u32_e32 v0, v74
	v_min_u32_e32 v0, 32, v0
	s_delay_alu instid0(VALU_DEP_1) | instskip(NEXT) | instid1(VALU_DEP_1)
	v_subrev_nc_u32_e32 v53, 28, v0
	v_lshlrev_b64_e32 v[68:69], v53, v[74:75]
	v_sub_nc_u32_e32 v53, 29, v0
	s_delay_alu instid0(VALU_DEP_2)
	v_and_b32_e32 v74, 7, v68
; %bb.1785:                             ;   in Loop: Header=BB200_1066 Depth=1
	s_or_b32 exec_lo, exec_lo, s16
	s_delay_alu instid0(VALU_DEP_1) | instskip(NEXT) | instid1(VALU_DEP_3)
	v_dual_lshlrev_b32 v0, 24, v52 :: v_dual_lshlrev_b32 v68, 20, v74
	v_lshl_add_u32 v53, v53, 23, 0x3c000000
	s_delay_alu instid0(VALU_DEP_2) | instskip(NEXT) | instid1(VALU_DEP_1)
	v_and_b32_e32 v0, 0x80000000, v0
	v_or3_b32 v74, v68, v0, v53
	s_delay_alu instid0(VALU_DEP_1)
	v_mov_b64_e32 v[68:69], v[74:75]
.LBB200_1786:                           ;   in Loop: Header=BB200_1066 Depth=1
	s_or_b32 exec_lo, exec_lo, s9
.LBB200_1787:                           ;   in Loop: Header=BB200_1066 Depth=1
	s_delay_alu instid0(SALU_CYCLE_1)
	s_or_b32 exec_lo, exec_lo, s8
.LBB200_1788:                           ;   in Loop: Header=BB200_1066 Depth=1
	s_delay_alu instid0(SALU_CYCLE_1) | instskip(SKIP_2) | instid1(VALU_DEP_1)
	s_or_b32 exec_lo, exec_lo, s3
	v_lshrrev_b16 v53, 8, v52
	s_mov_b32 s3, exec_lo
	v_cmpx_ne_u16_e32 0, v53
	s_cbranch_execz .LBB200_1796
; %bb.1789:                             ;   in Loop: Header=BB200_1066 Depth=1
	v_mov_b64_e32 v[64:65], 0x8000000000000000
	s_mov_b32 s8, exec_lo
	v_cmpx_ne_u16_e32 0x80, v53
	s_cbranch_execz .LBB200_1795
; %bb.1790:                             ;   in Loop: Header=BB200_1066 Depth=1
	v_and_b32_e32 v53, 0xffff, v53
	v_mov_b64_e32 v[64:65], 0x7f80000100000000
	s_mov_b32 s9, exec_lo
	s_delay_alu instid0(VALU_DEP_2) | instskip(NEXT) | instid1(VALU_DEP_1)
	v_and_b32_e32 v70, 0x7f, v53
	v_cmpx_ne_u32_e32 0x7f, v70
	s_cbranch_execz .LBB200_1794
; %bb.1791:                             ;   in Loop: Header=BB200_1066 Depth=1
	v_dual_lshrrev_b32 v53, 3, v70 :: v_dual_bitop2_b32 v74, 7, v53 bitop3:0x40
	s_mov_b32 s16, exec_lo
	v_cmpx_gt_u32_e32 8, v70
; %bb.1792:                             ;   in Loop: Header=BB200_1066 Depth=1
	s_delay_alu instid0(VALU_DEP_2) | instskip(NEXT) | instid1(VALU_DEP_1)
	v_clz_i32_u32_e32 v0, v74
	v_min_u32_e32 v0, 32, v0
	s_delay_alu instid0(VALU_DEP_1) | instskip(NEXT) | instid1(VALU_DEP_1)
	v_subrev_nc_u32_e32 v53, 28, v0
	v_lshlrev_b64_e32 v[64:65], v53, v[74:75]
	v_sub_nc_u32_e32 v53, 29, v0
	s_delay_alu instid0(VALU_DEP_2)
	v_and_b32_e32 v74, 7, v64
; %bb.1793:                             ;   in Loop: Header=BB200_1066 Depth=1
	s_or_b32 exec_lo, exec_lo, s16
	s_delay_alu instid0(VALU_DEP_1) | instskip(NEXT) | instid1(VALU_DEP_3)
	v_dual_lshlrev_b32 v0, 16, v52 :: v_dual_lshlrev_b32 v64, 20, v74
	v_lshl_add_u32 v53, v53, 23, 0x3c000000
	s_delay_alu instid0(VALU_DEP_2) | instskip(NEXT) | instid1(VALU_DEP_1)
	v_and_b32_e32 v0, 0x80000000, v0
	v_or3_b32 v65, v64, v0, v53
	v_mov_b32_e32 v64, v75
.LBB200_1794:                           ;   in Loop: Header=BB200_1066 Depth=1
	s_or_b32 exec_lo, exec_lo, s9
.LBB200_1795:                           ;   in Loop: Header=BB200_1066 Depth=1
	s_delay_alu instid0(SALU_CYCLE_1)
	s_or_b32 exec_lo, exec_lo, s8
.LBB200_1796:                           ;   in Loop: Header=BB200_1066 Depth=1
	s_delay_alu instid0(SALU_CYCLE_1) | instskip(SKIP_4) | instid1(VALU_DEP_3)
	s_or_b32 exec_lo, exec_lo, s3
	v_lshrrev_b32_e32 v53, 16, v52
	v_mov_b64_e32 v[70:71], 0
	v_mov_b64_e32 v[80:81], 0
	s_mov_b32 s3, exec_lo
	v_and_b32_e32 v84, 0xff, v53
	s_delay_alu instid0(VALU_DEP_1)
	v_cmpx_ne_u16_e32 0, v84
	s_cbranch_execz .LBB200_1804
; %bb.1797:                             ;   in Loop: Header=BB200_1066 Depth=1
	v_mov_b64_e32 v[80:81], 0x80000000
	s_mov_b32 s8, exec_lo
	v_cmpx_ne_u16_e32 0x80, v84
	s_cbranch_execz .LBB200_1803
; %bb.1798:                             ;   in Loop: Header=BB200_1066 Depth=1
	v_mov_b64_e32 v[80:81], 0x7f800001
	v_bfe_u32 v84, v52, 16, 7
	s_mov_b32 s9, exec_lo
	s_delay_alu instid0(VALU_DEP_1)
	v_cmpx_ne_u32_e32 0x7f, v84
	s_cbranch_execz .LBB200_1802
; %bb.1799:                             ;   in Loop: Header=BB200_1066 Depth=1
	v_dual_lshrrev_b32 v80, 3, v84 :: v_dual_bitop2_b32 v74, 7, v53 bitop3:0x40
	s_mov_b32 s16, exec_lo
	v_cmpx_gt_u32_e32 8, v84
; %bb.1800:                             ;   in Loop: Header=BB200_1066 Depth=1
	s_delay_alu instid0(VALU_DEP_2) | instskip(NEXT) | instid1(VALU_DEP_1)
	v_clz_i32_u32_e32 v0, v74
	v_min_u32_e32 v0, 32, v0
	s_delay_alu instid0(VALU_DEP_1) | instskip(NEXT) | instid1(VALU_DEP_1)
	v_subrev_nc_u32_e32 v80, 28, v0
	v_lshlrev_b64_e32 v[84:85], v80, v[74:75]
	v_sub_nc_u32_e32 v80, 29, v0
	s_delay_alu instid0(VALU_DEP_2)
	v_and_b32_e32 v74, 7, v84
; %bb.1801:                             ;   in Loop: Header=BB200_1066 Depth=1
	s_or_b32 exec_lo, exec_lo, s16
	s_delay_alu instid0(VALU_DEP_1) | instskip(NEXT) | instid1(VALU_DEP_3)
	v_dual_lshlrev_b32 v0, 24, v53 :: v_dual_lshlrev_b32 v53, 20, v74
	v_lshl_add_u32 v80, v80, 23, 0x3c000000
	s_delay_alu instid0(VALU_DEP_2) | instskip(NEXT) | instid1(VALU_DEP_1)
	v_and_b32_e32 v0, 0x80000000, v0
	v_or3_b32 v74, v53, v0, v80
	s_delay_alu instid0(VALU_DEP_1)
	v_mov_b64_e32 v[80:81], v[74:75]
.LBB200_1802:                           ;   in Loop: Header=BB200_1066 Depth=1
	s_or_b32 exec_lo, exec_lo, s9
.LBB200_1803:                           ;   in Loop: Header=BB200_1066 Depth=1
	s_delay_alu instid0(SALU_CYCLE_1)
	s_or_b32 exec_lo, exec_lo, s8
.LBB200_1804:                           ;   in Loop: Header=BB200_1066 Depth=1
	s_delay_alu instid0(SALU_CYCLE_1) | instskip(NEXT) | instid1(SALU_CYCLE_1)
	s_or_b32 exec_lo, exec_lo, s3
	s_mov_b32 s3, exec_lo
	v_cmpx_lt_u32_e32 0xffffff, v52
	s_cbranch_execz .LBB200_1812
; %bb.1805:                             ;   in Loop: Header=BB200_1066 Depth=1
	v_mov_b64_e32 v[70:71], 0x8000000000000000
	v_lshrrev_b32_e32 v53, 24, v52
	s_mov_b32 s8, exec_lo
	s_delay_alu instid0(VALU_DEP_1)
	v_cmpx_ne_u32_e32 0x80, v53
	s_cbranch_execz .LBB200_1811
; %bb.1806:                             ;   in Loop: Header=BB200_1066 Depth=1
	v_mov_b64_e32 v[70:71], 0x7f80000100000000
	v_bfe_u32 v84, v52, 24, 7
	s_mov_b32 s9, exec_lo
	s_delay_alu instid0(VALU_DEP_1)
	v_cmpx_ne_u32_e32 0x7f, v84
	s_cbranch_execz .LBB200_1810
; %bb.1807:                             ;   in Loop: Header=BB200_1066 Depth=1
	v_dual_lshrrev_b32 v52, 3, v84 :: v_dual_bitop2_b32 v74, 7, v53 bitop3:0x40
	s_mov_b32 s16, exec_lo
	v_cmpx_gt_u32_e32 8, v84
; %bb.1808:                             ;   in Loop: Header=BB200_1066 Depth=1
	s_delay_alu instid0(VALU_DEP_2) | instskip(NEXT) | instid1(VALU_DEP_1)
	v_clz_i32_u32_e32 v0, v74
	v_min_u32_e32 v0, 32, v0
	s_delay_alu instid0(VALU_DEP_1) | instskip(NEXT) | instid1(VALU_DEP_1)
	v_subrev_nc_u32_e32 v52, 28, v0
	v_lshlrev_b64_e32 v[70:71], v52, v[74:75]
	s_delay_alu instid0(VALU_DEP_1)
	v_dual_sub_nc_u32 v52, 29, v0 :: v_dual_bitop2_b32 v74, 7, v70 bitop3:0x40
; %bb.1809:                             ;   in Loop: Header=BB200_1066 Depth=1
	s_or_b32 exec_lo, exec_lo, s16
	s_delay_alu instid0(VALU_DEP_1) | instskip(NEXT) | instid1(VALU_DEP_2)
	v_dual_lshlrev_b32 v0, 24, v53 :: v_dual_lshlrev_b32 v53, 20, v74
	v_lshl_add_u32 v52, v52, 23, 0x3c000000
	v_mov_b32_e32 v70, v75
	s_delay_alu instid0(VALU_DEP_3) | instskip(NEXT) | instid1(VALU_DEP_1)
	v_and_b32_e32 v0, 0x80000000, v0
	v_or3_b32 v71, v53, v0, v52
.LBB200_1810:                           ;   in Loop: Header=BB200_1066 Depth=1
	s_or_b32 exec_lo, exec_lo, s9
.LBB200_1811:                           ;   in Loop: Header=BB200_1066 Depth=1
	s_delay_alu instid0(SALU_CYCLE_1)
	s_or_b32 exec_lo, exec_lo, s8
.LBB200_1812:                           ;   in Loop: Header=BB200_1066 Depth=1
	s_delay_alu instid0(SALU_CYCLE_1) | instskip(SKIP_4) | instid1(VALU_DEP_3)
	s_or_b32 exec_lo, exec_lo, s3
	v_or_b32_e32 v53, v65, v69
	v_or_b32_e32 v52, v64, v68
	v_or_b32_e32 v65, v71, v81
	v_or_b32_e32 v64, v70, v80
	v_pk_mul_f32 v[70:71], v[38:39], v[52:53]
	s_delay_alu instid0(VALU_DEP_2)
	v_pk_mul_f32 v[68:69], v[38:39], v[64:65]
	s_and_saveexec_b32 s3, vcc_lo
	s_cbranch_execz .LBB200_1814
; %bb.1813:                             ;   in Loop: Header=BB200_1066 Depth=1
	scratch_load_b64 v[52:53], off, s32 offset:192 ; 8-byte Folded Reload
	s_wait_loadcnt 0x0
	v_mov_b32_e32 v0, v52
	s_delay_alu instid0(VALU_DEP_1) | instskip(NEXT) | instid1(VALU_DEP_1)
	v_cmp_lt_i32_e64 s0, v1, v0
	v_cndmask_b32_e64 v70, 0, v70, s0
	v_cmp_lt_i32_e64 s0, v77, v0
	s_delay_alu instid0(VALU_DEP_1) | instskip(SKIP_1) | instid1(VALU_DEP_1)
	v_cndmask_b32_e64 v71, 0, v71, s0
	v_cmp_lt_i32_e64 s0, v73, v0
	v_cndmask_b32_e64 v68, 0, v68, s0
	v_cmp_lt_i32_e64 s0, v72, v0
	s_delay_alu instid0(VALU_DEP_1)
	v_cndmask_b32_e64 v69, 0, v69, s0
.LBB200_1814:                           ;   in Loop: Header=BB200_1066 Depth=1
	s_wait_xcnt 0x0
	s_or_b32 exec_lo, exec_lo, s3
	flat_load_b32 v52, v[96:97] offset:2816
	v_mov_b64_e32 v[64:65], 0
	v_mov_b64_e32 v[80:81], 0
	s_mov_b32 s3, exec_lo
	s_wait_loadcnt_dscnt 0x0
	v_and_b32_e32 v53, 0xff, v52
	s_wait_xcnt 0x0
	s_delay_alu instid0(VALU_DEP_1)
	v_cmpx_ne_u16_e32 0, v53
	s_cbranch_execz .LBB200_1822
; %bb.1815:                             ;   in Loop: Header=BB200_1066 Depth=1
	v_mov_b64_e32 v[80:81], 0x80000000
	s_mov_b32 s8, exec_lo
	v_cmpx_ne_u16_e32 0x80, v53
	s_cbranch_execz .LBB200_1821
; %bb.1816:                             ;   in Loop: Header=BB200_1066 Depth=1
	v_mov_b64_e32 v[80:81], 0x7f800001
	v_and_b32_e32 v84, 0x7f, v52
	s_mov_b32 s9, exec_lo
	s_delay_alu instid0(VALU_DEP_1)
	v_cmpx_ne_u32_e32 0x7f, v84
	s_cbranch_execz .LBB200_1820
; %bb.1817:                             ;   in Loop: Header=BB200_1066 Depth=1
	v_and_b32_e32 v74, 7, v52
	v_lshrrev_b32_e32 v53, 3, v84
	s_mov_b32 s16, exec_lo
	v_cmpx_gt_u32_e32 8, v84
; %bb.1818:                             ;   in Loop: Header=BB200_1066 Depth=1
	s_delay_alu instid0(VALU_DEP_3) | instskip(NEXT) | instid1(VALU_DEP_1)
	v_clz_i32_u32_e32 v0, v74
	v_min_u32_e32 v0, 32, v0
	s_delay_alu instid0(VALU_DEP_1) | instskip(NEXT) | instid1(VALU_DEP_1)
	v_subrev_nc_u32_e32 v53, 28, v0
	v_lshlrev_b64_e32 v[80:81], v53, v[74:75]
	v_sub_nc_u32_e32 v53, 29, v0
	s_delay_alu instid0(VALU_DEP_2)
	v_and_b32_e32 v74, 7, v80
; %bb.1819:                             ;   in Loop: Header=BB200_1066 Depth=1
	s_or_b32 exec_lo, exec_lo, s16
	s_delay_alu instid0(VALU_DEP_1) | instskip(NEXT) | instid1(VALU_DEP_3)
	v_dual_lshlrev_b32 v0, 24, v52 :: v_dual_lshlrev_b32 v80, 20, v74
	v_lshl_add_u32 v53, v53, 23, 0x3c000000
	s_delay_alu instid0(VALU_DEP_2) | instskip(NEXT) | instid1(VALU_DEP_1)
	v_and_b32_e32 v0, 0x80000000, v0
	v_or3_b32 v74, v80, v0, v53
	s_delay_alu instid0(VALU_DEP_1)
	v_mov_b64_e32 v[80:81], v[74:75]
.LBB200_1820:                           ;   in Loop: Header=BB200_1066 Depth=1
	s_or_b32 exec_lo, exec_lo, s9
.LBB200_1821:                           ;   in Loop: Header=BB200_1066 Depth=1
	s_delay_alu instid0(SALU_CYCLE_1)
	s_or_b32 exec_lo, exec_lo, s8
.LBB200_1822:                           ;   in Loop: Header=BB200_1066 Depth=1
	s_delay_alu instid0(SALU_CYCLE_1) | instskip(SKIP_2) | instid1(VALU_DEP_1)
	s_or_b32 exec_lo, exec_lo, s3
	v_lshrrev_b16 v53, 8, v52
	s_mov_b32 s3, exec_lo
	v_cmpx_ne_u16_e32 0, v53
	s_cbranch_execz .LBB200_1830
; %bb.1823:                             ;   in Loop: Header=BB200_1066 Depth=1
	v_mov_b64_e32 v[64:65], 0x8000000000000000
	s_mov_b32 s8, exec_lo
	v_cmpx_ne_u16_e32 0x80, v53
	s_cbranch_execz .LBB200_1829
; %bb.1824:                             ;   in Loop: Header=BB200_1066 Depth=1
	v_and_b32_e32 v53, 0xffff, v53
	v_mov_b64_e32 v[64:65], 0x7f80000100000000
	s_mov_b32 s9, exec_lo
	s_delay_alu instid0(VALU_DEP_2) | instskip(NEXT) | instid1(VALU_DEP_1)
	v_and_b32_e32 v84, 0x7f, v53
	v_cmpx_ne_u32_e32 0x7f, v84
	s_cbranch_execz .LBB200_1828
; %bb.1825:                             ;   in Loop: Header=BB200_1066 Depth=1
	v_dual_lshrrev_b32 v53, 3, v84 :: v_dual_bitop2_b32 v74, 7, v53 bitop3:0x40
	s_mov_b32 s16, exec_lo
	v_cmpx_gt_u32_e32 8, v84
; %bb.1826:                             ;   in Loop: Header=BB200_1066 Depth=1
	s_delay_alu instid0(VALU_DEP_2) | instskip(NEXT) | instid1(VALU_DEP_1)
	v_clz_i32_u32_e32 v0, v74
	v_min_u32_e32 v0, 32, v0
	s_delay_alu instid0(VALU_DEP_1) | instskip(NEXT) | instid1(VALU_DEP_1)
	v_subrev_nc_u32_e32 v53, 28, v0
	v_lshlrev_b64_e32 v[64:65], v53, v[74:75]
	v_sub_nc_u32_e32 v53, 29, v0
	s_delay_alu instid0(VALU_DEP_2)
	v_and_b32_e32 v74, 7, v64
; %bb.1827:                             ;   in Loop: Header=BB200_1066 Depth=1
	s_or_b32 exec_lo, exec_lo, s16
	s_delay_alu instid0(VALU_DEP_1) | instskip(NEXT) | instid1(VALU_DEP_3)
	v_dual_lshlrev_b32 v0, 16, v52 :: v_dual_lshlrev_b32 v64, 20, v74
	v_lshl_add_u32 v53, v53, 23, 0x3c000000
	s_delay_alu instid0(VALU_DEP_2) | instskip(NEXT) | instid1(VALU_DEP_1)
	v_and_b32_e32 v0, 0x80000000, v0
	v_or3_b32 v65, v64, v0, v53
	v_mov_b32_e32 v64, v75
.LBB200_1828:                           ;   in Loop: Header=BB200_1066 Depth=1
	s_or_b32 exec_lo, exec_lo, s9
.LBB200_1829:                           ;   in Loop: Header=BB200_1066 Depth=1
	s_delay_alu instid0(SALU_CYCLE_1)
	s_or_b32 exec_lo, exec_lo, s8
.LBB200_1830:                           ;   in Loop: Header=BB200_1066 Depth=1
	s_delay_alu instid0(SALU_CYCLE_1) | instskip(SKIP_4) | instid1(VALU_DEP_3)
	s_or_b32 exec_lo, exec_lo, s3
	v_lshrrev_b32_e32 v53, 16, v52
	v_mov_b64_e32 v[84:85], 0
	v_mov_b64_e32 v[86:87], 0
	s_mov_b32 s3, exec_lo
	v_and_b32_e32 v98, 0xff, v53
	s_delay_alu instid0(VALU_DEP_1)
	v_cmpx_ne_u16_e32 0, v98
	s_cbranch_execz .LBB200_1838
; %bb.1831:                             ;   in Loop: Header=BB200_1066 Depth=1
	v_mov_b64_e32 v[86:87], 0x80000000
	s_mov_b32 s8, exec_lo
	v_cmpx_ne_u16_e32 0x80, v98
	s_cbranch_execz .LBB200_1837
; %bb.1832:                             ;   in Loop: Header=BB200_1066 Depth=1
	v_mov_b64_e32 v[86:87], 0x7f800001
	v_bfe_u32 v98, v52, 16, 7
	s_mov_b32 s9, exec_lo
	s_delay_alu instid0(VALU_DEP_1)
	v_cmpx_ne_u32_e32 0x7f, v98
	s_cbranch_execz .LBB200_1836
; %bb.1833:                             ;   in Loop: Header=BB200_1066 Depth=1
	v_dual_lshrrev_b32 v86, 3, v98 :: v_dual_bitop2_b32 v74, 7, v53 bitop3:0x40
	s_mov_b32 s16, exec_lo
	v_cmpx_gt_u32_e32 8, v98
; %bb.1834:                             ;   in Loop: Header=BB200_1066 Depth=1
	s_delay_alu instid0(VALU_DEP_2) | instskip(NEXT) | instid1(VALU_DEP_1)
	v_clz_i32_u32_e32 v0, v74
	v_min_u32_e32 v0, 32, v0
	s_delay_alu instid0(VALU_DEP_1) | instskip(NEXT) | instid1(VALU_DEP_1)
	v_subrev_nc_u32_e32 v86, 28, v0
	v_lshlrev_b64_e32 v[98:99], v86, v[74:75]
	s_delay_alu instid0(VALU_DEP_1)
	v_dual_sub_nc_u32 v86, 29, v0 :: v_dual_bitop2_b32 v74, 7, v98 bitop3:0x40
; %bb.1835:                             ;   in Loop: Header=BB200_1066 Depth=1
	s_or_b32 exec_lo, exec_lo, s16
	s_delay_alu instid0(VALU_DEP_1) | instskip(NEXT) | instid1(VALU_DEP_2)
	v_dual_lshlrev_b32 v0, 24, v53 :: v_dual_lshlrev_b32 v53, 20, v74
	v_lshl_add_u32 v86, v86, 23, 0x3c000000
	s_delay_alu instid0(VALU_DEP_2) | instskip(NEXT) | instid1(VALU_DEP_1)
	v_and_b32_e32 v0, 0x80000000, v0
	v_or3_b32 v74, v53, v0, v86
	s_delay_alu instid0(VALU_DEP_1)
	v_mov_b64_e32 v[86:87], v[74:75]
.LBB200_1836:                           ;   in Loop: Header=BB200_1066 Depth=1
	s_or_b32 exec_lo, exec_lo, s9
.LBB200_1837:                           ;   in Loop: Header=BB200_1066 Depth=1
	s_delay_alu instid0(SALU_CYCLE_1)
	s_or_b32 exec_lo, exec_lo, s8
.LBB200_1838:                           ;   in Loop: Header=BB200_1066 Depth=1
	s_delay_alu instid0(SALU_CYCLE_1) | instskip(NEXT) | instid1(SALU_CYCLE_1)
	s_or_b32 exec_lo, exec_lo, s3
	s_mov_b32 s3, exec_lo
	v_cmpx_lt_u32_e32 0xffffff, v52
	s_cbranch_execz .LBB200_1846
; %bb.1839:                             ;   in Loop: Header=BB200_1066 Depth=1
	v_mov_b64_e32 v[84:85], 0x8000000000000000
	v_lshrrev_b32_e32 v53, 24, v52
	s_mov_b32 s8, exec_lo
	s_delay_alu instid0(VALU_DEP_1)
	v_cmpx_ne_u32_e32 0x80, v53
	s_cbranch_execz .LBB200_1845
; %bb.1840:                             ;   in Loop: Header=BB200_1066 Depth=1
	v_mov_b64_e32 v[84:85], 0x7f80000100000000
	v_bfe_u32 v98, v52, 24, 7
	s_mov_b32 s9, exec_lo
	s_delay_alu instid0(VALU_DEP_1)
	v_cmpx_ne_u32_e32 0x7f, v98
	s_cbranch_execz .LBB200_1844
; %bb.1841:                             ;   in Loop: Header=BB200_1066 Depth=1
	v_dual_lshrrev_b32 v52, 3, v98 :: v_dual_bitop2_b32 v74, 7, v53 bitop3:0x40
	s_mov_b32 s16, exec_lo
	v_cmpx_gt_u32_e32 8, v98
; %bb.1842:                             ;   in Loop: Header=BB200_1066 Depth=1
	s_delay_alu instid0(VALU_DEP_2) | instskip(NEXT) | instid1(VALU_DEP_1)
	v_clz_i32_u32_e32 v0, v74
	v_min_u32_e32 v0, 32, v0
	s_delay_alu instid0(VALU_DEP_1) | instskip(NEXT) | instid1(VALU_DEP_1)
	v_subrev_nc_u32_e32 v52, 28, v0
	v_lshlrev_b64_e32 v[84:85], v52, v[74:75]
	v_sub_nc_u32_e32 v52, 29, v0
	s_delay_alu instid0(VALU_DEP_2)
	v_and_b32_e32 v74, 7, v84
; %bb.1843:                             ;   in Loop: Header=BB200_1066 Depth=1
	s_or_b32 exec_lo, exec_lo, s16
	s_delay_alu instid0(VALU_DEP_1) | instskip(NEXT) | instid1(VALU_DEP_3)
	v_dual_lshlrev_b32 v0, 24, v53 :: v_dual_lshlrev_b32 v53, 20, v74
	v_lshl_add_u32 v52, v52, 23, 0x3c000000
	v_mov_b32_e32 v84, v75
	s_delay_alu instid0(VALU_DEP_3) | instskip(NEXT) | instid1(VALU_DEP_1)
	v_and_b32_e32 v0, 0x80000000, v0
	v_or3_b32 v85, v53, v0, v52
.LBB200_1844:                           ;   in Loop: Header=BB200_1066 Depth=1
	s_or_b32 exec_lo, exec_lo, s9
.LBB200_1845:                           ;   in Loop: Header=BB200_1066 Depth=1
	s_delay_alu instid0(SALU_CYCLE_1)
	s_or_b32 exec_lo, exec_lo, s8
.LBB200_1846:                           ;   in Loop: Header=BB200_1066 Depth=1
	s_delay_alu instid0(SALU_CYCLE_1) | instskip(SKIP_4) | instid1(VALU_DEP_3)
	s_or_b32 exec_lo, exec_lo, s3
	v_or_b32_e32 v53, v65, v81
	v_or_b32_e32 v52, v64, v80
	v_or_b32_e32 v65, v85, v87
	v_or_b32_e32 v64, v84, v86
	v_pk_mul_f32 v[84:85], v[38:39], v[52:53]
	s_delay_alu instid0(VALU_DEP_2)
	v_pk_mul_f32 v[80:81], v[38:39], v[64:65]
	s_and_saveexec_b32 s3, vcc_lo
	s_cbranch_execz .LBB200_1848
; %bb.1847:                             ;   in Loop: Header=BB200_1066 Depth=1
	scratch_load_b64 v[52:53], off, s32 offset:192 ; 8-byte Folded Reload
	s_wait_loadcnt 0x0
	v_mov_b32_e32 v0, v52
	s_delay_alu instid0(VALU_DEP_1) | instskip(NEXT) | instid1(VALU_DEP_1)
	v_cmp_lt_i32_e64 s0, v1, v0
	v_cndmask_b32_e64 v84, 0, v84, s0
	v_cmp_lt_i32_e64 s0, v77, v0
	s_delay_alu instid0(VALU_DEP_1) | instskip(SKIP_1) | instid1(VALU_DEP_1)
	v_cndmask_b32_e64 v85, 0, v85, s0
	v_cmp_lt_i32_e64 s0, v73, v0
	v_cndmask_b32_e64 v80, 0, v80, s0
	v_cmp_lt_i32_e64 s0, v72, v0
	s_delay_alu instid0(VALU_DEP_1)
	v_cndmask_b32_e64 v81, 0, v81, s0
.LBB200_1848:                           ;   in Loop: Header=BB200_1066 Depth=1
	s_wait_xcnt 0x0
	s_or_b32 exec_lo, exec_lo, s3
	flat_load_b32 v52, v[96:97] offset:2944
	v_mov_b64_e32 v[64:65], 0
	v_mov_b64_e32 v[86:87], 0
	s_mov_b32 s3, exec_lo
	s_wait_loadcnt_dscnt 0x0
	v_and_b32_e32 v53, 0xff, v52
	s_wait_xcnt 0x0
	s_delay_alu instid0(VALU_DEP_1)
	v_cmpx_ne_u16_e32 0, v53
	s_cbranch_execz .LBB200_1856
; %bb.1849:                             ;   in Loop: Header=BB200_1066 Depth=1
	v_mov_b64_e32 v[86:87], 0x80000000
	s_mov_b32 s8, exec_lo
	v_cmpx_ne_u16_e32 0x80, v53
	s_cbranch_execz .LBB200_1855
; %bb.1850:                             ;   in Loop: Header=BB200_1066 Depth=1
	v_mov_b64_e32 v[86:87], 0x7f800001
	v_and_b32_e32 v98, 0x7f, v52
	s_mov_b32 s9, exec_lo
	s_delay_alu instid0(VALU_DEP_1)
	v_cmpx_ne_u32_e32 0x7f, v98
	s_cbranch_execz .LBB200_1854
; %bb.1851:                             ;   in Loop: Header=BB200_1066 Depth=1
	v_dual_lshrrev_b32 v53, 3, v98 :: v_dual_bitop2_b32 v74, 7, v52 bitop3:0x40
	s_mov_b32 s16, exec_lo
	v_cmpx_gt_u32_e32 8, v98
; %bb.1852:                             ;   in Loop: Header=BB200_1066 Depth=1
	s_delay_alu instid0(VALU_DEP_2) | instskip(NEXT) | instid1(VALU_DEP_1)
	v_clz_i32_u32_e32 v0, v74
	v_min_u32_e32 v0, 32, v0
	s_delay_alu instid0(VALU_DEP_1) | instskip(NEXT) | instid1(VALU_DEP_1)
	v_subrev_nc_u32_e32 v53, 28, v0
	v_lshlrev_b64_e32 v[86:87], v53, v[74:75]
	s_delay_alu instid0(VALU_DEP_1)
	v_dual_sub_nc_u32 v53, 29, v0 :: v_dual_bitop2_b32 v74, 7, v86 bitop3:0x40
; %bb.1853:                             ;   in Loop: Header=BB200_1066 Depth=1
	s_or_b32 exec_lo, exec_lo, s16
	s_delay_alu instid0(VALU_DEP_1) | instskip(NEXT) | instid1(VALU_DEP_2)
	v_dual_lshlrev_b32 v0, 24, v52 :: v_dual_lshlrev_b32 v86, 20, v74
	v_lshl_add_u32 v53, v53, 23, 0x3c000000
	s_delay_alu instid0(VALU_DEP_2) | instskip(NEXT) | instid1(VALU_DEP_1)
	v_and_b32_e32 v0, 0x80000000, v0
	v_or3_b32 v74, v86, v0, v53
	s_delay_alu instid0(VALU_DEP_1)
	v_mov_b64_e32 v[86:87], v[74:75]
.LBB200_1854:                           ;   in Loop: Header=BB200_1066 Depth=1
	s_or_b32 exec_lo, exec_lo, s9
.LBB200_1855:                           ;   in Loop: Header=BB200_1066 Depth=1
	s_delay_alu instid0(SALU_CYCLE_1)
	s_or_b32 exec_lo, exec_lo, s8
.LBB200_1856:                           ;   in Loop: Header=BB200_1066 Depth=1
	s_delay_alu instid0(SALU_CYCLE_1) | instskip(SKIP_2) | instid1(VALU_DEP_1)
	s_or_b32 exec_lo, exec_lo, s3
	v_lshrrev_b16 v53, 8, v52
	s_mov_b32 s3, exec_lo
	v_cmpx_ne_u16_e32 0, v53
	s_cbranch_execz .LBB200_1864
; %bb.1857:                             ;   in Loop: Header=BB200_1066 Depth=1
	v_mov_b64_e32 v[64:65], 0x8000000000000000
	s_mov_b32 s8, exec_lo
	v_cmpx_ne_u16_e32 0x80, v53
	s_cbranch_execz .LBB200_1863
; %bb.1858:                             ;   in Loop: Header=BB200_1066 Depth=1
	v_and_b32_e32 v53, 0xffff, v53
	v_mov_b64_e32 v[64:65], 0x7f80000100000000
	s_mov_b32 s9, exec_lo
	s_delay_alu instid0(VALU_DEP_2) | instskip(NEXT) | instid1(VALU_DEP_1)
	v_and_b32_e32 v98, 0x7f, v53
	v_cmpx_ne_u32_e32 0x7f, v98
	s_cbranch_execz .LBB200_1862
; %bb.1859:                             ;   in Loop: Header=BB200_1066 Depth=1
	v_dual_lshrrev_b32 v53, 3, v98 :: v_dual_bitop2_b32 v74, 7, v53 bitop3:0x40
	s_mov_b32 s16, exec_lo
	v_cmpx_gt_u32_e32 8, v98
; %bb.1860:                             ;   in Loop: Header=BB200_1066 Depth=1
	s_delay_alu instid0(VALU_DEP_2) | instskip(NEXT) | instid1(VALU_DEP_1)
	v_clz_i32_u32_e32 v0, v74
	v_min_u32_e32 v0, 32, v0
	s_delay_alu instid0(VALU_DEP_1) | instskip(NEXT) | instid1(VALU_DEP_1)
	v_subrev_nc_u32_e32 v53, 28, v0
	v_lshlrev_b64_e32 v[64:65], v53, v[74:75]
	v_sub_nc_u32_e32 v53, 29, v0
	s_delay_alu instid0(VALU_DEP_2)
	v_and_b32_e32 v74, 7, v64
; %bb.1861:                             ;   in Loop: Header=BB200_1066 Depth=1
	s_or_b32 exec_lo, exec_lo, s16
	s_delay_alu instid0(VALU_DEP_1) | instskip(NEXT) | instid1(VALU_DEP_3)
	v_dual_lshlrev_b32 v0, 16, v52 :: v_dual_lshlrev_b32 v64, 20, v74
	v_lshl_add_u32 v53, v53, 23, 0x3c000000
	s_delay_alu instid0(VALU_DEP_2) | instskip(NEXT) | instid1(VALU_DEP_1)
	v_and_b32_e32 v0, 0x80000000, v0
	v_or3_b32 v65, v64, v0, v53
	v_mov_b32_e32 v64, v75
.LBB200_1862:                           ;   in Loop: Header=BB200_1066 Depth=1
	s_or_b32 exec_lo, exec_lo, s9
.LBB200_1863:                           ;   in Loop: Header=BB200_1066 Depth=1
	s_delay_alu instid0(SALU_CYCLE_1)
	s_or_b32 exec_lo, exec_lo, s8
.LBB200_1864:                           ;   in Loop: Header=BB200_1066 Depth=1
	s_delay_alu instid0(SALU_CYCLE_1) | instskip(SKIP_4) | instid1(VALU_DEP_3)
	s_or_b32 exec_lo, exec_lo, s3
	v_lshrrev_b32_e32 v53, 16, v52
	v_mov_b64_e32 v[98:99], 0
	v_mov_b64_e32 v[100:101], 0
	s_mov_b32 s3, exec_lo
	v_and_b32_e32 v102, 0xff, v53
	s_delay_alu instid0(VALU_DEP_1)
	v_cmpx_ne_u16_e32 0, v102
	s_cbranch_execz .LBB200_1872
; %bb.1865:                             ;   in Loop: Header=BB200_1066 Depth=1
	v_mov_b64_e32 v[100:101], 0x80000000
	s_mov_b32 s8, exec_lo
	v_cmpx_ne_u16_e32 0x80, v102
	s_cbranch_execz .LBB200_1871
; %bb.1866:                             ;   in Loop: Header=BB200_1066 Depth=1
	v_mov_b64_e32 v[100:101], 0x7f800001
	v_bfe_u32 v102, v52, 16, 7
	s_mov_b32 s9, exec_lo
	s_delay_alu instid0(VALU_DEP_1)
	v_cmpx_ne_u32_e32 0x7f, v102
	s_cbranch_execz .LBB200_1870
; %bb.1867:                             ;   in Loop: Header=BB200_1066 Depth=1
	v_dual_lshrrev_b32 v100, 3, v102 :: v_dual_bitop2_b32 v74, 7, v53 bitop3:0x40
	s_mov_b32 s16, exec_lo
	v_cmpx_gt_u32_e32 8, v102
; %bb.1868:                             ;   in Loop: Header=BB200_1066 Depth=1
	s_delay_alu instid0(VALU_DEP_2) | instskip(NEXT) | instid1(VALU_DEP_1)
	v_clz_i32_u32_e32 v0, v74
	v_min_u32_e32 v0, 32, v0
	s_delay_alu instid0(VALU_DEP_1) | instskip(NEXT) | instid1(VALU_DEP_1)
	v_subrev_nc_u32_e32 v100, 28, v0
	v_lshlrev_b64_e32 v[102:103], v100, v[74:75]
	s_delay_alu instid0(VALU_DEP_1)
	v_dual_sub_nc_u32 v100, 29, v0 :: v_dual_bitop2_b32 v74, 7, v102 bitop3:0x40
; %bb.1869:                             ;   in Loop: Header=BB200_1066 Depth=1
	s_or_b32 exec_lo, exec_lo, s16
	s_delay_alu instid0(VALU_DEP_1) | instskip(NEXT) | instid1(VALU_DEP_2)
	v_dual_lshlrev_b32 v0, 24, v53 :: v_dual_lshlrev_b32 v53, 20, v74
	v_lshl_add_u32 v100, v100, 23, 0x3c000000
	s_delay_alu instid0(VALU_DEP_2) | instskip(NEXT) | instid1(VALU_DEP_1)
	v_and_b32_e32 v0, 0x80000000, v0
	v_or3_b32 v74, v53, v0, v100
	s_delay_alu instid0(VALU_DEP_1)
	v_mov_b64_e32 v[100:101], v[74:75]
.LBB200_1870:                           ;   in Loop: Header=BB200_1066 Depth=1
	s_or_b32 exec_lo, exec_lo, s9
.LBB200_1871:                           ;   in Loop: Header=BB200_1066 Depth=1
	s_delay_alu instid0(SALU_CYCLE_1)
	s_or_b32 exec_lo, exec_lo, s8
.LBB200_1872:                           ;   in Loop: Header=BB200_1066 Depth=1
	s_delay_alu instid0(SALU_CYCLE_1) | instskip(NEXT) | instid1(SALU_CYCLE_1)
	s_or_b32 exec_lo, exec_lo, s3
	s_mov_b32 s3, exec_lo
	v_cmpx_lt_u32_e32 0xffffff, v52
	s_cbranch_execz .LBB200_1880
; %bb.1873:                             ;   in Loop: Header=BB200_1066 Depth=1
	v_mov_b64_e32 v[98:99], 0x8000000000000000
	v_lshrrev_b32_e32 v53, 24, v52
	s_mov_b32 s8, exec_lo
	s_delay_alu instid0(VALU_DEP_1)
	v_cmpx_ne_u32_e32 0x80, v53
	s_cbranch_execz .LBB200_1879
; %bb.1874:                             ;   in Loop: Header=BB200_1066 Depth=1
	v_mov_b64_e32 v[98:99], 0x7f80000100000000
	v_bfe_u32 v102, v52, 24, 7
	s_mov_b32 s9, exec_lo
	s_delay_alu instid0(VALU_DEP_1)
	v_cmpx_ne_u32_e32 0x7f, v102
	s_cbranch_execz .LBB200_1878
; %bb.1875:                             ;   in Loop: Header=BB200_1066 Depth=1
	v_dual_lshrrev_b32 v52, 3, v102 :: v_dual_bitop2_b32 v74, 7, v53 bitop3:0x40
	s_mov_b32 s16, exec_lo
	v_cmpx_gt_u32_e32 8, v102
; %bb.1876:                             ;   in Loop: Header=BB200_1066 Depth=1
	s_delay_alu instid0(VALU_DEP_2) | instskip(NEXT) | instid1(VALU_DEP_1)
	v_clz_i32_u32_e32 v0, v74
	v_min_u32_e32 v0, 32, v0
	s_delay_alu instid0(VALU_DEP_1) | instskip(NEXT) | instid1(VALU_DEP_1)
	v_subrev_nc_u32_e32 v52, 28, v0
	v_lshlrev_b64_e32 v[98:99], v52, v[74:75]
	s_delay_alu instid0(VALU_DEP_1)
	v_dual_sub_nc_u32 v52, 29, v0 :: v_dual_bitop2_b32 v74, 7, v98 bitop3:0x40
; %bb.1877:                             ;   in Loop: Header=BB200_1066 Depth=1
	s_or_b32 exec_lo, exec_lo, s16
	s_delay_alu instid0(VALU_DEP_1) | instskip(NEXT) | instid1(VALU_DEP_2)
	v_dual_lshlrev_b32 v0, 24, v53 :: v_dual_lshlrev_b32 v53, 20, v74
	v_lshl_add_u32 v52, v52, 23, 0x3c000000
	v_mov_b32_e32 v98, v75
	s_delay_alu instid0(VALU_DEP_3) | instskip(NEXT) | instid1(VALU_DEP_1)
	v_and_b32_e32 v0, 0x80000000, v0
	v_or3_b32 v99, v53, v0, v52
.LBB200_1878:                           ;   in Loop: Header=BB200_1066 Depth=1
	s_or_b32 exec_lo, exec_lo, s9
.LBB200_1879:                           ;   in Loop: Header=BB200_1066 Depth=1
	s_delay_alu instid0(SALU_CYCLE_1)
	s_or_b32 exec_lo, exec_lo, s8
.LBB200_1880:                           ;   in Loop: Header=BB200_1066 Depth=1
	s_delay_alu instid0(SALU_CYCLE_1) | instskip(SKIP_4) | instid1(VALU_DEP_3)
	s_or_b32 exec_lo, exec_lo, s3
	v_or_b32_e32 v53, v65, v87
	v_or_b32_e32 v52, v64, v86
	;; [unrolled: 1-line block ×4, first 2 shown]
	v_pk_mul_f32 v[98:99], v[38:39], v[52:53]
	s_delay_alu instid0(VALU_DEP_2)
	v_pk_mul_f32 v[86:87], v[38:39], v[64:65]
	s_and_saveexec_b32 s3, vcc_lo
	s_cbranch_execz .LBB200_1882
; %bb.1881:                             ;   in Loop: Header=BB200_1066 Depth=1
	scratch_load_b64 v[52:53], off, s32 offset:192 ; 8-byte Folded Reload
	s_wait_loadcnt 0x0
	v_mov_b32_e32 v0, v52
	s_delay_alu instid0(VALU_DEP_1) | instskip(NEXT) | instid1(VALU_DEP_1)
	v_cmp_lt_i32_e64 s0, v1, v0
	v_cndmask_b32_e64 v98, 0, v98, s0
	v_cmp_lt_i32_e64 s0, v77, v0
	s_delay_alu instid0(VALU_DEP_1) | instskip(SKIP_1) | instid1(VALU_DEP_1)
	v_cndmask_b32_e64 v99, 0, v99, s0
	v_cmp_lt_i32_e64 s0, v73, v0
	v_cndmask_b32_e64 v86, 0, v86, s0
	v_cmp_lt_i32_e64 s0, v72, v0
	s_delay_alu instid0(VALU_DEP_1)
	v_cndmask_b32_e64 v87, 0, v87, s0
.LBB200_1882:                           ;   in Loop: Header=BB200_1066 Depth=1
	s_wait_xcnt 0x0
	s_or_b32 exec_lo, exec_lo, s3
	flat_load_b32 v52, v[96:97] offset:3072
	v_mov_b64_e32 v[64:65], 0
	v_mov_b64_e32 v[100:101], 0
	s_mov_b32 s3, exec_lo
	s_wait_loadcnt_dscnt 0x0
	v_and_b32_e32 v53, 0xff, v52
	s_wait_xcnt 0x0
	s_delay_alu instid0(VALU_DEP_1)
	v_cmpx_ne_u16_e32 0, v53
	s_cbranch_execz .LBB200_1890
; %bb.1883:                             ;   in Loop: Header=BB200_1066 Depth=1
	v_mov_b64_e32 v[100:101], 0x80000000
	s_mov_b32 s8, exec_lo
	v_cmpx_ne_u16_e32 0x80, v53
	s_cbranch_execz .LBB200_1889
; %bb.1884:                             ;   in Loop: Header=BB200_1066 Depth=1
	v_mov_b64_e32 v[100:101], 0x7f800001
	v_and_b32_e32 v102, 0x7f, v52
	s_mov_b32 s9, exec_lo
	s_delay_alu instid0(VALU_DEP_1)
	v_cmpx_ne_u32_e32 0x7f, v102
	s_cbranch_execz .LBB200_1888
; %bb.1885:                             ;   in Loop: Header=BB200_1066 Depth=1
	v_dual_lshrrev_b32 v53, 3, v102 :: v_dual_bitop2_b32 v74, 7, v52 bitop3:0x40
	s_mov_b32 s16, exec_lo
	v_cmpx_gt_u32_e32 8, v102
; %bb.1886:                             ;   in Loop: Header=BB200_1066 Depth=1
	s_delay_alu instid0(VALU_DEP_2) | instskip(NEXT) | instid1(VALU_DEP_1)
	v_clz_i32_u32_e32 v0, v74
	v_min_u32_e32 v0, 32, v0
	s_delay_alu instid0(VALU_DEP_1) | instskip(NEXT) | instid1(VALU_DEP_1)
	v_subrev_nc_u32_e32 v53, 28, v0
	v_lshlrev_b64_e32 v[100:101], v53, v[74:75]
	v_sub_nc_u32_e32 v53, 29, v0
	s_delay_alu instid0(VALU_DEP_2)
	v_and_b32_e32 v74, 7, v100
; %bb.1887:                             ;   in Loop: Header=BB200_1066 Depth=1
	s_or_b32 exec_lo, exec_lo, s16
	s_delay_alu instid0(VALU_DEP_1) | instskip(NEXT) | instid1(VALU_DEP_3)
	v_dual_lshlrev_b32 v0, 24, v52 :: v_dual_lshlrev_b32 v100, 20, v74
	v_lshl_add_u32 v53, v53, 23, 0x3c000000
	s_delay_alu instid0(VALU_DEP_2) | instskip(NEXT) | instid1(VALU_DEP_1)
	v_and_b32_e32 v0, 0x80000000, v0
	v_or3_b32 v74, v100, v0, v53
	s_delay_alu instid0(VALU_DEP_1)
	v_mov_b64_e32 v[100:101], v[74:75]
.LBB200_1888:                           ;   in Loop: Header=BB200_1066 Depth=1
	s_or_b32 exec_lo, exec_lo, s9
.LBB200_1889:                           ;   in Loop: Header=BB200_1066 Depth=1
	s_delay_alu instid0(SALU_CYCLE_1)
	s_or_b32 exec_lo, exec_lo, s8
.LBB200_1890:                           ;   in Loop: Header=BB200_1066 Depth=1
	s_delay_alu instid0(SALU_CYCLE_1) | instskip(SKIP_2) | instid1(VALU_DEP_1)
	s_or_b32 exec_lo, exec_lo, s3
	v_lshrrev_b16 v53, 8, v52
	s_mov_b32 s3, exec_lo
	v_cmpx_ne_u16_e32 0, v53
	s_cbranch_execz .LBB200_1898
; %bb.1891:                             ;   in Loop: Header=BB200_1066 Depth=1
	v_mov_b64_e32 v[64:65], 0x8000000000000000
	s_mov_b32 s8, exec_lo
	v_cmpx_ne_u16_e32 0x80, v53
	s_cbranch_execz .LBB200_1897
; %bb.1892:                             ;   in Loop: Header=BB200_1066 Depth=1
	v_and_b32_e32 v53, 0xffff, v53
	v_mov_b64_e32 v[64:65], 0x7f80000100000000
	s_mov_b32 s9, exec_lo
	s_delay_alu instid0(VALU_DEP_2) | instskip(NEXT) | instid1(VALU_DEP_1)
	v_and_b32_e32 v102, 0x7f, v53
	v_cmpx_ne_u32_e32 0x7f, v102
	s_cbranch_execz .LBB200_1896
; %bb.1893:                             ;   in Loop: Header=BB200_1066 Depth=1
	v_dual_lshrrev_b32 v53, 3, v102 :: v_dual_bitop2_b32 v74, 7, v53 bitop3:0x40
	s_mov_b32 s16, exec_lo
	v_cmpx_gt_u32_e32 8, v102
; %bb.1894:                             ;   in Loop: Header=BB200_1066 Depth=1
	s_delay_alu instid0(VALU_DEP_2) | instskip(NEXT) | instid1(VALU_DEP_1)
	v_clz_i32_u32_e32 v0, v74
	v_min_u32_e32 v0, 32, v0
	s_delay_alu instid0(VALU_DEP_1) | instskip(NEXT) | instid1(VALU_DEP_1)
	v_subrev_nc_u32_e32 v53, 28, v0
	v_lshlrev_b64_e32 v[64:65], v53, v[74:75]
	v_sub_nc_u32_e32 v53, 29, v0
	s_delay_alu instid0(VALU_DEP_2)
	v_and_b32_e32 v74, 7, v64
; %bb.1895:                             ;   in Loop: Header=BB200_1066 Depth=1
	s_or_b32 exec_lo, exec_lo, s16
	s_delay_alu instid0(VALU_DEP_1) | instskip(NEXT) | instid1(VALU_DEP_3)
	v_dual_lshlrev_b32 v0, 16, v52 :: v_dual_lshlrev_b32 v64, 20, v74
	v_lshl_add_u32 v53, v53, 23, 0x3c000000
	s_delay_alu instid0(VALU_DEP_2) | instskip(NEXT) | instid1(VALU_DEP_1)
	v_and_b32_e32 v0, 0x80000000, v0
	v_or3_b32 v65, v64, v0, v53
	v_mov_b32_e32 v64, v75
.LBB200_1896:                           ;   in Loop: Header=BB200_1066 Depth=1
	s_or_b32 exec_lo, exec_lo, s9
.LBB200_1897:                           ;   in Loop: Header=BB200_1066 Depth=1
	s_delay_alu instid0(SALU_CYCLE_1)
	s_or_b32 exec_lo, exec_lo, s8
.LBB200_1898:                           ;   in Loop: Header=BB200_1066 Depth=1
	s_delay_alu instid0(SALU_CYCLE_1) | instskip(SKIP_4) | instid1(VALU_DEP_3)
	s_or_b32 exec_lo, exec_lo, s3
	v_lshrrev_b32_e32 v53, 16, v52
	v_mov_b64_e32 v[102:103], 0
	v_mov_b64_e32 v[112:113], 0
	s_mov_b32 s3, exec_lo
	v_and_b32_e32 v114, 0xff, v53
	s_delay_alu instid0(VALU_DEP_1)
	v_cmpx_ne_u16_e32 0, v114
	s_cbranch_execz .LBB200_1906
; %bb.1899:                             ;   in Loop: Header=BB200_1066 Depth=1
	v_mov_b64_e32 v[112:113], 0x80000000
	s_mov_b32 s8, exec_lo
	v_cmpx_ne_u16_e32 0x80, v114
	s_cbranch_execz .LBB200_1905
; %bb.1900:                             ;   in Loop: Header=BB200_1066 Depth=1
	v_mov_b64_e32 v[112:113], 0x7f800001
	v_bfe_u32 v114, v52, 16, 7
	s_mov_b32 s9, exec_lo
	s_delay_alu instid0(VALU_DEP_1)
	v_cmpx_ne_u32_e32 0x7f, v114
	s_cbranch_execz .LBB200_1904
; %bb.1901:                             ;   in Loop: Header=BB200_1066 Depth=1
	v_dual_lshrrev_b32 v112, 3, v114 :: v_dual_bitop2_b32 v74, 7, v53 bitop3:0x40
	s_mov_b32 s16, exec_lo
	v_cmpx_gt_u32_e32 8, v114
; %bb.1902:                             ;   in Loop: Header=BB200_1066 Depth=1
	s_delay_alu instid0(VALU_DEP_2) | instskip(NEXT) | instid1(VALU_DEP_1)
	v_clz_i32_u32_e32 v0, v74
	v_min_u32_e32 v0, 32, v0
	s_delay_alu instid0(VALU_DEP_1) | instskip(NEXT) | instid1(VALU_DEP_1)
	v_subrev_nc_u32_e32 v112, 28, v0
	v_lshlrev_b64_e32 v[114:115], v112, v[74:75]
	s_delay_alu instid0(VALU_DEP_1)
	v_dual_sub_nc_u32 v112, 29, v0 :: v_dual_bitop2_b32 v74, 7, v114 bitop3:0x40
; %bb.1903:                             ;   in Loop: Header=BB200_1066 Depth=1
	s_or_b32 exec_lo, exec_lo, s16
	s_delay_alu instid0(VALU_DEP_1) | instskip(NEXT) | instid1(VALU_DEP_2)
	v_dual_lshlrev_b32 v0, 24, v53 :: v_dual_lshlrev_b32 v53, 20, v74
	v_lshl_add_u32 v112, v112, 23, 0x3c000000
	s_delay_alu instid0(VALU_DEP_2) | instskip(NEXT) | instid1(VALU_DEP_1)
	v_and_b32_e32 v0, 0x80000000, v0
	v_or3_b32 v74, v53, v0, v112
	s_delay_alu instid0(VALU_DEP_1)
	v_mov_b64_e32 v[112:113], v[74:75]
.LBB200_1904:                           ;   in Loop: Header=BB200_1066 Depth=1
	s_or_b32 exec_lo, exec_lo, s9
.LBB200_1905:                           ;   in Loop: Header=BB200_1066 Depth=1
	s_delay_alu instid0(SALU_CYCLE_1)
	s_or_b32 exec_lo, exec_lo, s8
.LBB200_1906:                           ;   in Loop: Header=BB200_1066 Depth=1
	s_delay_alu instid0(SALU_CYCLE_1) | instskip(NEXT) | instid1(SALU_CYCLE_1)
	s_or_b32 exec_lo, exec_lo, s3
	s_mov_b32 s3, exec_lo
	v_cmpx_lt_u32_e32 0xffffff, v52
	s_cbranch_execz .LBB200_1914
; %bb.1907:                             ;   in Loop: Header=BB200_1066 Depth=1
	v_mov_b64_e32 v[102:103], 0x8000000000000000
	v_lshrrev_b32_e32 v53, 24, v52
	s_mov_b32 s8, exec_lo
	s_delay_alu instid0(VALU_DEP_1)
	v_cmpx_ne_u32_e32 0x80, v53
	s_cbranch_execz .LBB200_1913
; %bb.1908:                             ;   in Loop: Header=BB200_1066 Depth=1
	v_mov_b64_e32 v[102:103], 0x7f80000100000000
	v_bfe_u32 v114, v52, 24, 7
	s_mov_b32 s9, exec_lo
	s_delay_alu instid0(VALU_DEP_1)
	v_cmpx_ne_u32_e32 0x7f, v114
	s_cbranch_execz .LBB200_1912
; %bb.1909:                             ;   in Loop: Header=BB200_1066 Depth=1
	v_dual_lshrrev_b32 v52, 3, v114 :: v_dual_bitop2_b32 v74, 7, v53 bitop3:0x40
	s_mov_b32 s16, exec_lo
	v_cmpx_gt_u32_e32 8, v114
; %bb.1910:                             ;   in Loop: Header=BB200_1066 Depth=1
	s_delay_alu instid0(VALU_DEP_2) | instskip(NEXT) | instid1(VALU_DEP_1)
	v_clz_i32_u32_e32 v0, v74
	v_min_u32_e32 v0, 32, v0
	s_delay_alu instid0(VALU_DEP_1) | instskip(NEXT) | instid1(VALU_DEP_1)
	v_subrev_nc_u32_e32 v52, 28, v0
	v_lshlrev_b64_e32 v[102:103], v52, v[74:75]
	s_delay_alu instid0(VALU_DEP_1)
	v_dual_sub_nc_u32 v52, 29, v0 :: v_dual_bitop2_b32 v74, 7, v102 bitop3:0x40
; %bb.1911:                             ;   in Loop: Header=BB200_1066 Depth=1
	s_or_b32 exec_lo, exec_lo, s16
	s_delay_alu instid0(VALU_DEP_1) | instskip(NEXT) | instid1(VALU_DEP_2)
	v_dual_lshlrev_b32 v0, 24, v53 :: v_dual_lshlrev_b32 v53, 20, v74
	v_lshl_add_u32 v52, v52, 23, 0x3c000000
	v_mov_b32_e32 v102, v75
	s_delay_alu instid0(VALU_DEP_3) | instskip(NEXT) | instid1(VALU_DEP_1)
	v_and_b32_e32 v0, 0x80000000, v0
	v_or3_b32 v103, v53, v0, v52
.LBB200_1912:                           ;   in Loop: Header=BB200_1066 Depth=1
	s_or_b32 exec_lo, exec_lo, s9
.LBB200_1913:                           ;   in Loop: Header=BB200_1066 Depth=1
	s_delay_alu instid0(SALU_CYCLE_1)
	s_or_b32 exec_lo, exec_lo, s8
.LBB200_1914:                           ;   in Loop: Header=BB200_1066 Depth=1
	s_delay_alu instid0(SALU_CYCLE_1) | instskip(SKIP_4) | instid1(VALU_DEP_3)
	s_or_b32 exec_lo, exec_lo, s3
	v_or_b32_e32 v53, v65, v101
	v_or_b32_e32 v52, v64, v100
	v_or_b32_e32 v65, v103, v113
	v_or_b32_e32 v64, v102, v112
	v_pk_mul_f32 v[102:103], v[38:39], v[52:53]
	s_delay_alu instid0(VALU_DEP_2)
	v_pk_mul_f32 v[100:101], v[38:39], v[64:65]
	s_and_saveexec_b32 s3, vcc_lo
	s_cbranch_execz .LBB200_1916
; %bb.1915:                             ;   in Loop: Header=BB200_1066 Depth=1
	scratch_load_b64 v[52:53], off, s32 offset:192 ; 8-byte Folded Reload
	s_wait_loadcnt 0x0
	v_mov_b32_e32 v0, v52
	s_delay_alu instid0(VALU_DEP_1) | instskip(NEXT) | instid1(VALU_DEP_1)
	v_cmp_lt_i32_e64 s0, v1, v0
	v_cndmask_b32_e64 v102, 0, v102, s0
	v_cmp_lt_i32_e64 s0, v77, v0
	s_delay_alu instid0(VALU_DEP_1) | instskip(SKIP_1) | instid1(VALU_DEP_1)
	v_cndmask_b32_e64 v103, 0, v103, s0
	v_cmp_lt_i32_e64 s0, v73, v0
	v_cndmask_b32_e64 v100, 0, v100, s0
	v_cmp_lt_i32_e64 s0, v72, v0
	s_delay_alu instid0(VALU_DEP_1)
	v_cndmask_b32_e64 v101, 0, v101, s0
.LBB200_1916:                           ;   in Loop: Header=BB200_1066 Depth=1
	s_wait_xcnt 0x0
	s_or_b32 exec_lo, exec_lo, s3
	flat_load_b32 v52, v[96:97] offset:3200
	v_mov_b64_e32 v[64:65], 0
	v_mov_b64_e32 v[112:113], 0
	s_mov_b32 s3, exec_lo
	s_wait_loadcnt_dscnt 0x0
	v_and_b32_e32 v53, 0xff, v52
	s_wait_xcnt 0x0
	s_delay_alu instid0(VALU_DEP_1)
	v_cmpx_ne_u16_e32 0, v53
	s_cbranch_execz .LBB200_1924
; %bb.1917:                             ;   in Loop: Header=BB200_1066 Depth=1
	v_mov_b64_e32 v[112:113], 0x80000000
	s_mov_b32 s8, exec_lo
	v_cmpx_ne_u16_e32 0x80, v53
	s_cbranch_execz .LBB200_1923
; %bb.1918:                             ;   in Loop: Header=BB200_1066 Depth=1
	v_mov_b64_e32 v[112:113], 0x7f800001
	v_and_b32_e32 v114, 0x7f, v52
	s_mov_b32 s9, exec_lo
	s_delay_alu instid0(VALU_DEP_1)
	v_cmpx_ne_u32_e32 0x7f, v114
	s_cbranch_execz .LBB200_1922
; %bb.1919:                             ;   in Loop: Header=BB200_1066 Depth=1
	v_dual_lshrrev_b32 v53, 3, v114 :: v_dual_bitop2_b32 v74, 7, v52 bitop3:0x40
	s_mov_b32 s16, exec_lo
	v_cmpx_gt_u32_e32 8, v114
; %bb.1920:                             ;   in Loop: Header=BB200_1066 Depth=1
	s_delay_alu instid0(VALU_DEP_2) | instskip(NEXT) | instid1(VALU_DEP_1)
	v_clz_i32_u32_e32 v0, v74
	v_min_u32_e32 v0, 32, v0
	s_delay_alu instid0(VALU_DEP_1) | instskip(NEXT) | instid1(VALU_DEP_1)
	v_subrev_nc_u32_e32 v53, 28, v0
	v_lshlrev_b64_e32 v[112:113], v53, v[74:75]
	v_sub_nc_u32_e32 v53, 29, v0
	s_delay_alu instid0(VALU_DEP_2)
	v_and_b32_e32 v74, 7, v112
; %bb.1921:                             ;   in Loop: Header=BB200_1066 Depth=1
	s_or_b32 exec_lo, exec_lo, s16
	s_delay_alu instid0(VALU_DEP_1) | instskip(NEXT) | instid1(VALU_DEP_3)
	v_dual_lshlrev_b32 v0, 24, v52 :: v_dual_lshlrev_b32 v112, 20, v74
	v_lshl_add_u32 v53, v53, 23, 0x3c000000
	s_delay_alu instid0(VALU_DEP_2) | instskip(NEXT) | instid1(VALU_DEP_1)
	v_and_b32_e32 v0, 0x80000000, v0
	v_or3_b32 v74, v112, v0, v53
	s_delay_alu instid0(VALU_DEP_1)
	v_mov_b64_e32 v[112:113], v[74:75]
.LBB200_1922:                           ;   in Loop: Header=BB200_1066 Depth=1
	s_or_b32 exec_lo, exec_lo, s9
.LBB200_1923:                           ;   in Loop: Header=BB200_1066 Depth=1
	s_delay_alu instid0(SALU_CYCLE_1)
	s_or_b32 exec_lo, exec_lo, s8
.LBB200_1924:                           ;   in Loop: Header=BB200_1066 Depth=1
	s_delay_alu instid0(SALU_CYCLE_1) | instskip(SKIP_2) | instid1(VALU_DEP_1)
	s_or_b32 exec_lo, exec_lo, s3
	v_lshrrev_b16 v53, 8, v52
	s_mov_b32 s3, exec_lo
	v_cmpx_ne_u16_e32 0, v53
	s_cbranch_execz .LBB200_1932
; %bb.1925:                             ;   in Loop: Header=BB200_1066 Depth=1
	v_mov_b64_e32 v[64:65], 0x8000000000000000
	s_mov_b32 s8, exec_lo
	v_cmpx_ne_u16_e32 0x80, v53
	s_cbranch_execz .LBB200_1931
; %bb.1926:                             ;   in Loop: Header=BB200_1066 Depth=1
	v_and_b32_e32 v53, 0xffff, v53
	v_mov_b64_e32 v[64:65], 0x7f80000100000000
	s_mov_b32 s9, exec_lo
	s_delay_alu instid0(VALU_DEP_2) | instskip(NEXT) | instid1(VALU_DEP_1)
	v_and_b32_e32 v114, 0x7f, v53
	v_cmpx_ne_u32_e32 0x7f, v114
	s_cbranch_execz .LBB200_1930
; %bb.1927:                             ;   in Loop: Header=BB200_1066 Depth=1
	v_dual_lshrrev_b32 v53, 3, v114 :: v_dual_bitop2_b32 v74, 7, v53 bitop3:0x40
	s_mov_b32 s16, exec_lo
	v_cmpx_gt_u32_e32 8, v114
; %bb.1928:                             ;   in Loop: Header=BB200_1066 Depth=1
	s_delay_alu instid0(VALU_DEP_2) | instskip(NEXT) | instid1(VALU_DEP_1)
	v_clz_i32_u32_e32 v0, v74
	v_min_u32_e32 v0, 32, v0
	s_delay_alu instid0(VALU_DEP_1) | instskip(NEXT) | instid1(VALU_DEP_1)
	v_subrev_nc_u32_e32 v53, 28, v0
	v_lshlrev_b64_e32 v[64:65], v53, v[74:75]
	v_sub_nc_u32_e32 v53, 29, v0
	s_delay_alu instid0(VALU_DEP_2)
	v_and_b32_e32 v74, 7, v64
; %bb.1929:                             ;   in Loop: Header=BB200_1066 Depth=1
	s_or_b32 exec_lo, exec_lo, s16
	s_delay_alu instid0(VALU_DEP_1) | instskip(NEXT) | instid1(VALU_DEP_3)
	v_dual_lshlrev_b32 v0, 16, v52 :: v_dual_lshlrev_b32 v64, 20, v74
	v_lshl_add_u32 v53, v53, 23, 0x3c000000
	s_delay_alu instid0(VALU_DEP_2) | instskip(NEXT) | instid1(VALU_DEP_1)
	v_and_b32_e32 v0, 0x80000000, v0
	v_or3_b32 v65, v64, v0, v53
	v_mov_b32_e32 v64, v75
.LBB200_1930:                           ;   in Loop: Header=BB200_1066 Depth=1
	s_or_b32 exec_lo, exec_lo, s9
.LBB200_1931:                           ;   in Loop: Header=BB200_1066 Depth=1
	s_delay_alu instid0(SALU_CYCLE_1)
	s_or_b32 exec_lo, exec_lo, s8
.LBB200_1932:                           ;   in Loop: Header=BB200_1066 Depth=1
	s_delay_alu instid0(SALU_CYCLE_1) | instskip(SKIP_4) | instid1(VALU_DEP_3)
	s_or_b32 exec_lo, exec_lo, s3
	v_lshrrev_b32_e32 v53, 16, v52
	v_mov_b64_e32 v[114:115], 0
	v_mov_b64_e32 v[116:117], 0
	s_mov_b32 s3, exec_lo
	v_and_b32_e32 v118, 0xff, v53
	s_delay_alu instid0(VALU_DEP_1)
	v_cmpx_ne_u16_e32 0, v118
	s_cbranch_execz .LBB200_1940
; %bb.1933:                             ;   in Loop: Header=BB200_1066 Depth=1
	v_mov_b64_e32 v[116:117], 0x80000000
	s_mov_b32 s8, exec_lo
	v_cmpx_ne_u16_e32 0x80, v118
	s_cbranch_execz .LBB200_1939
; %bb.1934:                             ;   in Loop: Header=BB200_1066 Depth=1
	v_mov_b64_e32 v[116:117], 0x7f800001
	v_bfe_u32 v118, v52, 16, 7
	s_mov_b32 s9, exec_lo
	s_delay_alu instid0(VALU_DEP_1)
	v_cmpx_ne_u32_e32 0x7f, v118
	s_cbranch_execz .LBB200_1938
; %bb.1935:                             ;   in Loop: Header=BB200_1066 Depth=1
	v_dual_lshrrev_b32 v116, 3, v118 :: v_dual_bitop2_b32 v74, 7, v53 bitop3:0x40
	s_mov_b32 s16, exec_lo
	v_cmpx_gt_u32_e32 8, v118
; %bb.1936:                             ;   in Loop: Header=BB200_1066 Depth=1
	s_delay_alu instid0(VALU_DEP_2) | instskip(NEXT) | instid1(VALU_DEP_1)
	v_clz_i32_u32_e32 v0, v74
	v_min_u32_e32 v0, 32, v0
	s_delay_alu instid0(VALU_DEP_1) | instskip(NEXT) | instid1(VALU_DEP_1)
	v_subrev_nc_u32_e32 v116, 28, v0
	v_lshlrev_b64_e32 v[118:119], v116, v[74:75]
	s_delay_alu instid0(VALU_DEP_1)
	v_dual_sub_nc_u32 v116, 29, v0 :: v_dual_bitop2_b32 v74, 7, v118 bitop3:0x40
; %bb.1937:                             ;   in Loop: Header=BB200_1066 Depth=1
	s_or_b32 exec_lo, exec_lo, s16
	s_delay_alu instid0(VALU_DEP_1) | instskip(NEXT) | instid1(VALU_DEP_2)
	v_dual_lshlrev_b32 v0, 24, v53 :: v_dual_lshlrev_b32 v53, 20, v74
	v_lshl_add_u32 v116, v116, 23, 0x3c000000
	s_delay_alu instid0(VALU_DEP_2) | instskip(NEXT) | instid1(VALU_DEP_1)
	v_and_b32_e32 v0, 0x80000000, v0
	v_or3_b32 v74, v53, v0, v116
	s_delay_alu instid0(VALU_DEP_1)
	v_mov_b64_e32 v[116:117], v[74:75]
.LBB200_1938:                           ;   in Loop: Header=BB200_1066 Depth=1
	s_or_b32 exec_lo, exec_lo, s9
.LBB200_1939:                           ;   in Loop: Header=BB200_1066 Depth=1
	s_delay_alu instid0(SALU_CYCLE_1)
	s_or_b32 exec_lo, exec_lo, s8
.LBB200_1940:                           ;   in Loop: Header=BB200_1066 Depth=1
	s_delay_alu instid0(SALU_CYCLE_1) | instskip(NEXT) | instid1(SALU_CYCLE_1)
	s_or_b32 exec_lo, exec_lo, s3
	s_mov_b32 s3, exec_lo
	v_cmpx_lt_u32_e32 0xffffff, v52
	s_cbranch_execz .LBB200_1948
; %bb.1941:                             ;   in Loop: Header=BB200_1066 Depth=1
	v_mov_b64_e32 v[114:115], 0x8000000000000000
	v_lshrrev_b32_e32 v53, 24, v52
	s_mov_b32 s8, exec_lo
	s_delay_alu instid0(VALU_DEP_1)
	v_cmpx_ne_u32_e32 0x80, v53
	s_cbranch_execz .LBB200_1947
; %bb.1942:                             ;   in Loop: Header=BB200_1066 Depth=1
	v_mov_b64_e32 v[114:115], 0x7f80000100000000
	v_bfe_u32 v118, v52, 24, 7
	s_mov_b32 s9, exec_lo
	s_delay_alu instid0(VALU_DEP_1)
	v_cmpx_ne_u32_e32 0x7f, v118
	s_cbranch_execz .LBB200_1946
; %bb.1943:                             ;   in Loop: Header=BB200_1066 Depth=1
	v_dual_lshrrev_b32 v52, 3, v118 :: v_dual_bitop2_b32 v74, 7, v53 bitop3:0x40
	s_mov_b32 s16, exec_lo
	v_cmpx_gt_u32_e32 8, v118
; %bb.1944:                             ;   in Loop: Header=BB200_1066 Depth=1
	s_delay_alu instid0(VALU_DEP_2) | instskip(NEXT) | instid1(VALU_DEP_1)
	v_clz_i32_u32_e32 v0, v74
	v_min_u32_e32 v0, 32, v0
	s_delay_alu instid0(VALU_DEP_1) | instskip(NEXT) | instid1(VALU_DEP_1)
	v_subrev_nc_u32_e32 v52, 28, v0
	v_lshlrev_b64_e32 v[114:115], v52, v[74:75]
	s_delay_alu instid0(VALU_DEP_1)
	v_dual_sub_nc_u32 v52, 29, v0 :: v_dual_bitop2_b32 v74, 7, v114 bitop3:0x40
; %bb.1945:                             ;   in Loop: Header=BB200_1066 Depth=1
	s_or_b32 exec_lo, exec_lo, s16
	s_delay_alu instid0(VALU_DEP_1) | instskip(NEXT) | instid1(VALU_DEP_2)
	v_dual_lshlrev_b32 v0, 24, v53 :: v_dual_lshlrev_b32 v53, 20, v74
	v_lshl_add_u32 v52, v52, 23, 0x3c000000
	v_mov_b32_e32 v114, v75
	s_delay_alu instid0(VALU_DEP_3) | instskip(NEXT) | instid1(VALU_DEP_1)
	v_and_b32_e32 v0, 0x80000000, v0
	v_or3_b32 v115, v53, v0, v52
.LBB200_1946:                           ;   in Loop: Header=BB200_1066 Depth=1
	s_or_b32 exec_lo, exec_lo, s9
.LBB200_1947:                           ;   in Loop: Header=BB200_1066 Depth=1
	s_delay_alu instid0(SALU_CYCLE_1)
	s_or_b32 exec_lo, exec_lo, s8
.LBB200_1948:                           ;   in Loop: Header=BB200_1066 Depth=1
	s_delay_alu instid0(SALU_CYCLE_1) | instskip(SKIP_4) | instid1(VALU_DEP_3)
	s_or_b32 exec_lo, exec_lo, s3
	v_or_b32_e32 v53, v65, v113
	v_or_b32_e32 v52, v64, v112
	;; [unrolled: 1-line block ×4, first 2 shown]
	v_pk_mul_f32 v[114:115], v[38:39], v[52:53]
	s_delay_alu instid0(VALU_DEP_2)
	v_pk_mul_f32 v[112:113], v[38:39], v[64:65]
	s_and_saveexec_b32 s3, vcc_lo
	s_cbranch_execz .LBB200_1950
; %bb.1949:                             ;   in Loop: Header=BB200_1066 Depth=1
	scratch_load_b64 v[52:53], off, s32 offset:192 ; 8-byte Folded Reload
	s_wait_loadcnt 0x0
	v_mov_b32_e32 v0, v52
	s_delay_alu instid0(VALU_DEP_1) | instskip(NEXT) | instid1(VALU_DEP_1)
	v_cmp_lt_i32_e64 s0, v1, v0
	v_cndmask_b32_e64 v114, 0, v114, s0
	v_cmp_lt_i32_e64 s0, v77, v0
	s_delay_alu instid0(VALU_DEP_1) | instskip(SKIP_1) | instid1(VALU_DEP_1)
	v_cndmask_b32_e64 v115, 0, v115, s0
	v_cmp_lt_i32_e64 s0, v73, v0
	v_cndmask_b32_e64 v112, 0, v112, s0
	v_cmp_lt_i32_e64 s0, v72, v0
	s_delay_alu instid0(VALU_DEP_1)
	v_cndmask_b32_e64 v113, 0, v113, s0
.LBB200_1950:                           ;   in Loop: Header=BB200_1066 Depth=1
	s_wait_xcnt 0x0
	s_or_b32 exec_lo, exec_lo, s3
	flat_load_b32 v52, v[96:97] offset:3328
	v_mov_b64_e32 v[64:65], 0
	v_mov_b64_e32 v[116:117], 0
	s_mov_b32 s3, exec_lo
	s_wait_loadcnt_dscnt 0x0
	v_and_b32_e32 v53, 0xff, v52
	s_wait_xcnt 0x0
	s_delay_alu instid0(VALU_DEP_1)
	v_cmpx_ne_u16_e32 0, v53
	s_cbranch_execz .LBB200_1958
; %bb.1951:                             ;   in Loop: Header=BB200_1066 Depth=1
	v_mov_b64_e32 v[116:117], 0x80000000
	s_mov_b32 s8, exec_lo
	v_cmpx_ne_u16_e32 0x80, v53
	s_cbranch_execz .LBB200_1957
; %bb.1952:                             ;   in Loop: Header=BB200_1066 Depth=1
	v_mov_b64_e32 v[116:117], 0x7f800001
	v_and_b32_e32 v118, 0x7f, v52
	s_mov_b32 s9, exec_lo
	s_delay_alu instid0(VALU_DEP_1)
	v_cmpx_ne_u32_e32 0x7f, v118
	s_cbranch_execz .LBB200_1956
; %bb.1953:                             ;   in Loop: Header=BB200_1066 Depth=1
	v_dual_lshrrev_b32 v53, 3, v118 :: v_dual_bitop2_b32 v74, 7, v52 bitop3:0x40
	s_mov_b32 s16, exec_lo
	v_cmpx_gt_u32_e32 8, v118
; %bb.1954:                             ;   in Loop: Header=BB200_1066 Depth=1
	s_delay_alu instid0(VALU_DEP_2) | instskip(NEXT) | instid1(VALU_DEP_1)
	v_clz_i32_u32_e32 v0, v74
	v_min_u32_e32 v0, 32, v0
	s_delay_alu instid0(VALU_DEP_1) | instskip(NEXT) | instid1(VALU_DEP_1)
	v_subrev_nc_u32_e32 v53, 28, v0
	v_lshlrev_b64_e32 v[116:117], v53, v[74:75]
	v_sub_nc_u32_e32 v53, 29, v0
	s_delay_alu instid0(VALU_DEP_2)
	v_and_b32_e32 v74, 7, v116
; %bb.1955:                             ;   in Loop: Header=BB200_1066 Depth=1
	s_or_b32 exec_lo, exec_lo, s16
	s_delay_alu instid0(VALU_DEP_1) | instskip(NEXT) | instid1(VALU_DEP_3)
	v_dual_lshlrev_b32 v0, 24, v52 :: v_dual_lshlrev_b32 v116, 20, v74
	v_lshl_add_u32 v53, v53, 23, 0x3c000000
	s_delay_alu instid0(VALU_DEP_2) | instskip(NEXT) | instid1(VALU_DEP_1)
	v_and_b32_e32 v0, 0x80000000, v0
	v_or3_b32 v74, v116, v0, v53
	s_delay_alu instid0(VALU_DEP_1)
	v_mov_b64_e32 v[116:117], v[74:75]
.LBB200_1956:                           ;   in Loop: Header=BB200_1066 Depth=1
	s_or_b32 exec_lo, exec_lo, s9
.LBB200_1957:                           ;   in Loop: Header=BB200_1066 Depth=1
	s_delay_alu instid0(SALU_CYCLE_1)
	s_or_b32 exec_lo, exec_lo, s8
.LBB200_1958:                           ;   in Loop: Header=BB200_1066 Depth=1
	s_delay_alu instid0(SALU_CYCLE_1) | instskip(SKIP_2) | instid1(VALU_DEP_1)
	s_or_b32 exec_lo, exec_lo, s3
	v_lshrrev_b16 v53, 8, v52
	s_mov_b32 s3, exec_lo
	v_cmpx_ne_u16_e32 0, v53
	s_cbranch_execz .LBB200_1966
; %bb.1959:                             ;   in Loop: Header=BB200_1066 Depth=1
	v_mov_b64_e32 v[64:65], 0x8000000000000000
	s_mov_b32 s8, exec_lo
	v_cmpx_ne_u16_e32 0x80, v53
	s_cbranch_execz .LBB200_1965
; %bb.1960:                             ;   in Loop: Header=BB200_1066 Depth=1
	v_and_b32_e32 v53, 0xffff, v53
	v_mov_b64_e32 v[64:65], 0x7f80000100000000
	s_mov_b32 s9, exec_lo
	s_delay_alu instid0(VALU_DEP_2) | instskip(NEXT) | instid1(VALU_DEP_1)
	v_and_b32_e32 v118, 0x7f, v53
	v_cmpx_ne_u32_e32 0x7f, v118
	s_cbranch_execz .LBB200_1964
; %bb.1961:                             ;   in Loop: Header=BB200_1066 Depth=1
	v_dual_lshrrev_b32 v53, 3, v118 :: v_dual_bitop2_b32 v74, 7, v53 bitop3:0x40
	s_mov_b32 s16, exec_lo
	v_cmpx_gt_u32_e32 8, v118
; %bb.1962:                             ;   in Loop: Header=BB200_1066 Depth=1
	s_delay_alu instid0(VALU_DEP_2) | instskip(NEXT) | instid1(VALU_DEP_1)
	v_clz_i32_u32_e32 v0, v74
	v_min_u32_e32 v0, 32, v0
	s_delay_alu instid0(VALU_DEP_1) | instskip(NEXT) | instid1(VALU_DEP_1)
	v_subrev_nc_u32_e32 v53, 28, v0
	v_lshlrev_b64_e32 v[64:65], v53, v[74:75]
	v_sub_nc_u32_e32 v53, 29, v0
	s_delay_alu instid0(VALU_DEP_2)
	v_and_b32_e32 v74, 7, v64
; %bb.1963:                             ;   in Loop: Header=BB200_1066 Depth=1
	s_or_b32 exec_lo, exec_lo, s16
	s_delay_alu instid0(VALU_DEP_1) | instskip(NEXT) | instid1(VALU_DEP_3)
	v_dual_lshlrev_b32 v0, 16, v52 :: v_dual_lshlrev_b32 v64, 20, v74
	v_lshl_add_u32 v53, v53, 23, 0x3c000000
	s_delay_alu instid0(VALU_DEP_2) | instskip(NEXT) | instid1(VALU_DEP_1)
	v_and_b32_e32 v0, 0x80000000, v0
	v_or3_b32 v65, v64, v0, v53
	v_mov_b32_e32 v64, v75
.LBB200_1964:                           ;   in Loop: Header=BB200_1066 Depth=1
	s_or_b32 exec_lo, exec_lo, s9
.LBB200_1965:                           ;   in Loop: Header=BB200_1066 Depth=1
	s_delay_alu instid0(SALU_CYCLE_1)
	s_or_b32 exec_lo, exec_lo, s8
.LBB200_1966:                           ;   in Loop: Header=BB200_1066 Depth=1
	s_delay_alu instid0(SALU_CYCLE_1) | instskip(SKIP_4) | instid1(VALU_DEP_3)
	s_or_b32 exec_lo, exec_lo, s3
	v_lshrrev_b32_e32 v53, 16, v52
	v_mov_b64_e32 v[118:119], 0
	v_mov_b64_e32 v[40:41], 0
	s_mov_b32 s3, exec_lo
	v_and_b32_e32 v42, 0xff, v53
	s_delay_alu instid0(VALU_DEP_1)
	v_cmpx_ne_u16_e32 0, v42
	s_cbranch_execz .LBB200_1974
; %bb.1967:                             ;   in Loop: Header=BB200_1066 Depth=1
	v_mov_b64_e32 v[40:41], 0x80000000
	s_mov_b32 s8, exec_lo
	v_cmpx_ne_u16_e32 0x80, v42
	s_cbranch_execz .LBB200_1973
; %bb.1968:                             ;   in Loop: Header=BB200_1066 Depth=1
	v_mov_b64_e32 v[40:41], 0x7f800001
	v_bfe_u32 v42, v52, 16, 7
	s_mov_b32 s9, exec_lo
	s_delay_alu instid0(VALU_DEP_1)
	v_cmpx_ne_u32_e32 0x7f, v42
	s_cbranch_execz .LBB200_1972
; %bb.1969:                             ;   in Loop: Header=BB200_1066 Depth=1
	v_dual_lshrrev_b32 v40, 3, v42 :: v_dual_bitop2_b32 v74, 7, v53 bitop3:0x40
	s_mov_b32 s16, exec_lo
	v_cmpx_gt_u32_e32 8, v42
; %bb.1970:                             ;   in Loop: Header=BB200_1066 Depth=1
	s_delay_alu instid0(VALU_DEP_2) | instskip(NEXT) | instid1(VALU_DEP_1)
	v_clz_i32_u32_e32 v0, v74
	v_min_u32_e32 v0, 32, v0
	s_delay_alu instid0(VALU_DEP_1) | instskip(NEXT) | instid1(VALU_DEP_1)
	v_subrev_nc_u32_e32 v40, 28, v0
	v_lshlrev_b64_e32 v[42:43], v40, v[74:75]
	s_delay_alu instid0(VALU_DEP_1)
	v_dual_sub_nc_u32 v40, 29, v0 :: v_dual_bitop2_b32 v74, 7, v42 bitop3:0x40
; %bb.1971:                             ;   in Loop: Header=BB200_1066 Depth=1
	s_or_b32 exec_lo, exec_lo, s16
	s_delay_alu instid0(VALU_DEP_1) | instskip(NEXT) | instid1(VALU_DEP_2)
	v_dual_lshlrev_b32 v0, 24, v53 :: v_dual_lshlrev_b32 v53, 20, v74
	v_lshl_add_u32 v40, v40, 23, 0x3c000000
	s_delay_alu instid0(VALU_DEP_2) | instskip(NEXT) | instid1(VALU_DEP_1)
	v_and_b32_e32 v0, 0x80000000, v0
	v_or3_b32 v74, v53, v0, v40
	s_delay_alu instid0(VALU_DEP_1)
	v_mov_b64_e32 v[40:41], v[74:75]
.LBB200_1972:                           ;   in Loop: Header=BB200_1066 Depth=1
	s_or_b32 exec_lo, exec_lo, s9
.LBB200_1973:                           ;   in Loop: Header=BB200_1066 Depth=1
	s_delay_alu instid0(SALU_CYCLE_1)
	s_or_b32 exec_lo, exec_lo, s8
.LBB200_1974:                           ;   in Loop: Header=BB200_1066 Depth=1
	s_delay_alu instid0(SALU_CYCLE_1) | instskip(NEXT) | instid1(SALU_CYCLE_1)
	s_or_b32 exec_lo, exec_lo, s3
	s_mov_b32 s3, exec_lo
	v_cmpx_lt_u32_e32 0xffffff, v52
	s_cbranch_execz .LBB200_1982
; %bb.1975:                             ;   in Loop: Header=BB200_1066 Depth=1
	v_mov_b64_e32 v[118:119], 0x8000000000000000
	v_lshrrev_b32_e32 v53, 24, v52
	s_mov_b32 s8, exec_lo
	s_delay_alu instid0(VALU_DEP_1)
	v_cmpx_ne_u32_e32 0x80, v53
	s_cbranch_execz .LBB200_1981
; %bb.1976:                             ;   in Loop: Header=BB200_1066 Depth=1
	v_mov_b64_e32 v[118:119], 0x7f80000100000000
	v_bfe_u32 v42, v52, 24, 7
	s_mov_b32 s9, exec_lo
	s_delay_alu instid0(VALU_DEP_1)
	v_cmpx_ne_u32_e32 0x7f, v42
	s_cbranch_execz .LBB200_1980
; %bb.1977:                             ;   in Loop: Header=BB200_1066 Depth=1
	v_dual_lshrrev_b32 v52, 3, v42 :: v_dual_bitop2_b32 v74, 7, v53 bitop3:0x40
	s_mov_b32 s16, exec_lo
	v_cmpx_gt_u32_e32 8, v42
; %bb.1978:                             ;   in Loop: Header=BB200_1066 Depth=1
	s_delay_alu instid0(VALU_DEP_2) | instskip(NEXT) | instid1(VALU_DEP_1)
	v_clz_i32_u32_e32 v0, v74
	v_min_u32_e32 v0, 32, v0
	s_delay_alu instid0(VALU_DEP_1) | instskip(NEXT) | instid1(VALU_DEP_1)
	v_subrev_nc_u32_e32 v52, 28, v0
	v_lshlrev_b64_e32 v[118:119], v52, v[74:75]
	s_delay_alu instid0(VALU_DEP_1)
	v_dual_sub_nc_u32 v52, 29, v0 :: v_dual_bitop2_b32 v74, 7, v118 bitop3:0x40
; %bb.1979:                             ;   in Loop: Header=BB200_1066 Depth=1
	s_or_b32 exec_lo, exec_lo, s16
	s_delay_alu instid0(VALU_DEP_1) | instskip(NEXT) | instid1(VALU_DEP_2)
	v_dual_lshlrev_b32 v0, 24, v53 :: v_dual_lshlrev_b32 v53, 20, v74
	v_lshl_add_u32 v52, v52, 23, 0x3c000000
	v_mov_b32_e32 v118, v75
	s_delay_alu instid0(VALU_DEP_3) | instskip(NEXT) | instid1(VALU_DEP_1)
	v_and_b32_e32 v0, 0x80000000, v0
	v_or3_b32 v119, v53, v0, v52
.LBB200_1980:                           ;   in Loop: Header=BB200_1066 Depth=1
	s_or_b32 exec_lo, exec_lo, s9
.LBB200_1981:                           ;   in Loop: Header=BB200_1066 Depth=1
	s_delay_alu instid0(SALU_CYCLE_1)
	s_or_b32 exec_lo, exec_lo, s8
.LBB200_1982:                           ;   in Loop: Header=BB200_1066 Depth=1
	s_delay_alu instid0(SALU_CYCLE_1) | instskip(SKIP_4) | instid1(VALU_DEP_3)
	s_or_b32 exec_lo, exec_lo, s3
	v_or_b32_e32 v53, v65, v117
	v_or_b32_e32 v52, v64, v116
	;; [unrolled: 1-line block ×4, first 2 shown]
	v_pk_mul_f32 v[118:119], v[38:39], v[52:53]
	s_delay_alu instid0(VALU_DEP_2)
	v_pk_mul_f32 v[116:117], v[38:39], v[64:65]
	s_and_saveexec_b32 s3, vcc_lo
	s_cbranch_execz .LBB200_1984
; %bb.1983:                             ;   in Loop: Header=BB200_1066 Depth=1
	scratch_load_b64 v[52:53], off, s32 offset:192 ; 8-byte Folded Reload
	s_wait_loadcnt 0x0
	v_mov_b32_e32 v0, v52
	s_delay_alu instid0(VALU_DEP_1) | instskip(NEXT) | instid1(VALU_DEP_1)
	v_cmp_lt_i32_e64 s0, v1, v0
	v_cndmask_b32_e64 v118, 0, v118, s0
	v_cmp_lt_i32_e64 s0, v77, v0
	s_delay_alu instid0(VALU_DEP_1) | instskip(SKIP_1) | instid1(VALU_DEP_1)
	v_cndmask_b32_e64 v119, 0, v119, s0
	v_cmp_lt_i32_e64 s0, v73, v0
	v_cndmask_b32_e64 v116, 0, v116, s0
	v_cmp_lt_i32_e64 s0, v72, v0
	s_delay_alu instid0(VALU_DEP_1)
	v_cndmask_b32_e64 v117, 0, v117, s0
.LBB200_1984:                           ;   in Loop: Header=BB200_1066 Depth=1
	s_wait_xcnt 0x0
	s_or_b32 exec_lo, exec_lo, s3
	flat_load_b32 v52, v[96:97] offset:3456
	v_mov_b64_e32 v[64:65], 0
	v_mov_b64_e32 v[40:41], 0
	s_mov_b32 s3, exec_lo
	s_wait_loadcnt_dscnt 0x0
	v_and_b32_e32 v53, 0xff, v52
	s_wait_xcnt 0x0
	s_delay_alu instid0(VALU_DEP_1)
	v_cmpx_ne_u16_e32 0, v53
	s_cbranch_execz .LBB200_1992
; %bb.1985:                             ;   in Loop: Header=BB200_1066 Depth=1
	v_mov_b64_e32 v[40:41], 0x80000000
	s_mov_b32 s8, exec_lo
	v_cmpx_ne_u16_e32 0x80, v53
	s_cbranch_execz .LBB200_1991
; %bb.1986:                             ;   in Loop: Header=BB200_1066 Depth=1
	v_mov_b64_e32 v[40:41], 0x7f800001
	v_and_b32_e32 v42, 0x7f, v52
	s_mov_b32 s9, exec_lo
	s_delay_alu instid0(VALU_DEP_1)
	v_cmpx_ne_u32_e32 0x7f, v42
	s_cbranch_execz .LBB200_1990
; %bb.1987:                             ;   in Loop: Header=BB200_1066 Depth=1
	v_dual_lshrrev_b32 v53, 3, v42 :: v_dual_bitop2_b32 v74, 7, v52 bitop3:0x40
	s_mov_b32 s16, exec_lo
	v_cmpx_gt_u32_e32 8, v42
; %bb.1988:                             ;   in Loop: Header=BB200_1066 Depth=1
	s_delay_alu instid0(VALU_DEP_2) | instskip(NEXT) | instid1(VALU_DEP_1)
	v_clz_i32_u32_e32 v0, v74
	v_min_u32_e32 v0, 32, v0
	s_delay_alu instid0(VALU_DEP_1) | instskip(NEXT) | instid1(VALU_DEP_1)
	v_subrev_nc_u32_e32 v53, 28, v0
	v_lshlrev_b64_e32 v[40:41], v53, v[74:75]
	v_sub_nc_u32_e32 v53, 29, v0
	s_delay_alu instid0(VALU_DEP_2)
	v_and_b32_e32 v74, 7, v40
; %bb.1989:                             ;   in Loop: Header=BB200_1066 Depth=1
	s_or_b32 exec_lo, exec_lo, s16
	s_delay_alu instid0(VALU_DEP_1) | instskip(NEXT) | instid1(VALU_DEP_3)
	v_dual_lshlrev_b32 v0, 24, v52 :: v_dual_lshlrev_b32 v40, 20, v74
	v_lshl_add_u32 v53, v53, 23, 0x3c000000
	s_delay_alu instid0(VALU_DEP_2) | instskip(NEXT) | instid1(VALU_DEP_1)
	v_and_b32_e32 v0, 0x80000000, v0
	v_or3_b32 v74, v40, v0, v53
	s_delay_alu instid0(VALU_DEP_1)
	v_mov_b64_e32 v[40:41], v[74:75]
.LBB200_1990:                           ;   in Loop: Header=BB200_1066 Depth=1
	s_or_b32 exec_lo, exec_lo, s9
.LBB200_1991:                           ;   in Loop: Header=BB200_1066 Depth=1
	s_delay_alu instid0(SALU_CYCLE_1)
	s_or_b32 exec_lo, exec_lo, s8
.LBB200_1992:                           ;   in Loop: Header=BB200_1066 Depth=1
	s_delay_alu instid0(SALU_CYCLE_1) | instskip(SKIP_2) | instid1(VALU_DEP_1)
	s_or_b32 exec_lo, exec_lo, s3
	v_lshrrev_b16 v53, 8, v52
	s_mov_b32 s3, exec_lo
	v_cmpx_ne_u16_e32 0, v53
	s_cbranch_execz .LBB200_2000
; %bb.1993:                             ;   in Loop: Header=BB200_1066 Depth=1
	v_mov_b64_e32 v[64:65], 0x8000000000000000
	s_mov_b32 s8, exec_lo
	v_cmpx_ne_u16_e32 0x80, v53
	s_cbranch_execz .LBB200_1999
; %bb.1994:                             ;   in Loop: Header=BB200_1066 Depth=1
	v_and_b32_e32 v53, 0xffff, v53
	v_mov_b64_e32 v[64:65], 0x7f80000100000000
	s_mov_b32 s9, exec_lo
	s_delay_alu instid0(VALU_DEP_2) | instskip(NEXT) | instid1(VALU_DEP_1)
	v_and_b32_e32 v42, 0x7f, v53
	v_cmpx_ne_u32_e32 0x7f, v42
	s_cbranch_execz .LBB200_1998
; %bb.1995:                             ;   in Loop: Header=BB200_1066 Depth=1
	v_dual_lshrrev_b32 v53, 3, v42 :: v_dual_bitop2_b32 v74, 7, v53 bitop3:0x40
	s_mov_b32 s16, exec_lo
	v_cmpx_gt_u32_e32 8, v42
; %bb.1996:                             ;   in Loop: Header=BB200_1066 Depth=1
	s_delay_alu instid0(VALU_DEP_2) | instskip(NEXT) | instid1(VALU_DEP_1)
	v_clz_i32_u32_e32 v0, v74
	v_min_u32_e32 v0, 32, v0
	s_delay_alu instid0(VALU_DEP_1) | instskip(NEXT) | instid1(VALU_DEP_1)
	v_subrev_nc_u32_e32 v53, 28, v0
	v_lshlrev_b64_e32 v[64:65], v53, v[74:75]
	v_sub_nc_u32_e32 v53, 29, v0
	s_delay_alu instid0(VALU_DEP_2)
	v_and_b32_e32 v74, 7, v64
; %bb.1997:                             ;   in Loop: Header=BB200_1066 Depth=1
	s_or_b32 exec_lo, exec_lo, s16
	s_delay_alu instid0(VALU_DEP_1) | instskip(NEXT) | instid1(VALU_DEP_3)
	v_dual_lshlrev_b32 v0, 16, v52 :: v_dual_lshlrev_b32 v64, 20, v74
	v_lshl_add_u32 v53, v53, 23, 0x3c000000
	s_delay_alu instid0(VALU_DEP_2) | instskip(NEXT) | instid1(VALU_DEP_1)
	v_and_b32_e32 v0, 0x80000000, v0
	v_or3_b32 v65, v64, v0, v53
	v_mov_b32_e32 v64, v75
.LBB200_1998:                           ;   in Loop: Header=BB200_1066 Depth=1
	s_or_b32 exec_lo, exec_lo, s9
.LBB200_1999:                           ;   in Loop: Header=BB200_1066 Depth=1
	s_delay_alu instid0(SALU_CYCLE_1)
	s_or_b32 exec_lo, exec_lo, s8
.LBB200_2000:                           ;   in Loop: Header=BB200_1066 Depth=1
	s_delay_alu instid0(SALU_CYCLE_1) | instskip(SKIP_4) | instid1(VALU_DEP_3)
	s_or_b32 exec_lo, exec_lo, s3
	v_lshrrev_b32_e32 v53, 16, v52
	v_mov_b64_e32 v[42:43], 0
	v_mov_b64_e32 v[44:45], 0
	s_mov_b32 s3, exec_lo
	v_and_b32_e32 v46, 0xff, v53
	s_delay_alu instid0(VALU_DEP_1)
	v_cmpx_ne_u16_e32 0, v46
	s_cbranch_execz .LBB200_2008
; %bb.2001:                             ;   in Loop: Header=BB200_1066 Depth=1
	v_mov_b64_e32 v[44:45], 0x80000000
	s_mov_b32 s8, exec_lo
	v_cmpx_ne_u16_e32 0x80, v46
	s_cbranch_execz .LBB200_2007
; %bb.2002:                             ;   in Loop: Header=BB200_1066 Depth=1
	v_mov_b64_e32 v[44:45], 0x7f800001
	v_bfe_u32 v46, v52, 16, 7
	s_mov_b32 s9, exec_lo
	s_delay_alu instid0(VALU_DEP_1)
	v_cmpx_ne_u32_e32 0x7f, v46
	s_cbranch_execz .LBB200_2006
; %bb.2003:                             ;   in Loop: Header=BB200_1066 Depth=1
	v_dual_lshrrev_b32 v44, 3, v46 :: v_dual_bitop2_b32 v74, 7, v53 bitop3:0x40
	s_mov_b32 s16, exec_lo
	v_cmpx_gt_u32_e32 8, v46
; %bb.2004:                             ;   in Loop: Header=BB200_1066 Depth=1
	s_delay_alu instid0(VALU_DEP_2) | instskip(NEXT) | instid1(VALU_DEP_1)
	v_clz_i32_u32_e32 v0, v74
	v_min_u32_e32 v0, 32, v0
	s_delay_alu instid0(VALU_DEP_1) | instskip(NEXT) | instid1(VALU_DEP_1)
	v_subrev_nc_u32_e32 v44, 28, v0
	v_lshlrev_b64_e32 v[46:47], v44, v[74:75]
	s_delay_alu instid0(VALU_DEP_1)
	v_dual_sub_nc_u32 v44, 29, v0 :: v_dual_bitop2_b32 v74, 7, v46 bitop3:0x40
; %bb.2005:                             ;   in Loop: Header=BB200_1066 Depth=1
	s_or_b32 exec_lo, exec_lo, s16
	s_delay_alu instid0(VALU_DEP_1) | instskip(NEXT) | instid1(VALU_DEP_2)
	v_dual_lshlrev_b32 v0, 24, v53 :: v_dual_lshlrev_b32 v53, 20, v74
	v_lshl_add_u32 v44, v44, 23, 0x3c000000
	s_delay_alu instid0(VALU_DEP_2) | instskip(NEXT) | instid1(VALU_DEP_1)
	v_and_b32_e32 v0, 0x80000000, v0
	v_or3_b32 v74, v53, v0, v44
	s_delay_alu instid0(VALU_DEP_1)
	v_mov_b64_e32 v[44:45], v[74:75]
.LBB200_2006:                           ;   in Loop: Header=BB200_1066 Depth=1
	s_or_b32 exec_lo, exec_lo, s9
.LBB200_2007:                           ;   in Loop: Header=BB200_1066 Depth=1
	s_delay_alu instid0(SALU_CYCLE_1)
	s_or_b32 exec_lo, exec_lo, s8
.LBB200_2008:                           ;   in Loop: Header=BB200_1066 Depth=1
	s_delay_alu instid0(SALU_CYCLE_1) | instskip(NEXT) | instid1(SALU_CYCLE_1)
	s_or_b32 exec_lo, exec_lo, s3
	s_mov_b32 s3, exec_lo
	v_cmpx_lt_u32_e32 0xffffff, v52
	s_cbranch_execz .LBB200_2016
; %bb.2009:                             ;   in Loop: Header=BB200_1066 Depth=1
	v_mov_b64_e32 v[42:43], 0x8000000000000000
	v_lshrrev_b32_e32 v53, 24, v52
	s_mov_b32 s8, exec_lo
	s_delay_alu instid0(VALU_DEP_1)
	v_cmpx_ne_u32_e32 0x80, v53
	s_cbranch_execz .LBB200_2015
; %bb.2010:                             ;   in Loop: Header=BB200_1066 Depth=1
	v_mov_b64_e32 v[42:43], 0x7f80000100000000
	v_bfe_u32 v46, v52, 24, 7
	s_mov_b32 s9, exec_lo
	s_delay_alu instid0(VALU_DEP_1)
	v_cmpx_ne_u32_e32 0x7f, v46
	s_cbranch_execz .LBB200_2014
; %bb.2011:                             ;   in Loop: Header=BB200_1066 Depth=1
	v_dual_lshrrev_b32 v52, 3, v46 :: v_dual_bitop2_b32 v74, 7, v53 bitop3:0x40
	s_mov_b32 s16, exec_lo
	v_cmpx_gt_u32_e32 8, v46
; %bb.2012:                             ;   in Loop: Header=BB200_1066 Depth=1
	s_delay_alu instid0(VALU_DEP_2) | instskip(NEXT) | instid1(VALU_DEP_1)
	v_clz_i32_u32_e32 v0, v74
	v_min_u32_e32 v0, 32, v0
	s_delay_alu instid0(VALU_DEP_1) | instskip(NEXT) | instid1(VALU_DEP_1)
	v_subrev_nc_u32_e32 v52, 28, v0
	v_lshlrev_b64_e32 v[42:43], v52, v[74:75]
	s_delay_alu instid0(VALU_DEP_1)
	v_dual_sub_nc_u32 v52, 29, v0 :: v_dual_bitop2_b32 v74, 7, v42 bitop3:0x40
; %bb.2013:                             ;   in Loop: Header=BB200_1066 Depth=1
	s_or_b32 exec_lo, exec_lo, s16
	s_delay_alu instid0(VALU_DEP_1) | instskip(NEXT) | instid1(VALU_DEP_2)
	v_dual_lshlrev_b32 v0, 24, v53 :: v_dual_lshlrev_b32 v53, 20, v74
	v_lshl_add_u32 v52, v52, 23, 0x3c000000
	v_mov_b32_e32 v42, v75
	s_delay_alu instid0(VALU_DEP_3) | instskip(NEXT) | instid1(VALU_DEP_1)
	v_and_b32_e32 v0, 0x80000000, v0
	v_or3_b32 v43, v53, v0, v52
.LBB200_2014:                           ;   in Loop: Header=BB200_1066 Depth=1
	s_or_b32 exec_lo, exec_lo, s9
.LBB200_2015:                           ;   in Loop: Header=BB200_1066 Depth=1
	s_delay_alu instid0(SALU_CYCLE_1)
	s_or_b32 exec_lo, exec_lo, s8
.LBB200_2016:                           ;   in Loop: Header=BB200_1066 Depth=1
	s_delay_alu instid0(SALU_CYCLE_1) | instskip(SKIP_4) | instid1(VALU_DEP_3)
	s_or_b32 exec_lo, exec_lo, s3
	v_or_b32_e32 v53, v65, v41
	v_or_b32_e32 v52, v64, v40
	;; [unrolled: 1-line block ×4, first 2 shown]
	v_pk_mul_f32 v[42:43], v[38:39], v[52:53]
	s_delay_alu instid0(VALU_DEP_2)
	v_pk_mul_f32 v[40:41], v[38:39], v[64:65]
	s_and_saveexec_b32 s3, vcc_lo
	s_cbranch_execz .LBB200_2018
; %bb.2017:                             ;   in Loop: Header=BB200_1066 Depth=1
	scratch_load_b64 v[52:53], off, s32 offset:192 ; 8-byte Folded Reload
	s_wait_loadcnt 0x0
	v_mov_b32_e32 v0, v52
	s_delay_alu instid0(VALU_DEP_1) | instskip(NEXT) | instid1(VALU_DEP_1)
	v_cmp_lt_i32_e64 s0, v1, v0
	v_cndmask_b32_e64 v42, 0, v42, s0
	v_cmp_lt_i32_e64 s0, v77, v0
	s_delay_alu instid0(VALU_DEP_1) | instskip(SKIP_1) | instid1(VALU_DEP_1)
	v_cndmask_b32_e64 v43, 0, v43, s0
	v_cmp_lt_i32_e64 s0, v73, v0
	v_cndmask_b32_e64 v40, 0, v40, s0
	v_cmp_lt_i32_e64 s0, v72, v0
	s_delay_alu instid0(VALU_DEP_1)
	v_cndmask_b32_e64 v41, 0, v41, s0
.LBB200_2018:                           ;   in Loop: Header=BB200_1066 Depth=1
	s_wait_xcnt 0x0
	s_or_b32 exec_lo, exec_lo, s3
	flat_load_b32 v52, v[96:97] offset:3584
	v_mov_b64_e32 v[64:65], 0
	v_mov_b64_e32 v[44:45], 0
	s_mov_b32 s3, exec_lo
	s_wait_loadcnt_dscnt 0x0
	v_and_b32_e32 v53, 0xff, v52
	s_wait_xcnt 0x0
	s_delay_alu instid0(VALU_DEP_1)
	v_cmpx_ne_u16_e32 0, v53
	s_cbranch_execz .LBB200_2026
; %bb.2019:                             ;   in Loop: Header=BB200_1066 Depth=1
	v_mov_b64_e32 v[44:45], 0x80000000
	s_mov_b32 s8, exec_lo
	v_cmpx_ne_u16_e32 0x80, v53
	s_cbranch_execz .LBB200_2025
; %bb.2020:                             ;   in Loop: Header=BB200_1066 Depth=1
	v_mov_b64_e32 v[44:45], 0x7f800001
	v_and_b32_e32 v46, 0x7f, v52
	s_mov_b32 s9, exec_lo
	s_delay_alu instid0(VALU_DEP_1)
	v_cmpx_ne_u32_e32 0x7f, v46
	s_cbranch_execz .LBB200_2024
; %bb.2021:                             ;   in Loop: Header=BB200_1066 Depth=1
	v_dual_lshrrev_b32 v53, 3, v46 :: v_dual_bitop2_b32 v74, 7, v52 bitop3:0x40
	s_mov_b32 s16, exec_lo
	v_cmpx_gt_u32_e32 8, v46
; %bb.2022:                             ;   in Loop: Header=BB200_1066 Depth=1
	s_delay_alu instid0(VALU_DEP_2) | instskip(NEXT) | instid1(VALU_DEP_1)
	v_clz_i32_u32_e32 v0, v74
	v_min_u32_e32 v0, 32, v0
	s_delay_alu instid0(VALU_DEP_1) | instskip(NEXT) | instid1(VALU_DEP_1)
	v_subrev_nc_u32_e32 v53, 28, v0
	v_lshlrev_b64_e32 v[44:45], v53, v[74:75]
	v_sub_nc_u32_e32 v53, 29, v0
	s_delay_alu instid0(VALU_DEP_2)
	v_and_b32_e32 v74, 7, v44
; %bb.2023:                             ;   in Loop: Header=BB200_1066 Depth=1
	s_or_b32 exec_lo, exec_lo, s16
	s_delay_alu instid0(VALU_DEP_1) | instskip(NEXT) | instid1(VALU_DEP_3)
	v_dual_lshlrev_b32 v0, 24, v52 :: v_dual_lshlrev_b32 v44, 20, v74
	v_lshl_add_u32 v53, v53, 23, 0x3c000000
	s_delay_alu instid0(VALU_DEP_2) | instskip(NEXT) | instid1(VALU_DEP_1)
	v_and_b32_e32 v0, 0x80000000, v0
	v_or3_b32 v74, v44, v0, v53
	s_delay_alu instid0(VALU_DEP_1)
	v_mov_b64_e32 v[44:45], v[74:75]
.LBB200_2024:                           ;   in Loop: Header=BB200_1066 Depth=1
	s_or_b32 exec_lo, exec_lo, s9
.LBB200_2025:                           ;   in Loop: Header=BB200_1066 Depth=1
	s_delay_alu instid0(SALU_CYCLE_1)
	s_or_b32 exec_lo, exec_lo, s8
.LBB200_2026:                           ;   in Loop: Header=BB200_1066 Depth=1
	s_delay_alu instid0(SALU_CYCLE_1) | instskip(SKIP_2) | instid1(VALU_DEP_1)
	s_or_b32 exec_lo, exec_lo, s3
	v_lshrrev_b16 v53, 8, v52
	s_mov_b32 s3, exec_lo
	v_cmpx_ne_u16_e32 0, v53
	s_cbranch_execz .LBB200_2034
; %bb.2027:                             ;   in Loop: Header=BB200_1066 Depth=1
	v_mov_b64_e32 v[64:65], 0x8000000000000000
	s_mov_b32 s8, exec_lo
	v_cmpx_ne_u16_e32 0x80, v53
	s_cbranch_execz .LBB200_2033
; %bb.2028:                             ;   in Loop: Header=BB200_1066 Depth=1
	v_and_b32_e32 v53, 0xffff, v53
	v_mov_b64_e32 v[64:65], 0x7f80000100000000
	s_mov_b32 s9, exec_lo
	s_delay_alu instid0(VALU_DEP_2) | instskip(NEXT) | instid1(VALU_DEP_1)
	v_and_b32_e32 v46, 0x7f, v53
	v_cmpx_ne_u32_e32 0x7f, v46
	s_cbranch_execz .LBB200_2032
; %bb.2029:                             ;   in Loop: Header=BB200_1066 Depth=1
	v_dual_lshrrev_b32 v53, 3, v46 :: v_dual_bitop2_b32 v74, 7, v53 bitop3:0x40
	s_mov_b32 s16, exec_lo
	v_cmpx_gt_u32_e32 8, v46
; %bb.2030:                             ;   in Loop: Header=BB200_1066 Depth=1
	s_delay_alu instid0(VALU_DEP_2) | instskip(NEXT) | instid1(VALU_DEP_1)
	v_clz_i32_u32_e32 v0, v74
	v_min_u32_e32 v0, 32, v0
	s_delay_alu instid0(VALU_DEP_1) | instskip(NEXT) | instid1(VALU_DEP_1)
	v_subrev_nc_u32_e32 v53, 28, v0
	v_lshlrev_b64_e32 v[64:65], v53, v[74:75]
	v_sub_nc_u32_e32 v53, 29, v0
	s_delay_alu instid0(VALU_DEP_2)
	v_and_b32_e32 v74, 7, v64
; %bb.2031:                             ;   in Loop: Header=BB200_1066 Depth=1
	s_or_b32 exec_lo, exec_lo, s16
	s_delay_alu instid0(VALU_DEP_1) | instskip(NEXT) | instid1(VALU_DEP_3)
	v_dual_lshlrev_b32 v0, 16, v52 :: v_dual_lshlrev_b32 v64, 20, v74
	v_lshl_add_u32 v53, v53, 23, 0x3c000000
	s_delay_alu instid0(VALU_DEP_2) | instskip(NEXT) | instid1(VALU_DEP_1)
	v_and_b32_e32 v0, 0x80000000, v0
	v_or3_b32 v65, v64, v0, v53
	v_mov_b32_e32 v64, v75
.LBB200_2032:                           ;   in Loop: Header=BB200_1066 Depth=1
	s_or_b32 exec_lo, exec_lo, s9
.LBB200_2033:                           ;   in Loop: Header=BB200_1066 Depth=1
	s_delay_alu instid0(SALU_CYCLE_1)
	s_or_b32 exec_lo, exec_lo, s8
.LBB200_2034:                           ;   in Loop: Header=BB200_1066 Depth=1
	s_delay_alu instid0(SALU_CYCLE_1) | instskip(SKIP_4) | instid1(VALU_DEP_3)
	s_or_b32 exec_lo, exec_lo, s3
	v_lshrrev_b32_e32 v53, 16, v52
	v_mov_b64_e32 v[46:47], 0
	v_mov_b64_e32 v[56:57], 0
	s_mov_b32 s3, exec_lo
	v_and_b32_e32 v58, 0xff, v53
	s_delay_alu instid0(VALU_DEP_1)
	v_cmpx_ne_u16_e32 0, v58
	s_cbranch_execz .LBB200_2042
; %bb.2035:                             ;   in Loop: Header=BB200_1066 Depth=1
	v_mov_b64_e32 v[56:57], 0x80000000
	s_mov_b32 s8, exec_lo
	v_cmpx_ne_u16_e32 0x80, v58
	s_cbranch_execz .LBB200_2041
; %bb.2036:                             ;   in Loop: Header=BB200_1066 Depth=1
	v_mov_b64_e32 v[56:57], 0x7f800001
	v_bfe_u32 v58, v52, 16, 7
	s_mov_b32 s9, exec_lo
	s_delay_alu instid0(VALU_DEP_1)
	v_cmpx_ne_u32_e32 0x7f, v58
	s_cbranch_execz .LBB200_2040
; %bb.2037:                             ;   in Loop: Header=BB200_1066 Depth=1
	v_dual_lshrrev_b32 v56, 3, v58 :: v_dual_bitop2_b32 v74, 7, v53 bitop3:0x40
	s_mov_b32 s16, exec_lo
	v_cmpx_gt_u32_e32 8, v58
; %bb.2038:                             ;   in Loop: Header=BB200_1066 Depth=1
	s_delay_alu instid0(VALU_DEP_2) | instskip(NEXT) | instid1(VALU_DEP_1)
	v_clz_i32_u32_e32 v0, v74
	v_min_u32_e32 v0, 32, v0
	s_delay_alu instid0(VALU_DEP_1) | instskip(NEXT) | instid1(VALU_DEP_1)
	v_subrev_nc_u32_e32 v56, 28, v0
	v_lshlrev_b64_e32 v[58:59], v56, v[74:75]
	s_delay_alu instid0(VALU_DEP_1)
	v_dual_sub_nc_u32 v56, 29, v0 :: v_dual_bitop2_b32 v74, 7, v58 bitop3:0x40
; %bb.2039:                             ;   in Loop: Header=BB200_1066 Depth=1
	s_or_b32 exec_lo, exec_lo, s16
	s_delay_alu instid0(VALU_DEP_1) | instskip(NEXT) | instid1(VALU_DEP_2)
	v_dual_lshlrev_b32 v0, 24, v53 :: v_dual_lshlrev_b32 v53, 20, v74
	v_lshl_add_u32 v56, v56, 23, 0x3c000000
	s_delay_alu instid0(VALU_DEP_2) | instskip(NEXT) | instid1(VALU_DEP_1)
	v_and_b32_e32 v0, 0x80000000, v0
	v_or3_b32 v74, v53, v0, v56
	s_delay_alu instid0(VALU_DEP_1)
	v_mov_b64_e32 v[56:57], v[74:75]
.LBB200_2040:                           ;   in Loop: Header=BB200_1066 Depth=1
	s_or_b32 exec_lo, exec_lo, s9
.LBB200_2041:                           ;   in Loop: Header=BB200_1066 Depth=1
	s_delay_alu instid0(SALU_CYCLE_1)
	s_or_b32 exec_lo, exec_lo, s8
.LBB200_2042:                           ;   in Loop: Header=BB200_1066 Depth=1
	s_delay_alu instid0(SALU_CYCLE_1) | instskip(NEXT) | instid1(SALU_CYCLE_1)
	s_or_b32 exec_lo, exec_lo, s3
	s_mov_b32 s3, exec_lo
	v_cmpx_lt_u32_e32 0xffffff, v52
	s_cbranch_execz .LBB200_2050
; %bb.2043:                             ;   in Loop: Header=BB200_1066 Depth=1
	v_mov_b64_e32 v[46:47], 0x8000000000000000
	v_lshrrev_b32_e32 v53, 24, v52
	s_mov_b32 s8, exec_lo
	s_delay_alu instid0(VALU_DEP_1)
	v_cmpx_ne_u32_e32 0x80, v53
	s_cbranch_execz .LBB200_2049
; %bb.2044:                             ;   in Loop: Header=BB200_1066 Depth=1
	v_mov_b64_e32 v[46:47], 0x7f80000100000000
	v_bfe_u32 v58, v52, 24, 7
	s_mov_b32 s9, exec_lo
	s_delay_alu instid0(VALU_DEP_1)
	v_cmpx_ne_u32_e32 0x7f, v58
	s_cbranch_execz .LBB200_2048
; %bb.2045:                             ;   in Loop: Header=BB200_1066 Depth=1
	v_dual_lshrrev_b32 v52, 3, v58 :: v_dual_bitop2_b32 v74, 7, v53 bitop3:0x40
	s_mov_b32 s16, exec_lo
	v_cmpx_gt_u32_e32 8, v58
; %bb.2046:                             ;   in Loop: Header=BB200_1066 Depth=1
	s_delay_alu instid0(VALU_DEP_2) | instskip(NEXT) | instid1(VALU_DEP_1)
	v_clz_i32_u32_e32 v0, v74
	v_min_u32_e32 v0, 32, v0
	s_delay_alu instid0(VALU_DEP_1) | instskip(NEXT) | instid1(VALU_DEP_1)
	v_subrev_nc_u32_e32 v52, 28, v0
	v_lshlrev_b64_e32 v[46:47], v52, v[74:75]
	s_delay_alu instid0(VALU_DEP_1)
	v_dual_sub_nc_u32 v52, 29, v0 :: v_dual_bitop2_b32 v74, 7, v46 bitop3:0x40
; %bb.2047:                             ;   in Loop: Header=BB200_1066 Depth=1
	s_or_b32 exec_lo, exec_lo, s16
	s_delay_alu instid0(VALU_DEP_1) | instskip(NEXT) | instid1(VALU_DEP_2)
	v_dual_lshlrev_b32 v0, 24, v53 :: v_dual_lshlrev_b32 v53, 20, v74
	v_lshl_add_u32 v52, v52, 23, 0x3c000000
	v_mov_b32_e32 v46, v75
	s_delay_alu instid0(VALU_DEP_3) | instskip(NEXT) | instid1(VALU_DEP_1)
	v_and_b32_e32 v0, 0x80000000, v0
	v_or3_b32 v47, v53, v0, v52
.LBB200_2048:                           ;   in Loop: Header=BB200_1066 Depth=1
	s_or_b32 exec_lo, exec_lo, s9
.LBB200_2049:                           ;   in Loop: Header=BB200_1066 Depth=1
	s_delay_alu instid0(SALU_CYCLE_1)
	s_or_b32 exec_lo, exec_lo, s8
.LBB200_2050:                           ;   in Loop: Header=BB200_1066 Depth=1
	s_delay_alu instid0(SALU_CYCLE_1) | instskip(SKIP_4) | instid1(VALU_DEP_3)
	s_or_b32 exec_lo, exec_lo, s3
	v_or_b32_e32 v53, v65, v45
	v_or_b32_e32 v52, v64, v44
	;; [unrolled: 1-line block ×4, first 2 shown]
	v_pk_mul_f32 v[46:47], v[38:39], v[52:53]
	s_delay_alu instid0(VALU_DEP_2)
	v_pk_mul_f32 v[44:45], v[38:39], v[64:65]
	s_and_saveexec_b32 s3, vcc_lo
	s_cbranch_execz .LBB200_2052
; %bb.2051:                             ;   in Loop: Header=BB200_1066 Depth=1
	scratch_load_b64 v[52:53], off, s32 offset:192 ; 8-byte Folded Reload
	s_wait_loadcnt 0x0
	v_mov_b32_e32 v0, v52
	s_delay_alu instid0(VALU_DEP_1) | instskip(NEXT) | instid1(VALU_DEP_1)
	v_cmp_lt_i32_e64 s0, v1, v0
	v_cndmask_b32_e64 v46, 0, v46, s0
	v_cmp_lt_i32_e64 s0, v77, v0
	s_delay_alu instid0(VALU_DEP_1) | instskip(SKIP_1) | instid1(VALU_DEP_1)
	v_cndmask_b32_e64 v47, 0, v47, s0
	v_cmp_lt_i32_e64 s0, v73, v0
	v_cndmask_b32_e64 v44, 0, v44, s0
	v_cmp_lt_i32_e64 s0, v72, v0
	s_delay_alu instid0(VALU_DEP_1)
	v_cndmask_b32_e64 v45, 0, v45, s0
.LBB200_2052:                           ;   in Loop: Header=BB200_1066 Depth=1
	s_wait_xcnt 0x0
	s_or_b32 exec_lo, exec_lo, s3
	flat_load_b32 v52, v[96:97] offset:3712
	v_mov_b64_e32 v[64:65], 0
	v_mov_b64_e32 v[56:57], 0
	s_mov_b32 s3, exec_lo
	s_wait_loadcnt_dscnt 0x0
	v_and_b32_e32 v53, 0xff, v52
	s_wait_xcnt 0x0
	s_delay_alu instid0(VALU_DEP_1)
	v_cmpx_ne_u16_e32 0, v53
	s_cbranch_execz .LBB200_2060
; %bb.2053:                             ;   in Loop: Header=BB200_1066 Depth=1
	v_mov_b64_e32 v[56:57], 0x80000000
	s_mov_b32 s8, exec_lo
	v_cmpx_ne_u16_e32 0x80, v53
	s_cbranch_execz .LBB200_2059
; %bb.2054:                             ;   in Loop: Header=BB200_1066 Depth=1
	v_mov_b64_e32 v[56:57], 0x7f800001
	v_and_b32_e32 v58, 0x7f, v52
	s_mov_b32 s9, exec_lo
	s_delay_alu instid0(VALU_DEP_1)
	v_cmpx_ne_u32_e32 0x7f, v58
	s_cbranch_execz .LBB200_2058
; %bb.2055:                             ;   in Loop: Header=BB200_1066 Depth=1
	v_dual_lshrrev_b32 v53, 3, v58 :: v_dual_bitop2_b32 v74, 7, v52 bitop3:0x40
	s_mov_b32 s16, exec_lo
	v_cmpx_gt_u32_e32 8, v58
; %bb.2056:                             ;   in Loop: Header=BB200_1066 Depth=1
	s_delay_alu instid0(VALU_DEP_2) | instskip(NEXT) | instid1(VALU_DEP_1)
	v_clz_i32_u32_e32 v0, v74
	v_min_u32_e32 v0, 32, v0
	s_delay_alu instid0(VALU_DEP_1) | instskip(NEXT) | instid1(VALU_DEP_1)
	v_subrev_nc_u32_e32 v53, 28, v0
	v_lshlrev_b64_e32 v[56:57], v53, v[74:75]
	v_sub_nc_u32_e32 v53, 29, v0
	s_delay_alu instid0(VALU_DEP_2)
	v_and_b32_e32 v74, 7, v56
; %bb.2057:                             ;   in Loop: Header=BB200_1066 Depth=1
	s_or_b32 exec_lo, exec_lo, s16
	s_delay_alu instid0(VALU_DEP_1) | instskip(NEXT) | instid1(VALU_DEP_3)
	v_dual_lshlrev_b32 v0, 24, v52 :: v_dual_lshlrev_b32 v56, 20, v74
	v_lshl_add_u32 v53, v53, 23, 0x3c000000
	s_delay_alu instid0(VALU_DEP_2) | instskip(NEXT) | instid1(VALU_DEP_1)
	v_and_b32_e32 v0, 0x80000000, v0
	v_or3_b32 v74, v56, v0, v53
	s_delay_alu instid0(VALU_DEP_1)
	v_mov_b64_e32 v[56:57], v[74:75]
.LBB200_2058:                           ;   in Loop: Header=BB200_1066 Depth=1
	s_or_b32 exec_lo, exec_lo, s9
.LBB200_2059:                           ;   in Loop: Header=BB200_1066 Depth=1
	s_delay_alu instid0(SALU_CYCLE_1)
	s_or_b32 exec_lo, exec_lo, s8
.LBB200_2060:                           ;   in Loop: Header=BB200_1066 Depth=1
	s_delay_alu instid0(SALU_CYCLE_1) | instskip(SKIP_2) | instid1(VALU_DEP_1)
	s_or_b32 exec_lo, exec_lo, s3
	v_lshrrev_b16 v53, 8, v52
	s_mov_b32 s3, exec_lo
	v_cmpx_ne_u16_e32 0, v53
	s_cbranch_execz .LBB200_2068
; %bb.2061:                             ;   in Loop: Header=BB200_1066 Depth=1
	v_mov_b64_e32 v[64:65], 0x8000000000000000
	s_mov_b32 s8, exec_lo
	v_cmpx_ne_u16_e32 0x80, v53
	s_cbranch_execz .LBB200_2067
; %bb.2062:                             ;   in Loop: Header=BB200_1066 Depth=1
	v_and_b32_e32 v53, 0xffff, v53
	v_mov_b64_e32 v[64:65], 0x7f80000100000000
	s_mov_b32 s9, exec_lo
	s_delay_alu instid0(VALU_DEP_2) | instskip(NEXT) | instid1(VALU_DEP_1)
	v_and_b32_e32 v58, 0x7f, v53
	v_cmpx_ne_u32_e32 0x7f, v58
	s_cbranch_execz .LBB200_2066
; %bb.2063:                             ;   in Loop: Header=BB200_1066 Depth=1
	v_dual_lshrrev_b32 v53, 3, v58 :: v_dual_bitop2_b32 v74, 7, v53 bitop3:0x40
	s_mov_b32 s16, exec_lo
	v_cmpx_gt_u32_e32 8, v58
; %bb.2064:                             ;   in Loop: Header=BB200_1066 Depth=1
	s_delay_alu instid0(VALU_DEP_2) | instskip(NEXT) | instid1(VALU_DEP_1)
	v_clz_i32_u32_e32 v0, v74
	v_min_u32_e32 v0, 32, v0
	s_delay_alu instid0(VALU_DEP_1) | instskip(NEXT) | instid1(VALU_DEP_1)
	v_subrev_nc_u32_e32 v53, 28, v0
	v_lshlrev_b64_e32 v[64:65], v53, v[74:75]
	v_sub_nc_u32_e32 v53, 29, v0
	s_delay_alu instid0(VALU_DEP_2)
	v_and_b32_e32 v74, 7, v64
; %bb.2065:                             ;   in Loop: Header=BB200_1066 Depth=1
	s_or_b32 exec_lo, exec_lo, s16
	s_delay_alu instid0(VALU_DEP_1) | instskip(NEXT) | instid1(VALU_DEP_3)
	v_dual_lshlrev_b32 v0, 16, v52 :: v_dual_lshlrev_b32 v64, 20, v74
	v_lshl_add_u32 v53, v53, 23, 0x3c000000
	s_delay_alu instid0(VALU_DEP_2) | instskip(NEXT) | instid1(VALU_DEP_1)
	v_and_b32_e32 v0, 0x80000000, v0
	v_or3_b32 v65, v64, v0, v53
	v_mov_b32_e32 v64, v75
.LBB200_2066:                           ;   in Loop: Header=BB200_1066 Depth=1
	s_or_b32 exec_lo, exec_lo, s9
.LBB200_2067:                           ;   in Loop: Header=BB200_1066 Depth=1
	s_delay_alu instid0(SALU_CYCLE_1)
	s_or_b32 exec_lo, exec_lo, s8
.LBB200_2068:                           ;   in Loop: Header=BB200_1066 Depth=1
	s_delay_alu instid0(SALU_CYCLE_1) | instskip(SKIP_4) | instid1(VALU_DEP_3)
	s_or_b32 exec_lo, exec_lo, s3
	v_lshrrev_b32_e32 v53, 16, v52
	v_mov_b64_e32 v[58:59], 0
	v_mov_b64_e32 v[60:61], 0
	s_mov_b32 s3, exec_lo
	v_and_b32_e32 v62, 0xff, v53
	s_delay_alu instid0(VALU_DEP_1)
	v_cmpx_ne_u16_e32 0, v62
	s_cbranch_execz .LBB200_2076
; %bb.2069:                             ;   in Loop: Header=BB200_1066 Depth=1
	v_mov_b64_e32 v[60:61], 0x80000000
	s_mov_b32 s8, exec_lo
	v_cmpx_ne_u16_e32 0x80, v62
	s_cbranch_execz .LBB200_2075
; %bb.2070:                             ;   in Loop: Header=BB200_1066 Depth=1
	v_mov_b64_e32 v[60:61], 0x7f800001
	v_bfe_u32 v62, v52, 16, 7
	s_mov_b32 s9, exec_lo
	s_delay_alu instid0(VALU_DEP_1)
	v_cmpx_ne_u32_e32 0x7f, v62
	s_cbranch_execz .LBB200_2074
; %bb.2071:                             ;   in Loop: Header=BB200_1066 Depth=1
	v_dual_lshrrev_b32 v60, 3, v62 :: v_dual_bitop2_b32 v74, 7, v53 bitop3:0x40
	s_mov_b32 s16, exec_lo
	v_cmpx_gt_u32_e32 8, v62
; %bb.2072:                             ;   in Loop: Header=BB200_1066 Depth=1
	s_delay_alu instid0(VALU_DEP_2) | instskip(NEXT) | instid1(VALU_DEP_1)
	v_clz_i32_u32_e32 v0, v74
	v_min_u32_e32 v0, 32, v0
	s_delay_alu instid0(VALU_DEP_1) | instskip(NEXT) | instid1(VALU_DEP_1)
	v_subrev_nc_u32_e32 v60, 28, v0
	v_lshlrev_b64_e32 v[62:63], v60, v[74:75]
	s_delay_alu instid0(VALU_DEP_1)
	v_dual_sub_nc_u32 v60, 29, v0 :: v_dual_bitop2_b32 v74, 7, v62 bitop3:0x40
; %bb.2073:                             ;   in Loop: Header=BB200_1066 Depth=1
	s_or_b32 exec_lo, exec_lo, s16
	s_delay_alu instid0(VALU_DEP_1) | instskip(NEXT) | instid1(VALU_DEP_2)
	v_dual_lshlrev_b32 v0, 24, v53 :: v_dual_lshlrev_b32 v53, 20, v74
	v_lshl_add_u32 v60, v60, 23, 0x3c000000
	s_delay_alu instid0(VALU_DEP_2) | instskip(NEXT) | instid1(VALU_DEP_1)
	v_and_b32_e32 v0, 0x80000000, v0
	v_or3_b32 v74, v53, v0, v60
	s_delay_alu instid0(VALU_DEP_1)
	v_mov_b64_e32 v[60:61], v[74:75]
.LBB200_2074:                           ;   in Loop: Header=BB200_1066 Depth=1
	s_or_b32 exec_lo, exec_lo, s9
.LBB200_2075:                           ;   in Loop: Header=BB200_1066 Depth=1
	s_delay_alu instid0(SALU_CYCLE_1)
	s_or_b32 exec_lo, exec_lo, s8
.LBB200_2076:                           ;   in Loop: Header=BB200_1066 Depth=1
	s_delay_alu instid0(SALU_CYCLE_1) | instskip(NEXT) | instid1(SALU_CYCLE_1)
	s_or_b32 exec_lo, exec_lo, s3
	s_mov_b32 s3, exec_lo
	v_cmpx_lt_u32_e32 0xffffff, v52
	s_cbranch_execz .LBB200_2084
; %bb.2077:                             ;   in Loop: Header=BB200_1066 Depth=1
	v_mov_b64_e32 v[58:59], 0x8000000000000000
	v_lshrrev_b32_e32 v53, 24, v52
	s_mov_b32 s8, exec_lo
	s_delay_alu instid0(VALU_DEP_1)
	v_cmpx_ne_u32_e32 0x80, v53
	s_cbranch_execz .LBB200_2083
; %bb.2078:                             ;   in Loop: Header=BB200_1066 Depth=1
	v_mov_b64_e32 v[58:59], 0x7f80000100000000
	v_bfe_u32 v62, v52, 24, 7
	s_mov_b32 s9, exec_lo
	s_delay_alu instid0(VALU_DEP_1)
	v_cmpx_ne_u32_e32 0x7f, v62
	s_cbranch_execz .LBB200_2082
; %bb.2079:                             ;   in Loop: Header=BB200_1066 Depth=1
	v_dual_lshrrev_b32 v52, 3, v62 :: v_dual_bitop2_b32 v74, 7, v53 bitop3:0x40
	s_mov_b32 s16, exec_lo
	v_cmpx_gt_u32_e32 8, v62
; %bb.2080:                             ;   in Loop: Header=BB200_1066 Depth=1
	s_delay_alu instid0(VALU_DEP_2) | instskip(NEXT) | instid1(VALU_DEP_1)
	v_clz_i32_u32_e32 v0, v74
	v_min_u32_e32 v0, 32, v0
	s_delay_alu instid0(VALU_DEP_1) | instskip(NEXT) | instid1(VALU_DEP_1)
	v_subrev_nc_u32_e32 v52, 28, v0
	v_lshlrev_b64_e32 v[58:59], v52, v[74:75]
	s_delay_alu instid0(VALU_DEP_1)
	v_dual_sub_nc_u32 v52, 29, v0 :: v_dual_bitop2_b32 v74, 7, v58 bitop3:0x40
; %bb.2081:                             ;   in Loop: Header=BB200_1066 Depth=1
	s_or_b32 exec_lo, exec_lo, s16
	s_delay_alu instid0(VALU_DEP_1) | instskip(NEXT) | instid1(VALU_DEP_2)
	v_dual_lshlrev_b32 v0, 24, v53 :: v_dual_lshlrev_b32 v53, 20, v74
	v_lshl_add_u32 v52, v52, 23, 0x3c000000
	v_mov_b32_e32 v58, v75
	s_delay_alu instid0(VALU_DEP_3) | instskip(NEXT) | instid1(VALU_DEP_1)
	v_and_b32_e32 v0, 0x80000000, v0
	v_or3_b32 v59, v53, v0, v52
.LBB200_2082:                           ;   in Loop: Header=BB200_1066 Depth=1
	s_or_b32 exec_lo, exec_lo, s9
.LBB200_2083:                           ;   in Loop: Header=BB200_1066 Depth=1
	s_delay_alu instid0(SALU_CYCLE_1)
	s_or_b32 exec_lo, exec_lo, s8
.LBB200_2084:                           ;   in Loop: Header=BB200_1066 Depth=1
	s_delay_alu instid0(SALU_CYCLE_1) | instskip(SKIP_4) | instid1(VALU_DEP_3)
	s_or_b32 exec_lo, exec_lo, s3
	v_or_b32_e32 v53, v65, v57
	v_or_b32_e32 v52, v64, v56
	;; [unrolled: 1-line block ×4, first 2 shown]
	v_pk_mul_f32 v[64:65], v[38:39], v[52:53]
	s_delay_alu instid0(VALU_DEP_2)
	v_pk_mul_f32 v[56:57], v[38:39], v[56:57]
	s_and_saveexec_b32 s3, vcc_lo
	s_cbranch_execz .LBB200_2086
; %bb.2085:                             ;   in Loop: Header=BB200_1066 Depth=1
	scratch_load_b64 v[52:53], off, s32 offset:192 ; 8-byte Folded Reload
	s_wait_loadcnt 0x0
	v_mov_b32_e32 v0, v52
	s_delay_alu instid0(VALU_DEP_1) | instskip(NEXT) | instid1(VALU_DEP_1)
	v_cmp_lt_i32_e64 s0, v1, v0
	v_cndmask_b32_e64 v64, 0, v64, s0
	v_cmp_lt_i32_e64 s0, v77, v0
	s_delay_alu instid0(VALU_DEP_1) | instskip(SKIP_1) | instid1(VALU_DEP_1)
	v_cndmask_b32_e64 v65, 0, v65, s0
	v_cmp_lt_i32_e64 s0, v73, v0
	v_cndmask_b32_e64 v56, 0, v56, s0
	v_cmp_lt_i32_e64 s0, v72, v0
	s_delay_alu instid0(VALU_DEP_1)
	v_cndmask_b32_e64 v57, 0, v57, s0
.LBB200_2086:                           ;   in Loop: Header=BB200_1066 Depth=1
	s_wait_xcnt 0x0
	s_or_b32 exec_lo, exec_lo, s3
	flat_load_b32 v52, v[96:97] offset:3840
	s_wait_xcnt 0x0
	v_mov_b64_e32 v[96:97], 0
	v_mov_b64_e32 v[58:59], 0
	s_mov_b32 s3, exec_lo
	s_wait_loadcnt_dscnt 0x0
	v_and_b32_e32 v53, 0xff, v52
	s_delay_alu instid0(VALU_DEP_1)
	v_cmpx_ne_u16_e32 0, v53
	s_cbranch_execz .LBB200_2094
; %bb.2087:                             ;   in Loop: Header=BB200_1066 Depth=1
	v_mov_b64_e32 v[58:59], 0x80000000
	s_mov_b32 s8, exec_lo
	v_cmpx_ne_u16_e32 0x80, v53
	s_cbranch_execz .LBB200_2093
; %bb.2088:                             ;   in Loop: Header=BB200_1066 Depth=1
	v_mov_b64_e32 v[58:59], 0x7f800001
	v_and_b32_e32 v60, 0x7f, v52
	s_mov_b32 s9, exec_lo
	s_delay_alu instid0(VALU_DEP_1)
	v_cmpx_ne_u32_e32 0x7f, v60
	s_cbranch_execz .LBB200_2092
; %bb.2089:                             ;   in Loop: Header=BB200_1066 Depth=1
	v_and_b32_e32 v74, 7, v52
	v_lshrrev_b32_e32 v53, 3, v60
	s_mov_b32 s16, exec_lo
	v_cmpx_gt_u32_e32 8, v60
; %bb.2090:                             ;   in Loop: Header=BB200_1066 Depth=1
	s_delay_alu instid0(VALU_DEP_3) | instskip(NEXT) | instid1(VALU_DEP_1)
	v_clz_i32_u32_e32 v0, v74
	v_min_u32_e32 v0, 32, v0
	s_delay_alu instid0(VALU_DEP_1) | instskip(NEXT) | instid1(VALU_DEP_1)
	v_subrev_nc_u32_e32 v53, 28, v0
	v_lshlrev_b64_e32 v[58:59], v53, v[74:75]
	s_delay_alu instid0(VALU_DEP_1)
	v_dual_sub_nc_u32 v53, 29, v0 :: v_dual_bitop2_b32 v74, 7, v58 bitop3:0x40
; %bb.2091:                             ;   in Loop: Header=BB200_1066 Depth=1
	s_or_b32 exec_lo, exec_lo, s16
	s_delay_alu instid0(VALU_DEP_1) | instskip(NEXT) | instid1(VALU_DEP_2)
	v_dual_lshlrev_b32 v0, 24, v52 :: v_dual_lshlrev_b32 v58, 20, v74
	v_lshl_add_u32 v53, v53, 23, 0x3c000000
	s_delay_alu instid0(VALU_DEP_2) | instskip(NEXT) | instid1(VALU_DEP_1)
	v_and_b32_e32 v0, 0x80000000, v0
	v_or3_b32 v74, v58, v0, v53
	s_delay_alu instid0(VALU_DEP_1)
	v_mov_b64_e32 v[58:59], v[74:75]
.LBB200_2092:                           ;   in Loop: Header=BB200_1066 Depth=1
	s_or_b32 exec_lo, exec_lo, s9
.LBB200_2093:                           ;   in Loop: Header=BB200_1066 Depth=1
	s_delay_alu instid0(SALU_CYCLE_1)
	s_or_b32 exec_lo, exec_lo, s8
.LBB200_2094:                           ;   in Loop: Header=BB200_1066 Depth=1
	s_delay_alu instid0(SALU_CYCLE_1) | instskip(SKIP_2) | instid1(VALU_DEP_1)
	s_or_b32 exec_lo, exec_lo, s3
	v_lshrrev_b16 v53, 8, v52
	s_mov_b32 s3, exec_lo
	v_cmpx_ne_u16_e32 0, v53
	s_cbranch_execz .LBB200_2102
; %bb.2095:                             ;   in Loop: Header=BB200_1066 Depth=1
	v_mov_b64_e32 v[96:97], 0x8000000000000000
	s_mov_b32 s8, exec_lo
	v_cmpx_ne_u16_e32 0x80, v53
	s_cbranch_execz .LBB200_2101
; %bb.2096:                             ;   in Loop: Header=BB200_1066 Depth=1
	v_and_b32_e32 v53, 0xffff, v53
	v_mov_b64_e32 v[96:97], 0x7f80000100000000
	s_mov_b32 s9, exec_lo
	s_delay_alu instid0(VALU_DEP_2) | instskip(NEXT) | instid1(VALU_DEP_1)
	v_and_b32_e32 v60, 0x7f, v53
	v_cmpx_ne_u32_e32 0x7f, v60
	s_cbranch_execz .LBB200_2100
; %bb.2097:                             ;   in Loop: Header=BB200_1066 Depth=1
	v_dual_lshrrev_b32 v53, 3, v60 :: v_dual_bitop2_b32 v74, 7, v53 bitop3:0x40
	s_mov_b32 s16, exec_lo
	v_cmpx_gt_u32_e32 8, v60
; %bb.2098:                             ;   in Loop: Header=BB200_1066 Depth=1
	s_delay_alu instid0(VALU_DEP_2) | instskip(NEXT) | instid1(VALU_DEP_1)
	v_clz_i32_u32_e32 v0, v74
	v_min_u32_e32 v0, 32, v0
	s_delay_alu instid0(VALU_DEP_1) | instskip(NEXT) | instid1(VALU_DEP_1)
	v_subrev_nc_u32_e32 v53, 28, v0
	v_lshlrev_b64_e32 v[96:97], v53, v[74:75]
	v_sub_nc_u32_e32 v53, 29, v0
	s_delay_alu instid0(VALU_DEP_2)
	v_and_b32_e32 v74, 7, v96
; %bb.2099:                             ;   in Loop: Header=BB200_1066 Depth=1
	s_or_b32 exec_lo, exec_lo, s16
	s_delay_alu instid0(VALU_DEP_1) | instskip(NEXT) | instid1(VALU_DEP_3)
	v_dual_lshlrev_b32 v0, 16, v52 :: v_dual_lshlrev_b32 v96, 20, v74
	v_lshl_add_u32 v53, v53, 23, 0x3c000000
	s_delay_alu instid0(VALU_DEP_2) | instskip(NEXT) | instid1(VALU_DEP_1)
	v_and_b32_e32 v0, 0x80000000, v0
	v_or3_b32 v97, v96, v0, v53
	v_mov_b32_e32 v96, v75
.LBB200_2100:                           ;   in Loop: Header=BB200_1066 Depth=1
	s_or_b32 exec_lo, exec_lo, s9
.LBB200_2101:                           ;   in Loop: Header=BB200_1066 Depth=1
	s_delay_alu instid0(SALU_CYCLE_1)
	s_or_b32 exec_lo, exec_lo, s8
.LBB200_2102:                           ;   in Loop: Header=BB200_1066 Depth=1
	s_delay_alu instid0(SALU_CYCLE_1) | instskip(SKIP_4) | instid1(VALU_DEP_3)
	s_or_b32 exec_lo, exec_lo, s3
	v_lshrrev_b32_e32 v53, 16, v52
	v_mov_b64_e32 v[60:61], 0
	v_mov_b64_e32 v[62:63], 0
	s_mov_b32 s3, exec_lo
	v_and_b32_e32 v74, 0xff, v53
	s_delay_alu instid0(VALU_DEP_1)
	v_cmpx_ne_u16_e32 0, v74
	s_cbranch_execz .LBB200_2110
; %bb.2103:                             ;   in Loop: Header=BB200_1066 Depth=1
	v_mov_b64_e32 v[62:63], 0x80000000
	s_mov_b32 s8, exec_lo
	v_cmpx_ne_u16_e32 0x80, v74
	s_cbranch_execz .LBB200_2109
; %bb.2104:                             ;   in Loop: Header=BB200_1066 Depth=1
	v_mov_b64_e32 v[62:63], 0x7f800001
	v_bfe_u32 v76, v52, 16, 7
	s_mov_b32 s9, exec_lo
	s_delay_alu instid0(VALU_DEP_1)
	v_cmpx_ne_u32_e32 0x7f, v76
	s_cbranch_execz .LBB200_2108
; %bb.2105:                             ;   in Loop: Header=BB200_1066 Depth=1
	v_dual_lshrrev_b32 v62, 3, v76 :: v_dual_bitop2_b32 v74, 7, v53 bitop3:0x40
	s_mov_b32 s16, exec_lo
	v_cmpx_gt_u32_e32 8, v76
; %bb.2106:                             ;   in Loop: Header=BB200_1066 Depth=1
	s_delay_alu instid0(VALU_DEP_2) | instskip(NEXT) | instid1(VALU_DEP_1)
	v_clz_i32_u32_e32 v0, v74
	v_min_u32_e32 v0, 32, v0
	s_delay_alu instid0(VALU_DEP_1) | instskip(NEXT) | instid1(VALU_DEP_1)
	v_subrev_nc_u32_e32 v62, 28, v0
	v_lshlrev_b64_e32 v[78:79], v62, v[74:75]
	s_delay_alu instid0(VALU_DEP_1)
	v_dual_sub_nc_u32 v62, 29, v0 :: v_dual_bitop2_b32 v74, 7, v78 bitop3:0x40
; %bb.2107:                             ;   in Loop: Header=BB200_1066 Depth=1
	s_or_b32 exec_lo, exec_lo, s16
	s_delay_alu instid0(VALU_DEP_1) | instskip(NEXT) | instid1(VALU_DEP_2)
	v_dual_lshlrev_b32 v0, 24, v53 :: v_dual_lshlrev_b32 v53, 20, v74
	v_lshl_add_u32 v62, v62, 23, 0x3c000000
	s_delay_alu instid0(VALU_DEP_2) | instskip(NEXT) | instid1(VALU_DEP_1)
	v_and_b32_e32 v0, 0x80000000, v0
	v_or3_b32 v74, v53, v0, v62
	s_delay_alu instid0(VALU_DEP_1)
	v_mov_b64_e32 v[62:63], v[74:75]
.LBB200_2108:                           ;   in Loop: Header=BB200_1066 Depth=1
	s_or_b32 exec_lo, exec_lo, s9
.LBB200_2109:                           ;   in Loop: Header=BB200_1066 Depth=1
	s_delay_alu instid0(SALU_CYCLE_1)
	s_or_b32 exec_lo, exec_lo, s8
.LBB200_2110:                           ;   in Loop: Header=BB200_1066 Depth=1
	s_delay_alu instid0(SALU_CYCLE_1) | instskip(NEXT) | instid1(SALU_CYCLE_1)
	s_or_b32 exec_lo, exec_lo, s3
	s_mov_b32 s3, exec_lo
	v_cmpx_lt_u32_e32 0xffffff, v52
	s_cbranch_execz .LBB200_2118
; %bb.2111:                             ;   in Loop: Header=BB200_1066 Depth=1
	v_mov_b64_e32 v[60:61], 0x8000000000000000
	v_lshrrev_b32_e32 v53, 24, v52
	s_mov_b32 s8, exec_lo
	s_delay_alu instid0(VALU_DEP_1)
	v_cmpx_ne_u32_e32 0x80, v53
	s_cbranch_execz .LBB200_2117
; %bb.2112:                             ;   in Loop: Header=BB200_1066 Depth=1
	v_mov_b64_e32 v[60:61], 0x7f80000100000000
	v_bfe_u32 v76, v52, 24, 7
	s_mov_b32 s9, exec_lo
	s_delay_alu instid0(VALU_DEP_1)
	v_cmpx_ne_u32_e32 0x7f, v76
	s_cbranch_execz .LBB200_2116
; %bb.2113:                             ;   in Loop: Header=BB200_1066 Depth=1
	v_dual_lshrrev_b32 v52, 3, v76 :: v_dual_bitop2_b32 v74, 7, v53 bitop3:0x40
	s_mov_b32 s16, exec_lo
	v_cmpx_gt_u32_e32 8, v76
; %bb.2114:                             ;   in Loop: Header=BB200_1066 Depth=1
	s_delay_alu instid0(VALU_DEP_2) | instskip(NEXT) | instid1(VALU_DEP_1)
	v_clz_i32_u32_e32 v0, v74
	v_min_u32_e32 v0, 32, v0
	s_delay_alu instid0(VALU_DEP_1) | instskip(NEXT) | instid1(VALU_DEP_1)
	v_subrev_nc_u32_e32 v52, 28, v0
	v_lshlrev_b64_e32 v[60:61], v52, v[74:75]
	v_sub_nc_u32_e32 v52, 29, v0
	s_delay_alu instid0(VALU_DEP_2)
	v_and_b32_e32 v74, 7, v60
; %bb.2115:                             ;   in Loop: Header=BB200_1066 Depth=1
	s_or_b32 exec_lo, exec_lo, s16
	s_delay_alu instid0(VALU_DEP_1) | instskip(NEXT) | instid1(VALU_DEP_3)
	v_dual_lshlrev_b32 v0, 24, v53 :: v_dual_lshlrev_b32 v53, 20, v74
	v_lshl_add_u32 v52, v52, 23, 0x3c000000
	v_mov_b32_e32 v60, v75
	s_delay_alu instid0(VALU_DEP_3) | instskip(NEXT) | instid1(VALU_DEP_1)
	v_and_b32_e32 v0, 0x80000000, v0
	v_or3_b32 v61, v53, v0, v52
.LBB200_2116:                           ;   in Loop: Header=BB200_1066 Depth=1
	s_or_b32 exec_lo, exec_lo, s9
.LBB200_2117:                           ;   in Loop: Header=BB200_1066 Depth=1
	s_delay_alu instid0(SALU_CYCLE_1)
	s_or_b32 exec_lo, exec_lo, s8
.LBB200_2118:                           ;   in Loop: Header=BB200_1066 Depth=1
	s_delay_alu instid0(SALU_CYCLE_1) | instskip(SKIP_4) | instid1(VALU_DEP_3)
	s_or_b32 exec_lo, exec_lo, s3
	v_or_b32_e32 v53, v97, v59
	v_or_b32_e32 v52, v96, v58
	;; [unrolled: 1-line block ×4, first 2 shown]
	v_pk_mul_f32 v[58:59], v[38:39], v[52:53]
	s_delay_alu instid0(VALU_DEP_2)
	v_pk_mul_f32 v[96:97], v[38:39], v[96:97]
	s_and_saveexec_b32 s3, vcc_lo
	s_cbranch_execz .LBB200_2120
; %bb.2119:                             ;   in Loop: Header=BB200_1066 Depth=1
	scratch_load_b64 v[52:53], off, s32 offset:192 ; 8-byte Folded Reload
	s_wait_loadcnt 0x0
	v_mov_b32_e32 v0, v52
	s_delay_alu instid0(VALU_DEP_1) | instskip(NEXT) | instid1(VALU_DEP_1)
	v_cmp_lt_i32_e64 s0, v1, v0
	v_cndmask_b32_e64 v58, 0, v58, s0
	v_cmp_lt_i32_e64 s0, v77, v0
	s_delay_alu instid0(VALU_DEP_1) | instskip(SKIP_1) | instid1(VALU_DEP_1)
	v_cndmask_b32_e64 v59, 0, v59, s0
	v_cmp_lt_i32_e64 s0, v73, v0
	v_cndmask_b32_e64 v96, 0, v96, s0
	v_cmp_lt_i32_e64 s0, v72, v0
	s_delay_alu instid0(VALU_DEP_1)
	v_cndmask_b32_e64 v97, 0, v97, s0
.LBB200_2120:                           ;   in Loop: Header=BB200_1066 Depth=1
	s_wait_xcnt 0x0
	s_or_b32 exec_lo, exec_lo, s3
	scratch_load_b64 v[52:53], off, s32 offset:444 ; 8-byte Folded Reload
	v_mov_b64_e32 v[60:61], 0
	v_mov_b64_e32 v[62:63], 0
	s_mov_b32 s3, exec_lo
	s_wait_loadcnt 0x0
	v_add_nc_u64_e32 v[52:53], v[88:89], v[52:53]
	flat_load_b32 v76, v[52:53]
	s_wait_loadcnt_dscnt 0x0
	v_and_b32_e32 v52, 0xff, v76
	s_delay_alu instid0(VALU_DEP_1)
	v_cmpx_ne_u16_e32 0, v52
	s_cbranch_execz .LBB200_2128
; %bb.2121:                             ;   in Loop: Header=BB200_1066 Depth=1
	v_mov_b64_e32 v[62:63], 0x80000000
	s_mov_b32 s8, exec_lo
	v_cmpx_ne_u16_e32 0x80, v52
	s_cbranch_execz .LBB200_2127
; %bb.2122:                             ;   in Loop: Header=BB200_1066 Depth=1
	v_mov_b64_e32 v[62:63], 0x7f800001
	v_and_b32_e32 v53, 0x7f, v76
	s_mov_b32 s9, exec_lo
	s_delay_alu instid0(VALU_DEP_1)
	v_cmpx_ne_u32_e32 0x7f, v53
	s_cbranch_execz .LBB200_2126
; %bb.2123:                             ;   in Loop: Header=BB200_1066 Depth=1
	v_dual_lshrrev_b32 v52, 3, v53 :: v_dual_bitop2_b32 v74, 7, v76 bitop3:0x40
	s_mov_b32 s16, exec_lo
	v_cmpx_gt_u32_e32 8, v53
; %bb.2124:                             ;   in Loop: Header=BB200_1066 Depth=1
	s_delay_alu instid0(VALU_DEP_2) | instskip(NEXT) | instid1(VALU_DEP_1)
	v_clz_i32_u32_e32 v0, v74
	v_min_u32_e32 v0, 32, v0
	s_delay_alu instid0(VALU_DEP_1) | instskip(NEXT) | instid1(VALU_DEP_1)
	v_subrev_nc_u32_e32 v52, 28, v0
	v_lshlrev_b64_e32 v[62:63], v52, v[74:75]
	s_delay_alu instid0(VALU_DEP_1)
	v_dual_sub_nc_u32 v52, 29, v0 :: v_dual_bitop2_b32 v74, 7, v62 bitop3:0x40
; %bb.2125:                             ;   in Loop: Header=BB200_1066 Depth=1
	s_or_b32 exec_lo, exec_lo, s16
	s_delay_alu instid0(VALU_DEP_1) | instskip(NEXT) | instid1(VALU_DEP_2)
	v_dual_lshlrev_b32 v0, 24, v76 :: v_dual_lshlrev_b32 v53, 20, v74
	v_lshl_add_u32 v52, v52, 23, 0x3c000000
	s_delay_alu instid0(VALU_DEP_2) | instskip(NEXT) | instid1(VALU_DEP_1)
	v_and_b32_e32 v0, 0x80000000, v0
	v_or3_b32 v74, v53, v0, v52
	s_delay_alu instid0(VALU_DEP_1)
	v_mov_b64_e32 v[62:63], v[74:75]
.LBB200_2126:                           ;   in Loop: Header=BB200_1066 Depth=1
	s_or_b32 exec_lo, exec_lo, s9
.LBB200_2127:                           ;   in Loop: Header=BB200_1066 Depth=1
	s_delay_alu instid0(SALU_CYCLE_1)
	s_or_b32 exec_lo, exec_lo, s8
.LBB200_2128:                           ;   in Loop: Header=BB200_1066 Depth=1
	s_delay_alu instid0(SALU_CYCLE_1) | instskip(SKIP_2) | instid1(VALU_DEP_1)
	s_or_b32 exec_lo, exec_lo, s3
	v_lshrrev_b16 v52, 8, v76
	s_mov_b32 s3, exec_lo
	v_cmpx_ne_u16_e32 0, v52
	s_cbranch_execz .LBB200_2136
; %bb.2129:                             ;   in Loop: Header=BB200_1066 Depth=1
	v_mov_b64_e32 v[60:61], 0x8000000000000000
	s_mov_b32 s8, exec_lo
	v_cmpx_ne_u16_e32 0x80, v52
	s_cbranch_execz .LBB200_2135
; %bb.2130:                             ;   in Loop: Header=BB200_1066 Depth=1
	v_and_b32_e32 v52, 0xffff, v52
	v_mov_b64_e32 v[60:61], 0x7f80000100000000
	s_mov_b32 s9, exec_lo
	s_delay_alu instid0(VALU_DEP_2) | instskip(NEXT) | instid1(VALU_DEP_1)
	v_and_b32_e32 v53, 0x7f, v52
	v_cmpx_ne_u32_e32 0x7f, v53
	s_cbranch_execz .LBB200_2134
; %bb.2131:                             ;   in Loop: Header=BB200_1066 Depth=1
	v_dual_lshrrev_b32 v52, 3, v53 :: v_dual_bitop2_b32 v74, 7, v52 bitop3:0x40
	s_mov_b32 s16, exec_lo
	v_cmpx_gt_u32_e32 8, v53
; %bb.2132:                             ;   in Loop: Header=BB200_1066 Depth=1
	s_delay_alu instid0(VALU_DEP_2) | instskip(NEXT) | instid1(VALU_DEP_1)
	v_clz_i32_u32_e32 v0, v74
	v_min_u32_e32 v0, 32, v0
	s_delay_alu instid0(VALU_DEP_1) | instskip(NEXT) | instid1(VALU_DEP_1)
	v_subrev_nc_u32_e32 v52, 28, v0
	v_lshlrev_b64_e32 v[60:61], v52, v[74:75]
	v_sub_nc_u32_e32 v52, 29, v0
	s_delay_alu instid0(VALU_DEP_2)
	v_and_b32_e32 v74, 7, v60
; %bb.2133:                             ;   in Loop: Header=BB200_1066 Depth=1
	s_or_b32 exec_lo, exec_lo, s16
	s_delay_alu instid0(VALU_DEP_1) | instskip(NEXT) | instid1(VALU_DEP_3)
	v_dual_lshlrev_b32 v0, 16, v76 :: v_dual_lshlrev_b32 v53, 20, v74
	v_lshl_add_u32 v52, v52, 23, 0x3c000000
	v_mov_b32_e32 v60, v75
	s_delay_alu instid0(VALU_DEP_3) | instskip(NEXT) | instid1(VALU_DEP_1)
	v_and_b32_e32 v0, 0x80000000, v0
	v_or3_b32 v61, v53, v0, v52
.LBB200_2134:                           ;   in Loop: Header=BB200_1066 Depth=1
	s_or_b32 exec_lo, exec_lo, s9
.LBB200_2135:                           ;   in Loop: Header=BB200_1066 Depth=1
	s_delay_alu instid0(SALU_CYCLE_1)
	s_or_b32 exec_lo, exec_lo, s8
.LBB200_2136:                           ;   in Loop: Header=BB200_1066 Depth=1
	s_delay_alu instid0(SALU_CYCLE_1) | instskip(SKIP_4) | instid1(VALU_DEP_3)
	s_or_b32 exec_lo, exec_lo, s3
	v_lshrrev_b32_e32 v78, 16, v76
	v_mov_b64_e32 v[72:73], 0
	v_mov_b64_e32 v[52:53], 0
	s_mov_b32 s3, exec_lo
	v_and_b32_e32 v74, 0xff, v78
	s_delay_alu instid0(VALU_DEP_1)
	v_cmpx_ne_u16_e32 0, v74
	s_cbranch_execz .LBB200_2144
; %bb.2137:                             ;   in Loop: Header=BB200_1066 Depth=1
	v_mov_b64_e32 v[52:53], 0x80000000
	s_mov_b32 s8, exec_lo
	v_cmpx_ne_u16_e32 0x80, v74
	s_cbranch_execz .LBB200_2143
; %bb.2138:                             ;   in Loop: Header=BB200_1066 Depth=1
	v_mov_b64_e32 v[52:53], 0x7f800001
	v_bfe_u32 v79, v76, 16, 7
	s_mov_b32 s9, exec_lo
	s_delay_alu instid0(VALU_DEP_1)
	v_cmpx_ne_u32_e32 0x7f, v79
	s_cbranch_execz .LBB200_2142
; %bb.2139:                             ;   in Loop: Header=BB200_1066 Depth=1
	v_dual_lshrrev_b32 v52, 3, v79 :: v_dual_bitop2_b32 v74, 7, v78 bitop3:0x40
	s_mov_b32 s16, exec_lo
	v_cmpx_gt_u32_e32 8, v79
; %bb.2140:                             ;   in Loop: Header=BB200_1066 Depth=1
	s_delay_alu instid0(VALU_DEP_2) | instskip(NEXT) | instid1(VALU_DEP_1)
	v_clz_i32_u32_e32 v0, v74
	v_min_u32_e32 v0, 32, v0
	s_delay_alu instid0(VALU_DEP_1) | instskip(NEXT) | instid1(VALU_DEP_1)
	v_subrev_nc_u32_e32 v52, 28, v0
	v_lshlrev_b64_e32 v[88:89], v52, v[74:75]
	v_sub_nc_u32_e32 v52, 29, v0
	s_delay_alu instid0(VALU_DEP_2)
	v_and_b32_e32 v74, 7, v88
; %bb.2141:                             ;   in Loop: Header=BB200_1066 Depth=1
	s_or_b32 exec_lo, exec_lo, s16
	v_lshlrev_b32_e32 v0, 24, v78
	s_delay_alu instid0(VALU_DEP_2) | instskip(SKIP_1) | instid1(VALU_DEP_3)
	v_lshlrev_b32_e32 v53, 20, v74
	v_lshl_add_u32 v52, v52, 23, 0x3c000000
	v_and_b32_e32 v0, 0x80000000, v0
	s_delay_alu instid0(VALU_DEP_1) | instskip(NEXT) | instid1(VALU_DEP_1)
	v_or3_b32 v74, v53, v0, v52
	v_mov_b64_e32 v[52:53], v[74:75]
.LBB200_2142:                           ;   in Loop: Header=BB200_1066 Depth=1
	s_or_b32 exec_lo, exec_lo, s9
.LBB200_2143:                           ;   in Loop: Header=BB200_1066 Depth=1
	s_delay_alu instid0(SALU_CYCLE_1)
	s_or_b32 exec_lo, exec_lo, s8
.LBB200_2144:                           ;   in Loop: Header=BB200_1066 Depth=1
	s_delay_alu instid0(SALU_CYCLE_1) | instskip(NEXT) | instid1(SALU_CYCLE_1)
	s_or_b32 exec_lo, exec_lo, s3
	s_mov_b32 s3, exec_lo
	v_cmpx_lt_u32_e32 0xffffff, v76
	s_cbranch_execz .LBB200_2152
; %bb.2145:                             ;   in Loop: Header=BB200_1066 Depth=1
	v_mov_b64_e32 v[72:73], 0x8000000000000000
	v_lshrrev_b32_e32 v78, 24, v76
	s_mov_b32 s8, exec_lo
	s_delay_alu instid0(VALU_DEP_1)
	v_cmpx_ne_u32_e32 0x80, v78
	s_cbranch_execz .LBB200_2151
; %bb.2146:                             ;   in Loop: Header=BB200_1066 Depth=1
	v_mov_b64_e32 v[72:73], 0x7f80000100000000
	v_bfe_u32 v76, v76, 24, 7
	s_mov_b32 s9, exec_lo
	s_delay_alu instid0(VALU_DEP_1)
	v_cmpx_ne_u32_e32 0x7f, v76
	s_cbranch_execz .LBB200_2150
; %bb.2147:                             ;   in Loop: Header=BB200_1066 Depth=1
	v_dual_lshrrev_b32 v72, 3, v76 :: v_dual_bitop2_b32 v74, 7, v78 bitop3:0x40
	s_mov_b32 s16, exec_lo
	v_cmpx_gt_u32_e32 8, v76
; %bb.2148:                             ;   in Loop: Header=BB200_1066 Depth=1
	s_delay_alu instid0(VALU_DEP_2) | instskip(NEXT) | instid1(VALU_DEP_1)
	v_clz_i32_u32_e32 v0, v74
	v_min_u32_e32 v0, 32, v0
	s_delay_alu instid0(VALU_DEP_1) | instskip(NEXT) | instid1(VALU_DEP_1)
	v_subrev_nc_u32_e32 v72, 28, v0
	v_lshlrev_b64_e32 v[88:89], v72, v[74:75]
	v_sub_nc_u32_e32 v72, 29, v0
	s_delay_alu instid0(VALU_DEP_2)
	v_and_b32_e32 v74, 7, v88
; %bb.2149:                             ;   in Loop: Header=BB200_1066 Depth=1
	s_or_b32 exec_lo, exec_lo, s16
	v_lshlrev_b32_e32 v0, 24, v78
	s_delay_alu instid0(VALU_DEP_2) | instskip(SKIP_1) | instid1(VALU_DEP_3)
	v_lshlrev_b32_e32 v73, 20, v74
	v_lshl_add_u32 v72, v72, 23, 0x3c000000
	v_and_b32_e32 v0, 0x80000000, v0
	s_delay_alu instid0(VALU_DEP_1)
	v_or3_b32 v73, v73, v0, v72
	v_mov_b32_e32 v72, v75
.LBB200_2150:                           ;   in Loop: Header=BB200_1066 Depth=1
	s_or_b32 exec_lo, exec_lo, s9
.LBB200_2151:                           ;   in Loop: Header=BB200_1066 Depth=1
	s_delay_alu instid0(SALU_CYCLE_1)
	s_or_b32 exec_lo, exec_lo, s8
.LBB200_2152:                           ;   in Loop: Header=BB200_1066 Depth=1
	s_delay_alu instid0(SALU_CYCLE_1) | instskip(SKIP_4) | instid1(VALU_DEP_3)
	s_or_b32 exec_lo, exec_lo, s3
	v_or_b32_e32 v61, v61, v63
	v_or_b32_e32 v60, v60, v62
	;; [unrolled: 1-line block ×4, first 2 shown]
	v_pk_mul_f32 v[62:63], v[38:39], v[60:61]
	s_delay_alu instid0(VALU_DEP_2)
	v_pk_mul_f32 v[60:61], v[38:39], v[52:53]
	s_and_saveexec_b32 s3, vcc_lo
	s_cbranch_execz .LBB200_1065
; %bb.2153:                             ;   in Loop: Header=BB200_1066 Depth=1
	scratch_load_b64 v[52:53], off, s32 offset:192 ; 8-byte Folded Reload
	s_wait_loadcnt 0x0
	v_dual_mov_b32 v72, v52 :: v_dual_bitop2_b32 v0, 3, v1 bitop3:0x54
	scratch_load_b64 v[52:53], off, s32 offset:452 ; 8-byte Folded Reload
	s_wait_loadcnt 0x0
	v_or_b32_e32 v52, 2, v1
	v_cmp_lt_i32_e64 s0, v77, v53
	s_delay_alu instid0(VALU_DEP_1) | instskip(SKIP_4) | instid1(VALU_DEP_3)
	v_cndmask_b32_e64 v63, 0, v63, s0
	v_cmp_lt_i32_e32 vcc_lo, v1, v72
	v_cmp_lt_i32_e64 s0, v0, v53
	v_cndmask_b32_e32 v62, 0, v62, vcc_lo
	v_cmp_lt_i32_e32 vcc_lo, v52, v72
	v_dual_cndmask_b32 v61, 0, v61, s0 :: v_dual_cndmask_b32 v60, 0, v60, vcc_lo
	s_branch .LBB200_1065
.LBB200_2154:
	s_or_b32 exec_lo, exec_lo, s2
	s_clause 0x3
	scratch_load_b32 v39, off, s32 offset:460
	scratch_load_b32 v100, off, s32 offset:468
	;; [unrolled: 1-line block ×4, first 2 shown]
	v_mov_b64_e32 v[2:3], s[10:11]
.LBB200_2155:
	s_wait_xcnt 0x0
	s_or_b32 exec_lo, exec_lo, s1
	s_wait_loadcnt 0x2
	ds_bpermute_b32 v50, v100, v28
	ds_bpermute_b32 v51, v100, v29
	v_lshl_add_u64 v[0:1], v[2:3], 2, s[6:7]
	s_wait_storecnt 0x0
	s_wait_loadcnt_dscnt 0x0
	s_barrier_signal -1
	s_barrier_wait -1
	global_load_b32 v38, v[0:1], off
	s_wait_xcnt 0x0
	ds_bpermute_b32 v0, v100, v36
	ds_bpermute_b32 v1, v100, v37
	;; [unrolled: 1-line block ×13, first 2 shown]
	v_pk_add_f32 v[50:51], v[28:29], v[50:51]
	ds_bpermute_b32 v28, v100, v22
	ds_bpermute_b32 v29, v100, v23
	;; [unrolled: 1-line block ×3, first 2 shown]
	s_mov_b32 s0, exec_lo
	ds_bpermute_b32 v66, v46, v50
	ds_bpermute_b32 v67, v46, v51
	s_wait_dscnt 0x10
	v_pk_add_f32 v[0:1], v[36:37], v[0:1]
	ds_bpermute_b32 v36, v100, v26
	s_wait_dscnt 0xf
	v_pk_add_f32 v[2:3], v[34:35], v[2:3]
	;; [unrolled: 3-line block ×3, first 2 shown]
	ds_bpermute_b32 v34, v46, v0
	ds_bpermute_b32 v35, v46, v1
	;; [unrolled: 1-line block ×4, first 2 shown]
	s_wait_dscnt 0x10
	v_pk_add_f32 v[52:53], v[24:25], v[52:53]
	ds_bpermute_b32 v24, v100, v16
	ds_bpermute_b32 v25, v100, v17
	s_wait_dscnt 0x10
	v_pk_add_f32 v[4:5], v[32:33], v[4:5]
	s_wait_dscnt 0xe
	v_pk_add_f32 v[70:71], v[14:15], v[70:71]
	;; [unrolled: 2-line block ×3, first 2 shown]
	ds_bpermute_b32 v28, v100, v10
	ds_bpermute_b32 v29, v100, v11
	;; [unrolled: 1-line block ×6, first 2 shown]
	s_wait_dscnt 0x10
	v_pk_add_f32 v[84:85], v[8:9], v[84:85]
	ds_bpermute_b32 v54, v46, v2
	s_wait_dscnt 0xd
	v_pk_add_f32 v[36:37], v[26:27], v[36:37]
	ds_bpermute_b32 v26, v100, v20
	ds_bpermute_b32 v27, v100, v21
	;; [unrolled: 1-line block ×4, first 2 shown]
	s_wait_dscnt 0xd
	v_pk_add_f32 v[98:99], v[18:19], v[30:31]
	ds_bpermute_b32 v18, v100, v6
	ds_bpermute_b32 v19, v100, v7
	s_wait_dscnt 0xd
	v_pk_add_f32 v[102:103], v[16:17], v[24:25]
	ds_bpermute_b32 v65, v46, v49
	ds_bpermute_b32 v68, v46, v36
	;; [unrolled: 1-line block ×4, first 2 shown]
	s_wait_dscnt 0xf
	v_pk_add_f32 v[40:41], v[10:11], v[28:29]
	v_pk_add_f32 v[28:29], v[0:1], v[34:35]
	scratch_load_b64 v[0:1], off, s32 offset:1364 ; 8-byte Folded Reload
	s_wait_dscnt 0xd
	v_pk_add_f32 v[116:117], v[12:13], v[22:23]
	ds_bpermute_b32 v81, v46, v53
	ds_bpermute_b32 v86, v46, v82
	;; [unrolled: 1-line block ×5, first 2 shown]
	s_wait_dscnt 0xd
	v_pk_add_f32 v[96:97], v[20:21], v[26:27]
	ds_bpermute_b32 v114, v46, v102
	ds_bpermute_b32 v115, v46, v103
	;; [unrolled: 1-line block ×12, first 2 shown]
	s_wait_dscnt 0x15
	v_pk_add_f32 v[30:31], v[6:7], v[18:19]
	v_pk_add_f32 v[20:21], v[4:5], v[32:33]
	;; [unrolled: 1-line block ×3, first 2 shown]
	s_wait_dscnt 0x14
	v_pk_add_f32 v[26:27], v[48:49], v[64:65]
	v_pk_add_f32 v[22:23], v[50:51], v[66:67]
	ds_bpermute_b32 v32, v46, v30
	ds_bpermute_b32 v33, v46, v31
	s_wait_dscnt 0x14
	v_pk_add_f32 v[18:19], v[36:37], v[68:69]
	s_wait_dscnt 0x12
	v_pk_add_f32 v[16:17], v[52:53], v[80:81]
	;; [unrolled: 2-line block ×7, first 2 shown]
	v_and_b32_e32 v34, 28, v39
	s_wait_dscnt 0x6
	v_pk_add_f32 v[8:9], v[116:117], v[8:9]
	s_wait_dscnt 0x4
	v_pk_add_f32 v[4:5], v[40:41], v[42:43]
	s_wait_loadcnt 0x0
	v_and_b32_e32 v35, 0x3c3, v0
	s_wait_dscnt 0x2
	v_pk_add_f32 v[0:1], v[84:85], v[44:45]
	s_delay_alu instid0(VALU_DEP_2) | instskip(SKIP_1) | instid1(SALU_CYCLE_1)
	v_cmpx_ne_u32_e32 64, v35
	s_xor_b32 s0, exec_lo, s0
	s_or_saveexec_b32 s0, s0
	s_wait_dscnt 0x0
	v_pk_add_f32 v[30:31], v[30:31], v[32:33]
	v_dual_lshrrev_b32 v32, 2, v39 :: v_dual_add_nc_u32 v33, v38, v34
	scratch_load_b32 v34, off, s32 offset:1376 th:TH_LOAD_LU ; 4-byte Folded Reload
	s_wait_loadcnt 0x0
	v_lshlrev_b32_e32 v34, 10, v34
	s_xor_b32 exec_lo, exec_lo, s0
	s_cbranch_execz .LBB200_2157
; %bb.2156:
	s_delay_alu instid0(VALU_DEP_1) | instskip(NEXT) | instid1(VALU_DEP_1)
	v_add_nc_u32_e32 v35, v33, v34
	v_add_nc_u32_e32 v36, 0xfffff800, v35
	;; [unrolled: 1-line block ×9, first 2 shown]
	ds_store_b32 v36, v28
	ds_store_b32 v37, v29
	ds_store_b32 v39, v24
	ds_store_b32 v48, v25
	ds_store_b32 v49, v20
	ds_store_b32 v50, v21
	ds_store_b32 v51, v26
	ds_store_b32 v52, v27
	v_add_nc_u32_e32 v36, 0xfffff900, v35
	v_add_nc_u32_e32 v37, 0xfffff920, v35
	v_add_nc_u32_e32 v39, 0xfffff940, v35
	v_add_nc_u32_e32 v48, 0xfffff960, v35
	v_add_nc_u32_e32 v49, 0xfffff980, v35
	v_add_nc_u32_e32 v50, 0xfffff9a0, v35
	v_add_nc_u32_e32 v51, 0xfffff9c0, v35
	v_add_nc_u32_e32 v52, 0xfffff9e0, v35
	ds_store_b32 v36, v22
	ds_store_b32 v37, v23
	ds_store_b32 v39, v18
	ds_store_b32 v48, v19
	ds_store_b32 v49, v16
	ds_store_b32 v50, v17
	ds_store_b32 v51, v14
	ds_store_b32 v52, v15
	v_add_nc_u32_e32 v36, 0xfffffa00, v35
	v_add_nc_u32_e32 v37, 0xfffffa20, v35
	v_add_nc_u32_e32 v39, 0xfffffa40, v35
	v_add_nc_u32_e32 v48, 0xfffffa60, v35
	v_add_nc_u32_e32 v49, 0xfffffa80, v35
	v_add_nc_u32_e32 v50, 0xfffffaa0, v35
	v_add_nc_u32_e32 v51, 0xfffffac0, v35
	v_add_nc_u32_e32 v52, 0xfffffae0, v35
	;; [unrolled: 16-line block ×3, first 2 shown]
	ds_store_b32 v36, v8
	ds_store_b32 v37, v9
	;; [unrolled: 1-line block ×8, first 2 shown]
.LBB200_2157:
	s_or_b32 exec_lo, exec_lo, s0
	v_lshlrev_b32_e32 v32, 2, v32
	s_mov_b32 s1, exec_lo
	v_cmp_eq_u32_e32 vcc_lo, 0, v47
	s_delay_alu instid0(VALU_DEP_2)
	v_add3_u32 v32, v38, v34, v32
	scratch_load_b64 v[34:35], off, s32 offset:1364 ; 8-byte Folded Reload
	s_wait_loadcnt_dscnt 0x0
	s_barrier_signal -1
	s_barrier_wait -1
	v_cmpx_gt_u32_e32 64, v34
	s_cbranch_execz .LBB200_2192
; %bb.2158:
	s_and_saveexec_b32 s0, vcc_lo
	s_cbranch_execnz .LBB200_2232
; %bb.2159:
	s_or_b32 exec_lo, exec_lo, s0
	s_and_saveexec_b32 s0, vcc_lo
	s_cbranch_execnz .LBB200_2233
.LBB200_2160:
	s_or_b32 exec_lo, exec_lo, s0
	s_and_saveexec_b32 s0, vcc_lo
	s_cbranch_execnz .LBB200_2234
.LBB200_2161:
	s_or_b32 exec_lo, exec_lo, s0
	s_and_saveexec_b32 s0, vcc_lo
	s_cbranch_execnz .LBB200_2235
.LBB200_2162:
	s_or_b32 exec_lo, exec_lo, s0
	s_and_saveexec_b32 s0, vcc_lo
	s_cbranch_execnz .LBB200_2236
.LBB200_2163:
	s_or_b32 exec_lo, exec_lo, s0
	s_and_saveexec_b32 s0, vcc_lo
	s_cbranch_execnz .LBB200_2237
.LBB200_2164:
	s_or_b32 exec_lo, exec_lo, s0
	s_and_saveexec_b32 s0, vcc_lo
	s_cbranch_execnz .LBB200_2238
.LBB200_2165:
	s_or_b32 exec_lo, exec_lo, s0
	s_and_saveexec_b32 s0, vcc_lo
	s_cbranch_execnz .LBB200_2239
.LBB200_2166:
	s_or_b32 exec_lo, exec_lo, s0
	s_and_saveexec_b32 s0, vcc_lo
	s_cbranch_execnz .LBB200_2240
.LBB200_2167:
	s_or_b32 exec_lo, exec_lo, s0
	s_and_saveexec_b32 s0, vcc_lo
	s_cbranch_execnz .LBB200_2241
.LBB200_2168:
	s_or_b32 exec_lo, exec_lo, s0
	s_and_saveexec_b32 s0, vcc_lo
	s_cbranch_execnz .LBB200_2242
.LBB200_2169:
	s_or_b32 exec_lo, exec_lo, s0
	s_and_saveexec_b32 s0, vcc_lo
	s_cbranch_execnz .LBB200_2243
.LBB200_2170:
	s_or_b32 exec_lo, exec_lo, s0
	s_and_saveexec_b32 s0, vcc_lo
	s_cbranch_execnz .LBB200_2244
.LBB200_2171:
	s_or_b32 exec_lo, exec_lo, s0
	s_and_saveexec_b32 s0, vcc_lo
	s_cbranch_execnz .LBB200_2245
.LBB200_2172:
	s_or_b32 exec_lo, exec_lo, s0
	s_and_saveexec_b32 s0, vcc_lo
	s_cbranch_execnz .LBB200_2246
.LBB200_2173:
	s_or_b32 exec_lo, exec_lo, s0
	s_and_saveexec_b32 s0, vcc_lo
	s_cbranch_execnz .LBB200_2247
.LBB200_2174:
	s_or_b32 exec_lo, exec_lo, s0
	s_and_saveexec_b32 s0, vcc_lo
	s_cbranch_execnz .LBB200_2248
.LBB200_2175:
	s_or_b32 exec_lo, exec_lo, s0
	s_and_saveexec_b32 s0, vcc_lo
	s_cbranch_execnz .LBB200_2249
.LBB200_2176:
	s_or_b32 exec_lo, exec_lo, s0
	s_and_saveexec_b32 s0, vcc_lo
	s_cbranch_execnz .LBB200_2250
.LBB200_2177:
	s_or_b32 exec_lo, exec_lo, s0
	s_and_saveexec_b32 s0, vcc_lo
	s_cbranch_execnz .LBB200_2251
.LBB200_2178:
	s_or_b32 exec_lo, exec_lo, s0
	s_and_saveexec_b32 s0, vcc_lo
	s_cbranch_execnz .LBB200_2252
.LBB200_2179:
	s_or_b32 exec_lo, exec_lo, s0
	s_and_saveexec_b32 s0, vcc_lo
	s_cbranch_execnz .LBB200_2253
.LBB200_2180:
	s_or_b32 exec_lo, exec_lo, s0
	s_and_saveexec_b32 s0, vcc_lo
	s_cbranch_execnz .LBB200_2254
.LBB200_2181:
	s_or_b32 exec_lo, exec_lo, s0
	s_and_saveexec_b32 s0, vcc_lo
	s_cbranch_execnz .LBB200_2255
.LBB200_2182:
	s_or_b32 exec_lo, exec_lo, s0
	s_and_saveexec_b32 s0, vcc_lo
	s_cbranch_execnz .LBB200_2256
.LBB200_2183:
	s_or_b32 exec_lo, exec_lo, s0
	s_and_saveexec_b32 s0, vcc_lo
	s_cbranch_execnz .LBB200_2257
.LBB200_2184:
	s_or_b32 exec_lo, exec_lo, s0
	s_and_saveexec_b32 s0, vcc_lo
	s_cbranch_execnz .LBB200_2258
.LBB200_2185:
	s_or_b32 exec_lo, exec_lo, s0
	s_and_saveexec_b32 s0, vcc_lo
	s_cbranch_execnz .LBB200_2259
.LBB200_2186:
	s_or_b32 exec_lo, exec_lo, s0
	s_and_saveexec_b32 s0, vcc_lo
	s_cbranch_execnz .LBB200_2260
.LBB200_2187:
	s_or_b32 exec_lo, exec_lo, s0
	s_and_saveexec_b32 s0, vcc_lo
	s_cbranch_execnz .LBB200_2261
.LBB200_2188:
	s_or_b32 exec_lo, exec_lo, s0
	s_and_saveexec_b32 s0, vcc_lo
	s_cbranch_execnz .LBB200_2262
.LBB200_2189:
	s_or_b32 exec_lo, exec_lo, s0
	s_and_saveexec_b32 s0, vcc_lo
	s_cbranch_execz .LBB200_2191
.LBB200_2190:
	ds_load_b32 v34, v32 offset:992
	s_wait_dscnt 0x0
	v_add_f32_e32 v31, v34, v31
.LBB200_2191:
	s_or_b32 exec_lo, exec_lo, s0
.LBB200_2192:
	s_delay_alu instid0(SALU_CYCLE_1)
	s_or_b32 exec_lo, exec_lo, s1
	scratch_load_b64 v[34:35], off, s32 offset:1364 ; 8-byte Folded Reload
	s_mov_b32 s1, exec_lo
	s_wait_loadcnt 0x0
	s_barrier_signal -1
	s_barrier_wait -1
	v_and_b32_e32 v34, 0x3e3, v34
	s_wait_xcnt 0x0
	s_delay_alu instid0(VALU_DEP_1)
	v_cmpx_eq_u32_e32 32, v34
	s_cbranch_execz .LBB200_2194
; %bb.2193:
	ds_store_2addr_b32 v33, v28, v29 offset1:8
	ds_store_2addr_b32 v33, v24, v25 offset0:16 offset1:24
	ds_store_2addr_b32 v33, v20, v21 offset0:32 offset1:40
	;; [unrolled: 1-line block ×15, first 2 shown]
.LBB200_2194:
	s_or_b32 exec_lo, exec_lo, s1
	scratch_load_b64 v[36:37], off, s32 offset:1364 ; 8-byte Folded Reload
	s_mov_b32 s1, exec_lo
	s_wait_loadcnt_dscnt 0x0
	s_barrier_signal -1
	s_barrier_wait -1
	v_cmpx_gt_u32_e32 32, v36
	s_cbranch_execz .LBB200_2229
; %bb.2195:
	s_and_saveexec_b32 s0, vcc_lo
	s_cbranch_execnz .LBB200_2263
; %bb.2196:
	s_or_b32 exec_lo, exec_lo, s0
	s_and_saveexec_b32 s0, vcc_lo
	s_cbranch_execnz .LBB200_2264
.LBB200_2197:
	s_or_b32 exec_lo, exec_lo, s0
	s_and_saveexec_b32 s0, vcc_lo
	s_cbranch_execnz .LBB200_2265
.LBB200_2198:
	s_or_b32 exec_lo, exec_lo, s0
	s_and_saveexec_b32 s0, vcc_lo
	s_cbranch_execnz .LBB200_2266
.LBB200_2199:
	s_or_b32 exec_lo, exec_lo, s0
	s_and_saveexec_b32 s0, vcc_lo
	s_cbranch_execnz .LBB200_2267
.LBB200_2200:
	s_or_b32 exec_lo, exec_lo, s0
	s_and_saveexec_b32 s0, vcc_lo
	s_cbranch_execnz .LBB200_2268
.LBB200_2201:
	s_or_b32 exec_lo, exec_lo, s0
	s_and_saveexec_b32 s0, vcc_lo
	s_cbranch_execnz .LBB200_2269
.LBB200_2202:
	s_or_b32 exec_lo, exec_lo, s0
	s_and_saveexec_b32 s0, vcc_lo
	s_cbranch_execnz .LBB200_2270
.LBB200_2203:
	s_or_b32 exec_lo, exec_lo, s0
	s_and_saveexec_b32 s0, vcc_lo
	s_cbranch_execnz .LBB200_2271
.LBB200_2204:
	s_or_b32 exec_lo, exec_lo, s0
	s_and_saveexec_b32 s0, vcc_lo
	s_cbranch_execnz .LBB200_2272
.LBB200_2205:
	s_or_b32 exec_lo, exec_lo, s0
	s_and_saveexec_b32 s0, vcc_lo
	s_cbranch_execnz .LBB200_2273
.LBB200_2206:
	s_or_b32 exec_lo, exec_lo, s0
	s_and_saveexec_b32 s0, vcc_lo
	s_cbranch_execnz .LBB200_2274
.LBB200_2207:
	s_or_b32 exec_lo, exec_lo, s0
	s_and_saveexec_b32 s0, vcc_lo
	s_cbranch_execnz .LBB200_2275
.LBB200_2208:
	s_or_b32 exec_lo, exec_lo, s0
	s_and_saveexec_b32 s0, vcc_lo
	s_cbranch_execnz .LBB200_2276
.LBB200_2209:
	s_or_b32 exec_lo, exec_lo, s0
	s_and_saveexec_b32 s0, vcc_lo
	s_cbranch_execnz .LBB200_2277
.LBB200_2210:
	s_or_b32 exec_lo, exec_lo, s0
	s_and_saveexec_b32 s0, vcc_lo
	s_cbranch_execnz .LBB200_2278
.LBB200_2211:
	s_or_b32 exec_lo, exec_lo, s0
	s_and_saveexec_b32 s0, vcc_lo
	s_cbranch_execnz .LBB200_2279
.LBB200_2212:
	s_or_b32 exec_lo, exec_lo, s0
	s_and_saveexec_b32 s0, vcc_lo
	s_cbranch_execnz .LBB200_2280
.LBB200_2213:
	s_or_b32 exec_lo, exec_lo, s0
	s_and_saveexec_b32 s0, vcc_lo
	s_cbranch_execnz .LBB200_2281
.LBB200_2214:
	s_or_b32 exec_lo, exec_lo, s0
	s_and_saveexec_b32 s0, vcc_lo
	s_cbranch_execnz .LBB200_2282
.LBB200_2215:
	s_or_b32 exec_lo, exec_lo, s0
	s_and_saveexec_b32 s0, vcc_lo
	s_cbranch_execnz .LBB200_2283
.LBB200_2216:
	s_or_b32 exec_lo, exec_lo, s0
	s_and_saveexec_b32 s0, vcc_lo
	s_cbranch_execnz .LBB200_2284
.LBB200_2217:
	s_or_b32 exec_lo, exec_lo, s0
	s_and_saveexec_b32 s0, vcc_lo
	s_cbranch_execnz .LBB200_2285
.LBB200_2218:
	s_or_b32 exec_lo, exec_lo, s0
	s_and_saveexec_b32 s0, vcc_lo
	s_cbranch_execnz .LBB200_2286
.LBB200_2219:
	s_or_b32 exec_lo, exec_lo, s0
	s_and_saveexec_b32 s0, vcc_lo
	s_cbranch_execnz .LBB200_2287
.LBB200_2220:
	s_or_b32 exec_lo, exec_lo, s0
	s_and_saveexec_b32 s0, vcc_lo
	s_cbranch_execnz .LBB200_2288
.LBB200_2221:
	s_or_b32 exec_lo, exec_lo, s0
	s_and_saveexec_b32 s0, vcc_lo
	s_cbranch_execnz .LBB200_2289
.LBB200_2222:
	s_or_b32 exec_lo, exec_lo, s0
	s_and_saveexec_b32 s0, vcc_lo
	s_cbranch_execnz .LBB200_2290
.LBB200_2223:
	s_or_b32 exec_lo, exec_lo, s0
	s_and_saveexec_b32 s0, vcc_lo
	s_cbranch_execnz .LBB200_2291
.LBB200_2224:
	s_or_b32 exec_lo, exec_lo, s0
	s_and_saveexec_b32 s0, vcc_lo
	s_cbranch_execnz .LBB200_2292
.LBB200_2225:
	s_or_b32 exec_lo, exec_lo, s0
	s_and_saveexec_b32 s0, vcc_lo
	s_cbranch_execnz .LBB200_2293
.LBB200_2226:
	s_or_b32 exec_lo, exec_lo, s0
	s_and_saveexec_b32 s0, vcc_lo
	s_cbranch_execz .LBB200_2228
.LBB200_2227:
	ds_load_b32 v32, v32 offset:992
	s_wait_dscnt 0x0
	v_add_f32_e32 v31, v32, v31
.LBB200_2228:
	s_or_b32 exec_lo, exec_lo, s0
.LBB200_2229:
	s_delay_alu instid0(SALU_CYCLE_1)
	s_or_b32 exec_lo, exec_lo, s1
	s_mov_b32 s1, 0
	s_mov_b32 s2, exec_lo
	s_barrier_signal -1
	s_barrier_wait -1
	v_cmpx_eq_u32_e32 0, v34
	s_cbranch_execz .LBB200_2231
; %bb.2230:
	s_clause 0x1
	scratch_load_b64 v[32:33], off, s32 offset:1412 th:TH_LOAD_LU
	scratch_load_b64 v[34:35], off, s32 offset:1364 th:TH_LOAD_LU
	s_and_b32 s0, 0xffff, s15
	s_wait_loadcnt 0x0
	v_mov_b32_e32 v35, 0
	s_cmp_lg_u32 s0, 0
	s_cselect_b32 s0, -1, 0
	s_delay_alu instid0(SALU_CYCLE_1)
	s_cmp_lg_u32 s0, 0
	s_wait_kmcnt 0x0
	s_add_co_ci_u32 s0, s5, 0
	s_bfe_u32 s8, ttmp6, 0x40014
	s_mul_i32 s5, s13, s0
	s_lshr_b32 s3, ttmp7, 16
	s_mul_i32 s5, s5, s14
	s_add_co_i32 s8, s8, 1
	s_lshl_b32 s6, s5, 8
	s_bfe_u32 s9, ttmp6, 0x40008
	s_ashr_i32 s7, s6, 31
	s_mul_i32 s4, s4, s0
	s_mul_i32 s0, s3, s8
	s_ashr_i32 s5, s4, 31
	s_add_co_i32 s9, s9, s0
	s_cmp_eq_u32 s12, 0
	s_cselect_b32 s0, s3, s9
	s_delay_alu instid0(SALU_CYCLE_1) | instskip(SKIP_1) | instid1(VALU_DEP_1)
	s_lshl_b32 s0, s0, 10
	v_lshl_add_u64 v[32:33], s[6:7], 2, v[32:33]
	v_lshl_add_u64 v[32:33], s[4:5], 2, v[32:33]
	s_delay_alu instid0(VALU_DEP_1) | instskip(NEXT) | instid1(VALU_DEP_1)
	v_add_nc_u64_e32 v[32:33], s[0:1], v[32:33]
	v_add_nc_u64_e32 v[32:33], v[32:33], v[34:35]
	s_clause 0x1f
	flat_store_b32 v[32:33], v28
	flat_store_b32 v[32:33], v29 offset:32
	flat_store_b32 v[32:33], v24 offset:64
	;; [unrolled: 1-line block ×31, first 2 shown]
.LBB200_2231:
	s_wait_xcnt 0x0
	s_or_b32 exec_lo, exec_lo, s2
	s_clause 0x2f
	scratch_load_b32 v127, off, s32
	scratch_load_b32 v126, off, s32 offset:4
	scratch_load_b32 v125, off, s32 offset:8
	scratch_load_b32 v124, off, s32 offset:12
	scratch_load_b32 v123, off, s32 offset:16
	scratch_load_b32 v122, off, s32 offset:20
	scratch_load_b32 v121, off, s32 offset:24
	scratch_load_b32 v120, off, s32 offset:28
	scratch_load_b32 v111, off, s32 offset:32
	scratch_load_b32 v110, off, s32 offset:36
	scratch_load_b32 v109, off, s32 offset:40
	scratch_load_b32 v108, off, s32 offset:44
	scratch_load_b32 v107, off, s32 offset:48
	scratch_load_b32 v106, off, s32 offset:52
	scratch_load_b32 v105, off, s32 offset:56
	scratch_load_b32 v104, off, s32 offset:60
	scratch_load_b32 v95, off, s32 offset:64
	scratch_load_b32 v94, off, s32 offset:68
	scratch_load_b32 v93, off, s32 offset:72
	scratch_load_b32 v92, off, s32 offset:76
	scratch_load_b32 v91, off, s32 offset:80
	scratch_load_b32 v90, off, s32 offset:84
	scratch_load_b32 v89, off, s32 offset:88
	scratch_load_b32 v88, off, s32 offset:92
	scratch_load_b32 v79, off, s32 offset:96
	scratch_load_b32 v78, off, s32 offset:100
	scratch_load_b32 v77, off, s32 offset:104
	scratch_load_b32 v76, off, s32 offset:108
	scratch_load_b32 v75, off, s32 offset:112
	scratch_load_b32 v74, off, s32 offset:116
	scratch_load_b32 v73, off, s32 offset:120
	scratch_load_b32 v72, off, s32 offset:124
	scratch_load_b32 v63, off, s32 offset:128
	scratch_load_b32 v62, off, s32 offset:132
	scratch_load_b32 v61, off, s32 offset:136
	scratch_load_b32 v60, off, s32 offset:140
	scratch_load_b32 v59, off, s32 offset:144
	scratch_load_b32 v58, off, s32 offset:148
	scratch_load_b32 v57, off, s32 offset:152
	scratch_load_b32 v56, off, s32 offset:156
	scratch_load_b32 v47, off, s32 offset:160
	scratch_load_b32 v46, off, s32 offset:164
	scratch_load_b32 v45, off, s32 offset:168
	scratch_load_b32 v44, off, s32 offset:172
	scratch_load_b32 v43, off, s32 offset:176
	scratch_load_b32 v42, off, s32 offset:180
	scratch_load_b32 v41, off, s32 offset:184
	scratch_load_b32 v40, off, s32 offset:188
	s_wait_loadcnt_dscnt 0x0
	s_wait_kmcnt 0x0
	s_set_pc_i64 s[30:31]
.LBB200_2232:
	ds_load_b32 v34, v32
	s_wait_dscnt 0x0
	v_add_f32_e32 v28, v34, v28
	s_or_b32 exec_lo, exec_lo, s0
	s_and_saveexec_b32 s0, vcc_lo
	s_cbranch_execz .LBB200_2160
.LBB200_2233:
	ds_load_b32 v34, v32 offset:32
	s_wait_dscnt 0x0
	v_add_f32_e32 v29, v34, v29
	s_or_b32 exec_lo, exec_lo, s0
	s_and_saveexec_b32 s0, vcc_lo
	s_cbranch_execz .LBB200_2161
.LBB200_2234:
	ds_load_b32 v34, v32 offset:64
	s_wait_dscnt 0x0
	v_add_f32_e32 v24, v34, v24
	s_or_b32 exec_lo, exec_lo, s0
	s_and_saveexec_b32 s0, vcc_lo
	s_cbranch_execz .LBB200_2162
.LBB200_2235:
	ds_load_b32 v34, v32 offset:96
	s_wait_dscnt 0x0
	v_add_f32_e32 v25, v34, v25
	s_or_b32 exec_lo, exec_lo, s0
	s_and_saveexec_b32 s0, vcc_lo
	s_cbranch_execz .LBB200_2163
.LBB200_2236:
	ds_load_b32 v34, v32 offset:128
	s_wait_dscnt 0x0
	v_add_f32_e32 v20, v34, v20
	s_or_b32 exec_lo, exec_lo, s0
	s_and_saveexec_b32 s0, vcc_lo
	s_cbranch_execz .LBB200_2164
.LBB200_2237:
	ds_load_b32 v34, v32 offset:160
	s_wait_dscnt 0x0
	v_add_f32_e32 v21, v34, v21
	s_or_b32 exec_lo, exec_lo, s0
	s_and_saveexec_b32 s0, vcc_lo
	s_cbranch_execz .LBB200_2165
.LBB200_2238:
	ds_load_b32 v34, v32 offset:192
	s_wait_dscnt 0x0
	v_add_f32_e32 v26, v34, v26
	s_or_b32 exec_lo, exec_lo, s0
	s_and_saveexec_b32 s0, vcc_lo
	s_cbranch_execz .LBB200_2166
.LBB200_2239:
	ds_load_b32 v34, v32 offset:224
	s_wait_dscnt 0x0
	v_add_f32_e32 v27, v34, v27
	s_or_b32 exec_lo, exec_lo, s0
	s_and_saveexec_b32 s0, vcc_lo
	s_cbranch_execz .LBB200_2167
.LBB200_2240:
	ds_load_b32 v34, v32 offset:256
	s_wait_dscnt 0x0
	v_add_f32_e32 v22, v34, v22
	s_or_b32 exec_lo, exec_lo, s0
	s_and_saveexec_b32 s0, vcc_lo
	s_cbranch_execz .LBB200_2168
.LBB200_2241:
	ds_load_b32 v34, v32 offset:288
	s_wait_dscnt 0x0
	v_add_f32_e32 v23, v34, v23
	s_or_b32 exec_lo, exec_lo, s0
	s_and_saveexec_b32 s0, vcc_lo
	s_cbranch_execz .LBB200_2169
.LBB200_2242:
	ds_load_b32 v34, v32 offset:320
	s_wait_dscnt 0x0
	v_add_f32_e32 v18, v34, v18
	s_or_b32 exec_lo, exec_lo, s0
	s_and_saveexec_b32 s0, vcc_lo
	s_cbranch_execz .LBB200_2170
.LBB200_2243:
	ds_load_b32 v34, v32 offset:352
	s_wait_dscnt 0x0
	v_add_f32_e32 v19, v34, v19
	s_or_b32 exec_lo, exec_lo, s0
	s_and_saveexec_b32 s0, vcc_lo
	s_cbranch_execz .LBB200_2171
.LBB200_2244:
	ds_load_b32 v34, v32 offset:384
	s_wait_dscnt 0x0
	v_add_f32_e32 v16, v34, v16
	s_or_b32 exec_lo, exec_lo, s0
	s_and_saveexec_b32 s0, vcc_lo
	s_cbranch_execz .LBB200_2172
.LBB200_2245:
	ds_load_b32 v34, v32 offset:416
	s_wait_dscnt 0x0
	v_add_f32_e32 v17, v34, v17
	s_or_b32 exec_lo, exec_lo, s0
	s_and_saveexec_b32 s0, vcc_lo
	s_cbranch_execz .LBB200_2173
.LBB200_2246:
	ds_load_b32 v34, v32 offset:448
	s_wait_dscnt 0x0
	v_add_f32_e32 v14, v34, v14
	s_or_b32 exec_lo, exec_lo, s0
	s_and_saveexec_b32 s0, vcc_lo
	s_cbranch_execz .LBB200_2174
.LBB200_2247:
	ds_load_b32 v34, v32 offset:480
	s_wait_dscnt 0x0
	v_add_f32_e32 v15, v34, v15
	s_or_b32 exec_lo, exec_lo, s0
	s_and_saveexec_b32 s0, vcc_lo
	s_cbranch_execz .LBB200_2175
.LBB200_2248:
	ds_load_b32 v34, v32 offset:512
	s_wait_dscnt 0x0
	v_add_f32_e32 v12, v34, v12
	s_or_b32 exec_lo, exec_lo, s0
	s_and_saveexec_b32 s0, vcc_lo
	s_cbranch_execz .LBB200_2176
.LBB200_2249:
	ds_load_b32 v34, v32 offset:544
	s_wait_dscnt 0x0
	v_add_f32_e32 v13, v34, v13
	s_or_b32 exec_lo, exec_lo, s0
	s_and_saveexec_b32 s0, vcc_lo
	s_cbranch_execz .LBB200_2177
.LBB200_2250:
	ds_load_b32 v34, v32 offset:576
	s_wait_dscnt 0x0
	v_add_f32_e32 v10, v34, v10
	s_or_b32 exec_lo, exec_lo, s0
	s_and_saveexec_b32 s0, vcc_lo
	s_cbranch_execz .LBB200_2178
.LBB200_2251:
	ds_load_b32 v34, v32 offset:608
	s_wait_dscnt 0x0
	v_add_f32_e32 v11, v34, v11
	s_or_b32 exec_lo, exec_lo, s0
	s_and_saveexec_b32 s0, vcc_lo
	s_cbranch_execz .LBB200_2179
.LBB200_2252:
	ds_load_b32 v34, v32 offset:640
	s_wait_dscnt 0x0
	v_add_f32_e32 v6, v34, v6
	s_or_b32 exec_lo, exec_lo, s0
	s_and_saveexec_b32 s0, vcc_lo
	s_cbranch_execz .LBB200_2180
.LBB200_2253:
	ds_load_b32 v34, v32 offset:672
	s_wait_dscnt 0x0
	v_add_f32_e32 v7, v34, v7
	s_or_b32 exec_lo, exec_lo, s0
	s_and_saveexec_b32 s0, vcc_lo
	s_cbranch_execz .LBB200_2181
.LBB200_2254:
	ds_load_b32 v34, v32 offset:704
	s_wait_dscnt 0x0
	v_add_f32_e32 v2, v34, v2
	s_or_b32 exec_lo, exec_lo, s0
	s_and_saveexec_b32 s0, vcc_lo
	s_cbranch_execz .LBB200_2182
.LBB200_2255:
	ds_load_b32 v34, v32 offset:736
	s_wait_dscnt 0x0
	v_add_f32_e32 v3, v34, v3
	s_or_b32 exec_lo, exec_lo, s0
	s_and_saveexec_b32 s0, vcc_lo
	s_cbranch_execz .LBB200_2183
.LBB200_2256:
	ds_load_b32 v34, v32 offset:768
	s_wait_dscnt 0x0
	v_add_f32_e32 v8, v34, v8
	s_or_b32 exec_lo, exec_lo, s0
	s_and_saveexec_b32 s0, vcc_lo
	s_cbranch_execz .LBB200_2184
.LBB200_2257:
	ds_load_b32 v34, v32 offset:800
	s_wait_dscnt 0x0
	v_add_f32_e32 v9, v34, v9
	s_or_b32 exec_lo, exec_lo, s0
	s_and_saveexec_b32 s0, vcc_lo
	s_cbranch_execz .LBB200_2185
.LBB200_2258:
	ds_load_b32 v34, v32 offset:832
	s_wait_dscnt 0x0
	v_add_f32_e32 v4, v34, v4
	s_or_b32 exec_lo, exec_lo, s0
	s_and_saveexec_b32 s0, vcc_lo
	s_cbranch_execz .LBB200_2186
.LBB200_2259:
	ds_load_b32 v34, v32 offset:864
	s_wait_dscnt 0x0
	v_add_f32_e32 v5, v34, v5
	s_or_b32 exec_lo, exec_lo, s0
	s_and_saveexec_b32 s0, vcc_lo
	s_cbranch_execz .LBB200_2187
.LBB200_2260:
	ds_load_b32 v34, v32 offset:896
	s_wait_dscnt 0x0
	v_add_f32_e32 v0, v34, v0
	s_or_b32 exec_lo, exec_lo, s0
	s_and_saveexec_b32 s0, vcc_lo
	s_cbranch_execz .LBB200_2188
.LBB200_2261:
	ds_load_b32 v34, v32 offset:928
	s_wait_dscnt 0x0
	v_add_f32_e32 v1, v34, v1
	s_or_b32 exec_lo, exec_lo, s0
	s_and_saveexec_b32 s0, vcc_lo
	s_cbranch_execz .LBB200_2189
.LBB200_2262:
	ds_load_b32 v34, v32 offset:960
	s_wait_dscnt 0x0
	v_add_f32_e32 v30, v34, v30
	s_or_b32 exec_lo, exec_lo, s0
	s_and_saveexec_b32 s0, vcc_lo
	s_cbranch_execnz .LBB200_2190
	s_branch .LBB200_2191
.LBB200_2263:
	ds_load_b32 v33, v32
	s_wait_dscnt 0x0
	v_add_f32_e32 v28, v33, v28
	s_or_b32 exec_lo, exec_lo, s0
	s_and_saveexec_b32 s0, vcc_lo
	s_cbranch_execz .LBB200_2197
.LBB200_2264:
	ds_load_b32 v33, v32 offset:32
	s_wait_dscnt 0x0
	v_add_f32_e32 v29, v33, v29
	s_or_b32 exec_lo, exec_lo, s0
	s_and_saveexec_b32 s0, vcc_lo
	s_cbranch_execz .LBB200_2198
.LBB200_2265:
	ds_load_b32 v33, v32 offset:64
	s_wait_dscnt 0x0
	v_add_f32_e32 v24, v33, v24
	s_or_b32 exec_lo, exec_lo, s0
	s_and_saveexec_b32 s0, vcc_lo
	s_cbranch_execz .LBB200_2199
.LBB200_2266:
	ds_load_b32 v33, v32 offset:96
	s_wait_dscnt 0x0
	v_add_f32_e32 v25, v33, v25
	s_or_b32 exec_lo, exec_lo, s0
	s_and_saveexec_b32 s0, vcc_lo
	s_cbranch_execz .LBB200_2200
.LBB200_2267:
	ds_load_b32 v33, v32 offset:128
	s_wait_dscnt 0x0
	v_add_f32_e32 v20, v33, v20
	s_or_b32 exec_lo, exec_lo, s0
	s_and_saveexec_b32 s0, vcc_lo
	s_cbranch_execz .LBB200_2201
.LBB200_2268:
	ds_load_b32 v33, v32 offset:160
	s_wait_dscnt 0x0
	v_add_f32_e32 v21, v33, v21
	s_or_b32 exec_lo, exec_lo, s0
	s_and_saveexec_b32 s0, vcc_lo
	s_cbranch_execz .LBB200_2202
.LBB200_2269:
	ds_load_b32 v33, v32 offset:192
	s_wait_dscnt 0x0
	v_add_f32_e32 v26, v33, v26
	s_or_b32 exec_lo, exec_lo, s0
	s_and_saveexec_b32 s0, vcc_lo
	s_cbranch_execz .LBB200_2203
.LBB200_2270:
	ds_load_b32 v33, v32 offset:224
	s_wait_dscnt 0x0
	v_add_f32_e32 v27, v33, v27
	s_or_b32 exec_lo, exec_lo, s0
	s_and_saveexec_b32 s0, vcc_lo
	s_cbranch_execz .LBB200_2204
.LBB200_2271:
	ds_load_b32 v33, v32 offset:256
	s_wait_dscnt 0x0
	v_add_f32_e32 v22, v33, v22
	s_or_b32 exec_lo, exec_lo, s0
	s_and_saveexec_b32 s0, vcc_lo
	s_cbranch_execz .LBB200_2205
.LBB200_2272:
	ds_load_b32 v33, v32 offset:288
	s_wait_dscnt 0x0
	v_add_f32_e32 v23, v33, v23
	s_or_b32 exec_lo, exec_lo, s0
	s_and_saveexec_b32 s0, vcc_lo
	s_cbranch_execz .LBB200_2206
.LBB200_2273:
	ds_load_b32 v33, v32 offset:320
	s_wait_dscnt 0x0
	v_add_f32_e32 v18, v33, v18
	s_or_b32 exec_lo, exec_lo, s0
	s_and_saveexec_b32 s0, vcc_lo
	s_cbranch_execz .LBB200_2207
.LBB200_2274:
	ds_load_b32 v33, v32 offset:352
	s_wait_dscnt 0x0
	v_add_f32_e32 v19, v33, v19
	s_or_b32 exec_lo, exec_lo, s0
	s_and_saveexec_b32 s0, vcc_lo
	s_cbranch_execz .LBB200_2208
.LBB200_2275:
	ds_load_b32 v33, v32 offset:384
	s_wait_dscnt 0x0
	v_add_f32_e32 v16, v33, v16
	s_or_b32 exec_lo, exec_lo, s0
	s_and_saveexec_b32 s0, vcc_lo
	s_cbranch_execz .LBB200_2209
.LBB200_2276:
	ds_load_b32 v33, v32 offset:416
	s_wait_dscnt 0x0
	v_add_f32_e32 v17, v33, v17
	s_or_b32 exec_lo, exec_lo, s0
	s_and_saveexec_b32 s0, vcc_lo
	s_cbranch_execz .LBB200_2210
.LBB200_2277:
	ds_load_b32 v33, v32 offset:448
	s_wait_dscnt 0x0
	v_add_f32_e32 v14, v33, v14
	s_or_b32 exec_lo, exec_lo, s0
	s_and_saveexec_b32 s0, vcc_lo
	s_cbranch_execz .LBB200_2211
.LBB200_2278:
	ds_load_b32 v33, v32 offset:480
	s_wait_dscnt 0x0
	v_add_f32_e32 v15, v33, v15
	s_or_b32 exec_lo, exec_lo, s0
	s_and_saveexec_b32 s0, vcc_lo
	s_cbranch_execz .LBB200_2212
.LBB200_2279:
	ds_load_b32 v33, v32 offset:512
	s_wait_dscnt 0x0
	v_add_f32_e32 v12, v33, v12
	s_or_b32 exec_lo, exec_lo, s0
	s_and_saveexec_b32 s0, vcc_lo
	s_cbranch_execz .LBB200_2213
.LBB200_2280:
	ds_load_b32 v33, v32 offset:544
	s_wait_dscnt 0x0
	v_add_f32_e32 v13, v33, v13
	s_or_b32 exec_lo, exec_lo, s0
	s_and_saveexec_b32 s0, vcc_lo
	s_cbranch_execz .LBB200_2214
.LBB200_2281:
	ds_load_b32 v33, v32 offset:576
	s_wait_dscnt 0x0
	v_add_f32_e32 v10, v33, v10
	s_or_b32 exec_lo, exec_lo, s0
	s_and_saveexec_b32 s0, vcc_lo
	s_cbranch_execz .LBB200_2215
.LBB200_2282:
	ds_load_b32 v33, v32 offset:608
	s_wait_dscnt 0x0
	v_add_f32_e32 v11, v33, v11
	s_or_b32 exec_lo, exec_lo, s0
	s_and_saveexec_b32 s0, vcc_lo
	s_cbranch_execz .LBB200_2216
.LBB200_2283:
	ds_load_b32 v33, v32 offset:640
	s_wait_dscnt 0x0
	v_add_f32_e32 v6, v33, v6
	s_or_b32 exec_lo, exec_lo, s0
	s_and_saveexec_b32 s0, vcc_lo
	s_cbranch_execz .LBB200_2217
.LBB200_2284:
	ds_load_b32 v33, v32 offset:672
	s_wait_dscnt 0x0
	v_add_f32_e32 v7, v33, v7
	s_or_b32 exec_lo, exec_lo, s0
	s_and_saveexec_b32 s0, vcc_lo
	s_cbranch_execz .LBB200_2218
.LBB200_2285:
	ds_load_b32 v33, v32 offset:704
	s_wait_dscnt 0x0
	v_add_f32_e32 v2, v33, v2
	s_or_b32 exec_lo, exec_lo, s0
	s_and_saveexec_b32 s0, vcc_lo
	s_cbranch_execz .LBB200_2219
.LBB200_2286:
	ds_load_b32 v33, v32 offset:736
	s_wait_dscnt 0x0
	v_add_f32_e32 v3, v33, v3
	s_or_b32 exec_lo, exec_lo, s0
	s_and_saveexec_b32 s0, vcc_lo
	s_cbranch_execz .LBB200_2220
.LBB200_2287:
	ds_load_b32 v33, v32 offset:768
	s_wait_dscnt 0x0
	v_add_f32_e32 v8, v33, v8
	s_or_b32 exec_lo, exec_lo, s0
	s_and_saveexec_b32 s0, vcc_lo
	s_cbranch_execz .LBB200_2221
.LBB200_2288:
	ds_load_b32 v33, v32 offset:800
	s_wait_dscnt 0x0
	v_add_f32_e32 v9, v33, v9
	s_or_b32 exec_lo, exec_lo, s0
	s_and_saveexec_b32 s0, vcc_lo
	s_cbranch_execz .LBB200_2222
.LBB200_2289:
	ds_load_b32 v33, v32 offset:832
	s_wait_dscnt 0x0
	v_add_f32_e32 v4, v33, v4
	s_or_b32 exec_lo, exec_lo, s0
	s_and_saveexec_b32 s0, vcc_lo
	s_cbranch_execz .LBB200_2223
.LBB200_2290:
	ds_load_b32 v33, v32 offset:864
	s_wait_dscnt 0x0
	v_add_f32_e32 v5, v33, v5
	s_or_b32 exec_lo, exec_lo, s0
	s_and_saveexec_b32 s0, vcc_lo
	s_cbranch_execz .LBB200_2224
.LBB200_2291:
	ds_load_b32 v33, v32 offset:896
	s_wait_dscnt 0x0
	v_add_f32_e32 v0, v33, v0
	s_or_b32 exec_lo, exec_lo, s0
	s_and_saveexec_b32 s0, vcc_lo
	s_cbranch_execz .LBB200_2225
.LBB200_2292:
	ds_load_b32 v33, v32 offset:928
	s_wait_dscnt 0x0
	v_add_f32_e32 v1, v33, v1
	s_or_b32 exec_lo, exec_lo, s0
	s_and_saveexec_b32 s0, vcc_lo
	s_cbranch_execz .LBB200_2226
.LBB200_2293:
	ds_load_b32 v33, v32 offset:960
	s_wait_dscnt 0x0
	v_add_f32_e32 v30, v33, v30
	s_or_b32 exec_lo, exec_lo, s0
	s_and_saveexec_b32 s0, vcc_lo
	s_cbranch_execnz .LBB200_2227
	s_branch .LBB200_2228
.Lfunc_end200:
	.size	_ZN4vllm22paged_attention_kernelIfhLi256ELi16ELi128ELNS_18Fp8KVCacheDataTypeE1ELb0ELi0EEEvPfS2_PT_PKS3_PKT0_S9_ifPKiSB_iPKfiiiSD_SD_iiiii, .Lfunc_end200-_ZN4vllm22paged_attention_kernelIfhLi256ELi16ELi128ELNS_18Fp8KVCacheDataTypeE1ELb0ELi0EEEvPfS2_PT_PKS3_PKT0_S9_ifPKiSB_iPKfiiiSD_SD_iiiii
                                        ; -- End function
	.set .L_ZN4vllm22paged_attention_kernelIfhLi256ELi16ELi128ELNS_18Fp8KVCacheDataTypeE1ELb0ELi0EEEvPfS2_PT_PKS3_PKT0_S9_ifPKiSB_iPKfiiiSD_SD_iiiii.num_vgpr, 128
	.set .L_ZN4vllm22paged_attention_kernelIfhLi256ELi16ELi128ELNS_18Fp8KVCacheDataTypeE1ELb0ELi0EEEvPfS2_PT_PKS3_PKT0_S9_ifPKiSB_iPKfiiiSD_SD_iiiii.num_agpr, 0
	.set .L_ZN4vllm22paged_attention_kernelIfhLi256ELi16ELi128ELNS_18Fp8KVCacheDataTypeE1ELb0ELi0EEEvPfS2_PT_PKS3_PKT0_S9_ifPKiSB_iPKfiiiSD_SD_iiiii.numbered_sgpr, 33
	.set .L_ZN4vllm22paged_attention_kernelIfhLi256ELi16ELi128ELNS_18Fp8KVCacheDataTypeE1ELb0ELi0EEEvPfS2_PT_PKS3_PKT0_S9_ifPKiSB_iPKfiiiSD_SD_iiiii.num_named_barrier, 0
	.set .L_ZN4vllm22paged_attention_kernelIfhLi256ELi16ELi128ELNS_18Fp8KVCacheDataTypeE1ELb0ELi0EEEvPfS2_PT_PKS3_PKT0_S9_ifPKiSB_iPKfiiiSD_SD_iiiii.private_seg_size, 1444
	.set .L_ZN4vllm22paged_attention_kernelIfhLi256ELi16ELi128ELNS_18Fp8KVCacheDataTypeE1ELb0ELi0EEEvPfS2_PT_PKS3_PKT0_S9_ifPKiSB_iPKfiiiSD_SD_iiiii.uses_vcc, 1
	.set .L_ZN4vllm22paged_attention_kernelIfhLi256ELi16ELi128ELNS_18Fp8KVCacheDataTypeE1ELb0ELi0EEEvPfS2_PT_PKS3_PKT0_S9_ifPKiSB_iPKfiiiSD_SD_iiiii.uses_flat_scratch, 1
	.set .L_ZN4vllm22paged_attention_kernelIfhLi256ELi16ELi128ELNS_18Fp8KVCacheDataTypeE1ELb0ELi0EEEvPfS2_PT_PKS3_PKT0_S9_ifPKiSB_iPKfiiiSD_SD_iiiii.has_dyn_sized_stack, 0
	.set .L_ZN4vllm22paged_attention_kernelIfhLi256ELi16ELi128ELNS_18Fp8KVCacheDataTypeE1ELb0ELi0EEEvPfS2_PT_PKS3_PKT0_S9_ifPKiSB_iPKfiiiSD_SD_iiiii.has_recursion, 0
	.set .L_ZN4vllm22paged_attention_kernelIfhLi256ELi16ELi128ELNS_18Fp8KVCacheDataTypeE1ELb0ELi0EEEvPfS2_PT_PKS3_PKT0_S9_ifPKiSB_iPKfiiiSD_SD_iiiii.has_indirect_call, 0
	.section	.AMDGPU.csdata,"",@progbits
; Function info:
; codeLenInByte = 87984
; TotalNumSgprs: 35
; NumVgprs: 128
; ScratchSize: 1444
; MemoryBound: 0
	.section	.text._ZN4vllm25paged_attention_v1_kernelIfhLi256ELi16ELi128ELNS_18Fp8KVCacheDataTypeE1ELb0EEEvPT_PKS2_PKT0_S8_ifPKiSA_iPKfiiiSC_SC_iiiii,"axG",@progbits,_ZN4vllm25paged_attention_v1_kernelIfhLi256ELi16ELi128ELNS_18Fp8KVCacheDataTypeE1ELb0EEEvPT_PKS2_PKT0_S8_ifPKiSA_iPKfiiiSC_SC_iiiii,comdat
	.protected	_ZN4vllm25paged_attention_v1_kernelIfhLi256ELi16ELi128ELNS_18Fp8KVCacheDataTypeE1ELb0EEEvPT_PKS2_PKT0_S8_ifPKiSA_iPKfiiiSC_SC_iiiii ; -- Begin function _ZN4vllm25paged_attention_v1_kernelIfhLi256ELi16ELi128ELNS_18Fp8KVCacheDataTypeE1ELb0EEEvPT_PKS2_PKT0_S8_ifPKiSA_iPKfiiiSC_SC_iiiii
	.globl	_ZN4vllm25paged_attention_v1_kernelIfhLi256ELi16ELi128ELNS_18Fp8KVCacheDataTypeE1ELb0EEEvPT_PKS2_PKT0_S8_ifPKiSA_iPKfiiiSC_SC_iiiii
	.p2align	8
	.type	_ZN4vllm25paged_attention_v1_kernelIfhLi256ELi16ELi128ELNS_18Fp8KVCacheDataTypeE1ELb0EEEvPT_PKS2_PKT0_S8_ifPKiSA_iPKfiiiSC_SC_iiiii,@function
_ZN4vllm25paged_attention_v1_kernelIfhLi256ELi16ELi128ELNS_18Fp8KVCacheDataTypeE1ELb0EEEvPT_PKS2_PKT0_S8_ifPKiSA_iPKfiiiSC_SC_iiiii: ; @_ZN4vllm25paged_attention_v1_kernelIfhLi256ELi16ELi128ELNS_18Fp8KVCacheDataTypeE1ELb0EEEvPT_PKS2_PKT0_S8_ifPKiSA_iPKfiiiSC_SC_iiiii
; %bb.0:
	s_clause 0x5
	s_load_b256 s[12:19], s[0:1], 0x0
	s_load_b128 s[4:7], s[0:1], 0x20
	s_load_b96 s[20:22], s[0:1], 0x30
	s_load_b64 s[10:11], s[0:1], 0x40
	s_load_b96 s[28:30], s[0:1], 0x48
	s_load_b128 s[24:27], s[0:1], 0x58
	v_mov_b32_e32 v31, v0
	s_get_pc_i64 s[2:3]
	s_add_nc_u64 s[2:3], s[2:3], _ZN4vllm22paged_attention_kernelIfhLi256ELi16ELi128ELNS_18Fp8KVCacheDataTypeE1ELb0ELi0EEEvPfS2_PT_PKS3_PKT0_S9_ifPKiSB_iPKfiiiSD_SD_iiiii@rel64+4
	s_add_nc_u64 s[8:9], s[0:1], 0x80
	s_mov_b32 s32, 0
	s_wait_kmcnt 0x0
	v_dual_mov_b32 v0, s12 :: v_dual_mov_b32 v1, s13
	v_dual_mov_b32 v2, s14 :: v_dual_mov_b32 v3, s15
	;; [unrolled: 1-line block ×12, first 2 shown]
	s_mov_b32 s15, 26
	s_swap_pc_i64 s[30:31], s[2:3]
	s_endpgm
	.section	.rodata,"a",@progbits
	.p2align	6, 0x0
	.amdhsa_kernel _ZN4vllm25paged_attention_v1_kernelIfhLi256ELi16ELi128ELNS_18Fp8KVCacheDataTypeE1ELb0EEEvPT_PKS2_PKT0_S8_ifPKiSA_iPKfiiiSC_SC_iiiii
		.amdhsa_group_segment_fixed_size 1056
		.amdhsa_private_segment_fixed_size 1444
		.amdhsa_kernarg_size 384
		.amdhsa_user_sgpr_count 2
		.amdhsa_user_sgpr_dispatch_ptr 0
		.amdhsa_user_sgpr_queue_ptr 0
		.amdhsa_user_sgpr_kernarg_segment_ptr 1
		.amdhsa_user_sgpr_dispatch_id 0
		.amdhsa_user_sgpr_kernarg_preload_length 0
		.amdhsa_user_sgpr_kernarg_preload_offset 0
		.amdhsa_user_sgpr_private_segment_size 0
		.amdhsa_wavefront_size32 1
		.amdhsa_uses_dynamic_stack 0
		.amdhsa_enable_private_segment 1
		.amdhsa_system_sgpr_workgroup_id_x 1
		.amdhsa_system_sgpr_workgroup_id_y 1
		.amdhsa_system_sgpr_workgroup_id_z 1
		.amdhsa_system_sgpr_workgroup_info 0
		.amdhsa_system_vgpr_workitem_id 0
		.amdhsa_next_free_vgpr 128
		.amdhsa_next_free_sgpr 33
		.amdhsa_named_barrier_count 0
		.amdhsa_reserve_vcc 1
		.amdhsa_float_round_mode_32 0
		.amdhsa_float_round_mode_16_64 0
		.amdhsa_float_denorm_mode_32 3
		.amdhsa_float_denorm_mode_16_64 3
		.amdhsa_fp16_overflow 0
		.amdhsa_memory_ordered 1
		.amdhsa_forward_progress 1
		.amdhsa_inst_pref_size 2
		.amdhsa_round_robin_scheduling 0
		.amdhsa_exception_fp_ieee_invalid_op 0
		.amdhsa_exception_fp_denorm_src 0
		.amdhsa_exception_fp_ieee_div_zero 0
		.amdhsa_exception_fp_ieee_overflow 0
		.amdhsa_exception_fp_ieee_underflow 0
		.amdhsa_exception_fp_ieee_inexact 0
		.amdhsa_exception_int_div_zero 0
	.end_amdhsa_kernel
	.section	.text._ZN4vllm25paged_attention_v1_kernelIfhLi256ELi16ELi128ELNS_18Fp8KVCacheDataTypeE1ELb0EEEvPT_PKS2_PKT0_S8_ifPKiSA_iPKfiiiSC_SC_iiiii,"axG",@progbits,_ZN4vllm25paged_attention_v1_kernelIfhLi256ELi16ELi128ELNS_18Fp8KVCacheDataTypeE1ELb0EEEvPT_PKS2_PKT0_S8_ifPKiSA_iPKfiiiSC_SC_iiiii,comdat
.Lfunc_end201:
	.size	_ZN4vllm25paged_attention_v1_kernelIfhLi256ELi16ELi128ELNS_18Fp8KVCacheDataTypeE1ELb0EEEvPT_PKS2_PKT0_S8_ifPKiSA_iPKfiiiSC_SC_iiiii, .Lfunc_end201-_ZN4vllm25paged_attention_v1_kernelIfhLi256ELi16ELi128ELNS_18Fp8KVCacheDataTypeE1ELb0EEEvPT_PKS2_PKT0_S8_ifPKiSA_iPKfiiiSC_SC_iiiii
                                        ; -- End function
	.set _ZN4vllm25paged_attention_v1_kernelIfhLi256ELi16ELi128ELNS_18Fp8KVCacheDataTypeE1ELb0EEEvPT_PKS2_PKT0_S8_ifPKiSA_iPKfiiiSC_SC_iiiii.num_vgpr, max(32, .L_ZN4vllm22paged_attention_kernelIfhLi256ELi16ELi128ELNS_18Fp8KVCacheDataTypeE1ELb0ELi0EEEvPfS2_PT_PKS3_PKT0_S9_ifPKiSB_iPKfiiiSD_SD_iiiii.num_vgpr)
	.set _ZN4vllm25paged_attention_v1_kernelIfhLi256ELi16ELi128ELNS_18Fp8KVCacheDataTypeE1ELb0EEEvPT_PKS2_PKT0_S8_ifPKiSA_iPKfiiiSC_SC_iiiii.num_agpr, max(0, .L_ZN4vllm22paged_attention_kernelIfhLi256ELi16ELi128ELNS_18Fp8KVCacheDataTypeE1ELb0ELi0EEEvPfS2_PT_PKS3_PKT0_S9_ifPKiSB_iPKfiiiSD_SD_iiiii.num_agpr)
	.set _ZN4vllm25paged_attention_v1_kernelIfhLi256ELi16ELi128ELNS_18Fp8KVCacheDataTypeE1ELb0EEEvPT_PKS2_PKT0_S8_ifPKiSA_iPKfiiiSC_SC_iiiii.numbered_sgpr, max(33, .L_ZN4vllm22paged_attention_kernelIfhLi256ELi16ELi128ELNS_18Fp8KVCacheDataTypeE1ELb0ELi0EEEvPfS2_PT_PKS3_PKT0_S9_ifPKiSB_iPKfiiiSD_SD_iiiii.numbered_sgpr)
	.set _ZN4vllm25paged_attention_v1_kernelIfhLi256ELi16ELi128ELNS_18Fp8KVCacheDataTypeE1ELb0EEEvPT_PKS2_PKT0_S8_ifPKiSA_iPKfiiiSC_SC_iiiii.num_named_barrier, max(0, .L_ZN4vllm22paged_attention_kernelIfhLi256ELi16ELi128ELNS_18Fp8KVCacheDataTypeE1ELb0ELi0EEEvPfS2_PT_PKS3_PKT0_S9_ifPKiSB_iPKfiiiSD_SD_iiiii.num_named_barrier)
	.set _ZN4vllm25paged_attention_v1_kernelIfhLi256ELi16ELi128ELNS_18Fp8KVCacheDataTypeE1ELb0EEEvPT_PKS2_PKT0_S8_ifPKiSA_iPKfiiiSC_SC_iiiii.private_seg_size, 0+max(.L_ZN4vllm22paged_attention_kernelIfhLi256ELi16ELi128ELNS_18Fp8KVCacheDataTypeE1ELb0ELi0EEEvPfS2_PT_PKS3_PKT0_S9_ifPKiSB_iPKfiiiSD_SD_iiiii.private_seg_size)
	.set _ZN4vllm25paged_attention_v1_kernelIfhLi256ELi16ELi128ELNS_18Fp8KVCacheDataTypeE1ELb0EEEvPT_PKS2_PKT0_S8_ifPKiSA_iPKfiiiSC_SC_iiiii.uses_vcc, or(1, .L_ZN4vllm22paged_attention_kernelIfhLi256ELi16ELi128ELNS_18Fp8KVCacheDataTypeE1ELb0ELi0EEEvPfS2_PT_PKS3_PKT0_S9_ifPKiSB_iPKfiiiSD_SD_iiiii.uses_vcc)
	.set _ZN4vllm25paged_attention_v1_kernelIfhLi256ELi16ELi128ELNS_18Fp8KVCacheDataTypeE1ELb0EEEvPT_PKS2_PKT0_S8_ifPKiSA_iPKfiiiSC_SC_iiiii.uses_flat_scratch, or(0, .L_ZN4vllm22paged_attention_kernelIfhLi256ELi16ELi128ELNS_18Fp8KVCacheDataTypeE1ELb0ELi0EEEvPfS2_PT_PKS3_PKT0_S9_ifPKiSB_iPKfiiiSD_SD_iiiii.uses_flat_scratch)
	.set _ZN4vllm25paged_attention_v1_kernelIfhLi256ELi16ELi128ELNS_18Fp8KVCacheDataTypeE1ELb0EEEvPT_PKS2_PKT0_S8_ifPKiSA_iPKfiiiSC_SC_iiiii.has_dyn_sized_stack, or(0, .L_ZN4vllm22paged_attention_kernelIfhLi256ELi16ELi128ELNS_18Fp8KVCacheDataTypeE1ELb0ELi0EEEvPfS2_PT_PKS3_PKT0_S9_ifPKiSB_iPKfiiiSD_SD_iiiii.has_dyn_sized_stack)
	.set _ZN4vllm25paged_attention_v1_kernelIfhLi256ELi16ELi128ELNS_18Fp8KVCacheDataTypeE1ELb0EEEvPT_PKS2_PKT0_S8_ifPKiSA_iPKfiiiSC_SC_iiiii.has_recursion, or(0, .L_ZN4vllm22paged_attention_kernelIfhLi256ELi16ELi128ELNS_18Fp8KVCacheDataTypeE1ELb0ELi0EEEvPfS2_PT_PKS3_PKT0_S9_ifPKiSB_iPKfiiiSD_SD_iiiii.has_recursion)
	.set _ZN4vllm25paged_attention_v1_kernelIfhLi256ELi16ELi128ELNS_18Fp8KVCacheDataTypeE1ELb0EEEvPT_PKS2_PKT0_S8_ifPKiSA_iPKfiiiSC_SC_iiiii.has_indirect_call, or(0, .L_ZN4vllm22paged_attention_kernelIfhLi256ELi16ELi128ELNS_18Fp8KVCacheDataTypeE1ELb0ELi0EEEvPfS2_PT_PKS3_PKT0_S9_ifPKiSB_iPKfiiiSD_SD_iiiii.has_indirect_call)
	.section	.AMDGPU.csdata,"",@progbits
; Kernel info:
; codeLenInByte = 196
; TotalNumSgprs: 35
; NumVgprs: 128
; ScratchSize: 1444
; MemoryBound: 0
; FloatMode: 240
; IeeeMode: 1
; LDSByteSize: 1056 bytes/workgroup (compile time only)
; SGPRBlocks: 0
; VGPRBlocks: 7
; NumSGPRsForWavesPerEU: 35
; NumVGPRsForWavesPerEU: 128
; NamedBarCnt: 0
; Occupancy: 8
; WaveLimiterHint : 1
; COMPUTE_PGM_RSRC2:SCRATCH_EN: 1
; COMPUTE_PGM_RSRC2:USER_SGPR: 2
; COMPUTE_PGM_RSRC2:TRAP_HANDLER: 0
; COMPUTE_PGM_RSRC2:TGID_X_EN: 1
; COMPUTE_PGM_RSRC2:TGID_Y_EN: 1
; COMPUTE_PGM_RSRC2:TGID_Z_EN: 1
; COMPUTE_PGM_RSRC2:TIDIG_COMP_CNT: 0
	.section	.text._ZN4vllm25paged_attention_v1_kernelIfhLi32ELi32ELi128ELNS_18Fp8KVCacheDataTypeE1ELb1EEEvPT_PKS2_PKT0_S8_ifPKiSA_iPKfiiiSC_SC_iiiii,"axG",@progbits,_ZN4vllm25paged_attention_v1_kernelIfhLi32ELi32ELi128ELNS_18Fp8KVCacheDataTypeE1ELb1EEEvPT_PKS2_PKT0_S8_ifPKiSA_iPKfiiiSC_SC_iiiii,comdat
	.protected	_ZN4vllm25paged_attention_v1_kernelIfhLi32ELi32ELi128ELNS_18Fp8KVCacheDataTypeE1ELb1EEEvPT_PKS2_PKT0_S8_ifPKiSA_iPKfiiiSC_SC_iiiii ; -- Begin function _ZN4vllm25paged_attention_v1_kernelIfhLi32ELi32ELi128ELNS_18Fp8KVCacheDataTypeE1ELb1EEEvPT_PKS2_PKT0_S8_ifPKiSA_iPKfiiiSC_SC_iiiii
	.globl	_ZN4vllm25paged_attention_v1_kernelIfhLi32ELi32ELi128ELNS_18Fp8KVCacheDataTypeE1ELb1EEEvPT_PKS2_PKT0_S8_ifPKiSA_iPKfiiiSC_SC_iiiii
	.p2align	8
	.type	_ZN4vllm25paged_attention_v1_kernelIfhLi32ELi32ELi128ELNS_18Fp8KVCacheDataTypeE1ELb1EEEvPT_PKS2_PKT0_S8_ifPKiSA_iPKfiiiSC_SC_iiiii,@function
_ZN4vllm25paged_attention_v1_kernelIfhLi32ELi32ELi128ELNS_18Fp8KVCacheDataTypeE1ELb1EEEvPT_PKS2_PKT0_S8_ifPKiSA_iPKfiiiSC_SC_iiiii: ; @_ZN4vllm25paged_attention_v1_kernelIfhLi32ELi32ELi128ELNS_18Fp8KVCacheDataTypeE1ELb1EEEvPT_PKS2_PKT0_S8_ifPKiSA_iPKfiiiSC_SC_iiiii
; %bb.0:
	s_load_b64 s[24:25], s[0:1], 0x20
	s_bfe_u32 s3, ttmp6, 0x4000c
	s_bfe_u32 s4, ttmp6, 0x40010
	s_and_b32 s6, ttmp7, 0xffff
	s_add_co_i32 s3, s3, 1
	s_add_co_i32 s4, s4, 1
	s_and_b32 s2, ttmp6, 15
	s_bfe_u32 s5, ttmp6, 0x40004
	s_mul_i32 s3, ttmp9, s3
	s_mul_i32 s4, s6, s4
	s_getreg_b32 s28, hwreg(HW_REG_IB_STS2, 6, 4)
	s_add_co_i32 s2, s2, s3
	s_add_co_i32 s3, s5, s4
	s_cmp_eq_u32 s28, 0
	s_clause 0x1
	s_load_b32 s29, s[0:1], 0x80
	s_load_b64 s[4:5], s[0:1], 0x30
	s_cselect_b32 s30, s6, s3
	s_cselect_b32 s2, ttmp9, s2
	s_wait_kmcnt 0x0
	s_abs_i32 s3, s24
	s_delay_alu instid0(SALU_CYCLE_1) | instskip(SKIP_1) | instid1(SALU_CYCLE_2)
	s_cvt_f32_u32 s6, s3
	s_sub_co_i32 s7, 0, s3
	v_rcp_iflag_f32_e32 v1, s6
	s_abs_i32 s8, s29
	v_nop
	s_delay_alu instid0(TRANS32_DEP_1) | instskip(SKIP_1) | instid1(SALU_CYCLE_3)
	v_readfirstlane_b32 s6, v1
	s_mul_f32 s6, s6, 0x4f7ffffe
	s_cvt_u32_f32 s6, s6
	s_delay_alu instid0(SALU_CYCLE_3) | instskip(NEXT) | instid1(SALU_CYCLE_1)
	s_mul_i32 s7, s7, s6
	s_mul_hi_u32 s7, s6, s7
	s_delay_alu instid0(SALU_CYCLE_1) | instskip(SKIP_4) | instid1(SALU_CYCLE_1)
	s_add_co_i32 s6, s6, s7
	s_xor_b32 s7, s29, s24
	s_mul_hi_u32 s6, s8, s6
	s_ashr_i32 s7, s7, 31
	s_mul_i32 s9, s6, s3
	s_sub_co_i32 s8, s8, s9
	s_add_co_i32 s9, s6, 1
	s_sub_co_i32 s10, s8, s3
	s_cmp_ge_u32 s8, s3
	s_cselect_b32 s6, s9, s6
	s_cselect_b32 s8, s10, s8
	s_add_co_i32 s9, s6, 1
	s_cmp_ge_u32 s8, s3
	s_load_b64 s[10:11], s[0:1], 0x40
	s_cselect_b32 s3, s9, s6
	s_mov_b32 s9, 0
	s_xor_b32 s3, s3, s7
	s_abs_i32 s8, s2
	s_sub_co_i32 s16, s3, s7
	s_mov_b32 s7, s9
	s_abs_i32 s15, s16
	s_mov_b32 s36, s9
	s_cvt_f32_u32 s3, s15
	s_sub_co_i32 s6, 0, s15
	s_delay_alu instid0(SALU_CYCLE_2) | instskip(SKIP_1) | instid1(TRANS32_DEP_1)
	v_rcp_iflag_f32_e32 v1, s3
	v_nop
	v_readfirstlane_b32 s3, v1
	s_mul_f32 s3, s3, 0x4f7ffffe
	s_delay_alu instid0(SALU_CYCLE_3) | instskip(NEXT) | instid1(SALU_CYCLE_3)
	s_cvt_u32_f32 s3, s3
	s_mul_i32 s6, s6, s3
	s_delay_alu instid0(SALU_CYCLE_1) | instskip(NEXT) | instid1(SALU_CYCLE_1)
	s_mul_hi_u32 s6, s3, s6
	s_add_co_i32 s6, s3, s6
	s_wait_kmcnt 0x0
	s_cmp_eq_u64 s[10:11], 0
	s_cbranch_scc1 .LBB202_2
; %bb.1:
	s_ashr_i32 s3, s2, 31
	s_delay_alu instid0(SALU_CYCLE_1) | instskip(NEXT) | instid1(SALU_CYCLE_1)
	s_lshl_b64 s[12:13], s[2:3], 2
	s_add_nc_u64 s[10:11], s[10:11], s[12:13]
	s_load_b32 s36, s[10:11], 0x0
.LBB202_2:
	s_load_b32 s31, s[4:5], s30 offset:0x0 scale_offset
	s_load_b96 s[12:14], s[0:1], 0x48
	s_ashr_i32 s3, s2, 31
	s_ashr_i32 s18, s16, 31
	s_wait_xcnt 0x0
	s_mul_u64 s[10:11], s[8:9], s[6:7]
	s_lshl_b32 s16, s2, 5
	s_mov_b32 s4, exec_lo
	v_cmpx_gt_u32_e32 8, v0
	s_cbranch_execz .LBB202_4
; %bb.3:
	s_load_b64 s[6:7], s[0:1], 0x8
	s_wait_kmcnt 0x0
	s_mul_i32 s20, s12, s30
	s_ashr_i32 s17, s16, 31
	s_ashr_i32 s21, s20, 31
	v_lshlrev_b32_e32 v1, 4, v0
	s_lshl_b64 s[20:21], s[20:21], 2
	s_delay_alu instid0(SALU_CYCLE_1) | instskip(SKIP_1) | instid1(SALU_CYCLE_1)
	s_add_nc_u64 s[6:7], s[6:7], s[20:21]
	s_lshl_b64 s[20:21], s[16:17], 2
	s_add_nc_u64 s[6:7], s[6:7], s[20:21]
	global_load_b128 v[2:5], v0, s[6:7] scale_offset
	s_wait_loadcnt 0x0
	ds_store_b128 v1, v[2:5]
.LBB202_4:
	s_or_b32 exec_lo, exec_lo, s4
	s_load_b128 s[4:7], s[0:1], 0x68
	s_mul_i32 s9, s11, s15
	s_xor_b32 s3, s3, s18
	s_sub_co_i32 s8, s8, s9
	s_add_co_i32 s9, s11, 1
	s_sub_co_i32 s10, s8, s15
	s_cmp_ge_u32 s8, s15
	s_wait_dscnt 0x0
	s_cselect_b32 s9, s9, s11
	s_cselect_b32 s8, s10, s8
	s_add_co_i32 s11, s9, 1
	s_cmp_ge_u32 s8, s15
	s_load_b32 s10, s[0:1], 0x78
	s_cselect_b32 s8, s11, s9
	s_wait_kmcnt 0x0
	s_add_co_i32 s11, s31, -1
	s_xor_b32 s8, s8, s3
	s_mov_b32 s15, -1
	s_sub_co_i32 s3, s8, s3
	s_barrier_signal -1
	s_barrier_wait -1
	s_abs_i32 s12, s7
	s_delay_alu instid0(SALU_CYCLE_1) | instskip(NEXT) | instid1(SALU_CYCLE_3)
	s_cvt_f32_u32 s9, s12
	v_rcp_iflag_f32_e32 v1, s9
	v_nop
	s_delay_alu instid0(TRANS32_DEP_1) | instskip(SKIP_1) | instid1(SALU_CYCLE_3)
	v_readfirstlane_b32 s9, v1
	s_mul_f32 s8, s9, 0x4f7ffffe
	s_cvt_u32_f32 s17, s8
	s_sub_co_i32 s8, 0, s12
	s_delay_alu instid0(SALU_CYCLE_2)
	s_mul_i32 s9, s8, s17
	s_abs_i32 s8, s11
	s_mul_hi_u32 s18, s17, s9
	s_mov_b32 s9, 0
	s_add_co_i32 s18, s17, s18
	s_cmp_lt_i32 s10, 0
	s_mov_b32 s19, s9
                                        ; implicit-def: $sgpr17
	s_cbranch_scc0 .LBB202_6
; %bb.5:
	s_mul_i32 s15, s4, s24
	s_delay_alu instid0(SALU_CYCLE_1) | instskip(NEXT) | instid1(SALU_CYCLE_1)
	s_add_co_i32 s15, s3, s15
	s_mul_i32 s15, s15, s10
	s_delay_alu instid0(SALU_CYCLE_1)
	s_sub_co_i32 s17, 1, s15
	s_mov_b32 s15, s9
.LBB202_6:
	s_ashr_i32 s11, s11, 31
	s_ashr_i32 s33, s7, 31
	s_and_not1_b32 vcc_lo, exec_lo, s15
	s_mul_u64 s[26:27], s[8:9], s[18:19]
	s_cbranch_vccnz .LBB202_8
; %bb.7:
	s_mul_i32 s4, s29, s4
	s_delay_alu instid0(SALU_CYCLE_1) | instskip(NEXT) | instid1(SALU_CYCLE_1)
	s_add_co_i32 s2, s4, s2
	s_mul_i32 s2, s2, s10
	s_delay_alu instid0(SALU_CYCLE_1)
	s_add_co_i32 s17, s2, 1
.LBB202_8:
	s_clause 0x1
	s_load_b32 s2, s[0:1], 0x38
	s_load_b64 s[20:21], s[0:1], 0x28
	s_mul_i32 s7, s27, s12
	s_xor_b32 s4, s11, s33
	s_sub_co_i32 s24, s8, s7
	s_add_co_i32 s15, s27, 1
	s_clause 0x1
	s_load_b32 s7, s[0:1], 0x88
	s_load_b128 s[8:11], s[0:1], 0x58
	v_dual_lshrrev_b32 v1, 5, v0 :: v_dual_bitop2_b32 v108, 31, v0 bitop3:0x40
	v_dual_mov_b32 v110, 0xff7fffff :: v_dual_lshrrev_b32 v35, 3, v0
	s_mul_i32 s14, s3, s14
	s_delay_alu instid0(VALU_DEP_2)
	v_dual_lshlrev_b32 v34, 5, v1 :: v_dual_lshlrev_b32 v109, 2, v108
	s_wait_kmcnt 0x0
	s_mul_i32 s22, s2, s30
	s_sub_co_i32 s2, s24, s12
	s_ashr_i32 s23, s22, 31
	s_cmp_ge_u32 s24, s12
	s_cselect_b32 s15, s15, s27
	s_cselect_b32 s2, s2, s24
	s_add_co_i32 s24, s15, 1
	s_cmp_ge_u32 s2, s12
	s_cselect_b32 s2, s24, s15
	s_add_co_i32 s15, s31, 31
	s_delay_alu instid0(SALU_CYCLE_1) | instskip(NEXT) | instid1(SALU_CYCLE_1)
	s_ashr_i32 s24, s15, 31
	s_lshr_b32 s24, s24, 27
	s_delay_alu instid0(SALU_CYCLE_1) | instskip(NEXT) | instid1(SALU_CYCLE_1)
	s_add_co_i32 s15, s15, s24
	s_ashr_i32 s34, s15, 5
	s_xor_b32 s15, s2, s4
	v_cmp_gt_i32_e64 s2, s34, v1
	s_sub_co_i32 s35, s15, s4
	s_and_saveexec_b32 s24, s2
	s_cbranch_execz .LBB202_272
; %bb.9:
	s_sub_co_i32 s37, s35, s5
	s_ashr_i32 s15, s14, 31
	s_cmp_neq_f32 s36, 0
	s_load_b64 s[26:27], s[0:1], 0x10
	v_dual_mov_b32 v37, 0 :: v_dual_lshlrev_b32 v36, 4, v108
	s_cselect_b32 vcc_lo, -1, 0
	s_abs_i32 s38, s6
	ds_load_b128 v[2:5], v37
	ds_load_b128 v[6:9], v37 offset:16
	ds_load_b128 v[10:13], v37 offset:32
	;; [unrolled: 1-line block ×3, first 2 shown]
	s_cvt_f32_u32 s3, s38
	v_subrev_nc_u32_e32 v39, s31, v108
	v_lshl_or_b32 v44, v1, 7, v109
	s_sub_co_i32 s4, 0, s38
	v_rcp_iflag_f32_e32 v18, s3
	s_delay_alu instid0(VALU_DEP_2) | instskip(NEXT) | instid1(VALU_DEP_2)
	v_dual_lshlrev_b32 v38, 5, v1 :: v_dual_add_nc_u32 v111, 1, v39
	v_add_nc_u32_e32 v112, 0xa0, v44
	v_dual_mov_b32 v113, 0xff7fffff :: v_dual_mov_b32 v110, 0xff7fffff
	v_mov_b32_e32 v114, v1
	s_delay_alu instid0(TRANS32_DEP_1)
	v_readfirstlane_b32 s3, v18
	ds_load_b128 v[18:21], v37 offset:64
	ds_load_b128 v[22:25], v37 offset:80
	;; [unrolled: 1-line block ×4, first 2 shown]
	s_wait_kmcnt 0x0
	s_add_nc_u64 s[26:27], s[26:27], s[14:15]
	s_mov_b32 s39, s13
	v_add_nc_u64_e32 v[40:41], s[26:27], v[36:37]
	s_mul_f32 s3, s3, 0x4f7ffffe
	v_and_b32_e32 v36, 0x7c, v35
	s_lshl_b64 s[26:27], s[22:23], 2
	s_delay_alu instid0(SALU_CYCLE_1)
	s_cvt_u32_f32 s3, s3
	s_add_nc_u64 s[26:27], s[20:21], s[26:27]
	s_delay_alu instid0(VALU_DEP_1) | instid1(SALU_CYCLE_1)
	v_add_nc_u64_e32 v[42:43], s[26:27], v[36:37]
	s_delay_alu instid0(SALU_CYCLE_1)
	s_mul_i32 s4, s4, s3
	s_mov_b32 s27, 0
	s_mul_hi_u32 s4, s3, s4
	s_mov_b32 s15, s27
	s_add_co_i32 s26, s3, s4
	s_branch .LBB202_15
.LBB202_10:                             ;   in Loop: Header=BB202_15 Depth=1
	s_or_b32 exec_lo, exec_lo, s44
	s_delay_alu instid0(VALU_DEP_1) | instskip(NEXT) | instid1(VALU_DEP_2)
	v_dual_lshlrev_b32 v104, 24, v115 :: v_dual_lshlrev_b32 v36, 20, v36
	v_lshl_add_u32 v39, v39, 23, 0x3c000000
	s_delay_alu instid0(VALU_DEP_2) | instskip(NEXT) | instid1(VALU_DEP_1)
	v_and_b32_e32 v104, 0x80000000, v104
	v_or3_b32 v105, v36, v104, v39
	v_mov_b32_e32 v104, v37
.LBB202_11:                             ;   in Loop: Header=BB202_15 Depth=1
	s_or_b32 exec_lo, exec_lo, s43
.LBB202_12:                             ;   in Loop: Header=BB202_15 Depth=1
	s_delay_alu instid0(SALU_CYCLE_1)
	s_or_b32 exec_lo, exec_lo, s42
.LBB202_13:                             ;   in Loop: Header=BB202_15 Depth=1
	s_delay_alu instid0(SALU_CYCLE_1)
	s_or_b32 exec_lo, exec_lo, s41
	v_or_b32_e32 v53, v53, v55
	v_or_b32_e32 v52, v52, v54
	;; [unrolled: 1-line block ×6, first 2 shown]
	s_wait_kmcnt 0x0
	v_pk_mul_f32 v[46:47], s[4:5], v[52:53] op_sel_hi:[0,1]
	v_or_b32_e32 v49, v49, v51
	v_pk_mul_f32 v[52:53], s[4:5], v[54:55] op_sel_hi:[0,1]
	v_or_b32_e32 v48, v48, v50
	v_pk_mul_f32 v[44:45], s[4:5], v[44:45] op_sel_hi:[0,1]
	s_wait_dscnt 0x6
	v_pk_mul_f32 v[46:47], v[6:7], v[46:47]
	v_or_b32_e32 v51, v67, v69
	v_or_b32_e32 v50, v66, v68
	v_pk_mul_f32 v[48:49], s[4:5], v[48:49] op_sel_hi:[0,1]
	v_pk_mul_f32 v[52:53], v[8:9], v[52:53]
	v_pk_fma_f32 v[44:45], v[2:3], v[44:45], v[46:47]
	v_or_b32_e32 v47, v75, v77
	v_or_b32_e32 v46, v74, v76
	v_pk_mul_f32 v[50:51], s[4:5], v[50:51] op_sel_hi:[0,1]
	v_pk_fma_f32 v[48:49], v[4:5], v[48:49], v[52:53]
	v_dual_add_nc_u32 v36, v111, v38 :: v_dual_bitop2_b32 v94, v94, v96 bitop3:0x54
	v_or_b32_e32 v53, v83, v85
	v_or_b32_e32 v52, v82, v84
	v_pk_mul_f32 v[46:47], s[4:5], v[46:47] op_sel_hi:[0,1]
	s_wait_dscnt 0x5
	v_pk_fma_f32 v[48:49], v[12:13], v[50:51], v[48:49]
	v_or_b32_e32 v79, v79, v81
	v_or_b32_e32 v78, v78, v80
	;; [unrolled: 1-line block ×4, first 2 shown]
	v_pk_mul_f32 v[50:51], s[4:5], v[52:53] op_sel_hi:[0,1]
	s_wait_dscnt 0x4
	v_pk_fma_f32 v[46:47], v[16:17], v[46:47], v[48:49]
	v_cvt_f32_i32_e32 v36, v36
	v_or_b32_e32 v95, v95, v97
	v_or_b32_e32 v96, v98, v100
	;; [unrolled: 1-line block ×4, first 2 shown]
	v_pk_mul_f32 v[54:55], s[4:5], v[80:81] op_sel_hi:[0,1]
	s_wait_dscnt 0x3
	v_pk_fma_f32 v[46:47], v[20:21], v[50:51], v[46:47]
	v_dual_mul_f32 v36, s36, v36 :: v_dual_bitop2_b32 v97, v99, v101 bitop3:0x54
	v_pk_mul_f32 v[50:51], s[4:5], v[52:53] op_sel_hi:[0,1]
	v_or_b32_e32 v53, v105, v107
	v_or_b32_e32 v52, v104, v106
	s_wait_dscnt 0x2
	v_pk_fma_f32 v[46:47], v[24:25], v[54:55], v[46:47]
	v_cndmask_b32_e32 v36, 0, v36, vcc_lo
	v_pk_mul_f32 v[48:49], s[4:5], v[96:97] op_sel_hi:[0,1]
	v_or_b32_e32 v63, v63, v65
	v_or_b32_e32 v62, v62, v64
	v_pk_mul_f32 v[52:53], s[4:5], v[52:53] op_sel_hi:[0,1]
	v_or_b32_e32 v71, v71, v73
	s_wait_dscnt 0x1
	v_pk_fma_f32 v[46:47], v[28:29], v[48:49], v[46:47]
	v_or_b32_e32 v87, v87, v89
	v_pk_mul_f32 v[58:59], s[4:5], v[62:63] op_sel_hi:[0,1]
	v_or_b32_e32 v86, v86, v88
	v_pk_mul_f32 v[78:79], s[4:5], v[78:79] op_sel_hi:[0,1]
	s_wait_dscnt 0x0
	v_pk_fma_f32 v[46:47], v[32:33], v[52:53], v[46:47]
	v_or_b32_e32 v70, v70, v72
	v_pk_fma_f32 v[44:45], v[10:11], v[58:59], v[44:45]
	v_pk_mul_f32 v[72:73], s[4:5], v[86:87] op_sel_hi:[0,1]
	v_pk_mul_f32 v[88:89], s[4:5], v[94:95] op_sel_hi:[0,1]
	s_delay_alu instid0(VALU_DEP_4) | instskip(NEXT) | instid1(VALU_DEP_1)
	v_pk_mul_f32 v[70:71], s[4:5], v[70:71] op_sel_hi:[0,1]
	v_pk_fma_f32 v[44:45], v[14:15], v[70:71], v[44:45]
	s_delay_alu instid0(VALU_DEP_1) | instskip(NEXT) | instid1(VALU_DEP_1)
	v_pk_fma_f32 v[44:45], v[18:19], v[78:79], v[44:45]
	v_pk_fma_f32 v[44:45], v[22:23], v[72:73], v[44:45]
	s_delay_alu instid0(VALU_DEP_1) | instskip(NEXT) | instid1(VALU_DEP_1)
	v_pk_fma_f32 v[44:45], v[26:27], v[88:89], v[44:45]
	v_pk_fma_f32 v[44:45], v[30:31], v[50:51], v[44:45]
	s_delay_alu instid0(VALU_DEP_1) | instskip(SKIP_1) | instid1(VALU_DEP_2)
	v_add_f32_e32 v39, v44, v45
	v_add_nc_u32_e32 v44, v108, v38
	v_add_f32_e32 v39, v39, v46
	s_delay_alu instid0(VALU_DEP_2) | instskip(NEXT) | instid1(VALU_DEP_2)
	v_cmp_gt_i32_e64 s3, s31, v44
	v_add_f32_e32 v39, v47, v39
	s_delay_alu instid0(VALU_DEP_1) | instskip(NEXT) | instid1(VALU_DEP_1)
	v_dual_fmac_f32 v36, s25, v39 :: v_dual_max_num_f32 v39, v110, v110
	v_dual_max_num_f32 v39, v39, v36 :: v_dual_cndmask_b32 v36, 0, v36, s3
	s_delay_alu instid0(VALU_DEP_1)
	v_cndmask_b32_e64 v110, v110, v39, s3
	ds_store_b32 v112, v36
.LBB202_14:                             ;   in Loop: Header=BB202_15 Depth=1
	s_or_b32 exec_lo, exec_lo, s40
	v_add_nc_u32_e32 v114, 4, v114
	v_add_nc_u64_e32 v[42:43], 16, v[42:43]
	v_add_nc_u32_e32 v38, 0x80, v38
	v_add_nc_u32_e32 v112, 0x200, v112
	s_delay_alu instid0(VALU_DEP_4) | instskip(SKIP_1) | instid1(SALU_CYCLE_1)
	v_cmp_le_i32_e64 s3, s34, v114
	s_or_b32 s15, s3, s15
	s_and_not1_b32 exec_lo, exec_lo, s15
	s_cbranch_execz .LBB202_271
.LBB202_15:                             ; =>This Inner Loop Header: Depth=1
	v_mov_b32_e32 v39, v37
	s_delay_alu instid0(VALU_DEP_1) | instskip(NEXT) | instid1(VALU_DEP_1)
	v_mul_u64_e32 v[44:45], s[18:19], v[38:39]
	v_mul_lo_u32 v36, v45, s12
	s_delay_alu instid0(VALU_DEP_1) | instskip(NEXT) | instid1(VALU_DEP_1)
	v_sub_nc_u32_e32 v36, v38, v36
	v_subrev_nc_u32_e32 v44, s12, v36
	v_cmp_le_u32_e64 s3, s12, v36
	s_delay_alu instid0(VALU_DEP_1) | instskip(NEXT) | instid1(VALU_DEP_1)
	v_dual_add_nc_u32 v39, 1, v45 :: v_dual_cndmask_b32 v36, v36, v44, s3
	v_cndmask_b32_e64 v39, v45, v39, s3
	s_delay_alu instid0(VALU_DEP_2) | instskip(NEXT) | instid1(VALU_DEP_2)
	v_cmp_le_u32_e64 s3, s12, v36
	v_add_nc_u32_e32 v44, 1, v39
	s_delay_alu instid0(VALU_DEP_1) | instskip(NEXT) | instid1(VALU_DEP_1)
	v_cndmask_b32_e64 v36, v39, v44, s3
	v_xor_b32_e32 v36, s33, v36
	s_delay_alu instid0(VALU_DEP_1) | instskip(NEXT) | instid1(VALU_DEP_1)
	v_subrev_nc_u32_e32 v39, s33, v36
	v_add_nc_u32_e32 v46, s17, v39
	v_cmp_ge_i32_e64 s4, s37, v39
	s_delay_alu instid0(VALU_DEP_2) | instskip(NEXT) | instid1(VALU_DEP_1)
	v_sub_nc_u32_e32 v36, 0, v46
	v_max_i32_e32 v36, v46, v36
	s_delay_alu instid0(VALU_DEP_1) | instskip(NEXT) | instid1(VALU_DEP_1)
	v_mul_u64_e32 v[44:45], s[26:27], v[36:37]
	v_mul_lo_u32 v44, v45, s38
	s_delay_alu instid0(VALU_DEP_1) | instskip(NEXT) | instid1(VALU_DEP_1)
	v_dual_ashrrev_i32 v45, 31, v46 :: v_dual_sub_nc_u32 v36, v36, v44
	v_subrev_nc_u32_e32 v44, s38, v36
	v_cmp_le_u32_e64 s3, s38, v36
	s_delay_alu instid0(VALU_DEP_1) | instskip(NEXT) | instid1(VALU_DEP_1)
	v_cndmask_b32_e64 v36, v36, v44, s3
	v_subrev_nc_u32_e32 v44, s38, v36
	v_cmp_le_u32_e64 s3, s38, v36
	s_delay_alu instid0(VALU_DEP_1) | instskip(NEXT) | instid1(VALU_DEP_1)
	v_cndmask_b32_e64 v36, v36, v44, s3
	v_xor_b32_e32 v36, v36, v45
	s_delay_alu instid0(VALU_DEP_1) | instskip(NEXT) | instid1(VALU_DEP_1)
	v_sub_nc_u32_e32 v36, v36, v45
	v_cmp_ne_u32_e64 s3, 0, v36
	s_and_b32 s3, s3, s4
	s_delay_alu instid0(SALU_CYCLE_1) | instskip(NEXT) | instid1(SALU_CYCLE_1)
	s_and_saveexec_b32 s4, s3
	s_xor_b32 s3, exec_lo, s4
; %bb.16:                               ;   in Loop: Header=BB202_15 Depth=1
	ds_store_b32 v112, v113
; %bb.17:                               ;   in Loop: Header=BB202_15 Depth=1
	s_and_not1_saveexec_b32 s40, s3
	s_cbranch_execz .LBB202_14
; %bb.18:                               ;   in Loop: Header=BB202_15 Depth=1
	global_load_b32 v36, v[42:43], off
	s_load_b32 s4, s[8:9], 0x0
	v_mov_b64_e32 v[44:45], 0
	v_mov_b64_e32 v[46:47], 0
	s_mov_b32 s41, exec_lo
	s_wait_loadcnt 0x0
	v_mad_nc_i64_i32 v[56:57], v36, s39, v[40:41]
	global_load_b32 v39, v[56:57], off
	s_wait_loadcnt 0x0
	v_and_b32_e32 v36, 0xff, v39
	s_delay_alu instid0(VALU_DEP_1)
	v_cmpx_ne_u16_e32 0, v36
	s_cbranch_execz .LBB202_26
; %bb.19:                               ;   in Loop: Header=BB202_15 Depth=1
	v_mov_b64_e32 v[46:47], 0x80000000
	s_mov_b32 s42, exec_lo
	v_cmpx_ne_u16_e32 0x80, v36
	s_cbranch_execz .LBB202_25
; %bb.20:                               ;   in Loop: Header=BB202_15 Depth=1
	v_mov_b64_e32 v[46:47], 0x7f800001
	v_and_b32_e32 v48, 0x7f, v39
	s_mov_b32 s43, exec_lo
	s_delay_alu instid0(VALU_DEP_1)
	v_cmpx_ne_u32_e32 0x7f, v48
	s_cbranch_execz .LBB202_24
; %bb.21:                               ;   in Loop: Header=BB202_15 Depth=1
	v_dual_lshrrev_b32 v46, 3, v48 :: v_dual_bitop2_b32 v36, 7, v39 bitop3:0x40
	s_mov_b32 s44, exec_lo
	v_cmpx_gt_u32_e32 8, v48
; %bb.22:                               ;   in Loop: Header=BB202_15 Depth=1
	s_delay_alu instid0(VALU_DEP_2) | instskip(NEXT) | instid1(VALU_DEP_1)
	v_clz_i32_u32_e32 v46, v36
	v_min_u32_e32 v46, 32, v46
	s_delay_alu instid0(VALU_DEP_1) | instskip(NEXT) | instid1(VALU_DEP_1)
	v_subrev_nc_u32_e32 v47, 28, v46
	v_lshlrev_b64_e32 v[48:49], v47, v[36:37]
	s_delay_alu instid0(VALU_DEP_1)
	v_dual_sub_nc_u32 v46, 29, v46 :: v_dual_bitop2_b32 v36, 7, v48 bitop3:0x40
; %bb.23:                               ;   in Loop: Header=BB202_15 Depth=1
	s_or_b32 exec_lo, exec_lo, s44
	s_delay_alu instid0(VALU_DEP_1) | instskip(NEXT) | instid1(VALU_DEP_2)
	v_dual_lshlrev_b32 v47, 24, v39 :: v_dual_lshlrev_b32 v36, 20, v36
	v_lshl_add_u32 v46, v46, 23, 0x3c000000
	s_delay_alu instid0(VALU_DEP_2) | instskip(NEXT) | instid1(VALU_DEP_1)
	v_and_b32_e32 v47, 0x80000000, v47
	v_or3_b32 v36, v36, v47, v46
	s_delay_alu instid0(VALU_DEP_1)
	v_mov_b64_e32 v[46:47], v[36:37]
.LBB202_24:                             ;   in Loop: Header=BB202_15 Depth=1
	s_or_b32 exec_lo, exec_lo, s43
.LBB202_25:                             ;   in Loop: Header=BB202_15 Depth=1
	s_delay_alu instid0(SALU_CYCLE_1)
	s_or_b32 exec_lo, exec_lo, s42
.LBB202_26:                             ;   in Loop: Header=BB202_15 Depth=1
	s_delay_alu instid0(SALU_CYCLE_1) | instskip(SKIP_2) | instid1(VALU_DEP_1)
	s_or_b32 exec_lo, exec_lo, s41
	v_lshrrev_b16 v36, 8, v39
	s_mov_b32 s41, exec_lo
	v_cmpx_ne_u16_e32 0, v36
	s_cbranch_execz .LBB202_34
; %bb.27:                               ;   in Loop: Header=BB202_15 Depth=1
	v_mov_b64_e32 v[44:45], 0x8000000000000000
	s_mov_b32 s42, exec_lo
	v_cmpx_ne_u16_e32 0x80, v36
	s_cbranch_execz .LBB202_33
; %bb.28:                               ;   in Loop: Header=BB202_15 Depth=1
	v_and_b32_e32 v36, 0xffff, v36
	v_mov_b64_e32 v[44:45], 0x7f80000100000000
	s_mov_b32 s43, exec_lo
	s_delay_alu instid0(VALU_DEP_2) | instskip(NEXT) | instid1(VALU_DEP_1)
	v_and_b32_e32 v48, 0x7f, v36
	v_cmpx_ne_u32_e32 0x7f, v48
	s_cbranch_execz .LBB202_32
; %bb.29:                               ;   in Loop: Header=BB202_15 Depth=1
	v_and_b32_e32 v36, 7, v36
	v_lshrrev_b32_e32 v44, 3, v48
	s_mov_b32 s44, exec_lo
	v_cmpx_gt_u32_e32 8, v48
; %bb.30:                               ;   in Loop: Header=BB202_15 Depth=1
	s_delay_alu instid0(VALU_DEP_3) | instskip(NEXT) | instid1(VALU_DEP_1)
	v_clz_i32_u32_e32 v44, v36
	v_min_u32_e32 v44, 32, v44
	s_delay_alu instid0(VALU_DEP_1) | instskip(SKIP_1) | instid1(VALU_DEP_2)
	v_subrev_nc_u32_e32 v45, 28, v44
	v_sub_nc_u32_e32 v44, 29, v44
	v_lshlrev_b64_e32 v[48:49], v45, v[36:37]
	s_delay_alu instid0(VALU_DEP_1)
	v_and_b32_e32 v36, 7, v48
; %bb.31:                               ;   in Loop: Header=BB202_15 Depth=1
	s_or_b32 exec_lo, exec_lo, s44
	s_delay_alu instid0(VALU_DEP_1) | instskip(SKIP_1) | instid1(VALU_DEP_2)
	v_dual_lshlrev_b32 v45, 16, v39 :: v_dual_lshlrev_b32 v36, 20, v36
	v_lshl_add_u32 v44, v44, 23, 0x3c000000
	v_and_b32_e32 v45, 0x80000000, v45
	s_delay_alu instid0(VALU_DEP_1)
	v_or3_b32 v45, v36, v45, v44
	v_mov_b32_e32 v44, v37
.LBB202_32:                             ;   in Loop: Header=BB202_15 Depth=1
	s_or_b32 exec_lo, exec_lo, s43
.LBB202_33:                             ;   in Loop: Header=BB202_15 Depth=1
	s_delay_alu instid0(SALU_CYCLE_1)
	s_or_b32 exec_lo, exec_lo, s42
.LBB202_34:                             ;   in Loop: Header=BB202_15 Depth=1
	s_delay_alu instid0(SALU_CYCLE_1) | instskip(SKIP_4) | instid1(VALU_DEP_3)
	s_or_b32 exec_lo, exec_lo, s41
	v_lshrrev_b32_e32 v52, 16, v39
	v_mov_b64_e32 v[48:49], 0
	v_mov_b64_e32 v[50:51], 0
	s_mov_b32 s41, exec_lo
	v_and_b32_e32 v36, 0xff, v52
	s_delay_alu instid0(VALU_DEP_1)
	v_cmpx_ne_u16_e32 0, v36
	s_cbranch_execz .LBB202_42
; %bb.35:                               ;   in Loop: Header=BB202_15 Depth=1
	v_mov_b64_e32 v[50:51], 0x80000000
	s_mov_b32 s42, exec_lo
	v_cmpx_ne_u16_e32 0x80, v36
	s_cbranch_execz .LBB202_41
; %bb.36:                               ;   in Loop: Header=BB202_15 Depth=1
	v_mov_b64_e32 v[50:51], 0x7f800001
	v_bfe_u32 v53, v39, 16, 7
	s_mov_b32 s43, exec_lo
	s_delay_alu instid0(VALU_DEP_1)
	v_cmpx_ne_u32_e32 0x7f, v53
	s_cbranch_execz .LBB202_40
; %bb.37:                               ;   in Loop: Header=BB202_15 Depth=1
	v_dual_lshrrev_b32 v50, 3, v53 :: v_dual_bitop2_b32 v36, 7, v52 bitop3:0x40
	s_mov_b32 s44, exec_lo
	v_cmpx_gt_u32_e32 8, v53
; %bb.38:                               ;   in Loop: Header=BB202_15 Depth=1
	s_delay_alu instid0(VALU_DEP_2) | instskip(NEXT) | instid1(VALU_DEP_1)
	v_clz_i32_u32_e32 v50, v36
	v_min_u32_e32 v50, 32, v50
	s_delay_alu instid0(VALU_DEP_1) | instskip(SKIP_1) | instid1(VALU_DEP_2)
	v_subrev_nc_u32_e32 v51, 28, v50
	v_sub_nc_u32_e32 v50, 29, v50
	v_lshlrev_b64_e32 v[54:55], v51, v[36:37]
	s_delay_alu instid0(VALU_DEP_1)
	v_and_b32_e32 v36, 7, v54
; %bb.39:                               ;   in Loop: Header=BB202_15 Depth=1
	s_or_b32 exec_lo, exec_lo, s44
	v_lshlrev_b32_e32 v51, 24, v52
	s_delay_alu instid0(VALU_DEP_2) | instskip(SKIP_1) | instid1(VALU_DEP_3)
	v_lshlrev_b32_e32 v36, 20, v36
	v_lshl_add_u32 v50, v50, 23, 0x3c000000
	v_and_b32_e32 v51, 0x80000000, v51
	s_delay_alu instid0(VALU_DEP_1) | instskip(NEXT) | instid1(VALU_DEP_1)
	v_or3_b32 v36, v36, v51, v50
	v_mov_b64_e32 v[50:51], v[36:37]
.LBB202_40:                             ;   in Loop: Header=BB202_15 Depth=1
	s_or_b32 exec_lo, exec_lo, s43
.LBB202_41:                             ;   in Loop: Header=BB202_15 Depth=1
	s_delay_alu instid0(SALU_CYCLE_1)
	s_or_b32 exec_lo, exec_lo, s42
.LBB202_42:                             ;   in Loop: Header=BB202_15 Depth=1
	s_delay_alu instid0(SALU_CYCLE_1) | instskip(NEXT) | instid1(SALU_CYCLE_1)
	s_or_b32 exec_lo, exec_lo, s41
	s_mov_b32 s41, exec_lo
	v_cmpx_lt_u32_e32 0xffffff, v39
	s_cbranch_execz .LBB202_50
; %bb.43:                               ;   in Loop: Header=BB202_15 Depth=1
	v_mov_b64_e32 v[48:49], 0x8000000000000000
	v_lshrrev_b32_e32 v52, 24, v39
	s_mov_b32 s42, exec_lo
	s_delay_alu instid0(VALU_DEP_1)
	v_cmpx_ne_u32_e32 0x80, v52
	s_cbranch_execz .LBB202_49
; %bb.44:                               ;   in Loop: Header=BB202_15 Depth=1
	v_mov_b64_e32 v[48:49], 0x7f80000100000000
	v_bfe_u32 v53, v39, 24, 7
	s_mov_b32 s43, exec_lo
	s_delay_alu instid0(VALU_DEP_1)
	v_cmpx_ne_u32_e32 0x7f, v53
	s_cbranch_execz .LBB202_48
; %bb.45:                               ;   in Loop: Header=BB202_15 Depth=1
	v_dual_lshrrev_b32 v39, 3, v53 :: v_dual_bitop2_b32 v36, 7, v52 bitop3:0x40
	s_mov_b32 s44, exec_lo
	v_cmpx_gt_u32_e32 8, v53
; %bb.46:                               ;   in Loop: Header=BB202_15 Depth=1
	s_delay_alu instid0(VALU_DEP_2) | instskip(NEXT) | instid1(VALU_DEP_1)
	v_clz_i32_u32_e32 v39, v36
	v_min_u32_e32 v39, 32, v39
	s_delay_alu instid0(VALU_DEP_1) | instskip(NEXT) | instid1(VALU_DEP_1)
	v_subrev_nc_u32_e32 v48, 28, v39
	v_lshlrev_b64_e32 v[48:49], v48, v[36:37]
	s_delay_alu instid0(VALU_DEP_1)
	v_dual_sub_nc_u32 v39, 29, v39 :: v_dual_bitop2_b32 v36, 7, v48 bitop3:0x40
; %bb.47:                               ;   in Loop: Header=BB202_15 Depth=1
	s_or_b32 exec_lo, exec_lo, s44
	v_lshlrev_b32_e32 v48, 24, v52
	s_delay_alu instid0(VALU_DEP_2) | instskip(NEXT) | instid1(VALU_DEP_3)
	v_lshlrev_b32_e32 v36, 20, v36
	v_lshl_add_u32 v39, v39, 23, 0x3c000000
	s_delay_alu instid0(VALU_DEP_3) | instskip(NEXT) | instid1(VALU_DEP_1)
	v_and_b32_e32 v48, 0x80000000, v48
	v_or3_b32 v49, v36, v48, v39
	v_mov_b32_e32 v48, v37
.LBB202_48:                             ;   in Loop: Header=BB202_15 Depth=1
	s_or_b32 exec_lo, exec_lo, s43
.LBB202_49:                             ;   in Loop: Header=BB202_15 Depth=1
	s_delay_alu instid0(SALU_CYCLE_1)
	s_or_b32 exec_lo, exec_lo, s42
.LBB202_50:                             ;   in Loop: Header=BB202_15 Depth=1
	s_delay_alu instid0(SALU_CYCLE_1)
	s_or_b32 exec_lo, exec_lo, s41
	global_load_b32 v39, v[56:57], off offset:4
	v_mov_b64_e32 v[52:53], 0
	v_mov_b64_e32 v[54:55], 0
	s_mov_b32 s41, exec_lo
	s_wait_loadcnt 0x0
	v_and_b32_e32 v36, 0xff, v39
	s_delay_alu instid0(VALU_DEP_1)
	v_cmpx_ne_u16_e32 0, v36
	s_cbranch_execz .LBB202_58
; %bb.51:                               ;   in Loop: Header=BB202_15 Depth=1
	v_mov_b64_e32 v[54:55], 0x80000000
	s_mov_b32 s42, exec_lo
	v_cmpx_ne_u16_e32 0x80, v36
	s_cbranch_execz .LBB202_57
; %bb.52:                               ;   in Loop: Header=BB202_15 Depth=1
	v_mov_b64_e32 v[54:55], 0x7f800001
	v_and_b32_e32 v58, 0x7f, v39
	s_mov_b32 s43, exec_lo
	s_delay_alu instid0(VALU_DEP_1)
	v_cmpx_ne_u32_e32 0x7f, v58
	s_cbranch_execz .LBB202_56
; %bb.53:                               ;   in Loop: Header=BB202_15 Depth=1
	v_dual_lshrrev_b32 v54, 3, v58 :: v_dual_bitop2_b32 v36, 7, v39 bitop3:0x40
	s_mov_b32 s44, exec_lo
	v_cmpx_gt_u32_e32 8, v58
; %bb.54:                               ;   in Loop: Header=BB202_15 Depth=1
	s_delay_alu instid0(VALU_DEP_2) | instskip(NEXT) | instid1(VALU_DEP_1)
	v_clz_i32_u32_e32 v54, v36
	v_min_u32_e32 v54, 32, v54
	s_delay_alu instid0(VALU_DEP_1) | instskip(SKIP_1) | instid1(VALU_DEP_2)
	v_subrev_nc_u32_e32 v55, 28, v54
	v_sub_nc_u32_e32 v54, 29, v54
	v_lshlrev_b64_e32 v[58:59], v55, v[36:37]
	s_delay_alu instid0(VALU_DEP_1)
	v_and_b32_e32 v36, 7, v58
; %bb.55:                               ;   in Loop: Header=BB202_15 Depth=1
	s_or_b32 exec_lo, exec_lo, s44
	s_delay_alu instid0(VALU_DEP_1) | instskip(SKIP_1) | instid1(VALU_DEP_2)
	v_dual_lshlrev_b32 v55, 24, v39 :: v_dual_lshlrev_b32 v36, 20, v36
	v_lshl_add_u32 v54, v54, 23, 0x3c000000
	v_and_b32_e32 v55, 0x80000000, v55
	s_delay_alu instid0(VALU_DEP_1) | instskip(NEXT) | instid1(VALU_DEP_1)
	v_or3_b32 v36, v36, v55, v54
	v_mov_b64_e32 v[54:55], v[36:37]
.LBB202_56:                             ;   in Loop: Header=BB202_15 Depth=1
	s_or_b32 exec_lo, exec_lo, s43
.LBB202_57:                             ;   in Loop: Header=BB202_15 Depth=1
	s_delay_alu instid0(SALU_CYCLE_1)
	s_or_b32 exec_lo, exec_lo, s42
.LBB202_58:                             ;   in Loop: Header=BB202_15 Depth=1
	s_delay_alu instid0(SALU_CYCLE_1) | instskip(SKIP_2) | instid1(VALU_DEP_1)
	s_or_b32 exec_lo, exec_lo, s41
	v_lshrrev_b16 v36, 8, v39
	s_mov_b32 s41, exec_lo
	v_cmpx_ne_u16_e32 0, v36
	s_cbranch_execz .LBB202_66
; %bb.59:                               ;   in Loop: Header=BB202_15 Depth=1
	v_mov_b64_e32 v[52:53], 0x8000000000000000
	s_mov_b32 s42, exec_lo
	v_cmpx_ne_u16_e32 0x80, v36
	s_cbranch_execz .LBB202_65
; %bb.60:                               ;   in Loop: Header=BB202_15 Depth=1
	v_and_b32_e32 v36, 0xffff, v36
	v_mov_b64_e32 v[52:53], 0x7f80000100000000
	s_mov_b32 s43, exec_lo
	s_delay_alu instid0(VALU_DEP_2) | instskip(NEXT) | instid1(VALU_DEP_1)
	v_and_b32_e32 v58, 0x7f, v36
	v_cmpx_ne_u32_e32 0x7f, v58
	s_cbranch_execz .LBB202_64
; %bb.61:                               ;   in Loop: Header=BB202_15 Depth=1
	v_dual_lshrrev_b32 v52, 3, v58 :: v_dual_bitop2_b32 v36, 7, v36 bitop3:0x40
	s_mov_b32 s44, exec_lo
	v_cmpx_gt_u32_e32 8, v58
; %bb.62:                               ;   in Loop: Header=BB202_15 Depth=1
	s_delay_alu instid0(VALU_DEP_2) | instskip(NEXT) | instid1(VALU_DEP_1)
	v_clz_i32_u32_e32 v52, v36
	v_min_u32_e32 v52, 32, v52
	s_delay_alu instid0(VALU_DEP_1) | instskip(NEXT) | instid1(VALU_DEP_1)
	v_subrev_nc_u32_e32 v53, 28, v52
	v_lshlrev_b64_e32 v[58:59], v53, v[36:37]
	s_delay_alu instid0(VALU_DEP_1)
	v_dual_sub_nc_u32 v52, 29, v52 :: v_dual_bitop2_b32 v36, 7, v58 bitop3:0x40
; %bb.63:                               ;   in Loop: Header=BB202_15 Depth=1
	s_or_b32 exec_lo, exec_lo, s44
	s_delay_alu instid0(VALU_DEP_1) | instskip(NEXT) | instid1(VALU_DEP_2)
	v_dual_lshlrev_b32 v53, 16, v39 :: v_dual_lshlrev_b32 v36, 20, v36
	v_lshl_add_u32 v52, v52, 23, 0x3c000000
	s_delay_alu instid0(VALU_DEP_2) | instskip(NEXT) | instid1(VALU_DEP_1)
	v_and_b32_e32 v53, 0x80000000, v53
	v_or3_b32 v53, v36, v53, v52
	v_mov_b32_e32 v52, v37
.LBB202_64:                             ;   in Loop: Header=BB202_15 Depth=1
	s_or_b32 exec_lo, exec_lo, s43
.LBB202_65:                             ;   in Loop: Header=BB202_15 Depth=1
	s_delay_alu instid0(SALU_CYCLE_1)
	s_or_b32 exec_lo, exec_lo, s42
.LBB202_66:                             ;   in Loop: Header=BB202_15 Depth=1
	s_delay_alu instid0(SALU_CYCLE_1) | instskip(SKIP_4) | instid1(VALU_DEP_3)
	s_or_b32 exec_lo, exec_lo, s41
	v_lshrrev_b32_e32 v62, 16, v39
	v_mov_b64_e32 v[58:59], 0
	v_mov_b64_e32 v[60:61], 0
	s_mov_b32 s41, exec_lo
	v_and_b32_e32 v36, 0xff, v62
	s_delay_alu instid0(VALU_DEP_1)
	v_cmpx_ne_u16_e32 0, v36
	s_cbranch_execz .LBB202_74
; %bb.67:                               ;   in Loop: Header=BB202_15 Depth=1
	v_mov_b64_e32 v[60:61], 0x80000000
	s_mov_b32 s42, exec_lo
	v_cmpx_ne_u16_e32 0x80, v36
	s_cbranch_execz .LBB202_73
; %bb.68:                               ;   in Loop: Header=BB202_15 Depth=1
	v_mov_b64_e32 v[60:61], 0x7f800001
	v_bfe_u32 v63, v39, 16, 7
	s_mov_b32 s43, exec_lo
	s_delay_alu instid0(VALU_DEP_1)
	v_cmpx_ne_u32_e32 0x7f, v63
	s_cbranch_execz .LBB202_72
; %bb.69:                               ;   in Loop: Header=BB202_15 Depth=1
	v_dual_lshrrev_b32 v60, 3, v63 :: v_dual_bitop2_b32 v36, 7, v62 bitop3:0x40
	s_mov_b32 s44, exec_lo
	v_cmpx_gt_u32_e32 8, v63
; %bb.70:                               ;   in Loop: Header=BB202_15 Depth=1
	s_delay_alu instid0(VALU_DEP_2) | instskip(NEXT) | instid1(VALU_DEP_1)
	v_clz_i32_u32_e32 v60, v36
	v_min_u32_e32 v60, 32, v60
	s_delay_alu instid0(VALU_DEP_1) | instskip(SKIP_1) | instid1(VALU_DEP_2)
	v_subrev_nc_u32_e32 v61, 28, v60
	v_sub_nc_u32_e32 v60, 29, v60
	v_lshlrev_b64_e32 v[64:65], v61, v[36:37]
	s_delay_alu instid0(VALU_DEP_1)
	v_and_b32_e32 v36, 7, v64
; %bb.71:                               ;   in Loop: Header=BB202_15 Depth=1
	s_or_b32 exec_lo, exec_lo, s44
	s_delay_alu instid0(VALU_DEP_1) | instskip(SKIP_1) | instid1(VALU_DEP_2)
	v_dual_lshlrev_b32 v61, 24, v62 :: v_dual_lshlrev_b32 v36, 20, v36
	v_lshl_add_u32 v60, v60, 23, 0x3c000000
	v_and_b32_e32 v61, 0x80000000, v61
	s_delay_alu instid0(VALU_DEP_1) | instskip(NEXT) | instid1(VALU_DEP_1)
	v_or3_b32 v36, v36, v61, v60
	v_mov_b64_e32 v[60:61], v[36:37]
.LBB202_72:                             ;   in Loop: Header=BB202_15 Depth=1
	s_or_b32 exec_lo, exec_lo, s43
.LBB202_73:                             ;   in Loop: Header=BB202_15 Depth=1
	s_delay_alu instid0(SALU_CYCLE_1)
	s_or_b32 exec_lo, exec_lo, s42
.LBB202_74:                             ;   in Loop: Header=BB202_15 Depth=1
	s_delay_alu instid0(SALU_CYCLE_1) | instskip(NEXT) | instid1(SALU_CYCLE_1)
	s_or_b32 exec_lo, exec_lo, s41
	s_mov_b32 s41, exec_lo
	v_cmpx_lt_u32_e32 0xffffff, v39
	s_cbranch_execz .LBB202_82
; %bb.75:                               ;   in Loop: Header=BB202_15 Depth=1
	v_mov_b64_e32 v[58:59], 0x8000000000000000
	v_lshrrev_b32_e32 v62, 24, v39
	s_mov_b32 s42, exec_lo
	s_delay_alu instid0(VALU_DEP_1)
	v_cmpx_ne_u32_e32 0x80, v62
	s_cbranch_execz .LBB202_81
; %bb.76:                               ;   in Loop: Header=BB202_15 Depth=1
	v_mov_b64_e32 v[58:59], 0x7f80000100000000
	v_bfe_u32 v63, v39, 24, 7
	s_mov_b32 s43, exec_lo
	s_delay_alu instid0(VALU_DEP_1)
	v_cmpx_ne_u32_e32 0x7f, v63
	s_cbranch_execz .LBB202_80
; %bb.77:                               ;   in Loop: Header=BB202_15 Depth=1
	v_dual_lshrrev_b32 v39, 3, v63 :: v_dual_bitop2_b32 v36, 7, v62 bitop3:0x40
	s_mov_b32 s44, exec_lo
	v_cmpx_gt_u32_e32 8, v63
; %bb.78:                               ;   in Loop: Header=BB202_15 Depth=1
	s_delay_alu instid0(VALU_DEP_2) | instskip(NEXT) | instid1(VALU_DEP_1)
	v_clz_i32_u32_e32 v39, v36
	v_min_u32_e32 v39, 32, v39
	s_delay_alu instid0(VALU_DEP_1) | instskip(NEXT) | instid1(VALU_DEP_1)
	v_subrev_nc_u32_e32 v58, 28, v39
	v_lshlrev_b64_e32 v[58:59], v58, v[36:37]
	s_delay_alu instid0(VALU_DEP_1)
	v_dual_sub_nc_u32 v39, 29, v39 :: v_dual_bitop2_b32 v36, 7, v58 bitop3:0x40
; %bb.79:                               ;   in Loop: Header=BB202_15 Depth=1
	s_or_b32 exec_lo, exec_lo, s44
	s_delay_alu instid0(VALU_DEP_1) | instskip(NEXT) | instid1(VALU_DEP_2)
	v_dual_lshlrev_b32 v58, 24, v62 :: v_dual_lshlrev_b32 v36, 20, v36
	v_lshl_add_u32 v39, v39, 23, 0x3c000000
	s_delay_alu instid0(VALU_DEP_2) | instskip(NEXT) | instid1(VALU_DEP_1)
	v_and_b32_e32 v58, 0x80000000, v58
	v_or3_b32 v59, v36, v58, v39
	v_mov_b32_e32 v58, v37
.LBB202_80:                             ;   in Loop: Header=BB202_15 Depth=1
	s_or_b32 exec_lo, exec_lo, s43
.LBB202_81:                             ;   in Loop: Header=BB202_15 Depth=1
	s_delay_alu instid0(SALU_CYCLE_1)
	s_or_b32 exec_lo, exec_lo, s42
.LBB202_82:                             ;   in Loop: Header=BB202_15 Depth=1
	s_delay_alu instid0(SALU_CYCLE_1)
	s_or_b32 exec_lo, exec_lo, s41
	global_load_b32 v39, v[56:57], off offset:8
	v_mov_b64_e32 v[62:63], 0
	v_mov_b64_e32 v[64:65], 0
	s_mov_b32 s41, exec_lo
	s_wait_loadcnt 0x0
	v_and_b32_e32 v36, 0xff, v39
	s_delay_alu instid0(VALU_DEP_1)
	v_cmpx_ne_u16_e32 0, v36
	s_cbranch_execz .LBB202_90
; %bb.83:                               ;   in Loop: Header=BB202_15 Depth=1
	v_mov_b64_e32 v[64:65], 0x80000000
	s_mov_b32 s42, exec_lo
	v_cmpx_ne_u16_e32 0x80, v36
	s_cbranch_execz .LBB202_89
; %bb.84:                               ;   in Loop: Header=BB202_15 Depth=1
	v_mov_b64_e32 v[64:65], 0x7f800001
	v_and_b32_e32 v66, 0x7f, v39
	s_mov_b32 s43, exec_lo
	s_delay_alu instid0(VALU_DEP_1)
	v_cmpx_ne_u32_e32 0x7f, v66
	s_cbranch_execz .LBB202_88
; %bb.85:                               ;   in Loop: Header=BB202_15 Depth=1
	v_dual_lshrrev_b32 v64, 3, v66 :: v_dual_bitop2_b32 v36, 7, v39 bitop3:0x40
	s_mov_b32 s44, exec_lo
	v_cmpx_gt_u32_e32 8, v66
; %bb.86:                               ;   in Loop: Header=BB202_15 Depth=1
	s_delay_alu instid0(VALU_DEP_2) | instskip(NEXT) | instid1(VALU_DEP_1)
	v_clz_i32_u32_e32 v64, v36
	v_min_u32_e32 v64, 32, v64
	s_delay_alu instid0(VALU_DEP_1) | instskip(NEXT) | instid1(VALU_DEP_1)
	v_subrev_nc_u32_e32 v65, 28, v64
	v_lshlrev_b64_e32 v[66:67], v65, v[36:37]
	s_delay_alu instid0(VALU_DEP_1)
	v_dual_sub_nc_u32 v64, 29, v64 :: v_dual_bitop2_b32 v36, 7, v66 bitop3:0x40
; %bb.87:                               ;   in Loop: Header=BB202_15 Depth=1
	s_or_b32 exec_lo, exec_lo, s44
	s_delay_alu instid0(VALU_DEP_1) | instskip(NEXT) | instid1(VALU_DEP_2)
	v_dual_lshlrev_b32 v65, 24, v39 :: v_dual_lshlrev_b32 v36, 20, v36
	v_lshl_add_u32 v64, v64, 23, 0x3c000000
	s_delay_alu instid0(VALU_DEP_2) | instskip(NEXT) | instid1(VALU_DEP_1)
	v_and_b32_e32 v65, 0x80000000, v65
	v_or3_b32 v36, v36, v65, v64
	s_delay_alu instid0(VALU_DEP_1)
	v_mov_b64_e32 v[64:65], v[36:37]
.LBB202_88:                             ;   in Loop: Header=BB202_15 Depth=1
	s_or_b32 exec_lo, exec_lo, s43
.LBB202_89:                             ;   in Loop: Header=BB202_15 Depth=1
	s_delay_alu instid0(SALU_CYCLE_1)
	s_or_b32 exec_lo, exec_lo, s42
.LBB202_90:                             ;   in Loop: Header=BB202_15 Depth=1
	s_delay_alu instid0(SALU_CYCLE_1) | instskip(SKIP_2) | instid1(VALU_DEP_1)
	s_or_b32 exec_lo, exec_lo, s41
	v_lshrrev_b16 v36, 8, v39
	s_mov_b32 s41, exec_lo
	v_cmpx_ne_u16_e32 0, v36
	s_cbranch_execz .LBB202_98
; %bb.91:                               ;   in Loop: Header=BB202_15 Depth=1
	v_mov_b64_e32 v[62:63], 0x8000000000000000
	s_mov_b32 s42, exec_lo
	v_cmpx_ne_u16_e32 0x80, v36
	s_cbranch_execz .LBB202_97
; %bb.92:                               ;   in Loop: Header=BB202_15 Depth=1
	v_and_b32_e32 v36, 0xffff, v36
	v_mov_b64_e32 v[62:63], 0x7f80000100000000
	s_mov_b32 s43, exec_lo
	s_delay_alu instid0(VALU_DEP_2) | instskip(NEXT) | instid1(VALU_DEP_1)
	v_and_b32_e32 v66, 0x7f, v36
	v_cmpx_ne_u32_e32 0x7f, v66
	s_cbranch_execz .LBB202_96
; %bb.93:                               ;   in Loop: Header=BB202_15 Depth=1
	v_dual_lshrrev_b32 v62, 3, v66 :: v_dual_bitop2_b32 v36, 7, v36 bitop3:0x40
	s_mov_b32 s44, exec_lo
	v_cmpx_gt_u32_e32 8, v66
; %bb.94:                               ;   in Loop: Header=BB202_15 Depth=1
	s_delay_alu instid0(VALU_DEP_2) | instskip(NEXT) | instid1(VALU_DEP_1)
	v_clz_i32_u32_e32 v62, v36
	v_min_u32_e32 v62, 32, v62
	s_delay_alu instid0(VALU_DEP_1) | instskip(SKIP_1) | instid1(VALU_DEP_2)
	v_subrev_nc_u32_e32 v63, 28, v62
	v_sub_nc_u32_e32 v62, 29, v62
	v_lshlrev_b64_e32 v[66:67], v63, v[36:37]
	s_delay_alu instid0(VALU_DEP_1)
	v_and_b32_e32 v36, 7, v66
; %bb.95:                               ;   in Loop: Header=BB202_15 Depth=1
	s_or_b32 exec_lo, exec_lo, s44
	s_delay_alu instid0(VALU_DEP_1) | instskip(SKIP_1) | instid1(VALU_DEP_2)
	v_dual_lshlrev_b32 v63, 16, v39 :: v_dual_lshlrev_b32 v36, 20, v36
	v_lshl_add_u32 v62, v62, 23, 0x3c000000
	v_and_b32_e32 v63, 0x80000000, v63
	s_delay_alu instid0(VALU_DEP_1)
	v_or3_b32 v63, v36, v63, v62
	v_mov_b32_e32 v62, v37
.LBB202_96:                             ;   in Loop: Header=BB202_15 Depth=1
	s_or_b32 exec_lo, exec_lo, s43
.LBB202_97:                             ;   in Loop: Header=BB202_15 Depth=1
	s_delay_alu instid0(SALU_CYCLE_1)
	s_or_b32 exec_lo, exec_lo, s42
.LBB202_98:                             ;   in Loop: Header=BB202_15 Depth=1
	s_delay_alu instid0(SALU_CYCLE_1) | instskip(SKIP_4) | instid1(VALU_DEP_3)
	s_or_b32 exec_lo, exec_lo, s41
	v_lshrrev_b32_e32 v70, 16, v39
	v_mov_b64_e32 v[66:67], 0
	v_mov_b64_e32 v[68:69], 0
	s_mov_b32 s41, exec_lo
	v_and_b32_e32 v36, 0xff, v70
	s_delay_alu instid0(VALU_DEP_1)
	v_cmpx_ne_u16_e32 0, v36
	s_cbranch_execz .LBB202_106
; %bb.99:                               ;   in Loop: Header=BB202_15 Depth=1
	v_mov_b64_e32 v[68:69], 0x80000000
	s_mov_b32 s42, exec_lo
	v_cmpx_ne_u16_e32 0x80, v36
	s_cbranch_execz .LBB202_105
; %bb.100:                              ;   in Loop: Header=BB202_15 Depth=1
	v_mov_b64_e32 v[68:69], 0x7f800001
	v_bfe_u32 v71, v39, 16, 7
	s_mov_b32 s43, exec_lo
	s_delay_alu instid0(VALU_DEP_1)
	v_cmpx_ne_u32_e32 0x7f, v71
	s_cbranch_execz .LBB202_104
; %bb.101:                              ;   in Loop: Header=BB202_15 Depth=1
	v_dual_lshrrev_b32 v68, 3, v71 :: v_dual_bitop2_b32 v36, 7, v70 bitop3:0x40
	s_mov_b32 s44, exec_lo
	v_cmpx_gt_u32_e32 8, v71
; %bb.102:                              ;   in Loop: Header=BB202_15 Depth=1
	s_delay_alu instid0(VALU_DEP_2) | instskip(NEXT) | instid1(VALU_DEP_1)
	v_clz_i32_u32_e32 v68, v36
	v_min_u32_e32 v68, 32, v68
	s_delay_alu instid0(VALU_DEP_1) | instskip(SKIP_1) | instid1(VALU_DEP_2)
	v_subrev_nc_u32_e32 v69, 28, v68
	v_sub_nc_u32_e32 v68, 29, v68
	v_lshlrev_b64_e32 v[72:73], v69, v[36:37]
	s_delay_alu instid0(VALU_DEP_1)
	v_and_b32_e32 v36, 7, v72
; %bb.103:                              ;   in Loop: Header=BB202_15 Depth=1
	s_or_b32 exec_lo, exec_lo, s44
	s_delay_alu instid0(VALU_DEP_1) | instskip(SKIP_1) | instid1(VALU_DEP_2)
	v_dual_lshlrev_b32 v69, 24, v70 :: v_dual_lshlrev_b32 v36, 20, v36
	v_lshl_add_u32 v68, v68, 23, 0x3c000000
	v_and_b32_e32 v69, 0x80000000, v69
	s_delay_alu instid0(VALU_DEP_1) | instskip(NEXT) | instid1(VALU_DEP_1)
	v_or3_b32 v36, v36, v69, v68
	v_mov_b64_e32 v[68:69], v[36:37]
.LBB202_104:                            ;   in Loop: Header=BB202_15 Depth=1
	s_or_b32 exec_lo, exec_lo, s43
.LBB202_105:                            ;   in Loop: Header=BB202_15 Depth=1
	s_delay_alu instid0(SALU_CYCLE_1)
	s_or_b32 exec_lo, exec_lo, s42
.LBB202_106:                            ;   in Loop: Header=BB202_15 Depth=1
	s_delay_alu instid0(SALU_CYCLE_1) | instskip(NEXT) | instid1(SALU_CYCLE_1)
	s_or_b32 exec_lo, exec_lo, s41
	s_mov_b32 s41, exec_lo
	v_cmpx_lt_u32_e32 0xffffff, v39
	s_cbranch_execz .LBB202_114
; %bb.107:                              ;   in Loop: Header=BB202_15 Depth=1
	v_mov_b64_e32 v[66:67], 0x8000000000000000
	v_lshrrev_b32_e32 v70, 24, v39
	s_mov_b32 s42, exec_lo
	s_delay_alu instid0(VALU_DEP_1)
	v_cmpx_ne_u32_e32 0x80, v70
	s_cbranch_execz .LBB202_113
; %bb.108:                              ;   in Loop: Header=BB202_15 Depth=1
	v_mov_b64_e32 v[66:67], 0x7f80000100000000
	v_bfe_u32 v71, v39, 24, 7
	s_mov_b32 s43, exec_lo
	s_delay_alu instid0(VALU_DEP_1)
	v_cmpx_ne_u32_e32 0x7f, v71
	s_cbranch_execz .LBB202_112
; %bb.109:                              ;   in Loop: Header=BB202_15 Depth=1
	v_dual_lshrrev_b32 v39, 3, v71 :: v_dual_bitop2_b32 v36, 7, v70 bitop3:0x40
	s_mov_b32 s44, exec_lo
	v_cmpx_gt_u32_e32 8, v71
; %bb.110:                              ;   in Loop: Header=BB202_15 Depth=1
	s_delay_alu instid0(VALU_DEP_2) | instskip(NEXT) | instid1(VALU_DEP_1)
	v_clz_i32_u32_e32 v39, v36
	v_min_u32_e32 v39, 32, v39
	s_delay_alu instid0(VALU_DEP_1) | instskip(NEXT) | instid1(VALU_DEP_1)
	v_subrev_nc_u32_e32 v66, 28, v39
	v_lshlrev_b64_e32 v[66:67], v66, v[36:37]
	s_delay_alu instid0(VALU_DEP_1)
	v_dual_sub_nc_u32 v39, 29, v39 :: v_dual_bitop2_b32 v36, 7, v66 bitop3:0x40
; %bb.111:                              ;   in Loop: Header=BB202_15 Depth=1
	s_or_b32 exec_lo, exec_lo, s44
	s_delay_alu instid0(VALU_DEP_1) | instskip(NEXT) | instid1(VALU_DEP_2)
	v_dual_lshlrev_b32 v66, 24, v70 :: v_dual_lshlrev_b32 v36, 20, v36
	v_lshl_add_u32 v39, v39, 23, 0x3c000000
	s_delay_alu instid0(VALU_DEP_2) | instskip(NEXT) | instid1(VALU_DEP_1)
	v_and_b32_e32 v66, 0x80000000, v66
	v_or3_b32 v67, v36, v66, v39
	v_mov_b32_e32 v66, v37
.LBB202_112:                            ;   in Loop: Header=BB202_15 Depth=1
	s_or_b32 exec_lo, exec_lo, s43
.LBB202_113:                            ;   in Loop: Header=BB202_15 Depth=1
	s_delay_alu instid0(SALU_CYCLE_1)
	s_or_b32 exec_lo, exec_lo, s42
.LBB202_114:                            ;   in Loop: Header=BB202_15 Depth=1
	s_delay_alu instid0(SALU_CYCLE_1)
	s_or_b32 exec_lo, exec_lo, s41
	global_load_b32 v39, v[56:57], off offset:12
	v_mov_b64_e32 v[70:71], 0
	v_mov_b64_e32 v[72:73], 0
	s_mov_b32 s41, exec_lo
	s_wait_loadcnt 0x0
	v_and_b32_e32 v36, 0xff, v39
	s_delay_alu instid0(VALU_DEP_1)
	v_cmpx_ne_u16_e32 0, v36
	s_cbranch_execz .LBB202_122
; %bb.115:                              ;   in Loop: Header=BB202_15 Depth=1
	v_mov_b64_e32 v[72:73], 0x80000000
	s_mov_b32 s42, exec_lo
	v_cmpx_ne_u16_e32 0x80, v36
	s_cbranch_execz .LBB202_121
; %bb.116:                              ;   in Loop: Header=BB202_15 Depth=1
	v_mov_b64_e32 v[72:73], 0x7f800001
	v_and_b32_e32 v74, 0x7f, v39
	s_mov_b32 s43, exec_lo
	s_delay_alu instid0(VALU_DEP_1)
	v_cmpx_ne_u32_e32 0x7f, v74
	s_cbranch_execz .LBB202_120
; %bb.117:                              ;   in Loop: Header=BB202_15 Depth=1
	v_dual_lshrrev_b32 v72, 3, v74 :: v_dual_bitop2_b32 v36, 7, v39 bitop3:0x40
	s_mov_b32 s44, exec_lo
	v_cmpx_gt_u32_e32 8, v74
; %bb.118:                              ;   in Loop: Header=BB202_15 Depth=1
	s_delay_alu instid0(VALU_DEP_2) | instskip(NEXT) | instid1(VALU_DEP_1)
	v_clz_i32_u32_e32 v72, v36
	v_min_u32_e32 v72, 32, v72
	s_delay_alu instid0(VALU_DEP_1) | instskip(NEXT) | instid1(VALU_DEP_1)
	v_subrev_nc_u32_e32 v73, 28, v72
	v_lshlrev_b64_e32 v[74:75], v73, v[36:37]
	s_delay_alu instid0(VALU_DEP_1)
	v_dual_sub_nc_u32 v72, 29, v72 :: v_dual_bitop2_b32 v36, 7, v74 bitop3:0x40
; %bb.119:                              ;   in Loop: Header=BB202_15 Depth=1
	s_or_b32 exec_lo, exec_lo, s44
	s_delay_alu instid0(VALU_DEP_1) | instskip(NEXT) | instid1(VALU_DEP_2)
	v_dual_lshlrev_b32 v73, 24, v39 :: v_dual_lshlrev_b32 v36, 20, v36
	v_lshl_add_u32 v72, v72, 23, 0x3c000000
	s_delay_alu instid0(VALU_DEP_2) | instskip(NEXT) | instid1(VALU_DEP_1)
	v_and_b32_e32 v73, 0x80000000, v73
	v_or3_b32 v36, v36, v73, v72
	s_delay_alu instid0(VALU_DEP_1)
	v_mov_b64_e32 v[72:73], v[36:37]
.LBB202_120:                            ;   in Loop: Header=BB202_15 Depth=1
	s_or_b32 exec_lo, exec_lo, s43
.LBB202_121:                            ;   in Loop: Header=BB202_15 Depth=1
	s_delay_alu instid0(SALU_CYCLE_1)
	s_or_b32 exec_lo, exec_lo, s42
.LBB202_122:                            ;   in Loop: Header=BB202_15 Depth=1
	s_delay_alu instid0(SALU_CYCLE_1) | instskip(SKIP_2) | instid1(VALU_DEP_1)
	s_or_b32 exec_lo, exec_lo, s41
	v_lshrrev_b16 v36, 8, v39
	s_mov_b32 s41, exec_lo
	v_cmpx_ne_u16_e32 0, v36
	s_cbranch_execz .LBB202_130
; %bb.123:                              ;   in Loop: Header=BB202_15 Depth=1
	v_mov_b64_e32 v[70:71], 0x8000000000000000
	s_mov_b32 s42, exec_lo
	v_cmpx_ne_u16_e32 0x80, v36
	s_cbranch_execz .LBB202_129
; %bb.124:                              ;   in Loop: Header=BB202_15 Depth=1
	v_and_b32_e32 v36, 0xffff, v36
	v_mov_b64_e32 v[70:71], 0x7f80000100000000
	s_mov_b32 s43, exec_lo
	s_delay_alu instid0(VALU_DEP_2) | instskip(NEXT) | instid1(VALU_DEP_1)
	v_and_b32_e32 v74, 0x7f, v36
	v_cmpx_ne_u32_e32 0x7f, v74
	s_cbranch_execz .LBB202_128
; %bb.125:                              ;   in Loop: Header=BB202_15 Depth=1
	v_dual_lshrrev_b32 v70, 3, v74 :: v_dual_bitop2_b32 v36, 7, v36 bitop3:0x40
	s_mov_b32 s44, exec_lo
	v_cmpx_gt_u32_e32 8, v74
; %bb.126:                              ;   in Loop: Header=BB202_15 Depth=1
	s_delay_alu instid0(VALU_DEP_2) | instskip(NEXT) | instid1(VALU_DEP_1)
	v_clz_i32_u32_e32 v70, v36
	v_min_u32_e32 v70, 32, v70
	s_delay_alu instid0(VALU_DEP_1) | instskip(SKIP_1) | instid1(VALU_DEP_2)
	v_subrev_nc_u32_e32 v71, 28, v70
	v_sub_nc_u32_e32 v70, 29, v70
	v_lshlrev_b64_e32 v[74:75], v71, v[36:37]
	s_delay_alu instid0(VALU_DEP_1)
	v_and_b32_e32 v36, 7, v74
; %bb.127:                              ;   in Loop: Header=BB202_15 Depth=1
	s_or_b32 exec_lo, exec_lo, s44
	s_delay_alu instid0(VALU_DEP_1) | instskip(SKIP_1) | instid1(VALU_DEP_2)
	v_dual_lshlrev_b32 v71, 16, v39 :: v_dual_lshlrev_b32 v36, 20, v36
	v_lshl_add_u32 v70, v70, 23, 0x3c000000
	v_and_b32_e32 v71, 0x80000000, v71
	s_delay_alu instid0(VALU_DEP_1)
	v_or3_b32 v71, v36, v71, v70
	v_mov_b32_e32 v70, v37
.LBB202_128:                            ;   in Loop: Header=BB202_15 Depth=1
	s_or_b32 exec_lo, exec_lo, s43
.LBB202_129:                            ;   in Loop: Header=BB202_15 Depth=1
	s_delay_alu instid0(SALU_CYCLE_1)
	s_or_b32 exec_lo, exec_lo, s42
.LBB202_130:                            ;   in Loop: Header=BB202_15 Depth=1
	s_delay_alu instid0(SALU_CYCLE_1) | instskip(SKIP_4) | instid1(VALU_DEP_3)
	s_or_b32 exec_lo, exec_lo, s41
	v_lshrrev_b32_e32 v78, 16, v39
	v_mov_b64_e32 v[74:75], 0
	v_mov_b64_e32 v[76:77], 0
	s_mov_b32 s41, exec_lo
	v_and_b32_e32 v36, 0xff, v78
	s_delay_alu instid0(VALU_DEP_1)
	v_cmpx_ne_u16_e32 0, v36
	s_cbranch_execz .LBB202_138
; %bb.131:                              ;   in Loop: Header=BB202_15 Depth=1
	v_mov_b64_e32 v[76:77], 0x80000000
	s_mov_b32 s42, exec_lo
	v_cmpx_ne_u16_e32 0x80, v36
	s_cbranch_execz .LBB202_137
; %bb.132:                              ;   in Loop: Header=BB202_15 Depth=1
	v_mov_b64_e32 v[76:77], 0x7f800001
	v_bfe_u32 v79, v39, 16, 7
	s_mov_b32 s43, exec_lo
	s_delay_alu instid0(VALU_DEP_1)
	v_cmpx_ne_u32_e32 0x7f, v79
	s_cbranch_execz .LBB202_136
; %bb.133:                              ;   in Loop: Header=BB202_15 Depth=1
	v_dual_lshrrev_b32 v76, 3, v79 :: v_dual_bitop2_b32 v36, 7, v78 bitop3:0x40
	s_mov_b32 s44, exec_lo
	v_cmpx_gt_u32_e32 8, v79
; %bb.134:                              ;   in Loop: Header=BB202_15 Depth=1
	s_delay_alu instid0(VALU_DEP_2) | instskip(NEXT) | instid1(VALU_DEP_1)
	v_clz_i32_u32_e32 v76, v36
	v_min_u32_e32 v76, 32, v76
	s_delay_alu instid0(VALU_DEP_1) | instskip(SKIP_1) | instid1(VALU_DEP_2)
	v_subrev_nc_u32_e32 v77, 28, v76
	v_sub_nc_u32_e32 v76, 29, v76
	v_lshlrev_b64_e32 v[80:81], v77, v[36:37]
	s_delay_alu instid0(VALU_DEP_1)
	v_and_b32_e32 v36, 7, v80
; %bb.135:                              ;   in Loop: Header=BB202_15 Depth=1
	s_or_b32 exec_lo, exec_lo, s44
	s_delay_alu instid0(VALU_DEP_1) | instskip(SKIP_1) | instid1(VALU_DEP_2)
	v_dual_lshlrev_b32 v77, 24, v78 :: v_dual_lshlrev_b32 v36, 20, v36
	v_lshl_add_u32 v76, v76, 23, 0x3c000000
	v_and_b32_e32 v77, 0x80000000, v77
	s_delay_alu instid0(VALU_DEP_1) | instskip(NEXT) | instid1(VALU_DEP_1)
	v_or3_b32 v36, v36, v77, v76
	v_mov_b64_e32 v[76:77], v[36:37]
.LBB202_136:                            ;   in Loop: Header=BB202_15 Depth=1
	s_or_b32 exec_lo, exec_lo, s43
.LBB202_137:                            ;   in Loop: Header=BB202_15 Depth=1
	s_delay_alu instid0(SALU_CYCLE_1)
	s_or_b32 exec_lo, exec_lo, s42
.LBB202_138:                            ;   in Loop: Header=BB202_15 Depth=1
	s_delay_alu instid0(SALU_CYCLE_1) | instskip(NEXT) | instid1(SALU_CYCLE_1)
	s_or_b32 exec_lo, exec_lo, s41
	s_mov_b32 s41, exec_lo
	v_cmpx_lt_u32_e32 0xffffff, v39
	s_cbranch_execz .LBB202_146
; %bb.139:                              ;   in Loop: Header=BB202_15 Depth=1
	v_mov_b64_e32 v[74:75], 0x8000000000000000
	v_lshrrev_b32_e32 v78, 24, v39
	s_mov_b32 s42, exec_lo
	s_delay_alu instid0(VALU_DEP_1)
	v_cmpx_ne_u32_e32 0x80, v78
	s_cbranch_execz .LBB202_145
; %bb.140:                              ;   in Loop: Header=BB202_15 Depth=1
	v_mov_b64_e32 v[74:75], 0x7f80000100000000
	v_bfe_u32 v79, v39, 24, 7
	s_mov_b32 s43, exec_lo
	s_delay_alu instid0(VALU_DEP_1)
	v_cmpx_ne_u32_e32 0x7f, v79
	s_cbranch_execz .LBB202_144
; %bb.141:                              ;   in Loop: Header=BB202_15 Depth=1
	v_dual_lshrrev_b32 v39, 3, v79 :: v_dual_bitop2_b32 v36, 7, v78 bitop3:0x40
	s_mov_b32 s44, exec_lo
	v_cmpx_gt_u32_e32 8, v79
; %bb.142:                              ;   in Loop: Header=BB202_15 Depth=1
	s_delay_alu instid0(VALU_DEP_2) | instskip(NEXT) | instid1(VALU_DEP_1)
	v_clz_i32_u32_e32 v39, v36
	v_min_u32_e32 v39, 32, v39
	s_delay_alu instid0(VALU_DEP_1) | instskip(NEXT) | instid1(VALU_DEP_1)
	v_subrev_nc_u32_e32 v74, 28, v39
	v_lshlrev_b64_e32 v[74:75], v74, v[36:37]
	s_delay_alu instid0(VALU_DEP_1)
	v_dual_sub_nc_u32 v39, 29, v39 :: v_dual_bitop2_b32 v36, 7, v74 bitop3:0x40
; %bb.143:                              ;   in Loop: Header=BB202_15 Depth=1
	s_or_b32 exec_lo, exec_lo, s44
	s_delay_alu instid0(VALU_DEP_1) | instskip(NEXT) | instid1(VALU_DEP_2)
	v_dual_lshlrev_b32 v74, 24, v78 :: v_dual_lshlrev_b32 v36, 20, v36
	v_lshl_add_u32 v39, v39, 23, 0x3c000000
	s_delay_alu instid0(VALU_DEP_2) | instskip(NEXT) | instid1(VALU_DEP_1)
	v_and_b32_e32 v74, 0x80000000, v74
	v_or3_b32 v75, v36, v74, v39
	v_mov_b32_e32 v74, v37
.LBB202_144:                            ;   in Loop: Header=BB202_15 Depth=1
	s_or_b32 exec_lo, exec_lo, s43
.LBB202_145:                            ;   in Loop: Header=BB202_15 Depth=1
	s_delay_alu instid0(SALU_CYCLE_1)
	s_or_b32 exec_lo, exec_lo, s42
.LBB202_146:                            ;   in Loop: Header=BB202_15 Depth=1
	s_delay_alu instid0(SALU_CYCLE_1)
	s_or_b32 exec_lo, exec_lo, s41
	global_load_b32 v39, v[56:57], off offset:512
	v_mov_b64_e32 v[78:79], 0
	v_mov_b64_e32 v[80:81], 0
	s_mov_b32 s41, exec_lo
	s_wait_loadcnt 0x0
	v_and_b32_e32 v36, 0xff, v39
	s_delay_alu instid0(VALU_DEP_1)
	v_cmpx_ne_u16_e32 0, v36
	s_cbranch_execz .LBB202_154
; %bb.147:                              ;   in Loop: Header=BB202_15 Depth=1
	v_mov_b64_e32 v[80:81], 0x80000000
	s_mov_b32 s42, exec_lo
	v_cmpx_ne_u16_e32 0x80, v36
	s_cbranch_execz .LBB202_153
; %bb.148:                              ;   in Loop: Header=BB202_15 Depth=1
	v_mov_b64_e32 v[80:81], 0x7f800001
	v_and_b32_e32 v82, 0x7f, v39
	s_mov_b32 s43, exec_lo
	s_delay_alu instid0(VALU_DEP_1)
	v_cmpx_ne_u32_e32 0x7f, v82
	s_cbranch_execz .LBB202_152
; %bb.149:                              ;   in Loop: Header=BB202_15 Depth=1
	v_dual_lshrrev_b32 v80, 3, v82 :: v_dual_bitop2_b32 v36, 7, v39 bitop3:0x40
	s_mov_b32 s44, exec_lo
	v_cmpx_gt_u32_e32 8, v82
; %bb.150:                              ;   in Loop: Header=BB202_15 Depth=1
	s_delay_alu instid0(VALU_DEP_2) | instskip(NEXT) | instid1(VALU_DEP_1)
	v_clz_i32_u32_e32 v80, v36
	v_min_u32_e32 v80, 32, v80
	s_delay_alu instid0(VALU_DEP_1) | instskip(NEXT) | instid1(VALU_DEP_1)
	v_subrev_nc_u32_e32 v81, 28, v80
	v_lshlrev_b64_e32 v[82:83], v81, v[36:37]
	s_delay_alu instid0(VALU_DEP_1)
	v_dual_sub_nc_u32 v80, 29, v80 :: v_dual_bitop2_b32 v36, 7, v82 bitop3:0x40
; %bb.151:                              ;   in Loop: Header=BB202_15 Depth=1
	s_or_b32 exec_lo, exec_lo, s44
	s_delay_alu instid0(VALU_DEP_1) | instskip(NEXT) | instid1(VALU_DEP_2)
	v_dual_lshlrev_b32 v81, 24, v39 :: v_dual_lshlrev_b32 v36, 20, v36
	v_lshl_add_u32 v80, v80, 23, 0x3c000000
	s_delay_alu instid0(VALU_DEP_2) | instskip(NEXT) | instid1(VALU_DEP_1)
	v_and_b32_e32 v81, 0x80000000, v81
	v_or3_b32 v36, v36, v81, v80
	s_delay_alu instid0(VALU_DEP_1)
	v_mov_b64_e32 v[80:81], v[36:37]
.LBB202_152:                            ;   in Loop: Header=BB202_15 Depth=1
	s_or_b32 exec_lo, exec_lo, s43
.LBB202_153:                            ;   in Loop: Header=BB202_15 Depth=1
	s_delay_alu instid0(SALU_CYCLE_1)
	s_or_b32 exec_lo, exec_lo, s42
.LBB202_154:                            ;   in Loop: Header=BB202_15 Depth=1
	s_delay_alu instid0(SALU_CYCLE_1) | instskip(SKIP_2) | instid1(VALU_DEP_1)
	s_or_b32 exec_lo, exec_lo, s41
	v_lshrrev_b16 v36, 8, v39
	s_mov_b32 s41, exec_lo
	v_cmpx_ne_u16_e32 0, v36
	s_cbranch_execz .LBB202_162
; %bb.155:                              ;   in Loop: Header=BB202_15 Depth=1
	v_mov_b64_e32 v[78:79], 0x8000000000000000
	s_mov_b32 s42, exec_lo
	v_cmpx_ne_u16_e32 0x80, v36
	s_cbranch_execz .LBB202_161
; %bb.156:                              ;   in Loop: Header=BB202_15 Depth=1
	v_and_b32_e32 v36, 0xffff, v36
	v_mov_b64_e32 v[78:79], 0x7f80000100000000
	s_mov_b32 s43, exec_lo
	s_delay_alu instid0(VALU_DEP_2) | instskip(NEXT) | instid1(VALU_DEP_1)
	v_and_b32_e32 v82, 0x7f, v36
	v_cmpx_ne_u32_e32 0x7f, v82
	s_cbranch_execz .LBB202_160
; %bb.157:                              ;   in Loop: Header=BB202_15 Depth=1
	v_dual_lshrrev_b32 v78, 3, v82 :: v_dual_bitop2_b32 v36, 7, v36 bitop3:0x40
	s_mov_b32 s44, exec_lo
	v_cmpx_gt_u32_e32 8, v82
; %bb.158:                              ;   in Loop: Header=BB202_15 Depth=1
	s_delay_alu instid0(VALU_DEP_2) | instskip(NEXT) | instid1(VALU_DEP_1)
	v_clz_i32_u32_e32 v78, v36
	v_min_u32_e32 v78, 32, v78
	s_delay_alu instid0(VALU_DEP_1) | instskip(SKIP_1) | instid1(VALU_DEP_2)
	v_subrev_nc_u32_e32 v79, 28, v78
	v_sub_nc_u32_e32 v78, 29, v78
	v_lshlrev_b64_e32 v[82:83], v79, v[36:37]
	s_delay_alu instid0(VALU_DEP_1)
	v_and_b32_e32 v36, 7, v82
; %bb.159:                              ;   in Loop: Header=BB202_15 Depth=1
	s_or_b32 exec_lo, exec_lo, s44
	s_delay_alu instid0(VALU_DEP_1) | instskip(SKIP_1) | instid1(VALU_DEP_2)
	v_dual_lshlrev_b32 v79, 16, v39 :: v_dual_lshlrev_b32 v36, 20, v36
	v_lshl_add_u32 v78, v78, 23, 0x3c000000
	v_and_b32_e32 v79, 0x80000000, v79
	s_delay_alu instid0(VALU_DEP_1)
	v_or3_b32 v79, v36, v79, v78
	v_mov_b32_e32 v78, v37
.LBB202_160:                            ;   in Loop: Header=BB202_15 Depth=1
	s_or_b32 exec_lo, exec_lo, s43
.LBB202_161:                            ;   in Loop: Header=BB202_15 Depth=1
	s_delay_alu instid0(SALU_CYCLE_1)
	s_or_b32 exec_lo, exec_lo, s42
.LBB202_162:                            ;   in Loop: Header=BB202_15 Depth=1
	s_delay_alu instid0(SALU_CYCLE_1) | instskip(SKIP_4) | instid1(VALU_DEP_3)
	s_or_b32 exec_lo, exec_lo, s41
	v_lshrrev_b32_e32 v86, 16, v39
	v_mov_b64_e32 v[82:83], 0
	v_mov_b64_e32 v[84:85], 0
	s_mov_b32 s41, exec_lo
	v_and_b32_e32 v36, 0xff, v86
	s_delay_alu instid0(VALU_DEP_1)
	v_cmpx_ne_u16_e32 0, v36
	s_cbranch_execz .LBB202_170
; %bb.163:                              ;   in Loop: Header=BB202_15 Depth=1
	v_mov_b64_e32 v[84:85], 0x80000000
	s_mov_b32 s42, exec_lo
	v_cmpx_ne_u16_e32 0x80, v36
	s_cbranch_execz .LBB202_169
; %bb.164:                              ;   in Loop: Header=BB202_15 Depth=1
	v_mov_b64_e32 v[84:85], 0x7f800001
	v_bfe_u32 v87, v39, 16, 7
	s_mov_b32 s43, exec_lo
	s_delay_alu instid0(VALU_DEP_1)
	v_cmpx_ne_u32_e32 0x7f, v87
	s_cbranch_execz .LBB202_168
; %bb.165:                              ;   in Loop: Header=BB202_15 Depth=1
	v_dual_lshrrev_b32 v84, 3, v87 :: v_dual_bitop2_b32 v36, 7, v86 bitop3:0x40
	s_mov_b32 s44, exec_lo
	v_cmpx_gt_u32_e32 8, v87
; %bb.166:                              ;   in Loop: Header=BB202_15 Depth=1
	s_delay_alu instid0(VALU_DEP_2) | instskip(NEXT) | instid1(VALU_DEP_1)
	v_clz_i32_u32_e32 v84, v36
	v_min_u32_e32 v84, 32, v84
	s_delay_alu instid0(VALU_DEP_1) | instskip(SKIP_1) | instid1(VALU_DEP_2)
	v_subrev_nc_u32_e32 v85, 28, v84
	v_sub_nc_u32_e32 v84, 29, v84
	v_lshlrev_b64_e32 v[88:89], v85, v[36:37]
	s_delay_alu instid0(VALU_DEP_1)
	v_and_b32_e32 v36, 7, v88
; %bb.167:                              ;   in Loop: Header=BB202_15 Depth=1
	s_or_b32 exec_lo, exec_lo, s44
	s_delay_alu instid0(VALU_DEP_1) | instskip(SKIP_1) | instid1(VALU_DEP_2)
	v_dual_lshlrev_b32 v85, 24, v86 :: v_dual_lshlrev_b32 v36, 20, v36
	v_lshl_add_u32 v84, v84, 23, 0x3c000000
	v_and_b32_e32 v85, 0x80000000, v85
	s_delay_alu instid0(VALU_DEP_1) | instskip(NEXT) | instid1(VALU_DEP_1)
	v_or3_b32 v36, v36, v85, v84
	v_mov_b64_e32 v[84:85], v[36:37]
.LBB202_168:                            ;   in Loop: Header=BB202_15 Depth=1
	s_or_b32 exec_lo, exec_lo, s43
.LBB202_169:                            ;   in Loop: Header=BB202_15 Depth=1
	s_delay_alu instid0(SALU_CYCLE_1)
	s_or_b32 exec_lo, exec_lo, s42
.LBB202_170:                            ;   in Loop: Header=BB202_15 Depth=1
	s_delay_alu instid0(SALU_CYCLE_1) | instskip(NEXT) | instid1(SALU_CYCLE_1)
	s_or_b32 exec_lo, exec_lo, s41
	s_mov_b32 s41, exec_lo
	v_cmpx_lt_u32_e32 0xffffff, v39
	s_cbranch_execz .LBB202_178
; %bb.171:                              ;   in Loop: Header=BB202_15 Depth=1
	v_mov_b64_e32 v[82:83], 0x8000000000000000
	v_lshrrev_b32_e32 v86, 24, v39
	s_mov_b32 s42, exec_lo
	s_delay_alu instid0(VALU_DEP_1)
	v_cmpx_ne_u32_e32 0x80, v86
	s_cbranch_execz .LBB202_177
; %bb.172:                              ;   in Loop: Header=BB202_15 Depth=1
	v_mov_b64_e32 v[82:83], 0x7f80000100000000
	v_bfe_u32 v87, v39, 24, 7
	s_mov_b32 s43, exec_lo
	s_delay_alu instid0(VALU_DEP_1)
	v_cmpx_ne_u32_e32 0x7f, v87
	s_cbranch_execz .LBB202_176
; %bb.173:                              ;   in Loop: Header=BB202_15 Depth=1
	v_dual_lshrrev_b32 v39, 3, v87 :: v_dual_bitop2_b32 v36, 7, v86 bitop3:0x40
	s_mov_b32 s44, exec_lo
	v_cmpx_gt_u32_e32 8, v87
; %bb.174:                              ;   in Loop: Header=BB202_15 Depth=1
	s_delay_alu instid0(VALU_DEP_2) | instskip(NEXT) | instid1(VALU_DEP_1)
	v_clz_i32_u32_e32 v39, v36
	v_min_u32_e32 v39, 32, v39
	s_delay_alu instid0(VALU_DEP_1) | instskip(NEXT) | instid1(VALU_DEP_1)
	v_subrev_nc_u32_e32 v82, 28, v39
	v_lshlrev_b64_e32 v[82:83], v82, v[36:37]
	s_delay_alu instid0(VALU_DEP_1)
	v_dual_sub_nc_u32 v39, 29, v39 :: v_dual_bitop2_b32 v36, 7, v82 bitop3:0x40
; %bb.175:                              ;   in Loop: Header=BB202_15 Depth=1
	s_or_b32 exec_lo, exec_lo, s44
	s_delay_alu instid0(VALU_DEP_1) | instskip(NEXT) | instid1(VALU_DEP_2)
	v_dual_lshlrev_b32 v82, 24, v86 :: v_dual_lshlrev_b32 v36, 20, v36
	v_lshl_add_u32 v39, v39, 23, 0x3c000000
	s_delay_alu instid0(VALU_DEP_2) | instskip(NEXT) | instid1(VALU_DEP_1)
	v_and_b32_e32 v82, 0x80000000, v82
	v_or3_b32 v83, v36, v82, v39
	v_mov_b32_e32 v82, v37
.LBB202_176:                            ;   in Loop: Header=BB202_15 Depth=1
	s_or_b32 exec_lo, exec_lo, s43
.LBB202_177:                            ;   in Loop: Header=BB202_15 Depth=1
	s_delay_alu instid0(SALU_CYCLE_1)
	s_or_b32 exec_lo, exec_lo, s42
.LBB202_178:                            ;   in Loop: Header=BB202_15 Depth=1
	s_delay_alu instid0(SALU_CYCLE_1)
	s_or_b32 exec_lo, exec_lo, s41
	global_load_b32 v39, v[56:57], off offset:516
	v_mov_b64_e32 v[86:87], 0
	v_mov_b64_e32 v[88:89], 0
	s_mov_b32 s41, exec_lo
	s_wait_loadcnt 0x0
	v_and_b32_e32 v36, 0xff, v39
	s_delay_alu instid0(VALU_DEP_1)
	v_cmpx_ne_u16_e32 0, v36
	s_cbranch_execz .LBB202_186
; %bb.179:                              ;   in Loop: Header=BB202_15 Depth=1
	v_mov_b64_e32 v[88:89], 0x80000000
	s_mov_b32 s42, exec_lo
	v_cmpx_ne_u16_e32 0x80, v36
	s_cbranch_execz .LBB202_185
; %bb.180:                              ;   in Loop: Header=BB202_15 Depth=1
	v_mov_b64_e32 v[88:89], 0x7f800001
	v_and_b32_e32 v90, 0x7f, v39
	s_mov_b32 s43, exec_lo
	s_delay_alu instid0(VALU_DEP_1)
	v_cmpx_ne_u32_e32 0x7f, v90
	s_cbranch_execz .LBB202_184
; %bb.181:                              ;   in Loop: Header=BB202_15 Depth=1
	v_dual_lshrrev_b32 v88, 3, v90 :: v_dual_bitop2_b32 v36, 7, v39 bitop3:0x40
	s_mov_b32 s44, exec_lo
	v_cmpx_gt_u32_e32 8, v90
; %bb.182:                              ;   in Loop: Header=BB202_15 Depth=1
	s_delay_alu instid0(VALU_DEP_2) | instskip(NEXT) | instid1(VALU_DEP_1)
	v_clz_i32_u32_e32 v88, v36
	v_min_u32_e32 v88, 32, v88
	s_delay_alu instid0(VALU_DEP_1) | instskip(NEXT) | instid1(VALU_DEP_1)
	v_subrev_nc_u32_e32 v89, 28, v88
	v_lshlrev_b64_e32 v[90:91], v89, v[36:37]
	s_delay_alu instid0(VALU_DEP_1)
	v_dual_sub_nc_u32 v88, 29, v88 :: v_dual_bitop2_b32 v36, 7, v90 bitop3:0x40
; %bb.183:                              ;   in Loop: Header=BB202_15 Depth=1
	s_or_b32 exec_lo, exec_lo, s44
	s_delay_alu instid0(VALU_DEP_1) | instskip(NEXT) | instid1(VALU_DEP_2)
	v_dual_lshlrev_b32 v89, 24, v39 :: v_dual_lshlrev_b32 v36, 20, v36
	v_lshl_add_u32 v88, v88, 23, 0x3c000000
	s_delay_alu instid0(VALU_DEP_2) | instskip(NEXT) | instid1(VALU_DEP_1)
	v_and_b32_e32 v89, 0x80000000, v89
	v_or3_b32 v36, v36, v89, v88
	s_delay_alu instid0(VALU_DEP_1)
	v_mov_b64_e32 v[88:89], v[36:37]
.LBB202_184:                            ;   in Loop: Header=BB202_15 Depth=1
	s_or_b32 exec_lo, exec_lo, s43
.LBB202_185:                            ;   in Loop: Header=BB202_15 Depth=1
	s_delay_alu instid0(SALU_CYCLE_1)
	s_or_b32 exec_lo, exec_lo, s42
.LBB202_186:                            ;   in Loop: Header=BB202_15 Depth=1
	s_delay_alu instid0(SALU_CYCLE_1) | instskip(SKIP_2) | instid1(VALU_DEP_1)
	s_or_b32 exec_lo, exec_lo, s41
	v_lshrrev_b16 v36, 8, v39
	s_mov_b32 s41, exec_lo
	v_cmpx_ne_u16_e32 0, v36
	s_cbranch_execz .LBB202_194
; %bb.187:                              ;   in Loop: Header=BB202_15 Depth=1
	v_mov_b64_e32 v[86:87], 0x8000000000000000
	s_mov_b32 s42, exec_lo
	v_cmpx_ne_u16_e32 0x80, v36
	s_cbranch_execz .LBB202_193
; %bb.188:                              ;   in Loop: Header=BB202_15 Depth=1
	v_and_b32_e32 v36, 0xffff, v36
	v_mov_b64_e32 v[86:87], 0x7f80000100000000
	s_mov_b32 s43, exec_lo
	s_delay_alu instid0(VALU_DEP_2) | instskip(NEXT) | instid1(VALU_DEP_1)
	v_and_b32_e32 v90, 0x7f, v36
	v_cmpx_ne_u32_e32 0x7f, v90
	s_cbranch_execz .LBB202_192
; %bb.189:                              ;   in Loop: Header=BB202_15 Depth=1
	v_dual_lshrrev_b32 v86, 3, v90 :: v_dual_bitop2_b32 v36, 7, v36 bitop3:0x40
	s_mov_b32 s44, exec_lo
	v_cmpx_gt_u32_e32 8, v90
; %bb.190:                              ;   in Loop: Header=BB202_15 Depth=1
	s_delay_alu instid0(VALU_DEP_2) | instskip(NEXT) | instid1(VALU_DEP_1)
	v_clz_i32_u32_e32 v86, v36
	v_min_u32_e32 v86, 32, v86
	s_delay_alu instid0(VALU_DEP_1) | instskip(SKIP_1) | instid1(VALU_DEP_2)
	v_subrev_nc_u32_e32 v87, 28, v86
	v_sub_nc_u32_e32 v86, 29, v86
	v_lshlrev_b64_e32 v[90:91], v87, v[36:37]
	s_delay_alu instid0(VALU_DEP_1)
	v_and_b32_e32 v36, 7, v90
; %bb.191:                              ;   in Loop: Header=BB202_15 Depth=1
	s_or_b32 exec_lo, exec_lo, s44
	s_delay_alu instid0(VALU_DEP_1) | instskip(SKIP_1) | instid1(VALU_DEP_2)
	v_dual_lshlrev_b32 v87, 16, v39 :: v_dual_lshlrev_b32 v36, 20, v36
	v_lshl_add_u32 v86, v86, 23, 0x3c000000
	v_and_b32_e32 v87, 0x80000000, v87
	s_delay_alu instid0(VALU_DEP_1)
	v_or3_b32 v87, v36, v87, v86
	v_mov_b32_e32 v86, v37
.LBB202_192:                            ;   in Loop: Header=BB202_15 Depth=1
	s_or_b32 exec_lo, exec_lo, s43
.LBB202_193:                            ;   in Loop: Header=BB202_15 Depth=1
	s_delay_alu instid0(SALU_CYCLE_1)
	s_or_b32 exec_lo, exec_lo, s42
.LBB202_194:                            ;   in Loop: Header=BB202_15 Depth=1
	s_delay_alu instid0(SALU_CYCLE_1) | instskip(SKIP_4) | instid1(VALU_DEP_3)
	s_or_b32 exec_lo, exec_lo, s41
	v_lshrrev_b32_e32 v94, 16, v39
	v_mov_b64_e32 v[90:91], 0
	v_mov_b64_e32 v[92:93], 0
	s_mov_b32 s41, exec_lo
	v_and_b32_e32 v36, 0xff, v94
	s_delay_alu instid0(VALU_DEP_1)
	v_cmpx_ne_u16_e32 0, v36
	s_cbranch_execz .LBB202_202
; %bb.195:                              ;   in Loop: Header=BB202_15 Depth=1
	v_mov_b64_e32 v[92:93], 0x80000000
	s_mov_b32 s42, exec_lo
	v_cmpx_ne_u16_e32 0x80, v36
	s_cbranch_execz .LBB202_201
; %bb.196:                              ;   in Loop: Header=BB202_15 Depth=1
	v_mov_b64_e32 v[92:93], 0x7f800001
	v_bfe_u32 v95, v39, 16, 7
	s_mov_b32 s43, exec_lo
	s_delay_alu instid0(VALU_DEP_1)
	v_cmpx_ne_u32_e32 0x7f, v95
	s_cbranch_execz .LBB202_200
; %bb.197:                              ;   in Loop: Header=BB202_15 Depth=1
	v_dual_lshrrev_b32 v92, 3, v95 :: v_dual_bitop2_b32 v36, 7, v94 bitop3:0x40
	s_mov_b32 s44, exec_lo
	v_cmpx_gt_u32_e32 8, v95
; %bb.198:                              ;   in Loop: Header=BB202_15 Depth=1
	s_delay_alu instid0(VALU_DEP_2) | instskip(NEXT) | instid1(VALU_DEP_1)
	v_clz_i32_u32_e32 v92, v36
	v_min_u32_e32 v92, 32, v92
	s_delay_alu instid0(VALU_DEP_1) | instskip(SKIP_1) | instid1(VALU_DEP_2)
	v_subrev_nc_u32_e32 v93, 28, v92
	v_sub_nc_u32_e32 v92, 29, v92
	v_lshlrev_b64_e32 v[96:97], v93, v[36:37]
	s_delay_alu instid0(VALU_DEP_1)
	v_and_b32_e32 v36, 7, v96
; %bb.199:                              ;   in Loop: Header=BB202_15 Depth=1
	s_or_b32 exec_lo, exec_lo, s44
	s_delay_alu instid0(VALU_DEP_1) | instskip(SKIP_1) | instid1(VALU_DEP_2)
	v_dual_lshlrev_b32 v93, 24, v94 :: v_dual_lshlrev_b32 v36, 20, v36
	v_lshl_add_u32 v92, v92, 23, 0x3c000000
	v_and_b32_e32 v93, 0x80000000, v93
	s_delay_alu instid0(VALU_DEP_1) | instskip(NEXT) | instid1(VALU_DEP_1)
	v_or3_b32 v36, v36, v93, v92
	v_mov_b64_e32 v[92:93], v[36:37]
.LBB202_200:                            ;   in Loop: Header=BB202_15 Depth=1
	s_or_b32 exec_lo, exec_lo, s43
.LBB202_201:                            ;   in Loop: Header=BB202_15 Depth=1
	s_delay_alu instid0(SALU_CYCLE_1)
	s_or_b32 exec_lo, exec_lo, s42
.LBB202_202:                            ;   in Loop: Header=BB202_15 Depth=1
	s_delay_alu instid0(SALU_CYCLE_1) | instskip(NEXT) | instid1(SALU_CYCLE_1)
	s_or_b32 exec_lo, exec_lo, s41
	s_mov_b32 s41, exec_lo
	v_cmpx_lt_u32_e32 0xffffff, v39
	s_cbranch_execz .LBB202_210
; %bb.203:                              ;   in Loop: Header=BB202_15 Depth=1
	v_mov_b64_e32 v[90:91], 0x8000000000000000
	v_lshrrev_b32_e32 v94, 24, v39
	s_mov_b32 s42, exec_lo
	s_delay_alu instid0(VALU_DEP_1)
	v_cmpx_ne_u32_e32 0x80, v94
	s_cbranch_execz .LBB202_209
; %bb.204:                              ;   in Loop: Header=BB202_15 Depth=1
	v_mov_b64_e32 v[90:91], 0x7f80000100000000
	v_bfe_u32 v95, v39, 24, 7
	s_mov_b32 s43, exec_lo
	s_delay_alu instid0(VALU_DEP_1)
	v_cmpx_ne_u32_e32 0x7f, v95
	s_cbranch_execz .LBB202_208
; %bb.205:                              ;   in Loop: Header=BB202_15 Depth=1
	v_dual_lshrrev_b32 v39, 3, v95 :: v_dual_bitop2_b32 v36, 7, v94 bitop3:0x40
	s_mov_b32 s44, exec_lo
	v_cmpx_gt_u32_e32 8, v95
; %bb.206:                              ;   in Loop: Header=BB202_15 Depth=1
	s_delay_alu instid0(VALU_DEP_2) | instskip(NEXT) | instid1(VALU_DEP_1)
	v_clz_i32_u32_e32 v39, v36
	v_min_u32_e32 v39, 32, v39
	s_delay_alu instid0(VALU_DEP_1) | instskip(NEXT) | instid1(VALU_DEP_1)
	v_subrev_nc_u32_e32 v90, 28, v39
	v_lshlrev_b64_e32 v[90:91], v90, v[36:37]
	s_delay_alu instid0(VALU_DEP_1)
	v_dual_sub_nc_u32 v39, 29, v39 :: v_dual_bitop2_b32 v36, 7, v90 bitop3:0x40
; %bb.207:                              ;   in Loop: Header=BB202_15 Depth=1
	s_or_b32 exec_lo, exec_lo, s44
	s_delay_alu instid0(VALU_DEP_1) | instskip(NEXT) | instid1(VALU_DEP_2)
	v_dual_lshlrev_b32 v90, 24, v94 :: v_dual_lshlrev_b32 v36, 20, v36
	v_lshl_add_u32 v39, v39, 23, 0x3c000000
	s_delay_alu instid0(VALU_DEP_2) | instskip(NEXT) | instid1(VALU_DEP_1)
	v_and_b32_e32 v90, 0x80000000, v90
	v_or3_b32 v91, v36, v90, v39
	v_mov_b32_e32 v90, v37
.LBB202_208:                            ;   in Loop: Header=BB202_15 Depth=1
	s_or_b32 exec_lo, exec_lo, s43
.LBB202_209:                            ;   in Loop: Header=BB202_15 Depth=1
	s_delay_alu instid0(SALU_CYCLE_1)
	s_or_b32 exec_lo, exec_lo, s42
.LBB202_210:                            ;   in Loop: Header=BB202_15 Depth=1
	s_delay_alu instid0(SALU_CYCLE_1)
	s_or_b32 exec_lo, exec_lo, s41
	global_load_b32 v39, v[56:57], off offset:520
	v_mov_b64_e32 v[94:95], 0
	v_mov_b64_e32 v[96:97], 0
	s_mov_b32 s41, exec_lo
	s_wait_loadcnt 0x0
	v_and_b32_e32 v36, 0xff, v39
	s_delay_alu instid0(VALU_DEP_1)
	v_cmpx_ne_u16_e32 0, v36
	s_cbranch_execz .LBB202_218
; %bb.211:                              ;   in Loop: Header=BB202_15 Depth=1
	v_mov_b64_e32 v[96:97], 0x80000000
	s_mov_b32 s42, exec_lo
	v_cmpx_ne_u16_e32 0x80, v36
	s_cbranch_execz .LBB202_217
; %bb.212:                              ;   in Loop: Header=BB202_15 Depth=1
	v_mov_b64_e32 v[96:97], 0x7f800001
	v_and_b32_e32 v98, 0x7f, v39
	s_mov_b32 s43, exec_lo
	s_delay_alu instid0(VALU_DEP_1)
	v_cmpx_ne_u32_e32 0x7f, v98
	s_cbranch_execz .LBB202_216
; %bb.213:                              ;   in Loop: Header=BB202_15 Depth=1
	v_dual_lshrrev_b32 v96, 3, v98 :: v_dual_bitop2_b32 v36, 7, v39 bitop3:0x40
	s_mov_b32 s44, exec_lo
	v_cmpx_gt_u32_e32 8, v98
; %bb.214:                              ;   in Loop: Header=BB202_15 Depth=1
	s_delay_alu instid0(VALU_DEP_2) | instskip(NEXT) | instid1(VALU_DEP_1)
	v_clz_i32_u32_e32 v96, v36
	v_min_u32_e32 v96, 32, v96
	s_delay_alu instid0(VALU_DEP_1) | instskip(NEXT) | instid1(VALU_DEP_1)
	v_subrev_nc_u32_e32 v97, 28, v96
	v_lshlrev_b64_e32 v[98:99], v97, v[36:37]
	s_delay_alu instid0(VALU_DEP_1)
	v_dual_sub_nc_u32 v96, 29, v96 :: v_dual_bitop2_b32 v36, 7, v98 bitop3:0x40
; %bb.215:                              ;   in Loop: Header=BB202_15 Depth=1
	s_or_b32 exec_lo, exec_lo, s44
	s_delay_alu instid0(VALU_DEP_1) | instskip(NEXT) | instid1(VALU_DEP_2)
	v_dual_lshlrev_b32 v97, 24, v39 :: v_dual_lshlrev_b32 v36, 20, v36
	v_lshl_add_u32 v96, v96, 23, 0x3c000000
	s_delay_alu instid0(VALU_DEP_2) | instskip(NEXT) | instid1(VALU_DEP_1)
	v_and_b32_e32 v97, 0x80000000, v97
	v_or3_b32 v36, v36, v97, v96
	s_delay_alu instid0(VALU_DEP_1)
	v_mov_b64_e32 v[96:97], v[36:37]
.LBB202_216:                            ;   in Loop: Header=BB202_15 Depth=1
	s_or_b32 exec_lo, exec_lo, s43
.LBB202_217:                            ;   in Loop: Header=BB202_15 Depth=1
	s_delay_alu instid0(SALU_CYCLE_1)
	s_or_b32 exec_lo, exec_lo, s42
.LBB202_218:                            ;   in Loop: Header=BB202_15 Depth=1
	s_delay_alu instid0(SALU_CYCLE_1) | instskip(SKIP_2) | instid1(VALU_DEP_1)
	s_or_b32 exec_lo, exec_lo, s41
	v_lshrrev_b16 v36, 8, v39
	s_mov_b32 s41, exec_lo
	v_cmpx_ne_u16_e32 0, v36
	s_cbranch_execz .LBB202_226
; %bb.219:                              ;   in Loop: Header=BB202_15 Depth=1
	v_mov_b64_e32 v[94:95], 0x8000000000000000
	s_mov_b32 s42, exec_lo
	v_cmpx_ne_u16_e32 0x80, v36
	s_cbranch_execz .LBB202_225
; %bb.220:                              ;   in Loop: Header=BB202_15 Depth=1
	v_and_b32_e32 v36, 0xffff, v36
	v_mov_b64_e32 v[94:95], 0x7f80000100000000
	s_mov_b32 s43, exec_lo
	s_delay_alu instid0(VALU_DEP_2) | instskip(NEXT) | instid1(VALU_DEP_1)
	v_and_b32_e32 v98, 0x7f, v36
	v_cmpx_ne_u32_e32 0x7f, v98
	s_cbranch_execz .LBB202_224
; %bb.221:                              ;   in Loop: Header=BB202_15 Depth=1
	v_dual_lshrrev_b32 v94, 3, v98 :: v_dual_bitop2_b32 v36, 7, v36 bitop3:0x40
	s_mov_b32 s44, exec_lo
	v_cmpx_gt_u32_e32 8, v98
; %bb.222:                              ;   in Loop: Header=BB202_15 Depth=1
	s_delay_alu instid0(VALU_DEP_2) | instskip(NEXT) | instid1(VALU_DEP_1)
	v_clz_i32_u32_e32 v94, v36
	v_min_u32_e32 v94, 32, v94
	s_delay_alu instid0(VALU_DEP_1) | instskip(SKIP_1) | instid1(VALU_DEP_2)
	v_subrev_nc_u32_e32 v95, 28, v94
	v_sub_nc_u32_e32 v94, 29, v94
	v_lshlrev_b64_e32 v[98:99], v95, v[36:37]
	s_delay_alu instid0(VALU_DEP_1)
	v_and_b32_e32 v36, 7, v98
; %bb.223:                              ;   in Loop: Header=BB202_15 Depth=1
	s_or_b32 exec_lo, exec_lo, s44
	s_delay_alu instid0(VALU_DEP_1) | instskip(SKIP_1) | instid1(VALU_DEP_2)
	v_dual_lshlrev_b32 v95, 16, v39 :: v_dual_lshlrev_b32 v36, 20, v36
	v_lshl_add_u32 v94, v94, 23, 0x3c000000
	v_and_b32_e32 v95, 0x80000000, v95
	s_delay_alu instid0(VALU_DEP_1)
	v_or3_b32 v95, v36, v95, v94
	v_mov_b32_e32 v94, v37
.LBB202_224:                            ;   in Loop: Header=BB202_15 Depth=1
	s_or_b32 exec_lo, exec_lo, s43
.LBB202_225:                            ;   in Loop: Header=BB202_15 Depth=1
	s_delay_alu instid0(SALU_CYCLE_1)
	s_or_b32 exec_lo, exec_lo, s42
.LBB202_226:                            ;   in Loop: Header=BB202_15 Depth=1
	s_delay_alu instid0(SALU_CYCLE_1) | instskip(SKIP_4) | instid1(VALU_DEP_3)
	s_or_b32 exec_lo, exec_lo, s41
	v_lshrrev_b32_e32 v102, 16, v39
	v_mov_b64_e32 v[98:99], 0
	v_mov_b64_e32 v[100:101], 0
	s_mov_b32 s41, exec_lo
	v_and_b32_e32 v36, 0xff, v102
	s_delay_alu instid0(VALU_DEP_1)
	v_cmpx_ne_u16_e32 0, v36
	s_cbranch_execz .LBB202_234
; %bb.227:                              ;   in Loop: Header=BB202_15 Depth=1
	v_mov_b64_e32 v[100:101], 0x80000000
	s_mov_b32 s42, exec_lo
	v_cmpx_ne_u16_e32 0x80, v36
	s_cbranch_execz .LBB202_233
; %bb.228:                              ;   in Loop: Header=BB202_15 Depth=1
	v_mov_b64_e32 v[100:101], 0x7f800001
	v_bfe_u32 v103, v39, 16, 7
	s_mov_b32 s43, exec_lo
	s_delay_alu instid0(VALU_DEP_1)
	v_cmpx_ne_u32_e32 0x7f, v103
	s_cbranch_execz .LBB202_232
; %bb.229:                              ;   in Loop: Header=BB202_15 Depth=1
	v_dual_lshrrev_b32 v100, 3, v103 :: v_dual_bitop2_b32 v36, 7, v102 bitop3:0x40
	s_mov_b32 s44, exec_lo
	v_cmpx_gt_u32_e32 8, v103
; %bb.230:                              ;   in Loop: Header=BB202_15 Depth=1
	s_delay_alu instid0(VALU_DEP_2) | instskip(NEXT) | instid1(VALU_DEP_1)
	v_clz_i32_u32_e32 v100, v36
	v_min_u32_e32 v100, 32, v100
	s_delay_alu instid0(VALU_DEP_1) | instskip(SKIP_1) | instid1(VALU_DEP_2)
	v_subrev_nc_u32_e32 v101, 28, v100
	v_sub_nc_u32_e32 v100, 29, v100
	v_lshlrev_b64_e32 v[104:105], v101, v[36:37]
	s_delay_alu instid0(VALU_DEP_1)
	v_and_b32_e32 v36, 7, v104
; %bb.231:                              ;   in Loop: Header=BB202_15 Depth=1
	s_or_b32 exec_lo, exec_lo, s44
	s_delay_alu instid0(VALU_DEP_1) | instskip(SKIP_1) | instid1(VALU_DEP_2)
	v_dual_lshlrev_b32 v101, 24, v102 :: v_dual_lshlrev_b32 v36, 20, v36
	v_lshl_add_u32 v100, v100, 23, 0x3c000000
	v_and_b32_e32 v101, 0x80000000, v101
	s_delay_alu instid0(VALU_DEP_1) | instskip(NEXT) | instid1(VALU_DEP_1)
	v_or3_b32 v36, v36, v101, v100
	v_mov_b64_e32 v[100:101], v[36:37]
.LBB202_232:                            ;   in Loop: Header=BB202_15 Depth=1
	s_or_b32 exec_lo, exec_lo, s43
.LBB202_233:                            ;   in Loop: Header=BB202_15 Depth=1
	s_delay_alu instid0(SALU_CYCLE_1)
	s_or_b32 exec_lo, exec_lo, s42
.LBB202_234:                            ;   in Loop: Header=BB202_15 Depth=1
	s_delay_alu instid0(SALU_CYCLE_1) | instskip(NEXT) | instid1(SALU_CYCLE_1)
	s_or_b32 exec_lo, exec_lo, s41
	s_mov_b32 s41, exec_lo
	v_cmpx_lt_u32_e32 0xffffff, v39
	s_cbranch_execz .LBB202_242
; %bb.235:                              ;   in Loop: Header=BB202_15 Depth=1
	v_mov_b64_e32 v[98:99], 0x8000000000000000
	v_lshrrev_b32_e32 v102, 24, v39
	s_mov_b32 s42, exec_lo
	s_delay_alu instid0(VALU_DEP_1)
	v_cmpx_ne_u32_e32 0x80, v102
	s_cbranch_execz .LBB202_241
; %bb.236:                              ;   in Loop: Header=BB202_15 Depth=1
	v_mov_b64_e32 v[98:99], 0x7f80000100000000
	v_bfe_u32 v103, v39, 24, 7
	s_mov_b32 s43, exec_lo
	s_delay_alu instid0(VALU_DEP_1)
	v_cmpx_ne_u32_e32 0x7f, v103
	s_cbranch_execz .LBB202_240
; %bb.237:                              ;   in Loop: Header=BB202_15 Depth=1
	v_dual_lshrrev_b32 v39, 3, v103 :: v_dual_bitop2_b32 v36, 7, v102 bitop3:0x40
	s_mov_b32 s44, exec_lo
	v_cmpx_gt_u32_e32 8, v103
; %bb.238:                              ;   in Loop: Header=BB202_15 Depth=1
	s_delay_alu instid0(VALU_DEP_2) | instskip(NEXT) | instid1(VALU_DEP_1)
	v_clz_i32_u32_e32 v39, v36
	v_min_u32_e32 v39, 32, v39
	s_delay_alu instid0(VALU_DEP_1) | instskip(NEXT) | instid1(VALU_DEP_1)
	v_subrev_nc_u32_e32 v98, 28, v39
	v_lshlrev_b64_e32 v[98:99], v98, v[36:37]
	s_delay_alu instid0(VALU_DEP_1)
	v_dual_sub_nc_u32 v39, 29, v39 :: v_dual_bitop2_b32 v36, 7, v98 bitop3:0x40
; %bb.239:                              ;   in Loop: Header=BB202_15 Depth=1
	s_or_b32 exec_lo, exec_lo, s44
	s_delay_alu instid0(VALU_DEP_1) | instskip(NEXT) | instid1(VALU_DEP_2)
	v_dual_lshlrev_b32 v98, 24, v102 :: v_dual_lshlrev_b32 v36, 20, v36
	v_lshl_add_u32 v39, v39, 23, 0x3c000000
	s_delay_alu instid0(VALU_DEP_2) | instskip(NEXT) | instid1(VALU_DEP_1)
	v_and_b32_e32 v98, 0x80000000, v98
	v_or3_b32 v99, v36, v98, v39
	v_mov_b32_e32 v98, v37
.LBB202_240:                            ;   in Loop: Header=BB202_15 Depth=1
	s_or_b32 exec_lo, exec_lo, s43
.LBB202_241:                            ;   in Loop: Header=BB202_15 Depth=1
	s_delay_alu instid0(SALU_CYCLE_1)
	s_or_b32 exec_lo, exec_lo, s42
.LBB202_242:                            ;   in Loop: Header=BB202_15 Depth=1
	s_delay_alu instid0(SALU_CYCLE_1)
	s_or_b32 exec_lo, exec_lo, s41
	global_load_b32 v39, v[56:57], off offset:524
	s_wait_xcnt 0x0
	v_mov_b64_e32 v[56:57], 0
	v_mov_b64_e32 v[102:103], 0
	s_mov_b32 s41, exec_lo
	s_wait_loadcnt 0x0
	v_and_b32_e32 v36, 0xff, v39
	s_delay_alu instid0(VALU_DEP_1)
	v_cmpx_ne_u16_e32 0, v36
	s_cbranch_execz .LBB202_250
; %bb.243:                              ;   in Loop: Header=BB202_15 Depth=1
	v_mov_b64_e32 v[102:103], 0x80000000
	s_mov_b32 s42, exec_lo
	v_cmpx_ne_u16_e32 0x80, v36
	s_cbranch_execz .LBB202_249
; %bb.244:                              ;   in Loop: Header=BB202_15 Depth=1
	v_mov_b64_e32 v[102:103], 0x7f800001
	v_and_b32_e32 v104, 0x7f, v39
	s_mov_b32 s43, exec_lo
	s_delay_alu instid0(VALU_DEP_1)
	v_cmpx_ne_u32_e32 0x7f, v104
	s_cbranch_execz .LBB202_248
; %bb.245:                              ;   in Loop: Header=BB202_15 Depth=1
	v_dual_lshrrev_b32 v102, 3, v104 :: v_dual_bitop2_b32 v36, 7, v39 bitop3:0x40
	s_mov_b32 s44, exec_lo
	v_cmpx_gt_u32_e32 8, v104
; %bb.246:                              ;   in Loop: Header=BB202_15 Depth=1
	s_delay_alu instid0(VALU_DEP_2) | instskip(NEXT) | instid1(VALU_DEP_1)
	v_clz_i32_u32_e32 v102, v36
	v_min_u32_e32 v102, 32, v102
	s_delay_alu instid0(VALU_DEP_1) | instskip(NEXT) | instid1(VALU_DEP_1)
	v_subrev_nc_u32_e32 v103, 28, v102
	v_lshlrev_b64_e32 v[104:105], v103, v[36:37]
	s_delay_alu instid0(VALU_DEP_1)
	v_dual_sub_nc_u32 v102, 29, v102 :: v_dual_bitop2_b32 v36, 7, v104 bitop3:0x40
; %bb.247:                              ;   in Loop: Header=BB202_15 Depth=1
	s_or_b32 exec_lo, exec_lo, s44
	s_delay_alu instid0(VALU_DEP_1) | instskip(NEXT) | instid1(VALU_DEP_2)
	v_dual_lshlrev_b32 v103, 24, v39 :: v_dual_lshlrev_b32 v36, 20, v36
	v_lshl_add_u32 v102, v102, 23, 0x3c000000
	s_delay_alu instid0(VALU_DEP_2) | instskip(NEXT) | instid1(VALU_DEP_1)
	v_and_b32_e32 v103, 0x80000000, v103
	v_or3_b32 v36, v36, v103, v102
	s_delay_alu instid0(VALU_DEP_1)
	v_mov_b64_e32 v[102:103], v[36:37]
.LBB202_248:                            ;   in Loop: Header=BB202_15 Depth=1
	s_or_b32 exec_lo, exec_lo, s43
.LBB202_249:                            ;   in Loop: Header=BB202_15 Depth=1
	s_delay_alu instid0(SALU_CYCLE_1)
	s_or_b32 exec_lo, exec_lo, s42
.LBB202_250:                            ;   in Loop: Header=BB202_15 Depth=1
	s_delay_alu instid0(SALU_CYCLE_1) | instskip(SKIP_2) | instid1(VALU_DEP_1)
	s_or_b32 exec_lo, exec_lo, s41
	v_lshrrev_b16 v36, 8, v39
	s_mov_b32 s41, exec_lo
	v_cmpx_ne_u16_e32 0, v36
	s_cbranch_execz .LBB202_258
; %bb.251:                              ;   in Loop: Header=BB202_15 Depth=1
	v_mov_b64_e32 v[56:57], 0x8000000000000000
	s_mov_b32 s42, exec_lo
	v_cmpx_ne_u16_e32 0x80, v36
	s_cbranch_execz .LBB202_257
; %bb.252:                              ;   in Loop: Header=BB202_15 Depth=1
	v_and_b32_e32 v36, 0xffff, v36
	v_mov_b64_e32 v[56:57], 0x7f80000100000000
	s_mov_b32 s43, exec_lo
	s_delay_alu instid0(VALU_DEP_2) | instskip(NEXT) | instid1(VALU_DEP_1)
	v_and_b32_e32 v104, 0x7f, v36
	v_cmpx_ne_u32_e32 0x7f, v104
	s_cbranch_execz .LBB202_256
; %bb.253:                              ;   in Loop: Header=BB202_15 Depth=1
	v_and_b32_e32 v36, 7, v36
	v_lshrrev_b32_e32 v56, 3, v104
	s_mov_b32 s44, exec_lo
	v_cmpx_gt_u32_e32 8, v104
; %bb.254:                              ;   in Loop: Header=BB202_15 Depth=1
	s_delay_alu instid0(VALU_DEP_3) | instskip(NEXT) | instid1(VALU_DEP_1)
	v_clz_i32_u32_e32 v56, v36
	v_min_u32_e32 v56, 32, v56
	s_delay_alu instid0(VALU_DEP_1) | instskip(SKIP_1) | instid1(VALU_DEP_2)
	v_subrev_nc_u32_e32 v57, 28, v56
	v_sub_nc_u32_e32 v56, 29, v56
	v_lshlrev_b64_e32 v[104:105], v57, v[36:37]
	s_delay_alu instid0(VALU_DEP_1)
	v_and_b32_e32 v36, 7, v104
; %bb.255:                              ;   in Loop: Header=BB202_15 Depth=1
	s_or_b32 exec_lo, exec_lo, s44
	s_delay_alu instid0(VALU_DEP_1) | instskip(SKIP_1) | instid1(VALU_DEP_2)
	v_dual_lshlrev_b32 v57, 16, v39 :: v_dual_lshlrev_b32 v36, 20, v36
	v_lshl_add_u32 v56, v56, 23, 0x3c000000
	v_and_b32_e32 v57, 0x80000000, v57
	s_delay_alu instid0(VALU_DEP_1)
	v_or3_b32 v57, v36, v57, v56
	v_mov_b32_e32 v56, v37
.LBB202_256:                            ;   in Loop: Header=BB202_15 Depth=1
	s_or_b32 exec_lo, exec_lo, s43
.LBB202_257:                            ;   in Loop: Header=BB202_15 Depth=1
	s_delay_alu instid0(SALU_CYCLE_1)
	s_or_b32 exec_lo, exec_lo, s42
.LBB202_258:                            ;   in Loop: Header=BB202_15 Depth=1
	s_delay_alu instid0(SALU_CYCLE_1) | instskip(SKIP_4) | instid1(VALU_DEP_3)
	s_or_b32 exec_lo, exec_lo, s41
	v_lshrrev_b32_e32 v115, 16, v39
	v_mov_b64_e32 v[104:105], 0
	v_mov_b64_e32 v[106:107], 0
	s_mov_b32 s41, exec_lo
	v_and_b32_e32 v36, 0xff, v115
	s_delay_alu instid0(VALU_DEP_1)
	v_cmpx_ne_u16_e32 0, v36
	s_cbranch_execz .LBB202_266
; %bb.259:                              ;   in Loop: Header=BB202_15 Depth=1
	v_mov_b64_e32 v[106:107], 0x80000000
	s_mov_b32 s42, exec_lo
	v_cmpx_ne_u16_e32 0x80, v36
	s_cbranch_execz .LBB202_265
; %bb.260:                              ;   in Loop: Header=BB202_15 Depth=1
	v_mov_b64_e32 v[106:107], 0x7f800001
	v_bfe_u32 v116, v39, 16, 7
	s_mov_b32 s43, exec_lo
	s_delay_alu instid0(VALU_DEP_1)
	v_cmpx_ne_u32_e32 0x7f, v116
	s_cbranch_execz .LBB202_264
; %bb.261:                              ;   in Loop: Header=BB202_15 Depth=1
	v_dual_lshrrev_b32 v106, 3, v116 :: v_dual_bitop2_b32 v36, 7, v115 bitop3:0x40
	s_mov_b32 s44, exec_lo
	v_cmpx_gt_u32_e32 8, v116
; %bb.262:                              ;   in Loop: Header=BB202_15 Depth=1
	s_delay_alu instid0(VALU_DEP_2) | instskip(NEXT) | instid1(VALU_DEP_1)
	v_clz_i32_u32_e32 v106, v36
	v_min_u32_e32 v106, 32, v106
	s_delay_alu instid0(VALU_DEP_1) | instskip(NEXT) | instid1(VALU_DEP_1)
	v_subrev_nc_u32_e32 v107, 28, v106
	v_lshlrev_b64_e32 v[116:117], v107, v[36:37]
	s_delay_alu instid0(VALU_DEP_1)
	v_dual_sub_nc_u32 v106, 29, v106 :: v_dual_bitop2_b32 v36, 7, v116 bitop3:0x40
; %bb.263:                              ;   in Loop: Header=BB202_15 Depth=1
	s_or_b32 exec_lo, exec_lo, s44
	s_delay_alu instid0(VALU_DEP_1) | instskip(NEXT) | instid1(VALU_DEP_2)
	v_dual_lshlrev_b32 v107, 24, v115 :: v_dual_lshlrev_b32 v36, 20, v36
	v_lshl_add_u32 v106, v106, 23, 0x3c000000
	s_delay_alu instid0(VALU_DEP_2) | instskip(NEXT) | instid1(VALU_DEP_1)
	v_and_b32_e32 v107, 0x80000000, v107
	v_or3_b32 v36, v36, v107, v106
	s_delay_alu instid0(VALU_DEP_1)
	v_mov_b64_e32 v[106:107], v[36:37]
.LBB202_264:                            ;   in Loop: Header=BB202_15 Depth=1
	s_or_b32 exec_lo, exec_lo, s43
.LBB202_265:                            ;   in Loop: Header=BB202_15 Depth=1
	s_delay_alu instid0(SALU_CYCLE_1)
	s_or_b32 exec_lo, exec_lo, s42
.LBB202_266:                            ;   in Loop: Header=BB202_15 Depth=1
	s_delay_alu instid0(SALU_CYCLE_1) | instskip(NEXT) | instid1(SALU_CYCLE_1)
	s_or_b32 exec_lo, exec_lo, s41
	s_mov_b32 s41, exec_lo
	v_cmpx_lt_u32_e32 0xffffff, v39
	s_cbranch_execz .LBB202_13
; %bb.267:                              ;   in Loop: Header=BB202_15 Depth=1
	v_mov_b64_e32 v[104:105], 0x8000000000000000
	v_lshrrev_b32_e32 v115, 24, v39
	s_mov_b32 s42, exec_lo
	s_delay_alu instid0(VALU_DEP_1)
	v_cmpx_ne_u32_e32 0x80, v115
	s_cbranch_execz .LBB202_12
; %bb.268:                              ;   in Loop: Header=BB202_15 Depth=1
	v_mov_b64_e32 v[104:105], 0x7f80000100000000
	v_bfe_u32 v116, v39, 24, 7
	s_mov_b32 s43, exec_lo
	s_delay_alu instid0(VALU_DEP_1)
	v_cmpx_ne_u32_e32 0x7f, v116
	s_cbranch_execz .LBB202_11
; %bb.269:                              ;   in Loop: Header=BB202_15 Depth=1
	v_dual_lshrrev_b32 v39, 3, v116 :: v_dual_bitop2_b32 v36, 7, v115 bitop3:0x40
	s_mov_b32 s44, exec_lo
	v_cmpx_gt_u32_e32 8, v116
	s_cbranch_execz .LBB202_10
; %bb.270:                              ;   in Loop: Header=BB202_15 Depth=1
	s_delay_alu instid0(VALU_DEP_2) | instskip(NEXT) | instid1(VALU_DEP_1)
	v_clz_i32_u32_e32 v39, v36
	v_min_u32_e32 v39, 32, v39
	s_delay_alu instid0(VALU_DEP_1) | instskip(NEXT) | instid1(VALU_DEP_1)
	v_subrev_nc_u32_e32 v104, 28, v39
	v_lshlrev_b64_e32 v[104:105], v104, v[36:37]
	s_delay_alu instid0(VALU_DEP_1)
	v_dual_sub_nc_u32 v39, 29, v39 :: v_dual_bitop2_b32 v36, 7, v104 bitop3:0x40
	s_branch .LBB202_10
.LBB202_271:
	s_or_b32 exec_lo, exec_lo, s15
.LBB202_272:
	s_delay_alu instid0(SALU_CYCLE_1)
	s_or_b32 exec_lo, exec_lo, s24
	s_wait_dscnt 0x7
	v_mbcnt_lo_u32_b32 v4, -1, 0
	s_clause 0x1
	s_load_b64 s[8:9], s[0:1], 0x0
	s_load_b64 s[24:25], s[0:1], 0x18
	s_wait_dscnt 0x6
	v_dual_max_num_f32 v6, v110, v110 :: v_dual_bitop2_b32 v2, 16, v4 bitop3:0x14
	v_xor_b32_e32 v5, 8, v4
	s_delay_alu instid0(VALU_DEP_2) | instskip(SKIP_1) | instid1(VALU_DEP_3)
	v_cmp_gt_i32_e32 vcc_lo, 32, v2
	v_cndmask_b32_e32 v2, v4, v2, vcc_lo
	v_cmp_gt_i32_e32 vcc_lo, 32, v5
	s_delay_alu instid0(VALU_DEP_2) | instskip(SKIP_3) | instid1(VALU_DEP_1)
	v_dual_cndmask_b32 v5, v4, v5 :: v_dual_lshlrev_b32 v2, 2, v2
	ds_bpermute_b32 v3, v2, v110
	s_wait_dscnt 0x0
	v_dual_max_num_f32 v7, v3, v3 :: v_dual_lshlrev_b32 v3, 2, v5
	v_dual_max_num_f32 v5, v6, v7 :: v_dual_bitop2_b32 v7, 4, v4 bitop3:0x14
	ds_bpermute_b32 v6, v3, v5
	v_cmp_gt_i32_e32 vcc_lo, 32, v7
	s_wait_dscnt 0x0
	v_dual_cndmask_b32 v7, v4, v7 :: v_dual_max_num_f32 v6, v6, v6
	s_delay_alu instid0(VALU_DEP_1) | instskip(SKIP_3) | instid1(VALU_DEP_1)
	v_dual_max_num_f32 v5, v5, v6 :: v_dual_lshlrev_b32 v60, 2, v7
	ds_bpermute_b32 v6, v60, v5
	s_wait_dscnt 0x0
	v_dual_max_num_f32 v6, v6, v6 :: v_dual_bitop2_b32 v7, 2, v4 bitop3:0x14
	v_cmp_gt_i32_e32 vcc_lo, 32, v7
	s_delay_alu instid0(VALU_DEP_2) | instskip(NEXT) | instid1(VALU_DEP_1)
	v_dual_max_num_f32 v5, v5, v6 :: v_dual_cndmask_b32 v7, v4, v7, vcc_lo
	v_dual_lshlrev_b32 v59, 2, v7 :: v_dual_bitop2_b32 v7, 1, v4 bitop3:0x14
	ds_bpermute_b32 v6, v59, v5
	v_cmp_gt_i32_e32 vcc_lo, 32, v7
	v_cndmask_b32_e32 v4, v4, v7, vcc_lo
	v_cmp_eq_u32_e32 vcc_lo, 0, v108
	s_delay_alu instid0(VALU_DEP_2) | instskip(SKIP_2) | instid1(VALU_DEP_1)
	v_dual_lshlrev_b32 v58, 2, v4 :: v_dual_lshlrev_b32 v4, 2, v1
	s_wait_dscnt 0x0
	v_max_num_f32_e32 v6, v6, v6
	v_max_num_f32_e32 v5, v5, v6
	ds_bpermute_b32 v6, v58, v5
	s_wait_xcnt 0x0
	s_and_saveexec_b32 s0, vcc_lo
	s_cbranch_execz .LBB202_274
; %bb.273:
	s_wait_dscnt 0x0
	v_dual_max_num_f32 v6, v6, v6 :: v_dual_max_num_f32 v5, v5, v5
	s_delay_alu instid0(VALU_DEP_1)
	v_max_num_f32_e32 v5, v5, v6
	ds_store_b32 v4, v5 offset:128
.LBB202_274:
	s_or_b32 exec_lo, exec_lo, s0
	v_cmp_gt_u32_e64 s0, 4, v108
	v_mov_b32_e32 v5, 0xff7fffff
	s_wait_dscnt 0x0
	s_barrier_signal -1
	s_barrier_wait -1
	s_and_saveexec_b32 s1, s0
; %bb.275:
	ds_load_b32 v5, v109 offset:128
; %bb.276:
	s_or_b32 exec_lo, exec_lo, s1
	s_wait_dscnt 0x0
	ds_bpermute_b32 v6, v59, v5
	v_max_num_f32_e32 v5, v5, v5
	s_lshl_b32 s1, s34, 5
	s_delay_alu instid0(SALU_CYCLE_1) | instskip(NEXT) | instid1(SALU_CYCLE_1)
	s_min_i32 s4, s1, s31
	v_cmp_gt_i32_e64 s1, s4, v0
	s_wait_dscnt 0x0
	v_max_num_f32_e32 v6, v6, v6
	s_delay_alu instid0(VALU_DEP_1) | instskip(SKIP_3) | instid1(VALU_DEP_1)
	v_max_num_f32_e32 v5, v5, v6
	ds_bpermute_b32 v6, v58, v5
	s_wait_dscnt 0x0
	v_max_num_f32_e32 v6, v6, v6
	v_dual_max_num_f32 v6, v5, v6 :: v_dual_mov_b32 v5, 0
	ds_bpermute_b32 v6, v5, v6
	s_and_saveexec_b32 s15, s1
	s_cbranch_execz .LBB202_280
; %bb.277:
	v_lshl_add_u32 v7, v0, 2, 0xa0
	v_dual_mov_b32 v5, 0 :: v_dual_mov_b32 v8, v0
	s_mov_b32 s26, 0
.LBB202_278:                            ; =>This Inner Loop Header: Depth=1
	ds_load_b32 v9, v7
	v_add_nc_u32_e32 v8, 0x80, v8
	s_delay_alu instid0(VALU_DEP_1) | instskip(SKIP_3) | instid1(VALU_DEP_1)
	v_cmp_le_i32_e64 s3, s4, v8
	s_or_b32 s26, s3, s26
	s_wait_dscnt 0x0
	v_sub_f32_e32 v9, v9, v6
	v_mul_f32_e32 v9, 0x3fb8aa3b, v9
	s_delay_alu instid0(VALU_DEP_1)
	v_exp_f32_e32 v9, v9
	ds_store_b32 v7, v9
	v_nop
	v_add_f32_e32 v5, v5, v9
	v_add_nc_u32_e32 v7, 0x200, v7
	s_and_not1_b32 exec_lo, exec_lo, s26
	s_cbranch_execnz .LBB202_278
; %bb.279:
	s_or_b32 exec_lo, exec_lo, s26
.LBB202_280:
	s_delay_alu instid0(SALU_CYCLE_1)
	s_or_b32 exec_lo, exec_lo, s15
	ds_bpermute_b32 v2, v2, v5
	s_wait_dscnt 0x0
	v_add_f32_e32 v2, v5, v2
	ds_bpermute_b32 v3, v3, v2
	s_wait_dscnt 0x0
	v_add_f32_e32 v2, v2, v3
	;; [unrolled: 3-line block ×5, first 2 shown]
	s_and_saveexec_b32 s3, vcc_lo
; %bb.281:
	ds_store_b32 v4, v2 offset:144
; %bb.282:
	s_or_b32 exec_lo, exec_lo, s3
	s_wait_dscnt 0x0
	s_barrier_signal -1
	s_barrier_wait -1
	s_and_saveexec_b32 s3, s0
; %bb.283:
	ds_load_b32 v2, v109 offset:144
; %bb.284:
	s_or_b32 exec_lo, exec_lo, s3
	s_wait_dscnt 0x0
	ds_bpermute_b32 v3, v59, v2
	s_wait_dscnt 0x0
	v_dual_mov_b32 v7, 0 :: v_dual_add_f32 v2, v2, v3
	ds_bpermute_b32 v3, v58, v2
	s_wait_dscnt 0x0
	v_add_f32_e32 v2, v2, v3
	ds_bpermute_b32 v2, v7, v2
	s_and_saveexec_b32 s0, s1
	s_cbranch_execz .LBB202_297
; %bb.285:
	s_wait_dscnt 0x0
	v_add_f32_e32 v2, 0x358637bd, v2
	s_mov_b32 s3, -1
	s_mov_b32 s1, exec_lo
	s_delay_alu instid0(VALU_DEP_1) | instskip(NEXT) | instid1(VALU_DEP_1)
	v_div_scale_f32 v3, null, v2, v2, 1.0
	v_rcp_f32_e32 v5, v3
	v_nop
	s_delay_alu instid0(TRANS32_DEP_1) | instskip(NEXT) | instid1(VALU_DEP_1)
	v_fma_f32 v4, -v3, v5, 1.0
	v_fmac_f32_e32 v5, v4, v5
	v_div_scale_f32 v6, vcc_lo, 1.0, v2, 1.0
	s_delay_alu instid0(VALU_DEP_1) | instskip(NEXT) | instid1(VALU_DEP_1)
	v_mul_f32_e32 v8, v6, v5
	v_fma_f32 v4, -v3, v8, v6
	s_delay_alu instid0(VALU_DEP_1) | instskip(SKIP_1) | instid1(VALU_DEP_2)
	v_fmac_f32_e32 v8, v4, v5
	v_xad_u32 v4, v0, -1, s4
	v_fma_f32 v3, -v3, v8, v6
	s_delay_alu instid0(VALU_DEP_1) | instskip(NEXT) | instid1(VALU_DEP_1)
	v_div_fmas_f32 v3, v3, v5, v8
	v_div_fixup_f32 v2, v3, v2, 1.0
	v_mov_b32_e32 v3, v0
	v_cmpx_lt_u32_e32 0x7f, v4
	s_cbranch_execz .LBB202_294
; %bb.286:
	s_delay_alu instid0(VALU_DEP_3) | instskip(NEXT) | instid1(VALU_DEP_1)
	v_dual_mov_b32 v3, v2 :: v_dual_lshrrev_b32 v4, 7, v4
	v_dual_mov_b32 v9, 0 :: v_dual_add_nc_u32 v5, -1, v4
	s_delay_alu instid0(VALU_DEP_1) | instskip(SKIP_1) | instid1(VALU_DEP_2)
	v_lshrrev_b32_e32 v6, 1, v5
	v_cmp_lt_u32_e32 vcc_lo, 13, v5
	v_add_nc_u32_e32 v5, 1, v6
	s_and_saveexec_b32 s3, vcc_lo
	s_cbranch_execz .LBB202_290
; %bb.287:
	s_delay_alu instid0(VALU_DEP_1)
	v_and_b32_e32 v6, -8, v5
	v_lshl_add_u32 v8, v0, 2, 0xa0
	s_mov_b32 s15, 0
	s_mov_b32 s26, 0
.LBB202_288:                            ; =>This Inner Loop Header: Depth=1
	ds_load_2addr_stride64_b32 v[10:11], v8 offset1:2
	ds_load_2addr_stride64_b32 v[12:13], v8 offset0:4 offset1:6
	ds_load_2addr_stride64_b32 v[14:15], v8 offset0:8 offset1:10
	;; [unrolled: 1-line block ×7, first 2 shown]
	s_add_co_i32 s26, s26, 16
	s_delay_alu instid0(SALU_CYCLE_1) | instskip(NEXT) | instid1(VALU_DEP_1)
	v_dual_mov_b32 v9, s26 :: v_dual_add_nc_u32 v6, -8, v6
	v_cmp_eq_u32_e32 vcc_lo, 0, v6
	s_or_b32 s15, vcc_lo, s15
	s_wait_dscnt 0x7
	v_pk_mul_f32 v[10:11], v[2:3], v[10:11]
	s_wait_dscnt 0x6
	v_pk_mul_f32 v[12:13], v[2:3], v[12:13]
	;; [unrolled: 2-line block ×8, first 2 shown]
	ds_store_2addr_stride64_b32 v8, v10, v11 offset1:2
	ds_store_2addr_stride64_b32 v8, v12, v13 offset0:4 offset1:6
	ds_store_2addr_stride64_b32 v8, v14, v15 offset0:8 offset1:10
	;; [unrolled: 1-line block ×7, first 2 shown]
	v_add_nc_u32_e32 v8, 0x2000, v8
	s_and_not1_b32 exec_lo, exec_lo, s15
	s_cbranch_execnz .LBB202_288
; %bb.289:
	s_or_b32 exec_lo, exec_lo, s15
.LBB202_290:
	s_delay_alu instid0(SALU_CYCLE_1) | instskip(NEXT) | instid1(VALU_DEP_1)
	s_or_b32 exec_lo, exec_lo, s3
	v_and_b32_e32 v5, 7, v5
	s_mov_b32 s15, 0
	s_mov_b32 s3, exec_lo
	s_delay_alu instid0(VALU_DEP_1)
	v_cmpx_ne_u32_e32 0, v5
	s_cbranch_execz .LBB202_293
; %bb.291:
	v_dual_lshlrev_b32 v6, 9, v9 :: v_dual_lshlrev_b32 v8, 2, v0
	s_delay_alu instid0(VALU_DEP_1)
	v_add3_u32 v6, v6, v8, 0xa0
.LBB202_292:                            ; =>This Inner Loop Header: Depth=1
	ds_load_2addr_stride64_b32 v[8:9], v6 offset1:2
	v_add_nc_u32_e32 v5, -1, v5
	s_delay_alu instid0(VALU_DEP_1)
	v_cmp_eq_u32_e32 vcc_lo, 0, v5
	s_or_b32 s15, vcc_lo, s15
	s_wait_dscnt 0x0
	v_pk_mul_f32 v[8:9], v[2:3], v[8:9]
	ds_store_2addr_stride64_b32 v6, v8, v9 offset1:2
	v_add_nc_u32_e32 v6, 0x400, v6
	s_and_not1_b32 exec_lo, exec_lo, s15
	s_cbranch_execnz .LBB202_292
.LBB202_293:
	s_or_b32 exec_lo, exec_lo, s3
	v_add_nc_u32_e32 v3, 1, v4
	s_delay_alu instid0(VALU_DEP_1) | instskip(NEXT) | instid1(VALU_DEP_1)
	v_and_b32_e32 v4, 0x3fffffe, v3
	v_cmp_ne_u32_e32 vcc_lo, v3, v4
	v_lshl_add_u32 v3, v4, 7, v0
	s_or_not1_b32 s3, vcc_lo, exec_lo
.LBB202_294:
	s_or_b32 exec_lo, exec_lo, s1
	s_delay_alu instid0(SALU_CYCLE_1)
	s_and_b32 exec_lo, exec_lo, s3
	s_cbranch_execz .LBB202_297
; %bb.295:
	v_lshl_add_u32 v4, v3, 2, 0xa0
	s_mov_b32 s1, 0
.LBB202_296:                            ; =>This Inner Loop Header: Depth=1
	ds_load_b32 v5, v4
	v_add_nc_u32_e32 v3, 0x80, v3
	s_delay_alu instid0(VALU_DEP_1)
	v_cmp_le_i32_e32 vcc_lo, s4, v3
	s_or_b32 s1, vcc_lo, s1
	s_wait_dscnt 0x0
	v_mul_f32_e32 v5, v2, v5
	ds_store_b32 v4, v5
	v_add_nc_u32_e32 v4, 0x200, v4
	s_and_not1_b32 exec_lo, exec_lo, s1
	s_cbranch_execnz .LBB202_296
.LBB202_297:
	s_or_b32 exec_lo, exec_lo, s0
	v_dual_mov_b32 v6, 0 :: v_dual_bitop2_b32 v61, 7, v0 bitop3:0x40
	v_dual_mov_b32 v11, 0 :: v_dual_mov_b32 v10, 0
	v_dual_mov_b32 v13, 0 :: v_dual_mov_b32 v12, 0
	v_dual_mov_b32 v9, 0 :: v_dual_mov_b32 v8, 0
	s_wait_dscnt 0x0
	s_barrier_signal -1
	s_barrier_wait -1
	s_and_saveexec_b32 s1, s2
	s_cbranch_execz .LBB202_575
; %bb.298:
	s_abs_i32 s6, s6
	v_dual_mov_b32 v15, 0 :: v_dual_lshlrev_b32 v2, 2, v0
	s_cvt_f32_u32 s0, s6
	s_ashr_i32 s15, s14, 31
	v_dual_lshlrev_b32 v4, 4, v61 :: v_dual_mov_b32 v62, v1
	s_delay_alu instid0(SALU_CYCLE_1)
	v_rcp_iflag_f32_e32 v3, s0
	v_and_b32_e32 v14, 0x7c, v2
	s_wait_kmcnt 0x0
	s_add_nc_u64 s[14:15], s[24:25], s[14:15]
	s_sub_co_i32 s26, s35, s5
	s_lshl_b64 s[4:5], s[22:23], 2
	s_sub_co_i32 s2, 0, s6
	v_add_nc_u64_e32 v[16:17], s[14:15], v[14:15]
	v_readfirstlane_b32 s0, v3
	v_and_b32_e32 v14, 0x7c, v35
	v_lshl_or_b32 v3, v1, 7, v4
	s_add_nc_u64 s[4:5], s[20:21], s[4:5]
	v_dual_mov_b32 v8, 0 :: v_dual_bitop2_b32 v63, 28, v2 bitop3:0x40
	s_mul_f32 s0, s0, 0x4f7ffffe
	v_add_nc_u64_e32 v[18:19], s[4:5], v[14:15]
	v_dual_mov_b32 v9, 0 :: v_dual_add_nc_u32 v64, 0xa0, v3
	s_delay_alu instid0(SALU_CYCLE_1) | instskip(SKIP_2) | instid1(SALU_CYCLE_1)
	s_cvt_u32_f32 s0, s0
	v_dual_mov_b32 v12, 0 :: v_dual_mov_b32 v13, 0
	v_dual_mov_b32 v10, 0 :: v_dual_mov_b32 v11, 0
	s_mul_i32 s2, s2, s0
	v_dual_mov_b32 v6, 0 :: v_dual_mov_b32 v7, 0
	s_mov_b32 s3, 0
	s_mul_hi_u32 s2, s0, s2
	s_add_co_i32 s27, s34, -1
	s_mov_b32 s14, s31
	s_add_co_i32 s2, s0, s2
	s_mov_b32 s15, s3
	s_branch .LBB202_301
.LBB202_299:                            ;   in Loop: Header=BB202_301 Depth=1
	s_or_b32 exec_lo, exec_lo, s0
	s_wait_dscnt 0x0
	v_mul_f32_e32 v35, v2, v46
	v_mul_f32_e32 v14, v2, v50
	v_dual_mul_f32 v42, v2, v42 :: v_dual_mul_f32 v32, v2, v32
	s_delay_alu instid0(VALU_DEP_3) | instskip(NEXT) | instid1(VALU_DEP_3)
	v_dual_mul_f32 v38, v2, v38 :: v_dual_fmac_f32 v35, v3, v47
	v_fmac_f32_e32 v14, v3, v51
	s_delay_alu instid0(VALU_DEP_3) | instskip(NEXT) | instid1(VALU_DEP_2)
	v_dual_fmac_f32 v42, v3, v43 :: v_dual_mul_f32 v22, v2, v22
	v_dual_fmac_f32 v32, v3, v33 :: v_dual_fmac_f32 v14, v4, v48
	s_delay_alu instid0(VALU_DEP_2) | instskip(NEXT) | instid1(VALU_DEP_2)
	v_dual_fmac_f32 v35, v4, v44 :: v_dual_fmac_f32 v22, v3, v23
	v_dual_fmac_f32 v32, v4, v30 :: v_dual_fmac_f32 v14, v5, v49
	s_delay_alu instid0(VALU_DEP_2) | instskip(SKIP_1) | instid1(VALU_DEP_2)
	v_dual_fmac_f32 v42, v4, v40 :: v_dual_fmac_f32 v35, v5, v45
	v_dual_mul_f32 v28, v2, v28 :: v_dual_fmac_f32 v38, v3, v39
	v_dual_add_f32 v6, v6, v14 :: v_dual_fmac_f32 v42, v5, v41
	v_pk_mul_f32 v[40:41], v[2:3], v[52:53]
	s_delay_alu instid0(VALU_DEP_3) | instskip(SKIP_3) | instid1(VALU_DEP_4)
	v_fmac_f32_e32 v28, v3, v29
	v_pk_mul_f32 v[2:3], v[4:5], v[24:25]
	v_fmac_f32_e32 v38, v4, v36
	v_fmac_f32_e32 v22, v4, v20
	v_dual_add_f32 v14, v41, v40 :: v_dual_fmac_f32 v28, v4, v26
	s_delay_alu instid0(VALU_DEP_3) | instskip(NEXT) | instid1(VALU_DEP_2)
	v_dual_fmac_f32 v32, v5, v31 :: v_dual_fmac_f32 v38, v5, v37
	v_dual_fmac_f32 v22, v5, v21 :: v_dual_add_f32 v2, v2, v14
	s_delay_alu instid0(VALU_DEP_3) | instskip(SKIP_1) | instid1(VALU_DEP_4)
	v_fmac_f32_e32 v28, v5, v27
	v_dual_add_f32 v11, v11, v35 :: v_dual_add_f32 v10, v10, v42
	v_dual_add_f32 v13, v13, v38 :: v_dual_add_f32 v12, v12, v32
	s_delay_alu instid0(VALU_DEP_3) | instskip(SKIP_1) | instid1(VALU_DEP_2)
	v_dual_add_f32 v2, v3, v2 :: v_dual_add_f32 v9, v9, v28
	v_add_f32_e32 v8, v8, v22
	v_add_f32_e32 v7, v7, v2
.LBB202_300:                            ;   in Loop: Header=BB202_301 Depth=1
	s_or_b32 exec_lo, exec_lo, s20
	v_add_nc_u32_e32 v62, 4, v62
	v_add_nc_u64_e32 v[18:19], 16, v[18:19]
	v_add_nc_u32_e32 v34, 0x80, v34
	v_add_nc_u32_e32 v64, 0x200, v64
	s_delay_alu instid0(VALU_DEP_4) | instskip(SKIP_1) | instid1(SALU_CYCLE_1)
	v_cmp_le_i32_e32 vcc_lo, s34, v62
	s_or_b32 s15, vcc_lo, s15
	s_and_not1_b32 exec_lo, exec_lo, s15
	s_cbranch_execz .LBB202_574
.LBB202_301:                            ; =>This Inner Loop Header: Depth=1
	v_mov_b32_e32 v35, v15
	s_delay_alu instid0(VALU_DEP_1) | instskip(NEXT) | instid1(VALU_DEP_1)
	v_mul_u64_e32 v[2:3], s[18:19], v[34:35]
	v_mul_lo_u32 v2, v3, s12
	s_delay_alu instid0(VALU_DEP_1) | instskip(NEXT) | instid1(VALU_DEP_1)
	v_sub_nc_u32_e32 v2, v34, v2
	v_subrev_nc_u32_e32 v5, s12, v2
	v_cmp_le_u32_e32 vcc_lo, s12, v2
	s_delay_alu instid0(VALU_DEP_2) | instskip(NEXT) | instid1(VALU_DEP_1)
	v_dual_add_nc_u32 v4, 1, v3 :: v_dual_cndmask_b32 v2, v2, v5, vcc_lo
	v_cndmask_b32_e32 v3, v3, v4, vcc_lo
	s_delay_alu instid0(VALU_DEP_2) | instskip(NEXT) | instid1(VALU_DEP_2)
	v_cmp_le_u32_e32 vcc_lo, s12, v2
	v_add_nc_u32_e32 v4, 1, v3
	s_delay_alu instid0(VALU_DEP_1) | instskip(NEXT) | instid1(VALU_DEP_1)
	v_cndmask_b32_e32 v2, v3, v4, vcc_lo
	v_xor_b32_e32 v2, s33, v2
	s_delay_alu instid0(VALU_DEP_1) | instskip(NEXT) | instid1(VALU_DEP_1)
	v_subrev_nc_u32_e32 v4, s33, v2
	v_add_nc_u32_e32 v5, s17, v4
	v_cmp_lt_i32_e64 s0, s26, v4
	s_delay_alu instid0(VALU_DEP_2) | instskip(NEXT) | instid1(VALU_DEP_1)
	v_sub_nc_u32_e32 v2, 0, v5
	v_dual_ashrrev_i32 v5, 31, v5 :: v_dual_max_i32 v14, v5, v2
	s_delay_alu instid0(VALU_DEP_1) | instskip(NEXT) | instid1(VALU_DEP_1)
	v_mul_u64_e32 v[2:3], s[2:3], v[14:15]
	v_mul_lo_u32 v2, v3, s6
	s_delay_alu instid0(VALU_DEP_1) | instskip(NEXT) | instid1(VALU_DEP_1)
	v_sub_nc_u32_e32 v2, v14, v2
	v_subrev_nc_u32_e32 v3, s6, v2
	v_cmp_le_u32_e32 vcc_lo, s6, v2
	s_delay_alu instid0(VALU_DEP_2) | instskip(NEXT) | instid1(VALU_DEP_1)
	v_cndmask_b32_e32 v2, v2, v3, vcc_lo
	v_subrev_nc_u32_e32 v3, s6, v2
	v_cmp_le_u32_e32 vcc_lo, s6, v2
	s_delay_alu instid0(VALU_DEP_2) | instskip(NEXT) | instid1(VALU_DEP_1)
	v_cndmask_b32_e32 v2, v2, v3, vcc_lo
	v_xor_b32_e32 v2, v2, v5
	s_delay_alu instid0(VALU_DEP_1) | instskip(NEXT) | instid1(VALU_DEP_1)
	v_sub_nc_u32_e32 v2, v2, v5
	v_cmp_eq_u32_e32 vcc_lo, 0, v2
	s_or_b32 s0, vcc_lo, s0
	s_delay_alu instid0(SALU_CYCLE_1)
	s_and_saveexec_b32 s20, s0
	s_cbranch_execz .LBB202_300
; %bb.302:                              ;   in Loop: Header=BB202_301 Depth=1
	global_load_b32 v2, v[18:19], off
	s_load_b32 s4, s[10:11], 0x0
	v_mov_b64_e32 v[20:21], 0
	v_mov_b64_e32 v[22:23], 0
	s_mov_b32 s0, exec_lo
	s_wait_loadcnt 0x0
	v_mad_nc_i64_i32 v[24:25], v2, s13, v[16:17]
	ds_load_b128 v[2:5], v64
	global_load_b32 v30, v[24:25], off
	s_wait_loadcnt 0x0
	v_and_b32_e32 v14, 0xff, v30
	s_delay_alu instid0(VALU_DEP_1)
	v_cmpx_ne_u16_e32 0, v14
	s_cbranch_execz .LBB202_310
; %bb.303:                              ;   in Loop: Header=BB202_301 Depth=1
	v_mov_b64_e32 v[22:23], 0x80000000
	s_mov_b32 s5, exec_lo
	v_cmpx_ne_u16_e32 0x80, v14
	s_cbranch_execz .LBB202_309
; %bb.304:                              ;   in Loop: Header=BB202_301 Depth=1
	v_mov_b64_e32 v[22:23], 0x7f800001
	v_and_b32_e32 v26, 0x7f, v30
	s_mov_b32 s21, exec_lo
	s_delay_alu instid0(VALU_DEP_1)
	v_cmpx_ne_u32_e32 0x7f, v26
	s_cbranch_execz .LBB202_308
; %bb.305:                              ;   in Loop: Header=BB202_301 Depth=1
	v_and_b32_e32 v14, 7, v30
	v_lshrrev_b32_e32 v22, 3, v26
	s_mov_b32 s22, exec_lo
	v_cmpx_gt_u32_e32 8, v26
; %bb.306:                              ;   in Loop: Header=BB202_301 Depth=1
	s_delay_alu instid0(VALU_DEP_3) | instskip(NEXT) | instid1(VALU_DEP_1)
	v_clz_i32_u32_e32 v22, v14
	v_min_u32_e32 v22, 32, v22
	s_delay_alu instid0(VALU_DEP_1) | instskip(SKIP_1) | instid1(VALU_DEP_2)
	v_subrev_nc_u32_e32 v23, 28, v22
	v_sub_nc_u32_e32 v22, 29, v22
	v_lshlrev_b64_e32 v[26:27], v23, v[14:15]
	s_delay_alu instid0(VALU_DEP_1)
	v_and_b32_e32 v14, 7, v26
; %bb.307:                              ;   in Loop: Header=BB202_301 Depth=1
	s_or_b32 exec_lo, exec_lo, s22
	v_lshlrev_b32_e32 v23, 24, v30
	s_delay_alu instid0(VALU_DEP_2) | instskip(SKIP_1) | instid1(VALU_DEP_3)
	v_lshlrev_b32_e32 v14, 20, v14
	v_lshl_add_u32 v22, v22, 23, 0x3c000000
	v_and_b32_e32 v23, 0x80000000, v23
	s_delay_alu instid0(VALU_DEP_1) | instskip(NEXT) | instid1(VALU_DEP_1)
	v_or3_b32 v14, v14, v23, v22
	v_mov_b64_e32 v[22:23], v[14:15]
.LBB202_308:                            ;   in Loop: Header=BB202_301 Depth=1
	s_or_b32 exec_lo, exec_lo, s21
.LBB202_309:                            ;   in Loop: Header=BB202_301 Depth=1
	s_delay_alu instid0(SALU_CYCLE_1)
	s_or_b32 exec_lo, exec_lo, s5
.LBB202_310:                            ;   in Loop: Header=BB202_301 Depth=1
	s_delay_alu instid0(SALU_CYCLE_1) | instskip(SKIP_2) | instid1(VALU_DEP_1)
	s_or_b32 exec_lo, exec_lo, s0
	v_lshrrev_b16 v14, 8, v30
	s_mov_b32 s0, exec_lo
	v_cmpx_ne_u16_e32 0, v14
	s_cbranch_execz .LBB202_318
; %bb.311:                              ;   in Loop: Header=BB202_301 Depth=1
	v_mov_b64_e32 v[20:21], 0x8000000000000000
	s_mov_b32 s5, exec_lo
	v_cmpx_ne_u16_e32 0x80, v14
	s_cbranch_execz .LBB202_317
; %bb.312:                              ;   in Loop: Header=BB202_301 Depth=1
	v_and_b32_e32 v14, 0xffff, v14
	v_mov_b64_e32 v[20:21], 0x7f80000100000000
	s_mov_b32 s21, exec_lo
	s_delay_alu instid0(VALU_DEP_2) | instskip(NEXT) | instid1(VALU_DEP_1)
	v_and_b32_e32 v26, 0x7f, v14
	v_cmpx_ne_u32_e32 0x7f, v26
	s_cbranch_execz .LBB202_316
; %bb.313:                              ;   in Loop: Header=BB202_301 Depth=1
	v_and_b32_e32 v14, 7, v14
	v_lshrrev_b32_e32 v20, 3, v26
	s_mov_b32 s22, exec_lo
	v_cmpx_gt_u32_e32 8, v26
; %bb.314:                              ;   in Loop: Header=BB202_301 Depth=1
	s_delay_alu instid0(VALU_DEP_3) | instskip(NEXT) | instid1(VALU_DEP_1)
	v_clz_i32_u32_e32 v20, v14
	v_min_u32_e32 v20, 32, v20
	s_delay_alu instid0(VALU_DEP_1) | instskip(NEXT) | instid1(VALU_DEP_1)
	v_subrev_nc_u32_e32 v21, 28, v20
	v_lshlrev_b64_e32 v[26:27], v21, v[14:15]
	s_delay_alu instid0(VALU_DEP_1)
	v_dual_sub_nc_u32 v20, 29, v20 :: v_dual_bitop2_b32 v14, 7, v26 bitop3:0x40
; %bb.315:                              ;   in Loop: Header=BB202_301 Depth=1
	s_or_b32 exec_lo, exec_lo, s22
	v_lshlrev_b32_e32 v21, 16, v30
	s_delay_alu instid0(VALU_DEP_2) | instskip(NEXT) | instid1(VALU_DEP_3)
	v_lshlrev_b32_e32 v14, 20, v14
	v_lshl_add_u32 v20, v20, 23, 0x3c000000
	s_delay_alu instid0(VALU_DEP_3) | instskip(NEXT) | instid1(VALU_DEP_1)
	v_and_b32_e32 v21, 0x80000000, v21
	v_or3_b32 v21, v14, v21, v20
	v_mov_b32_e32 v20, v15
.LBB202_316:                            ;   in Loop: Header=BB202_301 Depth=1
	s_or_b32 exec_lo, exec_lo, s21
.LBB202_317:                            ;   in Loop: Header=BB202_301 Depth=1
	s_delay_alu instid0(SALU_CYCLE_1)
	s_or_b32 exec_lo, exec_lo, s5
.LBB202_318:                            ;   in Loop: Header=BB202_301 Depth=1
	s_delay_alu instid0(SALU_CYCLE_1) | instskip(SKIP_4) | instid1(VALU_DEP_3)
	s_or_b32 exec_lo, exec_lo, s0
	v_lshrrev_b32_e32 v31, 16, v30
	v_mov_b64_e32 v[26:27], 0
	v_mov_b64_e32 v[28:29], 0
	s_mov_b32 s0, exec_lo
	v_and_b32_e32 v14, 0xff, v31
	s_delay_alu instid0(VALU_DEP_1)
	v_cmpx_ne_u16_e32 0, v14
	s_cbranch_execz .LBB202_326
; %bb.319:                              ;   in Loop: Header=BB202_301 Depth=1
	v_mov_b64_e32 v[28:29], 0x80000000
	s_mov_b32 s5, exec_lo
	v_cmpx_ne_u16_e32 0x80, v14
	s_cbranch_execz .LBB202_325
; %bb.320:                              ;   in Loop: Header=BB202_301 Depth=1
	v_mov_b64_e32 v[28:29], 0x7f800001
	v_bfe_u32 v32, v30, 16, 7
	s_mov_b32 s21, exec_lo
	s_delay_alu instid0(VALU_DEP_1)
	v_cmpx_ne_u32_e32 0x7f, v32
	s_cbranch_execz .LBB202_324
; %bb.321:                              ;   in Loop: Header=BB202_301 Depth=1
	v_dual_lshrrev_b32 v28, 3, v32 :: v_dual_bitop2_b32 v14, 7, v31 bitop3:0x40
	s_mov_b32 s22, exec_lo
	v_cmpx_gt_u32_e32 8, v32
; %bb.322:                              ;   in Loop: Header=BB202_301 Depth=1
	s_delay_alu instid0(VALU_DEP_2) | instskip(NEXT) | instid1(VALU_DEP_1)
	v_clz_i32_u32_e32 v28, v14
	v_min_u32_e32 v28, 32, v28
	s_delay_alu instid0(VALU_DEP_1) | instskip(SKIP_1) | instid1(VALU_DEP_2)
	v_subrev_nc_u32_e32 v29, 28, v28
	v_sub_nc_u32_e32 v28, 29, v28
	v_lshlrev_b64_e32 v[32:33], v29, v[14:15]
	s_delay_alu instid0(VALU_DEP_1)
	v_and_b32_e32 v14, 7, v32
; %bb.323:                              ;   in Loop: Header=BB202_301 Depth=1
	s_or_b32 exec_lo, exec_lo, s22
	s_delay_alu instid0(VALU_DEP_1) | instskip(SKIP_1) | instid1(VALU_DEP_2)
	v_dual_lshlrev_b32 v29, 24, v31 :: v_dual_lshlrev_b32 v14, 20, v14
	v_lshl_add_u32 v28, v28, 23, 0x3c000000
	v_and_b32_e32 v29, 0x80000000, v29
	s_delay_alu instid0(VALU_DEP_1) | instskip(NEXT) | instid1(VALU_DEP_1)
	v_or3_b32 v14, v14, v29, v28
	v_mov_b64_e32 v[28:29], v[14:15]
.LBB202_324:                            ;   in Loop: Header=BB202_301 Depth=1
	s_or_b32 exec_lo, exec_lo, s21
.LBB202_325:                            ;   in Loop: Header=BB202_301 Depth=1
	s_delay_alu instid0(SALU_CYCLE_1)
	s_or_b32 exec_lo, exec_lo, s5
.LBB202_326:                            ;   in Loop: Header=BB202_301 Depth=1
	s_delay_alu instid0(SALU_CYCLE_1) | instskip(NEXT) | instid1(SALU_CYCLE_1)
	s_or_b32 exec_lo, exec_lo, s0
	s_mov_b32 s0, exec_lo
	v_cmpx_lt_u32_e32 0xffffff, v30
	s_cbranch_execz .LBB202_334
; %bb.327:                              ;   in Loop: Header=BB202_301 Depth=1
	v_mov_b64_e32 v[26:27], 0x8000000000000000
	v_lshrrev_b32_e32 v31, 24, v30
	s_mov_b32 s5, exec_lo
	s_delay_alu instid0(VALU_DEP_1)
	v_cmpx_ne_u32_e32 0x80, v31
	s_cbranch_execz .LBB202_333
; %bb.328:                              ;   in Loop: Header=BB202_301 Depth=1
	v_mov_b64_e32 v[26:27], 0x7f80000100000000
	v_bfe_u32 v30, v30, 24, 7
	s_mov_b32 s21, exec_lo
	s_delay_alu instid0(VALU_DEP_1)
	v_cmpx_ne_u32_e32 0x7f, v30
	s_cbranch_execz .LBB202_332
; %bb.329:                              ;   in Loop: Header=BB202_301 Depth=1
	v_dual_lshrrev_b32 v26, 3, v30 :: v_dual_bitop2_b32 v14, 7, v31 bitop3:0x40
	s_mov_b32 s22, exec_lo
	v_cmpx_gt_u32_e32 8, v30
; %bb.330:                              ;   in Loop: Header=BB202_301 Depth=1
	s_delay_alu instid0(VALU_DEP_2) | instskip(NEXT) | instid1(VALU_DEP_1)
	v_clz_i32_u32_e32 v26, v14
	v_min_u32_e32 v26, 32, v26
	s_delay_alu instid0(VALU_DEP_1) | instskip(NEXT) | instid1(VALU_DEP_1)
	v_subrev_nc_u32_e32 v27, 28, v26
	v_lshlrev_b64_e32 v[32:33], v27, v[14:15]
	s_delay_alu instid0(VALU_DEP_1)
	v_dual_sub_nc_u32 v26, 29, v26 :: v_dual_bitop2_b32 v14, 7, v32 bitop3:0x40
; %bb.331:                              ;   in Loop: Header=BB202_301 Depth=1
	s_or_b32 exec_lo, exec_lo, s22
	s_delay_alu instid0(VALU_DEP_1) | instskip(NEXT) | instid1(VALU_DEP_2)
	v_dual_lshlrev_b32 v27, 24, v31 :: v_dual_lshlrev_b32 v14, 20, v14
	v_lshl_add_u32 v26, v26, 23, 0x3c000000
	s_delay_alu instid0(VALU_DEP_2) | instskip(NEXT) | instid1(VALU_DEP_1)
	v_and_b32_e32 v27, 0x80000000, v27
	v_or3_b32 v27, v14, v27, v26
	v_mov_b32_e32 v26, v15
.LBB202_332:                            ;   in Loop: Header=BB202_301 Depth=1
	s_or_b32 exec_lo, exec_lo, s21
.LBB202_333:                            ;   in Loop: Header=BB202_301 Depth=1
	s_delay_alu instid0(SALU_CYCLE_1)
	s_or_b32 exec_lo, exec_lo, s5
.LBB202_334:                            ;   in Loop: Header=BB202_301 Depth=1
	s_delay_alu instid0(SALU_CYCLE_1)
	s_or_b32 exec_lo, exec_lo, s0
	v_dual_add_nc_u32 v35, v63, v34 :: v_dual_bitop2_b32 v21, v21, v23 bitop3:0x54
	v_or_b32_e32 v20, v20, v22
	v_or_b32_e32 v27, v27, v29
	;; [unrolled: 1-line block ×3, first 2 shown]
	v_cmp_eq_u32_e32 vcc_lo, s27, v62
	v_add_nc_u32_e32 v65, 1, v35
	s_wait_kmcnt 0x0
	v_pk_mul_f32 v[22:23], s[4:5], v[20:21] op_sel_hi:[0,1]
	v_dual_add_nc_u32 v57, 2, v35 :: v_dual_add_nc_u32 v56, 3, v35
	v_pk_mul_f32 v[20:21], s[4:5], v[26:27] op_sel_hi:[0,1]
	s_and_saveexec_b32 s5, vcc_lo
	s_cbranch_execz .LBB202_336
; %bb.335:                              ;   in Loop: Header=BB202_301 Depth=1
	v_cmp_gt_i32_e64 s0, s31, v35
	s_delay_alu instid0(VALU_DEP_1) | instskip(SKIP_1) | instid1(VALU_DEP_1)
	v_cndmask_b32_e64 v22, 0, v22, s0
	v_cmp_gt_i32_e64 s0, s31, v65
	v_cndmask_b32_e64 v23, 0, v23, s0
	v_cmp_gt_i32_e64 s0, s31, v57
	s_delay_alu instid0(VALU_DEP_1) | instskip(SKIP_1) | instid1(VALU_DEP_1)
	v_cndmask_b32_e64 v20, 0, v20, s0
	v_cmp_gt_i32_e64 s0, s31, v56
	v_cndmask_b32_e64 v21, 0, v21, s0
.LBB202_336:                            ;   in Loop: Header=BB202_301 Depth=1
	s_or_b32 exec_lo, exec_lo, s5
	global_load_b32 v36, v[24:25], off offset:128
	v_mov_b64_e32 v[26:27], 0
	v_mov_b64_e32 v[28:29], 0
	s_mov_b32 s5, exec_lo
	s_wait_loadcnt 0x0
	v_and_b32_e32 v14, 0xff, v36
	s_delay_alu instid0(VALU_DEP_1)
	v_cmpx_ne_u16_e32 0, v14
	s_cbranch_execz .LBB202_344
; %bb.337:                              ;   in Loop: Header=BB202_301 Depth=1
	v_mov_b64_e32 v[28:29], 0x80000000
	s_mov_b32 s21, exec_lo
	v_cmpx_ne_u16_e32 0x80, v14
	s_cbranch_execz .LBB202_343
; %bb.338:                              ;   in Loop: Header=BB202_301 Depth=1
	v_mov_b64_e32 v[28:29], 0x7f800001
	v_and_b32_e32 v30, 0x7f, v36
	s_mov_b32 s22, exec_lo
	s_delay_alu instid0(VALU_DEP_1)
	v_cmpx_ne_u32_e32 0x7f, v30
	s_cbranch_execz .LBB202_342
; %bb.339:                              ;   in Loop: Header=BB202_301 Depth=1
	v_dual_lshrrev_b32 v28, 3, v30 :: v_dual_bitop2_b32 v14, 7, v36 bitop3:0x40
	s_mov_b32 s23, exec_lo
	v_cmpx_gt_u32_e32 8, v30
; %bb.340:                              ;   in Loop: Header=BB202_301 Depth=1
	s_delay_alu instid0(VALU_DEP_2) | instskip(NEXT) | instid1(VALU_DEP_1)
	v_clz_i32_u32_e32 v28, v14
	v_min_u32_e32 v28, 32, v28
	s_delay_alu instid0(VALU_DEP_1) | instskip(NEXT) | instid1(VALU_DEP_1)
	v_subrev_nc_u32_e32 v29, 28, v28
	v_lshlrev_b64_e32 v[30:31], v29, v[14:15]
	s_delay_alu instid0(VALU_DEP_1)
	v_dual_sub_nc_u32 v28, 29, v28 :: v_dual_bitop2_b32 v14, 7, v30 bitop3:0x40
; %bb.341:                              ;   in Loop: Header=BB202_301 Depth=1
	s_or_b32 exec_lo, exec_lo, s23
	s_delay_alu instid0(VALU_DEP_1) | instskip(NEXT) | instid1(VALU_DEP_2)
	v_dual_lshlrev_b32 v29, 24, v36 :: v_dual_lshlrev_b32 v14, 20, v14
	v_lshl_add_u32 v28, v28, 23, 0x3c000000
	s_delay_alu instid0(VALU_DEP_2) | instskip(NEXT) | instid1(VALU_DEP_1)
	v_and_b32_e32 v29, 0x80000000, v29
	v_or3_b32 v14, v14, v29, v28
	s_delay_alu instid0(VALU_DEP_1)
	v_mov_b64_e32 v[28:29], v[14:15]
.LBB202_342:                            ;   in Loop: Header=BB202_301 Depth=1
	s_or_b32 exec_lo, exec_lo, s22
.LBB202_343:                            ;   in Loop: Header=BB202_301 Depth=1
	s_delay_alu instid0(SALU_CYCLE_1)
	s_or_b32 exec_lo, exec_lo, s21
.LBB202_344:                            ;   in Loop: Header=BB202_301 Depth=1
	s_delay_alu instid0(SALU_CYCLE_1) | instskip(SKIP_2) | instid1(VALU_DEP_1)
	s_or_b32 exec_lo, exec_lo, s5
	v_lshrrev_b16 v14, 8, v36
	s_mov_b32 s5, exec_lo
	v_cmpx_ne_u16_e32 0, v14
	s_cbranch_execz .LBB202_352
; %bb.345:                              ;   in Loop: Header=BB202_301 Depth=1
	v_mov_b64_e32 v[26:27], 0x8000000000000000
	s_mov_b32 s21, exec_lo
	v_cmpx_ne_u16_e32 0x80, v14
	s_cbranch_execz .LBB202_351
; %bb.346:                              ;   in Loop: Header=BB202_301 Depth=1
	v_and_b32_e32 v14, 0xffff, v14
	v_mov_b64_e32 v[26:27], 0x7f80000100000000
	s_mov_b32 s22, exec_lo
	s_delay_alu instid0(VALU_DEP_2) | instskip(NEXT) | instid1(VALU_DEP_1)
	v_and_b32_e32 v30, 0x7f, v14
	v_cmpx_ne_u32_e32 0x7f, v30
	s_cbranch_execz .LBB202_350
; %bb.347:                              ;   in Loop: Header=BB202_301 Depth=1
	v_and_b32_e32 v14, 7, v14
	v_lshrrev_b32_e32 v26, 3, v30
	s_mov_b32 s23, exec_lo
	v_cmpx_gt_u32_e32 8, v30
; %bb.348:                              ;   in Loop: Header=BB202_301 Depth=1
	s_delay_alu instid0(VALU_DEP_3) | instskip(NEXT) | instid1(VALU_DEP_1)
	v_clz_i32_u32_e32 v26, v14
	v_min_u32_e32 v26, 32, v26
	s_delay_alu instid0(VALU_DEP_1) | instskip(SKIP_1) | instid1(VALU_DEP_2)
	v_subrev_nc_u32_e32 v27, 28, v26
	v_sub_nc_u32_e32 v26, 29, v26
	v_lshlrev_b64_e32 v[30:31], v27, v[14:15]
	s_delay_alu instid0(VALU_DEP_1)
	v_and_b32_e32 v14, 7, v30
; %bb.349:                              ;   in Loop: Header=BB202_301 Depth=1
	s_or_b32 exec_lo, exec_lo, s23
	s_delay_alu instid0(VALU_DEP_1) | instskip(SKIP_1) | instid1(VALU_DEP_2)
	v_dual_lshlrev_b32 v27, 16, v36 :: v_dual_lshlrev_b32 v14, 20, v14
	v_lshl_add_u32 v26, v26, 23, 0x3c000000
	v_and_b32_e32 v27, 0x80000000, v27
	s_delay_alu instid0(VALU_DEP_1)
	v_or3_b32 v27, v14, v27, v26
	v_mov_b32_e32 v26, v15
.LBB202_350:                            ;   in Loop: Header=BB202_301 Depth=1
	s_or_b32 exec_lo, exec_lo, s22
.LBB202_351:                            ;   in Loop: Header=BB202_301 Depth=1
	s_delay_alu instid0(SALU_CYCLE_1)
	s_or_b32 exec_lo, exec_lo, s21
.LBB202_352:                            ;   in Loop: Header=BB202_301 Depth=1
	s_delay_alu instid0(SALU_CYCLE_1) | instskip(SKIP_4) | instid1(VALU_DEP_3)
	s_or_b32 exec_lo, exec_lo, s5
	v_lshrrev_b32_e32 v37, 16, v36
	v_mov_b64_e32 v[30:31], 0
	v_mov_b64_e32 v[32:33], 0
	s_mov_b32 s5, exec_lo
	v_and_b32_e32 v14, 0xff, v37
	s_delay_alu instid0(VALU_DEP_1)
	v_cmpx_ne_u16_e32 0, v14
	s_cbranch_execz .LBB202_360
; %bb.353:                              ;   in Loop: Header=BB202_301 Depth=1
	v_mov_b64_e32 v[32:33], 0x80000000
	s_mov_b32 s21, exec_lo
	v_cmpx_ne_u16_e32 0x80, v14
	s_cbranch_execz .LBB202_359
; %bb.354:                              ;   in Loop: Header=BB202_301 Depth=1
	v_mov_b64_e32 v[32:33], 0x7f800001
	v_bfe_u32 v38, v36, 16, 7
	s_mov_b32 s22, exec_lo
	s_delay_alu instid0(VALU_DEP_1)
	v_cmpx_ne_u32_e32 0x7f, v38
	s_cbranch_execz .LBB202_358
; %bb.355:                              ;   in Loop: Header=BB202_301 Depth=1
	v_dual_lshrrev_b32 v32, 3, v38 :: v_dual_bitop2_b32 v14, 7, v37 bitop3:0x40
	s_mov_b32 s23, exec_lo
	v_cmpx_gt_u32_e32 8, v38
; %bb.356:                              ;   in Loop: Header=BB202_301 Depth=1
	s_delay_alu instid0(VALU_DEP_2) | instskip(NEXT) | instid1(VALU_DEP_1)
	v_clz_i32_u32_e32 v32, v14
	v_min_u32_e32 v32, 32, v32
	s_delay_alu instid0(VALU_DEP_1) | instskip(NEXT) | instid1(VALU_DEP_1)
	v_subrev_nc_u32_e32 v33, 28, v32
	v_lshlrev_b64_e32 v[38:39], v33, v[14:15]
	s_delay_alu instid0(VALU_DEP_1)
	v_dual_sub_nc_u32 v32, 29, v32 :: v_dual_bitop2_b32 v14, 7, v38 bitop3:0x40
; %bb.357:                              ;   in Loop: Header=BB202_301 Depth=1
	s_or_b32 exec_lo, exec_lo, s23
	s_delay_alu instid0(VALU_DEP_1) | instskip(NEXT) | instid1(VALU_DEP_2)
	v_dual_lshlrev_b32 v33, 24, v37 :: v_dual_lshlrev_b32 v14, 20, v14
	v_lshl_add_u32 v32, v32, 23, 0x3c000000
	s_delay_alu instid0(VALU_DEP_2) | instskip(NEXT) | instid1(VALU_DEP_1)
	v_and_b32_e32 v33, 0x80000000, v33
	v_or3_b32 v14, v14, v33, v32
	s_delay_alu instid0(VALU_DEP_1)
	v_mov_b64_e32 v[32:33], v[14:15]
.LBB202_358:                            ;   in Loop: Header=BB202_301 Depth=1
	s_or_b32 exec_lo, exec_lo, s22
.LBB202_359:                            ;   in Loop: Header=BB202_301 Depth=1
	s_delay_alu instid0(SALU_CYCLE_1)
	s_or_b32 exec_lo, exec_lo, s21
.LBB202_360:                            ;   in Loop: Header=BB202_301 Depth=1
	s_delay_alu instid0(SALU_CYCLE_1) | instskip(NEXT) | instid1(SALU_CYCLE_1)
	s_or_b32 exec_lo, exec_lo, s5
	s_mov_b32 s5, exec_lo
	v_cmpx_lt_u32_e32 0xffffff, v36
	s_cbranch_execz .LBB202_368
; %bb.361:                              ;   in Loop: Header=BB202_301 Depth=1
	v_mov_b64_e32 v[30:31], 0x8000000000000000
	v_lshrrev_b32_e32 v37, 24, v36
	s_mov_b32 s21, exec_lo
	s_delay_alu instid0(VALU_DEP_1)
	v_cmpx_ne_u32_e32 0x80, v37
	s_cbranch_execz .LBB202_367
; %bb.362:                              ;   in Loop: Header=BB202_301 Depth=1
	v_mov_b64_e32 v[30:31], 0x7f80000100000000
	v_bfe_u32 v36, v36, 24, 7
	s_mov_b32 s22, exec_lo
	s_delay_alu instid0(VALU_DEP_1)
	v_cmpx_ne_u32_e32 0x7f, v36
	s_cbranch_execz .LBB202_366
; %bb.363:                              ;   in Loop: Header=BB202_301 Depth=1
	v_dual_lshrrev_b32 v30, 3, v36 :: v_dual_bitop2_b32 v14, 7, v37 bitop3:0x40
	s_mov_b32 s23, exec_lo
	v_cmpx_gt_u32_e32 8, v36
; %bb.364:                              ;   in Loop: Header=BB202_301 Depth=1
	s_delay_alu instid0(VALU_DEP_2) | instskip(NEXT) | instid1(VALU_DEP_1)
	v_clz_i32_u32_e32 v30, v14
	v_min_u32_e32 v30, 32, v30
	s_delay_alu instid0(VALU_DEP_1) | instskip(SKIP_1) | instid1(VALU_DEP_2)
	v_subrev_nc_u32_e32 v31, 28, v30
	v_sub_nc_u32_e32 v30, 29, v30
	v_lshlrev_b64_e32 v[38:39], v31, v[14:15]
	s_delay_alu instid0(VALU_DEP_1)
	v_and_b32_e32 v14, 7, v38
; %bb.365:                              ;   in Loop: Header=BB202_301 Depth=1
	s_or_b32 exec_lo, exec_lo, s23
	s_delay_alu instid0(VALU_DEP_1) | instskip(SKIP_1) | instid1(VALU_DEP_2)
	v_dual_lshlrev_b32 v31, 24, v37 :: v_dual_lshlrev_b32 v14, 20, v14
	v_lshl_add_u32 v30, v30, 23, 0x3c000000
	v_and_b32_e32 v31, 0x80000000, v31
	s_delay_alu instid0(VALU_DEP_1)
	v_or3_b32 v31, v14, v31, v30
	v_mov_b32_e32 v30, v15
.LBB202_366:                            ;   in Loop: Header=BB202_301 Depth=1
	s_or_b32 exec_lo, exec_lo, s22
.LBB202_367:                            ;   in Loop: Header=BB202_301 Depth=1
	s_delay_alu instid0(SALU_CYCLE_1)
	s_or_b32 exec_lo, exec_lo, s21
.LBB202_368:                            ;   in Loop: Header=BB202_301 Depth=1
	s_delay_alu instid0(SALU_CYCLE_1)
	s_or_b32 exec_lo, exec_lo, s5
	s_mov_b32 s5, s4
	v_or_b32_e32 v27, v27, v29
	v_mov_b64_e32 v[36:37], s[4:5]
	v_or_b32_e32 v26, v26, v28
	v_or_b32_e32 v31, v31, v33
	;; [unrolled: 1-line block ×3, first 2 shown]
	s_delay_alu instid0(VALU_DEP_3) | instskip(NEXT) | instid1(VALU_DEP_2)
	v_pk_mul_f32 v[28:29], v[36:37], v[26:27]
	v_pk_mul_f32 v[26:27], v[36:37], v[30:31]
	s_and_saveexec_b32 s21, vcc_lo
	s_cbranch_execz .LBB202_370
; %bb.369:                              ;   in Loop: Header=BB202_301 Depth=1
	v_cmp_gt_i32_e64 s0, s31, v35
	s_delay_alu instid0(VALU_DEP_1) | instskip(SKIP_1) | instid1(VALU_DEP_1)
	v_cndmask_b32_e64 v28, 0, v28, s0
	v_cmp_gt_i32_e64 s0, s31, v65
	v_cndmask_b32_e64 v29, 0, v29, s0
	v_cmp_gt_i32_e64 s0, s31, v57
	s_delay_alu instid0(VALU_DEP_1) | instskip(SKIP_1) | instid1(VALU_DEP_1)
	v_cndmask_b32_e64 v26, 0, v26, s0
	v_cmp_gt_i32_e64 s0, s31, v56
	v_cndmask_b32_e64 v27, 0, v27, s0
.LBB202_370:                            ;   in Loop: Header=BB202_301 Depth=1
	s_or_b32 exec_lo, exec_lo, s21
	global_load_b32 v40, v[24:25], off offset:256
	v_mov_b64_e32 v[30:31], 0
	v_mov_b64_e32 v[32:33], 0
	s_mov_b32 s21, exec_lo
	s_wait_loadcnt 0x0
	v_and_b32_e32 v14, 0xff, v40
	s_delay_alu instid0(VALU_DEP_1)
	v_cmpx_ne_u16_e32 0, v14
	s_cbranch_execz .LBB202_378
; %bb.371:                              ;   in Loop: Header=BB202_301 Depth=1
	v_mov_b64_e32 v[32:33], 0x80000000
	s_mov_b32 s22, exec_lo
	v_cmpx_ne_u16_e32 0x80, v14
	s_cbranch_execz .LBB202_377
; %bb.372:                              ;   in Loop: Header=BB202_301 Depth=1
	v_mov_b64_e32 v[32:33], 0x7f800001
	v_and_b32_e32 v36, 0x7f, v40
	s_mov_b32 s23, exec_lo
	s_delay_alu instid0(VALU_DEP_1)
	v_cmpx_ne_u32_e32 0x7f, v36
	s_cbranch_execz .LBB202_376
; %bb.373:                              ;   in Loop: Header=BB202_301 Depth=1
	v_and_b32_e32 v14, 7, v40
	v_lshrrev_b32_e32 v32, 3, v36
	s_mov_b32 s24, exec_lo
	v_cmpx_gt_u32_e32 8, v36
; %bb.374:                              ;   in Loop: Header=BB202_301 Depth=1
	s_delay_alu instid0(VALU_DEP_3) | instskip(NEXT) | instid1(VALU_DEP_1)
	v_clz_i32_u32_e32 v32, v14
	v_min_u32_e32 v32, 32, v32
	s_delay_alu instid0(VALU_DEP_1) | instskip(SKIP_1) | instid1(VALU_DEP_2)
	v_subrev_nc_u32_e32 v33, 28, v32
	v_sub_nc_u32_e32 v32, 29, v32
	v_lshlrev_b64_e32 v[36:37], v33, v[14:15]
	s_delay_alu instid0(VALU_DEP_1)
	v_and_b32_e32 v14, 7, v36
; %bb.375:                              ;   in Loop: Header=BB202_301 Depth=1
	s_or_b32 exec_lo, exec_lo, s24
	s_delay_alu instid0(VALU_DEP_1) | instskip(SKIP_1) | instid1(VALU_DEP_2)
	v_dual_lshlrev_b32 v33, 24, v40 :: v_dual_lshlrev_b32 v14, 20, v14
	v_lshl_add_u32 v32, v32, 23, 0x3c000000
	v_and_b32_e32 v33, 0x80000000, v33
	s_delay_alu instid0(VALU_DEP_1) | instskip(NEXT) | instid1(VALU_DEP_1)
	v_or3_b32 v14, v14, v33, v32
	v_mov_b64_e32 v[32:33], v[14:15]
.LBB202_376:                            ;   in Loop: Header=BB202_301 Depth=1
	s_or_b32 exec_lo, exec_lo, s23
.LBB202_377:                            ;   in Loop: Header=BB202_301 Depth=1
	s_delay_alu instid0(SALU_CYCLE_1)
	s_or_b32 exec_lo, exec_lo, s22
.LBB202_378:                            ;   in Loop: Header=BB202_301 Depth=1
	s_delay_alu instid0(SALU_CYCLE_1) | instskip(SKIP_2) | instid1(VALU_DEP_1)
	s_or_b32 exec_lo, exec_lo, s21
	v_lshrrev_b16 v14, 8, v40
	s_mov_b32 s21, exec_lo
	v_cmpx_ne_u16_e32 0, v14
	s_cbranch_execz .LBB202_386
; %bb.379:                              ;   in Loop: Header=BB202_301 Depth=1
	v_mov_b64_e32 v[30:31], 0x8000000000000000
	s_mov_b32 s22, exec_lo
	v_cmpx_ne_u16_e32 0x80, v14
	s_cbranch_execz .LBB202_385
; %bb.380:                              ;   in Loop: Header=BB202_301 Depth=1
	v_and_b32_e32 v14, 0xffff, v14
	v_mov_b64_e32 v[30:31], 0x7f80000100000000
	s_mov_b32 s23, exec_lo
	s_delay_alu instid0(VALU_DEP_2) | instskip(NEXT) | instid1(VALU_DEP_1)
	v_and_b32_e32 v36, 0x7f, v14
	v_cmpx_ne_u32_e32 0x7f, v36
	s_cbranch_execz .LBB202_384
; %bb.381:                              ;   in Loop: Header=BB202_301 Depth=1
	v_dual_lshrrev_b32 v30, 3, v36 :: v_dual_bitop2_b32 v14, 7, v14 bitop3:0x40
	s_mov_b32 s24, exec_lo
	v_cmpx_gt_u32_e32 8, v36
; %bb.382:                              ;   in Loop: Header=BB202_301 Depth=1
	s_delay_alu instid0(VALU_DEP_2) | instskip(NEXT) | instid1(VALU_DEP_1)
	v_clz_i32_u32_e32 v30, v14
	v_min_u32_e32 v30, 32, v30
	s_delay_alu instid0(VALU_DEP_1) | instskip(NEXT) | instid1(VALU_DEP_1)
	v_subrev_nc_u32_e32 v31, 28, v30
	v_lshlrev_b64_e32 v[36:37], v31, v[14:15]
	s_delay_alu instid0(VALU_DEP_1)
	v_dual_sub_nc_u32 v30, 29, v30 :: v_dual_bitop2_b32 v14, 7, v36 bitop3:0x40
; %bb.383:                              ;   in Loop: Header=BB202_301 Depth=1
	s_or_b32 exec_lo, exec_lo, s24
	s_delay_alu instid0(VALU_DEP_1) | instskip(NEXT) | instid1(VALU_DEP_2)
	v_dual_lshlrev_b32 v31, 16, v40 :: v_dual_lshlrev_b32 v14, 20, v14
	v_lshl_add_u32 v30, v30, 23, 0x3c000000
	s_delay_alu instid0(VALU_DEP_2) | instskip(NEXT) | instid1(VALU_DEP_1)
	v_and_b32_e32 v31, 0x80000000, v31
	v_or3_b32 v31, v14, v31, v30
	v_mov_b32_e32 v30, v15
.LBB202_384:                            ;   in Loop: Header=BB202_301 Depth=1
	s_or_b32 exec_lo, exec_lo, s23
.LBB202_385:                            ;   in Loop: Header=BB202_301 Depth=1
	s_delay_alu instid0(SALU_CYCLE_1)
	s_or_b32 exec_lo, exec_lo, s22
.LBB202_386:                            ;   in Loop: Header=BB202_301 Depth=1
	s_delay_alu instid0(SALU_CYCLE_1) | instskip(SKIP_4) | instid1(VALU_DEP_3)
	s_or_b32 exec_lo, exec_lo, s21
	v_lshrrev_b32_e32 v41, 16, v40
	v_mov_b64_e32 v[36:37], 0
	v_mov_b64_e32 v[38:39], 0
	s_mov_b32 s21, exec_lo
	v_and_b32_e32 v14, 0xff, v41
	s_delay_alu instid0(VALU_DEP_1)
	v_cmpx_ne_u16_e32 0, v14
	s_cbranch_execz .LBB202_394
; %bb.387:                              ;   in Loop: Header=BB202_301 Depth=1
	v_mov_b64_e32 v[38:39], 0x80000000
	s_mov_b32 s22, exec_lo
	v_cmpx_ne_u16_e32 0x80, v14
	s_cbranch_execz .LBB202_393
; %bb.388:                              ;   in Loop: Header=BB202_301 Depth=1
	v_mov_b64_e32 v[38:39], 0x7f800001
	v_bfe_u32 v42, v40, 16, 7
	s_mov_b32 s23, exec_lo
	s_delay_alu instid0(VALU_DEP_1)
	v_cmpx_ne_u32_e32 0x7f, v42
	s_cbranch_execz .LBB202_392
; %bb.389:                              ;   in Loop: Header=BB202_301 Depth=1
	v_dual_lshrrev_b32 v38, 3, v42 :: v_dual_bitop2_b32 v14, 7, v41 bitop3:0x40
	s_mov_b32 s24, exec_lo
	v_cmpx_gt_u32_e32 8, v42
; %bb.390:                              ;   in Loop: Header=BB202_301 Depth=1
	s_delay_alu instid0(VALU_DEP_2) | instskip(NEXT) | instid1(VALU_DEP_1)
	v_clz_i32_u32_e32 v38, v14
	v_min_u32_e32 v38, 32, v38
	s_delay_alu instid0(VALU_DEP_1) | instskip(SKIP_1) | instid1(VALU_DEP_2)
	v_subrev_nc_u32_e32 v39, 28, v38
	v_sub_nc_u32_e32 v38, 29, v38
	v_lshlrev_b64_e32 v[42:43], v39, v[14:15]
	s_delay_alu instid0(VALU_DEP_1)
	v_and_b32_e32 v14, 7, v42
; %bb.391:                              ;   in Loop: Header=BB202_301 Depth=1
	s_or_b32 exec_lo, exec_lo, s24
	s_delay_alu instid0(VALU_DEP_1) | instskip(SKIP_1) | instid1(VALU_DEP_2)
	v_dual_lshlrev_b32 v39, 24, v41 :: v_dual_lshlrev_b32 v14, 20, v14
	v_lshl_add_u32 v38, v38, 23, 0x3c000000
	v_and_b32_e32 v39, 0x80000000, v39
	s_delay_alu instid0(VALU_DEP_1) | instskip(NEXT) | instid1(VALU_DEP_1)
	v_or3_b32 v14, v14, v39, v38
	v_mov_b64_e32 v[38:39], v[14:15]
.LBB202_392:                            ;   in Loop: Header=BB202_301 Depth=1
	s_or_b32 exec_lo, exec_lo, s23
.LBB202_393:                            ;   in Loop: Header=BB202_301 Depth=1
	s_delay_alu instid0(SALU_CYCLE_1)
	s_or_b32 exec_lo, exec_lo, s22
.LBB202_394:                            ;   in Loop: Header=BB202_301 Depth=1
	s_delay_alu instid0(SALU_CYCLE_1) | instskip(NEXT) | instid1(SALU_CYCLE_1)
	s_or_b32 exec_lo, exec_lo, s21
	s_mov_b32 s21, exec_lo
	v_cmpx_lt_u32_e32 0xffffff, v40
	s_cbranch_execz .LBB202_402
; %bb.395:                              ;   in Loop: Header=BB202_301 Depth=1
	v_mov_b64_e32 v[36:37], 0x8000000000000000
	v_lshrrev_b32_e32 v41, 24, v40
	s_mov_b32 s22, exec_lo
	s_delay_alu instid0(VALU_DEP_1)
	v_cmpx_ne_u32_e32 0x80, v41
	s_cbranch_execz .LBB202_401
; %bb.396:                              ;   in Loop: Header=BB202_301 Depth=1
	v_mov_b64_e32 v[36:37], 0x7f80000100000000
	v_bfe_u32 v40, v40, 24, 7
	s_mov_b32 s23, exec_lo
	s_delay_alu instid0(VALU_DEP_1)
	v_cmpx_ne_u32_e32 0x7f, v40
	s_cbranch_execz .LBB202_400
; %bb.397:                              ;   in Loop: Header=BB202_301 Depth=1
	v_dual_lshrrev_b32 v36, 3, v40 :: v_dual_bitop2_b32 v14, 7, v41 bitop3:0x40
	s_mov_b32 s24, exec_lo
	v_cmpx_gt_u32_e32 8, v40
; %bb.398:                              ;   in Loop: Header=BB202_301 Depth=1
	s_delay_alu instid0(VALU_DEP_2) | instskip(NEXT) | instid1(VALU_DEP_1)
	v_clz_i32_u32_e32 v36, v14
	v_min_u32_e32 v36, 32, v36
	s_delay_alu instid0(VALU_DEP_1) | instskip(NEXT) | instid1(VALU_DEP_1)
	v_subrev_nc_u32_e32 v37, 28, v36
	v_lshlrev_b64_e32 v[42:43], v37, v[14:15]
	s_delay_alu instid0(VALU_DEP_1)
	v_dual_sub_nc_u32 v36, 29, v36 :: v_dual_bitop2_b32 v14, 7, v42 bitop3:0x40
; %bb.399:                              ;   in Loop: Header=BB202_301 Depth=1
	s_or_b32 exec_lo, exec_lo, s24
	s_delay_alu instid0(VALU_DEP_1) | instskip(NEXT) | instid1(VALU_DEP_2)
	v_dual_lshlrev_b32 v37, 24, v41 :: v_dual_lshlrev_b32 v14, 20, v14
	v_lshl_add_u32 v36, v36, 23, 0x3c000000
	s_delay_alu instid0(VALU_DEP_2) | instskip(NEXT) | instid1(VALU_DEP_1)
	v_and_b32_e32 v37, 0x80000000, v37
	v_or3_b32 v37, v14, v37, v36
	v_mov_b32_e32 v36, v15
.LBB202_400:                            ;   in Loop: Header=BB202_301 Depth=1
	s_or_b32 exec_lo, exec_lo, s23
.LBB202_401:                            ;   in Loop: Header=BB202_301 Depth=1
	s_delay_alu instid0(SALU_CYCLE_1)
	s_or_b32 exec_lo, exec_lo, s22
.LBB202_402:                            ;   in Loop: Header=BB202_301 Depth=1
	s_delay_alu instid0(SALU_CYCLE_1)
	s_or_b32 exec_lo, exec_lo, s21
	v_mov_b64_e32 v[40:41], s[4:5]
	v_or_b32_e32 v31, v31, v33
	v_or_b32_e32 v30, v30, v32
	v_or_b32_e32 v37, v37, v39
	v_or_b32_e32 v36, v36, v38
	s_delay_alu instid0(VALU_DEP_3) | instskip(NEXT) | instid1(VALU_DEP_2)
	v_pk_mul_f32 v[32:33], v[40:41], v[30:31]
	v_pk_mul_f32 v[30:31], v[40:41], v[36:37]
	s_and_saveexec_b32 s21, vcc_lo
	s_cbranch_execz .LBB202_404
; %bb.403:                              ;   in Loop: Header=BB202_301 Depth=1
	v_cmp_gt_i32_e64 s0, s31, v35
	s_delay_alu instid0(VALU_DEP_1) | instskip(SKIP_1) | instid1(VALU_DEP_1)
	v_cndmask_b32_e64 v32, 0, v32, s0
	v_cmp_gt_i32_e64 s0, s31, v65
	v_cndmask_b32_e64 v33, 0, v33, s0
	v_cmp_gt_i32_e64 s0, s31, v57
	s_delay_alu instid0(VALU_DEP_1) | instskip(SKIP_1) | instid1(VALU_DEP_1)
	v_cndmask_b32_e64 v30, 0, v30, s0
	v_cmp_gt_i32_e64 s0, s31, v56
	v_cndmask_b32_e64 v31, 0, v31, s0
.LBB202_404:                            ;   in Loop: Header=BB202_301 Depth=1
	s_or_b32 exec_lo, exec_lo, s21
	global_load_b32 v44, v[24:25], off offset:384
	v_mov_b64_e32 v[36:37], 0
	v_mov_b64_e32 v[38:39], 0
	s_mov_b32 s21, exec_lo
	s_wait_loadcnt 0x0
	v_and_b32_e32 v14, 0xff, v44
	s_delay_alu instid0(VALU_DEP_1)
	v_cmpx_ne_u16_e32 0, v14
	s_cbranch_execz .LBB202_412
; %bb.405:                              ;   in Loop: Header=BB202_301 Depth=1
	v_mov_b64_e32 v[38:39], 0x80000000
	s_mov_b32 s22, exec_lo
	v_cmpx_ne_u16_e32 0x80, v14
	s_cbranch_execz .LBB202_411
; %bb.406:                              ;   in Loop: Header=BB202_301 Depth=1
	v_mov_b64_e32 v[38:39], 0x7f800001
	v_and_b32_e32 v40, 0x7f, v44
	s_mov_b32 s23, exec_lo
	s_delay_alu instid0(VALU_DEP_1)
	v_cmpx_ne_u32_e32 0x7f, v40
	s_cbranch_execz .LBB202_410
; %bb.407:                              ;   in Loop: Header=BB202_301 Depth=1
	v_and_b32_e32 v14, 7, v44
	v_lshrrev_b32_e32 v38, 3, v40
	s_mov_b32 s24, exec_lo
	v_cmpx_gt_u32_e32 8, v40
; %bb.408:                              ;   in Loop: Header=BB202_301 Depth=1
	s_delay_alu instid0(VALU_DEP_3) | instskip(NEXT) | instid1(VALU_DEP_1)
	v_clz_i32_u32_e32 v38, v14
	v_min_u32_e32 v38, 32, v38
	s_delay_alu instid0(VALU_DEP_1) | instskip(NEXT) | instid1(VALU_DEP_1)
	v_subrev_nc_u32_e32 v39, 28, v38
	v_lshlrev_b64_e32 v[40:41], v39, v[14:15]
	s_delay_alu instid0(VALU_DEP_1)
	v_dual_sub_nc_u32 v38, 29, v38 :: v_dual_bitop2_b32 v14, 7, v40 bitop3:0x40
; %bb.409:                              ;   in Loop: Header=BB202_301 Depth=1
	s_or_b32 exec_lo, exec_lo, s24
	s_delay_alu instid0(VALU_DEP_1) | instskip(NEXT) | instid1(VALU_DEP_2)
	v_dual_lshlrev_b32 v39, 24, v44 :: v_dual_lshlrev_b32 v14, 20, v14
	v_lshl_add_u32 v38, v38, 23, 0x3c000000
	s_delay_alu instid0(VALU_DEP_2) | instskip(NEXT) | instid1(VALU_DEP_1)
	v_and_b32_e32 v39, 0x80000000, v39
	v_or3_b32 v14, v14, v39, v38
	s_delay_alu instid0(VALU_DEP_1)
	v_mov_b64_e32 v[38:39], v[14:15]
.LBB202_410:                            ;   in Loop: Header=BB202_301 Depth=1
	s_or_b32 exec_lo, exec_lo, s23
.LBB202_411:                            ;   in Loop: Header=BB202_301 Depth=1
	s_delay_alu instid0(SALU_CYCLE_1)
	s_or_b32 exec_lo, exec_lo, s22
.LBB202_412:                            ;   in Loop: Header=BB202_301 Depth=1
	s_delay_alu instid0(SALU_CYCLE_1) | instskip(SKIP_2) | instid1(VALU_DEP_1)
	s_or_b32 exec_lo, exec_lo, s21
	v_lshrrev_b16 v14, 8, v44
	s_mov_b32 s21, exec_lo
	v_cmpx_ne_u16_e32 0, v14
	s_cbranch_execz .LBB202_420
; %bb.413:                              ;   in Loop: Header=BB202_301 Depth=1
	v_mov_b64_e32 v[36:37], 0x8000000000000000
	s_mov_b32 s22, exec_lo
	v_cmpx_ne_u16_e32 0x80, v14
	s_cbranch_execz .LBB202_419
; %bb.414:                              ;   in Loop: Header=BB202_301 Depth=1
	v_and_b32_e32 v14, 0xffff, v14
	v_mov_b64_e32 v[36:37], 0x7f80000100000000
	s_mov_b32 s23, exec_lo
	s_delay_alu instid0(VALU_DEP_2) | instskip(NEXT) | instid1(VALU_DEP_1)
	v_and_b32_e32 v40, 0x7f, v14
	v_cmpx_ne_u32_e32 0x7f, v40
	s_cbranch_execz .LBB202_418
; %bb.415:                              ;   in Loop: Header=BB202_301 Depth=1
	v_dual_lshrrev_b32 v36, 3, v40 :: v_dual_bitop2_b32 v14, 7, v14 bitop3:0x40
	s_mov_b32 s24, exec_lo
	v_cmpx_gt_u32_e32 8, v40
; %bb.416:                              ;   in Loop: Header=BB202_301 Depth=1
	s_delay_alu instid0(VALU_DEP_2) | instskip(NEXT) | instid1(VALU_DEP_1)
	v_clz_i32_u32_e32 v36, v14
	v_min_u32_e32 v36, 32, v36
	s_delay_alu instid0(VALU_DEP_1) | instskip(SKIP_1) | instid1(VALU_DEP_2)
	v_subrev_nc_u32_e32 v37, 28, v36
	v_sub_nc_u32_e32 v36, 29, v36
	v_lshlrev_b64_e32 v[40:41], v37, v[14:15]
	s_delay_alu instid0(VALU_DEP_1)
	v_and_b32_e32 v14, 7, v40
; %bb.417:                              ;   in Loop: Header=BB202_301 Depth=1
	s_or_b32 exec_lo, exec_lo, s24
	s_delay_alu instid0(VALU_DEP_1) | instskip(SKIP_1) | instid1(VALU_DEP_2)
	v_dual_lshlrev_b32 v37, 16, v44 :: v_dual_lshlrev_b32 v14, 20, v14
	v_lshl_add_u32 v36, v36, 23, 0x3c000000
	v_and_b32_e32 v37, 0x80000000, v37
	s_delay_alu instid0(VALU_DEP_1)
	v_or3_b32 v37, v14, v37, v36
	v_mov_b32_e32 v36, v15
.LBB202_418:                            ;   in Loop: Header=BB202_301 Depth=1
	s_or_b32 exec_lo, exec_lo, s23
.LBB202_419:                            ;   in Loop: Header=BB202_301 Depth=1
	s_delay_alu instid0(SALU_CYCLE_1)
	s_or_b32 exec_lo, exec_lo, s22
.LBB202_420:                            ;   in Loop: Header=BB202_301 Depth=1
	s_delay_alu instid0(SALU_CYCLE_1) | instskip(SKIP_4) | instid1(VALU_DEP_3)
	s_or_b32 exec_lo, exec_lo, s21
	v_lshrrev_b32_e32 v45, 16, v44
	v_mov_b64_e32 v[40:41], 0
	v_mov_b64_e32 v[42:43], 0
	s_mov_b32 s21, exec_lo
	v_and_b32_e32 v14, 0xff, v45
	s_delay_alu instid0(VALU_DEP_1)
	v_cmpx_ne_u16_e32 0, v14
	s_cbranch_execz .LBB202_428
; %bb.421:                              ;   in Loop: Header=BB202_301 Depth=1
	v_mov_b64_e32 v[42:43], 0x80000000
	s_mov_b32 s22, exec_lo
	v_cmpx_ne_u16_e32 0x80, v14
	s_cbranch_execz .LBB202_427
; %bb.422:                              ;   in Loop: Header=BB202_301 Depth=1
	v_mov_b64_e32 v[42:43], 0x7f800001
	v_bfe_u32 v46, v44, 16, 7
	s_mov_b32 s23, exec_lo
	s_delay_alu instid0(VALU_DEP_1)
	v_cmpx_ne_u32_e32 0x7f, v46
	s_cbranch_execz .LBB202_426
; %bb.423:                              ;   in Loop: Header=BB202_301 Depth=1
	v_dual_lshrrev_b32 v42, 3, v46 :: v_dual_bitop2_b32 v14, 7, v45 bitop3:0x40
	s_mov_b32 s24, exec_lo
	v_cmpx_gt_u32_e32 8, v46
; %bb.424:                              ;   in Loop: Header=BB202_301 Depth=1
	s_delay_alu instid0(VALU_DEP_2) | instskip(NEXT) | instid1(VALU_DEP_1)
	v_clz_i32_u32_e32 v42, v14
	v_min_u32_e32 v42, 32, v42
	s_delay_alu instid0(VALU_DEP_1) | instskip(SKIP_1) | instid1(VALU_DEP_2)
	v_subrev_nc_u32_e32 v43, 28, v42
	v_sub_nc_u32_e32 v42, 29, v42
	v_lshlrev_b64_e32 v[46:47], v43, v[14:15]
	s_delay_alu instid0(VALU_DEP_1)
	v_and_b32_e32 v14, 7, v46
; %bb.425:                              ;   in Loop: Header=BB202_301 Depth=1
	s_or_b32 exec_lo, exec_lo, s24
	s_delay_alu instid0(VALU_DEP_1) | instskip(SKIP_1) | instid1(VALU_DEP_2)
	v_dual_lshlrev_b32 v43, 24, v45 :: v_dual_lshlrev_b32 v14, 20, v14
	v_lshl_add_u32 v42, v42, 23, 0x3c000000
	v_and_b32_e32 v43, 0x80000000, v43
	s_delay_alu instid0(VALU_DEP_1) | instskip(NEXT) | instid1(VALU_DEP_1)
	v_or3_b32 v14, v14, v43, v42
	v_mov_b64_e32 v[42:43], v[14:15]
.LBB202_426:                            ;   in Loop: Header=BB202_301 Depth=1
	s_or_b32 exec_lo, exec_lo, s23
.LBB202_427:                            ;   in Loop: Header=BB202_301 Depth=1
	s_delay_alu instid0(SALU_CYCLE_1)
	s_or_b32 exec_lo, exec_lo, s22
.LBB202_428:                            ;   in Loop: Header=BB202_301 Depth=1
	s_delay_alu instid0(SALU_CYCLE_1) | instskip(NEXT) | instid1(SALU_CYCLE_1)
	s_or_b32 exec_lo, exec_lo, s21
	s_mov_b32 s21, exec_lo
	v_cmpx_lt_u32_e32 0xffffff, v44
	s_cbranch_execz .LBB202_436
; %bb.429:                              ;   in Loop: Header=BB202_301 Depth=1
	v_mov_b64_e32 v[40:41], 0x8000000000000000
	v_lshrrev_b32_e32 v45, 24, v44
	s_mov_b32 s22, exec_lo
	s_delay_alu instid0(VALU_DEP_1)
	v_cmpx_ne_u32_e32 0x80, v45
	s_cbranch_execz .LBB202_435
; %bb.430:                              ;   in Loop: Header=BB202_301 Depth=1
	v_mov_b64_e32 v[40:41], 0x7f80000100000000
	v_bfe_u32 v44, v44, 24, 7
	s_mov_b32 s23, exec_lo
	s_delay_alu instid0(VALU_DEP_1)
	v_cmpx_ne_u32_e32 0x7f, v44
	s_cbranch_execz .LBB202_434
; %bb.431:                              ;   in Loop: Header=BB202_301 Depth=1
	v_dual_lshrrev_b32 v40, 3, v44 :: v_dual_bitop2_b32 v14, 7, v45 bitop3:0x40
	s_mov_b32 s24, exec_lo
	v_cmpx_gt_u32_e32 8, v44
; %bb.432:                              ;   in Loop: Header=BB202_301 Depth=1
	s_delay_alu instid0(VALU_DEP_2) | instskip(NEXT) | instid1(VALU_DEP_1)
	v_clz_i32_u32_e32 v40, v14
	v_min_u32_e32 v40, 32, v40
	s_delay_alu instid0(VALU_DEP_1) | instskip(NEXT) | instid1(VALU_DEP_1)
	v_subrev_nc_u32_e32 v41, 28, v40
	v_lshlrev_b64_e32 v[46:47], v41, v[14:15]
	s_delay_alu instid0(VALU_DEP_1)
	v_dual_sub_nc_u32 v40, 29, v40 :: v_dual_bitop2_b32 v14, 7, v46 bitop3:0x40
; %bb.433:                              ;   in Loop: Header=BB202_301 Depth=1
	s_or_b32 exec_lo, exec_lo, s24
	s_delay_alu instid0(VALU_DEP_1) | instskip(NEXT) | instid1(VALU_DEP_2)
	v_dual_lshlrev_b32 v41, 24, v45 :: v_dual_lshlrev_b32 v14, 20, v14
	v_lshl_add_u32 v40, v40, 23, 0x3c000000
	s_delay_alu instid0(VALU_DEP_2) | instskip(NEXT) | instid1(VALU_DEP_1)
	v_and_b32_e32 v41, 0x80000000, v41
	v_or3_b32 v41, v14, v41, v40
	v_mov_b32_e32 v40, v15
.LBB202_434:                            ;   in Loop: Header=BB202_301 Depth=1
	s_or_b32 exec_lo, exec_lo, s23
.LBB202_435:                            ;   in Loop: Header=BB202_301 Depth=1
	s_delay_alu instid0(SALU_CYCLE_1)
	s_or_b32 exec_lo, exec_lo, s22
.LBB202_436:                            ;   in Loop: Header=BB202_301 Depth=1
	s_delay_alu instid0(SALU_CYCLE_1)
	s_or_b32 exec_lo, exec_lo, s21
	v_mov_b64_e32 v[44:45], s[4:5]
	v_or_b32_e32 v37, v37, v39
	v_or_b32_e32 v36, v36, v38
	;; [unrolled: 1-line block ×4, first 2 shown]
	s_delay_alu instid0(VALU_DEP_3) | instskip(NEXT) | instid1(VALU_DEP_2)
	v_pk_mul_f32 v[38:39], v[44:45], v[36:37]
	v_pk_mul_f32 v[36:37], v[44:45], v[40:41]
	s_and_saveexec_b32 s21, vcc_lo
	s_cbranch_execz .LBB202_438
; %bb.437:                              ;   in Loop: Header=BB202_301 Depth=1
	v_cmp_gt_i32_e64 s0, s31, v35
	s_delay_alu instid0(VALU_DEP_1) | instskip(SKIP_1) | instid1(VALU_DEP_1)
	v_cndmask_b32_e64 v38, 0, v38, s0
	v_cmp_gt_i32_e64 s0, s31, v65
	v_cndmask_b32_e64 v39, 0, v39, s0
	v_cmp_gt_i32_e64 s0, s31, v57
	s_delay_alu instid0(VALU_DEP_1) | instskip(SKIP_1) | instid1(VALU_DEP_1)
	v_cndmask_b32_e64 v36, 0, v36, s0
	v_cmp_gt_i32_e64 s0, s31, v56
	v_cndmask_b32_e64 v37, 0, v37, s0
.LBB202_438:                            ;   in Loop: Header=BB202_301 Depth=1
	s_or_b32 exec_lo, exec_lo, s21
	global_load_b32 v48, v[24:25], off offset:512
	v_mov_b64_e32 v[40:41], 0
	v_mov_b64_e32 v[42:43], 0
	s_mov_b32 s21, exec_lo
	s_wait_loadcnt 0x0
	v_and_b32_e32 v14, 0xff, v48
	s_delay_alu instid0(VALU_DEP_1)
	v_cmpx_ne_u16_e32 0, v14
	s_cbranch_execz .LBB202_446
; %bb.439:                              ;   in Loop: Header=BB202_301 Depth=1
	v_mov_b64_e32 v[42:43], 0x80000000
	s_mov_b32 s22, exec_lo
	v_cmpx_ne_u16_e32 0x80, v14
	s_cbranch_execz .LBB202_445
; %bb.440:                              ;   in Loop: Header=BB202_301 Depth=1
	v_mov_b64_e32 v[42:43], 0x7f800001
	v_and_b32_e32 v44, 0x7f, v48
	s_mov_b32 s23, exec_lo
	s_delay_alu instid0(VALU_DEP_1)
	v_cmpx_ne_u32_e32 0x7f, v44
	s_cbranch_execz .LBB202_444
; %bb.441:                              ;   in Loop: Header=BB202_301 Depth=1
	v_and_b32_e32 v14, 7, v48
	v_lshrrev_b32_e32 v42, 3, v44
	s_mov_b32 s24, exec_lo
	v_cmpx_gt_u32_e32 8, v44
; %bb.442:                              ;   in Loop: Header=BB202_301 Depth=1
	s_delay_alu instid0(VALU_DEP_3) | instskip(NEXT) | instid1(VALU_DEP_1)
	v_clz_i32_u32_e32 v42, v14
	v_min_u32_e32 v42, 32, v42
	s_delay_alu instid0(VALU_DEP_1) | instskip(NEXT) | instid1(VALU_DEP_1)
	v_subrev_nc_u32_e32 v43, 28, v42
	v_lshlrev_b64_e32 v[44:45], v43, v[14:15]
	s_delay_alu instid0(VALU_DEP_1)
	v_dual_sub_nc_u32 v42, 29, v42 :: v_dual_bitop2_b32 v14, 7, v44 bitop3:0x40
; %bb.443:                              ;   in Loop: Header=BB202_301 Depth=1
	s_or_b32 exec_lo, exec_lo, s24
	s_delay_alu instid0(VALU_DEP_1) | instskip(NEXT) | instid1(VALU_DEP_2)
	v_dual_lshlrev_b32 v43, 24, v48 :: v_dual_lshlrev_b32 v14, 20, v14
	v_lshl_add_u32 v42, v42, 23, 0x3c000000
	s_delay_alu instid0(VALU_DEP_2) | instskip(NEXT) | instid1(VALU_DEP_1)
	v_and_b32_e32 v43, 0x80000000, v43
	v_or3_b32 v14, v14, v43, v42
	s_delay_alu instid0(VALU_DEP_1)
	v_mov_b64_e32 v[42:43], v[14:15]
.LBB202_444:                            ;   in Loop: Header=BB202_301 Depth=1
	s_or_b32 exec_lo, exec_lo, s23
.LBB202_445:                            ;   in Loop: Header=BB202_301 Depth=1
	s_delay_alu instid0(SALU_CYCLE_1)
	s_or_b32 exec_lo, exec_lo, s22
.LBB202_446:                            ;   in Loop: Header=BB202_301 Depth=1
	s_delay_alu instid0(SALU_CYCLE_1) | instskip(SKIP_2) | instid1(VALU_DEP_1)
	s_or_b32 exec_lo, exec_lo, s21
	v_lshrrev_b16 v14, 8, v48
	s_mov_b32 s21, exec_lo
	v_cmpx_ne_u16_e32 0, v14
	s_cbranch_execz .LBB202_454
; %bb.447:                              ;   in Loop: Header=BB202_301 Depth=1
	v_mov_b64_e32 v[40:41], 0x8000000000000000
	s_mov_b32 s22, exec_lo
	v_cmpx_ne_u16_e32 0x80, v14
	s_cbranch_execz .LBB202_453
; %bb.448:                              ;   in Loop: Header=BB202_301 Depth=1
	v_and_b32_e32 v14, 0xffff, v14
	v_mov_b64_e32 v[40:41], 0x7f80000100000000
	s_mov_b32 s23, exec_lo
	s_delay_alu instid0(VALU_DEP_2) | instskip(NEXT) | instid1(VALU_DEP_1)
	v_and_b32_e32 v44, 0x7f, v14
	v_cmpx_ne_u32_e32 0x7f, v44
	s_cbranch_execz .LBB202_452
; %bb.449:                              ;   in Loop: Header=BB202_301 Depth=1
	v_dual_lshrrev_b32 v40, 3, v44 :: v_dual_bitop2_b32 v14, 7, v14 bitop3:0x40
	s_mov_b32 s24, exec_lo
	v_cmpx_gt_u32_e32 8, v44
; %bb.450:                              ;   in Loop: Header=BB202_301 Depth=1
	s_delay_alu instid0(VALU_DEP_2) | instskip(NEXT) | instid1(VALU_DEP_1)
	v_clz_i32_u32_e32 v40, v14
	v_min_u32_e32 v40, 32, v40
	s_delay_alu instid0(VALU_DEP_1) | instskip(SKIP_1) | instid1(VALU_DEP_2)
	v_subrev_nc_u32_e32 v41, 28, v40
	v_sub_nc_u32_e32 v40, 29, v40
	v_lshlrev_b64_e32 v[44:45], v41, v[14:15]
	s_delay_alu instid0(VALU_DEP_1)
	v_and_b32_e32 v14, 7, v44
; %bb.451:                              ;   in Loop: Header=BB202_301 Depth=1
	s_or_b32 exec_lo, exec_lo, s24
	s_delay_alu instid0(VALU_DEP_1) | instskip(SKIP_1) | instid1(VALU_DEP_2)
	v_dual_lshlrev_b32 v41, 16, v48 :: v_dual_lshlrev_b32 v14, 20, v14
	v_lshl_add_u32 v40, v40, 23, 0x3c000000
	v_and_b32_e32 v41, 0x80000000, v41
	s_delay_alu instid0(VALU_DEP_1)
	v_or3_b32 v41, v14, v41, v40
	v_mov_b32_e32 v40, v15
.LBB202_452:                            ;   in Loop: Header=BB202_301 Depth=1
	s_or_b32 exec_lo, exec_lo, s23
.LBB202_453:                            ;   in Loop: Header=BB202_301 Depth=1
	s_delay_alu instid0(SALU_CYCLE_1)
	s_or_b32 exec_lo, exec_lo, s22
.LBB202_454:                            ;   in Loop: Header=BB202_301 Depth=1
	s_delay_alu instid0(SALU_CYCLE_1) | instskip(SKIP_4) | instid1(VALU_DEP_3)
	s_or_b32 exec_lo, exec_lo, s21
	v_lshrrev_b32_e32 v49, 16, v48
	v_mov_b64_e32 v[44:45], 0
	v_mov_b64_e32 v[46:47], 0
	s_mov_b32 s21, exec_lo
	v_and_b32_e32 v14, 0xff, v49
	s_delay_alu instid0(VALU_DEP_1)
	v_cmpx_ne_u16_e32 0, v14
	s_cbranch_execz .LBB202_462
; %bb.455:                              ;   in Loop: Header=BB202_301 Depth=1
	v_mov_b64_e32 v[46:47], 0x80000000
	s_mov_b32 s22, exec_lo
	v_cmpx_ne_u16_e32 0x80, v14
	s_cbranch_execz .LBB202_461
; %bb.456:                              ;   in Loop: Header=BB202_301 Depth=1
	v_mov_b64_e32 v[46:47], 0x7f800001
	v_bfe_u32 v50, v48, 16, 7
	s_mov_b32 s23, exec_lo
	s_delay_alu instid0(VALU_DEP_1)
	v_cmpx_ne_u32_e32 0x7f, v50
	s_cbranch_execz .LBB202_460
; %bb.457:                              ;   in Loop: Header=BB202_301 Depth=1
	v_dual_lshrrev_b32 v46, 3, v50 :: v_dual_bitop2_b32 v14, 7, v49 bitop3:0x40
	s_mov_b32 s24, exec_lo
	v_cmpx_gt_u32_e32 8, v50
; %bb.458:                              ;   in Loop: Header=BB202_301 Depth=1
	s_delay_alu instid0(VALU_DEP_2) | instskip(NEXT) | instid1(VALU_DEP_1)
	v_clz_i32_u32_e32 v46, v14
	v_min_u32_e32 v46, 32, v46
	s_delay_alu instid0(VALU_DEP_1) | instskip(SKIP_1) | instid1(VALU_DEP_2)
	v_subrev_nc_u32_e32 v47, 28, v46
	v_sub_nc_u32_e32 v46, 29, v46
	v_lshlrev_b64_e32 v[50:51], v47, v[14:15]
	s_delay_alu instid0(VALU_DEP_1)
	v_and_b32_e32 v14, 7, v50
; %bb.459:                              ;   in Loop: Header=BB202_301 Depth=1
	s_or_b32 exec_lo, exec_lo, s24
	s_delay_alu instid0(VALU_DEP_1) | instskip(SKIP_1) | instid1(VALU_DEP_2)
	v_dual_lshlrev_b32 v47, 24, v49 :: v_dual_lshlrev_b32 v14, 20, v14
	v_lshl_add_u32 v46, v46, 23, 0x3c000000
	v_and_b32_e32 v47, 0x80000000, v47
	s_delay_alu instid0(VALU_DEP_1) | instskip(NEXT) | instid1(VALU_DEP_1)
	v_or3_b32 v14, v14, v47, v46
	v_mov_b64_e32 v[46:47], v[14:15]
.LBB202_460:                            ;   in Loop: Header=BB202_301 Depth=1
	s_or_b32 exec_lo, exec_lo, s23
.LBB202_461:                            ;   in Loop: Header=BB202_301 Depth=1
	s_delay_alu instid0(SALU_CYCLE_1)
	s_or_b32 exec_lo, exec_lo, s22
.LBB202_462:                            ;   in Loop: Header=BB202_301 Depth=1
	s_delay_alu instid0(SALU_CYCLE_1) | instskip(NEXT) | instid1(SALU_CYCLE_1)
	s_or_b32 exec_lo, exec_lo, s21
	s_mov_b32 s21, exec_lo
	v_cmpx_lt_u32_e32 0xffffff, v48
	s_cbranch_execz .LBB202_470
; %bb.463:                              ;   in Loop: Header=BB202_301 Depth=1
	v_mov_b64_e32 v[44:45], 0x8000000000000000
	v_lshrrev_b32_e32 v49, 24, v48
	s_mov_b32 s22, exec_lo
	s_delay_alu instid0(VALU_DEP_1)
	v_cmpx_ne_u32_e32 0x80, v49
	s_cbranch_execz .LBB202_469
; %bb.464:                              ;   in Loop: Header=BB202_301 Depth=1
	v_mov_b64_e32 v[44:45], 0x7f80000100000000
	v_bfe_u32 v48, v48, 24, 7
	s_mov_b32 s23, exec_lo
	s_delay_alu instid0(VALU_DEP_1)
	v_cmpx_ne_u32_e32 0x7f, v48
	s_cbranch_execz .LBB202_468
; %bb.465:                              ;   in Loop: Header=BB202_301 Depth=1
	v_dual_lshrrev_b32 v44, 3, v48 :: v_dual_bitop2_b32 v14, 7, v49 bitop3:0x40
	s_mov_b32 s24, exec_lo
	v_cmpx_gt_u32_e32 8, v48
; %bb.466:                              ;   in Loop: Header=BB202_301 Depth=1
	s_delay_alu instid0(VALU_DEP_2) | instskip(NEXT) | instid1(VALU_DEP_1)
	v_clz_i32_u32_e32 v44, v14
	v_min_u32_e32 v44, 32, v44
	s_delay_alu instid0(VALU_DEP_1) | instskip(NEXT) | instid1(VALU_DEP_1)
	v_subrev_nc_u32_e32 v45, 28, v44
	v_lshlrev_b64_e32 v[50:51], v45, v[14:15]
	s_delay_alu instid0(VALU_DEP_1)
	v_dual_sub_nc_u32 v44, 29, v44 :: v_dual_bitop2_b32 v14, 7, v50 bitop3:0x40
; %bb.467:                              ;   in Loop: Header=BB202_301 Depth=1
	s_or_b32 exec_lo, exec_lo, s24
	s_delay_alu instid0(VALU_DEP_1) | instskip(NEXT) | instid1(VALU_DEP_2)
	v_dual_lshlrev_b32 v45, 24, v49 :: v_dual_lshlrev_b32 v14, 20, v14
	v_lshl_add_u32 v44, v44, 23, 0x3c000000
	s_delay_alu instid0(VALU_DEP_2) | instskip(NEXT) | instid1(VALU_DEP_1)
	v_and_b32_e32 v45, 0x80000000, v45
	v_or3_b32 v45, v14, v45, v44
	v_mov_b32_e32 v44, v15
.LBB202_468:                            ;   in Loop: Header=BB202_301 Depth=1
	s_or_b32 exec_lo, exec_lo, s23
.LBB202_469:                            ;   in Loop: Header=BB202_301 Depth=1
	s_delay_alu instid0(SALU_CYCLE_1)
	s_or_b32 exec_lo, exec_lo, s22
.LBB202_470:                            ;   in Loop: Header=BB202_301 Depth=1
	s_delay_alu instid0(SALU_CYCLE_1)
	s_or_b32 exec_lo, exec_lo, s21
	v_mov_b64_e32 v[48:49], s[4:5]
	v_or_b32_e32 v41, v41, v43
	v_or_b32_e32 v40, v40, v42
	;; [unrolled: 1-line block ×4, first 2 shown]
	s_delay_alu instid0(VALU_DEP_3) | instskip(NEXT) | instid1(VALU_DEP_2)
	v_pk_mul_f32 v[42:43], v[48:49], v[40:41]
	v_pk_mul_f32 v[40:41], v[48:49], v[44:45]
	s_and_saveexec_b32 s21, vcc_lo
	s_cbranch_execz .LBB202_472
; %bb.471:                              ;   in Loop: Header=BB202_301 Depth=1
	v_cmp_gt_i32_e64 s0, s31, v35
	s_delay_alu instid0(VALU_DEP_1) | instskip(SKIP_1) | instid1(VALU_DEP_1)
	v_cndmask_b32_e64 v42, 0, v42, s0
	v_cmp_gt_i32_e64 s0, s31, v65
	v_cndmask_b32_e64 v43, 0, v43, s0
	v_cmp_gt_i32_e64 s0, s31, v57
	s_delay_alu instid0(VALU_DEP_1) | instskip(SKIP_1) | instid1(VALU_DEP_1)
	v_cndmask_b32_e64 v40, 0, v40, s0
	v_cmp_gt_i32_e64 s0, s31, v56
	v_cndmask_b32_e64 v41, 0, v41, s0
.LBB202_472:                            ;   in Loop: Header=BB202_301 Depth=1
	s_or_b32 exec_lo, exec_lo, s21
	global_load_b32 v52, v[24:25], off offset:640
	v_mov_b64_e32 v[44:45], 0
	v_mov_b64_e32 v[46:47], 0
	s_mov_b32 s21, exec_lo
	s_wait_loadcnt 0x0
	v_and_b32_e32 v14, 0xff, v52
	s_delay_alu instid0(VALU_DEP_1)
	v_cmpx_ne_u16_e32 0, v14
	s_cbranch_execz .LBB202_480
; %bb.473:                              ;   in Loop: Header=BB202_301 Depth=1
	v_mov_b64_e32 v[46:47], 0x80000000
	s_mov_b32 s22, exec_lo
	v_cmpx_ne_u16_e32 0x80, v14
	s_cbranch_execz .LBB202_479
; %bb.474:                              ;   in Loop: Header=BB202_301 Depth=1
	v_mov_b64_e32 v[46:47], 0x7f800001
	v_and_b32_e32 v48, 0x7f, v52
	s_mov_b32 s23, exec_lo
	s_delay_alu instid0(VALU_DEP_1)
	v_cmpx_ne_u32_e32 0x7f, v48
	s_cbranch_execz .LBB202_478
; %bb.475:                              ;   in Loop: Header=BB202_301 Depth=1
	v_and_b32_e32 v14, 7, v52
	v_lshrrev_b32_e32 v46, 3, v48
	s_mov_b32 s24, exec_lo
	v_cmpx_gt_u32_e32 8, v48
; %bb.476:                              ;   in Loop: Header=BB202_301 Depth=1
	s_delay_alu instid0(VALU_DEP_3) | instskip(NEXT) | instid1(VALU_DEP_1)
	v_clz_i32_u32_e32 v46, v14
	v_min_u32_e32 v46, 32, v46
	s_delay_alu instid0(VALU_DEP_1) | instskip(NEXT) | instid1(VALU_DEP_1)
	v_subrev_nc_u32_e32 v47, 28, v46
	v_lshlrev_b64_e32 v[48:49], v47, v[14:15]
	s_delay_alu instid0(VALU_DEP_1)
	v_dual_sub_nc_u32 v46, 29, v46 :: v_dual_bitop2_b32 v14, 7, v48 bitop3:0x40
; %bb.477:                              ;   in Loop: Header=BB202_301 Depth=1
	s_or_b32 exec_lo, exec_lo, s24
	s_delay_alu instid0(VALU_DEP_1) | instskip(NEXT) | instid1(VALU_DEP_2)
	v_dual_lshlrev_b32 v47, 24, v52 :: v_dual_lshlrev_b32 v14, 20, v14
	v_lshl_add_u32 v46, v46, 23, 0x3c000000
	s_delay_alu instid0(VALU_DEP_2) | instskip(NEXT) | instid1(VALU_DEP_1)
	v_and_b32_e32 v47, 0x80000000, v47
	v_or3_b32 v14, v14, v47, v46
	s_delay_alu instid0(VALU_DEP_1)
	v_mov_b64_e32 v[46:47], v[14:15]
.LBB202_478:                            ;   in Loop: Header=BB202_301 Depth=1
	s_or_b32 exec_lo, exec_lo, s23
.LBB202_479:                            ;   in Loop: Header=BB202_301 Depth=1
	s_delay_alu instid0(SALU_CYCLE_1)
	s_or_b32 exec_lo, exec_lo, s22
.LBB202_480:                            ;   in Loop: Header=BB202_301 Depth=1
	s_delay_alu instid0(SALU_CYCLE_1) | instskip(SKIP_2) | instid1(VALU_DEP_1)
	s_or_b32 exec_lo, exec_lo, s21
	v_lshrrev_b16 v14, 8, v52
	s_mov_b32 s21, exec_lo
	v_cmpx_ne_u16_e32 0, v14
	s_cbranch_execz .LBB202_488
; %bb.481:                              ;   in Loop: Header=BB202_301 Depth=1
	v_mov_b64_e32 v[44:45], 0x8000000000000000
	s_mov_b32 s22, exec_lo
	v_cmpx_ne_u16_e32 0x80, v14
	s_cbranch_execz .LBB202_487
; %bb.482:                              ;   in Loop: Header=BB202_301 Depth=1
	v_and_b32_e32 v14, 0xffff, v14
	v_mov_b64_e32 v[44:45], 0x7f80000100000000
	s_mov_b32 s23, exec_lo
	s_delay_alu instid0(VALU_DEP_2) | instskip(NEXT) | instid1(VALU_DEP_1)
	v_and_b32_e32 v48, 0x7f, v14
	v_cmpx_ne_u32_e32 0x7f, v48
	s_cbranch_execz .LBB202_486
; %bb.483:                              ;   in Loop: Header=BB202_301 Depth=1
	v_dual_lshrrev_b32 v44, 3, v48 :: v_dual_bitop2_b32 v14, 7, v14 bitop3:0x40
	s_mov_b32 s24, exec_lo
	v_cmpx_gt_u32_e32 8, v48
; %bb.484:                              ;   in Loop: Header=BB202_301 Depth=1
	s_delay_alu instid0(VALU_DEP_2) | instskip(NEXT) | instid1(VALU_DEP_1)
	v_clz_i32_u32_e32 v44, v14
	v_min_u32_e32 v44, 32, v44
	s_delay_alu instid0(VALU_DEP_1) | instskip(SKIP_1) | instid1(VALU_DEP_2)
	v_subrev_nc_u32_e32 v45, 28, v44
	v_sub_nc_u32_e32 v44, 29, v44
	v_lshlrev_b64_e32 v[48:49], v45, v[14:15]
	s_delay_alu instid0(VALU_DEP_1)
	v_and_b32_e32 v14, 7, v48
; %bb.485:                              ;   in Loop: Header=BB202_301 Depth=1
	s_or_b32 exec_lo, exec_lo, s24
	s_delay_alu instid0(VALU_DEP_1) | instskip(SKIP_1) | instid1(VALU_DEP_2)
	v_dual_lshlrev_b32 v45, 16, v52 :: v_dual_lshlrev_b32 v14, 20, v14
	v_lshl_add_u32 v44, v44, 23, 0x3c000000
	v_and_b32_e32 v45, 0x80000000, v45
	s_delay_alu instid0(VALU_DEP_1)
	v_or3_b32 v45, v14, v45, v44
	v_mov_b32_e32 v44, v15
.LBB202_486:                            ;   in Loop: Header=BB202_301 Depth=1
	s_or_b32 exec_lo, exec_lo, s23
.LBB202_487:                            ;   in Loop: Header=BB202_301 Depth=1
	s_delay_alu instid0(SALU_CYCLE_1)
	s_or_b32 exec_lo, exec_lo, s22
.LBB202_488:                            ;   in Loop: Header=BB202_301 Depth=1
	s_delay_alu instid0(SALU_CYCLE_1) | instskip(SKIP_4) | instid1(VALU_DEP_3)
	s_or_b32 exec_lo, exec_lo, s21
	v_lshrrev_b32_e32 v53, 16, v52
	v_mov_b64_e32 v[48:49], 0
	v_mov_b64_e32 v[50:51], 0
	s_mov_b32 s21, exec_lo
	v_and_b32_e32 v14, 0xff, v53
	s_delay_alu instid0(VALU_DEP_1)
	v_cmpx_ne_u16_e32 0, v14
	s_cbranch_execz .LBB202_496
; %bb.489:                              ;   in Loop: Header=BB202_301 Depth=1
	v_mov_b64_e32 v[50:51], 0x80000000
	s_mov_b32 s22, exec_lo
	v_cmpx_ne_u16_e32 0x80, v14
	s_cbranch_execz .LBB202_495
; %bb.490:                              ;   in Loop: Header=BB202_301 Depth=1
	v_mov_b64_e32 v[50:51], 0x7f800001
	v_bfe_u32 v54, v52, 16, 7
	s_mov_b32 s23, exec_lo
	s_delay_alu instid0(VALU_DEP_1)
	v_cmpx_ne_u32_e32 0x7f, v54
	s_cbranch_execz .LBB202_494
; %bb.491:                              ;   in Loop: Header=BB202_301 Depth=1
	v_dual_lshrrev_b32 v50, 3, v54 :: v_dual_bitop2_b32 v14, 7, v53 bitop3:0x40
	s_mov_b32 s24, exec_lo
	v_cmpx_gt_u32_e32 8, v54
; %bb.492:                              ;   in Loop: Header=BB202_301 Depth=1
	s_delay_alu instid0(VALU_DEP_2) | instskip(NEXT) | instid1(VALU_DEP_1)
	v_clz_i32_u32_e32 v50, v14
	v_min_u32_e32 v50, 32, v50
	s_delay_alu instid0(VALU_DEP_1) | instskip(SKIP_1) | instid1(VALU_DEP_2)
	v_subrev_nc_u32_e32 v51, 28, v50
	v_sub_nc_u32_e32 v50, 29, v50
	v_lshlrev_b64_e32 v[54:55], v51, v[14:15]
	s_delay_alu instid0(VALU_DEP_1)
	v_and_b32_e32 v14, 7, v54
; %bb.493:                              ;   in Loop: Header=BB202_301 Depth=1
	s_or_b32 exec_lo, exec_lo, s24
	s_delay_alu instid0(VALU_DEP_1) | instskip(SKIP_1) | instid1(VALU_DEP_2)
	v_dual_lshlrev_b32 v51, 24, v53 :: v_dual_lshlrev_b32 v14, 20, v14
	v_lshl_add_u32 v50, v50, 23, 0x3c000000
	v_and_b32_e32 v51, 0x80000000, v51
	s_delay_alu instid0(VALU_DEP_1) | instskip(NEXT) | instid1(VALU_DEP_1)
	v_or3_b32 v14, v14, v51, v50
	v_mov_b64_e32 v[50:51], v[14:15]
.LBB202_494:                            ;   in Loop: Header=BB202_301 Depth=1
	s_or_b32 exec_lo, exec_lo, s23
.LBB202_495:                            ;   in Loop: Header=BB202_301 Depth=1
	s_delay_alu instid0(SALU_CYCLE_1)
	s_or_b32 exec_lo, exec_lo, s22
.LBB202_496:                            ;   in Loop: Header=BB202_301 Depth=1
	s_delay_alu instid0(SALU_CYCLE_1) | instskip(NEXT) | instid1(SALU_CYCLE_1)
	s_or_b32 exec_lo, exec_lo, s21
	s_mov_b32 s21, exec_lo
	v_cmpx_lt_u32_e32 0xffffff, v52
	s_cbranch_execz .LBB202_504
; %bb.497:                              ;   in Loop: Header=BB202_301 Depth=1
	v_mov_b64_e32 v[48:49], 0x8000000000000000
	v_lshrrev_b32_e32 v53, 24, v52
	s_mov_b32 s22, exec_lo
	s_delay_alu instid0(VALU_DEP_1)
	v_cmpx_ne_u32_e32 0x80, v53
	s_cbranch_execz .LBB202_503
; %bb.498:                              ;   in Loop: Header=BB202_301 Depth=1
	v_mov_b64_e32 v[48:49], 0x7f80000100000000
	v_bfe_u32 v52, v52, 24, 7
	s_mov_b32 s23, exec_lo
	s_delay_alu instid0(VALU_DEP_1)
	v_cmpx_ne_u32_e32 0x7f, v52
	s_cbranch_execz .LBB202_502
; %bb.499:                              ;   in Loop: Header=BB202_301 Depth=1
	v_dual_lshrrev_b32 v48, 3, v52 :: v_dual_bitop2_b32 v14, 7, v53 bitop3:0x40
	s_mov_b32 s24, exec_lo
	v_cmpx_gt_u32_e32 8, v52
; %bb.500:                              ;   in Loop: Header=BB202_301 Depth=1
	s_delay_alu instid0(VALU_DEP_2) | instskip(NEXT) | instid1(VALU_DEP_1)
	v_clz_i32_u32_e32 v48, v14
	v_min_u32_e32 v48, 32, v48
	s_delay_alu instid0(VALU_DEP_1) | instskip(NEXT) | instid1(VALU_DEP_1)
	v_subrev_nc_u32_e32 v49, 28, v48
	v_lshlrev_b64_e32 v[54:55], v49, v[14:15]
	s_delay_alu instid0(VALU_DEP_1)
	v_dual_sub_nc_u32 v48, 29, v48 :: v_dual_bitop2_b32 v14, 7, v54 bitop3:0x40
; %bb.501:                              ;   in Loop: Header=BB202_301 Depth=1
	s_or_b32 exec_lo, exec_lo, s24
	s_delay_alu instid0(VALU_DEP_1) | instskip(NEXT) | instid1(VALU_DEP_2)
	v_dual_lshlrev_b32 v49, 24, v53 :: v_dual_lshlrev_b32 v14, 20, v14
	v_lshl_add_u32 v48, v48, 23, 0x3c000000
	s_delay_alu instid0(VALU_DEP_2) | instskip(NEXT) | instid1(VALU_DEP_1)
	v_and_b32_e32 v49, 0x80000000, v49
	v_or3_b32 v49, v14, v49, v48
	v_mov_b32_e32 v48, v15
.LBB202_502:                            ;   in Loop: Header=BB202_301 Depth=1
	s_or_b32 exec_lo, exec_lo, s23
.LBB202_503:                            ;   in Loop: Header=BB202_301 Depth=1
	s_delay_alu instid0(SALU_CYCLE_1)
	s_or_b32 exec_lo, exec_lo, s22
.LBB202_504:                            ;   in Loop: Header=BB202_301 Depth=1
	s_delay_alu instid0(SALU_CYCLE_1)
	s_or_b32 exec_lo, exec_lo, s21
	v_mov_b64_e32 v[52:53], s[4:5]
	v_or_b32_e32 v45, v45, v47
	v_or_b32_e32 v44, v44, v46
	;; [unrolled: 1-line block ×4, first 2 shown]
	s_delay_alu instid0(VALU_DEP_3) | instskip(NEXT) | instid1(VALU_DEP_2)
	v_pk_mul_f32 v[46:47], v[52:53], v[44:45]
	v_pk_mul_f32 v[44:45], v[52:53], v[48:49]
	s_and_saveexec_b32 s21, vcc_lo
	s_cbranch_execz .LBB202_506
; %bb.505:                              ;   in Loop: Header=BB202_301 Depth=1
	v_cmp_gt_i32_e64 s0, s31, v35
	s_delay_alu instid0(VALU_DEP_1) | instskip(SKIP_1) | instid1(VALU_DEP_1)
	v_cndmask_b32_e64 v46, 0, v46, s0
	v_cmp_gt_i32_e64 s0, s31, v65
	v_cndmask_b32_e64 v47, 0, v47, s0
	v_cmp_gt_i32_e64 s0, s31, v57
	s_delay_alu instid0(VALU_DEP_1) | instskip(SKIP_1) | instid1(VALU_DEP_1)
	v_cndmask_b32_e64 v44, 0, v44, s0
	v_cmp_gt_i32_e64 s0, s31, v56
	v_cndmask_b32_e64 v45, 0, v45, s0
.LBB202_506:                            ;   in Loop: Header=BB202_301 Depth=1
	s_or_b32 exec_lo, exec_lo, s21
	global_load_b32 v66, v[24:25], off offset:768
	v_mov_b64_e32 v[48:49], 0
	v_mov_b64_e32 v[50:51], 0
	s_mov_b32 s21, exec_lo
	s_wait_loadcnt 0x0
	v_and_b32_e32 v14, 0xff, v66
	s_delay_alu instid0(VALU_DEP_1)
	v_cmpx_ne_u16_e32 0, v14
	s_cbranch_execz .LBB202_514
; %bb.507:                              ;   in Loop: Header=BB202_301 Depth=1
	v_mov_b64_e32 v[50:51], 0x80000000
	s_mov_b32 s22, exec_lo
	v_cmpx_ne_u16_e32 0x80, v14
	s_cbranch_execz .LBB202_513
; %bb.508:                              ;   in Loop: Header=BB202_301 Depth=1
	v_mov_b64_e32 v[50:51], 0x7f800001
	v_and_b32_e32 v52, 0x7f, v66
	s_mov_b32 s23, exec_lo
	s_delay_alu instid0(VALU_DEP_1)
	v_cmpx_ne_u32_e32 0x7f, v52
	s_cbranch_execz .LBB202_512
; %bb.509:                              ;   in Loop: Header=BB202_301 Depth=1
	v_dual_lshrrev_b32 v50, 3, v52 :: v_dual_bitop2_b32 v14, 7, v66 bitop3:0x40
	s_mov_b32 s24, exec_lo
	v_cmpx_gt_u32_e32 8, v52
; %bb.510:                              ;   in Loop: Header=BB202_301 Depth=1
	s_delay_alu instid0(VALU_DEP_2) | instskip(NEXT) | instid1(VALU_DEP_1)
	v_clz_i32_u32_e32 v50, v14
	v_min_u32_e32 v50, 32, v50
	s_delay_alu instid0(VALU_DEP_1) | instskip(NEXT) | instid1(VALU_DEP_1)
	v_subrev_nc_u32_e32 v51, 28, v50
	v_lshlrev_b64_e32 v[52:53], v51, v[14:15]
	s_delay_alu instid0(VALU_DEP_1)
	v_dual_sub_nc_u32 v50, 29, v50 :: v_dual_bitop2_b32 v14, 7, v52 bitop3:0x40
; %bb.511:                              ;   in Loop: Header=BB202_301 Depth=1
	s_or_b32 exec_lo, exec_lo, s24
	v_lshlrev_b32_e32 v51, 24, v66
	s_delay_alu instid0(VALU_DEP_2) | instskip(NEXT) | instid1(VALU_DEP_3)
	v_lshlrev_b32_e32 v14, 20, v14
	v_lshl_add_u32 v50, v50, 23, 0x3c000000
	s_delay_alu instid0(VALU_DEP_3) | instskip(NEXT) | instid1(VALU_DEP_1)
	v_and_b32_e32 v51, 0x80000000, v51
	v_or3_b32 v14, v14, v51, v50
	s_delay_alu instid0(VALU_DEP_1)
	v_mov_b64_e32 v[50:51], v[14:15]
.LBB202_512:                            ;   in Loop: Header=BB202_301 Depth=1
	s_or_b32 exec_lo, exec_lo, s23
.LBB202_513:                            ;   in Loop: Header=BB202_301 Depth=1
	s_delay_alu instid0(SALU_CYCLE_1)
	s_or_b32 exec_lo, exec_lo, s22
.LBB202_514:                            ;   in Loop: Header=BB202_301 Depth=1
	s_delay_alu instid0(SALU_CYCLE_1) | instskip(SKIP_2) | instid1(VALU_DEP_1)
	s_or_b32 exec_lo, exec_lo, s21
	v_lshrrev_b16 v14, 8, v66
	s_mov_b32 s21, exec_lo
	v_cmpx_ne_u16_e32 0, v14
	s_cbranch_execz .LBB202_522
; %bb.515:                              ;   in Loop: Header=BB202_301 Depth=1
	v_mov_b64_e32 v[48:49], 0x8000000000000000
	s_mov_b32 s22, exec_lo
	v_cmpx_ne_u16_e32 0x80, v14
	s_cbranch_execz .LBB202_521
; %bb.516:                              ;   in Loop: Header=BB202_301 Depth=1
	v_and_b32_e32 v14, 0xffff, v14
	v_mov_b64_e32 v[48:49], 0x7f80000100000000
	s_mov_b32 s23, exec_lo
	s_delay_alu instid0(VALU_DEP_2) | instskip(NEXT) | instid1(VALU_DEP_1)
	v_and_b32_e32 v52, 0x7f, v14
	v_cmpx_ne_u32_e32 0x7f, v52
	s_cbranch_execz .LBB202_520
; %bb.517:                              ;   in Loop: Header=BB202_301 Depth=1
	v_dual_lshrrev_b32 v48, 3, v52 :: v_dual_bitop2_b32 v14, 7, v14 bitop3:0x40
	s_mov_b32 s24, exec_lo
	v_cmpx_gt_u32_e32 8, v52
; %bb.518:                              ;   in Loop: Header=BB202_301 Depth=1
	s_delay_alu instid0(VALU_DEP_2) | instskip(NEXT) | instid1(VALU_DEP_1)
	v_clz_i32_u32_e32 v48, v14
	v_min_u32_e32 v48, 32, v48
	s_delay_alu instid0(VALU_DEP_1) | instskip(SKIP_1) | instid1(VALU_DEP_2)
	v_subrev_nc_u32_e32 v49, 28, v48
	v_sub_nc_u32_e32 v48, 29, v48
	v_lshlrev_b64_e32 v[52:53], v49, v[14:15]
	s_delay_alu instid0(VALU_DEP_1)
	v_and_b32_e32 v14, 7, v52
; %bb.519:                              ;   in Loop: Header=BB202_301 Depth=1
	s_or_b32 exec_lo, exec_lo, s24
	v_lshlrev_b32_e32 v49, 16, v66
	s_delay_alu instid0(VALU_DEP_2) | instskip(SKIP_1) | instid1(VALU_DEP_3)
	v_lshlrev_b32_e32 v14, 20, v14
	v_lshl_add_u32 v48, v48, 23, 0x3c000000
	v_and_b32_e32 v49, 0x80000000, v49
	s_delay_alu instid0(VALU_DEP_1)
	v_or3_b32 v49, v14, v49, v48
	v_mov_b32_e32 v48, v15
.LBB202_520:                            ;   in Loop: Header=BB202_301 Depth=1
	s_or_b32 exec_lo, exec_lo, s23
.LBB202_521:                            ;   in Loop: Header=BB202_301 Depth=1
	s_delay_alu instid0(SALU_CYCLE_1)
	s_or_b32 exec_lo, exec_lo, s22
.LBB202_522:                            ;   in Loop: Header=BB202_301 Depth=1
	s_delay_alu instid0(SALU_CYCLE_1) | instskip(SKIP_4) | instid1(VALU_DEP_3)
	s_or_b32 exec_lo, exec_lo, s21
	v_lshrrev_b32_e32 v67, 16, v66
	v_mov_b64_e32 v[52:53], 0
	v_mov_b64_e32 v[54:55], 0
	s_mov_b32 s21, exec_lo
	v_and_b32_e32 v14, 0xff, v67
	s_delay_alu instid0(VALU_DEP_1)
	v_cmpx_ne_u16_e32 0, v14
	s_cbranch_execz .LBB202_530
; %bb.523:                              ;   in Loop: Header=BB202_301 Depth=1
	v_mov_b64_e32 v[54:55], 0x80000000
	s_mov_b32 s22, exec_lo
	v_cmpx_ne_u16_e32 0x80, v14
	s_cbranch_execz .LBB202_529
; %bb.524:                              ;   in Loop: Header=BB202_301 Depth=1
	v_mov_b64_e32 v[54:55], 0x7f800001
	v_bfe_u32 v68, v66, 16, 7
	s_mov_b32 s23, exec_lo
	s_delay_alu instid0(VALU_DEP_1)
	v_cmpx_ne_u32_e32 0x7f, v68
	s_cbranch_execz .LBB202_528
; %bb.525:                              ;   in Loop: Header=BB202_301 Depth=1
	v_dual_lshrrev_b32 v54, 3, v68 :: v_dual_bitop2_b32 v14, 7, v67 bitop3:0x40
	s_mov_b32 s24, exec_lo
	v_cmpx_gt_u32_e32 8, v68
; %bb.526:                              ;   in Loop: Header=BB202_301 Depth=1
	s_delay_alu instid0(VALU_DEP_2) | instskip(NEXT) | instid1(VALU_DEP_1)
	v_clz_i32_u32_e32 v54, v14
	v_min_u32_e32 v54, 32, v54
	s_delay_alu instid0(VALU_DEP_1) | instskip(NEXT) | instid1(VALU_DEP_1)
	v_subrev_nc_u32_e32 v55, 28, v54
	v_lshlrev_b64_e32 v[68:69], v55, v[14:15]
	s_delay_alu instid0(VALU_DEP_1)
	v_dual_sub_nc_u32 v54, 29, v54 :: v_dual_bitop2_b32 v14, 7, v68 bitop3:0x40
; %bb.527:                              ;   in Loop: Header=BB202_301 Depth=1
	s_or_b32 exec_lo, exec_lo, s24
	s_delay_alu instid0(VALU_DEP_1) | instskip(NEXT) | instid1(VALU_DEP_2)
	v_dual_lshlrev_b32 v55, 24, v67 :: v_dual_lshlrev_b32 v14, 20, v14
	v_lshl_add_u32 v54, v54, 23, 0x3c000000
	s_delay_alu instid0(VALU_DEP_2) | instskip(NEXT) | instid1(VALU_DEP_1)
	v_and_b32_e32 v55, 0x80000000, v55
	v_or3_b32 v14, v14, v55, v54
	s_delay_alu instid0(VALU_DEP_1)
	v_mov_b64_e32 v[54:55], v[14:15]
.LBB202_528:                            ;   in Loop: Header=BB202_301 Depth=1
	s_or_b32 exec_lo, exec_lo, s23
.LBB202_529:                            ;   in Loop: Header=BB202_301 Depth=1
	s_delay_alu instid0(SALU_CYCLE_1)
	s_or_b32 exec_lo, exec_lo, s22
.LBB202_530:                            ;   in Loop: Header=BB202_301 Depth=1
	s_delay_alu instid0(SALU_CYCLE_1) | instskip(NEXT) | instid1(SALU_CYCLE_1)
	s_or_b32 exec_lo, exec_lo, s21
	s_mov_b32 s21, exec_lo
	v_cmpx_lt_u32_e32 0xffffff, v66
	s_cbranch_execz .LBB202_538
; %bb.531:                              ;   in Loop: Header=BB202_301 Depth=1
	v_mov_b64_e32 v[52:53], 0x8000000000000000
	v_lshrrev_b32_e32 v67, 24, v66
	s_mov_b32 s22, exec_lo
	s_delay_alu instid0(VALU_DEP_1)
	v_cmpx_ne_u32_e32 0x80, v67
	s_cbranch_execz .LBB202_537
; %bb.532:                              ;   in Loop: Header=BB202_301 Depth=1
	v_mov_b64_e32 v[52:53], 0x7f80000100000000
	v_bfe_u32 v66, v66, 24, 7
	s_mov_b32 s23, exec_lo
	s_delay_alu instid0(VALU_DEP_1)
	v_cmpx_ne_u32_e32 0x7f, v66
	s_cbranch_execz .LBB202_536
; %bb.533:                              ;   in Loop: Header=BB202_301 Depth=1
	v_dual_lshrrev_b32 v52, 3, v66 :: v_dual_bitop2_b32 v14, 7, v67 bitop3:0x40
	s_mov_b32 s24, exec_lo
	v_cmpx_gt_u32_e32 8, v66
; %bb.534:                              ;   in Loop: Header=BB202_301 Depth=1
	s_delay_alu instid0(VALU_DEP_2) | instskip(NEXT) | instid1(VALU_DEP_1)
	v_clz_i32_u32_e32 v52, v14
	v_min_u32_e32 v52, 32, v52
	s_delay_alu instid0(VALU_DEP_1) | instskip(SKIP_1) | instid1(VALU_DEP_2)
	v_subrev_nc_u32_e32 v53, 28, v52
	v_sub_nc_u32_e32 v52, 29, v52
	v_lshlrev_b64_e32 v[68:69], v53, v[14:15]
	s_delay_alu instid0(VALU_DEP_1)
	v_and_b32_e32 v14, 7, v68
; %bb.535:                              ;   in Loop: Header=BB202_301 Depth=1
	s_or_b32 exec_lo, exec_lo, s24
	s_delay_alu instid0(VALU_DEP_1) | instskip(SKIP_1) | instid1(VALU_DEP_2)
	v_dual_lshlrev_b32 v53, 24, v67 :: v_dual_lshlrev_b32 v14, 20, v14
	v_lshl_add_u32 v52, v52, 23, 0x3c000000
	v_and_b32_e32 v53, 0x80000000, v53
	s_delay_alu instid0(VALU_DEP_1)
	v_or3_b32 v53, v14, v53, v52
	v_mov_b32_e32 v52, v15
.LBB202_536:                            ;   in Loop: Header=BB202_301 Depth=1
	s_or_b32 exec_lo, exec_lo, s23
.LBB202_537:                            ;   in Loop: Header=BB202_301 Depth=1
	s_delay_alu instid0(SALU_CYCLE_1)
	s_or_b32 exec_lo, exec_lo, s22
.LBB202_538:                            ;   in Loop: Header=BB202_301 Depth=1
	s_delay_alu instid0(SALU_CYCLE_1)
	s_or_b32 exec_lo, exec_lo, s21
	v_mov_b64_e32 v[66:67], s[4:5]
	v_or_b32_e32 v49, v49, v51
	v_or_b32_e32 v48, v48, v50
	;; [unrolled: 1-line block ×4, first 2 shown]
	s_delay_alu instid0(VALU_DEP_3) | instskip(NEXT) | instid1(VALU_DEP_2)
	v_pk_mul_f32 v[50:51], v[66:67], v[48:49]
	v_pk_mul_f32 v[48:49], v[66:67], v[52:53]
	s_and_saveexec_b32 s21, vcc_lo
	s_cbranch_execz .LBB202_540
; %bb.539:                              ;   in Loop: Header=BB202_301 Depth=1
	v_cmp_gt_i32_e64 s0, s31, v35
	s_delay_alu instid0(VALU_DEP_1) | instskip(SKIP_1) | instid1(VALU_DEP_1)
	v_cndmask_b32_e64 v50, 0, v50, s0
	v_cmp_gt_i32_e64 s0, s31, v65
	v_cndmask_b32_e64 v51, 0, v51, s0
	v_cmp_gt_i32_e64 s0, s31, v57
	s_delay_alu instid0(VALU_DEP_1) | instskip(SKIP_1) | instid1(VALU_DEP_1)
	v_cndmask_b32_e64 v48, 0, v48, s0
	v_cmp_gt_i32_e64 s0, s31, v56
	v_cndmask_b32_e64 v49, 0, v49, s0
.LBB202_540:                            ;   in Loop: Header=BB202_301 Depth=1
	s_or_b32 exec_lo, exec_lo, s21
	global_load_b32 v66, v[24:25], off offset:896
	s_wait_xcnt 0x0
	v_mov_b64_e32 v[24:25], 0
	v_mov_b64_e32 v[52:53], 0
	s_mov_b32 s21, exec_lo
	s_wait_loadcnt 0x0
	v_and_b32_e32 v14, 0xff, v66
	s_delay_alu instid0(VALU_DEP_1)
	v_cmpx_ne_u16_e32 0, v14
	s_cbranch_execz .LBB202_548
; %bb.541:                              ;   in Loop: Header=BB202_301 Depth=1
	v_mov_b64_e32 v[52:53], 0x80000000
	s_mov_b32 s22, exec_lo
	v_cmpx_ne_u16_e32 0x80, v14
	s_cbranch_execz .LBB202_547
; %bb.542:                              ;   in Loop: Header=BB202_301 Depth=1
	v_mov_b64_e32 v[52:53], 0x7f800001
	v_and_b32_e32 v54, 0x7f, v66
	s_mov_b32 s23, exec_lo
	s_delay_alu instid0(VALU_DEP_1)
	v_cmpx_ne_u32_e32 0x7f, v54
	s_cbranch_execz .LBB202_546
; %bb.543:                              ;   in Loop: Header=BB202_301 Depth=1
	v_and_b32_e32 v14, 7, v66
	v_lshrrev_b32_e32 v52, 3, v54
	s_mov_b32 s24, exec_lo
	v_cmpx_gt_u32_e32 8, v54
; %bb.544:                              ;   in Loop: Header=BB202_301 Depth=1
	s_delay_alu instid0(VALU_DEP_3) | instskip(NEXT) | instid1(VALU_DEP_1)
	v_clz_i32_u32_e32 v52, v14
	v_min_u32_e32 v52, 32, v52
	s_delay_alu instid0(VALU_DEP_1) | instskip(NEXT) | instid1(VALU_DEP_1)
	v_subrev_nc_u32_e32 v53, 28, v52
	v_lshlrev_b64_e32 v[54:55], v53, v[14:15]
	s_delay_alu instid0(VALU_DEP_1)
	v_dual_sub_nc_u32 v52, 29, v52 :: v_dual_bitop2_b32 v14, 7, v54 bitop3:0x40
; %bb.545:                              ;   in Loop: Header=BB202_301 Depth=1
	s_or_b32 exec_lo, exec_lo, s24
	v_lshlrev_b32_e32 v53, 24, v66
	s_delay_alu instid0(VALU_DEP_2) | instskip(NEXT) | instid1(VALU_DEP_3)
	v_lshlrev_b32_e32 v14, 20, v14
	v_lshl_add_u32 v52, v52, 23, 0x3c000000
	s_delay_alu instid0(VALU_DEP_3) | instskip(NEXT) | instid1(VALU_DEP_1)
	v_and_b32_e32 v53, 0x80000000, v53
	v_or3_b32 v14, v14, v53, v52
	s_delay_alu instid0(VALU_DEP_1)
	v_mov_b64_e32 v[52:53], v[14:15]
.LBB202_546:                            ;   in Loop: Header=BB202_301 Depth=1
	s_or_b32 exec_lo, exec_lo, s23
.LBB202_547:                            ;   in Loop: Header=BB202_301 Depth=1
	s_delay_alu instid0(SALU_CYCLE_1)
	s_or_b32 exec_lo, exec_lo, s22
.LBB202_548:                            ;   in Loop: Header=BB202_301 Depth=1
	s_delay_alu instid0(SALU_CYCLE_1) | instskip(SKIP_2) | instid1(VALU_DEP_1)
	s_or_b32 exec_lo, exec_lo, s21
	v_lshrrev_b16 v14, 8, v66
	s_mov_b32 s21, exec_lo
	v_cmpx_ne_u16_e32 0, v14
	s_cbranch_execz .LBB202_556
; %bb.549:                              ;   in Loop: Header=BB202_301 Depth=1
	v_mov_b64_e32 v[24:25], 0x8000000000000000
	s_mov_b32 s22, exec_lo
	v_cmpx_ne_u16_e32 0x80, v14
	s_cbranch_execz .LBB202_555
; %bb.550:                              ;   in Loop: Header=BB202_301 Depth=1
	v_and_b32_e32 v14, 0xffff, v14
	v_mov_b64_e32 v[24:25], 0x7f80000100000000
	s_mov_b32 s23, exec_lo
	s_delay_alu instid0(VALU_DEP_2) | instskip(NEXT) | instid1(VALU_DEP_1)
	v_and_b32_e32 v54, 0x7f, v14
	v_cmpx_ne_u32_e32 0x7f, v54
	s_cbranch_execz .LBB202_554
; %bb.551:                              ;   in Loop: Header=BB202_301 Depth=1
	v_and_b32_e32 v14, 7, v14
	v_lshrrev_b32_e32 v24, 3, v54
	s_mov_b32 s24, exec_lo
	v_cmpx_gt_u32_e32 8, v54
; %bb.552:                              ;   in Loop: Header=BB202_301 Depth=1
	s_delay_alu instid0(VALU_DEP_3) | instskip(NEXT) | instid1(VALU_DEP_1)
	v_clz_i32_u32_e32 v24, v14
	v_min_u32_e32 v24, 32, v24
	s_delay_alu instid0(VALU_DEP_1) | instskip(NEXT) | instid1(VALU_DEP_1)
	v_subrev_nc_u32_e32 v25, 28, v24
	v_lshlrev_b64_e32 v[54:55], v25, v[14:15]
	s_delay_alu instid0(VALU_DEP_1)
	v_dual_sub_nc_u32 v24, 29, v24 :: v_dual_bitop2_b32 v14, 7, v54 bitop3:0x40
; %bb.553:                              ;   in Loop: Header=BB202_301 Depth=1
	s_or_b32 exec_lo, exec_lo, s24
	v_lshlrev_b32_e32 v25, 16, v66
	s_delay_alu instid0(VALU_DEP_2) | instskip(NEXT) | instid1(VALU_DEP_3)
	v_lshlrev_b32_e32 v14, 20, v14
	v_lshl_add_u32 v24, v24, 23, 0x3c000000
	s_delay_alu instid0(VALU_DEP_3) | instskip(NEXT) | instid1(VALU_DEP_1)
	v_and_b32_e32 v25, 0x80000000, v25
	v_or3_b32 v25, v14, v25, v24
	v_mov_b32_e32 v24, v15
.LBB202_554:                            ;   in Loop: Header=BB202_301 Depth=1
	s_or_b32 exec_lo, exec_lo, s23
.LBB202_555:                            ;   in Loop: Header=BB202_301 Depth=1
	s_delay_alu instid0(SALU_CYCLE_1)
	s_or_b32 exec_lo, exec_lo, s22
.LBB202_556:                            ;   in Loop: Header=BB202_301 Depth=1
	s_delay_alu instid0(SALU_CYCLE_1) | instskip(SKIP_4) | instid1(VALU_DEP_3)
	s_or_b32 exec_lo, exec_lo, s21
	v_lshrrev_b32_e32 v67, 16, v66
	v_mov_b64_e32 v[54:55], 0
	v_mov_b64_e32 v[56:57], 0
	s_mov_b32 s21, exec_lo
	v_and_b32_e32 v14, 0xff, v67
	s_delay_alu instid0(VALU_DEP_1)
	v_cmpx_ne_u16_e32 0, v14
	s_cbranch_execz .LBB202_564
; %bb.557:                              ;   in Loop: Header=BB202_301 Depth=1
	v_mov_b64_e32 v[56:57], 0x80000000
	s_mov_b32 s22, exec_lo
	v_cmpx_ne_u16_e32 0x80, v14
	s_cbranch_execz .LBB202_563
; %bb.558:                              ;   in Loop: Header=BB202_301 Depth=1
	v_mov_b64_e32 v[56:57], 0x7f800001
	v_bfe_u32 v68, v66, 16, 7
	s_mov_b32 s23, exec_lo
	s_delay_alu instid0(VALU_DEP_1)
	v_cmpx_ne_u32_e32 0x7f, v68
	s_cbranch_execz .LBB202_562
; %bb.559:                              ;   in Loop: Header=BB202_301 Depth=1
	v_dual_lshrrev_b32 v56, 3, v68 :: v_dual_bitop2_b32 v14, 7, v67 bitop3:0x40
	s_mov_b32 s24, exec_lo
	v_cmpx_gt_u32_e32 8, v68
; %bb.560:                              ;   in Loop: Header=BB202_301 Depth=1
	s_delay_alu instid0(VALU_DEP_2) | instskip(NEXT) | instid1(VALU_DEP_1)
	v_clz_i32_u32_e32 v56, v14
	v_min_u32_e32 v56, 32, v56
	s_delay_alu instid0(VALU_DEP_1) | instskip(SKIP_1) | instid1(VALU_DEP_2)
	v_subrev_nc_u32_e32 v57, 28, v56
	v_sub_nc_u32_e32 v56, 29, v56
	v_lshlrev_b64_e32 v[68:69], v57, v[14:15]
	s_delay_alu instid0(VALU_DEP_1)
	v_and_b32_e32 v14, 7, v68
; %bb.561:                              ;   in Loop: Header=BB202_301 Depth=1
	s_or_b32 exec_lo, exec_lo, s24
	s_delay_alu instid0(VALU_DEP_1) | instskip(SKIP_1) | instid1(VALU_DEP_2)
	v_dual_lshlrev_b32 v57, 24, v67 :: v_dual_lshlrev_b32 v14, 20, v14
	v_lshl_add_u32 v56, v56, 23, 0x3c000000
	v_and_b32_e32 v57, 0x80000000, v57
	s_delay_alu instid0(VALU_DEP_1) | instskip(NEXT) | instid1(VALU_DEP_1)
	v_or3_b32 v14, v14, v57, v56
	v_mov_b64_e32 v[56:57], v[14:15]
.LBB202_562:                            ;   in Loop: Header=BB202_301 Depth=1
	s_or_b32 exec_lo, exec_lo, s23
.LBB202_563:                            ;   in Loop: Header=BB202_301 Depth=1
	s_delay_alu instid0(SALU_CYCLE_1)
	s_or_b32 exec_lo, exec_lo, s22
.LBB202_564:                            ;   in Loop: Header=BB202_301 Depth=1
	s_delay_alu instid0(SALU_CYCLE_1) | instskip(NEXT) | instid1(SALU_CYCLE_1)
	s_or_b32 exec_lo, exec_lo, s21
	s_mov_b32 s21, exec_lo
	v_cmpx_lt_u32_e32 0xffffff, v66
	s_cbranch_execz .LBB202_572
; %bb.565:                              ;   in Loop: Header=BB202_301 Depth=1
	v_mov_b64_e32 v[54:55], 0x8000000000000000
	v_lshrrev_b32_e32 v67, 24, v66
	s_mov_b32 s22, exec_lo
	s_delay_alu instid0(VALU_DEP_1)
	v_cmpx_ne_u32_e32 0x80, v67
	s_cbranch_execz .LBB202_571
; %bb.566:                              ;   in Loop: Header=BB202_301 Depth=1
	v_mov_b64_e32 v[54:55], 0x7f80000100000000
	v_bfe_u32 v66, v66, 24, 7
	s_mov_b32 s23, exec_lo
	s_delay_alu instid0(VALU_DEP_1)
	v_cmpx_ne_u32_e32 0x7f, v66
	s_cbranch_execz .LBB202_570
; %bb.567:                              ;   in Loop: Header=BB202_301 Depth=1
	v_dual_lshrrev_b32 v54, 3, v66 :: v_dual_bitop2_b32 v14, 7, v67 bitop3:0x40
	s_mov_b32 s24, exec_lo
	v_cmpx_gt_u32_e32 8, v66
; %bb.568:                              ;   in Loop: Header=BB202_301 Depth=1
	s_delay_alu instid0(VALU_DEP_2) | instskip(NEXT) | instid1(VALU_DEP_1)
	v_clz_i32_u32_e32 v54, v14
	v_min_u32_e32 v54, 32, v54
	s_delay_alu instid0(VALU_DEP_1) | instskip(NEXT) | instid1(VALU_DEP_1)
	v_subrev_nc_u32_e32 v55, 28, v54
	v_lshlrev_b64_e32 v[68:69], v55, v[14:15]
	s_delay_alu instid0(VALU_DEP_1)
	v_dual_sub_nc_u32 v54, 29, v54 :: v_dual_bitop2_b32 v14, 7, v68 bitop3:0x40
; %bb.569:                              ;   in Loop: Header=BB202_301 Depth=1
	s_or_b32 exec_lo, exec_lo, s24
	s_delay_alu instid0(VALU_DEP_1) | instskip(NEXT) | instid1(VALU_DEP_2)
	v_dual_lshlrev_b32 v55, 24, v67 :: v_dual_lshlrev_b32 v14, 20, v14
	v_lshl_add_u32 v54, v54, 23, 0x3c000000
	s_delay_alu instid0(VALU_DEP_2) | instskip(NEXT) | instid1(VALU_DEP_1)
	v_and_b32_e32 v55, 0x80000000, v55
	v_or3_b32 v55, v14, v55, v54
	v_mov_b32_e32 v54, v15
.LBB202_570:                            ;   in Loop: Header=BB202_301 Depth=1
	s_or_b32 exec_lo, exec_lo, s23
.LBB202_571:                            ;   in Loop: Header=BB202_301 Depth=1
	s_delay_alu instid0(SALU_CYCLE_1)
	s_or_b32 exec_lo, exec_lo, s22
.LBB202_572:                            ;   in Loop: Header=BB202_301 Depth=1
	s_delay_alu instid0(SALU_CYCLE_1)
	s_or_b32 exec_lo, exec_lo, s21
	v_mov_b64_e32 v[66:67], s[4:5]
	v_or_b32_e32 v25, v25, v53
	v_or_b32_e32 v24, v24, v52
	;; [unrolled: 1-line block ×4, first 2 shown]
	s_delay_alu instid0(VALU_DEP_3) | instskip(NEXT) | instid1(VALU_DEP_2)
	v_pk_mul_f32 v[52:53], v[66:67], v[24:25]
	v_pk_mul_f32 v[24:25], v[66:67], v[54:55]
	s_and_saveexec_b32 s0, vcc_lo
	s_cbranch_execz .LBB202_299
; %bb.573:                              ;   in Loop: Header=BB202_301 Depth=1
	v_cmp_gt_i32_e32 vcc_lo, s14, v65
	v_dual_cndmask_b32 v53, 0, v53, vcc_lo :: v_dual_bitop2_b32 v14, 3, v35 bitop3:0x54
	v_cmp_gt_i32_e32 vcc_lo, s31, v35
	v_dual_cndmask_b32 v52, 0, v52, vcc_lo :: v_dual_bitop2_b32 v54, 2, v35 bitop3:0x54
	s_delay_alu instid0(VALU_DEP_3) | instskip(SKIP_1) | instid1(VALU_DEP_3)
	v_cmp_gt_i32_e32 vcc_lo, s14, v14
	v_cndmask_b32_e32 v25, 0, v25, vcc_lo
	v_cmp_gt_i32_e32 vcc_lo, s31, v54
	v_cndmask_b32_e32 v24, 0, v24, vcc_lo
	s_branch .LBB202_299
.LBB202_574:
	s_or_b32 exec_lo, exec_lo, s15
.LBB202_575:
	s_delay_alu instid0(SALU_CYCLE_1)
	s_or_b32 exec_lo, exec_lo, s1
	ds_bpermute_b32 v2, v60, v8
	ds_bpermute_b32 v3, v60, v9
	;; [unrolled: 1-line block ×8, first 2 shown]
	s_mov_b32 s0, exec_lo
	s_wait_dscnt 0x0
	s_barrier_signal -1
	s_barrier_wait -1
	v_pk_add_f32 v[2:3], v[8:9], v[2:3]
	v_pk_add_f32 v[4:5], v[12:13], v[4:5]
	;; [unrolled: 1-line block ×3, first 2 shown]
	ds_bpermute_b32 v10, v59, v2
	v_pk_add_f32 v[6:7], v[6:7], v[16:17]
	ds_bpermute_b32 v11, v59, v3
	ds_bpermute_b32 v12, v59, v4
	;; [unrolled: 1-line block ×7, first 2 shown]
	s_wait_dscnt 0x6
	v_pk_add_f32 v[2:3], v[2:3], v[10:11]
	s_wait_dscnt 0x4
	v_pk_add_f32 v[4:5], v[4:5], v[12:13]
	v_and_b32_e32 v13, 0x3c7, v0
	s_wait_dscnt 0x2
	v_pk_add_f32 v[14:15], v[8:9], v[14:15]
	v_lshrrev_b32_e32 v12, 3, v108
	s_wait_dscnt 0x0
	v_pk_add_f32 v[8:9], v[6:7], v[16:17]
	ds_bpermute_b32 v6, v58, v2
	ds_bpermute_b32 v7, v58, v3
	;; [unrolled: 1-line block ×8, first 2 shown]
	s_wait_dscnt 0x6
	v_pk_add_f32 v[6:7], v[2:3], v[6:7]
	s_wait_dscnt 0x4
	v_pk_add_f32 v[4:5], v[4:5], v[16:17]
	;; [unrolled: 2-line block ×3, first 2 shown]
	v_cmpx_ne_u32_e32 64, v13
	s_xor_b32 s0, exec_lo, s0
; %bb.576:
                                        ; implicit-def: $vgpr1
; %bb.577:
	s_delay_alu instid0(SALU_CYCLE_1)
	s_or_saveexec_b32 s0, s0
	s_wait_dscnt 0x0
	v_pk_add_f32 v[8:9], v[8:9], v[10:11]
	v_lshl_add_u32 v10, v12, 2, 0xa0
	s_xor_b32 exec_lo, exec_lo, s0
	s_cbranch_execz .LBB202_579
; %bb.578:
	s_delay_alu instid0(VALU_DEP_1) | instskip(NEXT) | instid1(VALU_DEP_1)
	v_lshl_add_u32 v1, v1, 7, v10
	v_add_nc_u32_e32 v11, 0xffffff00, v1
	v_add_nc_u32_e32 v13, 0xffffff10, v1
	;; [unrolled: 1-line block ×8, first 2 shown]
	ds_store_b32 v11, v6
	ds_store_b32 v13, v7
	;; [unrolled: 1-line block ×8, first 2 shown]
.LBB202_579:
	s_or_b32 exec_lo, exec_lo, s0
	v_and_b32_e32 v1, 0x3e0, v0
	v_lshlrev_b32_e32 v11, 2, v12
	s_mov_b32 s1, exec_lo
	v_cmp_eq_u32_e32 vcc_lo, 0, v61
	s_wait_dscnt 0x0
	v_lshlrev_b32_e32 v1, 2, v1
	s_barrier_signal -1
	s_barrier_wait -1
	s_delay_alu instid0(VALU_DEP_1)
	v_add3_u32 v1, 0xa0, v1, v11
	v_cmpx_gt_u32_e32 64, v0
	s_cbranch_execz .LBB202_590
; %bb.580:
	s_and_saveexec_b32 s0, vcc_lo
	s_cbranch_execnz .LBB202_606
; %bb.581:
	s_or_b32 exec_lo, exec_lo, s0
	s_and_saveexec_b32 s0, vcc_lo
	s_cbranch_execnz .LBB202_607
.LBB202_582:
	s_or_b32 exec_lo, exec_lo, s0
	s_and_saveexec_b32 s0, vcc_lo
	s_cbranch_execnz .LBB202_608
.LBB202_583:
	s_or_b32 exec_lo, exec_lo, s0
	s_and_saveexec_b32 s0, vcc_lo
	s_cbranch_execnz .LBB202_609
.LBB202_584:
	s_or_b32 exec_lo, exec_lo, s0
	s_and_saveexec_b32 s0, vcc_lo
	s_cbranch_execnz .LBB202_610
.LBB202_585:
	s_or_b32 exec_lo, exec_lo, s0
	s_and_saveexec_b32 s0, vcc_lo
	s_cbranch_execnz .LBB202_611
.LBB202_586:
	s_or_b32 exec_lo, exec_lo, s0
	s_and_saveexec_b32 s0, vcc_lo
	s_cbranch_execnz .LBB202_612
.LBB202_587:
	s_or_b32 exec_lo, exec_lo, s0
	s_and_saveexec_b32 s0, vcc_lo
	s_cbranch_execz .LBB202_589
.LBB202_588:
	ds_load_b32 v11, v1 offset:112
	s_wait_dscnt 0x0
	v_add_f32_e32 v9, v9, v11
.LBB202_589:
	s_or_b32 exec_lo, exec_lo, s0
.LBB202_590:
	s_delay_alu instid0(SALU_CYCLE_1) | instskip(SKIP_4) | instid1(VALU_DEP_1)
	s_or_b32 exec_lo, exec_lo, s1
	v_and_b32_e32 v11, 0x3e7, v0
	s_mov_b32 s1, exec_lo
	s_barrier_signal -1
	s_barrier_wait -1
	v_cmpx_eq_u32_e32 32, v11
	s_cbranch_execz .LBB202_592
; %bb.591:
	ds_store_2addr_b32 v10, v6, v7 offset1:4
	ds_store_2addr_b32 v10, v4, v5 offset0:8 offset1:12
	ds_store_2addr_b32 v10, v2, v3 offset0:16 offset1:20
	;; [unrolled: 1-line block ×3, first 2 shown]
.LBB202_592:
	s_or_b32 exec_lo, exec_lo, s1
	s_delay_alu instid0(SALU_CYCLE_1)
	s_mov_b32 s1, exec_lo
	s_wait_dscnt 0x0
	s_barrier_signal -1
	s_barrier_wait -1
	v_cmpx_gt_u32_e32 32, v0
	s_cbranch_execz .LBB202_603
; %bb.593:
	s_and_saveexec_b32 s0, vcc_lo
	s_cbranch_execnz .LBB202_613
; %bb.594:
	s_or_b32 exec_lo, exec_lo, s0
	s_and_saveexec_b32 s0, vcc_lo
	s_cbranch_execnz .LBB202_614
.LBB202_595:
	s_or_b32 exec_lo, exec_lo, s0
	s_and_saveexec_b32 s0, vcc_lo
	s_cbranch_execnz .LBB202_615
.LBB202_596:
	s_or_b32 exec_lo, exec_lo, s0
	s_and_saveexec_b32 s0, vcc_lo
	s_cbranch_execnz .LBB202_616
.LBB202_597:
	s_or_b32 exec_lo, exec_lo, s0
	s_and_saveexec_b32 s0, vcc_lo
	s_cbranch_execnz .LBB202_617
.LBB202_598:
	s_or_b32 exec_lo, exec_lo, s0
	s_and_saveexec_b32 s0, vcc_lo
	s_cbranch_execnz .LBB202_618
.LBB202_599:
	s_or_b32 exec_lo, exec_lo, s0
	s_and_saveexec_b32 s0, vcc_lo
	s_cbranch_execnz .LBB202_619
.LBB202_600:
	s_or_b32 exec_lo, exec_lo, s0
	s_and_saveexec_b32 s0, vcc_lo
	s_cbranch_execz .LBB202_602
.LBB202_601:
	ds_load_b32 v1, v1 offset:112
	s_wait_dscnt 0x0
	v_add_f32_e32 v9, v9, v1
.LBB202_602:
	s_or_b32 exec_lo, exec_lo, s0
.LBB202_603:
	s_delay_alu instid0(SALU_CYCLE_1)
	s_or_b32 exec_lo, exec_lo, s1
	s_mov_b32 s1, 0
	s_barrier_signal -1
	s_barrier_wait -1
	s_mov_b32 s0, exec_lo
	v_cmpx_eq_u32_e32 0, v11
	s_cbranch_execz .LBB202_605
; %bb.604:
	s_mul_i32 s0, s30, s7
	s_mul_i32 s2, s7, s16
	;; [unrolled: 1-line block ×3, first 2 shown]
	s_lshr_b32 s6, ttmp7, 16
	s_lshl_b32 s4, s0, 5
	s_bfe_u32 s0, ttmp6, 0x40014
	s_ashr_i32 s5, s4, 31
	s_add_co_i32 s0, s0, 1
	s_ashr_i32 s3, s2, 31
	s_mul_i32 s0, s6, s0
	s_bfe_u32 s7, ttmp6, 0x40008
	s_lshl_b64 s[4:5], s[4:5], 2
	s_lshl_b64 s[2:3], s[2:3], 2
	s_add_co_i32 s7, s7, s0
	s_cmp_eq_u32 s28, 0
	s_wait_kmcnt 0x0
	s_add_nc_u64 s[4:5], s[8:9], s[4:5]
	s_cselect_b32 s0, s6, s7
	v_lshrrev_b32_e32 v0, 1, v0
	s_add_nc_u64 s[2:3], s[4:5], s[2:3]
	s_lshl_b32 s0, s0, 7
	s_delay_alu instid0(SALU_CYCLE_1)
	s_add_nc_u64 s[0:1], s[2:3], s[0:1]
	s_clause 0x7
	global_store_b32 v0, v6, s[0:1]
	global_store_b32 v0, v7, s[0:1] offset:16
	global_store_b32 v0, v4, s[0:1] offset:32
	global_store_b32 v0, v5, s[0:1] offset:48
	global_store_b32 v0, v2, s[0:1] offset:64
	global_store_b32 v0, v3, s[0:1] offset:80
	global_store_b32 v0, v8, s[0:1] offset:96
	global_store_b32 v0, v9, s[0:1] offset:112
.LBB202_605:
	s_sendmsg sendmsg(MSG_DEALLOC_VGPRS)
	s_endpgm
.LBB202_606:
	ds_load_b32 v11, v1
	s_wait_dscnt 0x0
	v_add_f32_e32 v6, v6, v11
	s_or_b32 exec_lo, exec_lo, s0
	s_and_saveexec_b32 s0, vcc_lo
	s_cbranch_execz .LBB202_582
.LBB202_607:
	ds_load_b32 v11, v1 offset:16
	s_wait_dscnt 0x0
	v_add_f32_e32 v7, v7, v11
	s_or_b32 exec_lo, exec_lo, s0
	s_and_saveexec_b32 s0, vcc_lo
	s_cbranch_execz .LBB202_583
.LBB202_608:
	ds_load_b32 v11, v1 offset:32
	s_wait_dscnt 0x0
	v_add_f32_e32 v4, v4, v11
	s_or_b32 exec_lo, exec_lo, s0
	s_and_saveexec_b32 s0, vcc_lo
	s_cbranch_execz .LBB202_584
.LBB202_609:
	ds_load_b32 v11, v1 offset:48
	s_wait_dscnt 0x0
	v_add_f32_e32 v5, v5, v11
	s_or_b32 exec_lo, exec_lo, s0
	s_and_saveexec_b32 s0, vcc_lo
	s_cbranch_execz .LBB202_585
.LBB202_610:
	ds_load_b32 v11, v1 offset:64
	s_wait_dscnt 0x0
	v_add_f32_e32 v2, v2, v11
	s_or_b32 exec_lo, exec_lo, s0
	s_and_saveexec_b32 s0, vcc_lo
	s_cbranch_execz .LBB202_586
.LBB202_611:
	ds_load_b32 v11, v1 offset:80
	s_wait_dscnt 0x0
	v_add_f32_e32 v3, v3, v11
	s_or_b32 exec_lo, exec_lo, s0
	s_and_saveexec_b32 s0, vcc_lo
	s_cbranch_execz .LBB202_587
.LBB202_612:
	ds_load_b32 v11, v1 offset:96
	s_wait_dscnt 0x0
	v_add_f32_e32 v8, v8, v11
	s_or_b32 exec_lo, exec_lo, s0
	s_and_saveexec_b32 s0, vcc_lo
	s_cbranch_execnz .LBB202_588
	s_branch .LBB202_589
.LBB202_613:
	ds_load_b32 v10, v1
	s_wait_dscnt 0x0
	v_add_f32_e32 v6, v6, v10
	s_or_b32 exec_lo, exec_lo, s0
	s_and_saveexec_b32 s0, vcc_lo
	s_cbranch_execz .LBB202_595
.LBB202_614:
	ds_load_b32 v10, v1 offset:16
	s_wait_dscnt 0x0
	v_add_f32_e32 v7, v7, v10
	s_or_b32 exec_lo, exec_lo, s0
	s_and_saveexec_b32 s0, vcc_lo
	s_cbranch_execz .LBB202_596
.LBB202_615:
	ds_load_b32 v10, v1 offset:32
	s_wait_dscnt 0x0
	v_add_f32_e32 v4, v4, v10
	s_or_b32 exec_lo, exec_lo, s0
	s_and_saveexec_b32 s0, vcc_lo
	s_cbranch_execz .LBB202_597
.LBB202_616:
	ds_load_b32 v10, v1 offset:48
	s_wait_dscnt 0x0
	v_add_f32_e32 v5, v5, v10
	s_or_b32 exec_lo, exec_lo, s0
	s_and_saveexec_b32 s0, vcc_lo
	s_cbranch_execz .LBB202_598
.LBB202_617:
	ds_load_b32 v10, v1 offset:64
	s_wait_dscnt 0x0
	v_add_f32_e32 v2, v2, v10
	s_or_b32 exec_lo, exec_lo, s0
	s_and_saveexec_b32 s0, vcc_lo
	s_cbranch_execz .LBB202_599
.LBB202_618:
	ds_load_b32 v10, v1 offset:80
	s_wait_dscnt 0x0
	v_add_f32_e32 v3, v3, v10
	s_or_b32 exec_lo, exec_lo, s0
	s_and_saveexec_b32 s0, vcc_lo
	s_cbranch_execz .LBB202_600
.LBB202_619:
	ds_load_b32 v10, v1 offset:96
	s_wait_dscnt 0x0
	v_add_f32_e32 v8, v8, v10
	s_or_b32 exec_lo, exec_lo, s0
	s_and_saveexec_b32 s0, vcc_lo
	s_cbranch_execnz .LBB202_601
	s_branch .LBB202_602
	.section	.rodata,"a",@progbits
	.p2align	6, 0x0
	.amdhsa_kernel _ZN4vllm25paged_attention_v1_kernelIfhLi32ELi32ELi128ELNS_18Fp8KVCacheDataTypeE1ELb1EEEvPT_PKS2_PKT0_S8_ifPKiSA_iPKfiiiSC_SC_iiiii
		.amdhsa_group_segment_fixed_size 160
		.amdhsa_private_segment_fixed_size 0
		.amdhsa_kernarg_size 384
		.amdhsa_user_sgpr_count 2
		.amdhsa_user_sgpr_dispatch_ptr 0
		.amdhsa_user_sgpr_queue_ptr 0
		.amdhsa_user_sgpr_kernarg_segment_ptr 1
		.amdhsa_user_sgpr_dispatch_id 0
		.amdhsa_user_sgpr_kernarg_preload_length 0
		.amdhsa_user_sgpr_kernarg_preload_offset 0
		.amdhsa_user_sgpr_private_segment_size 0
		.amdhsa_wavefront_size32 1
		.amdhsa_uses_dynamic_stack 0
		.amdhsa_enable_private_segment 0
		.amdhsa_system_sgpr_workgroup_id_x 1
		.amdhsa_system_sgpr_workgroup_id_y 1
		.amdhsa_system_sgpr_workgroup_id_z 1
		.amdhsa_system_sgpr_workgroup_info 0
		.amdhsa_system_vgpr_workitem_id 0
		.amdhsa_next_free_vgpr 118
		.amdhsa_next_free_sgpr 45
		.amdhsa_named_barrier_count 0
		.amdhsa_reserve_vcc 1
		.amdhsa_float_round_mode_32 0
		.amdhsa_float_round_mode_16_64 0
		.amdhsa_float_denorm_mode_32 3
		.amdhsa_float_denorm_mode_16_64 3
		.amdhsa_fp16_overflow 0
		.amdhsa_memory_ordered 1
		.amdhsa_forward_progress 1
		.amdhsa_inst_pref_size 170
		.amdhsa_round_robin_scheduling 0
		.amdhsa_exception_fp_ieee_invalid_op 0
		.amdhsa_exception_fp_denorm_src 0
		.amdhsa_exception_fp_ieee_div_zero 0
		.amdhsa_exception_fp_ieee_overflow 0
		.amdhsa_exception_fp_ieee_underflow 0
		.amdhsa_exception_fp_ieee_inexact 0
		.amdhsa_exception_int_div_zero 0
	.end_amdhsa_kernel
	.section	.text._ZN4vllm25paged_attention_v1_kernelIfhLi32ELi32ELi128ELNS_18Fp8KVCacheDataTypeE1ELb1EEEvPT_PKS2_PKT0_S8_ifPKiSA_iPKfiiiSC_SC_iiiii,"axG",@progbits,_ZN4vllm25paged_attention_v1_kernelIfhLi32ELi32ELi128ELNS_18Fp8KVCacheDataTypeE1ELb1EEEvPT_PKS2_PKT0_S8_ifPKiSA_iPKfiiiSC_SC_iiiii,comdat
.Lfunc_end202:
	.size	_ZN4vllm25paged_attention_v1_kernelIfhLi32ELi32ELi128ELNS_18Fp8KVCacheDataTypeE1ELb1EEEvPT_PKS2_PKT0_S8_ifPKiSA_iPKfiiiSC_SC_iiiii, .Lfunc_end202-_ZN4vllm25paged_attention_v1_kernelIfhLi32ELi32ELi128ELNS_18Fp8KVCacheDataTypeE1ELb1EEEvPT_PKS2_PKT0_S8_ifPKiSA_iPKfiiiSC_SC_iiiii
                                        ; -- End function
	.set _ZN4vllm25paged_attention_v1_kernelIfhLi32ELi32ELi128ELNS_18Fp8KVCacheDataTypeE1ELb1EEEvPT_PKS2_PKT0_S8_ifPKiSA_iPKfiiiSC_SC_iiiii.num_vgpr, 118
	.set _ZN4vllm25paged_attention_v1_kernelIfhLi32ELi32ELi128ELNS_18Fp8KVCacheDataTypeE1ELb1EEEvPT_PKS2_PKT0_S8_ifPKiSA_iPKfiiiSC_SC_iiiii.num_agpr, 0
	.set _ZN4vllm25paged_attention_v1_kernelIfhLi32ELi32ELi128ELNS_18Fp8KVCacheDataTypeE1ELb1EEEvPT_PKS2_PKT0_S8_ifPKiSA_iPKfiiiSC_SC_iiiii.numbered_sgpr, 45
	.set _ZN4vllm25paged_attention_v1_kernelIfhLi32ELi32ELi128ELNS_18Fp8KVCacheDataTypeE1ELb1EEEvPT_PKS2_PKT0_S8_ifPKiSA_iPKfiiiSC_SC_iiiii.num_named_barrier, 0
	.set _ZN4vllm25paged_attention_v1_kernelIfhLi32ELi32ELi128ELNS_18Fp8KVCacheDataTypeE1ELb1EEEvPT_PKS2_PKT0_S8_ifPKiSA_iPKfiiiSC_SC_iiiii.private_seg_size, 0
	.set _ZN4vllm25paged_attention_v1_kernelIfhLi32ELi32ELi128ELNS_18Fp8KVCacheDataTypeE1ELb1EEEvPT_PKS2_PKT0_S8_ifPKiSA_iPKfiiiSC_SC_iiiii.uses_vcc, 1
	.set _ZN4vllm25paged_attention_v1_kernelIfhLi32ELi32ELi128ELNS_18Fp8KVCacheDataTypeE1ELb1EEEvPT_PKS2_PKT0_S8_ifPKiSA_iPKfiiiSC_SC_iiiii.uses_flat_scratch, 0
	.set _ZN4vllm25paged_attention_v1_kernelIfhLi32ELi32ELi128ELNS_18Fp8KVCacheDataTypeE1ELb1EEEvPT_PKS2_PKT0_S8_ifPKiSA_iPKfiiiSC_SC_iiiii.has_dyn_sized_stack, 0
	.set _ZN4vllm25paged_attention_v1_kernelIfhLi32ELi32ELi128ELNS_18Fp8KVCacheDataTypeE1ELb1EEEvPT_PKS2_PKT0_S8_ifPKiSA_iPKfiiiSC_SC_iiiii.has_recursion, 0
	.set _ZN4vllm25paged_attention_v1_kernelIfhLi32ELi32ELi128ELNS_18Fp8KVCacheDataTypeE1ELb1EEEvPT_PKS2_PKT0_S8_ifPKiSA_iPKfiiiSC_SC_iiiii.has_indirect_call, 0
	.section	.AMDGPU.csdata,"",@progbits
; Kernel info:
; codeLenInByte = 21760
; TotalNumSgprs: 47
; NumVgprs: 118
; ScratchSize: 0
; MemoryBound: 0
; FloatMode: 240
; IeeeMode: 1
; LDSByteSize: 160 bytes/workgroup (compile time only)
; SGPRBlocks: 0
; VGPRBlocks: 7
; NumSGPRsForWavesPerEU: 47
; NumVGPRsForWavesPerEU: 118
; NamedBarCnt: 0
; Occupancy: 8
; WaveLimiterHint : 1
; COMPUTE_PGM_RSRC2:SCRATCH_EN: 0
; COMPUTE_PGM_RSRC2:USER_SGPR: 2
; COMPUTE_PGM_RSRC2:TRAP_HANDLER: 0
; COMPUTE_PGM_RSRC2:TGID_X_EN: 1
; COMPUTE_PGM_RSRC2:TGID_Y_EN: 1
; COMPUTE_PGM_RSRC2:TGID_Z_EN: 1
; COMPUTE_PGM_RSRC2:TIDIG_COMP_CNT: 0
	.section	.text._ZN4vllm25paged_attention_v1_kernelIfhLi64ELi32ELi128ELNS_18Fp8KVCacheDataTypeE1ELb1EEEvPT_PKS2_PKT0_S8_ifPKiSA_iPKfiiiSC_SC_iiiii,"axG",@progbits,_ZN4vllm25paged_attention_v1_kernelIfhLi64ELi32ELi128ELNS_18Fp8KVCacheDataTypeE1ELb1EEEvPT_PKS2_PKT0_S8_ifPKiSA_iPKfiiiSC_SC_iiiii,comdat
	.protected	_ZN4vllm25paged_attention_v1_kernelIfhLi64ELi32ELi128ELNS_18Fp8KVCacheDataTypeE1ELb1EEEvPT_PKS2_PKT0_S8_ifPKiSA_iPKfiiiSC_SC_iiiii ; -- Begin function _ZN4vllm25paged_attention_v1_kernelIfhLi64ELi32ELi128ELNS_18Fp8KVCacheDataTypeE1ELb1EEEvPT_PKS2_PKT0_S8_ifPKiSA_iPKfiiiSC_SC_iiiii
	.globl	_ZN4vllm25paged_attention_v1_kernelIfhLi64ELi32ELi128ELNS_18Fp8KVCacheDataTypeE1ELb1EEEvPT_PKS2_PKT0_S8_ifPKiSA_iPKfiiiSC_SC_iiiii
	.p2align	8
	.type	_ZN4vllm25paged_attention_v1_kernelIfhLi64ELi32ELi128ELNS_18Fp8KVCacheDataTypeE1ELb1EEEvPT_PKS2_PKT0_S8_ifPKiSA_iPKfiiiSC_SC_iiiii,@function
_ZN4vllm25paged_attention_v1_kernelIfhLi64ELi32ELi128ELNS_18Fp8KVCacheDataTypeE1ELb1EEEvPT_PKS2_PKT0_S8_ifPKiSA_iPKfiiiSC_SC_iiiii: ; @_ZN4vllm25paged_attention_v1_kernelIfhLi64ELi32ELi128ELNS_18Fp8KVCacheDataTypeE1ELb1EEEvPT_PKS2_PKT0_S8_ifPKiSA_iPKfiiiSC_SC_iiiii
; %bb.0:
	s_load_b64 s[24:25], s[0:1], 0x20
	s_bfe_u32 s3, ttmp6, 0x4000c
	s_bfe_u32 s4, ttmp6, 0x40010
	s_and_b32 s6, ttmp7, 0xffff
	s_add_co_i32 s3, s3, 1
	s_add_co_i32 s4, s4, 1
	s_and_b32 s2, ttmp6, 15
	s_bfe_u32 s5, ttmp6, 0x40004
	s_mul_i32 s3, ttmp9, s3
	s_mul_i32 s4, s6, s4
	s_getreg_b32 s28, hwreg(HW_REG_IB_STS2, 6, 4)
	s_add_co_i32 s2, s2, s3
	s_add_co_i32 s3, s5, s4
	s_cmp_eq_u32 s28, 0
	v_mov_b32_e32 v40, v0
	s_cselect_b32 s30, s6, s3
	s_cselect_b32 s2, ttmp9, s2
	s_clause 0x1
	s_load_b32 s29, s[0:1], 0x80
	s_load_b64 s[4:5], s[0:1], 0x30
	s_wait_kmcnt 0x0
	s_abs_i32 s3, s24
	s_delay_alu instid0(SALU_CYCLE_1) | instskip(SKIP_1) | instid1(SALU_CYCLE_2)
	s_cvt_f32_u32 s6, s3
	s_sub_co_i32 s7, 0, s3
	v_rcp_iflag_f32_e32 v0, s6
	v_nop
	s_delay_alu instid0(TRANS32_DEP_1) | instskip(SKIP_2) | instid1(SALU_CYCLE_3)
	v_readfirstlane_b32 s6, v0
	s_abs_i32 s8, s29
	s_mul_f32 s6, s6, 0x4f7ffffe
	s_cvt_u32_f32 s6, s6
	s_delay_alu instid0(SALU_CYCLE_3) | instskip(NEXT) | instid1(SALU_CYCLE_1)
	s_mul_i32 s7, s7, s6
	s_mul_hi_u32 s7, s6, s7
	s_delay_alu instid0(SALU_CYCLE_1) | instskip(SKIP_4) | instid1(SALU_CYCLE_1)
	s_add_co_i32 s6, s6, s7
	s_xor_b32 s7, s29, s24
	s_mul_hi_u32 s6, s8, s6
	s_ashr_i32 s7, s7, 31
	s_mul_i32 s9, s6, s3
	s_sub_co_i32 s8, s8, s9
	s_add_co_i32 s9, s6, 1
	s_sub_co_i32 s10, s8, s3
	s_cmp_ge_u32 s8, s3
	s_cselect_b32 s6, s9, s6
	s_cselect_b32 s8, s10, s8
	s_add_co_i32 s9, s6, 1
	s_cmp_ge_u32 s8, s3
	s_load_b64 s[10:11], s[0:1], 0x40
	s_cselect_b32 s3, s9, s6
	s_mov_b32 s9, 0
	s_xor_b32 s3, s3, s7
	s_abs_i32 s8, s2
	s_sub_co_i32 s16, s3, s7
	s_mov_b32 s7, s9
	s_abs_i32 s15, s16
	s_mov_b32 s36, s9
	s_cvt_f32_u32 s3, s15
	s_sub_co_i32 s6, 0, s15
	s_delay_alu instid0(SALU_CYCLE_2) | instskip(SKIP_1) | instid1(TRANS32_DEP_1)
	v_rcp_iflag_f32_e32 v0, s3
	v_nop
	v_readfirstlane_b32 s3, v0
	s_mul_f32 s3, s3, 0x4f7ffffe
	s_delay_alu instid0(SALU_CYCLE_3) | instskip(NEXT) | instid1(SALU_CYCLE_3)
	s_cvt_u32_f32 s3, s3
	s_mul_i32 s6, s6, s3
	s_delay_alu instid0(SALU_CYCLE_1) | instskip(NEXT) | instid1(SALU_CYCLE_1)
	s_mul_hi_u32 s6, s3, s6
	s_add_co_i32 s6, s3, s6
	s_wait_kmcnt 0x0
	s_cmp_eq_u64 s[10:11], 0
	s_cbranch_scc1 .LBB203_2
; %bb.1:
	s_ashr_i32 s3, s2, 31
	s_delay_alu instid0(SALU_CYCLE_1) | instskip(NEXT) | instid1(SALU_CYCLE_1)
	s_lshl_b64 s[12:13], s[2:3], 2
	s_add_nc_u64 s[10:11], s[10:11], s[12:13]
	s_load_b32 s36, s[10:11], 0x0
.LBB203_2:
	s_load_b32 s31, s[4:5], s30 offset:0x0 scale_offset
	s_load_b96 s[12:14], s[0:1], 0x48
	s_ashr_i32 s3, s2, 31
	s_ashr_i32 s18, s16, 31
	s_wait_xcnt 0x0
	s_mul_u64 s[10:11], s[8:9], s[6:7]
	s_lshl_b32 s16, s2, 6
	s_mov_b32 s4, exec_lo
	v_cmpx_gt_u32_e32 16, v40
	s_cbranch_execz .LBB203_4
; %bb.3:
	s_load_b64 s[6:7], s[0:1], 0x8
	s_wait_kmcnt 0x0
	s_mul_i32 s20, s12, s30
	s_ashr_i32 s17, s16, 31
	s_ashr_i32 s21, s20, 31
	v_lshlrev_b32_e32 v4, 4, v40
	s_lshl_b64 s[20:21], s[20:21], 2
	s_delay_alu instid0(SALU_CYCLE_1) | instskip(SKIP_1) | instid1(SALU_CYCLE_1)
	s_add_nc_u64 s[6:7], s[6:7], s[20:21]
	s_lshl_b64 s[20:21], s[16:17], 2
	s_add_nc_u64 s[6:7], s[6:7], s[20:21]
	global_load_b128 v[0:3], v40, s[6:7] scale_offset
	s_wait_loadcnt 0x0
	ds_store_b128 v4, v[0:3]
.LBB203_4:
	s_or_b32 exec_lo, exec_lo, s4
	s_load_b128 s[4:7], s[0:1], 0x68
	s_mul_i32 s9, s11, s15
	s_xor_b32 s3, s3, s18
	s_sub_co_i32 s8, s8, s9
	s_add_co_i32 s9, s11, 1
	s_sub_co_i32 s10, s8, s15
	s_cmp_ge_u32 s8, s15
	s_wait_dscnt 0x0
	s_cselect_b32 s9, s9, s11
	s_cselect_b32 s8, s10, s8
	s_add_co_i32 s11, s9, 1
	s_cmp_ge_u32 s8, s15
	s_load_b32 s10, s[0:1], 0x78
	s_cselect_b32 s8, s11, s9
	s_wait_kmcnt 0x0
	s_add_co_i32 s11, s31, -1
	s_xor_b32 s8, s8, s3
	s_mov_b32 s15, -1
	s_sub_co_i32 s3, s8, s3
	s_barrier_signal -1
	s_barrier_wait -1
	s_abs_i32 s12, s7
	s_delay_alu instid0(SALU_CYCLE_1) | instskip(NEXT) | instid1(SALU_CYCLE_3)
	s_cvt_f32_u32 s9, s12
	v_rcp_iflag_f32_e32 v0, s9
	v_nop
	s_delay_alu instid0(TRANS32_DEP_1) | instskip(SKIP_1) | instid1(SALU_CYCLE_3)
	v_readfirstlane_b32 s9, v0
	s_mul_f32 s8, s9, 0x4f7ffffe
	s_cvt_u32_f32 s17, s8
	s_sub_co_i32 s8, 0, s12
	s_delay_alu instid0(SALU_CYCLE_2)
	s_mul_i32 s9, s8, s17
	s_abs_i32 s8, s11
	s_mul_hi_u32 s18, s17, s9
	s_mov_b32 s9, 0
	s_add_co_i32 s18, s17, s18
	s_cmp_lt_i32 s10, 0
	s_mov_b32 s19, s9
                                        ; implicit-def: $sgpr17
	s_cbranch_scc0 .LBB203_6
; %bb.5:
	s_mul_i32 s15, s4, s24
	s_delay_alu instid0(SALU_CYCLE_1) | instskip(NEXT) | instid1(SALU_CYCLE_1)
	s_add_co_i32 s15, s3, s15
	s_mul_i32 s15, s15, s10
	s_delay_alu instid0(SALU_CYCLE_1)
	s_sub_co_i32 s17, 1, s15
	s_mov_b32 s15, s9
.LBB203_6:
	s_ashr_i32 s11, s11, 31
	s_ashr_i32 s33, s7, 31
	s_and_not1_b32 vcc_lo, exec_lo, s15
	s_mul_u64 s[26:27], s[8:9], s[18:19]
	s_cbranch_vccnz .LBB203_8
; %bb.7:
	s_mul_i32 s4, s29, s4
	s_delay_alu instid0(SALU_CYCLE_1) | instskip(NEXT) | instid1(SALU_CYCLE_1)
	s_add_co_i32 s2, s4, s2
	s_mul_i32 s2, s2, s10
	s_delay_alu instid0(SALU_CYCLE_1)
	s_add_co_i32 s17, s2, 1
.LBB203_8:
	s_clause 0x1
	s_load_b32 s2, s[0:1], 0x38
	s_load_b64 s[20:21], s[0:1], 0x28
	s_mul_i32 s7, s27, s12
	s_xor_b32 s4, s11, s33
	s_sub_co_i32 s24, s8, s7
	s_add_co_i32 s15, s27, 1
	s_clause 0x1
	s_load_b32 s7, s[0:1], 0x88
	s_load_b128 s[8:11], s[0:1], 0x58
	v_dual_lshrrev_b32 v80, 5, v40 :: v_dual_bitop2_b32 v0, 31, v40 bitop3:0x40
	v_dual_mov_b32 v91, 0xff7fffff :: v_dual_lshrrev_b32 v26, 3, v40
	s_mul_i32 s14, s3, s14
	s_delay_alu instid0(VALU_DEP_2) | instskip(NEXT) | instid1(VALU_DEP_3)
	v_lshlrev_b32_e32 v66, 5, v80
	v_lshlrev_b32_e32 v8, 2, v0
	scratch_store_b32 off, v0, off offset:64 ; 4-byte Folded Spill
	s_wait_kmcnt 0x0
	s_mul_i32 s22, s2, s30
	s_sub_co_i32 s2, s24, s12
	s_ashr_i32 s23, s22, 31
	s_cmp_ge_u32 s24, s12
	s_cselect_b32 s15, s15, s27
	s_cselect_b32 s2, s2, s24
	s_add_co_i32 s24, s15, 1
	s_cmp_ge_u32 s2, s12
	s_cselect_b32 s2, s24, s15
	s_add_co_i32 s15, s31, 31
	s_delay_alu instid0(SALU_CYCLE_1) | instskip(NEXT) | instid1(SALU_CYCLE_1)
	s_ashr_i32 s24, s15, 31
	s_lshr_b32 s24, s24, 27
	s_delay_alu instid0(SALU_CYCLE_1) | instskip(NEXT) | instid1(SALU_CYCLE_1)
	s_add_co_i32 s15, s15, s24
	s_ashr_i32 s34, s15, 5
	s_xor_b32 s15, s2, s4
	v_cmp_gt_i32_e64 s2, s34, v80
	s_sub_co_i32 s35, s15, s4
	s_wait_xcnt 0x0
	s_and_saveexec_b32 s24, s2
	s_cbranch_execz .LBB203_528
; %bb.9:
	scratch_load_b32 v1, off, off offset:64 ; 4-byte Folded Reload
	v_mov_b32_e32 v69, 0
	s_sub_co_i32 s37, s35, s5
	s_ashr_i32 s15, s14, 31
	s_cmp_neq_f32 s36, 0
	s_load_b64 s[26:27], s[0:1], 0x10
	v_lshl_or_b32 v2, v80, 7, v8
	v_mov_b32_e32 v91, 0xff7fffff
	s_cselect_b32 vcc_lo, -1, 0
	s_abs_i32 s38, s6
	s_mov_b32 s39, s13
	s_cvt_f32_u32 s3, s38
	s_sub_co_i32 s4, 0, s38
	v_add_nc_u32_e32 v67, 0x120, v2
	s_delay_alu instid0(SALU_CYCLE_1) | instskip(SKIP_1) | instid1(TRANS32_DEP_1)
	v_rcp_iflag_f32_e32 v0, s3
	v_nop
	v_readfirstlane_b32 s3, v0
	s_wait_kmcnt 0x0
	s_add_nc_u64 s[26:27], s[26:27], s[14:15]
	s_mul_f32 s3, s3, 0x4f7ffffe
	s_delay_alu instid0(SALU_CYCLE_3) | instskip(NEXT) | instid1(SALU_CYCLE_3)
	s_cvt_u32_f32 s3, s3
	s_mul_i32 s4, s4, s3
	s_delay_alu instid0(SALU_CYCLE_1)
	s_mul_hi_u32 s4, s3, s4
	s_wait_loadcnt 0x0
	v_lshlrev_b32_e32 v68, 4, v1
	ds_load_b128 v[4:7], v69
	scratch_store_b32 off, v40, off offset:336 ; 4-byte Folded Spill
	v_subrev_nc_u32_e32 v1, s31, v1
	s_delay_alu instid0(VALU_DEP_1)
	v_dual_lshlrev_b32 v74, 5, v80 :: v_dual_add_nc_u32 v90, 1, v1
	s_wait_dscnt 0x0
	scratch_store_b128 off, v[4:7], off offset:68 ; 16-byte Folded Spill
	s_wait_xcnt 0x0
	ds_load_b128 v[4:7], v69 offset:16
	scratch_store_b32 off, v8, off offset:348 ; 4-byte Folded Spill
	s_wait_dscnt 0x0
	scratch_store_b128 off, v[4:7], off offset:84 ; 16-byte Folded Spill
	s_wait_xcnt 0x0
	ds_load_b128 v[4:7], v69 offset:32
	s_wait_dscnt 0x0
	scratch_store_b128 off, v[4:7], off offset:100 ; 16-byte Folded Spill
	s_wait_xcnt 0x0
	ds_load_b128 v[4:7], v69 offset:48
	s_wait_dscnt 0x0
	scratch_store_b128 off, v[4:7], off offset:116 ; 16-byte Folded Spill
	s_wait_xcnt 0x0
	ds_load_b128 v[4:7], v69 offset:64
	s_wait_dscnt 0x0
	scratch_store_b128 off, v[4:7], off offset:132 ; 16-byte Folded Spill
	s_wait_xcnt 0x0
	ds_load_b128 v[4:7], v69 offset:80
	s_wait_dscnt 0x0
	scratch_store_b128 off, v[4:7], off offset:148 ; 16-byte Folded Spill
	s_wait_xcnt 0x0
	ds_load_b128 v[4:7], v69 offset:96
	s_wait_dscnt 0x0
	scratch_store_b128 off, v[4:7], off offset:164 ; 16-byte Folded Spill
	s_wait_xcnt 0x0
	ds_load_b128 v[4:7], v69 offset:112
	s_wait_dscnt 0x0
	scratch_store_b128 off, v[4:7], off offset:180 ; 16-byte Folded Spill
	s_wait_xcnt 0x0
	ds_load_b128 v[4:7], v69 offset:128
	s_wait_dscnt 0x0
	scratch_store_b128 off, v[4:7], off offset:196 ; 16-byte Folded Spill
	s_wait_xcnt 0x0
	ds_load_b128 v[4:7], v69 offset:144
	s_wait_dscnt 0x0
	scratch_store_b128 off, v[4:7], off offset:212 ; 16-byte Folded Spill
	s_wait_xcnt 0x0
	ds_load_b128 v[4:7], v69 offset:160
	s_wait_dscnt 0x0
	scratch_store_b128 off, v[4:7], off offset:228 ; 16-byte Folded Spill
	s_wait_xcnt 0x0
	ds_load_b128 v[4:7], v69 offset:176
	s_wait_dscnt 0x0
	scratch_store_b128 off, v[4:7], off offset:244 ; 16-byte Folded Spill
	s_wait_xcnt 0x0
	ds_load_b128 v[4:7], v69 offset:192
	s_wait_dscnt 0x0
	scratch_store_b128 off, v[4:7], off offset:260 ; 16-byte Folded Spill
	s_wait_xcnt 0x0
	ds_load_b128 v[4:7], v69 offset:208
	s_wait_dscnt 0x0
	scratch_store_b128 off, v[4:7], off offset:276 ; 16-byte Folded Spill
	s_wait_xcnt 0x0
	ds_load_b128 v[4:7], v69 offset:224
	s_wait_dscnt 0x0
	scratch_store_b128 off, v[4:7], off offset:292 ; 16-byte Folded Spill
	s_wait_xcnt 0x0
	ds_load_b128 v[4:7], v69 offset:240
	s_wait_dscnt 0x0
	scratch_store_b128 off, v[4:7], off offset:308 ; 16-byte Folded Spill
	s_wait_xcnt 0x0
	v_add_nc_u64_e32 v[4:5], s[26:27], v[68:69]
	v_and_b32_e32 v68, 0x7c, v26
	s_lshl_b64 s[26:27], s[22:23], 2
	s_clause 0x1
	scratch_store_b64 off, v[4:5], off offset:324
	scratch_store_b32 off, v26, off offset:344
	s_add_nc_u64 s[26:27], s[20:21], s[26:27]
	s_clause 0x1
	scratch_store_b32 off, v80, off offset:340
	scratch_store_b32 off, v90, off offset:332
	v_add_nc_u64_e32 v[72:73], s[26:27], v[68:69]
	s_mov_b32 s27, 0
	s_add_co_i32 s26, s3, s4
	s_mov_b32 s15, s27
	s_branch .LBB203_15
.LBB203_10:                             ;   in Loop: Header=BB203_15 Depth=1
	s_or_b32 exec_lo, exec_lo, s44
	s_delay_alu instid0(VALU_DEP_1) | instskip(NEXT) | instid1(VALU_DEP_2)
	v_dual_lshlrev_b32 v76, 24, v81 :: v_dual_lshlrev_b32 v68, 20, v68
	v_lshl_add_u32 v75, v75, 23, 0x3c000000
	s_delay_alu instid0(VALU_DEP_2) | instskip(NEXT) | instid1(VALU_DEP_1)
	v_and_b32_e32 v76, 0x80000000, v76
	v_or3_b32 v77, v68, v76, v75
	v_mov_b32_e32 v76, v69
.LBB203_11:                             ;   in Loop: Header=BB203_15 Depth=1
	s_or_b32 exec_lo, exec_lo, s43
	scratch_load_b32 v90, off, off offset:332 ; 4-byte Folded Reload
.LBB203_12:                             ;   in Loop: Header=BB203_15 Depth=1
	s_wait_xcnt 0x0
	s_or_b32 exec_lo, exec_lo, s42
.LBB203_13:                             ;   in Loop: Header=BB203_15 Depth=1
	s_delay_alu instid0(SALU_CYCLE_1)
	s_or_b32 exec_lo, exec_lo, s41
	scratch_load_b64 v[2:3], off, off offset:40 th:TH_LOAD_LU ; 8-byte Folded Reload
	v_or_b32_e32 v13, v13, v15
	v_or_b32_e32 v12, v12, v14
	;; [unrolled: 1-line block ×6, first 2 shown]
	s_wait_kmcnt 0x0
	v_pk_mul_f32 v[14:15], s[4:5], v[12:13] op_sel_hi:[0,1]
	v_or_b32_e32 v13, v17, v19
	v_or_b32_e32 v12, v16, v18
	v_pk_mul_f32 v[16:17], s[4:5], v[4:5] op_sel_hi:[0,1]
	v_or_b32_e32 v5, v9, v11
	v_or_b32_e32 v4, v8, v10
	;; [unrolled: 1-line block ×8, first 2 shown]
	v_pk_mul_f32 v[22:23], s[4:5], v[20:21] op_sel_hi:[0,1]
	v_or_b32_e32 v21, v25, v27
	v_or_b32_e32 v20, v24, v26
	v_pk_mul_f32 v[30:31], s[4:5], v[28:29] op_sel_hi:[0,1]
	v_or_b32_e32 v29, v33, v35
	v_or_b32_e32 v28, v32, v34
	v_pk_mul_f32 v[38:39], s[4:5], v[36:37] op_sel_hi:[0,1]
	v_or_b32_e32 v37, v41, v43
	v_or_b32_e32 v36, v40, v42
	v_or_b32_e32 v45, v45, v47
	v_or_b32_e32 v44, v44, v46
	;; [unrolled: 1-line block ×6, first 2 shown]
	v_pk_mul_f32 v[46:47], s[4:5], v[44:45] op_sel_hi:[0,1]
	v_or_b32_e32 v45, v49, v51
	v_or_b32_e32 v44, v48, v50
	v_pk_mul_f32 v[54:55], s[4:5], v[52:53] op_sel_hi:[0,1]
	v_or_b32_e32 v53, v57, v59
	v_or_b32_e32 v52, v56, v58
	v_pk_mul_f32 v[62:63], s[4:5], v[60:61] op_sel_hi:[0,1]
	v_or_b32_e32 v61, v79, v83
	v_or_b32_e32 v60, v78, v82
	v_pk_mul_f32 v[4:5], s[4:5], v[4:5] op_sel_hi:[0,1]
	v_pk_mul_f32 v[12:13], s[4:5], v[12:13] op_sel_hi:[0,1]
	;; [unrolled: 1-line block ×7, first 2 shown]
	s_wait_loadcnt 0x0
	v_or_b32_e32 v7, v127, v3
	v_or_b32_e32 v6, v126, v2
	v_pk_mul_f32 v[2:3], s[4:5], v[0:1] op_sel_hi:[0,1]
	s_delay_alu instid0(VALU_DEP_2)
	v_pk_mul_f32 v[10:11], s[4:5], v[6:7] op_sel_hi:[0,1]
	s_clause 0x1
	scratch_load_b64 v[0:1], off, off offset:8 th:TH_LOAD_LU
	scratch_load_b64 v[6:7], off, off offset:16 th:TH_LOAD_LU
	s_wait_loadcnt 0x0
	v_or_b32_e32 v1, v1, v7
	v_or_b32_e32 v0, v0, v6
	s_delay_alu instid0(VALU_DEP_1)
	v_pk_mul_f32 v[18:19], s[4:5], v[0:1] op_sel_hi:[0,1]
	s_clause 0x1
	scratch_load_b64 v[0:1], off, off offset:24 th:TH_LOAD_LU
	scratch_load_b64 v[6:7], off, off offset:32 th:TH_LOAD_LU
	s_wait_loadcnt 0x0
	v_or_b32_e32 v1, v1, v7
	v_or_b32_e32 v0, v0, v6
	s_delay_alu instid0(VALU_DEP_1) | instskip(SKIP_2) | instid1(VALU_DEP_1)
	v_pk_mul_f32 v[6:7], s[4:5], v[0:1] op_sel_hi:[0,1]
	v_or_b32_e32 v1, v119, v123
	v_or_b32_e32 v0, v118, v122
	v_pk_mul_f32 v[24:25], s[4:5], v[0:1] op_sel_hi:[0,1]
	scratch_load_b64 v[0:1], off, off th:TH_LOAD_LU ; 8-byte Folded Reload
	s_wait_loadcnt 0x0
	v_or_b32_e32 v1, v71, v1
	v_or_b32_e32 v0, v70, v0
	s_delay_alu instid0(VALU_DEP_1) | instskip(SKIP_2) | instid1(VALU_DEP_1)
	v_pk_mul_f32 v[8:9], s[4:5], v[0:1] op_sel_hi:[0,1]
	v_or_b32_e32 v1, v111, v121
	v_or_b32_e32 v0, v110, v120
	v_pk_mul_f32 v[32:33], s[4:5], v[0:1] op_sel_hi:[0,1]
	v_or_b32_e32 v1, v115, v125
	v_or_b32_e32 v0, v114, v124
	s_delay_alu instid0(VALU_DEP_1) | instskip(SKIP_2) | instid1(VALU_DEP_1)
	v_pk_mul_f32 v[26:27], s[4:5], v[0:1] op_sel_hi:[0,1]
	v_or_b32_e32 v1, v103, v113
	v_or_b32_e32 v0, v102, v112
	v_pk_mul_f32 v[40:41], s[4:5], v[0:1] op_sel_hi:[0,1]
	;; [unrolled: 7-line block ×3, first 2 shown]
	v_or_b32_e32 v1, v99, v109
	v_or_b32_e32 v0, v98, v108
	s_delay_alu instid0(VALU_DEP_1)
	v_pk_mul_f32 v[56:57], s[4:5], v[0:1] op_sel_hi:[0,1]
	scratch_load_b64 v[0:1], off, off offset:48 th:TH_LOAD_LU ; 8-byte Folded Reload
	s_wait_loadcnt 0x0
	v_or_b32_e32 v1, v85, v1
	v_or_b32_e32 v0, v84, v0
	scratch_load_b128 v[82:85], off, off offset:100 ; 16-byte Folded Reload
	v_pk_mul_f32 v[58:59], s[4:5], v[0:1] op_sel_hi:[0,1]
	scratch_load_b64 v[0:1], off, off offset:56 th:TH_LOAD_LU ; 8-byte Folded Reload
	s_wait_loadcnt 0x0
	v_or_b32_e32 v1, v101, v1
	v_or_b32_e32 v0, v100, v0
	s_delay_alu instid0(VALU_DEP_1) | instskip(SKIP_2) | instid1(VALU_DEP_1)
	v_pk_mul_f32 v[70:71], s[4:5], v[0:1] op_sel_hi:[0,1]
	scratch_load_b32 v0, off, off offset:64 ; 4-byte Folded Reload
	v_add_nc_u32_e32 v1, v90, v74
	v_cvt_f32_i32_e32 v1, v1
	s_delay_alu instid0(VALU_DEP_1) | instskip(NEXT) | instid1(VALU_DEP_1)
	v_mul_f32_e32 v48, s36, v1
	v_dual_cndmask_b32 v48, 0, v48, vcc_lo :: v_dual_bitop2_b32 v1, v65, v93 bitop3:0x54
	v_pk_mul_f32 v[60:61], s[4:5], v[60:61] op_sel_hi:[0,1]
	s_wait_loadcnt 0x0
	v_add_nc_u32_e32 v0, v0, v74
	s_delay_alu instid0(VALU_DEP_1) | instskip(SKIP_1) | instid1(VALU_DEP_1)
	v_cmp_gt_i32_e64 s3, s31, v0
	v_or_b32_e32 v0, v64, v92
	v_pk_mul_f32 v[42:43], s[4:5], v[0:1] op_sel_hi:[0,1]
	v_or_b32_e32 v1, v77, v87
	v_or_b32_e32 v0, v76, v86
	s_clause 0x1
	scratch_load_b128 v[76:79], off, off offset:84
	scratch_load_b128 v[86:89], off, off offset:116
	v_pk_mul_f32 v[0:1], s[4:5], v[0:1] op_sel_hi:[0,1]
	s_wait_loadcnt 0x1
	v_pk_mul_f32 v[50:51], v[76:77], v[50:51]
	v_pk_mul_f32 v[56:57], v[78:79], v[56:57]
	scratch_load_b128 v[76:79], off, off offset:68 ; 16-byte Folded Reload
	s_wait_loadcnt 0x0
	v_pk_fma_f32 v[50:51], v[76:77], v[58:59], v[50:51]
	s_delay_alu instid0(VALU_DEP_1) | instskip(NEXT) | instid1(VALU_DEP_1)
	v_pk_fma_f32 v[40:41], v[82:83], v[40:41], v[50:51]
	v_pk_fma_f32 v[32:33], v[86:87], v[32:33], v[40:41]
	;; [unrolled: 1-line block ×3, first 2 shown]
	s_clause 0x1
	scratch_load_b128 v[56:59], off, off offset:132
	scratch_load_b128 v[76:79], off, off offset:164
	v_pk_fma_f32 v[34:35], v[84:85], v[34:35], v[40:41]
	scratch_load_b128 v[82:85], off, off offset:180 ; 16-byte Folded Reload
	v_pk_fma_f32 v[26:27], v[88:89], v[26:27], v[34:35]
	scratch_load_b128 v[86:89], off, off offset:276 ; 16-byte Folded Reload
	s_wait_loadcnt 0x3
	v_pk_fma_f32 v[24:25], v[56:57], v[24:25], v[32:33]
	scratch_load_b128 v[32:35], off, off offset:148 ; 16-byte Folded Reload
	v_pk_fma_f32 v[8:9], v[58:59], v[8:9], v[26:27]
	s_wait_loadcnt 0x0
	v_pk_fma_f32 v[18:19], v[32:33], v[18:19], v[24:25]
	s_delay_alu instid0(VALU_DEP_2) | instskip(NEXT) | instid1(VALU_DEP_2)
	v_pk_fma_f32 v[6:7], v[34:35], v[6:7], v[8:9]
	v_pk_fma_f32 v[10:11], v[76:77], v[10:11], v[18:19]
	s_delay_alu instid0(VALU_DEP_2) | instskip(NEXT) | instid1(VALU_DEP_2)
	v_pk_fma_f32 v[2:3], v[78:79], v[2:3], v[6:7]
	v_pk_fma_f32 v[10:11], v[82:83], v[16:17], v[10:11]
	scratch_load_b128 v[16:19], off, off offset:196 ; 16-byte Folded Reload
	v_pk_fma_f32 v[2:3], v[84:85], v[4:5], v[2:3]
	s_wait_loadcnt 0x0
	v_pk_fma_f32 v[10:11], v[16:17], v[14:15], v[10:11]
	scratch_load_b128 v[14:17], off, off offset:212 ; 16-byte Folded Reload
	v_pk_fma_f32 v[2:3], v[18:19], v[12:13], v[2:3]
	s_wait_loadcnt 0x0
	;; [unrolled: 4-line block ×5, first 2 shown]
	v_pk_fma_f32 v[10:11], v[38:39], v[46:47], v[10:11]
	s_delay_alu instid0(VALU_DEP_2) | instskip(NEXT) | instid1(VALU_DEP_2)
	v_pk_fma_f32 v[2:3], v[40:41], v[44:45], v[2:3]
	v_pk_fma_f32 v[10:11], v[86:87], v[54:55], v[10:11]
	scratch_load_b128 v[54:57], off, off offset:292 ; 16-byte Folded Reload
	v_pk_fma_f32 v[2:3], v[88:89], v[52:53], v[2:3]
	s_wait_loadcnt 0x0
	v_pk_fma_f32 v[10:11], v[54:55], v[62:63], v[10:11]
	scratch_load_b128 v[62:65], off, off offset:308 ; 16-byte Folded Reload
	v_pk_fma_f32 v[2:3], v[56:57], v[60:61], v[2:3]
	s_wait_loadcnt 0x0
	v_pk_fma_f32 v[10:11], v[62:63], v[42:43], v[10:11]
	s_delay_alu instid0(VALU_DEP_2) | instskip(NEXT) | instid1(VALU_DEP_2)
	v_pk_fma_f32 v[0:1], v[64:65], v[0:1], v[2:3]
	v_add_f32_e32 v2, v10, v11
	s_delay_alu instid0(VALU_DEP_1) | instskip(NEXT) | instid1(VALU_DEP_1)
	v_add_f32_e32 v0, v2, v0
	v_add_f32_e32 v0, v1, v0
	s_delay_alu instid0(VALU_DEP_1) | instskip(NEXT) | instid1(VALU_DEP_1)
	v_fmac_f32_e32 v48, s25, v0
	v_cndmask_b32_e64 v0, 0, v48, s3
	ds_store_b32 v67, v0
	v_max_num_f32_e32 v0, v91, v91
	s_delay_alu instid0(VALU_DEP_1) | instskip(NEXT) | instid1(VALU_DEP_1)
	v_max_num_f32_e32 v0, v0, v48
	v_cndmask_b32_e64 v91, v91, v0, s3
.LBB203_14:                             ;   in Loop: Header=BB203_15 Depth=1
	s_wait_xcnt 0x0
	s_or_b32 exec_lo, exec_lo, s40
	v_add_nc_u32_e32 v80, 4, v80
	v_add_nc_u64_e32 v[72:73], 16, v[72:73]
	v_add_nc_u32_e32 v74, 0x80, v74
	v_add_nc_u32_e32 v67, 0x200, v67
	s_delay_alu instid0(VALU_DEP_4) | instskip(SKIP_1) | instid1(SALU_CYCLE_1)
	v_cmp_le_i32_e64 s3, s34, v80
	s_or_b32 s15, s3, s15
	s_and_not1_b32 exec_lo, exec_lo, s15
	s_cbranch_execz .LBB203_527
.LBB203_15:                             ; =>This Inner Loop Header: Depth=1
	v_mov_b32_e32 v75, v69
	s_delay_alu instid0(VALU_DEP_1) | instskip(NEXT) | instid1(VALU_DEP_1)
	v_mul_u64_e32 v[0:1], s[18:19], v[74:75]
	v_mul_lo_u32 v0, v1, s12
	s_delay_alu instid0(VALU_DEP_1) | instskip(NEXT) | instid1(VALU_DEP_1)
	v_sub_nc_u32_e32 v0, v74, v0
	v_subrev_nc_u32_e32 v3, s12, v0
	v_cmp_le_u32_e64 s3, s12, v0
	s_delay_alu instid0(VALU_DEP_1) | instskip(NEXT) | instid1(VALU_DEP_1)
	v_dual_add_nc_u32 v2, 1, v1 :: v_dual_cndmask_b32 v0, v0, v3, s3
	v_cndmask_b32_e64 v1, v1, v2, s3
	s_delay_alu instid0(VALU_DEP_2) | instskip(NEXT) | instid1(VALU_DEP_2)
	v_cmp_le_u32_e64 s3, s12, v0
	v_add_nc_u32_e32 v2, 1, v1
	s_delay_alu instid0(VALU_DEP_1) | instskip(NEXT) | instid1(VALU_DEP_1)
	v_cndmask_b32_e64 v0, v1, v2, s3
	v_xor_b32_e32 v0, s33, v0
	s_delay_alu instid0(VALU_DEP_1) | instskip(NEXT) | instid1(VALU_DEP_1)
	v_subrev_nc_u32_e32 v2, s33, v0
	v_add_nc_u32_e32 v3, s17, v2
	v_cmp_ge_i32_e64 s4, s37, v2
	s_delay_alu instid0(VALU_DEP_2) | instskip(NEXT) | instid1(VALU_DEP_1)
	v_sub_nc_u32_e32 v0, 0, v3
	v_dual_ashrrev_i32 v3, 31, v3 :: v_dual_max_i32 v68, v3, v0
	s_delay_alu instid0(VALU_DEP_1) | instskip(NEXT) | instid1(VALU_DEP_1)
	v_mul_u64_e32 v[0:1], s[26:27], v[68:69]
	v_mul_lo_u32 v0, v1, s38
	s_delay_alu instid0(VALU_DEP_1) | instskip(NEXT) | instid1(VALU_DEP_1)
	v_sub_nc_u32_e32 v0, v68, v0
	v_subrev_nc_u32_e32 v1, s38, v0
	v_cmp_le_u32_e64 s3, s38, v0
	s_delay_alu instid0(VALU_DEP_1) | instskip(NEXT) | instid1(VALU_DEP_1)
	v_cndmask_b32_e64 v0, v0, v1, s3
	v_subrev_nc_u32_e32 v1, s38, v0
	v_cmp_le_u32_e64 s3, s38, v0
	s_delay_alu instid0(VALU_DEP_1) | instskip(NEXT) | instid1(VALU_DEP_1)
	v_cndmask_b32_e64 v0, v0, v1, s3
	v_xor_b32_e32 v0, v0, v3
	s_delay_alu instid0(VALU_DEP_1) | instskip(NEXT) | instid1(VALU_DEP_1)
	v_sub_nc_u32_e32 v0, v0, v3
	v_cmp_ne_u32_e64 s3, 0, v0
	s_and_b32 s3, s3, s4
	s_wait_xcnt 0x0
	s_and_saveexec_b32 s4, s3
	s_delay_alu instid0(SALU_CYCLE_1)
	s_xor_b32 s3, exec_lo, s4
; %bb.16:                               ;   in Loop: Header=BB203_15 Depth=1
	v_mov_b32_e32 v0, 0xff7fffff
	ds_store_b32 v67, v0
; %bb.17:                               ;   in Loop: Header=BB203_15 Depth=1
	s_and_not1_saveexec_b32 s40, s3
	s_cbranch_execz .LBB203_14
; %bb.18:                               ;   in Loop: Header=BB203_15 Depth=1
	global_load_b32 v0, v[72:73], off
	scratch_load_b64 v[2:3], off, off offset:324 ; 8-byte Folded Reload
	s_load_b32 s4, s[8:9], 0x0
	v_mov_b64_e32 v[84:85], 0
	s_mov_b32 s41, exec_lo
	s_wait_loadcnt 0x0
	v_mad_nc_i64_i32 v[92:93], v0, s39, v[2:3]
	v_mov_b64_e32 v[2:3], 0
	scratch_store_b64 off, v[2:3], off offset:48 ; 8-byte Folded Spill
	global_load_b32 v0, v[92:93], off
	s_wait_loadcnt 0x0
	v_and_b32_e32 v1, 0xff, v0
	s_wait_xcnt 0x0
	s_delay_alu instid0(VALU_DEP_1)
	v_cmpx_ne_u16_e32 0, v1
	s_cbranch_execz .LBB203_26
; %bb.19:                               ;   in Loop: Header=BB203_15 Depth=1
	v_mov_b64_e32 v[2:3], 0x80000000
	s_mov_b32 s42, exec_lo
	scratch_store_b64 off, v[2:3], off offset:48 ; 8-byte Folded Spill
	s_wait_xcnt 0x0
	v_cmpx_ne_u16_e32 0x80, v1
	s_cbranch_execz .LBB203_25
; %bb.20:                               ;   in Loop: Header=BB203_15 Depth=1
	v_mov_b64_e32 v[4:5], 0x7f800001
	v_and_b32_e32 v2, 0x7f, v0
	s_mov_b32 s43, exec_lo
	scratch_store_b64 off, v[4:5], off offset:48 ; 8-byte Folded Spill
	s_wait_xcnt 0x0
	v_cmpx_ne_u32_e32 0x7f, v2
	s_cbranch_execz .LBB203_24
; %bb.21:                               ;   in Loop: Header=BB203_15 Depth=1
	v_dual_lshrrev_b32 v1, 3, v2 :: v_dual_bitop2_b32 v68, 7, v0 bitop3:0x40
	s_mov_b32 s44, exec_lo
	v_cmpx_gt_u32_e32 8, v2
; %bb.22:                               ;   in Loop: Header=BB203_15 Depth=1
	s_delay_alu instid0(VALU_DEP_2) | instskip(NEXT) | instid1(VALU_DEP_1)
	v_clz_i32_u32_e32 v1, v68
	v_min_u32_e32 v1, 32, v1
	s_delay_alu instid0(VALU_DEP_1) | instskip(NEXT) | instid1(VALU_DEP_1)
	v_subrev_nc_u32_e32 v2, 28, v1
	v_lshlrev_b64_e32 v[2:3], v2, v[68:69]
	s_delay_alu instid0(VALU_DEP_1)
	v_dual_sub_nc_u32 v1, 29, v1 :: v_dual_bitop2_b32 v68, 7, v2 bitop3:0x40
; %bb.23:                               ;   in Loop: Header=BB203_15 Depth=1
	s_or_b32 exec_lo, exec_lo, s44
	v_lshlrev_b32_e32 v2, 24, v0
	s_delay_alu instid0(VALU_DEP_2) | instskip(NEXT) | instid1(VALU_DEP_3)
	v_lshlrev_b32_e32 v3, 20, v68
	v_lshl_add_u32 v1, v1, 23, 0x3c000000
	s_delay_alu instid0(VALU_DEP_3) | instskip(NEXT) | instid1(VALU_DEP_1)
	v_and_b32_e32 v2, 0x80000000, v2
	v_or3_b32 v68, v3, v2, v1
	scratch_store_b64 off, v[68:69], off offset:48 ; 8-byte Folded Spill
.LBB203_24:                             ;   in Loop: Header=BB203_15 Depth=1
	s_wait_xcnt 0x0
	s_or_b32 exec_lo, exec_lo, s43
.LBB203_25:                             ;   in Loop: Header=BB203_15 Depth=1
	s_delay_alu instid0(SALU_CYCLE_1)
	s_or_b32 exec_lo, exec_lo, s42
.LBB203_26:                             ;   in Loop: Header=BB203_15 Depth=1
	s_delay_alu instid0(SALU_CYCLE_1) | instskip(SKIP_2) | instid1(VALU_DEP_1)
	s_or_b32 exec_lo, exec_lo, s41
	v_lshrrev_b16 v1, 8, v0
	s_mov_b32 s41, exec_lo
	v_cmpx_ne_u16_e32 0, v1
	s_cbranch_execz .LBB203_34
; %bb.27:                               ;   in Loop: Header=BB203_15 Depth=1
	v_mov_b64_e32 v[84:85], 0x8000000000000000
	s_mov_b32 s42, exec_lo
	v_cmpx_ne_u16_e32 0x80, v1
	s_cbranch_execz .LBB203_33
; %bb.28:                               ;   in Loop: Header=BB203_15 Depth=1
	v_and_b32_e32 v1, 0xffff, v1
	v_mov_b64_e32 v[84:85], 0x7f80000100000000
	s_mov_b32 s43, exec_lo
	s_delay_alu instid0(VALU_DEP_2) | instskip(NEXT) | instid1(VALU_DEP_1)
	v_and_b32_e32 v2, 0x7f, v1
	v_cmpx_ne_u32_e32 0x7f, v2
	s_cbranch_execz .LBB203_32
; %bb.29:                               ;   in Loop: Header=BB203_15 Depth=1
	v_dual_lshrrev_b32 v1, 3, v2 :: v_dual_bitop2_b32 v68, 7, v1 bitop3:0x40
	s_mov_b32 s44, exec_lo
	v_cmpx_gt_u32_e32 8, v2
; %bb.30:                               ;   in Loop: Header=BB203_15 Depth=1
	s_delay_alu instid0(VALU_DEP_2) | instskip(NEXT) | instid1(VALU_DEP_1)
	v_clz_i32_u32_e32 v1, v68
	v_min_u32_e32 v1, 32, v1
	s_delay_alu instid0(VALU_DEP_1) | instskip(NEXT) | instid1(VALU_DEP_1)
	v_subrev_nc_u32_e32 v2, 28, v1
	v_lshlrev_b64_e32 v[2:3], v2, v[68:69]
	s_delay_alu instid0(VALU_DEP_1)
	v_dual_sub_nc_u32 v1, 29, v1 :: v_dual_bitop2_b32 v68, 7, v2 bitop3:0x40
; %bb.31:                               ;   in Loop: Header=BB203_15 Depth=1
	s_or_b32 exec_lo, exec_lo, s44
	v_dual_lshlrev_b32 v2, 16, v0 :: v_dual_mov_b32 v84, v69
	s_delay_alu instid0(VALU_DEP_2) | instskip(NEXT) | instid1(VALU_DEP_3)
	v_lshlrev_b32_e32 v3, 20, v68
	v_lshl_add_u32 v1, v1, 23, 0x3c000000
	s_delay_alu instid0(VALU_DEP_3) | instskip(NEXT) | instid1(VALU_DEP_1)
	v_and_b32_e32 v2, 0x80000000, v2
	v_or3_b32 v85, v3, v2, v1
.LBB203_32:                             ;   in Loop: Header=BB203_15 Depth=1
	s_or_b32 exec_lo, exec_lo, s43
.LBB203_33:                             ;   in Loop: Header=BB203_15 Depth=1
	s_delay_alu instid0(SALU_CYCLE_1)
	s_or_b32 exec_lo, exec_lo, s42
.LBB203_34:                             ;   in Loop: Header=BB203_15 Depth=1
	s_delay_alu instid0(SALU_CYCLE_1) | instskip(SKIP_4) | instid1(VALU_DEP_3)
	s_or_b32 exec_lo, exec_lo, s41
	v_lshrrev_b32_e32 v1, 16, v0
	v_mov_b64_e32 v[100:101], 0
	v_mov_b64_e32 v[4:5], 0
	s_mov_b32 s41, exec_lo
	v_and_b32_e32 v2, 0xff, v1
	scratch_store_b64 off, v[4:5], off offset:56 ; 8-byte Folded Spill
	s_wait_xcnt 0x0
	v_cmpx_ne_u16_e32 0, v2
	s_cbranch_execz .LBB203_42
; %bb.35:                               ;   in Loop: Header=BB203_15 Depth=1
	v_mov_b64_e32 v[4:5], 0x80000000
	s_mov_b32 s42, exec_lo
	scratch_store_b64 off, v[4:5], off offset:56 ; 8-byte Folded Spill
	s_wait_xcnt 0x0
	v_cmpx_ne_u16_e32 0x80, v2
	s_cbranch_execz .LBB203_41
; %bb.36:                               ;   in Loop: Header=BB203_15 Depth=1
	v_mov_b64_e32 v[4:5], 0x7f800001
	v_bfe_u32 v3, v0, 16, 7
	s_mov_b32 s43, exec_lo
	scratch_store_b64 off, v[4:5], off offset:56 ; 8-byte Folded Spill
	s_wait_xcnt 0x0
	v_cmpx_ne_u32_e32 0x7f, v3
	s_cbranch_execz .LBB203_40
; %bb.37:                               ;   in Loop: Header=BB203_15 Depth=1
	v_dual_lshrrev_b32 v2, 3, v3 :: v_dual_bitop2_b32 v68, 7, v1 bitop3:0x40
	s_mov_b32 s44, exec_lo
	v_cmpx_gt_u32_e32 8, v3
; %bb.38:                               ;   in Loop: Header=BB203_15 Depth=1
	s_delay_alu instid0(VALU_DEP_2) | instskip(NEXT) | instid1(VALU_DEP_1)
	v_clz_i32_u32_e32 v2, v68
	v_min_u32_e32 v2, 32, v2
	s_delay_alu instid0(VALU_DEP_1) | instskip(NEXT) | instid1(VALU_DEP_1)
	v_subrev_nc_u32_e32 v3, 28, v2
	v_lshlrev_b64_e32 v[4:5], v3, v[68:69]
	s_delay_alu instid0(VALU_DEP_1)
	v_dual_sub_nc_u32 v2, 29, v2 :: v_dual_bitop2_b32 v68, 7, v4 bitop3:0x40
; %bb.39:                               ;   in Loop: Header=BB203_15 Depth=1
	s_or_b32 exec_lo, exec_lo, s44
	s_delay_alu instid0(VALU_DEP_1) | instskip(NEXT) | instid1(VALU_DEP_2)
	v_dual_lshlrev_b32 v1, 24, v1 :: v_dual_lshlrev_b32 v3, 20, v68
	v_lshl_add_u32 v2, v2, 23, 0x3c000000
	s_delay_alu instid0(VALU_DEP_2) | instskip(NEXT) | instid1(VALU_DEP_1)
	v_and_b32_e32 v1, 0x80000000, v1
	v_or3_b32 v68, v3, v1, v2
	scratch_store_b64 off, v[68:69], off offset:56 ; 8-byte Folded Spill
.LBB203_40:                             ;   in Loop: Header=BB203_15 Depth=1
	s_wait_xcnt 0x0
	s_or_b32 exec_lo, exec_lo, s43
.LBB203_41:                             ;   in Loop: Header=BB203_15 Depth=1
	s_delay_alu instid0(SALU_CYCLE_1)
	s_or_b32 exec_lo, exec_lo, s42
.LBB203_42:                             ;   in Loop: Header=BB203_15 Depth=1
	s_delay_alu instid0(SALU_CYCLE_1) | instskip(NEXT) | instid1(SALU_CYCLE_1)
	s_or_b32 exec_lo, exec_lo, s41
	s_mov_b32 s41, exec_lo
	v_cmpx_lt_u32_e32 0xffffff, v0
	s_cbranch_execz .LBB203_50
; %bb.43:                               ;   in Loop: Header=BB203_15 Depth=1
	v_mov_b64_e32 v[100:101], 0x8000000000000000
	v_lshrrev_b32_e32 v1, 24, v0
	s_mov_b32 s42, exec_lo
	s_delay_alu instid0(VALU_DEP_1)
	v_cmpx_ne_u32_e32 0x80, v1
	s_cbranch_execz .LBB203_49
; %bb.44:                               ;   in Loop: Header=BB203_15 Depth=1
	v_mov_b64_e32 v[100:101], 0x7f80000100000000
	v_bfe_u32 v2, v0, 24, 7
	s_mov_b32 s43, exec_lo
	s_delay_alu instid0(VALU_DEP_1)
	v_cmpx_ne_u32_e32 0x7f, v2
	s_cbranch_execz .LBB203_48
; %bb.45:                               ;   in Loop: Header=BB203_15 Depth=1
	v_dual_lshrrev_b32 v0, 3, v2 :: v_dual_bitop2_b32 v68, 7, v1 bitop3:0x40
	s_mov_b32 s44, exec_lo
	v_cmpx_gt_u32_e32 8, v2
; %bb.46:                               ;   in Loop: Header=BB203_15 Depth=1
	s_delay_alu instid0(VALU_DEP_2) | instskip(NEXT) | instid1(VALU_DEP_1)
	v_clz_i32_u32_e32 v0, v68
	v_min_u32_e32 v0, 32, v0
	s_delay_alu instid0(VALU_DEP_1) | instskip(NEXT) | instid1(VALU_DEP_1)
	v_subrev_nc_u32_e32 v2, 28, v0
	v_lshlrev_b64_e32 v[2:3], v2, v[68:69]
	s_delay_alu instid0(VALU_DEP_1)
	v_dual_sub_nc_u32 v0, 29, v0 :: v_dual_bitop2_b32 v68, 7, v2 bitop3:0x40
; %bb.47:                               ;   in Loop: Header=BB203_15 Depth=1
	s_or_b32 exec_lo, exec_lo, s44
	s_delay_alu instid0(VALU_DEP_1) | instskip(NEXT) | instid1(VALU_DEP_2)
	v_dual_lshlrev_b32 v1, 24, v1 :: v_dual_lshlrev_b32 v2, 20, v68
	v_lshl_add_u32 v0, v0, 23, 0x3c000000
	v_mov_b32_e32 v100, v69
	s_delay_alu instid0(VALU_DEP_3) | instskip(NEXT) | instid1(VALU_DEP_1)
	v_and_b32_e32 v1, 0x80000000, v1
	v_or3_b32 v101, v2, v1, v0
.LBB203_48:                             ;   in Loop: Header=BB203_15 Depth=1
	s_or_b32 exec_lo, exec_lo, s43
.LBB203_49:                             ;   in Loop: Header=BB203_15 Depth=1
	s_delay_alu instid0(SALU_CYCLE_1)
	s_or_b32 exec_lo, exec_lo, s42
.LBB203_50:                             ;   in Loop: Header=BB203_15 Depth=1
	s_delay_alu instid0(SALU_CYCLE_1)
	s_or_b32 exec_lo, exec_lo, s41
	global_load_b32 v0, v[92:93], off offset:4
	v_mov_b64_e32 v[94:95], 0
	v_mov_b64_e32 v[104:105], 0
	s_mov_b32 s41, exec_lo
	s_wait_loadcnt 0x0
	v_and_b32_e32 v1, 0xff, v0
	s_wait_xcnt 0x0
	s_delay_alu instid0(VALU_DEP_1)
	v_cmpx_ne_u16_e32 0, v1
	s_cbranch_execz .LBB203_58
; %bb.51:                               ;   in Loop: Header=BB203_15 Depth=1
	v_mov_b64_e32 v[104:105], 0x80000000
	s_mov_b32 s42, exec_lo
	v_cmpx_ne_u16_e32 0x80, v1
	s_cbranch_execz .LBB203_57
; %bb.52:                               ;   in Loop: Header=BB203_15 Depth=1
	v_mov_b64_e32 v[104:105], 0x7f800001
	v_and_b32_e32 v2, 0x7f, v0
	s_mov_b32 s43, exec_lo
	s_delay_alu instid0(VALU_DEP_1)
	v_cmpx_ne_u32_e32 0x7f, v2
	s_cbranch_execz .LBB203_56
; %bb.53:                               ;   in Loop: Header=BB203_15 Depth=1
	v_dual_lshrrev_b32 v1, 3, v2 :: v_dual_bitop2_b32 v68, 7, v0 bitop3:0x40
	s_mov_b32 s44, exec_lo
	v_cmpx_gt_u32_e32 8, v2
; %bb.54:                               ;   in Loop: Header=BB203_15 Depth=1
	s_delay_alu instid0(VALU_DEP_2) | instskip(NEXT) | instid1(VALU_DEP_1)
	v_clz_i32_u32_e32 v1, v68
	v_min_u32_e32 v1, 32, v1
	s_delay_alu instid0(VALU_DEP_1) | instskip(NEXT) | instid1(VALU_DEP_1)
	v_subrev_nc_u32_e32 v2, 28, v1
	v_lshlrev_b64_e32 v[2:3], v2, v[68:69]
	s_delay_alu instid0(VALU_DEP_1)
	v_dual_sub_nc_u32 v1, 29, v1 :: v_dual_bitop2_b32 v68, 7, v2 bitop3:0x40
; %bb.55:                               ;   in Loop: Header=BB203_15 Depth=1
	s_or_b32 exec_lo, exec_lo, s44
	v_lshlrev_b32_e32 v2, 24, v0
	s_delay_alu instid0(VALU_DEP_2) | instskip(NEXT) | instid1(VALU_DEP_3)
	v_lshlrev_b32_e32 v3, 20, v68
	v_lshl_add_u32 v1, v1, 23, 0x3c000000
	s_delay_alu instid0(VALU_DEP_3) | instskip(NEXT) | instid1(VALU_DEP_1)
	v_and_b32_e32 v2, 0x80000000, v2
	v_or3_b32 v68, v3, v2, v1
	s_delay_alu instid0(VALU_DEP_1)
	v_mov_b64_e32 v[104:105], v[68:69]
.LBB203_56:                             ;   in Loop: Header=BB203_15 Depth=1
	s_or_b32 exec_lo, exec_lo, s43
.LBB203_57:                             ;   in Loop: Header=BB203_15 Depth=1
	s_delay_alu instid0(SALU_CYCLE_1)
	s_or_b32 exec_lo, exec_lo, s42
.LBB203_58:                             ;   in Loop: Header=BB203_15 Depth=1
	s_delay_alu instid0(SALU_CYCLE_1) | instskip(SKIP_2) | instid1(VALU_DEP_1)
	s_or_b32 exec_lo, exec_lo, s41
	v_lshrrev_b16 v1, 8, v0
	s_mov_b32 s41, exec_lo
	v_cmpx_ne_u16_e32 0, v1
	s_cbranch_execz .LBB203_66
; %bb.59:                               ;   in Loop: Header=BB203_15 Depth=1
	v_mov_b64_e32 v[94:95], 0x8000000000000000
	s_mov_b32 s42, exec_lo
	v_cmpx_ne_u16_e32 0x80, v1
	s_cbranch_execz .LBB203_65
; %bb.60:                               ;   in Loop: Header=BB203_15 Depth=1
	v_and_b32_e32 v1, 0xffff, v1
	v_mov_b64_e32 v[94:95], 0x7f80000100000000
	s_mov_b32 s43, exec_lo
	s_delay_alu instid0(VALU_DEP_2) | instskip(NEXT) | instid1(VALU_DEP_1)
	v_and_b32_e32 v2, 0x7f, v1
	v_cmpx_ne_u32_e32 0x7f, v2
	s_cbranch_execz .LBB203_64
; %bb.61:                               ;   in Loop: Header=BB203_15 Depth=1
	v_dual_lshrrev_b32 v1, 3, v2 :: v_dual_bitop2_b32 v68, 7, v1 bitop3:0x40
	s_mov_b32 s44, exec_lo
	v_cmpx_gt_u32_e32 8, v2
; %bb.62:                               ;   in Loop: Header=BB203_15 Depth=1
	s_delay_alu instid0(VALU_DEP_2) | instskip(NEXT) | instid1(VALU_DEP_1)
	v_clz_i32_u32_e32 v1, v68
	v_min_u32_e32 v1, 32, v1
	s_delay_alu instid0(VALU_DEP_1) | instskip(NEXT) | instid1(VALU_DEP_1)
	v_subrev_nc_u32_e32 v2, 28, v1
	v_lshlrev_b64_e32 v[2:3], v2, v[68:69]
	s_delay_alu instid0(VALU_DEP_1)
	v_dual_sub_nc_u32 v1, 29, v1 :: v_dual_bitop2_b32 v68, 7, v2 bitop3:0x40
; %bb.63:                               ;   in Loop: Header=BB203_15 Depth=1
	s_or_b32 exec_lo, exec_lo, s44
	v_dual_lshlrev_b32 v2, 16, v0 :: v_dual_mov_b32 v94, v69
	s_delay_alu instid0(VALU_DEP_2) | instskip(NEXT) | instid1(VALU_DEP_3)
	v_lshlrev_b32_e32 v3, 20, v68
	v_lshl_add_u32 v1, v1, 23, 0x3c000000
	s_delay_alu instid0(VALU_DEP_3) | instskip(NEXT) | instid1(VALU_DEP_1)
	v_and_b32_e32 v2, 0x80000000, v2
	v_or3_b32 v95, v3, v2, v1
.LBB203_64:                             ;   in Loop: Header=BB203_15 Depth=1
	s_or_b32 exec_lo, exec_lo, s43
.LBB203_65:                             ;   in Loop: Header=BB203_15 Depth=1
	s_delay_alu instid0(SALU_CYCLE_1)
	s_or_b32 exec_lo, exec_lo, s42
.LBB203_66:                             ;   in Loop: Header=BB203_15 Depth=1
	s_delay_alu instid0(SALU_CYCLE_1) | instskip(SKIP_4) | instid1(VALU_DEP_3)
	s_or_b32 exec_lo, exec_lo, s41
	v_lshrrev_b32_e32 v1, 16, v0
	v_mov_b64_e32 v[98:99], 0
	v_mov_b64_e32 v[108:109], 0
	s_mov_b32 s41, exec_lo
	v_and_b32_e32 v2, 0xff, v1
	s_delay_alu instid0(VALU_DEP_1)
	v_cmpx_ne_u16_e32 0, v2
	s_cbranch_execz .LBB203_74
; %bb.67:                               ;   in Loop: Header=BB203_15 Depth=1
	v_mov_b64_e32 v[108:109], 0x80000000
	s_mov_b32 s42, exec_lo
	v_cmpx_ne_u16_e32 0x80, v2
	s_cbranch_execz .LBB203_73
; %bb.68:                               ;   in Loop: Header=BB203_15 Depth=1
	v_mov_b64_e32 v[108:109], 0x7f800001
	v_bfe_u32 v3, v0, 16, 7
	s_mov_b32 s43, exec_lo
	s_delay_alu instid0(VALU_DEP_1)
	v_cmpx_ne_u32_e32 0x7f, v3
	s_cbranch_execz .LBB203_72
; %bb.69:                               ;   in Loop: Header=BB203_15 Depth=1
	v_dual_lshrrev_b32 v2, 3, v3 :: v_dual_bitop2_b32 v68, 7, v1 bitop3:0x40
	s_mov_b32 s44, exec_lo
	v_cmpx_gt_u32_e32 8, v3
; %bb.70:                               ;   in Loop: Header=BB203_15 Depth=1
	s_delay_alu instid0(VALU_DEP_2) | instskip(NEXT) | instid1(VALU_DEP_1)
	v_clz_i32_u32_e32 v2, v68
	v_min_u32_e32 v2, 32, v2
	s_delay_alu instid0(VALU_DEP_1) | instskip(NEXT) | instid1(VALU_DEP_1)
	v_subrev_nc_u32_e32 v3, 28, v2
	v_lshlrev_b64_e32 v[4:5], v3, v[68:69]
	s_delay_alu instid0(VALU_DEP_1)
	v_dual_sub_nc_u32 v2, 29, v2 :: v_dual_bitop2_b32 v68, 7, v4 bitop3:0x40
; %bb.71:                               ;   in Loop: Header=BB203_15 Depth=1
	s_or_b32 exec_lo, exec_lo, s44
	s_delay_alu instid0(VALU_DEP_1) | instskip(NEXT) | instid1(VALU_DEP_2)
	v_dual_lshlrev_b32 v1, 24, v1 :: v_dual_lshlrev_b32 v3, 20, v68
	v_lshl_add_u32 v2, v2, 23, 0x3c000000
	s_delay_alu instid0(VALU_DEP_2) | instskip(NEXT) | instid1(VALU_DEP_1)
	v_and_b32_e32 v1, 0x80000000, v1
	v_or3_b32 v68, v3, v1, v2
	s_delay_alu instid0(VALU_DEP_1)
	v_mov_b64_e32 v[108:109], v[68:69]
.LBB203_72:                             ;   in Loop: Header=BB203_15 Depth=1
	s_or_b32 exec_lo, exec_lo, s43
.LBB203_73:                             ;   in Loop: Header=BB203_15 Depth=1
	s_delay_alu instid0(SALU_CYCLE_1)
	s_or_b32 exec_lo, exec_lo, s42
.LBB203_74:                             ;   in Loop: Header=BB203_15 Depth=1
	s_delay_alu instid0(SALU_CYCLE_1) | instskip(NEXT) | instid1(SALU_CYCLE_1)
	s_or_b32 exec_lo, exec_lo, s41
	s_mov_b32 s41, exec_lo
	v_cmpx_lt_u32_e32 0xffffff, v0
	s_cbranch_execz .LBB203_82
; %bb.75:                               ;   in Loop: Header=BB203_15 Depth=1
	v_mov_b64_e32 v[98:99], 0x8000000000000000
	v_lshrrev_b32_e32 v1, 24, v0
	s_mov_b32 s42, exec_lo
	s_delay_alu instid0(VALU_DEP_1)
	v_cmpx_ne_u32_e32 0x80, v1
	s_cbranch_execz .LBB203_81
; %bb.76:                               ;   in Loop: Header=BB203_15 Depth=1
	v_mov_b64_e32 v[98:99], 0x7f80000100000000
	v_bfe_u32 v2, v0, 24, 7
	s_mov_b32 s43, exec_lo
	s_delay_alu instid0(VALU_DEP_1)
	v_cmpx_ne_u32_e32 0x7f, v2
	s_cbranch_execz .LBB203_80
; %bb.77:                               ;   in Loop: Header=BB203_15 Depth=1
	v_dual_lshrrev_b32 v0, 3, v2 :: v_dual_bitop2_b32 v68, 7, v1 bitop3:0x40
	s_mov_b32 s44, exec_lo
	v_cmpx_gt_u32_e32 8, v2
; %bb.78:                               ;   in Loop: Header=BB203_15 Depth=1
	s_delay_alu instid0(VALU_DEP_2) | instskip(NEXT) | instid1(VALU_DEP_1)
	v_clz_i32_u32_e32 v0, v68
	v_min_u32_e32 v0, 32, v0
	s_delay_alu instid0(VALU_DEP_1) | instskip(NEXT) | instid1(VALU_DEP_1)
	v_subrev_nc_u32_e32 v2, 28, v0
	v_lshlrev_b64_e32 v[2:3], v2, v[68:69]
	s_delay_alu instid0(VALU_DEP_1)
	v_dual_sub_nc_u32 v0, 29, v0 :: v_dual_bitop2_b32 v68, 7, v2 bitop3:0x40
; %bb.79:                               ;   in Loop: Header=BB203_15 Depth=1
	s_or_b32 exec_lo, exec_lo, s44
	s_delay_alu instid0(VALU_DEP_1) | instskip(NEXT) | instid1(VALU_DEP_2)
	v_dual_lshlrev_b32 v1, 24, v1 :: v_dual_lshlrev_b32 v2, 20, v68
	v_lshl_add_u32 v0, v0, 23, 0x3c000000
	v_mov_b32_e32 v98, v69
	s_delay_alu instid0(VALU_DEP_3) | instskip(NEXT) | instid1(VALU_DEP_1)
	v_and_b32_e32 v1, 0x80000000, v1
	v_or3_b32 v99, v2, v1, v0
.LBB203_80:                             ;   in Loop: Header=BB203_15 Depth=1
	s_or_b32 exec_lo, exec_lo, s43
.LBB203_81:                             ;   in Loop: Header=BB203_15 Depth=1
	s_delay_alu instid0(SALU_CYCLE_1)
	s_or_b32 exec_lo, exec_lo, s42
.LBB203_82:                             ;   in Loop: Header=BB203_15 Depth=1
	s_delay_alu instid0(SALU_CYCLE_1)
	s_or_b32 exec_lo, exec_lo, s41
	global_load_b32 v0, v[92:93], off offset:8
	v_mov_b64_e32 v[102:103], 0
	v_mov_b64_e32 v[112:113], 0
	s_mov_b32 s41, exec_lo
	s_wait_loadcnt 0x0
	v_and_b32_e32 v1, 0xff, v0
	s_wait_xcnt 0x0
	s_delay_alu instid0(VALU_DEP_1)
	v_cmpx_ne_u16_e32 0, v1
	s_cbranch_execz .LBB203_90
; %bb.83:                               ;   in Loop: Header=BB203_15 Depth=1
	v_mov_b64_e32 v[112:113], 0x80000000
	s_mov_b32 s42, exec_lo
	v_cmpx_ne_u16_e32 0x80, v1
	s_cbranch_execz .LBB203_89
; %bb.84:                               ;   in Loop: Header=BB203_15 Depth=1
	v_mov_b64_e32 v[112:113], 0x7f800001
	v_and_b32_e32 v2, 0x7f, v0
	s_mov_b32 s43, exec_lo
	s_delay_alu instid0(VALU_DEP_1)
	v_cmpx_ne_u32_e32 0x7f, v2
	s_cbranch_execz .LBB203_88
; %bb.85:                               ;   in Loop: Header=BB203_15 Depth=1
	v_dual_lshrrev_b32 v1, 3, v2 :: v_dual_bitop2_b32 v68, 7, v0 bitop3:0x40
	s_mov_b32 s44, exec_lo
	v_cmpx_gt_u32_e32 8, v2
; %bb.86:                               ;   in Loop: Header=BB203_15 Depth=1
	s_delay_alu instid0(VALU_DEP_2) | instskip(NEXT) | instid1(VALU_DEP_1)
	v_clz_i32_u32_e32 v1, v68
	v_min_u32_e32 v1, 32, v1
	s_delay_alu instid0(VALU_DEP_1) | instskip(NEXT) | instid1(VALU_DEP_1)
	v_subrev_nc_u32_e32 v2, 28, v1
	v_lshlrev_b64_e32 v[2:3], v2, v[68:69]
	s_delay_alu instid0(VALU_DEP_1)
	v_dual_sub_nc_u32 v1, 29, v1 :: v_dual_bitop2_b32 v68, 7, v2 bitop3:0x40
; %bb.87:                               ;   in Loop: Header=BB203_15 Depth=1
	s_or_b32 exec_lo, exec_lo, s44
	v_lshlrev_b32_e32 v2, 24, v0
	s_delay_alu instid0(VALU_DEP_2) | instskip(NEXT) | instid1(VALU_DEP_3)
	v_lshlrev_b32_e32 v3, 20, v68
	v_lshl_add_u32 v1, v1, 23, 0x3c000000
	s_delay_alu instid0(VALU_DEP_3) | instskip(NEXT) | instid1(VALU_DEP_1)
	v_and_b32_e32 v2, 0x80000000, v2
	v_or3_b32 v68, v3, v2, v1
	s_delay_alu instid0(VALU_DEP_1)
	v_mov_b64_e32 v[112:113], v[68:69]
.LBB203_88:                             ;   in Loop: Header=BB203_15 Depth=1
	s_or_b32 exec_lo, exec_lo, s43
.LBB203_89:                             ;   in Loop: Header=BB203_15 Depth=1
	s_delay_alu instid0(SALU_CYCLE_1)
	s_or_b32 exec_lo, exec_lo, s42
.LBB203_90:                             ;   in Loop: Header=BB203_15 Depth=1
	s_delay_alu instid0(SALU_CYCLE_1) | instskip(SKIP_2) | instid1(VALU_DEP_1)
	s_or_b32 exec_lo, exec_lo, s41
	v_lshrrev_b16 v1, 8, v0
	s_mov_b32 s41, exec_lo
	v_cmpx_ne_u16_e32 0, v1
	s_cbranch_execz .LBB203_98
; %bb.91:                               ;   in Loop: Header=BB203_15 Depth=1
	v_mov_b64_e32 v[102:103], 0x8000000000000000
	s_mov_b32 s42, exec_lo
	v_cmpx_ne_u16_e32 0x80, v1
	s_cbranch_execz .LBB203_97
; %bb.92:                               ;   in Loop: Header=BB203_15 Depth=1
	v_and_b32_e32 v1, 0xffff, v1
	v_mov_b64_e32 v[102:103], 0x7f80000100000000
	s_mov_b32 s43, exec_lo
	s_delay_alu instid0(VALU_DEP_2) | instskip(NEXT) | instid1(VALU_DEP_1)
	v_and_b32_e32 v2, 0x7f, v1
	v_cmpx_ne_u32_e32 0x7f, v2
	s_cbranch_execz .LBB203_96
; %bb.93:                               ;   in Loop: Header=BB203_15 Depth=1
	v_dual_lshrrev_b32 v1, 3, v2 :: v_dual_bitop2_b32 v68, 7, v1 bitop3:0x40
	s_mov_b32 s44, exec_lo
	v_cmpx_gt_u32_e32 8, v2
; %bb.94:                               ;   in Loop: Header=BB203_15 Depth=1
	s_delay_alu instid0(VALU_DEP_2) | instskip(NEXT) | instid1(VALU_DEP_1)
	v_clz_i32_u32_e32 v1, v68
	v_min_u32_e32 v1, 32, v1
	s_delay_alu instid0(VALU_DEP_1) | instskip(NEXT) | instid1(VALU_DEP_1)
	v_subrev_nc_u32_e32 v2, 28, v1
	v_lshlrev_b64_e32 v[2:3], v2, v[68:69]
	s_delay_alu instid0(VALU_DEP_1)
	v_dual_sub_nc_u32 v1, 29, v1 :: v_dual_bitop2_b32 v68, 7, v2 bitop3:0x40
; %bb.95:                               ;   in Loop: Header=BB203_15 Depth=1
	s_or_b32 exec_lo, exec_lo, s44
	v_dual_lshlrev_b32 v2, 16, v0 :: v_dual_mov_b32 v102, v69
	s_delay_alu instid0(VALU_DEP_2) | instskip(NEXT) | instid1(VALU_DEP_3)
	v_lshlrev_b32_e32 v3, 20, v68
	v_lshl_add_u32 v1, v1, 23, 0x3c000000
	s_delay_alu instid0(VALU_DEP_3) | instskip(NEXT) | instid1(VALU_DEP_1)
	v_and_b32_e32 v2, 0x80000000, v2
	v_or3_b32 v103, v3, v2, v1
.LBB203_96:                             ;   in Loop: Header=BB203_15 Depth=1
	s_or_b32 exec_lo, exec_lo, s43
.LBB203_97:                             ;   in Loop: Header=BB203_15 Depth=1
	s_delay_alu instid0(SALU_CYCLE_1)
	s_or_b32 exec_lo, exec_lo, s42
.LBB203_98:                             ;   in Loop: Header=BB203_15 Depth=1
	s_delay_alu instid0(SALU_CYCLE_1) | instskip(SKIP_4) | instid1(VALU_DEP_3)
	s_or_b32 exec_lo, exec_lo, s41
	v_lshrrev_b32_e32 v1, 16, v0
	v_mov_b64_e32 v[106:107], 0
	v_mov_b64_e32 v[116:117], 0
	s_mov_b32 s41, exec_lo
	v_and_b32_e32 v2, 0xff, v1
	s_delay_alu instid0(VALU_DEP_1)
	v_cmpx_ne_u16_e32 0, v2
	s_cbranch_execz .LBB203_106
; %bb.99:                               ;   in Loop: Header=BB203_15 Depth=1
	v_mov_b64_e32 v[116:117], 0x80000000
	s_mov_b32 s42, exec_lo
	v_cmpx_ne_u16_e32 0x80, v2
	s_cbranch_execz .LBB203_105
; %bb.100:                              ;   in Loop: Header=BB203_15 Depth=1
	v_mov_b64_e32 v[116:117], 0x7f800001
	v_bfe_u32 v3, v0, 16, 7
	s_mov_b32 s43, exec_lo
	s_delay_alu instid0(VALU_DEP_1)
	v_cmpx_ne_u32_e32 0x7f, v3
	s_cbranch_execz .LBB203_104
; %bb.101:                              ;   in Loop: Header=BB203_15 Depth=1
	v_dual_lshrrev_b32 v2, 3, v3 :: v_dual_bitop2_b32 v68, 7, v1 bitop3:0x40
	s_mov_b32 s44, exec_lo
	v_cmpx_gt_u32_e32 8, v3
; %bb.102:                              ;   in Loop: Header=BB203_15 Depth=1
	s_delay_alu instid0(VALU_DEP_2) | instskip(NEXT) | instid1(VALU_DEP_1)
	v_clz_i32_u32_e32 v2, v68
	v_min_u32_e32 v2, 32, v2
	s_delay_alu instid0(VALU_DEP_1) | instskip(NEXT) | instid1(VALU_DEP_1)
	v_subrev_nc_u32_e32 v3, 28, v2
	v_lshlrev_b64_e32 v[4:5], v3, v[68:69]
	s_delay_alu instid0(VALU_DEP_1)
	v_dual_sub_nc_u32 v2, 29, v2 :: v_dual_bitop2_b32 v68, 7, v4 bitop3:0x40
; %bb.103:                              ;   in Loop: Header=BB203_15 Depth=1
	s_or_b32 exec_lo, exec_lo, s44
	s_delay_alu instid0(VALU_DEP_1) | instskip(NEXT) | instid1(VALU_DEP_2)
	v_dual_lshlrev_b32 v1, 24, v1 :: v_dual_lshlrev_b32 v3, 20, v68
	v_lshl_add_u32 v2, v2, 23, 0x3c000000
	s_delay_alu instid0(VALU_DEP_2) | instskip(NEXT) | instid1(VALU_DEP_1)
	v_and_b32_e32 v1, 0x80000000, v1
	v_or3_b32 v68, v3, v1, v2
	s_delay_alu instid0(VALU_DEP_1)
	v_mov_b64_e32 v[116:117], v[68:69]
.LBB203_104:                            ;   in Loop: Header=BB203_15 Depth=1
	s_or_b32 exec_lo, exec_lo, s43
.LBB203_105:                            ;   in Loop: Header=BB203_15 Depth=1
	s_delay_alu instid0(SALU_CYCLE_1)
	s_or_b32 exec_lo, exec_lo, s42
.LBB203_106:                            ;   in Loop: Header=BB203_15 Depth=1
	s_delay_alu instid0(SALU_CYCLE_1) | instskip(NEXT) | instid1(SALU_CYCLE_1)
	s_or_b32 exec_lo, exec_lo, s41
	s_mov_b32 s41, exec_lo
	v_cmpx_lt_u32_e32 0xffffff, v0
	s_cbranch_execz .LBB203_114
; %bb.107:                              ;   in Loop: Header=BB203_15 Depth=1
	v_mov_b64_e32 v[106:107], 0x8000000000000000
	v_lshrrev_b32_e32 v1, 24, v0
	s_mov_b32 s42, exec_lo
	s_delay_alu instid0(VALU_DEP_1)
	v_cmpx_ne_u32_e32 0x80, v1
	s_cbranch_execz .LBB203_113
; %bb.108:                              ;   in Loop: Header=BB203_15 Depth=1
	v_mov_b64_e32 v[106:107], 0x7f80000100000000
	v_bfe_u32 v2, v0, 24, 7
	s_mov_b32 s43, exec_lo
	s_delay_alu instid0(VALU_DEP_1)
	v_cmpx_ne_u32_e32 0x7f, v2
	s_cbranch_execz .LBB203_112
; %bb.109:                              ;   in Loop: Header=BB203_15 Depth=1
	v_dual_lshrrev_b32 v0, 3, v2 :: v_dual_bitop2_b32 v68, 7, v1 bitop3:0x40
	s_mov_b32 s44, exec_lo
	v_cmpx_gt_u32_e32 8, v2
; %bb.110:                              ;   in Loop: Header=BB203_15 Depth=1
	s_delay_alu instid0(VALU_DEP_2) | instskip(NEXT) | instid1(VALU_DEP_1)
	v_clz_i32_u32_e32 v0, v68
	v_min_u32_e32 v0, 32, v0
	s_delay_alu instid0(VALU_DEP_1) | instskip(NEXT) | instid1(VALU_DEP_1)
	v_subrev_nc_u32_e32 v2, 28, v0
	v_lshlrev_b64_e32 v[2:3], v2, v[68:69]
	s_delay_alu instid0(VALU_DEP_1)
	v_dual_sub_nc_u32 v0, 29, v0 :: v_dual_bitop2_b32 v68, 7, v2 bitop3:0x40
; %bb.111:                              ;   in Loop: Header=BB203_15 Depth=1
	s_or_b32 exec_lo, exec_lo, s44
	s_delay_alu instid0(VALU_DEP_1) | instskip(NEXT) | instid1(VALU_DEP_2)
	v_dual_lshlrev_b32 v1, 24, v1 :: v_dual_lshlrev_b32 v2, 20, v68
	v_lshl_add_u32 v0, v0, 23, 0x3c000000
	v_mov_b32_e32 v106, v69
	s_delay_alu instid0(VALU_DEP_3) | instskip(NEXT) | instid1(VALU_DEP_1)
	v_and_b32_e32 v1, 0x80000000, v1
	v_or3_b32 v107, v2, v1, v0
.LBB203_112:                            ;   in Loop: Header=BB203_15 Depth=1
	s_or_b32 exec_lo, exec_lo, s43
.LBB203_113:                            ;   in Loop: Header=BB203_15 Depth=1
	s_delay_alu instid0(SALU_CYCLE_1)
	s_or_b32 exec_lo, exec_lo, s42
.LBB203_114:                            ;   in Loop: Header=BB203_15 Depth=1
	s_delay_alu instid0(SALU_CYCLE_1)
	s_or_b32 exec_lo, exec_lo, s41
	global_load_b32 v0, v[92:93], off offset:12
	v_mov_b64_e32 v[110:111], 0
	v_mov_b64_e32 v[120:121], 0
	s_mov_b32 s41, exec_lo
	s_wait_loadcnt 0x0
	v_and_b32_e32 v1, 0xff, v0
	s_wait_xcnt 0x0
	s_delay_alu instid0(VALU_DEP_1)
	v_cmpx_ne_u16_e32 0, v1
	s_cbranch_execz .LBB203_122
; %bb.115:                              ;   in Loop: Header=BB203_15 Depth=1
	v_mov_b64_e32 v[120:121], 0x80000000
	s_mov_b32 s42, exec_lo
	v_cmpx_ne_u16_e32 0x80, v1
	s_cbranch_execz .LBB203_121
; %bb.116:                              ;   in Loop: Header=BB203_15 Depth=1
	v_mov_b64_e32 v[120:121], 0x7f800001
	v_and_b32_e32 v2, 0x7f, v0
	s_mov_b32 s43, exec_lo
	s_delay_alu instid0(VALU_DEP_1)
	v_cmpx_ne_u32_e32 0x7f, v2
	s_cbranch_execz .LBB203_120
; %bb.117:                              ;   in Loop: Header=BB203_15 Depth=1
	v_dual_lshrrev_b32 v1, 3, v2 :: v_dual_bitop2_b32 v68, 7, v0 bitop3:0x40
	s_mov_b32 s44, exec_lo
	v_cmpx_gt_u32_e32 8, v2
; %bb.118:                              ;   in Loop: Header=BB203_15 Depth=1
	s_delay_alu instid0(VALU_DEP_2) | instskip(NEXT) | instid1(VALU_DEP_1)
	v_clz_i32_u32_e32 v1, v68
	v_min_u32_e32 v1, 32, v1
	s_delay_alu instid0(VALU_DEP_1) | instskip(NEXT) | instid1(VALU_DEP_1)
	v_subrev_nc_u32_e32 v2, 28, v1
	v_lshlrev_b64_e32 v[2:3], v2, v[68:69]
	s_delay_alu instid0(VALU_DEP_1)
	v_dual_sub_nc_u32 v1, 29, v1 :: v_dual_bitop2_b32 v68, 7, v2 bitop3:0x40
; %bb.119:                              ;   in Loop: Header=BB203_15 Depth=1
	s_or_b32 exec_lo, exec_lo, s44
	v_lshlrev_b32_e32 v2, 24, v0
	s_delay_alu instid0(VALU_DEP_2) | instskip(NEXT) | instid1(VALU_DEP_3)
	v_lshlrev_b32_e32 v3, 20, v68
	v_lshl_add_u32 v1, v1, 23, 0x3c000000
	s_delay_alu instid0(VALU_DEP_3) | instskip(NEXT) | instid1(VALU_DEP_1)
	v_and_b32_e32 v2, 0x80000000, v2
	v_or3_b32 v68, v3, v2, v1
	s_delay_alu instid0(VALU_DEP_1)
	v_mov_b64_e32 v[120:121], v[68:69]
.LBB203_120:                            ;   in Loop: Header=BB203_15 Depth=1
	s_or_b32 exec_lo, exec_lo, s43
.LBB203_121:                            ;   in Loop: Header=BB203_15 Depth=1
	s_delay_alu instid0(SALU_CYCLE_1)
	s_or_b32 exec_lo, exec_lo, s42
.LBB203_122:                            ;   in Loop: Header=BB203_15 Depth=1
	s_delay_alu instid0(SALU_CYCLE_1) | instskip(SKIP_2) | instid1(VALU_DEP_1)
	s_or_b32 exec_lo, exec_lo, s41
	v_lshrrev_b16 v1, 8, v0
	s_mov_b32 s41, exec_lo
	v_cmpx_ne_u16_e32 0, v1
	s_cbranch_execz .LBB203_130
; %bb.123:                              ;   in Loop: Header=BB203_15 Depth=1
	v_mov_b64_e32 v[110:111], 0x8000000000000000
	s_mov_b32 s42, exec_lo
	v_cmpx_ne_u16_e32 0x80, v1
	s_cbranch_execz .LBB203_129
; %bb.124:                              ;   in Loop: Header=BB203_15 Depth=1
	v_and_b32_e32 v1, 0xffff, v1
	v_mov_b64_e32 v[110:111], 0x7f80000100000000
	s_mov_b32 s43, exec_lo
	s_delay_alu instid0(VALU_DEP_2) | instskip(NEXT) | instid1(VALU_DEP_1)
	v_and_b32_e32 v2, 0x7f, v1
	v_cmpx_ne_u32_e32 0x7f, v2
	s_cbranch_execz .LBB203_128
; %bb.125:                              ;   in Loop: Header=BB203_15 Depth=1
	v_dual_lshrrev_b32 v1, 3, v2 :: v_dual_bitop2_b32 v68, 7, v1 bitop3:0x40
	s_mov_b32 s44, exec_lo
	v_cmpx_gt_u32_e32 8, v2
; %bb.126:                              ;   in Loop: Header=BB203_15 Depth=1
	s_delay_alu instid0(VALU_DEP_2) | instskip(NEXT) | instid1(VALU_DEP_1)
	v_clz_i32_u32_e32 v1, v68
	v_min_u32_e32 v1, 32, v1
	s_delay_alu instid0(VALU_DEP_1) | instskip(NEXT) | instid1(VALU_DEP_1)
	v_subrev_nc_u32_e32 v2, 28, v1
	v_lshlrev_b64_e32 v[2:3], v2, v[68:69]
	s_delay_alu instid0(VALU_DEP_1)
	v_dual_sub_nc_u32 v1, 29, v1 :: v_dual_bitop2_b32 v68, 7, v2 bitop3:0x40
; %bb.127:                              ;   in Loop: Header=BB203_15 Depth=1
	s_or_b32 exec_lo, exec_lo, s44
	v_dual_lshlrev_b32 v2, 16, v0 :: v_dual_mov_b32 v110, v69
	s_delay_alu instid0(VALU_DEP_2) | instskip(NEXT) | instid1(VALU_DEP_3)
	v_lshlrev_b32_e32 v3, 20, v68
	v_lshl_add_u32 v1, v1, 23, 0x3c000000
	s_delay_alu instid0(VALU_DEP_3) | instskip(NEXT) | instid1(VALU_DEP_1)
	v_and_b32_e32 v2, 0x80000000, v2
	v_or3_b32 v111, v3, v2, v1
.LBB203_128:                            ;   in Loop: Header=BB203_15 Depth=1
	s_or_b32 exec_lo, exec_lo, s43
.LBB203_129:                            ;   in Loop: Header=BB203_15 Depth=1
	s_delay_alu instid0(SALU_CYCLE_1)
	s_or_b32 exec_lo, exec_lo, s42
.LBB203_130:                            ;   in Loop: Header=BB203_15 Depth=1
	s_delay_alu instid0(SALU_CYCLE_1) | instskip(SKIP_4) | instid1(VALU_DEP_3)
	s_or_b32 exec_lo, exec_lo, s41
	v_lshrrev_b32_e32 v1, 16, v0
	v_mov_b64_e32 v[114:115], 0
	v_mov_b64_e32 v[124:125], 0
	s_mov_b32 s41, exec_lo
	v_and_b32_e32 v2, 0xff, v1
	s_delay_alu instid0(VALU_DEP_1)
	v_cmpx_ne_u16_e32 0, v2
	s_cbranch_execz .LBB203_138
; %bb.131:                              ;   in Loop: Header=BB203_15 Depth=1
	v_mov_b64_e32 v[124:125], 0x80000000
	s_mov_b32 s42, exec_lo
	v_cmpx_ne_u16_e32 0x80, v2
	s_cbranch_execz .LBB203_137
; %bb.132:                              ;   in Loop: Header=BB203_15 Depth=1
	v_mov_b64_e32 v[124:125], 0x7f800001
	v_bfe_u32 v3, v0, 16, 7
	s_mov_b32 s43, exec_lo
	s_delay_alu instid0(VALU_DEP_1)
	v_cmpx_ne_u32_e32 0x7f, v3
	s_cbranch_execz .LBB203_136
; %bb.133:                              ;   in Loop: Header=BB203_15 Depth=1
	v_dual_lshrrev_b32 v2, 3, v3 :: v_dual_bitop2_b32 v68, 7, v1 bitop3:0x40
	s_mov_b32 s44, exec_lo
	v_cmpx_gt_u32_e32 8, v3
; %bb.134:                              ;   in Loop: Header=BB203_15 Depth=1
	s_delay_alu instid0(VALU_DEP_2) | instskip(NEXT) | instid1(VALU_DEP_1)
	v_clz_i32_u32_e32 v2, v68
	v_min_u32_e32 v2, 32, v2
	s_delay_alu instid0(VALU_DEP_1) | instskip(NEXT) | instid1(VALU_DEP_1)
	v_subrev_nc_u32_e32 v3, 28, v2
	v_lshlrev_b64_e32 v[4:5], v3, v[68:69]
	s_delay_alu instid0(VALU_DEP_1)
	v_dual_sub_nc_u32 v2, 29, v2 :: v_dual_bitop2_b32 v68, 7, v4 bitop3:0x40
; %bb.135:                              ;   in Loop: Header=BB203_15 Depth=1
	s_or_b32 exec_lo, exec_lo, s44
	s_delay_alu instid0(VALU_DEP_1) | instskip(NEXT) | instid1(VALU_DEP_2)
	v_dual_lshlrev_b32 v1, 24, v1 :: v_dual_lshlrev_b32 v3, 20, v68
	v_lshl_add_u32 v2, v2, 23, 0x3c000000
	s_delay_alu instid0(VALU_DEP_2) | instskip(NEXT) | instid1(VALU_DEP_1)
	v_and_b32_e32 v1, 0x80000000, v1
	v_or3_b32 v68, v3, v1, v2
	s_delay_alu instid0(VALU_DEP_1)
	v_mov_b64_e32 v[124:125], v[68:69]
.LBB203_136:                            ;   in Loop: Header=BB203_15 Depth=1
	s_or_b32 exec_lo, exec_lo, s43
.LBB203_137:                            ;   in Loop: Header=BB203_15 Depth=1
	s_delay_alu instid0(SALU_CYCLE_1)
	s_or_b32 exec_lo, exec_lo, s42
.LBB203_138:                            ;   in Loop: Header=BB203_15 Depth=1
	s_delay_alu instid0(SALU_CYCLE_1) | instskip(NEXT) | instid1(SALU_CYCLE_1)
	s_or_b32 exec_lo, exec_lo, s41
	s_mov_b32 s41, exec_lo
	v_cmpx_lt_u32_e32 0xffffff, v0
	s_cbranch_execz .LBB203_146
; %bb.139:                              ;   in Loop: Header=BB203_15 Depth=1
	v_mov_b64_e32 v[114:115], 0x8000000000000000
	v_lshrrev_b32_e32 v1, 24, v0
	s_mov_b32 s42, exec_lo
	s_delay_alu instid0(VALU_DEP_1)
	v_cmpx_ne_u32_e32 0x80, v1
	s_cbranch_execz .LBB203_145
; %bb.140:                              ;   in Loop: Header=BB203_15 Depth=1
	v_mov_b64_e32 v[114:115], 0x7f80000100000000
	v_bfe_u32 v2, v0, 24, 7
	s_mov_b32 s43, exec_lo
	s_delay_alu instid0(VALU_DEP_1)
	v_cmpx_ne_u32_e32 0x7f, v2
	s_cbranch_execz .LBB203_144
; %bb.141:                              ;   in Loop: Header=BB203_15 Depth=1
	v_dual_lshrrev_b32 v0, 3, v2 :: v_dual_bitop2_b32 v68, 7, v1 bitop3:0x40
	s_mov_b32 s44, exec_lo
	v_cmpx_gt_u32_e32 8, v2
; %bb.142:                              ;   in Loop: Header=BB203_15 Depth=1
	s_delay_alu instid0(VALU_DEP_2) | instskip(NEXT) | instid1(VALU_DEP_1)
	v_clz_i32_u32_e32 v0, v68
	v_min_u32_e32 v0, 32, v0
	s_delay_alu instid0(VALU_DEP_1) | instskip(NEXT) | instid1(VALU_DEP_1)
	v_subrev_nc_u32_e32 v2, 28, v0
	v_lshlrev_b64_e32 v[2:3], v2, v[68:69]
	s_delay_alu instid0(VALU_DEP_1)
	v_dual_sub_nc_u32 v0, 29, v0 :: v_dual_bitop2_b32 v68, 7, v2 bitop3:0x40
; %bb.143:                              ;   in Loop: Header=BB203_15 Depth=1
	s_or_b32 exec_lo, exec_lo, s44
	s_delay_alu instid0(VALU_DEP_1) | instskip(NEXT) | instid1(VALU_DEP_2)
	v_dual_lshlrev_b32 v1, 24, v1 :: v_dual_lshlrev_b32 v2, 20, v68
	v_lshl_add_u32 v0, v0, 23, 0x3c000000
	v_mov_b32_e32 v114, v69
	s_delay_alu instid0(VALU_DEP_3) | instskip(NEXT) | instid1(VALU_DEP_1)
	v_and_b32_e32 v1, 0x80000000, v1
	v_or3_b32 v115, v2, v1, v0
.LBB203_144:                            ;   in Loop: Header=BB203_15 Depth=1
	s_or_b32 exec_lo, exec_lo, s43
.LBB203_145:                            ;   in Loop: Header=BB203_15 Depth=1
	s_delay_alu instid0(SALU_CYCLE_1)
	s_or_b32 exec_lo, exec_lo, s42
.LBB203_146:                            ;   in Loop: Header=BB203_15 Depth=1
	s_delay_alu instid0(SALU_CYCLE_1)
	s_or_b32 exec_lo, exec_lo, s41
	global_load_b32 v0, v[92:93], off offset:512
	v_mov_b64_e32 v[118:119], 0
	v_mov_b64_e32 v[122:123], 0
	s_mov_b32 s41, exec_lo
	s_wait_loadcnt 0x0
	v_and_b32_e32 v1, 0xff, v0
	s_wait_xcnt 0x0
	s_delay_alu instid0(VALU_DEP_1)
	v_cmpx_ne_u16_e32 0, v1
	s_cbranch_execz .LBB203_154
; %bb.147:                              ;   in Loop: Header=BB203_15 Depth=1
	v_mov_b64_e32 v[122:123], 0x80000000
	s_mov_b32 s42, exec_lo
	v_cmpx_ne_u16_e32 0x80, v1
	s_cbranch_execz .LBB203_153
; %bb.148:                              ;   in Loop: Header=BB203_15 Depth=1
	v_mov_b64_e32 v[122:123], 0x7f800001
	v_and_b32_e32 v2, 0x7f, v0
	s_mov_b32 s43, exec_lo
	s_delay_alu instid0(VALU_DEP_1)
	v_cmpx_ne_u32_e32 0x7f, v2
	s_cbranch_execz .LBB203_152
; %bb.149:                              ;   in Loop: Header=BB203_15 Depth=1
	v_dual_lshrrev_b32 v1, 3, v2 :: v_dual_bitop2_b32 v68, 7, v0 bitop3:0x40
	s_mov_b32 s44, exec_lo
	v_cmpx_gt_u32_e32 8, v2
; %bb.150:                              ;   in Loop: Header=BB203_15 Depth=1
	s_delay_alu instid0(VALU_DEP_2) | instskip(NEXT) | instid1(VALU_DEP_1)
	v_clz_i32_u32_e32 v1, v68
	v_min_u32_e32 v1, 32, v1
	s_delay_alu instid0(VALU_DEP_1) | instskip(NEXT) | instid1(VALU_DEP_1)
	v_subrev_nc_u32_e32 v2, 28, v1
	v_lshlrev_b64_e32 v[2:3], v2, v[68:69]
	s_delay_alu instid0(VALU_DEP_1)
	v_dual_sub_nc_u32 v1, 29, v1 :: v_dual_bitop2_b32 v68, 7, v2 bitop3:0x40
; %bb.151:                              ;   in Loop: Header=BB203_15 Depth=1
	s_or_b32 exec_lo, exec_lo, s44
	v_lshlrev_b32_e32 v2, 24, v0
	s_delay_alu instid0(VALU_DEP_2) | instskip(NEXT) | instid1(VALU_DEP_3)
	v_lshlrev_b32_e32 v3, 20, v68
	v_lshl_add_u32 v1, v1, 23, 0x3c000000
	s_delay_alu instid0(VALU_DEP_3) | instskip(NEXT) | instid1(VALU_DEP_1)
	v_and_b32_e32 v2, 0x80000000, v2
	v_or3_b32 v68, v3, v2, v1
	s_delay_alu instid0(VALU_DEP_1)
	v_mov_b64_e32 v[122:123], v[68:69]
.LBB203_152:                            ;   in Loop: Header=BB203_15 Depth=1
	s_or_b32 exec_lo, exec_lo, s43
.LBB203_153:                            ;   in Loop: Header=BB203_15 Depth=1
	s_delay_alu instid0(SALU_CYCLE_1)
	s_or_b32 exec_lo, exec_lo, s42
.LBB203_154:                            ;   in Loop: Header=BB203_15 Depth=1
	s_delay_alu instid0(SALU_CYCLE_1) | instskip(SKIP_2) | instid1(VALU_DEP_1)
	s_or_b32 exec_lo, exec_lo, s41
	v_lshrrev_b16 v1, 8, v0
	s_mov_b32 s41, exec_lo
	v_cmpx_ne_u16_e32 0, v1
	s_cbranch_execz .LBB203_162
; %bb.155:                              ;   in Loop: Header=BB203_15 Depth=1
	v_mov_b64_e32 v[118:119], 0x8000000000000000
	s_mov_b32 s42, exec_lo
	v_cmpx_ne_u16_e32 0x80, v1
	s_cbranch_execz .LBB203_161
; %bb.156:                              ;   in Loop: Header=BB203_15 Depth=1
	v_and_b32_e32 v1, 0xffff, v1
	v_mov_b64_e32 v[118:119], 0x7f80000100000000
	s_mov_b32 s43, exec_lo
	s_delay_alu instid0(VALU_DEP_2) | instskip(NEXT) | instid1(VALU_DEP_1)
	v_and_b32_e32 v2, 0x7f, v1
	v_cmpx_ne_u32_e32 0x7f, v2
	s_cbranch_execz .LBB203_160
; %bb.157:                              ;   in Loop: Header=BB203_15 Depth=1
	v_dual_lshrrev_b32 v1, 3, v2 :: v_dual_bitop2_b32 v68, 7, v1 bitop3:0x40
	s_mov_b32 s44, exec_lo
	v_cmpx_gt_u32_e32 8, v2
; %bb.158:                              ;   in Loop: Header=BB203_15 Depth=1
	s_delay_alu instid0(VALU_DEP_2) | instskip(NEXT) | instid1(VALU_DEP_1)
	v_clz_i32_u32_e32 v1, v68
	v_min_u32_e32 v1, 32, v1
	s_delay_alu instid0(VALU_DEP_1) | instskip(NEXT) | instid1(VALU_DEP_1)
	v_subrev_nc_u32_e32 v2, 28, v1
	v_lshlrev_b64_e32 v[2:3], v2, v[68:69]
	s_delay_alu instid0(VALU_DEP_1)
	v_dual_sub_nc_u32 v1, 29, v1 :: v_dual_bitop2_b32 v68, 7, v2 bitop3:0x40
; %bb.159:                              ;   in Loop: Header=BB203_15 Depth=1
	s_or_b32 exec_lo, exec_lo, s44
	v_dual_lshlrev_b32 v2, 16, v0 :: v_dual_mov_b32 v118, v69
	s_delay_alu instid0(VALU_DEP_2) | instskip(NEXT) | instid1(VALU_DEP_3)
	v_lshlrev_b32_e32 v3, 20, v68
	v_lshl_add_u32 v1, v1, 23, 0x3c000000
	s_delay_alu instid0(VALU_DEP_3) | instskip(NEXT) | instid1(VALU_DEP_1)
	v_and_b32_e32 v2, 0x80000000, v2
	v_or3_b32 v119, v3, v2, v1
.LBB203_160:                            ;   in Loop: Header=BB203_15 Depth=1
	s_or_b32 exec_lo, exec_lo, s43
.LBB203_161:                            ;   in Loop: Header=BB203_15 Depth=1
	s_delay_alu instid0(SALU_CYCLE_1)
	s_or_b32 exec_lo, exec_lo, s42
.LBB203_162:                            ;   in Loop: Header=BB203_15 Depth=1
	s_delay_alu instid0(SALU_CYCLE_1) | instskip(SKIP_4) | instid1(VALU_DEP_3)
	s_or_b32 exec_lo, exec_lo, s41
	v_lshrrev_b32_e32 v1, 16, v0
	v_mov_b64_e32 v[70:71], 0
	v_mov_b64_e32 v[4:5], 0
	s_mov_b32 s41, exec_lo
	v_and_b32_e32 v2, 0xff, v1
	scratch_store_b64 off, v[4:5], off      ; 8-byte Folded Spill
	s_wait_xcnt 0x0
	v_cmpx_ne_u16_e32 0, v2
	s_cbranch_execz .LBB203_170
; %bb.163:                              ;   in Loop: Header=BB203_15 Depth=1
	v_mov_b64_e32 v[4:5], 0x80000000
	s_mov_b32 s42, exec_lo
	scratch_store_b64 off, v[4:5], off      ; 8-byte Folded Spill
	s_wait_xcnt 0x0
	v_cmpx_ne_u16_e32 0x80, v2
	s_cbranch_execz .LBB203_169
; %bb.164:                              ;   in Loop: Header=BB203_15 Depth=1
	v_mov_b64_e32 v[4:5], 0x7f800001
	v_bfe_u32 v3, v0, 16, 7
	s_mov_b32 s43, exec_lo
	scratch_store_b64 off, v[4:5], off      ; 8-byte Folded Spill
	s_wait_xcnt 0x0
	v_cmpx_ne_u32_e32 0x7f, v3
	s_cbranch_execz .LBB203_168
; %bb.165:                              ;   in Loop: Header=BB203_15 Depth=1
	v_dual_lshrrev_b32 v2, 3, v3 :: v_dual_bitop2_b32 v68, 7, v1 bitop3:0x40
	s_mov_b32 s44, exec_lo
	v_cmpx_gt_u32_e32 8, v3
; %bb.166:                              ;   in Loop: Header=BB203_15 Depth=1
	s_delay_alu instid0(VALU_DEP_2) | instskip(NEXT) | instid1(VALU_DEP_1)
	v_clz_i32_u32_e32 v2, v68
	v_min_u32_e32 v2, 32, v2
	s_delay_alu instid0(VALU_DEP_1) | instskip(NEXT) | instid1(VALU_DEP_1)
	v_subrev_nc_u32_e32 v3, 28, v2
	v_lshlrev_b64_e32 v[4:5], v3, v[68:69]
	s_delay_alu instid0(VALU_DEP_1)
	v_dual_sub_nc_u32 v2, 29, v2 :: v_dual_bitop2_b32 v68, 7, v4 bitop3:0x40
; %bb.167:                              ;   in Loop: Header=BB203_15 Depth=1
	s_or_b32 exec_lo, exec_lo, s44
	s_delay_alu instid0(VALU_DEP_1) | instskip(NEXT) | instid1(VALU_DEP_2)
	v_dual_lshlrev_b32 v1, 24, v1 :: v_dual_lshlrev_b32 v3, 20, v68
	v_lshl_add_u32 v2, v2, 23, 0x3c000000
	s_delay_alu instid0(VALU_DEP_2) | instskip(NEXT) | instid1(VALU_DEP_1)
	v_and_b32_e32 v1, 0x80000000, v1
	v_or3_b32 v68, v3, v1, v2
	scratch_store_b64 off, v[68:69], off    ; 8-byte Folded Spill
.LBB203_168:                            ;   in Loop: Header=BB203_15 Depth=1
	s_wait_xcnt 0x0
	s_or_b32 exec_lo, exec_lo, s43
.LBB203_169:                            ;   in Loop: Header=BB203_15 Depth=1
	s_delay_alu instid0(SALU_CYCLE_1)
	s_or_b32 exec_lo, exec_lo, s42
.LBB203_170:                            ;   in Loop: Header=BB203_15 Depth=1
	s_delay_alu instid0(SALU_CYCLE_1) | instskip(NEXT) | instid1(SALU_CYCLE_1)
	s_or_b32 exec_lo, exec_lo, s41
	s_mov_b32 s41, exec_lo
	v_cmpx_lt_u32_e32 0xffffff, v0
	s_cbranch_execz .LBB203_178
; %bb.171:                              ;   in Loop: Header=BB203_15 Depth=1
	v_mov_b64_e32 v[70:71], 0x8000000000000000
	v_lshrrev_b32_e32 v1, 24, v0
	s_mov_b32 s42, exec_lo
	s_delay_alu instid0(VALU_DEP_1)
	v_cmpx_ne_u32_e32 0x80, v1
	s_cbranch_execz .LBB203_177
; %bb.172:                              ;   in Loop: Header=BB203_15 Depth=1
	v_mov_b64_e32 v[70:71], 0x7f80000100000000
	v_bfe_u32 v2, v0, 24, 7
	s_mov_b32 s43, exec_lo
	s_delay_alu instid0(VALU_DEP_1)
	v_cmpx_ne_u32_e32 0x7f, v2
	s_cbranch_execz .LBB203_176
; %bb.173:                              ;   in Loop: Header=BB203_15 Depth=1
	v_dual_lshrrev_b32 v0, 3, v2 :: v_dual_bitop2_b32 v68, 7, v1 bitop3:0x40
	s_mov_b32 s44, exec_lo
	v_cmpx_gt_u32_e32 8, v2
; %bb.174:                              ;   in Loop: Header=BB203_15 Depth=1
	s_delay_alu instid0(VALU_DEP_2) | instskip(NEXT) | instid1(VALU_DEP_1)
	v_clz_i32_u32_e32 v0, v68
	v_min_u32_e32 v0, 32, v0
	s_delay_alu instid0(VALU_DEP_1) | instskip(NEXT) | instid1(VALU_DEP_1)
	v_subrev_nc_u32_e32 v2, 28, v0
	v_lshlrev_b64_e32 v[2:3], v2, v[68:69]
	s_delay_alu instid0(VALU_DEP_1)
	v_dual_sub_nc_u32 v0, 29, v0 :: v_dual_bitop2_b32 v68, 7, v2 bitop3:0x40
; %bb.175:                              ;   in Loop: Header=BB203_15 Depth=1
	s_or_b32 exec_lo, exec_lo, s44
	s_delay_alu instid0(VALU_DEP_1) | instskip(NEXT) | instid1(VALU_DEP_2)
	v_dual_lshlrev_b32 v1, 24, v1 :: v_dual_lshlrev_b32 v2, 20, v68
	v_lshl_add_u32 v0, v0, 23, 0x3c000000
	v_mov_b32_e32 v70, v69
	s_delay_alu instid0(VALU_DEP_3) | instskip(NEXT) | instid1(VALU_DEP_1)
	v_and_b32_e32 v1, 0x80000000, v1
	v_or3_b32 v71, v2, v1, v0
.LBB203_176:                            ;   in Loop: Header=BB203_15 Depth=1
	s_or_b32 exec_lo, exec_lo, s43
.LBB203_177:                            ;   in Loop: Header=BB203_15 Depth=1
	s_delay_alu instid0(SALU_CYCLE_1)
	s_or_b32 exec_lo, exec_lo, s42
.LBB203_178:                            ;   in Loop: Header=BB203_15 Depth=1
	s_delay_alu instid0(SALU_CYCLE_1)
	s_or_b32 exec_lo, exec_lo, s41
	global_load_b32 v0, v[92:93], off offset:516
	v_mov_b64_e32 v[2:3], 0
	s_mov_b32 s41, exec_lo
	scratch_store_b64 off, v[2:3], off offset:8 ; 8-byte Folded Spill
	s_wait_xcnt 0x0
	v_mov_b64_e32 v[2:3], 0
	scratch_store_b64 off, v[2:3], off offset:16 ; 8-byte Folded Spill
	s_wait_loadcnt 0x0
	v_and_b32_e32 v1, 0xff, v0
	s_wait_xcnt 0x0
	s_delay_alu instid0(VALU_DEP_1)
	v_cmpx_ne_u16_e32 0, v1
	s_cbranch_execz .LBB203_186
; %bb.179:                              ;   in Loop: Header=BB203_15 Depth=1
	v_mov_b64_e32 v[2:3], 0x80000000
	s_mov_b32 s42, exec_lo
	scratch_store_b64 off, v[2:3], off offset:16 ; 8-byte Folded Spill
	s_wait_xcnt 0x0
	v_cmpx_ne_u16_e32 0x80, v1
	s_cbranch_execz .LBB203_185
; %bb.180:                              ;   in Loop: Header=BB203_15 Depth=1
	v_mov_b64_e32 v[4:5], 0x7f800001
	v_and_b32_e32 v2, 0x7f, v0
	s_mov_b32 s43, exec_lo
	scratch_store_b64 off, v[4:5], off offset:16 ; 8-byte Folded Spill
	s_wait_xcnt 0x0
	v_cmpx_ne_u32_e32 0x7f, v2
	s_cbranch_execz .LBB203_184
; %bb.181:                              ;   in Loop: Header=BB203_15 Depth=1
	v_dual_lshrrev_b32 v1, 3, v2 :: v_dual_bitop2_b32 v68, 7, v0 bitop3:0x40
	s_mov_b32 s44, exec_lo
	v_cmpx_gt_u32_e32 8, v2
; %bb.182:                              ;   in Loop: Header=BB203_15 Depth=1
	s_delay_alu instid0(VALU_DEP_2) | instskip(NEXT) | instid1(VALU_DEP_1)
	v_clz_i32_u32_e32 v1, v68
	v_min_u32_e32 v1, 32, v1
	s_delay_alu instid0(VALU_DEP_1) | instskip(NEXT) | instid1(VALU_DEP_1)
	v_subrev_nc_u32_e32 v2, 28, v1
	v_lshlrev_b64_e32 v[2:3], v2, v[68:69]
	s_delay_alu instid0(VALU_DEP_1)
	v_dual_sub_nc_u32 v1, 29, v1 :: v_dual_bitop2_b32 v68, 7, v2 bitop3:0x40
; %bb.183:                              ;   in Loop: Header=BB203_15 Depth=1
	s_or_b32 exec_lo, exec_lo, s44
	v_lshlrev_b32_e32 v2, 24, v0
	s_delay_alu instid0(VALU_DEP_2) | instskip(NEXT) | instid1(VALU_DEP_3)
	v_lshlrev_b32_e32 v3, 20, v68
	v_lshl_add_u32 v1, v1, 23, 0x3c000000
	s_delay_alu instid0(VALU_DEP_3) | instskip(NEXT) | instid1(VALU_DEP_1)
	v_and_b32_e32 v2, 0x80000000, v2
	v_or3_b32 v68, v3, v2, v1
	scratch_store_b64 off, v[68:69], off offset:16 ; 8-byte Folded Spill
.LBB203_184:                            ;   in Loop: Header=BB203_15 Depth=1
	s_wait_xcnt 0x0
	s_or_b32 exec_lo, exec_lo, s43
.LBB203_185:                            ;   in Loop: Header=BB203_15 Depth=1
	s_delay_alu instid0(SALU_CYCLE_1)
	s_or_b32 exec_lo, exec_lo, s42
.LBB203_186:                            ;   in Loop: Header=BB203_15 Depth=1
	s_delay_alu instid0(SALU_CYCLE_1) | instskip(SKIP_2) | instid1(VALU_DEP_1)
	s_or_b32 exec_lo, exec_lo, s41
	v_lshrrev_b16 v1, 8, v0
	s_mov_b32 s41, exec_lo
	v_cmpx_ne_u16_e32 0, v1
	s_cbranch_execz .LBB203_194
; %bb.187:                              ;   in Loop: Header=BB203_15 Depth=1
	v_mov_b64_e32 v[2:3], 0x8000000000000000
	s_mov_b32 s42, exec_lo
	scratch_store_b64 off, v[2:3], off offset:8 ; 8-byte Folded Spill
	s_wait_xcnt 0x0
	v_cmpx_ne_u16_e32 0x80, v1
	s_cbranch_execz .LBB203_193
; %bb.188:                              ;   in Loop: Header=BB203_15 Depth=1
	v_and_b32_e32 v1, 0xffff, v1
	v_mov_b64_e32 v[4:5], 0x7f80000100000000
	s_mov_b32 s43, exec_lo
	s_delay_alu instid0(VALU_DEP_2)
	v_and_b32_e32 v2, 0x7f, v1
	scratch_store_b64 off, v[4:5], off offset:8 ; 8-byte Folded Spill
	s_wait_xcnt 0x0
	v_cmpx_ne_u32_e32 0x7f, v2
	s_cbranch_execz .LBB203_192
; %bb.189:                              ;   in Loop: Header=BB203_15 Depth=1
	v_dual_lshrrev_b32 v1, 3, v2 :: v_dual_bitop2_b32 v68, 7, v1 bitop3:0x40
	s_mov_b32 s44, exec_lo
	v_cmpx_gt_u32_e32 8, v2
; %bb.190:                              ;   in Loop: Header=BB203_15 Depth=1
	s_delay_alu instid0(VALU_DEP_2) | instskip(NEXT) | instid1(VALU_DEP_1)
	v_clz_i32_u32_e32 v1, v68
	v_min_u32_e32 v1, 32, v1
	s_delay_alu instid0(VALU_DEP_1) | instskip(NEXT) | instid1(VALU_DEP_1)
	v_subrev_nc_u32_e32 v2, 28, v1
	v_lshlrev_b64_e32 v[2:3], v2, v[68:69]
	s_delay_alu instid0(VALU_DEP_1)
	v_dual_sub_nc_u32 v1, 29, v1 :: v_dual_bitop2_b32 v68, 7, v2 bitop3:0x40
; %bb.191:                              ;   in Loop: Header=BB203_15 Depth=1
	s_or_b32 exec_lo, exec_lo, s44
	v_lshlrev_b32_e32 v2, 16, v0
	s_delay_alu instid0(VALU_DEP_2) | instskip(NEXT) | instid1(VALU_DEP_3)
	v_lshlrev_b32_e32 v3, 20, v68
	v_lshl_add_u32 v1, v1, 23, 0x3c000000
	s_delay_alu instid0(VALU_DEP_3) | instskip(NEXT) | instid1(VALU_DEP_1)
	v_and_b32_e32 v2, 0x80000000, v2
	v_or3_b32 v3, v3, v2, v1
	v_mov_b32_e32 v2, v69
	scratch_store_b64 off, v[2:3], off offset:8 ; 8-byte Folded Spill
.LBB203_192:                            ;   in Loop: Header=BB203_15 Depth=1
	s_wait_xcnt 0x0
	s_or_b32 exec_lo, exec_lo, s43
.LBB203_193:                            ;   in Loop: Header=BB203_15 Depth=1
	s_delay_alu instid0(SALU_CYCLE_1)
	s_or_b32 exec_lo, exec_lo, s42
.LBB203_194:                            ;   in Loop: Header=BB203_15 Depth=1
	s_delay_alu instid0(SALU_CYCLE_1) | instskip(SKIP_3) | instid1(VALU_DEP_1)
	s_or_b32 exec_lo, exec_lo, s41
	v_mov_b64_e32 v[4:5], 0
	v_lshrrev_b32_e32 v1, 16, v0
	s_mov_b32 s41, exec_lo
	v_and_b32_e32 v2, 0xff, v1
	scratch_store_b64 off, v[4:5], off offset:24 ; 8-byte Folded Spill
	s_wait_xcnt 0x0
	v_mov_b64_e32 v[4:5], 0
	scratch_store_b64 off, v[4:5], off offset:32 ; 8-byte Folded Spill
	s_wait_xcnt 0x0
	v_cmpx_ne_u16_e32 0, v2
	s_cbranch_execz .LBB203_202
; %bb.195:                              ;   in Loop: Header=BB203_15 Depth=1
	v_cmp_ne_u16_e64 s3, 0x80, v2
	v_mov_b64_e32 v[2:3], 0x80000000
	scratch_store_b64 off, v[2:3], off offset:32 ; 8-byte Folded Spill
	s_wait_xcnt 0x0
	s_and_saveexec_b32 s42, s3
	s_cbranch_execz .LBB203_201
; %bb.196:                              ;   in Loop: Header=BB203_15 Depth=1
	v_mov_b64_e32 v[4:5], 0x7f800001
	v_bfe_u32 v3, v0, 16, 7
	s_mov_b32 s43, exec_lo
	scratch_store_b64 off, v[4:5], off offset:32 ; 8-byte Folded Spill
	s_wait_xcnt 0x0
	v_cmpx_ne_u32_e32 0x7f, v3
	s_cbranch_execz .LBB203_200
; %bb.197:                              ;   in Loop: Header=BB203_15 Depth=1
	v_dual_lshrrev_b32 v2, 3, v3 :: v_dual_bitop2_b32 v68, 7, v1 bitop3:0x40
	s_mov_b32 s44, exec_lo
	v_cmpx_gt_u32_e32 8, v3
; %bb.198:                              ;   in Loop: Header=BB203_15 Depth=1
	s_delay_alu instid0(VALU_DEP_2) | instskip(NEXT) | instid1(VALU_DEP_1)
	v_clz_i32_u32_e32 v2, v68
	v_min_u32_e32 v2, 32, v2
	s_delay_alu instid0(VALU_DEP_1) | instskip(NEXT) | instid1(VALU_DEP_1)
	v_subrev_nc_u32_e32 v3, 28, v2
	v_lshlrev_b64_e32 v[4:5], v3, v[68:69]
	s_delay_alu instid0(VALU_DEP_1)
	v_dual_sub_nc_u32 v2, 29, v2 :: v_dual_bitop2_b32 v68, 7, v4 bitop3:0x40
; %bb.199:                              ;   in Loop: Header=BB203_15 Depth=1
	s_or_b32 exec_lo, exec_lo, s44
	s_delay_alu instid0(VALU_DEP_1) | instskip(NEXT) | instid1(VALU_DEP_2)
	v_dual_lshlrev_b32 v1, 24, v1 :: v_dual_lshlrev_b32 v3, 20, v68
	v_lshl_add_u32 v2, v2, 23, 0x3c000000
	s_delay_alu instid0(VALU_DEP_2) | instskip(NEXT) | instid1(VALU_DEP_1)
	v_and_b32_e32 v1, 0x80000000, v1
	v_or3_b32 v68, v3, v1, v2
	scratch_store_b64 off, v[68:69], off offset:32 ; 8-byte Folded Spill
.LBB203_200:                            ;   in Loop: Header=BB203_15 Depth=1
	s_wait_xcnt 0x0
	s_or_b32 exec_lo, exec_lo, s43
.LBB203_201:                            ;   in Loop: Header=BB203_15 Depth=1
	s_delay_alu instid0(SALU_CYCLE_1)
	s_or_b32 exec_lo, exec_lo, s42
.LBB203_202:                            ;   in Loop: Header=BB203_15 Depth=1
	s_delay_alu instid0(SALU_CYCLE_1) | instskip(NEXT) | instid1(SALU_CYCLE_1)
	s_or_b32 exec_lo, exec_lo, s41
	s_mov_b32 s41, exec_lo
	v_cmpx_lt_u32_e32 0xffffff, v0
	s_cbranch_execz .LBB203_210
; %bb.203:                              ;   in Loop: Header=BB203_15 Depth=1
	v_mov_b64_e32 v[2:3], 0x8000000000000000
	v_lshrrev_b32_e32 v1, 24, v0
	s_mov_b32 s42, exec_lo
	scratch_store_b64 off, v[2:3], off offset:24 ; 8-byte Folded Spill
	s_wait_xcnt 0x0
	v_cmpx_ne_u32_e32 0x80, v1
	s_cbranch_execz .LBB203_209
; %bb.204:                              ;   in Loop: Header=BB203_15 Depth=1
	v_mov_b64_e32 v[4:5], 0x7f80000100000000
	v_bfe_u32 v2, v0, 24, 7
	s_mov_b32 s43, exec_lo
	scratch_store_b64 off, v[4:5], off offset:24 ; 8-byte Folded Spill
	s_wait_xcnt 0x0
	v_cmpx_ne_u32_e32 0x7f, v2
	s_cbranch_execz .LBB203_208
; %bb.205:                              ;   in Loop: Header=BB203_15 Depth=1
	v_dual_lshrrev_b32 v0, 3, v2 :: v_dual_bitop2_b32 v68, 7, v1 bitop3:0x40
	s_mov_b32 s44, exec_lo
	v_cmpx_gt_u32_e32 8, v2
; %bb.206:                              ;   in Loop: Header=BB203_15 Depth=1
	s_delay_alu instid0(VALU_DEP_2) | instskip(NEXT) | instid1(VALU_DEP_1)
	v_clz_i32_u32_e32 v0, v68
	v_min_u32_e32 v0, 32, v0
	s_delay_alu instid0(VALU_DEP_1) | instskip(NEXT) | instid1(VALU_DEP_1)
	v_subrev_nc_u32_e32 v2, 28, v0
	v_lshlrev_b64_e32 v[2:3], v2, v[68:69]
	s_delay_alu instid0(VALU_DEP_1)
	v_dual_sub_nc_u32 v0, 29, v0 :: v_dual_bitop2_b32 v68, 7, v2 bitop3:0x40
; %bb.207:                              ;   in Loop: Header=BB203_15 Depth=1
	s_or_b32 exec_lo, exec_lo, s44
	s_delay_alu instid0(VALU_DEP_1) | instskip(NEXT) | instid1(VALU_DEP_2)
	v_dual_lshlrev_b32 v1, 24, v1 :: v_dual_lshlrev_b32 v2, 20, v68
	v_lshl_add_u32 v0, v0, 23, 0x3c000000
	s_delay_alu instid0(VALU_DEP_2) | instskip(NEXT) | instid1(VALU_DEP_1)
	v_and_b32_e32 v1, 0x80000000, v1
	v_or3_b32 v1, v2, v1, v0
	v_mov_b32_e32 v0, v69
	scratch_store_b64 off, v[0:1], off offset:24 ; 8-byte Folded Spill
.LBB203_208:                            ;   in Loop: Header=BB203_15 Depth=1
	s_wait_xcnt 0x0
	s_or_b32 exec_lo, exec_lo, s43
.LBB203_209:                            ;   in Loop: Header=BB203_15 Depth=1
	s_delay_alu instid0(SALU_CYCLE_1)
	s_or_b32 exec_lo, exec_lo, s42
.LBB203_210:                            ;   in Loop: Header=BB203_15 Depth=1
	s_delay_alu instid0(SALU_CYCLE_1)
	s_or_b32 exec_lo, exec_lo, s41
	global_load_b32 v4, v[92:93], off offset:520
	v_mov_b64_e32 v[126:127], 0
	v_mov_b64_e32 v[2:3], 0
	s_mov_b32 s41, exec_lo
	scratch_store_b64 off, v[2:3], off offset:40 ; 8-byte Folded Spill
	s_wait_loadcnt 0x0
	v_and_b32_e32 v0, 0xff, v4
	s_wait_xcnt 0x0
	s_delay_alu instid0(VALU_DEP_1)
	v_cmpx_ne_u16_e32 0, v0
	s_cbranch_execz .LBB203_218
; %bb.211:                              ;   in Loop: Header=BB203_15 Depth=1
	v_cmp_ne_u16_e64 s3, 0x80, v0
	v_mov_b64_e32 v[0:1], 0x80000000
	scratch_store_b64 off, v[0:1], off offset:40 ; 8-byte Folded Spill
	s_wait_xcnt 0x0
	s_and_saveexec_b32 s42, s3
	s_cbranch_execz .LBB203_217
; %bb.212:                              ;   in Loop: Header=BB203_15 Depth=1
	v_mov_b64_e32 v[2:3], 0x7f800001
	v_and_b32_e32 v1, 0x7f, v4
	s_mov_b32 s43, exec_lo
	scratch_store_b64 off, v[2:3], off offset:40 ; 8-byte Folded Spill
	s_wait_xcnt 0x0
	v_cmpx_ne_u32_e32 0x7f, v1
	s_cbranch_execz .LBB203_216
; %bb.213:                              ;   in Loop: Header=BB203_15 Depth=1
	v_dual_lshrrev_b32 v0, 3, v1 :: v_dual_bitop2_b32 v68, 7, v4 bitop3:0x40
	s_mov_b32 s44, exec_lo
	v_cmpx_gt_u32_e32 8, v1
; %bb.214:                              ;   in Loop: Header=BB203_15 Depth=1
	s_delay_alu instid0(VALU_DEP_2) | instskip(NEXT) | instid1(VALU_DEP_1)
	v_clz_i32_u32_e32 v0, v68
	v_min_u32_e32 v0, 32, v0
	s_delay_alu instid0(VALU_DEP_1) | instskip(NEXT) | instid1(VALU_DEP_1)
	v_subrev_nc_u32_e32 v1, 28, v0
	v_lshlrev_b64_e32 v[2:3], v1, v[68:69]
	s_delay_alu instid0(VALU_DEP_1)
	v_dual_sub_nc_u32 v0, 29, v0 :: v_dual_bitop2_b32 v68, 7, v2 bitop3:0x40
; %bb.215:                              ;   in Loop: Header=BB203_15 Depth=1
	s_or_b32 exec_lo, exec_lo, s44
	v_lshlrev_b32_e32 v1, 24, v4
	s_delay_alu instid0(VALU_DEP_2) | instskip(NEXT) | instid1(VALU_DEP_3)
	v_lshlrev_b32_e32 v2, 20, v68
	v_lshl_add_u32 v0, v0, 23, 0x3c000000
	s_delay_alu instid0(VALU_DEP_3) | instskip(NEXT) | instid1(VALU_DEP_1)
	v_and_b32_e32 v1, 0x80000000, v1
	v_or3_b32 v68, v2, v1, v0
	scratch_store_b64 off, v[68:69], off offset:40 ; 8-byte Folded Spill
.LBB203_216:                            ;   in Loop: Header=BB203_15 Depth=1
	s_wait_xcnt 0x0
	s_or_b32 exec_lo, exec_lo, s43
.LBB203_217:                            ;   in Loop: Header=BB203_15 Depth=1
	s_delay_alu instid0(SALU_CYCLE_1)
	s_or_b32 exec_lo, exec_lo, s42
.LBB203_218:                            ;   in Loop: Header=BB203_15 Depth=1
	s_delay_alu instid0(SALU_CYCLE_1) | instskip(SKIP_2) | instid1(VALU_DEP_1)
	s_or_b32 exec_lo, exec_lo, s41
	v_lshrrev_b16 v0, 8, v4
	s_mov_b32 s41, exec_lo
	v_cmpx_ne_u16_e32 0, v0
	s_cbranch_execz .LBB203_226
; %bb.219:                              ;   in Loop: Header=BB203_15 Depth=1
	v_mov_b64_e32 v[126:127], 0x8000000000000000
	s_mov_b32 s42, exec_lo
	v_cmpx_ne_u16_e32 0x80, v0
	s_cbranch_execz .LBB203_225
; %bb.220:                              ;   in Loop: Header=BB203_15 Depth=1
	v_and_b32_e32 v0, 0xffff, v0
	v_mov_b64_e32 v[126:127], 0x7f80000100000000
	s_mov_b32 s43, exec_lo
	s_delay_alu instid0(VALU_DEP_2) | instskip(NEXT) | instid1(VALU_DEP_1)
	v_and_b32_e32 v1, 0x7f, v0
	v_cmpx_ne_u32_e32 0x7f, v1
	s_cbranch_execz .LBB203_224
; %bb.221:                              ;   in Loop: Header=BB203_15 Depth=1
	v_dual_lshrrev_b32 v0, 3, v1 :: v_dual_bitop2_b32 v68, 7, v0 bitop3:0x40
	s_mov_b32 s44, exec_lo
	v_cmpx_gt_u32_e32 8, v1
; %bb.222:                              ;   in Loop: Header=BB203_15 Depth=1
	s_delay_alu instid0(VALU_DEP_2) | instskip(NEXT) | instid1(VALU_DEP_1)
	v_clz_i32_u32_e32 v0, v68
	v_min_u32_e32 v0, 32, v0
	s_delay_alu instid0(VALU_DEP_1) | instskip(NEXT) | instid1(VALU_DEP_1)
	v_subrev_nc_u32_e32 v1, 28, v0
	v_lshlrev_b64_e32 v[2:3], v1, v[68:69]
	s_delay_alu instid0(VALU_DEP_1)
	v_dual_sub_nc_u32 v0, 29, v0 :: v_dual_bitop2_b32 v68, 7, v2 bitop3:0x40
; %bb.223:                              ;   in Loop: Header=BB203_15 Depth=1
	s_or_b32 exec_lo, exec_lo, s44
	v_dual_mov_b32 v126, v69 :: v_dual_lshlrev_b32 v1, 16, v4
	s_delay_alu instid0(VALU_DEP_2) | instskip(NEXT) | instid1(VALU_DEP_3)
	v_lshlrev_b32_e32 v2, 20, v68
	v_lshl_add_u32 v0, v0, 23, 0x3c000000
	s_delay_alu instid0(VALU_DEP_3) | instskip(NEXT) | instid1(VALU_DEP_1)
	v_and_b32_e32 v1, 0x80000000, v1
	v_or3_b32 v127, v2, v1, v0
.LBB203_224:                            ;   in Loop: Header=BB203_15 Depth=1
	s_or_b32 exec_lo, exec_lo, s43
.LBB203_225:                            ;   in Loop: Header=BB203_15 Depth=1
	s_delay_alu instid0(SALU_CYCLE_1)
	s_or_b32 exec_lo, exec_lo, s42
.LBB203_226:                            ;   in Loop: Header=BB203_15 Depth=1
	s_delay_alu instid0(SALU_CYCLE_1) | instskip(SKIP_4) | instid1(VALU_DEP_3)
	s_or_b32 exec_lo, exec_lo, s41
	v_lshrrev_b32_e32 v5, 16, v4
	v_mov_b64_e32 v[0:1], 0
	v_mov_b64_e32 v[96:97], 0
	s_mov_b32 s41, exec_lo
	v_and_b32_e32 v6, 0xff, v5
	s_delay_alu instid0(VALU_DEP_1)
	v_cmpx_ne_u16_e32 0, v6
	s_cbranch_execz .LBB203_234
; %bb.227:                              ;   in Loop: Header=BB203_15 Depth=1
	v_mov_b64_e32 v[96:97], 0x80000000
	s_mov_b32 s42, exec_lo
	v_cmpx_ne_u16_e32 0x80, v6
	s_cbranch_execz .LBB203_233
; %bb.228:                              ;   in Loop: Header=BB203_15 Depth=1
	v_mov_b64_e32 v[96:97], 0x7f800001
	v_bfe_u32 v6, v4, 16, 7
	s_mov_b32 s43, exec_lo
	s_delay_alu instid0(VALU_DEP_1)
	v_cmpx_ne_u32_e32 0x7f, v6
	s_cbranch_execz .LBB203_232
; %bb.229:                              ;   in Loop: Header=BB203_15 Depth=1
	v_dual_lshrrev_b32 v2, 3, v6 :: v_dual_bitop2_b32 v68, 7, v5 bitop3:0x40
	s_mov_b32 s44, exec_lo
	v_cmpx_gt_u32_e32 8, v6
; %bb.230:                              ;   in Loop: Header=BB203_15 Depth=1
	s_delay_alu instid0(VALU_DEP_2) | instskip(NEXT) | instid1(VALU_DEP_1)
	v_clz_i32_u32_e32 v2, v68
	v_min_u32_e32 v2, 32, v2
	s_delay_alu instid0(VALU_DEP_1) | instskip(SKIP_1) | instid1(VALU_DEP_2)
	v_subrev_nc_u32_e32 v3, 28, v2
	v_sub_nc_u32_e32 v2, 29, v2
	v_lshlrev_b64_e32 v[6:7], v3, v[68:69]
	s_delay_alu instid0(VALU_DEP_1)
	v_and_b32_e32 v68, 7, v6
; %bb.231:                              ;   in Loop: Header=BB203_15 Depth=1
	s_or_b32 exec_lo, exec_lo, s44
	s_delay_alu instid0(VALU_DEP_1) | instskip(SKIP_1) | instid1(VALU_DEP_2)
	v_dual_lshlrev_b32 v3, 24, v5 :: v_dual_lshlrev_b32 v5, 20, v68
	v_lshl_add_u32 v2, v2, 23, 0x3c000000
	v_and_b32_e32 v3, 0x80000000, v3
	s_delay_alu instid0(VALU_DEP_1) | instskip(NEXT) | instid1(VALU_DEP_1)
	v_or3_b32 v68, v5, v3, v2
	v_mov_b64_e32 v[96:97], v[68:69]
.LBB203_232:                            ;   in Loop: Header=BB203_15 Depth=1
	s_or_b32 exec_lo, exec_lo, s43
.LBB203_233:                            ;   in Loop: Header=BB203_15 Depth=1
	s_delay_alu instid0(SALU_CYCLE_1)
	s_or_b32 exec_lo, exec_lo, s42
.LBB203_234:                            ;   in Loop: Header=BB203_15 Depth=1
	s_delay_alu instid0(SALU_CYCLE_1) | instskip(NEXT) | instid1(SALU_CYCLE_1)
	s_or_b32 exec_lo, exec_lo, s41
	s_mov_b32 s41, exec_lo
	v_cmpx_lt_u32_e32 0xffffff, v4
	s_cbranch_execz .LBB203_242
; %bb.235:                              ;   in Loop: Header=BB203_15 Depth=1
	v_mov_b64_e32 v[0:1], 0x8000000000000000
	v_lshrrev_b32_e32 v5, 24, v4
	s_mov_b32 s42, exec_lo
	s_delay_alu instid0(VALU_DEP_1)
	v_cmpx_ne_u32_e32 0x80, v5
	s_cbranch_execz .LBB203_241
; %bb.236:                              ;   in Loop: Header=BB203_15 Depth=1
	v_mov_b64_e32 v[0:1], 0x7f80000100000000
	v_bfe_u32 v4, v4, 24, 7
	s_mov_b32 s43, exec_lo
	s_delay_alu instid0(VALU_DEP_1)
	v_cmpx_ne_u32_e32 0x7f, v4
	s_cbranch_execz .LBB203_240
; %bb.237:                              ;   in Loop: Header=BB203_15 Depth=1
	v_dual_lshrrev_b32 v0, 3, v4 :: v_dual_bitop2_b32 v68, 7, v5 bitop3:0x40
	s_mov_b32 s44, exec_lo
	v_cmpx_gt_u32_e32 8, v4
; %bb.238:                              ;   in Loop: Header=BB203_15 Depth=1
	s_delay_alu instid0(VALU_DEP_2) | instskip(NEXT) | instid1(VALU_DEP_1)
	v_clz_i32_u32_e32 v0, v68
	v_min_u32_e32 v0, 32, v0
	s_delay_alu instid0(VALU_DEP_1) | instskip(NEXT) | instid1(VALU_DEP_1)
	v_subrev_nc_u32_e32 v1, 28, v0
	v_lshlrev_b64_e32 v[6:7], v1, v[68:69]
	s_delay_alu instid0(VALU_DEP_1)
	v_dual_sub_nc_u32 v0, 29, v0 :: v_dual_bitop2_b32 v68, 7, v6 bitop3:0x40
; %bb.239:                              ;   in Loop: Header=BB203_15 Depth=1
	s_or_b32 exec_lo, exec_lo, s44
	s_delay_alu instid0(VALU_DEP_1) | instskip(NEXT) | instid1(VALU_DEP_2)
	v_dual_lshlrev_b32 v1, 24, v5 :: v_dual_lshlrev_b32 v4, 20, v68
	v_lshl_add_u32 v0, v0, 23, 0x3c000000
	s_delay_alu instid0(VALU_DEP_2) | instskip(NEXT) | instid1(VALU_DEP_1)
	v_and_b32_e32 v1, 0x80000000, v1
	v_or3_b32 v1, v4, v1, v0
	v_mov_b32_e32 v0, v69
.LBB203_240:                            ;   in Loop: Header=BB203_15 Depth=1
	s_or_b32 exec_lo, exec_lo, s43
.LBB203_241:                            ;   in Loop: Header=BB203_15 Depth=1
	s_delay_alu instid0(SALU_CYCLE_1)
	s_or_b32 exec_lo, exec_lo, s42
.LBB203_242:                            ;   in Loop: Header=BB203_15 Depth=1
	s_delay_alu instid0(SALU_CYCLE_1)
	s_or_b32 exec_lo, exec_lo, s41
	global_load_b32 v12, v[92:93], off offset:524
	v_mov_b64_e32 v[4:5], 0
	v_mov_b64_e32 v[6:7], 0
	s_mov_b32 s41, exec_lo
	s_wait_loadcnt 0x0
	v_and_b32_e32 v8, 0xff, v12
	s_wait_xcnt 0x0
	s_delay_alu instid0(VALU_DEP_1)
	v_cmpx_ne_u16_e32 0, v8
	s_cbranch_execz .LBB203_250
; %bb.243:                              ;   in Loop: Header=BB203_15 Depth=1
	v_mov_b64_e32 v[6:7], 0x80000000
	s_mov_b32 s42, exec_lo
	v_cmpx_ne_u16_e32 0x80, v8
	s_cbranch_execz .LBB203_249
; %bb.244:                              ;   in Loop: Header=BB203_15 Depth=1
	v_mov_b64_e32 v[6:7], 0x7f800001
	v_and_b32_e32 v8, 0x7f, v12
	s_mov_b32 s43, exec_lo
	s_delay_alu instid0(VALU_DEP_1)
	v_cmpx_ne_u32_e32 0x7f, v8
	s_cbranch_execz .LBB203_248
; %bb.245:                              ;   in Loop: Header=BB203_15 Depth=1
	v_and_b32_e32 v68, 7, v12
	v_lshrrev_b32_e32 v6, 3, v8
	s_mov_b32 s44, exec_lo
	v_cmpx_gt_u32_e32 8, v8
; %bb.246:                              ;   in Loop: Header=BB203_15 Depth=1
	s_delay_alu instid0(VALU_DEP_3) | instskip(NEXT) | instid1(VALU_DEP_1)
	v_clz_i32_u32_e32 v6, v68
	v_min_u32_e32 v6, 32, v6
	s_delay_alu instid0(VALU_DEP_1) | instskip(NEXT) | instid1(VALU_DEP_1)
	v_subrev_nc_u32_e32 v7, 28, v6
	v_lshlrev_b64_e32 v[8:9], v7, v[68:69]
	s_delay_alu instid0(VALU_DEP_1)
	v_dual_sub_nc_u32 v6, 29, v6 :: v_dual_bitop2_b32 v68, 7, v8 bitop3:0x40
; %bb.247:                              ;   in Loop: Header=BB203_15 Depth=1
	s_or_b32 exec_lo, exec_lo, s44
	v_lshlrev_b32_e32 v7, 24, v12
	s_delay_alu instid0(VALU_DEP_2) | instskip(NEXT) | instid1(VALU_DEP_3)
	v_lshlrev_b32_e32 v8, 20, v68
	v_lshl_add_u32 v6, v6, 23, 0x3c000000
	s_delay_alu instid0(VALU_DEP_3) | instskip(NEXT) | instid1(VALU_DEP_1)
	v_and_b32_e32 v7, 0x80000000, v7
	v_or3_b32 v68, v8, v7, v6
	s_delay_alu instid0(VALU_DEP_1)
	v_mov_b64_e32 v[6:7], v[68:69]
.LBB203_248:                            ;   in Loop: Header=BB203_15 Depth=1
	s_or_b32 exec_lo, exec_lo, s43
.LBB203_249:                            ;   in Loop: Header=BB203_15 Depth=1
	s_delay_alu instid0(SALU_CYCLE_1)
	s_or_b32 exec_lo, exec_lo, s42
.LBB203_250:                            ;   in Loop: Header=BB203_15 Depth=1
	s_delay_alu instid0(SALU_CYCLE_1) | instskip(SKIP_2) | instid1(VALU_DEP_1)
	s_or_b32 exec_lo, exec_lo, s41
	v_lshrrev_b16 v8, 8, v12
	s_mov_b32 s41, exec_lo
	v_cmpx_ne_u16_e32 0, v8
	s_cbranch_execz .LBB203_258
; %bb.251:                              ;   in Loop: Header=BB203_15 Depth=1
	v_mov_b64_e32 v[4:5], 0x8000000000000000
	s_mov_b32 s42, exec_lo
	v_cmpx_ne_u16_e32 0x80, v8
	s_cbranch_execz .LBB203_257
; %bb.252:                              ;   in Loop: Header=BB203_15 Depth=1
	v_and_b32_e32 v9, 0xffff, v8
	v_mov_b64_e32 v[4:5], 0x7f80000100000000
	s_mov_b32 s43, exec_lo
	s_delay_alu instid0(VALU_DEP_2) | instskip(NEXT) | instid1(VALU_DEP_1)
	v_and_b32_e32 v8, 0x7f, v9
	v_cmpx_ne_u32_e32 0x7f, v8
	s_cbranch_execz .LBB203_256
; %bb.253:                              ;   in Loop: Header=BB203_15 Depth=1
	v_dual_lshrrev_b32 v4, 3, v8 :: v_dual_bitop2_b32 v68, 7, v9 bitop3:0x40
	s_mov_b32 s44, exec_lo
	v_cmpx_gt_u32_e32 8, v8
; %bb.254:                              ;   in Loop: Header=BB203_15 Depth=1
	s_delay_alu instid0(VALU_DEP_2) | instskip(NEXT) | instid1(VALU_DEP_1)
	v_clz_i32_u32_e32 v4, v68
	v_min_u32_e32 v4, 32, v4
	s_delay_alu instid0(VALU_DEP_1) | instskip(SKIP_1) | instid1(VALU_DEP_2)
	v_subrev_nc_u32_e32 v5, 28, v4
	v_sub_nc_u32_e32 v4, 29, v4
	v_lshlrev_b64_e32 v[8:9], v5, v[68:69]
	s_delay_alu instid0(VALU_DEP_1)
	v_and_b32_e32 v68, 7, v8
; %bb.255:                              ;   in Loop: Header=BB203_15 Depth=1
	s_or_b32 exec_lo, exec_lo, s44
	v_lshlrev_b32_e32 v5, 16, v12
	s_delay_alu instid0(VALU_DEP_2) | instskip(SKIP_1) | instid1(VALU_DEP_3)
	v_lshlrev_b32_e32 v8, 20, v68
	v_lshl_add_u32 v4, v4, 23, 0x3c000000
	v_and_b32_e32 v5, 0x80000000, v5
	s_delay_alu instid0(VALU_DEP_1)
	v_or3_b32 v5, v8, v5, v4
	v_mov_b32_e32 v4, v69
.LBB203_256:                            ;   in Loop: Header=BB203_15 Depth=1
	s_or_b32 exec_lo, exec_lo, s43
.LBB203_257:                            ;   in Loop: Header=BB203_15 Depth=1
	s_delay_alu instid0(SALU_CYCLE_1)
	s_or_b32 exec_lo, exec_lo, s42
.LBB203_258:                            ;   in Loop: Header=BB203_15 Depth=1
	s_delay_alu instid0(SALU_CYCLE_1) | instskip(SKIP_4) | instid1(VALU_DEP_3)
	s_or_b32 exec_lo, exec_lo, s41
	v_lshrrev_b32_e32 v13, 16, v12
	v_mov_b64_e32 v[8:9], 0
	v_mov_b64_e32 v[10:11], 0
	s_mov_b32 s41, exec_lo
	v_and_b32_e32 v14, 0xff, v13
	s_delay_alu instid0(VALU_DEP_1)
	v_cmpx_ne_u16_e32 0, v14
	s_cbranch_execz .LBB203_266
; %bb.259:                              ;   in Loop: Header=BB203_15 Depth=1
	v_mov_b64_e32 v[10:11], 0x80000000
	s_mov_b32 s42, exec_lo
	v_cmpx_ne_u16_e32 0x80, v14
	s_cbranch_execz .LBB203_265
; %bb.260:                              ;   in Loop: Header=BB203_15 Depth=1
	v_mov_b64_e32 v[10:11], 0x7f800001
	v_bfe_u32 v14, v12, 16, 7
	s_mov_b32 s43, exec_lo
	s_delay_alu instid0(VALU_DEP_1)
	v_cmpx_ne_u32_e32 0x7f, v14
	s_cbranch_execz .LBB203_264
; %bb.261:                              ;   in Loop: Header=BB203_15 Depth=1
	v_dual_lshrrev_b32 v10, 3, v14 :: v_dual_bitop2_b32 v68, 7, v13 bitop3:0x40
	s_mov_b32 s44, exec_lo
	v_cmpx_gt_u32_e32 8, v14
; %bb.262:                              ;   in Loop: Header=BB203_15 Depth=1
	s_delay_alu instid0(VALU_DEP_2) | instskip(NEXT) | instid1(VALU_DEP_1)
	v_clz_i32_u32_e32 v10, v68
	v_min_u32_e32 v10, 32, v10
	s_delay_alu instid0(VALU_DEP_1) | instskip(SKIP_1) | instid1(VALU_DEP_2)
	v_subrev_nc_u32_e32 v11, 28, v10
	v_sub_nc_u32_e32 v10, 29, v10
	v_lshlrev_b64_e32 v[14:15], v11, v[68:69]
	s_delay_alu instid0(VALU_DEP_1)
	v_and_b32_e32 v68, 7, v14
; %bb.263:                              ;   in Loop: Header=BB203_15 Depth=1
	s_or_b32 exec_lo, exec_lo, s44
	s_delay_alu instid0(VALU_DEP_1) | instskip(SKIP_1) | instid1(VALU_DEP_2)
	v_dual_lshlrev_b32 v11, 24, v13 :: v_dual_lshlrev_b32 v13, 20, v68
	v_lshl_add_u32 v10, v10, 23, 0x3c000000
	v_and_b32_e32 v11, 0x80000000, v11
	s_delay_alu instid0(VALU_DEP_1) | instskip(NEXT) | instid1(VALU_DEP_1)
	v_or3_b32 v68, v13, v11, v10
	v_mov_b64_e32 v[10:11], v[68:69]
.LBB203_264:                            ;   in Loop: Header=BB203_15 Depth=1
	s_or_b32 exec_lo, exec_lo, s43
.LBB203_265:                            ;   in Loop: Header=BB203_15 Depth=1
	s_delay_alu instid0(SALU_CYCLE_1)
	s_or_b32 exec_lo, exec_lo, s42
.LBB203_266:                            ;   in Loop: Header=BB203_15 Depth=1
	s_delay_alu instid0(SALU_CYCLE_1) | instskip(NEXT) | instid1(SALU_CYCLE_1)
	s_or_b32 exec_lo, exec_lo, s41
	s_mov_b32 s41, exec_lo
	v_cmpx_lt_u32_e32 0xffffff, v12
	s_cbranch_execz .LBB203_274
; %bb.267:                              ;   in Loop: Header=BB203_15 Depth=1
	v_mov_b64_e32 v[8:9], 0x8000000000000000
	v_lshrrev_b32_e32 v13, 24, v12
	s_mov_b32 s42, exec_lo
	s_delay_alu instid0(VALU_DEP_1)
	v_cmpx_ne_u32_e32 0x80, v13
	s_cbranch_execz .LBB203_273
; %bb.268:                              ;   in Loop: Header=BB203_15 Depth=1
	v_mov_b64_e32 v[8:9], 0x7f80000100000000
	v_bfe_u32 v12, v12, 24, 7
	s_mov_b32 s43, exec_lo
	s_delay_alu instid0(VALU_DEP_1)
	v_cmpx_ne_u32_e32 0x7f, v12
	s_cbranch_execz .LBB203_272
; %bb.269:                              ;   in Loop: Header=BB203_15 Depth=1
	v_dual_lshrrev_b32 v8, 3, v12 :: v_dual_bitop2_b32 v68, 7, v13 bitop3:0x40
	s_mov_b32 s44, exec_lo
	v_cmpx_gt_u32_e32 8, v12
; %bb.270:                              ;   in Loop: Header=BB203_15 Depth=1
	s_delay_alu instid0(VALU_DEP_2) | instskip(NEXT) | instid1(VALU_DEP_1)
	v_clz_i32_u32_e32 v8, v68
	v_min_u32_e32 v8, 32, v8
	s_delay_alu instid0(VALU_DEP_1) | instskip(NEXT) | instid1(VALU_DEP_1)
	v_subrev_nc_u32_e32 v9, 28, v8
	v_lshlrev_b64_e32 v[14:15], v9, v[68:69]
	s_delay_alu instid0(VALU_DEP_1)
	v_dual_sub_nc_u32 v8, 29, v8 :: v_dual_bitop2_b32 v68, 7, v14 bitop3:0x40
; %bb.271:                              ;   in Loop: Header=BB203_15 Depth=1
	s_or_b32 exec_lo, exec_lo, s44
	s_delay_alu instid0(VALU_DEP_1) | instskip(NEXT) | instid1(VALU_DEP_2)
	v_dual_lshlrev_b32 v9, 24, v13 :: v_dual_lshlrev_b32 v12, 20, v68
	v_lshl_add_u32 v8, v8, 23, 0x3c000000
	s_delay_alu instid0(VALU_DEP_2) | instskip(NEXT) | instid1(VALU_DEP_1)
	v_and_b32_e32 v9, 0x80000000, v9
	v_or3_b32 v9, v12, v9, v8
	v_mov_b32_e32 v8, v69
.LBB203_272:                            ;   in Loop: Header=BB203_15 Depth=1
	s_or_b32 exec_lo, exec_lo, s43
.LBB203_273:                            ;   in Loop: Header=BB203_15 Depth=1
	s_delay_alu instid0(SALU_CYCLE_1)
	s_or_b32 exec_lo, exec_lo, s42
.LBB203_274:                            ;   in Loop: Header=BB203_15 Depth=1
	s_delay_alu instid0(SALU_CYCLE_1)
	s_or_b32 exec_lo, exec_lo, s41
	global_load_b32 v20, v[92:93], off offset:1024
	v_mov_b64_e32 v[12:13], 0
	v_mov_b64_e32 v[14:15], 0
	s_mov_b32 s41, exec_lo
	s_wait_loadcnt 0x0
	v_and_b32_e32 v16, 0xff, v20
	s_wait_xcnt 0x0
	s_delay_alu instid0(VALU_DEP_1)
	v_cmpx_ne_u16_e32 0, v16
	s_cbranch_execz .LBB203_282
; %bb.275:                              ;   in Loop: Header=BB203_15 Depth=1
	v_mov_b64_e32 v[14:15], 0x80000000
	s_mov_b32 s42, exec_lo
	v_cmpx_ne_u16_e32 0x80, v16
	s_cbranch_execz .LBB203_281
; %bb.276:                              ;   in Loop: Header=BB203_15 Depth=1
	v_mov_b64_e32 v[14:15], 0x7f800001
	v_and_b32_e32 v16, 0x7f, v20
	s_mov_b32 s43, exec_lo
	s_delay_alu instid0(VALU_DEP_1)
	v_cmpx_ne_u32_e32 0x7f, v16
	s_cbranch_execz .LBB203_280
; %bb.277:                              ;   in Loop: Header=BB203_15 Depth=1
	v_and_b32_e32 v68, 7, v20
	v_lshrrev_b32_e32 v14, 3, v16
	s_mov_b32 s44, exec_lo
	v_cmpx_gt_u32_e32 8, v16
; %bb.278:                              ;   in Loop: Header=BB203_15 Depth=1
	s_delay_alu instid0(VALU_DEP_3) | instskip(NEXT) | instid1(VALU_DEP_1)
	v_clz_i32_u32_e32 v14, v68
	v_min_u32_e32 v14, 32, v14
	s_delay_alu instid0(VALU_DEP_1) | instskip(NEXT) | instid1(VALU_DEP_1)
	v_subrev_nc_u32_e32 v15, 28, v14
	v_lshlrev_b64_e32 v[16:17], v15, v[68:69]
	s_delay_alu instid0(VALU_DEP_1)
	v_dual_sub_nc_u32 v14, 29, v14 :: v_dual_bitop2_b32 v68, 7, v16 bitop3:0x40
; %bb.279:                              ;   in Loop: Header=BB203_15 Depth=1
	s_or_b32 exec_lo, exec_lo, s44
	v_lshlrev_b32_e32 v15, 24, v20
	s_delay_alu instid0(VALU_DEP_2) | instskip(NEXT) | instid1(VALU_DEP_3)
	v_lshlrev_b32_e32 v16, 20, v68
	v_lshl_add_u32 v14, v14, 23, 0x3c000000
	s_delay_alu instid0(VALU_DEP_3) | instskip(NEXT) | instid1(VALU_DEP_1)
	v_and_b32_e32 v15, 0x80000000, v15
	v_or3_b32 v68, v16, v15, v14
	s_delay_alu instid0(VALU_DEP_1)
	v_mov_b64_e32 v[14:15], v[68:69]
.LBB203_280:                            ;   in Loop: Header=BB203_15 Depth=1
	s_or_b32 exec_lo, exec_lo, s43
.LBB203_281:                            ;   in Loop: Header=BB203_15 Depth=1
	s_delay_alu instid0(SALU_CYCLE_1)
	s_or_b32 exec_lo, exec_lo, s42
.LBB203_282:                            ;   in Loop: Header=BB203_15 Depth=1
	s_delay_alu instid0(SALU_CYCLE_1) | instskip(SKIP_2) | instid1(VALU_DEP_1)
	s_or_b32 exec_lo, exec_lo, s41
	v_lshrrev_b16 v16, 8, v20
	s_mov_b32 s41, exec_lo
	v_cmpx_ne_u16_e32 0, v16
	s_cbranch_execz .LBB203_290
; %bb.283:                              ;   in Loop: Header=BB203_15 Depth=1
	v_mov_b64_e32 v[12:13], 0x8000000000000000
	s_mov_b32 s42, exec_lo
	v_cmpx_ne_u16_e32 0x80, v16
	s_cbranch_execz .LBB203_289
; %bb.284:                              ;   in Loop: Header=BB203_15 Depth=1
	v_and_b32_e32 v17, 0xffff, v16
	v_mov_b64_e32 v[12:13], 0x7f80000100000000
	s_mov_b32 s43, exec_lo
	s_delay_alu instid0(VALU_DEP_2) | instskip(NEXT) | instid1(VALU_DEP_1)
	v_and_b32_e32 v16, 0x7f, v17
	v_cmpx_ne_u32_e32 0x7f, v16
	s_cbranch_execz .LBB203_288
; %bb.285:                              ;   in Loop: Header=BB203_15 Depth=1
	v_dual_lshrrev_b32 v12, 3, v16 :: v_dual_bitop2_b32 v68, 7, v17 bitop3:0x40
	s_mov_b32 s44, exec_lo
	v_cmpx_gt_u32_e32 8, v16
; %bb.286:                              ;   in Loop: Header=BB203_15 Depth=1
	s_delay_alu instid0(VALU_DEP_2) | instskip(NEXT) | instid1(VALU_DEP_1)
	v_clz_i32_u32_e32 v12, v68
	v_min_u32_e32 v12, 32, v12
	s_delay_alu instid0(VALU_DEP_1) | instskip(SKIP_1) | instid1(VALU_DEP_2)
	v_subrev_nc_u32_e32 v13, 28, v12
	v_sub_nc_u32_e32 v12, 29, v12
	v_lshlrev_b64_e32 v[16:17], v13, v[68:69]
	s_delay_alu instid0(VALU_DEP_1)
	v_and_b32_e32 v68, 7, v16
; %bb.287:                              ;   in Loop: Header=BB203_15 Depth=1
	s_or_b32 exec_lo, exec_lo, s44
	v_lshlrev_b32_e32 v13, 16, v20
	s_delay_alu instid0(VALU_DEP_2) | instskip(SKIP_1) | instid1(VALU_DEP_3)
	v_lshlrev_b32_e32 v16, 20, v68
	v_lshl_add_u32 v12, v12, 23, 0x3c000000
	v_and_b32_e32 v13, 0x80000000, v13
	s_delay_alu instid0(VALU_DEP_1)
	v_or3_b32 v13, v16, v13, v12
	v_mov_b32_e32 v12, v69
.LBB203_288:                            ;   in Loop: Header=BB203_15 Depth=1
	s_or_b32 exec_lo, exec_lo, s43
.LBB203_289:                            ;   in Loop: Header=BB203_15 Depth=1
	s_delay_alu instid0(SALU_CYCLE_1)
	s_or_b32 exec_lo, exec_lo, s42
.LBB203_290:                            ;   in Loop: Header=BB203_15 Depth=1
	s_delay_alu instid0(SALU_CYCLE_1) | instskip(SKIP_4) | instid1(VALU_DEP_3)
	s_or_b32 exec_lo, exec_lo, s41
	v_lshrrev_b32_e32 v21, 16, v20
	v_mov_b64_e32 v[16:17], 0
	v_mov_b64_e32 v[18:19], 0
	s_mov_b32 s41, exec_lo
	v_and_b32_e32 v22, 0xff, v21
	s_delay_alu instid0(VALU_DEP_1)
	v_cmpx_ne_u16_e32 0, v22
	s_cbranch_execz .LBB203_298
; %bb.291:                              ;   in Loop: Header=BB203_15 Depth=1
	v_mov_b64_e32 v[18:19], 0x80000000
	s_mov_b32 s42, exec_lo
	v_cmpx_ne_u16_e32 0x80, v22
	s_cbranch_execz .LBB203_297
; %bb.292:                              ;   in Loop: Header=BB203_15 Depth=1
	v_mov_b64_e32 v[18:19], 0x7f800001
	v_bfe_u32 v22, v20, 16, 7
	s_mov_b32 s43, exec_lo
	s_delay_alu instid0(VALU_DEP_1)
	v_cmpx_ne_u32_e32 0x7f, v22
	s_cbranch_execz .LBB203_296
; %bb.293:                              ;   in Loop: Header=BB203_15 Depth=1
	v_dual_lshrrev_b32 v18, 3, v22 :: v_dual_bitop2_b32 v68, 7, v21 bitop3:0x40
	s_mov_b32 s44, exec_lo
	v_cmpx_gt_u32_e32 8, v22
; %bb.294:                              ;   in Loop: Header=BB203_15 Depth=1
	s_delay_alu instid0(VALU_DEP_2) | instskip(NEXT) | instid1(VALU_DEP_1)
	v_clz_i32_u32_e32 v18, v68
	v_min_u32_e32 v18, 32, v18
	s_delay_alu instid0(VALU_DEP_1) | instskip(SKIP_1) | instid1(VALU_DEP_2)
	v_subrev_nc_u32_e32 v19, 28, v18
	v_sub_nc_u32_e32 v18, 29, v18
	v_lshlrev_b64_e32 v[22:23], v19, v[68:69]
	s_delay_alu instid0(VALU_DEP_1)
	v_and_b32_e32 v68, 7, v22
; %bb.295:                              ;   in Loop: Header=BB203_15 Depth=1
	s_or_b32 exec_lo, exec_lo, s44
	s_delay_alu instid0(VALU_DEP_1) | instskip(SKIP_1) | instid1(VALU_DEP_2)
	v_dual_lshlrev_b32 v19, 24, v21 :: v_dual_lshlrev_b32 v21, 20, v68
	v_lshl_add_u32 v18, v18, 23, 0x3c000000
	v_and_b32_e32 v19, 0x80000000, v19
	s_delay_alu instid0(VALU_DEP_1) | instskip(NEXT) | instid1(VALU_DEP_1)
	v_or3_b32 v68, v21, v19, v18
	v_mov_b64_e32 v[18:19], v[68:69]
.LBB203_296:                            ;   in Loop: Header=BB203_15 Depth=1
	s_or_b32 exec_lo, exec_lo, s43
.LBB203_297:                            ;   in Loop: Header=BB203_15 Depth=1
	s_delay_alu instid0(SALU_CYCLE_1)
	s_or_b32 exec_lo, exec_lo, s42
.LBB203_298:                            ;   in Loop: Header=BB203_15 Depth=1
	s_delay_alu instid0(SALU_CYCLE_1) | instskip(NEXT) | instid1(SALU_CYCLE_1)
	s_or_b32 exec_lo, exec_lo, s41
	s_mov_b32 s41, exec_lo
	v_cmpx_lt_u32_e32 0xffffff, v20
	s_cbranch_execz .LBB203_306
; %bb.299:                              ;   in Loop: Header=BB203_15 Depth=1
	v_mov_b64_e32 v[16:17], 0x8000000000000000
	v_lshrrev_b32_e32 v21, 24, v20
	s_mov_b32 s42, exec_lo
	s_delay_alu instid0(VALU_DEP_1)
	v_cmpx_ne_u32_e32 0x80, v21
	s_cbranch_execz .LBB203_305
; %bb.300:                              ;   in Loop: Header=BB203_15 Depth=1
	v_mov_b64_e32 v[16:17], 0x7f80000100000000
	v_bfe_u32 v20, v20, 24, 7
	s_mov_b32 s43, exec_lo
	s_delay_alu instid0(VALU_DEP_1)
	v_cmpx_ne_u32_e32 0x7f, v20
	s_cbranch_execz .LBB203_304
; %bb.301:                              ;   in Loop: Header=BB203_15 Depth=1
	v_dual_lshrrev_b32 v16, 3, v20 :: v_dual_bitop2_b32 v68, 7, v21 bitop3:0x40
	s_mov_b32 s44, exec_lo
	v_cmpx_gt_u32_e32 8, v20
; %bb.302:                              ;   in Loop: Header=BB203_15 Depth=1
	s_delay_alu instid0(VALU_DEP_2) | instskip(NEXT) | instid1(VALU_DEP_1)
	v_clz_i32_u32_e32 v16, v68
	v_min_u32_e32 v16, 32, v16
	s_delay_alu instid0(VALU_DEP_1) | instskip(NEXT) | instid1(VALU_DEP_1)
	v_subrev_nc_u32_e32 v17, 28, v16
	v_lshlrev_b64_e32 v[22:23], v17, v[68:69]
	s_delay_alu instid0(VALU_DEP_1)
	v_dual_sub_nc_u32 v16, 29, v16 :: v_dual_bitop2_b32 v68, 7, v22 bitop3:0x40
; %bb.303:                              ;   in Loop: Header=BB203_15 Depth=1
	s_or_b32 exec_lo, exec_lo, s44
	s_delay_alu instid0(VALU_DEP_1) | instskip(NEXT) | instid1(VALU_DEP_2)
	v_dual_lshlrev_b32 v17, 24, v21 :: v_dual_lshlrev_b32 v20, 20, v68
	v_lshl_add_u32 v16, v16, 23, 0x3c000000
	s_delay_alu instid0(VALU_DEP_2) | instskip(NEXT) | instid1(VALU_DEP_1)
	v_and_b32_e32 v17, 0x80000000, v17
	v_or3_b32 v17, v20, v17, v16
	v_mov_b32_e32 v16, v69
.LBB203_304:                            ;   in Loop: Header=BB203_15 Depth=1
	s_or_b32 exec_lo, exec_lo, s43
.LBB203_305:                            ;   in Loop: Header=BB203_15 Depth=1
	s_delay_alu instid0(SALU_CYCLE_1)
	s_or_b32 exec_lo, exec_lo, s42
.LBB203_306:                            ;   in Loop: Header=BB203_15 Depth=1
	s_delay_alu instid0(SALU_CYCLE_1)
	s_or_b32 exec_lo, exec_lo, s41
	global_load_b32 v28, v[92:93], off offset:1028
	v_mov_b64_e32 v[20:21], 0
	v_mov_b64_e32 v[22:23], 0
	s_mov_b32 s41, exec_lo
	s_wait_loadcnt 0x0
	v_and_b32_e32 v24, 0xff, v28
	s_wait_xcnt 0x0
	s_delay_alu instid0(VALU_DEP_1)
	v_cmpx_ne_u16_e32 0, v24
	s_cbranch_execz .LBB203_314
; %bb.307:                              ;   in Loop: Header=BB203_15 Depth=1
	v_mov_b64_e32 v[22:23], 0x80000000
	s_mov_b32 s42, exec_lo
	v_cmpx_ne_u16_e32 0x80, v24
	s_cbranch_execz .LBB203_313
; %bb.308:                              ;   in Loop: Header=BB203_15 Depth=1
	v_mov_b64_e32 v[22:23], 0x7f800001
	v_and_b32_e32 v24, 0x7f, v28
	s_mov_b32 s43, exec_lo
	s_delay_alu instid0(VALU_DEP_1)
	v_cmpx_ne_u32_e32 0x7f, v24
	s_cbranch_execz .LBB203_312
; %bb.309:                              ;   in Loop: Header=BB203_15 Depth=1
	v_and_b32_e32 v68, 7, v28
	v_lshrrev_b32_e32 v22, 3, v24
	s_mov_b32 s44, exec_lo
	v_cmpx_gt_u32_e32 8, v24
; %bb.310:                              ;   in Loop: Header=BB203_15 Depth=1
	s_delay_alu instid0(VALU_DEP_3) | instskip(NEXT) | instid1(VALU_DEP_1)
	v_clz_i32_u32_e32 v22, v68
	v_min_u32_e32 v22, 32, v22
	s_delay_alu instid0(VALU_DEP_1) | instskip(NEXT) | instid1(VALU_DEP_1)
	v_subrev_nc_u32_e32 v23, 28, v22
	v_lshlrev_b64_e32 v[24:25], v23, v[68:69]
	s_delay_alu instid0(VALU_DEP_1)
	v_dual_sub_nc_u32 v22, 29, v22 :: v_dual_bitop2_b32 v68, 7, v24 bitop3:0x40
; %bb.311:                              ;   in Loop: Header=BB203_15 Depth=1
	s_or_b32 exec_lo, exec_lo, s44
	v_lshlrev_b32_e32 v23, 24, v28
	s_delay_alu instid0(VALU_DEP_2) | instskip(NEXT) | instid1(VALU_DEP_3)
	v_lshlrev_b32_e32 v24, 20, v68
	v_lshl_add_u32 v22, v22, 23, 0x3c000000
	s_delay_alu instid0(VALU_DEP_3) | instskip(NEXT) | instid1(VALU_DEP_1)
	v_and_b32_e32 v23, 0x80000000, v23
	v_or3_b32 v68, v24, v23, v22
	s_delay_alu instid0(VALU_DEP_1)
	v_mov_b64_e32 v[22:23], v[68:69]
.LBB203_312:                            ;   in Loop: Header=BB203_15 Depth=1
	s_or_b32 exec_lo, exec_lo, s43
.LBB203_313:                            ;   in Loop: Header=BB203_15 Depth=1
	s_delay_alu instid0(SALU_CYCLE_1)
	s_or_b32 exec_lo, exec_lo, s42
.LBB203_314:                            ;   in Loop: Header=BB203_15 Depth=1
	s_delay_alu instid0(SALU_CYCLE_1) | instskip(SKIP_2) | instid1(VALU_DEP_1)
	s_or_b32 exec_lo, exec_lo, s41
	v_lshrrev_b16 v24, 8, v28
	s_mov_b32 s41, exec_lo
	v_cmpx_ne_u16_e32 0, v24
	s_cbranch_execz .LBB203_322
; %bb.315:                              ;   in Loop: Header=BB203_15 Depth=1
	v_mov_b64_e32 v[20:21], 0x8000000000000000
	s_mov_b32 s42, exec_lo
	v_cmpx_ne_u16_e32 0x80, v24
	s_cbranch_execz .LBB203_321
; %bb.316:                              ;   in Loop: Header=BB203_15 Depth=1
	v_and_b32_e32 v25, 0xffff, v24
	v_mov_b64_e32 v[20:21], 0x7f80000100000000
	s_mov_b32 s43, exec_lo
	s_delay_alu instid0(VALU_DEP_2) | instskip(NEXT) | instid1(VALU_DEP_1)
	v_and_b32_e32 v24, 0x7f, v25
	v_cmpx_ne_u32_e32 0x7f, v24
	s_cbranch_execz .LBB203_320
; %bb.317:                              ;   in Loop: Header=BB203_15 Depth=1
	v_dual_lshrrev_b32 v20, 3, v24 :: v_dual_bitop2_b32 v68, 7, v25 bitop3:0x40
	s_mov_b32 s44, exec_lo
	v_cmpx_gt_u32_e32 8, v24
; %bb.318:                              ;   in Loop: Header=BB203_15 Depth=1
	s_delay_alu instid0(VALU_DEP_2) | instskip(NEXT) | instid1(VALU_DEP_1)
	v_clz_i32_u32_e32 v20, v68
	v_min_u32_e32 v20, 32, v20
	s_delay_alu instid0(VALU_DEP_1) | instskip(SKIP_1) | instid1(VALU_DEP_2)
	v_subrev_nc_u32_e32 v21, 28, v20
	v_sub_nc_u32_e32 v20, 29, v20
	v_lshlrev_b64_e32 v[24:25], v21, v[68:69]
	s_delay_alu instid0(VALU_DEP_1)
	v_and_b32_e32 v68, 7, v24
; %bb.319:                              ;   in Loop: Header=BB203_15 Depth=1
	s_or_b32 exec_lo, exec_lo, s44
	v_lshlrev_b32_e32 v21, 16, v28
	s_delay_alu instid0(VALU_DEP_2) | instskip(SKIP_1) | instid1(VALU_DEP_3)
	v_lshlrev_b32_e32 v24, 20, v68
	v_lshl_add_u32 v20, v20, 23, 0x3c000000
	v_and_b32_e32 v21, 0x80000000, v21
	s_delay_alu instid0(VALU_DEP_1)
	v_or3_b32 v21, v24, v21, v20
	v_mov_b32_e32 v20, v69
.LBB203_320:                            ;   in Loop: Header=BB203_15 Depth=1
	s_or_b32 exec_lo, exec_lo, s43
.LBB203_321:                            ;   in Loop: Header=BB203_15 Depth=1
	s_delay_alu instid0(SALU_CYCLE_1)
	s_or_b32 exec_lo, exec_lo, s42
.LBB203_322:                            ;   in Loop: Header=BB203_15 Depth=1
	s_delay_alu instid0(SALU_CYCLE_1) | instskip(SKIP_4) | instid1(VALU_DEP_3)
	s_or_b32 exec_lo, exec_lo, s41
	v_lshrrev_b32_e32 v29, 16, v28
	v_mov_b64_e32 v[24:25], 0
	v_mov_b64_e32 v[26:27], 0
	s_mov_b32 s41, exec_lo
	v_and_b32_e32 v30, 0xff, v29
	s_delay_alu instid0(VALU_DEP_1)
	v_cmpx_ne_u16_e32 0, v30
	s_cbranch_execz .LBB203_330
; %bb.323:                              ;   in Loop: Header=BB203_15 Depth=1
	v_mov_b64_e32 v[26:27], 0x80000000
	s_mov_b32 s42, exec_lo
	v_cmpx_ne_u16_e32 0x80, v30
	s_cbranch_execz .LBB203_329
; %bb.324:                              ;   in Loop: Header=BB203_15 Depth=1
	v_mov_b64_e32 v[26:27], 0x7f800001
	v_bfe_u32 v30, v28, 16, 7
	s_mov_b32 s43, exec_lo
	s_delay_alu instid0(VALU_DEP_1)
	v_cmpx_ne_u32_e32 0x7f, v30
	s_cbranch_execz .LBB203_328
; %bb.325:                              ;   in Loop: Header=BB203_15 Depth=1
	v_dual_lshrrev_b32 v26, 3, v30 :: v_dual_bitop2_b32 v68, 7, v29 bitop3:0x40
	s_mov_b32 s44, exec_lo
	v_cmpx_gt_u32_e32 8, v30
; %bb.326:                              ;   in Loop: Header=BB203_15 Depth=1
	s_delay_alu instid0(VALU_DEP_2) | instskip(NEXT) | instid1(VALU_DEP_1)
	v_clz_i32_u32_e32 v26, v68
	v_min_u32_e32 v26, 32, v26
	s_delay_alu instid0(VALU_DEP_1) | instskip(SKIP_1) | instid1(VALU_DEP_2)
	v_subrev_nc_u32_e32 v27, 28, v26
	v_sub_nc_u32_e32 v26, 29, v26
	v_lshlrev_b64_e32 v[30:31], v27, v[68:69]
	s_delay_alu instid0(VALU_DEP_1)
	v_and_b32_e32 v68, 7, v30
; %bb.327:                              ;   in Loop: Header=BB203_15 Depth=1
	s_or_b32 exec_lo, exec_lo, s44
	s_delay_alu instid0(VALU_DEP_1) | instskip(SKIP_1) | instid1(VALU_DEP_2)
	v_dual_lshlrev_b32 v27, 24, v29 :: v_dual_lshlrev_b32 v29, 20, v68
	v_lshl_add_u32 v26, v26, 23, 0x3c000000
	v_and_b32_e32 v27, 0x80000000, v27
	s_delay_alu instid0(VALU_DEP_1) | instskip(NEXT) | instid1(VALU_DEP_1)
	v_or3_b32 v68, v29, v27, v26
	v_mov_b64_e32 v[26:27], v[68:69]
.LBB203_328:                            ;   in Loop: Header=BB203_15 Depth=1
	s_or_b32 exec_lo, exec_lo, s43
.LBB203_329:                            ;   in Loop: Header=BB203_15 Depth=1
	s_delay_alu instid0(SALU_CYCLE_1)
	s_or_b32 exec_lo, exec_lo, s42
.LBB203_330:                            ;   in Loop: Header=BB203_15 Depth=1
	s_delay_alu instid0(SALU_CYCLE_1) | instskip(NEXT) | instid1(SALU_CYCLE_1)
	s_or_b32 exec_lo, exec_lo, s41
	s_mov_b32 s41, exec_lo
	v_cmpx_lt_u32_e32 0xffffff, v28
	s_cbranch_execz .LBB203_338
; %bb.331:                              ;   in Loop: Header=BB203_15 Depth=1
	v_mov_b64_e32 v[24:25], 0x8000000000000000
	v_lshrrev_b32_e32 v29, 24, v28
	s_mov_b32 s42, exec_lo
	s_delay_alu instid0(VALU_DEP_1)
	v_cmpx_ne_u32_e32 0x80, v29
	s_cbranch_execz .LBB203_337
; %bb.332:                              ;   in Loop: Header=BB203_15 Depth=1
	v_mov_b64_e32 v[24:25], 0x7f80000100000000
	v_bfe_u32 v28, v28, 24, 7
	s_mov_b32 s43, exec_lo
	s_delay_alu instid0(VALU_DEP_1)
	v_cmpx_ne_u32_e32 0x7f, v28
	s_cbranch_execz .LBB203_336
; %bb.333:                              ;   in Loop: Header=BB203_15 Depth=1
	v_dual_lshrrev_b32 v24, 3, v28 :: v_dual_bitop2_b32 v68, 7, v29 bitop3:0x40
	s_mov_b32 s44, exec_lo
	v_cmpx_gt_u32_e32 8, v28
; %bb.334:                              ;   in Loop: Header=BB203_15 Depth=1
	s_delay_alu instid0(VALU_DEP_2) | instskip(NEXT) | instid1(VALU_DEP_1)
	v_clz_i32_u32_e32 v24, v68
	v_min_u32_e32 v24, 32, v24
	s_delay_alu instid0(VALU_DEP_1) | instskip(NEXT) | instid1(VALU_DEP_1)
	v_subrev_nc_u32_e32 v25, 28, v24
	v_lshlrev_b64_e32 v[30:31], v25, v[68:69]
	s_delay_alu instid0(VALU_DEP_1)
	v_dual_sub_nc_u32 v24, 29, v24 :: v_dual_bitop2_b32 v68, 7, v30 bitop3:0x40
; %bb.335:                              ;   in Loop: Header=BB203_15 Depth=1
	s_or_b32 exec_lo, exec_lo, s44
	s_delay_alu instid0(VALU_DEP_1) | instskip(NEXT) | instid1(VALU_DEP_2)
	v_dual_lshlrev_b32 v25, 24, v29 :: v_dual_lshlrev_b32 v28, 20, v68
	v_lshl_add_u32 v24, v24, 23, 0x3c000000
	s_delay_alu instid0(VALU_DEP_2) | instskip(NEXT) | instid1(VALU_DEP_1)
	v_and_b32_e32 v25, 0x80000000, v25
	v_or3_b32 v25, v28, v25, v24
	v_mov_b32_e32 v24, v69
.LBB203_336:                            ;   in Loop: Header=BB203_15 Depth=1
	s_or_b32 exec_lo, exec_lo, s43
.LBB203_337:                            ;   in Loop: Header=BB203_15 Depth=1
	s_delay_alu instid0(SALU_CYCLE_1)
	s_or_b32 exec_lo, exec_lo, s42
.LBB203_338:                            ;   in Loop: Header=BB203_15 Depth=1
	s_delay_alu instid0(SALU_CYCLE_1)
	s_or_b32 exec_lo, exec_lo, s41
	global_load_b32 v36, v[92:93], off offset:1032
	v_mov_b64_e32 v[28:29], 0
	v_mov_b64_e32 v[30:31], 0
	s_mov_b32 s41, exec_lo
	s_wait_loadcnt 0x0
	v_and_b32_e32 v32, 0xff, v36
	s_wait_xcnt 0x0
	s_delay_alu instid0(VALU_DEP_1)
	v_cmpx_ne_u16_e32 0, v32
	s_cbranch_execz .LBB203_346
; %bb.339:                              ;   in Loop: Header=BB203_15 Depth=1
	v_mov_b64_e32 v[30:31], 0x80000000
	s_mov_b32 s42, exec_lo
	v_cmpx_ne_u16_e32 0x80, v32
	s_cbranch_execz .LBB203_345
; %bb.340:                              ;   in Loop: Header=BB203_15 Depth=1
	v_mov_b64_e32 v[30:31], 0x7f800001
	v_and_b32_e32 v32, 0x7f, v36
	s_mov_b32 s43, exec_lo
	s_delay_alu instid0(VALU_DEP_1)
	v_cmpx_ne_u32_e32 0x7f, v32
	s_cbranch_execz .LBB203_344
; %bb.341:                              ;   in Loop: Header=BB203_15 Depth=1
	v_and_b32_e32 v68, 7, v36
	v_lshrrev_b32_e32 v30, 3, v32
	s_mov_b32 s44, exec_lo
	v_cmpx_gt_u32_e32 8, v32
; %bb.342:                              ;   in Loop: Header=BB203_15 Depth=1
	s_delay_alu instid0(VALU_DEP_3) | instskip(NEXT) | instid1(VALU_DEP_1)
	v_clz_i32_u32_e32 v30, v68
	v_min_u32_e32 v30, 32, v30
	s_delay_alu instid0(VALU_DEP_1) | instskip(NEXT) | instid1(VALU_DEP_1)
	v_subrev_nc_u32_e32 v31, 28, v30
	v_lshlrev_b64_e32 v[32:33], v31, v[68:69]
	s_delay_alu instid0(VALU_DEP_1)
	v_dual_sub_nc_u32 v30, 29, v30 :: v_dual_bitop2_b32 v68, 7, v32 bitop3:0x40
; %bb.343:                              ;   in Loop: Header=BB203_15 Depth=1
	s_or_b32 exec_lo, exec_lo, s44
	v_lshlrev_b32_e32 v31, 24, v36
	s_delay_alu instid0(VALU_DEP_2) | instskip(NEXT) | instid1(VALU_DEP_3)
	v_lshlrev_b32_e32 v32, 20, v68
	v_lshl_add_u32 v30, v30, 23, 0x3c000000
	s_delay_alu instid0(VALU_DEP_3) | instskip(NEXT) | instid1(VALU_DEP_1)
	v_and_b32_e32 v31, 0x80000000, v31
	v_or3_b32 v68, v32, v31, v30
	s_delay_alu instid0(VALU_DEP_1)
	v_mov_b64_e32 v[30:31], v[68:69]
.LBB203_344:                            ;   in Loop: Header=BB203_15 Depth=1
	s_or_b32 exec_lo, exec_lo, s43
.LBB203_345:                            ;   in Loop: Header=BB203_15 Depth=1
	s_delay_alu instid0(SALU_CYCLE_1)
	s_or_b32 exec_lo, exec_lo, s42
.LBB203_346:                            ;   in Loop: Header=BB203_15 Depth=1
	s_delay_alu instid0(SALU_CYCLE_1) | instskip(SKIP_2) | instid1(VALU_DEP_1)
	s_or_b32 exec_lo, exec_lo, s41
	v_lshrrev_b16 v32, 8, v36
	s_mov_b32 s41, exec_lo
	v_cmpx_ne_u16_e32 0, v32
	s_cbranch_execz .LBB203_354
; %bb.347:                              ;   in Loop: Header=BB203_15 Depth=1
	v_mov_b64_e32 v[28:29], 0x8000000000000000
	s_mov_b32 s42, exec_lo
	v_cmpx_ne_u16_e32 0x80, v32
	s_cbranch_execz .LBB203_353
; %bb.348:                              ;   in Loop: Header=BB203_15 Depth=1
	v_and_b32_e32 v33, 0xffff, v32
	v_mov_b64_e32 v[28:29], 0x7f80000100000000
	s_mov_b32 s43, exec_lo
	s_delay_alu instid0(VALU_DEP_2) | instskip(NEXT) | instid1(VALU_DEP_1)
	v_and_b32_e32 v32, 0x7f, v33
	v_cmpx_ne_u32_e32 0x7f, v32
	s_cbranch_execz .LBB203_352
; %bb.349:                              ;   in Loop: Header=BB203_15 Depth=1
	v_dual_lshrrev_b32 v28, 3, v32 :: v_dual_bitop2_b32 v68, 7, v33 bitop3:0x40
	s_mov_b32 s44, exec_lo
	v_cmpx_gt_u32_e32 8, v32
; %bb.350:                              ;   in Loop: Header=BB203_15 Depth=1
	s_delay_alu instid0(VALU_DEP_2) | instskip(NEXT) | instid1(VALU_DEP_1)
	v_clz_i32_u32_e32 v28, v68
	v_min_u32_e32 v28, 32, v28
	s_delay_alu instid0(VALU_DEP_1) | instskip(SKIP_1) | instid1(VALU_DEP_2)
	v_subrev_nc_u32_e32 v29, 28, v28
	v_sub_nc_u32_e32 v28, 29, v28
	v_lshlrev_b64_e32 v[32:33], v29, v[68:69]
	s_delay_alu instid0(VALU_DEP_1)
	v_and_b32_e32 v68, 7, v32
; %bb.351:                              ;   in Loop: Header=BB203_15 Depth=1
	s_or_b32 exec_lo, exec_lo, s44
	v_lshlrev_b32_e32 v29, 16, v36
	s_delay_alu instid0(VALU_DEP_2) | instskip(SKIP_1) | instid1(VALU_DEP_3)
	v_lshlrev_b32_e32 v32, 20, v68
	v_lshl_add_u32 v28, v28, 23, 0x3c000000
	v_and_b32_e32 v29, 0x80000000, v29
	s_delay_alu instid0(VALU_DEP_1)
	v_or3_b32 v29, v32, v29, v28
	v_mov_b32_e32 v28, v69
.LBB203_352:                            ;   in Loop: Header=BB203_15 Depth=1
	s_or_b32 exec_lo, exec_lo, s43
.LBB203_353:                            ;   in Loop: Header=BB203_15 Depth=1
	s_delay_alu instid0(SALU_CYCLE_1)
	s_or_b32 exec_lo, exec_lo, s42
.LBB203_354:                            ;   in Loop: Header=BB203_15 Depth=1
	s_delay_alu instid0(SALU_CYCLE_1) | instskip(SKIP_4) | instid1(VALU_DEP_3)
	s_or_b32 exec_lo, exec_lo, s41
	v_lshrrev_b32_e32 v37, 16, v36
	v_mov_b64_e32 v[32:33], 0
	v_mov_b64_e32 v[34:35], 0
	s_mov_b32 s41, exec_lo
	v_and_b32_e32 v38, 0xff, v37
	s_delay_alu instid0(VALU_DEP_1)
	v_cmpx_ne_u16_e32 0, v38
	s_cbranch_execz .LBB203_362
; %bb.355:                              ;   in Loop: Header=BB203_15 Depth=1
	v_mov_b64_e32 v[34:35], 0x80000000
	s_mov_b32 s42, exec_lo
	v_cmpx_ne_u16_e32 0x80, v38
	s_cbranch_execz .LBB203_361
; %bb.356:                              ;   in Loop: Header=BB203_15 Depth=1
	v_mov_b64_e32 v[34:35], 0x7f800001
	v_bfe_u32 v38, v36, 16, 7
	s_mov_b32 s43, exec_lo
	s_delay_alu instid0(VALU_DEP_1)
	v_cmpx_ne_u32_e32 0x7f, v38
	s_cbranch_execz .LBB203_360
; %bb.357:                              ;   in Loop: Header=BB203_15 Depth=1
	v_dual_lshrrev_b32 v34, 3, v38 :: v_dual_bitop2_b32 v68, 7, v37 bitop3:0x40
	s_mov_b32 s44, exec_lo
	v_cmpx_gt_u32_e32 8, v38
; %bb.358:                              ;   in Loop: Header=BB203_15 Depth=1
	s_delay_alu instid0(VALU_DEP_2) | instskip(NEXT) | instid1(VALU_DEP_1)
	v_clz_i32_u32_e32 v34, v68
	v_min_u32_e32 v34, 32, v34
	s_delay_alu instid0(VALU_DEP_1) | instskip(SKIP_1) | instid1(VALU_DEP_2)
	v_subrev_nc_u32_e32 v35, 28, v34
	v_sub_nc_u32_e32 v34, 29, v34
	v_lshlrev_b64_e32 v[38:39], v35, v[68:69]
	s_delay_alu instid0(VALU_DEP_1)
	v_and_b32_e32 v68, 7, v38
; %bb.359:                              ;   in Loop: Header=BB203_15 Depth=1
	s_or_b32 exec_lo, exec_lo, s44
	s_delay_alu instid0(VALU_DEP_1) | instskip(SKIP_1) | instid1(VALU_DEP_2)
	v_dual_lshlrev_b32 v35, 24, v37 :: v_dual_lshlrev_b32 v37, 20, v68
	v_lshl_add_u32 v34, v34, 23, 0x3c000000
	v_and_b32_e32 v35, 0x80000000, v35
	s_delay_alu instid0(VALU_DEP_1) | instskip(NEXT) | instid1(VALU_DEP_1)
	v_or3_b32 v68, v37, v35, v34
	v_mov_b64_e32 v[34:35], v[68:69]
.LBB203_360:                            ;   in Loop: Header=BB203_15 Depth=1
	s_or_b32 exec_lo, exec_lo, s43
.LBB203_361:                            ;   in Loop: Header=BB203_15 Depth=1
	s_delay_alu instid0(SALU_CYCLE_1)
	s_or_b32 exec_lo, exec_lo, s42
.LBB203_362:                            ;   in Loop: Header=BB203_15 Depth=1
	s_delay_alu instid0(SALU_CYCLE_1) | instskip(NEXT) | instid1(SALU_CYCLE_1)
	s_or_b32 exec_lo, exec_lo, s41
	s_mov_b32 s41, exec_lo
	v_cmpx_lt_u32_e32 0xffffff, v36
	s_cbranch_execz .LBB203_370
; %bb.363:                              ;   in Loop: Header=BB203_15 Depth=1
	v_mov_b64_e32 v[32:33], 0x8000000000000000
	v_lshrrev_b32_e32 v37, 24, v36
	s_mov_b32 s42, exec_lo
	s_delay_alu instid0(VALU_DEP_1)
	v_cmpx_ne_u32_e32 0x80, v37
	s_cbranch_execz .LBB203_369
; %bb.364:                              ;   in Loop: Header=BB203_15 Depth=1
	v_mov_b64_e32 v[32:33], 0x7f80000100000000
	v_bfe_u32 v36, v36, 24, 7
	s_mov_b32 s43, exec_lo
	s_delay_alu instid0(VALU_DEP_1)
	v_cmpx_ne_u32_e32 0x7f, v36
	s_cbranch_execz .LBB203_368
; %bb.365:                              ;   in Loop: Header=BB203_15 Depth=1
	v_dual_lshrrev_b32 v32, 3, v36 :: v_dual_bitop2_b32 v68, 7, v37 bitop3:0x40
	s_mov_b32 s44, exec_lo
	v_cmpx_gt_u32_e32 8, v36
; %bb.366:                              ;   in Loop: Header=BB203_15 Depth=1
	s_delay_alu instid0(VALU_DEP_2) | instskip(NEXT) | instid1(VALU_DEP_1)
	v_clz_i32_u32_e32 v32, v68
	v_min_u32_e32 v32, 32, v32
	s_delay_alu instid0(VALU_DEP_1) | instskip(NEXT) | instid1(VALU_DEP_1)
	v_subrev_nc_u32_e32 v33, 28, v32
	v_lshlrev_b64_e32 v[38:39], v33, v[68:69]
	s_delay_alu instid0(VALU_DEP_1)
	v_dual_sub_nc_u32 v32, 29, v32 :: v_dual_bitop2_b32 v68, 7, v38 bitop3:0x40
; %bb.367:                              ;   in Loop: Header=BB203_15 Depth=1
	s_or_b32 exec_lo, exec_lo, s44
	s_delay_alu instid0(VALU_DEP_1) | instskip(NEXT) | instid1(VALU_DEP_2)
	v_dual_lshlrev_b32 v33, 24, v37 :: v_dual_lshlrev_b32 v36, 20, v68
	v_lshl_add_u32 v32, v32, 23, 0x3c000000
	s_delay_alu instid0(VALU_DEP_2) | instskip(NEXT) | instid1(VALU_DEP_1)
	v_and_b32_e32 v33, 0x80000000, v33
	v_or3_b32 v33, v36, v33, v32
	v_mov_b32_e32 v32, v69
.LBB203_368:                            ;   in Loop: Header=BB203_15 Depth=1
	s_or_b32 exec_lo, exec_lo, s43
.LBB203_369:                            ;   in Loop: Header=BB203_15 Depth=1
	s_delay_alu instid0(SALU_CYCLE_1)
	s_or_b32 exec_lo, exec_lo, s42
.LBB203_370:                            ;   in Loop: Header=BB203_15 Depth=1
	s_delay_alu instid0(SALU_CYCLE_1)
	s_or_b32 exec_lo, exec_lo, s41
	global_load_b32 v44, v[92:93], off offset:1036
	v_mov_b64_e32 v[36:37], 0
	v_mov_b64_e32 v[38:39], 0
	s_mov_b32 s41, exec_lo
	s_wait_loadcnt 0x0
	v_and_b32_e32 v40, 0xff, v44
	s_wait_xcnt 0x0
	s_delay_alu instid0(VALU_DEP_1)
	v_cmpx_ne_u16_e32 0, v40
	s_cbranch_execz .LBB203_378
; %bb.371:                              ;   in Loop: Header=BB203_15 Depth=1
	v_mov_b64_e32 v[38:39], 0x80000000
	s_mov_b32 s42, exec_lo
	v_cmpx_ne_u16_e32 0x80, v40
	s_cbranch_execz .LBB203_377
; %bb.372:                              ;   in Loop: Header=BB203_15 Depth=1
	v_mov_b64_e32 v[38:39], 0x7f800001
	v_and_b32_e32 v40, 0x7f, v44
	s_mov_b32 s43, exec_lo
	s_delay_alu instid0(VALU_DEP_1)
	v_cmpx_ne_u32_e32 0x7f, v40
	s_cbranch_execz .LBB203_376
; %bb.373:                              ;   in Loop: Header=BB203_15 Depth=1
	v_and_b32_e32 v68, 7, v44
	v_lshrrev_b32_e32 v38, 3, v40
	s_mov_b32 s44, exec_lo
	v_cmpx_gt_u32_e32 8, v40
; %bb.374:                              ;   in Loop: Header=BB203_15 Depth=1
	s_delay_alu instid0(VALU_DEP_3) | instskip(NEXT) | instid1(VALU_DEP_1)
	v_clz_i32_u32_e32 v38, v68
	v_min_u32_e32 v38, 32, v38
	s_delay_alu instid0(VALU_DEP_1) | instskip(NEXT) | instid1(VALU_DEP_1)
	v_subrev_nc_u32_e32 v39, 28, v38
	v_lshlrev_b64_e32 v[40:41], v39, v[68:69]
	s_delay_alu instid0(VALU_DEP_1)
	v_dual_sub_nc_u32 v38, 29, v38 :: v_dual_bitop2_b32 v68, 7, v40 bitop3:0x40
; %bb.375:                              ;   in Loop: Header=BB203_15 Depth=1
	s_or_b32 exec_lo, exec_lo, s44
	v_lshlrev_b32_e32 v39, 24, v44
	s_delay_alu instid0(VALU_DEP_2) | instskip(NEXT) | instid1(VALU_DEP_3)
	v_lshlrev_b32_e32 v40, 20, v68
	v_lshl_add_u32 v38, v38, 23, 0x3c000000
	s_delay_alu instid0(VALU_DEP_3) | instskip(NEXT) | instid1(VALU_DEP_1)
	v_and_b32_e32 v39, 0x80000000, v39
	v_or3_b32 v68, v40, v39, v38
	s_delay_alu instid0(VALU_DEP_1)
	v_mov_b64_e32 v[38:39], v[68:69]
.LBB203_376:                            ;   in Loop: Header=BB203_15 Depth=1
	s_or_b32 exec_lo, exec_lo, s43
.LBB203_377:                            ;   in Loop: Header=BB203_15 Depth=1
	s_delay_alu instid0(SALU_CYCLE_1)
	s_or_b32 exec_lo, exec_lo, s42
.LBB203_378:                            ;   in Loop: Header=BB203_15 Depth=1
	s_delay_alu instid0(SALU_CYCLE_1) | instskip(SKIP_2) | instid1(VALU_DEP_1)
	s_or_b32 exec_lo, exec_lo, s41
	v_lshrrev_b16 v40, 8, v44
	s_mov_b32 s41, exec_lo
	v_cmpx_ne_u16_e32 0, v40
	s_cbranch_execz .LBB203_386
; %bb.379:                              ;   in Loop: Header=BB203_15 Depth=1
	v_mov_b64_e32 v[36:37], 0x8000000000000000
	s_mov_b32 s42, exec_lo
	v_cmpx_ne_u16_e32 0x80, v40
	s_cbranch_execz .LBB203_385
; %bb.380:                              ;   in Loop: Header=BB203_15 Depth=1
	v_and_b32_e32 v41, 0xffff, v40
	v_mov_b64_e32 v[36:37], 0x7f80000100000000
	s_mov_b32 s43, exec_lo
	s_delay_alu instid0(VALU_DEP_2) | instskip(NEXT) | instid1(VALU_DEP_1)
	v_and_b32_e32 v40, 0x7f, v41
	v_cmpx_ne_u32_e32 0x7f, v40
	s_cbranch_execz .LBB203_384
; %bb.381:                              ;   in Loop: Header=BB203_15 Depth=1
	v_dual_lshrrev_b32 v36, 3, v40 :: v_dual_bitop2_b32 v68, 7, v41 bitop3:0x40
	s_mov_b32 s44, exec_lo
	v_cmpx_gt_u32_e32 8, v40
; %bb.382:                              ;   in Loop: Header=BB203_15 Depth=1
	s_delay_alu instid0(VALU_DEP_2) | instskip(NEXT) | instid1(VALU_DEP_1)
	v_clz_i32_u32_e32 v36, v68
	v_min_u32_e32 v36, 32, v36
	s_delay_alu instid0(VALU_DEP_1) | instskip(SKIP_1) | instid1(VALU_DEP_2)
	v_subrev_nc_u32_e32 v37, 28, v36
	v_sub_nc_u32_e32 v36, 29, v36
	v_lshlrev_b64_e32 v[40:41], v37, v[68:69]
	s_delay_alu instid0(VALU_DEP_1)
	v_and_b32_e32 v68, 7, v40
; %bb.383:                              ;   in Loop: Header=BB203_15 Depth=1
	s_or_b32 exec_lo, exec_lo, s44
	v_lshlrev_b32_e32 v37, 16, v44
	s_delay_alu instid0(VALU_DEP_2) | instskip(SKIP_1) | instid1(VALU_DEP_3)
	v_lshlrev_b32_e32 v40, 20, v68
	v_lshl_add_u32 v36, v36, 23, 0x3c000000
	v_and_b32_e32 v37, 0x80000000, v37
	s_delay_alu instid0(VALU_DEP_1)
	v_or3_b32 v37, v40, v37, v36
	v_mov_b32_e32 v36, v69
.LBB203_384:                            ;   in Loop: Header=BB203_15 Depth=1
	s_or_b32 exec_lo, exec_lo, s43
.LBB203_385:                            ;   in Loop: Header=BB203_15 Depth=1
	s_delay_alu instid0(SALU_CYCLE_1)
	s_or_b32 exec_lo, exec_lo, s42
.LBB203_386:                            ;   in Loop: Header=BB203_15 Depth=1
	s_delay_alu instid0(SALU_CYCLE_1) | instskip(SKIP_4) | instid1(VALU_DEP_3)
	s_or_b32 exec_lo, exec_lo, s41
	v_lshrrev_b32_e32 v45, 16, v44
	v_mov_b64_e32 v[40:41], 0
	v_mov_b64_e32 v[42:43], 0
	s_mov_b32 s41, exec_lo
	v_and_b32_e32 v46, 0xff, v45
	s_delay_alu instid0(VALU_DEP_1)
	v_cmpx_ne_u16_e32 0, v46
	s_cbranch_execz .LBB203_394
; %bb.387:                              ;   in Loop: Header=BB203_15 Depth=1
	v_mov_b64_e32 v[42:43], 0x80000000
	s_mov_b32 s42, exec_lo
	v_cmpx_ne_u16_e32 0x80, v46
	s_cbranch_execz .LBB203_393
; %bb.388:                              ;   in Loop: Header=BB203_15 Depth=1
	v_mov_b64_e32 v[42:43], 0x7f800001
	v_bfe_u32 v46, v44, 16, 7
	s_mov_b32 s43, exec_lo
	s_delay_alu instid0(VALU_DEP_1)
	v_cmpx_ne_u32_e32 0x7f, v46
	s_cbranch_execz .LBB203_392
; %bb.389:                              ;   in Loop: Header=BB203_15 Depth=1
	v_dual_lshrrev_b32 v42, 3, v46 :: v_dual_bitop2_b32 v68, 7, v45 bitop3:0x40
	s_mov_b32 s44, exec_lo
	v_cmpx_gt_u32_e32 8, v46
; %bb.390:                              ;   in Loop: Header=BB203_15 Depth=1
	s_delay_alu instid0(VALU_DEP_2) | instskip(NEXT) | instid1(VALU_DEP_1)
	v_clz_i32_u32_e32 v42, v68
	v_min_u32_e32 v42, 32, v42
	s_delay_alu instid0(VALU_DEP_1) | instskip(SKIP_1) | instid1(VALU_DEP_2)
	v_subrev_nc_u32_e32 v43, 28, v42
	v_sub_nc_u32_e32 v42, 29, v42
	v_lshlrev_b64_e32 v[46:47], v43, v[68:69]
	s_delay_alu instid0(VALU_DEP_1)
	v_and_b32_e32 v68, 7, v46
; %bb.391:                              ;   in Loop: Header=BB203_15 Depth=1
	s_or_b32 exec_lo, exec_lo, s44
	s_delay_alu instid0(VALU_DEP_1) | instskip(SKIP_1) | instid1(VALU_DEP_2)
	v_dual_lshlrev_b32 v43, 24, v45 :: v_dual_lshlrev_b32 v45, 20, v68
	v_lshl_add_u32 v42, v42, 23, 0x3c000000
	v_and_b32_e32 v43, 0x80000000, v43
	s_delay_alu instid0(VALU_DEP_1) | instskip(NEXT) | instid1(VALU_DEP_1)
	v_or3_b32 v68, v45, v43, v42
	v_mov_b64_e32 v[42:43], v[68:69]
.LBB203_392:                            ;   in Loop: Header=BB203_15 Depth=1
	s_or_b32 exec_lo, exec_lo, s43
.LBB203_393:                            ;   in Loop: Header=BB203_15 Depth=1
	s_delay_alu instid0(SALU_CYCLE_1)
	s_or_b32 exec_lo, exec_lo, s42
.LBB203_394:                            ;   in Loop: Header=BB203_15 Depth=1
	s_delay_alu instid0(SALU_CYCLE_1) | instskip(NEXT) | instid1(SALU_CYCLE_1)
	s_or_b32 exec_lo, exec_lo, s41
	s_mov_b32 s41, exec_lo
	v_cmpx_lt_u32_e32 0xffffff, v44
	s_cbranch_execz .LBB203_402
; %bb.395:                              ;   in Loop: Header=BB203_15 Depth=1
	v_mov_b64_e32 v[40:41], 0x8000000000000000
	v_lshrrev_b32_e32 v45, 24, v44
	s_mov_b32 s42, exec_lo
	s_delay_alu instid0(VALU_DEP_1)
	v_cmpx_ne_u32_e32 0x80, v45
	s_cbranch_execz .LBB203_401
; %bb.396:                              ;   in Loop: Header=BB203_15 Depth=1
	v_mov_b64_e32 v[40:41], 0x7f80000100000000
	v_bfe_u32 v44, v44, 24, 7
	s_mov_b32 s43, exec_lo
	s_delay_alu instid0(VALU_DEP_1)
	v_cmpx_ne_u32_e32 0x7f, v44
	s_cbranch_execz .LBB203_400
; %bb.397:                              ;   in Loop: Header=BB203_15 Depth=1
	v_dual_lshrrev_b32 v40, 3, v44 :: v_dual_bitop2_b32 v68, 7, v45 bitop3:0x40
	s_mov_b32 s44, exec_lo
	v_cmpx_gt_u32_e32 8, v44
; %bb.398:                              ;   in Loop: Header=BB203_15 Depth=1
	s_delay_alu instid0(VALU_DEP_2) | instskip(NEXT) | instid1(VALU_DEP_1)
	v_clz_i32_u32_e32 v40, v68
	v_min_u32_e32 v40, 32, v40
	s_delay_alu instid0(VALU_DEP_1) | instskip(NEXT) | instid1(VALU_DEP_1)
	v_subrev_nc_u32_e32 v41, 28, v40
	v_lshlrev_b64_e32 v[46:47], v41, v[68:69]
	s_delay_alu instid0(VALU_DEP_1)
	v_dual_sub_nc_u32 v40, 29, v40 :: v_dual_bitop2_b32 v68, 7, v46 bitop3:0x40
; %bb.399:                              ;   in Loop: Header=BB203_15 Depth=1
	s_or_b32 exec_lo, exec_lo, s44
	s_delay_alu instid0(VALU_DEP_1) | instskip(NEXT) | instid1(VALU_DEP_2)
	v_dual_lshlrev_b32 v41, 24, v45 :: v_dual_lshlrev_b32 v44, 20, v68
	v_lshl_add_u32 v40, v40, 23, 0x3c000000
	s_delay_alu instid0(VALU_DEP_2) | instskip(NEXT) | instid1(VALU_DEP_1)
	v_and_b32_e32 v41, 0x80000000, v41
	v_or3_b32 v41, v44, v41, v40
	v_mov_b32_e32 v40, v69
.LBB203_400:                            ;   in Loop: Header=BB203_15 Depth=1
	s_or_b32 exec_lo, exec_lo, s43
.LBB203_401:                            ;   in Loop: Header=BB203_15 Depth=1
	s_delay_alu instid0(SALU_CYCLE_1)
	s_or_b32 exec_lo, exec_lo, s42
.LBB203_402:                            ;   in Loop: Header=BB203_15 Depth=1
	s_delay_alu instid0(SALU_CYCLE_1)
	s_or_b32 exec_lo, exec_lo, s41
	global_load_b32 v52, v[92:93], off offset:1536
	v_mov_b64_e32 v[44:45], 0
	v_mov_b64_e32 v[46:47], 0
	s_mov_b32 s41, exec_lo
	s_wait_loadcnt 0x0
	v_and_b32_e32 v48, 0xff, v52
	s_wait_xcnt 0x0
	s_delay_alu instid0(VALU_DEP_1)
	v_cmpx_ne_u16_e32 0, v48
	s_cbranch_execz .LBB203_410
; %bb.403:                              ;   in Loop: Header=BB203_15 Depth=1
	v_mov_b64_e32 v[46:47], 0x80000000
	s_mov_b32 s42, exec_lo
	v_cmpx_ne_u16_e32 0x80, v48
	s_cbranch_execz .LBB203_409
; %bb.404:                              ;   in Loop: Header=BB203_15 Depth=1
	v_mov_b64_e32 v[46:47], 0x7f800001
	v_and_b32_e32 v48, 0x7f, v52
	s_mov_b32 s43, exec_lo
	s_delay_alu instid0(VALU_DEP_1)
	v_cmpx_ne_u32_e32 0x7f, v48
	s_cbranch_execz .LBB203_408
; %bb.405:                              ;   in Loop: Header=BB203_15 Depth=1
	v_and_b32_e32 v68, 7, v52
	v_lshrrev_b32_e32 v46, 3, v48
	s_mov_b32 s44, exec_lo
	v_cmpx_gt_u32_e32 8, v48
; %bb.406:                              ;   in Loop: Header=BB203_15 Depth=1
	s_delay_alu instid0(VALU_DEP_3) | instskip(NEXT) | instid1(VALU_DEP_1)
	v_clz_i32_u32_e32 v46, v68
	v_min_u32_e32 v46, 32, v46
	s_delay_alu instid0(VALU_DEP_1) | instskip(NEXT) | instid1(VALU_DEP_1)
	v_subrev_nc_u32_e32 v47, 28, v46
	v_lshlrev_b64_e32 v[48:49], v47, v[68:69]
	s_delay_alu instid0(VALU_DEP_1)
	v_dual_sub_nc_u32 v46, 29, v46 :: v_dual_bitop2_b32 v68, 7, v48 bitop3:0x40
; %bb.407:                              ;   in Loop: Header=BB203_15 Depth=1
	s_or_b32 exec_lo, exec_lo, s44
	v_lshlrev_b32_e32 v47, 24, v52
	s_delay_alu instid0(VALU_DEP_2) | instskip(NEXT) | instid1(VALU_DEP_3)
	v_lshlrev_b32_e32 v48, 20, v68
	v_lshl_add_u32 v46, v46, 23, 0x3c000000
	s_delay_alu instid0(VALU_DEP_3) | instskip(NEXT) | instid1(VALU_DEP_1)
	v_and_b32_e32 v47, 0x80000000, v47
	v_or3_b32 v68, v48, v47, v46
	s_delay_alu instid0(VALU_DEP_1)
	v_mov_b64_e32 v[46:47], v[68:69]
.LBB203_408:                            ;   in Loop: Header=BB203_15 Depth=1
	s_or_b32 exec_lo, exec_lo, s43
.LBB203_409:                            ;   in Loop: Header=BB203_15 Depth=1
	s_delay_alu instid0(SALU_CYCLE_1)
	s_or_b32 exec_lo, exec_lo, s42
.LBB203_410:                            ;   in Loop: Header=BB203_15 Depth=1
	s_delay_alu instid0(SALU_CYCLE_1) | instskip(SKIP_2) | instid1(VALU_DEP_1)
	s_or_b32 exec_lo, exec_lo, s41
	v_lshrrev_b16 v48, 8, v52
	s_mov_b32 s41, exec_lo
	v_cmpx_ne_u16_e32 0, v48
	s_cbranch_execz .LBB203_418
; %bb.411:                              ;   in Loop: Header=BB203_15 Depth=1
	v_mov_b64_e32 v[44:45], 0x8000000000000000
	s_mov_b32 s42, exec_lo
	v_cmpx_ne_u16_e32 0x80, v48
	s_cbranch_execz .LBB203_417
; %bb.412:                              ;   in Loop: Header=BB203_15 Depth=1
	v_and_b32_e32 v49, 0xffff, v48
	v_mov_b64_e32 v[44:45], 0x7f80000100000000
	s_mov_b32 s43, exec_lo
	s_delay_alu instid0(VALU_DEP_2) | instskip(NEXT) | instid1(VALU_DEP_1)
	v_and_b32_e32 v48, 0x7f, v49
	v_cmpx_ne_u32_e32 0x7f, v48
	s_cbranch_execz .LBB203_416
; %bb.413:                              ;   in Loop: Header=BB203_15 Depth=1
	v_dual_lshrrev_b32 v44, 3, v48 :: v_dual_bitop2_b32 v68, 7, v49 bitop3:0x40
	s_mov_b32 s44, exec_lo
	v_cmpx_gt_u32_e32 8, v48
; %bb.414:                              ;   in Loop: Header=BB203_15 Depth=1
	s_delay_alu instid0(VALU_DEP_2) | instskip(NEXT) | instid1(VALU_DEP_1)
	v_clz_i32_u32_e32 v44, v68
	v_min_u32_e32 v44, 32, v44
	s_delay_alu instid0(VALU_DEP_1) | instskip(SKIP_1) | instid1(VALU_DEP_2)
	v_subrev_nc_u32_e32 v45, 28, v44
	v_sub_nc_u32_e32 v44, 29, v44
	v_lshlrev_b64_e32 v[48:49], v45, v[68:69]
	s_delay_alu instid0(VALU_DEP_1)
	v_and_b32_e32 v68, 7, v48
; %bb.415:                              ;   in Loop: Header=BB203_15 Depth=1
	s_or_b32 exec_lo, exec_lo, s44
	v_lshlrev_b32_e32 v45, 16, v52
	s_delay_alu instid0(VALU_DEP_2) | instskip(SKIP_1) | instid1(VALU_DEP_3)
	v_lshlrev_b32_e32 v48, 20, v68
	v_lshl_add_u32 v44, v44, 23, 0x3c000000
	v_and_b32_e32 v45, 0x80000000, v45
	s_delay_alu instid0(VALU_DEP_1)
	v_or3_b32 v45, v48, v45, v44
	v_mov_b32_e32 v44, v69
.LBB203_416:                            ;   in Loop: Header=BB203_15 Depth=1
	s_or_b32 exec_lo, exec_lo, s43
.LBB203_417:                            ;   in Loop: Header=BB203_15 Depth=1
	s_delay_alu instid0(SALU_CYCLE_1)
	s_or_b32 exec_lo, exec_lo, s42
.LBB203_418:                            ;   in Loop: Header=BB203_15 Depth=1
	s_delay_alu instid0(SALU_CYCLE_1) | instskip(SKIP_4) | instid1(VALU_DEP_3)
	s_or_b32 exec_lo, exec_lo, s41
	v_lshrrev_b32_e32 v53, 16, v52
	v_mov_b64_e32 v[48:49], 0
	v_mov_b64_e32 v[50:51], 0
	s_mov_b32 s41, exec_lo
	v_and_b32_e32 v54, 0xff, v53
	s_delay_alu instid0(VALU_DEP_1)
	v_cmpx_ne_u16_e32 0, v54
	s_cbranch_execz .LBB203_426
; %bb.419:                              ;   in Loop: Header=BB203_15 Depth=1
	v_mov_b64_e32 v[50:51], 0x80000000
	s_mov_b32 s42, exec_lo
	v_cmpx_ne_u16_e32 0x80, v54
	s_cbranch_execz .LBB203_425
; %bb.420:                              ;   in Loop: Header=BB203_15 Depth=1
	v_mov_b64_e32 v[50:51], 0x7f800001
	v_bfe_u32 v54, v52, 16, 7
	s_mov_b32 s43, exec_lo
	s_delay_alu instid0(VALU_DEP_1)
	v_cmpx_ne_u32_e32 0x7f, v54
	s_cbranch_execz .LBB203_424
; %bb.421:                              ;   in Loop: Header=BB203_15 Depth=1
	v_dual_lshrrev_b32 v50, 3, v54 :: v_dual_bitop2_b32 v68, 7, v53 bitop3:0x40
	s_mov_b32 s44, exec_lo
	v_cmpx_gt_u32_e32 8, v54
; %bb.422:                              ;   in Loop: Header=BB203_15 Depth=1
	s_delay_alu instid0(VALU_DEP_2) | instskip(NEXT) | instid1(VALU_DEP_1)
	v_clz_i32_u32_e32 v50, v68
	v_min_u32_e32 v50, 32, v50
	s_delay_alu instid0(VALU_DEP_1) | instskip(SKIP_1) | instid1(VALU_DEP_2)
	v_subrev_nc_u32_e32 v51, 28, v50
	v_sub_nc_u32_e32 v50, 29, v50
	v_lshlrev_b64_e32 v[54:55], v51, v[68:69]
	s_delay_alu instid0(VALU_DEP_1)
	v_and_b32_e32 v68, 7, v54
; %bb.423:                              ;   in Loop: Header=BB203_15 Depth=1
	s_or_b32 exec_lo, exec_lo, s44
	s_delay_alu instid0(VALU_DEP_1) | instskip(SKIP_1) | instid1(VALU_DEP_2)
	v_dual_lshlrev_b32 v51, 24, v53 :: v_dual_lshlrev_b32 v53, 20, v68
	v_lshl_add_u32 v50, v50, 23, 0x3c000000
	v_and_b32_e32 v51, 0x80000000, v51
	s_delay_alu instid0(VALU_DEP_1) | instskip(NEXT) | instid1(VALU_DEP_1)
	v_or3_b32 v68, v53, v51, v50
	v_mov_b64_e32 v[50:51], v[68:69]
.LBB203_424:                            ;   in Loop: Header=BB203_15 Depth=1
	s_or_b32 exec_lo, exec_lo, s43
.LBB203_425:                            ;   in Loop: Header=BB203_15 Depth=1
	s_delay_alu instid0(SALU_CYCLE_1)
	s_or_b32 exec_lo, exec_lo, s42
.LBB203_426:                            ;   in Loop: Header=BB203_15 Depth=1
	s_delay_alu instid0(SALU_CYCLE_1) | instskip(NEXT) | instid1(SALU_CYCLE_1)
	s_or_b32 exec_lo, exec_lo, s41
	s_mov_b32 s41, exec_lo
	v_cmpx_lt_u32_e32 0xffffff, v52
	s_cbranch_execz .LBB203_434
; %bb.427:                              ;   in Loop: Header=BB203_15 Depth=1
	v_mov_b64_e32 v[48:49], 0x8000000000000000
	v_lshrrev_b32_e32 v53, 24, v52
	s_mov_b32 s42, exec_lo
	s_delay_alu instid0(VALU_DEP_1)
	v_cmpx_ne_u32_e32 0x80, v53
	s_cbranch_execz .LBB203_433
; %bb.428:                              ;   in Loop: Header=BB203_15 Depth=1
	v_mov_b64_e32 v[48:49], 0x7f80000100000000
	v_bfe_u32 v52, v52, 24, 7
	s_mov_b32 s43, exec_lo
	s_delay_alu instid0(VALU_DEP_1)
	v_cmpx_ne_u32_e32 0x7f, v52
	s_cbranch_execz .LBB203_432
; %bb.429:                              ;   in Loop: Header=BB203_15 Depth=1
	v_dual_lshrrev_b32 v48, 3, v52 :: v_dual_bitop2_b32 v68, 7, v53 bitop3:0x40
	s_mov_b32 s44, exec_lo
	v_cmpx_gt_u32_e32 8, v52
; %bb.430:                              ;   in Loop: Header=BB203_15 Depth=1
	s_delay_alu instid0(VALU_DEP_2) | instskip(NEXT) | instid1(VALU_DEP_1)
	v_clz_i32_u32_e32 v48, v68
	v_min_u32_e32 v48, 32, v48
	s_delay_alu instid0(VALU_DEP_1) | instskip(NEXT) | instid1(VALU_DEP_1)
	v_subrev_nc_u32_e32 v49, 28, v48
	v_lshlrev_b64_e32 v[54:55], v49, v[68:69]
	s_delay_alu instid0(VALU_DEP_1)
	v_dual_sub_nc_u32 v48, 29, v48 :: v_dual_bitop2_b32 v68, 7, v54 bitop3:0x40
; %bb.431:                              ;   in Loop: Header=BB203_15 Depth=1
	s_or_b32 exec_lo, exec_lo, s44
	s_delay_alu instid0(VALU_DEP_1) | instskip(NEXT) | instid1(VALU_DEP_2)
	v_dual_lshlrev_b32 v49, 24, v53 :: v_dual_lshlrev_b32 v52, 20, v68
	v_lshl_add_u32 v48, v48, 23, 0x3c000000
	s_delay_alu instid0(VALU_DEP_2) | instskip(NEXT) | instid1(VALU_DEP_1)
	v_and_b32_e32 v49, 0x80000000, v49
	v_or3_b32 v49, v52, v49, v48
	v_mov_b32_e32 v48, v69
.LBB203_432:                            ;   in Loop: Header=BB203_15 Depth=1
	s_or_b32 exec_lo, exec_lo, s43
.LBB203_433:                            ;   in Loop: Header=BB203_15 Depth=1
	s_delay_alu instid0(SALU_CYCLE_1)
	s_or_b32 exec_lo, exec_lo, s42
.LBB203_434:                            ;   in Loop: Header=BB203_15 Depth=1
	s_delay_alu instid0(SALU_CYCLE_1)
	s_or_b32 exec_lo, exec_lo, s41
	global_load_b32 v60, v[92:93], off offset:1540
	v_mov_b64_e32 v[52:53], 0
	v_mov_b64_e32 v[54:55], 0
	s_mov_b32 s41, exec_lo
	s_wait_loadcnt 0x0
	v_and_b32_e32 v56, 0xff, v60
	s_wait_xcnt 0x0
	s_delay_alu instid0(VALU_DEP_1)
	v_cmpx_ne_u16_e32 0, v56
	s_cbranch_execz .LBB203_442
; %bb.435:                              ;   in Loop: Header=BB203_15 Depth=1
	v_mov_b64_e32 v[54:55], 0x80000000
	s_mov_b32 s42, exec_lo
	v_cmpx_ne_u16_e32 0x80, v56
	s_cbranch_execz .LBB203_441
; %bb.436:                              ;   in Loop: Header=BB203_15 Depth=1
	v_mov_b64_e32 v[54:55], 0x7f800001
	v_and_b32_e32 v56, 0x7f, v60
	s_mov_b32 s43, exec_lo
	s_delay_alu instid0(VALU_DEP_1)
	v_cmpx_ne_u32_e32 0x7f, v56
	s_cbranch_execz .LBB203_440
; %bb.437:                              ;   in Loop: Header=BB203_15 Depth=1
	v_and_b32_e32 v68, 7, v60
	v_lshrrev_b32_e32 v54, 3, v56
	s_mov_b32 s44, exec_lo
	v_cmpx_gt_u32_e32 8, v56
; %bb.438:                              ;   in Loop: Header=BB203_15 Depth=1
	s_delay_alu instid0(VALU_DEP_3) | instskip(NEXT) | instid1(VALU_DEP_1)
	v_clz_i32_u32_e32 v54, v68
	v_min_u32_e32 v54, 32, v54
	s_delay_alu instid0(VALU_DEP_1) | instskip(NEXT) | instid1(VALU_DEP_1)
	v_subrev_nc_u32_e32 v55, 28, v54
	v_lshlrev_b64_e32 v[56:57], v55, v[68:69]
	s_delay_alu instid0(VALU_DEP_1)
	v_dual_sub_nc_u32 v54, 29, v54 :: v_dual_bitop2_b32 v68, 7, v56 bitop3:0x40
; %bb.439:                              ;   in Loop: Header=BB203_15 Depth=1
	s_or_b32 exec_lo, exec_lo, s44
	v_lshlrev_b32_e32 v55, 24, v60
	s_delay_alu instid0(VALU_DEP_2) | instskip(NEXT) | instid1(VALU_DEP_3)
	v_lshlrev_b32_e32 v56, 20, v68
	v_lshl_add_u32 v54, v54, 23, 0x3c000000
	s_delay_alu instid0(VALU_DEP_3) | instskip(NEXT) | instid1(VALU_DEP_1)
	v_and_b32_e32 v55, 0x80000000, v55
	v_or3_b32 v68, v56, v55, v54
	s_delay_alu instid0(VALU_DEP_1)
	v_mov_b64_e32 v[54:55], v[68:69]
.LBB203_440:                            ;   in Loop: Header=BB203_15 Depth=1
	s_or_b32 exec_lo, exec_lo, s43
.LBB203_441:                            ;   in Loop: Header=BB203_15 Depth=1
	s_delay_alu instid0(SALU_CYCLE_1)
	s_or_b32 exec_lo, exec_lo, s42
.LBB203_442:                            ;   in Loop: Header=BB203_15 Depth=1
	s_delay_alu instid0(SALU_CYCLE_1) | instskip(SKIP_2) | instid1(VALU_DEP_1)
	s_or_b32 exec_lo, exec_lo, s41
	v_lshrrev_b16 v56, 8, v60
	s_mov_b32 s41, exec_lo
	v_cmpx_ne_u16_e32 0, v56
	s_cbranch_execz .LBB203_450
; %bb.443:                              ;   in Loop: Header=BB203_15 Depth=1
	v_mov_b64_e32 v[52:53], 0x8000000000000000
	s_mov_b32 s42, exec_lo
	v_cmpx_ne_u16_e32 0x80, v56
	s_cbranch_execz .LBB203_449
; %bb.444:                              ;   in Loop: Header=BB203_15 Depth=1
	v_and_b32_e32 v57, 0xffff, v56
	v_mov_b64_e32 v[52:53], 0x7f80000100000000
	s_mov_b32 s43, exec_lo
	s_delay_alu instid0(VALU_DEP_2) | instskip(NEXT) | instid1(VALU_DEP_1)
	v_and_b32_e32 v56, 0x7f, v57
	v_cmpx_ne_u32_e32 0x7f, v56
	s_cbranch_execz .LBB203_448
; %bb.445:                              ;   in Loop: Header=BB203_15 Depth=1
	v_dual_lshrrev_b32 v52, 3, v56 :: v_dual_bitop2_b32 v68, 7, v57 bitop3:0x40
	s_mov_b32 s44, exec_lo
	v_cmpx_gt_u32_e32 8, v56
; %bb.446:                              ;   in Loop: Header=BB203_15 Depth=1
	s_delay_alu instid0(VALU_DEP_2) | instskip(NEXT) | instid1(VALU_DEP_1)
	v_clz_i32_u32_e32 v52, v68
	v_min_u32_e32 v52, 32, v52
	s_delay_alu instid0(VALU_DEP_1) | instskip(SKIP_1) | instid1(VALU_DEP_2)
	v_subrev_nc_u32_e32 v53, 28, v52
	v_sub_nc_u32_e32 v52, 29, v52
	v_lshlrev_b64_e32 v[56:57], v53, v[68:69]
	s_delay_alu instid0(VALU_DEP_1)
	v_and_b32_e32 v68, 7, v56
; %bb.447:                              ;   in Loop: Header=BB203_15 Depth=1
	s_or_b32 exec_lo, exec_lo, s44
	v_lshlrev_b32_e32 v53, 16, v60
	s_delay_alu instid0(VALU_DEP_2) | instskip(SKIP_1) | instid1(VALU_DEP_3)
	v_lshlrev_b32_e32 v56, 20, v68
	v_lshl_add_u32 v52, v52, 23, 0x3c000000
	v_and_b32_e32 v53, 0x80000000, v53
	s_delay_alu instid0(VALU_DEP_1)
	v_or3_b32 v53, v56, v53, v52
	v_mov_b32_e32 v52, v69
.LBB203_448:                            ;   in Loop: Header=BB203_15 Depth=1
	s_or_b32 exec_lo, exec_lo, s43
.LBB203_449:                            ;   in Loop: Header=BB203_15 Depth=1
	s_delay_alu instid0(SALU_CYCLE_1)
	s_or_b32 exec_lo, exec_lo, s42
.LBB203_450:                            ;   in Loop: Header=BB203_15 Depth=1
	s_delay_alu instid0(SALU_CYCLE_1) | instskip(SKIP_4) | instid1(VALU_DEP_3)
	s_or_b32 exec_lo, exec_lo, s41
	v_lshrrev_b32_e32 v61, 16, v60
	v_mov_b64_e32 v[56:57], 0
	v_mov_b64_e32 v[58:59], 0
	s_mov_b32 s41, exec_lo
	v_and_b32_e32 v62, 0xff, v61
	s_delay_alu instid0(VALU_DEP_1)
	v_cmpx_ne_u16_e32 0, v62
	s_cbranch_execz .LBB203_458
; %bb.451:                              ;   in Loop: Header=BB203_15 Depth=1
	v_mov_b64_e32 v[58:59], 0x80000000
	s_mov_b32 s42, exec_lo
	v_cmpx_ne_u16_e32 0x80, v62
	s_cbranch_execz .LBB203_457
; %bb.452:                              ;   in Loop: Header=BB203_15 Depth=1
	v_mov_b64_e32 v[58:59], 0x7f800001
	v_bfe_u32 v62, v60, 16, 7
	s_mov_b32 s43, exec_lo
	s_delay_alu instid0(VALU_DEP_1)
	v_cmpx_ne_u32_e32 0x7f, v62
	s_cbranch_execz .LBB203_456
; %bb.453:                              ;   in Loop: Header=BB203_15 Depth=1
	v_dual_lshrrev_b32 v58, 3, v62 :: v_dual_bitop2_b32 v68, 7, v61 bitop3:0x40
	s_mov_b32 s44, exec_lo
	v_cmpx_gt_u32_e32 8, v62
; %bb.454:                              ;   in Loop: Header=BB203_15 Depth=1
	s_delay_alu instid0(VALU_DEP_2) | instskip(NEXT) | instid1(VALU_DEP_1)
	v_clz_i32_u32_e32 v58, v68
	v_min_u32_e32 v58, 32, v58
	s_delay_alu instid0(VALU_DEP_1) | instskip(SKIP_1) | instid1(VALU_DEP_2)
	v_subrev_nc_u32_e32 v59, 28, v58
	v_sub_nc_u32_e32 v58, 29, v58
	v_lshlrev_b64_e32 v[62:63], v59, v[68:69]
	s_delay_alu instid0(VALU_DEP_1)
	v_and_b32_e32 v68, 7, v62
; %bb.455:                              ;   in Loop: Header=BB203_15 Depth=1
	s_or_b32 exec_lo, exec_lo, s44
	s_delay_alu instid0(VALU_DEP_1) | instskip(SKIP_1) | instid1(VALU_DEP_2)
	v_dual_lshlrev_b32 v59, 24, v61 :: v_dual_lshlrev_b32 v61, 20, v68
	v_lshl_add_u32 v58, v58, 23, 0x3c000000
	v_and_b32_e32 v59, 0x80000000, v59
	s_delay_alu instid0(VALU_DEP_1) | instskip(NEXT) | instid1(VALU_DEP_1)
	v_or3_b32 v68, v61, v59, v58
	v_mov_b64_e32 v[58:59], v[68:69]
.LBB203_456:                            ;   in Loop: Header=BB203_15 Depth=1
	s_or_b32 exec_lo, exec_lo, s43
.LBB203_457:                            ;   in Loop: Header=BB203_15 Depth=1
	s_delay_alu instid0(SALU_CYCLE_1)
	s_or_b32 exec_lo, exec_lo, s42
.LBB203_458:                            ;   in Loop: Header=BB203_15 Depth=1
	s_delay_alu instid0(SALU_CYCLE_1) | instskip(NEXT) | instid1(SALU_CYCLE_1)
	s_or_b32 exec_lo, exec_lo, s41
	s_mov_b32 s41, exec_lo
	v_cmpx_lt_u32_e32 0xffffff, v60
	s_cbranch_execz .LBB203_466
; %bb.459:                              ;   in Loop: Header=BB203_15 Depth=1
	v_mov_b64_e32 v[56:57], 0x8000000000000000
	v_lshrrev_b32_e32 v61, 24, v60
	s_mov_b32 s42, exec_lo
	s_delay_alu instid0(VALU_DEP_1)
	v_cmpx_ne_u32_e32 0x80, v61
	s_cbranch_execz .LBB203_465
; %bb.460:                              ;   in Loop: Header=BB203_15 Depth=1
	v_mov_b64_e32 v[56:57], 0x7f80000100000000
	v_bfe_u32 v60, v60, 24, 7
	s_mov_b32 s43, exec_lo
	s_delay_alu instid0(VALU_DEP_1)
	v_cmpx_ne_u32_e32 0x7f, v60
	s_cbranch_execz .LBB203_464
; %bb.461:                              ;   in Loop: Header=BB203_15 Depth=1
	v_dual_lshrrev_b32 v56, 3, v60 :: v_dual_bitop2_b32 v68, 7, v61 bitop3:0x40
	s_mov_b32 s44, exec_lo
	v_cmpx_gt_u32_e32 8, v60
; %bb.462:                              ;   in Loop: Header=BB203_15 Depth=1
	s_delay_alu instid0(VALU_DEP_2) | instskip(NEXT) | instid1(VALU_DEP_1)
	v_clz_i32_u32_e32 v56, v68
	v_min_u32_e32 v56, 32, v56
	s_delay_alu instid0(VALU_DEP_1) | instskip(NEXT) | instid1(VALU_DEP_1)
	v_subrev_nc_u32_e32 v57, 28, v56
	v_lshlrev_b64_e32 v[62:63], v57, v[68:69]
	s_delay_alu instid0(VALU_DEP_1)
	v_dual_sub_nc_u32 v56, 29, v56 :: v_dual_bitop2_b32 v68, 7, v62 bitop3:0x40
; %bb.463:                              ;   in Loop: Header=BB203_15 Depth=1
	s_or_b32 exec_lo, exec_lo, s44
	s_delay_alu instid0(VALU_DEP_1) | instskip(NEXT) | instid1(VALU_DEP_2)
	v_dual_lshlrev_b32 v57, 24, v61 :: v_dual_lshlrev_b32 v60, 20, v68
	v_lshl_add_u32 v56, v56, 23, 0x3c000000
	s_delay_alu instid0(VALU_DEP_2) | instskip(NEXT) | instid1(VALU_DEP_1)
	v_and_b32_e32 v57, 0x80000000, v57
	v_or3_b32 v57, v60, v57, v56
	v_mov_b32_e32 v56, v69
.LBB203_464:                            ;   in Loop: Header=BB203_15 Depth=1
	s_or_b32 exec_lo, exec_lo, s43
.LBB203_465:                            ;   in Loop: Header=BB203_15 Depth=1
	s_delay_alu instid0(SALU_CYCLE_1)
	s_or_b32 exec_lo, exec_lo, s42
.LBB203_466:                            ;   in Loop: Header=BB203_15 Depth=1
	s_delay_alu instid0(SALU_CYCLE_1)
	s_or_b32 exec_lo, exec_lo, s41
	global_load_b32 v64, v[92:93], off offset:1544
	v_mov_b64_e32 v[60:61], 0
	v_mov_b64_e32 v[62:63], 0
	s_mov_b32 s41, exec_lo
	s_wait_loadcnt 0x0
	v_and_b32_e32 v65, 0xff, v64
	s_wait_xcnt 0x0
	s_delay_alu instid0(VALU_DEP_1)
	v_cmpx_ne_u16_e32 0, v65
	s_cbranch_execz .LBB203_474
; %bb.467:                              ;   in Loop: Header=BB203_15 Depth=1
	v_mov_b64_e32 v[62:63], 0x80000000
	s_mov_b32 s42, exec_lo
	v_cmpx_ne_u16_e32 0x80, v65
	s_cbranch_execz .LBB203_473
; %bb.468:                              ;   in Loop: Header=BB203_15 Depth=1
	v_mov_b64_e32 v[62:63], 0x7f800001
	v_and_b32_e32 v65, 0x7f, v64
	s_mov_b32 s43, exec_lo
	s_delay_alu instid0(VALU_DEP_1)
	v_cmpx_ne_u32_e32 0x7f, v65
	s_cbranch_execz .LBB203_472
; %bb.469:                              ;   in Loop: Header=BB203_15 Depth=1
	v_dual_lshrrev_b32 v62, 3, v65 :: v_dual_bitop2_b32 v68, 7, v64 bitop3:0x40
	s_mov_b32 s44, exec_lo
	v_cmpx_gt_u32_e32 8, v65
; %bb.470:                              ;   in Loop: Header=BB203_15 Depth=1
	s_delay_alu instid0(VALU_DEP_2) | instskip(NEXT) | instid1(VALU_DEP_1)
	v_clz_i32_u32_e32 v62, v68
	v_min_u32_e32 v62, 32, v62
	s_delay_alu instid0(VALU_DEP_1) | instskip(NEXT) | instid1(VALU_DEP_1)
	v_subrev_nc_u32_e32 v63, 28, v62
	v_lshlrev_b64_e32 v[76:77], v63, v[68:69]
	s_delay_alu instid0(VALU_DEP_1)
	v_dual_sub_nc_u32 v62, 29, v62 :: v_dual_bitop2_b32 v68, 7, v76 bitop3:0x40
; %bb.471:                              ;   in Loop: Header=BB203_15 Depth=1
	s_or_b32 exec_lo, exec_lo, s44
	v_lshlrev_b32_e32 v63, 24, v64
	s_delay_alu instid0(VALU_DEP_2) | instskip(NEXT) | instid1(VALU_DEP_3)
	v_lshlrev_b32_e32 v65, 20, v68
	v_lshl_add_u32 v62, v62, 23, 0x3c000000
	s_delay_alu instid0(VALU_DEP_3) | instskip(NEXT) | instid1(VALU_DEP_1)
	v_and_b32_e32 v63, 0x80000000, v63
	v_or3_b32 v68, v65, v63, v62
	s_delay_alu instid0(VALU_DEP_1)
	v_mov_b64_e32 v[62:63], v[68:69]
.LBB203_472:                            ;   in Loop: Header=BB203_15 Depth=1
	s_or_b32 exec_lo, exec_lo, s43
.LBB203_473:                            ;   in Loop: Header=BB203_15 Depth=1
	s_delay_alu instid0(SALU_CYCLE_1)
	s_or_b32 exec_lo, exec_lo, s42
.LBB203_474:                            ;   in Loop: Header=BB203_15 Depth=1
	s_delay_alu instid0(SALU_CYCLE_1) | instskip(SKIP_2) | instid1(VALU_DEP_1)
	s_or_b32 exec_lo, exec_lo, s41
	v_lshrrev_b16 v65, 8, v64
	s_mov_b32 s41, exec_lo
	v_cmpx_ne_u16_e32 0, v65
	s_cbranch_execz .LBB203_482
; %bb.475:                              ;   in Loop: Header=BB203_15 Depth=1
	v_mov_b64_e32 v[60:61], 0x8000000000000000
	s_mov_b32 s42, exec_lo
	v_cmpx_ne_u16_e32 0x80, v65
	s_cbranch_execz .LBB203_481
; %bb.476:                              ;   in Loop: Header=BB203_15 Depth=1
	v_and_b32_e32 v68, 0xffff, v65
	v_mov_b64_e32 v[60:61], 0x7f80000100000000
	s_mov_b32 s43, exec_lo
	s_delay_alu instid0(VALU_DEP_2) | instskip(NEXT) | instid1(VALU_DEP_1)
	v_and_b32_e32 v65, 0x7f, v68
	v_cmpx_ne_u32_e32 0x7f, v65
	s_cbranch_execz .LBB203_480
; %bb.477:                              ;   in Loop: Header=BB203_15 Depth=1
	v_dual_lshrrev_b32 v60, 3, v65 :: v_dual_bitop2_b32 v68, 7, v68 bitop3:0x40
	s_mov_b32 s44, exec_lo
	v_cmpx_gt_u32_e32 8, v65
; %bb.478:                              ;   in Loop: Header=BB203_15 Depth=1
	s_delay_alu instid0(VALU_DEP_2) | instskip(NEXT) | instid1(VALU_DEP_1)
	v_clz_i32_u32_e32 v60, v68
	v_min_u32_e32 v60, 32, v60
	s_delay_alu instid0(VALU_DEP_1) | instskip(SKIP_1) | instid1(VALU_DEP_2)
	v_subrev_nc_u32_e32 v61, 28, v60
	v_sub_nc_u32_e32 v60, 29, v60
	v_lshlrev_b64_e32 v[76:77], v61, v[68:69]
	s_delay_alu instid0(VALU_DEP_1)
	v_and_b32_e32 v68, 7, v76
; %bb.479:                              ;   in Loop: Header=BB203_15 Depth=1
	s_or_b32 exec_lo, exec_lo, s44
	v_lshlrev_b32_e32 v61, 16, v64
	s_delay_alu instid0(VALU_DEP_2) | instskip(SKIP_1) | instid1(VALU_DEP_3)
	v_lshlrev_b32_e32 v65, 20, v68
	v_lshl_add_u32 v60, v60, 23, 0x3c000000
	v_and_b32_e32 v61, 0x80000000, v61
	s_delay_alu instid0(VALU_DEP_1)
	v_or3_b32 v61, v65, v61, v60
	v_mov_b32_e32 v60, v69
.LBB203_480:                            ;   in Loop: Header=BB203_15 Depth=1
	s_or_b32 exec_lo, exec_lo, s43
.LBB203_481:                            ;   in Loop: Header=BB203_15 Depth=1
	s_delay_alu instid0(SALU_CYCLE_1)
	s_or_b32 exec_lo, exec_lo, s42
.LBB203_482:                            ;   in Loop: Header=BB203_15 Depth=1
	s_delay_alu instid0(SALU_CYCLE_1) | instskip(SKIP_4) | instid1(VALU_DEP_3)
	s_or_b32 exec_lo, exec_lo, s41
	v_lshrrev_b32_e32 v65, 16, v64
	v_mov_b64_e32 v[78:79], 0
	v_mov_b64_e32 v[82:83], 0
	s_mov_b32 s41, exec_lo
	v_and_b32_e32 v68, 0xff, v65
	s_delay_alu instid0(VALU_DEP_1)
	v_cmpx_ne_u16_e32 0, v68
	s_cbranch_execz .LBB203_490
; %bb.483:                              ;   in Loop: Header=BB203_15 Depth=1
	v_mov_b64_e32 v[82:83], 0x80000000
	s_mov_b32 s42, exec_lo
	v_cmpx_ne_u16_e32 0x80, v68
	s_cbranch_execz .LBB203_489
; %bb.484:                              ;   in Loop: Header=BB203_15 Depth=1
	v_mov_b64_e32 v[82:83], 0x7f800001
	v_bfe_u32 v76, v64, 16, 7
	s_mov_b32 s43, exec_lo
	s_delay_alu instid0(VALU_DEP_1)
	v_cmpx_ne_u32_e32 0x7f, v76
	s_cbranch_execz .LBB203_488
; %bb.485:                              ;   in Loop: Header=BB203_15 Depth=1
	v_dual_lshrrev_b32 v75, 3, v76 :: v_dual_bitop2_b32 v68, 7, v65 bitop3:0x40
	s_mov_b32 s44, exec_lo
	v_cmpx_gt_u32_e32 8, v76
; %bb.486:                              ;   in Loop: Header=BB203_15 Depth=1
	s_delay_alu instid0(VALU_DEP_2) | instskip(NEXT) | instid1(VALU_DEP_1)
	v_clz_i32_u32_e32 v75, v68
	v_min_u32_e32 v75, 32, v75
	s_delay_alu instid0(VALU_DEP_1) | instskip(NEXT) | instid1(VALU_DEP_1)
	v_subrev_nc_u32_e32 v76, 28, v75
	v_lshlrev_b64_e32 v[76:77], v76, v[68:69]
	s_delay_alu instid0(VALU_DEP_1)
	v_dual_sub_nc_u32 v75, 29, v75 :: v_dual_bitop2_b32 v68, 7, v76 bitop3:0x40
; %bb.487:                              ;   in Loop: Header=BB203_15 Depth=1
	s_or_b32 exec_lo, exec_lo, s44
	s_delay_alu instid0(VALU_DEP_1) | instskip(NEXT) | instid1(VALU_DEP_2)
	v_dual_lshlrev_b32 v65, 24, v65 :: v_dual_lshlrev_b32 v68, 20, v68
	v_lshl_add_u32 v75, v75, 23, 0x3c000000
	s_delay_alu instid0(VALU_DEP_2) | instskip(NEXT) | instid1(VALU_DEP_1)
	v_and_b32_e32 v65, 0x80000000, v65
	v_or3_b32 v68, v68, v65, v75
	s_delay_alu instid0(VALU_DEP_1)
	v_mov_b64_e32 v[82:83], v[68:69]
.LBB203_488:                            ;   in Loop: Header=BB203_15 Depth=1
	s_or_b32 exec_lo, exec_lo, s43
.LBB203_489:                            ;   in Loop: Header=BB203_15 Depth=1
	s_delay_alu instid0(SALU_CYCLE_1)
	s_or_b32 exec_lo, exec_lo, s42
.LBB203_490:                            ;   in Loop: Header=BB203_15 Depth=1
	s_delay_alu instid0(SALU_CYCLE_1) | instskip(NEXT) | instid1(SALU_CYCLE_1)
	s_or_b32 exec_lo, exec_lo, s41
	s_mov_b32 s41, exec_lo
	v_cmpx_lt_u32_e32 0xffffff, v64
	s_cbranch_execz .LBB203_498
; %bb.491:                              ;   in Loop: Header=BB203_15 Depth=1
	v_mov_b64_e32 v[78:79], 0x8000000000000000
	v_lshrrev_b32_e32 v65, 24, v64
	s_mov_b32 s42, exec_lo
	s_delay_alu instid0(VALU_DEP_1)
	v_cmpx_ne_u32_e32 0x80, v65
	s_cbranch_execz .LBB203_497
; %bb.492:                              ;   in Loop: Header=BB203_15 Depth=1
	v_mov_b64_e32 v[78:79], 0x7f80000100000000
	v_bfe_u32 v75, v64, 24, 7
	s_mov_b32 s43, exec_lo
	s_delay_alu instid0(VALU_DEP_1)
	v_cmpx_ne_u32_e32 0x7f, v75
	s_cbranch_execz .LBB203_496
; %bb.493:                              ;   in Loop: Header=BB203_15 Depth=1
	v_dual_lshrrev_b32 v64, 3, v75 :: v_dual_bitop2_b32 v68, 7, v65 bitop3:0x40
	s_mov_b32 s44, exec_lo
	v_cmpx_gt_u32_e32 8, v75
; %bb.494:                              ;   in Loop: Header=BB203_15 Depth=1
	s_delay_alu instid0(VALU_DEP_2) | instskip(NEXT) | instid1(VALU_DEP_1)
	v_clz_i32_u32_e32 v64, v68
	v_min_u32_e32 v64, 32, v64
	s_delay_alu instid0(VALU_DEP_1) | instskip(SKIP_1) | instid1(VALU_DEP_2)
	v_subrev_nc_u32_e32 v75, 28, v64
	v_sub_nc_u32_e32 v64, 29, v64
	v_lshlrev_b64_e32 v[76:77], v75, v[68:69]
	s_delay_alu instid0(VALU_DEP_1)
	v_and_b32_e32 v68, 7, v76
; %bb.495:                              ;   in Loop: Header=BB203_15 Depth=1
	s_or_b32 exec_lo, exec_lo, s44
	s_delay_alu instid0(VALU_DEP_1) | instskip(SKIP_2) | instid1(VALU_DEP_3)
	v_dual_lshlrev_b32 v65, 24, v65 :: v_dual_lshlrev_b32 v68, 20, v68
	v_lshl_add_u32 v64, v64, 23, 0x3c000000
	v_mov_b32_e32 v78, v69
	v_and_b32_e32 v65, 0x80000000, v65
	s_delay_alu instid0(VALU_DEP_1)
	v_or3_b32 v79, v68, v65, v64
.LBB203_496:                            ;   in Loop: Header=BB203_15 Depth=1
	s_or_b32 exec_lo, exec_lo, s43
.LBB203_497:                            ;   in Loop: Header=BB203_15 Depth=1
	s_delay_alu instid0(SALU_CYCLE_1)
	s_or_b32 exec_lo, exec_lo, s42
.LBB203_498:                            ;   in Loop: Header=BB203_15 Depth=1
	s_delay_alu instid0(SALU_CYCLE_1)
	s_or_b32 exec_lo, exec_lo, s41
	global_load_b32 v75, v[92:93], off offset:1548
	v_mov_b64_e32 v[64:65], 0
	s_wait_xcnt 0x0
	v_mov_b64_e32 v[92:93], 0
	s_mov_b32 s41, exec_lo
	s_wait_loadcnt 0x0
	v_and_b32_e32 v68, 0xff, v75
	s_delay_alu instid0(VALU_DEP_1)
	v_cmpx_ne_u16_e32 0, v68
	s_cbranch_execz .LBB203_506
; %bb.499:                              ;   in Loop: Header=BB203_15 Depth=1
	v_mov_b64_e32 v[92:93], 0x80000000
	s_mov_b32 s42, exec_lo
	v_cmpx_ne_u16_e32 0x80, v68
	s_cbranch_execz .LBB203_505
; %bb.500:                              ;   in Loop: Header=BB203_15 Depth=1
	v_mov_b64_e32 v[92:93], 0x7f800001
	v_and_b32_e32 v77, 0x7f, v75
	s_mov_b32 s43, exec_lo
	s_delay_alu instid0(VALU_DEP_1)
	v_cmpx_ne_u32_e32 0x7f, v77
	s_cbranch_execz .LBB203_504
; %bb.501:                              ;   in Loop: Header=BB203_15 Depth=1
	v_dual_lshrrev_b32 v76, 3, v77 :: v_dual_bitop2_b32 v68, 7, v75 bitop3:0x40
	s_mov_b32 s44, exec_lo
	v_cmpx_gt_u32_e32 8, v77
; %bb.502:                              ;   in Loop: Header=BB203_15 Depth=1
	s_delay_alu instid0(VALU_DEP_2) | instskip(NEXT) | instid1(VALU_DEP_1)
	v_clz_i32_u32_e32 v76, v68
	v_min_u32_e32 v76, 32, v76
	s_delay_alu instid0(VALU_DEP_1) | instskip(NEXT) | instid1(VALU_DEP_1)
	v_subrev_nc_u32_e32 v77, 28, v76
	v_lshlrev_b64_e32 v[86:87], v77, v[68:69]
	s_delay_alu instid0(VALU_DEP_1)
	v_dual_sub_nc_u32 v76, 29, v76 :: v_dual_bitop2_b32 v68, 7, v86 bitop3:0x40
; %bb.503:                              ;   in Loop: Header=BB203_15 Depth=1
	s_or_b32 exec_lo, exec_lo, s44
	s_delay_alu instid0(VALU_DEP_1) | instskip(NEXT) | instid1(VALU_DEP_2)
	v_dual_lshlrev_b32 v77, 24, v75 :: v_dual_lshlrev_b32 v68, 20, v68
	v_lshl_add_u32 v76, v76, 23, 0x3c000000
	s_delay_alu instid0(VALU_DEP_2) | instskip(NEXT) | instid1(VALU_DEP_1)
	v_and_b32_e32 v77, 0x80000000, v77
	v_or3_b32 v68, v68, v77, v76
	s_delay_alu instid0(VALU_DEP_1)
	v_mov_b64_e32 v[92:93], v[68:69]
.LBB203_504:                            ;   in Loop: Header=BB203_15 Depth=1
	s_or_b32 exec_lo, exec_lo, s43
.LBB203_505:                            ;   in Loop: Header=BB203_15 Depth=1
	s_delay_alu instid0(SALU_CYCLE_1)
	s_or_b32 exec_lo, exec_lo, s42
.LBB203_506:                            ;   in Loop: Header=BB203_15 Depth=1
	s_delay_alu instid0(SALU_CYCLE_1) | instskip(SKIP_2) | instid1(VALU_DEP_1)
	s_or_b32 exec_lo, exec_lo, s41
	v_lshrrev_b16 v68, 8, v75
	s_mov_b32 s41, exec_lo
	v_cmpx_ne_u16_e32 0, v68
	s_cbranch_execz .LBB203_514
; %bb.507:                              ;   in Loop: Header=BB203_15 Depth=1
	v_mov_b64_e32 v[64:65], 0x8000000000000000
	s_mov_b32 s42, exec_lo
	v_cmpx_ne_u16_e32 0x80, v68
	s_cbranch_execz .LBB203_513
; %bb.508:                              ;   in Loop: Header=BB203_15 Depth=1
	v_and_b32_e32 v68, 0xffff, v68
	v_mov_b64_e32 v[64:65], 0x7f80000100000000
	s_mov_b32 s43, exec_lo
	s_delay_alu instid0(VALU_DEP_2) | instskip(NEXT) | instid1(VALU_DEP_1)
	v_and_b32_e32 v76, 0x7f, v68
	v_cmpx_ne_u32_e32 0x7f, v76
	s_cbranch_execz .LBB203_512
; %bb.509:                              ;   in Loop: Header=BB203_15 Depth=1
	v_and_b32_e32 v68, 7, v68
	v_lshrrev_b32_e32 v64, 3, v76
	s_mov_b32 s44, exec_lo
	v_cmpx_gt_u32_e32 8, v76
; %bb.510:                              ;   in Loop: Header=BB203_15 Depth=1
	s_delay_alu instid0(VALU_DEP_3) | instskip(NEXT) | instid1(VALU_DEP_1)
	v_clz_i32_u32_e32 v64, v68
	v_min_u32_e32 v64, 32, v64
	s_delay_alu instid0(VALU_DEP_1) | instskip(SKIP_1) | instid1(VALU_DEP_2)
	v_subrev_nc_u32_e32 v65, 28, v64
	v_sub_nc_u32_e32 v64, 29, v64
	v_lshlrev_b64_e32 v[76:77], v65, v[68:69]
	s_delay_alu instid0(VALU_DEP_1)
	v_and_b32_e32 v68, 7, v76
; %bb.511:                              ;   in Loop: Header=BB203_15 Depth=1
	s_or_b32 exec_lo, exec_lo, s44
	s_delay_alu instid0(VALU_DEP_1) | instskip(SKIP_1) | instid1(VALU_DEP_2)
	v_dual_lshlrev_b32 v65, 16, v75 :: v_dual_lshlrev_b32 v68, 20, v68
	v_lshl_add_u32 v64, v64, 23, 0x3c000000
	v_and_b32_e32 v65, 0x80000000, v65
	s_delay_alu instid0(VALU_DEP_1)
	v_or3_b32 v65, v68, v65, v64
	v_mov_b32_e32 v64, v69
.LBB203_512:                            ;   in Loop: Header=BB203_15 Depth=1
	s_or_b32 exec_lo, exec_lo, s43
.LBB203_513:                            ;   in Loop: Header=BB203_15 Depth=1
	s_delay_alu instid0(SALU_CYCLE_1)
	s_or_b32 exec_lo, exec_lo, s42
.LBB203_514:                            ;   in Loop: Header=BB203_15 Depth=1
	s_delay_alu instid0(SALU_CYCLE_1) | instskip(SKIP_4) | instid1(VALU_DEP_3)
	s_or_b32 exec_lo, exec_lo, s41
	v_lshrrev_b32_e32 v81, 16, v75
	v_mov_b64_e32 v[76:77], 0
	v_mov_b64_e32 v[86:87], 0
	s_mov_b32 s41, exec_lo
	v_and_b32_e32 v68, 0xff, v81
	s_delay_alu instid0(VALU_DEP_1)
	v_cmpx_ne_u16_e32 0, v68
	s_cbranch_execz .LBB203_522
; %bb.515:                              ;   in Loop: Header=BB203_15 Depth=1
	v_mov_b64_e32 v[86:87], 0x80000000
	s_mov_b32 s42, exec_lo
	v_cmpx_ne_u16_e32 0x80, v68
	s_cbranch_execz .LBB203_521
; %bb.516:                              ;   in Loop: Header=BB203_15 Depth=1
	v_mov_b64_e32 v[86:87], 0x7f800001
	v_bfe_u32 v90, v75, 16, 7
	s_mov_b32 s43, exec_lo
	s_delay_alu instid0(VALU_DEP_1)
	v_cmpx_ne_u32_e32 0x7f, v90
	s_cbranch_execz .LBB203_520
; %bb.517:                              ;   in Loop: Header=BB203_15 Depth=1
	v_dual_lshrrev_b32 v86, 3, v90 :: v_dual_bitop2_b32 v68, 7, v81 bitop3:0x40
	s_mov_b32 s44, exec_lo
	v_cmpx_gt_u32_e32 8, v90
	s_cbranch_execz .LBB203_519
; %bb.518:                              ;   in Loop: Header=BB203_15 Depth=1
	s_delay_alu instid0(VALU_DEP_2)
	v_clz_i32_u32_e32 v86, v68
	v_mov_b64_e32 v[88:89], v[96:97]
	v_mov_b64_e32 v[2:3], v[70:71]
	v_mov_b64_e32 v[70:71], v[122:123]
	v_mov_b64_e32 v[122:123], v[118:119]
	v_min_u32_e32 v86, 32, v86
	v_mov_b64_e32 v[118:119], v[124:125]
	v_mov_b64_e32 v[124:125], v[114:115]
	;; [unrolled: 1-line block ×4, first 2 shown]
	v_subrev_nc_u32_e32 v87, 28, v86
	v_mov_b64_e32 v[110:111], v[116:117]
	v_mov_b64_e32 v[116:117], v[106:107]
	;; [unrolled: 1-line block ×7, first 2 shown]
	v_lshlrev_b64_e32 v[84:85], v87, v[68:69]
	v_sub_nc_u32_e32 v86, 29, v86
	s_delay_alu instid0(VALU_DEP_4) | instskip(SKIP_1) | instid1(VALU_DEP_4)
	v_mov_b64_e32 v[98:99], v[108:109]
	v_mov_b64_e32 v[108:109], v[102:103]
	v_and_b32_e32 v68, 7, v84
	v_mov_b64_e32 v[84:85], v[96:97]
	v_mov_b64_e32 v[102:103], v[112:113]
	;; [unrolled: 1-line block ×13, first 2 shown]
.LBB203_519:                            ;   in Loop: Header=BB203_15 Depth=1
	s_or_b32 exec_lo, exec_lo, s44
	v_dual_lshlrev_b32 v81, 24, v81 :: v_dual_lshlrev_b32 v68, 20, v68
	v_lshl_add_u32 v86, v86, 23, 0x3c000000
	s_delay_alu instid0(VALU_DEP_2) | instskip(NEXT) | instid1(VALU_DEP_1)
	v_and_b32_e32 v81, 0x80000000, v81
	v_or3_b32 v68, v68, v81, v86
	s_delay_alu instid0(VALU_DEP_1)
	v_mov_b64_e32 v[86:87], v[68:69]
.LBB203_520:                            ;   in Loop: Header=BB203_15 Depth=1
	s_or_b32 exec_lo, exec_lo, s43
	scratch_load_b32 v90, off, off offset:332 ; 4-byte Folded Reload
.LBB203_521:                            ;   in Loop: Header=BB203_15 Depth=1
	s_wait_xcnt 0x0
	s_or_b32 exec_lo, exec_lo, s42
.LBB203_522:                            ;   in Loop: Header=BB203_15 Depth=1
	s_delay_alu instid0(SALU_CYCLE_1) | instskip(NEXT) | instid1(SALU_CYCLE_1)
	s_or_b32 exec_lo, exec_lo, s41
	s_mov_b32 s41, exec_lo
	v_cmpx_lt_u32_e32 0xffffff, v75
	s_cbranch_execz .LBB203_13
; %bb.523:                              ;   in Loop: Header=BB203_15 Depth=1
	v_mov_b64_e32 v[76:77], 0x8000000000000000
	v_lshrrev_b32_e32 v81, 24, v75
	s_mov_b32 s42, exec_lo
	s_delay_alu instid0(VALU_DEP_1)
	v_cmpx_ne_u32_e32 0x80, v81
	s_cbranch_execz .LBB203_12
; %bb.524:                              ;   in Loop: Header=BB203_15 Depth=1
	v_mov_b64_e32 v[76:77], 0x7f80000100000000
	s_wait_loadcnt 0x0
	v_bfe_u32 v90, v75, 24, 7
	s_mov_b32 s43, exec_lo
	s_delay_alu instid0(VALU_DEP_1)
	v_cmpx_ne_u32_e32 0x7f, v90
	s_cbranch_execz .LBB203_11
; %bb.525:                              ;   in Loop: Header=BB203_15 Depth=1
	v_dual_lshrrev_b32 v75, 3, v90 :: v_dual_bitop2_b32 v68, 7, v81 bitop3:0x40
	s_mov_b32 s44, exec_lo
	v_cmpx_gt_u32_e32 8, v90
	s_cbranch_execz .LBB203_10
; %bb.526:                              ;   in Loop: Header=BB203_15 Depth=1
	s_delay_alu instid0(VALU_DEP_2) | instskip(NEXT) | instid1(VALU_DEP_1)
	v_clz_i32_u32_e32 v75, v68
	v_min_u32_e32 v75, 32, v75
	s_delay_alu instid0(VALU_DEP_1) | instskip(NEXT) | instid1(VALU_DEP_1)
	v_subrev_nc_u32_e32 v76, 28, v75
	v_lshlrev_b64_e32 v[76:77], v76, v[68:69]
	s_delay_alu instid0(VALU_DEP_1)
	v_dual_sub_nc_u32 v75, 29, v75 :: v_dual_bitop2_b32 v68, 7, v76 bitop3:0x40
	s_branch .LBB203_10
.LBB203_527:
	s_or_b32 exec_lo, exec_lo, s15
	s_clause 0x3
	scratch_load_b32 v40, off, off offset:336
	scratch_load_b32 v80, off, off offset:340
	;; [unrolled: 1-line block ×4, first 2 shown]
.LBB203_528:
	s_wait_xcnt 0x0
	s_or_b32 exec_lo, exec_lo, s24
	v_mbcnt_lo_u32_b32 v2, -1, 0
	s_clause 0x1
	s_load_b64 s[8:9], s[0:1], 0x0
	s_load_b64 s[24:25], s[0:1], 0x18
	s_delay_alu instid0(VALU_DEP_1) | instskip(SKIP_1) | instid1(VALU_DEP_2)
	v_dual_max_num_f32 v4, v91, v91 :: v_dual_bitop2_b32 v0, 16, v2 bitop3:0x14
	v_xor_b32_e32 v3, 8, v2
	v_cmp_gt_i32_e32 vcc_lo, 32, v0
	v_cndmask_b32_e32 v0, v2, v0, vcc_lo
	s_delay_alu instid0(VALU_DEP_3) | instskip(NEXT) | instid1(VALU_DEP_2)
	v_cmp_gt_i32_e32 vcc_lo, 32, v3
	v_dual_cndmask_b32 v3, v2, v3 :: v_dual_lshlrev_b32 v0, 2, v0
	ds_bpermute_b32 v1, v0, v91
	s_wait_dscnt 0x0
	v_dual_max_num_f32 v5, v1, v1 :: v_dual_lshlrev_b32 v1, 2, v3
	s_delay_alu instid0(VALU_DEP_1) | instskip(SKIP_4) | instid1(VALU_DEP_1)
	v_dual_max_num_f32 v3, v4, v5 :: v_dual_bitop2_b32 v5, 4, v2 bitop3:0x14
	ds_bpermute_b32 v4, v1, v3
	v_cmp_gt_i32_e32 vcc_lo, 32, v5
	s_wait_dscnt 0x0
	v_dual_cndmask_b32 v5, v2, v5 :: v_dual_max_num_f32 v4, v4, v4
	v_dual_max_num_f32 v3, v3, v4 :: v_dual_lshlrev_b32 v98, 2, v5
	ds_bpermute_b32 v4, v98, v3
	s_wait_dscnt 0x0
	v_dual_max_num_f32 v4, v4, v4 :: v_dual_bitop2_b32 v5, 2, v2 bitop3:0x14
	s_delay_alu instid0(VALU_DEP_1) | instskip(NEXT) | instid1(VALU_DEP_2)
	v_cmp_gt_i32_e32 vcc_lo, 32, v5
	v_dual_max_num_f32 v3, v3, v4 :: v_dual_cndmask_b32 v5, v2, v5, vcc_lo
	s_delay_alu instid0(VALU_DEP_1) | instskip(SKIP_3) | instid1(VALU_DEP_1)
	v_dual_lshlrev_b32 v97, 2, v5 :: v_dual_bitop2_b32 v5, 1, v2 bitop3:0x14
	ds_bpermute_b32 v4, v97, v3
	v_cmp_gt_i32_e32 vcc_lo, 32, v5
	v_cndmask_b32_e32 v2, v2, v5, vcc_lo
	v_lshlrev_b32_e32 v96, 2, v2
	scratch_load_b32 v2, off, off offset:64 ; 4-byte Folded Reload
	s_wait_dscnt 0x0
	v_max_num_f32_e32 v4, v4, v4
	s_delay_alu instid0(VALU_DEP_1)
	v_max_num_f32_e32 v3, v3, v4
	ds_bpermute_b32 v4, v96, v3
	s_wait_loadcnt 0x0
	v_cmp_eq_u32_e32 vcc_lo, 0, v2
	v_lshlrev_b32_e32 v2, 2, v80
	s_wait_xcnt 0x0
	s_and_saveexec_b32 s0, vcc_lo
	s_cbranch_execz .LBB203_530
; %bb.529:
	s_wait_dscnt 0x0
	v_dual_max_num_f32 v4, v4, v4 :: v_dual_max_num_f32 v3, v3, v3
	s_delay_alu instid0(VALU_DEP_1)
	v_max_num_f32_e32 v3, v3, v4
	ds_store_b32 v2, v3 offset:256
.LBB203_530:
	s_or_b32 exec_lo, exec_lo, s0
	scratch_load_b32 v3, off, off offset:64 ; 4-byte Folded Reload
	s_wait_storecnt 0x0
	s_wait_loadcnt_dscnt 0x0
	s_barrier_signal -1
	s_barrier_wait -1
	v_cmp_gt_u32_e64 s0, 4, v3
	v_mov_b32_e32 v3, 0xff7fffff
	s_and_saveexec_b32 s1, s0
; %bb.531:
	ds_load_b32 v3, v8 offset:256
; %bb.532:
	s_or_b32 exec_lo, exec_lo, s1
	s_wait_dscnt 0x0
	ds_bpermute_b32 v4, v97, v3
	v_max_num_f32_e32 v3, v3, v3
	s_lshl_b32 s1, s34, 5
	s_delay_alu instid0(SALU_CYCLE_1) | instskip(NEXT) | instid1(SALU_CYCLE_1)
	s_min_i32 s4, s1, s31
	v_cmp_gt_i32_e64 s1, s4, v40
	s_wait_dscnt 0x0
	v_max_num_f32_e32 v4, v4, v4
	s_delay_alu instid0(VALU_DEP_1) | instskip(SKIP_3) | instid1(VALU_DEP_1)
	v_max_num_f32_e32 v3, v3, v4
	ds_bpermute_b32 v4, v96, v3
	s_wait_dscnt 0x0
	v_max_num_f32_e32 v4, v4, v4
	v_dual_max_num_f32 v4, v3, v4 :: v_dual_mov_b32 v3, 0
	ds_bpermute_b32 v4, v3, v4
	s_and_saveexec_b32 s15, s1
	s_cbranch_execz .LBB203_536
; %bb.533:
	v_lshl_add_u32 v5, v40, 2, 0x120
	v_dual_mov_b32 v3, 0 :: v_dual_mov_b32 v6, v40
	s_mov_b32 s26, 0
.LBB203_534:                            ; =>This Inner Loop Header: Depth=1
	ds_load_b32 v7, v5
	v_add_nc_u32_e32 v6, 0x80, v6
	s_delay_alu instid0(VALU_DEP_1) | instskip(SKIP_3) | instid1(VALU_DEP_1)
	v_cmp_le_i32_e64 s3, s4, v6
	s_or_b32 s26, s3, s26
	s_wait_dscnt 0x0
	v_sub_f32_e32 v7, v7, v4
	v_mul_f32_e32 v7, 0x3fb8aa3b, v7
	s_delay_alu instid0(VALU_DEP_1)
	v_exp_f32_e32 v7, v7
	ds_store_b32 v5, v7
	v_nop
	v_add_f32_e32 v3, v3, v7
	v_add_nc_u32_e32 v5, 0x200, v5
	s_and_not1_b32 exec_lo, exec_lo, s26
	s_cbranch_execnz .LBB203_534
; %bb.535:
	s_or_b32 exec_lo, exec_lo, s26
.LBB203_536:
	s_delay_alu instid0(SALU_CYCLE_1)
	s_or_b32 exec_lo, exec_lo, s15
	ds_bpermute_b32 v0, v0, v3
	s_wait_dscnt 0x0
	v_add_f32_e32 v0, v3, v0
	ds_bpermute_b32 v1, v1, v0
	s_wait_dscnt 0x0
	v_add_f32_e32 v0, v0, v1
	;; [unrolled: 3-line block ×5, first 2 shown]
	s_and_saveexec_b32 s3, vcc_lo
; %bb.537:
	ds_store_b32 v2, v0 offset:272
; %bb.538:
	s_or_b32 exec_lo, exec_lo, s3
	s_wait_dscnt 0x0
	s_barrier_signal -1
	s_barrier_wait -1
	s_and_saveexec_b32 s3, s0
; %bb.539:
	ds_load_b32 v0, v8 offset:272
; %bb.540:
	s_or_b32 exec_lo, exec_lo, s3
	s_wait_dscnt 0x0
	ds_bpermute_b32 v1, v97, v0
	s_wait_dscnt 0x0
	v_dual_mov_b32 v7, 0 :: v_dual_add_f32 v0, v0, v1
	ds_bpermute_b32 v1, v96, v0
	s_wait_dscnt 0x0
	v_add_f32_e32 v0, v0, v1
	ds_bpermute_b32 v0, v7, v0
	s_and_saveexec_b32 s0, s1
	s_cbranch_execz .LBB203_553
; %bb.541:
	s_wait_dscnt 0x0
	v_add_f32_e32 v0, 0x358637bd, v0
	s_mov_b32 s3, -1
	s_mov_b32 s1, exec_lo
	s_delay_alu instid0(VALU_DEP_1) | instskip(NEXT) | instid1(VALU_DEP_1)
	v_div_scale_f32 v1, null, v0, v0, 1.0
	v_rcp_f32_e32 v3, v1
	v_nop
	s_delay_alu instid0(TRANS32_DEP_1) | instskip(NEXT) | instid1(VALU_DEP_1)
	v_fma_f32 v2, -v1, v3, 1.0
	v_fmac_f32_e32 v3, v2, v3
	v_div_scale_f32 v4, vcc_lo, 1.0, v0, 1.0
	s_delay_alu instid0(VALU_DEP_1) | instskip(NEXT) | instid1(VALU_DEP_1)
	v_mul_f32_e32 v5, v4, v3
	v_fma_f32 v2, -v1, v5, v4
	s_delay_alu instid0(VALU_DEP_1) | instskip(SKIP_1) | instid1(VALU_DEP_2)
	v_fmac_f32_e32 v5, v2, v3
	v_xad_u32 v2, v40, -1, s4
	v_fma_f32 v1, -v1, v5, v4
	s_delay_alu instid0(VALU_DEP_1) | instskip(NEXT) | instid1(VALU_DEP_1)
	v_div_fmas_f32 v1, v1, v3, v5
	v_div_fixup_f32 v0, v1, v0, 1.0
	v_mov_b32_e32 v1, v40
	v_cmpx_lt_u32_e32 0x7f, v2
	s_cbranch_execz .LBB203_550
; %bb.542:
	s_delay_alu instid0(VALU_DEP_3) | instskip(NEXT) | instid1(VALU_DEP_1)
	v_dual_mov_b32 v1, v0 :: v_dual_lshrrev_b32 v2, 7, v2
	v_dual_mov_b32 v6, 0 :: v_dual_add_nc_u32 v3, -1, v2
	s_delay_alu instid0(VALU_DEP_1) | instskip(SKIP_1) | instid1(VALU_DEP_2)
	v_lshrrev_b32_e32 v4, 1, v3
	v_cmp_lt_u32_e32 vcc_lo, 13, v3
	v_add_nc_u32_e32 v3, 1, v4
	s_and_saveexec_b32 s3, vcc_lo
	s_cbranch_execz .LBB203_546
; %bb.543:
	s_delay_alu instid0(VALU_DEP_1)
	v_and_b32_e32 v4, -8, v3
	v_lshl_add_u32 v5, v40, 2, 0x120
	s_mov_b32 s15, 0
	s_mov_b32 s26, 0
.LBB203_544:                            ; =>This Inner Loop Header: Depth=1
	ds_load_2addr_stride64_b32 v[8:9], v5 offset1:2
	ds_load_2addr_stride64_b32 v[10:11], v5 offset0:4 offset1:6
	ds_load_2addr_stride64_b32 v[12:13], v5 offset0:8 offset1:10
	;; [unrolled: 1-line block ×7, first 2 shown]
	s_add_co_i32 s26, s26, 16
	s_delay_alu instid0(SALU_CYCLE_1) | instskip(NEXT) | instid1(VALU_DEP_1)
	v_dual_add_nc_u32 v4, -8, v4 :: v_dual_mov_b32 v6, s26
	v_cmp_eq_u32_e32 vcc_lo, 0, v4
	s_or_b32 s15, vcc_lo, s15
	s_wait_dscnt 0x7
	v_pk_mul_f32 v[8:9], v[0:1], v[8:9]
	s_wait_dscnt 0x6
	v_pk_mul_f32 v[10:11], v[0:1], v[10:11]
	;; [unrolled: 2-line block ×8, first 2 shown]
	ds_store_2addr_stride64_b32 v5, v8, v9 offset1:2
	ds_store_2addr_stride64_b32 v5, v10, v11 offset0:4 offset1:6
	ds_store_2addr_stride64_b32 v5, v12, v13 offset0:8 offset1:10
	;; [unrolled: 1-line block ×7, first 2 shown]
	v_add_nc_u32_e32 v5, 0x2000, v5
	s_and_not1_b32 exec_lo, exec_lo, s15
	s_cbranch_execnz .LBB203_544
; %bb.545:
	s_or_b32 exec_lo, exec_lo, s15
.LBB203_546:
	s_delay_alu instid0(SALU_CYCLE_1) | instskip(NEXT) | instid1(VALU_DEP_1)
	s_or_b32 exec_lo, exec_lo, s3
	v_and_b32_e32 v3, 7, v3
	s_mov_b32 s15, 0
	s_mov_b32 s3, exec_lo
	s_delay_alu instid0(VALU_DEP_1)
	v_cmpx_ne_u32_e32 0, v3
	s_cbranch_execz .LBB203_549
; %bb.547:
	v_dual_lshlrev_b32 v4, 9, v6 :: v_dual_lshlrev_b32 v5, 2, v40
	s_delay_alu instid0(VALU_DEP_1)
	v_add3_u32 v4, v4, v5, 0x120
.LBB203_548:                            ; =>This Inner Loop Header: Depth=1
	ds_load_2addr_stride64_b32 v[8:9], v4 offset1:2
	v_add_nc_u32_e32 v3, -1, v3
	s_delay_alu instid0(VALU_DEP_1)
	v_cmp_eq_u32_e32 vcc_lo, 0, v3
	s_or_b32 s15, vcc_lo, s15
	s_wait_dscnt 0x0
	v_pk_mul_f32 v[8:9], v[0:1], v[8:9]
	ds_store_2addr_stride64_b32 v4, v8, v9 offset1:2
	v_add_nc_u32_e32 v4, 0x400, v4
	s_and_not1_b32 exec_lo, exec_lo, s15
	s_cbranch_execnz .LBB203_548
.LBB203_549:
	s_or_b32 exec_lo, exec_lo, s3
	v_add_nc_u32_e32 v1, 1, v2
	s_delay_alu instid0(VALU_DEP_1) | instskip(NEXT) | instid1(VALU_DEP_1)
	v_and_b32_e32 v2, 0x3fffffe, v1
	v_cmp_ne_u32_e32 vcc_lo, v1, v2
	v_lshl_add_u32 v1, v2, 7, v40
	s_or_not1_b32 s3, vcc_lo, exec_lo
.LBB203_550:
	s_or_b32 exec_lo, exec_lo, s1
	s_delay_alu instid0(SALU_CYCLE_1)
	s_and_b32 exec_lo, exec_lo, s3
	s_cbranch_execz .LBB203_553
; %bb.551:
	v_lshl_add_u32 v2, v1, 2, 0x120
	s_mov_b32 s1, 0
.LBB203_552:                            ; =>This Inner Loop Header: Depth=1
	ds_load_b32 v3, v2
	v_add_nc_u32_e32 v1, 0x80, v1
	s_delay_alu instid0(VALU_DEP_1)
	v_cmp_le_i32_e32 vcc_lo, s4, v1
	s_or_b32 s1, vcc_lo, s1
	s_wait_dscnt 0x0
	v_mul_f32_e32 v3, v0, v3
	ds_store_b32 v2, v3
	v_add_nc_u32_e32 v2, 0x200, v2
	s_and_not1_b32 exec_lo, exec_lo, s1
	s_cbranch_execnz .LBB203_552
.LBB203_553:
	s_or_b32 exec_lo, exec_lo, s0
	v_dual_mov_b32 v6, 0 :: v_dual_bitop2_b32 v99, 7, v40 bitop3:0x40
	v_dual_mov_b32 v9, 0 :: v_dual_mov_b32 v8, 0
	v_dual_mov_b32 v11, 0 :: v_dual_mov_b32 v10, 0
	;; [unrolled: 1-line block ×7, first 2 shown]
	s_wait_dscnt 0x0
	s_barrier_signal -1
	s_barrier_wait -1
	s_and_saveexec_b32 s1, s2
	s_cbranch_execz .LBB203_1103
; %bb.554:
	s_abs_i32 s6, s6
	v_dual_mov_b32 v108, v40 :: v_dual_lshlrev_b32 v0, 2, v40
	s_cvt_f32_u32 s0, s6
	v_dual_mov_b32 v23, 0 :: v_dual_lshlrev_b32 v2, 4, v99
	s_ashr_i32 s15, s14, 31
	s_delay_alu instid0(SALU_CYCLE_1)
	v_rcp_iflag_f32_e32 v1, s0
	v_and_b32_e32 v22, 0x7c, v0
	s_wait_kmcnt 0x0
	s_add_nc_u64 s[14:15], s[24:25], s[14:15]
	s_sub_co_i32 s26, s35, s5
	s_lshl_b64 s[4:5], s[22:23], 2
	s_sub_co_i32 s2, 0, s6
	v_add_nc_u64_e32 v[24:25], s[14:15], v[22:23]
	v_readfirstlane_b32 s0, v1
	v_and_b32_e32 v22, 0x7c, v26
	v_lshl_or_b32 v1, v80, 7, v2
	s_add_nc_u64 s[4:5], s[20:21], s[4:5]
	v_dual_mov_b32 v100, v80 :: v_dual_mov_b32 v12, 0
	s_mul_f32 s0, s0, 0x4f7ffffe
	v_add_nc_u64_e32 v[26:27], s[4:5], v[22:23]
	v_dual_mov_b32 v109, v80 :: v_dual_bitop2_b32 v101, 28, v0 bitop3:0x40
	s_delay_alu instid0(SALU_CYCLE_1) | instskip(SKIP_2) | instid1(SALU_CYCLE_1)
	s_cvt_u32_f32 s0, s0
	v_dual_mov_b32 v13, 0 :: v_dual_add_nc_u32 v102, 0x120, v1
	v_dual_mov_b32 v20, 0 :: v_dual_mov_b32 v21, 0
	s_mul_i32 s2, s2, s0
	v_dual_mov_b32 v18, 0 :: v_dual_mov_b32 v19, 0
	v_dual_mov_b32 v16, 0 :: v_dual_mov_b32 v17, 0
	;; [unrolled: 1-line block ×6, first 2 shown]
	s_mov_b32 s3, 0
	s_mul_hi_u32 s2, s0, s2
	s_add_co_i32 s27, s34, -1
	s_mov_b32 s14, s31
	s_add_co_i32 s2, s0, s2
	s_mov_b32 s15, s3
	s_branch .LBB203_557
.LBB203_555:                            ;   in Loop: Header=BB203_557 Depth=1
	s_or_b32 exec_lo, exec_lo, s0
	s_wait_dscnt 0x0
	v_mul_f32_e32 v67, v2, v84
	v_mul_f32_e32 v22, v2, v88
	;; [unrolled: 1-line block ×3, first 2 shown]
	v_dual_mul_f32 v80, v2, v80 :: v_dual_mul_f32 v54, v2, v54
	s_delay_alu instid0(VALU_DEP_4) | instskip(NEXT) | instid1(VALU_DEP_4)
	v_dual_mul_f32 v52, v2, v52 :: v_dual_fmac_f32 v67, v3, v85
	v_dual_fmac_f32 v22, v3, v89 :: v_dual_mul_f32 v72, v2, v72
	s_delay_alu instid0(VALU_DEP_4) | instskip(NEXT) | instid1(VALU_DEP_4)
	v_fmac_f32_e32 v76, v3, v77
	v_dual_fmac_f32 v80, v3, v81 :: v_dual_mul_f32 v40, v2, v40
	v_mul_f32_e32 v30, v2, v30
	s_delay_alu instid0(VALU_DEP_4) | instskip(SKIP_1) | instid1(VALU_DEP_2)
	v_dual_fmac_f32 v22, v4, v86 :: v_dual_mul_f32 v68, v2, v68
	v_dual_fmac_f32 v72, v3, v73 :: v_dual_fmac_f32 v67, v4, v82
	v_dual_fmac_f32 v80, v4, v78 :: v_dual_fmac_f32 v22, v5, v87
	s_delay_alu instid0(VALU_DEP_3) | instskip(NEXT) | instid1(VALU_DEP_3)
	v_fmac_f32_e32 v68, v3, v69
	v_dual_fmac_f32 v76, v4, v74 :: v_dual_fmac_f32 v67, v5, v83
	s_delay_alu instid0(VALU_DEP_4) | instskip(NEXT) | instid1(VALU_DEP_3)
	v_fmac_f32_e32 v72, v4, v70
	v_dual_add_f32 v6, v6, v22 :: v_dual_fmac_f32 v68, v4, v64
	s_delay_alu instid0(VALU_DEP_3) | instskip(NEXT) | instid1(VALU_DEP_3)
	v_dual_mul_f32 v22, v2, v62 :: v_dual_add_f32 v9, v9, v67
	v_fmac_f32_e32 v72, v5, v71
	v_dual_fmac_f32 v40, v3, v41 :: v_dual_fmac_f32 v30, v3, v31
	s_delay_alu instid0(VALU_DEP_4) | instskip(NEXT) | instid1(VALU_DEP_3)
	v_dual_fmac_f32 v68, v5, v65 :: v_dual_mul_f32 v58, v2, v58
	v_dual_add_f32 v10, v10, v72 :: v_dual_fmac_f32 v22, v3, v63
	v_mul_f32_e32 v48, v2, v48
	s_delay_alu instid0(VALU_DEP_3) | instskip(NEXT) | instid1(VALU_DEP_4)
	v_add_f32_e32 v15, v15, v68
	v_dual_fmac_f32 v58, v3, v59 :: v_dual_fmac_f32 v52, v3, v53
	s_delay_alu instid0(VALU_DEP_3) | instskip(SKIP_1) | instid1(VALU_DEP_3)
	v_dual_fmac_f32 v54, v3, v55 :: v_dual_fmac_f32 v48, v3, v49
	v_fmac_f32_e32 v22, v4, v60
	v_dual_fmac_f32 v58, v4, v56 :: v_dual_fmac_f32 v52, v4, v50
	s_delay_alu instid0(VALU_DEP_3) | instskip(NEXT) | instid1(VALU_DEP_3)
	v_dual_fmac_f32 v54, v4, v0 :: v_dual_fmac_f32 v48, v4, v46
	v_dual_fmac_f32 v22, v5, v61 :: v_dual_fmac_f32 v40, v4, v38
	s_delay_alu instid0(VALU_DEP_3) | instskip(NEXT) | instid1(VALU_DEP_3)
	v_dual_fmac_f32 v30, v4, v28 :: v_dual_fmac_f32 v52, v5, v51
	v_dual_fmac_f32 v48, v5, v47 :: v_dual_fmac_f32 v58, v5, v57
	s_delay_alu instid0(VALU_DEP_3) | instskip(NEXT) | instid1(VALU_DEP_3)
	v_dual_add_f32 v14, v14, v22 :: v_dual_fmac_f32 v54, v5, v1
	v_add_f32_e32 v19, v19, v52
	s_delay_alu instid0(VALU_DEP_3) | instskip(SKIP_2) | instid1(VALU_DEP_3)
	v_dual_mul_f32 v22, v2, v44 :: v_dual_add_f32 v17, v17, v58
	v_mul_f32_e32 v36, v2, v36
	v_pk_mul_f32 v[0:1], v[2:3], v[90:91]
	v_dual_fmac_f32 v76, v5, v75 :: v_dual_fmac_f32 v22, v3, v45
	v_fmac_f32_e32 v80, v5, v79
	s_delay_alu instid0(VALU_DEP_3) | instskip(SKIP_1) | instid1(VALU_DEP_4)
	v_dual_fmac_f32 v36, v3, v37 :: v_dual_add_f32 v0, v1, v0
	v_pk_mul_f32 v[2:3], v[4:5], v[32:33]
	v_dual_fmac_f32 v22, v4, v42 :: v_dual_fmac_f32 v40, v5, v39
	v_dual_fmac_f32 v30, v5, v29 :: v_dual_add_f32 v11, v11, v76
	s_delay_alu instid0(VALU_DEP_3) | instskip(NEXT) | instid1(VALU_DEP_3)
	v_dual_add_f32 v0, v2, v0 :: v_dual_fmac_f32 v36, v4, v34
	v_dual_fmac_f32 v22, v5, v43 :: v_dual_add_f32 v8, v8, v80
	v_dual_add_f32 v16, v16, v54 :: v_dual_add_f32 v18, v18, v48
	s_delay_alu instid0(VALU_DEP_3) | instskip(NEXT) | instid1(VALU_DEP_3)
	v_dual_fmac_f32 v36, v5, v35 :: v_dual_add_f32 v0, v3, v0
	v_dual_add_f32 v21, v21, v22 :: v_dual_add_f32 v20, v20, v40
	s_delay_alu instid0(VALU_DEP_2) | instskip(NEXT) | instid1(VALU_DEP_3)
	v_dual_add_f32 v12, v12, v30 :: v_dual_add_f32 v13, v13, v36
	v_add_f32_e32 v7, v7, v0
.LBB203_556:                            ;   in Loop: Header=BB203_557 Depth=1
	s_or_b32 exec_lo, exec_lo, s20
	v_add_nc_u32_e32 v100, 4, v100
	v_add_nc_u64_e32 v[26:27], 16, v[26:27]
	v_add_nc_u32_e32 v66, 0x80, v66
	v_add_nc_u32_e32 v102, 0x200, v102
	s_delay_alu instid0(VALU_DEP_4) | instskip(SKIP_1) | instid1(SALU_CYCLE_1)
	v_cmp_le_i32_e32 vcc_lo, s34, v100
	s_or_b32 s15, vcc_lo, s15
	s_and_not1_b32 exec_lo, exec_lo, s15
	s_cbranch_execz .LBB203_1102
.LBB203_557:                            ; =>This Inner Loop Header: Depth=1
	v_mov_b32_e32 v67, v23
	s_delay_alu instid0(VALU_DEP_1) | instskip(NEXT) | instid1(VALU_DEP_1)
	v_mul_u64_e32 v[0:1], s[18:19], v[66:67]
	v_mul_lo_u32 v0, v1, s12
	s_delay_alu instid0(VALU_DEP_1) | instskip(NEXT) | instid1(VALU_DEP_1)
	v_sub_nc_u32_e32 v0, v66, v0
	v_subrev_nc_u32_e32 v3, s12, v0
	v_cmp_le_u32_e32 vcc_lo, s12, v0
	s_delay_alu instid0(VALU_DEP_2) | instskip(NEXT) | instid1(VALU_DEP_1)
	v_dual_add_nc_u32 v2, 1, v1 :: v_dual_cndmask_b32 v0, v0, v3, vcc_lo
	v_cndmask_b32_e32 v1, v1, v2, vcc_lo
	s_delay_alu instid0(VALU_DEP_2) | instskip(NEXT) | instid1(VALU_DEP_2)
	v_cmp_le_u32_e32 vcc_lo, s12, v0
	v_add_nc_u32_e32 v2, 1, v1
	s_delay_alu instid0(VALU_DEP_1) | instskip(NEXT) | instid1(VALU_DEP_1)
	v_cndmask_b32_e32 v0, v1, v2, vcc_lo
	v_xor_b32_e32 v0, s33, v0
	s_delay_alu instid0(VALU_DEP_1) | instskip(NEXT) | instid1(VALU_DEP_1)
	v_subrev_nc_u32_e32 v2, s33, v0
	v_add_nc_u32_e32 v3, s17, v2
	v_cmp_lt_i32_e64 s0, s26, v2
	s_delay_alu instid0(VALU_DEP_2) | instskip(NEXT) | instid1(VALU_DEP_1)
	v_sub_nc_u32_e32 v0, 0, v3
	v_dual_ashrrev_i32 v3, 31, v3 :: v_dual_max_i32 v22, v3, v0
	s_delay_alu instid0(VALU_DEP_1) | instskip(NEXT) | instid1(VALU_DEP_1)
	v_mul_u64_e32 v[0:1], s[2:3], v[22:23]
	v_mul_lo_u32 v0, v1, s6
	s_delay_alu instid0(VALU_DEP_1) | instskip(NEXT) | instid1(VALU_DEP_1)
	v_sub_nc_u32_e32 v0, v22, v0
	v_subrev_nc_u32_e32 v1, s6, v0
	v_cmp_le_u32_e32 vcc_lo, s6, v0
	s_delay_alu instid0(VALU_DEP_2) | instskip(NEXT) | instid1(VALU_DEP_1)
	v_cndmask_b32_e32 v0, v0, v1, vcc_lo
	v_subrev_nc_u32_e32 v1, s6, v0
	v_cmp_le_u32_e32 vcc_lo, s6, v0
	s_delay_alu instid0(VALU_DEP_2) | instskip(NEXT) | instid1(VALU_DEP_1)
	v_cndmask_b32_e32 v0, v0, v1, vcc_lo
	v_xor_b32_e32 v0, v0, v3
	s_delay_alu instid0(VALU_DEP_1) | instskip(NEXT) | instid1(VALU_DEP_1)
	v_sub_nc_u32_e32 v0, v0, v3
	v_cmp_eq_u32_e32 vcc_lo, 0, v0
	s_or_b32 s0, vcc_lo, s0
	s_delay_alu instid0(SALU_CYCLE_1)
	s_and_saveexec_b32 s20, s0
	s_cbranch_execz .LBB203_556
; %bb.558:                              ;   in Loop: Header=BB203_557 Depth=1
	global_load_b32 v0, v[26:27], off
	ds_load_b128 v[2:5], v102
	s_load_b32 s4, s[10:11], 0x0
	v_mov_b64_e32 v[28:29], 0
	s_mov_b32 s0, exec_lo
	s_wait_loadcnt 0x0
	v_mad_nc_i64_i32 v[32:33], v0, s13, v[24:25]
	v_mov_b64_e32 v[0:1], 0
	global_load_b32 v36, v[32:33], off
	s_wait_loadcnt 0x0
	v_and_b32_e32 v22, 0xff, v36
	s_delay_alu instid0(VALU_DEP_1)
	v_cmpx_ne_u16_e32 0, v22
	s_cbranch_execz .LBB203_566
; %bb.559:                              ;   in Loop: Header=BB203_557 Depth=1
	v_mov_b64_e32 v[28:29], 0x80000000
	s_mov_b32 s5, exec_lo
	v_cmpx_ne_u16_e32 0x80, v22
	s_cbranch_execz .LBB203_565
; %bb.560:                              ;   in Loop: Header=BB203_557 Depth=1
	v_mov_b64_e32 v[28:29], 0x7f800001
	v_and_b32_e32 v30, 0x7f, v36
	s_mov_b32 s21, exec_lo
	s_delay_alu instid0(VALU_DEP_1)
	v_cmpx_ne_u32_e32 0x7f, v30
	s_cbranch_execz .LBB203_564
; %bb.561:                              ;   in Loop: Header=BB203_557 Depth=1
	v_dual_lshrrev_b32 v28, 3, v30 :: v_dual_bitop2_b32 v22, 7, v36 bitop3:0x40
	s_mov_b32 s22, exec_lo
	v_cmpx_gt_u32_e32 8, v30
; %bb.562:                              ;   in Loop: Header=BB203_557 Depth=1
	s_delay_alu instid0(VALU_DEP_2) | instskip(NEXT) | instid1(VALU_DEP_1)
	v_clz_i32_u32_e32 v28, v22
	v_min_u32_e32 v28, 32, v28
	s_delay_alu instid0(VALU_DEP_1) | instskip(NEXT) | instid1(VALU_DEP_1)
	v_subrev_nc_u32_e32 v29, 28, v28
	v_lshlrev_b64_e32 v[30:31], v29, v[22:23]
	s_delay_alu instid0(VALU_DEP_1)
	v_dual_sub_nc_u32 v28, 29, v28 :: v_dual_bitop2_b32 v22, 7, v30 bitop3:0x40
; %bb.563:                              ;   in Loop: Header=BB203_557 Depth=1
	s_or_b32 exec_lo, exec_lo, s22
	s_delay_alu instid0(VALU_DEP_1) | instskip(NEXT) | instid1(VALU_DEP_2)
	v_dual_lshlrev_b32 v29, 24, v36 :: v_dual_lshlrev_b32 v22, 20, v22
	v_lshl_add_u32 v28, v28, 23, 0x3c000000
	s_delay_alu instid0(VALU_DEP_2) | instskip(NEXT) | instid1(VALU_DEP_1)
	v_and_b32_e32 v29, 0x80000000, v29
	v_or3_b32 v22, v22, v29, v28
	s_delay_alu instid0(VALU_DEP_1)
	v_mov_b64_e32 v[28:29], v[22:23]
.LBB203_564:                            ;   in Loop: Header=BB203_557 Depth=1
	s_or_b32 exec_lo, exec_lo, s21
.LBB203_565:                            ;   in Loop: Header=BB203_557 Depth=1
	s_delay_alu instid0(SALU_CYCLE_1)
	s_or_b32 exec_lo, exec_lo, s5
.LBB203_566:                            ;   in Loop: Header=BB203_557 Depth=1
	s_delay_alu instid0(SALU_CYCLE_1) | instskip(SKIP_2) | instid1(VALU_DEP_1)
	s_or_b32 exec_lo, exec_lo, s0
	v_lshrrev_b16 v22, 8, v36
	s_mov_b32 s0, exec_lo
	v_cmpx_ne_u16_e32 0, v22
	s_cbranch_execz .LBB203_574
; %bb.567:                              ;   in Loop: Header=BB203_557 Depth=1
	v_mov_b64_e32 v[0:1], 0x8000000000000000
	s_mov_b32 s5, exec_lo
	v_cmpx_ne_u16_e32 0x80, v22
	s_cbranch_execz .LBB203_573
; %bb.568:                              ;   in Loop: Header=BB203_557 Depth=1
	v_and_b32_e32 v22, 0xffff, v22
	v_mov_b64_e32 v[0:1], 0x7f80000100000000
	s_mov_b32 s21, exec_lo
	s_delay_alu instid0(VALU_DEP_2) | instskip(NEXT) | instid1(VALU_DEP_1)
	v_and_b32_e32 v30, 0x7f, v22
	v_cmpx_ne_u32_e32 0x7f, v30
	s_cbranch_execz .LBB203_572
; %bb.569:                              ;   in Loop: Header=BB203_557 Depth=1
	v_and_b32_e32 v22, 7, v22
	v_lshrrev_b32_e32 v0, 3, v30
	s_mov_b32 s22, exec_lo
	v_cmpx_gt_u32_e32 8, v30
; %bb.570:                              ;   in Loop: Header=BB203_557 Depth=1
	s_delay_alu instid0(VALU_DEP_3) | instskip(NEXT) | instid1(VALU_DEP_1)
	v_clz_i32_u32_e32 v0, v22
	v_min_u32_e32 v0, 32, v0
	s_delay_alu instid0(VALU_DEP_1) | instskip(NEXT) | instid1(VALU_DEP_1)
	v_subrev_nc_u32_e32 v1, 28, v0
	v_lshlrev_b64_e32 v[30:31], v1, v[22:23]
	s_delay_alu instid0(VALU_DEP_1)
	v_dual_sub_nc_u32 v0, 29, v0 :: v_dual_bitop2_b32 v22, 7, v30 bitop3:0x40
; %bb.571:                              ;   in Loop: Header=BB203_557 Depth=1
	s_or_b32 exec_lo, exec_lo, s22
	s_delay_alu instid0(VALU_DEP_1) | instskip(NEXT) | instid1(VALU_DEP_2)
	v_dual_lshlrev_b32 v1, 16, v36 :: v_dual_lshlrev_b32 v22, 20, v22
	v_lshl_add_u32 v0, v0, 23, 0x3c000000
	s_delay_alu instid0(VALU_DEP_2) | instskip(NEXT) | instid1(VALU_DEP_1)
	v_and_b32_e32 v1, 0x80000000, v1
	v_or3_b32 v1, v22, v1, v0
	v_mov_b32_e32 v0, v23
.LBB203_572:                            ;   in Loop: Header=BB203_557 Depth=1
	s_or_b32 exec_lo, exec_lo, s21
.LBB203_573:                            ;   in Loop: Header=BB203_557 Depth=1
	s_delay_alu instid0(SALU_CYCLE_1)
	s_or_b32 exec_lo, exec_lo, s5
.LBB203_574:                            ;   in Loop: Header=BB203_557 Depth=1
	s_delay_alu instid0(SALU_CYCLE_1) | instskip(SKIP_4) | instid1(VALU_DEP_3)
	s_or_b32 exec_lo, exec_lo, s0
	v_lshrrev_b32_e32 v37, 16, v36
	v_mov_b64_e32 v[30:31], 0
	v_mov_b64_e32 v[34:35], 0
	s_mov_b32 s0, exec_lo
	v_and_b32_e32 v22, 0xff, v37
	s_delay_alu instid0(VALU_DEP_1)
	v_cmpx_ne_u16_e32 0, v22
	s_cbranch_execz .LBB203_582
; %bb.575:                              ;   in Loop: Header=BB203_557 Depth=1
	v_mov_b64_e32 v[34:35], 0x80000000
	s_mov_b32 s5, exec_lo
	v_cmpx_ne_u16_e32 0x80, v22
	s_cbranch_execz .LBB203_581
; %bb.576:                              ;   in Loop: Header=BB203_557 Depth=1
	v_mov_b64_e32 v[34:35], 0x7f800001
	v_bfe_u32 v38, v36, 16, 7
	s_mov_b32 s21, exec_lo
	s_delay_alu instid0(VALU_DEP_1)
	v_cmpx_ne_u32_e32 0x7f, v38
	s_cbranch_execz .LBB203_580
; %bb.577:                              ;   in Loop: Header=BB203_557 Depth=1
	v_dual_lshrrev_b32 v34, 3, v38 :: v_dual_bitop2_b32 v22, 7, v37 bitop3:0x40
	s_mov_b32 s22, exec_lo
	v_cmpx_gt_u32_e32 8, v38
; %bb.578:                              ;   in Loop: Header=BB203_557 Depth=1
	s_delay_alu instid0(VALU_DEP_2) | instskip(NEXT) | instid1(VALU_DEP_1)
	v_clz_i32_u32_e32 v34, v22
	v_min_u32_e32 v34, 32, v34
	s_delay_alu instid0(VALU_DEP_1) | instskip(SKIP_1) | instid1(VALU_DEP_2)
	v_subrev_nc_u32_e32 v35, 28, v34
	v_sub_nc_u32_e32 v34, 29, v34
	v_lshlrev_b64_e32 v[38:39], v35, v[22:23]
	s_delay_alu instid0(VALU_DEP_1)
	v_and_b32_e32 v22, 7, v38
; %bb.579:                              ;   in Loop: Header=BB203_557 Depth=1
	s_or_b32 exec_lo, exec_lo, s22
	s_delay_alu instid0(VALU_DEP_1) | instskip(SKIP_1) | instid1(VALU_DEP_2)
	v_dual_lshlrev_b32 v35, 24, v37 :: v_dual_lshlrev_b32 v22, 20, v22
	v_lshl_add_u32 v34, v34, 23, 0x3c000000
	v_and_b32_e32 v35, 0x80000000, v35
	s_delay_alu instid0(VALU_DEP_1) | instskip(NEXT) | instid1(VALU_DEP_1)
	v_or3_b32 v22, v22, v35, v34
	v_mov_b64_e32 v[34:35], v[22:23]
.LBB203_580:                            ;   in Loop: Header=BB203_557 Depth=1
	s_or_b32 exec_lo, exec_lo, s21
.LBB203_581:                            ;   in Loop: Header=BB203_557 Depth=1
	s_delay_alu instid0(SALU_CYCLE_1)
	s_or_b32 exec_lo, exec_lo, s5
.LBB203_582:                            ;   in Loop: Header=BB203_557 Depth=1
	s_delay_alu instid0(SALU_CYCLE_1) | instskip(NEXT) | instid1(SALU_CYCLE_1)
	s_or_b32 exec_lo, exec_lo, s0
	s_mov_b32 s0, exec_lo
	v_cmpx_lt_u32_e32 0xffffff, v36
	s_cbranch_execz .LBB203_590
; %bb.583:                              ;   in Loop: Header=BB203_557 Depth=1
	v_mov_b64_e32 v[30:31], 0x8000000000000000
	v_lshrrev_b32_e32 v37, 24, v36
	s_mov_b32 s5, exec_lo
	s_delay_alu instid0(VALU_DEP_1)
	v_cmpx_ne_u32_e32 0x80, v37
	s_cbranch_execz .LBB203_589
; %bb.584:                              ;   in Loop: Header=BB203_557 Depth=1
	v_mov_b64_e32 v[30:31], 0x7f80000100000000
	v_bfe_u32 v36, v36, 24, 7
	s_mov_b32 s21, exec_lo
	s_delay_alu instid0(VALU_DEP_1)
	v_cmpx_ne_u32_e32 0x7f, v36
	s_cbranch_execz .LBB203_588
; %bb.585:                              ;   in Loop: Header=BB203_557 Depth=1
	v_dual_lshrrev_b32 v30, 3, v36 :: v_dual_bitop2_b32 v22, 7, v37 bitop3:0x40
	s_mov_b32 s22, exec_lo
	v_cmpx_gt_u32_e32 8, v36
; %bb.586:                              ;   in Loop: Header=BB203_557 Depth=1
	s_delay_alu instid0(VALU_DEP_2) | instskip(NEXT) | instid1(VALU_DEP_1)
	v_clz_i32_u32_e32 v30, v22
	v_min_u32_e32 v30, 32, v30
	s_delay_alu instid0(VALU_DEP_1) | instskip(SKIP_1) | instid1(VALU_DEP_2)
	v_subrev_nc_u32_e32 v31, 28, v30
	v_sub_nc_u32_e32 v30, 29, v30
	v_lshlrev_b64_e32 v[38:39], v31, v[22:23]
	s_delay_alu instid0(VALU_DEP_1)
	v_and_b32_e32 v22, 7, v38
; %bb.587:                              ;   in Loop: Header=BB203_557 Depth=1
	s_or_b32 exec_lo, exec_lo, s22
	s_delay_alu instid0(VALU_DEP_1) | instskip(SKIP_1) | instid1(VALU_DEP_2)
	v_dual_lshlrev_b32 v31, 24, v37 :: v_dual_lshlrev_b32 v22, 20, v22
	v_lshl_add_u32 v30, v30, 23, 0x3c000000
	v_and_b32_e32 v31, 0x80000000, v31
	s_delay_alu instid0(VALU_DEP_1)
	v_or3_b32 v31, v22, v31, v30
	v_mov_b32_e32 v30, v23
.LBB203_588:                            ;   in Loop: Header=BB203_557 Depth=1
	s_or_b32 exec_lo, exec_lo, s21
.LBB203_589:                            ;   in Loop: Header=BB203_557 Depth=1
	s_delay_alu instid0(SALU_CYCLE_1)
	s_or_b32 exec_lo, exec_lo, s5
.LBB203_590:                            ;   in Loop: Header=BB203_557 Depth=1
	s_delay_alu instid0(SALU_CYCLE_1)
	s_or_b32 exec_lo, exec_lo, s0
	v_dual_add_nc_u32 v67, v101, v66 :: v_dual_bitop2_b32 v0, v0, v28 bitop3:0x54
	v_or_b32_e32 v1, v1, v29
	v_or_b32_e32 v29, v31, v35
	;; [unrolled: 1-line block ×3, first 2 shown]
	v_cmp_eq_u32_e32 vcc_lo, s27, v100
	v_add_nc_u32_e32 v103, 1, v67
	s_wait_kmcnt 0x0
	v_pk_mul_f32 v[30:31], s[4:5], v[0:1] op_sel_hi:[0,1]
	v_add_nc_u32_e32 v95, 2, v67
	v_pk_mul_f32 v[28:29], s[4:5], v[28:29] op_sel_hi:[0,1]
	v_add_nc_u32_e32 v94, 3, v67
	s_and_saveexec_b32 s5, vcc_lo
	s_cbranch_execz .LBB203_592
; %bb.591:                              ;   in Loop: Header=BB203_557 Depth=1
	v_cmp_gt_i32_e64 s0, s31, v67
	s_delay_alu instid0(VALU_DEP_1) | instskip(SKIP_1) | instid1(VALU_DEP_1)
	v_cndmask_b32_e64 v30, 0, v30, s0
	v_cmp_gt_i32_e64 s0, s31, v103
	v_cndmask_b32_e64 v31, 0, v31, s0
	v_cmp_gt_i32_e64 s0, s31, v95
	s_delay_alu instid0(VALU_DEP_1) | instskip(SKIP_1) | instid1(VALU_DEP_1)
	v_cndmask_b32_e64 v28, 0, v28, s0
	v_cmp_gt_i32_e64 s0, s31, v94
	v_cndmask_b32_e64 v29, 0, v29, s0
.LBB203_592:                            ;   in Loop: Header=BB203_557 Depth=1
	s_or_b32 exec_lo, exec_lo, s5
	global_load_b32 v40, v[32:33], off offset:128
	v_mov_b64_e32 v[0:1], 0
	v_mov_b64_e32 v[34:35], 0
	s_mov_b32 s5, exec_lo
	s_wait_loadcnt 0x0
	v_and_b32_e32 v22, 0xff, v40
	s_delay_alu instid0(VALU_DEP_1)
	v_cmpx_ne_u16_e32 0, v22
	s_cbranch_execz .LBB203_600
; %bb.593:                              ;   in Loop: Header=BB203_557 Depth=1
	v_mov_b64_e32 v[34:35], 0x80000000
	s_mov_b32 s21, exec_lo
	v_cmpx_ne_u16_e32 0x80, v22
	s_cbranch_execz .LBB203_599
; %bb.594:                              ;   in Loop: Header=BB203_557 Depth=1
	v_mov_b64_e32 v[34:35], 0x7f800001
	v_and_b32_e32 v36, 0x7f, v40
	s_mov_b32 s22, exec_lo
	s_delay_alu instid0(VALU_DEP_1)
	v_cmpx_ne_u32_e32 0x7f, v36
	s_cbranch_execz .LBB203_598
; %bb.595:                              ;   in Loop: Header=BB203_557 Depth=1
	v_and_b32_e32 v22, 7, v40
	v_lshrrev_b32_e32 v34, 3, v36
	s_mov_b32 s23, exec_lo
	v_cmpx_gt_u32_e32 8, v36
; %bb.596:                              ;   in Loop: Header=BB203_557 Depth=1
	s_delay_alu instid0(VALU_DEP_3) | instskip(NEXT) | instid1(VALU_DEP_1)
	v_clz_i32_u32_e32 v34, v22
	v_min_u32_e32 v34, 32, v34
	s_delay_alu instid0(VALU_DEP_1) | instskip(NEXT) | instid1(VALU_DEP_1)
	v_subrev_nc_u32_e32 v35, 28, v34
	v_lshlrev_b64_e32 v[36:37], v35, v[22:23]
	s_delay_alu instid0(VALU_DEP_1)
	v_dual_sub_nc_u32 v34, 29, v34 :: v_dual_bitop2_b32 v22, 7, v36 bitop3:0x40
; %bb.597:                              ;   in Loop: Header=BB203_557 Depth=1
	s_or_b32 exec_lo, exec_lo, s23
	s_delay_alu instid0(VALU_DEP_1) | instskip(NEXT) | instid1(VALU_DEP_2)
	v_dual_lshlrev_b32 v35, 24, v40 :: v_dual_lshlrev_b32 v22, 20, v22
	v_lshl_add_u32 v34, v34, 23, 0x3c000000
	s_delay_alu instid0(VALU_DEP_2) | instskip(NEXT) | instid1(VALU_DEP_1)
	v_and_b32_e32 v35, 0x80000000, v35
	v_or3_b32 v22, v22, v35, v34
	s_delay_alu instid0(VALU_DEP_1)
	v_mov_b64_e32 v[34:35], v[22:23]
.LBB203_598:                            ;   in Loop: Header=BB203_557 Depth=1
	s_or_b32 exec_lo, exec_lo, s22
.LBB203_599:                            ;   in Loop: Header=BB203_557 Depth=1
	s_delay_alu instid0(SALU_CYCLE_1)
	s_or_b32 exec_lo, exec_lo, s21
.LBB203_600:                            ;   in Loop: Header=BB203_557 Depth=1
	s_delay_alu instid0(SALU_CYCLE_1) | instskip(SKIP_2) | instid1(VALU_DEP_1)
	s_or_b32 exec_lo, exec_lo, s5
	v_lshrrev_b16 v22, 8, v40
	s_mov_b32 s5, exec_lo
	v_cmpx_ne_u16_e32 0, v22
	s_cbranch_execz .LBB203_608
; %bb.601:                              ;   in Loop: Header=BB203_557 Depth=1
	v_mov_b64_e32 v[0:1], 0x8000000000000000
	s_mov_b32 s21, exec_lo
	v_cmpx_ne_u16_e32 0x80, v22
	s_cbranch_execz .LBB203_607
; %bb.602:                              ;   in Loop: Header=BB203_557 Depth=1
	v_and_b32_e32 v22, 0xffff, v22
	v_mov_b64_e32 v[0:1], 0x7f80000100000000
	s_mov_b32 s22, exec_lo
	s_delay_alu instid0(VALU_DEP_2) | instskip(NEXT) | instid1(VALU_DEP_1)
	v_and_b32_e32 v36, 0x7f, v22
	v_cmpx_ne_u32_e32 0x7f, v36
	s_cbranch_execz .LBB203_606
; %bb.603:                              ;   in Loop: Header=BB203_557 Depth=1
	v_dual_lshrrev_b32 v0, 3, v36 :: v_dual_bitop2_b32 v22, 7, v22 bitop3:0x40
	s_mov_b32 s23, exec_lo
	v_cmpx_gt_u32_e32 8, v36
; %bb.604:                              ;   in Loop: Header=BB203_557 Depth=1
	s_delay_alu instid0(VALU_DEP_2) | instskip(NEXT) | instid1(VALU_DEP_1)
	v_clz_i32_u32_e32 v0, v22
	v_min_u32_e32 v0, 32, v0
	s_delay_alu instid0(VALU_DEP_1) | instskip(SKIP_1) | instid1(VALU_DEP_2)
	v_subrev_nc_u32_e32 v1, 28, v0
	v_sub_nc_u32_e32 v0, 29, v0
	v_lshlrev_b64_e32 v[36:37], v1, v[22:23]
	s_delay_alu instid0(VALU_DEP_1)
	v_and_b32_e32 v22, 7, v36
; %bb.605:                              ;   in Loop: Header=BB203_557 Depth=1
	s_or_b32 exec_lo, exec_lo, s23
	s_delay_alu instid0(VALU_DEP_1) | instskip(SKIP_1) | instid1(VALU_DEP_2)
	v_dual_lshlrev_b32 v1, 16, v40 :: v_dual_lshlrev_b32 v22, 20, v22
	v_lshl_add_u32 v0, v0, 23, 0x3c000000
	v_and_b32_e32 v1, 0x80000000, v1
	s_delay_alu instid0(VALU_DEP_1)
	v_or3_b32 v1, v22, v1, v0
	v_mov_b32_e32 v0, v23
.LBB203_606:                            ;   in Loop: Header=BB203_557 Depth=1
	s_or_b32 exec_lo, exec_lo, s22
.LBB203_607:                            ;   in Loop: Header=BB203_557 Depth=1
	s_delay_alu instid0(SALU_CYCLE_1)
	s_or_b32 exec_lo, exec_lo, s21
.LBB203_608:                            ;   in Loop: Header=BB203_557 Depth=1
	s_delay_alu instid0(SALU_CYCLE_1) | instskip(SKIP_4) | instid1(VALU_DEP_3)
	s_or_b32 exec_lo, exec_lo, s5
	v_lshrrev_b32_e32 v41, 16, v40
	v_mov_b64_e32 v[36:37], 0
	v_mov_b64_e32 v[38:39], 0
	s_mov_b32 s5, exec_lo
	v_and_b32_e32 v22, 0xff, v41
	s_delay_alu instid0(VALU_DEP_1)
	v_cmpx_ne_u16_e32 0, v22
	s_cbranch_execz .LBB203_616
; %bb.609:                              ;   in Loop: Header=BB203_557 Depth=1
	v_mov_b64_e32 v[38:39], 0x80000000
	s_mov_b32 s21, exec_lo
	v_cmpx_ne_u16_e32 0x80, v22
	s_cbranch_execz .LBB203_615
; %bb.610:                              ;   in Loop: Header=BB203_557 Depth=1
	v_mov_b64_e32 v[38:39], 0x7f800001
	v_bfe_u32 v42, v40, 16, 7
	s_mov_b32 s22, exec_lo
	s_delay_alu instid0(VALU_DEP_1)
	v_cmpx_ne_u32_e32 0x7f, v42
	s_cbranch_execz .LBB203_614
; %bb.611:                              ;   in Loop: Header=BB203_557 Depth=1
	v_dual_lshrrev_b32 v38, 3, v42 :: v_dual_bitop2_b32 v22, 7, v41 bitop3:0x40
	s_mov_b32 s23, exec_lo
	v_cmpx_gt_u32_e32 8, v42
; %bb.612:                              ;   in Loop: Header=BB203_557 Depth=1
	s_delay_alu instid0(VALU_DEP_2) | instskip(NEXT) | instid1(VALU_DEP_1)
	v_clz_i32_u32_e32 v38, v22
	v_min_u32_e32 v38, 32, v38
	s_delay_alu instid0(VALU_DEP_1) | instskip(SKIP_1) | instid1(VALU_DEP_2)
	v_subrev_nc_u32_e32 v39, 28, v38
	v_sub_nc_u32_e32 v38, 29, v38
	v_lshlrev_b64_e32 v[42:43], v39, v[22:23]
	s_delay_alu instid0(VALU_DEP_1)
	v_and_b32_e32 v22, 7, v42
; %bb.613:                              ;   in Loop: Header=BB203_557 Depth=1
	s_or_b32 exec_lo, exec_lo, s23
	s_delay_alu instid0(VALU_DEP_1) | instskip(SKIP_1) | instid1(VALU_DEP_2)
	v_dual_lshlrev_b32 v39, 24, v41 :: v_dual_lshlrev_b32 v22, 20, v22
	v_lshl_add_u32 v38, v38, 23, 0x3c000000
	v_and_b32_e32 v39, 0x80000000, v39
	s_delay_alu instid0(VALU_DEP_1) | instskip(NEXT) | instid1(VALU_DEP_1)
	v_or3_b32 v22, v22, v39, v38
	v_mov_b64_e32 v[38:39], v[22:23]
.LBB203_614:                            ;   in Loop: Header=BB203_557 Depth=1
	s_or_b32 exec_lo, exec_lo, s22
.LBB203_615:                            ;   in Loop: Header=BB203_557 Depth=1
	s_delay_alu instid0(SALU_CYCLE_1)
	s_or_b32 exec_lo, exec_lo, s21
.LBB203_616:                            ;   in Loop: Header=BB203_557 Depth=1
	s_delay_alu instid0(SALU_CYCLE_1) | instskip(NEXT) | instid1(SALU_CYCLE_1)
	s_or_b32 exec_lo, exec_lo, s5
	s_mov_b32 s5, exec_lo
	v_cmpx_lt_u32_e32 0xffffff, v40
	s_cbranch_execz .LBB203_624
; %bb.617:                              ;   in Loop: Header=BB203_557 Depth=1
	v_mov_b64_e32 v[36:37], 0x8000000000000000
	v_lshrrev_b32_e32 v41, 24, v40
	s_mov_b32 s21, exec_lo
	s_delay_alu instid0(VALU_DEP_1)
	v_cmpx_ne_u32_e32 0x80, v41
	s_cbranch_execz .LBB203_623
; %bb.618:                              ;   in Loop: Header=BB203_557 Depth=1
	v_mov_b64_e32 v[36:37], 0x7f80000100000000
	v_bfe_u32 v40, v40, 24, 7
	s_mov_b32 s22, exec_lo
	s_delay_alu instid0(VALU_DEP_1)
	v_cmpx_ne_u32_e32 0x7f, v40
	s_cbranch_execz .LBB203_622
; %bb.619:                              ;   in Loop: Header=BB203_557 Depth=1
	v_dual_lshrrev_b32 v36, 3, v40 :: v_dual_bitop2_b32 v22, 7, v41 bitop3:0x40
	s_mov_b32 s23, exec_lo
	v_cmpx_gt_u32_e32 8, v40
; %bb.620:                              ;   in Loop: Header=BB203_557 Depth=1
	s_delay_alu instid0(VALU_DEP_2) | instskip(NEXT) | instid1(VALU_DEP_1)
	v_clz_i32_u32_e32 v36, v22
	v_min_u32_e32 v36, 32, v36
	s_delay_alu instid0(VALU_DEP_1) | instskip(NEXT) | instid1(VALU_DEP_1)
	v_subrev_nc_u32_e32 v37, 28, v36
	v_lshlrev_b64_e32 v[42:43], v37, v[22:23]
	s_delay_alu instid0(VALU_DEP_1)
	v_dual_sub_nc_u32 v36, 29, v36 :: v_dual_bitop2_b32 v22, 7, v42 bitop3:0x40
; %bb.621:                              ;   in Loop: Header=BB203_557 Depth=1
	s_or_b32 exec_lo, exec_lo, s23
	s_delay_alu instid0(VALU_DEP_1) | instskip(NEXT) | instid1(VALU_DEP_2)
	v_dual_lshlrev_b32 v37, 24, v41 :: v_dual_lshlrev_b32 v22, 20, v22
	v_lshl_add_u32 v36, v36, 23, 0x3c000000
	s_delay_alu instid0(VALU_DEP_2) | instskip(NEXT) | instid1(VALU_DEP_1)
	v_and_b32_e32 v37, 0x80000000, v37
	v_or3_b32 v37, v22, v37, v36
	v_mov_b32_e32 v36, v23
.LBB203_622:                            ;   in Loop: Header=BB203_557 Depth=1
	s_or_b32 exec_lo, exec_lo, s22
.LBB203_623:                            ;   in Loop: Header=BB203_557 Depth=1
	s_delay_alu instid0(SALU_CYCLE_1)
	s_or_b32 exec_lo, exec_lo, s21
.LBB203_624:                            ;   in Loop: Header=BB203_557 Depth=1
	s_delay_alu instid0(SALU_CYCLE_1)
	s_or_b32 exec_lo, exec_lo, s5
	s_mov_b32 s5, s4
	v_or_b32_e32 v1, v1, v35
	v_or_b32_e32 v0, v0, v34
	v_mov_b64_e32 v[34:35], s[4:5]
	v_or_b32_e32 v39, v37, v39
	v_or_b32_e32 v38, v36, v38
	s_delay_alu instid0(VALU_DEP_3) | instskip(NEXT) | instid1(VALU_DEP_2)
	v_pk_mul_f32 v[36:37], v[34:35], v[0:1]
	v_pk_mul_f32 v[34:35], v[34:35], v[38:39]
	s_and_saveexec_b32 s21, vcc_lo
	s_cbranch_execz .LBB203_626
; %bb.625:                              ;   in Loop: Header=BB203_557 Depth=1
	v_cmp_gt_i32_e64 s0, s31, v67
	s_delay_alu instid0(VALU_DEP_1) | instskip(SKIP_1) | instid1(VALU_DEP_1)
	v_cndmask_b32_e64 v36, 0, v36, s0
	v_cmp_gt_i32_e64 s0, s31, v103
	v_cndmask_b32_e64 v37, 0, v37, s0
	v_cmp_gt_i32_e64 s0, s31, v95
	s_delay_alu instid0(VALU_DEP_1) | instskip(SKIP_1) | instid1(VALU_DEP_1)
	v_cndmask_b32_e64 v34, 0, v34, s0
	v_cmp_gt_i32_e64 s0, s31, v94
	v_cndmask_b32_e64 v35, 0, v35, s0
.LBB203_626:                            ;   in Loop: Header=BB203_557 Depth=1
	s_or_b32 exec_lo, exec_lo, s21
	global_load_b32 v44, v[32:33], off offset:256
	v_mov_b64_e32 v[0:1], 0
	v_mov_b64_e32 v[38:39], 0
	s_mov_b32 s21, exec_lo
	s_wait_loadcnt 0x0
	v_and_b32_e32 v22, 0xff, v44
	s_delay_alu instid0(VALU_DEP_1)
	v_cmpx_ne_u16_e32 0, v22
	s_cbranch_execz .LBB203_634
; %bb.627:                              ;   in Loop: Header=BB203_557 Depth=1
	v_mov_b64_e32 v[38:39], 0x80000000
	s_mov_b32 s22, exec_lo
	v_cmpx_ne_u16_e32 0x80, v22
	s_cbranch_execz .LBB203_633
; %bb.628:                              ;   in Loop: Header=BB203_557 Depth=1
	v_mov_b64_e32 v[38:39], 0x7f800001
	v_and_b32_e32 v40, 0x7f, v44
	s_mov_b32 s23, exec_lo
	s_delay_alu instid0(VALU_DEP_1)
	v_cmpx_ne_u32_e32 0x7f, v40
	s_cbranch_execz .LBB203_632
; %bb.629:                              ;   in Loop: Header=BB203_557 Depth=1
	v_and_b32_e32 v22, 7, v44
	v_lshrrev_b32_e32 v38, 3, v40
	s_mov_b32 s24, exec_lo
	v_cmpx_gt_u32_e32 8, v40
; %bb.630:                              ;   in Loop: Header=BB203_557 Depth=1
	s_delay_alu instid0(VALU_DEP_3) | instskip(NEXT) | instid1(VALU_DEP_1)
	v_clz_i32_u32_e32 v38, v22
	v_min_u32_e32 v38, 32, v38
	s_delay_alu instid0(VALU_DEP_1) | instskip(NEXT) | instid1(VALU_DEP_1)
	v_subrev_nc_u32_e32 v39, 28, v38
	v_lshlrev_b64_e32 v[40:41], v39, v[22:23]
	s_delay_alu instid0(VALU_DEP_1)
	v_dual_sub_nc_u32 v38, 29, v38 :: v_dual_bitop2_b32 v22, 7, v40 bitop3:0x40
; %bb.631:                              ;   in Loop: Header=BB203_557 Depth=1
	s_or_b32 exec_lo, exec_lo, s24
	s_delay_alu instid0(VALU_DEP_1) | instskip(NEXT) | instid1(VALU_DEP_2)
	v_dual_lshlrev_b32 v39, 24, v44 :: v_dual_lshlrev_b32 v22, 20, v22
	v_lshl_add_u32 v38, v38, 23, 0x3c000000
	s_delay_alu instid0(VALU_DEP_2) | instskip(NEXT) | instid1(VALU_DEP_1)
	v_and_b32_e32 v39, 0x80000000, v39
	v_or3_b32 v22, v22, v39, v38
	s_delay_alu instid0(VALU_DEP_1)
	v_mov_b64_e32 v[38:39], v[22:23]
.LBB203_632:                            ;   in Loop: Header=BB203_557 Depth=1
	s_or_b32 exec_lo, exec_lo, s23
.LBB203_633:                            ;   in Loop: Header=BB203_557 Depth=1
	s_delay_alu instid0(SALU_CYCLE_1)
	s_or_b32 exec_lo, exec_lo, s22
.LBB203_634:                            ;   in Loop: Header=BB203_557 Depth=1
	s_delay_alu instid0(SALU_CYCLE_1) | instskip(SKIP_2) | instid1(VALU_DEP_1)
	s_or_b32 exec_lo, exec_lo, s21
	v_lshrrev_b16 v22, 8, v44
	s_mov_b32 s21, exec_lo
	v_cmpx_ne_u16_e32 0, v22
	s_cbranch_execz .LBB203_642
; %bb.635:                              ;   in Loop: Header=BB203_557 Depth=1
	v_mov_b64_e32 v[0:1], 0x8000000000000000
	s_mov_b32 s22, exec_lo
	v_cmpx_ne_u16_e32 0x80, v22
	s_cbranch_execz .LBB203_641
; %bb.636:                              ;   in Loop: Header=BB203_557 Depth=1
	v_and_b32_e32 v22, 0xffff, v22
	v_mov_b64_e32 v[0:1], 0x7f80000100000000
	s_mov_b32 s23, exec_lo
	s_delay_alu instid0(VALU_DEP_2) | instskip(NEXT) | instid1(VALU_DEP_1)
	v_and_b32_e32 v40, 0x7f, v22
	v_cmpx_ne_u32_e32 0x7f, v40
	s_cbranch_execz .LBB203_640
; %bb.637:                              ;   in Loop: Header=BB203_557 Depth=1
	v_dual_lshrrev_b32 v0, 3, v40 :: v_dual_bitop2_b32 v22, 7, v22 bitop3:0x40
	s_mov_b32 s24, exec_lo
	v_cmpx_gt_u32_e32 8, v40
; %bb.638:                              ;   in Loop: Header=BB203_557 Depth=1
	s_delay_alu instid0(VALU_DEP_2) | instskip(NEXT) | instid1(VALU_DEP_1)
	v_clz_i32_u32_e32 v0, v22
	v_min_u32_e32 v0, 32, v0
	s_delay_alu instid0(VALU_DEP_1) | instskip(SKIP_1) | instid1(VALU_DEP_2)
	v_subrev_nc_u32_e32 v1, 28, v0
	v_sub_nc_u32_e32 v0, 29, v0
	v_lshlrev_b64_e32 v[40:41], v1, v[22:23]
	s_delay_alu instid0(VALU_DEP_1)
	v_and_b32_e32 v22, 7, v40
; %bb.639:                              ;   in Loop: Header=BB203_557 Depth=1
	s_or_b32 exec_lo, exec_lo, s24
	s_delay_alu instid0(VALU_DEP_1) | instskip(SKIP_1) | instid1(VALU_DEP_2)
	v_dual_lshlrev_b32 v1, 16, v44 :: v_dual_lshlrev_b32 v22, 20, v22
	v_lshl_add_u32 v0, v0, 23, 0x3c000000
	v_and_b32_e32 v1, 0x80000000, v1
	s_delay_alu instid0(VALU_DEP_1)
	v_or3_b32 v1, v22, v1, v0
	v_mov_b32_e32 v0, v23
.LBB203_640:                            ;   in Loop: Header=BB203_557 Depth=1
	s_or_b32 exec_lo, exec_lo, s23
.LBB203_641:                            ;   in Loop: Header=BB203_557 Depth=1
	s_delay_alu instid0(SALU_CYCLE_1)
	s_or_b32 exec_lo, exec_lo, s22
.LBB203_642:                            ;   in Loop: Header=BB203_557 Depth=1
	s_delay_alu instid0(SALU_CYCLE_1) | instskip(SKIP_4) | instid1(VALU_DEP_3)
	s_or_b32 exec_lo, exec_lo, s21
	v_lshrrev_b32_e32 v45, 16, v44
	v_mov_b64_e32 v[40:41], 0
	v_mov_b64_e32 v[42:43], 0
	s_mov_b32 s21, exec_lo
	v_and_b32_e32 v22, 0xff, v45
	s_delay_alu instid0(VALU_DEP_1)
	v_cmpx_ne_u16_e32 0, v22
	s_cbranch_execz .LBB203_650
; %bb.643:                              ;   in Loop: Header=BB203_557 Depth=1
	v_mov_b64_e32 v[42:43], 0x80000000
	s_mov_b32 s22, exec_lo
	v_cmpx_ne_u16_e32 0x80, v22
	s_cbranch_execz .LBB203_649
; %bb.644:                              ;   in Loop: Header=BB203_557 Depth=1
	v_mov_b64_e32 v[42:43], 0x7f800001
	v_bfe_u32 v46, v44, 16, 7
	s_mov_b32 s23, exec_lo
	s_delay_alu instid0(VALU_DEP_1)
	v_cmpx_ne_u32_e32 0x7f, v46
	s_cbranch_execz .LBB203_648
; %bb.645:                              ;   in Loop: Header=BB203_557 Depth=1
	v_dual_lshrrev_b32 v42, 3, v46 :: v_dual_bitop2_b32 v22, 7, v45 bitop3:0x40
	s_mov_b32 s24, exec_lo
	v_cmpx_gt_u32_e32 8, v46
; %bb.646:                              ;   in Loop: Header=BB203_557 Depth=1
	s_delay_alu instid0(VALU_DEP_2) | instskip(NEXT) | instid1(VALU_DEP_1)
	v_clz_i32_u32_e32 v42, v22
	v_min_u32_e32 v42, 32, v42
	s_delay_alu instid0(VALU_DEP_1) | instskip(SKIP_1) | instid1(VALU_DEP_2)
	v_subrev_nc_u32_e32 v43, 28, v42
	v_sub_nc_u32_e32 v42, 29, v42
	v_lshlrev_b64_e32 v[46:47], v43, v[22:23]
	s_delay_alu instid0(VALU_DEP_1)
	v_and_b32_e32 v22, 7, v46
; %bb.647:                              ;   in Loop: Header=BB203_557 Depth=1
	s_or_b32 exec_lo, exec_lo, s24
	s_delay_alu instid0(VALU_DEP_1) | instskip(SKIP_1) | instid1(VALU_DEP_2)
	v_dual_lshlrev_b32 v43, 24, v45 :: v_dual_lshlrev_b32 v22, 20, v22
	v_lshl_add_u32 v42, v42, 23, 0x3c000000
	v_and_b32_e32 v43, 0x80000000, v43
	s_delay_alu instid0(VALU_DEP_1) | instskip(NEXT) | instid1(VALU_DEP_1)
	v_or3_b32 v22, v22, v43, v42
	v_mov_b64_e32 v[42:43], v[22:23]
.LBB203_648:                            ;   in Loop: Header=BB203_557 Depth=1
	s_or_b32 exec_lo, exec_lo, s23
.LBB203_649:                            ;   in Loop: Header=BB203_557 Depth=1
	s_delay_alu instid0(SALU_CYCLE_1)
	s_or_b32 exec_lo, exec_lo, s22
.LBB203_650:                            ;   in Loop: Header=BB203_557 Depth=1
	s_delay_alu instid0(SALU_CYCLE_1) | instskip(NEXT) | instid1(SALU_CYCLE_1)
	s_or_b32 exec_lo, exec_lo, s21
	s_mov_b32 s21, exec_lo
	v_cmpx_lt_u32_e32 0xffffff, v44
	s_cbranch_execz .LBB203_658
; %bb.651:                              ;   in Loop: Header=BB203_557 Depth=1
	v_mov_b64_e32 v[40:41], 0x8000000000000000
	v_lshrrev_b32_e32 v45, 24, v44
	s_mov_b32 s22, exec_lo
	s_delay_alu instid0(VALU_DEP_1)
	v_cmpx_ne_u32_e32 0x80, v45
	s_cbranch_execz .LBB203_657
; %bb.652:                              ;   in Loop: Header=BB203_557 Depth=1
	v_mov_b64_e32 v[40:41], 0x7f80000100000000
	v_bfe_u32 v44, v44, 24, 7
	s_mov_b32 s23, exec_lo
	s_delay_alu instid0(VALU_DEP_1)
	v_cmpx_ne_u32_e32 0x7f, v44
	s_cbranch_execz .LBB203_656
; %bb.653:                              ;   in Loop: Header=BB203_557 Depth=1
	v_dual_lshrrev_b32 v40, 3, v44 :: v_dual_bitop2_b32 v22, 7, v45 bitop3:0x40
	s_mov_b32 s24, exec_lo
	v_cmpx_gt_u32_e32 8, v44
; %bb.654:                              ;   in Loop: Header=BB203_557 Depth=1
	s_delay_alu instid0(VALU_DEP_2) | instskip(NEXT) | instid1(VALU_DEP_1)
	v_clz_i32_u32_e32 v40, v22
	v_min_u32_e32 v40, 32, v40
	s_delay_alu instid0(VALU_DEP_1) | instskip(NEXT) | instid1(VALU_DEP_1)
	v_subrev_nc_u32_e32 v41, 28, v40
	v_lshlrev_b64_e32 v[46:47], v41, v[22:23]
	s_delay_alu instid0(VALU_DEP_1)
	v_dual_sub_nc_u32 v40, 29, v40 :: v_dual_bitop2_b32 v22, 7, v46 bitop3:0x40
; %bb.655:                              ;   in Loop: Header=BB203_557 Depth=1
	s_or_b32 exec_lo, exec_lo, s24
	s_delay_alu instid0(VALU_DEP_1) | instskip(NEXT) | instid1(VALU_DEP_2)
	v_dual_lshlrev_b32 v41, 24, v45 :: v_dual_lshlrev_b32 v22, 20, v22
	v_lshl_add_u32 v40, v40, 23, 0x3c000000
	s_delay_alu instid0(VALU_DEP_2) | instskip(NEXT) | instid1(VALU_DEP_1)
	v_and_b32_e32 v41, 0x80000000, v41
	v_or3_b32 v41, v22, v41, v40
	v_mov_b32_e32 v40, v23
.LBB203_656:                            ;   in Loop: Header=BB203_557 Depth=1
	s_or_b32 exec_lo, exec_lo, s23
.LBB203_657:                            ;   in Loop: Header=BB203_557 Depth=1
	s_delay_alu instid0(SALU_CYCLE_1)
	s_or_b32 exec_lo, exec_lo, s22
.LBB203_658:                            ;   in Loop: Header=BB203_557 Depth=1
	s_delay_alu instid0(SALU_CYCLE_1)
	s_or_b32 exec_lo, exec_lo, s21
	v_or_b32_e32 v1, v1, v39
	v_or_b32_e32 v0, v0, v38
	v_mov_b64_e32 v[38:39], s[4:5]
	v_or_b32_e32 v43, v41, v43
	v_or_b32_e32 v42, v40, v42
	s_delay_alu instid0(VALU_DEP_3) | instskip(NEXT) | instid1(VALU_DEP_2)
	v_pk_mul_f32 v[40:41], v[38:39], v[0:1]
	v_pk_mul_f32 v[38:39], v[38:39], v[42:43]
	s_and_saveexec_b32 s21, vcc_lo
	s_cbranch_execz .LBB203_660
; %bb.659:                              ;   in Loop: Header=BB203_557 Depth=1
	v_cmp_gt_i32_e64 s0, s31, v67
	s_delay_alu instid0(VALU_DEP_1) | instskip(SKIP_1) | instid1(VALU_DEP_1)
	v_cndmask_b32_e64 v40, 0, v40, s0
	v_cmp_gt_i32_e64 s0, s31, v103
	v_cndmask_b32_e64 v41, 0, v41, s0
	v_cmp_gt_i32_e64 s0, s31, v95
	s_delay_alu instid0(VALU_DEP_1) | instskip(SKIP_1) | instid1(VALU_DEP_1)
	v_cndmask_b32_e64 v38, 0, v38, s0
	v_cmp_gt_i32_e64 s0, s31, v94
	v_cndmask_b32_e64 v39, 0, v39, s0
.LBB203_660:                            ;   in Loop: Header=BB203_557 Depth=1
	s_or_b32 exec_lo, exec_lo, s21
	global_load_b32 v48, v[32:33], off offset:384
	v_mov_b64_e32 v[0:1], 0
	v_mov_b64_e32 v[42:43], 0
	s_mov_b32 s21, exec_lo
	s_wait_loadcnt 0x0
	v_and_b32_e32 v22, 0xff, v48
	s_delay_alu instid0(VALU_DEP_1)
	v_cmpx_ne_u16_e32 0, v22
	s_cbranch_execz .LBB203_668
; %bb.661:                              ;   in Loop: Header=BB203_557 Depth=1
	v_mov_b64_e32 v[42:43], 0x80000000
	s_mov_b32 s22, exec_lo
	v_cmpx_ne_u16_e32 0x80, v22
	s_cbranch_execz .LBB203_667
; %bb.662:                              ;   in Loop: Header=BB203_557 Depth=1
	v_mov_b64_e32 v[42:43], 0x7f800001
	v_and_b32_e32 v44, 0x7f, v48
	s_mov_b32 s23, exec_lo
	s_delay_alu instid0(VALU_DEP_1)
	v_cmpx_ne_u32_e32 0x7f, v44
	s_cbranch_execz .LBB203_666
; %bb.663:                              ;   in Loop: Header=BB203_557 Depth=1
	v_and_b32_e32 v22, 7, v48
	v_lshrrev_b32_e32 v42, 3, v44
	s_mov_b32 s24, exec_lo
	v_cmpx_gt_u32_e32 8, v44
; %bb.664:                              ;   in Loop: Header=BB203_557 Depth=1
	s_delay_alu instid0(VALU_DEP_3) | instskip(NEXT) | instid1(VALU_DEP_1)
	v_clz_i32_u32_e32 v42, v22
	v_min_u32_e32 v42, 32, v42
	s_delay_alu instid0(VALU_DEP_1) | instskip(NEXT) | instid1(VALU_DEP_1)
	v_subrev_nc_u32_e32 v43, 28, v42
	v_lshlrev_b64_e32 v[44:45], v43, v[22:23]
	s_delay_alu instid0(VALU_DEP_1)
	v_dual_sub_nc_u32 v42, 29, v42 :: v_dual_bitop2_b32 v22, 7, v44 bitop3:0x40
; %bb.665:                              ;   in Loop: Header=BB203_557 Depth=1
	s_or_b32 exec_lo, exec_lo, s24
	s_delay_alu instid0(VALU_DEP_1) | instskip(NEXT) | instid1(VALU_DEP_2)
	v_dual_lshlrev_b32 v43, 24, v48 :: v_dual_lshlrev_b32 v22, 20, v22
	v_lshl_add_u32 v42, v42, 23, 0x3c000000
	s_delay_alu instid0(VALU_DEP_2) | instskip(NEXT) | instid1(VALU_DEP_1)
	v_and_b32_e32 v43, 0x80000000, v43
	v_or3_b32 v22, v22, v43, v42
	s_delay_alu instid0(VALU_DEP_1)
	v_mov_b64_e32 v[42:43], v[22:23]
.LBB203_666:                            ;   in Loop: Header=BB203_557 Depth=1
	s_or_b32 exec_lo, exec_lo, s23
.LBB203_667:                            ;   in Loop: Header=BB203_557 Depth=1
	s_delay_alu instid0(SALU_CYCLE_1)
	s_or_b32 exec_lo, exec_lo, s22
.LBB203_668:                            ;   in Loop: Header=BB203_557 Depth=1
	s_delay_alu instid0(SALU_CYCLE_1) | instskip(SKIP_2) | instid1(VALU_DEP_1)
	s_or_b32 exec_lo, exec_lo, s21
	v_lshrrev_b16 v22, 8, v48
	s_mov_b32 s21, exec_lo
	v_cmpx_ne_u16_e32 0, v22
	s_cbranch_execz .LBB203_676
; %bb.669:                              ;   in Loop: Header=BB203_557 Depth=1
	v_mov_b64_e32 v[0:1], 0x8000000000000000
	s_mov_b32 s22, exec_lo
	v_cmpx_ne_u16_e32 0x80, v22
	s_cbranch_execz .LBB203_675
; %bb.670:                              ;   in Loop: Header=BB203_557 Depth=1
	v_and_b32_e32 v22, 0xffff, v22
	v_mov_b64_e32 v[0:1], 0x7f80000100000000
	s_mov_b32 s23, exec_lo
	s_delay_alu instid0(VALU_DEP_2) | instskip(NEXT) | instid1(VALU_DEP_1)
	v_and_b32_e32 v44, 0x7f, v22
	v_cmpx_ne_u32_e32 0x7f, v44
	s_cbranch_execz .LBB203_674
; %bb.671:                              ;   in Loop: Header=BB203_557 Depth=1
	v_dual_lshrrev_b32 v0, 3, v44 :: v_dual_bitop2_b32 v22, 7, v22 bitop3:0x40
	s_mov_b32 s24, exec_lo
	v_cmpx_gt_u32_e32 8, v44
; %bb.672:                              ;   in Loop: Header=BB203_557 Depth=1
	s_delay_alu instid0(VALU_DEP_2) | instskip(NEXT) | instid1(VALU_DEP_1)
	v_clz_i32_u32_e32 v0, v22
	v_min_u32_e32 v0, 32, v0
	s_delay_alu instid0(VALU_DEP_1) | instskip(SKIP_1) | instid1(VALU_DEP_2)
	v_subrev_nc_u32_e32 v1, 28, v0
	v_sub_nc_u32_e32 v0, 29, v0
	v_lshlrev_b64_e32 v[44:45], v1, v[22:23]
	s_delay_alu instid0(VALU_DEP_1)
	v_and_b32_e32 v22, 7, v44
; %bb.673:                              ;   in Loop: Header=BB203_557 Depth=1
	s_or_b32 exec_lo, exec_lo, s24
	s_delay_alu instid0(VALU_DEP_1) | instskip(SKIP_1) | instid1(VALU_DEP_2)
	v_dual_lshlrev_b32 v1, 16, v48 :: v_dual_lshlrev_b32 v22, 20, v22
	v_lshl_add_u32 v0, v0, 23, 0x3c000000
	v_and_b32_e32 v1, 0x80000000, v1
	s_delay_alu instid0(VALU_DEP_1)
	v_or3_b32 v1, v22, v1, v0
	v_mov_b32_e32 v0, v23
.LBB203_674:                            ;   in Loop: Header=BB203_557 Depth=1
	s_or_b32 exec_lo, exec_lo, s23
.LBB203_675:                            ;   in Loop: Header=BB203_557 Depth=1
	s_delay_alu instid0(SALU_CYCLE_1)
	s_or_b32 exec_lo, exec_lo, s22
.LBB203_676:                            ;   in Loop: Header=BB203_557 Depth=1
	s_delay_alu instid0(SALU_CYCLE_1) | instskip(SKIP_4) | instid1(VALU_DEP_3)
	s_or_b32 exec_lo, exec_lo, s21
	v_lshrrev_b32_e32 v49, 16, v48
	v_mov_b64_e32 v[44:45], 0
	v_mov_b64_e32 v[46:47], 0
	s_mov_b32 s21, exec_lo
	v_and_b32_e32 v22, 0xff, v49
	s_delay_alu instid0(VALU_DEP_1)
	v_cmpx_ne_u16_e32 0, v22
	s_cbranch_execz .LBB203_684
; %bb.677:                              ;   in Loop: Header=BB203_557 Depth=1
	v_mov_b64_e32 v[46:47], 0x80000000
	s_mov_b32 s22, exec_lo
	v_cmpx_ne_u16_e32 0x80, v22
	s_cbranch_execz .LBB203_683
; %bb.678:                              ;   in Loop: Header=BB203_557 Depth=1
	v_mov_b64_e32 v[46:47], 0x7f800001
	v_bfe_u32 v50, v48, 16, 7
	s_mov_b32 s23, exec_lo
	s_delay_alu instid0(VALU_DEP_1)
	v_cmpx_ne_u32_e32 0x7f, v50
	s_cbranch_execz .LBB203_682
; %bb.679:                              ;   in Loop: Header=BB203_557 Depth=1
	v_dual_lshrrev_b32 v46, 3, v50 :: v_dual_bitop2_b32 v22, 7, v49 bitop3:0x40
	s_mov_b32 s24, exec_lo
	v_cmpx_gt_u32_e32 8, v50
; %bb.680:                              ;   in Loop: Header=BB203_557 Depth=1
	s_delay_alu instid0(VALU_DEP_2) | instskip(NEXT) | instid1(VALU_DEP_1)
	v_clz_i32_u32_e32 v46, v22
	v_min_u32_e32 v46, 32, v46
	s_delay_alu instid0(VALU_DEP_1) | instskip(SKIP_1) | instid1(VALU_DEP_2)
	v_subrev_nc_u32_e32 v47, 28, v46
	v_sub_nc_u32_e32 v46, 29, v46
	v_lshlrev_b64_e32 v[50:51], v47, v[22:23]
	s_delay_alu instid0(VALU_DEP_1)
	v_and_b32_e32 v22, 7, v50
; %bb.681:                              ;   in Loop: Header=BB203_557 Depth=1
	s_or_b32 exec_lo, exec_lo, s24
	s_delay_alu instid0(VALU_DEP_1) | instskip(SKIP_1) | instid1(VALU_DEP_2)
	v_dual_lshlrev_b32 v47, 24, v49 :: v_dual_lshlrev_b32 v22, 20, v22
	v_lshl_add_u32 v46, v46, 23, 0x3c000000
	v_and_b32_e32 v47, 0x80000000, v47
	s_delay_alu instid0(VALU_DEP_1) | instskip(NEXT) | instid1(VALU_DEP_1)
	v_or3_b32 v22, v22, v47, v46
	v_mov_b64_e32 v[46:47], v[22:23]
.LBB203_682:                            ;   in Loop: Header=BB203_557 Depth=1
	s_or_b32 exec_lo, exec_lo, s23
.LBB203_683:                            ;   in Loop: Header=BB203_557 Depth=1
	s_delay_alu instid0(SALU_CYCLE_1)
	s_or_b32 exec_lo, exec_lo, s22
.LBB203_684:                            ;   in Loop: Header=BB203_557 Depth=1
	s_delay_alu instid0(SALU_CYCLE_1) | instskip(NEXT) | instid1(SALU_CYCLE_1)
	s_or_b32 exec_lo, exec_lo, s21
	s_mov_b32 s21, exec_lo
	v_cmpx_lt_u32_e32 0xffffff, v48
	s_cbranch_execz .LBB203_692
; %bb.685:                              ;   in Loop: Header=BB203_557 Depth=1
	v_mov_b64_e32 v[44:45], 0x8000000000000000
	v_lshrrev_b32_e32 v49, 24, v48
	s_mov_b32 s22, exec_lo
	s_delay_alu instid0(VALU_DEP_1)
	v_cmpx_ne_u32_e32 0x80, v49
	s_cbranch_execz .LBB203_691
; %bb.686:                              ;   in Loop: Header=BB203_557 Depth=1
	v_mov_b64_e32 v[44:45], 0x7f80000100000000
	v_bfe_u32 v48, v48, 24, 7
	s_mov_b32 s23, exec_lo
	s_delay_alu instid0(VALU_DEP_1)
	v_cmpx_ne_u32_e32 0x7f, v48
	s_cbranch_execz .LBB203_690
; %bb.687:                              ;   in Loop: Header=BB203_557 Depth=1
	v_dual_lshrrev_b32 v44, 3, v48 :: v_dual_bitop2_b32 v22, 7, v49 bitop3:0x40
	s_mov_b32 s24, exec_lo
	v_cmpx_gt_u32_e32 8, v48
; %bb.688:                              ;   in Loop: Header=BB203_557 Depth=1
	s_delay_alu instid0(VALU_DEP_2) | instskip(NEXT) | instid1(VALU_DEP_1)
	v_clz_i32_u32_e32 v44, v22
	v_min_u32_e32 v44, 32, v44
	s_delay_alu instid0(VALU_DEP_1) | instskip(NEXT) | instid1(VALU_DEP_1)
	v_subrev_nc_u32_e32 v45, 28, v44
	v_lshlrev_b64_e32 v[50:51], v45, v[22:23]
	s_delay_alu instid0(VALU_DEP_1)
	v_dual_sub_nc_u32 v44, 29, v44 :: v_dual_bitop2_b32 v22, 7, v50 bitop3:0x40
; %bb.689:                              ;   in Loop: Header=BB203_557 Depth=1
	s_or_b32 exec_lo, exec_lo, s24
	s_delay_alu instid0(VALU_DEP_1) | instskip(NEXT) | instid1(VALU_DEP_2)
	v_dual_lshlrev_b32 v45, 24, v49 :: v_dual_lshlrev_b32 v22, 20, v22
	v_lshl_add_u32 v44, v44, 23, 0x3c000000
	s_delay_alu instid0(VALU_DEP_2) | instskip(NEXT) | instid1(VALU_DEP_1)
	v_and_b32_e32 v45, 0x80000000, v45
	v_or3_b32 v45, v22, v45, v44
	v_mov_b32_e32 v44, v23
.LBB203_690:                            ;   in Loop: Header=BB203_557 Depth=1
	s_or_b32 exec_lo, exec_lo, s23
.LBB203_691:                            ;   in Loop: Header=BB203_557 Depth=1
	s_delay_alu instid0(SALU_CYCLE_1)
	s_or_b32 exec_lo, exec_lo, s22
.LBB203_692:                            ;   in Loop: Header=BB203_557 Depth=1
	s_delay_alu instid0(SALU_CYCLE_1)
	s_or_b32 exec_lo, exec_lo, s21
	v_or_b32_e32 v1, v1, v43
	v_or_b32_e32 v0, v0, v42
	v_mov_b64_e32 v[42:43], s[4:5]
	v_or_b32_e32 v47, v45, v47
	v_or_b32_e32 v46, v44, v46
	s_delay_alu instid0(VALU_DEP_3) | instskip(NEXT) | instid1(VALU_DEP_2)
	v_pk_mul_f32 v[44:45], v[42:43], v[0:1]
	v_pk_mul_f32 v[42:43], v[42:43], v[46:47]
	s_and_saveexec_b32 s21, vcc_lo
	s_cbranch_execz .LBB203_694
; %bb.693:                              ;   in Loop: Header=BB203_557 Depth=1
	v_cmp_gt_i32_e64 s0, s31, v67
	s_delay_alu instid0(VALU_DEP_1) | instskip(SKIP_1) | instid1(VALU_DEP_1)
	v_cndmask_b32_e64 v44, 0, v44, s0
	v_cmp_gt_i32_e64 s0, s31, v103
	v_cndmask_b32_e64 v45, 0, v45, s0
	v_cmp_gt_i32_e64 s0, s31, v95
	s_delay_alu instid0(VALU_DEP_1) | instskip(SKIP_1) | instid1(VALU_DEP_1)
	v_cndmask_b32_e64 v42, 0, v42, s0
	v_cmp_gt_i32_e64 s0, s31, v94
	v_cndmask_b32_e64 v43, 0, v43, s0
.LBB203_694:                            ;   in Loop: Header=BB203_557 Depth=1
	s_or_b32 exec_lo, exec_lo, s21
	global_load_b32 v52, v[32:33], off offset:512
	v_mov_b64_e32 v[0:1], 0
	v_mov_b64_e32 v[46:47], 0
	s_mov_b32 s21, exec_lo
	s_wait_loadcnt 0x0
	v_and_b32_e32 v22, 0xff, v52
	s_delay_alu instid0(VALU_DEP_1)
	v_cmpx_ne_u16_e32 0, v22
	s_cbranch_execz .LBB203_702
; %bb.695:                              ;   in Loop: Header=BB203_557 Depth=1
	v_mov_b64_e32 v[46:47], 0x80000000
	s_mov_b32 s22, exec_lo
	v_cmpx_ne_u16_e32 0x80, v22
	s_cbranch_execz .LBB203_701
; %bb.696:                              ;   in Loop: Header=BB203_557 Depth=1
	v_mov_b64_e32 v[46:47], 0x7f800001
	v_and_b32_e32 v48, 0x7f, v52
	s_mov_b32 s23, exec_lo
	s_delay_alu instid0(VALU_DEP_1)
	v_cmpx_ne_u32_e32 0x7f, v48
	s_cbranch_execz .LBB203_700
; %bb.697:                              ;   in Loop: Header=BB203_557 Depth=1
	v_and_b32_e32 v22, 7, v52
	v_lshrrev_b32_e32 v46, 3, v48
	s_mov_b32 s24, exec_lo
	v_cmpx_gt_u32_e32 8, v48
; %bb.698:                              ;   in Loop: Header=BB203_557 Depth=1
	s_delay_alu instid0(VALU_DEP_3) | instskip(NEXT) | instid1(VALU_DEP_1)
	v_clz_i32_u32_e32 v46, v22
	v_min_u32_e32 v46, 32, v46
	s_delay_alu instid0(VALU_DEP_1) | instskip(NEXT) | instid1(VALU_DEP_1)
	v_subrev_nc_u32_e32 v47, 28, v46
	v_lshlrev_b64_e32 v[48:49], v47, v[22:23]
	s_delay_alu instid0(VALU_DEP_1)
	v_dual_sub_nc_u32 v46, 29, v46 :: v_dual_bitop2_b32 v22, 7, v48 bitop3:0x40
; %bb.699:                              ;   in Loop: Header=BB203_557 Depth=1
	s_or_b32 exec_lo, exec_lo, s24
	s_delay_alu instid0(VALU_DEP_1) | instskip(NEXT) | instid1(VALU_DEP_2)
	v_dual_lshlrev_b32 v47, 24, v52 :: v_dual_lshlrev_b32 v22, 20, v22
	v_lshl_add_u32 v46, v46, 23, 0x3c000000
	s_delay_alu instid0(VALU_DEP_2) | instskip(NEXT) | instid1(VALU_DEP_1)
	v_and_b32_e32 v47, 0x80000000, v47
	v_or3_b32 v22, v22, v47, v46
	s_delay_alu instid0(VALU_DEP_1)
	v_mov_b64_e32 v[46:47], v[22:23]
.LBB203_700:                            ;   in Loop: Header=BB203_557 Depth=1
	s_or_b32 exec_lo, exec_lo, s23
.LBB203_701:                            ;   in Loop: Header=BB203_557 Depth=1
	s_delay_alu instid0(SALU_CYCLE_1)
	s_or_b32 exec_lo, exec_lo, s22
.LBB203_702:                            ;   in Loop: Header=BB203_557 Depth=1
	s_delay_alu instid0(SALU_CYCLE_1) | instskip(SKIP_2) | instid1(VALU_DEP_1)
	s_or_b32 exec_lo, exec_lo, s21
	v_lshrrev_b16 v22, 8, v52
	s_mov_b32 s21, exec_lo
	v_cmpx_ne_u16_e32 0, v22
	s_cbranch_execz .LBB203_710
; %bb.703:                              ;   in Loop: Header=BB203_557 Depth=1
	v_mov_b64_e32 v[0:1], 0x8000000000000000
	s_mov_b32 s22, exec_lo
	v_cmpx_ne_u16_e32 0x80, v22
	s_cbranch_execz .LBB203_709
; %bb.704:                              ;   in Loop: Header=BB203_557 Depth=1
	v_and_b32_e32 v22, 0xffff, v22
	v_mov_b64_e32 v[0:1], 0x7f80000100000000
	s_mov_b32 s23, exec_lo
	s_delay_alu instid0(VALU_DEP_2) | instskip(NEXT) | instid1(VALU_DEP_1)
	v_and_b32_e32 v48, 0x7f, v22
	v_cmpx_ne_u32_e32 0x7f, v48
	s_cbranch_execz .LBB203_708
; %bb.705:                              ;   in Loop: Header=BB203_557 Depth=1
	v_dual_lshrrev_b32 v0, 3, v48 :: v_dual_bitop2_b32 v22, 7, v22 bitop3:0x40
	s_mov_b32 s24, exec_lo
	v_cmpx_gt_u32_e32 8, v48
; %bb.706:                              ;   in Loop: Header=BB203_557 Depth=1
	s_delay_alu instid0(VALU_DEP_2) | instskip(NEXT) | instid1(VALU_DEP_1)
	v_clz_i32_u32_e32 v0, v22
	v_min_u32_e32 v0, 32, v0
	s_delay_alu instid0(VALU_DEP_1) | instskip(SKIP_1) | instid1(VALU_DEP_2)
	v_subrev_nc_u32_e32 v1, 28, v0
	v_sub_nc_u32_e32 v0, 29, v0
	v_lshlrev_b64_e32 v[48:49], v1, v[22:23]
	s_delay_alu instid0(VALU_DEP_1)
	v_and_b32_e32 v22, 7, v48
; %bb.707:                              ;   in Loop: Header=BB203_557 Depth=1
	s_or_b32 exec_lo, exec_lo, s24
	s_delay_alu instid0(VALU_DEP_1) | instskip(SKIP_1) | instid1(VALU_DEP_2)
	v_dual_lshlrev_b32 v1, 16, v52 :: v_dual_lshlrev_b32 v22, 20, v22
	v_lshl_add_u32 v0, v0, 23, 0x3c000000
	v_and_b32_e32 v1, 0x80000000, v1
	s_delay_alu instid0(VALU_DEP_1)
	v_or3_b32 v1, v22, v1, v0
	v_mov_b32_e32 v0, v23
.LBB203_708:                            ;   in Loop: Header=BB203_557 Depth=1
	s_or_b32 exec_lo, exec_lo, s23
.LBB203_709:                            ;   in Loop: Header=BB203_557 Depth=1
	s_delay_alu instid0(SALU_CYCLE_1)
	s_or_b32 exec_lo, exec_lo, s22
.LBB203_710:                            ;   in Loop: Header=BB203_557 Depth=1
	s_delay_alu instid0(SALU_CYCLE_1) | instskip(SKIP_4) | instid1(VALU_DEP_3)
	s_or_b32 exec_lo, exec_lo, s21
	v_lshrrev_b32_e32 v53, 16, v52
	v_mov_b64_e32 v[48:49], 0
	v_mov_b64_e32 v[50:51], 0
	s_mov_b32 s21, exec_lo
	v_and_b32_e32 v22, 0xff, v53
	s_delay_alu instid0(VALU_DEP_1)
	v_cmpx_ne_u16_e32 0, v22
	s_cbranch_execz .LBB203_718
; %bb.711:                              ;   in Loop: Header=BB203_557 Depth=1
	v_mov_b64_e32 v[50:51], 0x80000000
	s_mov_b32 s22, exec_lo
	v_cmpx_ne_u16_e32 0x80, v22
	s_cbranch_execz .LBB203_717
; %bb.712:                              ;   in Loop: Header=BB203_557 Depth=1
	v_mov_b64_e32 v[50:51], 0x7f800001
	v_bfe_u32 v54, v52, 16, 7
	s_mov_b32 s23, exec_lo
	s_delay_alu instid0(VALU_DEP_1)
	v_cmpx_ne_u32_e32 0x7f, v54
	s_cbranch_execz .LBB203_716
; %bb.713:                              ;   in Loop: Header=BB203_557 Depth=1
	v_dual_lshrrev_b32 v50, 3, v54 :: v_dual_bitop2_b32 v22, 7, v53 bitop3:0x40
	s_mov_b32 s24, exec_lo
	v_cmpx_gt_u32_e32 8, v54
; %bb.714:                              ;   in Loop: Header=BB203_557 Depth=1
	s_delay_alu instid0(VALU_DEP_2) | instskip(NEXT) | instid1(VALU_DEP_1)
	v_clz_i32_u32_e32 v50, v22
	v_min_u32_e32 v50, 32, v50
	s_delay_alu instid0(VALU_DEP_1) | instskip(SKIP_1) | instid1(VALU_DEP_2)
	v_subrev_nc_u32_e32 v51, 28, v50
	v_sub_nc_u32_e32 v50, 29, v50
	v_lshlrev_b64_e32 v[54:55], v51, v[22:23]
	s_delay_alu instid0(VALU_DEP_1)
	v_and_b32_e32 v22, 7, v54
; %bb.715:                              ;   in Loop: Header=BB203_557 Depth=1
	s_or_b32 exec_lo, exec_lo, s24
	s_delay_alu instid0(VALU_DEP_1) | instskip(SKIP_1) | instid1(VALU_DEP_2)
	v_dual_lshlrev_b32 v51, 24, v53 :: v_dual_lshlrev_b32 v22, 20, v22
	v_lshl_add_u32 v50, v50, 23, 0x3c000000
	v_and_b32_e32 v51, 0x80000000, v51
	s_delay_alu instid0(VALU_DEP_1) | instskip(NEXT) | instid1(VALU_DEP_1)
	v_or3_b32 v22, v22, v51, v50
	v_mov_b64_e32 v[50:51], v[22:23]
.LBB203_716:                            ;   in Loop: Header=BB203_557 Depth=1
	s_or_b32 exec_lo, exec_lo, s23
.LBB203_717:                            ;   in Loop: Header=BB203_557 Depth=1
	s_delay_alu instid0(SALU_CYCLE_1)
	s_or_b32 exec_lo, exec_lo, s22
.LBB203_718:                            ;   in Loop: Header=BB203_557 Depth=1
	s_delay_alu instid0(SALU_CYCLE_1) | instskip(NEXT) | instid1(SALU_CYCLE_1)
	s_or_b32 exec_lo, exec_lo, s21
	s_mov_b32 s21, exec_lo
	v_cmpx_lt_u32_e32 0xffffff, v52
	s_cbranch_execz .LBB203_726
; %bb.719:                              ;   in Loop: Header=BB203_557 Depth=1
	v_mov_b64_e32 v[48:49], 0x8000000000000000
	v_lshrrev_b32_e32 v53, 24, v52
	s_mov_b32 s22, exec_lo
	s_delay_alu instid0(VALU_DEP_1)
	v_cmpx_ne_u32_e32 0x80, v53
	s_cbranch_execz .LBB203_725
; %bb.720:                              ;   in Loop: Header=BB203_557 Depth=1
	v_mov_b64_e32 v[48:49], 0x7f80000100000000
	v_bfe_u32 v52, v52, 24, 7
	s_mov_b32 s23, exec_lo
	s_delay_alu instid0(VALU_DEP_1)
	v_cmpx_ne_u32_e32 0x7f, v52
	s_cbranch_execz .LBB203_724
; %bb.721:                              ;   in Loop: Header=BB203_557 Depth=1
	v_dual_lshrrev_b32 v48, 3, v52 :: v_dual_bitop2_b32 v22, 7, v53 bitop3:0x40
	s_mov_b32 s24, exec_lo
	v_cmpx_gt_u32_e32 8, v52
; %bb.722:                              ;   in Loop: Header=BB203_557 Depth=1
	s_delay_alu instid0(VALU_DEP_2) | instskip(NEXT) | instid1(VALU_DEP_1)
	v_clz_i32_u32_e32 v48, v22
	v_min_u32_e32 v48, 32, v48
	s_delay_alu instid0(VALU_DEP_1) | instskip(NEXT) | instid1(VALU_DEP_1)
	v_subrev_nc_u32_e32 v49, 28, v48
	v_lshlrev_b64_e32 v[54:55], v49, v[22:23]
	s_delay_alu instid0(VALU_DEP_1)
	v_dual_sub_nc_u32 v48, 29, v48 :: v_dual_bitop2_b32 v22, 7, v54 bitop3:0x40
; %bb.723:                              ;   in Loop: Header=BB203_557 Depth=1
	s_or_b32 exec_lo, exec_lo, s24
	s_delay_alu instid0(VALU_DEP_1) | instskip(NEXT) | instid1(VALU_DEP_2)
	v_dual_lshlrev_b32 v49, 24, v53 :: v_dual_lshlrev_b32 v22, 20, v22
	v_lshl_add_u32 v48, v48, 23, 0x3c000000
	s_delay_alu instid0(VALU_DEP_2) | instskip(NEXT) | instid1(VALU_DEP_1)
	v_and_b32_e32 v49, 0x80000000, v49
	v_or3_b32 v49, v22, v49, v48
	v_mov_b32_e32 v48, v23
.LBB203_724:                            ;   in Loop: Header=BB203_557 Depth=1
	s_or_b32 exec_lo, exec_lo, s23
.LBB203_725:                            ;   in Loop: Header=BB203_557 Depth=1
	s_delay_alu instid0(SALU_CYCLE_1)
	s_or_b32 exec_lo, exec_lo, s22
.LBB203_726:                            ;   in Loop: Header=BB203_557 Depth=1
	s_delay_alu instid0(SALU_CYCLE_1)
	s_or_b32 exec_lo, exec_lo, s21
	v_or_b32_e32 v1, v1, v47
	v_or_b32_e32 v0, v0, v46
	v_mov_b64_e32 v[46:47], s[4:5]
	v_or_b32_e32 v51, v49, v51
	v_or_b32_e32 v50, v48, v50
	s_delay_alu instid0(VALU_DEP_3) | instskip(NEXT) | instid1(VALU_DEP_2)
	v_pk_mul_f32 v[48:49], v[46:47], v[0:1]
	v_pk_mul_f32 v[46:47], v[46:47], v[50:51]
	s_and_saveexec_b32 s21, vcc_lo
	s_cbranch_execz .LBB203_728
; %bb.727:                              ;   in Loop: Header=BB203_557 Depth=1
	v_cmp_gt_i32_e64 s0, s31, v67
	s_delay_alu instid0(VALU_DEP_1) | instskip(SKIP_1) | instid1(VALU_DEP_1)
	v_cndmask_b32_e64 v48, 0, v48, s0
	v_cmp_gt_i32_e64 s0, s31, v103
	v_cndmask_b32_e64 v49, 0, v49, s0
	v_cmp_gt_i32_e64 s0, s31, v95
	s_delay_alu instid0(VALU_DEP_1) | instskip(SKIP_1) | instid1(VALU_DEP_1)
	v_cndmask_b32_e64 v46, 0, v46, s0
	v_cmp_gt_i32_e64 s0, s31, v94
	v_cndmask_b32_e64 v47, 0, v47, s0
.LBB203_728:                            ;   in Loop: Header=BB203_557 Depth=1
	s_or_b32 exec_lo, exec_lo, s21
	global_load_b32 v56, v[32:33], off offset:640
	v_mov_b64_e32 v[0:1], 0
	v_mov_b64_e32 v[50:51], 0
	s_mov_b32 s21, exec_lo
	s_wait_loadcnt 0x0
	v_and_b32_e32 v22, 0xff, v56
	s_delay_alu instid0(VALU_DEP_1)
	v_cmpx_ne_u16_e32 0, v22
	s_cbranch_execz .LBB203_736
; %bb.729:                              ;   in Loop: Header=BB203_557 Depth=1
	v_mov_b64_e32 v[50:51], 0x80000000
	s_mov_b32 s22, exec_lo
	v_cmpx_ne_u16_e32 0x80, v22
	s_cbranch_execz .LBB203_735
; %bb.730:                              ;   in Loop: Header=BB203_557 Depth=1
	v_mov_b64_e32 v[50:51], 0x7f800001
	v_and_b32_e32 v52, 0x7f, v56
	s_mov_b32 s23, exec_lo
	s_delay_alu instid0(VALU_DEP_1)
	v_cmpx_ne_u32_e32 0x7f, v52
	s_cbranch_execz .LBB203_734
; %bb.731:                              ;   in Loop: Header=BB203_557 Depth=1
	v_and_b32_e32 v22, 7, v56
	v_lshrrev_b32_e32 v50, 3, v52
	s_mov_b32 s24, exec_lo
	v_cmpx_gt_u32_e32 8, v52
; %bb.732:                              ;   in Loop: Header=BB203_557 Depth=1
	s_delay_alu instid0(VALU_DEP_3) | instskip(NEXT) | instid1(VALU_DEP_1)
	v_clz_i32_u32_e32 v50, v22
	v_min_u32_e32 v50, 32, v50
	s_delay_alu instid0(VALU_DEP_1) | instskip(NEXT) | instid1(VALU_DEP_1)
	v_subrev_nc_u32_e32 v51, 28, v50
	v_lshlrev_b64_e32 v[52:53], v51, v[22:23]
	s_delay_alu instid0(VALU_DEP_1)
	v_dual_sub_nc_u32 v50, 29, v50 :: v_dual_bitop2_b32 v22, 7, v52 bitop3:0x40
; %bb.733:                              ;   in Loop: Header=BB203_557 Depth=1
	s_or_b32 exec_lo, exec_lo, s24
	s_delay_alu instid0(VALU_DEP_1) | instskip(NEXT) | instid1(VALU_DEP_2)
	v_dual_lshlrev_b32 v51, 24, v56 :: v_dual_lshlrev_b32 v22, 20, v22
	v_lshl_add_u32 v50, v50, 23, 0x3c000000
	s_delay_alu instid0(VALU_DEP_2) | instskip(NEXT) | instid1(VALU_DEP_1)
	v_and_b32_e32 v51, 0x80000000, v51
	v_or3_b32 v22, v22, v51, v50
	s_delay_alu instid0(VALU_DEP_1)
	v_mov_b64_e32 v[50:51], v[22:23]
.LBB203_734:                            ;   in Loop: Header=BB203_557 Depth=1
	s_or_b32 exec_lo, exec_lo, s23
.LBB203_735:                            ;   in Loop: Header=BB203_557 Depth=1
	s_delay_alu instid0(SALU_CYCLE_1)
	s_or_b32 exec_lo, exec_lo, s22
.LBB203_736:                            ;   in Loop: Header=BB203_557 Depth=1
	s_delay_alu instid0(SALU_CYCLE_1) | instskip(SKIP_2) | instid1(VALU_DEP_1)
	s_or_b32 exec_lo, exec_lo, s21
	v_lshrrev_b16 v22, 8, v56
	s_mov_b32 s21, exec_lo
	v_cmpx_ne_u16_e32 0, v22
	s_cbranch_execz .LBB203_744
; %bb.737:                              ;   in Loop: Header=BB203_557 Depth=1
	v_mov_b64_e32 v[0:1], 0x8000000000000000
	s_mov_b32 s22, exec_lo
	v_cmpx_ne_u16_e32 0x80, v22
	s_cbranch_execz .LBB203_743
; %bb.738:                              ;   in Loop: Header=BB203_557 Depth=1
	v_and_b32_e32 v22, 0xffff, v22
	v_mov_b64_e32 v[0:1], 0x7f80000100000000
	s_mov_b32 s23, exec_lo
	s_delay_alu instid0(VALU_DEP_2) | instskip(NEXT) | instid1(VALU_DEP_1)
	v_and_b32_e32 v52, 0x7f, v22
	v_cmpx_ne_u32_e32 0x7f, v52
	s_cbranch_execz .LBB203_742
; %bb.739:                              ;   in Loop: Header=BB203_557 Depth=1
	v_dual_lshrrev_b32 v0, 3, v52 :: v_dual_bitop2_b32 v22, 7, v22 bitop3:0x40
	s_mov_b32 s24, exec_lo
	v_cmpx_gt_u32_e32 8, v52
; %bb.740:                              ;   in Loop: Header=BB203_557 Depth=1
	s_delay_alu instid0(VALU_DEP_2) | instskip(NEXT) | instid1(VALU_DEP_1)
	v_clz_i32_u32_e32 v0, v22
	v_min_u32_e32 v0, 32, v0
	s_delay_alu instid0(VALU_DEP_1) | instskip(SKIP_1) | instid1(VALU_DEP_2)
	v_subrev_nc_u32_e32 v1, 28, v0
	v_sub_nc_u32_e32 v0, 29, v0
	v_lshlrev_b64_e32 v[52:53], v1, v[22:23]
	s_delay_alu instid0(VALU_DEP_1)
	v_and_b32_e32 v22, 7, v52
; %bb.741:                              ;   in Loop: Header=BB203_557 Depth=1
	s_or_b32 exec_lo, exec_lo, s24
	s_delay_alu instid0(VALU_DEP_1) | instskip(SKIP_1) | instid1(VALU_DEP_2)
	v_dual_lshlrev_b32 v1, 16, v56 :: v_dual_lshlrev_b32 v22, 20, v22
	v_lshl_add_u32 v0, v0, 23, 0x3c000000
	v_and_b32_e32 v1, 0x80000000, v1
	s_delay_alu instid0(VALU_DEP_1)
	v_or3_b32 v1, v22, v1, v0
	v_mov_b32_e32 v0, v23
.LBB203_742:                            ;   in Loop: Header=BB203_557 Depth=1
	s_or_b32 exec_lo, exec_lo, s23
.LBB203_743:                            ;   in Loop: Header=BB203_557 Depth=1
	s_delay_alu instid0(SALU_CYCLE_1)
	s_or_b32 exec_lo, exec_lo, s22
.LBB203_744:                            ;   in Loop: Header=BB203_557 Depth=1
	s_delay_alu instid0(SALU_CYCLE_1) | instskip(SKIP_4) | instid1(VALU_DEP_3)
	s_or_b32 exec_lo, exec_lo, s21
	v_lshrrev_b32_e32 v57, 16, v56
	v_mov_b64_e32 v[52:53], 0
	v_mov_b64_e32 v[54:55], 0
	s_mov_b32 s21, exec_lo
	v_and_b32_e32 v22, 0xff, v57
	s_delay_alu instid0(VALU_DEP_1)
	v_cmpx_ne_u16_e32 0, v22
	s_cbranch_execz .LBB203_752
; %bb.745:                              ;   in Loop: Header=BB203_557 Depth=1
	v_mov_b64_e32 v[54:55], 0x80000000
	s_mov_b32 s22, exec_lo
	v_cmpx_ne_u16_e32 0x80, v22
	s_cbranch_execz .LBB203_751
; %bb.746:                              ;   in Loop: Header=BB203_557 Depth=1
	v_mov_b64_e32 v[54:55], 0x7f800001
	v_bfe_u32 v58, v56, 16, 7
	s_mov_b32 s23, exec_lo
	s_delay_alu instid0(VALU_DEP_1)
	v_cmpx_ne_u32_e32 0x7f, v58
	s_cbranch_execz .LBB203_750
; %bb.747:                              ;   in Loop: Header=BB203_557 Depth=1
	v_dual_lshrrev_b32 v54, 3, v58 :: v_dual_bitop2_b32 v22, 7, v57 bitop3:0x40
	s_mov_b32 s24, exec_lo
	v_cmpx_gt_u32_e32 8, v58
; %bb.748:                              ;   in Loop: Header=BB203_557 Depth=1
	s_delay_alu instid0(VALU_DEP_2) | instskip(NEXT) | instid1(VALU_DEP_1)
	v_clz_i32_u32_e32 v54, v22
	v_min_u32_e32 v54, 32, v54
	s_delay_alu instid0(VALU_DEP_1) | instskip(SKIP_1) | instid1(VALU_DEP_2)
	v_subrev_nc_u32_e32 v55, 28, v54
	v_sub_nc_u32_e32 v54, 29, v54
	v_lshlrev_b64_e32 v[58:59], v55, v[22:23]
	s_delay_alu instid0(VALU_DEP_1)
	v_and_b32_e32 v22, 7, v58
; %bb.749:                              ;   in Loop: Header=BB203_557 Depth=1
	s_or_b32 exec_lo, exec_lo, s24
	s_delay_alu instid0(VALU_DEP_1) | instskip(SKIP_1) | instid1(VALU_DEP_2)
	v_dual_lshlrev_b32 v55, 24, v57 :: v_dual_lshlrev_b32 v22, 20, v22
	v_lshl_add_u32 v54, v54, 23, 0x3c000000
	v_and_b32_e32 v55, 0x80000000, v55
	s_delay_alu instid0(VALU_DEP_1) | instskip(NEXT) | instid1(VALU_DEP_1)
	v_or3_b32 v22, v22, v55, v54
	v_mov_b64_e32 v[54:55], v[22:23]
.LBB203_750:                            ;   in Loop: Header=BB203_557 Depth=1
	s_or_b32 exec_lo, exec_lo, s23
.LBB203_751:                            ;   in Loop: Header=BB203_557 Depth=1
	s_delay_alu instid0(SALU_CYCLE_1)
	s_or_b32 exec_lo, exec_lo, s22
.LBB203_752:                            ;   in Loop: Header=BB203_557 Depth=1
	s_delay_alu instid0(SALU_CYCLE_1) | instskip(NEXT) | instid1(SALU_CYCLE_1)
	s_or_b32 exec_lo, exec_lo, s21
	s_mov_b32 s21, exec_lo
	v_cmpx_lt_u32_e32 0xffffff, v56
	s_cbranch_execz .LBB203_760
; %bb.753:                              ;   in Loop: Header=BB203_557 Depth=1
	v_mov_b64_e32 v[52:53], 0x8000000000000000
	v_lshrrev_b32_e32 v57, 24, v56
	s_mov_b32 s22, exec_lo
	s_delay_alu instid0(VALU_DEP_1)
	v_cmpx_ne_u32_e32 0x80, v57
	s_cbranch_execz .LBB203_759
; %bb.754:                              ;   in Loop: Header=BB203_557 Depth=1
	v_mov_b64_e32 v[52:53], 0x7f80000100000000
	v_bfe_u32 v56, v56, 24, 7
	s_mov_b32 s23, exec_lo
	s_delay_alu instid0(VALU_DEP_1)
	v_cmpx_ne_u32_e32 0x7f, v56
	s_cbranch_execz .LBB203_758
; %bb.755:                              ;   in Loop: Header=BB203_557 Depth=1
	v_dual_lshrrev_b32 v52, 3, v56 :: v_dual_bitop2_b32 v22, 7, v57 bitop3:0x40
	s_mov_b32 s24, exec_lo
	v_cmpx_gt_u32_e32 8, v56
; %bb.756:                              ;   in Loop: Header=BB203_557 Depth=1
	s_delay_alu instid0(VALU_DEP_2) | instskip(NEXT) | instid1(VALU_DEP_1)
	v_clz_i32_u32_e32 v52, v22
	v_min_u32_e32 v52, 32, v52
	s_delay_alu instid0(VALU_DEP_1) | instskip(NEXT) | instid1(VALU_DEP_1)
	v_subrev_nc_u32_e32 v53, 28, v52
	v_lshlrev_b64_e32 v[58:59], v53, v[22:23]
	s_delay_alu instid0(VALU_DEP_1)
	v_dual_sub_nc_u32 v52, 29, v52 :: v_dual_bitop2_b32 v22, 7, v58 bitop3:0x40
; %bb.757:                              ;   in Loop: Header=BB203_557 Depth=1
	s_or_b32 exec_lo, exec_lo, s24
	s_delay_alu instid0(VALU_DEP_1) | instskip(NEXT) | instid1(VALU_DEP_2)
	v_dual_lshlrev_b32 v53, 24, v57 :: v_dual_lshlrev_b32 v22, 20, v22
	v_lshl_add_u32 v52, v52, 23, 0x3c000000
	s_delay_alu instid0(VALU_DEP_2) | instskip(NEXT) | instid1(VALU_DEP_1)
	v_and_b32_e32 v53, 0x80000000, v53
	v_or3_b32 v53, v22, v53, v52
	v_mov_b32_e32 v52, v23
.LBB203_758:                            ;   in Loop: Header=BB203_557 Depth=1
	s_or_b32 exec_lo, exec_lo, s23
.LBB203_759:                            ;   in Loop: Header=BB203_557 Depth=1
	s_delay_alu instid0(SALU_CYCLE_1)
	s_or_b32 exec_lo, exec_lo, s22
.LBB203_760:                            ;   in Loop: Header=BB203_557 Depth=1
	s_delay_alu instid0(SALU_CYCLE_1)
	s_or_b32 exec_lo, exec_lo, s21
	v_or_b32_e32 v1, v1, v51
	v_or_b32_e32 v0, v0, v50
	v_mov_b64_e32 v[50:51], s[4:5]
	v_or_b32_e32 v55, v53, v55
	v_or_b32_e32 v54, v52, v54
	s_delay_alu instid0(VALU_DEP_3) | instskip(NEXT) | instid1(VALU_DEP_2)
	v_pk_mul_f32 v[52:53], v[50:51], v[0:1]
	v_pk_mul_f32 v[50:51], v[50:51], v[54:55]
	s_and_saveexec_b32 s21, vcc_lo
	s_cbranch_execz .LBB203_762
; %bb.761:                              ;   in Loop: Header=BB203_557 Depth=1
	v_cmp_gt_i32_e64 s0, s31, v67
	s_delay_alu instid0(VALU_DEP_1) | instskip(SKIP_1) | instid1(VALU_DEP_1)
	v_cndmask_b32_e64 v52, 0, v52, s0
	v_cmp_gt_i32_e64 s0, s31, v103
	v_cndmask_b32_e64 v53, 0, v53, s0
	v_cmp_gt_i32_e64 s0, s31, v95
	s_delay_alu instid0(VALU_DEP_1) | instskip(SKIP_1) | instid1(VALU_DEP_1)
	v_cndmask_b32_e64 v50, 0, v50, s0
	v_cmp_gt_i32_e64 s0, s31, v94
	v_cndmask_b32_e64 v51, 0, v51, s0
.LBB203_762:                            ;   in Loop: Header=BB203_557 Depth=1
	s_or_b32 exec_lo, exec_lo, s21
	global_load_b32 v60, v[32:33], off offset:768
	v_mov_b64_e32 v[0:1], 0
	v_mov_b64_e32 v[54:55], 0
	s_mov_b32 s21, exec_lo
	s_wait_loadcnt 0x0
	v_and_b32_e32 v22, 0xff, v60
	s_delay_alu instid0(VALU_DEP_1)
	v_cmpx_ne_u16_e32 0, v22
	s_cbranch_execz .LBB203_770
; %bb.763:                              ;   in Loop: Header=BB203_557 Depth=1
	v_mov_b64_e32 v[54:55], 0x80000000
	s_mov_b32 s22, exec_lo
	v_cmpx_ne_u16_e32 0x80, v22
	s_cbranch_execz .LBB203_769
; %bb.764:                              ;   in Loop: Header=BB203_557 Depth=1
	v_mov_b64_e32 v[54:55], 0x7f800001
	v_and_b32_e32 v56, 0x7f, v60
	s_mov_b32 s23, exec_lo
	s_delay_alu instid0(VALU_DEP_1)
	v_cmpx_ne_u32_e32 0x7f, v56
	s_cbranch_execz .LBB203_768
; %bb.765:                              ;   in Loop: Header=BB203_557 Depth=1
	v_and_b32_e32 v22, 7, v60
	v_lshrrev_b32_e32 v54, 3, v56
	s_mov_b32 s24, exec_lo
	v_cmpx_gt_u32_e32 8, v56
; %bb.766:                              ;   in Loop: Header=BB203_557 Depth=1
	s_delay_alu instid0(VALU_DEP_3) | instskip(NEXT) | instid1(VALU_DEP_1)
	v_clz_i32_u32_e32 v54, v22
	v_min_u32_e32 v54, 32, v54
	s_delay_alu instid0(VALU_DEP_1) | instskip(NEXT) | instid1(VALU_DEP_1)
	v_subrev_nc_u32_e32 v55, 28, v54
	v_lshlrev_b64_e32 v[56:57], v55, v[22:23]
	s_delay_alu instid0(VALU_DEP_1)
	v_dual_sub_nc_u32 v54, 29, v54 :: v_dual_bitop2_b32 v22, 7, v56 bitop3:0x40
; %bb.767:                              ;   in Loop: Header=BB203_557 Depth=1
	s_or_b32 exec_lo, exec_lo, s24
	s_delay_alu instid0(VALU_DEP_1) | instskip(NEXT) | instid1(VALU_DEP_2)
	v_dual_lshlrev_b32 v55, 24, v60 :: v_dual_lshlrev_b32 v22, 20, v22
	v_lshl_add_u32 v54, v54, 23, 0x3c000000
	s_delay_alu instid0(VALU_DEP_2) | instskip(NEXT) | instid1(VALU_DEP_1)
	v_and_b32_e32 v55, 0x80000000, v55
	v_or3_b32 v22, v22, v55, v54
	s_delay_alu instid0(VALU_DEP_1)
	v_mov_b64_e32 v[54:55], v[22:23]
.LBB203_768:                            ;   in Loop: Header=BB203_557 Depth=1
	s_or_b32 exec_lo, exec_lo, s23
.LBB203_769:                            ;   in Loop: Header=BB203_557 Depth=1
	s_delay_alu instid0(SALU_CYCLE_1)
	s_or_b32 exec_lo, exec_lo, s22
.LBB203_770:                            ;   in Loop: Header=BB203_557 Depth=1
	s_delay_alu instid0(SALU_CYCLE_1) | instskip(SKIP_2) | instid1(VALU_DEP_1)
	s_or_b32 exec_lo, exec_lo, s21
	v_lshrrev_b16 v22, 8, v60
	s_mov_b32 s21, exec_lo
	v_cmpx_ne_u16_e32 0, v22
	s_cbranch_execz .LBB203_778
; %bb.771:                              ;   in Loop: Header=BB203_557 Depth=1
	v_mov_b64_e32 v[0:1], 0x8000000000000000
	s_mov_b32 s22, exec_lo
	v_cmpx_ne_u16_e32 0x80, v22
	s_cbranch_execz .LBB203_777
; %bb.772:                              ;   in Loop: Header=BB203_557 Depth=1
	v_and_b32_e32 v22, 0xffff, v22
	v_mov_b64_e32 v[0:1], 0x7f80000100000000
	s_mov_b32 s23, exec_lo
	s_delay_alu instid0(VALU_DEP_2) | instskip(NEXT) | instid1(VALU_DEP_1)
	v_and_b32_e32 v56, 0x7f, v22
	v_cmpx_ne_u32_e32 0x7f, v56
	s_cbranch_execz .LBB203_776
; %bb.773:                              ;   in Loop: Header=BB203_557 Depth=1
	v_dual_lshrrev_b32 v0, 3, v56 :: v_dual_bitop2_b32 v22, 7, v22 bitop3:0x40
	s_mov_b32 s24, exec_lo
	v_cmpx_gt_u32_e32 8, v56
; %bb.774:                              ;   in Loop: Header=BB203_557 Depth=1
	s_delay_alu instid0(VALU_DEP_2) | instskip(NEXT) | instid1(VALU_DEP_1)
	v_clz_i32_u32_e32 v0, v22
	v_min_u32_e32 v0, 32, v0
	s_delay_alu instid0(VALU_DEP_1) | instskip(SKIP_1) | instid1(VALU_DEP_2)
	v_subrev_nc_u32_e32 v1, 28, v0
	v_sub_nc_u32_e32 v0, 29, v0
	v_lshlrev_b64_e32 v[56:57], v1, v[22:23]
	s_delay_alu instid0(VALU_DEP_1)
	v_and_b32_e32 v22, 7, v56
; %bb.775:                              ;   in Loop: Header=BB203_557 Depth=1
	s_or_b32 exec_lo, exec_lo, s24
	s_delay_alu instid0(VALU_DEP_1) | instskip(SKIP_1) | instid1(VALU_DEP_2)
	v_dual_lshlrev_b32 v1, 16, v60 :: v_dual_lshlrev_b32 v22, 20, v22
	v_lshl_add_u32 v0, v0, 23, 0x3c000000
	v_and_b32_e32 v1, 0x80000000, v1
	s_delay_alu instid0(VALU_DEP_1)
	v_or3_b32 v1, v22, v1, v0
	v_mov_b32_e32 v0, v23
.LBB203_776:                            ;   in Loop: Header=BB203_557 Depth=1
	s_or_b32 exec_lo, exec_lo, s23
.LBB203_777:                            ;   in Loop: Header=BB203_557 Depth=1
	s_delay_alu instid0(SALU_CYCLE_1)
	s_or_b32 exec_lo, exec_lo, s22
.LBB203_778:                            ;   in Loop: Header=BB203_557 Depth=1
	s_delay_alu instid0(SALU_CYCLE_1) | instskip(SKIP_4) | instid1(VALU_DEP_3)
	s_or_b32 exec_lo, exec_lo, s21
	v_lshrrev_b32_e32 v61, 16, v60
	v_mov_b64_e32 v[56:57], 0
	v_mov_b64_e32 v[58:59], 0
	s_mov_b32 s21, exec_lo
	v_and_b32_e32 v22, 0xff, v61
	s_delay_alu instid0(VALU_DEP_1)
	v_cmpx_ne_u16_e32 0, v22
	s_cbranch_execz .LBB203_786
; %bb.779:                              ;   in Loop: Header=BB203_557 Depth=1
	v_mov_b64_e32 v[58:59], 0x80000000
	s_mov_b32 s22, exec_lo
	v_cmpx_ne_u16_e32 0x80, v22
	s_cbranch_execz .LBB203_785
; %bb.780:                              ;   in Loop: Header=BB203_557 Depth=1
	v_mov_b64_e32 v[58:59], 0x7f800001
	v_bfe_u32 v62, v60, 16, 7
	s_mov_b32 s23, exec_lo
	s_delay_alu instid0(VALU_DEP_1)
	v_cmpx_ne_u32_e32 0x7f, v62
	s_cbranch_execz .LBB203_784
; %bb.781:                              ;   in Loop: Header=BB203_557 Depth=1
	v_dual_lshrrev_b32 v58, 3, v62 :: v_dual_bitop2_b32 v22, 7, v61 bitop3:0x40
	s_mov_b32 s24, exec_lo
	v_cmpx_gt_u32_e32 8, v62
; %bb.782:                              ;   in Loop: Header=BB203_557 Depth=1
	s_delay_alu instid0(VALU_DEP_2) | instskip(NEXT) | instid1(VALU_DEP_1)
	v_clz_i32_u32_e32 v58, v22
	v_min_u32_e32 v58, 32, v58
	s_delay_alu instid0(VALU_DEP_1) | instskip(SKIP_1) | instid1(VALU_DEP_2)
	v_subrev_nc_u32_e32 v59, 28, v58
	v_sub_nc_u32_e32 v58, 29, v58
	v_lshlrev_b64_e32 v[62:63], v59, v[22:23]
	s_delay_alu instid0(VALU_DEP_1)
	v_and_b32_e32 v22, 7, v62
; %bb.783:                              ;   in Loop: Header=BB203_557 Depth=1
	s_or_b32 exec_lo, exec_lo, s24
	s_delay_alu instid0(VALU_DEP_1) | instskip(SKIP_1) | instid1(VALU_DEP_2)
	v_dual_lshlrev_b32 v59, 24, v61 :: v_dual_lshlrev_b32 v22, 20, v22
	v_lshl_add_u32 v58, v58, 23, 0x3c000000
	v_and_b32_e32 v59, 0x80000000, v59
	s_delay_alu instid0(VALU_DEP_1) | instskip(NEXT) | instid1(VALU_DEP_1)
	v_or3_b32 v22, v22, v59, v58
	v_mov_b64_e32 v[58:59], v[22:23]
.LBB203_784:                            ;   in Loop: Header=BB203_557 Depth=1
	s_or_b32 exec_lo, exec_lo, s23
.LBB203_785:                            ;   in Loop: Header=BB203_557 Depth=1
	s_delay_alu instid0(SALU_CYCLE_1)
	s_or_b32 exec_lo, exec_lo, s22
.LBB203_786:                            ;   in Loop: Header=BB203_557 Depth=1
	s_delay_alu instid0(SALU_CYCLE_1) | instskip(NEXT) | instid1(SALU_CYCLE_1)
	s_or_b32 exec_lo, exec_lo, s21
	s_mov_b32 s21, exec_lo
	v_cmpx_lt_u32_e32 0xffffff, v60
	s_cbranch_execz .LBB203_794
; %bb.787:                              ;   in Loop: Header=BB203_557 Depth=1
	v_mov_b64_e32 v[56:57], 0x8000000000000000
	v_lshrrev_b32_e32 v61, 24, v60
	s_mov_b32 s22, exec_lo
	s_delay_alu instid0(VALU_DEP_1)
	v_cmpx_ne_u32_e32 0x80, v61
	s_cbranch_execz .LBB203_793
; %bb.788:                              ;   in Loop: Header=BB203_557 Depth=1
	v_mov_b64_e32 v[56:57], 0x7f80000100000000
	v_bfe_u32 v60, v60, 24, 7
	s_mov_b32 s23, exec_lo
	s_delay_alu instid0(VALU_DEP_1)
	v_cmpx_ne_u32_e32 0x7f, v60
	s_cbranch_execz .LBB203_792
; %bb.789:                              ;   in Loop: Header=BB203_557 Depth=1
	v_dual_lshrrev_b32 v56, 3, v60 :: v_dual_bitop2_b32 v22, 7, v61 bitop3:0x40
	s_mov_b32 s24, exec_lo
	v_cmpx_gt_u32_e32 8, v60
; %bb.790:                              ;   in Loop: Header=BB203_557 Depth=1
	s_delay_alu instid0(VALU_DEP_2) | instskip(NEXT) | instid1(VALU_DEP_1)
	v_clz_i32_u32_e32 v56, v22
	v_min_u32_e32 v56, 32, v56
	s_delay_alu instid0(VALU_DEP_1) | instskip(NEXT) | instid1(VALU_DEP_1)
	v_subrev_nc_u32_e32 v57, 28, v56
	v_lshlrev_b64_e32 v[62:63], v57, v[22:23]
	s_delay_alu instid0(VALU_DEP_1)
	v_dual_sub_nc_u32 v56, 29, v56 :: v_dual_bitop2_b32 v22, 7, v62 bitop3:0x40
; %bb.791:                              ;   in Loop: Header=BB203_557 Depth=1
	s_or_b32 exec_lo, exec_lo, s24
	s_delay_alu instid0(VALU_DEP_1) | instskip(NEXT) | instid1(VALU_DEP_2)
	v_dual_lshlrev_b32 v57, 24, v61 :: v_dual_lshlrev_b32 v22, 20, v22
	v_lshl_add_u32 v56, v56, 23, 0x3c000000
	s_delay_alu instid0(VALU_DEP_2) | instskip(NEXT) | instid1(VALU_DEP_1)
	v_and_b32_e32 v57, 0x80000000, v57
	v_or3_b32 v57, v22, v57, v56
	v_mov_b32_e32 v56, v23
.LBB203_792:                            ;   in Loop: Header=BB203_557 Depth=1
	s_or_b32 exec_lo, exec_lo, s23
.LBB203_793:                            ;   in Loop: Header=BB203_557 Depth=1
	s_delay_alu instid0(SALU_CYCLE_1)
	s_or_b32 exec_lo, exec_lo, s22
.LBB203_794:                            ;   in Loop: Header=BB203_557 Depth=1
	s_delay_alu instid0(SALU_CYCLE_1)
	s_or_b32 exec_lo, exec_lo, s21
	v_mov_b64_e32 v[60:61], s[4:5]
	v_or_b32_e32 v1, v1, v55
	v_or_b32_e32 v0, v0, v54
	;; [unrolled: 1-line block ×4, first 2 shown]
	s_delay_alu instid0(VALU_DEP_3) | instskip(NEXT) | instid1(VALU_DEP_2)
	v_pk_mul_f32 v[54:55], v[60:61], v[0:1]
	v_pk_mul_f32 v[0:1], v[60:61], v[56:57]
	s_and_saveexec_b32 s21, vcc_lo
	s_cbranch_execz .LBB203_796
; %bb.795:                              ;   in Loop: Header=BB203_557 Depth=1
	v_cmp_gt_i32_e64 s0, s31, v67
	s_delay_alu instid0(VALU_DEP_1) | instskip(SKIP_1) | instid1(VALU_DEP_1)
	v_cndmask_b32_e64 v54, 0, v54, s0
	v_cmp_gt_i32_e64 s0, s31, v103
	v_cndmask_b32_e64 v55, 0, v55, s0
	v_cmp_gt_i32_e64 s0, s31, v95
	s_delay_alu instid0(VALU_DEP_1) | instskip(SKIP_1) | instid1(VALU_DEP_1)
	v_cndmask_b32_e64 v0, 0, v0, s0
	v_cmp_gt_i32_e64 s0, s31, v94
	v_cndmask_b32_e64 v1, 0, v1, s0
.LBB203_796:                            ;   in Loop: Header=BB203_557 Depth=1
	s_or_b32 exec_lo, exec_lo, s21
	global_load_b32 v64, v[32:33], off offset:896
	v_mov_b64_e32 v[56:57], 0
	v_mov_b64_e32 v[58:59], 0
	s_mov_b32 s21, exec_lo
	s_wait_loadcnt 0x0
	v_and_b32_e32 v22, 0xff, v64
	s_delay_alu instid0(VALU_DEP_1)
	v_cmpx_ne_u16_e32 0, v22
	s_cbranch_execz .LBB203_804
; %bb.797:                              ;   in Loop: Header=BB203_557 Depth=1
	v_mov_b64_e32 v[58:59], 0x80000000
	s_mov_b32 s22, exec_lo
	v_cmpx_ne_u16_e32 0x80, v22
	s_cbranch_execz .LBB203_803
; %bb.798:                              ;   in Loop: Header=BB203_557 Depth=1
	v_mov_b64_e32 v[58:59], 0x7f800001
	v_and_b32_e32 v60, 0x7f, v64
	s_mov_b32 s23, exec_lo
	s_delay_alu instid0(VALU_DEP_1)
	v_cmpx_ne_u32_e32 0x7f, v60
	s_cbranch_execz .LBB203_802
; %bb.799:                              ;   in Loop: Header=BB203_557 Depth=1
	v_and_b32_e32 v22, 7, v64
	v_lshrrev_b32_e32 v58, 3, v60
	s_mov_b32 s24, exec_lo
	v_cmpx_gt_u32_e32 8, v60
; %bb.800:                              ;   in Loop: Header=BB203_557 Depth=1
	s_delay_alu instid0(VALU_DEP_3) | instskip(NEXT) | instid1(VALU_DEP_1)
	v_clz_i32_u32_e32 v58, v22
	v_min_u32_e32 v58, 32, v58
	s_delay_alu instid0(VALU_DEP_1) | instskip(NEXT) | instid1(VALU_DEP_1)
	v_subrev_nc_u32_e32 v59, 28, v58
	v_lshlrev_b64_e32 v[60:61], v59, v[22:23]
	s_delay_alu instid0(VALU_DEP_1)
	v_dual_sub_nc_u32 v58, 29, v58 :: v_dual_bitop2_b32 v22, 7, v60 bitop3:0x40
; %bb.801:                              ;   in Loop: Header=BB203_557 Depth=1
	s_or_b32 exec_lo, exec_lo, s24
	s_delay_alu instid0(VALU_DEP_1) | instskip(NEXT) | instid1(VALU_DEP_2)
	v_dual_lshlrev_b32 v59, 24, v64 :: v_dual_lshlrev_b32 v22, 20, v22
	v_lshl_add_u32 v58, v58, 23, 0x3c000000
	s_delay_alu instid0(VALU_DEP_2) | instskip(NEXT) | instid1(VALU_DEP_1)
	v_and_b32_e32 v59, 0x80000000, v59
	v_or3_b32 v22, v22, v59, v58
	s_delay_alu instid0(VALU_DEP_1)
	v_mov_b64_e32 v[58:59], v[22:23]
.LBB203_802:                            ;   in Loop: Header=BB203_557 Depth=1
	s_or_b32 exec_lo, exec_lo, s23
.LBB203_803:                            ;   in Loop: Header=BB203_557 Depth=1
	s_delay_alu instid0(SALU_CYCLE_1)
	s_or_b32 exec_lo, exec_lo, s22
.LBB203_804:                            ;   in Loop: Header=BB203_557 Depth=1
	s_delay_alu instid0(SALU_CYCLE_1) | instskip(SKIP_2) | instid1(VALU_DEP_1)
	s_or_b32 exec_lo, exec_lo, s21
	v_lshrrev_b16 v22, 8, v64
	s_mov_b32 s21, exec_lo
	v_cmpx_ne_u16_e32 0, v22
	s_cbranch_execz .LBB203_812
; %bb.805:                              ;   in Loop: Header=BB203_557 Depth=1
	v_mov_b64_e32 v[56:57], 0x8000000000000000
	s_mov_b32 s22, exec_lo
	v_cmpx_ne_u16_e32 0x80, v22
	s_cbranch_execz .LBB203_811
; %bb.806:                              ;   in Loop: Header=BB203_557 Depth=1
	v_and_b32_e32 v22, 0xffff, v22
	v_mov_b64_e32 v[56:57], 0x7f80000100000000
	s_mov_b32 s23, exec_lo
	s_delay_alu instid0(VALU_DEP_2) | instskip(NEXT) | instid1(VALU_DEP_1)
	v_and_b32_e32 v60, 0x7f, v22
	v_cmpx_ne_u32_e32 0x7f, v60
	s_cbranch_execz .LBB203_810
; %bb.807:                              ;   in Loop: Header=BB203_557 Depth=1
	v_dual_lshrrev_b32 v56, 3, v60 :: v_dual_bitop2_b32 v22, 7, v22 bitop3:0x40
	s_mov_b32 s24, exec_lo
	v_cmpx_gt_u32_e32 8, v60
; %bb.808:                              ;   in Loop: Header=BB203_557 Depth=1
	s_delay_alu instid0(VALU_DEP_2) | instskip(NEXT) | instid1(VALU_DEP_1)
	v_clz_i32_u32_e32 v56, v22
	v_min_u32_e32 v56, 32, v56
	s_delay_alu instid0(VALU_DEP_1) | instskip(SKIP_1) | instid1(VALU_DEP_2)
	v_subrev_nc_u32_e32 v57, 28, v56
	v_sub_nc_u32_e32 v56, 29, v56
	v_lshlrev_b64_e32 v[60:61], v57, v[22:23]
	s_delay_alu instid0(VALU_DEP_1)
	v_and_b32_e32 v22, 7, v60
; %bb.809:                              ;   in Loop: Header=BB203_557 Depth=1
	s_or_b32 exec_lo, exec_lo, s24
	s_delay_alu instid0(VALU_DEP_1) | instskip(SKIP_1) | instid1(VALU_DEP_2)
	v_dual_lshlrev_b32 v57, 16, v64 :: v_dual_lshlrev_b32 v22, 20, v22
	v_lshl_add_u32 v56, v56, 23, 0x3c000000
	v_and_b32_e32 v57, 0x80000000, v57
	s_delay_alu instid0(VALU_DEP_1)
	v_or3_b32 v57, v22, v57, v56
	v_mov_b32_e32 v56, v23
.LBB203_810:                            ;   in Loop: Header=BB203_557 Depth=1
	s_or_b32 exec_lo, exec_lo, s23
.LBB203_811:                            ;   in Loop: Header=BB203_557 Depth=1
	s_delay_alu instid0(SALU_CYCLE_1)
	s_or_b32 exec_lo, exec_lo, s22
.LBB203_812:                            ;   in Loop: Header=BB203_557 Depth=1
	s_delay_alu instid0(SALU_CYCLE_1) | instskip(SKIP_4) | instid1(VALU_DEP_3)
	s_or_b32 exec_lo, exec_lo, s21
	v_lshrrev_b32_e32 v65, 16, v64
	v_mov_b64_e32 v[60:61], 0
	v_mov_b64_e32 v[62:63], 0
	s_mov_b32 s21, exec_lo
	v_and_b32_e32 v22, 0xff, v65
	s_delay_alu instid0(VALU_DEP_1)
	v_cmpx_ne_u16_e32 0, v22
	s_cbranch_execz .LBB203_820
; %bb.813:                              ;   in Loop: Header=BB203_557 Depth=1
	v_mov_b64_e32 v[62:63], 0x80000000
	s_mov_b32 s22, exec_lo
	v_cmpx_ne_u16_e32 0x80, v22
	s_cbranch_execz .LBB203_819
; %bb.814:                              ;   in Loop: Header=BB203_557 Depth=1
	v_mov_b64_e32 v[62:63], 0x7f800001
	v_bfe_u32 v68, v64, 16, 7
	s_mov_b32 s23, exec_lo
	s_delay_alu instid0(VALU_DEP_1)
	v_cmpx_ne_u32_e32 0x7f, v68
	s_cbranch_execz .LBB203_818
; %bb.815:                              ;   in Loop: Header=BB203_557 Depth=1
	v_dual_lshrrev_b32 v62, 3, v68 :: v_dual_bitop2_b32 v22, 7, v65 bitop3:0x40
	s_mov_b32 s24, exec_lo
	v_cmpx_gt_u32_e32 8, v68
; %bb.816:                              ;   in Loop: Header=BB203_557 Depth=1
	s_delay_alu instid0(VALU_DEP_2) | instskip(NEXT) | instid1(VALU_DEP_1)
	v_clz_i32_u32_e32 v62, v22
	v_min_u32_e32 v62, 32, v62
	s_delay_alu instid0(VALU_DEP_1) | instskip(NEXT) | instid1(VALU_DEP_1)
	v_subrev_nc_u32_e32 v63, 28, v62
	v_lshlrev_b64_e32 v[68:69], v63, v[22:23]
	s_delay_alu instid0(VALU_DEP_1)
	v_dual_sub_nc_u32 v62, 29, v62 :: v_dual_bitop2_b32 v22, 7, v68 bitop3:0x40
; %bb.817:                              ;   in Loop: Header=BB203_557 Depth=1
	s_or_b32 exec_lo, exec_lo, s24
	s_delay_alu instid0(VALU_DEP_1) | instskip(NEXT) | instid1(VALU_DEP_2)
	v_dual_lshlrev_b32 v63, 24, v65 :: v_dual_lshlrev_b32 v22, 20, v22
	v_lshl_add_u32 v62, v62, 23, 0x3c000000
	s_delay_alu instid0(VALU_DEP_2) | instskip(NEXT) | instid1(VALU_DEP_1)
	v_and_b32_e32 v63, 0x80000000, v63
	v_or3_b32 v22, v22, v63, v62
	s_delay_alu instid0(VALU_DEP_1)
	v_mov_b64_e32 v[62:63], v[22:23]
.LBB203_818:                            ;   in Loop: Header=BB203_557 Depth=1
	s_or_b32 exec_lo, exec_lo, s23
.LBB203_819:                            ;   in Loop: Header=BB203_557 Depth=1
	s_delay_alu instid0(SALU_CYCLE_1)
	s_or_b32 exec_lo, exec_lo, s22
.LBB203_820:                            ;   in Loop: Header=BB203_557 Depth=1
	s_delay_alu instid0(SALU_CYCLE_1) | instskip(NEXT) | instid1(SALU_CYCLE_1)
	s_or_b32 exec_lo, exec_lo, s21
	s_mov_b32 s21, exec_lo
	v_cmpx_lt_u32_e32 0xffffff, v64
	s_cbranch_execz .LBB203_828
; %bb.821:                              ;   in Loop: Header=BB203_557 Depth=1
	v_mov_b64_e32 v[60:61], 0x8000000000000000
	v_lshrrev_b32_e32 v65, 24, v64
	s_mov_b32 s22, exec_lo
	s_delay_alu instid0(VALU_DEP_1)
	v_cmpx_ne_u32_e32 0x80, v65
	s_cbranch_execz .LBB203_827
; %bb.822:                              ;   in Loop: Header=BB203_557 Depth=1
	v_mov_b64_e32 v[60:61], 0x7f80000100000000
	v_bfe_u32 v64, v64, 24, 7
	s_mov_b32 s23, exec_lo
	s_delay_alu instid0(VALU_DEP_1)
	v_cmpx_ne_u32_e32 0x7f, v64
	s_cbranch_execz .LBB203_826
; %bb.823:                              ;   in Loop: Header=BB203_557 Depth=1
	v_dual_lshrrev_b32 v60, 3, v64 :: v_dual_bitop2_b32 v22, 7, v65 bitop3:0x40
	s_mov_b32 s24, exec_lo
	v_cmpx_gt_u32_e32 8, v64
; %bb.824:                              ;   in Loop: Header=BB203_557 Depth=1
	s_delay_alu instid0(VALU_DEP_2) | instskip(NEXT) | instid1(VALU_DEP_1)
	v_clz_i32_u32_e32 v60, v22
	v_min_u32_e32 v60, 32, v60
	s_delay_alu instid0(VALU_DEP_1) | instskip(SKIP_1) | instid1(VALU_DEP_2)
	v_subrev_nc_u32_e32 v61, 28, v60
	v_sub_nc_u32_e32 v60, 29, v60
	v_lshlrev_b64_e32 v[68:69], v61, v[22:23]
	s_delay_alu instid0(VALU_DEP_1)
	v_and_b32_e32 v22, 7, v68
; %bb.825:                              ;   in Loop: Header=BB203_557 Depth=1
	s_or_b32 exec_lo, exec_lo, s24
	s_delay_alu instid0(VALU_DEP_1) | instskip(SKIP_1) | instid1(VALU_DEP_2)
	v_dual_lshlrev_b32 v61, 24, v65 :: v_dual_lshlrev_b32 v22, 20, v22
	v_lshl_add_u32 v60, v60, 23, 0x3c000000
	v_and_b32_e32 v61, 0x80000000, v61
	s_delay_alu instid0(VALU_DEP_1)
	v_or3_b32 v61, v22, v61, v60
	v_mov_b32_e32 v60, v23
.LBB203_826:                            ;   in Loop: Header=BB203_557 Depth=1
	s_or_b32 exec_lo, exec_lo, s23
.LBB203_827:                            ;   in Loop: Header=BB203_557 Depth=1
	s_delay_alu instid0(SALU_CYCLE_1)
	s_or_b32 exec_lo, exec_lo, s22
.LBB203_828:                            ;   in Loop: Header=BB203_557 Depth=1
	s_delay_alu instid0(SALU_CYCLE_1)
	s_or_b32 exec_lo, exec_lo, s21
	v_mov_b64_e32 v[64:65], s[4:5]
	v_or_b32_e32 v57, v57, v59
	v_or_b32_e32 v56, v56, v58
	;; [unrolled: 1-line block ×4, first 2 shown]
	s_delay_alu instid0(VALU_DEP_3) | instskip(NEXT) | instid1(VALU_DEP_2)
	v_pk_mul_f32 v[58:59], v[64:65], v[56:57]
	v_pk_mul_f32 v[56:57], v[64:65], v[60:61]
	s_and_saveexec_b32 s21, vcc_lo
	s_cbranch_execz .LBB203_830
; %bb.829:                              ;   in Loop: Header=BB203_557 Depth=1
	v_cmp_gt_i32_e64 s0, s31, v67
	s_delay_alu instid0(VALU_DEP_1) | instskip(SKIP_1) | instid1(VALU_DEP_1)
	v_cndmask_b32_e64 v58, 0, v58, s0
	v_cmp_gt_i32_e64 s0, s31, v103
	v_cndmask_b32_e64 v59, 0, v59, s0
	v_cmp_gt_i32_e64 s0, s31, v95
	s_delay_alu instid0(VALU_DEP_1) | instskip(SKIP_1) | instid1(VALU_DEP_1)
	v_cndmask_b32_e64 v56, 0, v56, s0
	v_cmp_gt_i32_e64 s0, s31, v94
	v_cndmask_b32_e64 v57, 0, v57, s0
.LBB203_830:                            ;   in Loop: Header=BB203_557 Depth=1
	s_or_b32 exec_lo, exec_lo, s21
	global_load_b32 v70, v[32:33], off offset:1024
	v_mov_b64_e32 v[60:61], 0
	v_mov_b64_e32 v[62:63], 0
	s_mov_b32 s21, exec_lo
	s_wait_loadcnt 0x0
	v_and_b32_e32 v22, 0xff, v70
	s_delay_alu instid0(VALU_DEP_1)
	v_cmpx_ne_u16_e32 0, v22
	s_cbranch_execz .LBB203_838
; %bb.831:                              ;   in Loop: Header=BB203_557 Depth=1
	v_mov_b64_e32 v[62:63], 0x80000000
	s_mov_b32 s22, exec_lo
	v_cmpx_ne_u16_e32 0x80, v22
	s_cbranch_execz .LBB203_837
; %bb.832:                              ;   in Loop: Header=BB203_557 Depth=1
	v_mov_b64_e32 v[62:63], 0x7f800001
	v_and_b32_e32 v64, 0x7f, v70
	s_mov_b32 s23, exec_lo
	s_delay_alu instid0(VALU_DEP_1)
	v_cmpx_ne_u32_e32 0x7f, v64
	s_cbranch_execz .LBB203_836
; %bb.833:                              ;   in Loop: Header=BB203_557 Depth=1
	v_dual_lshrrev_b32 v62, 3, v64 :: v_dual_bitop2_b32 v22, 7, v70 bitop3:0x40
	s_mov_b32 s24, exec_lo
	v_cmpx_gt_u32_e32 8, v64
; %bb.834:                              ;   in Loop: Header=BB203_557 Depth=1
	s_delay_alu instid0(VALU_DEP_2) | instskip(NEXT) | instid1(VALU_DEP_1)
	v_clz_i32_u32_e32 v62, v22
	v_min_u32_e32 v62, 32, v62
	s_delay_alu instid0(VALU_DEP_1) | instskip(NEXT) | instid1(VALU_DEP_1)
	v_subrev_nc_u32_e32 v63, 28, v62
	v_lshlrev_b64_e32 v[64:65], v63, v[22:23]
	s_delay_alu instid0(VALU_DEP_1)
	v_dual_sub_nc_u32 v62, 29, v62 :: v_dual_bitop2_b32 v22, 7, v64 bitop3:0x40
; %bb.835:                              ;   in Loop: Header=BB203_557 Depth=1
	s_or_b32 exec_lo, exec_lo, s24
	v_lshlrev_b32_e32 v63, 24, v70
	s_delay_alu instid0(VALU_DEP_2) | instskip(NEXT) | instid1(VALU_DEP_3)
	v_lshlrev_b32_e32 v22, 20, v22
	v_lshl_add_u32 v62, v62, 23, 0x3c000000
	s_delay_alu instid0(VALU_DEP_3) | instskip(NEXT) | instid1(VALU_DEP_1)
	v_and_b32_e32 v63, 0x80000000, v63
	v_or3_b32 v22, v22, v63, v62
	s_delay_alu instid0(VALU_DEP_1)
	v_mov_b64_e32 v[62:63], v[22:23]
.LBB203_836:                            ;   in Loop: Header=BB203_557 Depth=1
	s_or_b32 exec_lo, exec_lo, s23
.LBB203_837:                            ;   in Loop: Header=BB203_557 Depth=1
	s_delay_alu instid0(SALU_CYCLE_1)
	s_or_b32 exec_lo, exec_lo, s22
.LBB203_838:                            ;   in Loop: Header=BB203_557 Depth=1
	s_delay_alu instid0(SALU_CYCLE_1) | instskip(SKIP_2) | instid1(VALU_DEP_1)
	s_or_b32 exec_lo, exec_lo, s21
	v_lshrrev_b16 v22, 8, v70
	s_mov_b32 s21, exec_lo
	v_cmpx_ne_u16_e32 0, v22
	s_cbranch_execz .LBB203_846
; %bb.839:                              ;   in Loop: Header=BB203_557 Depth=1
	v_mov_b64_e32 v[60:61], 0x8000000000000000
	s_mov_b32 s22, exec_lo
	v_cmpx_ne_u16_e32 0x80, v22
	s_cbranch_execz .LBB203_845
; %bb.840:                              ;   in Loop: Header=BB203_557 Depth=1
	v_and_b32_e32 v22, 0xffff, v22
	v_mov_b64_e32 v[60:61], 0x7f80000100000000
	s_mov_b32 s23, exec_lo
	s_delay_alu instid0(VALU_DEP_2) | instskip(NEXT) | instid1(VALU_DEP_1)
	v_and_b32_e32 v64, 0x7f, v22
	v_cmpx_ne_u32_e32 0x7f, v64
	s_cbranch_execz .LBB203_844
; %bb.841:                              ;   in Loop: Header=BB203_557 Depth=1
	v_dual_lshrrev_b32 v60, 3, v64 :: v_dual_bitop2_b32 v22, 7, v22 bitop3:0x40
	s_mov_b32 s24, exec_lo
	v_cmpx_gt_u32_e32 8, v64
; %bb.842:                              ;   in Loop: Header=BB203_557 Depth=1
	s_delay_alu instid0(VALU_DEP_2) | instskip(NEXT) | instid1(VALU_DEP_1)
	v_clz_i32_u32_e32 v60, v22
	v_min_u32_e32 v60, 32, v60
	s_delay_alu instid0(VALU_DEP_1) | instskip(SKIP_1) | instid1(VALU_DEP_2)
	v_subrev_nc_u32_e32 v61, 28, v60
	v_sub_nc_u32_e32 v60, 29, v60
	v_lshlrev_b64_e32 v[64:65], v61, v[22:23]
	s_delay_alu instid0(VALU_DEP_1)
	v_and_b32_e32 v22, 7, v64
; %bb.843:                              ;   in Loop: Header=BB203_557 Depth=1
	s_or_b32 exec_lo, exec_lo, s24
	v_lshlrev_b32_e32 v61, 16, v70
	s_delay_alu instid0(VALU_DEP_2) | instskip(SKIP_1) | instid1(VALU_DEP_3)
	v_lshlrev_b32_e32 v22, 20, v22
	v_lshl_add_u32 v60, v60, 23, 0x3c000000
	v_and_b32_e32 v61, 0x80000000, v61
	s_delay_alu instid0(VALU_DEP_1)
	v_or3_b32 v61, v22, v61, v60
	v_mov_b32_e32 v60, v23
.LBB203_844:                            ;   in Loop: Header=BB203_557 Depth=1
	s_or_b32 exec_lo, exec_lo, s23
.LBB203_845:                            ;   in Loop: Header=BB203_557 Depth=1
	s_delay_alu instid0(SALU_CYCLE_1)
	s_or_b32 exec_lo, exec_lo, s22
.LBB203_846:                            ;   in Loop: Header=BB203_557 Depth=1
	s_delay_alu instid0(SALU_CYCLE_1) | instskip(SKIP_4) | instid1(VALU_DEP_3)
	s_or_b32 exec_lo, exec_lo, s21
	v_lshrrev_b32_e32 v71, 16, v70
	v_mov_b64_e32 v[64:65], 0
	v_mov_b64_e32 v[68:69], 0
	s_mov_b32 s21, exec_lo
	v_and_b32_e32 v22, 0xff, v71
	s_delay_alu instid0(VALU_DEP_1)
	v_cmpx_ne_u16_e32 0, v22
	s_cbranch_execz .LBB203_854
; %bb.847:                              ;   in Loop: Header=BB203_557 Depth=1
	v_mov_b64_e32 v[68:69], 0x80000000
	s_mov_b32 s22, exec_lo
	v_cmpx_ne_u16_e32 0x80, v22
	s_cbranch_execz .LBB203_853
; %bb.848:                              ;   in Loop: Header=BB203_557 Depth=1
	v_mov_b64_e32 v[68:69], 0x7f800001
	v_bfe_u32 v72, v70, 16, 7
	s_mov_b32 s23, exec_lo
	s_delay_alu instid0(VALU_DEP_1)
	v_cmpx_ne_u32_e32 0x7f, v72
	s_cbranch_execz .LBB203_852
; %bb.849:                              ;   in Loop: Header=BB203_557 Depth=1
	v_dual_lshrrev_b32 v68, 3, v72 :: v_dual_bitop2_b32 v22, 7, v71 bitop3:0x40
	s_mov_b32 s24, exec_lo
	v_cmpx_gt_u32_e32 8, v72
; %bb.850:                              ;   in Loop: Header=BB203_557 Depth=1
	s_delay_alu instid0(VALU_DEP_2) | instskip(NEXT) | instid1(VALU_DEP_1)
	v_clz_i32_u32_e32 v68, v22
	v_min_u32_e32 v68, 32, v68
	s_delay_alu instid0(VALU_DEP_1) | instskip(SKIP_1) | instid1(VALU_DEP_2)
	v_subrev_nc_u32_e32 v69, 28, v68
	v_sub_nc_u32_e32 v68, 29, v68
	v_lshlrev_b64_e32 v[72:73], v69, v[22:23]
	s_delay_alu instid0(VALU_DEP_1)
	v_and_b32_e32 v22, 7, v72
; %bb.851:                              ;   in Loop: Header=BB203_557 Depth=1
	s_or_b32 exec_lo, exec_lo, s24
	s_delay_alu instid0(VALU_DEP_1) | instskip(SKIP_1) | instid1(VALU_DEP_2)
	v_dual_lshlrev_b32 v69, 24, v71 :: v_dual_lshlrev_b32 v22, 20, v22
	v_lshl_add_u32 v68, v68, 23, 0x3c000000
	v_and_b32_e32 v69, 0x80000000, v69
	s_delay_alu instid0(VALU_DEP_1) | instskip(NEXT) | instid1(VALU_DEP_1)
	v_or3_b32 v22, v22, v69, v68
	v_mov_b64_e32 v[68:69], v[22:23]
.LBB203_852:                            ;   in Loop: Header=BB203_557 Depth=1
	s_or_b32 exec_lo, exec_lo, s23
.LBB203_853:                            ;   in Loop: Header=BB203_557 Depth=1
	s_delay_alu instid0(SALU_CYCLE_1)
	s_or_b32 exec_lo, exec_lo, s22
.LBB203_854:                            ;   in Loop: Header=BB203_557 Depth=1
	s_delay_alu instid0(SALU_CYCLE_1) | instskip(NEXT) | instid1(SALU_CYCLE_1)
	s_or_b32 exec_lo, exec_lo, s21
	s_mov_b32 s21, exec_lo
	v_cmpx_lt_u32_e32 0xffffff, v70
	s_cbranch_execz .LBB203_862
; %bb.855:                              ;   in Loop: Header=BB203_557 Depth=1
	v_mov_b64_e32 v[64:65], 0x8000000000000000
	v_lshrrev_b32_e32 v71, 24, v70
	s_mov_b32 s22, exec_lo
	s_delay_alu instid0(VALU_DEP_1)
	v_cmpx_ne_u32_e32 0x80, v71
	s_cbranch_execz .LBB203_861
; %bb.856:                              ;   in Loop: Header=BB203_557 Depth=1
	v_mov_b64_e32 v[64:65], 0x7f80000100000000
	v_bfe_u32 v70, v70, 24, 7
	s_mov_b32 s23, exec_lo
	s_delay_alu instid0(VALU_DEP_1)
	v_cmpx_ne_u32_e32 0x7f, v70
	s_cbranch_execz .LBB203_860
; %bb.857:                              ;   in Loop: Header=BB203_557 Depth=1
	v_dual_lshrrev_b32 v64, 3, v70 :: v_dual_bitop2_b32 v22, 7, v71 bitop3:0x40
	s_mov_b32 s24, exec_lo
	v_cmpx_gt_u32_e32 8, v70
; %bb.858:                              ;   in Loop: Header=BB203_557 Depth=1
	s_delay_alu instid0(VALU_DEP_2) | instskip(NEXT) | instid1(VALU_DEP_1)
	v_clz_i32_u32_e32 v64, v22
	v_min_u32_e32 v64, 32, v64
	s_delay_alu instid0(VALU_DEP_1) | instskip(SKIP_1) | instid1(VALU_DEP_2)
	v_subrev_nc_u32_e32 v65, 28, v64
	v_sub_nc_u32_e32 v64, 29, v64
	v_lshlrev_b64_e32 v[72:73], v65, v[22:23]
	s_delay_alu instid0(VALU_DEP_1)
	v_and_b32_e32 v22, 7, v72
; %bb.859:                              ;   in Loop: Header=BB203_557 Depth=1
	s_or_b32 exec_lo, exec_lo, s24
	s_delay_alu instid0(VALU_DEP_1) | instskip(SKIP_1) | instid1(VALU_DEP_2)
	v_dual_lshlrev_b32 v65, 24, v71 :: v_dual_lshlrev_b32 v22, 20, v22
	v_lshl_add_u32 v64, v64, 23, 0x3c000000
	v_and_b32_e32 v65, 0x80000000, v65
	s_delay_alu instid0(VALU_DEP_1)
	v_or3_b32 v65, v22, v65, v64
	v_mov_b32_e32 v64, v23
.LBB203_860:                            ;   in Loop: Header=BB203_557 Depth=1
	s_or_b32 exec_lo, exec_lo, s23
.LBB203_861:                            ;   in Loop: Header=BB203_557 Depth=1
	s_delay_alu instid0(SALU_CYCLE_1)
	s_or_b32 exec_lo, exec_lo, s22
.LBB203_862:                            ;   in Loop: Header=BB203_557 Depth=1
	s_delay_alu instid0(SALU_CYCLE_1)
	s_or_b32 exec_lo, exec_lo, s21
	v_mov_b64_e32 v[70:71], s[4:5]
	v_or_b32_e32 v61, v61, v63
	v_or_b32_e32 v60, v60, v62
	;; [unrolled: 1-line block ×4, first 2 shown]
	s_delay_alu instid0(VALU_DEP_3) | instskip(NEXT) | instid1(VALU_DEP_2)
	v_pk_mul_f32 v[62:63], v[70:71], v[60:61]
	v_pk_mul_f32 v[60:61], v[70:71], v[64:65]
	s_and_saveexec_b32 s21, vcc_lo
	s_cbranch_execz .LBB203_864
; %bb.863:                              ;   in Loop: Header=BB203_557 Depth=1
	v_cmp_gt_i32_e64 s0, s31, v67
	s_delay_alu instid0(VALU_DEP_1) | instskip(SKIP_1) | instid1(VALU_DEP_1)
	v_cndmask_b32_e64 v62, 0, v62, s0
	v_cmp_gt_i32_e64 s0, s31, v103
	v_cndmask_b32_e64 v63, 0, v63, s0
	v_cmp_gt_i32_e64 s0, s31, v95
	s_delay_alu instid0(VALU_DEP_1) | instskip(SKIP_1) | instid1(VALU_DEP_1)
	v_cndmask_b32_e64 v60, 0, v60, s0
	v_cmp_gt_i32_e64 s0, s31, v94
	v_cndmask_b32_e64 v61, 0, v61, s0
.LBB203_864:                            ;   in Loop: Header=BB203_557 Depth=1
	s_or_b32 exec_lo, exec_lo, s21
	global_load_b32 v74, v[32:33], off offset:1152
	v_mov_b64_e32 v[64:65], 0
	v_mov_b64_e32 v[68:69], 0
	s_mov_b32 s21, exec_lo
	s_wait_loadcnt 0x0
	v_and_b32_e32 v22, 0xff, v74
	s_delay_alu instid0(VALU_DEP_1)
	v_cmpx_ne_u16_e32 0, v22
	s_cbranch_execz .LBB203_872
; %bb.865:                              ;   in Loop: Header=BB203_557 Depth=1
	v_mov_b64_e32 v[68:69], 0x80000000
	s_mov_b32 s22, exec_lo
	v_cmpx_ne_u16_e32 0x80, v22
	s_cbranch_execz .LBB203_871
; %bb.866:                              ;   in Loop: Header=BB203_557 Depth=1
	v_mov_b64_e32 v[68:69], 0x7f800001
	v_and_b32_e32 v70, 0x7f, v74
	s_mov_b32 s23, exec_lo
	s_delay_alu instid0(VALU_DEP_1)
	v_cmpx_ne_u32_e32 0x7f, v70
	s_cbranch_execz .LBB203_870
; %bb.867:                              ;   in Loop: Header=BB203_557 Depth=1
	v_and_b32_e32 v22, 7, v74
	v_lshrrev_b32_e32 v68, 3, v70
	s_mov_b32 s24, exec_lo
	v_cmpx_gt_u32_e32 8, v70
; %bb.868:                              ;   in Loop: Header=BB203_557 Depth=1
	s_delay_alu instid0(VALU_DEP_3) | instskip(NEXT) | instid1(VALU_DEP_1)
	v_clz_i32_u32_e32 v68, v22
	v_min_u32_e32 v68, 32, v68
	s_delay_alu instid0(VALU_DEP_1) | instskip(NEXT) | instid1(VALU_DEP_1)
	v_subrev_nc_u32_e32 v69, 28, v68
	v_lshlrev_b64_e32 v[70:71], v69, v[22:23]
	s_delay_alu instid0(VALU_DEP_1)
	v_dual_sub_nc_u32 v68, 29, v68 :: v_dual_bitop2_b32 v22, 7, v70 bitop3:0x40
; %bb.869:                              ;   in Loop: Header=BB203_557 Depth=1
	s_or_b32 exec_lo, exec_lo, s24
	v_lshlrev_b32_e32 v69, 24, v74
	s_delay_alu instid0(VALU_DEP_2) | instskip(NEXT) | instid1(VALU_DEP_3)
	v_lshlrev_b32_e32 v22, 20, v22
	v_lshl_add_u32 v68, v68, 23, 0x3c000000
	s_delay_alu instid0(VALU_DEP_3) | instskip(NEXT) | instid1(VALU_DEP_1)
	v_and_b32_e32 v69, 0x80000000, v69
	v_or3_b32 v22, v22, v69, v68
	s_delay_alu instid0(VALU_DEP_1)
	v_mov_b64_e32 v[68:69], v[22:23]
.LBB203_870:                            ;   in Loop: Header=BB203_557 Depth=1
	s_or_b32 exec_lo, exec_lo, s23
.LBB203_871:                            ;   in Loop: Header=BB203_557 Depth=1
	s_delay_alu instid0(SALU_CYCLE_1)
	s_or_b32 exec_lo, exec_lo, s22
.LBB203_872:                            ;   in Loop: Header=BB203_557 Depth=1
	s_delay_alu instid0(SALU_CYCLE_1) | instskip(SKIP_2) | instid1(VALU_DEP_1)
	s_or_b32 exec_lo, exec_lo, s21
	v_lshrrev_b16 v22, 8, v74
	s_mov_b32 s21, exec_lo
	v_cmpx_ne_u16_e32 0, v22
	s_cbranch_execz .LBB203_880
; %bb.873:                              ;   in Loop: Header=BB203_557 Depth=1
	v_mov_b64_e32 v[64:65], 0x8000000000000000
	s_mov_b32 s22, exec_lo
	v_cmpx_ne_u16_e32 0x80, v22
	s_cbranch_execz .LBB203_879
; %bb.874:                              ;   in Loop: Header=BB203_557 Depth=1
	v_and_b32_e32 v22, 0xffff, v22
	v_mov_b64_e32 v[64:65], 0x7f80000100000000
	s_mov_b32 s23, exec_lo
	s_delay_alu instid0(VALU_DEP_2) | instskip(NEXT) | instid1(VALU_DEP_1)
	v_and_b32_e32 v70, 0x7f, v22
	v_cmpx_ne_u32_e32 0x7f, v70
	s_cbranch_execz .LBB203_878
; %bb.875:                              ;   in Loop: Header=BB203_557 Depth=1
	v_and_b32_e32 v22, 7, v22
	v_lshrrev_b32_e32 v64, 3, v70
	s_mov_b32 s24, exec_lo
	v_cmpx_gt_u32_e32 8, v70
; %bb.876:                              ;   in Loop: Header=BB203_557 Depth=1
	s_delay_alu instid0(VALU_DEP_3) | instskip(NEXT) | instid1(VALU_DEP_1)
	v_clz_i32_u32_e32 v64, v22
	v_min_u32_e32 v64, 32, v64
	s_delay_alu instid0(VALU_DEP_1) | instskip(NEXT) | instid1(VALU_DEP_1)
	v_subrev_nc_u32_e32 v65, 28, v64
	v_lshlrev_b64_e32 v[70:71], v65, v[22:23]
	s_delay_alu instid0(VALU_DEP_1)
	v_dual_sub_nc_u32 v64, 29, v64 :: v_dual_bitop2_b32 v22, 7, v70 bitop3:0x40
; %bb.877:                              ;   in Loop: Header=BB203_557 Depth=1
	s_or_b32 exec_lo, exec_lo, s24
	v_lshlrev_b32_e32 v65, 16, v74
	s_delay_alu instid0(VALU_DEP_2) | instskip(NEXT) | instid1(VALU_DEP_3)
	v_lshlrev_b32_e32 v22, 20, v22
	v_lshl_add_u32 v64, v64, 23, 0x3c000000
	s_delay_alu instid0(VALU_DEP_3) | instskip(NEXT) | instid1(VALU_DEP_1)
	v_and_b32_e32 v65, 0x80000000, v65
	v_or3_b32 v65, v22, v65, v64
	v_mov_b32_e32 v64, v23
.LBB203_878:                            ;   in Loop: Header=BB203_557 Depth=1
	s_or_b32 exec_lo, exec_lo, s23
.LBB203_879:                            ;   in Loop: Header=BB203_557 Depth=1
	s_delay_alu instid0(SALU_CYCLE_1)
	s_or_b32 exec_lo, exec_lo, s22
.LBB203_880:                            ;   in Loop: Header=BB203_557 Depth=1
	s_delay_alu instid0(SALU_CYCLE_1) | instskip(SKIP_4) | instid1(VALU_DEP_3)
	s_or_b32 exec_lo, exec_lo, s21
	v_lshrrev_b32_e32 v75, 16, v74
	v_mov_b64_e32 v[70:71], 0
	v_mov_b64_e32 v[72:73], 0
	s_mov_b32 s21, exec_lo
	v_and_b32_e32 v22, 0xff, v75
	s_delay_alu instid0(VALU_DEP_1)
	v_cmpx_ne_u16_e32 0, v22
	s_cbranch_execz .LBB203_888
; %bb.881:                              ;   in Loop: Header=BB203_557 Depth=1
	v_mov_b64_e32 v[72:73], 0x80000000
	s_mov_b32 s22, exec_lo
	v_cmpx_ne_u16_e32 0x80, v22
	s_cbranch_execz .LBB203_887
; %bb.882:                              ;   in Loop: Header=BB203_557 Depth=1
	v_mov_b64_e32 v[72:73], 0x7f800001
	v_bfe_u32 v76, v74, 16, 7
	s_mov_b32 s23, exec_lo
	s_delay_alu instid0(VALU_DEP_1)
	v_cmpx_ne_u32_e32 0x7f, v76
	s_cbranch_execz .LBB203_886
; %bb.883:                              ;   in Loop: Header=BB203_557 Depth=1
	v_dual_lshrrev_b32 v72, 3, v76 :: v_dual_bitop2_b32 v22, 7, v75 bitop3:0x40
	s_mov_b32 s24, exec_lo
	v_cmpx_gt_u32_e32 8, v76
; %bb.884:                              ;   in Loop: Header=BB203_557 Depth=1
	s_delay_alu instid0(VALU_DEP_2) | instskip(NEXT) | instid1(VALU_DEP_1)
	v_clz_i32_u32_e32 v72, v22
	v_min_u32_e32 v72, 32, v72
	s_delay_alu instid0(VALU_DEP_1) | instskip(SKIP_1) | instid1(VALU_DEP_2)
	v_subrev_nc_u32_e32 v73, 28, v72
	v_sub_nc_u32_e32 v72, 29, v72
	v_lshlrev_b64_e32 v[76:77], v73, v[22:23]
	s_delay_alu instid0(VALU_DEP_1)
	v_and_b32_e32 v22, 7, v76
; %bb.885:                              ;   in Loop: Header=BB203_557 Depth=1
	s_or_b32 exec_lo, exec_lo, s24
	s_delay_alu instid0(VALU_DEP_1) | instskip(SKIP_1) | instid1(VALU_DEP_2)
	v_dual_lshlrev_b32 v73, 24, v75 :: v_dual_lshlrev_b32 v22, 20, v22
	v_lshl_add_u32 v72, v72, 23, 0x3c000000
	v_and_b32_e32 v73, 0x80000000, v73
	s_delay_alu instid0(VALU_DEP_1) | instskip(NEXT) | instid1(VALU_DEP_1)
	v_or3_b32 v22, v22, v73, v72
	v_mov_b64_e32 v[72:73], v[22:23]
.LBB203_886:                            ;   in Loop: Header=BB203_557 Depth=1
	s_or_b32 exec_lo, exec_lo, s23
.LBB203_887:                            ;   in Loop: Header=BB203_557 Depth=1
	s_delay_alu instid0(SALU_CYCLE_1)
	s_or_b32 exec_lo, exec_lo, s22
.LBB203_888:                            ;   in Loop: Header=BB203_557 Depth=1
	s_delay_alu instid0(SALU_CYCLE_1) | instskip(NEXT) | instid1(SALU_CYCLE_1)
	s_or_b32 exec_lo, exec_lo, s21
	s_mov_b32 s21, exec_lo
	v_cmpx_lt_u32_e32 0xffffff, v74
	s_cbranch_execz .LBB203_896
; %bb.889:                              ;   in Loop: Header=BB203_557 Depth=1
	v_mov_b64_e32 v[70:71], 0x8000000000000000
	v_lshrrev_b32_e32 v75, 24, v74
	s_mov_b32 s22, exec_lo
	s_delay_alu instid0(VALU_DEP_1)
	v_cmpx_ne_u32_e32 0x80, v75
	s_cbranch_execz .LBB203_895
; %bb.890:                              ;   in Loop: Header=BB203_557 Depth=1
	v_mov_b64_e32 v[70:71], 0x7f80000100000000
	v_bfe_u32 v74, v74, 24, 7
	s_mov_b32 s23, exec_lo
	s_delay_alu instid0(VALU_DEP_1)
	v_cmpx_ne_u32_e32 0x7f, v74
	s_cbranch_execz .LBB203_894
; %bb.891:                              ;   in Loop: Header=BB203_557 Depth=1
	v_dual_lshrrev_b32 v70, 3, v74 :: v_dual_bitop2_b32 v22, 7, v75 bitop3:0x40
	s_mov_b32 s24, exec_lo
	v_cmpx_gt_u32_e32 8, v74
; %bb.892:                              ;   in Loop: Header=BB203_557 Depth=1
	s_delay_alu instid0(VALU_DEP_2) | instskip(NEXT) | instid1(VALU_DEP_1)
	v_clz_i32_u32_e32 v70, v22
	v_min_u32_e32 v70, 32, v70
	s_delay_alu instid0(VALU_DEP_1) | instskip(NEXT) | instid1(VALU_DEP_1)
	v_subrev_nc_u32_e32 v71, 28, v70
	v_lshlrev_b64_e32 v[76:77], v71, v[22:23]
	s_delay_alu instid0(VALU_DEP_1)
	v_dual_sub_nc_u32 v70, 29, v70 :: v_dual_bitop2_b32 v22, 7, v76 bitop3:0x40
; %bb.893:                              ;   in Loop: Header=BB203_557 Depth=1
	s_or_b32 exec_lo, exec_lo, s24
	s_delay_alu instid0(VALU_DEP_1) | instskip(NEXT) | instid1(VALU_DEP_2)
	v_dual_lshlrev_b32 v71, 24, v75 :: v_dual_lshlrev_b32 v22, 20, v22
	v_lshl_add_u32 v70, v70, 23, 0x3c000000
	s_delay_alu instid0(VALU_DEP_2) | instskip(NEXT) | instid1(VALU_DEP_1)
	v_and_b32_e32 v71, 0x80000000, v71
	v_or3_b32 v71, v22, v71, v70
	v_mov_b32_e32 v70, v23
.LBB203_894:                            ;   in Loop: Header=BB203_557 Depth=1
	s_or_b32 exec_lo, exec_lo, s23
.LBB203_895:                            ;   in Loop: Header=BB203_557 Depth=1
	s_delay_alu instid0(SALU_CYCLE_1)
	s_or_b32 exec_lo, exec_lo, s22
.LBB203_896:                            ;   in Loop: Header=BB203_557 Depth=1
	s_delay_alu instid0(SALU_CYCLE_1)
	s_or_b32 exec_lo, exec_lo, s21
	v_mov_b64_e32 v[74:75], s[4:5]
	v_or_b32_e32 v65, v65, v69
	v_or_b32_e32 v64, v64, v68
	;; [unrolled: 1-line block ×4, first 2 shown]
	s_delay_alu instid0(VALU_DEP_3) | instskip(NEXT) | instid1(VALU_DEP_2)
	v_pk_mul_f32 v[68:69], v[74:75], v[64:65]
	v_pk_mul_f32 v[64:65], v[74:75], v[70:71]
	s_and_saveexec_b32 s21, vcc_lo
	s_cbranch_execz .LBB203_898
; %bb.897:                              ;   in Loop: Header=BB203_557 Depth=1
	v_cmp_gt_i32_e64 s0, s31, v67
	s_delay_alu instid0(VALU_DEP_1) | instskip(SKIP_1) | instid1(VALU_DEP_1)
	v_cndmask_b32_e64 v68, 0, v68, s0
	v_cmp_gt_i32_e64 s0, s31, v103
	v_cndmask_b32_e64 v69, 0, v69, s0
	v_cmp_gt_i32_e64 s0, s31, v95
	s_delay_alu instid0(VALU_DEP_1) | instskip(SKIP_1) | instid1(VALU_DEP_1)
	v_cndmask_b32_e64 v64, 0, v64, s0
	v_cmp_gt_i32_e64 s0, s31, v94
	v_cndmask_b32_e64 v65, 0, v65, s0
.LBB203_898:                            ;   in Loop: Header=BB203_557 Depth=1
	s_or_b32 exec_lo, exec_lo, s21
	global_load_b32 v78, v[32:33], off offset:1280
	v_mov_b64_e32 v[70:71], 0
	v_mov_b64_e32 v[72:73], 0
	s_mov_b32 s21, exec_lo
	s_wait_loadcnt 0x0
	v_and_b32_e32 v22, 0xff, v78
	s_delay_alu instid0(VALU_DEP_1)
	v_cmpx_ne_u16_e32 0, v22
	s_cbranch_execz .LBB203_906
; %bb.899:                              ;   in Loop: Header=BB203_557 Depth=1
	v_mov_b64_e32 v[72:73], 0x80000000
	s_mov_b32 s22, exec_lo
	v_cmpx_ne_u16_e32 0x80, v22
	s_cbranch_execz .LBB203_905
; %bb.900:                              ;   in Loop: Header=BB203_557 Depth=1
	v_mov_b64_e32 v[72:73], 0x7f800001
	v_and_b32_e32 v74, 0x7f, v78
	s_mov_b32 s23, exec_lo
	s_delay_alu instid0(VALU_DEP_1)
	v_cmpx_ne_u32_e32 0x7f, v74
	s_cbranch_execz .LBB203_904
; %bb.901:                              ;   in Loop: Header=BB203_557 Depth=1
	v_and_b32_e32 v22, 7, v78
	v_lshrrev_b32_e32 v72, 3, v74
	s_mov_b32 s24, exec_lo
	v_cmpx_gt_u32_e32 8, v74
; %bb.902:                              ;   in Loop: Header=BB203_557 Depth=1
	s_delay_alu instid0(VALU_DEP_3) | instskip(NEXT) | instid1(VALU_DEP_1)
	v_clz_i32_u32_e32 v72, v22
	v_min_u32_e32 v72, 32, v72
	s_delay_alu instid0(VALU_DEP_1) | instskip(NEXT) | instid1(VALU_DEP_1)
	v_subrev_nc_u32_e32 v73, 28, v72
	v_lshlrev_b64_e32 v[74:75], v73, v[22:23]
	s_delay_alu instid0(VALU_DEP_1)
	v_dual_sub_nc_u32 v72, 29, v72 :: v_dual_bitop2_b32 v22, 7, v74 bitop3:0x40
; %bb.903:                              ;   in Loop: Header=BB203_557 Depth=1
	s_or_b32 exec_lo, exec_lo, s24
	v_lshlrev_b32_e32 v73, 24, v78
	s_delay_alu instid0(VALU_DEP_2) | instskip(NEXT) | instid1(VALU_DEP_3)
	v_lshlrev_b32_e32 v22, 20, v22
	v_lshl_add_u32 v72, v72, 23, 0x3c000000
	s_delay_alu instid0(VALU_DEP_3) | instskip(NEXT) | instid1(VALU_DEP_1)
	v_and_b32_e32 v73, 0x80000000, v73
	v_or3_b32 v22, v22, v73, v72
	s_delay_alu instid0(VALU_DEP_1)
	v_mov_b64_e32 v[72:73], v[22:23]
.LBB203_904:                            ;   in Loop: Header=BB203_557 Depth=1
	s_or_b32 exec_lo, exec_lo, s23
.LBB203_905:                            ;   in Loop: Header=BB203_557 Depth=1
	s_delay_alu instid0(SALU_CYCLE_1)
	s_or_b32 exec_lo, exec_lo, s22
.LBB203_906:                            ;   in Loop: Header=BB203_557 Depth=1
	s_delay_alu instid0(SALU_CYCLE_1) | instskip(SKIP_2) | instid1(VALU_DEP_1)
	s_or_b32 exec_lo, exec_lo, s21
	v_lshrrev_b16 v22, 8, v78
	s_mov_b32 s21, exec_lo
	v_cmpx_ne_u16_e32 0, v22
	s_cbranch_execz .LBB203_914
; %bb.907:                              ;   in Loop: Header=BB203_557 Depth=1
	v_mov_b64_e32 v[70:71], 0x8000000000000000
	s_mov_b32 s22, exec_lo
	v_cmpx_ne_u16_e32 0x80, v22
	s_cbranch_execz .LBB203_913
; %bb.908:                              ;   in Loop: Header=BB203_557 Depth=1
	v_and_b32_e32 v22, 0xffff, v22
	v_mov_b64_e32 v[70:71], 0x7f80000100000000
	s_mov_b32 s23, exec_lo
	s_delay_alu instid0(VALU_DEP_2) | instskip(NEXT) | instid1(VALU_DEP_1)
	v_and_b32_e32 v74, 0x7f, v22
	v_cmpx_ne_u32_e32 0x7f, v74
	s_cbranch_execz .LBB203_912
; %bb.909:                              ;   in Loop: Header=BB203_557 Depth=1
	v_and_b32_e32 v22, 7, v22
	v_lshrrev_b32_e32 v70, 3, v74
	s_mov_b32 s24, exec_lo
	v_cmpx_gt_u32_e32 8, v74
; %bb.910:                              ;   in Loop: Header=BB203_557 Depth=1
	s_delay_alu instid0(VALU_DEP_3) | instskip(NEXT) | instid1(VALU_DEP_1)
	v_clz_i32_u32_e32 v70, v22
	v_min_u32_e32 v70, 32, v70
	s_delay_alu instid0(VALU_DEP_1) | instskip(SKIP_1) | instid1(VALU_DEP_2)
	v_subrev_nc_u32_e32 v71, 28, v70
	v_sub_nc_u32_e32 v70, 29, v70
	v_lshlrev_b64_e32 v[74:75], v71, v[22:23]
	s_delay_alu instid0(VALU_DEP_1)
	v_and_b32_e32 v22, 7, v74
; %bb.911:                              ;   in Loop: Header=BB203_557 Depth=1
	s_or_b32 exec_lo, exec_lo, s24
	v_lshlrev_b32_e32 v71, 16, v78
	s_delay_alu instid0(VALU_DEP_2) | instskip(SKIP_1) | instid1(VALU_DEP_3)
	v_lshlrev_b32_e32 v22, 20, v22
	v_lshl_add_u32 v70, v70, 23, 0x3c000000
	v_and_b32_e32 v71, 0x80000000, v71
	s_delay_alu instid0(VALU_DEP_1)
	v_or3_b32 v71, v22, v71, v70
	v_mov_b32_e32 v70, v23
.LBB203_912:                            ;   in Loop: Header=BB203_557 Depth=1
	s_or_b32 exec_lo, exec_lo, s23
.LBB203_913:                            ;   in Loop: Header=BB203_557 Depth=1
	s_delay_alu instid0(SALU_CYCLE_1)
	s_or_b32 exec_lo, exec_lo, s22
.LBB203_914:                            ;   in Loop: Header=BB203_557 Depth=1
	s_delay_alu instid0(SALU_CYCLE_1) | instskip(SKIP_4) | instid1(VALU_DEP_3)
	s_or_b32 exec_lo, exec_lo, s21
	v_lshrrev_b32_e32 v79, 16, v78
	v_mov_b64_e32 v[74:75], 0
	v_mov_b64_e32 v[76:77], 0
	s_mov_b32 s21, exec_lo
	v_and_b32_e32 v22, 0xff, v79
	s_delay_alu instid0(VALU_DEP_1)
	v_cmpx_ne_u16_e32 0, v22
	s_cbranch_execz .LBB203_922
; %bb.915:                              ;   in Loop: Header=BB203_557 Depth=1
	v_mov_b64_e32 v[76:77], 0x80000000
	s_mov_b32 s22, exec_lo
	v_cmpx_ne_u16_e32 0x80, v22
	s_cbranch_execz .LBB203_921
; %bb.916:                              ;   in Loop: Header=BB203_557 Depth=1
	v_mov_b64_e32 v[76:77], 0x7f800001
	v_bfe_u32 v80, v78, 16, 7
	s_mov_b32 s23, exec_lo
	s_delay_alu instid0(VALU_DEP_1)
	v_cmpx_ne_u32_e32 0x7f, v80
	s_cbranch_execz .LBB203_920
; %bb.917:                              ;   in Loop: Header=BB203_557 Depth=1
	v_dual_lshrrev_b32 v76, 3, v80 :: v_dual_bitop2_b32 v22, 7, v79 bitop3:0x40
	s_mov_b32 s24, exec_lo
	v_cmpx_gt_u32_e32 8, v80
; %bb.918:                              ;   in Loop: Header=BB203_557 Depth=1
	s_delay_alu instid0(VALU_DEP_2) | instskip(NEXT) | instid1(VALU_DEP_1)
	v_clz_i32_u32_e32 v76, v22
	v_min_u32_e32 v76, 32, v76
	s_delay_alu instid0(VALU_DEP_1) | instskip(SKIP_1) | instid1(VALU_DEP_2)
	v_subrev_nc_u32_e32 v77, 28, v76
	v_sub_nc_u32_e32 v76, 29, v76
	v_lshlrev_b64_e32 v[80:81], v77, v[22:23]
	s_delay_alu instid0(VALU_DEP_1)
	v_and_b32_e32 v22, 7, v80
; %bb.919:                              ;   in Loop: Header=BB203_557 Depth=1
	s_or_b32 exec_lo, exec_lo, s24
	s_delay_alu instid0(VALU_DEP_1) | instskip(SKIP_1) | instid1(VALU_DEP_2)
	v_dual_lshlrev_b32 v77, 24, v79 :: v_dual_lshlrev_b32 v22, 20, v22
	v_lshl_add_u32 v76, v76, 23, 0x3c000000
	v_and_b32_e32 v77, 0x80000000, v77
	s_delay_alu instid0(VALU_DEP_1) | instskip(NEXT) | instid1(VALU_DEP_1)
	v_or3_b32 v22, v22, v77, v76
	v_mov_b64_e32 v[76:77], v[22:23]
.LBB203_920:                            ;   in Loop: Header=BB203_557 Depth=1
	s_or_b32 exec_lo, exec_lo, s23
.LBB203_921:                            ;   in Loop: Header=BB203_557 Depth=1
	s_delay_alu instid0(SALU_CYCLE_1)
	s_or_b32 exec_lo, exec_lo, s22
.LBB203_922:                            ;   in Loop: Header=BB203_557 Depth=1
	s_delay_alu instid0(SALU_CYCLE_1) | instskip(NEXT) | instid1(SALU_CYCLE_1)
	s_or_b32 exec_lo, exec_lo, s21
	s_mov_b32 s21, exec_lo
	v_cmpx_lt_u32_e32 0xffffff, v78
	s_cbranch_execz .LBB203_930
; %bb.923:                              ;   in Loop: Header=BB203_557 Depth=1
	v_mov_b64_e32 v[74:75], 0x8000000000000000
	v_lshrrev_b32_e32 v79, 24, v78
	s_mov_b32 s22, exec_lo
	s_delay_alu instid0(VALU_DEP_1)
	v_cmpx_ne_u32_e32 0x80, v79
	s_cbranch_execz .LBB203_929
; %bb.924:                              ;   in Loop: Header=BB203_557 Depth=1
	v_mov_b64_e32 v[74:75], 0x7f80000100000000
	v_bfe_u32 v78, v78, 24, 7
	s_mov_b32 s23, exec_lo
	s_delay_alu instid0(VALU_DEP_1)
	v_cmpx_ne_u32_e32 0x7f, v78
	s_cbranch_execz .LBB203_928
; %bb.925:                              ;   in Loop: Header=BB203_557 Depth=1
	v_dual_lshrrev_b32 v74, 3, v78 :: v_dual_bitop2_b32 v22, 7, v79 bitop3:0x40
	s_mov_b32 s24, exec_lo
	v_cmpx_gt_u32_e32 8, v78
; %bb.926:                              ;   in Loop: Header=BB203_557 Depth=1
	s_delay_alu instid0(VALU_DEP_2) | instskip(NEXT) | instid1(VALU_DEP_1)
	v_clz_i32_u32_e32 v74, v22
	v_min_u32_e32 v74, 32, v74
	s_delay_alu instid0(VALU_DEP_1) | instskip(NEXT) | instid1(VALU_DEP_1)
	v_subrev_nc_u32_e32 v75, 28, v74
	v_lshlrev_b64_e32 v[80:81], v75, v[22:23]
	s_delay_alu instid0(VALU_DEP_1)
	v_dual_sub_nc_u32 v74, 29, v74 :: v_dual_bitop2_b32 v22, 7, v80 bitop3:0x40
; %bb.927:                              ;   in Loop: Header=BB203_557 Depth=1
	s_or_b32 exec_lo, exec_lo, s24
	s_delay_alu instid0(VALU_DEP_1) | instskip(NEXT) | instid1(VALU_DEP_2)
	v_dual_lshlrev_b32 v75, 24, v79 :: v_dual_lshlrev_b32 v22, 20, v22
	v_lshl_add_u32 v74, v74, 23, 0x3c000000
	s_delay_alu instid0(VALU_DEP_2) | instskip(NEXT) | instid1(VALU_DEP_1)
	v_and_b32_e32 v75, 0x80000000, v75
	v_or3_b32 v75, v22, v75, v74
	v_mov_b32_e32 v74, v23
.LBB203_928:                            ;   in Loop: Header=BB203_557 Depth=1
	s_or_b32 exec_lo, exec_lo, s23
.LBB203_929:                            ;   in Loop: Header=BB203_557 Depth=1
	s_delay_alu instid0(SALU_CYCLE_1)
	s_or_b32 exec_lo, exec_lo, s22
.LBB203_930:                            ;   in Loop: Header=BB203_557 Depth=1
	s_delay_alu instid0(SALU_CYCLE_1)
	s_or_b32 exec_lo, exec_lo, s21
	v_mov_b64_e32 v[78:79], s[4:5]
	v_or_b32_e32 v71, v71, v73
	v_or_b32_e32 v70, v70, v72
	;; [unrolled: 1-line block ×4, first 2 shown]
	s_delay_alu instid0(VALU_DEP_3) | instskip(NEXT) | instid1(VALU_DEP_2)
	v_pk_mul_f32 v[72:73], v[78:79], v[70:71]
	v_pk_mul_f32 v[70:71], v[78:79], v[74:75]
	s_and_saveexec_b32 s21, vcc_lo
	s_cbranch_execz .LBB203_932
; %bb.931:                              ;   in Loop: Header=BB203_557 Depth=1
	v_cmp_gt_i32_e64 s0, s31, v67
	s_delay_alu instid0(VALU_DEP_1) | instskip(SKIP_1) | instid1(VALU_DEP_1)
	v_cndmask_b32_e64 v72, 0, v72, s0
	v_cmp_gt_i32_e64 s0, s31, v103
	v_cndmask_b32_e64 v73, 0, v73, s0
	v_cmp_gt_i32_e64 s0, s31, v95
	s_delay_alu instid0(VALU_DEP_1) | instskip(SKIP_1) | instid1(VALU_DEP_1)
	v_cndmask_b32_e64 v70, 0, v70, s0
	v_cmp_gt_i32_e64 s0, s31, v94
	v_cndmask_b32_e64 v71, 0, v71, s0
.LBB203_932:                            ;   in Loop: Header=BB203_557 Depth=1
	s_or_b32 exec_lo, exec_lo, s21
	global_load_b32 v82, v[32:33], off offset:1408
	v_mov_b64_e32 v[74:75], 0
	v_mov_b64_e32 v[76:77], 0
	s_mov_b32 s21, exec_lo
	s_wait_loadcnt 0x0
	v_and_b32_e32 v22, 0xff, v82
	s_delay_alu instid0(VALU_DEP_1)
	v_cmpx_ne_u16_e32 0, v22
	s_cbranch_execz .LBB203_940
; %bb.933:                              ;   in Loop: Header=BB203_557 Depth=1
	v_mov_b64_e32 v[76:77], 0x80000000
	s_mov_b32 s22, exec_lo
	v_cmpx_ne_u16_e32 0x80, v22
	s_cbranch_execz .LBB203_939
; %bb.934:                              ;   in Loop: Header=BB203_557 Depth=1
	v_mov_b64_e32 v[76:77], 0x7f800001
	v_and_b32_e32 v78, 0x7f, v82
	s_mov_b32 s23, exec_lo
	s_delay_alu instid0(VALU_DEP_1)
	v_cmpx_ne_u32_e32 0x7f, v78
	s_cbranch_execz .LBB203_938
; %bb.935:                              ;   in Loop: Header=BB203_557 Depth=1
	v_and_b32_e32 v22, 7, v82
	v_lshrrev_b32_e32 v76, 3, v78
	s_mov_b32 s24, exec_lo
	v_cmpx_gt_u32_e32 8, v78
; %bb.936:                              ;   in Loop: Header=BB203_557 Depth=1
	s_delay_alu instid0(VALU_DEP_3) | instskip(NEXT) | instid1(VALU_DEP_1)
	v_clz_i32_u32_e32 v76, v22
	v_min_u32_e32 v76, 32, v76
	s_delay_alu instid0(VALU_DEP_1) | instskip(NEXT) | instid1(VALU_DEP_1)
	v_subrev_nc_u32_e32 v77, 28, v76
	v_lshlrev_b64_e32 v[78:79], v77, v[22:23]
	s_delay_alu instid0(VALU_DEP_1)
	v_dual_sub_nc_u32 v76, 29, v76 :: v_dual_bitop2_b32 v22, 7, v78 bitop3:0x40
; %bb.937:                              ;   in Loop: Header=BB203_557 Depth=1
	s_or_b32 exec_lo, exec_lo, s24
	v_lshlrev_b32_e32 v77, 24, v82
	s_delay_alu instid0(VALU_DEP_2) | instskip(NEXT) | instid1(VALU_DEP_3)
	v_lshlrev_b32_e32 v22, 20, v22
	v_lshl_add_u32 v76, v76, 23, 0x3c000000
	s_delay_alu instid0(VALU_DEP_3) | instskip(NEXT) | instid1(VALU_DEP_1)
	v_and_b32_e32 v77, 0x80000000, v77
	v_or3_b32 v22, v22, v77, v76
	s_delay_alu instid0(VALU_DEP_1)
	v_mov_b64_e32 v[76:77], v[22:23]
.LBB203_938:                            ;   in Loop: Header=BB203_557 Depth=1
	s_or_b32 exec_lo, exec_lo, s23
.LBB203_939:                            ;   in Loop: Header=BB203_557 Depth=1
	s_delay_alu instid0(SALU_CYCLE_1)
	s_or_b32 exec_lo, exec_lo, s22
.LBB203_940:                            ;   in Loop: Header=BB203_557 Depth=1
	s_delay_alu instid0(SALU_CYCLE_1) | instskip(SKIP_2) | instid1(VALU_DEP_1)
	s_or_b32 exec_lo, exec_lo, s21
	v_lshrrev_b16 v22, 8, v82
	s_mov_b32 s21, exec_lo
	v_cmpx_ne_u16_e32 0, v22
	s_cbranch_execz .LBB203_948
; %bb.941:                              ;   in Loop: Header=BB203_557 Depth=1
	v_mov_b64_e32 v[74:75], 0x8000000000000000
	s_mov_b32 s22, exec_lo
	v_cmpx_ne_u16_e32 0x80, v22
	s_cbranch_execz .LBB203_947
; %bb.942:                              ;   in Loop: Header=BB203_557 Depth=1
	v_and_b32_e32 v22, 0xffff, v22
	v_mov_b64_e32 v[74:75], 0x7f80000100000000
	s_mov_b32 s23, exec_lo
	s_delay_alu instid0(VALU_DEP_2) | instskip(NEXT) | instid1(VALU_DEP_1)
	v_and_b32_e32 v78, 0x7f, v22
	v_cmpx_ne_u32_e32 0x7f, v78
	s_cbranch_execz .LBB203_946
; %bb.943:                              ;   in Loop: Header=BB203_557 Depth=1
	v_and_b32_e32 v22, 7, v22
	v_lshrrev_b32_e32 v74, 3, v78
	s_mov_b32 s24, exec_lo
	v_cmpx_gt_u32_e32 8, v78
; %bb.944:                              ;   in Loop: Header=BB203_557 Depth=1
	s_delay_alu instid0(VALU_DEP_3) | instskip(NEXT) | instid1(VALU_DEP_1)
	v_clz_i32_u32_e32 v74, v22
	v_min_u32_e32 v74, 32, v74
	s_delay_alu instid0(VALU_DEP_1) | instskip(SKIP_1) | instid1(VALU_DEP_2)
	v_subrev_nc_u32_e32 v75, 28, v74
	v_sub_nc_u32_e32 v74, 29, v74
	v_lshlrev_b64_e32 v[78:79], v75, v[22:23]
	s_delay_alu instid0(VALU_DEP_1)
	v_and_b32_e32 v22, 7, v78
; %bb.945:                              ;   in Loop: Header=BB203_557 Depth=1
	s_or_b32 exec_lo, exec_lo, s24
	v_lshlrev_b32_e32 v75, 16, v82
	s_delay_alu instid0(VALU_DEP_2) | instskip(SKIP_1) | instid1(VALU_DEP_3)
	v_lshlrev_b32_e32 v22, 20, v22
	v_lshl_add_u32 v74, v74, 23, 0x3c000000
	v_and_b32_e32 v75, 0x80000000, v75
	s_delay_alu instid0(VALU_DEP_1)
	v_or3_b32 v75, v22, v75, v74
	v_mov_b32_e32 v74, v23
.LBB203_946:                            ;   in Loop: Header=BB203_557 Depth=1
	s_or_b32 exec_lo, exec_lo, s23
.LBB203_947:                            ;   in Loop: Header=BB203_557 Depth=1
	s_delay_alu instid0(SALU_CYCLE_1)
	s_or_b32 exec_lo, exec_lo, s22
.LBB203_948:                            ;   in Loop: Header=BB203_557 Depth=1
	s_delay_alu instid0(SALU_CYCLE_1) | instskip(SKIP_4) | instid1(VALU_DEP_3)
	s_or_b32 exec_lo, exec_lo, s21
	v_lshrrev_b32_e32 v83, 16, v82
	v_mov_b64_e32 v[78:79], 0
	v_mov_b64_e32 v[80:81], 0
	s_mov_b32 s21, exec_lo
	v_and_b32_e32 v22, 0xff, v83
	s_delay_alu instid0(VALU_DEP_1)
	v_cmpx_ne_u16_e32 0, v22
	s_cbranch_execz .LBB203_956
; %bb.949:                              ;   in Loop: Header=BB203_557 Depth=1
	v_mov_b64_e32 v[80:81], 0x80000000
	s_mov_b32 s22, exec_lo
	v_cmpx_ne_u16_e32 0x80, v22
	s_cbranch_execz .LBB203_955
; %bb.950:                              ;   in Loop: Header=BB203_557 Depth=1
	v_mov_b64_e32 v[80:81], 0x7f800001
	v_bfe_u32 v84, v82, 16, 7
	s_mov_b32 s23, exec_lo
	s_delay_alu instid0(VALU_DEP_1)
	v_cmpx_ne_u32_e32 0x7f, v84
	s_cbranch_execz .LBB203_954
; %bb.951:                              ;   in Loop: Header=BB203_557 Depth=1
	v_dual_lshrrev_b32 v80, 3, v84 :: v_dual_bitop2_b32 v22, 7, v83 bitop3:0x40
	s_mov_b32 s24, exec_lo
	v_cmpx_gt_u32_e32 8, v84
; %bb.952:                              ;   in Loop: Header=BB203_557 Depth=1
	s_delay_alu instid0(VALU_DEP_2) | instskip(NEXT) | instid1(VALU_DEP_1)
	v_clz_i32_u32_e32 v80, v22
	v_min_u32_e32 v80, 32, v80
	s_delay_alu instid0(VALU_DEP_1) | instskip(SKIP_1) | instid1(VALU_DEP_2)
	v_subrev_nc_u32_e32 v81, 28, v80
	v_sub_nc_u32_e32 v80, 29, v80
	v_lshlrev_b64_e32 v[84:85], v81, v[22:23]
	s_delay_alu instid0(VALU_DEP_1)
	v_and_b32_e32 v22, 7, v84
; %bb.953:                              ;   in Loop: Header=BB203_557 Depth=1
	s_or_b32 exec_lo, exec_lo, s24
	s_delay_alu instid0(VALU_DEP_1) | instskip(SKIP_1) | instid1(VALU_DEP_2)
	v_dual_lshlrev_b32 v81, 24, v83 :: v_dual_lshlrev_b32 v22, 20, v22
	v_lshl_add_u32 v80, v80, 23, 0x3c000000
	v_and_b32_e32 v81, 0x80000000, v81
	s_delay_alu instid0(VALU_DEP_1) | instskip(NEXT) | instid1(VALU_DEP_1)
	v_or3_b32 v22, v22, v81, v80
	v_mov_b64_e32 v[80:81], v[22:23]
.LBB203_954:                            ;   in Loop: Header=BB203_557 Depth=1
	s_or_b32 exec_lo, exec_lo, s23
.LBB203_955:                            ;   in Loop: Header=BB203_557 Depth=1
	s_delay_alu instid0(SALU_CYCLE_1)
	s_or_b32 exec_lo, exec_lo, s22
.LBB203_956:                            ;   in Loop: Header=BB203_557 Depth=1
	s_delay_alu instid0(SALU_CYCLE_1) | instskip(NEXT) | instid1(SALU_CYCLE_1)
	s_or_b32 exec_lo, exec_lo, s21
	s_mov_b32 s21, exec_lo
	v_cmpx_lt_u32_e32 0xffffff, v82
	s_cbranch_execz .LBB203_964
; %bb.957:                              ;   in Loop: Header=BB203_557 Depth=1
	v_mov_b64_e32 v[78:79], 0x8000000000000000
	v_lshrrev_b32_e32 v83, 24, v82
	s_mov_b32 s22, exec_lo
	s_delay_alu instid0(VALU_DEP_1)
	v_cmpx_ne_u32_e32 0x80, v83
	s_cbranch_execz .LBB203_963
; %bb.958:                              ;   in Loop: Header=BB203_557 Depth=1
	v_mov_b64_e32 v[78:79], 0x7f80000100000000
	v_bfe_u32 v82, v82, 24, 7
	s_mov_b32 s23, exec_lo
	s_delay_alu instid0(VALU_DEP_1)
	v_cmpx_ne_u32_e32 0x7f, v82
	s_cbranch_execz .LBB203_962
; %bb.959:                              ;   in Loop: Header=BB203_557 Depth=1
	v_dual_lshrrev_b32 v78, 3, v82 :: v_dual_bitop2_b32 v22, 7, v83 bitop3:0x40
	s_mov_b32 s24, exec_lo
	v_cmpx_gt_u32_e32 8, v82
; %bb.960:                              ;   in Loop: Header=BB203_557 Depth=1
	s_delay_alu instid0(VALU_DEP_2) | instskip(NEXT) | instid1(VALU_DEP_1)
	v_clz_i32_u32_e32 v78, v22
	v_min_u32_e32 v78, 32, v78
	s_delay_alu instid0(VALU_DEP_1) | instskip(NEXT) | instid1(VALU_DEP_1)
	v_subrev_nc_u32_e32 v79, 28, v78
	v_lshlrev_b64_e32 v[84:85], v79, v[22:23]
	s_delay_alu instid0(VALU_DEP_1)
	v_dual_sub_nc_u32 v78, 29, v78 :: v_dual_bitop2_b32 v22, 7, v84 bitop3:0x40
; %bb.961:                              ;   in Loop: Header=BB203_557 Depth=1
	s_or_b32 exec_lo, exec_lo, s24
	s_delay_alu instid0(VALU_DEP_1) | instskip(NEXT) | instid1(VALU_DEP_2)
	v_dual_lshlrev_b32 v79, 24, v83 :: v_dual_lshlrev_b32 v22, 20, v22
	v_lshl_add_u32 v78, v78, 23, 0x3c000000
	s_delay_alu instid0(VALU_DEP_2) | instskip(NEXT) | instid1(VALU_DEP_1)
	v_and_b32_e32 v79, 0x80000000, v79
	v_or3_b32 v79, v22, v79, v78
	v_mov_b32_e32 v78, v23
.LBB203_962:                            ;   in Loop: Header=BB203_557 Depth=1
	s_or_b32 exec_lo, exec_lo, s23
.LBB203_963:                            ;   in Loop: Header=BB203_557 Depth=1
	s_delay_alu instid0(SALU_CYCLE_1)
	s_or_b32 exec_lo, exec_lo, s22
.LBB203_964:                            ;   in Loop: Header=BB203_557 Depth=1
	s_delay_alu instid0(SALU_CYCLE_1)
	s_or_b32 exec_lo, exec_lo, s21
	v_mov_b64_e32 v[82:83], s[4:5]
	v_or_b32_e32 v75, v75, v77
	v_or_b32_e32 v74, v74, v76
	;; [unrolled: 1-line block ×4, first 2 shown]
	s_delay_alu instid0(VALU_DEP_3) | instskip(NEXT) | instid1(VALU_DEP_2)
	v_pk_mul_f32 v[76:77], v[82:83], v[74:75]
	v_pk_mul_f32 v[74:75], v[82:83], v[78:79]
	s_and_saveexec_b32 s21, vcc_lo
	s_cbranch_execz .LBB203_966
; %bb.965:                              ;   in Loop: Header=BB203_557 Depth=1
	v_cmp_gt_i32_e64 s0, s31, v67
	s_delay_alu instid0(VALU_DEP_1) | instskip(SKIP_1) | instid1(VALU_DEP_1)
	v_cndmask_b32_e64 v76, 0, v76, s0
	v_cmp_gt_i32_e64 s0, s31, v103
	v_cndmask_b32_e64 v77, 0, v77, s0
	v_cmp_gt_i32_e64 s0, s31, v95
	s_delay_alu instid0(VALU_DEP_1) | instskip(SKIP_1) | instid1(VALU_DEP_1)
	v_cndmask_b32_e64 v74, 0, v74, s0
	v_cmp_gt_i32_e64 s0, s31, v94
	v_cndmask_b32_e64 v75, 0, v75, s0
.LBB203_966:                            ;   in Loop: Header=BB203_557 Depth=1
	s_or_b32 exec_lo, exec_lo, s21
	global_load_b32 v86, v[32:33], off offset:1536
	v_mov_b64_e32 v[78:79], 0
	v_mov_b64_e32 v[80:81], 0
	s_mov_b32 s21, exec_lo
	s_wait_loadcnt 0x0
	v_and_b32_e32 v22, 0xff, v86
	s_delay_alu instid0(VALU_DEP_1)
	v_cmpx_ne_u16_e32 0, v22
	s_cbranch_execz .LBB203_974
; %bb.967:                              ;   in Loop: Header=BB203_557 Depth=1
	v_mov_b64_e32 v[80:81], 0x80000000
	s_mov_b32 s22, exec_lo
	v_cmpx_ne_u16_e32 0x80, v22
	s_cbranch_execz .LBB203_973
; %bb.968:                              ;   in Loop: Header=BB203_557 Depth=1
	v_mov_b64_e32 v[80:81], 0x7f800001
	v_and_b32_e32 v82, 0x7f, v86
	s_mov_b32 s23, exec_lo
	s_delay_alu instid0(VALU_DEP_1)
	v_cmpx_ne_u32_e32 0x7f, v82
	s_cbranch_execz .LBB203_972
; %bb.969:                              ;   in Loop: Header=BB203_557 Depth=1
	v_and_b32_e32 v22, 7, v86
	v_lshrrev_b32_e32 v80, 3, v82
	s_mov_b32 s24, exec_lo
	v_cmpx_gt_u32_e32 8, v82
; %bb.970:                              ;   in Loop: Header=BB203_557 Depth=1
	s_delay_alu instid0(VALU_DEP_3) | instskip(NEXT) | instid1(VALU_DEP_1)
	v_clz_i32_u32_e32 v80, v22
	v_min_u32_e32 v80, 32, v80
	s_delay_alu instid0(VALU_DEP_1) | instskip(NEXT) | instid1(VALU_DEP_1)
	v_subrev_nc_u32_e32 v81, 28, v80
	v_lshlrev_b64_e32 v[82:83], v81, v[22:23]
	s_delay_alu instid0(VALU_DEP_1)
	v_dual_sub_nc_u32 v80, 29, v80 :: v_dual_bitop2_b32 v22, 7, v82 bitop3:0x40
; %bb.971:                              ;   in Loop: Header=BB203_557 Depth=1
	s_or_b32 exec_lo, exec_lo, s24
	v_lshlrev_b32_e32 v81, 24, v86
	s_delay_alu instid0(VALU_DEP_2) | instskip(NEXT) | instid1(VALU_DEP_3)
	v_lshlrev_b32_e32 v22, 20, v22
	v_lshl_add_u32 v80, v80, 23, 0x3c000000
	s_delay_alu instid0(VALU_DEP_3) | instskip(NEXT) | instid1(VALU_DEP_1)
	v_and_b32_e32 v81, 0x80000000, v81
	v_or3_b32 v22, v22, v81, v80
	s_delay_alu instid0(VALU_DEP_1)
	v_mov_b64_e32 v[80:81], v[22:23]
.LBB203_972:                            ;   in Loop: Header=BB203_557 Depth=1
	s_or_b32 exec_lo, exec_lo, s23
.LBB203_973:                            ;   in Loop: Header=BB203_557 Depth=1
	s_delay_alu instid0(SALU_CYCLE_1)
	s_or_b32 exec_lo, exec_lo, s22
.LBB203_974:                            ;   in Loop: Header=BB203_557 Depth=1
	s_delay_alu instid0(SALU_CYCLE_1) | instskip(SKIP_2) | instid1(VALU_DEP_1)
	s_or_b32 exec_lo, exec_lo, s21
	v_lshrrev_b16 v22, 8, v86
	s_mov_b32 s21, exec_lo
	v_cmpx_ne_u16_e32 0, v22
	s_cbranch_execz .LBB203_982
; %bb.975:                              ;   in Loop: Header=BB203_557 Depth=1
	v_mov_b64_e32 v[78:79], 0x8000000000000000
	s_mov_b32 s22, exec_lo
	v_cmpx_ne_u16_e32 0x80, v22
	s_cbranch_execz .LBB203_981
; %bb.976:                              ;   in Loop: Header=BB203_557 Depth=1
	v_and_b32_e32 v22, 0xffff, v22
	v_mov_b64_e32 v[78:79], 0x7f80000100000000
	s_mov_b32 s23, exec_lo
	s_delay_alu instid0(VALU_DEP_2) | instskip(NEXT) | instid1(VALU_DEP_1)
	v_and_b32_e32 v82, 0x7f, v22
	v_cmpx_ne_u32_e32 0x7f, v82
	s_cbranch_execz .LBB203_980
; %bb.977:                              ;   in Loop: Header=BB203_557 Depth=1
	v_and_b32_e32 v22, 7, v22
	v_lshrrev_b32_e32 v78, 3, v82
	s_mov_b32 s24, exec_lo
	v_cmpx_gt_u32_e32 8, v82
; %bb.978:                              ;   in Loop: Header=BB203_557 Depth=1
	s_delay_alu instid0(VALU_DEP_3) | instskip(NEXT) | instid1(VALU_DEP_1)
	v_clz_i32_u32_e32 v78, v22
	v_min_u32_e32 v78, 32, v78
	s_delay_alu instid0(VALU_DEP_1) | instskip(SKIP_1) | instid1(VALU_DEP_2)
	v_subrev_nc_u32_e32 v79, 28, v78
	v_sub_nc_u32_e32 v78, 29, v78
	v_lshlrev_b64_e32 v[82:83], v79, v[22:23]
	s_delay_alu instid0(VALU_DEP_1)
	v_and_b32_e32 v22, 7, v82
; %bb.979:                              ;   in Loop: Header=BB203_557 Depth=1
	s_or_b32 exec_lo, exec_lo, s24
	v_lshlrev_b32_e32 v79, 16, v86
	s_delay_alu instid0(VALU_DEP_2) | instskip(SKIP_1) | instid1(VALU_DEP_3)
	v_lshlrev_b32_e32 v22, 20, v22
	v_lshl_add_u32 v78, v78, 23, 0x3c000000
	v_and_b32_e32 v79, 0x80000000, v79
	s_delay_alu instid0(VALU_DEP_1)
	v_or3_b32 v79, v22, v79, v78
	v_mov_b32_e32 v78, v23
.LBB203_980:                            ;   in Loop: Header=BB203_557 Depth=1
	s_or_b32 exec_lo, exec_lo, s23
.LBB203_981:                            ;   in Loop: Header=BB203_557 Depth=1
	s_delay_alu instid0(SALU_CYCLE_1)
	s_or_b32 exec_lo, exec_lo, s22
.LBB203_982:                            ;   in Loop: Header=BB203_557 Depth=1
	s_delay_alu instid0(SALU_CYCLE_1) | instskip(SKIP_4) | instid1(VALU_DEP_3)
	s_or_b32 exec_lo, exec_lo, s21
	v_lshrrev_b32_e32 v87, 16, v86
	v_mov_b64_e32 v[82:83], 0
	v_mov_b64_e32 v[84:85], 0
	s_mov_b32 s21, exec_lo
	v_and_b32_e32 v22, 0xff, v87
	s_delay_alu instid0(VALU_DEP_1)
	v_cmpx_ne_u16_e32 0, v22
	s_cbranch_execz .LBB203_990
; %bb.983:                              ;   in Loop: Header=BB203_557 Depth=1
	v_mov_b64_e32 v[84:85], 0x80000000
	s_mov_b32 s22, exec_lo
	v_cmpx_ne_u16_e32 0x80, v22
	s_cbranch_execz .LBB203_989
; %bb.984:                              ;   in Loop: Header=BB203_557 Depth=1
	v_mov_b64_e32 v[84:85], 0x7f800001
	v_bfe_u32 v88, v86, 16, 7
	s_mov_b32 s23, exec_lo
	s_delay_alu instid0(VALU_DEP_1)
	v_cmpx_ne_u32_e32 0x7f, v88
	s_cbranch_execz .LBB203_988
; %bb.985:                              ;   in Loop: Header=BB203_557 Depth=1
	v_dual_lshrrev_b32 v84, 3, v88 :: v_dual_bitop2_b32 v22, 7, v87 bitop3:0x40
	s_mov_b32 s24, exec_lo
	v_cmpx_gt_u32_e32 8, v88
; %bb.986:                              ;   in Loop: Header=BB203_557 Depth=1
	s_delay_alu instid0(VALU_DEP_2) | instskip(NEXT) | instid1(VALU_DEP_1)
	v_clz_i32_u32_e32 v84, v22
	v_min_u32_e32 v84, 32, v84
	s_delay_alu instid0(VALU_DEP_1) | instskip(SKIP_1) | instid1(VALU_DEP_2)
	v_subrev_nc_u32_e32 v85, 28, v84
	v_sub_nc_u32_e32 v84, 29, v84
	v_lshlrev_b64_e32 v[88:89], v85, v[22:23]
	s_delay_alu instid0(VALU_DEP_1)
	v_and_b32_e32 v22, 7, v88
; %bb.987:                              ;   in Loop: Header=BB203_557 Depth=1
	s_or_b32 exec_lo, exec_lo, s24
	s_delay_alu instid0(VALU_DEP_1) | instskip(SKIP_1) | instid1(VALU_DEP_2)
	v_dual_lshlrev_b32 v85, 24, v87 :: v_dual_lshlrev_b32 v22, 20, v22
	v_lshl_add_u32 v84, v84, 23, 0x3c000000
	v_and_b32_e32 v85, 0x80000000, v85
	s_delay_alu instid0(VALU_DEP_1) | instskip(NEXT) | instid1(VALU_DEP_1)
	v_or3_b32 v22, v22, v85, v84
	v_mov_b64_e32 v[84:85], v[22:23]
.LBB203_988:                            ;   in Loop: Header=BB203_557 Depth=1
	s_or_b32 exec_lo, exec_lo, s23
.LBB203_989:                            ;   in Loop: Header=BB203_557 Depth=1
	s_delay_alu instid0(SALU_CYCLE_1)
	s_or_b32 exec_lo, exec_lo, s22
.LBB203_990:                            ;   in Loop: Header=BB203_557 Depth=1
	s_delay_alu instid0(SALU_CYCLE_1) | instskip(NEXT) | instid1(SALU_CYCLE_1)
	s_or_b32 exec_lo, exec_lo, s21
	s_mov_b32 s21, exec_lo
	v_cmpx_lt_u32_e32 0xffffff, v86
	s_cbranch_execz .LBB203_998
; %bb.991:                              ;   in Loop: Header=BB203_557 Depth=1
	v_mov_b64_e32 v[82:83], 0x8000000000000000
	v_lshrrev_b32_e32 v87, 24, v86
	s_mov_b32 s22, exec_lo
	s_delay_alu instid0(VALU_DEP_1)
	v_cmpx_ne_u32_e32 0x80, v87
	s_cbranch_execz .LBB203_997
; %bb.992:                              ;   in Loop: Header=BB203_557 Depth=1
	v_mov_b64_e32 v[82:83], 0x7f80000100000000
	v_bfe_u32 v86, v86, 24, 7
	s_mov_b32 s23, exec_lo
	s_delay_alu instid0(VALU_DEP_1)
	v_cmpx_ne_u32_e32 0x7f, v86
	s_cbranch_execz .LBB203_996
; %bb.993:                              ;   in Loop: Header=BB203_557 Depth=1
	v_dual_lshrrev_b32 v82, 3, v86 :: v_dual_bitop2_b32 v22, 7, v87 bitop3:0x40
	s_mov_b32 s24, exec_lo
	v_cmpx_gt_u32_e32 8, v86
; %bb.994:                              ;   in Loop: Header=BB203_557 Depth=1
	s_delay_alu instid0(VALU_DEP_2) | instskip(NEXT) | instid1(VALU_DEP_1)
	v_clz_i32_u32_e32 v82, v22
	v_min_u32_e32 v82, 32, v82
	s_delay_alu instid0(VALU_DEP_1) | instskip(NEXT) | instid1(VALU_DEP_1)
	v_subrev_nc_u32_e32 v83, 28, v82
	v_lshlrev_b64_e32 v[88:89], v83, v[22:23]
	s_delay_alu instid0(VALU_DEP_1)
	v_dual_sub_nc_u32 v82, 29, v82 :: v_dual_bitop2_b32 v22, 7, v88 bitop3:0x40
; %bb.995:                              ;   in Loop: Header=BB203_557 Depth=1
	s_or_b32 exec_lo, exec_lo, s24
	s_delay_alu instid0(VALU_DEP_1) | instskip(NEXT) | instid1(VALU_DEP_2)
	v_dual_lshlrev_b32 v83, 24, v87 :: v_dual_lshlrev_b32 v22, 20, v22
	v_lshl_add_u32 v82, v82, 23, 0x3c000000
	s_delay_alu instid0(VALU_DEP_2) | instskip(NEXT) | instid1(VALU_DEP_1)
	v_and_b32_e32 v83, 0x80000000, v83
	v_or3_b32 v83, v22, v83, v82
	v_mov_b32_e32 v82, v23
.LBB203_996:                            ;   in Loop: Header=BB203_557 Depth=1
	s_or_b32 exec_lo, exec_lo, s23
.LBB203_997:                            ;   in Loop: Header=BB203_557 Depth=1
	s_delay_alu instid0(SALU_CYCLE_1)
	s_or_b32 exec_lo, exec_lo, s22
.LBB203_998:                            ;   in Loop: Header=BB203_557 Depth=1
	s_delay_alu instid0(SALU_CYCLE_1)
	s_or_b32 exec_lo, exec_lo, s21
	v_mov_b64_e32 v[86:87], s[4:5]
	v_or_b32_e32 v79, v79, v81
	v_or_b32_e32 v78, v78, v80
	;; [unrolled: 1-line block ×4, first 2 shown]
	s_delay_alu instid0(VALU_DEP_3) | instskip(NEXT) | instid1(VALU_DEP_2)
	v_pk_mul_f32 v[80:81], v[86:87], v[78:79]
	v_pk_mul_f32 v[78:79], v[86:87], v[82:83]
	s_and_saveexec_b32 s21, vcc_lo
	s_cbranch_execz .LBB203_1000
; %bb.999:                              ;   in Loop: Header=BB203_557 Depth=1
	v_cmp_gt_i32_e64 s0, s31, v67
	s_delay_alu instid0(VALU_DEP_1) | instskip(SKIP_1) | instid1(VALU_DEP_1)
	v_cndmask_b32_e64 v80, 0, v80, s0
	v_cmp_gt_i32_e64 s0, s31, v103
	v_cndmask_b32_e64 v81, 0, v81, s0
	v_cmp_gt_i32_e64 s0, s31, v95
	s_delay_alu instid0(VALU_DEP_1) | instskip(SKIP_1) | instid1(VALU_DEP_1)
	v_cndmask_b32_e64 v78, 0, v78, s0
	v_cmp_gt_i32_e64 s0, s31, v94
	v_cndmask_b32_e64 v79, 0, v79, s0
.LBB203_1000:                           ;   in Loop: Header=BB203_557 Depth=1
	s_or_b32 exec_lo, exec_lo, s21
	global_load_b32 v90, v[32:33], off offset:1664
	v_mov_b64_e32 v[82:83], 0
	v_mov_b64_e32 v[84:85], 0
	s_mov_b32 s21, exec_lo
	s_wait_loadcnt 0x0
	v_and_b32_e32 v22, 0xff, v90
	s_delay_alu instid0(VALU_DEP_1)
	v_cmpx_ne_u16_e32 0, v22
	s_cbranch_execz .LBB203_1008
; %bb.1001:                             ;   in Loop: Header=BB203_557 Depth=1
	v_mov_b64_e32 v[84:85], 0x80000000
	s_mov_b32 s22, exec_lo
	v_cmpx_ne_u16_e32 0x80, v22
	s_cbranch_execz .LBB203_1007
; %bb.1002:                             ;   in Loop: Header=BB203_557 Depth=1
	v_mov_b64_e32 v[84:85], 0x7f800001
	v_and_b32_e32 v86, 0x7f, v90
	s_mov_b32 s23, exec_lo
	s_delay_alu instid0(VALU_DEP_1)
	v_cmpx_ne_u32_e32 0x7f, v86
	s_cbranch_execz .LBB203_1006
; %bb.1003:                             ;   in Loop: Header=BB203_557 Depth=1
	v_and_b32_e32 v22, 7, v90
	v_lshrrev_b32_e32 v84, 3, v86
	s_mov_b32 s24, exec_lo
	v_cmpx_gt_u32_e32 8, v86
; %bb.1004:                             ;   in Loop: Header=BB203_557 Depth=1
	s_delay_alu instid0(VALU_DEP_3) | instskip(NEXT) | instid1(VALU_DEP_1)
	v_clz_i32_u32_e32 v84, v22
	v_min_u32_e32 v84, 32, v84
	s_delay_alu instid0(VALU_DEP_1) | instskip(NEXT) | instid1(VALU_DEP_1)
	v_subrev_nc_u32_e32 v85, 28, v84
	v_lshlrev_b64_e32 v[86:87], v85, v[22:23]
	s_delay_alu instid0(VALU_DEP_1)
	v_dual_sub_nc_u32 v84, 29, v84 :: v_dual_bitop2_b32 v22, 7, v86 bitop3:0x40
; %bb.1005:                             ;   in Loop: Header=BB203_557 Depth=1
	s_or_b32 exec_lo, exec_lo, s24
	v_lshlrev_b32_e32 v85, 24, v90
	s_delay_alu instid0(VALU_DEP_2) | instskip(NEXT) | instid1(VALU_DEP_3)
	v_lshlrev_b32_e32 v22, 20, v22
	v_lshl_add_u32 v84, v84, 23, 0x3c000000
	s_delay_alu instid0(VALU_DEP_3) | instskip(NEXT) | instid1(VALU_DEP_1)
	v_and_b32_e32 v85, 0x80000000, v85
	v_or3_b32 v22, v22, v85, v84
	s_delay_alu instid0(VALU_DEP_1)
	v_mov_b64_e32 v[84:85], v[22:23]
.LBB203_1006:                           ;   in Loop: Header=BB203_557 Depth=1
	s_or_b32 exec_lo, exec_lo, s23
.LBB203_1007:                           ;   in Loop: Header=BB203_557 Depth=1
	s_delay_alu instid0(SALU_CYCLE_1)
	s_or_b32 exec_lo, exec_lo, s22
.LBB203_1008:                           ;   in Loop: Header=BB203_557 Depth=1
	s_delay_alu instid0(SALU_CYCLE_1) | instskip(SKIP_2) | instid1(VALU_DEP_1)
	s_or_b32 exec_lo, exec_lo, s21
	v_lshrrev_b16 v22, 8, v90
	s_mov_b32 s21, exec_lo
	v_cmpx_ne_u16_e32 0, v22
	s_cbranch_execz .LBB203_1016
; %bb.1009:                             ;   in Loop: Header=BB203_557 Depth=1
	v_mov_b64_e32 v[82:83], 0x8000000000000000
	s_mov_b32 s22, exec_lo
	v_cmpx_ne_u16_e32 0x80, v22
	s_cbranch_execz .LBB203_1015
; %bb.1010:                             ;   in Loop: Header=BB203_557 Depth=1
	v_and_b32_e32 v22, 0xffff, v22
	v_mov_b64_e32 v[82:83], 0x7f80000100000000
	s_mov_b32 s23, exec_lo
	s_delay_alu instid0(VALU_DEP_2) | instskip(NEXT) | instid1(VALU_DEP_1)
	v_and_b32_e32 v86, 0x7f, v22
	v_cmpx_ne_u32_e32 0x7f, v86
	s_cbranch_execz .LBB203_1014
; %bb.1011:                             ;   in Loop: Header=BB203_557 Depth=1
	v_and_b32_e32 v22, 7, v22
	v_lshrrev_b32_e32 v82, 3, v86
	s_mov_b32 s24, exec_lo
	v_cmpx_gt_u32_e32 8, v86
; %bb.1012:                             ;   in Loop: Header=BB203_557 Depth=1
	s_delay_alu instid0(VALU_DEP_3) | instskip(NEXT) | instid1(VALU_DEP_1)
	v_clz_i32_u32_e32 v82, v22
	v_min_u32_e32 v82, 32, v82
	s_delay_alu instid0(VALU_DEP_1) | instskip(SKIP_1) | instid1(VALU_DEP_2)
	v_subrev_nc_u32_e32 v83, 28, v82
	v_sub_nc_u32_e32 v82, 29, v82
	v_lshlrev_b64_e32 v[86:87], v83, v[22:23]
	s_delay_alu instid0(VALU_DEP_1)
	v_and_b32_e32 v22, 7, v86
; %bb.1013:                             ;   in Loop: Header=BB203_557 Depth=1
	s_or_b32 exec_lo, exec_lo, s24
	v_lshlrev_b32_e32 v83, 16, v90
	s_delay_alu instid0(VALU_DEP_2) | instskip(SKIP_1) | instid1(VALU_DEP_3)
	v_lshlrev_b32_e32 v22, 20, v22
	v_lshl_add_u32 v82, v82, 23, 0x3c000000
	v_and_b32_e32 v83, 0x80000000, v83
	s_delay_alu instid0(VALU_DEP_1)
	v_or3_b32 v83, v22, v83, v82
	v_mov_b32_e32 v82, v23
.LBB203_1014:                           ;   in Loop: Header=BB203_557 Depth=1
	s_or_b32 exec_lo, exec_lo, s23
.LBB203_1015:                           ;   in Loop: Header=BB203_557 Depth=1
	s_delay_alu instid0(SALU_CYCLE_1)
	s_or_b32 exec_lo, exec_lo, s22
.LBB203_1016:                           ;   in Loop: Header=BB203_557 Depth=1
	s_delay_alu instid0(SALU_CYCLE_1) | instskip(SKIP_4) | instid1(VALU_DEP_3)
	s_or_b32 exec_lo, exec_lo, s21
	v_lshrrev_b32_e32 v91, 16, v90
	v_mov_b64_e32 v[86:87], 0
	v_mov_b64_e32 v[88:89], 0
	s_mov_b32 s21, exec_lo
	v_and_b32_e32 v22, 0xff, v91
	s_delay_alu instid0(VALU_DEP_1)
	v_cmpx_ne_u16_e32 0, v22
	s_cbranch_execz .LBB203_1024
; %bb.1017:                             ;   in Loop: Header=BB203_557 Depth=1
	v_mov_b64_e32 v[88:89], 0x80000000
	s_mov_b32 s22, exec_lo
	v_cmpx_ne_u16_e32 0x80, v22
	s_cbranch_execz .LBB203_1023
; %bb.1018:                             ;   in Loop: Header=BB203_557 Depth=1
	v_mov_b64_e32 v[88:89], 0x7f800001
	v_bfe_u32 v92, v90, 16, 7
	s_mov_b32 s23, exec_lo
	s_delay_alu instid0(VALU_DEP_1)
	v_cmpx_ne_u32_e32 0x7f, v92
	s_cbranch_execz .LBB203_1022
; %bb.1019:                             ;   in Loop: Header=BB203_557 Depth=1
	v_dual_lshrrev_b32 v88, 3, v92 :: v_dual_bitop2_b32 v22, 7, v91 bitop3:0x40
	s_mov_b32 s24, exec_lo
	v_cmpx_gt_u32_e32 8, v92
; %bb.1020:                             ;   in Loop: Header=BB203_557 Depth=1
	s_delay_alu instid0(VALU_DEP_2) | instskip(NEXT) | instid1(VALU_DEP_1)
	v_clz_i32_u32_e32 v88, v22
	v_min_u32_e32 v88, 32, v88
	s_delay_alu instid0(VALU_DEP_1) | instskip(SKIP_1) | instid1(VALU_DEP_2)
	v_subrev_nc_u32_e32 v89, 28, v88
	v_sub_nc_u32_e32 v88, 29, v88
	v_lshlrev_b64_e32 v[92:93], v89, v[22:23]
	s_delay_alu instid0(VALU_DEP_1)
	v_and_b32_e32 v22, 7, v92
; %bb.1021:                             ;   in Loop: Header=BB203_557 Depth=1
	s_or_b32 exec_lo, exec_lo, s24
	s_delay_alu instid0(VALU_DEP_1) | instskip(SKIP_1) | instid1(VALU_DEP_2)
	v_dual_lshlrev_b32 v89, 24, v91 :: v_dual_lshlrev_b32 v22, 20, v22
	v_lshl_add_u32 v88, v88, 23, 0x3c000000
	v_and_b32_e32 v89, 0x80000000, v89
	s_delay_alu instid0(VALU_DEP_1) | instskip(NEXT) | instid1(VALU_DEP_1)
	v_or3_b32 v22, v22, v89, v88
	v_mov_b64_e32 v[88:89], v[22:23]
.LBB203_1022:                           ;   in Loop: Header=BB203_557 Depth=1
	s_or_b32 exec_lo, exec_lo, s23
.LBB203_1023:                           ;   in Loop: Header=BB203_557 Depth=1
	s_delay_alu instid0(SALU_CYCLE_1)
	s_or_b32 exec_lo, exec_lo, s22
.LBB203_1024:                           ;   in Loop: Header=BB203_557 Depth=1
	s_delay_alu instid0(SALU_CYCLE_1) | instskip(NEXT) | instid1(SALU_CYCLE_1)
	s_or_b32 exec_lo, exec_lo, s21
	s_mov_b32 s21, exec_lo
	v_cmpx_lt_u32_e32 0xffffff, v90
	s_cbranch_execz .LBB203_1032
; %bb.1025:                             ;   in Loop: Header=BB203_557 Depth=1
	v_mov_b64_e32 v[86:87], 0x8000000000000000
	v_lshrrev_b32_e32 v91, 24, v90
	s_mov_b32 s22, exec_lo
	s_delay_alu instid0(VALU_DEP_1)
	v_cmpx_ne_u32_e32 0x80, v91
	s_cbranch_execz .LBB203_1031
; %bb.1026:                             ;   in Loop: Header=BB203_557 Depth=1
	v_mov_b64_e32 v[86:87], 0x7f80000100000000
	v_bfe_u32 v90, v90, 24, 7
	s_mov_b32 s23, exec_lo
	s_delay_alu instid0(VALU_DEP_1)
	v_cmpx_ne_u32_e32 0x7f, v90
	s_cbranch_execz .LBB203_1030
; %bb.1027:                             ;   in Loop: Header=BB203_557 Depth=1
	v_dual_lshrrev_b32 v86, 3, v90 :: v_dual_bitop2_b32 v22, 7, v91 bitop3:0x40
	s_mov_b32 s24, exec_lo
	v_cmpx_gt_u32_e32 8, v90
; %bb.1028:                             ;   in Loop: Header=BB203_557 Depth=1
	s_delay_alu instid0(VALU_DEP_2) | instskip(NEXT) | instid1(VALU_DEP_1)
	v_clz_i32_u32_e32 v86, v22
	v_min_u32_e32 v86, 32, v86
	s_delay_alu instid0(VALU_DEP_1) | instskip(NEXT) | instid1(VALU_DEP_1)
	v_subrev_nc_u32_e32 v87, 28, v86
	v_lshlrev_b64_e32 v[92:93], v87, v[22:23]
	s_delay_alu instid0(VALU_DEP_1)
	v_dual_sub_nc_u32 v86, 29, v86 :: v_dual_bitop2_b32 v22, 7, v92 bitop3:0x40
; %bb.1029:                             ;   in Loop: Header=BB203_557 Depth=1
	s_or_b32 exec_lo, exec_lo, s24
	s_delay_alu instid0(VALU_DEP_1) | instskip(NEXT) | instid1(VALU_DEP_2)
	v_dual_lshlrev_b32 v87, 24, v91 :: v_dual_lshlrev_b32 v22, 20, v22
	v_lshl_add_u32 v86, v86, 23, 0x3c000000
	s_delay_alu instid0(VALU_DEP_2) | instskip(NEXT) | instid1(VALU_DEP_1)
	v_and_b32_e32 v87, 0x80000000, v87
	v_or3_b32 v87, v22, v87, v86
	v_mov_b32_e32 v86, v23
.LBB203_1030:                           ;   in Loop: Header=BB203_557 Depth=1
	s_or_b32 exec_lo, exec_lo, s23
.LBB203_1031:                           ;   in Loop: Header=BB203_557 Depth=1
	s_delay_alu instid0(SALU_CYCLE_1)
	s_or_b32 exec_lo, exec_lo, s22
.LBB203_1032:                           ;   in Loop: Header=BB203_557 Depth=1
	s_delay_alu instid0(SALU_CYCLE_1)
	s_or_b32 exec_lo, exec_lo, s21
	v_mov_b64_e32 v[90:91], s[4:5]
	v_or_b32_e32 v83, v83, v85
	v_or_b32_e32 v82, v82, v84
	;; [unrolled: 1-line block ×4, first 2 shown]
	s_delay_alu instid0(VALU_DEP_3) | instskip(NEXT) | instid1(VALU_DEP_2)
	v_pk_mul_f32 v[84:85], v[90:91], v[82:83]
	v_pk_mul_f32 v[82:83], v[90:91], v[86:87]
	s_and_saveexec_b32 s21, vcc_lo
	s_cbranch_execz .LBB203_1034
; %bb.1033:                             ;   in Loop: Header=BB203_557 Depth=1
	v_cmp_gt_i32_e64 s0, s31, v67
	s_delay_alu instid0(VALU_DEP_1) | instskip(SKIP_1) | instid1(VALU_DEP_1)
	v_cndmask_b32_e64 v84, 0, v84, s0
	v_cmp_gt_i32_e64 s0, s31, v103
	v_cndmask_b32_e64 v85, 0, v85, s0
	v_cmp_gt_i32_e64 s0, s31, v95
	s_delay_alu instid0(VALU_DEP_1) | instskip(SKIP_1) | instid1(VALU_DEP_1)
	v_cndmask_b32_e64 v82, 0, v82, s0
	v_cmp_gt_i32_e64 s0, s31, v94
	v_cndmask_b32_e64 v83, 0, v83, s0
.LBB203_1034:                           ;   in Loop: Header=BB203_557 Depth=1
	s_or_b32 exec_lo, exec_lo, s21
	global_load_b32 v104, v[32:33], off offset:1792
	v_mov_b64_e32 v[86:87], 0
	v_mov_b64_e32 v[88:89], 0
	s_mov_b32 s21, exec_lo
	s_wait_loadcnt 0x0
	v_and_b32_e32 v22, 0xff, v104
	s_delay_alu instid0(VALU_DEP_1)
	v_cmpx_ne_u16_e32 0, v22
	s_cbranch_execz .LBB203_1042
; %bb.1035:                             ;   in Loop: Header=BB203_557 Depth=1
	v_mov_b64_e32 v[88:89], 0x80000000
	s_mov_b32 s22, exec_lo
	v_cmpx_ne_u16_e32 0x80, v22
	s_cbranch_execz .LBB203_1041
; %bb.1036:                             ;   in Loop: Header=BB203_557 Depth=1
	v_mov_b64_e32 v[88:89], 0x7f800001
	v_and_b32_e32 v90, 0x7f, v104
	s_mov_b32 s23, exec_lo
	s_delay_alu instid0(VALU_DEP_1)
	v_cmpx_ne_u32_e32 0x7f, v90
	s_cbranch_execz .LBB203_1040
; %bb.1037:                             ;   in Loop: Header=BB203_557 Depth=1
	v_dual_lshrrev_b32 v88, 3, v90 :: v_dual_bitop2_b32 v22, 7, v104 bitop3:0x40
	s_mov_b32 s24, exec_lo
	v_cmpx_gt_u32_e32 8, v90
; %bb.1038:                             ;   in Loop: Header=BB203_557 Depth=1
	s_delay_alu instid0(VALU_DEP_2) | instskip(NEXT) | instid1(VALU_DEP_1)
	v_clz_i32_u32_e32 v88, v22
	v_min_u32_e32 v88, 32, v88
	s_delay_alu instid0(VALU_DEP_1) | instskip(NEXT) | instid1(VALU_DEP_1)
	v_subrev_nc_u32_e32 v89, 28, v88
	v_lshlrev_b64_e32 v[90:91], v89, v[22:23]
	s_delay_alu instid0(VALU_DEP_1)
	v_dual_sub_nc_u32 v88, 29, v88 :: v_dual_bitop2_b32 v22, 7, v90 bitop3:0x40
; %bb.1039:                             ;   in Loop: Header=BB203_557 Depth=1
	s_or_b32 exec_lo, exec_lo, s24
	s_delay_alu instid0(VALU_DEP_1) | instskip(NEXT) | instid1(VALU_DEP_2)
	v_dual_lshlrev_b32 v89, 24, v104 :: v_dual_lshlrev_b32 v22, 20, v22
	v_lshl_add_u32 v88, v88, 23, 0x3c000000
	s_delay_alu instid0(VALU_DEP_2) | instskip(NEXT) | instid1(VALU_DEP_1)
	v_and_b32_e32 v89, 0x80000000, v89
	v_or3_b32 v22, v22, v89, v88
	s_delay_alu instid0(VALU_DEP_1)
	v_mov_b64_e32 v[88:89], v[22:23]
.LBB203_1040:                           ;   in Loop: Header=BB203_557 Depth=1
	s_or_b32 exec_lo, exec_lo, s23
.LBB203_1041:                           ;   in Loop: Header=BB203_557 Depth=1
	s_delay_alu instid0(SALU_CYCLE_1)
	s_or_b32 exec_lo, exec_lo, s22
.LBB203_1042:                           ;   in Loop: Header=BB203_557 Depth=1
	s_delay_alu instid0(SALU_CYCLE_1) | instskip(SKIP_2) | instid1(VALU_DEP_1)
	s_or_b32 exec_lo, exec_lo, s21
	v_lshrrev_b16 v22, 8, v104
	s_mov_b32 s21, exec_lo
	v_cmpx_ne_u16_e32 0, v22
	s_cbranch_execz .LBB203_1050
; %bb.1043:                             ;   in Loop: Header=BB203_557 Depth=1
	v_mov_b64_e32 v[86:87], 0x8000000000000000
	s_mov_b32 s22, exec_lo
	v_cmpx_ne_u16_e32 0x80, v22
	s_cbranch_execz .LBB203_1049
; %bb.1044:                             ;   in Loop: Header=BB203_557 Depth=1
	v_and_b32_e32 v22, 0xffff, v22
	v_mov_b64_e32 v[86:87], 0x7f80000100000000
	s_mov_b32 s23, exec_lo
	s_delay_alu instid0(VALU_DEP_2) | instskip(NEXT) | instid1(VALU_DEP_1)
	v_and_b32_e32 v90, 0x7f, v22
	v_cmpx_ne_u32_e32 0x7f, v90
	s_cbranch_execz .LBB203_1048
; %bb.1045:                             ;   in Loop: Header=BB203_557 Depth=1
	v_and_b32_e32 v22, 7, v22
	v_lshrrev_b32_e32 v86, 3, v90
	s_mov_b32 s24, exec_lo
	v_cmpx_gt_u32_e32 8, v90
; %bb.1046:                             ;   in Loop: Header=BB203_557 Depth=1
	s_delay_alu instid0(VALU_DEP_3) | instskip(NEXT) | instid1(VALU_DEP_1)
	v_clz_i32_u32_e32 v86, v22
	v_min_u32_e32 v86, 32, v86
	s_delay_alu instid0(VALU_DEP_1) | instskip(SKIP_1) | instid1(VALU_DEP_2)
	v_subrev_nc_u32_e32 v87, 28, v86
	v_sub_nc_u32_e32 v86, 29, v86
	v_lshlrev_b64_e32 v[90:91], v87, v[22:23]
	s_delay_alu instid0(VALU_DEP_1)
	v_and_b32_e32 v22, 7, v90
; %bb.1047:                             ;   in Loop: Header=BB203_557 Depth=1
	s_or_b32 exec_lo, exec_lo, s24
	s_delay_alu instid0(VALU_DEP_1) | instskip(SKIP_1) | instid1(VALU_DEP_2)
	v_dual_lshlrev_b32 v87, 16, v104 :: v_dual_lshlrev_b32 v22, 20, v22
	v_lshl_add_u32 v86, v86, 23, 0x3c000000
	v_and_b32_e32 v87, 0x80000000, v87
	s_delay_alu instid0(VALU_DEP_1)
	v_or3_b32 v87, v22, v87, v86
	v_mov_b32_e32 v86, v23
.LBB203_1048:                           ;   in Loop: Header=BB203_557 Depth=1
	s_or_b32 exec_lo, exec_lo, s23
.LBB203_1049:                           ;   in Loop: Header=BB203_557 Depth=1
	s_delay_alu instid0(SALU_CYCLE_1)
	s_or_b32 exec_lo, exec_lo, s22
.LBB203_1050:                           ;   in Loop: Header=BB203_557 Depth=1
	s_delay_alu instid0(SALU_CYCLE_1) | instskip(SKIP_4) | instid1(VALU_DEP_3)
	s_or_b32 exec_lo, exec_lo, s21
	v_lshrrev_b32_e32 v105, 16, v104
	v_mov_b64_e32 v[90:91], 0
	v_mov_b64_e32 v[92:93], 0
	s_mov_b32 s21, exec_lo
	v_and_b32_e32 v22, 0xff, v105
	s_delay_alu instid0(VALU_DEP_1)
	v_cmpx_ne_u16_e32 0, v22
	s_cbranch_execz .LBB203_1058
; %bb.1051:                             ;   in Loop: Header=BB203_557 Depth=1
	v_mov_b64_e32 v[92:93], 0x80000000
	s_mov_b32 s22, exec_lo
	v_cmpx_ne_u16_e32 0x80, v22
	s_cbranch_execz .LBB203_1057
; %bb.1052:                             ;   in Loop: Header=BB203_557 Depth=1
	v_mov_b64_e32 v[92:93], 0x7f800001
	v_bfe_u32 v106, v104, 16, 7
	s_mov_b32 s23, exec_lo
	s_delay_alu instid0(VALU_DEP_1)
	v_cmpx_ne_u32_e32 0x7f, v106
	s_cbranch_execz .LBB203_1056
; %bb.1053:                             ;   in Loop: Header=BB203_557 Depth=1
	v_dual_lshrrev_b32 v92, 3, v106 :: v_dual_bitop2_b32 v22, 7, v105 bitop3:0x40
	s_mov_b32 s24, exec_lo
	v_cmpx_gt_u32_e32 8, v106
; %bb.1054:                             ;   in Loop: Header=BB203_557 Depth=1
	s_delay_alu instid0(VALU_DEP_2) | instskip(NEXT) | instid1(VALU_DEP_1)
	v_clz_i32_u32_e32 v92, v22
	v_min_u32_e32 v92, 32, v92
	s_delay_alu instid0(VALU_DEP_1) | instskip(NEXT) | instid1(VALU_DEP_1)
	v_subrev_nc_u32_e32 v93, 28, v92
	v_lshlrev_b64_e32 v[106:107], v93, v[22:23]
	s_delay_alu instid0(VALU_DEP_1)
	v_dual_sub_nc_u32 v92, 29, v92 :: v_dual_bitop2_b32 v22, 7, v106 bitop3:0x40
; %bb.1055:                             ;   in Loop: Header=BB203_557 Depth=1
	s_or_b32 exec_lo, exec_lo, s24
	s_delay_alu instid0(VALU_DEP_1) | instskip(NEXT) | instid1(VALU_DEP_2)
	v_dual_lshlrev_b32 v93, 24, v105 :: v_dual_lshlrev_b32 v22, 20, v22
	v_lshl_add_u32 v92, v92, 23, 0x3c000000
	s_delay_alu instid0(VALU_DEP_2) | instskip(NEXT) | instid1(VALU_DEP_1)
	v_and_b32_e32 v93, 0x80000000, v93
	v_or3_b32 v22, v22, v93, v92
	s_delay_alu instid0(VALU_DEP_1)
	v_mov_b64_e32 v[92:93], v[22:23]
.LBB203_1056:                           ;   in Loop: Header=BB203_557 Depth=1
	s_or_b32 exec_lo, exec_lo, s23
.LBB203_1057:                           ;   in Loop: Header=BB203_557 Depth=1
	s_delay_alu instid0(SALU_CYCLE_1)
	s_or_b32 exec_lo, exec_lo, s22
.LBB203_1058:                           ;   in Loop: Header=BB203_557 Depth=1
	s_delay_alu instid0(SALU_CYCLE_1) | instskip(NEXT) | instid1(SALU_CYCLE_1)
	s_or_b32 exec_lo, exec_lo, s21
	s_mov_b32 s21, exec_lo
	v_cmpx_lt_u32_e32 0xffffff, v104
	s_cbranch_execz .LBB203_1066
; %bb.1059:                             ;   in Loop: Header=BB203_557 Depth=1
	v_mov_b64_e32 v[90:91], 0x8000000000000000
	v_lshrrev_b32_e32 v105, 24, v104
	s_mov_b32 s22, exec_lo
	s_delay_alu instid0(VALU_DEP_1)
	v_cmpx_ne_u32_e32 0x80, v105
	s_cbranch_execz .LBB203_1065
; %bb.1060:                             ;   in Loop: Header=BB203_557 Depth=1
	v_mov_b64_e32 v[90:91], 0x7f80000100000000
	v_bfe_u32 v104, v104, 24, 7
	s_mov_b32 s23, exec_lo
	s_delay_alu instid0(VALU_DEP_1)
	v_cmpx_ne_u32_e32 0x7f, v104
	s_cbranch_execz .LBB203_1064
; %bb.1061:                             ;   in Loop: Header=BB203_557 Depth=1
	v_dual_lshrrev_b32 v90, 3, v104 :: v_dual_bitop2_b32 v22, 7, v105 bitop3:0x40
	s_mov_b32 s24, exec_lo
	v_cmpx_gt_u32_e32 8, v104
; %bb.1062:                             ;   in Loop: Header=BB203_557 Depth=1
	s_delay_alu instid0(VALU_DEP_2) | instskip(NEXT) | instid1(VALU_DEP_1)
	v_clz_i32_u32_e32 v90, v22
	v_min_u32_e32 v90, 32, v90
	s_delay_alu instid0(VALU_DEP_1) | instskip(SKIP_1) | instid1(VALU_DEP_2)
	v_subrev_nc_u32_e32 v91, 28, v90
	v_sub_nc_u32_e32 v90, 29, v90
	v_lshlrev_b64_e32 v[106:107], v91, v[22:23]
	s_delay_alu instid0(VALU_DEP_1)
	v_and_b32_e32 v22, 7, v106
; %bb.1063:                             ;   in Loop: Header=BB203_557 Depth=1
	s_or_b32 exec_lo, exec_lo, s24
	s_delay_alu instid0(VALU_DEP_1) | instskip(SKIP_1) | instid1(VALU_DEP_2)
	v_dual_lshlrev_b32 v91, 24, v105 :: v_dual_lshlrev_b32 v22, 20, v22
	v_lshl_add_u32 v90, v90, 23, 0x3c000000
	v_and_b32_e32 v91, 0x80000000, v91
	s_delay_alu instid0(VALU_DEP_1)
	v_or3_b32 v91, v22, v91, v90
	v_mov_b32_e32 v90, v23
.LBB203_1064:                           ;   in Loop: Header=BB203_557 Depth=1
	s_or_b32 exec_lo, exec_lo, s23
.LBB203_1065:                           ;   in Loop: Header=BB203_557 Depth=1
	s_delay_alu instid0(SALU_CYCLE_1)
	s_or_b32 exec_lo, exec_lo, s22
.LBB203_1066:                           ;   in Loop: Header=BB203_557 Depth=1
	s_delay_alu instid0(SALU_CYCLE_1)
	s_or_b32 exec_lo, exec_lo, s21
	v_mov_b64_e32 v[104:105], s[4:5]
	v_or_b32_e32 v87, v87, v89
	v_or_b32_e32 v86, v86, v88
	;; [unrolled: 1-line block ×4, first 2 shown]
	s_delay_alu instid0(VALU_DEP_3) | instskip(NEXT) | instid1(VALU_DEP_2)
	v_pk_mul_f32 v[88:89], v[104:105], v[86:87]
	v_pk_mul_f32 v[86:87], v[104:105], v[90:91]
	s_and_saveexec_b32 s21, vcc_lo
	s_cbranch_execz .LBB203_1068
; %bb.1067:                             ;   in Loop: Header=BB203_557 Depth=1
	v_cmp_gt_i32_e64 s0, s31, v67
	s_delay_alu instid0(VALU_DEP_1) | instskip(SKIP_1) | instid1(VALU_DEP_1)
	v_cndmask_b32_e64 v88, 0, v88, s0
	v_cmp_gt_i32_e64 s0, s31, v103
	v_cndmask_b32_e64 v89, 0, v89, s0
	v_cmp_gt_i32_e64 s0, s31, v95
	s_delay_alu instid0(VALU_DEP_1) | instskip(SKIP_1) | instid1(VALU_DEP_1)
	v_cndmask_b32_e64 v86, 0, v86, s0
	v_cmp_gt_i32_e64 s0, s31, v94
	v_cndmask_b32_e64 v87, 0, v87, s0
.LBB203_1068:                           ;   in Loop: Header=BB203_557 Depth=1
	s_or_b32 exec_lo, exec_lo, s21
	global_load_b32 v104, v[32:33], off offset:1920
	s_wait_xcnt 0x0
	v_mov_b64_e32 v[32:33], 0
	v_mov_b64_e32 v[90:91], 0
	s_mov_b32 s21, exec_lo
	s_wait_loadcnt 0x0
	v_and_b32_e32 v22, 0xff, v104
	s_delay_alu instid0(VALU_DEP_1)
	v_cmpx_ne_u16_e32 0, v22
	s_cbranch_execz .LBB203_1076
; %bb.1069:                             ;   in Loop: Header=BB203_557 Depth=1
	v_mov_b64_e32 v[90:91], 0x80000000
	s_mov_b32 s22, exec_lo
	v_cmpx_ne_u16_e32 0x80, v22
	s_cbranch_execz .LBB203_1075
; %bb.1070:                             ;   in Loop: Header=BB203_557 Depth=1
	v_mov_b64_e32 v[90:91], 0x7f800001
	v_and_b32_e32 v92, 0x7f, v104
	s_mov_b32 s23, exec_lo
	s_delay_alu instid0(VALU_DEP_1)
	v_cmpx_ne_u32_e32 0x7f, v92
	s_cbranch_execz .LBB203_1074
; %bb.1071:                             ;   in Loop: Header=BB203_557 Depth=1
	v_and_b32_e32 v22, 7, v104
	v_lshrrev_b32_e32 v90, 3, v92
	s_mov_b32 s24, exec_lo
	v_cmpx_gt_u32_e32 8, v92
; %bb.1072:                             ;   in Loop: Header=BB203_557 Depth=1
	s_delay_alu instid0(VALU_DEP_3) | instskip(NEXT) | instid1(VALU_DEP_1)
	v_clz_i32_u32_e32 v90, v22
	v_min_u32_e32 v90, 32, v90
	s_delay_alu instid0(VALU_DEP_1) | instskip(NEXT) | instid1(VALU_DEP_1)
	v_subrev_nc_u32_e32 v91, 28, v90
	v_lshlrev_b64_e32 v[92:93], v91, v[22:23]
	s_delay_alu instid0(VALU_DEP_1)
	v_dual_sub_nc_u32 v90, 29, v90 :: v_dual_bitop2_b32 v22, 7, v92 bitop3:0x40
; %bb.1073:                             ;   in Loop: Header=BB203_557 Depth=1
	s_or_b32 exec_lo, exec_lo, s24
	s_delay_alu instid0(VALU_DEP_1) | instskip(NEXT) | instid1(VALU_DEP_2)
	v_dual_lshlrev_b32 v91, 24, v104 :: v_dual_lshlrev_b32 v22, 20, v22
	v_lshl_add_u32 v90, v90, 23, 0x3c000000
	s_delay_alu instid0(VALU_DEP_2) | instskip(NEXT) | instid1(VALU_DEP_1)
	v_and_b32_e32 v91, 0x80000000, v91
	v_or3_b32 v22, v22, v91, v90
	s_delay_alu instid0(VALU_DEP_1)
	v_mov_b64_e32 v[90:91], v[22:23]
.LBB203_1074:                           ;   in Loop: Header=BB203_557 Depth=1
	s_or_b32 exec_lo, exec_lo, s23
.LBB203_1075:                           ;   in Loop: Header=BB203_557 Depth=1
	s_delay_alu instid0(SALU_CYCLE_1)
	s_or_b32 exec_lo, exec_lo, s22
.LBB203_1076:                           ;   in Loop: Header=BB203_557 Depth=1
	s_delay_alu instid0(SALU_CYCLE_1) | instskip(SKIP_2) | instid1(VALU_DEP_1)
	s_or_b32 exec_lo, exec_lo, s21
	v_lshrrev_b16 v22, 8, v104
	s_mov_b32 s21, exec_lo
	v_cmpx_ne_u16_e32 0, v22
	s_cbranch_execz .LBB203_1084
; %bb.1077:                             ;   in Loop: Header=BB203_557 Depth=1
	v_mov_b64_e32 v[32:33], 0x8000000000000000
	s_mov_b32 s22, exec_lo
	v_cmpx_ne_u16_e32 0x80, v22
	s_cbranch_execz .LBB203_1083
; %bb.1078:                             ;   in Loop: Header=BB203_557 Depth=1
	v_and_b32_e32 v22, 0xffff, v22
	v_mov_b64_e32 v[32:33], 0x7f80000100000000
	s_mov_b32 s23, exec_lo
	s_delay_alu instid0(VALU_DEP_2) | instskip(NEXT) | instid1(VALU_DEP_1)
	v_and_b32_e32 v92, 0x7f, v22
	v_cmpx_ne_u32_e32 0x7f, v92
	s_cbranch_execz .LBB203_1082
; %bb.1079:                             ;   in Loop: Header=BB203_557 Depth=1
	v_dual_lshrrev_b32 v32, 3, v92 :: v_dual_bitop2_b32 v22, 7, v22 bitop3:0x40
	s_mov_b32 s24, exec_lo
	v_cmpx_gt_u32_e32 8, v92
; %bb.1080:                             ;   in Loop: Header=BB203_557 Depth=1
	s_delay_alu instid0(VALU_DEP_2) | instskip(NEXT) | instid1(VALU_DEP_1)
	v_clz_i32_u32_e32 v32, v22
	v_min_u32_e32 v32, 32, v32
	s_delay_alu instid0(VALU_DEP_1) | instskip(SKIP_1) | instid1(VALU_DEP_2)
	v_subrev_nc_u32_e32 v33, 28, v32
	v_sub_nc_u32_e32 v32, 29, v32
	v_lshlrev_b64_e32 v[92:93], v33, v[22:23]
	s_delay_alu instid0(VALU_DEP_1)
	v_and_b32_e32 v22, 7, v92
; %bb.1081:                             ;   in Loop: Header=BB203_557 Depth=1
	s_or_b32 exec_lo, exec_lo, s24
	s_delay_alu instid0(VALU_DEP_1) | instskip(SKIP_1) | instid1(VALU_DEP_2)
	v_dual_lshlrev_b32 v33, 16, v104 :: v_dual_lshlrev_b32 v22, 20, v22
	v_lshl_add_u32 v32, v32, 23, 0x3c000000
	v_and_b32_e32 v33, 0x80000000, v33
	s_delay_alu instid0(VALU_DEP_1)
	v_or3_b32 v33, v22, v33, v32
	v_mov_b32_e32 v32, v23
.LBB203_1082:                           ;   in Loop: Header=BB203_557 Depth=1
	s_or_b32 exec_lo, exec_lo, s23
.LBB203_1083:                           ;   in Loop: Header=BB203_557 Depth=1
	s_delay_alu instid0(SALU_CYCLE_1)
	s_or_b32 exec_lo, exec_lo, s22
.LBB203_1084:                           ;   in Loop: Header=BB203_557 Depth=1
	s_delay_alu instid0(SALU_CYCLE_1) | instskip(SKIP_4) | instid1(VALU_DEP_3)
	s_or_b32 exec_lo, exec_lo, s21
	v_lshrrev_b32_e32 v105, 16, v104
	v_mov_b64_e32 v[92:93], 0
	v_mov_b64_e32 v[94:95], 0
	s_mov_b32 s21, exec_lo
	v_and_b32_e32 v22, 0xff, v105
	s_delay_alu instid0(VALU_DEP_1)
	v_cmpx_ne_u16_e32 0, v22
	s_cbranch_execz .LBB203_1092
; %bb.1085:                             ;   in Loop: Header=BB203_557 Depth=1
	v_mov_b64_e32 v[94:95], 0x80000000
	s_mov_b32 s22, exec_lo
	v_cmpx_ne_u16_e32 0x80, v22
	s_cbranch_execz .LBB203_1091
; %bb.1086:                             ;   in Loop: Header=BB203_557 Depth=1
	v_mov_b64_e32 v[94:95], 0x7f800001
	v_bfe_u32 v106, v104, 16, 7
	s_mov_b32 s23, exec_lo
	s_delay_alu instid0(VALU_DEP_1)
	v_cmpx_ne_u32_e32 0x7f, v106
	s_cbranch_execz .LBB203_1090
; %bb.1087:                             ;   in Loop: Header=BB203_557 Depth=1
	v_dual_lshrrev_b32 v94, 3, v106 :: v_dual_bitop2_b32 v22, 7, v105 bitop3:0x40
	s_mov_b32 s24, exec_lo
	v_cmpx_gt_u32_e32 8, v106
; %bb.1088:                             ;   in Loop: Header=BB203_557 Depth=1
	s_delay_alu instid0(VALU_DEP_2) | instskip(NEXT) | instid1(VALU_DEP_1)
	v_clz_i32_u32_e32 v94, v22
	v_min_u32_e32 v94, 32, v94
	s_delay_alu instid0(VALU_DEP_1) | instskip(SKIP_1) | instid1(VALU_DEP_2)
	v_subrev_nc_u32_e32 v95, 28, v94
	v_sub_nc_u32_e32 v94, 29, v94
	v_lshlrev_b64_e32 v[106:107], v95, v[22:23]
	s_delay_alu instid0(VALU_DEP_1)
	v_and_b32_e32 v22, 7, v106
; %bb.1089:                             ;   in Loop: Header=BB203_557 Depth=1
	s_or_b32 exec_lo, exec_lo, s24
	s_delay_alu instid0(VALU_DEP_1) | instskip(SKIP_1) | instid1(VALU_DEP_2)
	v_dual_lshlrev_b32 v95, 24, v105 :: v_dual_lshlrev_b32 v22, 20, v22
	v_lshl_add_u32 v94, v94, 23, 0x3c000000
	v_and_b32_e32 v95, 0x80000000, v95
	s_delay_alu instid0(VALU_DEP_1) | instskip(NEXT) | instid1(VALU_DEP_1)
	v_or3_b32 v22, v22, v95, v94
	v_mov_b64_e32 v[94:95], v[22:23]
.LBB203_1090:                           ;   in Loop: Header=BB203_557 Depth=1
	s_or_b32 exec_lo, exec_lo, s23
.LBB203_1091:                           ;   in Loop: Header=BB203_557 Depth=1
	s_delay_alu instid0(SALU_CYCLE_1)
	s_or_b32 exec_lo, exec_lo, s22
.LBB203_1092:                           ;   in Loop: Header=BB203_557 Depth=1
	s_delay_alu instid0(SALU_CYCLE_1) | instskip(NEXT) | instid1(SALU_CYCLE_1)
	s_or_b32 exec_lo, exec_lo, s21
	s_mov_b32 s21, exec_lo
	v_cmpx_lt_u32_e32 0xffffff, v104
	s_cbranch_execz .LBB203_1100
; %bb.1093:                             ;   in Loop: Header=BB203_557 Depth=1
	v_mov_b64_e32 v[92:93], 0x8000000000000000
	v_lshrrev_b32_e32 v105, 24, v104
	s_mov_b32 s22, exec_lo
	s_delay_alu instid0(VALU_DEP_1)
	v_cmpx_ne_u32_e32 0x80, v105
	s_cbranch_execz .LBB203_1099
; %bb.1094:                             ;   in Loop: Header=BB203_557 Depth=1
	v_mov_b64_e32 v[92:93], 0x7f80000100000000
	v_bfe_u32 v104, v104, 24, 7
	s_mov_b32 s23, exec_lo
	s_delay_alu instid0(VALU_DEP_1)
	v_cmpx_ne_u32_e32 0x7f, v104
	s_cbranch_execz .LBB203_1098
; %bb.1095:                             ;   in Loop: Header=BB203_557 Depth=1
	v_dual_lshrrev_b32 v92, 3, v104 :: v_dual_bitop2_b32 v22, 7, v105 bitop3:0x40
	s_mov_b32 s24, exec_lo
	v_cmpx_gt_u32_e32 8, v104
; %bb.1096:                             ;   in Loop: Header=BB203_557 Depth=1
	s_delay_alu instid0(VALU_DEP_2) | instskip(NEXT) | instid1(VALU_DEP_1)
	v_clz_i32_u32_e32 v92, v22
	v_min_u32_e32 v92, 32, v92
	s_delay_alu instid0(VALU_DEP_1) | instskip(NEXT) | instid1(VALU_DEP_1)
	v_subrev_nc_u32_e32 v93, 28, v92
	v_lshlrev_b64_e32 v[106:107], v93, v[22:23]
	s_delay_alu instid0(VALU_DEP_1)
	v_dual_sub_nc_u32 v92, 29, v92 :: v_dual_bitop2_b32 v22, 7, v106 bitop3:0x40
; %bb.1097:                             ;   in Loop: Header=BB203_557 Depth=1
	s_or_b32 exec_lo, exec_lo, s24
	s_delay_alu instid0(VALU_DEP_1) | instskip(NEXT) | instid1(VALU_DEP_2)
	v_dual_lshlrev_b32 v93, 24, v105 :: v_dual_lshlrev_b32 v22, 20, v22
	v_lshl_add_u32 v92, v92, 23, 0x3c000000
	s_delay_alu instid0(VALU_DEP_2) | instskip(NEXT) | instid1(VALU_DEP_1)
	v_and_b32_e32 v93, 0x80000000, v93
	v_or3_b32 v93, v22, v93, v92
	v_mov_b32_e32 v92, v23
.LBB203_1098:                           ;   in Loop: Header=BB203_557 Depth=1
	s_or_b32 exec_lo, exec_lo, s23
.LBB203_1099:                           ;   in Loop: Header=BB203_557 Depth=1
	s_delay_alu instid0(SALU_CYCLE_1)
	s_or_b32 exec_lo, exec_lo, s22
.LBB203_1100:                           ;   in Loop: Header=BB203_557 Depth=1
	s_delay_alu instid0(SALU_CYCLE_1)
	s_or_b32 exec_lo, exec_lo, s21
	v_mov_b64_e32 v[104:105], s[4:5]
	v_or_b32_e32 v33, v33, v91
	v_or_b32_e32 v32, v32, v90
	;; [unrolled: 1-line block ×4, first 2 shown]
	s_delay_alu instid0(VALU_DEP_3) | instskip(NEXT) | instid1(VALU_DEP_2)
	v_pk_mul_f32 v[90:91], v[104:105], v[32:33]
	v_pk_mul_f32 v[32:33], v[104:105], v[92:93]
	s_and_saveexec_b32 s0, vcc_lo
	s_cbranch_execz .LBB203_555
; %bb.1101:                             ;   in Loop: Header=BB203_557 Depth=1
	v_cmp_gt_i32_e32 vcc_lo, s14, v103
	v_or_b32_e32 v92, 2, v67
	v_cndmask_b32_e32 v91, 0, v91, vcc_lo
	v_cmp_gt_i32_e32 vcc_lo, s31, v67
	v_dual_cndmask_b32 v90, 0, v90, vcc_lo :: v_dual_bitop2_b32 v22, 3, v67 bitop3:0x54
	s_delay_alu instid0(VALU_DEP_1)
	v_cmp_gt_i32_e32 vcc_lo, s14, v22
	v_cndmask_b32_e32 v33, 0, v33, vcc_lo
	v_cmp_gt_i32_e32 vcc_lo, s31, v92
	v_cndmask_b32_e32 v32, 0, v32, vcc_lo
	s_branch .LBB203_555
.LBB203_1102:
	s_or_b32 exec_lo, exec_lo, s15
	v_dual_mov_b32 v40, v108 :: v_dual_mov_b32 v80, v109
.LBB203_1103:
	s_or_b32 exec_lo, exec_lo, s1
	ds_bpermute_b32 v0, v98, v12
	ds_bpermute_b32 v1, v98, v13
	;; [unrolled: 1-line block ×16, first 2 shown]
	s_mov_b32 s0, exec_lo
	s_wait_dscnt 0xe
	v_pk_add_f32 v[0:1], v[12:13], v[0:1]
	s_wait_dscnt 0xc
	v_pk_add_f32 v[2:3], v[20:21], v[2:3]
	;; [unrolled: 2-line block ×3, first 2 shown]
	ds_bpermute_b32 v16, v97, v0
	s_wait_dscnt 0x9
	v_pk_add_f32 v[4:5], v[18:19], v[4:5]
	ds_bpermute_b32 v18, v97, v2
	ds_bpermute_b32 v19, v97, v3
	;; [unrolled: 1-line block ×4, first 2 shown]
	s_wait_dscnt 0xb
	v_pk_add_f32 v[14:15], v[14:15], v[24:25]
	s_wait_dscnt 0x9
	v_pk_add_f32 v[6:7], v[6:7], v[30:31]
	ds_bpermute_b32 v20, v97, v4
	ds_bpermute_b32 v21, v97, v5
	s_wait_dscnt 0x9
	v_pk_add_f32 v[10:11], v[10:11], v[26:27]
	ds_bpermute_b32 v24, v97, v14
	ds_bpermute_b32 v25, v97, v15
	;; [unrolled: 1-line block ×4, first 2 shown]
	s_wait_dscnt 0xb
	v_pk_add_f32 v[8:9], v[8:9], v[28:29]
	ds_bpermute_b32 v17, v97, v1
	ds_bpermute_b32 v26, v97, v10
	ds_bpermute_b32 v27, v97, v11
	ds_bpermute_b32 v28, v97, v8
	ds_bpermute_b32 v29, v97, v9
	s_wait_dscnt 0xd
	v_pk_add_f32 v[2:3], v[2:3], v[18:19]
	s_wait_dscnt 0xb
	v_pk_add_f32 v[18:19], v[12:13], v[22:23]
	ds_bpermute_b32 v22, v96, v2
	s_wait_dscnt 0xa
	v_pk_add_f32 v[4:5], v[4:5], v[20:21]
	ds_bpermute_b32 v32, v96, v18
	ds_bpermute_b32 v33, v96, v19
	s_wait_dscnt 0xa
	v_pk_add_f32 v[20:21], v[14:15], v[24:25]
	ds_bpermute_b32 v23, v96, v3
	s_wait_dscnt 0x9
	v_pk_add_f32 v[14:15], v[6:7], v[30:31]
	ds_bpermute_b32 v24, v96, v4
	s_wait_dscnt 0x9
	v_pk_add_f32 v[0:1], v[0:1], v[16:17]
	ds_bpermute_b32 v25, v96, v5
	s_wait_dscnt 0x8
	v_pk_add_f32 v[26:27], v[10:11], v[26:27]
	ds_bpermute_b32 v34, v96, v20
	ds_bpermute_b32 v35, v96, v21
	s_wait_dscnt 0x8
	v_pk_add_f32 v[28:29], v[8:9], v[28:29]
	ds_bpermute_b32 v12, v96, v0
	ds_bpermute_b32 v13, v96, v1
	;; [unrolled: 1-line block ×8, first 2 shown]
	v_and_b32_e32 v30, 0x3c7, v40
	s_wait_dscnt 0xd
	v_pk_add_f32 v[6:7], v[18:19], v[32:33]
	scratch_load_b32 v18, off, off offset:64 th:TH_LOAD_LU ; 4-byte Folded Reload
	s_wait_dscnt 0xc
	v_pk_add_f32 v[10:11], v[2:3], v[22:23]
	s_wait_loadcnt_dscnt 0x0
	s_barrier_signal -1
	s_barrier_wait -1
	v_pk_add_f32 v[8:9], v[4:5], v[24:25]
	v_pk_add_f32 v[4:5], v[20:21], v[34:35]
	;; [unrolled: 1-line block ×5, first 2 shown]
	v_lshrrev_b32_e32 v18, 3, v18
	v_cmpx_ne_u32_e32 64, v30
	s_xor_b32 s0, exec_lo, s0
	s_delay_alu instid0(SALU_CYCLE_1)
	s_or_saveexec_b32 s0, s0
	v_pk_add_f32 v[14:15], v[14:15], v[16:17]
	v_lshl_add_u32 v17, v18, 2, 0x120
	v_lshlrev_b32_e32 v16, 8, v80
	s_xor_b32 exec_lo, exec_lo, s0
	s_cbranch_execz .LBB203_1105
; %bb.1104:
	s_delay_alu instid0(VALU_DEP_1) | instskip(NEXT) | instid1(VALU_DEP_1)
	v_add_nc_u32_e32 v19, v17, v16
	v_add_nc_u32_e32 v20, 0xfffffe00, v19
	;; [unrolled: 1-line block ×9, first 2 shown]
	ds_store_b32 v20, v12
	ds_store_b32 v21, v13
	ds_store_b32 v22, v10
	ds_store_b32 v23, v11
	ds_store_b32 v24, v8
	ds_store_b32 v25, v9
	ds_store_b32 v26, v6
	ds_store_b32 v27, v7
	v_add_nc_u32_e32 v20, 0xfffffe80, v19
	v_add_nc_u32_e32 v21, 0xfffffe90, v19
	;; [unrolled: 1-line block ×8, first 2 shown]
	ds_store_b32 v20, v4
	ds_store_b32 v21, v5
	;; [unrolled: 1-line block ×8, first 2 shown]
.LBB203_1105:
	s_or_b32 exec_lo, exec_lo, s0
	v_lshlrev_b32_e32 v18, 2, v18
	s_mov_b32 s1, exec_lo
	v_cmp_eq_u32_e32 vcc_lo, 0, v99
	s_wait_dscnt 0x0
	s_barrier_signal -1
	v_add3_u32 v16, 0x120, v16, v18
	s_barrier_wait -1
	v_cmpx_gt_u32_e32 64, v40
	s_cbranch_execz .LBB203_1124
; %bb.1106:
	s_and_saveexec_b32 s0, vcc_lo
	s_cbranch_execnz .LBB203_1148
; %bb.1107:
	s_or_b32 exec_lo, exec_lo, s0
	s_and_saveexec_b32 s0, vcc_lo
	s_cbranch_execnz .LBB203_1149
.LBB203_1108:
	s_or_b32 exec_lo, exec_lo, s0
	s_and_saveexec_b32 s0, vcc_lo
	s_cbranch_execnz .LBB203_1150
.LBB203_1109:
	s_or_b32 exec_lo, exec_lo, s0
	s_and_saveexec_b32 s0, vcc_lo
	s_cbranch_execnz .LBB203_1151
.LBB203_1110:
	s_or_b32 exec_lo, exec_lo, s0
	s_and_saveexec_b32 s0, vcc_lo
	s_cbranch_execnz .LBB203_1152
.LBB203_1111:
	s_or_b32 exec_lo, exec_lo, s0
	s_and_saveexec_b32 s0, vcc_lo
	s_cbranch_execnz .LBB203_1153
.LBB203_1112:
	s_or_b32 exec_lo, exec_lo, s0
	s_and_saveexec_b32 s0, vcc_lo
	s_cbranch_execnz .LBB203_1154
.LBB203_1113:
	s_or_b32 exec_lo, exec_lo, s0
	s_and_saveexec_b32 s0, vcc_lo
	s_cbranch_execnz .LBB203_1155
.LBB203_1114:
	s_or_b32 exec_lo, exec_lo, s0
	s_and_saveexec_b32 s0, vcc_lo
	s_cbranch_execnz .LBB203_1156
.LBB203_1115:
	s_or_b32 exec_lo, exec_lo, s0
	s_and_saveexec_b32 s0, vcc_lo
	s_cbranch_execnz .LBB203_1157
.LBB203_1116:
	s_or_b32 exec_lo, exec_lo, s0
	s_and_saveexec_b32 s0, vcc_lo
	s_cbranch_execnz .LBB203_1158
.LBB203_1117:
	s_or_b32 exec_lo, exec_lo, s0
	s_and_saveexec_b32 s0, vcc_lo
	s_cbranch_execnz .LBB203_1159
.LBB203_1118:
	s_or_b32 exec_lo, exec_lo, s0
	s_and_saveexec_b32 s0, vcc_lo
	s_cbranch_execnz .LBB203_1160
.LBB203_1119:
	s_or_b32 exec_lo, exec_lo, s0
	s_and_saveexec_b32 s0, vcc_lo
	s_cbranch_execnz .LBB203_1161
.LBB203_1120:
	s_or_b32 exec_lo, exec_lo, s0
	s_and_saveexec_b32 s0, vcc_lo
	s_cbranch_execnz .LBB203_1162
.LBB203_1121:
	s_or_b32 exec_lo, exec_lo, s0
	s_and_saveexec_b32 s0, vcc_lo
	s_cbranch_execz .LBB203_1123
.LBB203_1122:
	ds_load_b32 v18, v16 offset:240
	s_wait_dscnt 0x0
	v_add_f32_e32 v15, v15, v18
.LBB203_1123:
	s_or_b32 exec_lo, exec_lo, s0
.LBB203_1124:
	s_delay_alu instid0(SALU_CYCLE_1) | instskip(SKIP_4) | instid1(VALU_DEP_1)
	s_or_b32 exec_lo, exec_lo, s1
	v_and_b32_e32 v18, 0x3e7, v40
	s_mov_b32 s1, exec_lo
	s_barrier_signal -1
	s_barrier_wait -1
	v_cmpx_eq_u32_e32 32, v18
	s_cbranch_execz .LBB203_1126
; %bb.1125:
	ds_store_2addr_b32 v17, v12, v13 offset1:4
	ds_store_2addr_b32 v17, v10, v11 offset0:8 offset1:12
	ds_store_2addr_b32 v17, v8, v9 offset0:16 offset1:20
	;; [unrolled: 1-line block ×7, first 2 shown]
.LBB203_1126:
	s_or_b32 exec_lo, exec_lo, s1
	s_delay_alu instid0(SALU_CYCLE_1)
	s_mov_b32 s1, exec_lo
	s_wait_dscnt 0x0
	s_barrier_signal -1
	s_barrier_wait -1
	v_cmpx_gt_u32_e32 32, v40
	s_cbranch_execz .LBB203_1145
; %bb.1127:
	s_and_saveexec_b32 s0, vcc_lo
	s_cbranch_execnz .LBB203_1163
; %bb.1128:
	s_or_b32 exec_lo, exec_lo, s0
	s_and_saveexec_b32 s0, vcc_lo
	s_cbranch_execnz .LBB203_1164
.LBB203_1129:
	s_or_b32 exec_lo, exec_lo, s0
	s_and_saveexec_b32 s0, vcc_lo
	s_cbranch_execnz .LBB203_1165
.LBB203_1130:
	s_or_b32 exec_lo, exec_lo, s0
	s_and_saveexec_b32 s0, vcc_lo
	s_cbranch_execnz .LBB203_1166
.LBB203_1131:
	s_or_b32 exec_lo, exec_lo, s0
	s_and_saveexec_b32 s0, vcc_lo
	s_cbranch_execnz .LBB203_1167
.LBB203_1132:
	s_or_b32 exec_lo, exec_lo, s0
	s_and_saveexec_b32 s0, vcc_lo
	s_cbranch_execnz .LBB203_1168
.LBB203_1133:
	s_or_b32 exec_lo, exec_lo, s0
	s_and_saveexec_b32 s0, vcc_lo
	s_cbranch_execnz .LBB203_1169
.LBB203_1134:
	s_or_b32 exec_lo, exec_lo, s0
	s_and_saveexec_b32 s0, vcc_lo
	s_cbranch_execnz .LBB203_1170
.LBB203_1135:
	s_or_b32 exec_lo, exec_lo, s0
	s_and_saveexec_b32 s0, vcc_lo
	s_cbranch_execnz .LBB203_1171
.LBB203_1136:
	s_or_b32 exec_lo, exec_lo, s0
	s_and_saveexec_b32 s0, vcc_lo
	s_cbranch_execnz .LBB203_1172
.LBB203_1137:
	s_or_b32 exec_lo, exec_lo, s0
	s_and_saveexec_b32 s0, vcc_lo
	s_cbranch_execnz .LBB203_1173
.LBB203_1138:
	s_or_b32 exec_lo, exec_lo, s0
	s_and_saveexec_b32 s0, vcc_lo
	s_cbranch_execnz .LBB203_1174
.LBB203_1139:
	s_or_b32 exec_lo, exec_lo, s0
	s_and_saveexec_b32 s0, vcc_lo
	s_cbranch_execnz .LBB203_1175
.LBB203_1140:
	s_or_b32 exec_lo, exec_lo, s0
	s_and_saveexec_b32 s0, vcc_lo
	s_cbranch_execnz .LBB203_1176
.LBB203_1141:
	s_or_b32 exec_lo, exec_lo, s0
	s_and_saveexec_b32 s0, vcc_lo
	s_cbranch_execnz .LBB203_1177
.LBB203_1142:
	s_or_b32 exec_lo, exec_lo, s0
	s_and_saveexec_b32 s0, vcc_lo
	s_cbranch_execz .LBB203_1144
.LBB203_1143:
	ds_load_b32 v16, v16 offset:240
	s_wait_dscnt 0x0
	v_add_f32_e32 v15, v15, v16
.LBB203_1144:
	s_or_b32 exec_lo, exec_lo, s0
.LBB203_1145:
	s_delay_alu instid0(SALU_CYCLE_1)
	s_or_b32 exec_lo, exec_lo, s1
	s_mov_b32 s1, 0
	s_barrier_signal -1
	s_barrier_wait -1
	s_mov_b32 s0, exec_lo
	v_cmpx_eq_u32_e32 0, v18
	s_cbranch_execz .LBB203_1147
; %bb.1146:
	s_mul_i32 s0, s30, s7
	s_mul_i32 s2, s7, s16
	;; [unrolled: 1-line block ×3, first 2 shown]
	s_lshr_b32 s6, ttmp7, 16
	s_lshl_b32 s4, s0, 6
	s_bfe_u32 s0, ttmp6, 0x40014
	s_ashr_i32 s5, s4, 31
	s_add_co_i32 s0, s0, 1
	s_ashr_i32 s3, s2, 31
	s_mul_i32 s0, s6, s0
	s_bfe_u32 s7, ttmp6, 0x40008
	s_lshl_b64 s[4:5], s[4:5], 2
	s_lshl_b64 s[2:3], s[2:3], 2
	s_add_co_i32 s7, s7, s0
	s_cmp_eq_u32 s28, 0
	s_wait_kmcnt 0x0
	s_add_nc_u64 s[4:5], s[8:9], s[4:5]
	s_cselect_b32 s0, s6, s7
	v_lshrrev_b32_e32 v16, 1, v40
	s_add_nc_u64 s[2:3], s[4:5], s[2:3]
	s_lshl_b32 s0, s0, 8
	s_delay_alu instid0(SALU_CYCLE_1)
	s_add_nc_u64 s[0:1], s[2:3], s[0:1]
	s_clause 0xf
	global_store_b32 v16, v12, s[0:1]
	global_store_b32 v16, v13, s[0:1] offset:16
	global_store_b32 v16, v10, s[0:1] offset:32
	;; [unrolled: 1-line block ×15, first 2 shown]
.LBB203_1147:
	s_sendmsg sendmsg(MSG_DEALLOC_VGPRS)
	s_endpgm
.LBB203_1148:
	ds_load_b32 v18, v16
	s_wait_dscnt 0x0
	v_add_f32_e32 v12, v12, v18
	s_or_b32 exec_lo, exec_lo, s0
	s_and_saveexec_b32 s0, vcc_lo
	s_cbranch_execz .LBB203_1108
.LBB203_1149:
	ds_load_b32 v18, v16 offset:16
	s_wait_dscnt 0x0
	v_add_f32_e32 v13, v13, v18
	s_or_b32 exec_lo, exec_lo, s0
	s_and_saveexec_b32 s0, vcc_lo
	s_cbranch_execz .LBB203_1109
.LBB203_1150:
	ds_load_b32 v18, v16 offset:32
	s_wait_dscnt 0x0
	v_add_f32_e32 v10, v10, v18
	s_or_b32 exec_lo, exec_lo, s0
	s_and_saveexec_b32 s0, vcc_lo
	s_cbranch_execz .LBB203_1110
.LBB203_1151:
	ds_load_b32 v18, v16 offset:48
	s_wait_dscnt 0x0
	v_add_f32_e32 v11, v11, v18
	s_or_b32 exec_lo, exec_lo, s0
	s_and_saveexec_b32 s0, vcc_lo
	s_cbranch_execz .LBB203_1111
.LBB203_1152:
	ds_load_b32 v18, v16 offset:64
	s_wait_dscnt 0x0
	v_add_f32_e32 v8, v8, v18
	s_or_b32 exec_lo, exec_lo, s0
	s_and_saveexec_b32 s0, vcc_lo
	s_cbranch_execz .LBB203_1112
.LBB203_1153:
	ds_load_b32 v18, v16 offset:80
	s_wait_dscnt 0x0
	v_add_f32_e32 v9, v9, v18
	s_or_b32 exec_lo, exec_lo, s0
	s_and_saveexec_b32 s0, vcc_lo
	s_cbranch_execz .LBB203_1113
.LBB203_1154:
	ds_load_b32 v18, v16 offset:96
	s_wait_dscnt 0x0
	v_add_f32_e32 v6, v6, v18
	s_or_b32 exec_lo, exec_lo, s0
	s_and_saveexec_b32 s0, vcc_lo
	s_cbranch_execz .LBB203_1114
.LBB203_1155:
	ds_load_b32 v18, v16 offset:112
	s_wait_dscnt 0x0
	v_add_f32_e32 v7, v7, v18
	s_or_b32 exec_lo, exec_lo, s0
	s_and_saveexec_b32 s0, vcc_lo
	s_cbranch_execz .LBB203_1115
.LBB203_1156:
	ds_load_b32 v18, v16 offset:128
	s_wait_dscnt 0x0
	v_add_f32_e32 v4, v4, v18
	s_or_b32 exec_lo, exec_lo, s0
	s_and_saveexec_b32 s0, vcc_lo
	s_cbranch_execz .LBB203_1116
.LBB203_1157:
	ds_load_b32 v18, v16 offset:144
	s_wait_dscnt 0x0
	v_add_f32_e32 v5, v5, v18
	s_or_b32 exec_lo, exec_lo, s0
	s_and_saveexec_b32 s0, vcc_lo
	s_cbranch_execz .LBB203_1117
.LBB203_1158:
	ds_load_b32 v18, v16 offset:160
	s_wait_dscnt 0x0
	v_add_f32_e32 v2, v2, v18
	s_or_b32 exec_lo, exec_lo, s0
	s_and_saveexec_b32 s0, vcc_lo
	s_cbranch_execz .LBB203_1118
.LBB203_1159:
	ds_load_b32 v18, v16 offset:176
	s_wait_dscnt 0x0
	v_add_f32_e32 v3, v3, v18
	s_or_b32 exec_lo, exec_lo, s0
	s_and_saveexec_b32 s0, vcc_lo
	s_cbranch_execz .LBB203_1119
.LBB203_1160:
	ds_load_b32 v18, v16 offset:192
	s_wait_dscnt 0x0
	v_add_f32_e32 v0, v0, v18
	s_or_b32 exec_lo, exec_lo, s0
	s_and_saveexec_b32 s0, vcc_lo
	s_cbranch_execz .LBB203_1120
.LBB203_1161:
	ds_load_b32 v18, v16 offset:208
	s_wait_dscnt 0x0
	v_add_f32_e32 v1, v1, v18
	s_or_b32 exec_lo, exec_lo, s0
	s_and_saveexec_b32 s0, vcc_lo
	s_cbranch_execz .LBB203_1121
.LBB203_1162:
	ds_load_b32 v18, v16 offset:224
	s_wait_dscnt 0x0
	v_add_f32_e32 v14, v14, v18
	s_or_b32 exec_lo, exec_lo, s0
	s_and_saveexec_b32 s0, vcc_lo
	s_cbranch_execnz .LBB203_1122
	s_branch .LBB203_1123
.LBB203_1163:
	ds_load_b32 v17, v16
	s_wait_dscnt 0x0
	v_add_f32_e32 v12, v12, v17
	s_or_b32 exec_lo, exec_lo, s0
	s_and_saveexec_b32 s0, vcc_lo
	s_cbranch_execz .LBB203_1129
.LBB203_1164:
	ds_load_b32 v17, v16 offset:16
	s_wait_dscnt 0x0
	v_add_f32_e32 v13, v13, v17
	s_or_b32 exec_lo, exec_lo, s0
	s_and_saveexec_b32 s0, vcc_lo
	s_cbranch_execz .LBB203_1130
.LBB203_1165:
	ds_load_b32 v17, v16 offset:32
	s_wait_dscnt 0x0
	v_add_f32_e32 v10, v10, v17
	s_or_b32 exec_lo, exec_lo, s0
	s_and_saveexec_b32 s0, vcc_lo
	s_cbranch_execz .LBB203_1131
.LBB203_1166:
	ds_load_b32 v17, v16 offset:48
	s_wait_dscnt 0x0
	v_add_f32_e32 v11, v11, v17
	s_or_b32 exec_lo, exec_lo, s0
	s_and_saveexec_b32 s0, vcc_lo
	s_cbranch_execz .LBB203_1132
.LBB203_1167:
	ds_load_b32 v17, v16 offset:64
	s_wait_dscnt 0x0
	v_add_f32_e32 v8, v8, v17
	s_or_b32 exec_lo, exec_lo, s0
	s_and_saveexec_b32 s0, vcc_lo
	s_cbranch_execz .LBB203_1133
.LBB203_1168:
	ds_load_b32 v17, v16 offset:80
	s_wait_dscnt 0x0
	v_add_f32_e32 v9, v9, v17
	s_or_b32 exec_lo, exec_lo, s0
	s_and_saveexec_b32 s0, vcc_lo
	s_cbranch_execz .LBB203_1134
.LBB203_1169:
	ds_load_b32 v17, v16 offset:96
	s_wait_dscnt 0x0
	v_add_f32_e32 v6, v6, v17
	s_or_b32 exec_lo, exec_lo, s0
	s_and_saveexec_b32 s0, vcc_lo
	s_cbranch_execz .LBB203_1135
.LBB203_1170:
	ds_load_b32 v17, v16 offset:112
	s_wait_dscnt 0x0
	v_add_f32_e32 v7, v7, v17
	s_or_b32 exec_lo, exec_lo, s0
	s_and_saveexec_b32 s0, vcc_lo
	s_cbranch_execz .LBB203_1136
.LBB203_1171:
	ds_load_b32 v17, v16 offset:128
	s_wait_dscnt 0x0
	v_add_f32_e32 v4, v4, v17
	s_or_b32 exec_lo, exec_lo, s0
	s_and_saveexec_b32 s0, vcc_lo
	s_cbranch_execz .LBB203_1137
.LBB203_1172:
	ds_load_b32 v17, v16 offset:144
	s_wait_dscnt 0x0
	v_add_f32_e32 v5, v5, v17
	s_or_b32 exec_lo, exec_lo, s0
	s_and_saveexec_b32 s0, vcc_lo
	s_cbranch_execz .LBB203_1138
.LBB203_1173:
	ds_load_b32 v17, v16 offset:160
	s_wait_dscnt 0x0
	v_add_f32_e32 v2, v2, v17
	s_or_b32 exec_lo, exec_lo, s0
	s_and_saveexec_b32 s0, vcc_lo
	s_cbranch_execz .LBB203_1139
.LBB203_1174:
	ds_load_b32 v17, v16 offset:176
	s_wait_dscnt 0x0
	v_add_f32_e32 v3, v3, v17
	s_or_b32 exec_lo, exec_lo, s0
	s_and_saveexec_b32 s0, vcc_lo
	s_cbranch_execz .LBB203_1140
.LBB203_1175:
	ds_load_b32 v17, v16 offset:192
	s_wait_dscnt 0x0
	v_add_f32_e32 v0, v0, v17
	s_or_b32 exec_lo, exec_lo, s0
	s_and_saveexec_b32 s0, vcc_lo
	s_cbranch_execz .LBB203_1141
.LBB203_1176:
	ds_load_b32 v17, v16 offset:208
	s_wait_dscnt 0x0
	v_add_f32_e32 v1, v1, v17
	s_or_b32 exec_lo, exec_lo, s0
	s_and_saveexec_b32 s0, vcc_lo
	s_cbranch_execz .LBB203_1142
.LBB203_1177:
	ds_load_b32 v17, v16 offset:224
	s_wait_dscnt 0x0
	v_add_f32_e32 v14, v14, v17
	s_or_b32 exec_lo, exec_lo, s0
	s_and_saveexec_b32 s0, vcc_lo
	s_cbranch_execnz .LBB203_1143
	s_branch .LBB203_1144
	.section	.rodata,"a",@progbits
	.p2align	6, 0x0
	.amdhsa_kernel _ZN4vllm25paged_attention_v1_kernelIfhLi64ELi32ELi128ELNS_18Fp8KVCacheDataTypeE1ELb1EEEvPT_PKS2_PKT0_S8_ifPKiSA_iPKfiiiSC_SC_iiiii
		.amdhsa_group_segment_fixed_size 288
		.amdhsa_private_segment_fixed_size 356
		.amdhsa_kernarg_size 384
		.amdhsa_user_sgpr_count 2
		.amdhsa_user_sgpr_dispatch_ptr 0
		.amdhsa_user_sgpr_queue_ptr 0
		.amdhsa_user_sgpr_kernarg_segment_ptr 1
		.amdhsa_user_sgpr_dispatch_id 0
		.amdhsa_user_sgpr_kernarg_preload_length 0
		.amdhsa_user_sgpr_kernarg_preload_offset 0
		.amdhsa_user_sgpr_private_segment_size 0
		.amdhsa_wavefront_size32 1
		.amdhsa_uses_dynamic_stack 0
		.amdhsa_enable_private_segment 1
		.amdhsa_system_sgpr_workgroup_id_x 1
		.amdhsa_system_sgpr_workgroup_id_y 1
		.amdhsa_system_sgpr_workgroup_id_z 1
		.amdhsa_system_sgpr_workgroup_info 0
		.amdhsa_system_vgpr_workitem_id 0
		.amdhsa_next_free_vgpr 128
		.amdhsa_next_free_sgpr 45
		.amdhsa_named_barrier_count 0
		.amdhsa_reserve_vcc 1
		.amdhsa_float_round_mode_32 0
		.amdhsa_float_round_mode_16_64 0
		.amdhsa_float_denorm_mode_32 3
		.amdhsa_float_denorm_mode_16_64 3
		.amdhsa_fp16_overflow 0
		.amdhsa_memory_ordered 1
		.amdhsa_forward_progress 1
		.amdhsa_inst_pref_size 255
		.amdhsa_round_robin_scheduling 0
		.amdhsa_exception_fp_ieee_invalid_op 0
		.amdhsa_exception_fp_denorm_src 0
		.amdhsa_exception_fp_ieee_div_zero 0
		.amdhsa_exception_fp_ieee_overflow 0
		.amdhsa_exception_fp_ieee_underflow 0
		.amdhsa_exception_fp_ieee_inexact 0
		.amdhsa_exception_int_div_zero 0
	.end_amdhsa_kernel
	.section	.text._ZN4vllm25paged_attention_v1_kernelIfhLi64ELi32ELi128ELNS_18Fp8KVCacheDataTypeE1ELb1EEEvPT_PKS2_PKT0_S8_ifPKiSA_iPKfiiiSC_SC_iiiii,"axG",@progbits,_ZN4vllm25paged_attention_v1_kernelIfhLi64ELi32ELi128ELNS_18Fp8KVCacheDataTypeE1ELb1EEEvPT_PKS2_PKT0_S8_ifPKiSA_iPKfiiiSC_SC_iiiii,comdat
.Lfunc_end203:
	.size	_ZN4vllm25paged_attention_v1_kernelIfhLi64ELi32ELi128ELNS_18Fp8KVCacheDataTypeE1ELb1EEEvPT_PKS2_PKT0_S8_ifPKiSA_iPKfiiiSC_SC_iiiii, .Lfunc_end203-_ZN4vllm25paged_attention_v1_kernelIfhLi64ELi32ELi128ELNS_18Fp8KVCacheDataTypeE1ELb1EEEvPT_PKS2_PKT0_S8_ifPKiSA_iPKfiiiSC_SC_iiiii
                                        ; -- End function
	.set _ZN4vllm25paged_attention_v1_kernelIfhLi64ELi32ELi128ELNS_18Fp8KVCacheDataTypeE1ELb1EEEvPT_PKS2_PKT0_S8_ifPKiSA_iPKfiiiSC_SC_iiiii.num_vgpr, 128
	.set _ZN4vllm25paged_attention_v1_kernelIfhLi64ELi32ELi128ELNS_18Fp8KVCacheDataTypeE1ELb1EEEvPT_PKS2_PKT0_S8_ifPKiSA_iPKfiiiSC_SC_iiiii.num_agpr, 0
	.set _ZN4vllm25paged_attention_v1_kernelIfhLi64ELi32ELi128ELNS_18Fp8KVCacheDataTypeE1ELb1EEEvPT_PKS2_PKT0_S8_ifPKiSA_iPKfiiiSC_SC_iiiii.numbered_sgpr, 45
	.set _ZN4vllm25paged_attention_v1_kernelIfhLi64ELi32ELi128ELNS_18Fp8KVCacheDataTypeE1ELb1EEEvPT_PKS2_PKT0_S8_ifPKiSA_iPKfiiiSC_SC_iiiii.num_named_barrier, 0
	.set _ZN4vllm25paged_attention_v1_kernelIfhLi64ELi32ELi128ELNS_18Fp8KVCacheDataTypeE1ELb1EEEvPT_PKS2_PKT0_S8_ifPKiSA_iPKfiiiSC_SC_iiiii.private_seg_size, 356
	.set _ZN4vllm25paged_attention_v1_kernelIfhLi64ELi32ELi128ELNS_18Fp8KVCacheDataTypeE1ELb1EEEvPT_PKS2_PKT0_S8_ifPKiSA_iPKfiiiSC_SC_iiiii.uses_vcc, 1
	.set _ZN4vllm25paged_attention_v1_kernelIfhLi64ELi32ELi128ELNS_18Fp8KVCacheDataTypeE1ELb1EEEvPT_PKS2_PKT0_S8_ifPKiSA_iPKfiiiSC_SC_iiiii.uses_flat_scratch, 1
	.set _ZN4vllm25paged_attention_v1_kernelIfhLi64ELi32ELi128ELNS_18Fp8KVCacheDataTypeE1ELb1EEEvPT_PKS2_PKT0_S8_ifPKiSA_iPKfiiiSC_SC_iiiii.has_dyn_sized_stack, 0
	.set _ZN4vllm25paged_attention_v1_kernelIfhLi64ELi32ELi128ELNS_18Fp8KVCacheDataTypeE1ELb1EEEvPT_PKS2_PKT0_S8_ifPKiSA_iPKfiiiSC_SC_iiiii.has_recursion, 0
	.set _ZN4vllm25paged_attention_v1_kernelIfhLi64ELi32ELi128ELNS_18Fp8KVCacheDataTypeE1ELb1EEEvPT_PKS2_PKT0_S8_ifPKiSA_iPKfiiiSC_SC_iiiii.has_indirect_call, 0
	.section	.AMDGPU.csdata,"",@progbits
; Kernel info:
; codeLenInByte = 41112
; TotalNumSgprs: 47
; NumVgprs: 128
; ScratchSize: 356
; MemoryBound: 0
; FloatMode: 240
; IeeeMode: 1
; LDSByteSize: 288 bytes/workgroup (compile time only)
; SGPRBlocks: 0
; VGPRBlocks: 7
; NumSGPRsForWavesPerEU: 47
; NumVGPRsForWavesPerEU: 128
; NamedBarCnt: 0
; Occupancy: 8
; WaveLimiterHint : 1
; COMPUTE_PGM_RSRC2:SCRATCH_EN: 1
; COMPUTE_PGM_RSRC2:USER_SGPR: 2
; COMPUTE_PGM_RSRC2:TRAP_HANDLER: 0
; COMPUTE_PGM_RSRC2:TGID_X_EN: 1
; COMPUTE_PGM_RSRC2:TGID_Y_EN: 1
; COMPUTE_PGM_RSRC2:TGID_Z_EN: 1
; COMPUTE_PGM_RSRC2:TIDIG_COMP_CNT: 0
	.text
	.p2align	2                               ; -- Begin function _ZN4vllm22paged_attention_kernelIfhLi80ELi32ELi128ELNS_18Fp8KVCacheDataTypeE1ELb1ELi0EEEvPfS2_PT_PKS3_PKT0_S9_ifPKiSB_iPKfiiiSD_SD_iiiii
	.type	_ZN4vllm22paged_attention_kernelIfhLi80ELi32ELi128ELNS_18Fp8KVCacheDataTypeE1ELb1ELi0EEEvPfS2_PT_PKS3_PKT0_S9_ifPKiSB_iPKfiiiSD_SD_iiiii,@function
_ZN4vllm22paged_attention_kernelIfhLi80ELi32ELi128ELNS_18Fp8KVCacheDataTypeE1ELb1ELi0EEEvPfS2_PT_PKS3_PKT0_S9_ifPKiSB_iPKfiiiSD_SD_iiiii: ; @_ZN4vllm22paged_attention_kernelIfhLi80ELi32ELi128ELNS_18Fp8KVCacheDataTypeE1ELb1ELi0EEEvPfS2_PT_PKS3_PKT0_S9_ifPKiSB_iPKfiiiSD_SD_iiiii
; %bb.0:
	s_wait_loadcnt_dscnt 0x0
	s_wait_kmcnt 0x0
	s_clause 0x2f
	scratch_store_b32 off, v40, s32 offset:188
	; meta instruction
	scratch_store_b32 off, v41, s32 offset:184
	; meta instruction
	;; [unrolled: 2-line block ×47, first 2 shown]
	scratch_store_b32 off, v127, s32
	s_bfe_u32 s1, ttmp6, 0x4000c
	s_bfe_u32 s3, ttmp6, 0x40010
	s_add_co_i32 s1, s1, 1
	s_and_b32 s2, ttmp6, 15
	s_mul_i32 s1, ttmp9, s1
	s_and_b32 s4, ttmp7, 0xffff
	s_add_co_i32 s3, s3, 1
	s_add_co_i32 s2, s2, s1
	s_mul_i32 s1, s4, s3
	s_bfe_u32 s3, ttmp6, 0x40004
	s_getreg_b32 s10, hwreg(HW_REG_IB_STS2, 6, 4)
	s_add_co_i32 s3, s3, s1
	s_cmp_eq_u32 s10, 0
	s_mov_b32 s7, 0
	s_cselect_b32 s11, s4, s3
	s_cselect_b32 s2, ttmp9, s2
	s_lshl_b32 s6, s11, 2
	v_dual_mov_b32 v53, v7 :: v_dual_mov_b32 v52, v6
	v_add_nc_u64_e32 v[6:7], s[6:7], v[12:13]
	s_clause 0x4
	scratch_store_b64 off, v[22:23], s32 offset:448
	scratch_store_b64 off, v[20:21], s32 offset:456
	;; [unrolled: 1-line block ×3, first 2 shown]
	scratch_store_b32 off, v9, s32 offset:464
	scratch_store_b64 off, v[0:1], s32 offset:808
	s_wait_xcnt 0x0
	v_dual_mov_b32 v1, 0 :: v_dual_mov_b32 v33, v16
	v_mov_b32_e32 v32, v15
	flat_load_b32 v16, v[6:7]
	s_wait_xcnt 0x0
	v_sub_nc_u32_e32 v6, 0, v8
	global_load_u16 v0, v1, s[8:9] offset:22
	s_clause 0x1
	s_load_u16 s1, s[8:9], 0x12
	s_load_b32 s3, s[8:9], 0x0
	v_dual_mov_b32 v51, v11 :: v_dual_mov_b32 v50, v10
	v_max_i32_e32 v6, v8, v6
	s_mov_b32 s0, s15
	s_delay_alu instid0(VALU_DEP_1) | instskip(NEXT) | instid1(VALU_DEP_1)
	v_cvt_f32_u32_e32 v7, v6
	v_rcp_iflag_f32_e32 v7, v7
	s_wait_kmcnt 0x0
	s_cmp_lg_u32 s1, 0
	v_nop
	s_delay_alu instid0(TRANS32_DEP_1) | instskip(SKIP_2) | instid1(SALU_CYCLE_1)
	v_mul_f32_e32 v7, 0x4f7ffffe, v7
	v_sub_nc_u32_e32 v9, 0, v6
	s_cselect_b32 s1, -1, 0
	s_cmp_lg_u32 s1, 0
	s_delay_alu instid0(VALU_DEP_2) | instskip(SKIP_3) | instid1(VALU_DEP_1)
	v_cvt_u32_f32_e32 v7, v7
	s_add_co_ci_u32 s12, s3, 0
	s_abs_i32 s6, s2
	s_abs_i32 s1, s12
	v_mul_lo_u32 v9, v9, v7
	s_delay_alu instid0(VALU_DEP_1) | instskip(NEXT) | instid1(VALU_DEP_1)
	v_mul_hi_u32 v9, v7, v9
	v_add_nc_u32_e32 v7, v7, v9
	s_delay_alu instid0(VALU_DEP_1) | instskip(NEXT) | instid1(VALU_DEP_1)
	v_mul_hi_u32 v7, s1, v7
	v_mul_lo_u32 v9, v7, v6
	s_delay_alu instid0(VALU_DEP_1) | instskip(SKIP_1) | instid1(VALU_DEP_1)
	v_dual_add_nc_u32 v10, 1, v7 :: v_dual_sub_nc_u32 v9, s1, v9
	s_mov_b32 s1, exec_lo
	v_sub_nc_u32_e32 v11, v9, v6
	v_cmp_ge_u32_e32 vcc_lo, v9, v6
	s_delay_alu instid0(VALU_DEP_3) | instskip(NEXT) | instid1(VALU_DEP_3)
	v_dual_cndmask_b32 v7, v7, v10, vcc_lo :: v_dual_bitop2_b32 v10, s12, v8 bitop3:0x14
	v_cndmask_b32_e32 v9, v9, v11, vcc_lo
	s_delay_alu instid0(VALU_DEP_2) | instskip(NEXT) | instid1(VALU_DEP_2)
	v_dual_add_nc_u32 v11, 1, v7 :: v_dual_ashrrev_i32 v10, 31, v10
	v_cmp_ge_u32_e32 vcc_lo, v9, v6
	s_delay_alu instid0(VALU_DEP_2) | instskip(NEXT) | instid1(VALU_DEP_1)
	v_cndmask_b32_e32 v6, v7, v11, vcc_lo
	v_xor_b32_e32 v6, v6, v10
	s_delay_alu instid0(VALU_DEP_1) | instskip(NEXT) | instid1(VALU_DEP_1)
	v_sub_nc_u32_e32 v7, v6, v10
	v_sub_nc_u32_e32 v6, 0, v7
	s_delay_alu instid0(VALU_DEP_1) | instskip(NEXT) | instid1(VALU_DEP_1)
	v_max_i32_e32 v6, v7, v6
	v_cvt_f32_u32_e32 v9, v6
	v_sub_nc_u32_e32 v10, 0, v6
	s_delay_alu instid0(VALU_DEP_2) | instskip(SKIP_1) | instid1(TRANS32_DEP_1)
	v_rcp_iflag_f32_e32 v9, v9
	v_nop
	v_mul_f32_e32 v9, 0x4f7ffffe, v9
	s_delay_alu instid0(VALU_DEP_1) | instskip(NEXT) | instid1(VALU_DEP_1)
	v_cvt_u32_f32_e32 v9, v9
	v_mul_lo_u32 v10, v10, v9
	s_delay_alu instid0(VALU_DEP_1) | instskip(SKIP_2) | instid1(VALU_DEP_2)
	v_mul_hi_u32 v10, v9, v10
	s_wait_loadcnt 0x0
	v_readfirstlane_b32 s13, v0
	v_add_nc_u32_e32 v0, v9, v10
	v_mov_b32_e32 v9, v1
	scratch_store_b32 off, v9, s32 offset:444 ; 4-byte Folded Spill
	s_wait_xcnt 0x0
	v_cmpx_ne_u64_e32 0, v[32:33]
	s_cbranch_execz .LBB204_2
; %bb.1:
	s_ashr_i32 s3, s2, 31
	s_delay_alu instid0(SALU_CYCLE_1)
	v_lshl_add_u64 v[10:11], s[2:3], 2, v[32:33]
	flat_load_b32 v9, v[10:11]
	s_wait_loadcnt_dscnt 0x0
	scratch_store_b32 off, v9, s32 offset:444 ; 4-byte Folded Spill
.LBB204_2:
	s_wait_xcnt 0x0
	s_or_b32 exec_lo, exec_lo, s1
	v_mul_u64_e32 v[0:1], s[6:7], v[0:1]
	v_and_b32_e32 v9, 0x3ff, v31
	v_ashrrev_i32_e32 v0, 31, v7
	s_ashr_i32 s1, s2, 31
	s_mul_i32 s4, s2, 0x50
	s_mov_b32 s3, exec_lo
	scratch_store_b32 off, v9, s32 offset:800 ; 4-byte Folded Spill
	s_wait_xcnt 0x0
	v_cmpx_gt_u32_e32 20, v9
	s_cbranch_execz .LBB204_4
; %bb.3:
	scratch_load_b32 v7, off, s32 offset:800 ; 4-byte Folded Reload
	v_mul_lo_u32 v10, v17, s11
	s_ashr_i32 s5, s4, 31
	s_delay_alu instid0(VALU_DEP_1) | instskip(SKIP_2) | instid1(VALU_DEP_2)
	v_dual_mov_b32 v21, 0 :: v_dual_ashrrev_i32 v11, 31, v10
	s_wait_loadcnt 0x0
	v_lshlrev_b32_e32 v20, 4, v7
	v_lshl_add_u64 v[2:3], v[10:11], 2, v[2:3]
	s_delay_alu instid0(VALU_DEP_1) | instskip(NEXT) | instid1(VALU_DEP_1)
	v_lshl_add_u64 v[2:3], s[4:5], 2, v[2:3]
	v_add_nc_u64_e32 v[2:3], v[2:3], v[20:21]
	flat_load_b128 v[10:13], v[2:3]
	s_wait_loadcnt_dscnt 0x0
	ds_store_b128 v20, v[10:13]
.LBB204_4:
	s_wait_xcnt 0x0
	s_or_b32 exec_lo, exec_lo, s3
	v_sub_nc_u32_e32 v2, 0, v27
	v_mul_lo_u32 v3, v1, v6
	s_delay_alu instid0(VALU_DEP_2) | instskip(NEXT) | instid1(VALU_DEP_1)
	v_dual_add_nc_u32 v9, 1, v1 :: v_dual_max_i32 v17, v27, v2
	v_cvt_f32_u32_e32 v2, v17
	s_delay_alu instid0(VALU_DEP_3) | instskip(NEXT) | instid1(VALU_DEP_2)
	v_sub_nc_u32_e32 v3, s6, v3
	v_rcp_iflag_f32_e32 v2, v2
	s_delay_alu instid0(VALU_DEP_1) | instskip(NEXT) | instid1(TRANS32_DEP_1)
	v_cmp_ge_u32_e32 vcc_lo, v3, v6
	v_dual_mul_f32 v2, 0x4f7ffffe, v2 :: v_dual_sub_nc_u32 v7, 0, v17
	v_cndmask_b32_e32 v1, v1, v9, vcc_lo
	s_delay_alu instid0(VALU_DEP_2) | instskip(NEXT) | instid1(VALU_DEP_2)
	v_cvt_u32_f32_e32 v2, v2
	v_add_nc_u32_e32 v9, 1, v1
	s_delay_alu instid0(VALU_DEP_2) | instskip(SKIP_2) | instid1(VALU_DEP_1)
	v_mul_lo_u32 v10, v7, v2
	v_sub_nc_u32_e32 v7, v3, v6
	s_wait_dscnt 0x0
	v_dual_cndmask_b32 v3, v3, v7, vcc_lo :: v_dual_add_nc_u32 v7, -1, v16
	s_delay_alu instid0(VALU_DEP_1) | instskip(NEXT) | instid1(VALU_DEP_4)
	v_cmp_ge_u32_e32 vcc_lo, v3, v6
	v_mul_hi_u32 v10, v2, v10
	v_xor_b32_e32 v11, s1, v0
	s_mov_b32 s1, exec_lo
	v_dual_cndmask_b32 v0, v1, v9 :: v_dual_mov_b32 v1, 0
	v_sub_nc_u32_e32 v3, 0, v7
	s_delay_alu instid0(VALU_DEP_2) | instskip(NEXT) | instid1(VALU_DEP_2)
	v_dual_mov_b32 v13, v1 :: v_dual_bitop2_b32 v6, v0, v11 bitop3:0x14
	v_dual_add_nc_u32 v12, v2, v10 :: v_dual_max_i32 v0, v7, v3
                                        ; implicit-def: $vgpr2
                                        ; kill: killed $vgpr2
	s_delay_alu instid0(VALU_DEP_2)
	v_sub_nc_u32_e32 v6, v6, v11
	scratch_store_b64 off, v[12:13], s32 offset:204 ; 8-byte Folded Spill
	s_wait_storecnt 0x0
	s_barrier_signal -1
	s_barrier_wait -1
	s_wait_xcnt 0x0
	v_cmpx_gt_i32_e32 0, v28
	s_xor_b32 s1, exec_lo, s1
	s_cbranch_execz .LBB204_6
; %bb.5:
	v_mad_u32 v2, v24, v8, v6
                                        ; implicit-def: $vgpr24
	s_delay_alu instid0(VALU_DEP_1) | instskip(NEXT) | instid1(VALU_DEP_1)
	v_mul_lo_u32 v2, v2, v28
                                        ; implicit-def: $vgpr28
	v_sub_nc_u32_e32 v2, 1, v2
	scratch_store_b32 off, v2, s32 offset:216 ; 4-byte Folded Spill
.LBB204_6:
	s_wait_xcnt 0x0
	s_or_saveexec_b32 s1, s1
	scratch_load_b64 v[2:3], off, s32 offset:204 ; 8-byte Folded Reload
	s_wait_loadcnt 0x0
	v_mul_u64_e32 v[2:3], v[0:1], v[2:3]
	v_ashrrev_i32_e32 v1, 31, v7
	v_ashrrev_i32_e32 v2, 31, v27
	scratch_store_b32 off, v2, s32 offset:212 ; 4-byte Folded Spill
	s_wait_xcnt 0x0
	s_xor_b32 exec_lo, exec_lo, s1
	s_cbranch_execz .LBB204_8
; %bb.7:
	v_mad_u32 v2, s12, v24, s2
	s_delay_alu instid0(VALU_DEP_1)
	v_mad_u32 v2, v2, v28, 1
	scratch_store_b32 off, v2, s32 offset:216 ; 4-byte Folded Spill
.LBB204_8:
	s_wait_xcnt 0x0
	s_or_b32 exec_lo, exec_lo, s1
	s_clause 0x1
	scratch_load_b32 v9, off, s32 offset:212
	scratch_load_b32 v12, off, s32 offset:800
	v_mul_lo_u32 v2, v3, v17
	v_add_nc_u32_e32 v7, 1, v3
	s_ashr_i32 s1, s0, 31
	s_get_pc_i64 s[2:3]
	s_add_nc_u64 s[2:3], s[2:3], llvm.amdgcn.dynlds.offset.table@rel64+4
	s_lshl_b64 s[0:1], s[0:1], 2
	s_load_b32 s5, s[8:9], 0x8
	s_add_nc_u64 s[6:7], s[2:3], s[0:1]
	v_mul_lo_u32 v54, v14, s11
	s_load_b32 s3, s[6:7], 0x0
	v_mul_lo_u32 v66, v6, v19
	v_dual_mov_b32 v6, 0xff7fffff :: v_dual_sub_nc_u32 v49, 0, v26
	v_dual_sub_nc_u32 v0, v0, v2 :: v_dual_add_nc_u32 v2, 31, v16
	s_delay_alu instid0(VALU_DEP_1) | instskip(SKIP_3) | instid1(VALU_DEP_4)
	v_sub_nc_u32_e32 v8, v0, v17
	v_cmp_ge_u32_e32 vcc_lo, v0, v17
	v_ashrrev_i32_e32 v55, 31, v54
	v_dual_ashrrev_i32 v67, 31, v66 :: v_dual_cndmask_b32 v3, v3, v7, vcc_lo
	v_dual_cndmask_b32 v0, v0, v8 :: v_dual_ashrrev_i32 v7, 31, v2
	s_delay_alu instid0(VALU_DEP_2) | instskip(NEXT) | instid1(VALU_DEP_2)
	v_add_nc_u32_e32 v8, 1, v3
	v_cmp_ge_u32_e32 vcc_lo, v0, v17
	s_delay_alu instid0(VALU_DEP_2) | instskip(NEXT) | instid1(VALU_DEP_1)
	v_dual_cndmask_b32 v0, v3, v8 :: v_dual_lshrrev_b32 v7, 27, v7
	v_add_nc_u32_e32 v2, v2, v7
	s_wait_loadcnt 0x1
	s_delay_alu instid0(VALU_DEP_1) | instskip(SKIP_2) | instid1(VALU_DEP_2)
	v_dual_ashrrev_i32 v2, 5, v2 :: v_dual_bitop2_b32 v1, v1, v9 bitop3:0x14
	s_wait_loadcnt 0x0
	v_dual_lshrrev_b32 v9, 5, v12 :: v_dual_bitop2_b32 v3, 31, v12 bitop3:0x40
	v_dual_lshrrev_b32 v27, 3, v12 :: v_dual_bitop2_b32 v0, v0, v1 bitop3:0x14
	s_delay_alu instid0(VALU_DEP_2)
	v_dual_lshlrev_b32 v8, 5, v9 :: v_dual_lshlrev_b32 v11, 2, v3
	s_clause 0x2
	scratch_store_b32 off, v3, s32 offset:440
	scratch_store_b32 off, v9, s32 offset:804
	;; [unrolled: 1-line block ×3, first 2 shown]
	v_sub_nc_u32_e32 v0, v0, v1
	v_cmp_lt_i32_e64 s0, v9, v2
	s_wait_kmcnt 0x0
	s_delay_alu instid0(VALU_DEP_2)
	v_dual_mov_b32 v2, s3 :: v_dual_sub_nc_u32 v0, v0, v25
	scratch_store_b32 off, v0, s32 offset:220 ; 4-byte Folded Spill
	s_wait_xcnt 0x0
	s_and_saveexec_b32 s8, s0
	s_cbranch_execz .LBB204_656
; %bb.9:
	v_max_i32_e32 v1, v26, v49
	s_clause 0x2
	scratch_store_b64 off, v[52:53], s32 offset:828
	scratch_store_b32 off, v26, s32 offset:824
	scratch_store_b32 off, v49, s32 offset:856
	s_mov_b32 s9, 0
	v_mov_b32_e32 v25, 0
	s_clause 0x1
	scratch_store_b64 off, v[66:67], s32 offset:848
	scratch_store_b32 off, v11, s32 offset:860
	v_cvt_f32_u32_e32 v0, v1
	v_mov_b32_e32 v6, 0xff7fffff
	scratch_load_b32 v9, off, s32 offset:804 ; 4-byte Folded Reload
	v_rcp_iflag_f32_e32 v0, v0
	v_nop
	s_delay_alu instid0(TRANS32_DEP_1)
	v_mul_f32_e32 v0, 0x4f7ffffe, v0
	scratch_store_b32 off, v1, s32 offset:424 ; 4-byte Folded Spill
	v_sub_nc_u32_e32 v2, 0, v1
	v_cvt_u32_f32_e32 v3, v0
	s_wait_xcnt 0x0
	v_add_nc_u64_e32 v[0:1], v[4:5], v[66:67]
	scratch_load_b32 v5, off, s32 offset:440 ; 4-byte Folded Reload
	v_mul_lo_u32 v4, v2, v3
	scratch_load_b32 v2, off, s32 offset:444 ; 4-byte Folded Reload
	v_mul_hi_u32 v4, v3, v4
	s_wait_loadcnt 0x2
	v_lshl_or_b32 v107, v9, 7, v11
	v_lshlrev_b32_e32 v104, 5, v9
	s_wait_loadcnt 0x1
	v_dual_lshlrev_b32 v24, 4, v5 :: v_dual_sub_nc_u32 v5, v5, v16
	s_wait_loadcnt 0x0
	v_cmp_neq_f32_e32 vcc_lo, 0, v2
	s_delay_alu instid0(VALU_DEP_2)
	v_add_nc_u64_e32 v[0:1], v[0:1], v[24:25]
	v_and_b32_e32 v24, 0x7c, v27
	v_dual_mov_b32 v2, s3 :: v_dual_add_nc_u32 v5, 1, v5
	s_clause 0x1
	scratch_store_b64 off, v[0:1], s32 offset:468
	scratch_store_b32 off, v27, s32 offset:844
	ds_load_b128 v[10:13], v25
	s_wait_xcnt 0x1
	v_lshl_add_u64 v[0:1], v[54:55], 2, v[24:25]
	s_delay_alu instid0(VALU_DEP_1)
	v_add_nc_u64_e32 v[0:1], v[50:51], v[0:1]
	s_wait_dscnt 0x0
	scratch_store_b128 off, v[10:13], s32 offset:476 ; 16-byte Folded Spill
	s_wait_xcnt 0x0
	ds_load_b128 v[10:13], v25 offset:16
	s_wait_dscnt 0x0
	scratch_store_b128 off, v[10:13], s32 offset:492 ; 16-byte Folded Spill
	s_wait_xcnt 0x0
	ds_load_b128 v[10:13], v25 offset:32
	;; [unrolled: 4-line block ×3, first 2 shown]
	s_wait_dscnt 0x0
	s_clause 0x1
	scratch_store_b128 off, v[10:13], s32 offset:524
	scratch_store_b64 off, v[54:55], s32 offset:836
	s_wait_xcnt 0x1
	ds_load_b128 v[10:13], v25 offset:64
	s_wait_dscnt 0x0
	scratch_store_b128 off, v[10:13], s32 offset:540 ; 16-byte Folded Spill
	s_wait_xcnt 0x0
	ds_load_b128 v[10:13], v25 offset:80
	s_wait_dscnt 0x0
	scratch_store_b128 off, v[10:13], s32 offset:556 ; 16-byte Folded Spill
	s_wait_xcnt 0x0
	v_dual_mov_b32 v11, v25 :: v_dual_add_nc_u32 v10, v3, v4
	s_clause 0x3
	scratch_store_b32 off, v5, s32 offset:572
	scratch_store_b64 off, v[50:51], s32 offset:816
	scratch_store_b64 off, v[0:1], s32 offset:196
	;; [unrolled: 1-line block ×3, first 2 shown]
	s_wait_xcnt 0x0
	ds_load_b128 v[10:13], v25 offset:96
	s_wait_dscnt 0x0
	scratch_store_b128 off, v[10:13], s32 offset:576 ; 16-byte Folded Spill
	s_wait_xcnt 0x0
	ds_load_b128 v[10:13], v25 offset:112
	s_wait_dscnt 0x0
	scratch_store_b128 off, v[10:13], s32 offset:592 ; 16-byte Folded Spill
	;; [unrolled: 4-line block ×14, first 2 shown]
	s_branch .LBB204_15
.LBB204_10:                             ;   in Loop: Header=BB204_15 Depth=1
	s_or_b32 exec_lo, exec_lo, s17
	v_lshlrev_b32_e32 v13, 24, v32
	s_delay_alu instid0(VALU_DEP_2) | instskip(SKIP_1) | instid1(VALU_DEP_3)
	v_lshlrev_b32_e32 v24, 20, v24
	v_lshl_add_u32 v12, v12, 23, 0x3c000000
	v_and_b32_e32 v13, 0x80000000, v13
	s_delay_alu instid0(VALU_DEP_1)
	v_or3_b32 v13, v24, v13, v12
	v_mov_b32_e32 v12, v25
.LBB204_11:                             ;   in Loop: Header=BB204_15 Depth=1
	s_or_b32 exec_lo, exec_lo, s16
.LBB204_12:                             ;   in Loop: Header=BB204_15 Depth=1
	s_delay_alu instid0(SALU_CYCLE_1)
	s_or_b32 exec_lo, exec_lo, s15
.LBB204_13:                             ;   in Loop: Header=BB204_15 Depth=1
	s_delay_alu instid0(SALU_CYCLE_1)
	s_or_b32 exec_lo, exec_lo, s14
	v_or_b32_e32 v115, v113, v115
	v_or_b32_e32 v114, v112, v114
	;; [unrolled: 1-line block ×4, first 2 shown]
	scratch_load_b64 v[36:37], off, s32 offset:408 th:TH_LOAD_LU ; 8-byte Folded Reload
	v_or_b32_e32 v53, v53, v55
	v_or_b32_e32 v52, v52, v54
	;; [unrolled: 1-line block ×42, first 2 shown]
	v_pk_mul_f32 v[52:53], v[106:107], v[52:53] op_sel_hi:[0,1]
	v_pk_mul_f32 v[32:33], v[106:107], v[32:33] op_sel_hi:[0,1]
	;; [unrolled: 1-line block ×4, first 2 shown]
	v_or_b32_e32 v7, v19, v7
	v_or_b32_e32 v6, v18, v6
	v_pk_mul_f32 v[22:23], v[106:107], v[22:23] op_sel_hi:[0,1]
	v_or_b32_e32 v15, v79, v15
	v_or_b32_e32 v14, v78, v14
	v_pk_mul_f32 v[2:3], v[106:107], v[2:3] op_sel_hi:[0,1]
	v_pk_mul_f32 v[6:7], v[106:107], v[6:7] op_sel_hi:[0,1]
	v_or_b32_e32 v13, v13, v35
	v_or_b32_e32 v12, v12, v34
	s_wait_loadcnt 0x0
	v_or_b32_e32 v49, v49, v37
	v_or_b32_e32 v48, v48, v36
	s_clause 0x1
	scratch_load_b64 v[36:37], off, s32 offset:376 th:TH_LOAD_LU
	scratch_load_b64 v[54:55], off, s32 offset:384 th:TH_LOAD_LU
	v_pk_mul_f32 v[48:49], v[106:107], v[48:49] op_sel_hi:[0,1]
	s_wait_loadcnt 0x0
	v_or_b32_e32 v55, v37, v55
	v_or_b32_e32 v54, v36, v54
	s_clause 0x1
	scratch_load_b64 v[36:37], off, s32 offset:392 th:TH_LOAD_LU
	scratch_load_b64 v[68:69], off, s32 offset:400 th:TH_LOAD_LU
	v_pk_mul_f32 v[54:55], v[106:107], v[54:55] op_sel_hi:[0,1]
	;; [unrolled: 7-line block ×4, first 2 shown]
	s_wait_loadcnt 0x0
	v_or_b32_e32 v71, v71, v81
	v_or_b32_e32 v70, v70, v80
	s_clause 0x1
	scratch_load_b64 v[80:81], off, s32 offset:312 th:TH_LOAD_LU
	scratch_load_b64 v[82:83], off, s32 offset:320 th:TH_LOAD_LU
	s_wait_loadcnt 0x0
	v_or_b32_e32 v81, v81, v83
	v_or_b32_e32 v80, v80, v82
	s_clause 0x1
	scratch_load_b64 v[82:83], off, s32 offset:328 th:TH_LOAD_LU
	scratch_load_b64 v[84:85], off, s32 offset:336 th:TH_LOAD_LU
	v_pk_mul_f32 v[80:81], v[106:107], v[80:81] op_sel_hi:[0,1]
	s_wait_loadcnt 0x0
	v_or_b32_e32 v83, v83, v85
	v_or_b32_e32 v82, v82, v84
	s_clause 0x1
	scratch_load_b64 v[84:85], off, s32 offset:280 th:TH_LOAD_LU
	scratch_load_b64 v[86:87], off, s32 offset:288 th:TH_LOAD_LU
	s_wait_loadcnt 0x0
	v_or_b32_e32 v85, v85, v87
	v_or_b32_e32 v84, v84, v86
	s_clause 0x1
	scratch_load_b64 v[86:87], off, s32 offset:296 th:TH_LOAD_LU
	scratch_load_b64 v[100:101], off, s32 offset:304 th:TH_LOAD_LU
	v_pk_mul_f32 v[84:85], v[106:107], v[84:85] op_sel_hi:[0,1]
	;; [unrolled: 13-line block ×3, first 2 shown]
	s_wait_loadcnt 0x0
	v_or_b32_e32 v103, v103, v117
	v_or_b32_e32 v102, v102, v116
	scratch_load_b64 v[116:117], off, s32 offset:224 th:TH_LOAD_LU ; 8-byte Folded Reload
	s_wait_loadcnt 0x0
	v_or_b32_e32 v117, v119, v117
	v_or_b32_e32 v116, v118, v116
	s_clause 0x3
	scratch_load_b64 v[118:119], off, s32 offset:232 th:TH_LOAD_LU
	scratch_load_b64 v[44:45], off, s32 offset:240 th:TH_LOAD_LU
	scratch_load_b128 v[60:63], off, s32 offset:492
	scratch_load_b128 v[74:77], off, s32 offset:508
	s_load_b32 s14, s[6:7], 0x0
	v_or_b32_e32 v0, v92, v88
	s_clause 0x2
	scratch_load_b128 v[92:95], off, s32 offset:524
	scratch_load_b128 v[108:111], off, s32 offset:540
	;; [unrolled: 1-line block ×3, first 2 shown]
	v_or_b32_e32 v10, v10, v124
	s_clause 0x1
	scratch_load_b128 v[124:127], off, s32 offset:576
	scratch_load_b128 v[88:91], off, s32 offset:592
	v_pk_mul_f32 v[116:117], v[106:107], v[116:117] op_sel_hi:[0,1]
	v_pk_mul_f32 v[0:1], v[106:107], v[0:1] op_sel_hi:[0,1]
	;; [unrolled: 1-line block ×3, first 2 shown]
	s_wait_loadcnt 0x7
	v_or_b32_e32 v119, v119, v45
	v_or_b32_e32 v118, v118, v44
	scratch_load_b128 v[44:47], off, s32 offset:476 ; 16-byte Folded Reload
	s_wait_loadcnt 0x7
	v_pk_mul_f32 v[100:101], v[60:61], v[100:101]
	s_wait_loadcnt 0x0
	s_delay_alu instid0(VALU_DEP_1) | instskip(NEXT) | instid1(VALU_DEP_1)
	v_pk_fma_f32 v[100:101], v[44:45], v[116:117], v[100:101]
	v_pk_fma_f32 v[84:85], v[74:75], v[84:85], v[100:101]
	s_delay_alu instid0(VALU_DEP_1) | instskip(NEXT) | instid1(VALU_DEP_1)
	v_pk_fma_f32 v[80:81], v[92:93], v[80:81], v[84:85]
	v_pk_fma_f32 v[68:69], v[108:109], v[68:69], v[80:81]
	;; [unrolled: 3-line block ×3, first 2 shown]
	v_pk_mul_f32 v[54:55], v[106:107], v[64:65] op_sel_hi:[0,1]
	v_pk_mul_f32 v[64:65], v[106:107], v[118:119] op_sel_hi:[0,1]
	s_delay_alu instid0(VALU_DEP_2) | instskip(SKIP_1) | instid1(VALU_DEP_1)
	v_pk_fma_f32 v[48:49], v[88:89], v[54:55], v[48:49]
	v_pk_mul_f32 v[54:55], v[106:107], v[102:103] op_sel_hi:[0,1]
	v_pk_mul_f32 v[54:55], v[62:63], v[54:55]
	s_delay_alu instid0(VALU_DEP_1)
	v_pk_fma_f32 v[54:55], v[46:47], v[64:65], v[54:55]
	v_pk_mul_f32 v[64:65], v[106:107], v[86:87] op_sel_hi:[0,1]
	scratch_load_b128 v[84:87], off, s32 offset:672 ; 16-byte Folded Reload
	v_pk_fma_f32 v[54:55], v[76:77], v[64:65], v[54:55]
	v_pk_mul_f32 v[64:65], v[106:107], v[82:83] op_sel_hi:[0,1]
	scratch_load_b128 v[80:83], off, s32 offset:656 ; 16-byte Folded Reload
	;; [unrolled: 3-line block ×3, first 2 shown]
	v_pk_fma_f32 v[54:55], v[110:111], v[64:65], v[54:55]
	s_delay_alu instid0(VALU_DEP_1) | instskip(NEXT) | instid1(VALU_DEP_1)
	v_pk_fma_f32 v[36:37], v[122:123], v[36:37], v[54:55]
	v_pk_fma_f32 v[36:37], v[126:127], v[52:53], v[36:37]
	v_pk_mul_f32 v[52:53], v[106:107], v[66:67] op_sel_hi:[0,1]
	scratch_load_b128 v[64:67], off, s32 offset:624 ; 16-byte Folded Reload
	v_pk_fma_f32 v[36:37], v[90:91], v[52:53], v[36:37]
	scratch_load_b128 v[52:55], off, s32 offset:608 ; 16-byte Folded Reload
	s_wait_loadcnt 0x0
	v_pk_fma_f32 v[32:33], v[52:53], v[32:33], v[48:49]
	v_pk_mul_f32 v[48:49], v[106:107], v[98:99] op_sel_hi:[0,1]
	scratch_load_b128 v[98:101], off, s32 offset:688 ; 16-byte Folded Reload
	v_pk_fma_f32 v[32:33], v[64:65], v[48:49], v[32:33]
	v_pk_mul_f32 v[48:49], v[106:107], v[114:115] op_sel_hi:[0,1]
	scratch_load_b128 v[114:117], off, s32 offset:704 ; 16-byte Folded Reload
	v_pk_fma_f32 v[32:33], v[68:69], v[48:49], v[32:33]
	v_pk_mul_f32 v[48:49], v[106:107], v[42:43] op_sel_hi:[0,1]
	s_delay_alu instid0(VALU_DEP_1) | instskip(SKIP_1) | instid1(VALU_DEP_1)
	v_pk_fma_f32 v[32:33], v[80:81], v[48:49], v[32:33]
	v_pk_mul_f32 v[48:49], v[106:107], v[58:59] op_sel_hi:[0,1]
	v_pk_fma_f32 v[32:33], v[84:85], v[48:49], v[32:33]
	v_pk_mul_f32 v[48:49], v[106:107], v[72:73] op_sel_hi:[0,1]
	s_wait_loadcnt 0x1
	s_delay_alu instid0(VALU_DEP_1) | instskip(SKIP_1) | instid1(VALU_DEP_1)
	v_pk_fma_f32 v[32:33], v[98:99], v[48:49], v[32:33]
	s_wait_loadcnt 0x0
	v_pk_fma_f32 v[28:29], v[114:115], v[28:29], v[32:33]
	v_pk_mul_f32 v[32:33], v[106:107], v[50:51] op_sel_hi:[0,1]
	s_delay_alu instid0(VALU_DEP_1) | instskip(SKIP_1) | instid1(VALU_DEP_1)
	v_pk_fma_f32 v[32:33], v[54:55], v[32:33], v[36:37]
	v_pk_mul_f32 v[36:37], v[106:107], v[96:97] op_sel_hi:[0,1]
	v_pk_fma_f32 v[32:33], v[66:67], v[36:37], v[32:33]
	v_pk_mul_f32 v[36:37], v[106:107], v[112:113] op_sel_hi:[0,1]
	s_delay_alu instid0(VALU_DEP_1) | instskip(SKIP_1) | instid1(VALU_DEP_1)
	v_pk_fma_f32 v[32:33], v[70:71], v[36:37], v[32:33]
	v_pk_mul_f32 v[36:37], v[106:107], v[40:41] op_sel_hi:[0,1]
	;; [unrolled: 5-line block ×3, first 2 shown]
	v_pk_fma_f32 v[32:33], v[100:101], v[36:37], v[32:33]
	v_pk_mul_f32 v[36:37], v[106:107], v[20:21] op_sel_hi:[0,1]
	v_pk_mul_f32 v[20:21], v[106:107], v[30:31] op_sel_hi:[0,1]
	;; [unrolled: 1-line block ×3, first 2 shown]
	s_delay_alu instid0(VALU_DEP_3)
	v_pk_fma_f32 v[26:27], v[116:117], v[36:37], v[32:33]
	scratch_load_b128 v[36:39], off, s32 offset:720 ; 16-byte Folded Reload
	s_wait_loadcnt 0x0
	v_pk_fma_f32 v[28:29], v[36:37], v[30:31], v[28:29]
	scratch_load_b128 v[30:33], off, s32 offset:736 ; 16-byte Folded Reload
	v_pk_fma_f32 v[10:11], v[38:39], v[10:11], v[26:27]
	s_wait_loadcnt 0x0
	v_pk_fma_f32 v[4:5], v[30:31], v[4:5], v[28:29]
	scratch_load_b128 v[26:29], off, s32 offset:752 ; 16-byte Folded Reload
	v_pk_fma_f32 v[0:1], v[32:33], v[0:1], v[10:11]
	v_pk_mul_f32 v[10:11], v[106:107], v[14:15] op_sel_hi:[0,1]
	s_wait_loadcnt 0x0
	v_pk_fma_f32 v[4:5], v[26:27], v[22:23], v[4:5]
	s_delay_alu instid0(VALU_DEP_3)
	v_pk_fma_f32 v[0:1], v[28:29], v[6:7], v[0:1]
	s_clause 0x1
	scratch_load_b128 v[26:29], off, s32 offset:768
	scratch_load_b32 v6, off, s32 offset:572
	s_wait_loadcnt 0x1
	v_pk_fma_f32 v[4:5], v[26:27], v[20:21], v[4:5]
	scratch_load_b128 v[18:21], off, s32 offset:784 ; 16-byte Folded Reload
	v_pk_fma_f32 v[0:1], v[28:29], v[2:3], v[0:1]
	s_wait_loadcnt 0x0
	v_pk_fma_f32 v[2:3], v[18:19], v[10:11], v[4:5]
	s_delay_alu instid0(VALU_DEP_1) | instskip(SKIP_3) | instid1(VALU_DEP_2)
	v_add_f32_e32 v2, v2, v3
	scratch_load_b32 v3, off, s32 offset:444 ; 4-byte Folded Reload
	v_add_nc_u32_e32 v14, v6, v104
	v_pk_mul_f32 v[6:7], v[106:107], v[12:13] op_sel_hi:[0,1]
	v_cvt_f32_i32_e32 v4, v14
	s_delay_alu instid0(VALU_DEP_2) | instskip(SKIP_2) | instid1(VALU_DEP_1)
	v_pk_fma_f32 v[0:1], v[20:21], v[6:7], v[0:1]
	scratch_load_b32 v6, off, s32 offset:436 th:TH_LOAD_LU ; 4-byte Folded Reload
	v_add_f32_e32 v0, v0, v2
	v_add_f32_e32 v0, v1, v0
	scratch_load_b32 v1, off, s32 offset:440 ; 4-byte Folded Reload
	s_wait_loadcnt 0x2
	v_mul_f32_e32 v3, v3, v4
	s_delay_alu instid0(VALU_DEP_1) | instskip(SKIP_3) | instid1(VALU_DEP_1)
	v_cndmask_b32_e32 v2, 0, v3, vcc_lo
	scratch_load_b32 v3, off, s32 offset:464 ; 4-byte Folded Reload
	s_wait_loadcnt 0x1
	v_add_nc_u32_e32 v1, v1, v104
	v_cmp_lt_i32_e64 s1, v1, v16
	s_wait_loadcnt 0x0
	s_wait_kmcnt 0x0
	v_dual_fmac_f32 v2, v3, v0 :: v_dual_add_nc_u32 v1, s14, v107
	v_max_num_f32_e32 v0, v6, v6
	s_delay_alu instid0(VALU_DEP_1)
	v_dual_cndmask_b32 v3, 0, v2, s1 :: v_dual_max_num_f32 v0, v0, v2
	v_mov_b32_e32 v2, s14
	ds_store_b32 v1, v3
	v_cndmask_b32_e64 v6, v6, v0, s1
.LBB204_14:                             ;   in Loop: Header=BB204_15 Depth=1
	s_wait_xcnt 0x0
	s_or_b32 exec_lo, exec_lo, s2
	scratch_load_b32 v0, off, s32 offset:192 ; 4-byte Folded Reload
	v_add_nc_u32_e32 v9, 4, v9
	v_add_nc_u32_e32 v104, 0x80, v104
	;; [unrolled: 1-line block ×3, first 2 shown]
	s_wait_loadcnt 0x0
	s_delay_alu instid0(VALU_DEP_3)
	v_cmp_ge_i32_e64 s1, v9, v0
	scratch_load_b64 v[0:1], off, s32 offset:196 ; 8-byte Folded Reload
	s_or_b32 s9, s1, s9
	s_wait_loadcnt 0x0
	v_add_nc_u64_e32 v[0:1], 16, v[0:1]
	scratch_store_b64 off, v[0:1], s32 offset:196 ; 8-byte Folded Spill
	s_wait_xcnt 0x0
	s_and_not1_b32 exec_lo, exec_lo, s9
	s_cbranch_execz .LBB204_655
.LBB204_15:                             ; =>This Inner Loop Header: Depth=1
	s_clause 0x1
	scratch_load_b64 v[0:1], off, s32 offset:204
	scratch_load_b32 v5, off, s32 offset:424
	v_mov_b32_e32 v105, v25
	s_wait_loadcnt 0x1
	s_delay_alu instid0(VALU_DEP_1) | instskip(NEXT) | instid1(VALU_DEP_1)
	v_mul_u64_e32 v[0:1], v[104:105], v[0:1]
	v_mul_lo_u32 v0, v1, v17
	s_delay_alu instid0(VALU_DEP_1) | instskip(NEXT) | instid1(VALU_DEP_1)
	v_sub_nc_u32_e32 v0, v104, v0
	v_cmp_ge_u32_e64 s1, v0, v17
	v_sub_nc_u32_e32 v4, v0, v17
	s_delay_alu instid0(VALU_DEP_1) | instskip(NEXT) | instid1(VALU_DEP_1)
	v_dual_add_nc_u32 v3, 1, v1 :: v_dual_cndmask_b32 v0, v0, v4, s1
	v_cndmask_b32_e64 v1, v1, v3, s1
	s_delay_alu instid0(VALU_DEP_2) | instskip(NEXT) | instid1(VALU_DEP_2)
	v_cmp_ge_u32_e64 s1, v0, v17
	v_add_nc_u32_e32 v3, 1, v1
	s_delay_alu instid0(VALU_DEP_1) | instskip(SKIP_3) | instid1(VALU_DEP_1)
	v_cndmask_b32_e64 v0, v1, v3, s1
	scratch_load_b32 v1, off, s32 offset:212 ; 4-byte Folded Reload
	s_wait_loadcnt 0x0
	v_xor_b32_e32 v0, v0, v1
	v_sub_nc_u32_e32 v3, v0, v1
	scratch_load_b32 v0, off, s32 offset:216 ; 4-byte Folded Reload
	s_wait_loadcnt 0x0
	v_add_nc_u32_e32 v4, v3, v0
	s_delay_alu instid0(VALU_DEP_1) | instskip(NEXT) | instid1(VALU_DEP_1)
	v_sub_nc_u32_e32 v0, 0, v4
	v_max_i32_e32 v24, v4, v0
	scratch_load_b64 v[0:1], off, s32 offset:428 ; 8-byte Folded Reload
	s_wait_loadcnt 0x0
	v_mul_u64_e32 v[0:1], v[24:25], v[0:1]
	s_delay_alu instid0(VALU_DEP_1) | instskip(NEXT) | instid1(VALU_DEP_1)
	v_mul_lo_u32 v0, v1, v5
	v_sub_nc_u32_e32 v0, v24, v0
	s_delay_alu instid0(VALU_DEP_1) | instskip(SKIP_1) | instid1(VALU_DEP_1)
	v_dual_ashrrev_i32 v4, 31, v4 :: v_dual_sub_nc_u32 v1, v0, v5
	v_cmp_ge_u32_e64 s1, v0, v5
	v_cndmask_b32_e64 v0, v0, v1, s1
	s_delay_alu instid0(VALU_DEP_1) | instskip(SKIP_1) | instid1(VALU_DEP_1)
	v_sub_nc_u32_e32 v1, v0, v5
	v_cmp_ge_u32_e64 s1, v0, v5
	v_cndmask_b32_e64 v0, v0, v1, s1
	s_delay_alu instid0(VALU_DEP_1) | instskip(NEXT) | instid1(VALU_DEP_1)
	v_xor_b32_e32 v0, v0, v4
	v_sub_nc_u32_e32 v0, v0, v4
	s_delay_alu instid0(VALU_DEP_1)
	v_cmp_ne_u32_e64 s1, 0, v0
	scratch_load_b32 v0, off, s32 offset:220 ; 4-byte Folded Reload
	s_wait_loadcnt 0x0
	v_cmp_le_i32_e64 s2, v3, v0
	s_and_b32 s1, s1, s2
	s_wait_xcnt 0x0
	s_and_saveexec_b32 s2, s1
	s_delay_alu instid0(SALU_CYCLE_1)
	s_xor_b32 s1, exec_lo, s2
; %bb.16:                               ;   in Loop: Header=BB204_15 Depth=1
	v_dual_mov_b32 v1, 0xff7fffff :: v_dual_add_nc_u32 v0, s3, v107
	ds_store_b32 v0, v1
; %bb.17:                               ;   in Loop: Header=BB204_15 Depth=1
	s_and_not1_saveexec_b32 s2, s1
	s_cbranch_execz .LBB204_14
; %bb.18:                               ;   in Loop: Header=BB204_15 Depth=1
	s_clause 0x1
	scratch_load_b64 v[0:1], off, s32 offset:196
	scratch_store_b32 off, v6, s32 offset:436
	v_mov_b64_e32 v[118:119], 0
	s_mov_b32 s14, exec_lo
	s_wait_loadcnt 0x0
	flat_load_b32 v0, v[0:1]
	s_clause 0x1
	scratch_load_b64 v[2:3], off, s32 offset:416
	scratch_load_b64 v[4:5], off, s32 offset:468
	s_wait_loadcnt_dscnt 0x0
	v_mad_nc_i64_i32 v[78:79], v0, v2, v[4:5]
	flat_load_b32 v0, v[78:79]
	scratch_load_b64 v[2:3], off, s32 offset:456 ; 8-byte Folded Reload
	s_wait_loadcnt_dscnt 0x100
	v_and_b32_e32 v1, 0xff, v0
	s_wait_loadcnt 0x0
	flat_load_b32 v106, v[2:3]
	s_wait_xcnt 0x0
	v_mov_b64_e32 v[2:3], 0
	scratch_store_b64 off, v[2:3], s32 offset:224 ; 8-byte Folded Spill
	s_wait_xcnt 0x0
	v_cmpx_ne_u16_e32 0, v1
	s_cbranch_execz .LBB204_26
; %bb.19:                               ;   in Loop: Header=BB204_15 Depth=1
	v_mov_b64_e32 v[2:3], 0x80000000
	s_mov_b32 s15, exec_lo
	scratch_store_b64 off, v[2:3], s32 offset:224 ; 8-byte Folded Spill
	s_wait_xcnt 0x0
	v_cmpx_ne_u16_e32 0x80, v1
	s_cbranch_execz .LBB204_25
; %bb.20:                               ;   in Loop: Header=BB204_15 Depth=1
	v_mov_b64_e32 v[4:5], 0x7f800001
	v_and_b32_e32 v2, 0x7f, v0
	s_mov_b32 s16, exec_lo
	scratch_store_b64 off, v[4:5], s32 offset:224 ; 8-byte Folded Spill
	s_wait_xcnt 0x0
	v_cmpx_ne_u32_e32 0x7f, v2
	s_cbranch_execz .LBB204_24
; %bb.21:                               ;   in Loop: Header=BB204_15 Depth=1
	v_dual_lshrrev_b32 v1, 3, v2 :: v_dual_bitop2_b32 v24, 7, v0 bitop3:0x40
	s_mov_b32 s17, exec_lo
	v_cmpx_gt_u32_e32 8, v2
; %bb.22:                               ;   in Loop: Header=BB204_15 Depth=1
	s_delay_alu instid0(VALU_DEP_2) | instskip(NEXT) | instid1(VALU_DEP_1)
	v_clz_i32_u32_e32 v1, v24
	v_min_u32_e32 v1, 32, v1
	s_delay_alu instid0(VALU_DEP_1) | instskip(NEXT) | instid1(VALU_DEP_1)
	v_subrev_nc_u32_e32 v2, 28, v1
	v_lshlrev_b64_e32 v[2:3], v2, v[24:25]
	s_delay_alu instid0(VALU_DEP_1)
	v_dual_sub_nc_u32 v1, 29, v1 :: v_dual_bitop2_b32 v24, 7, v2 bitop3:0x40
; %bb.23:                               ;   in Loop: Header=BB204_15 Depth=1
	s_or_b32 exec_lo, exec_lo, s17
	v_lshlrev_b32_e32 v2, 24, v0
	s_delay_alu instid0(VALU_DEP_2) | instskip(NEXT) | instid1(VALU_DEP_3)
	v_lshlrev_b32_e32 v3, 20, v24
	v_lshl_add_u32 v1, v1, 23, 0x3c000000
	s_delay_alu instid0(VALU_DEP_3) | instskip(NEXT) | instid1(VALU_DEP_1)
	v_and_b32_e32 v2, 0x80000000, v2
	v_or3_b32 v24, v3, v2, v1
	scratch_store_b64 off, v[24:25], s32 offset:224 ; 8-byte Folded Spill
.LBB204_24:                             ;   in Loop: Header=BB204_15 Depth=1
	s_wait_xcnt 0x0
	s_or_b32 exec_lo, exec_lo, s16
.LBB204_25:                             ;   in Loop: Header=BB204_15 Depth=1
	s_delay_alu instid0(SALU_CYCLE_1)
	s_or_b32 exec_lo, exec_lo, s15
.LBB204_26:                             ;   in Loop: Header=BB204_15 Depth=1
	s_delay_alu instid0(SALU_CYCLE_1) | instskip(SKIP_2) | instid1(VALU_DEP_1)
	s_or_b32 exec_lo, exec_lo, s14
	v_lshrrev_b16 v1, 8, v0
	s_mov_b32 s14, exec_lo
	v_cmpx_ne_u16_e32 0, v1
	s_cbranch_execz .LBB204_34
; %bb.27:                               ;   in Loop: Header=BB204_15 Depth=1
	v_mov_b64_e32 v[118:119], 0x8000000000000000
	s_mov_b32 s15, exec_lo
	v_cmpx_ne_u16_e32 0x80, v1
	s_cbranch_execz .LBB204_33
; %bb.28:                               ;   in Loop: Header=BB204_15 Depth=1
	v_and_b32_e32 v1, 0xffff, v1
	v_mov_b64_e32 v[118:119], 0x7f80000100000000
	s_mov_b32 s16, exec_lo
	s_delay_alu instid0(VALU_DEP_2) | instskip(NEXT) | instid1(VALU_DEP_1)
	v_and_b32_e32 v2, 0x7f, v1
	v_cmpx_ne_u32_e32 0x7f, v2
	s_cbranch_execz .LBB204_32
; %bb.29:                               ;   in Loop: Header=BB204_15 Depth=1
	v_dual_lshrrev_b32 v1, 3, v2 :: v_dual_bitop2_b32 v24, 7, v1 bitop3:0x40
	s_mov_b32 s17, exec_lo
	v_cmpx_gt_u32_e32 8, v2
; %bb.30:                               ;   in Loop: Header=BB204_15 Depth=1
	s_delay_alu instid0(VALU_DEP_2) | instskip(NEXT) | instid1(VALU_DEP_1)
	v_clz_i32_u32_e32 v1, v24
	v_min_u32_e32 v1, 32, v1
	s_delay_alu instid0(VALU_DEP_1) | instskip(NEXT) | instid1(VALU_DEP_1)
	v_subrev_nc_u32_e32 v2, 28, v1
	v_lshlrev_b64_e32 v[2:3], v2, v[24:25]
	s_delay_alu instid0(VALU_DEP_1)
	v_dual_sub_nc_u32 v1, 29, v1 :: v_dual_bitop2_b32 v24, 7, v2 bitop3:0x40
; %bb.31:                               ;   in Loop: Header=BB204_15 Depth=1
	s_or_b32 exec_lo, exec_lo, s17
	v_dual_lshlrev_b32 v2, 16, v0 :: v_dual_mov_b32 v118, v25
	s_delay_alu instid0(VALU_DEP_2) | instskip(NEXT) | instid1(VALU_DEP_3)
	v_lshlrev_b32_e32 v3, 20, v24
	v_lshl_add_u32 v1, v1, 23, 0x3c000000
	s_delay_alu instid0(VALU_DEP_3) | instskip(NEXT) | instid1(VALU_DEP_1)
	v_and_b32_e32 v2, 0x80000000, v2
	v_or3_b32 v119, v3, v2, v1
.LBB204_32:                             ;   in Loop: Header=BB204_15 Depth=1
	s_or_b32 exec_lo, exec_lo, s16
.LBB204_33:                             ;   in Loop: Header=BB204_15 Depth=1
	s_delay_alu instid0(SALU_CYCLE_1)
	s_or_b32 exec_lo, exec_lo, s15
.LBB204_34:                             ;   in Loop: Header=BB204_15 Depth=1
	s_delay_alu instid0(SALU_CYCLE_1) | instskip(SKIP_3) | instid1(VALU_DEP_1)
	s_or_b32 exec_lo, exec_lo, s14
	v_mov_b64_e32 v[4:5], 0
	v_lshrrev_b32_e32 v1, 16, v0
	s_mov_b32 s14, exec_lo
	v_and_b32_e32 v2, 0xff, v1
	scratch_store_b64 off, v[4:5], s32 offset:232 ; 8-byte Folded Spill
	s_wait_xcnt 0x0
	v_mov_b64_e32 v[4:5], 0
	scratch_store_b64 off, v[4:5], s32 offset:240 ; 8-byte Folded Spill
	s_wait_xcnt 0x0
	v_cmpx_ne_u16_e32 0, v2
	s_cbranch_execz .LBB204_42
; %bb.35:                               ;   in Loop: Header=BB204_15 Depth=1
	v_cmp_ne_u16_e64 s1, 0x80, v2
	v_mov_b64_e32 v[2:3], 0x80000000
	scratch_store_b64 off, v[2:3], s32 offset:240 ; 8-byte Folded Spill
	s_wait_xcnt 0x0
	s_and_saveexec_b32 s15, s1
	s_cbranch_execz .LBB204_41
; %bb.36:                               ;   in Loop: Header=BB204_15 Depth=1
	v_mov_b64_e32 v[4:5], 0x7f800001
	v_bfe_u32 v3, v0, 16, 7
	s_mov_b32 s16, exec_lo
	scratch_store_b64 off, v[4:5], s32 offset:240 ; 8-byte Folded Spill
	s_wait_xcnt 0x0
	v_cmpx_ne_u32_e32 0x7f, v3
	s_cbranch_execz .LBB204_40
; %bb.37:                               ;   in Loop: Header=BB204_15 Depth=1
	v_dual_lshrrev_b32 v2, 3, v3 :: v_dual_bitop2_b32 v24, 7, v1 bitop3:0x40
	s_mov_b32 s17, exec_lo
	v_cmpx_gt_u32_e32 8, v3
; %bb.38:                               ;   in Loop: Header=BB204_15 Depth=1
	s_delay_alu instid0(VALU_DEP_2) | instskip(NEXT) | instid1(VALU_DEP_1)
	v_clz_i32_u32_e32 v2, v24
	v_min_u32_e32 v2, 32, v2
	s_delay_alu instid0(VALU_DEP_1) | instskip(NEXT) | instid1(VALU_DEP_1)
	v_subrev_nc_u32_e32 v3, 28, v2
	v_lshlrev_b64_e32 v[4:5], v3, v[24:25]
	s_delay_alu instid0(VALU_DEP_1)
	v_dual_sub_nc_u32 v2, 29, v2 :: v_dual_bitop2_b32 v24, 7, v4 bitop3:0x40
; %bb.39:                               ;   in Loop: Header=BB204_15 Depth=1
	s_or_b32 exec_lo, exec_lo, s17
	s_delay_alu instid0(VALU_DEP_1) | instskip(NEXT) | instid1(VALU_DEP_2)
	v_dual_lshlrev_b32 v1, 24, v1 :: v_dual_lshlrev_b32 v3, 20, v24
	v_lshl_add_u32 v2, v2, 23, 0x3c000000
	s_delay_alu instid0(VALU_DEP_2) | instskip(NEXT) | instid1(VALU_DEP_1)
	v_and_b32_e32 v1, 0x80000000, v1
	v_or3_b32 v24, v3, v1, v2
	scratch_store_b64 off, v[24:25], s32 offset:240 ; 8-byte Folded Spill
.LBB204_40:                             ;   in Loop: Header=BB204_15 Depth=1
	s_wait_xcnt 0x0
	s_or_b32 exec_lo, exec_lo, s16
.LBB204_41:                             ;   in Loop: Header=BB204_15 Depth=1
	s_delay_alu instid0(SALU_CYCLE_1)
	s_or_b32 exec_lo, exec_lo, s15
.LBB204_42:                             ;   in Loop: Header=BB204_15 Depth=1
	s_delay_alu instid0(SALU_CYCLE_1) | instskip(NEXT) | instid1(SALU_CYCLE_1)
	s_or_b32 exec_lo, exec_lo, s14
	s_mov_b32 s14, exec_lo
	v_cmpx_lt_u32_e32 0xffffff, v0
	s_cbranch_execz .LBB204_50
; %bb.43:                               ;   in Loop: Header=BB204_15 Depth=1
	v_mov_b64_e32 v[2:3], 0x8000000000000000
	v_lshrrev_b32_e32 v1, 24, v0
	s_mov_b32 s15, exec_lo
	scratch_store_b64 off, v[2:3], s32 offset:232 ; 8-byte Folded Spill
	s_wait_xcnt 0x0
	v_cmpx_ne_u32_e32 0x80, v1
	s_cbranch_execz .LBB204_49
; %bb.44:                               ;   in Loop: Header=BB204_15 Depth=1
	v_mov_b64_e32 v[4:5], 0x7f80000100000000
	v_bfe_u32 v2, v0, 24, 7
	s_mov_b32 s16, exec_lo
	scratch_store_b64 off, v[4:5], s32 offset:232 ; 8-byte Folded Spill
	s_wait_xcnt 0x0
	v_cmpx_ne_u32_e32 0x7f, v2
	s_cbranch_execz .LBB204_48
; %bb.45:                               ;   in Loop: Header=BB204_15 Depth=1
	v_dual_lshrrev_b32 v0, 3, v2 :: v_dual_bitop2_b32 v24, 7, v1 bitop3:0x40
	s_mov_b32 s17, exec_lo
	v_cmpx_gt_u32_e32 8, v2
; %bb.46:                               ;   in Loop: Header=BB204_15 Depth=1
	s_delay_alu instid0(VALU_DEP_2) | instskip(NEXT) | instid1(VALU_DEP_1)
	v_clz_i32_u32_e32 v0, v24
	v_min_u32_e32 v0, 32, v0
	s_delay_alu instid0(VALU_DEP_1) | instskip(NEXT) | instid1(VALU_DEP_1)
	v_subrev_nc_u32_e32 v2, 28, v0
	v_lshlrev_b64_e32 v[2:3], v2, v[24:25]
	s_delay_alu instid0(VALU_DEP_1)
	v_dual_sub_nc_u32 v0, 29, v0 :: v_dual_bitop2_b32 v24, 7, v2 bitop3:0x40
; %bb.47:                               ;   in Loop: Header=BB204_15 Depth=1
	s_or_b32 exec_lo, exec_lo, s17
	s_delay_alu instid0(VALU_DEP_1) | instskip(NEXT) | instid1(VALU_DEP_2)
	v_dual_lshlrev_b32 v1, 24, v1 :: v_dual_lshlrev_b32 v2, 20, v24
	v_lshl_add_u32 v0, v0, 23, 0x3c000000
	s_delay_alu instid0(VALU_DEP_2) | instskip(NEXT) | instid1(VALU_DEP_1)
	v_and_b32_e32 v1, 0x80000000, v1
	v_or3_b32 v1, v2, v1, v0
	v_mov_b32_e32 v0, v25
	scratch_store_b64 off, v[0:1], s32 offset:232 ; 8-byte Folded Spill
.LBB204_48:                             ;   in Loop: Header=BB204_15 Depth=1
	s_wait_xcnt 0x0
	s_or_b32 exec_lo, exec_lo, s16
.LBB204_49:                             ;   in Loop: Header=BB204_15 Depth=1
	s_delay_alu instid0(SALU_CYCLE_1)
	s_or_b32 exec_lo, exec_lo, s15
.LBB204_50:                             ;   in Loop: Header=BB204_15 Depth=1
	s_delay_alu instid0(SALU_CYCLE_1)
	s_or_b32 exec_lo, exec_lo, s14
	flat_load_b32 v0, v[78:79] offset:4
	v_mov_b64_e32 v[2:3], 0
	s_mov_b32 s14, exec_lo
	scratch_store_b64 off, v[2:3], s32 offset:248 ; 8-byte Folded Spill
	s_wait_xcnt 0x0
	v_mov_b64_e32 v[2:3], 0
	scratch_store_b64 off, v[2:3], s32 offset:256 ; 8-byte Folded Spill
	s_wait_loadcnt_dscnt 0x0
	v_and_b32_e32 v1, 0xff, v0
	s_wait_xcnt 0x0
	s_delay_alu instid0(VALU_DEP_1)
	v_cmpx_ne_u16_e32 0, v1
	s_cbranch_execz .LBB204_58
; %bb.51:                               ;   in Loop: Header=BB204_15 Depth=1
	v_mov_b64_e32 v[2:3], 0x80000000
	s_mov_b32 s15, exec_lo
	scratch_store_b64 off, v[2:3], s32 offset:256 ; 8-byte Folded Spill
	s_wait_xcnt 0x0
	v_cmpx_ne_u16_e32 0x80, v1
	s_cbranch_execz .LBB204_57
; %bb.52:                               ;   in Loop: Header=BB204_15 Depth=1
	v_mov_b64_e32 v[4:5], 0x7f800001
	v_and_b32_e32 v2, 0x7f, v0
	s_mov_b32 s16, exec_lo
	scratch_store_b64 off, v[4:5], s32 offset:256 ; 8-byte Folded Spill
	s_wait_xcnt 0x0
	v_cmpx_ne_u32_e32 0x7f, v2
	s_cbranch_execz .LBB204_56
; %bb.53:                               ;   in Loop: Header=BB204_15 Depth=1
	v_dual_lshrrev_b32 v1, 3, v2 :: v_dual_bitop2_b32 v24, 7, v0 bitop3:0x40
	s_mov_b32 s17, exec_lo
	v_cmpx_gt_u32_e32 8, v2
; %bb.54:                               ;   in Loop: Header=BB204_15 Depth=1
	s_delay_alu instid0(VALU_DEP_2) | instskip(NEXT) | instid1(VALU_DEP_1)
	v_clz_i32_u32_e32 v1, v24
	v_min_u32_e32 v1, 32, v1
	s_delay_alu instid0(VALU_DEP_1) | instskip(NEXT) | instid1(VALU_DEP_1)
	v_subrev_nc_u32_e32 v2, 28, v1
	v_lshlrev_b64_e32 v[2:3], v2, v[24:25]
	s_delay_alu instid0(VALU_DEP_1)
	v_dual_sub_nc_u32 v1, 29, v1 :: v_dual_bitop2_b32 v24, 7, v2 bitop3:0x40
; %bb.55:                               ;   in Loop: Header=BB204_15 Depth=1
	s_or_b32 exec_lo, exec_lo, s17
	v_lshlrev_b32_e32 v2, 24, v0
	s_delay_alu instid0(VALU_DEP_2) | instskip(NEXT) | instid1(VALU_DEP_3)
	v_lshlrev_b32_e32 v3, 20, v24
	v_lshl_add_u32 v1, v1, 23, 0x3c000000
	s_delay_alu instid0(VALU_DEP_3) | instskip(NEXT) | instid1(VALU_DEP_1)
	v_and_b32_e32 v2, 0x80000000, v2
	v_or3_b32 v24, v3, v2, v1
	scratch_store_b64 off, v[24:25], s32 offset:256 ; 8-byte Folded Spill
.LBB204_56:                             ;   in Loop: Header=BB204_15 Depth=1
	s_wait_xcnt 0x0
	s_or_b32 exec_lo, exec_lo, s16
.LBB204_57:                             ;   in Loop: Header=BB204_15 Depth=1
	s_delay_alu instid0(SALU_CYCLE_1)
	s_or_b32 exec_lo, exec_lo, s15
.LBB204_58:                             ;   in Loop: Header=BB204_15 Depth=1
	s_delay_alu instid0(SALU_CYCLE_1) | instskip(SKIP_2) | instid1(VALU_DEP_1)
	s_or_b32 exec_lo, exec_lo, s14
	v_lshrrev_b16 v1, 8, v0
	s_mov_b32 s14, exec_lo
	v_cmpx_ne_u16_e32 0, v1
	s_cbranch_execz .LBB204_66
; %bb.59:                               ;   in Loop: Header=BB204_15 Depth=1
	v_mov_b64_e32 v[2:3], 0x8000000000000000
	s_mov_b32 s15, exec_lo
	scratch_store_b64 off, v[2:3], s32 offset:248 ; 8-byte Folded Spill
	s_wait_xcnt 0x0
	v_cmpx_ne_u16_e32 0x80, v1
	s_cbranch_execz .LBB204_65
; %bb.60:                               ;   in Loop: Header=BB204_15 Depth=1
	v_and_b32_e32 v1, 0xffff, v1
	v_mov_b64_e32 v[4:5], 0x7f80000100000000
	s_mov_b32 s16, exec_lo
	s_delay_alu instid0(VALU_DEP_2)
	v_and_b32_e32 v2, 0x7f, v1
	scratch_store_b64 off, v[4:5], s32 offset:248 ; 8-byte Folded Spill
	s_wait_xcnt 0x0
	v_cmpx_ne_u32_e32 0x7f, v2
	s_cbranch_execz .LBB204_64
; %bb.61:                               ;   in Loop: Header=BB204_15 Depth=1
	v_dual_lshrrev_b32 v1, 3, v2 :: v_dual_bitop2_b32 v24, 7, v1 bitop3:0x40
	s_mov_b32 s17, exec_lo
	v_cmpx_gt_u32_e32 8, v2
; %bb.62:                               ;   in Loop: Header=BB204_15 Depth=1
	s_delay_alu instid0(VALU_DEP_2) | instskip(NEXT) | instid1(VALU_DEP_1)
	v_clz_i32_u32_e32 v1, v24
	v_min_u32_e32 v1, 32, v1
	s_delay_alu instid0(VALU_DEP_1) | instskip(NEXT) | instid1(VALU_DEP_1)
	v_subrev_nc_u32_e32 v2, 28, v1
	v_lshlrev_b64_e32 v[2:3], v2, v[24:25]
	s_delay_alu instid0(VALU_DEP_1)
	v_dual_sub_nc_u32 v1, 29, v1 :: v_dual_bitop2_b32 v24, 7, v2 bitop3:0x40
; %bb.63:                               ;   in Loop: Header=BB204_15 Depth=1
	s_or_b32 exec_lo, exec_lo, s17
	v_lshlrev_b32_e32 v2, 16, v0
	s_delay_alu instid0(VALU_DEP_2) | instskip(NEXT) | instid1(VALU_DEP_3)
	v_lshlrev_b32_e32 v3, 20, v24
	v_lshl_add_u32 v1, v1, 23, 0x3c000000
	s_delay_alu instid0(VALU_DEP_3) | instskip(NEXT) | instid1(VALU_DEP_1)
	v_and_b32_e32 v2, 0x80000000, v2
	v_or3_b32 v3, v3, v2, v1
	v_mov_b32_e32 v2, v25
	scratch_store_b64 off, v[2:3], s32 offset:248 ; 8-byte Folded Spill
.LBB204_64:                             ;   in Loop: Header=BB204_15 Depth=1
	s_wait_xcnt 0x0
	s_or_b32 exec_lo, exec_lo, s16
.LBB204_65:                             ;   in Loop: Header=BB204_15 Depth=1
	s_delay_alu instid0(SALU_CYCLE_1)
	s_or_b32 exec_lo, exec_lo, s15
.LBB204_66:                             ;   in Loop: Header=BB204_15 Depth=1
	s_delay_alu instid0(SALU_CYCLE_1) | instskip(SKIP_3) | instid1(VALU_DEP_1)
	s_or_b32 exec_lo, exec_lo, s14
	v_mov_b64_e32 v[4:5], 0
	v_lshrrev_b32_e32 v1, 16, v0
	s_mov_b32 s14, exec_lo
	v_and_b32_e32 v2, 0xff, v1
	scratch_store_b64 off, v[4:5], s32 offset:264 ; 8-byte Folded Spill
	s_wait_xcnt 0x0
	v_mov_b64_e32 v[4:5], 0
	scratch_store_b64 off, v[4:5], s32 offset:272 ; 8-byte Folded Spill
	s_wait_xcnt 0x0
	v_cmpx_ne_u16_e32 0, v2
	s_cbranch_execz .LBB204_74
; %bb.67:                               ;   in Loop: Header=BB204_15 Depth=1
	v_cmp_ne_u16_e64 s1, 0x80, v2
	v_mov_b64_e32 v[2:3], 0x80000000
	scratch_store_b64 off, v[2:3], s32 offset:272 ; 8-byte Folded Spill
	s_wait_xcnt 0x0
	s_and_saveexec_b32 s15, s1
	s_cbranch_execz .LBB204_73
; %bb.68:                               ;   in Loop: Header=BB204_15 Depth=1
	v_mov_b64_e32 v[4:5], 0x7f800001
	v_bfe_u32 v3, v0, 16, 7
	s_mov_b32 s16, exec_lo
	scratch_store_b64 off, v[4:5], s32 offset:272 ; 8-byte Folded Spill
	s_wait_xcnt 0x0
	v_cmpx_ne_u32_e32 0x7f, v3
	s_cbranch_execz .LBB204_72
; %bb.69:                               ;   in Loop: Header=BB204_15 Depth=1
	v_dual_lshrrev_b32 v2, 3, v3 :: v_dual_bitop2_b32 v24, 7, v1 bitop3:0x40
	s_mov_b32 s17, exec_lo
	v_cmpx_gt_u32_e32 8, v3
; %bb.70:                               ;   in Loop: Header=BB204_15 Depth=1
	s_delay_alu instid0(VALU_DEP_2) | instskip(NEXT) | instid1(VALU_DEP_1)
	v_clz_i32_u32_e32 v2, v24
	v_min_u32_e32 v2, 32, v2
	s_delay_alu instid0(VALU_DEP_1) | instskip(NEXT) | instid1(VALU_DEP_1)
	v_subrev_nc_u32_e32 v3, 28, v2
	v_lshlrev_b64_e32 v[4:5], v3, v[24:25]
	s_delay_alu instid0(VALU_DEP_1)
	v_dual_sub_nc_u32 v2, 29, v2 :: v_dual_bitop2_b32 v24, 7, v4 bitop3:0x40
; %bb.71:                               ;   in Loop: Header=BB204_15 Depth=1
	s_or_b32 exec_lo, exec_lo, s17
	s_delay_alu instid0(VALU_DEP_1) | instskip(NEXT) | instid1(VALU_DEP_2)
	v_dual_lshlrev_b32 v1, 24, v1 :: v_dual_lshlrev_b32 v3, 20, v24
	v_lshl_add_u32 v2, v2, 23, 0x3c000000
	s_delay_alu instid0(VALU_DEP_2) | instskip(NEXT) | instid1(VALU_DEP_1)
	v_and_b32_e32 v1, 0x80000000, v1
	v_or3_b32 v24, v3, v1, v2
	scratch_store_b64 off, v[24:25], s32 offset:272 ; 8-byte Folded Spill
.LBB204_72:                             ;   in Loop: Header=BB204_15 Depth=1
	s_wait_xcnt 0x0
	s_or_b32 exec_lo, exec_lo, s16
.LBB204_73:                             ;   in Loop: Header=BB204_15 Depth=1
	s_delay_alu instid0(SALU_CYCLE_1)
	s_or_b32 exec_lo, exec_lo, s15
.LBB204_74:                             ;   in Loop: Header=BB204_15 Depth=1
	s_delay_alu instid0(SALU_CYCLE_1) | instskip(NEXT) | instid1(SALU_CYCLE_1)
	s_or_b32 exec_lo, exec_lo, s14
	s_mov_b32 s14, exec_lo
	v_cmpx_lt_u32_e32 0xffffff, v0
	s_cbranch_execz .LBB204_82
; %bb.75:                               ;   in Loop: Header=BB204_15 Depth=1
	v_mov_b64_e32 v[2:3], 0x8000000000000000
	v_lshrrev_b32_e32 v1, 24, v0
	s_mov_b32 s15, exec_lo
	scratch_store_b64 off, v[2:3], s32 offset:264 ; 8-byte Folded Spill
	s_wait_xcnt 0x0
	v_cmpx_ne_u32_e32 0x80, v1
	s_cbranch_execz .LBB204_81
; %bb.76:                               ;   in Loop: Header=BB204_15 Depth=1
	v_mov_b64_e32 v[4:5], 0x7f80000100000000
	v_bfe_u32 v2, v0, 24, 7
	s_mov_b32 s16, exec_lo
	scratch_store_b64 off, v[4:5], s32 offset:264 ; 8-byte Folded Spill
	s_wait_xcnt 0x0
	v_cmpx_ne_u32_e32 0x7f, v2
	s_cbranch_execz .LBB204_80
; %bb.77:                               ;   in Loop: Header=BB204_15 Depth=1
	v_dual_lshrrev_b32 v0, 3, v2 :: v_dual_bitop2_b32 v24, 7, v1 bitop3:0x40
	s_mov_b32 s17, exec_lo
	v_cmpx_gt_u32_e32 8, v2
; %bb.78:                               ;   in Loop: Header=BB204_15 Depth=1
	s_delay_alu instid0(VALU_DEP_2) | instskip(NEXT) | instid1(VALU_DEP_1)
	v_clz_i32_u32_e32 v0, v24
	v_min_u32_e32 v0, 32, v0
	s_delay_alu instid0(VALU_DEP_1) | instskip(NEXT) | instid1(VALU_DEP_1)
	v_subrev_nc_u32_e32 v2, 28, v0
	v_lshlrev_b64_e32 v[2:3], v2, v[24:25]
	s_delay_alu instid0(VALU_DEP_1)
	v_dual_sub_nc_u32 v0, 29, v0 :: v_dual_bitop2_b32 v24, 7, v2 bitop3:0x40
; %bb.79:                               ;   in Loop: Header=BB204_15 Depth=1
	s_or_b32 exec_lo, exec_lo, s17
	s_delay_alu instid0(VALU_DEP_1) | instskip(NEXT) | instid1(VALU_DEP_2)
	v_dual_lshlrev_b32 v1, 24, v1 :: v_dual_lshlrev_b32 v2, 20, v24
	v_lshl_add_u32 v0, v0, 23, 0x3c000000
	s_delay_alu instid0(VALU_DEP_2) | instskip(NEXT) | instid1(VALU_DEP_1)
	v_and_b32_e32 v1, 0x80000000, v1
	v_or3_b32 v1, v2, v1, v0
	v_mov_b32_e32 v0, v25
	scratch_store_b64 off, v[0:1], s32 offset:264 ; 8-byte Folded Spill
.LBB204_80:                             ;   in Loop: Header=BB204_15 Depth=1
	s_wait_xcnt 0x0
	s_or_b32 exec_lo, exec_lo, s16
.LBB204_81:                             ;   in Loop: Header=BB204_15 Depth=1
	s_delay_alu instid0(SALU_CYCLE_1)
	s_or_b32 exec_lo, exec_lo, s15
.LBB204_82:                             ;   in Loop: Header=BB204_15 Depth=1
	s_delay_alu instid0(SALU_CYCLE_1)
	s_or_b32 exec_lo, exec_lo, s14
	flat_load_b32 v0, v[78:79] offset:8
	v_mov_b64_e32 v[2:3], 0
	s_mov_b32 s14, exec_lo
	scratch_store_b64 off, v[2:3], s32 offset:280 ; 8-byte Folded Spill
	s_wait_xcnt 0x0
	v_mov_b64_e32 v[2:3], 0
	scratch_store_b64 off, v[2:3], s32 offset:288 ; 8-byte Folded Spill
	s_wait_loadcnt_dscnt 0x0
	v_and_b32_e32 v1, 0xff, v0
	s_wait_xcnt 0x0
	s_delay_alu instid0(VALU_DEP_1)
	v_cmpx_ne_u16_e32 0, v1
	s_cbranch_execz .LBB204_90
; %bb.83:                               ;   in Loop: Header=BB204_15 Depth=1
	v_mov_b64_e32 v[2:3], 0x80000000
	s_mov_b32 s15, exec_lo
	scratch_store_b64 off, v[2:3], s32 offset:288 ; 8-byte Folded Spill
	s_wait_xcnt 0x0
	v_cmpx_ne_u16_e32 0x80, v1
	s_cbranch_execz .LBB204_89
; %bb.84:                               ;   in Loop: Header=BB204_15 Depth=1
	v_mov_b64_e32 v[4:5], 0x7f800001
	v_and_b32_e32 v2, 0x7f, v0
	s_mov_b32 s16, exec_lo
	scratch_store_b64 off, v[4:5], s32 offset:288 ; 8-byte Folded Spill
	s_wait_xcnt 0x0
	v_cmpx_ne_u32_e32 0x7f, v2
	s_cbranch_execz .LBB204_88
; %bb.85:                               ;   in Loop: Header=BB204_15 Depth=1
	v_dual_lshrrev_b32 v1, 3, v2 :: v_dual_bitop2_b32 v24, 7, v0 bitop3:0x40
	s_mov_b32 s17, exec_lo
	v_cmpx_gt_u32_e32 8, v2
; %bb.86:                               ;   in Loop: Header=BB204_15 Depth=1
	s_delay_alu instid0(VALU_DEP_2) | instskip(NEXT) | instid1(VALU_DEP_1)
	v_clz_i32_u32_e32 v1, v24
	v_min_u32_e32 v1, 32, v1
	s_delay_alu instid0(VALU_DEP_1) | instskip(NEXT) | instid1(VALU_DEP_1)
	v_subrev_nc_u32_e32 v2, 28, v1
	v_lshlrev_b64_e32 v[2:3], v2, v[24:25]
	s_delay_alu instid0(VALU_DEP_1)
	v_dual_sub_nc_u32 v1, 29, v1 :: v_dual_bitop2_b32 v24, 7, v2 bitop3:0x40
; %bb.87:                               ;   in Loop: Header=BB204_15 Depth=1
	s_or_b32 exec_lo, exec_lo, s17
	v_lshlrev_b32_e32 v2, 24, v0
	s_delay_alu instid0(VALU_DEP_2) | instskip(NEXT) | instid1(VALU_DEP_3)
	v_lshlrev_b32_e32 v3, 20, v24
	v_lshl_add_u32 v1, v1, 23, 0x3c000000
	s_delay_alu instid0(VALU_DEP_3) | instskip(NEXT) | instid1(VALU_DEP_1)
	v_and_b32_e32 v2, 0x80000000, v2
	v_or3_b32 v24, v3, v2, v1
	scratch_store_b64 off, v[24:25], s32 offset:288 ; 8-byte Folded Spill
.LBB204_88:                             ;   in Loop: Header=BB204_15 Depth=1
	s_wait_xcnt 0x0
	s_or_b32 exec_lo, exec_lo, s16
.LBB204_89:                             ;   in Loop: Header=BB204_15 Depth=1
	s_delay_alu instid0(SALU_CYCLE_1)
	s_or_b32 exec_lo, exec_lo, s15
.LBB204_90:                             ;   in Loop: Header=BB204_15 Depth=1
	s_delay_alu instid0(SALU_CYCLE_1) | instskip(SKIP_2) | instid1(VALU_DEP_1)
	s_or_b32 exec_lo, exec_lo, s14
	v_lshrrev_b16 v1, 8, v0
	s_mov_b32 s14, exec_lo
	v_cmpx_ne_u16_e32 0, v1
	s_cbranch_execz .LBB204_98
; %bb.91:                               ;   in Loop: Header=BB204_15 Depth=1
	v_mov_b64_e32 v[2:3], 0x8000000000000000
	s_mov_b32 s15, exec_lo
	scratch_store_b64 off, v[2:3], s32 offset:280 ; 8-byte Folded Spill
	s_wait_xcnt 0x0
	v_cmpx_ne_u16_e32 0x80, v1
	s_cbranch_execz .LBB204_97
; %bb.92:                               ;   in Loop: Header=BB204_15 Depth=1
	v_and_b32_e32 v1, 0xffff, v1
	v_mov_b64_e32 v[4:5], 0x7f80000100000000
	s_mov_b32 s16, exec_lo
	s_delay_alu instid0(VALU_DEP_2)
	v_and_b32_e32 v2, 0x7f, v1
	scratch_store_b64 off, v[4:5], s32 offset:280 ; 8-byte Folded Spill
	s_wait_xcnt 0x0
	v_cmpx_ne_u32_e32 0x7f, v2
	s_cbranch_execz .LBB204_96
; %bb.93:                               ;   in Loop: Header=BB204_15 Depth=1
	v_dual_lshrrev_b32 v1, 3, v2 :: v_dual_bitop2_b32 v24, 7, v1 bitop3:0x40
	s_mov_b32 s17, exec_lo
	v_cmpx_gt_u32_e32 8, v2
; %bb.94:                               ;   in Loop: Header=BB204_15 Depth=1
	s_delay_alu instid0(VALU_DEP_2) | instskip(NEXT) | instid1(VALU_DEP_1)
	v_clz_i32_u32_e32 v1, v24
	v_min_u32_e32 v1, 32, v1
	s_delay_alu instid0(VALU_DEP_1) | instskip(NEXT) | instid1(VALU_DEP_1)
	v_subrev_nc_u32_e32 v2, 28, v1
	v_lshlrev_b64_e32 v[2:3], v2, v[24:25]
	s_delay_alu instid0(VALU_DEP_1)
	v_dual_sub_nc_u32 v1, 29, v1 :: v_dual_bitop2_b32 v24, 7, v2 bitop3:0x40
; %bb.95:                               ;   in Loop: Header=BB204_15 Depth=1
	s_or_b32 exec_lo, exec_lo, s17
	v_lshlrev_b32_e32 v2, 16, v0
	s_delay_alu instid0(VALU_DEP_2) | instskip(NEXT) | instid1(VALU_DEP_3)
	v_lshlrev_b32_e32 v3, 20, v24
	v_lshl_add_u32 v1, v1, 23, 0x3c000000
	s_delay_alu instid0(VALU_DEP_3) | instskip(NEXT) | instid1(VALU_DEP_1)
	v_and_b32_e32 v2, 0x80000000, v2
	v_or3_b32 v3, v3, v2, v1
	v_mov_b32_e32 v2, v25
	scratch_store_b64 off, v[2:3], s32 offset:280 ; 8-byte Folded Spill
.LBB204_96:                             ;   in Loop: Header=BB204_15 Depth=1
	s_wait_xcnt 0x0
	s_or_b32 exec_lo, exec_lo, s16
.LBB204_97:                             ;   in Loop: Header=BB204_15 Depth=1
	s_delay_alu instid0(SALU_CYCLE_1)
	s_or_b32 exec_lo, exec_lo, s15
.LBB204_98:                             ;   in Loop: Header=BB204_15 Depth=1
	s_delay_alu instid0(SALU_CYCLE_1) | instskip(SKIP_3) | instid1(VALU_DEP_1)
	s_or_b32 exec_lo, exec_lo, s14
	v_mov_b64_e32 v[4:5], 0
	v_lshrrev_b32_e32 v1, 16, v0
	s_mov_b32 s14, exec_lo
	v_and_b32_e32 v2, 0xff, v1
	scratch_store_b64 off, v[4:5], s32 offset:296 ; 8-byte Folded Spill
	s_wait_xcnt 0x0
	v_mov_b64_e32 v[4:5], 0
	scratch_store_b64 off, v[4:5], s32 offset:304 ; 8-byte Folded Spill
	s_wait_xcnt 0x0
	v_cmpx_ne_u16_e32 0, v2
	s_cbranch_execz .LBB204_106
; %bb.99:                               ;   in Loop: Header=BB204_15 Depth=1
	v_cmp_ne_u16_e64 s1, 0x80, v2
	v_mov_b64_e32 v[2:3], 0x80000000
	scratch_store_b64 off, v[2:3], s32 offset:304 ; 8-byte Folded Spill
	s_wait_xcnt 0x0
	s_and_saveexec_b32 s15, s1
	s_cbranch_execz .LBB204_105
; %bb.100:                              ;   in Loop: Header=BB204_15 Depth=1
	v_mov_b64_e32 v[4:5], 0x7f800001
	v_bfe_u32 v3, v0, 16, 7
	s_mov_b32 s16, exec_lo
	scratch_store_b64 off, v[4:5], s32 offset:304 ; 8-byte Folded Spill
	s_wait_xcnt 0x0
	v_cmpx_ne_u32_e32 0x7f, v3
	s_cbranch_execz .LBB204_104
; %bb.101:                              ;   in Loop: Header=BB204_15 Depth=1
	v_dual_lshrrev_b32 v2, 3, v3 :: v_dual_bitop2_b32 v24, 7, v1 bitop3:0x40
	s_mov_b32 s17, exec_lo
	v_cmpx_gt_u32_e32 8, v3
; %bb.102:                              ;   in Loop: Header=BB204_15 Depth=1
	s_delay_alu instid0(VALU_DEP_2) | instskip(NEXT) | instid1(VALU_DEP_1)
	v_clz_i32_u32_e32 v2, v24
	v_min_u32_e32 v2, 32, v2
	s_delay_alu instid0(VALU_DEP_1) | instskip(NEXT) | instid1(VALU_DEP_1)
	v_subrev_nc_u32_e32 v3, 28, v2
	v_lshlrev_b64_e32 v[4:5], v3, v[24:25]
	s_delay_alu instid0(VALU_DEP_1)
	v_dual_sub_nc_u32 v2, 29, v2 :: v_dual_bitop2_b32 v24, 7, v4 bitop3:0x40
; %bb.103:                              ;   in Loop: Header=BB204_15 Depth=1
	s_or_b32 exec_lo, exec_lo, s17
	s_delay_alu instid0(VALU_DEP_1) | instskip(NEXT) | instid1(VALU_DEP_2)
	v_dual_lshlrev_b32 v1, 24, v1 :: v_dual_lshlrev_b32 v3, 20, v24
	v_lshl_add_u32 v2, v2, 23, 0x3c000000
	s_delay_alu instid0(VALU_DEP_2) | instskip(NEXT) | instid1(VALU_DEP_1)
	v_and_b32_e32 v1, 0x80000000, v1
	v_or3_b32 v24, v3, v1, v2
	scratch_store_b64 off, v[24:25], s32 offset:304 ; 8-byte Folded Spill
.LBB204_104:                            ;   in Loop: Header=BB204_15 Depth=1
	s_wait_xcnt 0x0
	s_or_b32 exec_lo, exec_lo, s16
.LBB204_105:                            ;   in Loop: Header=BB204_15 Depth=1
	s_delay_alu instid0(SALU_CYCLE_1)
	s_or_b32 exec_lo, exec_lo, s15
.LBB204_106:                            ;   in Loop: Header=BB204_15 Depth=1
	s_delay_alu instid0(SALU_CYCLE_1) | instskip(NEXT) | instid1(SALU_CYCLE_1)
	s_or_b32 exec_lo, exec_lo, s14
	s_mov_b32 s14, exec_lo
	v_cmpx_lt_u32_e32 0xffffff, v0
	s_cbranch_execz .LBB204_114
; %bb.107:                              ;   in Loop: Header=BB204_15 Depth=1
	v_mov_b64_e32 v[2:3], 0x8000000000000000
	v_lshrrev_b32_e32 v1, 24, v0
	s_mov_b32 s15, exec_lo
	scratch_store_b64 off, v[2:3], s32 offset:296 ; 8-byte Folded Spill
	s_wait_xcnt 0x0
	v_cmpx_ne_u32_e32 0x80, v1
	s_cbranch_execz .LBB204_113
; %bb.108:                              ;   in Loop: Header=BB204_15 Depth=1
	v_mov_b64_e32 v[4:5], 0x7f80000100000000
	v_bfe_u32 v2, v0, 24, 7
	s_mov_b32 s16, exec_lo
	scratch_store_b64 off, v[4:5], s32 offset:296 ; 8-byte Folded Spill
	s_wait_xcnt 0x0
	v_cmpx_ne_u32_e32 0x7f, v2
	s_cbranch_execz .LBB204_112
; %bb.109:                              ;   in Loop: Header=BB204_15 Depth=1
	v_dual_lshrrev_b32 v0, 3, v2 :: v_dual_bitop2_b32 v24, 7, v1 bitop3:0x40
	s_mov_b32 s17, exec_lo
	v_cmpx_gt_u32_e32 8, v2
; %bb.110:                              ;   in Loop: Header=BB204_15 Depth=1
	s_delay_alu instid0(VALU_DEP_2) | instskip(NEXT) | instid1(VALU_DEP_1)
	v_clz_i32_u32_e32 v0, v24
	v_min_u32_e32 v0, 32, v0
	s_delay_alu instid0(VALU_DEP_1) | instskip(NEXT) | instid1(VALU_DEP_1)
	v_subrev_nc_u32_e32 v2, 28, v0
	v_lshlrev_b64_e32 v[2:3], v2, v[24:25]
	s_delay_alu instid0(VALU_DEP_1)
	v_dual_sub_nc_u32 v0, 29, v0 :: v_dual_bitop2_b32 v24, 7, v2 bitop3:0x40
; %bb.111:                              ;   in Loop: Header=BB204_15 Depth=1
	s_or_b32 exec_lo, exec_lo, s17
	s_delay_alu instid0(VALU_DEP_1) | instskip(NEXT) | instid1(VALU_DEP_2)
	v_dual_lshlrev_b32 v1, 24, v1 :: v_dual_lshlrev_b32 v2, 20, v24
	v_lshl_add_u32 v0, v0, 23, 0x3c000000
	s_delay_alu instid0(VALU_DEP_2) | instskip(NEXT) | instid1(VALU_DEP_1)
	v_and_b32_e32 v1, 0x80000000, v1
	v_or3_b32 v1, v2, v1, v0
	v_mov_b32_e32 v0, v25
	scratch_store_b64 off, v[0:1], s32 offset:296 ; 8-byte Folded Spill
.LBB204_112:                            ;   in Loop: Header=BB204_15 Depth=1
	s_wait_xcnt 0x0
	s_or_b32 exec_lo, exec_lo, s16
.LBB204_113:                            ;   in Loop: Header=BB204_15 Depth=1
	s_delay_alu instid0(SALU_CYCLE_1)
	s_or_b32 exec_lo, exec_lo, s15
.LBB204_114:                            ;   in Loop: Header=BB204_15 Depth=1
	s_delay_alu instid0(SALU_CYCLE_1)
	s_or_b32 exec_lo, exec_lo, s14
	flat_load_b32 v0, v[78:79] offset:12
	v_mov_b64_e32 v[2:3], 0
	s_mov_b32 s14, exec_lo
	scratch_store_b64 off, v[2:3], s32 offset:312 ; 8-byte Folded Spill
	s_wait_xcnt 0x0
	v_mov_b64_e32 v[2:3], 0
	scratch_store_b64 off, v[2:3], s32 offset:320 ; 8-byte Folded Spill
	s_wait_loadcnt_dscnt 0x0
	v_and_b32_e32 v1, 0xff, v0
	s_wait_xcnt 0x0
	s_delay_alu instid0(VALU_DEP_1)
	v_cmpx_ne_u16_e32 0, v1
	s_cbranch_execz .LBB204_122
; %bb.115:                              ;   in Loop: Header=BB204_15 Depth=1
	v_mov_b64_e32 v[2:3], 0x80000000
	s_mov_b32 s15, exec_lo
	scratch_store_b64 off, v[2:3], s32 offset:320 ; 8-byte Folded Spill
	s_wait_xcnt 0x0
	v_cmpx_ne_u16_e32 0x80, v1
	s_cbranch_execz .LBB204_121
; %bb.116:                              ;   in Loop: Header=BB204_15 Depth=1
	v_mov_b64_e32 v[4:5], 0x7f800001
	v_and_b32_e32 v2, 0x7f, v0
	s_mov_b32 s16, exec_lo
	scratch_store_b64 off, v[4:5], s32 offset:320 ; 8-byte Folded Spill
	s_wait_xcnt 0x0
	v_cmpx_ne_u32_e32 0x7f, v2
	s_cbranch_execz .LBB204_120
; %bb.117:                              ;   in Loop: Header=BB204_15 Depth=1
	v_dual_lshrrev_b32 v1, 3, v2 :: v_dual_bitop2_b32 v24, 7, v0 bitop3:0x40
	s_mov_b32 s17, exec_lo
	v_cmpx_gt_u32_e32 8, v2
; %bb.118:                              ;   in Loop: Header=BB204_15 Depth=1
	s_delay_alu instid0(VALU_DEP_2) | instskip(NEXT) | instid1(VALU_DEP_1)
	v_clz_i32_u32_e32 v1, v24
	v_min_u32_e32 v1, 32, v1
	s_delay_alu instid0(VALU_DEP_1) | instskip(NEXT) | instid1(VALU_DEP_1)
	v_subrev_nc_u32_e32 v2, 28, v1
	v_lshlrev_b64_e32 v[2:3], v2, v[24:25]
	s_delay_alu instid0(VALU_DEP_1)
	v_dual_sub_nc_u32 v1, 29, v1 :: v_dual_bitop2_b32 v24, 7, v2 bitop3:0x40
; %bb.119:                              ;   in Loop: Header=BB204_15 Depth=1
	s_or_b32 exec_lo, exec_lo, s17
	v_lshlrev_b32_e32 v2, 24, v0
	s_delay_alu instid0(VALU_DEP_2) | instskip(NEXT) | instid1(VALU_DEP_3)
	v_lshlrev_b32_e32 v3, 20, v24
	v_lshl_add_u32 v1, v1, 23, 0x3c000000
	s_delay_alu instid0(VALU_DEP_3) | instskip(NEXT) | instid1(VALU_DEP_1)
	v_and_b32_e32 v2, 0x80000000, v2
	v_or3_b32 v24, v3, v2, v1
	scratch_store_b64 off, v[24:25], s32 offset:320 ; 8-byte Folded Spill
.LBB204_120:                            ;   in Loop: Header=BB204_15 Depth=1
	s_wait_xcnt 0x0
	s_or_b32 exec_lo, exec_lo, s16
.LBB204_121:                            ;   in Loop: Header=BB204_15 Depth=1
	s_delay_alu instid0(SALU_CYCLE_1)
	s_or_b32 exec_lo, exec_lo, s15
.LBB204_122:                            ;   in Loop: Header=BB204_15 Depth=1
	s_delay_alu instid0(SALU_CYCLE_1) | instskip(SKIP_2) | instid1(VALU_DEP_1)
	s_or_b32 exec_lo, exec_lo, s14
	v_lshrrev_b16 v1, 8, v0
	s_mov_b32 s14, exec_lo
	v_cmpx_ne_u16_e32 0, v1
	s_cbranch_execz .LBB204_130
; %bb.123:                              ;   in Loop: Header=BB204_15 Depth=1
	v_mov_b64_e32 v[2:3], 0x8000000000000000
	s_mov_b32 s15, exec_lo
	scratch_store_b64 off, v[2:3], s32 offset:312 ; 8-byte Folded Spill
	s_wait_xcnt 0x0
	v_cmpx_ne_u16_e32 0x80, v1
	s_cbranch_execz .LBB204_129
; %bb.124:                              ;   in Loop: Header=BB204_15 Depth=1
	v_and_b32_e32 v1, 0xffff, v1
	v_mov_b64_e32 v[4:5], 0x7f80000100000000
	s_mov_b32 s16, exec_lo
	s_delay_alu instid0(VALU_DEP_2)
	v_and_b32_e32 v2, 0x7f, v1
	scratch_store_b64 off, v[4:5], s32 offset:312 ; 8-byte Folded Spill
	s_wait_xcnt 0x0
	v_cmpx_ne_u32_e32 0x7f, v2
	s_cbranch_execz .LBB204_128
; %bb.125:                              ;   in Loop: Header=BB204_15 Depth=1
	v_dual_lshrrev_b32 v1, 3, v2 :: v_dual_bitop2_b32 v24, 7, v1 bitop3:0x40
	s_mov_b32 s17, exec_lo
	v_cmpx_gt_u32_e32 8, v2
; %bb.126:                              ;   in Loop: Header=BB204_15 Depth=1
	s_delay_alu instid0(VALU_DEP_2) | instskip(NEXT) | instid1(VALU_DEP_1)
	v_clz_i32_u32_e32 v1, v24
	v_min_u32_e32 v1, 32, v1
	s_delay_alu instid0(VALU_DEP_1) | instskip(NEXT) | instid1(VALU_DEP_1)
	v_subrev_nc_u32_e32 v2, 28, v1
	v_lshlrev_b64_e32 v[2:3], v2, v[24:25]
	s_delay_alu instid0(VALU_DEP_1)
	v_dual_sub_nc_u32 v1, 29, v1 :: v_dual_bitop2_b32 v24, 7, v2 bitop3:0x40
; %bb.127:                              ;   in Loop: Header=BB204_15 Depth=1
	s_or_b32 exec_lo, exec_lo, s17
	v_lshlrev_b32_e32 v2, 16, v0
	s_delay_alu instid0(VALU_DEP_2) | instskip(NEXT) | instid1(VALU_DEP_3)
	v_lshlrev_b32_e32 v3, 20, v24
	v_lshl_add_u32 v1, v1, 23, 0x3c000000
	s_delay_alu instid0(VALU_DEP_3) | instskip(NEXT) | instid1(VALU_DEP_1)
	v_and_b32_e32 v2, 0x80000000, v2
	v_or3_b32 v3, v3, v2, v1
	v_mov_b32_e32 v2, v25
	scratch_store_b64 off, v[2:3], s32 offset:312 ; 8-byte Folded Spill
.LBB204_128:                            ;   in Loop: Header=BB204_15 Depth=1
	s_wait_xcnt 0x0
	s_or_b32 exec_lo, exec_lo, s16
.LBB204_129:                            ;   in Loop: Header=BB204_15 Depth=1
	s_delay_alu instid0(SALU_CYCLE_1)
	s_or_b32 exec_lo, exec_lo, s15
.LBB204_130:                            ;   in Loop: Header=BB204_15 Depth=1
	s_delay_alu instid0(SALU_CYCLE_1) | instskip(SKIP_3) | instid1(VALU_DEP_1)
	s_or_b32 exec_lo, exec_lo, s14
	v_mov_b64_e32 v[4:5], 0
	v_lshrrev_b32_e32 v1, 16, v0
	s_mov_b32 s14, exec_lo
	v_and_b32_e32 v2, 0xff, v1
	scratch_store_b64 off, v[4:5], s32 offset:328 ; 8-byte Folded Spill
	s_wait_xcnt 0x0
	v_mov_b64_e32 v[4:5], 0
	scratch_store_b64 off, v[4:5], s32 offset:336 ; 8-byte Folded Spill
	s_wait_xcnt 0x0
	v_cmpx_ne_u16_e32 0, v2
	s_cbranch_execz .LBB204_138
; %bb.131:                              ;   in Loop: Header=BB204_15 Depth=1
	v_cmp_ne_u16_e64 s1, 0x80, v2
	v_mov_b64_e32 v[2:3], 0x80000000
	scratch_store_b64 off, v[2:3], s32 offset:336 ; 8-byte Folded Spill
	s_wait_xcnt 0x0
	s_and_saveexec_b32 s15, s1
	s_cbranch_execz .LBB204_137
; %bb.132:                              ;   in Loop: Header=BB204_15 Depth=1
	v_mov_b64_e32 v[4:5], 0x7f800001
	v_bfe_u32 v3, v0, 16, 7
	s_mov_b32 s16, exec_lo
	scratch_store_b64 off, v[4:5], s32 offset:336 ; 8-byte Folded Spill
	s_wait_xcnt 0x0
	v_cmpx_ne_u32_e32 0x7f, v3
	s_cbranch_execz .LBB204_136
; %bb.133:                              ;   in Loop: Header=BB204_15 Depth=1
	v_dual_lshrrev_b32 v2, 3, v3 :: v_dual_bitop2_b32 v24, 7, v1 bitop3:0x40
	s_mov_b32 s17, exec_lo
	v_cmpx_gt_u32_e32 8, v3
; %bb.134:                              ;   in Loop: Header=BB204_15 Depth=1
	s_delay_alu instid0(VALU_DEP_2) | instskip(NEXT) | instid1(VALU_DEP_1)
	v_clz_i32_u32_e32 v2, v24
	v_min_u32_e32 v2, 32, v2
	s_delay_alu instid0(VALU_DEP_1) | instskip(NEXT) | instid1(VALU_DEP_1)
	v_subrev_nc_u32_e32 v3, 28, v2
	v_lshlrev_b64_e32 v[4:5], v3, v[24:25]
	s_delay_alu instid0(VALU_DEP_1)
	v_dual_sub_nc_u32 v2, 29, v2 :: v_dual_bitop2_b32 v24, 7, v4 bitop3:0x40
; %bb.135:                              ;   in Loop: Header=BB204_15 Depth=1
	s_or_b32 exec_lo, exec_lo, s17
	s_delay_alu instid0(VALU_DEP_1) | instskip(NEXT) | instid1(VALU_DEP_2)
	v_dual_lshlrev_b32 v1, 24, v1 :: v_dual_lshlrev_b32 v3, 20, v24
	v_lshl_add_u32 v2, v2, 23, 0x3c000000
	s_delay_alu instid0(VALU_DEP_2) | instskip(NEXT) | instid1(VALU_DEP_1)
	v_and_b32_e32 v1, 0x80000000, v1
	v_or3_b32 v24, v3, v1, v2
	scratch_store_b64 off, v[24:25], s32 offset:336 ; 8-byte Folded Spill
.LBB204_136:                            ;   in Loop: Header=BB204_15 Depth=1
	s_wait_xcnt 0x0
	s_or_b32 exec_lo, exec_lo, s16
.LBB204_137:                            ;   in Loop: Header=BB204_15 Depth=1
	s_delay_alu instid0(SALU_CYCLE_1)
	s_or_b32 exec_lo, exec_lo, s15
.LBB204_138:                            ;   in Loop: Header=BB204_15 Depth=1
	s_delay_alu instid0(SALU_CYCLE_1) | instskip(NEXT) | instid1(SALU_CYCLE_1)
	s_or_b32 exec_lo, exec_lo, s14
	s_mov_b32 s14, exec_lo
	v_cmpx_lt_u32_e32 0xffffff, v0
	s_cbranch_execz .LBB204_146
; %bb.139:                              ;   in Loop: Header=BB204_15 Depth=1
	v_mov_b64_e32 v[2:3], 0x8000000000000000
	v_lshrrev_b32_e32 v1, 24, v0
	s_mov_b32 s15, exec_lo
	scratch_store_b64 off, v[2:3], s32 offset:328 ; 8-byte Folded Spill
	s_wait_xcnt 0x0
	v_cmpx_ne_u32_e32 0x80, v1
	s_cbranch_execz .LBB204_145
; %bb.140:                              ;   in Loop: Header=BB204_15 Depth=1
	v_mov_b64_e32 v[4:5], 0x7f80000100000000
	v_bfe_u32 v2, v0, 24, 7
	s_mov_b32 s16, exec_lo
	scratch_store_b64 off, v[4:5], s32 offset:328 ; 8-byte Folded Spill
	s_wait_xcnt 0x0
	v_cmpx_ne_u32_e32 0x7f, v2
	s_cbranch_execz .LBB204_144
; %bb.141:                              ;   in Loop: Header=BB204_15 Depth=1
	v_dual_lshrrev_b32 v0, 3, v2 :: v_dual_bitop2_b32 v24, 7, v1 bitop3:0x40
	s_mov_b32 s17, exec_lo
	v_cmpx_gt_u32_e32 8, v2
; %bb.142:                              ;   in Loop: Header=BB204_15 Depth=1
	s_delay_alu instid0(VALU_DEP_2) | instskip(NEXT) | instid1(VALU_DEP_1)
	v_clz_i32_u32_e32 v0, v24
	v_min_u32_e32 v0, 32, v0
	s_delay_alu instid0(VALU_DEP_1) | instskip(NEXT) | instid1(VALU_DEP_1)
	v_subrev_nc_u32_e32 v2, 28, v0
	v_lshlrev_b64_e32 v[2:3], v2, v[24:25]
	s_delay_alu instid0(VALU_DEP_1)
	v_dual_sub_nc_u32 v0, 29, v0 :: v_dual_bitop2_b32 v24, 7, v2 bitop3:0x40
; %bb.143:                              ;   in Loop: Header=BB204_15 Depth=1
	s_or_b32 exec_lo, exec_lo, s17
	s_delay_alu instid0(VALU_DEP_1) | instskip(NEXT) | instid1(VALU_DEP_2)
	v_dual_lshlrev_b32 v1, 24, v1 :: v_dual_lshlrev_b32 v2, 20, v24
	v_lshl_add_u32 v0, v0, 23, 0x3c000000
	s_delay_alu instid0(VALU_DEP_2) | instskip(NEXT) | instid1(VALU_DEP_1)
	v_and_b32_e32 v1, 0x80000000, v1
	v_or3_b32 v1, v2, v1, v0
	v_mov_b32_e32 v0, v25
	scratch_store_b64 off, v[0:1], s32 offset:328 ; 8-byte Folded Spill
.LBB204_144:                            ;   in Loop: Header=BB204_15 Depth=1
	s_wait_xcnt 0x0
	s_or_b32 exec_lo, exec_lo, s16
.LBB204_145:                            ;   in Loop: Header=BB204_15 Depth=1
	s_delay_alu instid0(SALU_CYCLE_1)
	s_or_b32 exec_lo, exec_lo, s15
.LBB204_146:                            ;   in Loop: Header=BB204_15 Depth=1
	s_delay_alu instid0(SALU_CYCLE_1)
	s_or_b32 exec_lo, exec_lo, s14
	flat_load_b32 v0, v[78:79] offset:512
	v_mov_b64_e32 v[2:3], 0
	s_mov_b32 s14, exec_lo
	scratch_store_b64 off, v[2:3], s32 offset:344 ; 8-byte Folded Spill
	s_wait_xcnt 0x0
	v_mov_b64_e32 v[2:3], 0
	scratch_store_b64 off, v[2:3], s32 offset:352 ; 8-byte Folded Spill
	s_wait_loadcnt_dscnt 0x0
	v_and_b32_e32 v1, 0xff, v0
	s_wait_xcnt 0x0
	s_delay_alu instid0(VALU_DEP_1)
	v_cmpx_ne_u16_e32 0, v1
	s_cbranch_execz .LBB204_154
; %bb.147:                              ;   in Loop: Header=BB204_15 Depth=1
	v_mov_b64_e32 v[2:3], 0x80000000
	s_mov_b32 s15, exec_lo
	scratch_store_b64 off, v[2:3], s32 offset:352 ; 8-byte Folded Spill
	s_wait_xcnt 0x0
	v_cmpx_ne_u16_e32 0x80, v1
	s_cbranch_execz .LBB204_153
; %bb.148:                              ;   in Loop: Header=BB204_15 Depth=1
	v_mov_b64_e32 v[4:5], 0x7f800001
	v_and_b32_e32 v2, 0x7f, v0
	s_mov_b32 s16, exec_lo
	scratch_store_b64 off, v[4:5], s32 offset:352 ; 8-byte Folded Spill
	s_wait_xcnt 0x0
	v_cmpx_ne_u32_e32 0x7f, v2
	s_cbranch_execz .LBB204_152
; %bb.149:                              ;   in Loop: Header=BB204_15 Depth=1
	v_dual_lshrrev_b32 v1, 3, v2 :: v_dual_bitop2_b32 v24, 7, v0 bitop3:0x40
	s_mov_b32 s17, exec_lo
	v_cmpx_gt_u32_e32 8, v2
; %bb.150:                              ;   in Loop: Header=BB204_15 Depth=1
	s_delay_alu instid0(VALU_DEP_2) | instskip(NEXT) | instid1(VALU_DEP_1)
	v_clz_i32_u32_e32 v1, v24
	v_min_u32_e32 v1, 32, v1
	s_delay_alu instid0(VALU_DEP_1) | instskip(NEXT) | instid1(VALU_DEP_1)
	v_subrev_nc_u32_e32 v2, 28, v1
	v_lshlrev_b64_e32 v[2:3], v2, v[24:25]
	s_delay_alu instid0(VALU_DEP_1)
	v_dual_sub_nc_u32 v1, 29, v1 :: v_dual_bitop2_b32 v24, 7, v2 bitop3:0x40
; %bb.151:                              ;   in Loop: Header=BB204_15 Depth=1
	s_or_b32 exec_lo, exec_lo, s17
	v_lshlrev_b32_e32 v2, 24, v0
	s_delay_alu instid0(VALU_DEP_2) | instskip(NEXT) | instid1(VALU_DEP_3)
	v_lshlrev_b32_e32 v3, 20, v24
	v_lshl_add_u32 v1, v1, 23, 0x3c000000
	s_delay_alu instid0(VALU_DEP_3) | instskip(NEXT) | instid1(VALU_DEP_1)
	v_and_b32_e32 v2, 0x80000000, v2
	v_or3_b32 v24, v3, v2, v1
	scratch_store_b64 off, v[24:25], s32 offset:352 ; 8-byte Folded Spill
.LBB204_152:                            ;   in Loop: Header=BB204_15 Depth=1
	s_wait_xcnt 0x0
	s_or_b32 exec_lo, exec_lo, s16
.LBB204_153:                            ;   in Loop: Header=BB204_15 Depth=1
	s_delay_alu instid0(SALU_CYCLE_1)
	s_or_b32 exec_lo, exec_lo, s15
.LBB204_154:                            ;   in Loop: Header=BB204_15 Depth=1
	s_delay_alu instid0(SALU_CYCLE_1) | instskip(SKIP_2) | instid1(VALU_DEP_1)
	s_or_b32 exec_lo, exec_lo, s14
	v_lshrrev_b16 v1, 8, v0
	s_mov_b32 s14, exec_lo
	v_cmpx_ne_u16_e32 0, v1
	s_cbranch_execz .LBB204_162
; %bb.155:                              ;   in Loop: Header=BB204_15 Depth=1
	v_mov_b64_e32 v[2:3], 0x8000000000000000
	s_mov_b32 s15, exec_lo
	scratch_store_b64 off, v[2:3], s32 offset:344 ; 8-byte Folded Spill
	s_wait_xcnt 0x0
	v_cmpx_ne_u16_e32 0x80, v1
	s_cbranch_execz .LBB204_161
; %bb.156:                              ;   in Loop: Header=BB204_15 Depth=1
	v_and_b32_e32 v1, 0xffff, v1
	v_mov_b64_e32 v[4:5], 0x7f80000100000000
	s_mov_b32 s16, exec_lo
	s_delay_alu instid0(VALU_DEP_2)
	v_and_b32_e32 v2, 0x7f, v1
	scratch_store_b64 off, v[4:5], s32 offset:344 ; 8-byte Folded Spill
	s_wait_xcnt 0x0
	v_cmpx_ne_u32_e32 0x7f, v2
	s_cbranch_execz .LBB204_160
; %bb.157:                              ;   in Loop: Header=BB204_15 Depth=1
	v_dual_lshrrev_b32 v1, 3, v2 :: v_dual_bitop2_b32 v24, 7, v1 bitop3:0x40
	s_mov_b32 s17, exec_lo
	v_cmpx_gt_u32_e32 8, v2
; %bb.158:                              ;   in Loop: Header=BB204_15 Depth=1
	s_delay_alu instid0(VALU_DEP_2) | instskip(NEXT) | instid1(VALU_DEP_1)
	v_clz_i32_u32_e32 v1, v24
	v_min_u32_e32 v1, 32, v1
	s_delay_alu instid0(VALU_DEP_1) | instskip(NEXT) | instid1(VALU_DEP_1)
	v_subrev_nc_u32_e32 v2, 28, v1
	v_lshlrev_b64_e32 v[2:3], v2, v[24:25]
	s_delay_alu instid0(VALU_DEP_1)
	v_dual_sub_nc_u32 v1, 29, v1 :: v_dual_bitop2_b32 v24, 7, v2 bitop3:0x40
; %bb.159:                              ;   in Loop: Header=BB204_15 Depth=1
	s_or_b32 exec_lo, exec_lo, s17
	v_lshlrev_b32_e32 v2, 16, v0
	s_delay_alu instid0(VALU_DEP_2) | instskip(NEXT) | instid1(VALU_DEP_3)
	v_lshlrev_b32_e32 v3, 20, v24
	v_lshl_add_u32 v1, v1, 23, 0x3c000000
	s_delay_alu instid0(VALU_DEP_3) | instskip(NEXT) | instid1(VALU_DEP_1)
	v_and_b32_e32 v2, 0x80000000, v2
	v_or3_b32 v3, v3, v2, v1
	v_mov_b32_e32 v2, v25
	scratch_store_b64 off, v[2:3], s32 offset:344 ; 8-byte Folded Spill
.LBB204_160:                            ;   in Loop: Header=BB204_15 Depth=1
	s_wait_xcnt 0x0
	s_or_b32 exec_lo, exec_lo, s16
.LBB204_161:                            ;   in Loop: Header=BB204_15 Depth=1
	s_delay_alu instid0(SALU_CYCLE_1)
	s_or_b32 exec_lo, exec_lo, s15
.LBB204_162:                            ;   in Loop: Header=BB204_15 Depth=1
	s_delay_alu instid0(SALU_CYCLE_1) | instskip(SKIP_3) | instid1(VALU_DEP_1)
	s_or_b32 exec_lo, exec_lo, s14
	v_mov_b64_e32 v[4:5], 0
	v_lshrrev_b32_e32 v1, 16, v0
	s_mov_b32 s14, exec_lo
	v_and_b32_e32 v2, 0xff, v1
	scratch_store_b64 off, v[4:5], s32 offset:360 ; 8-byte Folded Spill
	s_wait_xcnt 0x0
	v_mov_b64_e32 v[4:5], 0
	scratch_store_b64 off, v[4:5], s32 offset:368 ; 8-byte Folded Spill
	s_wait_xcnt 0x0
	v_cmpx_ne_u16_e32 0, v2
	s_cbranch_execz .LBB204_170
; %bb.163:                              ;   in Loop: Header=BB204_15 Depth=1
	v_cmp_ne_u16_e64 s1, 0x80, v2
	v_mov_b64_e32 v[2:3], 0x80000000
	scratch_store_b64 off, v[2:3], s32 offset:368 ; 8-byte Folded Spill
	s_wait_xcnt 0x0
	s_and_saveexec_b32 s15, s1
	s_cbranch_execz .LBB204_169
; %bb.164:                              ;   in Loop: Header=BB204_15 Depth=1
	v_mov_b64_e32 v[4:5], 0x7f800001
	v_bfe_u32 v3, v0, 16, 7
	s_mov_b32 s16, exec_lo
	scratch_store_b64 off, v[4:5], s32 offset:368 ; 8-byte Folded Spill
	s_wait_xcnt 0x0
	v_cmpx_ne_u32_e32 0x7f, v3
	s_cbranch_execz .LBB204_168
; %bb.165:                              ;   in Loop: Header=BB204_15 Depth=1
	v_dual_lshrrev_b32 v2, 3, v3 :: v_dual_bitop2_b32 v24, 7, v1 bitop3:0x40
	s_mov_b32 s17, exec_lo
	v_cmpx_gt_u32_e32 8, v3
; %bb.166:                              ;   in Loop: Header=BB204_15 Depth=1
	s_delay_alu instid0(VALU_DEP_2) | instskip(NEXT) | instid1(VALU_DEP_1)
	v_clz_i32_u32_e32 v2, v24
	v_min_u32_e32 v2, 32, v2
	s_delay_alu instid0(VALU_DEP_1) | instskip(NEXT) | instid1(VALU_DEP_1)
	v_subrev_nc_u32_e32 v3, 28, v2
	v_lshlrev_b64_e32 v[4:5], v3, v[24:25]
	s_delay_alu instid0(VALU_DEP_1)
	v_dual_sub_nc_u32 v2, 29, v2 :: v_dual_bitop2_b32 v24, 7, v4 bitop3:0x40
; %bb.167:                              ;   in Loop: Header=BB204_15 Depth=1
	s_or_b32 exec_lo, exec_lo, s17
	s_delay_alu instid0(VALU_DEP_1) | instskip(NEXT) | instid1(VALU_DEP_2)
	v_dual_lshlrev_b32 v1, 24, v1 :: v_dual_lshlrev_b32 v3, 20, v24
	v_lshl_add_u32 v2, v2, 23, 0x3c000000
	s_delay_alu instid0(VALU_DEP_2) | instskip(NEXT) | instid1(VALU_DEP_1)
	v_and_b32_e32 v1, 0x80000000, v1
	v_or3_b32 v24, v3, v1, v2
	scratch_store_b64 off, v[24:25], s32 offset:368 ; 8-byte Folded Spill
.LBB204_168:                            ;   in Loop: Header=BB204_15 Depth=1
	s_wait_xcnt 0x0
	s_or_b32 exec_lo, exec_lo, s16
.LBB204_169:                            ;   in Loop: Header=BB204_15 Depth=1
	s_delay_alu instid0(SALU_CYCLE_1)
	s_or_b32 exec_lo, exec_lo, s15
.LBB204_170:                            ;   in Loop: Header=BB204_15 Depth=1
	s_delay_alu instid0(SALU_CYCLE_1) | instskip(NEXT) | instid1(SALU_CYCLE_1)
	s_or_b32 exec_lo, exec_lo, s14
	s_mov_b32 s14, exec_lo
	v_cmpx_lt_u32_e32 0xffffff, v0
	s_cbranch_execz .LBB204_178
; %bb.171:                              ;   in Loop: Header=BB204_15 Depth=1
	v_mov_b64_e32 v[2:3], 0x8000000000000000
	v_lshrrev_b32_e32 v1, 24, v0
	s_mov_b32 s15, exec_lo
	scratch_store_b64 off, v[2:3], s32 offset:360 ; 8-byte Folded Spill
	s_wait_xcnt 0x0
	v_cmpx_ne_u32_e32 0x80, v1
	s_cbranch_execz .LBB204_177
; %bb.172:                              ;   in Loop: Header=BB204_15 Depth=1
	v_mov_b64_e32 v[4:5], 0x7f80000100000000
	v_bfe_u32 v2, v0, 24, 7
	s_mov_b32 s16, exec_lo
	scratch_store_b64 off, v[4:5], s32 offset:360 ; 8-byte Folded Spill
	s_wait_xcnt 0x0
	v_cmpx_ne_u32_e32 0x7f, v2
	s_cbranch_execz .LBB204_176
; %bb.173:                              ;   in Loop: Header=BB204_15 Depth=1
	v_dual_lshrrev_b32 v0, 3, v2 :: v_dual_bitop2_b32 v24, 7, v1 bitop3:0x40
	s_mov_b32 s17, exec_lo
	v_cmpx_gt_u32_e32 8, v2
; %bb.174:                              ;   in Loop: Header=BB204_15 Depth=1
	s_delay_alu instid0(VALU_DEP_2) | instskip(NEXT) | instid1(VALU_DEP_1)
	v_clz_i32_u32_e32 v0, v24
	v_min_u32_e32 v0, 32, v0
	s_delay_alu instid0(VALU_DEP_1) | instskip(NEXT) | instid1(VALU_DEP_1)
	v_subrev_nc_u32_e32 v2, 28, v0
	v_lshlrev_b64_e32 v[2:3], v2, v[24:25]
	s_delay_alu instid0(VALU_DEP_1)
	v_dual_sub_nc_u32 v0, 29, v0 :: v_dual_bitop2_b32 v24, 7, v2 bitop3:0x40
; %bb.175:                              ;   in Loop: Header=BB204_15 Depth=1
	s_or_b32 exec_lo, exec_lo, s17
	s_delay_alu instid0(VALU_DEP_1) | instskip(NEXT) | instid1(VALU_DEP_2)
	v_dual_lshlrev_b32 v1, 24, v1 :: v_dual_lshlrev_b32 v2, 20, v24
	v_lshl_add_u32 v0, v0, 23, 0x3c000000
	s_delay_alu instid0(VALU_DEP_2) | instskip(NEXT) | instid1(VALU_DEP_1)
	v_and_b32_e32 v1, 0x80000000, v1
	v_or3_b32 v1, v2, v1, v0
	v_mov_b32_e32 v0, v25
	scratch_store_b64 off, v[0:1], s32 offset:360 ; 8-byte Folded Spill
.LBB204_176:                            ;   in Loop: Header=BB204_15 Depth=1
	s_wait_xcnt 0x0
	s_or_b32 exec_lo, exec_lo, s16
.LBB204_177:                            ;   in Loop: Header=BB204_15 Depth=1
	s_delay_alu instid0(SALU_CYCLE_1)
	s_or_b32 exec_lo, exec_lo, s15
.LBB204_178:                            ;   in Loop: Header=BB204_15 Depth=1
	s_delay_alu instid0(SALU_CYCLE_1)
	s_or_b32 exec_lo, exec_lo, s14
	flat_load_b32 v0, v[78:79] offset:516
	v_mov_b64_e32 v[2:3], 0
	s_mov_b32 s14, exec_lo
	scratch_store_b64 off, v[2:3], s32 offset:376 ; 8-byte Folded Spill
	s_wait_xcnt 0x0
	v_mov_b64_e32 v[2:3], 0
	scratch_store_b64 off, v[2:3], s32 offset:384 ; 8-byte Folded Spill
	s_wait_loadcnt_dscnt 0x0
	v_and_b32_e32 v1, 0xff, v0
	s_wait_xcnt 0x0
	s_delay_alu instid0(VALU_DEP_1)
	v_cmpx_ne_u16_e32 0, v1
	s_cbranch_execz .LBB204_186
; %bb.179:                              ;   in Loop: Header=BB204_15 Depth=1
	v_mov_b64_e32 v[2:3], 0x80000000
	s_mov_b32 s15, exec_lo
	scratch_store_b64 off, v[2:3], s32 offset:384 ; 8-byte Folded Spill
	s_wait_xcnt 0x0
	v_cmpx_ne_u16_e32 0x80, v1
	s_cbranch_execz .LBB204_185
; %bb.180:                              ;   in Loop: Header=BB204_15 Depth=1
	v_mov_b64_e32 v[4:5], 0x7f800001
	v_and_b32_e32 v2, 0x7f, v0
	s_mov_b32 s16, exec_lo
	scratch_store_b64 off, v[4:5], s32 offset:384 ; 8-byte Folded Spill
	s_wait_xcnt 0x0
	v_cmpx_ne_u32_e32 0x7f, v2
	s_cbranch_execz .LBB204_184
; %bb.181:                              ;   in Loop: Header=BB204_15 Depth=1
	v_dual_lshrrev_b32 v1, 3, v2 :: v_dual_bitop2_b32 v24, 7, v0 bitop3:0x40
	s_mov_b32 s17, exec_lo
	v_cmpx_gt_u32_e32 8, v2
; %bb.182:                              ;   in Loop: Header=BB204_15 Depth=1
	s_delay_alu instid0(VALU_DEP_2) | instskip(NEXT) | instid1(VALU_DEP_1)
	v_clz_i32_u32_e32 v1, v24
	v_min_u32_e32 v1, 32, v1
	s_delay_alu instid0(VALU_DEP_1) | instskip(NEXT) | instid1(VALU_DEP_1)
	v_subrev_nc_u32_e32 v2, 28, v1
	v_lshlrev_b64_e32 v[2:3], v2, v[24:25]
	s_delay_alu instid0(VALU_DEP_1)
	v_dual_sub_nc_u32 v1, 29, v1 :: v_dual_bitop2_b32 v24, 7, v2 bitop3:0x40
; %bb.183:                              ;   in Loop: Header=BB204_15 Depth=1
	s_or_b32 exec_lo, exec_lo, s17
	v_lshlrev_b32_e32 v2, 24, v0
	s_delay_alu instid0(VALU_DEP_2) | instskip(NEXT) | instid1(VALU_DEP_3)
	v_lshlrev_b32_e32 v3, 20, v24
	v_lshl_add_u32 v1, v1, 23, 0x3c000000
	s_delay_alu instid0(VALU_DEP_3) | instskip(NEXT) | instid1(VALU_DEP_1)
	v_and_b32_e32 v2, 0x80000000, v2
	v_or3_b32 v24, v3, v2, v1
	scratch_store_b64 off, v[24:25], s32 offset:384 ; 8-byte Folded Spill
.LBB204_184:                            ;   in Loop: Header=BB204_15 Depth=1
	s_wait_xcnt 0x0
	s_or_b32 exec_lo, exec_lo, s16
.LBB204_185:                            ;   in Loop: Header=BB204_15 Depth=1
	s_delay_alu instid0(SALU_CYCLE_1)
	s_or_b32 exec_lo, exec_lo, s15
.LBB204_186:                            ;   in Loop: Header=BB204_15 Depth=1
	s_delay_alu instid0(SALU_CYCLE_1) | instskip(SKIP_2) | instid1(VALU_DEP_1)
	s_or_b32 exec_lo, exec_lo, s14
	v_lshrrev_b16 v1, 8, v0
	s_mov_b32 s14, exec_lo
	v_cmpx_ne_u16_e32 0, v1
	s_cbranch_execz .LBB204_194
; %bb.187:                              ;   in Loop: Header=BB204_15 Depth=1
	v_mov_b64_e32 v[2:3], 0x8000000000000000
	s_mov_b32 s15, exec_lo
	scratch_store_b64 off, v[2:3], s32 offset:376 ; 8-byte Folded Spill
	s_wait_xcnt 0x0
	v_cmpx_ne_u16_e32 0x80, v1
	s_cbranch_execz .LBB204_193
; %bb.188:                              ;   in Loop: Header=BB204_15 Depth=1
	v_and_b32_e32 v1, 0xffff, v1
	v_mov_b64_e32 v[4:5], 0x7f80000100000000
	s_mov_b32 s16, exec_lo
	s_delay_alu instid0(VALU_DEP_2)
	v_and_b32_e32 v2, 0x7f, v1
	scratch_store_b64 off, v[4:5], s32 offset:376 ; 8-byte Folded Spill
	s_wait_xcnt 0x0
	v_cmpx_ne_u32_e32 0x7f, v2
	s_cbranch_execz .LBB204_192
; %bb.189:                              ;   in Loop: Header=BB204_15 Depth=1
	v_dual_lshrrev_b32 v1, 3, v2 :: v_dual_bitop2_b32 v24, 7, v1 bitop3:0x40
	s_mov_b32 s17, exec_lo
	v_cmpx_gt_u32_e32 8, v2
; %bb.190:                              ;   in Loop: Header=BB204_15 Depth=1
	s_delay_alu instid0(VALU_DEP_2) | instskip(NEXT) | instid1(VALU_DEP_1)
	v_clz_i32_u32_e32 v1, v24
	v_min_u32_e32 v1, 32, v1
	s_delay_alu instid0(VALU_DEP_1) | instskip(NEXT) | instid1(VALU_DEP_1)
	v_subrev_nc_u32_e32 v2, 28, v1
	v_lshlrev_b64_e32 v[2:3], v2, v[24:25]
	s_delay_alu instid0(VALU_DEP_1)
	v_dual_sub_nc_u32 v1, 29, v1 :: v_dual_bitop2_b32 v24, 7, v2 bitop3:0x40
; %bb.191:                              ;   in Loop: Header=BB204_15 Depth=1
	s_or_b32 exec_lo, exec_lo, s17
	v_lshlrev_b32_e32 v2, 16, v0
	s_delay_alu instid0(VALU_DEP_2) | instskip(NEXT) | instid1(VALU_DEP_3)
	v_lshlrev_b32_e32 v3, 20, v24
	v_lshl_add_u32 v1, v1, 23, 0x3c000000
	s_delay_alu instid0(VALU_DEP_3) | instskip(NEXT) | instid1(VALU_DEP_1)
	v_and_b32_e32 v2, 0x80000000, v2
	v_or3_b32 v3, v3, v2, v1
	v_mov_b32_e32 v2, v25
	scratch_store_b64 off, v[2:3], s32 offset:376 ; 8-byte Folded Spill
.LBB204_192:                            ;   in Loop: Header=BB204_15 Depth=1
	s_wait_xcnt 0x0
	s_or_b32 exec_lo, exec_lo, s16
.LBB204_193:                            ;   in Loop: Header=BB204_15 Depth=1
	s_delay_alu instid0(SALU_CYCLE_1)
	s_or_b32 exec_lo, exec_lo, s15
.LBB204_194:                            ;   in Loop: Header=BB204_15 Depth=1
	s_delay_alu instid0(SALU_CYCLE_1) | instskip(SKIP_3) | instid1(VALU_DEP_1)
	s_or_b32 exec_lo, exec_lo, s14
	v_mov_b64_e32 v[4:5], 0
	v_lshrrev_b32_e32 v1, 16, v0
	s_mov_b32 s14, exec_lo
	v_and_b32_e32 v2, 0xff, v1
	scratch_store_b64 off, v[4:5], s32 offset:392 ; 8-byte Folded Spill
	s_wait_xcnt 0x0
	v_mov_b64_e32 v[4:5], 0
	scratch_store_b64 off, v[4:5], s32 offset:400 ; 8-byte Folded Spill
	s_wait_xcnt 0x0
	v_cmpx_ne_u16_e32 0, v2
	s_cbranch_execz .LBB204_202
; %bb.195:                              ;   in Loop: Header=BB204_15 Depth=1
	v_cmp_ne_u16_e64 s1, 0x80, v2
	v_mov_b64_e32 v[2:3], 0x80000000
	scratch_store_b64 off, v[2:3], s32 offset:400 ; 8-byte Folded Spill
	s_wait_xcnt 0x0
	s_and_saveexec_b32 s15, s1
	s_cbranch_execz .LBB204_201
; %bb.196:                              ;   in Loop: Header=BB204_15 Depth=1
	v_mov_b64_e32 v[4:5], 0x7f800001
	v_bfe_u32 v3, v0, 16, 7
	s_mov_b32 s16, exec_lo
	scratch_store_b64 off, v[4:5], s32 offset:400 ; 8-byte Folded Spill
	s_wait_xcnt 0x0
	v_cmpx_ne_u32_e32 0x7f, v3
	s_cbranch_execz .LBB204_200
; %bb.197:                              ;   in Loop: Header=BB204_15 Depth=1
	v_dual_lshrrev_b32 v2, 3, v3 :: v_dual_bitop2_b32 v24, 7, v1 bitop3:0x40
	s_mov_b32 s17, exec_lo
	v_cmpx_gt_u32_e32 8, v3
; %bb.198:                              ;   in Loop: Header=BB204_15 Depth=1
	s_delay_alu instid0(VALU_DEP_2) | instskip(NEXT) | instid1(VALU_DEP_1)
	v_clz_i32_u32_e32 v2, v24
	v_min_u32_e32 v2, 32, v2
	s_delay_alu instid0(VALU_DEP_1) | instskip(NEXT) | instid1(VALU_DEP_1)
	v_subrev_nc_u32_e32 v3, 28, v2
	v_lshlrev_b64_e32 v[4:5], v3, v[24:25]
	s_delay_alu instid0(VALU_DEP_1)
	v_dual_sub_nc_u32 v2, 29, v2 :: v_dual_bitop2_b32 v24, 7, v4 bitop3:0x40
; %bb.199:                              ;   in Loop: Header=BB204_15 Depth=1
	s_or_b32 exec_lo, exec_lo, s17
	s_delay_alu instid0(VALU_DEP_1) | instskip(NEXT) | instid1(VALU_DEP_2)
	v_dual_lshlrev_b32 v1, 24, v1 :: v_dual_lshlrev_b32 v3, 20, v24
	v_lshl_add_u32 v2, v2, 23, 0x3c000000
	s_delay_alu instid0(VALU_DEP_2) | instskip(NEXT) | instid1(VALU_DEP_1)
	v_and_b32_e32 v1, 0x80000000, v1
	v_or3_b32 v24, v3, v1, v2
	scratch_store_b64 off, v[24:25], s32 offset:400 ; 8-byte Folded Spill
.LBB204_200:                            ;   in Loop: Header=BB204_15 Depth=1
	s_wait_xcnt 0x0
	s_or_b32 exec_lo, exec_lo, s16
.LBB204_201:                            ;   in Loop: Header=BB204_15 Depth=1
	s_delay_alu instid0(SALU_CYCLE_1)
	s_or_b32 exec_lo, exec_lo, s15
.LBB204_202:                            ;   in Loop: Header=BB204_15 Depth=1
	s_delay_alu instid0(SALU_CYCLE_1) | instskip(NEXT) | instid1(SALU_CYCLE_1)
	s_or_b32 exec_lo, exec_lo, s14
	s_mov_b32 s14, exec_lo
	v_cmpx_lt_u32_e32 0xffffff, v0
	s_cbranch_execz .LBB204_210
; %bb.203:                              ;   in Loop: Header=BB204_15 Depth=1
	v_mov_b64_e32 v[2:3], 0x8000000000000000
	v_lshrrev_b32_e32 v1, 24, v0
	s_mov_b32 s15, exec_lo
	scratch_store_b64 off, v[2:3], s32 offset:392 ; 8-byte Folded Spill
	s_wait_xcnt 0x0
	v_cmpx_ne_u32_e32 0x80, v1
	s_cbranch_execz .LBB204_209
; %bb.204:                              ;   in Loop: Header=BB204_15 Depth=1
	v_mov_b64_e32 v[4:5], 0x7f80000100000000
	v_bfe_u32 v2, v0, 24, 7
	s_mov_b32 s16, exec_lo
	scratch_store_b64 off, v[4:5], s32 offset:392 ; 8-byte Folded Spill
	s_wait_xcnt 0x0
	v_cmpx_ne_u32_e32 0x7f, v2
	s_cbranch_execz .LBB204_208
; %bb.205:                              ;   in Loop: Header=BB204_15 Depth=1
	v_dual_lshrrev_b32 v0, 3, v2 :: v_dual_bitop2_b32 v24, 7, v1 bitop3:0x40
	s_mov_b32 s17, exec_lo
	v_cmpx_gt_u32_e32 8, v2
; %bb.206:                              ;   in Loop: Header=BB204_15 Depth=1
	s_delay_alu instid0(VALU_DEP_2) | instskip(NEXT) | instid1(VALU_DEP_1)
	v_clz_i32_u32_e32 v0, v24
	v_min_u32_e32 v0, 32, v0
	s_delay_alu instid0(VALU_DEP_1) | instskip(NEXT) | instid1(VALU_DEP_1)
	v_subrev_nc_u32_e32 v2, 28, v0
	v_lshlrev_b64_e32 v[2:3], v2, v[24:25]
	s_delay_alu instid0(VALU_DEP_1)
	v_dual_sub_nc_u32 v0, 29, v0 :: v_dual_bitop2_b32 v24, 7, v2 bitop3:0x40
; %bb.207:                              ;   in Loop: Header=BB204_15 Depth=1
	s_or_b32 exec_lo, exec_lo, s17
	s_delay_alu instid0(VALU_DEP_1) | instskip(NEXT) | instid1(VALU_DEP_2)
	v_dual_lshlrev_b32 v1, 24, v1 :: v_dual_lshlrev_b32 v2, 20, v24
	v_lshl_add_u32 v0, v0, 23, 0x3c000000
	s_delay_alu instid0(VALU_DEP_2) | instskip(NEXT) | instid1(VALU_DEP_1)
	v_and_b32_e32 v1, 0x80000000, v1
	v_or3_b32 v1, v2, v1, v0
	v_mov_b32_e32 v0, v25
	scratch_store_b64 off, v[0:1], s32 offset:392 ; 8-byte Folded Spill
.LBB204_208:                            ;   in Loop: Header=BB204_15 Depth=1
	s_wait_xcnt 0x0
	s_or_b32 exec_lo, exec_lo, s16
.LBB204_209:                            ;   in Loop: Header=BB204_15 Depth=1
	s_delay_alu instid0(SALU_CYCLE_1)
	s_or_b32 exec_lo, exec_lo, s15
.LBB204_210:                            ;   in Loop: Header=BB204_15 Depth=1
	s_delay_alu instid0(SALU_CYCLE_1)
	s_or_b32 exec_lo, exec_lo, s14
	flat_load_b32 v0, v[78:79] offset:520
	v_mov_b64_e32 v[48:49], 0
	v_mov_b64_e32 v[2:3], 0
	s_mov_b32 s14, exec_lo
	scratch_store_b64 off, v[2:3], s32 offset:408 ; 8-byte Folded Spill
	s_wait_loadcnt_dscnt 0x0
	v_and_b32_e32 v1, 0xff, v0
	s_wait_xcnt 0x0
	s_delay_alu instid0(VALU_DEP_1)
	v_cmpx_ne_u16_e32 0, v1
	s_cbranch_execz .LBB204_218
; %bb.211:                              ;   in Loop: Header=BB204_15 Depth=1
	v_mov_b64_e32 v[2:3], 0x80000000
	s_mov_b32 s15, exec_lo
	scratch_store_b64 off, v[2:3], s32 offset:408 ; 8-byte Folded Spill
	s_wait_xcnt 0x0
	v_cmpx_ne_u16_e32 0x80, v1
	s_cbranch_execz .LBB204_217
; %bb.212:                              ;   in Loop: Header=BB204_15 Depth=1
	v_mov_b64_e32 v[4:5], 0x7f800001
	v_and_b32_e32 v2, 0x7f, v0
	s_mov_b32 s16, exec_lo
	scratch_store_b64 off, v[4:5], s32 offset:408 ; 8-byte Folded Spill
	s_wait_xcnt 0x0
	v_cmpx_ne_u32_e32 0x7f, v2
	s_cbranch_execz .LBB204_216
; %bb.213:                              ;   in Loop: Header=BB204_15 Depth=1
	v_dual_lshrrev_b32 v1, 3, v2 :: v_dual_bitop2_b32 v24, 7, v0 bitop3:0x40
	s_mov_b32 s17, exec_lo
	v_cmpx_gt_u32_e32 8, v2
; %bb.214:                              ;   in Loop: Header=BB204_15 Depth=1
	s_delay_alu instid0(VALU_DEP_2) | instskip(NEXT) | instid1(VALU_DEP_1)
	v_clz_i32_u32_e32 v1, v24
	v_min_u32_e32 v1, 32, v1
	s_delay_alu instid0(VALU_DEP_1) | instskip(NEXT) | instid1(VALU_DEP_1)
	v_subrev_nc_u32_e32 v2, 28, v1
	v_lshlrev_b64_e32 v[2:3], v2, v[24:25]
	s_delay_alu instid0(VALU_DEP_1)
	v_dual_sub_nc_u32 v1, 29, v1 :: v_dual_bitop2_b32 v24, 7, v2 bitop3:0x40
; %bb.215:                              ;   in Loop: Header=BB204_15 Depth=1
	s_or_b32 exec_lo, exec_lo, s17
	v_lshlrev_b32_e32 v2, 24, v0
	s_delay_alu instid0(VALU_DEP_2) | instskip(NEXT) | instid1(VALU_DEP_3)
	v_lshlrev_b32_e32 v3, 20, v24
	v_lshl_add_u32 v1, v1, 23, 0x3c000000
	s_delay_alu instid0(VALU_DEP_3) | instskip(NEXT) | instid1(VALU_DEP_1)
	v_and_b32_e32 v2, 0x80000000, v2
	v_or3_b32 v24, v3, v2, v1
	scratch_store_b64 off, v[24:25], s32 offset:408 ; 8-byte Folded Spill
.LBB204_216:                            ;   in Loop: Header=BB204_15 Depth=1
	s_wait_xcnt 0x0
	s_or_b32 exec_lo, exec_lo, s16
.LBB204_217:                            ;   in Loop: Header=BB204_15 Depth=1
	s_delay_alu instid0(SALU_CYCLE_1)
	s_or_b32 exec_lo, exec_lo, s15
.LBB204_218:                            ;   in Loop: Header=BB204_15 Depth=1
	s_delay_alu instid0(SALU_CYCLE_1) | instskip(SKIP_2) | instid1(VALU_DEP_1)
	s_or_b32 exec_lo, exec_lo, s14
	v_lshrrev_b16 v1, 8, v0
	s_mov_b32 s14, exec_lo
	v_cmpx_ne_u16_e32 0, v1
	s_cbranch_execz .LBB204_226
; %bb.219:                              ;   in Loop: Header=BB204_15 Depth=1
	v_mov_b64_e32 v[48:49], 0x8000000000000000
	s_mov_b32 s15, exec_lo
	v_cmpx_ne_u16_e32 0x80, v1
	s_cbranch_execz .LBB204_225
; %bb.220:                              ;   in Loop: Header=BB204_15 Depth=1
	v_and_b32_e32 v1, 0xffff, v1
	v_mov_b64_e32 v[48:49], 0x7f80000100000000
	s_mov_b32 s16, exec_lo
	s_delay_alu instid0(VALU_DEP_2) | instskip(NEXT) | instid1(VALU_DEP_1)
	v_and_b32_e32 v2, 0x7f, v1
	v_cmpx_ne_u32_e32 0x7f, v2
	s_cbranch_execz .LBB204_224
; %bb.221:                              ;   in Loop: Header=BB204_15 Depth=1
	v_dual_lshrrev_b32 v1, 3, v2 :: v_dual_bitop2_b32 v24, 7, v1 bitop3:0x40
	s_mov_b32 s17, exec_lo
	v_cmpx_gt_u32_e32 8, v2
; %bb.222:                              ;   in Loop: Header=BB204_15 Depth=1
	s_delay_alu instid0(VALU_DEP_2) | instskip(NEXT) | instid1(VALU_DEP_1)
	v_clz_i32_u32_e32 v1, v24
	v_min_u32_e32 v1, 32, v1
	s_delay_alu instid0(VALU_DEP_1) | instskip(NEXT) | instid1(VALU_DEP_1)
	v_subrev_nc_u32_e32 v2, 28, v1
	v_lshlrev_b64_e32 v[2:3], v2, v[24:25]
	s_delay_alu instid0(VALU_DEP_1)
	v_dual_sub_nc_u32 v1, 29, v1 :: v_dual_bitop2_b32 v24, 7, v2 bitop3:0x40
; %bb.223:                              ;   in Loop: Header=BB204_15 Depth=1
	s_or_b32 exec_lo, exec_lo, s17
	v_dual_lshlrev_b32 v2, 16, v0 :: v_dual_mov_b32 v48, v25
	s_delay_alu instid0(VALU_DEP_2) | instskip(NEXT) | instid1(VALU_DEP_3)
	v_lshlrev_b32_e32 v3, 20, v24
	v_lshl_add_u32 v1, v1, 23, 0x3c000000
	s_delay_alu instid0(VALU_DEP_3) | instskip(NEXT) | instid1(VALU_DEP_1)
	v_and_b32_e32 v2, 0x80000000, v2
	v_or3_b32 v49, v3, v2, v1
.LBB204_224:                            ;   in Loop: Header=BB204_15 Depth=1
	s_or_b32 exec_lo, exec_lo, s16
.LBB204_225:                            ;   in Loop: Header=BB204_15 Depth=1
	s_delay_alu instid0(SALU_CYCLE_1)
	s_or_b32 exec_lo, exec_lo, s15
.LBB204_226:                            ;   in Loop: Header=BB204_15 Depth=1
	s_delay_alu instid0(SALU_CYCLE_1) | instskip(SKIP_4) | instid1(VALU_DEP_3)
	s_or_b32 exec_lo, exec_lo, s14
	v_lshrrev_b32_e32 v1, 16, v0
	v_mov_b64_e32 v[52:53], 0
	v_mov_b64_e32 v[54:55], 0
	s_mov_b32 s14, exec_lo
	v_and_b32_e32 v2, 0xff, v1
	s_delay_alu instid0(VALU_DEP_1)
	v_cmpx_ne_u16_e32 0, v2
	s_cbranch_execz .LBB204_234
; %bb.227:                              ;   in Loop: Header=BB204_15 Depth=1
	v_mov_b64_e32 v[54:55], 0x80000000
	s_mov_b32 s15, exec_lo
	v_cmpx_ne_u16_e32 0x80, v2
	s_cbranch_execz .LBB204_233
; %bb.228:                              ;   in Loop: Header=BB204_15 Depth=1
	v_mov_b64_e32 v[54:55], 0x7f800001
	v_bfe_u32 v3, v0, 16, 7
	s_mov_b32 s16, exec_lo
	s_delay_alu instid0(VALU_DEP_1)
	v_cmpx_ne_u32_e32 0x7f, v3
	s_cbranch_execz .LBB204_232
; %bb.229:                              ;   in Loop: Header=BB204_15 Depth=1
	v_dual_lshrrev_b32 v2, 3, v3 :: v_dual_bitop2_b32 v24, 7, v1 bitop3:0x40
	s_mov_b32 s17, exec_lo
	v_cmpx_gt_u32_e32 8, v3
; %bb.230:                              ;   in Loop: Header=BB204_15 Depth=1
	s_delay_alu instid0(VALU_DEP_2) | instskip(NEXT) | instid1(VALU_DEP_1)
	v_clz_i32_u32_e32 v2, v24
	v_min_u32_e32 v2, 32, v2
	s_delay_alu instid0(VALU_DEP_1) | instskip(NEXT) | instid1(VALU_DEP_1)
	v_subrev_nc_u32_e32 v3, 28, v2
	v_lshlrev_b64_e32 v[4:5], v3, v[24:25]
	s_delay_alu instid0(VALU_DEP_1)
	v_dual_sub_nc_u32 v2, 29, v2 :: v_dual_bitop2_b32 v24, 7, v4 bitop3:0x40
; %bb.231:                              ;   in Loop: Header=BB204_15 Depth=1
	s_or_b32 exec_lo, exec_lo, s17
	s_delay_alu instid0(VALU_DEP_1) | instskip(NEXT) | instid1(VALU_DEP_2)
	v_dual_lshlrev_b32 v1, 24, v1 :: v_dual_lshlrev_b32 v3, 20, v24
	v_lshl_add_u32 v2, v2, 23, 0x3c000000
	s_delay_alu instid0(VALU_DEP_2) | instskip(NEXT) | instid1(VALU_DEP_1)
	v_and_b32_e32 v1, 0x80000000, v1
	v_or3_b32 v24, v3, v1, v2
	s_delay_alu instid0(VALU_DEP_1)
	v_mov_b64_e32 v[54:55], v[24:25]
.LBB204_232:                            ;   in Loop: Header=BB204_15 Depth=1
	s_or_b32 exec_lo, exec_lo, s16
.LBB204_233:                            ;   in Loop: Header=BB204_15 Depth=1
	s_delay_alu instid0(SALU_CYCLE_1)
	s_or_b32 exec_lo, exec_lo, s15
.LBB204_234:                            ;   in Loop: Header=BB204_15 Depth=1
	s_delay_alu instid0(SALU_CYCLE_1) | instskip(NEXT) | instid1(SALU_CYCLE_1)
	s_or_b32 exec_lo, exec_lo, s14
	s_mov_b32 s14, exec_lo
	v_cmpx_lt_u32_e32 0xffffff, v0
	s_cbranch_execz .LBB204_242
; %bb.235:                              ;   in Loop: Header=BB204_15 Depth=1
	v_mov_b64_e32 v[52:53], 0x8000000000000000
	v_lshrrev_b32_e32 v1, 24, v0
	s_mov_b32 s15, exec_lo
	s_delay_alu instid0(VALU_DEP_1)
	v_cmpx_ne_u32_e32 0x80, v1
	s_cbranch_execz .LBB204_241
; %bb.236:                              ;   in Loop: Header=BB204_15 Depth=1
	v_mov_b64_e32 v[52:53], 0x7f80000100000000
	v_bfe_u32 v2, v0, 24, 7
	s_mov_b32 s16, exec_lo
	s_delay_alu instid0(VALU_DEP_1)
	v_cmpx_ne_u32_e32 0x7f, v2
	s_cbranch_execz .LBB204_240
; %bb.237:                              ;   in Loop: Header=BB204_15 Depth=1
	v_dual_lshrrev_b32 v0, 3, v2 :: v_dual_bitop2_b32 v24, 7, v1 bitop3:0x40
	s_mov_b32 s17, exec_lo
	v_cmpx_gt_u32_e32 8, v2
; %bb.238:                              ;   in Loop: Header=BB204_15 Depth=1
	s_delay_alu instid0(VALU_DEP_2) | instskip(NEXT) | instid1(VALU_DEP_1)
	v_clz_i32_u32_e32 v0, v24
	v_min_u32_e32 v0, 32, v0
	s_delay_alu instid0(VALU_DEP_1) | instskip(NEXT) | instid1(VALU_DEP_1)
	v_subrev_nc_u32_e32 v2, 28, v0
	v_lshlrev_b64_e32 v[2:3], v2, v[24:25]
	s_delay_alu instid0(VALU_DEP_1)
	v_dual_sub_nc_u32 v0, 29, v0 :: v_dual_bitop2_b32 v24, 7, v2 bitop3:0x40
; %bb.239:                              ;   in Loop: Header=BB204_15 Depth=1
	s_or_b32 exec_lo, exec_lo, s17
	s_delay_alu instid0(VALU_DEP_1) | instskip(NEXT) | instid1(VALU_DEP_2)
	v_dual_lshlrev_b32 v1, 24, v1 :: v_dual_lshlrev_b32 v2, 20, v24
	v_lshl_add_u32 v0, v0, 23, 0x3c000000
	v_mov_b32_e32 v52, v25
	s_delay_alu instid0(VALU_DEP_3) | instskip(NEXT) | instid1(VALU_DEP_1)
	v_and_b32_e32 v1, 0x80000000, v1
	v_or3_b32 v53, v2, v1, v0
.LBB204_240:                            ;   in Loop: Header=BB204_15 Depth=1
	s_or_b32 exec_lo, exec_lo, s16
.LBB204_241:                            ;   in Loop: Header=BB204_15 Depth=1
	s_delay_alu instid0(SALU_CYCLE_1)
	s_or_b32 exec_lo, exec_lo, s15
.LBB204_242:                            ;   in Loop: Header=BB204_15 Depth=1
	s_delay_alu instid0(SALU_CYCLE_1)
	s_or_b32 exec_lo, exec_lo, s14
	flat_load_b32 v0, v[78:79] offset:524
	v_mov_b64_e32 v[64:65], 0
	v_mov_b64_e32 v[66:67], 0
	s_mov_b32 s14, exec_lo
	s_wait_loadcnt_dscnt 0x0
	v_and_b32_e32 v1, 0xff, v0
	s_wait_xcnt 0x0
	s_delay_alu instid0(VALU_DEP_1)
	v_cmpx_ne_u16_e32 0, v1
	s_cbranch_execz .LBB204_250
; %bb.243:                              ;   in Loop: Header=BB204_15 Depth=1
	v_mov_b64_e32 v[66:67], 0x80000000
	s_mov_b32 s15, exec_lo
	v_cmpx_ne_u16_e32 0x80, v1
	s_cbranch_execz .LBB204_249
; %bb.244:                              ;   in Loop: Header=BB204_15 Depth=1
	v_mov_b64_e32 v[66:67], 0x7f800001
	v_and_b32_e32 v2, 0x7f, v0
	s_mov_b32 s16, exec_lo
	s_delay_alu instid0(VALU_DEP_1)
	v_cmpx_ne_u32_e32 0x7f, v2
	s_cbranch_execz .LBB204_248
; %bb.245:                              ;   in Loop: Header=BB204_15 Depth=1
	v_dual_lshrrev_b32 v1, 3, v2 :: v_dual_bitop2_b32 v24, 7, v0 bitop3:0x40
	s_mov_b32 s17, exec_lo
	v_cmpx_gt_u32_e32 8, v2
; %bb.246:                              ;   in Loop: Header=BB204_15 Depth=1
	s_delay_alu instid0(VALU_DEP_2) | instskip(NEXT) | instid1(VALU_DEP_1)
	v_clz_i32_u32_e32 v1, v24
	v_min_u32_e32 v1, 32, v1
	s_delay_alu instid0(VALU_DEP_1) | instskip(NEXT) | instid1(VALU_DEP_1)
	v_subrev_nc_u32_e32 v2, 28, v1
	v_lshlrev_b64_e32 v[2:3], v2, v[24:25]
	s_delay_alu instid0(VALU_DEP_1)
	v_dual_sub_nc_u32 v1, 29, v1 :: v_dual_bitop2_b32 v24, 7, v2 bitop3:0x40
; %bb.247:                              ;   in Loop: Header=BB204_15 Depth=1
	s_or_b32 exec_lo, exec_lo, s17
	v_lshlrev_b32_e32 v2, 24, v0
	s_delay_alu instid0(VALU_DEP_2) | instskip(NEXT) | instid1(VALU_DEP_3)
	v_lshlrev_b32_e32 v3, 20, v24
	v_lshl_add_u32 v1, v1, 23, 0x3c000000
	s_delay_alu instid0(VALU_DEP_3) | instskip(NEXT) | instid1(VALU_DEP_1)
	v_and_b32_e32 v2, 0x80000000, v2
	v_or3_b32 v24, v3, v2, v1
	s_delay_alu instid0(VALU_DEP_1)
	v_mov_b64_e32 v[66:67], v[24:25]
.LBB204_248:                            ;   in Loop: Header=BB204_15 Depth=1
	s_or_b32 exec_lo, exec_lo, s16
.LBB204_249:                            ;   in Loop: Header=BB204_15 Depth=1
	s_delay_alu instid0(SALU_CYCLE_1)
	s_or_b32 exec_lo, exec_lo, s15
.LBB204_250:                            ;   in Loop: Header=BB204_15 Depth=1
	s_delay_alu instid0(SALU_CYCLE_1) | instskip(SKIP_2) | instid1(VALU_DEP_1)
	s_or_b32 exec_lo, exec_lo, s14
	v_lshrrev_b16 v1, 8, v0
	s_mov_b32 s14, exec_lo
	v_cmpx_ne_u16_e32 0, v1
	s_cbranch_execz .LBB204_258
; %bb.251:                              ;   in Loop: Header=BB204_15 Depth=1
	v_mov_b64_e32 v[64:65], 0x8000000000000000
	s_mov_b32 s15, exec_lo
	v_cmpx_ne_u16_e32 0x80, v1
	s_cbranch_execz .LBB204_257
; %bb.252:                              ;   in Loop: Header=BB204_15 Depth=1
	v_and_b32_e32 v1, 0xffff, v1
	v_mov_b64_e32 v[64:65], 0x7f80000100000000
	s_mov_b32 s16, exec_lo
	s_delay_alu instid0(VALU_DEP_2) | instskip(NEXT) | instid1(VALU_DEP_1)
	v_and_b32_e32 v2, 0x7f, v1
	v_cmpx_ne_u32_e32 0x7f, v2
	s_cbranch_execz .LBB204_256
; %bb.253:                              ;   in Loop: Header=BB204_15 Depth=1
	v_dual_lshrrev_b32 v1, 3, v2 :: v_dual_bitop2_b32 v24, 7, v1 bitop3:0x40
	s_mov_b32 s17, exec_lo
	v_cmpx_gt_u32_e32 8, v2
; %bb.254:                              ;   in Loop: Header=BB204_15 Depth=1
	s_delay_alu instid0(VALU_DEP_2) | instskip(NEXT) | instid1(VALU_DEP_1)
	v_clz_i32_u32_e32 v1, v24
	v_min_u32_e32 v1, 32, v1
	s_delay_alu instid0(VALU_DEP_1) | instskip(NEXT) | instid1(VALU_DEP_1)
	v_subrev_nc_u32_e32 v2, 28, v1
	v_lshlrev_b64_e32 v[2:3], v2, v[24:25]
	s_delay_alu instid0(VALU_DEP_1)
	v_dual_sub_nc_u32 v1, 29, v1 :: v_dual_bitop2_b32 v24, 7, v2 bitop3:0x40
; %bb.255:                              ;   in Loop: Header=BB204_15 Depth=1
	s_or_b32 exec_lo, exec_lo, s17
	v_dual_lshlrev_b32 v2, 16, v0 :: v_dual_mov_b32 v64, v25
	s_delay_alu instid0(VALU_DEP_2) | instskip(NEXT) | instid1(VALU_DEP_3)
	v_lshlrev_b32_e32 v3, 20, v24
	v_lshl_add_u32 v1, v1, 23, 0x3c000000
	s_delay_alu instid0(VALU_DEP_3) | instskip(NEXT) | instid1(VALU_DEP_1)
	v_and_b32_e32 v2, 0x80000000, v2
	v_or3_b32 v65, v3, v2, v1
.LBB204_256:                            ;   in Loop: Header=BB204_15 Depth=1
	s_or_b32 exec_lo, exec_lo, s16
.LBB204_257:                            ;   in Loop: Header=BB204_15 Depth=1
	s_delay_alu instid0(SALU_CYCLE_1)
	s_or_b32 exec_lo, exec_lo, s15
.LBB204_258:                            ;   in Loop: Header=BB204_15 Depth=1
	s_delay_alu instid0(SALU_CYCLE_1) | instskip(SKIP_4) | instid1(VALU_DEP_3)
	s_or_b32 exec_lo, exec_lo, s14
	v_lshrrev_b32_e32 v1, 16, v0
	v_mov_b64_e32 v[68:69], 0
	v_mov_b64_e32 v[70:71], 0
	s_mov_b32 s14, exec_lo
	v_and_b32_e32 v2, 0xff, v1
	s_delay_alu instid0(VALU_DEP_1)
	v_cmpx_ne_u16_e32 0, v2
	s_cbranch_execz .LBB204_266
; %bb.259:                              ;   in Loop: Header=BB204_15 Depth=1
	v_mov_b64_e32 v[70:71], 0x80000000
	s_mov_b32 s15, exec_lo
	v_cmpx_ne_u16_e32 0x80, v2
	s_cbranch_execz .LBB204_265
; %bb.260:                              ;   in Loop: Header=BB204_15 Depth=1
	v_mov_b64_e32 v[70:71], 0x7f800001
	v_bfe_u32 v3, v0, 16, 7
	s_mov_b32 s16, exec_lo
	s_delay_alu instid0(VALU_DEP_1)
	v_cmpx_ne_u32_e32 0x7f, v3
	s_cbranch_execz .LBB204_264
; %bb.261:                              ;   in Loop: Header=BB204_15 Depth=1
	v_dual_lshrrev_b32 v2, 3, v3 :: v_dual_bitop2_b32 v24, 7, v1 bitop3:0x40
	s_mov_b32 s17, exec_lo
	v_cmpx_gt_u32_e32 8, v3
; %bb.262:                              ;   in Loop: Header=BB204_15 Depth=1
	s_delay_alu instid0(VALU_DEP_2) | instskip(NEXT) | instid1(VALU_DEP_1)
	v_clz_i32_u32_e32 v2, v24
	v_min_u32_e32 v2, 32, v2
	s_delay_alu instid0(VALU_DEP_1) | instskip(NEXT) | instid1(VALU_DEP_1)
	v_subrev_nc_u32_e32 v3, 28, v2
	v_lshlrev_b64_e32 v[4:5], v3, v[24:25]
	s_delay_alu instid0(VALU_DEP_1)
	v_dual_sub_nc_u32 v2, 29, v2 :: v_dual_bitop2_b32 v24, 7, v4 bitop3:0x40
; %bb.263:                              ;   in Loop: Header=BB204_15 Depth=1
	s_or_b32 exec_lo, exec_lo, s17
	s_delay_alu instid0(VALU_DEP_1) | instskip(NEXT) | instid1(VALU_DEP_2)
	v_dual_lshlrev_b32 v1, 24, v1 :: v_dual_lshlrev_b32 v3, 20, v24
	v_lshl_add_u32 v2, v2, 23, 0x3c000000
	s_delay_alu instid0(VALU_DEP_2) | instskip(NEXT) | instid1(VALU_DEP_1)
	v_and_b32_e32 v1, 0x80000000, v1
	v_or3_b32 v24, v3, v1, v2
	s_delay_alu instid0(VALU_DEP_1)
	v_mov_b64_e32 v[70:71], v[24:25]
.LBB204_264:                            ;   in Loop: Header=BB204_15 Depth=1
	s_or_b32 exec_lo, exec_lo, s16
.LBB204_265:                            ;   in Loop: Header=BB204_15 Depth=1
	s_delay_alu instid0(SALU_CYCLE_1)
	s_or_b32 exec_lo, exec_lo, s15
.LBB204_266:                            ;   in Loop: Header=BB204_15 Depth=1
	s_delay_alu instid0(SALU_CYCLE_1) | instskip(NEXT) | instid1(SALU_CYCLE_1)
	s_or_b32 exec_lo, exec_lo, s14
	s_mov_b32 s14, exec_lo
	v_cmpx_lt_u32_e32 0xffffff, v0
	s_cbranch_execz .LBB204_274
; %bb.267:                              ;   in Loop: Header=BB204_15 Depth=1
	v_mov_b64_e32 v[68:69], 0x8000000000000000
	v_lshrrev_b32_e32 v1, 24, v0
	s_mov_b32 s15, exec_lo
	s_delay_alu instid0(VALU_DEP_1)
	v_cmpx_ne_u32_e32 0x80, v1
	s_cbranch_execz .LBB204_273
; %bb.268:                              ;   in Loop: Header=BB204_15 Depth=1
	v_mov_b64_e32 v[68:69], 0x7f80000100000000
	v_bfe_u32 v2, v0, 24, 7
	s_mov_b32 s16, exec_lo
	s_delay_alu instid0(VALU_DEP_1)
	v_cmpx_ne_u32_e32 0x7f, v2
	s_cbranch_execz .LBB204_272
; %bb.269:                              ;   in Loop: Header=BB204_15 Depth=1
	v_dual_lshrrev_b32 v0, 3, v2 :: v_dual_bitop2_b32 v24, 7, v1 bitop3:0x40
	s_mov_b32 s17, exec_lo
	v_cmpx_gt_u32_e32 8, v2
; %bb.270:                              ;   in Loop: Header=BB204_15 Depth=1
	s_delay_alu instid0(VALU_DEP_2) | instskip(NEXT) | instid1(VALU_DEP_1)
	v_clz_i32_u32_e32 v0, v24
	v_min_u32_e32 v0, 32, v0
	s_delay_alu instid0(VALU_DEP_1) | instskip(NEXT) | instid1(VALU_DEP_1)
	v_subrev_nc_u32_e32 v2, 28, v0
	v_lshlrev_b64_e32 v[2:3], v2, v[24:25]
	s_delay_alu instid0(VALU_DEP_1)
	v_dual_sub_nc_u32 v0, 29, v0 :: v_dual_bitop2_b32 v24, 7, v2 bitop3:0x40
; %bb.271:                              ;   in Loop: Header=BB204_15 Depth=1
	s_or_b32 exec_lo, exec_lo, s17
	s_delay_alu instid0(VALU_DEP_1) | instskip(NEXT) | instid1(VALU_DEP_2)
	v_dual_lshlrev_b32 v1, 24, v1 :: v_dual_lshlrev_b32 v2, 20, v24
	v_lshl_add_u32 v0, v0, 23, 0x3c000000
	v_mov_b32_e32 v68, v25
	s_delay_alu instid0(VALU_DEP_3) | instskip(NEXT) | instid1(VALU_DEP_1)
	v_and_b32_e32 v1, 0x80000000, v1
	v_or3_b32 v69, v2, v1, v0
.LBB204_272:                            ;   in Loop: Header=BB204_15 Depth=1
	s_or_b32 exec_lo, exec_lo, s16
.LBB204_273:                            ;   in Loop: Header=BB204_15 Depth=1
	s_delay_alu instid0(SALU_CYCLE_1)
	s_or_b32 exec_lo, exec_lo, s15
.LBB204_274:                            ;   in Loop: Header=BB204_15 Depth=1
	s_delay_alu instid0(SALU_CYCLE_1)
	s_or_b32 exec_lo, exec_lo, s14
	flat_load_b32 v0, v[78:79] offset:1024
	v_mov_b64_e32 v[80:81], 0
	v_mov_b64_e32 v[82:83], 0
	s_mov_b32 s14, exec_lo
	s_wait_loadcnt_dscnt 0x0
	v_and_b32_e32 v1, 0xff, v0
	s_wait_xcnt 0x0
	s_delay_alu instid0(VALU_DEP_1)
	v_cmpx_ne_u16_e32 0, v1
	s_cbranch_execz .LBB204_282
; %bb.275:                              ;   in Loop: Header=BB204_15 Depth=1
	v_mov_b64_e32 v[82:83], 0x80000000
	s_mov_b32 s15, exec_lo
	v_cmpx_ne_u16_e32 0x80, v1
	s_cbranch_execz .LBB204_281
; %bb.276:                              ;   in Loop: Header=BB204_15 Depth=1
	v_mov_b64_e32 v[82:83], 0x7f800001
	v_and_b32_e32 v2, 0x7f, v0
	s_mov_b32 s16, exec_lo
	s_delay_alu instid0(VALU_DEP_1)
	v_cmpx_ne_u32_e32 0x7f, v2
	s_cbranch_execz .LBB204_280
; %bb.277:                              ;   in Loop: Header=BB204_15 Depth=1
	v_dual_lshrrev_b32 v1, 3, v2 :: v_dual_bitop2_b32 v24, 7, v0 bitop3:0x40
	s_mov_b32 s17, exec_lo
	v_cmpx_gt_u32_e32 8, v2
; %bb.278:                              ;   in Loop: Header=BB204_15 Depth=1
	s_delay_alu instid0(VALU_DEP_2) | instskip(NEXT) | instid1(VALU_DEP_1)
	v_clz_i32_u32_e32 v1, v24
	v_min_u32_e32 v1, 32, v1
	s_delay_alu instid0(VALU_DEP_1) | instskip(NEXT) | instid1(VALU_DEP_1)
	v_subrev_nc_u32_e32 v2, 28, v1
	v_lshlrev_b64_e32 v[2:3], v2, v[24:25]
	s_delay_alu instid0(VALU_DEP_1)
	v_dual_sub_nc_u32 v1, 29, v1 :: v_dual_bitop2_b32 v24, 7, v2 bitop3:0x40
; %bb.279:                              ;   in Loop: Header=BB204_15 Depth=1
	s_or_b32 exec_lo, exec_lo, s17
	v_lshlrev_b32_e32 v2, 24, v0
	s_delay_alu instid0(VALU_DEP_2) | instskip(NEXT) | instid1(VALU_DEP_3)
	v_lshlrev_b32_e32 v3, 20, v24
	v_lshl_add_u32 v1, v1, 23, 0x3c000000
	s_delay_alu instid0(VALU_DEP_3) | instskip(NEXT) | instid1(VALU_DEP_1)
	v_and_b32_e32 v2, 0x80000000, v2
	v_or3_b32 v24, v3, v2, v1
	s_delay_alu instid0(VALU_DEP_1)
	v_mov_b64_e32 v[82:83], v[24:25]
.LBB204_280:                            ;   in Loop: Header=BB204_15 Depth=1
	s_or_b32 exec_lo, exec_lo, s16
.LBB204_281:                            ;   in Loop: Header=BB204_15 Depth=1
	s_delay_alu instid0(SALU_CYCLE_1)
	s_or_b32 exec_lo, exec_lo, s15
.LBB204_282:                            ;   in Loop: Header=BB204_15 Depth=1
	s_delay_alu instid0(SALU_CYCLE_1) | instskip(SKIP_2) | instid1(VALU_DEP_1)
	s_or_b32 exec_lo, exec_lo, s14
	v_lshrrev_b16 v1, 8, v0
	s_mov_b32 s14, exec_lo
	v_cmpx_ne_u16_e32 0, v1
	s_cbranch_execz .LBB204_290
; %bb.283:                              ;   in Loop: Header=BB204_15 Depth=1
	v_mov_b64_e32 v[80:81], 0x8000000000000000
	s_mov_b32 s15, exec_lo
	v_cmpx_ne_u16_e32 0x80, v1
	s_cbranch_execz .LBB204_289
; %bb.284:                              ;   in Loop: Header=BB204_15 Depth=1
	v_and_b32_e32 v1, 0xffff, v1
	v_mov_b64_e32 v[80:81], 0x7f80000100000000
	s_mov_b32 s16, exec_lo
	s_delay_alu instid0(VALU_DEP_2) | instskip(NEXT) | instid1(VALU_DEP_1)
	v_and_b32_e32 v2, 0x7f, v1
	v_cmpx_ne_u32_e32 0x7f, v2
	s_cbranch_execz .LBB204_288
; %bb.285:                              ;   in Loop: Header=BB204_15 Depth=1
	v_dual_lshrrev_b32 v1, 3, v2 :: v_dual_bitop2_b32 v24, 7, v1 bitop3:0x40
	s_mov_b32 s17, exec_lo
	v_cmpx_gt_u32_e32 8, v2
; %bb.286:                              ;   in Loop: Header=BB204_15 Depth=1
	s_delay_alu instid0(VALU_DEP_2) | instskip(NEXT) | instid1(VALU_DEP_1)
	v_clz_i32_u32_e32 v1, v24
	v_min_u32_e32 v1, 32, v1
	s_delay_alu instid0(VALU_DEP_1) | instskip(NEXT) | instid1(VALU_DEP_1)
	v_subrev_nc_u32_e32 v2, 28, v1
	v_lshlrev_b64_e32 v[2:3], v2, v[24:25]
	s_delay_alu instid0(VALU_DEP_1)
	v_dual_sub_nc_u32 v1, 29, v1 :: v_dual_bitop2_b32 v24, 7, v2 bitop3:0x40
; %bb.287:                              ;   in Loop: Header=BB204_15 Depth=1
	s_or_b32 exec_lo, exec_lo, s17
	v_dual_lshlrev_b32 v2, 16, v0 :: v_dual_mov_b32 v80, v25
	s_delay_alu instid0(VALU_DEP_2) | instskip(NEXT) | instid1(VALU_DEP_3)
	v_lshlrev_b32_e32 v3, 20, v24
	v_lshl_add_u32 v1, v1, 23, 0x3c000000
	s_delay_alu instid0(VALU_DEP_3) | instskip(NEXT) | instid1(VALU_DEP_1)
	v_and_b32_e32 v2, 0x80000000, v2
	v_or3_b32 v81, v3, v2, v1
.LBB204_288:                            ;   in Loop: Header=BB204_15 Depth=1
	s_or_b32 exec_lo, exec_lo, s16
.LBB204_289:                            ;   in Loop: Header=BB204_15 Depth=1
	s_delay_alu instid0(SALU_CYCLE_1)
	s_or_b32 exec_lo, exec_lo, s15
.LBB204_290:                            ;   in Loop: Header=BB204_15 Depth=1
	s_delay_alu instid0(SALU_CYCLE_1) | instskip(SKIP_4) | instid1(VALU_DEP_3)
	s_or_b32 exec_lo, exec_lo, s14
	v_lshrrev_b32_e32 v1, 16, v0
	v_mov_b64_e32 v[84:85], 0
	v_mov_b64_e32 v[86:87], 0
	s_mov_b32 s14, exec_lo
	v_and_b32_e32 v2, 0xff, v1
	s_delay_alu instid0(VALU_DEP_1)
	v_cmpx_ne_u16_e32 0, v2
	s_cbranch_execz .LBB204_298
; %bb.291:                              ;   in Loop: Header=BB204_15 Depth=1
	v_mov_b64_e32 v[86:87], 0x80000000
	s_mov_b32 s15, exec_lo
	v_cmpx_ne_u16_e32 0x80, v2
	s_cbranch_execz .LBB204_297
; %bb.292:                              ;   in Loop: Header=BB204_15 Depth=1
	v_mov_b64_e32 v[86:87], 0x7f800001
	v_bfe_u32 v3, v0, 16, 7
	s_mov_b32 s16, exec_lo
	s_delay_alu instid0(VALU_DEP_1)
	v_cmpx_ne_u32_e32 0x7f, v3
	s_cbranch_execz .LBB204_296
; %bb.293:                              ;   in Loop: Header=BB204_15 Depth=1
	v_dual_lshrrev_b32 v2, 3, v3 :: v_dual_bitop2_b32 v24, 7, v1 bitop3:0x40
	s_mov_b32 s17, exec_lo
	v_cmpx_gt_u32_e32 8, v3
; %bb.294:                              ;   in Loop: Header=BB204_15 Depth=1
	s_delay_alu instid0(VALU_DEP_2) | instskip(NEXT) | instid1(VALU_DEP_1)
	v_clz_i32_u32_e32 v2, v24
	v_min_u32_e32 v2, 32, v2
	s_delay_alu instid0(VALU_DEP_1) | instskip(NEXT) | instid1(VALU_DEP_1)
	v_subrev_nc_u32_e32 v3, 28, v2
	v_lshlrev_b64_e32 v[4:5], v3, v[24:25]
	s_delay_alu instid0(VALU_DEP_1)
	v_dual_sub_nc_u32 v2, 29, v2 :: v_dual_bitop2_b32 v24, 7, v4 bitop3:0x40
; %bb.295:                              ;   in Loop: Header=BB204_15 Depth=1
	s_or_b32 exec_lo, exec_lo, s17
	s_delay_alu instid0(VALU_DEP_1) | instskip(NEXT) | instid1(VALU_DEP_2)
	v_dual_lshlrev_b32 v1, 24, v1 :: v_dual_lshlrev_b32 v3, 20, v24
	v_lshl_add_u32 v2, v2, 23, 0x3c000000
	s_delay_alu instid0(VALU_DEP_2) | instskip(NEXT) | instid1(VALU_DEP_1)
	v_and_b32_e32 v1, 0x80000000, v1
	v_or3_b32 v24, v3, v1, v2
	s_delay_alu instid0(VALU_DEP_1)
	v_mov_b64_e32 v[86:87], v[24:25]
.LBB204_296:                            ;   in Loop: Header=BB204_15 Depth=1
	s_or_b32 exec_lo, exec_lo, s16
.LBB204_297:                            ;   in Loop: Header=BB204_15 Depth=1
	s_delay_alu instid0(SALU_CYCLE_1)
	s_or_b32 exec_lo, exec_lo, s15
.LBB204_298:                            ;   in Loop: Header=BB204_15 Depth=1
	s_delay_alu instid0(SALU_CYCLE_1) | instskip(NEXT) | instid1(SALU_CYCLE_1)
	s_or_b32 exec_lo, exec_lo, s14
	s_mov_b32 s14, exec_lo
	v_cmpx_lt_u32_e32 0xffffff, v0
	s_cbranch_execz .LBB204_306
; %bb.299:                              ;   in Loop: Header=BB204_15 Depth=1
	v_mov_b64_e32 v[84:85], 0x8000000000000000
	v_lshrrev_b32_e32 v1, 24, v0
	s_mov_b32 s15, exec_lo
	s_delay_alu instid0(VALU_DEP_1)
	v_cmpx_ne_u32_e32 0x80, v1
	s_cbranch_execz .LBB204_305
; %bb.300:                              ;   in Loop: Header=BB204_15 Depth=1
	v_mov_b64_e32 v[84:85], 0x7f80000100000000
	v_bfe_u32 v2, v0, 24, 7
	s_mov_b32 s16, exec_lo
	s_delay_alu instid0(VALU_DEP_1)
	v_cmpx_ne_u32_e32 0x7f, v2
	s_cbranch_execz .LBB204_304
; %bb.301:                              ;   in Loop: Header=BB204_15 Depth=1
	v_dual_lshrrev_b32 v0, 3, v2 :: v_dual_bitop2_b32 v24, 7, v1 bitop3:0x40
	s_mov_b32 s17, exec_lo
	v_cmpx_gt_u32_e32 8, v2
; %bb.302:                              ;   in Loop: Header=BB204_15 Depth=1
	s_delay_alu instid0(VALU_DEP_2) | instskip(NEXT) | instid1(VALU_DEP_1)
	v_clz_i32_u32_e32 v0, v24
	v_min_u32_e32 v0, 32, v0
	s_delay_alu instid0(VALU_DEP_1) | instskip(NEXT) | instid1(VALU_DEP_1)
	v_subrev_nc_u32_e32 v2, 28, v0
	v_lshlrev_b64_e32 v[2:3], v2, v[24:25]
	s_delay_alu instid0(VALU_DEP_1)
	v_dual_sub_nc_u32 v0, 29, v0 :: v_dual_bitop2_b32 v24, 7, v2 bitop3:0x40
; %bb.303:                              ;   in Loop: Header=BB204_15 Depth=1
	s_or_b32 exec_lo, exec_lo, s17
	s_delay_alu instid0(VALU_DEP_1) | instskip(NEXT) | instid1(VALU_DEP_2)
	v_dual_lshlrev_b32 v1, 24, v1 :: v_dual_lshlrev_b32 v2, 20, v24
	v_lshl_add_u32 v0, v0, 23, 0x3c000000
	v_mov_b32_e32 v84, v25
	s_delay_alu instid0(VALU_DEP_3) | instskip(NEXT) | instid1(VALU_DEP_1)
	v_and_b32_e32 v1, 0x80000000, v1
	v_or3_b32 v85, v2, v1, v0
.LBB204_304:                            ;   in Loop: Header=BB204_15 Depth=1
	s_or_b32 exec_lo, exec_lo, s16
.LBB204_305:                            ;   in Loop: Header=BB204_15 Depth=1
	s_delay_alu instid0(SALU_CYCLE_1)
	s_or_b32 exec_lo, exec_lo, s15
.LBB204_306:                            ;   in Loop: Header=BB204_15 Depth=1
	s_delay_alu instid0(SALU_CYCLE_1)
	s_or_b32 exec_lo, exec_lo, s14
	flat_load_b32 v0, v[78:79] offset:1028
	v_mov_b64_e32 v[96:97], 0
	v_mov_b64_e32 v[98:99], 0
	s_mov_b32 s14, exec_lo
	s_wait_loadcnt_dscnt 0x0
	v_and_b32_e32 v1, 0xff, v0
	s_wait_xcnt 0x0
	s_delay_alu instid0(VALU_DEP_1)
	v_cmpx_ne_u16_e32 0, v1
	s_cbranch_execz .LBB204_314
; %bb.307:                              ;   in Loop: Header=BB204_15 Depth=1
	v_mov_b64_e32 v[98:99], 0x80000000
	s_mov_b32 s15, exec_lo
	v_cmpx_ne_u16_e32 0x80, v1
	s_cbranch_execz .LBB204_313
; %bb.308:                              ;   in Loop: Header=BB204_15 Depth=1
	v_mov_b64_e32 v[98:99], 0x7f800001
	v_and_b32_e32 v2, 0x7f, v0
	s_mov_b32 s16, exec_lo
	s_delay_alu instid0(VALU_DEP_1)
	v_cmpx_ne_u32_e32 0x7f, v2
	s_cbranch_execz .LBB204_312
; %bb.309:                              ;   in Loop: Header=BB204_15 Depth=1
	v_dual_lshrrev_b32 v1, 3, v2 :: v_dual_bitop2_b32 v24, 7, v0 bitop3:0x40
	s_mov_b32 s17, exec_lo
	v_cmpx_gt_u32_e32 8, v2
; %bb.310:                              ;   in Loop: Header=BB204_15 Depth=1
	s_delay_alu instid0(VALU_DEP_2) | instskip(NEXT) | instid1(VALU_DEP_1)
	v_clz_i32_u32_e32 v1, v24
	v_min_u32_e32 v1, 32, v1
	s_delay_alu instid0(VALU_DEP_1) | instskip(NEXT) | instid1(VALU_DEP_1)
	v_subrev_nc_u32_e32 v2, 28, v1
	v_lshlrev_b64_e32 v[2:3], v2, v[24:25]
	s_delay_alu instid0(VALU_DEP_1)
	v_dual_sub_nc_u32 v1, 29, v1 :: v_dual_bitop2_b32 v24, 7, v2 bitop3:0x40
; %bb.311:                              ;   in Loop: Header=BB204_15 Depth=1
	s_or_b32 exec_lo, exec_lo, s17
	v_lshlrev_b32_e32 v2, 24, v0
	s_delay_alu instid0(VALU_DEP_2) | instskip(NEXT) | instid1(VALU_DEP_3)
	v_lshlrev_b32_e32 v3, 20, v24
	v_lshl_add_u32 v1, v1, 23, 0x3c000000
	s_delay_alu instid0(VALU_DEP_3) | instskip(NEXT) | instid1(VALU_DEP_1)
	v_and_b32_e32 v2, 0x80000000, v2
	v_or3_b32 v24, v3, v2, v1
	s_delay_alu instid0(VALU_DEP_1)
	v_mov_b64_e32 v[98:99], v[24:25]
.LBB204_312:                            ;   in Loop: Header=BB204_15 Depth=1
	s_or_b32 exec_lo, exec_lo, s16
.LBB204_313:                            ;   in Loop: Header=BB204_15 Depth=1
	s_delay_alu instid0(SALU_CYCLE_1)
	s_or_b32 exec_lo, exec_lo, s15
.LBB204_314:                            ;   in Loop: Header=BB204_15 Depth=1
	s_delay_alu instid0(SALU_CYCLE_1) | instskip(SKIP_2) | instid1(VALU_DEP_1)
	s_or_b32 exec_lo, exec_lo, s14
	v_lshrrev_b16 v1, 8, v0
	s_mov_b32 s14, exec_lo
	v_cmpx_ne_u16_e32 0, v1
	s_cbranch_execz .LBB204_322
; %bb.315:                              ;   in Loop: Header=BB204_15 Depth=1
	v_mov_b64_e32 v[96:97], 0x8000000000000000
	s_mov_b32 s15, exec_lo
	v_cmpx_ne_u16_e32 0x80, v1
	s_cbranch_execz .LBB204_321
; %bb.316:                              ;   in Loop: Header=BB204_15 Depth=1
	v_and_b32_e32 v1, 0xffff, v1
	v_mov_b64_e32 v[96:97], 0x7f80000100000000
	s_mov_b32 s16, exec_lo
	s_delay_alu instid0(VALU_DEP_2) | instskip(NEXT) | instid1(VALU_DEP_1)
	v_and_b32_e32 v2, 0x7f, v1
	v_cmpx_ne_u32_e32 0x7f, v2
	s_cbranch_execz .LBB204_320
; %bb.317:                              ;   in Loop: Header=BB204_15 Depth=1
	v_dual_lshrrev_b32 v1, 3, v2 :: v_dual_bitop2_b32 v24, 7, v1 bitop3:0x40
	s_mov_b32 s17, exec_lo
	v_cmpx_gt_u32_e32 8, v2
; %bb.318:                              ;   in Loop: Header=BB204_15 Depth=1
	s_delay_alu instid0(VALU_DEP_2) | instskip(NEXT) | instid1(VALU_DEP_1)
	v_clz_i32_u32_e32 v1, v24
	v_min_u32_e32 v1, 32, v1
	s_delay_alu instid0(VALU_DEP_1) | instskip(NEXT) | instid1(VALU_DEP_1)
	v_subrev_nc_u32_e32 v2, 28, v1
	v_lshlrev_b64_e32 v[2:3], v2, v[24:25]
	s_delay_alu instid0(VALU_DEP_1)
	v_dual_sub_nc_u32 v1, 29, v1 :: v_dual_bitop2_b32 v24, 7, v2 bitop3:0x40
; %bb.319:                              ;   in Loop: Header=BB204_15 Depth=1
	s_or_b32 exec_lo, exec_lo, s17
	v_dual_lshlrev_b32 v2, 16, v0 :: v_dual_mov_b32 v96, v25
	s_delay_alu instid0(VALU_DEP_2) | instskip(NEXT) | instid1(VALU_DEP_3)
	v_lshlrev_b32_e32 v3, 20, v24
	v_lshl_add_u32 v1, v1, 23, 0x3c000000
	s_delay_alu instid0(VALU_DEP_3) | instskip(NEXT) | instid1(VALU_DEP_1)
	v_and_b32_e32 v2, 0x80000000, v2
	v_or3_b32 v97, v3, v2, v1
.LBB204_320:                            ;   in Loop: Header=BB204_15 Depth=1
	s_or_b32 exec_lo, exec_lo, s16
.LBB204_321:                            ;   in Loop: Header=BB204_15 Depth=1
	s_delay_alu instid0(SALU_CYCLE_1)
	s_or_b32 exec_lo, exec_lo, s15
.LBB204_322:                            ;   in Loop: Header=BB204_15 Depth=1
	s_delay_alu instid0(SALU_CYCLE_1) | instskip(SKIP_4) | instid1(VALU_DEP_3)
	s_or_b32 exec_lo, exec_lo, s14
	v_lshrrev_b32_e32 v1, 16, v0
	v_mov_b64_e32 v[100:101], 0
	v_mov_b64_e32 v[102:103], 0
	s_mov_b32 s14, exec_lo
	v_and_b32_e32 v2, 0xff, v1
	s_delay_alu instid0(VALU_DEP_1)
	v_cmpx_ne_u16_e32 0, v2
	s_cbranch_execz .LBB204_330
; %bb.323:                              ;   in Loop: Header=BB204_15 Depth=1
	v_mov_b64_e32 v[102:103], 0x80000000
	s_mov_b32 s15, exec_lo
	v_cmpx_ne_u16_e32 0x80, v2
	s_cbranch_execz .LBB204_329
; %bb.324:                              ;   in Loop: Header=BB204_15 Depth=1
	v_mov_b64_e32 v[102:103], 0x7f800001
	v_bfe_u32 v3, v0, 16, 7
	s_mov_b32 s16, exec_lo
	s_delay_alu instid0(VALU_DEP_1)
	v_cmpx_ne_u32_e32 0x7f, v3
	s_cbranch_execz .LBB204_328
; %bb.325:                              ;   in Loop: Header=BB204_15 Depth=1
	v_dual_lshrrev_b32 v2, 3, v3 :: v_dual_bitop2_b32 v24, 7, v1 bitop3:0x40
	s_mov_b32 s17, exec_lo
	v_cmpx_gt_u32_e32 8, v3
; %bb.326:                              ;   in Loop: Header=BB204_15 Depth=1
	s_delay_alu instid0(VALU_DEP_2) | instskip(NEXT) | instid1(VALU_DEP_1)
	v_clz_i32_u32_e32 v2, v24
	v_min_u32_e32 v2, 32, v2
	s_delay_alu instid0(VALU_DEP_1) | instskip(NEXT) | instid1(VALU_DEP_1)
	v_subrev_nc_u32_e32 v3, 28, v2
	v_lshlrev_b64_e32 v[4:5], v3, v[24:25]
	s_delay_alu instid0(VALU_DEP_1)
	v_dual_sub_nc_u32 v2, 29, v2 :: v_dual_bitop2_b32 v24, 7, v4 bitop3:0x40
; %bb.327:                              ;   in Loop: Header=BB204_15 Depth=1
	s_or_b32 exec_lo, exec_lo, s17
	s_delay_alu instid0(VALU_DEP_1) | instskip(NEXT) | instid1(VALU_DEP_2)
	v_dual_lshlrev_b32 v1, 24, v1 :: v_dual_lshlrev_b32 v3, 20, v24
	v_lshl_add_u32 v2, v2, 23, 0x3c000000
	s_delay_alu instid0(VALU_DEP_2) | instskip(NEXT) | instid1(VALU_DEP_1)
	v_and_b32_e32 v1, 0x80000000, v1
	v_or3_b32 v24, v3, v1, v2
	s_delay_alu instid0(VALU_DEP_1)
	v_mov_b64_e32 v[102:103], v[24:25]
.LBB204_328:                            ;   in Loop: Header=BB204_15 Depth=1
	s_or_b32 exec_lo, exec_lo, s16
.LBB204_329:                            ;   in Loop: Header=BB204_15 Depth=1
	s_delay_alu instid0(SALU_CYCLE_1)
	s_or_b32 exec_lo, exec_lo, s15
.LBB204_330:                            ;   in Loop: Header=BB204_15 Depth=1
	s_delay_alu instid0(SALU_CYCLE_1) | instskip(NEXT) | instid1(SALU_CYCLE_1)
	s_or_b32 exec_lo, exec_lo, s14
	s_mov_b32 s14, exec_lo
	v_cmpx_lt_u32_e32 0xffffff, v0
	s_cbranch_execz .LBB204_338
; %bb.331:                              ;   in Loop: Header=BB204_15 Depth=1
	v_mov_b64_e32 v[100:101], 0x8000000000000000
	v_lshrrev_b32_e32 v1, 24, v0
	s_mov_b32 s15, exec_lo
	s_delay_alu instid0(VALU_DEP_1)
	v_cmpx_ne_u32_e32 0x80, v1
	s_cbranch_execz .LBB204_337
; %bb.332:                              ;   in Loop: Header=BB204_15 Depth=1
	v_mov_b64_e32 v[100:101], 0x7f80000100000000
	v_bfe_u32 v2, v0, 24, 7
	s_mov_b32 s16, exec_lo
	s_delay_alu instid0(VALU_DEP_1)
	v_cmpx_ne_u32_e32 0x7f, v2
	s_cbranch_execz .LBB204_336
; %bb.333:                              ;   in Loop: Header=BB204_15 Depth=1
	v_dual_lshrrev_b32 v0, 3, v2 :: v_dual_bitop2_b32 v24, 7, v1 bitop3:0x40
	s_mov_b32 s17, exec_lo
	v_cmpx_gt_u32_e32 8, v2
; %bb.334:                              ;   in Loop: Header=BB204_15 Depth=1
	s_delay_alu instid0(VALU_DEP_2) | instskip(NEXT) | instid1(VALU_DEP_1)
	v_clz_i32_u32_e32 v0, v24
	v_min_u32_e32 v0, 32, v0
	s_delay_alu instid0(VALU_DEP_1) | instskip(NEXT) | instid1(VALU_DEP_1)
	v_subrev_nc_u32_e32 v2, 28, v0
	v_lshlrev_b64_e32 v[2:3], v2, v[24:25]
	s_delay_alu instid0(VALU_DEP_1)
	v_dual_sub_nc_u32 v0, 29, v0 :: v_dual_bitop2_b32 v24, 7, v2 bitop3:0x40
; %bb.335:                              ;   in Loop: Header=BB204_15 Depth=1
	s_or_b32 exec_lo, exec_lo, s17
	s_delay_alu instid0(VALU_DEP_1) | instskip(NEXT) | instid1(VALU_DEP_2)
	v_dual_lshlrev_b32 v1, 24, v1 :: v_dual_lshlrev_b32 v2, 20, v24
	v_lshl_add_u32 v0, v0, 23, 0x3c000000
	v_mov_b32_e32 v100, v25
	s_delay_alu instid0(VALU_DEP_3) | instskip(NEXT) | instid1(VALU_DEP_1)
	v_and_b32_e32 v1, 0x80000000, v1
	v_or3_b32 v101, v2, v1, v0
.LBB204_336:                            ;   in Loop: Header=BB204_15 Depth=1
	s_or_b32 exec_lo, exec_lo, s16
.LBB204_337:                            ;   in Loop: Header=BB204_15 Depth=1
	s_delay_alu instid0(SALU_CYCLE_1)
	s_or_b32 exec_lo, exec_lo, s15
.LBB204_338:                            ;   in Loop: Header=BB204_15 Depth=1
	s_delay_alu instid0(SALU_CYCLE_1)
	s_or_b32 exec_lo, exec_lo, s14
	flat_load_b32 v0, v[78:79] offset:1032
	v_mov_b64_e32 v[112:113], 0
	v_mov_b64_e32 v[114:115], 0
	s_mov_b32 s14, exec_lo
	s_wait_loadcnt_dscnt 0x0
	v_and_b32_e32 v1, 0xff, v0
	s_wait_xcnt 0x0
	s_delay_alu instid0(VALU_DEP_1)
	v_cmpx_ne_u16_e32 0, v1
	s_cbranch_execz .LBB204_346
; %bb.339:                              ;   in Loop: Header=BB204_15 Depth=1
	v_mov_b64_e32 v[114:115], 0x80000000
	s_mov_b32 s15, exec_lo
	v_cmpx_ne_u16_e32 0x80, v1
	s_cbranch_execz .LBB204_345
; %bb.340:                              ;   in Loop: Header=BB204_15 Depth=1
	v_mov_b64_e32 v[114:115], 0x7f800001
	v_and_b32_e32 v2, 0x7f, v0
	s_mov_b32 s16, exec_lo
	s_delay_alu instid0(VALU_DEP_1)
	v_cmpx_ne_u32_e32 0x7f, v2
	s_cbranch_execz .LBB204_344
; %bb.341:                              ;   in Loop: Header=BB204_15 Depth=1
	v_dual_lshrrev_b32 v1, 3, v2 :: v_dual_bitop2_b32 v24, 7, v0 bitop3:0x40
	s_mov_b32 s17, exec_lo
	v_cmpx_gt_u32_e32 8, v2
; %bb.342:                              ;   in Loop: Header=BB204_15 Depth=1
	s_delay_alu instid0(VALU_DEP_2) | instskip(NEXT) | instid1(VALU_DEP_1)
	v_clz_i32_u32_e32 v1, v24
	v_min_u32_e32 v1, 32, v1
	s_delay_alu instid0(VALU_DEP_1) | instskip(NEXT) | instid1(VALU_DEP_1)
	v_subrev_nc_u32_e32 v2, 28, v1
	v_lshlrev_b64_e32 v[2:3], v2, v[24:25]
	s_delay_alu instid0(VALU_DEP_1)
	v_dual_sub_nc_u32 v1, 29, v1 :: v_dual_bitop2_b32 v24, 7, v2 bitop3:0x40
; %bb.343:                              ;   in Loop: Header=BB204_15 Depth=1
	s_or_b32 exec_lo, exec_lo, s17
	v_lshlrev_b32_e32 v2, 24, v0
	s_delay_alu instid0(VALU_DEP_2) | instskip(NEXT) | instid1(VALU_DEP_3)
	v_lshlrev_b32_e32 v3, 20, v24
	v_lshl_add_u32 v1, v1, 23, 0x3c000000
	s_delay_alu instid0(VALU_DEP_3) | instskip(NEXT) | instid1(VALU_DEP_1)
	v_and_b32_e32 v2, 0x80000000, v2
	v_or3_b32 v24, v3, v2, v1
	s_delay_alu instid0(VALU_DEP_1)
	v_mov_b64_e32 v[114:115], v[24:25]
.LBB204_344:                            ;   in Loop: Header=BB204_15 Depth=1
	s_or_b32 exec_lo, exec_lo, s16
.LBB204_345:                            ;   in Loop: Header=BB204_15 Depth=1
	s_delay_alu instid0(SALU_CYCLE_1)
	s_or_b32 exec_lo, exec_lo, s15
.LBB204_346:                            ;   in Loop: Header=BB204_15 Depth=1
	s_delay_alu instid0(SALU_CYCLE_1) | instskip(SKIP_2) | instid1(VALU_DEP_1)
	s_or_b32 exec_lo, exec_lo, s14
	v_lshrrev_b16 v1, 8, v0
	s_mov_b32 s14, exec_lo
	v_cmpx_ne_u16_e32 0, v1
	s_cbranch_execz .LBB204_354
; %bb.347:                              ;   in Loop: Header=BB204_15 Depth=1
	v_mov_b64_e32 v[112:113], 0x8000000000000000
	s_mov_b32 s15, exec_lo
	v_cmpx_ne_u16_e32 0x80, v1
	s_cbranch_execz .LBB204_353
; %bb.348:                              ;   in Loop: Header=BB204_15 Depth=1
	v_and_b32_e32 v1, 0xffff, v1
	v_mov_b64_e32 v[112:113], 0x7f80000100000000
	s_mov_b32 s16, exec_lo
	s_delay_alu instid0(VALU_DEP_2) | instskip(NEXT) | instid1(VALU_DEP_1)
	v_and_b32_e32 v2, 0x7f, v1
	v_cmpx_ne_u32_e32 0x7f, v2
	s_cbranch_execz .LBB204_352
; %bb.349:                              ;   in Loop: Header=BB204_15 Depth=1
	v_dual_lshrrev_b32 v1, 3, v2 :: v_dual_bitop2_b32 v24, 7, v1 bitop3:0x40
	s_mov_b32 s17, exec_lo
	v_cmpx_gt_u32_e32 8, v2
; %bb.350:                              ;   in Loop: Header=BB204_15 Depth=1
	s_delay_alu instid0(VALU_DEP_2) | instskip(NEXT) | instid1(VALU_DEP_1)
	v_clz_i32_u32_e32 v1, v24
	v_min_u32_e32 v1, 32, v1
	s_delay_alu instid0(VALU_DEP_1) | instskip(NEXT) | instid1(VALU_DEP_1)
	v_subrev_nc_u32_e32 v2, 28, v1
	v_lshlrev_b64_e32 v[2:3], v2, v[24:25]
	s_delay_alu instid0(VALU_DEP_1)
	v_dual_sub_nc_u32 v1, 29, v1 :: v_dual_bitop2_b32 v24, 7, v2 bitop3:0x40
; %bb.351:                              ;   in Loop: Header=BB204_15 Depth=1
	s_or_b32 exec_lo, exec_lo, s17
	v_dual_lshlrev_b32 v2, 16, v0 :: v_dual_mov_b32 v112, v25
	s_delay_alu instid0(VALU_DEP_2) | instskip(NEXT) | instid1(VALU_DEP_3)
	v_lshlrev_b32_e32 v3, 20, v24
	v_lshl_add_u32 v1, v1, 23, 0x3c000000
	s_delay_alu instid0(VALU_DEP_3) | instskip(NEXT) | instid1(VALU_DEP_1)
	v_and_b32_e32 v2, 0x80000000, v2
	v_or3_b32 v113, v3, v2, v1
.LBB204_352:                            ;   in Loop: Header=BB204_15 Depth=1
	s_or_b32 exec_lo, exec_lo, s16
.LBB204_353:                            ;   in Loop: Header=BB204_15 Depth=1
	s_delay_alu instid0(SALU_CYCLE_1)
	s_or_b32 exec_lo, exec_lo, s15
.LBB204_354:                            ;   in Loop: Header=BB204_15 Depth=1
	s_delay_alu instid0(SALU_CYCLE_1) | instskip(SKIP_4) | instid1(VALU_DEP_3)
	s_or_b32 exec_lo, exec_lo, s14
	v_lshrrev_b32_e32 v1, 16, v0
	v_mov_b64_e32 v[116:117], 0
	v_mov_b64_e32 v[36:37], 0
	s_mov_b32 s14, exec_lo
	v_and_b32_e32 v2, 0xff, v1
	s_delay_alu instid0(VALU_DEP_1)
	v_cmpx_ne_u16_e32 0, v2
	s_cbranch_execz .LBB204_362
; %bb.355:                              ;   in Loop: Header=BB204_15 Depth=1
	v_mov_b64_e32 v[36:37], 0x80000000
	s_mov_b32 s15, exec_lo
	v_cmpx_ne_u16_e32 0x80, v2
	s_cbranch_execz .LBB204_361
; %bb.356:                              ;   in Loop: Header=BB204_15 Depth=1
	v_mov_b64_e32 v[36:37], 0x7f800001
	v_bfe_u32 v3, v0, 16, 7
	s_mov_b32 s16, exec_lo
	s_delay_alu instid0(VALU_DEP_1)
	v_cmpx_ne_u32_e32 0x7f, v3
	s_cbranch_execz .LBB204_360
; %bb.357:                              ;   in Loop: Header=BB204_15 Depth=1
	v_dual_lshrrev_b32 v2, 3, v3 :: v_dual_bitop2_b32 v24, 7, v1 bitop3:0x40
	s_mov_b32 s17, exec_lo
	v_cmpx_gt_u32_e32 8, v3
; %bb.358:                              ;   in Loop: Header=BB204_15 Depth=1
	s_delay_alu instid0(VALU_DEP_2) | instskip(NEXT) | instid1(VALU_DEP_1)
	v_clz_i32_u32_e32 v2, v24
	v_min_u32_e32 v2, 32, v2
	s_delay_alu instid0(VALU_DEP_1) | instskip(NEXT) | instid1(VALU_DEP_1)
	v_subrev_nc_u32_e32 v3, 28, v2
	v_lshlrev_b64_e32 v[4:5], v3, v[24:25]
	s_delay_alu instid0(VALU_DEP_1)
	v_dual_sub_nc_u32 v2, 29, v2 :: v_dual_bitop2_b32 v24, 7, v4 bitop3:0x40
; %bb.359:                              ;   in Loop: Header=BB204_15 Depth=1
	s_or_b32 exec_lo, exec_lo, s17
	s_delay_alu instid0(VALU_DEP_1) | instskip(NEXT) | instid1(VALU_DEP_2)
	v_dual_lshlrev_b32 v1, 24, v1 :: v_dual_lshlrev_b32 v3, 20, v24
	v_lshl_add_u32 v2, v2, 23, 0x3c000000
	s_delay_alu instid0(VALU_DEP_2) | instskip(NEXT) | instid1(VALU_DEP_1)
	v_and_b32_e32 v1, 0x80000000, v1
	v_or3_b32 v24, v3, v1, v2
	s_delay_alu instid0(VALU_DEP_1)
	v_mov_b64_e32 v[36:37], v[24:25]
.LBB204_360:                            ;   in Loop: Header=BB204_15 Depth=1
	s_or_b32 exec_lo, exec_lo, s16
.LBB204_361:                            ;   in Loop: Header=BB204_15 Depth=1
	s_delay_alu instid0(SALU_CYCLE_1)
	s_or_b32 exec_lo, exec_lo, s15
.LBB204_362:                            ;   in Loop: Header=BB204_15 Depth=1
	s_delay_alu instid0(SALU_CYCLE_1) | instskip(NEXT) | instid1(SALU_CYCLE_1)
	s_or_b32 exec_lo, exec_lo, s14
	s_mov_b32 s14, exec_lo
	v_cmpx_lt_u32_e32 0xffffff, v0
	s_cbranch_execz .LBB204_370
; %bb.363:                              ;   in Loop: Header=BB204_15 Depth=1
	v_mov_b64_e32 v[116:117], 0x8000000000000000
	v_lshrrev_b32_e32 v1, 24, v0
	s_mov_b32 s15, exec_lo
	s_delay_alu instid0(VALU_DEP_1)
	v_cmpx_ne_u32_e32 0x80, v1
	s_cbranch_execz .LBB204_369
; %bb.364:                              ;   in Loop: Header=BB204_15 Depth=1
	v_mov_b64_e32 v[116:117], 0x7f80000100000000
	v_bfe_u32 v2, v0, 24, 7
	s_mov_b32 s16, exec_lo
	s_delay_alu instid0(VALU_DEP_1)
	v_cmpx_ne_u32_e32 0x7f, v2
	s_cbranch_execz .LBB204_368
; %bb.365:                              ;   in Loop: Header=BB204_15 Depth=1
	v_dual_lshrrev_b32 v0, 3, v2 :: v_dual_bitop2_b32 v24, 7, v1 bitop3:0x40
	s_mov_b32 s17, exec_lo
	v_cmpx_gt_u32_e32 8, v2
; %bb.366:                              ;   in Loop: Header=BB204_15 Depth=1
	s_delay_alu instid0(VALU_DEP_2) | instskip(NEXT) | instid1(VALU_DEP_1)
	v_clz_i32_u32_e32 v0, v24
	v_min_u32_e32 v0, 32, v0
	s_delay_alu instid0(VALU_DEP_1) | instskip(NEXT) | instid1(VALU_DEP_1)
	v_subrev_nc_u32_e32 v2, 28, v0
	v_lshlrev_b64_e32 v[2:3], v2, v[24:25]
	s_delay_alu instid0(VALU_DEP_1)
	v_dual_sub_nc_u32 v0, 29, v0 :: v_dual_bitop2_b32 v24, 7, v2 bitop3:0x40
; %bb.367:                              ;   in Loop: Header=BB204_15 Depth=1
	s_or_b32 exec_lo, exec_lo, s17
	s_delay_alu instid0(VALU_DEP_1) | instskip(NEXT) | instid1(VALU_DEP_2)
	v_dual_lshlrev_b32 v1, 24, v1 :: v_dual_lshlrev_b32 v2, 20, v24
	v_lshl_add_u32 v0, v0, 23, 0x3c000000
	v_mov_b32_e32 v116, v25
	s_delay_alu instid0(VALU_DEP_3) | instskip(NEXT) | instid1(VALU_DEP_1)
	v_and_b32_e32 v1, 0x80000000, v1
	v_or3_b32 v117, v2, v1, v0
.LBB204_368:                            ;   in Loop: Header=BB204_15 Depth=1
	s_or_b32 exec_lo, exec_lo, s16
.LBB204_369:                            ;   in Loop: Header=BB204_15 Depth=1
	s_delay_alu instid0(SALU_CYCLE_1)
	s_or_b32 exec_lo, exec_lo, s15
.LBB204_370:                            ;   in Loop: Header=BB204_15 Depth=1
	s_delay_alu instid0(SALU_CYCLE_1)
	s_or_b32 exec_lo, exec_lo, s14
	flat_load_b32 v0, v[78:79] offset:1036
	v_mov_b64_e32 v[40:41], 0
	v_mov_b64_e32 v[42:43], 0
	s_mov_b32 s14, exec_lo
	s_wait_loadcnt_dscnt 0x0
	v_and_b32_e32 v1, 0xff, v0
	s_wait_xcnt 0x0
	s_delay_alu instid0(VALU_DEP_1)
	v_cmpx_ne_u16_e32 0, v1
	s_cbranch_execz .LBB204_378
; %bb.371:                              ;   in Loop: Header=BB204_15 Depth=1
	v_mov_b64_e32 v[42:43], 0x80000000
	s_mov_b32 s15, exec_lo
	v_cmpx_ne_u16_e32 0x80, v1
	s_cbranch_execz .LBB204_377
; %bb.372:                              ;   in Loop: Header=BB204_15 Depth=1
	v_mov_b64_e32 v[42:43], 0x7f800001
	v_and_b32_e32 v2, 0x7f, v0
	s_mov_b32 s16, exec_lo
	s_delay_alu instid0(VALU_DEP_1)
	v_cmpx_ne_u32_e32 0x7f, v2
	s_cbranch_execz .LBB204_376
; %bb.373:                              ;   in Loop: Header=BB204_15 Depth=1
	v_dual_lshrrev_b32 v1, 3, v2 :: v_dual_bitop2_b32 v24, 7, v0 bitop3:0x40
	s_mov_b32 s17, exec_lo
	v_cmpx_gt_u32_e32 8, v2
; %bb.374:                              ;   in Loop: Header=BB204_15 Depth=1
	s_delay_alu instid0(VALU_DEP_2) | instskip(NEXT) | instid1(VALU_DEP_1)
	v_clz_i32_u32_e32 v1, v24
	v_min_u32_e32 v1, 32, v1
	s_delay_alu instid0(VALU_DEP_1) | instskip(NEXT) | instid1(VALU_DEP_1)
	v_subrev_nc_u32_e32 v2, 28, v1
	v_lshlrev_b64_e32 v[2:3], v2, v[24:25]
	s_delay_alu instid0(VALU_DEP_1)
	v_dual_sub_nc_u32 v1, 29, v1 :: v_dual_bitop2_b32 v24, 7, v2 bitop3:0x40
; %bb.375:                              ;   in Loop: Header=BB204_15 Depth=1
	s_or_b32 exec_lo, exec_lo, s17
	v_lshlrev_b32_e32 v2, 24, v0
	s_delay_alu instid0(VALU_DEP_2) | instskip(NEXT) | instid1(VALU_DEP_3)
	v_lshlrev_b32_e32 v3, 20, v24
	v_lshl_add_u32 v1, v1, 23, 0x3c000000
	s_delay_alu instid0(VALU_DEP_3) | instskip(NEXT) | instid1(VALU_DEP_1)
	v_and_b32_e32 v2, 0x80000000, v2
	v_or3_b32 v24, v3, v2, v1
	s_delay_alu instid0(VALU_DEP_1)
	v_mov_b64_e32 v[42:43], v[24:25]
.LBB204_376:                            ;   in Loop: Header=BB204_15 Depth=1
	s_or_b32 exec_lo, exec_lo, s16
.LBB204_377:                            ;   in Loop: Header=BB204_15 Depth=1
	s_delay_alu instid0(SALU_CYCLE_1)
	s_or_b32 exec_lo, exec_lo, s15
.LBB204_378:                            ;   in Loop: Header=BB204_15 Depth=1
	s_delay_alu instid0(SALU_CYCLE_1) | instskip(SKIP_2) | instid1(VALU_DEP_1)
	s_or_b32 exec_lo, exec_lo, s14
	v_lshrrev_b16 v1, 8, v0
	s_mov_b32 s14, exec_lo
	v_cmpx_ne_u16_e32 0, v1
	s_cbranch_execz .LBB204_386
; %bb.379:                              ;   in Loop: Header=BB204_15 Depth=1
	v_mov_b64_e32 v[40:41], 0x8000000000000000
	s_mov_b32 s15, exec_lo
	v_cmpx_ne_u16_e32 0x80, v1
	s_cbranch_execz .LBB204_385
; %bb.380:                              ;   in Loop: Header=BB204_15 Depth=1
	v_and_b32_e32 v1, 0xffff, v1
	v_mov_b64_e32 v[40:41], 0x7f80000100000000
	s_mov_b32 s16, exec_lo
	s_delay_alu instid0(VALU_DEP_2) | instskip(NEXT) | instid1(VALU_DEP_1)
	v_and_b32_e32 v2, 0x7f, v1
	v_cmpx_ne_u32_e32 0x7f, v2
	s_cbranch_execz .LBB204_384
; %bb.381:                              ;   in Loop: Header=BB204_15 Depth=1
	v_dual_lshrrev_b32 v1, 3, v2 :: v_dual_bitop2_b32 v24, 7, v1 bitop3:0x40
	s_mov_b32 s17, exec_lo
	v_cmpx_gt_u32_e32 8, v2
; %bb.382:                              ;   in Loop: Header=BB204_15 Depth=1
	s_delay_alu instid0(VALU_DEP_2) | instskip(NEXT) | instid1(VALU_DEP_1)
	v_clz_i32_u32_e32 v1, v24
	v_min_u32_e32 v1, 32, v1
	s_delay_alu instid0(VALU_DEP_1) | instskip(NEXT) | instid1(VALU_DEP_1)
	v_subrev_nc_u32_e32 v2, 28, v1
	v_lshlrev_b64_e32 v[2:3], v2, v[24:25]
	s_delay_alu instid0(VALU_DEP_1)
	v_dual_sub_nc_u32 v1, 29, v1 :: v_dual_bitop2_b32 v24, 7, v2 bitop3:0x40
; %bb.383:                              ;   in Loop: Header=BB204_15 Depth=1
	s_or_b32 exec_lo, exec_lo, s17
	v_dual_lshlrev_b32 v2, 16, v0 :: v_dual_mov_b32 v40, v25
	s_delay_alu instid0(VALU_DEP_2) | instskip(NEXT) | instid1(VALU_DEP_3)
	v_lshlrev_b32_e32 v3, 20, v24
	v_lshl_add_u32 v1, v1, 23, 0x3c000000
	s_delay_alu instid0(VALU_DEP_3) | instskip(NEXT) | instid1(VALU_DEP_1)
	v_and_b32_e32 v2, 0x80000000, v2
	v_or3_b32 v41, v3, v2, v1
.LBB204_384:                            ;   in Loop: Header=BB204_15 Depth=1
	s_or_b32 exec_lo, exec_lo, s16
.LBB204_385:                            ;   in Loop: Header=BB204_15 Depth=1
	s_delay_alu instid0(SALU_CYCLE_1)
	s_or_b32 exec_lo, exec_lo, s15
.LBB204_386:                            ;   in Loop: Header=BB204_15 Depth=1
	s_delay_alu instid0(SALU_CYCLE_1) | instskip(SKIP_4) | instid1(VALU_DEP_3)
	s_or_b32 exec_lo, exec_lo, s14
	v_lshrrev_b32_e32 v1, 16, v0
	v_mov_b64_e32 v[44:45], 0
	v_mov_b64_e32 v[46:47], 0
	s_mov_b32 s14, exec_lo
	v_and_b32_e32 v2, 0xff, v1
	s_delay_alu instid0(VALU_DEP_1)
	v_cmpx_ne_u16_e32 0, v2
	s_cbranch_execz .LBB204_394
; %bb.387:                              ;   in Loop: Header=BB204_15 Depth=1
	v_mov_b64_e32 v[46:47], 0x80000000
	s_mov_b32 s15, exec_lo
	v_cmpx_ne_u16_e32 0x80, v2
	s_cbranch_execz .LBB204_393
; %bb.388:                              ;   in Loop: Header=BB204_15 Depth=1
	v_mov_b64_e32 v[46:47], 0x7f800001
	v_bfe_u32 v3, v0, 16, 7
	s_mov_b32 s16, exec_lo
	s_delay_alu instid0(VALU_DEP_1)
	v_cmpx_ne_u32_e32 0x7f, v3
	s_cbranch_execz .LBB204_392
; %bb.389:                              ;   in Loop: Header=BB204_15 Depth=1
	v_dual_lshrrev_b32 v2, 3, v3 :: v_dual_bitop2_b32 v24, 7, v1 bitop3:0x40
	s_mov_b32 s17, exec_lo
	v_cmpx_gt_u32_e32 8, v3
; %bb.390:                              ;   in Loop: Header=BB204_15 Depth=1
	s_delay_alu instid0(VALU_DEP_2) | instskip(NEXT) | instid1(VALU_DEP_1)
	v_clz_i32_u32_e32 v2, v24
	v_min_u32_e32 v2, 32, v2
	s_delay_alu instid0(VALU_DEP_1) | instskip(NEXT) | instid1(VALU_DEP_1)
	v_subrev_nc_u32_e32 v3, 28, v2
	v_lshlrev_b64_e32 v[4:5], v3, v[24:25]
	s_delay_alu instid0(VALU_DEP_1)
	v_dual_sub_nc_u32 v2, 29, v2 :: v_dual_bitop2_b32 v24, 7, v4 bitop3:0x40
; %bb.391:                              ;   in Loop: Header=BB204_15 Depth=1
	s_or_b32 exec_lo, exec_lo, s17
	s_delay_alu instid0(VALU_DEP_1) | instskip(NEXT) | instid1(VALU_DEP_2)
	v_dual_lshlrev_b32 v1, 24, v1 :: v_dual_lshlrev_b32 v3, 20, v24
	v_lshl_add_u32 v2, v2, 23, 0x3c000000
	s_delay_alu instid0(VALU_DEP_2) | instskip(NEXT) | instid1(VALU_DEP_1)
	v_and_b32_e32 v1, 0x80000000, v1
	v_or3_b32 v24, v3, v1, v2
	s_delay_alu instid0(VALU_DEP_1)
	v_mov_b64_e32 v[46:47], v[24:25]
.LBB204_392:                            ;   in Loop: Header=BB204_15 Depth=1
	s_or_b32 exec_lo, exec_lo, s16
.LBB204_393:                            ;   in Loop: Header=BB204_15 Depth=1
	s_delay_alu instid0(SALU_CYCLE_1)
	s_or_b32 exec_lo, exec_lo, s15
.LBB204_394:                            ;   in Loop: Header=BB204_15 Depth=1
	s_delay_alu instid0(SALU_CYCLE_1) | instskip(NEXT) | instid1(SALU_CYCLE_1)
	s_or_b32 exec_lo, exec_lo, s14
	s_mov_b32 s14, exec_lo
	v_cmpx_lt_u32_e32 0xffffff, v0
	s_cbranch_execz .LBB204_402
; %bb.395:                              ;   in Loop: Header=BB204_15 Depth=1
	v_mov_b64_e32 v[44:45], 0x8000000000000000
	v_lshrrev_b32_e32 v1, 24, v0
	s_mov_b32 s15, exec_lo
	s_delay_alu instid0(VALU_DEP_1)
	v_cmpx_ne_u32_e32 0x80, v1
	s_cbranch_execz .LBB204_401
; %bb.396:                              ;   in Loop: Header=BB204_15 Depth=1
	v_mov_b64_e32 v[44:45], 0x7f80000100000000
	v_bfe_u32 v2, v0, 24, 7
	s_mov_b32 s16, exec_lo
	s_delay_alu instid0(VALU_DEP_1)
	v_cmpx_ne_u32_e32 0x7f, v2
	s_cbranch_execz .LBB204_400
; %bb.397:                              ;   in Loop: Header=BB204_15 Depth=1
	v_dual_lshrrev_b32 v0, 3, v2 :: v_dual_bitop2_b32 v24, 7, v1 bitop3:0x40
	s_mov_b32 s17, exec_lo
	v_cmpx_gt_u32_e32 8, v2
; %bb.398:                              ;   in Loop: Header=BB204_15 Depth=1
	s_delay_alu instid0(VALU_DEP_2) | instskip(NEXT) | instid1(VALU_DEP_1)
	v_clz_i32_u32_e32 v0, v24
	v_min_u32_e32 v0, 32, v0
	s_delay_alu instid0(VALU_DEP_1) | instskip(NEXT) | instid1(VALU_DEP_1)
	v_subrev_nc_u32_e32 v2, 28, v0
	v_lshlrev_b64_e32 v[2:3], v2, v[24:25]
	s_delay_alu instid0(VALU_DEP_1)
	v_dual_sub_nc_u32 v0, 29, v0 :: v_dual_bitop2_b32 v24, 7, v2 bitop3:0x40
; %bb.399:                              ;   in Loop: Header=BB204_15 Depth=1
	s_or_b32 exec_lo, exec_lo, s17
	s_delay_alu instid0(VALU_DEP_1) | instskip(NEXT) | instid1(VALU_DEP_2)
	v_dual_lshlrev_b32 v1, 24, v1 :: v_dual_lshlrev_b32 v2, 20, v24
	v_lshl_add_u32 v0, v0, 23, 0x3c000000
	v_mov_b32_e32 v44, v25
	s_delay_alu instid0(VALU_DEP_3) | instskip(NEXT) | instid1(VALU_DEP_1)
	v_and_b32_e32 v1, 0x80000000, v1
	v_or3_b32 v45, v2, v1, v0
.LBB204_400:                            ;   in Loop: Header=BB204_15 Depth=1
	s_or_b32 exec_lo, exec_lo, s16
.LBB204_401:                            ;   in Loop: Header=BB204_15 Depth=1
	s_delay_alu instid0(SALU_CYCLE_1)
	s_or_b32 exec_lo, exec_lo, s15
.LBB204_402:                            ;   in Loop: Header=BB204_15 Depth=1
	s_delay_alu instid0(SALU_CYCLE_1)
	s_or_b32 exec_lo, exec_lo, s14
	flat_load_b32 v0, v[78:79] offset:1536
	v_mov_b64_e32 v[56:57], 0
	v_mov_b64_e32 v[58:59], 0
	s_mov_b32 s14, exec_lo
	s_wait_loadcnt_dscnt 0x0
	v_and_b32_e32 v1, 0xff, v0
	s_wait_xcnt 0x0
	s_delay_alu instid0(VALU_DEP_1)
	v_cmpx_ne_u16_e32 0, v1
	s_cbranch_execz .LBB204_410
; %bb.403:                              ;   in Loop: Header=BB204_15 Depth=1
	v_mov_b64_e32 v[58:59], 0x80000000
	s_mov_b32 s15, exec_lo
	v_cmpx_ne_u16_e32 0x80, v1
	s_cbranch_execz .LBB204_409
; %bb.404:                              ;   in Loop: Header=BB204_15 Depth=1
	v_mov_b64_e32 v[58:59], 0x7f800001
	v_and_b32_e32 v2, 0x7f, v0
	s_mov_b32 s16, exec_lo
	s_delay_alu instid0(VALU_DEP_1)
	v_cmpx_ne_u32_e32 0x7f, v2
	s_cbranch_execz .LBB204_408
; %bb.405:                              ;   in Loop: Header=BB204_15 Depth=1
	v_dual_lshrrev_b32 v1, 3, v2 :: v_dual_bitop2_b32 v24, 7, v0 bitop3:0x40
	s_mov_b32 s17, exec_lo
	v_cmpx_gt_u32_e32 8, v2
; %bb.406:                              ;   in Loop: Header=BB204_15 Depth=1
	s_delay_alu instid0(VALU_DEP_2) | instskip(NEXT) | instid1(VALU_DEP_1)
	v_clz_i32_u32_e32 v1, v24
	v_min_u32_e32 v1, 32, v1
	s_delay_alu instid0(VALU_DEP_1) | instskip(NEXT) | instid1(VALU_DEP_1)
	v_subrev_nc_u32_e32 v2, 28, v1
	v_lshlrev_b64_e32 v[2:3], v2, v[24:25]
	s_delay_alu instid0(VALU_DEP_1)
	v_dual_sub_nc_u32 v1, 29, v1 :: v_dual_bitop2_b32 v24, 7, v2 bitop3:0x40
; %bb.407:                              ;   in Loop: Header=BB204_15 Depth=1
	s_or_b32 exec_lo, exec_lo, s17
	v_lshlrev_b32_e32 v2, 24, v0
	s_delay_alu instid0(VALU_DEP_2) | instskip(NEXT) | instid1(VALU_DEP_3)
	v_lshlrev_b32_e32 v3, 20, v24
	v_lshl_add_u32 v1, v1, 23, 0x3c000000
	s_delay_alu instid0(VALU_DEP_3) | instskip(NEXT) | instid1(VALU_DEP_1)
	v_and_b32_e32 v2, 0x80000000, v2
	v_or3_b32 v24, v3, v2, v1
	s_delay_alu instid0(VALU_DEP_1)
	v_mov_b64_e32 v[58:59], v[24:25]
.LBB204_408:                            ;   in Loop: Header=BB204_15 Depth=1
	s_or_b32 exec_lo, exec_lo, s16
.LBB204_409:                            ;   in Loop: Header=BB204_15 Depth=1
	s_delay_alu instid0(SALU_CYCLE_1)
	s_or_b32 exec_lo, exec_lo, s15
.LBB204_410:                            ;   in Loop: Header=BB204_15 Depth=1
	s_delay_alu instid0(SALU_CYCLE_1) | instskip(SKIP_2) | instid1(VALU_DEP_1)
	s_or_b32 exec_lo, exec_lo, s14
	v_lshrrev_b16 v1, 8, v0
	s_mov_b32 s14, exec_lo
	v_cmpx_ne_u16_e32 0, v1
	s_cbranch_execz .LBB204_418
; %bb.411:                              ;   in Loop: Header=BB204_15 Depth=1
	v_mov_b64_e32 v[56:57], 0x8000000000000000
	s_mov_b32 s15, exec_lo
	v_cmpx_ne_u16_e32 0x80, v1
	s_cbranch_execz .LBB204_417
; %bb.412:                              ;   in Loop: Header=BB204_15 Depth=1
	v_and_b32_e32 v1, 0xffff, v1
	v_mov_b64_e32 v[56:57], 0x7f80000100000000
	s_mov_b32 s16, exec_lo
	s_delay_alu instid0(VALU_DEP_2) | instskip(NEXT) | instid1(VALU_DEP_1)
	v_and_b32_e32 v2, 0x7f, v1
	v_cmpx_ne_u32_e32 0x7f, v2
	s_cbranch_execz .LBB204_416
; %bb.413:                              ;   in Loop: Header=BB204_15 Depth=1
	v_dual_lshrrev_b32 v1, 3, v2 :: v_dual_bitop2_b32 v24, 7, v1 bitop3:0x40
	s_mov_b32 s17, exec_lo
	v_cmpx_gt_u32_e32 8, v2
; %bb.414:                              ;   in Loop: Header=BB204_15 Depth=1
	s_delay_alu instid0(VALU_DEP_2) | instskip(NEXT) | instid1(VALU_DEP_1)
	v_clz_i32_u32_e32 v1, v24
	v_min_u32_e32 v1, 32, v1
	s_delay_alu instid0(VALU_DEP_1) | instskip(NEXT) | instid1(VALU_DEP_1)
	v_subrev_nc_u32_e32 v2, 28, v1
	v_lshlrev_b64_e32 v[2:3], v2, v[24:25]
	s_delay_alu instid0(VALU_DEP_1)
	v_dual_sub_nc_u32 v1, 29, v1 :: v_dual_bitop2_b32 v24, 7, v2 bitop3:0x40
; %bb.415:                              ;   in Loop: Header=BB204_15 Depth=1
	s_or_b32 exec_lo, exec_lo, s17
	v_dual_lshlrev_b32 v2, 16, v0 :: v_dual_mov_b32 v56, v25
	s_delay_alu instid0(VALU_DEP_2) | instskip(NEXT) | instid1(VALU_DEP_3)
	v_lshlrev_b32_e32 v3, 20, v24
	v_lshl_add_u32 v1, v1, 23, 0x3c000000
	s_delay_alu instid0(VALU_DEP_3) | instskip(NEXT) | instid1(VALU_DEP_1)
	v_and_b32_e32 v2, 0x80000000, v2
	v_or3_b32 v57, v3, v2, v1
.LBB204_416:                            ;   in Loop: Header=BB204_15 Depth=1
	s_or_b32 exec_lo, exec_lo, s16
.LBB204_417:                            ;   in Loop: Header=BB204_15 Depth=1
	s_delay_alu instid0(SALU_CYCLE_1)
	s_or_b32 exec_lo, exec_lo, s15
.LBB204_418:                            ;   in Loop: Header=BB204_15 Depth=1
	s_delay_alu instid0(SALU_CYCLE_1) | instskip(SKIP_4) | instid1(VALU_DEP_3)
	s_or_b32 exec_lo, exec_lo, s14
	v_lshrrev_b32_e32 v1, 16, v0
	v_mov_b64_e32 v[60:61], 0
	v_mov_b64_e32 v[62:63], 0
	s_mov_b32 s14, exec_lo
	v_and_b32_e32 v2, 0xff, v1
	s_delay_alu instid0(VALU_DEP_1)
	v_cmpx_ne_u16_e32 0, v2
	s_cbranch_execz .LBB204_426
; %bb.419:                              ;   in Loop: Header=BB204_15 Depth=1
	v_mov_b64_e32 v[62:63], 0x80000000
	s_mov_b32 s15, exec_lo
	v_cmpx_ne_u16_e32 0x80, v2
	s_cbranch_execz .LBB204_425
; %bb.420:                              ;   in Loop: Header=BB204_15 Depth=1
	v_mov_b64_e32 v[62:63], 0x7f800001
	v_bfe_u32 v3, v0, 16, 7
	s_mov_b32 s16, exec_lo
	s_delay_alu instid0(VALU_DEP_1)
	v_cmpx_ne_u32_e32 0x7f, v3
	s_cbranch_execz .LBB204_424
; %bb.421:                              ;   in Loop: Header=BB204_15 Depth=1
	v_dual_lshrrev_b32 v2, 3, v3 :: v_dual_bitop2_b32 v24, 7, v1 bitop3:0x40
	s_mov_b32 s17, exec_lo
	v_cmpx_gt_u32_e32 8, v3
; %bb.422:                              ;   in Loop: Header=BB204_15 Depth=1
	s_delay_alu instid0(VALU_DEP_2) | instskip(NEXT) | instid1(VALU_DEP_1)
	v_clz_i32_u32_e32 v2, v24
	v_min_u32_e32 v2, 32, v2
	s_delay_alu instid0(VALU_DEP_1) | instskip(NEXT) | instid1(VALU_DEP_1)
	v_subrev_nc_u32_e32 v3, 28, v2
	v_lshlrev_b64_e32 v[4:5], v3, v[24:25]
	s_delay_alu instid0(VALU_DEP_1)
	v_dual_sub_nc_u32 v2, 29, v2 :: v_dual_bitop2_b32 v24, 7, v4 bitop3:0x40
; %bb.423:                              ;   in Loop: Header=BB204_15 Depth=1
	s_or_b32 exec_lo, exec_lo, s17
	s_delay_alu instid0(VALU_DEP_1) | instskip(NEXT) | instid1(VALU_DEP_2)
	v_dual_lshlrev_b32 v1, 24, v1 :: v_dual_lshlrev_b32 v3, 20, v24
	v_lshl_add_u32 v2, v2, 23, 0x3c000000
	s_delay_alu instid0(VALU_DEP_2) | instskip(NEXT) | instid1(VALU_DEP_1)
	v_and_b32_e32 v1, 0x80000000, v1
	v_or3_b32 v24, v3, v1, v2
	s_delay_alu instid0(VALU_DEP_1)
	v_mov_b64_e32 v[62:63], v[24:25]
.LBB204_424:                            ;   in Loop: Header=BB204_15 Depth=1
	s_or_b32 exec_lo, exec_lo, s16
.LBB204_425:                            ;   in Loop: Header=BB204_15 Depth=1
	s_delay_alu instid0(SALU_CYCLE_1)
	s_or_b32 exec_lo, exec_lo, s15
.LBB204_426:                            ;   in Loop: Header=BB204_15 Depth=1
	s_delay_alu instid0(SALU_CYCLE_1) | instskip(NEXT) | instid1(SALU_CYCLE_1)
	s_or_b32 exec_lo, exec_lo, s14
	s_mov_b32 s14, exec_lo
	v_cmpx_lt_u32_e32 0xffffff, v0
	s_cbranch_execz .LBB204_434
; %bb.427:                              ;   in Loop: Header=BB204_15 Depth=1
	v_mov_b64_e32 v[60:61], 0x8000000000000000
	v_lshrrev_b32_e32 v1, 24, v0
	s_mov_b32 s15, exec_lo
	s_delay_alu instid0(VALU_DEP_1)
	v_cmpx_ne_u32_e32 0x80, v1
	s_cbranch_execz .LBB204_433
; %bb.428:                              ;   in Loop: Header=BB204_15 Depth=1
	v_mov_b64_e32 v[60:61], 0x7f80000100000000
	v_bfe_u32 v2, v0, 24, 7
	s_mov_b32 s16, exec_lo
	s_delay_alu instid0(VALU_DEP_1)
	v_cmpx_ne_u32_e32 0x7f, v2
	s_cbranch_execz .LBB204_432
; %bb.429:                              ;   in Loop: Header=BB204_15 Depth=1
	v_dual_lshrrev_b32 v0, 3, v2 :: v_dual_bitop2_b32 v24, 7, v1 bitop3:0x40
	s_mov_b32 s17, exec_lo
	v_cmpx_gt_u32_e32 8, v2
; %bb.430:                              ;   in Loop: Header=BB204_15 Depth=1
	s_delay_alu instid0(VALU_DEP_2) | instskip(NEXT) | instid1(VALU_DEP_1)
	v_clz_i32_u32_e32 v0, v24
	v_min_u32_e32 v0, 32, v0
	s_delay_alu instid0(VALU_DEP_1) | instskip(NEXT) | instid1(VALU_DEP_1)
	v_subrev_nc_u32_e32 v2, 28, v0
	v_lshlrev_b64_e32 v[2:3], v2, v[24:25]
	s_delay_alu instid0(VALU_DEP_1)
	v_dual_sub_nc_u32 v0, 29, v0 :: v_dual_bitop2_b32 v24, 7, v2 bitop3:0x40
; %bb.431:                              ;   in Loop: Header=BB204_15 Depth=1
	s_or_b32 exec_lo, exec_lo, s17
	s_delay_alu instid0(VALU_DEP_1) | instskip(NEXT) | instid1(VALU_DEP_2)
	v_dual_lshlrev_b32 v1, 24, v1 :: v_dual_lshlrev_b32 v2, 20, v24
	v_lshl_add_u32 v0, v0, 23, 0x3c000000
	v_mov_b32_e32 v60, v25
	s_delay_alu instid0(VALU_DEP_3) | instskip(NEXT) | instid1(VALU_DEP_1)
	v_and_b32_e32 v1, 0x80000000, v1
	v_or3_b32 v61, v2, v1, v0
.LBB204_432:                            ;   in Loop: Header=BB204_15 Depth=1
	s_or_b32 exec_lo, exec_lo, s16
.LBB204_433:                            ;   in Loop: Header=BB204_15 Depth=1
	s_delay_alu instid0(SALU_CYCLE_1)
	s_or_b32 exec_lo, exec_lo, s15
.LBB204_434:                            ;   in Loop: Header=BB204_15 Depth=1
	s_delay_alu instid0(SALU_CYCLE_1)
	s_or_b32 exec_lo, exec_lo, s14
	flat_load_b32 v0, v[78:79] offset:1540
	v_mov_b64_e32 v[72:73], 0
	v_mov_b64_e32 v[74:75], 0
	s_mov_b32 s14, exec_lo
	s_wait_loadcnt_dscnt 0x0
	v_and_b32_e32 v1, 0xff, v0
	s_wait_xcnt 0x0
	s_delay_alu instid0(VALU_DEP_1)
	v_cmpx_ne_u16_e32 0, v1
	s_cbranch_execz .LBB204_442
; %bb.435:                              ;   in Loop: Header=BB204_15 Depth=1
	v_mov_b64_e32 v[74:75], 0x80000000
	s_mov_b32 s15, exec_lo
	v_cmpx_ne_u16_e32 0x80, v1
	s_cbranch_execz .LBB204_441
; %bb.436:                              ;   in Loop: Header=BB204_15 Depth=1
	v_mov_b64_e32 v[74:75], 0x7f800001
	v_and_b32_e32 v2, 0x7f, v0
	s_mov_b32 s16, exec_lo
	s_delay_alu instid0(VALU_DEP_1)
	v_cmpx_ne_u32_e32 0x7f, v2
	s_cbranch_execz .LBB204_440
; %bb.437:                              ;   in Loop: Header=BB204_15 Depth=1
	v_dual_lshrrev_b32 v1, 3, v2 :: v_dual_bitop2_b32 v24, 7, v0 bitop3:0x40
	s_mov_b32 s17, exec_lo
	v_cmpx_gt_u32_e32 8, v2
; %bb.438:                              ;   in Loop: Header=BB204_15 Depth=1
	s_delay_alu instid0(VALU_DEP_2) | instskip(NEXT) | instid1(VALU_DEP_1)
	v_clz_i32_u32_e32 v1, v24
	v_min_u32_e32 v1, 32, v1
	s_delay_alu instid0(VALU_DEP_1) | instskip(NEXT) | instid1(VALU_DEP_1)
	v_subrev_nc_u32_e32 v2, 28, v1
	v_lshlrev_b64_e32 v[2:3], v2, v[24:25]
	s_delay_alu instid0(VALU_DEP_1)
	v_dual_sub_nc_u32 v1, 29, v1 :: v_dual_bitop2_b32 v24, 7, v2 bitop3:0x40
; %bb.439:                              ;   in Loop: Header=BB204_15 Depth=1
	s_or_b32 exec_lo, exec_lo, s17
	v_lshlrev_b32_e32 v2, 24, v0
	s_delay_alu instid0(VALU_DEP_2) | instskip(NEXT) | instid1(VALU_DEP_3)
	v_lshlrev_b32_e32 v3, 20, v24
	v_lshl_add_u32 v1, v1, 23, 0x3c000000
	s_delay_alu instid0(VALU_DEP_3) | instskip(NEXT) | instid1(VALU_DEP_1)
	v_and_b32_e32 v2, 0x80000000, v2
	v_or3_b32 v24, v3, v2, v1
	s_delay_alu instid0(VALU_DEP_1)
	v_mov_b64_e32 v[74:75], v[24:25]
.LBB204_440:                            ;   in Loop: Header=BB204_15 Depth=1
	s_or_b32 exec_lo, exec_lo, s16
.LBB204_441:                            ;   in Loop: Header=BB204_15 Depth=1
	s_delay_alu instid0(SALU_CYCLE_1)
	s_or_b32 exec_lo, exec_lo, s15
.LBB204_442:                            ;   in Loop: Header=BB204_15 Depth=1
	s_delay_alu instid0(SALU_CYCLE_1) | instskip(SKIP_2) | instid1(VALU_DEP_1)
	s_or_b32 exec_lo, exec_lo, s14
	v_lshrrev_b16 v1, 8, v0
	s_mov_b32 s14, exec_lo
	v_cmpx_ne_u16_e32 0, v1
	s_cbranch_execz .LBB204_450
; %bb.443:                              ;   in Loop: Header=BB204_15 Depth=1
	v_mov_b64_e32 v[72:73], 0x8000000000000000
	s_mov_b32 s15, exec_lo
	v_cmpx_ne_u16_e32 0x80, v1
	s_cbranch_execz .LBB204_449
; %bb.444:                              ;   in Loop: Header=BB204_15 Depth=1
	v_and_b32_e32 v1, 0xffff, v1
	v_mov_b64_e32 v[72:73], 0x7f80000100000000
	s_mov_b32 s16, exec_lo
	s_delay_alu instid0(VALU_DEP_2) | instskip(NEXT) | instid1(VALU_DEP_1)
	v_and_b32_e32 v2, 0x7f, v1
	v_cmpx_ne_u32_e32 0x7f, v2
	s_cbranch_execz .LBB204_448
; %bb.445:                              ;   in Loop: Header=BB204_15 Depth=1
	v_dual_lshrrev_b32 v1, 3, v2 :: v_dual_bitop2_b32 v24, 7, v1 bitop3:0x40
	s_mov_b32 s17, exec_lo
	v_cmpx_gt_u32_e32 8, v2
; %bb.446:                              ;   in Loop: Header=BB204_15 Depth=1
	s_delay_alu instid0(VALU_DEP_2) | instskip(NEXT) | instid1(VALU_DEP_1)
	v_clz_i32_u32_e32 v1, v24
	v_min_u32_e32 v1, 32, v1
	s_delay_alu instid0(VALU_DEP_1) | instskip(NEXT) | instid1(VALU_DEP_1)
	v_subrev_nc_u32_e32 v2, 28, v1
	v_lshlrev_b64_e32 v[2:3], v2, v[24:25]
	s_delay_alu instid0(VALU_DEP_1)
	v_dual_sub_nc_u32 v1, 29, v1 :: v_dual_bitop2_b32 v24, 7, v2 bitop3:0x40
; %bb.447:                              ;   in Loop: Header=BB204_15 Depth=1
	s_or_b32 exec_lo, exec_lo, s17
	v_dual_lshlrev_b32 v2, 16, v0 :: v_dual_mov_b32 v72, v25
	s_delay_alu instid0(VALU_DEP_2) | instskip(NEXT) | instid1(VALU_DEP_3)
	v_lshlrev_b32_e32 v3, 20, v24
	v_lshl_add_u32 v1, v1, 23, 0x3c000000
	s_delay_alu instid0(VALU_DEP_3) | instskip(NEXT) | instid1(VALU_DEP_1)
	v_and_b32_e32 v2, 0x80000000, v2
	v_or3_b32 v73, v3, v2, v1
.LBB204_448:                            ;   in Loop: Header=BB204_15 Depth=1
	s_or_b32 exec_lo, exec_lo, s16
.LBB204_449:                            ;   in Loop: Header=BB204_15 Depth=1
	s_delay_alu instid0(SALU_CYCLE_1)
	s_or_b32 exec_lo, exec_lo, s15
.LBB204_450:                            ;   in Loop: Header=BB204_15 Depth=1
	s_delay_alu instid0(SALU_CYCLE_1) | instskip(SKIP_4) | instid1(VALU_DEP_3)
	s_or_b32 exec_lo, exec_lo, s14
	v_lshrrev_b32_e32 v1, 16, v0
	v_mov_b64_e32 v[76:77], 0
	v_mov_b64_e32 v[94:95], 0
	s_mov_b32 s14, exec_lo
	v_and_b32_e32 v2, 0xff, v1
	s_delay_alu instid0(VALU_DEP_1)
	v_cmpx_ne_u16_e32 0, v2
	s_cbranch_execz .LBB204_458
; %bb.451:                              ;   in Loop: Header=BB204_15 Depth=1
	v_mov_b64_e32 v[94:95], 0x80000000
	s_mov_b32 s15, exec_lo
	v_cmpx_ne_u16_e32 0x80, v2
	s_cbranch_execz .LBB204_457
; %bb.452:                              ;   in Loop: Header=BB204_15 Depth=1
	v_mov_b64_e32 v[94:95], 0x7f800001
	v_bfe_u32 v3, v0, 16, 7
	s_mov_b32 s16, exec_lo
	s_delay_alu instid0(VALU_DEP_1)
	v_cmpx_ne_u32_e32 0x7f, v3
	s_cbranch_execz .LBB204_456
; %bb.453:                              ;   in Loop: Header=BB204_15 Depth=1
	v_dual_lshrrev_b32 v2, 3, v3 :: v_dual_bitop2_b32 v24, 7, v1 bitop3:0x40
	s_mov_b32 s17, exec_lo
	v_cmpx_gt_u32_e32 8, v3
; %bb.454:                              ;   in Loop: Header=BB204_15 Depth=1
	s_delay_alu instid0(VALU_DEP_2) | instskip(NEXT) | instid1(VALU_DEP_1)
	v_clz_i32_u32_e32 v2, v24
	v_min_u32_e32 v2, 32, v2
	s_delay_alu instid0(VALU_DEP_1) | instskip(NEXT) | instid1(VALU_DEP_1)
	v_subrev_nc_u32_e32 v3, 28, v2
	v_lshlrev_b64_e32 v[4:5], v3, v[24:25]
	s_delay_alu instid0(VALU_DEP_1)
	v_dual_sub_nc_u32 v2, 29, v2 :: v_dual_bitop2_b32 v24, 7, v4 bitop3:0x40
; %bb.455:                              ;   in Loop: Header=BB204_15 Depth=1
	s_or_b32 exec_lo, exec_lo, s17
	s_delay_alu instid0(VALU_DEP_1) | instskip(NEXT) | instid1(VALU_DEP_2)
	v_dual_lshlrev_b32 v1, 24, v1 :: v_dual_lshlrev_b32 v3, 20, v24
	v_lshl_add_u32 v2, v2, 23, 0x3c000000
	s_delay_alu instid0(VALU_DEP_2) | instskip(NEXT) | instid1(VALU_DEP_1)
	v_and_b32_e32 v1, 0x80000000, v1
	v_or3_b32 v24, v3, v1, v2
	s_delay_alu instid0(VALU_DEP_1)
	v_mov_b64_e32 v[94:95], v[24:25]
.LBB204_456:                            ;   in Loop: Header=BB204_15 Depth=1
	s_or_b32 exec_lo, exec_lo, s16
.LBB204_457:                            ;   in Loop: Header=BB204_15 Depth=1
	s_delay_alu instid0(SALU_CYCLE_1)
	s_or_b32 exec_lo, exec_lo, s15
.LBB204_458:                            ;   in Loop: Header=BB204_15 Depth=1
	s_delay_alu instid0(SALU_CYCLE_1) | instskip(NEXT) | instid1(SALU_CYCLE_1)
	s_or_b32 exec_lo, exec_lo, s14
	s_mov_b32 s14, exec_lo
	v_cmpx_lt_u32_e32 0xffffff, v0
	s_cbranch_execz .LBB204_466
; %bb.459:                              ;   in Loop: Header=BB204_15 Depth=1
	v_mov_b64_e32 v[76:77], 0x8000000000000000
	v_lshrrev_b32_e32 v1, 24, v0
	s_mov_b32 s15, exec_lo
	s_delay_alu instid0(VALU_DEP_1)
	v_cmpx_ne_u32_e32 0x80, v1
	s_cbranch_execz .LBB204_465
; %bb.460:                              ;   in Loop: Header=BB204_15 Depth=1
	v_mov_b64_e32 v[76:77], 0x7f80000100000000
	v_bfe_u32 v2, v0, 24, 7
	s_mov_b32 s16, exec_lo
	s_delay_alu instid0(VALU_DEP_1)
	v_cmpx_ne_u32_e32 0x7f, v2
	s_cbranch_execz .LBB204_464
; %bb.461:                              ;   in Loop: Header=BB204_15 Depth=1
	v_dual_lshrrev_b32 v0, 3, v2 :: v_dual_bitop2_b32 v24, 7, v1 bitop3:0x40
	s_mov_b32 s17, exec_lo
	v_cmpx_gt_u32_e32 8, v2
; %bb.462:                              ;   in Loop: Header=BB204_15 Depth=1
	s_delay_alu instid0(VALU_DEP_2) | instskip(NEXT) | instid1(VALU_DEP_1)
	v_clz_i32_u32_e32 v0, v24
	v_min_u32_e32 v0, 32, v0
	s_delay_alu instid0(VALU_DEP_1) | instskip(NEXT) | instid1(VALU_DEP_1)
	v_subrev_nc_u32_e32 v2, 28, v0
	v_lshlrev_b64_e32 v[2:3], v2, v[24:25]
	s_delay_alu instid0(VALU_DEP_1)
	v_dual_sub_nc_u32 v0, 29, v0 :: v_dual_bitop2_b32 v24, 7, v2 bitop3:0x40
; %bb.463:                              ;   in Loop: Header=BB204_15 Depth=1
	s_or_b32 exec_lo, exec_lo, s17
	s_delay_alu instid0(VALU_DEP_1) | instskip(NEXT) | instid1(VALU_DEP_2)
	v_dual_lshlrev_b32 v1, 24, v1 :: v_dual_lshlrev_b32 v2, 20, v24
	v_lshl_add_u32 v0, v0, 23, 0x3c000000
	v_mov_b32_e32 v76, v25
	s_delay_alu instid0(VALU_DEP_3) | instskip(NEXT) | instid1(VALU_DEP_1)
	v_and_b32_e32 v1, 0x80000000, v1
	v_or3_b32 v77, v2, v1, v0
.LBB204_464:                            ;   in Loop: Header=BB204_15 Depth=1
	s_or_b32 exec_lo, exec_lo, s16
.LBB204_465:                            ;   in Loop: Header=BB204_15 Depth=1
	s_delay_alu instid0(SALU_CYCLE_1)
	s_or_b32 exec_lo, exec_lo, s15
.LBB204_466:                            ;   in Loop: Header=BB204_15 Depth=1
	s_delay_alu instid0(SALU_CYCLE_1)
	s_or_b32 exec_lo, exec_lo, s14
	flat_load_b32 v0, v[78:79] offset:1544
	v_mov_b64_e32 v[20:21], 0
	v_mov_b64_e32 v[110:111], 0
	s_mov_b32 s14, exec_lo
	s_wait_loadcnt_dscnt 0x0
	v_and_b32_e32 v1, 0xff, v0
	s_wait_xcnt 0x0
	s_delay_alu instid0(VALU_DEP_1)
	v_cmpx_ne_u16_e32 0, v1
	s_cbranch_execz .LBB204_474
; %bb.467:                              ;   in Loop: Header=BB204_15 Depth=1
	v_mov_b64_e32 v[110:111], 0x80000000
	s_mov_b32 s15, exec_lo
	v_cmpx_ne_u16_e32 0x80, v1
	s_cbranch_execz .LBB204_473
; %bb.468:                              ;   in Loop: Header=BB204_15 Depth=1
	v_mov_b64_e32 v[110:111], 0x7f800001
	v_and_b32_e32 v2, 0x7f, v0
	s_mov_b32 s16, exec_lo
	s_delay_alu instid0(VALU_DEP_1)
	v_cmpx_ne_u32_e32 0x7f, v2
	s_cbranch_execz .LBB204_472
; %bb.469:                              ;   in Loop: Header=BB204_15 Depth=1
	v_dual_lshrrev_b32 v1, 3, v2 :: v_dual_bitop2_b32 v24, 7, v0 bitop3:0x40
	s_mov_b32 s17, exec_lo
	v_cmpx_gt_u32_e32 8, v2
; %bb.470:                              ;   in Loop: Header=BB204_15 Depth=1
	s_delay_alu instid0(VALU_DEP_2) | instskip(NEXT) | instid1(VALU_DEP_1)
	v_clz_i32_u32_e32 v1, v24
	v_min_u32_e32 v1, 32, v1
	s_delay_alu instid0(VALU_DEP_1) | instskip(NEXT) | instid1(VALU_DEP_1)
	v_subrev_nc_u32_e32 v2, 28, v1
	v_lshlrev_b64_e32 v[2:3], v2, v[24:25]
	s_delay_alu instid0(VALU_DEP_1)
	v_dual_sub_nc_u32 v1, 29, v1 :: v_dual_bitop2_b32 v24, 7, v2 bitop3:0x40
; %bb.471:                              ;   in Loop: Header=BB204_15 Depth=1
	s_or_b32 exec_lo, exec_lo, s17
	v_lshlrev_b32_e32 v2, 24, v0
	s_delay_alu instid0(VALU_DEP_2) | instskip(NEXT) | instid1(VALU_DEP_3)
	v_lshlrev_b32_e32 v3, 20, v24
	v_lshl_add_u32 v1, v1, 23, 0x3c000000
	s_delay_alu instid0(VALU_DEP_3) | instskip(NEXT) | instid1(VALU_DEP_1)
	v_and_b32_e32 v2, 0x80000000, v2
	v_or3_b32 v24, v3, v2, v1
	s_delay_alu instid0(VALU_DEP_1)
	v_mov_b64_e32 v[110:111], v[24:25]
.LBB204_472:                            ;   in Loop: Header=BB204_15 Depth=1
	s_or_b32 exec_lo, exec_lo, s16
.LBB204_473:                            ;   in Loop: Header=BB204_15 Depth=1
	s_delay_alu instid0(SALU_CYCLE_1)
	s_or_b32 exec_lo, exec_lo, s15
.LBB204_474:                            ;   in Loop: Header=BB204_15 Depth=1
	s_delay_alu instid0(SALU_CYCLE_1) | instskip(SKIP_2) | instid1(VALU_DEP_1)
	s_or_b32 exec_lo, exec_lo, s14
	v_lshrrev_b16 v1, 8, v0
	s_mov_b32 s14, exec_lo
	v_cmpx_ne_u16_e32 0, v1
	s_cbranch_execz .LBB204_482
; %bb.475:                              ;   in Loop: Header=BB204_15 Depth=1
	v_mov_b64_e32 v[20:21], 0x8000000000000000
	s_mov_b32 s15, exec_lo
	v_cmpx_ne_u16_e32 0x80, v1
	s_cbranch_execz .LBB204_481
; %bb.476:                              ;   in Loop: Header=BB204_15 Depth=1
	v_and_b32_e32 v1, 0xffff, v1
	v_mov_b64_e32 v[20:21], 0x7f80000100000000
	s_mov_b32 s16, exec_lo
	s_delay_alu instid0(VALU_DEP_2) | instskip(NEXT) | instid1(VALU_DEP_1)
	v_and_b32_e32 v2, 0x7f, v1
	v_cmpx_ne_u32_e32 0x7f, v2
	s_cbranch_execz .LBB204_480
; %bb.477:                              ;   in Loop: Header=BB204_15 Depth=1
	v_dual_lshrrev_b32 v1, 3, v2 :: v_dual_bitop2_b32 v24, 7, v1 bitop3:0x40
	s_mov_b32 s17, exec_lo
	v_cmpx_gt_u32_e32 8, v2
; %bb.478:                              ;   in Loop: Header=BB204_15 Depth=1
	s_delay_alu instid0(VALU_DEP_2) | instskip(NEXT) | instid1(VALU_DEP_1)
	v_clz_i32_u32_e32 v1, v24
	v_min_u32_e32 v1, 32, v1
	s_delay_alu instid0(VALU_DEP_1) | instskip(NEXT) | instid1(VALU_DEP_1)
	v_subrev_nc_u32_e32 v2, 28, v1
	v_lshlrev_b64_e32 v[2:3], v2, v[24:25]
	s_delay_alu instid0(VALU_DEP_1)
	v_dual_sub_nc_u32 v1, 29, v1 :: v_dual_bitop2_b32 v24, 7, v2 bitop3:0x40
; %bb.479:                              ;   in Loop: Header=BB204_15 Depth=1
	s_or_b32 exec_lo, exec_lo, s17
	v_dual_lshlrev_b32 v2, 16, v0 :: v_dual_mov_b32 v20, v25
	s_delay_alu instid0(VALU_DEP_2) | instskip(NEXT) | instid1(VALU_DEP_3)
	v_lshlrev_b32_e32 v3, 20, v24
	v_lshl_add_u32 v1, v1, 23, 0x3c000000
	s_delay_alu instid0(VALU_DEP_3) | instskip(NEXT) | instid1(VALU_DEP_1)
	v_and_b32_e32 v2, 0x80000000, v2
	v_or3_b32 v21, v3, v2, v1
.LBB204_480:                            ;   in Loop: Header=BB204_15 Depth=1
	s_or_b32 exec_lo, exec_lo, s16
.LBB204_481:                            ;   in Loop: Header=BB204_15 Depth=1
	s_delay_alu instid0(SALU_CYCLE_1)
	s_or_b32 exec_lo, exec_lo, s15
.LBB204_482:                            ;   in Loop: Header=BB204_15 Depth=1
	s_delay_alu instid0(SALU_CYCLE_1) | instskip(SKIP_4) | instid1(VALU_DEP_3)
	s_or_b32 exec_lo, exec_lo, s14
	v_lshrrev_b32_e32 v1, 16, v0
	v_mov_b64_e32 v[122:123], 0
	v_mov_b64_e32 v[108:109], 0
	s_mov_b32 s14, exec_lo
	v_and_b32_e32 v2, 0xff, v1
	s_delay_alu instid0(VALU_DEP_1)
	v_cmpx_ne_u16_e32 0, v2
	s_cbranch_execz .LBB204_490
; %bb.483:                              ;   in Loop: Header=BB204_15 Depth=1
	v_mov_b64_e32 v[108:109], 0x80000000
	s_mov_b32 s15, exec_lo
	v_cmpx_ne_u16_e32 0x80, v2
	s_cbranch_execz .LBB204_489
; %bb.484:                              ;   in Loop: Header=BB204_15 Depth=1
	v_mov_b64_e32 v[108:109], 0x7f800001
	v_bfe_u32 v3, v0, 16, 7
	s_mov_b32 s16, exec_lo
	s_delay_alu instid0(VALU_DEP_1)
	v_cmpx_ne_u32_e32 0x7f, v3
	s_cbranch_execz .LBB204_488
; %bb.485:                              ;   in Loop: Header=BB204_15 Depth=1
	v_dual_lshrrev_b32 v2, 3, v3 :: v_dual_bitop2_b32 v24, 7, v1 bitop3:0x40
	s_mov_b32 s17, exec_lo
	v_cmpx_gt_u32_e32 8, v3
; %bb.486:                              ;   in Loop: Header=BB204_15 Depth=1
	s_delay_alu instid0(VALU_DEP_2) | instskip(NEXT) | instid1(VALU_DEP_1)
	v_clz_i32_u32_e32 v2, v24
	v_min_u32_e32 v2, 32, v2
	s_delay_alu instid0(VALU_DEP_1) | instskip(NEXT) | instid1(VALU_DEP_1)
	v_subrev_nc_u32_e32 v3, 28, v2
	v_lshlrev_b64_e32 v[4:5], v3, v[24:25]
	s_delay_alu instid0(VALU_DEP_1)
	v_dual_sub_nc_u32 v2, 29, v2 :: v_dual_bitop2_b32 v24, 7, v4 bitop3:0x40
; %bb.487:                              ;   in Loop: Header=BB204_15 Depth=1
	s_or_b32 exec_lo, exec_lo, s17
	s_delay_alu instid0(VALU_DEP_1) | instskip(NEXT) | instid1(VALU_DEP_2)
	v_dual_lshlrev_b32 v1, 24, v1 :: v_dual_lshlrev_b32 v3, 20, v24
	v_lshl_add_u32 v2, v2, 23, 0x3c000000
	s_delay_alu instid0(VALU_DEP_2) | instskip(NEXT) | instid1(VALU_DEP_1)
	v_and_b32_e32 v1, 0x80000000, v1
	v_or3_b32 v24, v3, v1, v2
	s_delay_alu instid0(VALU_DEP_1)
	v_mov_b64_e32 v[108:109], v[24:25]
.LBB204_488:                            ;   in Loop: Header=BB204_15 Depth=1
	s_or_b32 exec_lo, exec_lo, s16
.LBB204_489:                            ;   in Loop: Header=BB204_15 Depth=1
	s_delay_alu instid0(SALU_CYCLE_1)
	s_or_b32 exec_lo, exec_lo, s15
.LBB204_490:                            ;   in Loop: Header=BB204_15 Depth=1
	s_delay_alu instid0(SALU_CYCLE_1) | instskip(NEXT) | instid1(SALU_CYCLE_1)
	s_or_b32 exec_lo, exec_lo, s14
	s_mov_b32 s14, exec_lo
	v_cmpx_lt_u32_e32 0xffffff, v0
	s_cbranch_execz .LBB204_498
; %bb.491:                              ;   in Loop: Header=BB204_15 Depth=1
	v_mov_b64_e32 v[122:123], 0x8000000000000000
	v_lshrrev_b32_e32 v1, 24, v0
	s_mov_b32 s15, exec_lo
	s_delay_alu instid0(VALU_DEP_1)
	v_cmpx_ne_u32_e32 0x80, v1
	s_cbranch_execz .LBB204_497
; %bb.492:                              ;   in Loop: Header=BB204_15 Depth=1
	v_mov_b64_e32 v[122:123], 0x7f80000100000000
	v_bfe_u32 v2, v0, 24, 7
	s_mov_b32 s16, exec_lo
	s_delay_alu instid0(VALU_DEP_1)
	v_cmpx_ne_u32_e32 0x7f, v2
	s_cbranch_execz .LBB204_496
; %bb.493:                              ;   in Loop: Header=BB204_15 Depth=1
	v_dual_lshrrev_b32 v0, 3, v2 :: v_dual_bitop2_b32 v24, 7, v1 bitop3:0x40
	s_mov_b32 s17, exec_lo
	v_cmpx_gt_u32_e32 8, v2
; %bb.494:                              ;   in Loop: Header=BB204_15 Depth=1
	s_delay_alu instid0(VALU_DEP_2) | instskip(NEXT) | instid1(VALU_DEP_1)
	v_clz_i32_u32_e32 v0, v24
	v_min_u32_e32 v0, 32, v0
	s_delay_alu instid0(VALU_DEP_1) | instskip(NEXT) | instid1(VALU_DEP_1)
	v_subrev_nc_u32_e32 v2, 28, v0
	v_lshlrev_b64_e32 v[2:3], v2, v[24:25]
	s_delay_alu instid0(VALU_DEP_1)
	v_dual_sub_nc_u32 v0, 29, v0 :: v_dual_bitop2_b32 v24, 7, v2 bitop3:0x40
; %bb.495:                              ;   in Loop: Header=BB204_15 Depth=1
	s_or_b32 exec_lo, exec_lo, s17
	s_delay_alu instid0(VALU_DEP_1) | instskip(NEXT) | instid1(VALU_DEP_2)
	v_dual_lshlrev_b32 v1, 24, v1 :: v_dual_lshlrev_b32 v2, 20, v24
	v_lshl_add_u32 v0, v0, 23, 0x3c000000
	v_mov_b32_e32 v122, v25
	s_delay_alu instid0(VALU_DEP_3) | instskip(NEXT) | instid1(VALU_DEP_1)
	v_and_b32_e32 v1, 0x80000000, v1
	v_or3_b32 v123, v2, v1, v0
.LBB204_496:                            ;   in Loop: Header=BB204_15 Depth=1
	s_or_b32 exec_lo, exec_lo, s16
.LBB204_497:                            ;   in Loop: Header=BB204_15 Depth=1
	s_delay_alu instid0(SALU_CYCLE_1)
	s_or_b32 exec_lo, exec_lo, s15
.LBB204_498:                            ;   in Loop: Header=BB204_15 Depth=1
	s_delay_alu instid0(SALU_CYCLE_1)
	s_or_b32 exec_lo, exec_lo, s14
	flat_load_b32 v0, v[78:79] offset:1548
	v_mov_b64_e32 v[126:127], 0
	v_mov_b64_e32 v[120:121], 0
	s_mov_b32 s14, exec_lo
	s_wait_loadcnt_dscnt 0x0
	v_and_b32_e32 v1, 0xff, v0
	s_wait_xcnt 0x0
	s_delay_alu instid0(VALU_DEP_1)
	v_cmpx_ne_u16_e32 0, v1
	s_cbranch_execz .LBB204_506
; %bb.499:                              ;   in Loop: Header=BB204_15 Depth=1
	v_mov_b64_e32 v[120:121], 0x80000000
	s_mov_b32 s15, exec_lo
	v_cmpx_ne_u16_e32 0x80, v1
	s_cbranch_execz .LBB204_505
; %bb.500:                              ;   in Loop: Header=BB204_15 Depth=1
	v_mov_b64_e32 v[120:121], 0x7f800001
	v_and_b32_e32 v2, 0x7f, v0
	s_mov_b32 s16, exec_lo
	s_delay_alu instid0(VALU_DEP_1)
	v_cmpx_ne_u32_e32 0x7f, v2
	s_cbranch_execz .LBB204_504
; %bb.501:                              ;   in Loop: Header=BB204_15 Depth=1
	v_dual_lshrrev_b32 v1, 3, v2 :: v_dual_bitop2_b32 v24, 7, v0 bitop3:0x40
	s_mov_b32 s17, exec_lo
	v_cmpx_gt_u32_e32 8, v2
; %bb.502:                              ;   in Loop: Header=BB204_15 Depth=1
	s_delay_alu instid0(VALU_DEP_2) | instskip(NEXT) | instid1(VALU_DEP_1)
	v_clz_i32_u32_e32 v1, v24
	v_min_u32_e32 v1, 32, v1
	s_delay_alu instid0(VALU_DEP_1) | instskip(NEXT) | instid1(VALU_DEP_1)
	v_subrev_nc_u32_e32 v2, 28, v1
	v_lshlrev_b64_e32 v[2:3], v2, v[24:25]
	s_delay_alu instid0(VALU_DEP_1)
	v_dual_sub_nc_u32 v1, 29, v1 :: v_dual_bitop2_b32 v24, 7, v2 bitop3:0x40
; %bb.503:                              ;   in Loop: Header=BB204_15 Depth=1
	s_or_b32 exec_lo, exec_lo, s17
	v_lshlrev_b32_e32 v2, 24, v0
	s_delay_alu instid0(VALU_DEP_2) | instskip(NEXT) | instid1(VALU_DEP_3)
	v_lshlrev_b32_e32 v3, 20, v24
	v_lshl_add_u32 v1, v1, 23, 0x3c000000
	s_delay_alu instid0(VALU_DEP_3) | instskip(NEXT) | instid1(VALU_DEP_1)
	v_and_b32_e32 v2, 0x80000000, v2
	v_or3_b32 v24, v3, v2, v1
	s_delay_alu instid0(VALU_DEP_1)
	v_mov_b64_e32 v[120:121], v[24:25]
.LBB204_504:                            ;   in Loop: Header=BB204_15 Depth=1
	s_or_b32 exec_lo, exec_lo, s16
.LBB204_505:                            ;   in Loop: Header=BB204_15 Depth=1
	s_delay_alu instid0(SALU_CYCLE_1)
	s_or_b32 exec_lo, exec_lo, s15
.LBB204_506:                            ;   in Loop: Header=BB204_15 Depth=1
	s_delay_alu instid0(SALU_CYCLE_1) | instskip(SKIP_2) | instid1(VALU_DEP_1)
	s_or_b32 exec_lo, exec_lo, s14
	v_lshrrev_b16 v1, 8, v0
	s_mov_b32 s14, exec_lo
	v_cmpx_ne_u16_e32 0, v1
	s_cbranch_execz .LBB204_514
; %bb.507:                              ;   in Loop: Header=BB204_15 Depth=1
	v_mov_b64_e32 v[126:127], 0x8000000000000000
	s_mov_b32 s15, exec_lo
	v_cmpx_ne_u16_e32 0x80, v1
	s_cbranch_execz .LBB204_513
; %bb.508:                              ;   in Loop: Header=BB204_15 Depth=1
	v_and_b32_e32 v1, 0xffff, v1
	v_mov_b64_e32 v[126:127], 0x7f80000100000000
	s_mov_b32 s16, exec_lo
	s_delay_alu instid0(VALU_DEP_2) | instskip(NEXT) | instid1(VALU_DEP_1)
	v_and_b32_e32 v2, 0x7f, v1
	v_cmpx_ne_u32_e32 0x7f, v2
	s_cbranch_execz .LBB204_512
; %bb.509:                              ;   in Loop: Header=BB204_15 Depth=1
	v_dual_lshrrev_b32 v1, 3, v2 :: v_dual_bitop2_b32 v24, 7, v1 bitop3:0x40
	s_mov_b32 s17, exec_lo
	v_cmpx_gt_u32_e32 8, v2
; %bb.510:                              ;   in Loop: Header=BB204_15 Depth=1
	s_delay_alu instid0(VALU_DEP_2) | instskip(NEXT) | instid1(VALU_DEP_1)
	v_clz_i32_u32_e32 v1, v24
	v_min_u32_e32 v1, 32, v1
	s_delay_alu instid0(VALU_DEP_1) | instskip(NEXT) | instid1(VALU_DEP_1)
	v_subrev_nc_u32_e32 v2, 28, v1
	v_lshlrev_b64_e32 v[2:3], v2, v[24:25]
	s_delay_alu instid0(VALU_DEP_1)
	v_dual_sub_nc_u32 v1, 29, v1 :: v_dual_bitop2_b32 v24, 7, v2 bitop3:0x40
; %bb.511:                              ;   in Loop: Header=BB204_15 Depth=1
	s_or_b32 exec_lo, exec_lo, s17
	v_dual_lshlrev_b32 v2, 16, v0 :: v_dual_mov_b32 v126, v25
	s_delay_alu instid0(VALU_DEP_2) | instskip(NEXT) | instid1(VALU_DEP_3)
	v_lshlrev_b32_e32 v3, 20, v24
	v_lshl_add_u32 v1, v1, 23, 0x3c000000
	s_delay_alu instid0(VALU_DEP_3) | instskip(NEXT) | instid1(VALU_DEP_1)
	v_and_b32_e32 v2, 0x80000000, v2
	v_or3_b32 v127, v3, v2, v1
.LBB204_512:                            ;   in Loop: Header=BB204_15 Depth=1
	s_or_b32 exec_lo, exec_lo, s16
.LBB204_513:                            ;   in Loop: Header=BB204_15 Depth=1
	s_delay_alu instid0(SALU_CYCLE_1)
	s_or_b32 exec_lo, exec_lo, s15
.LBB204_514:                            ;   in Loop: Header=BB204_15 Depth=1
	s_delay_alu instid0(SALU_CYCLE_1) | instskip(SKIP_4) | instid1(VALU_DEP_3)
	s_or_b32 exec_lo, exec_lo, s14
	v_lshrrev_b32_e32 v1, 16, v0
	v_mov_b64_e32 v[10:11], 0
	v_mov_b64_e32 v[124:125], 0
	s_mov_b32 s14, exec_lo
	v_and_b32_e32 v2, 0xff, v1
	s_delay_alu instid0(VALU_DEP_1)
	v_cmpx_ne_u16_e32 0, v2
	s_cbranch_execz .LBB204_522
; %bb.515:                              ;   in Loop: Header=BB204_15 Depth=1
	v_mov_b64_e32 v[124:125], 0x80000000
	s_mov_b32 s15, exec_lo
	v_cmpx_ne_u16_e32 0x80, v2
	s_cbranch_execz .LBB204_521
; %bb.516:                              ;   in Loop: Header=BB204_15 Depth=1
	v_mov_b64_e32 v[124:125], 0x7f800001
	v_bfe_u32 v3, v0, 16, 7
	s_mov_b32 s16, exec_lo
	s_delay_alu instid0(VALU_DEP_1)
	v_cmpx_ne_u32_e32 0x7f, v3
	s_cbranch_execz .LBB204_520
; %bb.517:                              ;   in Loop: Header=BB204_15 Depth=1
	v_dual_lshrrev_b32 v2, 3, v3 :: v_dual_bitop2_b32 v24, 7, v1 bitop3:0x40
	s_mov_b32 s17, exec_lo
	v_cmpx_gt_u32_e32 8, v3
; %bb.518:                              ;   in Loop: Header=BB204_15 Depth=1
	s_delay_alu instid0(VALU_DEP_2) | instskip(NEXT) | instid1(VALU_DEP_1)
	v_clz_i32_u32_e32 v2, v24
	v_min_u32_e32 v2, 32, v2
	s_delay_alu instid0(VALU_DEP_1) | instskip(NEXT) | instid1(VALU_DEP_1)
	v_subrev_nc_u32_e32 v3, 28, v2
	v_lshlrev_b64_e32 v[4:5], v3, v[24:25]
	s_delay_alu instid0(VALU_DEP_1)
	v_dual_sub_nc_u32 v2, 29, v2 :: v_dual_bitop2_b32 v24, 7, v4 bitop3:0x40
; %bb.519:                              ;   in Loop: Header=BB204_15 Depth=1
	s_or_b32 exec_lo, exec_lo, s17
	s_delay_alu instid0(VALU_DEP_1) | instskip(NEXT) | instid1(VALU_DEP_2)
	v_dual_lshlrev_b32 v1, 24, v1 :: v_dual_lshlrev_b32 v3, 20, v24
	v_lshl_add_u32 v2, v2, 23, 0x3c000000
	s_delay_alu instid0(VALU_DEP_2) | instskip(NEXT) | instid1(VALU_DEP_1)
	v_and_b32_e32 v1, 0x80000000, v1
	v_or3_b32 v24, v3, v1, v2
	s_delay_alu instid0(VALU_DEP_1)
	v_mov_b64_e32 v[124:125], v[24:25]
.LBB204_520:                            ;   in Loop: Header=BB204_15 Depth=1
	s_or_b32 exec_lo, exec_lo, s16
.LBB204_521:                            ;   in Loop: Header=BB204_15 Depth=1
	s_delay_alu instid0(SALU_CYCLE_1)
	s_or_b32 exec_lo, exec_lo, s15
.LBB204_522:                            ;   in Loop: Header=BB204_15 Depth=1
	s_delay_alu instid0(SALU_CYCLE_1) | instskip(NEXT) | instid1(SALU_CYCLE_1)
	s_or_b32 exec_lo, exec_lo, s14
	s_mov_b32 s14, exec_lo
	v_cmpx_lt_u32_e32 0xffffff, v0
	s_cbranch_execz .LBB204_530
; %bb.523:                              ;   in Loop: Header=BB204_15 Depth=1
	v_mov_b64_e32 v[10:11], 0x8000000000000000
	v_lshrrev_b32_e32 v1, 24, v0
	s_mov_b32 s15, exec_lo
	s_delay_alu instid0(VALU_DEP_1)
	v_cmpx_ne_u32_e32 0x80, v1
	s_cbranch_execz .LBB204_529
; %bb.524:                              ;   in Loop: Header=BB204_15 Depth=1
	v_mov_b64_e32 v[10:11], 0x7f80000100000000
	v_bfe_u32 v2, v0, 24, 7
	s_mov_b32 s16, exec_lo
	s_delay_alu instid0(VALU_DEP_1)
	v_cmpx_ne_u32_e32 0x7f, v2
	s_cbranch_execz .LBB204_528
; %bb.525:                              ;   in Loop: Header=BB204_15 Depth=1
	v_dual_lshrrev_b32 v0, 3, v2 :: v_dual_bitop2_b32 v24, 7, v1 bitop3:0x40
	s_mov_b32 s17, exec_lo
	v_cmpx_gt_u32_e32 8, v2
; %bb.526:                              ;   in Loop: Header=BB204_15 Depth=1
	s_delay_alu instid0(VALU_DEP_2) | instskip(NEXT) | instid1(VALU_DEP_1)
	v_clz_i32_u32_e32 v0, v24
	v_min_u32_e32 v0, 32, v0
	s_delay_alu instid0(VALU_DEP_1) | instskip(NEXT) | instid1(VALU_DEP_1)
	v_subrev_nc_u32_e32 v2, 28, v0
	v_lshlrev_b64_e32 v[2:3], v2, v[24:25]
	s_delay_alu instid0(VALU_DEP_1)
	v_dual_sub_nc_u32 v0, 29, v0 :: v_dual_bitop2_b32 v24, 7, v2 bitop3:0x40
; %bb.527:                              ;   in Loop: Header=BB204_15 Depth=1
	s_or_b32 exec_lo, exec_lo, s17
	s_delay_alu instid0(VALU_DEP_1) | instskip(NEXT) | instid1(VALU_DEP_2)
	v_dual_lshlrev_b32 v1, 24, v1 :: v_dual_lshlrev_b32 v2, 20, v24
	v_lshl_add_u32 v0, v0, 23, 0x3c000000
	v_mov_b32_e32 v10, v25
	s_delay_alu instid0(VALU_DEP_3) | instskip(NEXT) | instid1(VALU_DEP_1)
	v_and_b32_e32 v1, 0x80000000, v1
	v_or3_b32 v11, v2, v1, v0
.LBB204_528:                            ;   in Loop: Header=BB204_15 Depth=1
	s_or_b32 exec_lo, exec_lo, s16
.LBB204_529:                            ;   in Loop: Header=BB204_15 Depth=1
	s_delay_alu instid0(SALU_CYCLE_1)
	s_or_b32 exec_lo, exec_lo, s15
.LBB204_530:                            ;   in Loop: Header=BB204_15 Depth=1
	s_delay_alu instid0(SALU_CYCLE_1)
	s_or_b32 exec_lo, exec_lo, s14
	flat_load_b32 v2, v[78:79] offset:2048
	v_mov_b64_e32 v[26:27], 0
	v_mov_b64_e32 v[0:1], 0
	s_mov_b32 s14, exec_lo
	s_wait_loadcnt_dscnt 0x0
	v_and_b32_e32 v3, 0xff, v2
	s_wait_xcnt 0x0
	s_delay_alu instid0(VALU_DEP_1)
	v_cmpx_ne_u16_e32 0, v3
	s_cbranch_execz .LBB204_538
; %bb.531:                              ;   in Loop: Header=BB204_15 Depth=1
	v_mov_b64_e32 v[0:1], 0x80000000
	s_mov_b32 s15, exec_lo
	v_cmpx_ne_u16_e32 0x80, v3
	s_cbranch_execz .LBB204_537
; %bb.532:                              ;   in Loop: Header=BB204_15 Depth=1
	v_mov_b64_e32 v[0:1], 0x7f800001
	v_and_b32_e32 v3, 0x7f, v2
	s_mov_b32 s16, exec_lo
	s_delay_alu instid0(VALU_DEP_1)
	v_cmpx_ne_u32_e32 0x7f, v3
	s_cbranch_execz .LBB204_536
; %bb.533:                              ;   in Loop: Header=BB204_15 Depth=1
	v_dual_lshrrev_b32 v0, 3, v3 :: v_dual_bitop2_b32 v24, 7, v2 bitop3:0x40
	s_mov_b32 s17, exec_lo
	v_cmpx_gt_u32_e32 8, v3
; %bb.534:                              ;   in Loop: Header=BB204_15 Depth=1
	s_delay_alu instid0(VALU_DEP_2) | instskip(NEXT) | instid1(VALU_DEP_1)
	v_clz_i32_u32_e32 v0, v24
	v_min_u32_e32 v0, 32, v0
	s_delay_alu instid0(VALU_DEP_1) | instskip(SKIP_1) | instid1(VALU_DEP_2)
	v_subrev_nc_u32_e32 v1, 28, v0
	v_sub_nc_u32_e32 v0, 29, v0
	v_lshlrev_b64_e32 v[4:5], v1, v[24:25]
	s_delay_alu instid0(VALU_DEP_1)
	v_and_b32_e32 v24, 7, v4
; %bb.535:                              ;   in Loop: Header=BB204_15 Depth=1
	s_or_b32 exec_lo, exec_lo, s17
	s_delay_alu instid0(VALU_DEP_1) | instskip(SKIP_1) | instid1(VALU_DEP_2)
	v_dual_lshlrev_b32 v1, 24, v2 :: v_dual_lshlrev_b32 v3, 20, v24
	v_lshl_add_u32 v0, v0, 23, 0x3c000000
	v_and_b32_e32 v1, 0x80000000, v1
	s_delay_alu instid0(VALU_DEP_1) | instskip(NEXT) | instid1(VALU_DEP_1)
	v_or3_b32 v24, v3, v1, v0
	v_mov_b64_e32 v[0:1], v[24:25]
.LBB204_536:                            ;   in Loop: Header=BB204_15 Depth=1
	s_or_b32 exec_lo, exec_lo, s16
.LBB204_537:                            ;   in Loop: Header=BB204_15 Depth=1
	s_delay_alu instid0(SALU_CYCLE_1)
	s_or_b32 exec_lo, exec_lo, s15
.LBB204_538:                            ;   in Loop: Header=BB204_15 Depth=1
	s_delay_alu instid0(SALU_CYCLE_1) | instskip(SKIP_2) | instid1(VALU_DEP_1)
	s_or_b32 exec_lo, exec_lo, s14
	v_lshrrev_b16 v3, 8, v2
	s_mov_b32 s14, exec_lo
	v_cmpx_ne_u16_e32 0, v3
	s_cbranch_execz .LBB204_546
; %bb.539:                              ;   in Loop: Header=BB204_15 Depth=1
	v_mov_b64_e32 v[26:27], 0x8000000000000000
	s_mov_b32 s15, exec_lo
	v_cmpx_ne_u16_e32 0x80, v3
	s_cbranch_execz .LBB204_545
; %bb.540:                              ;   in Loop: Header=BB204_15 Depth=1
	v_and_b32_e32 v3, 0xffff, v3
	v_mov_b64_e32 v[26:27], 0x7f80000100000000
	s_mov_b32 s16, exec_lo
	s_delay_alu instid0(VALU_DEP_2) | instskip(NEXT) | instid1(VALU_DEP_1)
	v_and_b32_e32 v4, 0x7f, v3
	v_cmpx_ne_u32_e32 0x7f, v4
	s_cbranch_execz .LBB204_544
; %bb.541:                              ;   in Loop: Header=BB204_15 Depth=1
	v_dual_lshrrev_b32 v3, 3, v4 :: v_dual_bitop2_b32 v24, 7, v3 bitop3:0x40
	s_mov_b32 s17, exec_lo
	v_cmpx_gt_u32_e32 8, v4
; %bb.542:                              ;   in Loop: Header=BB204_15 Depth=1
	s_delay_alu instid0(VALU_DEP_2) | instskip(NEXT) | instid1(VALU_DEP_1)
	v_clz_i32_u32_e32 v3, v24
	v_min_u32_e32 v3, 32, v3
	s_delay_alu instid0(VALU_DEP_1) | instskip(NEXT) | instid1(VALU_DEP_1)
	v_subrev_nc_u32_e32 v4, 28, v3
	v_lshlrev_b64_e32 v[4:5], v4, v[24:25]
	s_delay_alu instid0(VALU_DEP_1)
	v_dual_sub_nc_u32 v3, 29, v3 :: v_dual_bitop2_b32 v24, 7, v4 bitop3:0x40
; %bb.543:                              ;   in Loop: Header=BB204_15 Depth=1
	s_or_b32 exec_lo, exec_lo, s17
	s_delay_alu instid0(VALU_DEP_1) | instskip(NEXT) | instid1(VALU_DEP_2)
	v_dual_lshlrev_b32 v4, 16, v2 :: v_dual_lshlrev_b32 v5, 20, v24
	v_lshl_add_u32 v3, v3, 23, 0x3c000000
	v_mov_b32_e32 v26, v25
	s_delay_alu instid0(VALU_DEP_3) | instskip(NEXT) | instid1(VALU_DEP_1)
	v_and_b32_e32 v4, 0x80000000, v4
	v_or3_b32 v27, v5, v4, v3
.LBB204_544:                            ;   in Loop: Header=BB204_15 Depth=1
	s_or_b32 exec_lo, exec_lo, s16
.LBB204_545:                            ;   in Loop: Header=BB204_15 Depth=1
	s_delay_alu instid0(SALU_CYCLE_1)
	s_or_b32 exec_lo, exec_lo, s15
.LBB204_546:                            ;   in Loop: Header=BB204_15 Depth=1
	s_delay_alu instid0(SALU_CYCLE_1) | instskip(SKIP_4) | instid1(VALU_DEP_3)
	s_or_b32 exec_lo, exec_lo, s14
	v_lshrrev_b32_e32 v3, 16, v2
	v_mov_b64_e32 v[92:93], 0
	v_mov_b64_e32 v[88:89], 0
	s_mov_b32 s14, exec_lo
	v_and_b32_e32 v4, 0xff, v3
	s_delay_alu instid0(VALU_DEP_1)
	v_cmpx_ne_u16_e32 0, v4
	s_cbranch_execz .LBB204_554
; %bb.547:                              ;   in Loop: Header=BB204_15 Depth=1
	v_mov_b64_e32 v[88:89], 0x80000000
	s_mov_b32 s15, exec_lo
	v_cmpx_ne_u16_e32 0x80, v4
	s_cbranch_execz .LBB204_553
; %bb.548:                              ;   in Loop: Header=BB204_15 Depth=1
	v_mov_b64_e32 v[88:89], 0x7f800001
	v_bfe_u32 v5, v2, 16, 7
	s_mov_b32 s16, exec_lo
	s_delay_alu instid0(VALU_DEP_1)
	v_cmpx_ne_u32_e32 0x7f, v5
	s_cbranch_execz .LBB204_552
; %bb.549:                              ;   in Loop: Header=BB204_15 Depth=1
	v_dual_lshrrev_b32 v4, 3, v5 :: v_dual_bitop2_b32 v24, 7, v3 bitop3:0x40
	s_mov_b32 s17, exec_lo
	v_cmpx_gt_u32_e32 8, v5
; %bb.550:                              ;   in Loop: Header=BB204_15 Depth=1
	s_delay_alu instid0(VALU_DEP_2) | instskip(NEXT) | instid1(VALU_DEP_1)
	v_clz_i32_u32_e32 v4, v24
	v_min_u32_e32 v4, 32, v4
	s_delay_alu instid0(VALU_DEP_1) | instskip(NEXT) | instid1(VALU_DEP_1)
	v_subrev_nc_u32_e32 v5, 28, v4
	v_lshlrev_b64_e32 v[6:7], v5, v[24:25]
	s_delay_alu instid0(VALU_DEP_1)
	v_dual_sub_nc_u32 v4, 29, v4 :: v_dual_bitop2_b32 v24, 7, v6 bitop3:0x40
; %bb.551:                              ;   in Loop: Header=BB204_15 Depth=1
	s_or_b32 exec_lo, exec_lo, s17
	s_delay_alu instid0(VALU_DEP_1) | instskip(NEXT) | instid1(VALU_DEP_2)
	v_dual_lshlrev_b32 v3, 24, v3 :: v_dual_lshlrev_b32 v5, 20, v24
	v_lshl_add_u32 v4, v4, 23, 0x3c000000
	s_delay_alu instid0(VALU_DEP_2) | instskip(NEXT) | instid1(VALU_DEP_1)
	v_and_b32_e32 v3, 0x80000000, v3
	v_or3_b32 v24, v5, v3, v4
	s_delay_alu instid0(VALU_DEP_1)
	v_mov_b64_e32 v[88:89], v[24:25]
.LBB204_552:                            ;   in Loop: Header=BB204_15 Depth=1
	s_or_b32 exec_lo, exec_lo, s16
.LBB204_553:                            ;   in Loop: Header=BB204_15 Depth=1
	s_delay_alu instid0(SALU_CYCLE_1)
	s_or_b32 exec_lo, exec_lo, s15
.LBB204_554:                            ;   in Loop: Header=BB204_15 Depth=1
	s_delay_alu instid0(SALU_CYCLE_1) | instskip(NEXT) | instid1(SALU_CYCLE_1)
	s_or_b32 exec_lo, exec_lo, s14
	s_mov_b32 s14, exec_lo
	v_cmpx_lt_u32_e32 0xffffff, v2
	s_cbranch_execz .LBB204_562
; %bb.555:                              ;   in Loop: Header=BB204_15 Depth=1
	v_mov_b64_e32 v[92:93], 0x8000000000000000
	v_lshrrev_b32_e32 v3, 24, v2
	s_mov_b32 s15, exec_lo
	s_delay_alu instid0(VALU_DEP_1)
	v_cmpx_ne_u32_e32 0x80, v3
	s_cbranch_execz .LBB204_561
; %bb.556:                              ;   in Loop: Header=BB204_15 Depth=1
	v_mov_b64_e32 v[92:93], 0x7f80000100000000
	v_bfe_u32 v4, v2, 24, 7
	s_mov_b32 s16, exec_lo
	s_delay_alu instid0(VALU_DEP_1)
	v_cmpx_ne_u32_e32 0x7f, v4
	s_cbranch_execz .LBB204_560
; %bb.557:                              ;   in Loop: Header=BB204_15 Depth=1
	v_dual_lshrrev_b32 v2, 3, v4 :: v_dual_bitop2_b32 v24, 7, v3 bitop3:0x40
	s_mov_b32 s17, exec_lo
	v_cmpx_gt_u32_e32 8, v4
; %bb.558:                              ;   in Loop: Header=BB204_15 Depth=1
	s_delay_alu instid0(VALU_DEP_2) | instskip(NEXT) | instid1(VALU_DEP_1)
	v_clz_i32_u32_e32 v2, v24
	v_min_u32_e32 v2, 32, v2
	s_delay_alu instid0(VALU_DEP_1) | instskip(NEXT) | instid1(VALU_DEP_1)
	v_subrev_nc_u32_e32 v4, 28, v2
	v_lshlrev_b64_e32 v[4:5], v4, v[24:25]
	s_delay_alu instid0(VALU_DEP_1)
	v_dual_sub_nc_u32 v2, 29, v2 :: v_dual_bitop2_b32 v24, 7, v4 bitop3:0x40
; %bb.559:                              ;   in Loop: Header=BB204_15 Depth=1
	s_or_b32 exec_lo, exec_lo, s17
	s_delay_alu instid0(VALU_DEP_1) | instskip(NEXT) | instid1(VALU_DEP_2)
	v_dual_lshlrev_b32 v3, 24, v3 :: v_dual_lshlrev_b32 v4, 20, v24
	v_lshl_add_u32 v2, v2, 23, 0x3c000000
	v_mov_b32_e32 v92, v25
	s_delay_alu instid0(VALU_DEP_3) | instskip(NEXT) | instid1(VALU_DEP_1)
	v_and_b32_e32 v3, 0x80000000, v3
	v_or3_b32 v93, v4, v3, v2
.LBB204_560:                            ;   in Loop: Header=BB204_15 Depth=1
	s_or_b32 exec_lo, exec_lo, s16
.LBB204_561:                            ;   in Loop: Header=BB204_15 Depth=1
	s_delay_alu instid0(SALU_CYCLE_1)
	s_or_b32 exec_lo, exec_lo, s15
.LBB204_562:                            ;   in Loop: Header=BB204_15 Depth=1
	s_delay_alu instid0(SALU_CYCLE_1)
	s_or_b32 exec_lo, exec_lo, s14
	flat_load_b32 v2, v[78:79] offset:2052
	v_mov_b64_e32 v[4:5], 0
	v_mov_b64_e32 v[22:23], 0
	s_mov_b32 s14, exec_lo
	s_wait_loadcnt_dscnt 0x0
	v_and_b32_e32 v3, 0xff, v2
	s_wait_xcnt 0x0
	s_delay_alu instid0(VALU_DEP_1)
	v_cmpx_ne_u16_e32 0, v3
	s_cbranch_execz .LBB204_570
; %bb.563:                              ;   in Loop: Header=BB204_15 Depth=1
	v_mov_b64_e32 v[22:23], 0x80000000
	s_mov_b32 s15, exec_lo
	v_cmpx_ne_u16_e32 0x80, v3
	s_cbranch_execz .LBB204_569
; %bb.564:                              ;   in Loop: Header=BB204_15 Depth=1
	v_mov_b64_e32 v[22:23], 0x7f800001
	v_and_b32_e32 v6, 0x7f, v2
	s_mov_b32 s16, exec_lo
	s_delay_alu instid0(VALU_DEP_1)
	v_cmpx_ne_u32_e32 0x7f, v6
	s_cbranch_execz .LBB204_568
; %bb.565:                              ;   in Loop: Header=BB204_15 Depth=1
	v_and_b32_e32 v24, 7, v2
	v_lshrrev_b32_e32 v3, 3, v6
	s_mov_b32 s17, exec_lo
	v_cmpx_gt_u32_e32 8, v6
; %bb.566:                              ;   in Loop: Header=BB204_15 Depth=1
	s_delay_alu instid0(VALU_DEP_3) | instskip(NEXT) | instid1(VALU_DEP_1)
	v_clz_i32_u32_e32 v3, v24
	v_min_u32_e32 v3, 32, v3
	s_delay_alu instid0(VALU_DEP_1) | instskip(NEXT) | instid1(VALU_DEP_1)
	v_subrev_nc_u32_e32 v6, 28, v3
	v_lshlrev_b64_e32 v[6:7], v6, v[24:25]
	s_delay_alu instid0(VALU_DEP_1)
	v_dual_sub_nc_u32 v3, 29, v3 :: v_dual_bitop2_b32 v24, 7, v6 bitop3:0x40
; %bb.567:                              ;   in Loop: Header=BB204_15 Depth=1
	s_or_b32 exec_lo, exec_lo, s17
	s_delay_alu instid0(VALU_DEP_1) | instskip(NEXT) | instid1(VALU_DEP_2)
	v_dual_lshlrev_b32 v6, 24, v2 :: v_dual_lshlrev_b32 v7, 20, v24
	v_lshl_add_u32 v3, v3, 23, 0x3c000000
	s_delay_alu instid0(VALU_DEP_2) | instskip(NEXT) | instid1(VALU_DEP_1)
	v_and_b32_e32 v6, 0x80000000, v6
	v_or3_b32 v24, v7, v6, v3
	s_delay_alu instid0(VALU_DEP_1)
	v_mov_b64_e32 v[22:23], v[24:25]
.LBB204_568:                            ;   in Loop: Header=BB204_15 Depth=1
	s_or_b32 exec_lo, exec_lo, s16
.LBB204_569:                            ;   in Loop: Header=BB204_15 Depth=1
	s_delay_alu instid0(SALU_CYCLE_1)
	s_or_b32 exec_lo, exec_lo, s15
.LBB204_570:                            ;   in Loop: Header=BB204_15 Depth=1
	s_delay_alu instid0(SALU_CYCLE_1) | instskip(SKIP_2) | instid1(VALU_DEP_1)
	s_or_b32 exec_lo, exec_lo, s14
	v_lshrrev_b16 v3, 8, v2
	s_mov_b32 s14, exec_lo
	v_cmpx_ne_u16_e32 0, v3
	s_cbranch_execz .LBB204_578
; %bb.571:                              ;   in Loop: Header=BB204_15 Depth=1
	v_mov_b64_e32 v[4:5], 0x8000000000000000
	s_mov_b32 s15, exec_lo
	v_cmpx_ne_u16_e32 0x80, v3
	s_cbranch_execz .LBB204_577
; %bb.572:                              ;   in Loop: Header=BB204_15 Depth=1
	v_and_b32_e32 v3, 0xffff, v3
	v_mov_b64_e32 v[4:5], 0x7f80000100000000
	s_mov_b32 s16, exec_lo
	s_delay_alu instid0(VALU_DEP_2) | instskip(NEXT) | instid1(VALU_DEP_1)
	v_and_b32_e32 v6, 0x7f, v3
	v_cmpx_ne_u32_e32 0x7f, v6
	s_cbranch_execz .LBB204_576
; %bb.573:                              ;   in Loop: Header=BB204_15 Depth=1
	v_dual_lshrrev_b32 v3, 3, v6 :: v_dual_bitop2_b32 v24, 7, v3 bitop3:0x40
	s_mov_b32 s17, exec_lo
	v_cmpx_gt_u32_e32 8, v6
; %bb.574:                              ;   in Loop: Header=BB204_15 Depth=1
	s_delay_alu instid0(VALU_DEP_2) | instskip(NEXT) | instid1(VALU_DEP_1)
	v_clz_i32_u32_e32 v3, v24
	v_min_u32_e32 v3, 32, v3
	s_delay_alu instid0(VALU_DEP_1) | instskip(NEXT) | instid1(VALU_DEP_1)
	v_subrev_nc_u32_e32 v4, 28, v3
	v_lshlrev_b64_e32 v[4:5], v4, v[24:25]
	s_delay_alu instid0(VALU_DEP_1)
	v_dual_sub_nc_u32 v3, 29, v3 :: v_dual_bitop2_b32 v24, 7, v4 bitop3:0x40
; %bb.575:                              ;   in Loop: Header=BB204_15 Depth=1
	s_or_b32 exec_lo, exec_lo, s17
	s_delay_alu instid0(VALU_DEP_1) | instskip(NEXT) | instid1(VALU_DEP_2)
	v_dual_lshlrev_b32 v4, 16, v2 :: v_dual_lshlrev_b32 v5, 20, v24
	v_lshl_add_u32 v3, v3, 23, 0x3c000000
	s_delay_alu instid0(VALU_DEP_2) | instskip(NEXT) | instid1(VALU_DEP_1)
	v_and_b32_e32 v4, 0x80000000, v4
	v_or3_b32 v5, v5, v4, v3
	v_mov_b32_e32 v4, v25
.LBB204_576:                            ;   in Loop: Header=BB204_15 Depth=1
	s_or_b32 exec_lo, exec_lo, s16
.LBB204_577:                            ;   in Loop: Header=BB204_15 Depth=1
	s_delay_alu instid0(SALU_CYCLE_1)
	s_or_b32 exec_lo, exec_lo, s15
.LBB204_578:                            ;   in Loop: Header=BB204_15 Depth=1
	s_delay_alu instid0(SALU_CYCLE_1) | instskip(SKIP_4) | instid1(VALU_DEP_3)
	s_or_b32 exec_lo, exec_lo, s14
	v_lshrrev_b32_e32 v3, 16, v2
	v_mov_b64_e32 v[18:19], 0
	v_mov_b64_e32 v[6:7], 0
	s_mov_b32 s14, exec_lo
	v_and_b32_e32 v12, 0xff, v3
	s_delay_alu instid0(VALU_DEP_1)
	v_cmpx_ne_u16_e32 0, v12
	s_cbranch_execz .LBB204_586
; %bb.579:                              ;   in Loop: Header=BB204_15 Depth=1
	v_mov_b64_e32 v[6:7], 0x80000000
	s_mov_b32 s15, exec_lo
	v_cmpx_ne_u16_e32 0x80, v12
	s_cbranch_execz .LBB204_585
; %bb.580:                              ;   in Loop: Header=BB204_15 Depth=1
	v_mov_b64_e32 v[6:7], 0x7f800001
	v_bfe_u32 v12, v2, 16, 7
	s_mov_b32 s16, exec_lo
	s_delay_alu instid0(VALU_DEP_1)
	v_cmpx_ne_u32_e32 0x7f, v12
	s_cbranch_execz .LBB204_584
; %bb.581:                              ;   in Loop: Header=BB204_15 Depth=1
	v_dual_lshrrev_b32 v6, 3, v12 :: v_dual_bitop2_b32 v24, 7, v3 bitop3:0x40
	s_mov_b32 s17, exec_lo
	v_cmpx_gt_u32_e32 8, v12
; %bb.582:                              ;   in Loop: Header=BB204_15 Depth=1
	s_delay_alu instid0(VALU_DEP_2) | instskip(NEXT) | instid1(VALU_DEP_1)
	v_clz_i32_u32_e32 v6, v24
	v_min_u32_e32 v6, 32, v6
	s_delay_alu instid0(VALU_DEP_1) | instskip(NEXT) | instid1(VALU_DEP_1)
	v_subrev_nc_u32_e32 v7, 28, v6
	v_lshlrev_b64_e32 v[12:13], v7, v[24:25]
	s_delay_alu instid0(VALU_DEP_1)
	v_dual_sub_nc_u32 v6, 29, v6 :: v_dual_bitop2_b32 v24, 7, v12 bitop3:0x40
; %bb.583:                              ;   in Loop: Header=BB204_15 Depth=1
	s_or_b32 exec_lo, exec_lo, s17
	s_delay_alu instid0(VALU_DEP_1) | instskip(NEXT) | instid1(VALU_DEP_2)
	v_dual_lshlrev_b32 v3, 24, v3 :: v_dual_lshlrev_b32 v7, 20, v24
	v_lshl_add_u32 v6, v6, 23, 0x3c000000
	s_delay_alu instid0(VALU_DEP_2) | instskip(NEXT) | instid1(VALU_DEP_1)
	v_and_b32_e32 v3, 0x80000000, v3
	v_or3_b32 v24, v7, v3, v6
	s_delay_alu instid0(VALU_DEP_1)
	v_mov_b64_e32 v[6:7], v[24:25]
.LBB204_584:                            ;   in Loop: Header=BB204_15 Depth=1
	s_or_b32 exec_lo, exec_lo, s16
.LBB204_585:                            ;   in Loop: Header=BB204_15 Depth=1
	s_delay_alu instid0(SALU_CYCLE_1)
	s_or_b32 exec_lo, exec_lo, s15
.LBB204_586:                            ;   in Loop: Header=BB204_15 Depth=1
	s_delay_alu instid0(SALU_CYCLE_1) | instskip(NEXT) | instid1(SALU_CYCLE_1)
	s_or_b32 exec_lo, exec_lo, s14
	s_mov_b32 s14, exec_lo
	v_cmpx_lt_u32_e32 0xffffff, v2
	s_cbranch_execz .LBB204_594
; %bb.587:                              ;   in Loop: Header=BB204_15 Depth=1
	v_mov_b64_e32 v[18:19], 0x8000000000000000
	v_lshrrev_b32_e32 v3, 24, v2
	s_mov_b32 s15, exec_lo
	s_delay_alu instid0(VALU_DEP_1)
	v_cmpx_ne_u32_e32 0x80, v3
	s_cbranch_execz .LBB204_593
; %bb.588:                              ;   in Loop: Header=BB204_15 Depth=1
	v_mov_b64_e32 v[18:19], 0x7f80000100000000
	v_bfe_u32 v12, v2, 24, 7
	s_mov_b32 s16, exec_lo
	s_delay_alu instid0(VALU_DEP_1)
	v_cmpx_ne_u32_e32 0x7f, v12
	s_cbranch_execz .LBB204_592
; %bb.589:                              ;   in Loop: Header=BB204_15 Depth=1
	v_dual_lshrrev_b32 v2, 3, v12 :: v_dual_bitop2_b32 v24, 7, v3 bitop3:0x40
	s_mov_b32 s17, exec_lo
	v_cmpx_gt_u32_e32 8, v12
; %bb.590:                              ;   in Loop: Header=BB204_15 Depth=1
	s_delay_alu instid0(VALU_DEP_2) | instskip(NEXT) | instid1(VALU_DEP_1)
	v_clz_i32_u32_e32 v2, v24
	v_min_u32_e32 v2, 32, v2
	s_delay_alu instid0(VALU_DEP_1) | instskip(NEXT) | instid1(VALU_DEP_1)
	v_subrev_nc_u32_e32 v12, 28, v2
	v_lshlrev_b64_e32 v[12:13], v12, v[24:25]
	s_delay_alu instid0(VALU_DEP_1)
	v_dual_sub_nc_u32 v2, 29, v2 :: v_dual_bitop2_b32 v24, 7, v12 bitop3:0x40
; %bb.591:                              ;   in Loop: Header=BB204_15 Depth=1
	s_or_b32 exec_lo, exec_lo, s17
	s_delay_alu instid0(VALU_DEP_1) | instskip(NEXT) | instid1(VALU_DEP_2)
	v_dual_lshlrev_b32 v3, 24, v3 :: v_dual_lshlrev_b32 v12, 20, v24
	v_lshl_add_u32 v2, v2, 23, 0x3c000000
	v_mov_b32_e32 v18, v25
	s_delay_alu instid0(VALU_DEP_3) | instskip(NEXT) | instid1(VALU_DEP_1)
	v_and_b32_e32 v3, 0x80000000, v3
	v_or3_b32 v19, v12, v3, v2
.LBB204_592:                            ;   in Loop: Header=BB204_15 Depth=1
	s_or_b32 exec_lo, exec_lo, s16
.LBB204_593:                            ;   in Loop: Header=BB204_15 Depth=1
	s_delay_alu instid0(SALU_CYCLE_1)
	s_or_b32 exec_lo, exec_lo, s15
.LBB204_594:                            ;   in Loop: Header=BB204_15 Depth=1
	s_delay_alu instid0(SALU_CYCLE_1)
	s_or_b32 exec_lo, exec_lo, s14
	flat_load_b32 v12, v[78:79] offset:2056
	v_mov_b64_e32 v[2:3], 0
	v_mov_b64_e32 v[30:31], 0
	s_mov_b32 s14, exec_lo
	s_wait_loadcnt_dscnt 0x0
	v_and_b32_e32 v13, 0xff, v12
	s_wait_xcnt 0x0
	s_delay_alu instid0(VALU_DEP_1)
	v_cmpx_ne_u16_e32 0, v13
	s_cbranch_execz .LBB204_602
; %bb.595:                              ;   in Loop: Header=BB204_15 Depth=1
	v_mov_b64_e32 v[30:31], 0x80000000
	s_mov_b32 s15, exec_lo
	v_cmpx_ne_u16_e32 0x80, v13
	s_cbranch_execz .LBB204_601
; %bb.596:                              ;   in Loop: Header=BB204_15 Depth=1
	v_mov_b64_e32 v[30:31], 0x7f800001
	v_and_b32_e32 v14, 0x7f, v12
	s_mov_b32 s16, exec_lo
	s_delay_alu instid0(VALU_DEP_1)
	v_cmpx_ne_u32_e32 0x7f, v14
	s_cbranch_execz .LBB204_600
; %bb.597:                              ;   in Loop: Header=BB204_15 Depth=1
	v_dual_lshrrev_b32 v13, 3, v14 :: v_dual_bitop2_b32 v24, 7, v12 bitop3:0x40
	s_mov_b32 s17, exec_lo
	v_cmpx_gt_u32_e32 8, v14
; %bb.598:                              ;   in Loop: Header=BB204_15 Depth=1
	s_delay_alu instid0(VALU_DEP_2) | instskip(NEXT) | instid1(VALU_DEP_1)
	v_clz_i32_u32_e32 v13, v24
	v_min_u32_e32 v13, 32, v13
	s_delay_alu instid0(VALU_DEP_1) | instskip(NEXT) | instid1(VALU_DEP_1)
	v_subrev_nc_u32_e32 v14, 28, v13
	v_lshlrev_b64_e32 v[14:15], v14, v[24:25]
	s_delay_alu instid0(VALU_DEP_1)
	v_dual_sub_nc_u32 v13, 29, v13 :: v_dual_bitop2_b32 v24, 7, v14 bitop3:0x40
; %bb.599:                              ;   in Loop: Header=BB204_15 Depth=1
	s_or_b32 exec_lo, exec_lo, s17
	v_lshlrev_b32_e32 v14, 24, v12
	s_delay_alu instid0(VALU_DEP_2) | instskip(NEXT) | instid1(VALU_DEP_3)
	v_lshlrev_b32_e32 v15, 20, v24
	v_lshl_add_u32 v13, v13, 23, 0x3c000000
	s_delay_alu instid0(VALU_DEP_3) | instskip(NEXT) | instid1(VALU_DEP_1)
	v_and_b32_e32 v14, 0x80000000, v14
	v_or3_b32 v24, v15, v14, v13
	s_delay_alu instid0(VALU_DEP_1)
	v_mov_b64_e32 v[30:31], v[24:25]
.LBB204_600:                            ;   in Loop: Header=BB204_15 Depth=1
	s_or_b32 exec_lo, exec_lo, s16
.LBB204_601:                            ;   in Loop: Header=BB204_15 Depth=1
	s_delay_alu instid0(SALU_CYCLE_1)
	s_or_b32 exec_lo, exec_lo, s15
.LBB204_602:                            ;   in Loop: Header=BB204_15 Depth=1
	s_delay_alu instid0(SALU_CYCLE_1) | instskip(SKIP_2) | instid1(VALU_DEP_1)
	s_or_b32 exec_lo, exec_lo, s14
	v_lshrrev_b16 v13, 8, v12
	s_mov_b32 s14, exec_lo
	v_cmpx_ne_u16_e32 0, v13
	s_cbranch_execz .LBB204_610
; %bb.603:                              ;   in Loop: Header=BB204_15 Depth=1
	v_mov_b64_e32 v[2:3], 0x8000000000000000
	s_mov_b32 s15, exec_lo
	v_cmpx_ne_u16_e32 0x80, v13
	s_cbranch_execz .LBB204_609
; %bb.604:                              ;   in Loop: Header=BB204_15 Depth=1
	v_and_b32_e32 v14, 0xffff, v13
	v_mov_b64_e32 v[2:3], 0x7f80000100000000
	s_mov_b32 s16, exec_lo
	s_delay_alu instid0(VALU_DEP_2) | instskip(NEXT) | instid1(VALU_DEP_1)
	v_and_b32_e32 v13, 0x7f, v14
	v_cmpx_ne_u32_e32 0x7f, v13
	s_cbranch_execz .LBB204_608
; %bb.605:                              ;   in Loop: Header=BB204_15 Depth=1
	v_dual_lshrrev_b32 v2, 3, v13 :: v_dual_bitop2_b32 v24, 7, v14 bitop3:0x40
	s_mov_b32 s17, exec_lo
	v_cmpx_gt_u32_e32 8, v13
; %bb.606:                              ;   in Loop: Header=BB204_15 Depth=1
	s_delay_alu instid0(VALU_DEP_2) | instskip(NEXT) | instid1(VALU_DEP_1)
	v_clz_i32_u32_e32 v2, v24
	v_min_u32_e32 v2, 32, v2
	s_delay_alu instid0(VALU_DEP_1) | instskip(SKIP_1) | instid1(VALU_DEP_2)
	v_subrev_nc_u32_e32 v3, 28, v2
	v_sub_nc_u32_e32 v2, 29, v2
	v_lshlrev_b64_e32 v[14:15], v3, v[24:25]
	s_delay_alu instid0(VALU_DEP_1)
	v_and_b32_e32 v24, 7, v14
; %bb.607:                              ;   in Loop: Header=BB204_15 Depth=1
	s_or_b32 exec_lo, exec_lo, s17
	v_lshlrev_b32_e32 v3, 16, v12
	s_delay_alu instid0(VALU_DEP_2) | instskip(SKIP_1) | instid1(VALU_DEP_3)
	v_lshlrev_b32_e32 v13, 20, v24
	v_lshl_add_u32 v2, v2, 23, 0x3c000000
	v_and_b32_e32 v3, 0x80000000, v3
	s_delay_alu instid0(VALU_DEP_1)
	v_or3_b32 v3, v13, v3, v2
	v_mov_b32_e32 v2, v25
.LBB204_608:                            ;   in Loop: Header=BB204_15 Depth=1
	s_or_b32 exec_lo, exec_lo, s16
.LBB204_609:                            ;   in Loop: Header=BB204_15 Depth=1
	s_delay_alu instid0(SALU_CYCLE_1)
	s_or_b32 exec_lo, exec_lo, s15
.LBB204_610:                            ;   in Loop: Header=BB204_15 Depth=1
	s_delay_alu instid0(SALU_CYCLE_1) | instskip(SKIP_4) | instid1(VALU_DEP_3)
	s_or_b32 exec_lo, exec_lo, s14
	v_lshrrev_b32_e32 v13, 16, v12
	v_mov_b64_e32 v[28:29], 0
	v_mov_b64_e32 v[38:39], 0
	s_mov_b32 s14, exec_lo
	v_and_b32_e32 v14, 0xff, v13
	s_delay_alu instid0(VALU_DEP_1)
	v_cmpx_ne_u16_e32 0, v14
	s_cbranch_execz .LBB204_618
; %bb.611:                              ;   in Loop: Header=BB204_15 Depth=1
	v_mov_b64_e32 v[38:39], 0x80000000
	s_mov_b32 s15, exec_lo
	v_cmpx_ne_u16_e32 0x80, v14
	s_cbranch_execz .LBB204_617
; %bb.612:                              ;   in Loop: Header=BB204_15 Depth=1
	v_mov_b64_e32 v[38:39], 0x7f800001
	v_bfe_u32 v15, v12, 16, 7
	s_mov_b32 s16, exec_lo
	s_delay_alu instid0(VALU_DEP_1)
	v_cmpx_ne_u32_e32 0x7f, v15
	s_cbranch_execz .LBB204_616
; %bb.613:                              ;   in Loop: Header=BB204_15 Depth=1
	v_dual_lshrrev_b32 v14, 3, v15 :: v_dual_bitop2_b32 v24, 7, v13 bitop3:0x40
	s_mov_b32 s17, exec_lo
	v_cmpx_gt_u32_e32 8, v15
; %bb.614:                              ;   in Loop: Header=BB204_15 Depth=1
	s_delay_alu instid0(VALU_DEP_2) | instskip(NEXT) | instid1(VALU_DEP_1)
	v_clz_i32_u32_e32 v14, v24
	v_min_u32_e32 v14, 32, v14
	s_delay_alu instid0(VALU_DEP_1) | instskip(NEXT) | instid1(VALU_DEP_1)
	v_subrev_nc_u32_e32 v15, 28, v14
	v_lshlrev_b64_e32 v[32:33], v15, v[24:25]
	s_delay_alu instid0(VALU_DEP_1)
	v_dual_sub_nc_u32 v14, 29, v14 :: v_dual_bitop2_b32 v24, 7, v32 bitop3:0x40
; %bb.615:                              ;   in Loop: Header=BB204_15 Depth=1
	s_or_b32 exec_lo, exec_lo, s17
	s_delay_alu instid0(VALU_DEP_1) | instskip(NEXT) | instid1(VALU_DEP_2)
	v_dual_lshlrev_b32 v13, 24, v13 :: v_dual_lshlrev_b32 v15, 20, v24
	v_lshl_add_u32 v14, v14, 23, 0x3c000000
	s_delay_alu instid0(VALU_DEP_2) | instskip(NEXT) | instid1(VALU_DEP_1)
	v_and_b32_e32 v13, 0x80000000, v13
	v_or3_b32 v24, v15, v13, v14
	s_delay_alu instid0(VALU_DEP_1)
	v_mov_b64_e32 v[38:39], v[24:25]
.LBB204_616:                            ;   in Loop: Header=BB204_15 Depth=1
	s_or_b32 exec_lo, exec_lo, s16
.LBB204_617:                            ;   in Loop: Header=BB204_15 Depth=1
	s_delay_alu instid0(SALU_CYCLE_1)
	s_or_b32 exec_lo, exec_lo, s15
.LBB204_618:                            ;   in Loop: Header=BB204_15 Depth=1
	s_delay_alu instid0(SALU_CYCLE_1) | instskip(NEXT) | instid1(SALU_CYCLE_1)
	s_or_b32 exec_lo, exec_lo, s14
	s_mov_b32 s14, exec_lo
	v_cmpx_lt_u32_e32 0xffffff, v12
	s_cbranch_execz .LBB204_626
; %bb.619:                              ;   in Loop: Header=BB204_15 Depth=1
	v_mov_b64_e32 v[28:29], 0x8000000000000000
	v_lshrrev_b32_e32 v13, 24, v12
	s_mov_b32 s15, exec_lo
	s_delay_alu instid0(VALU_DEP_1)
	v_cmpx_ne_u32_e32 0x80, v13
	s_cbranch_execz .LBB204_625
; %bb.620:                              ;   in Loop: Header=BB204_15 Depth=1
	v_mov_b64_e32 v[28:29], 0x7f80000100000000
	v_bfe_u32 v14, v12, 24, 7
	s_mov_b32 s16, exec_lo
	s_delay_alu instid0(VALU_DEP_1)
	v_cmpx_ne_u32_e32 0x7f, v14
	s_cbranch_execz .LBB204_624
; %bb.621:                              ;   in Loop: Header=BB204_15 Depth=1
	v_dual_lshrrev_b32 v12, 3, v14 :: v_dual_bitop2_b32 v24, 7, v13 bitop3:0x40
	s_mov_b32 s17, exec_lo
	v_cmpx_gt_u32_e32 8, v14
; %bb.622:                              ;   in Loop: Header=BB204_15 Depth=1
	s_delay_alu instid0(VALU_DEP_2) | instskip(NEXT) | instid1(VALU_DEP_1)
	v_clz_i32_u32_e32 v12, v24
	v_min_u32_e32 v12, 32, v12
	s_delay_alu instid0(VALU_DEP_1) | instskip(NEXT) | instid1(VALU_DEP_1)
	v_subrev_nc_u32_e32 v14, 28, v12
	v_lshlrev_b64_e32 v[14:15], v14, v[24:25]
	s_delay_alu instid0(VALU_DEP_1)
	v_dual_sub_nc_u32 v12, 29, v12 :: v_dual_bitop2_b32 v24, 7, v14 bitop3:0x40
; %bb.623:                              ;   in Loop: Header=BB204_15 Depth=1
	s_or_b32 exec_lo, exec_lo, s17
	s_delay_alu instid0(VALU_DEP_1) | instskip(NEXT) | instid1(VALU_DEP_2)
	v_dual_lshlrev_b32 v13, 24, v13 :: v_dual_lshlrev_b32 v14, 20, v24
	v_lshl_add_u32 v12, v12, 23, 0x3c000000
	v_mov_b32_e32 v28, v25
	s_delay_alu instid0(VALU_DEP_3) | instskip(NEXT) | instid1(VALU_DEP_1)
	v_and_b32_e32 v13, 0x80000000, v13
	v_or3_b32 v29, v14, v13, v12
.LBB204_624:                            ;   in Loop: Header=BB204_15 Depth=1
	s_or_b32 exec_lo, exec_lo, s16
.LBB204_625:                            ;   in Loop: Header=BB204_15 Depth=1
	s_delay_alu instid0(SALU_CYCLE_1)
	s_or_b32 exec_lo, exec_lo, s15
.LBB204_626:                            ;   in Loop: Header=BB204_15 Depth=1
	s_delay_alu instid0(SALU_CYCLE_1)
	s_or_b32 exec_lo, exec_lo, s14
	flat_load_b32 v91, v[78:79] offset:2060
	s_wait_xcnt 0x0
	v_mov_b64_e32 v[78:79], 0
	v_mov_b64_e32 v[14:15], 0
	s_mov_b32 s14, exec_lo
	s_wait_loadcnt_dscnt 0x0
	v_and_b32_e32 v12, 0xff, v91
	s_delay_alu instid0(VALU_DEP_1)
	v_cmpx_ne_u16_e32 0, v12
	s_cbranch_execz .LBB204_634
; %bb.627:                              ;   in Loop: Header=BB204_15 Depth=1
	v_mov_b64_e32 v[14:15], 0x80000000
	s_mov_b32 s15, exec_lo
	v_cmpx_ne_u16_e32 0x80, v12
	s_cbranch_execz .LBB204_633
; %bb.628:                              ;   in Loop: Header=BB204_15 Depth=1
	v_mov_b64_e32 v[14:15], 0x7f800001
	v_and_b32_e32 v13, 0x7f, v91
	s_mov_b32 s16, exec_lo
	s_delay_alu instid0(VALU_DEP_1)
	v_cmpx_ne_u32_e32 0x7f, v13
	s_cbranch_execz .LBB204_632
; %bb.629:                              ;   in Loop: Header=BB204_15 Depth=1
	v_dual_lshrrev_b32 v12, 3, v13 :: v_dual_bitop2_b32 v24, 7, v91 bitop3:0x40
	s_mov_b32 s17, exec_lo
	v_cmpx_gt_u32_e32 8, v13
; %bb.630:                              ;   in Loop: Header=BB204_15 Depth=1
	s_delay_alu instid0(VALU_DEP_2) | instskip(NEXT) | instid1(VALU_DEP_1)
	v_clz_i32_u32_e32 v12, v24
	v_min_u32_e32 v12, 32, v12
	s_delay_alu instid0(VALU_DEP_1) | instskip(NEXT) | instid1(VALU_DEP_1)
	v_subrev_nc_u32_e32 v13, 28, v12
	v_lshlrev_b64_e32 v[14:15], v13, v[24:25]
	s_delay_alu instid0(VALU_DEP_1)
	v_dual_sub_nc_u32 v12, 29, v12 :: v_dual_bitop2_b32 v24, 7, v14 bitop3:0x40
; %bb.631:                              ;   in Loop: Header=BB204_15 Depth=1
	s_or_b32 exec_lo, exec_lo, s17
	s_delay_alu instid0(VALU_DEP_1) | instskip(NEXT) | instid1(VALU_DEP_2)
	v_dual_lshlrev_b32 v13, 24, v91 :: v_dual_lshlrev_b32 v14, 20, v24
	v_lshl_add_u32 v12, v12, 23, 0x3c000000
	s_delay_alu instid0(VALU_DEP_2) | instskip(NEXT) | instid1(VALU_DEP_1)
	v_and_b32_e32 v13, 0x80000000, v13
	v_or3_b32 v24, v14, v13, v12
	s_delay_alu instid0(VALU_DEP_1)
	v_mov_b64_e32 v[14:15], v[24:25]
.LBB204_632:                            ;   in Loop: Header=BB204_15 Depth=1
	s_or_b32 exec_lo, exec_lo, s16
.LBB204_633:                            ;   in Loop: Header=BB204_15 Depth=1
	s_delay_alu instid0(SALU_CYCLE_1)
	s_or_b32 exec_lo, exec_lo, s15
.LBB204_634:                            ;   in Loop: Header=BB204_15 Depth=1
	s_delay_alu instid0(SALU_CYCLE_1) | instskip(SKIP_2) | instid1(VALU_DEP_1)
	s_or_b32 exec_lo, exec_lo, s14
	v_lshrrev_b16 v12, 8, v91
	s_mov_b32 s14, exec_lo
	v_cmpx_ne_u16_e32 0, v12
	s_cbranch_execz .LBB204_642
; %bb.635:                              ;   in Loop: Header=BB204_15 Depth=1
	v_mov_b64_e32 v[78:79], 0x8000000000000000
	s_mov_b32 s15, exec_lo
	v_cmpx_ne_u16_e32 0x80, v12
	s_cbranch_execz .LBB204_641
; %bb.636:                              ;   in Loop: Header=BB204_15 Depth=1
	v_and_b32_e32 v12, 0xffff, v12
	v_mov_b64_e32 v[78:79], 0x7f80000100000000
	s_mov_b32 s16, exec_lo
	s_delay_alu instid0(VALU_DEP_2) | instskip(NEXT) | instid1(VALU_DEP_1)
	v_and_b32_e32 v13, 0x7f, v12
	v_cmpx_ne_u32_e32 0x7f, v13
	s_cbranch_execz .LBB204_640
; %bb.637:                              ;   in Loop: Header=BB204_15 Depth=1
	v_dual_lshrrev_b32 v12, 3, v13 :: v_dual_bitop2_b32 v24, 7, v12 bitop3:0x40
	s_mov_b32 s17, exec_lo
	v_cmpx_gt_u32_e32 8, v13
; %bb.638:                              ;   in Loop: Header=BB204_15 Depth=1
	s_delay_alu instid0(VALU_DEP_2) | instskip(NEXT) | instid1(VALU_DEP_1)
	v_clz_i32_u32_e32 v12, v24
	v_min_u32_e32 v12, 32, v12
	s_delay_alu instid0(VALU_DEP_1) | instskip(SKIP_1) | instid1(VALU_DEP_2)
	v_subrev_nc_u32_e32 v13, 28, v12
	v_sub_nc_u32_e32 v12, 29, v12
	v_lshlrev_b64_e32 v[32:33], v13, v[24:25]
	s_delay_alu instid0(VALU_DEP_1)
	v_and_b32_e32 v24, 7, v32
; %bb.639:                              ;   in Loop: Header=BB204_15 Depth=1
	s_or_b32 exec_lo, exec_lo, s17
	s_delay_alu instid0(VALU_DEP_1) | instskip(SKIP_2) | instid1(VALU_DEP_3)
	v_dual_lshlrev_b32 v13, 16, v91 :: v_dual_lshlrev_b32 v24, 20, v24
	v_lshl_add_u32 v12, v12, 23, 0x3c000000
	v_mov_b32_e32 v78, v25
	v_and_b32_e32 v13, 0x80000000, v13
	s_delay_alu instid0(VALU_DEP_1)
	v_or3_b32 v79, v24, v13, v12
.LBB204_640:                            ;   in Loop: Header=BB204_15 Depth=1
	s_or_b32 exec_lo, exec_lo, s16
.LBB204_641:                            ;   in Loop: Header=BB204_15 Depth=1
	s_delay_alu instid0(SALU_CYCLE_1)
	s_or_b32 exec_lo, exec_lo, s15
.LBB204_642:                            ;   in Loop: Header=BB204_15 Depth=1
	s_delay_alu instid0(SALU_CYCLE_1) | instskip(SKIP_4) | instid1(VALU_DEP_3)
	s_or_b32 exec_lo, exec_lo, s14
	v_lshrrev_b32_e32 v32, 16, v91
	v_mov_b64_e32 v[12:13], 0
	v_mov_b64_e32 v[34:35], 0
	s_mov_b32 s14, exec_lo
	v_and_b32_e32 v24, 0xff, v32
	s_delay_alu instid0(VALU_DEP_1)
	v_cmpx_ne_u16_e32 0, v24
	s_cbranch_execz .LBB204_650
; %bb.643:                              ;   in Loop: Header=BB204_15 Depth=1
	v_mov_b64_e32 v[34:35], 0x80000000
	s_mov_b32 s15, exec_lo
	v_cmpx_ne_u16_e32 0x80, v24
	s_cbranch_execz .LBB204_649
; %bb.644:                              ;   in Loop: Header=BB204_15 Depth=1
	v_mov_b64_e32 v[34:35], 0x7f800001
	v_bfe_u32 v50, v91, 16, 7
	s_mov_b32 s16, exec_lo
	s_delay_alu instid0(VALU_DEP_1)
	v_cmpx_ne_u32_e32 0x7f, v50
	s_cbranch_execz .LBB204_648
; %bb.645:                              ;   in Loop: Header=BB204_15 Depth=1
	v_dual_lshrrev_b32 v33, 3, v50 :: v_dual_bitop2_b32 v24, 7, v32 bitop3:0x40
	s_mov_b32 s17, exec_lo
	v_cmpx_gt_u32_e32 8, v50
; %bb.646:                              ;   in Loop: Header=BB204_15 Depth=1
	s_delay_alu instid0(VALU_DEP_2) | instskip(NEXT) | instid1(VALU_DEP_1)
	v_clz_i32_u32_e32 v33, v24
	v_min_u32_e32 v33, 32, v33
	s_delay_alu instid0(VALU_DEP_1) | instskip(NEXT) | instid1(VALU_DEP_1)
	v_subrev_nc_u32_e32 v34, 28, v33
	v_lshlrev_b64_e32 v[34:35], v34, v[24:25]
	s_delay_alu instid0(VALU_DEP_1)
	v_dual_sub_nc_u32 v33, 29, v33 :: v_dual_bitop2_b32 v24, 7, v34 bitop3:0x40
; %bb.647:                              ;   in Loop: Header=BB204_15 Depth=1
	s_or_b32 exec_lo, exec_lo, s17
	v_lshlrev_b32_e32 v32, 24, v32
	s_delay_alu instid0(VALU_DEP_2) | instskip(NEXT) | instid1(VALU_DEP_3)
	v_lshlrev_b32_e32 v24, 20, v24
	v_lshl_add_u32 v33, v33, 23, 0x3c000000
	s_delay_alu instid0(VALU_DEP_3) | instskip(NEXT) | instid1(VALU_DEP_1)
	v_and_b32_e32 v32, 0x80000000, v32
	v_or3_b32 v24, v24, v32, v33
	s_delay_alu instid0(VALU_DEP_1)
	v_mov_b64_e32 v[34:35], v[24:25]
.LBB204_648:                            ;   in Loop: Header=BB204_15 Depth=1
	s_or_b32 exec_lo, exec_lo, s16
.LBB204_649:                            ;   in Loop: Header=BB204_15 Depth=1
	s_delay_alu instid0(SALU_CYCLE_1)
	s_or_b32 exec_lo, exec_lo, s15
.LBB204_650:                            ;   in Loop: Header=BB204_15 Depth=1
	s_delay_alu instid0(SALU_CYCLE_1) | instskip(NEXT) | instid1(SALU_CYCLE_1)
	s_or_b32 exec_lo, exec_lo, s14
	s_mov_b32 s14, exec_lo
	v_cmpx_lt_u32_e32 0xffffff, v91
	s_cbranch_execz .LBB204_13
; %bb.651:                              ;   in Loop: Header=BB204_15 Depth=1
	v_mov_b64_e32 v[12:13], 0x8000000000000000
	v_lshrrev_b32_e32 v32, 24, v91
	s_mov_b32 s15, exec_lo
	s_delay_alu instid0(VALU_DEP_1)
	v_cmpx_ne_u32_e32 0x80, v32
	s_cbranch_execz .LBB204_12
; %bb.652:                              ;   in Loop: Header=BB204_15 Depth=1
	v_mov_b64_e32 v[12:13], 0x7f80000100000000
	v_bfe_u32 v33, v91, 24, 7
	s_mov_b32 s16, exec_lo
	s_delay_alu instid0(VALU_DEP_1)
	v_cmpx_ne_u32_e32 0x7f, v33
	s_cbranch_execz .LBB204_11
; %bb.653:                              ;   in Loop: Header=BB204_15 Depth=1
	v_dual_lshrrev_b32 v12, 3, v33 :: v_dual_bitop2_b32 v24, 7, v32 bitop3:0x40
	s_mov_b32 s17, exec_lo
	v_cmpx_gt_u32_e32 8, v33
	s_cbranch_execz .LBB204_10
; %bb.654:                              ;   in Loop: Header=BB204_15 Depth=1
	s_delay_alu instid0(VALU_DEP_2) | instskip(NEXT) | instid1(VALU_DEP_1)
	v_clz_i32_u32_e32 v12, v24
	v_min_u32_e32 v12, 32, v12
	s_delay_alu instid0(VALU_DEP_1) | instskip(NEXT) | instid1(VALU_DEP_1)
	v_subrev_nc_u32_e32 v13, 28, v12
	v_lshlrev_b64_e32 v[50:51], v13, v[24:25]
	s_delay_alu instid0(VALU_DEP_1)
	v_dual_sub_nc_u32 v12, 29, v12 :: v_dual_bitop2_b32 v24, 7, v50 bitop3:0x40
	s_branch .LBB204_10
.LBB204_655:
	s_or_b32 exec_lo, exec_lo, s9
	s_clause 0x8
	scratch_load_b32 v12, off, s32 offset:800
	scratch_load_b64 v[50:51], off, s32 offset:816
	scratch_load_b32 v26, off, s32 offset:824
	scratch_load_b64 v[52:53], off, s32 offset:828
	scratch_load_b64 v[54:55], off, s32 offset:836
	scratch_load_b32 v27, off, s32 offset:844
	scratch_load_b64 v[66:67], off, s32 offset:848
	scratch_load_b32 v49, off, s32 offset:856
	scratch_load_b32 v11, off, s32 offset:860
.LBB204_656:
	s_wait_xcnt 0x0
	s_or_b32 exec_lo, exec_lo, s8
	v_mbcnt_lo_u32_b32 v3, -1, 0
	s_delay_alu instid0(VALU_DEP_1) | instskip(SKIP_1) | instid1(VALU_DEP_2)
	v_dual_max_num_f32 v5, v6, v6 :: v_dual_bitop2_b32 v0, 16, v3 bitop3:0x14
	v_xor_b32_e32 v4, 8, v3
	v_cmp_gt_i32_e32 vcc_lo, 32, v0
	v_cndmask_b32_e32 v0, v3, v0, vcc_lo
	s_delay_alu instid0(VALU_DEP_3) | instskip(NEXT) | instid1(VALU_DEP_2)
	v_cmp_gt_i32_e32 vcc_lo, 32, v4
	v_lshlrev_b32_e32 v0, 2, v0
	v_cndmask_b32_e32 v4, v3, v4, vcc_lo
	ds_bpermute_b32 v1, v0, v6
	s_wait_dscnt 0x0
	v_dual_max_num_f32 v6, v1, v1 :: v_dual_lshlrev_b32 v1, 2, v4
	s_delay_alu instid0(VALU_DEP_1) | instskip(SKIP_4) | instid1(VALU_DEP_1)
	v_dual_max_num_f32 v4, v5, v6 :: v_dual_bitop2_b32 v6, 4, v3 bitop3:0x14
	ds_bpermute_b32 v5, v1, v4
	v_cmp_gt_i32_e32 vcc_lo, 32, v6
	s_wait_dscnt 0x0
	v_dual_cndmask_b32 v6, v3, v6 :: v_dual_max_num_f32 v5, v5, v5
	v_dual_lshlrev_b32 v48, 2, v6 :: v_dual_max_num_f32 v4, v4, v5
	ds_bpermute_b32 v5, v48, v4
	s_wait_dscnt 0x0
	v_dual_max_num_f32 v5, v5, v5 :: v_dual_bitop2_b32 v6, 2, v3 bitop3:0x14
	s_delay_alu instid0(VALU_DEP_1) | instskip(NEXT) | instid1(VALU_DEP_2)
	v_cmp_gt_i32_e32 vcc_lo, 32, v6
	v_dual_max_num_f32 v4, v4, v5 :: v_dual_cndmask_b32 v6, v3, v6, vcc_lo
	s_delay_alu instid0(VALU_DEP_1) | instskip(SKIP_4) | instid1(VALU_DEP_1)
	v_dual_lshlrev_b32 v124, 2, v6 :: v_dual_bitop2_b32 v6, 1, v3 bitop3:0x14
	ds_bpermute_b32 v5, v124, v4
	v_cmp_gt_i32_e32 vcc_lo, 32, v6
	v_cndmask_b32_e32 v6, v3, v6, vcc_lo
	s_wait_dscnt 0x0
	v_dual_max_num_f32 v5, v5, v5 :: v_dual_lshlrev_b32 v122, 2, v6
	s_delay_alu instid0(VALU_DEP_1)
	v_max_num_f32_e32 v3, v4, v5
	scratch_load_b32 v4, off, s32 offset:440 ; 4-byte Folded Reload
	ds_bpermute_b32 v5, v122, v3
	s_wait_loadcnt 0x0
	v_cmp_eq_u32_e32 vcc_lo, 0, v4
	scratch_load_b32 v4, off, s32 offset:804 ; 4-byte Folded Reload
	s_wait_loadcnt 0x0
	v_lshlrev_b32_e32 v4, 2, v4
	s_wait_xcnt 0x0
	s_and_saveexec_b32 s1, vcc_lo
	s_cbranch_execz .LBB204_658
; %bb.657:
	s_wait_dscnt 0x0
	v_dual_max_num_f32 v5, v5, v5 :: v_dual_max_num_f32 v3, v3, v3
	s_delay_alu instid0(VALU_DEP_1)
	v_max_num_f32_e32 v3, v3, v5
	ds_store_b32 v4, v3 offset:320
.LBB204_658:
	s_or_b32 exec_lo, exec_lo, s1
	scratch_load_b32 v3, off, s32 offset:440 ; 4-byte Folded Reload
	s_wait_storecnt 0x0
	s_wait_loadcnt_dscnt 0x0
	s_barrier_signal -1
	s_barrier_wait -1
	v_cmp_gt_u32_e64 s1, 4, v3
	v_mov_b32_e32 v3, 0xff7fffff
	s_and_saveexec_b32 s2, s1
; %bb.659:
	ds_load_b32 v3, v11 offset:320
; %bb.660:
	s_or_b32 exec_lo, exec_lo, s2
	s_wait_dscnt 0x0
	ds_bpermute_b32 v5, v124, v3
	s_wait_dscnt 0x0
	v_dual_max_num_f32 v3, v3, v3 :: v_dual_max_num_f32 v5, v5, v5
	s_delay_alu instid0(VALU_DEP_1) | instskip(SKIP_3) | instid1(VALU_DEP_1)
	v_max_num_f32_e32 v3, v3, v5
	ds_bpermute_b32 v5, v122, v3
	s_wait_dscnt 0x0
	v_max_num_f32_e32 v5, v5, v5
	v_dual_max_num_f32 v3, v3, v5 :: v_dual_mov_b32 v5, 0
	ds_bpermute_b32 v6, v5, v3
	scratch_load_b32 v3, off, s32 offset:192 ; 4-byte Folded Reload
	s_wait_loadcnt 0x0
	v_lshlrev_b32_e32 v3, 5, v3
	s_delay_alu instid0(VALU_DEP_1) | instskip(NEXT) | instid1(VALU_DEP_1)
	v_min_i32_e32 v3, v3, v16
	v_cmp_lt_i32_e64 s2, v12, v3
	s_and_saveexec_b32 s8, s2
	s_cbranch_execz .LBB204_664
; %bb.661:
	v_lshl_add_u32 v7, v12, 2, v2
	v_dual_mov_b32 v5, 0 :: v_dual_mov_b32 v9, v12
	s_mov_b32 s9, 0
.LBB204_662:                            ; =>This Inner Loop Header: Depth=1
	ds_load_b32 v10, v7
	v_add_nc_u32_e32 v9, 0x80, v9
	s_delay_alu instid0(VALU_DEP_1) | instskip(SKIP_3) | instid1(VALU_DEP_1)
	v_cmp_ge_i32_e64 s3, v9, v3
	s_or_b32 s9, s3, s9
	s_wait_dscnt 0x0
	v_sub_f32_e32 v10, v10, v6
	v_mul_f32_e32 v10, 0x3fb8aa3b, v10
	s_delay_alu instid0(VALU_DEP_1)
	v_exp_f32_e32 v10, v10
	ds_store_b32 v7, v10
	v_nop
	v_add_f32_e32 v5, v5, v10
	v_add_nc_u32_e32 v7, 0x200, v7
	s_and_not1_b32 exec_lo, exec_lo, s9
	s_cbranch_execnz .LBB204_662
; %bb.663:
	s_or_b32 exec_lo, exec_lo, s9
.LBB204_664:
	s_delay_alu instid0(SALU_CYCLE_1)
	s_or_b32 exec_lo, exec_lo, s8
	ds_bpermute_b32 v0, v0, v5
	s_wait_dscnt 0x0
	v_add_f32_e32 v0, v5, v0
	ds_bpermute_b32 v1, v1, v0
	s_wait_dscnt 0x0
	v_add_f32_e32 v0, v0, v1
	;; [unrolled: 3-line block ×5, first 2 shown]
	s_and_saveexec_b32 s3, vcc_lo
; %bb.665:
	ds_store_b32 v4, v0 offset:336
; %bb.666:
	s_or_b32 exec_lo, exec_lo, s3
	s_wait_dscnt 0x0
	s_barrier_signal -1
	s_barrier_wait -1
	s_and_saveexec_b32 s3, s1
; %bb.667:
	ds_load_b32 v0, v11 offset:336
; %bb.668:
	s_or_b32 exec_lo, exec_lo, s3
	s_wait_dscnt 0x0
	ds_bpermute_b32 v1, v124, v0
	s_wait_dscnt 0x0
	v_dual_mov_b32 v13, 0 :: v_dual_add_f32 v0, v0, v1
	ds_bpermute_b32 v1, v122, v0
	s_wait_dscnt 0x0
	v_add_f32_e32 v0, v0, v1
	ds_bpermute_b32 v0, v13, v0
	s_and_saveexec_b32 s1, s2
	s_cbranch_execz .LBB204_681
; %bb.669:
	s_wait_dscnt 0x0
	v_add_f32_e32 v0, 0x358637bd, v0
	s_mov_b32 s3, -1
	s_mov_b32 s2, exec_lo
	s_delay_alu instid0(VALU_DEP_1) | instskip(NEXT) | instid1(VALU_DEP_1)
	v_div_scale_f32 v1, null, v0, v0, 1.0
	v_rcp_f32_e32 v5, v1
	v_nop
	s_delay_alu instid0(TRANS32_DEP_1) | instskip(NEXT) | instid1(VALU_DEP_1)
	v_fma_f32 v4, -v1, v5, 1.0
	v_fmac_f32_e32 v5, v4, v5
	v_div_scale_f32 v6, vcc_lo, 1.0, v0, 1.0
	s_delay_alu instid0(VALU_DEP_1) | instskip(NEXT) | instid1(VALU_DEP_1)
	v_mul_f32_e32 v7, v6, v5
	v_fma_f32 v4, -v1, v7, v6
	s_delay_alu instid0(VALU_DEP_1) | instskip(SKIP_1) | instid1(VALU_DEP_2)
	v_fmac_f32_e32 v7, v4, v5
	v_xad_u32 v4, v12, -1, v3
	v_fma_f32 v1, -v1, v7, v6
	s_delay_alu instid0(VALU_DEP_1) | instskip(NEXT) | instid1(VALU_DEP_1)
	v_div_fmas_f32 v1, v1, v5, v7
	v_div_fixup_f32 v0, v1, v0, 1.0
	v_mov_b32_e32 v1, v12
	v_cmpx_lt_u32_e32 0x7f, v4
	s_cbranch_execz .LBB204_678
; %bb.670:
	s_delay_alu instid0(VALU_DEP_3) | instskip(NEXT) | instid1(VALU_DEP_1)
	v_dual_mov_b32 v1, v0 :: v_dual_lshrrev_b32 v4, 7, v4
	v_dual_mov_b32 v9, 0 :: v_dual_add_nc_u32 v5, -1, v4
	s_delay_alu instid0(VALU_DEP_1) | instskip(SKIP_1) | instid1(VALU_DEP_2)
	v_lshrrev_b32_e32 v6, 1, v5
	v_cmp_lt_u32_e32 vcc_lo, 13, v5
	v_add_nc_u32_e32 v5, 1, v6
	s_and_saveexec_b32 s3, vcc_lo
	s_cbranch_execz .LBB204_674
; %bb.671:
	s_delay_alu instid0(VALU_DEP_1)
	v_and_b32_e32 v6, -8, v5
	v_lshl_add_u32 v7, v12, 2, v2
	s_mov_b32 s8, 0
	s_mov_b32 s9, 0
.LBB204_672:                            ; =>This Inner Loop Header: Depth=1
	ds_load_2addr_stride64_b32 v[10:11], v7 offset1:2
	ds_load_2addr_stride64_b32 v[14:15], v7 offset0:4 offset1:6
	ds_load_2addr_stride64_b32 v[18:19], v7 offset0:8 offset1:10
	;; [unrolled: 1-line block ×7, first 2 shown]
	s_add_co_i32 s9, s9, 16
	s_delay_alu instid0(SALU_CYCLE_1) | instskip(NEXT) | instid1(VALU_DEP_1)
	v_dual_mov_b32 v9, s9 :: v_dual_add_nc_u32 v6, -8, v6
	v_cmp_eq_u32_e32 vcc_lo, 0, v6
	s_or_b32 s8, vcc_lo, s8
	s_wait_dscnt 0x7
	v_pk_mul_f32 v[10:11], v[0:1], v[10:11]
	s_wait_dscnt 0x6
	v_pk_mul_f32 v[14:15], v[0:1], v[14:15]
	;; [unrolled: 2-line block ×8, first 2 shown]
	ds_store_2addr_stride64_b32 v7, v10, v11 offset1:2
	ds_store_2addr_stride64_b32 v7, v14, v15 offset0:4 offset1:6
	ds_store_2addr_stride64_b32 v7, v18, v19 offset0:8 offset1:10
	;; [unrolled: 1-line block ×7, first 2 shown]
	v_add_nc_u32_e32 v7, 0x2000, v7
	s_and_not1_b32 exec_lo, exec_lo, s8
	s_cbranch_execnz .LBB204_672
; %bb.673:
	s_or_b32 exec_lo, exec_lo, s8
	scratch_load_b32 v12, off, s32 offset:800 ; 4-byte Folded Reload
.LBB204_674:
	s_wait_xcnt 0x0
	s_or_b32 exec_lo, exec_lo, s3
	v_and_b32_e32 v5, 7, v5
	s_mov_b32 s8, 0
	s_mov_b32 s3, exec_lo
	s_delay_alu instid0(VALU_DEP_1)
	v_cmpx_ne_u32_e32 0, v5
	s_cbranch_execz .LBB204_677
; %bb.675:
	s_wait_loadcnt 0x0
	v_dual_lshlrev_b32 v6, 9, v9 :: v_dual_lshlrev_b32 v7, 2, v12
	s_delay_alu instid0(VALU_DEP_1)
	v_add3_u32 v6, v6, v7, v2
.LBB204_676:                            ; =>This Inner Loop Header: Depth=1
	ds_load_2addr_stride64_b32 v[10:11], v6 offset1:2
	v_add_nc_u32_e32 v5, -1, v5
	s_delay_alu instid0(VALU_DEP_1)
	v_cmp_eq_u32_e32 vcc_lo, 0, v5
	s_or_b32 s8, vcc_lo, s8
	s_wait_dscnt 0x0
	v_pk_mul_f32 v[10:11], v[0:1], v[10:11]
	ds_store_2addr_stride64_b32 v6, v10, v11 offset1:2
	v_add_nc_u32_e32 v6, 0x400, v6
	s_and_not1_b32 exec_lo, exec_lo, s8
	s_cbranch_execnz .LBB204_676
.LBB204_677:
	s_or_b32 exec_lo, exec_lo, s3
	v_add_nc_u32_e32 v1, 1, v4
	s_delay_alu instid0(VALU_DEP_1) | instskip(NEXT) | instid1(VALU_DEP_1)
	v_and_b32_e32 v4, 0x3fffffe, v1
	v_cmp_ne_u32_e32 vcc_lo, v1, v4
	s_wait_loadcnt 0x0
	v_lshl_add_u32 v1, v4, 7, v12
	s_or_not1_b32 s3, vcc_lo, exec_lo
.LBB204_678:
	s_or_b32 exec_lo, exec_lo, s2
	s_delay_alu instid0(SALU_CYCLE_1)
	s_and_b32 exec_lo, exec_lo, s3
	s_cbranch_execz .LBB204_681
; %bb.679:
	v_lshl_add_u32 v2, v1, 2, v2
	s_mov_b32 s2, 0
.LBB204_680:                            ; =>This Inner Loop Header: Depth=1
	ds_load_b32 v4, v2
	s_wait_dscnt 0x0
	v_dual_mul_f32 v4, v0, v4 :: v_dual_add_nc_u32 v1, 0x80, v1
	s_delay_alu instid0(VALU_DEP_1) | instskip(SKIP_3) | instid1(SALU_CYCLE_1)
	v_cmp_ge_i32_e32 vcc_lo, v1, v3
	ds_store_b32 v2, v4
	v_add_nc_u32_e32 v2, 0x200, v2
	s_or_b32 s2, vcc_lo, s2
	s_and_not1_b32 exec_lo, exec_lo, s2
	s_cbranch_execnz .LBB204_680
.LBB204_681:
	s_or_b32 exec_lo, exec_lo, s1
	v_dual_mov_b32 v12, 0 :: v_dual_bitop2_b32 v64, 7, v12 bitop3:0x40
	v_dual_mov_b32 v29, 0 :: v_dual_mov_b32 v28, 0
	v_dual_mov_b32 v31, 0 :: v_dual_mov_b32 v30, 0
	;; [unrolled: 1-line block ×9, first 2 shown]
	s_wait_dscnt 0x0
	s_barrier_signal -1
	s_barrier_wait -1
	s_and_saveexec_b32 s1, s0
	s_cbranch_execz .LBB204_1367
; %bb.682:
	v_dual_mov_b32 v7, 0 :: v_dual_max_i32 v127, v26, v49
	v_mov_b32_e32 v5, v16
	scratch_store_b32 off, v48, s32 offset:248 ; 4-byte Folded Spill
	v_dual_mov_b32 v36, 0 :: v_dual_mov_b32 v32, 0
	v_cvt_f32_u32_e32 v0, v127
	v_dual_mov_b32 v38, 0 :: v_dual_mov_b32 v39, 0
	v_dual_mov_b32 v34, 0 :: v_dual_mov_b32 v35, 0
	s_delay_alu instid0(VALU_DEP_3)
	v_rcp_iflag_f32_e32 v2, v0
	s_clause 0x3
	scratch_load_b32 v0, off, s32 offset:800
	scratch_store_b64 off, v[4:5], s32 offset:232
	scratch_store_b32 off, v64, s32 offset:256
	scratch_load_b32 v9, off, s32 offset:804
	s_wait_xcnt 0x2
	v_dual_lshlrev_b32 v4, 4, v64 :: v_dual_mov_b32 v20, 0
	v_dual_mov_b32 v21, 0 :: v_dual_mul_f32 v2, 0x4f7ffffe, v2
	v_dual_mov_b32 v37, 0 :: v_dual_mov_b32 v24, 0
	v_dual_mov_b32 v25, 0 :: v_dual_mov_b32 v14, 0
	v_mov_b32_e32 v15, 0
	s_delay_alu instid0(VALU_DEP_4)
	v_cvt_u32_f32_e32 v2, v2
	v_dual_mov_b32 v30, 0 :: v_dual_mov_b32 v31, 0
	v_dual_mov_b32 v28, 0 :: v_dual_mov_b32 v29, 0
	v_mov_b32_e32 v13, 0
	s_mov_b32 s2, 0
	s_wait_loadcnt 0x1
	v_dual_mov_b32 v33, 0 :: v_dual_lshlrev_b32 v3, 2, v0
	v_sub_nc_u32_e32 v5, 0, v127
	v_add_nc_u64_e32 v[0:1], v[52:53], v[66:67]
	s_wait_loadcnt 0x0
	v_dual_mov_b32 v12, 0 :: v_dual_mov_b32 v126, v9
	v_and_b32_e32 v6, 0x7c, v3
	v_mul_lo_u32 v5, v5, v2
	v_and_b32_e32 v125, 28, v3
	v_lshl_or_b32 v26, v9, 7, v4
	s_delay_alu instid0(VALU_DEP_4) | instskip(SKIP_3) | instid1(VALU_DEP_1)
	v_add_nc_u64_e32 v[0:1], v[0:1], v[6:7]
	v_and_b32_e32 v6, 0x7c, v27
	scratch_store_b32 off, v125, s32 offset:240 ; 4-byte Folded Spill
	v_mul_hi_u32 v5, v2, v5
	v_dual_mov_b32 v3, v7 :: v_dual_add_nc_u32 v2, v2, v5
	scratch_store_b64 off, v[0:1], s32 offset:224 ; 8-byte Folded Spill
	s_wait_xcnt 0x0
	v_lshl_add_u64 v[0:1], v[54:55], 2, v[6:7]
	scratch_store_b64 off, v[2:3], s32 offset:196 ; 8-byte Folded Spill
	v_add_nc_u64_e32 v[10:11], v[50:51], v[0:1]
	s_branch .LBB204_685
.LBB204_683:                            ;   in Loop: Header=BB204_685 Depth=1
	s_wait_xcnt 0x0
	s_or_b32 exec_lo, exec_lo, s8
	v_mul_f32_e32 v9, v3, v95
	v_mul_f32_e32 v6, v3, v107
	;; [unrolled: 1-line block ×3, first 2 shown]
	s_delay_alu instid0(VALU_DEP_3) | instskip(NEXT) | instid1(VALU_DEP_3)
	v_dual_mul_f32 v27, v3, v91 :: v_dual_fmac_f32 v9, v2, v94
	v_dual_fmac_f32 v6, v2, v106 :: v_dual_mul_f32 v49, v3, v75
	s_delay_alu instid0(VALU_DEP_3) | instskip(NEXT) | instid1(VALU_DEP_2)
	v_fmac_f32_e32 v48, v2, v78
	v_dual_fmac_f32 v27, v2, v90 :: v_dual_fmac_f32 v6, v4, v104
	s_delay_alu instid0(VALU_DEP_3) | instskip(SKIP_1) | instid1(VALU_DEP_3)
	v_fmac_f32_e32 v49, v2, v74
	v_fmac_f32_e32 v9, v4, v92
	v_dual_fmac_f32 v27, v4, v88 :: v_dual_fmac_f32 v6, v5, v105
	s_delay_alu instid0(VALU_DEP_2) | instskip(NEXT) | instid1(VALU_DEP_2)
	v_dual_fmac_f32 v48, v4, v76 :: v_dual_fmac_f32 v9, v5, v93
	v_dual_fmac_f32 v49, v4, v72 :: v_dual_fmac_f32 v27, v5, v89
	s_delay_alu instid0(VALU_DEP_2) | instskip(NEXT) | instid1(VALU_DEP_3)
	v_dual_add_f32 v12, v12, v6 :: v_dual_fmac_f32 v48, v5, v77
	v_add_f32_e32 v29, v29, v9
	s_delay_alu instid0(VALU_DEP_3) | instskip(SKIP_1) | instid1(VALU_DEP_2)
	v_dual_fmac_f32 v49, v5, v73 :: v_dual_add_f32 v28, v28, v27
	v_mul_f32_e32 v6, v3, v63
	v_dual_add_f32 v31, v31, v48 :: v_dual_add_f32 v30, v30, v49
	s_delay_alu instid0(VALU_DEP_2) | instskip(NEXT) | instid1(VALU_DEP_1)
	v_dual_mul_f32 v9, v3, v59 :: v_dual_fmac_f32 v6, v2, v62
	v_dual_mul_f32 v27, v3, v47 :: v_dual_fmac_f32 v9, v2, v58
	s_delay_alu instid0(VALU_DEP_1) | instskip(NEXT) | instid1(VALU_DEP_1)
	v_dual_mul_f32 v48, v3, v43 :: v_dual_fmac_f32 v27, v2, v46
	v_dual_mul_f32 v49, v3, v119 :: v_dual_fmac_f32 v48, v2, v42
	s_delay_alu instid0(VALU_DEP_1) | instskip(NEXT) | instid1(VALU_DEP_1)
	v_dual_fmac_f32 v6, v4, v60 :: v_dual_fmac_f32 v49, v2, v118
	v_dual_fmac_f32 v9, v4, v56 :: v_dual_fmac_f32 v6, v5, v61
	s_delay_alu instid0(VALU_DEP_1) | instskip(NEXT) | instid1(VALU_DEP_1)
	v_dual_fmac_f32 v27, v4, v44 :: v_dual_fmac_f32 v9, v5, v57
	v_dual_fmac_f32 v48, v4, v40 :: v_dual_fmac_f32 v27, v5, v45
	s_delay_alu instid0(VALU_DEP_1) | instskip(NEXT) | instid1(VALU_DEP_4)
	v_dual_fmac_f32 v49, v4, v116 :: v_dual_fmac_f32 v48, v5, v41
	v_add_f32_e32 v15, v15, v6
	s_delay_alu instid0(VALU_DEP_4) | instskip(NEXT) | instid1(VALU_DEP_4)
	v_dual_mul_f32 v6, v3, v115 :: v_dual_add_f32 v14, v14, v9
	v_add_f32_e32 v25, v25, v27
	s_delay_alu instid0(VALU_DEP_4) | instskip(SKIP_1) | instid1(VALU_DEP_4)
	v_dual_fmac_f32 v49, v5, v117 :: v_dual_add_f32 v24, v24, v48
	v_mul_f32_e32 v9, v3, v103
	v_dual_mul_f32 v27, v3, v99 :: v_dual_fmac_f32 v6, v2, v114
	s_delay_alu instid0(VALU_DEP_3) | instskip(NEXT) | instid1(VALU_DEP_3)
	v_dual_add_f32 v21, v21, v49 :: v_dual_mul_f32 v48, v3, v87
	v_dual_fmac_f32 v9, v2, v102 :: v_dual_mul_f32 v23, v3, v23
	s_delay_alu instid0(VALU_DEP_3) | instskip(NEXT) | instid1(VALU_DEP_2)
	v_dual_fmac_f32 v27, v2, v98 :: v_dual_fmac_f32 v6, v4, v112
	v_dual_fmac_f32 v48, v2, v86 :: v_dual_fmac_f32 v9, v4, v100
	s_delay_alu instid0(VALU_DEP_3) | instskip(NEXT) | instid1(VALU_DEP_3)
	v_fmac_f32_e32 v23, v2, v22
	v_dual_fmac_f32 v27, v4, v96 :: v_dual_fmac_f32 v6, v5, v113
	s_delay_alu instid0(VALU_DEP_3) | instskip(NEXT) | instid1(VALU_DEP_3)
	v_dual_fmac_f32 v48, v4, v84 :: v_dual_fmac_f32 v9, v5, v101
	v_dual_fmac_f32 v23, v4, v18 :: v_dual_mul_f32 v22, v3, v69
	s_delay_alu instid0(VALU_DEP_2) | instskip(SKIP_1) | instid1(VALU_DEP_3)
	v_dual_add_f32 v20, v20, v6 :: v_dual_fmac_f32 v48, v5, v85
	v_mul_f32_e32 v6, v3, v83
	v_fmac_f32_e32 v23, v5, v19
	v_fmac_f32_e32 v27, v5, v97
	v_pk_mul_f32 v[18:19], v[2:3], v[64:65]
	v_add_f32_e32 v39, v39, v48
	s_delay_alu instid0(VALU_DEP_4) | instskip(SKIP_4) | instid1(VALU_DEP_4)
	v_dual_add_f32 v35, v35, v9 :: v_dual_add_f32 v38, v38, v23
	v_dual_mul_f32 v9, v3, v81 :: v_dual_mul_f32 v23, v3, v55
	v_fmac_f32_e32 v6, v2, v82
	v_add_f32_e32 v18, v18, v19
	v_add_f32_e32 v34, v34, v27
	v_dual_fmac_f32 v9, v2, v80 :: v_dual_fmac_f32 v23, v2, v54
	v_fmac_f32_e32 v22, v2, v68
	v_pk_mul_f32 v[2:3], v[4:5], v[50:51]
	s_delay_alu instid0(VALU_DEP_3) | instskip(NEXT) | instid1(VALU_DEP_3)
	v_dual_fmac_f32 v6, v4, v0 :: v_dual_fmac_f32 v9, v4, v70
	v_dual_fmac_f32 v23, v4, v52 :: v_dual_fmac_f32 v22, v4, v66
	s_delay_alu instid0(VALU_DEP_2) | instskip(NEXT) | instid1(VALU_DEP_2)
	v_dual_add_f32 v0, v2, v18 :: v_dual_fmac_f32 v6, v5, v1
	v_dual_fmac_f32 v9, v5, v71 :: v_dual_fmac_f32 v23, v5, v53
	s_delay_alu instid0(VALU_DEP_2) | instskip(NEXT) | instid1(VALU_DEP_2)
	v_dual_fmac_f32 v22, v5, v67 :: v_dual_add_f32 v0, v3, v0
	v_dual_add_f32 v33, v33, v6 :: v_dual_add_f32 v32, v32, v9
	s_delay_alu instid0(VALU_DEP_2) | instskip(NEXT) | instid1(VALU_DEP_3)
	v_dual_add_f32 v36, v36, v23 :: v_dual_add_f32 v37, v37, v22
	v_add_f32_e32 v13, v13, v0
.LBB204_684:                            ;   in Loop: Header=BB204_685 Depth=1
	s_or_b32 exec_lo, exec_lo, s3
	scratch_load_b32 v0, off, s32 offset:192 ; 4-byte Folded Reload
	v_add_nc_u32_e32 v126, 4, v126
	v_add_nc_u64_e32 v[10:11], 16, v[10:11]
	v_add_nc_u32_e32 v8, 0x80, v8
	v_add_nc_u32_e32 v26, 0x200, v26
	s_wait_loadcnt 0x0
	v_cmp_ge_i32_e32 vcc_lo, v126, v0
	s_or_b32 s2, vcc_lo, s2
	s_wait_xcnt 0x0
	s_and_not1_b32 exec_lo, exec_lo, s2
	s_cbranch_execz .LBB204_1366
.LBB204_685:                            ; =>This Inner Loop Header: Depth=1
	scratch_load_b64 v[0:1], off, s32 offset:204 ; 8-byte Folded Reload
	v_mov_b32_e32 v9, v7
	s_wait_loadcnt 0x0
	s_delay_alu instid0(VALU_DEP_1) | instskip(NEXT) | instid1(VALU_DEP_1)
	v_mul_u64_e32 v[0:1], v[8:9], v[0:1]
	v_mul_lo_u32 v0, v1, v17
	s_delay_alu instid0(VALU_DEP_1) | instskip(NEXT) | instid1(VALU_DEP_1)
	v_sub_nc_u32_e32 v0, v8, v0
	v_cmp_ge_u32_e32 vcc_lo, v0, v17
	s_wait_xcnt 0x1
	v_sub_nc_u32_e32 v3, v0, v17
	s_delay_alu instid0(VALU_DEP_1) | instskip(NEXT) | instid1(VALU_DEP_1)
	v_dual_add_nc_u32 v2, 1, v1 :: v_dual_cndmask_b32 v0, v0, v3, vcc_lo
	v_cndmask_b32_e32 v1, v1, v2, vcc_lo
	s_delay_alu instid0(VALU_DEP_2) | instskip(NEXT) | instid1(VALU_DEP_2)
	v_cmp_ge_u32_e32 vcc_lo, v0, v17
	v_add_nc_u32_e32 v2, 1, v1
	s_delay_alu instid0(VALU_DEP_1) | instskip(SKIP_3) | instid1(VALU_DEP_1)
	v_cndmask_b32_e32 v0, v1, v2, vcc_lo
	scratch_load_b32 v1, off, s32 offset:212 ; 4-byte Folded Reload
	s_wait_loadcnt 0x0
	v_xor_b32_e32 v0, v0, v1
	v_sub_nc_u32_e32 v2, v0, v1
	scratch_load_b32 v0, off, s32 offset:216 ; 4-byte Folded Reload
	s_wait_loadcnt 0x0
	v_add_nc_u32_e32 v3, v2, v0
	s_delay_alu instid0(VALU_DEP_1) | instskip(NEXT) | instid1(VALU_DEP_1)
	v_sub_nc_u32_e32 v0, 0, v3
	v_max_i32_e32 v6, v3, v0
	scratch_load_b64 v[0:1], off, s32 offset:196 ; 8-byte Folded Reload
	s_wait_loadcnt 0x0
	v_mul_u64_e32 v[0:1], v[6:7], v[0:1]
	s_delay_alu instid0(VALU_DEP_1) | instskip(NEXT) | instid1(VALU_DEP_1)
	v_mul_lo_u32 v0, v1, v127
	v_sub_nc_u32_e32 v0, v6, v0
	s_delay_alu instid0(VALU_DEP_1) | instskip(SKIP_1) | instid1(VALU_DEP_2)
	v_sub_nc_u32_e32 v1, v0, v127
	v_cmp_ge_u32_e32 vcc_lo, v0, v127
	v_dual_cndmask_b32 v0, v0, v1 :: v_dual_ashrrev_i32 v3, 31, v3
	s_delay_alu instid0(VALU_DEP_1) | instskip(SKIP_1) | instid1(VALU_DEP_2)
	v_sub_nc_u32_e32 v1, v0, v127
	v_cmp_ge_u32_e32 vcc_lo, v0, v127
	v_cndmask_b32_e32 v0, v0, v1, vcc_lo
	s_delay_alu instid0(VALU_DEP_1) | instskip(NEXT) | instid1(VALU_DEP_1)
	v_xor_b32_e32 v0, v0, v3
	v_sub_nc_u32_e32 v0, v0, v3
	s_delay_alu instid0(VALU_DEP_1)
	v_cmp_eq_u32_e32 vcc_lo, 0, v0
	scratch_load_b32 v0, off, s32 offset:220 ; 4-byte Folded Reload
	s_wait_loadcnt 0x0
	v_cmp_gt_i32_e64 s0, v2, v0
	s_or_b32 s0, vcc_lo, s0
	s_wait_xcnt 0x0
	s_and_saveexec_b32 s3, s0
	s_cbranch_execz .LBB204_684
; %bb.686:                              ;   in Loop: Header=BB204_685 Depth=1
	flat_load_b32 v0, v[10:11]
	s_clause 0x1
	scratch_load_b64 v[2:3], off, s32 offset:416
	scratch_load_b64 v[4:5], off, s32 offset:224
	v_mov_b64_e32 v[18:19], 0
	s_wait_loadcnt_dscnt 0x0
	v_mad_nc_i64_i32 v[64:65], v0, v2, v[4:5]
	flat_load_b32 v9, v[64:65]
	scratch_load_b64 v[0:1], off, s32 offset:448 ; 8-byte Folded Reload
	s_load_b32 s0, s[6:7], 0x0
	s_wait_loadcnt_dscnt 0x100
	v_and_b32_e32 v6, 0xff, v9
	s_wait_loadcnt 0x0
	flat_load_b32 v50, v[0:1]
	s_wait_kmcnt 0x0
	s_wait_xcnt 0x0
	v_add_nc_u32_e32 v0, s0, v26
	s_mov_b32 s0, exec_lo
	ds_load_b128 v[2:5], v0
	v_mov_b64_e32 v[0:1], 0
	v_cmpx_ne_u16_e32 0, v6
	s_cbranch_execz .LBB204_694
; %bb.687:                              ;   in Loop: Header=BB204_685 Depth=1
	v_mov_b64_e32 v[18:19], 0x80000000
	s_mov_b32 s8, exec_lo
	v_cmpx_ne_u16_e32 0x80, v6
	s_cbranch_execz .LBB204_693
; %bb.688:                              ;   in Loop: Header=BB204_685 Depth=1
	v_mov_b64_e32 v[18:19], 0x7f800001
	v_and_b32_e32 v22, 0x7f, v9
	s_mov_b32 s9, exec_lo
	s_delay_alu instid0(VALU_DEP_1)
	v_cmpx_ne_u32_e32 0x7f, v22
	s_cbranch_execz .LBB204_692
; %bb.689:                              ;   in Loop: Header=BB204_685 Depth=1
	v_dual_lshrrev_b32 v18, 3, v22 :: v_dual_bitop2_b32 v6, 7, v9 bitop3:0x40
	s_mov_b32 s14, exec_lo
	v_cmpx_gt_u32_e32 8, v22
; %bb.690:                              ;   in Loop: Header=BB204_685 Depth=1
	s_delay_alu instid0(VALU_DEP_2) | instskip(NEXT) | instid1(VALU_DEP_1)
	v_clz_i32_u32_e32 v18, v6
	v_min_u32_e32 v18, 32, v18
	s_delay_alu instid0(VALU_DEP_1) | instskip(SKIP_1) | instid1(VALU_DEP_2)
	v_subrev_nc_u32_e32 v19, 28, v18
	v_sub_nc_u32_e32 v18, 29, v18
	v_lshlrev_b64_e32 v[22:23], v19, v[6:7]
	s_delay_alu instid0(VALU_DEP_1)
	v_and_b32_e32 v6, 7, v22
; %bb.691:                              ;   in Loop: Header=BB204_685 Depth=1
	s_or_b32 exec_lo, exec_lo, s14
	s_delay_alu instid0(VALU_DEP_1) | instskip(SKIP_1) | instid1(VALU_DEP_2)
	v_dual_lshlrev_b32 v19, 24, v9 :: v_dual_lshlrev_b32 v6, 20, v6
	v_lshl_add_u32 v18, v18, 23, 0x3c000000
	v_and_b32_e32 v19, 0x80000000, v19
	s_delay_alu instid0(VALU_DEP_1) | instskip(NEXT) | instid1(VALU_DEP_1)
	v_or3_b32 v6, v6, v19, v18
	v_mov_b64_e32 v[18:19], v[6:7]
.LBB204_692:                            ;   in Loop: Header=BB204_685 Depth=1
	s_or_b32 exec_lo, exec_lo, s9
.LBB204_693:                            ;   in Loop: Header=BB204_685 Depth=1
	s_delay_alu instid0(SALU_CYCLE_1)
	s_or_b32 exec_lo, exec_lo, s8
.LBB204_694:                            ;   in Loop: Header=BB204_685 Depth=1
	s_delay_alu instid0(SALU_CYCLE_1) | instskip(SKIP_2) | instid1(VALU_DEP_1)
	s_or_b32 exec_lo, exec_lo, s0
	v_lshrrev_b16 v6, 8, v9
	s_mov_b32 s0, exec_lo
	v_cmpx_ne_u16_e32 0, v6
	s_cbranch_execz .LBB204_702
; %bb.695:                              ;   in Loop: Header=BB204_685 Depth=1
	v_mov_b64_e32 v[0:1], 0x8000000000000000
	s_mov_b32 s8, exec_lo
	v_cmpx_ne_u16_e32 0x80, v6
	s_cbranch_execz .LBB204_701
; %bb.696:                              ;   in Loop: Header=BB204_685 Depth=1
	v_and_b32_e32 v6, 0xffff, v6
	v_mov_b64_e32 v[0:1], 0x7f80000100000000
	s_mov_b32 s9, exec_lo
	s_delay_alu instid0(VALU_DEP_2) | instskip(NEXT) | instid1(VALU_DEP_1)
	v_and_b32_e32 v22, 0x7f, v6
	v_cmpx_ne_u32_e32 0x7f, v22
	s_cbranch_execz .LBB204_700
; %bb.697:                              ;   in Loop: Header=BB204_685 Depth=1
	v_and_b32_e32 v6, 7, v6
	v_lshrrev_b32_e32 v0, 3, v22
	s_mov_b32 s14, exec_lo
	v_cmpx_gt_u32_e32 8, v22
; %bb.698:                              ;   in Loop: Header=BB204_685 Depth=1
	s_delay_alu instid0(VALU_DEP_3) | instskip(NEXT) | instid1(VALU_DEP_1)
	v_clz_i32_u32_e32 v0, v6
	v_min_u32_e32 v0, 32, v0
	s_delay_alu instid0(VALU_DEP_1) | instskip(NEXT) | instid1(VALU_DEP_1)
	v_subrev_nc_u32_e32 v1, 28, v0
	v_lshlrev_b64_e32 v[22:23], v1, v[6:7]
	s_delay_alu instid0(VALU_DEP_1)
	v_dual_sub_nc_u32 v0, 29, v0 :: v_dual_bitop2_b32 v6, 7, v22 bitop3:0x40
; %bb.699:                              ;   in Loop: Header=BB204_685 Depth=1
	s_or_b32 exec_lo, exec_lo, s14
	s_delay_alu instid0(VALU_DEP_1) | instskip(NEXT) | instid1(VALU_DEP_2)
	v_dual_lshlrev_b32 v1, 16, v9 :: v_dual_lshlrev_b32 v6, 20, v6
	v_lshl_add_u32 v0, v0, 23, 0x3c000000
	s_delay_alu instid0(VALU_DEP_2) | instskip(NEXT) | instid1(VALU_DEP_1)
	v_and_b32_e32 v1, 0x80000000, v1
	v_or3_b32 v1, v6, v1, v0
	v_mov_b32_e32 v0, v7
.LBB204_700:                            ;   in Loop: Header=BB204_685 Depth=1
	s_or_b32 exec_lo, exec_lo, s9
.LBB204_701:                            ;   in Loop: Header=BB204_685 Depth=1
	s_delay_alu instid0(SALU_CYCLE_1)
	s_or_b32 exec_lo, exec_lo, s8
.LBB204_702:                            ;   in Loop: Header=BB204_685 Depth=1
	s_delay_alu instid0(SALU_CYCLE_1) | instskip(SKIP_4) | instid1(VALU_DEP_3)
	s_or_b32 exec_lo, exec_lo, s0
	v_lshrrev_b32_e32 v27, 16, v9
	v_mov_b64_e32 v[22:23], 0
	v_mov_b64_e32 v[52:53], 0
	s_mov_b32 s0, exec_lo
	v_and_b32_e32 v6, 0xff, v27
	s_delay_alu instid0(VALU_DEP_1)
	v_cmpx_ne_u16_e32 0, v6
	s_cbranch_execz .LBB204_710
; %bb.703:                              ;   in Loop: Header=BB204_685 Depth=1
	v_mov_b64_e32 v[52:53], 0x80000000
	s_mov_b32 s8, exec_lo
	v_cmpx_ne_u16_e32 0x80, v6
	s_cbranch_execz .LBB204_709
; %bb.704:                              ;   in Loop: Header=BB204_685 Depth=1
	v_mov_b64_e32 v[52:53], 0x7f800001
	v_bfe_u32 v49, v9, 16, 7
	s_mov_b32 s9, exec_lo
	s_delay_alu instid0(VALU_DEP_1)
	v_cmpx_ne_u32_e32 0x7f, v49
	s_cbranch_execz .LBB204_708
; %bb.705:                              ;   in Loop: Header=BB204_685 Depth=1
	v_dual_lshrrev_b32 v48, 3, v49 :: v_dual_bitop2_b32 v6, 7, v27 bitop3:0x40
	s_mov_b32 s14, exec_lo
	v_cmpx_gt_u32_e32 8, v49
; %bb.706:                              ;   in Loop: Header=BB204_685 Depth=1
	s_delay_alu instid0(VALU_DEP_2) | instskip(NEXT) | instid1(VALU_DEP_1)
	v_clz_i32_u32_e32 v48, v6
	v_min_u32_e32 v48, 32, v48
	s_delay_alu instid0(VALU_DEP_1) | instskip(SKIP_1) | instid1(VALU_DEP_2)
	v_subrev_nc_u32_e32 v49, 28, v48
	v_sub_nc_u32_e32 v48, 29, v48
	v_lshlrev_b64_e32 v[52:53], v49, v[6:7]
	s_delay_alu instid0(VALU_DEP_1)
	v_and_b32_e32 v6, 7, v52
; %bb.707:                              ;   in Loop: Header=BB204_685 Depth=1
	s_or_b32 exec_lo, exec_lo, s14
	s_delay_alu instid0(VALU_DEP_1) | instskip(SKIP_1) | instid1(VALU_DEP_2)
	v_dual_lshlrev_b32 v27, 24, v27 :: v_dual_lshlrev_b32 v6, 20, v6
	v_lshl_add_u32 v48, v48, 23, 0x3c000000
	v_and_b32_e32 v27, 0x80000000, v27
	s_delay_alu instid0(VALU_DEP_1) | instskip(NEXT) | instid1(VALU_DEP_1)
	v_or3_b32 v6, v6, v27, v48
	v_mov_b64_e32 v[52:53], v[6:7]
.LBB204_708:                            ;   in Loop: Header=BB204_685 Depth=1
	s_or_b32 exec_lo, exec_lo, s9
.LBB204_709:                            ;   in Loop: Header=BB204_685 Depth=1
	s_delay_alu instid0(SALU_CYCLE_1)
	s_or_b32 exec_lo, exec_lo, s8
.LBB204_710:                            ;   in Loop: Header=BB204_685 Depth=1
	s_delay_alu instid0(SALU_CYCLE_1) | instskip(NEXT) | instid1(SALU_CYCLE_1)
	s_or_b32 exec_lo, exec_lo, s0
	s_mov_b32 s0, exec_lo
	v_cmpx_lt_u32_e32 0xffffff, v9
	s_cbranch_execz .LBB204_718
; %bb.711:                              ;   in Loop: Header=BB204_685 Depth=1
	v_mov_b64_e32 v[22:23], 0x8000000000000000
	v_lshrrev_b32_e32 v27, 24, v9
	s_mov_b32 s8, exec_lo
	s_delay_alu instid0(VALU_DEP_1)
	v_cmpx_ne_u32_e32 0x80, v27
	s_cbranch_execz .LBB204_717
; %bb.712:                              ;   in Loop: Header=BB204_685 Depth=1
	v_mov_b64_e32 v[22:23], 0x7f80000100000000
	v_bfe_u32 v48, v9, 24, 7
	s_mov_b32 s9, exec_lo
	s_delay_alu instid0(VALU_DEP_1)
	v_cmpx_ne_u32_e32 0x7f, v48
	s_cbranch_execz .LBB204_716
; %bb.713:                              ;   in Loop: Header=BB204_685 Depth=1
	v_dual_lshrrev_b32 v9, 3, v48 :: v_dual_bitop2_b32 v6, 7, v27 bitop3:0x40
	s_mov_b32 s14, exec_lo
	v_cmpx_gt_u32_e32 8, v48
; %bb.714:                              ;   in Loop: Header=BB204_685 Depth=1
	s_delay_alu instid0(VALU_DEP_2) | instskip(NEXT) | instid1(VALU_DEP_1)
	v_clz_i32_u32_e32 v9, v6
	v_min_u32_e32 v9, 32, v9
	s_delay_alu instid0(VALU_DEP_1) | instskip(NEXT) | instid1(VALU_DEP_1)
	v_subrev_nc_u32_e32 v22, 28, v9
	v_lshlrev_b64_e32 v[22:23], v22, v[6:7]
	s_delay_alu instid0(VALU_DEP_1)
	v_dual_sub_nc_u32 v9, 29, v9 :: v_dual_bitop2_b32 v6, 7, v22 bitop3:0x40
; %bb.715:                              ;   in Loop: Header=BB204_685 Depth=1
	s_or_b32 exec_lo, exec_lo, s14
	s_delay_alu instid0(VALU_DEP_1) | instskip(NEXT) | instid1(VALU_DEP_2)
	v_dual_lshlrev_b32 v22, 24, v27 :: v_dual_lshlrev_b32 v6, 20, v6
	v_lshl_add_u32 v9, v9, 23, 0x3c000000
	s_delay_alu instid0(VALU_DEP_2) | instskip(NEXT) | instid1(VALU_DEP_1)
	v_and_b32_e32 v22, 0x80000000, v22
	v_or3_b32 v23, v6, v22, v9
	v_mov_b32_e32 v22, v7
.LBB204_716:                            ;   in Loop: Header=BB204_685 Depth=1
	s_or_b32 exec_lo, exec_lo, s9
.LBB204_717:                            ;   in Loop: Header=BB204_685 Depth=1
	s_delay_alu instid0(SALU_CYCLE_1)
	s_or_b32 exec_lo, exec_lo, s8
.LBB204_718:                            ;   in Loop: Header=BB204_685 Depth=1
	s_delay_alu instid0(SALU_CYCLE_1) | instskip(SKIP_4) | instid1(VALU_DEP_2)
	s_or_b32 exec_lo, exec_lo, s0
	scratch_load_b32 v6, off, s32 offset:192 ; 4-byte Folded Reload
	v_or_b32_e32 v1, v1, v19
	v_dual_add_nc_u32 v9, v125, v8 :: v_dual_bitop2_b32 v0, v0, v18 bitop3:0x54
	v_or_b32_e32 v19, v23, v53
	v_dual_add_nc_u32 v27, 1, v9 :: v_dual_bitop2_b32 v18, v22, v52 bitop3:0x54
	v_dual_add_nc_u32 v121, 2, v9 :: v_dual_add_nc_u32 v120, 3, v9
	s_wait_loadcnt_dscnt 0x101
	s_delay_alu instid0(VALU_DEP_2) | instskip(SKIP_3) | instid1(VALU_DEP_2)
	v_pk_mul_f32 v[52:53], v[50:51], v[18:19] op_sel_hi:[0,1]
	s_wait_loadcnt 0x0
	v_add_nc_u32_e32 v6, -1, v6
	v_pk_mul_f32 v[54:55], v[50:51], v[0:1] op_sel_hi:[0,1]
	v_cmp_eq_u32_e32 vcc_lo, v6, v126
	s_wait_xcnt 0x0
	s_and_saveexec_b32 s8, vcc_lo
	s_cbranch_execz .LBB204_720
; %bb.719:                              ;   in Loop: Header=BB204_685 Depth=1
	v_cmp_lt_i32_e64 s0, v9, v16
	s_delay_alu instid0(VALU_DEP_1) | instskip(SKIP_1) | instid1(VALU_DEP_1)
	v_cndmask_b32_e64 v54, 0, v54, s0
	v_cmp_lt_i32_e64 s0, v27, v16
	v_cndmask_b32_e64 v55, 0, v55, s0
	v_cmp_lt_i32_e64 s0, v121, v16
	s_delay_alu instid0(VALU_DEP_1) | instskip(SKIP_1) | instid1(VALU_DEP_1)
	v_cndmask_b32_e64 v52, 0, v52, s0
	v_cmp_lt_i32_e64 s0, v120, v16
	v_cndmask_b32_e64 v53, 0, v53, s0
.LBB204_720:                            ;   in Loop: Header=BB204_685 Depth=1
	s_or_b32 exec_lo, exec_lo, s8
	flat_load_b32 v51, v[64:65] offset:128
	v_mov_b64_e32 v[0:1], 0
	v_mov_b64_e32 v[18:19], 0
	s_mov_b32 s8, exec_lo
	s_wait_loadcnt_dscnt 0x0
	v_and_b32_e32 v6, 0xff, v51
	s_wait_xcnt 0x0
	s_delay_alu instid0(VALU_DEP_1)
	v_cmpx_ne_u16_e32 0, v6
	s_cbranch_execz .LBB204_728
; %bb.721:                              ;   in Loop: Header=BB204_685 Depth=1
	v_mov_b64_e32 v[18:19], 0x80000000
	s_mov_b32 s9, exec_lo
	v_cmpx_ne_u16_e32 0x80, v6
	s_cbranch_execz .LBB204_727
; %bb.722:                              ;   in Loop: Header=BB204_685 Depth=1
	v_mov_b64_e32 v[18:19], 0x7f800001
	v_and_b32_e32 v22, 0x7f, v51
	s_mov_b32 s14, exec_lo
	s_delay_alu instid0(VALU_DEP_1)
	v_cmpx_ne_u32_e32 0x7f, v22
	s_cbranch_execz .LBB204_726
; %bb.723:                              ;   in Loop: Header=BB204_685 Depth=1
	v_dual_lshrrev_b32 v18, 3, v22 :: v_dual_bitop2_b32 v6, 7, v51 bitop3:0x40
	s_mov_b32 s15, exec_lo
	v_cmpx_gt_u32_e32 8, v22
; %bb.724:                              ;   in Loop: Header=BB204_685 Depth=1
	s_delay_alu instid0(VALU_DEP_2) | instskip(NEXT) | instid1(VALU_DEP_1)
	v_clz_i32_u32_e32 v18, v6
	v_min_u32_e32 v18, 32, v18
	s_delay_alu instid0(VALU_DEP_1) | instskip(SKIP_1) | instid1(VALU_DEP_2)
	v_subrev_nc_u32_e32 v19, 28, v18
	v_sub_nc_u32_e32 v18, 29, v18
	v_lshlrev_b64_e32 v[22:23], v19, v[6:7]
	s_delay_alu instid0(VALU_DEP_1)
	v_and_b32_e32 v6, 7, v22
; %bb.725:                              ;   in Loop: Header=BB204_685 Depth=1
	s_or_b32 exec_lo, exec_lo, s15
	s_delay_alu instid0(VALU_DEP_1) | instskip(SKIP_1) | instid1(VALU_DEP_2)
	v_dual_lshlrev_b32 v19, 24, v51 :: v_dual_lshlrev_b32 v6, 20, v6
	v_lshl_add_u32 v18, v18, 23, 0x3c000000
	v_and_b32_e32 v19, 0x80000000, v19
	s_delay_alu instid0(VALU_DEP_1) | instskip(NEXT) | instid1(VALU_DEP_1)
	v_or3_b32 v6, v6, v19, v18
	v_mov_b64_e32 v[18:19], v[6:7]
.LBB204_726:                            ;   in Loop: Header=BB204_685 Depth=1
	s_or_b32 exec_lo, exec_lo, s14
.LBB204_727:                            ;   in Loop: Header=BB204_685 Depth=1
	s_delay_alu instid0(SALU_CYCLE_1)
	s_or_b32 exec_lo, exec_lo, s9
.LBB204_728:                            ;   in Loop: Header=BB204_685 Depth=1
	s_delay_alu instid0(SALU_CYCLE_1) | instskip(SKIP_2) | instid1(VALU_DEP_1)
	s_or_b32 exec_lo, exec_lo, s8
	v_lshrrev_b16 v6, 8, v51
	s_mov_b32 s8, exec_lo
	v_cmpx_ne_u16_e32 0, v6
	s_cbranch_execz .LBB204_736
; %bb.729:                              ;   in Loop: Header=BB204_685 Depth=1
	v_mov_b64_e32 v[0:1], 0x8000000000000000
	s_mov_b32 s9, exec_lo
	v_cmpx_ne_u16_e32 0x80, v6
	s_cbranch_execz .LBB204_735
; %bb.730:                              ;   in Loop: Header=BB204_685 Depth=1
	v_and_b32_e32 v6, 0xffff, v6
	v_mov_b64_e32 v[0:1], 0x7f80000100000000
	s_mov_b32 s14, exec_lo
	s_delay_alu instid0(VALU_DEP_2) | instskip(NEXT) | instid1(VALU_DEP_1)
	v_and_b32_e32 v22, 0x7f, v6
	v_cmpx_ne_u32_e32 0x7f, v22
	s_cbranch_execz .LBB204_734
; %bb.731:                              ;   in Loop: Header=BB204_685 Depth=1
	v_and_b32_e32 v6, 7, v6
	v_lshrrev_b32_e32 v0, 3, v22
	s_mov_b32 s15, exec_lo
	v_cmpx_gt_u32_e32 8, v22
; %bb.732:                              ;   in Loop: Header=BB204_685 Depth=1
	s_delay_alu instid0(VALU_DEP_3) | instskip(NEXT) | instid1(VALU_DEP_1)
	v_clz_i32_u32_e32 v0, v6
	v_min_u32_e32 v0, 32, v0
	s_delay_alu instid0(VALU_DEP_1) | instskip(NEXT) | instid1(VALU_DEP_1)
	v_subrev_nc_u32_e32 v1, 28, v0
	v_lshlrev_b64_e32 v[22:23], v1, v[6:7]
	s_delay_alu instid0(VALU_DEP_1)
	v_dual_sub_nc_u32 v0, 29, v0 :: v_dual_bitop2_b32 v6, 7, v22 bitop3:0x40
; %bb.733:                              ;   in Loop: Header=BB204_685 Depth=1
	s_or_b32 exec_lo, exec_lo, s15
	s_delay_alu instid0(VALU_DEP_1) | instskip(NEXT) | instid1(VALU_DEP_2)
	v_dual_lshlrev_b32 v1, 16, v51 :: v_dual_lshlrev_b32 v6, 20, v6
	v_lshl_add_u32 v0, v0, 23, 0x3c000000
	s_delay_alu instid0(VALU_DEP_2) | instskip(NEXT) | instid1(VALU_DEP_1)
	v_and_b32_e32 v1, 0x80000000, v1
	v_or3_b32 v1, v6, v1, v0
	v_mov_b32_e32 v0, v7
.LBB204_734:                            ;   in Loop: Header=BB204_685 Depth=1
	s_or_b32 exec_lo, exec_lo, s14
.LBB204_735:                            ;   in Loop: Header=BB204_685 Depth=1
	s_delay_alu instid0(SALU_CYCLE_1)
	s_or_b32 exec_lo, exec_lo, s9
.LBB204_736:                            ;   in Loop: Header=BB204_685 Depth=1
	s_delay_alu instid0(SALU_CYCLE_1) | instskip(SKIP_4) | instid1(VALU_DEP_3)
	s_or_b32 exec_lo, exec_lo, s8
	v_lshrrev_b32_e32 v48, 16, v51
	v_mov_b64_e32 v[22:23], 0
	v_mov_b64_e32 v[66:67], 0
	s_mov_b32 s8, exec_lo
	v_and_b32_e32 v6, 0xff, v48
	s_delay_alu instid0(VALU_DEP_1)
	v_cmpx_ne_u16_e32 0, v6
	s_cbranch_execz .LBB204_744
; %bb.737:                              ;   in Loop: Header=BB204_685 Depth=1
	v_mov_b64_e32 v[66:67], 0x80000000
	s_mov_b32 s9, exec_lo
	v_cmpx_ne_u16_e32 0x80, v6
	s_cbranch_execz .LBB204_743
; %bb.738:                              ;   in Loop: Header=BB204_685 Depth=1
	v_mov_b64_e32 v[66:67], 0x7f800001
	v_bfe_u32 v68, v51, 16, 7
	s_mov_b32 s14, exec_lo
	s_delay_alu instid0(VALU_DEP_1)
	v_cmpx_ne_u32_e32 0x7f, v68
	s_cbranch_execz .LBB204_742
; %bb.739:                              ;   in Loop: Header=BB204_685 Depth=1
	v_and_b32_e32 v6, 7, v48
	v_lshrrev_b32_e32 v49, 3, v68
	s_mov_b32 s15, exec_lo
	v_cmpx_gt_u32_e32 8, v68
; %bb.740:                              ;   in Loop: Header=BB204_685 Depth=1
	s_delay_alu instid0(VALU_DEP_3) | instskip(NEXT) | instid1(VALU_DEP_1)
	v_clz_i32_u32_e32 v49, v6
	v_min_u32_e32 v49, 32, v49
	s_delay_alu instid0(VALU_DEP_1) | instskip(NEXT) | instid1(VALU_DEP_1)
	v_subrev_nc_u32_e32 v66, 28, v49
	v_lshlrev_b64_e32 v[66:67], v66, v[6:7]
	s_delay_alu instid0(VALU_DEP_1)
	v_dual_sub_nc_u32 v49, 29, v49 :: v_dual_bitop2_b32 v6, 7, v66 bitop3:0x40
; %bb.741:                              ;   in Loop: Header=BB204_685 Depth=1
	s_or_b32 exec_lo, exec_lo, s15
	s_delay_alu instid0(VALU_DEP_1) | instskip(NEXT) | instid1(VALU_DEP_2)
	v_dual_lshlrev_b32 v48, 24, v48 :: v_dual_lshlrev_b32 v6, 20, v6
	v_lshl_add_u32 v49, v49, 23, 0x3c000000
	s_delay_alu instid0(VALU_DEP_2) | instskip(NEXT) | instid1(VALU_DEP_1)
	v_and_b32_e32 v48, 0x80000000, v48
	v_or3_b32 v6, v6, v48, v49
	s_delay_alu instid0(VALU_DEP_1)
	v_mov_b64_e32 v[66:67], v[6:7]
.LBB204_742:                            ;   in Loop: Header=BB204_685 Depth=1
	s_or_b32 exec_lo, exec_lo, s14
.LBB204_743:                            ;   in Loop: Header=BB204_685 Depth=1
	s_delay_alu instid0(SALU_CYCLE_1)
	s_or_b32 exec_lo, exec_lo, s9
.LBB204_744:                            ;   in Loop: Header=BB204_685 Depth=1
	s_delay_alu instid0(SALU_CYCLE_1) | instskip(NEXT) | instid1(SALU_CYCLE_1)
	s_or_b32 exec_lo, exec_lo, s8
	s_mov_b32 s8, exec_lo
	v_cmpx_lt_u32_e32 0xffffff, v51
	s_cbranch_execz .LBB204_752
; %bb.745:                              ;   in Loop: Header=BB204_685 Depth=1
	v_mov_b64_e32 v[22:23], 0x8000000000000000
	v_lshrrev_b32_e32 v48, 24, v51
	s_mov_b32 s9, exec_lo
	s_delay_alu instid0(VALU_DEP_1)
	v_cmpx_ne_u32_e32 0x80, v48
	s_cbranch_execz .LBB204_751
; %bb.746:                              ;   in Loop: Header=BB204_685 Depth=1
	v_mov_b64_e32 v[22:23], 0x7f80000100000000
	v_bfe_u32 v49, v51, 24, 7
	s_mov_b32 s14, exec_lo
	s_delay_alu instid0(VALU_DEP_1)
	v_cmpx_ne_u32_e32 0x7f, v49
	s_cbranch_execz .LBB204_750
; %bb.747:                              ;   in Loop: Header=BB204_685 Depth=1
	v_dual_lshrrev_b32 v22, 3, v49 :: v_dual_bitop2_b32 v6, 7, v48 bitop3:0x40
	s_mov_b32 s15, exec_lo
	v_cmpx_gt_u32_e32 8, v49
; %bb.748:                              ;   in Loop: Header=BB204_685 Depth=1
	s_delay_alu instid0(VALU_DEP_2) | instskip(NEXT) | instid1(VALU_DEP_1)
	v_clz_i32_u32_e32 v22, v6
	v_min_u32_e32 v22, 32, v22
	s_delay_alu instid0(VALU_DEP_1) | instskip(NEXT) | instid1(VALU_DEP_1)
	v_subrev_nc_u32_e32 v23, 28, v22
	v_lshlrev_b64_e32 v[68:69], v23, v[6:7]
	s_delay_alu instid0(VALU_DEP_1)
	v_dual_sub_nc_u32 v22, 29, v22 :: v_dual_bitop2_b32 v6, 7, v68 bitop3:0x40
; %bb.749:                              ;   in Loop: Header=BB204_685 Depth=1
	s_or_b32 exec_lo, exec_lo, s15
	s_delay_alu instid0(VALU_DEP_1) | instskip(NEXT) | instid1(VALU_DEP_2)
	v_dual_lshlrev_b32 v23, 24, v48 :: v_dual_lshlrev_b32 v6, 20, v6
	v_lshl_add_u32 v22, v22, 23, 0x3c000000
	s_delay_alu instid0(VALU_DEP_2) | instskip(NEXT) | instid1(VALU_DEP_1)
	v_and_b32_e32 v23, 0x80000000, v23
	v_or3_b32 v23, v6, v23, v22
	v_mov_b32_e32 v22, v7
.LBB204_750:                            ;   in Loop: Header=BB204_685 Depth=1
	s_or_b32 exec_lo, exec_lo, s14
.LBB204_751:                            ;   in Loop: Header=BB204_685 Depth=1
	s_delay_alu instid0(SALU_CYCLE_1)
	s_or_b32 exec_lo, exec_lo, s9
.LBB204_752:                            ;   in Loop: Header=BB204_685 Depth=1
	s_delay_alu instid0(SALU_CYCLE_1) | instskip(SKIP_4) | instid1(VALU_DEP_3)
	s_or_b32 exec_lo, exec_lo, s8
	v_dual_mov_b32 v51, v50 :: v_dual_bitop2_b32 v1, v1, v19 bitop3:0x54
	v_or_b32_e32 v0, v0, v18
	v_or_b32_e32 v19, v23, v67
	;; [unrolled: 1-line block ×3, first 2 shown]
	v_pk_mul_f32 v[68:69], v[50:51], v[0:1]
	s_delay_alu instid0(VALU_DEP_2)
	v_pk_mul_f32 v[66:67], v[50:51], v[18:19]
	s_and_saveexec_b32 s8, vcc_lo
	s_cbranch_execz .LBB204_754
; %bb.753:                              ;   in Loop: Header=BB204_685 Depth=1
	v_cmp_lt_i32_e64 s0, v9, v16
	s_delay_alu instid0(VALU_DEP_1) | instskip(SKIP_1) | instid1(VALU_DEP_1)
	v_cndmask_b32_e64 v68, 0, v68, s0
	v_cmp_lt_i32_e64 s0, v27, v16
	v_cndmask_b32_e64 v69, 0, v69, s0
	v_cmp_lt_i32_e64 s0, v121, v16
	s_delay_alu instid0(VALU_DEP_1) | instskip(SKIP_1) | instid1(VALU_DEP_1)
	v_cndmask_b32_e64 v66, 0, v66, s0
	v_cmp_lt_i32_e64 s0, v120, v16
	v_cndmask_b32_e64 v67, 0, v67, s0
.LBB204_754:                            ;   in Loop: Header=BB204_685 Depth=1
	s_or_b32 exec_lo, exec_lo, s8
	flat_load_b32 v80, v[64:65] offset:256
	v_mov_b64_e32 v[0:1], 0
	v_mov_b64_e32 v[18:19], 0
	s_mov_b32 s8, exec_lo
	s_wait_loadcnt_dscnt 0x0
	v_and_b32_e32 v6, 0xff, v80
	s_wait_xcnt 0x0
	s_delay_alu instid0(VALU_DEP_1)
	v_cmpx_ne_u16_e32 0, v6
	s_cbranch_execz .LBB204_762
; %bb.755:                              ;   in Loop: Header=BB204_685 Depth=1
	v_mov_b64_e32 v[18:19], 0x80000000
	s_mov_b32 s9, exec_lo
	v_cmpx_ne_u16_e32 0x80, v6
	s_cbranch_execz .LBB204_761
; %bb.756:                              ;   in Loop: Header=BB204_685 Depth=1
	v_mov_b64_e32 v[18:19], 0x7f800001
	v_and_b32_e32 v22, 0x7f, v80
	s_mov_b32 s14, exec_lo
	s_delay_alu instid0(VALU_DEP_1)
	v_cmpx_ne_u32_e32 0x7f, v22
	s_cbranch_execz .LBB204_760
; %bb.757:                              ;   in Loop: Header=BB204_685 Depth=1
	v_dual_lshrrev_b32 v18, 3, v22 :: v_dual_bitop2_b32 v6, 7, v80 bitop3:0x40
	s_mov_b32 s15, exec_lo
	v_cmpx_gt_u32_e32 8, v22
; %bb.758:                              ;   in Loop: Header=BB204_685 Depth=1
	s_delay_alu instid0(VALU_DEP_2) | instskip(NEXT) | instid1(VALU_DEP_1)
	v_clz_i32_u32_e32 v18, v6
	v_min_u32_e32 v18, 32, v18
	s_delay_alu instid0(VALU_DEP_1) | instskip(SKIP_1) | instid1(VALU_DEP_2)
	v_subrev_nc_u32_e32 v19, 28, v18
	v_sub_nc_u32_e32 v18, 29, v18
	v_lshlrev_b64_e32 v[22:23], v19, v[6:7]
	s_delay_alu instid0(VALU_DEP_1)
	v_and_b32_e32 v6, 7, v22
; %bb.759:                              ;   in Loop: Header=BB204_685 Depth=1
	s_or_b32 exec_lo, exec_lo, s15
	s_delay_alu instid0(VALU_DEP_1) | instskip(SKIP_1) | instid1(VALU_DEP_2)
	v_dual_lshlrev_b32 v19, 24, v80 :: v_dual_lshlrev_b32 v6, 20, v6
	v_lshl_add_u32 v18, v18, 23, 0x3c000000
	v_and_b32_e32 v19, 0x80000000, v19
	s_delay_alu instid0(VALU_DEP_1) | instskip(NEXT) | instid1(VALU_DEP_1)
	v_or3_b32 v6, v6, v19, v18
	v_mov_b64_e32 v[18:19], v[6:7]
.LBB204_760:                            ;   in Loop: Header=BB204_685 Depth=1
	s_or_b32 exec_lo, exec_lo, s14
.LBB204_761:                            ;   in Loop: Header=BB204_685 Depth=1
	s_delay_alu instid0(SALU_CYCLE_1)
	s_or_b32 exec_lo, exec_lo, s9
.LBB204_762:                            ;   in Loop: Header=BB204_685 Depth=1
	s_delay_alu instid0(SALU_CYCLE_1) | instskip(SKIP_2) | instid1(VALU_DEP_1)
	s_or_b32 exec_lo, exec_lo, s8
	v_lshrrev_b16 v6, 8, v80
	s_mov_b32 s8, exec_lo
	v_cmpx_ne_u16_e32 0, v6
	s_cbranch_execz .LBB204_770
; %bb.763:                              ;   in Loop: Header=BB204_685 Depth=1
	v_mov_b64_e32 v[0:1], 0x8000000000000000
	s_mov_b32 s9, exec_lo
	v_cmpx_ne_u16_e32 0x80, v6
	s_cbranch_execz .LBB204_769
; %bb.764:                              ;   in Loop: Header=BB204_685 Depth=1
	v_and_b32_e32 v6, 0xffff, v6
	v_mov_b64_e32 v[0:1], 0x7f80000100000000
	s_mov_b32 s14, exec_lo
	s_delay_alu instid0(VALU_DEP_2) | instskip(NEXT) | instid1(VALU_DEP_1)
	v_and_b32_e32 v22, 0x7f, v6
	v_cmpx_ne_u32_e32 0x7f, v22
	s_cbranch_execz .LBB204_768
; %bb.765:                              ;   in Loop: Header=BB204_685 Depth=1
	v_and_b32_e32 v6, 7, v6
	v_lshrrev_b32_e32 v0, 3, v22
	s_mov_b32 s15, exec_lo
	v_cmpx_gt_u32_e32 8, v22
; %bb.766:                              ;   in Loop: Header=BB204_685 Depth=1
	s_delay_alu instid0(VALU_DEP_3) | instskip(NEXT) | instid1(VALU_DEP_1)
	v_clz_i32_u32_e32 v0, v6
	v_min_u32_e32 v0, 32, v0
	s_delay_alu instid0(VALU_DEP_1) | instskip(NEXT) | instid1(VALU_DEP_1)
	v_subrev_nc_u32_e32 v1, 28, v0
	v_lshlrev_b64_e32 v[22:23], v1, v[6:7]
	s_delay_alu instid0(VALU_DEP_1)
	v_dual_sub_nc_u32 v0, 29, v0 :: v_dual_bitop2_b32 v6, 7, v22 bitop3:0x40
; %bb.767:                              ;   in Loop: Header=BB204_685 Depth=1
	s_or_b32 exec_lo, exec_lo, s15
	s_delay_alu instid0(VALU_DEP_1) | instskip(NEXT) | instid1(VALU_DEP_2)
	v_dual_lshlrev_b32 v1, 16, v80 :: v_dual_lshlrev_b32 v6, 20, v6
	v_lshl_add_u32 v0, v0, 23, 0x3c000000
	s_delay_alu instid0(VALU_DEP_2) | instskip(NEXT) | instid1(VALU_DEP_1)
	v_and_b32_e32 v1, 0x80000000, v1
	v_or3_b32 v1, v6, v1, v0
	v_mov_b32_e32 v0, v7
.LBB204_768:                            ;   in Loop: Header=BB204_685 Depth=1
	s_or_b32 exec_lo, exec_lo, s14
.LBB204_769:                            ;   in Loop: Header=BB204_685 Depth=1
	s_delay_alu instid0(SALU_CYCLE_1)
	s_or_b32 exec_lo, exec_lo, s9
.LBB204_770:                            ;   in Loop: Header=BB204_685 Depth=1
	s_delay_alu instid0(SALU_CYCLE_1) | instskip(SKIP_4) | instid1(VALU_DEP_3)
	s_or_b32 exec_lo, exec_lo, s8
	v_lshrrev_b32_e32 v48, 16, v80
	v_mov_b64_e32 v[22:23], 0
	v_mov_b64_e32 v[70:71], 0
	s_mov_b32 s8, exec_lo
	v_and_b32_e32 v6, 0xff, v48
	s_delay_alu instid0(VALU_DEP_1)
	v_cmpx_ne_u16_e32 0, v6
	s_cbranch_execz .LBB204_778
; %bb.771:                              ;   in Loop: Header=BB204_685 Depth=1
	v_mov_b64_e32 v[70:71], 0x80000000
	s_mov_b32 s9, exec_lo
	v_cmpx_ne_u16_e32 0x80, v6
	s_cbranch_execz .LBB204_777
; %bb.772:                              ;   in Loop: Header=BB204_685 Depth=1
	v_mov_b64_e32 v[70:71], 0x7f800001
	v_bfe_u32 v81, v80, 16, 7
	s_mov_b32 s14, exec_lo
	s_delay_alu instid0(VALU_DEP_1)
	v_cmpx_ne_u32_e32 0x7f, v81
	s_cbranch_execz .LBB204_776
; %bb.773:                              ;   in Loop: Header=BB204_685 Depth=1
	v_dual_lshrrev_b32 v49, 3, v81 :: v_dual_bitop2_b32 v6, 7, v48 bitop3:0x40
	s_mov_b32 s15, exec_lo
	v_cmpx_gt_u32_e32 8, v81
; %bb.774:                              ;   in Loop: Header=BB204_685 Depth=1
	s_delay_alu instid0(VALU_DEP_2) | instskip(NEXT) | instid1(VALU_DEP_1)
	v_clz_i32_u32_e32 v49, v6
	v_min_u32_e32 v49, 32, v49
	s_delay_alu instid0(VALU_DEP_1) | instskip(NEXT) | instid1(VALU_DEP_1)
	v_subrev_nc_u32_e32 v70, 28, v49
	v_lshlrev_b64_e32 v[70:71], v70, v[6:7]
	s_delay_alu instid0(VALU_DEP_1)
	v_dual_sub_nc_u32 v49, 29, v49 :: v_dual_bitop2_b32 v6, 7, v70 bitop3:0x40
; %bb.775:                              ;   in Loop: Header=BB204_685 Depth=1
	s_or_b32 exec_lo, exec_lo, s15
	s_delay_alu instid0(VALU_DEP_1) | instskip(NEXT) | instid1(VALU_DEP_2)
	v_dual_lshlrev_b32 v48, 24, v48 :: v_dual_lshlrev_b32 v6, 20, v6
	v_lshl_add_u32 v49, v49, 23, 0x3c000000
	s_delay_alu instid0(VALU_DEP_2) | instskip(NEXT) | instid1(VALU_DEP_1)
	v_and_b32_e32 v48, 0x80000000, v48
	v_or3_b32 v6, v6, v48, v49
	s_delay_alu instid0(VALU_DEP_1)
	v_mov_b64_e32 v[70:71], v[6:7]
.LBB204_776:                            ;   in Loop: Header=BB204_685 Depth=1
	s_or_b32 exec_lo, exec_lo, s14
.LBB204_777:                            ;   in Loop: Header=BB204_685 Depth=1
	s_delay_alu instid0(SALU_CYCLE_1)
	s_or_b32 exec_lo, exec_lo, s9
.LBB204_778:                            ;   in Loop: Header=BB204_685 Depth=1
	s_delay_alu instid0(SALU_CYCLE_1) | instskip(NEXT) | instid1(SALU_CYCLE_1)
	s_or_b32 exec_lo, exec_lo, s8
	s_mov_b32 s8, exec_lo
	v_cmpx_lt_u32_e32 0xffffff, v80
	s_cbranch_execz .LBB204_786
; %bb.779:                              ;   in Loop: Header=BB204_685 Depth=1
	v_mov_b64_e32 v[22:23], 0x8000000000000000
	v_lshrrev_b32_e32 v48, 24, v80
	s_mov_b32 s9, exec_lo
	s_delay_alu instid0(VALU_DEP_1)
	v_cmpx_ne_u32_e32 0x80, v48
	s_cbranch_execz .LBB204_785
; %bb.780:                              ;   in Loop: Header=BB204_685 Depth=1
	v_mov_b64_e32 v[22:23], 0x7f80000100000000
	v_bfe_u32 v49, v80, 24, 7
	s_mov_b32 s14, exec_lo
	s_delay_alu instid0(VALU_DEP_1)
	v_cmpx_ne_u32_e32 0x7f, v49
	s_cbranch_execz .LBB204_784
; %bb.781:                              ;   in Loop: Header=BB204_685 Depth=1
	v_dual_lshrrev_b32 v22, 3, v49 :: v_dual_bitop2_b32 v6, 7, v48 bitop3:0x40
	s_mov_b32 s15, exec_lo
	v_cmpx_gt_u32_e32 8, v49
; %bb.782:                              ;   in Loop: Header=BB204_685 Depth=1
	s_delay_alu instid0(VALU_DEP_2) | instskip(NEXT) | instid1(VALU_DEP_1)
	v_clz_i32_u32_e32 v22, v6
	v_min_u32_e32 v22, 32, v22
	s_delay_alu instid0(VALU_DEP_1) | instskip(NEXT) | instid1(VALU_DEP_1)
	v_subrev_nc_u32_e32 v23, 28, v22
	v_lshlrev_b64_e32 v[80:81], v23, v[6:7]
	s_delay_alu instid0(VALU_DEP_1)
	v_dual_sub_nc_u32 v22, 29, v22 :: v_dual_bitop2_b32 v6, 7, v80 bitop3:0x40
; %bb.783:                              ;   in Loop: Header=BB204_685 Depth=1
	s_or_b32 exec_lo, exec_lo, s15
	s_delay_alu instid0(VALU_DEP_1) | instskip(NEXT) | instid1(VALU_DEP_2)
	v_dual_lshlrev_b32 v23, 24, v48 :: v_dual_lshlrev_b32 v6, 20, v6
	v_lshl_add_u32 v22, v22, 23, 0x3c000000
	s_delay_alu instid0(VALU_DEP_2) | instskip(NEXT) | instid1(VALU_DEP_1)
	v_and_b32_e32 v23, 0x80000000, v23
	v_or3_b32 v23, v6, v23, v22
	v_mov_b32_e32 v22, v7
.LBB204_784:                            ;   in Loop: Header=BB204_685 Depth=1
	s_or_b32 exec_lo, exec_lo, s14
.LBB204_785:                            ;   in Loop: Header=BB204_685 Depth=1
	s_delay_alu instid0(SALU_CYCLE_1)
	s_or_b32 exec_lo, exec_lo, s9
.LBB204_786:                            ;   in Loop: Header=BB204_685 Depth=1
	s_delay_alu instid0(SALU_CYCLE_1) | instskip(SKIP_4) | instid1(VALU_DEP_3)
	s_or_b32 exec_lo, exec_lo, s8
	v_or_b32_e32 v1, v1, v19
	v_or_b32_e32 v0, v0, v18
	;; [unrolled: 1-line block ×4, first 2 shown]
	v_pk_mul_f32 v[80:81], v[50:51], v[0:1]
	s_delay_alu instid0(VALU_DEP_2)
	v_pk_mul_f32 v[70:71], v[50:51], v[18:19]
	s_and_saveexec_b32 s8, vcc_lo
	s_cbranch_execz .LBB204_788
; %bb.787:                              ;   in Loop: Header=BB204_685 Depth=1
	v_cmp_lt_i32_e64 s0, v9, v16
	s_delay_alu instid0(VALU_DEP_1) | instskip(SKIP_1) | instid1(VALU_DEP_1)
	v_cndmask_b32_e64 v80, 0, v80, s0
	v_cmp_lt_i32_e64 s0, v27, v16
	v_cndmask_b32_e64 v81, 0, v81, s0
	v_cmp_lt_i32_e64 s0, v121, v16
	s_delay_alu instid0(VALU_DEP_1) | instskip(SKIP_1) | instid1(VALU_DEP_1)
	v_cndmask_b32_e64 v70, 0, v70, s0
	v_cmp_lt_i32_e64 s0, v120, v16
	v_cndmask_b32_e64 v71, 0, v71, s0
.LBB204_788:                            ;   in Loop: Header=BB204_685 Depth=1
	s_or_b32 exec_lo, exec_lo, s8
	flat_load_b32 v84, v[64:65] offset:384
	v_mov_b64_e32 v[0:1], 0
	v_mov_b64_e32 v[18:19], 0
	s_mov_b32 s8, exec_lo
	s_wait_loadcnt_dscnt 0x0
	v_and_b32_e32 v6, 0xff, v84
	s_wait_xcnt 0x0
	s_delay_alu instid0(VALU_DEP_1)
	v_cmpx_ne_u16_e32 0, v6
	s_cbranch_execz .LBB204_796
; %bb.789:                              ;   in Loop: Header=BB204_685 Depth=1
	v_mov_b64_e32 v[18:19], 0x80000000
	s_mov_b32 s9, exec_lo
	v_cmpx_ne_u16_e32 0x80, v6
	s_cbranch_execz .LBB204_795
; %bb.790:                              ;   in Loop: Header=BB204_685 Depth=1
	v_mov_b64_e32 v[18:19], 0x7f800001
	v_and_b32_e32 v22, 0x7f, v84
	s_mov_b32 s14, exec_lo
	s_delay_alu instid0(VALU_DEP_1)
	v_cmpx_ne_u32_e32 0x7f, v22
	s_cbranch_execz .LBB204_794
; %bb.791:                              ;   in Loop: Header=BB204_685 Depth=1
	v_dual_lshrrev_b32 v18, 3, v22 :: v_dual_bitop2_b32 v6, 7, v84 bitop3:0x40
	s_mov_b32 s15, exec_lo
	v_cmpx_gt_u32_e32 8, v22
; %bb.792:                              ;   in Loop: Header=BB204_685 Depth=1
	s_delay_alu instid0(VALU_DEP_2) | instskip(NEXT) | instid1(VALU_DEP_1)
	v_clz_i32_u32_e32 v18, v6
	v_min_u32_e32 v18, 32, v18
	s_delay_alu instid0(VALU_DEP_1) | instskip(SKIP_1) | instid1(VALU_DEP_2)
	v_subrev_nc_u32_e32 v19, 28, v18
	v_sub_nc_u32_e32 v18, 29, v18
	v_lshlrev_b64_e32 v[22:23], v19, v[6:7]
	s_delay_alu instid0(VALU_DEP_1)
	v_and_b32_e32 v6, 7, v22
; %bb.793:                              ;   in Loop: Header=BB204_685 Depth=1
	s_or_b32 exec_lo, exec_lo, s15
	s_delay_alu instid0(VALU_DEP_1) | instskip(SKIP_1) | instid1(VALU_DEP_2)
	v_dual_lshlrev_b32 v19, 24, v84 :: v_dual_lshlrev_b32 v6, 20, v6
	v_lshl_add_u32 v18, v18, 23, 0x3c000000
	v_and_b32_e32 v19, 0x80000000, v19
	s_delay_alu instid0(VALU_DEP_1) | instskip(NEXT) | instid1(VALU_DEP_1)
	v_or3_b32 v6, v6, v19, v18
	v_mov_b64_e32 v[18:19], v[6:7]
.LBB204_794:                            ;   in Loop: Header=BB204_685 Depth=1
	s_or_b32 exec_lo, exec_lo, s14
.LBB204_795:                            ;   in Loop: Header=BB204_685 Depth=1
	s_delay_alu instid0(SALU_CYCLE_1)
	s_or_b32 exec_lo, exec_lo, s9
.LBB204_796:                            ;   in Loop: Header=BB204_685 Depth=1
	s_delay_alu instid0(SALU_CYCLE_1) | instskip(SKIP_2) | instid1(VALU_DEP_1)
	s_or_b32 exec_lo, exec_lo, s8
	v_lshrrev_b16 v6, 8, v84
	s_mov_b32 s8, exec_lo
	v_cmpx_ne_u16_e32 0, v6
	s_cbranch_execz .LBB204_804
; %bb.797:                              ;   in Loop: Header=BB204_685 Depth=1
	v_mov_b64_e32 v[0:1], 0x8000000000000000
	s_mov_b32 s9, exec_lo
	v_cmpx_ne_u16_e32 0x80, v6
	s_cbranch_execz .LBB204_803
; %bb.798:                              ;   in Loop: Header=BB204_685 Depth=1
	v_and_b32_e32 v6, 0xffff, v6
	v_mov_b64_e32 v[0:1], 0x7f80000100000000
	s_mov_b32 s14, exec_lo
	s_delay_alu instid0(VALU_DEP_2) | instskip(NEXT) | instid1(VALU_DEP_1)
	v_and_b32_e32 v22, 0x7f, v6
	v_cmpx_ne_u32_e32 0x7f, v22
	s_cbranch_execz .LBB204_802
; %bb.799:                              ;   in Loop: Header=BB204_685 Depth=1
	v_and_b32_e32 v6, 7, v6
	v_lshrrev_b32_e32 v0, 3, v22
	s_mov_b32 s15, exec_lo
	v_cmpx_gt_u32_e32 8, v22
; %bb.800:                              ;   in Loop: Header=BB204_685 Depth=1
	s_delay_alu instid0(VALU_DEP_3) | instskip(NEXT) | instid1(VALU_DEP_1)
	v_clz_i32_u32_e32 v0, v6
	v_min_u32_e32 v0, 32, v0
	s_delay_alu instid0(VALU_DEP_1) | instskip(NEXT) | instid1(VALU_DEP_1)
	v_subrev_nc_u32_e32 v1, 28, v0
	v_lshlrev_b64_e32 v[22:23], v1, v[6:7]
	s_delay_alu instid0(VALU_DEP_1)
	v_dual_sub_nc_u32 v0, 29, v0 :: v_dual_bitop2_b32 v6, 7, v22 bitop3:0x40
; %bb.801:                              ;   in Loop: Header=BB204_685 Depth=1
	s_or_b32 exec_lo, exec_lo, s15
	s_delay_alu instid0(VALU_DEP_1) | instskip(NEXT) | instid1(VALU_DEP_2)
	v_dual_lshlrev_b32 v1, 16, v84 :: v_dual_lshlrev_b32 v6, 20, v6
	v_lshl_add_u32 v0, v0, 23, 0x3c000000
	s_delay_alu instid0(VALU_DEP_2) | instskip(NEXT) | instid1(VALU_DEP_1)
	v_and_b32_e32 v1, 0x80000000, v1
	v_or3_b32 v1, v6, v1, v0
	v_mov_b32_e32 v0, v7
.LBB204_802:                            ;   in Loop: Header=BB204_685 Depth=1
	s_or_b32 exec_lo, exec_lo, s14
.LBB204_803:                            ;   in Loop: Header=BB204_685 Depth=1
	s_delay_alu instid0(SALU_CYCLE_1)
	s_or_b32 exec_lo, exec_lo, s9
.LBB204_804:                            ;   in Loop: Header=BB204_685 Depth=1
	s_delay_alu instid0(SALU_CYCLE_1) | instskip(SKIP_4) | instid1(VALU_DEP_3)
	s_or_b32 exec_lo, exec_lo, s8
	v_lshrrev_b32_e32 v48, 16, v84
	v_mov_b64_e32 v[22:23], 0
	v_mov_b64_e32 v[82:83], 0
	s_mov_b32 s8, exec_lo
	v_and_b32_e32 v6, 0xff, v48
	s_delay_alu instid0(VALU_DEP_1)
	v_cmpx_ne_u16_e32 0, v6
	s_cbranch_execz .LBB204_812
; %bb.805:                              ;   in Loop: Header=BB204_685 Depth=1
	v_mov_b64_e32 v[82:83], 0x80000000
	s_mov_b32 s9, exec_lo
	v_cmpx_ne_u16_e32 0x80, v6
	s_cbranch_execz .LBB204_811
; %bb.806:                              ;   in Loop: Header=BB204_685 Depth=1
	v_mov_b64_e32 v[82:83], 0x7f800001
	v_bfe_u32 v85, v84, 16, 7
	s_mov_b32 s14, exec_lo
	s_delay_alu instid0(VALU_DEP_1)
	v_cmpx_ne_u32_e32 0x7f, v85
	s_cbranch_execz .LBB204_810
; %bb.807:                              ;   in Loop: Header=BB204_685 Depth=1
	v_dual_lshrrev_b32 v49, 3, v85 :: v_dual_bitop2_b32 v6, 7, v48 bitop3:0x40
	s_mov_b32 s15, exec_lo
	v_cmpx_gt_u32_e32 8, v85
; %bb.808:                              ;   in Loop: Header=BB204_685 Depth=1
	s_delay_alu instid0(VALU_DEP_2) | instskip(NEXT) | instid1(VALU_DEP_1)
	v_clz_i32_u32_e32 v49, v6
	v_min_u32_e32 v49, 32, v49
	s_delay_alu instid0(VALU_DEP_1) | instskip(NEXT) | instid1(VALU_DEP_1)
	v_subrev_nc_u32_e32 v82, 28, v49
	v_lshlrev_b64_e32 v[82:83], v82, v[6:7]
	s_delay_alu instid0(VALU_DEP_1)
	v_dual_sub_nc_u32 v49, 29, v49 :: v_dual_bitop2_b32 v6, 7, v82 bitop3:0x40
; %bb.809:                              ;   in Loop: Header=BB204_685 Depth=1
	s_or_b32 exec_lo, exec_lo, s15
	s_delay_alu instid0(VALU_DEP_1) | instskip(NEXT) | instid1(VALU_DEP_2)
	v_dual_lshlrev_b32 v48, 24, v48 :: v_dual_lshlrev_b32 v6, 20, v6
	v_lshl_add_u32 v49, v49, 23, 0x3c000000
	s_delay_alu instid0(VALU_DEP_2) | instskip(NEXT) | instid1(VALU_DEP_1)
	v_and_b32_e32 v48, 0x80000000, v48
	v_or3_b32 v6, v6, v48, v49
	s_delay_alu instid0(VALU_DEP_1)
	v_mov_b64_e32 v[82:83], v[6:7]
.LBB204_810:                            ;   in Loop: Header=BB204_685 Depth=1
	s_or_b32 exec_lo, exec_lo, s14
.LBB204_811:                            ;   in Loop: Header=BB204_685 Depth=1
	s_delay_alu instid0(SALU_CYCLE_1)
	s_or_b32 exec_lo, exec_lo, s9
.LBB204_812:                            ;   in Loop: Header=BB204_685 Depth=1
	s_delay_alu instid0(SALU_CYCLE_1) | instskip(NEXT) | instid1(SALU_CYCLE_1)
	s_or_b32 exec_lo, exec_lo, s8
	s_mov_b32 s8, exec_lo
	v_cmpx_lt_u32_e32 0xffffff, v84
	s_cbranch_execz .LBB204_820
; %bb.813:                              ;   in Loop: Header=BB204_685 Depth=1
	v_mov_b64_e32 v[22:23], 0x8000000000000000
	v_lshrrev_b32_e32 v48, 24, v84
	s_mov_b32 s9, exec_lo
	s_delay_alu instid0(VALU_DEP_1)
	v_cmpx_ne_u32_e32 0x80, v48
	s_cbranch_execz .LBB204_819
; %bb.814:                              ;   in Loop: Header=BB204_685 Depth=1
	v_mov_b64_e32 v[22:23], 0x7f80000100000000
	v_bfe_u32 v49, v84, 24, 7
	s_mov_b32 s14, exec_lo
	s_delay_alu instid0(VALU_DEP_1)
	v_cmpx_ne_u32_e32 0x7f, v49
	s_cbranch_execz .LBB204_818
; %bb.815:                              ;   in Loop: Header=BB204_685 Depth=1
	v_dual_lshrrev_b32 v22, 3, v49 :: v_dual_bitop2_b32 v6, 7, v48 bitop3:0x40
	s_mov_b32 s15, exec_lo
	v_cmpx_gt_u32_e32 8, v49
; %bb.816:                              ;   in Loop: Header=BB204_685 Depth=1
	s_delay_alu instid0(VALU_DEP_2) | instskip(NEXT) | instid1(VALU_DEP_1)
	v_clz_i32_u32_e32 v22, v6
	v_min_u32_e32 v22, 32, v22
	s_delay_alu instid0(VALU_DEP_1) | instskip(NEXT) | instid1(VALU_DEP_1)
	v_subrev_nc_u32_e32 v23, 28, v22
	v_lshlrev_b64_e32 v[84:85], v23, v[6:7]
	s_delay_alu instid0(VALU_DEP_1)
	v_dual_sub_nc_u32 v22, 29, v22 :: v_dual_bitop2_b32 v6, 7, v84 bitop3:0x40
; %bb.817:                              ;   in Loop: Header=BB204_685 Depth=1
	s_or_b32 exec_lo, exec_lo, s15
	s_delay_alu instid0(VALU_DEP_1) | instskip(NEXT) | instid1(VALU_DEP_2)
	v_dual_lshlrev_b32 v23, 24, v48 :: v_dual_lshlrev_b32 v6, 20, v6
	v_lshl_add_u32 v22, v22, 23, 0x3c000000
	s_delay_alu instid0(VALU_DEP_2) | instskip(NEXT) | instid1(VALU_DEP_1)
	v_and_b32_e32 v23, 0x80000000, v23
	v_or3_b32 v23, v6, v23, v22
	v_mov_b32_e32 v22, v7
.LBB204_818:                            ;   in Loop: Header=BB204_685 Depth=1
	s_or_b32 exec_lo, exec_lo, s14
.LBB204_819:                            ;   in Loop: Header=BB204_685 Depth=1
	s_delay_alu instid0(SALU_CYCLE_1)
	s_or_b32 exec_lo, exec_lo, s9
.LBB204_820:                            ;   in Loop: Header=BB204_685 Depth=1
	s_delay_alu instid0(SALU_CYCLE_1) | instskip(SKIP_4) | instid1(VALU_DEP_3)
	s_or_b32 exec_lo, exec_lo, s8
	v_or_b32_e32 v1, v1, v19
	v_or_b32_e32 v0, v0, v18
	;; [unrolled: 1-line block ×4, first 2 shown]
	v_pk_mul_f32 v[82:83], v[50:51], v[0:1]
	s_delay_alu instid0(VALU_DEP_2)
	v_pk_mul_f32 v[0:1], v[50:51], v[18:19]
	s_and_saveexec_b32 s8, vcc_lo
	s_cbranch_execz .LBB204_822
; %bb.821:                              ;   in Loop: Header=BB204_685 Depth=1
	v_cmp_lt_i32_e64 s0, v9, v16
	s_delay_alu instid0(VALU_DEP_1) | instskip(SKIP_1) | instid1(VALU_DEP_1)
	v_cndmask_b32_e64 v82, 0, v82, s0
	v_cmp_lt_i32_e64 s0, v27, v16
	v_cndmask_b32_e64 v83, 0, v83, s0
	v_cmp_lt_i32_e64 s0, v121, v16
	s_delay_alu instid0(VALU_DEP_1) | instskip(SKIP_1) | instid1(VALU_DEP_1)
	v_cndmask_b32_e64 v0, 0, v0, s0
	v_cmp_lt_i32_e64 s0, v120, v16
	v_cndmask_b32_e64 v1, 0, v1, s0
.LBB204_822:                            ;   in Loop: Header=BB204_685 Depth=1
	s_or_b32 exec_lo, exec_lo, s8
	flat_load_b32 v96, v[64:65] offset:512
	v_mov_b64_e32 v[18:19], 0
	v_mov_b64_e32 v[22:23], 0
	s_mov_b32 s8, exec_lo
	s_wait_loadcnt_dscnt 0x0
	v_and_b32_e32 v6, 0xff, v96
	s_wait_xcnt 0x0
	s_delay_alu instid0(VALU_DEP_1)
	v_cmpx_ne_u16_e32 0, v6
	s_cbranch_execz .LBB204_830
; %bb.823:                              ;   in Loop: Header=BB204_685 Depth=1
	v_mov_b64_e32 v[22:23], 0x80000000
	s_mov_b32 s9, exec_lo
	v_cmpx_ne_u16_e32 0x80, v6
	s_cbranch_execz .LBB204_829
; %bb.824:                              ;   in Loop: Header=BB204_685 Depth=1
	v_mov_b64_e32 v[22:23], 0x7f800001
	v_and_b32_e32 v48, 0x7f, v96
	s_mov_b32 s14, exec_lo
	s_delay_alu instid0(VALU_DEP_1)
	v_cmpx_ne_u32_e32 0x7f, v48
	s_cbranch_execz .LBB204_828
; %bb.825:                              ;   in Loop: Header=BB204_685 Depth=1
	v_and_b32_e32 v6, 7, v96
	v_lshrrev_b32_e32 v22, 3, v48
	s_mov_b32 s15, exec_lo
	v_cmpx_gt_u32_e32 8, v48
; %bb.826:                              ;   in Loop: Header=BB204_685 Depth=1
	s_delay_alu instid0(VALU_DEP_3) | instskip(NEXT) | instid1(VALU_DEP_1)
	v_clz_i32_u32_e32 v22, v6
	v_min_u32_e32 v22, 32, v22
	s_delay_alu instid0(VALU_DEP_1) | instskip(NEXT) | instid1(VALU_DEP_1)
	v_subrev_nc_u32_e32 v23, 28, v22
	v_lshlrev_b64_e32 v[48:49], v23, v[6:7]
	s_delay_alu instid0(VALU_DEP_1)
	v_dual_sub_nc_u32 v22, 29, v22 :: v_dual_bitop2_b32 v6, 7, v48 bitop3:0x40
; %bb.827:                              ;   in Loop: Header=BB204_685 Depth=1
	s_or_b32 exec_lo, exec_lo, s15
	s_delay_alu instid0(VALU_DEP_1) | instskip(NEXT) | instid1(VALU_DEP_2)
	v_dual_lshlrev_b32 v23, 24, v96 :: v_dual_lshlrev_b32 v6, 20, v6
	v_lshl_add_u32 v22, v22, 23, 0x3c000000
	s_delay_alu instid0(VALU_DEP_2) | instskip(NEXT) | instid1(VALU_DEP_1)
	v_and_b32_e32 v23, 0x80000000, v23
	v_or3_b32 v6, v6, v23, v22
	s_delay_alu instid0(VALU_DEP_1)
	v_mov_b64_e32 v[22:23], v[6:7]
.LBB204_828:                            ;   in Loop: Header=BB204_685 Depth=1
	s_or_b32 exec_lo, exec_lo, s14
.LBB204_829:                            ;   in Loop: Header=BB204_685 Depth=1
	s_delay_alu instid0(SALU_CYCLE_1)
	s_or_b32 exec_lo, exec_lo, s9
.LBB204_830:                            ;   in Loop: Header=BB204_685 Depth=1
	s_delay_alu instid0(SALU_CYCLE_1) | instskip(SKIP_2) | instid1(VALU_DEP_1)
	s_or_b32 exec_lo, exec_lo, s8
	v_lshrrev_b16 v6, 8, v96
	s_mov_b32 s8, exec_lo
	v_cmpx_ne_u16_e32 0, v6
	s_cbranch_execz .LBB204_838
; %bb.831:                              ;   in Loop: Header=BB204_685 Depth=1
	v_mov_b64_e32 v[18:19], 0x8000000000000000
	s_mov_b32 s9, exec_lo
	v_cmpx_ne_u16_e32 0x80, v6
	s_cbranch_execz .LBB204_837
; %bb.832:                              ;   in Loop: Header=BB204_685 Depth=1
	v_and_b32_e32 v6, 0xffff, v6
	v_mov_b64_e32 v[18:19], 0x7f80000100000000
	s_mov_b32 s14, exec_lo
	s_delay_alu instid0(VALU_DEP_2) | instskip(NEXT) | instid1(VALU_DEP_1)
	v_and_b32_e32 v48, 0x7f, v6
	v_cmpx_ne_u32_e32 0x7f, v48
	s_cbranch_execz .LBB204_836
; %bb.833:                              ;   in Loop: Header=BB204_685 Depth=1
	v_dual_lshrrev_b32 v18, 3, v48 :: v_dual_bitop2_b32 v6, 7, v6 bitop3:0x40
	s_mov_b32 s15, exec_lo
	v_cmpx_gt_u32_e32 8, v48
; %bb.834:                              ;   in Loop: Header=BB204_685 Depth=1
	s_delay_alu instid0(VALU_DEP_2) | instskip(NEXT) | instid1(VALU_DEP_1)
	v_clz_i32_u32_e32 v18, v6
	v_min_u32_e32 v18, 32, v18
	s_delay_alu instid0(VALU_DEP_1) | instskip(NEXT) | instid1(VALU_DEP_1)
	v_subrev_nc_u32_e32 v19, 28, v18
	v_lshlrev_b64_e32 v[48:49], v19, v[6:7]
	s_delay_alu instid0(VALU_DEP_1)
	v_dual_sub_nc_u32 v18, 29, v18 :: v_dual_bitop2_b32 v6, 7, v48 bitop3:0x40
; %bb.835:                              ;   in Loop: Header=BB204_685 Depth=1
	s_or_b32 exec_lo, exec_lo, s15
	s_delay_alu instid0(VALU_DEP_1) | instskip(NEXT) | instid1(VALU_DEP_2)
	v_dual_lshlrev_b32 v19, 16, v96 :: v_dual_lshlrev_b32 v6, 20, v6
	v_lshl_add_u32 v18, v18, 23, 0x3c000000
	s_delay_alu instid0(VALU_DEP_2) | instskip(NEXT) | instid1(VALU_DEP_1)
	v_and_b32_e32 v19, 0x80000000, v19
	v_or3_b32 v19, v6, v19, v18
	v_mov_b32_e32 v18, v7
.LBB204_836:                            ;   in Loop: Header=BB204_685 Depth=1
	s_or_b32 exec_lo, exec_lo, s14
.LBB204_837:                            ;   in Loop: Header=BB204_685 Depth=1
	s_delay_alu instid0(SALU_CYCLE_1)
	s_or_b32 exec_lo, exec_lo, s9
.LBB204_838:                            ;   in Loop: Header=BB204_685 Depth=1
	s_delay_alu instid0(SALU_CYCLE_1) | instskip(SKIP_4) | instid1(VALU_DEP_3)
	s_or_b32 exec_lo, exec_lo, s8
	v_lshrrev_b32_e32 v48, 16, v96
	v_mov_b64_e32 v[84:85], 0
	v_mov_b64_e32 v[86:87], 0
	s_mov_b32 s8, exec_lo
	v_and_b32_e32 v6, 0xff, v48
	s_delay_alu instid0(VALU_DEP_1)
	v_cmpx_ne_u16_e32 0, v6
	s_cbranch_execz .LBB204_846
; %bb.839:                              ;   in Loop: Header=BB204_685 Depth=1
	v_mov_b64_e32 v[86:87], 0x80000000
	s_mov_b32 s9, exec_lo
	v_cmpx_ne_u16_e32 0x80, v6
	s_cbranch_execz .LBB204_845
; %bb.840:                              ;   in Loop: Header=BB204_685 Depth=1
	v_mov_b64_e32 v[86:87], 0x7f800001
	v_bfe_u32 v97, v96, 16, 7
	s_mov_b32 s14, exec_lo
	s_delay_alu instid0(VALU_DEP_1)
	v_cmpx_ne_u32_e32 0x7f, v97
	s_cbranch_execz .LBB204_844
; %bb.841:                              ;   in Loop: Header=BB204_685 Depth=1
	v_dual_lshrrev_b32 v49, 3, v97 :: v_dual_bitop2_b32 v6, 7, v48 bitop3:0x40
	s_mov_b32 s15, exec_lo
	v_cmpx_gt_u32_e32 8, v97
; %bb.842:                              ;   in Loop: Header=BB204_685 Depth=1
	s_delay_alu instid0(VALU_DEP_2) | instskip(NEXT) | instid1(VALU_DEP_1)
	v_clz_i32_u32_e32 v49, v6
	v_min_u32_e32 v49, 32, v49
	s_delay_alu instid0(VALU_DEP_1) | instskip(NEXT) | instid1(VALU_DEP_1)
	v_subrev_nc_u32_e32 v86, 28, v49
	v_lshlrev_b64_e32 v[86:87], v86, v[6:7]
	s_delay_alu instid0(VALU_DEP_1)
	v_dual_sub_nc_u32 v49, 29, v49 :: v_dual_bitop2_b32 v6, 7, v86 bitop3:0x40
; %bb.843:                              ;   in Loop: Header=BB204_685 Depth=1
	s_or_b32 exec_lo, exec_lo, s15
	s_delay_alu instid0(VALU_DEP_1) | instskip(NEXT) | instid1(VALU_DEP_2)
	v_dual_lshlrev_b32 v48, 24, v48 :: v_dual_lshlrev_b32 v6, 20, v6
	v_lshl_add_u32 v49, v49, 23, 0x3c000000
	s_delay_alu instid0(VALU_DEP_2) | instskip(NEXT) | instid1(VALU_DEP_1)
	v_and_b32_e32 v48, 0x80000000, v48
	v_or3_b32 v6, v6, v48, v49
	s_delay_alu instid0(VALU_DEP_1)
	v_mov_b64_e32 v[86:87], v[6:7]
.LBB204_844:                            ;   in Loop: Header=BB204_685 Depth=1
	s_or_b32 exec_lo, exec_lo, s14
.LBB204_845:                            ;   in Loop: Header=BB204_685 Depth=1
	s_delay_alu instid0(SALU_CYCLE_1)
	s_or_b32 exec_lo, exec_lo, s9
.LBB204_846:                            ;   in Loop: Header=BB204_685 Depth=1
	s_delay_alu instid0(SALU_CYCLE_1) | instskip(NEXT) | instid1(SALU_CYCLE_1)
	s_or_b32 exec_lo, exec_lo, s8
	s_mov_b32 s8, exec_lo
	v_cmpx_lt_u32_e32 0xffffff, v96
	s_cbranch_execz .LBB204_854
; %bb.847:                              ;   in Loop: Header=BB204_685 Depth=1
	v_mov_b64_e32 v[84:85], 0x8000000000000000
	v_lshrrev_b32_e32 v48, 24, v96
	s_mov_b32 s9, exec_lo
	s_delay_alu instid0(VALU_DEP_1)
	v_cmpx_ne_u32_e32 0x80, v48
	s_cbranch_execz .LBB204_853
; %bb.848:                              ;   in Loop: Header=BB204_685 Depth=1
	v_mov_b64_e32 v[84:85], 0x7f80000100000000
	v_bfe_u32 v96, v96, 24, 7
	s_mov_b32 s14, exec_lo
	s_delay_alu instid0(VALU_DEP_1)
	v_cmpx_ne_u32_e32 0x7f, v96
	s_cbranch_execz .LBB204_852
; %bb.849:                              ;   in Loop: Header=BB204_685 Depth=1
	v_and_b32_e32 v6, 7, v48
	v_lshrrev_b32_e32 v49, 3, v96
	s_mov_b32 s15, exec_lo
	v_cmpx_gt_u32_e32 8, v96
; %bb.850:                              ;   in Loop: Header=BB204_685 Depth=1
	s_delay_alu instid0(VALU_DEP_3) | instskip(NEXT) | instid1(VALU_DEP_1)
	v_clz_i32_u32_e32 v49, v6
	v_min_u32_e32 v49, 32, v49
	s_delay_alu instid0(VALU_DEP_1) | instskip(NEXT) | instid1(VALU_DEP_1)
	v_subrev_nc_u32_e32 v84, 28, v49
	v_lshlrev_b64_e32 v[84:85], v84, v[6:7]
	s_delay_alu instid0(VALU_DEP_1)
	v_dual_sub_nc_u32 v49, 29, v49 :: v_dual_bitop2_b32 v6, 7, v84 bitop3:0x40
; %bb.851:                              ;   in Loop: Header=BB204_685 Depth=1
	s_or_b32 exec_lo, exec_lo, s15
	s_delay_alu instid0(VALU_DEP_1) | instskip(NEXT) | instid1(VALU_DEP_2)
	v_dual_lshlrev_b32 v48, 24, v48 :: v_dual_lshlrev_b32 v6, 20, v6
	v_lshl_add_u32 v49, v49, 23, 0x3c000000
	v_mov_b32_e32 v84, v7
	s_delay_alu instid0(VALU_DEP_3) | instskip(NEXT) | instid1(VALU_DEP_1)
	v_and_b32_e32 v48, 0x80000000, v48
	v_or3_b32 v85, v6, v48, v49
.LBB204_852:                            ;   in Loop: Header=BB204_685 Depth=1
	s_or_b32 exec_lo, exec_lo, s14
.LBB204_853:                            ;   in Loop: Header=BB204_685 Depth=1
	s_delay_alu instid0(SALU_CYCLE_1)
	s_or_b32 exec_lo, exec_lo, s9
.LBB204_854:                            ;   in Loop: Header=BB204_685 Depth=1
	s_delay_alu instid0(SALU_CYCLE_1) | instskip(SKIP_4) | instid1(VALU_DEP_3)
	s_or_b32 exec_lo, exec_lo, s8
	v_or_b32_e32 v19, v19, v23
	v_or_b32_e32 v18, v18, v22
	;; [unrolled: 1-line block ×4, first 2 shown]
	v_pk_mul_f32 v[22:23], v[50:51], v[18:19]
	s_delay_alu instid0(VALU_DEP_2)
	v_pk_mul_f32 v[18:19], v[50:51], v[48:49]
	s_and_saveexec_b32 s8, vcc_lo
	s_cbranch_execz .LBB204_856
; %bb.855:                              ;   in Loop: Header=BB204_685 Depth=1
	v_cmp_lt_i32_e64 s0, v9, v16
	s_delay_alu instid0(VALU_DEP_1) | instskip(SKIP_1) | instid1(VALU_DEP_1)
	v_cndmask_b32_e64 v22, 0, v22, s0
	v_cmp_lt_i32_e64 s0, v27, v16
	v_cndmask_b32_e64 v23, 0, v23, s0
	v_cmp_lt_i32_e64 s0, v121, v16
	s_delay_alu instid0(VALU_DEP_1) | instskip(SKIP_1) | instid1(VALU_DEP_1)
	v_cndmask_b32_e64 v18, 0, v18, s0
	v_cmp_lt_i32_e64 s0, v120, v16
	v_cndmask_b32_e64 v19, 0, v19, s0
.LBB204_856:                            ;   in Loop: Header=BB204_685 Depth=1
	s_or_b32 exec_lo, exec_lo, s8
	flat_load_b32 v100, v[64:65] offset:640
	v_mov_b64_e32 v[84:85], 0
	v_mov_b64_e32 v[86:87], 0
	s_mov_b32 s8, exec_lo
	s_wait_loadcnt_dscnt 0x0
	v_and_b32_e32 v6, 0xff, v100
	s_wait_xcnt 0x0
	s_delay_alu instid0(VALU_DEP_1)
	v_cmpx_ne_u16_e32 0, v6
	s_cbranch_execz .LBB204_864
; %bb.857:                              ;   in Loop: Header=BB204_685 Depth=1
	v_mov_b64_e32 v[86:87], 0x80000000
	s_mov_b32 s9, exec_lo
	v_cmpx_ne_u16_e32 0x80, v6
	s_cbranch_execz .LBB204_863
; %bb.858:                              ;   in Loop: Header=BB204_685 Depth=1
	v_mov_b64_e32 v[86:87], 0x7f800001
	v_and_b32_e32 v49, 0x7f, v100
	s_mov_b32 s14, exec_lo
	s_delay_alu instid0(VALU_DEP_1)
	v_cmpx_ne_u32_e32 0x7f, v49
	s_cbranch_execz .LBB204_862
; %bb.859:                              ;   in Loop: Header=BB204_685 Depth=1
	v_dual_lshrrev_b32 v48, 3, v49 :: v_dual_bitop2_b32 v6, 7, v100 bitop3:0x40
	s_mov_b32 s15, exec_lo
	v_cmpx_gt_u32_e32 8, v49
; %bb.860:                              ;   in Loop: Header=BB204_685 Depth=1
	s_delay_alu instid0(VALU_DEP_2) | instskip(NEXT) | instid1(VALU_DEP_1)
	v_clz_i32_u32_e32 v48, v6
	v_min_u32_e32 v48, 32, v48
	s_delay_alu instid0(VALU_DEP_1) | instskip(NEXT) | instid1(VALU_DEP_1)
	v_subrev_nc_u32_e32 v49, 28, v48
	v_lshlrev_b64_e32 v[86:87], v49, v[6:7]
	s_delay_alu instid0(VALU_DEP_1)
	v_dual_sub_nc_u32 v48, 29, v48 :: v_dual_bitop2_b32 v6, 7, v86 bitop3:0x40
; %bb.861:                              ;   in Loop: Header=BB204_685 Depth=1
	s_or_b32 exec_lo, exec_lo, s15
	s_delay_alu instid0(VALU_DEP_1) | instskip(NEXT) | instid1(VALU_DEP_2)
	v_dual_lshlrev_b32 v49, 24, v100 :: v_dual_lshlrev_b32 v6, 20, v6
	v_lshl_add_u32 v48, v48, 23, 0x3c000000
	s_delay_alu instid0(VALU_DEP_2) | instskip(NEXT) | instid1(VALU_DEP_1)
	v_and_b32_e32 v49, 0x80000000, v49
	v_or3_b32 v6, v6, v49, v48
	s_delay_alu instid0(VALU_DEP_1)
	v_mov_b64_e32 v[86:87], v[6:7]
.LBB204_862:                            ;   in Loop: Header=BB204_685 Depth=1
	s_or_b32 exec_lo, exec_lo, s14
.LBB204_863:                            ;   in Loop: Header=BB204_685 Depth=1
	s_delay_alu instid0(SALU_CYCLE_1)
	s_or_b32 exec_lo, exec_lo, s9
.LBB204_864:                            ;   in Loop: Header=BB204_685 Depth=1
	s_delay_alu instid0(SALU_CYCLE_1) | instskip(SKIP_2) | instid1(VALU_DEP_1)
	s_or_b32 exec_lo, exec_lo, s8
	v_lshrrev_b16 v6, 8, v100
	s_mov_b32 s8, exec_lo
	v_cmpx_ne_u16_e32 0, v6
	s_cbranch_execz .LBB204_872
; %bb.865:                              ;   in Loop: Header=BB204_685 Depth=1
	v_mov_b64_e32 v[84:85], 0x8000000000000000
	s_mov_b32 s9, exec_lo
	v_cmpx_ne_u16_e32 0x80, v6
	s_cbranch_execz .LBB204_871
; %bb.866:                              ;   in Loop: Header=BB204_685 Depth=1
	v_and_b32_e32 v6, 0xffff, v6
	v_mov_b64_e32 v[84:85], 0x7f80000100000000
	s_mov_b32 s14, exec_lo
	s_delay_alu instid0(VALU_DEP_2) | instskip(NEXT) | instid1(VALU_DEP_1)
	v_and_b32_e32 v49, 0x7f, v6
	v_cmpx_ne_u32_e32 0x7f, v49
	s_cbranch_execz .LBB204_870
; %bb.867:                              ;   in Loop: Header=BB204_685 Depth=1
	v_dual_lshrrev_b32 v48, 3, v49 :: v_dual_bitop2_b32 v6, 7, v6 bitop3:0x40
	s_mov_b32 s15, exec_lo
	v_cmpx_gt_u32_e32 8, v49
; %bb.868:                              ;   in Loop: Header=BB204_685 Depth=1
	s_delay_alu instid0(VALU_DEP_2) | instskip(NEXT) | instid1(VALU_DEP_1)
	v_clz_i32_u32_e32 v48, v6
	v_min_u32_e32 v48, 32, v48
	s_delay_alu instid0(VALU_DEP_1) | instskip(SKIP_1) | instid1(VALU_DEP_2)
	v_subrev_nc_u32_e32 v49, 28, v48
	v_sub_nc_u32_e32 v48, 29, v48
	v_lshlrev_b64_e32 v[84:85], v49, v[6:7]
	s_delay_alu instid0(VALU_DEP_1)
	v_and_b32_e32 v6, 7, v84
; %bb.869:                              ;   in Loop: Header=BB204_685 Depth=1
	s_or_b32 exec_lo, exec_lo, s15
	s_delay_alu instid0(VALU_DEP_1) | instskip(SKIP_2) | instid1(VALU_DEP_3)
	v_dual_lshlrev_b32 v49, 16, v100 :: v_dual_lshlrev_b32 v6, 20, v6
	v_lshl_add_u32 v48, v48, 23, 0x3c000000
	v_mov_b32_e32 v84, v7
	v_and_b32_e32 v49, 0x80000000, v49
	s_delay_alu instid0(VALU_DEP_1)
	v_or3_b32 v85, v6, v49, v48
.LBB204_870:                            ;   in Loop: Header=BB204_685 Depth=1
	s_or_b32 exec_lo, exec_lo, s14
.LBB204_871:                            ;   in Loop: Header=BB204_685 Depth=1
	s_delay_alu instid0(SALU_CYCLE_1)
	s_or_b32 exec_lo, exec_lo, s9
.LBB204_872:                            ;   in Loop: Header=BB204_685 Depth=1
	s_delay_alu instid0(SALU_CYCLE_1) | instskip(SKIP_4) | instid1(VALU_DEP_3)
	s_or_b32 exec_lo, exec_lo, s8
	v_lshrrev_b32_e32 v48, 16, v100
	v_mov_b64_e32 v[96:97], 0
	v_mov_b64_e32 v[98:99], 0
	s_mov_b32 s8, exec_lo
	v_and_b32_e32 v6, 0xff, v48
	s_delay_alu instid0(VALU_DEP_1)
	v_cmpx_ne_u16_e32 0, v6
	s_cbranch_execz .LBB204_880
; %bb.873:                              ;   in Loop: Header=BB204_685 Depth=1
	v_mov_b64_e32 v[98:99], 0x80000000
	s_mov_b32 s9, exec_lo
	v_cmpx_ne_u16_e32 0x80, v6
	s_cbranch_execz .LBB204_879
; %bb.874:                              ;   in Loop: Header=BB204_685 Depth=1
	v_mov_b64_e32 v[98:99], 0x7f800001
	v_bfe_u32 v101, v100, 16, 7
	s_mov_b32 s14, exec_lo
	s_delay_alu instid0(VALU_DEP_1)
	v_cmpx_ne_u32_e32 0x7f, v101
	s_cbranch_execz .LBB204_878
; %bb.875:                              ;   in Loop: Header=BB204_685 Depth=1
	v_dual_lshrrev_b32 v49, 3, v101 :: v_dual_bitop2_b32 v6, 7, v48 bitop3:0x40
	s_mov_b32 s15, exec_lo
	v_cmpx_gt_u32_e32 8, v101
; %bb.876:                              ;   in Loop: Header=BB204_685 Depth=1
	s_delay_alu instid0(VALU_DEP_2) | instskip(NEXT) | instid1(VALU_DEP_1)
	v_clz_i32_u32_e32 v49, v6
	v_min_u32_e32 v49, 32, v49
	s_delay_alu instid0(VALU_DEP_1) | instskip(NEXT) | instid1(VALU_DEP_1)
	v_subrev_nc_u32_e32 v98, 28, v49
	v_lshlrev_b64_e32 v[98:99], v98, v[6:7]
	s_delay_alu instid0(VALU_DEP_1)
	v_dual_sub_nc_u32 v49, 29, v49 :: v_dual_bitop2_b32 v6, 7, v98 bitop3:0x40
; %bb.877:                              ;   in Loop: Header=BB204_685 Depth=1
	s_or_b32 exec_lo, exec_lo, s15
	s_delay_alu instid0(VALU_DEP_1) | instskip(NEXT) | instid1(VALU_DEP_2)
	v_dual_lshlrev_b32 v48, 24, v48 :: v_dual_lshlrev_b32 v6, 20, v6
	v_lshl_add_u32 v49, v49, 23, 0x3c000000
	s_delay_alu instid0(VALU_DEP_2) | instskip(NEXT) | instid1(VALU_DEP_1)
	v_and_b32_e32 v48, 0x80000000, v48
	v_or3_b32 v6, v6, v48, v49
	s_delay_alu instid0(VALU_DEP_1)
	v_mov_b64_e32 v[98:99], v[6:7]
.LBB204_878:                            ;   in Loop: Header=BB204_685 Depth=1
	s_or_b32 exec_lo, exec_lo, s14
.LBB204_879:                            ;   in Loop: Header=BB204_685 Depth=1
	s_delay_alu instid0(SALU_CYCLE_1)
	s_or_b32 exec_lo, exec_lo, s9
.LBB204_880:                            ;   in Loop: Header=BB204_685 Depth=1
	s_delay_alu instid0(SALU_CYCLE_1) | instskip(NEXT) | instid1(SALU_CYCLE_1)
	s_or_b32 exec_lo, exec_lo, s8
	s_mov_b32 s8, exec_lo
	v_cmpx_lt_u32_e32 0xffffff, v100
	s_cbranch_execz .LBB204_888
; %bb.881:                              ;   in Loop: Header=BB204_685 Depth=1
	v_mov_b64_e32 v[96:97], 0x8000000000000000
	v_lshrrev_b32_e32 v48, 24, v100
	s_mov_b32 s9, exec_lo
	s_delay_alu instid0(VALU_DEP_1)
	v_cmpx_ne_u32_e32 0x80, v48
	s_cbranch_execz .LBB204_887
; %bb.882:                              ;   in Loop: Header=BB204_685 Depth=1
	v_mov_b64_e32 v[96:97], 0x7f80000100000000
	v_bfe_u32 v100, v100, 24, 7
	s_mov_b32 s14, exec_lo
	s_delay_alu instid0(VALU_DEP_1)
	v_cmpx_ne_u32_e32 0x7f, v100
	s_cbranch_execz .LBB204_886
; %bb.883:                              ;   in Loop: Header=BB204_685 Depth=1
	v_and_b32_e32 v6, 7, v48
	v_lshrrev_b32_e32 v49, 3, v100
	s_mov_b32 s15, exec_lo
	v_cmpx_gt_u32_e32 8, v100
; %bb.884:                              ;   in Loop: Header=BB204_685 Depth=1
	s_delay_alu instid0(VALU_DEP_3) | instskip(NEXT) | instid1(VALU_DEP_1)
	v_clz_i32_u32_e32 v49, v6
	v_min_u32_e32 v49, 32, v49
	s_delay_alu instid0(VALU_DEP_1) | instskip(NEXT) | instid1(VALU_DEP_1)
	v_subrev_nc_u32_e32 v96, 28, v49
	v_lshlrev_b64_e32 v[96:97], v96, v[6:7]
	s_delay_alu instid0(VALU_DEP_1)
	v_dual_sub_nc_u32 v49, 29, v49 :: v_dual_bitop2_b32 v6, 7, v96 bitop3:0x40
; %bb.885:                              ;   in Loop: Header=BB204_685 Depth=1
	s_or_b32 exec_lo, exec_lo, s15
	s_delay_alu instid0(VALU_DEP_1) | instskip(NEXT) | instid1(VALU_DEP_2)
	v_dual_lshlrev_b32 v48, 24, v48 :: v_dual_lshlrev_b32 v6, 20, v6
	v_lshl_add_u32 v49, v49, 23, 0x3c000000
	v_mov_b32_e32 v96, v7
	s_delay_alu instid0(VALU_DEP_3) | instskip(NEXT) | instid1(VALU_DEP_1)
	v_and_b32_e32 v48, 0x80000000, v48
	v_or3_b32 v97, v6, v48, v49
.LBB204_886:                            ;   in Loop: Header=BB204_685 Depth=1
	s_or_b32 exec_lo, exec_lo, s14
.LBB204_887:                            ;   in Loop: Header=BB204_685 Depth=1
	s_delay_alu instid0(SALU_CYCLE_1)
	s_or_b32 exec_lo, exec_lo, s9
.LBB204_888:                            ;   in Loop: Header=BB204_685 Depth=1
	s_delay_alu instid0(SALU_CYCLE_1) | instskip(SKIP_4) | instid1(VALU_DEP_3)
	s_or_b32 exec_lo, exec_lo, s8
	v_or_b32_e32 v49, v85, v87
	v_or_b32_e32 v48, v84, v86
	;; [unrolled: 1-line block ×4, first 2 shown]
	v_pk_mul_f32 v[86:87], v[50:51], v[48:49]
	s_delay_alu instid0(VALU_DEP_2)
	v_pk_mul_f32 v[84:85], v[50:51], v[84:85]
	s_and_saveexec_b32 s8, vcc_lo
	s_cbranch_execz .LBB204_890
; %bb.889:                              ;   in Loop: Header=BB204_685 Depth=1
	v_cmp_lt_i32_e64 s0, v9, v16
	s_delay_alu instid0(VALU_DEP_1) | instskip(SKIP_1) | instid1(VALU_DEP_1)
	v_cndmask_b32_e64 v86, 0, v86, s0
	v_cmp_lt_i32_e64 s0, v27, v16
	v_cndmask_b32_e64 v87, 0, v87, s0
	v_cmp_lt_i32_e64 s0, v121, v16
	s_delay_alu instid0(VALU_DEP_1) | instskip(SKIP_1) | instid1(VALU_DEP_1)
	v_cndmask_b32_e64 v84, 0, v84, s0
	v_cmp_lt_i32_e64 s0, v120, v16
	v_cndmask_b32_e64 v85, 0, v85, s0
.LBB204_890:                            ;   in Loop: Header=BB204_685 Depth=1
	s_or_b32 exec_lo, exec_lo, s8
	flat_load_b32 v112, v[64:65] offset:768
	v_mov_b64_e32 v[96:97], 0
	v_mov_b64_e32 v[98:99], 0
	s_mov_b32 s8, exec_lo
	s_wait_loadcnt_dscnt 0x0
	v_and_b32_e32 v6, 0xff, v112
	s_wait_xcnt 0x0
	s_delay_alu instid0(VALU_DEP_1)
	v_cmpx_ne_u16_e32 0, v6
	s_cbranch_execz .LBB204_898
; %bb.891:                              ;   in Loop: Header=BB204_685 Depth=1
	v_mov_b64_e32 v[98:99], 0x80000000
	s_mov_b32 s9, exec_lo
	v_cmpx_ne_u16_e32 0x80, v6
	s_cbranch_execz .LBB204_897
; %bb.892:                              ;   in Loop: Header=BB204_685 Depth=1
	v_mov_b64_e32 v[98:99], 0x7f800001
	v_and_b32_e32 v49, 0x7f, v112
	s_mov_b32 s14, exec_lo
	s_delay_alu instid0(VALU_DEP_1)
	v_cmpx_ne_u32_e32 0x7f, v49
	s_cbranch_execz .LBB204_896
; %bb.893:                              ;   in Loop: Header=BB204_685 Depth=1
	v_dual_lshrrev_b32 v48, 3, v49 :: v_dual_bitop2_b32 v6, 7, v112 bitop3:0x40
	s_mov_b32 s15, exec_lo
	v_cmpx_gt_u32_e32 8, v49
; %bb.894:                              ;   in Loop: Header=BB204_685 Depth=1
	s_delay_alu instid0(VALU_DEP_2) | instskip(NEXT) | instid1(VALU_DEP_1)
	v_clz_i32_u32_e32 v48, v6
	v_min_u32_e32 v48, 32, v48
	s_delay_alu instid0(VALU_DEP_1) | instskip(NEXT) | instid1(VALU_DEP_1)
	v_subrev_nc_u32_e32 v49, 28, v48
	v_lshlrev_b64_e32 v[98:99], v49, v[6:7]
	s_delay_alu instid0(VALU_DEP_1)
	v_dual_sub_nc_u32 v48, 29, v48 :: v_dual_bitop2_b32 v6, 7, v98 bitop3:0x40
; %bb.895:                              ;   in Loop: Header=BB204_685 Depth=1
	s_or_b32 exec_lo, exec_lo, s15
	s_delay_alu instid0(VALU_DEP_1) | instskip(NEXT) | instid1(VALU_DEP_2)
	v_dual_lshlrev_b32 v49, 24, v112 :: v_dual_lshlrev_b32 v6, 20, v6
	v_lshl_add_u32 v48, v48, 23, 0x3c000000
	s_delay_alu instid0(VALU_DEP_2) | instskip(NEXT) | instid1(VALU_DEP_1)
	v_and_b32_e32 v49, 0x80000000, v49
	v_or3_b32 v6, v6, v49, v48
	s_delay_alu instid0(VALU_DEP_1)
	v_mov_b64_e32 v[98:99], v[6:7]
.LBB204_896:                            ;   in Loop: Header=BB204_685 Depth=1
	s_or_b32 exec_lo, exec_lo, s14
.LBB204_897:                            ;   in Loop: Header=BB204_685 Depth=1
	s_delay_alu instid0(SALU_CYCLE_1)
	s_or_b32 exec_lo, exec_lo, s9
.LBB204_898:                            ;   in Loop: Header=BB204_685 Depth=1
	s_delay_alu instid0(SALU_CYCLE_1) | instskip(SKIP_2) | instid1(VALU_DEP_1)
	s_or_b32 exec_lo, exec_lo, s8
	v_lshrrev_b16 v6, 8, v112
	s_mov_b32 s8, exec_lo
	v_cmpx_ne_u16_e32 0, v6
	s_cbranch_execz .LBB204_906
; %bb.899:                              ;   in Loop: Header=BB204_685 Depth=1
	v_mov_b64_e32 v[96:97], 0x8000000000000000
	s_mov_b32 s9, exec_lo
	v_cmpx_ne_u16_e32 0x80, v6
	s_cbranch_execz .LBB204_905
; %bb.900:                              ;   in Loop: Header=BB204_685 Depth=1
	v_and_b32_e32 v6, 0xffff, v6
	v_mov_b64_e32 v[96:97], 0x7f80000100000000
	s_mov_b32 s14, exec_lo
	s_delay_alu instid0(VALU_DEP_2) | instskip(NEXT) | instid1(VALU_DEP_1)
	v_and_b32_e32 v49, 0x7f, v6
	v_cmpx_ne_u32_e32 0x7f, v49
	s_cbranch_execz .LBB204_904
; %bb.901:                              ;   in Loop: Header=BB204_685 Depth=1
	v_dual_lshrrev_b32 v48, 3, v49 :: v_dual_bitop2_b32 v6, 7, v6 bitop3:0x40
	s_mov_b32 s15, exec_lo
	v_cmpx_gt_u32_e32 8, v49
; %bb.902:                              ;   in Loop: Header=BB204_685 Depth=1
	s_delay_alu instid0(VALU_DEP_2) | instskip(NEXT) | instid1(VALU_DEP_1)
	v_clz_i32_u32_e32 v48, v6
	v_min_u32_e32 v48, 32, v48
	s_delay_alu instid0(VALU_DEP_1) | instskip(SKIP_1) | instid1(VALU_DEP_2)
	v_subrev_nc_u32_e32 v49, 28, v48
	v_sub_nc_u32_e32 v48, 29, v48
	v_lshlrev_b64_e32 v[96:97], v49, v[6:7]
	s_delay_alu instid0(VALU_DEP_1)
	v_and_b32_e32 v6, 7, v96
; %bb.903:                              ;   in Loop: Header=BB204_685 Depth=1
	s_or_b32 exec_lo, exec_lo, s15
	s_delay_alu instid0(VALU_DEP_1) | instskip(SKIP_2) | instid1(VALU_DEP_3)
	v_dual_lshlrev_b32 v49, 16, v112 :: v_dual_lshlrev_b32 v6, 20, v6
	v_lshl_add_u32 v48, v48, 23, 0x3c000000
	v_mov_b32_e32 v96, v7
	v_and_b32_e32 v49, 0x80000000, v49
	s_delay_alu instid0(VALU_DEP_1)
	v_or3_b32 v97, v6, v49, v48
.LBB204_904:                            ;   in Loop: Header=BB204_685 Depth=1
	s_or_b32 exec_lo, exec_lo, s14
.LBB204_905:                            ;   in Loop: Header=BB204_685 Depth=1
	s_delay_alu instid0(SALU_CYCLE_1)
	s_or_b32 exec_lo, exec_lo, s9
.LBB204_906:                            ;   in Loop: Header=BB204_685 Depth=1
	s_delay_alu instid0(SALU_CYCLE_1) | instskip(SKIP_4) | instid1(VALU_DEP_3)
	s_or_b32 exec_lo, exec_lo, s8
	v_lshrrev_b32_e32 v48, 16, v112
	v_mov_b64_e32 v[100:101], 0
	v_mov_b64_e32 v[102:103], 0
	s_mov_b32 s8, exec_lo
	v_and_b32_e32 v6, 0xff, v48
	s_delay_alu instid0(VALU_DEP_1)
	v_cmpx_ne_u16_e32 0, v6
	s_cbranch_execz .LBB204_914
; %bb.907:                              ;   in Loop: Header=BB204_685 Depth=1
	v_mov_b64_e32 v[102:103], 0x80000000
	s_mov_b32 s9, exec_lo
	v_cmpx_ne_u16_e32 0x80, v6
	s_cbranch_execz .LBB204_913
; %bb.908:                              ;   in Loop: Header=BB204_685 Depth=1
	v_mov_b64_e32 v[102:103], 0x7f800001
	v_bfe_u32 v113, v112, 16, 7
	s_mov_b32 s14, exec_lo
	s_delay_alu instid0(VALU_DEP_1)
	v_cmpx_ne_u32_e32 0x7f, v113
	s_cbranch_execz .LBB204_912
; %bb.909:                              ;   in Loop: Header=BB204_685 Depth=1
	v_dual_lshrrev_b32 v49, 3, v113 :: v_dual_bitop2_b32 v6, 7, v48 bitop3:0x40
	s_mov_b32 s15, exec_lo
	v_cmpx_gt_u32_e32 8, v113
; %bb.910:                              ;   in Loop: Header=BB204_685 Depth=1
	s_delay_alu instid0(VALU_DEP_2) | instskip(NEXT) | instid1(VALU_DEP_1)
	v_clz_i32_u32_e32 v49, v6
	v_min_u32_e32 v49, 32, v49
	s_delay_alu instid0(VALU_DEP_1) | instskip(NEXT) | instid1(VALU_DEP_1)
	v_subrev_nc_u32_e32 v102, 28, v49
	v_lshlrev_b64_e32 v[102:103], v102, v[6:7]
	s_delay_alu instid0(VALU_DEP_1)
	v_dual_sub_nc_u32 v49, 29, v49 :: v_dual_bitop2_b32 v6, 7, v102 bitop3:0x40
; %bb.911:                              ;   in Loop: Header=BB204_685 Depth=1
	s_or_b32 exec_lo, exec_lo, s15
	s_delay_alu instid0(VALU_DEP_1) | instskip(NEXT) | instid1(VALU_DEP_2)
	v_dual_lshlrev_b32 v48, 24, v48 :: v_dual_lshlrev_b32 v6, 20, v6
	v_lshl_add_u32 v49, v49, 23, 0x3c000000
	s_delay_alu instid0(VALU_DEP_2) | instskip(NEXT) | instid1(VALU_DEP_1)
	v_and_b32_e32 v48, 0x80000000, v48
	v_or3_b32 v6, v6, v48, v49
	s_delay_alu instid0(VALU_DEP_1)
	v_mov_b64_e32 v[102:103], v[6:7]
.LBB204_912:                            ;   in Loop: Header=BB204_685 Depth=1
	s_or_b32 exec_lo, exec_lo, s14
.LBB204_913:                            ;   in Loop: Header=BB204_685 Depth=1
	s_delay_alu instid0(SALU_CYCLE_1)
	s_or_b32 exec_lo, exec_lo, s9
.LBB204_914:                            ;   in Loop: Header=BB204_685 Depth=1
	s_delay_alu instid0(SALU_CYCLE_1) | instskip(NEXT) | instid1(SALU_CYCLE_1)
	s_or_b32 exec_lo, exec_lo, s8
	s_mov_b32 s8, exec_lo
	v_cmpx_lt_u32_e32 0xffffff, v112
	s_cbranch_execz .LBB204_922
; %bb.915:                              ;   in Loop: Header=BB204_685 Depth=1
	v_mov_b64_e32 v[100:101], 0x8000000000000000
	v_lshrrev_b32_e32 v48, 24, v112
	s_mov_b32 s9, exec_lo
	s_delay_alu instid0(VALU_DEP_1)
	v_cmpx_ne_u32_e32 0x80, v48
	s_cbranch_execz .LBB204_921
; %bb.916:                              ;   in Loop: Header=BB204_685 Depth=1
	v_mov_b64_e32 v[100:101], 0x7f80000100000000
	v_bfe_u32 v112, v112, 24, 7
	s_mov_b32 s14, exec_lo
	s_delay_alu instid0(VALU_DEP_1)
	v_cmpx_ne_u32_e32 0x7f, v112
	s_cbranch_execz .LBB204_920
; %bb.917:                              ;   in Loop: Header=BB204_685 Depth=1
	v_and_b32_e32 v6, 7, v48
	v_lshrrev_b32_e32 v49, 3, v112
	s_mov_b32 s15, exec_lo
	v_cmpx_gt_u32_e32 8, v112
; %bb.918:                              ;   in Loop: Header=BB204_685 Depth=1
	s_delay_alu instid0(VALU_DEP_3) | instskip(NEXT) | instid1(VALU_DEP_1)
	v_clz_i32_u32_e32 v49, v6
	v_min_u32_e32 v49, 32, v49
	s_delay_alu instid0(VALU_DEP_1) | instskip(NEXT) | instid1(VALU_DEP_1)
	v_subrev_nc_u32_e32 v100, 28, v49
	v_lshlrev_b64_e32 v[100:101], v100, v[6:7]
	s_delay_alu instid0(VALU_DEP_1)
	v_dual_sub_nc_u32 v49, 29, v49 :: v_dual_bitop2_b32 v6, 7, v100 bitop3:0x40
; %bb.919:                              ;   in Loop: Header=BB204_685 Depth=1
	s_or_b32 exec_lo, exec_lo, s15
	s_delay_alu instid0(VALU_DEP_1) | instskip(NEXT) | instid1(VALU_DEP_2)
	v_dual_lshlrev_b32 v48, 24, v48 :: v_dual_lshlrev_b32 v6, 20, v6
	v_lshl_add_u32 v49, v49, 23, 0x3c000000
	v_mov_b32_e32 v100, v7
	s_delay_alu instid0(VALU_DEP_3) | instskip(NEXT) | instid1(VALU_DEP_1)
	v_and_b32_e32 v48, 0x80000000, v48
	v_or3_b32 v101, v6, v48, v49
.LBB204_920:                            ;   in Loop: Header=BB204_685 Depth=1
	s_or_b32 exec_lo, exec_lo, s14
.LBB204_921:                            ;   in Loop: Header=BB204_685 Depth=1
	s_delay_alu instid0(SALU_CYCLE_1)
	s_or_b32 exec_lo, exec_lo, s9
.LBB204_922:                            ;   in Loop: Header=BB204_685 Depth=1
	s_delay_alu instid0(SALU_CYCLE_1) | instskip(SKIP_4) | instid1(VALU_DEP_3)
	s_or_b32 exec_lo, exec_lo, s8
	v_or_b32_e32 v49, v97, v99
	v_or_b32_e32 v48, v96, v98
	;; [unrolled: 1-line block ×4, first 2 shown]
	v_pk_mul_f32 v[98:99], v[50:51], v[48:49]
	s_delay_alu instid0(VALU_DEP_2)
	v_pk_mul_f32 v[96:97], v[50:51], v[96:97]
	s_and_saveexec_b32 s8, vcc_lo
	s_cbranch_execz .LBB204_924
; %bb.923:                              ;   in Loop: Header=BB204_685 Depth=1
	v_cmp_lt_i32_e64 s0, v9, v16
	s_delay_alu instid0(VALU_DEP_1) | instskip(SKIP_1) | instid1(VALU_DEP_1)
	v_cndmask_b32_e64 v98, 0, v98, s0
	v_cmp_lt_i32_e64 s0, v27, v16
	v_cndmask_b32_e64 v99, 0, v99, s0
	v_cmp_lt_i32_e64 s0, v121, v16
	s_delay_alu instid0(VALU_DEP_1) | instskip(SKIP_1) | instid1(VALU_DEP_1)
	v_cndmask_b32_e64 v96, 0, v96, s0
	v_cmp_lt_i32_e64 s0, v120, v16
	v_cndmask_b32_e64 v97, 0, v97, s0
.LBB204_924:                            ;   in Loop: Header=BB204_685 Depth=1
	s_or_b32 exec_lo, exec_lo, s8
	flat_load_b32 v116, v[64:65] offset:896
	v_mov_b64_e32 v[100:101], 0
	v_mov_b64_e32 v[102:103], 0
	s_mov_b32 s8, exec_lo
	s_wait_loadcnt_dscnt 0x0
	v_and_b32_e32 v6, 0xff, v116
	s_wait_xcnt 0x0
	s_delay_alu instid0(VALU_DEP_1)
	v_cmpx_ne_u16_e32 0, v6
	s_cbranch_execz .LBB204_932
; %bb.925:                              ;   in Loop: Header=BB204_685 Depth=1
	v_mov_b64_e32 v[102:103], 0x80000000
	s_mov_b32 s9, exec_lo
	v_cmpx_ne_u16_e32 0x80, v6
	s_cbranch_execz .LBB204_931
; %bb.926:                              ;   in Loop: Header=BB204_685 Depth=1
	v_mov_b64_e32 v[102:103], 0x7f800001
	v_and_b32_e32 v49, 0x7f, v116
	s_mov_b32 s14, exec_lo
	s_delay_alu instid0(VALU_DEP_1)
	v_cmpx_ne_u32_e32 0x7f, v49
	s_cbranch_execz .LBB204_930
; %bb.927:                              ;   in Loop: Header=BB204_685 Depth=1
	v_dual_lshrrev_b32 v48, 3, v49 :: v_dual_bitop2_b32 v6, 7, v116 bitop3:0x40
	s_mov_b32 s15, exec_lo
	v_cmpx_gt_u32_e32 8, v49
; %bb.928:                              ;   in Loop: Header=BB204_685 Depth=1
	s_delay_alu instid0(VALU_DEP_2) | instskip(NEXT) | instid1(VALU_DEP_1)
	v_clz_i32_u32_e32 v48, v6
	v_min_u32_e32 v48, 32, v48
	s_delay_alu instid0(VALU_DEP_1) | instskip(NEXT) | instid1(VALU_DEP_1)
	v_subrev_nc_u32_e32 v49, 28, v48
	v_lshlrev_b64_e32 v[102:103], v49, v[6:7]
	s_delay_alu instid0(VALU_DEP_1)
	v_dual_sub_nc_u32 v48, 29, v48 :: v_dual_bitop2_b32 v6, 7, v102 bitop3:0x40
; %bb.929:                              ;   in Loop: Header=BB204_685 Depth=1
	s_or_b32 exec_lo, exec_lo, s15
	s_delay_alu instid0(VALU_DEP_1) | instskip(NEXT) | instid1(VALU_DEP_2)
	v_dual_lshlrev_b32 v49, 24, v116 :: v_dual_lshlrev_b32 v6, 20, v6
	v_lshl_add_u32 v48, v48, 23, 0x3c000000
	s_delay_alu instid0(VALU_DEP_2) | instskip(NEXT) | instid1(VALU_DEP_1)
	v_and_b32_e32 v49, 0x80000000, v49
	v_or3_b32 v6, v6, v49, v48
	s_delay_alu instid0(VALU_DEP_1)
	v_mov_b64_e32 v[102:103], v[6:7]
.LBB204_930:                            ;   in Loop: Header=BB204_685 Depth=1
	s_or_b32 exec_lo, exec_lo, s14
.LBB204_931:                            ;   in Loop: Header=BB204_685 Depth=1
	s_delay_alu instid0(SALU_CYCLE_1)
	s_or_b32 exec_lo, exec_lo, s9
.LBB204_932:                            ;   in Loop: Header=BB204_685 Depth=1
	s_delay_alu instid0(SALU_CYCLE_1) | instskip(SKIP_2) | instid1(VALU_DEP_1)
	s_or_b32 exec_lo, exec_lo, s8
	v_lshrrev_b16 v6, 8, v116
	s_mov_b32 s8, exec_lo
	v_cmpx_ne_u16_e32 0, v6
	s_cbranch_execz .LBB204_940
; %bb.933:                              ;   in Loop: Header=BB204_685 Depth=1
	v_mov_b64_e32 v[100:101], 0x8000000000000000
	s_mov_b32 s9, exec_lo
	v_cmpx_ne_u16_e32 0x80, v6
	s_cbranch_execz .LBB204_939
; %bb.934:                              ;   in Loop: Header=BB204_685 Depth=1
	v_and_b32_e32 v6, 0xffff, v6
	v_mov_b64_e32 v[100:101], 0x7f80000100000000
	s_mov_b32 s14, exec_lo
	s_delay_alu instid0(VALU_DEP_2) | instskip(NEXT) | instid1(VALU_DEP_1)
	v_and_b32_e32 v49, 0x7f, v6
	v_cmpx_ne_u32_e32 0x7f, v49
	s_cbranch_execz .LBB204_938
; %bb.935:                              ;   in Loop: Header=BB204_685 Depth=1
	v_dual_lshrrev_b32 v48, 3, v49 :: v_dual_bitop2_b32 v6, 7, v6 bitop3:0x40
	s_mov_b32 s15, exec_lo
	v_cmpx_gt_u32_e32 8, v49
; %bb.936:                              ;   in Loop: Header=BB204_685 Depth=1
	s_delay_alu instid0(VALU_DEP_2) | instskip(NEXT) | instid1(VALU_DEP_1)
	v_clz_i32_u32_e32 v48, v6
	v_min_u32_e32 v48, 32, v48
	s_delay_alu instid0(VALU_DEP_1) | instskip(SKIP_1) | instid1(VALU_DEP_2)
	v_subrev_nc_u32_e32 v49, 28, v48
	v_sub_nc_u32_e32 v48, 29, v48
	v_lshlrev_b64_e32 v[100:101], v49, v[6:7]
	s_delay_alu instid0(VALU_DEP_1)
	v_and_b32_e32 v6, 7, v100
; %bb.937:                              ;   in Loop: Header=BB204_685 Depth=1
	s_or_b32 exec_lo, exec_lo, s15
	s_delay_alu instid0(VALU_DEP_1) | instskip(SKIP_2) | instid1(VALU_DEP_3)
	v_dual_lshlrev_b32 v49, 16, v116 :: v_dual_lshlrev_b32 v6, 20, v6
	v_lshl_add_u32 v48, v48, 23, 0x3c000000
	v_mov_b32_e32 v100, v7
	v_and_b32_e32 v49, 0x80000000, v49
	s_delay_alu instid0(VALU_DEP_1)
	v_or3_b32 v101, v6, v49, v48
.LBB204_938:                            ;   in Loop: Header=BB204_685 Depth=1
	s_or_b32 exec_lo, exec_lo, s14
.LBB204_939:                            ;   in Loop: Header=BB204_685 Depth=1
	s_delay_alu instid0(SALU_CYCLE_1)
	s_or_b32 exec_lo, exec_lo, s9
.LBB204_940:                            ;   in Loop: Header=BB204_685 Depth=1
	s_delay_alu instid0(SALU_CYCLE_1) | instskip(SKIP_4) | instid1(VALU_DEP_3)
	s_or_b32 exec_lo, exec_lo, s8
	v_lshrrev_b32_e32 v48, 16, v116
	v_mov_b64_e32 v[112:113], 0
	v_mov_b64_e32 v[114:115], 0
	s_mov_b32 s8, exec_lo
	v_and_b32_e32 v6, 0xff, v48
	s_delay_alu instid0(VALU_DEP_1)
	v_cmpx_ne_u16_e32 0, v6
	s_cbranch_execz .LBB204_948
; %bb.941:                              ;   in Loop: Header=BB204_685 Depth=1
	v_mov_b64_e32 v[114:115], 0x80000000
	s_mov_b32 s9, exec_lo
	v_cmpx_ne_u16_e32 0x80, v6
	s_cbranch_execz .LBB204_947
; %bb.942:                              ;   in Loop: Header=BB204_685 Depth=1
	v_mov_b64_e32 v[114:115], 0x7f800001
	v_bfe_u32 v117, v116, 16, 7
	s_mov_b32 s14, exec_lo
	s_delay_alu instid0(VALU_DEP_1)
	v_cmpx_ne_u32_e32 0x7f, v117
	s_cbranch_execz .LBB204_946
; %bb.943:                              ;   in Loop: Header=BB204_685 Depth=1
	v_dual_lshrrev_b32 v49, 3, v117 :: v_dual_bitop2_b32 v6, 7, v48 bitop3:0x40
	s_mov_b32 s15, exec_lo
	v_cmpx_gt_u32_e32 8, v117
; %bb.944:                              ;   in Loop: Header=BB204_685 Depth=1
	s_delay_alu instid0(VALU_DEP_2) | instskip(NEXT) | instid1(VALU_DEP_1)
	v_clz_i32_u32_e32 v49, v6
	v_min_u32_e32 v49, 32, v49
	s_delay_alu instid0(VALU_DEP_1) | instskip(NEXT) | instid1(VALU_DEP_1)
	v_subrev_nc_u32_e32 v114, 28, v49
	v_lshlrev_b64_e32 v[114:115], v114, v[6:7]
	s_delay_alu instid0(VALU_DEP_1)
	v_dual_sub_nc_u32 v49, 29, v49 :: v_dual_bitop2_b32 v6, 7, v114 bitop3:0x40
; %bb.945:                              ;   in Loop: Header=BB204_685 Depth=1
	s_or_b32 exec_lo, exec_lo, s15
	s_delay_alu instid0(VALU_DEP_1) | instskip(NEXT) | instid1(VALU_DEP_2)
	v_dual_lshlrev_b32 v48, 24, v48 :: v_dual_lshlrev_b32 v6, 20, v6
	v_lshl_add_u32 v49, v49, 23, 0x3c000000
	s_delay_alu instid0(VALU_DEP_2) | instskip(NEXT) | instid1(VALU_DEP_1)
	v_and_b32_e32 v48, 0x80000000, v48
	v_or3_b32 v6, v6, v48, v49
	s_delay_alu instid0(VALU_DEP_1)
	v_mov_b64_e32 v[114:115], v[6:7]
.LBB204_946:                            ;   in Loop: Header=BB204_685 Depth=1
	s_or_b32 exec_lo, exec_lo, s14
.LBB204_947:                            ;   in Loop: Header=BB204_685 Depth=1
	s_delay_alu instid0(SALU_CYCLE_1)
	s_or_b32 exec_lo, exec_lo, s9
.LBB204_948:                            ;   in Loop: Header=BB204_685 Depth=1
	s_delay_alu instid0(SALU_CYCLE_1) | instskip(NEXT) | instid1(SALU_CYCLE_1)
	s_or_b32 exec_lo, exec_lo, s8
	s_mov_b32 s8, exec_lo
	v_cmpx_lt_u32_e32 0xffffff, v116
	s_cbranch_execz .LBB204_956
; %bb.949:                              ;   in Loop: Header=BB204_685 Depth=1
	v_mov_b64_e32 v[112:113], 0x8000000000000000
	v_lshrrev_b32_e32 v48, 24, v116
	s_mov_b32 s9, exec_lo
	s_delay_alu instid0(VALU_DEP_1)
	v_cmpx_ne_u32_e32 0x80, v48
	s_cbranch_execz .LBB204_955
; %bb.950:                              ;   in Loop: Header=BB204_685 Depth=1
	v_mov_b64_e32 v[112:113], 0x7f80000100000000
	v_bfe_u32 v116, v116, 24, 7
	s_mov_b32 s14, exec_lo
	s_delay_alu instid0(VALU_DEP_1)
	v_cmpx_ne_u32_e32 0x7f, v116
	s_cbranch_execz .LBB204_954
; %bb.951:                              ;   in Loop: Header=BB204_685 Depth=1
	v_and_b32_e32 v6, 7, v48
	v_lshrrev_b32_e32 v49, 3, v116
	s_mov_b32 s15, exec_lo
	v_cmpx_gt_u32_e32 8, v116
; %bb.952:                              ;   in Loop: Header=BB204_685 Depth=1
	s_delay_alu instid0(VALU_DEP_3) | instskip(NEXT) | instid1(VALU_DEP_1)
	v_clz_i32_u32_e32 v49, v6
	v_min_u32_e32 v49, 32, v49
	s_delay_alu instid0(VALU_DEP_1) | instskip(NEXT) | instid1(VALU_DEP_1)
	v_subrev_nc_u32_e32 v112, 28, v49
	v_lshlrev_b64_e32 v[112:113], v112, v[6:7]
	s_delay_alu instid0(VALU_DEP_1)
	v_dual_sub_nc_u32 v49, 29, v49 :: v_dual_bitop2_b32 v6, 7, v112 bitop3:0x40
; %bb.953:                              ;   in Loop: Header=BB204_685 Depth=1
	s_or_b32 exec_lo, exec_lo, s15
	s_delay_alu instid0(VALU_DEP_1) | instskip(NEXT) | instid1(VALU_DEP_2)
	v_dual_lshlrev_b32 v48, 24, v48 :: v_dual_lshlrev_b32 v6, 20, v6
	v_lshl_add_u32 v49, v49, 23, 0x3c000000
	v_mov_b32_e32 v112, v7
	s_delay_alu instid0(VALU_DEP_3) | instskip(NEXT) | instid1(VALU_DEP_1)
	v_and_b32_e32 v48, 0x80000000, v48
	v_or3_b32 v113, v6, v48, v49
.LBB204_954:                            ;   in Loop: Header=BB204_685 Depth=1
	s_or_b32 exec_lo, exec_lo, s14
.LBB204_955:                            ;   in Loop: Header=BB204_685 Depth=1
	s_delay_alu instid0(SALU_CYCLE_1)
	s_or_b32 exec_lo, exec_lo, s9
.LBB204_956:                            ;   in Loop: Header=BB204_685 Depth=1
	s_delay_alu instid0(SALU_CYCLE_1) | instskip(SKIP_4) | instid1(VALU_DEP_3)
	s_or_b32 exec_lo, exec_lo, s8
	v_or_b32_e32 v49, v101, v103
	v_or_b32_e32 v48, v100, v102
	;; [unrolled: 1-line block ×4, first 2 shown]
	v_pk_mul_f32 v[102:103], v[50:51], v[48:49]
	s_delay_alu instid0(VALU_DEP_2)
	v_pk_mul_f32 v[100:101], v[50:51], v[100:101]
	s_and_saveexec_b32 s8, vcc_lo
	s_cbranch_execz .LBB204_958
; %bb.957:                              ;   in Loop: Header=BB204_685 Depth=1
	v_cmp_lt_i32_e64 s0, v9, v16
	s_delay_alu instid0(VALU_DEP_1) | instskip(SKIP_1) | instid1(VALU_DEP_1)
	v_cndmask_b32_e64 v102, 0, v102, s0
	v_cmp_lt_i32_e64 s0, v27, v16
	v_cndmask_b32_e64 v103, 0, v103, s0
	v_cmp_lt_i32_e64 s0, v121, v16
	s_delay_alu instid0(VALU_DEP_1) | instskip(SKIP_1) | instid1(VALU_DEP_1)
	v_cndmask_b32_e64 v100, 0, v100, s0
	v_cmp_lt_i32_e64 s0, v120, v16
	v_cndmask_b32_e64 v101, 0, v101, s0
.LBB204_958:                            ;   in Loop: Header=BB204_685 Depth=1
	s_or_b32 exec_lo, exec_lo, s8
	flat_load_b32 v40, v[64:65] offset:1024
	v_mov_b64_e32 v[112:113], 0
	v_mov_b64_e32 v[114:115], 0
	s_mov_b32 s8, exec_lo
	s_wait_loadcnt_dscnt 0x0
	v_and_b32_e32 v6, 0xff, v40
	s_wait_xcnt 0x0
	s_delay_alu instid0(VALU_DEP_1)
	v_cmpx_ne_u16_e32 0, v6
	s_cbranch_execz .LBB204_966
; %bb.959:                              ;   in Loop: Header=BB204_685 Depth=1
	v_mov_b64_e32 v[114:115], 0x80000000
	s_mov_b32 s9, exec_lo
	v_cmpx_ne_u16_e32 0x80, v6
	s_cbranch_execz .LBB204_965
; %bb.960:                              ;   in Loop: Header=BB204_685 Depth=1
	v_mov_b64_e32 v[114:115], 0x7f800001
	v_and_b32_e32 v49, 0x7f, v40
	s_mov_b32 s14, exec_lo
	s_delay_alu instid0(VALU_DEP_1)
	v_cmpx_ne_u32_e32 0x7f, v49
	s_cbranch_execz .LBB204_964
; %bb.961:                              ;   in Loop: Header=BB204_685 Depth=1
	v_dual_lshrrev_b32 v48, 3, v49 :: v_dual_bitop2_b32 v6, 7, v40 bitop3:0x40
	s_mov_b32 s15, exec_lo
	v_cmpx_gt_u32_e32 8, v49
; %bb.962:                              ;   in Loop: Header=BB204_685 Depth=1
	s_delay_alu instid0(VALU_DEP_2) | instskip(NEXT) | instid1(VALU_DEP_1)
	v_clz_i32_u32_e32 v48, v6
	v_min_u32_e32 v48, 32, v48
	s_delay_alu instid0(VALU_DEP_1) | instskip(NEXT) | instid1(VALU_DEP_1)
	v_subrev_nc_u32_e32 v49, 28, v48
	v_lshlrev_b64_e32 v[114:115], v49, v[6:7]
	s_delay_alu instid0(VALU_DEP_1)
	v_dual_sub_nc_u32 v48, 29, v48 :: v_dual_bitop2_b32 v6, 7, v114 bitop3:0x40
; %bb.963:                              ;   in Loop: Header=BB204_685 Depth=1
	s_or_b32 exec_lo, exec_lo, s15
	s_delay_alu instid0(VALU_DEP_1) | instskip(NEXT) | instid1(VALU_DEP_2)
	v_dual_lshlrev_b32 v49, 24, v40 :: v_dual_lshlrev_b32 v6, 20, v6
	v_lshl_add_u32 v48, v48, 23, 0x3c000000
	s_delay_alu instid0(VALU_DEP_2) | instskip(NEXT) | instid1(VALU_DEP_1)
	v_and_b32_e32 v49, 0x80000000, v49
	v_or3_b32 v6, v6, v49, v48
	s_delay_alu instid0(VALU_DEP_1)
	v_mov_b64_e32 v[114:115], v[6:7]
.LBB204_964:                            ;   in Loop: Header=BB204_685 Depth=1
	s_or_b32 exec_lo, exec_lo, s14
.LBB204_965:                            ;   in Loop: Header=BB204_685 Depth=1
	s_delay_alu instid0(SALU_CYCLE_1)
	s_or_b32 exec_lo, exec_lo, s9
.LBB204_966:                            ;   in Loop: Header=BB204_685 Depth=1
	s_delay_alu instid0(SALU_CYCLE_1) | instskip(SKIP_2) | instid1(VALU_DEP_1)
	s_or_b32 exec_lo, exec_lo, s8
	v_lshrrev_b16 v6, 8, v40
	s_mov_b32 s8, exec_lo
	v_cmpx_ne_u16_e32 0, v6
	s_cbranch_execz .LBB204_974
; %bb.967:                              ;   in Loop: Header=BB204_685 Depth=1
	v_mov_b64_e32 v[112:113], 0x8000000000000000
	s_mov_b32 s9, exec_lo
	v_cmpx_ne_u16_e32 0x80, v6
	s_cbranch_execz .LBB204_973
; %bb.968:                              ;   in Loop: Header=BB204_685 Depth=1
	v_and_b32_e32 v6, 0xffff, v6
	v_mov_b64_e32 v[112:113], 0x7f80000100000000
	s_mov_b32 s14, exec_lo
	s_delay_alu instid0(VALU_DEP_2) | instskip(NEXT) | instid1(VALU_DEP_1)
	v_and_b32_e32 v49, 0x7f, v6
	v_cmpx_ne_u32_e32 0x7f, v49
	s_cbranch_execz .LBB204_972
; %bb.969:                              ;   in Loop: Header=BB204_685 Depth=1
	v_dual_lshrrev_b32 v48, 3, v49 :: v_dual_bitop2_b32 v6, 7, v6 bitop3:0x40
	s_mov_b32 s15, exec_lo
	v_cmpx_gt_u32_e32 8, v49
; %bb.970:                              ;   in Loop: Header=BB204_685 Depth=1
	s_delay_alu instid0(VALU_DEP_2) | instskip(NEXT) | instid1(VALU_DEP_1)
	v_clz_i32_u32_e32 v48, v6
	v_min_u32_e32 v48, 32, v48
	s_delay_alu instid0(VALU_DEP_1) | instskip(SKIP_1) | instid1(VALU_DEP_2)
	v_subrev_nc_u32_e32 v49, 28, v48
	v_sub_nc_u32_e32 v48, 29, v48
	v_lshlrev_b64_e32 v[112:113], v49, v[6:7]
	s_delay_alu instid0(VALU_DEP_1)
	v_and_b32_e32 v6, 7, v112
; %bb.971:                              ;   in Loop: Header=BB204_685 Depth=1
	s_or_b32 exec_lo, exec_lo, s15
	s_delay_alu instid0(VALU_DEP_1) | instskip(SKIP_2) | instid1(VALU_DEP_3)
	v_dual_lshlrev_b32 v49, 16, v40 :: v_dual_lshlrev_b32 v6, 20, v6
	v_lshl_add_u32 v48, v48, 23, 0x3c000000
	v_mov_b32_e32 v112, v7
	v_and_b32_e32 v49, 0x80000000, v49
	s_delay_alu instid0(VALU_DEP_1)
	v_or3_b32 v113, v6, v49, v48
.LBB204_972:                            ;   in Loop: Header=BB204_685 Depth=1
	s_or_b32 exec_lo, exec_lo, s14
.LBB204_973:                            ;   in Loop: Header=BB204_685 Depth=1
	s_delay_alu instid0(SALU_CYCLE_1)
	s_or_b32 exec_lo, exec_lo, s9
.LBB204_974:                            ;   in Loop: Header=BB204_685 Depth=1
	s_delay_alu instid0(SALU_CYCLE_1) | instskip(SKIP_4) | instid1(VALU_DEP_3)
	s_or_b32 exec_lo, exec_lo, s8
	v_lshrrev_b32_e32 v48, 16, v40
	v_mov_b64_e32 v[116:117], 0
	v_mov_b64_e32 v[118:119], 0
	s_mov_b32 s8, exec_lo
	v_and_b32_e32 v6, 0xff, v48
	s_delay_alu instid0(VALU_DEP_1)
	v_cmpx_ne_u16_e32 0, v6
	s_cbranch_execz .LBB204_982
; %bb.975:                              ;   in Loop: Header=BB204_685 Depth=1
	v_mov_b64_e32 v[118:119], 0x80000000
	s_mov_b32 s9, exec_lo
	v_cmpx_ne_u16_e32 0x80, v6
	s_cbranch_execz .LBB204_981
; %bb.976:                              ;   in Loop: Header=BB204_685 Depth=1
	v_mov_b64_e32 v[118:119], 0x7f800001
	v_bfe_u32 v41, v40, 16, 7
	s_mov_b32 s14, exec_lo
	s_delay_alu instid0(VALU_DEP_1)
	v_cmpx_ne_u32_e32 0x7f, v41
	s_cbranch_execz .LBB204_980
; %bb.977:                              ;   in Loop: Header=BB204_685 Depth=1
	v_dual_lshrrev_b32 v49, 3, v41 :: v_dual_bitop2_b32 v6, 7, v48 bitop3:0x40
	s_mov_b32 s15, exec_lo
	v_cmpx_gt_u32_e32 8, v41
; %bb.978:                              ;   in Loop: Header=BB204_685 Depth=1
	s_delay_alu instid0(VALU_DEP_2) | instskip(NEXT) | instid1(VALU_DEP_1)
	v_clz_i32_u32_e32 v49, v6
	v_min_u32_e32 v49, 32, v49
	s_delay_alu instid0(VALU_DEP_1) | instskip(NEXT) | instid1(VALU_DEP_1)
	v_subrev_nc_u32_e32 v118, 28, v49
	v_lshlrev_b64_e32 v[118:119], v118, v[6:7]
	s_delay_alu instid0(VALU_DEP_1)
	v_dual_sub_nc_u32 v49, 29, v49 :: v_dual_bitop2_b32 v6, 7, v118 bitop3:0x40
; %bb.979:                              ;   in Loop: Header=BB204_685 Depth=1
	s_or_b32 exec_lo, exec_lo, s15
	s_delay_alu instid0(VALU_DEP_1) | instskip(NEXT) | instid1(VALU_DEP_2)
	v_dual_lshlrev_b32 v48, 24, v48 :: v_dual_lshlrev_b32 v6, 20, v6
	v_lshl_add_u32 v49, v49, 23, 0x3c000000
	s_delay_alu instid0(VALU_DEP_2) | instskip(NEXT) | instid1(VALU_DEP_1)
	v_and_b32_e32 v48, 0x80000000, v48
	v_or3_b32 v6, v6, v48, v49
	s_delay_alu instid0(VALU_DEP_1)
	v_mov_b64_e32 v[118:119], v[6:7]
.LBB204_980:                            ;   in Loop: Header=BB204_685 Depth=1
	s_or_b32 exec_lo, exec_lo, s14
.LBB204_981:                            ;   in Loop: Header=BB204_685 Depth=1
	s_delay_alu instid0(SALU_CYCLE_1)
	s_or_b32 exec_lo, exec_lo, s9
.LBB204_982:                            ;   in Loop: Header=BB204_685 Depth=1
	s_delay_alu instid0(SALU_CYCLE_1) | instskip(NEXT) | instid1(SALU_CYCLE_1)
	s_or_b32 exec_lo, exec_lo, s8
	s_mov_b32 s8, exec_lo
	v_cmpx_lt_u32_e32 0xffffff, v40
	s_cbranch_execz .LBB204_990
; %bb.983:                              ;   in Loop: Header=BB204_685 Depth=1
	v_mov_b64_e32 v[116:117], 0x8000000000000000
	v_lshrrev_b32_e32 v48, 24, v40
	s_mov_b32 s9, exec_lo
	s_delay_alu instid0(VALU_DEP_1)
	v_cmpx_ne_u32_e32 0x80, v48
	s_cbranch_execz .LBB204_989
; %bb.984:                              ;   in Loop: Header=BB204_685 Depth=1
	v_mov_b64_e32 v[116:117], 0x7f80000100000000
	v_bfe_u32 v40, v40, 24, 7
	s_mov_b32 s14, exec_lo
	s_delay_alu instid0(VALU_DEP_1)
	v_cmpx_ne_u32_e32 0x7f, v40
	s_cbranch_execz .LBB204_988
; %bb.985:                              ;   in Loop: Header=BB204_685 Depth=1
	v_and_b32_e32 v6, 7, v48
	v_lshrrev_b32_e32 v49, 3, v40
	s_mov_b32 s15, exec_lo
	v_cmpx_gt_u32_e32 8, v40
; %bb.986:                              ;   in Loop: Header=BB204_685 Depth=1
	s_delay_alu instid0(VALU_DEP_3) | instskip(NEXT) | instid1(VALU_DEP_1)
	v_clz_i32_u32_e32 v49, v6
	v_min_u32_e32 v49, 32, v49
	s_delay_alu instid0(VALU_DEP_1) | instskip(NEXT) | instid1(VALU_DEP_1)
	v_subrev_nc_u32_e32 v116, 28, v49
	v_lshlrev_b64_e32 v[116:117], v116, v[6:7]
	s_delay_alu instid0(VALU_DEP_1)
	v_dual_sub_nc_u32 v49, 29, v49 :: v_dual_bitop2_b32 v6, 7, v116 bitop3:0x40
; %bb.987:                              ;   in Loop: Header=BB204_685 Depth=1
	s_or_b32 exec_lo, exec_lo, s15
	s_delay_alu instid0(VALU_DEP_1) | instskip(NEXT) | instid1(VALU_DEP_2)
	v_dual_lshlrev_b32 v48, 24, v48 :: v_dual_lshlrev_b32 v6, 20, v6
	v_lshl_add_u32 v49, v49, 23, 0x3c000000
	v_mov_b32_e32 v116, v7
	s_delay_alu instid0(VALU_DEP_3) | instskip(NEXT) | instid1(VALU_DEP_1)
	v_and_b32_e32 v48, 0x80000000, v48
	v_or3_b32 v117, v6, v48, v49
.LBB204_988:                            ;   in Loop: Header=BB204_685 Depth=1
	s_or_b32 exec_lo, exec_lo, s14
.LBB204_989:                            ;   in Loop: Header=BB204_685 Depth=1
	s_delay_alu instid0(SALU_CYCLE_1)
	s_or_b32 exec_lo, exec_lo, s9
.LBB204_990:                            ;   in Loop: Header=BB204_685 Depth=1
	s_delay_alu instid0(SALU_CYCLE_1) | instskip(SKIP_4) | instid1(VALU_DEP_3)
	s_or_b32 exec_lo, exec_lo, s8
	v_or_b32_e32 v49, v113, v115
	v_or_b32_e32 v48, v112, v114
	;; [unrolled: 1-line block ×4, first 2 shown]
	v_pk_mul_f32 v[114:115], v[50:51], v[48:49]
	s_delay_alu instid0(VALU_DEP_2)
	v_pk_mul_f32 v[112:113], v[50:51], v[112:113]
	s_and_saveexec_b32 s8, vcc_lo
	s_cbranch_execz .LBB204_992
; %bb.991:                              ;   in Loop: Header=BB204_685 Depth=1
	v_cmp_lt_i32_e64 s0, v9, v16
	s_delay_alu instid0(VALU_DEP_1) | instskip(SKIP_1) | instid1(VALU_DEP_1)
	v_cndmask_b32_e64 v114, 0, v114, s0
	v_cmp_lt_i32_e64 s0, v27, v16
	v_cndmask_b32_e64 v115, 0, v115, s0
	v_cmp_lt_i32_e64 s0, v121, v16
	s_delay_alu instid0(VALU_DEP_1) | instskip(SKIP_1) | instid1(VALU_DEP_1)
	v_cndmask_b32_e64 v112, 0, v112, s0
	v_cmp_lt_i32_e64 s0, v120, v16
	v_cndmask_b32_e64 v113, 0, v113, s0
.LBB204_992:                            ;   in Loop: Header=BB204_685 Depth=1
	s_or_b32 exec_lo, exec_lo, s8
	flat_load_b32 v44, v[64:65] offset:1152
	v_mov_b64_e32 v[116:117], 0
	v_mov_b64_e32 v[118:119], 0
	s_mov_b32 s8, exec_lo
	s_wait_loadcnt_dscnt 0x0
	v_and_b32_e32 v6, 0xff, v44
	s_wait_xcnt 0x0
	s_delay_alu instid0(VALU_DEP_1)
	v_cmpx_ne_u16_e32 0, v6
	s_cbranch_execz .LBB204_1000
; %bb.993:                              ;   in Loop: Header=BB204_685 Depth=1
	v_mov_b64_e32 v[118:119], 0x80000000
	s_mov_b32 s9, exec_lo
	v_cmpx_ne_u16_e32 0x80, v6
	s_cbranch_execz .LBB204_999
; %bb.994:                              ;   in Loop: Header=BB204_685 Depth=1
	v_mov_b64_e32 v[118:119], 0x7f800001
	v_and_b32_e32 v49, 0x7f, v44
	s_mov_b32 s14, exec_lo
	s_delay_alu instid0(VALU_DEP_1)
	v_cmpx_ne_u32_e32 0x7f, v49
	s_cbranch_execz .LBB204_998
; %bb.995:                              ;   in Loop: Header=BB204_685 Depth=1
	v_dual_lshrrev_b32 v48, 3, v49 :: v_dual_bitop2_b32 v6, 7, v44 bitop3:0x40
	s_mov_b32 s15, exec_lo
	v_cmpx_gt_u32_e32 8, v49
; %bb.996:                              ;   in Loop: Header=BB204_685 Depth=1
	s_delay_alu instid0(VALU_DEP_2) | instskip(NEXT) | instid1(VALU_DEP_1)
	v_clz_i32_u32_e32 v48, v6
	v_min_u32_e32 v48, 32, v48
	s_delay_alu instid0(VALU_DEP_1) | instskip(NEXT) | instid1(VALU_DEP_1)
	v_subrev_nc_u32_e32 v49, 28, v48
	v_lshlrev_b64_e32 v[118:119], v49, v[6:7]
	s_delay_alu instid0(VALU_DEP_1)
	v_dual_sub_nc_u32 v48, 29, v48 :: v_dual_bitop2_b32 v6, 7, v118 bitop3:0x40
; %bb.997:                              ;   in Loop: Header=BB204_685 Depth=1
	s_or_b32 exec_lo, exec_lo, s15
	s_delay_alu instid0(VALU_DEP_1) | instskip(NEXT) | instid1(VALU_DEP_2)
	v_dual_lshlrev_b32 v49, 24, v44 :: v_dual_lshlrev_b32 v6, 20, v6
	v_lshl_add_u32 v48, v48, 23, 0x3c000000
	s_delay_alu instid0(VALU_DEP_2) | instskip(NEXT) | instid1(VALU_DEP_1)
	v_and_b32_e32 v49, 0x80000000, v49
	v_or3_b32 v6, v6, v49, v48
	s_delay_alu instid0(VALU_DEP_1)
	v_mov_b64_e32 v[118:119], v[6:7]
.LBB204_998:                            ;   in Loop: Header=BB204_685 Depth=1
	s_or_b32 exec_lo, exec_lo, s14
.LBB204_999:                            ;   in Loop: Header=BB204_685 Depth=1
	s_delay_alu instid0(SALU_CYCLE_1)
	s_or_b32 exec_lo, exec_lo, s9
.LBB204_1000:                           ;   in Loop: Header=BB204_685 Depth=1
	s_delay_alu instid0(SALU_CYCLE_1) | instskip(SKIP_2) | instid1(VALU_DEP_1)
	s_or_b32 exec_lo, exec_lo, s8
	v_lshrrev_b16 v6, 8, v44
	s_mov_b32 s8, exec_lo
	v_cmpx_ne_u16_e32 0, v6
	s_cbranch_execz .LBB204_1008
; %bb.1001:                             ;   in Loop: Header=BB204_685 Depth=1
	v_mov_b64_e32 v[116:117], 0x8000000000000000
	s_mov_b32 s9, exec_lo
	v_cmpx_ne_u16_e32 0x80, v6
	s_cbranch_execz .LBB204_1007
; %bb.1002:                             ;   in Loop: Header=BB204_685 Depth=1
	v_and_b32_e32 v6, 0xffff, v6
	v_mov_b64_e32 v[116:117], 0x7f80000100000000
	s_mov_b32 s14, exec_lo
	s_delay_alu instid0(VALU_DEP_2) | instskip(NEXT) | instid1(VALU_DEP_1)
	v_and_b32_e32 v49, 0x7f, v6
	v_cmpx_ne_u32_e32 0x7f, v49
	s_cbranch_execz .LBB204_1006
; %bb.1003:                             ;   in Loop: Header=BB204_685 Depth=1
	v_dual_lshrrev_b32 v48, 3, v49 :: v_dual_bitop2_b32 v6, 7, v6 bitop3:0x40
	s_mov_b32 s15, exec_lo
	v_cmpx_gt_u32_e32 8, v49
; %bb.1004:                             ;   in Loop: Header=BB204_685 Depth=1
	s_delay_alu instid0(VALU_DEP_2) | instskip(NEXT) | instid1(VALU_DEP_1)
	v_clz_i32_u32_e32 v48, v6
	v_min_u32_e32 v48, 32, v48
	s_delay_alu instid0(VALU_DEP_1) | instskip(SKIP_1) | instid1(VALU_DEP_2)
	v_subrev_nc_u32_e32 v49, 28, v48
	v_sub_nc_u32_e32 v48, 29, v48
	v_lshlrev_b64_e32 v[116:117], v49, v[6:7]
	s_delay_alu instid0(VALU_DEP_1)
	v_and_b32_e32 v6, 7, v116
; %bb.1005:                             ;   in Loop: Header=BB204_685 Depth=1
	s_or_b32 exec_lo, exec_lo, s15
	s_delay_alu instid0(VALU_DEP_1) | instskip(SKIP_2) | instid1(VALU_DEP_3)
	v_dual_lshlrev_b32 v49, 16, v44 :: v_dual_lshlrev_b32 v6, 20, v6
	v_lshl_add_u32 v48, v48, 23, 0x3c000000
	v_mov_b32_e32 v116, v7
	v_and_b32_e32 v49, 0x80000000, v49
	s_delay_alu instid0(VALU_DEP_1)
	v_or3_b32 v117, v6, v49, v48
.LBB204_1006:                           ;   in Loop: Header=BB204_685 Depth=1
	s_or_b32 exec_lo, exec_lo, s14
.LBB204_1007:                           ;   in Loop: Header=BB204_685 Depth=1
	s_delay_alu instid0(SALU_CYCLE_1)
	s_or_b32 exec_lo, exec_lo, s9
.LBB204_1008:                           ;   in Loop: Header=BB204_685 Depth=1
	s_delay_alu instid0(SALU_CYCLE_1) | instskip(SKIP_4) | instid1(VALU_DEP_3)
	s_or_b32 exec_lo, exec_lo, s8
	v_lshrrev_b32_e32 v48, 16, v44
	v_mov_b64_e32 v[40:41], 0
	v_mov_b64_e32 v[42:43], 0
	s_mov_b32 s8, exec_lo
	v_and_b32_e32 v6, 0xff, v48
	s_delay_alu instid0(VALU_DEP_1)
	v_cmpx_ne_u16_e32 0, v6
	s_cbranch_execz .LBB204_1016
; %bb.1009:                             ;   in Loop: Header=BB204_685 Depth=1
	v_mov_b64_e32 v[42:43], 0x80000000
	s_mov_b32 s9, exec_lo
	v_cmpx_ne_u16_e32 0x80, v6
	s_cbranch_execz .LBB204_1015
; %bb.1010:                             ;   in Loop: Header=BB204_685 Depth=1
	v_mov_b64_e32 v[42:43], 0x7f800001
	v_bfe_u32 v45, v44, 16, 7
	s_mov_b32 s14, exec_lo
	s_delay_alu instid0(VALU_DEP_1)
	v_cmpx_ne_u32_e32 0x7f, v45
	s_cbranch_execz .LBB204_1014
; %bb.1011:                             ;   in Loop: Header=BB204_685 Depth=1
	v_dual_lshrrev_b32 v49, 3, v45 :: v_dual_bitop2_b32 v6, 7, v48 bitop3:0x40
	s_mov_b32 s15, exec_lo
	v_cmpx_gt_u32_e32 8, v45
; %bb.1012:                             ;   in Loop: Header=BB204_685 Depth=1
	s_delay_alu instid0(VALU_DEP_2) | instskip(NEXT) | instid1(VALU_DEP_1)
	v_clz_i32_u32_e32 v49, v6
	v_min_u32_e32 v49, 32, v49
	s_delay_alu instid0(VALU_DEP_1) | instskip(NEXT) | instid1(VALU_DEP_1)
	v_subrev_nc_u32_e32 v42, 28, v49
	v_lshlrev_b64_e32 v[42:43], v42, v[6:7]
	s_delay_alu instid0(VALU_DEP_1)
	v_dual_sub_nc_u32 v49, 29, v49 :: v_dual_bitop2_b32 v6, 7, v42 bitop3:0x40
; %bb.1013:                             ;   in Loop: Header=BB204_685 Depth=1
	s_or_b32 exec_lo, exec_lo, s15
	s_delay_alu instid0(VALU_DEP_1) | instskip(NEXT) | instid1(VALU_DEP_2)
	v_dual_lshlrev_b32 v48, 24, v48 :: v_dual_lshlrev_b32 v6, 20, v6
	v_lshl_add_u32 v49, v49, 23, 0x3c000000
	s_delay_alu instid0(VALU_DEP_2) | instskip(NEXT) | instid1(VALU_DEP_1)
	v_and_b32_e32 v48, 0x80000000, v48
	v_or3_b32 v6, v6, v48, v49
	s_delay_alu instid0(VALU_DEP_1)
	v_mov_b64_e32 v[42:43], v[6:7]
.LBB204_1014:                           ;   in Loop: Header=BB204_685 Depth=1
	s_or_b32 exec_lo, exec_lo, s14
.LBB204_1015:                           ;   in Loop: Header=BB204_685 Depth=1
	s_delay_alu instid0(SALU_CYCLE_1)
	s_or_b32 exec_lo, exec_lo, s9
.LBB204_1016:                           ;   in Loop: Header=BB204_685 Depth=1
	s_delay_alu instid0(SALU_CYCLE_1) | instskip(NEXT) | instid1(SALU_CYCLE_1)
	s_or_b32 exec_lo, exec_lo, s8
	s_mov_b32 s8, exec_lo
	v_cmpx_lt_u32_e32 0xffffff, v44
	s_cbranch_execz .LBB204_1024
; %bb.1017:                             ;   in Loop: Header=BB204_685 Depth=1
	v_mov_b64_e32 v[40:41], 0x8000000000000000
	v_lshrrev_b32_e32 v48, 24, v44
	s_mov_b32 s9, exec_lo
	s_delay_alu instid0(VALU_DEP_1)
	v_cmpx_ne_u32_e32 0x80, v48
	s_cbranch_execz .LBB204_1023
; %bb.1018:                             ;   in Loop: Header=BB204_685 Depth=1
	v_mov_b64_e32 v[40:41], 0x7f80000100000000
	v_bfe_u32 v44, v44, 24, 7
	s_mov_b32 s14, exec_lo
	s_delay_alu instid0(VALU_DEP_1)
	v_cmpx_ne_u32_e32 0x7f, v44
	s_cbranch_execz .LBB204_1022
; %bb.1019:                             ;   in Loop: Header=BB204_685 Depth=1
	v_and_b32_e32 v6, 7, v48
	v_lshrrev_b32_e32 v49, 3, v44
	s_mov_b32 s15, exec_lo
	v_cmpx_gt_u32_e32 8, v44
; %bb.1020:                             ;   in Loop: Header=BB204_685 Depth=1
	s_delay_alu instid0(VALU_DEP_3) | instskip(NEXT) | instid1(VALU_DEP_1)
	v_clz_i32_u32_e32 v49, v6
	v_min_u32_e32 v49, 32, v49
	s_delay_alu instid0(VALU_DEP_1) | instskip(NEXT) | instid1(VALU_DEP_1)
	v_subrev_nc_u32_e32 v40, 28, v49
	v_lshlrev_b64_e32 v[40:41], v40, v[6:7]
	s_delay_alu instid0(VALU_DEP_1)
	v_dual_sub_nc_u32 v49, 29, v49 :: v_dual_bitop2_b32 v6, 7, v40 bitop3:0x40
; %bb.1021:                             ;   in Loop: Header=BB204_685 Depth=1
	s_or_b32 exec_lo, exec_lo, s15
	s_delay_alu instid0(VALU_DEP_1) | instskip(NEXT) | instid1(VALU_DEP_2)
	v_dual_lshlrev_b32 v48, 24, v48 :: v_dual_lshlrev_b32 v6, 20, v6
	v_lshl_add_u32 v49, v49, 23, 0x3c000000
	v_mov_b32_e32 v40, v7
	s_delay_alu instid0(VALU_DEP_3) | instskip(NEXT) | instid1(VALU_DEP_1)
	v_and_b32_e32 v48, 0x80000000, v48
	v_or3_b32 v41, v6, v48, v49
.LBB204_1022:                           ;   in Loop: Header=BB204_685 Depth=1
	s_or_b32 exec_lo, exec_lo, s14
.LBB204_1023:                           ;   in Loop: Header=BB204_685 Depth=1
	s_delay_alu instid0(SALU_CYCLE_1)
	s_or_b32 exec_lo, exec_lo, s9
.LBB204_1024:                           ;   in Loop: Header=BB204_685 Depth=1
	s_delay_alu instid0(SALU_CYCLE_1) | instskip(SKIP_4) | instid1(VALU_DEP_3)
	s_or_b32 exec_lo, exec_lo, s8
	v_or_b32_e32 v49, v117, v119
	v_or_b32_e32 v48, v116, v118
	;; [unrolled: 1-line block ×4, first 2 shown]
	v_pk_mul_f32 v[118:119], v[50:51], v[48:49]
	s_delay_alu instid0(VALU_DEP_2)
	v_pk_mul_f32 v[116:117], v[50:51], v[116:117]
	s_and_saveexec_b32 s8, vcc_lo
	s_cbranch_execz .LBB204_1026
; %bb.1025:                             ;   in Loop: Header=BB204_685 Depth=1
	v_cmp_lt_i32_e64 s0, v9, v16
	s_delay_alu instid0(VALU_DEP_1) | instskip(SKIP_1) | instid1(VALU_DEP_1)
	v_cndmask_b32_e64 v118, 0, v118, s0
	v_cmp_lt_i32_e64 s0, v27, v16
	v_cndmask_b32_e64 v119, 0, v119, s0
	v_cmp_lt_i32_e64 s0, v121, v16
	s_delay_alu instid0(VALU_DEP_1) | instskip(SKIP_1) | instid1(VALU_DEP_1)
	v_cndmask_b32_e64 v116, 0, v116, s0
	v_cmp_lt_i32_e64 s0, v120, v16
	v_cndmask_b32_e64 v117, 0, v117, s0
.LBB204_1026:                           ;   in Loop: Header=BB204_685 Depth=1
	s_or_b32 exec_lo, exec_lo, s8
	flat_load_b32 v56, v[64:65] offset:1280
	v_mov_b64_e32 v[40:41], 0
	v_mov_b64_e32 v[42:43], 0
	s_mov_b32 s8, exec_lo
	s_wait_loadcnt_dscnt 0x0
	v_and_b32_e32 v6, 0xff, v56
	s_wait_xcnt 0x0
	s_delay_alu instid0(VALU_DEP_1)
	v_cmpx_ne_u16_e32 0, v6
	s_cbranch_execz .LBB204_1034
; %bb.1027:                             ;   in Loop: Header=BB204_685 Depth=1
	v_mov_b64_e32 v[42:43], 0x80000000
	s_mov_b32 s9, exec_lo
	v_cmpx_ne_u16_e32 0x80, v6
	s_cbranch_execz .LBB204_1033
; %bb.1028:                             ;   in Loop: Header=BB204_685 Depth=1
	v_mov_b64_e32 v[42:43], 0x7f800001
	v_and_b32_e32 v49, 0x7f, v56
	s_mov_b32 s14, exec_lo
	s_delay_alu instid0(VALU_DEP_1)
	v_cmpx_ne_u32_e32 0x7f, v49
	s_cbranch_execz .LBB204_1032
; %bb.1029:                             ;   in Loop: Header=BB204_685 Depth=1
	v_dual_lshrrev_b32 v48, 3, v49 :: v_dual_bitop2_b32 v6, 7, v56 bitop3:0x40
	s_mov_b32 s15, exec_lo
	v_cmpx_gt_u32_e32 8, v49
; %bb.1030:                             ;   in Loop: Header=BB204_685 Depth=1
	s_delay_alu instid0(VALU_DEP_2) | instskip(NEXT) | instid1(VALU_DEP_1)
	v_clz_i32_u32_e32 v48, v6
	v_min_u32_e32 v48, 32, v48
	s_delay_alu instid0(VALU_DEP_1) | instskip(NEXT) | instid1(VALU_DEP_1)
	v_subrev_nc_u32_e32 v49, 28, v48
	v_lshlrev_b64_e32 v[42:43], v49, v[6:7]
	s_delay_alu instid0(VALU_DEP_1)
	v_dual_sub_nc_u32 v48, 29, v48 :: v_dual_bitop2_b32 v6, 7, v42 bitop3:0x40
; %bb.1031:                             ;   in Loop: Header=BB204_685 Depth=1
	s_or_b32 exec_lo, exec_lo, s15
	s_delay_alu instid0(VALU_DEP_1) | instskip(NEXT) | instid1(VALU_DEP_2)
	v_dual_lshlrev_b32 v49, 24, v56 :: v_dual_lshlrev_b32 v6, 20, v6
	v_lshl_add_u32 v48, v48, 23, 0x3c000000
	s_delay_alu instid0(VALU_DEP_2) | instskip(NEXT) | instid1(VALU_DEP_1)
	v_and_b32_e32 v49, 0x80000000, v49
	v_or3_b32 v6, v6, v49, v48
	s_delay_alu instid0(VALU_DEP_1)
	v_mov_b64_e32 v[42:43], v[6:7]
.LBB204_1032:                           ;   in Loop: Header=BB204_685 Depth=1
	s_or_b32 exec_lo, exec_lo, s14
.LBB204_1033:                           ;   in Loop: Header=BB204_685 Depth=1
	s_delay_alu instid0(SALU_CYCLE_1)
	s_or_b32 exec_lo, exec_lo, s9
.LBB204_1034:                           ;   in Loop: Header=BB204_685 Depth=1
	s_delay_alu instid0(SALU_CYCLE_1) | instskip(SKIP_2) | instid1(VALU_DEP_1)
	s_or_b32 exec_lo, exec_lo, s8
	v_lshrrev_b16 v6, 8, v56
	s_mov_b32 s8, exec_lo
	v_cmpx_ne_u16_e32 0, v6
	s_cbranch_execz .LBB204_1042
; %bb.1035:                             ;   in Loop: Header=BB204_685 Depth=1
	v_mov_b64_e32 v[40:41], 0x8000000000000000
	s_mov_b32 s9, exec_lo
	v_cmpx_ne_u16_e32 0x80, v6
	s_cbranch_execz .LBB204_1041
; %bb.1036:                             ;   in Loop: Header=BB204_685 Depth=1
	v_and_b32_e32 v6, 0xffff, v6
	v_mov_b64_e32 v[40:41], 0x7f80000100000000
	s_mov_b32 s14, exec_lo
	s_delay_alu instid0(VALU_DEP_2) | instskip(NEXT) | instid1(VALU_DEP_1)
	v_and_b32_e32 v49, 0x7f, v6
	v_cmpx_ne_u32_e32 0x7f, v49
	s_cbranch_execz .LBB204_1040
; %bb.1037:                             ;   in Loop: Header=BB204_685 Depth=1
	v_dual_lshrrev_b32 v48, 3, v49 :: v_dual_bitop2_b32 v6, 7, v6 bitop3:0x40
	s_mov_b32 s15, exec_lo
	v_cmpx_gt_u32_e32 8, v49
; %bb.1038:                             ;   in Loop: Header=BB204_685 Depth=1
	s_delay_alu instid0(VALU_DEP_2) | instskip(NEXT) | instid1(VALU_DEP_1)
	v_clz_i32_u32_e32 v48, v6
	v_min_u32_e32 v48, 32, v48
	s_delay_alu instid0(VALU_DEP_1) | instskip(SKIP_1) | instid1(VALU_DEP_2)
	v_subrev_nc_u32_e32 v49, 28, v48
	v_sub_nc_u32_e32 v48, 29, v48
	v_lshlrev_b64_e32 v[40:41], v49, v[6:7]
	s_delay_alu instid0(VALU_DEP_1)
	v_and_b32_e32 v6, 7, v40
; %bb.1039:                             ;   in Loop: Header=BB204_685 Depth=1
	s_or_b32 exec_lo, exec_lo, s15
	s_delay_alu instid0(VALU_DEP_1) | instskip(SKIP_2) | instid1(VALU_DEP_3)
	v_dual_lshlrev_b32 v49, 16, v56 :: v_dual_lshlrev_b32 v6, 20, v6
	v_lshl_add_u32 v48, v48, 23, 0x3c000000
	v_mov_b32_e32 v40, v7
	v_and_b32_e32 v49, 0x80000000, v49
	s_delay_alu instid0(VALU_DEP_1)
	v_or3_b32 v41, v6, v49, v48
.LBB204_1040:                           ;   in Loop: Header=BB204_685 Depth=1
	s_or_b32 exec_lo, exec_lo, s14
.LBB204_1041:                           ;   in Loop: Header=BB204_685 Depth=1
	s_delay_alu instid0(SALU_CYCLE_1)
	s_or_b32 exec_lo, exec_lo, s9
.LBB204_1042:                           ;   in Loop: Header=BB204_685 Depth=1
	s_delay_alu instid0(SALU_CYCLE_1) | instskip(SKIP_4) | instid1(VALU_DEP_3)
	s_or_b32 exec_lo, exec_lo, s8
	v_lshrrev_b32_e32 v48, 16, v56
	v_mov_b64_e32 v[44:45], 0
	v_mov_b64_e32 v[46:47], 0
	s_mov_b32 s8, exec_lo
	v_and_b32_e32 v6, 0xff, v48
	s_delay_alu instid0(VALU_DEP_1)
	v_cmpx_ne_u16_e32 0, v6
	s_cbranch_execz .LBB204_1050
; %bb.1043:                             ;   in Loop: Header=BB204_685 Depth=1
	v_mov_b64_e32 v[46:47], 0x80000000
	s_mov_b32 s9, exec_lo
	v_cmpx_ne_u16_e32 0x80, v6
	s_cbranch_execz .LBB204_1049
; %bb.1044:                             ;   in Loop: Header=BB204_685 Depth=1
	v_mov_b64_e32 v[46:47], 0x7f800001
	v_bfe_u32 v57, v56, 16, 7
	s_mov_b32 s14, exec_lo
	s_delay_alu instid0(VALU_DEP_1)
	v_cmpx_ne_u32_e32 0x7f, v57
	s_cbranch_execz .LBB204_1048
; %bb.1045:                             ;   in Loop: Header=BB204_685 Depth=1
	v_dual_lshrrev_b32 v49, 3, v57 :: v_dual_bitop2_b32 v6, 7, v48 bitop3:0x40
	s_mov_b32 s15, exec_lo
	v_cmpx_gt_u32_e32 8, v57
; %bb.1046:                             ;   in Loop: Header=BB204_685 Depth=1
	s_delay_alu instid0(VALU_DEP_2) | instskip(NEXT) | instid1(VALU_DEP_1)
	v_clz_i32_u32_e32 v49, v6
	v_min_u32_e32 v49, 32, v49
	s_delay_alu instid0(VALU_DEP_1) | instskip(NEXT) | instid1(VALU_DEP_1)
	v_subrev_nc_u32_e32 v46, 28, v49
	v_lshlrev_b64_e32 v[46:47], v46, v[6:7]
	s_delay_alu instid0(VALU_DEP_1)
	v_dual_sub_nc_u32 v49, 29, v49 :: v_dual_bitop2_b32 v6, 7, v46 bitop3:0x40
; %bb.1047:                             ;   in Loop: Header=BB204_685 Depth=1
	s_or_b32 exec_lo, exec_lo, s15
	s_delay_alu instid0(VALU_DEP_1) | instskip(NEXT) | instid1(VALU_DEP_2)
	v_dual_lshlrev_b32 v48, 24, v48 :: v_dual_lshlrev_b32 v6, 20, v6
	v_lshl_add_u32 v49, v49, 23, 0x3c000000
	s_delay_alu instid0(VALU_DEP_2) | instskip(NEXT) | instid1(VALU_DEP_1)
	v_and_b32_e32 v48, 0x80000000, v48
	v_or3_b32 v6, v6, v48, v49
	s_delay_alu instid0(VALU_DEP_1)
	v_mov_b64_e32 v[46:47], v[6:7]
.LBB204_1048:                           ;   in Loop: Header=BB204_685 Depth=1
	s_or_b32 exec_lo, exec_lo, s14
.LBB204_1049:                           ;   in Loop: Header=BB204_685 Depth=1
	s_delay_alu instid0(SALU_CYCLE_1)
	s_or_b32 exec_lo, exec_lo, s9
.LBB204_1050:                           ;   in Loop: Header=BB204_685 Depth=1
	s_delay_alu instid0(SALU_CYCLE_1) | instskip(NEXT) | instid1(SALU_CYCLE_1)
	s_or_b32 exec_lo, exec_lo, s8
	s_mov_b32 s8, exec_lo
	v_cmpx_lt_u32_e32 0xffffff, v56
	s_cbranch_execz .LBB204_1058
; %bb.1051:                             ;   in Loop: Header=BB204_685 Depth=1
	v_mov_b64_e32 v[44:45], 0x8000000000000000
	v_lshrrev_b32_e32 v48, 24, v56
	s_mov_b32 s9, exec_lo
	s_delay_alu instid0(VALU_DEP_1)
	v_cmpx_ne_u32_e32 0x80, v48
	s_cbranch_execz .LBB204_1057
; %bb.1052:                             ;   in Loop: Header=BB204_685 Depth=1
	v_mov_b64_e32 v[44:45], 0x7f80000100000000
	v_bfe_u32 v56, v56, 24, 7
	s_mov_b32 s14, exec_lo
	s_delay_alu instid0(VALU_DEP_1)
	v_cmpx_ne_u32_e32 0x7f, v56
	s_cbranch_execz .LBB204_1056
; %bb.1053:                             ;   in Loop: Header=BB204_685 Depth=1
	v_and_b32_e32 v6, 7, v48
	v_lshrrev_b32_e32 v49, 3, v56
	s_mov_b32 s15, exec_lo
	v_cmpx_gt_u32_e32 8, v56
; %bb.1054:                             ;   in Loop: Header=BB204_685 Depth=1
	s_delay_alu instid0(VALU_DEP_3) | instskip(NEXT) | instid1(VALU_DEP_1)
	v_clz_i32_u32_e32 v49, v6
	v_min_u32_e32 v49, 32, v49
	s_delay_alu instid0(VALU_DEP_1) | instskip(NEXT) | instid1(VALU_DEP_1)
	v_subrev_nc_u32_e32 v44, 28, v49
	v_lshlrev_b64_e32 v[44:45], v44, v[6:7]
	s_delay_alu instid0(VALU_DEP_1)
	v_dual_sub_nc_u32 v49, 29, v49 :: v_dual_bitop2_b32 v6, 7, v44 bitop3:0x40
; %bb.1055:                             ;   in Loop: Header=BB204_685 Depth=1
	s_or_b32 exec_lo, exec_lo, s15
	s_delay_alu instid0(VALU_DEP_1) | instskip(NEXT) | instid1(VALU_DEP_2)
	v_dual_lshlrev_b32 v48, 24, v48 :: v_dual_lshlrev_b32 v6, 20, v6
	v_lshl_add_u32 v49, v49, 23, 0x3c000000
	v_mov_b32_e32 v44, v7
	s_delay_alu instid0(VALU_DEP_3) | instskip(NEXT) | instid1(VALU_DEP_1)
	v_and_b32_e32 v48, 0x80000000, v48
	v_or3_b32 v45, v6, v48, v49
.LBB204_1056:                           ;   in Loop: Header=BB204_685 Depth=1
	s_or_b32 exec_lo, exec_lo, s14
.LBB204_1057:                           ;   in Loop: Header=BB204_685 Depth=1
	s_delay_alu instid0(SALU_CYCLE_1)
	s_or_b32 exec_lo, exec_lo, s9
.LBB204_1058:                           ;   in Loop: Header=BB204_685 Depth=1
	s_delay_alu instid0(SALU_CYCLE_1) | instskip(SKIP_4) | instid1(VALU_DEP_3)
	s_or_b32 exec_lo, exec_lo, s8
	v_or_b32_e32 v49, v41, v43
	v_or_b32_e32 v48, v40, v42
	;; [unrolled: 1-line block ×4, first 2 shown]
	v_pk_mul_f32 v[42:43], v[50:51], v[48:49]
	s_delay_alu instid0(VALU_DEP_2)
	v_pk_mul_f32 v[40:41], v[50:51], v[40:41]
	s_and_saveexec_b32 s8, vcc_lo
	s_cbranch_execz .LBB204_1060
; %bb.1059:                             ;   in Loop: Header=BB204_685 Depth=1
	v_cmp_lt_i32_e64 s0, v9, v16
	s_delay_alu instid0(VALU_DEP_1) | instskip(SKIP_1) | instid1(VALU_DEP_1)
	v_cndmask_b32_e64 v42, 0, v42, s0
	v_cmp_lt_i32_e64 s0, v27, v16
	v_cndmask_b32_e64 v43, 0, v43, s0
	v_cmp_lt_i32_e64 s0, v121, v16
	s_delay_alu instid0(VALU_DEP_1) | instskip(SKIP_1) | instid1(VALU_DEP_1)
	v_cndmask_b32_e64 v40, 0, v40, s0
	v_cmp_lt_i32_e64 s0, v120, v16
	v_cndmask_b32_e64 v41, 0, v41, s0
.LBB204_1060:                           ;   in Loop: Header=BB204_685 Depth=1
	s_or_b32 exec_lo, exec_lo, s8
	flat_load_b32 v60, v[64:65] offset:1408
	v_mov_b64_e32 v[44:45], 0
	v_mov_b64_e32 v[46:47], 0
	s_mov_b32 s8, exec_lo
	s_wait_loadcnt_dscnt 0x0
	v_and_b32_e32 v6, 0xff, v60
	s_wait_xcnt 0x0
	s_delay_alu instid0(VALU_DEP_1)
	v_cmpx_ne_u16_e32 0, v6
	s_cbranch_execz .LBB204_1068
; %bb.1061:                             ;   in Loop: Header=BB204_685 Depth=1
	v_mov_b64_e32 v[46:47], 0x80000000
	s_mov_b32 s9, exec_lo
	v_cmpx_ne_u16_e32 0x80, v6
	s_cbranch_execz .LBB204_1067
; %bb.1062:                             ;   in Loop: Header=BB204_685 Depth=1
	v_mov_b64_e32 v[46:47], 0x7f800001
	v_and_b32_e32 v49, 0x7f, v60
	s_mov_b32 s14, exec_lo
	s_delay_alu instid0(VALU_DEP_1)
	v_cmpx_ne_u32_e32 0x7f, v49
	s_cbranch_execz .LBB204_1066
; %bb.1063:                             ;   in Loop: Header=BB204_685 Depth=1
	v_dual_lshrrev_b32 v48, 3, v49 :: v_dual_bitop2_b32 v6, 7, v60 bitop3:0x40
	s_mov_b32 s15, exec_lo
	v_cmpx_gt_u32_e32 8, v49
; %bb.1064:                             ;   in Loop: Header=BB204_685 Depth=1
	s_delay_alu instid0(VALU_DEP_2) | instskip(NEXT) | instid1(VALU_DEP_1)
	v_clz_i32_u32_e32 v48, v6
	v_min_u32_e32 v48, 32, v48
	s_delay_alu instid0(VALU_DEP_1) | instskip(NEXT) | instid1(VALU_DEP_1)
	v_subrev_nc_u32_e32 v49, 28, v48
	v_lshlrev_b64_e32 v[46:47], v49, v[6:7]
	s_delay_alu instid0(VALU_DEP_1)
	v_dual_sub_nc_u32 v48, 29, v48 :: v_dual_bitop2_b32 v6, 7, v46 bitop3:0x40
; %bb.1065:                             ;   in Loop: Header=BB204_685 Depth=1
	s_or_b32 exec_lo, exec_lo, s15
	s_delay_alu instid0(VALU_DEP_1) | instskip(NEXT) | instid1(VALU_DEP_2)
	v_dual_lshlrev_b32 v49, 24, v60 :: v_dual_lshlrev_b32 v6, 20, v6
	v_lshl_add_u32 v48, v48, 23, 0x3c000000
	s_delay_alu instid0(VALU_DEP_2) | instskip(NEXT) | instid1(VALU_DEP_1)
	v_and_b32_e32 v49, 0x80000000, v49
	v_or3_b32 v6, v6, v49, v48
	s_delay_alu instid0(VALU_DEP_1)
	v_mov_b64_e32 v[46:47], v[6:7]
.LBB204_1066:                           ;   in Loop: Header=BB204_685 Depth=1
	s_or_b32 exec_lo, exec_lo, s14
.LBB204_1067:                           ;   in Loop: Header=BB204_685 Depth=1
	s_delay_alu instid0(SALU_CYCLE_1)
	s_or_b32 exec_lo, exec_lo, s9
.LBB204_1068:                           ;   in Loop: Header=BB204_685 Depth=1
	s_delay_alu instid0(SALU_CYCLE_1) | instskip(SKIP_2) | instid1(VALU_DEP_1)
	s_or_b32 exec_lo, exec_lo, s8
	v_lshrrev_b16 v6, 8, v60
	s_mov_b32 s8, exec_lo
	v_cmpx_ne_u16_e32 0, v6
	s_cbranch_execz .LBB204_1076
; %bb.1069:                             ;   in Loop: Header=BB204_685 Depth=1
	v_mov_b64_e32 v[44:45], 0x8000000000000000
	s_mov_b32 s9, exec_lo
	v_cmpx_ne_u16_e32 0x80, v6
	s_cbranch_execz .LBB204_1075
; %bb.1070:                             ;   in Loop: Header=BB204_685 Depth=1
	v_and_b32_e32 v6, 0xffff, v6
	v_mov_b64_e32 v[44:45], 0x7f80000100000000
	s_mov_b32 s14, exec_lo
	s_delay_alu instid0(VALU_DEP_2) | instskip(NEXT) | instid1(VALU_DEP_1)
	v_and_b32_e32 v49, 0x7f, v6
	v_cmpx_ne_u32_e32 0x7f, v49
	s_cbranch_execz .LBB204_1074
; %bb.1071:                             ;   in Loop: Header=BB204_685 Depth=1
	v_dual_lshrrev_b32 v48, 3, v49 :: v_dual_bitop2_b32 v6, 7, v6 bitop3:0x40
	s_mov_b32 s15, exec_lo
	v_cmpx_gt_u32_e32 8, v49
; %bb.1072:                             ;   in Loop: Header=BB204_685 Depth=1
	s_delay_alu instid0(VALU_DEP_2) | instskip(NEXT) | instid1(VALU_DEP_1)
	v_clz_i32_u32_e32 v48, v6
	v_min_u32_e32 v48, 32, v48
	s_delay_alu instid0(VALU_DEP_1) | instskip(SKIP_1) | instid1(VALU_DEP_2)
	v_subrev_nc_u32_e32 v49, 28, v48
	v_sub_nc_u32_e32 v48, 29, v48
	v_lshlrev_b64_e32 v[44:45], v49, v[6:7]
	s_delay_alu instid0(VALU_DEP_1)
	v_and_b32_e32 v6, 7, v44
; %bb.1073:                             ;   in Loop: Header=BB204_685 Depth=1
	s_or_b32 exec_lo, exec_lo, s15
	s_delay_alu instid0(VALU_DEP_1) | instskip(SKIP_2) | instid1(VALU_DEP_3)
	v_dual_lshlrev_b32 v49, 16, v60 :: v_dual_lshlrev_b32 v6, 20, v6
	v_lshl_add_u32 v48, v48, 23, 0x3c000000
	v_mov_b32_e32 v44, v7
	v_and_b32_e32 v49, 0x80000000, v49
	s_delay_alu instid0(VALU_DEP_1)
	v_or3_b32 v45, v6, v49, v48
.LBB204_1074:                           ;   in Loop: Header=BB204_685 Depth=1
	s_or_b32 exec_lo, exec_lo, s14
.LBB204_1075:                           ;   in Loop: Header=BB204_685 Depth=1
	s_delay_alu instid0(SALU_CYCLE_1)
	s_or_b32 exec_lo, exec_lo, s9
.LBB204_1076:                           ;   in Loop: Header=BB204_685 Depth=1
	s_delay_alu instid0(SALU_CYCLE_1) | instskip(SKIP_4) | instid1(VALU_DEP_3)
	s_or_b32 exec_lo, exec_lo, s8
	v_lshrrev_b32_e32 v48, 16, v60
	v_mov_b64_e32 v[56:57], 0
	v_mov_b64_e32 v[58:59], 0
	s_mov_b32 s8, exec_lo
	v_and_b32_e32 v6, 0xff, v48
	s_delay_alu instid0(VALU_DEP_1)
	v_cmpx_ne_u16_e32 0, v6
	s_cbranch_execz .LBB204_1084
; %bb.1077:                             ;   in Loop: Header=BB204_685 Depth=1
	v_mov_b64_e32 v[58:59], 0x80000000
	s_mov_b32 s9, exec_lo
	v_cmpx_ne_u16_e32 0x80, v6
	s_cbranch_execz .LBB204_1083
; %bb.1078:                             ;   in Loop: Header=BB204_685 Depth=1
	v_mov_b64_e32 v[58:59], 0x7f800001
	v_bfe_u32 v61, v60, 16, 7
	s_mov_b32 s14, exec_lo
	s_delay_alu instid0(VALU_DEP_1)
	v_cmpx_ne_u32_e32 0x7f, v61
	s_cbranch_execz .LBB204_1082
; %bb.1079:                             ;   in Loop: Header=BB204_685 Depth=1
	v_dual_lshrrev_b32 v49, 3, v61 :: v_dual_bitop2_b32 v6, 7, v48 bitop3:0x40
	s_mov_b32 s15, exec_lo
	v_cmpx_gt_u32_e32 8, v61
; %bb.1080:                             ;   in Loop: Header=BB204_685 Depth=1
	s_delay_alu instid0(VALU_DEP_2) | instskip(NEXT) | instid1(VALU_DEP_1)
	v_clz_i32_u32_e32 v49, v6
	v_min_u32_e32 v49, 32, v49
	s_delay_alu instid0(VALU_DEP_1) | instskip(NEXT) | instid1(VALU_DEP_1)
	v_subrev_nc_u32_e32 v58, 28, v49
	v_lshlrev_b64_e32 v[58:59], v58, v[6:7]
	s_delay_alu instid0(VALU_DEP_1)
	v_dual_sub_nc_u32 v49, 29, v49 :: v_dual_bitop2_b32 v6, 7, v58 bitop3:0x40
; %bb.1081:                             ;   in Loop: Header=BB204_685 Depth=1
	s_or_b32 exec_lo, exec_lo, s15
	s_delay_alu instid0(VALU_DEP_1) | instskip(NEXT) | instid1(VALU_DEP_2)
	v_dual_lshlrev_b32 v48, 24, v48 :: v_dual_lshlrev_b32 v6, 20, v6
	v_lshl_add_u32 v49, v49, 23, 0x3c000000
	s_delay_alu instid0(VALU_DEP_2) | instskip(NEXT) | instid1(VALU_DEP_1)
	v_and_b32_e32 v48, 0x80000000, v48
	v_or3_b32 v6, v6, v48, v49
	s_delay_alu instid0(VALU_DEP_1)
	v_mov_b64_e32 v[58:59], v[6:7]
.LBB204_1082:                           ;   in Loop: Header=BB204_685 Depth=1
	s_or_b32 exec_lo, exec_lo, s14
.LBB204_1083:                           ;   in Loop: Header=BB204_685 Depth=1
	s_delay_alu instid0(SALU_CYCLE_1)
	s_or_b32 exec_lo, exec_lo, s9
.LBB204_1084:                           ;   in Loop: Header=BB204_685 Depth=1
	s_delay_alu instid0(SALU_CYCLE_1) | instskip(NEXT) | instid1(SALU_CYCLE_1)
	s_or_b32 exec_lo, exec_lo, s8
	s_mov_b32 s8, exec_lo
	v_cmpx_lt_u32_e32 0xffffff, v60
	s_cbranch_execz .LBB204_1092
; %bb.1085:                             ;   in Loop: Header=BB204_685 Depth=1
	v_mov_b64_e32 v[56:57], 0x8000000000000000
	v_lshrrev_b32_e32 v48, 24, v60
	s_mov_b32 s9, exec_lo
	s_delay_alu instid0(VALU_DEP_1)
	v_cmpx_ne_u32_e32 0x80, v48
	s_cbranch_execz .LBB204_1091
; %bb.1086:                             ;   in Loop: Header=BB204_685 Depth=1
	v_mov_b64_e32 v[56:57], 0x7f80000100000000
	v_bfe_u32 v60, v60, 24, 7
	s_mov_b32 s14, exec_lo
	s_delay_alu instid0(VALU_DEP_1)
	v_cmpx_ne_u32_e32 0x7f, v60
	s_cbranch_execz .LBB204_1090
; %bb.1087:                             ;   in Loop: Header=BB204_685 Depth=1
	v_and_b32_e32 v6, 7, v48
	v_lshrrev_b32_e32 v49, 3, v60
	s_mov_b32 s15, exec_lo
	v_cmpx_gt_u32_e32 8, v60
; %bb.1088:                             ;   in Loop: Header=BB204_685 Depth=1
	s_delay_alu instid0(VALU_DEP_3) | instskip(NEXT) | instid1(VALU_DEP_1)
	v_clz_i32_u32_e32 v49, v6
	v_min_u32_e32 v49, 32, v49
	s_delay_alu instid0(VALU_DEP_1) | instskip(NEXT) | instid1(VALU_DEP_1)
	v_subrev_nc_u32_e32 v56, 28, v49
	v_lshlrev_b64_e32 v[56:57], v56, v[6:7]
	s_delay_alu instid0(VALU_DEP_1)
	v_dual_sub_nc_u32 v49, 29, v49 :: v_dual_bitop2_b32 v6, 7, v56 bitop3:0x40
; %bb.1089:                             ;   in Loop: Header=BB204_685 Depth=1
	s_or_b32 exec_lo, exec_lo, s15
	s_delay_alu instid0(VALU_DEP_1) | instskip(NEXT) | instid1(VALU_DEP_2)
	v_dual_lshlrev_b32 v48, 24, v48 :: v_dual_lshlrev_b32 v6, 20, v6
	v_lshl_add_u32 v49, v49, 23, 0x3c000000
	v_mov_b32_e32 v56, v7
	s_delay_alu instid0(VALU_DEP_3) | instskip(NEXT) | instid1(VALU_DEP_1)
	v_and_b32_e32 v48, 0x80000000, v48
	v_or3_b32 v57, v6, v48, v49
.LBB204_1090:                           ;   in Loop: Header=BB204_685 Depth=1
	s_or_b32 exec_lo, exec_lo, s14
.LBB204_1091:                           ;   in Loop: Header=BB204_685 Depth=1
	s_delay_alu instid0(SALU_CYCLE_1)
	s_or_b32 exec_lo, exec_lo, s9
.LBB204_1092:                           ;   in Loop: Header=BB204_685 Depth=1
	s_delay_alu instid0(SALU_CYCLE_1) | instskip(SKIP_4) | instid1(VALU_DEP_3)
	s_or_b32 exec_lo, exec_lo, s8
	v_or_b32_e32 v49, v45, v47
	v_or_b32_e32 v48, v44, v46
	;; [unrolled: 1-line block ×4, first 2 shown]
	v_pk_mul_f32 v[46:47], v[50:51], v[48:49]
	s_delay_alu instid0(VALU_DEP_2)
	v_pk_mul_f32 v[44:45], v[50:51], v[44:45]
	s_and_saveexec_b32 s8, vcc_lo
	s_cbranch_execz .LBB204_1094
; %bb.1093:                             ;   in Loop: Header=BB204_685 Depth=1
	v_cmp_lt_i32_e64 s0, v9, v16
	s_delay_alu instid0(VALU_DEP_1) | instskip(SKIP_1) | instid1(VALU_DEP_1)
	v_cndmask_b32_e64 v46, 0, v46, s0
	v_cmp_lt_i32_e64 s0, v27, v16
	v_cndmask_b32_e64 v47, 0, v47, s0
	v_cmp_lt_i32_e64 s0, v121, v16
	s_delay_alu instid0(VALU_DEP_1) | instskip(SKIP_1) | instid1(VALU_DEP_1)
	v_cndmask_b32_e64 v44, 0, v44, s0
	v_cmp_lt_i32_e64 s0, v120, v16
	v_cndmask_b32_e64 v45, 0, v45, s0
.LBB204_1094:                           ;   in Loop: Header=BB204_685 Depth=1
	s_or_b32 exec_lo, exec_lo, s8
	flat_load_b32 v72, v[64:65] offset:1536
	v_mov_b64_e32 v[56:57], 0
	v_mov_b64_e32 v[58:59], 0
	s_mov_b32 s8, exec_lo
	s_wait_loadcnt_dscnt 0x0
	v_and_b32_e32 v6, 0xff, v72
	s_wait_xcnt 0x0
	s_delay_alu instid0(VALU_DEP_1)
	v_cmpx_ne_u16_e32 0, v6
	s_cbranch_execz .LBB204_1102
; %bb.1095:                             ;   in Loop: Header=BB204_685 Depth=1
	v_mov_b64_e32 v[58:59], 0x80000000
	s_mov_b32 s9, exec_lo
	v_cmpx_ne_u16_e32 0x80, v6
	s_cbranch_execz .LBB204_1101
; %bb.1096:                             ;   in Loop: Header=BB204_685 Depth=1
	v_mov_b64_e32 v[58:59], 0x7f800001
	v_and_b32_e32 v49, 0x7f, v72
	s_mov_b32 s14, exec_lo
	s_delay_alu instid0(VALU_DEP_1)
	v_cmpx_ne_u32_e32 0x7f, v49
	s_cbranch_execz .LBB204_1100
; %bb.1097:                             ;   in Loop: Header=BB204_685 Depth=1
	v_dual_lshrrev_b32 v48, 3, v49 :: v_dual_bitop2_b32 v6, 7, v72 bitop3:0x40
	s_mov_b32 s15, exec_lo
	v_cmpx_gt_u32_e32 8, v49
; %bb.1098:                             ;   in Loop: Header=BB204_685 Depth=1
	s_delay_alu instid0(VALU_DEP_2) | instskip(NEXT) | instid1(VALU_DEP_1)
	v_clz_i32_u32_e32 v48, v6
	v_min_u32_e32 v48, 32, v48
	s_delay_alu instid0(VALU_DEP_1) | instskip(NEXT) | instid1(VALU_DEP_1)
	v_subrev_nc_u32_e32 v49, 28, v48
	v_lshlrev_b64_e32 v[58:59], v49, v[6:7]
	s_delay_alu instid0(VALU_DEP_1)
	v_dual_sub_nc_u32 v48, 29, v48 :: v_dual_bitop2_b32 v6, 7, v58 bitop3:0x40
; %bb.1099:                             ;   in Loop: Header=BB204_685 Depth=1
	s_or_b32 exec_lo, exec_lo, s15
	s_delay_alu instid0(VALU_DEP_1) | instskip(NEXT) | instid1(VALU_DEP_2)
	v_dual_lshlrev_b32 v49, 24, v72 :: v_dual_lshlrev_b32 v6, 20, v6
	v_lshl_add_u32 v48, v48, 23, 0x3c000000
	s_delay_alu instid0(VALU_DEP_2) | instskip(NEXT) | instid1(VALU_DEP_1)
	v_and_b32_e32 v49, 0x80000000, v49
	v_or3_b32 v6, v6, v49, v48
	s_delay_alu instid0(VALU_DEP_1)
	v_mov_b64_e32 v[58:59], v[6:7]
.LBB204_1100:                           ;   in Loop: Header=BB204_685 Depth=1
	s_or_b32 exec_lo, exec_lo, s14
.LBB204_1101:                           ;   in Loop: Header=BB204_685 Depth=1
	s_delay_alu instid0(SALU_CYCLE_1)
	s_or_b32 exec_lo, exec_lo, s9
.LBB204_1102:                           ;   in Loop: Header=BB204_685 Depth=1
	s_delay_alu instid0(SALU_CYCLE_1) | instskip(SKIP_2) | instid1(VALU_DEP_1)
	s_or_b32 exec_lo, exec_lo, s8
	v_lshrrev_b16 v6, 8, v72
	s_mov_b32 s8, exec_lo
	v_cmpx_ne_u16_e32 0, v6
	s_cbranch_execz .LBB204_1110
; %bb.1103:                             ;   in Loop: Header=BB204_685 Depth=1
	v_mov_b64_e32 v[56:57], 0x8000000000000000
	s_mov_b32 s9, exec_lo
	v_cmpx_ne_u16_e32 0x80, v6
	s_cbranch_execz .LBB204_1109
; %bb.1104:                             ;   in Loop: Header=BB204_685 Depth=1
	v_and_b32_e32 v6, 0xffff, v6
	v_mov_b64_e32 v[56:57], 0x7f80000100000000
	s_mov_b32 s14, exec_lo
	s_delay_alu instid0(VALU_DEP_2) | instskip(NEXT) | instid1(VALU_DEP_1)
	v_and_b32_e32 v49, 0x7f, v6
	v_cmpx_ne_u32_e32 0x7f, v49
	s_cbranch_execz .LBB204_1108
; %bb.1105:                             ;   in Loop: Header=BB204_685 Depth=1
	v_dual_lshrrev_b32 v48, 3, v49 :: v_dual_bitop2_b32 v6, 7, v6 bitop3:0x40
	s_mov_b32 s15, exec_lo
	v_cmpx_gt_u32_e32 8, v49
; %bb.1106:                             ;   in Loop: Header=BB204_685 Depth=1
	s_delay_alu instid0(VALU_DEP_2) | instskip(NEXT) | instid1(VALU_DEP_1)
	v_clz_i32_u32_e32 v48, v6
	v_min_u32_e32 v48, 32, v48
	s_delay_alu instid0(VALU_DEP_1) | instskip(SKIP_1) | instid1(VALU_DEP_2)
	v_subrev_nc_u32_e32 v49, 28, v48
	v_sub_nc_u32_e32 v48, 29, v48
	v_lshlrev_b64_e32 v[56:57], v49, v[6:7]
	s_delay_alu instid0(VALU_DEP_1)
	v_and_b32_e32 v6, 7, v56
; %bb.1107:                             ;   in Loop: Header=BB204_685 Depth=1
	s_or_b32 exec_lo, exec_lo, s15
	s_delay_alu instid0(VALU_DEP_1) | instskip(SKIP_2) | instid1(VALU_DEP_3)
	v_dual_lshlrev_b32 v49, 16, v72 :: v_dual_lshlrev_b32 v6, 20, v6
	v_lshl_add_u32 v48, v48, 23, 0x3c000000
	v_mov_b32_e32 v56, v7
	v_and_b32_e32 v49, 0x80000000, v49
	s_delay_alu instid0(VALU_DEP_1)
	v_or3_b32 v57, v6, v49, v48
.LBB204_1108:                           ;   in Loop: Header=BB204_685 Depth=1
	s_or_b32 exec_lo, exec_lo, s14
.LBB204_1109:                           ;   in Loop: Header=BB204_685 Depth=1
	s_delay_alu instid0(SALU_CYCLE_1)
	s_or_b32 exec_lo, exec_lo, s9
.LBB204_1110:                           ;   in Loop: Header=BB204_685 Depth=1
	s_delay_alu instid0(SALU_CYCLE_1) | instskip(SKIP_4) | instid1(VALU_DEP_3)
	s_or_b32 exec_lo, exec_lo, s8
	v_lshrrev_b32_e32 v48, 16, v72
	v_mov_b64_e32 v[60:61], 0
	v_mov_b64_e32 v[62:63], 0
	s_mov_b32 s8, exec_lo
	v_and_b32_e32 v6, 0xff, v48
	s_delay_alu instid0(VALU_DEP_1)
	v_cmpx_ne_u16_e32 0, v6
	s_cbranch_execz .LBB204_1118
; %bb.1111:                             ;   in Loop: Header=BB204_685 Depth=1
	v_mov_b64_e32 v[62:63], 0x80000000
	s_mov_b32 s9, exec_lo
	v_cmpx_ne_u16_e32 0x80, v6
	s_cbranch_execz .LBB204_1117
; %bb.1112:                             ;   in Loop: Header=BB204_685 Depth=1
	v_mov_b64_e32 v[62:63], 0x7f800001
	v_bfe_u32 v73, v72, 16, 7
	s_mov_b32 s14, exec_lo
	s_delay_alu instid0(VALU_DEP_1)
	v_cmpx_ne_u32_e32 0x7f, v73
	s_cbranch_execz .LBB204_1116
; %bb.1113:                             ;   in Loop: Header=BB204_685 Depth=1
	v_dual_lshrrev_b32 v49, 3, v73 :: v_dual_bitop2_b32 v6, 7, v48 bitop3:0x40
	s_mov_b32 s15, exec_lo
	v_cmpx_gt_u32_e32 8, v73
; %bb.1114:                             ;   in Loop: Header=BB204_685 Depth=1
	s_delay_alu instid0(VALU_DEP_2) | instskip(NEXT) | instid1(VALU_DEP_1)
	v_clz_i32_u32_e32 v49, v6
	v_min_u32_e32 v49, 32, v49
	s_delay_alu instid0(VALU_DEP_1) | instskip(NEXT) | instid1(VALU_DEP_1)
	v_subrev_nc_u32_e32 v62, 28, v49
	v_lshlrev_b64_e32 v[62:63], v62, v[6:7]
	s_delay_alu instid0(VALU_DEP_1)
	v_dual_sub_nc_u32 v49, 29, v49 :: v_dual_bitop2_b32 v6, 7, v62 bitop3:0x40
; %bb.1115:                             ;   in Loop: Header=BB204_685 Depth=1
	s_or_b32 exec_lo, exec_lo, s15
	s_delay_alu instid0(VALU_DEP_1) | instskip(NEXT) | instid1(VALU_DEP_2)
	v_dual_lshlrev_b32 v48, 24, v48 :: v_dual_lshlrev_b32 v6, 20, v6
	v_lshl_add_u32 v49, v49, 23, 0x3c000000
	s_delay_alu instid0(VALU_DEP_2) | instskip(NEXT) | instid1(VALU_DEP_1)
	v_and_b32_e32 v48, 0x80000000, v48
	v_or3_b32 v6, v6, v48, v49
	s_delay_alu instid0(VALU_DEP_1)
	v_mov_b64_e32 v[62:63], v[6:7]
.LBB204_1116:                           ;   in Loop: Header=BB204_685 Depth=1
	s_or_b32 exec_lo, exec_lo, s14
.LBB204_1117:                           ;   in Loop: Header=BB204_685 Depth=1
	s_delay_alu instid0(SALU_CYCLE_1)
	s_or_b32 exec_lo, exec_lo, s9
.LBB204_1118:                           ;   in Loop: Header=BB204_685 Depth=1
	s_delay_alu instid0(SALU_CYCLE_1) | instskip(NEXT) | instid1(SALU_CYCLE_1)
	s_or_b32 exec_lo, exec_lo, s8
	s_mov_b32 s8, exec_lo
	v_cmpx_lt_u32_e32 0xffffff, v72
	s_cbranch_execz .LBB204_1126
; %bb.1119:                             ;   in Loop: Header=BB204_685 Depth=1
	v_mov_b64_e32 v[60:61], 0x8000000000000000
	v_lshrrev_b32_e32 v48, 24, v72
	s_mov_b32 s9, exec_lo
	s_delay_alu instid0(VALU_DEP_1)
	v_cmpx_ne_u32_e32 0x80, v48
	s_cbranch_execz .LBB204_1125
; %bb.1120:                             ;   in Loop: Header=BB204_685 Depth=1
	v_mov_b64_e32 v[60:61], 0x7f80000100000000
	v_bfe_u32 v72, v72, 24, 7
	s_mov_b32 s14, exec_lo
	s_delay_alu instid0(VALU_DEP_1)
	v_cmpx_ne_u32_e32 0x7f, v72
	s_cbranch_execz .LBB204_1124
; %bb.1121:                             ;   in Loop: Header=BB204_685 Depth=1
	v_and_b32_e32 v6, 7, v48
	v_lshrrev_b32_e32 v49, 3, v72
	s_mov_b32 s15, exec_lo
	v_cmpx_gt_u32_e32 8, v72
; %bb.1122:                             ;   in Loop: Header=BB204_685 Depth=1
	s_delay_alu instid0(VALU_DEP_3) | instskip(NEXT) | instid1(VALU_DEP_1)
	v_clz_i32_u32_e32 v49, v6
	v_min_u32_e32 v49, 32, v49
	s_delay_alu instid0(VALU_DEP_1) | instskip(NEXT) | instid1(VALU_DEP_1)
	v_subrev_nc_u32_e32 v60, 28, v49
	v_lshlrev_b64_e32 v[60:61], v60, v[6:7]
	s_delay_alu instid0(VALU_DEP_1)
	v_dual_sub_nc_u32 v49, 29, v49 :: v_dual_bitop2_b32 v6, 7, v60 bitop3:0x40
; %bb.1123:                             ;   in Loop: Header=BB204_685 Depth=1
	s_or_b32 exec_lo, exec_lo, s15
	s_delay_alu instid0(VALU_DEP_1) | instskip(NEXT) | instid1(VALU_DEP_2)
	v_dual_lshlrev_b32 v48, 24, v48 :: v_dual_lshlrev_b32 v6, 20, v6
	v_lshl_add_u32 v49, v49, 23, 0x3c000000
	v_mov_b32_e32 v60, v7
	s_delay_alu instid0(VALU_DEP_3) | instskip(NEXT) | instid1(VALU_DEP_1)
	v_and_b32_e32 v48, 0x80000000, v48
	v_or3_b32 v61, v6, v48, v49
.LBB204_1124:                           ;   in Loop: Header=BB204_685 Depth=1
	s_or_b32 exec_lo, exec_lo, s14
.LBB204_1125:                           ;   in Loop: Header=BB204_685 Depth=1
	s_delay_alu instid0(SALU_CYCLE_1)
	s_or_b32 exec_lo, exec_lo, s9
.LBB204_1126:                           ;   in Loop: Header=BB204_685 Depth=1
	s_delay_alu instid0(SALU_CYCLE_1) | instskip(SKIP_4) | instid1(VALU_DEP_3)
	s_or_b32 exec_lo, exec_lo, s8
	v_or_b32_e32 v49, v57, v59
	v_or_b32_e32 v48, v56, v58
	;; [unrolled: 1-line block ×4, first 2 shown]
	v_pk_mul_f32 v[58:59], v[50:51], v[48:49]
	s_delay_alu instid0(VALU_DEP_2)
	v_pk_mul_f32 v[56:57], v[50:51], v[56:57]
	s_and_saveexec_b32 s8, vcc_lo
	s_cbranch_execz .LBB204_1128
; %bb.1127:                             ;   in Loop: Header=BB204_685 Depth=1
	v_cmp_lt_i32_e64 s0, v9, v16
	s_delay_alu instid0(VALU_DEP_1) | instskip(SKIP_1) | instid1(VALU_DEP_1)
	v_cndmask_b32_e64 v58, 0, v58, s0
	v_cmp_lt_i32_e64 s0, v27, v16
	v_cndmask_b32_e64 v59, 0, v59, s0
	v_cmp_lt_i32_e64 s0, v121, v16
	s_delay_alu instid0(VALU_DEP_1) | instskip(SKIP_1) | instid1(VALU_DEP_1)
	v_cndmask_b32_e64 v56, 0, v56, s0
	v_cmp_lt_i32_e64 s0, v120, v16
	v_cndmask_b32_e64 v57, 0, v57, s0
.LBB204_1128:                           ;   in Loop: Header=BB204_685 Depth=1
	s_or_b32 exec_lo, exec_lo, s8
	flat_load_b32 v76, v[64:65] offset:1664
	v_mov_b64_e32 v[60:61], 0
	v_mov_b64_e32 v[62:63], 0
	s_mov_b32 s8, exec_lo
	s_wait_loadcnt_dscnt 0x0
	v_and_b32_e32 v6, 0xff, v76
	s_wait_xcnt 0x0
	s_delay_alu instid0(VALU_DEP_1)
	v_cmpx_ne_u16_e32 0, v6
	s_cbranch_execz .LBB204_1136
; %bb.1129:                             ;   in Loop: Header=BB204_685 Depth=1
	v_mov_b64_e32 v[62:63], 0x80000000
	s_mov_b32 s9, exec_lo
	v_cmpx_ne_u16_e32 0x80, v6
	s_cbranch_execz .LBB204_1135
; %bb.1130:                             ;   in Loop: Header=BB204_685 Depth=1
	v_mov_b64_e32 v[62:63], 0x7f800001
	v_and_b32_e32 v49, 0x7f, v76
	s_mov_b32 s14, exec_lo
	s_delay_alu instid0(VALU_DEP_1)
	v_cmpx_ne_u32_e32 0x7f, v49
	s_cbranch_execz .LBB204_1134
; %bb.1131:                             ;   in Loop: Header=BB204_685 Depth=1
	v_dual_lshrrev_b32 v48, 3, v49 :: v_dual_bitop2_b32 v6, 7, v76 bitop3:0x40
	s_mov_b32 s15, exec_lo
	v_cmpx_gt_u32_e32 8, v49
; %bb.1132:                             ;   in Loop: Header=BB204_685 Depth=1
	s_delay_alu instid0(VALU_DEP_2) | instskip(NEXT) | instid1(VALU_DEP_1)
	v_clz_i32_u32_e32 v48, v6
	v_min_u32_e32 v48, 32, v48
	s_delay_alu instid0(VALU_DEP_1) | instskip(NEXT) | instid1(VALU_DEP_1)
	v_subrev_nc_u32_e32 v49, 28, v48
	v_lshlrev_b64_e32 v[62:63], v49, v[6:7]
	s_delay_alu instid0(VALU_DEP_1)
	v_dual_sub_nc_u32 v48, 29, v48 :: v_dual_bitop2_b32 v6, 7, v62 bitop3:0x40
; %bb.1133:                             ;   in Loop: Header=BB204_685 Depth=1
	s_or_b32 exec_lo, exec_lo, s15
	s_delay_alu instid0(VALU_DEP_1) | instskip(NEXT) | instid1(VALU_DEP_2)
	v_dual_lshlrev_b32 v49, 24, v76 :: v_dual_lshlrev_b32 v6, 20, v6
	v_lshl_add_u32 v48, v48, 23, 0x3c000000
	s_delay_alu instid0(VALU_DEP_2) | instskip(NEXT) | instid1(VALU_DEP_1)
	v_and_b32_e32 v49, 0x80000000, v49
	v_or3_b32 v6, v6, v49, v48
	s_delay_alu instid0(VALU_DEP_1)
	v_mov_b64_e32 v[62:63], v[6:7]
.LBB204_1134:                           ;   in Loop: Header=BB204_685 Depth=1
	s_or_b32 exec_lo, exec_lo, s14
.LBB204_1135:                           ;   in Loop: Header=BB204_685 Depth=1
	s_delay_alu instid0(SALU_CYCLE_1)
	s_or_b32 exec_lo, exec_lo, s9
.LBB204_1136:                           ;   in Loop: Header=BB204_685 Depth=1
	s_delay_alu instid0(SALU_CYCLE_1) | instskip(SKIP_2) | instid1(VALU_DEP_1)
	s_or_b32 exec_lo, exec_lo, s8
	v_lshrrev_b16 v6, 8, v76
	s_mov_b32 s8, exec_lo
	v_cmpx_ne_u16_e32 0, v6
	s_cbranch_execz .LBB204_1144
; %bb.1137:                             ;   in Loop: Header=BB204_685 Depth=1
	v_mov_b64_e32 v[60:61], 0x8000000000000000
	s_mov_b32 s9, exec_lo
	v_cmpx_ne_u16_e32 0x80, v6
	s_cbranch_execz .LBB204_1143
; %bb.1138:                             ;   in Loop: Header=BB204_685 Depth=1
	v_and_b32_e32 v6, 0xffff, v6
	v_mov_b64_e32 v[60:61], 0x7f80000100000000
	s_mov_b32 s14, exec_lo
	s_delay_alu instid0(VALU_DEP_2) | instskip(NEXT) | instid1(VALU_DEP_1)
	v_and_b32_e32 v49, 0x7f, v6
	v_cmpx_ne_u32_e32 0x7f, v49
	s_cbranch_execz .LBB204_1142
; %bb.1139:                             ;   in Loop: Header=BB204_685 Depth=1
	v_dual_lshrrev_b32 v48, 3, v49 :: v_dual_bitop2_b32 v6, 7, v6 bitop3:0x40
	s_mov_b32 s15, exec_lo
	v_cmpx_gt_u32_e32 8, v49
; %bb.1140:                             ;   in Loop: Header=BB204_685 Depth=1
	s_delay_alu instid0(VALU_DEP_2) | instskip(NEXT) | instid1(VALU_DEP_1)
	v_clz_i32_u32_e32 v48, v6
	v_min_u32_e32 v48, 32, v48
	s_delay_alu instid0(VALU_DEP_1) | instskip(SKIP_1) | instid1(VALU_DEP_2)
	v_subrev_nc_u32_e32 v49, 28, v48
	v_sub_nc_u32_e32 v48, 29, v48
	v_lshlrev_b64_e32 v[60:61], v49, v[6:7]
	s_delay_alu instid0(VALU_DEP_1)
	v_and_b32_e32 v6, 7, v60
; %bb.1141:                             ;   in Loop: Header=BB204_685 Depth=1
	s_or_b32 exec_lo, exec_lo, s15
	s_delay_alu instid0(VALU_DEP_1) | instskip(SKIP_2) | instid1(VALU_DEP_3)
	v_dual_lshlrev_b32 v49, 16, v76 :: v_dual_lshlrev_b32 v6, 20, v6
	v_lshl_add_u32 v48, v48, 23, 0x3c000000
	v_mov_b32_e32 v60, v7
	v_and_b32_e32 v49, 0x80000000, v49
	s_delay_alu instid0(VALU_DEP_1)
	v_or3_b32 v61, v6, v49, v48
.LBB204_1142:                           ;   in Loop: Header=BB204_685 Depth=1
	s_or_b32 exec_lo, exec_lo, s14
.LBB204_1143:                           ;   in Loop: Header=BB204_685 Depth=1
	s_delay_alu instid0(SALU_CYCLE_1)
	s_or_b32 exec_lo, exec_lo, s9
.LBB204_1144:                           ;   in Loop: Header=BB204_685 Depth=1
	s_delay_alu instid0(SALU_CYCLE_1) | instskip(SKIP_4) | instid1(VALU_DEP_3)
	s_or_b32 exec_lo, exec_lo, s8
	v_lshrrev_b32_e32 v77, 16, v76
	v_mov_b64_e32 v[72:73], 0
	v_mov_b64_e32 v[74:75], 0
	s_mov_b32 s8, exec_lo
	v_and_b32_e32 v6, 0xff, v77
	s_delay_alu instid0(VALU_DEP_1)
	v_cmpx_ne_u16_e32 0, v6
	s_cbranch_execz .LBB204_1152
; %bb.1145:                             ;   in Loop: Header=BB204_685 Depth=1
	v_mov_b64_e32 v[74:75], 0x80000000
	s_mov_b32 s9, exec_lo
	v_cmpx_ne_u16_e32 0x80, v6
	s_cbranch_execz .LBB204_1151
; %bb.1146:                             ;   in Loop: Header=BB204_685 Depth=1
	v_mov_b64_e32 v[74:75], 0x7f800001
	v_bfe_u32 v49, v76, 16, 7
	s_mov_b32 s14, exec_lo
	s_delay_alu instid0(VALU_DEP_1)
	v_cmpx_ne_u32_e32 0x7f, v49
	s_cbranch_execz .LBB204_1150
; %bb.1147:                             ;   in Loop: Header=BB204_685 Depth=1
	v_and_b32_e32 v6, 7, v77
	v_lshrrev_b32_e32 v48, 3, v49
	s_mov_b32 s15, exec_lo
	v_cmpx_gt_u32_e32 8, v49
; %bb.1148:                             ;   in Loop: Header=BB204_685 Depth=1
	s_delay_alu instid0(VALU_DEP_3) | instskip(NEXT) | instid1(VALU_DEP_1)
	v_clz_i32_u32_e32 v48, v6
	v_min_u32_e32 v48, 32, v48
	s_delay_alu instid0(VALU_DEP_1) | instskip(NEXT) | instid1(VALU_DEP_1)
	v_subrev_nc_u32_e32 v49, 28, v48
	v_lshlrev_b64_e32 v[74:75], v49, v[6:7]
	s_delay_alu instid0(VALU_DEP_1)
	v_dual_sub_nc_u32 v48, 29, v48 :: v_dual_bitop2_b32 v6, 7, v74 bitop3:0x40
; %bb.1149:                             ;   in Loop: Header=BB204_685 Depth=1
	s_or_b32 exec_lo, exec_lo, s15
	s_delay_alu instid0(VALU_DEP_1) | instskip(NEXT) | instid1(VALU_DEP_2)
	v_dual_lshlrev_b32 v49, 24, v77 :: v_dual_lshlrev_b32 v6, 20, v6
	v_lshl_add_u32 v48, v48, 23, 0x3c000000
	s_delay_alu instid0(VALU_DEP_2) | instskip(NEXT) | instid1(VALU_DEP_1)
	v_and_b32_e32 v49, 0x80000000, v49
	v_or3_b32 v6, v6, v49, v48
	s_delay_alu instid0(VALU_DEP_1)
	v_mov_b64_e32 v[74:75], v[6:7]
.LBB204_1150:                           ;   in Loop: Header=BB204_685 Depth=1
	s_or_b32 exec_lo, exec_lo, s14
.LBB204_1151:                           ;   in Loop: Header=BB204_685 Depth=1
	s_delay_alu instid0(SALU_CYCLE_1)
	s_or_b32 exec_lo, exec_lo, s9
.LBB204_1152:                           ;   in Loop: Header=BB204_685 Depth=1
	s_delay_alu instid0(SALU_CYCLE_1) | instskip(NEXT) | instid1(SALU_CYCLE_1)
	s_or_b32 exec_lo, exec_lo, s8
	s_mov_b32 s8, exec_lo
	v_cmpx_lt_u32_e32 0xffffff, v76
	s_cbranch_execz .LBB204_1160
; %bb.1153:                             ;   in Loop: Header=BB204_685 Depth=1
	v_mov_b64_e32 v[72:73], 0x8000000000000000
	v_lshrrev_b32_e32 v48, 24, v76
	s_mov_b32 s9, exec_lo
	s_delay_alu instid0(VALU_DEP_1)
	v_cmpx_ne_u32_e32 0x80, v48
	s_cbranch_execz .LBB204_1159
; %bb.1154:                             ;   in Loop: Header=BB204_685 Depth=1
	v_mov_b64_e32 v[72:73], 0x7f80000100000000
	v_bfe_u32 v76, v76, 24, 7
	s_mov_b32 s14, exec_lo
	s_delay_alu instid0(VALU_DEP_1)
	v_cmpx_ne_u32_e32 0x7f, v76
	s_cbranch_execz .LBB204_1158
; %bb.1155:                             ;   in Loop: Header=BB204_685 Depth=1
	v_and_b32_e32 v6, 7, v48
	v_lshrrev_b32_e32 v49, 3, v76
	s_mov_b32 s15, exec_lo
	v_cmpx_gt_u32_e32 8, v76
; %bb.1156:                             ;   in Loop: Header=BB204_685 Depth=1
	s_delay_alu instid0(VALU_DEP_3) | instskip(NEXT) | instid1(VALU_DEP_1)
	v_clz_i32_u32_e32 v49, v6
	v_min_u32_e32 v49, 32, v49
	s_delay_alu instid0(VALU_DEP_1) | instskip(NEXT) | instid1(VALU_DEP_1)
	v_subrev_nc_u32_e32 v72, 28, v49
	v_lshlrev_b64_e32 v[72:73], v72, v[6:7]
	s_delay_alu instid0(VALU_DEP_1)
	v_dual_sub_nc_u32 v49, 29, v49 :: v_dual_bitop2_b32 v6, 7, v72 bitop3:0x40
; %bb.1157:                             ;   in Loop: Header=BB204_685 Depth=1
	s_or_b32 exec_lo, exec_lo, s15
	s_delay_alu instid0(VALU_DEP_1) | instskip(NEXT) | instid1(VALU_DEP_2)
	v_dual_lshlrev_b32 v48, 24, v48 :: v_dual_lshlrev_b32 v6, 20, v6
	v_lshl_add_u32 v49, v49, 23, 0x3c000000
	v_mov_b32_e32 v72, v7
	s_delay_alu instid0(VALU_DEP_3) | instskip(NEXT) | instid1(VALU_DEP_1)
	v_and_b32_e32 v48, 0x80000000, v48
	v_or3_b32 v73, v6, v48, v49
.LBB204_1158:                           ;   in Loop: Header=BB204_685 Depth=1
	s_or_b32 exec_lo, exec_lo, s14
.LBB204_1159:                           ;   in Loop: Header=BB204_685 Depth=1
	s_delay_alu instid0(SALU_CYCLE_1)
	s_or_b32 exec_lo, exec_lo, s9
.LBB204_1160:                           ;   in Loop: Header=BB204_685 Depth=1
	s_delay_alu instid0(SALU_CYCLE_1) | instskip(SKIP_4) | instid1(VALU_DEP_3)
	s_or_b32 exec_lo, exec_lo, s8
	v_or_b32_e32 v49, v61, v63
	v_or_b32_e32 v48, v60, v62
	;; [unrolled: 1-line block ×4, first 2 shown]
	v_pk_mul_f32 v[62:63], v[50:51], v[48:49]
	s_delay_alu instid0(VALU_DEP_2)
	v_pk_mul_f32 v[60:61], v[50:51], v[60:61]
	s_and_saveexec_b32 s8, vcc_lo
	s_cbranch_execz .LBB204_1162
; %bb.1161:                             ;   in Loop: Header=BB204_685 Depth=1
	v_cmp_lt_i32_e64 s0, v9, v16
	s_delay_alu instid0(VALU_DEP_1) | instskip(SKIP_1) | instid1(VALU_DEP_1)
	v_cndmask_b32_e64 v62, 0, v62, s0
	v_cmp_lt_i32_e64 s0, v27, v16
	v_cndmask_b32_e64 v63, 0, v63, s0
	v_cmp_lt_i32_e64 s0, v121, v16
	s_delay_alu instid0(VALU_DEP_1) | instskip(SKIP_1) | instid1(VALU_DEP_1)
	v_cndmask_b32_e64 v60, 0, v60, s0
	v_cmp_lt_i32_e64 s0, v120, v16
	v_cndmask_b32_e64 v61, 0, v61, s0
.LBB204_1162:                           ;   in Loop: Header=BB204_685 Depth=1
	s_or_b32 exec_lo, exec_lo, s8
	flat_load_b32 v88, v[64:65] offset:1792
	v_mov_b64_e32 v[72:73], 0
	v_mov_b64_e32 v[74:75], 0
	s_mov_b32 s8, exec_lo
	s_wait_loadcnt_dscnt 0x0
	v_and_b32_e32 v6, 0xff, v88
	s_wait_xcnt 0x0
	s_delay_alu instid0(VALU_DEP_1)
	v_cmpx_ne_u16_e32 0, v6
	s_cbranch_execz .LBB204_1170
; %bb.1163:                             ;   in Loop: Header=BB204_685 Depth=1
	v_mov_b64_e32 v[74:75], 0x80000000
	s_mov_b32 s9, exec_lo
	v_cmpx_ne_u16_e32 0x80, v6
	s_cbranch_execz .LBB204_1169
; %bb.1164:                             ;   in Loop: Header=BB204_685 Depth=1
	v_mov_b64_e32 v[74:75], 0x7f800001
	v_and_b32_e32 v49, 0x7f, v88
	s_mov_b32 s14, exec_lo
	s_delay_alu instid0(VALU_DEP_1)
	v_cmpx_ne_u32_e32 0x7f, v49
	s_cbranch_execz .LBB204_1168
; %bb.1165:                             ;   in Loop: Header=BB204_685 Depth=1
	v_dual_lshrrev_b32 v48, 3, v49 :: v_dual_bitop2_b32 v6, 7, v88 bitop3:0x40
	s_mov_b32 s15, exec_lo
	v_cmpx_gt_u32_e32 8, v49
; %bb.1166:                             ;   in Loop: Header=BB204_685 Depth=1
	s_delay_alu instid0(VALU_DEP_2) | instskip(NEXT) | instid1(VALU_DEP_1)
	v_clz_i32_u32_e32 v48, v6
	v_min_u32_e32 v48, 32, v48
	s_delay_alu instid0(VALU_DEP_1) | instskip(NEXT) | instid1(VALU_DEP_1)
	v_subrev_nc_u32_e32 v49, 28, v48
	v_lshlrev_b64_e32 v[74:75], v49, v[6:7]
	s_delay_alu instid0(VALU_DEP_1)
	v_dual_sub_nc_u32 v48, 29, v48 :: v_dual_bitop2_b32 v6, 7, v74 bitop3:0x40
; %bb.1167:                             ;   in Loop: Header=BB204_685 Depth=1
	s_or_b32 exec_lo, exec_lo, s15
	s_delay_alu instid0(VALU_DEP_1) | instskip(NEXT) | instid1(VALU_DEP_2)
	v_dual_lshlrev_b32 v49, 24, v88 :: v_dual_lshlrev_b32 v6, 20, v6
	v_lshl_add_u32 v48, v48, 23, 0x3c000000
	s_delay_alu instid0(VALU_DEP_2) | instskip(NEXT) | instid1(VALU_DEP_1)
	v_and_b32_e32 v49, 0x80000000, v49
	v_or3_b32 v6, v6, v49, v48
	s_delay_alu instid0(VALU_DEP_1)
	v_mov_b64_e32 v[74:75], v[6:7]
.LBB204_1168:                           ;   in Loop: Header=BB204_685 Depth=1
	s_or_b32 exec_lo, exec_lo, s14
.LBB204_1169:                           ;   in Loop: Header=BB204_685 Depth=1
	s_delay_alu instid0(SALU_CYCLE_1)
	s_or_b32 exec_lo, exec_lo, s9
.LBB204_1170:                           ;   in Loop: Header=BB204_685 Depth=1
	s_delay_alu instid0(SALU_CYCLE_1) | instskip(SKIP_2) | instid1(VALU_DEP_1)
	s_or_b32 exec_lo, exec_lo, s8
	v_lshrrev_b16 v6, 8, v88
	s_mov_b32 s8, exec_lo
	v_cmpx_ne_u16_e32 0, v6
	s_cbranch_execz .LBB204_1178
; %bb.1171:                             ;   in Loop: Header=BB204_685 Depth=1
	v_mov_b64_e32 v[72:73], 0x8000000000000000
	s_mov_b32 s9, exec_lo
	v_cmpx_ne_u16_e32 0x80, v6
	s_cbranch_execz .LBB204_1177
; %bb.1172:                             ;   in Loop: Header=BB204_685 Depth=1
	v_and_b32_e32 v6, 0xffff, v6
	v_mov_b64_e32 v[72:73], 0x7f80000100000000
	s_mov_b32 s14, exec_lo
	s_delay_alu instid0(VALU_DEP_2) | instskip(NEXT) | instid1(VALU_DEP_1)
	v_and_b32_e32 v49, 0x7f, v6
	v_cmpx_ne_u32_e32 0x7f, v49
	s_cbranch_execz .LBB204_1176
; %bb.1173:                             ;   in Loop: Header=BB204_685 Depth=1
	v_dual_lshrrev_b32 v48, 3, v49 :: v_dual_bitop2_b32 v6, 7, v6 bitop3:0x40
	s_mov_b32 s15, exec_lo
	v_cmpx_gt_u32_e32 8, v49
; %bb.1174:                             ;   in Loop: Header=BB204_685 Depth=1
	s_delay_alu instid0(VALU_DEP_2) | instskip(NEXT) | instid1(VALU_DEP_1)
	v_clz_i32_u32_e32 v48, v6
	v_min_u32_e32 v48, 32, v48
	s_delay_alu instid0(VALU_DEP_1) | instskip(SKIP_1) | instid1(VALU_DEP_2)
	v_subrev_nc_u32_e32 v49, 28, v48
	v_sub_nc_u32_e32 v48, 29, v48
	v_lshlrev_b64_e32 v[72:73], v49, v[6:7]
	s_delay_alu instid0(VALU_DEP_1)
	v_and_b32_e32 v6, 7, v72
; %bb.1175:                             ;   in Loop: Header=BB204_685 Depth=1
	s_or_b32 exec_lo, exec_lo, s15
	s_delay_alu instid0(VALU_DEP_1) | instskip(SKIP_2) | instid1(VALU_DEP_3)
	v_dual_lshlrev_b32 v49, 16, v88 :: v_dual_lshlrev_b32 v6, 20, v6
	v_lshl_add_u32 v48, v48, 23, 0x3c000000
	v_mov_b32_e32 v72, v7
	v_and_b32_e32 v49, 0x80000000, v49
	s_delay_alu instid0(VALU_DEP_1)
	v_or3_b32 v73, v6, v49, v48
.LBB204_1176:                           ;   in Loop: Header=BB204_685 Depth=1
	s_or_b32 exec_lo, exec_lo, s14
.LBB204_1177:                           ;   in Loop: Header=BB204_685 Depth=1
	s_delay_alu instid0(SALU_CYCLE_1)
	s_or_b32 exec_lo, exec_lo, s9
.LBB204_1178:                           ;   in Loop: Header=BB204_685 Depth=1
	s_delay_alu instid0(SALU_CYCLE_1) | instskip(SKIP_4) | instid1(VALU_DEP_3)
	s_or_b32 exec_lo, exec_lo, s8
	v_lshrrev_b32_e32 v89, 16, v88
	v_mov_b64_e32 v[76:77], 0
	v_mov_b64_e32 v[78:79], 0
	s_mov_b32 s8, exec_lo
	v_and_b32_e32 v6, 0xff, v89
	s_delay_alu instid0(VALU_DEP_1)
	v_cmpx_ne_u16_e32 0, v6
	s_cbranch_execz .LBB204_1186
; %bb.1179:                             ;   in Loop: Header=BB204_685 Depth=1
	v_mov_b64_e32 v[78:79], 0x80000000
	s_mov_b32 s9, exec_lo
	v_cmpx_ne_u16_e32 0x80, v6
	s_cbranch_execz .LBB204_1185
; %bb.1180:                             ;   in Loop: Header=BB204_685 Depth=1
	v_mov_b64_e32 v[78:79], 0x7f800001
	v_bfe_u32 v49, v88, 16, 7
	s_mov_b32 s14, exec_lo
	s_delay_alu instid0(VALU_DEP_1)
	v_cmpx_ne_u32_e32 0x7f, v49
	s_cbranch_execz .LBB204_1184
; %bb.1181:                             ;   in Loop: Header=BB204_685 Depth=1
	v_and_b32_e32 v6, 7, v89
	v_lshrrev_b32_e32 v48, 3, v49
	s_mov_b32 s15, exec_lo
	v_cmpx_gt_u32_e32 8, v49
; %bb.1182:                             ;   in Loop: Header=BB204_685 Depth=1
	s_delay_alu instid0(VALU_DEP_3) | instskip(NEXT) | instid1(VALU_DEP_1)
	v_clz_i32_u32_e32 v48, v6
	v_min_u32_e32 v48, 32, v48
	s_delay_alu instid0(VALU_DEP_1) | instskip(NEXT) | instid1(VALU_DEP_1)
	v_subrev_nc_u32_e32 v49, 28, v48
	v_lshlrev_b64_e32 v[78:79], v49, v[6:7]
	s_delay_alu instid0(VALU_DEP_1)
	v_dual_sub_nc_u32 v48, 29, v48 :: v_dual_bitop2_b32 v6, 7, v78 bitop3:0x40
; %bb.1183:                             ;   in Loop: Header=BB204_685 Depth=1
	s_or_b32 exec_lo, exec_lo, s15
	s_delay_alu instid0(VALU_DEP_1) | instskip(NEXT) | instid1(VALU_DEP_2)
	v_dual_lshlrev_b32 v49, 24, v89 :: v_dual_lshlrev_b32 v6, 20, v6
	v_lshl_add_u32 v48, v48, 23, 0x3c000000
	s_delay_alu instid0(VALU_DEP_2) | instskip(NEXT) | instid1(VALU_DEP_1)
	v_and_b32_e32 v49, 0x80000000, v49
	v_or3_b32 v6, v6, v49, v48
	s_delay_alu instid0(VALU_DEP_1)
	v_mov_b64_e32 v[78:79], v[6:7]
.LBB204_1184:                           ;   in Loop: Header=BB204_685 Depth=1
	s_or_b32 exec_lo, exec_lo, s14
.LBB204_1185:                           ;   in Loop: Header=BB204_685 Depth=1
	s_delay_alu instid0(SALU_CYCLE_1)
	s_or_b32 exec_lo, exec_lo, s9
.LBB204_1186:                           ;   in Loop: Header=BB204_685 Depth=1
	s_delay_alu instid0(SALU_CYCLE_1) | instskip(NEXT) | instid1(SALU_CYCLE_1)
	s_or_b32 exec_lo, exec_lo, s8
	s_mov_b32 s8, exec_lo
	v_cmpx_lt_u32_e32 0xffffff, v88
	s_cbranch_execz .LBB204_1194
; %bb.1187:                             ;   in Loop: Header=BB204_685 Depth=1
	v_mov_b64_e32 v[76:77], 0x8000000000000000
	v_lshrrev_b32_e32 v48, 24, v88
	s_mov_b32 s9, exec_lo
	s_delay_alu instid0(VALU_DEP_1)
	v_cmpx_ne_u32_e32 0x80, v48
	s_cbranch_execz .LBB204_1193
; %bb.1188:                             ;   in Loop: Header=BB204_685 Depth=1
	v_mov_b64_e32 v[76:77], 0x7f80000100000000
	v_bfe_u32 v88, v88, 24, 7
	s_mov_b32 s14, exec_lo
	s_delay_alu instid0(VALU_DEP_1)
	v_cmpx_ne_u32_e32 0x7f, v88
	s_cbranch_execz .LBB204_1192
; %bb.1189:                             ;   in Loop: Header=BB204_685 Depth=1
	v_and_b32_e32 v6, 7, v48
	v_lshrrev_b32_e32 v49, 3, v88
	s_mov_b32 s15, exec_lo
	v_cmpx_gt_u32_e32 8, v88
; %bb.1190:                             ;   in Loop: Header=BB204_685 Depth=1
	s_delay_alu instid0(VALU_DEP_3) | instskip(NEXT) | instid1(VALU_DEP_1)
	v_clz_i32_u32_e32 v49, v6
	v_min_u32_e32 v49, 32, v49
	s_delay_alu instid0(VALU_DEP_1) | instskip(NEXT) | instid1(VALU_DEP_1)
	v_subrev_nc_u32_e32 v76, 28, v49
	v_lshlrev_b64_e32 v[76:77], v76, v[6:7]
	s_delay_alu instid0(VALU_DEP_1)
	v_dual_sub_nc_u32 v49, 29, v49 :: v_dual_bitop2_b32 v6, 7, v76 bitop3:0x40
; %bb.1191:                             ;   in Loop: Header=BB204_685 Depth=1
	s_or_b32 exec_lo, exec_lo, s15
	s_delay_alu instid0(VALU_DEP_1) | instskip(NEXT) | instid1(VALU_DEP_2)
	v_dual_lshlrev_b32 v48, 24, v48 :: v_dual_lshlrev_b32 v6, 20, v6
	v_lshl_add_u32 v49, v49, 23, 0x3c000000
	v_mov_b32_e32 v76, v7
	s_delay_alu instid0(VALU_DEP_3) | instskip(NEXT) | instid1(VALU_DEP_1)
	v_and_b32_e32 v48, 0x80000000, v48
	v_or3_b32 v77, v6, v48, v49
.LBB204_1192:                           ;   in Loop: Header=BB204_685 Depth=1
	s_or_b32 exec_lo, exec_lo, s14
.LBB204_1193:                           ;   in Loop: Header=BB204_685 Depth=1
	s_delay_alu instid0(SALU_CYCLE_1)
	s_or_b32 exec_lo, exec_lo, s9
.LBB204_1194:                           ;   in Loop: Header=BB204_685 Depth=1
	s_delay_alu instid0(SALU_CYCLE_1) | instskip(SKIP_4) | instid1(VALU_DEP_3)
	s_or_b32 exec_lo, exec_lo, s8
	v_or_b32_e32 v49, v73, v75
	v_or_b32_e32 v48, v72, v74
	;; [unrolled: 1-line block ×4, first 2 shown]
	v_pk_mul_f32 v[74:75], v[50:51], v[48:49]
	s_delay_alu instid0(VALU_DEP_2)
	v_pk_mul_f32 v[72:73], v[50:51], v[72:73]
	s_and_saveexec_b32 s8, vcc_lo
	s_cbranch_execz .LBB204_1196
; %bb.1195:                             ;   in Loop: Header=BB204_685 Depth=1
	v_cmp_lt_i32_e64 s0, v9, v16
	s_delay_alu instid0(VALU_DEP_1) | instskip(SKIP_1) | instid1(VALU_DEP_1)
	v_cndmask_b32_e64 v74, 0, v74, s0
	v_cmp_lt_i32_e64 s0, v27, v16
	v_cndmask_b32_e64 v75, 0, v75, s0
	v_cmp_lt_i32_e64 s0, v121, v16
	s_delay_alu instid0(VALU_DEP_1) | instskip(SKIP_1) | instid1(VALU_DEP_1)
	v_cndmask_b32_e64 v72, 0, v72, s0
	v_cmp_lt_i32_e64 s0, v120, v16
	v_cndmask_b32_e64 v73, 0, v73, s0
.LBB204_1196:                           ;   in Loop: Header=BB204_685 Depth=1
	s_or_b32 exec_lo, exec_lo, s8
	flat_load_b32 v92, v[64:65] offset:1920
	v_mov_b64_e32 v[76:77], 0
	v_mov_b64_e32 v[78:79], 0
	s_mov_b32 s8, exec_lo
	s_wait_loadcnt_dscnt 0x0
	v_and_b32_e32 v6, 0xff, v92
	s_wait_xcnt 0x0
	s_delay_alu instid0(VALU_DEP_1)
	v_cmpx_ne_u16_e32 0, v6
	s_cbranch_execz .LBB204_1204
; %bb.1197:                             ;   in Loop: Header=BB204_685 Depth=1
	v_mov_b64_e32 v[78:79], 0x80000000
	s_mov_b32 s9, exec_lo
	v_cmpx_ne_u16_e32 0x80, v6
	s_cbranch_execz .LBB204_1203
; %bb.1198:                             ;   in Loop: Header=BB204_685 Depth=1
	v_mov_b64_e32 v[78:79], 0x7f800001
	v_and_b32_e32 v49, 0x7f, v92
	s_mov_b32 s14, exec_lo
	s_delay_alu instid0(VALU_DEP_1)
	v_cmpx_ne_u32_e32 0x7f, v49
	s_cbranch_execz .LBB204_1202
; %bb.1199:                             ;   in Loop: Header=BB204_685 Depth=1
	v_dual_lshrrev_b32 v48, 3, v49 :: v_dual_bitop2_b32 v6, 7, v92 bitop3:0x40
	s_mov_b32 s15, exec_lo
	v_cmpx_gt_u32_e32 8, v49
; %bb.1200:                             ;   in Loop: Header=BB204_685 Depth=1
	s_delay_alu instid0(VALU_DEP_2) | instskip(NEXT) | instid1(VALU_DEP_1)
	v_clz_i32_u32_e32 v48, v6
	v_min_u32_e32 v48, 32, v48
	s_delay_alu instid0(VALU_DEP_1) | instskip(NEXT) | instid1(VALU_DEP_1)
	v_subrev_nc_u32_e32 v49, 28, v48
	v_lshlrev_b64_e32 v[78:79], v49, v[6:7]
	s_delay_alu instid0(VALU_DEP_1)
	v_dual_sub_nc_u32 v48, 29, v48 :: v_dual_bitop2_b32 v6, 7, v78 bitop3:0x40
; %bb.1201:                             ;   in Loop: Header=BB204_685 Depth=1
	s_or_b32 exec_lo, exec_lo, s15
	s_delay_alu instid0(VALU_DEP_1) | instskip(NEXT) | instid1(VALU_DEP_2)
	v_dual_lshlrev_b32 v49, 24, v92 :: v_dual_lshlrev_b32 v6, 20, v6
	v_lshl_add_u32 v48, v48, 23, 0x3c000000
	s_delay_alu instid0(VALU_DEP_2) | instskip(NEXT) | instid1(VALU_DEP_1)
	v_and_b32_e32 v49, 0x80000000, v49
	v_or3_b32 v6, v6, v49, v48
	s_delay_alu instid0(VALU_DEP_1)
	v_mov_b64_e32 v[78:79], v[6:7]
.LBB204_1202:                           ;   in Loop: Header=BB204_685 Depth=1
	s_or_b32 exec_lo, exec_lo, s14
.LBB204_1203:                           ;   in Loop: Header=BB204_685 Depth=1
	s_delay_alu instid0(SALU_CYCLE_1)
	s_or_b32 exec_lo, exec_lo, s9
.LBB204_1204:                           ;   in Loop: Header=BB204_685 Depth=1
	s_delay_alu instid0(SALU_CYCLE_1) | instskip(SKIP_2) | instid1(VALU_DEP_1)
	s_or_b32 exec_lo, exec_lo, s8
	v_lshrrev_b16 v6, 8, v92
	s_mov_b32 s8, exec_lo
	v_cmpx_ne_u16_e32 0, v6
	s_cbranch_execz .LBB204_1212
; %bb.1205:                             ;   in Loop: Header=BB204_685 Depth=1
	v_mov_b64_e32 v[76:77], 0x8000000000000000
	s_mov_b32 s9, exec_lo
	v_cmpx_ne_u16_e32 0x80, v6
	s_cbranch_execz .LBB204_1211
; %bb.1206:                             ;   in Loop: Header=BB204_685 Depth=1
	v_and_b32_e32 v6, 0xffff, v6
	v_mov_b64_e32 v[76:77], 0x7f80000100000000
	s_mov_b32 s14, exec_lo
	s_delay_alu instid0(VALU_DEP_2) | instskip(NEXT) | instid1(VALU_DEP_1)
	v_and_b32_e32 v49, 0x7f, v6
	v_cmpx_ne_u32_e32 0x7f, v49
	s_cbranch_execz .LBB204_1210
; %bb.1207:                             ;   in Loop: Header=BB204_685 Depth=1
	v_dual_lshrrev_b32 v48, 3, v49 :: v_dual_bitop2_b32 v6, 7, v6 bitop3:0x40
	s_mov_b32 s15, exec_lo
	v_cmpx_gt_u32_e32 8, v49
; %bb.1208:                             ;   in Loop: Header=BB204_685 Depth=1
	s_delay_alu instid0(VALU_DEP_2) | instskip(NEXT) | instid1(VALU_DEP_1)
	v_clz_i32_u32_e32 v48, v6
	v_min_u32_e32 v48, 32, v48
	s_delay_alu instid0(VALU_DEP_1) | instskip(SKIP_1) | instid1(VALU_DEP_2)
	v_subrev_nc_u32_e32 v49, 28, v48
	v_sub_nc_u32_e32 v48, 29, v48
	v_lshlrev_b64_e32 v[76:77], v49, v[6:7]
	s_delay_alu instid0(VALU_DEP_1)
	v_and_b32_e32 v6, 7, v76
; %bb.1209:                             ;   in Loop: Header=BB204_685 Depth=1
	s_or_b32 exec_lo, exec_lo, s15
	s_delay_alu instid0(VALU_DEP_1) | instskip(SKIP_2) | instid1(VALU_DEP_3)
	v_dual_lshlrev_b32 v49, 16, v92 :: v_dual_lshlrev_b32 v6, 20, v6
	v_lshl_add_u32 v48, v48, 23, 0x3c000000
	v_mov_b32_e32 v76, v7
	v_and_b32_e32 v49, 0x80000000, v49
	s_delay_alu instid0(VALU_DEP_1)
	v_or3_b32 v77, v6, v49, v48
.LBB204_1210:                           ;   in Loop: Header=BB204_685 Depth=1
	s_or_b32 exec_lo, exec_lo, s14
.LBB204_1211:                           ;   in Loop: Header=BB204_685 Depth=1
	s_delay_alu instid0(SALU_CYCLE_1)
	s_or_b32 exec_lo, exec_lo, s9
.LBB204_1212:                           ;   in Loop: Header=BB204_685 Depth=1
	s_delay_alu instid0(SALU_CYCLE_1) | instskip(SKIP_4) | instid1(VALU_DEP_3)
	s_or_b32 exec_lo, exec_lo, s8
	v_lshrrev_b32_e32 v93, 16, v92
	v_mov_b64_e32 v[88:89], 0
	v_mov_b64_e32 v[90:91], 0
	s_mov_b32 s8, exec_lo
	v_and_b32_e32 v6, 0xff, v93
	s_delay_alu instid0(VALU_DEP_1)
	v_cmpx_ne_u16_e32 0, v6
	s_cbranch_execz .LBB204_1220
; %bb.1213:                             ;   in Loop: Header=BB204_685 Depth=1
	v_mov_b64_e32 v[90:91], 0x80000000
	s_mov_b32 s9, exec_lo
	v_cmpx_ne_u16_e32 0x80, v6
	s_cbranch_execz .LBB204_1219
; %bb.1214:                             ;   in Loop: Header=BB204_685 Depth=1
	v_mov_b64_e32 v[90:91], 0x7f800001
	v_bfe_u32 v49, v92, 16, 7
	s_mov_b32 s14, exec_lo
	s_delay_alu instid0(VALU_DEP_1)
	v_cmpx_ne_u32_e32 0x7f, v49
	s_cbranch_execz .LBB204_1218
; %bb.1215:                             ;   in Loop: Header=BB204_685 Depth=1
	v_and_b32_e32 v6, 7, v93
	v_lshrrev_b32_e32 v48, 3, v49
	s_mov_b32 s15, exec_lo
	v_cmpx_gt_u32_e32 8, v49
; %bb.1216:                             ;   in Loop: Header=BB204_685 Depth=1
	s_delay_alu instid0(VALU_DEP_3) | instskip(NEXT) | instid1(VALU_DEP_1)
	v_clz_i32_u32_e32 v48, v6
	v_min_u32_e32 v48, 32, v48
	s_delay_alu instid0(VALU_DEP_1) | instskip(NEXT) | instid1(VALU_DEP_1)
	v_subrev_nc_u32_e32 v49, 28, v48
	v_lshlrev_b64_e32 v[90:91], v49, v[6:7]
	s_delay_alu instid0(VALU_DEP_1)
	v_dual_sub_nc_u32 v48, 29, v48 :: v_dual_bitop2_b32 v6, 7, v90 bitop3:0x40
; %bb.1217:                             ;   in Loop: Header=BB204_685 Depth=1
	s_or_b32 exec_lo, exec_lo, s15
	s_delay_alu instid0(VALU_DEP_1) | instskip(NEXT) | instid1(VALU_DEP_2)
	v_dual_lshlrev_b32 v49, 24, v93 :: v_dual_lshlrev_b32 v6, 20, v6
	v_lshl_add_u32 v48, v48, 23, 0x3c000000
	s_delay_alu instid0(VALU_DEP_2) | instskip(NEXT) | instid1(VALU_DEP_1)
	v_and_b32_e32 v49, 0x80000000, v49
	v_or3_b32 v6, v6, v49, v48
	s_delay_alu instid0(VALU_DEP_1)
	v_mov_b64_e32 v[90:91], v[6:7]
.LBB204_1218:                           ;   in Loop: Header=BB204_685 Depth=1
	s_or_b32 exec_lo, exec_lo, s14
.LBB204_1219:                           ;   in Loop: Header=BB204_685 Depth=1
	s_delay_alu instid0(SALU_CYCLE_1)
	s_or_b32 exec_lo, exec_lo, s9
.LBB204_1220:                           ;   in Loop: Header=BB204_685 Depth=1
	s_delay_alu instid0(SALU_CYCLE_1) | instskip(NEXT) | instid1(SALU_CYCLE_1)
	s_or_b32 exec_lo, exec_lo, s8
	s_mov_b32 s8, exec_lo
	v_cmpx_lt_u32_e32 0xffffff, v92
	s_cbranch_execz .LBB204_1228
; %bb.1221:                             ;   in Loop: Header=BB204_685 Depth=1
	v_mov_b64_e32 v[88:89], 0x8000000000000000
	v_lshrrev_b32_e32 v48, 24, v92
	s_mov_b32 s9, exec_lo
	s_delay_alu instid0(VALU_DEP_1)
	v_cmpx_ne_u32_e32 0x80, v48
	s_cbranch_execz .LBB204_1227
; %bb.1222:                             ;   in Loop: Header=BB204_685 Depth=1
	v_mov_b64_e32 v[88:89], 0x7f80000100000000
	v_bfe_u32 v92, v92, 24, 7
	s_mov_b32 s14, exec_lo
	s_delay_alu instid0(VALU_DEP_1)
	v_cmpx_ne_u32_e32 0x7f, v92
	s_cbranch_execz .LBB204_1226
; %bb.1223:                             ;   in Loop: Header=BB204_685 Depth=1
	v_and_b32_e32 v6, 7, v48
	v_lshrrev_b32_e32 v49, 3, v92
	s_mov_b32 s15, exec_lo
	v_cmpx_gt_u32_e32 8, v92
; %bb.1224:                             ;   in Loop: Header=BB204_685 Depth=1
	s_delay_alu instid0(VALU_DEP_3) | instskip(NEXT) | instid1(VALU_DEP_1)
	v_clz_i32_u32_e32 v49, v6
	v_min_u32_e32 v49, 32, v49
	s_delay_alu instid0(VALU_DEP_1) | instskip(NEXT) | instid1(VALU_DEP_1)
	v_subrev_nc_u32_e32 v88, 28, v49
	v_lshlrev_b64_e32 v[88:89], v88, v[6:7]
	s_delay_alu instid0(VALU_DEP_1)
	v_dual_sub_nc_u32 v49, 29, v49 :: v_dual_bitop2_b32 v6, 7, v88 bitop3:0x40
; %bb.1225:                             ;   in Loop: Header=BB204_685 Depth=1
	s_or_b32 exec_lo, exec_lo, s15
	s_delay_alu instid0(VALU_DEP_1) | instskip(NEXT) | instid1(VALU_DEP_2)
	v_dual_lshlrev_b32 v48, 24, v48 :: v_dual_lshlrev_b32 v6, 20, v6
	v_lshl_add_u32 v49, v49, 23, 0x3c000000
	v_mov_b32_e32 v88, v7
	s_delay_alu instid0(VALU_DEP_3) | instskip(NEXT) | instid1(VALU_DEP_1)
	v_and_b32_e32 v48, 0x80000000, v48
	v_or3_b32 v89, v6, v48, v49
.LBB204_1226:                           ;   in Loop: Header=BB204_685 Depth=1
	s_or_b32 exec_lo, exec_lo, s14
.LBB204_1227:                           ;   in Loop: Header=BB204_685 Depth=1
	s_delay_alu instid0(SALU_CYCLE_1)
	s_or_b32 exec_lo, exec_lo, s9
.LBB204_1228:                           ;   in Loop: Header=BB204_685 Depth=1
	s_delay_alu instid0(SALU_CYCLE_1) | instskip(SKIP_4) | instid1(VALU_DEP_3)
	s_or_b32 exec_lo, exec_lo, s8
	v_or_b32_e32 v49, v77, v79
	v_or_b32_e32 v48, v76, v78
	;; [unrolled: 1-line block ×4, first 2 shown]
	v_pk_mul_f32 v[78:79], v[50:51], v[48:49]
	s_delay_alu instid0(VALU_DEP_2)
	v_pk_mul_f32 v[76:77], v[50:51], v[76:77]
	s_and_saveexec_b32 s8, vcc_lo
	s_cbranch_execz .LBB204_1230
; %bb.1229:                             ;   in Loop: Header=BB204_685 Depth=1
	v_cmp_lt_i32_e64 s0, v9, v16
	s_delay_alu instid0(VALU_DEP_1) | instskip(SKIP_1) | instid1(VALU_DEP_1)
	v_cndmask_b32_e64 v78, 0, v78, s0
	v_cmp_lt_i32_e64 s0, v27, v16
	v_cndmask_b32_e64 v79, 0, v79, s0
	v_cmp_lt_i32_e64 s0, v121, v16
	s_delay_alu instid0(VALU_DEP_1) | instskip(SKIP_1) | instid1(VALU_DEP_1)
	v_cndmask_b32_e64 v76, 0, v76, s0
	v_cmp_lt_i32_e64 s0, v120, v16
	v_cndmask_b32_e64 v77, 0, v77, s0
.LBB204_1230:                           ;   in Loop: Header=BB204_685 Depth=1
	s_or_b32 exec_lo, exec_lo, s8
	flat_load_b32 v104, v[64:65] offset:2048
	v_mov_b64_e32 v[88:89], 0
	v_mov_b64_e32 v[90:91], 0
	s_mov_b32 s8, exec_lo
	s_wait_loadcnt_dscnt 0x0
	v_and_b32_e32 v6, 0xff, v104
	s_wait_xcnt 0x0
	s_delay_alu instid0(VALU_DEP_1)
	v_cmpx_ne_u16_e32 0, v6
	s_cbranch_execz .LBB204_1238
; %bb.1231:                             ;   in Loop: Header=BB204_685 Depth=1
	v_mov_b64_e32 v[90:91], 0x80000000
	s_mov_b32 s9, exec_lo
	v_cmpx_ne_u16_e32 0x80, v6
	s_cbranch_execz .LBB204_1237
; %bb.1232:                             ;   in Loop: Header=BB204_685 Depth=1
	v_mov_b64_e32 v[90:91], 0x7f800001
	v_and_b32_e32 v49, 0x7f, v104
	s_mov_b32 s14, exec_lo
	s_delay_alu instid0(VALU_DEP_1)
	v_cmpx_ne_u32_e32 0x7f, v49
	s_cbranch_execz .LBB204_1236
; %bb.1233:                             ;   in Loop: Header=BB204_685 Depth=1
	v_dual_lshrrev_b32 v48, 3, v49 :: v_dual_bitop2_b32 v6, 7, v104 bitop3:0x40
	s_mov_b32 s15, exec_lo
	v_cmpx_gt_u32_e32 8, v49
; %bb.1234:                             ;   in Loop: Header=BB204_685 Depth=1
	s_delay_alu instid0(VALU_DEP_2) | instskip(NEXT) | instid1(VALU_DEP_1)
	v_clz_i32_u32_e32 v48, v6
	v_min_u32_e32 v48, 32, v48
	s_delay_alu instid0(VALU_DEP_1) | instskip(NEXT) | instid1(VALU_DEP_1)
	v_subrev_nc_u32_e32 v49, 28, v48
	v_lshlrev_b64_e32 v[90:91], v49, v[6:7]
	s_delay_alu instid0(VALU_DEP_1)
	v_dual_sub_nc_u32 v48, 29, v48 :: v_dual_bitop2_b32 v6, 7, v90 bitop3:0x40
; %bb.1235:                             ;   in Loop: Header=BB204_685 Depth=1
	s_or_b32 exec_lo, exec_lo, s15
	s_delay_alu instid0(VALU_DEP_1) | instskip(NEXT) | instid1(VALU_DEP_2)
	v_dual_lshlrev_b32 v49, 24, v104 :: v_dual_lshlrev_b32 v6, 20, v6
	v_lshl_add_u32 v48, v48, 23, 0x3c000000
	s_delay_alu instid0(VALU_DEP_2) | instskip(NEXT) | instid1(VALU_DEP_1)
	v_and_b32_e32 v49, 0x80000000, v49
	v_or3_b32 v6, v6, v49, v48
	s_delay_alu instid0(VALU_DEP_1)
	v_mov_b64_e32 v[90:91], v[6:7]
.LBB204_1236:                           ;   in Loop: Header=BB204_685 Depth=1
	s_or_b32 exec_lo, exec_lo, s14
.LBB204_1237:                           ;   in Loop: Header=BB204_685 Depth=1
	s_delay_alu instid0(SALU_CYCLE_1)
	s_or_b32 exec_lo, exec_lo, s9
.LBB204_1238:                           ;   in Loop: Header=BB204_685 Depth=1
	s_delay_alu instid0(SALU_CYCLE_1) | instskip(SKIP_2) | instid1(VALU_DEP_1)
	s_or_b32 exec_lo, exec_lo, s8
	v_lshrrev_b16 v6, 8, v104
	s_mov_b32 s8, exec_lo
	v_cmpx_ne_u16_e32 0, v6
	s_cbranch_execz .LBB204_1246
; %bb.1239:                             ;   in Loop: Header=BB204_685 Depth=1
	v_mov_b64_e32 v[88:89], 0x8000000000000000
	s_mov_b32 s9, exec_lo
	v_cmpx_ne_u16_e32 0x80, v6
	s_cbranch_execz .LBB204_1245
; %bb.1240:                             ;   in Loop: Header=BB204_685 Depth=1
	v_and_b32_e32 v6, 0xffff, v6
	v_mov_b64_e32 v[88:89], 0x7f80000100000000
	s_mov_b32 s14, exec_lo
	s_delay_alu instid0(VALU_DEP_2) | instskip(NEXT) | instid1(VALU_DEP_1)
	v_and_b32_e32 v49, 0x7f, v6
	v_cmpx_ne_u32_e32 0x7f, v49
	s_cbranch_execz .LBB204_1244
; %bb.1241:                             ;   in Loop: Header=BB204_685 Depth=1
	v_dual_lshrrev_b32 v48, 3, v49 :: v_dual_bitop2_b32 v6, 7, v6 bitop3:0x40
	s_mov_b32 s15, exec_lo
	v_cmpx_gt_u32_e32 8, v49
; %bb.1242:                             ;   in Loop: Header=BB204_685 Depth=1
	s_delay_alu instid0(VALU_DEP_2) | instskip(NEXT) | instid1(VALU_DEP_1)
	v_clz_i32_u32_e32 v48, v6
	v_min_u32_e32 v48, 32, v48
	s_delay_alu instid0(VALU_DEP_1) | instskip(SKIP_1) | instid1(VALU_DEP_2)
	v_subrev_nc_u32_e32 v49, 28, v48
	v_sub_nc_u32_e32 v48, 29, v48
	v_lshlrev_b64_e32 v[88:89], v49, v[6:7]
	s_delay_alu instid0(VALU_DEP_1)
	v_and_b32_e32 v6, 7, v88
; %bb.1243:                             ;   in Loop: Header=BB204_685 Depth=1
	s_or_b32 exec_lo, exec_lo, s15
	s_delay_alu instid0(VALU_DEP_1) | instskip(SKIP_2) | instid1(VALU_DEP_3)
	v_dual_lshlrev_b32 v49, 16, v104 :: v_dual_lshlrev_b32 v6, 20, v6
	v_lshl_add_u32 v48, v48, 23, 0x3c000000
	v_mov_b32_e32 v88, v7
	v_and_b32_e32 v49, 0x80000000, v49
	s_delay_alu instid0(VALU_DEP_1)
	v_or3_b32 v89, v6, v49, v48
.LBB204_1244:                           ;   in Loop: Header=BB204_685 Depth=1
	s_or_b32 exec_lo, exec_lo, s14
.LBB204_1245:                           ;   in Loop: Header=BB204_685 Depth=1
	s_delay_alu instid0(SALU_CYCLE_1)
	s_or_b32 exec_lo, exec_lo, s9
.LBB204_1246:                           ;   in Loop: Header=BB204_685 Depth=1
	s_delay_alu instid0(SALU_CYCLE_1) | instskip(SKIP_4) | instid1(VALU_DEP_3)
	s_or_b32 exec_lo, exec_lo, s8
	v_lshrrev_b32_e32 v105, 16, v104
	v_mov_b64_e32 v[92:93], 0
	v_mov_b64_e32 v[94:95], 0
	s_mov_b32 s8, exec_lo
	v_and_b32_e32 v6, 0xff, v105
	s_delay_alu instid0(VALU_DEP_1)
	v_cmpx_ne_u16_e32 0, v6
	s_cbranch_execz .LBB204_1254
; %bb.1247:                             ;   in Loop: Header=BB204_685 Depth=1
	v_mov_b64_e32 v[94:95], 0x80000000
	s_mov_b32 s9, exec_lo
	v_cmpx_ne_u16_e32 0x80, v6
	s_cbranch_execz .LBB204_1253
; %bb.1248:                             ;   in Loop: Header=BB204_685 Depth=1
	v_mov_b64_e32 v[94:95], 0x7f800001
	v_bfe_u32 v49, v104, 16, 7
	s_mov_b32 s14, exec_lo
	s_delay_alu instid0(VALU_DEP_1)
	v_cmpx_ne_u32_e32 0x7f, v49
	s_cbranch_execz .LBB204_1252
; %bb.1249:                             ;   in Loop: Header=BB204_685 Depth=1
	v_and_b32_e32 v6, 7, v105
	v_lshrrev_b32_e32 v48, 3, v49
	s_mov_b32 s15, exec_lo
	v_cmpx_gt_u32_e32 8, v49
; %bb.1250:                             ;   in Loop: Header=BB204_685 Depth=1
	s_delay_alu instid0(VALU_DEP_3) | instskip(NEXT) | instid1(VALU_DEP_1)
	v_clz_i32_u32_e32 v48, v6
	v_min_u32_e32 v48, 32, v48
	s_delay_alu instid0(VALU_DEP_1) | instskip(NEXT) | instid1(VALU_DEP_1)
	v_subrev_nc_u32_e32 v49, 28, v48
	v_lshlrev_b64_e32 v[94:95], v49, v[6:7]
	s_delay_alu instid0(VALU_DEP_1)
	v_dual_sub_nc_u32 v48, 29, v48 :: v_dual_bitop2_b32 v6, 7, v94 bitop3:0x40
; %bb.1251:                             ;   in Loop: Header=BB204_685 Depth=1
	s_or_b32 exec_lo, exec_lo, s15
	s_delay_alu instid0(VALU_DEP_1) | instskip(NEXT) | instid1(VALU_DEP_2)
	v_dual_lshlrev_b32 v49, 24, v105 :: v_dual_lshlrev_b32 v6, 20, v6
	v_lshl_add_u32 v48, v48, 23, 0x3c000000
	s_delay_alu instid0(VALU_DEP_2) | instskip(NEXT) | instid1(VALU_DEP_1)
	v_and_b32_e32 v49, 0x80000000, v49
	v_or3_b32 v6, v6, v49, v48
	s_delay_alu instid0(VALU_DEP_1)
	v_mov_b64_e32 v[94:95], v[6:7]
.LBB204_1252:                           ;   in Loop: Header=BB204_685 Depth=1
	s_or_b32 exec_lo, exec_lo, s14
.LBB204_1253:                           ;   in Loop: Header=BB204_685 Depth=1
	s_delay_alu instid0(SALU_CYCLE_1)
	s_or_b32 exec_lo, exec_lo, s9
.LBB204_1254:                           ;   in Loop: Header=BB204_685 Depth=1
	s_delay_alu instid0(SALU_CYCLE_1) | instskip(NEXT) | instid1(SALU_CYCLE_1)
	s_or_b32 exec_lo, exec_lo, s8
	s_mov_b32 s8, exec_lo
	v_cmpx_lt_u32_e32 0xffffff, v104
	s_cbranch_execz .LBB204_1262
; %bb.1255:                             ;   in Loop: Header=BB204_685 Depth=1
	v_mov_b64_e32 v[92:93], 0x8000000000000000
	v_lshrrev_b32_e32 v48, 24, v104
	s_mov_b32 s9, exec_lo
	s_delay_alu instid0(VALU_DEP_1)
	v_cmpx_ne_u32_e32 0x80, v48
	s_cbranch_execz .LBB204_1261
; %bb.1256:                             ;   in Loop: Header=BB204_685 Depth=1
	v_mov_b64_e32 v[92:93], 0x7f80000100000000
	v_bfe_u32 v104, v104, 24, 7
	s_mov_b32 s14, exec_lo
	s_delay_alu instid0(VALU_DEP_1)
	v_cmpx_ne_u32_e32 0x7f, v104
	s_cbranch_execz .LBB204_1260
; %bb.1257:                             ;   in Loop: Header=BB204_685 Depth=1
	v_and_b32_e32 v6, 7, v48
	v_lshrrev_b32_e32 v49, 3, v104
	s_mov_b32 s15, exec_lo
	v_cmpx_gt_u32_e32 8, v104
; %bb.1258:                             ;   in Loop: Header=BB204_685 Depth=1
	s_delay_alu instid0(VALU_DEP_3) | instskip(NEXT) | instid1(VALU_DEP_1)
	v_clz_i32_u32_e32 v49, v6
	v_min_u32_e32 v49, 32, v49
	s_delay_alu instid0(VALU_DEP_1) | instskip(NEXT) | instid1(VALU_DEP_1)
	v_subrev_nc_u32_e32 v92, 28, v49
	v_lshlrev_b64_e32 v[92:93], v92, v[6:7]
	s_delay_alu instid0(VALU_DEP_1)
	v_dual_sub_nc_u32 v49, 29, v49 :: v_dual_bitop2_b32 v6, 7, v92 bitop3:0x40
; %bb.1259:                             ;   in Loop: Header=BB204_685 Depth=1
	s_or_b32 exec_lo, exec_lo, s15
	s_delay_alu instid0(VALU_DEP_1) | instskip(NEXT) | instid1(VALU_DEP_2)
	v_dual_lshlrev_b32 v48, 24, v48 :: v_dual_lshlrev_b32 v6, 20, v6
	v_lshl_add_u32 v49, v49, 23, 0x3c000000
	v_mov_b32_e32 v92, v7
	s_delay_alu instid0(VALU_DEP_3) | instskip(NEXT) | instid1(VALU_DEP_1)
	v_and_b32_e32 v48, 0x80000000, v48
	v_or3_b32 v93, v6, v48, v49
.LBB204_1260:                           ;   in Loop: Header=BB204_685 Depth=1
	s_or_b32 exec_lo, exec_lo, s14
.LBB204_1261:                           ;   in Loop: Header=BB204_685 Depth=1
	s_delay_alu instid0(SALU_CYCLE_1)
	s_or_b32 exec_lo, exec_lo, s9
.LBB204_1262:                           ;   in Loop: Header=BB204_685 Depth=1
	s_delay_alu instid0(SALU_CYCLE_1) | instskip(SKIP_4) | instid1(VALU_DEP_3)
	s_or_b32 exec_lo, exec_lo, s8
	v_or_b32_e32 v49, v89, v91
	v_or_b32_e32 v48, v88, v90
	;; [unrolled: 1-line block ×4, first 2 shown]
	v_pk_mul_f32 v[90:91], v[50:51], v[48:49]
	s_delay_alu instid0(VALU_DEP_2)
	v_pk_mul_f32 v[88:89], v[50:51], v[88:89]
	s_and_saveexec_b32 s8, vcc_lo
	s_cbranch_execz .LBB204_1264
; %bb.1263:                             ;   in Loop: Header=BB204_685 Depth=1
	v_cmp_lt_i32_e64 s0, v9, v16
	s_delay_alu instid0(VALU_DEP_1) | instskip(SKIP_1) | instid1(VALU_DEP_1)
	v_cndmask_b32_e64 v90, 0, v90, s0
	v_cmp_lt_i32_e64 s0, v27, v16
	v_cndmask_b32_e64 v91, 0, v91, s0
	v_cmp_lt_i32_e64 s0, v121, v16
	s_delay_alu instid0(VALU_DEP_1) | instskip(SKIP_1) | instid1(VALU_DEP_1)
	v_cndmask_b32_e64 v88, 0, v88, s0
	v_cmp_lt_i32_e64 s0, v120, v16
	v_cndmask_b32_e64 v89, 0, v89, s0
.LBB204_1264:                           ;   in Loop: Header=BB204_685 Depth=1
	s_or_b32 exec_lo, exec_lo, s8
	flat_load_b32 v108, v[64:65] offset:2176
	v_mov_b64_e32 v[92:93], 0
	v_mov_b64_e32 v[94:95], 0
	s_mov_b32 s8, exec_lo
	s_wait_loadcnt_dscnt 0x0
	v_and_b32_e32 v6, 0xff, v108
	s_wait_xcnt 0x0
	s_delay_alu instid0(VALU_DEP_1)
	v_cmpx_ne_u16_e32 0, v6
	s_cbranch_execz .LBB204_1272
; %bb.1265:                             ;   in Loop: Header=BB204_685 Depth=1
	v_mov_b64_e32 v[94:95], 0x80000000
	s_mov_b32 s9, exec_lo
	v_cmpx_ne_u16_e32 0x80, v6
	s_cbranch_execz .LBB204_1271
; %bb.1266:                             ;   in Loop: Header=BB204_685 Depth=1
	v_mov_b64_e32 v[94:95], 0x7f800001
	v_and_b32_e32 v49, 0x7f, v108
	s_mov_b32 s14, exec_lo
	s_delay_alu instid0(VALU_DEP_1)
	v_cmpx_ne_u32_e32 0x7f, v49
	s_cbranch_execz .LBB204_1270
; %bb.1267:                             ;   in Loop: Header=BB204_685 Depth=1
	v_dual_lshrrev_b32 v48, 3, v49 :: v_dual_bitop2_b32 v6, 7, v108 bitop3:0x40
	s_mov_b32 s15, exec_lo
	v_cmpx_gt_u32_e32 8, v49
; %bb.1268:                             ;   in Loop: Header=BB204_685 Depth=1
	s_delay_alu instid0(VALU_DEP_2) | instskip(NEXT) | instid1(VALU_DEP_1)
	v_clz_i32_u32_e32 v48, v6
	v_min_u32_e32 v48, 32, v48
	s_delay_alu instid0(VALU_DEP_1) | instskip(NEXT) | instid1(VALU_DEP_1)
	v_subrev_nc_u32_e32 v49, 28, v48
	v_lshlrev_b64_e32 v[94:95], v49, v[6:7]
	s_delay_alu instid0(VALU_DEP_1)
	v_dual_sub_nc_u32 v48, 29, v48 :: v_dual_bitop2_b32 v6, 7, v94 bitop3:0x40
; %bb.1269:                             ;   in Loop: Header=BB204_685 Depth=1
	s_or_b32 exec_lo, exec_lo, s15
	s_delay_alu instid0(VALU_DEP_1) | instskip(NEXT) | instid1(VALU_DEP_2)
	v_dual_lshlrev_b32 v49, 24, v108 :: v_dual_lshlrev_b32 v6, 20, v6
	v_lshl_add_u32 v48, v48, 23, 0x3c000000
	s_delay_alu instid0(VALU_DEP_2) | instskip(NEXT) | instid1(VALU_DEP_1)
	v_and_b32_e32 v49, 0x80000000, v49
	v_or3_b32 v6, v6, v49, v48
	s_delay_alu instid0(VALU_DEP_1)
	v_mov_b64_e32 v[94:95], v[6:7]
.LBB204_1270:                           ;   in Loop: Header=BB204_685 Depth=1
	s_or_b32 exec_lo, exec_lo, s14
.LBB204_1271:                           ;   in Loop: Header=BB204_685 Depth=1
	s_delay_alu instid0(SALU_CYCLE_1)
	s_or_b32 exec_lo, exec_lo, s9
.LBB204_1272:                           ;   in Loop: Header=BB204_685 Depth=1
	s_delay_alu instid0(SALU_CYCLE_1) | instskip(SKIP_2) | instid1(VALU_DEP_1)
	s_or_b32 exec_lo, exec_lo, s8
	v_lshrrev_b16 v6, 8, v108
	s_mov_b32 s8, exec_lo
	v_cmpx_ne_u16_e32 0, v6
	s_cbranch_execz .LBB204_1280
; %bb.1273:                             ;   in Loop: Header=BB204_685 Depth=1
	v_mov_b64_e32 v[92:93], 0x8000000000000000
	s_mov_b32 s9, exec_lo
	v_cmpx_ne_u16_e32 0x80, v6
	s_cbranch_execz .LBB204_1279
; %bb.1274:                             ;   in Loop: Header=BB204_685 Depth=1
	v_and_b32_e32 v6, 0xffff, v6
	v_mov_b64_e32 v[92:93], 0x7f80000100000000
	s_mov_b32 s14, exec_lo
	s_delay_alu instid0(VALU_DEP_2) | instskip(NEXT) | instid1(VALU_DEP_1)
	v_and_b32_e32 v49, 0x7f, v6
	v_cmpx_ne_u32_e32 0x7f, v49
	s_cbranch_execz .LBB204_1278
; %bb.1275:                             ;   in Loop: Header=BB204_685 Depth=1
	v_dual_lshrrev_b32 v48, 3, v49 :: v_dual_bitop2_b32 v6, 7, v6 bitop3:0x40
	s_mov_b32 s15, exec_lo
	v_cmpx_gt_u32_e32 8, v49
; %bb.1276:                             ;   in Loop: Header=BB204_685 Depth=1
	s_delay_alu instid0(VALU_DEP_2) | instskip(NEXT) | instid1(VALU_DEP_1)
	v_clz_i32_u32_e32 v48, v6
	v_min_u32_e32 v48, 32, v48
	s_delay_alu instid0(VALU_DEP_1) | instskip(SKIP_1) | instid1(VALU_DEP_2)
	v_subrev_nc_u32_e32 v49, 28, v48
	v_sub_nc_u32_e32 v48, 29, v48
	v_lshlrev_b64_e32 v[92:93], v49, v[6:7]
	s_delay_alu instid0(VALU_DEP_1)
	v_and_b32_e32 v6, 7, v92
; %bb.1277:                             ;   in Loop: Header=BB204_685 Depth=1
	s_or_b32 exec_lo, exec_lo, s15
	s_delay_alu instid0(VALU_DEP_1) | instskip(SKIP_2) | instid1(VALU_DEP_3)
	v_dual_lshlrev_b32 v49, 16, v108 :: v_dual_lshlrev_b32 v6, 20, v6
	v_lshl_add_u32 v48, v48, 23, 0x3c000000
	v_mov_b32_e32 v92, v7
	v_and_b32_e32 v49, 0x80000000, v49
	s_delay_alu instid0(VALU_DEP_1)
	v_or3_b32 v93, v6, v49, v48
.LBB204_1278:                           ;   in Loop: Header=BB204_685 Depth=1
	s_or_b32 exec_lo, exec_lo, s14
.LBB204_1279:                           ;   in Loop: Header=BB204_685 Depth=1
	s_delay_alu instid0(SALU_CYCLE_1)
	s_or_b32 exec_lo, exec_lo, s9
.LBB204_1280:                           ;   in Loop: Header=BB204_685 Depth=1
	s_delay_alu instid0(SALU_CYCLE_1) | instskip(SKIP_4) | instid1(VALU_DEP_3)
	s_or_b32 exec_lo, exec_lo, s8
	v_lshrrev_b32_e32 v109, 16, v108
	v_mov_b64_e32 v[104:105], 0
	v_mov_b64_e32 v[106:107], 0
	s_mov_b32 s8, exec_lo
	v_and_b32_e32 v6, 0xff, v109
	s_delay_alu instid0(VALU_DEP_1)
	v_cmpx_ne_u16_e32 0, v6
	s_cbranch_execz .LBB204_1288
; %bb.1281:                             ;   in Loop: Header=BB204_685 Depth=1
	v_mov_b64_e32 v[106:107], 0x80000000
	s_mov_b32 s9, exec_lo
	v_cmpx_ne_u16_e32 0x80, v6
	s_cbranch_execz .LBB204_1287
; %bb.1282:                             ;   in Loop: Header=BB204_685 Depth=1
	v_mov_b64_e32 v[106:107], 0x7f800001
	v_bfe_u32 v49, v108, 16, 7
	s_mov_b32 s14, exec_lo
	s_delay_alu instid0(VALU_DEP_1)
	v_cmpx_ne_u32_e32 0x7f, v49
	s_cbranch_execz .LBB204_1286
; %bb.1283:                             ;   in Loop: Header=BB204_685 Depth=1
	v_and_b32_e32 v6, 7, v109
	v_lshrrev_b32_e32 v48, 3, v49
	s_mov_b32 s15, exec_lo
	v_cmpx_gt_u32_e32 8, v49
; %bb.1284:                             ;   in Loop: Header=BB204_685 Depth=1
	s_delay_alu instid0(VALU_DEP_3) | instskip(NEXT) | instid1(VALU_DEP_1)
	v_clz_i32_u32_e32 v48, v6
	v_min_u32_e32 v48, 32, v48
	s_delay_alu instid0(VALU_DEP_1) | instskip(NEXT) | instid1(VALU_DEP_1)
	v_subrev_nc_u32_e32 v49, 28, v48
	v_lshlrev_b64_e32 v[106:107], v49, v[6:7]
	s_delay_alu instid0(VALU_DEP_1)
	v_dual_sub_nc_u32 v48, 29, v48 :: v_dual_bitop2_b32 v6, 7, v106 bitop3:0x40
; %bb.1285:                             ;   in Loop: Header=BB204_685 Depth=1
	s_or_b32 exec_lo, exec_lo, s15
	s_delay_alu instid0(VALU_DEP_1) | instskip(NEXT) | instid1(VALU_DEP_2)
	v_dual_lshlrev_b32 v49, 24, v109 :: v_dual_lshlrev_b32 v6, 20, v6
	v_lshl_add_u32 v48, v48, 23, 0x3c000000
	s_delay_alu instid0(VALU_DEP_2) | instskip(NEXT) | instid1(VALU_DEP_1)
	v_and_b32_e32 v49, 0x80000000, v49
	v_or3_b32 v6, v6, v49, v48
	s_delay_alu instid0(VALU_DEP_1)
	v_mov_b64_e32 v[106:107], v[6:7]
.LBB204_1286:                           ;   in Loop: Header=BB204_685 Depth=1
	s_or_b32 exec_lo, exec_lo, s14
.LBB204_1287:                           ;   in Loop: Header=BB204_685 Depth=1
	s_delay_alu instid0(SALU_CYCLE_1)
	s_or_b32 exec_lo, exec_lo, s9
.LBB204_1288:                           ;   in Loop: Header=BB204_685 Depth=1
	s_delay_alu instid0(SALU_CYCLE_1) | instskip(NEXT) | instid1(SALU_CYCLE_1)
	s_or_b32 exec_lo, exec_lo, s8
	s_mov_b32 s8, exec_lo
	v_cmpx_lt_u32_e32 0xffffff, v108
	s_cbranch_execz .LBB204_1296
; %bb.1289:                             ;   in Loop: Header=BB204_685 Depth=1
	v_mov_b64_e32 v[104:105], 0x8000000000000000
	v_lshrrev_b32_e32 v48, 24, v108
	s_mov_b32 s9, exec_lo
	s_delay_alu instid0(VALU_DEP_1)
	v_cmpx_ne_u32_e32 0x80, v48
	s_cbranch_execz .LBB204_1295
; %bb.1290:                             ;   in Loop: Header=BB204_685 Depth=1
	v_mov_b64_e32 v[104:105], 0x7f80000100000000
	v_bfe_u32 v108, v108, 24, 7
	s_mov_b32 s14, exec_lo
	s_delay_alu instid0(VALU_DEP_1)
	v_cmpx_ne_u32_e32 0x7f, v108
	s_cbranch_execz .LBB204_1294
; %bb.1291:                             ;   in Loop: Header=BB204_685 Depth=1
	v_and_b32_e32 v6, 7, v48
	v_lshrrev_b32_e32 v49, 3, v108
	s_mov_b32 s15, exec_lo
	v_cmpx_gt_u32_e32 8, v108
; %bb.1292:                             ;   in Loop: Header=BB204_685 Depth=1
	s_delay_alu instid0(VALU_DEP_3) | instskip(NEXT) | instid1(VALU_DEP_1)
	v_clz_i32_u32_e32 v49, v6
	v_min_u32_e32 v49, 32, v49
	s_delay_alu instid0(VALU_DEP_1) | instskip(NEXT) | instid1(VALU_DEP_1)
	v_subrev_nc_u32_e32 v104, 28, v49
	v_lshlrev_b64_e32 v[104:105], v104, v[6:7]
	s_delay_alu instid0(VALU_DEP_1)
	v_dual_sub_nc_u32 v49, 29, v49 :: v_dual_bitop2_b32 v6, 7, v104 bitop3:0x40
; %bb.1293:                             ;   in Loop: Header=BB204_685 Depth=1
	s_or_b32 exec_lo, exec_lo, s15
	s_delay_alu instid0(VALU_DEP_1) | instskip(NEXT) | instid1(VALU_DEP_2)
	v_dual_lshlrev_b32 v48, 24, v48 :: v_dual_lshlrev_b32 v6, 20, v6
	v_lshl_add_u32 v49, v49, 23, 0x3c000000
	v_mov_b32_e32 v104, v7
	s_delay_alu instid0(VALU_DEP_3) | instskip(NEXT) | instid1(VALU_DEP_1)
	v_and_b32_e32 v48, 0x80000000, v48
	v_or3_b32 v105, v6, v48, v49
.LBB204_1294:                           ;   in Loop: Header=BB204_685 Depth=1
	s_or_b32 exec_lo, exec_lo, s14
.LBB204_1295:                           ;   in Loop: Header=BB204_685 Depth=1
	s_delay_alu instid0(SALU_CYCLE_1)
	s_or_b32 exec_lo, exec_lo, s9
.LBB204_1296:                           ;   in Loop: Header=BB204_685 Depth=1
	s_delay_alu instid0(SALU_CYCLE_1) | instskip(SKIP_4) | instid1(VALU_DEP_3)
	s_or_b32 exec_lo, exec_lo, s8
	v_or_b32_e32 v49, v93, v95
	v_or_b32_e32 v48, v92, v94
	v_or_b32_e32 v93, v105, v107
	v_or_b32_e32 v92, v104, v106
	v_pk_mul_f32 v[94:95], v[50:51], v[48:49]
	s_delay_alu instid0(VALU_DEP_2)
	v_pk_mul_f32 v[92:93], v[50:51], v[92:93]
	s_and_saveexec_b32 s8, vcc_lo
	s_cbranch_execz .LBB204_1298
; %bb.1297:                             ;   in Loop: Header=BB204_685 Depth=1
	v_cmp_lt_i32_e64 s0, v9, v16
	s_delay_alu instid0(VALU_DEP_1) | instskip(SKIP_1) | instid1(VALU_DEP_1)
	v_cndmask_b32_e64 v94, 0, v94, s0
	v_cmp_lt_i32_e64 s0, v27, v16
	v_cndmask_b32_e64 v95, 0, v95, s0
	v_cmp_lt_i32_e64 s0, v121, v16
	s_delay_alu instid0(VALU_DEP_1) | instskip(SKIP_1) | instid1(VALU_DEP_1)
	v_cndmask_b32_e64 v92, 0, v92, s0
	v_cmp_lt_i32_e64 s0, v120, v16
	v_cndmask_b32_e64 v93, 0, v93, s0
.LBB204_1298:                           ;   in Loop: Header=BB204_685 Depth=1
	s_or_b32 exec_lo, exec_lo, s8
	flat_load_b32 v123, v[64:65] offset:2304
	v_mov_b64_e32 v[104:105], 0
	v_mov_b64_e32 v[106:107], 0
	s_mov_b32 s8, exec_lo
	s_wait_loadcnt_dscnt 0x0
	v_and_b32_e32 v6, 0xff, v123
	s_wait_xcnt 0x0
	s_delay_alu instid0(VALU_DEP_1)
	v_cmpx_ne_u16_e32 0, v6
	s_cbranch_execz .LBB204_1306
; %bb.1299:                             ;   in Loop: Header=BB204_685 Depth=1
	v_mov_b64_e32 v[106:107], 0x80000000
	s_mov_b32 s9, exec_lo
	v_cmpx_ne_u16_e32 0x80, v6
	s_cbranch_execz .LBB204_1305
; %bb.1300:                             ;   in Loop: Header=BB204_685 Depth=1
	v_mov_b64_e32 v[106:107], 0x7f800001
	v_and_b32_e32 v49, 0x7f, v123
	s_mov_b32 s14, exec_lo
	s_delay_alu instid0(VALU_DEP_1)
	v_cmpx_ne_u32_e32 0x7f, v49
	s_cbranch_execz .LBB204_1304
; %bb.1301:                             ;   in Loop: Header=BB204_685 Depth=1
	v_dual_lshrrev_b32 v48, 3, v49 :: v_dual_bitop2_b32 v6, 7, v123 bitop3:0x40
	s_mov_b32 s15, exec_lo
	v_cmpx_gt_u32_e32 8, v49
; %bb.1302:                             ;   in Loop: Header=BB204_685 Depth=1
	s_delay_alu instid0(VALU_DEP_2) | instskip(NEXT) | instid1(VALU_DEP_1)
	v_clz_i32_u32_e32 v48, v6
	v_min_u32_e32 v48, 32, v48
	s_delay_alu instid0(VALU_DEP_1) | instskip(NEXT) | instid1(VALU_DEP_1)
	v_subrev_nc_u32_e32 v49, 28, v48
	v_lshlrev_b64_e32 v[106:107], v49, v[6:7]
	s_delay_alu instid0(VALU_DEP_1)
	v_dual_sub_nc_u32 v48, 29, v48 :: v_dual_bitop2_b32 v6, 7, v106 bitop3:0x40
; %bb.1303:                             ;   in Loop: Header=BB204_685 Depth=1
	s_or_b32 exec_lo, exec_lo, s15
	s_delay_alu instid0(VALU_DEP_1) | instskip(NEXT) | instid1(VALU_DEP_2)
	v_dual_lshlrev_b32 v49, 24, v123 :: v_dual_lshlrev_b32 v6, 20, v6
	v_lshl_add_u32 v48, v48, 23, 0x3c000000
	s_delay_alu instid0(VALU_DEP_2) | instskip(NEXT) | instid1(VALU_DEP_1)
	v_and_b32_e32 v49, 0x80000000, v49
	v_or3_b32 v6, v6, v49, v48
	s_delay_alu instid0(VALU_DEP_1)
	v_mov_b64_e32 v[106:107], v[6:7]
.LBB204_1304:                           ;   in Loop: Header=BB204_685 Depth=1
	s_or_b32 exec_lo, exec_lo, s14
.LBB204_1305:                           ;   in Loop: Header=BB204_685 Depth=1
	s_delay_alu instid0(SALU_CYCLE_1)
	s_or_b32 exec_lo, exec_lo, s9
.LBB204_1306:                           ;   in Loop: Header=BB204_685 Depth=1
	s_delay_alu instid0(SALU_CYCLE_1) | instskip(SKIP_2) | instid1(VALU_DEP_1)
	s_or_b32 exec_lo, exec_lo, s8
	v_lshrrev_b16 v6, 8, v123
	s_mov_b32 s8, exec_lo
	v_cmpx_ne_u16_e32 0, v6
	s_cbranch_execz .LBB204_1314
; %bb.1307:                             ;   in Loop: Header=BB204_685 Depth=1
	v_mov_b64_e32 v[104:105], 0x8000000000000000
	s_mov_b32 s9, exec_lo
	v_cmpx_ne_u16_e32 0x80, v6
	s_cbranch_execz .LBB204_1313
; %bb.1308:                             ;   in Loop: Header=BB204_685 Depth=1
	v_and_b32_e32 v6, 0xffff, v6
	v_mov_b64_e32 v[104:105], 0x7f80000100000000
	s_mov_b32 s14, exec_lo
	s_delay_alu instid0(VALU_DEP_2) | instskip(NEXT) | instid1(VALU_DEP_1)
	v_and_b32_e32 v49, 0x7f, v6
	v_cmpx_ne_u32_e32 0x7f, v49
	s_cbranch_execz .LBB204_1312
; %bb.1309:                             ;   in Loop: Header=BB204_685 Depth=1
	v_dual_lshrrev_b32 v48, 3, v49 :: v_dual_bitop2_b32 v6, 7, v6 bitop3:0x40
	s_mov_b32 s15, exec_lo
	v_cmpx_gt_u32_e32 8, v49
; %bb.1310:                             ;   in Loop: Header=BB204_685 Depth=1
	s_delay_alu instid0(VALU_DEP_2) | instskip(NEXT) | instid1(VALU_DEP_1)
	v_clz_i32_u32_e32 v48, v6
	v_min_u32_e32 v48, 32, v48
	s_delay_alu instid0(VALU_DEP_1) | instskip(SKIP_1) | instid1(VALU_DEP_2)
	v_subrev_nc_u32_e32 v49, 28, v48
	v_sub_nc_u32_e32 v48, 29, v48
	v_lshlrev_b64_e32 v[104:105], v49, v[6:7]
	s_delay_alu instid0(VALU_DEP_1)
	v_and_b32_e32 v6, 7, v104
; %bb.1311:                             ;   in Loop: Header=BB204_685 Depth=1
	s_or_b32 exec_lo, exec_lo, s15
	s_delay_alu instid0(VALU_DEP_1) | instskip(SKIP_2) | instid1(VALU_DEP_3)
	v_dual_lshlrev_b32 v49, 16, v123 :: v_dual_lshlrev_b32 v6, 20, v6
	v_lshl_add_u32 v48, v48, 23, 0x3c000000
	v_mov_b32_e32 v104, v7
	v_and_b32_e32 v49, 0x80000000, v49
	s_delay_alu instid0(VALU_DEP_1)
	v_or3_b32 v105, v6, v49, v48
.LBB204_1312:                           ;   in Loop: Header=BB204_685 Depth=1
	s_or_b32 exec_lo, exec_lo, s14
.LBB204_1313:                           ;   in Loop: Header=BB204_685 Depth=1
	s_delay_alu instid0(SALU_CYCLE_1)
	s_or_b32 exec_lo, exec_lo, s9
.LBB204_1314:                           ;   in Loop: Header=BB204_685 Depth=1
	s_delay_alu instid0(SALU_CYCLE_1) | instskip(SKIP_4) | instid1(VALU_DEP_3)
	s_or_b32 exec_lo, exec_lo, s8
	v_lshrrev_b32_e32 v48, 16, v123
	v_mov_b64_e32 v[108:109], 0
	v_mov_b64_e32 v[110:111], 0
	s_mov_b32 s8, exec_lo
	v_and_b32_e32 v6, 0xff, v48
	s_delay_alu instid0(VALU_DEP_1)
	v_cmpx_ne_u16_e32 0, v6
	s_cbranch_execz .LBB204_1322
; %bb.1315:                             ;   in Loop: Header=BB204_685 Depth=1
	v_mov_b64_e32 v[110:111], 0x80000000
	s_mov_b32 s9, exec_lo
	v_cmpx_ne_u16_e32 0x80, v6
	s_cbranch_execz .LBB204_1321
; %bb.1316:                             ;   in Loop: Header=BB204_685 Depth=1
	v_mov_b64_e32 v[110:111], 0x7f800001
	v_bfe_u32 v125, v123, 16, 7
	s_mov_b32 s14, exec_lo
	s_delay_alu instid0(VALU_DEP_1)
	v_cmpx_ne_u32_e32 0x7f, v125
	s_cbranch_execz .LBB204_1320
; %bb.1317:                             ;   in Loop: Header=BB204_685 Depth=1
	v_dual_lshrrev_b32 v49, 3, v125 :: v_dual_bitop2_b32 v6, 7, v48 bitop3:0x40
	s_mov_b32 s15, exec_lo
	v_cmpx_gt_u32_e32 8, v125
; %bb.1318:                             ;   in Loop: Header=BB204_685 Depth=1
	s_delay_alu instid0(VALU_DEP_2) | instskip(NEXT) | instid1(VALU_DEP_1)
	v_clz_i32_u32_e32 v49, v6
	v_min_u32_e32 v49, 32, v49
	s_delay_alu instid0(VALU_DEP_1) | instskip(NEXT) | instid1(VALU_DEP_1)
	v_subrev_nc_u32_e32 v110, 28, v49
	v_lshlrev_b64_e32 v[110:111], v110, v[6:7]
	s_delay_alu instid0(VALU_DEP_1)
	v_dual_sub_nc_u32 v49, 29, v49 :: v_dual_bitop2_b32 v6, 7, v110 bitop3:0x40
; %bb.1319:                             ;   in Loop: Header=BB204_685 Depth=1
	s_or_b32 exec_lo, exec_lo, s15
	s_delay_alu instid0(VALU_DEP_1) | instskip(NEXT) | instid1(VALU_DEP_2)
	v_dual_lshlrev_b32 v48, 24, v48 :: v_dual_lshlrev_b32 v6, 20, v6
	v_lshl_add_u32 v49, v49, 23, 0x3c000000
	s_delay_alu instid0(VALU_DEP_2) | instskip(NEXT) | instid1(VALU_DEP_1)
	v_and_b32_e32 v48, 0x80000000, v48
	v_or3_b32 v6, v6, v48, v49
	s_delay_alu instid0(VALU_DEP_1)
	v_mov_b64_e32 v[110:111], v[6:7]
.LBB204_1320:                           ;   in Loop: Header=BB204_685 Depth=1
	s_or_b32 exec_lo, exec_lo, s14
	scratch_load_b32 v125, off, s32 offset:240 ; 4-byte Folded Reload
.LBB204_1321:                           ;   in Loop: Header=BB204_685 Depth=1
	s_wait_xcnt 0x0
	s_or_b32 exec_lo, exec_lo, s9
.LBB204_1322:                           ;   in Loop: Header=BB204_685 Depth=1
	s_delay_alu instid0(SALU_CYCLE_1) | instskip(NEXT) | instid1(SALU_CYCLE_1)
	s_or_b32 exec_lo, exec_lo, s8
	s_mov_b32 s8, exec_lo
	v_cmpx_lt_u32_e32 0xffffff, v123
	s_cbranch_execz .LBB204_1330
; %bb.1323:                             ;   in Loop: Header=BB204_685 Depth=1
	v_mov_b64_e32 v[108:109], 0x8000000000000000
	v_lshrrev_b32_e32 v48, 24, v123
	s_mov_b32 s9, exec_lo
	s_delay_alu instid0(VALU_DEP_1)
	v_cmpx_ne_u32_e32 0x80, v48
	s_cbranch_execz .LBB204_1329
; %bb.1324:                             ;   in Loop: Header=BB204_685 Depth=1
	v_mov_b64_e32 v[108:109], 0x7f80000100000000
	v_bfe_u32 v123, v123, 24, 7
	s_mov_b32 s14, exec_lo
	s_delay_alu instid0(VALU_DEP_1)
	v_cmpx_ne_u32_e32 0x7f, v123
	s_cbranch_execz .LBB204_1328
; %bb.1325:                             ;   in Loop: Header=BB204_685 Depth=1
	v_dual_lshrrev_b32 v49, 3, v123 :: v_dual_bitop2_b32 v6, 7, v48 bitop3:0x40
	s_mov_b32 s15, exec_lo
	v_cmpx_gt_u32_e32 8, v123
; %bb.1326:                             ;   in Loop: Header=BB204_685 Depth=1
	s_delay_alu instid0(VALU_DEP_2) | instskip(NEXT) | instid1(VALU_DEP_1)
	v_clz_i32_u32_e32 v49, v6
	v_min_u32_e32 v49, 32, v49
	s_delay_alu instid0(VALU_DEP_1) | instskip(NEXT) | instid1(VALU_DEP_1)
	v_subrev_nc_u32_e32 v108, 28, v49
	v_lshlrev_b64_e32 v[108:109], v108, v[6:7]
	s_delay_alu instid0(VALU_DEP_1)
	v_dual_sub_nc_u32 v49, 29, v49 :: v_dual_bitop2_b32 v6, 7, v108 bitop3:0x40
; %bb.1327:                             ;   in Loop: Header=BB204_685 Depth=1
	s_or_b32 exec_lo, exec_lo, s15
	s_delay_alu instid0(VALU_DEP_1) | instskip(NEXT) | instid1(VALU_DEP_2)
	v_dual_lshlrev_b32 v48, 24, v48 :: v_dual_lshlrev_b32 v6, 20, v6
	v_lshl_add_u32 v49, v49, 23, 0x3c000000
	v_mov_b32_e32 v108, v7
	s_delay_alu instid0(VALU_DEP_3) | instskip(NEXT) | instid1(VALU_DEP_1)
	v_and_b32_e32 v48, 0x80000000, v48
	v_or3_b32 v109, v6, v48, v49
.LBB204_1328:                           ;   in Loop: Header=BB204_685 Depth=1
	s_or_b32 exec_lo, exec_lo, s14
.LBB204_1329:                           ;   in Loop: Header=BB204_685 Depth=1
	s_delay_alu instid0(SALU_CYCLE_1)
	s_or_b32 exec_lo, exec_lo, s9
.LBB204_1330:                           ;   in Loop: Header=BB204_685 Depth=1
	s_delay_alu instid0(SALU_CYCLE_1) | instskip(SKIP_4) | instid1(VALU_DEP_3)
	s_or_b32 exec_lo, exec_lo, s8
	v_or_b32_e32 v49, v105, v107
	v_or_b32_e32 v48, v104, v106
	;; [unrolled: 1-line block ×4, first 2 shown]
	v_pk_mul_f32 v[106:107], v[50:51], v[48:49]
	s_delay_alu instid0(VALU_DEP_2)
	v_pk_mul_f32 v[104:105], v[50:51], v[104:105]
	s_and_saveexec_b32 s8, vcc_lo
	s_cbranch_execz .LBB204_1332
; %bb.1331:                             ;   in Loop: Header=BB204_685 Depth=1
	v_cmp_lt_i32_e64 s0, v9, v16
	s_delay_alu instid0(VALU_DEP_1) | instskip(SKIP_1) | instid1(VALU_DEP_1)
	v_cndmask_b32_e64 v106, 0, v106, s0
	v_cmp_lt_i32_e64 s0, v27, v16
	v_cndmask_b32_e64 v107, 0, v107, s0
	v_cmp_lt_i32_e64 s0, v121, v16
	s_delay_alu instid0(VALU_DEP_1) | instskip(SKIP_1) | instid1(VALU_DEP_1)
	v_cndmask_b32_e64 v104, 0, v104, s0
	v_cmp_lt_i32_e64 s0, v120, v16
	v_cndmask_b32_e64 v105, 0, v105, s0
.LBB204_1332:                           ;   in Loop: Header=BB204_685 Depth=1
	s_or_b32 exec_lo, exec_lo, s8
	flat_load_b32 v123, v[64:65] offset:2432
	s_wait_xcnt 0x0
	v_mov_b64_e32 v[64:65], 0
	v_mov_b64_e32 v[108:109], 0
	s_mov_b32 s8, exec_lo
	s_wait_loadcnt_dscnt 0x0
	v_and_b32_e32 v6, 0xff, v123
	s_delay_alu instid0(VALU_DEP_1)
	v_cmpx_ne_u16_e32 0, v6
	s_cbranch_execz .LBB204_1340
; %bb.1333:                             ;   in Loop: Header=BB204_685 Depth=1
	v_mov_b64_e32 v[108:109], 0x80000000
	s_mov_b32 s9, exec_lo
	v_cmpx_ne_u16_e32 0x80, v6
	s_cbranch_execz .LBB204_1339
; %bb.1334:                             ;   in Loop: Header=BB204_685 Depth=1
	v_mov_b64_e32 v[108:109], 0x7f800001
	v_and_b32_e32 v49, 0x7f, v123
	s_mov_b32 s14, exec_lo
	s_delay_alu instid0(VALU_DEP_1)
	v_cmpx_ne_u32_e32 0x7f, v49
	s_cbranch_execz .LBB204_1338
; %bb.1335:                             ;   in Loop: Header=BB204_685 Depth=1
	v_dual_lshrrev_b32 v48, 3, v49 :: v_dual_bitop2_b32 v6, 7, v123 bitop3:0x40
	s_mov_b32 s15, exec_lo
	v_cmpx_gt_u32_e32 8, v49
; %bb.1336:                             ;   in Loop: Header=BB204_685 Depth=1
	s_delay_alu instid0(VALU_DEP_2) | instskip(NEXT) | instid1(VALU_DEP_1)
	v_clz_i32_u32_e32 v48, v6
	v_min_u32_e32 v48, 32, v48
	s_delay_alu instid0(VALU_DEP_1) | instskip(SKIP_1) | instid1(VALU_DEP_2)
	v_subrev_nc_u32_e32 v49, 28, v48
	v_sub_nc_u32_e32 v48, 29, v48
	v_lshlrev_b64_e32 v[108:109], v49, v[6:7]
	s_delay_alu instid0(VALU_DEP_1)
	v_and_b32_e32 v6, 7, v108
; %bb.1337:                             ;   in Loop: Header=BB204_685 Depth=1
	s_or_b32 exec_lo, exec_lo, s15
	s_delay_alu instid0(VALU_DEP_1) | instskip(SKIP_1) | instid1(VALU_DEP_2)
	v_dual_lshlrev_b32 v49, 24, v123 :: v_dual_lshlrev_b32 v6, 20, v6
	v_lshl_add_u32 v48, v48, 23, 0x3c000000
	v_and_b32_e32 v49, 0x80000000, v49
	s_delay_alu instid0(VALU_DEP_1) | instskip(NEXT) | instid1(VALU_DEP_1)
	v_or3_b32 v6, v6, v49, v48
	v_mov_b64_e32 v[108:109], v[6:7]
.LBB204_1338:                           ;   in Loop: Header=BB204_685 Depth=1
	s_or_b32 exec_lo, exec_lo, s14
.LBB204_1339:                           ;   in Loop: Header=BB204_685 Depth=1
	s_delay_alu instid0(SALU_CYCLE_1)
	s_or_b32 exec_lo, exec_lo, s9
.LBB204_1340:                           ;   in Loop: Header=BB204_685 Depth=1
	s_delay_alu instid0(SALU_CYCLE_1) | instskip(SKIP_2) | instid1(VALU_DEP_1)
	s_or_b32 exec_lo, exec_lo, s8
	v_lshrrev_b16 v6, 8, v123
	s_mov_b32 s8, exec_lo
	v_cmpx_ne_u16_e32 0, v6
	s_cbranch_execz .LBB204_1348
; %bb.1341:                             ;   in Loop: Header=BB204_685 Depth=1
	v_mov_b64_e32 v[64:65], 0x8000000000000000
	s_mov_b32 s9, exec_lo
	v_cmpx_ne_u16_e32 0x80, v6
	s_cbranch_execz .LBB204_1347
; %bb.1342:                             ;   in Loop: Header=BB204_685 Depth=1
	v_and_b32_e32 v6, 0xffff, v6
	v_mov_b64_e32 v[64:65], 0x7f80000100000000
	s_mov_b32 s14, exec_lo
	s_delay_alu instid0(VALU_DEP_2) | instskip(NEXT) | instid1(VALU_DEP_1)
	v_and_b32_e32 v49, 0x7f, v6
	v_cmpx_ne_u32_e32 0x7f, v49
	s_cbranch_execz .LBB204_1346
; %bb.1343:                             ;   in Loop: Header=BB204_685 Depth=1
	v_dual_lshrrev_b32 v48, 3, v49 :: v_dual_bitop2_b32 v6, 7, v6 bitop3:0x40
	s_mov_b32 s15, exec_lo
	v_cmpx_gt_u32_e32 8, v49
; %bb.1344:                             ;   in Loop: Header=BB204_685 Depth=1
	s_delay_alu instid0(VALU_DEP_2) | instskip(NEXT) | instid1(VALU_DEP_1)
	v_clz_i32_u32_e32 v48, v6
	v_min_u32_e32 v48, 32, v48
	s_delay_alu instid0(VALU_DEP_1) | instskip(SKIP_1) | instid1(VALU_DEP_2)
	v_subrev_nc_u32_e32 v49, 28, v48
	v_sub_nc_u32_e32 v48, 29, v48
	v_lshlrev_b64_e32 v[64:65], v49, v[6:7]
	s_delay_alu instid0(VALU_DEP_1)
	v_and_b32_e32 v6, 7, v64
; %bb.1345:                             ;   in Loop: Header=BB204_685 Depth=1
	s_or_b32 exec_lo, exec_lo, s15
	s_delay_alu instid0(VALU_DEP_1) | instskip(SKIP_2) | instid1(VALU_DEP_3)
	v_dual_lshlrev_b32 v49, 16, v123 :: v_dual_lshlrev_b32 v6, 20, v6
	v_lshl_add_u32 v48, v48, 23, 0x3c000000
	v_mov_b32_e32 v64, v7
	v_and_b32_e32 v49, 0x80000000, v49
	s_delay_alu instid0(VALU_DEP_1)
	v_or3_b32 v65, v6, v49, v48
.LBB204_1346:                           ;   in Loop: Header=BB204_685 Depth=1
	s_or_b32 exec_lo, exec_lo, s14
.LBB204_1347:                           ;   in Loop: Header=BB204_685 Depth=1
	s_delay_alu instid0(SALU_CYCLE_1)
	s_or_b32 exec_lo, exec_lo, s9
.LBB204_1348:                           ;   in Loop: Header=BB204_685 Depth=1
	s_delay_alu instid0(SALU_CYCLE_1) | instskip(SKIP_4) | instid1(VALU_DEP_3)
	s_or_b32 exec_lo, exec_lo, s8
	v_lshrrev_b32_e32 v48, 16, v123
	v_mov_b64_e32 v[110:111], 0
	v_mov_b64_e32 v[120:121], 0
	s_mov_b32 s8, exec_lo
	v_and_b32_e32 v6, 0xff, v48
	s_delay_alu instid0(VALU_DEP_1)
	v_cmpx_ne_u16_e32 0, v6
	s_cbranch_execz .LBB204_1356
; %bb.1349:                             ;   in Loop: Header=BB204_685 Depth=1
	v_mov_b64_e32 v[120:121], 0x80000000
	s_mov_b32 s9, exec_lo
	v_cmpx_ne_u16_e32 0x80, v6
	s_cbranch_execz .LBB204_1355
; %bb.1350:                             ;   in Loop: Header=BB204_685 Depth=1
	v_mov_b64_e32 v[120:121], 0x7f800001
	v_bfe_u32 v125, v123, 16, 7
	s_mov_b32 s14, exec_lo
	s_delay_alu instid0(VALU_DEP_1)
	v_cmpx_ne_u32_e32 0x7f, v125
	s_cbranch_execz .LBB204_1354
; %bb.1351:                             ;   in Loop: Header=BB204_685 Depth=1
	v_dual_lshrrev_b32 v49, 3, v125 :: v_dual_bitop2_b32 v6, 7, v48 bitop3:0x40
	s_mov_b32 s15, exec_lo
	v_cmpx_gt_u32_e32 8, v125
; %bb.1352:                             ;   in Loop: Header=BB204_685 Depth=1
	s_delay_alu instid0(VALU_DEP_2) | instskip(NEXT) | instid1(VALU_DEP_1)
	v_clz_i32_u32_e32 v49, v6
	v_min_u32_e32 v49, 32, v49
	s_delay_alu instid0(VALU_DEP_1) | instskip(NEXT) | instid1(VALU_DEP_1)
	v_subrev_nc_u32_e32 v120, 28, v49
	v_lshlrev_b64_e32 v[120:121], v120, v[6:7]
	s_delay_alu instid0(VALU_DEP_1)
	v_dual_sub_nc_u32 v49, 29, v49 :: v_dual_bitop2_b32 v6, 7, v120 bitop3:0x40
; %bb.1353:                             ;   in Loop: Header=BB204_685 Depth=1
	s_or_b32 exec_lo, exec_lo, s15
	s_delay_alu instid0(VALU_DEP_1) | instskip(NEXT) | instid1(VALU_DEP_2)
	v_dual_lshlrev_b32 v48, 24, v48 :: v_dual_lshlrev_b32 v6, 20, v6
	v_lshl_add_u32 v49, v49, 23, 0x3c000000
	s_delay_alu instid0(VALU_DEP_2) | instskip(NEXT) | instid1(VALU_DEP_1)
	v_and_b32_e32 v48, 0x80000000, v48
	v_or3_b32 v6, v6, v48, v49
	s_delay_alu instid0(VALU_DEP_1)
	v_mov_b64_e32 v[120:121], v[6:7]
.LBB204_1354:                           ;   in Loop: Header=BB204_685 Depth=1
	s_or_b32 exec_lo, exec_lo, s14
	scratch_load_b32 v125, off, s32 offset:240 ; 4-byte Folded Reload
.LBB204_1355:                           ;   in Loop: Header=BB204_685 Depth=1
	s_wait_xcnt 0x0
	s_or_b32 exec_lo, exec_lo, s9
.LBB204_1356:                           ;   in Loop: Header=BB204_685 Depth=1
	s_delay_alu instid0(SALU_CYCLE_1) | instskip(NEXT) | instid1(SALU_CYCLE_1)
	s_or_b32 exec_lo, exec_lo, s8
	s_mov_b32 s8, exec_lo
	v_cmpx_lt_u32_e32 0xffffff, v123
	s_cbranch_execz .LBB204_1364
; %bb.1357:                             ;   in Loop: Header=BB204_685 Depth=1
	v_mov_b64_e32 v[110:111], 0x8000000000000000
	v_lshrrev_b32_e32 v48, 24, v123
	s_mov_b32 s9, exec_lo
	s_delay_alu instid0(VALU_DEP_1)
	v_cmpx_ne_u32_e32 0x80, v48
	s_cbranch_execz .LBB204_1363
; %bb.1358:                             ;   in Loop: Header=BB204_685 Depth=1
	v_mov_b64_e32 v[110:111], 0x7f80000100000000
	v_bfe_u32 v123, v123, 24, 7
	s_mov_b32 s14, exec_lo
	s_delay_alu instid0(VALU_DEP_1)
	v_cmpx_ne_u32_e32 0x7f, v123
	s_cbranch_execz .LBB204_1362
; %bb.1359:                             ;   in Loop: Header=BB204_685 Depth=1
	v_dual_lshrrev_b32 v49, 3, v123 :: v_dual_bitop2_b32 v6, 7, v48 bitop3:0x40
	s_mov_b32 s15, exec_lo
	v_cmpx_gt_u32_e32 8, v123
; %bb.1360:                             ;   in Loop: Header=BB204_685 Depth=1
	s_delay_alu instid0(VALU_DEP_2) | instskip(NEXT) | instid1(VALU_DEP_1)
	v_clz_i32_u32_e32 v49, v6
	v_min_u32_e32 v49, 32, v49
	s_delay_alu instid0(VALU_DEP_1) | instskip(NEXT) | instid1(VALU_DEP_1)
	v_subrev_nc_u32_e32 v110, 28, v49
	v_lshlrev_b64_e32 v[110:111], v110, v[6:7]
	s_delay_alu instid0(VALU_DEP_1)
	v_dual_sub_nc_u32 v49, 29, v49 :: v_dual_bitop2_b32 v6, 7, v110 bitop3:0x40
; %bb.1361:                             ;   in Loop: Header=BB204_685 Depth=1
	s_or_b32 exec_lo, exec_lo, s15
	s_delay_alu instid0(VALU_DEP_1) | instskip(NEXT) | instid1(VALU_DEP_2)
	v_dual_lshlrev_b32 v48, 24, v48 :: v_dual_lshlrev_b32 v6, 20, v6
	v_lshl_add_u32 v49, v49, 23, 0x3c000000
	v_mov_b32_e32 v110, v7
	s_delay_alu instid0(VALU_DEP_3) | instskip(NEXT) | instid1(VALU_DEP_1)
	v_and_b32_e32 v48, 0x80000000, v48
	v_or3_b32 v111, v6, v48, v49
.LBB204_1362:                           ;   in Loop: Header=BB204_685 Depth=1
	s_or_b32 exec_lo, exec_lo, s14
.LBB204_1363:                           ;   in Loop: Header=BB204_685 Depth=1
	s_delay_alu instid0(SALU_CYCLE_1)
	s_or_b32 exec_lo, exec_lo, s9
.LBB204_1364:                           ;   in Loop: Header=BB204_685 Depth=1
	s_delay_alu instid0(SALU_CYCLE_1) | instskip(SKIP_4) | instid1(VALU_DEP_3)
	s_or_b32 exec_lo, exec_lo, s8
	v_or_b32_e32 v49, v65, v109
	v_or_b32_e32 v48, v64, v108
	v_or_b32_e32 v109, v111, v121
	v_or_b32_e32 v108, v110, v120
	v_pk_mul_f32 v[64:65], v[50:51], v[48:49]
	s_delay_alu instid0(VALU_DEP_2)
	v_pk_mul_f32 v[50:51], v[50:51], v[108:109]
	s_and_saveexec_b32 s8, vcc_lo
	s_cbranch_execz .LBB204_683
; %bb.1365:                             ;   in Loop: Header=BB204_685 Depth=1
	scratch_load_b64 v[48:49], off, s32 offset:232 ; 8-byte Folded Reload
	v_cmp_lt_i32_e32 vcc_lo, v9, v16
	v_or_b32_e32 v6, 3, v9
	v_dual_cndmask_b32 v64, 0, v64, vcc_lo :: v_dual_bitop2_b32 v9, 2, v9 bitop3:0x54
	s_delay_alu instid0(VALU_DEP_1) | instskip(SKIP_3) | instid1(VALU_DEP_1)
	v_cmp_lt_i32_e32 vcc_lo, v9, v16
	v_cndmask_b32_e32 v50, 0, v50, vcc_lo
	s_wait_loadcnt 0x0
	v_cmp_lt_i32_e64 s0, v27, v49
	v_cndmask_b32_e64 v65, 0, v65, s0
	v_cmp_lt_i32_e64 s0, v6, v49
	s_delay_alu instid0(VALU_DEP_1)
	v_cndmask_b32_e64 v51, 0, v51, s0
	s_branch .LBB204_683
.LBB204_1366:
	s_or_b32 exec_lo, exec_lo, s2
	s_clause 0x1
	scratch_load_b32 v48, off, s32 offset:248
	scratch_load_b32 v64, off, s32 offset:256
.LBB204_1367:
	s_wait_xcnt 0x0
	s_or_b32 exec_lo, exec_lo, s1
	s_wait_loadcnt 0x1
	ds_bpermute_b32 v4, v48, v38
	ds_bpermute_b32 v5, v48, v39
	ds_bpermute_b32 v6, v48, v34
	ds_bpermute_b32 v7, v48, v35
	ds_bpermute_b32 v10, v48, v24
	ds_bpermute_b32 v11, v48, v25
	ds_bpermute_b32 v0, v48, v36
	ds_bpermute_b32 v1, v48, v37
	ds_bpermute_b32 v2, v48, v32
	ds_bpermute_b32 v3, v48, v33
	ds_bpermute_b32 v8, v48, v20
	ds_bpermute_b32 v9, v48, v21
	ds_bpermute_b32 v16, v48, v14
	ds_bpermute_b32 v17, v48, v15
	ds_bpermute_b32 v18, v48, v30
	ds_bpermute_b32 v19, v48, v31
	ds_bpermute_b32 v22, v48, v28
	ds_bpermute_b32 v23, v48, v29
	ds_bpermute_b32 v26, v48, v12
	ds_bpermute_b32 v27, v48, v13
	s_wait_storecnt 0x0
	s_wait_loadcnt_dscnt 0x0
	v_pk_add_f32 v[4:5], v[38:39], v[4:5]
	s_barrier_signal -1
	v_pk_add_f32 v[6:7], v[34:35], v[6:7]
	s_barrier_wait -1
	v_pk_add_f32 v[10:11], v[24:25], v[10:11]
	v_pk_add_f32 v[0:1], v[36:37], v[0:1]
	ds_bpermute_b32 v36, v124, v4
	v_pk_add_f32 v[2:3], v[32:33], v[2:3]
	ds_bpermute_b32 v37, v124, v5
	;; [unrolled: 2-line block ×3, first 2 shown]
	ds_bpermute_b32 v21, v124, v7
	ds_bpermute_b32 v24, v124, v10
	;; [unrolled: 1-line block ×5, first 2 shown]
	v_pk_add_f32 v[14:15], v[14:15], v[16:17]
	v_pk_add_f32 v[16:17], v[30:31], v[18:19]
	;; [unrolled: 1-line block ×3, first 2 shown]
	ds_bpermute_b32 v22, v124, v8
	ds_bpermute_b32 v23, v124, v9
	v_pk_add_f32 v[12:13], v[12:13], v[26:27]
	ds_bpermute_b32 v32, v124, v0
	ds_bpermute_b32 v30, v124, v18
	;; [unrolled: 1-line block ×6, first 2 shown]
	s_wait_dscnt 0xe
	v_pk_add_f32 v[4:5], v[4:5], v[36:37]
	ds_bpermute_b32 v28, v124, v16
	ds_bpermute_b32 v29, v124, v17
	s_wait_dscnt 0xe
	v_pk_add_f32 v[6:7], v[6:7], v[20:21]
	s_load_b32 s0, s[6:7], 0x0
	s_wait_dscnt 0xc
	v_pk_add_f32 v[24:25], v[10:11], v[24:25]
	ds_bpermute_b32 v38, v122, v4
	s_wait_dscnt 0xb
	v_pk_add_f32 v[2:3], v[2:3], v[34:35]
	ds_bpermute_b32 v34, v124, v12
	ds_bpermute_b32 v35, v124, v13
	;; [unrolled: 1-line block ×4, first 2 shown]
	s_wait_dscnt 0xd
	v_pk_add_f32 v[8:9], v[8:9], v[22:23]
	ds_bpermute_b32 v22, v122, v6
	ds_bpermute_b32 v23, v122, v7
	ds_bpermute_b32 v51, v122, v25
	s_wait_dscnt 0xd
	v_pk_add_f32 v[30:31], v[18:19], v[30:31]
	s_wait_dscnt 0xc
	v_pk_add_f32 v[0:1], v[0:1], v[32:33]
	ds_bpermute_b32 v36, v122, v2
	s_wait_dscnt 0xb
	v_pk_add_f32 v[26:27], v[14:15], v[26:27]
	ds_bpermute_b32 v37, v122, v3
	ds_bpermute_b32 v48, v122, v8
	s_wait_dscnt 0xb
	v_pk_add_f32 v[28:29], v[16:17], v[28:29]
	ds_bpermute_b32 v32, v122, v0
	ds_bpermute_b32 v33, v122, v1
	;; [unrolled: 1-line block ×6, first 2 shown]
	s_wait_dscnt 0xe
	v_pk_add_f32 v[18:19], v[12:13], v[34:35]
	s_wait_dscnt 0xd
	v_pk_add_f32 v[12:13], v[4:5], v[38:39]
	ds_bpermute_b32 v34, v122, v28
	ds_bpermute_b32 v35, v122, v29
	;; [unrolled: 1-line block ×3, first 2 shown]
	s_wait_dscnt 0xd
	v_pk_add_f32 v[10:11], v[6:7], v[22:23]
	s_wait_dscnt 0xc
	v_pk_add_f32 v[4:5], v[24:25], v[50:51]
	s_clause 0x1
	scratch_load_b32 v24, off, s32 offset:800
	scratch_load_b32 v22, off, s32 offset:440 th:TH_LOAD_LU
	ds_bpermute_b32 v20, v122, v18
	ds_bpermute_b32 v21, v122, v19
	s_wait_dscnt 0xc
	v_pk_add_f32 v[14:15], v[2:3], v[36:37]
	s_mov_b32 s1, exec_lo
	s_wait_dscnt 0x9
	v_pk_add_f32 v[16:17], v[0:1], v[32:33]
	s_wait_dscnt 0x8
	v_pk_add_f32 v[8:9], v[8:9], v[48:49]
	;; [unrolled: 2-line block ×5, first 2 shown]
	s_wait_loadcnt 0x1
	v_and_b32_e32 v23, 0x3c7, v24
	s_wait_loadcnt 0x0
	v_lshrrev_b32_e32 v22, 3, v22
	s_delay_alu instid0(VALU_DEP_2) | instskip(SKIP_1) | instid1(SALU_CYCLE_1)
	v_cmpx_ne_u32_e32 64, v23
	s_xor_b32 s1, exec_lo, s1
	s_or_saveexec_b32 s1, s1
	s_wait_dscnt 0x0
	v_pk_add_f32 v[18:19], v[18:19], v[20:21]
	scratch_load_b32 v20, off, s32 offset:804 th:TH_LOAD_LU ; 4-byte Folded Reload
	s_wait_kmcnt 0x0
	v_lshl_add_u32 v21, v22, 2, s0
	s_wait_loadcnt 0x0
	v_mul_u32_u24_e32 v20, 0x140, v20
	s_xor_b32 exec_lo, exec_lo, s1
	s_cbranch_execz .LBB204_1369
; %bb.1368:
	s_delay_alu instid0(VALU_DEP_1) | instskip(NEXT) | instid1(VALU_DEP_1)
	v_add_nc_u32_e32 v23, v21, v20
	v_add_nc_u32_e32 v24, 0xfffffd80, v23
	;; [unrolled: 1-line block ×9, first 2 shown]
	ds_store_b32 v24, v16
	ds_store_b32 v25, v17
	ds_store_b32 v26, v14
	ds_store_b32 v27, v15
	ds_store_b32 v28, v12
	ds_store_b32 v29, v13
	ds_store_b32 v30, v10
	ds_store_b32 v31, v11
	v_add_nc_u32_e32 v24, 0xfffffe00, v23
	v_add_nc_u32_e32 v25, 0xfffffe10, v23
	ds_store_b32 v24, v8
	ds_store_b32 v25, v9
	scratch_load_b32 v24, off, s32 offset:800 ; 4-byte Folded Reload
	v_add_nc_u32_e32 v26, 0xfffffe20, v23
	v_add_nc_u32_e32 v27, 0xfffffe30, v23
	;; [unrolled: 1-line block ×10, first 2 shown]
	ds_store_b32 v26, v4
	ds_store_b32 v27, v5
	ds_store_b32 v28, v6
	ds_store_b32 v29, v7
	ds_store_b32 v30, v2
	ds_store_b32 v31, v3
	ds_store_b32 v32, v0
	ds_store_b32 v33, v1
	ds_store_b32 v34, v18
	ds_store_b32 v23, v19
.LBB204_1369:
	s_wait_xcnt 0x0
	s_or_b32 exec_lo, exec_lo, s1
	v_lshlrev_b32_e32 v22, 2, v22
	s_mov_b32 s1, exec_lo
	v_cmp_eq_u32_e32 vcc_lo, 0, v64
	s_wait_loadcnt_dscnt 0x0
	s_barrier_signal -1
	v_add3_u32 v20, s0, v20, v22
	s_barrier_wait -1
	v_cmpx_gt_u32_e32 64, v24
	s_cbranch_execz .LBB204_1392
; %bb.1370:
	s_and_saveexec_b32 s0, vcc_lo
	s_cbranch_execnz .LBB204_1420
; %bb.1371:
	s_or_b32 exec_lo, exec_lo, s0
	s_and_saveexec_b32 s0, vcc_lo
	s_cbranch_execnz .LBB204_1421
.LBB204_1372:
	s_or_b32 exec_lo, exec_lo, s0
	s_and_saveexec_b32 s0, vcc_lo
	s_cbranch_execnz .LBB204_1422
.LBB204_1373:
	s_or_b32 exec_lo, exec_lo, s0
	s_and_saveexec_b32 s0, vcc_lo
	s_cbranch_execnz .LBB204_1423
.LBB204_1374:
	s_or_b32 exec_lo, exec_lo, s0
	s_and_saveexec_b32 s0, vcc_lo
	s_cbranch_execnz .LBB204_1424
.LBB204_1375:
	s_or_b32 exec_lo, exec_lo, s0
	s_and_saveexec_b32 s0, vcc_lo
	s_cbranch_execnz .LBB204_1425
.LBB204_1376:
	s_or_b32 exec_lo, exec_lo, s0
	s_and_saveexec_b32 s0, vcc_lo
	s_cbranch_execnz .LBB204_1426
.LBB204_1377:
	s_or_b32 exec_lo, exec_lo, s0
	s_and_saveexec_b32 s0, vcc_lo
	s_cbranch_execnz .LBB204_1427
.LBB204_1378:
	s_or_b32 exec_lo, exec_lo, s0
	s_and_saveexec_b32 s0, vcc_lo
	s_cbranch_execnz .LBB204_1428
.LBB204_1379:
	s_or_b32 exec_lo, exec_lo, s0
	s_and_saveexec_b32 s0, vcc_lo
	s_cbranch_execnz .LBB204_1429
.LBB204_1380:
	s_or_b32 exec_lo, exec_lo, s0
	s_and_saveexec_b32 s0, vcc_lo
	s_cbranch_execnz .LBB204_1430
.LBB204_1381:
	s_or_b32 exec_lo, exec_lo, s0
	s_and_saveexec_b32 s0, vcc_lo
	s_cbranch_execnz .LBB204_1431
.LBB204_1382:
	s_or_b32 exec_lo, exec_lo, s0
	s_and_saveexec_b32 s0, vcc_lo
	s_cbranch_execnz .LBB204_1432
.LBB204_1383:
	s_or_b32 exec_lo, exec_lo, s0
	s_and_saveexec_b32 s0, vcc_lo
	s_cbranch_execnz .LBB204_1433
.LBB204_1384:
	s_or_b32 exec_lo, exec_lo, s0
	s_and_saveexec_b32 s0, vcc_lo
	s_cbranch_execnz .LBB204_1434
.LBB204_1385:
	s_or_b32 exec_lo, exec_lo, s0
	s_and_saveexec_b32 s0, vcc_lo
	s_cbranch_execnz .LBB204_1435
.LBB204_1386:
	s_or_b32 exec_lo, exec_lo, s0
	s_and_saveexec_b32 s0, vcc_lo
	s_cbranch_execnz .LBB204_1436
.LBB204_1387:
	s_or_b32 exec_lo, exec_lo, s0
	s_and_saveexec_b32 s0, vcc_lo
	s_cbranch_execnz .LBB204_1437
.LBB204_1388:
	s_or_b32 exec_lo, exec_lo, s0
	s_and_saveexec_b32 s0, vcc_lo
	s_cbranch_execnz .LBB204_1438
.LBB204_1389:
	s_or_b32 exec_lo, exec_lo, s0
	s_and_saveexec_b32 s0, vcc_lo
	s_cbranch_execz .LBB204_1391
.LBB204_1390:
	ds_load_b32 v22, v20 offset:304
	s_wait_dscnt 0x0
	v_add_f32_e32 v19, v22, v19
.LBB204_1391:
	s_or_b32 exec_lo, exec_lo, s0
.LBB204_1392:
	s_delay_alu instid0(SALU_CYCLE_1) | instskip(SKIP_4) | instid1(VALU_DEP_1)
	s_or_b32 exec_lo, exec_lo, s1
	v_and_b32_e32 v22, 0x3e7, v24
	s_mov_b32 s1, exec_lo
	s_barrier_signal -1
	s_barrier_wait -1
	v_cmpx_eq_u32_e32 32, v22
	s_cbranch_execz .LBB204_1394
; %bb.1393:
	ds_store_2addr_b32 v21, v16, v17 offset1:4
	ds_store_2addr_b32 v21, v14, v15 offset0:8 offset1:12
	ds_store_2addr_b32 v21, v12, v13 offset0:16 offset1:20
	;; [unrolled: 1-line block ×9, first 2 shown]
.LBB204_1394:
	s_or_b32 exec_lo, exec_lo, s1
	s_delay_alu instid0(SALU_CYCLE_1)
	s_mov_b32 s1, exec_lo
	s_wait_dscnt 0x0
	s_barrier_signal -1
	s_barrier_wait -1
	v_cmpx_gt_u32_e32 32, v24
	s_cbranch_execz .LBB204_1417
; %bb.1395:
	s_and_saveexec_b32 s0, vcc_lo
	s_cbranch_execnz .LBB204_1439
; %bb.1396:
	s_or_b32 exec_lo, exec_lo, s0
	s_and_saveexec_b32 s0, vcc_lo
	s_cbranch_execnz .LBB204_1440
.LBB204_1397:
	s_or_b32 exec_lo, exec_lo, s0
	s_and_saveexec_b32 s0, vcc_lo
	s_cbranch_execnz .LBB204_1441
.LBB204_1398:
	s_or_b32 exec_lo, exec_lo, s0
	s_and_saveexec_b32 s0, vcc_lo
	s_cbranch_execnz .LBB204_1442
.LBB204_1399:
	s_or_b32 exec_lo, exec_lo, s0
	s_and_saveexec_b32 s0, vcc_lo
	s_cbranch_execnz .LBB204_1443
.LBB204_1400:
	s_or_b32 exec_lo, exec_lo, s0
	s_and_saveexec_b32 s0, vcc_lo
	s_cbranch_execnz .LBB204_1444
.LBB204_1401:
	s_or_b32 exec_lo, exec_lo, s0
	s_and_saveexec_b32 s0, vcc_lo
	s_cbranch_execnz .LBB204_1445
.LBB204_1402:
	s_or_b32 exec_lo, exec_lo, s0
	s_and_saveexec_b32 s0, vcc_lo
	s_cbranch_execnz .LBB204_1446
.LBB204_1403:
	s_or_b32 exec_lo, exec_lo, s0
	s_and_saveexec_b32 s0, vcc_lo
	s_cbranch_execnz .LBB204_1447
.LBB204_1404:
	s_or_b32 exec_lo, exec_lo, s0
	s_and_saveexec_b32 s0, vcc_lo
	s_cbranch_execnz .LBB204_1448
.LBB204_1405:
	s_or_b32 exec_lo, exec_lo, s0
	s_and_saveexec_b32 s0, vcc_lo
	s_cbranch_execnz .LBB204_1449
.LBB204_1406:
	s_or_b32 exec_lo, exec_lo, s0
	s_and_saveexec_b32 s0, vcc_lo
	s_cbranch_execnz .LBB204_1450
.LBB204_1407:
	s_or_b32 exec_lo, exec_lo, s0
	s_and_saveexec_b32 s0, vcc_lo
	s_cbranch_execnz .LBB204_1451
.LBB204_1408:
	s_or_b32 exec_lo, exec_lo, s0
	s_and_saveexec_b32 s0, vcc_lo
	s_cbranch_execnz .LBB204_1452
.LBB204_1409:
	s_or_b32 exec_lo, exec_lo, s0
	s_and_saveexec_b32 s0, vcc_lo
	s_cbranch_execnz .LBB204_1453
.LBB204_1410:
	s_or_b32 exec_lo, exec_lo, s0
	s_and_saveexec_b32 s0, vcc_lo
	s_cbranch_execnz .LBB204_1454
.LBB204_1411:
	s_or_b32 exec_lo, exec_lo, s0
	s_and_saveexec_b32 s0, vcc_lo
	s_cbranch_execnz .LBB204_1455
.LBB204_1412:
	s_or_b32 exec_lo, exec_lo, s0
	s_and_saveexec_b32 s0, vcc_lo
	s_cbranch_execnz .LBB204_1456
.LBB204_1413:
	s_or_b32 exec_lo, exec_lo, s0
	s_and_saveexec_b32 s0, vcc_lo
	s_cbranch_execnz .LBB204_1457
.LBB204_1414:
	s_or_b32 exec_lo, exec_lo, s0
	s_and_saveexec_b32 s0, vcc_lo
	s_cbranch_execz .LBB204_1416
.LBB204_1415:
	ds_load_b32 v20, v20 offset:304
	s_wait_dscnt 0x0
	v_add_f32_e32 v19, v20, v19
.LBB204_1416:
	s_or_b32 exec_lo, exec_lo, s0
.LBB204_1417:
	s_delay_alu instid0(SALU_CYCLE_1)
	s_or_b32 exec_lo, exec_lo, s1
	s_mov_b32 s1, 0
	s_mov_b32 s2, exec_lo
	s_barrier_signal -1
	s_barrier_wait -1
	v_cmpx_eq_u32_e32 0, v22
	s_cbranch_execz .LBB204_1419
; %bb.1418:
	scratch_load_b64 v[20:21], off, s32 offset:808 th:TH_LOAD_LU ; 8-byte Folded Reload
	s_and_b32 s0, 0xffff, s13
	v_dual_mov_b32 v23, 0 :: v_dual_lshrrev_b32 v22, 1, v24
	s_cmp_lg_u32 s0, 0
	s_cselect_b32 s0, -1, 0
	s_delay_alu instid0(SALU_CYCLE_1)
	s_cmp_lg_u32 s0, 0
	s_add_co_ci_u32 s0, s5, 0
	s_bfe_u32 s8, ttmp6, 0x40014
	s_mul_i32 s5, s0, s11
	s_lshr_b32 s3, ttmp7, 16
	s_mul_i32 s5, s5, s12
	s_add_co_i32 s8, s8, 1
	s_mul_i32 s6, s5, 0x50
	s_bfe_u32 s9, ttmp6, 0x40008
	s_ashr_i32 s7, s6, 31
	s_mul_i32 s4, s4, s0
	s_mul_i32 s0, s3, s8
	s_ashr_i32 s5, s4, 31
	s_add_co_i32 s9, s9, s0
	s_cmp_eq_u32 s10, 0
	s_cselect_b32 s0, s3, s9
	s_delay_alu instid0(SALU_CYCLE_1) | instskip(SKIP_2) | instid1(VALU_DEP_1)
	s_mulk_i32 s0, 0x140
	s_wait_loadcnt 0x0
	v_lshl_add_u64 v[20:21], s[6:7], 2, v[20:21]
	v_lshl_add_u64 v[20:21], s[4:5], 2, v[20:21]
	s_delay_alu instid0(VALU_DEP_1) | instskip(NEXT) | instid1(VALU_DEP_1)
	v_add_nc_u64_e32 v[20:21], s[0:1], v[20:21]
	v_add_nc_u64_e32 v[20:21], v[20:21], v[22:23]
	s_clause 0x13
	flat_store_b32 v[20:21], v16
	flat_store_b32 v[20:21], v17 offset:16
	flat_store_b32 v[20:21], v14 offset:32
	;; [unrolled: 1-line block ×19, first 2 shown]
.LBB204_1419:
	s_wait_xcnt 0x0
	s_or_b32 exec_lo, exec_lo, s2
	s_clause 0x2f
	scratch_load_b32 v127, off, s32
	scratch_load_b32 v126, off, s32 offset:4
	scratch_load_b32 v125, off, s32 offset:8
	;; [unrolled: 1-line block ×47, first 2 shown]
	s_wait_loadcnt_dscnt 0x0
	s_set_pc_i64 s[30:31]
.LBB204_1420:
	ds_load_b32 v22, v20
	s_wait_dscnt 0x0
	v_add_f32_e32 v16, v22, v16
	s_or_b32 exec_lo, exec_lo, s0
	s_and_saveexec_b32 s0, vcc_lo
	s_cbranch_execz .LBB204_1372
.LBB204_1421:
	ds_load_b32 v22, v20 offset:16
	s_wait_dscnt 0x0
	v_add_f32_e32 v17, v22, v17
	s_or_b32 exec_lo, exec_lo, s0
	s_and_saveexec_b32 s0, vcc_lo
	s_cbranch_execz .LBB204_1373
.LBB204_1422:
	ds_load_b32 v22, v20 offset:32
	s_wait_dscnt 0x0
	v_add_f32_e32 v14, v22, v14
	s_or_b32 exec_lo, exec_lo, s0
	s_and_saveexec_b32 s0, vcc_lo
	s_cbranch_execz .LBB204_1374
.LBB204_1423:
	ds_load_b32 v22, v20 offset:48
	s_wait_dscnt 0x0
	v_add_f32_e32 v15, v22, v15
	s_or_b32 exec_lo, exec_lo, s0
	s_and_saveexec_b32 s0, vcc_lo
	s_cbranch_execz .LBB204_1375
.LBB204_1424:
	ds_load_b32 v22, v20 offset:64
	s_wait_dscnt 0x0
	v_add_f32_e32 v12, v22, v12
	s_or_b32 exec_lo, exec_lo, s0
	s_and_saveexec_b32 s0, vcc_lo
	s_cbranch_execz .LBB204_1376
.LBB204_1425:
	ds_load_b32 v22, v20 offset:80
	s_wait_dscnt 0x0
	v_add_f32_e32 v13, v22, v13
	s_or_b32 exec_lo, exec_lo, s0
	s_and_saveexec_b32 s0, vcc_lo
	s_cbranch_execz .LBB204_1377
.LBB204_1426:
	ds_load_b32 v22, v20 offset:96
	s_wait_dscnt 0x0
	v_add_f32_e32 v10, v22, v10
	s_or_b32 exec_lo, exec_lo, s0
	s_and_saveexec_b32 s0, vcc_lo
	s_cbranch_execz .LBB204_1378
.LBB204_1427:
	ds_load_b32 v22, v20 offset:112
	s_wait_dscnt 0x0
	v_add_f32_e32 v11, v22, v11
	s_or_b32 exec_lo, exec_lo, s0
	s_and_saveexec_b32 s0, vcc_lo
	s_cbranch_execz .LBB204_1379
.LBB204_1428:
	ds_load_b32 v22, v20 offset:128
	s_wait_dscnt 0x0
	v_add_f32_e32 v8, v22, v8
	s_or_b32 exec_lo, exec_lo, s0
	s_and_saveexec_b32 s0, vcc_lo
	s_cbranch_execz .LBB204_1380
.LBB204_1429:
	ds_load_b32 v22, v20 offset:144
	s_wait_dscnt 0x0
	v_add_f32_e32 v9, v22, v9
	s_or_b32 exec_lo, exec_lo, s0
	s_and_saveexec_b32 s0, vcc_lo
	s_cbranch_execz .LBB204_1381
.LBB204_1430:
	ds_load_b32 v22, v20 offset:160
	s_wait_dscnt 0x0
	v_add_f32_e32 v4, v22, v4
	s_or_b32 exec_lo, exec_lo, s0
	s_and_saveexec_b32 s0, vcc_lo
	s_cbranch_execz .LBB204_1382
.LBB204_1431:
	ds_load_b32 v22, v20 offset:176
	s_wait_dscnt 0x0
	v_add_f32_e32 v5, v22, v5
	s_or_b32 exec_lo, exec_lo, s0
	s_and_saveexec_b32 s0, vcc_lo
	s_cbranch_execz .LBB204_1383
.LBB204_1432:
	ds_load_b32 v22, v20 offset:192
	s_wait_dscnt 0x0
	v_add_f32_e32 v6, v22, v6
	s_or_b32 exec_lo, exec_lo, s0
	s_and_saveexec_b32 s0, vcc_lo
	s_cbranch_execz .LBB204_1384
.LBB204_1433:
	ds_load_b32 v22, v20 offset:208
	s_wait_dscnt 0x0
	v_add_f32_e32 v7, v22, v7
	s_or_b32 exec_lo, exec_lo, s0
	s_and_saveexec_b32 s0, vcc_lo
	s_cbranch_execz .LBB204_1385
.LBB204_1434:
	ds_load_b32 v22, v20 offset:224
	s_wait_dscnt 0x0
	v_add_f32_e32 v2, v22, v2
	s_or_b32 exec_lo, exec_lo, s0
	s_and_saveexec_b32 s0, vcc_lo
	s_cbranch_execz .LBB204_1386
.LBB204_1435:
	ds_load_b32 v22, v20 offset:240
	s_wait_dscnt 0x0
	v_add_f32_e32 v3, v22, v3
	s_or_b32 exec_lo, exec_lo, s0
	s_and_saveexec_b32 s0, vcc_lo
	s_cbranch_execz .LBB204_1387
.LBB204_1436:
	ds_load_b32 v22, v20 offset:256
	s_wait_dscnt 0x0
	v_add_f32_e32 v0, v22, v0
	s_or_b32 exec_lo, exec_lo, s0
	s_and_saveexec_b32 s0, vcc_lo
	s_cbranch_execz .LBB204_1388
.LBB204_1437:
	ds_load_b32 v22, v20 offset:272
	s_wait_dscnt 0x0
	v_add_f32_e32 v1, v22, v1
	s_or_b32 exec_lo, exec_lo, s0
	s_and_saveexec_b32 s0, vcc_lo
	s_cbranch_execz .LBB204_1389
.LBB204_1438:
	ds_load_b32 v22, v20 offset:288
	s_wait_dscnt 0x0
	v_add_f32_e32 v18, v22, v18
	s_or_b32 exec_lo, exec_lo, s0
	s_and_saveexec_b32 s0, vcc_lo
	s_cbranch_execnz .LBB204_1390
	s_branch .LBB204_1391
.LBB204_1439:
	ds_load_b32 v21, v20
	s_wait_dscnt 0x0
	v_add_f32_e32 v16, v21, v16
	s_or_b32 exec_lo, exec_lo, s0
	s_and_saveexec_b32 s0, vcc_lo
	s_cbranch_execz .LBB204_1397
.LBB204_1440:
	ds_load_b32 v21, v20 offset:16
	s_wait_dscnt 0x0
	v_add_f32_e32 v17, v21, v17
	s_or_b32 exec_lo, exec_lo, s0
	s_and_saveexec_b32 s0, vcc_lo
	s_cbranch_execz .LBB204_1398
.LBB204_1441:
	ds_load_b32 v21, v20 offset:32
	s_wait_dscnt 0x0
	v_add_f32_e32 v14, v21, v14
	s_or_b32 exec_lo, exec_lo, s0
	s_and_saveexec_b32 s0, vcc_lo
	s_cbranch_execz .LBB204_1399
.LBB204_1442:
	ds_load_b32 v21, v20 offset:48
	s_wait_dscnt 0x0
	v_add_f32_e32 v15, v21, v15
	s_or_b32 exec_lo, exec_lo, s0
	s_and_saveexec_b32 s0, vcc_lo
	s_cbranch_execz .LBB204_1400
.LBB204_1443:
	ds_load_b32 v21, v20 offset:64
	s_wait_dscnt 0x0
	v_add_f32_e32 v12, v21, v12
	s_or_b32 exec_lo, exec_lo, s0
	s_and_saveexec_b32 s0, vcc_lo
	s_cbranch_execz .LBB204_1401
.LBB204_1444:
	ds_load_b32 v21, v20 offset:80
	s_wait_dscnt 0x0
	v_add_f32_e32 v13, v21, v13
	s_or_b32 exec_lo, exec_lo, s0
	s_and_saveexec_b32 s0, vcc_lo
	s_cbranch_execz .LBB204_1402
.LBB204_1445:
	ds_load_b32 v21, v20 offset:96
	s_wait_dscnt 0x0
	v_add_f32_e32 v10, v21, v10
	s_or_b32 exec_lo, exec_lo, s0
	s_and_saveexec_b32 s0, vcc_lo
	s_cbranch_execz .LBB204_1403
.LBB204_1446:
	ds_load_b32 v21, v20 offset:112
	s_wait_dscnt 0x0
	v_add_f32_e32 v11, v21, v11
	s_or_b32 exec_lo, exec_lo, s0
	s_and_saveexec_b32 s0, vcc_lo
	s_cbranch_execz .LBB204_1404
.LBB204_1447:
	ds_load_b32 v21, v20 offset:128
	s_wait_dscnt 0x0
	v_add_f32_e32 v8, v21, v8
	s_or_b32 exec_lo, exec_lo, s0
	s_and_saveexec_b32 s0, vcc_lo
	s_cbranch_execz .LBB204_1405
.LBB204_1448:
	ds_load_b32 v21, v20 offset:144
	s_wait_dscnt 0x0
	v_add_f32_e32 v9, v21, v9
	s_or_b32 exec_lo, exec_lo, s0
	s_and_saveexec_b32 s0, vcc_lo
	s_cbranch_execz .LBB204_1406
.LBB204_1449:
	ds_load_b32 v21, v20 offset:160
	s_wait_dscnt 0x0
	v_add_f32_e32 v4, v21, v4
	s_or_b32 exec_lo, exec_lo, s0
	s_and_saveexec_b32 s0, vcc_lo
	s_cbranch_execz .LBB204_1407
.LBB204_1450:
	ds_load_b32 v21, v20 offset:176
	s_wait_dscnt 0x0
	v_add_f32_e32 v5, v21, v5
	s_or_b32 exec_lo, exec_lo, s0
	s_and_saveexec_b32 s0, vcc_lo
	s_cbranch_execz .LBB204_1408
.LBB204_1451:
	ds_load_b32 v21, v20 offset:192
	s_wait_dscnt 0x0
	v_add_f32_e32 v6, v21, v6
	s_or_b32 exec_lo, exec_lo, s0
	s_and_saveexec_b32 s0, vcc_lo
	s_cbranch_execz .LBB204_1409
.LBB204_1452:
	ds_load_b32 v21, v20 offset:208
	s_wait_dscnt 0x0
	v_add_f32_e32 v7, v21, v7
	s_or_b32 exec_lo, exec_lo, s0
	s_and_saveexec_b32 s0, vcc_lo
	s_cbranch_execz .LBB204_1410
.LBB204_1453:
	ds_load_b32 v21, v20 offset:224
	s_wait_dscnt 0x0
	v_add_f32_e32 v2, v21, v2
	s_or_b32 exec_lo, exec_lo, s0
	s_and_saveexec_b32 s0, vcc_lo
	s_cbranch_execz .LBB204_1411
.LBB204_1454:
	ds_load_b32 v21, v20 offset:240
	s_wait_dscnt 0x0
	v_add_f32_e32 v3, v21, v3
	s_or_b32 exec_lo, exec_lo, s0
	s_and_saveexec_b32 s0, vcc_lo
	s_cbranch_execz .LBB204_1412
.LBB204_1455:
	ds_load_b32 v21, v20 offset:256
	s_wait_dscnt 0x0
	v_add_f32_e32 v0, v21, v0
	s_or_b32 exec_lo, exec_lo, s0
	s_and_saveexec_b32 s0, vcc_lo
	s_cbranch_execz .LBB204_1413
.LBB204_1456:
	ds_load_b32 v21, v20 offset:272
	s_wait_dscnt 0x0
	v_add_f32_e32 v1, v21, v1
	s_or_b32 exec_lo, exec_lo, s0
	s_and_saveexec_b32 s0, vcc_lo
	s_cbranch_execz .LBB204_1414
.LBB204_1457:
	ds_load_b32 v21, v20 offset:288
	s_wait_dscnt 0x0
	v_add_f32_e32 v18, v21, v18
	s_or_b32 exec_lo, exec_lo, s0
	s_and_saveexec_b32 s0, vcc_lo
	s_cbranch_execnz .LBB204_1415
	s_branch .LBB204_1416
.Lfunc_end204:
	.size	_ZN4vllm22paged_attention_kernelIfhLi80ELi32ELi128ELNS_18Fp8KVCacheDataTypeE1ELb1ELi0EEEvPfS2_PT_PKS3_PKT0_S9_ifPKiSB_iPKfiiiSD_SD_iiiii, .Lfunc_end204-_ZN4vllm22paged_attention_kernelIfhLi80ELi32ELi128ELNS_18Fp8KVCacheDataTypeE1ELb1ELi0EEEvPfS2_PT_PKS3_PKT0_S9_ifPKiSB_iPKfiiiSD_SD_iiiii
                                        ; -- End function
	.set .L_ZN4vllm22paged_attention_kernelIfhLi80ELi32ELi128ELNS_18Fp8KVCacheDataTypeE1ELb1ELi0EEEvPfS2_PT_PKS3_PKT0_S9_ifPKiSB_iPKfiiiSD_SD_iiiii.num_vgpr, 128
	.set .L_ZN4vllm22paged_attention_kernelIfhLi80ELi32ELi128ELNS_18Fp8KVCacheDataTypeE1ELb1ELi0EEEvPfS2_PT_PKS3_PKT0_S9_ifPKiSB_iPKfiiiSD_SD_iiiii.num_agpr, 0
	.set .L_ZN4vllm22paged_attention_kernelIfhLi80ELi32ELi128ELNS_18Fp8KVCacheDataTypeE1ELb1ELi0EEEvPfS2_PT_PKS3_PKT0_S9_ifPKiSB_iPKfiiiSD_SD_iiiii.numbered_sgpr, 33
	.set .L_ZN4vllm22paged_attention_kernelIfhLi80ELi32ELi128ELNS_18Fp8KVCacheDataTypeE1ELb1ELi0EEEvPfS2_PT_PKS3_PKT0_S9_ifPKiSB_iPKfiiiSD_SD_iiiii.num_named_barrier, 0
	.set .L_ZN4vllm22paged_attention_kernelIfhLi80ELi32ELi128ELNS_18Fp8KVCacheDataTypeE1ELb1ELi0EEEvPfS2_PT_PKS3_PKT0_S9_ifPKiSB_iPKfiiiSD_SD_iiiii.private_seg_size, 868
	.set .L_ZN4vllm22paged_attention_kernelIfhLi80ELi32ELi128ELNS_18Fp8KVCacheDataTypeE1ELb1ELi0EEEvPfS2_PT_PKS3_PKT0_S9_ifPKiSB_iPKfiiiSD_SD_iiiii.uses_vcc, 1
	.set .L_ZN4vllm22paged_attention_kernelIfhLi80ELi32ELi128ELNS_18Fp8KVCacheDataTypeE1ELb1ELi0EEEvPfS2_PT_PKS3_PKT0_S9_ifPKiSB_iPKfiiiSD_SD_iiiii.uses_flat_scratch, 1
	.set .L_ZN4vllm22paged_attention_kernelIfhLi80ELi32ELi128ELNS_18Fp8KVCacheDataTypeE1ELb1ELi0EEEvPfS2_PT_PKS3_PKT0_S9_ifPKiSB_iPKfiiiSD_SD_iiiii.has_dyn_sized_stack, 0
	.set .L_ZN4vllm22paged_attention_kernelIfhLi80ELi32ELi128ELNS_18Fp8KVCacheDataTypeE1ELb1ELi0EEEvPfS2_PT_PKS3_PKT0_S9_ifPKiSB_iPKfiiiSD_SD_iiiii.has_recursion, 0
	.set .L_ZN4vllm22paged_attention_kernelIfhLi80ELi32ELi128ELNS_18Fp8KVCacheDataTypeE1ELb1ELi0EEEvPfS2_PT_PKS3_PKT0_S9_ifPKiSB_iPKfiiiSD_SD_iiiii.has_indirect_call, 0
	.section	.AMDGPU.csdata,"",@progbits
; Function info:
; codeLenInByte = 54136
; TotalNumSgprs: 35
; NumVgprs: 128
; ScratchSize: 868
; MemoryBound: 0
	.section	.text._ZN4vllm25paged_attention_v1_kernelIfhLi80ELi32ELi128ELNS_18Fp8KVCacheDataTypeE1ELb1EEEvPT_PKS2_PKT0_S8_ifPKiSA_iPKfiiiSC_SC_iiiii,"axG",@progbits,_ZN4vllm25paged_attention_v1_kernelIfhLi80ELi32ELi128ELNS_18Fp8KVCacheDataTypeE1ELb1EEEvPT_PKS2_PKT0_S8_ifPKiSA_iPKfiiiSC_SC_iiiii,comdat
	.protected	_ZN4vllm25paged_attention_v1_kernelIfhLi80ELi32ELi128ELNS_18Fp8KVCacheDataTypeE1ELb1EEEvPT_PKS2_PKT0_S8_ifPKiSA_iPKfiiiSC_SC_iiiii ; -- Begin function _ZN4vllm25paged_attention_v1_kernelIfhLi80ELi32ELi128ELNS_18Fp8KVCacheDataTypeE1ELb1EEEvPT_PKS2_PKT0_S8_ifPKiSA_iPKfiiiSC_SC_iiiii
	.globl	_ZN4vllm25paged_attention_v1_kernelIfhLi80ELi32ELi128ELNS_18Fp8KVCacheDataTypeE1ELb1EEEvPT_PKS2_PKT0_S8_ifPKiSA_iPKfiiiSC_SC_iiiii
	.p2align	8
	.type	_ZN4vllm25paged_attention_v1_kernelIfhLi80ELi32ELi128ELNS_18Fp8KVCacheDataTypeE1ELb1EEEvPT_PKS2_PKT0_S8_ifPKiSA_iPKfiiiSC_SC_iiiii,@function
_ZN4vllm25paged_attention_v1_kernelIfhLi80ELi32ELi128ELNS_18Fp8KVCacheDataTypeE1ELb1EEEvPT_PKS2_PKT0_S8_ifPKiSA_iPKfiiiSC_SC_iiiii: ; @_ZN4vllm25paged_attention_v1_kernelIfhLi80ELi32ELi128ELNS_18Fp8KVCacheDataTypeE1ELb1EEEvPT_PKS2_PKT0_S8_ifPKiSA_iPKfiiiSC_SC_iiiii
; %bb.0:
	s_clause 0x6
	s_load_b256 s[12:19], s[0:1], 0x0
	s_load_b128 s[4:7], s[0:1], 0x20
	s_load_b96 s[28:30], s[0:1], 0x30
	s_load_b64 s[10:11], s[0:1], 0x40
	s_load_b96 s[36:38], s[0:1], 0x48
	s_load_b256 s[20:27], s[0:1], 0x58
	s_load_b32 s31, s[0:1], 0x78
	v_mov_b32_e32 v31, v0
	s_get_pc_i64 s[2:3]
	s_add_nc_u64 s[2:3], s[2:3], _ZN4vllm22paged_attention_kernelIfhLi80ELi32ELi128ELNS_18Fp8KVCacheDataTypeE1ELb1ELi0EEEvPfS2_PT_PKS3_PKT0_S9_ifPKiSB_iPKfiiiSD_SD_iiiii@rel64+4
	s_add_nc_u64 s[8:9], s[0:1], 0x80
	s_mov_b32 s32, 0
	s_wait_kmcnt 0x0
	v_dual_mov_b32 v15, s10 :: v_dual_mov_b32 v16, s11
	v_dual_mov_b32 v0, s12 :: v_dual_mov_b32 v1, s13
	;; [unrolled: 1-line block ×14, first 2 shown]
	v_mov_b32_e32 v28, s31
	s_mov_b32 s15, 31
	s_swap_pc_i64 s[30:31], s[2:3]
	s_endpgm
	.section	.rodata,"a",@progbits
	.p2align	6, 0x0
	.amdhsa_kernel _ZN4vllm25paged_attention_v1_kernelIfhLi80ELi32ELi128ELNS_18Fp8KVCacheDataTypeE1ELb1EEEvPT_PKS2_PKT0_S8_ifPKiSA_iPKfiiiSC_SC_iiiii
		.amdhsa_group_segment_fixed_size 352
		.amdhsa_private_segment_fixed_size 868
		.amdhsa_kernarg_size 384
		.amdhsa_user_sgpr_count 2
		.amdhsa_user_sgpr_dispatch_ptr 0
		.amdhsa_user_sgpr_queue_ptr 0
		.amdhsa_user_sgpr_kernarg_segment_ptr 1
		.amdhsa_user_sgpr_dispatch_id 0
		.amdhsa_user_sgpr_kernarg_preload_length 0
		.amdhsa_user_sgpr_kernarg_preload_offset 0
		.amdhsa_user_sgpr_private_segment_size 0
		.amdhsa_wavefront_size32 1
		.amdhsa_uses_dynamic_stack 0
		.amdhsa_enable_private_segment 1
		.amdhsa_system_sgpr_workgroup_id_x 1
		.amdhsa_system_sgpr_workgroup_id_y 1
		.amdhsa_system_sgpr_workgroup_id_z 1
		.amdhsa_system_sgpr_workgroup_info 0
		.amdhsa_system_vgpr_workitem_id 0
		.amdhsa_next_free_vgpr 128
		.amdhsa_next_free_sgpr 39
		.amdhsa_named_barrier_count 0
		.amdhsa_reserve_vcc 1
		.amdhsa_float_round_mode_32 0
		.amdhsa_float_round_mode_16_64 0
		.amdhsa_float_denorm_mode_32 3
		.amdhsa_float_denorm_mode_16_64 3
		.amdhsa_fp16_overflow 0
		.amdhsa_memory_ordered 1
		.amdhsa_forward_progress 1
		.amdhsa_inst_pref_size 2
		.amdhsa_round_robin_scheduling 0
		.amdhsa_exception_fp_ieee_invalid_op 0
		.amdhsa_exception_fp_denorm_src 0
		.amdhsa_exception_fp_ieee_div_zero 0
		.amdhsa_exception_fp_ieee_overflow 0
		.amdhsa_exception_fp_ieee_underflow 0
		.amdhsa_exception_fp_ieee_inexact 0
		.amdhsa_exception_int_div_zero 0
	.end_amdhsa_kernel
	.section	.text._ZN4vllm25paged_attention_v1_kernelIfhLi80ELi32ELi128ELNS_18Fp8KVCacheDataTypeE1ELb1EEEvPT_PKS2_PKT0_S8_ifPKiSA_iPKfiiiSC_SC_iiiii,"axG",@progbits,_ZN4vllm25paged_attention_v1_kernelIfhLi80ELi32ELi128ELNS_18Fp8KVCacheDataTypeE1ELb1EEEvPT_PKS2_PKT0_S8_ifPKiSA_iPKfiiiSC_SC_iiiii,comdat
.Lfunc_end205:
	.size	_ZN4vllm25paged_attention_v1_kernelIfhLi80ELi32ELi128ELNS_18Fp8KVCacheDataTypeE1ELb1EEEvPT_PKS2_PKT0_S8_ifPKiSA_iPKfiiiSC_SC_iiiii, .Lfunc_end205-_ZN4vllm25paged_attention_v1_kernelIfhLi80ELi32ELi128ELNS_18Fp8KVCacheDataTypeE1ELb1EEEvPT_PKS2_PKT0_S8_ifPKiSA_iPKfiiiSC_SC_iiiii
                                        ; -- End function
	.set _ZN4vllm25paged_attention_v1_kernelIfhLi80ELi32ELi128ELNS_18Fp8KVCacheDataTypeE1ELb1EEEvPT_PKS2_PKT0_S8_ifPKiSA_iPKfiiiSC_SC_iiiii.num_vgpr, max(32, .L_ZN4vllm22paged_attention_kernelIfhLi80ELi32ELi128ELNS_18Fp8KVCacheDataTypeE1ELb1ELi0EEEvPfS2_PT_PKS3_PKT0_S9_ifPKiSB_iPKfiiiSD_SD_iiiii.num_vgpr)
	.set _ZN4vllm25paged_attention_v1_kernelIfhLi80ELi32ELi128ELNS_18Fp8KVCacheDataTypeE1ELb1EEEvPT_PKS2_PKT0_S8_ifPKiSA_iPKfiiiSC_SC_iiiii.num_agpr, max(0, .L_ZN4vllm22paged_attention_kernelIfhLi80ELi32ELi128ELNS_18Fp8KVCacheDataTypeE1ELb1ELi0EEEvPfS2_PT_PKS3_PKT0_S9_ifPKiSB_iPKfiiiSD_SD_iiiii.num_agpr)
	.set _ZN4vllm25paged_attention_v1_kernelIfhLi80ELi32ELi128ELNS_18Fp8KVCacheDataTypeE1ELb1EEEvPT_PKS2_PKT0_S8_ifPKiSA_iPKfiiiSC_SC_iiiii.numbered_sgpr, max(39, .L_ZN4vllm22paged_attention_kernelIfhLi80ELi32ELi128ELNS_18Fp8KVCacheDataTypeE1ELb1ELi0EEEvPfS2_PT_PKS3_PKT0_S9_ifPKiSB_iPKfiiiSD_SD_iiiii.numbered_sgpr)
	.set _ZN4vllm25paged_attention_v1_kernelIfhLi80ELi32ELi128ELNS_18Fp8KVCacheDataTypeE1ELb1EEEvPT_PKS2_PKT0_S8_ifPKiSA_iPKfiiiSC_SC_iiiii.num_named_barrier, max(0, .L_ZN4vllm22paged_attention_kernelIfhLi80ELi32ELi128ELNS_18Fp8KVCacheDataTypeE1ELb1ELi0EEEvPfS2_PT_PKS3_PKT0_S9_ifPKiSB_iPKfiiiSD_SD_iiiii.num_named_barrier)
	.set _ZN4vllm25paged_attention_v1_kernelIfhLi80ELi32ELi128ELNS_18Fp8KVCacheDataTypeE1ELb1EEEvPT_PKS2_PKT0_S8_ifPKiSA_iPKfiiiSC_SC_iiiii.private_seg_size, 0+max(.L_ZN4vllm22paged_attention_kernelIfhLi80ELi32ELi128ELNS_18Fp8KVCacheDataTypeE1ELb1ELi0EEEvPfS2_PT_PKS3_PKT0_S9_ifPKiSB_iPKfiiiSD_SD_iiiii.private_seg_size)
	.set _ZN4vllm25paged_attention_v1_kernelIfhLi80ELi32ELi128ELNS_18Fp8KVCacheDataTypeE1ELb1EEEvPT_PKS2_PKT0_S8_ifPKiSA_iPKfiiiSC_SC_iiiii.uses_vcc, or(1, .L_ZN4vllm22paged_attention_kernelIfhLi80ELi32ELi128ELNS_18Fp8KVCacheDataTypeE1ELb1ELi0EEEvPfS2_PT_PKS3_PKT0_S9_ifPKiSB_iPKfiiiSD_SD_iiiii.uses_vcc)
	.set _ZN4vllm25paged_attention_v1_kernelIfhLi80ELi32ELi128ELNS_18Fp8KVCacheDataTypeE1ELb1EEEvPT_PKS2_PKT0_S8_ifPKiSA_iPKfiiiSC_SC_iiiii.uses_flat_scratch, or(0, .L_ZN4vllm22paged_attention_kernelIfhLi80ELi32ELi128ELNS_18Fp8KVCacheDataTypeE1ELb1ELi0EEEvPfS2_PT_PKS3_PKT0_S9_ifPKiSB_iPKfiiiSD_SD_iiiii.uses_flat_scratch)
	.set _ZN4vllm25paged_attention_v1_kernelIfhLi80ELi32ELi128ELNS_18Fp8KVCacheDataTypeE1ELb1EEEvPT_PKS2_PKT0_S8_ifPKiSA_iPKfiiiSC_SC_iiiii.has_dyn_sized_stack, or(0, .L_ZN4vllm22paged_attention_kernelIfhLi80ELi32ELi128ELNS_18Fp8KVCacheDataTypeE1ELb1ELi0EEEvPfS2_PT_PKS3_PKT0_S9_ifPKiSB_iPKfiiiSD_SD_iiiii.has_dyn_sized_stack)
	.set _ZN4vllm25paged_attention_v1_kernelIfhLi80ELi32ELi128ELNS_18Fp8KVCacheDataTypeE1ELb1EEEvPT_PKS2_PKT0_S8_ifPKiSA_iPKfiiiSC_SC_iiiii.has_recursion, or(0, .L_ZN4vllm22paged_attention_kernelIfhLi80ELi32ELi128ELNS_18Fp8KVCacheDataTypeE1ELb1ELi0EEEvPfS2_PT_PKS3_PKT0_S9_ifPKiSB_iPKfiiiSD_SD_iiiii.has_recursion)
	.set _ZN4vllm25paged_attention_v1_kernelIfhLi80ELi32ELi128ELNS_18Fp8KVCacheDataTypeE1ELb1EEEvPT_PKS2_PKT0_S8_ifPKiSA_iPKfiiiSC_SC_iiiii.has_indirect_call, or(0, .L_ZN4vllm22paged_attention_kernelIfhLi80ELi32ELi128ELNS_18Fp8KVCacheDataTypeE1ELb1ELi0EEEvPfS2_PT_PKS3_PKT0_S9_ifPKiSB_iPKfiiiSD_SD_iiiii.has_indirect_call)
	.section	.AMDGPU.csdata,"",@progbits
; Kernel info:
; codeLenInByte = 224
; TotalNumSgprs: 41
; NumVgprs: 128
; ScratchSize: 868
; MemoryBound: 0
; FloatMode: 240
; IeeeMode: 1
; LDSByteSize: 352 bytes/workgroup (compile time only)
; SGPRBlocks: 0
; VGPRBlocks: 7
; NumSGPRsForWavesPerEU: 41
; NumVGPRsForWavesPerEU: 128
; NamedBarCnt: 0
; Occupancy: 8
; WaveLimiterHint : 1
; COMPUTE_PGM_RSRC2:SCRATCH_EN: 1
; COMPUTE_PGM_RSRC2:USER_SGPR: 2
; COMPUTE_PGM_RSRC2:TRAP_HANDLER: 0
; COMPUTE_PGM_RSRC2:TGID_X_EN: 1
; COMPUTE_PGM_RSRC2:TGID_Y_EN: 1
; COMPUTE_PGM_RSRC2:TGID_Z_EN: 1
; COMPUTE_PGM_RSRC2:TIDIG_COMP_CNT: 0
	.text
	.p2align	2                               ; -- Begin function _ZN4vllm22paged_attention_kernelIfhLi96ELi32ELi128ELNS_18Fp8KVCacheDataTypeE1ELb1ELi0EEEvPfS2_PT_PKS3_PKT0_S9_ifPKiSB_iPKfiiiSD_SD_iiiii
	.type	_ZN4vllm22paged_attention_kernelIfhLi96ELi32ELi128ELNS_18Fp8KVCacheDataTypeE1ELb1ELi0EEEvPfS2_PT_PKS3_PKT0_S9_ifPKiSB_iPKfiiiSD_SD_iiiii,@function
_ZN4vllm22paged_attention_kernelIfhLi96ELi32ELi128ELNS_18Fp8KVCacheDataTypeE1ELb1ELi0EEEvPfS2_PT_PKS3_PKT0_S9_ifPKiSB_iPKfiiiSD_SD_iiiii: ; @_ZN4vllm22paged_attention_kernelIfhLi96ELi32ELi128ELNS_18Fp8KVCacheDataTypeE1ELb1ELi0EEEvPfS2_PT_PKS3_PKT0_S9_ifPKiSB_iPKfiiiSD_SD_iiiii
; %bb.0:
	s_wait_loadcnt_dscnt 0x0
	s_wait_kmcnt 0x0
	s_clause 0x2f
	scratch_store_b32 off, v40, s32 offset:188
	; meta instruction
	scratch_store_b32 off, v41, s32 offset:184
	; meta instruction
	;; [unrolled: 2-line block ×47, first 2 shown]
	scratch_store_b32 off, v127, s32
	s_bfe_u32 s0, ttmp6, 0x4000c
	s_bfe_u32 s3, ttmp6, 0x40010
	s_add_co_i32 s0, s0, 1
	s_and_b32 s1, ttmp6, 15
	s_mul_i32 s0, ttmp9, s0
	s_and_b32 s4, ttmp7, 0xffff
	s_add_co_i32 s3, s3, 1
	s_add_co_i32 s1, s1, s0
	s_mul_i32 s0, s4, s3
	s_bfe_u32 s3, ttmp6, 0x40004
	s_getreg_b32 s10, hwreg(HW_REG_IB_STS2, 6, 4)
	s_add_co_i32 s3, s3, s0
	s_cmp_eq_u32 s10, 0
	s_mov_b32 s7, 0
	s_cselect_b32 s11, s4, s3
	s_cselect_b32 s0, ttmp9, s1
	s_lshl_b32 s6, s11, 2
	v_dual_mov_b32 v87, v7 :: v_dual_mov_b32 v86, v6
	v_add_nc_u64_e32 v[6:7], s[6:7], v[12:13]
	s_clause 0x2
	scratch_store_b64 off, v[22:23], s32 offset:640
	scratch_store_b64 off, v[20:21], s32 offset:648
	;; [unrolled: 1-line block ×3, first 2 shown]
	s_clause 0x1
	s_load_u16 s1, s[8:9], 0x12
	s_load_b32 s3, s[8:9], 0x0
	scratch_store_b64 off, v[0:1], s32 offset:1064 ; 8-byte Folded Spill
	s_wait_xcnt 0x0
	v_dual_mov_b32 v1, 0 :: v_dual_mov_b32 v85, v11
	v_mov_b32_e32 v84, v10
	flat_load_b32 v6, v[6:7]
	scratch_store_b32 off, v9, s32 offset:656 ; 4-byte Folded Spill
	v_dual_mov_b32 v33, v16 :: v_dual_mov_b32 v32, v15
	s_mov_b32 s2, s15
	s_wait_kmcnt 0x0
	s_cmp_lg_u32 s1, 0
	s_cselect_b32 s1, -1, 0
	s_delay_alu instid0(SALU_CYCLE_1)
	s_cmp_lg_u32 s1, 0
	s_add_co_ci_u32 s12, s3, 0
	s_abs_i32 s6, s0
	s_mov_b32 s3, exec_lo
	s_abs_i32 s1, s12
	s_wait_loadcnt_dscnt 0x0
	scratch_store_b64 off, v[6:7], s32 offset:200 ; 8-byte Folded Spill
	s_wait_xcnt 0x0
	v_sub_nc_u32_e32 v6, 0, v8
	global_load_u16 v0, v1, s[8:9] offset:22
	v_max_i32_e32 v6, v8, v6
	s_delay_alu instid0(VALU_DEP_1) | instskip(NEXT) | instid1(VALU_DEP_1)
	v_cvt_f32_u32_e32 v7, v6
	v_rcp_iflag_f32_e32 v7, v7
	v_nop
	s_delay_alu instid0(TRANS32_DEP_1) | instskip(SKIP_1) | instid1(VALU_DEP_2)
	v_mul_f32_e32 v7, 0x4f7ffffe, v7
	v_sub_nc_u32_e32 v9, 0, v6
	v_cvt_u32_f32_e32 v7, v7
	s_delay_alu instid0(VALU_DEP_1) | instskip(NEXT) | instid1(VALU_DEP_1)
	v_mul_lo_u32 v9, v9, v7
	v_mul_hi_u32 v9, v7, v9
	s_delay_alu instid0(VALU_DEP_1) | instskip(NEXT) | instid1(VALU_DEP_1)
	v_add_nc_u32_e32 v7, v7, v9
	v_mul_hi_u32 v7, s1, v7
	s_delay_alu instid0(VALU_DEP_1) | instskip(NEXT) | instid1(VALU_DEP_1)
	v_mul_lo_u32 v9, v7, v6
	v_dual_add_nc_u32 v10, 1, v7 :: v_dual_sub_nc_u32 v9, s1, v9
	s_delay_alu instid0(VALU_DEP_1) | instskip(SKIP_1) | instid1(VALU_DEP_3)
	v_sub_nc_u32_e32 v11, v9, v6
	v_cmp_ge_u32_e32 vcc_lo, v9, v6
	v_dual_cndmask_b32 v7, v7, v10, vcc_lo :: v_dual_bitop2_b32 v10, s12, v8 bitop3:0x14
	s_delay_alu instid0(VALU_DEP_3) | instskip(NEXT) | instid1(VALU_DEP_2)
	v_cndmask_b32_e32 v9, v9, v11, vcc_lo
	v_dual_add_nc_u32 v11, 1, v7 :: v_dual_ashrrev_i32 v10, 31, v10
	s_delay_alu instid0(VALU_DEP_2) | instskip(NEXT) | instid1(VALU_DEP_2)
	v_cmp_ge_u32_e32 vcc_lo, v9, v6
	v_cndmask_b32_e32 v6, v7, v11, vcc_lo
	s_delay_alu instid0(VALU_DEP_1) | instskip(NEXT) | instid1(VALU_DEP_1)
	v_xor_b32_e32 v6, v6, v10
	v_sub_nc_u32_e32 v7, v6, v10
	s_delay_alu instid0(VALU_DEP_1) | instskip(NEXT) | instid1(VALU_DEP_1)
	v_sub_nc_u32_e32 v6, 0, v7
	v_max_i32_e32 v6, v7, v6
	s_delay_alu instid0(VALU_DEP_1) | instskip(SKIP_1) | instid1(VALU_DEP_2)
	v_cvt_f32_u32_e32 v9, v6
	v_sub_nc_u32_e32 v10, 0, v6
	v_rcp_iflag_f32_e32 v9, v9
	v_nop
	s_delay_alu instid0(TRANS32_DEP_1) | instskip(NEXT) | instid1(VALU_DEP_1)
	v_mul_f32_e32 v9, 0x4f7ffffe, v9
	v_cvt_u32_f32_e32 v9, v9
	s_delay_alu instid0(VALU_DEP_1) | instskip(NEXT) | instid1(VALU_DEP_1)
	v_mul_lo_u32 v10, v10, v9
	v_mul_hi_u32 v10, v9, v10
	s_wait_loadcnt 0x0
	v_readfirstlane_b32 s13, v0
	s_delay_alu instid0(VALU_DEP_2)
	v_add_nc_u32_e32 v0, v9, v10
	v_mov_b32_e32 v9, v1
	scratch_store_b32 off, v9, s32 offset:636 ; 4-byte Folded Spill
	s_wait_xcnt 0x0
	v_cmpx_ne_u64_e32 0, v[32:33]
	s_cbranch_execz .LBB206_2
; %bb.1:
	s_ashr_i32 s1, s0, 31
	s_delay_alu instid0(SALU_CYCLE_1)
	v_lshl_add_u64 v[10:11], s[0:1], 2, v[32:33]
	flat_load_b32 v9, v[10:11]
	s_wait_loadcnt_dscnt 0x0
	scratch_store_b32 off, v9, s32 offset:636 ; 4-byte Folded Spill
.LBB206_2:
	s_wait_xcnt 0x0
	s_or_b32 exec_lo, exec_lo, s3
	v_mul_u64_e32 v[0:1], s[6:7], v[0:1]
	v_and_b32_e32 v80, 0x3ff, v31
	v_ashrrev_i32_e32 v0, 31, v7
	s_ashr_i32 s1, s0, 31
	s_mul_i32 s4, s0, 0x60
	s_mov_b32 s3, exec_lo
	v_cmpx_gt_u32_e32 24, v80
	s_cbranch_execz .LBB206_4
; %bb.3:
	v_mul_lo_u32 v10, v17, s11
	s_ashr_i32 s5, s4, 31
	v_dual_mov_b32 v21, 0 :: v_dual_lshlrev_b32 v20, 4, v80
	s_delay_alu instid0(VALU_DEP_2) | instskip(NEXT) | instid1(VALU_DEP_1)
	v_ashrrev_i32_e32 v11, 31, v10
	v_lshl_add_u64 v[2:3], v[10:11], 2, v[2:3]
	s_delay_alu instid0(VALU_DEP_1) | instskip(NEXT) | instid1(VALU_DEP_1)
	v_lshl_add_u64 v[2:3], s[4:5], 2, v[2:3]
	v_add_nc_u64_e32 v[2:3], v[2:3], v[20:21]
	flat_load_b128 v[10:13], v[2:3]
	s_wait_loadcnt_dscnt 0x0
	ds_store_b128 v20, v[10:13]
.LBB206_4:
	s_wait_xcnt 0x0
	s_or_b32 exec_lo, exec_lo, s3
	scratch_load_b64 v[12:13], off, s32 offset:200 ; 8-byte Folded Reload
	v_dual_sub_nc_u32 v2, 0, v27 :: v_dual_add_nc_u32 v9, 1, v1
	v_mul_lo_u32 v3, v1, v6
	v_xor_b32_e32 v11, s1, v0
	s_mov_b32 s1, exec_lo
	s_delay_alu instid0(VALU_DEP_3) | instskip(NEXT) | instid1(VALU_DEP_1)
	v_max_i32_e32 v7, v27, v2
	v_cvt_f32_u32_e32 v2, v7
	s_delay_alu instid0(VALU_DEP_4) | instskip(NEXT) | instid1(VALU_DEP_2)
	v_sub_nc_u32_e32 v3, s6, v3
	v_rcp_iflag_f32_e32 v2, v2
	s_delay_alu instid0(VALU_DEP_1) | instskip(NEXT) | instid1(TRANS32_DEP_1)
	v_cmp_ge_u32_e32 vcc_lo, v3, v6
	v_mul_f32_e32 v2, 0x4f7ffffe, v2
	scratch_store_b32 off, v7, s32 offset:232 ; 4-byte Folded Spill
	s_wait_xcnt 0x0
	v_dual_sub_nc_u32 v7, 0, v7 :: v_dual_cndmask_b32 v1, v1, v9, vcc_lo
	v_cvt_u32_f32_e32 v2, v2
	s_delay_alu instid0(VALU_DEP_2) | instskip(NEXT) | instid1(VALU_DEP_2)
	v_add_nc_u32_e32 v9, 1, v1
	v_mul_lo_u32 v10, v7, v2
	v_sub_nc_u32_e32 v7, v3, v6
	s_delay_alu instid0(VALU_DEP_1) | instskip(NEXT) | instid1(VALU_DEP_3)
	v_cndmask_b32_e32 v3, v3, v7, vcc_lo
	v_mul_hi_u32 v10, v2, v10
	s_wait_loadcnt 0x0
	v_add_nc_u32_e32 v7, -1, v12
	s_delay_alu instid0(VALU_DEP_3) | instskip(NEXT) | instid1(VALU_DEP_3)
	v_cmp_ge_u32_e32 vcc_lo, v3, v6
	v_add_nc_u32_e32 v12, v2, v10
                                        ; implicit-def: $vgpr2
                                        ; kill: killed $vgpr2
	v_dual_cndmask_b32 v0, v1, v9 :: v_dual_mov_b32 v1, 0
	s_delay_alu instid0(VALU_DEP_4) | instskip(NEXT) | instid1(VALU_DEP_2)
	v_sub_nc_u32_e32 v3, 0, v7
	v_dual_mov_b32 v13, v1 :: v_dual_bitop2_b32 v6, v0, v11 bitop3:0x14
	s_delay_alu instid0(VALU_DEP_2) | instskip(NEXT) | instid1(VALU_DEP_2)
	v_max_i32_e32 v0, v7, v3
	v_sub_nc_u32_e32 v6, v6, v11
	scratch_store_b64 off, v[12:13], s32 offset:220 ; 8-byte Folded Spill
	s_wait_storecnt_dscnt 0x0
	s_barrier_signal -1
	s_barrier_wait -1
	s_wait_xcnt 0x0
	v_cmpx_gt_i32_e32 0, v28
	s_xor_b32 s1, exec_lo, s1
	s_cbranch_execz .LBB206_6
; %bb.5:
	v_mad_u32 v2, v24, v8, v6
                                        ; implicit-def: $vgpr24
	s_delay_alu instid0(VALU_DEP_1) | instskip(NEXT) | instid1(VALU_DEP_1)
	v_mul_lo_u32 v2, v2, v28
                                        ; implicit-def: $vgpr28
	v_sub_nc_u32_e32 v2, 1, v2
	scratch_store_b32 off, v2, s32 offset:236 ; 4-byte Folded Spill
.LBB206_6:
	s_wait_xcnt 0x0
	s_or_saveexec_b32 s1, s1
	scratch_load_b64 v[2:3], off, s32 offset:220 ; 8-byte Folded Reload
	s_wait_loadcnt 0x0
	v_mul_u64_e32 v[2:3], v[0:1], v[2:3]
	v_ashrrev_i32_e32 v1, 31, v7
	v_ashrrev_i32_e32 v2, 31, v27
	scratch_store_b32 off, v2, s32 offset:228 ; 4-byte Folded Spill
	s_wait_xcnt 0x0
	s_xor_b32 exec_lo, exec_lo, s1
	s_cbranch_execz .LBB206_8
; %bb.7:
	v_mad_u32 v2, s12, v24, s0
	s_delay_alu instid0(VALU_DEP_1)
	v_mad_u32 v2, v2, v28, 1
	scratch_store_b32 off, v2, s32 offset:236 ; 4-byte Folded Spill
.LBB206_8:
	s_wait_xcnt 0x0
	s_or_b32 exec_lo, exec_lo, s1
	s_clause 0x1
	scratch_load_b32 v10, off, s32 offset:232
	scratch_load_b64 v[8:9], off, s32 offset:200
	s_load_b32 s5, s[8:9], 0x8
	v_mul_lo_u32 v28, v14, s11
	v_mul_lo_u32 v96, v6, v19
	s_ashr_i32 s3, s2, 31
	v_mov_b32_e32 v6, 0xff7fffff
	s_get_pc_i64 s[6:7]
	s_add_nc_u64 s[6:7], s[6:7], llvm.amdgcn.dynlds.offset.table@rel64+4
	s_lshl_b64 s[2:3], s[2:3], 2
	v_lshrrev_b32_e32 v81, 5, v80
	s_add_nc_u64 s[6:7], s[6:7], s[2:3]
	v_dual_lshrrev_b32 v27, 3, v80 :: v_dual_sub_nc_u32 v30, 0, v26
	v_ashrrev_i32_e32 v29, 31, v28
	v_ashrrev_i32_e32 v97, 31, v96
	s_wait_loadcnt 0x1
	v_mul_lo_u32 v2, v3, v10
	s_delay_alu instid0(VALU_DEP_1) | instskip(NEXT) | instid1(VALU_DEP_1)
	v_dual_sub_nc_u32 v0, v0, v2 :: v_dual_add_nc_u32 v2, 1, v3
	v_cmp_ge_u32_e32 vcc_lo, v0, v10
	s_delay_alu instid0(VALU_DEP_2) | instskip(SKIP_3) | instid1(VALU_DEP_1)
	v_cndmask_b32_e32 v2, v3, v2, vcc_lo
	scratch_load_b32 v3, off, s32 offset:228 ; 4-byte Folded Reload
	s_wait_loadcnt 0x1
	v_dual_add_nc_u32 v7, 31, v8 :: v_dual_sub_nc_u32 v8, v0, v10
	v_cndmask_b32_e32 v0, v0, v8, vcc_lo
	s_delay_alu instid0(VALU_DEP_1) | instskip(SKIP_3) | instid1(VALU_DEP_1)
	v_cmp_ge_u32_e32 vcc_lo, v0, v10
	s_wait_loadcnt 0x0
	v_xor_b32_e32 v1, v1, v3
	v_dual_ashrrev_i32 v3, 31, v7 :: v_dual_add_nc_u32 v8, 1, v2
	v_dual_lshrrev_b32 v3, 27, v3 :: v_dual_bitop2_b32 v9, 31, v80 bitop3:0x40
	s_delay_alu instid0(VALU_DEP_1) | instskip(NEXT) | instid1(VALU_DEP_1)
	v_dual_cndmask_b32 v0, v2, v8, vcc_lo :: v_dual_lshlrev_b32 v10, 2, v9
	v_dual_add_nc_u32 v2, v7, v3 :: v_dual_bitop2_b32 v0, v0, v1 bitop3:0x14
	s_delay_alu instid0(VALU_DEP_1) | instskip(NEXT) | instid1(VALU_DEP_2)
	v_dual_lshlrev_b32 v8, 5, v81 :: v_dual_ashrrev_i32 v2, 5, v2
	v_sub_nc_u32_e32 v0, v0, v1
	s_delay_alu instid0(VALU_DEP_2) | instskip(NEXT) | instid1(VALU_DEP_2)
	v_cmp_lt_i32_e64 s0, v81, v2
	v_sub_nc_u32_e32 v0, v0, v25
	s_clause 0x3
	scratch_store_b32 off, v2, s32 offset:208
	scratch_store_b64 off, v[8:9], s32 offset:1072
	scratch_store_b32 off, v9, s32 offset:632
	scratch_store_b32 off, v0, s32 offset:240
	s_wait_xcnt 0x0
	s_mov_b32 s3, exec_lo
	s_delay_alu instid0(SALU_CYCLE_1)
	s_and_b32 s1, s3, s0
	s_clause 0x1
	scratch_store_b32 off, v80, s32 offset:1056
	scratch_store_b32 off, v81, s32 offset:1060
	s_wait_xcnt 0x0
	s_mov_b32 exec_lo, s1
	s_cbranch_execz .LBB206_784
; %bb.9:
	s_clause 0x2
	scratch_store_b64 off, v[86:87], s32 offset:1092
	scratch_store_b32 off, v26, s32 offset:1088
	scratch_store_b32 off, v30, s32 offset:1120
	v_add_nc_u64_e32 v[0:1], v[4:5], v[96:97]
	s_clause 0x1
	scratch_load_b32 v3, off, s32 offset:632
	scratch_load_b32 v4, off, s32 offset:636
	v_dual_mov_b32 v21, 0 :: v_dual_lshlrev_b32 v18, 5, v81
	scratch_store_b32 off, v10, s32 offset:1124 ; 4-byte Folded Spill
	s_load_b32 s8, s[6:7], 0x0
	v_mov_b32_e32 v6, 0xff7fffff
	s_mov_b32 s9, 0
	s_wait_loadcnt 0x0
	v_cmp_neq_f32_e32 vcc_lo, 0, v4
	scratch_load_b64 v[4:5], off, s32 offset:200 ; 8-byte Folded Reload
	v_dual_mov_b32 v9, v81 :: v_dual_max_i32 v7, v26, v30
	v_dual_lshlrev_b32 v20, 4, v3 :: v_dual_mov_b32 v14, v81
	s_wait_loadcnt 0x0
	v_mov_b32_e32 v5, v21
	s_delay_alu instid0(VALU_DEP_3) | instskip(NEXT) | instid1(VALU_DEP_3)
	v_cvt_f32_u32_e32 v2, v7
	v_add_nc_u64_e32 v[0:1], v[0:1], v[20:21]
	v_and_b32_e32 v20, 0x7c, v27
	s_delay_alu instid0(VALU_DEP_3)
	v_rcp_iflag_f32_e32 v2, v2
	v_sub_nc_u32_e32 v3, v3, v4
	v_lshl_or_b32 v16, v9, 7, v10
	ds_load_b128 v[10:13], v21
	scratch_store_b32 off, v7, s32 offset:588 ; 4-byte Folded Spill
	v_dual_mul_f32 v2, 0x4f7ffffe, v2 :: v_dual_add_nc_u32 v3, 1, v3
	v_sub_nc_u32_e32 v4, 0, v7
	s_delay_alu instid0(VALU_DEP_2)
	v_cvt_u32_f32_e32 v2, v2
	scratch_store_b32 off, v3, s32 offset:756 ; 4-byte Folded Spill
	s_wait_xcnt 0x0
	v_mul_lo_u32 v3, v4, v2
	s_wait_dscnt 0x0
	scratch_store_b128 off, v[10:13], s32 offset:660 ; 16-byte Folded Spill
	s_wait_xcnt 0x0
	ds_load_b128 v[10:13], v21 offset:16
	scratch_store_b64 off, v[96:97], s32 offset:1112 ; 8-byte Folded Spill
	v_mul_hi_u32 v3, v2, v3
	s_delay_alu instid0(VALU_DEP_1)
	v_add_nc_u32_e32 v4, v2, v3
	s_wait_dscnt 0x0
	scratch_store_b128 off, v[10:13], s32 offset:676 ; 16-byte Folded Spill
	s_wait_xcnt 0x0
	ds_load_b128 v[10:13], v21 offset:32
	s_wait_dscnt 0x0
	scratch_store_b128 off, v[10:13], s32 offset:692 ; 16-byte Folded Spill
	s_wait_xcnt 0x0
	ds_load_b128 v[10:13], v21 offset:48
	;; [unrolled: 4-line block ×12, first 2 shown]
	s_wait_dscnt 0x0
	s_clause 0x2
	scratch_store_b128 off, v[8:11], s32 offset:872
	scratch_store_b64 off, v[0:1], s32 offset:888
	scratch_store_b32 off, v27, s32 offset:1108
	s_wait_xcnt 0x2
	ds_load_b128 v[8:11], v21 offset:224
	s_wait_xcnt 0x1
	v_lshl_add_u64 v[0:1], v[28:29], 2, v[20:21]
	s_delay_alu instid0(VALU_DEP_1)
	v_add_nc_u64_e32 v[0:1], v[84:85], v[0:1]
	s_wait_dscnt 0x0
	scratch_store_b128 off, v[8:11], s32 offset:896 ; 16-byte Folded Spill
	s_wait_xcnt 0x0
	ds_load_b128 v[8:11], v21 offset:240
	s_wait_dscnt 0x0
	scratch_store_b128 off, v[8:11], s32 offset:912 ; 16-byte Folded Spill
	s_wait_xcnt 0x0
	ds_load_b128 v[8:11], v21 offset:256
	;; [unrolled: 4-line block ×3, first 2 shown]
	s_wait_dscnt 0x0
	s_clause 0x1
	scratch_store_b128 off, v[8:11], s32 offset:944
	scratch_store_b64 off, v[28:29], s32 offset:1100
	s_wait_xcnt 0x1
	ds_load_b128 v[8:11], v21 offset:288
	s_wait_dscnt 0x0
	scratch_store_b128 off, v[8:11], s32 offset:960 ; 16-byte Folded Spill
	s_wait_xcnt 0x0
	ds_load_b128 v[8:11], v21 offset:304
	s_wait_dscnt 0x0
	scratch_store_b128 off, v[8:11], s32 offset:976 ; 16-byte Folded Spill
	;; [unrolled: 4-line block ×3, first 2 shown]
	s_wait_xcnt 0x0
	ds_load_b128 v[8:11], v21 offset:336
	s_wait_dscnt 0x0
	s_clause 0x2
	scratch_store_b128 off, v[8:11], s32 offset:1008
	scratch_store_b64 off, v[84:85], s32 offset:1080
	scratch_store_b64 off, v[0:1], s32 offset:212
	s_wait_xcnt 0x0
	ds_load_b128 v[0:3], v21 offset:352
	s_wait_dscnt 0x0
	scratch_store_b128 off, v[0:3], s32 offset:1024 ; 16-byte Folded Spill
	s_wait_xcnt 0x0
	v_mov_b32_e32 v1, v21
	s_clause 0x1
	scratch_store_b64 off, v[4:5], s32 offset:592
	scratch_store_b64 off, v[0:1], s32 offset:192
	s_wait_xcnt 0x0
	ds_load_b128 v[0:3], v21 offset:368
	s_wait_dscnt 0x0
	scratch_store_b128 off, v[0:3], s32 offset:1040 ; 16-byte Folded Spill
	s_branch .LBB206_15
.LBB206_10:                             ;   in Loop: Header=BB206_15 Depth=1
	s_or_b32 exec_lo, exec_lo, s17
	v_lshlrev_b32_e32 v1, 24, v8
	s_delay_alu instid0(VALU_DEP_2) | instskip(SKIP_2) | instid1(VALU_DEP_4)
	v_lshlrev_b32_e32 v8, 20, v16
	v_lshl_add_u32 v24, v114, 23, 0x3c000000
	v_mov_b32_e32 v114, v17
	v_and_b32_e32 v1, 0x80000000, v1
	s_delay_alu instid0(VALU_DEP_1)
	v_or3_b32 v115, v8, v1, v24
	v_mov_b32_e32 v1, v17
	scratch_store_b64 off, v[0:1], s32 offset:192 ; 8-byte Folded Spill
.LBB206_11:                             ;   in Loop: Header=BB206_15 Depth=1
	s_wait_xcnt 0x0
	s_or_b32 exec_lo, exec_lo, s16
.LBB206_12:                             ;   in Loop: Header=BB206_15 Depth=1
	s_delay_alu instid0(SALU_CYCLE_1)
	s_or_b32 exec_lo, exec_lo, s15
.LBB206_13:                             ;   in Loop: Header=BB206_15 Depth=1
	s_delay_alu instid0(SALU_CYCLE_1)
	s_or_b32 exec_lo, exec_lo, s14
	v_or_b32_e32 v1, v113, v99
	v_or_b32_e32 v0, v112, v98
	;; [unrolled: 1-line block ×6, first 2 shown]
	scratch_store_b64 off, v[0:1], s32 offset:616 ; 8-byte Folded Spill
	s_wait_xcnt 0x0
	v_or_b32_e32 v1, v103, v41
	v_or_b32_e32 v0, v102, v40
	;; [unrolled: 1-line block ×6, first 2 shown]
	s_clause 0x1
	scratch_store_b64 off, v[0:1], s32 offset:624
	scratch_load_b64 v[0:1], off, s32 offset:412 th:TH_LOAD_LU
	v_or_b32_e32 v43, v3, v35
	v_or_b32_e32 v42, v2, v34
	;; [unrolled: 1-line block ×40, first 2 shown]
	v_pk_mul_f32 v[44:45], v[110:111], v[90:91] op_sel_hi:[0,1]
	s_wait_loadcnt 0x0
	v_or_b32_e32 v49, v63, v1
	v_or_b32_e32 v48, v62, v0
	s_clause 0x1
	scratch_load_b64 v[0:1], off, s32 offset:404 th:TH_LOAD_LU
	scratch_load_b64 v[2:3], off, s32 offset:564 th:TH_LOAD_LU
	s_wait_loadcnt 0x0
	v_or_b32_e32 v51, v1, v3
	v_or_b32_e32 v50, v0, v2
	scratch_load_b64 v[0:1], off, s32 offset:572 th:TH_LOAD_LU ; 8-byte Folded Reload
	s_wait_loadcnt 0x0
	v_or_b32_e32 v39, v59, v1
	v_or_b32_e32 v38, v58, v0
	s_clause 0x1
	scratch_load_b64 v[0:1], off, s32 offset:388 th:TH_LOAD_LU
	scratch_load_b64 v[2:3], off, s32 offset:548 th:TH_LOAD_LU
	s_wait_loadcnt 0x0
	v_or_b32_e32 v71, v1, v3
	v_or_b32_e32 v70, v0, v2
	s_clause 0x1
	scratch_load_b64 v[0:1], off, s32 offset:396 th:TH_LOAD_LU
	scratch_load_b64 v[2:3], off, s32 offset:556 th:TH_LOAD_LU
	v_pk_mul_f32 v[70:71], v[110:111], v[70:71] op_sel_hi:[0,1]
	s_wait_loadcnt 0x0
	v_or_b32_e32 v87, v1, v3
	v_or_b32_e32 v86, v0, v2
	s_clause 0x1
	scratch_load_b64 v[0:1], off, s32 offset:372 th:TH_LOAD_LU
	scratch_load_b64 v[2:3], off, s32 offset:532 th:TH_LOAD_LU
	s_wait_loadcnt 0x0
	v_or_b32_e32 v101, v1, v3
	v_or_b32_e32 v100, v0, v2
	s_clause 0x1
	scratch_load_b64 v[0:1], off, s32 offset:380 th:TH_LOAD_LU
	scratch_load_b64 v[2:3], off, s32 offset:540 th:TH_LOAD_LU
	v_pk_mul_f32 v[100:101], v[110:111], v[100:101] op_sel_hi:[0,1]
	;; [unrolled: 13-line block ×4, first 2 shown]
	s_wait_loadcnt 0x0
	v_or_b32_e32 v41, v1, v3
	v_or_b32_e32 v40, v0, v2
	s_clause 0x1
	scratch_load_b64 v[0:1], off, s32 offset:324 th:TH_LOAD_LU
	scratch_load_b64 v[2:3], off, s32 offset:484 th:TH_LOAD_LU
	s_wait_loadcnt 0x0
	v_or_b32_e32 v47, v1, v3
	v_or_b32_e32 v46, v0, v2
	s_clause 0x1
	scratch_load_b64 v[0:1], off, s32 offset:332 th:TH_LOAD_LU
	scratch_load_b64 v[2:3], off, s32 offset:492 th:TH_LOAD_LU
	;; [unrolled: 6-line block ×10, first 2 shown]
	scratch_load_b128 v[106:109], off, s32 offset:676
	scratch_load_b128 v[120:123], off, s32 offset:708
	;; [unrolled: 1-line block ×4, first 2 shown]
	v_pk_mul_f32 v[116:117], v[110:111], v[78:79] op_sel_hi:[0,1]
	scratch_load_b128 v[12:15], off, s32 offset:840 ; 16-byte Folded Reload
	s_wait_loadcnt 0x5
	v_or_b32_e32 v89, v1, v3
	v_or_b32_e32 v88, v0, v2
	scratch_load_b64 v[0:1], off, s32 offset:252 th:TH_LOAD_LU ; 8-byte Folded Reload
	s_wait_loadcnt 0x5
	v_pk_mul_f32 v[116:117], v[106:107], v[116:117]
	scratch_load_b128 v[104:107], off, s32 offset:660 ; 16-byte Folded Reload
	s_wait_loadcnt 0x1
	v_or_b32_e32 v93, v125, v1
	v_or_b32_e32 v92, v124, v0
	s_clause 0x1
	scratch_load_b128 v[124:127], off, s32 offset:692
	scratch_load_b128 v[0:3], off, s32 offset:724
	s_wait_loadcnt 0x2
	v_pk_fma_f32 v[116:117], v[104:105], v[44:45], v[116:117]
	v_pk_mul_f32 v[44:45], v[110:111], v[74:75] op_sel_hi:[0,1]
	s_wait_loadcnt 0x1
	s_delay_alu instid0(VALU_DEP_1) | instskip(SKIP_1) | instid1(VALU_DEP_1)
	v_pk_fma_f32 v[116:117], v[124:125], v[44:45], v[116:117]
	v_pk_mul_f32 v[44:45], v[110:111], v[62:63] op_sel_hi:[0,1]
	v_pk_fma_f32 v[116:117], v[120:121], v[44:45], v[116:117]
	v_pk_mul_f32 v[44:45], v[110:111], v[58:59] op_sel_hi:[0,1]
	s_wait_loadcnt 0x0
	s_delay_alu instid0(VALU_DEP_1) | instskip(SKIP_1) | instid1(VALU_DEP_1)
	v_pk_fma_f32 v[116:117], v[0:1], v[44:45], v[116:117]
	v_pk_mul_f32 v[44:45], v[110:111], v[46:47] op_sel_hi:[0,1]
	v_pk_fma_f32 v[116:117], v[4:5], v[44:45], v[116:117]
	scratch_load_b128 v[44:47], off, s32 offset:760 ; 16-byte Folded Reload
	s_wait_loadcnt 0x0
	v_pk_fma_f32 v[116:117], v[44:45], v[118:119], v[116:117]
	scratch_load_b128 v[118:121], off, s32 offset:776 ; 16-byte Folded Reload
	v_mov_b32_e32 v44, v110
	s_delay_alu instid0(VALU_DEP_1)
	v_pk_mul_f32 v[50:51], v[44:45], v[50:51] op_sel_hi:[0,1]
	v_pk_mul_f32 v[48:49], v[44:45], v[48:49] op_sel_hi:[0,1]
	;; [unrolled: 1-line block ×8, first 2 shown]
	s_wait_loadcnt 0x0
	v_pk_fma_f32 v[112:113], v[118:119], v[112:113], v[116:117]
	scratch_load_b128 v[116:119], off, s32 offset:792 ; 16-byte Folded Reload
	s_wait_loadcnt 0x0
	v_pk_fma_f32 v[100:101], v[116:117], v[100:101], v[112:113]
	scratch_load_b128 v[110:113], off, s32 offset:808 ; 16-byte Folded Reload
	s_wait_loadcnt 0x0
	v_pk_fma_f32 v[70:71], v[110:111], v[70:71], v[100:101]
	s_delay_alu instid0(VALU_DEP_1) | instskip(SKIP_1) | instid1(VALU_DEP_2)
	v_pk_fma_f32 v[50:51], v[8:9], v[50:51], v[70:71]
	v_pk_mul_f32 v[70:71], v[44:45], v[92:93] op_sel_hi:[0,1]
	v_pk_fma_f32 v[48:49], v[12:13], v[48:49], v[50:51]
	v_pk_mul_f32 v[50:51], v[44:45], v[88:89] op_sel_hi:[0,1]
	s_delay_alu instid0(VALU_DEP_1) | instskip(NEXT) | instid1(VALU_DEP_1)
	v_pk_mul_f32 v[50:51], v[108:109], v[50:51]
	v_pk_fma_f32 v[50:51], v[106:107], v[70:71], v[50:51]
	v_pk_mul_f32 v[70:71], v[44:45], v[76:77] op_sel_hi:[0,1]
	s_delay_alu instid0(VALU_DEP_1) | instskip(SKIP_1) | instid1(VALU_DEP_1)
	v_pk_fma_f32 v[50:51], v[126:127], v[70:71], v[50:51]
	v_pk_mul_f32 v[70:71], v[44:45], v[72:73] op_sel_hi:[0,1]
	v_pk_fma_f32 v[50:51], v[122:123], v[70:71], v[50:51]
	v_pk_mul_f32 v[70:71], v[44:45], v[60:61] op_sel_hi:[0,1]
	s_delay_alu instid0(VALU_DEP_1)
	v_pk_fma_f32 v[50:51], v[2:3], v[70:71], v[50:51]
	v_pk_mul_f32 v[70:71], v[44:45], v[56:57] op_sel_hi:[0,1]
	scratch_load_b128 v[0:3], off, s32 offset:856 ; 16-byte Folded Reload
	v_pk_fma_f32 v[50:51], v[6:7], v[70:71], v[50:51]
	v_pk_mul_f32 v[70:71], v[44:45], v[40:41] op_sel_hi:[0,1]
	scratch_load_b128 v[4:7], off, s32 offset:872 ; 16-byte Folded Reload
	v_pk_fma_f32 v[50:51], v[46:47], v[70:71], v[50:51]
	v_pk_mul_f32 v[70:71], v[44:45], v[80:81] op_sel_hi:[0,1]
	s_delay_alu instid0(VALU_DEP_1) | instskip(NEXT) | instid1(VALU_DEP_1)
	v_pk_fma_f32 v[50:51], v[120:121], v[70:71], v[50:51]
	v_pk_fma_f32 v[50:51], v[118:119], v[64:65], v[50:51]
	v_pk_mul_f32 v[64:65], v[44:45], v[86:87] op_sel_hi:[0,1]
	scratch_load_b128 v[116:119], off, s32 offset:992 ; 16-byte Folded Reload
	v_pk_fma_f32 v[50:51], v[112:113], v[64:65], v[50:51]
	s_delay_alu instid0(VALU_DEP_1)
	v_pk_fma_f32 v[38:39], v[10:11], v[38:39], v[50:51]
	scratch_load_b128 v[10:13], off, s32 offset:896 ; 16-byte Folded Reload
	v_pk_fma_f32 v[34:35], v[14:15], v[34:35], v[38:39]
	v_pk_mul_f32 v[14:15], v[44:45], v[16:17] op_sel_hi:[0,1]
	s_wait_loadcnt 0x3
	v_pk_fma_f32 v[30:31], v[0:1], v[30:31], v[48:49]
	s_clause 0x1
	scratch_load_b64 v[0:1], off, s32 offset:616 th:TH_LOAD_LU
	scratch_load_b128 v[48:51], off, s32 offset:944
	s_wait_loadcnt 0x4
	v_pk_fma_f32 v[26:27], v[4:5], v[26:27], v[30:31]
	v_pk_mul_f32 v[4:5], v[44:45], v[94:95] op_sel_hi:[0,1]
	s_wait_loadcnt 0x2
	s_delay_alu instid0(VALU_DEP_2)
	v_pk_fma_f32 v[20:21], v[10:11], v[20:21], v[26:27]
	v_pk_mul_f32 v[10:11], v[44:45], v[24:25] op_sel_hi:[0,1]
	scratch_load_b128 v[24:27], off, s32 offset:912 ; 16-byte Folded Reload
	s_wait_loadcnt 0x0
	v_pk_fma_f32 v[10:11], v[24:25], v[10:11], v[20:21]
	v_pk_mul_f32 v[20:21], v[44:45], v[36:37] op_sel_hi:[0,1]
	scratch_load_b128 v[36:39], off, s32 offset:928 ; 16-byte Folded Reload
	s_wait_loadcnt 0x0
	v_pk_fma_f32 v[10:11], v[36:37], v[20:21], v[10:11]
	v_pk_mul_f32 v[20:21], v[44:45], v[54:55] op_sel_hi:[0,1]
	s_delay_alu instid0(VALU_DEP_1)
	v_pk_fma_f32 v[10:11], v[48:49], v[20:21], v[10:11]
	v_pk_mul_f32 v[20:21], v[44:45], v[66:67] op_sel_hi:[0,1]
	scratch_load_b128 v[64:67], off, s32 offset:960 ; 16-byte Folded Reload
	s_wait_loadcnt 0x0
	v_pk_fma_f32 v[10:11], v[64:65], v[20:21], v[10:11]
	v_pk_mul_f32 v[20:21], v[44:45], v[82:83] op_sel_hi:[0,1]
	scratch_load_b128 v[80:83], off, s32 offset:976 ; 16-byte Folded Reload
	s_wait_loadcnt 0x0
	v_pk_fma_f32 v[10:11], v[80:81], v[20:21], v[10:11]
	v_pk_mul_f32 v[20:21], v[44:45], v[96:97] op_sel_hi:[0,1]
	s_delay_alu instid0(VALU_DEP_1) | instskip(SKIP_1) | instid1(VALU_DEP_1)
	v_pk_fma_f32 v[10:11], v[116:117], v[20:21], v[10:11]
	v_pk_mul_f32 v[20:21], v[44:45], v[22:23] op_sel_hi:[0,1]
	v_pk_fma_f32 v[20:21], v[2:3], v[20:21], v[34:35]
	v_pk_mul_f32 v[2:3], v[44:45], v[42:43] op_sel_hi:[0,1]
	s_delay_alu instid0(VALU_DEP_2) | instskip(SKIP_1) | instid1(VALU_DEP_1)
	v_pk_fma_f32 v[14:15], v[6:7], v[14:15], v[20:21]
	v_pk_mul_f32 v[6:7], v[44:45], v[28:29] op_sel_hi:[0,1]
	v_pk_fma_f32 v[6:7], v[12:13], v[6:7], v[14:15]
	scratch_load_b128 v[14:17], off, s32 offset:1008 ; 16-byte Folded Reload
	v_pk_mul_f32 v[12:13], v[44:45], v[102:103] op_sel_hi:[0,1]
	v_pk_fma_f32 v[4:5], v[26:27], v[4:5], v[6:7]
	v_pk_mul_f32 v[6:7], v[44:45], v[0:1] op_sel_hi:[0,1]
	scratch_load_b64 v[0:1], off, s32 offset:624 th:TH_LOAD_LU ; 8-byte Folded Reload
	v_pk_fma_f32 v[2:3], v[38:39], v[2:3], v[4:5]
	v_pk_mul_f32 v[4:5], v[44:45], v[32:33] op_sel_hi:[0,1]
	s_delay_alu instid0(VALU_DEP_1) | instskip(SKIP_1) | instid1(VALU_DEP_1)
	v_pk_fma_f32 v[2:3], v[50:51], v[4:5], v[2:3]
	v_pk_mul_f32 v[4:5], v[44:45], v[52:53] op_sel_hi:[0,1]
	v_pk_fma_f32 v[2:3], v[66:67], v[4:5], v[2:3]
	v_pk_mul_f32 v[4:5], v[44:45], v[68:69] op_sel_hi:[0,1]
	s_delay_alu instid0(VALU_DEP_1) | instskip(SKIP_1) | instid1(VALU_DEP_1)
	v_pk_fma_f32 v[2:3], v[82:83], v[4:5], v[2:3]
	v_pk_mul_f32 v[4:5], v[44:45], v[84:85] op_sel_hi:[0,1]
	v_pk_fma_f32 v[2:3], v[118:119], v[4:5], v[2:3]
	v_pk_mul_f32 v[4:5], v[44:45], v[98:99] op_sel_hi:[0,1]
	s_wait_loadcnt 0x1
	s_delay_alu instid0(VALU_DEP_1)
	v_pk_fma_f32 v[4:5], v[14:15], v[4:5], v[10:11]
	v_pk_mul_f32 v[14:15], v[44:45], v[18:19] op_sel_hi:[0,1]
	scratch_load_b128 v[18:21], off, s32 offset:1024 ; 16-byte Folded Reload
	v_pk_fma_f32 v[2:3], v[16:17], v[12:13], v[2:3]
	s_wait_loadcnt 0x1
	v_pk_mul_f32 v[10:11], v[44:45], v[0:1] op_sel_hi:[0,1]
	s_wait_loadcnt 0x0
	v_pk_fma_f32 v[4:5], v[18:19], v[6:7], v[4:5]
	s_clause 0x1
	scratch_load_b32 v0, off, s32 offset:756
	scratch_load_b64 v[18:19], off, s32 offset:604
	v_pk_fma_f32 v[2:3], v[20:21], v[10:11], v[2:3]
	scratch_load_b128 v[8:11], off, s32 offset:1040 ; 16-byte Folded Reload
	s_load_b32 s14, s[6:7], 0x0
	scratch_load_b32 v16, off, s32 offset:612 ; 4-byte Folded Reload
	s_wait_loadcnt 0x2
	v_add_nc_u32_e32 v6, v0, v18
	v_pk_mul_f32 v[0:1], v[44:45], v[114:115] op_sel_hi:[0,1]
	s_wait_loadcnt 0x1
	v_pk_fma_f32 v[4:5], v[8:9], v[14:15], v[4:5]
	s_delay_alu instid0(VALU_DEP_3) | instskip(NEXT) | instid1(VALU_DEP_3)
	v_cvt_f32_i32_e32 v6, v6
	v_pk_fma_f32 v[0:1], v[10:11], v[0:1], v[2:3]
	scratch_load_b32 v3, off, s32 offset:636 ; 4-byte Folded Reload
	v_add_f32_e32 v2, v4, v5
	scratch_load_b64 v[4:5], off, s32 offset:200 ; 8-byte Folded Reload
	v_add_f32_e32 v0, v0, v2
	s_delay_alu instid0(VALU_DEP_1)
	v_add_f32_e32 v0, v1, v0
	scratch_load_b32 v1, off, s32 offset:632 ; 4-byte Folded Reload
	s_wait_loadcnt 0x2
	v_mul_f32_e32 v3, v3, v6
	scratch_load_b32 v6, off, s32 offset:600 th:TH_LOAD_LU ; 4-byte Folded Reload
	v_cndmask_b32_e32 v2, 0, v3, vcc_lo
	scratch_load_b32 v3, off, s32 offset:656 ; 4-byte Folded Reload
	s_wait_loadcnt 0x2
	v_add_nc_u32_e32 v1, v1, v18
	s_delay_alu instid0(VALU_DEP_1) | instskip(SKIP_4) | instid1(VALU_DEP_1)
	v_cmp_lt_i32_e64 s1, v1, v4
	s_wait_kmcnt 0x0
	v_add_nc_u32_e32 v1, s14, v16
	s_wait_loadcnt 0x0
	v_dual_fmac_f32 v2, v3, v0 :: v_dual_max_num_f32 v0, v6, v6
	v_dual_max_num_f32 v0, v0, v2 :: v_dual_cndmask_b32 v2, 0, v2, s1
	s_delay_alu instid0(VALU_DEP_1)
	v_cndmask_b32_e64 v6, v6, v0, s1
	ds_store_b32 v1, v2
.LBB206_14:                             ;   in Loop: Header=BB206_15 Depth=1
	s_wait_xcnt 0x0
	s_or_b32 exec_lo, exec_lo, s2
	s_clause 0x1
	scratch_load_b32 v14, off, s32 offset:244
	scratch_load_b32 v0, off, s32 offset:208
	v_add_nc_u32_e32 v18, 0x80, v18
	v_add_nc_u32_e32 v16, 0x200, v16
	s_wait_loadcnt 0x1
	v_add_nc_u32_e32 v14, 4, v14
	s_wait_loadcnt 0x0
	s_delay_alu instid0(VALU_DEP_1)
	v_cmp_ge_i32_e64 s1, v14, v0
	scratch_load_b64 v[0:1], off, s32 offset:212 ; 8-byte Folded Reload
	s_or_b32 s9, s1, s9
	s_wait_loadcnt 0x0
	v_add_nc_u64_e32 v[0:1], 16, v[0:1]
	scratch_store_b64 off, v[0:1], s32 offset:212 ; 8-byte Folded Spill
	s_wait_xcnt 0x0
	s_and_not1_b32 exec_lo, exec_lo, s9
	s_cbranch_execz .LBB206_783
.LBB206_15:                             ; =>This Inner Loop Header: Depth=1
	s_clause 0x1
	scratch_load_b64 v[0:1], off, s32 offset:192 th:TH_LOAD_LU
	scratch_load_b32 v4, off, s32 offset:232
	s_wait_loadcnt 0x1
	v_dual_mov_b32 v9, v1 :: v_dual_mov_b32 v19, v1
	scratch_load_b64 v[0:1], off, s32 offset:220 ; 8-byte Folded Reload
	s_wait_loadcnt 0x0
	v_mul_u64_e32 v[0:1], v[18:19], v[0:1]
	s_delay_alu instid0(VALU_DEP_1) | instskip(NEXT) | instid1(VALU_DEP_1)
	v_mul_lo_u32 v0, v1, v4
	v_dual_add_nc_u32 v2, 1, v1 :: v_dual_sub_nc_u32 v0, v18, v0
	s_delay_alu instid0(VALU_DEP_1) | instskip(NEXT) | instid1(VALU_DEP_1)
	v_cmp_ge_u32_e64 s1, v0, v4
	v_dual_sub_nc_u32 v3, v0, v4 :: v_dual_cndmask_b32 v1, v1, v2, s1
	s_delay_alu instid0(VALU_DEP_1) | instskip(NEXT) | instid1(VALU_DEP_1)
	v_dual_cndmask_b32 v0, v0, v3, s1 :: v_dual_add_nc_u32 v2, 1, v1
	v_cmp_ge_u32_e64 s1, v0, v4
	scratch_load_b32 v4, off, s32 offset:588 ; 4-byte Folded Reload
	v_cndmask_b32_e64 v0, v1, v2, s1
	scratch_load_b32 v1, off, s32 offset:228 ; 4-byte Folded Reload
	s_wait_loadcnt 0x0
	v_xor_b32_e32 v0, v0, v1
	s_delay_alu instid0(VALU_DEP_1) | instskip(SKIP_3) | instid1(VALU_DEP_1)
	v_sub_nc_u32_e32 v2, v0, v1
	scratch_load_b32 v0, off, s32 offset:236 ; 4-byte Folded Reload
	s_wait_loadcnt 0x0
	v_add_nc_u32_e32 v3, v2, v0
	v_sub_nc_u32_e32 v0, 0, v3
	s_delay_alu instid0(VALU_DEP_1) | instskip(SKIP_3) | instid1(VALU_DEP_1)
	v_max_i32_e32 v8, v3, v0
	scratch_load_b64 v[0:1], off, s32 offset:592 ; 8-byte Folded Reload
	s_wait_loadcnt 0x0
	v_mul_u64_e32 v[0:1], v[8:9], v[0:1]
	v_mul_lo_u32 v0, v1, v4
	v_mov_b32_e32 v1, v9
	s_clause 0x1
	scratch_store_b32 off, v14, s32 offset:244
	scratch_store_b64 off, v[0:1], s32 offset:192
	s_wait_xcnt 0x0
	v_dual_sub_nc_u32 v0, v8, v0 :: v_dual_ashrrev_i32 v3, 31, v3
	s_delay_alu instid0(VALU_DEP_1) | instskip(SKIP_1) | instid1(VALU_DEP_1)
	v_sub_nc_u32_e32 v1, v0, v4
	v_cmp_ge_u32_e64 s1, v0, v4
	v_cndmask_b32_e64 v0, v0, v1, s1
	s_delay_alu instid0(VALU_DEP_1) | instskip(SKIP_1) | instid1(VALU_DEP_1)
	v_sub_nc_u32_e32 v1, v0, v4
	v_cmp_ge_u32_e64 s1, v0, v4
	v_cndmask_b32_e64 v0, v0, v1, s1
	s_delay_alu instid0(VALU_DEP_1) | instskip(NEXT) | instid1(VALU_DEP_1)
	v_xor_b32_e32 v0, v0, v3
	v_sub_nc_u32_e32 v0, v0, v3
	s_delay_alu instid0(VALU_DEP_1)
	v_cmp_ne_u32_e64 s1, 0, v0
	scratch_load_b32 v0, off, s32 offset:240 ; 4-byte Folded Reload
	s_wait_loadcnt 0x0
	v_cmp_le_i32_e64 s2, v2, v0
	s_and_b32 s1, s1, s2
	s_wait_xcnt 0x0
	s_and_saveexec_b32 s2, s1
	s_delay_alu instid0(SALU_CYCLE_1)
	s_xor_b32 s1, exec_lo, s2
	s_cbranch_execz .LBB206_17
; %bb.16:                               ;   in Loop: Header=BB206_15 Depth=1
	s_wait_kmcnt 0x0
	v_dual_mov_b32 v1, 0xff7fffff :: v_dual_add_nc_u32 v0, s8, v16
	ds_store_b32 v0, v1
.LBB206_17:                             ;   in Loop: Header=BB206_15 Depth=1
	s_and_not1_saveexec_b32 s2, s1
	s_cbranch_execz .LBB206_14
; %bb.18:                               ;   in Loop: Header=BB206_15 Depth=1
	s_clause 0x2
	scratch_store_b64 off, v[18:19], s32 offset:604
	scratch_store_b32 off, v6, s32 offset:600
	scratch_load_b64 v[0:1], off, s32 offset:212
	v_mov_b64_e32 v[42:43], 0
	v_mov_b64_e32 v[104:105], 0
	s_mov_b32 s14, exec_lo
	s_wait_loadcnt 0x0
	flat_load_b32 v0, v[0:1]
	s_clause 0x1
	scratch_load_b64 v[2:3], off, s32 offset:580
	scratch_load_b64 v[4:5], off, s32 offset:888
	s_wait_loadcnt_dscnt 0x0
	s_wait_xcnt 0x5
	v_mad_nc_i64_i32 v[18:19], v0, v2, v[4:5]
	flat_load_b32 v2, v[18:19]
	scratch_load_b64 v[0:1], off, s32 offset:648 ; 8-byte Folded Reload
	s_wait_loadcnt 0x0
	flat_load_b32 v110, v[0:1]
	s_wait_dscnt 0x1
	s_wait_xcnt 0x0
	v_and_b32_e32 v1, 0xff, v2
	s_delay_alu instid0(VALU_DEP_1)
	v_cmpx_ne_u16_e32 0, v1
	s_cbranch_execz .LBB206_26
; %bb.19:                               ;   in Loop: Header=BB206_15 Depth=1
	v_mov_b64_e32 v[104:105], 0x80000000
	s_mov_b32 s15, exec_lo
	v_cmpx_ne_u16_e32 0x80, v1
	s_cbranch_execz .LBB206_25
; %bb.20:                               ;   in Loop: Header=BB206_15 Depth=1
	v_mov_b64_e32 v[104:105], 0x7f800001
	v_and_b32_e32 v4, 0x7f, v2
	s_mov_b32 s16, exec_lo
	s_delay_alu instid0(VALU_DEP_1)
	v_cmpx_ne_u32_e32 0x7f, v4
	s_cbranch_execz .LBB206_24
; %bb.21:                               ;   in Loop: Header=BB206_15 Depth=1
	scratch_load_b64 v[104:105], off, s32 offset:192 th:TH_LOAD_LU ; 8-byte Folded Reload
	s_wait_loadcnt 0x0
	v_dual_lshrrev_b32 v3, 3, v4 :: v_dual_bitop2_b32 v104, 7, v2 bitop3:0x40
	s_mov_b32 s17, exec_lo
	s_wait_xcnt 0x0
	v_cmpx_gt_u32_e32 8, v4
; %bb.22:                               ;   in Loop: Header=BB206_15 Depth=1
	s_delay_alu instid0(VALU_DEP_2) | instskip(NEXT) | instid1(VALU_DEP_1)
	v_clz_i32_u32_e32 v1, v104
	v_min_u32_e32 v1, 32, v1
	s_delay_alu instid0(VALU_DEP_1) | instskip(NEXT) | instid1(VALU_DEP_1)
	v_subrev_nc_u32_e32 v3, 28, v1
	v_lshlrev_b64_e32 v[4:5], v3, v[104:105]
	s_delay_alu instid0(VALU_DEP_1)
	v_dual_sub_nc_u32 v3, 29, v1 :: v_dual_bitop2_b32 v104, 7, v4 bitop3:0x40
; %bb.23:                               ;   in Loop: Header=BB206_15 Depth=1
	s_or_b32 exec_lo, exec_lo, s17
	s_delay_alu instid0(VALU_DEP_1) | instskip(NEXT) | instid1(VALU_DEP_2)
	v_dual_lshlrev_b32 v1, 24, v2 :: v_dual_lshlrev_b32 v4, 20, v104
	v_lshl_add_u32 v3, v3, 23, 0x3c000000
	s_delay_alu instid0(VALU_DEP_2) | instskip(NEXT) | instid1(VALU_DEP_1)
	v_and_b32_e32 v1, 0x80000000, v1
	v_or3_b32 v104, v4, v1, v3
	v_mov_b32_e32 v1, v105
	scratch_store_b64 off, v[0:1], s32 offset:192 ; 8-byte Folded Spill
.LBB206_24:                             ;   in Loop: Header=BB206_15 Depth=1
	s_wait_xcnt 0x0
	s_or_b32 exec_lo, exec_lo, s16
.LBB206_25:                             ;   in Loop: Header=BB206_15 Depth=1
	s_delay_alu instid0(SALU_CYCLE_1)
	s_or_b32 exec_lo, exec_lo, s15
.LBB206_26:                             ;   in Loop: Header=BB206_15 Depth=1
	s_delay_alu instid0(SALU_CYCLE_1) | instskip(SKIP_2) | instid1(VALU_DEP_1)
	s_or_b32 exec_lo, exec_lo, s14
	v_lshrrev_b16 v3, 8, v2
	s_mov_b32 s14, exec_lo
	v_cmpx_ne_u16_e32 0, v3
	s_cbranch_execz .LBB206_34
; %bb.27:                               ;   in Loop: Header=BB206_15 Depth=1
	v_mov_b64_e32 v[42:43], 0x8000000000000000
	s_mov_b32 s15, exec_lo
	v_cmpx_ne_u16_e32 0x80, v3
	s_cbranch_execz .LBB206_33
; %bb.28:                               ;   in Loop: Header=BB206_15 Depth=1
	v_and_b32_e32 v1, 0xffff, v3
	v_mov_b64_e32 v[42:43], 0x7f80000100000000
	s_mov_b32 s16, exec_lo
	s_delay_alu instid0(VALU_DEP_2) | instskip(NEXT) | instid1(VALU_DEP_1)
	v_and_b32_e32 v4, 0x7f, v1
	v_cmpx_ne_u32_e32 0x7f, v4
	s_cbranch_execz .LBB206_32
; %bb.29:                               ;   in Loop: Header=BB206_15 Depth=1
	scratch_load_b64 v[6:7], off, s32 offset:192 th:TH_LOAD_LU ; 8-byte Folded Reload
	s_wait_loadcnt 0x0
	v_dual_lshrrev_b32 v3, 3, v4 :: v_dual_bitop2_b32 v6, 7, v1 bitop3:0x40
	s_mov_b32 s17, exec_lo
	s_wait_xcnt 0x0
	v_cmpx_gt_u32_e32 8, v4
; %bb.30:                               ;   in Loop: Header=BB206_15 Depth=1
	s_delay_alu instid0(VALU_DEP_2) | instskip(NEXT) | instid1(VALU_DEP_1)
	v_clz_i32_u32_e32 v1, v6
	v_min_u32_e32 v1, 32, v1
	s_delay_alu instid0(VALU_DEP_1) | instskip(NEXT) | instid1(VALU_DEP_1)
	v_subrev_nc_u32_e32 v3, 28, v1
	v_lshlrev_b64_e32 v[4:5], v3, v[6:7]
	s_delay_alu instid0(VALU_DEP_1)
	v_dual_sub_nc_u32 v3, 29, v1 :: v_dual_bitop2_b32 v6, 7, v4 bitop3:0x40
; %bb.31:                               ;   in Loop: Header=BB206_15 Depth=1
	s_or_b32 exec_lo, exec_lo, s17
	v_dual_mov_b32 v42, v7 :: v_dual_lshlrev_b32 v1, 16, v2
	s_delay_alu instid0(VALU_DEP_2) | instskip(NEXT) | instid1(VALU_DEP_3)
	v_lshlrev_b32_e32 v4, 20, v6
	v_lshl_add_u32 v3, v3, 23, 0x3c000000
	s_delay_alu instid0(VALU_DEP_3) | instskip(NEXT) | instid1(VALU_DEP_1)
	v_and_b32_e32 v1, 0x80000000, v1
	v_or3_b32 v43, v4, v1, v3
	v_mov_b32_e32 v1, v7
	scratch_store_b64 off, v[0:1], s32 offset:192 ; 8-byte Folded Spill
.LBB206_32:                             ;   in Loop: Header=BB206_15 Depth=1
	s_wait_xcnt 0x0
	s_or_b32 exec_lo, exec_lo, s16
.LBB206_33:                             ;   in Loop: Header=BB206_15 Depth=1
	s_delay_alu instid0(SALU_CYCLE_1)
	s_or_b32 exec_lo, exec_lo, s15
.LBB206_34:                             ;   in Loop: Header=BB206_15 Depth=1
	s_delay_alu instid0(SALU_CYCLE_1) | instskip(SKIP_4) | instid1(VALU_DEP_3)
	s_or_b32 exec_lo, exec_lo, s14
	v_lshrrev_b32_e32 v3, 16, v2
	v_mov_b64_e32 v[124:125], 0
	v_mov_b64_e32 v[4:5], 0
	s_mov_b32 s14, exec_lo
	v_and_b32_e32 v1, 0xff, v3
	scratch_store_b64 off, v[4:5], s32 offset:252 ; 8-byte Folded Spill
	s_wait_xcnt 0x0
	v_cmpx_ne_u16_e32 0, v1
	s_cbranch_execz .LBB206_42
; %bb.35:                               ;   in Loop: Header=BB206_15 Depth=1
	v_cmp_ne_u16_e64 s1, 0x80, v1
	v_mov_b64_e32 v[0:1], 0x80000000
	scratch_store_b64 off, v[0:1], s32 offset:252 ; 8-byte Folded Spill
	s_wait_xcnt 0x0
	s_and_saveexec_b32 s15, s1
	s_cbranch_execz .LBB206_41
; %bb.36:                               ;   in Loop: Header=BB206_15 Depth=1
	v_mov_b64_e32 v[0:1], 0x7f800001
	v_bfe_u32 v5, v2, 16, 7
	s_mov_b32 s16, exec_lo
	scratch_store_b64 off, v[0:1], s32 offset:252 ; 8-byte Folded Spill
	s_wait_xcnt 0x0
	v_cmpx_ne_u32_e32 0x7f, v5
	s_cbranch_execz .LBB206_40
; %bb.37:                               ;   in Loop: Header=BB206_15 Depth=1
	scratch_load_b64 v[8:9], off, s32 offset:192 th:TH_LOAD_LU ; 8-byte Folded Reload
	s_wait_loadcnt 0x0
	v_dual_lshrrev_b32 v4, 3, v5 :: v_dual_bitop2_b32 v8, 7, v3 bitop3:0x40
	s_mov_b32 s17, exec_lo
	s_wait_xcnt 0x0
	v_cmpx_gt_u32_e32 8, v5
; %bb.38:                               ;   in Loop: Header=BB206_15 Depth=1
	s_delay_alu instid0(VALU_DEP_2) | instskip(NEXT) | instid1(VALU_DEP_1)
	v_clz_i32_u32_e32 v1, v8
	v_min_u32_e32 v1, 32, v1
	s_delay_alu instid0(VALU_DEP_1) | instskip(NEXT) | instid1(VALU_DEP_1)
	v_subrev_nc_u32_e32 v4, 28, v1
	v_lshlrev_b64_e32 v[6:7], v4, v[8:9]
	s_delay_alu instid0(VALU_DEP_1)
	v_dual_sub_nc_u32 v4, 29, v1 :: v_dual_bitop2_b32 v8, 7, v6 bitop3:0x40
; %bb.39:                               ;   in Loop: Header=BB206_15 Depth=1
	s_or_b32 exec_lo, exec_lo, s17
	s_delay_alu instid0(VALU_DEP_1) | instskip(NEXT) | instid1(VALU_DEP_2)
	v_dual_lshlrev_b32 v1, 24, v3 :: v_dual_lshlrev_b32 v3, 20, v8
	v_lshl_add_u32 v4, v4, 23, 0x3c000000
	s_delay_alu instid0(VALU_DEP_2) | instskip(NEXT) | instid1(VALU_DEP_1)
	v_and_b32_e32 v1, 0x80000000, v1
	v_or3_b32 v8, v3, v1, v4
	v_mov_b32_e32 v1, v9
	s_clause 0x1
	scratch_store_b64 off, v[0:1], s32 offset:192
	scratch_store_b64 off, v[8:9], s32 offset:252
.LBB206_40:                             ;   in Loop: Header=BB206_15 Depth=1
	s_wait_xcnt 0x0
	s_or_b32 exec_lo, exec_lo, s16
.LBB206_41:                             ;   in Loop: Header=BB206_15 Depth=1
	s_delay_alu instid0(SALU_CYCLE_1)
	s_or_b32 exec_lo, exec_lo, s15
.LBB206_42:                             ;   in Loop: Header=BB206_15 Depth=1
	s_delay_alu instid0(SALU_CYCLE_1) | instskip(NEXT) | instid1(SALU_CYCLE_1)
	s_or_b32 exec_lo, exec_lo, s14
	s_mov_b32 s14, exec_lo
	v_cmpx_lt_u32_e32 0xffffff, v2
	s_cbranch_execz .LBB206_50
; %bb.43:                               ;   in Loop: Header=BB206_15 Depth=1
	v_mov_b64_e32 v[124:125], 0x8000000000000000
	v_lshrrev_b32_e32 v3, 24, v2
	s_mov_b32 s15, exec_lo
	s_delay_alu instid0(VALU_DEP_1)
	v_cmpx_ne_u32_e32 0x80, v3
	s_cbranch_execz .LBB206_49
; %bb.44:                               ;   in Loop: Header=BB206_15 Depth=1
	v_mov_b64_e32 v[124:125], 0x7f80000100000000
	v_bfe_u32 v4, v2, 24, 7
	s_mov_b32 s16, exec_lo
	s_delay_alu instid0(VALU_DEP_1)
	v_cmpx_ne_u32_e32 0x7f, v4
	s_cbranch_execz .LBB206_48
; %bb.45:                               ;   in Loop: Header=BB206_15 Depth=1
	scratch_load_b64 v[6:7], off, s32 offset:192 th:TH_LOAD_LU ; 8-byte Folded Reload
	s_wait_loadcnt 0x0
	v_dual_lshrrev_b32 v2, 3, v4 :: v_dual_bitop2_b32 v6, 7, v3 bitop3:0x40
	s_mov_b32 s17, exec_lo
	s_wait_xcnt 0x0
	v_cmpx_gt_u32_e32 8, v4
; %bb.46:                               ;   in Loop: Header=BB206_15 Depth=1
	s_delay_alu instid0(VALU_DEP_2) | instskip(NEXT) | instid1(VALU_DEP_1)
	v_clz_i32_u32_e32 v1, v6
	v_min_u32_e32 v1, 32, v1
	s_delay_alu instid0(VALU_DEP_1) | instskip(NEXT) | instid1(VALU_DEP_1)
	v_subrev_nc_u32_e32 v2, 28, v1
	v_lshlrev_b64_e32 v[4:5], v2, v[6:7]
	s_delay_alu instid0(VALU_DEP_1)
	v_dual_sub_nc_u32 v2, 29, v1 :: v_dual_bitop2_b32 v6, 7, v4 bitop3:0x40
; %bb.47:                               ;   in Loop: Header=BB206_15 Depth=1
	s_or_b32 exec_lo, exec_lo, s17
	s_delay_alu instid0(VALU_DEP_1) | instskip(NEXT) | instid1(VALU_DEP_2)
	v_dual_lshlrev_b32 v1, 24, v3 :: v_dual_lshlrev_b32 v3, 20, v6
	v_lshl_add_u32 v2, v2, 23, 0x3c000000
	v_mov_b32_e32 v124, v7
	s_delay_alu instid0(VALU_DEP_3) | instskip(NEXT) | instid1(VALU_DEP_1)
	v_and_b32_e32 v1, 0x80000000, v1
	v_or3_b32 v125, v3, v1, v2
	v_mov_b32_e32 v1, v7
	scratch_store_b64 off, v[0:1], s32 offset:192 ; 8-byte Folded Spill
.LBB206_48:                             ;   in Loop: Header=BB206_15 Depth=1
	s_wait_xcnt 0x0
	s_or_b32 exec_lo, exec_lo, s16
.LBB206_49:                             ;   in Loop: Header=BB206_15 Depth=1
	s_delay_alu instid0(SALU_CYCLE_1)
	s_or_b32 exec_lo, exec_lo, s15
.LBB206_50:                             ;   in Loop: Header=BB206_15 Depth=1
	s_delay_alu instid0(SALU_CYCLE_1)
	s_or_b32 exec_lo, exec_lo, s14
	flat_load_b32 v2, v[18:19] offset:4
	v_mov_b64_e32 v[4:5], 0
	s_mov_b32 s14, exec_lo
	scratch_store_b64 off, v[4:5], s32 offset:260 ; 8-byte Folded Spill
	s_wait_xcnt 0x0
	v_mov_b64_e32 v[4:5], 0
	scratch_store_b64 off, v[4:5], s32 offset:420 ; 8-byte Folded Spill
	s_wait_loadcnt_dscnt 0x0
	v_and_b32_e32 v1, 0xff, v2
	s_wait_xcnt 0x0
	s_delay_alu instid0(VALU_DEP_1)
	v_cmpx_ne_u16_e32 0, v1
	s_cbranch_execz .LBB206_58
; %bb.51:                               ;   in Loop: Header=BB206_15 Depth=1
	v_mov_b64_e32 v[6:7], 0x80000000
	s_mov_b32 s15, exec_lo
	v_cmpx_ne_u16_e32 0x80, v1
	s_cbranch_execz .LBB206_57
; %bb.52:                               ;   in Loop: Header=BB206_15 Depth=1
	v_mov_b64_e32 v[6:7], 0x7f800001
	v_and_b32_e32 v4, 0x7f, v2
	s_mov_b32 s16, exec_lo
	s_delay_alu instid0(VALU_DEP_1)
	v_cmpx_ne_u32_e32 0x7f, v4
	s_cbranch_execz .LBB206_56
; %bb.53:                               ;   in Loop: Header=BB206_15 Depth=1
	scratch_load_b64 v[6:7], off, s32 offset:192 th:TH_LOAD_LU ; 8-byte Folded Reload
	s_wait_loadcnt 0x0
	v_dual_lshrrev_b32 v3, 3, v4 :: v_dual_bitop2_b32 v6, 7, v2 bitop3:0x40
	s_mov_b32 s17, exec_lo
	s_wait_xcnt 0x0
	v_cmpx_gt_u32_e32 8, v4
; %bb.54:                               ;   in Loop: Header=BB206_15 Depth=1
	s_delay_alu instid0(VALU_DEP_2) | instskip(NEXT) | instid1(VALU_DEP_1)
	v_clz_i32_u32_e32 v1, v6
	v_min_u32_e32 v1, 32, v1
	s_delay_alu instid0(VALU_DEP_1) | instskip(NEXT) | instid1(VALU_DEP_1)
	v_subrev_nc_u32_e32 v3, 28, v1
	v_lshlrev_b64_e32 v[4:5], v3, v[6:7]
	s_delay_alu instid0(VALU_DEP_1)
	v_dual_sub_nc_u32 v3, 29, v1 :: v_dual_bitop2_b32 v6, 7, v4 bitop3:0x40
; %bb.55:                               ;   in Loop: Header=BB206_15 Depth=1
	s_or_b32 exec_lo, exec_lo, s17
	v_lshlrev_b32_e32 v1, 24, v2
	s_delay_alu instid0(VALU_DEP_2) | instskip(NEXT) | instid1(VALU_DEP_3)
	v_lshlrev_b32_e32 v4, 20, v6
	v_lshl_add_u32 v3, v3, 23, 0x3c000000
	s_delay_alu instid0(VALU_DEP_3) | instskip(NEXT) | instid1(VALU_DEP_1)
	v_and_b32_e32 v1, 0x80000000, v1
	v_or3_b32 v6, v4, v1, v3
	v_mov_b32_e32 v1, v7
	scratch_store_b64 off, v[0:1], s32 offset:192 ; 8-byte Folded Spill
.LBB206_56:                             ;   in Loop: Header=BB206_15 Depth=1
	s_wait_xcnt 0x0
	s_or_b32 exec_lo, exec_lo, s16
.LBB206_57:                             ;   in Loop: Header=BB206_15 Depth=1
	s_delay_alu instid0(SALU_CYCLE_1)
	s_or_b32 exec_lo, exec_lo, s15
	scratch_store_b64 off, v[6:7], s32 offset:420 ; 8-byte Folded Spill
.LBB206_58:                             ;   in Loop: Header=BB206_15 Depth=1
	s_wait_xcnt 0x0
	s_or_b32 exec_lo, exec_lo, s14
	v_lshrrev_b16 v3, 8, v2
	s_mov_b32 s14, exec_lo
	s_delay_alu instid0(VALU_DEP_1)
	v_cmpx_ne_u16_e32 0, v3
	s_cbranch_execz .LBB206_66
; %bb.59:                               ;   in Loop: Header=BB206_15 Depth=1
	v_mov_b64_e32 v[0:1], 0x8000000000000000
	s_mov_b32 s15, exec_lo
	scratch_store_b64 off, v[0:1], s32 offset:260 ; 8-byte Folded Spill
	s_wait_xcnt 0x0
	v_cmpx_ne_u16_e32 0x80, v3
	s_cbranch_execz .LBB206_65
; %bb.60:                               ;   in Loop: Header=BB206_15 Depth=1
	v_and_b32_e32 v1, 0xffff, v3
	v_mov_b64_e32 v[6:7], 0x7f80000100000000
	s_mov_b32 s16, exec_lo
	s_delay_alu instid0(VALU_DEP_2)
	v_and_b32_e32 v4, 0x7f, v1
	scratch_store_b64 off, v[6:7], s32 offset:260 ; 8-byte Folded Spill
	s_wait_xcnt 0x0
	v_cmpx_ne_u32_e32 0x7f, v4
	s_cbranch_execz .LBB206_64
; %bb.61:                               ;   in Loop: Header=BB206_15 Depth=1
	scratch_load_b64 v[6:7], off, s32 offset:192 th:TH_LOAD_LU ; 8-byte Folded Reload
	s_wait_loadcnt 0x0
	v_dual_lshrrev_b32 v3, 3, v4 :: v_dual_bitop2_b32 v6, 7, v1 bitop3:0x40
	s_mov_b32 s17, exec_lo
	s_wait_xcnt 0x0
	v_cmpx_gt_u32_e32 8, v4
; %bb.62:                               ;   in Loop: Header=BB206_15 Depth=1
	s_delay_alu instid0(VALU_DEP_2) | instskip(NEXT) | instid1(VALU_DEP_1)
	v_clz_i32_u32_e32 v1, v6
	v_min_u32_e32 v1, 32, v1
	s_delay_alu instid0(VALU_DEP_1) | instskip(NEXT) | instid1(VALU_DEP_1)
	v_subrev_nc_u32_e32 v3, 28, v1
	v_lshlrev_b64_e32 v[4:5], v3, v[6:7]
	s_delay_alu instid0(VALU_DEP_1)
	v_dual_sub_nc_u32 v3, 29, v1 :: v_dual_bitop2_b32 v6, 7, v4 bitop3:0x40
; %bb.63:                               ;   in Loop: Header=BB206_15 Depth=1
	s_or_b32 exec_lo, exec_lo, s17
	v_lshlrev_b32_e32 v1, 16, v2
	s_delay_alu instid0(VALU_DEP_2) | instskip(NEXT) | instid1(VALU_DEP_3)
	v_lshlrev_b32_e32 v4, 20, v6
	v_lshl_add_u32 v3, v3, 23, 0x3c000000
	s_delay_alu instid0(VALU_DEP_3) | instskip(NEXT) | instid1(VALU_DEP_1)
	v_and_b32_e32 v1, 0x80000000, v1
	v_or3_b32 v5, v4, v1, v3
	v_dual_mov_b32 v1, v7 :: v_dual_mov_b32 v4, v7
	s_clause 0x1
	scratch_store_b64 off, v[0:1], s32 offset:192
	scratch_store_b64 off, v[4:5], s32 offset:260
.LBB206_64:                             ;   in Loop: Header=BB206_15 Depth=1
	s_wait_xcnt 0x0
	s_or_b32 exec_lo, exec_lo, s16
.LBB206_65:                             ;   in Loop: Header=BB206_15 Depth=1
	s_delay_alu instid0(SALU_CYCLE_1)
	s_or_b32 exec_lo, exec_lo, s15
.LBB206_66:                             ;   in Loop: Header=BB206_15 Depth=1
	s_delay_alu instid0(SALU_CYCLE_1) | instskip(SKIP_3) | instid1(VALU_DEP_1)
	s_or_b32 exec_lo, exec_lo, s14
	v_mov_b64_e32 v[4:5], 0
	v_lshrrev_b32_e32 v3, 16, v2
	s_mov_b32 s14, exec_lo
	v_and_b32_e32 v1, 0xff, v3
	scratch_store_b64 off, v[4:5], s32 offset:268 ; 8-byte Folded Spill
	s_wait_xcnt 0x0
	v_mov_b64_e32 v[4:5], 0
	scratch_store_b64 off, v[4:5], s32 offset:428 ; 8-byte Folded Spill
	s_wait_xcnt 0x0
	v_cmpx_ne_u16_e32 0, v1
	s_cbranch_execz .LBB206_74
; %bb.67:                               ;   in Loop: Header=BB206_15 Depth=1
	v_mov_b64_e32 v[8:9], 0x80000000
	s_mov_b32 s15, exec_lo
	v_cmpx_ne_u16_e32 0x80, v1
	s_cbranch_execz .LBB206_73
; %bb.68:                               ;   in Loop: Header=BB206_15 Depth=1
	v_mov_b64_e32 v[8:9], 0x7f800001
	v_bfe_u32 v5, v2, 16, 7
	s_mov_b32 s16, exec_lo
	s_delay_alu instid0(VALU_DEP_1)
	v_cmpx_ne_u32_e32 0x7f, v5
	s_cbranch_execz .LBB206_72
; %bb.69:                               ;   in Loop: Header=BB206_15 Depth=1
	scratch_load_b64 v[8:9], off, s32 offset:192 th:TH_LOAD_LU ; 8-byte Folded Reload
	s_wait_loadcnt 0x0
	v_dual_lshrrev_b32 v4, 3, v5 :: v_dual_bitop2_b32 v8, 7, v3 bitop3:0x40
	s_mov_b32 s17, exec_lo
	s_wait_xcnt 0x0
	v_cmpx_gt_u32_e32 8, v5
; %bb.70:                               ;   in Loop: Header=BB206_15 Depth=1
	s_delay_alu instid0(VALU_DEP_2) | instskip(NEXT) | instid1(VALU_DEP_1)
	v_clz_i32_u32_e32 v1, v8
	v_min_u32_e32 v1, 32, v1
	s_delay_alu instid0(VALU_DEP_1) | instskip(NEXT) | instid1(VALU_DEP_1)
	v_subrev_nc_u32_e32 v4, 28, v1
	v_lshlrev_b64_e32 v[6:7], v4, v[8:9]
	s_delay_alu instid0(VALU_DEP_1)
	v_dual_sub_nc_u32 v4, 29, v1 :: v_dual_bitop2_b32 v8, 7, v6 bitop3:0x40
; %bb.71:                               ;   in Loop: Header=BB206_15 Depth=1
	s_or_b32 exec_lo, exec_lo, s17
	s_delay_alu instid0(VALU_DEP_1) | instskip(NEXT) | instid1(VALU_DEP_2)
	v_dual_lshlrev_b32 v1, 24, v3 :: v_dual_lshlrev_b32 v3, 20, v8
	v_lshl_add_u32 v4, v4, 23, 0x3c000000
	s_delay_alu instid0(VALU_DEP_2) | instskip(NEXT) | instid1(VALU_DEP_1)
	v_and_b32_e32 v1, 0x80000000, v1
	v_or3_b32 v8, v3, v1, v4
	v_mov_b32_e32 v1, v9
	scratch_store_b64 off, v[0:1], s32 offset:192 ; 8-byte Folded Spill
.LBB206_72:                             ;   in Loop: Header=BB206_15 Depth=1
	s_wait_xcnt 0x0
	s_or_b32 exec_lo, exec_lo, s16
.LBB206_73:                             ;   in Loop: Header=BB206_15 Depth=1
	s_delay_alu instid0(SALU_CYCLE_1)
	s_or_b32 exec_lo, exec_lo, s15
	scratch_store_b64 off, v[8:9], s32 offset:428 ; 8-byte Folded Spill
.LBB206_74:                             ;   in Loop: Header=BB206_15 Depth=1
	s_wait_xcnt 0x0
	s_or_b32 exec_lo, exec_lo, s14
	s_delay_alu instid0(SALU_CYCLE_1)
	s_mov_b32 s14, exec_lo
	v_cmpx_lt_u32_e32 0xffffff, v2
	s_cbranch_execz .LBB206_82
; %bb.75:                               ;   in Loop: Header=BB206_15 Depth=1
	v_mov_b64_e32 v[0:1], 0x8000000000000000
	v_lshrrev_b32_e32 v3, 24, v2
	s_mov_b32 s15, exec_lo
	scratch_store_b64 off, v[0:1], s32 offset:268 ; 8-byte Folded Spill
	s_wait_xcnt 0x0
	v_cmpx_ne_u32_e32 0x80, v3
	s_cbranch_execz .LBB206_81
; %bb.76:                               ;   in Loop: Header=BB206_15 Depth=1
	v_mov_b64_e32 v[0:1], 0x7f80000100000000
	v_bfe_u32 v4, v2, 24, 7
	s_mov_b32 s16, exec_lo
	scratch_store_b64 off, v[0:1], s32 offset:268 ; 8-byte Folded Spill
	s_wait_xcnt 0x0
	v_cmpx_ne_u32_e32 0x7f, v4
	s_cbranch_execz .LBB206_80
; %bb.77:                               ;   in Loop: Header=BB206_15 Depth=1
	scratch_load_b64 v[6:7], off, s32 offset:192 th:TH_LOAD_LU ; 8-byte Folded Reload
	s_wait_loadcnt 0x0
	v_dual_lshrrev_b32 v2, 3, v4 :: v_dual_bitop2_b32 v6, 7, v3 bitop3:0x40
	s_mov_b32 s17, exec_lo
	s_wait_xcnt 0x0
	v_cmpx_gt_u32_e32 8, v4
; %bb.78:                               ;   in Loop: Header=BB206_15 Depth=1
	s_delay_alu instid0(VALU_DEP_2) | instskip(NEXT) | instid1(VALU_DEP_1)
	v_clz_i32_u32_e32 v1, v6
	v_min_u32_e32 v1, 32, v1
	s_delay_alu instid0(VALU_DEP_1) | instskip(NEXT) | instid1(VALU_DEP_1)
	v_subrev_nc_u32_e32 v2, 28, v1
	v_lshlrev_b64_e32 v[4:5], v2, v[6:7]
	s_delay_alu instid0(VALU_DEP_1)
	v_dual_sub_nc_u32 v2, 29, v1 :: v_dual_bitop2_b32 v6, 7, v4 bitop3:0x40
; %bb.79:                               ;   in Loop: Header=BB206_15 Depth=1
	s_or_b32 exec_lo, exec_lo, s17
	s_delay_alu instid0(VALU_DEP_1) | instskip(NEXT) | instid1(VALU_DEP_2)
	v_dual_lshlrev_b32 v1, 24, v3 :: v_dual_lshlrev_b32 v3, 20, v6
	v_lshl_add_u32 v2, v2, 23, 0x3c000000
	s_delay_alu instid0(VALU_DEP_2) | instskip(NEXT) | instid1(VALU_DEP_1)
	v_and_b32_e32 v1, 0x80000000, v1
	v_or3_b32 v3, v3, v1, v2
	v_dual_mov_b32 v1, v7 :: v_dual_mov_b32 v2, v7
	s_clause 0x1
	scratch_store_b64 off, v[0:1], s32 offset:192
	scratch_store_b64 off, v[2:3], s32 offset:268
.LBB206_80:                             ;   in Loop: Header=BB206_15 Depth=1
	s_wait_xcnt 0x0
	s_or_b32 exec_lo, exec_lo, s16
.LBB206_81:                             ;   in Loop: Header=BB206_15 Depth=1
	s_delay_alu instid0(SALU_CYCLE_1)
	s_or_b32 exec_lo, exec_lo, s15
.LBB206_82:                             ;   in Loop: Header=BB206_15 Depth=1
	s_delay_alu instid0(SALU_CYCLE_1)
	s_or_b32 exec_lo, exec_lo, s14
	flat_load_b32 v2, v[18:19] offset:8
	v_mov_b64_e32 v[4:5], 0
	s_mov_b32 s14, exec_lo
	scratch_store_b64 off, v[4:5], s32 offset:276 ; 8-byte Folded Spill
	s_wait_xcnt 0x0
	v_mov_b64_e32 v[4:5], 0
	scratch_store_b64 off, v[4:5], s32 offset:436 ; 8-byte Folded Spill
	s_wait_loadcnt_dscnt 0x0
	v_and_b32_e32 v1, 0xff, v2
	s_wait_xcnt 0x0
	s_delay_alu instid0(VALU_DEP_1)
	v_cmpx_ne_u16_e32 0, v1
	s_cbranch_execz .LBB206_90
; %bb.83:                               ;   in Loop: Header=BB206_15 Depth=1
	v_mov_b64_e32 v[6:7], 0x80000000
	s_mov_b32 s15, exec_lo
	v_cmpx_ne_u16_e32 0x80, v1
	s_cbranch_execz .LBB206_89
; %bb.84:                               ;   in Loop: Header=BB206_15 Depth=1
	v_mov_b64_e32 v[6:7], 0x7f800001
	v_and_b32_e32 v4, 0x7f, v2
	s_mov_b32 s16, exec_lo
	s_delay_alu instid0(VALU_DEP_1)
	v_cmpx_ne_u32_e32 0x7f, v4
	s_cbranch_execz .LBB206_88
; %bb.85:                               ;   in Loop: Header=BB206_15 Depth=1
	scratch_load_b64 v[6:7], off, s32 offset:192 th:TH_LOAD_LU ; 8-byte Folded Reload
	s_wait_loadcnt 0x0
	v_dual_lshrrev_b32 v3, 3, v4 :: v_dual_bitop2_b32 v6, 7, v2 bitop3:0x40
	s_mov_b32 s17, exec_lo
	s_wait_xcnt 0x0
	v_cmpx_gt_u32_e32 8, v4
; %bb.86:                               ;   in Loop: Header=BB206_15 Depth=1
	s_delay_alu instid0(VALU_DEP_2) | instskip(NEXT) | instid1(VALU_DEP_1)
	v_clz_i32_u32_e32 v1, v6
	v_min_u32_e32 v1, 32, v1
	s_delay_alu instid0(VALU_DEP_1) | instskip(NEXT) | instid1(VALU_DEP_1)
	v_subrev_nc_u32_e32 v3, 28, v1
	v_lshlrev_b64_e32 v[4:5], v3, v[6:7]
	s_delay_alu instid0(VALU_DEP_1)
	v_dual_sub_nc_u32 v3, 29, v1 :: v_dual_bitop2_b32 v6, 7, v4 bitop3:0x40
; %bb.87:                               ;   in Loop: Header=BB206_15 Depth=1
	s_or_b32 exec_lo, exec_lo, s17
	v_lshlrev_b32_e32 v1, 24, v2
	s_delay_alu instid0(VALU_DEP_2) | instskip(NEXT) | instid1(VALU_DEP_3)
	v_lshlrev_b32_e32 v4, 20, v6
	v_lshl_add_u32 v3, v3, 23, 0x3c000000
	s_delay_alu instid0(VALU_DEP_3) | instskip(NEXT) | instid1(VALU_DEP_1)
	v_and_b32_e32 v1, 0x80000000, v1
	v_or3_b32 v6, v4, v1, v3
	v_mov_b32_e32 v1, v7
	scratch_store_b64 off, v[0:1], s32 offset:192 ; 8-byte Folded Spill
.LBB206_88:                             ;   in Loop: Header=BB206_15 Depth=1
	s_wait_xcnt 0x0
	s_or_b32 exec_lo, exec_lo, s16
.LBB206_89:                             ;   in Loop: Header=BB206_15 Depth=1
	s_delay_alu instid0(SALU_CYCLE_1)
	s_or_b32 exec_lo, exec_lo, s15
	scratch_store_b64 off, v[6:7], s32 offset:436 ; 8-byte Folded Spill
.LBB206_90:                             ;   in Loop: Header=BB206_15 Depth=1
	s_wait_xcnt 0x0
	s_or_b32 exec_lo, exec_lo, s14
	v_lshrrev_b16 v3, 8, v2
	s_mov_b32 s14, exec_lo
	s_delay_alu instid0(VALU_DEP_1)
	v_cmpx_ne_u16_e32 0, v3
	s_cbranch_execz .LBB206_98
; %bb.91:                               ;   in Loop: Header=BB206_15 Depth=1
	v_mov_b64_e32 v[0:1], 0x8000000000000000
	s_mov_b32 s15, exec_lo
	scratch_store_b64 off, v[0:1], s32 offset:276 ; 8-byte Folded Spill
	s_wait_xcnt 0x0
	v_cmpx_ne_u16_e32 0x80, v3
	s_cbranch_execz .LBB206_97
; %bb.92:                               ;   in Loop: Header=BB206_15 Depth=1
	v_and_b32_e32 v1, 0xffff, v3
	v_mov_b64_e32 v[6:7], 0x7f80000100000000
	s_mov_b32 s16, exec_lo
	s_delay_alu instid0(VALU_DEP_2)
	v_and_b32_e32 v4, 0x7f, v1
	scratch_store_b64 off, v[6:7], s32 offset:276 ; 8-byte Folded Spill
	s_wait_xcnt 0x0
	v_cmpx_ne_u32_e32 0x7f, v4
	s_cbranch_execz .LBB206_96
; %bb.93:                               ;   in Loop: Header=BB206_15 Depth=1
	scratch_load_b64 v[6:7], off, s32 offset:192 th:TH_LOAD_LU ; 8-byte Folded Reload
	s_wait_loadcnt 0x0
	v_dual_lshrrev_b32 v3, 3, v4 :: v_dual_bitop2_b32 v6, 7, v1 bitop3:0x40
	s_mov_b32 s17, exec_lo
	s_wait_xcnt 0x0
	v_cmpx_gt_u32_e32 8, v4
; %bb.94:                               ;   in Loop: Header=BB206_15 Depth=1
	s_delay_alu instid0(VALU_DEP_2) | instskip(NEXT) | instid1(VALU_DEP_1)
	v_clz_i32_u32_e32 v1, v6
	v_min_u32_e32 v1, 32, v1
	s_delay_alu instid0(VALU_DEP_1) | instskip(NEXT) | instid1(VALU_DEP_1)
	v_subrev_nc_u32_e32 v3, 28, v1
	v_lshlrev_b64_e32 v[4:5], v3, v[6:7]
	s_delay_alu instid0(VALU_DEP_1)
	v_dual_sub_nc_u32 v3, 29, v1 :: v_dual_bitop2_b32 v6, 7, v4 bitop3:0x40
; %bb.95:                               ;   in Loop: Header=BB206_15 Depth=1
	s_or_b32 exec_lo, exec_lo, s17
	v_lshlrev_b32_e32 v1, 16, v2
	s_delay_alu instid0(VALU_DEP_2) | instskip(NEXT) | instid1(VALU_DEP_3)
	v_lshlrev_b32_e32 v4, 20, v6
	v_lshl_add_u32 v3, v3, 23, 0x3c000000
	s_delay_alu instid0(VALU_DEP_3) | instskip(NEXT) | instid1(VALU_DEP_1)
	v_and_b32_e32 v1, 0x80000000, v1
	v_or3_b32 v5, v4, v1, v3
	v_dual_mov_b32 v1, v7 :: v_dual_mov_b32 v4, v7
	s_clause 0x1
	scratch_store_b64 off, v[0:1], s32 offset:192
	scratch_store_b64 off, v[4:5], s32 offset:276
.LBB206_96:                             ;   in Loop: Header=BB206_15 Depth=1
	s_wait_xcnt 0x0
	s_or_b32 exec_lo, exec_lo, s16
.LBB206_97:                             ;   in Loop: Header=BB206_15 Depth=1
	s_delay_alu instid0(SALU_CYCLE_1)
	s_or_b32 exec_lo, exec_lo, s15
.LBB206_98:                             ;   in Loop: Header=BB206_15 Depth=1
	s_delay_alu instid0(SALU_CYCLE_1) | instskip(SKIP_3) | instid1(VALU_DEP_1)
	s_or_b32 exec_lo, exec_lo, s14
	v_mov_b64_e32 v[4:5], 0
	v_lshrrev_b32_e32 v3, 16, v2
	s_mov_b32 s14, exec_lo
	v_and_b32_e32 v1, 0xff, v3
	scratch_store_b64 off, v[4:5], s32 offset:284 ; 8-byte Folded Spill
	s_wait_xcnt 0x0
	v_mov_b64_e32 v[4:5], 0
	scratch_store_b64 off, v[4:5], s32 offset:444 ; 8-byte Folded Spill
	s_wait_xcnt 0x0
	v_cmpx_ne_u16_e32 0, v1
	s_cbranch_execz .LBB206_106
; %bb.99:                               ;   in Loop: Header=BB206_15 Depth=1
	v_mov_b64_e32 v[8:9], 0x80000000
	s_mov_b32 s15, exec_lo
	v_cmpx_ne_u16_e32 0x80, v1
	s_cbranch_execz .LBB206_105
; %bb.100:                              ;   in Loop: Header=BB206_15 Depth=1
	v_mov_b64_e32 v[8:9], 0x7f800001
	v_bfe_u32 v5, v2, 16, 7
	s_mov_b32 s16, exec_lo
	s_delay_alu instid0(VALU_DEP_1)
	v_cmpx_ne_u32_e32 0x7f, v5
	s_cbranch_execz .LBB206_104
; %bb.101:                              ;   in Loop: Header=BB206_15 Depth=1
	scratch_load_b64 v[8:9], off, s32 offset:192 th:TH_LOAD_LU ; 8-byte Folded Reload
	s_wait_loadcnt 0x0
	v_dual_lshrrev_b32 v4, 3, v5 :: v_dual_bitop2_b32 v8, 7, v3 bitop3:0x40
	s_mov_b32 s17, exec_lo
	s_wait_xcnt 0x0
	v_cmpx_gt_u32_e32 8, v5
; %bb.102:                              ;   in Loop: Header=BB206_15 Depth=1
	s_delay_alu instid0(VALU_DEP_2) | instskip(NEXT) | instid1(VALU_DEP_1)
	v_clz_i32_u32_e32 v1, v8
	v_min_u32_e32 v1, 32, v1
	s_delay_alu instid0(VALU_DEP_1) | instskip(NEXT) | instid1(VALU_DEP_1)
	v_subrev_nc_u32_e32 v4, 28, v1
	v_lshlrev_b64_e32 v[6:7], v4, v[8:9]
	s_delay_alu instid0(VALU_DEP_1)
	v_dual_sub_nc_u32 v4, 29, v1 :: v_dual_bitop2_b32 v8, 7, v6 bitop3:0x40
; %bb.103:                              ;   in Loop: Header=BB206_15 Depth=1
	s_or_b32 exec_lo, exec_lo, s17
	s_delay_alu instid0(VALU_DEP_1) | instskip(NEXT) | instid1(VALU_DEP_2)
	v_dual_lshlrev_b32 v1, 24, v3 :: v_dual_lshlrev_b32 v3, 20, v8
	v_lshl_add_u32 v4, v4, 23, 0x3c000000
	s_delay_alu instid0(VALU_DEP_2) | instskip(NEXT) | instid1(VALU_DEP_1)
	v_and_b32_e32 v1, 0x80000000, v1
	v_or3_b32 v8, v3, v1, v4
	v_mov_b32_e32 v1, v9
	scratch_store_b64 off, v[0:1], s32 offset:192 ; 8-byte Folded Spill
.LBB206_104:                            ;   in Loop: Header=BB206_15 Depth=1
	s_wait_xcnt 0x0
	s_or_b32 exec_lo, exec_lo, s16
.LBB206_105:                            ;   in Loop: Header=BB206_15 Depth=1
	s_delay_alu instid0(SALU_CYCLE_1)
	s_or_b32 exec_lo, exec_lo, s15
	scratch_store_b64 off, v[8:9], s32 offset:444 ; 8-byte Folded Spill
.LBB206_106:                            ;   in Loop: Header=BB206_15 Depth=1
	s_wait_xcnt 0x0
	s_or_b32 exec_lo, exec_lo, s14
	s_delay_alu instid0(SALU_CYCLE_1)
	s_mov_b32 s14, exec_lo
	v_cmpx_lt_u32_e32 0xffffff, v2
	s_cbranch_execz .LBB206_114
; %bb.107:                              ;   in Loop: Header=BB206_15 Depth=1
	v_mov_b64_e32 v[0:1], 0x8000000000000000
	v_lshrrev_b32_e32 v3, 24, v2
	s_mov_b32 s15, exec_lo
	scratch_store_b64 off, v[0:1], s32 offset:284 ; 8-byte Folded Spill
	s_wait_xcnt 0x0
	v_cmpx_ne_u32_e32 0x80, v3
	s_cbranch_execz .LBB206_113
; %bb.108:                              ;   in Loop: Header=BB206_15 Depth=1
	v_mov_b64_e32 v[0:1], 0x7f80000100000000
	v_bfe_u32 v4, v2, 24, 7
	s_mov_b32 s16, exec_lo
	scratch_store_b64 off, v[0:1], s32 offset:284 ; 8-byte Folded Spill
	s_wait_xcnt 0x0
	v_cmpx_ne_u32_e32 0x7f, v4
	s_cbranch_execz .LBB206_112
; %bb.109:                              ;   in Loop: Header=BB206_15 Depth=1
	scratch_load_b64 v[6:7], off, s32 offset:192 th:TH_LOAD_LU ; 8-byte Folded Reload
	s_wait_loadcnt 0x0
	v_dual_lshrrev_b32 v2, 3, v4 :: v_dual_bitop2_b32 v6, 7, v3 bitop3:0x40
	s_mov_b32 s17, exec_lo
	s_wait_xcnt 0x0
	v_cmpx_gt_u32_e32 8, v4
; %bb.110:                              ;   in Loop: Header=BB206_15 Depth=1
	s_delay_alu instid0(VALU_DEP_2) | instskip(NEXT) | instid1(VALU_DEP_1)
	v_clz_i32_u32_e32 v1, v6
	v_min_u32_e32 v1, 32, v1
	s_delay_alu instid0(VALU_DEP_1) | instskip(NEXT) | instid1(VALU_DEP_1)
	v_subrev_nc_u32_e32 v2, 28, v1
	v_lshlrev_b64_e32 v[4:5], v2, v[6:7]
	s_delay_alu instid0(VALU_DEP_1)
	v_dual_sub_nc_u32 v2, 29, v1 :: v_dual_bitop2_b32 v6, 7, v4 bitop3:0x40
; %bb.111:                              ;   in Loop: Header=BB206_15 Depth=1
	s_or_b32 exec_lo, exec_lo, s17
	s_delay_alu instid0(VALU_DEP_1) | instskip(NEXT) | instid1(VALU_DEP_2)
	v_dual_lshlrev_b32 v1, 24, v3 :: v_dual_lshlrev_b32 v3, 20, v6
	v_lshl_add_u32 v2, v2, 23, 0x3c000000
	s_delay_alu instid0(VALU_DEP_2) | instskip(NEXT) | instid1(VALU_DEP_1)
	v_and_b32_e32 v1, 0x80000000, v1
	v_or3_b32 v3, v3, v1, v2
	v_dual_mov_b32 v1, v7 :: v_dual_mov_b32 v2, v7
	s_clause 0x1
	scratch_store_b64 off, v[0:1], s32 offset:192
	scratch_store_b64 off, v[2:3], s32 offset:284
.LBB206_112:                            ;   in Loop: Header=BB206_15 Depth=1
	s_wait_xcnt 0x0
	s_or_b32 exec_lo, exec_lo, s16
.LBB206_113:                            ;   in Loop: Header=BB206_15 Depth=1
	s_delay_alu instid0(SALU_CYCLE_1)
	s_or_b32 exec_lo, exec_lo, s15
.LBB206_114:                            ;   in Loop: Header=BB206_15 Depth=1
	s_delay_alu instid0(SALU_CYCLE_1)
	s_or_b32 exec_lo, exec_lo, s14
	flat_load_b32 v2, v[18:19] offset:12
	v_mov_b64_e32 v[4:5], 0
	s_mov_b32 s14, exec_lo
	scratch_store_b64 off, v[4:5], s32 offset:292 ; 8-byte Folded Spill
	s_wait_xcnt 0x0
	v_mov_b64_e32 v[4:5], 0
	scratch_store_b64 off, v[4:5], s32 offset:452 ; 8-byte Folded Spill
	s_wait_loadcnt_dscnt 0x0
	v_and_b32_e32 v1, 0xff, v2
	s_wait_xcnt 0x0
	s_delay_alu instid0(VALU_DEP_1)
	v_cmpx_ne_u16_e32 0, v1
	s_cbranch_execz .LBB206_122
; %bb.115:                              ;   in Loop: Header=BB206_15 Depth=1
	v_mov_b64_e32 v[6:7], 0x80000000
	s_mov_b32 s15, exec_lo
	v_cmpx_ne_u16_e32 0x80, v1
	s_cbranch_execz .LBB206_121
; %bb.116:                              ;   in Loop: Header=BB206_15 Depth=1
	v_mov_b64_e32 v[6:7], 0x7f800001
	v_and_b32_e32 v4, 0x7f, v2
	s_mov_b32 s16, exec_lo
	s_delay_alu instid0(VALU_DEP_1)
	v_cmpx_ne_u32_e32 0x7f, v4
	s_cbranch_execz .LBB206_120
; %bb.117:                              ;   in Loop: Header=BB206_15 Depth=1
	scratch_load_b64 v[6:7], off, s32 offset:192 th:TH_LOAD_LU ; 8-byte Folded Reload
	s_wait_loadcnt 0x0
	v_dual_lshrrev_b32 v3, 3, v4 :: v_dual_bitop2_b32 v6, 7, v2 bitop3:0x40
	s_mov_b32 s17, exec_lo
	s_wait_xcnt 0x0
	v_cmpx_gt_u32_e32 8, v4
; %bb.118:                              ;   in Loop: Header=BB206_15 Depth=1
	s_delay_alu instid0(VALU_DEP_2) | instskip(NEXT) | instid1(VALU_DEP_1)
	v_clz_i32_u32_e32 v1, v6
	v_min_u32_e32 v1, 32, v1
	s_delay_alu instid0(VALU_DEP_1) | instskip(NEXT) | instid1(VALU_DEP_1)
	v_subrev_nc_u32_e32 v3, 28, v1
	v_lshlrev_b64_e32 v[4:5], v3, v[6:7]
	s_delay_alu instid0(VALU_DEP_1)
	v_dual_sub_nc_u32 v3, 29, v1 :: v_dual_bitop2_b32 v6, 7, v4 bitop3:0x40
; %bb.119:                              ;   in Loop: Header=BB206_15 Depth=1
	s_or_b32 exec_lo, exec_lo, s17
	v_lshlrev_b32_e32 v1, 24, v2
	s_delay_alu instid0(VALU_DEP_2) | instskip(NEXT) | instid1(VALU_DEP_3)
	v_lshlrev_b32_e32 v4, 20, v6
	v_lshl_add_u32 v3, v3, 23, 0x3c000000
	s_delay_alu instid0(VALU_DEP_3) | instskip(NEXT) | instid1(VALU_DEP_1)
	v_and_b32_e32 v1, 0x80000000, v1
	v_or3_b32 v6, v4, v1, v3
	v_mov_b32_e32 v1, v7
	scratch_store_b64 off, v[0:1], s32 offset:192 ; 8-byte Folded Spill
.LBB206_120:                            ;   in Loop: Header=BB206_15 Depth=1
	s_wait_xcnt 0x0
	s_or_b32 exec_lo, exec_lo, s16
.LBB206_121:                            ;   in Loop: Header=BB206_15 Depth=1
	s_delay_alu instid0(SALU_CYCLE_1)
	s_or_b32 exec_lo, exec_lo, s15
	scratch_store_b64 off, v[6:7], s32 offset:452 ; 8-byte Folded Spill
.LBB206_122:                            ;   in Loop: Header=BB206_15 Depth=1
	s_wait_xcnt 0x0
	s_or_b32 exec_lo, exec_lo, s14
	v_lshrrev_b16 v3, 8, v2
	s_mov_b32 s14, exec_lo
	s_delay_alu instid0(VALU_DEP_1)
	v_cmpx_ne_u16_e32 0, v3
	s_cbranch_execz .LBB206_130
; %bb.123:                              ;   in Loop: Header=BB206_15 Depth=1
	v_mov_b64_e32 v[0:1], 0x8000000000000000
	s_mov_b32 s15, exec_lo
	scratch_store_b64 off, v[0:1], s32 offset:292 ; 8-byte Folded Spill
	s_wait_xcnt 0x0
	v_cmpx_ne_u16_e32 0x80, v3
	s_cbranch_execz .LBB206_129
; %bb.124:                              ;   in Loop: Header=BB206_15 Depth=1
	v_and_b32_e32 v1, 0xffff, v3
	v_mov_b64_e32 v[6:7], 0x7f80000100000000
	s_mov_b32 s16, exec_lo
	s_delay_alu instid0(VALU_DEP_2)
	v_and_b32_e32 v4, 0x7f, v1
	scratch_store_b64 off, v[6:7], s32 offset:292 ; 8-byte Folded Spill
	s_wait_xcnt 0x0
	v_cmpx_ne_u32_e32 0x7f, v4
	s_cbranch_execz .LBB206_128
; %bb.125:                              ;   in Loop: Header=BB206_15 Depth=1
	scratch_load_b64 v[6:7], off, s32 offset:192 th:TH_LOAD_LU ; 8-byte Folded Reload
	s_wait_loadcnt 0x0
	v_dual_lshrrev_b32 v3, 3, v4 :: v_dual_bitop2_b32 v6, 7, v1 bitop3:0x40
	s_mov_b32 s17, exec_lo
	s_wait_xcnt 0x0
	v_cmpx_gt_u32_e32 8, v4
; %bb.126:                              ;   in Loop: Header=BB206_15 Depth=1
	s_delay_alu instid0(VALU_DEP_2) | instskip(NEXT) | instid1(VALU_DEP_1)
	v_clz_i32_u32_e32 v1, v6
	v_min_u32_e32 v1, 32, v1
	s_delay_alu instid0(VALU_DEP_1) | instskip(NEXT) | instid1(VALU_DEP_1)
	v_subrev_nc_u32_e32 v3, 28, v1
	v_lshlrev_b64_e32 v[4:5], v3, v[6:7]
	s_delay_alu instid0(VALU_DEP_1)
	v_dual_sub_nc_u32 v3, 29, v1 :: v_dual_bitop2_b32 v6, 7, v4 bitop3:0x40
; %bb.127:                              ;   in Loop: Header=BB206_15 Depth=1
	s_or_b32 exec_lo, exec_lo, s17
	v_lshlrev_b32_e32 v1, 16, v2
	s_delay_alu instid0(VALU_DEP_2) | instskip(NEXT) | instid1(VALU_DEP_3)
	v_lshlrev_b32_e32 v4, 20, v6
	v_lshl_add_u32 v3, v3, 23, 0x3c000000
	s_delay_alu instid0(VALU_DEP_3) | instskip(NEXT) | instid1(VALU_DEP_1)
	v_and_b32_e32 v1, 0x80000000, v1
	v_or3_b32 v5, v4, v1, v3
	v_dual_mov_b32 v1, v7 :: v_dual_mov_b32 v4, v7
	s_clause 0x1
	scratch_store_b64 off, v[0:1], s32 offset:192
	scratch_store_b64 off, v[4:5], s32 offset:292
.LBB206_128:                            ;   in Loop: Header=BB206_15 Depth=1
	s_wait_xcnt 0x0
	s_or_b32 exec_lo, exec_lo, s16
.LBB206_129:                            ;   in Loop: Header=BB206_15 Depth=1
	s_delay_alu instid0(SALU_CYCLE_1)
	s_or_b32 exec_lo, exec_lo, s15
.LBB206_130:                            ;   in Loop: Header=BB206_15 Depth=1
	s_delay_alu instid0(SALU_CYCLE_1) | instskip(SKIP_3) | instid1(VALU_DEP_1)
	s_or_b32 exec_lo, exec_lo, s14
	v_mov_b64_e32 v[4:5], 0
	v_lshrrev_b32_e32 v3, 16, v2
	s_mov_b32 s14, exec_lo
	v_and_b32_e32 v1, 0xff, v3
	scratch_store_b64 off, v[4:5], s32 offset:300 ; 8-byte Folded Spill
	s_wait_xcnt 0x0
	v_mov_b64_e32 v[4:5], 0
	scratch_store_b64 off, v[4:5], s32 offset:460 ; 8-byte Folded Spill
	s_wait_xcnt 0x0
	v_cmpx_ne_u16_e32 0, v1
	s_cbranch_execz .LBB206_138
; %bb.131:                              ;   in Loop: Header=BB206_15 Depth=1
	v_mov_b64_e32 v[8:9], 0x80000000
	s_mov_b32 s15, exec_lo
	v_cmpx_ne_u16_e32 0x80, v1
	s_cbranch_execz .LBB206_137
; %bb.132:                              ;   in Loop: Header=BB206_15 Depth=1
	v_mov_b64_e32 v[8:9], 0x7f800001
	v_bfe_u32 v5, v2, 16, 7
	s_mov_b32 s16, exec_lo
	s_delay_alu instid0(VALU_DEP_1)
	v_cmpx_ne_u32_e32 0x7f, v5
	s_cbranch_execz .LBB206_136
; %bb.133:                              ;   in Loop: Header=BB206_15 Depth=1
	scratch_load_b64 v[8:9], off, s32 offset:192 th:TH_LOAD_LU ; 8-byte Folded Reload
	s_wait_loadcnt 0x0
	v_dual_lshrrev_b32 v4, 3, v5 :: v_dual_bitop2_b32 v8, 7, v3 bitop3:0x40
	s_mov_b32 s17, exec_lo
	s_wait_xcnt 0x0
	v_cmpx_gt_u32_e32 8, v5
; %bb.134:                              ;   in Loop: Header=BB206_15 Depth=1
	s_delay_alu instid0(VALU_DEP_2) | instskip(NEXT) | instid1(VALU_DEP_1)
	v_clz_i32_u32_e32 v1, v8
	v_min_u32_e32 v1, 32, v1
	s_delay_alu instid0(VALU_DEP_1) | instskip(NEXT) | instid1(VALU_DEP_1)
	v_subrev_nc_u32_e32 v4, 28, v1
	v_lshlrev_b64_e32 v[6:7], v4, v[8:9]
	s_delay_alu instid0(VALU_DEP_1)
	v_dual_sub_nc_u32 v4, 29, v1 :: v_dual_bitop2_b32 v8, 7, v6 bitop3:0x40
; %bb.135:                              ;   in Loop: Header=BB206_15 Depth=1
	s_or_b32 exec_lo, exec_lo, s17
	s_delay_alu instid0(VALU_DEP_1) | instskip(NEXT) | instid1(VALU_DEP_2)
	v_dual_lshlrev_b32 v1, 24, v3 :: v_dual_lshlrev_b32 v3, 20, v8
	v_lshl_add_u32 v4, v4, 23, 0x3c000000
	s_delay_alu instid0(VALU_DEP_2) | instskip(NEXT) | instid1(VALU_DEP_1)
	v_and_b32_e32 v1, 0x80000000, v1
	v_or3_b32 v8, v3, v1, v4
	v_mov_b32_e32 v1, v9
	scratch_store_b64 off, v[0:1], s32 offset:192 ; 8-byte Folded Spill
.LBB206_136:                            ;   in Loop: Header=BB206_15 Depth=1
	s_wait_xcnt 0x0
	s_or_b32 exec_lo, exec_lo, s16
.LBB206_137:                            ;   in Loop: Header=BB206_15 Depth=1
	s_delay_alu instid0(SALU_CYCLE_1)
	s_or_b32 exec_lo, exec_lo, s15
	scratch_store_b64 off, v[8:9], s32 offset:460 ; 8-byte Folded Spill
.LBB206_138:                            ;   in Loop: Header=BB206_15 Depth=1
	s_wait_xcnt 0x0
	s_or_b32 exec_lo, exec_lo, s14
	s_delay_alu instid0(SALU_CYCLE_1)
	s_mov_b32 s14, exec_lo
	v_cmpx_lt_u32_e32 0xffffff, v2
	s_cbranch_execz .LBB206_146
; %bb.139:                              ;   in Loop: Header=BB206_15 Depth=1
	v_mov_b64_e32 v[0:1], 0x8000000000000000
	v_lshrrev_b32_e32 v3, 24, v2
	s_mov_b32 s15, exec_lo
	scratch_store_b64 off, v[0:1], s32 offset:300 ; 8-byte Folded Spill
	s_wait_xcnt 0x0
	v_cmpx_ne_u32_e32 0x80, v3
	s_cbranch_execz .LBB206_145
; %bb.140:                              ;   in Loop: Header=BB206_15 Depth=1
	v_mov_b64_e32 v[0:1], 0x7f80000100000000
	v_bfe_u32 v4, v2, 24, 7
	s_mov_b32 s16, exec_lo
	scratch_store_b64 off, v[0:1], s32 offset:300 ; 8-byte Folded Spill
	s_wait_xcnt 0x0
	v_cmpx_ne_u32_e32 0x7f, v4
	s_cbranch_execz .LBB206_144
; %bb.141:                              ;   in Loop: Header=BB206_15 Depth=1
	scratch_load_b64 v[6:7], off, s32 offset:192 th:TH_LOAD_LU ; 8-byte Folded Reload
	s_wait_loadcnt 0x0
	v_dual_lshrrev_b32 v2, 3, v4 :: v_dual_bitop2_b32 v6, 7, v3 bitop3:0x40
	s_mov_b32 s17, exec_lo
	s_wait_xcnt 0x0
	v_cmpx_gt_u32_e32 8, v4
; %bb.142:                              ;   in Loop: Header=BB206_15 Depth=1
	s_delay_alu instid0(VALU_DEP_2) | instskip(NEXT) | instid1(VALU_DEP_1)
	v_clz_i32_u32_e32 v1, v6
	v_min_u32_e32 v1, 32, v1
	s_delay_alu instid0(VALU_DEP_1) | instskip(NEXT) | instid1(VALU_DEP_1)
	v_subrev_nc_u32_e32 v2, 28, v1
	v_lshlrev_b64_e32 v[4:5], v2, v[6:7]
	s_delay_alu instid0(VALU_DEP_1)
	v_dual_sub_nc_u32 v2, 29, v1 :: v_dual_bitop2_b32 v6, 7, v4 bitop3:0x40
; %bb.143:                              ;   in Loop: Header=BB206_15 Depth=1
	s_or_b32 exec_lo, exec_lo, s17
	s_delay_alu instid0(VALU_DEP_1) | instskip(NEXT) | instid1(VALU_DEP_2)
	v_dual_lshlrev_b32 v1, 24, v3 :: v_dual_lshlrev_b32 v3, 20, v6
	v_lshl_add_u32 v2, v2, 23, 0x3c000000
	s_delay_alu instid0(VALU_DEP_2) | instskip(NEXT) | instid1(VALU_DEP_1)
	v_and_b32_e32 v1, 0x80000000, v1
	v_or3_b32 v3, v3, v1, v2
	v_dual_mov_b32 v1, v7 :: v_dual_mov_b32 v2, v7
	s_clause 0x1
	scratch_store_b64 off, v[0:1], s32 offset:192
	scratch_store_b64 off, v[2:3], s32 offset:300
.LBB206_144:                            ;   in Loop: Header=BB206_15 Depth=1
	s_wait_xcnt 0x0
	s_or_b32 exec_lo, exec_lo, s16
.LBB206_145:                            ;   in Loop: Header=BB206_15 Depth=1
	s_delay_alu instid0(SALU_CYCLE_1)
	s_or_b32 exec_lo, exec_lo, s15
.LBB206_146:                            ;   in Loop: Header=BB206_15 Depth=1
	s_delay_alu instid0(SALU_CYCLE_1)
	s_or_b32 exec_lo, exec_lo, s14
	flat_load_b32 v2, v[18:19] offset:512
	v_mov_b64_e32 v[4:5], 0
	s_mov_b32 s14, exec_lo
	scratch_store_b64 off, v[4:5], s32 offset:308 ; 8-byte Folded Spill
	s_wait_xcnt 0x0
	v_mov_b64_e32 v[4:5], 0
	scratch_store_b64 off, v[4:5], s32 offset:468 ; 8-byte Folded Spill
	s_wait_loadcnt_dscnt 0x0
	v_and_b32_e32 v1, 0xff, v2
	s_wait_xcnt 0x0
	s_delay_alu instid0(VALU_DEP_1)
	v_cmpx_ne_u16_e32 0, v1
	s_cbranch_execz .LBB206_154
; %bb.147:                              ;   in Loop: Header=BB206_15 Depth=1
	v_mov_b64_e32 v[6:7], 0x80000000
	s_mov_b32 s15, exec_lo
	v_cmpx_ne_u16_e32 0x80, v1
	s_cbranch_execz .LBB206_153
; %bb.148:                              ;   in Loop: Header=BB206_15 Depth=1
	v_mov_b64_e32 v[6:7], 0x7f800001
	v_and_b32_e32 v4, 0x7f, v2
	s_mov_b32 s16, exec_lo
	s_delay_alu instid0(VALU_DEP_1)
	v_cmpx_ne_u32_e32 0x7f, v4
	s_cbranch_execz .LBB206_152
; %bb.149:                              ;   in Loop: Header=BB206_15 Depth=1
	scratch_load_b64 v[6:7], off, s32 offset:192 th:TH_LOAD_LU ; 8-byte Folded Reload
	s_wait_loadcnt 0x0
	v_dual_lshrrev_b32 v3, 3, v4 :: v_dual_bitop2_b32 v6, 7, v2 bitop3:0x40
	s_mov_b32 s17, exec_lo
	s_wait_xcnt 0x0
	v_cmpx_gt_u32_e32 8, v4
; %bb.150:                              ;   in Loop: Header=BB206_15 Depth=1
	s_delay_alu instid0(VALU_DEP_2) | instskip(NEXT) | instid1(VALU_DEP_1)
	v_clz_i32_u32_e32 v1, v6
	v_min_u32_e32 v1, 32, v1
	s_delay_alu instid0(VALU_DEP_1) | instskip(NEXT) | instid1(VALU_DEP_1)
	v_subrev_nc_u32_e32 v3, 28, v1
	v_lshlrev_b64_e32 v[4:5], v3, v[6:7]
	s_delay_alu instid0(VALU_DEP_1)
	v_dual_sub_nc_u32 v3, 29, v1 :: v_dual_bitop2_b32 v6, 7, v4 bitop3:0x40
; %bb.151:                              ;   in Loop: Header=BB206_15 Depth=1
	s_or_b32 exec_lo, exec_lo, s17
	v_lshlrev_b32_e32 v1, 24, v2
	s_delay_alu instid0(VALU_DEP_2) | instskip(NEXT) | instid1(VALU_DEP_3)
	v_lshlrev_b32_e32 v4, 20, v6
	v_lshl_add_u32 v3, v3, 23, 0x3c000000
	s_delay_alu instid0(VALU_DEP_3) | instskip(NEXT) | instid1(VALU_DEP_1)
	v_and_b32_e32 v1, 0x80000000, v1
	v_or3_b32 v6, v4, v1, v3
	v_mov_b32_e32 v1, v7
	scratch_store_b64 off, v[0:1], s32 offset:192 ; 8-byte Folded Spill
.LBB206_152:                            ;   in Loop: Header=BB206_15 Depth=1
	s_wait_xcnt 0x0
	s_or_b32 exec_lo, exec_lo, s16
.LBB206_153:                            ;   in Loop: Header=BB206_15 Depth=1
	s_delay_alu instid0(SALU_CYCLE_1)
	s_or_b32 exec_lo, exec_lo, s15
	scratch_store_b64 off, v[6:7], s32 offset:468 ; 8-byte Folded Spill
.LBB206_154:                            ;   in Loop: Header=BB206_15 Depth=1
	s_wait_xcnt 0x0
	s_or_b32 exec_lo, exec_lo, s14
	v_lshrrev_b16 v3, 8, v2
	s_mov_b32 s14, exec_lo
	s_delay_alu instid0(VALU_DEP_1)
	v_cmpx_ne_u16_e32 0, v3
	s_cbranch_execz .LBB206_162
; %bb.155:                              ;   in Loop: Header=BB206_15 Depth=1
	v_mov_b64_e32 v[0:1], 0x8000000000000000
	s_mov_b32 s15, exec_lo
	scratch_store_b64 off, v[0:1], s32 offset:308 ; 8-byte Folded Spill
	s_wait_xcnt 0x0
	v_cmpx_ne_u16_e32 0x80, v3
	s_cbranch_execz .LBB206_161
; %bb.156:                              ;   in Loop: Header=BB206_15 Depth=1
	v_and_b32_e32 v1, 0xffff, v3
	v_mov_b64_e32 v[6:7], 0x7f80000100000000
	s_mov_b32 s16, exec_lo
	s_delay_alu instid0(VALU_DEP_2)
	v_and_b32_e32 v4, 0x7f, v1
	scratch_store_b64 off, v[6:7], s32 offset:308 ; 8-byte Folded Spill
	s_wait_xcnt 0x0
	v_cmpx_ne_u32_e32 0x7f, v4
	s_cbranch_execz .LBB206_160
; %bb.157:                              ;   in Loop: Header=BB206_15 Depth=1
	scratch_load_b64 v[6:7], off, s32 offset:192 th:TH_LOAD_LU ; 8-byte Folded Reload
	s_wait_loadcnt 0x0
	v_dual_lshrrev_b32 v3, 3, v4 :: v_dual_bitop2_b32 v6, 7, v1 bitop3:0x40
	s_mov_b32 s17, exec_lo
	s_wait_xcnt 0x0
	v_cmpx_gt_u32_e32 8, v4
; %bb.158:                              ;   in Loop: Header=BB206_15 Depth=1
	s_delay_alu instid0(VALU_DEP_2) | instskip(NEXT) | instid1(VALU_DEP_1)
	v_clz_i32_u32_e32 v1, v6
	v_min_u32_e32 v1, 32, v1
	s_delay_alu instid0(VALU_DEP_1) | instskip(NEXT) | instid1(VALU_DEP_1)
	v_subrev_nc_u32_e32 v3, 28, v1
	v_lshlrev_b64_e32 v[4:5], v3, v[6:7]
	s_delay_alu instid0(VALU_DEP_1)
	v_dual_sub_nc_u32 v3, 29, v1 :: v_dual_bitop2_b32 v6, 7, v4 bitop3:0x40
; %bb.159:                              ;   in Loop: Header=BB206_15 Depth=1
	s_or_b32 exec_lo, exec_lo, s17
	v_lshlrev_b32_e32 v1, 16, v2
	s_delay_alu instid0(VALU_DEP_2) | instskip(NEXT) | instid1(VALU_DEP_3)
	v_lshlrev_b32_e32 v4, 20, v6
	v_lshl_add_u32 v3, v3, 23, 0x3c000000
	s_delay_alu instid0(VALU_DEP_3) | instskip(NEXT) | instid1(VALU_DEP_1)
	v_and_b32_e32 v1, 0x80000000, v1
	v_or3_b32 v5, v4, v1, v3
	v_dual_mov_b32 v1, v7 :: v_dual_mov_b32 v4, v7
	s_clause 0x1
	scratch_store_b64 off, v[0:1], s32 offset:192
	scratch_store_b64 off, v[4:5], s32 offset:308
.LBB206_160:                            ;   in Loop: Header=BB206_15 Depth=1
	s_wait_xcnt 0x0
	s_or_b32 exec_lo, exec_lo, s16
.LBB206_161:                            ;   in Loop: Header=BB206_15 Depth=1
	s_delay_alu instid0(SALU_CYCLE_1)
	s_or_b32 exec_lo, exec_lo, s15
.LBB206_162:                            ;   in Loop: Header=BB206_15 Depth=1
	s_delay_alu instid0(SALU_CYCLE_1) | instskip(SKIP_3) | instid1(VALU_DEP_1)
	s_or_b32 exec_lo, exec_lo, s14
	v_mov_b64_e32 v[4:5], 0
	v_lshrrev_b32_e32 v3, 16, v2
	s_mov_b32 s14, exec_lo
	v_and_b32_e32 v1, 0xff, v3
	scratch_store_b64 off, v[4:5], s32 offset:316 ; 8-byte Folded Spill
	s_wait_xcnt 0x0
	v_mov_b64_e32 v[4:5], 0
	scratch_store_b64 off, v[4:5], s32 offset:476 ; 8-byte Folded Spill
	s_wait_xcnt 0x0
	v_cmpx_ne_u16_e32 0, v1
	s_cbranch_execz .LBB206_170
; %bb.163:                              ;   in Loop: Header=BB206_15 Depth=1
	v_mov_b64_e32 v[8:9], 0x80000000
	s_mov_b32 s15, exec_lo
	v_cmpx_ne_u16_e32 0x80, v1
	s_cbranch_execz .LBB206_169
; %bb.164:                              ;   in Loop: Header=BB206_15 Depth=1
	v_mov_b64_e32 v[8:9], 0x7f800001
	v_bfe_u32 v5, v2, 16, 7
	s_mov_b32 s16, exec_lo
	s_delay_alu instid0(VALU_DEP_1)
	v_cmpx_ne_u32_e32 0x7f, v5
	s_cbranch_execz .LBB206_168
; %bb.165:                              ;   in Loop: Header=BB206_15 Depth=1
	scratch_load_b64 v[8:9], off, s32 offset:192 th:TH_LOAD_LU ; 8-byte Folded Reload
	s_wait_loadcnt 0x0
	v_dual_lshrrev_b32 v4, 3, v5 :: v_dual_bitop2_b32 v8, 7, v3 bitop3:0x40
	s_mov_b32 s17, exec_lo
	s_wait_xcnt 0x0
	v_cmpx_gt_u32_e32 8, v5
; %bb.166:                              ;   in Loop: Header=BB206_15 Depth=1
	s_delay_alu instid0(VALU_DEP_2) | instskip(NEXT) | instid1(VALU_DEP_1)
	v_clz_i32_u32_e32 v1, v8
	v_min_u32_e32 v1, 32, v1
	s_delay_alu instid0(VALU_DEP_1) | instskip(NEXT) | instid1(VALU_DEP_1)
	v_subrev_nc_u32_e32 v4, 28, v1
	v_lshlrev_b64_e32 v[6:7], v4, v[8:9]
	s_delay_alu instid0(VALU_DEP_1)
	v_dual_sub_nc_u32 v4, 29, v1 :: v_dual_bitop2_b32 v8, 7, v6 bitop3:0x40
; %bb.167:                              ;   in Loop: Header=BB206_15 Depth=1
	s_or_b32 exec_lo, exec_lo, s17
	s_delay_alu instid0(VALU_DEP_1) | instskip(NEXT) | instid1(VALU_DEP_2)
	v_dual_lshlrev_b32 v1, 24, v3 :: v_dual_lshlrev_b32 v3, 20, v8
	v_lshl_add_u32 v4, v4, 23, 0x3c000000
	s_delay_alu instid0(VALU_DEP_2) | instskip(NEXT) | instid1(VALU_DEP_1)
	v_and_b32_e32 v1, 0x80000000, v1
	v_or3_b32 v8, v3, v1, v4
	v_mov_b32_e32 v1, v9
	scratch_store_b64 off, v[0:1], s32 offset:192 ; 8-byte Folded Spill
.LBB206_168:                            ;   in Loop: Header=BB206_15 Depth=1
	s_wait_xcnt 0x0
	s_or_b32 exec_lo, exec_lo, s16
.LBB206_169:                            ;   in Loop: Header=BB206_15 Depth=1
	s_delay_alu instid0(SALU_CYCLE_1)
	s_or_b32 exec_lo, exec_lo, s15
	scratch_store_b64 off, v[8:9], s32 offset:476 ; 8-byte Folded Spill
.LBB206_170:                            ;   in Loop: Header=BB206_15 Depth=1
	s_wait_xcnt 0x0
	s_or_b32 exec_lo, exec_lo, s14
	s_delay_alu instid0(SALU_CYCLE_1)
	s_mov_b32 s14, exec_lo
	v_cmpx_lt_u32_e32 0xffffff, v2
	s_cbranch_execz .LBB206_178
; %bb.171:                              ;   in Loop: Header=BB206_15 Depth=1
	v_mov_b64_e32 v[0:1], 0x8000000000000000
	v_lshrrev_b32_e32 v3, 24, v2
	s_mov_b32 s15, exec_lo
	scratch_store_b64 off, v[0:1], s32 offset:316 ; 8-byte Folded Spill
	s_wait_xcnt 0x0
	v_cmpx_ne_u32_e32 0x80, v3
	s_cbranch_execz .LBB206_177
; %bb.172:                              ;   in Loop: Header=BB206_15 Depth=1
	v_mov_b64_e32 v[0:1], 0x7f80000100000000
	v_bfe_u32 v4, v2, 24, 7
	s_mov_b32 s16, exec_lo
	scratch_store_b64 off, v[0:1], s32 offset:316 ; 8-byte Folded Spill
	s_wait_xcnt 0x0
	v_cmpx_ne_u32_e32 0x7f, v4
	s_cbranch_execz .LBB206_176
; %bb.173:                              ;   in Loop: Header=BB206_15 Depth=1
	scratch_load_b64 v[6:7], off, s32 offset:192 th:TH_LOAD_LU ; 8-byte Folded Reload
	s_wait_loadcnt 0x0
	v_dual_lshrrev_b32 v2, 3, v4 :: v_dual_bitop2_b32 v6, 7, v3 bitop3:0x40
	s_mov_b32 s17, exec_lo
	s_wait_xcnt 0x0
	v_cmpx_gt_u32_e32 8, v4
; %bb.174:                              ;   in Loop: Header=BB206_15 Depth=1
	s_delay_alu instid0(VALU_DEP_2) | instskip(NEXT) | instid1(VALU_DEP_1)
	v_clz_i32_u32_e32 v1, v6
	v_min_u32_e32 v1, 32, v1
	s_delay_alu instid0(VALU_DEP_1) | instskip(NEXT) | instid1(VALU_DEP_1)
	v_subrev_nc_u32_e32 v2, 28, v1
	v_lshlrev_b64_e32 v[4:5], v2, v[6:7]
	s_delay_alu instid0(VALU_DEP_1)
	v_dual_sub_nc_u32 v2, 29, v1 :: v_dual_bitop2_b32 v6, 7, v4 bitop3:0x40
; %bb.175:                              ;   in Loop: Header=BB206_15 Depth=1
	s_or_b32 exec_lo, exec_lo, s17
	s_delay_alu instid0(VALU_DEP_1) | instskip(NEXT) | instid1(VALU_DEP_2)
	v_dual_lshlrev_b32 v1, 24, v3 :: v_dual_lshlrev_b32 v3, 20, v6
	v_lshl_add_u32 v2, v2, 23, 0x3c000000
	s_delay_alu instid0(VALU_DEP_2) | instskip(NEXT) | instid1(VALU_DEP_1)
	v_and_b32_e32 v1, 0x80000000, v1
	v_or3_b32 v3, v3, v1, v2
	v_dual_mov_b32 v1, v7 :: v_dual_mov_b32 v2, v7
	s_clause 0x1
	scratch_store_b64 off, v[0:1], s32 offset:192
	scratch_store_b64 off, v[2:3], s32 offset:316
.LBB206_176:                            ;   in Loop: Header=BB206_15 Depth=1
	s_wait_xcnt 0x0
	s_or_b32 exec_lo, exec_lo, s16
.LBB206_177:                            ;   in Loop: Header=BB206_15 Depth=1
	s_delay_alu instid0(SALU_CYCLE_1)
	s_or_b32 exec_lo, exec_lo, s15
.LBB206_178:                            ;   in Loop: Header=BB206_15 Depth=1
	s_delay_alu instid0(SALU_CYCLE_1)
	s_or_b32 exec_lo, exec_lo, s14
	flat_load_b32 v2, v[18:19] offset:516
	v_mov_b64_e32 v[4:5], 0
	s_mov_b32 s14, exec_lo
	scratch_store_b64 off, v[4:5], s32 offset:324 ; 8-byte Folded Spill
	s_wait_xcnt 0x0
	v_mov_b64_e32 v[4:5], 0
	scratch_store_b64 off, v[4:5], s32 offset:484 ; 8-byte Folded Spill
	s_wait_loadcnt_dscnt 0x0
	v_and_b32_e32 v1, 0xff, v2
	s_wait_xcnt 0x0
	s_delay_alu instid0(VALU_DEP_1)
	v_cmpx_ne_u16_e32 0, v1
	s_cbranch_execz .LBB206_186
; %bb.179:                              ;   in Loop: Header=BB206_15 Depth=1
	v_mov_b64_e32 v[6:7], 0x80000000
	s_mov_b32 s15, exec_lo
	v_cmpx_ne_u16_e32 0x80, v1
	s_cbranch_execz .LBB206_185
; %bb.180:                              ;   in Loop: Header=BB206_15 Depth=1
	v_mov_b64_e32 v[6:7], 0x7f800001
	v_and_b32_e32 v4, 0x7f, v2
	s_mov_b32 s16, exec_lo
	s_delay_alu instid0(VALU_DEP_1)
	v_cmpx_ne_u32_e32 0x7f, v4
	s_cbranch_execz .LBB206_184
; %bb.181:                              ;   in Loop: Header=BB206_15 Depth=1
	scratch_load_b64 v[6:7], off, s32 offset:192 th:TH_LOAD_LU ; 8-byte Folded Reload
	s_wait_loadcnt 0x0
	v_dual_lshrrev_b32 v3, 3, v4 :: v_dual_bitop2_b32 v6, 7, v2 bitop3:0x40
	s_mov_b32 s17, exec_lo
	s_wait_xcnt 0x0
	v_cmpx_gt_u32_e32 8, v4
; %bb.182:                              ;   in Loop: Header=BB206_15 Depth=1
	s_delay_alu instid0(VALU_DEP_2) | instskip(NEXT) | instid1(VALU_DEP_1)
	v_clz_i32_u32_e32 v1, v6
	v_min_u32_e32 v1, 32, v1
	s_delay_alu instid0(VALU_DEP_1) | instskip(NEXT) | instid1(VALU_DEP_1)
	v_subrev_nc_u32_e32 v3, 28, v1
	v_lshlrev_b64_e32 v[4:5], v3, v[6:7]
	s_delay_alu instid0(VALU_DEP_1)
	v_dual_sub_nc_u32 v3, 29, v1 :: v_dual_bitop2_b32 v6, 7, v4 bitop3:0x40
; %bb.183:                              ;   in Loop: Header=BB206_15 Depth=1
	s_or_b32 exec_lo, exec_lo, s17
	v_lshlrev_b32_e32 v1, 24, v2
	s_delay_alu instid0(VALU_DEP_2) | instskip(NEXT) | instid1(VALU_DEP_3)
	v_lshlrev_b32_e32 v4, 20, v6
	v_lshl_add_u32 v3, v3, 23, 0x3c000000
	s_delay_alu instid0(VALU_DEP_3) | instskip(NEXT) | instid1(VALU_DEP_1)
	v_and_b32_e32 v1, 0x80000000, v1
	v_or3_b32 v6, v4, v1, v3
	v_mov_b32_e32 v1, v7
	scratch_store_b64 off, v[0:1], s32 offset:192 ; 8-byte Folded Spill
.LBB206_184:                            ;   in Loop: Header=BB206_15 Depth=1
	s_wait_xcnt 0x0
	s_or_b32 exec_lo, exec_lo, s16
.LBB206_185:                            ;   in Loop: Header=BB206_15 Depth=1
	s_delay_alu instid0(SALU_CYCLE_1)
	s_or_b32 exec_lo, exec_lo, s15
	scratch_store_b64 off, v[6:7], s32 offset:484 ; 8-byte Folded Spill
.LBB206_186:                            ;   in Loop: Header=BB206_15 Depth=1
	s_wait_xcnt 0x0
	s_or_b32 exec_lo, exec_lo, s14
	v_lshrrev_b16 v3, 8, v2
	s_mov_b32 s14, exec_lo
	s_delay_alu instid0(VALU_DEP_1)
	v_cmpx_ne_u16_e32 0, v3
	s_cbranch_execz .LBB206_194
; %bb.187:                              ;   in Loop: Header=BB206_15 Depth=1
	v_mov_b64_e32 v[0:1], 0x8000000000000000
	s_mov_b32 s15, exec_lo
	scratch_store_b64 off, v[0:1], s32 offset:324 ; 8-byte Folded Spill
	s_wait_xcnt 0x0
	v_cmpx_ne_u16_e32 0x80, v3
	s_cbranch_execz .LBB206_193
; %bb.188:                              ;   in Loop: Header=BB206_15 Depth=1
	v_and_b32_e32 v1, 0xffff, v3
	v_mov_b64_e32 v[6:7], 0x7f80000100000000
	s_mov_b32 s16, exec_lo
	s_delay_alu instid0(VALU_DEP_2)
	v_and_b32_e32 v4, 0x7f, v1
	scratch_store_b64 off, v[6:7], s32 offset:324 ; 8-byte Folded Spill
	s_wait_xcnt 0x0
	v_cmpx_ne_u32_e32 0x7f, v4
	s_cbranch_execz .LBB206_192
; %bb.189:                              ;   in Loop: Header=BB206_15 Depth=1
	scratch_load_b64 v[6:7], off, s32 offset:192 th:TH_LOAD_LU ; 8-byte Folded Reload
	s_wait_loadcnt 0x0
	v_dual_lshrrev_b32 v3, 3, v4 :: v_dual_bitop2_b32 v6, 7, v1 bitop3:0x40
	s_mov_b32 s17, exec_lo
	s_wait_xcnt 0x0
	v_cmpx_gt_u32_e32 8, v4
; %bb.190:                              ;   in Loop: Header=BB206_15 Depth=1
	s_delay_alu instid0(VALU_DEP_2) | instskip(NEXT) | instid1(VALU_DEP_1)
	v_clz_i32_u32_e32 v1, v6
	v_min_u32_e32 v1, 32, v1
	s_delay_alu instid0(VALU_DEP_1) | instskip(NEXT) | instid1(VALU_DEP_1)
	v_subrev_nc_u32_e32 v3, 28, v1
	v_lshlrev_b64_e32 v[4:5], v3, v[6:7]
	s_delay_alu instid0(VALU_DEP_1)
	v_dual_sub_nc_u32 v3, 29, v1 :: v_dual_bitop2_b32 v6, 7, v4 bitop3:0x40
; %bb.191:                              ;   in Loop: Header=BB206_15 Depth=1
	s_or_b32 exec_lo, exec_lo, s17
	v_lshlrev_b32_e32 v1, 16, v2
	s_delay_alu instid0(VALU_DEP_2) | instskip(NEXT) | instid1(VALU_DEP_3)
	v_lshlrev_b32_e32 v4, 20, v6
	v_lshl_add_u32 v3, v3, 23, 0x3c000000
	s_delay_alu instid0(VALU_DEP_3) | instskip(NEXT) | instid1(VALU_DEP_1)
	v_and_b32_e32 v1, 0x80000000, v1
	v_or3_b32 v5, v4, v1, v3
	v_dual_mov_b32 v1, v7 :: v_dual_mov_b32 v4, v7
	s_clause 0x1
	scratch_store_b64 off, v[0:1], s32 offset:192
	scratch_store_b64 off, v[4:5], s32 offset:324
.LBB206_192:                            ;   in Loop: Header=BB206_15 Depth=1
	s_wait_xcnt 0x0
	s_or_b32 exec_lo, exec_lo, s16
.LBB206_193:                            ;   in Loop: Header=BB206_15 Depth=1
	s_delay_alu instid0(SALU_CYCLE_1)
	s_or_b32 exec_lo, exec_lo, s15
.LBB206_194:                            ;   in Loop: Header=BB206_15 Depth=1
	s_delay_alu instid0(SALU_CYCLE_1) | instskip(SKIP_3) | instid1(VALU_DEP_1)
	s_or_b32 exec_lo, exec_lo, s14
	v_mov_b64_e32 v[4:5], 0
	v_lshrrev_b32_e32 v3, 16, v2
	s_mov_b32 s14, exec_lo
	v_and_b32_e32 v1, 0xff, v3
	scratch_store_b64 off, v[4:5], s32 offset:332 ; 8-byte Folded Spill
	s_wait_xcnt 0x0
	v_mov_b64_e32 v[4:5], 0
	scratch_store_b64 off, v[4:5], s32 offset:492 ; 8-byte Folded Spill
	s_wait_xcnt 0x0
	v_cmpx_ne_u16_e32 0, v1
	s_cbranch_execz .LBB206_202
; %bb.195:                              ;   in Loop: Header=BB206_15 Depth=1
	v_mov_b64_e32 v[8:9], 0x80000000
	s_mov_b32 s15, exec_lo
	v_cmpx_ne_u16_e32 0x80, v1
	s_cbranch_execz .LBB206_201
; %bb.196:                              ;   in Loop: Header=BB206_15 Depth=1
	v_mov_b64_e32 v[8:9], 0x7f800001
	v_bfe_u32 v5, v2, 16, 7
	s_mov_b32 s16, exec_lo
	s_delay_alu instid0(VALU_DEP_1)
	v_cmpx_ne_u32_e32 0x7f, v5
	s_cbranch_execz .LBB206_200
; %bb.197:                              ;   in Loop: Header=BB206_15 Depth=1
	scratch_load_b64 v[8:9], off, s32 offset:192 th:TH_LOAD_LU ; 8-byte Folded Reload
	s_wait_loadcnt 0x0
	v_dual_lshrrev_b32 v4, 3, v5 :: v_dual_bitop2_b32 v8, 7, v3 bitop3:0x40
	s_mov_b32 s17, exec_lo
	s_wait_xcnt 0x0
	v_cmpx_gt_u32_e32 8, v5
; %bb.198:                              ;   in Loop: Header=BB206_15 Depth=1
	s_delay_alu instid0(VALU_DEP_2) | instskip(NEXT) | instid1(VALU_DEP_1)
	v_clz_i32_u32_e32 v1, v8
	v_min_u32_e32 v1, 32, v1
	s_delay_alu instid0(VALU_DEP_1) | instskip(NEXT) | instid1(VALU_DEP_1)
	v_subrev_nc_u32_e32 v4, 28, v1
	v_lshlrev_b64_e32 v[6:7], v4, v[8:9]
	s_delay_alu instid0(VALU_DEP_1)
	v_dual_sub_nc_u32 v4, 29, v1 :: v_dual_bitop2_b32 v8, 7, v6 bitop3:0x40
; %bb.199:                              ;   in Loop: Header=BB206_15 Depth=1
	s_or_b32 exec_lo, exec_lo, s17
	s_delay_alu instid0(VALU_DEP_1) | instskip(NEXT) | instid1(VALU_DEP_2)
	v_dual_lshlrev_b32 v1, 24, v3 :: v_dual_lshlrev_b32 v3, 20, v8
	v_lshl_add_u32 v4, v4, 23, 0x3c000000
	s_delay_alu instid0(VALU_DEP_2) | instskip(NEXT) | instid1(VALU_DEP_1)
	v_and_b32_e32 v1, 0x80000000, v1
	v_or3_b32 v8, v3, v1, v4
	v_mov_b32_e32 v1, v9
	scratch_store_b64 off, v[0:1], s32 offset:192 ; 8-byte Folded Spill
.LBB206_200:                            ;   in Loop: Header=BB206_15 Depth=1
	s_wait_xcnt 0x0
	s_or_b32 exec_lo, exec_lo, s16
.LBB206_201:                            ;   in Loop: Header=BB206_15 Depth=1
	s_delay_alu instid0(SALU_CYCLE_1)
	s_or_b32 exec_lo, exec_lo, s15
	scratch_store_b64 off, v[8:9], s32 offset:492 ; 8-byte Folded Spill
.LBB206_202:                            ;   in Loop: Header=BB206_15 Depth=1
	s_wait_xcnt 0x0
	s_or_b32 exec_lo, exec_lo, s14
	s_delay_alu instid0(SALU_CYCLE_1)
	s_mov_b32 s14, exec_lo
	v_cmpx_lt_u32_e32 0xffffff, v2
	s_cbranch_execz .LBB206_210
; %bb.203:                              ;   in Loop: Header=BB206_15 Depth=1
	v_mov_b64_e32 v[0:1], 0x8000000000000000
	v_lshrrev_b32_e32 v3, 24, v2
	s_mov_b32 s15, exec_lo
	scratch_store_b64 off, v[0:1], s32 offset:332 ; 8-byte Folded Spill
	s_wait_xcnt 0x0
	v_cmpx_ne_u32_e32 0x80, v3
	s_cbranch_execz .LBB206_209
; %bb.204:                              ;   in Loop: Header=BB206_15 Depth=1
	v_mov_b64_e32 v[0:1], 0x7f80000100000000
	v_bfe_u32 v4, v2, 24, 7
	s_mov_b32 s16, exec_lo
	scratch_store_b64 off, v[0:1], s32 offset:332 ; 8-byte Folded Spill
	s_wait_xcnt 0x0
	v_cmpx_ne_u32_e32 0x7f, v4
	s_cbranch_execz .LBB206_208
; %bb.205:                              ;   in Loop: Header=BB206_15 Depth=1
	scratch_load_b64 v[6:7], off, s32 offset:192 th:TH_LOAD_LU ; 8-byte Folded Reload
	s_wait_loadcnt 0x0
	v_dual_lshrrev_b32 v2, 3, v4 :: v_dual_bitop2_b32 v6, 7, v3 bitop3:0x40
	s_mov_b32 s17, exec_lo
	s_wait_xcnt 0x0
	v_cmpx_gt_u32_e32 8, v4
; %bb.206:                              ;   in Loop: Header=BB206_15 Depth=1
	s_delay_alu instid0(VALU_DEP_2) | instskip(NEXT) | instid1(VALU_DEP_1)
	v_clz_i32_u32_e32 v1, v6
	v_min_u32_e32 v1, 32, v1
	s_delay_alu instid0(VALU_DEP_1) | instskip(NEXT) | instid1(VALU_DEP_1)
	v_subrev_nc_u32_e32 v2, 28, v1
	v_lshlrev_b64_e32 v[4:5], v2, v[6:7]
	s_delay_alu instid0(VALU_DEP_1)
	v_dual_sub_nc_u32 v2, 29, v1 :: v_dual_bitop2_b32 v6, 7, v4 bitop3:0x40
; %bb.207:                              ;   in Loop: Header=BB206_15 Depth=1
	s_or_b32 exec_lo, exec_lo, s17
	s_delay_alu instid0(VALU_DEP_1) | instskip(NEXT) | instid1(VALU_DEP_2)
	v_dual_lshlrev_b32 v1, 24, v3 :: v_dual_lshlrev_b32 v3, 20, v6
	v_lshl_add_u32 v2, v2, 23, 0x3c000000
	s_delay_alu instid0(VALU_DEP_2) | instskip(NEXT) | instid1(VALU_DEP_1)
	v_and_b32_e32 v1, 0x80000000, v1
	v_or3_b32 v3, v3, v1, v2
	v_dual_mov_b32 v1, v7 :: v_dual_mov_b32 v2, v7
	s_clause 0x1
	scratch_store_b64 off, v[0:1], s32 offset:192
	scratch_store_b64 off, v[2:3], s32 offset:332
.LBB206_208:                            ;   in Loop: Header=BB206_15 Depth=1
	s_wait_xcnt 0x0
	s_or_b32 exec_lo, exec_lo, s16
.LBB206_209:                            ;   in Loop: Header=BB206_15 Depth=1
	s_delay_alu instid0(SALU_CYCLE_1)
	s_or_b32 exec_lo, exec_lo, s15
.LBB206_210:                            ;   in Loop: Header=BB206_15 Depth=1
	s_delay_alu instid0(SALU_CYCLE_1)
	s_or_b32 exec_lo, exec_lo, s14
	flat_load_b32 v2, v[18:19] offset:520
	v_mov_b64_e32 v[4:5], 0
	s_mov_b32 s14, exec_lo
	scratch_store_b64 off, v[4:5], s32 offset:340 ; 8-byte Folded Spill
	s_wait_xcnt 0x0
	v_mov_b64_e32 v[4:5], 0
	scratch_store_b64 off, v[4:5], s32 offset:500 ; 8-byte Folded Spill
	s_wait_loadcnt_dscnt 0x0
	v_and_b32_e32 v1, 0xff, v2
	s_wait_xcnt 0x0
	s_delay_alu instid0(VALU_DEP_1)
	v_cmpx_ne_u16_e32 0, v1
	s_cbranch_execz .LBB206_218
; %bb.211:                              ;   in Loop: Header=BB206_15 Depth=1
	v_mov_b64_e32 v[6:7], 0x80000000
	s_mov_b32 s15, exec_lo
	v_cmpx_ne_u16_e32 0x80, v1
	s_cbranch_execz .LBB206_217
; %bb.212:                              ;   in Loop: Header=BB206_15 Depth=1
	v_mov_b64_e32 v[6:7], 0x7f800001
	v_and_b32_e32 v4, 0x7f, v2
	s_mov_b32 s16, exec_lo
	s_delay_alu instid0(VALU_DEP_1)
	v_cmpx_ne_u32_e32 0x7f, v4
	s_cbranch_execz .LBB206_216
; %bb.213:                              ;   in Loop: Header=BB206_15 Depth=1
	scratch_load_b64 v[6:7], off, s32 offset:192 th:TH_LOAD_LU ; 8-byte Folded Reload
	s_wait_loadcnt 0x0
	v_dual_lshrrev_b32 v3, 3, v4 :: v_dual_bitop2_b32 v6, 7, v2 bitop3:0x40
	s_mov_b32 s17, exec_lo
	s_wait_xcnt 0x0
	v_cmpx_gt_u32_e32 8, v4
; %bb.214:                              ;   in Loop: Header=BB206_15 Depth=1
	s_delay_alu instid0(VALU_DEP_2) | instskip(NEXT) | instid1(VALU_DEP_1)
	v_clz_i32_u32_e32 v1, v6
	v_min_u32_e32 v1, 32, v1
	s_delay_alu instid0(VALU_DEP_1) | instskip(NEXT) | instid1(VALU_DEP_1)
	v_subrev_nc_u32_e32 v3, 28, v1
	v_lshlrev_b64_e32 v[4:5], v3, v[6:7]
	s_delay_alu instid0(VALU_DEP_1)
	v_dual_sub_nc_u32 v3, 29, v1 :: v_dual_bitop2_b32 v6, 7, v4 bitop3:0x40
; %bb.215:                              ;   in Loop: Header=BB206_15 Depth=1
	s_or_b32 exec_lo, exec_lo, s17
	v_lshlrev_b32_e32 v1, 24, v2
	s_delay_alu instid0(VALU_DEP_2) | instskip(NEXT) | instid1(VALU_DEP_3)
	v_lshlrev_b32_e32 v4, 20, v6
	v_lshl_add_u32 v3, v3, 23, 0x3c000000
	s_delay_alu instid0(VALU_DEP_3) | instskip(NEXT) | instid1(VALU_DEP_1)
	v_and_b32_e32 v1, 0x80000000, v1
	v_or3_b32 v6, v4, v1, v3
	v_mov_b32_e32 v1, v7
	scratch_store_b64 off, v[0:1], s32 offset:192 ; 8-byte Folded Spill
.LBB206_216:                            ;   in Loop: Header=BB206_15 Depth=1
	s_wait_xcnt 0x0
	s_or_b32 exec_lo, exec_lo, s16
.LBB206_217:                            ;   in Loop: Header=BB206_15 Depth=1
	s_delay_alu instid0(SALU_CYCLE_1)
	s_or_b32 exec_lo, exec_lo, s15
	scratch_store_b64 off, v[6:7], s32 offset:500 ; 8-byte Folded Spill
.LBB206_218:                            ;   in Loop: Header=BB206_15 Depth=1
	s_wait_xcnt 0x0
	s_or_b32 exec_lo, exec_lo, s14
	v_lshrrev_b16 v3, 8, v2
	s_mov_b32 s14, exec_lo
	s_delay_alu instid0(VALU_DEP_1)
	v_cmpx_ne_u16_e32 0, v3
	s_cbranch_execz .LBB206_226
; %bb.219:                              ;   in Loop: Header=BB206_15 Depth=1
	v_mov_b64_e32 v[0:1], 0x8000000000000000
	s_mov_b32 s15, exec_lo
	scratch_store_b64 off, v[0:1], s32 offset:340 ; 8-byte Folded Spill
	s_wait_xcnt 0x0
	v_cmpx_ne_u16_e32 0x80, v3
	s_cbranch_execz .LBB206_225
; %bb.220:                              ;   in Loop: Header=BB206_15 Depth=1
	v_and_b32_e32 v1, 0xffff, v3
	v_mov_b64_e32 v[6:7], 0x7f80000100000000
	s_mov_b32 s16, exec_lo
	s_delay_alu instid0(VALU_DEP_2)
	v_and_b32_e32 v4, 0x7f, v1
	scratch_store_b64 off, v[6:7], s32 offset:340 ; 8-byte Folded Spill
	s_wait_xcnt 0x0
	v_cmpx_ne_u32_e32 0x7f, v4
	s_cbranch_execz .LBB206_224
; %bb.221:                              ;   in Loop: Header=BB206_15 Depth=1
	scratch_load_b64 v[6:7], off, s32 offset:192 th:TH_LOAD_LU ; 8-byte Folded Reload
	s_wait_loadcnt 0x0
	v_dual_lshrrev_b32 v3, 3, v4 :: v_dual_bitop2_b32 v6, 7, v1 bitop3:0x40
	s_mov_b32 s17, exec_lo
	s_wait_xcnt 0x0
	v_cmpx_gt_u32_e32 8, v4
; %bb.222:                              ;   in Loop: Header=BB206_15 Depth=1
	s_delay_alu instid0(VALU_DEP_2) | instskip(NEXT) | instid1(VALU_DEP_1)
	v_clz_i32_u32_e32 v1, v6
	v_min_u32_e32 v1, 32, v1
	s_delay_alu instid0(VALU_DEP_1) | instskip(NEXT) | instid1(VALU_DEP_1)
	v_subrev_nc_u32_e32 v3, 28, v1
	v_lshlrev_b64_e32 v[4:5], v3, v[6:7]
	s_delay_alu instid0(VALU_DEP_1)
	v_dual_sub_nc_u32 v3, 29, v1 :: v_dual_bitop2_b32 v6, 7, v4 bitop3:0x40
; %bb.223:                              ;   in Loop: Header=BB206_15 Depth=1
	s_or_b32 exec_lo, exec_lo, s17
	v_lshlrev_b32_e32 v1, 16, v2
	s_delay_alu instid0(VALU_DEP_2) | instskip(NEXT) | instid1(VALU_DEP_3)
	v_lshlrev_b32_e32 v4, 20, v6
	v_lshl_add_u32 v3, v3, 23, 0x3c000000
	s_delay_alu instid0(VALU_DEP_3) | instskip(NEXT) | instid1(VALU_DEP_1)
	v_and_b32_e32 v1, 0x80000000, v1
	v_or3_b32 v5, v4, v1, v3
	v_dual_mov_b32 v1, v7 :: v_dual_mov_b32 v4, v7
	s_clause 0x1
	scratch_store_b64 off, v[0:1], s32 offset:192
	scratch_store_b64 off, v[4:5], s32 offset:340
.LBB206_224:                            ;   in Loop: Header=BB206_15 Depth=1
	s_wait_xcnt 0x0
	s_or_b32 exec_lo, exec_lo, s16
.LBB206_225:                            ;   in Loop: Header=BB206_15 Depth=1
	s_delay_alu instid0(SALU_CYCLE_1)
	s_or_b32 exec_lo, exec_lo, s15
.LBB206_226:                            ;   in Loop: Header=BB206_15 Depth=1
	s_delay_alu instid0(SALU_CYCLE_1) | instskip(SKIP_3) | instid1(VALU_DEP_1)
	s_or_b32 exec_lo, exec_lo, s14
	v_mov_b64_e32 v[4:5], 0
	v_lshrrev_b32_e32 v3, 16, v2
	s_mov_b32 s14, exec_lo
	v_and_b32_e32 v1, 0xff, v3
	scratch_store_b64 off, v[4:5], s32 offset:348 ; 8-byte Folded Spill
	s_wait_xcnt 0x0
	v_mov_b64_e32 v[4:5], 0
	scratch_store_b64 off, v[4:5], s32 offset:508 ; 8-byte Folded Spill
	s_wait_xcnt 0x0
	v_cmpx_ne_u16_e32 0, v1
	s_cbranch_execz .LBB206_234
; %bb.227:                              ;   in Loop: Header=BB206_15 Depth=1
	v_mov_b64_e32 v[8:9], 0x80000000
	s_mov_b32 s15, exec_lo
	v_cmpx_ne_u16_e32 0x80, v1
	s_cbranch_execz .LBB206_233
; %bb.228:                              ;   in Loop: Header=BB206_15 Depth=1
	v_mov_b64_e32 v[8:9], 0x7f800001
	v_bfe_u32 v5, v2, 16, 7
	s_mov_b32 s16, exec_lo
	s_delay_alu instid0(VALU_DEP_1)
	v_cmpx_ne_u32_e32 0x7f, v5
	s_cbranch_execz .LBB206_232
; %bb.229:                              ;   in Loop: Header=BB206_15 Depth=1
	scratch_load_b64 v[8:9], off, s32 offset:192 th:TH_LOAD_LU ; 8-byte Folded Reload
	s_wait_loadcnt 0x0
	v_dual_lshrrev_b32 v4, 3, v5 :: v_dual_bitop2_b32 v8, 7, v3 bitop3:0x40
	s_mov_b32 s17, exec_lo
	s_wait_xcnt 0x0
	v_cmpx_gt_u32_e32 8, v5
; %bb.230:                              ;   in Loop: Header=BB206_15 Depth=1
	s_delay_alu instid0(VALU_DEP_2) | instskip(NEXT) | instid1(VALU_DEP_1)
	v_clz_i32_u32_e32 v1, v8
	v_min_u32_e32 v1, 32, v1
	s_delay_alu instid0(VALU_DEP_1) | instskip(NEXT) | instid1(VALU_DEP_1)
	v_subrev_nc_u32_e32 v4, 28, v1
	v_lshlrev_b64_e32 v[6:7], v4, v[8:9]
	s_delay_alu instid0(VALU_DEP_1)
	v_dual_sub_nc_u32 v4, 29, v1 :: v_dual_bitop2_b32 v8, 7, v6 bitop3:0x40
; %bb.231:                              ;   in Loop: Header=BB206_15 Depth=1
	s_or_b32 exec_lo, exec_lo, s17
	s_delay_alu instid0(VALU_DEP_1) | instskip(NEXT) | instid1(VALU_DEP_2)
	v_dual_lshlrev_b32 v1, 24, v3 :: v_dual_lshlrev_b32 v3, 20, v8
	v_lshl_add_u32 v4, v4, 23, 0x3c000000
	s_delay_alu instid0(VALU_DEP_2) | instskip(NEXT) | instid1(VALU_DEP_1)
	v_and_b32_e32 v1, 0x80000000, v1
	v_or3_b32 v8, v3, v1, v4
	v_mov_b32_e32 v1, v9
	scratch_store_b64 off, v[0:1], s32 offset:192 ; 8-byte Folded Spill
.LBB206_232:                            ;   in Loop: Header=BB206_15 Depth=1
	s_wait_xcnt 0x0
	s_or_b32 exec_lo, exec_lo, s16
.LBB206_233:                            ;   in Loop: Header=BB206_15 Depth=1
	s_delay_alu instid0(SALU_CYCLE_1)
	s_or_b32 exec_lo, exec_lo, s15
	scratch_store_b64 off, v[8:9], s32 offset:508 ; 8-byte Folded Spill
.LBB206_234:                            ;   in Loop: Header=BB206_15 Depth=1
	s_wait_xcnt 0x0
	s_or_b32 exec_lo, exec_lo, s14
	s_delay_alu instid0(SALU_CYCLE_1)
	s_mov_b32 s14, exec_lo
	v_cmpx_lt_u32_e32 0xffffff, v2
	s_cbranch_execz .LBB206_242
; %bb.235:                              ;   in Loop: Header=BB206_15 Depth=1
	v_mov_b64_e32 v[0:1], 0x8000000000000000
	v_lshrrev_b32_e32 v3, 24, v2
	s_mov_b32 s15, exec_lo
	scratch_store_b64 off, v[0:1], s32 offset:348 ; 8-byte Folded Spill
	s_wait_xcnt 0x0
	v_cmpx_ne_u32_e32 0x80, v3
	s_cbranch_execz .LBB206_241
; %bb.236:                              ;   in Loop: Header=BB206_15 Depth=1
	v_mov_b64_e32 v[0:1], 0x7f80000100000000
	v_bfe_u32 v4, v2, 24, 7
	s_mov_b32 s16, exec_lo
	scratch_store_b64 off, v[0:1], s32 offset:348 ; 8-byte Folded Spill
	s_wait_xcnt 0x0
	v_cmpx_ne_u32_e32 0x7f, v4
	s_cbranch_execz .LBB206_240
; %bb.237:                              ;   in Loop: Header=BB206_15 Depth=1
	scratch_load_b64 v[6:7], off, s32 offset:192 th:TH_LOAD_LU ; 8-byte Folded Reload
	s_wait_loadcnt 0x0
	v_dual_lshrrev_b32 v2, 3, v4 :: v_dual_bitop2_b32 v6, 7, v3 bitop3:0x40
	s_mov_b32 s17, exec_lo
	s_wait_xcnt 0x0
	v_cmpx_gt_u32_e32 8, v4
; %bb.238:                              ;   in Loop: Header=BB206_15 Depth=1
	s_delay_alu instid0(VALU_DEP_2) | instskip(NEXT) | instid1(VALU_DEP_1)
	v_clz_i32_u32_e32 v1, v6
	v_min_u32_e32 v1, 32, v1
	s_delay_alu instid0(VALU_DEP_1) | instskip(NEXT) | instid1(VALU_DEP_1)
	v_subrev_nc_u32_e32 v2, 28, v1
	v_lshlrev_b64_e32 v[4:5], v2, v[6:7]
	s_delay_alu instid0(VALU_DEP_1)
	v_dual_sub_nc_u32 v2, 29, v1 :: v_dual_bitop2_b32 v6, 7, v4 bitop3:0x40
; %bb.239:                              ;   in Loop: Header=BB206_15 Depth=1
	s_or_b32 exec_lo, exec_lo, s17
	s_delay_alu instid0(VALU_DEP_1) | instskip(NEXT) | instid1(VALU_DEP_2)
	v_dual_lshlrev_b32 v1, 24, v3 :: v_dual_lshlrev_b32 v3, 20, v6
	v_lshl_add_u32 v2, v2, 23, 0x3c000000
	s_delay_alu instid0(VALU_DEP_2) | instskip(NEXT) | instid1(VALU_DEP_1)
	v_and_b32_e32 v1, 0x80000000, v1
	v_or3_b32 v3, v3, v1, v2
	v_dual_mov_b32 v1, v7 :: v_dual_mov_b32 v2, v7
	s_clause 0x1
	scratch_store_b64 off, v[0:1], s32 offset:192
	scratch_store_b64 off, v[2:3], s32 offset:348
.LBB206_240:                            ;   in Loop: Header=BB206_15 Depth=1
	s_wait_xcnt 0x0
	s_or_b32 exec_lo, exec_lo, s16
.LBB206_241:                            ;   in Loop: Header=BB206_15 Depth=1
	s_delay_alu instid0(SALU_CYCLE_1)
	s_or_b32 exec_lo, exec_lo, s15
.LBB206_242:                            ;   in Loop: Header=BB206_15 Depth=1
	s_delay_alu instid0(SALU_CYCLE_1)
	s_or_b32 exec_lo, exec_lo, s14
	flat_load_b32 v2, v[18:19] offset:524
	v_mov_b64_e32 v[4:5], 0
	s_mov_b32 s14, exec_lo
	scratch_store_b64 off, v[4:5], s32 offset:356 ; 8-byte Folded Spill
	s_wait_xcnt 0x0
	v_mov_b64_e32 v[4:5], 0
	scratch_store_b64 off, v[4:5], s32 offset:516 ; 8-byte Folded Spill
	s_wait_loadcnt_dscnt 0x0
	v_and_b32_e32 v1, 0xff, v2
	s_wait_xcnt 0x0
	s_delay_alu instid0(VALU_DEP_1)
	v_cmpx_ne_u16_e32 0, v1
	s_cbranch_execz .LBB206_250
; %bb.243:                              ;   in Loop: Header=BB206_15 Depth=1
	v_mov_b64_e32 v[6:7], 0x80000000
	s_mov_b32 s15, exec_lo
	v_cmpx_ne_u16_e32 0x80, v1
	s_cbranch_execz .LBB206_249
; %bb.244:                              ;   in Loop: Header=BB206_15 Depth=1
	v_mov_b64_e32 v[6:7], 0x7f800001
	v_and_b32_e32 v4, 0x7f, v2
	s_mov_b32 s16, exec_lo
	s_delay_alu instid0(VALU_DEP_1)
	v_cmpx_ne_u32_e32 0x7f, v4
	s_cbranch_execz .LBB206_248
; %bb.245:                              ;   in Loop: Header=BB206_15 Depth=1
	scratch_load_b64 v[6:7], off, s32 offset:192 th:TH_LOAD_LU ; 8-byte Folded Reload
	s_wait_loadcnt 0x0
	v_dual_lshrrev_b32 v3, 3, v4 :: v_dual_bitop2_b32 v6, 7, v2 bitop3:0x40
	s_mov_b32 s17, exec_lo
	s_wait_xcnt 0x0
	v_cmpx_gt_u32_e32 8, v4
; %bb.246:                              ;   in Loop: Header=BB206_15 Depth=1
	s_delay_alu instid0(VALU_DEP_2) | instskip(NEXT) | instid1(VALU_DEP_1)
	v_clz_i32_u32_e32 v1, v6
	v_min_u32_e32 v1, 32, v1
	s_delay_alu instid0(VALU_DEP_1) | instskip(NEXT) | instid1(VALU_DEP_1)
	v_subrev_nc_u32_e32 v3, 28, v1
	v_lshlrev_b64_e32 v[4:5], v3, v[6:7]
	s_delay_alu instid0(VALU_DEP_1)
	v_dual_sub_nc_u32 v3, 29, v1 :: v_dual_bitop2_b32 v6, 7, v4 bitop3:0x40
; %bb.247:                              ;   in Loop: Header=BB206_15 Depth=1
	s_or_b32 exec_lo, exec_lo, s17
	v_lshlrev_b32_e32 v1, 24, v2
	s_delay_alu instid0(VALU_DEP_2) | instskip(NEXT) | instid1(VALU_DEP_3)
	v_lshlrev_b32_e32 v4, 20, v6
	v_lshl_add_u32 v3, v3, 23, 0x3c000000
	s_delay_alu instid0(VALU_DEP_3) | instskip(NEXT) | instid1(VALU_DEP_1)
	v_and_b32_e32 v1, 0x80000000, v1
	v_or3_b32 v6, v4, v1, v3
	v_mov_b32_e32 v1, v7
	scratch_store_b64 off, v[0:1], s32 offset:192 ; 8-byte Folded Spill
.LBB206_248:                            ;   in Loop: Header=BB206_15 Depth=1
	s_wait_xcnt 0x0
	s_or_b32 exec_lo, exec_lo, s16
.LBB206_249:                            ;   in Loop: Header=BB206_15 Depth=1
	s_delay_alu instid0(SALU_CYCLE_1)
	s_or_b32 exec_lo, exec_lo, s15
	scratch_store_b64 off, v[6:7], s32 offset:516 ; 8-byte Folded Spill
.LBB206_250:                            ;   in Loop: Header=BB206_15 Depth=1
	s_wait_xcnt 0x0
	s_or_b32 exec_lo, exec_lo, s14
	v_lshrrev_b16 v3, 8, v2
	s_mov_b32 s14, exec_lo
	s_delay_alu instid0(VALU_DEP_1)
	v_cmpx_ne_u16_e32 0, v3
	s_cbranch_execz .LBB206_258
; %bb.251:                              ;   in Loop: Header=BB206_15 Depth=1
	v_mov_b64_e32 v[0:1], 0x8000000000000000
	s_mov_b32 s15, exec_lo
	scratch_store_b64 off, v[0:1], s32 offset:356 ; 8-byte Folded Spill
	s_wait_xcnt 0x0
	v_cmpx_ne_u16_e32 0x80, v3
	s_cbranch_execz .LBB206_257
; %bb.252:                              ;   in Loop: Header=BB206_15 Depth=1
	v_and_b32_e32 v1, 0xffff, v3
	v_mov_b64_e32 v[6:7], 0x7f80000100000000
	s_mov_b32 s16, exec_lo
	s_delay_alu instid0(VALU_DEP_2)
	v_and_b32_e32 v4, 0x7f, v1
	scratch_store_b64 off, v[6:7], s32 offset:356 ; 8-byte Folded Spill
	s_wait_xcnt 0x0
	v_cmpx_ne_u32_e32 0x7f, v4
	s_cbranch_execz .LBB206_256
; %bb.253:                              ;   in Loop: Header=BB206_15 Depth=1
	scratch_load_b64 v[6:7], off, s32 offset:192 th:TH_LOAD_LU ; 8-byte Folded Reload
	s_wait_loadcnt 0x0
	v_dual_lshrrev_b32 v3, 3, v4 :: v_dual_bitop2_b32 v6, 7, v1 bitop3:0x40
	s_mov_b32 s17, exec_lo
	s_wait_xcnt 0x0
	v_cmpx_gt_u32_e32 8, v4
; %bb.254:                              ;   in Loop: Header=BB206_15 Depth=1
	s_delay_alu instid0(VALU_DEP_2) | instskip(NEXT) | instid1(VALU_DEP_1)
	v_clz_i32_u32_e32 v1, v6
	v_min_u32_e32 v1, 32, v1
	s_delay_alu instid0(VALU_DEP_1) | instskip(NEXT) | instid1(VALU_DEP_1)
	v_subrev_nc_u32_e32 v3, 28, v1
	v_lshlrev_b64_e32 v[4:5], v3, v[6:7]
	s_delay_alu instid0(VALU_DEP_1)
	v_dual_sub_nc_u32 v3, 29, v1 :: v_dual_bitop2_b32 v6, 7, v4 bitop3:0x40
; %bb.255:                              ;   in Loop: Header=BB206_15 Depth=1
	s_or_b32 exec_lo, exec_lo, s17
	v_lshlrev_b32_e32 v1, 16, v2
	s_delay_alu instid0(VALU_DEP_2) | instskip(NEXT) | instid1(VALU_DEP_3)
	v_lshlrev_b32_e32 v4, 20, v6
	v_lshl_add_u32 v3, v3, 23, 0x3c000000
	s_delay_alu instid0(VALU_DEP_3) | instskip(NEXT) | instid1(VALU_DEP_1)
	v_and_b32_e32 v1, 0x80000000, v1
	v_or3_b32 v5, v4, v1, v3
	v_dual_mov_b32 v1, v7 :: v_dual_mov_b32 v4, v7
	s_clause 0x1
	scratch_store_b64 off, v[0:1], s32 offset:192
	scratch_store_b64 off, v[4:5], s32 offset:356
.LBB206_256:                            ;   in Loop: Header=BB206_15 Depth=1
	s_wait_xcnt 0x0
	s_or_b32 exec_lo, exec_lo, s16
.LBB206_257:                            ;   in Loop: Header=BB206_15 Depth=1
	s_delay_alu instid0(SALU_CYCLE_1)
	s_or_b32 exec_lo, exec_lo, s15
.LBB206_258:                            ;   in Loop: Header=BB206_15 Depth=1
	s_delay_alu instid0(SALU_CYCLE_1) | instskip(SKIP_3) | instid1(VALU_DEP_1)
	s_or_b32 exec_lo, exec_lo, s14
	v_mov_b64_e32 v[4:5], 0
	v_lshrrev_b32_e32 v3, 16, v2
	s_mov_b32 s14, exec_lo
	v_and_b32_e32 v1, 0xff, v3
	scratch_store_b64 off, v[4:5], s32 offset:364 ; 8-byte Folded Spill
	s_wait_xcnt 0x0
	v_mov_b64_e32 v[4:5], 0
	scratch_store_b64 off, v[4:5], s32 offset:524 ; 8-byte Folded Spill
	s_wait_xcnt 0x0
	v_cmpx_ne_u16_e32 0, v1
	s_cbranch_execz .LBB206_266
; %bb.259:                              ;   in Loop: Header=BB206_15 Depth=1
	v_mov_b64_e32 v[8:9], 0x80000000
	s_mov_b32 s15, exec_lo
	v_cmpx_ne_u16_e32 0x80, v1
	s_cbranch_execz .LBB206_265
; %bb.260:                              ;   in Loop: Header=BB206_15 Depth=1
	v_mov_b64_e32 v[8:9], 0x7f800001
	v_bfe_u32 v5, v2, 16, 7
	s_mov_b32 s16, exec_lo
	s_delay_alu instid0(VALU_DEP_1)
	v_cmpx_ne_u32_e32 0x7f, v5
	s_cbranch_execz .LBB206_264
; %bb.261:                              ;   in Loop: Header=BB206_15 Depth=1
	scratch_load_b64 v[8:9], off, s32 offset:192 th:TH_LOAD_LU ; 8-byte Folded Reload
	s_wait_loadcnt 0x0
	v_dual_lshrrev_b32 v4, 3, v5 :: v_dual_bitop2_b32 v8, 7, v3 bitop3:0x40
	s_mov_b32 s17, exec_lo
	s_wait_xcnt 0x0
	v_cmpx_gt_u32_e32 8, v5
; %bb.262:                              ;   in Loop: Header=BB206_15 Depth=1
	s_delay_alu instid0(VALU_DEP_2) | instskip(NEXT) | instid1(VALU_DEP_1)
	v_clz_i32_u32_e32 v1, v8
	v_min_u32_e32 v1, 32, v1
	s_delay_alu instid0(VALU_DEP_1) | instskip(NEXT) | instid1(VALU_DEP_1)
	v_subrev_nc_u32_e32 v4, 28, v1
	v_lshlrev_b64_e32 v[6:7], v4, v[8:9]
	s_delay_alu instid0(VALU_DEP_1)
	v_dual_sub_nc_u32 v4, 29, v1 :: v_dual_bitop2_b32 v8, 7, v6 bitop3:0x40
; %bb.263:                              ;   in Loop: Header=BB206_15 Depth=1
	s_or_b32 exec_lo, exec_lo, s17
	s_delay_alu instid0(VALU_DEP_1) | instskip(NEXT) | instid1(VALU_DEP_2)
	v_dual_lshlrev_b32 v1, 24, v3 :: v_dual_lshlrev_b32 v3, 20, v8
	v_lshl_add_u32 v4, v4, 23, 0x3c000000
	s_delay_alu instid0(VALU_DEP_2) | instskip(NEXT) | instid1(VALU_DEP_1)
	v_and_b32_e32 v1, 0x80000000, v1
	v_or3_b32 v8, v3, v1, v4
	v_mov_b32_e32 v1, v9
	scratch_store_b64 off, v[0:1], s32 offset:192 ; 8-byte Folded Spill
.LBB206_264:                            ;   in Loop: Header=BB206_15 Depth=1
	s_wait_xcnt 0x0
	s_or_b32 exec_lo, exec_lo, s16
.LBB206_265:                            ;   in Loop: Header=BB206_15 Depth=1
	s_delay_alu instid0(SALU_CYCLE_1)
	s_or_b32 exec_lo, exec_lo, s15
	scratch_store_b64 off, v[8:9], s32 offset:524 ; 8-byte Folded Spill
.LBB206_266:                            ;   in Loop: Header=BB206_15 Depth=1
	s_wait_xcnt 0x0
	s_or_b32 exec_lo, exec_lo, s14
	s_delay_alu instid0(SALU_CYCLE_1)
	s_mov_b32 s14, exec_lo
	v_cmpx_lt_u32_e32 0xffffff, v2
	s_cbranch_execz .LBB206_274
; %bb.267:                              ;   in Loop: Header=BB206_15 Depth=1
	v_mov_b64_e32 v[0:1], 0x8000000000000000
	v_lshrrev_b32_e32 v3, 24, v2
	s_mov_b32 s15, exec_lo
	scratch_store_b64 off, v[0:1], s32 offset:364 ; 8-byte Folded Spill
	s_wait_xcnt 0x0
	v_cmpx_ne_u32_e32 0x80, v3
	s_cbranch_execz .LBB206_273
; %bb.268:                              ;   in Loop: Header=BB206_15 Depth=1
	v_mov_b64_e32 v[0:1], 0x7f80000100000000
	v_bfe_u32 v4, v2, 24, 7
	s_mov_b32 s16, exec_lo
	scratch_store_b64 off, v[0:1], s32 offset:364 ; 8-byte Folded Spill
	s_wait_xcnt 0x0
	v_cmpx_ne_u32_e32 0x7f, v4
	s_cbranch_execz .LBB206_272
; %bb.269:                              ;   in Loop: Header=BB206_15 Depth=1
	scratch_load_b64 v[6:7], off, s32 offset:192 th:TH_LOAD_LU ; 8-byte Folded Reload
	s_wait_loadcnt 0x0
	v_dual_lshrrev_b32 v2, 3, v4 :: v_dual_bitop2_b32 v6, 7, v3 bitop3:0x40
	s_mov_b32 s17, exec_lo
	s_wait_xcnt 0x0
	v_cmpx_gt_u32_e32 8, v4
; %bb.270:                              ;   in Loop: Header=BB206_15 Depth=1
	s_delay_alu instid0(VALU_DEP_2) | instskip(NEXT) | instid1(VALU_DEP_1)
	v_clz_i32_u32_e32 v1, v6
	v_min_u32_e32 v1, 32, v1
	s_delay_alu instid0(VALU_DEP_1) | instskip(NEXT) | instid1(VALU_DEP_1)
	v_subrev_nc_u32_e32 v2, 28, v1
	v_lshlrev_b64_e32 v[4:5], v2, v[6:7]
	s_delay_alu instid0(VALU_DEP_1)
	v_dual_sub_nc_u32 v2, 29, v1 :: v_dual_bitop2_b32 v6, 7, v4 bitop3:0x40
; %bb.271:                              ;   in Loop: Header=BB206_15 Depth=1
	s_or_b32 exec_lo, exec_lo, s17
	s_delay_alu instid0(VALU_DEP_1) | instskip(NEXT) | instid1(VALU_DEP_2)
	v_dual_lshlrev_b32 v1, 24, v3 :: v_dual_lshlrev_b32 v3, 20, v6
	v_lshl_add_u32 v2, v2, 23, 0x3c000000
	s_delay_alu instid0(VALU_DEP_2) | instskip(NEXT) | instid1(VALU_DEP_1)
	v_and_b32_e32 v1, 0x80000000, v1
	v_or3_b32 v3, v3, v1, v2
	v_dual_mov_b32 v1, v7 :: v_dual_mov_b32 v2, v7
	s_clause 0x1
	scratch_store_b64 off, v[0:1], s32 offset:192
	scratch_store_b64 off, v[2:3], s32 offset:364
.LBB206_272:                            ;   in Loop: Header=BB206_15 Depth=1
	s_wait_xcnt 0x0
	s_or_b32 exec_lo, exec_lo, s16
.LBB206_273:                            ;   in Loop: Header=BB206_15 Depth=1
	s_delay_alu instid0(SALU_CYCLE_1)
	s_or_b32 exec_lo, exec_lo, s15
.LBB206_274:                            ;   in Loop: Header=BB206_15 Depth=1
	s_delay_alu instid0(SALU_CYCLE_1)
	s_or_b32 exec_lo, exec_lo, s14
	flat_load_b32 v2, v[18:19] offset:1024
	v_mov_b64_e32 v[4:5], 0
	s_mov_b32 s14, exec_lo
	scratch_store_b64 off, v[4:5], s32 offset:372 ; 8-byte Folded Spill
	s_wait_xcnt 0x0
	v_mov_b64_e32 v[4:5], 0
	scratch_store_b64 off, v[4:5], s32 offset:532 ; 8-byte Folded Spill
	s_wait_loadcnt_dscnt 0x0
	v_and_b32_e32 v1, 0xff, v2
	s_wait_xcnt 0x0
	s_delay_alu instid0(VALU_DEP_1)
	v_cmpx_ne_u16_e32 0, v1
	s_cbranch_execz .LBB206_282
; %bb.275:                              ;   in Loop: Header=BB206_15 Depth=1
	v_mov_b64_e32 v[6:7], 0x80000000
	s_mov_b32 s15, exec_lo
	v_cmpx_ne_u16_e32 0x80, v1
	s_cbranch_execz .LBB206_281
; %bb.276:                              ;   in Loop: Header=BB206_15 Depth=1
	v_mov_b64_e32 v[6:7], 0x7f800001
	v_and_b32_e32 v4, 0x7f, v2
	s_mov_b32 s16, exec_lo
	s_delay_alu instid0(VALU_DEP_1)
	v_cmpx_ne_u32_e32 0x7f, v4
	s_cbranch_execz .LBB206_280
; %bb.277:                              ;   in Loop: Header=BB206_15 Depth=1
	scratch_load_b64 v[6:7], off, s32 offset:192 th:TH_LOAD_LU ; 8-byte Folded Reload
	s_wait_loadcnt 0x0
	v_dual_lshrrev_b32 v3, 3, v4 :: v_dual_bitop2_b32 v6, 7, v2 bitop3:0x40
	s_mov_b32 s17, exec_lo
	s_wait_xcnt 0x0
	v_cmpx_gt_u32_e32 8, v4
; %bb.278:                              ;   in Loop: Header=BB206_15 Depth=1
	s_delay_alu instid0(VALU_DEP_2) | instskip(NEXT) | instid1(VALU_DEP_1)
	v_clz_i32_u32_e32 v1, v6
	v_min_u32_e32 v1, 32, v1
	s_delay_alu instid0(VALU_DEP_1) | instskip(NEXT) | instid1(VALU_DEP_1)
	v_subrev_nc_u32_e32 v3, 28, v1
	v_lshlrev_b64_e32 v[4:5], v3, v[6:7]
	s_delay_alu instid0(VALU_DEP_1)
	v_dual_sub_nc_u32 v3, 29, v1 :: v_dual_bitop2_b32 v6, 7, v4 bitop3:0x40
; %bb.279:                              ;   in Loop: Header=BB206_15 Depth=1
	s_or_b32 exec_lo, exec_lo, s17
	v_lshlrev_b32_e32 v1, 24, v2
	s_delay_alu instid0(VALU_DEP_2) | instskip(NEXT) | instid1(VALU_DEP_3)
	v_lshlrev_b32_e32 v4, 20, v6
	v_lshl_add_u32 v3, v3, 23, 0x3c000000
	s_delay_alu instid0(VALU_DEP_3) | instskip(NEXT) | instid1(VALU_DEP_1)
	v_and_b32_e32 v1, 0x80000000, v1
	v_or3_b32 v6, v4, v1, v3
	v_mov_b32_e32 v1, v7
	scratch_store_b64 off, v[0:1], s32 offset:192 ; 8-byte Folded Spill
.LBB206_280:                            ;   in Loop: Header=BB206_15 Depth=1
	s_wait_xcnt 0x0
	s_or_b32 exec_lo, exec_lo, s16
.LBB206_281:                            ;   in Loop: Header=BB206_15 Depth=1
	s_delay_alu instid0(SALU_CYCLE_1)
	s_or_b32 exec_lo, exec_lo, s15
	scratch_store_b64 off, v[6:7], s32 offset:532 ; 8-byte Folded Spill
.LBB206_282:                            ;   in Loop: Header=BB206_15 Depth=1
	s_wait_xcnt 0x0
	s_or_b32 exec_lo, exec_lo, s14
	v_lshrrev_b16 v3, 8, v2
	s_mov_b32 s14, exec_lo
	s_delay_alu instid0(VALU_DEP_1)
	v_cmpx_ne_u16_e32 0, v3
	s_cbranch_execz .LBB206_290
; %bb.283:                              ;   in Loop: Header=BB206_15 Depth=1
	v_mov_b64_e32 v[0:1], 0x8000000000000000
	s_mov_b32 s15, exec_lo
	scratch_store_b64 off, v[0:1], s32 offset:372 ; 8-byte Folded Spill
	s_wait_xcnt 0x0
	v_cmpx_ne_u16_e32 0x80, v3
	s_cbranch_execz .LBB206_289
; %bb.284:                              ;   in Loop: Header=BB206_15 Depth=1
	v_and_b32_e32 v1, 0xffff, v3
	v_mov_b64_e32 v[6:7], 0x7f80000100000000
	s_mov_b32 s16, exec_lo
	s_delay_alu instid0(VALU_DEP_2)
	v_and_b32_e32 v4, 0x7f, v1
	scratch_store_b64 off, v[6:7], s32 offset:372 ; 8-byte Folded Spill
	s_wait_xcnt 0x0
	v_cmpx_ne_u32_e32 0x7f, v4
	s_cbranch_execz .LBB206_288
; %bb.285:                              ;   in Loop: Header=BB206_15 Depth=1
	scratch_load_b64 v[6:7], off, s32 offset:192 th:TH_LOAD_LU ; 8-byte Folded Reload
	s_wait_loadcnt 0x0
	v_dual_lshrrev_b32 v3, 3, v4 :: v_dual_bitop2_b32 v6, 7, v1 bitop3:0x40
	s_mov_b32 s17, exec_lo
	s_wait_xcnt 0x0
	v_cmpx_gt_u32_e32 8, v4
; %bb.286:                              ;   in Loop: Header=BB206_15 Depth=1
	s_delay_alu instid0(VALU_DEP_2) | instskip(NEXT) | instid1(VALU_DEP_1)
	v_clz_i32_u32_e32 v1, v6
	v_min_u32_e32 v1, 32, v1
	s_delay_alu instid0(VALU_DEP_1) | instskip(NEXT) | instid1(VALU_DEP_1)
	v_subrev_nc_u32_e32 v3, 28, v1
	v_lshlrev_b64_e32 v[4:5], v3, v[6:7]
	s_delay_alu instid0(VALU_DEP_1)
	v_dual_sub_nc_u32 v3, 29, v1 :: v_dual_bitop2_b32 v6, 7, v4 bitop3:0x40
; %bb.287:                              ;   in Loop: Header=BB206_15 Depth=1
	s_or_b32 exec_lo, exec_lo, s17
	v_lshlrev_b32_e32 v1, 16, v2
	s_delay_alu instid0(VALU_DEP_2) | instskip(NEXT) | instid1(VALU_DEP_3)
	v_lshlrev_b32_e32 v4, 20, v6
	v_lshl_add_u32 v3, v3, 23, 0x3c000000
	s_delay_alu instid0(VALU_DEP_3) | instskip(NEXT) | instid1(VALU_DEP_1)
	v_and_b32_e32 v1, 0x80000000, v1
	v_or3_b32 v5, v4, v1, v3
	v_dual_mov_b32 v1, v7 :: v_dual_mov_b32 v4, v7
	s_clause 0x1
	scratch_store_b64 off, v[0:1], s32 offset:192
	scratch_store_b64 off, v[4:5], s32 offset:372
.LBB206_288:                            ;   in Loop: Header=BB206_15 Depth=1
	s_wait_xcnt 0x0
	s_or_b32 exec_lo, exec_lo, s16
.LBB206_289:                            ;   in Loop: Header=BB206_15 Depth=1
	s_delay_alu instid0(SALU_CYCLE_1)
	s_or_b32 exec_lo, exec_lo, s15
.LBB206_290:                            ;   in Loop: Header=BB206_15 Depth=1
	s_delay_alu instid0(SALU_CYCLE_1) | instskip(SKIP_3) | instid1(VALU_DEP_1)
	s_or_b32 exec_lo, exec_lo, s14
	v_mov_b64_e32 v[4:5], 0
	v_lshrrev_b32_e32 v3, 16, v2
	s_mov_b32 s14, exec_lo
	v_and_b32_e32 v1, 0xff, v3
	scratch_store_b64 off, v[4:5], s32 offset:380 ; 8-byte Folded Spill
	s_wait_xcnt 0x0
	v_mov_b64_e32 v[4:5], 0
	scratch_store_b64 off, v[4:5], s32 offset:540 ; 8-byte Folded Spill
	s_wait_xcnt 0x0
	v_cmpx_ne_u16_e32 0, v1
	s_cbranch_execz .LBB206_298
; %bb.291:                              ;   in Loop: Header=BB206_15 Depth=1
	v_mov_b64_e32 v[8:9], 0x80000000
	s_mov_b32 s15, exec_lo
	v_cmpx_ne_u16_e32 0x80, v1
	s_cbranch_execz .LBB206_297
; %bb.292:                              ;   in Loop: Header=BB206_15 Depth=1
	v_mov_b64_e32 v[8:9], 0x7f800001
	v_bfe_u32 v5, v2, 16, 7
	s_mov_b32 s16, exec_lo
	s_delay_alu instid0(VALU_DEP_1)
	v_cmpx_ne_u32_e32 0x7f, v5
	s_cbranch_execz .LBB206_296
; %bb.293:                              ;   in Loop: Header=BB206_15 Depth=1
	scratch_load_b64 v[8:9], off, s32 offset:192 th:TH_LOAD_LU ; 8-byte Folded Reload
	s_wait_loadcnt 0x0
	v_dual_lshrrev_b32 v4, 3, v5 :: v_dual_bitop2_b32 v8, 7, v3 bitop3:0x40
	s_mov_b32 s17, exec_lo
	s_wait_xcnt 0x0
	v_cmpx_gt_u32_e32 8, v5
; %bb.294:                              ;   in Loop: Header=BB206_15 Depth=1
	s_delay_alu instid0(VALU_DEP_2) | instskip(NEXT) | instid1(VALU_DEP_1)
	v_clz_i32_u32_e32 v1, v8
	v_min_u32_e32 v1, 32, v1
	s_delay_alu instid0(VALU_DEP_1) | instskip(NEXT) | instid1(VALU_DEP_1)
	v_subrev_nc_u32_e32 v4, 28, v1
	v_lshlrev_b64_e32 v[6:7], v4, v[8:9]
	s_delay_alu instid0(VALU_DEP_1)
	v_dual_sub_nc_u32 v4, 29, v1 :: v_dual_bitop2_b32 v8, 7, v6 bitop3:0x40
; %bb.295:                              ;   in Loop: Header=BB206_15 Depth=1
	s_or_b32 exec_lo, exec_lo, s17
	s_delay_alu instid0(VALU_DEP_1) | instskip(NEXT) | instid1(VALU_DEP_2)
	v_dual_lshlrev_b32 v1, 24, v3 :: v_dual_lshlrev_b32 v3, 20, v8
	v_lshl_add_u32 v4, v4, 23, 0x3c000000
	s_delay_alu instid0(VALU_DEP_2) | instskip(NEXT) | instid1(VALU_DEP_1)
	v_and_b32_e32 v1, 0x80000000, v1
	v_or3_b32 v8, v3, v1, v4
	v_mov_b32_e32 v1, v9
	scratch_store_b64 off, v[0:1], s32 offset:192 ; 8-byte Folded Spill
.LBB206_296:                            ;   in Loop: Header=BB206_15 Depth=1
	s_wait_xcnt 0x0
	s_or_b32 exec_lo, exec_lo, s16
.LBB206_297:                            ;   in Loop: Header=BB206_15 Depth=1
	s_delay_alu instid0(SALU_CYCLE_1)
	s_or_b32 exec_lo, exec_lo, s15
	scratch_store_b64 off, v[8:9], s32 offset:540 ; 8-byte Folded Spill
.LBB206_298:                            ;   in Loop: Header=BB206_15 Depth=1
	s_wait_xcnt 0x0
	s_or_b32 exec_lo, exec_lo, s14
	s_delay_alu instid0(SALU_CYCLE_1)
	s_mov_b32 s14, exec_lo
	v_cmpx_lt_u32_e32 0xffffff, v2
	s_cbranch_execz .LBB206_306
; %bb.299:                              ;   in Loop: Header=BB206_15 Depth=1
	v_mov_b64_e32 v[0:1], 0x8000000000000000
	v_lshrrev_b32_e32 v3, 24, v2
	s_mov_b32 s15, exec_lo
	scratch_store_b64 off, v[0:1], s32 offset:380 ; 8-byte Folded Spill
	s_wait_xcnt 0x0
	v_cmpx_ne_u32_e32 0x80, v3
	s_cbranch_execz .LBB206_305
; %bb.300:                              ;   in Loop: Header=BB206_15 Depth=1
	v_mov_b64_e32 v[0:1], 0x7f80000100000000
	v_bfe_u32 v4, v2, 24, 7
	s_mov_b32 s16, exec_lo
	scratch_store_b64 off, v[0:1], s32 offset:380 ; 8-byte Folded Spill
	s_wait_xcnt 0x0
	v_cmpx_ne_u32_e32 0x7f, v4
	s_cbranch_execz .LBB206_304
; %bb.301:                              ;   in Loop: Header=BB206_15 Depth=1
	scratch_load_b64 v[6:7], off, s32 offset:192 th:TH_LOAD_LU ; 8-byte Folded Reload
	s_wait_loadcnt 0x0
	v_dual_lshrrev_b32 v2, 3, v4 :: v_dual_bitop2_b32 v6, 7, v3 bitop3:0x40
	s_mov_b32 s17, exec_lo
	s_wait_xcnt 0x0
	v_cmpx_gt_u32_e32 8, v4
; %bb.302:                              ;   in Loop: Header=BB206_15 Depth=1
	s_delay_alu instid0(VALU_DEP_2) | instskip(NEXT) | instid1(VALU_DEP_1)
	v_clz_i32_u32_e32 v1, v6
	v_min_u32_e32 v1, 32, v1
	s_delay_alu instid0(VALU_DEP_1) | instskip(NEXT) | instid1(VALU_DEP_1)
	v_subrev_nc_u32_e32 v2, 28, v1
	v_lshlrev_b64_e32 v[4:5], v2, v[6:7]
	s_delay_alu instid0(VALU_DEP_1)
	v_dual_sub_nc_u32 v2, 29, v1 :: v_dual_bitop2_b32 v6, 7, v4 bitop3:0x40
; %bb.303:                              ;   in Loop: Header=BB206_15 Depth=1
	s_or_b32 exec_lo, exec_lo, s17
	s_delay_alu instid0(VALU_DEP_1) | instskip(NEXT) | instid1(VALU_DEP_2)
	v_dual_lshlrev_b32 v1, 24, v3 :: v_dual_lshlrev_b32 v3, 20, v6
	v_lshl_add_u32 v2, v2, 23, 0x3c000000
	s_delay_alu instid0(VALU_DEP_2) | instskip(NEXT) | instid1(VALU_DEP_1)
	v_and_b32_e32 v1, 0x80000000, v1
	v_or3_b32 v3, v3, v1, v2
	v_dual_mov_b32 v1, v7 :: v_dual_mov_b32 v2, v7
	s_clause 0x1
	scratch_store_b64 off, v[0:1], s32 offset:192
	scratch_store_b64 off, v[2:3], s32 offset:380
.LBB206_304:                            ;   in Loop: Header=BB206_15 Depth=1
	s_wait_xcnt 0x0
	s_or_b32 exec_lo, exec_lo, s16
.LBB206_305:                            ;   in Loop: Header=BB206_15 Depth=1
	s_delay_alu instid0(SALU_CYCLE_1)
	s_or_b32 exec_lo, exec_lo, s15
.LBB206_306:                            ;   in Loop: Header=BB206_15 Depth=1
	s_delay_alu instid0(SALU_CYCLE_1)
	s_or_b32 exec_lo, exec_lo, s14
	flat_load_b32 v2, v[18:19] offset:1028
	v_mov_b64_e32 v[4:5], 0
	s_mov_b32 s14, exec_lo
	scratch_store_b64 off, v[4:5], s32 offset:388 ; 8-byte Folded Spill
	s_wait_xcnt 0x0
	v_mov_b64_e32 v[4:5], 0
	scratch_store_b64 off, v[4:5], s32 offset:548 ; 8-byte Folded Spill
	s_wait_loadcnt_dscnt 0x0
	v_and_b32_e32 v1, 0xff, v2
	s_wait_xcnt 0x0
	s_delay_alu instid0(VALU_DEP_1)
	v_cmpx_ne_u16_e32 0, v1
	s_cbranch_execz .LBB206_314
; %bb.307:                              ;   in Loop: Header=BB206_15 Depth=1
	v_mov_b64_e32 v[6:7], 0x80000000
	s_mov_b32 s15, exec_lo
	v_cmpx_ne_u16_e32 0x80, v1
	s_cbranch_execz .LBB206_313
; %bb.308:                              ;   in Loop: Header=BB206_15 Depth=1
	v_mov_b64_e32 v[6:7], 0x7f800001
	v_and_b32_e32 v4, 0x7f, v2
	s_mov_b32 s16, exec_lo
	s_delay_alu instid0(VALU_DEP_1)
	v_cmpx_ne_u32_e32 0x7f, v4
	s_cbranch_execz .LBB206_312
; %bb.309:                              ;   in Loop: Header=BB206_15 Depth=1
	scratch_load_b64 v[6:7], off, s32 offset:192 th:TH_LOAD_LU ; 8-byte Folded Reload
	s_wait_loadcnt 0x0
	v_dual_lshrrev_b32 v3, 3, v4 :: v_dual_bitop2_b32 v6, 7, v2 bitop3:0x40
	s_mov_b32 s17, exec_lo
	s_wait_xcnt 0x0
	v_cmpx_gt_u32_e32 8, v4
; %bb.310:                              ;   in Loop: Header=BB206_15 Depth=1
	s_delay_alu instid0(VALU_DEP_2) | instskip(NEXT) | instid1(VALU_DEP_1)
	v_clz_i32_u32_e32 v1, v6
	v_min_u32_e32 v1, 32, v1
	s_delay_alu instid0(VALU_DEP_1) | instskip(NEXT) | instid1(VALU_DEP_1)
	v_subrev_nc_u32_e32 v3, 28, v1
	v_lshlrev_b64_e32 v[4:5], v3, v[6:7]
	s_delay_alu instid0(VALU_DEP_1)
	v_dual_sub_nc_u32 v3, 29, v1 :: v_dual_bitop2_b32 v6, 7, v4 bitop3:0x40
; %bb.311:                              ;   in Loop: Header=BB206_15 Depth=1
	s_or_b32 exec_lo, exec_lo, s17
	v_lshlrev_b32_e32 v1, 24, v2
	s_delay_alu instid0(VALU_DEP_2) | instskip(NEXT) | instid1(VALU_DEP_3)
	v_lshlrev_b32_e32 v4, 20, v6
	v_lshl_add_u32 v3, v3, 23, 0x3c000000
	s_delay_alu instid0(VALU_DEP_3) | instskip(NEXT) | instid1(VALU_DEP_1)
	v_and_b32_e32 v1, 0x80000000, v1
	v_or3_b32 v6, v4, v1, v3
	v_mov_b32_e32 v1, v7
	scratch_store_b64 off, v[0:1], s32 offset:192 ; 8-byte Folded Spill
.LBB206_312:                            ;   in Loop: Header=BB206_15 Depth=1
	s_wait_xcnt 0x0
	s_or_b32 exec_lo, exec_lo, s16
.LBB206_313:                            ;   in Loop: Header=BB206_15 Depth=1
	s_delay_alu instid0(SALU_CYCLE_1)
	s_or_b32 exec_lo, exec_lo, s15
	scratch_store_b64 off, v[6:7], s32 offset:548 ; 8-byte Folded Spill
.LBB206_314:                            ;   in Loop: Header=BB206_15 Depth=1
	s_wait_xcnt 0x0
	s_or_b32 exec_lo, exec_lo, s14
	v_lshrrev_b16 v3, 8, v2
	s_mov_b32 s14, exec_lo
	s_delay_alu instid0(VALU_DEP_1)
	v_cmpx_ne_u16_e32 0, v3
	s_cbranch_execz .LBB206_322
; %bb.315:                              ;   in Loop: Header=BB206_15 Depth=1
	v_mov_b64_e32 v[0:1], 0x8000000000000000
	s_mov_b32 s15, exec_lo
	scratch_store_b64 off, v[0:1], s32 offset:388 ; 8-byte Folded Spill
	s_wait_xcnt 0x0
	v_cmpx_ne_u16_e32 0x80, v3
	s_cbranch_execz .LBB206_321
; %bb.316:                              ;   in Loop: Header=BB206_15 Depth=1
	v_and_b32_e32 v1, 0xffff, v3
	v_mov_b64_e32 v[6:7], 0x7f80000100000000
	s_mov_b32 s16, exec_lo
	s_delay_alu instid0(VALU_DEP_2)
	v_and_b32_e32 v4, 0x7f, v1
	scratch_store_b64 off, v[6:7], s32 offset:388 ; 8-byte Folded Spill
	s_wait_xcnt 0x0
	v_cmpx_ne_u32_e32 0x7f, v4
	s_cbranch_execz .LBB206_320
; %bb.317:                              ;   in Loop: Header=BB206_15 Depth=1
	scratch_load_b64 v[6:7], off, s32 offset:192 th:TH_LOAD_LU ; 8-byte Folded Reload
	s_wait_loadcnt 0x0
	v_dual_lshrrev_b32 v3, 3, v4 :: v_dual_bitop2_b32 v6, 7, v1 bitop3:0x40
	s_mov_b32 s17, exec_lo
	s_wait_xcnt 0x0
	v_cmpx_gt_u32_e32 8, v4
; %bb.318:                              ;   in Loop: Header=BB206_15 Depth=1
	s_delay_alu instid0(VALU_DEP_2) | instskip(NEXT) | instid1(VALU_DEP_1)
	v_clz_i32_u32_e32 v1, v6
	v_min_u32_e32 v1, 32, v1
	s_delay_alu instid0(VALU_DEP_1) | instskip(NEXT) | instid1(VALU_DEP_1)
	v_subrev_nc_u32_e32 v3, 28, v1
	v_lshlrev_b64_e32 v[4:5], v3, v[6:7]
	s_delay_alu instid0(VALU_DEP_1)
	v_dual_sub_nc_u32 v3, 29, v1 :: v_dual_bitop2_b32 v6, 7, v4 bitop3:0x40
; %bb.319:                              ;   in Loop: Header=BB206_15 Depth=1
	s_or_b32 exec_lo, exec_lo, s17
	v_lshlrev_b32_e32 v1, 16, v2
	s_delay_alu instid0(VALU_DEP_2) | instskip(NEXT) | instid1(VALU_DEP_3)
	v_lshlrev_b32_e32 v4, 20, v6
	v_lshl_add_u32 v3, v3, 23, 0x3c000000
	s_delay_alu instid0(VALU_DEP_3) | instskip(NEXT) | instid1(VALU_DEP_1)
	v_and_b32_e32 v1, 0x80000000, v1
	v_or3_b32 v5, v4, v1, v3
	v_dual_mov_b32 v1, v7 :: v_dual_mov_b32 v4, v7
	s_clause 0x1
	scratch_store_b64 off, v[0:1], s32 offset:192
	scratch_store_b64 off, v[4:5], s32 offset:388
.LBB206_320:                            ;   in Loop: Header=BB206_15 Depth=1
	s_wait_xcnt 0x0
	s_or_b32 exec_lo, exec_lo, s16
.LBB206_321:                            ;   in Loop: Header=BB206_15 Depth=1
	s_delay_alu instid0(SALU_CYCLE_1)
	s_or_b32 exec_lo, exec_lo, s15
.LBB206_322:                            ;   in Loop: Header=BB206_15 Depth=1
	s_delay_alu instid0(SALU_CYCLE_1) | instskip(SKIP_3) | instid1(VALU_DEP_1)
	s_or_b32 exec_lo, exec_lo, s14
	v_mov_b64_e32 v[4:5], 0
	v_lshrrev_b32_e32 v3, 16, v2
	s_mov_b32 s14, exec_lo
	v_and_b32_e32 v1, 0xff, v3
	scratch_store_b64 off, v[4:5], s32 offset:396 ; 8-byte Folded Spill
	s_wait_xcnt 0x0
	v_mov_b64_e32 v[4:5], 0
	scratch_store_b64 off, v[4:5], s32 offset:556 ; 8-byte Folded Spill
	s_wait_xcnt 0x0
	v_cmpx_ne_u16_e32 0, v1
	s_cbranch_execz .LBB206_330
; %bb.323:                              ;   in Loop: Header=BB206_15 Depth=1
	v_mov_b64_e32 v[8:9], 0x80000000
	s_mov_b32 s15, exec_lo
	v_cmpx_ne_u16_e32 0x80, v1
	s_cbranch_execz .LBB206_329
; %bb.324:                              ;   in Loop: Header=BB206_15 Depth=1
	v_mov_b64_e32 v[8:9], 0x7f800001
	v_bfe_u32 v5, v2, 16, 7
	s_mov_b32 s16, exec_lo
	s_delay_alu instid0(VALU_DEP_1)
	v_cmpx_ne_u32_e32 0x7f, v5
	s_cbranch_execz .LBB206_328
; %bb.325:                              ;   in Loop: Header=BB206_15 Depth=1
	scratch_load_b64 v[8:9], off, s32 offset:192 th:TH_LOAD_LU ; 8-byte Folded Reload
	s_wait_loadcnt 0x0
	v_dual_lshrrev_b32 v4, 3, v5 :: v_dual_bitop2_b32 v8, 7, v3 bitop3:0x40
	s_mov_b32 s17, exec_lo
	s_wait_xcnt 0x0
	v_cmpx_gt_u32_e32 8, v5
; %bb.326:                              ;   in Loop: Header=BB206_15 Depth=1
	s_delay_alu instid0(VALU_DEP_2) | instskip(NEXT) | instid1(VALU_DEP_1)
	v_clz_i32_u32_e32 v1, v8
	v_min_u32_e32 v1, 32, v1
	s_delay_alu instid0(VALU_DEP_1) | instskip(NEXT) | instid1(VALU_DEP_1)
	v_subrev_nc_u32_e32 v4, 28, v1
	v_lshlrev_b64_e32 v[6:7], v4, v[8:9]
	s_delay_alu instid0(VALU_DEP_1)
	v_dual_sub_nc_u32 v4, 29, v1 :: v_dual_bitop2_b32 v8, 7, v6 bitop3:0x40
; %bb.327:                              ;   in Loop: Header=BB206_15 Depth=1
	s_or_b32 exec_lo, exec_lo, s17
	s_delay_alu instid0(VALU_DEP_1) | instskip(NEXT) | instid1(VALU_DEP_2)
	v_dual_lshlrev_b32 v1, 24, v3 :: v_dual_lshlrev_b32 v3, 20, v8
	v_lshl_add_u32 v4, v4, 23, 0x3c000000
	s_delay_alu instid0(VALU_DEP_2) | instskip(NEXT) | instid1(VALU_DEP_1)
	v_and_b32_e32 v1, 0x80000000, v1
	v_or3_b32 v8, v3, v1, v4
	v_mov_b32_e32 v1, v9
	scratch_store_b64 off, v[0:1], s32 offset:192 ; 8-byte Folded Spill
.LBB206_328:                            ;   in Loop: Header=BB206_15 Depth=1
	s_wait_xcnt 0x0
	s_or_b32 exec_lo, exec_lo, s16
.LBB206_329:                            ;   in Loop: Header=BB206_15 Depth=1
	s_delay_alu instid0(SALU_CYCLE_1)
	s_or_b32 exec_lo, exec_lo, s15
	scratch_store_b64 off, v[8:9], s32 offset:556 ; 8-byte Folded Spill
.LBB206_330:                            ;   in Loop: Header=BB206_15 Depth=1
	s_wait_xcnt 0x0
	s_or_b32 exec_lo, exec_lo, s14
	s_delay_alu instid0(SALU_CYCLE_1)
	s_mov_b32 s14, exec_lo
	v_cmpx_lt_u32_e32 0xffffff, v2
	s_cbranch_execz .LBB206_338
; %bb.331:                              ;   in Loop: Header=BB206_15 Depth=1
	v_mov_b64_e32 v[0:1], 0x8000000000000000
	v_lshrrev_b32_e32 v3, 24, v2
	s_mov_b32 s15, exec_lo
	scratch_store_b64 off, v[0:1], s32 offset:396 ; 8-byte Folded Spill
	s_wait_xcnt 0x0
	v_cmpx_ne_u32_e32 0x80, v3
	s_cbranch_execz .LBB206_337
; %bb.332:                              ;   in Loop: Header=BB206_15 Depth=1
	v_mov_b64_e32 v[0:1], 0x7f80000100000000
	v_bfe_u32 v4, v2, 24, 7
	s_mov_b32 s16, exec_lo
	scratch_store_b64 off, v[0:1], s32 offset:396 ; 8-byte Folded Spill
	s_wait_xcnt 0x0
	v_cmpx_ne_u32_e32 0x7f, v4
	s_cbranch_execz .LBB206_336
; %bb.333:                              ;   in Loop: Header=BB206_15 Depth=1
	scratch_load_b64 v[6:7], off, s32 offset:192 th:TH_LOAD_LU ; 8-byte Folded Reload
	s_wait_loadcnt 0x0
	v_dual_lshrrev_b32 v2, 3, v4 :: v_dual_bitop2_b32 v6, 7, v3 bitop3:0x40
	s_mov_b32 s17, exec_lo
	s_wait_xcnt 0x0
	v_cmpx_gt_u32_e32 8, v4
; %bb.334:                              ;   in Loop: Header=BB206_15 Depth=1
	s_delay_alu instid0(VALU_DEP_2) | instskip(NEXT) | instid1(VALU_DEP_1)
	v_clz_i32_u32_e32 v1, v6
	v_min_u32_e32 v1, 32, v1
	s_delay_alu instid0(VALU_DEP_1) | instskip(NEXT) | instid1(VALU_DEP_1)
	v_subrev_nc_u32_e32 v2, 28, v1
	v_lshlrev_b64_e32 v[4:5], v2, v[6:7]
	s_delay_alu instid0(VALU_DEP_1)
	v_dual_sub_nc_u32 v2, 29, v1 :: v_dual_bitop2_b32 v6, 7, v4 bitop3:0x40
; %bb.335:                              ;   in Loop: Header=BB206_15 Depth=1
	s_or_b32 exec_lo, exec_lo, s17
	s_delay_alu instid0(VALU_DEP_1) | instskip(NEXT) | instid1(VALU_DEP_2)
	v_dual_lshlrev_b32 v1, 24, v3 :: v_dual_lshlrev_b32 v3, 20, v6
	v_lshl_add_u32 v2, v2, 23, 0x3c000000
	s_delay_alu instid0(VALU_DEP_2) | instskip(NEXT) | instid1(VALU_DEP_1)
	v_and_b32_e32 v1, 0x80000000, v1
	v_or3_b32 v3, v3, v1, v2
	v_dual_mov_b32 v1, v7 :: v_dual_mov_b32 v2, v7
	s_clause 0x1
	scratch_store_b64 off, v[0:1], s32 offset:192
	scratch_store_b64 off, v[2:3], s32 offset:396
.LBB206_336:                            ;   in Loop: Header=BB206_15 Depth=1
	s_wait_xcnt 0x0
	s_or_b32 exec_lo, exec_lo, s16
.LBB206_337:                            ;   in Loop: Header=BB206_15 Depth=1
	s_delay_alu instid0(SALU_CYCLE_1)
	s_or_b32 exec_lo, exec_lo, s15
.LBB206_338:                            ;   in Loop: Header=BB206_15 Depth=1
	s_delay_alu instid0(SALU_CYCLE_1)
	s_or_b32 exec_lo, exec_lo, s14
	flat_load_b32 v2, v[18:19] offset:1032
	v_mov_b64_e32 v[4:5], 0
	s_mov_b32 s14, exec_lo
	scratch_store_b64 off, v[4:5], s32 offset:404 ; 8-byte Folded Spill
	s_wait_xcnt 0x0
	v_mov_b64_e32 v[4:5], 0
	scratch_store_b64 off, v[4:5], s32 offset:564 ; 8-byte Folded Spill
	s_wait_loadcnt_dscnt 0x0
	v_and_b32_e32 v1, 0xff, v2
	s_wait_xcnt 0x0
	s_delay_alu instid0(VALU_DEP_1)
	v_cmpx_ne_u16_e32 0, v1
	s_cbranch_execz .LBB206_346
; %bb.339:                              ;   in Loop: Header=BB206_15 Depth=1
	v_mov_b64_e32 v[6:7], 0x80000000
	s_mov_b32 s15, exec_lo
	v_cmpx_ne_u16_e32 0x80, v1
	s_cbranch_execz .LBB206_345
; %bb.340:                              ;   in Loop: Header=BB206_15 Depth=1
	v_mov_b64_e32 v[6:7], 0x7f800001
	v_and_b32_e32 v4, 0x7f, v2
	s_mov_b32 s16, exec_lo
	s_delay_alu instid0(VALU_DEP_1)
	v_cmpx_ne_u32_e32 0x7f, v4
	s_cbranch_execz .LBB206_344
; %bb.341:                              ;   in Loop: Header=BB206_15 Depth=1
	scratch_load_b64 v[6:7], off, s32 offset:192 th:TH_LOAD_LU ; 8-byte Folded Reload
	s_wait_loadcnt 0x0
	v_dual_lshrrev_b32 v3, 3, v4 :: v_dual_bitop2_b32 v6, 7, v2 bitop3:0x40
	s_mov_b32 s17, exec_lo
	s_wait_xcnt 0x0
	v_cmpx_gt_u32_e32 8, v4
; %bb.342:                              ;   in Loop: Header=BB206_15 Depth=1
	s_delay_alu instid0(VALU_DEP_2) | instskip(NEXT) | instid1(VALU_DEP_1)
	v_clz_i32_u32_e32 v1, v6
	v_min_u32_e32 v1, 32, v1
	s_delay_alu instid0(VALU_DEP_1) | instskip(NEXT) | instid1(VALU_DEP_1)
	v_subrev_nc_u32_e32 v3, 28, v1
	v_lshlrev_b64_e32 v[4:5], v3, v[6:7]
	s_delay_alu instid0(VALU_DEP_1)
	v_dual_sub_nc_u32 v3, 29, v1 :: v_dual_bitop2_b32 v6, 7, v4 bitop3:0x40
; %bb.343:                              ;   in Loop: Header=BB206_15 Depth=1
	s_or_b32 exec_lo, exec_lo, s17
	v_lshlrev_b32_e32 v1, 24, v2
	s_delay_alu instid0(VALU_DEP_2) | instskip(NEXT) | instid1(VALU_DEP_3)
	v_lshlrev_b32_e32 v4, 20, v6
	v_lshl_add_u32 v3, v3, 23, 0x3c000000
	s_delay_alu instid0(VALU_DEP_3) | instskip(NEXT) | instid1(VALU_DEP_1)
	v_and_b32_e32 v1, 0x80000000, v1
	v_or3_b32 v6, v4, v1, v3
	v_mov_b32_e32 v1, v7
	scratch_store_b64 off, v[0:1], s32 offset:192 ; 8-byte Folded Spill
.LBB206_344:                            ;   in Loop: Header=BB206_15 Depth=1
	s_wait_xcnt 0x0
	s_or_b32 exec_lo, exec_lo, s16
.LBB206_345:                            ;   in Loop: Header=BB206_15 Depth=1
	s_delay_alu instid0(SALU_CYCLE_1)
	s_or_b32 exec_lo, exec_lo, s15
	scratch_store_b64 off, v[6:7], s32 offset:564 ; 8-byte Folded Spill
.LBB206_346:                            ;   in Loop: Header=BB206_15 Depth=1
	s_wait_xcnt 0x0
	s_or_b32 exec_lo, exec_lo, s14
	v_lshrrev_b16 v3, 8, v2
	s_mov_b32 s14, exec_lo
	s_delay_alu instid0(VALU_DEP_1)
	v_cmpx_ne_u16_e32 0, v3
	s_cbranch_execz .LBB206_354
; %bb.347:                              ;   in Loop: Header=BB206_15 Depth=1
	v_mov_b64_e32 v[0:1], 0x8000000000000000
	s_mov_b32 s15, exec_lo
	scratch_store_b64 off, v[0:1], s32 offset:404 ; 8-byte Folded Spill
	s_wait_xcnt 0x0
	v_cmpx_ne_u16_e32 0x80, v3
	s_cbranch_execz .LBB206_353
; %bb.348:                              ;   in Loop: Header=BB206_15 Depth=1
	v_and_b32_e32 v1, 0xffff, v3
	v_mov_b64_e32 v[6:7], 0x7f80000100000000
	s_mov_b32 s16, exec_lo
	s_delay_alu instid0(VALU_DEP_2)
	v_and_b32_e32 v4, 0x7f, v1
	scratch_store_b64 off, v[6:7], s32 offset:404 ; 8-byte Folded Spill
	s_wait_xcnt 0x0
	v_cmpx_ne_u32_e32 0x7f, v4
	s_cbranch_execz .LBB206_352
; %bb.349:                              ;   in Loop: Header=BB206_15 Depth=1
	scratch_load_b64 v[6:7], off, s32 offset:192 th:TH_LOAD_LU ; 8-byte Folded Reload
	s_wait_loadcnt 0x0
	v_dual_lshrrev_b32 v3, 3, v4 :: v_dual_bitop2_b32 v6, 7, v1 bitop3:0x40
	s_mov_b32 s17, exec_lo
	s_wait_xcnt 0x0
	v_cmpx_gt_u32_e32 8, v4
; %bb.350:                              ;   in Loop: Header=BB206_15 Depth=1
	s_delay_alu instid0(VALU_DEP_2) | instskip(NEXT) | instid1(VALU_DEP_1)
	v_clz_i32_u32_e32 v1, v6
	v_min_u32_e32 v1, 32, v1
	s_delay_alu instid0(VALU_DEP_1) | instskip(NEXT) | instid1(VALU_DEP_1)
	v_subrev_nc_u32_e32 v3, 28, v1
	v_lshlrev_b64_e32 v[4:5], v3, v[6:7]
	s_delay_alu instid0(VALU_DEP_1)
	v_dual_sub_nc_u32 v3, 29, v1 :: v_dual_bitop2_b32 v6, 7, v4 bitop3:0x40
; %bb.351:                              ;   in Loop: Header=BB206_15 Depth=1
	s_or_b32 exec_lo, exec_lo, s17
	v_lshlrev_b32_e32 v1, 16, v2
	s_delay_alu instid0(VALU_DEP_2) | instskip(NEXT) | instid1(VALU_DEP_3)
	v_lshlrev_b32_e32 v4, 20, v6
	v_lshl_add_u32 v3, v3, 23, 0x3c000000
	s_delay_alu instid0(VALU_DEP_3) | instskip(NEXT) | instid1(VALU_DEP_1)
	v_and_b32_e32 v1, 0x80000000, v1
	v_or3_b32 v5, v4, v1, v3
	v_dual_mov_b32 v1, v7 :: v_dual_mov_b32 v4, v7
	s_clause 0x1
	scratch_store_b64 off, v[0:1], s32 offset:192
	scratch_store_b64 off, v[4:5], s32 offset:404
.LBB206_352:                            ;   in Loop: Header=BB206_15 Depth=1
	s_wait_xcnt 0x0
	s_or_b32 exec_lo, exec_lo, s16
.LBB206_353:                            ;   in Loop: Header=BB206_15 Depth=1
	s_delay_alu instid0(SALU_CYCLE_1)
	s_or_b32 exec_lo, exec_lo, s15
.LBB206_354:                            ;   in Loop: Header=BB206_15 Depth=1
	s_delay_alu instid0(SALU_CYCLE_1) | instskip(SKIP_4) | instid1(VALU_DEP_3)
	s_or_b32 exec_lo, exec_lo, s14
	v_lshrrev_b32_e32 v3, 16, v2
	v_mov_b64_e32 v[58:59], 0
	v_mov_b64_e32 v[4:5], 0
	s_mov_b32 s14, exec_lo
	v_and_b32_e32 v1, 0xff, v3
	scratch_store_b64 off, v[4:5], s32 offset:572 ; 8-byte Folded Spill
	s_wait_xcnt 0x0
	v_cmpx_ne_u16_e32 0, v1
	s_cbranch_execz .LBB206_362
; %bb.355:                              ;   in Loop: Header=BB206_15 Depth=1
	v_mov_b64_e32 v[60:61], 0x80000000
	s_mov_b32 s15, exec_lo
	v_cmpx_ne_u16_e32 0x80, v1
	s_cbranch_execz .LBB206_361
; %bb.356:                              ;   in Loop: Header=BB206_15 Depth=1
	v_mov_b64_e32 v[60:61], 0x7f800001
	v_bfe_u32 v5, v2, 16, 7
	s_mov_b32 s16, exec_lo
	s_delay_alu instid0(VALU_DEP_1)
	v_cmpx_ne_u32_e32 0x7f, v5
	s_cbranch_execz .LBB206_360
; %bb.357:                              ;   in Loop: Header=BB206_15 Depth=1
	scratch_load_b64 v[60:61], off, s32 offset:192 th:TH_LOAD_LU ; 8-byte Folded Reload
	s_wait_loadcnt 0x0
	v_dual_lshrrev_b32 v4, 3, v5 :: v_dual_bitop2_b32 v60, 7, v3 bitop3:0x40
	s_mov_b32 s17, exec_lo
	s_wait_xcnt 0x0
	v_cmpx_gt_u32_e32 8, v5
; %bb.358:                              ;   in Loop: Header=BB206_15 Depth=1
	s_delay_alu instid0(VALU_DEP_2) | instskip(NEXT) | instid1(VALU_DEP_1)
	v_clz_i32_u32_e32 v1, v60
	v_min_u32_e32 v1, 32, v1
	s_delay_alu instid0(VALU_DEP_1) | instskip(NEXT) | instid1(VALU_DEP_1)
	v_subrev_nc_u32_e32 v4, 28, v1
	v_lshlrev_b64_e32 v[6:7], v4, v[60:61]
	s_delay_alu instid0(VALU_DEP_1)
	v_dual_sub_nc_u32 v4, 29, v1 :: v_dual_bitop2_b32 v60, 7, v6 bitop3:0x40
; %bb.359:                              ;   in Loop: Header=BB206_15 Depth=1
	s_or_b32 exec_lo, exec_lo, s17
	s_delay_alu instid0(VALU_DEP_1) | instskip(NEXT) | instid1(VALU_DEP_2)
	v_dual_lshlrev_b32 v1, 24, v3 :: v_dual_lshlrev_b32 v3, 20, v60
	v_lshl_add_u32 v4, v4, 23, 0x3c000000
	s_delay_alu instid0(VALU_DEP_2) | instskip(NEXT) | instid1(VALU_DEP_1)
	v_and_b32_e32 v1, 0x80000000, v1
	v_or3_b32 v60, v3, v1, v4
	v_mov_b32_e32 v1, v61
	scratch_store_b64 off, v[0:1], s32 offset:192 ; 8-byte Folded Spill
.LBB206_360:                            ;   in Loop: Header=BB206_15 Depth=1
	s_wait_xcnt 0x0
	s_or_b32 exec_lo, exec_lo, s16
.LBB206_361:                            ;   in Loop: Header=BB206_15 Depth=1
	s_delay_alu instid0(SALU_CYCLE_1)
	s_or_b32 exec_lo, exec_lo, s15
	scratch_store_b64 off, v[60:61], s32 offset:572 ; 8-byte Folded Spill
.LBB206_362:                            ;   in Loop: Header=BB206_15 Depth=1
	s_wait_xcnt 0x0
	s_or_b32 exec_lo, exec_lo, s14
	s_delay_alu instid0(SALU_CYCLE_1)
	s_mov_b32 s14, exec_lo
	v_cmpx_lt_u32_e32 0xffffff, v2
	s_cbranch_execz .LBB206_370
; %bb.363:                              ;   in Loop: Header=BB206_15 Depth=1
	v_mov_b64_e32 v[58:59], 0x8000000000000000
	v_lshrrev_b32_e32 v3, 24, v2
	s_mov_b32 s15, exec_lo
	s_delay_alu instid0(VALU_DEP_1)
	v_cmpx_ne_u32_e32 0x80, v3
	s_cbranch_execz .LBB206_369
; %bb.364:                              ;   in Loop: Header=BB206_15 Depth=1
	v_mov_b64_e32 v[58:59], 0x7f80000100000000
	v_bfe_u32 v4, v2, 24, 7
	s_mov_b32 s16, exec_lo
	s_delay_alu instid0(VALU_DEP_1)
	v_cmpx_ne_u32_e32 0x7f, v4
	s_cbranch_execz .LBB206_368
; %bb.365:                              ;   in Loop: Header=BB206_15 Depth=1
	scratch_load_b64 v[6:7], off, s32 offset:192 th:TH_LOAD_LU ; 8-byte Folded Reload
	s_wait_loadcnt 0x0
	v_dual_lshrrev_b32 v2, 3, v4 :: v_dual_bitop2_b32 v6, 7, v3 bitop3:0x40
	s_mov_b32 s17, exec_lo
	s_wait_xcnt 0x0
	v_cmpx_gt_u32_e32 8, v4
; %bb.366:                              ;   in Loop: Header=BB206_15 Depth=1
	s_delay_alu instid0(VALU_DEP_2) | instskip(NEXT) | instid1(VALU_DEP_1)
	v_clz_i32_u32_e32 v1, v6
	v_min_u32_e32 v1, 32, v1
	s_delay_alu instid0(VALU_DEP_1) | instskip(NEXT) | instid1(VALU_DEP_1)
	v_subrev_nc_u32_e32 v2, 28, v1
	v_lshlrev_b64_e32 v[4:5], v2, v[6:7]
	s_delay_alu instid0(VALU_DEP_1)
	v_dual_sub_nc_u32 v2, 29, v1 :: v_dual_bitop2_b32 v6, 7, v4 bitop3:0x40
; %bb.367:                              ;   in Loop: Header=BB206_15 Depth=1
	s_or_b32 exec_lo, exec_lo, s17
	s_delay_alu instid0(VALU_DEP_1) | instskip(NEXT) | instid1(VALU_DEP_2)
	v_dual_lshlrev_b32 v1, 24, v3 :: v_dual_lshlrev_b32 v3, 20, v6
	v_lshl_add_u32 v2, v2, 23, 0x3c000000
	v_mov_b32_e32 v58, v7
	s_delay_alu instid0(VALU_DEP_3) | instskip(NEXT) | instid1(VALU_DEP_1)
	v_and_b32_e32 v1, 0x80000000, v1
	v_or3_b32 v59, v3, v1, v2
	v_mov_b32_e32 v1, v7
	scratch_store_b64 off, v[0:1], s32 offset:192 ; 8-byte Folded Spill
.LBB206_368:                            ;   in Loop: Header=BB206_15 Depth=1
	s_wait_xcnt 0x0
	s_or_b32 exec_lo, exec_lo, s16
.LBB206_369:                            ;   in Loop: Header=BB206_15 Depth=1
	s_delay_alu instid0(SALU_CYCLE_1)
	s_or_b32 exec_lo, exec_lo, s15
.LBB206_370:                            ;   in Loop: Header=BB206_15 Depth=1
	s_delay_alu instid0(SALU_CYCLE_1)
	s_or_b32 exec_lo, exec_lo, s14
	flat_load_b32 v2, v[18:19] offset:1036
	v_mov_b64_e32 v[62:63], 0
	v_mov_b64_e32 v[4:5], 0
	s_mov_b32 s14, exec_lo
	scratch_store_b64 off, v[4:5], s32 offset:412 ; 8-byte Folded Spill
	s_wait_loadcnt_dscnt 0x0
	v_and_b32_e32 v1, 0xff, v2
	s_wait_xcnt 0x0
	s_delay_alu instid0(VALU_DEP_1)
	v_cmpx_ne_u16_e32 0, v1
	s_cbranch_execz .LBB206_378
; %bb.371:                              ;   in Loop: Header=BB206_15 Depth=1
	v_cmp_ne_u16_e64 s1, 0x80, v1
	v_mov_b64_e32 v[0:1], 0x80000000
	scratch_store_b64 off, v[0:1], s32 offset:412 ; 8-byte Folded Spill
	s_wait_xcnt 0x0
	s_and_saveexec_b32 s15, s1
	s_cbranch_execz .LBB206_377
; %bb.372:                              ;   in Loop: Header=BB206_15 Depth=1
	v_mov_b64_e32 v[0:1], 0x7f800001
	v_and_b32_e32 v4, 0x7f, v2
	s_mov_b32 s16, exec_lo
	scratch_store_b64 off, v[0:1], s32 offset:412 ; 8-byte Folded Spill
	s_wait_xcnt 0x0
	v_cmpx_ne_u32_e32 0x7f, v4
	s_cbranch_execz .LBB206_376
; %bb.373:                              ;   in Loop: Header=BB206_15 Depth=1
	scratch_load_b64 v[72:73], off, s32 offset:192 th:TH_LOAD_LU ; 8-byte Folded Reload
	s_wait_loadcnt 0x0
	v_dual_lshrrev_b32 v3, 3, v4 :: v_dual_bitop2_b32 v72, 7, v2 bitop3:0x40
	s_mov_b32 s17, exec_lo
	s_wait_xcnt 0x0
	v_cmpx_gt_u32_e32 8, v4
; %bb.374:                              ;   in Loop: Header=BB206_15 Depth=1
	s_delay_alu instid0(VALU_DEP_2) | instskip(NEXT) | instid1(VALU_DEP_1)
	v_clz_i32_u32_e32 v1, v72
	v_min_u32_e32 v1, 32, v1
	s_delay_alu instid0(VALU_DEP_1) | instskip(NEXT) | instid1(VALU_DEP_1)
	v_subrev_nc_u32_e32 v3, 28, v1
	v_lshlrev_b64_e32 v[4:5], v3, v[72:73]
	s_delay_alu instid0(VALU_DEP_1)
	v_dual_sub_nc_u32 v3, 29, v1 :: v_dual_bitop2_b32 v72, 7, v4 bitop3:0x40
; %bb.375:                              ;   in Loop: Header=BB206_15 Depth=1
	s_or_b32 exec_lo, exec_lo, s17
	s_delay_alu instid0(VALU_DEP_1) | instskip(NEXT) | instid1(VALU_DEP_2)
	v_dual_lshlrev_b32 v1, 24, v2 :: v_dual_lshlrev_b32 v4, 20, v72
	v_lshl_add_u32 v3, v3, 23, 0x3c000000
	s_delay_alu instid0(VALU_DEP_2) | instskip(NEXT) | instid1(VALU_DEP_1)
	v_and_b32_e32 v1, 0x80000000, v1
	v_or3_b32 v72, v4, v1, v3
	v_mov_b32_e32 v1, v73
	s_clause 0x1
	scratch_store_b64 off, v[0:1], s32 offset:192
	scratch_store_b64 off, v[72:73], s32 offset:412
.LBB206_376:                            ;   in Loop: Header=BB206_15 Depth=1
	s_wait_xcnt 0x0
	s_or_b32 exec_lo, exec_lo, s16
.LBB206_377:                            ;   in Loop: Header=BB206_15 Depth=1
	s_delay_alu instid0(SALU_CYCLE_1)
	s_or_b32 exec_lo, exec_lo, s15
.LBB206_378:                            ;   in Loop: Header=BB206_15 Depth=1
	s_delay_alu instid0(SALU_CYCLE_1) | instskip(SKIP_2) | instid1(VALU_DEP_1)
	s_or_b32 exec_lo, exec_lo, s14
	v_lshrrev_b16 v3, 8, v2
	s_mov_b32 s14, exec_lo
	v_cmpx_ne_u16_e32 0, v3
	s_cbranch_execz .LBB206_386
; %bb.379:                              ;   in Loop: Header=BB206_15 Depth=1
	v_mov_b64_e32 v[62:63], 0x8000000000000000
	s_mov_b32 s15, exec_lo
	v_cmpx_ne_u16_e32 0x80, v3
	s_cbranch_execz .LBB206_385
; %bb.380:                              ;   in Loop: Header=BB206_15 Depth=1
	v_and_b32_e32 v1, 0xffff, v3
	v_mov_b64_e32 v[62:63], 0x7f80000100000000
	s_mov_b32 s16, exec_lo
	s_delay_alu instid0(VALU_DEP_2) | instskip(NEXT) | instid1(VALU_DEP_1)
	v_and_b32_e32 v4, 0x7f, v1
	v_cmpx_ne_u32_e32 0x7f, v4
	s_cbranch_execz .LBB206_384
; %bb.381:                              ;   in Loop: Header=BB206_15 Depth=1
	scratch_load_b64 v[6:7], off, s32 offset:192 th:TH_LOAD_LU ; 8-byte Folded Reload
	s_wait_loadcnt 0x0
	v_dual_lshrrev_b32 v3, 3, v4 :: v_dual_bitop2_b32 v6, 7, v1 bitop3:0x40
	s_mov_b32 s17, exec_lo
	s_wait_xcnt 0x0
	v_cmpx_gt_u32_e32 8, v4
; %bb.382:                              ;   in Loop: Header=BB206_15 Depth=1
	s_delay_alu instid0(VALU_DEP_2) | instskip(NEXT) | instid1(VALU_DEP_1)
	v_clz_i32_u32_e32 v1, v6
	v_min_u32_e32 v1, 32, v1
	s_delay_alu instid0(VALU_DEP_1) | instskip(NEXT) | instid1(VALU_DEP_1)
	v_subrev_nc_u32_e32 v3, 28, v1
	v_lshlrev_b64_e32 v[4:5], v3, v[6:7]
	s_delay_alu instid0(VALU_DEP_1)
	v_dual_sub_nc_u32 v3, 29, v1 :: v_dual_bitop2_b32 v6, 7, v4 bitop3:0x40
; %bb.383:                              ;   in Loop: Header=BB206_15 Depth=1
	s_or_b32 exec_lo, exec_lo, s17
	v_dual_mov_b32 v62, v7 :: v_dual_lshlrev_b32 v1, 16, v2
	s_delay_alu instid0(VALU_DEP_2) | instskip(NEXT) | instid1(VALU_DEP_3)
	v_lshlrev_b32_e32 v4, 20, v6
	v_lshl_add_u32 v3, v3, 23, 0x3c000000
	s_delay_alu instid0(VALU_DEP_3) | instskip(NEXT) | instid1(VALU_DEP_1)
	v_and_b32_e32 v1, 0x80000000, v1
	v_or3_b32 v63, v4, v1, v3
	v_mov_b32_e32 v1, v7
	scratch_store_b64 off, v[0:1], s32 offset:192 ; 8-byte Folded Spill
.LBB206_384:                            ;   in Loop: Header=BB206_15 Depth=1
	s_wait_xcnt 0x0
	s_or_b32 exec_lo, exec_lo, s16
.LBB206_385:                            ;   in Loop: Header=BB206_15 Depth=1
	s_delay_alu instid0(SALU_CYCLE_1)
	s_or_b32 exec_lo, exec_lo, s15
.LBB206_386:                            ;   in Loop: Header=BB206_15 Depth=1
	s_delay_alu instid0(SALU_CYCLE_1) | instskip(SKIP_4) | instid1(VALU_DEP_3)
	s_or_b32 exec_lo, exec_lo, s14
	v_lshrrev_b32_e32 v3, 16, v2
	v_mov_b64_e32 v[74:75], 0
	v_mov_b64_e32 v[76:77], 0
	s_mov_b32 s14, exec_lo
	v_and_b32_e32 v1, 0xff, v3
	s_delay_alu instid0(VALU_DEP_1)
	v_cmpx_ne_u16_e32 0, v1
	s_cbranch_execz .LBB206_394
; %bb.387:                              ;   in Loop: Header=BB206_15 Depth=1
	v_mov_b64_e32 v[76:77], 0x80000000
	s_mov_b32 s15, exec_lo
	v_cmpx_ne_u16_e32 0x80, v1
	s_cbranch_execz .LBB206_393
; %bb.388:                              ;   in Loop: Header=BB206_15 Depth=1
	v_mov_b64_e32 v[76:77], 0x7f800001
	v_bfe_u32 v5, v2, 16, 7
	s_mov_b32 s16, exec_lo
	s_delay_alu instid0(VALU_DEP_1)
	v_cmpx_ne_u32_e32 0x7f, v5
	s_cbranch_execz .LBB206_392
; %bb.389:                              ;   in Loop: Header=BB206_15 Depth=1
	scratch_load_b64 v[76:77], off, s32 offset:192 th:TH_LOAD_LU ; 8-byte Folded Reload
	s_wait_loadcnt 0x0
	v_dual_lshrrev_b32 v4, 3, v5 :: v_dual_bitop2_b32 v76, 7, v3 bitop3:0x40
	s_mov_b32 s17, exec_lo
	s_wait_xcnt 0x0
	v_cmpx_gt_u32_e32 8, v5
; %bb.390:                              ;   in Loop: Header=BB206_15 Depth=1
	s_delay_alu instid0(VALU_DEP_2) | instskip(NEXT) | instid1(VALU_DEP_1)
	v_clz_i32_u32_e32 v1, v76
	v_min_u32_e32 v1, 32, v1
	s_delay_alu instid0(VALU_DEP_1) | instskip(NEXT) | instid1(VALU_DEP_1)
	v_subrev_nc_u32_e32 v4, 28, v1
	v_lshlrev_b64_e32 v[6:7], v4, v[76:77]
	s_delay_alu instid0(VALU_DEP_1)
	v_dual_sub_nc_u32 v4, 29, v1 :: v_dual_bitop2_b32 v76, 7, v6 bitop3:0x40
; %bb.391:                              ;   in Loop: Header=BB206_15 Depth=1
	s_or_b32 exec_lo, exec_lo, s17
	s_delay_alu instid0(VALU_DEP_1) | instskip(NEXT) | instid1(VALU_DEP_2)
	v_dual_lshlrev_b32 v1, 24, v3 :: v_dual_lshlrev_b32 v3, 20, v76
	v_lshl_add_u32 v4, v4, 23, 0x3c000000
	s_delay_alu instid0(VALU_DEP_2) | instskip(NEXT) | instid1(VALU_DEP_1)
	v_and_b32_e32 v1, 0x80000000, v1
	v_or3_b32 v76, v3, v1, v4
	v_mov_b32_e32 v1, v77
	scratch_store_b64 off, v[0:1], s32 offset:192 ; 8-byte Folded Spill
.LBB206_392:                            ;   in Loop: Header=BB206_15 Depth=1
	s_wait_xcnt 0x0
	s_or_b32 exec_lo, exec_lo, s16
.LBB206_393:                            ;   in Loop: Header=BB206_15 Depth=1
	s_delay_alu instid0(SALU_CYCLE_1)
	s_or_b32 exec_lo, exec_lo, s15
.LBB206_394:                            ;   in Loop: Header=BB206_15 Depth=1
	s_delay_alu instid0(SALU_CYCLE_1) | instskip(NEXT) | instid1(SALU_CYCLE_1)
	s_or_b32 exec_lo, exec_lo, s14
	s_mov_b32 s14, exec_lo
	v_cmpx_lt_u32_e32 0xffffff, v2
	s_cbranch_execz .LBB206_402
; %bb.395:                              ;   in Loop: Header=BB206_15 Depth=1
	v_mov_b64_e32 v[74:75], 0x8000000000000000
	v_lshrrev_b32_e32 v3, 24, v2
	s_mov_b32 s15, exec_lo
	s_delay_alu instid0(VALU_DEP_1)
	v_cmpx_ne_u32_e32 0x80, v3
	s_cbranch_execz .LBB206_401
; %bb.396:                              ;   in Loop: Header=BB206_15 Depth=1
	v_mov_b64_e32 v[74:75], 0x7f80000100000000
	v_bfe_u32 v4, v2, 24, 7
	s_mov_b32 s16, exec_lo
	s_delay_alu instid0(VALU_DEP_1)
	v_cmpx_ne_u32_e32 0x7f, v4
	s_cbranch_execz .LBB206_400
; %bb.397:                              ;   in Loop: Header=BB206_15 Depth=1
	scratch_load_b64 v[6:7], off, s32 offset:192 th:TH_LOAD_LU ; 8-byte Folded Reload
	s_wait_loadcnt 0x0
	v_dual_lshrrev_b32 v2, 3, v4 :: v_dual_bitop2_b32 v6, 7, v3 bitop3:0x40
	s_mov_b32 s17, exec_lo
	s_wait_xcnt 0x0
	v_cmpx_gt_u32_e32 8, v4
; %bb.398:                              ;   in Loop: Header=BB206_15 Depth=1
	s_delay_alu instid0(VALU_DEP_2) | instskip(NEXT) | instid1(VALU_DEP_1)
	v_clz_i32_u32_e32 v1, v6
	v_min_u32_e32 v1, 32, v1
	s_delay_alu instid0(VALU_DEP_1) | instskip(NEXT) | instid1(VALU_DEP_1)
	v_subrev_nc_u32_e32 v2, 28, v1
	v_lshlrev_b64_e32 v[4:5], v2, v[6:7]
	s_delay_alu instid0(VALU_DEP_1)
	v_dual_sub_nc_u32 v2, 29, v1 :: v_dual_bitop2_b32 v6, 7, v4 bitop3:0x40
; %bb.399:                              ;   in Loop: Header=BB206_15 Depth=1
	s_or_b32 exec_lo, exec_lo, s17
	s_delay_alu instid0(VALU_DEP_1) | instskip(NEXT) | instid1(VALU_DEP_2)
	v_dual_lshlrev_b32 v1, 24, v3 :: v_dual_lshlrev_b32 v3, 20, v6
	v_lshl_add_u32 v2, v2, 23, 0x3c000000
	v_mov_b32_e32 v74, v7
	s_delay_alu instid0(VALU_DEP_3) | instskip(NEXT) | instid1(VALU_DEP_1)
	v_and_b32_e32 v1, 0x80000000, v1
	v_or3_b32 v75, v3, v1, v2
	v_mov_b32_e32 v1, v7
	scratch_store_b64 off, v[0:1], s32 offset:192 ; 8-byte Folded Spill
.LBB206_400:                            ;   in Loop: Header=BB206_15 Depth=1
	s_wait_xcnt 0x0
	s_or_b32 exec_lo, exec_lo, s16
.LBB206_401:                            ;   in Loop: Header=BB206_15 Depth=1
	s_delay_alu instid0(SALU_CYCLE_1)
	s_or_b32 exec_lo, exec_lo, s15
.LBB206_402:                            ;   in Loop: Header=BB206_15 Depth=1
	s_delay_alu instid0(SALU_CYCLE_1)
	s_or_b32 exec_lo, exec_lo, s14
	flat_load_b32 v2, v[18:19] offset:1536
	v_mov_b64_e32 v[78:79], 0
	v_mov_b64_e32 v[88:89], 0
	s_mov_b32 s14, exec_lo
	s_wait_loadcnt_dscnt 0x0
	v_and_b32_e32 v1, 0xff, v2
	s_wait_xcnt 0x0
	s_delay_alu instid0(VALU_DEP_1)
	v_cmpx_ne_u16_e32 0, v1
	s_cbranch_execz .LBB206_410
; %bb.403:                              ;   in Loop: Header=BB206_15 Depth=1
	v_mov_b64_e32 v[88:89], 0x80000000
	s_mov_b32 s15, exec_lo
	v_cmpx_ne_u16_e32 0x80, v1
	s_cbranch_execz .LBB206_409
; %bb.404:                              ;   in Loop: Header=BB206_15 Depth=1
	v_mov_b64_e32 v[88:89], 0x7f800001
	v_and_b32_e32 v4, 0x7f, v2
	s_mov_b32 s16, exec_lo
	s_delay_alu instid0(VALU_DEP_1)
	v_cmpx_ne_u32_e32 0x7f, v4
	s_cbranch_execz .LBB206_408
; %bb.405:                              ;   in Loop: Header=BB206_15 Depth=1
	scratch_load_b64 v[88:89], off, s32 offset:192 th:TH_LOAD_LU ; 8-byte Folded Reload
	s_wait_loadcnt 0x0
	v_dual_lshrrev_b32 v3, 3, v4 :: v_dual_bitop2_b32 v88, 7, v2 bitop3:0x40
	s_mov_b32 s17, exec_lo
	s_wait_xcnt 0x0
	v_cmpx_gt_u32_e32 8, v4
; %bb.406:                              ;   in Loop: Header=BB206_15 Depth=1
	s_delay_alu instid0(VALU_DEP_2) | instskip(NEXT) | instid1(VALU_DEP_1)
	v_clz_i32_u32_e32 v1, v88
	v_min_u32_e32 v1, 32, v1
	s_delay_alu instid0(VALU_DEP_1) | instskip(NEXT) | instid1(VALU_DEP_1)
	v_subrev_nc_u32_e32 v3, 28, v1
	v_lshlrev_b64_e32 v[4:5], v3, v[88:89]
	s_delay_alu instid0(VALU_DEP_1)
	v_dual_sub_nc_u32 v3, 29, v1 :: v_dual_bitop2_b32 v88, 7, v4 bitop3:0x40
; %bb.407:                              ;   in Loop: Header=BB206_15 Depth=1
	s_or_b32 exec_lo, exec_lo, s17
	s_delay_alu instid0(VALU_DEP_1) | instskip(NEXT) | instid1(VALU_DEP_2)
	v_dual_lshlrev_b32 v1, 24, v2 :: v_dual_lshlrev_b32 v4, 20, v88
	v_lshl_add_u32 v3, v3, 23, 0x3c000000
	s_delay_alu instid0(VALU_DEP_2) | instskip(NEXT) | instid1(VALU_DEP_1)
	v_and_b32_e32 v1, 0x80000000, v1
	v_or3_b32 v88, v4, v1, v3
	v_mov_b32_e32 v1, v89
	scratch_store_b64 off, v[0:1], s32 offset:192 ; 8-byte Folded Spill
.LBB206_408:                            ;   in Loop: Header=BB206_15 Depth=1
	s_wait_xcnt 0x0
	s_or_b32 exec_lo, exec_lo, s16
.LBB206_409:                            ;   in Loop: Header=BB206_15 Depth=1
	s_delay_alu instid0(SALU_CYCLE_1)
	s_or_b32 exec_lo, exec_lo, s15
.LBB206_410:                            ;   in Loop: Header=BB206_15 Depth=1
	s_delay_alu instid0(SALU_CYCLE_1) | instskip(SKIP_2) | instid1(VALU_DEP_1)
	s_or_b32 exec_lo, exec_lo, s14
	v_lshrrev_b16 v3, 8, v2
	s_mov_b32 s14, exec_lo
	v_cmpx_ne_u16_e32 0, v3
	s_cbranch_execz .LBB206_418
; %bb.411:                              ;   in Loop: Header=BB206_15 Depth=1
	v_mov_b64_e32 v[78:79], 0x8000000000000000
	s_mov_b32 s15, exec_lo
	v_cmpx_ne_u16_e32 0x80, v3
	s_cbranch_execz .LBB206_417
; %bb.412:                              ;   in Loop: Header=BB206_15 Depth=1
	v_and_b32_e32 v1, 0xffff, v3
	v_mov_b64_e32 v[78:79], 0x7f80000100000000
	s_mov_b32 s16, exec_lo
	s_delay_alu instid0(VALU_DEP_2) | instskip(NEXT) | instid1(VALU_DEP_1)
	v_and_b32_e32 v4, 0x7f, v1
	v_cmpx_ne_u32_e32 0x7f, v4
	s_cbranch_execz .LBB206_416
; %bb.413:                              ;   in Loop: Header=BB206_15 Depth=1
	scratch_load_b64 v[6:7], off, s32 offset:192 th:TH_LOAD_LU ; 8-byte Folded Reload
	s_wait_loadcnt 0x0
	v_dual_lshrrev_b32 v3, 3, v4 :: v_dual_bitop2_b32 v6, 7, v1 bitop3:0x40
	s_mov_b32 s17, exec_lo
	s_wait_xcnt 0x0
	v_cmpx_gt_u32_e32 8, v4
; %bb.414:                              ;   in Loop: Header=BB206_15 Depth=1
	s_delay_alu instid0(VALU_DEP_2) | instskip(NEXT) | instid1(VALU_DEP_1)
	v_clz_i32_u32_e32 v1, v6
	v_min_u32_e32 v1, 32, v1
	s_delay_alu instid0(VALU_DEP_1) | instskip(NEXT) | instid1(VALU_DEP_1)
	v_subrev_nc_u32_e32 v3, 28, v1
	v_lshlrev_b64_e32 v[4:5], v3, v[6:7]
	s_delay_alu instid0(VALU_DEP_1)
	v_dual_sub_nc_u32 v3, 29, v1 :: v_dual_bitop2_b32 v6, 7, v4 bitop3:0x40
; %bb.415:                              ;   in Loop: Header=BB206_15 Depth=1
	s_or_b32 exec_lo, exec_lo, s17
	v_dual_mov_b32 v78, v7 :: v_dual_lshlrev_b32 v1, 16, v2
	s_delay_alu instid0(VALU_DEP_2) | instskip(NEXT) | instid1(VALU_DEP_3)
	v_lshlrev_b32_e32 v4, 20, v6
	v_lshl_add_u32 v3, v3, 23, 0x3c000000
	s_delay_alu instid0(VALU_DEP_3) | instskip(NEXT) | instid1(VALU_DEP_1)
	v_and_b32_e32 v1, 0x80000000, v1
	v_or3_b32 v79, v4, v1, v3
	v_mov_b32_e32 v1, v7
	scratch_store_b64 off, v[0:1], s32 offset:192 ; 8-byte Folded Spill
.LBB206_416:                            ;   in Loop: Header=BB206_15 Depth=1
	s_wait_xcnt 0x0
	s_or_b32 exec_lo, exec_lo, s16
.LBB206_417:                            ;   in Loop: Header=BB206_15 Depth=1
	s_delay_alu instid0(SALU_CYCLE_1)
	s_or_b32 exec_lo, exec_lo, s15
.LBB206_418:                            ;   in Loop: Header=BB206_15 Depth=1
	s_delay_alu instid0(SALU_CYCLE_1) | instskip(SKIP_4) | instid1(VALU_DEP_3)
	s_or_b32 exec_lo, exec_lo, s14
	v_lshrrev_b32_e32 v3, 16, v2
	v_mov_b64_e32 v[90:91], 0
	v_mov_b64_e32 v[60:61], 0
	s_mov_b32 s14, exec_lo
	v_and_b32_e32 v1, 0xff, v3
	s_delay_alu instid0(VALU_DEP_1)
	v_cmpx_ne_u16_e32 0, v1
	s_cbranch_execz .LBB206_426
; %bb.419:                              ;   in Loop: Header=BB206_15 Depth=1
	v_mov_b64_e32 v[60:61], 0x80000000
	s_mov_b32 s15, exec_lo
	v_cmpx_ne_u16_e32 0x80, v1
	s_cbranch_execz .LBB206_425
; %bb.420:                              ;   in Loop: Header=BB206_15 Depth=1
	v_mov_b64_e32 v[60:61], 0x7f800001
	v_bfe_u32 v5, v2, 16, 7
	s_mov_b32 s16, exec_lo
	s_delay_alu instid0(VALU_DEP_1)
	v_cmpx_ne_u32_e32 0x7f, v5
	s_cbranch_execz .LBB206_424
; %bb.421:                              ;   in Loop: Header=BB206_15 Depth=1
	scratch_load_b64 v[60:61], off, s32 offset:192 th:TH_LOAD_LU ; 8-byte Folded Reload
	s_wait_loadcnt 0x0
	v_dual_lshrrev_b32 v4, 3, v5 :: v_dual_bitop2_b32 v60, 7, v3 bitop3:0x40
	s_mov_b32 s17, exec_lo
	s_wait_xcnt 0x0
	v_cmpx_gt_u32_e32 8, v5
; %bb.422:                              ;   in Loop: Header=BB206_15 Depth=1
	s_delay_alu instid0(VALU_DEP_2) | instskip(NEXT) | instid1(VALU_DEP_1)
	v_clz_i32_u32_e32 v1, v60
	v_min_u32_e32 v1, 32, v1
	s_delay_alu instid0(VALU_DEP_1) | instskip(NEXT) | instid1(VALU_DEP_1)
	v_subrev_nc_u32_e32 v4, 28, v1
	v_lshlrev_b64_e32 v[6:7], v4, v[60:61]
	s_delay_alu instid0(VALU_DEP_1)
	v_dual_sub_nc_u32 v4, 29, v1 :: v_dual_bitop2_b32 v60, 7, v6 bitop3:0x40
; %bb.423:                              ;   in Loop: Header=BB206_15 Depth=1
	s_or_b32 exec_lo, exec_lo, s17
	s_delay_alu instid0(VALU_DEP_1) | instskip(NEXT) | instid1(VALU_DEP_2)
	v_dual_lshlrev_b32 v1, 24, v3 :: v_dual_lshlrev_b32 v3, 20, v60
	v_lshl_add_u32 v4, v4, 23, 0x3c000000
	s_delay_alu instid0(VALU_DEP_2) | instskip(NEXT) | instid1(VALU_DEP_1)
	v_and_b32_e32 v1, 0x80000000, v1
	v_or3_b32 v60, v3, v1, v4
	v_mov_b32_e32 v1, v61
	scratch_store_b64 off, v[0:1], s32 offset:192 ; 8-byte Folded Spill
.LBB206_424:                            ;   in Loop: Header=BB206_15 Depth=1
	s_wait_xcnt 0x0
	s_or_b32 exec_lo, exec_lo, s16
.LBB206_425:                            ;   in Loop: Header=BB206_15 Depth=1
	s_delay_alu instid0(SALU_CYCLE_1)
	s_or_b32 exec_lo, exec_lo, s15
.LBB206_426:                            ;   in Loop: Header=BB206_15 Depth=1
	s_delay_alu instid0(SALU_CYCLE_1) | instskip(NEXT) | instid1(SALU_CYCLE_1)
	s_or_b32 exec_lo, exec_lo, s14
	s_mov_b32 s14, exec_lo
	v_cmpx_lt_u32_e32 0xffffff, v2
	s_cbranch_execz .LBB206_434
; %bb.427:                              ;   in Loop: Header=BB206_15 Depth=1
	v_mov_b64_e32 v[90:91], 0x8000000000000000
	v_lshrrev_b32_e32 v3, 24, v2
	s_mov_b32 s15, exec_lo
	s_delay_alu instid0(VALU_DEP_1)
	v_cmpx_ne_u32_e32 0x80, v3
	s_cbranch_execz .LBB206_433
; %bb.428:                              ;   in Loop: Header=BB206_15 Depth=1
	v_mov_b64_e32 v[90:91], 0x7f80000100000000
	v_bfe_u32 v4, v2, 24, 7
	s_mov_b32 s16, exec_lo
	s_delay_alu instid0(VALU_DEP_1)
	v_cmpx_ne_u32_e32 0x7f, v4
	s_cbranch_execz .LBB206_432
; %bb.429:                              ;   in Loop: Header=BB206_15 Depth=1
	scratch_load_b64 v[6:7], off, s32 offset:192 th:TH_LOAD_LU ; 8-byte Folded Reload
	s_wait_loadcnt 0x0
	v_dual_lshrrev_b32 v2, 3, v4 :: v_dual_bitop2_b32 v6, 7, v3 bitop3:0x40
	s_mov_b32 s17, exec_lo
	s_wait_xcnt 0x0
	v_cmpx_gt_u32_e32 8, v4
; %bb.430:                              ;   in Loop: Header=BB206_15 Depth=1
	s_delay_alu instid0(VALU_DEP_2) | instskip(NEXT) | instid1(VALU_DEP_1)
	v_clz_i32_u32_e32 v1, v6
	v_min_u32_e32 v1, 32, v1
	s_delay_alu instid0(VALU_DEP_1) | instskip(NEXT) | instid1(VALU_DEP_1)
	v_subrev_nc_u32_e32 v2, 28, v1
	v_lshlrev_b64_e32 v[4:5], v2, v[6:7]
	s_delay_alu instid0(VALU_DEP_1)
	v_dual_sub_nc_u32 v2, 29, v1 :: v_dual_bitop2_b32 v6, 7, v4 bitop3:0x40
; %bb.431:                              ;   in Loop: Header=BB206_15 Depth=1
	s_or_b32 exec_lo, exec_lo, s17
	s_delay_alu instid0(VALU_DEP_1) | instskip(NEXT) | instid1(VALU_DEP_2)
	v_dual_lshlrev_b32 v1, 24, v3 :: v_dual_lshlrev_b32 v3, 20, v6
	v_lshl_add_u32 v2, v2, 23, 0x3c000000
	v_mov_b32_e32 v90, v7
	s_delay_alu instid0(VALU_DEP_3) | instskip(NEXT) | instid1(VALU_DEP_1)
	v_and_b32_e32 v1, 0x80000000, v1
	v_or3_b32 v91, v3, v1, v2
	v_mov_b32_e32 v1, v7
	scratch_store_b64 off, v[0:1], s32 offset:192 ; 8-byte Folded Spill
.LBB206_432:                            ;   in Loop: Header=BB206_15 Depth=1
	s_wait_xcnt 0x0
	s_or_b32 exec_lo, exec_lo, s16
.LBB206_433:                            ;   in Loop: Header=BB206_15 Depth=1
	s_delay_alu instid0(SALU_CYCLE_1)
	s_or_b32 exec_lo, exec_lo, s15
.LBB206_434:                            ;   in Loop: Header=BB206_15 Depth=1
	s_delay_alu instid0(SALU_CYCLE_1)
	s_or_b32 exec_lo, exec_lo, s14
	flat_load_b32 v2, v[18:19] offset:1540
	v_mov_b64_e32 v[118:119], 0
	v_mov_b64_e32 v[46:47], 0
	s_mov_b32 s14, exec_lo
	s_wait_loadcnt_dscnt 0x0
	v_and_b32_e32 v1, 0xff, v2
	s_wait_xcnt 0x0
	s_delay_alu instid0(VALU_DEP_1)
	v_cmpx_ne_u16_e32 0, v1
	s_cbranch_execz .LBB206_442
; %bb.435:                              ;   in Loop: Header=BB206_15 Depth=1
	v_mov_b64_e32 v[46:47], 0x80000000
	s_mov_b32 s15, exec_lo
	v_cmpx_ne_u16_e32 0x80, v1
	s_cbranch_execz .LBB206_441
; %bb.436:                              ;   in Loop: Header=BB206_15 Depth=1
	v_mov_b64_e32 v[46:47], 0x7f800001
	v_and_b32_e32 v4, 0x7f, v2
	s_mov_b32 s16, exec_lo
	s_delay_alu instid0(VALU_DEP_1)
	v_cmpx_ne_u32_e32 0x7f, v4
	s_cbranch_execz .LBB206_440
; %bb.437:                              ;   in Loop: Header=BB206_15 Depth=1
	scratch_load_b64 v[46:47], off, s32 offset:192 th:TH_LOAD_LU ; 8-byte Folded Reload
	s_wait_loadcnt 0x0
	v_dual_lshrrev_b32 v3, 3, v4 :: v_dual_bitop2_b32 v46, 7, v2 bitop3:0x40
	s_mov_b32 s17, exec_lo
	s_wait_xcnt 0x0
	v_cmpx_gt_u32_e32 8, v4
; %bb.438:                              ;   in Loop: Header=BB206_15 Depth=1
	s_delay_alu instid0(VALU_DEP_2) | instskip(NEXT) | instid1(VALU_DEP_1)
	v_clz_i32_u32_e32 v1, v46
	v_min_u32_e32 v1, 32, v1
	s_delay_alu instid0(VALU_DEP_1) | instskip(NEXT) | instid1(VALU_DEP_1)
	v_subrev_nc_u32_e32 v3, 28, v1
	v_lshlrev_b64_e32 v[4:5], v3, v[46:47]
	s_delay_alu instid0(VALU_DEP_1)
	v_dual_sub_nc_u32 v3, 29, v1 :: v_dual_bitop2_b32 v46, 7, v4 bitop3:0x40
; %bb.439:                              ;   in Loop: Header=BB206_15 Depth=1
	s_or_b32 exec_lo, exec_lo, s17
	v_lshlrev_b32_e32 v1, 24, v2
	s_delay_alu instid0(VALU_DEP_2) | instskip(NEXT) | instid1(VALU_DEP_3)
	v_lshlrev_b32_e32 v4, 20, v46
	v_lshl_add_u32 v3, v3, 23, 0x3c000000
	s_delay_alu instid0(VALU_DEP_3) | instskip(NEXT) | instid1(VALU_DEP_1)
	v_and_b32_e32 v1, 0x80000000, v1
	v_or3_b32 v46, v4, v1, v3
	v_mov_b32_e32 v1, v47
	scratch_store_b64 off, v[0:1], s32 offset:192 ; 8-byte Folded Spill
.LBB206_440:                            ;   in Loop: Header=BB206_15 Depth=1
	s_wait_xcnt 0x0
	s_or_b32 exec_lo, exec_lo, s16
.LBB206_441:                            ;   in Loop: Header=BB206_15 Depth=1
	s_delay_alu instid0(SALU_CYCLE_1)
	s_or_b32 exec_lo, exec_lo, s15
.LBB206_442:                            ;   in Loop: Header=BB206_15 Depth=1
	s_delay_alu instid0(SALU_CYCLE_1) | instskip(SKIP_2) | instid1(VALU_DEP_1)
	s_or_b32 exec_lo, exec_lo, s14
	v_lshrrev_b16 v3, 8, v2
	s_mov_b32 s14, exec_lo
	v_cmpx_ne_u16_e32 0, v3
	s_cbranch_execz .LBB206_450
; %bb.443:                              ;   in Loop: Header=BB206_15 Depth=1
	v_mov_b64_e32 v[118:119], 0x8000000000000000
	s_mov_b32 s15, exec_lo
	v_cmpx_ne_u16_e32 0x80, v3
	s_cbranch_execz .LBB206_449
; %bb.444:                              ;   in Loop: Header=BB206_15 Depth=1
	v_and_b32_e32 v1, 0xffff, v3
	v_mov_b64_e32 v[118:119], 0x7f80000100000000
	s_mov_b32 s16, exec_lo
	s_delay_alu instid0(VALU_DEP_2) | instskip(NEXT) | instid1(VALU_DEP_1)
	v_and_b32_e32 v4, 0x7f, v1
	v_cmpx_ne_u32_e32 0x7f, v4
	s_cbranch_execz .LBB206_448
; %bb.445:                              ;   in Loop: Header=BB206_15 Depth=1
	scratch_load_b64 v[6:7], off, s32 offset:192 th:TH_LOAD_LU ; 8-byte Folded Reload
	s_wait_loadcnt 0x0
	v_dual_lshrrev_b32 v3, 3, v4 :: v_dual_bitop2_b32 v6, 7, v1 bitop3:0x40
	s_mov_b32 s17, exec_lo
	s_wait_xcnt 0x0
	v_cmpx_gt_u32_e32 8, v4
; %bb.446:                              ;   in Loop: Header=BB206_15 Depth=1
	s_delay_alu instid0(VALU_DEP_2) | instskip(NEXT) | instid1(VALU_DEP_1)
	v_clz_i32_u32_e32 v1, v6
	v_min_u32_e32 v1, 32, v1
	s_delay_alu instid0(VALU_DEP_1) | instskip(NEXT) | instid1(VALU_DEP_1)
	v_subrev_nc_u32_e32 v3, 28, v1
	v_lshlrev_b64_e32 v[4:5], v3, v[6:7]
	s_delay_alu instid0(VALU_DEP_1)
	v_dual_sub_nc_u32 v3, 29, v1 :: v_dual_bitop2_b32 v6, 7, v4 bitop3:0x40
; %bb.447:                              ;   in Loop: Header=BB206_15 Depth=1
	s_or_b32 exec_lo, exec_lo, s17
	v_dual_mov_b32 v118, v7 :: v_dual_lshlrev_b32 v1, 16, v2
	s_delay_alu instid0(VALU_DEP_2) | instskip(NEXT) | instid1(VALU_DEP_3)
	v_lshlrev_b32_e32 v4, 20, v6
	v_lshl_add_u32 v3, v3, 23, 0x3c000000
	s_delay_alu instid0(VALU_DEP_3) | instskip(NEXT) | instid1(VALU_DEP_1)
	v_and_b32_e32 v1, 0x80000000, v1
	v_or3_b32 v119, v4, v1, v3
	v_mov_b32_e32 v1, v7
	scratch_store_b64 off, v[0:1], s32 offset:192 ; 8-byte Folded Spill
.LBB206_448:                            ;   in Loop: Header=BB206_15 Depth=1
	s_wait_xcnt 0x0
	s_or_b32 exec_lo, exec_lo, s16
.LBB206_449:                            ;   in Loop: Header=BB206_15 Depth=1
	s_delay_alu instid0(SALU_CYCLE_1)
	s_or_b32 exec_lo, exec_lo, s15
.LBB206_450:                            ;   in Loop: Header=BB206_15 Depth=1
	s_delay_alu instid0(SALU_CYCLE_1) | instskip(SKIP_4) | instid1(VALU_DEP_3)
	s_or_b32 exec_lo, exec_lo, s14
	v_lshrrev_b32_e32 v3, 16, v2
	v_mov_b64_e32 v[106:107], 0
	v_mov_b64_e32 v[72:73], 0
	s_mov_b32 s14, exec_lo
	v_and_b32_e32 v1, 0xff, v3
	s_delay_alu instid0(VALU_DEP_1)
	v_cmpx_ne_u16_e32 0, v1
	s_cbranch_execz .LBB206_458
; %bb.451:                              ;   in Loop: Header=BB206_15 Depth=1
	v_mov_b64_e32 v[72:73], 0x80000000
	s_mov_b32 s15, exec_lo
	v_cmpx_ne_u16_e32 0x80, v1
	s_cbranch_execz .LBB206_457
; %bb.452:                              ;   in Loop: Header=BB206_15 Depth=1
	v_mov_b64_e32 v[72:73], 0x7f800001
	v_bfe_u32 v5, v2, 16, 7
	s_mov_b32 s16, exec_lo
	s_delay_alu instid0(VALU_DEP_1)
	v_cmpx_ne_u32_e32 0x7f, v5
	s_cbranch_execz .LBB206_456
; %bb.453:                              ;   in Loop: Header=BB206_15 Depth=1
	scratch_load_b64 v[72:73], off, s32 offset:192 th:TH_LOAD_LU ; 8-byte Folded Reload
	s_wait_loadcnt 0x0
	v_dual_lshrrev_b32 v4, 3, v5 :: v_dual_bitop2_b32 v72, 7, v3 bitop3:0x40
	s_mov_b32 s17, exec_lo
	s_wait_xcnt 0x0
	v_cmpx_gt_u32_e32 8, v5
; %bb.454:                              ;   in Loop: Header=BB206_15 Depth=1
	s_delay_alu instid0(VALU_DEP_2) | instskip(NEXT) | instid1(VALU_DEP_1)
	v_clz_i32_u32_e32 v1, v72
	v_min_u32_e32 v1, 32, v1
	s_delay_alu instid0(VALU_DEP_1) | instskip(NEXT) | instid1(VALU_DEP_1)
	v_subrev_nc_u32_e32 v4, 28, v1
	v_lshlrev_b64_e32 v[6:7], v4, v[72:73]
	s_delay_alu instid0(VALU_DEP_1)
	v_dual_sub_nc_u32 v4, 29, v1 :: v_dual_bitop2_b32 v72, 7, v6 bitop3:0x40
; %bb.455:                              ;   in Loop: Header=BB206_15 Depth=1
	s_or_b32 exec_lo, exec_lo, s17
	s_delay_alu instid0(VALU_DEP_1) | instskip(NEXT) | instid1(VALU_DEP_2)
	v_dual_lshlrev_b32 v1, 24, v3 :: v_dual_lshlrev_b32 v3, 20, v72
	v_lshl_add_u32 v4, v4, 23, 0x3c000000
	s_delay_alu instid0(VALU_DEP_2) | instskip(NEXT) | instid1(VALU_DEP_1)
	v_and_b32_e32 v1, 0x80000000, v1
	v_or3_b32 v72, v3, v1, v4
	v_mov_b32_e32 v1, v73
	scratch_store_b64 off, v[0:1], s32 offset:192 ; 8-byte Folded Spill
.LBB206_456:                            ;   in Loop: Header=BB206_15 Depth=1
	s_wait_xcnt 0x0
	s_or_b32 exec_lo, exec_lo, s16
.LBB206_457:                            ;   in Loop: Header=BB206_15 Depth=1
	s_delay_alu instid0(SALU_CYCLE_1)
	s_or_b32 exec_lo, exec_lo, s15
.LBB206_458:                            ;   in Loop: Header=BB206_15 Depth=1
	s_delay_alu instid0(SALU_CYCLE_1) | instskip(NEXT) | instid1(SALU_CYCLE_1)
	s_or_b32 exec_lo, exec_lo, s14
	s_mov_b32 s14, exec_lo
	v_cmpx_lt_u32_e32 0xffffff, v2
	s_cbranch_execz .LBB206_466
; %bb.459:                              ;   in Loop: Header=BB206_15 Depth=1
	v_mov_b64_e32 v[106:107], 0x8000000000000000
	v_lshrrev_b32_e32 v3, 24, v2
	s_mov_b32 s15, exec_lo
	s_delay_alu instid0(VALU_DEP_1)
	v_cmpx_ne_u32_e32 0x80, v3
	s_cbranch_execz .LBB206_465
; %bb.460:                              ;   in Loop: Header=BB206_15 Depth=1
	v_mov_b64_e32 v[106:107], 0x7f80000100000000
	v_bfe_u32 v4, v2, 24, 7
	s_mov_b32 s16, exec_lo
	s_delay_alu instid0(VALU_DEP_1)
	v_cmpx_ne_u32_e32 0x7f, v4
	s_cbranch_execz .LBB206_464
; %bb.461:                              ;   in Loop: Header=BB206_15 Depth=1
	scratch_load_b64 v[6:7], off, s32 offset:192 th:TH_LOAD_LU ; 8-byte Folded Reload
	s_wait_loadcnt 0x0
	v_dual_lshrrev_b32 v2, 3, v4 :: v_dual_bitop2_b32 v6, 7, v3 bitop3:0x40
	s_mov_b32 s17, exec_lo
	s_wait_xcnt 0x0
	v_cmpx_gt_u32_e32 8, v4
; %bb.462:                              ;   in Loop: Header=BB206_15 Depth=1
	s_delay_alu instid0(VALU_DEP_2) | instskip(NEXT) | instid1(VALU_DEP_1)
	v_clz_i32_u32_e32 v1, v6
	v_min_u32_e32 v1, 32, v1
	s_delay_alu instid0(VALU_DEP_1) | instskip(NEXT) | instid1(VALU_DEP_1)
	v_subrev_nc_u32_e32 v2, 28, v1
	v_lshlrev_b64_e32 v[4:5], v2, v[6:7]
	s_delay_alu instid0(VALU_DEP_1)
	v_dual_sub_nc_u32 v2, 29, v1 :: v_dual_bitop2_b32 v6, 7, v4 bitop3:0x40
; %bb.463:                              ;   in Loop: Header=BB206_15 Depth=1
	s_or_b32 exec_lo, exec_lo, s17
	s_delay_alu instid0(VALU_DEP_1) | instskip(NEXT) | instid1(VALU_DEP_2)
	v_dual_lshlrev_b32 v1, 24, v3 :: v_dual_lshlrev_b32 v3, 20, v6
	v_lshl_add_u32 v2, v2, 23, 0x3c000000
	v_mov_b32_e32 v106, v7
	s_delay_alu instid0(VALU_DEP_3) | instskip(NEXT) | instid1(VALU_DEP_1)
	v_and_b32_e32 v1, 0x80000000, v1
	v_or3_b32 v107, v3, v1, v2
	v_mov_b32_e32 v1, v7
	scratch_store_b64 off, v[0:1], s32 offset:192 ; 8-byte Folded Spill
.LBB206_464:                            ;   in Loop: Header=BB206_15 Depth=1
	s_wait_xcnt 0x0
	s_or_b32 exec_lo, exec_lo, s16
.LBB206_465:                            ;   in Loop: Header=BB206_15 Depth=1
	s_delay_alu instid0(SALU_CYCLE_1)
	s_or_b32 exec_lo, exec_lo, s15
.LBB206_466:                            ;   in Loop: Header=BB206_15 Depth=1
	s_delay_alu instid0(SALU_CYCLE_1)
	s_or_b32 exec_lo, exec_lo, s14
	flat_load_b32 v2, v[18:19] offset:1544
	v_mov_b64_e32 v[20:21], 0
	v_mov_b64_e32 v[120:121], 0
	s_mov_b32 s14, exec_lo
	s_wait_loadcnt_dscnt 0x0
	v_and_b32_e32 v1, 0xff, v2
	s_wait_xcnt 0x0
	s_delay_alu instid0(VALU_DEP_1)
	v_cmpx_ne_u16_e32 0, v1
	s_cbranch_execz .LBB206_474
; %bb.467:                              ;   in Loop: Header=BB206_15 Depth=1
	v_mov_b64_e32 v[120:121], 0x80000000
	s_mov_b32 s15, exec_lo
	v_cmpx_ne_u16_e32 0x80, v1
	s_cbranch_execz .LBB206_473
; %bb.468:                              ;   in Loop: Header=BB206_15 Depth=1
	v_mov_b64_e32 v[120:121], 0x7f800001
	v_and_b32_e32 v4, 0x7f, v2
	s_mov_b32 s16, exec_lo
	s_delay_alu instid0(VALU_DEP_1)
	v_cmpx_ne_u32_e32 0x7f, v4
	s_cbranch_execz .LBB206_472
; %bb.469:                              ;   in Loop: Header=BB206_15 Depth=1
	scratch_load_b64 v[120:121], off, s32 offset:192 th:TH_LOAD_LU ; 8-byte Folded Reload
	s_wait_loadcnt 0x0
	v_dual_lshrrev_b32 v3, 3, v4 :: v_dual_bitop2_b32 v120, 7, v2 bitop3:0x40
	s_mov_b32 s17, exec_lo
	s_wait_xcnt 0x0
	v_cmpx_gt_u32_e32 8, v4
; %bb.470:                              ;   in Loop: Header=BB206_15 Depth=1
	s_delay_alu instid0(VALU_DEP_2) | instskip(NEXT) | instid1(VALU_DEP_1)
	v_clz_i32_u32_e32 v1, v120
	v_min_u32_e32 v1, 32, v1
	s_delay_alu instid0(VALU_DEP_1) | instskip(NEXT) | instid1(VALU_DEP_1)
	v_subrev_nc_u32_e32 v3, 28, v1
	v_lshlrev_b64_e32 v[4:5], v3, v[120:121]
	s_delay_alu instid0(VALU_DEP_1)
	v_dual_sub_nc_u32 v3, 29, v1 :: v_dual_bitop2_b32 v120, 7, v4 bitop3:0x40
; %bb.471:                              ;   in Loop: Header=BB206_15 Depth=1
	s_or_b32 exec_lo, exec_lo, s17
	s_delay_alu instid0(VALU_DEP_1) | instskip(NEXT) | instid1(VALU_DEP_2)
	v_dual_lshlrev_b32 v1, 24, v2 :: v_dual_lshlrev_b32 v4, 20, v120
	v_lshl_add_u32 v3, v3, 23, 0x3c000000
	s_delay_alu instid0(VALU_DEP_2) | instskip(NEXT) | instid1(VALU_DEP_1)
	v_and_b32_e32 v1, 0x80000000, v1
	v_or3_b32 v120, v4, v1, v3
	v_mov_b32_e32 v1, v121
	scratch_store_b64 off, v[0:1], s32 offset:192 ; 8-byte Folded Spill
.LBB206_472:                            ;   in Loop: Header=BB206_15 Depth=1
	s_wait_xcnt 0x0
	s_or_b32 exec_lo, exec_lo, s16
.LBB206_473:                            ;   in Loop: Header=BB206_15 Depth=1
	s_delay_alu instid0(SALU_CYCLE_1)
	s_or_b32 exec_lo, exec_lo, s15
.LBB206_474:                            ;   in Loop: Header=BB206_15 Depth=1
	s_delay_alu instid0(SALU_CYCLE_1) | instskip(SKIP_2) | instid1(VALU_DEP_1)
	s_or_b32 exec_lo, exec_lo, s14
	v_lshrrev_b16 v3, 8, v2
	s_mov_b32 s14, exec_lo
	v_cmpx_ne_u16_e32 0, v3
	s_cbranch_execz .LBB206_482
; %bb.475:                              ;   in Loop: Header=BB206_15 Depth=1
	v_mov_b64_e32 v[20:21], 0x8000000000000000
	s_mov_b32 s15, exec_lo
	v_cmpx_ne_u16_e32 0x80, v3
	s_cbranch_execz .LBB206_481
; %bb.476:                              ;   in Loop: Header=BB206_15 Depth=1
	v_and_b32_e32 v1, 0xffff, v3
	v_mov_b64_e32 v[20:21], 0x7f80000100000000
	s_mov_b32 s16, exec_lo
	s_delay_alu instid0(VALU_DEP_2) | instskip(NEXT) | instid1(VALU_DEP_1)
	v_and_b32_e32 v4, 0x7f, v1
	v_cmpx_ne_u32_e32 0x7f, v4
	s_cbranch_execz .LBB206_480
; %bb.477:                              ;   in Loop: Header=BB206_15 Depth=1
	scratch_load_b64 v[6:7], off, s32 offset:192 th:TH_LOAD_LU ; 8-byte Folded Reload
	s_wait_loadcnt 0x0
	v_dual_lshrrev_b32 v3, 3, v4 :: v_dual_bitop2_b32 v6, 7, v1 bitop3:0x40
	s_mov_b32 s17, exec_lo
	s_wait_xcnt 0x0
	v_cmpx_gt_u32_e32 8, v4
; %bb.478:                              ;   in Loop: Header=BB206_15 Depth=1
	s_delay_alu instid0(VALU_DEP_2) | instskip(NEXT) | instid1(VALU_DEP_1)
	v_clz_i32_u32_e32 v1, v6
	v_min_u32_e32 v1, 32, v1
	s_delay_alu instid0(VALU_DEP_1) | instskip(NEXT) | instid1(VALU_DEP_1)
	v_subrev_nc_u32_e32 v3, 28, v1
	v_lshlrev_b64_e32 v[4:5], v3, v[6:7]
	s_delay_alu instid0(VALU_DEP_1)
	v_dual_sub_nc_u32 v3, 29, v1 :: v_dual_bitop2_b32 v6, 7, v4 bitop3:0x40
; %bb.479:                              ;   in Loop: Header=BB206_15 Depth=1
	s_or_b32 exec_lo, exec_lo, s17
	v_dual_mov_b32 v20, v7 :: v_dual_lshlrev_b32 v1, 16, v2
	s_delay_alu instid0(VALU_DEP_2) | instskip(NEXT) | instid1(VALU_DEP_3)
	v_lshlrev_b32_e32 v4, 20, v6
	v_lshl_add_u32 v3, v3, 23, 0x3c000000
	s_delay_alu instid0(VALU_DEP_3) | instskip(NEXT) | instid1(VALU_DEP_1)
	v_and_b32_e32 v1, 0x80000000, v1
	v_or3_b32 v21, v4, v1, v3
	v_mov_b32_e32 v1, v7
	scratch_store_b64 off, v[0:1], s32 offset:192 ; 8-byte Folded Spill
.LBB206_480:                            ;   in Loop: Header=BB206_15 Depth=1
	s_wait_xcnt 0x0
	s_or_b32 exec_lo, exec_lo, s16
.LBB206_481:                            ;   in Loop: Header=BB206_15 Depth=1
	s_delay_alu instid0(SALU_CYCLE_1)
	s_or_b32 exec_lo, exec_lo, s15
.LBB206_482:                            ;   in Loop: Header=BB206_15 Depth=1
	s_delay_alu instid0(SALU_CYCLE_1) | instskip(SKIP_4) | instid1(VALU_DEP_3)
	s_or_b32 exec_lo, exec_lo, s14
	v_lshrrev_b32_e32 v3, 16, v2
	v_mov_b64_e32 v[6:7], 0
	v_mov_b64_e32 v[22:23], 0
	s_mov_b32 s14, exec_lo
	v_and_b32_e32 v1, 0xff, v3
	s_delay_alu instid0(VALU_DEP_1)
	v_cmpx_ne_u16_e32 0, v1
	s_cbranch_execz .LBB206_490
; %bb.483:                              ;   in Loop: Header=BB206_15 Depth=1
	v_mov_b64_e32 v[22:23], 0x80000000
	s_mov_b32 s15, exec_lo
	v_cmpx_ne_u16_e32 0x80, v1
	s_cbranch_execz .LBB206_489
; %bb.484:                              ;   in Loop: Header=BB206_15 Depth=1
	v_mov_b64_e32 v[22:23], 0x7f800001
	v_bfe_u32 v5, v2, 16, 7
	s_mov_b32 s16, exec_lo
	s_delay_alu instid0(VALU_DEP_1)
	v_cmpx_ne_u32_e32 0x7f, v5
	s_cbranch_execz .LBB206_488
; %bb.485:                              ;   in Loop: Header=BB206_15 Depth=1
	scratch_load_b64 v[22:23], off, s32 offset:192 th:TH_LOAD_LU ; 8-byte Folded Reload
	s_wait_loadcnt 0x0
	v_dual_lshrrev_b32 v4, 3, v5 :: v_dual_bitop2_b32 v22, 7, v3 bitop3:0x40
	s_mov_b32 s17, exec_lo
	s_wait_xcnt 0x0
	v_cmpx_gt_u32_e32 8, v5
; %bb.486:                              ;   in Loop: Header=BB206_15 Depth=1
	s_delay_alu instid0(VALU_DEP_2) | instskip(NEXT) | instid1(VALU_DEP_1)
	v_clz_i32_u32_e32 v1, v22
	v_min_u32_e32 v1, 32, v1
	s_delay_alu instid0(VALU_DEP_1) | instskip(NEXT) | instid1(VALU_DEP_1)
	v_subrev_nc_u32_e32 v4, 28, v1
	v_lshlrev_b64_e32 v[10:11], v4, v[22:23]
	s_delay_alu instid0(VALU_DEP_1)
	v_dual_sub_nc_u32 v4, 29, v1 :: v_dual_bitop2_b32 v22, 7, v10 bitop3:0x40
; %bb.487:                              ;   in Loop: Header=BB206_15 Depth=1
	s_or_b32 exec_lo, exec_lo, s17
	s_delay_alu instid0(VALU_DEP_1) | instskip(NEXT) | instid1(VALU_DEP_2)
	v_dual_lshlrev_b32 v1, 24, v3 :: v_dual_lshlrev_b32 v3, 20, v22
	v_lshl_add_u32 v4, v4, 23, 0x3c000000
	s_delay_alu instid0(VALU_DEP_2) | instskip(NEXT) | instid1(VALU_DEP_1)
	v_and_b32_e32 v1, 0x80000000, v1
	v_or3_b32 v22, v3, v1, v4
	v_mov_b32_e32 v1, v23
	scratch_store_b64 off, v[0:1], s32 offset:192 ; 8-byte Folded Spill
.LBB206_488:                            ;   in Loop: Header=BB206_15 Depth=1
	s_wait_xcnt 0x0
	s_or_b32 exec_lo, exec_lo, s16
.LBB206_489:                            ;   in Loop: Header=BB206_15 Depth=1
	s_delay_alu instid0(SALU_CYCLE_1)
	s_or_b32 exec_lo, exec_lo, s15
.LBB206_490:                            ;   in Loop: Header=BB206_15 Depth=1
	s_delay_alu instid0(SALU_CYCLE_1) | instskip(NEXT) | instid1(SALU_CYCLE_1)
	s_or_b32 exec_lo, exec_lo, s14
	s_mov_b32 s14, exec_lo
	v_cmpx_lt_u32_e32 0xffffff, v2
	s_cbranch_execz .LBB206_498
; %bb.491:                              ;   in Loop: Header=BB206_15 Depth=1
	v_mov_b64_e32 v[6:7], 0x8000000000000000
	v_lshrrev_b32_e32 v3, 24, v2
	s_mov_b32 s15, exec_lo
	s_delay_alu instid0(VALU_DEP_1)
	v_cmpx_ne_u32_e32 0x80, v3
	s_cbranch_execz .LBB206_497
; %bb.492:                              ;   in Loop: Header=BB206_15 Depth=1
	v_mov_b64_e32 v[6:7], 0x7f80000100000000
	v_bfe_u32 v4, v2, 24, 7
	s_mov_b32 s16, exec_lo
	s_delay_alu instid0(VALU_DEP_1)
	v_cmpx_ne_u32_e32 0x7f, v4
	s_cbranch_execz .LBB206_496
; %bb.493:                              ;   in Loop: Header=BB206_15 Depth=1
	scratch_load_b64 v[8:9], off, s32 offset:192 th:TH_LOAD_LU ; 8-byte Folded Reload
	s_wait_loadcnt 0x0
	v_dual_lshrrev_b32 v2, 3, v4 :: v_dual_bitop2_b32 v8, 7, v3 bitop3:0x40
	s_mov_b32 s17, exec_lo
	s_wait_xcnt 0x0
	v_cmpx_gt_u32_e32 8, v4
; %bb.494:                              ;   in Loop: Header=BB206_15 Depth=1
	s_delay_alu instid0(VALU_DEP_2) | instskip(NEXT) | instid1(VALU_DEP_1)
	v_clz_i32_u32_e32 v1, v8
	v_min_u32_e32 v1, 32, v1
	s_delay_alu instid0(VALU_DEP_1) | instskip(NEXT) | instid1(VALU_DEP_1)
	v_subrev_nc_u32_e32 v2, 28, v1
	v_lshlrev_b64_e32 v[4:5], v2, v[8:9]
	s_delay_alu instid0(VALU_DEP_1)
	v_dual_sub_nc_u32 v2, 29, v1 :: v_dual_bitop2_b32 v8, 7, v4 bitop3:0x40
; %bb.495:                              ;   in Loop: Header=BB206_15 Depth=1
	s_or_b32 exec_lo, exec_lo, s17
	s_delay_alu instid0(VALU_DEP_1) | instskip(NEXT) | instid1(VALU_DEP_2)
	v_dual_lshlrev_b32 v1, 24, v3 :: v_dual_lshlrev_b32 v3, 20, v8
	v_lshl_add_u32 v2, v2, 23, 0x3c000000
	v_mov_b32_e32 v6, v9
	s_delay_alu instid0(VALU_DEP_3) | instskip(NEXT) | instid1(VALU_DEP_1)
	v_and_b32_e32 v1, 0x80000000, v1
	v_or3_b32 v7, v3, v1, v2
	v_mov_b32_e32 v1, v9
	scratch_store_b64 off, v[0:1], s32 offset:192 ; 8-byte Folded Spill
.LBB206_496:                            ;   in Loop: Header=BB206_15 Depth=1
	s_wait_xcnt 0x0
	s_or_b32 exec_lo, exec_lo, s16
.LBB206_497:                            ;   in Loop: Header=BB206_15 Depth=1
	s_delay_alu instid0(SALU_CYCLE_1)
	s_or_b32 exec_lo, exec_lo, s15
.LBB206_498:                            ;   in Loop: Header=BB206_15 Depth=1
	s_delay_alu instid0(SALU_CYCLE_1)
	s_or_b32 exec_lo, exec_lo, s14
	flat_load_b32 v2, v[18:19] offset:1548
	v_mov_b64_e32 v[10:11], 0
	v_mov_b64_e32 v[4:5], 0
	s_mov_b32 s14, exec_lo
	s_wait_loadcnt_dscnt 0x0
	v_and_b32_e32 v1, 0xff, v2
	s_wait_xcnt 0x0
	s_delay_alu instid0(VALU_DEP_1)
	v_cmpx_ne_u16_e32 0, v1
	s_cbranch_execz .LBB206_506
; %bb.499:                              ;   in Loop: Header=BB206_15 Depth=1
	v_mov_b64_e32 v[4:5], 0x80000000
	s_mov_b32 s15, exec_lo
	v_cmpx_ne_u16_e32 0x80, v1
	s_cbranch_execz .LBB206_505
; %bb.500:                              ;   in Loop: Header=BB206_15 Depth=1
	v_mov_b64_e32 v[4:5], 0x7f800001
	v_and_b32_e32 v8, 0x7f, v2
	s_mov_b32 s16, exec_lo
	s_delay_alu instid0(VALU_DEP_1)
	v_cmpx_ne_u32_e32 0x7f, v8
	s_cbranch_execz .LBB206_504
; %bb.501:                              ;   in Loop: Header=BB206_15 Depth=1
	scratch_load_b64 v[12:13], off, s32 offset:192 th:TH_LOAD_LU ; 8-byte Folded Reload
	s_wait_loadcnt 0x0
	v_dual_lshrrev_b32 v3, 3, v8 :: v_dual_bitop2_b32 v12, 7, v2 bitop3:0x40
	s_mov_b32 s17, exec_lo
	s_wait_xcnt 0x0
	v_cmpx_gt_u32_e32 8, v8
; %bb.502:                              ;   in Loop: Header=BB206_15 Depth=1
	s_delay_alu instid0(VALU_DEP_2) | instskip(NEXT) | instid1(VALU_DEP_1)
	v_clz_i32_u32_e32 v1, v12
	v_min_u32_e32 v1, 32, v1
	s_delay_alu instid0(VALU_DEP_1) | instskip(NEXT) | instid1(VALU_DEP_1)
	v_subrev_nc_u32_e32 v3, 28, v1
	v_lshlrev_b64_e32 v[4:5], v3, v[12:13]
	s_delay_alu instid0(VALU_DEP_1)
	v_dual_sub_nc_u32 v3, 29, v1 :: v_dual_bitop2_b32 v12, 7, v4 bitop3:0x40
; %bb.503:                              ;   in Loop: Header=BB206_15 Depth=1
	s_or_b32 exec_lo, exec_lo, s17
	s_delay_alu instid0(VALU_DEP_1) | instskip(NEXT) | instid1(VALU_DEP_2)
	v_dual_lshlrev_b32 v1, 24, v2 :: v_dual_lshlrev_b32 v4, 20, v12
	v_lshl_add_u32 v3, v3, 23, 0x3c000000
	s_delay_alu instid0(VALU_DEP_2) | instskip(NEXT) | instid1(VALU_DEP_1)
	v_and_b32_e32 v1, 0x80000000, v1
	v_or3_b32 v12, v4, v1, v3
	v_mov_b32_e32 v1, v13
	s_delay_alu instid0(VALU_DEP_2)
	v_mov_b64_e32 v[4:5], v[12:13]
	scratch_store_b64 off, v[0:1], s32 offset:192 ; 8-byte Folded Spill
.LBB206_504:                            ;   in Loop: Header=BB206_15 Depth=1
	s_wait_xcnt 0x0
	s_or_b32 exec_lo, exec_lo, s16
.LBB206_505:                            ;   in Loop: Header=BB206_15 Depth=1
	s_delay_alu instid0(SALU_CYCLE_1)
	s_or_b32 exec_lo, exec_lo, s15
.LBB206_506:                            ;   in Loop: Header=BB206_15 Depth=1
	s_delay_alu instid0(SALU_CYCLE_1) | instskip(SKIP_2) | instid1(VALU_DEP_1)
	s_or_b32 exec_lo, exec_lo, s14
	v_lshrrev_b16 v3, 8, v2
	s_mov_b32 s14, exec_lo
	v_cmpx_ne_u16_e32 0, v3
	s_cbranch_execz .LBB206_514
; %bb.507:                              ;   in Loop: Header=BB206_15 Depth=1
	v_mov_b64_e32 v[10:11], 0x8000000000000000
	s_mov_b32 s15, exec_lo
	v_cmpx_ne_u16_e32 0x80, v3
	s_cbranch_execz .LBB206_513
; %bb.508:                              ;   in Loop: Header=BB206_15 Depth=1
	v_and_b32_e32 v1, 0xffff, v3
	v_mov_b64_e32 v[10:11], 0x7f80000100000000
	s_mov_b32 s16, exec_lo
	s_delay_alu instid0(VALU_DEP_2) | instskip(NEXT) | instid1(VALU_DEP_1)
	v_and_b32_e32 v8, 0x7f, v1
	v_cmpx_ne_u32_e32 0x7f, v8
	s_cbranch_execz .LBB206_512
; %bb.509:                              ;   in Loop: Header=BB206_15 Depth=1
	scratch_load_b64 v[12:13], off, s32 offset:192 th:TH_LOAD_LU ; 8-byte Folded Reload
	s_wait_loadcnt 0x0
	v_dual_lshrrev_b32 v3, 3, v8 :: v_dual_bitop2_b32 v12, 7, v1 bitop3:0x40
	s_mov_b32 s17, exec_lo
	s_wait_xcnt 0x0
	v_cmpx_gt_u32_e32 8, v8
; %bb.510:                              ;   in Loop: Header=BB206_15 Depth=1
	s_delay_alu instid0(VALU_DEP_2) | instskip(NEXT) | instid1(VALU_DEP_1)
	v_clz_i32_u32_e32 v1, v12
	v_min_u32_e32 v1, 32, v1
	s_delay_alu instid0(VALU_DEP_1) | instskip(NEXT) | instid1(VALU_DEP_1)
	v_subrev_nc_u32_e32 v3, 28, v1
	v_lshlrev_b64_e32 v[10:11], v3, v[12:13]
	s_delay_alu instid0(VALU_DEP_1)
	v_dual_sub_nc_u32 v3, 29, v1 :: v_dual_bitop2_b32 v12, 7, v10 bitop3:0x40
; %bb.511:                              ;   in Loop: Header=BB206_15 Depth=1
	s_or_b32 exec_lo, exec_lo, s17
	s_delay_alu instid0(VALU_DEP_1) | instskip(NEXT) | instid1(VALU_DEP_2)
	v_dual_lshlrev_b32 v1, 16, v2 :: v_dual_lshlrev_b32 v8, 20, v12
	v_lshl_add_u32 v3, v3, 23, 0x3c000000
	v_mov_b32_e32 v10, v13
	s_delay_alu instid0(VALU_DEP_3) | instskip(NEXT) | instid1(VALU_DEP_1)
	v_and_b32_e32 v1, 0x80000000, v1
	v_or3_b32 v11, v8, v1, v3
	v_mov_b32_e32 v1, v13
	scratch_store_b64 off, v[0:1], s32 offset:192 ; 8-byte Folded Spill
.LBB206_512:                            ;   in Loop: Header=BB206_15 Depth=1
	s_wait_xcnt 0x0
	s_or_b32 exec_lo, exec_lo, s16
.LBB206_513:                            ;   in Loop: Header=BB206_15 Depth=1
	s_delay_alu instid0(SALU_CYCLE_1)
	s_or_b32 exec_lo, exec_lo, s15
.LBB206_514:                            ;   in Loop: Header=BB206_15 Depth=1
	s_delay_alu instid0(SALU_CYCLE_1) | instskip(SKIP_4) | instid1(VALU_DEP_3)
	s_or_b32 exec_lo, exec_lo, s14
	v_lshrrev_b32_e32 v3, 16, v2
	v_mov_b64_e32 v[26:27], 0
	v_mov_b64_e32 v[14:15], 0
	s_mov_b32 s14, exec_lo
	v_and_b32_e32 v1, 0xff, v3
	s_delay_alu instid0(VALU_DEP_1)
	v_cmpx_ne_u16_e32 0, v1
	s_cbranch_execz .LBB206_522
; %bb.515:                              ;   in Loop: Header=BB206_15 Depth=1
	v_mov_b64_e32 v[14:15], 0x80000000
	s_mov_b32 s15, exec_lo
	v_cmpx_ne_u16_e32 0x80, v1
	s_cbranch_execz .LBB206_521
; %bb.516:                              ;   in Loop: Header=BB206_15 Depth=1
	v_mov_b64_e32 v[14:15], 0x7f800001
	v_bfe_u32 v12, v2, 16, 7
	s_mov_b32 s16, exec_lo
	s_delay_alu instid0(VALU_DEP_1)
	v_cmpx_ne_u32_e32 0x7f, v12
	s_cbranch_execz .LBB206_520
; %bb.517:                              ;   in Loop: Header=BB206_15 Depth=1
	scratch_load_b64 v[14:15], off, s32 offset:192 th:TH_LOAD_LU ; 8-byte Folded Reload
	s_wait_loadcnt 0x0
	v_dual_lshrrev_b32 v8, 3, v12 :: v_dual_bitop2_b32 v14, 7, v3 bitop3:0x40
	s_mov_b32 s17, exec_lo
	s_wait_xcnt 0x0
	v_cmpx_gt_u32_e32 8, v12
; %bb.518:                              ;   in Loop: Header=BB206_15 Depth=1
	s_delay_alu instid0(VALU_DEP_2) | instskip(NEXT) | instid1(VALU_DEP_1)
	v_clz_i32_u32_e32 v1, v14
	v_min_u32_e32 v1, 32, v1
	s_delay_alu instid0(VALU_DEP_1) | instskip(NEXT) | instid1(VALU_DEP_1)
	v_subrev_nc_u32_e32 v8, 28, v1
	v_lshlrev_b64_e32 v[12:13], v8, v[14:15]
	s_delay_alu instid0(VALU_DEP_1)
	v_dual_sub_nc_u32 v8, 29, v1 :: v_dual_bitop2_b32 v14, 7, v12 bitop3:0x40
; %bb.519:                              ;   in Loop: Header=BB206_15 Depth=1
	s_or_b32 exec_lo, exec_lo, s17
	s_delay_alu instid0(VALU_DEP_1) | instskip(NEXT) | instid1(VALU_DEP_2)
	v_dual_lshlrev_b32 v1, 24, v3 :: v_dual_lshlrev_b32 v3, 20, v14
	v_lshl_add_u32 v8, v8, 23, 0x3c000000
	s_delay_alu instid0(VALU_DEP_2) | instskip(NEXT) | instid1(VALU_DEP_1)
	v_and_b32_e32 v1, 0x80000000, v1
	v_or3_b32 v14, v3, v1, v8
	v_mov_b32_e32 v1, v15
	scratch_store_b64 off, v[0:1], s32 offset:192 ; 8-byte Folded Spill
.LBB206_520:                            ;   in Loop: Header=BB206_15 Depth=1
	s_wait_xcnt 0x0
	s_or_b32 exec_lo, exec_lo, s16
.LBB206_521:                            ;   in Loop: Header=BB206_15 Depth=1
	s_delay_alu instid0(SALU_CYCLE_1)
	s_or_b32 exec_lo, exec_lo, s15
.LBB206_522:                            ;   in Loop: Header=BB206_15 Depth=1
	s_delay_alu instid0(SALU_CYCLE_1) | instskip(NEXT) | instid1(SALU_CYCLE_1)
	s_or_b32 exec_lo, exec_lo, s14
	s_mov_b32 s14, exec_lo
	v_cmpx_lt_u32_e32 0xffffff, v2
	s_cbranch_execz .LBB206_530
; %bb.523:                              ;   in Loop: Header=BB206_15 Depth=1
	v_mov_b64_e32 v[26:27], 0x8000000000000000
	v_lshrrev_b32_e32 v3, 24, v2
	s_mov_b32 s15, exec_lo
	s_delay_alu instid0(VALU_DEP_1)
	v_cmpx_ne_u32_e32 0x80, v3
	s_cbranch_execz .LBB206_529
; %bb.524:                              ;   in Loop: Header=BB206_15 Depth=1
	v_mov_b64_e32 v[26:27], 0x7f80000100000000
	v_bfe_u32 v8, v2, 24, 7
	s_mov_b32 s16, exec_lo
	s_delay_alu instid0(VALU_DEP_1)
	v_cmpx_ne_u32_e32 0x7f, v8
	s_cbranch_execz .LBB206_528
; %bb.525:                              ;   in Loop: Header=BB206_15 Depth=1
	scratch_load_b64 v[24:25], off, s32 offset:192 th:TH_LOAD_LU ; 8-byte Folded Reload
	s_wait_loadcnt 0x0
	v_dual_lshrrev_b32 v2, 3, v8 :: v_dual_bitop2_b32 v24, 7, v3 bitop3:0x40
	s_mov_b32 s17, exec_lo
	s_wait_xcnt 0x0
	v_cmpx_gt_u32_e32 8, v8
; %bb.526:                              ;   in Loop: Header=BB206_15 Depth=1
	s_delay_alu instid0(VALU_DEP_2) | instskip(NEXT) | instid1(VALU_DEP_1)
	v_clz_i32_u32_e32 v1, v24
	v_min_u32_e32 v1, 32, v1
	s_delay_alu instid0(VALU_DEP_1) | instskip(NEXT) | instid1(VALU_DEP_1)
	v_subrev_nc_u32_e32 v2, 28, v1
	v_lshlrev_b64_e32 v[12:13], v2, v[24:25]
	s_delay_alu instid0(VALU_DEP_1)
	v_dual_sub_nc_u32 v2, 29, v1 :: v_dual_bitop2_b32 v24, 7, v12 bitop3:0x40
; %bb.527:                              ;   in Loop: Header=BB206_15 Depth=1
	s_or_b32 exec_lo, exec_lo, s17
	s_delay_alu instid0(VALU_DEP_1) | instskip(NEXT) | instid1(VALU_DEP_2)
	v_dual_lshlrev_b32 v1, 24, v3 :: v_dual_lshlrev_b32 v3, 20, v24
	v_lshl_add_u32 v2, v2, 23, 0x3c000000
	v_mov_b32_e32 v26, v25
	s_delay_alu instid0(VALU_DEP_3) | instskip(NEXT) | instid1(VALU_DEP_1)
	v_and_b32_e32 v1, 0x80000000, v1
	v_or3_b32 v27, v3, v1, v2
	v_mov_b32_e32 v1, v25
	scratch_store_b64 off, v[0:1], s32 offset:192 ; 8-byte Folded Spill
.LBB206_528:                            ;   in Loop: Header=BB206_15 Depth=1
	s_wait_xcnt 0x0
	s_or_b32 exec_lo, exec_lo, s16
.LBB206_529:                            ;   in Loop: Header=BB206_15 Depth=1
	s_delay_alu instid0(SALU_CYCLE_1)
	s_or_b32 exec_lo, exec_lo, s15
.LBB206_530:                            ;   in Loop: Header=BB206_15 Depth=1
	s_delay_alu instid0(SALU_CYCLE_1)
	s_or_b32 exec_lo, exec_lo, s14
	flat_load_b32 v12, v[18:19] offset:2048
	v_mov_b64_e32 v[126:127], 0
	v_mov_b64_e32 v[30:31], 0
	s_mov_b32 s14, exec_lo
	s_wait_loadcnt_dscnt 0x0
	v_and_b32_e32 v1, 0xff, v12
	s_wait_xcnt 0x0
	s_delay_alu instid0(VALU_DEP_1)
	v_cmpx_ne_u16_e32 0, v1
	s_cbranch_execz .LBB206_538
; %bb.531:                              ;   in Loop: Header=BB206_15 Depth=1
	v_mov_b64_e32 v[30:31], 0x80000000
	s_mov_b32 s15, exec_lo
	v_cmpx_ne_u16_e32 0x80, v1
	s_cbranch_execz .LBB206_537
; %bb.532:                              ;   in Loop: Header=BB206_15 Depth=1
	v_mov_b64_e32 v[30:31], 0x7f800001
	v_and_b32_e32 v3, 0x7f, v12
	s_mov_b32 s16, exec_lo
	s_delay_alu instid0(VALU_DEP_1)
	v_cmpx_ne_u32_e32 0x7f, v3
	s_cbranch_execz .LBB206_536
; %bb.533:                              ;   in Loop: Header=BB206_15 Depth=1
	scratch_load_b64 v[30:31], off, s32 offset:192 th:TH_LOAD_LU ; 8-byte Folded Reload
	s_wait_loadcnt 0x0
	v_dual_lshrrev_b32 v2, 3, v3 :: v_dual_bitop2_b32 v30, 7, v12 bitop3:0x40
	s_mov_b32 s17, exec_lo
	s_wait_xcnt 0x0
	v_cmpx_gt_u32_e32 8, v3
; %bb.534:                              ;   in Loop: Header=BB206_15 Depth=1
	s_delay_alu instid0(VALU_DEP_2) | instskip(NEXT) | instid1(VALU_DEP_1)
	v_clz_i32_u32_e32 v1, v30
	v_min_u32_e32 v1, 32, v1
	s_delay_alu instid0(VALU_DEP_1) | instskip(NEXT) | instid1(VALU_DEP_1)
	v_subrev_nc_u32_e32 v2, 28, v1
	v_lshlrev_b64_e32 v[28:29], v2, v[30:31]
	s_delay_alu instid0(VALU_DEP_1)
	v_dual_sub_nc_u32 v2, 29, v1 :: v_dual_bitop2_b32 v30, 7, v28 bitop3:0x40
; %bb.535:                              ;   in Loop: Header=BB206_15 Depth=1
	s_or_b32 exec_lo, exec_lo, s17
	s_delay_alu instid0(VALU_DEP_1) | instskip(NEXT) | instid1(VALU_DEP_2)
	v_dual_lshlrev_b32 v1, 24, v12 :: v_dual_lshlrev_b32 v3, 20, v30
	v_lshl_add_u32 v2, v2, 23, 0x3c000000
	s_delay_alu instid0(VALU_DEP_2) | instskip(NEXT) | instid1(VALU_DEP_1)
	v_and_b32_e32 v1, 0x80000000, v1
	v_or3_b32 v30, v3, v1, v2
	v_mov_b32_e32 v1, v31
	scratch_store_b64 off, v[0:1], s32 offset:192 ; 8-byte Folded Spill
.LBB206_536:                            ;   in Loop: Header=BB206_15 Depth=1
	s_wait_xcnt 0x0
	s_or_b32 exec_lo, exec_lo, s16
.LBB206_537:                            ;   in Loop: Header=BB206_15 Depth=1
	s_delay_alu instid0(SALU_CYCLE_1)
	s_or_b32 exec_lo, exec_lo, s15
.LBB206_538:                            ;   in Loop: Header=BB206_15 Depth=1
	s_delay_alu instid0(SALU_CYCLE_1) | instskip(SKIP_2) | instid1(VALU_DEP_1)
	s_or_b32 exec_lo, exec_lo, s14
	v_lshrrev_b16 v2, 8, v12
	s_mov_b32 s14, exec_lo
	v_cmpx_ne_u16_e32 0, v2
	s_cbranch_execz .LBB206_546
; %bb.539:                              ;   in Loop: Header=BB206_15 Depth=1
	v_mov_b64_e32 v[126:127], 0x8000000000000000
	s_mov_b32 s15, exec_lo
	v_cmpx_ne_u16_e32 0x80, v2
	s_cbranch_execz .LBB206_545
; %bb.540:                              ;   in Loop: Header=BB206_15 Depth=1
	v_and_b32_e32 v1, 0xffff, v2
	v_mov_b64_e32 v[126:127], 0x7f80000100000000
	s_mov_b32 s16, exec_lo
	s_delay_alu instid0(VALU_DEP_2) | instskip(NEXT) | instid1(VALU_DEP_1)
	v_and_b32_e32 v3, 0x7f, v1
	v_cmpx_ne_u32_e32 0x7f, v3
	s_cbranch_execz .LBB206_544
; %bb.541:                              ;   in Loop: Header=BB206_15 Depth=1
	scratch_load_b64 v[8:9], off, s32 offset:192 th:TH_LOAD_LU ; 8-byte Folded Reload
	s_wait_loadcnt 0x0
	v_dual_lshrrev_b32 v2, 3, v3 :: v_dual_bitop2_b32 v8, 7, v1 bitop3:0x40
	s_mov_b32 s17, exec_lo
	s_wait_xcnt 0x0
	v_cmpx_gt_u32_e32 8, v3
; %bb.542:                              ;   in Loop: Header=BB206_15 Depth=1
	s_delay_alu instid0(VALU_DEP_2) | instskip(NEXT) | instid1(VALU_DEP_1)
	v_clz_i32_u32_e32 v1, v8
	v_min_u32_e32 v1, 32, v1
	s_delay_alu instid0(VALU_DEP_1) | instskip(NEXT) | instid1(VALU_DEP_1)
	v_subrev_nc_u32_e32 v2, 28, v1
	v_lshlrev_b64_e32 v[28:29], v2, v[8:9]
	s_delay_alu instid0(VALU_DEP_1)
	v_dual_sub_nc_u32 v2, 29, v1 :: v_dual_bitop2_b32 v8, 7, v28 bitop3:0x40
; %bb.543:                              ;   in Loop: Header=BB206_15 Depth=1
	s_or_b32 exec_lo, exec_lo, s17
	v_dual_mov_b32 v126, v9 :: v_dual_lshlrev_b32 v1, 16, v12
	s_delay_alu instid0(VALU_DEP_2) | instskip(NEXT) | instid1(VALU_DEP_3)
	v_lshlrev_b32_e32 v3, 20, v8
	v_lshl_add_u32 v2, v2, 23, 0x3c000000
	s_delay_alu instid0(VALU_DEP_3) | instskip(NEXT) | instid1(VALU_DEP_1)
	v_and_b32_e32 v1, 0x80000000, v1
	v_or3_b32 v127, v3, v1, v2
	v_mov_b32_e32 v1, v9
	scratch_store_b64 off, v[0:1], s32 offset:192 ; 8-byte Folded Spill
.LBB206_544:                            ;   in Loop: Header=BB206_15 Depth=1
	s_wait_xcnt 0x0
	s_or_b32 exec_lo, exec_lo, s16
.LBB206_545:                            ;   in Loop: Header=BB206_15 Depth=1
	s_delay_alu instid0(SALU_CYCLE_1)
	s_or_b32 exec_lo, exec_lo, s15
.LBB206_546:                            ;   in Loop: Header=BB206_15 Depth=1
	s_delay_alu instid0(SALU_CYCLE_1) | instskip(SKIP_4) | instid1(VALU_DEP_3)
	s_or_b32 exec_lo, exec_lo, s14
	v_lshrrev_b32_e32 v13, 16, v12
	v_mov_b64_e32 v[2:3], 0
	v_mov_b64_e32 v[34:35], 0
	s_mov_b32 s14, exec_lo
	v_and_b32_e32 v1, 0xff, v13
	s_delay_alu instid0(VALU_DEP_1)
	v_cmpx_ne_u16_e32 0, v1
	s_cbranch_execz .LBB206_554
; %bb.547:                              ;   in Loop: Header=BB206_15 Depth=1
	v_mov_b64_e32 v[34:35], 0x80000000
	s_mov_b32 s15, exec_lo
	v_cmpx_ne_u16_e32 0x80, v1
	s_cbranch_execz .LBB206_553
; %bb.548:                              ;   in Loop: Header=BB206_15 Depth=1
	v_mov_b64_e32 v[34:35], 0x7f800001
	v_bfe_u32 v28, v12, 16, 7
	s_mov_b32 s16, exec_lo
	s_delay_alu instid0(VALU_DEP_1)
	v_cmpx_ne_u32_e32 0x7f, v28
	s_cbranch_execz .LBB206_552
; %bb.549:                              ;   in Loop: Header=BB206_15 Depth=1
	scratch_load_b64 v[34:35], off, s32 offset:192 th:TH_LOAD_LU ; 8-byte Folded Reload
	s_wait_loadcnt 0x0
	v_dual_lshrrev_b32 v8, 3, v28 :: v_dual_bitop2_b32 v34, 7, v13 bitop3:0x40
	s_mov_b32 s17, exec_lo
	s_wait_xcnt 0x0
	v_cmpx_gt_u32_e32 8, v28
; %bb.550:                              ;   in Loop: Header=BB206_15 Depth=1
	s_delay_alu instid0(VALU_DEP_2) | instskip(NEXT) | instid1(VALU_DEP_1)
	v_clz_i32_u32_e32 v1, v34
	v_min_u32_e32 v1, 32, v1
	s_delay_alu instid0(VALU_DEP_1) | instskip(NEXT) | instid1(VALU_DEP_1)
	v_subrev_nc_u32_e32 v8, 28, v1
	v_lshlrev_b64_e32 v[28:29], v8, v[34:35]
	s_delay_alu instid0(VALU_DEP_1)
	v_dual_sub_nc_u32 v8, 29, v1 :: v_dual_bitop2_b32 v34, 7, v28 bitop3:0x40
; %bb.551:                              ;   in Loop: Header=BB206_15 Depth=1
	s_or_b32 exec_lo, exec_lo, s17
	s_delay_alu instid0(VALU_DEP_1) | instskip(NEXT) | instid1(VALU_DEP_2)
	v_dual_lshlrev_b32 v1, 24, v13 :: v_dual_lshlrev_b32 v13, 20, v34
	v_lshl_add_u32 v8, v8, 23, 0x3c000000
	s_delay_alu instid0(VALU_DEP_2) | instskip(NEXT) | instid1(VALU_DEP_1)
	v_and_b32_e32 v1, 0x80000000, v1
	v_or3_b32 v34, v13, v1, v8
	v_mov_b32_e32 v1, v35
	scratch_store_b64 off, v[0:1], s32 offset:192 ; 8-byte Folded Spill
.LBB206_552:                            ;   in Loop: Header=BB206_15 Depth=1
	s_wait_xcnt 0x0
	s_or_b32 exec_lo, exec_lo, s16
.LBB206_553:                            ;   in Loop: Header=BB206_15 Depth=1
	s_delay_alu instid0(SALU_CYCLE_1)
	s_or_b32 exec_lo, exec_lo, s15
.LBB206_554:                            ;   in Loop: Header=BB206_15 Depth=1
	s_delay_alu instid0(SALU_CYCLE_1) | instskip(NEXT) | instid1(SALU_CYCLE_1)
	s_or_b32 exec_lo, exec_lo, s14
	s_mov_b32 s14, exec_lo
	v_cmpx_lt_u32_e32 0xffffff, v12
	s_cbranch_execz .LBB206_562
; %bb.555:                              ;   in Loop: Header=BB206_15 Depth=1
	v_mov_b64_e32 v[2:3], 0x8000000000000000
	v_lshrrev_b32_e32 v8, 24, v12
	s_mov_b32 s15, exec_lo
	s_delay_alu instid0(VALU_DEP_1)
	v_cmpx_ne_u32_e32 0x80, v8
	s_cbranch_execz .LBB206_561
; %bb.556:                              ;   in Loop: Header=BB206_15 Depth=1
	v_mov_b64_e32 v[2:3], 0x7f80000100000000
	v_bfe_u32 v12, v12, 24, 7
	s_mov_b32 s16, exec_lo
	s_delay_alu instid0(VALU_DEP_1)
	v_cmpx_ne_u32_e32 0x7f, v12
	s_cbranch_execz .LBB206_560
; %bb.557:                              ;   in Loop: Header=BB206_15 Depth=1
	scratch_load_b64 v[24:25], off, s32 offset:192 th:TH_LOAD_LU ; 8-byte Folded Reload
	s_wait_loadcnt 0x0
	v_and_b32_e32 v24, 7, v8
	v_lshrrev_b32_e32 v2, 3, v12
	s_mov_b32 s17, exec_lo
	s_wait_xcnt 0x0
	v_cmpx_gt_u32_e32 8, v12
; %bb.558:                              ;   in Loop: Header=BB206_15 Depth=1
	v_clz_i32_u32_e32 v1, v24
	s_delay_alu instid0(VALU_DEP_1) | instskip(NEXT) | instid1(VALU_DEP_1)
	v_min_u32_e32 v1, 32, v1
	v_subrev_nc_u32_e32 v2, 28, v1
	s_delay_alu instid0(VALU_DEP_1) | instskip(NEXT) | instid1(VALU_DEP_1)
	v_lshlrev_b64_e32 v[12:13], v2, v[24:25]
	v_dual_sub_nc_u32 v2, 29, v1 :: v_dual_bitop2_b32 v24, 7, v12 bitop3:0x40
; %bb.559:                              ;   in Loop: Header=BB206_15 Depth=1
	s_or_b32 exec_lo, exec_lo, s17
	v_lshlrev_b32_e32 v1, 24, v8
	s_delay_alu instid0(VALU_DEP_2) | instskip(NEXT) | instid1(VALU_DEP_3)
	v_lshlrev_b32_e32 v3, 20, v24
	v_lshl_add_u32 v2, v2, 23, 0x3c000000
	s_delay_alu instid0(VALU_DEP_3) | instskip(NEXT) | instid1(VALU_DEP_1)
	v_and_b32_e32 v1, 0x80000000, v1
	v_or3_b32 v3, v3, v1, v2
	v_dual_mov_b32 v1, v25 :: v_dual_mov_b32 v2, v25
	scratch_store_b64 off, v[0:1], s32 offset:192 ; 8-byte Folded Spill
.LBB206_560:                            ;   in Loop: Header=BB206_15 Depth=1
	s_wait_xcnt 0x0
	s_or_b32 exec_lo, exec_lo, s16
.LBB206_561:                            ;   in Loop: Header=BB206_15 Depth=1
	s_delay_alu instid0(SALU_CYCLE_1)
	s_or_b32 exec_lo, exec_lo, s15
.LBB206_562:                            ;   in Loop: Header=BB206_15 Depth=1
	s_delay_alu instid0(SALU_CYCLE_1)
	s_or_b32 exec_lo, exec_lo, s14
	flat_load_b32 v32, v[18:19] offset:2052
	v_mov_b64_e32 v[12:13], 0
	v_mov_b64_e32 v[38:39], 0
	s_mov_b32 s14, exec_lo
	s_wait_loadcnt_dscnt 0x0
	v_and_b32_e32 v1, 0xff, v32
	s_wait_xcnt 0x0
	s_delay_alu instid0(VALU_DEP_1)
	v_cmpx_ne_u16_e32 0, v1
	s_cbranch_execz .LBB206_570
; %bb.563:                              ;   in Loop: Header=BB206_15 Depth=1
	v_mov_b64_e32 v[38:39], 0x80000000
	s_mov_b32 s15, exec_lo
	v_cmpx_ne_u16_e32 0x80, v1
	s_cbranch_execz .LBB206_569
; %bb.564:                              ;   in Loop: Header=BB206_15 Depth=1
	v_mov_b64_e32 v[38:39], 0x7f800001
	v_and_b32_e32 v28, 0x7f, v32
	s_mov_b32 s16, exec_lo
	s_delay_alu instid0(VALU_DEP_1)
	v_cmpx_ne_u32_e32 0x7f, v28
	s_cbranch_execz .LBB206_568
; %bb.565:                              ;   in Loop: Header=BB206_15 Depth=1
	scratch_load_b64 v[38:39], off, s32 offset:192 th:TH_LOAD_LU ; 8-byte Folded Reload
	s_wait_loadcnt 0x0
	v_and_b32_e32 v38, 7, v32
	v_lshrrev_b32_e32 v8, 3, v28
	s_mov_b32 s17, exec_lo
	s_wait_xcnt 0x0
	v_cmpx_gt_u32_e32 8, v28
; %bb.566:                              ;   in Loop: Header=BB206_15 Depth=1
	v_clz_i32_u32_e32 v1, v38
	s_delay_alu instid0(VALU_DEP_1) | instskip(NEXT) | instid1(VALU_DEP_1)
	v_min_u32_e32 v1, 32, v1
	v_subrev_nc_u32_e32 v8, 28, v1
	s_delay_alu instid0(VALU_DEP_1) | instskip(NEXT) | instid1(VALU_DEP_1)
	v_lshlrev_b64_e32 v[28:29], v8, v[38:39]
	v_dual_sub_nc_u32 v8, 29, v1 :: v_dual_bitop2_b32 v38, 7, v28 bitop3:0x40
; %bb.567:                              ;   in Loop: Header=BB206_15 Depth=1
	s_or_b32 exec_lo, exec_lo, s17
	s_delay_alu instid0(VALU_DEP_1) | instskip(NEXT) | instid1(VALU_DEP_2)
	v_dual_lshlrev_b32 v1, 24, v32 :: v_dual_lshlrev_b32 v24, 20, v38
	v_lshl_add_u32 v8, v8, 23, 0x3c000000
	s_delay_alu instid0(VALU_DEP_2) | instskip(NEXT) | instid1(VALU_DEP_1)
	v_and_b32_e32 v1, 0x80000000, v1
	v_or3_b32 v38, v24, v1, v8
	v_mov_b32_e32 v1, v39
	scratch_store_b64 off, v[0:1], s32 offset:192 ; 8-byte Folded Spill
.LBB206_568:                            ;   in Loop: Header=BB206_15 Depth=1
	s_wait_xcnt 0x0
	s_or_b32 exec_lo, exec_lo, s16
.LBB206_569:                            ;   in Loop: Header=BB206_15 Depth=1
	s_delay_alu instid0(SALU_CYCLE_1)
	s_or_b32 exec_lo, exec_lo, s15
.LBB206_570:                            ;   in Loop: Header=BB206_15 Depth=1
	s_delay_alu instid0(SALU_CYCLE_1) | instskip(SKIP_2) | instid1(VALU_DEP_1)
	s_or_b32 exec_lo, exec_lo, s14
	v_lshrrev_b16 v8, 8, v32
	s_mov_b32 s14, exec_lo
	v_cmpx_ne_u16_e32 0, v8
	s_cbranch_execz .LBB206_578
; %bb.571:                              ;   in Loop: Header=BB206_15 Depth=1
	v_mov_b64_e32 v[12:13], 0x8000000000000000
	s_mov_b32 s15, exec_lo
	v_cmpx_ne_u16_e32 0x80, v8
	s_cbranch_execz .LBB206_577
; %bb.572:                              ;   in Loop: Header=BB206_15 Depth=1
	v_and_b32_e32 v1, 0xffff, v8
	v_mov_b64_e32 v[12:13], 0x7f80000100000000
	s_mov_b32 s16, exec_lo
	s_delay_alu instid0(VALU_DEP_2) | instskip(NEXT) | instid1(VALU_DEP_1)
	v_and_b32_e32 v28, 0x7f, v1
	v_cmpx_ne_u32_e32 0x7f, v28
	s_cbranch_execz .LBB206_576
; %bb.573:                              ;   in Loop: Header=BB206_15 Depth=1
	scratch_load_b64 v[24:25], off, s32 offset:192 th:TH_LOAD_LU ; 8-byte Folded Reload
	s_wait_loadcnt 0x0
	v_dual_lshrrev_b32 v8, 3, v28 :: v_dual_bitop2_b32 v24, 7, v1 bitop3:0x40
	s_mov_b32 s17, exec_lo
	s_wait_xcnt 0x0
	v_cmpx_gt_u32_e32 8, v28
; %bb.574:                              ;   in Loop: Header=BB206_15 Depth=1
	s_delay_alu instid0(VALU_DEP_2) | instskip(NEXT) | instid1(VALU_DEP_1)
	v_clz_i32_u32_e32 v1, v24
	v_min_u32_e32 v1, 32, v1
	s_delay_alu instid0(VALU_DEP_1) | instskip(NEXT) | instid1(VALU_DEP_1)
	v_subrev_nc_u32_e32 v8, 28, v1
	v_lshlrev_b64_e32 v[12:13], v8, v[24:25]
	s_delay_alu instid0(VALU_DEP_1)
	v_dual_sub_nc_u32 v8, 29, v1 :: v_dual_bitop2_b32 v24, 7, v12 bitop3:0x40
; %bb.575:                              ;   in Loop: Header=BB206_15 Depth=1
	s_or_b32 exec_lo, exec_lo, s17
	v_lshlrev_b32_e32 v1, 16, v32
	s_delay_alu instid0(VALU_DEP_2) | instskip(NEXT) | instid1(VALU_DEP_3)
	v_lshlrev_b32_e32 v12, 20, v24
	v_lshl_add_u32 v8, v8, 23, 0x3c000000
	s_delay_alu instid0(VALU_DEP_3) | instskip(NEXT) | instid1(VALU_DEP_1)
	v_and_b32_e32 v1, 0x80000000, v1
	v_or3_b32 v13, v12, v1, v8
	v_dual_mov_b32 v1, v25 :: v_dual_mov_b32 v12, v25
	scratch_store_b64 off, v[0:1], s32 offset:192 ; 8-byte Folded Spill
.LBB206_576:                            ;   in Loop: Header=BB206_15 Depth=1
	s_wait_xcnt 0x0
	s_or_b32 exec_lo, exec_lo, s16
.LBB206_577:                            ;   in Loop: Header=BB206_15 Depth=1
	s_delay_alu instid0(SALU_CYCLE_1)
	s_or_b32 exec_lo, exec_lo, s15
.LBB206_578:                            ;   in Loop: Header=BB206_15 Depth=1
	s_delay_alu instid0(SALU_CYCLE_1) | instskip(SKIP_4) | instid1(VALU_DEP_3)
	s_or_b32 exec_lo, exec_lo, s14
	v_lshrrev_b32_e32 v33, 16, v32
	v_mov_b64_e32 v[28:29], 0
	v_mov_b64_e32 v[50:51], 0
	s_mov_b32 s14, exec_lo
	v_and_b32_e32 v1, 0xff, v33
	s_delay_alu instid0(VALU_DEP_1)
	v_cmpx_ne_u16_e32 0, v1
	s_cbranch_execz .LBB206_586
; %bb.579:                              ;   in Loop: Header=BB206_15 Depth=1
	v_mov_b64_e32 v[50:51], 0x80000000
	s_mov_b32 s15, exec_lo
	v_cmpx_ne_u16_e32 0x80, v1
	s_cbranch_execz .LBB206_585
; %bb.580:                              ;   in Loop: Header=BB206_15 Depth=1
	v_mov_b64_e32 v[50:51], 0x7f800001
	v_bfe_u32 v36, v32, 16, 7
	s_mov_b32 s16, exec_lo
	s_delay_alu instid0(VALU_DEP_1)
	v_cmpx_ne_u32_e32 0x7f, v36
	s_cbranch_execz .LBB206_584
; %bb.581:                              ;   in Loop: Header=BB206_15 Depth=1
	scratch_load_b64 v[50:51], off, s32 offset:192 th:TH_LOAD_LU ; 8-byte Folded Reload
	s_wait_loadcnt 0x0
	v_dual_lshrrev_b32 v8, 3, v36 :: v_dual_bitop2_b32 v50, 7, v33 bitop3:0x40
	s_mov_b32 s17, exec_lo
	s_wait_xcnt 0x0
	v_cmpx_gt_u32_e32 8, v36
; %bb.582:                              ;   in Loop: Header=BB206_15 Depth=1
	s_delay_alu instid0(VALU_DEP_2) | instskip(NEXT) | instid1(VALU_DEP_1)
	v_clz_i32_u32_e32 v1, v50
	v_min_u32_e32 v1, 32, v1
	s_delay_alu instid0(VALU_DEP_1) | instskip(NEXT) | instid1(VALU_DEP_1)
	v_subrev_nc_u32_e32 v8, 28, v1
	v_lshlrev_b64_e32 v[36:37], v8, v[50:51]
	s_delay_alu instid0(VALU_DEP_1)
	v_dual_sub_nc_u32 v8, 29, v1 :: v_dual_bitop2_b32 v50, 7, v36 bitop3:0x40
; %bb.583:                              ;   in Loop: Header=BB206_15 Depth=1
	s_or_b32 exec_lo, exec_lo, s17
	s_delay_alu instid0(VALU_DEP_1) | instskip(NEXT) | instid1(VALU_DEP_2)
	v_dual_lshlrev_b32 v1, 24, v33 :: v_dual_lshlrev_b32 v24, 20, v50
	v_lshl_add_u32 v8, v8, 23, 0x3c000000
	s_delay_alu instid0(VALU_DEP_2) | instskip(NEXT) | instid1(VALU_DEP_1)
	v_and_b32_e32 v1, 0x80000000, v1
	v_or3_b32 v50, v24, v1, v8
	v_mov_b32_e32 v1, v51
	scratch_store_b64 off, v[0:1], s32 offset:192 ; 8-byte Folded Spill
.LBB206_584:                            ;   in Loop: Header=BB206_15 Depth=1
	s_wait_xcnt 0x0
	s_or_b32 exec_lo, exec_lo, s16
.LBB206_585:                            ;   in Loop: Header=BB206_15 Depth=1
	s_delay_alu instid0(SALU_CYCLE_1)
	s_or_b32 exec_lo, exec_lo, s15
.LBB206_586:                            ;   in Loop: Header=BB206_15 Depth=1
	s_delay_alu instid0(SALU_CYCLE_1) | instskip(NEXT) | instid1(SALU_CYCLE_1)
	s_or_b32 exec_lo, exec_lo, s14
	s_mov_b32 s14, exec_lo
	v_cmpx_lt_u32_e32 0xffffff, v32
	s_cbranch_execz .LBB206_594
; %bb.587:                              ;   in Loop: Header=BB206_15 Depth=1
	v_mov_b64_e32 v[28:29], 0x8000000000000000
	v_lshrrev_b32_e32 v8, 24, v32
	s_mov_b32 s15, exec_lo
	s_delay_alu instid0(VALU_DEP_1)
	v_cmpx_ne_u32_e32 0x80, v8
	s_cbranch_execz .LBB206_593
; %bb.588:                              ;   in Loop: Header=BB206_15 Depth=1
	v_mov_b64_e32 v[28:29], 0x7f80000100000000
	v_bfe_u32 v32, v32, 24, 7
	s_mov_b32 s16, exec_lo
	s_delay_alu instid0(VALU_DEP_1)
	v_cmpx_ne_u32_e32 0x7f, v32
	s_cbranch_execz .LBB206_592
; %bb.589:                              ;   in Loop: Header=BB206_15 Depth=1
	scratch_load_b64 v[24:25], off, s32 offset:192 th:TH_LOAD_LU ; 8-byte Folded Reload
	s_wait_loadcnt 0x0
	v_and_b32_e32 v24, 7, v8
	v_lshrrev_b32_e32 v28, 3, v32
	s_mov_b32 s17, exec_lo
	s_wait_xcnt 0x0
	v_cmpx_gt_u32_e32 8, v32
; %bb.590:                              ;   in Loop: Header=BB206_15 Depth=1
	v_clz_i32_u32_e32 v1, v24
	s_delay_alu instid0(VALU_DEP_1) | instskip(NEXT) | instid1(VALU_DEP_1)
	v_min_u32_e32 v1, 32, v1
	v_subrev_nc_u32_e32 v28, 28, v1
	s_delay_alu instid0(VALU_DEP_1) | instskip(NEXT) | instid1(VALU_DEP_1)
	v_lshlrev_b64_e32 v[32:33], v28, v[24:25]
	v_dual_sub_nc_u32 v28, 29, v1 :: v_dual_bitop2_b32 v24, 7, v32 bitop3:0x40
; %bb.591:                              ;   in Loop: Header=BB206_15 Depth=1
	s_or_b32 exec_lo, exec_lo, s17
	v_lshlrev_b32_e32 v1, 24, v8
	s_delay_alu instid0(VALU_DEP_2) | instskip(NEXT) | instid1(VALU_DEP_3)
	v_lshlrev_b32_e32 v8, 20, v24
	v_lshl_add_u32 v24, v28, 23, 0x3c000000
	v_mov_b32_e32 v28, v25
	s_delay_alu instid0(VALU_DEP_4) | instskip(NEXT) | instid1(VALU_DEP_1)
	v_and_b32_e32 v1, 0x80000000, v1
	v_or3_b32 v29, v8, v1, v24
	v_mov_b32_e32 v1, v25
	scratch_store_b64 off, v[0:1], s32 offset:192 ; 8-byte Folded Spill
.LBB206_592:                            ;   in Loop: Header=BB206_15 Depth=1
	s_wait_xcnt 0x0
	s_or_b32 exec_lo, exec_lo, s16
.LBB206_593:                            ;   in Loop: Header=BB206_15 Depth=1
	s_delay_alu instid0(SALU_CYCLE_1)
	s_or_b32 exec_lo, exec_lo, s15
.LBB206_594:                            ;   in Loop: Header=BB206_15 Depth=1
	s_delay_alu instid0(SALU_CYCLE_1)
	s_or_b32 exec_lo, exec_lo, s14
	flat_load_b32 v52, v[18:19] offset:2056
	v_mov_b64_e32 v[32:33], 0
	v_mov_b64_e32 v[54:55], 0
	s_mov_b32 s14, exec_lo
	s_wait_loadcnt_dscnt 0x0
	v_and_b32_e32 v1, 0xff, v52
	s_wait_xcnt 0x0
	s_delay_alu instid0(VALU_DEP_1)
	v_cmpx_ne_u16_e32 0, v1
	s_cbranch_execz .LBB206_602
; %bb.595:                              ;   in Loop: Header=BB206_15 Depth=1
	v_mov_b64_e32 v[54:55], 0x80000000
	s_mov_b32 s15, exec_lo
	v_cmpx_ne_u16_e32 0x80, v1
	s_cbranch_execz .LBB206_601
; %bb.596:                              ;   in Loop: Header=BB206_15 Depth=1
	v_mov_b64_e32 v[54:55], 0x7f800001
	v_and_b32_e32 v36, 0x7f, v52
	s_mov_b32 s16, exec_lo
	s_delay_alu instid0(VALU_DEP_1)
	v_cmpx_ne_u32_e32 0x7f, v36
	s_cbranch_execz .LBB206_600
; %bb.597:                              ;   in Loop: Header=BB206_15 Depth=1
	scratch_load_b64 v[54:55], off, s32 offset:192 th:TH_LOAD_LU ; 8-byte Folded Reload
	s_wait_loadcnt 0x0
	v_and_b32_e32 v54, 7, v52
	v_lshrrev_b32_e32 v8, 3, v36
	s_mov_b32 s17, exec_lo
	s_wait_xcnt 0x0
	v_cmpx_gt_u32_e32 8, v36
; %bb.598:                              ;   in Loop: Header=BB206_15 Depth=1
	v_clz_i32_u32_e32 v1, v54
	s_delay_alu instid0(VALU_DEP_1) | instskip(NEXT) | instid1(VALU_DEP_1)
	v_min_u32_e32 v1, 32, v1
	v_subrev_nc_u32_e32 v8, 28, v1
	s_delay_alu instid0(VALU_DEP_1) | instskip(NEXT) | instid1(VALU_DEP_1)
	v_lshlrev_b64_e32 v[36:37], v8, v[54:55]
	v_dual_sub_nc_u32 v8, 29, v1 :: v_dual_bitop2_b32 v54, 7, v36 bitop3:0x40
; %bb.599:                              ;   in Loop: Header=BB206_15 Depth=1
	s_or_b32 exec_lo, exec_lo, s17
	s_delay_alu instid0(VALU_DEP_1) | instskip(NEXT) | instid1(VALU_DEP_2)
	v_dual_lshlrev_b32 v1, 24, v52 :: v_dual_lshlrev_b32 v24, 20, v54
	v_lshl_add_u32 v8, v8, 23, 0x3c000000
	s_delay_alu instid0(VALU_DEP_2) | instskip(NEXT) | instid1(VALU_DEP_1)
	v_and_b32_e32 v1, 0x80000000, v1
	v_or3_b32 v54, v24, v1, v8
	v_mov_b32_e32 v1, v55
	scratch_store_b64 off, v[0:1], s32 offset:192 ; 8-byte Folded Spill
.LBB206_600:                            ;   in Loop: Header=BB206_15 Depth=1
	s_wait_xcnt 0x0
	s_or_b32 exec_lo, exec_lo, s16
.LBB206_601:                            ;   in Loop: Header=BB206_15 Depth=1
	s_delay_alu instid0(SALU_CYCLE_1)
	s_or_b32 exec_lo, exec_lo, s15
.LBB206_602:                            ;   in Loop: Header=BB206_15 Depth=1
	s_delay_alu instid0(SALU_CYCLE_1) | instskip(SKIP_2) | instid1(VALU_DEP_1)
	s_or_b32 exec_lo, exec_lo, s14
	v_lshrrev_b16 v8, 8, v52
	s_mov_b32 s14, exec_lo
	v_cmpx_ne_u16_e32 0, v8
	s_cbranch_execz .LBB206_610
; %bb.603:                              ;   in Loop: Header=BB206_15 Depth=1
	v_mov_b64_e32 v[32:33], 0x8000000000000000
	s_mov_b32 s15, exec_lo
	v_cmpx_ne_u16_e32 0x80, v8
	s_cbranch_execz .LBB206_609
; %bb.604:                              ;   in Loop: Header=BB206_15 Depth=1
	v_and_b32_e32 v1, 0xffff, v8
	v_mov_b64_e32 v[32:33], 0x7f80000100000000
	s_mov_b32 s16, exec_lo
	s_delay_alu instid0(VALU_DEP_2) | instskip(NEXT) | instid1(VALU_DEP_1)
	v_and_b32_e32 v36, 0x7f, v1
	v_cmpx_ne_u32_e32 0x7f, v36
	s_cbranch_execz .LBB206_608
; %bb.605:                              ;   in Loop: Header=BB206_15 Depth=1
	scratch_load_b64 v[24:25], off, s32 offset:192 th:TH_LOAD_LU ; 8-byte Folded Reload
	s_wait_loadcnt 0x0
	v_dual_lshrrev_b32 v8, 3, v36 :: v_dual_bitop2_b32 v24, 7, v1 bitop3:0x40
	s_mov_b32 s17, exec_lo
	s_wait_xcnt 0x0
	v_cmpx_gt_u32_e32 8, v36
; %bb.606:                              ;   in Loop: Header=BB206_15 Depth=1
	s_delay_alu instid0(VALU_DEP_2) | instskip(NEXT) | instid1(VALU_DEP_1)
	v_clz_i32_u32_e32 v1, v24
	v_min_u32_e32 v1, 32, v1
	s_delay_alu instid0(VALU_DEP_1) | instskip(NEXT) | instid1(VALU_DEP_1)
	v_subrev_nc_u32_e32 v8, 28, v1
	v_lshlrev_b64_e32 v[32:33], v8, v[24:25]
	s_delay_alu instid0(VALU_DEP_1)
	v_dual_sub_nc_u32 v8, 29, v1 :: v_dual_bitop2_b32 v24, 7, v32 bitop3:0x40
; %bb.607:                              ;   in Loop: Header=BB206_15 Depth=1
	s_or_b32 exec_lo, exec_lo, s17
	v_dual_mov_b32 v32, v25 :: v_dual_lshlrev_b32 v1, 16, v52
	s_delay_alu instid0(VALU_DEP_2) | instskip(NEXT) | instid1(VALU_DEP_3)
	v_lshlrev_b32_e32 v24, 20, v24
	v_lshl_add_u32 v8, v8, 23, 0x3c000000
	s_delay_alu instid0(VALU_DEP_3) | instskip(NEXT) | instid1(VALU_DEP_1)
	v_and_b32_e32 v1, 0x80000000, v1
	v_or3_b32 v33, v24, v1, v8
	v_mov_b32_e32 v1, v25
	scratch_store_b64 off, v[0:1], s32 offset:192 ; 8-byte Folded Spill
.LBB206_608:                            ;   in Loop: Header=BB206_15 Depth=1
	s_wait_xcnt 0x0
	s_or_b32 exec_lo, exec_lo, s16
.LBB206_609:                            ;   in Loop: Header=BB206_15 Depth=1
	s_delay_alu instid0(SALU_CYCLE_1)
	s_or_b32 exec_lo, exec_lo, s15
.LBB206_610:                            ;   in Loop: Header=BB206_15 Depth=1
	s_delay_alu instid0(SALU_CYCLE_1) | instskip(SKIP_4) | instid1(VALU_DEP_3)
	s_or_b32 exec_lo, exec_lo, s14
	v_lshrrev_b32_e32 v53, 16, v52
	v_mov_b64_e32 v[36:37], 0
	v_mov_b64_e32 v[48:49], 0
	s_mov_b32 s14, exec_lo
	v_and_b32_e32 v1, 0xff, v53
	s_delay_alu instid0(VALU_DEP_1)
	v_cmpx_ne_u16_e32 0, v1
	s_cbranch_execz .LBB206_618
; %bb.611:                              ;   in Loop: Header=BB206_15 Depth=1
	v_mov_b64_e32 v[48:49], 0x80000000
	s_mov_b32 s15, exec_lo
	v_cmpx_ne_u16_e32 0x80, v1
	s_cbranch_execz .LBB206_617
; %bb.612:                              ;   in Loop: Header=BB206_15 Depth=1
	v_mov_b64_e32 v[48:49], 0x7f800001
	v_bfe_u32 v64, v52, 16, 7
	s_mov_b32 s16, exec_lo
	s_delay_alu instid0(VALU_DEP_1)
	v_cmpx_ne_u32_e32 0x7f, v64
	s_cbranch_execz .LBB206_616
; %bb.613:                              ;   in Loop: Header=BB206_15 Depth=1
	scratch_load_b64 v[24:25], off, s32 offset:192 th:TH_LOAD_LU ; 8-byte Folded Reload
	s_wait_loadcnt 0x0
	v_dual_lshrrev_b32 v8, 3, v64 :: v_dual_bitop2_b32 v24, 7, v53 bitop3:0x40
	s_mov_b32 s17, exec_lo
	s_wait_xcnt 0x0
	v_cmpx_gt_u32_e32 8, v64
; %bb.614:                              ;   in Loop: Header=BB206_15 Depth=1
	s_delay_alu instid0(VALU_DEP_2) | instskip(NEXT) | instid1(VALU_DEP_1)
	v_clz_i32_u32_e32 v1, v24
	v_min_u32_e32 v1, 32, v1
	s_delay_alu instid0(VALU_DEP_1) | instskip(NEXT) | instid1(VALU_DEP_1)
	v_subrev_nc_u32_e32 v8, 28, v1
	v_lshlrev_b64_e32 v[48:49], v8, v[24:25]
	s_delay_alu instid0(VALU_DEP_1)
	v_dual_sub_nc_u32 v8, 29, v1 :: v_dual_bitop2_b32 v24, 7, v48 bitop3:0x40
; %bb.615:                              ;   in Loop: Header=BB206_15 Depth=1
	s_or_b32 exec_lo, exec_lo, s17
	s_delay_alu instid0(VALU_DEP_1) | instskip(NEXT) | instid1(VALU_DEP_2)
	v_dual_lshlrev_b32 v1, 24, v53 :: v_dual_lshlrev_b32 v24, 20, v24
	v_lshl_add_u32 v8, v8, 23, 0x3c000000
	s_delay_alu instid0(VALU_DEP_2) | instskip(NEXT) | instid1(VALU_DEP_1)
	v_and_b32_e32 v1, 0x80000000, v1
	v_or3_b32 v24, v24, v1, v8
	v_mov_b32_e32 v1, v25
	s_delay_alu instid0(VALU_DEP_2)
	v_mov_b64_e32 v[48:49], v[24:25]
	scratch_store_b64 off, v[0:1], s32 offset:192 ; 8-byte Folded Spill
.LBB206_616:                            ;   in Loop: Header=BB206_15 Depth=1
	s_wait_xcnt 0x0
	s_or_b32 exec_lo, exec_lo, s16
.LBB206_617:                            ;   in Loop: Header=BB206_15 Depth=1
	s_delay_alu instid0(SALU_CYCLE_1)
	s_or_b32 exec_lo, exec_lo, s15
.LBB206_618:                            ;   in Loop: Header=BB206_15 Depth=1
	s_delay_alu instid0(SALU_CYCLE_1) | instskip(NEXT) | instid1(SALU_CYCLE_1)
	s_or_b32 exec_lo, exec_lo, s14
	s_mov_b32 s14, exec_lo
	v_cmpx_lt_u32_e32 0xffffff, v52
	s_cbranch_execz .LBB206_626
; %bb.619:                              ;   in Loop: Header=BB206_15 Depth=1
	v_mov_b64_e32 v[36:37], 0x8000000000000000
	v_lshrrev_b32_e32 v8, 24, v52
	s_mov_b32 s15, exec_lo
	s_delay_alu instid0(VALU_DEP_1)
	v_cmpx_ne_u32_e32 0x80, v8
	s_cbranch_execz .LBB206_625
; %bb.620:                              ;   in Loop: Header=BB206_15 Depth=1
	v_mov_b64_e32 v[36:37], 0x7f80000100000000
	v_bfe_u32 v52, v52, 24, 7
	s_mov_b32 s16, exec_lo
	s_delay_alu instid0(VALU_DEP_1)
	v_cmpx_ne_u32_e32 0x7f, v52
	s_cbranch_execz .LBB206_624
; %bb.621:                              ;   in Loop: Header=BB206_15 Depth=1
	scratch_load_b64 v[24:25], off, s32 offset:192 th:TH_LOAD_LU ; 8-byte Folded Reload
	s_wait_loadcnt 0x0
	v_and_b32_e32 v24, 7, v8
	v_lshrrev_b32_e32 v36, 3, v52
	s_mov_b32 s17, exec_lo
	s_wait_xcnt 0x0
	v_cmpx_gt_u32_e32 8, v52
; %bb.622:                              ;   in Loop: Header=BB206_15 Depth=1
	v_clz_i32_u32_e32 v1, v24
	s_delay_alu instid0(VALU_DEP_1) | instskip(NEXT) | instid1(VALU_DEP_1)
	v_min_u32_e32 v1, 32, v1
	v_subrev_nc_u32_e32 v36, 28, v1
	s_delay_alu instid0(VALU_DEP_1) | instskip(NEXT) | instid1(VALU_DEP_1)
	v_lshlrev_b64_e32 v[52:53], v36, v[24:25]
	v_dual_sub_nc_u32 v36, 29, v1 :: v_dual_bitop2_b32 v24, 7, v52 bitop3:0x40
; %bb.623:                              ;   in Loop: Header=BB206_15 Depth=1
	s_or_b32 exec_lo, exec_lo, s17
	v_lshlrev_b32_e32 v1, 24, v8
	s_delay_alu instid0(VALU_DEP_2) | instskip(NEXT) | instid1(VALU_DEP_3)
	v_lshlrev_b32_e32 v8, 20, v24
	v_lshl_add_u32 v24, v36, 23, 0x3c000000
	v_mov_b32_e32 v36, v25
	s_delay_alu instid0(VALU_DEP_4) | instskip(NEXT) | instid1(VALU_DEP_1)
	v_and_b32_e32 v1, 0x80000000, v1
	v_or3_b32 v37, v8, v1, v24
	v_mov_b32_e32 v1, v25
	scratch_store_b64 off, v[0:1], s32 offset:192 ; 8-byte Folded Spill
.LBB206_624:                            ;   in Loop: Header=BB206_15 Depth=1
	s_wait_xcnt 0x0
	s_or_b32 exec_lo, exec_lo, s16
.LBB206_625:                            ;   in Loop: Header=BB206_15 Depth=1
	s_delay_alu instid0(SALU_CYCLE_1)
	s_or_b32 exec_lo, exec_lo, s15
.LBB206_626:                            ;   in Loop: Header=BB206_15 Depth=1
	s_delay_alu instid0(SALU_CYCLE_1)
	s_or_b32 exec_lo, exec_lo, s14
	flat_load_b32 v68, v[18:19] offset:2060
	v_mov_b64_e32 v[66:67], 0
	v_mov_b64_e32 v[52:53], 0
	s_mov_b32 s14, exec_lo
	s_wait_loadcnt_dscnt 0x0
	v_and_b32_e32 v1, 0xff, v68
	s_wait_xcnt 0x0
	s_delay_alu instid0(VALU_DEP_1)
	v_cmpx_ne_u16_e32 0, v1
	s_cbranch_execz .LBB206_634
; %bb.627:                              ;   in Loop: Header=BB206_15 Depth=1
	v_mov_b64_e32 v[52:53], 0x80000000
	s_mov_b32 s15, exec_lo
	v_cmpx_ne_u16_e32 0x80, v1
	s_cbranch_execz .LBB206_633
; %bb.628:                              ;   in Loop: Header=BB206_15 Depth=1
	v_mov_b64_e32 v[52:53], 0x7f800001
	v_and_b32_e32 v64, 0x7f, v68
	s_mov_b32 s16, exec_lo
	s_delay_alu instid0(VALU_DEP_1)
	v_cmpx_ne_u32_e32 0x7f, v64
	s_cbranch_execz .LBB206_632
; %bb.629:                              ;   in Loop: Header=BB206_15 Depth=1
	scratch_load_b64 v[24:25], off, s32 offset:192 th:TH_LOAD_LU ; 8-byte Folded Reload
	s_wait_loadcnt 0x0
	v_and_b32_e32 v24, 7, v68
	v_lshrrev_b32_e32 v8, 3, v64
	s_mov_b32 s17, exec_lo
	s_wait_xcnt 0x0
	v_cmpx_gt_u32_e32 8, v64
; %bb.630:                              ;   in Loop: Header=BB206_15 Depth=1
	v_clz_i32_u32_e32 v1, v24
	s_delay_alu instid0(VALU_DEP_1) | instskip(NEXT) | instid1(VALU_DEP_1)
	v_min_u32_e32 v1, 32, v1
	v_subrev_nc_u32_e32 v8, 28, v1
	s_delay_alu instid0(VALU_DEP_1) | instskip(NEXT) | instid1(VALU_DEP_1)
	v_lshlrev_b64_e32 v[52:53], v8, v[24:25]
	v_dual_sub_nc_u32 v8, 29, v1 :: v_dual_bitop2_b32 v24, 7, v52 bitop3:0x40
; %bb.631:                              ;   in Loop: Header=BB206_15 Depth=1
	s_or_b32 exec_lo, exec_lo, s17
	v_lshlrev_b32_e32 v1, 24, v68
	s_delay_alu instid0(VALU_DEP_2) | instskip(NEXT) | instid1(VALU_DEP_3)
	v_lshlrev_b32_e32 v24, 20, v24
	v_lshl_add_u32 v8, v8, 23, 0x3c000000
	s_delay_alu instid0(VALU_DEP_3) | instskip(NEXT) | instid1(VALU_DEP_1)
	v_and_b32_e32 v1, 0x80000000, v1
	v_or3_b32 v24, v24, v1, v8
	v_mov_b32_e32 v1, v25
	s_delay_alu instid0(VALU_DEP_2)
	v_mov_b64_e32 v[52:53], v[24:25]
	scratch_store_b64 off, v[0:1], s32 offset:192 ; 8-byte Folded Spill
.LBB206_632:                            ;   in Loop: Header=BB206_15 Depth=1
	s_wait_xcnt 0x0
	s_or_b32 exec_lo, exec_lo, s16
.LBB206_633:                            ;   in Loop: Header=BB206_15 Depth=1
	s_delay_alu instid0(SALU_CYCLE_1)
	s_or_b32 exec_lo, exec_lo, s15
.LBB206_634:                            ;   in Loop: Header=BB206_15 Depth=1
	s_delay_alu instid0(SALU_CYCLE_1) | instskip(SKIP_2) | instid1(VALU_DEP_1)
	s_or_b32 exec_lo, exec_lo, s14
	v_lshrrev_b16 v8, 8, v68
	s_mov_b32 s14, exec_lo
	v_cmpx_ne_u16_e32 0, v8
	s_cbranch_execz .LBB206_642
; %bb.635:                              ;   in Loop: Header=BB206_15 Depth=1
	v_mov_b64_e32 v[66:67], 0x8000000000000000
	s_mov_b32 s15, exec_lo
	v_cmpx_ne_u16_e32 0x80, v8
	s_cbranch_execz .LBB206_641
; %bb.636:                              ;   in Loop: Header=BB206_15 Depth=1
	v_and_b32_e32 v1, 0xffff, v8
	v_mov_b64_e32 v[66:67], 0x7f80000100000000
	s_mov_b32 s16, exec_lo
	s_delay_alu instid0(VALU_DEP_2) | instskip(NEXT) | instid1(VALU_DEP_1)
	v_and_b32_e32 v64, 0x7f, v1
	v_cmpx_ne_u32_e32 0x7f, v64
	s_cbranch_execz .LBB206_640
; %bb.637:                              ;   in Loop: Header=BB206_15 Depth=1
	scratch_load_b64 v[24:25], off, s32 offset:192 th:TH_LOAD_LU ; 8-byte Folded Reload
	s_wait_loadcnt 0x0
	v_dual_lshrrev_b32 v8, 3, v64 :: v_dual_bitop2_b32 v24, 7, v1 bitop3:0x40
	s_mov_b32 s17, exec_lo
	s_wait_xcnt 0x0
	v_cmpx_gt_u32_e32 8, v64
; %bb.638:                              ;   in Loop: Header=BB206_15 Depth=1
	s_delay_alu instid0(VALU_DEP_2) | instskip(NEXT) | instid1(VALU_DEP_1)
	v_clz_i32_u32_e32 v1, v24
	v_min_u32_e32 v1, 32, v1
	s_delay_alu instid0(VALU_DEP_1) | instskip(NEXT) | instid1(VALU_DEP_1)
	v_subrev_nc_u32_e32 v8, 28, v1
	v_lshlrev_b64_e32 v[64:65], v8, v[24:25]
	s_delay_alu instid0(VALU_DEP_1)
	v_dual_sub_nc_u32 v8, 29, v1 :: v_dual_bitop2_b32 v24, 7, v64 bitop3:0x40
; %bb.639:                              ;   in Loop: Header=BB206_15 Depth=1
	s_or_b32 exec_lo, exec_lo, s17
	v_dual_mov_b32 v66, v25 :: v_dual_lshlrev_b32 v1, 16, v68
	s_delay_alu instid0(VALU_DEP_2) | instskip(NEXT) | instid1(VALU_DEP_3)
	v_lshlrev_b32_e32 v24, 20, v24
	v_lshl_add_u32 v8, v8, 23, 0x3c000000
	s_delay_alu instid0(VALU_DEP_3) | instskip(NEXT) | instid1(VALU_DEP_1)
	v_and_b32_e32 v1, 0x80000000, v1
	v_or3_b32 v67, v24, v1, v8
	v_mov_b32_e32 v1, v25
	scratch_store_b64 off, v[0:1], s32 offset:192 ; 8-byte Folded Spill
.LBB206_640:                            ;   in Loop: Header=BB206_15 Depth=1
	s_wait_xcnt 0x0
	s_or_b32 exec_lo, exec_lo, s16
.LBB206_641:                            ;   in Loop: Header=BB206_15 Depth=1
	s_delay_alu instid0(SALU_CYCLE_1)
	s_or_b32 exec_lo, exec_lo, s15
.LBB206_642:                            ;   in Loop: Header=BB206_15 Depth=1
	s_delay_alu instid0(SALU_CYCLE_1) | instskip(SKIP_4) | instid1(VALU_DEP_3)
	s_or_b32 exec_lo, exec_lo, s14
	v_lshrrev_b32_e32 v69, 16, v68
	v_mov_b64_e32 v[70:71], 0
	v_mov_b64_e32 v[64:65], 0
	s_mov_b32 s14, exec_lo
	v_and_b32_e32 v1, 0xff, v69
	s_delay_alu instid0(VALU_DEP_1)
	v_cmpx_ne_u16_e32 0, v1
	s_cbranch_execz .LBB206_650
; %bb.643:                              ;   in Loop: Header=BB206_15 Depth=1
	v_mov_b64_e32 v[64:65], 0x80000000
	s_mov_b32 s15, exec_lo
	v_cmpx_ne_u16_e32 0x80, v1
	s_cbranch_execz .LBB206_649
; %bb.644:                              ;   in Loop: Header=BB206_15 Depth=1
	v_mov_b64_e32 v[64:65], 0x7f800001
	v_bfe_u32 v80, v68, 16, 7
	s_mov_b32 s16, exec_lo
	s_delay_alu instid0(VALU_DEP_1)
	v_cmpx_ne_u32_e32 0x7f, v80
	s_cbranch_execz .LBB206_648
; %bb.645:                              ;   in Loop: Header=BB206_15 Depth=1
	scratch_load_b64 v[24:25], off, s32 offset:192 th:TH_LOAD_LU ; 8-byte Folded Reload
	s_wait_loadcnt 0x0
	v_dual_lshrrev_b32 v8, 3, v80 :: v_dual_bitop2_b32 v24, 7, v69 bitop3:0x40
	s_mov_b32 s17, exec_lo
	s_wait_xcnt 0x0
	v_cmpx_gt_u32_e32 8, v80
; %bb.646:                              ;   in Loop: Header=BB206_15 Depth=1
	s_delay_alu instid0(VALU_DEP_2) | instskip(NEXT) | instid1(VALU_DEP_1)
	v_clz_i32_u32_e32 v1, v24
	v_min_u32_e32 v1, 32, v1
	s_delay_alu instid0(VALU_DEP_1) | instskip(NEXT) | instid1(VALU_DEP_1)
	v_subrev_nc_u32_e32 v8, 28, v1
	v_lshlrev_b64_e32 v[64:65], v8, v[24:25]
	s_delay_alu instid0(VALU_DEP_1)
	v_dual_sub_nc_u32 v8, 29, v1 :: v_dual_bitop2_b32 v24, 7, v64 bitop3:0x40
; %bb.647:                              ;   in Loop: Header=BB206_15 Depth=1
	s_or_b32 exec_lo, exec_lo, s17
	s_delay_alu instid0(VALU_DEP_1) | instskip(NEXT) | instid1(VALU_DEP_2)
	v_dual_lshlrev_b32 v1, 24, v69 :: v_dual_lshlrev_b32 v24, 20, v24
	v_lshl_add_u32 v8, v8, 23, 0x3c000000
	s_delay_alu instid0(VALU_DEP_2) | instskip(NEXT) | instid1(VALU_DEP_1)
	v_and_b32_e32 v1, 0x80000000, v1
	v_or3_b32 v24, v24, v1, v8
	v_mov_b32_e32 v1, v25
	s_delay_alu instid0(VALU_DEP_2)
	v_mov_b64_e32 v[64:65], v[24:25]
	scratch_store_b64 off, v[0:1], s32 offset:192 ; 8-byte Folded Spill
.LBB206_648:                            ;   in Loop: Header=BB206_15 Depth=1
	s_wait_xcnt 0x0
	s_or_b32 exec_lo, exec_lo, s16
.LBB206_649:                            ;   in Loop: Header=BB206_15 Depth=1
	s_delay_alu instid0(SALU_CYCLE_1)
	s_or_b32 exec_lo, exec_lo, s15
.LBB206_650:                            ;   in Loop: Header=BB206_15 Depth=1
	s_delay_alu instid0(SALU_CYCLE_1) | instskip(NEXT) | instid1(SALU_CYCLE_1)
	s_or_b32 exec_lo, exec_lo, s14
	s_mov_b32 s14, exec_lo
	v_cmpx_lt_u32_e32 0xffffff, v68
	s_cbranch_execz .LBB206_658
; %bb.651:                              ;   in Loop: Header=BB206_15 Depth=1
	v_mov_b64_e32 v[70:71], 0x8000000000000000
	v_lshrrev_b32_e32 v8, 24, v68
	s_mov_b32 s15, exec_lo
	s_delay_alu instid0(VALU_DEP_1)
	v_cmpx_ne_u32_e32 0x80, v8
	s_cbranch_execz .LBB206_657
; %bb.652:                              ;   in Loop: Header=BB206_15 Depth=1
	v_mov_b64_e32 v[70:71], 0x7f80000100000000
	v_bfe_u32 v69, v68, 24, 7
	s_mov_b32 s16, exec_lo
	s_delay_alu instid0(VALU_DEP_1)
	v_cmpx_ne_u32_e32 0x7f, v69
	s_cbranch_execz .LBB206_656
; %bb.653:                              ;   in Loop: Header=BB206_15 Depth=1
	scratch_load_b64 v[24:25], off, s32 offset:192 th:TH_LOAD_LU ; 8-byte Folded Reload
	s_wait_loadcnt 0x0
	v_dual_lshrrev_b32 v68, 3, v69 :: v_dual_bitop2_b32 v24, 7, v8 bitop3:0x40
	s_mov_b32 s17, exec_lo
	s_wait_xcnt 0x0
	v_cmpx_gt_u32_e32 8, v69
; %bb.654:                              ;   in Loop: Header=BB206_15 Depth=1
	s_delay_alu instid0(VALU_DEP_2) | instskip(NEXT) | instid1(VALU_DEP_1)
	v_clz_i32_u32_e32 v1, v24
	v_min_u32_e32 v1, 32, v1
	s_delay_alu instid0(VALU_DEP_1) | instskip(NEXT) | instid1(VALU_DEP_1)
	v_subrev_nc_u32_e32 v68, 28, v1
	v_lshlrev_b64_e32 v[70:71], v68, v[24:25]
	s_delay_alu instid0(VALU_DEP_1)
	v_dual_sub_nc_u32 v68, 29, v1 :: v_dual_bitop2_b32 v24, 7, v70 bitop3:0x40
; %bb.655:                              ;   in Loop: Header=BB206_15 Depth=1
	s_or_b32 exec_lo, exec_lo, s17
	v_dual_mov_b32 v70, v25 :: v_dual_lshlrev_b32 v1, 24, v8
	s_delay_alu instid0(VALU_DEP_2) | instskip(NEXT) | instid1(VALU_DEP_3)
	v_lshlrev_b32_e32 v8, 20, v24
	v_lshl_add_u32 v24, v68, 23, 0x3c000000
	s_delay_alu instid0(VALU_DEP_3) | instskip(NEXT) | instid1(VALU_DEP_1)
	v_and_b32_e32 v1, 0x80000000, v1
	v_or3_b32 v71, v8, v1, v24
	v_mov_b32_e32 v1, v25
	scratch_store_b64 off, v[0:1], s32 offset:192 ; 8-byte Folded Spill
.LBB206_656:                            ;   in Loop: Header=BB206_15 Depth=1
	s_wait_xcnt 0x0
	s_or_b32 exec_lo, exec_lo, s16
.LBB206_657:                            ;   in Loop: Header=BB206_15 Depth=1
	s_delay_alu instid0(SALU_CYCLE_1)
	s_or_b32 exec_lo, exec_lo, s15
.LBB206_658:                            ;   in Loop: Header=BB206_15 Depth=1
	s_delay_alu instid0(SALU_CYCLE_1)
	s_or_b32 exec_lo, exec_lo, s14
	flat_load_b32 v84, v[18:19] offset:2560
	v_mov_b64_e32 v[82:83], 0
	v_mov_b64_e32 v[68:69], 0
	s_mov_b32 s14, exec_lo
	s_wait_loadcnt_dscnt 0x0
	v_and_b32_e32 v1, 0xff, v84
	s_wait_xcnt 0x0
	s_delay_alu instid0(VALU_DEP_1)
	v_cmpx_ne_u16_e32 0, v1
	s_cbranch_execz .LBB206_666
; %bb.659:                              ;   in Loop: Header=BB206_15 Depth=1
	v_mov_b64_e32 v[68:69], 0x80000000
	s_mov_b32 s15, exec_lo
	v_cmpx_ne_u16_e32 0x80, v1
	s_cbranch_execz .LBB206_665
; %bb.660:                              ;   in Loop: Header=BB206_15 Depth=1
	v_mov_b64_e32 v[68:69], 0x7f800001
	v_and_b32_e32 v80, 0x7f, v84
	s_mov_b32 s16, exec_lo
	s_delay_alu instid0(VALU_DEP_1)
	v_cmpx_ne_u32_e32 0x7f, v80
	s_cbranch_execz .LBB206_664
; %bb.661:                              ;   in Loop: Header=BB206_15 Depth=1
	scratch_load_b64 v[24:25], off, s32 offset:192 th:TH_LOAD_LU ; 8-byte Folded Reload
	s_wait_loadcnt 0x0
	v_and_b32_e32 v24, 7, v84
	v_lshrrev_b32_e32 v8, 3, v80
	s_mov_b32 s17, exec_lo
	s_wait_xcnt 0x0
	v_cmpx_gt_u32_e32 8, v80
; %bb.662:                              ;   in Loop: Header=BB206_15 Depth=1
	v_clz_i32_u32_e32 v1, v24
	s_delay_alu instid0(VALU_DEP_1) | instskip(NEXT) | instid1(VALU_DEP_1)
	v_min_u32_e32 v1, 32, v1
	v_subrev_nc_u32_e32 v8, 28, v1
	s_delay_alu instid0(VALU_DEP_1) | instskip(NEXT) | instid1(VALU_DEP_1)
	v_lshlrev_b64_e32 v[68:69], v8, v[24:25]
	v_dual_sub_nc_u32 v8, 29, v1 :: v_dual_bitop2_b32 v24, 7, v68 bitop3:0x40
; %bb.663:                              ;   in Loop: Header=BB206_15 Depth=1
	s_or_b32 exec_lo, exec_lo, s17
	v_lshlrev_b32_e32 v1, 24, v84
	s_delay_alu instid0(VALU_DEP_2) | instskip(NEXT) | instid1(VALU_DEP_3)
	v_lshlrev_b32_e32 v24, 20, v24
	v_lshl_add_u32 v8, v8, 23, 0x3c000000
	s_delay_alu instid0(VALU_DEP_3) | instskip(NEXT) | instid1(VALU_DEP_1)
	v_and_b32_e32 v1, 0x80000000, v1
	v_or3_b32 v24, v24, v1, v8
	v_mov_b32_e32 v1, v25
	s_delay_alu instid0(VALU_DEP_2)
	v_mov_b64_e32 v[68:69], v[24:25]
	scratch_store_b64 off, v[0:1], s32 offset:192 ; 8-byte Folded Spill
.LBB206_664:                            ;   in Loop: Header=BB206_15 Depth=1
	s_wait_xcnt 0x0
	s_or_b32 exec_lo, exec_lo, s16
.LBB206_665:                            ;   in Loop: Header=BB206_15 Depth=1
	s_delay_alu instid0(SALU_CYCLE_1)
	s_or_b32 exec_lo, exec_lo, s15
.LBB206_666:                            ;   in Loop: Header=BB206_15 Depth=1
	s_delay_alu instid0(SALU_CYCLE_1) | instskip(SKIP_2) | instid1(VALU_DEP_1)
	s_or_b32 exec_lo, exec_lo, s14
	v_lshrrev_b16 v8, 8, v84
	s_mov_b32 s14, exec_lo
	v_cmpx_ne_u16_e32 0, v8
	s_cbranch_execz .LBB206_674
; %bb.667:                              ;   in Loop: Header=BB206_15 Depth=1
	v_mov_b64_e32 v[82:83], 0x8000000000000000
	s_mov_b32 s15, exec_lo
	v_cmpx_ne_u16_e32 0x80, v8
	s_cbranch_execz .LBB206_673
; %bb.668:                              ;   in Loop: Header=BB206_15 Depth=1
	v_and_b32_e32 v1, 0xffff, v8
	v_mov_b64_e32 v[82:83], 0x7f80000100000000
	s_mov_b32 s16, exec_lo
	s_delay_alu instid0(VALU_DEP_2) | instskip(NEXT) | instid1(VALU_DEP_1)
	v_and_b32_e32 v80, 0x7f, v1
	v_cmpx_ne_u32_e32 0x7f, v80
	s_cbranch_execz .LBB206_672
; %bb.669:                              ;   in Loop: Header=BB206_15 Depth=1
	scratch_load_b64 v[24:25], off, s32 offset:192 th:TH_LOAD_LU ; 8-byte Folded Reload
	s_wait_loadcnt 0x0
	v_dual_lshrrev_b32 v8, 3, v80 :: v_dual_bitop2_b32 v24, 7, v1 bitop3:0x40
	s_mov_b32 s17, exec_lo
	s_wait_xcnt 0x0
	v_cmpx_gt_u32_e32 8, v80
; %bb.670:                              ;   in Loop: Header=BB206_15 Depth=1
	s_delay_alu instid0(VALU_DEP_2) | instskip(NEXT) | instid1(VALU_DEP_1)
	v_clz_i32_u32_e32 v1, v24
	v_min_u32_e32 v1, 32, v1
	s_delay_alu instid0(VALU_DEP_1) | instskip(NEXT) | instid1(VALU_DEP_1)
	v_subrev_nc_u32_e32 v8, 28, v1
	v_lshlrev_b64_e32 v[80:81], v8, v[24:25]
	s_delay_alu instid0(VALU_DEP_1)
	v_dual_sub_nc_u32 v8, 29, v1 :: v_dual_bitop2_b32 v24, 7, v80 bitop3:0x40
; %bb.671:                              ;   in Loop: Header=BB206_15 Depth=1
	s_or_b32 exec_lo, exec_lo, s17
	v_dual_mov_b32 v82, v25 :: v_dual_lshlrev_b32 v1, 16, v84
	s_delay_alu instid0(VALU_DEP_2) | instskip(NEXT) | instid1(VALU_DEP_3)
	v_lshlrev_b32_e32 v24, 20, v24
	v_lshl_add_u32 v8, v8, 23, 0x3c000000
	s_delay_alu instid0(VALU_DEP_3) | instskip(NEXT) | instid1(VALU_DEP_1)
	v_and_b32_e32 v1, 0x80000000, v1
	v_or3_b32 v83, v24, v1, v8
	v_mov_b32_e32 v1, v25
	scratch_store_b64 off, v[0:1], s32 offset:192 ; 8-byte Folded Spill
.LBB206_672:                            ;   in Loop: Header=BB206_15 Depth=1
	s_wait_xcnt 0x0
	s_or_b32 exec_lo, exec_lo, s16
.LBB206_673:                            ;   in Loop: Header=BB206_15 Depth=1
	s_delay_alu instid0(SALU_CYCLE_1)
	s_or_b32 exec_lo, exec_lo, s15
.LBB206_674:                            ;   in Loop: Header=BB206_15 Depth=1
	s_delay_alu instid0(SALU_CYCLE_1) | instskip(SKIP_4) | instid1(VALU_DEP_3)
	s_or_b32 exec_lo, exec_lo, s14
	v_lshrrev_b32_e32 v85, 16, v84
	v_mov_b64_e32 v[86:87], 0
	v_mov_b64_e32 v[80:81], 0
	s_mov_b32 s14, exec_lo
	v_and_b32_e32 v1, 0xff, v85
	s_delay_alu instid0(VALU_DEP_1)
	v_cmpx_ne_u16_e32 0, v1
	s_cbranch_execz .LBB206_682
; %bb.675:                              ;   in Loop: Header=BB206_15 Depth=1
	v_mov_b64_e32 v[80:81], 0x80000000
	s_mov_b32 s15, exec_lo
	v_cmpx_ne_u16_e32 0x80, v1
	s_cbranch_execz .LBB206_681
; %bb.676:                              ;   in Loop: Header=BB206_15 Depth=1
	v_mov_b64_e32 v[80:81], 0x7f800001
	v_bfe_u32 v96, v84, 16, 7
	s_mov_b32 s16, exec_lo
	s_delay_alu instid0(VALU_DEP_1)
	v_cmpx_ne_u32_e32 0x7f, v96
	s_cbranch_execz .LBB206_680
; %bb.677:                              ;   in Loop: Header=BB206_15 Depth=1
	scratch_load_b64 v[24:25], off, s32 offset:192 th:TH_LOAD_LU ; 8-byte Folded Reload
	s_wait_loadcnt 0x0
	v_dual_lshrrev_b32 v8, 3, v96 :: v_dual_bitop2_b32 v24, 7, v85 bitop3:0x40
	s_mov_b32 s17, exec_lo
	s_wait_xcnt 0x0
	v_cmpx_gt_u32_e32 8, v96
; %bb.678:                              ;   in Loop: Header=BB206_15 Depth=1
	s_delay_alu instid0(VALU_DEP_2) | instskip(NEXT) | instid1(VALU_DEP_1)
	v_clz_i32_u32_e32 v1, v24
	v_min_u32_e32 v1, 32, v1
	s_delay_alu instid0(VALU_DEP_1) | instskip(NEXT) | instid1(VALU_DEP_1)
	v_subrev_nc_u32_e32 v8, 28, v1
	v_lshlrev_b64_e32 v[80:81], v8, v[24:25]
	s_delay_alu instid0(VALU_DEP_1)
	v_dual_sub_nc_u32 v8, 29, v1 :: v_dual_bitop2_b32 v24, 7, v80 bitop3:0x40
; %bb.679:                              ;   in Loop: Header=BB206_15 Depth=1
	s_or_b32 exec_lo, exec_lo, s17
	s_delay_alu instid0(VALU_DEP_1) | instskip(NEXT) | instid1(VALU_DEP_2)
	v_dual_lshlrev_b32 v1, 24, v85 :: v_dual_lshlrev_b32 v24, 20, v24
	v_lshl_add_u32 v8, v8, 23, 0x3c000000
	s_delay_alu instid0(VALU_DEP_2) | instskip(NEXT) | instid1(VALU_DEP_1)
	v_and_b32_e32 v1, 0x80000000, v1
	v_or3_b32 v24, v24, v1, v8
	v_mov_b32_e32 v1, v25
	s_delay_alu instid0(VALU_DEP_2)
	v_mov_b64_e32 v[80:81], v[24:25]
	scratch_store_b64 off, v[0:1], s32 offset:192 ; 8-byte Folded Spill
.LBB206_680:                            ;   in Loop: Header=BB206_15 Depth=1
	s_wait_xcnt 0x0
	s_or_b32 exec_lo, exec_lo, s16
.LBB206_681:                            ;   in Loop: Header=BB206_15 Depth=1
	s_delay_alu instid0(SALU_CYCLE_1)
	s_or_b32 exec_lo, exec_lo, s15
.LBB206_682:                            ;   in Loop: Header=BB206_15 Depth=1
	s_delay_alu instid0(SALU_CYCLE_1) | instskip(NEXT) | instid1(SALU_CYCLE_1)
	s_or_b32 exec_lo, exec_lo, s14
	s_mov_b32 s14, exec_lo
	v_cmpx_lt_u32_e32 0xffffff, v84
	s_cbranch_execz .LBB206_690
; %bb.683:                              ;   in Loop: Header=BB206_15 Depth=1
	v_mov_b64_e32 v[86:87], 0x8000000000000000
	v_lshrrev_b32_e32 v8, 24, v84
	s_mov_b32 s15, exec_lo
	s_delay_alu instid0(VALU_DEP_1)
	v_cmpx_ne_u32_e32 0x80, v8
	s_cbranch_execz .LBB206_689
; %bb.684:                              ;   in Loop: Header=BB206_15 Depth=1
	v_mov_b64_e32 v[86:87], 0x7f80000100000000
	v_bfe_u32 v85, v84, 24, 7
	s_mov_b32 s16, exec_lo
	s_delay_alu instid0(VALU_DEP_1)
	v_cmpx_ne_u32_e32 0x7f, v85
	s_cbranch_execz .LBB206_688
; %bb.685:                              ;   in Loop: Header=BB206_15 Depth=1
	scratch_load_b64 v[24:25], off, s32 offset:192 th:TH_LOAD_LU ; 8-byte Folded Reload
	s_wait_loadcnt 0x0
	v_dual_lshrrev_b32 v84, 3, v85 :: v_dual_bitop2_b32 v24, 7, v8 bitop3:0x40
	s_mov_b32 s17, exec_lo
	s_wait_xcnt 0x0
	v_cmpx_gt_u32_e32 8, v85
; %bb.686:                              ;   in Loop: Header=BB206_15 Depth=1
	s_delay_alu instid0(VALU_DEP_2) | instskip(NEXT) | instid1(VALU_DEP_1)
	v_clz_i32_u32_e32 v1, v24
	v_min_u32_e32 v1, 32, v1
	s_delay_alu instid0(VALU_DEP_1) | instskip(NEXT) | instid1(VALU_DEP_1)
	v_subrev_nc_u32_e32 v84, 28, v1
	v_lshlrev_b64_e32 v[86:87], v84, v[24:25]
	s_delay_alu instid0(VALU_DEP_1)
	v_dual_sub_nc_u32 v84, 29, v1 :: v_dual_bitop2_b32 v24, 7, v86 bitop3:0x40
; %bb.687:                              ;   in Loop: Header=BB206_15 Depth=1
	s_or_b32 exec_lo, exec_lo, s17
	v_dual_mov_b32 v86, v25 :: v_dual_lshlrev_b32 v1, 24, v8
	s_delay_alu instid0(VALU_DEP_2) | instskip(NEXT) | instid1(VALU_DEP_3)
	v_lshlrev_b32_e32 v8, 20, v24
	v_lshl_add_u32 v24, v84, 23, 0x3c000000
	s_delay_alu instid0(VALU_DEP_3) | instskip(NEXT) | instid1(VALU_DEP_1)
	v_and_b32_e32 v1, 0x80000000, v1
	v_or3_b32 v87, v8, v1, v24
	v_mov_b32_e32 v1, v25
	scratch_store_b64 off, v[0:1], s32 offset:192 ; 8-byte Folded Spill
.LBB206_688:                            ;   in Loop: Header=BB206_15 Depth=1
	s_wait_xcnt 0x0
	s_or_b32 exec_lo, exec_lo, s16
.LBB206_689:                            ;   in Loop: Header=BB206_15 Depth=1
	s_delay_alu instid0(SALU_CYCLE_1)
	s_or_b32 exec_lo, exec_lo, s15
.LBB206_690:                            ;   in Loop: Header=BB206_15 Depth=1
	s_delay_alu instid0(SALU_CYCLE_1)
	s_or_b32 exec_lo, exec_lo, s14
	flat_load_b32 v98, v[18:19] offset:2564
	v_mov_b64_e32 v[96:97], 0
	v_mov_b64_e32 v[84:85], 0
	s_mov_b32 s14, exec_lo
	s_wait_loadcnt_dscnt 0x0
	v_and_b32_e32 v1, 0xff, v98
	s_wait_xcnt 0x0
	s_delay_alu instid0(VALU_DEP_1)
	v_cmpx_ne_u16_e32 0, v1
	s_cbranch_execz .LBB206_698
; %bb.691:                              ;   in Loop: Header=BB206_15 Depth=1
	v_mov_b64_e32 v[84:85], 0x80000000
	s_mov_b32 s15, exec_lo
	v_cmpx_ne_u16_e32 0x80, v1
	s_cbranch_execz .LBB206_697
; %bb.692:                              ;   in Loop: Header=BB206_15 Depth=1
	v_mov_b64_e32 v[84:85], 0x7f800001
	v_and_b32_e32 v99, 0x7f, v98
	s_mov_b32 s16, exec_lo
	s_delay_alu instid0(VALU_DEP_1)
	v_cmpx_ne_u32_e32 0x7f, v99
	s_cbranch_execz .LBB206_696
; %bb.693:                              ;   in Loop: Header=BB206_15 Depth=1
	scratch_load_b64 v[24:25], off, s32 offset:192 th:TH_LOAD_LU ; 8-byte Folded Reload
	s_wait_loadcnt 0x0
	v_dual_lshrrev_b32 v8, 3, v99 :: v_dual_bitop2_b32 v24, 7, v98 bitop3:0x40
	s_mov_b32 s17, exec_lo
	s_wait_xcnt 0x0
	v_cmpx_gt_u32_e32 8, v99
; %bb.694:                              ;   in Loop: Header=BB206_15 Depth=1
	s_delay_alu instid0(VALU_DEP_2) | instskip(NEXT) | instid1(VALU_DEP_1)
	v_clz_i32_u32_e32 v1, v24
	v_min_u32_e32 v1, 32, v1
	s_delay_alu instid0(VALU_DEP_1) | instskip(NEXT) | instid1(VALU_DEP_1)
	v_subrev_nc_u32_e32 v8, 28, v1
	v_lshlrev_b64_e32 v[84:85], v8, v[24:25]
	s_delay_alu instid0(VALU_DEP_1)
	v_dual_sub_nc_u32 v8, 29, v1 :: v_dual_bitop2_b32 v24, 7, v84 bitop3:0x40
; %bb.695:                              ;   in Loop: Header=BB206_15 Depth=1
	s_or_b32 exec_lo, exec_lo, s17
	s_delay_alu instid0(VALU_DEP_1) | instskip(NEXT) | instid1(VALU_DEP_2)
	v_dual_lshlrev_b32 v1, 24, v98 :: v_dual_lshlrev_b32 v24, 20, v24
	v_lshl_add_u32 v8, v8, 23, 0x3c000000
	s_delay_alu instid0(VALU_DEP_2) | instskip(NEXT) | instid1(VALU_DEP_1)
	v_and_b32_e32 v1, 0x80000000, v1
	v_or3_b32 v24, v24, v1, v8
	v_mov_b32_e32 v1, v25
	s_delay_alu instid0(VALU_DEP_2)
	v_mov_b64_e32 v[84:85], v[24:25]
	scratch_store_b64 off, v[0:1], s32 offset:192 ; 8-byte Folded Spill
.LBB206_696:                            ;   in Loop: Header=BB206_15 Depth=1
	s_wait_xcnt 0x0
	s_or_b32 exec_lo, exec_lo, s16
.LBB206_697:                            ;   in Loop: Header=BB206_15 Depth=1
	s_delay_alu instid0(SALU_CYCLE_1)
	s_or_b32 exec_lo, exec_lo, s15
.LBB206_698:                            ;   in Loop: Header=BB206_15 Depth=1
	s_delay_alu instid0(SALU_CYCLE_1) | instskip(SKIP_2) | instid1(VALU_DEP_1)
	s_or_b32 exec_lo, exec_lo, s14
	v_lshrrev_b16 v8, 8, v98
	s_mov_b32 s14, exec_lo
	v_cmpx_ne_u16_e32 0, v8
	s_cbranch_execz .LBB206_706
; %bb.699:                              ;   in Loop: Header=BB206_15 Depth=1
	v_mov_b64_e32 v[96:97], 0x8000000000000000
	s_mov_b32 s15, exec_lo
	v_cmpx_ne_u16_e32 0x80, v8
	s_cbranch_execz .LBB206_705
; %bb.700:                              ;   in Loop: Header=BB206_15 Depth=1
	v_and_b32_e32 v1, 0xffff, v8
	v_mov_b64_e32 v[96:97], 0x7f80000100000000
	s_mov_b32 s16, exec_lo
	s_delay_alu instid0(VALU_DEP_2) | instskip(NEXT) | instid1(VALU_DEP_1)
	v_and_b32_e32 v99, 0x7f, v1
	v_cmpx_ne_u32_e32 0x7f, v99
	s_cbranch_execz .LBB206_704
; %bb.701:                              ;   in Loop: Header=BB206_15 Depth=1
	scratch_load_b64 v[24:25], off, s32 offset:192 th:TH_LOAD_LU ; 8-byte Folded Reload
	s_wait_loadcnt 0x0
	v_dual_lshrrev_b32 v8, 3, v99 :: v_dual_bitop2_b32 v24, 7, v1 bitop3:0x40
	s_mov_b32 s17, exec_lo
	s_wait_xcnt 0x0
	v_cmpx_gt_u32_e32 8, v99
; %bb.702:                              ;   in Loop: Header=BB206_15 Depth=1
	s_delay_alu instid0(VALU_DEP_2) | instskip(NEXT) | instid1(VALU_DEP_1)
	v_clz_i32_u32_e32 v1, v24
	v_min_u32_e32 v1, 32, v1
	s_delay_alu instid0(VALU_DEP_1) | instskip(NEXT) | instid1(VALU_DEP_1)
	v_subrev_nc_u32_e32 v8, 28, v1
	v_lshlrev_b64_e32 v[96:97], v8, v[24:25]
	s_delay_alu instid0(VALU_DEP_1)
	v_dual_sub_nc_u32 v8, 29, v1 :: v_dual_bitop2_b32 v24, 7, v96 bitop3:0x40
; %bb.703:                              ;   in Loop: Header=BB206_15 Depth=1
	s_or_b32 exec_lo, exec_lo, s17
	s_delay_alu instid0(VALU_DEP_1) | instskip(NEXT) | instid1(VALU_DEP_2)
	v_dual_lshlrev_b32 v1, 16, v98 :: v_dual_lshlrev_b32 v24, 20, v24
	v_lshl_add_u32 v8, v8, 23, 0x3c000000
	v_mov_b32_e32 v96, v25
	s_delay_alu instid0(VALU_DEP_3) | instskip(NEXT) | instid1(VALU_DEP_1)
	v_and_b32_e32 v1, 0x80000000, v1
	v_or3_b32 v97, v24, v1, v8
	v_mov_b32_e32 v1, v25
	scratch_store_b64 off, v[0:1], s32 offset:192 ; 8-byte Folded Spill
.LBB206_704:                            ;   in Loop: Header=BB206_15 Depth=1
	s_wait_xcnt 0x0
	s_or_b32 exec_lo, exec_lo, s16
.LBB206_705:                            ;   in Loop: Header=BB206_15 Depth=1
	s_delay_alu instid0(SALU_CYCLE_1)
	s_or_b32 exec_lo, exec_lo, s15
.LBB206_706:                            ;   in Loop: Header=BB206_15 Depth=1
	s_delay_alu instid0(SALU_CYCLE_1) | instskip(SKIP_4) | instid1(VALU_DEP_3)
	s_or_b32 exec_lo, exec_lo, s14
	v_lshrrev_b32_e32 v99, 16, v98
	v_mov_b64_e32 v[100:101], 0
	v_mov_b64_e32 v[108:109], 0
	s_mov_b32 s14, exec_lo
	v_and_b32_e32 v1, 0xff, v99
	s_delay_alu instid0(VALU_DEP_1)
	v_cmpx_ne_u16_e32 0, v1
	s_cbranch_execz .LBB206_714
; %bb.707:                              ;   in Loop: Header=BB206_15 Depth=1
	v_mov_b64_e32 v[108:109], 0x80000000
	s_mov_b32 s15, exec_lo
	v_cmpx_ne_u16_e32 0x80, v1
	s_cbranch_execz .LBB206_713
; %bb.708:                              ;   in Loop: Header=BB206_15 Depth=1
	v_mov_b64_e32 v[108:109], 0x7f800001
	v_bfe_u32 v102, v98, 16, 7
	s_mov_b32 s16, exec_lo
	s_delay_alu instid0(VALU_DEP_1)
	v_cmpx_ne_u32_e32 0x7f, v102
	s_cbranch_execz .LBB206_712
; %bb.709:                              ;   in Loop: Header=BB206_15 Depth=1
	scratch_load_b64 v[108:109], off, s32 offset:192 th:TH_LOAD_LU ; 8-byte Folded Reload
	s_wait_loadcnt 0x0
	v_dual_lshrrev_b32 v8, 3, v102 :: v_dual_bitop2_b32 v108, 7, v99 bitop3:0x40
	s_mov_b32 s17, exec_lo
	s_wait_xcnt 0x0
	v_cmpx_gt_u32_e32 8, v102
; %bb.710:                              ;   in Loop: Header=BB206_15 Depth=1
	s_delay_alu instid0(VALU_DEP_2) | instskip(NEXT) | instid1(VALU_DEP_1)
	v_clz_i32_u32_e32 v1, v108
	v_min_u32_e32 v1, 32, v1
	s_delay_alu instid0(VALU_DEP_1) | instskip(NEXT) | instid1(VALU_DEP_1)
	v_subrev_nc_u32_e32 v8, 28, v1
	v_lshlrev_b64_e32 v[102:103], v8, v[108:109]
	s_delay_alu instid0(VALU_DEP_1)
	v_dual_sub_nc_u32 v8, 29, v1 :: v_dual_bitop2_b32 v108, 7, v102 bitop3:0x40
; %bb.711:                              ;   in Loop: Header=BB206_15 Depth=1
	s_or_b32 exec_lo, exec_lo, s17
	s_delay_alu instid0(VALU_DEP_1) | instskip(NEXT) | instid1(VALU_DEP_2)
	v_dual_lshlrev_b32 v1, 24, v99 :: v_dual_lshlrev_b32 v24, 20, v108
	v_lshl_add_u32 v8, v8, 23, 0x3c000000
	s_delay_alu instid0(VALU_DEP_2) | instskip(NEXT) | instid1(VALU_DEP_1)
	v_and_b32_e32 v1, 0x80000000, v1
	v_or3_b32 v108, v24, v1, v8
	v_mov_b32_e32 v1, v109
	scratch_store_b64 off, v[0:1], s32 offset:192 ; 8-byte Folded Spill
.LBB206_712:                            ;   in Loop: Header=BB206_15 Depth=1
	s_wait_xcnt 0x0
	s_or_b32 exec_lo, exec_lo, s16
.LBB206_713:                            ;   in Loop: Header=BB206_15 Depth=1
	s_delay_alu instid0(SALU_CYCLE_1)
	s_or_b32 exec_lo, exec_lo, s15
.LBB206_714:                            ;   in Loop: Header=BB206_15 Depth=1
	s_delay_alu instid0(SALU_CYCLE_1) | instskip(NEXT) | instid1(SALU_CYCLE_1)
	s_or_b32 exec_lo, exec_lo, s14
	s_mov_b32 s14, exec_lo
	v_cmpx_lt_u32_e32 0xffffff, v98
	s_cbranch_execz .LBB206_722
; %bb.715:                              ;   in Loop: Header=BB206_15 Depth=1
	v_mov_b64_e32 v[100:101], 0x8000000000000000
	v_lshrrev_b32_e32 v8, 24, v98
	s_mov_b32 s15, exec_lo
	s_delay_alu instid0(VALU_DEP_1)
	v_cmpx_ne_u32_e32 0x80, v8
	s_cbranch_execz .LBB206_721
; %bb.716:                              ;   in Loop: Header=BB206_15 Depth=1
	v_mov_b64_e32 v[100:101], 0x7f80000100000000
	v_bfe_u32 v99, v98, 24, 7
	s_mov_b32 s16, exec_lo
	s_delay_alu instid0(VALU_DEP_1)
	v_cmpx_ne_u32_e32 0x7f, v99
	s_cbranch_execz .LBB206_720
; %bb.717:                              ;   in Loop: Header=BB206_15 Depth=1
	scratch_load_b64 v[24:25], off, s32 offset:192 th:TH_LOAD_LU ; 8-byte Folded Reload
	s_wait_loadcnt 0x0
	v_dual_lshrrev_b32 v98, 3, v99 :: v_dual_bitop2_b32 v24, 7, v8 bitop3:0x40
	s_mov_b32 s17, exec_lo
	s_wait_xcnt 0x0
	v_cmpx_gt_u32_e32 8, v99
; %bb.718:                              ;   in Loop: Header=BB206_15 Depth=1
	s_delay_alu instid0(VALU_DEP_2) | instskip(NEXT) | instid1(VALU_DEP_1)
	v_clz_i32_u32_e32 v1, v24
	v_min_u32_e32 v1, 32, v1
	s_delay_alu instid0(VALU_DEP_1) | instskip(NEXT) | instid1(VALU_DEP_1)
	v_subrev_nc_u32_e32 v98, 28, v1
	v_lshlrev_b64_e32 v[100:101], v98, v[24:25]
	s_delay_alu instid0(VALU_DEP_1)
	v_dual_sub_nc_u32 v98, 29, v1 :: v_dual_bitop2_b32 v24, 7, v100 bitop3:0x40
; %bb.719:                              ;   in Loop: Header=BB206_15 Depth=1
	s_or_b32 exec_lo, exec_lo, s17
	v_dual_mov_b32 v100, v25 :: v_dual_lshlrev_b32 v1, 24, v8
	s_delay_alu instid0(VALU_DEP_2) | instskip(NEXT) | instid1(VALU_DEP_3)
	v_lshlrev_b32_e32 v8, 20, v24
	v_lshl_add_u32 v24, v98, 23, 0x3c000000
	s_delay_alu instid0(VALU_DEP_3) | instskip(NEXT) | instid1(VALU_DEP_1)
	v_and_b32_e32 v1, 0x80000000, v1
	v_or3_b32 v101, v8, v1, v24
	v_mov_b32_e32 v1, v25
	scratch_store_b64 off, v[0:1], s32 offset:192 ; 8-byte Folded Spill
.LBB206_720:                            ;   in Loop: Header=BB206_15 Depth=1
	s_wait_xcnt 0x0
	s_or_b32 exec_lo, exec_lo, s16
.LBB206_721:                            ;   in Loop: Header=BB206_15 Depth=1
	s_delay_alu instid0(SALU_CYCLE_1)
	s_or_b32 exec_lo, exec_lo, s15
.LBB206_722:                            ;   in Loop: Header=BB206_15 Depth=1
	s_delay_alu instid0(SALU_CYCLE_1)
	s_or_b32 exec_lo, exec_lo, s14
	flat_load_b32 v114, v[18:19] offset:2568
	v_mov_b64_e32 v[112:113], 0
	v_mov_b64_e32 v[98:99], 0
	s_mov_b32 s14, exec_lo
	s_wait_loadcnt_dscnt 0x0
	v_and_b32_e32 v1, 0xff, v114
	s_wait_xcnt 0x0
	s_delay_alu instid0(VALU_DEP_1)
	v_cmpx_ne_u16_e32 0, v1
	s_cbranch_execz .LBB206_730
; %bb.723:                              ;   in Loop: Header=BB206_15 Depth=1
	v_mov_b64_e32 v[98:99], 0x80000000
	s_mov_b32 s15, exec_lo
	v_cmpx_ne_u16_e32 0x80, v1
	s_cbranch_execz .LBB206_729
; %bb.724:                              ;   in Loop: Header=BB206_15 Depth=1
	v_mov_b64_e32 v[98:99], 0x7f800001
	v_and_b32_e32 v102, 0x7f, v114
	s_mov_b32 s16, exec_lo
	s_delay_alu instid0(VALU_DEP_1)
	v_cmpx_ne_u32_e32 0x7f, v102
	s_cbranch_execz .LBB206_728
; %bb.725:                              ;   in Loop: Header=BB206_15 Depth=1
	scratch_load_b64 v[24:25], off, s32 offset:192 th:TH_LOAD_LU ; 8-byte Folded Reload
	s_wait_loadcnt 0x0
	v_and_b32_e32 v24, 7, v114
	v_lshrrev_b32_e32 v8, 3, v102
	s_mov_b32 s17, exec_lo
	s_wait_xcnt 0x0
	v_cmpx_gt_u32_e32 8, v102
; %bb.726:                              ;   in Loop: Header=BB206_15 Depth=1
	v_clz_i32_u32_e32 v1, v24
	s_delay_alu instid0(VALU_DEP_1) | instskip(NEXT) | instid1(VALU_DEP_1)
	v_min_u32_e32 v1, 32, v1
	v_subrev_nc_u32_e32 v8, 28, v1
	s_delay_alu instid0(VALU_DEP_1) | instskip(NEXT) | instid1(VALU_DEP_1)
	v_lshlrev_b64_e32 v[98:99], v8, v[24:25]
	v_dual_sub_nc_u32 v8, 29, v1 :: v_dual_bitop2_b32 v24, 7, v98 bitop3:0x40
; %bb.727:                              ;   in Loop: Header=BB206_15 Depth=1
	s_or_b32 exec_lo, exec_lo, s17
	s_delay_alu instid0(VALU_DEP_1) | instskip(NEXT) | instid1(VALU_DEP_2)
	v_dual_lshlrev_b32 v1, 24, v114 :: v_dual_lshlrev_b32 v24, 20, v24
	v_lshl_add_u32 v8, v8, 23, 0x3c000000
	s_delay_alu instid0(VALU_DEP_2) | instskip(NEXT) | instid1(VALU_DEP_1)
	v_and_b32_e32 v1, 0x80000000, v1
	v_or3_b32 v24, v24, v1, v8
	v_mov_b32_e32 v1, v25
	s_delay_alu instid0(VALU_DEP_2)
	v_mov_b64_e32 v[98:99], v[24:25]
	scratch_store_b64 off, v[0:1], s32 offset:192 ; 8-byte Folded Spill
.LBB206_728:                            ;   in Loop: Header=BB206_15 Depth=1
	s_wait_xcnt 0x0
	s_or_b32 exec_lo, exec_lo, s16
.LBB206_729:                            ;   in Loop: Header=BB206_15 Depth=1
	s_delay_alu instid0(SALU_CYCLE_1)
	s_or_b32 exec_lo, exec_lo, s15
.LBB206_730:                            ;   in Loop: Header=BB206_15 Depth=1
	s_delay_alu instid0(SALU_CYCLE_1) | instskip(SKIP_2) | instid1(VALU_DEP_1)
	s_or_b32 exec_lo, exec_lo, s14
	v_lshrrev_b16 v8, 8, v114
	s_mov_b32 s14, exec_lo
	v_cmpx_ne_u16_e32 0, v8
	s_cbranch_execz .LBB206_738
; %bb.731:                              ;   in Loop: Header=BB206_15 Depth=1
	v_mov_b64_e32 v[112:113], 0x8000000000000000
	s_mov_b32 s15, exec_lo
	v_cmpx_ne_u16_e32 0x80, v8
	s_cbranch_execz .LBB206_737
; %bb.732:                              ;   in Loop: Header=BB206_15 Depth=1
	v_and_b32_e32 v1, 0xffff, v8
	v_mov_b64_e32 v[112:113], 0x7f80000100000000
	s_mov_b32 s16, exec_lo
	s_delay_alu instid0(VALU_DEP_2) | instskip(NEXT) | instid1(VALU_DEP_1)
	v_and_b32_e32 v102, 0x7f, v1
	v_cmpx_ne_u32_e32 0x7f, v102
	s_cbranch_execz .LBB206_736
; %bb.733:                              ;   in Loop: Header=BB206_15 Depth=1
	scratch_load_b64 v[24:25], off, s32 offset:192 th:TH_LOAD_LU ; 8-byte Folded Reload
	s_wait_loadcnt 0x0
	v_dual_lshrrev_b32 v8, 3, v102 :: v_dual_bitop2_b32 v24, 7, v1 bitop3:0x40
	s_mov_b32 s17, exec_lo
	s_wait_xcnt 0x0
	v_cmpx_gt_u32_e32 8, v102
; %bb.734:                              ;   in Loop: Header=BB206_15 Depth=1
	s_delay_alu instid0(VALU_DEP_2) | instskip(NEXT) | instid1(VALU_DEP_1)
	v_clz_i32_u32_e32 v1, v24
	v_min_u32_e32 v1, 32, v1
	s_delay_alu instid0(VALU_DEP_1) | instskip(NEXT) | instid1(VALU_DEP_1)
	v_subrev_nc_u32_e32 v8, 28, v1
	v_lshlrev_b64_e32 v[102:103], v8, v[24:25]
	s_delay_alu instid0(VALU_DEP_1)
	v_dual_sub_nc_u32 v8, 29, v1 :: v_dual_bitop2_b32 v24, 7, v102 bitop3:0x40
; %bb.735:                              ;   in Loop: Header=BB206_15 Depth=1
	s_or_b32 exec_lo, exec_lo, s17
	s_delay_alu instid0(VALU_DEP_1) | instskip(NEXT) | instid1(VALU_DEP_2)
	v_dual_lshlrev_b32 v1, 16, v114 :: v_dual_lshlrev_b32 v24, 20, v24
	v_lshl_add_u32 v8, v8, 23, 0x3c000000
	v_mov_b32_e32 v112, v25
	s_delay_alu instid0(VALU_DEP_3) | instskip(NEXT) | instid1(VALU_DEP_1)
	v_and_b32_e32 v1, 0x80000000, v1
	v_or3_b32 v113, v24, v1, v8
	v_mov_b32_e32 v1, v25
	scratch_store_b64 off, v[0:1], s32 offset:192 ; 8-byte Folded Spill
.LBB206_736:                            ;   in Loop: Header=BB206_15 Depth=1
	s_wait_xcnt 0x0
	s_or_b32 exec_lo, exec_lo, s16
.LBB206_737:                            ;   in Loop: Header=BB206_15 Depth=1
	s_delay_alu instid0(SALU_CYCLE_1)
	s_or_b32 exec_lo, exec_lo, s15
.LBB206_738:                            ;   in Loop: Header=BB206_15 Depth=1
	s_delay_alu instid0(SALU_CYCLE_1) | instskip(SKIP_4) | instid1(VALU_DEP_3)
	s_or_b32 exec_lo, exec_lo, s14
	v_lshrrev_b32_e32 v115, 16, v114
	v_mov_b64_e32 v[102:103], 0
	v_mov_b64_e32 v[40:41], 0
	s_mov_b32 s14, exec_lo
	v_and_b32_e32 v1, 0xff, v115
	s_delay_alu instid0(VALU_DEP_1)
	v_cmpx_ne_u16_e32 0, v1
	s_cbranch_execz .LBB206_746
; %bb.739:                              ;   in Loop: Header=BB206_15 Depth=1
	v_mov_b64_e32 v[40:41], 0x80000000
	s_mov_b32 s15, exec_lo
	v_cmpx_ne_u16_e32 0x80, v1
	s_cbranch_execz .LBB206_745
; %bb.740:                              ;   in Loop: Header=BB206_15 Depth=1
	v_mov_b64_e32 v[40:41], 0x7f800001
	v_bfe_u32 v116, v114, 16, 7
	s_mov_b32 s16, exec_lo
	s_delay_alu instid0(VALU_DEP_1)
	v_cmpx_ne_u32_e32 0x7f, v116
	s_cbranch_execz .LBB206_744
; %bb.741:                              ;   in Loop: Header=BB206_15 Depth=1
	scratch_load_b64 v[40:41], off, s32 offset:192 th:TH_LOAD_LU ; 8-byte Folded Reload
	s_wait_loadcnt 0x0
	v_dual_lshrrev_b32 v8, 3, v116 :: v_dual_bitop2_b32 v40, 7, v115 bitop3:0x40
	s_mov_b32 s17, exec_lo
	s_wait_xcnt 0x0
	v_cmpx_gt_u32_e32 8, v116
; %bb.742:                              ;   in Loop: Header=BB206_15 Depth=1
	s_delay_alu instid0(VALU_DEP_2) | instskip(NEXT) | instid1(VALU_DEP_1)
	v_clz_i32_u32_e32 v1, v40
	v_min_u32_e32 v1, 32, v1
	s_delay_alu instid0(VALU_DEP_1) | instskip(NEXT) | instid1(VALU_DEP_1)
	v_subrev_nc_u32_e32 v8, 28, v1
	v_lshlrev_b64_e32 v[116:117], v8, v[40:41]
	s_delay_alu instid0(VALU_DEP_1)
	v_dual_sub_nc_u32 v8, 29, v1 :: v_dual_bitop2_b32 v40, 7, v116 bitop3:0x40
; %bb.743:                              ;   in Loop: Header=BB206_15 Depth=1
	s_or_b32 exec_lo, exec_lo, s17
	s_delay_alu instid0(VALU_DEP_1) | instskip(NEXT) | instid1(VALU_DEP_2)
	v_dual_lshlrev_b32 v1, 24, v115 :: v_dual_lshlrev_b32 v24, 20, v40
	v_lshl_add_u32 v8, v8, 23, 0x3c000000
	s_delay_alu instid0(VALU_DEP_2) | instskip(NEXT) | instid1(VALU_DEP_1)
	v_and_b32_e32 v1, 0x80000000, v1
	v_or3_b32 v40, v24, v1, v8
	v_mov_b32_e32 v1, v41
	scratch_store_b64 off, v[0:1], s32 offset:192 ; 8-byte Folded Spill
.LBB206_744:                            ;   in Loop: Header=BB206_15 Depth=1
	s_wait_xcnt 0x0
	s_or_b32 exec_lo, exec_lo, s16
.LBB206_745:                            ;   in Loop: Header=BB206_15 Depth=1
	s_delay_alu instid0(SALU_CYCLE_1)
	s_or_b32 exec_lo, exec_lo, s15
.LBB206_746:                            ;   in Loop: Header=BB206_15 Depth=1
	s_delay_alu instid0(SALU_CYCLE_1) | instskip(NEXT) | instid1(SALU_CYCLE_1)
	s_or_b32 exec_lo, exec_lo, s14
	s_mov_b32 s14, exec_lo
	v_cmpx_lt_u32_e32 0xffffff, v114
	s_cbranch_execz .LBB206_754
; %bb.747:                              ;   in Loop: Header=BB206_15 Depth=1
	v_mov_b64_e32 v[102:103], 0x8000000000000000
	v_lshrrev_b32_e32 v8, 24, v114
	s_mov_b32 s15, exec_lo
	s_delay_alu instid0(VALU_DEP_1)
	v_cmpx_ne_u32_e32 0x80, v8
	s_cbranch_execz .LBB206_753
; %bb.748:                              ;   in Loop: Header=BB206_15 Depth=1
	v_mov_b64_e32 v[102:103], 0x7f80000100000000
	v_bfe_u32 v114, v114, 24, 7
	s_mov_b32 s16, exec_lo
	s_delay_alu instid0(VALU_DEP_1)
	v_cmpx_ne_u32_e32 0x7f, v114
	s_cbranch_execz .LBB206_752
; %bb.749:                              ;   in Loop: Header=BB206_15 Depth=1
	scratch_load_b64 v[24:25], off, s32 offset:192 th:TH_LOAD_LU ; 8-byte Folded Reload
	s_wait_loadcnt 0x0
	v_dual_lshrrev_b32 v102, 3, v114 :: v_dual_bitop2_b32 v24, 7, v8 bitop3:0x40
	s_mov_b32 s17, exec_lo
	s_wait_xcnt 0x0
	v_cmpx_gt_u32_e32 8, v114
; %bb.750:                              ;   in Loop: Header=BB206_15 Depth=1
	s_delay_alu instid0(VALU_DEP_2) | instskip(NEXT) | instid1(VALU_DEP_1)
	v_clz_i32_u32_e32 v1, v24
	v_min_u32_e32 v1, 32, v1
	s_delay_alu instid0(VALU_DEP_1) | instskip(NEXT) | instid1(VALU_DEP_1)
	v_subrev_nc_u32_e32 v102, 28, v1
	v_lshlrev_b64_e32 v[114:115], v102, v[24:25]
	s_delay_alu instid0(VALU_DEP_1)
	v_dual_sub_nc_u32 v102, 29, v1 :: v_dual_bitop2_b32 v24, 7, v114 bitop3:0x40
; %bb.751:                              ;   in Loop: Header=BB206_15 Depth=1
	s_or_b32 exec_lo, exec_lo, s17
	v_lshlrev_b32_e32 v1, 24, v8
	s_delay_alu instid0(VALU_DEP_2) | instskip(NEXT) | instid1(VALU_DEP_3)
	v_lshlrev_b32_e32 v8, 20, v24
	v_lshl_add_u32 v24, v102, 23, 0x3c000000
	v_mov_b32_e32 v102, v25
	s_delay_alu instid0(VALU_DEP_4) | instskip(NEXT) | instid1(VALU_DEP_1)
	v_and_b32_e32 v1, 0x80000000, v1
	v_or3_b32 v103, v8, v1, v24
	v_mov_b32_e32 v1, v25
	scratch_store_b64 off, v[0:1], s32 offset:192 ; 8-byte Folded Spill
.LBB206_752:                            ;   in Loop: Header=BB206_15 Depth=1
	s_wait_xcnt 0x0
	s_or_b32 exec_lo, exec_lo, s16
.LBB206_753:                            ;   in Loop: Header=BB206_15 Depth=1
	s_delay_alu instid0(SALU_CYCLE_1)
	s_or_b32 exec_lo, exec_lo, s15
.LBB206_754:                            ;   in Loop: Header=BB206_15 Depth=1
	s_delay_alu instid0(SALU_CYCLE_1)
	s_or_b32 exec_lo, exec_lo, s14
	flat_load_b32 v123, v[18:19] offset:2572
	s_wait_xcnt 0x0
	v_mov_b64_e32 v[18:19], 0
	v_mov_b64_e32 v[116:117], 0
	s_mov_b32 s14, exec_lo
	s_wait_loadcnt_dscnt 0x0
	v_and_b32_e32 v1, 0xff, v123
	s_delay_alu instid0(VALU_DEP_1)
	v_cmpx_ne_u16_e32 0, v1
	s_cbranch_execz .LBB206_762
; %bb.755:                              ;   in Loop: Header=BB206_15 Depth=1
	v_mov_b64_e32 v[116:117], 0x80000000
	s_mov_b32 s15, exec_lo
	v_cmpx_ne_u16_e32 0x80, v1
	s_cbranch_execz .LBB206_761
; %bb.756:                              ;   in Loop: Header=BB206_15 Depth=1
	v_mov_b64_e32 v[116:117], 0x7f800001
	v_and_b32_e32 v114, 0x7f, v123
	s_mov_b32 s16, exec_lo
	s_delay_alu instid0(VALU_DEP_1)
	v_cmpx_ne_u32_e32 0x7f, v114
	s_cbranch_execz .LBB206_760
; %bb.757:                              ;   in Loop: Header=BB206_15 Depth=1
	scratch_load_b64 v[116:117], off, s32 offset:192 th:TH_LOAD_LU ; 8-byte Folded Reload
	s_wait_loadcnt 0x0
	v_dual_lshrrev_b32 v8, 3, v114 :: v_dual_bitop2_b32 v116, 7, v123 bitop3:0x40
	s_mov_b32 s17, exec_lo
	s_wait_xcnt 0x0
	v_cmpx_gt_u32_e32 8, v114
; %bb.758:                              ;   in Loop: Header=BB206_15 Depth=1
	s_delay_alu instid0(VALU_DEP_2) | instskip(NEXT) | instid1(VALU_DEP_1)
	v_clz_i32_u32_e32 v1, v116
	v_min_u32_e32 v1, 32, v1
	s_delay_alu instid0(VALU_DEP_1) | instskip(NEXT) | instid1(VALU_DEP_1)
	v_subrev_nc_u32_e32 v8, 28, v1
	v_lshlrev_b64_e32 v[114:115], v8, v[116:117]
	s_delay_alu instid0(VALU_DEP_1)
	v_dual_sub_nc_u32 v8, 29, v1 :: v_dual_bitop2_b32 v116, 7, v114 bitop3:0x40
; %bb.759:                              ;   in Loop: Header=BB206_15 Depth=1
	s_or_b32 exec_lo, exec_lo, s17
	s_delay_alu instid0(VALU_DEP_1) | instskip(NEXT) | instid1(VALU_DEP_2)
	v_dual_lshlrev_b32 v1, 24, v123 :: v_dual_lshlrev_b32 v24, 20, v116
	v_lshl_add_u32 v8, v8, 23, 0x3c000000
	s_delay_alu instid0(VALU_DEP_2) | instskip(NEXT) | instid1(VALU_DEP_1)
	v_and_b32_e32 v1, 0x80000000, v1
	v_or3_b32 v116, v24, v1, v8
	v_mov_b32_e32 v1, v117
	scratch_store_b64 off, v[0:1], s32 offset:192 ; 8-byte Folded Spill
.LBB206_760:                            ;   in Loop: Header=BB206_15 Depth=1
	s_wait_xcnt 0x0
	s_or_b32 exec_lo, exec_lo, s16
.LBB206_761:                            ;   in Loop: Header=BB206_15 Depth=1
	s_delay_alu instid0(SALU_CYCLE_1)
	s_or_b32 exec_lo, exec_lo, s15
.LBB206_762:                            ;   in Loop: Header=BB206_15 Depth=1
	s_delay_alu instid0(SALU_CYCLE_1) | instskip(SKIP_2) | instid1(VALU_DEP_1)
	s_or_b32 exec_lo, exec_lo, s14
	v_lshrrev_b16 v8, 8, v123
	s_mov_b32 s14, exec_lo
	v_cmpx_ne_u16_e32 0, v8
	s_cbranch_execz .LBB206_770
; %bb.763:                              ;   in Loop: Header=BB206_15 Depth=1
	v_mov_b64_e32 v[18:19], 0x8000000000000000
	s_mov_b32 s15, exec_lo
	v_cmpx_ne_u16_e32 0x80, v8
	s_cbranch_execz .LBB206_769
; %bb.764:                              ;   in Loop: Header=BB206_15 Depth=1
	v_and_b32_e32 v1, 0xffff, v8
	v_mov_b64_e32 v[18:19], 0x7f80000100000000
	s_mov_b32 s16, exec_lo
	s_delay_alu instid0(VALU_DEP_2) | instskip(NEXT) | instid1(VALU_DEP_1)
	v_and_b32_e32 v114, 0x7f, v1
	v_cmpx_ne_u32_e32 0x7f, v114
	s_cbranch_execz .LBB206_768
; %bb.765:                              ;   in Loop: Header=BB206_15 Depth=1
	scratch_load_b64 v[18:19], off, s32 offset:192 th:TH_LOAD_LU ; 8-byte Folded Reload
	s_wait_loadcnt 0x0
	v_dual_lshrrev_b32 v8, 3, v114 :: v_dual_bitop2_b32 v18, 7, v1 bitop3:0x40
	s_mov_b32 s17, exec_lo
	s_wait_xcnt 0x0
	v_cmpx_gt_u32_e32 8, v114
	s_cbranch_execz .LBB206_767
; %bb.766:                              ;   in Loop: Header=BB206_15 Depth=1
	v_clz_i32_u32_e32 v1, v18
	v_mov_b64_e32 v[24:25], v[18:19]
	s_delay_alu instid0(VALU_DEP_2) | instskip(NEXT) | instid1(VALU_DEP_1)
	v_min_u32_e32 v1, 32, v1
	v_subrev_nc_u32_e32 v8, 28, v1
	s_delay_alu instid0(VALU_DEP_1) | instskip(NEXT) | instid1(VALU_DEP_1)
	v_lshlrev_b64_e32 v[18:19], v8, v[24:25]
	v_dual_sub_nc_u32 v8, 29, v1 :: v_dual_bitop2_b32 v24, 7, v18 bitop3:0x40
	s_delay_alu instid0(VALU_DEP_1)
	v_mov_b64_e32 v[18:19], v[24:25]
.LBB206_767:                            ;   in Loop: Header=BB206_15 Depth=1
	s_or_b32 exec_lo, exec_lo, s17
	s_delay_alu instid0(VALU_DEP_1) | instskip(SKIP_2) | instid1(VALU_DEP_3)
	v_mov_b64_e32 v[24:25], v[18:19]
	v_lshlrev_b32_e32 v1, 16, v123
	v_lshl_add_u32 v8, v8, 23, 0x3c000000
	v_lshlrev_b32_e32 v18, 20, v24
	s_delay_alu instid0(VALU_DEP_3) | instskip(NEXT) | instid1(VALU_DEP_1)
	v_and_b32_e32 v1, 0x80000000, v1
	v_or3_b32 v19, v18, v1, v8
	v_dual_mov_b32 v1, v25 :: v_dual_mov_b32 v18, v25
	scratch_store_b64 off, v[0:1], s32 offset:192 ; 8-byte Folded Spill
.LBB206_768:                            ;   in Loop: Header=BB206_15 Depth=1
	s_wait_xcnt 0x0
	s_or_b32 exec_lo, exec_lo, s16
.LBB206_769:                            ;   in Loop: Header=BB206_15 Depth=1
	s_delay_alu instid0(SALU_CYCLE_1)
	s_or_b32 exec_lo, exec_lo, s15
.LBB206_770:                            ;   in Loop: Header=BB206_15 Depth=1
	s_delay_alu instid0(SALU_CYCLE_1) | instskip(SKIP_4) | instid1(VALU_DEP_3)
	s_or_b32 exec_lo, exec_lo, s14
	v_lshrrev_b32_e32 v8, 16, v123
	v_mov_b64_e32 v[114:115], 0
	v_mov_b64_e32 v[44:45], 0
	s_mov_b32 s14, exec_lo
	v_and_b32_e32 v1, 0xff, v8
	s_delay_alu instid0(VALU_DEP_1)
	v_cmpx_ne_u16_e32 0, v1
	s_cbranch_execz .LBB206_778
; %bb.771:                              ;   in Loop: Header=BB206_15 Depth=1
	v_mov_b64_e32 v[44:45], 0x80000000
	s_mov_b32 s15, exec_lo
	v_cmpx_ne_u16_e32 0x80, v1
	s_cbranch_execz .LBB206_777
; %bb.772:                              ;   in Loop: Header=BB206_15 Depth=1
	v_mov_b64_e32 v[44:45], 0x7f800001
	v_bfe_u32 v1, v123, 16, 7
	s_mov_b32 s16, exec_lo
	s_delay_alu instid0(VALU_DEP_1)
	v_cmpx_ne_u32_e32 0x7f, v1
	s_cbranch_execz .LBB206_776
; %bb.773:                              ;   in Loop: Header=BB206_15 Depth=1
	scratch_load_b64 v[24:25], off, s32 offset:192 th:TH_LOAD_LU ; 8-byte Folded Reload
	s_wait_loadcnt 0x0
	v_dual_lshrrev_b32 v44, 3, v1 :: v_dual_bitop2_b32 v24, 7, v8 bitop3:0x40
	s_mov_b32 s17, exec_lo
	s_wait_xcnt 0x0
	v_cmpx_gt_u32_e32 8, v1
; %bb.774:                              ;   in Loop: Header=BB206_15 Depth=1
	s_delay_alu instid0(VALU_DEP_2) | instskip(NEXT) | instid1(VALU_DEP_1)
	v_clz_i32_u32_e32 v1, v24
	v_min_u32_e32 v1, 32, v1
	s_delay_alu instid0(VALU_DEP_1) | instskip(NEXT) | instid1(VALU_DEP_1)
	v_subrev_nc_u32_e32 v44, 28, v1
	v_lshlrev_b64_e32 v[56:57], v44, v[24:25]
	s_delay_alu instid0(VALU_DEP_1)
	v_dual_sub_nc_u32 v44, 29, v1 :: v_dual_bitop2_b32 v24, 7, v56 bitop3:0x40
; %bb.775:                              ;   in Loop: Header=BB206_15 Depth=1
	s_or_b32 exec_lo, exec_lo, s17
	v_lshlrev_b32_e32 v1, 24, v8
	s_delay_alu instid0(VALU_DEP_2) | instskip(NEXT) | instid1(VALU_DEP_3)
	v_lshlrev_b32_e32 v8, 20, v24
	v_lshl_add_u32 v24, v44, 23, 0x3c000000
	s_delay_alu instid0(VALU_DEP_3) | instskip(NEXT) | instid1(VALU_DEP_1)
	v_and_b32_e32 v1, 0x80000000, v1
	v_or3_b32 v24, v8, v1, v24
	v_mov_b32_e32 v1, v25
	s_delay_alu instid0(VALU_DEP_2)
	v_mov_b64_e32 v[44:45], v[24:25]
	scratch_store_b64 off, v[0:1], s32 offset:192 ; 8-byte Folded Spill
.LBB206_776:                            ;   in Loop: Header=BB206_15 Depth=1
	s_wait_xcnt 0x0
	s_or_b32 exec_lo, exec_lo, s16
.LBB206_777:                            ;   in Loop: Header=BB206_15 Depth=1
	s_delay_alu instid0(SALU_CYCLE_1)
	s_or_b32 exec_lo, exec_lo, s15
.LBB206_778:                            ;   in Loop: Header=BB206_15 Depth=1
	s_delay_alu instid0(SALU_CYCLE_1)
	s_or_b32 exec_lo, exec_lo, s14
	v_mov_b64_e32 v[92:93], v[42:43]
	s_mov_b32 s14, exec_lo
	scratch_store_b32 off, v16, s32 offset:612 ; 4-byte Folded Spill
	s_wait_xcnt 0x0
	v_cmpx_lt_u32_e32 0xffffff, v123
	s_cbranch_execz .LBB206_13
; %bb.779:                              ;   in Loop: Header=BB206_15 Depth=1
	v_mov_b64_e32 v[114:115], 0x8000000000000000
	v_lshrrev_b32_e32 v8, 24, v123
	s_mov_b32 s15, exec_lo
	s_delay_alu instid0(VALU_DEP_1)
	v_cmpx_ne_u32_e32 0x80, v8
	s_cbranch_execz .LBB206_12
; %bb.780:                              ;   in Loop: Header=BB206_15 Depth=1
	v_mov_b64_e32 v[114:115], 0x7f80000100000000
	v_bfe_u32 v1, v123, 24, 7
	s_mov_b32 s16, exec_lo
	s_delay_alu instid0(VALU_DEP_1)
	v_cmpx_ne_u32_e32 0x7f, v1
	s_cbranch_execz .LBB206_11
; %bb.781:                              ;   in Loop: Header=BB206_15 Depth=1
	scratch_load_b64 v[16:17], off, s32 offset:192 th:TH_LOAD_LU ; 8-byte Folded Reload
	s_wait_loadcnt 0x0
	v_dual_lshrrev_b32 v114, 3, v1 :: v_dual_bitop2_b32 v16, 7, v8 bitop3:0x40
	s_mov_b32 s17, exec_lo
	s_wait_xcnt 0x0
	v_cmpx_gt_u32_e32 8, v1
	s_cbranch_execz .LBB206_10
; %bb.782:                              ;   in Loop: Header=BB206_15 Depth=1
	v_clz_i32_u32_e32 v1, v16
	s_delay_alu instid0(VALU_DEP_1) | instskip(NEXT) | instid1(VALU_DEP_1)
	v_min_u32_e32 v1, 32, v1
	v_subrev_nc_u32_e32 v114, 28, v1
	s_delay_alu instid0(VALU_DEP_1) | instskip(NEXT) | instid1(VALU_DEP_1)
	v_lshlrev_b64_e32 v[56:57], v114, v[16:17]
	v_dual_sub_nc_u32 v114, 29, v1 :: v_dual_bitop2_b32 v16, 7, v56 bitop3:0x40
	s_branch .LBB206_10
.LBB206_783:
	s_or_b32 exec_lo, exec_lo, s9
	s_clause 0x9
	scratch_load_b32 v80, off, s32 offset:1056
	scratch_load_b32 v81, off, s32 offset:1060
	scratch_load_b64 v[84:85], off, s32 offset:1080
	scratch_load_b32 v26, off, s32 offset:1088
	scratch_load_b64 v[86:87], off, s32 offset:1092
	scratch_load_b64 v[28:29], off, s32 offset:1100
	scratch_load_b32 v27, off, s32 offset:1108
	scratch_load_b64 v[96:97], off, s32 offset:1112
	scratch_load_b32 v30, off, s32 offset:1120
	scratch_load_b32 v10, off, s32 offset:1124
.LBB206_784:
	s_wait_xcnt 0x0
	s_or_b32 exec_lo, exec_lo, s3
	v_mbcnt_lo_u32_b32 v2, -1, 0
	v_max_num_f32_e32 v4, v6, v6
	s_delay_alu instid0(VALU_DEP_2) | instskip(SKIP_1) | instid1(VALU_DEP_1)
	v_xor_b32_e32 v3, 8, v2
	v_xor_b32_e32 v0, 16, v2
	v_cmp_gt_i32_e32 vcc_lo, 32, v0
	v_cndmask_b32_e32 v0, v2, v0, vcc_lo
	s_delay_alu instid0(VALU_DEP_4) | instskip(NEXT) | instid1(VALU_DEP_2)
	v_cmp_gt_i32_e32 vcc_lo, 32, v3
	v_dual_cndmask_b32 v3, v2, v3 :: v_dual_lshlrev_b32 v0, 2, v0
	ds_bpermute_b32 v1, v0, v6
	s_wait_dscnt 0x0
	v_dual_max_num_f32 v5, v1, v1 :: v_dual_lshlrev_b32 v1, 2, v3
	s_delay_alu instid0(VALU_DEP_1) | instskip(SKIP_3) | instid1(VALU_DEP_1)
	v_max_num_f32_e32 v3, v4, v5
	ds_bpermute_b32 v4, v1, v3
	s_wait_dscnt 0x0
	v_dual_max_num_f32 v4, v4, v4 :: v_dual_bitop2_b32 v5, 4, v2 bitop3:0x14
	v_cmp_gt_i32_e32 vcc_lo, 32, v5
	s_delay_alu instid0(VALU_DEP_2) | instskip(NEXT) | instid1(VALU_DEP_1)
	v_dual_max_num_f32 v3, v3, v4 :: v_dual_cndmask_b32 v5, v2, v5, vcc_lo
	v_lshlrev_b32_e32 v31, 2, v5
	ds_bpermute_b32 v4, v31, v3
	s_wait_dscnt 0x0
	v_dual_max_num_f32 v4, v4, v4 :: v_dual_bitop2_b32 v5, 2, v2 bitop3:0x14
	s_delay_alu instid0(VALU_DEP_1) | instskip(NEXT) | instid1(VALU_DEP_2)
	v_cmp_gt_i32_e32 vcc_lo, 32, v5
	v_dual_max_num_f32 v3, v3, v4 :: v_dual_cndmask_b32 v5, v2, v5, vcc_lo
	s_delay_alu instid0(VALU_DEP_1) | instskip(SKIP_4) | instid1(VALU_DEP_1)
	v_dual_lshlrev_b32 v35, 2, v5 :: v_dual_bitop2_b32 v5, 1, v2 bitop3:0x14
	ds_bpermute_b32 v4, v35, v3
	v_cmp_gt_i32_e32 vcc_lo, 32, v5
	v_cndmask_b32_e32 v5, v2, v5, vcc_lo
	s_wait_dscnt 0x0
	v_dual_lshlrev_b32 v82, 2, v5 :: v_dual_max_num_f32 v4, v4, v4
	s_delay_alu instid0(VALU_DEP_1)
	v_max_num_f32_e32 v2, v3, v4
	scratch_load_b32 v3, off, s32 offset:632 ; 4-byte Folded Reload
	ds_bpermute_b32 v4, v82, v2
	s_wait_loadcnt 0x0
	v_cmp_eq_u32_e32 vcc_lo, 0, v3
	v_lshlrev_b32_e32 v3, 2, v81
	s_wait_xcnt 0x0
	s_and_saveexec_b32 s1, vcc_lo
	s_cbranch_execz .LBB206_786
; %bb.785:
	s_wait_dscnt 0x0
	v_dual_max_num_f32 v4, v4, v4 :: v_dual_max_num_f32 v2, v2, v2
	s_delay_alu instid0(VALU_DEP_1)
	v_max_num_f32_e32 v2, v2, v4
	ds_store_b32 v3, v2 offset:384
.LBB206_786:
	s_or_b32 exec_lo, exec_lo, s1
	scratch_load_b32 v2, off, s32 offset:632 ; 4-byte Folded Reload
	s_wait_storecnt 0x0
	s_wait_loadcnt_dscnt 0x0
	s_barrier_signal -1
	s_barrier_wait -1
	v_cmp_gt_u32_e64 s1, 4, v2
	v_mov_b32_e32 v2, 0xff7fffff
	s_and_saveexec_b32 s2, s1
; %bb.787:
	ds_load_b32 v2, v10 offset:384
; %bb.788:
	s_or_b32 exec_lo, exec_lo, s2
	s_wait_dscnt 0x0
	ds_bpermute_b32 v4, v35, v2
	v_max_num_f32_e32 v2, v2, v2
	scratch_load_b64 v[6:7], off, s32 offset:200 ; 8-byte Folded Reload
	s_wait_dscnt 0x0
	v_max_num_f32_e32 v4, v4, v4
	s_delay_alu instid0(VALU_DEP_1) | instskip(SKIP_3) | instid1(VALU_DEP_1)
	v_max_num_f32_e32 v2, v2, v4
	ds_bpermute_b32 v4, v82, v2
	s_wait_dscnt 0x0
	v_max_num_f32_e32 v4, v4, v4
	v_dual_max_num_f32 v2, v2, v4 :: v_dual_mov_b32 v4, 0
	ds_bpermute_b32 v5, v4, v2
	scratch_load_b32 v2, off, s32 offset:208 ; 4-byte Folded Reload
	s_wait_loadcnt 0x0
	v_lshlrev_b32_e32 v2, 5, v2
	s_delay_alu instid0(VALU_DEP_1) | instskip(NEXT) | instid1(VALU_DEP_1)
	v_min_i32_e32 v2, v2, v6
	v_cmp_lt_i32_e64 s2, v80, v2
	s_wait_kmcnt 0x0
	s_and_saveexec_b32 s8, s2
	s_cbranch_execz .LBB206_792
; %bb.789:
	s_load_b32 s3, s[6:7], 0x0
	v_dual_mov_b32 v4, 0 :: v_dual_mov_b32 v7, v80
	s_mov_b32 s9, 0
	s_wait_kmcnt 0x0
	v_lshl_add_u32 v6, v80, 2, s3
.LBB206_790:                            ; =>This Inner Loop Header: Depth=1
	ds_load_b32 v8, v6
	v_add_nc_u32_e32 v7, 0x80, v7
	s_delay_alu instid0(VALU_DEP_1) | instskip(SKIP_3) | instid1(VALU_DEP_1)
	v_cmp_ge_i32_e64 s3, v7, v2
	s_or_b32 s9, s3, s9
	s_wait_dscnt 0x0
	v_sub_f32_e32 v8, v8, v5
	v_mul_f32_e32 v8, 0x3fb8aa3b, v8
	s_delay_alu instid0(VALU_DEP_1)
	v_exp_f32_e32 v8, v8
	ds_store_b32 v6, v8
	v_nop
	v_add_f32_e32 v4, v4, v8
	v_add_nc_u32_e32 v6, 0x200, v6
	s_and_not1_b32 exec_lo, exec_lo, s9
	s_cbranch_execnz .LBB206_790
; %bb.791:
	s_or_b32 exec_lo, exec_lo, s9
.LBB206_792:
	s_delay_alu instid0(SALU_CYCLE_1)
	s_or_b32 exec_lo, exec_lo, s8
	ds_bpermute_b32 v0, v0, v4
	s_wait_dscnt 0x0
	v_add_f32_e32 v0, v4, v0
	ds_bpermute_b32 v1, v1, v0
	s_wait_dscnt 0x0
	v_add_f32_e32 v0, v0, v1
	;; [unrolled: 3-line block ×5, first 2 shown]
	s_and_saveexec_b32 s3, vcc_lo
; %bb.793:
	ds_store_b32 v3, v0 offset:400
; %bb.794:
	s_or_b32 exec_lo, exec_lo, s3
	s_wait_dscnt 0x0
	s_barrier_signal -1
	s_barrier_wait -1
	s_and_saveexec_b32 s3, s1
; %bb.795:
	ds_load_b32 v0, v10 offset:400
; %bb.796:
	s_or_b32 exec_lo, exec_lo, s3
	s_wait_dscnt 0x0
	ds_bpermute_b32 v1, v35, v0
	s_wait_dscnt 0x0
	v_dual_mov_b32 v53, 0 :: v_dual_add_f32 v0, v0, v1
	ds_bpermute_b32 v1, v82, v0
	s_wait_dscnt 0x0
	v_add_f32_e32 v0, v0, v1
	ds_bpermute_b32 v0, v53, v0
	s_and_saveexec_b32 s1, s2
	s_cbranch_execz .LBB206_809
; %bb.797:
	s_wait_dscnt 0x0
	v_add_f32_e32 v0, 0x358637bd, v0
	s_mov_b32 s3, -1
	s_mov_b32 s2, exec_lo
	s_delay_alu instid0(VALU_DEP_1) | instskip(SKIP_1) | instid1(VALU_DEP_2)
	v_div_scale_f32 v1, null, v0, v0, 1.0
	v_div_scale_f32 v5, vcc_lo, 1.0, v0, 1.0
	v_rcp_f32_e32 v4, v1
	v_nop
	s_delay_alu instid0(TRANS32_DEP_1) | instskip(NEXT) | instid1(VALU_DEP_1)
	v_fma_f32 v3, -v1, v4, 1.0
	v_fmac_f32_e32 v4, v3, v4
	s_delay_alu instid0(VALU_DEP_1) | instskip(NEXT) | instid1(VALU_DEP_1)
	v_mul_f32_e32 v6, v5, v4
	v_fma_f32 v3, -v1, v6, v5
	s_delay_alu instid0(VALU_DEP_1) | instskip(SKIP_1) | instid1(VALU_DEP_2)
	v_fmac_f32_e32 v6, v3, v4
	v_xad_u32 v3, v80, -1, v2
	v_fma_f32 v1, -v1, v6, v5
	s_delay_alu instid0(VALU_DEP_1) | instskip(NEXT) | instid1(VALU_DEP_1)
	v_div_fmas_f32 v1, v1, v4, v6
	v_div_fixup_f32 v0, v1, v0, 1.0
	v_mov_b32_e32 v1, v80
	v_cmpx_lt_u32_e32 0x7f, v3
	s_cbranch_execz .LBB206_806
; %bb.798:
	s_delay_alu instid0(VALU_DEP_3) | instskip(NEXT) | instid1(VALU_DEP_1)
	v_dual_lshrrev_b32 v3, 7, v3 :: v_dual_mov_b32 v1, v0
	v_dual_mov_b32 v7, 0 :: v_dual_add_nc_u32 v4, -1, v3
	s_delay_alu instid0(VALU_DEP_1) | instskip(SKIP_1) | instid1(VALU_DEP_2)
	v_lshrrev_b32_e32 v5, 1, v4
	v_cmp_lt_u32_e32 vcc_lo, 13, v4
	v_add_nc_u32_e32 v4, 1, v5
	s_and_saveexec_b32 s3, vcc_lo
	s_cbranch_execz .LBB206_802
; %bb.799:
	s_load_b32 s8, s[6:7], 0x0
	s_delay_alu instid0(VALU_DEP_1)
	v_and_b32_e32 v5, -8, v4
	s_mov_b32 s9, 0
	s_wait_kmcnt 0x0
	v_lshl_add_u32 v6, v80, 2, s8
	s_mov_b32 s8, 0
.LBB206_800:                            ; =>This Inner Loop Header: Depth=1
	ds_load_2addr_stride64_b32 v[8:9], v6 offset1:2
	ds_load_2addr_stride64_b32 v[10:11], v6 offset0:4 offset1:6
	ds_load_2addr_stride64_b32 v[12:13], v6 offset0:8 offset1:10
	;; [unrolled: 1-line block ×7, first 2 shown]
	s_add_co_i32 s9, s9, 16
	s_delay_alu instid0(SALU_CYCLE_1) | instskip(NEXT) | instid1(VALU_DEP_1)
	v_dual_add_nc_u32 v5, -8, v5 :: v_dual_mov_b32 v7, s9
	v_cmp_eq_u32_e32 vcc_lo, 0, v5
	s_or_b32 s8, vcc_lo, s8
	s_wait_dscnt 0x7
	v_pk_mul_f32 v[8:9], v[0:1], v[8:9]
	s_wait_dscnt 0x6
	v_pk_mul_f32 v[10:11], v[0:1], v[10:11]
	;; [unrolled: 2-line block ×8, first 2 shown]
	ds_store_2addr_stride64_b32 v6, v8, v9 offset1:2
	ds_store_2addr_stride64_b32 v6, v10, v11 offset0:4 offset1:6
	ds_store_2addr_stride64_b32 v6, v12, v13 offset0:8 offset1:10
	;; [unrolled: 1-line block ×7, first 2 shown]
	v_add_nc_u32_e32 v6, 0x2000, v6
	s_and_not1_b32 exec_lo, exec_lo, s8
	s_cbranch_execnz .LBB206_800
; %bb.801:
	s_or_b32 exec_lo, exec_lo, s8
.LBB206_802:
	s_delay_alu instid0(SALU_CYCLE_1) | instskip(NEXT) | instid1(VALU_DEP_1)
	s_or_b32 exec_lo, exec_lo, s3
	v_and_b32_e32 v4, 7, v4
	s_mov_b32 s8, 0
	s_mov_b32 s3, exec_lo
	s_delay_alu instid0(VALU_DEP_1)
	v_cmpx_ne_u32_e32 0, v4
	s_cbranch_execz .LBB206_805
; %bb.803:
	s_load_b32 s9, s[6:7], 0x0
	v_dual_lshlrev_b32 v5, 9, v7 :: v_dual_lshlrev_b32 v6, 2, v80
	s_wait_kmcnt 0x0
	s_delay_alu instid0(VALU_DEP_1)
	v_add3_u32 v5, v5, v6, s9
.LBB206_804:                            ; =>This Inner Loop Header: Depth=1
	ds_load_2addr_stride64_b32 v[6:7], v5 offset1:2
	v_add_nc_u32_e32 v4, -1, v4
	s_delay_alu instid0(VALU_DEP_1)
	v_cmp_eq_u32_e32 vcc_lo, 0, v4
	s_or_b32 s8, vcc_lo, s8
	s_wait_dscnt 0x0
	v_pk_mul_f32 v[6:7], v[0:1], v[6:7]
	ds_store_2addr_stride64_b32 v5, v6, v7 offset1:2
	v_add_nc_u32_e32 v5, 0x400, v5
	s_and_not1_b32 exec_lo, exec_lo, s8
	s_cbranch_execnz .LBB206_804
.LBB206_805:
	s_or_b32 exec_lo, exec_lo, s3
	v_add_nc_u32_e32 v1, 1, v3
	s_delay_alu instid0(VALU_DEP_1) | instskip(NEXT) | instid1(VALU_DEP_1)
	v_and_b32_e32 v3, 0x3fffffe, v1
	v_cmp_ne_u32_e32 vcc_lo, v1, v3
	v_lshl_add_u32 v1, v3, 7, v80
	s_or_not1_b32 s3, vcc_lo, exec_lo
.LBB206_806:
	s_or_b32 exec_lo, exec_lo, s2
	s_delay_alu instid0(SALU_CYCLE_1)
	s_and_b32 exec_lo, exec_lo, s3
	s_cbranch_execz .LBB206_809
; %bb.807:
	s_load_b32 s2, s[6:7], 0x0
	s_wait_kmcnt 0x0
	v_lshl_add_u32 v3, v1, 2, s2
	s_mov_b32 s2, 0
.LBB206_808:                            ; =>This Inner Loop Header: Depth=1
	ds_load_b32 v4, v3
	s_wait_dscnt 0x0
	v_dual_mul_f32 v4, v0, v4 :: v_dual_add_nc_u32 v1, 0x80, v1
	s_delay_alu instid0(VALU_DEP_1) | instskip(SKIP_3) | instid1(SALU_CYCLE_1)
	v_cmp_ge_i32_e32 vcc_lo, v1, v2
	ds_store_b32 v3, v4
	v_add_nc_u32_e32 v3, 0x200, v3
	s_or_b32 s2, vcc_lo, s2
	s_and_not1_b32 exec_lo, exec_lo, s2
	s_cbranch_execnz .LBB206_808
.LBB206_809:
	s_or_b32 exec_lo, exec_lo, s1
	v_dual_mov_b32 v52, 0 :: v_dual_bitop2_b32 v83, 7, v80 bitop3:0x40
	v_dual_mov_b32 v55, 0 :: v_dual_mov_b32 v54, 0
	v_dual_mov_b32 v65, 0 :: v_dual_mov_b32 v64, 0
	;; [unrolled: 1-line block ×11, first 2 shown]
	s_wait_dscnt 0x0
	s_barrier_signal -1
	s_barrier_wait -1
	s_and_saveexec_b32 s1, s0
	s_cbranch_execz .LBB206_1631
; %bb.810:
	s_clause 0x3
	scratch_store_b32 off, v31, s32 offset:348
	scratch_store_b32 off, v35, s32 offset:340
	;; [unrolled: 1-line block ×3, first 2 shown]
	scratch_load_b64 v[4:5], off, s32 offset:200
	v_dual_lshlrev_b32 v3, 2, v80 :: v_dual_max_i32 v30, v26, v30
	v_dual_mov_b32 v48, 0 :: v_dual_mov_b32 v6, 0
	v_mov_b32_e32 v7, 0
	s_delay_alu instid0(VALU_DEP_3)
	v_cvt_f32_u32_e32 v2, v30
	v_add_nc_u64_e32 v[0:1], v[86:87], v[96:97]
	v_mov_b32_e32 v119, 0
	v_and_b32_e32 v118, 0x7c, v3
	scratch_store_b64 off, v[6:7], s32 offset:292 ; 8-byte Folded Spill
	v_rcp_iflag_f32_e32 v2, v2
	s_wait_xcnt 0x0
	v_dual_mov_b32 v6, 0 :: v_dual_mov_b32 v7, 0
	v_dual_mov_b32 v50, 0 :: v_dual_mov_b32 v51, 0
	;; [unrolled: 1-line block ×3, first 2 shown]
	s_delay_alu instid0(TRANS32_DEP_1)
	v_dual_mov_b32 v39, 0 :: v_dual_mul_f32 v2, 0x4f7ffffe, v2
	scratch_store_b64 off, v[6:7], s32 offset:284 ; 8-byte Folded Spill
	s_wait_xcnt 0x0
	v_dual_mov_b32 v6, 0 :: v_dual_mov_b32 v7, 0
	s_mov_b32 s2, 0
	v_cvt_u32_f32_e32 v2, v2
	v_dual_mov_b32 v31, v81 :: v_dual_bitop2_b32 v37, 28, v3 bitop3:0x40
	scratch_store_b64 off, v[6:7], s32 offset:268 ; 8-byte Folded Spill
	s_wait_xcnt 0x0
	v_dual_mov_b32 v6, 0 :: v_dual_mov_b32 v7, 0
	s_clause 0x1
	scratch_store_b32 off, v83, s32 offset:356
	scratch_store_b64 off, v[6:7], s32 offset:276
	s_wait_xcnt 0x0
	v_dual_mov_b32 v6, 0 :: v_dual_mov_b32 v7, 0
	s_wait_loadcnt 0x0
	v_mov_b32_e32 v5, v4
	v_add_nc_u64_e32 v[0:1], v[0:1], v[118:119]
	scratch_store_b64 off, v[6:7], s32 offset:260 ; 8-byte Folded Spill
	s_wait_xcnt 0x0
	v_dual_mov_b32 v6, 0 :: v_dual_mov_b32 v7, 0
	v_and_b32_e32 v118, 0x7c, v27
	v_mov_b32_e32 v3, v119
	scratch_store_b64 off, v[0:1], s32 offset:308 ; 8-byte Folded Spill
	s_wait_xcnt 0x0
	v_dual_mov_b32 v0, 0 :: v_dual_mov_b32 v1, 0
	s_clause 0x1
	scratch_store_b64 off, v[4:5], s32 offset:316
	scratch_store_b64 off, v[6:7], s32 offset:252
	s_wait_xcnt 0x0
	v_dual_mov_b32 v6, 0 :: v_dual_sub_nc_u32 v5, 0, v30
	scratch_store_b64 off, v[0:1], s32 offset:244 ; 8-byte Folded Spill
	s_wait_xcnt 0x0
	v_dual_mov_b32 v0, 0 :: v_dual_mov_b32 v1, 0
	v_mul_lo_u32 v5, v5, v2
	v_dual_mov_b32 v7, 0 :: v_dual_lshlrev_b32 v4, 4, v83
	scratch_store_b64 off, v[6:7], s32 offset:192 ; 8-byte Folded Spill
	v_lshl_or_b32 v32, v81, 7, v4
	v_mul_hi_u32 v5, v2, v5
	s_delay_alu instid0(VALU_DEP_1)
	v_add_nc_u32_e32 v2, v2, v5
	scratch_store_b64 off, v[0:1], s32 offset:212 ; 8-byte Folded Spill
	s_wait_xcnt 0x0
	v_lshl_add_u64 v[0:1], v[28:29], 2, v[118:119]
	s_clause 0x2
	scratch_store_b32 off, v37, s32 offset:324
	scratch_store_b64 off, v[2:3], s32 offset:300
	scratch_load_b64 v[2:3], off, s32 offset:1072
	v_add_nc_u64_e32 v[10:11], v[84:85], v[0:1]
	s_branch .LBB206_813
.LBB206_811:                            ;   in Loop: Header=BB206_813 Depth=1
	s_wait_xcnt 0x0
	s_or_b32 exec_lo, exec_lo, s8
	v_dual_mul_f32 v6, v3, v15 :: v_dual_mul_f32 v7, v3, v53
	v_mul_f32_e32 v9, v3, v123
	v_mul_f32_e32 v8, v3, v127
	scratch_load_b64 v[24:25], off, s32 offset:212 th:TH_LOAD_LU ; 8-byte Folded Reload
	v_dual_fmac_f32 v6, v2, v14 :: v_dual_fmac_f32 v7, v2, v52
	scratch_load_b64 v[14:15], off, s32 offset:192 th:TH_LOAD_LU ; 8-byte Folded Reload
	v_fmac_f32_e32 v9, v2, v122
	v_dual_fmac_f32 v8, v2, v126 :: v_dual_fmac_f32 v6, v4, v12
	v_dual_fmac_f32 v7, v4, v26 :: v_dual_mul_f32 v12, v3, v111
	s_delay_alu instid0(VALU_DEP_3) | instskip(NEXT) | instid1(VALU_DEP_3)
	v_fmac_f32_e32 v9, v4, v120
	v_dual_fmac_f32 v8, v4, v124 :: v_dual_fmac_f32 v6, v5, v13
	s_delay_alu instid0(VALU_DEP_3) | instskip(NEXT) | instid1(VALU_DEP_3)
	v_dual_fmac_f32 v7, v5, v27 :: v_dual_fmac_f32 v12, v2, v110
	v_fmac_f32_e32 v9, v5, v121
	s_delay_alu instid0(VALU_DEP_3) | instskip(SKIP_1) | instid1(VALU_DEP_1)
	v_fmac_f32_e32 v8, v5, v125
	s_wait_loadcnt 0x1
	v_dual_add_f32 v25, v25, v7 :: v_dual_add_f32 v24, v24, v8
	s_wait_loadcnt 0x0
	v_dual_mul_f32 v7, v3, v95 :: v_dual_add_f32 v14, v14, v6
	v_mul_f32_e32 v6, v3, v107
	v_mul_f32_e32 v8, v3, v91
	s_clause 0x1
	scratch_store_b64 off, v[24:25], s32 offset:212
	scratch_load_b64 v[24:25], off, s32 offset:244 th:TH_LOAD_LU
	v_fmac_f32_e32 v7, v2, v94
	v_fmac_f32_e32 v6, v2, v106
	s_delay_alu instid0(VALU_DEP_1) | instskip(NEXT) | instid1(VALU_DEP_1)
	v_dual_fmac_f32 v8, v2, v90 :: v_dual_fmac_f32 v6, v4, v104
	v_dual_fmac_f32 v8, v4, v88 :: v_dual_fmac_f32 v6, v5, v105
	s_wait_loadcnt 0x0
	v_dual_add_f32 v25, v25, v9 :: v_dual_mul_f32 v9, v3, v79
	s_delay_alu instid0(VALU_DEP_1) | instskip(NEXT) | instid1(VALU_DEP_1)
	v_dual_fmac_f32 v12, v4, v108 :: v_dual_fmac_f32 v9, v2, v78
	v_dual_fmac_f32 v7, v4, v92 :: v_dual_fmac_f32 v12, v5, v109
	s_delay_alu instid0(VALU_DEP_2) | instskip(NEXT) | instid1(VALU_DEP_2)
	v_dual_fmac_f32 v8, v5, v89 :: v_dual_fmac_f32 v9, v4, v76
	v_dual_fmac_f32 v7, v5, v93 :: v_dual_add_f32 v24, v24, v12
	s_clause 0x2
	scratch_load_b64 v[12:13], off, s32 offset:252 th:TH_LOAD_LU
	scratch_store_b64 off, v[24:25], s32 offset:244
	scratch_load_b64 v[24:25], off, s32 offset:276 th:TH_LOAD_LU
	s_wait_loadcnt 0x1
	v_dual_fmac_f32 v9, v5, v77 :: v_dual_add_f32 v12, v12, v7
	v_dual_add_f32 v13, v13, v6 :: v_dual_mul_f32 v6, v3, v75
	s_delay_alu instid0(VALU_DEP_1) | instskip(NEXT) | instid1(VALU_DEP_1)
	v_dual_mul_f32 v7, v3, v63 :: v_dual_fmac_f32 v6, v2, v74
	v_dual_fmac_f32 v7, v2, v62 :: v_dual_fmac_f32 v6, v4, v72
	s_delay_alu instid0(VALU_DEP_1) | instskip(NEXT) | instid1(VALU_DEP_1)
	v_dual_fmac_f32 v7, v4, v60 :: v_dual_fmac_f32 v6, v5, v73
	v_fmac_f32_e32 v7, v5, v61
	s_wait_loadcnt 0x0
	s_delay_alu instid0(VALU_DEP_1)
	v_dual_add_f32 v25, v25, v6 :: v_dual_add_f32 v24, v24, v7
	s_clause 0x4
	scratch_store_b64 off, v[12:13], s32 offset:252
	scratch_load_b64 v[12:13], off, s32 offset:260 th:TH_LOAD_LU
	scratch_load_b64 v[6:7], off, s32 offset:268 th:TH_LOAD_LU
	scratch_store_b64 off, v[24:25], s32 offset:276
	scratch_load_b64 v[24:25], off, s32 offset:284 th:TH_LOAD_LU
	s_wait_loadcnt 0x2
	v_dual_add_f32 v13, v13, v8 :: v_dual_add_f32 v12, v12, v9
	v_mul_f32_e32 v8, v3, v59
	s_delay_alu instid0(VALU_DEP_1) | instskip(NEXT) | instid1(VALU_DEP_1)
	v_dual_mul_f32 v9, v3, v47 :: v_dual_fmac_f32 v8, v2, v58
	v_fmac_f32_e32 v9, v2, v46
	s_delay_alu instid0(VALU_DEP_1) | instskip(NEXT) | instid1(VALU_DEP_1)
	v_fmac_f32_e32 v9, v4, v44
	v_dual_fmac_f32 v8, v4, v56 :: v_dual_fmac_f32 v9, v5, v45
	s_delay_alu instid0(VALU_DEP_1) | instskip(SKIP_1) | instid1(VALU_DEP_1)
	v_fmac_f32_e32 v8, v5, v57
	s_wait_loadcnt 0x1
	v_dual_add_f32 v6, v6, v9 :: v_dual_add_f32 v7, v7, v8
	scratch_store_b64 off, v[12:13], s32 offset:260 ; 8-byte Folded Spill
	s_wait_xcnt 0x0
	v_dual_mul_f32 v12, v3, v29 :: v_dual_mul_f32 v8, v3, v103
	v_mul_f32_e32 v9, v3, v99
	scratch_store_b64 off, v[6:7], s32 offset:268 ; 8-byte Folded Spill
	s_wait_xcnt 0x0
	v_dual_mul_f32 v6, v3, v21 :: v_dual_fmac_f32 v12, v2, v28
	s_delay_alu instid0(VALU_DEP_1) | instskip(NEXT) | instid1(VALU_DEP_2)
	v_dual_mul_f32 v7, v3, v115 :: v_dual_fmac_f32 v6, v2, v20
	v_fmac_f32_e32 v12, v4, v40
	scratch_load_b64 v[20:21], off, s32 offset:292 th:TH_LOAD_LU ; 8-byte Folded Reload
	v_fmac_f32_e32 v12, v5, v41
	s_wait_loadcnt 0x1
	s_delay_alu instid0(VALU_DEP_1) | instskip(SKIP_1) | instid1(VALU_DEP_1)
	v_dual_add_f32 v25, v25, v12 :: v_dual_mul_f32 v12, v3, v87
	v_dual_fmac_f32 v7, v2, v114 :: v_dual_fmac_f32 v6, v4, v116
	v_dual_fmac_f32 v8, v2, v102 :: v_dual_fmac_f32 v7, v4, v112
	s_delay_alu instid0(VALU_DEP_1) | instskip(NEXT) | instid1(VALU_DEP_1)
	v_dual_fmac_f32 v9, v2, v98 :: v_dual_fmac_f32 v8, v4, v100
	v_dual_fmac_f32 v12, v2, v86 :: v_dual_fmac_f32 v9, v4, v96
	s_delay_alu instid0(VALU_DEP_1) | instskip(NEXT) | instid1(VALU_DEP_1)
	v_dual_fmac_f32 v6, v5, v117 :: v_dual_fmac_f32 v12, v4, v84
	v_dual_fmac_f32 v7, v5, v113 :: v_dual_add_f32 v24, v24, v6
	s_delay_alu instid0(VALU_DEP_2) | instskip(NEXT) | instid1(VALU_DEP_1)
	v_fmac_f32_e32 v12, v5, v85
	v_dual_fmac_f32 v8, v5, v101 :: v_dual_add_f32 v48, v48, v12
	s_wait_loadcnt 0x0
	s_delay_alu instid0(VALU_DEP_1) | instskip(NEXT) | instid1(VALU_DEP_1)
	v_dual_fmac_f32 v9, v5, v97 :: v_dual_add_f32 v20, v20, v8
	v_dual_add_f32 v49, v49, v9 :: v_dual_mul_f32 v9, v3, v83
	v_mul_f32_e32 v8, v3, v23
	v_add_f32_e32 v21, v21, v7
	v_mul_f32_e32 v12, v3, v71
	v_pk_mul_f32 v[6:7], v[2:3], v[68:69]
	v_dual_fmac_f32 v9, v2, v82 :: v_dual_mul_f32 v13, v3, v67
	v_fmac_f32_e32 v8, v2, v22
	s_delay_alu instid0(VALU_DEP_4) | instskip(NEXT) | instid1(VALU_DEP_4)
	v_fmac_f32_e32 v12, v2, v70
	v_add_f32_e32 v6, v6, v7
	scratch_store_b64 off, v[20:21], s32 offset:292 ; 8-byte Folded Spill
	v_fmac_f32_e32 v13, v2, v66
	v_pk_mul_f32 v[2:3], v[4:5], v[54:55]
	v_dual_fmac_f32 v8, v4, v18 :: v_dual_fmac_f32 v9, v4, v80
	v_fmac_f32_e32 v12, v4, v0
	s_delay_alu instid0(VALU_DEP_3) | instskip(NEXT) | instid1(VALU_DEP_3)
	v_dual_fmac_f32 v13, v4, v64 :: v_dual_add_f32 v0, v2, v6
	v_dual_fmac_f32 v8, v5, v19 :: v_dual_fmac_f32 v9, v5, v81
	s_delay_alu instid0(VALU_DEP_2) | instskip(NEXT) | instid1(VALU_DEP_2)
	v_dual_fmac_f32 v12, v5, v1 :: v_dual_add_f32 v0, v3, v0
	v_dual_add_f32 v39, v39, v8 :: v_dual_fmac_f32 v13, v5, v65
	s_delay_alu instid0(VALU_DEP_2) | instskip(NEXT) | instid1(VALU_DEP_3)
	v_dual_add_f32 v51, v51, v12 :: v_dual_add_f32 v38, v38, v9
	v_add_f32_e32 v15, v15, v0
	scratch_store_b64 off, v[24:25], s32 offset:284 ; 8-byte Folded Spill
	v_add_f32_e32 v50, v50, v13
	scratch_store_b64 off, v[14:15], s32 offset:192 ; 8-byte Folded Spill
.LBB206_812:                            ;   in Loop: Header=BB206_813 Depth=1
	s_wait_xcnt 0x0
	s_or_b32 exec_lo, exec_lo, s3
	scratch_load_b32 v0, off, s32 offset:208 ; 4-byte Folded Reload
	v_dual_mov_b32 v2, v42 :: v_dual_add_nc_u32 v31, 4, v31
	v_add_nc_u64_e32 v[10:11], 16, v[10:11]
	v_add_nc_u32_e32 v32, 0x200, v32
	s_delay_alu instid0(VALU_DEP_3)
	v_add_nc_u32_e32 v2, 0x80, v2
	s_wait_loadcnt 0x0
	v_cmp_ge_i32_e32 vcc_lo, v31, v0
	s_or_b32 s2, vcc_lo, s2
	s_wait_xcnt 0x0
	s_and_not1_b32 exec_lo, exec_lo, s2
	s_cbranch_execz .LBB206_1630
.LBB206_813:                            ; =>This Inner Loop Header: Depth=1
	s_clause 0x1
	scratch_load_b64 v[0:1], off, s32 offset:220
	scratch_load_b32 v4, off, s32 offset:232
	s_wait_loadcnt 0x2
	v_dual_mov_b32 v3, v119 :: v_dual_mov_b32 v42, v2
	s_wait_loadcnt 0x1
	s_delay_alu instid0(VALU_DEP_1) | instskip(SKIP_1) | instid1(VALU_DEP_1)
	v_mul_u64_e32 v[0:1], v[2:3], v[0:1]
	s_wait_loadcnt 0x0
	v_mul_lo_u32 v0, v1, v4
	s_delay_alu instid0(VALU_DEP_1) | instskip(NEXT) | instid1(VALU_DEP_1)
	v_dual_sub_nc_u32 v0, v2, v0 :: v_dual_add_nc_u32 v2, 1, v1
	v_cmp_ge_u32_e32 vcc_lo, v0, v4
	s_delay_alu instid0(VALU_DEP_2) | instskip(NEXT) | instid1(VALU_DEP_1)
	v_dual_sub_nc_u32 v3, v0, v4 :: v_dual_cndmask_b32 v1, v1, v2, vcc_lo
	v_dual_cndmask_b32 v0, v0, v3, vcc_lo :: v_dual_add_nc_u32 v2, 1, v1
	s_delay_alu instid0(VALU_DEP_1) | instskip(NEXT) | instid1(VALU_DEP_2)
	v_cmp_ge_u32_e32 vcc_lo, v0, v4
	v_cndmask_b32_e32 v0, v1, v2, vcc_lo
	scratch_load_b32 v1, off, s32 offset:228 ; 4-byte Folded Reload
	s_wait_loadcnt 0x0
	v_xor_b32_e32 v0, v0, v1
	s_delay_alu instid0(VALU_DEP_1) | instskip(SKIP_3) | instid1(VALU_DEP_1)
	v_sub_nc_u32_e32 v2, v0, v1
	scratch_load_b32 v0, off, s32 offset:236 ; 4-byte Folded Reload
	s_wait_loadcnt 0x0
	v_add_nc_u32_e32 v3, v2, v0
	v_sub_nc_u32_e32 v0, 0, v3
	s_delay_alu instid0(VALU_DEP_1) | instskip(SKIP_3) | instid1(VALU_DEP_1)
	v_max_i32_e32 v118, v3, v0
	scratch_load_b64 v[0:1], off, s32 offset:300 ; 8-byte Folded Reload
	s_wait_loadcnt 0x0
	v_mul_u64_e32 v[0:1], v[118:119], v[0:1]
	v_mul_lo_u32 v0, v1, v30
	s_delay_alu instid0(VALU_DEP_1) | instskip(NEXT) | instid1(VALU_DEP_1)
	v_sub_nc_u32_e32 v0, v118, v0
	v_sub_nc_u32_e32 v1, v0, v30
	v_cmp_ge_u32_e32 vcc_lo, v0, v30
	s_delay_alu instid0(VALU_DEP_2) | instskip(NEXT) | instid1(VALU_DEP_1)
	v_dual_cndmask_b32 v0, v0, v1 :: v_dual_ashrrev_i32 v3, 31, v3
	v_sub_nc_u32_e32 v1, v0, v30
	v_cmp_ge_u32_e32 vcc_lo, v0, v30
	s_delay_alu instid0(VALU_DEP_2) | instskip(NEXT) | instid1(VALU_DEP_1)
	v_cndmask_b32_e32 v0, v0, v1, vcc_lo
	v_xor_b32_e32 v0, v0, v3
	s_delay_alu instid0(VALU_DEP_1) | instskip(NEXT) | instid1(VALU_DEP_1)
	v_sub_nc_u32_e32 v0, v0, v3
	v_cmp_eq_u32_e32 vcc_lo, 0, v0
	scratch_load_b32 v0, off, s32 offset:240 ; 4-byte Folded Reload
	s_wait_loadcnt 0x0
	v_cmp_gt_i32_e64 s0, v2, v0
	s_or_b32 s0, vcc_lo, s0
	s_wait_xcnt 0x0
	s_and_saveexec_b32 s3, s0
	s_cbranch_execz .LBB206_812
; %bb.814:                              ;   in Loop: Header=BB206_813 Depth=1
	flat_load_b32 v0, v[10:11]
	s_clause 0x1
	scratch_load_b64 v[2:3], off, s32 offset:580
	scratch_load_b64 v[4:5], off, s32 offset:308
	v_mov_b64_e32 v[6:7], 0
	s_wait_loadcnt_dscnt 0x0
	v_mad_nc_i64_i32 v[68:69], v0, v2, v[4:5]
	flat_load_b32 v8, v[68:69]
	scratch_load_b64 v[0:1], off, s32 offset:640 ; 8-byte Folded Reload
	s_load_b32 s0, s[6:7], 0x0
	s_wait_loadcnt_dscnt 0x100
	v_and_b32_e32 v9, 0xff, v8
	s_wait_loadcnt 0x0
	flat_load_b32 v54, v[0:1]
	s_wait_kmcnt 0x0
	s_wait_xcnt 0x0
	v_add_nc_u32_e32 v0, s0, v32
	s_mov_b32 s0, exec_lo
	ds_load_b128 v[2:5], v0
	v_mov_b64_e32 v[0:1], 0
	v_cmpx_ne_u16_e32 0, v9
	s_cbranch_execz .LBB206_822
; %bb.815:                              ;   in Loop: Header=BB206_813 Depth=1
	v_mov_b64_e32 v[6:7], 0x80000000
	s_mov_b32 s8, exec_lo
	v_cmpx_ne_u16_e32 0x80, v9
	s_cbranch_execz .LBB206_821
; %bb.816:                              ;   in Loop: Header=BB206_813 Depth=1
	v_mov_b64_e32 v[6:7], 0x7f800001
	v_and_b32_e32 v9, 0x7f, v8
	s_mov_b32 s9, exec_lo
	s_delay_alu instid0(VALU_DEP_1)
	v_cmpx_ne_u32_e32 0x7f, v9
	s_cbranch_execz .LBB206_820
; %bb.817:                              ;   in Loop: Header=BB206_813 Depth=1
	v_dual_lshrrev_b32 v6, 3, v9 :: v_dual_bitop2_b32 v118, 7, v8 bitop3:0x40
	s_mov_b32 s14, exec_lo
	v_cmpx_gt_u32_e32 8, v9
; %bb.818:                              ;   in Loop: Header=BB206_813 Depth=1
	s_delay_alu instid0(VALU_DEP_2) | instskip(NEXT) | instid1(VALU_DEP_1)
	v_clz_i32_u32_e32 v6, v118
	v_min_u32_e32 v6, 32, v6
	s_delay_alu instid0(VALU_DEP_1) | instskip(NEXT) | instid1(VALU_DEP_1)
	v_subrev_nc_u32_e32 v7, 28, v6
	v_lshlrev_b64_e32 v[12:13], v7, v[118:119]
	s_delay_alu instid0(VALU_DEP_1)
	v_dual_sub_nc_u32 v6, 29, v6 :: v_dual_bitop2_b32 v118, 7, v12 bitop3:0x40
; %bb.819:                              ;   in Loop: Header=BB206_813 Depth=1
	s_or_b32 exec_lo, exec_lo, s14
	s_delay_alu instid0(VALU_DEP_1) | instskip(NEXT) | instid1(VALU_DEP_2)
	v_dual_lshlrev_b32 v7, 24, v8 :: v_dual_lshlrev_b32 v9, 20, v118
	v_lshl_add_u32 v6, v6, 23, 0x3c000000
	s_delay_alu instid0(VALU_DEP_2) | instskip(NEXT) | instid1(VALU_DEP_1)
	v_and_b32_e32 v7, 0x80000000, v7
	v_or3_b32 v118, v9, v7, v6
	s_delay_alu instid0(VALU_DEP_1)
	v_mov_b64_e32 v[6:7], v[118:119]
.LBB206_820:                            ;   in Loop: Header=BB206_813 Depth=1
	s_or_b32 exec_lo, exec_lo, s9
.LBB206_821:                            ;   in Loop: Header=BB206_813 Depth=1
	s_delay_alu instid0(SALU_CYCLE_1)
	s_or_b32 exec_lo, exec_lo, s8
.LBB206_822:                            ;   in Loop: Header=BB206_813 Depth=1
	s_delay_alu instid0(SALU_CYCLE_1) | instskip(SKIP_2) | instid1(VALU_DEP_1)
	s_or_b32 exec_lo, exec_lo, s0
	v_lshrrev_b16 v9, 8, v8
	s_mov_b32 s0, exec_lo
	v_cmpx_ne_u16_e32 0, v9
	s_cbranch_execz .LBB206_830
; %bb.823:                              ;   in Loop: Header=BB206_813 Depth=1
	v_mov_b64_e32 v[0:1], 0x8000000000000000
	s_mov_b32 s8, exec_lo
	v_cmpx_ne_u16_e32 0x80, v9
	s_cbranch_execz .LBB206_829
; %bb.824:                              ;   in Loop: Header=BB206_813 Depth=1
	v_and_b32_e32 v12, 0xffff, v9
	v_mov_b64_e32 v[0:1], 0x7f80000100000000
	s_mov_b32 s9, exec_lo
	s_delay_alu instid0(VALU_DEP_2) | instskip(NEXT) | instid1(VALU_DEP_1)
	v_and_b32_e32 v9, 0x7f, v12
	v_cmpx_ne_u32_e32 0x7f, v9
	s_cbranch_execz .LBB206_828
; %bb.825:                              ;   in Loop: Header=BB206_813 Depth=1
	v_dual_lshrrev_b32 v0, 3, v9 :: v_dual_bitop2_b32 v118, 7, v12 bitop3:0x40
	s_mov_b32 s14, exec_lo
	v_cmpx_gt_u32_e32 8, v9
; %bb.826:                              ;   in Loop: Header=BB206_813 Depth=1
	s_delay_alu instid0(VALU_DEP_2) | instskip(NEXT) | instid1(VALU_DEP_1)
	v_clz_i32_u32_e32 v0, v118
	v_min_u32_e32 v0, 32, v0
	s_delay_alu instid0(VALU_DEP_1) | instskip(SKIP_1) | instid1(VALU_DEP_2)
	v_subrev_nc_u32_e32 v1, 28, v0
	v_sub_nc_u32_e32 v0, 29, v0
	v_lshlrev_b64_e32 v[12:13], v1, v[118:119]
	s_delay_alu instid0(VALU_DEP_1)
	v_and_b32_e32 v118, 7, v12
; %bb.827:                              ;   in Loop: Header=BB206_813 Depth=1
	s_or_b32 exec_lo, exec_lo, s14
	s_delay_alu instid0(VALU_DEP_1) | instskip(SKIP_1) | instid1(VALU_DEP_2)
	v_dual_lshlrev_b32 v1, 16, v8 :: v_dual_lshlrev_b32 v9, 20, v118
	v_lshl_add_u32 v0, v0, 23, 0x3c000000
	v_and_b32_e32 v1, 0x80000000, v1
	s_delay_alu instid0(VALU_DEP_1)
	v_or3_b32 v1, v9, v1, v0
	v_mov_b32_e32 v0, v119
.LBB206_828:                            ;   in Loop: Header=BB206_813 Depth=1
	s_or_b32 exec_lo, exec_lo, s9
.LBB206_829:                            ;   in Loop: Header=BB206_813 Depth=1
	s_delay_alu instid0(SALU_CYCLE_1)
	s_or_b32 exec_lo, exec_lo, s8
.LBB206_830:                            ;   in Loop: Header=BB206_813 Depth=1
	s_delay_alu instid0(SALU_CYCLE_1) | instskip(SKIP_4) | instid1(VALU_DEP_3)
	s_or_b32 exec_lo, exec_lo, s0
	v_lshrrev_b32_e32 v9, 16, v8
	v_mov_b64_e32 v[12:13], 0
	v_mov_b64_e32 v[14:15], 0
	s_mov_b32 s0, exec_lo
	v_and_b32_e32 v18, 0xff, v9
	s_delay_alu instid0(VALU_DEP_1)
	v_cmpx_ne_u16_e32 0, v18
	s_cbranch_execz .LBB206_838
; %bb.831:                              ;   in Loop: Header=BB206_813 Depth=1
	v_mov_b64_e32 v[14:15], 0x80000000
	s_mov_b32 s8, exec_lo
	v_cmpx_ne_u16_e32 0x80, v18
	s_cbranch_execz .LBB206_837
; %bb.832:                              ;   in Loop: Header=BB206_813 Depth=1
	v_mov_b64_e32 v[14:15], 0x7f800001
	v_bfe_u32 v18, v8, 16, 7
	s_mov_b32 s9, exec_lo
	s_delay_alu instid0(VALU_DEP_1)
	v_cmpx_ne_u32_e32 0x7f, v18
	s_cbranch_execz .LBB206_836
; %bb.833:                              ;   in Loop: Header=BB206_813 Depth=1
	v_dual_lshrrev_b32 v14, 3, v18 :: v_dual_bitop2_b32 v118, 7, v9 bitop3:0x40
	s_mov_b32 s14, exec_lo
	v_cmpx_gt_u32_e32 8, v18
; %bb.834:                              ;   in Loop: Header=BB206_813 Depth=1
	s_delay_alu instid0(VALU_DEP_2) | instskip(NEXT) | instid1(VALU_DEP_1)
	v_clz_i32_u32_e32 v14, v118
	v_min_u32_e32 v14, 32, v14
	s_delay_alu instid0(VALU_DEP_1) | instskip(SKIP_1) | instid1(VALU_DEP_2)
	v_subrev_nc_u32_e32 v15, 28, v14
	v_sub_nc_u32_e32 v14, 29, v14
	v_lshlrev_b64_e32 v[18:19], v15, v[118:119]
	s_delay_alu instid0(VALU_DEP_1)
	v_and_b32_e32 v118, 7, v18
; %bb.835:                              ;   in Loop: Header=BB206_813 Depth=1
	s_or_b32 exec_lo, exec_lo, s14
	s_delay_alu instid0(VALU_DEP_1) | instskip(SKIP_1) | instid1(VALU_DEP_2)
	v_dual_lshlrev_b32 v9, 24, v9 :: v_dual_lshlrev_b32 v15, 20, v118
	v_lshl_add_u32 v14, v14, 23, 0x3c000000
	v_and_b32_e32 v9, 0x80000000, v9
	s_delay_alu instid0(VALU_DEP_1) | instskip(NEXT) | instid1(VALU_DEP_1)
	v_or3_b32 v118, v15, v9, v14
	v_mov_b64_e32 v[14:15], v[118:119]
.LBB206_836:                            ;   in Loop: Header=BB206_813 Depth=1
	s_or_b32 exec_lo, exec_lo, s9
.LBB206_837:                            ;   in Loop: Header=BB206_813 Depth=1
	s_delay_alu instid0(SALU_CYCLE_1)
	s_or_b32 exec_lo, exec_lo, s8
.LBB206_838:                            ;   in Loop: Header=BB206_813 Depth=1
	s_delay_alu instid0(SALU_CYCLE_1) | instskip(NEXT) | instid1(SALU_CYCLE_1)
	s_or_b32 exec_lo, exec_lo, s0
	s_mov_b32 s0, exec_lo
	v_cmpx_lt_u32_e32 0xffffff, v8
	s_cbranch_execz .LBB206_846
; %bb.839:                              ;   in Loop: Header=BB206_813 Depth=1
	v_mov_b64_e32 v[12:13], 0x8000000000000000
	v_lshrrev_b32_e32 v9, 24, v8
	s_mov_b32 s8, exec_lo
	s_delay_alu instid0(VALU_DEP_1)
	v_cmpx_ne_u32_e32 0x80, v9
	s_cbranch_execz .LBB206_845
; %bb.840:                              ;   in Loop: Header=BB206_813 Depth=1
	v_mov_b64_e32 v[12:13], 0x7f80000100000000
	v_bfe_u32 v18, v8, 24, 7
	s_mov_b32 s9, exec_lo
	s_delay_alu instid0(VALU_DEP_1)
	v_cmpx_ne_u32_e32 0x7f, v18
	s_cbranch_execz .LBB206_844
; %bb.841:                              ;   in Loop: Header=BB206_813 Depth=1
	v_dual_lshrrev_b32 v8, 3, v18 :: v_dual_bitop2_b32 v118, 7, v9 bitop3:0x40
	s_mov_b32 s14, exec_lo
	v_cmpx_gt_u32_e32 8, v18
; %bb.842:                              ;   in Loop: Header=BB206_813 Depth=1
	s_delay_alu instid0(VALU_DEP_2) | instskip(NEXT) | instid1(VALU_DEP_1)
	v_clz_i32_u32_e32 v8, v118
	v_min_u32_e32 v8, 32, v8
	s_delay_alu instid0(VALU_DEP_1) | instskip(SKIP_1) | instid1(VALU_DEP_2)
	v_subrev_nc_u32_e32 v12, 28, v8
	v_sub_nc_u32_e32 v8, 29, v8
	v_lshlrev_b64_e32 v[12:13], v12, v[118:119]
	s_delay_alu instid0(VALU_DEP_1)
	v_and_b32_e32 v118, 7, v12
; %bb.843:                              ;   in Loop: Header=BB206_813 Depth=1
	s_or_b32 exec_lo, exec_lo, s14
	s_delay_alu instid0(VALU_DEP_1) | instskip(SKIP_1) | instid1(VALU_DEP_2)
	v_dual_lshlrev_b32 v9, 24, v9 :: v_dual_lshlrev_b32 v12, 20, v118
	v_lshl_add_u32 v8, v8, 23, 0x3c000000
	v_and_b32_e32 v9, 0x80000000, v9
	s_delay_alu instid0(VALU_DEP_1)
	v_or3_b32 v13, v12, v9, v8
	v_mov_b32_e32 v12, v119
.LBB206_844:                            ;   in Loop: Header=BB206_813 Depth=1
	s_or_b32 exec_lo, exec_lo, s9
.LBB206_845:                            ;   in Loop: Header=BB206_813 Depth=1
	s_delay_alu instid0(SALU_CYCLE_1)
	s_or_b32 exec_lo, exec_lo, s8
.LBB206_846:                            ;   in Loop: Header=BB206_813 Depth=1
	s_delay_alu instid0(SALU_CYCLE_1)
	s_or_b32 exec_lo, exec_lo, s0
	v_add_nc_u32_e32 v33, v37, v42
	v_or_b32_e32 v0, v0, v6
	scratch_load_b32 v6, off, s32 offset:208 ; 4-byte Folded Reload
	v_or_b32_e32 v1, v1, v7
	v_dual_add_nc_u32 v35, 2, v33 :: v_dual_bitop2_b32 v7, v13, v15 bitop3:0x54
	v_dual_add_nc_u32 v43, 1, v33 :: v_dual_add_nc_u32 v34, 3, v33
	s_wait_loadcnt 0x0
	v_add_nc_u32_e32 v8, -1, v6
	v_or_b32_e32 v6, v12, v14
	s_wait_dscnt 0x1
	v_pk_mul_f32 v[66:67], v[54:55], v[0:1] op_sel_hi:[0,1]
	s_delay_alu instid0(VALU_DEP_3) | instskip(NEXT) | instid1(VALU_DEP_3)
	v_cmp_eq_u32_e32 vcc_lo, v8, v31
	v_pk_mul_f32 v[64:65], v[54:55], v[6:7] op_sel_hi:[0,1]
	s_wait_xcnt 0x0
	s_and_saveexec_b32 s8, vcc_lo
	s_cbranch_execz .LBB206_848
; %bb.847:                              ;   in Loop: Header=BB206_813 Depth=1
	scratch_load_b64 v[0:1], off, s32 offset:200 ; 8-byte Folded Reload
	s_wait_loadcnt 0x0
	v_cmp_lt_i32_e64 s0, v33, v0
	s_delay_alu instid0(VALU_DEP_1) | instskip(SKIP_1) | instid1(VALU_DEP_1)
	v_cndmask_b32_e64 v66, 0, v66, s0
	v_cmp_lt_i32_e64 s0, v43, v0
	v_cndmask_b32_e64 v67, 0, v67, s0
	v_cmp_lt_i32_e64 s0, v35, v0
	s_delay_alu instid0(VALU_DEP_1) | instskip(SKIP_1) | instid1(VALU_DEP_1)
	v_cndmask_b32_e64 v64, 0, v64, s0
	v_cmp_lt_i32_e64 s0, v34, v0
	v_cndmask_b32_e64 v65, 0, v65, s0
.LBB206_848:                            ;   in Loop: Header=BB206_813 Depth=1
	s_wait_xcnt 0x0
	s_or_b32 exec_lo, exec_lo, s8
	flat_load_b32 v8, v[68:69] offset:128
	v_mov_b64_e32 v[0:1], 0
	v_mov_b64_e32 v[6:7], 0
	s_mov_b32 s8, exec_lo
	s_wait_loadcnt_dscnt 0x0
	v_and_b32_e32 v9, 0xff, v8
	s_wait_xcnt 0x0
	s_delay_alu instid0(VALU_DEP_1)
	v_cmpx_ne_u16_e32 0, v9
	s_cbranch_execz .LBB206_856
; %bb.849:                              ;   in Loop: Header=BB206_813 Depth=1
	v_mov_b64_e32 v[6:7], 0x80000000
	s_mov_b32 s9, exec_lo
	v_cmpx_ne_u16_e32 0x80, v9
	s_cbranch_execz .LBB206_855
; %bb.850:                              ;   in Loop: Header=BB206_813 Depth=1
	v_mov_b64_e32 v[6:7], 0x7f800001
	v_and_b32_e32 v9, 0x7f, v8
	s_mov_b32 s14, exec_lo
	s_delay_alu instid0(VALU_DEP_1)
	v_cmpx_ne_u32_e32 0x7f, v9
	s_cbranch_execz .LBB206_854
; %bb.851:                              ;   in Loop: Header=BB206_813 Depth=1
	v_dual_lshrrev_b32 v6, 3, v9 :: v_dual_bitop2_b32 v118, 7, v8 bitop3:0x40
	s_mov_b32 s15, exec_lo
	v_cmpx_gt_u32_e32 8, v9
; %bb.852:                              ;   in Loop: Header=BB206_813 Depth=1
	s_delay_alu instid0(VALU_DEP_2) | instskip(NEXT) | instid1(VALU_DEP_1)
	v_clz_i32_u32_e32 v6, v118
	v_min_u32_e32 v6, 32, v6
	s_delay_alu instid0(VALU_DEP_1) | instskip(NEXT) | instid1(VALU_DEP_1)
	v_subrev_nc_u32_e32 v7, 28, v6
	v_lshlrev_b64_e32 v[12:13], v7, v[118:119]
	s_delay_alu instid0(VALU_DEP_1)
	v_dual_sub_nc_u32 v6, 29, v6 :: v_dual_bitop2_b32 v118, 7, v12 bitop3:0x40
; %bb.853:                              ;   in Loop: Header=BB206_813 Depth=1
	s_or_b32 exec_lo, exec_lo, s15
	s_delay_alu instid0(VALU_DEP_1) | instskip(NEXT) | instid1(VALU_DEP_2)
	v_dual_lshlrev_b32 v7, 24, v8 :: v_dual_lshlrev_b32 v9, 20, v118
	v_lshl_add_u32 v6, v6, 23, 0x3c000000
	s_delay_alu instid0(VALU_DEP_2) | instskip(NEXT) | instid1(VALU_DEP_1)
	v_and_b32_e32 v7, 0x80000000, v7
	v_or3_b32 v118, v9, v7, v6
	s_delay_alu instid0(VALU_DEP_1)
	v_mov_b64_e32 v[6:7], v[118:119]
.LBB206_854:                            ;   in Loop: Header=BB206_813 Depth=1
	s_or_b32 exec_lo, exec_lo, s14
.LBB206_855:                            ;   in Loop: Header=BB206_813 Depth=1
	s_delay_alu instid0(SALU_CYCLE_1)
	s_or_b32 exec_lo, exec_lo, s9
.LBB206_856:                            ;   in Loop: Header=BB206_813 Depth=1
	s_delay_alu instid0(SALU_CYCLE_1) | instskip(SKIP_2) | instid1(VALU_DEP_1)
	s_or_b32 exec_lo, exec_lo, s8
	v_lshrrev_b16 v9, 8, v8
	s_mov_b32 s8, exec_lo
	v_cmpx_ne_u16_e32 0, v9
	s_cbranch_execz .LBB206_864
; %bb.857:                              ;   in Loop: Header=BB206_813 Depth=1
	v_mov_b64_e32 v[0:1], 0x8000000000000000
	s_mov_b32 s9, exec_lo
	v_cmpx_ne_u16_e32 0x80, v9
	s_cbranch_execz .LBB206_863
; %bb.858:                              ;   in Loop: Header=BB206_813 Depth=1
	v_and_b32_e32 v12, 0xffff, v9
	v_mov_b64_e32 v[0:1], 0x7f80000100000000
	s_mov_b32 s14, exec_lo
	s_delay_alu instid0(VALU_DEP_2) | instskip(NEXT) | instid1(VALU_DEP_1)
	v_and_b32_e32 v9, 0x7f, v12
	v_cmpx_ne_u32_e32 0x7f, v9
	s_cbranch_execz .LBB206_862
; %bb.859:                              ;   in Loop: Header=BB206_813 Depth=1
	v_dual_lshrrev_b32 v0, 3, v9 :: v_dual_bitop2_b32 v118, 7, v12 bitop3:0x40
	s_mov_b32 s15, exec_lo
	v_cmpx_gt_u32_e32 8, v9
; %bb.860:                              ;   in Loop: Header=BB206_813 Depth=1
	s_delay_alu instid0(VALU_DEP_2) | instskip(NEXT) | instid1(VALU_DEP_1)
	v_clz_i32_u32_e32 v0, v118
	v_min_u32_e32 v0, 32, v0
	s_delay_alu instid0(VALU_DEP_1) | instskip(SKIP_1) | instid1(VALU_DEP_2)
	v_subrev_nc_u32_e32 v1, 28, v0
	v_sub_nc_u32_e32 v0, 29, v0
	v_lshlrev_b64_e32 v[12:13], v1, v[118:119]
	s_delay_alu instid0(VALU_DEP_1)
	v_and_b32_e32 v118, 7, v12
; %bb.861:                              ;   in Loop: Header=BB206_813 Depth=1
	s_or_b32 exec_lo, exec_lo, s15
	s_delay_alu instid0(VALU_DEP_1) | instskip(SKIP_1) | instid1(VALU_DEP_2)
	v_dual_lshlrev_b32 v1, 16, v8 :: v_dual_lshlrev_b32 v9, 20, v118
	v_lshl_add_u32 v0, v0, 23, 0x3c000000
	v_and_b32_e32 v1, 0x80000000, v1
	s_delay_alu instid0(VALU_DEP_1)
	v_or3_b32 v1, v9, v1, v0
	v_mov_b32_e32 v0, v119
.LBB206_862:                            ;   in Loop: Header=BB206_813 Depth=1
	s_or_b32 exec_lo, exec_lo, s14
.LBB206_863:                            ;   in Loop: Header=BB206_813 Depth=1
	s_delay_alu instid0(SALU_CYCLE_1)
	s_or_b32 exec_lo, exec_lo, s9
.LBB206_864:                            ;   in Loop: Header=BB206_813 Depth=1
	s_delay_alu instid0(SALU_CYCLE_1) | instskip(SKIP_4) | instid1(VALU_DEP_3)
	s_or_b32 exec_lo, exec_lo, s8
	v_lshrrev_b32_e32 v9, 16, v8
	v_mov_b64_e32 v[12:13], 0
	v_mov_b64_e32 v[14:15], 0
	s_mov_b32 s8, exec_lo
	v_and_b32_e32 v18, 0xff, v9
	s_delay_alu instid0(VALU_DEP_1)
	v_cmpx_ne_u16_e32 0, v18
	s_cbranch_execz .LBB206_872
; %bb.865:                              ;   in Loop: Header=BB206_813 Depth=1
	v_mov_b64_e32 v[14:15], 0x80000000
	s_mov_b32 s9, exec_lo
	v_cmpx_ne_u16_e32 0x80, v18
	s_cbranch_execz .LBB206_871
; %bb.866:                              ;   in Loop: Header=BB206_813 Depth=1
	v_mov_b64_e32 v[14:15], 0x7f800001
	v_bfe_u32 v18, v8, 16, 7
	s_mov_b32 s14, exec_lo
	s_delay_alu instid0(VALU_DEP_1)
	v_cmpx_ne_u32_e32 0x7f, v18
	s_cbranch_execz .LBB206_870
; %bb.867:                              ;   in Loop: Header=BB206_813 Depth=1
	v_dual_lshrrev_b32 v14, 3, v18 :: v_dual_bitop2_b32 v118, 7, v9 bitop3:0x40
	s_mov_b32 s15, exec_lo
	v_cmpx_gt_u32_e32 8, v18
; %bb.868:                              ;   in Loop: Header=BB206_813 Depth=1
	s_delay_alu instid0(VALU_DEP_2) | instskip(NEXT) | instid1(VALU_DEP_1)
	v_clz_i32_u32_e32 v14, v118
	v_min_u32_e32 v14, 32, v14
	s_delay_alu instid0(VALU_DEP_1) | instskip(SKIP_1) | instid1(VALU_DEP_2)
	v_subrev_nc_u32_e32 v15, 28, v14
	v_sub_nc_u32_e32 v14, 29, v14
	v_lshlrev_b64_e32 v[18:19], v15, v[118:119]
	s_delay_alu instid0(VALU_DEP_1)
	v_and_b32_e32 v118, 7, v18
; %bb.869:                              ;   in Loop: Header=BB206_813 Depth=1
	s_or_b32 exec_lo, exec_lo, s15
	s_delay_alu instid0(VALU_DEP_1) | instskip(SKIP_1) | instid1(VALU_DEP_2)
	v_dual_lshlrev_b32 v9, 24, v9 :: v_dual_lshlrev_b32 v15, 20, v118
	v_lshl_add_u32 v14, v14, 23, 0x3c000000
	v_and_b32_e32 v9, 0x80000000, v9
	s_delay_alu instid0(VALU_DEP_1) | instskip(NEXT) | instid1(VALU_DEP_1)
	v_or3_b32 v118, v15, v9, v14
	v_mov_b64_e32 v[14:15], v[118:119]
.LBB206_870:                            ;   in Loop: Header=BB206_813 Depth=1
	s_or_b32 exec_lo, exec_lo, s14
.LBB206_871:                            ;   in Loop: Header=BB206_813 Depth=1
	s_delay_alu instid0(SALU_CYCLE_1)
	s_or_b32 exec_lo, exec_lo, s9
.LBB206_872:                            ;   in Loop: Header=BB206_813 Depth=1
	s_delay_alu instid0(SALU_CYCLE_1) | instskip(NEXT) | instid1(SALU_CYCLE_1)
	s_or_b32 exec_lo, exec_lo, s8
	s_mov_b32 s8, exec_lo
	v_cmpx_lt_u32_e32 0xffffff, v8
	s_cbranch_execz .LBB206_880
; %bb.873:                              ;   in Loop: Header=BB206_813 Depth=1
	v_mov_b64_e32 v[12:13], 0x8000000000000000
	v_lshrrev_b32_e32 v9, 24, v8
	s_mov_b32 s9, exec_lo
	s_delay_alu instid0(VALU_DEP_1)
	v_cmpx_ne_u32_e32 0x80, v9
	s_cbranch_execz .LBB206_879
; %bb.874:                              ;   in Loop: Header=BB206_813 Depth=1
	v_mov_b64_e32 v[12:13], 0x7f80000100000000
	v_bfe_u32 v18, v8, 24, 7
	s_mov_b32 s14, exec_lo
	s_delay_alu instid0(VALU_DEP_1)
	v_cmpx_ne_u32_e32 0x7f, v18
	s_cbranch_execz .LBB206_878
; %bb.875:                              ;   in Loop: Header=BB206_813 Depth=1
	v_dual_lshrrev_b32 v8, 3, v18 :: v_dual_bitop2_b32 v118, 7, v9 bitop3:0x40
	s_mov_b32 s15, exec_lo
	v_cmpx_gt_u32_e32 8, v18
; %bb.876:                              ;   in Loop: Header=BB206_813 Depth=1
	s_delay_alu instid0(VALU_DEP_2) | instskip(NEXT) | instid1(VALU_DEP_1)
	v_clz_i32_u32_e32 v8, v118
	v_min_u32_e32 v8, 32, v8
	s_delay_alu instid0(VALU_DEP_1) | instskip(SKIP_1) | instid1(VALU_DEP_2)
	v_subrev_nc_u32_e32 v12, 28, v8
	v_sub_nc_u32_e32 v8, 29, v8
	v_lshlrev_b64_e32 v[12:13], v12, v[118:119]
	s_delay_alu instid0(VALU_DEP_1)
	v_and_b32_e32 v118, 7, v12
; %bb.877:                              ;   in Loop: Header=BB206_813 Depth=1
	s_or_b32 exec_lo, exec_lo, s15
	s_delay_alu instid0(VALU_DEP_1) | instskip(SKIP_1) | instid1(VALU_DEP_2)
	v_dual_lshlrev_b32 v9, 24, v9 :: v_dual_lshlrev_b32 v12, 20, v118
	v_lshl_add_u32 v8, v8, 23, 0x3c000000
	v_and_b32_e32 v9, 0x80000000, v9
	s_delay_alu instid0(VALU_DEP_1)
	v_or3_b32 v13, v12, v9, v8
	v_mov_b32_e32 v12, v119
.LBB206_878:                            ;   in Loop: Header=BB206_813 Depth=1
	s_or_b32 exec_lo, exec_lo, s14
.LBB206_879:                            ;   in Loop: Header=BB206_813 Depth=1
	s_delay_alu instid0(SALU_CYCLE_1)
	s_or_b32 exec_lo, exec_lo, s9
.LBB206_880:                            ;   in Loop: Header=BB206_813 Depth=1
	s_delay_alu instid0(SALU_CYCLE_1) | instskip(SKIP_4) | instid1(VALU_DEP_3)
	s_or_b32 exec_lo, exec_lo, s8
	v_dual_mov_b32 v55, v54 :: v_dual_bitop2_b32 v1, v1, v7 bitop3:0x54
	v_or_b32_e32 v0, v0, v6
	v_or_b32_e32 v7, v13, v15
	;; [unrolled: 1-line block ×3, first 2 shown]
	v_pk_mul_f32 v[70:71], v[54:55], v[0:1]
	s_delay_alu instid0(VALU_DEP_2)
	v_pk_mul_f32 v[0:1], v[54:55], v[6:7]
	s_and_saveexec_b32 s8, vcc_lo
	s_cbranch_execz .LBB206_882
; %bb.881:                              ;   in Loop: Header=BB206_813 Depth=1
	scratch_load_b64 v[6:7], off, s32 offset:200 ; 8-byte Folded Reload
	s_wait_loadcnt 0x0
	v_cmp_lt_i32_e64 s0, v33, v6
	s_delay_alu instid0(VALU_DEP_1) | instskip(SKIP_1) | instid1(VALU_DEP_1)
	v_cndmask_b32_e64 v70, 0, v70, s0
	v_cmp_lt_i32_e64 s0, v43, v6
	v_cndmask_b32_e64 v71, 0, v71, s0
	v_cmp_lt_i32_e64 s0, v35, v6
	s_delay_alu instid0(VALU_DEP_1) | instskip(SKIP_1) | instid1(VALU_DEP_1)
	v_cndmask_b32_e64 v0, 0, v0, s0
	v_cmp_lt_i32_e64 s0, v34, v6
	v_cndmask_b32_e64 v1, 0, v1, s0
.LBB206_882:                            ;   in Loop: Header=BB206_813 Depth=1
	s_wait_xcnt 0x0
	s_or_b32 exec_lo, exec_lo, s8
	flat_load_b32 v18, v[68:69] offset:256
	v_mov_b64_e32 v[6:7], 0
	v_mov_b64_e32 v[12:13], 0
	s_mov_b32 s8, exec_lo
	s_wait_loadcnt_dscnt 0x0
	v_and_b32_e32 v8, 0xff, v18
	s_wait_xcnt 0x0
	s_delay_alu instid0(VALU_DEP_1)
	v_cmpx_ne_u16_e32 0, v8
	s_cbranch_execz .LBB206_890
; %bb.883:                              ;   in Loop: Header=BB206_813 Depth=1
	v_mov_b64_e32 v[12:13], 0x80000000
	s_mov_b32 s9, exec_lo
	v_cmpx_ne_u16_e32 0x80, v8
	s_cbranch_execz .LBB206_889
; %bb.884:                              ;   in Loop: Header=BB206_813 Depth=1
	v_mov_b64_e32 v[12:13], 0x7f800001
	v_and_b32_e32 v9, 0x7f, v18
	s_mov_b32 s14, exec_lo
	s_delay_alu instid0(VALU_DEP_1)
	v_cmpx_ne_u32_e32 0x7f, v9
	s_cbranch_execz .LBB206_888
; %bb.885:                              ;   in Loop: Header=BB206_813 Depth=1
	v_dual_lshrrev_b32 v8, 3, v9 :: v_dual_bitop2_b32 v118, 7, v18 bitop3:0x40
	s_mov_b32 s15, exec_lo
	v_cmpx_gt_u32_e32 8, v9
; %bb.886:                              ;   in Loop: Header=BB206_813 Depth=1
	s_delay_alu instid0(VALU_DEP_2) | instskip(NEXT) | instid1(VALU_DEP_1)
	v_clz_i32_u32_e32 v8, v118
	v_min_u32_e32 v8, 32, v8
	s_delay_alu instid0(VALU_DEP_1) | instskip(SKIP_1) | instid1(VALU_DEP_2)
	v_subrev_nc_u32_e32 v9, 28, v8
	v_sub_nc_u32_e32 v8, 29, v8
	v_lshlrev_b64_e32 v[12:13], v9, v[118:119]
	s_delay_alu instid0(VALU_DEP_1)
	v_and_b32_e32 v118, 7, v12
; %bb.887:                              ;   in Loop: Header=BB206_813 Depth=1
	s_or_b32 exec_lo, exec_lo, s15
	v_lshlrev_b32_e32 v9, 24, v18
	s_delay_alu instid0(VALU_DEP_2) | instskip(SKIP_1) | instid1(VALU_DEP_3)
	v_lshlrev_b32_e32 v12, 20, v118
	v_lshl_add_u32 v8, v8, 23, 0x3c000000
	v_and_b32_e32 v9, 0x80000000, v9
	s_delay_alu instid0(VALU_DEP_1) | instskip(NEXT) | instid1(VALU_DEP_1)
	v_or3_b32 v118, v12, v9, v8
	v_mov_b64_e32 v[12:13], v[118:119]
.LBB206_888:                            ;   in Loop: Header=BB206_813 Depth=1
	s_or_b32 exec_lo, exec_lo, s14
.LBB206_889:                            ;   in Loop: Header=BB206_813 Depth=1
	s_delay_alu instid0(SALU_CYCLE_1)
	s_or_b32 exec_lo, exec_lo, s9
.LBB206_890:                            ;   in Loop: Header=BB206_813 Depth=1
	s_delay_alu instid0(SALU_CYCLE_1) | instskip(SKIP_2) | instid1(VALU_DEP_1)
	s_or_b32 exec_lo, exec_lo, s8
	v_lshrrev_b16 v8, 8, v18
	s_mov_b32 s8, exec_lo
	v_cmpx_ne_u16_e32 0, v8
	s_cbranch_execz .LBB206_898
; %bb.891:                              ;   in Loop: Header=BB206_813 Depth=1
	v_mov_b64_e32 v[6:7], 0x8000000000000000
	s_mov_b32 s9, exec_lo
	v_cmpx_ne_u16_e32 0x80, v8
	s_cbranch_execz .LBB206_897
; %bb.892:                              ;   in Loop: Header=BB206_813 Depth=1
	v_and_b32_e32 v9, 0xffff, v8
	v_mov_b64_e32 v[6:7], 0x7f80000100000000
	s_mov_b32 s14, exec_lo
	s_delay_alu instid0(VALU_DEP_2) | instskip(NEXT) | instid1(VALU_DEP_1)
	v_and_b32_e32 v8, 0x7f, v9
	v_cmpx_ne_u32_e32 0x7f, v8
	s_cbranch_execz .LBB206_896
; %bb.893:                              ;   in Loop: Header=BB206_813 Depth=1
	v_dual_lshrrev_b32 v6, 3, v8 :: v_dual_bitop2_b32 v118, 7, v9 bitop3:0x40
	s_mov_b32 s15, exec_lo
	v_cmpx_gt_u32_e32 8, v8
; %bb.894:                              ;   in Loop: Header=BB206_813 Depth=1
	s_delay_alu instid0(VALU_DEP_2) | instskip(NEXT) | instid1(VALU_DEP_1)
	v_clz_i32_u32_e32 v6, v118
	v_min_u32_e32 v6, 32, v6
	s_delay_alu instid0(VALU_DEP_1) | instskip(NEXT) | instid1(VALU_DEP_1)
	v_subrev_nc_u32_e32 v7, 28, v6
	v_lshlrev_b64_e32 v[8:9], v7, v[118:119]
	s_delay_alu instid0(VALU_DEP_1)
	v_dual_sub_nc_u32 v6, 29, v6 :: v_dual_bitop2_b32 v118, 7, v8 bitop3:0x40
; %bb.895:                              ;   in Loop: Header=BB206_813 Depth=1
	s_or_b32 exec_lo, exec_lo, s15
	v_lshlrev_b32_e32 v7, 16, v18
	s_delay_alu instid0(VALU_DEP_2) | instskip(NEXT) | instid1(VALU_DEP_3)
	v_lshlrev_b32_e32 v8, 20, v118
	v_lshl_add_u32 v6, v6, 23, 0x3c000000
	s_delay_alu instid0(VALU_DEP_3) | instskip(NEXT) | instid1(VALU_DEP_1)
	v_and_b32_e32 v7, 0x80000000, v7
	v_or3_b32 v7, v8, v7, v6
	v_mov_b32_e32 v6, v119
.LBB206_896:                            ;   in Loop: Header=BB206_813 Depth=1
	s_or_b32 exec_lo, exec_lo, s14
.LBB206_897:                            ;   in Loop: Header=BB206_813 Depth=1
	s_delay_alu instid0(SALU_CYCLE_1)
	s_or_b32 exec_lo, exec_lo, s9
.LBB206_898:                            ;   in Loop: Header=BB206_813 Depth=1
	s_delay_alu instid0(SALU_CYCLE_1) | instskip(SKIP_4) | instid1(VALU_DEP_3)
	s_or_b32 exec_lo, exec_lo, s8
	v_lshrrev_b32_e32 v19, 16, v18
	v_mov_b64_e32 v[14:15], 0
	v_mov_b64_e32 v[8:9], 0
	s_mov_b32 s8, exec_lo
	v_and_b32_e32 v20, 0xff, v19
	s_delay_alu instid0(VALU_DEP_1)
	v_cmpx_ne_u16_e32 0, v20
	s_cbranch_execz .LBB206_906
; %bb.899:                              ;   in Loop: Header=BB206_813 Depth=1
	v_mov_b64_e32 v[8:9], 0x80000000
	s_mov_b32 s9, exec_lo
	v_cmpx_ne_u16_e32 0x80, v20
	s_cbranch_execz .LBB206_905
; %bb.900:                              ;   in Loop: Header=BB206_813 Depth=1
	v_mov_b64_e32 v[8:9], 0x7f800001
	v_bfe_u32 v20, v18, 16, 7
	s_mov_b32 s14, exec_lo
	s_delay_alu instid0(VALU_DEP_1)
	v_cmpx_ne_u32_e32 0x7f, v20
	s_cbranch_execz .LBB206_904
; %bb.901:                              ;   in Loop: Header=BB206_813 Depth=1
	v_dual_lshrrev_b32 v8, 3, v20 :: v_dual_bitop2_b32 v118, 7, v19 bitop3:0x40
	s_mov_b32 s15, exec_lo
	v_cmpx_gt_u32_e32 8, v20
; %bb.902:                              ;   in Loop: Header=BB206_813 Depth=1
	s_delay_alu instid0(VALU_DEP_2) | instskip(NEXT) | instid1(VALU_DEP_1)
	v_clz_i32_u32_e32 v8, v118
	v_min_u32_e32 v8, 32, v8
	s_delay_alu instid0(VALU_DEP_1) | instskip(SKIP_1) | instid1(VALU_DEP_2)
	v_subrev_nc_u32_e32 v9, 28, v8
	v_sub_nc_u32_e32 v8, 29, v8
	v_lshlrev_b64_e32 v[20:21], v9, v[118:119]
	s_delay_alu instid0(VALU_DEP_1)
	v_and_b32_e32 v118, 7, v20
; %bb.903:                              ;   in Loop: Header=BB206_813 Depth=1
	s_or_b32 exec_lo, exec_lo, s15
	s_delay_alu instid0(VALU_DEP_1) | instskip(SKIP_1) | instid1(VALU_DEP_2)
	v_dual_lshlrev_b32 v9, 24, v19 :: v_dual_lshlrev_b32 v19, 20, v118
	v_lshl_add_u32 v8, v8, 23, 0x3c000000
	v_and_b32_e32 v9, 0x80000000, v9
	s_delay_alu instid0(VALU_DEP_1) | instskip(NEXT) | instid1(VALU_DEP_1)
	v_or3_b32 v118, v19, v9, v8
	v_mov_b64_e32 v[8:9], v[118:119]
.LBB206_904:                            ;   in Loop: Header=BB206_813 Depth=1
	s_or_b32 exec_lo, exec_lo, s14
.LBB206_905:                            ;   in Loop: Header=BB206_813 Depth=1
	s_delay_alu instid0(SALU_CYCLE_1)
	s_or_b32 exec_lo, exec_lo, s9
.LBB206_906:                            ;   in Loop: Header=BB206_813 Depth=1
	s_delay_alu instid0(SALU_CYCLE_1) | instskip(NEXT) | instid1(SALU_CYCLE_1)
	s_or_b32 exec_lo, exec_lo, s8
	s_mov_b32 s8, exec_lo
	v_cmpx_lt_u32_e32 0xffffff, v18
	s_cbranch_execz .LBB206_914
; %bb.907:                              ;   in Loop: Header=BB206_813 Depth=1
	v_mov_b64_e32 v[14:15], 0x8000000000000000
	v_lshrrev_b32_e32 v19, 24, v18
	s_mov_b32 s9, exec_lo
	s_delay_alu instid0(VALU_DEP_1)
	v_cmpx_ne_u32_e32 0x80, v19
	s_cbranch_execz .LBB206_913
; %bb.908:                              ;   in Loop: Header=BB206_813 Depth=1
	v_mov_b64_e32 v[14:15], 0x7f80000100000000
	v_bfe_u32 v18, v18, 24, 7
	s_mov_b32 s14, exec_lo
	s_delay_alu instid0(VALU_DEP_1)
	v_cmpx_ne_u32_e32 0x7f, v18
	s_cbranch_execz .LBB206_912
; %bb.909:                              ;   in Loop: Header=BB206_813 Depth=1
	v_dual_lshrrev_b32 v14, 3, v18 :: v_dual_bitop2_b32 v118, 7, v19 bitop3:0x40
	s_mov_b32 s15, exec_lo
	v_cmpx_gt_u32_e32 8, v18
; %bb.910:                              ;   in Loop: Header=BB206_813 Depth=1
	s_delay_alu instid0(VALU_DEP_2) | instskip(NEXT) | instid1(VALU_DEP_1)
	v_clz_i32_u32_e32 v14, v118
	v_min_u32_e32 v14, 32, v14
	s_delay_alu instid0(VALU_DEP_1) | instskip(NEXT) | instid1(VALU_DEP_1)
	v_subrev_nc_u32_e32 v15, 28, v14
	v_lshlrev_b64_e32 v[20:21], v15, v[118:119]
	s_delay_alu instid0(VALU_DEP_1)
	v_dual_sub_nc_u32 v14, 29, v14 :: v_dual_bitop2_b32 v118, 7, v20 bitop3:0x40
; %bb.911:                              ;   in Loop: Header=BB206_813 Depth=1
	s_or_b32 exec_lo, exec_lo, s15
	s_delay_alu instid0(VALU_DEP_1) | instskip(NEXT) | instid1(VALU_DEP_2)
	v_dual_lshlrev_b32 v15, 24, v19 :: v_dual_lshlrev_b32 v18, 20, v118
	v_lshl_add_u32 v14, v14, 23, 0x3c000000
	s_delay_alu instid0(VALU_DEP_2) | instskip(NEXT) | instid1(VALU_DEP_1)
	v_and_b32_e32 v15, 0x80000000, v15
	v_or3_b32 v15, v18, v15, v14
	v_mov_b32_e32 v14, v119
.LBB206_912:                            ;   in Loop: Header=BB206_813 Depth=1
	s_or_b32 exec_lo, exec_lo, s14
.LBB206_913:                            ;   in Loop: Header=BB206_813 Depth=1
	s_delay_alu instid0(SALU_CYCLE_1)
	s_or_b32 exec_lo, exec_lo, s9
.LBB206_914:                            ;   in Loop: Header=BB206_813 Depth=1
	s_delay_alu instid0(SALU_CYCLE_1) | instskip(SKIP_4) | instid1(VALU_DEP_3)
	s_or_b32 exec_lo, exec_lo, s8
	v_or_b32_e32 v7, v7, v13
	v_or_b32_e32 v6, v6, v12
	;; [unrolled: 1-line block ×4, first 2 shown]
	v_pk_mul_f32 v[82:83], v[54:55], v[6:7]
	s_delay_alu instid0(VALU_DEP_2)
	v_pk_mul_f32 v[80:81], v[54:55], v[8:9]
	s_and_saveexec_b32 s8, vcc_lo
	s_cbranch_execz .LBB206_916
; %bb.915:                              ;   in Loop: Header=BB206_813 Depth=1
	scratch_load_b64 v[6:7], off, s32 offset:200 ; 8-byte Folded Reload
	s_wait_loadcnt 0x0
	v_cmp_lt_i32_e64 s0, v33, v6
	s_delay_alu instid0(VALU_DEP_1) | instskip(SKIP_1) | instid1(VALU_DEP_1)
	v_cndmask_b32_e64 v82, 0, v82, s0
	v_cmp_lt_i32_e64 s0, v43, v6
	v_cndmask_b32_e64 v83, 0, v83, s0
	v_cmp_lt_i32_e64 s0, v35, v6
	s_delay_alu instid0(VALU_DEP_1) | instskip(SKIP_1) | instid1(VALU_DEP_1)
	v_cndmask_b32_e64 v80, 0, v80, s0
	v_cmp_lt_i32_e64 s0, v34, v6
	v_cndmask_b32_e64 v81, 0, v81, s0
.LBB206_916:                            ;   in Loop: Header=BB206_813 Depth=1
	s_wait_xcnt 0x0
	s_or_b32 exec_lo, exec_lo, s8
	flat_load_b32 v18, v[68:69] offset:384
	v_mov_b64_e32 v[6:7], 0
	v_mov_b64_e32 v[12:13], 0
	s_mov_b32 s8, exec_lo
	s_wait_loadcnt_dscnt 0x0
	v_and_b32_e32 v8, 0xff, v18
	s_wait_xcnt 0x0
	s_delay_alu instid0(VALU_DEP_1)
	v_cmpx_ne_u16_e32 0, v8
	s_cbranch_execz .LBB206_924
; %bb.917:                              ;   in Loop: Header=BB206_813 Depth=1
	v_mov_b64_e32 v[12:13], 0x80000000
	s_mov_b32 s9, exec_lo
	v_cmpx_ne_u16_e32 0x80, v8
	s_cbranch_execz .LBB206_923
; %bb.918:                              ;   in Loop: Header=BB206_813 Depth=1
	v_mov_b64_e32 v[12:13], 0x7f800001
	v_and_b32_e32 v9, 0x7f, v18
	s_mov_b32 s14, exec_lo
	s_delay_alu instid0(VALU_DEP_1)
	v_cmpx_ne_u32_e32 0x7f, v9
	s_cbranch_execz .LBB206_922
; %bb.919:                              ;   in Loop: Header=BB206_813 Depth=1
	v_dual_lshrrev_b32 v8, 3, v9 :: v_dual_bitop2_b32 v118, 7, v18 bitop3:0x40
	s_mov_b32 s15, exec_lo
	v_cmpx_gt_u32_e32 8, v9
; %bb.920:                              ;   in Loop: Header=BB206_813 Depth=1
	s_delay_alu instid0(VALU_DEP_2) | instskip(NEXT) | instid1(VALU_DEP_1)
	v_clz_i32_u32_e32 v8, v118
	v_min_u32_e32 v8, 32, v8
	s_delay_alu instid0(VALU_DEP_1) | instskip(SKIP_1) | instid1(VALU_DEP_2)
	v_subrev_nc_u32_e32 v9, 28, v8
	v_sub_nc_u32_e32 v8, 29, v8
	v_lshlrev_b64_e32 v[12:13], v9, v[118:119]
	s_delay_alu instid0(VALU_DEP_1)
	v_and_b32_e32 v118, 7, v12
; %bb.921:                              ;   in Loop: Header=BB206_813 Depth=1
	s_or_b32 exec_lo, exec_lo, s15
	v_lshlrev_b32_e32 v9, 24, v18
	s_delay_alu instid0(VALU_DEP_2) | instskip(SKIP_1) | instid1(VALU_DEP_3)
	v_lshlrev_b32_e32 v12, 20, v118
	v_lshl_add_u32 v8, v8, 23, 0x3c000000
	v_and_b32_e32 v9, 0x80000000, v9
	s_delay_alu instid0(VALU_DEP_1) | instskip(NEXT) | instid1(VALU_DEP_1)
	v_or3_b32 v118, v12, v9, v8
	v_mov_b64_e32 v[12:13], v[118:119]
.LBB206_922:                            ;   in Loop: Header=BB206_813 Depth=1
	s_or_b32 exec_lo, exec_lo, s14
.LBB206_923:                            ;   in Loop: Header=BB206_813 Depth=1
	s_delay_alu instid0(SALU_CYCLE_1)
	s_or_b32 exec_lo, exec_lo, s9
.LBB206_924:                            ;   in Loop: Header=BB206_813 Depth=1
	s_delay_alu instid0(SALU_CYCLE_1) | instskip(SKIP_2) | instid1(VALU_DEP_1)
	s_or_b32 exec_lo, exec_lo, s8
	v_lshrrev_b16 v8, 8, v18
	s_mov_b32 s8, exec_lo
	v_cmpx_ne_u16_e32 0, v8
	s_cbranch_execz .LBB206_932
; %bb.925:                              ;   in Loop: Header=BB206_813 Depth=1
	v_mov_b64_e32 v[6:7], 0x8000000000000000
	s_mov_b32 s9, exec_lo
	v_cmpx_ne_u16_e32 0x80, v8
	s_cbranch_execz .LBB206_931
; %bb.926:                              ;   in Loop: Header=BB206_813 Depth=1
	v_and_b32_e32 v9, 0xffff, v8
	v_mov_b64_e32 v[6:7], 0x7f80000100000000
	s_mov_b32 s14, exec_lo
	s_delay_alu instid0(VALU_DEP_2) | instskip(NEXT) | instid1(VALU_DEP_1)
	v_and_b32_e32 v8, 0x7f, v9
	v_cmpx_ne_u32_e32 0x7f, v8
	s_cbranch_execz .LBB206_930
; %bb.927:                              ;   in Loop: Header=BB206_813 Depth=1
	v_dual_lshrrev_b32 v6, 3, v8 :: v_dual_bitop2_b32 v118, 7, v9 bitop3:0x40
	s_mov_b32 s15, exec_lo
	v_cmpx_gt_u32_e32 8, v8
; %bb.928:                              ;   in Loop: Header=BB206_813 Depth=1
	s_delay_alu instid0(VALU_DEP_2) | instskip(NEXT) | instid1(VALU_DEP_1)
	v_clz_i32_u32_e32 v6, v118
	v_min_u32_e32 v6, 32, v6
	s_delay_alu instid0(VALU_DEP_1) | instskip(NEXT) | instid1(VALU_DEP_1)
	v_subrev_nc_u32_e32 v7, 28, v6
	v_lshlrev_b64_e32 v[8:9], v7, v[118:119]
	s_delay_alu instid0(VALU_DEP_1)
	v_dual_sub_nc_u32 v6, 29, v6 :: v_dual_bitop2_b32 v118, 7, v8 bitop3:0x40
; %bb.929:                              ;   in Loop: Header=BB206_813 Depth=1
	s_or_b32 exec_lo, exec_lo, s15
	v_lshlrev_b32_e32 v7, 16, v18
	s_delay_alu instid0(VALU_DEP_2) | instskip(NEXT) | instid1(VALU_DEP_3)
	v_lshlrev_b32_e32 v8, 20, v118
	v_lshl_add_u32 v6, v6, 23, 0x3c000000
	s_delay_alu instid0(VALU_DEP_3) | instskip(NEXT) | instid1(VALU_DEP_1)
	v_and_b32_e32 v7, 0x80000000, v7
	v_or3_b32 v7, v8, v7, v6
	v_mov_b32_e32 v6, v119
.LBB206_930:                            ;   in Loop: Header=BB206_813 Depth=1
	s_or_b32 exec_lo, exec_lo, s14
.LBB206_931:                            ;   in Loop: Header=BB206_813 Depth=1
	s_delay_alu instid0(SALU_CYCLE_1)
	s_or_b32 exec_lo, exec_lo, s9
.LBB206_932:                            ;   in Loop: Header=BB206_813 Depth=1
	s_delay_alu instid0(SALU_CYCLE_1) | instskip(SKIP_4) | instid1(VALU_DEP_3)
	s_or_b32 exec_lo, exec_lo, s8
	v_lshrrev_b32_e32 v19, 16, v18
	v_mov_b64_e32 v[14:15], 0
	v_mov_b64_e32 v[8:9], 0
	s_mov_b32 s8, exec_lo
	v_and_b32_e32 v20, 0xff, v19
	s_delay_alu instid0(VALU_DEP_1)
	v_cmpx_ne_u16_e32 0, v20
	s_cbranch_execz .LBB206_940
; %bb.933:                              ;   in Loop: Header=BB206_813 Depth=1
	v_mov_b64_e32 v[8:9], 0x80000000
	s_mov_b32 s9, exec_lo
	v_cmpx_ne_u16_e32 0x80, v20
	s_cbranch_execz .LBB206_939
; %bb.934:                              ;   in Loop: Header=BB206_813 Depth=1
	v_mov_b64_e32 v[8:9], 0x7f800001
	v_bfe_u32 v20, v18, 16, 7
	s_mov_b32 s14, exec_lo
	s_delay_alu instid0(VALU_DEP_1)
	v_cmpx_ne_u32_e32 0x7f, v20
	s_cbranch_execz .LBB206_938
; %bb.935:                              ;   in Loop: Header=BB206_813 Depth=1
	v_dual_lshrrev_b32 v8, 3, v20 :: v_dual_bitop2_b32 v118, 7, v19 bitop3:0x40
	s_mov_b32 s15, exec_lo
	v_cmpx_gt_u32_e32 8, v20
; %bb.936:                              ;   in Loop: Header=BB206_813 Depth=1
	s_delay_alu instid0(VALU_DEP_2) | instskip(NEXT) | instid1(VALU_DEP_1)
	v_clz_i32_u32_e32 v8, v118
	v_min_u32_e32 v8, 32, v8
	s_delay_alu instid0(VALU_DEP_1) | instskip(SKIP_1) | instid1(VALU_DEP_2)
	v_subrev_nc_u32_e32 v9, 28, v8
	v_sub_nc_u32_e32 v8, 29, v8
	v_lshlrev_b64_e32 v[20:21], v9, v[118:119]
	s_delay_alu instid0(VALU_DEP_1)
	v_and_b32_e32 v118, 7, v20
; %bb.937:                              ;   in Loop: Header=BB206_813 Depth=1
	s_or_b32 exec_lo, exec_lo, s15
	s_delay_alu instid0(VALU_DEP_1) | instskip(SKIP_1) | instid1(VALU_DEP_2)
	v_dual_lshlrev_b32 v9, 24, v19 :: v_dual_lshlrev_b32 v19, 20, v118
	v_lshl_add_u32 v8, v8, 23, 0x3c000000
	v_and_b32_e32 v9, 0x80000000, v9
	s_delay_alu instid0(VALU_DEP_1) | instskip(NEXT) | instid1(VALU_DEP_1)
	v_or3_b32 v118, v19, v9, v8
	v_mov_b64_e32 v[8:9], v[118:119]
.LBB206_938:                            ;   in Loop: Header=BB206_813 Depth=1
	s_or_b32 exec_lo, exec_lo, s14
.LBB206_939:                            ;   in Loop: Header=BB206_813 Depth=1
	s_delay_alu instid0(SALU_CYCLE_1)
	s_or_b32 exec_lo, exec_lo, s9
.LBB206_940:                            ;   in Loop: Header=BB206_813 Depth=1
	s_delay_alu instid0(SALU_CYCLE_1) | instskip(NEXT) | instid1(SALU_CYCLE_1)
	s_or_b32 exec_lo, exec_lo, s8
	s_mov_b32 s8, exec_lo
	v_cmpx_lt_u32_e32 0xffffff, v18
	s_cbranch_execz .LBB206_948
; %bb.941:                              ;   in Loop: Header=BB206_813 Depth=1
	v_mov_b64_e32 v[14:15], 0x8000000000000000
	v_lshrrev_b32_e32 v19, 24, v18
	s_mov_b32 s9, exec_lo
	s_delay_alu instid0(VALU_DEP_1)
	v_cmpx_ne_u32_e32 0x80, v19
	s_cbranch_execz .LBB206_947
; %bb.942:                              ;   in Loop: Header=BB206_813 Depth=1
	v_mov_b64_e32 v[14:15], 0x7f80000100000000
	v_bfe_u32 v18, v18, 24, 7
	s_mov_b32 s14, exec_lo
	s_delay_alu instid0(VALU_DEP_1)
	v_cmpx_ne_u32_e32 0x7f, v18
	s_cbranch_execz .LBB206_946
; %bb.943:                              ;   in Loop: Header=BB206_813 Depth=1
	v_dual_lshrrev_b32 v14, 3, v18 :: v_dual_bitop2_b32 v118, 7, v19 bitop3:0x40
	s_mov_b32 s15, exec_lo
	v_cmpx_gt_u32_e32 8, v18
; %bb.944:                              ;   in Loop: Header=BB206_813 Depth=1
	s_delay_alu instid0(VALU_DEP_2) | instskip(NEXT) | instid1(VALU_DEP_1)
	v_clz_i32_u32_e32 v14, v118
	v_min_u32_e32 v14, 32, v14
	s_delay_alu instid0(VALU_DEP_1) | instskip(NEXT) | instid1(VALU_DEP_1)
	v_subrev_nc_u32_e32 v15, 28, v14
	v_lshlrev_b64_e32 v[20:21], v15, v[118:119]
	s_delay_alu instid0(VALU_DEP_1)
	v_dual_sub_nc_u32 v14, 29, v14 :: v_dual_bitop2_b32 v118, 7, v20 bitop3:0x40
; %bb.945:                              ;   in Loop: Header=BB206_813 Depth=1
	s_or_b32 exec_lo, exec_lo, s15
	s_delay_alu instid0(VALU_DEP_1) | instskip(NEXT) | instid1(VALU_DEP_2)
	v_dual_lshlrev_b32 v15, 24, v19 :: v_dual_lshlrev_b32 v18, 20, v118
	v_lshl_add_u32 v14, v14, 23, 0x3c000000
	s_delay_alu instid0(VALU_DEP_2) | instskip(NEXT) | instid1(VALU_DEP_1)
	v_and_b32_e32 v15, 0x80000000, v15
	v_or3_b32 v15, v18, v15, v14
	v_mov_b32_e32 v14, v119
.LBB206_946:                            ;   in Loop: Header=BB206_813 Depth=1
	s_or_b32 exec_lo, exec_lo, s14
.LBB206_947:                            ;   in Loop: Header=BB206_813 Depth=1
	s_delay_alu instid0(SALU_CYCLE_1)
	s_or_b32 exec_lo, exec_lo, s9
.LBB206_948:                            ;   in Loop: Header=BB206_813 Depth=1
	s_delay_alu instid0(SALU_CYCLE_1) | instskip(SKIP_4) | instid1(VALU_DEP_3)
	s_or_b32 exec_lo, exec_lo, s8
	v_or_b32_e32 v7, v7, v13
	v_or_b32_e32 v6, v6, v12
	;; [unrolled: 1-line block ×4, first 2 shown]
	v_pk_mul_f32 v[22:23], v[54:55], v[6:7]
	s_delay_alu instid0(VALU_DEP_2)
	v_pk_mul_f32 v[18:19], v[54:55], v[8:9]
	s_and_saveexec_b32 s8, vcc_lo
	s_cbranch_execz .LBB206_950
; %bb.949:                              ;   in Loop: Header=BB206_813 Depth=1
	scratch_load_b64 v[6:7], off, s32 offset:200 ; 8-byte Folded Reload
	s_wait_loadcnt 0x0
	v_cmp_lt_i32_e64 s0, v33, v6
	s_delay_alu instid0(VALU_DEP_1) | instskip(SKIP_1) | instid1(VALU_DEP_1)
	v_cndmask_b32_e64 v22, 0, v22, s0
	v_cmp_lt_i32_e64 s0, v43, v6
	v_cndmask_b32_e64 v23, 0, v23, s0
	v_cmp_lt_i32_e64 s0, v35, v6
	s_delay_alu instid0(VALU_DEP_1) | instskip(SKIP_1) | instid1(VALU_DEP_1)
	v_cndmask_b32_e64 v18, 0, v18, s0
	v_cmp_lt_i32_e64 s0, v34, v6
	v_cndmask_b32_e64 v19, 0, v19, s0
.LBB206_950:                            ;   in Loop: Header=BB206_813 Depth=1
	s_wait_xcnt 0x0
	s_or_b32 exec_lo, exec_lo, s8
	flat_load_b32 v20, v[68:69] offset:512
	v_mov_b64_e32 v[6:7], 0
	v_mov_b64_e32 v[12:13], 0
	s_mov_b32 s8, exec_lo
	s_wait_loadcnt_dscnt 0x0
	v_and_b32_e32 v8, 0xff, v20
	s_wait_xcnt 0x0
	s_delay_alu instid0(VALU_DEP_1)
	v_cmpx_ne_u16_e32 0, v8
	s_cbranch_execz .LBB206_958
; %bb.951:                              ;   in Loop: Header=BB206_813 Depth=1
	v_mov_b64_e32 v[12:13], 0x80000000
	s_mov_b32 s9, exec_lo
	v_cmpx_ne_u16_e32 0x80, v8
	s_cbranch_execz .LBB206_957
; %bb.952:                              ;   in Loop: Header=BB206_813 Depth=1
	v_mov_b64_e32 v[12:13], 0x7f800001
	v_and_b32_e32 v9, 0x7f, v20
	s_mov_b32 s14, exec_lo
	s_delay_alu instid0(VALU_DEP_1)
	v_cmpx_ne_u32_e32 0x7f, v9
	s_cbranch_execz .LBB206_956
; %bb.953:                              ;   in Loop: Header=BB206_813 Depth=1
	v_dual_lshrrev_b32 v8, 3, v9 :: v_dual_bitop2_b32 v118, 7, v20 bitop3:0x40
	s_mov_b32 s15, exec_lo
	v_cmpx_gt_u32_e32 8, v9
; %bb.954:                              ;   in Loop: Header=BB206_813 Depth=1
	s_delay_alu instid0(VALU_DEP_2) | instskip(NEXT) | instid1(VALU_DEP_1)
	v_clz_i32_u32_e32 v8, v118
	v_min_u32_e32 v8, 32, v8
	s_delay_alu instid0(VALU_DEP_1) | instskip(SKIP_1) | instid1(VALU_DEP_2)
	v_subrev_nc_u32_e32 v9, 28, v8
	v_sub_nc_u32_e32 v8, 29, v8
	v_lshlrev_b64_e32 v[12:13], v9, v[118:119]
	s_delay_alu instid0(VALU_DEP_1)
	v_and_b32_e32 v118, 7, v12
; %bb.955:                              ;   in Loop: Header=BB206_813 Depth=1
	s_or_b32 exec_lo, exec_lo, s15
	s_delay_alu instid0(VALU_DEP_1) | instskip(SKIP_1) | instid1(VALU_DEP_2)
	v_dual_lshlrev_b32 v9, 24, v20 :: v_dual_lshlrev_b32 v12, 20, v118
	v_lshl_add_u32 v8, v8, 23, 0x3c000000
	v_and_b32_e32 v9, 0x80000000, v9
	s_delay_alu instid0(VALU_DEP_1) | instskip(NEXT) | instid1(VALU_DEP_1)
	v_or3_b32 v118, v12, v9, v8
	v_mov_b64_e32 v[12:13], v[118:119]
.LBB206_956:                            ;   in Loop: Header=BB206_813 Depth=1
	s_or_b32 exec_lo, exec_lo, s14
.LBB206_957:                            ;   in Loop: Header=BB206_813 Depth=1
	s_delay_alu instid0(SALU_CYCLE_1)
	s_or_b32 exec_lo, exec_lo, s9
.LBB206_958:                            ;   in Loop: Header=BB206_813 Depth=1
	s_delay_alu instid0(SALU_CYCLE_1) | instskip(SKIP_2) | instid1(VALU_DEP_1)
	s_or_b32 exec_lo, exec_lo, s8
	v_lshrrev_b16 v8, 8, v20
	s_mov_b32 s8, exec_lo
	v_cmpx_ne_u16_e32 0, v8
	s_cbranch_execz .LBB206_966
; %bb.959:                              ;   in Loop: Header=BB206_813 Depth=1
	v_mov_b64_e32 v[6:7], 0x8000000000000000
	s_mov_b32 s9, exec_lo
	v_cmpx_ne_u16_e32 0x80, v8
	s_cbranch_execz .LBB206_965
; %bb.960:                              ;   in Loop: Header=BB206_813 Depth=1
	v_and_b32_e32 v9, 0xffff, v8
	v_mov_b64_e32 v[6:7], 0x7f80000100000000
	s_mov_b32 s14, exec_lo
	s_delay_alu instid0(VALU_DEP_2) | instskip(NEXT) | instid1(VALU_DEP_1)
	v_and_b32_e32 v8, 0x7f, v9
	v_cmpx_ne_u32_e32 0x7f, v8
	s_cbranch_execz .LBB206_964
; %bb.961:                              ;   in Loop: Header=BB206_813 Depth=1
	v_dual_lshrrev_b32 v6, 3, v8 :: v_dual_bitop2_b32 v118, 7, v9 bitop3:0x40
	s_mov_b32 s15, exec_lo
	v_cmpx_gt_u32_e32 8, v8
; %bb.962:                              ;   in Loop: Header=BB206_813 Depth=1
	s_delay_alu instid0(VALU_DEP_2) | instskip(NEXT) | instid1(VALU_DEP_1)
	v_clz_i32_u32_e32 v6, v118
	v_min_u32_e32 v6, 32, v6
	s_delay_alu instid0(VALU_DEP_1) | instskip(NEXT) | instid1(VALU_DEP_1)
	v_subrev_nc_u32_e32 v7, 28, v6
	v_lshlrev_b64_e32 v[8:9], v7, v[118:119]
	s_delay_alu instid0(VALU_DEP_1)
	v_dual_sub_nc_u32 v6, 29, v6 :: v_dual_bitop2_b32 v118, 7, v8 bitop3:0x40
; %bb.963:                              ;   in Loop: Header=BB206_813 Depth=1
	s_or_b32 exec_lo, exec_lo, s15
	s_delay_alu instid0(VALU_DEP_1) | instskip(NEXT) | instid1(VALU_DEP_2)
	v_dual_lshlrev_b32 v7, 16, v20 :: v_dual_lshlrev_b32 v8, 20, v118
	v_lshl_add_u32 v6, v6, 23, 0x3c000000
	s_delay_alu instid0(VALU_DEP_2) | instskip(NEXT) | instid1(VALU_DEP_1)
	v_and_b32_e32 v7, 0x80000000, v7
	v_or3_b32 v7, v8, v7, v6
	v_mov_b32_e32 v6, v119
.LBB206_964:                            ;   in Loop: Header=BB206_813 Depth=1
	s_or_b32 exec_lo, exec_lo, s14
.LBB206_965:                            ;   in Loop: Header=BB206_813 Depth=1
	s_delay_alu instid0(SALU_CYCLE_1)
	s_or_b32 exec_lo, exec_lo, s9
.LBB206_966:                            ;   in Loop: Header=BB206_813 Depth=1
	s_delay_alu instid0(SALU_CYCLE_1) | instskip(SKIP_4) | instid1(VALU_DEP_3)
	s_or_b32 exec_lo, exec_lo, s8
	v_lshrrev_b32_e32 v21, 16, v20
	v_mov_b64_e32 v[14:15], 0
	v_mov_b64_e32 v[8:9], 0
	s_mov_b32 s8, exec_lo
	v_and_b32_e32 v24, 0xff, v21
	s_delay_alu instid0(VALU_DEP_1)
	v_cmpx_ne_u16_e32 0, v24
	s_cbranch_execz .LBB206_974
; %bb.967:                              ;   in Loop: Header=BB206_813 Depth=1
	v_mov_b64_e32 v[8:9], 0x80000000
	s_mov_b32 s9, exec_lo
	v_cmpx_ne_u16_e32 0x80, v24
	s_cbranch_execz .LBB206_973
; %bb.968:                              ;   in Loop: Header=BB206_813 Depth=1
	v_mov_b64_e32 v[8:9], 0x7f800001
	v_bfe_u32 v24, v20, 16, 7
	s_mov_b32 s14, exec_lo
	s_delay_alu instid0(VALU_DEP_1)
	v_cmpx_ne_u32_e32 0x7f, v24
	s_cbranch_execz .LBB206_972
; %bb.969:                              ;   in Loop: Header=BB206_813 Depth=1
	v_dual_lshrrev_b32 v8, 3, v24 :: v_dual_bitop2_b32 v118, 7, v21 bitop3:0x40
	s_mov_b32 s15, exec_lo
	v_cmpx_gt_u32_e32 8, v24
; %bb.970:                              ;   in Loop: Header=BB206_813 Depth=1
	s_delay_alu instid0(VALU_DEP_2) | instskip(NEXT) | instid1(VALU_DEP_1)
	v_clz_i32_u32_e32 v8, v118
	v_min_u32_e32 v8, 32, v8
	s_delay_alu instid0(VALU_DEP_1) | instskip(SKIP_1) | instid1(VALU_DEP_2)
	v_subrev_nc_u32_e32 v9, 28, v8
	v_sub_nc_u32_e32 v8, 29, v8
	v_lshlrev_b64_e32 v[24:25], v9, v[118:119]
	s_delay_alu instid0(VALU_DEP_1)
	v_and_b32_e32 v118, 7, v24
; %bb.971:                              ;   in Loop: Header=BB206_813 Depth=1
	s_or_b32 exec_lo, exec_lo, s15
	s_delay_alu instid0(VALU_DEP_1) | instskip(SKIP_1) | instid1(VALU_DEP_2)
	v_dual_lshlrev_b32 v9, 24, v21 :: v_dual_lshlrev_b32 v21, 20, v118
	v_lshl_add_u32 v8, v8, 23, 0x3c000000
	v_and_b32_e32 v9, 0x80000000, v9
	s_delay_alu instid0(VALU_DEP_1) | instskip(NEXT) | instid1(VALU_DEP_1)
	v_or3_b32 v118, v21, v9, v8
	v_mov_b64_e32 v[8:9], v[118:119]
.LBB206_972:                            ;   in Loop: Header=BB206_813 Depth=1
	s_or_b32 exec_lo, exec_lo, s14
.LBB206_973:                            ;   in Loop: Header=BB206_813 Depth=1
	s_delay_alu instid0(SALU_CYCLE_1)
	s_or_b32 exec_lo, exec_lo, s9
.LBB206_974:                            ;   in Loop: Header=BB206_813 Depth=1
	s_delay_alu instid0(SALU_CYCLE_1) | instskip(NEXT) | instid1(SALU_CYCLE_1)
	s_or_b32 exec_lo, exec_lo, s8
	s_mov_b32 s8, exec_lo
	v_cmpx_lt_u32_e32 0xffffff, v20
	s_cbranch_execz .LBB206_982
; %bb.975:                              ;   in Loop: Header=BB206_813 Depth=1
	v_mov_b64_e32 v[14:15], 0x8000000000000000
	v_lshrrev_b32_e32 v21, 24, v20
	s_mov_b32 s9, exec_lo
	s_delay_alu instid0(VALU_DEP_1)
	v_cmpx_ne_u32_e32 0x80, v21
	s_cbranch_execz .LBB206_981
; %bb.976:                              ;   in Loop: Header=BB206_813 Depth=1
	v_mov_b64_e32 v[14:15], 0x7f80000100000000
	v_bfe_u32 v20, v20, 24, 7
	s_mov_b32 s14, exec_lo
	s_delay_alu instid0(VALU_DEP_1)
	v_cmpx_ne_u32_e32 0x7f, v20
	s_cbranch_execz .LBB206_980
; %bb.977:                              ;   in Loop: Header=BB206_813 Depth=1
	v_dual_lshrrev_b32 v14, 3, v20 :: v_dual_bitop2_b32 v118, 7, v21 bitop3:0x40
	s_mov_b32 s15, exec_lo
	v_cmpx_gt_u32_e32 8, v20
; %bb.978:                              ;   in Loop: Header=BB206_813 Depth=1
	s_delay_alu instid0(VALU_DEP_2) | instskip(NEXT) | instid1(VALU_DEP_1)
	v_clz_i32_u32_e32 v14, v118
	v_min_u32_e32 v14, 32, v14
	s_delay_alu instid0(VALU_DEP_1) | instskip(NEXT) | instid1(VALU_DEP_1)
	v_subrev_nc_u32_e32 v15, 28, v14
	v_lshlrev_b64_e32 v[24:25], v15, v[118:119]
	s_delay_alu instid0(VALU_DEP_1)
	v_dual_sub_nc_u32 v14, 29, v14 :: v_dual_bitop2_b32 v118, 7, v24 bitop3:0x40
; %bb.979:                              ;   in Loop: Header=BB206_813 Depth=1
	s_or_b32 exec_lo, exec_lo, s15
	s_delay_alu instid0(VALU_DEP_1) | instskip(NEXT) | instid1(VALU_DEP_2)
	v_dual_lshlrev_b32 v15, 24, v21 :: v_dual_lshlrev_b32 v20, 20, v118
	v_lshl_add_u32 v14, v14, 23, 0x3c000000
	s_delay_alu instid0(VALU_DEP_2) | instskip(NEXT) | instid1(VALU_DEP_1)
	v_and_b32_e32 v15, 0x80000000, v15
	v_or3_b32 v15, v20, v15, v14
	v_mov_b32_e32 v14, v119
.LBB206_980:                            ;   in Loop: Header=BB206_813 Depth=1
	s_or_b32 exec_lo, exec_lo, s14
.LBB206_981:                            ;   in Loop: Header=BB206_813 Depth=1
	s_delay_alu instid0(SALU_CYCLE_1)
	s_or_b32 exec_lo, exec_lo, s9
.LBB206_982:                            ;   in Loop: Header=BB206_813 Depth=1
	s_delay_alu instid0(SALU_CYCLE_1) | instskip(SKIP_4) | instid1(VALU_DEP_3)
	s_or_b32 exec_lo, exec_lo, s8
	v_or_b32_e32 v7, v7, v13
	v_or_b32_e32 v6, v6, v12
	;; [unrolled: 1-line block ×4, first 2 shown]
	v_pk_mul_f32 v[86:87], v[54:55], v[6:7]
	s_delay_alu instid0(VALU_DEP_2)
	v_pk_mul_f32 v[84:85], v[54:55], v[8:9]
	s_and_saveexec_b32 s8, vcc_lo
	s_cbranch_execz .LBB206_984
; %bb.983:                              ;   in Loop: Header=BB206_813 Depth=1
	scratch_load_b64 v[6:7], off, s32 offset:200 ; 8-byte Folded Reload
	s_wait_loadcnt 0x0
	v_cmp_lt_i32_e64 s0, v33, v6
	s_delay_alu instid0(VALU_DEP_1) | instskip(SKIP_1) | instid1(VALU_DEP_1)
	v_cndmask_b32_e64 v86, 0, v86, s0
	v_cmp_lt_i32_e64 s0, v43, v6
	v_cndmask_b32_e64 v87, 0, v87, s0
	v_cmp_lt_i32_e64 s0, v35, v6
	s_delay_alu instid0(VALU_DEP_1) | instskip(SKIP_1) | instid1(VALU_DEP_1)
	v_cndmask_b32_e64 v84, 0, v84, s0
	v_cmp_lt_i32_e64 s0, v34, v6
	v_cndmask_b32_e64 v85, 0, v85, s0
.LBB206_984:                            ;   in Loop: Header=BB206_813 Depth=1
	s_wait_xcnt 0x0
	s_or_b32 exec_lo, exec_lo, s8
	flat_load_b32 v20, v[68:69] offset:640
	v_mov_b64_e32 v[6:7], 0
	v_mov_b64_e32 v[12:13], 0
	s_mov_b32 s8, exec_lo
	s_wait_loadcnt_dscnt 0x0
	v_and_b32_e32 v8, 0xff, v20
	s_wait_xcnt 0x0
	s_delay_alu instid0(VALU_DEP_1)
	v_cmpx_ne_u16_e32 0, v8
	s_cbranch_execz .LBB206_992
; %bb.985:                              ;   in Loop: Header=BB206_813 Depth=1
	v_mov_b64_e32 v[12:13], 0x80000000
	s_mov_b32 s9, exec_lo
	v_cmpx_ne_u16_e32 0x80, v8
	s_cbranch_execz .LBB206_991
; %bb.986:                              ;   in Loop: Header=BB206_813 Depth=1
	v_mov_b64_e32 v[12:13], 0x7f800001
	v_and_b32_e32 v9, 0x7f, v20
	s_mov_b32 s14, exec_lo
	s_delay_alu instid0(VALU_DEP_1)
	v_cmpx_ne_u32_e32 0x7f, v9
	s_cbranch_execz .LBB206_990
; %bb.987:                              ;   in Loop: Header=BB206_813 Depth=1
	v_dual_lshrrev_b32 v8, 3, v9 :: v_dual_bitop2_b32 v118, 7, v20 bitop3:0x40
	s_mov_b32 s15, exec_lo
	v_cmpx_gt_u32_e32 8, v9
; %bb.988:                              ;   in Loop: Header=BB206_813 Depth=1
	s_delay_alu instid0(VALU_DEP_2) | instskip(NEXT) | instid1(VALU_DEP_1)
	v_clz_i32_u32_e32 v8, v118
	v_min_u32_e32 v8, 32, v8
	s_delay_alu instid0(VALU_DEP_1) | instskip(SKIP_1) | instid1(VALU_DEP_2)
	v_subrev_nc_u32_e32 v9, 28, v8
	v_sub_nc_u32_e32 v8, 29, v8
	v_lshlrev_b64_e32 v[12:13], v9, v[118:119]
	s_delay_alu instid0(VALU_DEP_1)
	v_and_b32_e32 v118, 7, v12
; %bb.989:                              ;   in Loop: Header=BB206_813 Depth=1
	s_or_b32 exec_lo, exec_lo, s15
	s_delay_alu instid0(VALU_DEP_1) | instskip(SKIP_1) | instid1(VALU_DEP_2)
	v_dual_lshlrev_b32 v9, 24, v20 :: v_dual_lshlrev_b32 v12, 20, v118
	v_lshl_add_u32 v8, v8, 23, 0x3c000000
	v_and_b32_e32 v9, 0x80000000, v9
	s_delay_alu instid0(VALU_DEP_1) | instskip(NEXT) | instid1(VALU_DEP_1)
	v_or3_b32 v118, v12, v9, v8
	v_mov_b64_e32 v[12:13], v[118:119]
.LBB206_990:                            ;   in Loop: Header=BB206_813 Depth=1
	s_or_b32 exec_lo, exec_lo, s14
.LBB206_991:                            ;   in Loop: Header=BB206_813 Depth=1
	s_delay_alu instid0(SALU_CYCLE_1)
	s_or_b32 exec_lo, exec_lo, s9
.LBB206_992:                            ;   in Loop: Header=BB206_813 Depth=1
	s_delay_alu instid0(SALU_CYCLE_1) | instskip(SKIP_2) | instid1(VALU_DEP_1)
	s_or_b32 exec_lo, exec_lo, s8
	v_lshrrev_b16 v8, 8, v20
	s_mov_b32 s8, exec_lo
	v_cmpx_ne_u16_e32 0, v8
	s_cbranch_execz .LBB206_1000
; %bb.993:                              ;   in Loop: Header=BB206_813 Depth=1
	v_mov_b64_e32 v[6:7], 0x8000000000000000
	s_mov_b32 s9, exec_lo
	v_cmpx_ne_u16_e32 0x80, v8
	s_cbranch_execz .LBB206_999
; %bb.994:                              ;   in Loop: Header=BB206_813 Depth=1
	v_and_b32_e32 v9, 0xffff, v8
	v_mov_b64_e32 v[6:7], 0x7f80000100000000
	s_mov_b32 s14, exec_lo
	s_delay_alu instid0(VALU_DEP_2) | instskip(NEXT) | instid1(VALU_DEP_1)
	v_and_b32_e32 v8, 0x7f, v9
	v_cmpx_ne_u32_e32 0x7f, v8
	s_cbranch_execz .LBB206_998
; %bb.995:                              ;   in Loop: Header=BB206_813 Depth=1
	v_dual_lshrrev_b32 v6, 3, v8 :: v_dual_bitop2_b32 v118, 7, v9 bitop3:0x40
	s_mov_b32 s15, exec_lo
	v_cmpx_gt_u32_e32 8, v8
; %bb.996:                              ;   in Loop: Header=BB206_813 Depth=1
	s_delay_alu instid0(VALU_DEP_2) | instskip(NEXT) | instid1(VALU_DEP_1)
	v_clz_i32_u32_e32 v6, v118
	v_min_u32_e32 v6, 32, v6
	s_delay_alu instid0(VALU_DEP_1) | instskip(NEXT) | instid1(VALU_DEP_1)
	v_subrev_nc_u32_e32 v7, 28, v6
	v_lshlrev_b64_e32 v[8:9], v7, v[118:119]
	s_delay_alu instid0(VALU_DEP_1)
	v_dual_sub_nc_u32 v6, 29, v6 :: v_dual_bitop2_b32 v118, 7, v8 bitop3:0x40
; %bb.997:                              ;   in Loop: Header=BB206_813 Depth=1
	s_or_b32 exec_lo, exec_lo, s15
	s_delay_alu instid0(VALU_DEP_1) | instskip(NEXT) | instid1(VALU_DEP_2)
	v_dual_lshlrev_b32 v7, 16, v20 :: v_dual_lshlrev_b32 v8, 20, v118
	v_lshl_add_u32 v6, v6, 23, 0x3c000000
	s_delay_alu instid0(VALU_DEP_2) | instskip(NEXT) | instid1(VALU_DEP_1)
	v_and_b32_e32 v7, 0x80000000, v7
	v_or3_b32 v7, v8, v7, v6
	v_mov_b32_e32 v6, v119
.LBB206_998:                            ;   in Loop: Header=BB206_813 Depth=1
	s_or_b32 exec_lo, exec_lo, s14
.LBB206_999:                            ;   in Loop: Header=BB206_813 Depth=1
	s_delay_alu instid0(SALU_CYCLE_1)
	s_or_b32 exec_lo, exec_lo, s9
.LBB206_1000:                           ;   in Loop: Header=BB206_813 Depth=1
	s_delay_alu instid0(SALU_CYCLE_1) | instskip(SKIP_4) | instid1(VALU_DEP_3)
	s_or_b32 exec_lo, exec_lo, s8
	v_lshrrev_b32_e32 v21, 16, v20
	v_mov_b64_e32 v[14:15], 0
	v_mov_b64_e32 v[8:9], 0
	s_mov_b32 s8, exec_lo
	v_and_b32_e32 v24, 0xff, v21
	s_delay_alu instid0(VALU_DEP_1)
	v_cmpx_ne_u16_e32 0, v24
	s_cbranch_execz .LBB206_1008
; %bb.1001:                             ;   in Loop: Header=BB206_813 Depth=1
	v_mov_b64_e32 v[8:9], 0x80000000
	s_mov_b32 s9, exec_lo
	v_cmpx_ne_u16_e32 0x80, v24
	s_cbranch_execz .LBB206_1007
; %bb.1002:                             ;   in Loop: Header=BB206_813 Depth=1
	v_mov_b64_e32 v[8:9], 0x7f800001
	v_bfe_u32 v24, v20, 16, 7
	s_mov_b32 s14, exec_lo
	s_delay_alu instid0(VALU_DEP_1)
	v_cmpx_ne_u32_e32 0x7f, v24
	s_cbranch_execz .LBB206_1006
; %bb.1003:                             ;   in Loop: Header=BB206_813 Depth=1
	v_dual_lshrrev_b32 v8, 3, v24 :: v_dual_bitop2_b32 v118, 7, v21 bitop3:0x40
	s_mov_b32 s15, exec_lo
	v_cmpx_gt_u32_e32 8, v24
; %bb.1004:                             ;   in Loop: Header=BB206_813 Depth=1
	s_delay_alu instid0(VALU_DEP_2) | instskip(NEXT) | instid1(VALU_DEP_1)
	v_clz_i32_u32_e32 v8, v118
	v_min_u32_e32 v8, 32, v8
	s_delay_alu instid0(VALU_DEP_1) | instskip(SKIP_1) | instid1(VALU_DEP_2)
	v_subrev_nc_u32_e32 v9, 28, v8
	v_sub_nc_u32_e32 v8, 29, v8
	v_lshlrev_b64_e32 v[24:25], v9, v[118:119]
	s_delay_alu instid0(VALU_DEP_1)
	v_and_b32_e32 v118, 7, v24
; %bb.1005:                             ;   in Loop: Header=BB206_813 Depth=1
	s_or_b32 exec_lo, exec_lo, s15
	s_delay_alu instid0(VALU_DEP_1) | instskip(SKIP_1) | instid1(VALU_DEP_2)
	v_dual_lshlrev_b32 v9, 24, v21 :: v_dual_lshlrev_b32 v21, 20, v118
	v_lshl_add_u32 v8, v8, 23, 0x3c000000
	v_and_b32_e32 v9, 0x80000000, v9
	s_delay_alu instid0(VALU_DEP_1) | instskip(NEXT) | instid1(VALU_DEP_1)
	v_or3_b32 v118, v21, v9, v8
	v_mov_b64_e32 v[8:9], v[118:119]
.LBB206_1006:                           ;   in Loop: Header=BB206_813 Depth=1
	s_or_b32 exec_lo, exec_lo, s14
.LBB206_1007:                           ;   in Loop: Header=BB206_813 Depth=1
	s_delay_alu instid0(SALU_CYCLE_1)
	s_or_b32 exec_lo, exec_lo, s9
.LBB206_1008:                           ;   in Loop: Header=BB206_813 Depth=1
	s_delay_alu instid0(SALU_CYCLE_1) | instskip(NEXT) | instid1(SALU_CYCLE_1)
	s_or_b32 exec_lo, exec_lo, s8
	s_mov_b32 s8, exec_lo
	v_cmpx_lt_u32_e32 0xffffff, v20
	s_cbranch_execz .LBB206_1016
; %bb.1009:                             ;   in Loop: Header=BB206_813 Depth=1
	v_mov_b64_e32 v[14:15], 0x8000000000000000
	v_lshrrev_b32_e32 v21, 24, v20
	s_mov_b32 s9, exec_lo
	s_delay_alu instid0(VALU_DEP_1)
	v_cmpx_ne_u32_e32 0x80, v21
	s_cbranch_execz .LBB206_1015
; %bb.1010:                             ;   in Loop: Header=BB206_813 Depth=1
	v_mov_b64_e32 v[14:15], 0x7f80000100000000
	v_bfe_u32 v20, v20, 24, 7
	s_mov_b32 s14, exec_lo
	s_delay_alu instid0(VALU_DEP_1)
	v_cmpx_ne_u32_e32 0x7f, v20
	s_cbranch_execz .LBB206_1014
; %bb.1011:                             ;   in Loop: Header=BB206_813 Depth=1
	v_dual_lshrrev_b32 v14, 3, v20 :: v_dual_bitop2_b32 v118, 7, v21 bitop3:0x40
	s_mov_b32 s15, exec_lo
	v_cmpx_gt_u32_e32 8, v20
; %bb.1012:                             ;   in Loop: Header=BB206_813 Depth=1
	s_delay_alu instid0(VALU_DEP_2) | instskip(NEXT) | instid1(VALU_DEP_1)
	v_clz_i32_u32_e32 v14, v118
	v_min_u32_e32 v14, 32, v14
	s_delay_alu instid0(VALU_DEP_1) | instskip(NEXT) | instid1(VALU_DEP_1)
	v_subrev_nc_u32_e32 v15, 28, v14
	v_lshlrev_b64_e32 v[24:25], v15, v[118:119]
	s_delay_alu instid0(VALU_DEP_1)
	v_dual_sub_nc_u32 v14, 29, v14 :: v_dual_bitop2_b32 v118, 7, v24 bitop3:0x40
; %bb.1013:                             ;   in Loop: Header=BB206_813 Depth=1
	s_or_b32 exec_lo, exec_lo, s15
	s_delay_alu instid0(VALU_DEP_1) | instskip(NEXT) | instid1(VALU_DEP_2)
	v_dual_lshlrev_b32 v15, 24, v21 :: v_dual_lshlrev_b32 v20, 20, v118
	v_lshl_add_u32 v14, v14, 23, 0x3c000000
	s_delay_alu instid0(VALU_DEP_2) | instskip(NEXT) | instid1(VALU_DEP_1)
	v_and_b32_e32 v15, 0x80000000, v15
	v_or3_b32 v15, v20, v15, v14
	v_mov_b32_e32 v14, v119
.LBB206_1014:                           ;   in Loop: Header=BB206_813 Depth=1
	s_or_b32 exec_lo, exec_lo, s14
.LBB206_1015:                           ;   in Loop: Header=BB206_813 Depth=1
	s_delay_alu instid0(SALU_CYCLE_1)
	s_or_b32 exec_lo, exec_lo, s9
.LBB206_1016:                           ;   in Loop: Header=BB206_813 Depth=1
	s_delay_alu instid0(SALU_CYCLE_1) | instskip(SKIP_4) | instid1(VALU_DEP_3)
	s_or_b32 exec_lo, exec_lo, s8
	v_or_b32_e32 v7, v7, v13
	v_or_b32_e32 v6, v6, v12
	;; [unrolled: 1-line block ×4, first 2 shown]
	v_pk_mul_f32 v[98:99], v[54:55], v[6:7]
	s_delay_alu instid0(VALU_DEP_2)
	v_pk_mul_f32 v[96:97], v[54:55], v[8:9]
	s_and_saveexec_b32 s8, vcc_lo
	s_cbranch_execz .LBB206_1018
; %bb.1017:                             ;   in Loop: Header=BB206_813 Depth=1
	scratch_load_b64 v[6:7], off, s32 offset:200 ; 8-byte Folded Reload
	s_wait_loadcnt 0x0
	v_cmp_lt_i32_e64 s0, v33, v6
	s_delay_alu instid0(VALU_DEP_1) | instskip(SKIP_1) | instid1(VALU_DEP_1)
	v_cndmask_b32_e64 v98, 0, v98, s0
	v_cmp_lt_i32_e64 s0, v43, v6
	v_cndmask_b32_e64 v99, 0, v99, s0
	v_cmp_lt_i32_e64 s0, v35, v6
	s_delay_alu instid0(VALU_DEP_1) | instskip(SKIP_1) | instid1(VALU_DEP_1)
	v_cndmask_b32_e64 v96, 0, v96, s0
	v_cmp_lt_i32_e64 s0, v34, v6
	v_cndmask_b32_e64 v97, 0, v97, s0
.LBB206_1018:                           ;   in Loop: Header=BB206_813 Depth=1
	s_wait_xcnt 0x0
	s_or_b32 exec_lo, exec_lo, s8
	flat_load_b32 v20, v[68:69] offset:768
	v_mov_b64_e32 v[6:7], 0
	v_mov_b64_e32 v[12:13], 0
	s_mov_b32 s8, exec_lo
	s_wait_loadcnt_dscnt 0x0
	v_and_b32_e32 v8, 0xff, v20
	s_wait_xcnt 0x0
	s_delay_alu instid0(VALU_DEP_1)
	v_cmpx_ne_u16_e32 0, v8
	s_cbranch_execz .LBB206_1026
; %bb.1019:                             ;   in Loop: Header=BB206_813 Depth=1
	v_mov_b64_e32 v[12:13], 0x80000000
	s_mov_b32 s9, exec_lo
	v_cmpx_ne_u16_e32 0x80, v8
	s_cbranch_execz .LBB206_1025
; %bb.1020:                             ;   in Loop: Header=BB206_813 Depth=1
	v_mov_b64_e32 v[12:13], 0x7f800001
	v_and_b32_e32 v9, 0x7f, v20
	s_mov_b32 s14, exec_lo
	s_delay_alu instid0(VALU_DEP_1)
	v_cmpx_ne_u32_e32 0x7f, v9
	s_cbranch_execz .LBB206_1024
; %bb.1021:                             ;   in Loop: Header=BB206_813 Depth=1
	v_dual_lshrrev_b32 v8, 3, v9 :: v_dual_bitop2_b32 v118, 7, v20 bitop3:0x40
	s_mov_b32 s15, exec_lo
	v_cmpx_gt_u32_e32 8, v9
; %bb.1022:                             ;   in Loop: Header=BB206_813 Depth=1
	s_delay_alu instid0(VALU_DEP_2) | instskip(NEXT) | instid1(VALU_DEP_1)
	v_clz_i32_u32_e32 v8, v118
	v_min_u32_e32 v8, 32, v8
	s_delay_alu instid0(VALU_DEP_1) | instskip(SKIP_1) | instid1(VALU_DEP_2)
	v_subrev_nc_u32_e32 v9, 28, v8
	v_sub_nc_u32_e32 v8, 29, v8
	v_lshlrev_b64_e32 v[12:13], v9, v[118:119]
	s_delay_alu instid0(VALU_DEP_1)
	v_and_b32_e32 v118, 7, v12
; %bb.1023:                             ;   in Loop: Header=BB206_813 Depth=1
	s_or_b32 exec_lo, exec_lo, s15
	s_delay_alu instid0(VALU_DEP_1) | instskip(SKIP_1) | instid1(VALU_DEP_2)
	v_dual_lshlrev_b32 v9, 24, v20 :: v_dual_lshlrev_b32 v12, 20, v118
	v_lshl_add_u32 v8, v8, 23, 0x3c000000
	v_and_b32_e32 v9, 0x80000000, v9
	s_delay_alu instid0(VALU_DEP_1) | instskip(NEXT) | instid1(VALU_DEP_1)
	v_or3_b32 v118, v12, v9, v8
	v_mov_b64_e32 v[12:13], v[118:119]
.LBB206_1024:                           ;   in Loop: Header=BB206_813 Depth=1
	s_or_b32 exec_lo, exec_lo, s14
.LBB206_1025:                           ;   in Loop: Header=BB206_813 Depth=1
	s_delay_alu instid0(SALU_CYCLE_1)
	s_or_b32 exec_lo, exec_lo, s9
.LBB206_1026:                           ;   in Loop: Header=BB206_813 Depth=1
	s_delay_alu instid0(SALU_CYCLE_1) | instskip(SKIP_2) | instid1(VALU_DEP_1)
	s_or_b32 exec_lo, exec_lo, s8
	v_lshrrev_b16 v8, 8, v20
	s_mov_b32 s8, exec_lo
	v_cmpx_ne_u16_e32 0, v8
	s_cbranch_execz .LBB206_1034
; %bb.1027:                             ;   in Loop: Header=BB206_813 Depth=1
	v_mov_b64_e32 v[6:7], 0x8000000000000000
	s_mov_b32 s9, exec_lo
	v_cmpx_ne_u16_e32 0x80, v8
	s_cbranch_execz .LBB206_1033
; %bb.1028:                             ;   in Loop: Header=BB206_813 Depth=1
	v_and_b32_e32 v9, 0xffff, v8
	v_mov_b64_e32 v[6:7], 0x7f80000100000000
	s_mov_b32 s14, exec_lo
	s_delay_alu instid0(VALU_DEP_2) | instskip(NEXT) | instid1(VALU_DEP_1)
	v_and_b32_e32 v8, 0x7f, v9
	v_cmpx_ne_u32_e32 0x7f, v8
	s_cbranch_execz .LBB206_1032
; %bb.1029:                             ;   in Loop: Header=BB206_813 Depth=1
	v_dual_lshrrev_b32 v6, 3, v8 :: v_dual_bitop2_b32 v118, 7, v9 bitop3:0x40
	s_mov_b32 s15, exec_lo
	v_cmpx_gt_u32_e32 8, v8
; %bb.1030:                             ;   in Loop: Header=BB206_813 Depth=1
	s_delay_alu instid0(VALU_DEP_2) | instskip(NEXT) | instid1(VALU_DEP_1)
	v_clz_i32_u32_e32 v6, v118
	v_min_u32_e32 v6, 32, v6
	s_delay_alu instid0(VALU_DEP_1) | instskip(NEXT) | instid1(VALU_DEP_1)
	v_subrev_nc_u32_e32 v7, 28, v6
	v_lshlrev_b64_e32 v[8:9], v7, v[118:119]
	s_delay_alu instid0(VALU_DEP_1)
	v_dual_sub_nc_u32 v6, 29, v6 :: v_dual_bitop2_b32 v118, 7, v8 bitop3:0x40
; %bb.1031:                             ;   in Loop: Header=BB206_813 Depth=1
	s_or_b32 exec_lo, exec_lo, s15
	s_delay_alu instid0(VALU_DEP_1) | instskip(NEXT) | instid1(VALU_DEP_2)
	v_dual_lshlrev_b32 v7, 16, v20 :: v_dual_lshlrev_b32 v8, 20, v118
	v_lshl_add_u32 v6, v6, 23, 0x3c000000
	s_delay_alu instid0(VALU_DEP_2) | instskip(NEXT) | instid1(VALU_DEP_1)
	v_and_b32_e32 v7, 0x80000000, v7
	v_or3_b32 v7, v8, v7, v6
	v_mov_b32_e32 v6, v119
.LBB206_1032:                           ;   in Loop: Header=BB206_813 Depth=1
	s_or_b32 exec_lo, exec_lo, s14
.LBB206_1033:                           ;   in Loop: Header=BB206_813 Depth=1
	s_delay_alu instid0(SALU_CYCLE_1)
	s_or_b32 exec_lo, exec_lo, s9
.LBB206_1034:                           ;   in Loop: Header=BB206_813 Depth=1
	s_delay_alu instid0(SALU_CYCLE_1) | instskip(SKIP_4) | instid1(VALU_DEP_3)
	s_or_b32 exec_lo, exec_lo, s8
	v_lshrrev_b32_e32 v21, 16, v20
	v_mov_b64_e32 v[14:15], 0
	v_mov_b64_e32 v[8:9], 0
	s_mov_b32 s8, exec_lo
	v_and_b32_e32 v24, 0xff, v21
	s_delay_alu instid0(VALU_DEP_1)
	v_cmpx_ne_u16_e32 0, v24
	s_cbranch_execz .LBB206_1042
; %bb.1035:                             ;   in Loop: Header=BB206_813 Depth=1
	v_mov_b64_e32 v[8:9], 0x80000000
	s_mov_b32 s9, exec_lo
	v_cmpx_ne_u16_e32 0x80, v24
	s_cbranch_execz .LBB206_1041
; %bb.1036:                             ;   in Loop: Header=BB206_813 Depth=1
	v_mov_b64_e32 v[8:9], 0x7f800001
	v_bfe_u32 v24, v20, 16, 7
	s_mov_b32 s14, exec_lo
	s_delay_alu instid0(VALU_DEP_1)
	v_cmpx_ne_u32_e32 0x7f, v24
	s_cbranch_execz .LBB206_1040
; %bb.1037:                             ;   in Loop: Header=BB206_813 Depth=1
	v_dual_lshrrev_b32 v8, 3, v24 :: v_dual_bitop2_b32 v118, 7, v21 bitop3:0x40
	s_mov_b32 s15, exec_lo
	v_cmpx_gt_u32_e32 8, v24
; %bb.1038:                             ;   in Loop: Header=BB206_813 Depth=1
	s_delay_alu instid0(VALU_DEP_2) | instskip(NEXT) | instid1(VALU_DEP_1)
	v_clz_i32_u32_e32 v8, v118
	v_min_u32_e32 v8, 32, v8
	s_delay_alu instid0(VALU_DEP_1) | instskip(SKIP_1) | instid1(VALU_DEP_2)
	v_subrev_nc_u32_e32 v9, 28, v8
	v_sub_nc_u32_e32 v8, 29, v8
	v_lshlrev_b64_e32 v[24:25], v9, v[118:119]
	s_delay_alu instid0(VALU_DEP_1)
	v_and_b32_e32 v118, 7, v24
; %bb.1039:                             ;   in Loop: Header=BB206_813 Depth=1
	s_or_b32 exec_lo, exec_lo, s15
	s_delay_alu instid0(VALU_DEP_1) | instskip(SKIP_1) | instid1(VALU_DEP_2)
	v_dual_lshlrev_b32 v9, 24, v21 :: v_dual_lshlrev_b32 v21, 20, v118
	v_lshl_add_u32 v8, v8, 23, 0x3c000000
	v_and_b32_e32 v9, 0x80000000, v9
	s_delay_alu instid0(VALU_DEP_1) | instskip(NEXT) | instid1(VALU_DEP_1)
	v_or3_b32 v118, v21, v9, v8
	v_mov_b64_e32 v[8:9], v[118:119]
.LBB206_1040:                           ;   in Loop: Header=BB206_813 Depth=1
	s_or_b32 exec_lo, exec_lo, s14
.LBB206_1041:                           ;   in Loop: Header=BB206_813 Depth=1
	s_delay_alu instid0(SALU_CYCLE_1)
	s_or_b32 exec_lo, exec_lo, s9
.LBB206_1042:                           ;   in Loop: Header=BB206_813 Depth=1
	s_delay_alu instid0(SALU_CYCLE_1) | instskip(NEXT) | instid1(SALU_CYCLE_1)
	s_or_b32 exec_lo, exec_lo, s8
	s_mov_b32 s8, exec_lo
	v_cmpx_lt_u32_e32 0xffffff, v20
	s_cbranch_execz .LBB206_1050
; %bb.1043:                             ;   in Loop: Header=BB206_813 Depth=1
	v_mov_b64_e32 v[14:15], 0x8000000000000000
	v_lshrrev_b32_e32 v21, 24, v20
	s_mov_b32 s9, exec_lo
	s_delay_alu instid0(VALU_DEP_1)
	v_cmpx_ne_u32_e32 0x80, v21
	s_cbranch_execz .LBB206_1049
; %bb.1044:                             ;   in Loop: Header=BB206_813 Depth=1
	v_mov_b64_e32 v[14:15], 0x7f80000100000000
	v_bfe_u32 v20, v20, 24, 7
	s_mov_b32 s14, exec_lo
	s_delay_alu instid0(VALU_DEP_1)
	v_cmpx_ne_u32_e32 0x7f, v20
	s_cbranch_execz .LBB206_1048
; %bb.1045:                             ;   in Loop: Header=BB206_813 Depth=1
	v_dual_lshrrev_b32 v14, 3, v20 :: v_dual_bitop2_b32 v118, 7, v21 bitop3:0x40
	s_mov_b32 s15, exec_lo
	v_cmpx_gt_u32_e32 8, v20
; %bb.1046:                             ;   in Loop: Header=BB206_813 Depth=1
	s_delay_alu instid0(VALU_DEP_2) | instskip(NEXT) | instid1(VALU_DEP_1)
	v_clz_i32_u32_e32 v14, v118
	v_min_u32_e32 v14, 32, v14
	s_delay_alu instid0(VALU_DEP_1) | instskip(NEXT) | instid1(VALU_DEP_1)
	v_subrev_nc_u32_e32 v15, 28, v14
	v_lshlrev_b64_e32 v[24:25], v15, v[118:119]
	s_delay_alu instid0(VALU_DEP_1)
	v_dual_sub_nc_u32 v14, 29, v14 :: v_dual_bitop2_b32 v118, 7, v24 bitop3:0x40
; %bb.1047:                             ;   in Loop: Header=BB206_813 Depth=1
	s_or_b32 exec_lo, exec_lo, s15
	s_delay_alu instid0(VALU_DEP_1) | instskip(NEXT) | instid1(VALU_DEP_2)
	v_dual_lshlrev_b32 v15, 24, v21 :: v_dual_lshlrev_b32 v20, 20, v118
	v_lshl_add_u32 v14, v14, 23, 0x3c000000
	s_delay_alu instid0(VALU_DEP_2) | instskip(NEXT) | instid1(VALU_DEP_1)
	v_and_b32_e32 v15, 0x80000000, v15
	v_or3_b32 v15, v20, v15, v14
	v_mov_b32_e32 v14, v119
.LBB206_1048:                           ;   in Loop: Header=BB206_813 Depth=1
	s_or_b32 exec_lo, exec_lo, s14
.LBB206_1049:                           ;   in Loop: Header=BB206_813 Depth=1
	s_delay_alu instid0(SALU_CYCLE_1)
	s_or_b32 exec_lo, exec_lo, s9
.LBB206_1050:                           ;   in Loop: Header=BB206_813 Depth=1
	s_delay_alu instid0(SALU_CYCLE_1) | instskip(SKIP_4) | instid1(VALU_DEP_3)
	s_or_b32 exec_lo, exec_lo, s8
	v_or_b32_e32 v7, v7, v13
	v_or_b32_e32 v6, v6, v12
	;; [unrolled: 1-line block ×4, first 2 shown]
	v_pk_mul_f32 v[102:103], v[54:55], v[6:7]
	s_delay_alu instid0(VALU_DEP_2)
	v_pk_mul_f32 v[100:101], v[54:55], v[8:9]
	s_and_saveexec_b32 s8, vcc_lo
	s_cbranch_execz .LBB206_1052
; %bb.1051:                             ;   in Loop: Header=BB206_813 Depth=1
	scratch_load_b64 v[6:7], off, s32 offset:200 ; 8-byte Folded Reload
	s_wait_loadcnt 0x0
	v_cmp_lt_i32_e64 s0, v33, v6
	s_delay_alu instid0(VALU_DEP_1) | instskip(SKIP_1) | instid1(VALU_DEP_1)
	v_cndmask_b32_e64 v102, 0, v102, s0
	v_cmp_lt_i32_e64 s0, v43, v6
	v_cndmask_b32_e64 v103, 0, v103, s0
	v_cmp_lt_i32_e64 s0, v35, v6
	s_delay_alu instid0(VALU_DEP_1) | instskip(SKIP_1) | instid1(VALU_DEP_1)
	v_cndmask_b32_e64 v100, 0, v100, s0
	v_cmp_lt_i32_e64 s0, v34, v6
	v_cndmask_b32_e64 v101, 0, v101, s0
.LBB206_1052:                           ;   in Loop: Header=BB206_813 Depth=1
	s_wait_xcnt 0x0
	s_or_b32 exec_lo, exec_lo, s8
	flat_load_b32 v20, v[68:69] offset:896
	v_mov_b64_e32 v[6:7], 0
	v_mov_b64_e32 v[12:13], 0
	s_mov_b32 s8, exec_lo
	s_wait_loadcnt_dscnt 0x0
	v_and_b32_e32 v8, 0xff, v20
	s_wait_xcnt 0x0
	s_delay_alu instid0(VALU_DEP_1)
	v_cmpx_ne_u16_e32 0, v8
	s_cbranch_execz .LBB206_1060
; %bb.1053:                             ;   in Loop: Header=BB206_813 Depth=1
	v_mov_b64_e32 v[12:13], 0x80000000
	s_mov_b32 s9, exec_lo
	v_cmpx_ne_u16_e32 0x80, v8
	s_cbranch_execz .LBB206_1059
; %bb.1054:                             ;   in Loop: Header=BB206_813 Depth=1
	v_mov_b64_e32 v[12:13], 0x7f800001
	v_and_b32_e32 v9, 0x7f, v20
	s_mov_b32 s14, exec_lo
	s_delay_alu instid0(VALU_DEP_1)
	v_cmpx_ne_u32_e32 0x7f, v9
	s_cbranch_execz .LBB206_1058
; %bb.1055:                             ;   in Loop: Header=BB206_813 Depth=1
	v_dual_lshrrev_b32 v8, 3, v9 :: v_dual_bitop2_b32 v118, 7, v20 bitop3:0x40
	s_mov_b32 s15, exec_lo
	v_cmpx_gt_u32_e32 8, v9
; %bb.1056:                             ;   in Loop: Header=BB206_813 Depth=1
	s_delay_alu instid0(VALU_DEP_2) | instskip(NEXT) | instid1(VALU_DEP_1)
	v_clz_i32_u32_e32 v8, v118
	v_min_u32_e32 v8, 32, v8
	s_delay_alu instid0(VALU_DEP_1) | instskip(SKIP_1) | instid1(VALU_DEP_2)
	v_subrev_nc_u32_e32 v9, 28, v8
	v_sub_nc_u32_e32 v8, 29, v8
	v_lshlrev_b64_e32 v[12:13], v9, v[118:119]
	s_delay_alu instid0(VALU_DEP_1)
	v_and_b32_e32 v118, 7, v12
; %bb.1057:                             ;   in Loop: Header=BB206_813 Depth=1
	s_or_b32 exec_lo, exec_lo, s15
	s_delay_alu instid0(VALU_DEP_1) | instskip(SKIP_1) | instid1(VALU_DEP_2)
	v_dual_lshlrev_b32 v9, 24, v20 :: v_dual_lshlrev_b32 v12, 20, v118
	v_lshl_add_u32 v8, v8, 23, 0x3c000000
	v_and_b32_e32 v9, 0x80000000, v9
	s_delay_alu instid0(VALU_DEP_1) | instskip(NEXT) | instid1(VALU_DEP_1)
	v_or3_b32 v118, v12, v9, v8
	v_mov_b64_e32 v[12:13], v[118:119]
.LBB206_1058:                           ;   in Loop: Header=BB206_813 Depth=1
	s_or_b32 exec_lo, exec_lo, s14
.LBB206_1059:                           ;   in Loop: Header=BB206_813 Depth=1
	s_delay_alu instid0(SALU_CYCLE_1)
	s_or_b32 exec_lo, exec_lo, s9
.LBB206_1060:                           ;   in Loop: Header=BB206_813 Depth=1
	s_delay_alu instid0(SALU_CYCLE_1) | instskip(SKIP_2) | instid1(VALU_DEP_1)
	s_or_b32 exec_lo, exec_lo, s8
	v_lshrrev_b16 v8, 8, v20
	s_mov_b32 s8, exec_lo
	v_cmpx_ne_u16_e32 0, v8
	s_cbranch_execz .LBB206_1068
; %bb.1061:                             ;   in Loop: Header=BB206_813 Depth=1
	v_mov_b64_e32 v[6:7], 0x8000000000000000
	s_mov_b32 s9, exec_lo
	v_cmpx_ne_u16_e32 0x80, v8
	s_cbranch_execz .LBB206_1067
; %bb.1062:                             ;   in Loop: Header=BB206_813 Depth=1
	v_and_b32_e32 v9, 0xffff, v8
	v_mov_b64_e32 v[6:7], 0x7f80000100000000
	s_mov_b32 s14, exec_lo
	s_delay_alu instid0(VALU_DEP_2) | instskip(NEXT) | instid1(VALU_DEP_1)
	v_and_b32_e32 v8, 0x7f, v9
	v_cmpx_ne_u32_e32 0x7f, v8
	s_cbranch_execz .LBB206_1066
; %bb.1063:                             ;   in Loop: Header=BB206_813 Depth=1
	v_dual_lshrrev_b32 v6, 3, v8 :: v_dual_bitop2_b32 v118, 7, v9 bitop3:0x40
	s_mov_b32 s15, exec_lo
	v_cmpx_gt_u32_e32 8, v8
; %bb.1064:                             ;   in Loop: Header=BB206_813 Depth=1
	s_delay_alu instid0(VALU_DEP_2) | instskip(NEXT) | instid1(VALU_DEP_1)
	v_clz_i32_u32_e32 v6, v118
	v_min_u32_e32 v6, 32, v6
	s_delay_alu instid0(VALU_DEP_1) | instskip(NEXT) | instid1(VALU_DEP_1)
	v_subrev_nc_u32_e32 v7, 28, v6
	v_lshlrev_b64_e32 v[8:9], v7, v[118:119]
	s_delay_alu instid0(VALU_DEP_1)
	v_dual_sub_nc_u32 v6, 29, v6 :: v_dual_bitop2_b32 v118, 7, v8 bitop3:0x40
; %bb.1065:                             ;   in Loop: Header=BB206_813 Depth=1
	s_or_b32 exec_lo, exec_lo, s15
	s_delay_alu instid0(VALU_DEP_1) | instskip(NEXT) | instid1(VALU_DEP_2)
	v_dual_lshlrev_b32 v7, 16, v20 :: v_dual_lshlrev_b32 v8, 20, v118
	v_lshl_add_u32 v6, v6, 23, 0x3c000000
	s_delay_alu instid0(VALU_DEP_2) | instskip(NEXT) | instid1(VALU_DEP_1)
	v_and_b32_e32 v7, 0x80000000, v7
	v_or3_b32 v7, v8, v7, v6
	v_mov_b32_e32 v6, v119
.LBB206_1066:                           ;   in Loop: Header=BB206_813 Depth=1
	s_or_b32 exec_lo, exec_lo, s14
.LBB206_1067:                           ;   in Loop: Header=BB206_813 Depth=1
	s_delay_alu instid0(SALU_CYCLE_1)
	s_or_b32 exec_lo, exec_lo, s9
.LBB206_1068:                           ;   in Loop: Header=BB206_813 Depth=1
	s_delay_alu instid0(SALU_CYCLE_1) | instskip(SKIP_4) | instid1(VALU_DEP_3)
	s_or_b32 exec_lo, exec_lo, s8
	v_lshrrev_b32_e32 v21, 16, v20
	v_mov_b64_e32 v[14:15], 0
	v_mov_b64_e32 v[8:9], 0
	s_mov_b32 s8, exec_lo
	v_and_b32_e32 v24, 0xff, v21
	s_delay_alu instid0(VALU_DEP_1)
	v_cmpx_ne_u16_e32 0, v24
	s_cbranch_execz .LBB206_1076
; %bb.1069:                             ;   in Loop: Header=BB206_813 Depth=1
	v_mov_b64_e32 v[8:9], 0x80000000
	s_mov_b32 s9, exec_lo
	v_cmpx_ne_u16_e32 0x80, v24
	s_cbranch_execz .LBB206_1075
; %bb.1070:                             ;   in Loop: Header=BB206_813 Depth=1
	v_mov_b64_e32 v[8:9], 0x7f800001
	v_bfe_u32 v24, v20, 16, 7
	s_mov_b32 s14, exec_lo
	s_delay_alu instid0(VALU_DEP_1)
	v_cmpx_ne_u32_e32 0x7f, v24
	s_cbranch_execz .LBB206_1074
; %bb.1071:                             ;   in Loop: Header=BB206_813 Depth=1
	v_dual_lshrrev_b32 v8, 3, v24 :: v_dual_bitop2_b32 v118, 7, v21 bitop3:0x40
	s_mov_b32 s15, exec_lo
	v_cmpx_gt_u32_e32 8, v24
; %bb.1072:                             ;   in Loop: Header=BB206_813 Depth=1
	s_delay_alu instid0(VALU_DEP_2) | instskip(NEXT) | instid1(VALU_DEP_1)
	v_clz_i32_u32_e32 v8, v118
	v_min_u32_e32 v8, 32, v8
	s_delay_alu instid0(VALU_DEP_1) | instskip(SKIP_1) | instid1(VALU_DEP_2)
	v_subrev_nc_u32_e32 v9, 28, v8
	v_sub_nc_u32_e32 v8, 29, v8
	v_lshlrev_b64_e32 v[24:25], v9, v[118:119]
	s_delay_alu instid0(VALU_DEP_1)
	v_and_b32_e32 v118, 7, v24
; %bb.1073:                             ;   in Loop: Header=BB206_813 Depth=1
	s_or_b32 exec_lo, exec_lo, s15
	s_delay_alu instid0(VALU_DEP_1) | instskip(SKIP_1) | instid1(VALU_DEP_2)
	v_dual_lshlrev_b32 v9, 24, v21 :: v_dual_lshlrev_b32 v21, 20, v118
	v_lshl_add_u32 v8, v8, 23, 0x3c000000
	v_and_b32_e32 v9, 0x80000000, v9
	s_delay_alu instid0(VALU_DEP_1) | instskip(NEXT) | instid1(VALU_DEP_1)
	v_or3_b32 v118, v21, v9, v8
	v_mov_b64_e32 v[8:9], v[118:119]
.LBB206_1074:                           ;   in Loop: Header=BB206_813 Depth=1
	s_or_b32 exec_lo, exec_lo, s14
.LBB206_1075:                           ;   in Loop: Header=BB206_813 Depth=1
	s_delay_alu instid0(SALU_CYCLE_1)
	s_or_b32 exec_lo, exec_lo, s9
.LBB206_1076:                           ;   in Loop: Header=BB206_813 Depth=1
	s_delay_alu instid0(SALU_CYCLE_1) | instskip(NEXT) | instid1(SALU_CYCLE_1)
	s_or_b32 exec_lo, exec_lo, s8
	s_mov_b32 s8, exec_lo
	v_cmpx_lt_u32_e32 0xffffff, v20
	s_cbranch_execz .LBB206_1084
; %bb.1077:                             ;   in Loop: Header=BB206_813 Depth=1
	v_mov_b64_e32 v[14:15], 0x8000000000000000
	v_lshrrev_b32_e32 v21, 24, v20
	s_mov_b32 s9, exec_lo
	s_delay_alu instid0(VALU_DEP_1)
	v_cmpx_ne_u32_e32 0x80, v21
	s_cbranch_execz .LBB206_1083
; %bb.1078:                             ;   in Loop: Header=BB206_813 Depth=1
	v_mov_b64_e32 v[14:15], 0x7f80000100000000
	v_bfe_u32 v20, v20, 24, 7
	s_mov_b32 s14, exec_lo
	s_delay_alu instid0(VALU_DEP_1)
	v_cmpx_ne_u32_e32 0x7f, v20
	s_cbranch_execz .LBB206_1082
; %bb.1079:                             ;   in Loop: Header=BB206_813 Depth=1
	v_dual_lshrrev_b32 v14, 3, v20 :: v_dual_bitop2_b32 v118, 7, v21 bitop3:0x40
	s_mov_b32 s15, exec_lo
	v_cmpx_gt_u32_e32 8, v20
; %bb.1080:                             ;   in Loop: Header=BB206_813 Depth=1
	s_delay_alu instid0(VALU_DEP_2) | instskip(NEXT) | instid1(VALU_DEP_1)
	v_clz_i32_u32_e32 v14, v118
	v_min_u32_e32 v14, 32, v14
	s_delay_alu instid0(VALU_DEP_1) | instskip(NEXT) | instid1(VALU_DEP_1)
	v_subrev_nc_u32_e32 v15, 28, v14
	v_lshlrev_b64_e32 v[24:25], v15, v[118:119]
	s_delay_alu instid0(VALU_DEP_1)
	v_dual_sub_nc_u32 v14, 29, v14 :: v_dual_bitop2_b32 v118, 7, v24 bitop3:0x40
; %bb.1081:                             ;   in Loop: Header=BB206_813 Depth=1
	s_or_b32 exec_lo, exec_lo, s15
	s_delay_alu instid0(VALU_DEP_1) | instskip(NEXT) | instid1(VALU_DEP_2)
	v_dual_lshlrev_b32 v15, 24, v21 :: v_dual_lshlrev_b32 v20, 20, v118
	v_lshl_add_u32 v14, v14, 23, 0x3c000000
	s_delay_alu instid0(VALU_DEP_2) | instskip(NEXT) | instid1(VALU_DEP_1)
	v_and_b32_e32 v15, 0x80000000, v15
	v_or3_b32 v15, v20, v15, v14
	v_mov_b32_e32 v14, v119
.LBB206_1082:                           ;   in Loop: Header=BB206_813 Depth=1
	s_or_b32 exec_lo, exec_lo, s14
.LBB206_1083:                           ;   in Loop: Header=BB206_813 Depth=1
	s_delay_alu instid0(SALU_CYCLE_1)
	s_or_b32 exec_lo, exec_lo, s9
.LBB206_1084:                           ;   in Loop: Header=BB206_813 Depth=1
	s_delay_alu instid0(SALU_CYCLE_1) | instskip(SKIP_4) | instid1(VALU_DEP_3)
	s_or_b32 exec_lo, exec_lo, s8
	v_or_b32_e32 v7, v7, v13
	v_or_b32_e32 v6, v6, v12
	;; [unrolled: 1-line block ×4, first 2 shown]
	v_pk_mul_f32 v[114:115], v[54:55], v[6:7]
	s_delay_alu instid0(VALU_DEP_2)
	v_pk_mul_f32 v[112:113], v[54:55], v[8:9]
	s_and_saveexec_b32 s8, vcc_lo
	s_cbranch_execz .LBB206_1086
; %bb.1085:                             ;   in Loop: Header=BB206_813 Depth=1
	scratch_load_b64 v[6:7], off, s32 offset:200 ; 8-byte Folded Reload
	s_wait_loadcnt 0x0
	v_cmp_lt_i32_e64 s0, v33, v6
	s_delay_alu instid0(VALU_DEP_1) | instskip(SKIP_1) | instid1(VALU_DEP_1)
	v_cndmask_b32_e64 v114, 0, v114, s0
	v_cmp_lt_i32_e64 s0, v43, v6
	v_cndmask_b32_e64 v115, 0, v115, s0
	v_cmp_lt_i32_e64 s0, v35, v6
	s_delay_alu instid0(VALU_DEP_1) | instskip(SKIP_1) | instid1(VALU_DEP_1)
	v_cndmask_b32_e64 v112, 0, v112, s0
	v_cmp_lt_i32_e64 s0, v34, v6
	v_cndmask_b32_e64 v113, 0, v113, s0
.LBB206_1086:                           ;   in Loop: Header=BB206_813 Depth=1
	s_wait_xcnt 0x0
	s_or_b32 exec_lo, exec_lo, s8
	flat_load_b32 v20, v[68:69] offset:1024
	v_mov_b64_e32 v[6:7], 0
	v_mov_b64_e32 v[12:13], 0
	s_mov_b32 s8, exec_lo
	s_wait_loadcnt_dscnt 0x0
	v_and_b32_e32 v8, 0xff, v20
	s_wait_xcnt 0x0
	s_delay_alu instid0(VALU_DEP_1)
	v_cmpx_ne_u16_e32 0, v8
	s_cbranch_execz .LBB206_1094
; %bb.1087:                             ;   in Loop: Header=BB206_813 Depth=1
	v_mov_b64_e32 v[12:13], 0x80000000
	s_mov_b32 s9, exec_lo
	v_cmpx_ne_u16_e32 0x80, v8
	s_cbranch_execz .LBB206_1093
; %bb.1088:                             ;   in Loop: Header=BB206_813 Depth=1
	v_mov_b64_e32 v[12:13], 0x7f800001
	v_and_b32_e32 v9, 0x7f, v20
	s_mov_b32 s14, exec_lo
	s_delay_alu instid0(VALU_DEP_1)
	v_cmpx_ne_u32_e32 0x7f, v9
	s_cbranch_execz .LBB206_1092
; %bb.1089:                             ;   in Loop: Header=BB206_813 Depth=1
	v_dual_lshrrev_b32 v8, 3, v9 :: v_dual_bitop2_b32 v118, 7, v20 bitop3:0x40
	s_mov_b32 s15, exec_lo
	v_cmpx_gt_u32_e32 8, v9
; %bb.1090:                             ;   in Loop: Header=BB206_813 Depth=1
	s_delay_alu instid0(VALU_DEP_2) | instskip(NEXT) | instid1(VALU_DEP_1)
	v_clz_i32_u32_e32 v8, v118
	v_min_u32_e32 v8, 32, v8
	s_delay_alu instid0(VALU_DEP_1) | instskip(SKIP_1) | instid1(VALU_DEP_2)
	v_subrev_nc_u32_e32 v9, 28, v8
	v_sub_nc_u32_e32 v8, 29, v8
	v_lshlrev_b64_e32 v[12:13], v9, v[118:119]
	s_delay_alu instid0(VALU_DEP_1)
	v_and_b32_e32 v118, 7, v12
; %bb.1091:                             ;   in Loop: Header=BB206_813 Depth=1
	s_or_b32 exec_lo, exec_lo, s15
	s_delay_alu instid0(VALU_DEP_1) | instskip(SKIP_1) | instid1(VALU_DEP_2)
	v_dual_lshlrev_b32 v9, 24, v20 :: v_dual_lshlrev_b32 v12, 20, v118
	v_lshl_add_u32 v8, v8, 23, 0x3c000000
	v_and_b32_e32 v9, 0x80000000, v9
	s_delay_alu instid0(VALU_DEP_1) | instskip(NEXT) | instid1(VALU_DEP_1)
	v_or3_b32 v118, v12, v9, v8
	v_mov_b64_e32 v[12:13], v[118:119]
.LBB206_1092:                           ;   in Loop: Header=BB206_813 Depth=1
	s_or_b32 exec_lo, exec_lo, s14
.LBB206_1093:                           ;   in Loop: Header=BB206_813 Depth=1
	s_delay_alu instid0(SALU_CYCLE_1)
	s_or_b32 exec_lo, exec_lo, s9
.LBB206_1094:                           ;   in Loop: Header=BB206_813 Depth=1
	s_delay_alu instid0(SALU_CYCLE_1) | instskip(SKIP_2) | instid1(VALU_DEP_1)
	s_or_b32 exec_lo, exec_lo, s8
	v_lshrrev_b16 v8, 8, v20
	s_mov_b32 s8, exec_lo
	v_cmpx_ne_u16_e32 0, v8
	s_cbranch_execz .LBB206_1102
; %bb.1095:                             ;   in Loop: Header=BB206_813 Depth=1
	v_mov_b64_e32 v[6:7], 0x8000000000000000
	s_mov_b32 s9, exec_lo
	v_cmpx_ne_u16_e32 0x80, v8
	s_cbranch_execz .LBB206_1101
; %bb.1096:                             ;   in Loop: Header=BB206_813 Depth=1
	v_and_b32_e32 v9, 0xffff, v8
	v_mov_b64_e32 v[6:7], 0x7f80000100000000
	s_mov_b32 s14, exec_lo
	s_delay_alu instid0(VALU_DEP_2) | instskip(NEXT) | instid1(VALU_DEP_1)
	v_and_b32_e32 v8, 0x7f, v9
	v_cmpx_ne_u32_e32 0x7f, v8
	s_cbranch_execz .LBB206_1100
; %bb.1097:                             ;   in Loop: Header=BB206_813 Depth=1
	v_dual_lshrrev_b32 v6, 3, v8 :: v_dual_bitop2_b32 v118, 7, v9 bitop3:0x40
	s_mov_b32 s15, exec_lo
	v_cmpx_gt_u32_e32 8, v8
; %bb.1098:                             ;   in Loop: Header=BB206_813 Depth=1
	s_delay_alu instid0(VALU_DEP_2) | instskip(NEXT) | instid1(VALU_DEP_1)
	v_clz_i32_u32_e32 v6, v118
	v_min_u32_e32 v6, 32, v6
	s_delay_alu instid0(VALU_DEP_1) | instskip(NEXT) | instid1(VALU_DEP_1)
	v_subrev_nc_u32_e32 v7, 28, v6
	v_lshlrev_b64_e32 v[8:9], v7, v[118:119]
	s_delay_alu instid0(VALU_DEP_1)
	v_dual_sub_nc_u32 v6, 29, v6 :: v_dual_bitop2_b32 v118, 7, v8 bitop3:0x40
; %bb.1099:                             ;   in Loop: Header=BB206_813 Depth=1
	s_or_b32 exec_lo, exec_lo, s15
	s_delay_alu instid0(VALU_DEP_1) | instskip(NEXT) | instid1(VALU_DEP_2)
	v_dual_lshlrev_b32 v7, 16, v20 :: v_dual_lshlrev_b32 v8, 20, v118
	v_lshl_add_u32 v6, v6, 23, 0x3c000000
	s_delay_alu instid0(VALU_DEP_2) | instskip(NEXT) | instid1(VALU_DEP_1)
	v_and_b32_e32 v7, 0x80000000, v7
	v_or3_b32 v7, v8, v7, v6
	v_mov_b32_e32 v6, v119
.LBB206_1100:                           ;   in Loop: Header=BB206_813 Depth=1
	s_or_b32 exec_lo, exec_lo, s14
.LBB206_1101:                           ;   in Loop: Header=BB206_813 Depth=1
	s_delay_alu instid0(SALU_CYCLE_1)
	s_or_b32 exec_lo, exec_lo, s9
.LBB206_1102:                           ;   in Loop: Header=BB206_813 Depth=1
	s_delay_alu instid0(SALU_CYCLE_1) | instskip(SKIP_4) | instid1(VALU_DEP_3)
	s_or_b32 exec_lo, exec_lo, s8
	v_lshrrev_b32_e32 v21, 16, v20
	v_mov_b64_e32 v[14:15], 0
	v_mov_b64_e32 v[8:9], 0
	s_mov_b32 s8, exec_lo
	v_and_b32_e32 v24, 0xff, v21
	s_delay_alu instid0(VALU_DEP_1)
	v_cmpx_ne_u16_e32 0, v24
	s_cbranch_execz .LBB206_1110
; %bb.1103:                             ;   in Loop: Header=BB206_813 Depth=1
	v_mov_b64_e32 v[8:9], 0x80000000
	s_mov_b32 s9, exec_lo
	v_cmpx_ne_u16_e32 0x80, v24
	s_cbranch_execz .LBB206_1109
; %bb.1104:                             ;   in Loop: Header=BB206_813 Depth=1
	v_mov_b64_e32 v[8:9], 0x7f800001
	v_bfe_u32 v24, v20, 16, 7
	s_mov_b32 s14, exec_lo
	s_delay_alu instid0(VALU_DEP_1)
	v_cmpx_ne_u32_e32 0x7f, v24
	s_cbranch_execz .LBB206_1108
; %bb.1105:                             ;   in Loop: Header=BB206_813 Depth=1
	v_dual_lshrrev_b32 v8, 3, v24 :: v_dual_bitop2_b32 v118, 7, v21 bitop3:0x40
	s_mov_b32 s15, exec_lo
	v_cmpx_gt_u32_e32 8, v24
; %bb.1106:                             ;   in Loop: Header=BB206_813 Depth=1
	s_delay_alu instid0(VALU_DEP_2) | instskip(NEXT) | instid1(VALU_DEP_1)
	v_clz_i32_u32_e32 v8, v118
	v_min_u32_e32 v8, 32, v8
	s_delay_alu instid0(VALU_DEP_1) | instskip(SKIP_1) | instid1(VALU_DEP_2)
	v_subrev_nc_u32_e32 v9, 28, v8
	v_sub_nc_u32_e32 v8, 29, v8
	v_lshlrev_b64_e32 v[24:25], v9, v[118:119]
	s_delay_alu instid0(VALU_DEP_1)
	v_and_b32_e32 v118, 7, v24
; %bb.1107:                             ;   in Loop: Header=BB206_813 Depth=1
	s_or_b32 exec_lo, exec_lo, s15
	s_delay_alu instid0(VALU_DEP_1) | instskip(SKIP_1) | instid1(VALU_DEP_2)
	v_dual_lshlrev_b32 v9, 24, v21 :: v_dual_lshlrev_b32 v21, 20, v118
	v_lshl_add_u32 v8, v8, 23, 0x3c000000
	v_and_b32_e32 v9, 0x80000000, v9
	s_delay_alu instid0(VALU_DEP_1) | instskip(NEXT) | instid1(VALU_DEP_1)
	v_or3_b32 v118, v21, v9, v8
	v_mov_b64_e32 v[8:9], v[118:119]
.LBB206_1108:                           ;   in Loop: Header=BB206_813 Depth=1
	s_or_b32 exec_lo, exec_lo, s14
.LBB206_1109:                           ;   in Loop: Header=BB206_813 Depth=1
	s_delay_alu instid0(SALU_CYCLE_1)
	s_or_b32 exec_lo, exec_lo, s9
.LBB206_1110:                           ;   in Loop: Header=BB206_813 Depth=1
	s_delay_alu instid0(SALU_CYCLE_1) | instskip(NEXT) | instid1(SALU_CYCLE_1)
	s_or_b32 exec_lo, exec_lo, s8
	s_mov_b32 s8, exec_lo
	v_cmpx_lt_u32_e32 0xffffff, v20
	s_cbranch_execz .LBB206_1118
; %bb.1111:                             ;   in Loop: Header=BB206_813 Depth=1
	v_mov_b64_e32 v[14:15], 0x8000000000000000
	v_lshrrev_b32_e32 v21, 24, v20
	s_mov_b32 s9, exec_lo
	s_delay_alu instid0(VALU_DEP_1)
	v_cmpx_ne_u32_e32 0x80, v21
	s_cbranch_execz .LBB206_1117
; %bb.1112:                             ;   in Loop: Header=BB206_813 Depth=1
	v_mov_b64_e32 v[14:15], 0x7f80000100000000
	v_bfe_u32 v20, v20, 24, 7
	s_mov_b32 s14, exec_lo
	s_delay_alu instid0(VALU_DEP_1)
	v_cmpx_ne_u32_e32 0x7f, v20
	s_cbranch_execz .LBB206_1116
; %bb.1113:                             ;   in Loop: Header=BB206_813 Depth=1
	v_dual_lshrrev_b32 v14, 3, v20 :: v_dual_bitop2_b32 v118, 7, v21 bitop3:0x40
	s_mov_b32 s15, exec_lo
	v_cmpx_gt_u32_e32 8, v20
; %bb.1114:                             ;   in Loop: Header=BB206_813 Depth=1
	s_delay_alu instid0(VALU_DEP_2) | instskip(NEXT) | instid1(VALU_DEP_1)
	v_clz_i32_u32_e32 v14, v118
	v_min_u32_e32 v14, 32, v14
	s_delay_alu instid0(VALU_DEP_1) | instskip(NEXT) | instid1(VALU_DEP_1)
	v_subrev_nc_u32_e32 v15, 28, v14
	v_lshlrev_b64_e32 v[24:25], v15, v[118:119]
	s_delay_alu instid0(VALU_DEP_1)
	v_dual_sub_nc_u32 v14, 29, v14 :: v_dual_bitop2_b32 v118, 7, v24 bitop3:0x40
; %bb.1115:                             ;   in Loop: Header=BB206_813 Depth=1
	s_or_b32 exec_lo, exec_lo, s15
	s_delay_alu instid0(VALU_DEP_1) | instskip(NEXT) | instid1(VALU_DEP_2)
	v_dual_lshlrev_b32 v15, 24, v21 :: v_dual_lshlrev_b32 v20, 20, v118
	v_lshl_add_u32 v14, v14, 23, 0x3c000000
	s_delay_alu instid0(VALU_DEP_2) | instskip(NEXT) | instid1(VALU_DEP_1)
	v_and_b32_e32 v15, 0x80000000, v15
	v_or3_b32 v15, v20, v15, v14
	v_mov_b32_e32 v14, v119
.LBB206_1116:                           ;   in Loop: Header=BB206_813 Depth=1
	s_or_b32 exec_lo, exec_lo, s14
.LBB206_1117:                           ;   in Loop: Header=BB206_813 Depth=1
	s_delay_alu instid0(SALU_CYCLE_1)
	s_or_b32 exec_lo, exec_lo, s9
.LBB206_1118:                           ;   in Loop: Header=BB206_813 Depth=1
	s_delay_alu instid0(SALU_CYCLE_1) | instskip(SKIP_4) | instid1(VALU_DEP_3)
	s_or_b32 exec_lo, exec_lo, s8
	v_or_b32_e32 v7, v7, v13
	v_or_b32_e32 v6, v6, v12
	;; [unrolled: 1-line block ×4, first 2 shown]
	v_pk_mul_f32 v[20:21], v[54:55], v[6:7]
	s_delay_alu instid0(VALU_DEP_2)
	v_pk_mul_f32 v[116:117], v[54:55], v[8:9]
	s_and_saveexec_b32 s8, vcc_lo
	s_cbranch_execz .LBB206_1120
; %bb.1119:                             ;   in Loop: Header=BB206_813 Depth=1
	scratch_load_b64 v[6:7], off, s32 offset:200 ; 8-byte Folded Reload
	s_wait_loadcnt 0x0
	v_cmp_lt_i32_e64 s0, v33, v6
	s_delay_alu instid0(VALU_DEP_1) | instskip(SKIP_1) | instid1(VALU_DEP_1)
	v_cndmask_b32_e64 v20, 0, v20, s0
	v_cmp_lt_i32_e64 s0, v43, v6
	v_cndmask_b32_e64 v21, 0, v21, s0
	v_cmp_lt_i32_e64 s0, v35, v6
	s_delay_alu instid0(VALU_DEP_1) | instskip(SKIP_1) | instid1(VALU_DEP_1)
	v_cndmask_b32_e64 v116, 0, v116, s0
	v_cmp_lt_i32_e64 s0, v34, v6
	v_cndmask_b32_e64 v117, 0, v117, s0
.LBB206_1120:                           ;   in Loop: Header=BB206_813 Depth=1
	s_wait_xcnt 0x0
	s_or_b32 exec_lo, exec_lo, s8
	flat_load_b32 v24, v[68:69] offset:1152
	v_mov_b64_e32 v[6:7], 0
	v_mov_b64_e32 v[12:13], 0
	s_mov_b32 s8, exec_lo
	s_wait_loadcnt_dscnt 0x0
	v_and_b32_e32 v8, 0xff, v24
	s_wait_xcnt 0x0
	s_delay_alu instid0(VALU_DEP_1)
	v_cmpx_ne_u16_e32 0, v8
	s_cbranch_execz .LBB206_1128
; %bb.1121:                             ;   in Loop: Header=BB206_813 Depth=1
	v_mov_b64_e32 v[12:13], 0x80000000
	s_mov_b32 s9, exec_lo
	v_cmpx_ne_u16_e32 0x80, v8
	s_cbranch_execz .LBB206_1127
; %bb.1122:                             ;   in Loop: Header=BB206_813 Depth=1
	v_mov_b64_e32 v[12:13], 0x7f800001
	v_and_b32_e32 v9, 0x7f, v24
	s_mov_b32 s14, exec_lo
	s_delay_alu instid0(VALU_DEP_1)
	v_cmpx_ne_u32_e32 0x7f, v9
	s_cbranch_execz .LBB206_1126
; %bb.1123:                             ;   in Loop: Header=BB206_813 Depth=1
	v_dual_lshrrev_b32 v8, 3, v9 :: v_dual_bitop2_b32 v118, 7, v24 bitop3:0x40
	s_mov_b32 s15, exec_lo
	v_cmpx_gt_u32_e32 8, v9
; %bb.1124:                             ;   in Loop: Header=BB206_813 Depth=1
	s_delay_alu instid0(VALU_DEP_2) | instskip(NEXT) | instid1(VALU_DEP_1)
	v_clz_i32_u32_e32 v8, v118
	v_min_u32_e32 v8, 32, v8
	s_delay_alu instid0(VALU_DEP_1) | instskip(SKIP_1) | instid1(VALU_DEP_2)
	v_subrev_nc_u32_e32 v9, 28, v8
	v_sub_nc_u32_e32 v8, 29, v8
	v_lshlrev_b64_e32 v[12:13], v9, v[118:119]
	s_delay_alu instid0(VALU_DEP_1)
	v_and_b32_e32 v118, 7, v12
; %bb.1125:                             ;   in Loop: Header=BB206_813 Depth=1
	s_or_b32 exec_lo, exec_lo, s15
	s_delay_alu instid0(VALU_DEP_1) | instskip(SKIP_1) | instid1(VALU_DEP_2)
	v_dual_lshlrev_b32 v9, 24, v24 :: v_dual_lshlrev_b32 v12, 20, v118
	v_lshl_add_u32 v8, v8, 23, 0x3c000000
	v_and_b32_e32 v9, 0x80000000, v9
	s_delay_alu instid0(VALU_DEP_1) | instskip(NEXT) | instid1(VALU_DEP_1)
	v_or3_b32 v118, v12, v9, v8
	v_mov_b64_e32 v[12:13], v[118:119]
.LBB206_1126:                           ;   in Loop: Header=BB206_813 Depth=1
	s_or_b32 exec_lo, exec_lo, s14
.LBB206_1127:                           ;   in Loop: Header=BB206_813 Depth=1
	s_delay_alu instid0(SALU_CYCLE_1)
	s_or_b32 exec_lo, exec_lo, s9
.LBB206_1128:                           ;   in Loop: Header=BB206_813 Depth=1
	s_delay_alu instid0(SALU_CYCLE_1) | instskip(SKIP_2) | instid1(VALU_DEP_1)
	s_or_b32 exec_lo, exec_lo, s8
	v_lshrrev_b16 v8, 8, v24
	s_mov_b32 s8, exec_lo
	v_cmpx_ne_u16_e32 0, v8
	s_cbranch_execz .LBB206_1136
; %bb.1129:                             ;   in Loop: Header=BB206_813 Depth=1
	v_mov_b64_e32 v[6:7], 0x8000000000000000
	s_mov_b32 s9, exec_lo
	v_cmpx_ne_u16_e32 0x80, v8
	s_cbranch_execz .LBB206_1135
; %bb.1130:                             ;   in Loop: Header=BB206_813 Depth=1
	v_and_b32_e32 v9, 0xffff, v8
	v_mov_b64_e32 v[6:7], 0x7f80000100000000
	s_mov_b32 s14, exec_lo
	s_delay_alu instid0(VALU_DEP_2) | instskip(NEXT) | instid1(VALU_DEP_1)
	v_and_b32_e32 v8, 0x7f, v9
	v_cmpx_ne_u32_e32 0x7f, v8
	s_cbranch_execz .LBB206_1134
; %bb.1131:                             ;   in Loop: Header=BB206_813 Depth=1
	v_dual_lshrrev_b32 v6, 3, v8 :: v_dual_bitop2_b32 v118, 7, v9 bitop3:0x40
	s_mov_b32 s15, exec_lo
	v_cmpx_gt_u32_e32 8, v8
; %bb.1132:                             ;   in Loop: Header=BB206_813 Depth=1
	s_delay_alu instid0(VALU_DEP_2) | instskip(NEXT) | instid1(VALU_DEP_1)
	v_clz_i32_u32_e32 v6, v118
	v_min_u32_e32 v6, 32, v6
	s_delay_alu instid0(VALU_DEP_1) | instskip(NEXT) | instid1(VALU_DEP_1)
	v_subrev_nc_u32_e32 v7, 28, v6
	v_lshlrev_b64_e32 v[8:9], v7, v[118:119]
	s_delay_alu instid0(VALU_DEP_1)
	v_dual_sub_nc_u32 v6, 29, v6 :: v_dual_bitop2_b32 v118, 7, v8 bitop3:0x40
; %bb.1133:                             ;   in Loop: Header=BB206_813 Depth=1
	s_or_b32 exec_lo, exec_lo, s15
	s_delay_alu instid0(VALU_DEP_1) | instskip(NEXT) | instid1(VALU_DEP_2)
	v_dual_lshlrev_b32 v7, 16, v24 :: v_dual_lshlrev_b32 v8, 20, v118
	v_lshl_add_u32 v6, v6, 23, 0x3c000000
	s_delay_alu instid0(VALU_DEP_2) | instskip(NEXT) | instid1(VALU_DEP_1)
	v_and_b32_e32 v7, 0x80000000, v7
	v_or3_b32 v7, v8, v7, v6
	v_mov_b32_e32 v6, v119
.LBB206_1134:                           ;   in Loop: Header=BB206_813 Depth=1
	s_or_b32 exec_lo, exec_lo, s14
.LBB206_1135:                           ;   in Loop: Header=BB206_813 Depth=1
	s_delay_alu instid0(SALU_CYCLE_1)
	s_or_b32 exec_lo, exec_lo, s9
.LBB206_1136:                           ;   in Loop: Header=BB206_813 Depth=1
	s_delay_alu instid0(SALU_CYCLE_1) | instskip(SKIP_4) | instid1(VALU_DEP_3)
	s_or_b32 exec_lo, exec_lo, s8
	v_lshrrev_b32_e32 v25, 16, v24
	v_mov_b64_e32 v[14:15], 0
	v_mov_b64_e32 v[8:9], 0
	s_mov_b32 s8, exec_lo
	v_and_b32_e32 v26, 0xff, v25
	s_delay_alu instid0(VALU_DEP_1)
	v_cmpx_ne_u16_e32 0, v26
	s_cbranch_execz .LBB206_1144
; %bb.1137:                             ;   in Loop: Header=BB206_813 Depth=1
	v_mov_b64_e32 v[8:9], 0x80000000
	s_mov_b32 s9, exec_lo
	v_cmpx_ne_u16_e32 0x80, v26
	s_cbranch_execz .LBB206_1143
; %bb.1138:                             ;   in Loop: Header=BB206_813 Depth=1
	v_mov_b64_e32 v[8:9], 0x7f800001
	v_bfe_u32 v26, v24, 16, 7
	s_mov_b32 s14, exec_lo
	s_delay_alu instid0(VALU_DEP_1)
	v_cmpx_ne_u32_e32 0x7f, v26
	s_cbranch_execz .LBB206_1142
; %bb.1139:                             ;   in Loop: Header=BB206_813 Depth=1
	v_dual_lshrrev_b32 v8, 3, v26 :: v_dual_bitop2_b32 v118, 7, v25 bitop3:0x40
	s_mov_b32 s15, exec_lo
	v_cmpx_gt_u32_e32 8, v26
; %bb.1140:                             ;   in Loop: Header=BB206_813 Depth=1
	s_delay_alu instid0(VALU_DEP_2) | instskip(NEXT) | instid1(VALU_DEP_1)
	v_clz_i32_u32_e32 v8, v118
	v_min_u32_e32 v8, 32, v8
	s_delay_alu instid0(VALU_DEP_1) | instskip(NEXT) | instid1(VALU_DEP_1)
	v_subrev_nc_u32_e32 v9, 28, v8
	v_lshlrev_b64_e32 v[26:27], v9, v[118:119]
	s_delay_alu instid0(VALU_DEP_1)
	v_dual_sub_nc_u32 v8, 29, v8 :: v_dual_bitop2_b32 v118, 7, v26 bitop3:0x40
; %bb.1141:                             ;   in Loop: Header=BB206_813 Depth=1
	s_or_b32 exec_lo, exec_lo, s15
	s_delay_alu instid0(VALU_DEP_1) | instskip(NEXT) | instid1(VALU_DEP_2)
	v_dual_lshlrev_b32 v9, 24, v25 :: v_dual_lshlrev_b32 v25, 20, v118
	v_lshl_add_u32 v8, v8, 23, 0x3c000000
	s_delay_alu instid0(VALU_DEP_2) | instskip(NEXT) | instid1(VALU_DEP_1)
	v_and_b32_e32 v9, 0x80000000, v9
	v_or3_b32 v118, v25, v9, v8
	s_delay_alu instid0(VALU_DEP_1)
	v_mov_b64_e32 v[8:9], v[118:119]
.LBB206_1142:                           ;   in Loop: Header=BB206_813 Depth=1
	s_or_b32 exec_lo, exec_lo, s14
.LBB206_1143:                           ;   in Loop: Header=BB206_813 Depth=1
	s_delay_alu instid0(SALU_CYCLE_1)
	s_or_b32 exec_lo, exec_lo, s9
.LBB206_1144:                           ;   in Loop: Header=BB206_813 Depth=1
	s_delay_alu instid0(SALU_CYCLE_1) | instskip(NEXT) | instid1(SALU_CYCLE_1)
	s_or_b32 exec_lo, exec_lo, s8
	s_mov_b32 s8, exec_lo
	v_cmpx_lt_u32_e32 0xffffff, v24
	s_cbranch_execz .LBB206_1152
; %bb.1145:                             ;   in Loop: Header=BB206_813 Depth=1
	v_mov_b64_e32 v[14:15], 0x8000000000000000
	v_lshrrev_b32_e32 v25, 24, v24
	s_mov_b32 s9, exec_lo
	s_delay_alu instid0(VALU_DEP_1)
	v_cmpx_ne_u32_e32 0x80, v25
	s_cbranch_execz .LBB206_1151
; %bb.1146:                             ;   in Loop: Header=BB206_813 Depth=1
	v_mov_b64_e32 v[14:15], 0x7f80000100000000
	v_bfe_u32 v24, v24, 24, 7
	s_mov_b32 s14, exec_lo
	s_delay_alu instid0(VALU_DEP_1)
	v_cmpx_ne_u32_e32 0x7f, v24
	s_cbranch_execz .LBB206_1150
; %bb.1147:                             ;   in Loop: Header=BB206_813 Depth=1
	v_dual_lshrrev_b32 v14, 3, v24 :: v_dual_bitop2_b32 v118, 7, v25 bitop3:0x40
	s_mov_b32 s15, exec_lo
	v_cmpx_gt_u32_e32 8, v24
; %bb.1148:                             ;   in Loop: Header=BB206_813 Depth=1
	s_delay_alu instid0(VALU_DEP_2) | instskip(NEXT) | instid1(VALU_DEP_1)
	v_clz_i32_u32_e32 v14, v118
	v_min_u32_e32 v14, 32, v14
	s_delay_alu instid0(VALU_DEP_1) | instskip(SKIP_1) | instid1(VALU_DEP_2)
	v_subrev_nc_u32_e32 v15, 28, v14
	v_sub_nc_u32_e32 v14, 29, v14
	v_lshlrev_b64_e32 v[26:27], v15, v[118:119]
	s_delay_alu instid0(VALU_DEP_1)
	v_and_b32_e32 v118, 7, v26
; %bb.1149:                             ;   in Loop: Header=BB206_813 Depth=1
	s_or_b32 exec_lo, exec_lo, s15
	s_delay_alu instid0(VALU_DEP_1) | instskip(SKIP_1) | instid1(VALU_DEP_2)
	v_dual_lshlrev_b32 v15, 24, v25 :: v_dual_lshlrev_b32 v24, 20, v118
	v_lshl_add_u32 v14, v14, 23, 0x3c000000
	v_and_b32_e32 v15, 0x80000000, v15
	s_delay_alu instid0(VALU_DEP_1)
	v_or3_b32 v15, v24, v15, v14
	v_mov_b32_e32 v14, v119
.LBB206_1150:                           ;   in Loop: Header=BB206_813 Depth=1
	s_or_b32 exec_lo, exec_lo, s14
.LBB206_1151:                           ;   in Loop: Header=BB206_813 Depth=1
	s_delay_alu instid0(SALU_CYCLE_1)
	s_or_b32 exec_lo, exec_lo, s9
.LBB206_1152:                           ;   in Loop: Header=BB206_813 Depth=1
	s_delay_alu instid0(SALU_CYCLE_1) | instskip(SKIP_4) | instid1(VALU_DEP_3)
	s_or_b32 exec_lo, exec_lo, s8
	v_or_b32_e32 v7, v7, v13
	v_or_b32_e32 v6, v6, v12
	;; [unrolled: 1-line block ×4, first 2 shown]
	v_pk_mul_f32 v[28:29], v[54:55], v[6:7]
	s_delay_alu instid0(VALU_DEP_2)
	v_pk_mul_f32 v[40:41], v[54:55], v[8:9]
	s_and_saveexec_b32 s8, vcc_lo
	s_cbranch_execz .LBB206_1154
; %bb.1153:                             ;   in Loop: Header=BB206_813 Depth=1
	scratch_load_b64 v[6:7], off, s32 offset:200 ; 8-byte Folded Reload
	s_wait_loadcnt 0x0
	v_cmp_lt_i32_e64 s0, v33, v6
	s_delay_alu instid0(VALU_DEP_1) | instskip(SKIP_1) | instid1(VALU_DEP_1)
	v_cndmask_b32_e64 v28, 0, v28, s0
	v_cmp_lt_i32_e64 s0, v43, v6
	v_cndmask_b32_e64 v29, 0, v29, s0
	v_cmp_lt_i32_e64 s0, v35, v6
	s_delay_alu instid0(VALU_DEP_1) | instskip(SKIP_1) | instid1(VALU_DEP_1)
	v_cndmask_b32_e64 v40, 0, v40, s0
	v_cmp_lt_i32_e64 s0, v34, v6
	v_cndmask_b32_e64 v41, 0, v41, s0
.LBB206_1154:                           ;   in Loop: Header=BB206_813 Depth=1
	s_wait_xcnt 0x0
	s_or_b32 exec_lo, exec_lo, s8
	flat_load_b32 v24, v[68:69] offset:1280
	v_mov_b64_e32 v[6:7], 0
	v_mov_b64_e32 v[12:13], 0
	s_mov_b32 s8, exec_lo
	s_wait_loadcnt_dscnt 0x0
	v_and_b32_e32 v8, 0xff, v24
	s_wait_xcnt 0x0
	s_delay_alu instid0(VALU_DEP_1)
	v_cmpx_ne_u16_e32 0, v8
	s_cbranch_execz .LBB206_1162
; %bb.1155:                             ;   in Loop: Header=BB206_813 Depth=1
	v_mov_b64_e32 v[12:13], 0x80000000
	s_mov_b32 s9, exec_lo
	v_cmpx_ne_u16_e32 0x80, v8
	s_cbranch_execz .LBB206_1161
; %bb.1156:                             ;   in Loop: Header=BB206_813 Depth=1
	v_mov_b64_e32 v[12:13], 0x7f800001
	v_and_b32_e32 v9, 0x7f, v24
	s_mov_b32 s14, exec_lo
	s_delay_alu instid0(VALU_DEP_1)
	v_cmpx_ne_u32_e32 0x7f, v9
	s_cbranch_execz .LBB206_1160
; %bb.1157:                             ;   in Loop: Header=BB206_813 Depth=1
	v_dual_lshrrev_b32 v8, 3, v9 :: v_dual_bitop2_b32 v118, 7, v24 bitop3:0x40
	s_mov_b32 s15, exec_lo
	v_cmpx_gt_u32_e32 8, v9
; %bb.1158:                             ;   in Loop: Header=BB206_813 Depth=1
	s_delay_alu instid0(VALU_DEP_2) | instskip(NEXT) | instid1(VALU_DEP_1)
	v_clz_i32_u32_e32 v8, v118
	v_min_u32_e32 v8, 32, v8
	s_delay_alu instid0(VALU_DEP_1) | instskip(SKIP_1) | instid1(VALU_DEP_2)
	v_subrev_nc_u32_e32 v9, 28, v8
	v_sub_nc_u32_e32 v8, 29, v8
	v_lshlrev_b64_e32 v[12:13], v9, v[118:119]
	s_delay_alu instid0(VALU_DEP_1)
	v_and_b32_e32 v118, 7, v12
; %bb.1159:                             ;   in Loop: Header=BB206_813 Depth=1
	s_or_b32 exec_lo, exec_lo, s15
	s_delay_alu instid0(VALU_DEP_1) | instskip(SKIP_1) | instid1(VALU_DEP_2)
	v_dual_lshlrev_b32 v9, 24, v24 :: v_dual_lshlrev_b32 v12, 20, v118
	v_lshl_add_u32 v8, v8, 23, 0x3c000000
	v_and_b32_e32 v9, 0x80000000, v9
	s_delay_alu instid0(VALU_DEP_1) | instskip(NEXT) | instid1(VALU_DEP_1)
	v_or3_b32 v118, v12, v9, v8
	v_mov_b64_e32 v[12:13], v[118:119]
.LBB206_1160:                           ;   in Loop: Header=BB206_813 Depth=1
	s_or_b32 exec_lo, exec_lo, s14
.LBB206_1161:                           ;   in Loop: Header=BB206_813 Depth=1
	s_delay_alu instid0(SALU_CYCLE_1)
	s_or_b32 exec_lo, exec_lo, s9
.LBB206_1162:                           ;   in Loop: Header=BB206_813 Depth=1
	s_delay_alu instid0(SALU_CYCLE_1) | instskip(SKIP_2) | instid1(VALU_DEP_1)
	s_or_b32 exec_lo, exec_lo, s8
	v_lshrrev_b16 v8, 8, v24
	s_mov_b32 s8, exec_lo
	v_cmpx_ne_u16_e32 0, v8
	s_cbranch_execz .LBB206_1170
; %bb.1163:                             ;   in Loop: Header=BB206_813 Depth=1
	v_mov_b64_e32 v[6:7], 0x8000000000000000
	s_mov_b32 s9, exec_lo
	v_cmpx_ne_u16_e32 0x80, v8
	s_cbranch_execz .LBB206_1169
; %bb.1164:                             ;   in Loop: Header=BB206_813 Depth=1
	v_and_b32_e32 v9, 0xffff, v8
	v_mov_b64_e32 v[6:7], 0x7f80000100000000
	s_mov_b32 s14, exec_lo
	s_delay_alu instid0(VALU_DEP_2) | instskip(NEXT) | instid1(VALU_DEP_1)
	v_and_b32_e32 v8, 0x7f, v9
	v_cmpx_ne_u32_e32 0x7f, v8
	s_cbranch_execz .LBB206_1168
; %bb.1165:                             ;   in Loop: Header=BB206_813 Depth=1
	v_dual_lshrrev_b32 v6, 3, v8 :: v_dual_bitop2_b32 v118, 7, v9 bitop3:0x40
	s_mov_b32 s15, exec_lo
	v_cmpx_gt_u32_e32 8, v8
; %bb.1166:                             ;   in Loop: Header=BB206_813 Depth=1
	s_delay_alu instid0(VALU_DEP_2) | instskip(NEXT) | instid1(VALU_DEP_1)
	v_clz_i32_u32_e32 v6, v118
	v_min_u32_e32 v6, 32, v6
	s_delay_alu instid0(VALU_DEP_1) | instskip(NEXT) | instid1(VALU_DEP_1)
	v_subrev_nc_u32_e32 v7, 28, v6
	v_lshlrev_b64_e32 v[8:9], v7, v[118:119]
	s_delay_alu instid0(VALU_DEP_1)
	v_dual_sub_nc_u32 v6, 29, v6 :: v_dual_bitop2_b32 v118, 7, v8 bitop3:0x40
; %bb.1167:                             ;   in Loop: Header=BB206_813 Depth=1
	s_or_b32 exec_lo, exec_lo, s15
	s_delay_alu instid0(VALU_DEP_1) | instskip(NEXT) | instid1(VALU_DEP_2)
	v_dual_lshlrev_b32 v7, 16, v24 :: v_dual_lshlrev_b32 v8, 20, v118
	v_lshl_add_u32 v6, v6, 23, 0x3c000000
	s_delay_alu instid0(VALU_DEP_2) | instskip(NEXT) | instid1(VALU_DEP_1)
	v_and_b32_e32 v7, 0x80000000, v7
	v_or3_b32 v7, v8, v7, v6
	v_mov_b32_e32 v6, v119
.LBB206_1168:                           ;   in Loop: Header=BB206_813 Depth=1
	s_or_b32 exec_lo, exec_lo, s14
.LBB206_1169:                           ;   in Loop: Header=BB206_813 Depth=1
	s_delay_alu instid0(SALU_CYCLE_1)
	s_or_b32 exec_lo, exec_lo, s9
.LBB206_1170:                           ;   in Loop: Header=BB206_813 Depth=1
	s_delay_alu instid0(SALU_CYCLE_1) | instskip(SKIP_4) | instid1(VALU_DEP_3)
	s_or_b32 exec_lo, exec_lo, s8
	v_lshrrev_b32_e32 v25, 16, v24
	v_mov_b64_e32 v[14:15], 0
	v_mov_b64_e32 v[8:9], 0
	s_mov_b32 s8, exec_lo
	v_and_b32_e32 v26, 0xff, v25
	s_delay_alu instid0(VALU_DEP_1)
	v_cmpx_ne_u16_e32 0, v26
	s_cbranch_execz .LBB206_1178
; %bb.1171:                             ;   in Loop: Header=BB206_813 Depth=1
	v_mov_b64_e32 v[8:9], 0x80000000
	s_mov_b32 s9, exec_lo
	v_cmpx_ne_u16_e32 0x80, v26
	s_cbranch_execz .LBB206_1177
; %bb.1172:                             ;   in Loop: Header=BB206_813 Depth=1
	v_mov_b64_e32 v[8:9], 0x7f800001
	v_bfe_u32 v26, v24, 16, 7
	s_mov_b32 s14, exec_lo
	s_delay_alu instid0(VALU_DEP_1)
	v_cmpx_ne_u32_e32 0x7f, v26
	s_cbranch_execz .LBB206_1176
; %bb.1173:                             ;   in Loop: Header=BB206_813 Depth=1
	v_dual_lshrrev_b32 v8, 3, v26 :: v_dual_bitop2_b32 v118, 7, v25 bitop3:0x40
	s_mov_b32 s15, exec_lo
	v_cmpx_gt_u32_e32 8, v26
; %bb.1174:                             ;   in Loop: Header=BB206_813 Depth=1
	s_delay_alu instid0(VALU_DEP_2) | instskip(NEXT) | instid1(VALU_DEP_1)
	v_clz_i32_u32_e32 v8, v118
	v_min_u32_e32 v8, 32, v8
	s_delay_alu instid0(VALU_DEP_1) | instskip(NEXT) | instid1(VALU_DEP_1)
	v_subrev_nc_u32_e32 v9, 28, v8
	v_lshlrev_b64_e32 v[26:27], v9, v[118:119]
	s_delay_alu instid0(VALU_DEP_1)
	v_dual_sub_nc_u32 v8, 29, v8 :: v_dual_bitop2_b32 v118, 7, v26 bitop3:0x40
; %bb.1175:                             ;   in Loop: Header=BB206_813 Depth=1
	s_or_b32 exec_lo, exec_lo, s15
	s_delay_alu instid0(VALU_DEP_1) | instskip(NEXT) | instid1(VALU_DEP_2)
	v_dual_lshlrev_b32 v9, 24, v25 :: v_dual_lshlrev_b32 v25, 20, v118
	v_lshl_add_u32 v8, v8, 23, 0x3c000000
	s_delay_alu instid0(VALU_DEP_2) | instskip(NEXT) | instid1(VALU_DEP_1)
	v_and_b32_e32 v9, 0x80000000, v9
	v_or3_b32 v118, v25, v9, v8
	s_delay_alu instid0(VALU_DEP_1)
	v_mov_b64_e32 v[8:9], v[118:119]
.LBB206_1176:                           ;   in Loop: Header=BB206_813 Depth=1
	s_or_b32 exec_lo, exec_lo, s14
.LBB206_1177:                           ;   in Loop: Header=BB206_813 Depth=1
	s_delay_alu instid0(SALU_CYCLE_1)
	s_or_b32 exec_lo, exec_lo, s9
.LBB206_1178:                           ;   in Loop: Header=BB206_813 Depth=1
	s_delay_alu instid0(SALU_CYCLE_1) | instskip(NEXT) | instid1(SALU_CYCLE_1)
	s_or_b32 exec_lo, exec_lo, s8
	s_mov_b32 s8, exec_lo
	v_cmpx_lt_u32_e32 0xffffff, v24
	s_cbranch_execz .LBB206_1186
; %bb.1179:                             ;   in Loop: Header=BB206_813 Depth=1
	v_mov_b64_e32 v[14:15], 0x8000000000000000
	v_lshrrev_b32_e32 v25, 24, v24
	s_mov_b32 s9, exec_lo
	s_delay_alu instid0(VALU_DEP_1)
	v_cmpx_ne_u32_e32 0x80, v25
	s_cbranch_execz .LBB206_1185
; %bb.1180:                             ;   in Loop: Header=BB206_813 Depth=1
	v_mov_b64_e32 v[14:15], 0x7f80000100000000
	v_bfe_u32 v24, v24, 24, 7
	s_mov_b32 s14, exec_lo
	s_delay_alu instid0(VALU_DEP_1)
	v_cmpx_ne_u32_e32 0x7f, v24
	s_cbranch_execz .LBB206_1184
; %bb.1181:                             ;   in Loop: Header=BB206_813 Depth=1
	v_dual_lshrrev_b32 v14, 3, v24 :: v_dual_bitop2_b32 v118, 7, v25 bitop3:0x40
	s_mov_b32 s15, exec_lo
	v_cmpx_gt_u32_e32 8, v24
; %bb.1182:                             ;   in Loop: Header=BB206_813 Depth=1
	s_delay_alu instid0(VALU_DEP_2) | instskip(NEXT) | instid1(VALU_DEP_1)
	v_clz_i32_u32_e32 v14, v118
	v_min_u32_e32 v14, 32, v14
	s_delay_alu instid0(VALU_DEP_1) | instskip(SKIP_1) | instid1(VALU_DEP_2)
	v_subrev_nc_u32_e32 v15, 28, v14
	v_sub_nc_u32_e32 v14, 29, v14
	v_lshlrev_b64_e32 v[26:27], v15, v[118:119]
	s_delay_alu instid0(VALU_DEP_1)
	v_and_b32_e32 v118, 7, v26
; %bb.1183:                             ;   in Loop: Header=BB206_813 Depth=1
	s_or_b32 exec_lo, exec_lo, s15
	s_delay_alu instid0(VALU_DEP_1) | instskip(SKIP_1) | instid1(VALU_DEP_2)
	v_dual_lshlrev_b32 v15, 24, v25 :: v_dual_lshlrev_b32 v24, 20, v118
	v_lshl_add_u32 v14, v14, 23, 0x3c000000
	v_and_b32_e32 v15, 0x80000000, v15
	s_delay_alu instid0(VALU_DEP_1)
	v_or3_b32 v15, v24, v15, v14
	v_mov_b32_e32 v14, v119
.LBB206_1184:                           ;   in Loop: Header=BB206_813 Depth=1
	s_or_b32 exec_lo, exec_lo, s14
.LBB206_1185:                           ;   in Loop: Header=BB206_813 Depth=1
	s_delay_alu instid0(SALU_CYCLE_1)
	s_or_b32 exec_lo, exec_lo, s9
.LBB206_1186:                           ;   in Loop: Header=BB206_813 Depth=1
	s_delay_alu instid0(SALU_CYCLE_1) | instskip(SKIP_4) | instid1(VALU_DEP_3)
	s_or_b32 exec_lo, exec_lo, s8
	v_or_b32_e32 v7, v7, v13
	v_or_b32_e32 v6, v6, v12
	;; [unrolled: 1-line block ×4, first 2 shown]
	v_pk_mul_f32 v[46:47], v[54:55], v[6:7]
	s_delay_alu instid0(VALU_DEP_2)
	v_pk_mul_f32 v[44:45], v[54:55], v[8:9]
	s_and_saveexec_b32 s8, vcc_lo
	s_cbranch_execz .LBB206_1188
; %bb.1187:                             ;   in Loop: Header=BB206_813 Depth=1
	scratch_load_b64 v[6:7], off, s32 offset:200 ; 8-byte Folded Reload
	s_wait_loadcnt 0x0
	v_cmp_lt_i32_e64 s0, v33, v6
	s_delay_alu instid0(VALU_DEP_1) | instskip(SKIP_1) | instid1(VALU_DEP_1)
	v_cndmask_b32_e64 v46, 0, v46, s0
	v_cmp_lt_i32_e64 s0, v43, v6
	v_cndmask_b32_e64 v47, 0, v47, s0
	v_cmp_lt_i32_e64 s0, v35, v6
	s_delay_alu instid0(VALU_DEP_1) | instskip(SKIP_1) | instid1(VALU_DEP_1)
	v_cndmask_b32_e64 v44, 0, v44, s0
	v_cmp_lt_i32_e64 s0, v34, v6
	v_cndmask_b32_e64 v45, 0, v45, s0
.LBB206_1188:                           ;   in Loop: Header=BB206_813 Depth=1
	s_wait_xcnt 0x0
	s_or_b32 exec_lo, exec_lo, s8
	flat_load_b32 v24, v[68:69] offset:1408
	v_mov_b64_e32 v[6:7], 0
	v_mov_b64_e32 v[12:13], 0
	s_mov_b32 s8, exec_lo
	s_wait_loadcnt_dscnt 0x0
	v_and_b32_e32 v8, 0xff, v24
	s_wait_xcnt 0x0
	s_delay_alu instid0(VALU_DEP_1)
	v_cmpx_ne_u16_e32 0, v8
	s_cbranch_execz .LBB206_1196
; %bb.1189:                             ;   in Loop: Header=BB206_813 Depth=1
	v_mov_b64_e32 v[12:13], 0x80000000
	s_mov_b32 s9, exec_lo
	v_cmpx_ne_u16_e32 0x80, v8
	s_cbranch_execz .LBB206_1195
; %bb.1190:                             ;   in Loop: Header=BB206_813 Depth=1
	v_mov_b64_e32 v[12:13], 0x7f800001
	v_and_b32_e32 v9, 0x7f, v24
	s_mov_b32 s14, exec_lo
	s_delay_alu instid0(VALU_DEP_1)
	v_cmpx_ne_u32_e32 0x7f, v9
	s_cbranch_execz .LBB206_1194
; %bb.1191:                             ;   in Loop: Header=BB206_813 Depth=1
	v_dual_lshrrev_b32 v8, 3, v9 :: v_dual_bitop2_b32 v118, 7, v24 bitop3:0x40
	s_mov_b32 s15, exec_lo
	v_cmpx_gt_u32_e32 8, v9
; %bb.1192:                             ;   in Loop: Header=BB206_813 Depth=1
	s_delay_alu instid0(VALU_DEP_2) | instskip(NEXT) | instid1(VALU_DEP_1)
	v_clz_i32_u32_e32 v8, v118
	v_min_u32_e32 v8, 32, v8
	s_delay_alu instid0(VALU_DEP_1) | instskip(SKIP_1) | instid1(VALU_DEP_2)
	v_subrev_nc_u32_e32 v9, 28, v8
	v_sub_nc_u32_e32 v8, 29, v8
	v_lshlrev_b64_e32 v[12:13], v9, v[118:119]
	s_delay_alu instid0(VALU_DEP_1)
	v_and_b32_e32 v118, 7, v12
; %bb.1193:                             ;   in Loop: Header=BB206_813 Depth=1
	s_or_b32 exec_lo, exec_lo, s15
	s_delay_alu instid0(VALU_DEP_1) | instskip(SKIP_1) | instid1(VALU_DEP_2)
	v_dual_lshlrev_b32 v9, 24, v24 :: v_dual_lshlrev_b32 v12, 20, v118
	v_lshl_add_u32 v8, v8, 23, 0x3c000000
	v_and_b32_e32 v9, 0x80000000, v9
	s_delay_alu instid0(VALU_DEP_1) | instskip(NEXT) | instid1(VALU_DEP_1)
	v_or3_b32 v118, v12, v9, v8
	v_mov_b64_e32 v[12:13], v[118:119]
.LBB206_1194:                           ;   in Loop: Header=BB206_813 Depth=1
	s_or_b32 exec_lo, exec_lo, s14
.LBB206_1195:                           ;   in Loop: Header=BB206_813 Depth=1
	s_delay_alu instid0(SALU_CYCLE_1)
	s_or_b32 exec_lo, exec_lo, s9
.LBB206_1196:                           ;   in Loop: Header=BB206_813 Depth=1
	s_delay_alu instid0(SALU_CYCLE_1) | instskip(SKIP_2) | instid1(VALU_DEP_1)
	s_or_b32 exec_lo, exec_lo, s8
	v_lshrrev_b16 v8, 8, v24
	s_mov_b32 s8, exec_lo
	v_cmpx_ne_u16_e32 0, v8
	s_cbranch_execz .LBB206_1204
; %bb.1197:                             ;   in Loop: Header=BB206_813 Depth=1
	v_mov_b64_e32 v[6:7], 0x8000000000000000
	s_mov_b32 s9, exec_lo
	v_cmpx_ne_u16_e32 0x80, v8
	s_cbranch_execz .LBB206_1203
; %bb.1198:                             ;   in Loop: Header=BB206_813 Depth=1
	v_and_b32_e32 v9, 0xffff, v8
	v_mov_b64_e32 v[6:7], 0x7f80000100000000
	s_mov_b32 s14, exec_lo
	s_delay_alu instid0(VALU_DEP_2) | instskip(NEXT) | instid1(VALU_DEP_1)
	v_and_b32_e32 v8, 0x7f, v9
	v_cmpx_ne_u32_e32 0x7f, v8
	s_cbranch_execz .LBB206_1202
; %bb.1199:                             ;   in Loop: Header=BB206_813 Depth=1
	v_dual_lshrrev_b32 v6, 3, v8 :: v_dual_bitop2_b32 v118, 7, v9 bitop3:0x40
	s_mov_b32 s15, exec_lo
	v_cmpx_gt_u32_e32 8, v8
; %bb.1200:                             ;   in Loop: Header=BB206_813 Depth=1
	s_delay_alu instid0(VALU_DEP_2) | instskip(NEXT) | instid1(VALU_DEP_1)
	v_clz_i32_u32_e32 v6, v118
	v_min_u32_e32 v6, 32, v6
	s_delay_alu instid0(VALU_DEP_1) | instskip(NEXT) | instid1(VALU_DEP_1)
	v_subrev_nc_u32_e32 v7, 28, v6
	v_lshlrev_b64_e32 v[8:9], v7, v[118:119]
	s_delay_alu instid0(VALU_DEP_1)
	v_dual_sub_nc_u32 v6, 29, v6 :: v_dual_bitop2_b32 v118, 7, v8 bitop3:0x40
; %bb.1201:                             ;   in Loop: Header=BB206_813 Depth=1
	s_or_b32 exec_lo, exec_lo, s15
	s_delay_alu instid0(VALU_DEP_1) | instskip(NEXT) | instid1(VALU_DEP_2)
	v_dual_lshlrev_b32 v7, 16, v24 :: v_dual_lshlrev_b32 v8, 20, v118
	v_lshl_add_u32 v6, v6, 23, 0x3c000000
	s_delay_alu instid0(VALU_DEP_2) | instskip(NEXT) | instid1(VALU_DEP_1)
	v_and_b32_e32 v7, 0x80000000, v7
	v_or3_b32 v7, v8, v7, v6
	v_mov_b32_e32 v6, v119
.LBB206_1202:                           ;   in Loop: Header=BB206_813 Depth=1
	s_or_b32 exec_lo, exec_lo, s14
.LBB206_1203:                           ;   in Loop: Header=BB206_813 Depth=1
	s_delay_alu instid0(SALU_CYCLE_1)
	s_or_b32 exec_lo, exec_lo, s9
.LBB206_1204:                           ;   in Loop: Header=BB206_813 Depth=1
	s_delay_alu instid0(SALU_CYCLE_1) | instskip(SKIP_4) | instid1(VALU_DEP_3)
	s_or_b32 exec_lo, exec_lo, s8
	v_lshrrev_b32_e32 v25, 16, v24
	v_mov_b64_e32 v[14:15], 0
	v_mov_b64_e32 v[8:9], 0
	s_mov_b32 s8, exec_lo
	v_and_b32_e32 v26, 0xff, v25
	s_delay_alu instid0(VALU_DEP_1)
	v_cmpx_ne_u16_e32 0, v26
	s_cbranch_execz .LBB206_1212
; %bb.1205:                             ;   in Loop: Header=BB206_813 Depth=1
	v_mov_b64_e32 v[8:9], 0x80000000
	s_mov_b32 s9, exec_lo
	v_cmpx_ne_u16_e32 0x80, v26
	s_cbranch_execz .LBB206_1211
; %bb.1206:                             ;   in Loop: Header=BB206_813 Depth=1
	v_mov_b64_e32 v[8:9], 0x7f800001
	v_bfe_u32 v26, v24, 16, 7
	s_mov_b32 s14, exec_lo
	s_delay_alu instid0(VALU_DEP_1)
	v_cmpx_ne_u32_e32 0x7f, v26
	s_cbranch_execz .LBB206_1210
; %bb.1207:                             ;   in Loop: Header=BB206_813 Depth=1
	v_dual_lshrrev_b32 v8, 3, v26 :: v_dual_bitop2_b32 v118, 7, v25 bitop3:0x40
	s_mov_b32 s15, exec_lo
	v_cmpx_gt_u32_e32 8, v26
; %bb.1208:                             ;   in Loop: Header=BB206_813 Depth=1
	s_delay_alu instid0(VALU_DEP_2) | instskip(NEXT) | instid1(VALU_DEP_1)
	v_clz_i32_u32_e32 v8, v118
	v_min_u32_e32 v8, 32, v8
	s_delay_alu instid0(VALU_DEP_1) | instskip(NEXT) | instid1(VALU_DEP_1)
	v_subrev_nc_u32_e32 v9, 28, v8
	v_lshlrev_b64_e32 v[26:27], v9, v[118:119]
	s_delay_alu instid0(VALU_DEP_1)
	v_dual_sub_nc_u32 v8, 29, v8 :: v_dual_bitop2_b32 v118, 7, v26 bitop3:0x40
; %bb.1209:                             ;   in Loop: Header=BB206_813 Depth=1
	s_or_b32 exec_lo, exec_lo, s15
	s_delay_alu instid0(VALU_DEP_1) | instskip(NEXT) | instid1(VALU_DEP_2)
	v_dual_lshlrev_b32 v9, 24, v25 :: v_dual_lshlrev_b32 v25, 20, v118
	v_lshl_add_u32 v8, v8, 23, 0x3c000000
	s_delay_alu instid0(VALU_DEP_2) | instskip(NEXT) | instid1(VALU_DEP_1)
	v_and_b32_e32 v9, 0x80000000, v9
	v_or3_b32 v118, v25, v9, v8
	s_delay_alu instid0(VALU_DEP_1)
	v_mov_b64_e32 v[8:9], v[118:119]
.LBB206_1210:                           ;   in Loop: Header=BB206_813 Depth=1
	s_or_b32 exec_lo, exec_lo, s14
.LBB206_1211:                           ;   in Loop: Header=BB206_813 Depth=1
	s_delay_alu instid0(SALU_CYCLE_1)
	s_or_b32 exec_lo, exec_lo, s9
.LBB206_1212:                           ;   in Loop: Header=BB206_813 Depth=1
	s_delay_alu instid0(SALU_CYCLE_1) | instskip(NEXT) | instid1(SALU_CYCLE_1)
	s_or_b32 exec_lo, exec_lo, s8
	s_mov_b32 s8, exec_lo
	v_cmpx_lt_u32_e32 0xffffff, v24
	s_cbranch_execz .LBB206_1220
; %bb.1213:                             ;   in Loop: Header=BB206_813 Depth=1
	v_mov_b64_e32 v[14:15], 0x8000000000000000
	v_lshrrev_b32_e32 v25, 24, v24
	s_mov_b32 s9, exec_lo
	s_delay_alu instid0(VALU_DEP_1)
	v_cmpx_ne_u32_e32 0x80, v25
	s_cbranch_execz .LBB206_1219
; %bb.1214:                             ;   in Loop: Header=BB206_813 Depth=1
	v_mov_b64_e32 v[14:15], 0x7f80000100000000
	v_bfe_u32 v24, v24, 24, 7
	s_mov_b32 s14, exec_lo
	s_delay_alu instid0(VALU_DEP_1)
	v_cmpx_ne_u32_e32 0x7f, v24
	s_cbranch_execz .LBB206_1218
; %bb.1215:                             ;   in Loop: Header=BB206_813 Depth=1
	v_dual_lshrrev_b32 v14, 3, v24 :: v_dual_bitop2_b32 v118, 7, v25 bitop3:0x40
	s_mov_b32 s15, exec_lo
	v_cmpx_gt_u32_e32 8, v24
; %bb.1216:                             ;   in Loop: Header=BB206_813 Depth=1
	s_delay_alu instid0(VALU_DEP_2) | instskip(NEXT) | instid1(VALU_DEP_1)
	v_clz_i32_u32_e32 v14, v118
	v_min_u32_e32 v14, 32, v14
	s_delay_alu instid0(VALU_DEP_1) | instskip(SKIP_1) | instid1(VALU_DEP_2)
	v_subrev_nc_u32_e32 v15, 28, v14
	v_sub_nc_u32_e32 v14, 29, v14
	v_lshlrev_b64_e32 v[26:27], v15, v[118:119]
	s_delay_alu instid0(VALU_DEP_1)
	v_and_b32_e32 v118, 7, v26
; %bb.1217:                             ;   in Loop: Header=BB206_813 Depth=1
	s_or_b32 exec_lo, exec_lo, s15
	s_delay_alu instid0(VALU_DEP_1) | instskip(SKIP_1) | instid1(VALU_DEP_2)
	v_dual_lshlrev_b32 v15, 24, v25 :: v_dual_lshlrev_b32 v24, 20, v118
	v_lshl_add_u32 v14, v14, 23, 0x3c000000
	v_and_b32_e32 v15, 0x80000000, v15
	s_delay_alu instid0(VALU_DEP_1)
	v_or3_b32 v15, v24, v15, v14
	v_mov_b32_e32 v14, v119
.LBB206_1218:                           ;   in Loop: Header=BB206_813 Depth=1
	s_or_b32 exec_lo, exec_lo, s14
.LBB206_1219:                           ;   in Loop: Header=BB206_813 Depth=1
	s_delay_alu instid0(SALU_CYCLE_1)
	s_or_b32 exec_lo, exec_lo, s9
.LBB206_1220:                           ;   in Loop: Header=BB206_813 Depth=1
	s_delay_alu instid0(SALU_CYCLE_1) | instskip(SKIP_4) | instid1(VALU_DEP_3)
	s_or_b32 exec_lo, exec_lo, s8
	v_or_b32_e32 v7, v7, v13
	v_or_b32_e32 v6, v6, v12
	;; [unrolled: 1-line block ×4, first 2 shown]
	v_pk_mul_f32 v[58:59], v[54:55], v[6:7]
	s_delay_alu instid0(VALU_DEP_2)
	v_pk_mul_f32 v[56:57], v[54:55], v[8:9]
	s_and_saveexec_b32 s8, vcc_lo
	s_cbranch_execz .LBB206_1222
; %bb.1221:                             ;   in Loop: Header=BB206_813 Depth=1
	scratch_load_b64 v[6:7], off, s32 offset:200 ; 8-byte Folded Reload
	s_wait_loadcnt 0x0
	v_cmp_lt_i32_e64 s0, v33, v6
	s_delay_alu instid0(VALU_DEP_1) | instskip(SKIP_1) | instid1(VALU_DEP_1)
	v_cndmask_b32_e64 v58, 0, v58, s0
	v_cmp_lt_i32_e64 s0, v43, v6
	v_cndmask_b32_e64 v59, 0, v59, s0
	v_cmp_lt_i32_e64 s0, v35, v6
	s_delay_alu instid0(VALU_DEP_1) | instskip(SKIP_1) | instid1(VALU_DEP_1)
	v_cndmask_b32_e64 v56, 0, v56, s0
	v_cmp_lt_i32_e64 s0, v34, v6
	v_cndmask_b32_e64 v57, 0, v57, s0
.LBB206_1222:                           ;   in Loop: Header=BB206_813 Depth=1
	s_wait_xcnt 0x0
	s_or_b32 exec_lo, exec_lo, s8
	flat_load_b32 v8, v[68:69] offset:1536
	v_mov_b64_e32 v[12:13], 0
	v_mov_b64_e32 v[6:7], 0
	s_mov_b32 s8, exec_lo
	s_wait_loadcnt_dscnt 0x0
	v_and_b32_e32 v9, 0xff, v8
	s_wait_xcnt 0x0
	s_delay_alu instid0(VALU_DEP_1)
	v_cmpx_ne_u16_e32 0, v9
	s_cbranch_execz .LBB206_1230
; %bb.1223:                             ;   in Loop: Header=BB206_813 Depth=1
	v_mov_b64_e32 v[6:7], 0x80000000
	s_mov_b32 s9, exec_lo
	v_cmpx_ne_u16_e32 0x80, v9
	s_cbranch_execz .LBB206_1229
; %bb.1224:                             ;   in Loop: Header=BB206_813 Depth=1
	v_mov_b64_e32 v[6:7], 0x7f800001
	v_and_b32_e32 v9, 0x7f, v8
	s_mov_b32 s14, exec_lo
	s_delay_alu instid0(VALU_DEP_1)
	v_cmpx_ne_u32_e32 0x7f, v9
	s_cbranch_execz .LBB206_1228
; %bb.1225:                             ;   in Loop: Header=BB206_813 Depth=1
	v_dual_lshrrev_b32 v6, 3, v9 :: v_dual_bitop2_b32 v118, 7, v8 bitop3:0x40
	s_mov_b32 s15, exec_lo
	v_cmpx_gt_u32_e32 8, v9
; %bb.1226:                             ;   in Loop: Header=BB206_813 Depth=1
	s_delay_alu instid0(VALU_DEP_2) | instskip(NEXT) | instid1(VALU_DEP_1)
	v_clz_i32_u32_e32 v6, v118
	v_min_u32_e32 v6, 32, v6
	s_delay_alu instid0(VALU_DEP_1) | instskip(SKIP_1) | instid1(VALU_DEP_2)
	v_subrev_nc_u32_e32 v7, 28, v6
	v_sub_nc_u32_e32 v6, 29, v6
	v_lshlrev_b64_e32 v[14:15], v7, v[118:119]
	s_delay_alu instid0(VALU_DEP_1)
	v_and_b32_e32 v118, 7, v14
; %bb.1227:                             ;   in Loop: Header=BB206_813 Depth=1
	s_or_b32 exec_lo, exec_lo, s15
	s_delay_alu instid0(VALU_DEP_1) | instskip(SKIP_1) | instid1(VALU_DEP_2)
	v_dual_lshlrev_b32 v7, 24, v8 :: v_dual_lshlrev_b32 v9, 20, v118
	v_lshl_add_u32 v6, v6, 23, 0x3c000000
	v_and_b32_e32 v7, 0x80000000, v7
	s_delay_alu instid0(VALU_DEP_1) | instskip(NEXT) | instid1(VALU_DEP_1)
	v_or3_b32 v118, v9, v7, v6
	v_mov_b64_e32 v[6:7], v[118:119]
.LBB206_1228:                           ;   in Loop: Header=BB206_813 Depth=1
	s_or_b32 exec_lo, exec_lo, s14
.LBB206_1229:                           ;   in Loop: Header=BB206_813 Depth=1
	s_delay_alu instid0(SALU_CYCLE_1)
	s_or_b32 exec_lo, exec_lo, s9
.LBB206_1230:                           ;   in Loop: Header=BB206_813 Depth=1
	s_delay_alu instid0(SALU_CYCLE_1) | instskip(SKIP_2) | instid1(VALU_DEP_1)
	s_or_b32 exec_lo, exec_lo, s8
	v_lshrrev_b16 v9, 8, v8
	s_mov_b32 s8, exec_lo
	v_cmpx_ne_u16_e32 0, v9
	s_cbranch_execz .LBB206_1238
; %bb.1231:                             ;   in Loop: Header=BB206_813 Depth=1
	v_mov_b64_e32 v[12:13], 0x8000000000000000
	s_mov_b32 s9, exec_lo
	v_cmpx_ne_u16_e32 0x80, v9
	s_cbranch_execz .LBB206_1237
; %bb.1232:                             ;   in Loop: Header=BB206_813 Depth=1
	v_and_b32_e32 v9, 0xffff, v9
	v_mov_b64_e32 v[12:13], 0x7f80000100000000
	s_mov_b32 s14, exec_lo
	s_delay_alu instid0(VALU_DEP_2) | instskip(NEXT) | instid1(VALU_DEP_1)
	v_and_b32_e32 v14, 0x7f, v9
	v_cmpx_ne_u32_e32 0x7f, v14
	s_cbranch_execz .LBB206_1236
; %bb.1233:                             ;   in Loop: Header=BB206_813 Depth=1
	v_dual_lshrrev_b32 v9, 3, v14 :: v_dual_bitop2_b32 v118, 7, v9 bitop3:0x40
	s_mov_b32 s15, exec_lo
	v_cmpx_gt_u32_e32 8, v14
; %bb.1234:                             ;   in Loop: Header=BB206_813 Depth=1
	s_delay_alu instid0(VALU_DEP_2) | instskip(NEXT) | instid1(VALU_DEP_1)
	v_clz_i32_u32_e32 v9, v118
	v_min_u32_e32 v9, 32, v9
	s_delay_alu instid0(VALU_DEP_1) | instskip(NEXT) | instid1(VALU_DEP_1)
	v_subrev_nc_u32_e32 v12, 28, v9
	v_lshlrev_b64_e32 v[12:13], v12, v[118:119]
	s_delay_alu instid0(VALU_DEP_1)
	v_dual_sub_nc_u32 v9, 29, v9 :: v_dual_bitop2_b32 v118, 7, v12 bitop3:0x40
; %bb.1235:                             ;   in Loop: Header=BB206_813 Depth=1
	s_or_b32 exec_lo, exec_lo, s15
	s_delay_alu instid0(VALU_DEP_1) | instskip(NEXT) | instid1(VALU_DEP_2)
	v_dual_lshlrev_b32 v12, 16, v8 :: v_dual_lshlrev_b32 v13, 20, v118
	v_lshl_add_u32 v9, v9, 23, 0x3c000000
	s_delay_alu instid0(VALU_DEP_2) | instskip(NEXT) | instid1(VALU_DEP_1)
	v_and_b32_e32 v12, 0x80000000, v12
	v_or3_b32 v13, v13, v12, v9
	v_mov_b32_e32 v12, v119
.LBB206_1236:                           ;   in Loop: Header=BB206_813 Depth=1
	s_or_b32 exec_lo, exec_lo, s14
.LBB206_1237:                           ;   in Loop: Header=BB206_813 Depth=1
	s_delay_alu instid0(SALU_CYCLE_1)
	s_or_b32 exec_lo, exec_lo, s9
.LBB206_1238:                           ;   in Loop: Header=BB206_813 Depth=1
	s_delay_alu instid0(SALU_CYCLE_1) | instskip(SKIP_4) | instid1(VALU_DEP_3)
	s_or_b32 exec_lo, exec_lo, s8
	v_lshrrev_b32_e32 v9, 16, v8
	v_mov_b64_e32 v[14:15], 0
	v_mov_b64_e32 v[24:25], 0
	s_mov_b32 s8, exec_lo
	v_and_b32_e32 v26, 0xff, v9
	s_delay_alu instid0(VALU_DEP_1)
	v_cmpx_ne_u16_e32 0, v26
	s_cbranch_execz .LBB206_1246
; %bb.1239:                             ;   in Loop: Header=BB206_813 Depth=1
	v_mov_b64_e32 v[24:25], 0x80000000
	s_mov_b32 s9, exec_lo
	v_cmpx_ne_u16_e32 0x80, v26
	s_cbranch_execz .LBB206_1245
; %bb.1240:                             ;   in Loop: Header=BB206_813 Depth=1
	v_mov_b64_e32 v[24:25], 0x7f800001
	v_bfe_u32 v26, v8, 16, 7
	s_mov_b32 s14, exec_lo
	s_delay_alu instid0(VALU_DEP_1)
	v_cmpx_ne_u32_e32 0x7f, v26
	s_cbranch_execz .LBB206_1244
; %bb.1241:                             ;   in Loop: Header=BB206_813 Depth=1
	v_dual_lshrrev_b32 v24, 3, v26 :: v_dual_bitop2_b32 v118, 7, v9 bitop3:0x40
	s_mov_b32 s15, exec_lo
	v_cmpx_gt_u32_e32 8, v26
; %bb.1242:                             ;   in Loop: Header=BB206_813 Depth=1
	s_delay_alu instid0(VALU_DEP_2) | instskip(NEXT) | instid1(VALU_DEP_1)
	v_clz_i32_u32_e32 v24, v118
	v_min_u32_e32 v24, 32, v24
	s_delay_alu instid0(VALU_DEP_1) | instskip(NEXT) | instid1(VALU_DEP_1)
	v_subrev_nc_u32_e32 v25, 28, v24
	v_lshlrev_b64_e32 v[26:27], v25, v[118:119]
	s_delay_alu instid0(VALU_DEP_1)
	v_dual_sub_nc_u32 v24, 29, v24 :: v_dual_bitop2_b32 v118, 7, v26 bitop3:0x40
; %bb.1243:                             ;   in Loop: Header=BB206_813 Depth=1
	s_or_b32 exec_lo, exec_lo, s15
	s_delay_alu instid0(VALU_DEP_1) | instskip(NEXT) | instid1(VALU_DEP_2)
	v_dual_lshlrev_b32 v9, 24, v9 :: v_dual_lshlrev_b32 v25, 20, v118
	v_lshl_add_u32 v24, v24, 23, 0x3c000000
	s_delay_alu instid0(VALU_DEP_2) | instskip(NEXT) | instid1(VALU_DEP_1)
	v_and_b32_e32 v9, 0x80000000, v9
	v_or3_b32 v118, v25, v9, v24
	s_delay_alu instid0(VALU_DEP_1)
	v_mov_b64_e32 v[24:25], v[118:119]
.LBB206_1244:                           ;   in Loop: Header=BB206_813 Depth=1
	s_or_b32 exec_lo, exec_lo, s14
.LBB206_1245:                           ;   in Loop: Header=BB206_813 Depth=1
	s_delay_alu instid0(SALU_CYCLE_1)
	s_or_b32 exec_lo, exec_lo, s9
.LBB206_1246:                           ;   in Loop: Header=BB206_813 Depth=1
	s_delay_alu instid0(SALU_CYCLE_1) | instskip(NEXT) | instid1(SALU_CYCLE_1)
	s_or_b32 exec_lo, exec_lo, s8
	s_mov_b32 s8, exec_lo
	v_cmpx_lt_u32_e32 0xffffff, v8
	s_cbranch_execz .LBB206_1254
; %bb.1247:                             ;   in Loop: Header=BB206_813 Depth=1
	v_mov_b64_e32 v[14:15], 0x8000000000000000
	v_lshrrev_b32_e32 v9, 24, v8
	s_mov_b32 s9, exec_lo
	s_delay_alu instid0(VALU_DEP_1)
	v_cmpx_ne_u32_e32 0x80, v9
	s_cbranch_execz .LBB206_1253
; %bb.1248:                             ;   in Loop: Header=BB206_813 Depth=1
	v_mov_b64_e32 v[14:15], 0x7f80000100000000
	v_bfe_u32 v26, v8, 24, 7
	s_mov_b32 s14, exec_lo
	s_delay_alu instid0(VALU_DEP_1)
	v_cmpx_ne_u32_e32 0x7f, v26
	s_cbranch_execz .LBB206_1252
; %bb.1249:                             ;   in Loop: Header=BB206_813 Depth=1
	v_dual_lshrrev_b32 v8, 3, v26 :: v_dual_bitop2_b32 v118, 7, v9 bitop3:0x40
	s_mov_b32 s15, exec_lo
	v_cmpx_gt_u32_e32 8, v26
; %bb.1250:                             ;   in Loop: Header=BB206_813 Depth=1
	s_delay_alu instid0(VALU_DEP_2) | instskip(NEXT) | instid1(VALU_DEP_1)
	v_clz_i32_u32_e32 v8, v118
	v_min_u32_e32 v8, 32, v8
	s_delay_alu instid0(VALU_DEP_1) | instskip(NEXT) | instid1(VALU_DEP_1)
	v_subrev_nc_u32_e32 v14, 28, v8
	v_lshlrev_b64_e32 v[14:15], v14, v[118:119]
	s_delay_alu instid0(VALU_DEP_1)
	v_dual_sub_nc_u32 v8, 29, v8 :: v_dual_bitop2_b32 v118, 7, v14 bitop3:0x40
; %bb.1251:                             ;   in Loop: Header=BB206_813 Depth=1
	s_or_b32 exec_lo, exec_lo, s15
	s_delay_alu instid0(VALU_DEP_1) | instskip(NEXT) | instid1(VALU_DEP_2)
	v_dual_lshlrev_b32 v9, 24, v9 :: v_dual_lshlrev_b32 v14, 20, v118
	v_lshl_add_u32 v8, v8, 23, 0x3c000000
	s_delay_alu instid0(VALU_DEP_2) | instskip(NEXT) | instid1(VALU_DEP_1)
	v_and_b32_e32 v9, 0x80000000, v9
	v_or3_b32 v15, v14, v9, v8
	v_mov_b32_e32 v14, v119
.LBB206_1252:                           ;   in Loop: Header=BB206_813 Depth=1
	s_or_b32 exec_lo, exec_lo, s14
.LBB206_1253:                           ;   in Loop: Header=BB206_813 Depth=1
	s_delay_alu instid0(SALU_CYCLE_1)
	s_or_b32 exec_lo, exec_lo, s9
.LBB206_1254:                           ;   in Loop: Header=BB206_813 Depth=1
	s_delay_alu instid0(SALU_CYCLE_1) | instskip(SKIP_4) | instid1(VALU_DEP_3)
	s_or_b32 exec_lo, exec_lo, s8
	v_or_b32_e32 v7, v13, v7
	v_or_b32_e32 v6, v12, v6
	;; [unrolled: 1-line block ×4, first 2 shown]
	v_pk_mul_f32 v[62:63], v[54:55], v[6:7]
	s_delay_alu instid0(VALU_DEP_2)
	v_pk_mul_f32 v[60:61], v[54:55], v[8:9]
	s_and_saveexec_b32 s8, vcc_lo
	s_cbranch_execz .LBB206_1256
; %bb.1255:                             ;   in Loop: Header=BB206_813 Depth=1
	scratch_load_b64 v[6:7], off, s32 offset:200 ; 8-byte Folded Reload
	s_wait_loadcnt 0x0
	v_cmp_lt_i32_e64 s0, v33, v6
	s_delay_alu instid0(VALU_DEP_1) | instskip(SKIP_1) | instid1(VALU_DEP_1)
	v_cndmask_b32_e64 v62, 0, v62, s0
	v_cmp_lt_i32_e64 s0, v43, v6
	v_cndmask_b32_e64 v63, 0, v63, s0
	v_cmp_lt_i32_e64 s0, v35, v6
	s_delay_alu instid0(VALU_DEP_1) | instskip(SKIP_1) | instid1(VALU_DEP_1)
	v_cndmask_b32_e64 v60, 0, v60, s0
	v_cmp_lt_i32_e64 s0, v34, v6
	v_cndmask_b32_e64 v61, 0, v61, s0
.LBB206_1256:                           ;   in Loop: Header=BB206_813 Depth=1
	s_wait_xcnt 0x0
	s_or_b32 exec_lo, exec_lo, s8
	flat_load_b32 v8, v[68:69] offset:1664
	v_mov_b64_e32 v[12:13], 0
	v_mov_b64_e32 v[6:7], 0
	s_mov_b32 s8, exec_lo
	s_wait_loadcnt_dscnt 0x0
	v_and_b32_e32 v9, 0xff, v8
	s_wait_xcnt 0x0
	s_delay_alu instid0(VALU_DEP_1)
	v_cmpx_ne_u16_e32 0, v9
	s_cbranch_execz .LBB206_1264
; %bb.1257:                             ;   in Loop: Header=BB206_813 Depth=1
	v_mov_b64_e32 v[6:7], 0x80000000
	s_mov_b32 s9, exec_lo
	v_cmpx_ne_u16_e32 0x80, v9
	s_cbranch_execz .LBB206_1263
; %bb.1258:                             ;   in Loop: Header=BB206_813 Depth=1
	v_mov_b64_e32 v[6:7], 0x7f800001
	v_and_b32_e32 v9, 0x7f, v8
	s_mov_b32 s14, exec_lo
	s_delay_alu instid0(VALU_DEP_1)
	v_cmpx_ne_u32_e32 0x7f, v9
	s_cbranch_execz .LBB206_1262
; %bb.1259:                             ;   in Loop: Header=BB206_813 Depth=1
	v_dual_lshrrev_b32 v6, 3, v9 :: v_dual_bitop2_b32 v118, 7, v8 bitop3:0x40
	s_mov_b32 s15, exec_lo
	v_cmpx_gt_u32_e32 8, v9
; %bb.1260:                             ;   in Loop: Header=BB206_813 Depth=1
	s_delay_alu instid0(VALU_DEP_2) | instskip(NEXT) | instid1(VALU_DEP_1)
	v_clz_i32_u32_e32 v6, v118
	v_min_u32_e32 v6, 32, v6
	s_delay_alu instid0(VALU_DEP_1) | instskip(SKIP_1) | instid1(VALU_DEP_2)
	v_subrev_nc_u32_e32 v7, 28, v6
	v_sub_nc_u32_e32 v6, 29, v6
	v_lshlrev_b64_e32 v[14:15], v7, v[118:119]
	s_delay_alu instid0(VALU_DEP_1)
	v_and_b32_e32 v118, 7, v14
; %bb.1261:                             ;   in Loop: Header=BB206_813 Depth=1
	s_or_b32 exec_lo, exec_lo, s15
	s_delay_alu instid0(VALU_DEP_1) | instskip(SKIP_1) | instid1(VALU_DEP_2)
	v_dual_lshlrev_b32 v7, 24, v8 :: v_dual_lshlrev_b32 v9, 20, v118
	v_lshl_add_u32 v6, v6, 23, 0x3c000000
	v_and_b32_e32 v7, 0x80000000, v7
	s_delay_alu instid0(VALU_DEP_1) | instskip(NEXT) | instid1(VALU_DEP_1)
	v_or3_b32 v118, v9, v7, v6
	v_mov_b64_e32 v[6:7], v[118:119]
.LBB206_1262:                           ;   in Loop: Header=BB206_813 Depth=1
	s_or_b32 exec_lo, exec_lo, s14
.LBB206_1263:                           ;   in Loop: Header=BB206_813 Depth=1
	s_delay_alu instid0(SALU_CYCLE_1)
	s_or_b32 exec_lo, exec_lo, s9
.LBB206_1264:                           ;   in Loop: Header=BB206_813 Depth=1
	s_delay_alu instid0(SALU_CYCLE_1) | instskip(SKIP_2) | instid1(VALU_DEP_1)
	s_or_b32 exec_lo, exec_lo, s8
	v_lshrrev_b16 v9, 8, v8
	s_mov_b32 s8, exec_lo
	v_cmpx_ne_u16_e32 0, v9
	s_cbranch_execz .LBB206_1272
; %bb.1265:                             ;   in Loop: Header=BB206_813 Depth=1
	v_mov_b64_e32 v[12:13], 0x8000000000000000
	s_mov_b32 s9, exec_lo
	v_cmpx_ne_u16_e32 0x80, v9
	s_cbranch_execz .LBB206_1271
; %bb.1266:                             ;   in Loop: Header=BB206_813 Depth=1
	v_and_b32_e32 v9, 0xffff, v9
	v_mov_b64_e32 v[12:13], 0x7f80000100000000
	s_mov_b32 s14, exec_lo
	s_delay_alu instid0(VALU_DEP_2) | instskip(NEXT) | instid1(VALU_DEP_1)
	v_and_b32_e32 v14, 0x7f, v9
	v_cmpx_ne_u32_e32 0x7f, v14
	s_cbranch_execz .LBB206_1270
; %bb.1267:                             ;   in Loop: Header=BB206_813 Depth=1
	v_dual_lshrrev_b32 v9, 3, v14 :: v_dual_bitop2_b32 v118, 7, v9 bitop3:0x40
	s_mov_b32 s15, exec_lo
	v_cmpx_gt_u32_e32 8, v14
; %bb.1268:                             ;   in Loop: Header=BB206_813 Depth=1
	s_delay_alu instid0(VALU_DEP_2) | instskip(NEXT) | instid1(VALU_DEP_1)
	v_clz_i32_u32_e32 v9, v118
	v_min_u32_e32 v9, 32, v9
	s_delay_alu instid0(VALU_DEP_1) | instskip(NEXT) | instid1(VALU_DEP_1)
	v_subrev_nc_u32_e32 v12, 28, v9
	v_lshlrev_b64_e32 v[12:13], v12, v[118:119]
	s_delay_alu instid0(VALU_DEP_1)
	v_dual_sub_nc_u32 v9, 29, v9 :: v_dual_bitop2_b32 v118, 7, v12 bitop3:0x40
; %bb.1269:                             ;   in Loop: Header=BB206_813 Depth=1
	s_or_b32 exec_lo, exec_lo, s15
	s_delay_alu instid0(VALU_DEP_1) | instskip(NEXT) | instid1(VALU_DEP_2)
	v_dual_lshlrev_b32 v12, 16, v8 :: v_dual_lshlrev_b32 v13, 20, v118
	v_lshl_add_u32 v9, v9, 23, 0x3c000000
	s_delay_alu instid0(VALU_DEP_2) | instskip(NEXT) | instid1(VALU_DEP_1)
	v_and_b32_e32 v12, 0x80000000, v12
	v_or3_b32 v13, v13, v12, v9
	v_mov_b32_e32 v12, v119
.LBB206_1270:                           ;   in Loop: Header=BB206_813 Depth=1
	s_or_b32 exec_lo, exec_lo, s14
.LBB206_1271:                           ;   in Loop: Header=BB206_813 Depth=1
	s_delay_alu instid0(SALU_CYCLE_1)
	s_or_b32 exec_lo, exec_lo, s9
.LBB206_1272:                           ;   in Loop: Header=BB206_813 Depth=1
	s_delay_alu instid0(SALU_CYCLE_1) | instskip(SKIP_4) | instid1(VALU_DEP_3)
	s_or_b32 exec_lo, exec_lo, s8
	v_lshrrev_b32_e32 v9, 16, v8
	v_mov_b64_e32 v[14:15], 0
	v_mov_b64_e32 v[24:25], 0
	s_mov_b32 s8, exec_lo
	v_and_b32_e32 v26, 0xff, v9
	s_delay_alu instid0(VALU_DEP_1)
	v_cmpx_ne_u16_e32 0, v26
	s_cbranch_execz .LBB206_1280
; %bb.1273:                             ;   in Loop: Header=BB206_813 Depth=1
	v_mov_b64_e32 v[24:25], 0x80000000
	s_mov_b32 s9, exec_lo
	v_cmpx_ne_u16_e32 0x80, v26
	s_cbranch_execz .LBB206_1279
; %bb.1274:                             ;   in Loop: Header=BB206_813 Depth=1
	v_mov_b64_e32 v[24:25], 0x7f800001
	v_bfe_u32 v26, v8, 16, 7
	s_mov_b32 s14, exec_lo
	s_delay_alu instid0(VALU_DEP_1)
	v_cmpx_ne_u32_e32 0x7f, v26
	s_cbranch_execz .LBB206_1278
; %bb.1275:                             ;   in Loop: Header=BB206_813 Depth=1
	v_dual_lshrrev_b32 v24, 3, v26 :: v_dual_bitop2_b32 v118, 7, v9 bitop3:0x40
	s_mov_b32 s15, exec_lo
	v_cmpx_gt_u32_e32 8, v26
; %bb.1276:                             ;   in Loop: Header=BB206_813 Depth=1
	s_delay_alu instid0(VALU_DEP_2) | instskip(NEXT) | instid1(VALU_DEP_1)
	v_clz_i32_u32_e32 v24, v118
	v_min_u32_e32 v24, 32, v24
	s_delay_alu instid0(VALU_DEP_1) | instskip(NEXT) | instid1(VALU_DEP_1)
	v_subrev_nc_u32_e32 v25, 28, v24
	v_lshlrev_b64_e32 v[26:27], v25, v[118:119]
	s_delay_alu instid0(VALU_DEP_1)
	v_dual_sub_nc_u32 v24, 29, v24 :: v_dual_bitop2_b32 v118, 7, v26 bitop3:0x40
; %bb.1277:                             ;   in Loop: Header=BB206_813 Depth=1
	s_or_b32 exec_lo, exec_lo, s15
	s_delay_alu instid0(VALU_DEP_1) | instskip(NEXT) | instid1(VALU_DEP_2)
	v_dual_lshlrev_b32 v9, 24, v9 :: v_dual_lshlrev_b32 v25, 20, v118
	v_lshl_add_u32 v24, v24, 23, 0x3c000000
	s_delay_alu instid0(VALU_DEP_2) | instskip(NEXT) | instid1(VALU_DEP_1)
	v_and_b32_e32 v9, 0x80000000, v9
	v_or3_b32 v118, v25, v9, v24
	s_delay_alu instid0(VALU_DEP_1)
	v_mov_b64_e32 v[24:25], v[118:119]
.LBB206_1278:                           ;   in Loop: Header=BB206_813 Depth=1
	s_or_b32 exec_lo, exec_lo, s14
.LBB206_1279:                           ;   in Loop: Header=BB206_813 Depth=1
	s_delay_alu instid0(SALU_CYCLE_1)
	s_or_b32 exec_lo, exec_lo, s9
.LBB206_1280:                           ;   in Loop: Header=BB206_813 Depth=1
	s_delay_alu instid0(SALU_CYCLE_1) | instskip(NEXT) | instid1(SALU_CYCLE_1)
	s_or_b32 exec_lo, exec_lo, s8
	s_mov_b32 s8, exec_lo
	v_cmpx_lt_u32_e32 0xffffff, v8
	s_cbranch_execz .LBB206_1288
; %bb.1281:                             ;   in Loop: Header=BB206_813 Depth=1
	v_mov_b64_e32 v[14:15], 0x8000000000000000
	v_lshrrev_b32_e32 v9, 24, v8
	s_mov_b32 s9, exec_lo
	s_delay_alu instid0(VALU_DEP_1)
	v_cmpx_ne_u32_e32 0x80, v9
	s_cbranch_execz .LBB206_1287
; %bb.1282:                             ;   in Loop: Header=BB206_813 Depth=1
	v_mov_b64_e32 v[14:15], 0x7f80000100000000
	v_bfe_u32 v26, v8, 24, 7
	s_mov_b32 s14, exec_lo
	s_delay_alu instid0(VALU_DEP_1)
	v_cmpx_ne_u32_e32 0x7f, v26
	s_cbranch_execz .LBB206_1286
; %bb.1283:                             ;   in Loop: Header=BB206_813 Depth=1
	v_dual_lshrrev_b32 v8, 3, v26 :: v_dual_bitop2_b32 v118, 7, v9 bitop3:0x40
	s_mov_b32 s15, exec_lo
	v_cmpx_gt_u32_e32 8, v26
; %bb.1284:                             ;   in Loop: Header=BB206_813 Depth=1
	s_delay_alu instid0(VALU_DEP_2) | instskip(NEXT) | instid1(VALU_DEP_1)
	v_clz_i32_u32_e32 v8, v118
	v_min_u32_e32 v8, 32, v8
	s_delay_alu instid0(VALU_DEP_1) | instskip(NEXT) | instid1(VALU_DEP_1)
	v_subrev_nc_u32_e32 v14, 28, v8
	v_lshlrev_b64_e32 v[14:15], v14, v[118:119]
	s_delay_alu instid0(VALU_DEP_1)
	v_dual_sub_nc_u32 v8, 29, v8 :: v_dual_bitop2_b32 v118, 7, v14 bitop3:0x40
; %bb.1285:                             ;   in Loop: Header=BB206_813 Depth=1
	s_or_b32 exec_lo, exec_lo, s15
	s_delay_alu instid0(VALU_DEP_1) | instskip(NEXT) | instid1(VALU_DEP_2)
	v_dual_lshlrev_b32 v9, 24, v9 :: v_dual_lshlrev_b32 v14, 20, v118
	v_lshl_add_u32 v8, v8, 23, 0x3c000000
	s_delay_alu instid0(VALU_DEP_2) | instskip(NEXT) | instid1(VALU_DEP_1)
	v_and_b32_e32 v9, 0x80000000, v9
	v_or3_b32 v15, v14, v9, v8
	v_mov_b32_e32 v14, v119
.LBB206_1286:                           ;   in Loop: Header=BB206_813 Depth=1
	s_or_b32 exec_lo, exec_lo, s14
.LBB206_1287:                           ;   in Loop: Header=BB206_813 Depth=1
	s_delay_alu instid0(SALU_CYCLE_1)
	s_or_b32 exec_lo, exec_lo, s9
.LBB206_1288:                           ;   in Loop: Header=BB206_813 Depth=1
	s_delay_alu instid0(SALU_CYCLE_1) | instskip(SKIP_4) | instid1(VALU_DEP_3)
	s_or_b32 exec_lo, exec_lo, s8
	v_or_b32_e32 v7, v13, v7
	v_or_b32_e32 v6, v12, v6
	;; [unrolled: 1-line block ×4, first 2 shown]
	v_pk_mul_f32 v[74:75], v[54:55], v[6:7]
	s_delay_alu instid0(VALU_DEP_2)
	v_pk_mul_f32 v[72:73], v[54:55], v[8:9]
	s_and_saveexec_b32 s8, vcc_lo
	s_cbranch_execz .LBB206_1290
; %bb.1289:                             ;   in Loop: Header=BB206_813 Depth=1
	scratch_load_b64 v[6:7], off, s32 offset:200 ; 8-byte Folded Reload
	s_wait_loadcnt 0x0
	v_cmp_lt_i32_e64 s0, v33, v6
	s_delay_alu instid0(VALU_DEP_1) | instskip(SKIP_1) | instid1(VALU_DEP_1)
	v_cndmask_b32_e64 v74, 0, v74, s0
	v_cmp_lt_i32_e64 s0, v43, v6
	v_cndmask_b32_e64 v75, 0, v75, s0
	v_cmp_lt_i32_e64 s0, v35, v6
	s_delay_alu instid0(VALU_DEP_1) | instskip(SKIP_1) | instid1(VALU_DEP_1)
	v_cndmask_b32_e64 v72, 0, v72, s0
	v_cmp_lt_i32_e64 s0, v34, v6
	v_cndmask_b32_e64 v73, 0, v73, s0
.LBB206_1290:                           ;   in Loop: Header=BB206_813 Depth=1
	s_wait_xcnt 0x0
	s_or_b32 exec_lo, exec_lo, s8
	flat_load_b32 v8, v[68:69] offset:1792
	v_mov_b64_e32 v[12:13], 0
	v_mov_b64_e32 v[14:15], 0
	s_mov_b32 s8, exec_lo
	s_wait_loadcnt_dscnt 0x0
	v_and_b32_e32 v6, 0xff, v8
	s_wait_xcnt 0x0
	s_delay_alu instid0(VALU_DEP_1)
	v_cmpx_ne_u16_e32 0, v6
	s_cbranch_execz .LBB206_1298
; %bb.1291:                             ;   in Loop: Header=BB206_813 Depth=1
	v_mov_b64_e32 v[14:15], 0x80000000
	s_mov_b32 s9, exec_lo
	v_cmpx_ne_u16_e32 0x80, v6
	s_cbranch_execz .LBB206_1297
; %bb.1292:                             ;   in Loop: Header=BB206_813 Depth=1
	v_mov_b64_e32 v[14:15], 0x7f800001
	v_and_b32_e32 v7, 0x7f, v8
	s_mov_b32 s14, exec_lo
	s_delay_alu instid0(VALU_DEP_1)
	v_cmpx_ne_u32_e32 0x7f, v7
	s_cbranch_execz .LBB206_1296
; %bb.1293:                             ;   in Loop: Header=BB206_813 Depth=1
	v_dual_lshrrev_b32 v6, 3, v7 :: v_dual_bitop2_b32 v118, 7, v8 bitop3:0x40
	s_mov_b32 s15, exec_lo
	v_cmpx_gt_u32_e32 8, v7
; %bb.1294:                             ;   in Loop: Header=BB206_813 Depth=1
	s_delay_alu instid0(VALU_DEP_2) | instskip(NEXT) | instid1(VALU_DEP_1)
	v_clz_i32_u32_e32 v6, v118
	v_min_u32_e32 v6, 32, v6
	s_delay_alu instid0(VALU_DEP_1) | instskip(SKIP_1) | instid1(VALU_DEP_2)
	v_subrev_nc_u32_e32 v7, 28, v6
	v_sub_nc_u32_e32 v6, 29, v6
	v_lshlrev_b64_e32 v[14:15], v7, v[118:119]
	s_delay_alu instid0(VALU_DEP_1)
	v_and_b32_e32 v118, 7, v14
; %bb.1295:                             ;   in Loop: Header=BB206_813 Depth=1
	s_or_b32 exec_lo, exec_lo, s15
	s_delay_alu instid0(VALU_DEP_1) | instskip(SKIP_1) | instid1(VALU_DEP_2)
	v_dual_lshlrev_b32 v7, 24, v8 :: v_dual_lshlrev_b32 v9, 20, v118
	v_lshl_add_u32 v6, v6, 23, 0x3c000000
	v_and_b32_e32 v7, 0x80000000, v7
	s_delay_alu instid0(VALU_DEP_1) | instskip(NEXT) | instid1(VALU_DEP_1)
	v_or3_b32 v118, v9, v7, v6
	v_mov_b64_e32 v[14:15], v[118:119]
.LBB206_1296:                           ;   in Loop: Header=BB206_813 Depth=1
	s_or_b32 exec_lo, exec_lo, s14
.LBB206_1297:                           ;   in Loop: Header=BB206_813 Depth=1
	s_delay_alu instid0(SALU_CYCLE_1)
	s_or_b32 exec_lo, exec_lo, s9
.LBB206_1298:                           ;   in Loop: Header=BB206_813 Depth=1
	s_delay_alu instid0(SALU_CYCLE_1) | instskip(SKIP_2) | instid1(VALU_DEP_1)
	s_or_b32 exec_lo, exec_lo, s8
	v_lshrrev_b16 v6, 8, v8
	s_mov_b32 s8, exec_lo
	v_cmpx_ne_u16_e32 0, v6
	s_cbranch_execz .LBB206_1306
; %bb.1299:                             ;   in Loop: Header=BB206_813 Depth=1
	v_mov_b64_e32 v[12:13], 0x8000000000000000
	s_mov_b32 s9, exec_lo
	v_cmpx_ne_u16_e32 0x80, v6
	s_cbranch_execz .LBB206_1305
; %bb.1300:                             ;   in Loop: Header=BB206_813 Depth=1
	v_and_b32_e32 v6, 0xffff, v6
	v_mov_b64_e32 v[12:13], 0x7f80000100000000
	s_mov_b32 s14, exec_lo
	s_delay_alu instid0(VALU_DEP_2) | instskip(NEXT) | instid1(VALU_DEP_1)
	v_and_b32_e32 v7, 0x7f, v6
	v_cmpx_ne_u32_e32 0x7f, v7
	s_cbranch_execz .LBB206_1304
; %bb.1301:                             ;   in Loop: Header=BB206_813 Depth=1
	v_dual_lshrrev_b32 v6, 3, v7 :: v_dual_bitop2_b32 v118, 7, v6 bitop3:0x40
	s_mov_b32 s15, exec_lo
	v_cmpx_gt_u32_e32 8, v7
; %bb.1302:                             ;   in Loop: Header=BB206_813 Depth=1
	s_delay_alu instid0(VALU_DEP_2) | instskip(NEXT) | instid1(VALU_DEP_1)
	v_clz_i32_u32_e32 v6, v118
	v_min_u32_e32 v6, 32, v6
	s_delay_alu instid0(VALU_DEP_1) | instskip(NEXT) | instid1(VALU_DEP_1)
	v_subrev_nc_u32_e32 v7, 28, v6
	v_lshlrev_b64_e32 v[12:13], v7, v[118:119]
	s_delay_alu instid0(VALU_DEP_1)
	v_dual_sub_nc_u32 v6, 29, v6 :: v_dual_bitop2_b32 v118, 7, v12 bitop3:0x40
; %bb.1303:                             ;   in Loop: Header=BB206_813 Depth=1
	s_or_b32 exec_lo, exec_lo, s15
	s_delay_alu instid0(VALU_DEP_1) | instskip(NEXT) | instid1(VALU_DEP_2)
	v_dual_lshlrev_b32 v7, 16, v8 :: v_dual_lshlrev_b32 v9, 20, v118
	v_lshl_add_u32 v6, v6, 23, 0x3c000000
	v_mov_b32_e32 v12, v119
	s_delay_alu instid0(VALU_DEP_3) | instskip(NEXT) | instid1(VALU_DEP_1)
	v_and_b32_e32 v7, 0x80000000, v7
	v_or3_b32 v13, v9, v7, v6
.LBB206_1304:                           ;   in Loop: Header=BB206_813 Depth=1
	s_or_b32 exec_lo, exec_lo, s14
.LBB206_1305:                           ;   in Loop: Header=BB206_813 Depth=1
	s_delay_alu instid0(SALU_CYCLE_1)
	s_or_b32 exec_lo, exec_lo, s9
.LBB206_1306:                           ;   in Loop: Header=BB206_813 Depth=1
	s_delay_alu instid0(SALU_CYCLE_1) | instskip(SKIP_4) | instid1(VALU_DEP_3)
	s_or_b32 exec_lo, exec_lo, s8
	v_lshrrev_b32_e32 v9, 16, v8
	v_mov_b64_e32 v[6:7], 0
	v_mov_b64_e32 v[24:25], 0
	s_mov_b32 s8, exec_lo
	v_and_b32_e32 v26, 0xff, v9
	s_delay_alu instid0(VALU_DEP_1)
	v_cmpx_ne_u16_e32 0, v26
	s_cbranch_execz .LBB206_1314
; %bb.1307:                             ;   in Loop: Header=BB206_813 Depth=1
	v_mov_b64_e32 v[24:25], 0x80000000
	s_mov_b32 s9, exec_lo
	v_cmpx_ne_u16_e32 0x80, v26
	s_cbranch_execz .LBB206_1313
; %bb.1308:                             ;   in Loop: Header=BB206_813 Depth=1
	v_mov_b64_e32 v[24:25], 0x7f800001
	v_bfe_u32 v26, v8, 16, 7
	s_mov_b32 s14, exec_lo
	s_delay_alu instid0(VALU_DEP_1)
	v_cmpx_ne_u32_e32 0x7f, v26
	s_cbranch_execz .LBB206_1312
; %bb.1309:                             ;   in Loop: Header=BB206_813 Depth=1
	v_dual_lshrrev_b32 v24, 3, v26 :: v_dual_bitop2_b32 v118, 7, v9 bitop3:0x40
	s_mov_b32 s15, exec_lo
	v_cmpx_gt_u32_e32 8, v26
; %bb.1310:                             ;   in Loop: Header=BB206_813 Depth=1
	s_delay_alu instid0(VALU_DEP_2) | instskip(NEXT) | instid1(VALU_DEP_1)
	v_clz_i32_u32_e32 v24, v118
	v_min_u32_e32 v24, 32, v24
	s_delay_alu instid0(VALU_DEP_1) | instskip(NEXT) | instid1(VALU_DEP_1)
	v_subrev_nc_u32_e32 v25, 28, v24
	v_lshlrev_b64_e32 v[26:27], v25, v[118:119]
	s_delay_alu instid0(VALU_DEP_1)
	v_dual_sub_nc_u32 v24, 29, v24 :: v_dual_bitop2_b32 v118, 7, v26 bitop3:0x40
; %bb.1311:                             ;   in Loop: Header=BB206_813 Depth=1
	s_or_b32 exec_lo, exec_lo, s15
	s_delay_alu instid0(VALU_DEP_1) | instskip(NEXT) | instid1(VALU_DEP_2)
	v_dual_lshlrev_b32 v9, 24, v9 :: v_dual_lshlrev_b32 v25, 20, v118
	v_lshl_add_u32 v24, v24, 23, 0x3c000000
	s_delay_alu instid0(VALU_DEP_2) | instskip(NEXT) | instid1(VALU_DEP_1)
	v_and_b32_e32 v9, 0x80000000, v9
	v_or3_b32 v118, v25, v9, v24
	s_delay_alu instid0(VALU_DEP_1)
	v_mov_b64_e32 v[24:25], v[118:119]
.LBB206_1312:                           ;   in Loop: Header=BB206_813 Depth=1
	s_or_b32 exec_lo, exec_lo, s14
.LBB206_1313:                           ;   in Loop: Header=BB206_813 Depth=1
	s_delay_alu instid0(SALU_CYCLE_1)
	s_or_b32 exec_lo, exec_lo, s9
.LBB206_1314:                           ;   in Loop: Header=BB206_813 Depth=1
	s_delay_alu instid0(SALU_CYCLE_1) | instskip(NEXT) | instid1(SALU_CYCLE_1)
	s_or_b32 exec_lo, exec_lo, s8
	s_mov_b32 s8, exec_lo
	v_cmpx_lt_u32_e32 0xffffff, v8
	s_cbranch_execz .LBB206_1322
; %bb.1315:                             ;   in Loop: Header=BB206_813 Depth=1
	v_mov_b64_e32 v[6:7], 0x8000000000000000
	v_lshrrev_b32_e32 v9, 24, v8
	s_mov_b32 s9, exec_lo
	s_delay_alu instid0(VALU_DEP_1)
	v_cmpx_ne_u32_e32 0x80, v9
	s_cbranch_execz .LBB206_1321
; %bb.1316:                             ;   in Loop: Header=BB206_813 Depth=1
	v_mov_b64_e32 v[6:7], 0x7f80000100000000
	v_bfe_u32 v8, v8, 24, 7
	s_mov_b32 s14, exec_lo
	s_delay_alu instid0(VALU_DEP_1)
	v_cmpx_ne_u32_e32 0x7f, v8
	s_cbranch_execz .LBB206_1320
; %bb.1317:                             ;   in Loop: Header=BB206_813 Depth=1
	v_dual_lshrrev_b32 v6, 3, v8 :: v_dual_bitop2_b32 v118, 7, v9 bitop3:0x40
	s_mov_b32 s15, exec_lo
	v_cmpx_gt_u32_e32 8, v8
; %bb.1318:                             ;   in Loop: Header=BB206_813 Depth=1
	s_delay_alu instid0(VALU_DEP_2) | instskip(NEXT) | instid1(VALU_DEP_1)
	v_clz_i32_u32_e32 v6, v118
	v_min_u32_e32 v6, 32, v6
	s_delay_alu instid0(VALU_DEP_1) | instskip(SKIP_1) | instid1(VALU_DEP_2)
	v_subrev_nc_u32_e32 v7, 28, v6
	v_sub_nc_u32_e32 v6, 29, v6
	v_lshlrev_b64_e32 v[26:27], v7, v[118:119]
	s_delay_alu instid0(VALU_DEP_1)
	v_and_b32_e32 v118, 7, v26
; %bb.1319:                             ;   in Loop: Header=BB206_813 Depth=1
	s_or_b32 exec_lo, exec_lo, s15
	s_delay_alu instid0(VALU_DEP_1) | instskip(SKIP_1) | instid1(VALU_DEP_2)
	v_dual_lshlrev_b32 v7, 24, v9 :: v_dual_lshlrev_b32 v8, 20, v118
	v_lshl_add_u32 v6, v6, 23, 0x3c000000
	v_and_b32_e32 v7, 0x80000000, v7
	s_delay_alu instid0(VALU_DEP_1)
	v_or3_b32 v7, v8, v7, v6
	v_mov_b32_e32 v6, v119
.LBB206_1320:                           ;   in Loop: Header=BB206_813 Depth=1
	s_or_b32 exec_lo, exec_lo, s14
.LBB206_1321:                           ;   in Loop: Header=BB206_813 Depth=1
	s_delay_alu instid0(SALU_CYCLE_1)
	s_or_b32 exec_lo, exec_lo, s9
.LBB206_1322:                           ;   in Loop: Header=BB206_813 Depth=1
	s_delay_alu instid0(SALU_CYCLE_1) | instskip(SKIP_4) | instid1(VALU_DEP_3)
	s_or_b32 exec_lo, exec_lo, s8
	v_or_b32_e32 v9, v13, v15
	v_or_b32_e32 v8, v12, v14
	;; [unrolled: 1-line block ×4, first 2 shown]
	v_pk_mul_f32 v[78:79], v[54:55], v[8:9]
	s_delay_alu instid0(VALU_DEP_2)
	v_pk_mul_f32 v[76:77], v[54:55], v[6:7]
	s_and_saveexec_b32 s8, vcc_lo
	s_cbranch_execz .LBB206_1324
; %bb.1323:                             ;   in Loop: Header=BB206_813 Depth=1
	scratch_load_b64 v[6:7], off, s32 offset:200 ; 8-byte Folded Reload
	s_wait_loadcnt 0x0
	v_cmp_lt_i32_e64 s0, v33, v6
	s_delay_alu instid0(VALU_DEP_1) | instskip(SKIP_1) | instid1(VALU_DEP_1)
	v_cndmask_b32_e64 v78, 0, v78, s0
	v_cmp_lt_i32_e64 s0, v43, v6
	v_cndmask_b32_e64 v79, 0, v79, s0
	v_cmp_lt_i32_e64 s0, v35, v6
	s_delay_alu instid0(VALU_DEP_1) | instskip(SKIP_1) | instid1(VALU_DEP_1)
	v_cndmask_b32_e64 v76, 0, v76, s0
	v_cmp_lt_i32_e64 s0, v34, v6
	v_cndmask_b32_e64 v77, 0, v77, s0
.LBB206_1324:                           ;   in Loop: Header=BB206_813 Depth=1
	s_wait_xcnt 0x0
	s_or_b32 exec_lo, exec_lo, s8
	flat_load_b32 v8, v[68:69] offset:1920
	v_mov_b64_e32 v[12:13], 0
	v_mov_b64_e32 v[14:15], 0
	s_mov_b32 s8, exec_lo
	s_wait_loadcnt_dscnt 0x0
	v_and_b32_e32 v6, 0xff, v8
	s_wait_xcnt 0x0
	s_delay_alu instid0(VALU_DEP_1)
	v_cmpx_ne_u16_e32 0, v6
	s_cbranch_execz .LBB206_1332
; %bb.1325:                             ;   in Loop: Header=BB206_813 Depth=1
	v_mov_b64_e32 v[14:15], 0x80000000
	s_mov_b32 s9, exec_lo
	v_cmpx_ne_u16_e32 0x80, v6
	s_cbranch_execz .LBB206_1331
; %bb.1326:                             ;   in Loop: Header=BB206_813 Depth=1
	v_mov_b64_e32 v[14:15], 0x7f800001
	v_and_b32_e32 v7, 0x7f, v8
	s_mov_b32 s14, exec_lo
	s_delay_alu instid0(VALU_DEP_1)
	v_cmpx_ne_u32_e32 0x7f, v7
	s_cbranch_execz .LBB206_1330
; %bb.1327:                             ;   in Loop: Header=BB206_813 Depth=1
	v_dual_lshrrev_b32 v6, 3, v7 :: v_dual_bitop2_b32 v118, 7, v8 bitop3:0x40
	s_mov_b32 s15, exec_lo
	v_cmpx_gt_u32_e32 8, v7
; %bb.1328:                             ;   in Loop: Header=BB206_813 Depth=1
	s_delay_alu instid0(VALU_DEP_2) | instskip(NEXT) | instid1(VALU_DEP_1)
	v_clz_i32_u32_e32 v6, v118
	v_min_u32_e32 v6, 32, v6
	s_delay_alu instid0(VALU_DEP_1) | instskip(SKIP_1) | instid1(VALU_DEP_2)
	v_subrev_nc_u32_e32 v7, 28, v6
	v_sub_nc_u32_e32 v6, 29, v6
	v_lshlrev_b64_e32 v[14:15], v7, v[118:119]
	s_delay_alu instid0(VALU_DEP_1)
	v_and_b32_e32 v118, 7, v14
; %bb.1329:                             ;   in Loop: Header=BB206_813 Depth=1
	s_or_b32 exec_lo, exec_lo, s15
	s_delay_alu instid0(VALU_DEP_1) | instskip(SKIP_1) | instid1(VALU_DEP_2)
	v_dual_lshlrev_b32 v7, 24, v8 :: v_dual_lshlrev_b32 v9, 20, v118
	v_lshl_add_u32 v6, v6, 23, 0x3c000000
	v_and_b32_e32 v7, 0x80000000, v7
	s_delay_alu instid0(VALU_DEP_1) | instskip(NEXT) | instid1(VALU_DEP_1)
	v_or3_b32 v118, v9, v7, v6
	v_mov_b64_e32 v[14:15], v[118:119]
.LBB206_1330:                           ;   in Loop: Header=BB206_813 Depth=1
	s_or_b32 exec_lo, exec_lo, s14
.LBB206_1331:                           ;   in Loop: Header=BB206_813 Depth=1
	s_delay_alu instid0(SALU_CYCLE_1)
	s_or_b32 exec_lo, exec_lo, s9
.LBB206_1332:                           ;   in Loop: Header=BB206_813 Depth=1
	s_delay_alu instid0(SALU_CYCLE_1) | instskip(SKIP_2) | instid1(VALU_DEP_1)
	s_or_b32 exec_lo, exec_lo, s8
	v_lshrrev_b16 v6, 8, v8
	s_mov_b32 s8, exec_lo
	v_cmpx_ne_u16_e32 0, v6
	s_cbranch_execz .LBB206_1340
; %bb.1333:                             ;   in Loop: Header=BB206_813 Depth=1
	v_mov_b64_e32 v[12:13], 0x8000000000000000
	s_mov_b32 s9, exec_lo
	v_cmpx_ne_u16_e32 0x80, v6
	s_cbranch_execz .LBB206_1339
; %bb.1334:                             ;   in Loop: Header=BB206_813 Depth=1
	v_and_b32_e32 v6, 0xffff, v6
	v_mov_b64_e32 v[12:13], 0x7f80000100000000
	s_mov_b32 s14, exec_lo
	s_delay_alu instid0(VALU_DEP_2) | instskip(NEXT) | instid1(VALU_DEP_1)
	v_and_b32_e32 v7, 0x7f, v6
	v_cmpx_ne_u32_e32 0x7f, v7
	s_cbranch_execz .LBB206_1338
; %bb.1335:                             ;   in Loop: Header=BB206_813 Depth=1
	v_dual_lshrrev_b32 v6, 3, v7 :: v_dual_bitop2_b32 v118, 7, v6 bitop3:0x40
	s_mov_b32 s15, exec_lo
	v_cmpx_gt_u32_e32 8, v7
; %bb.1336:                             ;   in Loop: Header=BB206_813 Depth=1
	s_delay_alu instid0(VALU_DEP_2) | instskip(NEXT) | instid1(VALU_DEP_1)
	v_clz_i32_u32_e32 v6, v118
	v_min_u32_e32 v6, 32, v6
	s_delay_alu instid0(VALU_DEP_1) | instskip(NEXT) | instid1(VALU_DEP_1)
	v_subrev_nc_u32_e32 v7, 28, v6
	v_lshlrev_b64_e32 v[12:13], v7, v[118:119]
	s_delay_alu instid0(VALU_DEP_1)
	v_dual_sub_nc_u32 v6, 29, v6 :: v_dual_bitop2_b32 v118, 7, v12 bitop3:0x40
; %bb.1337:                             ;   in Loop: Header=BB206_813 Depth=1
	s_or_b32 exec_lo, exec_lo, s15
	s_delay_alu instid0(VALU_DEP_1) | instskip(NEXT) | instid1(VALU_DEP_2)
	v_dual_lshlrev_b32 v7, 16, v8 :: v_dual_lshlrev_b32 v9, 20, v118
	v_lshl_add_u32 v6, v6, 23, 0x3c000000
	v_mov_b32_e32 v12, v119
	s_delay_alu instid0(VALU_DEP_3) | instskip(NEXT) | instid1(VALU_DEP_1)
	v_and_b32_e32 v7, 0x80000000, v7
	v_or3_b32 v13, v9, v7, v6
.LBB206_1338:                           ;   in Loop: Header=BB206_813 Depth=1
	s_or_b32 exec_lo, exec_lo, s14
.LBB206_1339:                           ;   in Loop: Header=BB206_813 Depth=1
	s_delay_alu instid0(SALU_CYCLE_1)
	s_or_b32 exec_lo, exec_lo, s9
.LBB206_1340:                           ;   in Loop: Header=BB206_813 Depth=1
	s_delay_alu instid0(SALU_CYCLE_1) | instskip(SKIP_4) | instid1(VALU_DEP_3)
	s_or_b32 exec_lo, exec_lo, s8
	v_lshrrev_b32_e32 v9, 16, v8
	v_mov_b64_e32 v[6:7], 0
	v_mov_b64_e32 v[24:25], 0
	s_mov_b32 s8, exec_lo
	v_and_b32_e32 v26, 0xff, v9
	s_delay_alu instid0(VALU_DEP_1)
	v_cmpx_ne_u16_e32 0, v26
	s_cbranch_execz .LBB206_1348
; %bb.1341:                             ;   in Loop: Header=BB206_813 Depth=1
	v_mov_b64_e32 v[24:25], 0x80000000
	s_mov_b32 s9, exec_lo
	v_cmpx_ne_u16_e32 0x80, v26
	s_cbranch_execz .LBB206_1347
; %bb.1342:                             ;   in Loop: Header=BB206_813 Depth=1
	v_mov_b64_e32 v[24:25], 0x7f800001
	v_bfe_u32 v26, v8, 16, 7
	s_mov_b32 s14, exec_lo
	s_delay_alu instid0(VALU_DEP_1)
	v_cmpx_ne_u32_e32 0x7f, v26
	s_cbranch_execz .LBB206_1346
; %bb.1343:                             ;   in Loop: Header=BB206_813 Depth=1
	v_dual_lshrrev_b32 v24, 3, v26 :: v_dual_bitop2_b32 v118, 7, v9 bitop3:0x40
	s_mov_b32 s15, exec_lo
	v_cmpx_gt_u32_e32 8, v26
; %bb.1344:                             ;   in Loop: Header=BB206_813 Depth=1
	s_delay_alu instid0(VALU_DEP_2) | instskip(NEXT) | instid1(VALU_DEP_1)
	v_clz_i32_u32_e32 v24, v118
	v_min_u32_e32 v24, 32, v24
	s_delay_alu instid0(VALU_DEP_1) | instskip(NEXT) | instid1(VALU_DEP_1)
	v_subrev_nc_u32_e32 v25, 28, v24
	v_lshlrev_b64_e32 v[26:27], v25, v[118:119]
	s_delay_alu instid0(VALU_DEP_1)
	v_dual_sub_nc_u32 v24, 29, v24 :: v_dual_bitop2_b32 v118, 7, v26 bitop3:0x40
; %bb.1345:                             ;   in Loop: Header=BB206_813 Depth=1
	s_or_b32 exec_lo, exec_lo, s15
	s_delay_alu instid0(VALU_DEP_1) | instskip(NEXT) | instid1(VALU_DEP_2)
	v_dual_lshlrev_b32 v9, 24, v9 :: v_dual_lshlrev_b32 v25, 20, v118
	v_lshl_add_u32 v24, v24, 23, 0x3c000000
	s_delay_alu instid0(VALU_DEP_2) | instskip(NEXT) | instid1(VALU_DEP_1)
	v_and_b32_e32 v9, 0x80000000, v9
	v_or3_b32 v118, v25, v9, v24
	s_delay_alu instid0(VALU_DEP_1)
	v_mov_b64_e32 v[24:25], v[118:119]
.LBB206_1346:                           ;   in Loop: Header=BB206_813 Depth=1
	s_or_b32 exec_lo, exec_lo, s14
.LBB206_1347:                           ;   in Loop: Header=BB206_813 Depth=1
	s_delay_alu instid0(SALU_CYCLE_1)
	s_or_b32 exec_lo, exec_lo, s9
.LBB206_1348:                           ;   in Loop: Header=BB206_813 Depth=1
	s_delay_alu instid0(SALU_CYCLE_1) | instskip(NEXT) | instid1(SALU_CYCLE_1)
	s_or_b32 exec_lo, exec_lo, s8
	s_mov_b32 s8, exec_lo
	v_cmpx_lt_u32_e32 0xffffff, v8
	s_cbranch_execz .LBB206_1356
; %bb.1349:                             ;   in Loop: Header=BB206_813 Depth=1
	v_mov_b64_e32 v[6:7], 0x8000000000000000
	v_lshrrev_b32_e32 v9, 24, v8
	s_mov_b32 s9, exec_lo
	s_delay_alu instid0(VALU_DEP_1)
	v_cmpx_ne_u32_e32 0x80, v9
	s_cbranch_execz .LBB206_1355
; %bb.1350:                             ;   in Loop: Header=BB206_813 Depth=1
	v_mov_b64_e32 v[6:7], 0x7f80000100000000
	v_bfe_u32 v8, v8, 24, 7
	s_mov_b32 s14, exec_lo
	s_delay_alu instid0(VALU_DEP_1)
	v_cmpx_ne_u32_e32 0x7f, v8
	s_cbranch_execz .LBB206_1354
; %bb.1351:                             ;   in Loop: Header=BB206_813 Depth=1
	v_dual_lshrrev_b32 v6, 3, v8 :: v_dual_bitop2_b32 v118, 7, v9 bitop3:0x40
	s_mov_b32 s15, exec_lo
	v_cmpx_gt_u32_e32 8, v8
; %bb.1352:                             ;   in Loop: Header=BB206_813 Depth=1
	s_delay_alu instid0(VALU_DEP_2) | instskip(NEXT) | instid1(VALU_DEP_1)
	v_clz_i32_u32_e32 v6, v118
	v_min_u32_e32 v6, 32, v6
	s_delay_alu instid0(VALU_DEP_1) | instskip(SKIP_1) | instid1(VALU_DEP_2)
	v_subrev_nc_u32_e32 v7, 28, v6
	v_sub_nc_u32_e32 v6, 29, v6
	v_lshlrev_b64_e32 v[26:27], v7, v[118:119]
	s_delay_alu instid0(VALU_DEP_1)
	v_and_b32_e32 v118, 7, v26
; %bb.1353:                             ;   in Loop: Header=BB206_813 Depth=1
	s_or_b32 exec_lo, exec_lo, s15
	s_delay_alu instid0(VALU_DEP_1) | instskip(SKIP_1) | instid1(VALU_DEP_2)
	v_dual_lshlrev_b32 v7, 24, v9 :: v_dual_lshlrev_b32 v8, 20, v118
	v_lshl_add_u32 v6, v6, 23, 0x3c000000
	v_and_b32_e32 v7, 0x80000000, v7
	s_delay_alu instid0(VALU_DEP_1)
	v_or3_b32 v7, v8, v7, v6
	v_mov_b32_e32 v6, v119
.LBB206_1354:                           ;   in Loop: Header=BB206_813 Depth=1
	s_or_b32 exec_lo, exec_lo, s14
.LBB206_1355:                           ;   in Loop: Header=BB206_813 Depth=1
	s_delay_alu instid0(SALU_CYCLE_1)
	s_or_b32 exec_lo, exec_lo, s9
.LBB206_1356:                           ;   in Loop: Header=BB206_813 Depth=1
	s_delay_alu instid0(SALU_CYCLE_1) | instskip(SKIP_4) | instid1(VALU_DEP_3)
	s_or_b32 exec_lo, exec_lo, s8
	v_or_b32_e32 v9, v13, v15
	v_or_b32_e32 v8, v12, v14
	;; [unrolled: 1-line block ×4, first 2 shown]
	v_pk_mul_f32 v[90:91], v[54:55], v[8:9]
	s_delay_alu instid0(VALU_DEP_2)
	v_pk_mul_f32 v[88:89], v[54:55], v[6:7]
	s_and_saveexec_b32 s8, vcc_lo
	s_cbranch_execz .LBB206_1358
; %bb.1357:                             ;   in Loop: Header=BB206_813 Depth=1
	scratch_load_b64 v[6:7], off, s32 offset:200 ; 8-byte Folded Reload
	s_wait_loadcnt 0x0
	v_cmp_lt_i32_e64 s0, v33, v6
	s_delay_alu instid0(VALU_DEP_1) | instskip(SKIP_1) | instid1(VALU_DEP_1)
	v_cndmask_b32_e64 v90, 0, v90, s0
	v_cmp_lt_i32_e64 s0, v43, v6
	v_cndmask_b32_e64 v91, 0, v91, s0
	v_cmp_lt_i32_e64 s0, v35, v6
	s_delay_alu instid0(VALU_DEP_1) | instskip(SKIP_1) | instid1(VALU_DEP_1)
	v_cndmask_b32_e64 v88, 0, v88, s0
	v_cmp_lt_i32_e64 s0, v34, v6
	v_cndmask_b32_e64 v89, 0, v89, s0
.LBB206_1358:                           ;   in Loop: Header=BB206_813 Depth=1
	s_wait_xcnt 0x0
	s_or_b32 exec_lo, exec_lo, s8
	flat_load_b32 v8, v[68:69] offset:2048
	v_mov_b64_e32 v[12:13], 0
	v_mov_b64_e32 v[14:15], 0
	s_mov_b32 s8, exec_lo
	s_wait_loadcnt_dscnt 0x0
	v_and_b32_e32 v6, 0xff, v8
	s_wait_xcnt 0x0
	s_delay_alu instid0(VALU_DEP_1)
	v_cmpx_ne_u16_e32 0, v6
	s_cbranch_execz .LBB206_1366
; %bb.1359:                             ;   in Loop: Header=BB206_813 Depth=1
	v_mov_b64_e32 v[14:15], 0x80000000
	s_mov_b32 s9, exec_lo
	v_cmpx_ne_u16_e32 0x80, v6
	s_cbranch_execz .LBB206_1365
; %bb.1360:                             ;   in Loop: Header=BB206_813 Depth=1
	v_mov_b64_e32 v[14:15], 0x7f800001
	v_and_b32_e32 v7, 0x7f, v8
	s_mov_b32 s14, exec_lo
	s_delay_alu instid0(VALU_DEP_1)
	v_cmpx_ne_u32_e32 0x7f, v7
	s_cbranch_execz .LBB206_1364
; %bb.1361:                             ;   in Loop: Header=BB206_813 Depth=1
	v_dual_lshrrev_b32 v6, 3, v7 :: v_dual_bitop2_b32 v118, 7, v8 bitop3:0x40
	s_mov_b32 s15, exec_lo
	v_cmpx_gt_u32_e32 8, v7
; %bb.1362:                             ;   in Loop: Header=BB206_813 Depth=1
	s_delay_alu instid0(VALU_DEP_2) | instskip(NEXT) | instid1(VALU_DEP_1)
	v_clz_i32_u32_e32 v6, v118
	v_min_u32_e32 v6, 32, v6
	s_delay_alu instid0(VALU_DEP_1) | instskip(SKIP_1) | instid1(VALU_DEP_2)
	v_subrev_nc_u32_e32 v7, 28, v6
	v_sub_nc_u32_e32 v6, 29, v6
	v_lshlrev_b64_e32 v[14:15], v7, v[118:119]
	s_delay_alu instid0(VALU_DEP_1)
	v_and_b32_e32 v118, 7, v14
; %bb.1363:                             ;   in Loop: Header=BB206_813 Depth=1
	s_or_b32 exec_lo, exec_lo, s15
	s_delay_alu instid0(VALU_DEP_1) | instskip(SKIP_1) | instid1(VALU_DEP_2)
	v_dual_lshlrev_b32 v7, 24, v8 :: v_dual_lshlrev_b32 v9, 20, v118
	v_lshl_add_u32 v6, v6, 23, 0x3c000000
	v_and_b32_e32 v7, 0x80000000, v7
	s_delay_alu instid0(VALU_DEP_1) | instskip(NEXT) | instid1(VALU_DEP_1)
	v_or3_b32 v118, v9, v7, v6
	v_mov_b64_e32 v[14:15], v[118:119]
.LBB206_1364:                           ;   in Loop: Header=BB206_813 Depth=1
	s_or_b32 exec_lo, exec_lo, s14
.LBB206_1365:                           ;   in Loop: Header=BB206_813 Depth=1
	s_delay_alu instid0(SALU_CYCLE_1)
	s_or_b32 exec_lo, exec_lo, s9
.LBB206_1366:                           ;   in Loop: Header=BB206_813 Depth=1
	s_delay_alu instid0(SALU_CYCLE_1) | instskip(SKIP_2) | instid1(VALU_DEP_1)
	s_or_b32 exec_lo, exec_lo, s8
	v_lshrrev_b16 v6, 8, v8
	s_mov_b32 s8, exec_lo
	v_cmpx_ne_u16_e32 0, v6
	s_cbranch_execz .LBB206_1374
; %bb.1367:                             ;   in Loop: Header=BB206_813 Depth=1
	v_mov_b64_e32 v[12:13], 0x8000000000000000
	s_mov_b32 s9, exec_lo
	v_cmpx_ne_u16_e32 0x80, v6
	s_cbranch_execz .LBB206_1373
; %bb.1368:                             ;   in Loop: Header=BB206_813 Depth=1
	v_and_b32_e32 v6, 0xffff, v6
	v_mov_b64_e32 v[12:13], 0x7f80000100000000
	s_mov_b32 s14, exec_lo
	s_delay_alu instid0(VALU_DEP_2) | instskip(NEXT) | instid1(VALU_DEP_1)
	v_and_b32_e32 v7, 0x7f, v6
	v_cmpx_ne_u32_e32 0x7f, v7
	s_cbranch_execz .LBB206_1372
; %bb.1369:                             ;   in Loop: Header=BB206_813 Depth=1
	v_dual_lshrrev_b32 v6, 3, v7 :: v_dual_bitop2_b32 v118, 7, v6 bitop3:0x40
	s_mov_b32 s15, exec_lo
	v_cmpx_gt_u32_e32 8, v7
; %bb.1370:                             ;   in Loop: Header=BB206_813 Depth=1
	s_delay_alu instid0(VALU_DEP_2) | instskip(NEXT) | instid1(VALU_DEP_1)
	v_clz_i32_u32_e32 v6, v118
	v_min_u32_e32 v6, 32, v6
	s_delay_alu instid0(VALU_DEP_1) | instskip(NEXT) | instid1(VALU_DEP_1)
	v_subrev_nc_u32_e32 v7, 28, v6
	v_lshlrev_b64_e32 v[12:13], v7, v[118:119]
	s_delay_alu instid0(VALU_DEP_1)
	v_dual_sub_nc_u32 v6, 29, v6 :: v_dual_bitop2_b32 v118, 7, v12 bitop3:0x40
; %bb.1371:                             ;   in Loop: Header=BB206_813 Depth=1
	s_or_b32 exec_lo, exec_lo, s15
	s_delay_alu instid0(VALU_DEP_1) | instskip(NEXT) | instid1(VALU_DEP_2)
	v_dual_lshlrev_b32 v7, 16, v8 :: v_dual_lshlrev_b32 v9, 20, v118
	v_lshl_add_u32 v6, v6, 23, 0x3c000000
	v_mov_b32_e32 v12, v119
	s_delay_alu instid0(VALU_DEP_3) | instskip(NEXT) | instid1(VALU_DEP_1)
	v_and_b32_e32 v7, 0x80000000, v7
	v_or3_b32 v13, v9, v7, v6
.LBB206_1372:                           ;   in Loop: Header=BB206_813 Depth=1
	s_or_b32 exec_lo, exec_lo, s14
.LBB206_1373:                           ;   in Loop: Header=BB206_813 Depth=1
	s_delay_alu instid0(SALU_CYCLE_1)
	s_or_b32 exec_lo, exec_lo, s9
.LBB206_1374:                           ;   in Loop: Header=BB206_813 Depth=1
	s_delay_alu instid0(SALU_CYCLE_1) | instskip(SKIP_4) | instid1(VALU_DEP_3)
	s_or_b32 exec_lo, exec_lo, s8
	v_lshrrev_b32_e32 v9, 16, v8
	v_mov_b64_e32 v[6:7], 0
	v_mov_b64_e32 v[24:25], 0
	s_mov_b32 s8, exec_lo
	v_and_b32_e32 v26, 0xff, v9
	s_delay_alu instid0(VALU_DEP_1)
	v_cmpx_ne_u16_e32 0, v26
	s_cbranch_execz .LBB206_1382
; %bb.1375:                             ;   in Loop: Header=BB206_813 Depth=1
	v_mov_b64_e32 v[24:25], 0x80000000
	s_mov_b32 s9, exec_lo
	v_cmpx_ne_u16_e32 0x80, v26
	s_cbranch_execz .LBB206_1381
; %bb.1376:                             ;   in Loop: Header=BB206_813 Depth=1
	v_mov_b64_e32 v[24:25], 0x7f800001
	v_bfe_u32 v26, v8, 16, 7
	s_mov_b32 s14, exec_lo
	s_delay_alu instid0(VALU_DEP_1)
	v_cmpx_ne_u32_e32 0x7f, v26
	s_cbranch_execz .LBB206_1380
; %bb.1377:                             ;   in Loop: Header=BB206_813 Depth=1
	v_dual_lshrrev_b32 v24, 3, v26 :: v_dual_bitop2_b32 v118, 7, v9 bitop3:0x40
	s_mov_b32 s15, exec_lo
	v_cmpx_gt_u32_e32 8, v26
; %bb.1378:                             ;   in Loop: Header=BB206_813 Depth=1
	s_delay_alu instid0(VALU_DEP_2) | instskip(NEXT) | instid1(VALU_DEP_1)
	v_clz_i32_u32_e32 v24, v118
	v_min_u32_e32 v24, 32, v24
	s_delay_alu instid0(VALU_DEP_1) | instskip(NEXT) | instid1(VALU_DEP_1)
	v_subrev_nc_u32_e32 v25, 28, v24
	v_lshlrev_b64_e32 v[26:27], v25, v[118:119]
	s_delay_alu instid0(VALU_DEP_1)
	v_dual_sub_nc_u32 v24, 29, v24 :: v_dual_bitop2_b32 v118, 7, v26 bitop3:0x40
; %bb.1379:                             ;   in Loop: Header=BB206_813 Depth=1
	s_or_b32 exec_lo, exec_lo, s15
	s_delay_alu instid0(VALU_DEP_1) | instskip(NEXT) | instid1(VALU_DEP_2)
	v_dual_lshlrev_b32 v9, 24, v9 :: v_dual_lshlrev_b32 v25, 20, v118
	v_lshl_add_u32 v24, v24, 23, 0x3c000000
	s_delay_alu instid0(VALU_DEP_2) | instskip(NEXT) | instid1(VALU_DEP_1)
	v_and_b32_e32 v9, 0x80000000, v9
	v_or3_b32 v118, v25, v9, v24
	s_delay_alu instid0(VALU_DEP_1)
	v_mov_b64_e32 v[24:25], v[118:119]
.LBB206_1380:                           ;   in Loop: Header=BB206_813 Depth=1
	s_or_b32 exec_lo, exec_lo, s14
.LBB206_1381:                           ;   in Loop: Header=BB206_813 Depth=1
	s_delay_alu instid0(SALU_CYCLE_1)
	s_or_b32 exec_lo, exec_lo, s9
.LBB206_1382:                           ;   in Loop: Header=BB206_813 Depth=1
	s_delay_alu instid0(SALU_CYCLE_1) | instskip(NEXT) | instid1(SALU_CYCLE_1)
	s_or_b32 exec_lo, exec_lo, s8
	s_mov_b32 s8, exec_lo
	v_cmpx_lt_u32_e32 0xffffff, v8
	s_cbranch_execz .LBB206_1390
; %bb.1383:                             ;   in Loop: Header=BB206_813 Depth=1
	v_mov_b64_e32 v[6:7], 0x8000000000000000
	v_lshrrev_b32_e32 v9, 24, v8
	s_mov_b32 s9, exec_lo
	s_delay_alu instid0(VALU_DEP_1)
	v_cmpx_ne_u32_e32 0x80, v9
	s_cbranch_execz .LBB206_1389
; %bb.1384:                             ;   in Loop: Header=BB206_813 Depth=1
	v_mov_b64_e32 v[6:7], 0x7f80000100000000
	v_bfe_u32 v8, v8, 24, 7
	s_mov_b32 s14, exec_lo
	s_delay_alu instid0(VALU_DEP_1)
	v_cmpx_ne_u32_e32 0x7f, v8
	s_cbranch_execz .LBB206_1388
; %bb.1385:                             ;   in Loop: Header=BB206_813 Depth=1
	v_dual_lshrrev_b32 v6, 3, v8 :: v_dual_bitop2_b32 v118, 7, v9 bitop3:0x40
	s_mov_b32 s15, exec_lo
	v_cmpx_gt_u32_e32 8, v8
; %bb.1386:                             ;   in Loop: Header=BB206_813 Depth=1
	s_delay_alu instid0(VALU_DEP_2) | instskip(NEXT) | instid1(VALU_DEP_1)
	v_clz_i32_u32_e32 v6, v118
	v_min_u32_e32 v6, 32, v6
	s_delay_alu instid0(VALU_DEP_1) | instskip(SKIP_1) | instid1(VALU_DEP_2)
	v_subrev_nc_u32_e32 v7, 28, v6
	v_sub_nc_u32_e32 v6, 29, v6
	v_lshlrev_b64_e32 v[26:27], v7, v[118:119]
	s_delay_alu instid0(VALU_DEP_1)
	v_and_b32_e32 v118, 7, v26
; %bb.1387:                             ;   in Loop: Header=BB206_813 Depth=1
	s_or_b32 exec_lo, exec_lo, s15
	s_delay_alu instid0(VALU_DEP_1) | instskip(SKIP_1) | instid1(VALU_DEP_2)
	v_dual_lshlrev_b32 v7, 24, v9 :: v_dual_lshlrev_b32 v8, 20, v118
	v_lshl_add_u32 v6, v6, 23, 0x3c000000
	v_and_b32_e32 v7, 0x80000000, v7
	s_delay_alu instid0(VALU_DEP_1)
	v_or3_b32 v7, v8, v7, v6
	v_mov_b32_e32 v6, v119
.LBB206_1388:                           ;   in Loop: Header=BB206_813 Depth=1
	s_or_b32 exec_lo, exec_lo, s14
.LBB206_1389:                           ;   in Loop: Header=BB206_813 Depth=1
	s_delay_alu instid0(SALU_CYCLE_1)
	s_or_b32 exec_lo, exec_lo, s9
.LBB206_1390:                           ;   in Loop: Header=BB206_813 Depth=1
	s_delay_alu instid0(SALU_CYCLE_1) | instskip(SKIP_4) | instid1(VALU_DEP_3)
	s_or_b32 exec_lo, exec_lo, s8
	v_or_b32_e32 v9, v13, v15
	v_or_b32_e32 v8, v12, v14
	v_or_b32_e32 v7, v7, v25
	v_or_b32_e32 v6, v6, v24
	v_pk_mul_f32 v[94:95], v[54:55], v[8:9]
	s_delay_alu instid0(VALU_DEP_2)
	v_pk_mul_f32 v[92:93], v[54:55], v[6:7]
	s_and_saveexec_b32 s8, vcc_lo
	s_cbranch_execz .LBB206_1392
; %bb.1391:                             ;   in Loop: Header=BB206_813 Depth=1
	scratch_load_b64 v[6:7], off, s32 offset:200 ; 8-byte Folded Reload
	s_wait_loadcnt 0x0
	v_cmp_lt_i32_e64 s0, v33, v6
	s_delay_alu instid0(VALU_DEP_1) | instskip(SKIP_1) | instid1(VALU_DEP_1)
	v_cndmask_b32_e64 v94, 0, v94, s0
	v_cmp_lt_i32_e64 s0, v43, v6
	v_cndmask_b32_e64 v95, 0, v95, s0
	v_cmp_lt_i32_e64 s0, v35, v6
	s_delay_alu instid0(VALU_DEP_1) | instskip(SKIP_1) | instid1(VALU_DEP_1)
	v_cndmask_b32_e64 v92, 0, v92, s0
	v_cmp_lt_i32_e64 s0, v34, v6
	v_cndmask_b32_e64 v93, 0, v93, s0
.LBB206_1392:                           ;   in Loop: Header=BB206_813 Depth=1
	s_wait_xcnt 0x0
	s_or_b32 exec_lo, exec_lo, s8
	flat_load_b32 v8, v[68:69] offset:2176
	v_mov_b64_e32 v[12:13], 0
	v_mov_b64_e32 v[14:15], 0
	s_mov_b32 s8, exec_lo
	s_wait_loadcnt_dscnt 0x0
	v_and_b32_e32 v6, 0xff, v8
	s_wait_xcnt 0x0
	s_delay_alu instid0(VALU_DEP_1)
	v_cmpx_ne_u16_e32 0, v6
	s_cbranch_execz .LBB206_1400
; %bb.1393:                             ;   in Loop: Header=BB206_813 Depth=1
	v_mov_b64_e32 v[14:15], 0x80000000
	s_mov_b32 s9, exec_lo
	v_cmpx_ne_u16_e32 0x80, v6
	s_cbranch_execz .LBB206_1399
; %bb.1394:                             ;   in Loop: Header=BB206_813 Depth=1
	v_mov_b64_e32 v[14:15], 0x7f800001
	v_and_b32_e32 v7, 0x7f, v8
	s_mov_b32 s14, exec_lo
	s_delay_alu instid0(VALU_DEP_1)
	v_cmpx_ne_u32_e32 0x7f, v7
	s_cbranch_execz .LBB206_1398
; %bb.1395:                             ;   in Loop: Header=BB206_813 Depth=1
	v_dual_lshrrev_b32 v6, 3, v7 :: v_dual_bitop2_b32 v118, 7, v8 bitop3:0x40
	s_mov_b32 s15, exec_lo
	v_cmpx_gt_u32_e32 8, v7
; %bb.1396:                             ;   in Loop: Header=BB206_813 Depth=1
	s_delay_alu instid0(VALU_DEP_2) | instskip(NEXT) | instid1(VALU_DEP_1)
	v_clz_i32_u32_e32 v6, v118
	v_min_u32_e32 v6, 32, v6
	s_delay_alu instid0(VALU_DEP_1) | instskip(SKIP_1) | instid1(VALU_DEP_2)
	v_subrev_nc_u32_e32 v7, 28, v6
	v_sub_nc_u32_e32 v6, 29, v6
	v_lshlrev_b64_e32 v[14:15], v7, v[118:119]
	s_delay_alu instid0(VALU_DEP_1)
	v_and_b32_e32 v118, 7, v14
; %bb.1397:                             ;   in Loop: Header=BB206_813 Depth=1
	s_or_b32 exec_lo, exec_lo, s15
	s_delay_alu instid0(VALU_DEP_1) | instskip(SKIP_1) | instid1(VALU_DEP_2)
	v_dual_lshlrev_b32 v7, 24, v8 :: v_dual_lshlrev_b32 v9, 20, v118
	v_lshl_add_u32 v6, v6, 23, 0x3c000000
	v_and_b32_e32 v7, 0x80000000, v7
	s_delay_alu instid0(VALU_DEP_1) | instskip(NEXT) | instid1(VALU_DEP_1)
	v_or3_b32 v118, v9, v7, v6
	v_mov_b64_e32 v[14:15], v[118:119]
.LBB206_1398:                           ;   in Loop: Header=BB206_813 Depth=1
	s_or_b32 exec_lo, exec_lo, s14
.LBB206_1399:                           ;   in Loop: Header=BB206_813 Depth=1
	s_delay_alu instid0(SALU_CYCLE_1)
	s_or_b32 exec_lo, exec_lo, s9
.LBB206_1400:                           ;   in Loop: Header=BB206_813 Depth=1
	s_delay_alu instid0(SALU_CYCLE_1) | instskip(SKIP_2) | instid1(VALU_DEP_1)
	s_or_b32 exec_lo, exec_lo, s8
	v_lshrrev_b16 v6, 8, v8
	s_mov_b32 s8, exec_lo
	v_cmpx_ne_u16_e32 0, v6
	s_cbranch_execz .LBB206_1408
; %bb.1401:                             ;   in Loop: Header=BB206_813 Depth=1
	v_mov_b64_e32 v[12:13], 0x8000000000000000
	s_mov_b32 s9, exec_lo
	v_cmpx_ne_u16_e32 0x80, v6
	s_cbranch_execz .LBB206_1407
; %bb.1402:                             ;   in Loop: Header=BB206_813 Depth=1
	v_and_b32_e32 v6, 0xffff, v6
	v_mov_b64_e32 v[12:13], 0x7f80000100000000
	s_mov_b32 s14, exec_lo
	s_delay_alu instid0(VALU_DEP_2) | instskip(NEXT) | instid1(VALU_DEP_1)
	v_and_b32_e32 v7, 0x7f, v6
	v_cmpx_ne_u32_e32 0x7f, v7
	s_cbranch_execz .LBB206_1406
; %bb.1403:                             ;   in Loop: Header=BB206_813 Depth=1
	v_dual_lshrrev_b32 v6, 3, v7 :: v_dual_bitop2_b32 v118, 7, v6 bitop3:0x40
	s_mov_b32 s15, exec_lo
	v_cmpx_gt_u32_e32 8, v7
; %bb.1404:                             ;   in Loop: Header=BB206_813 Depth=1
	s_delay_alu instid0(VALU_DEP_2) | instskip(NEXT) | instid1(VALU_DEP_1)
	v_clz_i32_u32_e32 v6, v118
	v_min_u32_e32 v6, 32, v6
	s_delay_alu instid0(VALU_DEP_1) | instskip(NEXT) | instid1(VALU_DEP_1)
	v_subrev_nc_u32_e32 v7, 28, v6
	v_lshlrev_b64_e32 v[12:13], v7, v[118:119]
	s_delay_alu instid0(VALU_DEP_1)
	v_dual_sub_nc_u32 v6, 29, v6 :: v_dual_bitop2_b32 v118, 7, v12 bitop3:0x40
; %bb.1405:                             ;   in Loop: Header=BB206_813 Depth=1
	s_or_b32 exec_lo, exec_lo, s15
	s_delay_alu instid0(VALU_DEP_1) | instskip(NEXT) | instid1(VALU_DEP_2)
	v_dual_lshlrev_b32 v7, 16, v8 :: v_dual_lshlrev_b32 v9, 20, v118
	v_lshl_add_u32 v6, v6, 23, 0x3c000000
	v_mov_b32_e32 v12, v119
	s_delay_alu instid0(VALU_DEP_3) | instskip(NEXT) | instid1(VALU_DEP_1)
	v_and_b32_e32 v7, 0x80000000, v7
	v_or3_b32 v13, v9, v7, v6
.LBB206_1406:                           ;   in Loop: Header=BB206_813 Depth=1
	s_or_b32 exec_lo, exec_lo, s14
.LBB206_1407:                           ;   in Loop: Header=BB206_813 Depth=1
	s_delay_alu instid0(SALU_CYCLE_1)
	s_or_b32 exec_lo, exec_lo, s9
.LBB206_1408:                           ;   in Loop: Header=BB206_813 Depth=1
	s_delay_alu instid0(SALU_CYCLE_1) | instskip(SKIP_4) | instid1(VALU_DEP_3)
	s_or_b32 exec_lo, exec_lo, s8
	v_lshrrev_b32_e32 v9, 16, v8
	v_mov_b64_e32 v[6:7], 0
	v_mov_b64_e32 v[24:25], 0
	s_mov_b32 s8, exec_lo
	v_and_b32_e32 v26, 0xff, v9
	s_delay_alu instid0(VALU_DEP_1)
	v_cmpx_ne_u16_e32 0, v26
	s_cbranch_execz .LBB206_1416
; %bb.1409:                             ;   in Loop: Header=BB206_813 Depth=1
	v_mov_b64_e32 v[24:25], 0x80000000
	s_mov_b32 s9, exec_lo
	v_cmpx_ne_u16_e32 0x80, v26
	s_cbranch_execz .LBB206_1415
; %bb.1410:                             ;   in Loop: Header=BB206_813 Depth=1
	v_mov_b64_e32 v[24:25], 0x7f800001
	v_bfe_u32 v26, v8, 16, 7
	s_mov_b32 s14, exec_lo
	s_delay_alu instid0(VALU_DEP_1)
	v_cmpx_ne_u32_e32 0x7f, v26
	s_cbranch_execz .LBB206_1414
; %bb.1411:                             ;   in Loop: Header=BB206_813 Depth=1
	v_dual_lshrrev_b32 v24, 3, v26 :: v_dual_bitop2_b32 v118, 7, v9 bitop3:0x40
	s_mov_b32 s15, exec_lo
	v_cmpx_gt_u32_e32 8, v26
; %bb.1412:                             ;   in Loop: Header=BB206_813 Depth=1
	s_delay_alu instid0(VALU_DEP_2) | instskip(NEXT) | instid1(VALU_DEP_1)
	v_clz_i32_u32_e32 v24, v118
	v_min_u32_e32 v24, 32, v24
	s_delay_alu instid0(VALU_DEP_1) | instskip(NEXT) | instid1(VALU_DEP_1)
	v_subrev_nc_u32_e32 v25, 28, v24
	v_lshlrev_b64_e32 v[26:27], v25, v[118:119]
	s_delay_alu instid0(VALU_DEP_1)
	v_dual_sub_nc_u32 v24, 29, v24 :: v_dual_bitop2_b32 v118, 7, v26 bitop3:0x40
; %bb.1413:                             ;   in Loop: Header=BB206_813 Depth=1
	s_or_b32 exec_lo, exec_lo, s15
	s_delay_alu instid0(VALU_DEP_1) | instskip(NEXT) | instid1(VALU_DEP_2)
	v_dual_lshlrev_b32 v9, 24, v9 :: v_dual_lshlrev_b32 v25, 20, v118
	v_lshl_add_u32 v24, v24, 23, 0x3c000000
	s_delay_alu instid0(VALU_DEP_2) | instskip(NEXT) | instid1(VALU_DEP_1)
	v_and_b32_e32 v9, 0x80000000, v9
	v_or3_b32 v118, v25, v9, v24
	s_delay_alu instid0(VALU_DEP_1)
	v_mov_b64_e32 v[24:25], v[118:119]
.LBB206_1414:                           ;   in Loop: Header=BB206_813 Depth=1
	s_or_b32 exec_lo, exec_lo, s14
.LBB206_1415:                           ;   in Loop: Header=BB206_813 Depth=1
	s_delay_alu instid0(SALU_CYCLE_1)
	s_or_b32 exec_lo, exec_lo, s9
.LBB206_1416:                           ;   in Loop: Header=BB206_813 Depth=1
	s_delay_alu instid0(SALU_CYCLE_1) | instskip(NEXT) | instid1(SALU_CYCLE_1)
	s_or_b32 exec_lo, exec_lo, s8
	s_mov_b32 s8, exec_lo
	v_cmpx_lt_u32_e32 0xffffff, v8
	s_cbranch_execz .LBB206_1424
; %bb.1417:                             ;   in Loop: Header=BB206_813 Depth=1
	v_mov_b64_e32 v[6:7], 0x8000000000000000
	v_lshrrev_b32_e32 v9, 24, v8
	s_mov_b32 s9, exec_lo
	s_delay_alu instid0(VALU_DEP_1)
	v_cmpx_ne_u32_e32 0x80, v9
	s_cbranch_execz .LBB206_1423
; %bb.1418:                             ;   in Loop: Header=BB206_813 Depth=1
	v_mov_b64_e32 v[6:7], 0x7f80000100000000
	v_bfe_u32 v8, v8, 24, 7
	s_mov_b32 s14, exec_lo
	s_delay_alu instid0(VALU_DEP_1)
	v_cmpx_ne_u32_e32 0x7f, v8
	s_cbranch_execz .LBB206_1422
; %bb.1419:                             ;   in Loop: Header=BB206_813 Depth=1
	v_dual_lshrrev_b32 v6, 3, v8 :: v_dual_bitop2_b32 v118, 7, v9 bitop3:0x40
	s_mov_b32 s15, exec_lo
	v_cmpx_gt_u32_e32 8, v8
; %bb.1420:                             ;   in Loop: Header=BB206_813 Depth=1
	s_delay_alu instid0(VALU_DEP_2) | instskip(NEXT) | instid1(VALU_DEP_1)
	v_clz_i32_u32_e32 v6, v118
	v_min_u32_e32 v6, 32, v6
	s_delay_alu instid0(VALU_DEP_1) | instskip(SKIP_1) | instid1(VALU_DEP_2)
	v_subrev_nc_u32_e32 v7, 28, v6
	v_sub_nc_u32_e32 v6, 29, v6
	v_lshlrev_b64_e32 v[26:27], v7, v[118:119]
	s_delay_alu instid0(VALU_DEP_1)
	v_and_b32_e32 v118, 7, v26
; %bb.1421:                             ;   in Loop: Header=BB206_813 Depth=1
	s_or_b32 exec_lo, exec_lo, s15
	s_delay_alu instid0(VALU_DEP_1) | instskip(SKIP_1) | instid1(VALU_DEP_2)
	v_dual_lshlrev_b32 v7, 24, v9 :: v_dual_lshlrev_b32 v8, 20, v118
	v_lshl_add_u32 v6, v6, 23, 0x3c000000
	v_and_b32_e32 v7, 0x80000000, v7
	s_delay_alu instid0(VALU_DEP_1)
	v_or3_b32 v7, v8, v7, v6
	v_mov_b32_e32 v6, v119
.LBB206_1422:                           ;   in Loop: Header=BB206_813 Depth=1
	s_or_b32 exec_lo, exec_lo, s14
.LBB206_1423:                           ;   in Loop: Header=BB206_813 Depth=1
	s_delay_alu instid0(SALU_CYCLE_1)
	s_or_b32 exec_lo, exec_lo, s9
.LBB206_1424:                           ;   in Loop: Header=BB206_813 Depth=1
	s_delay_alu instid0(SALU_CYCLE_1) | instskip(SKIP_4) | instid1(VALU_DEP_3)
	s_or_b32 exec_lo, exec_lo, s8
	v_or_b32_e32 v9, v13, v15
	v_or_b32_e32 v8, v12, v14
	;; [unrolled: 1-line block ×4, first 2 shown]
	v_pk_mul_f32 v[106:107], v[54:55], v[8:9]
	s_delay_alu instid0(VALU_DEP_2)
	v_pk_mul_f32 v[104:105], v[54:55], v[6:7]
	s_and_saveexec_b32 s8, vcc_lo
	s_cbranch_execz .LBB206_1426
; %bb.1425:                             ;   in Loop: Header=BB206_813 Depth=1
	scratch_load_b64 v[6:7], off, s32 offset:200 ; 8-byte Folded Reload
	s_wait_loadcnt 0x0
	v_cmp_lt_i32_e64 s0, v33, v6
	s_delay_alu instid0(VALU_DEP_1) | instskip(SKIP_1) | instid1(VALU_DEP_1)
	v_cndmask_b32_e64 v106, 0, v106, s0
	v_cmp_lt_i32_e64 s0, v43, v6
	v_cndmask_b32_e64 v107, 0, v107, s0
	v_cmp_lt_i32_e64 s0, v35, v6
	s_delay_alu instid0(VALU_DEP_1) | instskip(SKIP_1) | instid1(VALU_DEP_1)
	v_cndmask_b32_e64 v104, 0, v104, s0
	v_cmp_lt_i32_e64 s0, v34, v6
	v_cndmask_b32_e64 v105, 0, v105, s0
.LBB206_1426:                           ;   in Loop: Header=BB206_813 Depth=1
	s_wait_xcnt 0x0
	s_or_b32 exec_lo, exec_lo, s8
	flat_load_b32 v8, v[68:69] offset:2304
	v_mov_b64_e32 v[12:13], 0
	v_mov_b64_e32 v[14:15], 0
	s_mov_b32 s8, exec_lo
	s_wait_loadcnt_dscnt 0x0
	v_and_b32_e32 v6, 0xff, v8
	s_wait_xcnt 0x0
	s_delay_alu instid0(VALU_DEP_1)
	v_cmpx_ne_u16_e32 0, v6
	s_cbranch_execz .LBB206_1434
; %bb.1427:                             ;   in Loop: Header=BB206_813 Depth=1
	v_mov_b64_e32 v[14:15], 0x80000000
	s_mov_b32 s9, exec_lo
	v_cmpx_ne_u16_e32 0x80, v6
	s_cbranch_execz .LBB206_1433
; %bb.1428:                             ;   in Loop: Header=BB206_813 Depth=1
	v_mov_b64_e32 v[14:15], 0x7f800001
	v_and_b32_e32 v7, 0x7f, v8
	s_mov_b32 s14, exec_lo
	s_delay_alu instid0(VALU_DEP_1)
	v_cmpx_ne_u32_e32 0x7f, v7
	s_cbranch_execz .LBB206_1432
; %bb.1429:                             ;   in Loop: Header=BB206_813 Depth=1
	v_dual_lshrrev_b32 v6, 3, v7 :: v_dual_bitop2_b32 v118, 7, v8 bitop3:0x40
	s_mov_b32 s15, exec_lo
	v_cmpx_gt_u32_e32 8, v7
; %bb.1430:                             ;   in Loop: Header=BB206_813 Depth=1
	s_delay_alu instid0(VALU_DEP_2) | instskip(NEXT) | instid1(VALU_DEP_1)
	v_clz_i32_u32_e32 v6, v118
	v_min_u32_e32 v6, 32, v6
	s_delay_alu instid0(VALU_DEP_1) | instskip(SKIP_1) | instid1(VALU_DEP_2)
	v_subrev_nc_u32_e32 v7, 28, v6
	v_sub_nc_u32_e32 v6, 29, v6
	v_lshlrev_b64_e32 v[14:15], v7, v[118:119]
	s_delay_alu instid0(VALU_DEP_1)
	v_and_b32_e32 v118, 7, v14
; %bb.1431:                             ;   in Loop: Header=BB206_813 Depth=1
	s_or_b32 exec_lo, exec_lo, s15
	s_delay_alu instid0(VALU_DEP_1) | instskip(SKIP_1) | instid1(VALU_DEP_2)
	v_dual_lshlrev_b32 v7, 24, v8 :: v_dual_lshlrev_b32 v9, 20, v118
	v_lshl_add_u32 v6, v6, 23, 0x3c000000
	v_and_b32_e32 v7, 0x80000000, v7
	s_delay_alu instid0(VALU_DEP_1) | instskip(NEXT) | instid1(VALU_DEP_1)
	v_or3_b32 v118, v9, v7, v6
	v_mov_b64_e32 v[14:15], v[118:119]
.LBB206_1432:                           ;   in Loop: Header=BB206_813 Depth=1
	s_or_b32 exec_lo, exec_lo, s14
.LBB206_1433:                           ;   in Loop: Header=BB206_813 Depth=1
	s_delay_alu instid0(SALU_CYCLE_1)
	s_or_b32 exec_lo, exec_lo, s9
.LBB206_1434:                           ;   in Loop: Header=BB206_813 Depth=1
	s_delay_alu instid0(SALU_CYCLE_1) | instskip(SKIP_2) | instid1(VALU_DEP_1)
	s_or_b32 exec_lo, exec_lo, s8
	v_lshrrev_b16 v6, 8, v8
	s_mov_b32 s8, exec_lo
	v_cmpx_ne_u16_e32 0, v6
	s_cbranch_execz .LBB206_1442
; %bb.1435:                             ;   in Loop: Header=BB206_813 Depth=1
	v_mov_b64_e32 v[12:13], 0x8000000000000000
	s_mov_b32 s9, exec_lo
	v_cmpx_ne_u16_e32 0x80, v6
	s_cbranch_execz .LBB206_1441
; %bb.1436:                             ;   in Loop: Header=BB206_813 Depth=1
	v_and_b32_e32 v6, 0xffff, v6
	v_mov_b64_e32 v[12:13], 0x7f80000100000000
	s_mov_b32 s14, exec_lo
	s_delay_alu instid0(VALU_DEP_2) | instskip(NEXT) | instid1(VALU_DEP_1)
	v_and_b32_e32 v7, 0x7f, v6
	v_cmpx_ne_u32_e32 0x7f, v7
	s_cbranch_execz .LBB206_1440
; %bb.1437:                             ;   in Loop: Header=BB206_813 Depth=1
	v_dual_lshrrev_b32 v6, 3, v7 :: v_dual_bitop2_b32 v118, 7, v6 bitop3:0x40
	s_mov_b32 s15, exec_lo
	v_cmpx_gt_u32_e32 8, v7
; %bb.1438:                             ;   in Loop: Header=BB206_813 Depth=1
	s_delay_alu instid0(VALU_DEP_2) | instskip(NEXT) | instid1(VALU_DEP_1)
	v_clz_i32_u32_e32 v6, v118
	v_min_u32_e32 v6, 32, v6
	s_delay_alu instid0(VALU_DEP_1) | instskip(NEXT) | instid1(VALU_DEP_1)
	v_subrev_nc_u32_e32 v7, 28, v6
	v_lshlrev_b64_e32 v[12:13], v7, v[118:119]
	s_delay_alu instid0(VALU_DEP_1)
	v_dual_sub_nc_u32 v6, 29, v6 :: v_dual_bitop2_b32 v118, 7, v12 bitop3:0x40
; %bb.1439:                             ;   in Loop: Header=BB206_813 Depth=1
	s_or_b32 exec_lo, exec_lo, s15
	s_delay_alu instid0(VALU_DEP_1) | instskip(NEXT) | instid1(VALU_DEP_2)
	v_dual_lshlrev_b32 v7, 16, v8 :: v_dual_lshlrev_b32 v9, 20, v118
	v_lshl_add_u32 v6, v6, 23, 0x3c000000
	v_mov_b32_e32 v12, v119
	s_delay_alu instid0(VALU_DEP_3) | instskip(NEXT) | instid1(VALU_DEP_1)
	v_and_b32_e32 v7, 0x80000000, v7
	v_or3_b32 v13, v9, v7, v6
.LBB206_1440:                           ;   in Loop: Header=BB206_813 Depth=1
	s_or_b32 exec_lo, exec_lo, s14
.LBB206_1441:                           ;   in Loop: Header=BB206_813 Depth=1
	s_delay_alu instid0(SALU_CYCLE_1)
	s_or_b32 exec_lo, exec_lo, s9
.LBB206_1442:                           ;   in Loop: Header=BB206_813 Depth=1
	s_delay_alu instid0(SALU_CYCLE_1) | instskip(SKIP_4) | instid1(VALU_DEP_3)
	s_or_b32 exec_lo, exec_lo, s8
	v_lshrrev_b32_e32 v9, 16, v8
	v_mov_b64_e32 v[6:7], 0
	v_mov_b64_e32 v[24:25], 0
	s_mov_b32 s8, exec_lo
	v_and_b32_e32 v26, 0xff, v9
	s_delay_alu instid0(VALU_DEP_1)
	v_cmpx_ne_u16_e32 0, v26
	s_cbranch_execz .LBB206_1450
; %bb.1443:                             ;   in Loop: Header=BB206_813 Depth=1
	v_mov_b64_e32 v[24:25], 0x80000000
	s_mov_b32 s9, exec_lo
	v_cmpx_ne_u16_e32 0x80, v26
	s_cbranch_execz .LBB206_1449
; %bb.1444:                             ;   in Loop: Header=BB206_813 Depth=1
	v_mov_b64_e32 v[24:25], 0x7f800001
	v_bfe_u32 v26, v8, 16, 7
	s_mov_b32 s14, exec_lo
	s_delay_alu instid0(VALU_DEP_1)
	v_cmpx_ne_u32_e32 0x7f, v26
	s_cbranch_execz .LBB206_1448
; %bb.1445:                             ;   in Loop: Header=BB206_813 Depth=1
	v_dual_lshrrev_b32 v24, 3, v26 :: v_dual_bitop2_b32 v118, 7, v9 bitop3:0x40
	s_mov_b32 s15, exec_lo
	v_cmpx_gt_u32_e32 8, v26
; %bb.1446:                             ;   in Loop: Header=BB206_813 Depth=1
	s_delay_alu instid0(VALU_DEP_2) | instskip(NEXT) | instid1(VALU_DEP_1)
	v_clz_i32_u32_e32 v24, v118
	v_min_u32_e32 v24, 32, v24
	s_delay_alu instid0(VALU_DEP_1) | instskip(NEXT) | instid1(VALU_DEP_1)
	v_subrev_nc_u32_e32 v25, 28, v24
	v_lshlrev_b64_e32 v[26:27], v25, v[118:119]
	s_delay_alu instid0(VALU_DEP_1)
	v_dual_sub_nc_u32 v24, 29, v24 :: v_dual_bitop2_b32 v118, 7, v26 bitop3:0x40
; %bb.1447:                             ;   in Loop: Header=BB206_813 Depth=1
	s_or_b32 exec_lo, exec_lo, s15
	s_delay_alu instid0(VALU_DEP_1) | instskip(NEXT) | instid1(VALU_DEP_2)
	v_dual_lshlrev_b32 v9, 24, v9 :: v_dual_lshlrev_b32 v25, 20, v118
	v_lshl_add_u32 v24, v24, 23, 0x3c000000
	s_delay_alu instid0(VALU_DEP_2) | instskip(NEXT) | instid1(VALU_DEP_1)
	v_and_b32_e32 v9, 0x80000000, v9
	v_or3_b32 v118, v25, v9, v24
	s_delay_alu instid0(VALU_DEP_1)
	v_mov_b64_e32 v[24:25], v[118:119]
.LBB206_1448:                           ;   in Loop: Header=BB206_813 Depth=1
	s_or_b32 exec_lo, exec_lo, s14
.LBB206_1449:                           ;   in Loop: Header=BB206_813 Depth=1
	s_delay_alu instid0(SALU_CYCLE_1)
	s_or_b32 exec_lo, exec_lo, s9
.LBB206_1450:                           ;   in Loop: Header=BB206_813 Depth=1
	s_delay_alu instid0(SALU_CYCLE_1) | instskip(NEXT) | instid1(SALU_CYCLE_1)
	s_or_b32 exec_lo, exec_lo, s8
	s_mov_b32 s8, exec_lo
	v_cmpx_lt_u32_e32 0xffffff, v8
	s_cbranch_execz .LBB206_1458
; %bb.1451:                             ;   in Loop: Header=BB206_813 Depth=1
	v_mov_b64_e32 v[6:7], 0x8000000000000000
	v_lshrrev_b32_e32 v9, 24, v8
	s_mov_b32 s9, exec_lo
	s_delay_alu instid0(VALU_DEP_1)
	v_cmpx_ne_u32_e32 0x80, v9
	s_cbranch_execz .LBB206_1457
; %bb.1452:                             ;   in Loop: Header=BB206_813 Depth=1
	v_mov_b64_e32 v[6:7], 0x7f80000100000000
	v_bfe_u32 v8, v8, 24, 7
	s_mov_b32 s14, exec_lo
	s_delay_alu instid0(VALU_DEP_1)
	v_cmpx_ne_u32_e32 0x7f, v8
	s_cbranch_execz .LBB206_1456
; %bb.1453:                             ;   in Loop: Header=BB206_813 Depth=1
	v_dual_lshrrev_b32 v6, 3, v8 :: v_dual_bitop2_b32 v118, 7, v9 bitop3:0x40
	s_mov_b32 s15, exec_lo
	v_cmpx_gt_u32_e32 8, v8
; %bb.1454:                             ;   in Loop: Header=BB206_813 Depth=1
	s_delay_alu instid0(VALU_DEP_2) | instskip(NEXT) | instid1(VALU_DEP_1)
	v_clz_i32_u32_e32 v6, v118
	v_min_u32_e32 v6, 32, v6
	s_delay_alu instid0(VALU_DEP_1) | instskip(SKIP_1) | instid1(VALU_DEP_2)
	v_subrev_nc_u32_e32 v7, 28, v6
	v_sub_nc_u32_e32 v6, 29, v6
	v_lshlrev_b64_e32 v[26:27], v7, v[118:119]
	s_delay_alu instid0(VALU_DEP_1)
	v_and_b32_e32 v118, 7, v26
; %bb.1455:                             ;   in Loop: Header=BB206_813 Depth=1
	s_or_b32 exec_lo, exec_lo, s15
	s_delay_alu instid0(VALU_DEP_1) | instskip(SKIP_1) | instid1(VALU_DEP_2)
	v_dual_lshlrev_b32 v7, 24, v9 :: v_dual_lshlrev_b32 v8, 20, v118
	v_lshl_add_u32 v6, v6, 23, 0x3c000000
	v_and_b32_e32 v7, 0x80000000, v7
	s_delay_alu instid0(VALU_DEP_1)
	v_or3_b32 v7, v8, v7, v6
	v_mov_b32_e32 v6, v119
.LBB206_1456:                           ;   in Loop: Header=BB206_813 Depth=1
	s_or_b32 exec_lo, exec_lo, s14
.LBB206_1457:                           ;   in Loop: Header=BB206_813 Depth=1
	s_delay_alu instid0(SALU_CYCLE_1)
	s_or_b32 exec_lo, exec_lo, s9
.LBB206_1458:                           ;   in Loop: Header=BB206_813 Depth=1
	s_delay_alu instid0(SALU_CYCLE_1) | instskip(SKIP_4) | instid1(VALU_DEP_3)
	s_or_b32 exec_lo, exec_lo, s8
	v_or_b32_e32 v9, v13, v15
	v_or_b32_e32 v8, v12, v14
	;; [unrolled: 1-line block ×4, first 2 shown]
	v_pk_mul_f32 v[110:111], v[54:55], v[8:9]
	s_delay_alu instid0(VALU_DEP_2)
	v_pk_mul_f32 v[108:109], v[54:55], v[6:7]
	s_and_saveexec_b32 s8, vcc_lo
	s_cbranch_execz .LBB206_1460
; %bb.1459:                             ;   in Loop: Header=BB206_813 Depth=1
	scratch_load_b64 v[6:7], off, s32 offset:200 ; 8-byte Folded Reload
	s_wait_loadcnt 0x0
	v_cmp_lt_i32_e64 s0, v33, v6
	s_delay_alu instid0(VALU_DEP_1) | instskip(SKIP_1) | instid1(VALU_DEP_1)
	v_cndmask_b32_e64 v110, 0, v110, s0
	v_cmp_lt_i32_e64 s0, v43, v6
	v_cndmask_b32_e64 v111, 0, v111, s0
	v_cmp_lt_i32_e64 s0, v35, v6
	s_delay_alu instid0(VALU_DEP_1) | instskip(SKIP_1) | instid1(VALU_DEP_1)
	v_cndmask_b32_e64 v108, 0, v108, s0
	v_cmp_lt_i32_e64 s0, v34, v6
	v_cndmask_b32_e64 v109, 0, v109, s0
.LBB206_1460:                           ;   in Loop: Header=BB206_813 Depth=1
	s_wait_xcnt 0x0
	s_or_b32 exec_lo, exec_lo, s8
	flat_load_b32 v8, v[68:69] offset:2432
	v_mov_b64_e32 v[12:13], 0
	v_mov_b64_e32 v[14:15], 0
	s_mov_b32 s8, exec_lo
	s_wait_loadcnt_dscnt 0x0
	v_and_b32_e32 v6, 0xff, v8
	s_wait_xcnt 0x0
	s_delay_alu instid0(VALU_DEP_1)
	v_cmpx_ne_u16_e32 0, v6
	s_cbranch_execz .LBB206_1468
; %bb.1461:                             ;   in Loop: Header=BB206_813 Depth=1
	v_mov_b64_e32 v[14:15], 0x80000000
	s_mov_b32 s9, exec_lo
	v_cmpx_ne_u16_e32 0x80, v6
	s_cbranch_execz .LBB206_1467
; %bb.1462:                             ;   in Loop: Header=BB206_813 Depth=1
	v_mov_b64_e32 v[14:15], 0x7f800001
	v_and_b32_e32 v7, 0x7f, v8
	s_mov_b32 s14, exec_lo
	s_delay_alu instid0(VALU_DEP_1)
	v_cmpx_ne_u32_e32 0x7f, v7
	s_cbranch_execz .LBB206_1466
; %bb.1463:                             ;   in Loop: Header=BB206_813 Depth=1
	v_dual_lshrrev_b32 v6, 3, v7 :: v_dual_bitop2_b32 v118, 7, v8 bitop3:0x40
	s_mov_b32 s15, exec_lo
	v_cmpx_gt_u32_e32 8, v7
; %bb.1464:                             ;   in Loop: Header=BB206_813 Depth=1
	s_delay_alu instid0(VALU_DEP_2) | instskip(NEXT) | instid1(VALU_DEP_1)
	v_clz_i32_u32_e32 v6, v118
	v_min_u32_e32 v6, 32, v6
	s_delay_alu instid0(VALU_DEP_1) | instskip(SKIP_1) | instid1(VALU_DEP_2)
	v_subrev_nc_u32_e32 v7, 28, v6
	v_sub_nc_u32_e32 v6, 29, v6
	v_lshlrev_b64_e32 v[14:15], v7, v[118:119]
	s_delay_alu instid0(VALU_DEP_1)
	v_and_b32_e32 v118, 7, v14
; %bb.1465:                             ;   in Loop: Header=BB206_813 Depth=1
	s_or_b32 exec_lo, exec_lo, s15
	s_delay_alu instid0(VALU_DEP_1) | instskip(SKIP_1) | instid1(VALU_DEP_2)
	v_dual_lshlrev_b32 v7, 24, v8 :: v_dual_lshlrev_b32 v9, 20, v118
	v_lshl_add_u32 v6, v6, 23, 0x3c000000
	v_and_b32_e32 v7, 0x80000000, v7
	s_delay_alu instid0(VALU_DEP_1) | instskip(NEXT) | instid1(VALU_DEP_1)
	v_or3_b32 v118, v9, v7, v6
	v_mov_b64_e32 v[14:15], v[118:119]
.LBB206_1466:                           ;   in Loop: Header=BB206_813 Depth=1
	s_or_b32 exec_lo, exec_lo, s14
.LBB206_1467:                           ;   in Loop: Header=BB206_813 Depth=1
	s_delay_alu instid0(SALU_CYCLE_1)
	s_or_b32 exec_lo, exec_lo, s9
.LBB206_1468:                           ;   in Loop: Header=BB206_813 Depth=1
	s_delay_alu instid0(SALU_CYCLE_1) | instskip(SKIP_2) | instid1(VALU_DEP_1)
	s_or_b32 exec_lo, exec_lo, s8
	v_lshrrev_b16 v6, 8, v8
	s_mov_b32 s8, exec_lo
	v_cmpx_ne_u16_e32 0, v6
	s_cbranch_execz .LBB206_1476
; %bb.1469:                             ;   in Loop: Header=BB206_813 Depth=1
	v_mov_b64_e32 v[12:13], 0x8000000000000000
	s_mov_b32 s9, exec_lo
	v_cmpx_ne_u16_e32 0x80, v6
	s_cbranch_execz .LBB206_1475
; %bb.1470:                             ;   in Loop: Header=BB206_813 Depth=1
	v_and_b32_e32 v6, 0xffff, v6
	v_mov_b64_e32 v[12:13], 0x7f80000100000000
	s_mov_b32 s14, exec_lo
	s_delay_alu instid0(VALU_DEP_2) | instskip(NEXT) | instid1(VALU_DEP_1)
	v_and_b32_e32 v7, 0x7f, v6
	v_cmpx_ne_u32_e32 0x7f, v7
	s_cbranch_execz .LBB206_1474
; %bb.1471:                             ;   in Loop: Header=BB206_813 Depth=1
	v_dual_lshrrev_b32 v6, 3, v7 :: v_dual_bitop2_b32 v118, 7, v6 bitop3:0x40
	s_mov_b32 s15, exec_lo
	v_cmpx_gt_u32_e32 8, v7
; %bb.1472:                             ;   in Loop: Header=BB206_813 Depth=1
	s_delay_alu instid0(VALU_DEP_2) | instskip(NEXT) | instid1(VALU_DEP_1)
	v_clz_i32_u32_e32 v6, v118
	v_min_u32_e32 v6, 32, v6
	s_delay_alu instid0(VALU_DEP_1) | instskip(NEXT) | instid1(VALU_DEP_1)
	v_subrev_nc_u32_e32 v7, 28, v6
	v_lshlrev_b64_e32 v[12:13], v7, v[118:119]
	s_delay_alu instid0(VALU_DEP_1)
	v_dual_sub_nc_u32 v6, 29, v6 :: v_dual_bitop2_b32 v118, 7, v12 bitop3:0x40
; %bb.1473:                             ;   in Loop: Header=BB206_813 Depth=1
	s_or_b32 exec_lo, exec_lo, s15
	s_delay_alu instid0(VALU_DEP_1) | instskip(NEXT) | instid1(VALU_DEP_2)
	v_dual_lshlrev_b32 v7, 16, v8 :: v_dual_lshlrev_b32 v9, 20, v118
	v_lshl_add_u32 v6, v6, 23, 0x3c000000
	v_mov_b32_e32 v12, v119
	s_delay_alu instid0(VALU_DEP_3) | instskip(NEXT) | instid1(VALU_DEP_1)
	v_and_b32_e32 v7, 0x80000000, v7
	v_or3_b32 v13, v9, v7, v6
.LBB206_1474:                           ;   in Loop: Header=BB206_813 Depth=1
	s_or_b32 exec_lo, exec_lo, s14
.LBB206_1475:                           ;   in Loop: Header=BB206_813 Depth=1
	s_delay_alu instid0(SALU_CYCLE_1)
	s_or_b32 exec_lo, exec_lo, s9
.LBB206_1476:                           ;   in Loop: Header=BB206_813 Depth=1
	s_delay_alu instid0(SALU_CYCLE_1) | instskip(SKIP_4) | instid1(VALU_DEP_3)
	s_or_b32 exec_lo, exec_lo, s8
	v_lshrrev_b32_e32 v9, 16, v8
	v_mov_b64_e32 v[6:7], 0
	v_mov_b64_e32 v[24:25], 0
	s_mov_b32 s8, exec_lo
	v_and_b32_e32 v26, 0xff, v9
	s_delay_alu instid0(VALU_DEP_1)
	v_cmpx_ne_u16_e32 0, v26
	s_cbranch_execz .LBB206_1484
; %bb.1477:                             ;   in Loop: Header=BB206_813 Depth=1
	v_mov_b64_e32 v[24:25], 0x80000000
	s_mov_b32 s9, exec_lo
	v_cmpx_ne_u16_e32 0x80, v26
	s_cbranch_execz .LBB206_1483
; %bb.1478:                             ;   in Loop: Header=BB206_813 Depth=1
	v_mov_b64_e32 v[24:25], 0x7f800001
	v_bfe_u32 v26, v8, 16, 7
	s_mov_b32 s14, exec_lo
	s_delay_alu instid0(VALU_DEP_1)
	v_cmpx_ne_u32_e32 0x7f, v26
	s_cbranch_execz .LBB206_1482
; %bb.1479:                             ;   in Loop: Header=BB206_813 Depth=1
	v_dual_lshrrev_b32 v24, 3, v26 :: v_dual_bitop2_b32 v118, 7, v9 bitop3:0x40
	s_mov_b32 s15, exec_lo
	v_cmpx_gt_u32_e32 8, v26
; %bb.1480:                             ;   in Loop: Header=BB206_813 Depth=1
	s_delay_alu instid0(VALU_DEP_2) | instskip(NEXT) | instid1(VALU_DEP_1)
	v_clz_i32_u32_e32 v24, v118
	v_min_u32_e32 v24, 32, v24
	s_delay_alu instid0(VALU_DEP_1) | instskip(NEXT) | instid1(VALU_DEP_1)
	v_subrev_nc_u32_e32 v25, 28, v24
	v_lshlrev_b64_e32 v[26:27], v25, v[118:119]
	s_delay_alu instid0(VALU_DEP_1)
	v_dual_sub_nc_u32 v24, 29, v24 :: v_dual_bitop2_b32 v118, 7, v26 bitop3:0x40
; %bb.1481:                             ;   in Loop: Header=BB206_813 Depth=1
	s_or_b32 exec_lo, exec_lo, s15
	s_delay_alu instid0(VALU_DEP_1) | instskip(NEXT) | instid1(VALU_DEP_2)
	v_dual_lshlrev_b32 v9, 24, v9 :: v_dual_lshlrev_b32 v25, 20, v118
	v_lshl_add_u32 v24, v24, 23, 0x3c000000
	s_delay_alu instid0(VALU_DEP_2) | instskip(NEXT) | instid1(VALU_DEP_1)
	v_and_b32_e32 v9, 0x80000000, v9
	v_or3_b32 v118, v25, v9, v24
	s_delay_alu instid0(VALU_DEP_1)
	v_mov_b64_e32 v[24:25], v[118:119]
.LBB206_1482:                           ;   in Loop: Header=BB206_813 Depth=1
	s_or_b32 exec_lo, exec_lo, s14
.LBB206_1483:                           ;   in Loop: Header=BB206_813 Depth=1
	s_delay_alu instid0(SALU_CYCLE_1)
	s_or_b32 exec_lo, exec_lo, s9
.LBB206_1484:                           ;   in Loop: Header=BB206_813 Depth=1
	s_delay_alu instid0(SALU_CYCLE_1) | instskip(NEXT) | instid1(SALU_CYCLE_1)
	s_or_b32 exec_lo, exec_lo, s8
	s_mov_b32 s8, exec_lo
	v_cmpx_lt_u32_e32 0xffffff, v8
	s_cbranch_execz .LBB206_1492
; %bb.1485:                             ;   in Loop: Header=BB206_813 Depth=1
	v_mov_b64_e32 v[6:7], 0x8000000000000000
	v_lshrrev_b32_e32 v9, 24, v8
	s_mov_b32 s9, exec_lo
	s_delay_alu instid0(VALU_DEP_1)
	v_cmpx_ne_u32_e32 0x80, v9
	s_cbranch_execz .LBB206_1491
; %bb.1486:                             ;   in Loop: Header=BB206_813 Depth=1
	v_mov_b64_e32 v[6:7], 0x7f80000100000000
	v_bfe_u32 v8, v8, 24, 7
	s_mov_b32 s14, exec_lo
	s_delay_alu instid0(VALU_DEP_1)
	v_cmpx_ne_u32_e32 0x7f, v8
	s_cbranch_execz .LBB206_1490
; %bb.1487:                             ;   in Loop: Header=BB206_813 Depth=1
	v_dual_lshrrev_b32 v6, 3, v8 :: v_dual_bitop2_b32 v118, 7, v9 bitop3:0x40
	s_mov_b32 s15, exec_lo
	v_cmpx_gt_u32_e32 8, v8
; %bb.1488:                             ;   in Loop: Header=BB206_813 Depth=1
	s_delay_alu instid0(VALU_DEP_2) | instskip(NEXT) | instid1(VALU_DEP_1)
	v_clz_i32_u32_e32 v6, v118
	v_min_u32_e32 v6, 32, v6
	s_delay_alu instid0(VALU_DEP_1) | instskip(SKIP_1) | instid1(VALU_DEP_2)
	v_subrev_nc_u32_e32 v7, 28, v6
	v_sub_nc_u32_e32 v6, 29, v6
	v_lshlrev_b64_e32 v[26:27], v7, v[118:119]
	s_delay_alu instid0(VALU_DEP_1)
	v_and_b32_e32 v118, 7, v26
; %bb.1489:                             ;   in Loop: Header=BB206_813 Depth=1
	s_or_b32 exec_lo, exec_lo, s15
	s_delay_alu instid0(VALU_DEP_1) | instskip(SKIP_1) | instid1(VALU_DEP_2)
	v_dual_lshlrev_b32 v7, 24, v9 :: v_dual_lshlrev_b32 v8, 20, v118
	v_lshl_add_u32 v6, v6, 23, 0x3c000000
	v_and_b32_e32 v7, 0x80000000, v7
	s_delay_alu instid0(VALU_DEP_1)
	v_or3_b32 v7, v8, v7, v6
	v_mov_b32_e32 v6, v119
.LBB206_1490:                           ;   in Loop: Header=BB206_813 Depth=1
	s_or_b32 exec_lo, exec_lo, s14
.LBB206_1491:                           ;   in Loop: Header=BB206_813 Depth=1
	s_delay_alu instid0(SALU_CYCLE_1)
	s_or_b32 exec_lo, exec_lo, s9
.LBB206_1492:                           ;   in Loop: Header=BB206_813 Depth=1
	s_delay_alu instid0(SALU_CYCLE_1) | instskip(SKIP_4) | instid1(VALU_DEP_3)
	s_or_b32 exec_lo, exec_lo, s8
	v_or_b32_e32 v9, v13, v15
	v_or_b32_e32 v8, v12, v14
	;; [unrolled: 1-line block ×4, first 2 shown]
	v_pk_mul_f32 v[122:123], v[54:55], v[8:9]
	s_delay_alu instid0(VALU_DEP_2)
	v_pk_mul_f32 v[120:121], v[54:55], v[6:7]
	s_and_saveexec_b32 s8, vcc_lo
	s_cbranch_execz .LBB206_1494
; %bb.1493:                             ;   in Loop: Header=BB206_813 Depth=1
	scratch_load_b64 v[6:7], off, s32 offset:200 ; 8-byte Folded Reload
	s_wait_loadcnt 0x0
	v_cmp_lt_i32_e64 s0, v33, v6
	s_delay_alu instid0(VALU_DEP_1) | instskip(SKIP_1) | instid1(VALU_DEP_1)
	v_cndmask_b32_e64 v122, 0, v122, s0
	v_cmp_lt_i32_e64 s0, v43, v6
	v_cndmask_b32_e64 v123, 0, v123, s0
	v_cmp_lt_i32_e64 s0, v35, v6
	s_delay_alu instid0(VALU_DEP_1) | instskip(SKIP_1) | instid1(VALU_DEP_1)
	v_cndmask_b32_e64 v120, 0, v120, s0
	v_cmp_lt_i32_e64 s0, v34, v6
	v_cndmask_b32_e64 v121, 0, v121, s0
.LBB206_1494:                           ;   in Loop: Header=BB206_813 Depth=1
	s_wait_xcnt 0x0
	s_or_b32 exec_lo, exec_lo, s8
	flat_load_b32 v8, v[68:69] offset:2560
	v_mov_b64_e32 v[12:13], 0
	v_mov_b64_e32 v[14:15], 0
	s_mov_b32 s8, exec_lo
	s_wait_loadcnt_dscnt 0x0
	v_and_b32_e32 v6, 0xff, v8
	s_wait_xcnt 0x0
	s_delay_alu instid0(VALU_DEP_1)
	v_cmpx_ne_u16_e32 0, v6
	s_cbranch_execz .LBB206_1502
; %bb.1495:                             ;   in Loop: Header=BB206_813 Depth=1
	v_mov_b64_e32 v[14:15], 0x80000000
	s_mov_b32 s9, exec_lo
	v_cmpx_ne_u16_e32 0x80, v6
	s_cbranch_execz .LBB206_1501
; %bb.1496:                             ;   in Loop: Header=BB206_813 Depth=1
	v_mov_b64_e32 v[14:15], 0x7f800001
	v_and_b32_e32 v7, 0x7f, v8
	s_mov_b32 s14, exec_lo
	s_delay_alu instid0(VALU_DEP_1)
	v_cmpx_ne_u32_e32 0x7f, v7
	s_cbranch_execz .LBB206_1500
; %bb.1497:                             ;   in Loop: Header=BB206_813 Depth=1
	v_dual_lshrrev_b32 v6, 3, v7 :: v_dual_bitop2_b32 v118, 7, v8 bitop3:0x40
	s_mov_b32 s15, exec_lo
	v_cmpx_gt_u32_e32 8, v7
; %bb.1498:                             ;   in Loop: Header=BB206_813 Depth=1
	s_delay_alu instid0(VALU_DEP_2) | instskip(NEXT) | instid1(VALU_DEP_1)
	v_clz_i32_u32_e32 v6, v118
	v_min_u32_e32 v6, 32, v6
	s_delay_alu instid0(VALU_DEP_1) | instskip(SKIP_1) | instid1(VALU_DEP_2)
	v_subrev_nc_u32_e32 v7, 28, v6
	v_sub_nc_u32_e32 v6, 29, v6
	v_lshlrev_b64_e32 v[14:15], v7, v[118:119]
	s_delay_alu instid0(VALU_DEP_1)
	v_and_b32_e32 v118, 7, v14
; %bb.1499:                             ;   in Loop: Header=BB206_813 Depth=1
	s_or_b32 exec_lo, exec_lo, s15
	s_delay_alu instid0(VALU_DEP_1) | instskip(SKIP_1) | instid1(VALU_DEP_2)
	v_dual_lshlrev_b32 v7, 24, v8 :: v_dual_lshlrev_b32 v9, 20, v118
	v_lshl_add_u32 v6, v6, 23, 0x3c000000
	v_and_b32_e32 v7, 0x80000000, v7
	s_delay_alu instid0(VALU_DEP_1) | instskip(NEXT) | instid1(VALU_DEP_1)
	v_or3_b32 v118, v9, v7, v6
	v_mov_b64_e32 v[14:15], v[118:119]
.LBB206_1500:                           ;   in Loop: Header=BB206_813 Depth=1
	s_or_b32 exec_lo, exec_lo, s14
.LBB206_1501:                           ;   in Loop: Header=BB206_813 Depth=1
	s_delay_alu instid0(SALU_CYCLE_1)
	s_or_b32 exec_lo, exec_lo, s9
.LBB206_1502:                           ;   in Loop: Header=BB206_813 Depth=1
	s_delay_alu instid0(SALU_CYCLE_1) | instskip(SKIP_2) | instid1(VALU_DEP_1)
	s_or_b32 exec_lo, exec_lo, s8
	v_lshrrev_b16 v6, 8, v8
	s_mov_b32 s8, exec_lo
	v_cmpx_ne_u16_e32 0, v6
	s_cbranch_execz .LBB206_1510
; %bb.1503:                             ;   in Loop: Header=BB206_813 Depth=1
	v_mov_b64_e32 v[12:13], 0x8000000000000000
	s_mov_b32 s9, exec_lo
	v_cmpx_ne_u16_e32 0x80, v6
	s_cbranch_execz .LBB206_1509
; %bb.1504:                             ;   in Loop: Header=BB206_813 Depth=1
	v_and_b32_e32 v6, 0xffff, v6
	v_mov_b64_e32 v[12:13], 0x7f80000100000000
	s_mov_b32 s14, exec_lo
	s_delay_alu instid0(VALU_DEP_2) | instskip(NEXT) | instid1(VALU_DEP_1)
	v_and_b32_e32 v7, 0x7f, v6
	v_cmpx_ne_u32_e32 0x7f, v7
	s_cbranch_execz .LBB206_1508
; %bb.1505:                             ;   in Loop: Header=BB206_813 Depth=1
	v_dual_lshrrev_b32 v6, 3, v7 :: v_dual_bitop2_b32 v118, 7, v6 bitop3:0x40
	s_mov_b32 s15, exec_lo
	v_cmpx_gt_u32_e32 8, v7
; %bb.1506:                             ;   in Loop: Header=BB206_813 Depth=1
	s_delay_alu instid0(VALU_DEP_2) | instskip(NEXT) | instid1(VALU_DEP_1)
	v_clz_i32_u32_e32 v6, v118
	v_min_u32_e32 v6, 32, v6
	s_delay_alu instid0(VALU_DEP_1) | instskip(NEXT) | instid1(VALU_DEP_1)
	v_subrev_nc_u32_e32 v7, 28, v6
	v_lshlrev_b64_e32 v[12:13], v7, v[118:119]
	s_delay_alu instid0(VALU_DEP_1)
	v_dual_sub_nc_u32 v6, 29, v6 :: v_dual_bitop2_b32 v118, 7, v12 bitop3:0x40
; %bb.1507:                             ;   in Loop: Header=BB206_813 Depth=1
	s_or_b32 exec_lo, exec_lo, s15
	s_delay_alu instid0(VALU_DEP_1) | instskip(NEXT) | instid1(VALU_DEP_2)
	v_dual_lshlrev_b32 v7, 16, v8 :: v_dual_lshlrev_b32 v9, 20, v118
	v_lshl_add_u32 v6, v6, 23, 0x3c000000
	v_mov_b32_e32 v12, v119
	s_delay_alu instid0(VALU_DEP_3) | instskip(NEXT) | instid1(VALU_DEP_1)
	v_and_b32_e32 v7, 0x80000000, v7
	v_or3_b32 v13, v9, v7, v6
.LBB206_1508:                           ;   in Loop: Header=BB206_813 Depth=1
	s_or_b32 exec_lo, exec_lo, s14
.LBB206_1509:                           ;   in Loop: Header=BB206_813 Depth=1
	s_delay_alu instid0(SALU_CYCLE_1)
	s_or_b32 exec_lo, exec_lo, s9
.LBB206_1510:                           ;   in Loop: Header=BB206_813 Depth=1
	s_delay_alu instid0(SALU_CYCLE_1) | instskip(SKIP_4) | instid1(VALU_DEP_3)
	s_or_b32 exec_lo, exec_lo, s8
	v_lshrrev_b32_e32 v9, 16, v8
	v_mov_b64_e32 v[6:7], 0
	v_mov_b64_e32 v[24:25], 0
	s_mov_b32 s8, exec_lo
	v_and_b32_e32 v26, 0xff, v9
	s_delay_alu instid0(VALU_DEP_1)
	v_cmpx_ne_u16_e32 0, v26
	s_cbranch_execz .LBB206_1518
; %bb.1511:                             ;   in Loop: Header=BB206_813 Depth=1
	v_mov_b64_e32 v[24:25], 0x80000000
	s_mov_b32 s9, exec_lo
	v_cmpx_ne_u16_e32 0x80, v26
	s_cbranch_execz .LBB206_1517
; %bb.1512:                             ;   in Loop: Header=BB206_813 Depth=1
	v_mov_b64_e32 v[24:25], 0x7f800001
	v_bfe_u32 v26, v8, 16, 7
	s_mov_b32 s14, exec_lo
	s_delay_alu instid0(VALU_DEP_1)
	v_cmpx_ne_u32_e32 0x7f, v26
	s_cbranch_execz .LBB206_1516
; %bb.1513:                             ;   in Loop: Header=BB206_813 Depth=1
	v_dual_lshrrev_b32 v24, 3, v26 :: v_dual_bitop2_b32 v118, 7, v9 bitop3:0x40
	s_mov_b32 s15, exec_lo
	v_cmpx_gt_u32_e32 8, v26
; %bb.1514:                             ;   in Loop: Header=BB206_813 Depth=1
	s_delay_alu instid0(VALU_DEP_2) | instskip(NEXT) | instid1(VALU_DEP_1)
	v_clz_i32_u32_e32 v24, v118
	v_min_u32_e32 v24, 32, v24
	s_delay_alu instid0(VALU_DEP_1) | instskip(NEXT) | instid1(VALU_DEP_1)
	v_subrev_nc_u32_e32 v25, 28, v24
	v_lshlrev_b64_e32 v[26:27], v25, v[118:119]
	s_delay_alu instid0(VALU_DEP_1)
	v_dual_sub_nc_u32 v24, 29, v24 :: v_dual_bitop2_b32 v118, 7, v26 bitop3:0x40
; %bb.1515:                             ;   in Loop: Header=BB206_813 Depth=1
	s_or_b32 exec_lo, exec_lo, s15
	s_delay_alu instid0(VALU_DEP_1) | instskip(NEXT) | instid1(VALU_DEP_2)
	v_dual_lshlrev_b32 v9, 24, v9 :: v_dual_lshlrev_b32 v25, 20, v118
	v_lshl_add_u32 v24, v24, 23, 0x3c000000
	s_delay_alu instid0(VALU_DEP_2) | instskip(NEXT) | instid1(VALU_DEP_1)
	v_and_b32_e32 v9, 0x80000000, v9
	v_or3_b32 v118, v25, v9, v24
	s_delay_alu instid0(VALU_DEP_1)
	v_mov_b64_e32 v[24:25], v[118:119]
.LBB206_1516:                           ;   in Loop: Header=BB206_813 Depth=1
	s_or_b32 exec_lo, exec_lo, s14
.LBB206_1517:                           ;   in Loop: Header=BB206_813 Depth=1
	s_delay_alu instid0(SALU_CYCLE_1)
	s_or_b32 exec_lo, exec_lo, s9
.LBB206_1518:                           ;   in Loop: Header=BB206_813 Depth=1
	s_delay_alu instid0(SALU_CYCLE_1) | instskip(NEXT) | instid1(SALU_CYCLE_1)
	s_or_b32 exec_lo, exec_lo, s8
	s_mov_b32 s8, exec_lo
	v_cmpx_lt_u32_e32 0xffffff, v8
	s_cbranch_execz .LBB206_1526
; %bb.1519:                             ;   in Loop: Header=BB206_813 Depth=1
	v_mov_b64_e32 v[6:7], 0x8000000000000000
	v_lshrrev_b32_e32 v9, 24, v8
	s_mov_b32 s9, exec_lo
	s_delay_alu instid0(VALU_DEP_1)
	v_cmpx_ne_u32_e32 0x80, v9
	s_cbranch_execz .LBB206_1525
; %bb.1520:                             ;   in Loop: Header=BB206_813 Depth=1
	v_mov_b64_e32 v[6:7], 0x7f80000100000000
	v_bfe_u32 v8, v8, 24, 7
	s_mov_b32 s14, exec_lo
	s_delay_alu instid0(VALU_DEP_1)
	v_cmpx_ne_u32_e32 0x7f, v8
	s_cbranch_execz .LBB206_1524
; %bb.1521:                             ;   in Loop: Header=BB206_813 Depth=1
	v_dual_lshrrev_b32 v6, 3, v8 :: v_dual_bitop2_b32 v118, 7, v9 bitop3:0x40
	s_mov_b32 s15, exec_lo
	v_cmpx_gt_u32_e32 8, v8
; %bb.1522:                             ;   in Loop: Header=BB206_813 Depth=1
	s_delay_alu instid0(VALU_DEP_2) | instskip(NEXT) | instid1(VALU_DEP_1)
	v_clz_i32_u32_e32 v6, v118
	v_min_u32_e32 v6, 32, v6
	s_delay_alu instid0(VALU_DEP_1) | instskip(SKIP_1) | instid1(VALU_DEP_2)
	v_subrev_nc_u32_e32 v7, 28, v6
	v_sub_nc_u32_e32 v6, 29, v6
	v_lshlrev_b64_e32 v[26:27], v7, v[118:119]
	s_delay_alu instid0(VALU_DEP_1)
	v_and_b32_e32 v118, 7, v26
; %bb.1523:                             ;   in Loop: Header=BB206_813 Depth=1
	s_or_b32 exec_lo, exec_lo, s15
	s_delay_alu instid0(VALU_DEP_1) | instskip(SKIP_1) | instid1(VALU_DEP_2)
	v_dual_lshlrev_b32 v7, 24, v9 :: v_dual_lshlrev_b32 v8, 20, v118
	v_lshl_add_u32 v6, v6, 23, 0x3c000000
	v_and_b32_e32 v7, 0x80000000, v7
	s_delay_alu instid0(VALU_DEP_1)
	v_or3_b32 v7, v8, v7, v6
	v_mov_b32_e32 v6, v119
.LBB206_1524:                           ;   in Loop: Header=BB206_813 Depth=1
	s_or_b32 exec_lo, exec_lo, s14
.LBB206_1525:                           ;   in Loop: Header=BB206_813 Depth=1
	s_delay_alu instid0(SALU_CYCLE_1)
	s_or_b32 exec_lo, exec_lo, s9
.LBB206_1526:                           ;   in Loop: Header=BB206_813 Depth=1
	s_delay_alu instid0(SALU_CYCLE_1) | instskip(SKIP_4) | instid1(VALU_DEP_3)
	s_or_b32 exec_lo, exec_lo, s8
	v_or_b32_e32 v9, v13, v15
	v_or_b32_e32 v8, v12, v14
	;; [unrolled: 1-line block ×4, first 2 shown]
	v_pk_mul_f32 v[126:127], v[54:55], v[8:9]
	s_delay_alu instid0(VALU_DEP_2)
	v_pk_mul_f32 v[124:125], v[54:55], v[6:7]
	s_and_saveexec_b32 s8, vcc_lo
	s_cbranch_execz .LBB206_1528
; %bb.1527:                             ;   in Loop: Header=BB206_813 Depth=1
	scratch_load_b64 v[6:7], off, s32 offset:200 ; 8-byte Folded Reload
	s_wait_loadcnt 0x0
	v_cmp_lt_i32_e64 s0, v33, v6
	s_delay_alu instid0(VALU_DEP_1) | instskip(SKIP_1) | instid1(VALU_DEP_1)
	v_cndmask_b32_e64 v126, 0, v126, s0
	v_cmp_lt_i32_e64 s0, v43, v6
	v_cndmask_b32_e64 v127, 0, v127, s0
	v_cmp_lt_i32_e64 s0, v35, v6
	s_delay_alu instid0(VALU_DEP_1) | instskip(SKIP_1) | instid1(VALU_DEP_1)
	v_cndmask_b32_e64 v124, 0, v124, s0
	v_cmp_lt_i32_e64 s0, v34, v6
	v_cndmask_b32_e64 v125, 0, v125, s0
.LBB206_1528:                           ;   in Loop: Header=BB206_813 Depth=1
	s_wait_xcnt 0x0
	s_or_b32 exec_lo, exec_lo, s8
	flat_load_b32 v8, v[68:69] offset:2688
	v_mov_b64_e32 v[12:13], 0
	v_mov_b64_e32 v[14:15], 0
	s_mov_b32 s8, exec_lo
	s_wait_loadcnt_dscnt 0x0
	v_and_b32_e32 v6, 0xff, v8
	s_wait_xcnt 0x0
	s_delay_alu instid0(VALU_DEP_1)
	v_cmpx_ne_u16_e32 0, v6
	s_cbranch_execz .LBB206_1536
; %bb.1529:                             ;   in Loop: Header=BB206_813 Depth=1
	v_mov_b64_e32 v[14:15], 0x80000000
	s_mov_b32 s9, exec_lo
	v_cmpx_ne_u16_e32 0x80, v6
	s_cbranch_execz .LBB206_1535
; %bb.1530:                             ;   in Loop: Header=BB206_813 Depth=1
	v_mov_b64_e32 v[14:15], 0x7f800001
	v_and_b32_e32 v7, 0x7f, v8
	s_mov_b32 s14, exec_lo
	s_delay_alu instid0(VALU_DEP_1)
	v_cmpx_ne_u32_e32 0x7f, v7
	s_cbranch_execz .LBB206_1534
; %bb.1531:                             ;   in Loop: Header=BB206_813 Depth=1
	v_dual_lshrrev_b32 v6, 3, v7 :: v_dual_bitop2_b32 v118, 7, v8 bitop3:0x40
	s_mov_b32 s15, exec_lo
	v_cmpx_gt_u32_e32 8, v7
; %bb.1532:                             ;   in Loop: Header=BB206_813 Depth=1
	s_delay_alu instid0(VALU_DEP_2) | instskip(NEXT) | instid1(VALU_DEP_1)
	v_clz_i32_u32_e32 v6, v118
	v_min_u32_e32 v6, 32, v6
	s_delay_alu instid0(VALU_DEP_1) | instskip(SKIP_1) | instid1(VALU_DEP_2)
	v_subrev_nc_u32_e32 v7, 28, v6
	v_sub_nc_u32_e32 v6, 29, v6
	v_lshlrev_b64_e32 v[14:15], v7, v[118:119]
	s_delay_alu instid0(VALU_DEP_1)
	v_and_b32_e32 v118, 7, v14
; %bb.1533:                             ;   in Loop: Header=BB206_813 Depth=1
	s_or_b32 exec_lo, exec_lo, s15
	s_delay_alu instid0(VALU_DEP_1) | instskip(SKIP_1) | instid1(VALU_DEP_2)
	v_dual_lshlrev_b32 v7, 24, v8 :: v_dual_lshlrev_b32 v9, 20, v118
	v_lshl_add_u32 v6, v6, 23, 0x3c000000
	v_and_b32_e32 v7, 0x80000000, v7
	s_delay_alu instid0(VALU_DEP_1) | instskip(NEXT) | instid1(VALU_DEP_1)
	v_or3_b32 v118, v9, v7, v6
	v_mov_b64_e32 v[14:15], v[118:119]
.LBB206_1534:                           ;   in Loop: Header=BB206_813 Depth=1
	s_or_b32 exec_lo, exec_lo, s14
.LBB206_1535:                           ;   in Loop: Header=BB206_813 Depth=1
	s_delay_alu instid0(SALU_CYCLE_1)
	s_or_b32 exec_lo, exec_lo, s9
.LBB206_1536:                           ;   in Loop: Header=BB206_813 Depth=1
	s_delay_alu instid0(SALU_CYCLE_1) | instskip(SKIP_2) | instid1(VALU_DEP_1)
	s_or_b32 exec_lo, exec_lo, s8
	v_lshrrev_b16 v6, 8, v8
	s_mov_b32 s8, exec_lo
	v_cmpx_ne_u16_e32 0, v6
	s_cbranch_execz .LBB206_1544
; %bb.1537:                             ;   in Loop: Header=BB206_813 Depth=1
	v_mov_b64_e32 v[12:13], 0x8000000000000000
	s_mov_b32 s9, exec_lo
	v_cmpx_ne_u16_e32 0x80, v6
	s_cbranch_execz .LBB206_1543
; %bb.1538:                             ;   in Loop: Header=BB206_813 Depth=1
	v_and_b32_e32 v6, 0xffff, v6
	v_mov_b64_e32 v[12:13], 0x7f80000100000000
	s_mov_b32 s14, exec_lo
	s_delay_alu instid0(VALU_DEP_2) | instskip(NEXT) | instid1(VALU_DEP_1)
	v_and_b32_e32 v7, 0x7f, v6
	v_cmpx_ne_u32_e32 0x7f, v7
	s_cbranch_execz .LBB206_1542
; %bb.1539:                             ;   in Loop: Header=BB206_813 Depth=1
	v_dual_lshrrev_b32 v6, 3, v7 :: v_dual_bitop2_b32 v118, 7, v6 bitop3:0x40
	s_mov_b32 s15, exec_lo
	v_cmpx_gt_u32_e32 8, v7
; %bb.1540:                             ;   in Loop: Header=BB206_813 Depth=1
	s_delay_alu instid0(VALU_DEP_2) | instskip(NEXT) | instid1(VALU_DEP_1)
	v_clz_i32_u32_e32 v6, v118
	v_min_u32_e32 v6, 32, v6
	s_delay_alu instid0(VALU_DEP_1) | instskip(NEXT) | instid1(VALU_DEP_1)
	v_subrev_nc_u32_e32 v7, 28, v6
	v_lshlrev_b64_e32 v[12:13], v7, v[118:119]
	s_delay_alu instid0(VALU_DEP_1)
	v_dual_sub_nc_u32 v6, 29, v6 :: v_dual_bitop2_b32 v118, 7, v12 bitop3:0x40
; %bb.1541:                             ;   in Loop: Header=BB206_813 Depth=1
	s_or_b32 exec_lo, exec_lo, s15
	s_delay_alu instid0(VALU_DEP_1) | instskip(NEXT) | instid1(VALU_DEP_2)
	v_dual_lshlrev_b32 v7, 16, v8 :: v_dual_lshlrev_b32 v9, 20, v118
	v_lshl_add_u32 v6, v6, 23, 0x3c000000
	v_mov_b32_e32 v12, v119
	s_delay_alu instid0(VALU_DEP_3) | instskip(NEXT) | instid1(VALU_DEP_1)
	v_and_b32_e32 v7, 0x80000000, v7
	v_or3_b32 v13, v9, v7, v6
.LBB206_1542:                           ;   in Loop: Header=BB206_813 Depth=1
	s_or_b32 exec_lo, exec_lo, s14
.LBB206_1543:                           ;   in Loop: Header=BB206_813 Depth=1
	s_delay_alu instid0(SALU_CYCLE_1)
	s_or_b32 exec_lo, exec_lo, s9
.LBB206_1544:                           ;   in Loop: Header=BB206_813 Depth=1
	s_delay_alu instid0(SALU_CYCLE_1) | instskip(SKIP_4) | instid1(VALU_DEP_3)
	s_or_b32 exec_lo, exec_lo, s8
	v_lshrrev_b32_e32 v9, 16, v8
	v_mov_b64_e32 v[6:7], 0
	v_mov_b64_e32 v[24:25], 0
	s_mov_b32 s8, exec_lo
	v_and_b32_e32 v26, 0xff, v9
	s_delay_alu instid0(VALU_DEP_1)
	v_cmpx_ne_u16_e32 0, v26
	s_cbranch_execz .LBB206_1552
; %bb.1545:                             ;   in Loop: Header=BB206_813 Depth=1
	v_mov_b64_e32 v[24:25], 0x80000000
	s_mov_b32 s9, exec_lo
	v_cmpx_ne_u16_e32 0x80, v26
	s_cbranch_execz .LBB206_1551
; %bb.1546:                             ;   in Loop: Header=BB206_813 Depth=1
	v_mov_b64_e32 v[24:25], 0x7f800001
	v_bfe_u32 v26, v8, 16, 7
	s_mov_b32 s14, exec_lo
	s_delay_alu instid0(VALU_DEP_1)
	v_cmpx_ne_u32_e32 0x7f, v26
	s_cbranch_execz .LBB206_1550
; %bb.1547:                             ;   in Loop: Header=BB206_813 Depth=1
	v_dual_lshrrev_b32 v24, 3, v26 :: v_dual_bitop2_b32 v118, 7, v9 bitop3:0x40
	s_mov_b32 s15, exec_lo
	v_cmpx_gt_u32_e32 8, v26
; %bb.1548:                             ;   in Loop: Header=BB206_813 Depth=1
	s_delay_alu instid0(VALU_DEP_2) | instskip(NEXT) | instid1(VALU_DEP_1)
	v_clz_i32_u32_e32 v24, v118
	v_min_u32_e32 v24, 32, v24
	s_delay_alu instid0(VALU_DEP_1) | instskip(NEXT) | instid1(VALU_DEP_1)
	v_subrev_nc_u32_e32 v25, 28, v24
	v_lshlrev_b64_e32 v[26:27], v25, v[118:119]
	s_delay_alu instid0(VALU_DEP_1)
	v_dual_sub_nc_u32 v24, 29, v24 :: v_dual_bitop2_b32 v118, 7, v26 bitop3:0x40
; %bb.1549:                             ;   in Loop: Header=BB206_813 Depth=1
	s_or_b32 exec_lo, exec_lo, s15
	s_delay_alu instid0(VALU_DEP_1) | instskip(NEXT) | instid1(VALU_DEP_2)
	v_dual_lshlrev_b32 v9, 24, v9 :: v_dual_lshlrev_b32 v25, 20, v118
	v_lshl_add_u32 v24, v24, 23, 0x3c000000
	s_delay_alu instid0(VALU_DEP_2) | instskip(NEXT) | instid1(VALU_DEP_1)
	v_and_b32_e32 v9, 0x80000000, v9
	v_or3_b32 v118, v25, v9, v24
	s_delay_alu instid0(VALU_DEP_1)
	v_mov_b64_e32 v[24:25], v[118:119]
.LBB206_1550:                           ;   in Loop: Header=BB206_813 Depth=1
	s_or_b32 exec_lo, exec_lo, s14
.LBB206_1551:                           ;   in Loop: Header=BB206_813 Depth=1
	s_delay_alu instid0(SALU_CYCLE_1)
	s_or_b32 exec_lo, exec_lo, s9
.LBB206_1552:                           ;   in Loop: Header=BB206_813 Depth=1
	s_delay_alu instid0(SALU_CYCLE_1) | instskip(NEXT) | instid1(SALU_CYCLE_1)
	s_or_b32 exec_lo, exec_lo, s8
	s_mov_b32 s8, exec_lo
	v_cmpx_lt_u32_e32 0xffffff, v8
	s_cbranch_execz .LBB206_1560
; %bb.1553:                             ;   in Loop: Header=BB206_813 Depth=1
	v_mov_b64_e32 v[6:7], 0x8000000000000000
	v_lshrrev_b32_e32 v9, 24, v8
	s_mov_b32 s9, exec_lo
	s_delay_alu instid0(VALU_DEP_1)
	v_cmpx_ne_u32_e32 0x80, v9
	s_cbranch_execz .LBB206_1559
; %bb.1554:                             ;   in Loop: Header=BB206_813 Depth=1
	v_mov_b64_e32 v[6:7], 0x7f80000100000000
	v_bfe_u32 v8, v8, 24, 7
	s_mov_b32 s14, exec_lo
	s_delay_alu instid0(VALU_DEP_1)
	v_cmpx_ne_u32_e32 0x7f, v8
	s_cbranch_execz .LBB206_1558
; %bb.1555:                             ;   in Loop: Header=BB206_813 Depth=1
	v_dual_lshrrev_b32 v6, 3, v8 :: v_dual_bitop2_b32 v118, 7, v9 bitop3:0x40
	s_mov_b32 s15, exec_lo
	v_cmpx_gt_u32_e32 8, v8
; %bb.1556:                             ;   in Loop: Header=BB206_813 Depth=1
	s_delay_alu instid0(VALU_DEP_2) | instskip(NEXT) | instid1(VALU_DEP_1)
	v_clz_i32_u32_e32 v6, v118
	v_min_u32_e32 v6, 32, v6
	s_delay_alu instid0(VALU_DEP_1) | instskip(SKIP_1) | instid1(VALU_DEP_2)
	v_subrev_nc_u32_e32 v7, 28, v6
	v_sub_nc_u32_e32 v6, 29, v6
	v_lshlrev_b64_e32 v[26:27], v7, v[118:119]
	s_delay_alu instid0(VALU_DEP_1)
	v_and_b32_e32 v118, 7, v26
; %bb.1557:                             ;   in Loop: Header=BB206_813 Depth=1
	s_or_b32 exec_lo, exec_lo, s15
	s_delay_alu instid0(VALU_DEP_1) | instskip(SKIP_1) | instid1(VALU_DEP_2)
	v_dual_lshlrev_b32 v7, 24, v9 :: v_dual_lshlrev_b32 v8, 20, v118
	v_lshl_add_u32 v6, v6, 23, 0x3c000000
	v_and_b32_e32 v7, 0x80000000, v7
	s_delay_alu instid0(VALU_DEP_1)
	v_or3_b32 v7, v8, v7, v6
	v_mov_b32_e32 v6, v119
.LBB206_1558:                           ;   in Loop: Header=BB206_813 Depth=1
	s_or_b32 exec_lo, exec_lo, s14
.LBB206_1559:                           ;   in Loop: Header=BB206_813 Depth=1
	s_delay_alu instid0(SALU_CYCLE_1)
	s_or_b32 exec_lo, exec_lo, s9
.LBB206_1560:                           ;   in Loop: Header=BB206_813 Depth=1
	s_delay_alu instid0(SALU_CYCLE_1) | instskip(SKIP_4) | instid1(VALU_DEP_3)
	s_or_b32 exec_lo, exec_lo, s8
	v_or_b32_e32 v9, v13, v15
	v_or_b32_e32 v8, v12, v14
	;; [unrolled: 1-line block ×4, first 2 shown]
	v_pk_mul_f32 v[52:53], v[54:55], v[8:9]
	s_delay_alu instid0(VALU_DEP_2)
	v_pk_mul_f32 v[26:27], v[54:55], v[6:7]
	s_and_saveexec_b32 s8, vcc_lo
	s_cbranch_execz .LBB206_1562
; %bb.1561:                             ;   in Loop: Header=BB206_813 Depth=1
	scratch_load_b64 v[6:7], off, s32 offset:200 ; 8-byte Folded Reload
	s_wait_loadcnt 0x0
	v_cmp_lt_i32_e64 s0, v33, v6
	s_delay_alu instid0(VALU_DEP_1) | instskip(SKIP_1) | instid1(VALU_DEP_1)
	v_cndmask_b32_e64 v52, 0, v52, s0
	v_cmp_lt_i32_e64 s0, v43, v6
	v_cndmask_b32_e64 v53, 0, v53, s0
	v_cmp_lt_i32_e64 s0, v35, v6
	s_delay_alu instid0(VALU_DEP_1) | instskip(SKIP_1) | instid1(VALU_DEP_1)
	v_cndmask_b32_e64 v26, 0, v26, s0
	v_cmp_lt_i32_e64 s0, v34, v6
	v_cndmask_b32_e64 v27, 0, v27, s0
.LBB206_1562:                           ;   in Loop: Header=BB206_813 Depth=1
	s_wait_xcnt 0x0
	s_or_b32 exec_lo, exec_lo, s8
	flat_load_b32 v8, v[68:69] offset:2816
	v_mov_b64_e32 v[12:13], 0
	v_mov_b64_e32 v[14:15], 0
	s_mov_b32 s8, exec_lo
	s_wait_loadcnt_dscnt 0x0
	v_and_b32_e32 v6, 0xff, v8
	s_wait_xcnt 0x0
	s_delay_alu instid0(VALU_DEP_1)
	v_cmpx_ne_u16_e32 0, v6
	s_cbranch_execz .LBB206_1570
; %bb.1563:                             ;   in Loop: Header=BB206_813 Depth=1
	v_mov_b64_e32 v[14:15], 0x80000000
	s_mov_b32 s9, exec_lo
	v_cmpx_ne_u16_e32 0x80, v6
	s_cbranch_execz .LBB206_1569
; %bb.1564:                             ;   in Loop: Header=BB206_813 Depth=1
	v_mov_b64_e32 v[14:15], 0x7f800001
	v_and_b32_e32 v7, 0x7f, v8
	s_mov_b32 s14, exec_lo
	s_delay_alu instid0(VALU_DEP_1)
	v_cmpx_ne_u32_e32 0x7f, v7
	s_cbranch_execz .LBB206_1568
; %bb.1565:                             ;   in Loop: Header=BB206_813 Depth=1
	v_dual_lshrrev_b32 v6, 3, v7 :: v_dual_bitop2_b32 v118, 7, v8 bitop3:0x40
	s_mov_b32 s15, exec_lo
	v_cmpx_gt_u32_e32 8, v7
; %bb.1566:                             ;   in Loop: Header=BB206_813 Depth=1
	s_delay_alu instid0(VALU_DEP_2) | instskip(NEXT) | instid1(VALU_DEP_1)
	v_clz_i32_u32_e32 v6, v118
	v_min_u32_e32 v6, 32, v6
	s_delay_alu instid0(VALU_DEP_1) | instskip(SKIP_1) | instid1(VALU_DEP_2)
	v_subrev_nc_u32_e32 v7, 28, v6
	v_sub_nc_u32_e32 v6, 29, v6
	v_lshlrev_b64_e32 v[14:15], v7, v[118:119]
	s_delay_alu instid0(VALU_DEP_1)
	v_and_b32_e32 v118, 7, v14
; %bb.1567:                             ;   in Loop: Header=BB206_813 Depth=1
	s_or_b32 exec_lo, exec_lo, s15
	s_delay_alu instid0(VALU_DEP_1) | instskip(SKIP_1) | instid1(VALU_DEP_2)
	v_dual_lshlrev_b32 v7, 24, v8 :: v_dual_lshlrev_b32 v9, 20, v118
	v_lshl_add_u32 v6, v6, 23, 0x3c000000
	v_and_b32_e32 v7, 0x80000000, v7
	s_delay_alu instid0(VALU_DEP_1) | instskip(NEXT) | instid1(VALU_DEP_1)
	v_or3_b32 v118, v9, v7, v6
	v_mov_b64_e32 v[14:15], v[118:119]
.LBB206_1568:                           ;   in Loop: Header=BB206_813 Depth=1
	s_or_b32 exec_lo, exec_lo, s14
.LBB206_1569:                           ;   in Loop: Header=BB206_813 Depth=1
	s_delay_alu instid0(SALU_CYCLE_1)
	s_or_b32 exec_lo, exec_lo, s9
.LBB206_1570:                           ;   in Loop: Header=BB206_813 Depth=1
	s_delay_alu instid0(SALU_CYCLE_1) | instskip(SKIP_2) | instid1(VALU_DEP_1)
	s_or_b32 exec_lo, exec_lo, s8
	v_lshrrev_b16 v6, 8, v8
	s_mov_b32 s8, exec_lo
	v_cmpx_ne_u16_e32 0, v6
	s_cbranch_execz .LBB206_1578
; %bb.1571:                             ;   in Loop: Header=BB206_813 Depth=1
	v_mov_b64_e32 v[12:13], 0x8000000000000000
	s_mov_b32 s9, exec_lo
	v_cmpx_ne_u16_e32 0x80, v6
	s_cbranch_execz .LBB206_1577
; %bb.1572:                             ;   in Loop: Header=BB206_813 Depth=1
	v_and_b32_e32 v6, 0xffff, v6
	v_mov_b64_e32 v[12:13], 0x7f80000100000000
	s_mov_b32 s14, exec_lo
	s_delay_alu instid0(VALU_DEP_2) | instskip(NEXT) | instid1(VALU_DEP_1)
	v_and_b32_e32 v7, 0x7f, v6
	v_cmpx_ne_u32_e32 0x7f, v7
	s_cbranch_execz .LBB206_1576
; %bb.1573:                             ;   in Loop: Header=BB206_813 Depth=1
	v_dual_lshrrev_b32 v6, 3, v7 :: v_dual_bitop2_b32 v118, 7, v6 bitop3:0x40
	s_mov_b32 s15, exec_lo
	v_cmpx_gt_u32_e32 8, v7
; %bb.1574:                             ;   in Loop: Header=BB206_813 Depth=1
	s_delay_alu instid0(VALU_DEP_2) | instskip(NEXT) | instid1(VALU_DEP_1)
	v_clz_i32_u32_e32 v6, v118
	v_min_u32_e32 v6, 32, v6
	s_delay_alu instid0(VALU_DEP_1) | instskip(NEXT) | instid1(VALU_DEP_1)
	v_subrev_nc_u32_e32 v7, 28, v6
	v_lshlrev_b64_e32 v[12:13], v7, v[118:119]
	s_delay_alu instid0(VALU_DEP_1)
	v_dual_sub_nc_u32 v6, 29, v6 :: v_dual_bitop2_b32 v118, 7, v12 bitop3:0x40
; %bb.1575:                             ;   in Loop: Header=BB206_813 Depth=1
	s_or_b32 exec_lo, exec_lo, s15
	s_delay_alu instid0(VALU_DEP_1) | instskip(NEXT) | instid1(VALU_DEP_2)
	v_dual_lshlrev_b32 v7, 16, v8 :: v_dual_lshlrev_b32 v9, 20, v118
	v_lshl_add_u32 v6, v6, 23, 0x3c000000
	v_mov_b32_e32 v12, v119
	s_delay_alu instid0(VALU_DEP_3) | instskip(NEXT) | instid1(VALU_DEP_1)
	v_and_b32_e32 v7, 0x80000000, v7
	v_or3_b32 v13, v9, v7, v6
.LBB206_1576:                           ;   in Loop: Header=BB206_813 Depth=1
	s_or_b32 exec_lo, exec_lo, s14
.LBB206_1577:                           ;   in Loop: Header=BB206_813 Depth=1
	s_delay_alu instid0(SALU_CYCLE_1)
	s_or_b32 exec_lo, exec_lo, s9
.LBB206_1578:                           ;   in Loop: Header=BB206_813 Depth=1
	s_delay_alu instid0(SALU_CYCLE_1) | instskip(SKIP_4) | instid1(VALU_DEP_3)
	s_or_b32 exec_lo, exec_lo, s8
	v_lshrrev_b32_e32 v9, 16, v8
	v_mov_b64_e32 v[6:7], 0
	v_mov_b64_e32 v[24:25], 0
	s_mov_b32 s8, exec_lo
	v_and_b32_e32 v36, 0xff, v9
	s_delay_alu instid0(VALU_DEP_1)
	v_cmpx_ne_u16_e32 0, v36
	s_cbranch_execz .LBB206_1586
; %bb.1579:                             ;   in Loop: Header=BB206_813 Depth=1
	v_mov_b64_e32 v[24:25], 0x80000000
	s_mov_b32 s9, exec_lo
	v_cmpx_ne_u16_e32 0x80, v36
	s_cbranch_execz .LBB206_1585
; %bb.1580:                             ;   in Loop: Header=BB206_813 Depth=1
	v_mov_b64_e32 v[24:25], 0x7f800001
	v_bfe_u32 v36, v8, 16, 7
	s_mov_b32 s14, exec_lo
	s_delay_alu instid0(VALU_DEP_1)
	v_cmpx_ne_u32_e32 0x7f, v36
	s_cbranch_execz .LBB206_1584
; %bb.1581:                             ;   in Loop: Header=BB206_813 Depth=1
	v_dual_lshrrev_b32 v24, 3, v36 :: v_dual_bitop2_b32 v118, 7, v9 bitop3:0x40
	s_mov_b32 s15, exec_lo
	v_cmpx_gt_u32_e32 8, v36
	s_cbranch_execz .LBB206_1583
; %bb.1582:                             ;   in Loop: Header=BB206_813 Depth=1
	s_delay_alu instid0(VALU_DEP_2) | instskip(NEXT) | instid1(VALU_DEP_1)
	v_clz_i32_u32_e32 v24, v118
	v_min_u32_e32 v24, 32, v24
	s_delay_alu instid0(VALU_DEP_1) | instskip(SKIP_1) | instid1(VALU_DEP_2)
	v_subrev_nc_u32_e32 v25, 28, v24
	v_sub_nc_u32_e32 v24, 29, v24
	v_lshlrev_b64_e32 v[36:37], v25, v[118:119]
	scratch_load_b32 v37, off, s32 offset:324 ; 4-byte Folded Reload
	v_and_b32_e32 v118, 7, v36
.LBB206_1583:                           ;   in Loop: Header=BB206_813 Depth=1
	s_wait_xcnt 0x0
	s_or_b32 exec_lo, exec_lo, s15
	s_delay_alu instid0(VALU_DEP_1) | instskip(SKIP_1) | instid1(VALU_DEP_2)
	v_dual_lshlrev_b32 v9, 24, v9 :: v_dual_lshlrev_b32 v25, 20, v118
	v_lshl_add_u32 v24, v24, 23, 0x3c000000
	v_and_b32_e32 v9, 0x80000000, v9
	s_delay_alu instid0(VALU_DEP_1) | instskip(NEXT) | instid1(VALU_DEP_1)
	v_or3_b32 v118, v25, v9, v24
	v_mov_b64_e32 v[24:25], v[118:119]
.LBB206_1584:                           ;   in Loop: Header=BB206_813 Depth=1
	s_or_b32 exec_lo, exec_lo, s14
.LBB206_1585:                           ;   in Loop: Header=BB206_813 Depth=1
	s_delay_alu instid0(SALU_CYCLE_1)
	s_or_b32 exec_lo, exec_lo, s9
.LBB206_1586:                           ;   in Loop: Header=BB206_813 Depth=1
	s_delay_alu instid0(SALU_CYCLE_1) | instskip(NEXT) | instid1(SALU_CYCLE_1)
	s_or_b32 exec_lo, exec_lo, s8
	s_mov_b32 s8, exec_lo
	v_cmpx_lt_u32_e32 0xffffff, v8
	s_cbranch_execz .LBB206_1594
; %bb.1587:                             ;   in Loop: Header=BB206_813 Depth=1
	v_mov_b64_e32 v[6:7], 0x8000000000000000
	v_lshrrev_b32_e32 v9, 24, v8
	s_mov_b32 s9, exec_lo
	s_delay_alu instid0(VALU_DEP_1)
	v_cmpx_ne_u32_e32 0x80, v9
	s_cbranch_execz .LBB206_1593
; %bb.1588:                             ;   in Loop: Header=BB206_813 Depth=1
	v_mov_b64_e32 v[6:7], 0x7f80000100000000
	v_bfe_u32 v8, v8, 24, 7
	s_mov_b32 s14, exec_lo
	s_delay_alu instid0(VALU_DEP_1)
	v_cmpx_ne_u32_e32 0x7f, v8
	s_cbranch_execz .LBB206_1592
; %bb.1589:                             ;   in Loop: Header=BB206_813 Depth=1
	v_dual_lshrrev_b32 v6, 3, v8 :: v_dual_bitop2_b32 v118, 7, v9 bitop3:0x40
	s_mov_b32 s15, exec_lo
	v_cmpx_gt_u32_e32 8, v8
	s_cbranch_execz .LBB206_1591
; %bb.1590:                             ;   in Loop: Header=BB206_813 Depth=1
	s_delay_alu instid0(VALU_DEP_2) | instskip(NEXT) | instid1(VALU_DEP_1)
	v_clz_i32_u32_e32 v6, v118
	v_min_u32_e32 v6, 32, v6
	s_delay_alu instid0(VALU_DEP_1) | instskip(SKIP_1) | instid1(VALU_DEP_1)
	v_subrev_nc_u32_e32 v7, 28, v6
	s_wait_loadcnt 0x0
	v_lshlrev_b64_e32 v[36:37], v7, v[118:119]
	scratch_load_b32 v37, off, s32 offset:324 ; 4-byte Folded Reload
	v_dual_sub_nc_u32 v6, 29, v6 :: v_dual_bitop2_b32 v118, 7, v36 bitop3:0x40
.LBB206_1591:                           ;   in Loop: Header=BB206_813 Depth=1
	s_wait_xcnt 0x0
	s_or_b32 exec_lo, exec_lo, s15
	s_delay_alu instid0(VALU_DEP_1) | instskip(NEXT) | instid1(VALU_DEP_2)
	v_dual_lshlrev_b32 v7, 24, v9 :: v_dual_lshlrev_b32 v8, 20, v118
	v_lshl_add_u32 v6, v6, 23, 0x3c000000
	s_delay_alu instid0(VALU_DEP_2) | instskip(NEXT) | instid1(VALU_DEP_1)
	v_and_b32_e32 v7, 0x80000000, v7
	v_or3_b32 v7, v8, v7, v6
	v_mov_b32_e32 v6, v119
.LBB206_1592:                           ;   in Loop: Header=BB206_813 Depth=1
	s_or_b32 exec_lo, exec_lo, s14
.LBB206_1593:                           ;   in Loop: Header=BB206_813 Depth=1
	s_delay_alu instid0(SALU_CYCLE_1)
	s_or_b32 exec_lo, exec_lo, s9
.LBB206_1594:                           ;   in Loop: Header=BB206_813 Depth=1
	s_delay_alu instid0(SALU_CYCLE_1) | instskip(SKIP_4) | instid1(VALU_DEP_3)
	s_or_b32 exec_lo, exec_lo, s8
	v_or_b32_e32 v9, v13, v15
	v_or_b32_e32 v8, v12, v14
	;; [unrolled: 1-line block ×4, first 2 shown]
	v_pk_mul_f32 v[14:15], v[54:55], v[8:9]
	s_delay_alu instid0(VALU_DEP_2)
	v_pk_mul_f32 v[12:13], v[54:55], v[6:7]
	s_and_saveexec_b32 s8, vcc_lo
	s_cbranch_execz .LBB206_1596
; %bb.1595:                             ;   in Loop: Header=BB206_813 Depth=1
	scratch_load_b64 v[6:7], off, s32 offset:200 ; 8-byte Folded Reload
	s_wait_loadcnt 0x0
	v_cmp_lt_i32_e64 s0, v33, v6
	s_delay_alu instid0(VALU_DEP_1) | instskip(SKIP_1) | instid1(VALU_DEP_1)
	v_cndmask_b32_e64 v14, 0, v14, s0
	v_cmp_lt_i32_e64 s0, v43, v6
	v_cndmask_b32_e64 v15, 0, v15, s0
	v_cmp_lt_i32_e64 s0, v35, v6
	s_delay_alu instid0(VALU_DEP_1) | instskip(SKIP_1) | instid1(VALU_DEP_1)
	v_cndmask_b32_e64 v12, 0, v12, s0
	v_cmp_lt_i32_e64 s0, v34, v6
	v_cndmask_b32_e64 v13, 0, v13, s0
.LBB206_1596:                           ;   in Loop: Header=BB206_813 Depth=1
	s_wait_xcnt 0x0
	s_or_b32 exec_lo, exec_lo, s8
	flat_load_b32 v34, v[68:69] offset:2944
	s_wait_xcnt 0x0
	v_mov_b64_e32 v[68:69], 0
	v_mov_b64_e32 v[6:7], 0
	s_mov_b32 s8, exec_lo
	s_wait_loadcnt_dscnt 0x0
	v_and_b32_e32 v8, 0xff, v34
	s_delay_alu instid0(VALU_DEP_1)
	v_cmpx_ne_u16_e32 0, v8
	s_cbranch_execz .LBB206_1604
; %bb.1597:                             ;   in Loop: Header=BB206_813 Depth=1
	v_mov_b64_e32 v[6:7], 0x80000000
	s_mov_b32 s9, exec_lo
	v_cmpx_ne_u16_e32 0x80, v8
	s_cbranch_execz .LBB206_1603
; %bb.1598:                             ;   in Loop: Header=BB206_813 Depth=1
	v_mov_b64_e32 v[6:7], 0x7f800001
	v_and_b32_e32 v8, 0x7f, v34
	s_mov_b32 s14, exec_lo
	s_delay_alu instid0(VALU_DEP_1)
	v_cmpx_ne_u32_e32 0x7f, v8
	s_cbranch_execz .LBB206_1602
; %bb.1599:                             ;   in Loop: Header=BB206_813 Depth=1
	v_dual_lshrrev_b32 v6, 3, v8 :: v_dual_bitop2_b32 v118, 7, v34 bitop3:0x40
	s_mov_b32 s15, exec_lo
	v_cmpx_gt_u32_e32 8, v8
; %bb.1600:                             ;   in Loop: Header=BB206_813 Depth=1
	s_delay_alu instid0(VALU_DEP_2) | instskip(NEXT) | instid1(VALU_DEP_1)
	v_clz_i32_u32_e32 v6, v118
	v_min_u32_e32 v6, 32, v6
	s_delay_alu instid0(VALU_DEP_1) | instskip(NEXT) | instid1(VALU_DEP_1)
	v_subrev_nc_u32_e32 v7, 28, v6
	v_lshlrev_b64_e32 v[8:9], v7, v[118:119]
	s_delay_alu instid0(VALU_DEP_1)
	v_dual_sub_nc_u32 v6, 29, v6 :: v_dual_bitop2_b32 v118, 7, v8 bitop3:0x40
; %bb.1601:                             ;   in Loop: Header=BB206_813 Depth=1
	s_or_b32 exec_lo, exec_lo, s15
	v_lshlrev_b32_e32 v7, 24, v34
	s_delay_alu instid0(VALU_DEP_2) | instskip(NEXT) | instid1(VALU_DEP_3)
	v_lshlrev_b32_e32 v8, 20, v118
	v_lshl_add_u32 v6, v6, 23, 0x3c000000
	s_delay_alu instid0(VALU_DEP_3) | instskip(NEXT) | instid1(VALU_DEP_1)
	v_and_b32_e32 v7, 0x80000000, v7
	v_or3_b32 v118, v8, v7, v6
	s_delay_alu instid0(VALU_DEP_1)
	v_mov_b64_e32 v[6:7], v[118:119]
.LBB206_1602:                           ;   in Loop: Header=BB206_813 Depth=1
	s_or_b32 exec_lo, exec_lo, s14
.LBB206_1603:                           ;   in Loop: Header=BB206_813 Depth=1
	s_delay_alu instid0(SALU_CYCLE_1)
	s_or_b32 exec_lo, exec_lo, s9
.LBB206_1604:                           ;   in Loop: Header=BB206_813 Depth=1
	s_delay_alu instid0(SALU_CYCLE_1) | instskip(SKIP_2) | instid1(VALU_DEP_1)
	s_or_b32 exec_lo, exec_lo, s8
	v_lshrrev_b16 v8, 8, v34
	s_mov_b32 s8, exec_lo
	v_cmpx_ne_u16_e32 0, v8
	s_cbranch_execz .LBB206_1612
; %bb.1605:                             ;   in Loop: Header=BB206_813 Depth=1
	v_mov_b64_e32 v[68:69], 0x8000000000000000
	s_mov_b32 s9, exec_lo
	v_cmpx_ne_u16_e32 0x80, v8
	s_cbranch_execz .LBB206_1611
; %bb.1606:                             ;   in Loop: Header=BB206_813 Depth=1
	v_and_b32_e32 v8, 0xffff, v8
	v_mov_b64_e32 v[68:69], 0x7f80000100000000
	s_mov_b32 s14, exec_lo
	s_delay_alu instid0(VALU_DEP_2) | instskip(NEXT) | instid1(VALU_DEP_1)
	v_and_b32_e32 v9, 0x7f, v8
	v_cmpx_ne_u32_e32 0x7f, v9
	s_cbranch_execz .LBB206_1610
; %bb.1607:                             ;   in Loop: Header=BB206_813 Depth=1
	v_dual_lshrrev_b32 v8, 3, v9 :: v_dual_bitop2_b32 v118, 7, v8 bitop3:0x40
	s_mov_b32 s15, exec_lo
	v_cmpx_gt_u32_e32 8, v9
; %bb.1608:                             ;   in Loop: Header=BB206_813 Depth=1
	s_delay_alu instid0(VALU_DEP_2) | instskip(NEXT) | instid1(VALU_DEP_1)
	v_clz_i32_u32_e32 v8, v118
	v_min_u32_e32 v8, 32, v8
	s_delay_alu instid0(VALU_DEP_1) | instskip(SKIP_1) | instid1(VALU_DEP_2)
	v_subrev_nc_u32_e32 v9, 28, v8
	v_sub_nc_u32_e32 v8, 29, v8
	v_lshlrev_b64_e32 v[24:25], v9, v[118:119]
	s_delay_alu instid0(VALU_DEP_1)
	v_and_b32_e32 v118, 7, v24
; %bb.1609:                             ;   in Loop: Header=BB206_813 Depth=1
	s_or_b32 exec_lo, exec_lo, s15
	v_dual_mov_b32 v68, v119 :: v_dual_lshlrev_b32 v9, 16, v34
	s_delay_alu instid0(VALU_DEP_2) | instskip(SKIP_1) | instid1(VALU_DEP_3)
	v_lshlrev_b32_e32 v24, 20, v118
	v_lshl_add_u32 v8, v8, 23, 0x3c000000
	v_and_b32_e32 v9, 0x80000000, v9
	s_delay_alu instid0(VALU_DEP_1)
	v_or3_b32 v69, v24, v9, v8
.LBB206_1610:                           ;   in Loop: Header=BB206_813 Depth=1
	s_or_b32 exec_lo, exec_lo, s14
.LBB206_1611:                           ;   in Loop: Header=BB206_813 Depth=1
	s_delay_alu instid0(SALU_CYCLE_1)
	s_or_b32 exec_lo, exec_lo, s9
.LBB206_1612:                           ;   in Loop: Header=BB206_813 Depth=1
	s_delay_alu instid0(SALU_CYCLE_1) | instskip(SKIP_4) | instid1(VALU_DEP_3)
	s_or_b32 exec_lo, exec_lo, s8
	v_lshrrev_b32_e32 v35, 16, v34
	v_mov_b64_e32 v[24:25], 0
	v_mov_b64_e32 v[8:9], 0
	s_mov_b32 s8, exec_lo
	v_and_b32_e32 v36, 0xff, v35
	s_delay_alu instid0(VALU_DEP_1)
	v_cmpx_ne_u16_e32 0, v36
	s_cbranch_execz .LBB206_1620
; %bb.1613:                             ;   in Loop: Header=BB206_813 Depth=1
	v_mov_b64_e32 v[8:9], 0x80000000
	s_mov_b32 s9, exec_lo
	v_cmpx_ne_u16_e32 0x80, v36
	s_cbranch_execz .LBB206_1619
; %bb.1614:                             ;   in Loop: Header=BB206_813 Depth=1
	v_mov_b64_e32 v[8:9], 0x7f800001
	v_bfe_u32 v36, v34, 16, 7
	s_mov_b32 s14, exec_lo
	s_delay_alu instid0(VALU_DEP_1)
	v_cmpx_ne_u32_e32 0x7f, v36
	s_cbranch_execz .LBB206_1618
; %bb.1615:                             ;   in Loop: Header=BB206_813 Depth=1
	v_dual_lshrrev_b32 v8, 3, v36 :: v_dual_bitop2_b32 v118, 7, v35 bitop3:0x40
	s_mov_b32 s15, exec_lo
	v_cmpx_gt_u32_e32 8, v36
	s_cbranch_execz .LBB206_1617
; %bb.1616:                             ;   in Loop: Header=BB206_813 Depth=1
	s_delay_alu instid0(VALU_DEP_2) | instskip(NEXT) | instid1(VALU_DEP_1)
	v_clz_i32_u32_e32 v8, v118
	v_min_u32_e32 v8, 32, v8
	s_delay_alu instid0(VALU_DEP_1) | instskip(SKIP_1) | instid1(VALU_DEP_2)
	v_subrev_nc_u32_e32 v9, 28, v8
	v_sub_nc_u32_e32 v8, 29, v8
	v_lshlrev_b64_e32 v[36:37], v9, v[118:119]
	scratch_load_b32 v37, off, s32 offset:324 ; 4-byte Folded Reload
	v_and_b32_e32 v118, 7, v36
.LBB206_1617:                           ;   in Loop: Header=BB206_813 Depth=1
	s_wait_xcnt 0x0
	s_or_b32 exec_lo, exec_lo, s15
	s_delay_alu instid0(VALU_DEP_1) | instskip(SKIP_1) | instid1(VALU_DEP_2)
	v_dual_lshlrev_b32 v9, 24, v35 :: v_dual_lshlrev_b32 v35, 20, v118
	v_lshl_add_u32 v8, v8, 23, 0x3c000000
	v_and_b32_e32 v9, 0x80000000, v9
	s_delay_alu instid0(VALU_DEP_1) | instskip(NEXT) | instid1(VALU_DEP_1)
	v_or3_b32 v118, v35, v9, v8
	v_mov_b64_e32 v[8:9], v[118:119]
.LBB206_1618:                           ;   in Loop: Header=BB206_813 Depth=1
	s_or_b32 exec_lo, exec_lo, s14
.LBB206_1619:                           ;   in Loop: Header=BB206_813 Depth=1
	s_delay_alu instid0(SALU_CYCLE_1)
	s_or_b32 exec_lo, exec_lo, s9
.LBB206_1620:                           ;   in Loop: Header=BB206_813 Depth=1
	s_delay_alu instid0(SALU_CYCLE_1) | instskip(NEXT) | instid1(SALU_CYCLE_1)
	s_or_b32 exec_lo, exec_lo, s8
	s_mov_b32 s8, exec_lo
	v_cmpx_lt_u32_e32 0xffffff, v34
	s_cbranch_execz .LBB206_1628
; %bb.1621:                             ;   in Loop: Header=BB206_813 Depth=1
	v_mov_b64_e32 v[24:25], 0x8000000000000000
	v_lshrrev_b32_e32 v35, 24, v34
	s_mov_b32 s9, exec_lo
	s_delay_alu instid0(VALU_DEP_1)
	v_cmpx_ne_u32_e32 0x80, v35
	s_cbranch_execz .LBB206_1627
; %bb.1622:                             ;   in Loop: Header=BB206_813 Depth=1
	v_mov_b64_e32 v[24:25], 0x7f80000100000000
	v_bfe_u32 v34, v34, 24, 7
	s_mov_b32 s14, exec_lo
	s_delay_alu instid0(VALU_DEP_1)
	v_cmpx_ne_u32_e32 0x7f, v34
	s_cbranch_execz .LBB206_1626
; %bb.1623:                             ;   in Loop: Header=BB206_813 Depth=1
	v_dual_lshrrev_b32 v24, 3, v34 :: v_dual_bitop2_b32 v118, 7, v35 bitop3:0x40
	s_mov_b32 s15, exec_lo
	v_cmpx_gt_u32_e32 8, v34
	s_cbranch_execz .LBB206_1625
; %bb.1624:                             ;   in Loop: Header=BB206_813 Depth=1
	s_delay_alu instid0(VALU_DEP_2) | instskip(NEXT) | instid1(VALU_DEP_1)
	v_clz_i32_u32_e32 v24, v118
	v_min_u32_e32 v24, 32, v24
	s_delay_alu instid0(VALU_DEP_1) | instskip(SKIP_2) | instid1(VALU_DEP_2)
	v_subrev_nc_u32_e32 v25, 28, v24
	v_sub_nc_u32_e32 v24, 29, v24
	s_wait_loadcnt 0x0
	v_lshlrev_b64_e32 v[36:37], v25, v[118:119]
	scratch_load_b32 v37, off, s32 offset:324 ; 4-byte Folded Reload
	v_and_b32_e32 v118, 7, v36
.LBB206_1625:                           ;   in Loop: Header=BB206_813 Depth=1
	s_wait_xcnt 0x0
	s_or_b32 exec_lo, exec_lo, s15
	s_delay_alu instid0(VALU_DEP_1) | instskip(SKIP_1) | instid1(VALU_DEP_2)
	v_dual_lshlrev_b32 v25, 24, v35 :: v_dual_lshlrev_b32 v34, 20, v118
	v_lshl_add_u32 v24, v24, 23, 0x3c000000
	v_and_b32_e32 v25, 0x80000000, v25
	s_delay_alu instid0(VALU_DEP_1)
	v_or3_b32 v25, v34, v25, v24
	v_mov_b32_e32 v24, v119
.LBB206_1626:                           ;   in Loop: Header=BB206_813 Depth=1
	s_or_b32 exec_lo, exec_lo, s14
.LBB206_1627:                           ;   in Loop: Header=BB206_813 Depth=1
	s_delay_alu instid0(SALU_CYCLE_1)
	s_or_b32 exec_lo, exec_lo, s9
.LBB206_1628:                           ;   in Loop: Header=BB206_813 Depth=1
	s_delay_alu instid0(SALU_CYCLE_1) | instskip(SKIP_4) | instid1(VALU_DEP_3)
	s_or_b32 exec_lo, exec_lo, s8
	v_or_b32_e32 v7, v69, v7
	v_or_b32_e32 v6, v68, v6
	v_or_b32_e32 v9, v25, v9
	v_or_b32_e32 v8, v24, v8
	v_pk_mul_f32 v[68:69], v[54:55], v[6:7]
	s_delay_alu instid0(VALU_DEP_2)
	v_pk_mul_f32 v[54:55], v[54:55], v[8:9]
	s_and_saveexec_b32 s8, vcc_lo
	s_cbranch_execz .LBB206_811
; %bb.1629:                             ;   in Loop: Header=BB206_813 Depth=1
	scratch_load_b64 v[6:7], off, s32 offset:200 ; 8-byte Folded Reload
	s_wait_loadcnt 0x0
	v_mov_b32_e32 v8, v6
	scratch_load_b64 v[6:7], off, s32 offset:316 ; 8-byte Folded Reload
	s_wait_loadcnt 0x0
	v_dual_mov_b32 v9, v7 :: v_dual_bitop2_b32 v6, 3, v33 bitop3:0x54
	v_cmp_lt_i32_e32 vcc_lo, v33, v8
	v_or_b32_e32 v7, 2, v33
	s_delay_alu instid0(VALU_DEP_3) | instskip(SKIP_1) | instid1(VALU_DEP_3)
	v_cmp_lt_i32_e64 s0, v43, v9
	v_cndmask_b32_e32 v68, 0, v68, vcc_lo
	v_cmp_lt_i32_e32 vcc_lo, v7, v8
	s_delay_alu instid0(VALU_DEP_3) | instskip(SKIP_1) | instid1(VALU_DEP_1)
	v_cndmask_b32_e64 v69, 0, v69, s0
	v_cmp_lt_i32_e64 s0, v6, v9
	v_dual_cndmask_b32 v54, 0, v54, vcc_lo :: v_dual_cndmask_b32 v55, 0, v55, s0
	s_branch .LBB206_811
.LBB206_1630:
	s_or_b32 exec_lo, exec_lo, s2
	s_clause 0xe
	scratch_load_b32 v80, off, s32 offset:1056
	scratch_load_b32 v81, off, s32 offset:1060
	;; [unrolled: 1-line block ×6, first 2 shown]
	scratch_load_b64 v[52:53], off, s32 offset:192
	scratch_load_b64 v[54:55], off, s32 offset:212
	;; [unrolled: 1-line block ×9, first 2 shown]
.LBB206_1631:
	s_wait_xcnt 0x0
	s_or_b32 exec_lo, exec_lo, s1
	s_wait_loadcnt 0x0
	ds_bpermute_b32 v6, v31, v14
	ds_bpermute_b32 v7, v31, v15
	;; [unrolled: 1-line block ×21, first 2 shown]
	s_wait_dscnt 0x13
	v_pk_add_f32 v[6:7], v[14:15], v[6:7]
	ds_bpermute_b32 v29, v31, v55
	s_wait_dscnt 0x12
	v_pk_add_f32 v[8:9], v[70:71], v[8:9]
	ds_bpermute_b32 v30, v31, v52
	ds_bpermute_b32 v31, v31, v53
	;; [unrolled: 1-line block ×4, first 2 shown]
	s_wait_dscnt 0x14
	v_pk_add_f32 v[10:11], v[32:33], v[10:11]
	ds_bpermute_b32 v32, v35, v8
	ds_bpermute_b32 v33, v35, v9
	s_wait_dscnt 0x14
	v_pk_add_f32 v[2:3], v[38:39], v[2:3]
	s_wait_dscnt 0x12
	v_pk_add_f32 v[26:27], v[64:65], v[26:27]
	s_wait_dscnt 0xe
	v_pk_add_f32 v[4:5], v[48:49], v[4:5]
	v_pk_add_f32 v[0:1], v[50:51], v[0:1]
	s_wait_storecnt_dscnt 0x0
	ds_bpermute_b32 v16, v35, v2
	ds_bpermute_b32 v17, v35, v3
	;; [unrolled: 1-line block ×4, first 2 shown]
	s_barrier_signal -1
	s_barrier_wait -1
	s_wait_dscnt 0x0
	ds_bpermute_b32 v14, v35, v0
	ds_bpermute_b32 v15, v35, v1
	v_pk_add_f32 v[30:31], v[52:53], v[30:31]
	v_pk_add_f32 v[12:13], v[68:69], v[12:13]
	;; [unrolled: 1-line block ×6, first 2 shown]
	ds_bpermute_b32 v32, v35, v26
	ds_bpermute_b32 v33, v35, v27
	;; [unrolled: 1-line block ×6, first 2 shown]
	v_pk_add_f32 v[2:3], v[2:3], v[16:17]
	v_pk_add_f32 v[28:29], v[54:55], v[28:29]
	v_pk_add_f32 v[4:5], v[4:5], v[18:19]
	ds_bpermute_b32 v24, v35, v12
	ds_bpermute_b32 v25, v35, v13
	ds_bpermute_b32 v18, v82, v2
	ds_bpermute_b32 v19, v82, v3
	s_wait_dscnt 0xa
	v_pk_add_f32 v[0:1], v[0:1], v[14:15]
	ds_bpermute_b32 v14, v35, v10
	ds_bpermute_b32 v15, v35, v11
	;; [unrolled: 1-line block ×7, first 2 shown]
	s_wait_dscnt 0xf
	v_pk_add_f32 v[26:27], v[26:27], v[32:33]
	ds_bpermute_b32 v17, v82, v1
	ds_bpermute_b32 v34, v82, v4
	s_wait_dscnt 0xe
	v_pk_add_f32 v[38:39], v[22:23], v[38:39]
	s_wait_dscnt 0xd
	v_pk_add_f32 v[22:23], v[30:31], v[50:51]
	ds_bpermute_b32 v30, v82, v26
	ds_bpermute_b32 v31, v82, v27
	ds_bpermute_b32 v35, v82, v5
	ds_bpermute_b32 v52, v82, v6
	s_wait_dscnt 0xf
	v_pk_add_f32 v[64:65], v[12:13], v[24:25]
	ds_bpermute_b32 v53, v82, v7
	s_wait_dscnt 0xe
	v_pk_add_f32 v[18:19], v[2:3], v[18:19]
	ds_bpermute_b32 v54, v82, v8
	ds_bpermute_b32 v55, v82, v9
	s_wait_dscnt 0xe
	v_pk_add_f32 v[10:11], v[10:11], v[14:15]
	ds_bpermute_b32 v68, v82, v64
	s_wait_dscnt 0xd
	v_pk_add_f32 v[36:37], v[20:21], v[36:37]
	;; [unrolled: 3-line block ×3, first 2 shown]
	ds_bpermute_b32 v66, v82, v10
	ds_bpermute_b32 v67, v82, v11
	ds_bpermute_b32 v70, v82, v36
	ds_bpermute_b32 v71, v82, v37
	ds_bpermute_b32 v32, v82, v38
	ds_bpermute_b32 v33, v82, v39
	ds_bpermute_b32 v48, v82, v28
	s_wait_dscnt 0xe
	v_pk_add_f32 v[2:3], v[26:27], v[30:31]
	scratch_load_b32 v26, off, s32 offset:632 th:TH_LOAD_LU ; 4-byte Folded Reload
	ds_bpermute_b32 v49, v82, v29
	ds_bpermute_b32 v24, v82, v22
	;; [unrolled: 1-line block ×3, first 2 shown]
	s_load_b32 s0, s[6:7], 0x0
	v_pk_add_f32 v[20:21], v[0:1], v[16:17]
	s_wait_dscnt 0x10
	v_pk_add_f32 v[16:17], v[4:5], v[34:35]
	s_wait_dscnt 0xe
	;; [unrolled: 2-line block ×3, first 2 shown]
	v_pk_add_f32 v[12:13], v[8:9], v[54:55]
	v_and_b32_e32 v34, 0x3c7, v80
	s_wait_dscnt 0xa
	v_pk_add_f32 v[8:9], v[64:65], v[68:69]
	s_mov_b32 s1, exec_lo
	s_wait_dscnt 0x8
	v_pk_add_f32 v[10:11], v[10:11], v[66:67]
	s_wait_dscnt 0x6
	v_pk_add_f32 v[4:5], v[36:37], v[70:71]
	s_wait_dscnt 0x4
	v_pk_add_f32 v[6:7], v[38:39], v[32:33]
	s_wait_dscnt 0x2
	v_pk_add_f32 v[0:1], v[28:29], v[48:49]
	s_wait_loadcnt 0x0
	v_lshrrev_b32_e32 v26, 3, v26
	v_cmpx_ne_u32_e32 64, v34
	s_xor_b32 s1, exec_lo, s1
	s_delay_alu instid0(SALU_CYCLE_1)
	s_or_saveexec_b32 s1, s1
	s_wait_dscnt 0x0
	v_pk_add_f32 v[22:23], v[22:23], v[24:25]
	s_wait_kmcnt 0x0
	v_lshl_add_u32 v25, v26, 2, s0
	v_mul_u32_u24_e32 v24, 0x180, v81
	s_xor_b32 exec_lo, exec_lo, s1
	s_cbranch_execz .LBB206_1633
; %bb.1632:
	s_delay_alu instid0(VALU_DEP_1) | instskip(NEXT) | instid1(VALU_DEP_1)
	v_add_nc_u32_e32 v27, v25, v24
	v_add_nc_u32_e32 v28, 0xfffffd00, v27
	;; [unrolled: 1-line block ×9, first 2 shown]
	ds_store_b32 v28, v20
	ds_store_b32 v29, v21
	;; [unrolled: 1-line block ×8, first 2 shown]
	v_add_nc_u32_e32 v28, 0xfffffd80, v27
	v_add_nc_u32_e32 v29, 0xfffffd90, v27
	;; [unrolled: 1-line block ×8, first 2 shown]
	ds_store_b32 v28, v12
	ds_store_b32 v29, v13
	ds_store_b32 v30, v10
	ds_store_b32 v31, v11
	ds_store_b32 v32, v8
	ds_store_b32 v33, v9
	ds_store_b32 v34, v4
	ds_store_b32 v35, v5
	v_add_nc_u32_e32 v28, 0xfffffe00, v27
	v_add_nc_u32_e32 v29, 0xfffffe10, v27
	;; [unrolled: 1-line block ×8, first 2 shown]
	ds_store_b32 v28, v6
	ds_store_b32 v29, v7
	;; [unrolled: 1-line block ×8, first 2 shown]
.LBB206_1633:
	s_or_b32 exec_lo, exec_lo, s1
	v_lshlrev_b32_e32 v26, 2, v26
	s_mov_b32 s1, exec_lo
	v_cmp_eq_u32_e32 vcc_lo, 0, v83
	s_wait_dscnt 0x0
	s_barrier_signal -1
	v_add3_u32 v24, s0, v24, v26
	s_barrier_wait -1
	v_cmpx_gt_u32_e32 64, v80
	s_cbranch_execz .LBB206_1660
; %bb.1634:
	s_and_saveexec_b32 s0, vcc_lo
	s_cbranch_execnz .LBB206_1692
; %bb.1635:
	s_or_b32 exec_lo, exec_lo, s0
	s_and_saveexec_b32 s0, vcc_lo
	s_cbranch_execnz .LBB206_1693
.LBB206_1636:
	s_or_b32 exec_lo, exec_lo, s0
	s_and_saveexec_b32 s0, vcc_lo
	s_cbranch_execnz .LBB206_1694
.LBB206_1637:
	s_or_b32 exec_lo, exec_lo, s0
	s_and_saveexec_b32 s0, vcc_lo
	s_cbranch_execnz .LBB206_1695
.LBB206_1638:
	s_or_b32 exec_lo, exec_lo, s0
	s_and_saveexec_b32 s0, vcc_lo
	s_cbranch_execnz .LBB206_1696
.LBB206_1639:
	s_or_b32 exec_lo, exec_lo, s0
	s_and_saveexec_b32 s0, vcc_lo
	s_cbranch_execnz .LBB206_1697
.LBB206_1640:
	s_or_b32 exec_lo, exec_lo, s0
	s_and_saveexec_b32 s0, vcc_lo
	s_cbranch_execnz .LBB206_1698
.LBB206_1641:
	s_or_b32 exec_lo, exec_lo, s0
	s_and_saveexec_b32 s0, vcc_lo
	s_cbranch_execnz .LBB206_1699
.LBB206_1642:
	s_or_b32 exec_lo, exec_lo, s0
	s_and_saveexec_b32 s0, vcc_lo
	s_cbranch_execnz .LBB206_1700
.LBB206_1643:
	s_or_b32 exec_lo, exec_lo, s0
	s_and_saveexec_b32 s0, vcc_lo
	s_cbranch_execnz .LBB206_1701
.LBB206_1644:
	s_or_b32 exec_lo, exec_lo, s0
	s_and_saveexec_b32 s0, vcc_lo
	s_cbranch_execnz .LBB206_1702
.LBB206_1645:
	s_or_b32 exec_lo, exec_lo, s0
	s_and_saveexec_b32 s0, vcc_lo
	s_cbranch_execnz .LBB206_1703
.LBB206_1646:
	s_or_b32 exec_lo, exec_lo, s0
	s_and_saveexec_b32 s0, vcc_lo
	s_cbranch_execnz .LBB206_1704
.LBB206_1647:
	s_or_b32 exec_lo, exec_lo, s0
	s_and_saveexec_b32 s0, vcc_lo
	s_cbranch_execnz .LBB206_1705
.LBB206_1648:
	s_or_b32 exec_lo, exec_lo, s0
	s_and_saveexec_b32 s0, vcc_lo
	s_cbranch_execnz .LBB206_1706
.LBB206_1649:
	s_or_b32 exec_lo, exec_lo, s0
	s_and_saveexec_b32 s0, vcc_lo
	s_cbranch_execnz .LBB206_1707
.LBB206_1650:
	s_or_b32 exec_lo, exec_lo, s0
	s_and_saveexec_b32 s0, vcc_lo
	s_cbranch_execnz .LBB206_1708
.LBB206_1651:
	s_or_b32 exec_lo, exec_lo, s0
	s_and_saveexec_b32 s0, vcc_lo
	s_cbranch_execnz .LBB206_1709
.LBB206_1652:
	s_or_b32 exec_lo, exec_lo, s0
	s_and_saveexec_b32 s0, vcc_lo
	s_cbranch_execnz .LBB206_1710
.LBB206_1653:
	s_or_b32 exec_lo, exec_lo, s0
	s_and_saveexec_b32 s0, vcc_lo
	s_cbranch_execnz .LBB206_1711
.LBB206_1654:
	s_or_b32 exec_lo, exec_lo, s0
	s_and_saveexec_b32 s0, vcc_lo
	s_cbranch_execnz .LBB206_1712
.LBB206_1655:
	s_or_b32 exec_lo, exec_lo, s0
	s_and_saveexec_b32 s0, vcc_lo
	s_cbranch_execnz .LBB206_1713
.LBB206_1656:
	s_or_b32 exec_lo, exec_lo, s0
	s_and_saveexec_b32 s0, vcc_lo
	s_cbranch_execnz .LBB206_1714
.LBB206_1657:
	s_or_b32 exec_lo, exec_lo, s0
	s_and_saveexec_b32 s0, vcc_lo
	s_cbranch_execz .LBB206_1659
.LBB206_1658:
	ds_load_b32 v26, v24 offset:368
	s_wait_dscnt 0x0
	v_add_f32_e32 v23, v26, v23
.LBB206_1659:
	s_or_b32 exec_lo, exec_lo, s0
.LBB206_1660:
	s_delay_alu instid0(SALU_CYCLE_1) | instskip(SKIP_4) | instid1(VALU_DEP_1)
	s_or_b32 exec_lo, exec_lo, s1
	v_and_b32_e32 v26, 0x3e7, v80
	s_mov_b32 s1, exec_lo
	s_barrier_signal -1
	s_barrier_wait -1
	v_cmpx_eq_u32_e32 32, v26
	s_cbranch_execz .LBB206_1662
; %bb.1661:
	ds_store_2addr_b32 v25, v20, v21 offset1:4
	ds_store_2addr_b32 v25, v18, v19 offset0:8 offset1:12
	ds_store_2addr_b32 v25, v16, v17 offset0:16 offset1:20
	;; [unrolled: 1-line block ×11, first 2 shown]
.LBB206_1662:
	s_or_b32 exec_lo, exec_lo, s1
	s_delay_alu instid0(SALU_CYCLE_1)
	s_mov_b32 s1, exec_lo
	s_wait_dscnt 0x0
	s_barrier_signal -1
	s_barrier_wait -1
	v_cmpx_gt_u32_e32 32, v80
	s_cbranch_execz .LBB206_1689
; %bb.1663:
	s_and_saveexec_b32 s0, vcc_lo
	s_cbranch_execnz .LBB206_1715
; %bb.1664:
	s_or_b32 exec_lo, exec_lo, s0
	s_and_saveexec_b32 s0, vcc_lo
	s_cbranch_execnz .LBB206_1716
.LBB206_1665:
	s_or_b32 exec_lo, exec_lo, s0
	s_and_saveexec_b32 s0, vcc_lo
	s_cbranch_execnz .LBB206_1717
.LBB206_1666:
	s_or_b32 exec_lo, exec_lo, s0
	s_and_saveexec_b32 s0, vcc_lo
	s_cbranch_execnz .LBB206_1718
.LBB206_1667:
	s_or_b32 exec_lo, exec_lo, s0
	s_and_saveexec_b32 s0, vcc_lo
	s_cbranch_execnz .LBB206_1719
.LBB206_1668:
	s_or_b32 exec_lo, exec_lo, s0
	s_and_saveexec_b32 s0, vcc_lo
	s_cbranch_execnz .LBB206_1720
.LBB206_1669:
	s_or_b32 exec_lo, exec_lo, s0
	s_and_saveexec_b32 s0, vcc_lo
	s_cbranch_execnz .LBB206_1721
.LBB206_1670:
	s_or_b32 exec_lo, exec_lo, s0
	s_and_saveexec_b32 s0, vcc_lo
	s_cbranch_execnz .LBB206_1722
.LBB206_1671:
	s_or_b32 exec_lo, exec_lo, s0
	s_and_saveexec_b32 s0, vcc_lo
	s_cbranch_execnz .LBB206_1723
.LBB206_1672:
	s_or_b32 exec_lo, exec_lo, s0
	s_and_saveexec_b32 s0, vcc_lo
	s_cbranch_execnz .LBB206_1724
.LBB206_1673:
	s_or_b32 exec_lo, exec_lo, s0
	s_and_saveexec_b32 s0, vcc_lo
	s_cbranch_execnz .LBB206_1725
.LBB206_1674:
	s_or_b32 exec_lo, exec_lo, s0
	s_and_saveexec_b32 s0, vcc_lo
	s_cbranch_execnz .LBB206_1726
.LBB206_1675:
	s_or_b32 exec_lo, exec_lo, s0
	s_and_saveexec_b32 s0, vcc_lo
	s_cbranch_execnz .LBB206_1727
.LBB206_1676:
	s_or_b32 exec_lo, exec_lo, s0
	s_and_saveexec_b32 s0, vcc_lo
	s_cbranch_execnz .LBB206_1728
.LBB206_1677:
	s_or_b32 exec_lo, exec_lo, s0
	s_and_saveexec_b32 s0, vcc_lo
	s_cbranch_execnz .LBB206_1729
.LBB206_1678:
	s_or_b32 exec_lo, exec_lo, s0
	s_and_saveexec_b32 s0, vcc_lo
	s_cbranch_execnz .LBB206_1730
.LBB206_1679:
	s_or_b32 exec_lo, exec_lo, s0
	s_and_saveexec_b32 s0, vcc_lo
	s_cbranch_execnz .LBB206_1731
.LBB206_1680:
	s_or_b32 exec_lo, exec_lo, s0
	s_and_saveexec_b32 s0, vcc_lo
	s_cbranch_execnz .LBB206_1732
.LBB206_1681:
	s_or_b32 exec_lo, exec_lo, s0
	s_and_saveexec_b32 s0, vcc_lo
	s_cbranch_execnz .LBB206_1733
.LBB206_1682:
	s_or_b32 exec_lo, exec_lo, s0
	s_and_saveexec_b32 s0, vcc_lo
	s_cbranch_execnz .LBB206_1734
.LBB206_1683:
	s_or_b32 exec_lo, exec_lo, s0
	s_and_saveexec_b32 s0, vcc_lo
	s_cbranch_execnz .LBB206_1735
.LBB206_1684:
	s_or_b32 exec_lo, exec_lo, s0
	s_and_saveexec_b32 s0, vcc_lo
	s_cbranch_execnz .LBB206_1736
.LBB206_1685:
	s_or_b32 exec_lo, exec_lo, s0
	s_and_saveexec_b32 s0, vcc_lo
	s_cbranch_execnz .LBB206_1737
.LBB206_1686:
	s_or_b32 exec_lo, exec_lo, s0
	s_and_saveexec_b32 s0, vcc_lo
	s_cbranch_execz .LBB206_1688
.LBB206_1687:
	ds_load_b32 v24, v24 offset:368
	s_wait_dscnt 0x0
	v_add_f32_e32 v23, v24, v23
.LBB206_1688:
	s_or_b32 exec_lo, exec_lo, s0
.LBB206_1689:
	s_delay_alu instid0(SALU_CYCLE_1)
	s_or_b32 exec_lo, exec_lo, s1
	s_mov_b32 s1, 0
	s_mov_b32 s2, exec_lo
	s_barrier_signal -1
	s_barrier_wait -1
	v_cmpx_eq_u32_e32 0, v26
	s_cbranch_execz .LBB206_1691
; %bb.1690:
	scratch_load_b64 v[24:25], off, s32 offset:1064 th:TH_LOAD_LU ; 8-byte Folded Reload
	s_and_b32 s0, 0xffff, s13
	v_dual_mov_b32 v27, 0 :: v_dual_lshrrev_b32 v26, 1, v80
	s_cmp_lg_u32 s0, 0
	s_cselect_b32 s0, -1, 0
	s_delay_alu instid0(SALU_CYCLE_1)
	s_cmp_lg_u32 s0, 0
	s_add_co_ci_u32 s0, s5, 0
	s_bfe_u32 s8, ttmp6, 0x40014
	s_mul_i32 s5, s0, s11
	s_lshr_b32 s3, ttmp7, 16
	s_mul_i32 s5, s5, s12
	s_add_co_i32 s8, s8, 1
	s_mul_i32 s6, s5, 0x60
	s_bfe_u32 s9, ttmp6, 0x40008
	s_ashr_i32 s7, s6, 31
	s_mul_i32 s4, s4, s0
	s_mul_i32 s0, s3, s8
	s_ashr_i32 s5, s4, 31
	s_add_co_i32 s9, s9, s0
	s_cmp_eq_u32 s10, 0
	s_cselect_b32 s0, s3, s9
	s_delay_alu instid0(SALU_CYCLE_1) | instskip(SKIP_2) | instid1(VALU_DEP_1)
	s_mulk_i32 s0, 0x180
	s_wait_loadcnt 0x0
	v_lshl_add_u64 v[24:25], s[6:7], 2, v[24:25]
	v_lshl_add_u64 v[24:25], s[4:5], 2, v[24:25]
	s_delay_alu instid0(VALU_DEP_1) | instskip(NEXT) | instid1(VALU_DEP_1)
	v_add_nc_u64_e32 v[24:25], s[0:1], v[24:25]
	v_add_nc_u64_e32 v[24:25], v[24:25], v[26:27]
	s_clause 0x17
	flat_store_b32 v[24:25], v20
	flat_store_b32 v[24:25], v21 offset:16
	flat_store_b32 v[24:25], v18 offset:32
	;; [unrolled: 1-line block ×23, first 2 shown]
.LBB206_1691:
	s_wait_xcnt 0x0
	s_or_b32 exec_lo, exec_lo, s2
	s_clause 0x2f
	scratch_load_b32 v127, off, s32
	scratch_load_b32 v126, off, s32 offset:4
	scratch_load_b32 v125, off, s32 offset:8
	;; [unrolled: 1-line block ×47, first 2 shown]
	s_wait_loadcnt_dscnt 0x0
	s_set_pc_i64 s[30:31]
.LBB206_1692:
	ds_load_b32 v26, v24
	s_wait_dscnt 0x0
	v_add_f32_e32 v20, v26, v20
	s_or_b32 exec_lo, exec_lo, s0
	s_and_saveexec_b32 s0, vcc_lo
	s_cbranch_execz .LBB206_1636
.LBB206_1693:
	ds_load_b32 v26, v24 offset:16
	s_wait_dscnt 0x0
	v_add_f32_e32 v21, v26, v21
	s_or_b32 exec_lo, exec_lo, s0
	s_and_saveexec_b32 s0, vcc_lo
	s_cbranch_execz .LBB206_1637
.LBB206_1694:
	ds_load_b32 v26, v24 offset:32
	s_wait_dscnt 0x0
	v_add_f32_e32 v18, v26, v18
	s_or_b32 exec_lo, exec_lo, s0
	s_and_saveexec_b32 s0, vcc_lo
	s_cbranch_execz .LBB206_1638
.LBB206_1695:
	ds_load_b32 v26, v24 offset:48
	s_wait_dscnt 0x0
	v_add_f32_e32 v19, v26, v19
	s_or_b32 exec_lo, exec_lo, s0
	s_and_saveexec_b32 s0, vcc_lo
	s_cbranch_execz .LBB206_1639
.LBB206_1696:
	ds_load_b32 v26, v24 offset:64
	s_wait_dscnt 0x0
	v_add_f32_e32 v16, v26, v16
	s_or_b32 exec_lo, exec_lo, s0
	s_and_saveexec_b32 s0, vcc_lo
	s_cbranch_execz .LBB206_1640
.LBB206_1697:
	ds_load_b32 v26, v24 offset:80
	s_wait_dscnt 0x0
	v_add_f32_e32 v17, v26, v17
	s_or_b32 exec_lo, exec_lo, s0
	s_and_saveexec_b32 s0, vcc_lo
	s_cbranch_execz .LBB206_1641
.LBB206_1698:
	ds_load_b32 v26, v24 offset:96
	s_wait_dscnt 0x0
	v_add_f32_e32 v14, v26, v14
	s_or_b32 exec_lo, exec_lo, s0
	s_and_saveexec_b32 s0, vcc_lo
	s_cbranch_execz .LBB206_1642
.LBB206_1699:
	ds_load_b32 v26, v24 offset:112
	s_wait_dscnt 0x0
	v_add_f32_e32 v15, v26, v15
	s_or_b32 exec_lo, exec_lo, s0
	s_and_saveexec_b32 s0, vcc_lo
	s_cbranch_execz .LBB206_1643
.LBB206_1700:
	ds_load_b32 v26, v24 offset:128
	s_wait_dscnt 0x0
	v_add_f32_e32 v12, v26, v12
	s_or_b32 exec_lo, exec_lo, s0
	s_and_saveexec_b32 s0, vcc_lo
	s_cbranch_execz .LBB206_1644
.LBB206_1701:
	ds_load_b32 v26, v24 offset:144
	s_wait_dscnt 0x0
	v_add_f32_e32 v13, v26, v13
	s_or_b32 exec_lo, exec_lo, s0
	s_and_saveexec_b32 s0, vcc_lo
	s_cbranch_execz .LBB206_1645
.LBB206_1702:
	ds_load_b32 v26, v24 offset:160
	s_wait_dscnt 0x0
	v_add_f32_e32 v10, v26, v10
	s_or_b32 exec_lo, exec_lo, s0
	s_and_saveexec_b32 s0, vcc_lo
	s_cbranch_execz .LBB206_1646
.LBB206_1703:
	ds_load_b32 v26, v24 offset:176
	s_wait_dscnt 0x0
	v_add_f32_e32 v11, v26, v11
	s_or_b32 exec_lo, exec_lo, s0
	s_and_saveexec_b32 s0, vcc_lo
	s_cbranch_execz .LBB206_1647
.LBB206_1704:
	ds_load_b32 v26, v24 offset:192
	s_wait_dscnt 0x0
	v_add_f32_e32 v8, v26, v8
	s_or_b32 exec_lo, exec_lo, s0
	s_and_saveexec_b32 s0, vcc_lo
	s_cbranch_execz .LBB206_1648
.LBB206_1705:
	ds_load_b32 v26, v24 offset:208
	s_wait_dscnt 0x0
	v_add_f32_e32 v9, v26, v9
	s_or_b32 exec_lo, exec_lo, s0
	s_and_saveexec_b32 s0, vcc_lo
	s_cbranch_execz .LBB206_1649
.LBB206_1706:
	ds_load_b32 v26, v24 offset:224
	s_wait_dscnt 0x0
	v_add_f32_e32 v4, v26, v4
	s_or_b32 exec_lo, exec_lo, s0
	s_and_saveexec_b32 s0, vcc_lo
	s_cbranch_execz .LBB206_1650
.LBB206_1707:
	ds_load_b32 v26, v24 offset:240
	s_wait_dscnt 0x0
	v_add_f32_e32 v5, v26, v5
	s_or_b32 exec_lo, exec_lo, s0
	s_and_saveexec_b32 s0, vcc_lo
	s_cbranch_execz .LBB206_1651
.LBB206_1708:
	ds_load_b32 v26, v24 offset:256
	s_wait_dscnt 0x0
	v_add_f32_e32 v6, v26, v6
	s_or_b32 exec_lo, exec_lo, s0
	s_and_saveexec_b32 s0, vcc_lo
	s_cbranch_execz .LBB206_1652
.LBB206_1709:
	ds_load_b32 v26, v24 offset:272
	s_wait_dscnt 0x0
	v_add_f32_e32 v7, v26, v7
	s_or_b32 exec_lo, exec_lo, s0
	s_and_saveexec_b32 s0, vcc_lo
	s_cbranch_execz .LBB206_1653
.LBB206_1710:
	ds_load_b32 v26, v24 offset:288
	s_wait_dscnt 0x0
	v_add_f32_e32 v2, v26, v2
	s_or_b32 exec_lo, exec_lo, s0
	s_and_saveexec_b32 s0, vcc_lo
	s_cbranch_execz .LBB206_1654
.LBB206_1711:
	ds_load_b32 v26, v24 offset:304
	s_wait_dscnt 0x0
	v_add_f32_e32 v3, v26, v3
	s_or_b32 exec_lo, exec_lo, s0
	s_and_saveexec_b32 s0, vcc_lo
	s_cbranch_execz .LBB206_1655
.LBB206_1712:
	ds_load_b32 v26, v24 offset:320
	s_wait_dscnt 0x0
	v_add_f32_e32 v0, v26, v0
	s_or_b32 exec_lo, exec_lo, s0
	s_and_saveexec_b32 s0, vcc_lo
	s_cbranch_execz .LBB206_1656
.LBB206_1713:
	ds_load_b32 v26, v24 offset:336
	s_wait_dscnt 0x0
	v_add_f32_e32 v1, v26, v1
	s_or_b32 exec_lo, exec_lo, s0
	s_and_saveexec_b32 s0, vcc_lo
	s_cbranch_execz .LBB206_1657
.LBB206_1714:
	ds_load_b32 v26, v24 offset:352
	s_wait_dscnt 0x0
	v_add_f32_e32 v22, v26, v22
	s_or_b32 exec_lo, exec_lo, s0
	s_and_saveexec_b32 s0, vcc_lo
	s_cbranch_execnz .LBB206_1658
	s_branch .LBB206_1659
.LBB206_1715:
	ds_load_b32 v25, v24
	s_wait_dscnt 0x0
	v_add_f32_e32 v20, v25, v20
	s_or_b32 exec_lo, exec_lo, s0
	s_and_saveexec_b32 s0, vcc_lo
	s_cbranch_execz .LBB206_1665
.LBB206_1716:
	ds_load_b32 v25, v24 offset:16
	s_wait_dscnt 0x0
	v_add_f32_e32 v21, v25, v21
	s_or_b32 exec_lo, exec_lo, s0
	s_and_saveexec_b32 s0, vcc_lo
	s_cbranch_execz .LBB206_1666
.LBB206_1717:
	ds_load_b32 v25, v24 offset:32
	s_wait_dscnt 0x0
	v_add_f32_e32 v18, v25, v18
	s_or_b32 exec_lo, exec_lo, s0
	s_and_saveexec_b32 s0, vcc_lo
	s_cbranch_execz .LBB206_1667
.LBB206_1718:
	ds_load_b32 v25, v24 offset:48
	s_wait_dscnt 0x0
	v_add_f32_e32 v19, v25, v19
	s_or_b32 exec_lo, exec_lo, s0
	s_and_saveexec_b32 s0, vcc_lo
	s_cbranch_execz .LBB206_1668
.LBB206_1719:
	ds_load_b32 v25, v24 offset:64
	s_wait_dscnt 0x0
	v_add_f32_e32 v16, v25, v16
	s_or_b32 exec_lo, exec_lo, s0
	s_and_saveexec_b32 s0, vcc_lo
	s_cbranch_execz .LBB206_1669
.LBB206_1720:
	ds_load_b32 v25, v24 offset:80
	s_wait_dscnt 0x0
	v_add_f32_e32 v17, v25, v17
	s_or_b32 exec_lo, exec_lo, s0
	s_and_saveexec_b32 s0, vcc_lo
	s_cbranch_execz .LBB206_1670
.LBB206_1721:
	ds_load_b32 v25, v24 offset:96
	s_wait_dscnt 0x0
	v_add_f32_e32 v14, v25, v14
	s_or_b32 exec_lo, exec_lo, s0
	s_and_saveexec_b32 s0, vcc_lo
	s_cbranch_execz .LBB206_1671
.LBB206_1722:
	ds_load_b32 v25, v24 offset:112
	s_wait_dscnt 0x0
	v_add_f32_e32 v15, v25, v15
	s_or_b32 exec_lo, exec_lo, s0
	s_and_saveexec_b32 s0, vcc_lo
	s_cbranch_execz .LBB206_1672
.LBB206_1723:
	ds_load_b32 v25, v24 offset:128
	s_wait_dscnt 0x0
	v_add_f32_e32 v12, v25, v12
	s_or_b32 exec_lo, exec_lo, s0
	s_and_saveexec_b32 s0, vcc_lo
	s_cbranch_execz .LBB206_1673
.LBB206_1724:
	ds_load_b32 v25, v24 offset:144
	s_wait_dscnt 0x0
	v_add_f32_e32 v13, v25, v13
	s_or_b32 exec_lo, exec_lo, s0
	s_and_saveexec_b32 s0, vcc_lo
	s_cbranch_execz .LBB206_1674
.LBB206_1725:
	ds_load_b32 v25, v24 offset:160
	s_wait_dscnt 0x0
	v_add_f32_e32 v10, v25, v10
	s_or_b32 exec_lo, exec_lo, s0
	s_and_saveexec_b32 s0, vcc_lo
	s_cbranch_execz .LBB206_1675
.LBB206_1726:
	ds_load_b32 v25, v24 offset:176
	s_wait_dscnt 0x0
	v_add_f32_e32 v11, v25, v11
	s_or_b32 exec_lo, exec_lo, s0
	s_and_saveexec_b32 s0, vcc_lo
	s_cbranch_execz .LBB206_1676
.LBB206_1727:
	ds_load_b32 v25, v24 offset:192
	s_wait_dscnt 0x0
	v_add_f32_e32 v8, v25, v8
	s_or_b32 exec_lo, exec_lo, s0
	s_and_saveexec_b32 s0, vcc_lo
	s_cbranch_execz .LBB206_1677
.LBB206_1728:
	ds_load_b32 v25, v24 offset:208
	s_wait_dscnt 0x0
	v_add_f32_e32 v9, v25, v9
	s_or_b32 exec_lo, exec_lo, s0
	s_and_saveexec_b32 s0, vcc_lo
	s_cbranch_execz .LBB206_1678
.LBB206_1729:
	ds_load_b32 v25, v24 offset:224
	s_wait_dscnt 0x0
	v_add_f32_e32 v4, v25, v4
	s_or_b32 exec_lo, exec_lo, s0
	s_and_saveexec_b32 s0, vcc_lo
	s_cbranch_execz .LBB206_1679
.LBB206_1730:
	ds_load_b32 v25, v24 offset:240
	s_wait_dscnt 0x0
	v_add_f32_e32 v5, v25, v5
	s_or_b32 exec_lo, exec_lo, s0
	s_and_saveexec_b32 s0, vcc_lo
	s_cbranch_execz .LBB206_1680
.LBB206_1731:
	ds_load_b32 v25, v24 offset:256
	s_wait_dscnt 0x0
	v_add_f32_e32 v6, v25, v6
	s_or_b32 exec_lo, exec_lo, s0
	s_and_saveexec_b32 s0, vcc_lo
	s_cbranch_execz .LBB206_1681
.LBB206_1732:
	ds_load_b32 v25, v24 offset:272
	s_wait_dscnt 0x0
	v_add_f32_e32 v7, v25, v7
	s_or_b32 exec_lo, exec_lo, s0
	s_and_saveexec_b32 s0, vcc_lo
	s_cbranch_execz .LBB206_1682
.LBB206_1733:
	ds_load_b32 v25, v24 offset:288
	s_wait_dscnt 0x0
	v_add_f32_e32 v2, v25, v2
	s_or_b32 exec_lo, exec_lo, s0
	s_and_saveexec_b32 s0, vcc_lo
	s_cbranch_execz .LBB206_1683
.LBB206_1734:
	ds_load_b32 v25, v24 offset:304
	s_wait_dscnt 0x0
	v_add_f32_e32 v3, v25, v3
	s_or_b32 exec_lo, exec_lo, s0
	s_and_saveexec_b32 s0, vcc_lo
	s_cbranch_execz .LBB206_1684
.LBB206_1735:
	ds_load_b32 v25, v24 offset:320
	s_wait_dscnt 0x0
	v_add_f32_e32 v0, v25, v0
	s_or_b32 exec_lo, exec_lo, s0
	s_and_saveexec_b32 s0, vcc_lo
	s_cbranch_execz .LBB206_1685
.LBB206_1736:
	ds_load_b32 v25, v24 offset:336
	s_wait_dscnt 0x0
	v_add_f32_e32 v1, v25, v1
	s_or_b32 exec_lo, exec_lo, s0
	s_and_saveexec_b32 s0, vcc_lo
	s_cbranch_execz .LBB206_1686
.LBB206_1737:
	ds_load_b32 v25, v24 offset:352
	s_wait_dscnt 0x0
	v_add_f32_e32 v22, v25, v22
	s_or_b32 exec_lo, exec_lo, s0
	s_and_saveexec_b32 s0, vcc_lo
	s_cbranch_execnz .LBB206_1687
	s_branch .LBB206_1688
.Lfunc_end206:
	.size	_ZN4vllm22paged_attention_kernelIfhLi96ELi32ELi128ELNS_18Fp8KVCacheDataTypeE1ELb1ELi0EEEvPfS2_PT_PKS3_PKT0_S9_ifPKiSB_iPKfiiiSD_SD_iiiii, .Lfunc_end206-_ZN4vllm22paged_attention_kernelIfhLi96ELi32ELi128ELNS_18Fp8KVCacheDataTypeE1ELb1ELi0EEEvPfS2_PT_PKS3_PKT0_S9_ifPKiSB_iPKfiiiSD_SD_iiiii
                                        ; -- End function
	.set .L_ZN4vllm22paged_attention_kernelIfhLi96ELi32ELi128ELNS_18Fp8KVCacheDataTypeE1ELb1ELi0EEEvPfS2_PT_PKS3_PKT0_S9_ifPKiSB_iPKfiiiSD_SD_iiiii.num_vgpr, 128
	.set .L_ZN4vllm22paged_attention_kernelIfhLi96ELi32ELi128ELNS_18Fp8KVCacheDataTypeE1ELb1ELi0EEEvPfS2_PT_PKS3_PKT0_S9_ifPKiSB_iPKfiiiSD_SD_iiiii.num_agpr, 0
	.set .L_ZN4vllm22paged_attention_kernelIfhLi96ELi32ELi128ELNS_18Fp8KVCacheDataTypeE1ELb1ELi0EEEvPfS2_PT_PKS3_PKT0_S9_ifPKiSB_iPKfiiiSD_SD_iiiii.numbered_sgpr, 33
	.set .L_ZN4vllm22paged_attention_kernelIfhLi96ELi32ELi128ELNS_18Fp8KVCacheDataTypeE1ELb1ELi0EEEvPfS2_PT_PKS3_PKT0_S9_ifPKiSB_iPKfiiiSD_SD_iiiii.num_named_barrier, 0
	.set .L_ZN4vllm22paged_attention_kernelIfhLi96ELi32ELi128ELNS_18Fp8KVCacheDataTypeE1ELb1ELi0EEEvPfS2_PT_PKS3_PKT0_S9_ifPKiSB_iPKfiiiSD_SD_iiiii.private_seg_size, 1132
	.set .L_ZN4vllm22paged_attention_kernelIfhLi96ELi32ELi128ELNS_18Fp8KVCacheDataTypeE1ELb1ELi0EEEvPfS2_PT_PKS3_PKT0_S9_ifPKiSB_iPKfiiiSD_SD_iiiii.uses_vcc, 1
	.set .L_ZN4vllm22paged_attention_kernelIfhLi96ELi32ELi128ELNS_18Fp8KVCacheDataTypeE1ELb1ELi0EEEvPfS2_PT_PKS3_PKT0_S9_ifPKiSB_iPKfiiiSD_SD_iiiii.uses_flat_scratch, 1
	.set .L_ZN4vllm22paged_attention_kernelIfhLi96ELi32ELi128ELNS_18Fp8KVCacheDataTypeE1ELb1ELi0EEEvPfS2_PT_PKS3_PKT0_S9_ifPKiSB_iPKfiiiSD_SD_iiiii.has_dyn_sized_stack, 0
	.set .L_ZN4vllm22paged_attention_kernelIfhLi96ELi32ELi128ELNS_18Fp8KVCacheDataTypeE1ELb1ELi0EEEvPfS2_PT_PKS3_PKT0_S9_ifPKiSB_iPKfiiiSD_SD_iiiii.has_recursion, 0
	.set .L_ZN4vllm22paged_attention_kernelIfhLi96ELi32ELi128ELNS_18Fp8KVCacheDataTypeE1ELb1ELi0EEEvPfS2_PT_PKS3_PKT0_S9_ifPKiSB_iPKfiiiSD_SD_iiiii.has_indirect_call, 0
	.section	.AMDGPU.csdata,"",@progbits
; Function info:
; codeLenInByte = 68868
; TotalNumSgprs: 35
; NumVgprs: 128
; ScratchSize: 1132
; MemoryBound: 0
	.section	.text._ZN4vllm25paged_attention_v1_kernelIfhLi96ELi32ELi128ELNS_18Fp8KVCacheDataTypeE1ELb1EEEvPT_PKS2_PKT0_S8_ifPKiSA_iPKfiiiSC_SC_iiiii,"axG",@progbits,_ZN4vllm25paged_attention_v1_kernelIfhLi96ELi32ELi128ELNS_18Fp8KVCacheDataTypeE1ELb1EEEvPT_PKS2_PKT0_S8_ifPKiSA_iPKfiiiSC_SC_iiiii,comdat
	.protected	_ZN4vllm25paged_attention_v1_kernelIfhLi96ELi32ELi128ELNS_18Fp8KVCacheDataTypeE1ELb1EEEvPT_PKS2_PKT0_S8_ifPKiSA_iPKfiiiSC_SC_iiiii ; -- Begin function _ZN4vllm25paged_attention_v1_kernelIfhLi96ELi32ELi128ELNS_18Fp8KVCacheDataTypeE1ELb1EEEvPT_PKS2_PKT0_S8_ifPKiSA_iPKfiiiSC_SC_iiiii
	.globl	_ZN4vllm25paged_attention_v1_kernelIfhLi96ELi32ELi128ELNS_18Fp8KVCacheDataTypeE1ELb1EEEvPT_PKS2_PKT0_S8_ifPKiSA_iPKfiiiSC_SC_iiiii
	.p2align	8
	.type	_ZN4vllm25paged_attention_v1_kernelIfhLi96ELi32ELi128ELNS_18Fp8KVCacheDataTypeE1ELb1EEEvPT_PKS2_PKT0_S8_ifPKiSA_iPKfiiiSC_SC_iiiii,@function
_ZN4vllm25paged_attention_v1_kernelIfhLi96ELi32ELi128ELNS_18Fp8KVCacheDataTypeE1ELb1EEEvPT_PKS2_PKT0_S8_ifPKiSA_iPKfiiiSC_SC_iiiii: ; @_ZN4vllm25paged_attention_v1_kernelIfhLi96ELi32ELi128ELNS_18Fp8KVCacheDataTypeE1ELb1EEEvPT_PKS2_PKT0_S8_ifPKiSA_iPKfiiiSC_SC_iiiii
; %bb.0:
	s_clause 0x6
	s_load_b256 s[12:19], s[0:1], 0x0
	s_load_b128 s[4:7], s[0:1], 0x20
	s_load_b96 s[28:30], s[0:1], 0x30
	s_load_b64 s[10:11], s[0:1], 0x40
	s_load_b96 s[36:38], s[0:1], 0x48
	s_load_b256 s[20:27], s[0:1], 0x58
	s_load_b32 s31, s[0:1], 0x78
	v_mov_b32_e32 v31, v0
	s_get_pc_i64 s[2:3]
	s_add_nc_u64 s[2:3], s[2:3], _ZN4vllm22paged_attention_kernelIfhLi96ELi32ELi128ELNS_18Fp8KVCacheDataTypeE1ELb1ELi0EEEvPfS2_PT_PKS3_PKT0_S9_ifPKiSB_iPKfiiiSD_SD_iiiii@rel64+4
	s_add_nc_u64 s[8:9], s[0:1], 0x80
	s_mov_b32 s32, 0
	s_wait_kmcnt 0x0
	v_dual_mov_b32 v15, s10 :: v_dual_mov_b32 v16, s11
	v_dual_mov_b32 v0, s12 :: v_dual_mov_b32 v1, s13
	;; [unrolled: 1-line block ×14, first 2 shown]
	v_mov_b32_e32 v28, s31
	s_mov_b32 s15, 33
	s_swap_pc_i64 s[30:31], s[2:3]
	s_endpgm
	.section	.rodata,"a",@progbits
	.p2align	6, 0x0
	.amdhsa_kernel _ZN4vllm25paged_attention_v1_kernelIfhLi96ELi32ELi128ELNS_18Fp8KVCacheDataTypeE1ELb1EEEvPT_PKS2_PKT0_S8_ifPKiSA_iPKfiiiSC_SC_iiiii
		.amdhsa_group_segment_fixed_size 416
		.amdhsa_private_segment_fixed_size 1132
		.amdhsa_kernarg_size 384
		.amdhsa_user_sgpr_count 2
		.amdhsa_user_sgpr_dispatch_ptr 0
		.amdhsa_user_sgpr_queue_ptr 0
		.amdhsa_user_sgpr_kernarg_segment_ptr 1
		.amdhsa_user_sgpr_dispatch_id 0
		.amdhsa_user_sgpr_kernarg_preload_length 0
		.amdhsa_user_sgpr_kernarg_preload_offset 0
		.amdhsa_user_sgpr_private_segment_size 0
		.amdhsa_wavefront_size32 1
		.amdhsa_uses_dynamic_stack 0
		.amdhsa_enable_private_segment 1
		.amdhsa_system_sgpr_workgroup_id_x 1
		.amdhsa_system_sgpr_workgroup_id_y 1
		.amdhsa_system_sgpr_workgroup_id_z 1
		.amdhsa_system_sgpr_workgroup_info 0
		.amdhsa_system_vgpr_workitem_id 0
		.amdhsa_next_free_vgpr 128
		.amdhsa_next_free_sgpr 39
		.amdhsa_named_barrier_count 0
		.amdhsa_reserve_vcc 1
		.amdhsa_float_round_mode_32 0
		.amdhsa_float_round_mode_16_64 0
		.amdhsa_float_denorm_mode_32 3
		.amdhsa_float_denorm_mode_16_64 3
		.amdhsa_fp16_overflow 0
		.amdhsa_memory_ordered 1
		.amdhsa_forward_progress 1
		.amdhsa_inst_pref_size 2
		.amdhsa_round_robin_scheduling 0
		.amdhsa_exception_fp_ieee_invalid_op 0
		.amdhsa_exception_fp_denorm_src 0
		.amdhsa_exception_fp_ieee_div_zero 0
		.amdhsa_exception_fp_ieee_overflow 0
		.amdhsa_exception_fp_ieee_underflow 0
		.amdhsa_exception_fp_ieee_inexact 0
		.amdhsa_exception_int_div_zero 0
	.end_amdhsa_kernel
	.section	.text._ZN4vllm25paged_attention_v1_kernelIfhLi96ELi32ELi128ELNS_18Fp8KVCacheDataTypeE1ELb1EEEvPT_PKS2_PKT0_S8_ifPKiSA_iPKfiiiSC_SC_iiiii,"axG",@progbits,_ZN4vllm25paged_attention_v1_kernelIfhLi96ELi32ELi128ELNS_18Fp8KVCacheDataTypeE1ELb1EEEvPT_PKS2_PKT0_S8_ifPKiSA_iPKfiiiSC_SC_iiiii,comdat
.Lfunc_end207:
	.size	_ZN4vllm25paged_attention_v1_kernelIfhLi96ELi32ELi128ELNS_18Fp8KVCacheDataTypeE1ELb1EEEvPT_PKS2_PKT0_S8_ifPKiSA_iPKfiiiSC_SC_iiiii, .Lfunc_end207-_ZN4vllm25paged_attention_v1_kernelIfhLi96ELi32ELi128ELNS_18Fp8KVCacheDataTypeE1ELb1EEEvPT_PKS2_PKT0_S8_ifPKiSA_iPKfiiiSC_SC_iiiii
                                        ; -- End function
	.set _ZN4vllm25paged_attention_v1_kernelIfhLi96ELi32ELi128ELNS_18Fp8KVCacheDataTypeE1ELb1EEEvPT_PKS2_PKT0_S8_ifPKiSA_iPKfiiiSC_SC_iiiii.num_vgpr, max(32, .L_ZN4vllm22paged_attention_kernelIfhLi96ELi32ELi128ELNS_18Fp8KVCacheDataTypeE1ELb1ELi0EEEvPfS2_PT_PKS3_PKT0_S9_ifPKiSB_iPKfiiiSD_SD_iiiii.num_vgpr)
	.set _ZN4vllm25paged_attention_v1_kernelIfhLi96ELi32ELi128ELNS_18Fp8KVCacheDataTypeE1ELb1EEEvPT_PKS2_PKT0_S8_ifPKiSA_iPKfiiiSC_SC_iiiii.num_agpr, max(0, .L_ZN4vllm22paged_attention_kernelIfhLi96ELi32ELi128ELNS_18Fp8KVCacheDataTypeE1ELb1ELi0EEEvPfS2_PT_PKS3_PKT0_S9_ifPKiSB_iPKfiiiSD_SD_iiiii.num_agpr)
	.set _ZN4vllm25paged_attention_v1_kernelIfhLi96ELi32ELi128ELNS_18Fp8KVCacheDataTypeE1ELb1EEEvPT_PKS2_PKT0_S8_ifPKiSA_iPKfiiiSC_SC_iiiii.numbered_sgpr, max(39, .L_ZN4vllm22paged_attention_kernelIfhLi96ELi32ELi128ELNS_18Fp8KVCacheDataTypeE1ELb1ELi0EEEvPfS2_PT_PKS3_PKT0_S9_ifPKiSB_iPKfiiiSD_SD_iiiii.numbered_sgpr)
	.set _ZN4vllm25paged_attention_v1_kernelIfhLi96ELi32ELi128ELNS_18Fp8KVCacheDataTypeE1ELb1EEEvPT_PKS2_PKT0_S8_ifPKiSA_iPKfiiiSC_SC_iiiii.num_named_barrier, max(0, .L_ZN4vllm22paged_attention_kernelIfhLi96ELi32ELi128ELNS_18Fp8KVCacheDataTypeE1ELb1ELi0EEEvPfS2_PT_PKS3_PKT0_S9_ifPKiSB_iPKfiiiSD_SD_iiiii.num_named_barrier)
	.set _ZN4vllm25paged_attention_v1_kernelIfhLi96ELi32ELi128ELNS_18Fp8KVCacheDataTypeE1ELb1EEEvPT_PKS2_PKT0_S8_ifPKiSA_iPKfiiiSC_SC_iiiii.private_seg_size, 0+max(.L_ZN4vllm22paged_attention_kernelIfhLi96ELi32ELi128ELNS_18Fp8KVCacheDataTypeE1ELb1ELi0EEEvPfS2_PT_PKS3_PKT0_S9_ifPKiSB_iPKfiiiSD_SD_iiiii.private_seg_size)
	.set _ZN4vllm25paged_attention_v1_kernelIfhLi96ELi32ELi128ELNS_18Fp8KVCacheDataTypeE1ELb1EEEvPT_PKS2_PKT0_S8_ifPKiSA_iPKfiiiSC_SC_iiiii.uses_vcc, or(1, .L_ZN4vllm22paged_attention_kernelIfhLi96ELi32ELi128ELNS_18Fp8KVCacheDataTypeE1ELb1ELi0EEEvPfS2_PT_PKS3_PKT0_S9_ifPKiSB_iPKfiiiSD_SD_iiiii.uses_vcc)
	.set _ZN4vllm25paged_attention_v1_kernelIfhLi96ELi32ELi128ELNS_18Fp8KVCacheDataTypeE1ELb1EEEvPT_PKS2_PKT0_S8_ifPKiSA_iPKfiiiSC_SC_iiiii.uses_flat_scratch, or(0, .L_ZN4vllm22paged_attention_kernelIfhLi96ELi32ELi128ELNS_18Fp8KVCacheDataTypeE1ELb1ELi0EEEvPfS2_PT_PKS3_PKT0_S9_ifPKiSB_iPKfiiiSD_SD_iiiii.uses_flat_scratch)
	.set _ZN4vllm25paged_attention_v1_kernelIfhLi96ELi32ELi128ELNS_18Fp8KVCacheDataTypeE1ELb1EEEvPT_PKS2_PKT0_S8_ifPKiSA_iPKfiiiSC_SC_iiiii.has_dyn_sized_stack, or(0, .L_ZN4vllm22paged_attention_kernelIfhLi96ELi32ELi128ELNS_18Fp8KVCacheDataTypeE1ELb1ELi0EEEvPfS2_PT_PKS3_PKT0_S9_ifPKiSB_iPKfiiiSD_SD_iiiii.has_dyn_sized_stack)
	.set _ZN4vllm25paged_attention_v1_kernelIfhLi96ELi32ELi128ELNS_18Fp8KVCacheDataTypeE1ELb1EEEvPT_PKS2_PKT0_S8_ifPKiSA_iPKfiiiSC_SC_iiiii.has_recursion, or(0, .L_ZN4vllm22paged_attention_kernelIfhLi96ELi32ELi128ELNS_18Fp8KVCacheDataTypeE1ELb1ELi0EEEvPfS2_PT_PKS3_PKT0_S9_ifPKiSB_iPKfiiiSD_SD_iiiii.has_recursion)
	.set _ZN4vllm25paged_attention_v1_kernelIfhLi96ELi32ELi128ELNS_18Fp8KVCacheDataTypeE1ELb1EEEvPT_PKS2_PKT0_S8_ifPKiSA_iPKfiiiSC_SC_iiiii.has_indirect_call, or(0, .L_ZN4vllm22paged_attention_kernelIfhLi96ELi32ELi128ELNS_18Fp8KVCacheDataTypeE1ELb1ELi0EEEvPfS2_PT_PKS3_PKT0_S9_ifPKiSB_iPKfiiiSD_SD_iiiii.has_indirect_call)
	.section	.AMDGPU.csdata,"",@progbits
; Kernel info:
; codeLenInByte = 224
; TotalNumSgprs: 41
; NumVgprs: 128
; ScratchSize: 1132
; MemoryBound: 0
; FloatMode: 240
; IeeeMode: 1
; LDSByteSize: 416 bytes/workgroup (compile time only)
; SGPRBlocks: 0
; VGPRBlocks: 7
; NumSGPRsForWavesPerEU: 41
; NumVGPRsForWavesPerEU: 128
; NamedBarCnt: 0
; Occupancy: 8
; WaveLimiterHint : 1
; COMPUTE_PGM_RSRC2:SCRATCH_EN: 1
; COMPUTE_PGM_RSRC2:USER_SGPR: 2
; COMPUTE_PGM_RSRC2:TRAP_HANDLER: 0
; COMPUTE_PGM_RSRC2:TGID_X_EN: 1
; COMPUTE_PGM_RSRC2:TGID_Y_EN: 1
; COMPUTE_PGM_RSRC2:TGID_Z_EN: 1
; COMPUTE_PGM_RSRC2:TIDIG_COMP_CNT: 0
	.text
	.p2align	2                               ; -- Begin function _ZN4vllm22paged_attention_kernelIfhLi112ELi32ELi128ELNS_18Fp8KVCacheDataTypeE1ELb1ELi0EEEvPfS2_PT_PKS3_PKT0_S9_ifPKiSB_iPKfiiiSD_SD_iiiii
	.type	_ZN4vllm22paged_attention_kernelIfhLi112ELi32ELi128ELNS_18Fp8KVCacheDataTypeE1ELb1ELi0EEEvPfS2_PT_PKS3_PKT0_S9_ifPKiSB_iPKfiiiSD_SD_iiiii,@function
_ZN4vllm22paged_attention_kernelIfhLi112ELi32ELi128ELNS_18Fp8KVCacheDataTypeE1ELb1ELi0EEEvPfS2_PT_PKS3_PKT0_S9_ifPKiSB_iPKfiiiSD_SD_iiiii: ; @_ZN4vllm22paged_attention_kernelIfhLi112ELi32ELi128ELNS_18Fp8KVCacheDataTypeE1ELb1ELi0EEEvPfS2_PT_PKS3_PKT0_S9_ifPKiSB_iPKfiiiSD_SD_iiiii
; %bb.0:
	s_wait_loadcnt_dscnt 0x0
	s_wait_kmcnt 0x0
	s_clause 0x2f
	scratch_store_b32 off, v40, s32 offset:188
	; meta instruction
	scratch_store_b32 off, v41, s32 offset:184
	; meta instruction
	scratch_store_b32 off, v42, s32 offset:180
	; meta instruction
	scratch_store_b32 off, v43, s32 offset:176
	; meta instruction
	scratch_store_b32 off, v44, s32 offset:172
	; meta instruction
	scratch_store_b32 off, v45, s32 offset:168
	; meta instruction
	scratch_store_b32 off, v46, s32 offset:164
	; meta instruction
	scratch_store_b32 off, v47, s32 offset:160
	; meta instruction
	scratch_store_b32 off, v56, s32 offset:156
	; meta instruction
	scratch_store_b32 off, v57, s32 offset:152
	; meta instruction
	scratch_store_b32 off, v58, s32 offset:148
	; meta instruction
	scratch_store_b32 off, v59, s32 offset:144
	; meta instruction
	scratch_store_b32 off, v60, s32 offset:140
	; meta instruction
	scratch_store_b32 off, v61, s32 offset:136
	; meta instruction
	scratch_store_b32 off, v62, s32 offset:132
	; meta instruction
	scratch_store_b32 off, v63, s32 offset:128
	; meta instruction
	scratch_store_b32 off, v72, s32 offset:124
	; meta instruction
	scratch_store_b32 off, v73, s32 offset:120
	; meta instruction
	scratch_store_b32 off, v74, s32 offset:116
	; meta instruction
	scratch_store_b32 off, v75, s32 offset:112
	; meta instruction
	scratch_store_b32 off, v76, s32 offset:108
	; meta instruction
	scratch_store_b32 off, v77, s32 offset:104
	; meta instruction
	scratch_store_b32 off, v78, s32 offset:100
	; meta instruction
	scratch_store_b32 off, v79, s32 offset:96
	; meta instruction
	scratch_store_b32 off, v88, s32 offset:92
	; meta instruction
	scratch_store_b32 off, v89, s32 offset:88
	; meta instruction
	scratch_store_b32 off, v90, s32 offset:84
	; meta instruction
	scratch_store_b32 off, v91, s32 offset:80
	; meta instruction
	scratch_store_b32 off, v92, s32 offset:76
	; meta instruction
	scratch_store_b32 off, v93, s32 offset:72
	; meta instruction
	scratch_store_b32 off, v94, s32 offset:68
	; meta instruction
	scratch_store_b32 off, v95, s32 offset:64
	; meta instruction
	scratch_store_b32 off, v104, s32 offset:60
	; meta instruction
	scratch_store_b32 off, v105, s32 offset:56
	; meta instruction
	scratch_store_b32 off, v106, s32 offset:52
	; meta instruction
	scratch_store_b32 off, v107, s32 offset:48
	; meta instruction
	scratch_store_b32 off, v108, s32 offset:44
	; meta instruction
	scratch_store_b32 off, v109, s32 offset:40
	; meta instruction
	scratch_store_b32 off, v110, s32 offset:36
	; meta instruction
	scratch_store_b32 off, v111, s32 offset:32
	; meta instruction
	scratch_store_b32 off, v120, s32 offset:28
	; meta instruction
	scratch_store_b32 off, v121, s32 offset:24
	; meta instruction
	scratch_store_b32 off, v122, s32 offset:20
	; meta instruction
	scratch_store_b32 off, v123, s32 offset:16
	; meta instruction
	scratch_store_b32 off, v124, s32 offset:12
	; meta instruction
	scratch_store_b32 off, v125, s32 offset:8
	; meta instruction
	scratch_store_b32 off, v126, s32 offset:4
	; meta instruction
	scratch_store_b32 off, v127, s32
	s_bfe_u32 s0, ttmp6, 0x4000c
	s_bfe_u32 s3, ttmp6, 0x40010
	s_add_co_i32 s0, s0, 1
	s_and_b32 s1, ttmp6, 15
	s_mul_i32 s0, ttmp9, s0
	s_and_b32 s4, ttmp7, 0xffff
	s_add_co_i32 s3, s3, 1
	s_add_co_i32 s1, s1, s0
	s_mul_i32 s0, s4, s3
	s_bfe_u32 s3, ttmp6, 0x40004
	s_getreg_b32 s10, hwreg(HW_REG_IB_STS2, 6, 4)
	s_add_co_i32 s3, s3, s0
	s_cmp_eq_u32 s10, 0
	s_mov_b32 s7, 0
	s_cselect_b32 s11, s4, s3
	s_cselect_b32 s0, ttmp9, s1
	s_lshl_b32 s6, s11, 2
	s_clause 0x7
	scratch_store_b32 off, v26, s32 offset:1232
	scratch_store_b64 off, v[22:23], s32 offset:748
	scratch_store_b64 off, v[20:21], s32 offset:756
	;; [unrolled: 1-line block ×4, first 2 shown]
	scratch_store_b32 off, v9, s32 offset:764
	scratch_store_b64 off, v[6:7], s32 offset:1256
	scratch_store_b64 off, v[0:1], s32 offset:1248
	s_wait_xcnt 0x1
	v_add_nc_u64_e32 v[6:7], s[6:7], v[12:13]
	s_wait_xcnt 0x0
	v_mov_b32_e32 v1, 0
	s_clause 0x1
	s_load_u16 s1, s[8:9], 0x12
	s_load_b32 s3, s[8:9], 0x0
	v_dual_mov_b32 v33, v16 :: v_dual_mov_b32 v32, v15
	s_mov_b32 s2, s15
	flat_load_b32 v6, v[6:7]
	s_wait_kmcnt 0x0
	s_cmp_lg_u32 s1, 0
	s_cselect_b32 s1, -1, 0
	s_delay_alu instid0(SALU_CYCLE_1)
	s_cmp_lg_u32 s1, 0
	s_add_co_ci_u32 s12, s3, 0
	s_abs_i32 s6, s0
	s_mov_b32 s3, exec_lo
	s_abs_i32 s1, s12
	s_wait_loadcnt_dscnt 0x0
	scratch_store_b64 off, v[6:7], s32 offset:192 ; 8-byte Folded Spill
	s_wait_xcnt 0x0
	v_sub_nc_u32_e32 v6, 0, v8
	global_load_u16 v0, v1, s[8:9] offset:22
	v_max_i32_e32 v6, v8, v6
	s_delay_alu instid0(VALU_DEP_1) | instskip(NEXT) | instid1(VALU_DEP_1)
	v_cvt_f32_u32_e32 v7, v6
	v_rcp_iflag_f32_e32 v7, v7
	v_nop
	s_delay_alu instid0(TRANS32_DEP_1) | instskip(SKIP_1) | instid1(VALU_DEP_2)
	v_mul_f32_e32 v7, 0x4f7ffffe, v7
	v_sub_nc_u32_e32 v9, 0, v6
	v_cvt_u32_f32_e32 v7, v7
	s_delay_alu instid0(VALU_DEP_1) | instskip(NEXT) | instid1(VALU_DEP_1)
	v_mul_lo_u32 v9, v9, v7
	v_mul_hi_u32 v9, v7, v9
	s_delay_alu instid0(VALU_DEP_1) | instskip(NEXT) | instid1(VALU_DEP_1)
	v_add_nc_u32_e32 v7, v7, v9
	v_mul_hi_u32 v7, s1, v7
	s_delay_alu instid0(VALU_DEP_1) | instskip(NEXT) | instid1(VALU_DEP_1)
	v_mul_lo_u32 v9, v7, v6
	v_dual_add_nc_u32 v10, 1, v7 :: v_dual_sub_nc_u32 v9, s1, v9
	s_delay_alu instid0(VALU_DEP_1) | instskip(SKIP_1) | instid1(VALU_DEP_3)
	v_sub_nc_u32_e32 v11, v9, v6
	v_cmp_ge_u32_e32 vcc_lo, v9, v6
	v_dual_cndmask_b32 v7, v7, v10, vcc_lo :: v_dual_bitop2_b32 v10, s12, v8 bitop3:0x14
	s_delay_alu instid0(VALU_DEP_3) | instskip(NEXT) | instid1(VALU_DEP_2)
	v_cndmask_b32_e32 v9, v9, v11, vcc_lo
	v_dual_add_nc_u32 v11, 1, v7 :: v_dual_ashrrev_i32 v10, 31, v10
	s_delay_alu instid0(VALU_DEP_2) | instskip(NEXT) | instid1(VALU_DEP_2)
	v_cmp_ge_u32_e32 vcc_lo, v9, v6
	v_cndmask_b32_e32 v6, v7, v11, vcc_lo
	s_delay_alu instid0(VALU_DEP_1) | instskip(NEXT) | instid1(VALU_DEP_1)
	v_xor_b32_e32 v6, v6, v10
	v_sub_nc_u32_e32 v7, v6, v10
	s_delay_alu instid0(VALU_DEP_1) | instskip(NEXT) | instid1(VALU_DEP_1)
	v_sub_nc_u32_e32 v6, 0, v7
	v_max_i32_e32 v6, v7, v6
	s_delay_alu instid0(VALU_DEP_1) | instskip(SKIP_1) | instid1(VALU_DEP_2)
	v_cvt_f32_u32_e32 v9, v6
	v_sub_nc_u32_e32 v10, 0, v6
	v_rcp_iflag_f32_e32 v9, v9
	v_nop
	s_delay_alu instid0(TRANS32_DEP_1) | instskip(NEXT) | instid1(VALU_DEP_1)
	v_mul_f32_e32 v9, 0x4f7ffffe, v9
	v_cvt_u32_f32_e32 v9, v9
	s_delay_alu instid0(VALU_DEP_1) | instskip(NEXT) | instid1(VALU_DEP_1)
	v_mul_lo_u32 v10, v10, v9
	v_mul_hi_u32 v10, v9, v10
	s_wait_loadcnt 0x0
	v_readfirstlane_b32 s13, v0
	s_delay_alu instid0(VALU_DEP_2)
	v_add_nc_u32_e32 v0, v9, v10
	v_mov_b32_e32 v9, v1
	scratch_store_b32 off, v9, s32 offset:744 ; 4-byte Folded Spill
	s_wait_xcnt 0x0
	v_cmpx_ne_u64_e32 0, v[32:33]
	s_cbranch_execz .LBB208_2
; %bb.1:
	s_ashr_i32 s1, s0, 31
	s_delay_alu instid0(SALU_CYCLE_1)
	v_lshl_add_u64 v[10:11], s[0:1], 2, v[32:33]
	flat_load_b32 v9, v[10:11]
	s_wait_loadcnt_dscnt 0x0
	scratch_store_b32 off, v9, s32 offset:744 ; 4-byte Folded Spill
.LBB208_2:
	s_wait_xcnt 0x0
	s_or_b32 exec_lo, exec_lo, s3
	v_mul_u64_e32 v[0:1], s[6:7], v[0:1]
	v_and_b32_e32 v9, 0x3ff, v31
	v_ashrrev_i32_e32 v0, 31, v7
	s_ashr_i32 s1, s0, 31
	s_mul_i32 s4, s0, 0x70
	s_mov_b32 s3, exec_lo
	scratch_store_b32 off, v9, s32 offset:740 ; 4-byte Folded Spill
	s_wait_xcnt 0x0
	v_cmpx_gt_u32_e32 28, v9
	s_cbranch_execz .LBB208_4
; %bb.3:
	scratch_load_b32 v7, off, s32 offset:740 ; 4-byte Folded Reload
	v_mul_lo_u32 v10, v17, s11
	s_ashr_i32 s5, s4, 31
	s_delay_alu instid0(VALU_DEP_1) | instskip(NEXT) | instid1(VALU_DEP_1)
	v_ashrrev_i32_e32 v11, 31, v10
	v_lshl_add_u64 v[2:3], v[10:11], 2, v[2:3]
	v_mov_b32_e32 v11, 0
	s_delay_alu instid0(VALU_DEP_2) | instskip(SKIP_2) | instid1(VALU_DEP_1)
	v_lshl_add_u64 v[2:3], s[4:5], 2, v[2:3]
	s_wait_loadcnt 0x0
	v_lshlrev_b32_e32 v10, 4, v7
	v_add_nc_u64_e32 v[2:3], v[2:3], v[10:11]
	flat_load_b128 v[20:23], v[2:3]
	s_wait_loadcnt_dscnt 0x0
	ds_store_b128 v10, v[20:23]
.LBB208_4:
	s_wait_xcnt 0x0
	s_or_b32 exec_lo, exec_lo, s3
	scratch_load_b64 v[12:13], off, s32 offset:192 ; 8-byte Folded Reload
	v_dual_sub_nc_u32 v2, 0, v27 :: v_dual_add_nc_u32 v9, 1, v1
	v_mul_lo_u32 v3, v1, v6
	v_xor_b32_e32 v11, s1, v0
	s_mov_b32 s1, exec_lo
	s_delay_alu instid0(VALU_DEP_3) | instskip(NEXT) | instid1(VALU_DEP_1)
	v_max_i32_e32 v7, v27, v2
	v_cvt_f32_u32_e32 v2, v7
	s_delay_alu instid0(VALU_DEP_4) | instskip(NEXT) | instid1(VALU_DEP_2)
	v_sub_nc_u32_e32 v3, s6, v3
	v_rcp_iflag_f32_e32 v2, v2
	s_delay_alu instid0(VALU_DEP_1) | instskip(NEXT) | instid1(TRANS32_DEP_1)
	v_cmp_ge_u32_e32 vcc_lo, v3, v6
	v_mul_f32_e32 v2, 0x4f7ffffe, v2
	scratch_store_b32 off, v7, s32 offset:228 ; 4-byte Folded Spill
	s_wait_xcnt 0x0
	v_dual_sub_nc_u32 v7, 0, v7 :: v_dual_cndmask_b32 v1, v1, v9, vcc_lo
	v_cvt_u32_f32_e32 v2, v2
	s_delay_alu instid0(VALU_DEP_2) | instskip(NEXT) | instid1(VALU_DEP_2)
	v_add_nc_u32_e32 v9, 1, v1
	v_mul_lo_u32 v10, v7, v2
	v_sub_nc_u32_e32 v7, v3, v6
	s_delay_alu instid0(VALU_DEP_1) | instskip(NEXT) | instid1(VALU_DEP_3)
	v_cndmask_b32_e32 v3, v3, v7, vcc_lo
	v_mul_hi_u32 v10, v2, v10
	s_delay_alu instid0(VALU_DEP_1) | instskip(SKIP_4) | instid1(VALU_DEP_3)
	v_add_nc_u32_e32 v16, v2, v10
                                        ; implicit-def: $vgpr2
                                        ; kill: killed $vgpr2
	s_wait_loadcnt 0x0
	v_add_nc_u32_e32 v7, -1, v12
	v_cmp_ge_u32_e32 vcc_lo, v3, v6
	v_dual_cndmask_b32 v0, v1, v9 :: v_dual_mov_b32 v1, 0
	v_sub_nc_u32_e32 v3, 0, v7
	s_delay_alu instid0(VALU_DEP_2) | instskip(NEXT) | instid1(VALU_DEP_2)
	v_dual_mov_b32 v17, v1 :: v_dual_bitop2_b32 v6, v0, v11 bitop3:0x14
	v_max_i32_e32 v0, v7, v3
	s_delay_alu instid0(VALU_DEP_2)
	v_sub_nc_u32_e32 v6, v6, v11
	scratch_store_b64 off, v[16:17], s32 offset:232 ; 8-byte Folded Spill
	s_wait_storecnt_dscnt 0x0
	s_barrier_signal -1
	s_barrier_wait -1
	s_wait_xcnt 0x0
	v_cmpx_gt_i32_e32 0, v28
	s_xor_b32 s1, exec_lo, s1
	s_cbranch_execz .LBB208_6
; %bb.5:
	v_mad_u32 v2, v24, v8, v6
                                        ; implicit-def: $vgpr24
	s_delay_alu instid0(VALU_DEP_1) | instskip(NEXT) | instid1(VALU_DEP_1)
	v_mul_lo_u32 v2, v2, v28
                                        ; implicit-def: $vgpr28
	v_sub_nc_u32_e32 v2, 1, v2
	scratch_store_b32 off, v2, s32 offset:244 ; 4-byte Folded Spill
.LBB208_6:
	s_wait_xcnt 0x0
	s_or_saveexec_b32 s1, s1
	scratch_load_b64 v[2:3], off, s32 offset:232 ; 8-byte Folded Reload
	s_wait_loadcnt 0x0
	v_mul_u64_e32 v[2:3], v[0:1], v[2:3]
	v_ashrrev_i32_e32 v1, 31, v7
	v_ashrrev_i32_e32 v2, 31, v27
	scratch_store_b32 off, v2, s32 offset:240 ; 4-byte Folded Spill
	s_wait_xcnt 0x0
	s_xor_b32 exec_lo, exec_lo, s1
	s_cbranch_execz .LBB208_8
; %bb.7:
	v_mad_u32 v2, s12, v24, s0
	s_delay_alu instid0(VALU_DEP_1)
	v_mad_u32 v2, v2, v28, 1
	scratch_store_b32 off, v2, s32 offset:244 ; 4-byte Folded Spill
.LBB208_8:
	s_wait_xcnt 0x0
	s_or_b32 exec_lo, exec_lo, s1
	s_clause 0x1
	scratch_load_b32 v13, off, s32 offset:228
	scratch_load_b64 v[8:9], off, s32 offset:192
	s_load_b32 s5, s[8:9], 0x8
	v_mul_lo_u32 v20, v14, s11
	v_mul_lo_u32 v22, v6, v19
	s_ashr_i32 s3, s2, 31
	s_get_pc_i64 s[6:7]
	s_add_nc_u64 s[6:7], s[6:7], llvm.amdgcn.dynlds.offset.table@rel64+4
	s_lshl_b64 s[2:3], s[2:3], 2
	s_wait_loadcnt 0x0
	scratch_load_b32 v9, off, s32 offset:740 ; 4-byte Folded Reload
	s_add_nc_u64 s[6:7], s[6:7], s[2:3]
	v_ashrrev_i32_e32 v21, 31, v20
	v_mul_lo_u32 v2, v3, v13
	s_wait_loadcnt 0x0
	s_delay_alu instid0(VALU_DEP_1) | instskip(SKIP_1) | instid1(VALU_DEP_2)
	v_dual_lshrrev_b32 v10, 5, v9 :: v_dual_sub_nc_u32 v0, v0, v2
	v_dual_add_nc_u32 v2, 1, v3 :: v_dual_add_nc_u32 v7, 31, v8
	v_sub_nc_u32_e32 v8, v0, v13
	v_cmp_ge_u32_e32 vcc_lo, v0, v13
	s_delay_alu instid0(VALU_DEP_3) | instskip(SKIP_2) | instid1(VALU_DEP_1)
	v_cndmask_b32_e32 v2, v3, v2, vcc_lo
	scratch_load_b32 v3, off, s32 offset:240 ; 4-byte Folded Reload
	v_cndmask_b32_e32 v0, v0, v8, vcc_lo
	v_cmp_ge_u32_e32 vcc_lo, v0, v13
	s_wait_loadcnt 0x0
	v_dual_lshrrev_b32 v13, 3, v9 :: v_dual_bitop2_b32 v1, v1, v3 bitop3:0x14
	v_dual_ashrrev_i32 v3, 31, v7 :: v_dual_add_nc_u32 v8, 1, v2
	s_delay_alu instid0(VALU_DEP_1) | instskip(NEXT) | instid1(VALU_DEP_2)
	v_dual_lshrrev_b32 v3, 27, v3 :: v_dual_bitop2_b32 v11, 31, v9 bitop3:0x40
	v_cndmask_b32_e32 v0, v2, v8, vcc_lo
	v_mov_b32_e32 v8, 0xff7fffff
	scratch_store_b32 off, v11, s32 offset:736 ; 4-byte Folded Spill
	v_add_nc_u32_e32 v2, v7, v3
	scratch_load_b32 v3, off, s32 offset:1232 ; 4-byte Folded Reload
	v_dual_ashrrev_i32 v2, 5, v2 :: v_dual_bitop2_b32 v0, v0, v1 bitop3:0x14
	s_delay_alu instid0(VALU_DEP_1) | instskip(SKIP_2) | instid1(VALU_DEP_3)
	v_cmp_lt_i32_e64 s0, v10, v2
	s_wait_loadcnt 0x0
	v_dual_sub_nc_u32 v3, 0, v3 :: v_dual_lshlrev_b32 v6, 5, v10
	v_dual_sub_nc_u32 v0, v0, v1 :: v_dual_ashrrev_i32 v23, 31, v22
	s_clause 0x1
	scratch_store_b64 off, v[6:7], s32 offset:204
	scratch_store_b32 off, v3, s32 offset:1244
	s_wait_xcnt 0x1
	v_dual_lshlrev_b32 v7, 2, v11 :: v_dual_sub_nc_u32 v0, v0, v25
	s_clause 0x2
	scratch_store_b32 off, v10, s32 offset:1228
	scratch_store_b32 off, v2, s32 offset:200
	;; [unrolled: 1-line block ×3, first 2 shown]
	s_wait_xcnt 0x0
	s_and_saveexec_b32 s3, s0
	s_cbranch_execz .LBB208_912
; %bb.9:
	s_clause 0x1
	scratch_load_b32 v0, off, s32 offset:1232
	scratch_load_b32 v1, off, s32 offset:1244
	v_add_nc_u64_e32 v[2:3], v[4:5], v[22:23]
	s_clause 0x1
	scratch_load_b32 v4, off, s32 offset:736
	scratch_load_b32 v18, off, s32 offset:1228
	v_mov_b32_e32 v89, 0
	s_load_b32 s8, s[6:7], 0x0
	s_clause 0x1
	scratch_store_b64 off, v[22:23], s32 offset:1276
	scratch_store_b32 off, v7, s32 offset:1284
	s_mov_b32 s9, 0
	s_wait_loadcnt 0x2
	v_max_i32_e32 v6, v0, v1
	s_clause 0x1
	scratch_load_b32 v0, off, s32 offset:744
	scratch_load_b64 v[8:9], off, s32 offset:192
	s_wait_loadcnt 0x3
	v_lshlrev_b32_e32 v88, 4, v4
	s_wait_loadcnt 0x2
	s_clause 0x1
	scratch_store_b32 off, v18, s32 offset:220
	scratch_store_b32 off, v6, s32 offset:692
	v_cvt_f32_u32_e32 v1, v6
	v_sub_nc_u32_e32 v5, 0, v6
	v_lshl_or_b32 v12, v18, 7, v7
	s_delay_alu instid0(VALU_DEP_3)
	v_rcp_iflag_f32_e32 v1, v1
	s_wait_loadcnt 0x1
	v_cmp_neq_f32_e32 vcc_lo, 0, v0
	v_lshlrev_b32_e32 v0, 5, v18
	ds_load_b128 v[14:17], v89
	s_wait_loadcnt 0x0
	v_dual_mul_f32 v1, 0x4f7ffffe, v1 :: v_dual_sub_nc_u32 v4, v4, v8
	v_add_nc_u64_e32 v[2:3], v[2:3], v[88:89]
	v_and_b32_e32 v88, 0x7c, v13
	v_dual_mov_b32 v8, 0xff7fffff :: v_dual_mov_b32 v11, v89
	s_delay_alu instid0(VALU_DEP_4)
	v_add_nc_u32_e32 v4, 1, v4
	v_cvt_u32_f32_e32 v1, v1
	scratch_store_b32 off, v4, s32 offset:864 ; 4-byte Folded Spill
	s_wait_xcnt 0x0
	v_mul_lo_u32 v4, v5, v1
	s_wait_dscnt 0x0
	scratch_store_b128 off, v[14:17], s32 offset:768 ; 16-byte Folded Spill
	s_wait_xcnt 0x0
	ds_load_b128 v[14:17], v89 offset:16
	v_mul_hi_u32 v4, v1, v4
	s_delay_alu instid0(VALU_DEP_1)
	v_add_nc_u32_e32 v10, v1, v4
	s_wait_dscnt 0x0
	scratch_store_b128 off, v[14:17], s32 offset:784 ; 16-byte Folded Spill
	s_wait_xcnt 0x0
	ds_load_b128 v[14:17], v89 offset:32
	s_wait_dscnt 0x0
	scratch_store_b128 off, v[14:17], s32 offset:800 ; 16-byte Folded Spill
	s_wait_xcnt 0x0
	ds_load_b128 v[14:17], v89 offset:48
	;; [unrolled: 4-line block ×12, first 2 shown]
	s_wait_dscnt 0x0
	s_clause 0x2
	scratch_store_b128 off, v[14:17], s32 offset:980
	scratch_store_b64 off, v[2:3], s32 offset:996
	scratch_store_b32 off, v13, s32 offset:1272
	s_wait_xcnt 0x2
	ds_load_b128 v[14:17], v89 offset:224
	s_wait_xcnt 0x1
	v_lshl_add_u64 v[2:3], v[20:21], 2, v[88:89]
	s_wait_dscnt 0x0
	scratch_store_b128 off, v[14:17], s32 offset:1004 ; 16-byte Folded Spill
	s_wait_xcnt 0x0
	ds_load_b128 v[14:17], v89 offset:240
	s_wait_dscnt 0x0
	scratch_store_b128 off, v[14:17], s32 offset:1020 ; 16-byte Folded Spill
	s_wait_xcnt 0x0
	ds_load_b128 v[14:17], v89 offset:256
	;; [unrolled: 4-line block ×3, first 2 shown]
	s_wait_dscnt 0x0
	s_clause 0x2
	scratch_store_b128 off, v[14:17], s32 offset:1052
	scratch_store_b64 off, v[20:21], s32 offset:1264
	scratch_load_b64 v[6:7], off, s32 offset:1236
	s_wait_xcnt 0x2
	ds_load_b128 v[14:17], v89 offset:288
	scratch_store_b64 off, v[10:11], s32 offset:696 ; 8-byte Folded Spill
	s_wait_loadcnt 0x0
	v_add_nc_u64_e32 v[2:3], v[6:7], v[2:3]
	scratch_store_b64 off, v[2:3], s32 offset:212 ; 8-byte Folded Spill
	s_wait_xcnt 0x0
	ds_load_b128 v[2:5], v89 offset:352
	s_wait_dscnt 0x1
	scratch_store_b128 off, v[14:17], s32 offset:1068 ; 16-byte Folded Spill
	s_wait_xcnt 0x0
	ds_load_b128 v[14:17], v89 offset:304
	s_wait_dscnt 0x1
	scratch_store_b128 off, v[2:5], s32 offset:1132 ; 16-byte Folded Spill
	;; [unrolled: 4-line block ×7, first 2 shown]
	s_wait_dscnt 0x0
	scratch_store_b128 off, v[2:5], s32 offset:1180 ; 16-byte Folded Spill
	s_wait_xcnt 0x0
	ds_load_b128 v[2:5], v89 offset:416
	s_wait_dscnt 0x0
	scratch_store_b128 off, v[2:5], s32 offset:1196 ; 16-byte Folded Spill
	s_wait_xcnt 0x0
	ds_load_b128 v[2:5], v89 offset:432
	s_wait_dscnt 0x0
	scratch_store_b128 off, v[2:5], s32 offset:1212 ; 16-byte Folded Spill
	s_branch .LBB208_15
.LBB208_10:                             ;   in Loop: Header=BB208_15 Depth=1
	s_or_b32 exec_lo, exec_lo, s17
	s_delay_alu instid0(VALU_DEP_1) | instskip(NEXT) | instid1(VALU_DEP_2)
	v_dual_lshlrev_b32 v13, 24, v19 :: v_dual_lshlrev_b32 v10, 20, v88
	v_lshl_add_u32 v1, v1, 23, 0x3c000000
	v_mov_b32_e32 v120, v89
	s_delay_alu instid0(VALU_DEP_3) | instskip(NEXT) | instid1(VALU_DEP_1)
	v_and_b32_e32 v13, 0x80000000, v13
	v_or3_b32 v121, v10, v13, v1
.LBB208_11:                             ;   in Loop: Header=BB208_15 Depth=1
	s_or_b32 exec_lo, exec_lo, s16
.LBB208_12:                             ;   in Loop: Header=BB208_15 Depth=1
	s_delay_alu instid0(SALU_CYCLE_1)
	s_or_b32 exec_lo, exec_lo, s15
.LBB208_13:                             ;   in Loop: Header=BB208_15 Depth=1
	s_delay_alu instid0(SALU_CYCLE_1)
	s_or_b32 exec_lo, exec_lo, s14
	v_or_b32_e32 v1, v109, v127
	v_or_b32_e32 v0, v108, v126
	;; [unrolled: 1-line block ×6, first 2 shown]
	scratch_store_b64 off, v[0:1], s32 offset:720 ; 8-byte Folded Spill
	s_wait_xcnt 0x0
	v_or_b32_e32 v1, v107, v93
	v_or_b32_e32 v0, v106, v92
	;; [unrolled: 1-line block ×6, first 2 shown]
	s_clause 0x2
	scratch_store_b64 off, v[0:1], s32 offset:728
	scratch_load_b64 v[0:1], off, s32 offset:556 th:TH_LOAD_LU
	scratch_load_b64 v[6:7], off, s32 offset:564 th:TH_LOAD_LU
	v_or_b32_e32 v17, v99, v119
	v_or_b32_e32 v16, v98, v118
	;; [unrolled: 1-line block ×44, first 2 shown]
	v_pk_mul_f32 v[20:21], v[72:73], v[20:21] op_sel_hi:[0,1]
	s_wait_loadcnt 0x0
	v_or_b32_e32 v27, v1, v7
	v_or_b32_e32 v26, v0, v6
	scratch_load_b64 v[0:1], off, s32 offset:572 th:TH_LOAD_LU ; 8-byte Folded Reload
	v_pk_mul_f32 v[26:27], v[72:73], v[26:27] op_sel_hi:[0,1]
	s_wait_loadcnt 0x0
	v_or_b32_e32 v13, v3, v1
	v_or_b32_e32 v12, v2, v0
	s_clause 0x1
	scratch_load_b64 v[0:1], off, s32 offset:532 th:TH_LOAD_LU
	scratch_load_b64 v[2:3], off, s32 offset:540 th:TH_LOAD_LU
	s_wait_loadcnt 0x0
	v_or_b32_e32 v35, v1, v3
	v_or_b32_e32 v34, v0, v2
	s_clause 0x1
	scratch_load_b64 v[0:1], off, s32 offset:676 th:TH_LOAD_LU
	scratch_load_b64 v[2:3], off, s32 offset:548 th:TH_LOAD_LU
	v_pk_mul_f32 v[34:35], v[72:73], v[34:35] op_sel_hi:[0,1]
	s_wait_loadcnt 0x0
	v_or_b32_e32 v25, v1, v3
	v_or_b32_e32 v24, v0, v2
	s_clause 0x1
	scratch_load_b64 v[0:1], off, s32 offset:508 th:TH_LOAD_LU
	scratch_load_b64 v[2:3], off, s32 offset:516 th:TH_LOAD_LU
	s_wait_loadcnt 0x0
	v_or_b32_e32 v53, v1, v3
	v_or_b32_e32 v52, v0, v2
	s_clause 0x1
	scratch_load_b64 v[0:1], off, s32 offset:668 th:TH_LOAD_LU
	scratch_load_b64 v[2:3], off, s32 offset:524 th:TH_LOAD_LU
	;; [unrolled: 13-line block ×9, first 2 shown]
	v_pk_mul_f32 v[46:47], v[72:73], v[46:47] op_sel_hi:[0,1]
	s_wait_loadcnt 0x0
	v_or_b32_e32 v61, v1, v3
	v_or_b32_e32 v60, v0, v2
	s_clause 0x1
	scratch_load_b64 v[0:1], off, s32 offset:316 th:TH_LOAD_LU
	scratch_load_b64 v[2:3], off, s32 offset:324 th:TH_LOAD_LU
	v_pk_mul_f32 v[60:61], v[72:73], v[60:61] op_sel_hi:[0,1]
	s_wait_loadcnt 0x0
	v_or_b32_e32 v75, v1, v3
	v_or_b32_e32 v74, v0, v2
	s_clause 0x1
	scratch_load_b64 v[0:1], off, s32 offset:604 th:TH_LOAD_LU
	scratch_load_b64 v[2:3], off, s32 offset:332 th:TH_LOAD_LU
	;; [unrolled: 7-line block ×5, first 2 shown]
	s_wait_loadcnt 0x0
	v_or_b32_e32 v107, v1, v3
	v_or_b32_e32 v106, v0, v2
	s_clause 0x1
	scratch_load_b64 v[0:1], off, s32 offset:588 th:TH_LOAD_LU
	scratch_load_b64 v[2:3], off, s32 offset:284 th:TH_LOAD_LU
	v_pk_mul_f32 v[106:107], v[72:73], v[106:107] op_sel_hi:[0,1]
	s_wait_loadcnt 0x0
	v_or_b32_e32 v109, v1, v3
	v_or_b32_e32 v108, v0, v2
	scratch_load_b64 v[0:1], off, s32 offset:252 th:TH_LOAD_LU ; 8-byte Folded Reload
	s_wait_loadcnt 0x0
	v_or_b32_e32 v125, v125, v1
	v_or_b32_e32 v124, v124, v0
	s_clause 0x3
	scratch_load_b64 v[0:1], off, s32 offset:580 th:TH_LOAD_LU
	scratch_load_b64 v[2:3], off, s32 offset:260 th:TH_LOAD_LU
	scratch_load_b128 v[8:11], off, s32 offset:784
	scratch_load_b128 v[4:7], off, s32 offset:832
	s_load_b32 s14, s[6:7], 0x0
	v_pk_mul_f32 v[120:121], v[72:73], v[124:125] op_sel_hi:[0,1]
	scratch_load_b128 v[122:125], off, s32 offset:768 ; 16-byte Folded Reload
	s_wait_loadcnt 0x3
	v_or_b32_e32 v127, v1, v3
	s_wait_loadcnt 0x2
	v_pk_mul_f32 v[106:107], v[8:9], v[106:107]
	v_or_b32_e32 v126, v0, v2
	scratch_load_b128 v[0:3], off, s32 offset:816 ; 16-byte Folded Reload
	s_wait_loadcnt 0x1
	v_pk_fma_f32 v[106:107], v[122:123], v[120:121], v[106:107]
	scratch_load_b128 v[120:123], off, s32 offset:800 ; 16-byte Folded Reload
	s_wait_loadcnt 0x0
	v_pk_fma_f32 v[90:91], v[120:121], v[90:91], v[106:107]
	s_delay_alu instid0(VALU_DEP_1) | instskip(SKIP_1) | instid1(VALU_DEP_2)
	v_pk_fma_f32 v[74:75], v[0:1], v[74:75], v[90:91]
	v_pk_mul_f32 v[90:91], v[72:73], v[126:127] op_sel_hi:[0,1]
	v_pk_fma_f32 v[46:47], v[4:5], v[46:47], v[74:75]
	v_pk_mul_f32 v[74:75], v[72:73], v[108:109] op_sel_hi:[0,1]
	scratch_load_b128 v[106:109], off, s32 offset:948 ; 16-byte Folded Reload
	v_pk_mul_f32 v[74:75], v[10:11], v[74:75]
	scratch_load_b128 v[8:11], off, s32 offset:884 ; 16-byte Folded Reload
	v_pk_fma_f32 v[74:75], v[124:125], v[90:91], v[74:75]
	v_pk_mul_f32 v[90:91], v[72:73], v[92:93] op_sel_hi:[0,1]
	scratch_load_b128 v[124:127], off, s32 offset:980 ; 16-byte Folded Reload
	v_pk_fma_f32 v[74:75], v[122:123], v[90:91], v[74:75]
	s_clause 0x1
	scratch_load_b128 v[90:93], off, s32 offset:932
	scratch_load_b128 v[120:123], off, s32 offset:964
	v_pk_fma_f32 v[74:75], v[2:3], v[76:77], v[74:75]
	scratch_load_b128 v[0:3], off, s32 offset:848 ; 16-byte Folded Reload
	v_pk_fma_f32 v[60:61], v[6:7], v[60:61], v[74:75]
	s_clause 0x1
	scratch_load_b128 v[4:7], off, s32 offset:868
	scratch_load_b128 v[74:77], off, s32 offset:900
	s_wait_loadcnt 0x2
	v_pk_fma_f32 v[42:43], v[0:1], v[42:43], v[46:47]
	v_mov_b32_e32 v0, v72
	s_wait_loadcnt 0x1
	s_delay_alu instid0(VALU_DEP_2)
	v_pk_fma_f32 v[114:115], v[4:5], v[114:115], v[42:43]
	scratch_load_b64 v[4:5], off, s32 offset:728 th:TH_LOAD_LU ; 8-byte Folded Reload
	v_pk_mul_f32 v[30:31], v[0:1], v[30:31] op_sel_hi:[0,1]
	v_pk_mul_f32 v[24:25], v[0:1], v[24:25] op_sel_hi:[0,1]
	v_pk_fma_f32 v[112:113], v[8:9], v[112:113], v[114:115]
	s_wait_loadcnt 0x1
	s_delay_alu instid0(VALU_DEP_1)
	v_pk_fma_f32 v[100:101], v[74:75], v[100:101], v[112:113]
	s_clause 0x1
	scratch_load_b128 v[112:115], off, s32 offset:916
	scratch_load_b128 v[72:75], off, s32 offset:1004
	s_wait_loadcnt 0x1
	v_pk_fma_f32 v[84:85], v[112:113], v[84:85], v[100:101]
	s_delay_alu instid0(VALU_DEP_1) | instskip(NEXT) | instid1(VALU_DEP_1)
	v_pk_fma_f32 v[68:69], v[90:91], v[68:69], v[84:85]
	v_pk_fma_f32 v[52:53], v[106:107], v[52:53], v[68:69]
	s_delay_alu instid0(VALU_DEP_1) | instskip(NEXT) | instid1(VALU_DEP_1)
	v_pk_fma_f32 v[34:35], v[120:121], v[34:35], v[52:53]
	v_pk_fma_f32 v[26:27], v[124:125], v[26:27], v[34:35]
	s_wait_loadcnt 0x0
	s_delay_alu instid0(VALU_DEP_1)
	v_pk_fma_f32 v[20:21], v[72:73], v[20:21], v[26:27]
	v_pk_mul_f32 v[26:27], v[0:1], v[32:33] op_sel_hi:[0,1]
	scratch_load_b128 v[32:35], off, s32 offset:1020 ; 16-byte Folded Reload
	s_wait_loadcnt 0x0
	v_pk_fma_f32 v[20:21], v[32:33], v[26:27], v[20:21]
	v_pk_mul_f32 v[26:27], v[0:1], v[44:45] op_sel_hi:[0,1]
	v_pk_mul_f32 v[32:33], v[0:1], v[118:119] op_sel_hi:[0,1]
	s_delay_alu instid0(VALU_DEP_2)
	v_pk_fma_f32 v[26:27], v[2:3], v[26:27], v[60:61]
	v_pk_mul_f32 v[2:3], v[0:1], v[12:13] op_sel_hi:[0,1]
	scratch_load_b32 v12, off, s32 offset:716 ; 4-byte Folded Reload
	v_pk_fma_f32 v[26:27], v[6:7], v[32:33], v[26:27]
	v_pk_mul_f32 v[32:33], v[0:1], v[96:97] op_sel_hi:[0,1]
	v_pk_mul_f32 v[6:7], v[0:1], v[22:23] op_sel_hi:[0,1]
	s_delay_alu instid0(VALU_DEP_2) | instskip(SKIP_2) | instid1(VALU_DEP_1)
	v_pk_fma_f32 v[26:27], v[10:11], v[32:33], v[26:27]
	scratch_load_b128 v[8:11], off, s32 offset:1036 ; 16-byte Folded Reload
	v_pk_mul_f32 v[32:33], v[0:1], v[80:81] op_sel_hi:[0,1]
	v_pk_fma_f32 v[26:27], v[76:77], v[32:33], v[26:27]
	v_pk_mul_f32 v[32:33], v[0:1], v[64:65] op_sel_hi:[0,1]
	s_delay_alu instid0(VALU_DEP_1) | instskip(SKIP_3) | instid1(VALU_DEP_1)
	v_pk_fma_f32 v[26:27], v[114:115], v[32:33], v[26:27]
	v_pk_mul_f32 v[32:33], v[0:1], v[48:49] op_sel_hi:[0,1]
	scratch_load_b128 v[112:115], off, s32 offset:1180 ; 16-byte Folded Reload
	v_pk_fma_f32 v[26:27], v[92:93], v[32:33], v[26:27]
	v_pk_fma_f32 v[26:27], v[108:109], v[30:31], v[26:27]
	scratch_load_b128 v[30:33], off, s32 offset:1084 ; 16-byte Folded Reload
	v_pk_fma_f32 v[24:25], v[122:123], v[24:25], v[26:27]
	s_delay_alu instid0(VALU_DEP_1)
	v_pk_fma_f32 v[2:3], v[126:127], v[2:3], v[24:25]
	scratch_load_b128 v[24:27], off, s32 offset:1068 ; 16-byte Folded Reload
	v_pk_fma_f32 v[2:3], v[74:75], v[6:7], v[2:3]
	v_pk_mul_f32 v[6:7], v[0:1], v[14:15] op_sel_hi:[0,1]
	v_pk_mul_f32 v[14:15], v[0:1], v[66:67] op_sel_hi:[0,1]
	scratch_load_b128 v[64:67], off, s32 offset:1116 ; 16-byte Folded Reload
	v_pk_fma_f32 v[2:3], v[34:35], v[6:7], v[2:3]
	v_pk_mul_f32 v[6:7], v[0:1], v[50:51] op_sel_hi:[0,1]
	scratch_load_b128 v[48:51], off, s32 offset:1100 ; 16-byte Folded Reload
	s_wait_loadcnt 0x5
	v_pk_fma_f32 v[6:7], v[8:9], v[6:7], v[20:21]
	scratch_load_b128 v[20:23], off, s32 offset:1052 ; 16-byte Folded Reload
	s_wait_loadcnt 0x0
	v_pk_fma_f32 v[6:7], v[20:21], v[14:15], v[6:7]
	v_pk_mul_f32 v[14:15], v[0:1], v[82:83] op_sel_hi:[0,1]
	scratch_load_b128 v[80:83], off, s32 offset:1132 ; 16-byte Folded Reload
	v_pk_fma_f32 v[6:7], v[24:25], v[14:15], v[6:7]
	v_pk_mul_f32 v[14:15], v[0:1], v[98:99] op_sel_hi:[0,1]
	scratch_load_b128 v[96:99], off, s32 offset:1164 ; 16-byte Folded Reload
	;; [unrolled: 3-line block ×4, first 2 shown]
	v_pk_fma_f32 v[6:7], v[64:65], v[14:15], v[6:7]
	v_pk_mul_f32 v[14:15], v[0:1], v[58:59] op_sel_hi:[0,1]
	s_wait_loadcnt 0x3
	s_delay_alu instid0(VALU_DEP_1) | instskip(SKIP_2) | instid1(VALU_DEP_1)
	v_pk_fma_f32 v[6:7], v[80:81], v[14:15], v[6:7]
	v_pk_mul_f32 v[14:15], v[0:1], v[62:63] op_sel_hi:[0,1]
	s_wait_loadcnt 0x1
	v_pk_fma_f32 v[6:7], v[84:85], v[14:15], v[6:7]
	v_pk_mul_f32 v[14:15], v[0:1], v[78:79] op_sel_hi:[0,1]
	s_delay_alu instid0(VALU_DEP_1) | instskip(SKIP_1) | instid1(VALU_DEP_1)
	v_pk_fma_f32 v[6:7], v[96:97], v[14:15], v[6:7]
	v_pk_mul_f32 v[14:15], v[0:1], v[94:95] op_sel_hi:[0,1]
	v_pk_fma_f32 v[6:7], v[112:113], v[14:15], v[6:7]
	v_pk_mul_f32 v[14:15], v[0:1], v[110:111] op_sel_hi:[0,1]
	s_wait_loadcnt 0x0
	s_delay_alu instid0(VALU_DEP_1) | instskip(SKIP_1) | instid1(VALU_DEP_1)
	v_pk_fma_f32 v[6:7], v[40:41], v[14:15], v[6:7]
	v_pk_mul_f32 v[14:15], v[0:1], v[28:29] op_sel_hi:[0,1]
	v_pk_fma_f32 v[2:3], v[10:11], v[14:15], v[2:3]
	v_pk_mul_f32 v[14:15], v[0:1], v[38:39] op_sel_hi:[0,1]
	scratch_load_b128 v[8:11], off, s32 offset:1212 ; 16-byte Folded Reload
	v_pk_fma_f32 v[2:3], v[22:23], v[14:15], v[2:3]
	v_pk_mul_f32 v[14:15], v[0:1], v[54:55] op_sel_hi:[0,1]
	s_delay_alu instid0(VALU_DEP_1) | instskip(SKIP_1) | instid1(VALU_DEP_1)
	v_pk_fma_f32 v[2:3], v[26:27], v[14:15], v[2:3]
	v_pk_mul_f32 v[14:15], v[0:1], v[70:71] op_sel_hi:[0,1]
	v_pk_fma_f32 v[2:3], v[32:33], v[14:15], v[2:3]
	v_pk_mul_f32 v[14:15], v[0:1], v[16:17] op_sel_hi:[0,1]
	v_pk_mul_f32 v[16:17], v[0:1], v[36:37] op_sel_hi:[0,1]
	s_delay_alu instid0(VALU_DEP_2) | instskip(SKIP_1) | instid1(VALU_DEP_1)
	v_pk_fma_f32 v[2:3], v[50:51], v[14:15], v[2:3]
	v_pk_mul_f32 v[14:15], v[0:1], v[102:103] op_sel_hi:[0,1]
	v_pk_fma_f32 v[2:3], v[66:67], v[14:15], v[2:3]
	v_pk_mul_f32 v[14:15], v[0:1], v[116:117] op_sel_hi:[0,1]
	s_delay_alu instid0(VALU_DEP_1) | instskip(SKIP_1) | instid1(VALU_DEP_1)
	v_pk_fma_f32 v[2:3], v[82:83], v[14:15], v[2:3]
	v_pk_mul_f32 v[14:15], v[0:1], v[18:19] op_sel_hi:[0,1]
	v_pk_fma_f32 v[2:3], v[86:87], v[14:15], v[2:3]
	v_pk_mul_f32 v[14:15], v[0:1], v[104:105] op_sel_hi:[0,1]
	s_delay_alu instid0(VALU_DEP_1)
	v_pk_fma_f32 v[2:3], v[98:99], v[14:15], v[2:3]
	v_pk_mul_f32 v[14:15], v[0:1], v[4:5] op_sel_hi:[0,1]
	scratch_load_b64 v[4:5], off, s32 offset:720 th:TH_LOAD_LU ; 8-byte Folded Reload
	v_pk_fma_f32 v[2:3], v[114:115], v[14:15], v[2:3]
	s_wait_loadcnt 0x1
	v_pk_fma_f32 v[6:7], v[8:9], v[16:17], v[6:7]
	scratch_load_b32 v8, off, s32 offset:704 th:TH_LOAD_LU ; 4-byte Folded Reload
	s_wait_loadcnt 0x1
	v_pk_mul_f32 v[14:15], v[0:1], v[4:5] op_sel_hi:[0,1]
	v_pk_mul_f32 v[4:5], v[0:1], v[56:57] op_sel_hi:[0,1]
	v_add_f32_e32 v1, v6, v7
	s_delay_alu instid0(VALU_DEP_3) | instskip(NEXT) | instid1(VALU_DEP_1)
	v_pk_fma_f32 v[2:3], v[42:43], v[14:15], v[2:3]
	v_pk_fma_f32 v[2:3], v[10:11], v[4:5], v[2:3]
	scratch_load_b64 v[4:5], off, s32 offset:192 ; 8-byte Folded Reload
	v_add_f32_e32 v1, v2, v1
	s_delay_alu instid0(VALU_DEP_1)
	v_add_f32_e32 v1, v3, v1
	scratch_load_b64 v[2:3], off, s32 offset:708 ; 8-byte Folded Reload
	s_wait_loadcnt 0x0
	scratch_load_b32 v3, off, s32 offset:744 ; 4-byte Folded Reload
	v_mov_b32_e32 v0, v2
	scratch_load_b32 v2, off, s32 offset:864 ; 4-byte Folded Reload
	s_wait_loadcnt 0x0
	v_add_nc_u32_e32 v2, v2, v0
	s_delay_alu instid0(VALU_DEP_1) | instskip(NEXT) | instid1(VALU_DEP_1)
	v_cvt_f32_i32_e32 v2, v2
	v_mul_f32_e32 v2, v3, v2
	scratch_load_b32 v3, off, s32 offset:764 ; 4-byte Folded Reload
	v_cndmask_b32_e32 v2, 0, v2, vcc_lo
	s_wait_loadcnt 0x0
	s_delay_alu instid0(VALU_DEP_1) | instskip(SKIP_3) | instid1(VALU_DEP_1)
	v_fmac_f32_e32 v2, v3, v1
	scratch_load_b32 v1, off, s32 offset:736 ; 4-byte Folded Reload
	s_wait_loadcnt 0x0
	v_add_nc_u32_e32 v1, v1, v0
	v_cmp_lt_i32_e64 s1, v1, v4
	v_max_num_f32_e32 v1, v8, v8
	s_delay_alu instid0(VALU_DEP_1) | instskip(SKIP_1) | instid1(VALU_DEP_1)
	v_dual_max_num_f32 v1, v1, v2 :: v_dual_cndmask_b32 v2, 0, v2, s1
	s_wait_kmcnt 0x0
	v_dual_cndmask_b32 v8, v8, v1, s1 :: v_dual_add_nc_u32 v1, s14, v12
	ds_store_b32 v1, v2
.LBB208_14:                             ;   in Loop: Header=BB208_15 Depth=1
	s_wait_xcnt 0x0
	s_or_b32 exec_lo, exec_lo, s2
	s_clause 0x1
	scratch_load_b32 v2, off, s32 offset:220 th:TH_LOAD_LU
	scratch_load_b32 v1, off, s32 offset:200
	v_add_nc_u32_e32 v0, 0x80, v0
	v_add_nc_u32_e32 v12, 0x200, v12
	s_wait_loadcnt 0x1
	v_add_nc_u32_e32 v2, 4, v2
	scratch_store_b32 off, v2, s32 offset:220 ; 4-byte Folded Spill
	s_wait_loadcnt 0x0
	v_cmp_ge_i32_e64 s1, v2, v1
	scratch_load_b64 v[2:3], off, s32 offset:212 ; 8-byte Folded Reload
	s_or_b32 s9, s1, s9
	s_wait_loadcnt 0x0
	v_add_nc_u64_e32 v[2:3], 16, v[2:3]
	scratch_store_b64 off, v[2:3], s32 offset:212 ; 8-byte Folded Spill
	s_wait_xcnt 0x0
	s_and_not1_b32 exec_lo, exec_lo, s9
	s_cbranch_execz .LBB208_911
.LBB208_15:                             ; =>This Inner Loop Header: Depth=1
	s_clause 0x1
	scratch_load_b64 v[2:3], off, s32 offset:232
	scratch_load_b32 v5, off, s32 offset:228
	v_mov_b32_e32 v1, v89
	s_wait_loadcnt 0x1
	s_delay_alu instid0(VALU_DEP_1) | instskip(SKIP_1) | instid1(VALU_DEP_1)
	v_mul_u64_e32 v[2:3], v[0:1], v[2:3]
	s_wait_loadcnt 0x0
	v_mul_lo_u32 v1, v3, v5
	s_delay_alu instid0(VALU_DEP_1) | instskip(NEXT) | instid1(VALU_DEP_1)
	v_dual_add_nc_u32 v2, 1, v3 :: v_dual_sub_nc_u32 v1, v0, v1
	v_cmp_ge_u32_e64 s1, v1, v5
	s_delay_alu instid0(VALU_DEP_1) | instskip(NEXT) | instid1(VALU_DEP_1)
	v_dual_cndmask_b32 v2, v3, v2, s1 :: v_dual_sub_nc_u32 v4, v1, v5
	v_dual_add_nc_u32 v3, 1, v2 :: v_dual_cndmask_b32 v1, v1, v4, s1
	s_delay_alu instid0(VALU_DEP_1)
	v_cmp_ge_u32_e64 s1, v1, v5
	scratch_load_b32 v5, off, s32 offset:692 ; 4-byte Folded Reload
	v_cndmask_b32_e64 v1, v2, v3, s1
	scratch_load_b32 v2, off, s32 offset:240 ; 4-byte Folded Reload
	s_wait_loadcnt 0x0
	v_xor_b32_e32 v1, v1, v2
	s_delay_alu instid0(VALU_DEP_1) | instskip(SKIP_3) | instid1(VALU_DEP_1)
	v_sub_nc_u32_e32 v1, v1, v2
	scratch_load_b32 v2, off, s32 offset:244 ; 4-byte Folded Reload
	s_wait_loadcnt 0x0
	v_add_nc_u32_e32 v4, v1, v2
	v_sub_nc_u32_e32 v2, 0, v4
	s_delay_alu instid0(VALU_DEP_1) | instskip(SKIP_3) | instid1(VALU_DEP_1)
	v_max_i32_e32 v88, v4, v2
	scratch_load_b64 v[2:3], off, s32 offset:696 ; 8-byte Folded Reload
	s_wait_loadcnt 0x0
	v_mul_u64_e32 v[2:3], v[88:89], v[2:3]
	v_mul_lo_u32 v2, v3, v5
	s_delay_alu instid0(VALU_DEP_1) | instskip(NEXT) | instid1(VALU_DEP_1)
	v_sub_nc_u32_e32 v2, v88, v2
	v_sub_nc_u32_e32 v3, v2, v5
	v_cmp_ge_u32_e64 s1, v2, v5
	s_delay_alu instid0(VALU_DEP_1) | instskip(NEXT) | instid1(VALU_DEP_1)
	v_dual_cndmask_b32 v2, v2, v3, s1 :: v_dual_ashrrev_i32 v4, 31, v4
	v_sub_nc_u32_e32 v3, v2, v5
	v_cmp_ge_u32_e64 s1, v2, v5
	s_delay_alu instid0(VALU_DEP_1) | instskip(NEXT) | instid1(VALU_DEP_1)
	v_cndmask_b32_e64 v2, v2, v3, s1
	v_xor_b32_e32 v2, v2, v4
	s_delay_alu instid0(VALU_DEP_1) | instskip(NEXT) | instid1(VALU_DEP_1)
	v_sub_nc_u32_e32 v2, v2, v4
	v_cmp_ne_u32_e64 s1, 0, v2
	scratch_load_b32 v2, off, s32 offset:248 ; 4-byte Folded Reload
	s_wait_loadcnt 0x0
	v_cmp_le_i32_e64 s2, v1, v2
	s_and_b32 s1, s1, s2
	s_wait_xcnt 0x0
	s_and_saveexec_b32 s2, s1
	s_delay_alu instid0(SALU_CYCLE_1)
	s_xor_b32 s1, exec_lo, s2
	s_cbranch_execz .LBB208_17
; %bb.16:                               ;   in Loop: Header=BB208_15 Depth=1
	s_wait_kmcnt 0x0
	v_dual_mov_b32 v2, 0xff7fffff :: v_dual_add_nc_u32 v1, s8, v12
	ds_store_b32 v1, v2
.LBB208_17:                             ;   in Loop: Header=BB208_15 Depth=1
	s_and_not1_saveexec_b32 s2, s1
	s_cbranch_execz .LBB208_14
; %bb.18:                               ;   in Loop: Header=BB208_15 Depth=1
	s_clause 0x2
	scratch_store_b64 off, v[0:1], s32 offset:708
	scratch_store_b32 off, v8, s32 offset:704
	scratch_load_b64 v[0:1], off, s32 offset:212
	v_mov_b64_e32 v[124:125], 0
	s_mov_b32 s14, exec_lo
	s_wait_loadcnt 0x0
	flat_load_b32 v1, v[0:1]
	s_clause 0x1
	scratch_load_b64 v[2:3], off, s32 offset:684
	scratch_load_b64 v[4:5], off, s32 offset:996
	s_wait_loadcnt_dscnt 0x0
	v_mad_nc_i64_i32 v[36:37], v1, v2, v[4:5]
	v_mov_b64_e32 v[4:5], 0
	flat_load_b32 v1, v[36:37]
	s_clause 0x1
	scratch_load_b64 v[2:3], off, s32 offset:756
	scratch_store_b64 off, v[4:5], s32 offset:252
	s_wait_loadcnt 0x0
	flat_load_b32 v72, v[2:3]
	s_wait_dscnt 0x1
	s_wait_xcnt 0x0
	v_and_b32_e32 v2, 0xff, v1
	s_delay_alu instid0(VALU_DEP_1)
	v_cmpx_ne_u16_e32 0, v2
	s_cbranch_execz .LBB208_26
; %bb.19:                               ;   in Loop: Header=BB208_15 Depth=1
	v_cmp_ne_u16_e64 s1, 0x80, v2
	v_mov_b64_e32 v[2:3], 0x80000000
	scratch_store_b64 off, v[2:3], s32 offset:252 ; 8-byte Folded Spill
	s_wait_xcnt 0x0
	s_and_saveexec_b32 s15, s1
	s_cbranch_execz .LBB208_25
; %bb.20:                               ;   in Loop: Header=BB208_15 Depth=1
	v_mov_b64_e32 v[4:5], 0x7f800001
	v_and_b32_e32 v3, 0x7f, v1
	s_mov_b32 s16, exec_lo
	scratch_store_b64 off, v[4:5], s32 offset:252 ; 8-byte Folded Spill
	s_wait_xcnt 0x0
	v_cmpx_ne_u32_e32 0x7f, v3
	s_cbranch_execz .LBB208_24
; %bb.21:                               ;   in Loop: Header=BB208_15 Depth=1
	v_dual_lshrrev_b32 v2, 3, v3 :: v_dual_bitop2_b32 v88, 7, v1 bitop3:0x40
	s_mov_b32 s17, exec_lo
	v_cmpx_gt_u32_e32 8, v3
; %bb.22:                               ;   in Loop: Header=BB208_15 Depth=1
	s_delay_alu instid0(VALU_DEP_2) | instskip(NEXT) | instid1(VALU_DEP_1)
	v_clz_i32_u32_e32 v2, v88
	v_min_u32_e32 v2, 32, v2
	s_delay_alu instid0(VALU_DEP_1) | instskip(NEXT) | instid1(VALU_DEP_1)
	v_subrev_nc_u32_e32 v3, 28, v2
	v_lshlrev_b64_e32 v[4:5], v3, v[88:89]
	s_delay_alu instid0(VALU_DEP_1)
	v_dual_sub_nc_u32 v2, 29, v2 :: v_dual_bitop2_b32 v88, 7, v4 bitop3:0x40
; %bb.23:                               ;   in Loop: Header=BB208_15 Depth=1
	s_or_b32 exec_lo, exec_lo, s17
	s_delay_alu instid0(VALU_DEP_1) | instskip(NEXT) | instid1(VALU_DEP_2)
	v_dual_lshlrev_b32 v3, 24, v1 :: v_dual_lshlrev_b32 v4, 20, v88
	v_lshl_add_u32 v2, v2, 23, 0x3c000000
	s_delay_alu instid0(VALU_DEP_2) | instskip(NEXT) | instid1(VALU_DEP_1)
	v_and_b32_e32 v3, 0x80000000, v3
	v_or3_b32 v88, v4, v3, v2
	scratch_store_b64 off, v[88:89], s32 offset:252 ; 8-byte Folded Spill
.LBB208_24:                             ;   in Loop: Header=BB208_15 Depth=1
	s_wait_xcnt 0x0
	s_or_b32 exec_lo, exec_lo, s16
.LBB208_25:                             ;   in Loop: Header=BB208_15 Depth=1
	s_delay_alu instid0(SALU_CYCLE_1)
	s_or_b32 exec_lo, exec_lo, s15
.LBB208_26:                             ;   in Loop: Header=BB208_15 Depth=1
	s_delay_alu instid0(SALU_CYCLE_1) | instskip(SKIP_2) | instid1(VALU_DEP_1)
	s_or_b32 exec_lo, exec_lo, s14
	v_lshrrev_b16 v2, 8, v1
	s_mov_b32 s14, exec_lo
	v_cmpx_ne_u16_e32 0, v2
	s_cbranch_execz .LBB208_34
; %bb.27:                               ;   in Loop: Header=BB208_15 Depth=1
	v_mov_b64_e32 v[124:125], 0x8000000000000000
	s_mov_b32 s15, exec_lo
	v_cmpx_ne_u16_e32 0x80, v2
	s_cbranch_execz .LBB208_33
; %bb.28:                               ;   in Loop: Header=BB208_15 Depth=1
	v_and_b32_e32 v2, 0xffff, v2
	v_mov_b64_e32 v[124:125], 0x7f80000100000000
	s_mov_b32 s16, exec_lo
	s_delay_alu instid0(VALU_DEP_2) | instskip(NEXT) | instid1(VALU_DEP_1)
	v_and_b32_e32 v3, 0x7f, v2
	v_cmpx_ne_u32_e32 0x7f, v3
	s_cbranch_execz .LBB208_32
; %bb.29:                               ;   in Loop: Header=BB208_15 Depth=1
	v_dual_lshrrev_b32 v2, 3, v3 :: v_dual_bitop2_b32 v88, 7, v2 bitop3:0x40
	s_mov_b32 s17, exec_lo
	v_cmpx_gt_u32_e32 8, v3
; %bb.30:                               ;   in Loop: Header=BB208_15 Depth=1
	s_delay_alu instid0(VALU_DEP_2) | instskip(NEXT) | instid1(VALU_DEP_1)
	v_clz_i32_u32_e32 v2, v88
	v_min_u32_e32 v2, 32, v2
	s_delay_alu instid0(VALU_DEP_1) | instskip(NEXT) | instid1(VALU_DEP_1)
	v_subrev_nc_u32_e32 v3, 28, v2
	v_lshlrev_b64_e32 v[4:5], v3, v[88:89]
	s_delay_alu instid0(VALU_DEP_1)
	v_dual_sub_nc_u32 v2, 29, v2 :: v_dual_bitop2_b32 v88, 7, v4 bitop3:0x40
; %bb.31:                               ;   in Loop: Header=BB208_15 Depth=1
	s_or_b32 exec_lo, exec_lo, s17
	s_delay_alu instid0(VALU_DEP_1) | instskip(NEXT) | instid1(VALU_DEP_2)
	v_dual_lshlrev_b32 v3, 16, v1 :: v_dual_lshlrev_b32 v4, 20, v88
	v_lshl_add_u32 v2, v2, 23, 0x3c000000
	v_mov_b32_e32 v124, v89
	s_delay_alu instid0(VALU_DEP_3) | instskip(NEXT) | instid1(VALU_DEP_1)
	v_and_b32_e32 v3, 0x80000000, v3
	v_or3_b32 v125, v4, v3, v2
.LBB208_32:                             ;   in Loop: Header=BB208_15 Depth=1
	s_or_b32 exec_lo, exec_lo, s16
.LBB208_33:                             ;   in Loop: Header=BB208_15 Depth=1
	s_delay_alu instid0(SALU_CYCLE_1)
	s_or_b32 exec_lo, exec_lo, s15
.LBB208_34:                             ;   in Loop: Header=BB208_15 Depth=1
	s_delay_alu instid0(SALU_CYCLE_1) | instskip(SKIP_3) | instid1(VALU_DEP_1)
	s_or_b32 exec_lo, exec_lo, s14
	v_mov_b64_e32 v[4:5], 0
	v_lshrrev_b32_e32 v2, 16, v1
	s_mov_b32 s14, exec_lo
	v_and_b32_e32 v3, 0xff, v2
	scratch_store_b64 off, v[4:5], s32 offset:580 ; 8-byte Folded Spill
	s_wait_xcnt 0x0
	v_mov_b64_e32 v[4:5], 0
	scratch_store_b64 off, v[4:5], s32 offset:260 ; 8-byte Folded Spill
	s_wait_xcnt 0x0
	v_cmpx_ne_u16_e32 0, v3
	s_cbranch_execz .LBB208_42
; %bb.35:                               ;   in Loop: Header=BB208_15 Depth=1
	v_mov_b64_e32 v[4:5], 0x80000000
	s_mov_b32 s15, exec_lo
	scratch_store_b64 off, v[4:5], s32 offset:260 ; 8-byte Folded Spill
	s_wait_xcnt 0x0
	v_cmpx_ne_u16_e32 0x80, v3
	s_cbranch_execz .LBB208_41
; %bb.36:                               ;   in Loop: Header=BB208_15 Depth=1
	v_mov_b64_e32 v[6:7], 0x7f800001
	v_bfe_u32 v4, v1, 16, 7
	s_mov_b32 s16, exec_lo
	scratch_store_b64 off, v[6:7], s32 offset:260 ; 8-byte Folded Spill
	s_wait_xcnt 0x0
	v_cmpx_ne_u32_e32 0x7f, v4
	s_cbranch_execz .LBB208_40
; %bb.37:                               ;   in Loop: Header=BB208_15 Depth=1
	v_dual_lshrrev_b32 v3, 3, v4 :: v_dual_bitop2_b32 v88, 7, v2 bitop3:0x40
	s_mov_b32 s17, exec_lo
	v_cmpx_gt_u32_e32 8, v4
; %bb.38:                               ;   in Loop: Header=BB208_15 Depth=1
	s_delay_alu instid0(VALU_DEP_2) | instskip(NEXT) | instid1(VALU_DEP_1)
	v_clz_i32_u32_e32 v3, v88
	v_min_u32_e32 v3, 32, v3
	s_delay_alu instid0(VALU_DEP_1) | instskip(NEXT) | instid1(VALU_DEP_1)
	v_subrev_nc_u32_e32 v4, 28, v3
	v_lshlrev_b64_e32 v[4:5], v4, v[88:89]
	s_delay_alu instid0(VALU_DEP_1)
	v_dual_sub_nc_u32 v3, 29, v3 :: v_dual_bitop2_b32 v88, 7, v4 bitop3:0x40
; %bb.39:                               ;   in Loop: Header=BB208_15 Depth=1
	s_or_b32 exec_lo, exec_lo, s17
	s_delay_alu instid0(VALU_DEP_1) | instskip(NEXT) | instid1(VALU_DEP_2)
	v_dual_lshlrev_b32 v2, 24, v2 :: v_dual_lshlrev_b32 v4, 20, v88
	v_lshl_add_u32 v3, v3, 23, 0x3c000000
	s_delay_alu instid0(VALU_DEP_2) | instskip(NEXT) | instid1(VALU_DEP_1)
	v_and_b32_e32 v2, 0x80000000, v2
	v_or3_b32 v88, v4, v2, v3
	scratch_store_b64 off, v[88:89], s32 offset:260 ; 8-byte Folded Spill
.LBB208_40:                             ;   in Loop: Header=BB208_15 Depth=1
	s_wait_xcnt 0x0
	s_or_b32 exec_lo, exec_lo, s16
.LBB208_41:                             ;   in Loop: Header=BB208_15 Depth=1
	s_delay_alu instid0(SALU_CYCLE_1)
	s_or_b32 exec_lo, exec_lo, s15
.LBB208_42:                             ;   in Loop: Header=BB208_15 Depth=1
	s_delay_alu instid0(SALU_CYCLE_1) | instskip(NEXT) | instid1(SALU_CYCLE_1)
	s_or_b32 exec_lo, exec_lo, s14
	s_mov_b32 s14, exec_lo
	v_cmpx_lt_u32_e32 0xffffff, v1
	s_cbranch_execz .LBB208_50
; %bb.43:                               ;   in Loop: Header=BB208_15 Depth=1
	v_mov_b64_e32 v[4:5], 0x8000000000000000
	v_lshrrev_b32_e32 v2, 24, v1
	s_mov_b32 s15, exec_lo
	scratch_store_b64 off, v[4:5], s32 offset:580 ; 8-byte Folded Spill
	s_wait_xcnt 0x0
	v_cmpx_ne_u32_e32 0x80, v2
	s_cbranch_execz .LBB208_49
; %bb.44:                               ;   in Loop: Header=BB208_15 Depth=1
	v_bfe_u32 v3, v1, 24, 7
	v_mov_b64_e32 v[0:1], 0x7f80000100000000
	s_mov_b32 s16, exec_lo
	s_delay_alu instid0(VALU_DEP_2)
	v_cmpx_ne_u32_e32 0x7f, v3
	s_cbranch_execz .LBB208_48
; %bb.45:                               ;   in Loop: Header=BB208_15 Depth=1
	v_dual_lshrrev_b32 v1, 3, v3 :: v_dual_bitop2_b32 v88, 7, v2 bitop3:0x40
	s_mov_b32 s17, exec_lo
	v_cmpx_gt_u32_e32 8, v3
; %bb.46:                               ;   in Loop: Header=BB208_15 Depth=1
	s_delay_alu instid0(VALU_DEP_2) | instskip(NEXT) | instid1(VALU_DEP_1)
	v_clz_i32_u32_e32 v1, v88
	v_min_u32_e32 v1, 32, v1
	s_delay_alu instid0(VALU_DEP_1) | instskip(NEXT) | instid1(VALU_DEP_1)
	v_subrev_nc_u32_e32 v3, 28, v1
	v_lshlrev_b64_e32 v[4:5], v3, v[88:89]
	s_delay_alu instid0(VALU_DEP_1)
	v_dual_sub_nc_u32 v1, 29, v1 :: v_dual_bitop2_b32 v88, 7, v4 bitop3:0x40
; %bb.47:                               ;   in Loop: Header=BB208_15 Depth=1
	s_or_b32 exec_lo, exec_lo, s17
	s_delay_alu instid0(VALU_DEP_1) | instskip(NEXT) | instid1(VALU_DEP_2)
	v_dual_lshlrev_b32 v2, 24, v2 :: v_dual_lshlrev_b32 v3, 20, v88
	v_lshl_add_u32 v1, v1, 23, 0x3c000000
	v_mov_b32_e32 v0, v89
	s_delay_alu instid0(VALU_DEP_3) | instskip(NEXT) | instid1(VALU_DEP_1)
	v_and_b32_e32 v2, 0x80000000, v2
	v_or3_b32 v1, v3, v2, v1
.LBB208_48:                             ;   in Loop: Header=BB208_15 Depth=1
	s_or_b32 exec_lo, exec_lo, s16
	scratch_store_b64 off, v[0:1], s32 offset:580 ; 8-byte Folded Spill
.LBB208_49:                             ;   in Loop: Header=BB208_15 Depth=1
	s_wait_xcnt 0x0
	s_or_b32 exec_lo, exec_lo, s15
.LBB208_50:                             ;   in Loop: Header=BB208_15 Depth=1
	s_delay_alu instid0(SALU_CYCLE_1)
	s_or_b32 exec_lo, exec_lo, s14
	flat_load_b32 v1, v[36:37] offset:4
	v_mov_b64_e32 v[4:5], 0
	s_mov_b32 s14, exec_lo
	scratch_store_b64 off, v[4:5], s32 offset:268 ; 8-byte Folded Spill
	s_wait_xcnt 0x0
	v_mov_b64_e32 v[4:5], 0
	scratch_store_b64 off, v[4:5], s32 offset:276 ; 8-byte Folded Spill
	s_wait_loadcnt_dscnt 0x0
	v_and_b32_e32 v2, 0xff, v1
	s_wait_xcnt 0x0
	s_delay_alu instid0(VALU_DEP_1)
	v_cmpx_ne_u16_e32 0, v2
	s_cbranch_execz .LBB208_58
; %bb.51:                               ;   in Loop: Header=BB208_15 Depth=1
	v_cmp_ne_u16_e64 s1, 0x80, v2
	v_mov_b64_e32 v[2:3], 0x80000000
	scratch_store_b64 off, v[2:3], s32 offset:276 ; 8-byte Folded Spill
	s_wait_xcnt 0x0
	s_and_saveexec_b32 s15, s1
	s_cbranch_execz .LBB208_57
; %bb.52:                               ;   in Loop: Header=BB208_15 Depth=1
	v_mov_b64_e32 v[4:5], 0x7f800001
	v_and_b32_e32 v3, 0x7f, v1
	s_mov_b32 s16, exec_lo
	scratch_store_b64 off, v[4:5], s32 offset:276 ; 8-byte Folded Spill
	s_wait_xcnt 0x0
	v_cmpx_ne_u32_e32 0x7f, v3
	s_cbranch_execz .LBB208_56
; %bb.53:                               ;   in Loop: Header=BB208_15 Depth=1
	v_dual_lshrrev_b32 v2, 3, v3 :: v_dual_bitop2_b32 v88, 7, v1 bitop3:0x40
	s_mov_b32 s17, exec_lo
	v_cmpx_gt_u32_e32 8, v3
; %bb.54:                               ;   in Loop: Header=BB208_15 Depth=1
	s_delay_alu instid0(VALU_DEP_2) | instskip(NEXT) | instid1(VALU_DEP_1)
	v_clz_i32_u32_e32 v2, v88
	v_min_u32_e32 v2, 32, v2
	s_delay_alu instid0(VALU_DEP_1) | instskip(NEXT) | instid1(VALU_DEP_1)
	v_subrev_nc_u32_e32 v3, 28, v2
	v_lshlrev_b64_e32 v[4:5], v3, v[88:89]
	s_delay_alu instid0(VALU_DEP_1)
	v_dual_sub_nc_u32 v2, 29, v2 :: v_dual_bitop2_b32 v88, 7, v4 bitop3:0x40
; %bb.55:                               ;   in Loop: Header=BB208_15 Depth=1
	s_or_b32 exec_lo, exec_lo, s17
	s_delay_alu instid0(VALU_DEP_1) | instskip(NEXT) | instid1(VALU_DEP_2)
	v_dual_lshlrev_b32 v3, 24, v1 :: v_dual_lshlrev_b32 v4, 20, v88
	v_lshl_add_u32 v2, v2, 23, 0x3c000000
	s_delay_alu instid0(VALU_DEP_2) | instskip(NEXT) | instid1(VALU_DEP_1)
	v_and_b32_e32 v3, 0x80000000, v3
	v_or3_b32 v88, v4, v3, v2
	scratch_store_b64 off, v[88:89], s32 offset:276 ; 8-byte Folded Spill
.LBB208_56:                             ;   in Loop: Header=BB208_15 Depth=1
	s_wait_xcnt 0x0
	s_or_b32 exec_lo, exec_lo, s16
.LBB208_57:                             ;   in Loop: Header=BB208_15 Depth=1
	s_delay_alu instid0(SALU_CYCLE_1)
	s_or_b32 exec_lo, exec_lo, s15
.LBB208_58:                             ;   in Loop: Header=BB208_15 Depth=1
	s_delay_alu instid0(SALU_CYCLE_1) | instskip(SKIP_2) | instid1(VALU_DEP_1)
	s_or_b32 exec_lo, exec_lo, s14
	v_lshrrev_b16 v2, 8, v1
	s_mov_b32 s14, exec_lo
	v_cmpx_ne_u16_e32 0, v2
	s_cbranch_execz .LBB208_66
; %bb.59:                               ;   in Loop: Header=BB208_15 Depth=1
	v_mov_b64_e32 v[4:5], 0x8000000000000000
	s_mov_b32 s15, exec_lo
	scratch_store_b64 off, v[4:5], s32 offset:268 ; 8-byte Folded Spill
	s_wait_xcnt 0x0
	v_cmpx_ne_u16_e32 0x80, v2
	s_cbranch_execz .LBB208_65
; %bb.60:                               ;   in Loop: Header=BB208_15 Depth=1
	v_and_b32_e32 v2, 0xffff, v2
	v_mov_b64_e32 v[4:5], 0x7f80000100000000
	s_mov_b32 s16, exec_lo
	s_delay_alu instid0(VALU_DEP_2)
	v_and_b32_e32 v3, 0x7f, v2
	scratch_store_b64 off, v[4:5], s32 offset:268 ; 8-byte Folded Spill
	s_wait_xcnt 0x0
	v_cmpx_ne_u32_e32 0x7f, v3
	s_cbranch_execz .LBB208_64
; %bb.61:                               ;   in Loop: Header=BB208_15 Depth=1
	v_dual_lshrrev_b32 v2, 3, v3 :: v_dual_bitop2_b32 v88, 7, v2 bitop3:0x40
	s_mov_b32 s17, exec_lo
	v_cmpx_gt_u32_e32 8, v3
; %bb.62:                               ;   in Loop: Header=BB208_15 Depth=1
	s_delay_alu instid0(VALU_DEP_2) | instskip(NEXT) | instid1(VALU_DEP_1)
	v_clz_i32_u32_e32 v2, v88
	v_min_u32_e32 v2, 32, v2
	s_delay_alu instid0(VALU_DEP_1) | instskip(NEXT) | instid1(VALU_DEP_1)
	v_subrev_nc_u32_e32 v3, 28, v2
	v_lshlrev_b64_e32 v[4:5], v3, v[88:89]
	s_delay_alu instid0(VALU_DEP_1)
	v_dual_sub_nc_u32 v2, 29, v2 :: v_dual_bitop2_b32 v88, 7, v4 bitop3:0x40
; %bb.63:                               ;   in Loop: Header=BB208_15 Depth=1
	s_or_b32 exec_lo, exec_lo, s17
	s_delay_alu instid0(VALU_DEP_1) | instskip(NEXT) | instid1(VALU_DEP_2)
	v_dual_lshlrev_b32 v3, 16, v1 :: v_dual_lshlrev_b32 v4, 20, v88
	v_lshl_add_u32 v2, v2, 23, 0x3c000000
	s_delay_alu instid0(VALU_DEP_2) | instskip(NEXT) | instid1(VALU_DEP_1)
	v_and_b32_e32 v3, 0x80000000, v3
	v_or3_b32 v3, v4, v3, v2
	v_mov_b32_e32 v2, v89
	scratch_store_b64 off, v[2:3], s32 offset:268 ; 8-byte Folded Spill
.LBB208_64:                             ;   in Loop: Header=BB208_15 Depth=1
	s_wait_xcnt 0x0
	s_or_b32 exec_lo, exec_lo, s16
.LBB208_65:                             ;   in Loop: Header=BB208_15 Depth=1
	s_delay_alu instid0(SALU_CYCLE_1)
	s_or_b32 exec_lo, exec_lo, s15
.LBB208_66:                             ;   in Loop: Header=BB208_15 Depth=1
	s_delay_alu instid0(SALU_CYCLE_1) | instskip(SKIP_3) | instid1(VALU_DEP_1)
	s_or_b32 exec_lo, exec_lo, s14
	v_mov_b64_e32 v[4:5], 0
	v_lshrrev_b32_e32 v2, 16, v1
	s_mov_b32 s14, exec_lo
	v_and_b32_e32 v3, 0xff, v2
	scratch_store_b64 off, v[4:5], s32 offset:588 ; 8-byte Folded Spill
	s_wait_xcnt 0x0
	v_mov_b64_e32 v[4:5], 0
	scratch_store_b64 off, v[4:5], s32 offset:284 ; 8-byte Folded Spill
	s_wait_xcnt 0x0
	v_cmpx_ne_u16_e32 0, v3
	s_cbranch_execz .LBB208_74
; %bb.67:                               ;   in Loop: Header=BB208_15 Depth=1
	v_mov_b64_e32 v[4:5], 0x80000000
	s_mov_b32 s15, exec_lo
	scratch_store_b64 off, v[4:5], s32 offset:284 ; 8-byte Folded Spill
	s_wait_xcnt 0x0
	v_cmpx_ne_u16_e32 0x80, v3
	s_cbranch_execz .LBB208_73
; %bb.68:                               ;   in Loop: Header=BB208_15 Depth=1
	v_mov_b64_e32 v[6:7], 0x7f800001
	v_bfe_u32 v4, v1, 16, 7
	s_mov_b32 s16, exec_lo
	scratch_store_b64 off, v[6:7], s32 offset:284 ; 8-byte Folded Spill
	s_wait_xcnt 0x0
	v_cmpx_ne_u32_e32 0x7f, v4
	s_cbranch_execz .LBB208_72
; %bb.69:                               ;   in Loop: Header=BB208_15 Depth=1
	v_dual_lshrrev_b32 v3, 3, v4 :: v_dual_bitop2_b32 v88, 7, v2 bitop3:0x40
	s_mov_b32 s17, exec_lo
	v_cmpx_gt_u32_e32 8, v4
; %bb.70:                               ;   in Loop: Header=BB208_15 Depth=1
	s_delay_alu instid0(VALU_DEP_2) | instskip(NEXT) | instid1(VALU_DEP_1)
	v_clz_i32_u32_e32 v3, v88
	v_min_u32_e32 v3, 32, v3
	s_delay_alu instid0(VALU_DEP_1) | instskip(NEXT) | instid1(VALU_DEP_1)
	v_subrev_nc_u32_e32 v4, 28, v3
	v_lshlrev_b64_e32 v[4:5], v4, v[88:89]
	s_delay_alu instid0(VALU_DEP_1)
	v_dual_sub_nc_u32 v3, 29, v3 :: v_dual_bitop2_b32 v88, 7, v4 bitop3:0x40
; %bb.71:                               ;   in Loop: Header=BB208_15 Depth=1
	s_or_b32 exec_lo, exec_lo, s17
	s_delay_alu instid0(VALU_DEP_1) | instskip(NEXT) | instid1(VALU_DEP_2)
	v_dual_lshlrev_b32 v2, 24, v2 :: v_dual_lshlrev_b32 v4, 20, v88
	v_lshl_add_u32 v3, v3, 23, 0x3c000000
	s_delay_alu instid0(VALU_DEP_2) | instskip(NEXT) | instid1(VALU_DEP_1)
	v_and_b32_e32 v2, 0x80000000, v2
	v_or3_b32 v88, v4, v2, v3
	scratch_store_b64 off, v[88:89], s32 offset:284 ; 8-byte Folded Spill
.LBB208_72:                             ;   in Loop: Header=BB208_15 Depth=1
	s_wait_xcnt 0x0
	s_or_b32 exec_lo, exec_lo, s16
.LBB208_73:                             ;   in Loop: Header=BB208_15 Depth=1
	s_delay_alu instid0(SALU_CYCLE_1)
	s_or_b32 exec_lo, exec_lo, s15
.LBB208_74:                             ;   in Loop: Header=BB208_15 Depth=1
	s_delay_alu instid0(SALU_CYCLE_1) | instskip(NEXT) | instid1(SALU_CYCLE_1)
	s_or_b32 exec_lo, exec_lo, s14
	s_mov_b32 s14, exec_lo
	v_cmpx_lt_u32_e32 0xffffff, v1
	s_cbranch_execz .LBB208_82
; %bb.75:                               ;   in Loop: Header=BB208_15 Depth=1
	v_mov_b64_e32 v[4:5], 0x8000000000000000
	v_lshrrev_b32_e32 v2, 24, v1
	s_mov_b32 s15, exec_lo
	scratch_store_b64 off, v[4:5], s32 offset:588 ; 8-byte Folded Spill
	s_wait_xcnt 0x0
	v_cmpx_ne_u32_e32 0x80, v2
	s_cbranch_execz .LBB208_81
; %bb.76:                               ;   in Loop: Header=BB208_15 Depth=1
	v_bfe_u32 v3, v1, 24, 7
	v_mov_b64_e32 v[0:1], 0x7f80000100000000
	s_mov_b32 s16, exec_lo
	s_delay_alu instid0(VALU_DEP_2)
	v_cmpx_ne_u32_e32 0x7f, v3
	s_cbranch_execz .LBB208_80
; %bb.77:                               ;   in Loop: Header=BB208_15 Depth=1
	v_dual_lshrrev_b32 v1, 3, v3 :: v_dual_bitop2_b32 v88, 7, v2 bitop3:0x40
	s_mov_b32 s17, exec_lo
	v_cmpx_gt_u32_e32 8, v3
; %bb.78:                               ;   in Loop: Header=BB208_15 Depth=1
	s_delay_alu instid0(VALU_DEP_2) | instskip(NEXT) | instid1(VALU_DEP_1)
	v_clz_i32_u32_e32 v1, v88
	v_min_u32_e32 v1, 32, v1
	s_delay_alu instid0(VALU_DEP_1) | instskip(NEXT) | instid1(VALU_DEP_1)
	v_subrev_nc_u32_e32 v3, 28, v1
	v_lshlrev_b64_e32 v[4:5], v3, v[88:89]
	s_delay_alu instid0(VALU_DEP_1)
	v_dual_sub_nc_u32 v1, 29, v1 :: v_dual_bitop2_b32 v88, 7, v4 bitop3:0x40
; %bb.79:                               ;   in Loop: Header=BB208_15 Depth=1
	s_or_b32 exec_lo, exec_lo, s17
	s_delay_alu instid0(VALU_DEP_1) | instskip(NEXT) | instid1(VALU_DEP_2)
	v_dual_lshlrev_b32 v2, 24, v2 :: v_dual_lshlrev_b32 v3, 20, v88
	v_lshl_add_u32 v1, v1, 23, 0x3c000000
	v_mov_b32_e32 v0, v89
	s_delay_alu instid0(VALU_DEP_3) | instskip(NEXT) | instid1(VALU_DEP_1)
	v_and_b32_e32 v2, 0x80000000, v2
	v_or3_b32 v1, v3, v2, v1
.LBB208_80:                             ;   in Loop: Header=BB208_15 Depth=1
	s_or_b32 exec_lo, exec_lo, s16
	scratch_store_b64 off, v[0:1], s32 offset:588 ; 8-byte Folded Spill
.LBB208_81:                             ;   in Loop: Header=BB208_15 Depth=1
	s_wait_xcnt 0x0
	s_or_b32 exec_lo, exec_lo, s15
.LBB208_82:                             ;   in Loop: Header=BB208_15 Depth=1
	s_delay_alu instid0(SALU_CYCLE_1)
	s_or_b32 exec_lo, exec_lo, s14
	flat_load_b32 v1, v[36:37] offset:8
	v_mov_b64_e32 v[4:5], 0
	s_mov_b32 s14, exec_lo
	scratch_store_b64 off, v[4:5], s32 offset:292 ; 8-byte Folded Spill
	s_wait_xcnt 0x0
	v_mov_b64_e32 v[4:5], 0
	scratch_store_b64 off, v[4:5], s32 offset:300 ; 8-byte Folded Spill
	s_wait_loadcnt_dscnt 0x0
	v_and_b32_e32 v2, 0xff, v1
	s_wait_xcnt 0x0
	s_delay_alu instid0(VALU_DEP_1)
	v_cmpx_ne_u16_e32 0, v2
	s_cbranch_execz .LBB208_90
; %bb.83:                               ;   in Loop: Header=BB208_15 Depth=1
	v_cmp_ne_u16_e64 s1, 0x80, v2
	v_mov_b64_e32 v[2:3], 0x80000000
	scratch_store_b64 off, v[2:3], s32 offset:300 ; 8-byte Folded Spill
	s_wait_xcnt 0x0
	s_and_saveexec_b32 s15, s1
	s_cbranch_execz .LBB208_89
; %bb.84:                               ;   in Loop: Header=BB208_15 Depth=1
	v_mov_b64_e32 v[4:5], 0x7f800001
	v_and_b32_e32 v3, 0x7f, v1
	s_mov_b32 s16, exec_lo
	scratch_store_b64 off, v[4:5], s32 offset:300 ; 8-byte Folded Spill
	s_wait_xcnt 0x0
	v_cmpx_ne_u32_e32 0x7f, v3
	s_cbranch_execz .LBB208_88
; %bb.85:                               ;   in Loop: Header=BB208_15 Depth=1
	v_dual_lshrrev_b32 v2, 3, v3 :: v_dual_bitop2_b32 v88, 7, v1 bitop3:0x40
	s_mov_b32 s17, exec_lo
	v_cmpx_gt_u32_e32 8, v3
; %bb.86:                               ;   in Loop: Header=BB208_15 Depth=1
	s_delay_alu instid0(VALU_DEP_2) | instskip(NEXT) | instid1(VALU_DEP_1)
	v_clz_i32_u32_e32 v2, v88
	v_min_u32_e32 v2, 32, v2
	s_delay_alu instid0(VALU_DEP_1) | instskip(NEXT) | instid1(VALU_DEP_1)
	v_subrev_nc_u32_e32 v3, 28, v2
	v_lshlrev_b64_e32 v[4:5], v3, v[88:89]
	s_delay_alu instid0(VALU_DEP_1)
	v_dual_sub_nc_u32 v2, 29, v2 :: v_dual_bitop2_b32 v88, 7, v4 bitop3:0x40
; %bb.87:                               ;   in Loop: Header=BB208_15 Depth=1
	s_or_b32 exec_lo, exec_lo, s17
	s_delay_alu instid0(VALU_DEP_1) | instskip(NEXT) | instid1(VALU_DEP_2)
	v_dual_lshlrev_b32 v3, 24, v1 :: v_dual_lshlrev_b32 v4, 20, v88
	v_lshl_add_u32 v2, v2, 23, 0x3c000000
	s_delay_alu instid0(VALU_DEP_2) | instskip(NEXT) | instid1(VALU_DEP_1)
	v_and_b32_e32 v3, 0x80000000, v3
	v_or3_b32 v88, v4, v3, v2
	scratch_store_b64 off, v[88:89], s32 offset:300 ; 8-byte Folded Spill
.LBB208_88:                             ;   in Loop: Header=BB208_15 Depth=1
	s_wait_xcnt 0x0
	s_or_b32 exec_lo, exec_lo, s16
.LBB208_89:                             ;   in Loop: Header=BB208_15 Depth=1
	s_delay_alu instid0(SALU_CYCLE_1)
	s_or_b32 exec_lo, exec_lo, s15
.LBB208_90:                             ;   in Loop: Header=BB208_15 Depth=1
	s_delay_alu instid0(SALU_CYCLE_1) | instskip(SKIP_2) | instid1(VALU_DEP_1)
	s_or_b32 exec_lo, exec_lo, s14
	v_lshrrev_b16 v2, 8, v1
	s_mov_b32 s14, exec_lo
	v_cmpx_ne_u16_e32 0, v2
	s_cbranch_execz .LBB208_98
; %bb.91:                               ;   in Loop: Header=BB208_15 Depth=1
	v_mov_b64_e32 v[4:5], 0x8000000000000000
	s_mov_b32 s15, exec_lo
	scratch_store_b64 off, v[4:5], s32 offset:292 ; 8-byte Folded Spill
	s_wait_xcnt 0x0
	v_cmpx_ne_u16_e32 0x80, v2
	s_cbranch_execz .LBB208_97
; %bb.92:                               ;   in Loop: Header=BB208_15 Depth=1
	v_and_b32_e32 v2, 0xffff, v2
	v_mov_b64_e32 v[4:5], 0x7f80000100000000
	s_mov_b32 s16, exec_lo
	s_delay_alu instid0(VALU_DEP_2)
	v_and_b32_e32 v3, 0x7f, v2
	scratch_store_b64 off, v[4:5], s32 offset:292 ; 8-byte Folded Spill
	s_wait_xcnt 0x0
	v_cmpx_ne_u32_e32 0x7f, v3
	s_cbranch_execz .LBB208_96
; %bb.93:                               ;   in Loop: Header=BB208_15 Depth=1
	v_dual_lshrrev_b32 v2, 3, v3 :: v_dual_bitop2_b32 v88, 7, v2 bitop3:0x40
	s_mov_b32 s17, exec_lo
	v_cmpx_gt_u32_e32 8, v3
; %bb.94:                               ;   in Loop: Header=BB208_15 Depth=1
	s_delay_alu instid0(VALU_DEP_2) | instskip(NEXT) | instid1(VALU_DEP_1)
	v_clz_i32_u32_e32 v2, v88
	v_min_u32_e32 v2, 32, v2
	s_delay_alu instid0(VALU_DEP_1) | instskip(NEXT) | instid1(VALU_DEP_1)
	v_subrev_nc_u32_e32 v3, 28, v2
	v_lshlrev_b64_e32 v[4:5], v3, v[88:89]
	s_delay_alu instid0(VALU_DEP_1)
	v_dual_sub_nc_u32 v2, 29, v2 :: v_dual_bitop2_b32 v88, 7, v4 bitop3:0x40
; %bb.95:                               ;   in Loop: Header=BB208_15 Depth=1
	s_or_b32 exec_lo, exec_lo, s17
	s_delay_alu instid0(VALU_DEP_1) | instskip(NEXT) | instid1(VALU_DEP_2)
	v_dual_lshlrev_b32 v3, 16, v1 :: v_dual_lshlrev_b32 v4, 20, v88
	v_lshl_add_u32 v2, v2, 23, 0x3c000000
	s_delay_alu instid0(VALU_DEP_2) | instskip(NEXT) | instid1(VALU_DEP_1)
	v_and_b32_e32 v3, 0x80000000, v3
	v_or3_b32 v3, v4, v3, v2
	v_mov_b32_e32 v2, v89
	scratch_store_b64 off, v[2:3], s32 offset:292 ; 8-byte Folded Spill
.LBB208_96:                             ;   in Loop: Header=BB208_15 Depth=1
	s_wait_xcnt 0x0
	s_or_b32 exec_lo, exec_lo, s16
.LBB208_97:                             ;   in Loop: Header=BB208_15 Depth=1
	s_delay_alu instid0(SALU_CYCLE_1)
	s_or_b32 exec_lo, exec_lo, s15
.LBB208_98:                             ;   in Loop: Header=BB208_15 Depth=1
	s_delay_alu instid0(SALU_CYCLE_1) | instskip(SKIP_3) | instid1(VALU_DEP_1)
	s_or_b32 exec_lo, exec_lo, s14
	v_mov_b64_e32 v[4:5], 0
	v_lshrrev_b32_e32 v2, 16, v1
	s_mov_b32 s14, exec_lo
	v_and_b32_e32 v3, 0xff, v2
	scratch_store_b64 off, v[4:5], s32 offset:596 ; 8-byte Folded Spill
	s_wait_xcnt 0x0
	v_mov_b64_e32 v[4:5], 0
	scratch_store_b64 off, v[4:5], s32 offset:308 ; 8-byte Folded Spill
	s_wait_xcnt 0x0
	v_cmpx_ne_u16_e32 0, v3
	s_cbranch_execz .LBB208_106
; %bb.99:                               ;   in Loop: Header=BB208_15 Depth=1
	v_mov_b64_e32 v[4:5], 0x80000000
	s_mov_b32 s15, exec_lo
	scratch_store_b64 off, v[4:5], s32 offset:308 ; 8-byte Folded Spill
	s_wait_xcnt 0x0
	v_cmpx_ne_u16_e32 0x80, v3
	s_cbranch_execz .LBB208_105
; %bb.100:                              ;   in Loop: Header=BB208_15 Depth=1
	v_mov_b64_e32 v[6:7], 0x7f800001
	v_bfe_u32 v4, v1, 16, 7
	s_mov_b32 s16, exec_lo
	scratch_store_b64 off, v[6:7], s32 offset:308 ; 8-byte Folded Spill
	s_wait_xcnt 0x0
	v_cmpx_ne_u32_e32 0x7f, v4
	s_cbranch_execz .LBB208_104
; %bb.101:                              ;   in Loop: Header=BB208_15 Depth=1
	v_dual_lshrrev_b32 v3, 3, v4 :: v_dual_bitop2_b32 v88, 7, v2 bitop3:0x40
	s_mov_b32 s17, exec_lo
	v_cmpx_gt_u32_e32 8, v4
; %bb.102:                              ;   in Loop: Header=BB208_15 Depth=1
	s_delay_alu instid0(VALU_DEP_2) | instskip(NEXT) | instid1(VALU_DEP_1)
	v_clz_i32_u32_e32 v3, v88
	v_min_u32_e32 v3, 32, v3
	s_delay_alu instid0(VALU_DEP_1) | instskip(NEXT) | instid1(VALU_DEP_1)
	v_subrev_nc_u32_e32 v4, 28, v3
	v_lshlrev_b64_e32 v[4:5], v4, v[88:89]
	s_delay_alu instid0(VALU_DEP_1)
	v_dual_sub_nc_u32 v3, 29, v3 :: v_dual_bitop2_b32 v88, 7, v4 bitop3:0x40
; %bb.103:                              ;   in Loop: Header=BB208_15 Depth=1
	s_or_b32 exec_lo, exec_lo, s17
	s_delay_alu instid0(VALU_DEP_1) | instskip(NEXT) | instid1(VALU_DEP_2)
	v_dual_lshlrev_b32 v2, 24, v2 :: v_dual_lshlrev_b32 v4, 20, v88
	v_lshl_add_u32 v3, v3, 23, 0x3c000000
	s_delay_alu instid0(VALU_DEP_2) | instskip(NEXT) | instid1(VALU_DEP_1)
	v_and_b32_e32 v2, 0x80000000, v2
	v_or3_b32 v88, v4, v2, v3
	scratch_store_b64 off, v[88:89], s32 offset:308 ; 8-byte Folded Spill
.LBB208_104:                            ;   in Loop: Header=BB208_15 Depth=1
	s_wait_xcnt 0x0
	s_or_b32 exec_lo, exec_lo, s16
.LBB208_105:                            ;   in Loop: Header=BB208_15 Depth=1
	s_delay_alu instid0(SALU_CYCLE_1)
	s_or_b32 exec_lo, exec_lo, s15
.LBB208_106:                            ;   in Loop: Header=BB208_15 Depth=1
	s_delay_alu instid0(SALU_CYCLE_1) | instskip(NEXT) | instid1(SALU_CYCLE_1)
	s_or_b32 exec_lo, exec_lo, s14
	s_mov_b32 s14, exec_lo
	v_cmpx_lt_u32_e32 0xffffff, v1
	s_cbranch_execz .LBB208_114
; %bb.107:                              ;   in Loop: Header=BB208_15 Depth=1
	v_mov_b64_e32 v[4:5], 0x8000000000000000
	v_lshrrev_b32_e32 v2, 24, v1
	s_mov_b32 s15, exec_lo
	scratch_store_b64 off, v[4:5], s32 offset:596 ; 8-byte Folded Spill
	s_wait_xcnt 0x0
	v_cmpx_ne_u32_e32 0x80, v2
	s_cbranch_execz .LBB208_113
; %bb.108:                              ;   in Loop: Header=BB208_15 Depth=1
	v_bfe_u32 v3, v1, 24, 7
	v_mov_b64_e32 v[0:1], 0x7f80000100000000
	s_mov_b32 s16, exec_lo
	s_delay_alu instid0(VALU_DEP_2)
	v_cmpx_ne_u32_e32 0x7f, v3
	s_cbranch_execz .LBB208_112
; %bb.109:                              ;   in Loop: Header=BB208_15 Depth=1
	v_dual_lshrrev_b32 v1, 3, v3 :: v_dual_bitop2_b32 v88, 7, v2 bitop3:0x40
	s_mov_b32 s17, exec_lo
	v_cmpx_gt_u32_e32 8, v3
; %bb.110:                              ;   in Loop: Header=BB208_15 Depth=1
	s_delay_alu instid0(VALU_DEP_2) | instskip(NEXT) | instid1(VALU_DEP_1)
	v_clz_i32_u32_e32 v1, v88
	v_min_u32_e32 v1, 32, v1
	s_delay_alu instid0(VALU_DEP_1) | instskip(NEXT) | instid1(VALU_DEP_1)
	v_subrev_nc_u32_e32 v3, 28, v1
	v_lshlrev_b64_e32 v[4:5], v3, v[88:89]
	s_delay_alu instid0(VALU_DEP_1)
	v_dual_sub_nc_u32 v1, 29, v1 :: v_dual_bitop2_b32 v88, 7, v4 bitop3:0x40
; %bb.111:                              ;   in Loop: Header=BB208_15 Depth=1
	s_or_b32 exec_lo, exec_lo, s17
	s_delay_alu instid0(VALU_DEP_1) | instskip(NEXT) | instid1(VALU_DEP_2)
	v_dual_lshlrev_b32 v2, 24, v2 :: v_dual_lshlrev_b32 v3, 20, v88
	v_lshl_add_u32 v1, v1, 23, 0x3c000000
	v_mov_b32_e32 v0, v89
	s_delay_alu instid0(VALU_DEP_3) | instskip(NEXT) | instid1(VALU_DEP_1)
	v_and_b32_e32 v2, 0x80000000, v2
	v_or3_b32 v1, v3, v2, v1
.LBB208_112:                            ;   in Loop: Header=BB208_15 Depth=1
	s_or_b32 exec_lo, exec_lo, s16
	scratch_store_b64 off, v[0:1], s32 offset:596 ; 8-byte Folded Spill
.LBB208_113:                            ;   in Loop: Header=BB208_15 Depth=1
	s_wait_xcnt 0x0
	s_or_b32 exec_lo, exec_lo, s15
.LBB208_114:                            ;   in Loop: Header=BB208_15 Depth=1
	s_delay_alu instid0(SALU_CYCLE_1)
	s_or_b32 exec_lo, exec_lo, s14
	flat_load_b32 v1, v[36:37] offset:12
	v_mov_b64_e32 v[4:5], 0
	s_mov_b32 s14, exec_lo
	scratch_store_b64 off, v[4:5], s32 offset:316 ; 8-byte Folded Spill
	s_wait_xcnt 0x0
	v_mov_b64_e32 v[4:5], 0
	scratch_store_b64 off, v[4:5], s32 offset:324 ; 8-byte Folded Spill
	s_wait_loadcnt_dscnt 0x0
	v_and_b32_e32 v2, 0xff, v1
	s_wait_xcnt 0x0
	s_delay_alu instid0(VALU_DEP_1)
	v_cmpx_ne_u16_e32 0, v2
	s_cbranch_execz .LBB208_122
; %bb.115:                              ;   in Loop: Header=BB208_15 Depth=1
	v_cmp_ne_u16_e64 s1, 0x80, v2
	v_mov_b64_e32 v[2:3], 0x80000000
	scratch_store_b64 off, v[2:3], s32 offset:324 ; 8-byte Folded Spill
	s_wait_xcnt 0x0
	s_and_saveexec_b32 s15, s1
	s_cbranch_execz .LBB208_121
; %bb.116:                              ;   in Loop: Header=BB208_15 Depth=1
	v_mov_b64_e32 v[4:5], 0x7f800001
	v_and_b32_e32 v3, 0x7f, v1
	s_mov_b32 s16, exec_lo
	scratch_store_b64 off, v[4:5], s32 offset:324 ; 8-byte Folded Spill
	s_wait_xcnt 0x0
	v_cmpx_ne_u32_e32 0x7f, v3
	s_cbranch_execz .LBB208_120
; %bb.117:                              ;   in Loop: Header=BB208_15 Depth=1
	v_dual_lshrrev_b32 v2, 3, v3 :: v_dual_bitop2_b32 v88, 7, v1 bitop3:0x40
	s_mov_b32 s17, exec_lo
	v_cmpx_gt_u32_e32 8, v3
; %bb.118:                              ;   in Loop: Header=BB208_15 Depth=1
	s_delay_alu instid0(VALU_DEP_2) | instskip(NEXT) | instid1(VALU_DEP_1)
	v_clz_i32_u32_e32 v2, v88
	v_min_u32_e32 v2, 32, v2
	s_delay_alu instid0(VALU_DEP_1) | instskip(NEXT) | instid1(VALU_DEP_1)
	v_subrev_nc_u32_e32 v3, 28, v2
	v_lshlrev_b64_e32 v[4:5], v3, v[88:89]
	s_delay_alu instid0(VALU_DEP_1)
	v_dual_sub_nc_u32 v2, 29, v2 :: v_dual_bitop2_b32 v88, 7, v4 bitop3:0x40
; %bb.119:                              ;   in Loop: Header=BB208_15 Depth=1
	s_or_b32 exec_lo, exec_lo, s17
	s_delay_alu instid0(VALU_DEP_1) | instskip(NEXT) | instid1(VALU_DEP_2)
	v_dual_lshlrev_b32 v3, 24, v1 :: v_dual_lshlrev_b32 v4, 20, v88
	v_lshl_add_u32 v2, v2, 23, 0x3c000000
	s_delay_alu instid0(VALU_DEP_2) | instskip(NEXT) | instid1(VALU_DEP_1)
	v_and_b32_e32 v3, 0x80000000, v3
	v_or3_b32 v88, v4, v3, v2
	scratch_store_b64 off, v[88:89], s32 offset:324 ; 8-byte Folded Spill
.LBB208_120:                            ;   in Loop: Header=BB208_15 Depth=1
	s_wait_xcnt 0x0
	s_or_b32 exec_lo, exec_lo, s16
.LBB208_121:                            ;   in Loop: Header=BB208_15 Depth=1
	s_delay_alu instid0(SALU_CYCLE_1)
	s_or_b32 exec_lo, exec_lo, s15
.LBB208_122:                            ;   in Loop: Header=BB208_15 Depth=1
	s_delay_alu instid0(SALU_CYCLE_1) | instskip(SKIP_2) | instid1(VALU_DEP_1)
	s_or_b32 exec_lo, exec_lo, s14
	v_lshrrev_b16 v2, 8, v1
	s_mov_b32 s14, exec_lo
	v_cmpx_ne_u16_e32 0, v2
	s_cbranch_execz .LBB208_130
; %bb.123:                              ;   in Loop: Header=BB208_15 Depth=1
	v_mov_b64_e32 v[4:5], 0x8000000000000000
	s_mov_b32 s15, exec_lo
	scratch_store_b64 off, v[4:5], s32 offset:316 ; 8-byte Folded Spill
	s_wait_xcnt 0x0
	v_cmpx_ne_u16_e32 0x80, v2
	s_cbranch_execz .LBB208_129
; %bb.124:                              ;   in Loop: Header=BB208_15 Depth=1
	v_and_b32_e32 v2, 0xffff, v2
	v_mov_b64_e32 v[4:5], 0x7f80000100000000
	s_mov_b32 s16, exec_lo
	s_delay_alu instid0(VALU_DEP_2)
	v_and_b32_e32 v3, 0x7f, v2
	scratch_store_b64 off, v[4:5], s32 offset:316 ; 8-byte Folded Spill
	s_wait_xcnt 0x0
	v_cmpx_ne_u32_e32 0x7f, v3
	s_cbranch_execz .LBB208_128
; %bb.125:                              ;   in Loop: Header=BB208_15 Depth=1
	v_dual_lshrrev_b32 v2, 3, v3 :: v_dual_bitop2_b32 v88, 7, v2 bitop3:0x40
	s_mov_b32 s17, exec_lo
	v_cmpx_gt_u32_e32 8, v3
; %bb.126:                              ;   in Loop: Header=BB208_15 Depth=1
	s_delay_alu instid0(VALU_DEP_2) | instskip(NEXT) | instid1(VALU_DEP_1)
	v_clz_i32_u32_e32 v2, v88
	v_min_u32_e32 v2, 32, v2
	s_delay_alu instid0(VALU_DEP_1) | instskip(NEXT) | instid1(VALU_DEP_1)
	v_subrev_nc_u32_e32 v3, 28, v2
	v_lshlrev_b64_e32 v[4:5], v3, v[88:89]
	s_delay_alu instid0(VALU_DEP_1)
	v_dual_sub_nc_u32 v2, 29, v2 :: v_dual_bitop2_b32 v88, 7, v4 bitop3:0x40
; %bb.127:                              ;   in Loop: Header=BB208_15 Depth=1
	s_or_b32 exec_lo, exec_lo, s17
	s_delay_alu instid0(VALU_DEP_1) | instskip(NEXT) | instid1(VALU_DEP_2)
	v_dual_lshlrev_b32 v3, 16, v1 :: v_dual_lshlrev_b32 v4, 20, v88
	v_lshl_add_u32 v2, v2, 23, 0x3c000000
	s_delay_alu instid0(VALU_DEP_2) | instskip(NEXT) | instid1(VALU_DEP_1)
	v_and_b32_e32 v3, 0x80000000, v3
	v_or3_b32 v3, v4, v3, v2
	v_mov_b32_e32 v2, v89
	scratch_store_b64 off, v[2:3], s32 offset:316 ; 8-byte Folded Spill
.LBB208_128:                            ;   in Loop: Header=BB208_15 Depth=1
	s_wait_xcnt 0x0
	s_or_b32 exec_lo, exec_lo, s16
.LBB208_129:                            ;   in Loop: Header=BB208_15 Depth=1
	s_delay_alu instid0(SALU_CYCLE_1)
	s_or_b32 exec_lo, exec_lo, s15
.LBB208_130:                            ;   in Loop: Header=BB208_15 Depth=1
	s_delay_alu instid0(SALU_CYCLE_1) | instskip(SKIP_3) | instid1(VALU_DEP_1)
	s_or_b32 exec_lo, exec_lo, s14
	v_mov_b64_e32 v[4:5], 0
	v_lshrrev_b32_e32 v2, 16, v1
	s_mov_b32 s14, exec_lo
	v_and_b32_e32 v3, 0xff, v2
	scratch_store_b64 off, v[4:5], s32 offset:604 ; 8-byte Folded Spill
	s_wait_xcnt 0x0
	v_mov_b64_e32 v[4:5], 0
	scratch_store_b64 off, v[4:5], s32 offset:332 ; 8-byte Folded Spill
	s_wait_xcnt 0x0
	v_cmpx_ne_u16_e32 0, v3
	s_cbranch_execz .LBB208_138
; %bb.131:                              ;   in Loop: Header=BB208_15 Depth=1
	v_mov_b64_e32 v[4:5], 0x80000000
	s_mov_b32 s15, exec_lo
	scratch_store_b64 off, v[4:5], s32 offset:332 ; 8-byte Folded Spill
	s_wait_xcnt 0x0
	v_cmpx_ne_u16_e32 0x80, v3
	s_cbranch_execz .LBB208_137
; %bb.132:                              ;   in Loop: Header=BB208_15 Depth=1
	v_mov_b64_e32 v[6:7], 0x7f800001
	v_bfe_u32 v4, v1, 16, 7
	s_mov_b32 s16, exec_lo
	scratch_store_b64 off, v[6:7], s32 offset:332 ; 8-byte Folded Spill
	s_wait_xcnt 0x0
	v_cmpx_ne_u32_e32 0x7f, v4
	s_cbranch_execz .LBB208_136
; %bb.133:                              ;   in Loop: Header=BB208_15 Depth=1
	v_dual_lshrrev_b32 v3, 3, v4 :: v_dual_bitop2_b32 v88, 7, v2 bitop3:0x40
	s_mov_b32 s17, exec_lo
	v_cmpx_gt_u32_e32 8, v4
; %bb.134:                              ;   in Loop: Header=BB208_15 Depth=1
	s_delay_alu instid0(VALU_DEP_2) | instskip(NEXT) | instid1(VALU_DEP_1)
	v_clz_i32_u32_e32 v3, v88
	v_min_u32_e32 v3, 32, v3
	s_delay_alu instid0(VALU_DEP_1) | instskip(NEXT) | instid1(VALU_DEP_1)
	v_subrev_nc_u32_e32 v4, 28, v3
	v_lshlrev_b64_e32 v[4:5], v4, v[88:89]
	s_delay_alu instid0(VALU_DEP_1)
	v_dual_sub_nc_u32 v3, 29, v3 :: v_dual_bitop2_b32 v88, 7, v4 bitop3:0x40
; %bb.135:                              ;   in Loop: Header=BB208_15 Depth=1
	s_or_b32 exec_lo, exec_lo, s17
	s_delay_alu instid0(VALU_DEP_1) | instskip(NEXT) | instid1(VALU_DEP_2)
	v_dual_lshlrev_b32 v2, 24, v2 :: v_dual_lshlrev_b32 v4, 20, v88
	v_lshl_add_u32 v3, v3, 23, 0x3c000000
	s_delay_alu instid0(VALU_DEP_2) | instskip(NEXT) | instid1(VALU_DEP_1)
	v_and_b32_e32 v2, 0x80000000, v2
	v_or3_b32 v88, v4, v2, v3
	scratch_store_b64 off, v[88:89], s32 offset:332 ; 8-byte Folded Spill
.LBB208_136:                            ;   in Loop: Header=BB208_15 Depth=1
	s_wait_xcnt 0x0
	s_or_b32 exec_lo, exec_lo, s16
.LBB208_137:                            ;   in Loop: Header=BB208_15 Depth=1
	s_delay_alu instid0(SALU_CYCLE_1)
	s_or_b32 exec_lo, exec_lo, s15
.LBB208_138:                            ;   in Loop: Header=BB208_15 Depth=1
	s_delay_alu instid0(SALU_CYCLE_1) | instskip(NEXT) | instid1(SALU_CYCLE_1)
	s_or_b32 exec_lo, exec_lo, s14
	s_mov_b32 s14, exec_lo
	v_cmpx_lt_u32_e32 0xffffff, v1
	s_cbranch_execz .LBB208_146
; %bb.139:                              ;   in Loop: Header=BB208_15 Depth=1
	v_mov_b64_e32 v[4:5], 0x8000000000000000
	v_lshrrev_b32_e32 v2, 24, v1
	s_mov_b32 s15, exec_lo
	scratch_store_b64 off, v[4:5], s32 offset:604 ; 8-byte Folded Spill
	s_wait_xcnt 0x0
	v_cmpx_ne_u32_e32 0x80, v2
	s_cbranch_execz .LBB208_145
; %bb.140:                              ;   in Loop: Header=BB208_15 Depth=1
	v_bfe_u32 v3, v1, 24, 7
	v_mov_b64_e32 v[0:1], 0x7f80000100000000
	s_mov_b32 s16, exec_lo
	s_delay_alu instid0(VALU_DEP_2)
	v_cmpx_ne_u32_e32 0x7f, v3
	s_cbranch_execz .LBB208_144
; %bb.141:                              ;   in Loop: Header=BB208_15 Depth=1
	v_dual_lshrrev_b32 v1, 3, v3 :: v_dual_bitop2_b32 v88, 7, v2 bitop3:0x40
	s_mov_b32 s17, exec_lo
	v_cmpx_gt_u32_e32 8, v3
; %bb.142:                              ;   in Loop: Header=BB208_15 Depth=1
	s_delay_alu instid0(VALU_DEP_2) | instskip(NEXT) | instid1(VALU_DEP_1)
	v_clz_i32_u32_e32 v1, v88
	v_min_u32_e32 v1, 32, v1
	s_delay_alu instid0(VALU_DEP_1) | instskip(NEXT) | instid1(VALU_DEP_1)
	v_subrev_nc_u32_e32 v3, 28, v1
	v_lshlrev_b64_e32 v[4:5], v3, v[88:89]
	s_delay_alu instid0(VALU_DEP_1)
	v_dual_sub_nc_u32 v1, 29, v1 :: v_dual_bitop2_b32 v88, 7, v4 bitop3:0x40
; %bb.143:                              ;   in Loop: Header=BB208_15 Depth=1
	s_or_b32 exec_lo, exec_lo, s17
	s_delay_alu instid0(VALU_DEP_1) | instskip(NEXT) | instid1(VALU_DEP_2)
	v_dual_lshlrev_b32 v2, 24, v2 :: v_dual_lshlrev_b32 v3, 20, v88
	v_lshl_add_u32 v1, v1, 23, 0x3c000000
	v_mov_b32_e32 v0, v89
	s_delay_alu instid0(VALU_DEP_3) | instskip(NEXT) | instid1(VALU_DEP_1)
	v_and_b32_e32 v2, 0x80000000, v2
	v_or3_b32 v1, v3, v2, v1
.LBB208_144:                            ;   in Loop: Header=BB208_15 Depth=1
	s_or_b32 exec_lo, exec_lo, s16
	scratch_store_b64 off, v[0:1], s32 offset:604 ; 8-byte Folded Spill
.LBB208_145:                            ;   in Loop: Header=BB208_15 Depth=1
	s_wait_xcnt 0x0
	s_or_b32 exec_lo, exec_lo, s15
.LBB208_146:                            ;   in Loop: Header=BB208_15 Depth=1
	s_delay_alu instid0(SALU_CYCLE_1)
	s_or_b32 exec_lo, exec_lo, s14
	flat_load_b32 v1, v[36:37] offset:512
	v_mov_b64_e32 v[4:5], 0
	s_mov_b32 s14, exec_lo
	scratch_store_b64 off, v[4:5], s32 offset:340 ; 8-byte Folded Spill
	s_wait_xcnt 0x0
	v_mov_b64_e32 v[4:5], 0
	scratch_store_b64 off, v[4:5], s32 offset:348 ; 8-byte Folded Spill
	s_wait_loadcnt_dscnt 0x0
	v_and_b32_e32 v2, 0xff, v1
	s_wait_xcnt 0x0
	s_delay_alu instid0(VALU_DEP_1)
	v_cmpx_ne_u16_e32 0, v2
	s_cbranch_execz .LBB208_154
; %bb.147:                              ;   in Loop: Header=BB208_15 Depth=1
	v_cmp_ne_u16_e64 s1, 0x80, v2
	v_mov_b64_e32 v[2:3], 0x80000000
	scratch_store_b64 off, v[2:3], s32 offset:348 ; 8-byte Folded Spill
	s_wait_xcnt 0x0
	s_and_saveexec_b32 s15, s1
	s_cbranch_execz .LBB208_153
; %bb.148:                              ;   in Loop: Header=BB208_15 Depth=1
	v_mov_b64_e32 v[4:5], 0x7f800001
	v_and_b32_e32 v3, 0x7f, v1
	s_mov_b32 s16, exec_lo
	scratch_store_b64 off, v[4:5], s32 offset:348 ; 8-byte Folded Spill
	s_wait_xcnt 0x0
	v_cmpx_ne_u32_e32 0x7f, v3
	s_cbranch_execz .LBB208_152
; %bb.149:                              ;   in Loop: Header=BB208_15 Depth=1
	v_dual_lshrrev_b32 v2, 3, v3 :: v_dual_bitop2_b32 v88, 7, v1 bitop3:0x40
	s_mov_b32 s17, exec_lo
	v_cmpx_gt_u32_e32 8, v3
; %bb.150:                              ;   in Loop: Header=BB208_15 Depth=1
	s_delay_alu instid0(VALU_DEP_2) | instskip(NEXT) | instid1(VALU_DEP_1)
	v_clz_i32_u32_e32 v2, v88
	v_min_u32_e32 v2, 32, v2
	s_delay_alu instid0(VALU_DEP_1) | instskip(NEXT) | instid1(VALU_DEP_1)
	v_subrev_nc_u32_e32 v3, 28, v2
	v_lshlrev_b64_e32 v[4:5], v3, v[88:89]
	s_delay_alu instid0(VALU_DEP_1)
	v_dual_sub_nc_u32 v2, 29, v2 :: v_dual_bitop2_b32 v88, 7, v4 bitop3:0x40
; %bb.151:                              ;   in Loop: Header=BB208_15 Depth=1
	s_or_b32 exec_lo, exec_lo, s17
	s_delay_alu instid0(VALU_DEP_1) | instskip(NEXT) | instid1(VALU_DEP_2)
	v_dual_lshlrev_b32 v3, 24, v1 :: v_dual_lshlrev_b32 v4, 20, v88
	v_lshl_add_u32 v2, v2, 23, 0x3c000000
	s_delay_alu instid0(VALU_DEP_2) | instskip(NEXT) | instid1(VALU_DEP_1)
	v_and_b32_e32 v3, 0x80000000, v3
	v_or3_b32 v88, v4, v3, v2
	scratch_store_b64 off, v[88:89], s32 offset:348 ; 8-byte Folded Spill
.LBB208_152:                            ;   in Loop: Header=BB208_15 Depth=1
	s_wait_xcnt 0x0
	s_or_b32 exec_lo, exec_lo, s16
.LBB208_153:                            ;   in Loop: Header=BB208_15 Depth=1
	s_delay_alu instid0(SALU_CYCLE_1)
	s_or_b32 exec_lo, exec_lo, s15
.LBB208_154:                            ;   in Loop: Header=BB208_15 Depth=1
	s_delay_alu instid0(SALU_CYCLE_1) | instskip(SKIP_2) | instid1(VALU_DEP_1)
	s_or_b32 exec_lo, exec_lo, s14
	v_lshrrev_b16 v2, 8, v1
	s_mov_b32 s14, exec_lo
	v_cmpx_ne_u16_e32 0, v2
	s_cbranch_execz .LBB208_162
; %bb.155:                              ;   in Loop: Header=BB208_15 Depth=1
	v_mov_b64_e32 v[4:5], 0x8000000000000000
	s_mov_b32 s15, exec_lo
	scratch_store_b64 off, v[4:5], s32 offset:340 ; 8-byte Folded Spill
	s_wait_xcnt 0x0
	v_cmpx_ne_u16_e32 0x80, v2
	s_cbranch_execz .LBB208_161
; %bb.156:                              ;   in Loop: Header=BB208_15 Depth=1
	v_and_b32_e32 v2, 0xffff, v2
	v_mov_b64_e32 v[4:5], 0x7f80000100000000
	s_mov_b32 s16, exec_lo
	s_delay_alu instid0(VALU_DEP_2)
	v_and_b32_e32 v3, 0x7f, v2
	scratch_store_b64 off, v[4:5], s32 offset:340 ; 8-byte Folded Spill
	s_wait_xcnt 0x0
	v_cmpx_ne_u32_e32 0x7f, v3
	s_cbranch_execz .LBB208_160
; %bb.157:                              ;   in Loop: Header=BB208_15 Depth=1
	v_dual_lshrrev_b32 v2, 3, v3 :: v_dual_bitop2_b32 v88, 7, v2 bitop3:0x40
	s_mov_b32 s17, exec_lo
	v_cmpx_gt_u32_e32 8, v3
; %bb.158:                              ;   in Loop: Header=BB208_15 Depth=1
	s_delay_alu instid0(VALU_DEP_2) | instskip(NEXT) | instid1(VALU_DEP_1)
	v_clz_i32_u32_e32 v2, v88
	v_min_u32_e32 v2, 32, v2
	s_delay_alu instid0(VALU_DEP_1) | instskip(NEXT) | instid1(VALU_DEP_1)
	v_subrev_nc_u32_e32 v3, 28, v2
	v_lshlrev_b64_e32 v[4:5], v3, v[88:89]
	s_delay_alu instid0(VALU_DEP_1)
	v_dual_sub_nc_u32 v2, 29, v2 :: v_dual_bitop2_b32 v88, 7, v4 bitop3:0x40
; %bb.159:                              ;   in Loop: Header=BB208_15 Depth=1
	s_or_b32 exec_lo, exec_lo, s17
	s_delay_alu instid0(VALU_DEP_1) | instskip(NEXT) | instid1(VALU_DEP_2)
	v_dual_lshlrev_b32 v3, 16, v1 :: v_dual_lshlrev_b32 v4, 20, v88
	v_lshl_add_u32 v2, v2, 23, 0x3c000000
	s_delay_alu instid0(VALU_DEP_2) | instskip(NEXT) | instid1(VALU_DEP_1)
	v_and_b32_e32 v3, 0x80000000, v3
	v_or3_b32 v3, v4, v3, v2
	v_mov_b32_e32 v2, v89
	scratch_store_b64 off, v[2:3], s32 offset:340 ; 8-byte Folded Spill
.LBB208_160:                            ;   in Loop: Header=BB208_15 Depth=1
	s_wait_xcnt 0x0
	s_or_b32 exec_lo, exec_lo, s16
.LBB208_161:                            ;   in Loop: Header=BB208_15 Depth=1
	s_delay_alu instid0(SALU_CYCLE_1)
	s_or_b32 exec_lo, exec_lo, s15
.LBB208_162:                            ;   in Loop: Header=BB208_15 Depth=1
	s_delay_alu instid0(SALU_CYCLE_1) | instskip(SKIP_3) | instid1(VALU_DEP_1)
	s_or_b32 exec_lo, exec_lo, s14
	v_mov_b64_e32 v[4:5], 0
	v_lshrrev_b32_e32 v2, 16, v1
	s_mov_b32 s14, exec_lo
	v_and_b32_e32 v3, 0xff, v2
	scratch_store_b64 off, v[4:5], s32 offset:612 ; 8-byte Folded Spill
	s_wait_xcnt 0x0
	v_mov_b64_e32 v[4:5], 0
	scratch_store_b64 off, v[4:5], s32 offset:356 ; 8-byte Folded Spill
	s_wait_xcnt 0x0
	v_cmpx_ne_u16_e32 0, v3
	s_cbranch_execz .LBB208_170
; %bb.163:                              ;   in Loop: Header=BB208_15 Depth=1
	v_mov_b64_e32 v[4:5], 0x80000000
	s_mov_b32 s15, exec_lo
	scratch_store_b64 off, v[4:5], s32 offset:356 ; 8-byte Folded Spill
	s_wait_xcnt 0x0
	v_cmpx_ne_u16_e32 0x80, v3
	s_cbranch_execz .LBB208_169
; %bb.164:                              ;   in Loop: Header=BB208_15 Depth=1
	v_mov_b64_e32 v[6:7], 0x7f800001
	v_bfe_u32 v4, v1, 16, 7
	s_mov_b32 s16, exec_lo
	scratch_store_b64 off, v[6:7], s32 offset:356 ; 8-byte Folded Spill
	s_wait_xcnt 0x0
	v_cmpx_ne_u32_e32 0x7f, v4
	s_cbranch_execz .LBB208_168
; %bb.165:                              ;   in Loop: Header=BB208_15 Depth=1
	v_dual_lshrrev_b32 v3, 3, v4 :: v_dual_bitop2_b32 v88, 7, v2 bitop3:0x40
	s_mov_b32 s17, exec_lo
	v_cmpx_gt_u32_e32 8, v4
; %bb.166:                              ;   in Loop: Header=BB208_15 Depth=1
	s_delay_alu instid0(VALU_DEP_2) | instskip(NEXT) | instid1(VALU_DEP_1)
	v_clz_i32_u32_e32 v3, v88
	v_min_u32_e32 v3, 32, v3
	s_delay_alu instid0(VALU_DEP_1) | instskip(NEXT) | instid1(VALU_DEP_1)
	v_subrev_nc_u32_e32 v4, 28, v3
	v_lshlrev_b64_e32 v[4:5], v4, v[88:89]
	s_delay_alu instid0(VALU_DEP_1)
	v_dual_sub_nc_u32 v3, 29, v3 :: v_dual_bitop2_b32 v88, 7, v4 bitop3:0x40
; %bb.167:                              ;   in Loop: Header=BB208_15 Depth=1
	s_or_b32 exec_lo, exec_lo, s17
	s_delay_alu instid0(VALU_DEP_1) | instskip(NEXT) | instid1(VALU_DEP_2)
	v_dual_lshlrev_b32 v2, 24, v2 :: v_dual_lshlrev_b32 v4, 20, v88
	v_lshl_add_u32 v3, v3, 23, 0x3c000000
	s_delay_alu instid0(VALU_DEP_2) | instskip(NEXT) | instid1(VALU_DEP_1)
	v_and_b32_e32 v2, 0x80000000, v2
	v_or3_b32 v88, v4, v2, v3
	scratch_store_b64 off, v[88:89], s32 offset:356 ; 8-byte Folded Spill
.LBB208_168:                            ;   in Loop: Header=BB208_15 Depth=1
	s_wait_xcnt 0x0
	s_or_b32 exec_lo, exec_lo, s16
.LBB208_169:                            ;   in Loop: Header=BB208_15 Depth=1
	s_delay_alu instid0(SALU_CYCLE_1)
	s_or_b32 exec_lo, exec_lo, s15
.LBB208_170:                            ;   in Loop: Header=BB208_15 Depth=1
	s_delay_alu instid0(SALU_CYCLE_1) | instskip(NEXT) | instid1(SALU_CYCLE_1)
	s_or_b32 exec_lo, exec_lo, s14
	s_mov_b32 s14, exec_lo
	v_cmpx_lt_u32_e32 0xffffff, v1
	s_cbranch_execz .LBB208_178
; %bb.171:                              ;   in Loop: Header=BB208_15 Depth=1
	v_mov_b64_e32 v[4:5], 0x8000000000000000
	v_lshrrev_b32_e32 v2, 24, v1
	s_mov_b32 s15, exec_lo
	scratch_store_b64 off, v[4:5], s32 offset:612 ; 8-byte Folded Spill
	s_wait_xcnt 0x0
	v_cmpx_ne_u32_e32 0x80, v2
	s_cbranch_execz .LBB208_177
; %bb.172:                              ;   in Loop: Header=BB208_15 Depth=1
	v_bfe_u32 v3, v1, 24, 7
	v_mov_b64_e32 v[0:1], 0x7f80000100000000
	s_mov_b32 s16, exec_lo
	s_delay_alu instid0(VALU_DEP_2)
	v_cmpx_ne_u32_e32 0x7f, v3
	s_cbranch_execz .LBB208_176
; %bb.173:                              ;   in Loop: Header=BB208_15 Depth=1
	v_dual_lshrrev_b32 v1, 3, v3 :: v_dual_bitop2_b32 v88, 7, v2 bitop3:0x40
	s_mov_b32 s17, exec_lo
	v_cmpx_gt_u32_e32 8, v3
; %bb.174:                              ;   in Loop: Header=BB208_15 Depth=1
	s_delay_alu instid0(VALU_DEP_2) | instskip(NEXT) | instid1(VALU_DEP_1)
	v_clz_i32_u32_e32 v1, v88
	v_min_u32_e32 v1, 32, v1
	s_delay_alu instid0(VALU_DEP_1) | instskip(NEXT) | instid1(VALU_DEP_1)
	v_subrev_nc_u32_e32 v3, 28, v1
	v_lshlrev_b64_e32 v[4:5], v3, v[88:89]
	s_delay_alu instid0(VALU_DEP_1)
	v_dual_sub_nc_u32 v1, 29, v1 :: v_dual_bitop2_b32 v88, 7, v4 bitop3:0x40
; %bb.175:                              ;   in Loop: Header=BB208_15 Depth=1
	s_or_b32 exec_lo, exec_lo, s17
	s_delay_alu instid0(VALU_DEP_1) | instskip(NEXT) | instid1(VALU_DEP_2)
	v_dual_lshlrev_b32 v2, 24, v2 :: v_dual_lshlrev_b32 v3, 20, v88
	v_lshl_add_u32 v1, v1, 23, 0x3c000000
	v_mov_b32_e32 v0, v89
	s_delay_alu instid0(VALU_DEP_3) | instskip(NEXT) | instid1(VALU_DEP_1)
	v_and_b32_e32 v2, 0x80000000, v2
	v_or3_b32 v1, v3, v2, v1
.LBB208_176:                            ;   in Loop: Header=BB208_15 Depth=1
	s_or_b32 exec_lo, exec_lo, s16
	scratch_store_b64 off, v[0:1], s32 offset:612 ; 8-byte Folded Spill
.LBB208_177:                            ;   in Loop: Header=BB208_15 Depth=1
	s_wait_xcnt 0x0
	s_or_b32 exec_lo, exec_lo, s15
.LBB208_178:                            ;   in Loop: Header=BB208_15 Depth=1
	s_delay_alu instid0(SALU_CYCLE_1)
	s_or_b32 exec_lo, exec_lo, s14
	flat_load_b32 v1, v[36:37] offset:516
	v_mov_b64_e32 v[4:5], 0
	s_mov_b32 s14, exec_lo
	scratch_store_b64 off, v[4:5], s32 offset:364 ; 8-byte Folded Spill
	s_wait_xcnt 0x0
	v_mov_b64_e32 v[4:5], 0
	scratch_store_b64 off, v[4:5], s32 offset:372 ; 8-byte Folded Spill
	s_wait_loadcnt_dscnt 0x0
	v_and_b32_e32 v2, 0xff, v1
	s_wait_xcnt 0x0
	s_delay_alu instid0(VALU_DEP_1)
	v_cmpx_ne_u16_e32 0, v2
	s_cbranch_execz .LBB208_186
; %bb.179:                              ;   in Loop: Header=BB208_15 Depth=1
	v_cmp_ne_u16_e64 s1, 0x80, v2
	v_mov_b64_e32 v[2:3], 0x80000000
	scratch_store_b64 off, v[2:3], s32 offset:372 ; 8-byte Folded Spill
	s_wait_xcnt 0x0
	s_and_saveexec_b32 s15, s1
	s_cbranch_execz .LBB208_185
; %bb.180:                              ;   in Loop: Header=BB208_15 Depth=1
	v_mov_b64_e32 v[4:5], 0x7f800001
	v_and_b32_e32 v3, 0x7f, v1
	s_mov_b32 s16, exec_lo
	scratch_store_b64 off, v[4:5], s32 offset:372 ; 8-byte Folded Spill
	s_wait_xcnt 0x0
	v_cmpx_ne_u32_e32 0x7f, v3
	s_cbranch_execz .LBB208_184
; %bb.181:                              ;   in Loop: Header=BB208_15 Depth=1
	v_dual_lshrrev_b32 v2, 3, v3 :: v_dual_bitop2_b32 v88, 7, v1 bitop3:0x40
	s_mov_b32 s17, exec_lo
	v_cmpx_gt_u32_e32 8, v3
; %bb.182:                              ;   in Loop: Header=BB208_15 Depth=1
	s_delay_alu instid0(VALU_DEP_2) | instskip(NEXT) | instid1(VALU_DEP_1)
	v_clz_i32_u32_e32 v2, v88
	v_min_u32_e32 v2, 32, v2
	s_delay_alu instid0(VALU_DEP_1) | instskip(NEXT) | instid1(VALU_DEP_1)
	v_subrev_nc_u32_e32 v3, 28, v2
	v_lshlrev_b64_e32 v[4:5], v3, v[88:89]
	s_delay_alu instid0(VALU_DEP_1)
	v_dual_sub_nc_u32 v2, 29, v2 :: v_dual_bitop2_b32 v88, 7, v4 bitop3:0x40
; %bb.183:                              ;   in Loop: Header=BB208_15 Depth=1
	s_or_b32 exec_lo, exec_lo, s17
	s_delay_alu instid0(VALU_DEP_1) | instskip(NEXT) | instid1(VALU_DEP_2)
	v_dual_lshlrev_b32 v3, 24, v1 :: v_dual_lshlrev_b32 v4, 20, v88
	v_lshl_add_u32 v2, v2, 23, 0x3c000000
	s_delay_alu instid0(VALU_DEP_2) | instskip(NEXT) | instid1(VALU_DEP_1)
	v_and_b32_e32 v3, 0x80000000, v3
	v_or3_b32 v88, v4, v3, v2
	scratch_store_b64 off, v[88:89], s32 offset:372 ; 8-byte Folded Spill
.LBB208_184:                            ;   in Loop: Header=BB208_15 Depth=1
	s_wait_xcnt 0x0
	s_or_b32 exec_lo, exec_lo, s16
.LBB208_185:                            ;   in Loop: Header=BB208_15 Depth=1
	s_delay_alu instid0(SALU_CYCLE_1)
	s_or_b32 exec_lo, exec_lo, s15
.LBB208_186:                            ;   in Loop: Header=BB208_15 Depth=1
	s_delay_alu instid0(SALU_CYCLE_1) | instskip(SKIP_2) | instid1(VALU_DEP_1)
	s_or_b32 exec_lo, exec_lo, s14
	v_lshrrev_b16 v2, 8, v1
	s_mov_b32 s14, exec_lo
	v_cmpx_ne_u16_e32 0, v2
	s_cbranch_execz .LBB208_194
; %bb.187:                              ;   in Loop: Header=BB208_15 Depth=1
	v_mov_b64_e32 v[4:5], 0x8000000000000000
	s_mov_b32 s15, exec_lo
	scratch_store_b64 off, v[4:5], s32 offset:364 ; 8-byte Folded Spill
	s_wait_xcnt 0x0
	v_cmpx_ne_u16_e32 0x80, v2
	s_cbranch_execz .LBB208_193
; %bb.188:                              ;   in Loop: Header=BB208_15 Depth=1
	v_and_b32_e32 v2, 0xffff, v2
	v_mov_b64_e32 v[4:5], 0x7f80000100000000
	s_mov_b32 s16, exec_lo
	s_delay_alu instid0(VALU_DEP_2)
	v_and_b32_e32 v3, 0x7f, v2
	scratch_store_b64 off, v[4:5], s32 offset:364 ; 8-byte Folded Spill
	s_wait_xcnt 0x0
	v_cmpx_ne_u32_e32 0x7f, v3
	s_cbranch_execz .LBB208_192
; %bb.189:                              ;   in Loop: Header=BB208_15 Depth=1
	v_dual_lshrrev_b32 v2, 3, v3 :: v_dual_bitop2_b32 v88, 7, v2 bitop3:0x40
	s_mov_b32 s17, exec_lo
	v_cmpx_gt_u32_e32 8, v3
; %bb.190:                              ;   in Loop: Header=BB208_15 Depth=1
	s_delay_alu instid0(VALU_DEP_2) | instskip(NEXT) | instid1(VALU_DEP_1)
	v_clz_i32_u32_e32 v2, v88
	v_min_u32_e32 v2, 32, v2
	s_delay_alu instid0(VALU_DEP_1) | instskip(NEXT) | instid1(VALU_DEP_1)
	v_subrev_nc_u32_e32 v3, 28, v2
	v_lshlrev_b64_e32 v[4:5], v3, v[88:89]
	s_delay_alu instid0(VALU_DEP_1)
	v_dual_sub_nc_u32 v2, 29, v2 :: v_dual_bitop2_b32 v88, 7, v4 bitop3:0x40
; %bb.191:                              ;   in Loop: Header=BB208_15 Depth=1
	s_or_b32 exec_lo, exec_lo, s17
	s_delay_alu instid0(VALU_DEP_1) | instskip(NEXT) | instid1(VALU_DEP_2)
	v_dual_lshlrev_b32 v3, 16, v1 :: v_dual_lshlrev_b32 v4, 20, v88
	v_lshl_add_u32 v2, v2, 23, 0x3c000000
	s_delay_alu instid0(VALU_DEP_2) | instskip(NEXT) | instid1(VALU_DEP_1)
	v_and_b32_e32 v3, 0x80000000, v3
	v_or3_b32 v3, v4, v3, v2
	v_mov_b32_e32 v2, v89
	scratch_store_b64 off, v[2:3], s32 offset:364 ; 8-byte Folded Spill
.LBB208_192:                            ;   in Loop: Header=BB208_15 Depth=1
	s_wait_xcnt 0x0
	s_or_b32 exec_lo, exec_lo, s16
.LBB208_193:                            ;   in Loop: Header=BB208_15 Depth=1
	s_delay_alu instid0(SALU_CYCLE_1)
	s_or_b32 exec_lo, exec_lo, s15
.LBB208_194:                            ;   in Loop: Header=BB208_15 Depth=1
	s_delay_alu instid0(SALU_CYCLE_1) | instskip(SKIP_3) | instid1(VALU_DEP_1)
	s_or_b32 exec_lo, exec_lo, s14
	v_mov_b64_e32 v[4:5], 0
	v_lshrrev_b32_e32 v2, 16, v1
	s_mov_b32 s14, exec_lo
	v_and_b32_e32 v3, 0xff, v2
	scratch_store_b64 off, v[4:5], s32 offset:620 ; 8-byte Folded Spill
	s_wait_xcnt 0x0
	v_mov_b64_e32 v[4:5], 0
	scratch_store_b64 off, v[4:5], s32 offset:380 ; 8-byte Folded Spill
	s_wait_xcnt 0x0
	v_cmpx_ne_u16_e32 0, v3
	s_cbranch_execz .LBB208_202
; %bb.195:                              ;   in Loop: Header=BB208_15 Depth=1
	v_mov_b64_e32 v[4:5], 0x80000000
	s_mov_b32 s15, exec_lo
	scratch_store_b64 off, v[4:5], s32 offset:380 ; 8-byte Folded Spill
	s_wait_xcnt 0x0
	v_cmpx_ne_u16_e32 0x80, v3
	s_cbranch_execz .LBB208_201
; %bb.196:                              ;   in Loop: Header=BB208_15 Depth=1
	v_mov_b64_e32 v[6:7], 0x7f800001
	v_bfe_u32 v4, v1, 16, 7
	s_mov_b32 s16, exec_lo
	scratch_store_b64 off, v[6:7], s32 offset:380 ; 8-byte Folded Spill
	s_wait_xcnt 0x0
	v_cmpx_ne_u32_e32 0x7f, v4
	s_cbranch_execz .LBB208_200
; %bb.197:                              ;   in Loop: Header=BB208_15 Depth=1
	v_dual_lshrrev_b32 v3, 3, v4 :: v_dual_bitop2_b32 v88, 7, v2 bitop3:0x40
	s_mov_b32 s17, exec_lo
	v_cmpx_gt_u32_e32 8, v4
; %bb.198:                              ;   in Loop: Header=BB208_15 Depth=1
	s_delay_alu instid0(VALU_DEP_2) | instskip(NEXT) | instid1(VALU_DEP_1)
	v_clz_i32_u32_e32 v3, v88
	v_min_u32_e32 v3, 32, v3
	s_delay_alu instid0(VALU_DEP_1) | instskip(NEXT) | instid1(VALU_DEP_1)
	v_subrev_nc_u32_e32 v4, 28, v3
	v_lshlrev_b64_e32 v[4:5], v4, v[88:89]
	s_delay_alu instid0(VALU_DEP_1)
	v_dual_sub_nc_u32 v3, 29, v3 :: v_dual_bitop2_b32 v88, 7, v4 bitop3:0x40
; %bb.199:                              ;   in Loop: Header=BB208_15 Depth=1
	s_or_b32 exec_lo, exec_lo, s17
	s_delay_alu instid0(VALU_DEP_1) | instskip(NEXT) | instid1(VALU_DEP_2)
	v_dual_lshlrev_b32 v2, 24, v2 :: v_dual_lshlrev_b32 v4, 20, v88
	v_lshl_add_u32 v3, v3, 23, 0x3c000000
	s_delay_alu instid0(VALU_DEP_2) | instskip(NEXT) | instid1(VALU_DEP_1)
	v_and_b32_e32 v2, 0x80000000, v2
	v_or3_b32 v88, v4, v2, v3
	scratch_store_b64 off, v[88:89], s32 offset:380 ; 8-byte Folded Spill
.LBB208_200:                            ;   in Loop: Header=BB208_15 Depth=1
	s_wait_xcnt 0x0
	s_or_b32 exec_lo, exec_lo, s16
.LBB208_201:                            ;   in Loop: Header=BB208_15 Depth=1
	s_delay_alu instid0(SALU_CYCLE_1)
	s_or_b32 exec_lo, exec_lo, s15
.LBB208_202:                            ;   in Loop: Header=BB208_15 Depth=1
	s_delay_alu instid0(SALU_CYCLE_1) | instskip(NEXT) | instid1(SALU_CYCLE_1)
	s_or_b32 exec_lo, exec_lo, s14
	s_mov_b32 s14, exec_lo
	v_cmpx_lt_u32_e32 0xffffff, v1
	s_cbranch_execz .LBB208_210
; %bb.203:                              ;   in Loop: Header=BB208_15 Depth=1
	v_mov_b64_e32 v[4:5], 0x8000000000000000
	v_lshrrev_b32_e32 v2, 24, v1
	s_mov_b32 s15, exec_lo
	scratch_store_b64 off, v[4:5], s32 offset:620 ; 8-byte Folded Spill
	s_wait_xcnt 0x0
	v_cmpx_ne_u32_e32 0x80, v2
	s_cbranch_execz .LBB208_209
; %bb.204:                              ;   in Loop: Header=BB208_15 Depth=1
	v_bfe_u32 v3, v1, 24, 7
	v_mov_b64_e32 v[0:1], 0x7f80000100000000
	s_mov_b32 s16, exec_lo
	s_delay_alu instid0(VALU_DEP_2)
	v_cmpx_ne_u32_e32 0x7f, v3
	s_cbranch_execz .LBB208_208
; %bb.205:                              ;   in Loop: Header=BB208_15 Depth=1
	v_dual_lshrrev_b32 v1, 3, v3 :: v_dual_bitop2_b32 v88, 7, v2 bitop3:0x40
	s_mov_b32 s17, exec_lo
	v_cmpx_gt_u32_e32 8, v3
; %bb.206:                              ;   in Loop: Header=BB208_15 Depth=1
	s_delay_alu instid0(VALU_DEP_2) | instskip(NEXT) | instid1(VALU_DEP_1)
	v_clz_i32_u32_e32 v1, v88
	v_min_u32_e32 v1, 32, v1
	s_delay_alu instid0(VALU_DEP_1) | instskip(NEXT) | instid1(VALU_DEP_1)
	v_subrev_nc_u32_e32 v3, 28, v1
	v_lshlrev_b64_e32 v[4:5], v3, v[88:89]
	s_delay_alu instid0(VALU_DEP_1)
	v_dual_sub_nc_u32 v1, 29, v1 :: v_dual_bitop2_b32 v88, 7, v4 bitop3:0x40
; %bb.207:                              ;   in Loop: Header=BB208_15 Depth=1
	s_or_b32 exec_lo, exec_lo, s17
	s_delay_alu instid0(VALU_DEP_1) | instskip(NEXT) | instid1(VALU_DEP_2)
	v_dual_lshlrev_b32 v2, 24, v2 :: v_dual_lshlrev_b32 v3, 20, v88
	v_lshl_add_u32 v1, v1, 23, 0x3c000000
	v_mov_b32_e32 v0, v89
	s_delay_alu instid0(VALU_DEP_3) | instskip(NEXT) | instid1(VALU_DEP_1)
	v_and_b32_e32 v2, 0x80000000, v2
	v_or3_b32 v1, v3, v2, v1
.LBB208_208:                            ;   in Loop: Header=BB208_15 Depth=1
	s_or_b32 exec_lo, exec_lo, s16
	scratch_store_b64 off, v[0:1], s32 offset:620 ; 8-byte Folded Spill
.LBB208_209:                            ;   in Loop: Header=BB208_15 Depth=1
	s_wait_xcnt 0x0
	s_or_b32 exec_lo, exec_lo, s15
.LBB208_210:                            ;   in Loop: Header=BB208_15 Depth=1
	s_delay_alu instid0(SALU_CYCLE_1)
	s_or_b32 exec_lo, exec_lo, s14
	flat_load_b32 v1, v[36:37] offset:520
	v_mov_b64_e32 v[4:5], 0
	s_mov_b32 s14, exec_lo
	scratch_store_b64 off, v[4:5], s32 offset:388 ; 8-byte Folded Spill
	s_wait_xcnt 0x0
	v_mov_b64_e32 v[4:5], 0
	scratch_store_b64 off, v[4:5], s32 offset:396 ; 8-byte Folded Spill
	s_wait_loadcnt_dscnt 0x0
	v_and_b32_e32 v2, 0xff, v1
	s_wait_xcnt 0x0
	s_delay_alu instid0(VALU_DEP_1)
	v_cmpx_ne_u16_e32 0, v2
	s_cbranch_execz .LBB208_218
; %bb.211:                              ;   in Loop: Header=BB208_15 Depth=1
	v_cmp_ne_u16_e64 s1, 0x80, v2
	v_mov_b64_e32 v[2:3], 0x80000000
	scratch_store_b64 off, v[2:3], s32 offset:396 ; 8-byte Folded Spill
	s_wait_xcnt 0x0
	s_and_saveexec_b32 s15, s1
	s_cbranch_execz .LBB208_217
; %bb.212:                              ;   in Loop: Header=BB208_15 Depth=1
	v_mov_b64_e32 v[4:5], 0x7f800001
	v_and_b32_e32 v3, 0x7f, v1
	s_mov_b32 s16, exec_lo
	scratch_store_b64 off, v[4:5], s32 offset:396 ; 8-byte Folded Spill
	s_wait_xcnt 0x0
	v_cmpx_ne_u32_e32 0x7f, v3
	s_cbranch_execz .LBB208_216
; %bb.213:                              ;   in Loop: Header=BB208_15 Depth=1
	v_dual_lshrrev_b32 v2, 3, v3 :: v_dual_bitop2_b32 v88, 7, v1 bitop3:0x40
	s_mov_b32 s17, exec_lo
	v_cmpx_gt_u32_e32 8, v3
; %bb.214:                              ;   in Loop: Header=BB208_15 Depth=1
	s_delay_alu instid0(VALU_DEP_2) | instskip(NEXT) | instid1(VALU_DEP_1)
	v_clz_i32_u32_e32 v2, v88
	v_min_u32_e32 v2, 32, v2
	s_delay_alu instid0(VALU_DEP_1) | instskip(NEXT) | instid1(VALU_DEP_1)
	v_subrev_nc_u32_e32 v3, 28, v2
	v_lshlrev_b64_e32 v[4:5], v3, v[88:89]
	s_delay_alu instid0(VALU_DEP_1)
	v_dual_sub_nc_u32 v2, 29, v2 :: v_dual_bitop2_b32 v88, 7, v4 bitop3:0x40
; %bb.215:                              ;   in Loop: Header=BB208_15 Depth=1
	s_or_b32 exec_lo, exec_lo, s17
	s_delay_alu instid0(VALU_DEP_1) | instskip(NEXT) | instid1(VALU_DEP_2)
	v_dual_lshlrev_b32 v3, 24, v1 :: v_dual_lshlrev_b32 v4, 20, v88
	v_lshl_add_u32 v2, v2, 23, 0x3c000000
	s_delay_alu instid0(VALU_DEP_2) | instskip(NEXT) | instid1(VALU_DEP_1)
	v_and_b32_e32 v3, 0x80000000, v3
	v_or3_b32 v88, v4, v3, v2
	scratch_store_b64 off, v[88:89], s32 offset:396 ; 8-byte Folded Spill
.LBB208_216:                            ;   in Loop: Header=BB208_15 Depth=1
	s_wait_xcnt 0x0
	s_or_b32 exec_lo, exec_lo, s16
.LBB208_217:                            ;   in Loop: Header=BB208_15 Depth=1
	s_delay_alu instid0(SALU_CYCLE_1)
	s_or_b32 exec_lo, exec_lo, s15
.LBB208_218:                            ;   in Loop: Header=BB208_15 Depth=1
	s_delay_alu instid0(SALU_CYCLE_1) | instskip(SKIP_2) | instid1(VALU_DEP_1)
	s_or_b32 exec_lo, exec_lo, s14
	v_lshrrev_b16 v2, 8, v1
	s_mov_b32 s14, exec_lo
	v_cmpx_ne_u16_e32 0, v2
	s_cbranch_execz .LBB208_226
; %bb.219:                              ;   in Loop: Header=BB208_15 Depth=1
	v_mov_b64_e32 v[4:5], 0x8000000000000000
	s_mov_b32 s15, exec_lo
	scratch_store_b64 off, v[4:5], s32 offset:388 ; 8-byte Folded Spill
	s_wait_xcnt 0x0
	v_cmpx_ne_u16_e32 0x80, v2
	s_cbranch_execz .LBB208_225
; %bb.220:                              ;   in Loop: Header=BB208_15 Depth=1
	v_and_b32_e32 v2, 0xffff, v2
	v_mov_b64_e32 v[4:5], 0x7f80000100000000
	s_mov_b32 s16, exec_lo
	s_delay_alu instid0(VALU_DEP_2)
	v_and_b32_e32 v3, 0x7f, v2
	scratch_store_b64 off, v[4:5], s32 offset:388 ; 8-byte Folded Spill
	s_wait_xcnt 0x0
	v_cmpx_ne_u32_e32 0x7f, v3
	s_cbranch_execz .LBB208_224
; %bb.221:                              ;   in Loop: Header=BB208_15 Depth=1
	v_dual_lshrrev_b32 v2, 3, v3 :: v_dual_bitop2_b32 v88, 7, v2 bitop3:0x40
	s_mov_b32 s17, exec_lo
	v_cmpx_gt_u32_e32 8, v3
; %bb.222:                              ;   in Loop: Header=BB208_15 Depth=1
	s_delay_alu instid0(VALU_DEP_2) | instskip(NEXT) | instid1(VALU_DEP_1)
	v_clz_i32_u32_e32 v2, v88
	v_min_u32_e32 v2, 32, v2
	s_delay_alu instid0(VALU_DEP_1) | instskip(NEXT) | instid1(VALU_DEP_1)
	v_subrev_nc_u32_e32 v3, 28, v2
	v_lshlrev_b64_e32 v[4:5], v3, v[88:89]
	s_delay_alu instid0(VALU_DEP_1)
	v_dual_sub_nc_u32 v2, 29, v2 :: v_dual_bitop2_b32 v88, 7, v4 bitop3:0x40
; %bb.223:                              ;   in Loop: Header=BB208_15 Depth=1
	s_or_b32 exec_lo, exec_lo, s17
	s_delay_alu instid0(VALU_DEP_1) | instskip(NEXT) | instid1(VALU_DEP_2)
	v_dual_lshlrev_b32 v3, 16, v1 :: v_dual_lshlrev_b32 v4, 20, v88
	v_lshl_add_u32 v2, v2, 23, 0x3c000000
	s_delay_alu instid0(VALU_DEP_2) | instskip(NEXT) | instid1(VALU_DEP_1)
	v_and_b32_e32 v3, 0x80000000, v3
	v_or3_b32 v3, v4, v3, v2
	v_mov_b32_e32 v2, v89
	scratch_store_b64 off, v[2:3], s32 offset:388 ; 8-byte Folded Spill
.LBB208_224:                            ;   in Loop: Header=BB208_15 Depth=1
	s_wait_xcnt 0x0
	s_or_b32 exec_lo, exec_lo, s16
.LBB208_225:                            ;   in Loop: Header=BB208_15 Depth=1
	s_delay_alu instid0(SALU_CYCLE_1)
	s_or_b32 exec_lo, exec_lo, s15
.LBB208_226:                            ;   in Loop: Header=BB208_15 Depth=1
	s_delay_alu instid0(SALU_CYCLE_1) | instskip(SKIP_3) | instid1(VALU_DEP_1)
	s_or_b32 exec_lo, exec_lo, s14
	v_mov_b64_e32 v[4:5], 0
	v_lshrrev_b32_e32 v2, 16, v1
	s_mov_b32 s14, exec_lo
	v_and_b32_e32 v3, 0xff, v2
	scratch_store_b64 off, v[4:5], s32 offset:628 ; 8-byte Folded Spill
	s_wait_xcnt 0x0
	v_mov_b64_e32 v[4:5], 0
	scratch_store_b64 off, v[4:5], s32 offset:404 ; 8-byte Folded Spill
	s_wait_xcnt 0x0
	v_cmpx_ne_u16_e32 0, v3
	s_cbranch_execz .LBB208_234
; %bb.227:                              ;   in Loop: Header=BB208_15 Depth=1
	v_mov_b64_e32 v[4:5], 0x80000000
	s_mov_b32 s15, exec_lo
	scratch_store_b64 off, v[4:5], s32 offset:404 ; 8-byte Folded Spill
	s_wait_xcnt 0x0
	v_cmpx_ne_u16_e32 0x80, v3
	s_cbranch_execz .LBB208_233
; %bb.228:                              ;   in Loop: Header=BB208_15 Depth=1
	v_mov_b64_e32 v[6:7], 0x7f800001
	v_bfe_u32 v4, v1, 16, 7
	s_mov_b32 s16, exec_lo
	scratch_store_b64 off, v[6:7], s32 offset:404 ; 8-byte Folded Spill
	s_wait_xcnt 0x0
	v_cmpx_ne_u32_e32 0x7f, v4
	s_cbranch_execz .LBB208_232
; %bb.229:                              ;   in Loop: Header=BB208_15 Depth=1
	v_dual_lshrrev_b32 v3, 3, v4 :: v_dual_bitop2_b32 v88, 7, v2 bitop3:0x40
	s_mov_b32 s17, exec_lo
	v_cmpx_gt_u32_e32 8, v4
; %bb.230:                              ;   in Loop: Header=BB208_15 Depth=1
	s_delay_alu instid0(VALU_DEP_2) | instskip(NEXT) | instid1(VALU_DEP_1)
	v_clz_i32_u32_e32 v3, v88
	v_min_u32_e32 v3, 32, v3
	s_delay_alu instid0(VALU_DEP_1) | instskip(NEXT) | instid1(VALU_DEP_1)
	v_subrev_nc_u32_e32 v4, 28, v3
	v_lshlrev_b64_e32 v[4:5], v4, v[88:89]
	s_delay_alu instid0(VALU_DEP_1)
	v_dual_sub_nc_u32 v3, 29, v3 :: v_dual_bitop2_b32 v88, 7, v4 bitop3:0x40
; %bb.231:                              ;   in Loop: Header=BB208_15 Depth=1
	s_or_b32 exec_lo, exec_lo, s17
	s_delay_alu instid0(VALU_DEP_1) | instskip(NEXT) | instid1(VALU_DEP_2)
	v_dual_lshlrev_b32 v2, 24, v2 :: v_dual_lshlrev_b32 v4, 20, v88
	v_lshl_add_u32 v3, v3, 23, 0x3c000000
	s_delay_alu instid0(VALU_DEP_2) | instskip(NEXT) | instid1(VALU_DEP_1)
	v_and_b32_e32 v2, 0x80000000, v2
	v_or3_b32 v88, v4, v2, v3
	scratch_store_b64 off, v[88:89], s32 offset:404 ; 8-byte Folded Spill
.LBB208_232:                            ;   in Loop: Header=BB208_15 Depth=1
	s_wait_xcnt 0x0
	s_or_b32 exec_lo, exec_lo, s16
.LBB208_233:                            ;   in Loop: Header=BB208_15 Depth=1
	s_delay_alu instid0(SALU_CYCLE_1)
	s_or_b32 exec_lo, exec_lo, s15
.LBB208_234:                            ;   in Loop: Header=BB208_15 Depth=1
	s_delay_alu instid0(SALU_CYCLE_1) | instskip(NEXT) | instid1(SALU_CYCLE_1)
	s_or_b32 exec_lo, exec_lo, s14
	s_mov_b32 s14, exec_lo
	v_cmpx_lt_u32_e32 0xffffff, v1
	s_cbranch_execz .LBB208_242
; %bb.235:                              ;   in Loop: Header=BB208_15 Depth=1
	v_mov_b64_e32 v[4:5], 0x8000000000000000
	v_lshrrev_b32_e32 v2, 24, v1
	s_mov_b32 s15, exec_lo
	scratch_store_b64 off, v[4:5], s32 offset:628 ; 8-byte Folded Spill
	s_wait_xcnt 0x0
	v_cmpx_ne_u32_e32 0x80, v2
	s_cbranch_execz .LBB208_241
; %bb.236:                              ;   in Loop: Header=BB208_15 Depth=1
	v_bfe_u32 v3, v1, 24, 7
	v_mov_b64_e32 v[0:1], 0x7f80000100000000
	s_mov_b32 s16, exec_lo
	s_delay_alu instid0(VALU_DEP_2)
	v_cmpx_ne_u32_e32 0x7f, v3
	s_cbranch_execz .LBB208_240
; %bb.237:                              ;   in Loop: Header=BB208_15 Depth=1
	v_dual_lshrrev_b32 v1, 3, v3 :: v_dual_bitop2_b32 v88, 7, v2 bitop3:0x40
	s_mov_b32 s17, exec_lo
	v_cmpx_gt_u32_e32 8, v3
; %bb.238:                              ;   in Loop: Header=BB208_15 Depth=1
	s_delay_alu instid0(VALU_DEP_2) | instskip(NEXT) | instid1(VALU_DEP_1)
	v_clz_i32_u32_e32 v1, v88
	v_min_u32_e32 v1, 32, v1
	s_delay_alu instid0(VALU_DEP_1) | instskip(NEXT) | instid1(VALU_DEP_1)
	v_subrev_nc_u32_e32 v3, 28, v1
	v_lshlrev_b64_e32 v[4:5], v3, v[88:89]
	s_delay_alu instid0(VALU_DEP_1)
	v_dual_sub_nc_u32 v1, 29, v1 :: v_dual_bitop2_b32 v88, 7, v4 bitop3:0x40
; %bb.239:                              ;   in Loop: Header=BB208_15 Depth=1
	s_or_b32 exec_lo, exec_lo, s17
	s_delay_alu instid0(VALU_DEP_1) | instskip(NEXT) | instid1(VALU_DEP_2)
	v_dual_lshlrev_b32 v2, 24, v2 :: v_dual_lshlrev_b32 v3, 20, v88
	v_lshl_add_u32 v1, v1, 23, 0x3c000000
	v_mov_b32_e32 v0, v89
	s_delay_alu instid0(VALU_DEP_3) | instskip(NEXT) | instid1(VALU_DEP_1)
	v_and_b32_e32 v2, 0x80000000, v2
	v_or3_b32 v1, v3, v2, v1
.LBB208_240:                            ;   in Loop: Header=BB208_15 Depth=1
	s_or_b32 exec_lo, exec_lo, s16
	scratch_store_b64 off, v[0:1], s32 offset:628 ; 8-byte Folded Spill
.LBB208_241:                            ;   in Loop: Header=BB208_15 Depth=1
	s_wait_xcnt 0x0
	s_or_b32 exec_lo, exec_lo, s15
.LBB208_242:                            ;   in Loop: Header=BB208_15 Depth=1
	s_delay_alu instid0(SALU_CYCLE_1)
	s_or_b32 exec_lo, exec_lo, s14
	flat_load_b32 v1, v[36:37] offset:524
	v_mov_b64_e32 v[4:5], 0
	s_mov_b32 s14, exec_lo
	scratch_store_b64 off, v[4:5], s32 offset:412 ; 8-byte Folded Spill
	s_wait_xcnt 0x0
	v_mov_b64_e32 v[4:5], 0
	scratch_store_b64 off, v[4:5], s32 offset:420 ; 8-byte Folded Spill
	s_wait_loadcnt_dscnt 0x0
	v_and_b32_e32 v2, 0xff, v1
	s_wait_xcnt 0x0
	s_delay_alu instid0(VALU_DEP_1)
	v_cmpx_ne_u16_e32 0, v2
	s_cbranch_execz .LBB208_250
; %bb.243:                              ;   in Loop: Header=BB208_15 Depth=1
	v_cmp_ne_u16_e64 s1, 0x80, v2
	v_mov_b64_e32 v[2:3], 0x80000000
	scratch_store_b64 off, v[2:3], s32 offset:420 ; 8-byte Folded Spill
	s_wait_xcnt 0x0
	s_and_saveexec_b32 s15, s1
	s_cbranch_execz .LBB208_249
; %bb.244:                              ;   in Loop: Header=BB208_15 Depth=1
	v_mov_b64_e32 v[4:5], 0x7f800001
	v_and_b32_e32 v3, 0x7f, v1
	s_mov_b32 s16, exec_lo
	scratch_store_b64 off, v[4:5], s32 offset:420 ; 8-byte Folded Spill
	s_wait_xcnt 0x0
	v_cmpx_ne_u32_e32 0x7f, v3
	s_cbranch_execz .LBB208_248
; %bb.245:                              ;   in Loop: Header=BB208_15 Depth=1
	v_dual_lshrrev_b32 v2, 3, v3 :: v_dual_bitop2_b32 v88, 7, v1 bitop3:0x40
	s_mov_b32 s17, exec_lo
	v_cmpx_gt_u32_e32 8, v3
; %bb.246:                              ;   in Loop: Header=BB208_15 Depth=1
	s_delay_alu instid0(VALU_DEP_2) | instskip(NEXT) | instid1(VALU_DEP_1)
	v_clz_i32_u32_e32 v2, v88
	v_min_u32_e32 v2, 32, v2
	s_delay_alu instid0(VALU_DEP_1) | instskip(NEXT) | instid1(VALU_DEP_1)
	v_subrev_nc_u32_e32 v3, 28, v2
	v_lshlrev_b64_e32 v[4:5], v3, v[88:89]
	s_delay_alu instid0(VALU_DEP_1)
	v_dual_sub_nc_u32 v2, 29, v2 :: v_dual_bitop2_b32 v88, 7, v4 bitop3:0x40
; %bb.247:                              ;   in Loop: Header=BB208_15 Depth=1
	s_or_b32 exec_lo, exec_lo, s17
	s_delay_alu instid0(VALU_DEP_1) | instskip(NEXT) | instid1(VALU_DEP_2)
	v_dual_lshlrev_b32 v3, 24, v1 :: v_dual_lshlrev_b32 v4, 20, v88
	v_lshl_add_u32 v2, v2, 23, 0x3c000000
	s_delay_alu instid0(VALU_DEP_2) | instskip(NEXT) | instid1(VALU_DEP_1)
	v_and_b32_e32 v3, 0x80000000, v3
	v_or3_b32 v88, v4, v3, v2
	scratch_store_b64 off, v[88:89], s32 offset:420 ; 8-byte Folded Spill
.LBB208_248:                            ;   in Loop: Header=BB208_15 Depth=1
	s_wait_xcnt 0x0
	s_or_b32 exec_lo, exec_lo, s16
.LBB208_249:                            ;   in Loop: Header=BB208_15 Depth=1
	s_delay_alu instid0(SALU_CYCLE_1)
	s_or_b32 exec_lo, exec_lo, s15
.LBB208_250:                            ;   in Loop: Header=BB208_15 Depth=1
	s_delay_alu instid0(SALU_CYCLE_1) | instskip(SKIP_2) | instid1(VALU_DEP_1)
	s_or_b32 exec_lo, exec_lo, s14
	v_lshrrev_b16 v2, 8, v1
	s_mov_b32 s14, exec_lo
	v_cmpx_ne_u16_e32 0, v2
	s_cbranch_execz .LBB208_258
; %bb.251:                              ;   in Loop: Header=BB208_15 Depth=1
	v_mov_b64_e32 v[4:5], 0x8000000000000000
	s_mov_b32 s15, exec_lo
	scratch_store_b64 off, v[4:5], s32 offset:412 ; 8-byte Folded Spill
	s_wait_xcnt 0x0
	v_cmpx_ne_u16_e32 0x80, v2
	s_cbranch_execz .LBB208_257
; %bb.252:                              ;   in Loop: Header=BB208_15 Depth=1
	v_and_b32_e32 v2, 0xffff, v2
	v_mov_b64_e32 v[4:5], 0x7f80000100000000
	s_mov_b32 s16, exec_lo
	s_delay_alu instid0(VALU_DEP_2)
	v_and_b32_e32 v3, 0x7f, v2
	scratch_store_b64 off, v[4:5], s32 offset:412 ; 8-byte Folded Spill
	s_wait_xcnt 0x0
	v_cmpx_ne_u32_e32 0x7f, v3
	s_cbranch_execz .LBB208_256
; %bb.253:                              ;   in Loop: Header=BB208_15 Depth=1
	v_dual_lshrrev_b32 v2, 3, v3 :: v_dual_bitop2_b32 v88, 7, v2 bitop3:0x40
	s_mov_b32 s17, exec_lo
	v_cmpx_gt_u32_e32 8, v3
; %bb.254:                              ;   in Loop: Header=BB208_15 Depth=1
	s_delay_alu instid0(VALU_DEP_2) | instskip(NEXT) | instid1(VALU_DEP_1)
	v_clz_i32_u32_e32 v2, v88
	v_min_u32_e32 v2, 32, v2
	s_delay_alu instid0(VALU_DEP_1) | instskip(NEXT) | instid1(VALU_DEP_1)
	v_subrev_nc_u32_e32 v3, 28, v2
	v_lshlrev_b64_e32 v[4:5], v3, v[88:89]
	s_delay_alu instid0(VALU_DEP_1)
	v_dual_sub_nc_u32 v2, 29, v2 :: v_dual_bitop2_b32 v88, 7, v4 bitop3:0x40
; %bb.255:                              ;   in Loop: Header=BB208_15 Depth=1
	s_or_b32 exec_lo, exec_lo, s17
	s_delay_alu instid0(VALU_DEP_1) | instskip(NEXT) | instid1(VALU_DEP_2)
	v_dual_lshlrev_b32 v3, 16, v1 :: v_dual_lshlrev_b32 v4, 20, v88
	v_lshl_add_u32 v2, v2, 23, 0x3c000000
	s_delay_alu instid0(VALU_DEP_2) | instskip(NEXT) | instid1(VALU_DEP_1)
	v_and_b32_e32 v3, 0x80000000, v3
	v_or3_b32 v3, v4, v3, v2
	v_mov_b32_e32 v2, v89
	scratch_store_b64 off, v[2:3], s32 offset:412 ; 8-byte Folded Spill
.LBB208_256:                            ;   in Loop: Header=BB208_15 Depth=1
	s_wait_xcnt 0x0
	s_or_b32 exec_lo, exec_lo, s16
.LBB208_257:                            ;   in Loop: Header=BB208_15 Depth=1
	s_delay_alu instid0(SALU_CYCLE_1)
	s_or_b32 exec_lo, exec_lo, s15
.LBB208_258:                            ;   in Loop: Header=BB208_15 Depth=1
	s_delay_alu instid0(SALU_CYCLE_1) | instskip(SKIP_3) | instid1(VALU_DEP_1)
	s_or_b32 exec_lo, exec_lo, s14
	v_mov_b64_e32 v[4:5], 0
	v_lshrrev_b32_e32 v2, 16, v1
	s_mov_b32 s14, exec_lo
	v_and_b32_e32 v3, 0xff, v2
	scratch_store_b64 off, v[4:5], s32 offset:636 ; 8-byte Folded Spill
	s_wait_xcnt 0x0
	v_mov_b64_e32 v[4:5], 0
	scratch_store_b64 off, v[4:5], s32 offset:428 ; 8-byte Folded Spill
	s_wait_xcnt 0x0
	v_cmpx_ne_u16_e32 0, v3
	s_cbranch_execz .LBB208_266
; %bb.259:                              ;   in Loop: Header=BB208_15 Depth=1
	v_mov_b64_e32 v[4:5], 0x80000000
	s_mov_b32 s15, exec_lo
	scratch_store_b64 off, v[4:5], s32 offset:428 ; 8-byte Folded Spill
	s_wait_xcnt 0x0
	v_cmpx_ne_u16_e32 0x80, v3
	s_cbranch_execz .LBB208_265
; %bb.260:                              ;   in Loop: Header=BB208_15 Depth=1
	v_mov_b64_e32 v[6:7], 0x7f800001
	v_bfe_u32 v4, v1, 16, 7
	s_mov_b32 s16, exec_lo
	scratch_store_b64 off, v[6:7], s32 offset:428 ; 8-byte Folded Spill
	s_wait_xcnt 0x0
	v_cmpx_ne_u32_e32 0x7f, v4
	s_cbranch_execz .LBB208_264
; %bb.261:                              ;   in Loop: Header=BB208_15 Depth=1
	v_dual_lshrrev_b32 v3, 3, v4 :: v_dual_bitop2_b32 v88, 7, v2 bitop3:0x40
	s_mov_b32 s17, exec_lo
	v_cmpx_gt_u32_e32 8, v4
; %bb.262:                              ;   in Loop: Header=BB208_15 Depth=1
	s_delay_alu instid0(VALU_DEP_2) | instskip(NEXT) | instid1(VALU_DEP_1)
	v_clz_i32_u32_e32 v3, v88
	v_min_u32_e32 v3, 32, v3
	s_delay_alu instid0(VALU_DEP_1) | instskip(NEXT) | instid1(VALU_DEP_1)
	v_subrev_nc_u32_e32 v4, 28, v3
	v_lshlrev_b64_e32 v[4:5], v4, v[88:89]
	s_delay_alu instid0(VALU_DEP_1)
	v_dual_sub_nc_u32 v3, 29, v3 :: v_dual_bitop2_b32 v88, 7, v4 bitop3:0x40
; %bb.263:                              ;   in Loop: Header=BB208_15 Depth=1
	s_or_b32 exec_lo, exec_lo, s17
	s_delay_alu instid0(VALU_DEP_1) | instskip(NEXT) | instid1(VALU_DEP_2)
	v_dual_lshlrev_b32 v2, 24, v2 :: v_dual_lshlrev_b32 v4, 20, v88
	v_lshl_add_u32 v3, v3, 23, 0x3c000000
	s_delay_alu instid0(VALU_DEP_2) | instskip(NEXT) | instid1(VALU_DEP_1)
	v_and_b32_e32 v2, 0x80000000, v2
	v_or3_b32 v88, v4, v2, v3
	scratch_store_b64 off, v[88:89], s32 offset:428 ; 8-byte Folded Spill
.LBB208_264:                            ;   in Loop: Header=BB208_15 Depth=1
	s_wait_xcnt 0x0
	s_or_b32 exec_lo, exec_lo, s16
.LBB208_265:                            ;   in Loop: Header=BB208_15 Depth=1
	s_delay_alu instid0(SALU_CYCLE_1)
	s_or_b32 exec_lo, exec_lo, s15
.LBB208_266:                            ;   in Loop: Header=BB208_15 Depth=1
	s_delay_alu instid0(SALU_CYCLE_1) | instskip(NEXT) | instid1(SALU_CYCLE_1)
	s_or_b32 exec_lo, exec_lo, s14
	s_mov_b32 s14, exec_lo
	v_cmpx_lt_u32_e32 0xffffff, v1
	s_cbranch_execz .LBB208_274
; %bb.267:                              ;   in Loop: Header=BB208_15 Depth=1
	v_mov_b64_e32 v[4:5], 0x8000000000000000
	v_lshrrev_b32_e32 v2, 24, v1
	s_mov_b32 s15, exec_lo
	scratch_store_b64 off, v[4:5], s32 offset:636 ; 8-byte Folded Spill
	s_wait_xcnt 0x0
	v_cmpx_ne_u32_e32 0x80, v2
	s_cbranch_execz .LBB208_273
; %bb.268:                              ;   in Loop: Header=BB208_15 Depth=1
	v_bfe_u32 v3, v1, 24, 7
	v_mov_b64_e32 v[0:1], 0x7f80000100000000
	s_mov_b32 s16, exec_lo
	s_delay_alu instid0(VALU_DEP_2)
	v_cmpx_ne_u32_e32 0x7f, v3
	s_cbranch_execz .LBB208_272
; %bb.269:                              ;   in Loop: Header=BB208_15 Depth=1
	v_dual_lshrrev_b32 v1, 3, v3 :: v_dual_bitop2_b32 v88, 7, v2 bitop3:0x40
	s_mov_b32 s17, exec_lo
	v_cmpx_gt_u32_e32 8, v3
; %bb.270:                              ;   in Loop: Header=BB208_15 Depth=1
	s_delay_alu instid0(VALU_DEP_2) | instskip(NEXT) | instid1(VALU_DEP_1)
	v_clz_i32_u32_e32 v1, v88
	v_min_u32_e32 v1, 32, v1
	s_delay_alu instid0(VALU_DEP_1) | instskip(NEXT) | instid1(VALU_DEP_1)
	v_subrev_nc_u32_e32 v3, 28, v1
	v_lshlrev_b64_e32 v[4:5], v3, v[88:89]
	s_delay_alu instid0(VALU_DEP_1)
	v_dual_sub_nc_u32 v1, 29, v1 :: v_dual_bitop2_b32 v88, 7, v4 bitop3:0x40
; %bb.271:                              ;   in Loop: Header=BB208_15 Depth=1
	s_or_b32 exec_lo, exec_lo, s17
	s_delay_alu instid0(VALU_DEP_1) | instskip(NEXT) | instid1(VALU_DEP_2)
	v_dual_lshlrev_b32 v2, 24, v2 :: v_dual_lshlrev_b32 v3, 20, v88
	v_lshl_add_u32 v1, v1, 23, 0x3c000000
	v_mov_b32_e32 v0, v89
	s_delay_alu instid0(VALU_DEP_3) | instskip(NEXT) | instid1(VALU_DEP_1)
	v_and_b32_e32 v2, 0x80000000, v2
	v_or3_b32 v1, v3, v2, v1
.LBB208_272:                            ;   in Loop: Header=BB208_15 Depth=1
	s_or_b32 exec_lo, exec_lo, s16
	scratch_store_b64 off, v[0:1], s32 offset:636 ; 8-byte Folded Spill
.LBB208_273:                            ;   in Loop: Header=BB208_15 Depth=1
	s_wait_xcnt 0x0
	s_or_b32 exec_lo, exec_lo, s15
.LBB208_274:                            ;   in Loop: Header=BB208_15 Depth=1
	s_delay_alu instid0(SALU_CYCLE_1)
	s_or_b32 exec_lo, exec_lo, s14
	flat_load_b32 v1, v[36:37] offset:1024
	v_mov_b64_e32 v[4:5], 0
	s_mov_b32 s14, exec_lo
	scratch_store_b64 off, v[4:5], s32 offset:436 ; 8-byte Folded Spill
	s_wait_xcnt 0x0
	v_mov_b64_e32 v[4:5], 0
	scratch_store_b64 off, v[4:5], s32 offset:444 ; 8-byte Folded Spill
	s_wait_loadcnt_dscnt 0x0
	v_and_b32_e32 v2, 0xff, v1
	s_wait_xcnt 0x0
	s_delay_alu instid0(VALU_DEP_1)
	v_cmpx_ne_u16_e32 0, v2
	s_cbranch_execz .LBB208_282
; %bb.275:                              ;   in Loop: Header=BB208_15 Depth=1
	v_cmp_ne_u16_e64 s1, 0x80, v2
	v_mov_b64_e32 v[2:3], 0x80000000
	scratch_store_b64 off, v[2:3], s32 offset:444 ; 8-byte Folded Spill
	s_wait_xcnt 0x0
	s_and_saveexec_b32 s15, s1
	s_cbranch_execz .LBB208_281
; %bb.276:                              ;   in Loop: Header=BB208_15 Depth=1
	v_mov_b64_e32 v[4:5], 0x7f800001
	v_and_b32_e32 v3, 0x7f, v1
	s_mov_b32 s16, exec_lo
	scratch_store_b64 off, v[4:5], s32 offset:444 ; 8-byte Folded Spill
	s_wait_xcnt 0x0
	v_cmpx_ne_u32_e32 0x7f, v3
	s_cbranch_execz .LBB208_280
; %bb.277:                              ;   in Loop: Header=BB208_15 Depth=1
	v_dual_lshrrev_b32 v2, 3, v3 :: v_dual_bitop2_b32 v88, 7, v1 bitop3:0x40
	s_mov_b32 s17, exec_lo
	v_cmpx_gt_u32_e32 8, v3
; %bb.278:                              ;   in Loop: Header=BB208_15 Depth=1
	s_delay_alu instid0(VALU_DEP_2) | instskip(NEXT) | instid1(VALU_DEP_1)
	v_clz_i32_u32_e32 v2, v88
	v_min_u32_e32 v2, 32, v2
	s_delay_alu instid0(VALU_DEP_1) | instskip(NEXT) | instid1(VALU_DEP_1)
	v_subrev_nc_u32_e32 v3, 28, v2
	v_lshlrev_b64_e32 v[4:5], v3, v[88:89]
	s_delay_alu instid0(VALU_DEP_1)
	v_dual_sub_nc_u32 v2, 29, v2 :: v_dual_bitop2_b32 v88, 7, v4 bitop3:0x40
; %bb.279:                              ;   in Loop: Header=BB208_15 Depth=1
	s_or_b32 exec_lo, exec_lo, s17
	s_delay_alu instid0(VALU_DEP_1) | instskip(NEXT) | instid1(VALU_DEP_2)
	v_dual_lshlrev_b32 v3, 24, v1 :: v_dual_lshlrev_b32 v4, 20, v88
	v_lshl_add_u32 v2, v2, 23, 0x3c000000
	s_delay_alu instid0(VALU_DEP_2) | instskip(NEXT) | instid1(VALU_DEP_1)
	v_and_b32_e32 v3, 0x80000000, v3
	v_or3_b32 v88, v4, v3, v2
	scratch_store_b64 off, v[88:89], s32 offset:444 ; 8-byte Folded Spill
.LBB208_280:                            ;   in Loop: Header=BB208_15 Depth=1
	s_wait_xcnt 0x0
	s_or_b32 exec_lo, exec_lo, s16
.LBB208_281:                            ;   in Loop: Header=BB208_15 Depth=1
	s_delay_alu instid0(SALU_CYCLE_1)
	s_or_b32 exec_lo, exec_lo, s15
.LBB208_282:                            ;   in Loop: Header=BB208_15 Depth=1
	s_delay_alu instid0(SALU_CYCLE_1) | instskip(SKIP_2) | instid1(VALU_DEP_1)
	s_or_b32 exec_lo, exec_lo, s14
	v_lshrrev_b16 v2, 8, v1
	s_mov_b32 s14, exec_lo
	v_cmpx_ne_u16_e32 0, v2
	s_cbranch_execz .LBB208_290
; %bb.283:                              ;   in Loop: Header=BB208_15 Depth=1
	v_mov_b64_e32 v[4:5], 0x8000000000000000
	s_mov_b32 s15, exec_lo
	scratch_store_b64 off, v[4:5], s32 offset:436 ; 8-byte Folded Spill
	s_wait_xcnt 0x0
	v_cmpx_ne_u16_e32 0x80, v2
	s_cbranch_execz .LBB208_289
; %bb.284:                              ;   in Loop: Header=BB208_15 Depth=1
	v_and_b32_e32 v2, 0xffff, v2
	v_mov_b64_e32 v[4:5], 0x7f80000100000000
	s_mov_b32 s16, exec_lo
	s_delay_alu instid0(VALU_DEP_2)
	v_and_b32_e32 v3, 0x7f, v2
	scratch_store_b64 off, v[4:5], s32 offset:436 ; 8-byte Folded Spill
	s_wait_xcnt 0x0
	v_cmpx_ne_u32_e32 0x7f, v3
	s_cbranch_execz .LBB208_288
; %bb.285:                              ;   in Loop: Header=BB208_15 Depth=1
	v_dual_lshrrev_b32 v2, 3, v3 :: v_dual_bitop2_b32 v88, 7, v2 bitop3:0x40
	s_mov_b32 s17, exec_lo
	v_cmpx_gt_u32_e32 8, v3
; %bb.286:                              ;   in Loop: Header=BB208_15 Depth=1
	s_delay_alu instid0(VALU_DEP_2) | instskip(NEXT) | instid1(VALU_DEP_1)
	v_clz_i32_u32_e32 v2, v88
	v_min_u32_e32 v2, 32, v2
	s_delay_alu instid0(VALU_DEP_1) | instskip(NEXT) | instid1(VALU_DEP_1)
	v_subrev_nc_u32_e32 v3, 28, v2
	v_lshlrev_b64_e32 v[4:5], v3, v[88:89]
	s_delay_alu instid0(VALU_DEP_1)
	v_dual_sub_nc_u32 v2, 29, v2 :: v_dual_bitop2_b32 v88, 7, v4 bitop3:0x40
; %bb.287:                              ;   in Loop: Header=BB208_15 Depth=1
	s_or_b32 exec_lo, exec_lo, s17
	s_delay_alu instid0(VALU_DEP_1) | instskip(NEXT) | instid1(VALU_DEP_2)
	v_dual_lshlrev_b32 v3, 16, v1 :: v_dual_lshlrev_b32 v4, 20, v88
	v_lshl_add_u32 v2, v2, 23, 0x3c000000
	s_delay_alu instid0(VALU_DEP_2) | instskip(NEXT) | instid1(VALU_DEP_1)
	v_and_b32_e32 v3, 0x80000000, v3
	v_or3_b32 v3, v4, v3, v2
	v_mov_b32_e32 v2, v89
	scratch_store_b64 off, v[2:3], s32 offset:436 ; 8-byte Folded Spill
.LBB208_288:                            ;   in Loop: Header=BB208_15 Depth=1
	s_wait_xcnt 0x0
	s_or_b32 exec_lo, exec_lo, s16
.LBB208_289:                            ;   in Loop: Header=BB208_15 Depth=1
	s_delay_alu instid0(SALU_CYCLE_1)
	s_or_b32 exec_lo, exec_lo, s15
.LBB208_290:                            ;   in Loop: Header=BB208_15 Depth=1
	s_delay_alu instid0(SALU_CYCLE_1) | instskip(SKIP_3) | instid1(VALU_DEP_1)
	s_or_b32 exec_lo, exec_lo, s14
	v_mov_b64_e32 v[4:5], 0
	v_lshrrev_b32_e32 v2, 16, v1
	s_mov_b32 s14, exec_lo
	v_and_b32_e32 v3, 0xff, v2
	scratch_store_b64 off, v[4:5], s32 offset:644 ; 8-byte Folded Spill
	s_wait_xcnt 0x0
	v_mov_b64_e32 v[4:5], 0
	scratch_store_b64 off, v[4:5], s32 offset:452 ; 8-byte Folded Spill
	s_wait_xcnt 0x0
	v_cmpx_ne_u16_e32 0, v3
	s_cbranch_execz .LBB208_298
; %bb.291:                              ;   in Loop: Header=BB208_15 Depth=1
	v_mov_b64_e32 v[4:5], 0x80000000
	s_mov_b32 s15, exec_lo
	scratch_store_b64 off, v[4:5], s32 offset:452 ; 8-byte Folded Spill
	s_wait_xcnt 0x0
	v_cmpx_ne_u16_e32 0x80, v3
	s_cbranch_execz .LBB208_297
; %bb.292:                              ;   in Loop: Header=BB208_15 Depth=1
	v_mov_b64_e32 v[6:7], 0x7f800001
	v_bfe_u32 v4, v1, 16, 7
	s_mov_b32 s16, exec_lo
	scratch_store_b64 off, v[6:7], s32 offset:452 ; 8-byte Folded Spill
	s_wait_xcnt 0x0
	v_cmpx_ne_u32_e32 0x7f, v4
	s_cbranch_execz .LBB208_296
; %bb.293:                              ;   in Loop: Header=BB208_15 Depth=1
	v_dual_lshrrev_b32 v3, 3, v4 :: v_dual_bitop2_b32 v88, 7, v2 bitop3:0x40
	s_mov_b32 s17, exec_lo
	v_cmpx_gt_u32_e32 8, v4
; %bb.294:                              ;   in Loop: Header=BB208_15 Depth=1
	s_delay_alu instid0(VALU_DEP_2) | instskip(NEXT) | instid1(VALU_DEP_1)
	v_clz_i32_u32_e32 v3, v88
	v_min_u32_e32 v3, 32, v3
	s_delay_alu instid0(VALU_DEP_1) | instskip(NEXT) | instid1(VALU_DEP_1)
	v_subrev_nc_u32_e32 v4, 28, v3
	v_lshlrev_b64_e32 v[4:5], v4, v[88:89]
	s_delay_alu instid0(VALU_DEP_1)
	v_dual_sub_nc_u32 v3, 29, v3 :: v_dual_bitop2_b32 v88, 7, v4 bitop3:0x40
; %bb.295:                              ;   in Loop: Header=BB208_15 Depth=1
	s_or_b32 exec_lo, exec_lo, s17
	s_delay_alu instid0(VALU_DEP_1) | instskip(NEXT) | instid1(VALU_DEP_2)
	v_dual_lshlrev_b32 v2, 24, v2 :: v_dual_lshlrev_b32 v4, 20, v88
	v_lshl_add_u32 v3, v3, 23, 0x3c000000
	s_delay_alu instid0(VALU_DEP_2) | instskip(NEXT) | instid1(VALU_DEP_1)
	v_and_b32_e32 v2, 0x80000000, v2
	v_or3_b32 v88, v4, v2, v3
	scratch_store_b64 off, v[88:89], s32 offset:452 ; 8-byte Folded Spill
.LBB208_296:                            ;   in Loop: Header=BB208_15 Depth=1
	s_wait_xcnt 0x0
	s_or_b32 exec_lo, exec_lo, s16
.LBB208_297:                            ;   in Loop: Header=BB208_15 Depth=1
	s_delay_alu instid0(SALU_CYCLE_1)
	s_or_b32 exec_lo, exec_lo, s15
.LBB208_298:                            ;   in Loop: Header=BB208_15 Depth=1
	s_delay_alu instid0(SALU_CYCLE_1) | instskip(NEXT) | instid1(SALU_CYCLE_1)
	s_or_b32 exec_lo, exec_lo, s14
	s_mov_b32 s14, exec_lo
	v_cmpx_lt_u32_e32 0xffffff, v1
	s_cbranch_execz .LBB208_306
; %bb.299:                              ;   in Loop: Header=BB208_15 Depth=1
	v_mov_b64_e32 v[4:5], 0x8000000000000000
	v_lshrrev_b32_e32 v2, 24, v1
	s_mov_b32 s15, exec_lo
	scratch_store_b64 off, v[4:5], s32 offset:644 ; 8-byte Folded Spill
	s_wait_xcnt 0x0
	v_cmpx_ne_u32_e32 0x80, v2
	s_cbranch_execz .LBB208_305
; %bb.300:                              ;   in Loop: Header=BB208_15 Depth=1
	v_bfe_u32 v3, v1, 24, 7
	v_mov_b64_e32 v[0:1], 0x7f80000100000000
	s_mov_b32 s16, exec_lo
	s_delay_alu instid0(VALU_DEP_2)
	v_cmpx_ne_u32_e32 0x7f, v3
	s_cbranch_execz .LBB208_304
; %bb.301:                              ;   in Loop: Header=BB208_15 Depth=1
	v_dual_lshrrev_b32 v1, 3, v3 :: v_dual_bitop2_b32 v88, 7, v2 bitop3:0x40
	s_mov_b32 s17, exec_lo
	v_cmpx_gt_u32_e32 8, v3
; %bb.302:                              ;   in Loop: Header=BB208_15 Depth=1
	s_delay_alu instid0(VALU_DEP_2) | instskip(NEXT) | instid1(VALU_DEP_1)
	v_clz_i32_u32_e32 v1, v88
	v_min_u32_e32 v1, 32, v1
	s_delay_alu instid0(VALU_DEP_1) | instskip(NEXT) | instid1(VALU_DEP_1)
	v_subrev_nc_u32_e32 v3, 28, v1
	v_lshlrev_b64_e32 v[4:5], v3, v[88:89]
	s_delay_alu instid0(VALU_DEP_1)
	v_dual_sub_nc_u32 v1, 29, v1 :: v_dual_bitop2_b32 v88, 7, v4 bitop3:0x40
; %bb.303:                              ;   in Loop: Header=BB208_15 Depth=1
	s_or_b32 exec_lo, exec_lo, s17
	s_delay_alu instid0(VALU_DEP_1) | instskip(NEXT) | instid1(VALU_DEP_2)
	v_dual_lshlrev_b32 v2, 24, v2 :: v_dual_lshlrev_b32 v3, 20, v88
	v_lshl_add_u32 v1, v1, 23, 0x3c000000
	v_mov_b32_e32 v0, v89
	s_delay_alu instid0(VALU_DEP_3) | instskip(NEXT) | instid1(VALU_DEP_1)
	v_and_b32_e32 v2, 0x80000000, v2
	v_or3_b32 v1, v3, v2, v1
.LBB208_304:                            ;   in Loop: Header=BB208_15 Depth=1
	s_or_b32 exec_lo, exec_lo, s16
	scratch_store_b64 off, v[0:1], s32 offset:644 ; 8-byte Folded Spill
.LBB208_305:                            ;   in Loop: Header=BB208_15 Depth=1
	s_wait_xcnt 0x0
	s_or_b32 exec_lo, exec_lo, s15
.LBB208_306:                            ;   in Loop: Header=BB208_15 Depth=1
	s_delay_alu instid0(SALU_CYCLE_1)
	s_or_b32 exec_lo, exec_lo, s14
	flat_load_b32 v1, v[36:37] offset:1028
	v_mov_b64_e32 v[4:5], 0
	s_mov_b32 s14, exec_lo
	scratch_store_b64 off, v[4:5], s32 offset:460 ; 8-byte Folded Spill
	s_wait_xcnt 0x0
	v_mov_b64_e32 v[4:5], 0
	scratch_store_b64 off, v[4:5], s32 offset:468 ; 8-byte Folded Spill
	s_wait_loadcnt_dscnt 0x0
	v_and_b32_e32 v2, 0xff, v1
	s_wait_xcnt 0x0
	s_delay_alu instid0(VALU_DEP_1)
	v_cmpx_ne_u16_e32 0, v2
	s_cbranch_execz .LBB208_314
; %bb.307:                              ;   in Loop: Header=BB208_15 Depth=1
	v_cmp_ne_u16_e64 s1, 0x80, v2
	v_mov_b64_e32 v[2:3], 0x80000000
	scratch_store_b64 off, v[2:3], s32 offset:468 ; 8-byte Folded Spill
	s_wait_xcnt 0x0
	s_and_saveexec_b32 s15, s1
	s_cbranch_execz .LBB208_313
; %bb.308:                              ;   in Loop: Header=BB208_15 Depth=1
	v_mov_b64_e32 v[4:5], 0x7f800001
	v_and_b32_e32 v3, 0x7f, v1
	s_mov_b32 s16, exec_lo
	scratch_store_b64 off, v[4:5], s32 offset:468 ; 8-byte Folded Spill
	s_wait_xcnt 0x0
	v_cmpx_ne_u32_e32 0x7f, v3
	s_cbranch_execz .LBB208_312
; %bb.309:                              ;   in Loop: Header=BB208_15 Depth=1
	v_dual_lshrrev_b32 v2, 3, v3 :: v_dual_bitop2_b32 v88, 7, v1 bitop3:0x40
	s_mov_b32 s17, exec_lo
	v_cmpx_gt_u32_e32 8, v3
; %bb.310:                              ;   in Loop: Header=BB208_15 Depth=1
	s_delay_alu instid0(VALU_DEP_2) | instskip(NEXT) | instid1(VALU_DEP_1)
	v_clz_i32_u32_e32 v2, v88
	v_min_u32_e32 v2, 32, v2
	s_delay_alu instid0(VALU_DEP_1) | instskip(NEXT) | instid1(VALU_DEP_1)
	v_subrev_nc_u32_e32 v3, 28, v2
	v_lshlrev_b64_e32 v[4:5], v3, v[88:89]
	s_delay_alu instid0(VALU_DEP_1)
	v_dual_sub_nc_u32 v2, 29, v2 :: v_dual_bitop2_b32 v88, 7, v4 bitop3:0x40
; %bb.311:                              ;   in Loop: Header=BB208_15 Depth=1
	s_or_b32 exec_lo, exec_lo, s17
	s_delay_alu instid0(VALU_DEP_1) | instskip(NEXT) | instid1(VALU_DEP_2)
	v_dual_lshlrev_b32 v3, 24, v1 :: v_dual_lshlrev_b32 v4, 20, v88
	v_lshl_add_u32 v2, v2, 23, 0x3c000000
	s_delay_alu instid0(VALU_DEP_2) | instskip(NEXT) | instid1(VALU_DEP_1)
	v_and_b32_e32 v3, 0x80000000, v3
	v_or3_b32 v88, v4, v3, v2
	scratch_store_b64 off, v[88:89], s32 offset:468 ; 8-byte Folded Spill
.LBB208_312:                            ;   in Loop: Header=BB208_15 Depth=1
	s_wait_xcnt 0x0
	s_or_b32 exec_lo, exec_lo, s16
.LBB208_313:                            ;   in Loop: Header=BB208_15 Depth=1
	s_delay_alu instid0(SALU_CYCLE_1)
	s_or_b32 exec_lo, exec_lo, s15
.LBB208_314:                            ;   in Loop: Header=BB208_15 Depth=1
	s_delay_alu instid0(SALU_CYCLE_1) | instskip(SKIP_2) | instid1(VALU_DEP_1)
	s_or_b32 exec_lo, exec_lo, s14
	v_lshrrev_b16 v2, 8, v1
	s_mov_b32 s14, exec_lo
	v_cmpx_ne_u16_e32 0, v2
	s_cbranch_execz .LBB208_322
; %bb.315:                              ;   in Loop: Header=BB208_15 Depth=1
	v_mov_b64_e32 v[4:5], 0x8000000000000000
	s_mov_b32 s15, exec_lo
	scratch_store_b64 off, v[4:5], s32 offset:460 ; 8-byte Folded Spill
	s_wait_xcnt 0x0
	v_cmpx_ne_u16_e32 0x80, v2
	s_cbranch_execz .LBB208_321
; %bb.316:                              ;   in Loop: Header=BB208_15 Depth=1
	v_and_b32_e32 v2, 0xffff, v2
	v_mov_b64_e32 v[4:5], 0x7f80000100000000
	s_mov_b32 s16, exec_lo
	s_delay_alu instid0(VALU_DEP_2)
	v_and_b32_e32 v3, 0x7f, v2
	scratch_store_b64 off, v[4:5], s32 offset:460 ; 8-byte Folded Spill
	s_wait_xcnt 0x0
	v_cmpx_ne_u32_e32 0x7f, v3
	s_cbranch_execz .LBB208_320
; %bb.317:                              ;   in Loop: Header=BB208_15 Depth=1
	v_dual_lshrrev_b32 v2, 3, v3 :: v_dual_bitop2_b32 v88, 7, v2 bitop3:0x40
	s_mov_b32 s17, exec_lo
	v_cmpx_gt_u32_e32 8, v3
; %bb.318:                              ;   in Loop: Header=BB208_15 Depth=1
	s_delay_alu instid0(VALU_DEP_2) | instskip(NEXT) | instid1(VALU_DEP_1)
	v_clz_i32_u32_e32 v2, v88
	v_min_u32_e32 v2, 32, v2
	s_delay_alu instid0(VALU_DEP_1) | instskip(NEXT) | instid1(VALU_DEP_1)
	v_subrev_nc_u32_e32 v3, 28, v2
	v_lshlrev_b64_e32 v[4:5], v3, v[88:89]
	s_delay_alu instid0(VALU_DEP_1)
	v_dual_sub_nc_u32 v2, 29, v2 :: v_dual_bitop2_b32 v88, 7, v4 bitop3:0x40
; %bb.319:                              ;   in Loop: Header=BB208_15 Depth=1
	s_or_b32 exec_lo, exec_lo, s17
	s_delay_alu instid0(VALU_DEP_1) | instskip(NEXT) | instid1(VALU_DEP_2)
	v_dual_lshlrev_b32 v3, 16, v1 :: v_dual_lshlrev_b32 v4, 20, v88
	v_lshl_add_u32 v2, v2, 23, 0x3c000000
	s_delay_alu instid0(VALU_DEP_2) | instskip(NEXT) | instid1(VALU_DEP_1)
	v_and_b32_e32 v3, 0x80000000, v3
	v_or3_b32 v3, v4, v3, v2
	v_mov_b32_e32 v2, v89
	scratch_store_b64 off, v[2:3], s32 offset:460 ; 8-byte Folded Spill
.LBB208_320:                            ;   in Loop: Header=BB208_15 Depth=1
	s_wait_xcnt 0x0
	s_or_b32 exec_lo, exec_lo, s16
.LBB208_321:                            ;   in Loop: Header=BB208_15 Depth=1
	s_delay_alu instid0(SALU_CYCLE_1)
	s_or_b32 exec_lo, exec_lo, s15
.LBB208_322:                            ;   in Loop: Header=BB208_15 Depth=1
	s_delay_alu instid0(SALU_CYCLE_1) | instskip(SKIP_3) | instid1(VALU_DEP_1)
	s_or_b32 exec_lo, exec_lo, s14
	v_mov_b64_e32 v[4:5], 0
	v_lshrrev_b32_e32 v2, 16, v1
	s_mov_b32 s14, exec_lo
	v_and_b32_e32 v3, 0xff, v2
	scratch_store_b64 off, v[4:5], s32 offset:652 ; 8-byte Folded Spill
	s_wait_xcnt 0x0
	v_mov_b64_e32 v[4:5], 0
	scratch_store_b64 off, v[4:5], s32 offset:476 ; 8-byte Folded Spill
	s_wait_xcnt 0x0
	v_cmpx_ne_u16_e32 0, v3
	s_cbranch_execz .LBB208_330
; %bb.323:                              ;   in Loop: Header=BB208_15 Depth=1
	v_mov_b64_e32 v[4:5], 0x80000000
	s_mov_b32 s15, exec_lo
	scratch_store_b64 off, v[4:5], s32 offset:476 ; 8-byte Folded Spill
	s_wait_xcnt 0x0
	v_cmpx_ne_u16_e32 0x80, v3
	s_cbranch_execz .LBB208_329
; %bb.324:                              ;   in Loop: Header=BB208_15 Depth=1
	v_mov_b64_e32 v[6:7], 0x7f800001
	v_bfe_u32 v4, v1, 16, 7
	s_mov_b32 s16, exec_lo
	scratch_store_b64 off, v[6:7], s32 offset:476 ; 8-byte Folded Spill
	s_wait_xcnt 0x0
	v_cmpx_ne_u32_e32 0x7f, v4
	s_cbranch_execz .LBB208_328
; %bb.325:                              ;   in Loop: Header=BB208_15 Depth=1
	v_dual_lshrrev_b32 v3, 3, v4 :: v_dual_bitop2_b32 v88, 7, v2 bitop3:0x40
	s_mov_b32 s17, exec_lo
	v_cmpx_gt_u32_e32 8, v4
; %bb.326:                              ;   in Loop: Header=BB208_15 Depth=1
	s_delay_alu instid0(VALU_DEP_2) | instskip(NEXT) | instid1(VALU_DEP_1)
	v_clz_i32_u32_e32 v3, v88
	v_min_u32_e32 v3, 32, v3
	s_delay_alu instid0(VALU_DEP_1) | instskip(NEXT) | instid1(VALU_DEP_1)
	v_subrev_nc_u32_e32 v4, 28, v3
	v_lshlrev_b64_e32 v[4:5], v4, v[88:89]
	s_delay_alu instid0(VALU_DEP_1)
	v_dual_sub_nc_u32 v3, 29, v3 :: v_dual_bitop2_b32 v88, 7, v4 bitop3:0x40
; %bb.327:                              ;   in Loop: Header=BB208_15 Depth=1
	s_or_b32 exec_lo, exec_lo, s17
	s_delay_alu instid0(VALU_DEP_1) | instskip(NEXT) | instid1(VALU_DEP_2)
	v_dual_lshlrev_b32 v2, 24, v2 :: v_dual_lshlrev_b32 v4, 20, v88
	v_lshl_add_u32 v3, v3, 23, 0x3c000000
	s_delay_alu instid0(VALU_DEP_2) | instskip(NEXT) | instid1(VALU_DEP_1)
	v_and_b32_e32 v2, 0x80000000, v2
	v_or3_b32 v88, v4, v2, v3
	scratch_store_b64 off, v[88:89], s32 offset:476 ; 8-byte Folded Spill
.LBB208_328:                            ;   in Loop: Header=BB208_15 Depth=1
	s_wait_xcnt 0x0
	s_or_b32 exec_lo, exec_lo, s16
.LBB208_329:                            ;   in Loop: Header=BB208_15 Depth=1
	s_delay_alu instid0(SALU_CYCLE_1)
	s_or_b32 exec_lo, exec_lo, s15
.LBB208_330:                            ;   in Loop: Header=BB208_15 Depth=1
	s_delay_alu instid0(SALU_CYCLE_1) | instskip(NEXT) | instid1(SALU_CYCLE_1)
	s_or_b32 exec_lo, exec_lo, s14
	s_mov_b32 s14, exec_lo
	v_cmpx_lt_u32_e32 0xffffff, v1
	s_cbranch_execz .LBB208_338
; %bb.331:                              ;   in Loop: Header=BB208_15 Depth=1
	v_mov_b64_e32 v[4:5], 0x8000000000000000
	v_lshrrev_b32_e32 v2, 24, v1
	s_mov_b32 s15, exec_lo
	scratch_store_b64 off, v[4:5], s32 offset:652 ; 8-byte Folded Spill
	s_wait_xcnt 0x0
	v_cmpx_ne_u32_e32 0x80, v2
	s_cbranch_execz .LBB208_337
; %bb.332:                              ;   in Loop: Header=BB208_15 Depth=1
	v_bfe_u32 v3, v1, 24, 7
	v_mov_b64_e32 v[0:1], 0x7f80000100000000
	s_mov_b32 s16, exec_lo
	s_delay_alu instid0(VALU_DEP_2)
	v_cmpx_ne_u32_e32 0x7f, v3
	s_cbranch_execz .LBB208_336
; %bb.333:                              ;   in Loop: Header=BB208_15 Depth=1
	v_dual_lshrrev_b32 v1, 3, v3 :: v_dual_bitop2_b32 v88, 7, v2 bitop3:0x40
	s_mov_b32 s17, exec_lo
	v_cmpx_gt_u32_e32 8, v3
; %bb.334:                              ;   in Loop: Header=BB208_15 Depth=1
	s_delay_alu instid0(VALU_DEP_2) | instskip(NEXT) | instid1(VALU_DEP_1)
	v_clz_i32_u32_e32 v1, v88
	v_min_u32_e32 v1, 32, v1
	s_delay_alu instid0(VALU_DEP_1) | instskip(NEXT) | instid1(VALU_DEP_1)
	v_subrev_nc_u32_e32 v3, 28, v1
	v_lshlrev_b64_e32 v[4:5], v3, v[88:89]
	s_delay_alu instid0(VALU_DEP_1)
	v_dual_sub_nc_u32 v1, 29, v1 :: v_dual_bitop2_b32 v88, 7, v4 bitop3:0x40
; %bb.335:                              ;   in Loop: Header=BB208_15 Depth=1
	s_or_b32 exec_lo, exec_lo, s17
	s_delay_alu instid0(VALU_DEP_1) | instskip(NEXT) | instid1(VALU_DEP_2)
	v_dual_lshlrev_b32 v2, 24, v2 :: v_dual_lshlrev_b32 v3, 20, v88
	v_lshl_add_u32 v1, v1, 23, 0x3c000000
	v_mov_b32_e32 v0, v89
	s_delay_alu instid0(VALU_DEP_3) | instskip(NEXT) | instid1(VALU_DEP_1)
	v_and_b32_e32 v2, 0x80000000, v2
	v_or3_b32 v1, v3, v2, v1
.LBB208_336:                            ;   in Loop: Header=BB208_15 Depth=1
	s_or_b32 exec_lo, exec_lo, s16
	scratch_store_b64 off, v[0:1], s32 offset:652 ; 8-byte Folded Spill
.LBB208_337:                            ;   in Loop: Header=BB208_15 Depth=1
	s_wait_xcnt 0x0
	s_or_b32 exec_lo, exec_lo, s15
.LBB208_338:                            ;   in Loop: Header=BB208_15 Depth=1
	s_delay_alu instid0(SALU_CYCLE_1)
	s_or_b32 exec_lo, exec_lo, s14
	flat_load_b32 v1, v[36:37] offset:1032
	v_mov_b64_e32 v[4:5], 0
	s_mov_b32 s14, exec_lo
	scratch_store_b64 off, v[4:5], s32 offset:484 ; 8-byte Folded Spill
	s_wait_xcnt 0x0
	v_mov_b64_e32 v[4:5], 0
	scratch_store_b64 off, v[4:5], s32 offset:492 ; 8-byte Folded Spill
	s_wait_loadcnt_dscnt 0x0
	v_and_b32_e32 v2, 0xff, v1
	s_wait_xcnt 0x0
	s_delay_alu instid0(VALU_DEP_1)
	v_cmpx_ne_u16_e32 0, v2
	s_cbranch_execz .LBB208_346
; %bb.339:                              ;   in Loop: Header=BB208_15 Depth=1
	v_cmp_ne_u16_e64 s1, 0x80, v2
	v_mov_b64_e32 v[2:3], 0x80000000
	scratch_store_b64 off, v[2:3], s32 offset:492 ; 8-byte Folded Spill
	s_wait_xcnt 0x0
	s_and_saveexec_b32 s15, s1
	s_cbranch_execz .LBB208_345
; %bb.340:                              ;   in Loop: Header=BB208_15 Depth=1
	v_mov_b64_e32 v[4:5], 0x7f800001
	v_and_b32_e32 v3, 0x7f, v1
	s_mov_b32 s16, exec_lo
	scratch_store_b64 off, v[4:5], s32 offset:492 ; 8-byte Folded Spill
	s_wait_xcnt 0x0
	v_cmpx_ne_u32_e32 0x7f, v3
	s_cbranch_execz .LBB208_344
; %bb.341:                              ;   in Loop: Header=BB208_15 Depth=1
	v_dual_lshrrev_b32 v2, 3, v3 :: v_dual_bitop2_b32 v88, 7, v1 bitop3:0x40
	s_mov_b32 s17, exec_lo
	v_cmpx_gt_u32_e32 8, v3
; %bb.342:                              ;   in Loop: Header=BB208_15 Depth=1
	s_delay_alu instid0(VALU_DEP_2) | instskip(NEXT) | instid1(VALU_DEP_1)
	v_clz_i32_u32_e32 v2, v88
	v_min_u32_e32 v2, 32, v2
	s_delay_alu instid0(VALU_DEP_1) | instskip(NEXT) | instid1(VALU_DEP_1)
	v_subrev_nc_u32_e32 v3, 28, v2
	v_lshlrev_b64_e32 v[4:5], v3, v[88:89]
	s_delay_alu instid0(VALU_DEP_1)
	v_dual_sub_nc_u32 v2, 29, v2 :: v_dual_bitop2_b32 v88, 7, v4 bitop3:0x40
; %bb.343:                              ;   in Loop: Header=BB208_15 Depth=1
	s_or_b32 exec_lo, exec_lo, s17
	s_delay_alu instid0(VALU_DEP_1) | instskip(NEXT) | instid1(VALU_DEP_2)
	v_dual_lshlrev_b32 v3, 24, v1 :: v_dual_lshlrev_b32 v4, 20, v88
	v_lshl_add_u32 v2, v2, 23, 0x3c000000
	s_delay_alu instid0(VALU_DEP_2) | instskip(NEXT) | instid1(VALU_DEP_1)
	v_and_b32_e32 v3, 0x80000000, v3
	v_or3_b32 v88, v4, v3, v2
	scratch_store_b64 off, v[88:89], s32 offset:492 ; 8-byte Folded Spill
.LBB208_344:                            ;   in Loop: Header=BB208_15 Depth=1
	s_wait_xcnt 0x0
	s_or_b32 exec_lo, exec_lo, s16
.LBB208_345:                            ;   in Loop: Header=BB208_15 Depth=1
	s_delay_alu instid0(SALU_CYCLE_1)
	s_or_b32 exec_lo, exec_lo, s15
.LBB208_346:                            ;   in Loop: Header=BB208_15 Depth=1
	s_delay_alu instid0(SALU_CYCLE_1) | instskip(SKIP_2) | instid1(VALU_DEP_1)
	s_or_b32 exec_lo, exec_lo, s14
	v_lshrrev_b16 v2, 8, v1
	s_mov_b32 s14, exec_lo
	v_cmpx_ne_u16_e32 0, v2
	s_cbranch_execz .LBB208_354
; %bb.347:                              ;   in Loop: Header=BB208_15 Depth=1
	v_mov_b64_e32 v[4:5], 0x8000000000000000
	s_mov_b32 s15, exec_lo
	scratch_store_b64 off, v[4:5], s32 offset:484 ; 8-byte Folded Spill
	s_wait_xcnt 0x0
	v_cmpx_ne_u16_e32 0x80, v2
	s_cbranch_execz .LBB208_353
; %bb.348:                              ;   in Loop: Header=BB208_15 Depth=1
	v_and_b32_e32 v2, 0xffff, v2
	v_mov_b64_e32 v[4:5], 0x7f80000100000000
	s_mov_b32 s16, exec_lo
	s_delay_alu instid0(VALU_DEP_2)
	v_and_b32_e32 v3, 0x7f, v2
	scratch_store_b64 off, v[4:5], s32 offset:484 ; 8-byte Folded Spill
	s_wait_xcnt 0x0
	v_cmpx_ne_u32_e32 0x7f, v3
	s_cbranch_execz .LBB208_352
; %bb.349:                              ;   in Loop: Header=BB208_15 Depth=1
	v_dual_lshrrev_b32 v2, 3, v3 :: v_dual_bitop2_b32 v88, 7, v2 bitop3:0x40
	s_mov_b32 s17, exec_lo
	v_cmpx_gt_u32_e32 8, v3
; %bb.350:                              ;   in Loop: Header=BB208_15 Depth=1
	s_delay_alu instid0(VALU_DEP_2) | instskip(NEXT) | instid1(VALU_DEP_1)
	v_clz_i32_u32_e32 v2, v88
	v_min_u32_e32 v2, 32, v2
	s_delay_alu instid0(VALU_DEP_1) | instskip(NEXT) | instid1(VALU_DEP_1)
	v_subrev_nc_u32_e32 v3, 28, v2
	v_lshlrev_b64_e32 v[4:5], v3, v[88:89]
	s_delay_alu instid0(VALU_DEP_1)
	v_dual_sub_nc_u32 v2, 29, v2 :: v_dual_bitop2_b32 v88, 7, v4 bitop3:0x40
; %bb.351:                              ;   in Loop: Header=BB208_15 Depth=1
	s_or_b32 exec_lo, exec_lo, s17
	s_delay_alu instid0(VALU_DEP_1) | instskip(NEXT) | instid1(VALU_DEP_2)
	v_dual_lshlrev_b32 v3, 16, v1 :: v_dual_lshlrev_b32 v4, 20, v88
	v_lshl_add_u32 v2, v2, 23, 0x3c000000
	s_delay_alu instid0(VALU_DEP_2) | instskip(NEXT) | instid1(VALU_DEP_1)
	v_and_b32_e32 v3, 0x80000000, v3
	v_or3_b32 v3, v4, v3, v2
	v_mov_b32_e32 v2, v89
	scratch_store_b64 off, v[2:3], s32 offset:484 ; 8-byte Folded Spill
.LBB208_352:                            ;   in Loop: Header=BB208_15 Depth=1
	s_wait_xcnt 0x0
	s_or_b32 exec_lo, exec_lo, s16
.LBB208_353:                            ;   in Loop: Header=BB208_15 Depth=1
	s_delay_alu instid0(SALU_CYCLE_1)
	s_or_b32 exec_lo, exec_lo, s15
.LBB208_354:                            ;   in Loop: Header=BB208_15 Depth=1
	s_delay_alu instid0(SALU_CYCLE_1) | instskip(SKIP_3) | instid1(VALU_DEP_1)
	s_or_b32 exec_lo, exec_lo, s14
	v_mov_b64_e32 v[4:5], 0
	v_lshrrev_b32_e32 v2, 16, v1
	s_mov_b32 s14, exec_lo
	v_and_b32_e32 v3, 0xff, v2
	scratch_store_b64 off, v[4:5], s32 offset:660 ; 8-byte Folded Spill
	s_wait_xcnt 0x0
	v_mov_b64_e32 v[4:5], 0
	scratch_store_b64 off, v[4:5], s32 offset:500 ; 8-byte Folded Spill
	s_wait_xcnt 0x0
	v_cmpx_ne_u16_e32 0, v3
	s_cbranch_execz .LBB208_362
; %bb.355:                              ;   in Loop: Header=BB208_15 Depth=1
	v_mov_b64_e32 v[4:5], 0x80000000
	s_mov_b32 s15, exec_lo
	scratch_store_b64 off, v[4:5], s32 offset:500 ; 8-byte Folded Spill
	s_wait_xcnt 0x0
	v_cmpx_ne_u16_e32 0x80, v3
	s_cbranch_execz .LBB208_361
; %bb.356:                              ;   in Loop: Header=BB208_15 Depth=1
	v_mov_b64_e32 v[6:7], 0x7f800001
	v_bfe_u32 v4, v1, 16, 7
	s_mov_b32 s16, exec_lo
	scratch_store_b64 off, v[6:7], s32 offset:500 ; 8-byte Folded Spill
	s_wait_xcnt 0x0
	v_cmpx_ne_u32_e32 0x7f, v4
	s_cbranch_execz .LBB208_360
; %bb.357:                              ;   in Loop: Header=BB208_15 Depth=1
	v_dual_lshrrev_b32 v3, 3, v4 :: v_dual_bitop2_b32 v88, 7, v2 bitop3:0x40
	s_mov_b32 s17, exec_lo
	v_cmpx_gt_u32_e32 8, v4
; %bb.358:                              ;   in Loop: Header=BB208_15 Depth=1
	s_delay_alu instid0(VALU_DEP_2) | instskip(NEXT) | instid1(VALU_DEP_1)
	v_clz_i32_u32_e32 v3, v88
	v_min_u32_e32 v3, 32, v3
	s_delay_alu instid0(VALU_DEP_1) | instskip(NEXT) | instid1(VALU_DEP_1)
	v_subrev_nc_u32_e32 v4, 28, v3
	v_lshlrev_b64_e32 v[4:5], v4, v[88:89]
	s_delay_alu instid0(VALU_DEP_1)
	v_dual_sub_nc_u32 v3, 29, v3 :: v_dual_bitop2_b32 v88, 7, v4 bitop3:0x40
; %bb.359:                              ;   in Loop: Header=BB208_15 Depth=1
	s_or_b32 exec_lo, exec_lo, s17
	s_delay_alu instid0(VALU_DEP_1) | instskip(NEXT) | instid1(VALU_DEP_2)
	v_dual_lshlrev_b32 v2, 24, v2 :: v_dual_lshlrev_b32 v4, 20, v88
	v_lshl_add_u32 v3, v3, 23, 0x3c000000
	s_delay_alu instid0(VALU_DEP_2) | instskip(NEXT) | instid1(VALU_DEP_1)
	v_and_b32_e32 v2, 0x80000000, v2
	v_or3_b32 v88, v4, v2, v3
	scratch_store_b64 off, v[88:89], s32 offset:500 ; 8-byte Folded Spill
.LBB208_360:                            ;   in Loop: Header=BB208_15 Depth=1
	s_wait_xcnt 0x0
	s_or_b32 exec_lo, exec_lo, s16
.LBB208_361:                            ;   in Loop: Header=BB208_15 Depth=1
	s_delay_alu instid0(SALU_CYCLE_1)
	s_or_b32 exec_lo, exec_lo, s15
.LBB208_362:                            ;   in Loop: Header=BB208_15 Depth=1
	s_delay_alu instid0(SALU_CYCLE_1) | instskip(NEXT) | instid1(SALU_CYCLE_1)
	s_or_b32 exec_lo, exec_lo, s14
	s_mov_b32 s14, exec_lo
	v_cmpx_lt_u32_e32 0xffffff, v1
	s_cbranch_execz .LBB208_370
; %bb.363:                              ;   in Loop: Header=BB208_15 Depth=1
	v_mov_b64_e32 v[4:5], 0x8000000000000000
	v_lshrrev_b32_e32 v2, 24, v1
	s_mov_b32 s15, exec_lo
	scratch_store_b64 off, v[4:5], s32 offset:660 ; 8-byte Folded Spill
	s_wait_xcnt 0x0
	v_cmpx_ne_u32_e32 0x80, v2
	s_cbranch_execz .LBB208_369
; %bb.364:                              ;   in Loop: Header=BB208_15 Depth=1
	v_bfe_u32 v3, v1, 24, 7
	v_mov_b64_e32 v[0:1], 0x7f80000100000000
	s_mov_b32 s16, exec_lo
	s_delay_alu instid0(VALU_DEP_2)
	v_cmpx_ne_u32_e32 0x7f, v3
	s_cbranch_execz .LBB208_368
; %bb.365:                              ;   in Loop: Header=BB208_15 Depth=1
	v_dual_lshrrev_b32 v1, 3, v3 :: v_dual_bitop2_b32 v88, 7, v2 bitop3:0x40
	s_mov_b32 s17, exec_lo
	v_cmpx_gt_u32_e32 8, v3
; %bb.366:                              ;   in Loop: Header=BB208_15 Depth=1
	s_delay_alu instid0(VALU_DEP_2) | instskip(NEXT) | instid1(VALU_DEP_1)
	v_clz_i32_u32_e32 v1, v88
	v_min_u32_e32 v1, 32, v1
	s_delay_alu instid0(VALU_DEP_1) | instskip(NEXT) | instid1(VALU_DEP_1)
	v_subrev_nc_u32_e32 v3, 28, v1
	v_lshlrev_b64_e32 v[4:5], v3, v[88:89]
	s_delay_alu instid0(VALU_DEP_1)
	v_dual_sub_nc_u32 v1, 29, v1 :: v_dual_bitop2_b32 v88, 7, v4 bitop3:0x40
; %bb.367:                              ;   in Loop: Header=BB208_15 Depth=1
	s_or_b32 exec_lo, exec_lo, s17
	s_delay_alu instid0(VALU_DEP_1) | instskip(NEXT) | instid1(VALU_DEP_2)
	v_dual_lshlrev_b32 v2, 24, v2 :: v_dual_lshlrev_b32 v3, 20, v88
	v_lshl_add_u32 v1, v1, 23, 0x3c000000
	v_mov_b32_e32 v0, v89
	s_delay_alu instid0(VALU_DEP_3) | instskip(NEXT) | instid1(VALU_DEP_1)
	v_and_b32_e32 v2, 0x80000000, v2
	v_or3_b32 v1, v3, v2, v1
.LBB208_368:                            ;   in Loop: Header=BB208_15 Depth=1
	s_or_b32 exec_lo, exec_lo, s16
	scratch_store_b64 off, v[0:1], s32 offset:660 ; 8-byte Folded Spill
.LBB208_369:                            ;   in Loop: Header=BB208_15 Depth=1
	s_wait_xcnt 0x0
	s_or_b32 exec_lo, exec_lo, s15
.LBB208_370:                            ;   in Loop: Header=BB208_15 Depth=1
	s_delay_alu instid0(SALU_CYCLE_1)
	s_or_b32 exec_lo, exec_lo, s14
	flat_load_b32 v1, v[36:37] offset:1036
	v_mov_b64_e32 v[4:5], 0
	s_mov_b32 s14, exec_lo
	scratch_store_b64 off, v[4:5], s32 offset:508 ; 8-byte Folded Spill
	s_wait_xcnt 0x0
	v_mov_b64_e32 v[4:5], 0
	scratch_store_b64 off, v[4:5], s32 offset:516 ; 8-byte Folded Spill
	s_wait_loadcnt_dscnt 0x0
	v_and_b32_e32 v2, 0xff, v1
	s_wait_xcnt 0x0
	s_delay_alu instid0(VALU_DEP_1)
	v_cmpx_ne_u16_e32 0, v2
	s_cbranch_execz .LBB208_378
; %bb.371:                              ;   in Loop: Header=BB208_15 Depth=1
	v_cmp_ne_u16_e64 s1, 0x80, v2
	v_mov_b64_e32 v[2:3], 0x80000000
	scratch_store_b64 off, v[2:3], s32 offset:516 ; 8-byte Folded Spill
	s_wait_xcnt 0x0
	s_and_saveexec_b32 s15, s1
	s_cbranch_execz .LBB208_377
; %bb.372:                              ;   in Loop: Header=BB208_15 Depth=1
	v_mov_b64_e32 v[4:5], 0x7f800001
	v_and_b32_e32 v3, 0x7f, v1
	s_mov_b32 s16, exec_lo
	scratch_store_b64 off, v[4:5], s32 offset:516 ; 8-byte Folded Spill
	s_wait_xcnt 0x0
	v_cmpx_ne_u32_e32 0x7f, v3
	s_cbranch_execz .LBB208_376
; %bb.373:                              ;   in Loop: Header=BB208_15 Depth=1
	v_dual_lshrrev_b32 v2, 3, v3 :: v_dual_bitop2_b32 v88, 7, v1 bitop3:0x40
	s_mov_b32 s17, exec_lo
	v_cmpx_gt_u32_e32 8, v3
; %bb.374:                              ;   in Loop: Header=BB208_15 Depth=1
	s_delay_alu instid0(VALU_DEP_2) | instskip(NEXT) | instid1(VALU_DEP_1)
	v_clz_i32_u32_e32 v2, v88
	v_min_u32_e32 v2, 32, v2
	s_delay_alu instid0(VALU_DEP_1) | instskip(NEXT) | instid1(VALU_DEP_1)
	v_subrev_nc_u32_e32 v3, 28, v2
	v_lshlrev_b64_e32 v[4:5], v3, v[88:89]
	s_delay_alu instid0(VALU_DEP_1)
	v_dual_sub_nc_u32 v2, 29, v2 :: v_dual_bitop2_b32 v88, 7, v4 bitop3:0x40
; %bb.375:                              ;   in Loop: Header=BB208_15 Depth=1
	s_or_b32 exec_lo, exec_lo, s17
	s_delay_alu instid0(VALU_DEP_1) | instskip(NEXT) | instid1(VALU_DEP_2)
	v_dual_lshlrev_b32 v3, 24, v1 :: v_dual_lshlrev_b32 v4, 20, v88
	v_lshl_add_u32 v2, v2, 23, 0x3c000000
	s_delay_alu instid0(VALU_DEP_2) | instskip(NEXT) | instid1(VALU_DEP_1)
	v_and_b32_e32 v3, 0x80000000, v3
	v_or3_b32 v88, v4, v3, v2
	scratch_store_b64 off, v[88:89], s32 offset:516 ; 8-byte Folded Spill
.LBB208_376:                            ;   in Loop: Header=BB208_15 Depth=1
	s_wait_xcnt 0x0
	s_or_b32 exec_lo, exec_lo, s16
.LBB208_377:                            ;   in Loop: Header=BB208_15 Depth=1
	s_delay_alu instid0(SALU_CYCLE_1)
	s_or_b32 exec_lo, exec_lo, s15
.LBB208_378:                            ;   in Loop: Header=BB208_15 Depth=1
	s_delay_alu instid0(SALU_CYCLE_1) | instskip(SKIP_2) | instid1(VALU_DEP_1)
	s_or_b32 exec_lo, exec_lo, s14
	v_lshrrev_b16 v2, 8, v1
	s_mov_b32 s14, exec_lo
	v_cmpx_ne_u16_e32 0, v2
	s_cbranch_execz .LBB208_386
; %bb.379:                              ;   in Loop: Header=BB208_15 Depth=1
	v_mov_b64_e32 v[4:5], 0x8000000000000000
	s_mov_b32 s15, exec_lo
	scratch_store_b64 off, v[4:5], s32 offset:508 ; 8-byte Folded Spill
	s_wait_xcnt 0x0
	v_cmpx_ne_u16_e32 0x80, v2
	s_cbranch_execz .LBB208_385
; %bb.380:                              ;   in Loop: Header=BB208_15 Depth=1
	v_and_b32_e32 v2, 0xffff, v2
	v_mov_b64_e32 v[4:5], 0x7f80000100000000
	s_mov_b32 s16, exec_lo
	s_delay_alu instid0(VALU_DEP_2)
	v_and_b32_e32 v3, 0x7f, v2
	scratch_store_b64 off, v[4:5], s32 offset:508 ; 8-byte Folded Spill
	s_wait_xcnt 0x0
	v_cmpx_ne_u32_e32 0x7f, v3
	s_cbranch_execz .LBB208_384
; %bb.381:                              ;   in Loop: Header=BB208_15 Depth=1
	v_dual_lshrrev_b32 v2, 3, v3 :: v_dual_bitop2_b32 v88, 7, v2 bitop3:0x40
	s_mov_b32 s17, exec_lo
	v_cmpx_gt_u32_e32 8, v3
; %bb.382:                              ;   in Loop: Header=BB208_15 Depth=1
	s_delay_alu instid0(VALU_DEP_2) | instskip(NEXT) | instid1(VALU_DEP_1)
	v_clz_i32_u32_e32 v2, v88
	v_min_u32_e32 v2, 32, v2
	s_delay_alu instid0(VALU_DEP_1) | instskip(NEXT) | instid1(VALU_DEP_1)
	v_subrev_nc_u32_e32 v3, 28, v2
	v_lshlrev_b64_e32 v[4:5], v3, v[88:89]
	s_delay_alu instid0(VALU_DEP_1)
	v_dual_sub_nc_u32 v2, 29, v2 :: v_dual_bitop2_b32 v88, 7, v4 bitop3:0x40
; %bb.383:                              ;   in Loop: Header=BB208_15 Depth=1
	s_or_b32 exec_lo, exec_lo, s17
	s_delay_alu instid0(VALU_DEP_1) | instskip(NEXT) | instid1(VALU_DEP_2)
	v_dual_lshlrev_b32 v3, 16, v1 :: v_dual_lshlrev_b32 v4, 20, v88
	v_lshl_add_u32 v2, v2, 23, 0x3c000000
	s_delay_alu instid0(VALU_DEP_2) | instskip(NEXT) | instid1(VALU_DEP_1)
	v_and_b32_e32 v3, 0x80000000, v3
	v_or3_b32 v3, v4, v3, v2
	v_mov_b32_e32 v2, v89
	scratch_store_b64 off, v[2:3], s32 offset:508 ; 8-byte Folded Spill
.LBB208_384:                            ;   in Loop: Header=BB208_15 Depth=1
	s_wait_xcnt 0x0
	s_or_b32 exec_lo, exec_lo, s16
.LBB208_385:                            ;   in Loop: Header=BB208_15 Depth=1
	s_delay_alu instid0(SALU_CYCLE_1)
	s_or_b32 exec_lo, exec_lo, s15
.LBB208_386:                            ;   in Loop: Header=BB208_15 Depth=1
	s_delay_alu instid0(SALU_CYCLE_1) | instskip(SKIP_3) | instid1(VALU_DEP_1)
	s_or_b32 exec_lo, exec_lo, s14
	v_mov_b64_e32 v[4:5], 0
	v_lshrrev_b32_e32 v2, 16, v1
	s_mov_b32 s14, exec_lo
	v_and_b32_e32 v3, 0xff, v2
	scratch_store_b64 off, v[4:5], s32 offset:668 ; 8-byte Folded Spill
	s_wait_xcnt 0x0
	v_mov_b64_e32 v[4:5], 0
	scratch_store_b64 off, v[4:5], s32 offset:524 ; 8-byte Folded Spill
	s_wait_xcnt 0x0
	v_cmpx_ne_u16_e32 0, v3
	s_cbranch_execz .LBB208_394
; %bb.387:                              ;   in Loop: Header=BB208_15 Depth=1
	v_mov_b64_e32 v[4:5], 0x80000000
	s_mov_b32 s15, exec_lo
	scratch_store_b64 off, v[4:5], s32 offset:524 ; 8-byte Folded Spill
	s_wait_xcnt 0x0
	v_cmpx_ne_u16_e32 0x80, v3
	s_cbranch_execz .LBB208_393
; %bb.388:                              ;   in Loop: Header=BB208_15 Depth=1
	v_mov_b64_e32 v[6:7], 0x7f800001
	v_bfe_u32 v4, v1, 16, 7
	s_mov_b32 s16, exec_lo
	scratch_store_b64 off, v[6:7], s32 offset:524 ; 8-byte Folded Spill
	s_wait_xcnt 0x0
	v_cmpx_ne_u32_e32 0x7f, v4
	s_cbranch_execz .LBB208_392
; %bb.389:                              ;   in Loop: Header=BB208_15 Depth=1
	v_dual_lshrrev_b32 v3, 3, v4 :: v_dual_bitop2_b32 v88, 7, v2 bitop3:0x40
	s_mov_b32 s17, exec_lo
	v_cmpx_gt_u32_e32 8, v4
; %bb.390:                              ;   in Loop: Header=BB208_15 Depth=1
	s_delay_alu instid0(VALU_DEP_2) | instskip(NEXT) | instid1(VALU_DEP_1)
	v_clz_i32_u32_e32 v3, v88
	v_min_u32_e32 v3, 32, v3
	s_delay_alu instid0(VALU_DEP_1) | instskip(NEXT) | instid1(VALU_DEP_1)
	v_subrev_nc_u32_e32 v4, 28, v3
	v_lshlrev_b64_e32 v[4:5], v4, v[88:89]
	s_delay_alu instid0(VALU_DEP_1)
	v_dual_sub_nc_u32 v3, 29, v3 :: v_dual_bitop2_b32 v88, 7, v4 bitop3:0x40
; %bb.391:                              ;   in Loop: Header=BB208_15 Depth=1
	s_or_b32 exec_lo, exec_lo, s17
	s_delay_alu instid0(VALU_DEP_1) | instskip(NEXT) | instid1(VALU_DEP_2)
	v_dual_lshlrev_b32 v2, 24, v2 :: v_dual_lshlrev_b32 v4, 20, v88
	v_lshl_add_u32 v3, v3, 23, 0x3c000000
	s_delay_alu instid0(VALU_DEP_2) | instskip(NEXT) | instid1(VALU_DEP_1)
	v_and_b32_e32 v2, 0x80000000, v2
	v_or3_b32 v88, v4, v2, v3
	scratch_store_b64 off, v[88:89], s32 offset:524 ; 8-byte Folded Spill
.LBB208_392:                            ;   in Loop: Header=BB208_15 Depth=1
	s_wait_xcnt 0x0
	s_or_b32 exec_lo, exec_lo, s16
.LBB208_393:                            ;   in Loop: Header=BB208_15 Depth=1
	s_delay_alu instid0(SALU_CYCLE_1)
	s_or_b32 exec_lo, exec_lo, s15
.LBB208_394:                            ;   in Loop: Header=BB208_15 Depth=1
	s_delay_alu instid0(SALU_CYCLE_1) | instskip(NEXT) | instid1(SALU_CYCLE_1)
	s_or_b32 exec_lo, exec_lo, s14
	s_mov_b32 s14, exec_lo
	v_cmpx_lt_u32_e32 0xffffff, v1
	s_cbranch_execz .LBB208_402
; %bb.395:                              ;   in Loop: Header=BB208_15 Depth=1
	v_mov_b64_e32 v[4:5], 0x8000000000000000
	v_lshrrev_b32_e32 v2, 24, v1
	s_mov_b32 s15, exec_lo
	scratch_store_b64 off, v[4:5], s32 offset:668 ; 8-byte Folded Spill
	s_wait_xcnt 0x0
	v_cmpx_ne_u32_e32 0x80, v2
	s_cbranch_execz .LBB208_401
; %bb.396:                              ;   in Loop: Header=BB208_15 Depth=1
	v_bfe_u32 v3, v1, 24, 7
	v_mov_b64_e32 v[0:1], 0x7f80000100000000
	s_mov_b32 s16, exec_lo
	s_delay_alu instid0(VALU_DEP_2)
	v_cmpx_ne_u32_e32 0x7f, v3
	s_cbranch_execz .LBB208_400
; %bb.397:                              ;   in Loop: Header=BB208_15 Depth=1
	v_dual_lshrrev_b32 v1, 3, v3 :: v_dual_bitop2_b32 v88, 7, v2 bitop3:0x40
	s_mov_b32 s17, exec_lo
	v_cmpx_gt_u32_e32 8, v3
; %bb.398:                              ;   in Loop: Header=BB208_15 Depth=1
	s_delay_alu instid0(VALU_DEP_2) | instskip(NEXT) | instid1(VALU_DEP_1)
	v_clz_i32_u32_e32 v1, v88
	v_min_u32_e32 v1, 32, v1
	s_delay_alu instid0(VALU_DEP_1) | instskip(NEXT) | instid1(VALU_DEP_1)
	v_subrev_nc_u32_e32 v3, 28, v1
	v_lshlrev_b64_e32 v[4:5], v3, v[88:89]
	s_delay_alu instid0(VALU_DEP_1)
	v_dual_sub_nc_u32 v1, 29, v1 :: v_dual_bitop2_b32 v88, 7, v4 bitop3:0x40
; %bb.399:                              ;   in Loop: Header=BB208_15 Depth=1
	s_or_b32 exec_lo, exec_lo, s17
	s_delay_alu instid0(VALU_DEP_1) | instskip(NEXT) | instid1(VALU_DEP_2)
	v_dual_lshlrev_b32 v2, 24, v2 :: v_dual_lshlrev_b32 v3, 20, v88
	v_lshl_add_u32 v1, v1, 23, 0x3c000000
	v_mov_b32_e32 v0, v89
	s_delay_alu instid0(VALU_DEP_3) | instskip(NEXT) | instid1(VALU_DEP_1)
	v_and_b32_e32 v2, 0x80000000, v2
	v_or3_b32 v1, v3, v2, v1
.LBB208_400:                            ;   in Loop: Header=BB208_15 Depth=1
	s_or_b32 exec_lo, exec_lo, s16
	scratch_store_b64 off, v[0:1], s32 offset:668 ; 8-byte Folded Spill
.LBB208_401:                            ;   in Loop: Header=BB208_15 Depth=1
	s_wait_xcnt 0x0
	s_or_b32 exec_lo, exec_lo, s15
.LBB208_402:                            ;   in Loop: Header=BB208_15 Depth=1
	s_delay_alu instid0(SALU_CYCLE_1)
	s_or_b32 exec_lo, exec_lo, s14
	flat_load_b32 v1, v[36:37] offset:1536
	v_mov_b64_e32 v[4:5], 0
	s_mov_b32 s14, exec_lo
	scratch_store_b64 off, v[4:5], s32 offset:532 ; 8-byte Folded Spill
	s_wait_xcnt 0x0
	v_mov_b64_e32 v[4:5], 0
	scratch_store_b64 off, v[4:5], s32 offset:540 ; 8-byte Folded Spill
	s_wait_loadcnt_dscnt 0x0
	v_and_b32_e32 v2, 0xff, v1
	s_wait_xcnt 0x0
	s_delay_alu instid0(VALU_DEP_1)
	v_cmpx_ne_u16_e32 0, v2
	s_cbranch_execz .LBB208_410
; %bb.403:                              ;   in Loop: Header=BB208_15 Depth=1
	v_cmp_ne_u16_e64 s1, 0x80, v2
	v_mov_b64_e32 v[2:3], 0x80000000
	scratch_store_b64 off, v[2:3], s32 offset:540 ; 8-byte Folded Spill
	s_wait_xcnt 0x0
	s_and_saveexec_b32 s15, s1
	s_cbranch_execz .LBB208_409
; %bb.404:                              ;   in Loop: Header=BB208_15 Depth=1
	v_mov_b64_e32 v[4:5], 0x7f800001
	v_and_b32_e32 v3, 0x7f, v1
	s_mov_b32 s16, exec_lo
	scratch_store_b64 off, v[4:5], s32 offset:540 ; 8-byte Folded Spill
	s_wait_xcnt 0x0
	v_cmpx_ne_u32_e32 0x7f, v3
	s_cbranch_execz .LBB208_408
; %bb.405:                              ;   in Loop: Header=BB208_15 Depth=1
	v_dual_lshrrev_b32 v2, 3, v3 :: v_dual_bitop2_b32 v88, 7, v1 bitop3:0x40
	s_mov_b32 s17, exec_lo
	v_cmpx_gt_u32_e32 8, v3
; %bb.406:                              ;   in Loop: Header=BB208_15 Depth=1
	s_delay_alu instid0(VALU_DEP_2) | instskip(NEXT) | instid1(VALU_DEP_1)
	v_clz_i32_u32_e32 v2, v88
	v_min_u32_e32 v2, 32, v2
	s_delay_alu instid0(VALU_DEP_1) | instskip(NEXT) | instid1(VALU_DEP_1)
	v_subrev_nc_u32_e32 v3, 28, v2
	v_lshlrev_b64_e32 v[4:5], v3, v[88:89]
	s_delay_alu instid0(VALU_DEP_1)
	v_dual_sub_nc_u32 v2, 29, v2 :: v_dual_bitop2_b32 v88, 7, v4 bitop3:0x40
; %bb.407:                              ;   in Loop: Header=BB208_15 Depth=1
	s_or_b32 exec_lo, exec_lo, s17
	s_delay_alu instid0(VALU_DEP_1) | instskip(NEXT) | instid1(VALU_DEP_2)
	v_dual_lshlrev_b32 v3, 24, v1 :: v_dual_lshlrev_b32 v4, 20, v88
	v_lshl_add_u32 v2, v2, 23, 0x3c000000
	s_delay_alu instid0(VALU_DEP_2) | instskip(NEXT) | instid1(VALU_DEP_1)
	v_and_b32_e32 v3, 0x80000000, v3
	v_or3_b32 v88, v4, v3, v2
	scratch_store_b64 off, v[88:89], s32 offset:540 ; 8-byte Folded Spill
.LBB208_408:                            ;   in Loop: Header=BB208_15 Depth=1
	s_wait_xcnt 0x0
	s_or_b32 exec_lo, exec_lo, s16
.LBB208_409:                            ;   in Loop: Header=BB208_15 Depth=1
	s_delay_alu instid0(SALU_CYCLE_1)
	s_or_b32 exec_lo, exec_lo, s15
.LBB208_410:                            ;   in Loop: Header=BB208_15 Depth=1
	s_delay_alu instid0(SALU_CYCLE_1) | instskip(SKIP_2) | instid1(VALU_DEP_1)
	s_or_b32 exec_lo, exec_lo, s14
	v_lshrrev_b16 v2, 8, v1
	s_mov_b32 s14, exec_lo
	v_cmpx_ne_u16_e32 0, v2
	s_cbranch_execz .LBB208_418
; %bb.411:                              ;   in Loop: Header=BB208_15 Depth=1
	v_mov_b64_e32 v[4:5], 0x8000000000000000
	s_mov_b32 s15, exec_lo
	scratch_store_b64 off, v[4:5], s32 offset:532 ; 8-byte Folded Spill
	s_wait_xcnt 0x0
	v_cmpx_ne_u16_e32 0x80, v2
	s_cbranch_execz .LBB208_417
; %bb.412:                              ;   in Loop: Header=BB208_15 Depth=1
	v_and_b32_e32 v2, 0xffff, v2
	v_mov_b64_e32 v[4:5], 0x7f80000100000000
	s_mov_b32 s16, exec_lo
	s_delay_alu instid0(VALU_DEP_2)
	v_and_b32_e32 v3, 0x7f, v2
	scratch_store_b64 off, v[4:5], s32 offset:532 ; 8-byte Folded Spill
	s_wait_xcnt 0x0
	v_cmpx_ne_u32_e32 0x7f, v3
	s_cbranch_execz .LBB208_416
; %bb.413:                              ;   in Loop: Header=BB208_15 Depth=1
	v_dual_lshrrev_b32 v2, 3, v3 :: v_dual_bitop2_b32 v88, 7, v2 bitop3:0x40
	s_mov_b32 s17, exec_lo
	v_cmpx_gt_u32_e32 8, v3
; %bb.414:                              ;   in Loop: Header=BB208_15 Depth=1
	s_delay_alu instid0(VALU_DEP_2) | instskip(NEXT) | instid1(VALU_DEP_1)
	v_clz_i32_u32_e32 v2, v88
	v_min_u32_e32 v2, 32, v2
	s_delay_alu instid0(VALU_DEP_1) | instskip(NEXT) | instid1(VALU_DEP_1)
	v_subrev_nc_u32_e32 v3, 28, v2
	v_lshlrev_b64_e32 v[4:5], v3, v[88:89]
	s_delay_alu instid0(VALU_DEP_1)
	v_dual_sub_nc_u32 v2, 29, v2 :: v_dual_bitop2_b32 v88, 7, v4 bitop3:0x40
; %bb.415:                              ;   in Loop: Header=BB208_15 Depth=1
	s_or_b32 exec_lo, exec_lo, s17
	s_delay_alu instid0(VALU_DEP_1) | instskip(NEXT) | instid1(VALU_DEP_2)
	v_dual_lshlrev_b32 v3, 16, v1 :: v_dual_lshlrev_b32 v4, 20, v88
	v_lshl_add_u32 v2, v2, 23, 0x3c000000
	s_delay_alu instid0(VALU_DEP_2) | instskip(NEXT) | instid1(VALU_DEP_1)
	v_and_b32_e32 v3, 0x80000000, v3
	v_or3_b32 v3, v4, v3, v2
	v_mov_b32_e32 v2, v89
	scratch_store_b64 off, v[2:3], s32 offset:532 ; 8-byte Folded Spill
.LBB208_416:                            ;   in Loop: Header=BB208_15 Depth=1
	s_wait_xcnt 0x0
	s_or_b32 exec_lo, exec_lo, s16
.LBB208_417:                            ;   in Loop: Header=BB208_15 Depth=1
	s_delay_alu instid0(SALU_CYCLE_1)
	s_or_b32 exec_lo, exec_lo, s15
.LBB208_418:                            ;   in Loop: Header=BB208_15 Depth=1
	s_delay_alu instid0(SALU_CYCLE_1) | instskip(SKIP_3) | instid1(VALU_DEP_1)
	s_or_b32 exec_lo, exec_lo, s14
	v_mov_b64_e32 v[4:5], 0
	v_lshrrev_b32_e32 v2, 16, v1
	s_mov_b32 s14, exec_lo
	v_and_b32_e32 v3, 0xff, v2
	scratch_store_b64 off, v[4:5], s32 offset:676 ; 8-byte Folded Spill
	s_wait_xcnt 0x0
	v_mov_b64_e32 v[4:5], 0
	scratch_store_b64 off, v[4:5], s32 offset:548 ; 8-byte Folded Spill
	s_wait_xcnt 0x0
	v_cmpx_ne_u16_e32 0, v3
	s_cbranch_execz .LBB208_426
; %bb.419:                              ;   in Loop: Header=BB208_15 Depth=1
	v_mov_b64_e32 v[4:5], 0x80000000
	s_mov_b32 s15, exec_lo
	scratch_store_b64 off, v[4:5], s32 offset:548 ; 8-byte Folded Spill
	s_wait_xcnt 0x0
	v_cmpx_ne_u16_e32 0x80, v3
	s_cbranch_execz .LBB208_425
; %bb.420:                              ;   in Loop: Header=BB208_15 Depth=1
	v_mov_b64_e32 v[6:7], 0x7f800001
	v_bfe_u32 v4, v1, 16, 7
	s_mov_b32 s16, exec_lo
	scratch_store_b64 off, v[6:7], s32 offset:548 ; 8-byte Folded Spill
	s_wait_xcnt 0x0
	v_cmpx_ne_u32_e32 0x7f, v4
	s_cbranch_execz .LBB208_424
; %bb.421:                              ;   in Loop: Header=BB208_15 Depth=1
	v_dual_lshrrev_b32 v3, 3, v4 :: v_dual_bitop2_b32 v88, 7, v2 bitop3:0x40
	s_mov_b32 s17, exec_lo
	v_cmpx_gt_u32_e32 8, v4
; %bb.422:                              ;   in Loop: Header=BB208_15 Depth=1
	s_delay_alu instid0(VALU_DEP_2) | instskip(NEXT) | instid1(VALU_DEP_1)
	v_clz_i32_u32_e32 v3, v88
	v_min_u32_e32 v3, 32, v3
	s_delay_alu instid0(VALU_DEP_1) | instskip(NEXT) | instid1(VALU_DEP_1)
	v_subrev_nc_u32_e32 v4, 28, v3
	v_lshlrev_b64_e32 v[4:5], v4, v[88:89]
	s_delay_alu instid0(VALU_DEP_1)
	v_dual_sub_nc_u32 v3, 29, v3 :: v_dual_bitop2_b32 v88, 7, v4 bitop3:0x40
; %bb.423:                              ;   in Loop: Header=BB208_15 Depth=1
	s_or_b32 exec_lo, exec_lo, s17
	s_delay_alu instid0(VALU_DEP_1) | instskip(NEXT) | instid1(VALU_DEP_2)
	v_dual_lshlrev_b32 v2, 24, v2 :: v_dual_lshlrev_b32 v4, 20, v88
	v_lshl_add_u32 v3, v3, 23, 0x3c000000
	s_delay_alu instid0(VALU_DEP_2) | instskip(NEXT) | instid1(VALU_DEP_1)
	v_and_b32_e32 v2, 0x80000000, v2
	v_or3_b32 v88, v4, v2, v3
	scratch_store_b64 off, v[88:89], s32 offset:548 ; 8-byte Folded Spill
.LBB208_424:                            ;   in Loop: Header=BB208_15 Depth=1
	s_wait_xcnt 0x0
	s_or_b32 exec_lo, exec_lo, s16
.LBB208_425:                            ;   in Loop: Header=BB208_15 Depth=1
	s_delay_alu instid0(SALU_CYCLE_1)
	s_or_b32 exec_lo, exec_lo, s15
.LBB208_426:                            ;   in Loop: Header=BB208_15 Depth=1
	s_delay_alu instid0(SALU_CYCLE_1) | instskip(NEXT) | instid1(SALU_CYCLE_1)
	s_or_b32 exec_lo, exec_lo, s14
	s_mov_b32 s14, exec_lo
	v_cmpx_lt_u32_e32 0xffffff, v1
	s_cbranch_execz .LBB208_434
; %bb.427:                              ;   in Loop: Header=BB208_15 Depth=1
	v_mov_b64_e32 v[4:5], 0x8000000000000000
	v_lshrrev_b32_e32 v2, 24, v1
	s_mov_b32 s15, exec_lo
	scratch_store_b64 off, v[4:5], s32 offset:676 ; 8-byte Folded Spill
	s_wait_xcnt 0x0
	v_cmpx_ne_u32_e32 0x80, v2
	s_cbranch_execz .LBB208_433
; %bb.428:                              ;   in Loop: Header=BB208_15 Depth=1
	v_bfe_u32 v3, v1, 24, 7
	v_mov_b64_e32 v[0:1], 0x7f80000100000000
	s_mov_b32 s16, exec_lo
	s_delay_alu instid0(VALU_DEP_2)
	v_cmpx_ne_u32_e32 0x7f, v3
	s_cbranch_execz .LBB208_432
; %bb.429:                              ;   in Loop: Header=BB208_15 Depth=1
	v_dual_lshrrev_b32 v1, 3, v3 :: v_dual_bitop2_b32 v88, 7, v2 bitop3:0x40
	s_mov_b32 s17, exec_lo
	v_cmpx_gt_u32_e32 8, v3
; %bb.430:                              ;   in Loop: Header=BB208_15 Depth=1
	s_delay_alu instid0(VALU_DEP_2) | instskip(NEXT) | instid1(VALU_DEP_1)
	v_clz_i32_u32_e32 v1, v88
	v_min_u32_e32 v1, 32, v1
	s_delay_alu instid0(VALU_DEP_1) | instskip(NEXT) | instid1(VALU_DEP_1)
	v_subrev_nc_u32_e32 v3, 28, v1
	v_lshlrev_b64_e32 v[4:5], v3, v[88:89]
	s_delay_alu instid0(VALU_DEP_1)
	v_dual_sub_nc_u32 v1, 29, v1 :: v_dual_bitop2_b32 v88, 7, v4 bitop3:0x40
; %bb.431:                              ;   in Loop: Header=BB208_15 Depth=1
	s_or_b32 exec_lo, exec_lo, s17
	s_delay_alu instid0(VALU_DEP_1) | instskip(NEXT) | instid1(VALU_DEP_2)
	v_dual_lshlrev_b32 v2, 24, v2 :: v_dual_lshlrev_b32 v3, 20, v88
	v_lshl_add_u32 v1, v1, 23, 0x3c000000
	v_mov_b32_e32 v0, v89
	s_delay_alu instid0(VALU_DEP_3) | instskip(NEXT) | instid1(VALU_DEP_1)
	v_and_b32_e32 v2, 0x80000000, v2
	v_or3_b32 v1, v3, v2, v1
.LBB208_432:                            ;   in Loop: Header=BB208_15 Depth=1
	s_or_b32 exec_lo, exec_lo, s16
	scratch_store_b64 off, v[0:1], s32 offset:676 ; 8-byte Folded Spill
.LBB208_433:                            ;   in Loop: Header=BB208_15 Depth=1
	s_wait_xcnt 0x0
	s_or_b32 exec_lo, exec_lo, s15
.LBB208_434:                            ;   in Loop: Header=BB208_15 Depth=1
	s_delay_alu instid0(SALU_CYCLE_1)
	s_or_b32 exec_lo, exec_lo, s14
	flat_load_b32 v1, v[36:37] offset:1540
	v_mov_b64_e32 v[4:5], 0
	s_mov_b32 s14, exec_lo
	scratch_store_b64 off, v[4:5], s32 offset:556 ; 8-byte Folded Spill
	s_wait_xcnt 0x0
	v_mov_b64_e32 v[4:5], 0
	scratch_store_b64 off, v[4:5], s32 offset:564 ; 8-byte Folded Spill
	s_wait_loadcnt_dscnt 0x0
	v_and_b32_e32 v2, 0xff, v1
	s_wait_xcnt 0x0
	s_delay_alu instid0(VALU_DEP_1)
	v_cmpx_ne_u16_e32 0, v2
	s_cbranch_execz .LBB208_442
; %bb.435:                              ;   in Loop: Header=BB208_15 Depth=1
	v_cmp_ne_u16_e64 s1, 0x80, v2
	v_mov_b64_e32 v[2:3], 0x80000000
	scratch_store_b64 off, v[2:3], s32 offset:564 ; 8-byte Folded Spill
	s_wait_xcnt 0x0
	s_and_saveexec_b32 s15, s1
	s_cbranch_execz .LBB208_441
; %bb.436:                              ;   in Loop: Header=BB208_15 Depth=1
	v_mov_b64_e32 v[4:5], 0x7f800001
	v_and_b32_e32 v3, 0x7f, v1
	s_mov_b32 s16, exec_lo
	scratch_store_b64 off, v[4:5], s32 offset:564 ; 8-byte Folded Spill
	s_wait_xcnt 0x0
	v_cmpx_ne_u32_e32 0x7f, v3
	s_cbranch_execz .LBB208_440
; %bb.437:                              ;   in Loop: Header=BB208_15 Depth=1
	v_dual_lshrrev_b32 v2, 3, v3 :: v_dual_bitop2_b32 v88, 7, v1 bitop3:0x40
	s_mov_b32 s17, exec_lo
	v_cmpx_gt_u32_e32 8, v3
; %bb.438:                              ;   in Loop: Header=BB208_15 Depth=1
	s_delay_alu instid0(VALU_DEP_2) | instskip(NEXT) | instid1(VALU_DEP_1)
	v_clz_i32_u32_e32 v2, v88
	v_min_u32_e32 v2, 32, v2
	s_delay_alu instid0(VALU_DEP_1) | instskip(NEXT) | instid1(VALU_DEP_1)
	v_subrev_nc_u32_e32 v3, 28, v2
	v_lshlrev_b64_e32 v[4:5], v3, v[88:89]
	s_delay_alu instid0(VALU_DEP_1)
	v_dual_sub_nc_u32 v2, 29, v2 :: v_dual_bitop2_b32 v88, 7, v4 bitop3:0x40
; %bb.439:                              ;   in Loop: Header=BB208_15 Depth=1
	s_or_b32 exec_lo, exec_lo, s17
	s_delay_alu instid0(VALU_DEP_1) | instskip(NEXT) | instid1(VALU_DEP_2)
	v_dual_lshlrev_b32 v3, 24, v1 :: v_dual_lshlrev_b32 v4, 20, v88
	v_lshl_add_u32 v2, v2, 23, 0x3c000000
	s_delay_alu instid0(VALU_DEP_2) | instskip(NEXT) | instid1(VALU_DEP_1)
	v_and_b32_e32 v3, 0x80000000, v3
	v_or3_b32 v88, v4, v3, v2
	scratch_store_b64 off, v[88:89], s32 offset:564 ; 8-byte Folded Spill
.LBB208_440:                            ;   in Loop: Header=BB208_15 Depth=1
	s_wait_xcnt 0x0
	s_or_b32 exec_lo, exec_lo, s16
.LBB208_441:                            ;   in Loop: Header=BB208_15 Depth=1
	s_delay_alu instid0(SALU_CYCLE_1)
	s_or_b32 exec_lo, exec_lo, s15
.LBB208_442:                            ;   in Loop: Header=BB208_15 Depth=1
	s_delay_alu instid0(SALU_CYCLE_1) | instskip(SKIP_2) | instid1(VALU_DEP_1)
	s_or_b32 exec_lo, exec_lo, s14
	v_lshrrev_b16 v2, 8, v1
	s_mov_b32 s14, exec_lo
	v_cmpx_ne_u16_e32 0, v2
	s_cbranch_execz .LBB208_450
; %bb.443:                              ;   in Loop: Header=BB208_15 Depth=1
	v_mov_b64_e32 v[4:5], 0x8000000000000000
	s_mov_b32 s15, exec_lo
	scratch_store_b64 off, v[4:5], s32 offset:556 ; 8-byte Folded Spill
	s_wait_xcnt 0x0
	v_cmpx_ne_u16_e32 0x80, v2
	s_cbranch_execz .LBB208_449
; %bb.444:                              ;   in Loop: Header=BB208_15 Depth=1
	v_and_b32_e32 v2, 0xffff, v2
	v_mov_b64_e32 v[4:5], 0x7f80000100000000
	s_mov_b32 s16, exec_lo
	s_delay_alu instid0(VALU_DEP_2)
	v_and_b32_e32 v3, 0x7f, v2
	scratch_store_b64 off, v[4:5], s32 offset:556 ; 8-byte Folded Spill
	s_wait_xcnt 0x0
	v_cmpx_ne_u32_e32 0x7f, v3
	s_cbranch_execz .LBB208_448
; %bb.445:                              ;   in Loop: Header=BB208_15 Depth=1
	v_dual_lshrrev_b32 v2, 3, v3 :: v_dual_bitop2_b32 v88, 7, v2 bitop3:0x40
	s_mov_b32 s17, exec_lo
	v_cmpx_gt_u32_e32 8, v3
; %bb.446:                              ;   in Loop: Header=BB208_15 Depth=1
	s_delay_alu instid0(VALU_DEP_2) | instskip(NEXT) | instid1(VALU_DEP_1)
	v_clz_i32_u32_e32 v2, v88
	v_min_u32_e32 v2, 32, v2
	s_delay_alu instid0(VALU_DEP_1) | instskip(NEXT) | instid1(VALU_DEP_1)
	v_subrev_nc_u32_e32 v3, 28, v2
	v_lshlrev_b64_e32 v[4:5], v3, v[88:89]
	s_delay_alu instid0(VALU_DEP_1)
	v_dual_sub_nc_u32 v2, 29, v2 :: v_dual_bitop2_b32 v88, 7, v4 bitop3:0x40
; %bb.447:                              ;   in Loop: Header=BB208_15 Depth=1
	s_or_b32 exec_lo, exec_lo, s17
	s_delay_alu instid0(VALU_DEP_1) | instskip(NEXT) | instid1(VALU_DEP_2)
	v_dual_lshlrev_b32 v3, 16, v1 :: v_dual_lshlrev_b32 v4, 20, v88
	v_lshl_add_u32 v2, v2, 23, 0x3c000000
	s_delay_alu instid0(VALU_DEP_2) | instskip(NEXT) | instid1(VALU_DEP_1)
	v_and_b32_e32 v3, 0x80000000, v3
	v_or3_b32 v3, v4, v3, v2
	v_mov_b32_e32 v2, v89
	scratch_store_b64 off, v[2:3], s32 offset:556 ; 8-byte Folded Spill
.LBB208_448:                            ;   in Loop: Header=BB208_15 Depth=1
	s_wait_xcnt 0x0
	s_or_b32 exec_lo, exec_lo, s16
.LBB208_449:                            ;   in Loop: Header=BB208_15 Depth=1
	s_delay_alu instid0(SALU_CYCLE_1)
	s_or_b32 exec_lo, exec_lo, s15
.LBB208_450:                            ;   in Loop: Header=BB208_15 Depth=1
	s_delay_alu instid0(SALU_CYCLE_1) | instskip(SKIP_4) | instid1(VALU_DEP_3)
	s_or_b32 exec_lo, exec_lo, s14
	v_lshrrev_b32_e32 v4, 16, v1
	v_mov_b64_e32 v[2:3], 0
	v_mov_b64_e32 v[6:7], 0
	s_mov_b32 s14, exec_lo
	v_and_b32_e32 v5, 0xff, v4
	scratch_store_b64 off, v[6:7], s32 offset:572 ; 8-byte Folded Spill
	s_wait_xcnt 0x0
	v_cmpx_ne_u16_e32 0, v5
	s_cbranch_execz .LBB208_458
; %bb.451:                              ;   in Loop: Header=BB208_15 Depth=1
	v_mov_b64_e32 v[6:7], 0x80000000
	s_mov_b32 s15, exec_lo
	scratch_store_b64 off, v[6:7], s32 offset:572 ; 8-byte Folded Spill
	s_wait_xcnt 0x0
	v_cmpx_ne_u16_e32 0x80, v5
	s_cbranch_execz .LBB208_457
; %bb.452:                              ;   in Loop: Header=BB208_15 Depth=1
	v_mov_b64_e32 v[8:9], 0x7f800001
	v_bfe_u32 v6, v1, 16, 7
	s_mov_b32 s16, exec_lo
	scratch_store_b64 off, v[8:9], s32 offset:572 ; 8-byte Folded Spill
	s_wait_xcnt 0x0
	v_cmpx_ne_u32_e32 0x7f, v6
	s_cbranch_execz .LBB208_456
; %bb.453:                              ;   in Loop: Header=BB208_15 Depth=1
	v_dual_lshrrev_b32 v5, 3, v6 :: v_dual_bitop2_b32 v88, 7, v4 bitop3:0x40
	s_mov_b32 s17, exec_lo
	v_cmpx_gt_u32_e32 8, v6
; %bb.454:                              ;   in Loop: Header=BB208_15 Depth=1
	s_delay_alu instid0(VALU_DEP_2) | instskip(NEXT) | instid1(VALU_DEP_1)
	v_clz_i32_u32_e32 v5, v88
	v_min_u32_e32 v5, 32, v5
	s_delay_alu instid0(VALU_DEP_1) | instskip(NEXT) | instid1(VALU_DEP_1)
	v_subrev_nc_u32_e32 v6, 28, v5
	v_lshlrev_b64_e32 v[6:7], v6, v[88:89]
	s_delay_alu instid0(VALU_DEP_1)
	v_dual_sub_nc_u32 v5, 29, v5 :: v_dual_bitop2_b32 v88, 7, v6 bitop3:0x40
; %bb.455:                              ;   in Loop: Header=BB208_15 Depth=1
	s_or_b32 exec_lo, exec_lo, s17
	v_lshlrev_b32_e32 v4, 24, v4
	s_delay_alu instid0(VALU_DEP_2) | instskip(NEXT) | instid1(VALU_DEP_3)
	v_lshlrev_b32_e32 v6, 20, v88
	v_lshl_add_u32 v5, v5, 23, 0x3c000000
	s_delay_alu instid0(VALU_DEP_3) | instskip(NEXT) | instid1(VALU_DEP_1)
	v_and_b32_e32 v4, 0x80000000, v4
	v_or3_b32 v88, v6, v4, v5
	scratch_store_b64 off, v[88:89], s32 offset:572 ; 8-byte Folded Spill
.LBB208_456:                            ;   in Loop: Header=BB208_15 Depth=1
	s_wait_xcnt 0x0
	s_or_b32 exec_lo, exec_lo, s16
.LBB208_457:                            ;   in Loop: Header=BB208_15 Depth=1
	s_delay_alu instid0(SALU_CYCLE_1)
	s_or_b32 exec_lo, exec_lo, s15
.LBB208_458:                            ;   in Loop: Header=BB208_15 Depth=1
	s_delay_alu instid0(SALU_CYCLE_1) | instskip(NEXT) | instid1(SALU_CYCLE_1)
	s_or_b32 exec_lo, exec_lo, s14
	s_mov_b32 s14, exec_lo
	v_cmpx_lt_u32_e32 0xffffff, v1
	s_cbranch_execz .LBB208_466
; %bb.459:                              ;   in Loop: Header=BB208_15 Depth=1
	v_mov_b64_e32 v[2:3], 0x8000000000000000
	v_lshrrev_b32_e32 v4, 24, v1
	s_mov_b32 s15, exec_lo
	s_delay_alu instid0(VALU_DEP_1)
	v_cmpx_ne_u32_e32 0x80, v4
	s_cbranch_execz .LBB208_465
; %bb.460:                              ;   in Loop: Header=BB208_15 Depth=1
	v_mov_b64_e32 v[2:3], 0x7f80000100000000
	v_bfe_u32 v5, v1, 24, 7
	s_mov_b32 s16, exec_lo
	s_delay_alu instid0(VALU_DEP_1)
	v_cmpx_ne_u32_e32 0x7f, v5
	s_cbranch_execz .LBB208_464
; %bb.461:                              ;   in Loop: Header=BB208_15 Depth=1
	v_dual_lshrrev_b32 v1, 3, v5 :: v_dual_bitop2_b32 v88, 7, v4 bitop3:0x40
	s_mov_b32 s17, exec_lo
	v_cmpx_gt_u32_e32 8, v5
; %bb.462:                              ;   in Loop: Header=BB208_15 Depth=1
	s_delay_alu instid0(VALU_DEP_2) | instskip(NEXT) | instid1(VALU_DEP_1)
	v_clz_i32_u32_e32 v1, v88
	v_min_u32_e32 v1, 32, v1
	s_delay_alu instid0(VALU_DEP_1) | instskip(NEXT) | instid1(VALU_DEP_1)
	v_subrev_nc_u32_e32 v2, 28, v1
	v_lshlrev_b64_e32 v[2:3], v2, v[88:89]
	s_delay_alu instid0(VALU_DEP_1)
	v_dual_sub_nc_u32 v1, 29, v1 :: v_dual_bitop2_b32 v88, 7, v2 bitop3:0x40
; %bb.463:                              ;   in Loop: Header=BB208_15 Depth=1
	s_or_b32 exec_lo, exec_lo, s17
	v_lshlrev_b32_e32 v2, 24, v4
	s_delay_alu instid0(VALU_DEP_2) | instskip(NEXT) | instid1(VALU_DEP_3)
	v_lshlrev_b32_e32 v3, 20, v88
	v_lshl_add_u32 v1, v1, 23, 0x3c000000
	s_delay_alu instid0(VALU_DEP_3) | instskip(NEXT) | instid1(VALU_DEP_1)
	v_and_b32_e32 v2, 0x80000000, v2
	v_or3_b32 v3, v3, v2, v1
	v_mov_b32_e32 v2, v89
.LBB208_464:                            ;   in Loop: Header=BB208_15 Depth=1
	s_or_b32 exec_lo, exec_lo, s16
.LBB208_465:                            ;   in Loop: Header=BB208_15 Depth=1
	s_delay_alu instid0(SALU_CYCLE_1)
	s_or_b32 exec_lo, exec_lo, s15
.LBB208_466:                            ;   in Loop: Header=BB208_15 Depth=1
	s_delay_alu instid0(SALU_CYCLE_1)
	s_or_b32 exec_lo, exec_lo, s14
	flat_load_b32 v1, v[36:37] offset:1544
	v_mov_b64_e32 v[6:7], 0
	v_mov_b64_e32 v[20:21], 0
	s_mov_b32 s14, exec_lo
	s_wait_loadcnt_dscnt 0x0
	v_and_b32_e32 v4, 0xff, v1
	s_wait_xcnt 0x0
	s_delay_alu instid0(VALU_DEP_1)
	v_cmpx_ne_u16_e32 0, v4
	s_cbranch_execz .LBB208_474
; %bb.467:                              ;   in Loop: Header=BB208_15 Depth=1
	v_mov_b64_e32 v[20:21], 0x80000000
	s_mov_b32 s15, exec_lo
	v_cmpx_ne_u16_e32 0x80, v4
	s_cbranch_execz .LBB208_473
; %bb.468:                              ;   in Loop: Header=BB208_15 Depth=1
	v_mov_b64_e32 v[20:21], 0x7f800001
	v_and_b32_e32 v5, 0x7f, v1
	s_mov_b32 s16, exec_lo
	s_delay_alu instid0(VALU_DEP_1)
	v_cmpx_ne_u32_e32 0x7f, v5
	s_cbranch_execz .LBB208_472
; %bb.469:                              ;   in Loop: Header=BB208_15 Depth=1
	v_and_b32_e32 v88, 7, v1
	v_lshrrev_b32_e32 v4, 3, v5
	s_mov_b32 s17, exec_lo
	v_cmpx_gt_u32_e32 8, v5
; %bb.470:                              ;   in Loop: Header=BB208_15 Depth=1
	s_delay_alu instid0(VALU_DEP_3) | instskip(NEXT) | instid1(VALU_DEP_1)
	v_clz_i32_u32_e32 v4, v88
	v_min_u32_e32 v4, 32, v4
	s_delay_alu instid0(VALU_DEP_1) | instskip(NEXT) | instid1(VALU_DEP_1)
	v_subrev_nc_u32_e32 v5, 28, v4
	v_lshlrev_b64_e32 v[14:15], v5, v[88:89]
	s_delay_alu instid0(VALU_DEP_1)
	v_dual_sub_nc_u32 v4, 29, v4 :: v_dual_bitop2_b32 v88, 7, v14 bitop3:0x40
; %bb.471:                              ;   in Loop: Header=BB208_15 Depth=1
	s_or_b32 exec_lo, exec_lo, s17
	s_delay_alu instid0(VALU_DEP_1) | instskip(NEXT) | instid1(VALU_DEP_2)
	v_dual_lshlrev_b32 v5, 24, v1 :: v_dual_lshlrev_b32 v10, 20, v88
	v_lshl_add_u32 v4, v4, 23, 0x3c000000
	s_delay_alu instid0(VALU_DEP_2) | instskip(NEXT) | instid1(VALU_DEP_1)
	v_and_b32_e32 v5, 0x80000000, v5
	v_or3_b32 v88, v10, v5, v4
	s_delay_alu instid0(VALU_DEP_1)
	v_mov_b64_e32 v[20:21], v[88:89]
.LBB208_472:                            ;   in Loop: Header=BB208_15 Depth=1
	s_or_b32 exec_lo, exec_lo, s16
.LBB208_473:                            ;   in Loop: Header=BB208_15 Depth=1
	s_delay_alu instid0(SALU_CYCLE_1)
	s_or_b32 exec_lo, exec_lo, s15
.LBB208_474:                            ;   in Loop: Header=BB208_15 Depth=1
	s_delay_alu instid0(SALU_CYCLE_1) | instskip(SKIP_2) | instid1(VALU_DEP_1)
	s_or_b32 exec_lo, exec_lo, s14
	v_lshrrev_b16 v4, 8, v1
	s_mov_b32 s14, exec_lo
	v_cmpx_ne_u16_e32 0, v4
	s_cbranch_execz .LBB208_482
; %bb.475:                              ;   in Loop: Header=BB208_15 Depth=1
	v_mov_b64_e32 v[6:7], 0x8000000000000000
	s_mov_b32 s15, exec_lo
	v_cmpx_ne_u16_e32 0x80, v4
	s_cbranch_execz .LBB208_481
; %bb.476:                              ;   in Loop: Header=BB208_15 Depth=1
	v_and_b32_e32 v4, 0xffff, v4
	v_mov_b64_e32 v[6:7], 0x7f80000100000000
	s_mov_b32 s16, exec_lo
	s_delay_alu instid0(VALU_DEP_2) | instskip(NEXT) | instid1(VALU_DEP_1)
	v_and_b32_e32 v5, 0x7f, v4
	v_cmpx_ne_u32_e32 0x7f, v5
	s_cbranch_execz .LBB208_480
; %bb.477:                              ;   in Loop: Header=BB208_15 Depth=1
	v_dual_lshrrev_b32 v4, 3, v5 :: v_dual_bitop2_b32 v88, 7, v4 bitop3:0x40
	s_mov_b32 s17, exec_lo
	v_cmpx_gt_u32_e32 8, v5
; %bb.478:                              ;   in Loop: Header=BB208_15 Depth=1
	s_delay_alu instid0(VALU_DEP_2) | instskip(NEXT) | instid1(VALU_DEP_1)
	v_clz_i32_u32_e32 v4, v88
	v_min_u32_e32 v4, 32, v4
	s_delay_alu instid0(VALU_DEP_1) | instskip(NEXT) | instid1(VALU_DEP_1)
	v_subrev_nc_u32_e32 v5, 28, v4
	v_lshlrev_b64_e32 v[6:7], v5, v[88:89]
	s_delay_alu instid0(VALU_DEP_1)
	v_dual_sub_nc_u32 v4, 29, v4 :: v_dual_bitop2_b32 v88, 7, v6 bitop3:0x40
; %bb.479:                              ;   in Loop: Header=BB208_15 Depth=1
	s_or_b32 exec_lo, exec_lo, s17
	s_delay_alu instid0(VALU_DEP_1) | instskip(NEXT) | instid1(VALU_DEP_2)
	v_dual_lshlrev_b32 v5, 16, v1 :: v_dual_lshlrev_b32 v6, 20, v88
	v_lshl_add_u32 v4, v4, 23, 0x3c000000
	s_delay_alu instid0(VALU_DEP_2) | instskip(NEXT) | instid1(VALU_DEP_1)
	v_and_b32_e32 v5, 0x80000000, v5
	v_or3_b32 v7, v6, v5, v4
	v_mov_b32_e32 v6, v89
.LBB208_480:                            ;   in Loop: Header=BB208_15 Depth=1
	s_or_b32 exec_lo, exec_lo, s16
.LBB208_481:                            ;   in Loop: Header=BB208_15 Depth=1
	s_delay_alu instid0(SALU_CYCLE_1)
	s_or_b32 exec_lo, exec_lo, s15
.LBB208_482:                            ;   in Loop: Header=BB208_15 Depth=1
	s_delay_alu instid0(SALU_CYCLE_1) | instskip(SKIP_3) | instid1(VALU_DEP_3)
	s_or_b32 exec_lo, exec_lo, s14
	v_lshrrev_b32_e32 v4, 16, v1
	v_mov_b64_e32 v[26:27], 0
	v_mov_b64_e32 v[30:31], 0
	v_and_b32_e32 v5, 0xff, v4
	s_delay_alu instid0(VALU_DEP_1)
	v_cmp_ne_u16_e64 s1, 0, v5
	s_mov_b32 s14, exec_lo
	scratch_load_b32 v0, off, s32 offset:220 ; 4-byte Folded Reload
	s_and_b32 s1, s14, s1
	s_wait_xcnt 0x0
	s_mov_b32 exec_lo, s1
	s_cbranch_execz .LBB208_490
; %bb.483:                              ;   in Loop: Header=BB208_15 Depth=1
	v_mov_b64_e32 v[30:31], 0x80000000
	s_mov_b32 s15, exec_lo
	v_cmpx_ne_u16_e32 0x80, v5
	s_cbranch_execz .LBB208_489
; %bb.484:                              ;   in Loop: Header=BB208_15 Depth=1
	v_mov_b64_e32 v[30:31], 0x7f800001
	v_bfe_u32 v14, v1, 16, 7
	s_mov_b32 s16, exec_lo
	s_delay_alu instid0(VALU_DEP_1)
	v_cmpx_ne_u32_e32 0x7f, v14
	s_cbranch_execz .LBB208_488
; %bb.485:                              ;   in Loop: Header=BB208_15 Depth=1
	v_dual_lshrrev_b32 v5, 3, v14 :: v_dual_bitop2_b32 v88, 7, v4 bitop3:0x40
	s_mov_b32 s17, exec_lo
	v_cmpx_gt_u32_e32 8, v14
; %bb.486:                              ;   in Loop: Header=BB208_15 Depth=1
	s_delay_alu instid0(VALU_DEP_2) | instskip(NEXT) | instid1(VALU_DEP_1)
	v_clz_i32_u32_e32 v5, v88
	v_min_u32_e32 v5, 32, v5
	s_delay_alu instid0(VALU_DEP_1) | instskip(NEXT) | instid1(VALU_DEP_1)
	v_subrev_nc_u32_e32 v13, 28, v5
	v_lshlrev_b64_e32 v[14:15], v13, v[88:89]
	s_delay_alu instid0(VALU_DEP_1)
	v_dual_sub_nc_u32 v5, 29, v5 :: v_dual_bitop2_b32 v88, 7, v14 bitop3:0x40
; %bb.487:                              ;   in Loop: Header=BB208_15 Depth=1
	s_or_b32 exec_lo, exec_lo, s17
	v_lshlrev_b32_e32 v4, 24, v4
	s_delay_alu instid0(VALU_DEP_2) | instskip(NEXT) | instid1(VALU_DEP_3)
	v_lshlrev_b32_e32 v10, 20, v88
	v_lshl_add_u32 v5, v5, 23, 0x3c000000
	s_delay_alu instid0(VALU_DEP_3) | instskip(NEXT) | instid1(VALU_DEP_1)
	v_and_b32_e32 v4, 0x80000000, v4
	v_or3_b32 v88, v10, v4, v5
	s_delay_alu instid0(VALU_DEP_1)
	v_mov_b64_e32 v[30:31], v[88:89]
.LBB208_488:                            ;   in Loop: Header=BB208_15 Depth=1
	s_or_b32 exec_lo, exec_lo, s16
.LBB208_489:                            ;   in Loop: Header=BB208_15 Depth=1
	s_delay_alu instid0(SALU_CYCLE_1)
	s_or_b32 exec_lo, exec_lo, s15
.LBB208_490:                            ;   in Loop: Header=BB208_15 Depth=1
	s_delay_alu instid0(SALU_CYCLE_1) | instskip(NEXT) | instid1(SALU_CYCLE_1)
	s_or_b32 exec_lo, exec_lo, s14
	s_mov_b32 s14, exec_lo
	v_cmpx_lt_u32_e32 0xffffff, v1
	s_cbranch_execz .LBB208_498
; %bb.491:                              ;   in Loop: Header=BB208_15 Depth=1
	v_mov_b64_e32 v[26:27], 0x8000000000000000
	v_lshrrev_b32_e32 v4, 24, v1
	s_mov_b32 s15, exec_lo
	s_delay_alu instid0(VALU_DEP_1)
	v_cmpx_ne_u32_e32 0x80, v4
	s_cbranch_execz .LBB208_497
; %bb.492:                              ;   in Loop: Header=BB208_15 Depth=1
	v_mov_b64_e32 v[26:27], 0x7f80000100000000
	v_bfe_u32 v5, v1, 24, 7
	s_mov_b32 s16, exec_lo
	s_delay_alu instid0(VALU_DEP_1)
	v_cmpx_ne_u32_e32 0x7f, v5
	s_cbranch_execz .LBB208_496
; %bb.493:                              ;   in Loop: Header=BB208_15 Depth=1
	v_dual_lshrrev_b32 v1, 3, v5 :: v_dual_bitop2_b32 v88, 7, v4 bitop3:0x40
	s_mov_b32 s17, exec_lo
	v_cmpx_gt_u32_e32 8, v5
; %bb.494:                              ;   in Loop: Header=BB208_15 Depth=1
	s_delay_alu instid0(VALU_DEP_2) | instskip(NEXT) | instid1(VALU_DEP_1)
	v_clz_i32_u32_e32 v1, v88
	v_min_u32_e32 v1, 32, v1
	s_delay_alu instid0(VALU_DEP_1) | instskip(NEXT) | instid1(VALU_DEP_1)
	v_subrev_nc_u32_e32 v5, 28, v1
	v_lshlrev_b64_e32 v[14:15], v5, v[88:89]
	s_delay_alu instid0(VALU_DEP_1)
	v_dual_sub_nc_u32 v1, 29, v1 :: v_dual_bitop2_b32 v88, 7, v14 bitop3:0x40
; %bb.495:                              ;   in Loop: Header=BB208_15 Depth=1
	s_or_b32 exec_lo, exec_lo, s17
	v_dual_lshlrev_b32 v4, 24, v4 :: v_dual_mov_b32 v26, v89
	s_delay_alu instid0(VALU_DEP_2) | instskip(NEXT) | instid1(VALU_DEP_3)
	v_lshlrev_b32_e32 v5, 20, v88
	v_lshl_add_u32 v1, v1, 23, 0x3c000000
	s_delay_alu instid0(VALU_DEP_3) | instskip(NEXT) | instid1(VALU_DEP_1)
	v_and_b32_e32 v4, 0x80000000, v4
	v_or3_b32 v27, v5, v4, v1
.LBB208_496:                            ;   in Loop: Header=BB208_15 Depth=1
	s_or_b32 exec_lo, exec_lo, s16
.LBB208_497:                            ;   in Loop: Header=BB208_15 Depth=1
	s_delay_alu instid0(SALU_CYCLE_1)
	s_or_b32 exec_lo, exec_lo, s15
.LBB208_498:                            ;   in Loop: Header=BB208_15 Depth=1
	s_delay_alu instid0(SALU_CYCLE_1)
	s_or_b32 exec_lo, exec_lo, s14
	flat_load_b32 v1, v[36:37] offset:1548
	v_mov_b64_e32 v[14:15], 0
	v_mov_b64_e32 v[34:35], 0
	s_mov_b32 s14, exec_lo
	s_wait_loadcnt_dscnt 0x0
	v_and_b32_e32 v4, 0xff, v1
	s_wait_xcnt 0x0
	s_delay_alu instid0(VALU_DEP_1)
	v_cmpx_ne_u16_e32 0, v4
	s_cbranch_execz .LBB208_506
; %bb.499:                              ;   in Loop: Header=BB208_15 Depth=1
	v_mov_b64_e32 v[34:35], 0x80000000
	s_mov_b32 s15, exec_lo
	v_cmpx_ne_u16_e32 0x80, v4
	s_cbranch_execz .LBB208_505
; %bb.500:                              ;   in Loop: Header=BB208_15 Depth=1
	v_mov_b64_e32 v[34:35], 0x7f800001
	v_and_b32_e32 v5, 0x7f, v1
	s_mov_b32 s16, exec_lo
	s_delay_alu instid0(VALU_DEP_1)
	v_cmpx_ne_u32_e32 0x7f, v5
	s_cbranch_execz .LBB208_504
; %bb.501:                              ;   in Loop: Header=BB208_15 Depth=1
	v_and_b32_e32 v88, 7, v1
	v_lshrrev_b32_e32 v4, 3, v5
	s_mov_b32 s17, exec_lo
	v_cmpx_gt_u32_e32 8, v5
; %bb.502:                              ;   in Loop: Header=BB208_15 Depth=1
	s_delay_alu instid0(VALU_DEP_3) | instskip(NEXT) | instid1(VALU_DEP_1)
	v_clz_i32_u32_e32 v4, v88
	v_min_u32_e32 v4, 32, v4
	s_delay_alu instid0(VALU_DEP_1) | instskip(SKIP_1) | instid1(VALU_DEP_2)
	v_subrev_nc_u32_e32 v5, 28, v4
	v_sub_nc_u32_e32 v4, 29, v4
	v_lshlrev_b64_e32 v[16:17], v5, v[88:89]
	s_delay_alu instid0(VALU_DEP_1)
	v_and_b32_e32 v88, 7, v16
; %bb.503:                              ;   in Loop: Header=BB208_15 Depth=1
	s_or_b32 exec_lo, exec_lo, s17
	s_delay_alu instid0(VALU_DEP_1) | instskip(SKIP_1) | instid1(VALU_DEP_2)
	v_dual_lshlrev_b32 v5, 24, v1 :: v_dual_lshlrev_b32 v10, 20, v88
	v_lshl_add_u32 v4, v4, 23, 0x3c000000
	v_and_b32_e32 v5, 0x80000000, v5
	s_delay_alu instid0(VALU_DEP_1) | instskip(NEXT) | instid1(VALU_DEP_1)
	v_or3_b32 v88, v10, v5, v4
	v_mov_b64_e32 v[34:35], v[88:89]
.LBB208_504:                            ;   in Loop: Header=BB208_15 Depth=1
	s_or_b32 exec_lo, exec_lo, s16
.LBB208_505:                            ;   in Loop: Header=BB208_15 Depth=1
	s_delay_alu instid0(SALU_CYCLE_1)
	s_or_b32 exec_lo, exec_lo, s15
.LBB208_506:                            ;   in Loop: Header=BB208_15 Depth=1
	s_delay_alu instid0(SALU_CYCLE_1) | instskip(SKIP_2) | instid1(VALU_DEP_1)
	s_or_b32 exec_lo, exec_lo, s14
	v_lshrrev_b16 v4, 8, v1
	s_mov_b32 s14, exec_lo
	v_cmpx_ne_u16_e32 0, v4
	s_cbranch_execz .LBB208_514
; %bb.507:                              ;   in Loop: Header=BB208_15 Depth=1
	v_mov_b64_e32 v[14:15], 0x8000000000000000
	s_mov_b32 s15, exec_lo
	v_cmpx_ne_u16_e32 0x80, v4
	s_cbranch_execz .LBB208_513
; %bb.508:                              ;   in Loop: Header=BB208_15 Depth=1
	v_and_b32_e32 v4, 0xffff, v4
	v_mov_b64_e32 v[14:15], 0x7f80000100000000
	s_mov_b32 s16, exec_lo
	s_delay_alu instid0(VALU_DEP_2) | instskip(NEXT) | instid1(VALU_DEP_1)
	v_and_b32_e32 v5, 0x7f, v4
	v_cmpx_ne_u32_e32 0x7f, v5
	s_cbranch_execz .LBB208_512
; %bb.509:                              ;   in Loop: Header=BB208_15 Depth=1
	v_dual_lshrrev_b32 v4, 3, v5 :: v_dual_bitop2_b32 v88, 7, v4 bitop3:0x40
	s_mov_b32 s17, exec_lo
	v_cmpx_gt_u32_e32 8, v5
; %bb.510:                              ;   in Loop: Header=BB208_15 Depth=1
	s_delay_alu instid0(VALU_DEP_2) | instskip(NEXT) | instid1(VALU_DEP_1)
	v_clz_i32_u32_e32 v4, v88
	v_min_u32_e32 v4, 32, v4
	s_delay_alu instid0(VALU_DEP_1) | instskip(NEXT) | instid1(VALU_DEP_1)
	v_subrev_nc_u32_e32 v5, 28, v4
	v_lshlrev_b64_e32 v[14:15], v5, v[88:89]
	s_delay_alu instid0(VALU_DEP_1)
	v_dual_sub_nc_u32 v4, 29, v4 :: v_dual_bitop2_b32 v88, 7, v14 bitop3:0x40
; %bb.511:                              ;   in Loop: Header=BB208_15 Depth=1
	s_or_b32 exec_lo, exec_lo, s17
	s_delay_alu instid0(VALU_DEP_1) | instskip(NEXT) | instid1(VALU_DEP_2)
	v_dual_lshlrev_b32 v5, 16, v1 :: v_dual_lshlrev_b32 v10, 20, v88
	v_lshl_add_u32 v4, v4, 23, 0x3c000000
	v_mov_b32_e32 v14, v89
	s_delay_alu instid0(VALU_DEP_3) | instskip(NEXT) | instid1(VALU_DEP_1)
	v_and_b32_e32 v5, 0x80000000, v5
	v_or3_b32 v15, v10, v5, v4
.LBB208_512:                            ;   in Loop: Header=BB208_15 Depth=1
	s_or_b32 exec_lo, exec_lo, s16
.LBB208_513:                            ;   in Loop: Header=BB208_15 Depth=1
	s_delay_alu instid0(SALU_CYCLE_1)
	s_or_b32 exec_lo, exec_lo, s15
.LBB208_514:                            ;   in Loop: Header=BB208_15 Depth=1
	s_delay_alu instid0(SALU_CYCLE_1) | instskip(SKIP_4) | instid1(VALU_DEP_3)
	s_or_b32 exec_lo, exec_lo, s14
	v_lshrrev_b32_e32 v4, 16, v1
	v_mov_b64_e32 v[24:25], 0
	v_mov_b64_e32 v[48:49], 0
	s_mov_b32 s14, exec_lo
	v_and_b32_e32 v5, 0xff, v4
	s_delay_alu instid0(VALU_DEP_1)
	v_cmpx_ne_u16_e32 0, v5
	s_cbranch_execz .LBB208_522
; %bb.515:                              ;   in Loop: Header=BB208_15 Depth=1
	v_mov_b64_e32 v[48:49], 0x80000000
	s_mov_b32 s15, exec_lo
	v_cmpx_ne_u16_e32 0x80, v5
	s_cbranch_execz .LBB208_521
; %bb.516:                              ;   in Loop: Header=BB208_15 Depth=1
	v_mov_b64_e32 v[48:49], 0x7f800001
	v_bfe_u32 v16, v1, 16, 7
	s_mov_b32 s16, exec_lo
	s_delay_alu instid0(VALU_DEP_1)
	v_cmpx_ne_u32_e32 0x7f, v16
	s_cbranch_execz .LBB208_520
; %bb.517:                              ;   in Loop: Header=BB208_15 Depth=1
	v_and_b32_e32 v88, 7, v4
	v_lshrrev_b32_e32 v5, 3, v16
	s_mov_b32 s17, exec_lo
	v_cmpx_gt_u32_e32 8, v16
; %bb.518:                              ;   in Loop: Header=BB208_15 Depth=1
	s_delay_alu instid0(VALU_DEP_3) | instskip(NEXT) | instid1(VALU_DEP_1)
	v_clz_i32_u32_e32 v5, v88
	v_min_u32_e32 v5, 32, v5
	s_delay_alu instid0(VALU_DEP_1) | instskip(NEXT) | instid1(VALU_DEP_1)
	v_subrev_nc_u32_e32 v13, 28, v5
	v_lshlrev_b64_e32 v[16:17], v13, v[88:89]
	s_delay_alu instid0(VALU_DEP_1)
	v_dual_sub_nc_u32 v5, 29, v5 :: v_dual_bitop2_b32 v88, 7, v16 bitop3:0x40
; %bb.519:                              ;   in Loop: Header=BB208_15 Depth=1
	s_or_b32 exec_lo, exec_lo, s17
	v_lshlrev_b32_e32 v4, 24, v4
	s_delay_alu instid0(VALU_DEP_2) | instskip(NEXT) | instid1(VALU_DEP_3)
	v_lshlrev_b32_e32 v10, 20, v88
	v_lshl_add_u32 v5, v5, 23, 0x3c000000
	s_delay_alu instid0(VALU_DEP_3) | instskip(NEXT) | instid1(VALU_DEP_1)
	v_and_b32_e32 v4, 0x80000000, v4
	v_or3_b32 v88, v10, v4, v5
	s_delay_alu instid0(VALU_DEP_1)
	v_mov_b64_e32 v[48:49], v[88:89]
.LBB208_520:                            ;   in Loop: Header=BB208_15 Depth=1
	s_or_b32 exec_lo, exec_lo, s16
.LBB208_521:                            ;   in Loop: Header=BB208_15 Depth=1
	s_delay_alu instid0(SALU_CYCLE_1)
	s_or_b32 exec_lo, exec_lo, s15
.LBB208_522:                            ;   in Loop: Header=BB208_15 Depth=1
	s_delay_alu instid0(SALU_CYCLE_1) | instskip(NEXT) | instid1(SALU_CYCLE_1)
	s_or_b32 exec_lo, exec_lo, s14
	s_mov_b32 s14, exec_lo
	v_cmpx_lt_u32_e32 0xffffff, v1
	s_cbranch_execz .LBB208_530
; %bb.523:                              ;   in Loop: Header=BB208_15 Depth=1
	v_mov_b64_e32 v[24:25], 0x8000000000000000
	v_lshrrev_b32_e32 v4, 24, v1
	s_mov_b32 s15, exec_lo
	s_delay_alu instid0(VALU_DEP_1)
	v_cmpx_ne_u32_e32 0x80, v4
	s_cbranch_execz .LBB208_529
; %bb.524:                              ;   in Loop: Header=BB208_15 Depth=1
	v_mov_b64_e32 v[24:25], 0x7f80000100000000
	v_bfe_u32 v5, v1, 24, 7
	s_mov_b32 s16, exec_lo
	s_delay_alu instid0(VALU_DEP_1)
	v_cmpx_ne_u32_e32 0x7f, v5
	s_cbranch_execz .LBB208_528
; %bb.525:                              ;   in Loop: Header=BB208_15 Depth=1
	v_dual_lshrrev_b32 v1, 3, v5 :: v_dual_bitop2_b32 v88, 7, v4 bitop3:0x40
	s_mov_b32 s17, exec_lo
	v_cmpx_gt_u32_e32 8, v5
; %bb.526:                              ;   in Loop: Header=BB208_15 Depth=1
	s_delay_alu instid0(VALU_DEP_2) | instskip(NEXT) | instid1(VALU_DEP_1)
	v_clz_i32_u32_e32 v1, v88
	v_min_u32_e32 v1, 32, v1
	s_delay_alu instid0(VALU_DEP_1) | instskip(NEXT) | instid1(VALU_DEP_1)
	v_subrev_nc_u32_e32 v5, 28, v1
	v_lshlrev_b64_e32 v[16:17], v5, v[88:89]
	s_delay_alu instid0(VALU_DEP_1)
	v_dual_sub_nc_u32 v1, 29, v1 :: v_dual_bitop2_b32 v88, 7, v16 bitop3:0x40
; %bb.527:                              ;   in Loop: Header=BB208_15 Depth=1
	s_or_b32 exec_lo, exec_lo, s17
	v_dual_lshlrev_b32 v4, 24, v4 :: v_dual_mov_b32 v24, v89
	s_delay_alu instid0(VALU_DEP_2) | instskip(NEXT) | instid1(VALU_DEP_3)
	v_lshlrev_b32_e32 v5, 20, v88
	v_lshl_add_u32 v1, v1, 23, 0x3c000000
	s_delay_alu instid0(VALU_DEP_3) | instskip(NEXT) | instid1(VALU_DEP_1)
	v_and_b32_e32 v4, 0x80000000, v4
	v_or3_b32 v25, v5, v4, v1
.LBB208_528:                            ;   in Loop: Header=BB208_15 Depth=1
	s_or_b32 exec_lo, exec_lo, s16
.LBB208_529:                            ;   in Loop: Header=BB208_15 Depth=1
	s_delay_alu instid0(SALU_CYCLE_1)
	s_or_b32 exec_lo, exec_lo, s15
.LBB208_530:                            ;   in Loop: Header=BB208_15 Depth=1
	s_delay_alu instid0(SALU_CYCLE_1)
	s_or_b32 exec_lo, exec_lo, s14
	flat_load_b32 v1, v[36:37] offset:2048
	v_mov_b64_e32 v[28:29], 0
	v_mov_b64_e32 v[52:53], 0
	s_mov_b32 s14, exec_lo
	s_wait_loadcnt_dscnt 0x0
	v_and_b32_e32 v4, 0xff, v1
	s_wait_xcnt 0x0
	s_delay_alu instid0(VALU_DEP_1)
	v_cmpx_ne_u16_e32 0, v4
	s_cbranch_execz .LBB208_538
; %bb.531:                              ;   in Loop: Header=BB208_15 Depth=1
	v_mov_b64_e32 v[52:53], 0x80000000
	s_mov_b32 s15, exec_lo
	v_cmpx_ne_u16_e32 0x80, v4
	s_cbranch_execz .LBB208_537
; %bb.532:                              ;   in Loop: Header=BB208_15 Depth=1
	v_mov_b64_e32 v[52:53], 0x7f800001
	v_and_b32_e32 v5, 0x7f, v1
	s_mov_b32 s16, exec_lo
	s_delay_alu instid0(VALU_DEP_1)
	v_cmpx_ne_u32_e32 0x7f, v5
	s_cbranch_execz .LBB208_536
; %bb.533:                              ;   in Loop: Header=BB208_15 Depth=1
	v_and_b32_e32 v88, 7, v1
	v_lshrrev_b32_e32 v4, 3, v5
	s_mov_b32 s17, exec_lo
	v_cmpx_gt_u32_e32 8, v5
; %bb.534:                              ;   in Loop: Header=BB208_15 Depth=1
	s_delay_alu instid0(VALU_DEP_3) | instskip(NEXT) | instid1(VALU_DEP_1)
	v_clz_i32_u32_e32 v4, v88
	v_min_u32_e32 v4, 32, v4
	s_delay_alu instid0(VALU_DEP_1) | instskip(SKIP_1) | instid1(VALU_DEP_2)
	v_subrev_nc_u32_e32 v5, 28, v4
	v_sub_nc_u32_e32 v4, 29, v4
	v_lshlrev_b64_e32 v[16:17], v5, v[88:89]
	s_delay_alu instid0(VALU_DEP_1)
	v_and_b32_e32 v88, 7, v16
; %bb.535:                              ;   in Loop: Header=BB208_15 Depth=1
	s_or_b32 exec_lo, exec_lo, s17
	s_delay_alu instid0(VALU_DEP_1) | instskip(SKIP_1) | instid1(VALU_DEP_2)
	v_dual_lshlrev_b32 v5, 24, v1 :: v_dual_lshlrev_b32 v10, 20, v88
	v_lshl_add_u32 v4, v4, 23, 0x3c000000
	v_and_b32_e32 v5, 0x80000000, v5
	s_delay_alu instid0(VALU_DEP_1) | instskip(NEXT) | instid1(VALU_DEP_1)
	v_or3_b32 v88, v10, v5, v4
	v_mov_b64_e32 v[52:53], v[88:89]
.LBB208_536:                            ;   in Loop: Header=BB208_15 Depth=1
	s_or_b32 exec_lo, exec_lo, s16
.LBB208_537:                            ;   in Loop: Header=BB208_15 Depth=1
	s_delay_alu instid0(SALU_CYCLE_1)
	s_or_b32 exec_lo, exec_lo, s15
.LBB208_538:                            ;   in Loop: Header=BB208_15 Depth=1
	s_delay_alu instid0(SALU_CYCLE_1) | instskip(SKIP_2) | instid1(VALU_DEP_1)
	s_or_b32 exec_lo, exec_lo, s14
	v_lshrrev_b16 v4, 8, v1
	s_mov_b32 s14, exec_lo
	v_cmpx_ne_u16_e32 0, v4
	s_cbranch_execz .LBB208_546
; %bb.539:                              ;   in Loop: Header=BB208_15 Depth=1
	v_mov_b64_e32 v[28:29], 0x8000000000000000
	s_mov_b32 s15, exec_lo
	v_cmpx_ne_u16_e32 0x80, v4
	s_cbranch_execz .LBB208_545
; %bb.540:                              ;   in Loop: Header=BB208_15 Depth=1
	v_and_b32_e32 v4, 0xffff, v4
	v_mov_b64_e32 v[28:29], 0x7f80000100000000
	s_mov_b32 s16, exec_lo
	s_delay_alu instid0(VALU_DEP_2) | instskip(NEXT) | instid1(VALU_DEP_1)
	v_and_b32_e32 v5, 0x7f, v4
	v_cmpx_ne_u32_e32 0x7f, v5
	s_cbranch_execz .LBB208_544
; %bb.541:                              ;   in Loop: Header=BB208_15 Depth=1
	v_dual_lshrrev_b32 v4, 3, v5 :: v_dual_bitop2_b32 v88, 7, v4 bitop3:0x40
	s_mov_b32 s17, exec_lo
	v_cmpx_gt_u32_e32 8, v5
; %bb.542:                              ;   in Loop: Header=BB208_15 Depth=1
	s_delay_alu instid0(VALU_DEP_2) | instskip(NEXT) | instid1(VALU_DEP_1)
	v_clz_i32_u32_e32 v4, v88
	v_min_u32_e32 v4, 32, v4
	s_delay_alu instid0(VALU_DEP_1) | instskip(SKIP_1) | instid1(VALU_DEP_2)
	v_subrev_nc_u32_e32 v5, 28, v4
	v_sub_nc_u32_e32 v4, 29, v4
	v_lshlrev_b64_e32 v[16:17], v5, v[88:89]
	s_delay_alu instid0(VALU_DEP_1)
	v_and_b32_e32 v88, 7, v16
; %bb.543:                              ;   in Loop: Header=BB208_15 Depth=1
	s_or_b32 exec_lo, exec_lo, s17
	s_delay_alu instid0(VALU_DEP_1) | instskip(SKIP_2) | instid1(VALU_DEP_3)
	v_dual_lshlrev_b32 v5, 16, v1 :: v_dual_lshlrev_b32 v10, 20, v88
	v_lshl_add_u32 v4, v4, 23, 0x3c000000
	v_mov_b32_e32 v28, v89
	v_and_b32_e32 v5, 0x80000000, v5
	s_delay_alu instid0(VALU_DEP_1)
	v_or3_b32 v29, v10, v5, v4
.LBB208_544:                            ;   in Loop: Header=BB208_15 Depth=1
	s_or_b32 exec_lo, exec_lo, s16
.LBB208_545:                            ;   in Loop: Header=BB208_15 Depth=1
	s_delay_alu instid0(SALU_CYCLE_1)
	s_or_b32 exec_lo, exec_lo, s15
.LBB208_546:                            ;   in Loop: Header=BB208_15 Depth=1
	s_delay_alu instid0(SALU_CYCLE_1) | instskip(SKIP_4) | instid1(VALU_DEP_3)
	s_or_b32 exec_lo, exec_lo, s14
	v_lshrrev_b32_e32 v4, 16, v1
	v_mov_b64_e32 v[32:33], 0
	v_mov_b64_e32 v[64:65], 0
	s_mov_b32 s14, exec_lo
	v_and_b32_e32 v5, 0xff, v4
	s_delay_alu instid0(VALU_DEP_1)
	v_cmpx_ne_u16_e32 0, v5
	s_cbranch_execz .LBB208_554
; %bb.547:                              ;   in Loop: Header=BB208_15 Depth=1
	v_mov_b64_e32 v[64:65], 0x80000000
	s_mov_b32 s15, exec_lo
	v_cmpx_ne_u16_e32 0x80, v5
	s_cbranch_execz .LBB208_553
; %bb.548:                              ;   in Loop: Header=BB208_15 Depth=1
	v_mov_b64_e32 v[64:65], 0x7f800001
	v_bfe_u32 v16, v1, 16, 7
	s_mov_b32 s16, exec_lo
	s_delay_alu instid0(VALU_DEP_1)
	v_cmpx_ne_u32_e32 0x7f, v16
	s_cbranch_execz .LBB208_552
; %bb.549:                              ;   in Loop: Header=BB208_15 Depth=1
	v_and_b32_e32 v88, 7, v4
	v_lshrrev_b32_e32 v5, 3, v16
	s_mov_b32 s17, exec_lo
	v_cmpx_gt_u32_e32 8, v16
; %bb.550:                              ;   in Loop: Header=BB208_15 Depth=1
	s_delay_alu instid0(VALU_DEP_3) | instskip(NEXT) | instid1(VALU_DEP_1)
	v_clz_i32_u32_e32 v5, v88
	v_min_u32_e32 v5, 32, v5
	s_delay_alu instid0(VALU_DEP_1) | instskip(NEXT) | instid1(VALU_DEP_1)
	v_subrev_nc_u32_e32 v13, 28, v5
	v_lshlrev_b64_e32 v[16:17], v13, v[88:89]
	s_delay_alu instid0(VALU_DEP_1)
	v_dual_sub_nc_u32 v5, 29, v5 :: v_dual_bitop2_b32 v88, 7, v16 bitop3:0x40
; %bb.551:                              ;   in Loop: Header=BB208_15 Depth=1
	s_or_b32 exec_lo, exec_lo, s17
	v_lshlrev_b32_e32 v4, 24, v4
	s_delay_alu instid0(VALU_DEP_2) | instskip(NEXT) | instid1(VALU_DEP_3)
	v_lshlrev_b32_e32 v10, 20, v88
	v_lshl_add_u32 v5, v5, 23, 0x3c000000
	s_delay_alu instid0(VALU_DEP_3) | instskip(NEXT) | instid1(VALU_DEP_1)
	v_and_b32_e32 v4, 0x80000000, v4
	v_or3_b32 v88, v10, v4, v5
	s_delay_alu instid0(VALU_DEP_1)
	v_mov_b64_e32 v[64:65], v[88:89]
.LBB208_552:                            ;   in Loop: Header=BB208_15 Depth=1
	s_or_b32 exec_lo, exec_lo, s16
.LBB208_553:                            ;   in Loop: Header=BB208_15 Depth=1
	s_delay_alu instid0(SALU_CYCLE_1)
	s_or_b32 exec_lo, exec_lo, s15
.LBB208_554:                            ;   in Loop: Header=BB208_15 Depth=1
	s_delay_alu instid0(SALU_CYCLE_1) | instskip(NEXT) | instid1(SALU_CYCLE_1)
	s_or_b32 exec_lo, exec_lo, s14
	s_mov_b32 s14, exec_lo
	v_cmpx_lt_u32_e32 0xffffff, v1
	s_cbranch_execz .LBB208_562
; %bb.555:                              ;   in Loop: Header=BB208_15 Depth=1
	v_mov_b64_e32 v[32:33], 0x8000000000000000
	v_lshrrev_b32_e32 v4, 24, v1
	s_mov_b32 s15, exec_lo
	s_delay_alu instid0(VALU_DEP_1)
	v_cmpx_ne_u32_e32 0x80, v4
	s_cbranch_execz .LBB208_561
; %bb.556:                              ;   in Loop: Header=BB208_15 Depth=1
	v_mov_b64_e32 v[32:33], 0x7f80000100000000
	v_bfe_u32 v5, v1, 24, 7
	s_mov_b32 s16, exec_lo
	s_delay_alu instid0(VALU_DEP_1)
	v_cmpx_ne_u32_e32 0x7f, v5
	s_cbranch_execz .LBB208_560
; %bb.557:                              ;   in Loop: Header=BB208_15 Depth=1
	v_dual_lshrrev_b32 v1, 3, v5 :: v_dual_bitop2_b32 v88, 7, v4 bitop3:0x40
	s_mov_b32 s17, exec_lo
	v_cmpx_gt_u32_e32 8, v5
; %bb.558:                              ;   in Loop: Header=BB208_15 Depth=1
	s_delay_alu instid0(VALU_DEP_2) | instskip(NEXT) | instid1(VALU_DEP_1)
	v_clz_i32_u32_e32 v1, v88
	v_min_u32_e32 v1, 32, v1
	s_delay_alu instid0(VALU_DEP_1) | instskip(NEXT) | instid1(VALU_DEP_1)
	v_subrev_nc_u32_e32 v5, 28, v1
	v_lshlrev_b64_e32 v[16:17], v5, v[88:89]
	s_delay_alu instid0(VALU_DEP_1)
	v_dual_sub_nc_u32 v1, 29, v1 :: v_dual_bitop2_b32 v88, 7, v16 bitop3:0x40
; %bb.559:                              ;   in Loop: Header=BB208_15 Depth=1
	s_or_b32 exec_lo, exec_lo, s17
	v_dual_lshlrev_b32 v4, 24, v4 :: v_dual_mov_b32 v32, v89
	s_delay_alu instid0(VALU_DEP_2) | instskip(NEXT) | instid1(VALU_DEP_3)
	v_lshlrev_b32_e32 v5, 20, v88
	v_lshl_add_u32 v1, v1, 23, 0x3c000000
	s_delay_alu instid0(VALU_DEP_3) | instskip(NEXT) | instid1(VALU_DEP_1)
	v_and_b32_e32 v4, 0x80000000, v4
	v_or3_b32 v33, v5, v4, v1
.LBB208_560:                            ;   in Loop: Header=BB208_15 Depth=1
	s_or_b32 exec_lo, exec_lo, s16
.LBB208_561:                            ;   in Loop: Header=BB208_15 Depth=1
	s_delay_alu instid0(SALU_CYCLE_1)
	s_or_b32 exec_lo, exec_lo, s15
.LBB208_562:                            ;   in Loop: Header=BB208_15 Depth=1
	s_delay_alu instid0(SALU_CYCLE_1)
	s_or_b32 exec_lo, exec_lo, s14
	flat_load_b32 v1, v[36:37] offset:2052
	v_mov_b64_e32 v[38:39], 0
	v_mov_b64_e32 v[68:69], 0
	s_mov_b32 s14, exec_lo
	s_wait_loadcnt_dscnt 0x0
	v_and_b32_e32 v4, 0xff, v1
	s_wait_xcnt 0x0
	s_delay_alu instid0(VALU_DEP_1)
	v_cmpx_ne_u16_e32 0, v4
	s_cbranch_execz .LBB208_570
; %bb.563:                              ;   in Loop: Header=BB208_15 Depth=1
	v_mov_b64_e32 v[68:69], 0x80000000
	s_mov_b32 s15, exec_lo
	v_cmpx_ne_u16_e32 0x80, v4
	s_cbranch_execz .LBB208_569
; %bb.564:                              ;   in Loop: Header=BB208_15 Depth=1
	v_mov_b64_e32 v[68:69], 0x7f800001
	v_and_b32_e32 v5, 0x7f, v1
	s_mov_b32 s16, exec_lo
	s_delay_alu instid0(VALU_DEP_1)
	v_cmpx_ne_u32_e32 0x7f, v5
	s_cbranch_execz .LBB208_568
; %bb.565:                              ;   in Loop: Header=BB208_15 Depth=1
	v_and_b32_e32 v88, 7, v1
	v_lshrrev_b32_e32 v4, 3, v5
	s_mov_b32 s17, exec_lo
	v_cmpx_gt_u32_e32 8, v5
; %bb.566:                              ;   in Loop: Header=BB208_15 Depth=1
	s_delay_alu instid0(VALU_DEP_3) | instskip(NEXT) | instid1(VALU_DEP_1)
	v_clz_i32_u32_e32 v4, v88
	v_min_u32_e32 v4, 32, v4
	s_delay_alu instid0(VALU_DEP_1) | instskip(SKIP_1) | instid1(VALU_DEP_2)
	v_subrev_nc_u32_e32 v5, 28, v4
	v_sub_nc_u32_e32 v4, 29, v4
	v_lshlrev_b64_e32 v[16:17], v5, v[88:89]
	s_delay_alu instid0(VALU_DEP_1)
	v_and_b32_e32 v88, 7, v16
; %bb.567:                              ;   in Loop: Header=BB208_15 Depth=1
	s_or_b32 exec_lo, exec_lo, s17
	s_delay_alu instid0(VALU_DEP_1) | instskip(SKIP_1) | instid1(VALU_DEP_2)
	v_dual_lshlrev_b32 v5, 24, v1 :: v_dual_lshlrev_b32 v10, 20, v88
	v_lshl_add_u32 v4, v4, 23, 0x3c000000
	v_and_b32_e32 v5, 0x80000000, v5
	s_delay_alu instid0(VALU_DEP_1) | instskip(NEXT) | instid1(VALU_DEP_1)
	v_or3_b32 v88, v10, v5, v4
	v_mov_b64_e32 v[68:69], v[88:89]
.LBB208_568:                            ;   in Loop: Header=BB208_15 Depth=1
	s_or_b32 exec_lo, exec_lo, s16
.LBB208_569:                            ;   in Loop: Header=BB208_15 Depth=1
	s_delay_alu instid0(SALU_CYCLE_1)
	s_or_b32 exec_lo, exec_lo, s15
.LBB208_570:                            ;   in Loop: Header=BB208_15 Depth=1
	s_delay_alu instid0(SALU_CYCLE_1) | instskip(SKIP_2) | instid1(VALU_DEP_1)
	s_or_b32 exec_lo, exec_lo, s14
	v_lshrrev_b16 v4, 8, v1
	s_mov_b32 s14, exec_lo
	v_cmpx_ne_u16_e32 0, v4
	s_cbranch_execz .LBB208_578
; %bb.571:                              ;   in Loop: Header=BB208_15 Depth=1
	v_mov_b64_e32 v[38:39], 0x8000000000000000
	s_mov_b32 s15, exec_lo
	v_cmpx_ne_u16_e32 0x80, v4
	s_cbranch_execz .LBB208_577
; %bb.572:                              ;   in Loop: Header=BB208_15 Depth=1
	v_and_b32_e32 v4, 0xffff, v4
	v_mov_b64_e32 v[38:39], 0x7f80000100000000
	s_mov_b32 s16, exec_lo
	s_delay_alu instid0(VALU_DEP_2) | instskip(NEXT) | instid1(VALU_DEP_1)
	v_and_b32_e32 v5, 0x7f, v4
	v_cmpx_ne_u32_e32 0x7f, v5
	s_cbranch_execz .LBB208_576
; %bb.573:                              ;   in Loop: Header=BB208_15 Depth=1
	v_dual_lshrrev_b32 v4, 3, v5 :: v_dual_bitop2_b32 v88, 7, v4 bitop3:0x40
	s_mov_b32 s17, exec_lo
	v_cmpx_gt_u32_e32 8, v5
; %bb.574:                              ;   in Loop: Header=BB208_15 Depth=1
	s_delay_alu instid0(VALU_DEP_2) | instskip(NEXT) | instid1(VALU_DEP_1)
	v_clz_i32_u32_e32 v4, v88
	v_min_u32_e32 v4, 32, v4
	s_delay_alu instid0(VALU_DEP_1) | instskip(SKIP_1) | instid1(VALU_DEP_2)
	v_subrev_nc_u32_e32 v5, 28, v4
	v_sub_nc_u32_e32 v4, 29, v4
	v_lshlrev_b64_e32 v[16:17], v5, v[88:89]
	s_delay_alu instid0(VALU_DEP_1)
	v_and_b32_e32 v88, 7, v16
; %bb.575:                              ;   in Loop: Header=BB208_15 Depth=1
	s_or_b32 exec_lo, exec_lo, s17
	s_delay_alu instid0(VALU_DEP_1) | instskip(SKIP_2) | instid1(VALU_DEP_3)
	v_dual_lshlrev_b32 v5, 16, v1 :: v_dual_lshlrev_b32 v10, 20, v88
	v_lshl_add_u32 v4, v4, 23, 0x3c000000
	v_mov_b32_e32 v38, v89
	v_and_b32_e32 v5, 0x80000000, v5
	s_delay_alu instid0(VALU_DEP_1)
	v_or3_b32 v39, v10, v5, v4
.LBB208_576:                            ;   in Loop: Header=BB208_15 Depth=1
	s_or_b32 exec_lo, exec_lo, s16
.LBB208_577:                            ;   in Loop: Header=BB208_15 Depth=1
	s_delay_alu instid0(SALU_CYCLE_1)
	s_or_b32 exec_lo, exec_lo, s15
.LBB208_578:                            ;   in Loop: Header=BB208_15 Depth=1
	s_delay_alu instid0(SALU_CYCLE_1) | instskip(SKIP_4) | instid1(VALU_DEP_3)
	s_or_b32 exec_lo, exec_lo, s14
	v_lshrrev_b32_e32 v4, 16, v1
	v_mov_b64_e32 v[50:51], 0
	v_mov_b64_e32 v[80:81], 0
	s_mov_b32 s14, exec_lo
	v_and_b32_e32 v5, 0xff, v4
	s_delay_alu instid0(VALU_DEP_1)
	v_cmpx_ne_u16_e32 0, v5
	s_cbranch_execz .LBB208_586
; %bb.579:                              ;   in Loop: Header=BB208_15 Depth=1
	v_mov_b64_e32 v[80:81], 0x80000000
	s_mov_b32 s15, exec_lo
	v_cmpx_ne_u16_e32 0x80, v5
	s_cbranch_execz .LBB208_585
; %bb.580:                              ;   in Loop: Header=BB208_15 Depth=1
	v_mov_b64_e32 v[80:81], 0x7f800001
	v_bfe_u32 v16, v1, 16, 7
	s_mov_b32 s16, exec_lo
	s_delay_alu instid0(VALU_DEP_1)
	v_cmpx_ne_u32_e32 0x7f, v16
	s_cbranch_execz .LBB208_584
; %bb.581:                              ;   in Loop: Header=BB208_15 Depth=1
	v_and_b32_e32 v88, 7, v4
	v_lshrrev_b32_e32 v5, 3, v16
	s_mov_b32 s17, exec_lo
	v_cmpx_gt_u32_e32 8, v16
; %bb.582:                              ;   in Loop: Header=BB208_15 Depth=1
	s_delay_alu instid0(VALU_DEP_3) | instskip(NEXT) | instid1(VALU_DEP_1)
	v_clz_i32_u32_e32 v5, v88
	v_min_u32_e32 v5, 32, v5
	s_delay_alu instid0(VALU_DEP_1) | instskip(NEXT) | instid1(VALU_DEP_1)
	v_subrev_nc_u32_e32 v13, 28, v5
	v_lshlrev_b64_e32 v[16:17], v13, v[88:89]
	s_delay_alu instid0(VALU_DEP_1)
	v_dual_sub_nc_u32 v5, 29, v5 :: v_dual_bitop2_b32 v88, 7, v16 bitop3:0x40
; %bb.583:                              ;   in Loop: Header=BB208_15 Depth=1
	s_or_b32 exec_lo, exec_lo, s17
	v_lshlrev_b32_e32 v4, 24, v4
	s_delay_alu instid0(VALU_DEP_2) | instskip(NEXT) | instid1(VALU_DEP_3)
	v_lshlrev_b32_e32 v10, 20, v88
	v_lshl_add_u32 v5, v5, 23, 0x3c000000
	s_delay_alu instid0(VALU_DEP_3) | instskip(NEXT) | instid1(VALU_DEP_1)
	v_and_b32_e32 v4, 0x80000000, v4
	v_or3_b32 v88, v10, v4, v5
	s_delay_alu instid0(VALU_DEP_1)
	v_mov_b64_e32 v[80:81], v[88:89]
.LBB208_584:                            ;   in Loop: Header=BB208_15 Depth=1
	s_or_b32 exec_lo, exec_lo, s16
.LBB208_585:                            ;   in Loop: Header=BB208_15 Depth=1
	s_delay_alu instid0(SALU_CYCLE_1)
	s_or_b32 exec_lo, exec_lo, s15
.LBB208_586:                            ;   in Loop: Header=BB208_15 Depth=1
	s_delay_alu instid0(SALU_CYCLE_1) | instskip(NEXT) | instid1(SALU_CYCLE_1)
	s_or_b32 exec_lo, exec_lo, s14
	s_mov_b32 s14, exec_lo
	v_cmpx_lt_u32_e32 0xffffff, v1
	s_cbranch_execz .LBB208_594
; %bb.587:                              ;   in Loop: Header=BB208_15 Depth=1
	v_mov_b64_e32 v[50:51], 0x8000000000000000
	v_lshrrev_b32_e32 v4, 24, v1
	s_mov_b32 s15, exec_lo
	s_delay_alu instid0(VALU_DEP_1)
	v_cmpx_ne_u32_e32 0x80, v4
	s_cbranch_execz .LBB208_593
; %bb.588:                              ;   in Loop: Header=BB208_15 Depth=1
	v_mov_b64_e32 v[50:51], 0x7f80000100000000
	v_bfe_u32 v5, v1, 24, 7
	s_mov_b32 s16, exec_lo
	s_delay_alu instid0(VALU_DEP_1)
	v_cmpx_ne_u32_e32 0x7f, v5
	s_cbranch_execz .LBB208_592
; %bb.589:                              ;   in Loop: Header=BB208_15 Depth=1
	v_dual_lshrrev_b32 v1, 3, v5 :: v_dual_bitop2_b32 v88, 7, v4 bitop3:0x40
	s_mov_b32 s17, exec_lo
	v_cmpx_gt_u32_e32 8, v5
; %bb.590:                              ;   in Loop: Header=BB208_15 Depth=1
	s_delay_alu instid0(VALU_DEP_2) | instskip(NEXT) | instid1(VALU_DEP_1)
	v_clz_i32_u32_e32 v1, v88
	v_min_u32_e32 v1, 32, v1
	s_delay_alu instid0(VALU_DEP_1) | instskip(NEXT) | instid1(VALU_DEP_1)
	v_subrev_nc_u32_e32 v5, 28, v1
	v_lshlrev_b64_e32 v[16:17], v5, v[88:89]
	s_delay_alu instid0(VALU_DEP_1)
	v_dual_sub_nc_u32 v1, 29, v1 :: v_dual_bitop2_b32 v88, 7, v16 bitop3:0x40
; %bb.591:                              ;   in Loop: Header=BB208_15 Depth=1
	s_or_b32 exec_lo, exec_lo, s17
	v_dual_lshlrev_b32 v4, 24, v4 :: v_dual_mov_b32 v50, v89
	s_delay_alu instid0(VALU_DEP_2) | instskip(NEXT) | instid1(VALU_DEP_3)
	v_lshlrev_b32_e32 v5, 20, v88
	v_lshl_add_u32 v1, v1, 23, 0x3c000000
	s_delay_alu instid0(VALU_DEP_3) | instskip(NEXT) | instid1(VALU_DEP_1)
	v_and_b32_e32 v4, 0x80000000, v4
	v_or3_b32 v51, v5, v4, v1
.LBB208_592:                            ;   in Loop: Header=BB208_15 Depth=1
	s_or_b32 exec_lo, exec_lo, s16
.LBB208_593:                            ;   in Loop: Header=BB208_15 Depth=1
	s_delay_alu instid0(SALU_CYCLE_1)
	s_or_b32 exec_lo, exec_lo, s15
.LBB208_594:                            ;   in Loop: Header=BB208_15 Depth=1
	s_delay_alu instid0(SALU_CYCLE_1)
	s_or_b32 exec_lo, exec_lo, s14
	flat_load_b32 v1, v[36:37] offset:2056
	v_mov_b64_e32 v[54:55], 0
	v_mov_b64_e32 v[84:85], 0
	s_mov_b32 s14, exec_lo
	s_wait_loadcnt_dscnt 0x0
	v_and_b32_e32 v4, 0xff, v1
	s_wait_xcnt 0x0
	s_delay_alu instid0(VALU_DEP_1)
	v_cmpx_ne_u16_e32 0, v4
	s_cbranch_execz .LBB208_602
; %bb.595:                              ;   in Loop: Header=BB208_15 Depth=1
	v_mov_b64_e32 v[84:85], 0x80000000
	s_mov_b32 s15, exec_lo
	v_cmpx_ne_u16_e32 0x80, v4
	s_cbranch_execz .LBB208_601
; %bb.596:                              ;   in Loop: Header=BB208_15 Depth=1
	v_mov_b64_e32 v[84:85], 0x7f800001
	v_and_b32_e32 v5, 0x7f, v1
	s_mov_b32 s16, exec_lo
	s_delay_alu instid0(VALU_DEP_1)
	v_cmpx_ne_u32_e32 0x7f, v5
	s_cbranch_execz .LBB208_600
; %bb.597:                              ;   in Loop: Header=BB208_15 Depth=1
	v_and_b32_e32 v88, 7, v1
	v_lshrrev_b32_e32 v4, 3, v5
	s_mov_b32 s17, exec_lo
	v_cmpx_gt_u32_e32 8, v5
; %bb.598:                              ;   in Loop: Header=BB208_15 Depth=1
	s_delay_alu instid0(VALU_DEP_3) | instskip(NEXT) | instid1(VALU_DEP_1)
	v_clz_i32_u32_e32 v4, v88
	v_min_u32_e32 v4, 32, v4
	s_delay_alu instid0(VALU_DEP_1) | instskip(SKIP_1) | instid1(VALU_DEP_2)
	v_subrev_nc_u32_e32 v5, 28, v4
	v_sub_nc_u32_e32 v4, 29, v4
	v_lshlrev_b64_e32 v[16:17], v5, v[88:89]
	s_delay_alu instid0(VALU_DEP_1)
	v_and_b32_e32 v88, 7, v16
; %bb.599:                              ;   in Loop: Header=BB208_15 Depth=1
	s_or_b32 exec_lo, exec_lo, s17
	s_delay_alu instid0(VALU_DEP_1) | instskip(SKIP_1) | instid1(VALU_DEP_2)
	v_dual_lshlrev_b32 v5, 24, v1 :: v_dual_lshlrev_b32 v10, 20, v88
	v_lshl_add_u32 v4, v4, 23, 0x3c000000
	v_and_b32_e32 v5, 0x80000000, v5
	s_delay_alu instid0(VALU_DEP_1) | instskip(NEXT) | instid1(VALU_DEP_1)
	v_or3_b32 v88, v10, v5, v4
	v_mov_b64_e32 v[84:85], v[88:89]
.LBB208_600:                            ;   in Loop: Header=BB208_15 Depth=1
	s_or_b32 exec_lo, exec_lo, s16
.LBB208_601:                            ;   in Loop: Header=BB208_15 Depth=1
	s_delay_alu instid0(SALU_CYCLE_1)
	s_or_b32 exec_lo, exec_lo, s15
.LBB208_602:                            ;   in Loop: Header=BB208_15 Depth=1
	s_delay_alu instid0(SALU_CYCLE_1) | instskip(SKIP_2) | instid1(VALU_DEP_1)
	s_or_b32 exec_lo, exec_lo, s14
	v_lshrrev_b16 v4, 8, v1
	s_mov_b32 s14, exec_lo
	v_cmpx_ne_u16_e32 0, v4
	s_cbranch_execz .LBB208_610
; %bb.603:                              ;   in Loop: Header=BB208_15 Depth=1
	v_mov_b64_e32 v[54:55], 0x8000000000000000
	s_mov_b32 s15, exec_lo
	v_cmpx_ne_u16_e32 0x80, v4
	s_cbranch_execz .LBB208_609
; %bb.604:                              ;   in Loop: Header=BB208_15 Depth=1
	v_and_b32_e32 v4, 0xffff, v4
	v_mov_b64_e32 v[54:55], 0x7f80000100000000
	s_mov_b32 s16, exec_lo
	s_delay_alu instid0(VALU_DEP_2) | instskip(NEXT) | instid1(VALU_DEP_1)
	v_and_b32_e32 v5, 0x7f, v4
	v_cmpx_ne_u32_e32 0x7f, v5
	s_cbranch_execz .LBB208_608
; %bb.605:                              ;   in Loop: Header=BB208_15 Depth=1
	v_dual_lshrrev_b32 v4, 3, v5 :: v_dual_bitop2_b32 v88, 7, v4 bitop3:0x40
	s_mov_b32 s17, exec_lo
	v_cmpx_gt_u32_e32 8, v5
; %bb.606:                              ;   in Loop: Header=BB208_15 Depth=1
	s_delay_alu instid0(VALU_DEP_2) | instskip(NEXT) | instid1(VALU_DEP_1)
	v_clz_i32_u32_e32 v4, v88
	v_min_u32_e32 v4, 32, v4
	s_delay_alu instid0(VALU_DEP_1) | instskip(SKIP_1) | instid1(VALU_DEP_2)
	v_subrev_nc_u32_e32 v5, 28, v4
	v_sub_nc_u32_e32 v4, 29, v4
	v_lshlrev_b64_e32 v[16:17], v5, v[88:89]
	s_delay_alu instid0(VALU_DEP_1)
	v_and_b32_e32 v88, 7, v16
; %bb.607:                              ;   in Loop: Header=BB208_15 Depth=1
	s_or_b32 exec_lo, exec_lo, s17
	s_delay_alu instid0(VALU_DEP_1) | instskip(SKIP_2) | instid1(VALU_DEP_3)
	v_dual_lshlrev_b32 v5, 16, v1 :: v_dual_lshlrev_b32 v10, 20, v88
	v_lshl_add_u32 v4, v4, 23, 0x3c000000
	v_mov_b32_e32 v54, v89
	v_and_b32_e32 v5, 0x80000000, v5
	s_delay_alu instid0(VALU_DEP_1)
	v_or3_b32 v55, v10, v5, v4
.LBB208_608:                            ;   in Loop: Header=BB208_15 Depth=1
	s_or_b32 exec_lo, exec_lo, s16
.LBB208_609:                            ;   in Loop: Header=BB208_15 Depth=1
	s_delay_alu instid0(SALU_CYCLE_1)
	s_or_b32 exec_lo, exec_lo, s15
.LBB208_610:                            ;   in Loop: Header=BB208_15 Depth=1
	s_delay_alu instid0(SALU_CYCLE_1) | instskip(SKIP_4) | instid1(VALU_DEP_3)
	s_or_b32 exec_lo, exec_lo, s14
	v_lshrrev_b32_e32 v4, 16, v1
	v_mov_b64_e32 v[66:67], 0
	v_mov_b64_e32 v[96:97], 0
	s_mov_b32 s14, exec_lo
	v_and_b32_e32 v5, 0xff, v4
	s_delay_alu instid0(VALU_DEP_1)
	v_cmpx_ne_u16_e32 0, v5
	s_cbranch_execz .LBB208_618
; %bb.611:                              ;   in Loop: Header=BB208_15 Depth=1
	v_mov_b64_e32 v[96:97], 0x80000000
	s_mov_b32 s15, exec_lo
	v_cmpx_ne_u16_e32 0x80, v5
	s_cbranch_execz .LBB208_617
; %bb.612:                              ;   in Loop: Header=BB208_15 Depth=1
	v_mov_b64_e32 v[96:97], 0x7f800001
	v_bfe_u32 v16, v1, 16, 7
	s_mov_b32 s16, exec_lo
	s_delay_alu instid0(VALU_DEP_1)
	v_cmpx_ne_u32_e32 0x7f, v16
	s_cbranch_execz .LBB208_616
; %bb.613:                              ;   in Loop: Header=BB208_15 Depth=1
	v_and_b32_e32 v88, 7, v4
	v_lshrrev_b32_e32 v5, 3, v16
	s_mov_b32 s17, exec_lo
	v_cmpx_gt_u32_e32 8, v16
; %bb.614:                              ;   in Loop: Header=BB208_15 Depth=1
	s_delay_alu instid0(VALU_DEP_3) | instskip(NEXT) | instid1(VALU_DEP_1)
	v_clz_i32_u32_e32 v5, v88
	v_min_u32_e32 v5, 32, v5
	s_delay_alu instid0(VALU_DEP_1) | instskip(NEXT) | instid1(VALU_DEP_1)
	v_subrev_nc_u32_e32 v13, 28, v5
	v_lshlrev_b64_e32 v[16:17], v13, v[88:89]
	s_delay_alu instid0(VALU_DEP_1)
	v_dual_sub_nc_u32 v5, 29, v5 :: v_dual_bitop2_b32 v88, 7, v16 bitop3:0x40
; %bb.615:                              ;   in Loop: Header=BB208_15 Depth=1
	s_or_b32 exec_lo, exec_lo, s17
	v_lshlrev_b32_e32 v4, 24, v4
	s_delay_alu instid0(VALU_DEP_2) | instskip(NEXT) | instid1(VALU_DEP_3)
	v_lshlrev_b32_e32 v10, 20, v88
	v_lshl_add_u32 v5, v5, 23, 0x3c000000
	s_delay_alu instid0(VALU_DEP_3) | instskip(NEXT) | instid1(VALU_DEP_1)
	v_and_b32_e32 v4, 0x80000000, v4
	v_or3_b32 v88, v10, v4, v5
	s_delay_alu instid0(VALU_DEP_1)
	v_mov_b64_e32 v[96:97], v[88:89]
.LBB208_616:                            ;   in Loop: Header=BB208_15 Depth=1
	s_or_b32 exec_lo, exec_lo, s16
.LBB208_617:                            ;   in Loop: Header=BB208_15 Depth=1
	s_delay_alu instid0(SALU_CYCLE_1)
	s_or_b32 exec_lo, exec_lo, s15
.LBB208_618:                            ;   in Loop: Header=BB208_15 Depth=1
	s_delay_alu instid0(SALU_CYCLE_1) | instskip(NEXT) | instid1(SALU_CYCLE_1)
	s_or_b32 exec_lo, exec_lo, s14
	s_mov_b32 s14, exec_lo
	v_cmpx_lt_u32_e32 0xffffff, v1
	s_cbranch_execz .LBB208_626
; %bb.619:                              ;   in Loop: Header=BB208_15 Depth=1
	v_mov_b64_e32 v[66:67], 0x8000000000000000
	v_lshrrev_b32_e32 v4, 24, v1
	s_mov_b32 s15, exec_lo
	s_delay_alu instid0(VALU_DEP_1)
	v_cmpx_ne_u32_e32 0x80, v4
	s_cbranch_execz .LBB208_625
; %bb.620:                              ;   in Loop: Header=BB208_15 Depth=1
	v_mov_b64_e32 v[66:67], 0x7f80000100000000
	v_bfe_u32 v5, v1, 24, 7
	s_mov_b32 s16, exec_lo
	s_delay_alu instid0(VALU_DEP_1)
	v_cmpx_ne_u32_e32 0x7f, v5
	s_cbranch_execz .LBB208_624
; %bb.621:                              ;   in Loop: Header=BB208_15 Depth=1
	v_dual_lshrrev_b32 v1, 3, v5 :: v_dual_bitop2_b32 v88, 7, v4 bitop3:0x40
	s_mov_b32 s17, exec_lo
	v_cmpx_gt_u32_e32 8, v5
; %bb.622:                              ;   in Loop: Header=BB208_15 Depth=1
	s_delay_alu instid0(VALU_DEP_2) | instskip(NEXT) | instid1(VALU_DEP_1)
	v_clz_i32_u32_e32 v1, v88
	v_min_u32_e32 v1, 32, v1
	s_delay_alu instid0(VALU_DEP_1) | instskip(NEXT) | instid1(VALU_DEP_1)
	v_subrev_nc_u32_e32 v5, 28, v1
	v_lshlrev_b64_e32 v[16:17], v5, v[88:89]
	s_delay_alu instid0(VALU_DEP_1)
	v_dual_sub_nc_u32 v1, 29, v1 :: v_dual_bitop2_b32 v88, 7, v16 bitop3:0x40
; %bb.623:                              ;   in Loop: Header=BB208_15 Depth=1
	s_or_b32 exec_lo, exec_lo, s17
	v_dual_lshlrev_b32 v4, 24, v4 :: v_dual_mov_b32 v66, v89
	s_delay_alu instid0(VALU_DEP_2) | instskip(NEXT) | instid1(VALU_DEP_3)
	v_lshlrev_b32_e32 v5, 20, v88
	v_lshl_add_u32 v1, v1, 23, 0x3c000000
	s_delay_alu instid0(VALU_DEP_3) | instskip(NEXT) | instid1(VALU_DEP_1)
	v_and_b32_e32 v4, 0x80000000, v4
	v_or3_b32 v67, v5, v4, v1
.LBB208_624:                            ;   in Loop: Header=BB208_15 Depth=1
	s_or_b32 exec_lo, exec_lo, s16
.LBB208_625:                            ;   in Loop: Header=BB208_15 Depth=1
	s_delay_alu instid0(SALU_CYCLE_1)
	s_or_b32 exec_lo, exec_lo, s15
.LBB208_626:                            ;   in Loop: Header=BB208_15 Depth=1
	s_delay_alu instid0(SALU_CYCLE_1)
	s_or_b32 exec_lo, exec_lo, s14
	flat_load_b32 v1, v[36:37] offset:2060
	v_mov_b64_e32 v[70:71], 0
	v_mov_b64_e32 v[100:101], 0
	s_mov_b32 s14, exec_lo
	s_wait_loadcnt_dscnt 0x0
	v_and_b32_e32 v4, 0xff, v1
	s_wait_xcnt 0x0
	s_delay_alu instid0(VALU_DEP_1)
	v_cmpx_ne_u16_e32 0, v4
	s_cbranch_execz .LBB208_634
; %bb.627:                              ;   in Loop: Header=BB208_15 Depth=1
	v_mov_b64_e32 v[100:101], 0x80000000
	s_mov_b32 s15, exec_lo
	v_cmpx_ne_u16_e32 0x80, v4
	s_cbranch_execz .LBB208_633
; %bb.628:                              ;   in Loop: Header=BB208_15 Depth=1
	v_mov_b64_e32 v[100:101], 0x7f800001
	v_and_b32_e32 v5, 0x7f, v1
	s_mov_b32 s16, exec_lo
	s_delay_alu instid0(VALU_DEP_1)
	v_cmpx_ne_u32_e32 0x7f, v5
	s_cbranch_execz .LBB208_632
; %bb.629:                              ;   in Loop: Header=BB208_15 Depth=1
	v_and_b32_e32 v88, 7, v1
	v_lshrrev_b32_e32 v4, 3, v5
	s_mov_b32 s17, exec_lo
	v_cmpx_gt_u32_e32 8, v5
; %bb.630:                              ;   in Loop: Header=BB208_15 Depth=1
	s_delay_alu instid0(VALU_DEP_3) | instskip(NEXT) | instid1(VALU_DEP_1)
	v_clz_i32_u32_e32 v4, v88
	v_min_u32_e32 v4, 32, v4
	s_delay_alu instid0(VALU_DEP_1) | instskip(SKIP_1) | instid1(VALU_DEP_2)
	v_subrev_nc_u32_e32 v5, 28, v4
	v_sub_nc_u32_e32 v4, 29, v4
	v_lshlrev_b64_e32 v[16:17], v5, v[88:89]
	s_delay_alu instid0(VALU_DEP_1)
	v_and_b32_e32 v88, 7, v16
; %bb.631:                              ;   in Loop: Header=BB208_15 Depth=1
	s_or_b32 exec_lo, exec_lo, s17
	s_delay_alu instid0(VALU_DEP_1) | instskip(SKIP_1) | instid1(VALU_DEP_2)
	v_dual_lshlrev_b32 v5, 24, v1 :: v_dual_lshlrev_b32 v10, 20, v88
	v_lshl_add_u32 v4, v4, 23, 0x3c000000
	v_and_b32_e32 v5, 0x80000000, v5
	s_delay_alu instid0(VALU_DEP_1) | instskip(NEXT) | instid1(VALU_DEP_1)
	v_or3_b32 v88, v10, v5, v4
	v_mov_b64_e32 v[100:101], v[88:89]
.LBB208_632:                            ;   in Loop: Header=BB208_15 Depth=1
	s_or_b32 exec_lo, exec_lo, s16
.LBB208_633:                            ;   in Loop: Header=BB208_15 Depth=1
	s_delay_alu instid0(SALU_CYCLE_1)
	s_or_b32 exec_lo, exec_lo, s15
.LBB208_634:                            ;   in Loop: Header=BB208_15 Depth=1
	s_delay_alu instid0(SALU_CYCLE_1) | instskip(SKIP_2) | instid1(VALU_DEP_1)
	s_or_b32 exec_lo, exec_lo, s14
	v_lshrrev_b16 v4, 8, v1
	s_mov_b32 s14, exec_lo
	v_cmpx_ne_u16_e32 0, v4
	s_cbranch_execz .LBB208_642
; %bb.635:                              ;   in Loop: Header=BB208_15 Depth=1
	v_mov_b64_e32 v[70:71], 0x8000000000000000
	s_mov_b32 s15, exec_lo
	v_cmpx_ne_u16_e32 0x80, v4
	s_cbranch_execz .LBB208_641
; %bb.636:                              ;   in Loop: Header=BB208_15 Depth=1
	v_and_b32_e32 v4, 0xffff, v4
	v_mov_b64_e32 v[70:71], 0x7f80000100000000
	s_mov_b32 s16, exec_lo
	s_delay_alu instid0(VALU_DEP_2) | instskip(NEXT) | instid1(VALU_DEP_1)
	v_and_b32_e32 v5, 0x7f, v4
	v_cmpx_ne_u32_e32 0x7f, v5
	s_cbranch_execz .LBB208_640
; %bb.637:                              ;   in Loop: Header=BB208_15 Depth=1
	v_dual_lshrrev_b32 v4, 3, v5 :: v_dual_bitop2_b32 v88, 7, v4 bitop3:0x40
	s_mov_b32 s17, exec_lo
	v_cmpx_gt_u32_e32 8, v5
; %bb.638:                              ;   in Loop: Header=BB208_15 Depth=1
	s_delay_alu instid0(VALU_DEP_2) | instskip(NEXT) | instid1(VALU_DEP_1)
	v_clz_i32_u32_e32 v4, v88
	v_min_u32_e32 v4, 32, v4
	s_delay_alu instid0(VALU_DEP_1) | instskip(SKIP_1) | instid1(VALU_DEP_2)
	v_subrev_nc_u32_e32 v5, 28, v4
	v_sub_nc_u32_e32 v4, 29, v4
	v_lshlrev_b64_e32 v[16:17], v5, v[88:89]
	s_delay_alu instid0(VALU_DEP_1)
	v_and_b32_e32 v88, 7, v16
; %bb.639:                              ;   in Loop: Header=BB208_15 Depth=1
	s_or_b32 exec_lo, exec_lo, s17
	s_delay_alu instid0(VALU_DEP_1) | instskip(SKIP_2) | instid1(VALU_DEP_3)
	v_dual_lshlrev_b32 v5, 16, v1 :: v_dual_lshlrev_b32 v10, 20, v88
	v_lshl_add_u32 v4, v4, 23, 0x3c000000
	v_mov_b32_e32 v70, v89
	v_and_b32_e32 v5, 0x80000000, v5
	s_delay_alu instid0(VALU_DEP_1)
	v_or3_b32 v71, v10, v5, v4
.LBB208_640:                            ;   in Loop: Header=BB208_15 Depth=1
	s_or_b32 exec_lo, exec_lo, s16
.LBB208_641:                            ;   in Loop: Header=BB208_15 Depth=1
	s_delay_alu instid0(SALU_CYCLE_1)
	s_or_b32 exec_lo, exec_lo, s15
.LBB208_642:                            ;   in Loop: Header=BB208_15 Depth=1
	s_delay_alu instid0(SALU_CYCLE_1) | instskip(SKIP_4) | instid1(VALU_DEP_3)
	s_or_b32 exec_lo, exec_lo, s14
	v_lshrrev_b32_e32 v4, 16, v1
	v_mov_b64_e32 v[82:83], 0
	v_mov_b64_e32 v[112:113], 0
	s_mov_b32 s14, exec_lo
	v_and_b32_e32 v5, 0xff, v4
	s_delay_alu instid0(VALU_DEP_1)
	v_cmpx_ne_u16_e32 0, v5
	s_cbranch_execz .LBB208_650
; %bb.643:                              ;   in Loop: Header=BB208_15 Depth=1
	v_mov_b64_e32 v[112:113], 0x80000000
	s_mov_b32 s15, exec_lo
	v_cmpx_ne_u16_e32 0x80, v5
	s_cbranch_execz .LBB208_649
; %bb.644:                              ;   in Loop: Header=BB208_15 Depth=1
	v_mov_b64_e32 v[112:113], 0x7f800001
	v_bfe_u32 v16, v1, 16, 7
	s_mov_b32 s16, exec_lo
	s_delay_alu instid0(VALU_DEP_1)
	v_cmpx_ne_u32_e32 0x7f, v16
	s_cbranch_execz .LBB208_648
; %bb.645:                              ;   in Loop: Header=BB208_15 Depth=1
	v_and_b32_e32 v88, 7, v4
	v_lshrrev_b32_e32 v5, 3, v16
	s_mov_b32 s17, exec_lo
	v_cmpx_gt_u32_e32 8, v16
; %bb.646:                              ;   in Loop: Header=BB208_15 Depth=1
	s_delay_alu instid0(VALU_DEP_3) | instskip(NEXT) | instid1(VALU_DEP_1)
	v_clz_i32_u32_e32 v5, v88
	v_min_u32_e32 v5, 32, v5
	s_delay_alu instid0(VALU_DEP_1) | instskip(NEXT) | instid1(VALU_DEP_1)
	v_subrev_nc_u32_e32 v13, 28, v5
	v_lshlrev_b64_e32 v[16:17], v13, v[88:89]
	s_delay_alu instid0(VALU_DEP_1)
	v_dual_sub_nc_u32 v5, 29, v5 :: v_dual_bitop2_b32 v88, 7, v16 bitop3:0x40
; %bb.647:                              ;   in Loop: Header=BB208_15 Depth=1
	s_or_b32 exec_lo, exec_lo, s17
	v_lshlrev_b32_e32 v4, 24, v4
	s_delay_alu instid0(VALU_DEP_2) | instskip(NEXT) | instid1(VALU_DEP_3)
	v_lshlrev_b32_e32 v10, 20, v88
	v_lshl_add_u32 v5, v5, 23, 0x3c000000
	s_delay_alu instid0(VALU_DEP_3) | instskip(NEXT) | instid1(VALU_DEP_1)
	v_and_b32_e32 v4, 0x80000000, v4
	v_or3_b32 v88, v10, v4, v5
	s_delay_alu instid0(VALU_DEP_1)
	v_mov_b64_e32 v[112:113], v[88:89]
.LBB208_648:                            ;   in Loop: Header=BB208_15 Depth=1
	s_or_b32 exec_lo, exec_lo, s16
.LBB208_649:                            ;   in Loop: Header=BB208_15 Depth=1
	s_delay_alu instid0(SALU_CYCLE_1)
	s_or_b32 exec_lo, exec_lo, s15
.LBB208_650:                            ;   in Loop: Header=BB208_15 Depth=1
	s_delay_alu instid0(SALU_CYCLE_1) | instskip(NEXT) | instid1(SALU_CYCLE_1)
	s_or_b32 exec_lo, exec_lo, s14
	s_mov_b32 s14, exec_lo
	v_cmpx_lt_u32_e32 0xffffff, v1
	s_cbranch_execz .LBB208_658
; %bb.651:                              ;   in Loop: Header=BB208_15 Depth=1
	v_mov_b64_e32 v[82:83], 0x8000000000000000
	v_lshrrev_b32_e32 v4, 24, v1
	s_mov_b32 s15, exec_lo
	s_delay_alu instid0(VALU_DEP_1)
	v_cmpx_ne_u32_e32 0x80, v4
	s_cbranch_execz .LBB208_657
; %bb.652:                              ;   in Loop: Header=BB208_15 Depth=1
	v_mov_b64_e32 v[82:83], 0x7f80000100000000
	v_bfe_u32 v5, v1, 24, 7
	s_mov_b32 s16, exec_lo
	s_delay_alu instid0(VALU_DEP_1)
	v_cmpx_ne_u32_e32 0x7f, v5
	s_cbranch_execz .LBB208_656
; %bb.653:                              ;   in Loop: Header=BB208_15 Depth=1
	v_dual_lshrrev_b32 v1, 3, v5 :: v_dual_bitop2_b32 v88, 7, v4 bitop3:0x40
	s_mov_b32 s17, exec_lo
	v_cmpx_gt_u32_e32 8, v5
; %bb.654:                              ;   in Loop: Header=BB208_15 Depth=1
	s_delay_alu instid0(VALU_DEP_2) | instskip(NEXT) | instid1(VALU_DEP_1)
	v_clz_i32_u32_e32 v1, v88
	v_min_u32_e32 v1, 32, v1
	s_delay_alu instid0(VALU_DEP_1) | instskip(NEXT) | instid1(VALU_DEP_1)
	v_subrev_nc_u32_e32 v5, 28, v1
	v_lshlrev_b64_e32 v[16:17], v5, v[88:89]
	s_delay_alu instid0(VALU_DEP_1)
	v_dual_sub_nc_u32 v1, 29, v1 :: v_dual_bitop2_b32 v88, 7, v16 bitop3:0x40
; %bb.655:                              ;   in Loop: Header=BB208_15 Depth=1
	s_or_b32 exec_lo, exec_lo, s17
	v_dual_lshlrev_b32 v4, 24, v4 :: v_dual_mov_b32 v82, v89
	s_delay_alu instid0(VALU_DEP_2) | instskip(NEXT) | instid1(VALU_DEP_3)
	v_lshlrev_b32_e32 v5, 20, v88
	v_lshl_add_u32 v1, v1, 23, 0x3c000000
	s_delay_alu instid0(VALU_DEP_3) | instskip(NEXT) | instid1(VALU_DEP_1)
	v_and_b32_e32 v4, 0x80000000, v4
	v_or3_b32 v83, v5, v4, v1
.LBB208_656:                            ;   in Loop: Header=BB208_15 Depth=1
	s_or_b32 exec_lo, exec_lo, s16
.LBB208_657:                            ;   in Loop: Header=BB208_15 Depth=1
	s_delay_alu instid0(SALU_CYCLE_1)
	s_or_b32 exec_lo, exec_lo, s15
.LBB208_658:                            ;   in Loop: Header=BB208_15 Depth=1
	s_delay_alu instid0(SALU_CYCLE_1)
	s_or_b32 exec_lo, exec_lo, s14
	flat_load_b32 v1, v[36:37] offset:2560
	v_mov_b64_e32 v[86:87], 0
	v_mov_b64_e32 v[16:17], 0
	s_mov_b32 s14, exec_lo
	s_wait_loadcnt_dscnt 0x0
	v_and_b32_e32 v4, 0xff, v1
	s_wait_xcnt 0x0
	s_delay_alu instid0(VALU_DEP_1)
	v_cmpx_ne_u16_e32 0, v4
	s_cbranch_execz .LBB208_666
; %bb.659:                              ;   in Loop: Header=BB208_15 Depth=1
	v_mov_b64_e32 v[16:17], 0x80000000
	s_mov_b32 s15, exec_lo
	v_cmpx_ne_u16_e32 0x80, v4
	s_cbranch_execz .LBB208_665
; %bb.660:                              ;   in Loop: Header=BB208_15 Depth=1
	v_mov_b64_e32 v[16:17], 0x7f800001
	v_and_b32_e32 v5, 0x7f, v1
	s_mov_b32 s16, exec_lo
	s_delay_alu instid0(VALU_DEP_1)
	v_cmpx_ne_u32_e32 0x7f, v5
	s_cbranch_execz .LBB208_664
; %bb.661:                              ;   in Loop: Header=BB208_15 Depth=1
	v_and_b32_e32 v88, 7, v1
	v_lshrrev_b32_e32 v4, 3, v5
	s_mov_b32 s17, exec_lo
	v_cmpx_gt_u32_e32 8, v5
; %bb.662:                              ;   in Loop: Header=BB208_15 Depth=1
	s_delay_alu instid0(VALU_DEP_3) | instskip(NEXT) | instid1(VALU_DEP_1)
	v_clz_i32_u32_e32 v4, v88
	v_min_u32_e32 v4, 32, v4
	s_delay_alu instid0(VALU_DEP_1) | instskip(SKIP_1) | instid1(VALU_DEP_2)
	v_subrev_nc_u32_e32 v5, 28, v4
	v_sub_nc_u32_e32 v4, 29, v4
	v_lshlrev_b64_e32 v[16:17], v5, v[88:89]
	s_delay_alu instid0(VALU_DEP_1)
	v_and_b32_e32 v88, 7, v16
; %bb.663:                              ;   in Loop: Header=BB208_15 Depth=1
	s_or_b32 exec_lo, exec_lo, s17
	s_delay_alu instid0(VALU_DEP_1) | instskip(SKIP_1) | instid1(VALU_DEP_2)
	v_dual_lshlrev_b32 v5, 24, v1 :: v_dual_lshlrev_b32 v10, 20, v88
	v_lshl_add_u32 v4, v4, 23, 0x3c000000
	v_and_b32_e32 v5, 0x80000000, v5
	s_delay_alu instid0(VALU_DEP_1) | instskip(NEXT) | instid1(VALU_DEP_1)
	v_or3_b32 v88, v10, v5, v4
	v_mov_b64_e32 v[16:17], v[88:89]
.LBB208_664:                            ;   in Loop: Header=BB208_15 Depth=1
	s_or_b32 exec_lo, exec_lo, s16
.LBB208_665:                            ;   in Loop: Header=BB208_15 Depth=1
	s_delay_alu instid0(SALU_CYCLE_1)
	s_or_b32 exec_lo, exec_lo, s15
.LBB208_666:                            ;   in Loop: Header=BB208_15 Depth=1
	s_delay_alu instid0(SALU_CYCLE_1) | instskip(SKIP_2) | instid1(VALU_DEP_1)
	s_or_b32 exec_lo, exec_lo, s14
	v_lshrrev_b16 v4, 8, v1
	s_mov_b32 s14, exec_lo
	v_cmpx_ne_u16_e32 0, v4
	s_cbranch_execz .LBB208_674
; %bb.667:                              ;   in Loop: Header=BB208_15 Depth=1
	v_mov_b64_e32 v[86:87], 0x8000000000000000
	s_mov_b32 s15, exec_lo
	v_cmpx_ne_u16_e32 0x80, v4
	s_cbranch_execz .LBB208_673
; %bb.668:                              ;   in Loop: Header=BB208_15 Depth=1
	v_and_b32_e32 v4, 0xffff, v4
	v_mov_b64_e32 v[86:87], 0x7f80000100000000
	s_mov_b32 s16, exec_lo
	s_delay_alu instid0(VALU_DEP_2) | instskip(NEXT) | instid1(VALU_DEP_1)
	v_and_b32_e32 v5, 0x7f, v4
	v_cmpx_ne_u32_e32 0x7f, v5
	s_cbranch_execz .LBB208_672
; %bb.669:                              ;   in Loop: Header=BB208_15 Depth=1
	v_dual_lshrrev_b32 v4, 3, v5 :: v_dual_bitop2_b32 v88, 7, v4 bitop3:0x40
	s_mov_b32 s17, exec_lo
	v_cmpx_gt_u32_e32 8, v5
; %bb.670:                              ;   in Loop: Header=BB208_15 Depth=1
	s_delay_alu instid0(VALU_DEP_2) | instskip(NEXT) | instid1(VALU_DEP_1)
	v_clz_i32_u32_e32 v4, v88
	v_min_u32_e32 v4, 32, v4
	s_delay_alu instid0(VALU_DEP_1) | instskip(NEXT) | instid1(VALU_DEP_1)
	v_subrev_nc_u32_e32 v5, 28, v4
	v_lshlrev_b64_e32 v[86:87], v5, v[88:89]
	s_delay_alu instid0(VALU_DEP_1)
	v_dual_sub_nc_u32 v4, 29, v4 :: v_dual_bitop2_b32 v88, 7, v86 bitop3:0x40
; %bb.671:                              ;   in Loop: Header=BB208_15 Depth=1
	s_or_b32 exec_lo, exec_lo, s17
	s_delay_alu instid0(VALU_DEP_1) | instskip(NEXT) | instid1(VALU_DEP_2)
	v_dual_lshlrev_b32 v5, 16, v1 :: v_dual_lshlrev_b32 v10, 20, v88
	v_lshl_add_u32 v4, v4, 23, 0x3c000000
	v_mov_b32_e32 v86, v89
	s_delay_alu instid0(VALU_DEP_3) | instskip(NEXT) | instid1(VALU_DEP_1)
	v_and_b32_e32 v5, 0x80000000, v5
	v_or3_b32 v87, v10, v5, v4
.LBB208_672:                            ;   in Loop: Header=BB208_15 Depth=1
	s_or_b32 exec_lo, exec_lo, s16
.LBB208_673:                            ;   in Loop: Header=BB208_15 Depth=1
	s_delay_alu instid0(SALU_CYCLE_1)
	s_or_b32 exec_lo, exec_lo, s15
.LBB208_674:                            ;   in Loop: Header=BB208_15 Depth=1
	s_delay_alu instid0(SALU_CYCLE_1) | instskip(SKIP_4) | instid1(VALU_DEP_3)
	s_or_b32 exec_lo, exec_lo, s14
	v_lshrrev_b32_e32 v4, 16, v1
	v_mov_b64_e32 v[98:99], 0
	v_mov_b64_e32 v[118:119], 0
	s_mov_b32 s14, exec_lo
	v_and_b32_e32 v5, 0xff, v4
	s_delay_alu instid0(VALU_DEP_1)
	v_cmpx_ne_u16_e32 0, v5
	s_cbranch_execz .LBB208_682
; %bb.675:                              ;   in Loop: Header=BB208_15 Depth=1
	v_mov_b64_e32 v[118:119], 0x80000000
	s_mov_b32 s15, exec_lo
	v_cmpx_ne_u16_e32 0x80, v5
	s_cbranch_execz .LBB208_681
; %bb.676:                              ;   in Loop: Header=BB208_15 Depth=1
	v_mov_b64_e32 v[118:119], 0x7f800001
	v_bfe_u32 v19, v1, 16, 7
	s_mov_b32 s16, exec_lo
	s_delay_alu instid0(VALU_DEP_1)
	v_cmpx_ne_u32_e32 0x7f, v19
	s_cbranch_execz .LBB208_680
; %bb.677:                              ;   in Loop: Header=BB208_15 Depth=1
	v_dual_lshrrev_b32 v5, 3, v19 :: v_dual_bitop2_b32 v88, 7, v4 bitop3:0x40
	s_mov_b32 s17, exec_lo
	v_cmpx_gt_u32_e32 8, v19
; %bb.678:                              ;   in Loop: Header=BB208_15 Depth=1
	s_delay_alu instid0(VALU_DEP_2) | instskip(NEXT) | instid1(VALU_DEP_1)
	v_clz_i32_u32_e32 v5, v88
	v_min_u32_e32 v5, 32, v5
	s_delay_alu instid0(VALU_DEP_1) | instskip(NEXT) | instid1(VALU_DEP_1)
	v_subrev_nc_u32_e32 v13, 28, v5
	v_lshlrev_b64_e32 v[102:103], v13, v[88:89]
	s_delay_alu instid0(VALU_DEP_1)
	v_dual_sub_nc_u32 v5, 29, v5 :: v_dual_bitop2_b32 v88, 7, v102 bitop3:0x40
; %bb.679:                              ;   in Loop: Header=BB208_15 Depth=1
	s_or_b32 exec_lo, exec_lo, s17
	v_lshlrev_b32_e32 v4, 24, v4
	s_delay_alu instid0(VALU_DEP_2) | instskip(NEXT) | instid1(VALU_DEP_3)
	v_lshlrev_b32_e32 v10, 20, v88
	v_lshl_add_u32 v5, v5, 23, 0x3c000000
	s_delay_alu instid0(VALU_DEP_3) | instskip(NEXT) | instid1(VALU_DEP_1)
	v_and_b32_e32 v4, 0x80000000, v4
	v_or3_b32 v88, v10, v4, v5
	s_delay_alu instid0(VALU_DEP_1)
	v_mov_b64_e32 v[118:119], v[88:89]
.LBB208_680:                            ;   in Loop: Header=BB208_15 Depth=1
	s_or_b32 exec_lo, exec_lo, s16
.LBB208_681:                            ;   in Loop: Header=BB208_15 Depth=1
	s_delay_alu instid0(SALU_CYCLE_1)
	s_or_b32 exec_lo, exec_lo, s15
.LBB208_682:                            ;   in Loop: Header=BB208_15 Depth=1
	s_delay_alu instid0(SALU_CYCLE_1) | instskip(NEXT) | instid1(SALU_CYCLE_1)
	s_or_b32 exec_lo, exec_lo, s14
	s_mov_b32 s14, exec_lo
	v_cmpx_lt_u32_e32 0xffffff, v1
	s_cbranch_execz .LBB208_690
; %bb.683:                              ;   in Loop: Header=BB208_15 Depth=1
	v_mov_b64_e32 v[98:99], 0x8000000000000000
	v_lshrrev_b32_e32 v4, 24, v1
	s_mov_b32 s15, exec_lo
	s_delay_alu instid0(VALU_DEP_1)
	v_cmpx_ne_u32_e32 0x80, v4
	s_cbranch_execz .LBB208_689
; %bb.684:                              ;   in Loop: Header=BB208_15 Depth=1
	v_mov_b64_e32 v[98:99], 0x7f80000100000000
	v_bfe_u32 v5, v1, 24, 7
	s_mov_b32 s16, exec_lo
	s_delay_alu instid0(VALU_DEP_1)
	v_cmpx_ne_u32_e32 0x7f, v5
	s_cbranch_execz .LBB208_688
; %bb.685:                              ;   in Loop: Header=BB208_15 Depth=1
	v_dual_lshrrev_b32 v1, 3, v5 :: v_dual_bitop2_b32 v88, 7, v4 bitop3:0x40
	s_mov_b32 s17, exec_lo
	v_cmpx_gt_u32_e32 8, v5
; %bb.686:                              ;   in Loop: Header=BB208_15 Depth=1
	s_delay_alu instid0(VALU_DEP_2) | instskip(NEXT) | instid1(VALU_DEP_1)
	v_clz_i32_u32_e32 v1, v88
	v_min_u32_e32 v1, 32, v1
	s_delay_alu instid0(VALU_DEP_1) | instskip(NEXT) | instid1(VALU_DEP_1)
	v_subrev_nc_u32_e32 v5, 28, v1
	v_lshlrev_b64_e32 v[98:99], v5, v[88:89]
	s_delay_alu instid0(VALU_DEP_1)
	v_dual_sub_nc_u32 v1, 29, v1 :: v_dual_bitop2_b32 v88, 7, v98 bitop3:0x40
; %bb.687:                              ;   in Loop: Header=BB208_15 Depth=1
	s_or_b32 exec_lo, exec_lo, s17
	v_dual_lshlrev_b32 v4, 24, v4 :: v_dual_mov_b32 v98, v89
	s_delay_alu instid0(VALU_DEP_2) | instskip(NEXT) | instid1(VALU_DEP_3)
	v_lshlrev_b32_e32 v5, 20, v88
	v_lshl_add_u32 v1, v1, 23, 0x3c000000
	s_delay_alu instid0(VALU_DEP_3) | instskip(NEXT) | instid1(VALU_DEP_1)
	v_and_b32_e32 v4, 0x80000000, v4
	v_or3_b32 v99, v5, v4, v1
.LBB208_688:                            ;   in Loop: Header=BB208_15 Depth=1
	s_or_b32 exec_lo, exec_lo, s16
.LBB208_689:                            ;   in Loop: Header=BB208_15 Depth=1
	s_delay_alu instid0(SALU_CYCLE_1)
	s_or_b32 exec_lo, exec_lo, s15
.LBB208_690:                            ;   in Loop: Header=BB208_15 Depth=1
	s_delay_alu instid0(SALU_CYCLE_1)
	s_or_b32 exec_lo, exec_lo, s14
	flat_load_b32 v1, v[36:37] offset:2564
	v_mov_b64_e32 v[102:103], 0
	v_mov_b64_e32 v[42:43], 0
	s_mov_b32 s14, exec_lo
	s_wait_loadcnt_dscnt 0x0
	v_and_b32_e32 v4, 0xff, v1
	s_wait_xcnt 0x0
	s_delay_alu instid0(VALU_DEP_1)
	v_cmpx_ne_u16_e32 0, v4
	s_cbranch_execz .LBB208_698
; %bb.691:                              ;   in Loop: Header=BB208_15 Depth=1
	v_mov_b64_e32 v[42:43], 0x80000000
	s_mov_b32 s15, exec_lo
	v_cmpx_ne_u16_e32 0x80, v4
	s_cbranch_execz .LBB208_697
; %bb.692:                              ;   in Loop: Header=BB208_15 Depth=1
	v_mov_b64_e32 v[42:43], 0x7f800001
	v_and_b32_e32 v5, 0x7f, v1
	s_mov_b32 s16, exec_lo
	s_delay_alu instid0(VALU_DEP_1)
	v_cmpx_ne_u32_e32 0x7f, v5
	s_cbranch_execz .LBB208_696
; %bb.693:                              ;   in Loop: Header=BB208_15 Depth=1
	v_and_b32_e32 v88, 7, v1
	v_lshrrev_b32_e32 v4, 3, v5
	s_mov_b32 s17, exec_lo
	v_cmpx_gt_u32_e32 8, v5
; %bb.694:                              ;   in Loop: Header=BB208_15 Depth=1
	s_delay_alu instid0(VALU_DEP_3) | instskip(NEXT) | instid1(VALU_DEP_1)
	v_clz_i32_u32_e32 v4, v88
	v_min_u32_e32 v4, 32, v4
	s_delay_alu instid0(VALU_DEP_1) | instskip(NEXT) | instid1(VALU_DEP_1)
	v_subrev_nc_u32_e32 v5, 28, v4
	v_lshlrev_b64_e32 v[114:115], v5, v[88:89]
	s_delay_alu instid0(VALU_DEP_1)
	v_dual_sub_nc_u32 v4, 29, v4 :: v_dual_bitop2_b32 v88, 7, v114 bitop3:0x40
; %bb.695:                              ;   in Loop: Header=BB208_15 Depth=1
	s_or_b32 exec_lo, exec_lo, s17
	s_delay_alu instid0(VALU_DEP_1) | instskip(NEXT) | instid1(VALU_DEP_2)
	v_dual_lshlrev_b32 v5, 24, v1 :: v_dual_lshlrev_b32 v10, 20, v88
	v_lshl_add_u32 v4, v4, 23, 0x3c000000
	s_delay_alu instid0(VALU_DEP_2) | instskip(NEXT) | instid1(VALU_DEP_1)
	v_and_b32_e32 v5, 0x80000000, v5
	v_or3_b32 v88, v10, v5, v4
	s_delay_alu instid0(VALU_DEP_1)
	v_mov_b64_e32 v[42:43], v[88:89]
.LBB208_696:                            ;   in Loop: Header=BB208_15 Depth=1
	s_or_b32 exec_lo, exec_lo, s16
.LBB208_697:                            ;   in Loop: Header=BB208_15 Depth=1
	s_delay_alu instid0(SALU_CYCLE_1)
	s_or_b32 exec_lo, exec_lo, s15
.LBB208_698:                            ;   in Loop: Header=BB208_15 Depth=1
	s_delay_alu instid0(SALU_CYCLE_1) | instskip(SKIP_2) | instid1(VALU_DEP_1)
	s_or_b32 exec_lo, exec_lo, s14
	v_lshrrev_b16 v4, 8, v1
	s_mov_b32 s14, exec_lo
	v_cmpx_ne_u16_e32 0, v4
	s_cbranch_execz .LBB208_706
; %bb.699:                              ;   in Loop: Header=BB208_15 Depth=1
	v_mov_b64_e32 v[102:103], 0x8000000000000000
	s_mov_b32 s15, exec_lo
	v_cmpx_ne_u16_e32 0x80, v4
	s_cbranch_execz .LBB208_705
; %bb.700:                              ;   in Loop: Header=BB208_15 Depth=1
	v_and_b32_e32 v4, 0xffff, v4
	v_mov_b64_e32 v[102:103], 0x7f80000100000000
	s_mov_b32 s16, exec_lo
	s_delay_alu instid0(VALU_DEP_2) | instskip(NEXT) | instid1(VALU_DEP_1)
	v_and_b32_e32 v5, 0x7f, v4
	v_cmpx_ne_u32_e32 0x7f, v5
	s_cbranch_execz .LBB208_704
; %bb.701:                              ;   in Loop: Header=BB208_15 Depth=1
	v_dual_lshrrev_b32 v4, 3, v5 :: v_dual_bitop2_b32 v88, 7, v4 bitop3:0x40
	s_mov_b32 s17, exec_lo
	v_cmpx_gt_u32_e32 8, v5
; %bb.702:                              ;   in Loop: Header=BB208_15 Depth=1
	s_delay_alu instid0(VALU_DEP_2) | instskip(NEXT) | instid1(VALU_DEP_1)
	v_clz_i32_u32_e32 v4, v88
	v_min_u32_e32 v4, 32, v4
	s_delay_alu instid0(VALU_DEP_1) | instskip(NEXT) | instid1(VALU_DEP_1)
	v_subrev_nc_u32_e32 v5, 28, v4
	v_lshlrev_b64_e32 v[102:103], v5, v[88:89]
	s_delay_alu instid0(VALU_DEP_1)
	v_dual_sub_nc_u32 v4, 29, v4 :: v_dual_bitop2_b32 v88, 7, v102 bitop3:0x40
; %bb.703:                              ;   in Loop: Header=BB208_15 Depth=1
	s_or_b32 exec_lo, exec_lo, s17
	s_delay_alu instid0(VALU_DEP_1) | instskip(NEXT) | instid1(VALU_DEP_2)
	v_dual_lshlrev_b32 v5, 16, v1 :: v_dual_lshlrev_b32 v10, 20, v88
	v_lshl_add_u32 v4, v4, 23, 0x3c000000
	v_mov_b32_e32 v102, v89
	s_delay_alu instid0(VALU_DEP_3) | instskip(NEXT) | instid1(VALU_DEP_1)
	v_and_b32_e32 v5, 0x80000000, v5
	v_or3_b32 v103, v10, v5, v4
.LBB208_704:                            ;   in Loop: Header=BB208_15 Depth=1
	s_or_b32 exec_lo, exec_lo, s16
.LBB208_705:                            ;   in Loop: Header=BB208_15 Depth=1
	s_delay_alu instid0(SALU_CYCLE_1)
	s_or_b32 exec_lo, exec_lo, s15
.LBB208_706:                            ;   in Loop: Header=BB208_15 Depth=1
	s_delay_alu instid0(SALU_CYCLE_1) | instskip(SKIP_4) | instid1(VALU_DEP_3)
	s_or_b32 exec_lo, exec_lo, s14
	v_lshrrev_b32_e32 v4, 16, v1
	v_mov_b64_e32 v[114:115], 0
	v_mov_b64_e32 v[46:47], 0
	s_mov_b32 s14, exec_lo
	v_and_b32_e32 v5, 0xff, v4
	s_delay_alu instid0(VALU_DEP_1)
	v_cmpx_ne_u16_e32 0, v5
	s_cbranch_execz .LBB208_714
; %bb.707:                              ;   in Loop: Header=BB208_15 Depth=1
	v_mov_b64_e32 v[46:47], 0x80000000
	s_mov_b32 s15, exec_lo
	v_cmpx_ne_u16_e32 0x80, v5
	s_cbranch_execz .LBB208_713
; %bb.708:                              ;   in Loop: Header=BB208_15 Depth=1
	v_mov_b64_e32 v[46:47], 0x7f800001
	v_bfe_u32 v19, v1, 16, 7
	s_mov_b32 s16, exec_lo
	s_delay_alu instid0(VALU_DEP_1)
	v_cmpx_ne_u32_e32 0x7f, v19
	s_cbranch_execz .LBB208_712
; %bb.709:                              ;   in Loop: Header=BB208_15 Depth=1
	v_dual_lshrrev_b32 v5, 3, v19 :: v_dual_bitop2_b32 v88, 7, v4 bitop3:0x40
	s_mov_b32 s17, exec_lo
	v_cmpx_gt_u32_e32 8, v19
; %bb.710:                              ;   in Loop: Header=BB208_15 Depth=1
	s_delay_alu instid0(VALU_DEP_2) | instskip(NEXT) | instid1(VALU_DEP_1)
	v_clz_i32_u32_e32 v5, v88
	v_min_u32_e32 v5, 32, v5
	s_delay_alu instid0(VALU_DEP_1) | instskip(NEXT) | instid1(VALU_DEP_1)
	v_subrev_nc_u32_e32 v13, 28, v5
	v_lshlrev_b64_e32 v[116:117], v13, v[88:89]
	s_delay_alu instid0(VALU_DEP_1)
	v_dual_sub_nc_u32 v5, 29, v5 :: v_dual_bitop2_b32 v88, 7, v116 bitop3:0x40
; %bb.711:                              ;   in Loop: Header=BB208_15 Depth=1
	s_or_b32 exec_lo, exec_lo, s17
	v_lshlrev_b32_e32 v4, 24, v4
	s_delay_alu instid0(VALU_DEP_2) | instskip(NEXT) | instid1(VALU_DEP_3)
	v_lshlrev_b32_e32 v10, 20, v88
	v_lshl_add_u32 v5, v5, 23, 0x3c000000
	s_delay_alu instid0(VALU_DEP_3) | instskip(NEXT) | instid1(VALU_DEP_1)
	v_and_b32_e32 v4, 0x80000000, v4
	v_or3_b32 v88, v10, v4, v5
	s_delay_alu instid0(VALU_DEP_1)
	v_mov_b64_e32 v[46:47], v[88:89]
.LBB208_712:                            ;   in Loop: Header=BB208_15 Depth=1
	s_or_b32 exec_lo, exec_lo, s16
.LBB208_713:                            ;   in Loop: Header=BB208_15 Depth=1
	s_delay_alu instid0(SALU_CYCLE_1)
	s_or_b32 exec_lo, exec_lo, s15
.LBB208_714:                            ;   in Loop: Header=BB208_15 Depth=1
	s_delay_alu instid0(SALU_CYCLE_1) | instskip(NEXT) | instid1(SALU_CYCLE_1)
	s_or_b32 exec_lo, exec_lo, s14
	s_mov_b32 s14, exec_lo
	v_cmpx_lt_u32_e32 0xffffff, v1
	s_cbranch_execz .LBB208_722
; %bb.715:                              ;   in Loop: Header=BB208_15 Depth=1
	v_mov_b64_e32 v[114:115], 0x8000000000000000
	v_lshrrev_b32_e32 v4, 24, v1
	s_mov_b32 s15, exec_lo
	s_delay_alu instid0(VALU_DEP_1)
	v_cmpx_ne_u32_e32 0x80, v4
	s_cbranch_execz .LBB208_721
; %bb.716:                              ;   in Loop: Header=BB208_15 Depth=1
	v_mov_b64_e32 v[114:115], 0x7f80000100000000
	v_bfe_u32 v5, v1, 24, 7
	s_mov_b32 s16, exec_lo
	s_delay_alu instid0(VALU_DEP_1)
	v_cmpx_ne_u32_e32 0x7f, v5
	s_cbranch_execz .LBB208_720
; %bb.717:                              ;   in Loop: Header=BB208_15 Depth=1
	v_dual_lshrrev_b32 v1, 3, v5 :: v_dual_bitop2_b32 v88, 7, v4 bitop3:0x40
	s_mov_b32 s17, exec_lo
	v_cmpx_gt_u32_e32 8, v5
; %bb.718:                              ;   in Loop: Header=BB208_15 Depth=1
	s_delay_alu instid0(VALU_DEP_2) | instskip(NEXT) | instid1(VALU_DEP_1)
	v_clz_i32_u32_e32 v1, v88
	v_min_u32_e32 v1, 32, v1
	s_delay_alu instid0(VALU_DEP_1) | instskip(NEXT) | instid1(VALU_DEP_1)
	v_subrev_nc_u32_e32 v5, 28, v1
	v_lshlrev_b64_e32 v[114:115], v5, v[88:89]
	s_delay_alu instid0(VALU_DEP_1)
	v_dual_sub_nc_u32 v1, 29, v1 :: v_dual_bitop2_b32 v88, 7, v114 bitop3:0x40
; %bb.719:                              ;   in Loop: Header=BB208_15 Depth=1
	s_or_b32 exec_lo, exec_lo, s17
	v_dual_lshlrev_b32 v4, 24, v4 :: v_dual_mov_b32 v114, v89
	s_delay_alu instid0(VALU_DEP_2) | instskip(NEXT) | instid1(VALU_DEP_3)
	v_lshlrev_b32_e32 v5, 20, v88
	v_lshl_add_u32 v1, v1, 23, 0x3c000000
	s_delay_alu instid0(VALU_DEP_3) | instskip(NEXT) | instid1(VALU_DEP_1)
	v_and_b32_e32 v4, 0x80000000, v4
	v_or3_b32 v115, v5, v4, v1
.LBB208_720:                            ;   in Loop: Header=BB208_15 Depth=1
	s_or_b32 exec_lo, exec_lo, s16
.LBB208_721:                            ;   in Loop: Header=BB208_15 Depth=1
	s_delay_alu instid0(SALU_CYCLE_1)
	s_or_b32 exec_lo, exec_lo, s15
.LBB208_722:                            ;   in Loop: Header=BB208_15 Depth=1
	s_delay_alu instid0(SALU_CYCLE_1)
	s_or_b32 exec_lo, exec_lo, s14
	flat_load_b32 v1, v[36:37] offset:2568
	v_mov_b64_e32 v[116:117], 0
	v_mov_b64_e32 v[58:59], 0
	s_mov_b32 s14, exec_lo
	s_wait_loadcnt_dscnt 0x0
	v_and_b32_e32 v4, 0xff, v1
	s_wait_xcnt 0x0
	s_delay_alu instid0(VALU_DEP_1)
	v_cmpx_ne_u16_e32 0, v4
	s_cbranch_execz .LBB208_730
; %bb.723:                              ;   in Loop: Header=BB208_15 Depth=1
	v_mov_b64_e32 v[58:59], 0x80000000
	s_mov_b32 s15, exec_lo
	v_cmpx_ne_u16_e32 0x80, v4
	s_cbranch_execz .LBB208_729
; %bb.724:                              ;   in Loop: Header=BB208_15 Depth=1
	v_mov_b64_e32 v[58:59], 0x7f800001
	v_and_b32_e32 v5, 0x7f, v1
	s_mov_b32 s16, exec_lo
	s_delay_alu instid0(VALU_DEP_1)
	v_cmpx_ne_u32_e32 0x7f, v5
	s_cbranch_execz .LBB208_728
; %bb.725:                              ;   in Loop: Header=BB208_15 Depth=1
	v_and_b32_e32 v88, 7, v1
	v_lshrrev_b32_e32 v4, 3, v5
	s_mov_b32 s17, exec_lo
	v_cmpx_gt_u32_e32 8, v5
; %bb.726:                              ;   in Loop: Header=BB208_15 Depth=1
	s_delay_alu instid0(VALU_DEP_3) | instskip(NEXT) | instid1(VALU_DEP_1)
	v_clz_i32_u32_e32 v4, v88
	v_min_u32_e32 v4, 32, v4
	s_delay_alu instid0(VALU_DEP_1) | instskip(SKIP_1) | instid1(VALU_DEP_2)
	v_subrev_nc_u32_e32 v5, 28, v4
	v_sub_nc_u32_e32 v4, 29, v4
	v_lshlrev_b64_e32 v[40:41], v5, v[88:89]
	s_delay_alu instid0(VALU_DEP_1)
	v_and_b32_e32 v88, 7, v40
; %bb.727:                              ;   in Loop: Header=BB208_15 Depth=1
	s_or_b32 exec_lo, exec_lo, s17
	s_delay_alu instid0(VALU_DEP_1) | instskip(SKIP_1) | instid1(VALU_DEP_2)
	v_dual_lshlrev_b32 v5, 24, v1 :: v_dual_lshlrev_b32 v10, 20, v88
	v_lshl_add_u32 v4, v4, 23, 0x3c000000
	v_and_b32_e32 v5, 0x80000000, v5
	s_delay_alu instid0(VALU_DEP_1) | instskip(NEXT) | instid1(VALU_DEP_1)
	v_or3_b32 v88, v10, v5, v4
	v_mov_b64_e32 v[58:59], v[88:89]
.LBB208_728:                            ;   in Loop: Header=BB208_15 Depth=1
	s_or_b32 exec_lo, exec_lo, s16
.LBB208_729:                            ;   in Loop: Header=BB208_15 Depth=1
	s_delay_alu instid0(SALU_CYCLE_1)
	s_or_b32 exec_lo, exec_lo, s15
.LBB208_730:                            ;   in Loop: Header=BB208_15 Depth=1
	s_delay_alu instid0(SALU_CYCLE_1) | instskip(SKIP_2) | instid1(VALU_DEP_1)
	s_or_b32 exec_lo, exec_lo, s14
	v_lshrrev_b16 v4, 8, v1
	s_mov_b32 s14, exec_lo
	v_cmpx_ne_u16_e32 0, v4
	s_cbranch_execz .LBB208_738
; %bb.731:                              ;   in Loop: Header=BB208_15 Depth=1
	v_mov_b64_e32 v[116:117], 0x8000000000000000
	s_mov_b32 s15, exec_lo
	v_cmpx_ne_u16_e32 0x80, v4
	s_cbranch_execz .LBB208_737
; %bb.732:                              ;   in Loop: Header=BB208_15 Depth=1
	v_and_b32_e32 v4, 0xffff, v4
	v_mov_b64_e32 v[116:117], 0x7f80000100000000
	s_mov_b32 s16, exec_lo
	s_delay_alu instid0(VALU_DEP_2) | instskip(NEXT) | instid1(VALU_DEP_1)
	v_and_b32_e32 v5, 0x7f, v4
	v_cmpx_ne_u32_e32 0x7f, v5
	s_cbranch_execz .LBB208_736
; %bb.733:                              ;   in Loop: Header=BB208_15 Depth=1
	v_dual_lshrrev_b32 v4, 3, v5 :: v_dual_bitop2_b32 v88, 7, v4 bitop3:0x40
	s_mov_b32 s17, exec_lo
	v_cmpx_gt_u32_e32 8, v5
; %bb.734:                              ;   in Loop: Header=BB208_15 Depth=1
	s_delay_alu instid0(VALU_DEP_2) | instskip(NEXT) | instid1(VALU_DEP_1)
	v_clz_i32_u32_e32 v4, v88
	v_min_u32_e32 v4, 32, v4
	s_delay_alu instid0(VALU_DEP_1) | instskip(SKIP_1) | instid1(VALU_DEP_2)
	v_subrev_nc_u32_e32 v5, 28, v4
	v_sub_nc_u32_e32 v4, 29, v4
	v_lshlrev_b64_e32 v[116:117], v5, v[88:89]
	s_delay_alu instid0(VALU_DEP_1)
	v_and_b32_e32 v88, 7, v116
; %bb.735:                              ;   in Loop: Header=BB208_15 Depth=1
	s_or_b32 exec_lo, exec_lo, s17
	s_delay_alu instid0(VALU_DEP_1) | instskip(SKIP_2) | instid1(VALU_DEP_3)
	v_dual_lshlrev_b32 v5, 16, v1 :: v_dual_lshlrev_b32 v10, 20, v88
	v_lshl_add_u32 v4, v4, 23, 0x3c000000
	v_mov_b32_e32 v116, v89
	v_and_b32_e32 v5, 0x80000000, v5
	s_delay_alu instid0(VALU_DEP_1)
	v_or3_b32 v117, v10, v5, v4
.LBB208_736:                            ;   in Loop: Header=BB208_15 Depth=1
	s_or_b32 exec_lo, exec_lo, s16
.LBB208_737:                            ;   in Loop: Header=BB208_15 Depth=1
	s_delay_alu instid0(SALU_CYCLE_1)
	s_or_b32 exec_lo, exec_lo, s15
.LBB208_738:                            ;   in Loop: Header=BB208_15 Depth=1
	s_delay_alu instid0(SALU_CYCLE_1) | instskip(SKIP_4) | instid1(VALU_DEP_3)
	s_or_b32 exec_lo, exec_lo, s14
	v_lshrrev_b32_e32 v4, 16, v1
	v_mov_b64_e32 v[40:41], 0
	v_mov_b64_e32 v[44:45], 0
	s_mov_b32 s14, exec_lo
	v_and_b32_e32 v5, 0xff, v4
	s_delay_alu instid0(VALU_DEP_1)
	v_cmpx_ne_u16_e32 0, v5
	s_cbranch_execz .LBB208_746
; %bb.739:                              ;   in Loop: Header=BB208_15 Depth=1
	v_mov_b64_e32 v[44:45], 0x80000000
	s_mov_b32 s15, exec_lo
	v_cmpx_ne_u16_e32 0x80, v5
	s_cbranch_execz .LBB208_745
; %bb.740:                              ;   in Loop: Header=BB208_15 Depth=1
	v_mov_b64_e32 v[44:45], 0x7f800001
	v_bfe_u32 v19, v1, 16, 7
	s_mov_b32 s16, exec_lo
	s_delay_alu instid0(VALU_DEP_1)
	v_cmpx_ne_u32_e32 0x7f, v19
	s_cbranch_execz .LBB208_744
; %bb.741:                              ;   in Loop: Header=BB208_15 Depth=1
	v_dual_lshrrev_b32 v5, 3, v19 :: v_dual_bitop2_b32 v88, 7, v4 bitop3:0x40
	s_mov_b32 s17, exec_lo
	v_cmpx_gt_u32_e32 8, v19
; %bb.742:                              ;   in Loop: Header=BB208_15 Depth=1
	s_delay_alu instid0(VALU_DEP_2) | instskip(NEXT) | instid1(VALU_DEP_1)
	v_clz_i32_u32_e32 v5, v88
	v_min_u32_e32 v5, 32, v5
	s_delay_alu instid0(VALU_DEP_1) | instskip(NEXT) | instid1(VALU_DEP_1)
	v_subrev_nc_u32_e32 v13, 28, v5
	v_lshlrev_b64_e32 v[44:45], v13, v[88:89]
	s_delay_alu instid0(VALU_DEP_1)
	v_dual_sub_nc_u32 v5, 29, v5 :: v_dual_bitop2_b32 v88, 7, v44 bitop3:0x40
; %bb.743:                              ;   in Loop: Header=BB208_15 Depth=1
	s_or_b32 exec_lo, exec_lo, s17
	v_lshlrev_b32_e32 v4, 24, v4
	s_delay_alu instid0(VALU_DEP_2) | instskip(NEXT) | instid1(VALU_DEP_3)
	v_lshlrev_b32_e32 v10, 20, v88
	v_lshl_add_u32 v5, v5, 23, 0x3c000000
	s_delay_alu instid0(VALU_DEP_3) | instskip(NEXT) | instid1(VALU_DEP_1)
	v_and_b32_e32 v4, 0x80000000, v4
	v_or3_b32 v88, v10, v4, v5
	s_delay_alu instid0(VALU_DEP_1)
	v_mov_b64_e32 v[44:45], v[88:89]
.LBB208_744:                            ;   in Loop: Header=BB208_15 Depth=1
	s_or_b32 exec_lo, exec_lo, s16
.LBB208_745:                            ;   in Loop: Header=BB208_15 Depth=1
	s_delay_alu instid0(SALU_CYCLE_1)
	s_or_b32 exec_lo, exec_lo, s15
.LBB208_746:                            ;   in Loop: Header=BB208_15 Depth=1
	s_delay_alu instid0(SALU_CYCLE_1) | instskip(NEXT) | instid1(SALU_CYCLE_1)
	s_or_b32 exec_lo, exec_lo, s14
	s_mov_b32 s14, exec_lo
	v_cmpx_lt_u32_e32 0xffffff, v1
	s_cbranch_execz .LBB208_754
; %bb.747:                              ;   in Loop: Header=BB208_15 Depth=1
	v_mov_b64_e32 v[40:41], 0x8000000000000000
	v_lshrrev_b32_e32 v4, 24, v1
	s_mov_b32 s15, exec_lo
	s_delay_alu instid0(VALU_DEP_1)
	v_cmpx_ne_u32_e32 0x80, v4
	s_cbranch_execz .LBB208_753
; %bb.748:                              ;   in Loop: Header=BB208_15 Depth=1
	v_mov_b64_e32 v[40:41], 0x7f80000100000000
	v_bfe_u32 v5, v1, 24, 7
	s_mov_b32 s16, exec_lo
	s_delay_alu instid0(VALU_DEP_1)
	v_cmpx_ne_u32_e32 0x7f, v5
	s_cbranch_execz .LBB208_752
; %bb.749:                              ;   in Loop: Header=BB208_15 Depth=1
	v_dual_lshrrev_b32 v1, 3, v5 :: v_dual_bitop2_b32 v88, 7, v4 bitop3:0x40
	s_mov_b32 s17, exec_lo
	v_cmpx_gt_u32_e32 8, v5
; %bb.750:                              ;   in Loop: Header=BB208_15 Depth=1
	s_delay_alu instid0(VALU_DEP_2) | instskip(NEXT) | instid1(VALU_DEP_1)
	v_clz_i32_u32_e32 v1, v88
	v_min_u32_e32 v1, 32, v1
	s_delay_alu instid0(VALU_DEP_1) | instskip(NEXT) | instid1(VALU_DEP_1)
	v_subrev_nc_u32_e32 v5, 28, v1
	v_lshlrev_b64_e32 v[40:41], v5, v[88:89]
	s_delay_alu instid0(VALU_DEP_1)
	v_dual_sub_nc_u32 v1, 29, v1 :: v_dual_bitop2_b32 v88, 7, v40 bitop3:0x40
; %bb.751:                              ;   in Loop: Header=BB208_15 Depth=1
	s_or_b32 exec_lo, exec_lo, s17
	v_dual_lshlrev_b32 v4, 24, v4 :: v_dual_mov_b32 v40, v89
	s_delay_alu instid0(VALU_DEP_2) | instskip(NEXT) | instid1(VALU_DEP_3)
	v_lshlrev_b32_e32 v5, 20, v88
	v_lshl_add_u32 v1, v1, 23, 0x3c000000
	s_delay_alu instid0(VALU_DEP_3) | instskip(NEXT) | instid1(VALU_DEP_1)
	v_and_b32_e32 v4, 0x80000000, v4
	v_or3_b32 v41, v5, v4, v1
.LBB208_752:                            ;   in Loop: Header=BB208_15 Depth=1
	s_or_b32 exec_lo, exec_lo, s16
.LBB208_753:                            ;   in Loop: Header=BB208_15 Depth=1
	s_delay_alu instid0(SALU_CYCLE_1)
	s_or_b32 exec_lo, exec_lo, s15
.LBB208_754:                            ;   in Loop: Header=BB208_15 Depth=1
	s_delay_alu instid0(SALU_CYCLE_1)
	s_or_b32 exec_lo, exec_lo, s14
	flat_load_b32 v1, v[36:37] offset:2572
	v_mov_b64_e32 v[62:63], 0
	v_mov_b64_e32 v[8:9], 0
	s_mov_b32 s14, exec_lo
	s_wait_loadcnt_dscnt 0x0
	v_and_b32_e32 v4, 0xff, v1
	s_wait_xcnt 0x0
	s_delay_alu instid0(VALU_DEP_1)
	v_cmpx_ne_u16_e32 0, v4
	s_cbranch_execz .LBB208_762
; %bb.755:                              ;   in Loop: Header=BB208_15 Depth=1
	v_mov_b64_e32 v[8:9], 0x80000000
	s_mov_b32 s15, exec_lo
	v_cmpx_ne_u16_e32 0x80, v4
	s_cbranch_execz .LBB208_761
; %bb.756:                              ;   in Loop: Header=BB208_15 Depth=1
	v_mov_b64_e32 v[8:9], 0x7f800001
	v_and_b32_e32 v5, 0x7f, v1
	s_mov_b32 s16, exec_lo
	s_delay_alu instid0(VALU_DEP_1)
	v_cmpx_ne_u32_e32 0x7f, v5
	s_cbranch_execz .LBB208_760
; %bb.757:                              ;   in Loop: Header=BB208_15 Depth=1
	v_and_b32_e32 v88, 7, v1
	v_lshrrev_b32_e32 v4, 3, v5
	s_mov_b32 s17, exec_lo
	v_cmpx_gt_u32_e32 8, v5
; %bb.758:                              ;   in Loop: Header=BB208_15 Depth=1
	s_delay_alu instid0(VALU_DEP_3) | instskip(NEXT) | instid1(VALU_DEP_1)
	v_clz_i32_u32_e32 v4, v88
	v_min_u32_e32 v4, 32, v4
	s_delay_alu instid0(VALU_DEP_1) | instskip(SKIP_1) | instid1(VALU_DEP_2)
	v_subrev_nc_u32_e32 v5, 28, v4
	v_sub_nc_u32_e32 v4, 29, v4
	v_lshlrev_b64_e32 v[8:9], v5, v[88:89]
	s_delay_alu instid0(VALU_DEP_1)
	v_and_b32_e32 v88, 7, v8
; %bb.759:                              ;   in Loop: Header=BB208_15 Depth=1
	s_or_b32 exec_lo, exec_lo, s17
	s_delay_alu instid0(VALU_DEP_1) | instskip(SKIP_1) | instid1(VALU_DEP_2)
	v_dual_lshlrev_b32 v5, 24, v1 :: v_dual_lshlrev_b32 v10, 20, v88
	v_lshl_add_u32 v4, v4, 23, 0x3c000000
	v_and_b32_e32 v5, 0x80000000, v5
	s_delay_alu instid0(VALU_DEP_1) | instskip(NEXT) | instid1(VALU_DEP_1)
	v_or3_b32 v88, v10, v5, v4
	v_mov_b64_e32 v[8:9], v[88:89]
.LBB208_760:                            ;   in Loop: Header=BB208_15 Depth=1
	s_or_b32 exec_lo, exec_lo, s16
.LBB208_761:                            ;   in Loop: Header=BB208_15 Depth=1
	s_delay_alu instid0(SALU_CYCLE_1)
	s_or_b32 exec_lo, exec_lo, s15
.LBB208_762:                            ;   in Loop: Header=BB208_15 Depth=1
	s_delay_alu instid0(SALU_CYCLE_1) | instskip(SKIP_2) | instid1(VALU_DEP_1)
	s_or_b32 exec_lo, exec_lo, s14
	v_lshrrev_b16 v4, 8, v1
	s_mov_b32 s14, exec_lo
	v_cmpx_ne_u16_e32 0, v4
	s_cbranch_execz .LBB208_770
; %bb.763:                              ;   in Loop: Header=BB208_15 Depth=1
	v_mov_b64_e32 v[62:63], 0x8000000000000000
	s_mov_b32 s15, exec_lo
	v_cmpx_ne_u16_e32 0x80, v4
	s_cbranch_execz .LBB208_769
; %bb.764:                              ;   in Loop: Header=BB208_15 Depth=1
	v_and_b32_e32 v4, 0xffff, v4
	v_mov_b64_e32 v[62:63], 0x7f80000100000000
	s_mov_b32 s16, exec_lo
	s_delay_alu instid0(VALU_DEP_2) | instskip(NEXT) | instid1(VALU_DEP_1)
	v_and_b32_e32 v5, 0x7f, v4
	v_cmpx_ne_u32_e32 0x7f, v5
	s_cbranch_execz .LBB208_768
; %bb.765:                              ;   in Loop: Header=BB208_15 Depth=1
	v_dual_lshrrev_b32 v4, 3, v5 :: v_dual_bitop2_b32 v88, 7, v4 bitop3:0x40
	s_mov_b32 s17, exec_lo
	v_cmpx_gt_u32_e32 8, v5
; %bb.766:                              ;   in Loop: Header=BB208_15 Depth=1
	s_delay_alu instid0(VALU_DEP_2) | instskip(NEXT) | instid1(VALU_DEP_1)
	v_clz_i32_u32_e32 v4, v88
	v_min_u32_e32 v4, 32, v4
	s_delay_alu instid0(VALU_DEP_1) | instskip(SKIP_1) | instid1(VALU_DEP_2)
	v_subrev_nc_u32_e32 v5, 28, v4
	v_sub_nc_u32_e32 v4, 29, v4
	v_lshlrev_b64_e32 v[60:61], v5, v[88:89]
	s_delay_alu instid0(VALU_DEP_1)
	v_and_b32_e32 v88, 7, v60
; %bb.767:                              ;   in Loop: Header=BB208_15 Depth=1
	s_or_b32 exec_lo, exec_lo, s17
	s_delay_alu instid0(VALU_DEP_1) | instskip(SKIP_2) | instid1(VALU_DEP_3)
	v_dual_lshlrev_b32 v5, 16, v1 :: v_dual_lshlrev_b32 v10, 20, v88
	v_lshl_add_u32 v4, v4, 23, 0x3c000000
	v_mov_b32_e32 v62, v89
	v_and_b32_e32 v5, 0x80000000, v5
	s_delay_alu instid0(VALU_DEP_1)
	v_or3_b32 v63, v10, v5, v4
.LBB208_768:                            ;   in Loop: Header=BB208_15 Depth=1
	s_or_b32 exec_lo, exec_lo, s16
.LBB208_769:                            ;   in Loop: Header=BB208_15 Depth=1
	s_delay_alu instid0(SALU_CYCLE_1)
	s_or_b32 exec_lo, exec_lo, s15
.LBB208_770:                            ;   in Loop: Header=BB208_15 Depth=1
	s_delay_alu instid0(SALU_CYCLE_1) | instskip(SKIP_4) | instid1(VALU_DEP_3)
	s_or_b32 exec_lo, exec_lo, s14
	v_lshrrev_b32_e32 v4, 16, v1
	v_mov_b64_e32 v[74:75], 0
	v_mov_b64_e32 v[60:61], 0
	s_mov_b32 s14, exec_lo
	v_and_b32_e32 v5, 0xff, v4
	s_delay_alu instid0(VALU_DEP_1)
	v_cmpx_ne_u16_e32 0, v5
	s_cbranch_execz .LBB208_778
; %bb.771:                              ;   in Loop: Header=BB208_15 Depth=1
	v_mov_b64_e32 v[60:61], 0x80000000
	s_mov_b32 s15, exec_lo
	v_cmpx_ne_u16_e32 0x80, v5
	s_cbranch_execz .LBB208_777
; %bb.772:                              ;   in Loop: Header=BB208_15 Depth=1
	v_mov_b64_e32 v[60:61], 0x7f800001
	v_bfe_u32 v19, v1, 16, 7
	s_mov_b32 s16, exec_lo
	s_delay_alu instid0(VALU_DEP_1)
	v_cmpx_ne_u32_e32 0x7f, v19
	s_cbranch_execz .LBB208_776
; %bb.773:                              ;   in Loop: Header=BB208_15 Depth=1
	v_dual_lshrrev_b32 v5, 3, v19 :: v_dual_bitop2_b32 v88, 7, v4 bitop3:0x40
	s_mov_b32 s17, exec_lo
	v_cmpx_gt_u32_e32 8, v19
; %bb.774:                              ;   in Loop: Header=BB208_15 Depth=1
	s_delay_alu instid0(VALU_DEP_2) | instskip(NEXT) | instid1(VALU_DEP_1)
	v_clz_i32_u32_e32 v5, v88
	v_min_u32_e32 v5, 32, v5
	s_delay_alu instid0(VALU_DEP_1) | instskip(NEXT) | instid1(VALU_DEP_1)
	v_subrev_nc_u32_e32 v13, 28, v5
	v_lshlrev_b64_e32 v[60:61], v13, v[88:89]
	s_delay_alu instid0(VALU_DEP_1)
	v_dual_sub_nc_u32 v5, 29, v5 :: v_dual_bitop2_b32 v88, 7, v60 bitop3:0x40
; %bb.775:                              ;   in Loop: Header=BB208_15 Depth=1
	s_or_b32 exec_lo, exec_lo, s17
	v_lshlrev_b32_e32 v4, 24, v4
	s_delay_alu instid0(VALU_DEP_2) | instskip(NEXT) | instid1(VALU_DEP_3)
	v_lshlrev_b32_e32 v10, 20, v88
	v_lshl_add_u32 v5, v5, 23, 0x3c000000
	s_delay_alu instid0(VALU_DEP_3) | instskip(NEXT) | instid1(VALU_DEP_1)
	v_and_b32_e32 v4, 0x80000000, v4
	v_or3_b32 v88, v10, v4, v5
	s_delay_alu instid0(VALU_DEP_1)
	v_mov_b64_e32 v[60:61], v[88:89]
.LBB208_776:                            ;   in Loop: Header=BB208_15 Depth=1
	s_or_b32 exec_lo, exec_lo, s16
.LBB208_777:                            ;   in Loop: Header=BB208_15 Depth=1
	s_delay_alu instid0(SALU_CYCLE_1)
	s_or_b32 exec_lo, exec_lo, s15
.LBB208_778:                            ;   in Loop: Header=BB208_15 Depth=1
	s_delay_alu instid0(SALU_CYCLE_1) | instskip(NEXT) | instid1(SALU_CYCLE_1)
	s_or_b32 exec_lo, exec_lo, s14
	s_mov_b32 s14, exec_lo
	v_cmpx_lt_u32_e32 0xffffff, v1
	s_cbranch_execz .LBB208_786
; %bb.779:                              ;   in Loop: Header=BB208_15 Depth=1
	v_mov_b64_e32 v[74:75], 0x8000000000000000
	v_lshrrev_b32_e32 v4, 24, v1
	s_mov_b32 s15, exec_lo
	s_delay_alu instid0(VALU_DEP_1)
	v_cmpx_ne_u32_e32 0x80, v4
	s_cbranch_execz .LBB208_785
; %bb.780:                              ;   in Loop: Header=BB208_15 Depth=1
	v_mov_b64_e32 v[74:75], 0x7f80000100000000
	v_bfe_u32 v5, v1, 24, 7
	s_mov_b32 s16, exec_lo
	s_delay_alu instid0(VALU_DEP_1)
	v_cmpx_ne_u32_e32 0x7f, v5
	s_cbranch_execz .LBB208_784
; %bb.781:                              ;   in Loop: Header=BB208_15 Depth=1
	v_dual_lshrrev_b32 v1, 3, v5 :: v_dual_bitop2_b32 v88, 7, v4 bitop3:0x40
	s_mov_b32 s17, exec_lo
	v_cmpx_gt_u32_e32 8, v5
; %bb.782:                              ;   in Loop: Header=BB208_15 Depth=1
	s_delay_alu instid0(VALU_DEP_2) | instskip(NEXT) | instid1(VALU_DEP_1)
	v_clz_i32_u32_e32 v1, v88
	v_min_u32_e32 v1, 32, v1
	s_delay_alu instid0(VALU_DEP_1) | instskip(NEXT) | instid1(VALU_DEP_1)
	v_subrev_nc_u32_e32 v5, 28, v1
	v_lshlrev_b64_e32 v[18:19], v5, v[88:89]
	s_delay_alu instid0(VALU_DEP_1)
	v_dual_sub_nc_u32 v1, 29, v1 :: v_dual_bitop2_b32 v88, 7, v18 bitop3:0x40
; %bb.783:                              ;   in Loop: Header=BB208_15 Depth=1
	s_or_b32 exec_lo, exec_lo, s17
	v_dual_lshlrev_b32 v4, 24, v4 :: v_dual_mov_b32 v74, v89
	s_delay_alu instid0(VALU_DEP_2) | instskip(NEXT) | instid1(VALU_DEP_3)
	v_lshlrev_b32_e32 v5, 20, v88
	v_lshl_add_u32 v1, v1, 23, 0x3c000000
	s_delay_alu instid0(VALU_DEP_3) | instskip(NEXT) | instid1(VALU_DEP_1)
	v_and_b32_e32 v4, 0x80000000, v4
	v_or3_b32 v75, v5, v4, v1
.LBB208_784:                            ;   in Loop: Header=BB208_15 Depth=1
	s_or_b32 exec_lo, exec_lo, s16
.LBB208_785:                            ;   in Loop: Header=BB208_15 Depth=1
	s_delay_alu instid0(SALU_CYCLE_1)
	s_or_b32 exec_lo, exec_lo, s15
.LBB208_786:                            ;   in Loop: Header=BB208_15 Depth=1
	s_delay_alu instid0(SALU_CYCLE_1)
	s_or_b32 exec_lo, exec_lo, s14
	flat_load_b32 v1, v[36:37] offset:3072
	v_mov_b64_e32 v[78:79], 0
	v_mov_b64_e32 v[22:23], 0
	s_mov_b32 s14, exec_lo
	s_wait_loadcnt_dscnt 0x0
	v_and_b32_e32 v4, 0xff, v1
	s_wait_xcnt 0x0
	s_delay_alu instid0(VALU_DEP_1)
	v_cmpx_ne_u16_e32 0, v4
	s_cbranch_execz .LBB208_794
; %bb.787:                              ;   in Loop: Header=BB208_15 Depth=1
	v_mov_b64_e32 v[22:23], 0x80000000
	s_mov_b32 s15, exec_lo
	v_cmpx_ne_u16_e32 0x80, v4
	s_cbranch_execz .LBB208_793
; %bb.788:                              ;   in Loop: Header=BB208_15 Depth=1
	v_mov_b64_e32 v[22:23], 0x7f800001
	v_and_b32_e32 v5, 0x7f, v1
	s_mov_b32 s16, exec_lo
	s_delay_alu instid0(VALU_DEP_1)
	v_cmpx_ne_u32_e32 0x7f, v5
	s_cbranch_execz .LBB208_792
; %bb.789:                              ;   in Loop: Header=BB208_15 Depth=1
	v_and_b32_e32 v88, 7, v1
	v_lshrrev_b32_e32 v4, 3, v5
	s_mov_b32 s17, exec_lo
	v_cmpx_gt_u32_e32 8, v5
; %bb.790:                              ;   in Loop: Header=BB208_15 Depth=1
	s_delay_alu instid0(VALU_DEP_3) | instskip(NEXT) | instid1(VALU_DEP_1)
	v_clz_i32_u32_e32 v4, v88
	v_min_u32_e32 v4, 32, v4
	s_delay_alu instid0(VALU_DEP_1) | instskip(NEXT) | instid1(VALU_DEP_1)
	v_subrev_nc_u32_e32 v5, 28, v4
	v_lshlrev_b64_e32 v[18:19], v5, v[88:89]
	s_delay_alu instid0(VALU_DEP_1)
	v_dual_sub_nc_u32 v4, 29, v4 :: v_dual_bitop2_b32 v88, 7, v18 bitop3:0x40
; %bb.791:                              ;   in Loop: Header=BB208_15 Depth=1
	s_or_b32 exec_lo, exec_lo, s17
	s_delay_alu instid0(VALU_DEP_1) | instskip(NEXT) | instid1(VALU_DEP_2)
	v_dual_lshlrev_b32 v5, 24, v1 :: v_dual_lshlrev_b32 v10, 20, v88
	v_lshl_add_u32 v4, v4, 23, 0x3c000000
	s_delay_alu instid0(VALU_DEP_2) | instskip(NEXT) | instid1(VALU_DEP_1)
	v_and_b32_e32 v5, 0x80000000, v5
	v_or3_b32 v88, v10, v5, v4
	s_delay_alu instid0(VALU_DEP_1)
	v_mov_b64_e32 v[22:23], v[88:89]
.LBB208_792:                            ;   in Loop: Header=BB208_15 Depth=1
	s_or_b32 exec_lo, exec_lo, s16
.LBB208_793:                            ;   in Loop: Header=BB208_15 Depth=1
	s_delay_alu instid0(SALU_CYCLE_1)
	s_or_b32 exec_lo, exec_lo, s15
.LBB208_794:                            ;   in Loop: Header=BB208_15 Depth=1
	s_delay_alu instid0(SALU_CYCLE_1) | instskip(SKIP_2) | instid1(VALU_DEP_1)
	s_or_b32 exec_lo, exec_lo, s14
	v_lshrrev_b16 v4, 8, v1
	s_mov_b32 s14, exec_lo
	v_cmpx_ne_u16_e32 0, v4
	s_cbranch_execz .LBB208_802
; %bb.795:                              ;   in Loop: Header=BB208_15 Depth=1
	v_mov_b64_e32 v[78:79], 0x8000000000000000
	s_mov_b32 s15, exec_lo
	v_cmpx_ne_u16_e32 0x80, v4
	s_cbranch_execz .LBB208_801
; %bb.796:                              ;   in Loop: Header=BB208_15 Depth=1
	v_and_b32_e32 v4, 0xffff, v4
	v_mov_b64_e32 v[78:79], 0x7f80000100000000
	s_mov_b32 s16, exec_lo
	s_delay_alu instid0(VALU_DEP_2) | instskip(NEXT) | instid1(VALU_DEP_1)
	v_and_b32_e32 v5, 0x7f, v4
	v_cmpx_ne_u32_e32 0x7f, v5
	s_cbranch_execz .LBB208_800
; %bb.797:                              ;   in Loop: Header=BB208_15 Depth=1
	v_dual_lshrrev_b32 v4, 3, v5 :: v_dual_bitop2_b32 v88, 7, v4 bitop3:0x40
	s_mov_b32 s17, exec_lo
	v_cmpx_gt_u32_e32 8, v5
; %bb.798:                              ;   in Loop: Header=BB208_15 Depth=1
	s_delay_alu instid0(VALU_DEP_2) | instskip(NEXT) | instid1(VALU_DEP_1)
	v_clz_i32_u32_e32 v4, v88
	v_min_u32_e32 v4, 32, v4
	s_delay_alu instid0(VALU_DEP_1) | instskip(SKIP_1) | instid1(VALU_DEP_2)
	v_subrev_nc_u32_e32 v5, 28, v4
	v_sub_nc_u32_e32 v4, 29, v4
	v_lshlrev_b64_e32 v[76:77], v5, v[88:89]
	s_delay_alu instid0(VALU_DEP_1)
	v_and_b32_e32 v88, 7, v76
; %bb.799:                              ;   in Loop: Header=BB208_15 Depth=1
	s_or_b32 exec_lo, exec_lo, s17
	s_delay_alu instid0(VALU_DEP_1) | instskip(SKIP_2) | instid1(VALU_DEP_3)
	v_dual_lshlrev_b32 v5, 16, v1 :: v_dual_lshlrev_b32 v10, 20, v88
	v_lshl_add_u32 v4, v4, 23, 0x3c000000
	v_mov_b32_e32 v78, v89
	v_and_b32_e32 v5, 0x80000000, v5
	s_delay_alu instid0(VALU_DEP_1)
	v_or3_b32 v79, v10, v5, v4
.LBB208_800:                            ;   in Loop: Header=BB208_15 Depth=1
	s_or_b32 exec_lo, exec_lo, s16
.LBB208_801:                            ;   in Loop: Header=BB208_15 Depth=1
	s_delay_alu instid0(SALU_CYCLE_1)
	s_or_b32 exec_lo, exec_lo, s15
.LBB208_802:                            ;   in Loop: Header=BB208_15 Depth=1
	s_delay_alu instid0(SALU_CYCLE_1) | instskip(SKIP_4) | instid1(VALU_DEP_3)
	s_or_b32 exec_lo, exec_lo, s14
	v_lshrrev_b32_e32 v4, 16, v1
	v_mov_b64_e32 v[90:91], 0
	v_mov_b64_e32 v[76:77], 0
	s_mov_b32 s14, exec_lo
	v_and_b32_e32 v5, 0xff, v4
	s_delay_alu instid0(VALU_DEP_1)
	v_cmpx_ne_u16_e32 0, v5
	s_cbranch_execz .LBB208_810
; %bb.803:                              ;   in Loop: Header=BB208_15 Depth=1
	v_mov_b64_e32 v[76:77], 0x80000000
	s_mov_b32 s15, exec_lo
	v_cmpx_ne_u16_e32 0x80, v5
	s_cbranch_execz .LBB208_809
; %bb.804:                              ;   in Loop: Header=BB208_15 Depth=1
	v_mov_b64_e32 v[76:77], 0x7f800001
	v_bfe_u32 v19, v1, 16, 7
	s_mov_b32 s16, exec_lo
	s_delay_alu instid0(VALU_DEP_1)
	v_cmpx_ne_u32_e32 0x7f, v19
	s_cbranch_execz .LBB208_808
; %bb.805:                              ;   in Loop: Header=BB208_15 Depth=1
	v_dual_lshrrev_b32 v5, 3, v19 :: v_dual_bitop2_b32 v88, 7, v4 bitop3:0x40
	s_mov_b32 s17, exec_lo
	v_cmpx_gt_u32_e32 8, v19
; %bb.806:                              ;   in Loop: Header=BB208_15 Depth=1
	s_delay_alu instid0(VALU_DEP_2) | instskip(NEXT) | instid1(VALU_DEP_1)
	v_clz_i32_u32_e32 v5, v88
	v_min_u32_e32 v5, 32, v5
	s_delay_alu instid0(VALU_DEP_1) | instskip(NEXT) | instid1(VALU_DEP_1)
	v_subrev_nc_u32_e32 v13, 28, v5
	v_lshlrev_b64_e32 v[76:77], v13, v[88:89]
	s_delay_alu instid0(VALU_DEP_1)
	v_dual_sub_nc_u32 v5, 29, v5 :: v_dual_bitop2_b32 v88, 7, v76 bitop3:0x40
; %bb.807:                              ;   in Loop: Header=BB208_15 Depth=1
	s_or_b32 exec_lo, exec_lo, s17
	v_lshlrev_b32_e32 v4, 24, v4
	s_delay_alu instid0(VALU_DEP_2) | instskip(NEXT) | instid1(VALU_DEP_3)
	v_lshlrev_b32_e32 v10, 20, v88
	v_lshl_add_u32 v5, v5, 23, 0x3c000000
	s_delay_alu instid0(VALU_DEP_3) | instskip(NEXT) | instid1(VALU_DEP_1)
	v_and_b32_e32 v4, 0x80000000, v4
	v_or3_b32 v88, v10, v4, v5
	s_delay_alu instid0(VALU_DEP_1)
	v_mov_b64_e32 v[76:77], v[88:89]
.LBB208_808:                            ;   in Loop: Header=BB208_15 Depth=1
	s_or_b32 exec_lo, exec_lo, s16
.LBB208_809:                            ;   in Loop: Header=BB208_15 Depth=1
	s_delay_alu instid0(SALU_CYCLE_1)
	s_or_b32 exec_lo, exec_lo, s15
.LBB208_810:                            ;   in Loop: Header=BB208_15 Depth=1
	s_delay_alu instid0(SALU_CYCLE_1) | instskip(NEXT) | instid1(SALU_CYCLE_1)
	s_or_b32 exec_lo, exec_lo, s14
	s_mov_b32 s14, exec_lo
	v_cmpx_lt_u32_e32 0xffffff, v1
	s_cbranch_execz .LBB208_818
; %bb.811:                              ;   in Loop: Header=BB208_15 Depth=1
	v_mov_b64_e32 v[90:91], 0x8000000000000000
	v_lshrrev_b32_e32 v4, 24, v1
	s_mov_b32 s15, exec_lo
	s_delay_alu instid0(VALU_DEP_1)
	v_cmpx_ne_u32_e32 0x80, v4
	s_cbranch_execz .LBB208_817
; %bb.812:                              ;   in Loop: Header=BB208_15 Depth=1
	v_mov_b64_e32 v[90:91], 0x7f80000100000000
	v_bfe_u32 v5, v1, 24, 7
	s_mov_b32 s16, exec_lo
	s_delay_alu instid0(VALU_DEP_1)
	v_cmpx_ne_u32_e32 0x7f, v5
	s_cbranch_execz .LBB208_816
; %bb.813:                              ;   in Loop: Header=BB208_15 Depth=1
	v_dual_lshrrev_b32 v1, 3, v5 :: v_dual_bitop2_b32 v88, 7, v4 bitop3:0x40
	s_mov_b32 s17, exec_lo
	v_cmpx_gt_u32_e32 8, v5
; %bb.814:                              ;   in Loop: Header=BB208_15 Depth=1
	s_delay_alu instid0(VALU_DEP_2) | instskip(NEXT) | instid1(VALU_DEP_1)
	v_clz_i32_u32_e32 v1, v88
	v_min_u32_e32 v1, 32, v1
	s_delay_alu instid0(VALU_DEP_1) | instskip(NEXT) | instid1(VALU_DEP_1)
	v_subrev_nc_u32_e32 v5, 28, v1
	v_lshlrev_b64_e32 v[18:19], v5, v[88:89]
	s_delay_alu instid0(VALU_DEP_1)
	v_dual_sub_nc_u32 v1, 29, v1 :: v_dual_bitop2_b32 v88, 7, v18 bitop3:0x40
; %bb.815:                              ;   in Loop: Header=BB208_15 Depth=1
	s_or_b32 exec_lo, exec_lo, s17
	v_dual_lshlrev_b32 v4, 24, v4 :: v_dual_mov_b32 v90, v89
	s_delay_alu instid0(VALU_DEP_2) | instskip(NEXT) | instid1(VALU_DEP_3)
	v_lshlrev_b32_e32 v5, 20, v88
	v_lshl_add_u32 v1, v1, 23, 0x3c000000
	s_delay_alu instid0(VALU_DEP_3) | instskip(NEXT) | instid1(VALU_DEP_1)
	v_and_b32_e32 v4, 0x80000000, v4
	v_or3_b32 v91, v5, v4, v1
.LBB208_816:                            ;   in Loop: Header=BB208_15 Depth=1
	s_or_b32 exec_lo, exec_lo, s16
.LBB208_817:                            ;   in Loop: Header=BB208_15 Depth=1
	s_delay_alu instid0(SALU_CYCLE_1)
	s_or_b32 exec_lo, exec_lo, s15
.LBB208_818:                            ;   in Loop: Header=BB208_15 Depth=1
	s_delay_alu instid0(SALU_CYCLE_1)
	s_or_b32 exec_lo, exec_lo, s14
	flat_load_b32 v1, v[36:37] offset:3076
	v_mov_b64_e32 v[94:95], 0
	v_mov_b64_e32 v[56:57], 0
	s_mov_b32 s14, exec_lo
	s_wait_loadcnt_dscnt 0x0
	v_and_b32_e32 v4, 0xff, v1
	s_wait_xcnt 0x0
	s_delay_alu instid0(VALU_DEP_1)
	v_cmpx_ne_u16_e32 0, v4
	s_cbranch_execz .LBB208_826
; %bb.819:                              ;   in Loop: Header=BB208_15 Depth=1
	v_mov_b64_e32 v[56:57], 0x80000000
	s_mov_b32 s15, exec_lo
	v_cmpx_ne_u16_e32 0x80, v4
	s_cbranch_execz .LBB208_825
; %bb.820:                              ;   in Loop: Header=BB208_15 Depth=1
	v_mov_b64_e32 v[56:57], 0x7f800001
	v_and_b32_e32 v5, 0x7f, v1
	s_mov_b32 s16, exec_lo
	s_delay_alu instid0(VALU_DEP_1)
	v_cmpx_ne_u32_e32 0x7f, v5
	s_cbranch_execz .LBB208_824
; %bb.821:                              ;   in Loop: Header=BB208_15 Depth=1
	v_and_b32_e32 v88, 7, v1
	v_lshrrev_b32_e32 v4, 3, v5
	s_mov_b32 s17, exec_lo
	v_cmpx_gt_u32_e32 8, v5
; %bb.822:                              ;   in Loop: Header=BB208_15 Depth=1
	s_delay_alu instid0(VALU_DEP_3) | instskip(NEXT) | instid1(VALU_DEP_1)
	v_clz_i32_u32_e32 v4, v88
	v_min_u32_e32 v4, 32, v4
	s_delay_alu instid0(VALU_DEP_1) | instskip(NEXT) | instid1(VALU_DEP_1)
	v_subrev_nc_u32_e32 v5, 28, v4
	v_lshlrev_b64_e32 v[18:19], v5, v[88:89]
	s_delay_alu instid0(VALU_DEP_1)
	v_dual_sub_nc_u32 v4, 29, v4 :: v_dual_bitop2_b32 v88, 7, v18 bitop3:0x40
; %bb.823:                              ;   in Loop: Header=BB208_15 Depth=1
	s_or_b32 exec_lo, exec_lo, s17
	s_delay_alu instid0(VALU_DEP_1) | instskip(NEXT) | instid1(VALU_DEP_2)
	v_dual_lshlrev_b32 v5, 24, v1 :: v_dual_lshlrev_b32 v10, 20, v88
	v_lshl_add_u32 v4, v4, 23, 0x3c000000
	s_delay_alu instid0(VALU_DEP_2) | instskip(NEXT) | instid1(VALU_DEP_1)
	v_and_b32_e32 v5, 0x80000000, v5
	v_or3_b32 v88, v10, v5, v4
	s_delay_alu instid0(VALU_DEP_1)
	v_mov_b64_e32 v[56:57], v[88:89]
.LBB208_824:                            ;   in Loop: Header=BB208_15 Depth=1
	s_or_b32 exec_lo, exec_lo, s16
.LBB208_825:                            ;   in Loop: Header=BB208_15 Depth=1
	s_delay_alu instid0(SALU_CYCLE_1)
	s_or_b32 exec_lo, exec_lo, s15
.LBB208_826:                            ;   in Loop: Header=BB208_15 Depth=1
	s_delay_alu instid0(SALU_CYCLE_1) | instskip(SKIP_2) | instid1(VALU_DEP_1)
	s_or_b32 exec_lo, exec_lo, s14
	v_lshrrev_b16 v4, 8, v1
	s_mov_b32 s14, exec_lo
	v_cmpx_ne_u16_e32 0, v4
	s_cbranch_execz .LBB208_834
; %bb.827:                              ;   in Loop: Header=BB208_15 Depth=1
	v_mov_b64_e32 v[94:95], 0x8000000000000000
	s_mov_b32 s15, exec_lo
	v_cmpx_ne_u16_e32 0x80, v4
	s_cbranch_execz .LBB208_833
; %bb.828:                              ;   in Loop: Header=BB208_15 Depth=1
	v_and_b32_e32 v4, 0xffff, v4
	v_mov_b64_e32 v[94:95], 0x7f80000100000000
	s_mov_b32 s16, exec_lo
	s_delay_alu instid0(VALU_DEP_2) | instskip(NEXT) | instid1(VALU_DEP_1)
	v_and_b32_e32 v5, 0x7f, v4
	v_cmpx_ne_u32_e32 0x7f, v5
	s_cbranch_execz .LBB208_832
; %bb.829:                              ;   in Loop: Header=BB208_15 Depth=1
	v_dual_lshrrev_b32 v4, 3, v5 :: v_dual_bitop2_b32 v88, 7, v4 bitop3:0x40
	s_mov_b32 s17, exec_lo
	v_cmpx_gt_u32_e32 8, v5
; %bb.830:                              ;   in Loop: Header=BB208_15 Depth=1
	s_delay_alu instid0(VALU_DEP_2) | instskip(NEXT) | instid1(VALU_DEP_1)
	v_clz_i32_u32_e32 v4, v88
	v_min_u32_e32 v4, 32, v4
	s_delay_alu instid0(VALU_DEP_1) | instskip(SKIP_1) | instid1(VALU_DEP_2)
	v_subrev_nc_u32_e32 v5, 28, v4
	v_sub_nc_u32_e32 v4, 29, v4
	v_lshlrev_b64_e32 v[92:93], v5, v[88:89]
	s_delay_alu instid0(VALU_DEP_1)
	v_and_b32_e32 v88, 7, v92
; %bb.831:                              ;   in Loop: Header=BB208_15 Depth=1
	s_or_b32 exec_lo, exec_lo, s17
	s_delay_alu instid0(VALU_DEP_1) | instskip(SKIP_2) | instid1(VALU_DEP_3)
	v_dual_lshlrev_b32 v5, 16, v1 :: v_dual_lshlrev_b32 v10, 20, v88
	v_lshl_add_u32 v4, v4, 23, 0x3c000000
	v_mov_b32_e32 v94, v89
	v_and_b32_e32 v5, 0x80000000, v5
	s_delay_alu instid0(VALU_DEP_1)
	v_or3_b32 v95, v10, v5, v4
.LBB208_832:                            ;   in Loop: Header=BB208_15 Depth=1
	s_or_b32 exec_lo, exec_lo, s16
.LBB208_833:                            ;   in Loop: Header=BB208_15 Depth=1
	s_delay_alu instid0(SALU_CYCLE_1)
	s_or_b32 exec_lo, exec_lo, s15
.LBB208_834:                            ;   in Loop: Header=BB208_15 Depth=1
	s_delay_alu instid0(SALU_CYCLE_1) | instskip(SKIP_4) | instid1(VALU_DEP_3)
	s_or_b32 exec_lo, exec_lo, s14
	v_lshrrev_b32_e32 v4, 16, v1
	v_mov_b64_e32 v[106:107], 0
	v_mov_b64_e32 v[92:93], 0
	s_mov_b32 s14, exec_lo
	v_and_b32_e32 v5, 0xff, v4
	s_delay_alu instid0(VALU_DEP_1)
	v_cmpx_ne_u16_e32 0, v5
	s_cbranch_execz .LBB208_842
; %bb.835:                              ;   in Loop: Header=BB208_15 Depth=1
	v_mov_b64_e32 v[92:93], 0x80000000
	s_mov_b32 s15, exec_lo
	v_cmpx_ne_u16_e32 0x80, v5
	s_cbranch_execz .LBB208_841
; %bb.836:                              ;   in Loop: Header=BB208_15 Depth=1
	v_mov_b64_e32 v[92:93], 0x7f800001
	v_bfe_u32 v19, v1, 16, 7
	s_mov_b32 s16, exec_lo
	s_delay_alu instid0(VALU_DEP_1)
	v_cmpx_ne_u32_e32 0x7f, v19
	s_cbranch_execz .LBB208_840
; %bb.837:                              ;   in Loop: Header=BB208_15 Depth=1
	v_dual_lshrrev_b32 v5, 3, v19 :: v_dual_bitop2_b32 v88, 7, v4 bitop3:0x40
	s_mov_b32 s17, exec_lo
	v_cmpx_gt_u32_e32 8, v19
; %bb.838:                              ;   in Loop: Header=BB208_15 Depth=1
	s_delay_alu instid0(VALU_DEP_2) | instskip(NEXT) | instid1(VALU_DEP_1)
	v_clz_i32_u32_e32 v5, v88
	v_min_u32_e32 v5, 32, v5
	s_delay_alu instid0(VALU_DEP_1) | instskip(NEXT) | instid1(VALU_DEP_1)
	v_subrev_nc_u32_e32 v13, 28, v5
	v_lshlrev_b64_e32 v[92:93], v13, v[88:89]
	s_delay_alu instid0(VALU_DEP_1)
	v_dual_sub_nc_u32 v5, 29, v5 :: v_dual_bitop2_b32 v88, 7, v92 bitop3:0x40
; %bb.839:                              ;   in Loop: Header=BB208_15 Depth=1
	s_or_b32 exec_lo, exec_lo, s17
	v_lshlrev_b32_e32 v4, 24, v4
	s_delay_alu instid0(VALU_DEP_2) | instskip(NEXT) | instid1(VALU_DEP_3)
	v_lshlrev_b32_e32 v10, 20, v88
	v_lshl_add_u32 v5, v5, 23, 0x3c000000
	s_delay_alu instid0(VALU_DEP_3) | instskip(NEXT) | instid1(VALU_DEP_1)
	v_and_b32_e32 v4, 0x80000000, v4
	v_or3_b32 v88, v10, v4, v5
	s_delay_alu instid0(VALU_DEP_1)
	v_mov_b64_e32 v[92:93], v[88:89]
.LBB208_840:                            ;   in Loop: Header=BB208_15 Depth=1
	s_or_b32 exec_lo, exec_lo, s16
.LBB208_841:                            ;   in Loop: Header=BB208_15 Depth=1
	s_delay_alu instid0(SALU_CYCLE_1)
	s_or_b32 exec_lo, exec_lo, s15
.LBB208_842:                            ;   in Loop: Header=BB208_15 Depth=1
	s_delay_alu instid0(SALU_CYCLE_1) | instskip(NEXT) | instid1(SALU_CYCLE_1)
	s_or_b32 exec_lo, exec_lo, s14
	s_mov_b32 s14, exec_lo
	v_cmpx_lt_u32_e32 0xffffff, v1
	s_cbranch_execz .LBB208_850
; %bb.843:                              ;   in Loop: Header=BB208_15 Depth=1
	v_mov_b64_e32 v[106:107], 0x8000000000000000
	v_lshrrev_b32_e32 v4, 24, v1
	s_mov_b32 s15, exec_lo
	s_delay_alu instid0(VALU_DEP_1)
	v_cmpx_ne_u32_e32 0x80, v4
	s_cbranch_execz .LBB208_849
; %bb.844:                              ;   in Loop: Header=BB208_15 Depth=1
	v_mov_b64_e32 v[106:107], 0x7f80000100000000
	v_bfe_u32 v5, v1, 24, 7
	s_mov_b32 s16, exec_lo
	s_delay_alu instid0(VALU_DEP_1)
	v_cmpx_ne_u32_e32 0x7f, v5
	s_cbranch_execz .LBB208_848
; %bb.845:                              ;   in Loop: Header=BB208_15 Depth=1
	v_dual_lshrrev_b32 v1, 3, v5 :: v_dual_bitop2_b32 v88, 7, v4 bitop3:0x40
	s_mov_b32 s17, exec_lo
	v_cmpx_gt_u32_e32 8, v5
; %bb.846:                              ;   in Loop: Header=BB208_15 Depth=1
	s_delay_alu instid0(VALU_DEP_2) | instskip(NEXT) | instid1(VALU_DEP_1)
	v_clz_i32_u32_e32 v1, v88
	v_min_u32_e32 v1, 32, v1
	s_delay_alu instid0(VALU_DEP_1) | instskip(NEXT) | instid1(VALU_DEP_1)
	v_subrev_nc_u32_e32 v5, 28, v1
	v_lshlrev_b64_e32 v[104:105], v5, v[88:89]
	s_delay_alu instid0(VALU_DEP_1)
	v_dual_sub_nc_u32 v1, 29, v1 :: v_dual_bitop2_b32 v88, 7, v104 bitop3:0x40
; %bb.847:                              ;   in Loop: Header=BB208_15 Depth=1
	s_or_b32 exec_lo, exec_lo, s17
	v_dual_lshlrev_b32 v4, 24, v4 :: v_dual_mov_b32 v106, v89
	s_delay_alu instid0(VALU_DEP_2) | instskip(NEXT) | instid1(VALU_DEP_3)
	v_lshlrev_b32_e32 v5, 20, v88
	v_lshl_add_u32 v1, v1, 23, 0x3c000000
	s_delay_alu instid0(VALU_DEP_3) | instskip(NEXT) | instid1(VALU_DEP_1)
	v_and_b32_e32 v4, 0x80000000, v4
	v_or3_b32 v107, v5, v4, v1
.LBB208_848:                            ;   in Loop: Header=BB208_15 Depth=1
	s_or_b32 exec_lo, exec_lo, s16
.LBB208_849:                            ;   in Loop: Header=BB208_15 Depth=1
	s_delay_alu instid0(SALU_CYCLE_1)
	s_or_b32 exec_lo, exec_lo, s15
.LBB208_850:                            ;   in Loop: Header=BB208_15 Depth=1
	s_delay_alu instid0(SALU_CYCLE_1)
	s_or_b32 exec_lo, exec_lo, s14
	flat_load_b32 v1, v[36:37] offset:3080
	v_mov_b64_e32 v[110:111], 0
	v_mov_b64_e32 v[104:105], 0
	s_mov_b32 s14, exec_lo
	s_wait_loadcnt_dscnt 0x0
	v_and_b32_e32 v4, 0xff, v1
	s_wait_xcnt 0x0
	s_delay_alu instid0(VALU_DEP_1)
	v_cmpx_ne_u16_e32 0, v4
	s_cbranch_execz .LBB208_858
; %bb.851:                              ;   in Loop: Header=BB208_15 Depth=1
	v_mov_b64_e32 v[104:105], 0x80000000
	s_mov_b32 s15, exec_lo
	v_cmpx_ne_u16_e32 0x80, v4
	s_cbranch_execz .LBB208_857
; %bb.852:                              ;   in Loop: Header=BB208_15 Depth=1
	v_mov_b64_e32 v[104:105], 0x7f800001
	v_and_b32_e32 v5, 0x7f, v1
	s_mov_b32 s16, exec_lo
	s_delay_alu instid0(VALU_DEP_1)
	v_cmpx_ne_u32_e32 0x7f, v5
	s_cbranch_execz .LBB208_856
; %bb.853:                              ;   in Loop: Header=BB208_15 Depth=1
	v_and_b32_e32 v88, 7, v1
	v_lshrrev_b32_e32 v4, 3, v5
	s_mov_b32 s17, exec_lo
	v_cmpx_gt_u32_e32 8, v5
; %bb.854:                              ;   in Loop: Header=BB208_15 Depth=1
	s_delay_alu instid0(VALU_DEP_3) | instskip(NEXT) | instid1(VALU_DEP_1)
	v_clz_i32_u32_e32 v4, v88
	v_min_u32_e32 v4, 32, v4
	s_delay_alu instid0(VALU_DEP_1) | instskip(SKIP_1) | instid1(VALU_DEP_2)
	v_subrev_nc_u32_e32 v5, 28, v4
	v_sub_nc_u32_e32 v4, 29, v4
	v_lshlrev_b64_e32 v[104:105], v5, v[88:89]
	s_delay_alu instid0(VALU_DEP_1)
	v_and_b32_e32 v88, 7, v104
; %bb.855:                              ;   in Loop: Header=BB208_15 Depth=1
	s_or_b32 exec_lo, exec_lo, s17
	s_delay_alu instid0(VALU_DEP_1) | instskip(SKIP_1) | instid1(VALU_DEP_2)
	v_dual_lshlrev_b32 v5, 24, v1 :: v_dual_lshlrev_b32 v10, 20, v88
	v_lshl_add_u32 v4, v4, 23, 0x3c000000
	v_and_b32_e32 v5, 0x80000000, v5
	s_delay_alu instid0(VALU_DEP_1) | instskip(NEXT) | instid1(VALU_DEP_1)
	v_or3_b32 v88, v10, v5, v4
	v_mov_b64_e32 v[104:105], v[88:89]
.LBB208_856:                            ;   in Loop: Header=BB208_15 Depth=1
	s_or_b32 exec_lo, exec_lo, s16
.LBB208_857:                            ;   in Loop: Header=BB208_15 Depth=1
	s_delay_alu instid0(SALU_CYCLE_1)
	s_or_b32 exec_lo, exec_lo, s15
.LBB208_858:                            ;   in Loop: Header=BB208_15 Depth=1
	s_delay_alu instid0(SALU_CYCLE_1) | instskip(SKIP_2) | instid1(VALU_DEP_1)
	s_or_b32 exec_lo, exec_lo, s14
	v_lshrrev_b16 v4, 8, v1
	s_mov_b32 s14, exec_lo
	v_cmpx_ne_u16_e32 0, v4
	s_cbranch_execz .LBB208_866
; %bb.859:                              ;   in Loop: Header=BB208_15 Depth=1
	v_mov_b64_e32 v[110:111], 0x8000000000000000
	s_mov_b32 s15, exec_lo
	v_cmpx_ne_u16_e32 0x80, v4
	s_cbranch_execz .LBB208_865
; %bb.860:                              ;   in Loop: Header=BB208_15 Depth=1
	v_and_b32_e32 v4, 0xffff, v4
	v_mov_b64_e32 v[110:111], 0x7f80000100000000
	s_mov_b32 s16, exec_lo
	s_delay_alu instid0(VALU_DEP_2) | instskip(NEXT) | instid1(VALU_DEP_1)
	v_and_b32_e32 v5, 0x7f, v4
	v_cmpx_ne_u32_e32 0x7f, v5
	s_cbranch_execz .LBB208_864
; %bb.861:                              ;   in Loop: Header=BB208_15 Depth=1
	v_dual_lshrrev_b32 v4, 3, v5 :: v_dual_bitop2_b32 v88, 7, v4 bitop3:0x40
	s_mov_b32 s17, exec_lo
	v_cmpx_gt_u32_e32 8, v5
; %bb.862:                              ;   in Loop: Header=BB208_15 Depth=1
	s_delay_alu instid0(VALU_DEP_2) | instskip(NEXT) | instid1(VALU_DEP_1)
	v_clz_i32_u32_e32 v4, v88
	v_min_u32_e32 v4, 32, v4
	s_delay_alu instid0(VALU_DEP_1) | instskip(SKIP_1) | instid1(VALU_DEP_2)
	v_subrev_nc_u32_e32 v5, 28, v4
	v_sub_nc_u32_e32 v4, 29, v4
	v_lshlrev_b64_e32 v[108:109], v5, v[88:89]
	s_delay_alu instid0(VALU_DEP_1)
	v_and_b32_e32 v88, 7, v108
; %bb.863:                              ;   in Loop: Header=BB208_15 Depth=1
	s_or_b32 exec_lo, exec_lo, s17
	s_delay_alu instid0(VALU_DEP_1) | instskip(SKIP_2) | instid1(VALU_DEP_3)
	v_dual_lshlrev_b32 v5, 16, v1 :: v_dual_lshlrev_b32 v10, 20, v88
	v_lshl_add_u32 v4, v4, 23, 0x3c000000
	v_mov_b32_e32 v110, v89
	v_and_b32_e32 v5, 0x80000000, v5
	s_delay_alu instid0(VALU_DEP_1)
	v_or3_b32 v111, v10, v5, v4
.LBB208_864:                            ;   in Loop: Header=BB208_15 Depth=1
	s_or_b32 exec_lo, exec_lo, s16
.LBB208_865:                            ;   in Loop: Header=BB208_15 Depth=1
	s_delay_alu instid0(SALU_CYCLE_1)
	s_or_b32 exec_lo, exec_lo, s15
.LBB208_866:                            ;   in Loop: Header=BB208_15 Depth=1
	s_delay_alu instid0(SALU_CYCLE_1) | instskip(SKIP_4) | instid1(VALU_DEP_3)
	s_or_b32 exec_lo, exec_lo, s14
	v_lshrrev_b32_e32 v4, 16, v1
	v_mov_b64_e32 v[108:109], 0
	v_mov_b64_e32 v[126:127], 0
	s_mov_b32 s14, exec_lo
	v_and_b32_e32 v5, 0xff, v4
	s_delay_alu instid0(VALU_DEP_1)
	v_cmpx_ne_u16_e32 0, v5
	s_cbranch_execz .LBB208_874
; %bb.867:                              ;   in Loop: Header=BB208_15 Depth=1
	v_mov_b64_e32 v[126:127], 0x80000000
	s_mov_b32 s15, exec_lo
	v_cmpx_ne_u16_e32 0x80, v5
	s_cbranch_execz .LBB208_873
; %bb.868:                              ;   in Loop: Header=BB208_15 Depth=1
	v_mov_b64_e32 v[126:127], 0x7f800001
	v_bfe_u32 v19, v1, 16, 7
	s_mov_b32 s16, exec_lo
	s_delay_alu instid0(VALU_DEP_1)
	v_cmpx_ne_u32_e32 0x7f, v19
	s_cbranch_execz .LBB208_872
; %bb.869:                              ;   in Loop: Header=BB208_15 Depth=1
	v_dual_lshrrev_b32 v5, 3, v19 :: v_dual_bitop2_b32 v88, 7, v4 bitop3:0x40
	s_mov_b32 s17, exec_lo
	v_cmpx_gt_u32_e32 8, v19
; %bb.870:                              ;   in Loop: Header=BB208_15 Depth=1
	s_delay_alu instid0(VALU_DEP_2) | instskip(NEXT) | instid1(VALU_DEP_1)
	v_clz_i32_u32_e32 v5, v88
	v_min_u32_e32 v5, 32, v5
	s_delay_alu instid0(VALU_DEP_1) | instskip(NEXT) | instid1(VALU_DEP_1)
	v_subrev_nc_u32_e32 v13, 28, v5
	v_lshlrev_b64_e32 v[120:121], v13, v[88:89]
	s_delay_alu instid0(VALU_DEP_1)
	v_dual_sub_nc_u32 v5, 29, v5 :: v_dual_bitop2_b32 v88, 7, v120 bitop3:0x40
; %bb.871:                              ;   in Loop: Header=BB208_15 Depth=1
	s_or_b32 exec_lo, exec_lo, s17
	v_lshlrev_b32_e32 v4, 24, v4
	s_delay_alu instid0(VALU_DEP_2) | instskip(NEXT) | instid1(VALU_DEP_3)
	v_lshlrev_b32_e32 v10, 20, v88
	v_lshl_add_u32 v5, v5, 23, 0x3c000000
	s_delay_alu instid0(VALU_DEP_3) | instskip(NEXT) | instid1(VALU_DEP_1)
	v_and_b32_e32 v4, 0x80000000, v4
	v_or3_b32 v88, v10, v4, v5
	s_delay_alu instid0(VALU_DEP_1)
	v_mov_b64_e32 v[126:127], v[88:89]
.LBB208_872:                            ;   in Loop: Header=BB208_15 Depth=1
	s_or_b32 exec_lo, exec_lo, s16
.LBB208_873:                            ;   in Loop: Header=BB208_15 Depth=1
	s_delay_alu instid0(SALU_CYCLE_1)
	s_or_b32 exec_lo, exec_lo, s15
.LBB208_874:                            ;   in Loop: Header=BB208_15 Depth=1
	s_delay_alu instid0(SALU_CYCLE_1) | instskip(NEXT) | instid1(SALU_CYCLE_1)
	s_or_b32 exec_lo, exec_lo, s14
	s_mov_b32 s14, exec_lo
	v_cmpx_lt_u32_e32 0xffffff, v1
	s_cbranch_execz .LBB208_882
; %bb.875:                              ;   in Loop: Header=BB208_15 Depth=1
	v_mov_b64_e32 v[108:109], 0x8000000000000000
	v_lshrrev_b32_e32 v4, 24, v1
	s_mov_b32 s15, exec_lo
	s_delay_alu instid0(VALU_DEP_1)
	v_cmpx_ne_u32_e32 0x80, v4
	s_cbranch_execz .LBB208_881
; %bb.876:                              ;   in Loop: Header=BB208_15 Depth=1
	v_mov_b64_e32 v[108:109], 0x7f80000100000000
	v_bfe_u32 v5, v1, 24, 7
	s_mov_b32 s16, exec_lo
	s_delay_alu instid0(VALU_DEP_1)
	v_cmpx_ne_u32_e32 0x7f, v5
	s_cbranch_execz .LBB208_880
; %bb.877:                              ;   in Loop: Header=BB208_15 Depth=1
	v_dual_lshrrev_b32 v1, 3, v5 :: v_dual_bitop2_b32 v88, 7, v4 bitop3:0x40
	s_mov_b32 s17, exec_lo
	v_cmpx_gt_u32_e32 8, v5
; %bb.878:                              ;   in Loop: Header=BB208_15 Depth=1
	s_delay_alu instid0(VALU_DEP_2) | instskip(NEXT) | instid1(VALU_DEP_1)
	v_clz_i32_u32_e32 v1, v88
	v_min_u32_e32 v1, 32, v1
	s_delay_alu instid0(VALU_DEP_1) | instskip(NEXT) | instid1(VALU_DEP_1)
	v_subrev_nc_u32_e32 v5, 28, v1
	v_lshlrev_b64_e32 v[108:109], v5, v[88:89]
	s_delay_alu instid0(VALU_DEP_1)
	v_dual_sub_nc_u32 v1, 29, v1 :: v_dual_bitop2_b32 v88, 7, v108 bitop3:0x40
; %bb.879:                              ;   in Loop: Header=BB208_15 Depth=1
	s_or_b32 exec_lo, exec_lo, s17
	v_dual_lshlrev_b32 v4, 24, v4 :: v_dual_mov_b32 v108, v89
	s_delay_alu instid0(VALU_DEP_2) | instskip(NEXT) | instid1(VALU_DEP_3)
	v_lshlrev_b32_e32 v5, 20, v88
	v_lshl_add_u32 v1, v1, 23, 0x3c000000
	s_delay_alu instid0(VALU_DEP_3) | instskip(NEXT) | instid1(VALU_DEP_1)
	v_and_b32_e32 v4, 0x80000000, v4
	v_or3_b32 v109, v5, v4, v1
.LBB208_880:                            ;   in Loop: Header=BB208_15 Depth=1
	s_or_b32 exec_lo, exec_lo, s16
.LBB208_881:                            ;   in Loop: Header=BB208_15 Depth=1
	s_delay_alu instid0(SALU_CYCLE_1)
	s_or_b32 exec_lo, exec_lo, s15
.LBB208_882:                            ;   in Loop: Header=BB208_15 Depth=1
	s_delay_alu instid0(SALU_CYCLE_1)
	s_or_b32 exec_lo, exec_lo, s14
	flat_load_b32 v1, v[36:37] offset:3084
	s_wait_xcnt 0x0
	v_mov_b64_e32 v[36:37], 0
	v_mov_b64_e32 v[122:123], 0
	s_mov_b32 s14, exec_lo
	s_wait_loadcnt_dscnt 0x0
	v_and_b32_e32 v4, 0xff, v1
	s_delay_alu instid0(VALU_DEP_1)
	v_cmpx_ne_u16_e32 0, v4
	s_cbranch_execz .LBB208_890
; %bb.883:                              ;   in Loop: Header=BB208_15 Depth=1
	v_mov_b64_e32 v[122:123], 0x80000000
	s_mov_b32 s15, exec_lo
	v_cmpx_ne_u16_e32 0x80, v4
	s_cbranch_execz .LBB208_889
; %bb.884:                              ;   in Loop: Header=BB208_15 Depth=1
	v_mov_b64_e32 v[122:123], 0x7f800001
	v_and_b32_e32 v5, 0x7f, v1
	s_mov_b32 s16, exec_lo
	s_delay_alu instid0(VALU_DEP_1)
	v_cmpx_ne_u32_e32 0x7f, v5
	s_cbranch_execz .LBB208_888
; %bb.885:                              ;   in Loop: Header=BB208_15 Depth=1
	v_and_b32_e32 v88, 7, v1
	v_lshrrev_b32_e32 v4, 3, v5
	s_mov_b32 s17, exec_lo
	v_cmpx_gt_u32_e32 8, v5
; %bb.886:                              ;   in Loop: Header=BB208_15 Depth=1
	s_delay_alu instid0(VALU_DEP_3) | instskip(NEXT) | instid1(VALU_DEP_1)
	v_clz_i32_u32_e32 v4, v88
	v_min_u32_e32 v4, 32, v4
	s_delay_alu instid0(VALU_DEP_1) | instskip(SKIP_1) | instid1(VALU_DEP_2)
	v_subrev_nc_u32_e32 v5, 28, v4
	v_sub_nc_u32_e32 v4, 29, v4
	v_lshlrev_b64_e32 v[120:121], v5, v[88:89]
	s_delay_alu instid0(VALU_DEP_1)
	v_and_b32_e32 v88, 7, v120
; %bb.887:                              ;   in Loop: Header=BB208_15 Depth=1
	s_or_b32 exec_lo, exec_lo, s17
	s_delay_alu instid0(VALU_DEP_1) | instskip(SKIP_1) | instid1(VALU_DEP_2)
	v_dual_lshlrev_b32 v5, 24, v1 :: v_dual_lshlrev_b32 v10, 20, v88
	v_lshl_add_u32 v4, v4, 23, 0x3c000000
	v_and_b32_e32 v5, 0x80000000, v5
	s_delay_alu instid0(VALU_DEP_1) | instskip(NEXT) | instid1(VALU_DEP_1)
	v_or3_b32 v88, v10, v5, v4
	v_mov_b64_e32 v[122:123], v[88:89]
.LBB208_888:                            ;   in Loop: Header=BB208_15 Depth=1
	s_or_b32 exec_lo, exec_lo, s16
.LBB208_889:                            ;   in Loop: Header=BB208_15 Depth=1
	s_delay_alu instid0(SALU_CYCLE_1)
	s_or_b32 exec_lo, exec_lo, s15
.LBB208_890:                            ;   in Loop: Header=BB208_15 Depth=1
	s_delay_alu instid0(SALU_CYCLE_1) | instskip(SKIP_2) | instid1(VALU_DEP_1)
	s_or_b32 exec_lo, exec_lo, s14
	v_lshrrev_b16 v4, 8, v1
	s_mov_b32 s14, exec_lo
	v_cmpx_ne_u16_e32 0, v4
	s_cbranch_execz .LBB208_898
; %bb.891:                              ;   in Loop: Header=BB208_15 Depth=1
	v_mov_b64_e32 v[36:37], 0x8000000000000000
	s_mov_b32 s15, exec_lo
	v_cmpx_ne_u16_e32 0x80, v4
	s_cbranch_execz .LBB208_897
; %bb.892:                              ;   in Loop: Header=BB208_15 Depth=1
	v_and_b32_e32 v4, 0xffff, v4
	v_mov_b64_e32 v[36:37], 0x7f80000100000000
	s_mov_b32 s16, exec_lo
	s_delay_alu instid0(VALU_DEP_2) | instskip(NEXT) | instid1(VALU_DEP_1)
	v_and_b32_e32 v5, 0x7f, v4
	v_cmpx_ne_u32_e32 0x7f, v5
	s_cbranch_execz .LBB208_896
; %bb.893:                              ;   in Loop: Header=BB208_15 Depth=1
	v_dual_lshrrev_b32 v4, 3, v5 :: v_dual_bitop2_b32 v88, 7, v4 bitop3:0x40
	s_mov_b32 s17, exec_lo
	v_cmpx_gt_u32_e32 8, v5
; %bb.894:                              ;   in Loop: Header=BB208_15 Depth=1
	s_delay_alu instid0(VALU_DEP_2) | instskip(NEXT) | instid1(VALU_DEP_1)
	v_clz_i32_u32_e32 v4, v88
	v_min_u32_e32 v4, 32, v4
	s_delay_alu instid0(VALU_DEP_1) | instskip(SKIP_1) | instid1(VALU_DEP_2)
	v_subrev_nc_u32_e32 v5, 28, v4
	v_sub_nc_u32_e32 v4, 29, v4
	v_lshlrev_b64_e32 v[36:37], v5, v[88:89]
	s_delay_alu instid0(VALU_DEP_1)
	v_and_b32_e32 v88, 7, v36
; %bb.895:                              ;   in Loop: Header=BB208_15 Depth=1
	s_or_b32 exec_lo, exec_lo, s17
	s_delay_alu instid0(VALU_DEP_1) | instskip(SKIP_2) | instid1(VALU_DEP_3)
	v_dual_lshlrev_b32 v5, 16, v1 :: v_dual_lshlrev_b32 v10, 20, v88
	v_lshl_add_u32 v4, v4, 23, 0x3c000000
	v_mov_b32_e32 v36, v89
	v_and_b32_e32 v5, 0x80000000, v5
	s_delay_alu instid0(VALU_DEP_1)
	v_or3_b32 v37, v10, v5, v4
.LBB208_896:                            ;   in Loop: Header=BB208_15 Depth=1
	s_or_b32 exec_lo, exec_lo, s16
.LBB208_897:                            ;   in Loop: Header=BB208_15 Depth=1
	s_delay_alu instid0(SALU_CYCLE_1)
	s_or_b32 exec_lo, exec_lo, s15
.LBB208_898:                            ;   in Loop: Header=BB208_15 Depth=1
	s_delay_alu instid0(SALU_CYCLE_1) | instskip(SKIP_4) | instid1(VALU_DEP_3)
	s_or_b32 exec_lo, exec_lo, s14
	v_lshrrev_b32_e32 v19, 16, v1
	v_mov_b64_e32 v[120:121], 0
	v_mov_b64_e32 v[4:5], 0
	s_mov_b32 s14, exec_lo
	v_and_b32_e32 v10, 0xff, v19
	s_delay_alu instid0(VALU_DEP_1)
	v_cmpx_ne_u16_e32 0, v10
	s_cbranch_execz .LBB208_906
; %bb.899:                              ;   in Loop: Header=BB208_15 Depth=1
	v_mov_b64_e32 v[4:5], 0x80000000
	s_mov_b32 s15, exec_lo
	v_cmpx_ne_u16_e32 0x80, v10
	s_cbranch_execz .LBB208_905
; %bb.900:                              ;   in Loop: Header=BB208_15 Depth=1
	v_mov_b64_e32 v[4:5], 0x7f800001
	v_bfe_u32 v13, v1, 16, 7
	s_mov_b32 s16, exec_lo
	s_delay_alu instid0(VALU_DEP_1)
	v_cmpx_ne_u32_e32 0x7f, v13
	s_cbranch_execz .LBB208_904
; %bb.901:                              ;   in Loop: Header=BB208_15 Depth=1
	v_dual_lshrrev_b32 v4, 3, v13 :: v_dual_bitop2_b32 v88, 7, v19 bitop3:0x40
	s_mov_b32 s17, exec_lo
	v_cmpx_gt_u32_e32 8, v13
	s_cbranch_execz .LBB208_903
; %bb.902:                              ;   in Loop: Header=BB208_15 Depth=1
	s_delay_alu instid0(VALU_DEP_2) | instskip(SKIP_1) | instid1(VALU_DEP_2)
	v_clz_i32_u32_e32 v4, v88
	v_mov_b64_e32 v[10:11], v[124:125]
	v_min_u32_e32 v4, 32, v4
	s_delay_alu instid0(VALU_DEP_1) | instskip(SKIP_1) | instid1(VALU_DEP_2)
	v_subrev_nc_u32_e32 v5, 28, v4
	v_sub_nc_u32_e32 v4, 29, v4
	v_lshlrev_b64_e32 v[124:125], v5, v[88:89]
	s_delay_alu instid0(VALU_DEP_1)
	v_and_b32_e32 v88, 7, v124
	v_mov_b64_e32 v[124:125], v[10:11]
.LBB208_903:                            ;   in Loop: Header=BB208_15 Depth=1
	s_or_b32 exec_lo, exec_lo, s17
	s_delay_alu instid0(VALU_DEP_2) | instskip(SKIP_1) | instid1(VALU_DEP_2)
	v_dual_lshlrev_b32 v5, 24, v19 :: v_dual_lshlrev_b32 v10, 20, v88
	v_lshl_add_u32 v4, v4, 23, 0x3c000000
	v_and_b32_e32 v5, 0x80000000, v5
	s_delay_alu instid0(VALU_DEP_1) | instskip(NEXT) | instid1(VALU_DEP_1)
	v_or3_b32 v88, v10, v5, v4
	v_mov_b64_e32 v[4:5], v[88:89]
.LBB208_904:                            ;   in Loop: Header=BB208_15 Depth=1
	s_or_b32 exec_lo, exec_lo, s16
.LBB208_905:                            ;   in Loop: Header=BB208_15 Depth=1
	s_delay_alu instid0(SALU_CYCLE_1)
	s_or_b32 exec_lo, exec_lo, s15
.LBB208_906:                            ;   in Loop: Header=BB208_15 Depth=1
	s_delay_alu instid0(SALU_CYCLE_1) | instskip(NEXT) | instid1(SALU_CYCLE_1)
	s_or_b32 exec_lo, exec_lo, s14
	s_mov_b32 s14, exec_lo
	scratch_store_b32 off, v12, s32 offset:716 ; 4-byte Folded Spill
	s_wait_xcnt 0x0
	v_cmpx_lt_u32_e32 0xffffff, v1
	s_cbranch_execz .LBB208_13
; %bb.907:                              ;   in Loop: Header=BB208_15 Depth=1
	v_mov_b64_e32 v[120:121], 0x8000000000000000
	v_lshrrev_b32_e32 v19, 24, v1
	s_mov_b32 s15, exec_lo
	s_delay_alu instid0(VALU_DEP_1)
	v_cmpx_ne_u32_e32 0x80, v19
	s_cbranch_execz .LBB208_12
; %bb.908:                              ;   in Loop: Header=BB208_15 Depth=1
	v_mov_b64_e32 v[120:121], 0x7f80000100000000
	v_bfe_u32 v13, v1, 24, 7
	s_mov_b32 s16, exec_lo
	s_delay_alu instid0(VALU_DEP_1)
	v_cmpx_ne_u32_e32 0x7f, v13
	s_cbranch_execz .LBB208_11
; %bb.909:                              ;   in Loop: Header=BB208_15 Depth=1
	v_dual_lshrrev_b32 v1, 3, v13 :: v_dual_bitop2_b32 v88, 7, v19 bitop3:0x40
	s_mov_b32 s17, exec_lo
	v_cmpx_gt_u32_e32 8, v13
	s_cbranch_execz .LBB208_10
; %bb.910:                              ;   in Loop: Header=BB208_15 Depth=1
	s_delay_alu instid0(VALU_DEP_2) | instskip(NEXT) | instid1(VALU_DEP_1)
	v_clz_i32_u32_e32 v1, v88
	v_min_u32_e32 v1, 32, v1
	s_delay_alu instid0(VALU_DEP_1) | instskip(NEXT) | instid1(VALU_DEP_1)
	v_subrev_nc_u32_e32 v13, 28, v1
	v_lshlrev_b64_e32 v[120:121], v13, v[88:89]
	s_delay_alu instid0(VALU_DEP_1)
	v_dual_sub_nc_u32 v1, 29, v1 :: v_dual_bitop2_b32 v88, 7, v120 bitop3:0x40
	s_branch .LBB208_10
.LBB208_911:
	s_or_b32 exec_lo, exec_lo, s9
	s_clause 0x3
	scratch_load_b64 v[20:21], off, s32 offset:1264
	scratch_load_b32 v13, off, s32 offset:1272
	scratch_load_b64 v[22:23], off, s32 offset:1276
	scratch_load_b32 v7, off, s32 offset:1284
.LBB208_912:
	s_wait_xcnt 0x0
	s_or_b32 exec_lo, exec_lo, s3
	v_mbcnt_lo_u32_b32 v2, -1, 0
	s_delay_alu instid0(VALU_DEP_1) | instskip(SKIP_1) | instid1(VALU_DEP_2)
	v_dual_max_num_f32 v4, v8, v8 :: v_dual_bitop2_b32 v0, 16, v2 bitop3:0x14
	v_xor_b32_e32 v3, 8, v2
	v_cmp_gt_i32_e32 vcc_lo, 32, v0
	v_cndmask_b32_e32 v0, v2, v0, vcc_lo
	s_delay_alu instid0(VALU_DEP_3) | instskip(NEXT) | instid1(VALU_DEP_2)
	v_cmp_gt_i32_e32 vcc_lo, 32, v3
	v_dual_cndmask_b32 v3, v2, v3 :: v_dual_lshlrev_b32 v0, 2, v0
	ds_bpermute_b32 v1, v0, v8
	s_wait_dscnt 0x0
	v_dual_max_num_f32 v5, v1, v1 :: v_dual_lshlrev_b32 v1, 2, v3
	s_delay_alu instid0(VALU_DEP_1) | instskip(SKIP_4) | instid1(VALU_DEP_1)
	v_dual_max_num_f32 v3, v4, v5 :: v_dual_bitop2_b32 v5, 4, v2 bitop3:0x14
	ds_bpermute_b32 v4, v1, v3
	v_cmp_gt_i32_e32 vcc_lo, 32, v5
	s_wait_dscnt 0x0
	v_dual_cndmask_b32 v5, v2, v5 :: v_dual_max_num_f32 v4, v4, v4
	v_dual_max_num_f32 v3, v3, v4 :: v_dual_lshlrev_b32 v38, 2, v5
	ds_bpermute_b32 v4, v38, v3
	s_wait_dscnt 0x0
	v_dual_max_num_f32 v4, v4, v4 :: v_dual_bitop2_b32 v5, 2, v2 bitop3:0x14
	s_delay_alu instid0(VALU_DEP_1) | instskip(NEXT) | instid1(VALU_DEP_2)
	v_cmp_gt_i32_e32 vcc_lo, 32, v5
	v_dual_max_num_f32 v3, v3, v4 :: v_dual_cndmask_b32 v5, v2, v5, vcc_lo
	s_delay_alu instid0(VALU_DEP_1) | instskip(SKIP_4) | instid1(VALU_DEP_1)
	v_dual_lshlrev_b32 v65, 2, v5 :: v_dual_bitop2_b32 v5, 1, v2 bitop3:0x14
	ds_bpermute_b32 v4, v65, v3
	v_cmp_gt_i32_e32 vcc_lo, 32, v5
	v_cndmask_b32_e32 v5, v2, v5, vcc_lo
	s_wait_dscnt 0x0
	v_dual_max_num_f32 v4, v4, v4 :: v_dual_lshlrev_b32 v85, 2, v5
	s_delay_alu instid0(VALU_DEP_1)
	v_max_num_f32_e32 v2, v3, v4
	scratch_load_b32 v3, off, s32 offset:736 ; 4-byte Folded Reload
	ds_bpermute_b32 v4, v85, v2
	s_wait_loadcnt 0x0
	v_cmp_eq_u32_e32 vcc_lo, 0, v3
	scratch_load_b32 v3, off, s32 offset:1228 ; 4-byte Folded Reload
	s_wait_loadcnt 0x0
	v_lshlrev_b32_e32 v3, 2, v3
	s_wait_xcnt 0x0
	s_and_saveexec_b32 s1, vcc_lo
	s_cbranch_execz .LBB208_914
; %bb.913:
	s_wait_dscnt 0x0
	v_dual_max_num_f32 v4, v4, v4 :: v_dual_max_num_f32 v2, v2, v2
	s_delay_alu instid0(VALU_DEP_1)
	v_max_num_f32_e32 v2, v2, v4
	ds_store_b32 v3, v2 offset:448
.LBB208_914:
	s_or_b32 exec_lo, exec_lo, s1
	scratch_load_b32 v2, off, s32 offset:736 ; 4-byte Folded Reload
	s_wait_storecnt 0x0
	s_wait_loadcnt_dscnt 0x0
	s_barrier_signal -1
	s_barrier_wait -1
	v_cmp_gt_u32_e64 s1, 4, v2
	v_mov_b32_e32 v2, 0xff7fffff
	s_and_saveexec_b32 s2, s1
; %bb.915:
	ds_load_b32 v2, v7 offset:448
; %bb.916:
	s_or_b32 exec_lo, exec_lo, s2
	s_wait_dscnt 0x0
	ds_bpermute_b32 v4, v65, v2
	v_max_num_f32_e32 v2, v2, v2
	s_clause 0x1
	scratch_load_b32 v6, off, s32 offset:740
	scratch_load_b64 v[8:9], off, s32 offset:192
	s_wait_dscnt 0x0
	v_max_num_f32_e32 v4, v4, v4
	s_delay_alu instid0(VALU_DEP_1) | instskip(SKIP_3) | instid1(VALU_DEP_1)
	v_max_num_f32_e32 v2, v2, v4
	ds_bpermute_b32 v4, v85, v2
	s_wait_dscnt 0x0
	v_max_num_f32_e32 v4, v4, v4
	v_dual_max_num_f32 v2, v2, v4 :: v_dual_mov_b32 v4, 0
	ds_bpermute_b32 v5, v4, v2
	scratch_load_b32 v2, off, s32 offset:200 ; 4-byte Folded Reload
	s_wait_loadcnt 0x0
	v_lshlrev_b32_e32 v2, 5, v2
	s_delay_alu instid0(VALU_DEP_1) | instskip(NEXT) | instid1(VALU_DEP_1)
	v_min_i32_e32 v2, v2, v8
	v_cmp_lt_i32_e64 s2, v6, v2
	s_wait_kmcnt 0x0
	s_and_saveexec_b32 s8, s2
	s_cbranch_execz .LBB208_920
; %bb.917:
	v_dual_mov_b32 v9, v7 :: v_dual_mov_b32 v4, 0
	scratch_load_b32 v7, off, s32 offset:740 ; 4-byte Folded Reload
	s_load_b32 s3, s[6:7], 0x0
	s_mov_b32 s9, 0
	s_wait_loadcnt 0x0
	s_wait_kmcnt 0x0
	v_lshl_add_u32 v6, v7, 2, s3
.LBB208_918:                            ; =>This Inner Loop Header: Depth=1
	ds_load_b32 v8, v6
	v_add_nc_u32_e32 v7, 0x80, v7
	s_delay_alu instid0(VALU_DEP_1) | instskip(SKIP_3) | instid1(VALU_DEP_1)
	v_cmp_ge_i32_e64 s3, v7, v2
	s_or_b32 s9, s3, s9
	s_wait_dscnt 0x0
	v_sub_f32_e32 v8, v8, v5
	v_mul_f32_e32 v8, 0x3fb8aa3b, v8
	s_delay_alu instid0(VALU_DEP_1)
	v_exp_f32_e32 v8, v8
	ds_store_b32 v6, v8
	v_nop
	v_add_f32_e32 v4, v4, v8
	v_add_nc_u32_e32 v6, 0x200, v6
	s_and_not1_b32 exec_lo, exec_lo, s9
	s_cbranch_execnz .LBB208_918
; %bb.919:
	s_or_b32 exec_lo, exec_lo, s9
	v_mov_b32_e32 v7, v9
.LBB208_920:
	s_or_b32 exec_lo, exec_lo, s8
	ds_bpermute_b32 v0, v0, v4
	s_wait_dscnt 0x0
	v_add_f32_e32 v0, v4, v0
	ds_bpermute_b32 v1, v1, v0
	s_wait_dscnt 0x0
	v_add_f32_e32 v0, v0, v1
	ds_bpermute_b32 v1, v38, v0
	s_wait_dscnt 0x0
	v_add_f32_e32 v0, v0, v1
	ds_bpermute_b32 v1, v65, v0
	s_wait_dscnt 0x0
	v_add_f32_e32 v0, v0, v1
	ds_bpermute_b32 v1, v85, v0
	s_wait_dscnt 0x0
	v_add_f32_e32 v0, v0, v1
	s_and_saveexec_b32 s3, vcc_lo
; %bb.921:
	ds_store_b32 v3, v0 offset:464
; %bb.922:
	s_or_b32 exec_lo, exec_lo, s3
	s_wait_dscnt 0x0
	s_barrier_signal -1
	s_barrier_wait -1
	s_and_saveexec_b32 s3, s1
; %bb.923:
	ds_load_b32 v0, v7 offset:464
; %bb.924:
	s_or_b32 exec_lo, exec_lo, s3
	s_wait_dscnt 0x0
	ds_bpermute_b32 v1, v65, v0
	s_wait_dscnt 0x0
	v_dual_mov_b32 v55, 0 :: v_dual_add_f32 v0, v0, v1
	ds_bpermute_b32 v1, v85, v0
	s_wait_dscnt 0x0
	v_add_f32_e32 v0, v0, v1
	ds_bpermute_b32 v0, v55, v0
	s_and_saveexec_b32 s1, s2
	s_cbranch_execz .LBB208_937
; %bb.925:
	s_wait_dscnt 0x0
	v_add_f32_e32 v0, 0x358637bd, v0
	s_mov_b32 s3, -1
	s_mov_b32 s2, exec_lo
	s_delay_alu instid0(VALU_DEP_1) | instskip(SKIP_1) | instid1(VALU_DEP_2)
	v_div_scale_f32 v1, null, v0, v0, 1.0
	v_div_scale_f32 v5, vcc_lo, 1.0, v0, 1.0
	v_rcp_f32_e32 v4, v1
	v_nop
	s_delay_alu instid0(TRANS32_DEP_1) | instskip(NEXT) | instid1(VALU_DEP_1)
	v_fma_f32 v3, -v1, v4, 1.0
	v_fmac_f32_e32 v4, v3, v4
	s_delay_alu instid0(VALU_DEP_1) | instskip(NEXT) | instid1(VALU_DEP_1)
	v_mul_f32_e32 v6, v5, v4
	v_fma_f32 v3, -v1, v6, v5
	s_delay_alu instid0(VALU_DEP_1) | instskip(NEXT) | instid1(VALU_DEP_1)
	v_fmac_f32_e32 v6, v3, v4
	v_fma_f32 v1, -v1, v6, v5
	scratch_load_b32 v5, off, s32 offset:740 ; 4-byte Folded Reload
	v_div_fmas_f32 v1, v1, v4, v6
	s_delay_alu instid0(VALU_DEP_1) | instskip(SKIP_3) | instid1(VALU_DEP_2)
	v_div_fixup_f32 v0, v1, v0, 1.0
	s_wait_loadcnt 0x0
	v_xad_u32 v3, v5, -1, v2
	v_mov_b32_e32 v1, v5
	v_cmpx_lt_u32_e32 0x7f, v3
	s_cbranch_execz .LBB208_934
; %bb.926:
	v_dual_lshrrev_b32 v3, 7, v3 :: v_dual_mov_b32 v1, v0
	s_delay_alu instid0(VALU_DEP_1) | instskip(NEXT) | instid1(VALU_DEP_1)
	v_dual_mov_b32 v7, 0 :: v_dual_add_nc_u32 v4, -1, v3
	v_lshrrev_b32_e32 v5, 1, v4
	v_cmp_lt_u32_e32 vcc_lo, 13, v4
	s_delay_alu instid0(VALU_DEP_2)
	v_add_nc_u32_e32 v4, 1, v5
	s_and_saveexec_b32 s3, vcc_lo
	s_cbranch_execz .LBB208_930
; %bb.927:
	scratch_load_b32 v6, off, s32 offset:740 ; 4-byte Folded Reload
	s_load_b32 s8, s[6:7], 0x0
	v_mov_b64_e32 v[28:29], v[22:23]
	v_mov_b64_e32 v[26:27], v[20:21]
	v_and_b32_e32 v5, -8, v4
	s_mov_b32 s9, 0
	s_wait_loadcnt 0x0
	s_wait_kmcnt 0x0
	v_lshl_add_u32 v6, v6, 2, s8
	s_mov_b32 s8, 0
.LBB208_928:                            ; =>This Inner Loop Header: Depth=1
	ds_load_2addr_stride64_b32 v[8:9], v6 offset1:2
	ds_load_2addr_stride64_b32 v[10:11], v6 offset0:4 offset1:6
	ds_load_2addr_stride64_b32 v[14:15], v6 offset0:8 offset1:10
	;; [unrolled: 1-line block ×7, first 2 shown]
	s_add_co_i32 s9, s9, 16
	s_delay_alu instid0(SALU_CYCLE_1) | instskip(NEXT) | instid1(VALU_DEP_1)
	v_dual_add_nc_u32 v5, -8, v5 :: v_dual_mov_b32 v7, s9
	v_cmp_eq_u32_e32 vcc_lo, 0, v5
	s_or_b32 s8, vcc_lo, s8
	s_wait_dscnt 0x7
	v_pk_mul_f32 v[8:9], v[0:1], v[8:9]
	s_wait_dscnt 0x6
	v_pk_mul_f32 v[10:11], v[0:1], v[10:11]
	;; [unrolled: 2-line block ×8, first 2 shown]
	ds_store_2addr_stride64_b32 v6, v8, v9 offset1:2
	ds_store_2addr_stride64_b32 v6, v10, v11 offset0:4 offset1:6
	ds_store_2addr_stride64_b32 v6, v14, v15 offset0:8 offset1:10
	;; [unrolled: 1-line block ×7, first 2 shown]
	v_add_nc_u32_e32 v6, 0x2000, v6
	s_and_not1_b32 exec_lo, exec_lo, s8
	s_cbranch_execnz .LBB208_928
; %bb.929:
	s_or_b32 exec_lo, exec_lo, s8
	v_mov_b64_e32 v[20:21], v[26:27]
	v_mov_b64_e32 v[22:23], v[28:29]
.LBB208_930:
	s_or_b32 exec_lo, exec_lo, s3
	s_delay_alu instid0(VALU_DEP_1) | instskip(SKIP_2) | instid1(VALU_DEP_1)
	v_and_b32_e32 v4, 7, v4
	s_mov_b32 s8, 0
	s_mov_b32 s3, exec_lo
	v_cmpx_ne_u32_e32 0, v4
	s_cbranch_execz .LBB208_933
; %bb.931:
	scratch_load_b32 v6, off, s32 offset:740 ; 4-byte Folded Reload
	s_load_b32 s9, s[6:7], 0x0
	s_wait_loadcnt 0x0
	v_dual_lshlrev_b32 v5, 9, v7 :: v_dual_lshlrev_b32 v6, 2, v6
	s_wait_kmcnt 0x0
	s_delay_alu instid0(VALU_DEP_1)
	v_add3_u32 v5, v5, v6, s9
.LBB208_932:                            ; =>This Inner Loop Header: Depth=1
	ds_load_2addr_stride64_b32 v[6:7], v5 offset1:2
	v_add_nc_u32_e32 v4, -1, v4
	s_delay_alu instid0(VALU_DEP_1)
	v_cmp_eq_u32_e32 vcc_lo, 0, v4
	s_or_b32 s8, vcc_lo, s8
	s_wait_dscnt 0x0
	v_pk_mul_f32 v[6:7], v[0:1], v[6:7]
	ds_store_2addr_stride64_b32 v5, v6, v7 offset1:2
	v_add_nc_u32_e32 v5, 0x400, v5
	s_and_not1_b32 exec_lo, exec_lo, s8
	s_cbranch_execnz .LBB208_932
.LBB208_933:
	s_or_b32 exec_lo, exec_lo, s3
	v_add_nc_u32_e32 v1, 1, v3
	s_delay_alu instid0(VALU_DEP_1) | instskip(NEXT) | instid1(VALU_DEP_1)
	v_and_b32_e32 v3, 0x3fffffe, v1
	v_cmp_ne_u32_e32 vcc_lo, v1, v3
	scratch_load_b32 v1, off, s32 offset:740 ; 4-byte Folded Reload
	s_or_not1_b32 s3, vcc_lo, exec_lo
	s_wait_loadcnt 0x0
	v_lshl_add_u32 v1, v3, 7, v1
.LBB208_934:
	s_or_b32 exec_lo, exec_lo, s2
	s_delay_alu instid0(SALU_CYCLE_1)
	s_and_b32 exec_lo, exec_lo, s3
	s_cbranch_execz .LBB208_937
; %bb.935:
	s_load_b32 s2, s[6:7], 0x0
	s_wait_kmcnt 0x0
	v_lshl_add_u32 v3, v1, 2, s2
	s_mov_b32 s2, 0
.LBB208_936:                            ; =>This Inner Loop Header: Depth=1
	ds_load_b32 v4, v3
	s_wait_dscnt 0x0
	v_dual_mul_f32 v4, v0, v4 :: v_dual_add_nc_u32 v1, 0x80, v1
	s_delay_alu instid0(VALU_DEP_1) | instskip(SKIP_3) | instid1(SALU_CYCLE_1)
	v_cmp_ge_i32_e32 vcc_lo, v1, v2
	ds_store_b32 v3, v4
	v_add_nc_u32_e32 v3, 0x200, v3
	s_or_b32 s2, vcc_lo, s2
	s_and_not1_b32 exec_lo, exec_lo, s2
	s_cbranch_execnz .LBB208_936
.LBB208_937:
	s_or_b32 exec_lo, exec_lo, s1
	s_wait_dscnt 0x0
	scratch_load_b32 v0, off, s32 offset:740 ; 4-byte Folded Reload
	v_dual_mov_b32 v67, 0 :: v_dual_mov_b32 v66, 0
	v_dual_mov_b32 v69, 0 :: v_dual_mov_b32 v68, 0
	;; [unrolled: 1-line block ×13, first 2 shown]
	s_wait_loadcnt 0x0
	v_dual_mov_b32 v54, 0 :: v_dual_bitop2_b32 v0, 7, v0 bitop3:0x40
	scratch_store_b32 off, v0, s32 offset:420 ; 4-byte Folded Spill
	s_wait_storecnt 0x0
	s_barrier_signal -1
	s_barrier_wait -1
	s_wait_xcnt 0x0
	s_and_saveexec_b32 s1, s0
	s_cbranch_execz .LBB208_1895
; %bb.938:
	s_clause 0x3
	scratch_store_b32 off, v38, s32 offset:436
	scratch_store_b32 off, v65, s32 offset:428
	scratch_load_b32 v0, off, s32 offset:1232 th:TH_LOAD_LU
	scratch_load_b32 v1, off, s32 offset:1244 th:TH_LOAD_LU
	v_dual_mov_b32 v8, 0 :: v_dual_mov_b32 v9, 0
	v_dual_mov_b32 v16, 0 :: v_dual_mov_b32 v17, 0
	s_mov_b32 s2, 0
	v_mov_b32_e32 v15, 0
	scratch_store_b64 off, v[8:9], s32 offset:364 ; 8-byte Folded Spill
	s_wait_xcnt 0x0
	v_dual_mov_b32 v8, 0 :: v_dual_mov_b32 v9, 0
	scratch_load_b64 v[4:5], off, s32 offset:192 ; 8-byte Folded Reload
	v_mov_b32_e32 v19, 0
	scratch_load_b32 v6, off, s32 offset:1228 ; 4-byte Folded Reload
	v_mov_b32_e32 v14, 0
	scratch_store_b64 off, v[8:9], s32 offset:340 ; 8-byte Folded Spill
	s_wait_xcnt 0x0
	v_dual_mov_b32 v8, 0 :: v_dual_mov_b32 v9, 0
	scratch_store_b64 off, v[8:9], s32 offset:332 ; 8-byte Folded Spill
	s_wait_xcnt 0x0
	v_dual_mov_b32 v8, 0 :: v_dual_mov_b32 v9, 0
	scratch_store_b64 off, v[8:9], s32 offset:348 ; 8-byte Folded Spill
	s_wait_loadcnt 0x2
	s_wait_xcnt 0x0
	v_dual_mov_b32 v9, 0 :: v_dual_max_i32 v68, v0, v1
	scratch_load_b32 v0, off, s32 offset:740 ; 4-byte Folded Reload
	s_wait_loadcnt 0x2
	v_mov_b32_e32 v3, v4
	scratch_load_b32 v4, off, s32 offset:420 ; 4-byte Folded Reload
	s_wait_loadcnt 0x1
	v_dual_mov_b32 v69, v6 :: v_dual_lshlrev_b32 v2, 2, v0
	scratch_load_b64 v[0:1], off, s32 offset:1256 th:TH_LOAD_LU ; 8-byte Folded Reload
	v_dual_mov_b32 v8, 0 :: v_dual_sub_nc_u32 v5, 0, v68
	v_and_b32_e32 v18, 0x7c, v2
	scratch_store_b64 off, v[8:9], s32 offset:356 ; 8-byte Folded Spill
	s_wait_xcnt 0x0
	v_dual_mov_b32 v8, 0 :: v_dual_mov_b32 v9, 0
	s_wait_loadcnt 0x0
	v_add_nc_u64_e32 v[0:1], v[0:1], v[22:23]
	s_delay_alu instid0(VALU_DEP_1)
	v_add_nc_u64_e32 v[0:1], v[0:1], v[18:19]
	scratch_store_b64 off, v[8:9], s32 offset:324 ; 8-byte Folded Spill
	s_wait_xcnt 0x0
	v_dual_mov_b32 v8, 0 :: v_dual_mov_b32 v9, 0
	v_and_b32_e32 v18, 0x7c, v13
	scratch_store_b64 off, v[0:1], s32 offset:396 ; 8-byte Folded Spill
	s_wait_xcnt 0x0
	v_dual_mov_b32 v0, 0 :: v_dual_mov_b32 v1, 0
	s_clause 0x1
	scratch_store_b64 off, v[2:3], s32 offset:412
	scratch_store_b64 off, v[8:9], s32 offset:300
	s_wait_xcnt 0x1
	v_cvt_f32_u32_e32 v3, v68
	s_wait_xcnt 0x0
	v_dual_mov_b32 v8, 0 :: v_dual_mov_b32 v9, 0
	scratch_store_b64 off, v[0:1], s32 offset:292 ; 8-byte Folded Spill
	s_wait_xcnt 0x0
	v_dual_mov_b32 v0, 0 :: v_dual_mov_b32 v1, 0
	v_rcp_iflag_f32_e32 v3, v3
	scratch_store_b64 off, v[8:9], s32 offset:316 ; 8-byte Folded Spill
	s_wait_xcnt 0x0
	v_dual_mov_b32 v8, 0 :: v_dual_mov_b32 v9, 0
	v_and_b32_e32 v2, 28, v2
	v_mul_f32_e32 v3, 0x4f7ffffe, v3
	scratch_store_b64 off, v[8:9], s32 offset:308 ; 8-byte Folded Spill
	s_wait_xcnt 0x0
	v_mov_b32_e32 v8, 0
	scratch_store_b32 off, v2, s32 offset:404 ; 4-byte Folded Spill
	v_mov_b32_e32 v9, 0
	v_cvt_u32_f32_e32 v3, v3
	scratch_store_b64 off, v[0:1], s32 offset:284 ; 8-byte Folded Spill
	s_wait_xcnt 0x0
	v_lshl_add_u64 v[0:1], v[20:21], 2, v[18:19]
	v_mov_b32_e32 v21, v19
	scratch_store_b64 off, v[8:9], s32 offset:276 ; 8-byte Folded Spill
	v_mul_lo_u32 v5, v5, v3
	s_delay_alu instid0(VALU_DEP_1) | instskip(NEXT) | instid1(VALU_DEP_1)
	v_mul_hi_u32 v5, v3, v5
	v_add_nc_u32_e32 v20, v3, v5
	scratch_load_b64 v[2:3], off, s32 offset:204 ; 8-byte Folded Reload
	v_lshlrev_b32_e32 v4, 4, v4
	scratch_store_b64 off, v[20:21], s32 offset:372 ; 8-byte Folded Spill
	v_lshl_or_b32 v82, v6, 7, v4
	scratch_load_b64 v[6:7], off, s32 offset:1236 th:TH_LOAD_LU ; 8-byte Folded Reload
	s_wait_loadcnt 0x0
	v_add_nc_u64_e32 v[10:11], v[6:7], v[0:1]
	s_branch .LBB208_941
.LBB208_939:                            ;   in Loop: Header=BB208_941 Depth=1
	s_wait_xcnt 0x0
	s_or_b32 exec_lo, exec_lo, s8
	v_mul_f32_e32 v1, v3, v37
	v_dual_mul_f32 v0, v3, v49 :: v_dual_mul_f32 v7, v3, v7
	v_dual_mul_f32 v14, v3, v21 :: v_dual_mul_f32 v15, v3, v67
	s_delay_alu instid0(VALU_DEP_3) | instskip(NEXT) | instid1(VALU_DEP_3)
	v_fmac_f32_e32 v1, v2, v36
	v_dual_fmac_f32 v0, v2, v48 :: v_dual_fmac_f32 v7, v2, v6
	s_delay_alu instid0(VALU_DEP_3) | instskip(NEXT) | instid1(VALU_DEP_4)
	v_dual_mul_f32 v13, v3, v27 :: v_dual_fmac_f32 v14, v2, v20
	v_fmac_f32_e32 v15, v2, v66
	s_delay_alu instid0(VALU_DEP_3) | instskip(NEXT) | instid1(VALU_DEP_3)
	v_dual_fmac_f32 v0, v4, v38 :: v_dual_mul_f32 v6, v3, v31
	v_fmac_f32_e32 v13, v2, v26
	scratch_load_b64 v[20:21], off, s32 offset:276 th:TH_LOAD_LU ; 8-byte Folded Reload
	v_dual_fmac_f32 v1, v4, v34 :: v_dual_fmac_f32 v7, v4, v32
	v_dual_fmac_f32 v6, v2, v30 :: v_dual_fmac_f32 v0, v5, v39
	v_fmac_f32_e32 v13, v4, v24
	s_delay_alu instid0(VALU_DEP_3) | instskip(NEXT) | instid1(VALU_DEP_3)
	v_dual_fmac_f32 v1, v5, v35 :: v_dual_fmac_f32 v7, v5, v33
	v_fmac_f32_e32 v6, v4, v28
	s_delay_alu instid0(VALU_DEP_3) | instskip(SKIP_3) | instid1(VALU_DEP_2)
	v_dual_fmac_f32 v14, v4, v8 :: v_dual_fmac_f32 v13, v5, v25
	scratch_load_b64 v[24:25], off, s32 offset:284 th:TH_LOAD_LU ; 8-byte Folded Reload
	v_dual_fmac_f32 v15, v4, v64 :: v_dual_fmac_f32 v6, v5, v29
	v_fmac_f32_e32 v14, v5, v9
	v_fmac_f32_e32 v15, v5, v65
	s_wait_loadcnt 0x0
	v_dual_add_f32 v25, v25, v1 :: v_dual_add_f32 v24, v24, v7
	s_clause 0x1
	scratch_store_b64 off, v[24:25], s32 offset:284
	scratch_load_b64 v[24:25], off, s32 offset:260 th:TH_LOAD_LU
	v_dual_mul_f32 v18, v3, v127 :: v_dual_add_f32 v20, v20, v0
	scratch_load_b64 v[0:1], off, s32 offset:292 th:TH_LOAD_LU ; 8-byte Folded Reload
	v_fmac_f32_e32 v18, v2, v126
	s_wait_loadcnt 0x0
	s_delay_alu instid0(VALU_DEP_1)
	v_dual_fmac_f32 v18, v4, v124 :: v_dual_add_f32 v1, v1, v6
	v_add_f32_e32 v0, v0, v13
	s_clause 0x2
	scratch_load_b64 v[12:13], off, s32 offset:268 th:TH_LOAD_LU
	scratch_store_b64 off, v[0:1], s32 offset:292
	scratch_load_b64 v[0:1], off, s32 offset:308 th:TH_LOAD_LU
	s_wait_loadcnt 0x0
	v_dual_fmac_f32 v18, v5, v125 :: v_dual_add_f32 v0, v0, v15
	v_add_f32_e32 v1, v1, v14
	s_clause 0x1
	scratch_load_b64 v[14:15], off, s32 offset:316 th:TH_LOAD_LU
	scratch_store_b64 off, v[0:1], s32 offset:308
	s_wait_xcnt 0x0
	v_mul_f32_e32 v0, v3, v123
	s_delay_alu instid0(VALU_DEP_1) | instskip(NEXT) | instid1(VALU_DEP_1)
	v_dual_mul_f32 v1, v3, v111 :: v_dual_fmac_f32 v0, v2, v122
	v_dual_mul_f32 v6, v3, v107 :: v_dual_fmac_f32 v1, v2, v110
	s_delay_alu instid0(VALU_DEP_2) | instskip(NEXT) | instid1(VALU_DEP_2)
	v_dual_mul_f32 v7, v3, v95 :: v_dual_fmac_f32 v0, v4, v120
	v_dual_fmac_f32 v6, v2, v106 :: v_dual_mul_f32 v8, v3, v91
	s_delay_alu instid0(VALU_DEP_2) | instskip(NEXT) | instid1(VALU_DEP_2)
	v_dual_fmac_f32 v7, v2, v94 :: v_dual_fmac_f32 v1, v4, v108
	v_dual_fmac_f32 v0, v5, v121 :: v_dual_fmac_f32 v6, v4, v104
	s_delay_alu instid0(VALU_DEP_2) | instskip(NEXT) | instid1(VALU_DEP_3)
	v_dual_fmac_f32 v8, v2, v90 :: v_dual_fmac_f32 v7, v4, v92
	v_fmac_f32_e32 v1, v5, v109
	s_delay_alu instid0(VALU_DEP_2) | instskip(SKIP_1) | instid1(VALU_DEP_3)
	v_dual_fmac_f32 v6, v5, v105 :: v_dual_fmac_f32 v8, v4, v88
	s_wait_loadcnt 0x0
	v_dual_fmac_f32 v7, v5, v93 :: v_dual_add_f32 v14, v14, v0
	v_add_f32_e32 v15, v15, v18
	s_clause 0x1
	scratch_store_b64 off, v[14:15], s32 offset:316
	scratch_load_b64 v[14:15], off, s32 offset:300 th:TH_LOAD_LU
	s_wait_loadcnt 0x0
	v_dual_fmac_f32 v8, v5, v89 :: v_dual_add_f32 v14, v14, v6
	v_add_f32_e32 v15, v15, v1
	v_mul_f32_e32 v6, v3, v63
	v_mul_f32_e32 v1, v3, v75
	s_clause 0x1
	scratch_store_b64 off, v[14:15], s32 offset:300
	scratch_load_b64 v[14:15], off, s32 offset:324 th:TH_LOAD_LU
	v_dual_fmac_f32 v6, v2, v62 :: v_dual_mul_f32 v0, v3, v79
	s_delay_alu instid0(VALU_DEP_1) | instskip(NEXT) | instid1(VALU_DEP_1)
	v_dual_fmac_f32 v1, v2, v74 :: v_dual_fmac_f32 v6, v4, v60
	v_dual_fmac_f32 v0, v2, v78 :: v_dual_fmac_f32 v1, v4, v72
	s_delay_alu instid0(VALU_DEP_1) | instskip(SKIP_1) | instid1(VALU_DEP_1)
	v_dual_fmac_f32 v0, v4, v76 :: v_dual_fmac_f32 v1, v5, v73
	s_wait_loadcnt 0x0
	v_dual_fmac_f32 v0, v5, v77 :: v_dual_add_f32 v15, v15, v7
	v_dual_add_f32 v14, v14, v8 :: v_dual_mul_f32 v7, v3, v59
	v_mul_f32_e32 v8, v3, v47
	s_clause 0x1
	scratch_store_b64 off, v[14:15], s32 offset:324
	scratch_load_b64 v[14:15], off, s32 offset:380 th:TH_LOAD_LU
	v_fmac_f32_e32 v7, v2, v58
	v_dual_fmac_f32 v8, v2, v46 :: v_dual_fmac_f32 v6, v5, v61
	s_delay_alu instid0(VALU_DEP_2) | instskip(NEXT) | instid1(VALU_DEP_1)
	v_fmac_f32_e32 v7, v4, v56
	v_dual_fmac_f32 v8, v4, v16 :: v_dual_fmac_f32 v7, v5, v57
	s_wait_loadcnt 0x0
	v_dual_add_f32 v15, v15, v0 :: v_dual_add_f32 v14, v14, v1
	scratch_load_b64 v[0:1], off, s32 offset:356 th:TH_LOAD_LU ; 8-byte Folded Reload
	v_fmac_f32_e32 v8, v5, v17
	scratch_load_b64 v[16:17], off, s32 offset:348 th:TH_LOAD_LU ; 8-byte Folded Reload
	s_wait_loadcnt 0x1
	v_dual_add_f32 v1, v1, v6 :: v_dual_add_f32 v0, v0, v7
	s_wait_loadcnt 0x0
	v_dual_add_f32 v17, v17, v8 :: v_dual_mul_f32 v6, v3, v117
	scratch_store_b64 off, v[0:1], s32 offset:356 ; 8-byte Folded Spill
	s_wait_xcnt 0x0
	v_mul_f32_e32 v0, v3, v45
	v_dual_mul_f32 v1, v3, v41 :: v_dual_fmac_f32 v6, v2, v116
	s_delay_alu instid0(VALU_DEP_2) | instskip(NEXT) | instid1(VALU_DEP_1)
	v_dual_fmac_f32 v0, v2, v44 :: v_dual_mul_f32 v7, v3, v113
	v_dual_fmac_f32 v1, v2, v40 :: v_dual_fmac_f32 v0, v4, v42
	s_delay_alu instid0(VALU_DEP_2) | instskip(NEXT) | instid1(VALU_DEP_2)
	v_dual_mul_f32 v8, v3, v101 :: v_dual_fmac_f32 v7, v2, v112
	v_fmac_f32_e32 v1, v4, v118
	s_delay_alu instid0(VALU_DEP_3) | instskip(NEXT) | instid1(VALU_DEP_3)
	v_dual_fmac_f32 v6, v4, v114 :: v_dual_fmac_f32 v0, v5, v43
	v_dual_fmac_f32 v8, v2, v100 :: v_dual_fmac_f32 v7, v4, v102
	s_delay_alu instid0(VALU_DEP_3) | instskip(NEXT) | instid1(VALU_DEP_3)
	v_fmac_f32_e32 v1, v5, v119
	v_dual_fmac_f32 v6, v5, v115 :: v_dual_add_f32 v16, v16, v0
	s_delay_alu instid0(VALU_DEP_3)
	v_dual_fmac_f32 v8, v4, v98 :: v_dual_fmac_f32 v7, v5, v103
	s_clause 0x1
	scratch_store_b64 off, v[16:17], s32 offset:348
	scratch_load_b64 v[16:17], off, s32 offset:332 th:TH_LOAD_LU
	s_wait_loadcnt 0x0
	v_dual_fmac_f32 v8, v5, v99 :: v_dual_add_f32 v16, v16, v6
	v_add_f32_e32 v17, v17, v1
	scratch_load_b64 v[0:1], off, s32 offset:340 th:TH_LOAD_LU ; 8-byte Folded Reload
	v_mul_f32_e32 v6, v3, v97
	s_wait_loadcnt 0x0
	s_delay_alu instid0(VALU_DEP_1)
	v_dual_fmac_f32 v6, v2, v96 :: v_dual_add_f32 v1, v1, v7
	v_add_f32_e32 v0, v0, v8
	s_clause 0x1
	scratch_store_b64 off, v[16:17], s32 offset:332
	scratch_load_b64 v[16:17], off, s32 offset:220 th:TH_LOAD_LU
	v_dual_mul_f32 v7, v3, v23 :: v_dual_mul_f32 v8, v3, v25
	scratch_store_b64 off, v[0:1], s32 offset:340 ; 8-byte Folded Spill
	s_wait_xcnt 0x0
	v_pk_mul_f32 v[0:1], v[2:3], v[80:81]
	v_dual_fmac_f32 v7, v2, v22 :: v_dual_fmac_f32 v8, v2, v24
	scratch_load_b64 v[22:23], off, s32 offset:252 th:TH_LOAD_LU ; 8-byte Folded Reload
	v_add_f32_e32 v0, v0, v1
	v_dual_fmac_f32 v6, v4, v86 :: v_dual_fmac_f32 v7, v4, v12
	s_wait_loadcnt 0x1
	s_delay_alu instid0(VALU_DEP_1) | instskip(NEXT) | instid1(VALU_DEP_1)
	v_dual_fmac_f32 v6, v5, v87 :: v_dual_mul_f32 v9, v3, v17
	v_fmac_f32_e32 v9, v2, v16
	scratch_load_b64 v[16:17], off, s32 offset:212 th:TH_LOAD_LU ; 8-byte Folded Reload
	v_pk_mul_f32 v[2:3], v[4:5], v[70:71]
	s_wait_loadcnt 0x1
	s_delay_alu instid0(VALU_DEP_1) | instskip(NEXT) | instid1(VALU_DEP_1)
	v_dual_fmac_f32 v8, v4, v22 :: v_dual_add_f32 v0, v2, v0
	v_add_f32_e32 v0, v3, v0
	scratch_load_b64 v[2:3], off, s32 offset:364 th:TH_LOAD_LU ; 8-byte Folded Reload
	v_add_f32_e32 v21, v21, v0
	scratch_store_b64 off, v[20:21], s32 offset:276 ; 8-byte Folded Spill
	s_wait_loadcnt 0x1
	v_dual_fmac_f32 v9, v4, v16 :: v_dual_fmac_f32 v7, v5, v13
	s_delay_alu instid0(VALU_DEP_1)
	v_dual_fmac_f32 v8, v5, v23 :: v_dual_fmac_f32 v9, v5, v17
	scratch_load_b64 v[16:17], off, s32 offset:388 th:TH_LOAD_LU ; 8-byte Folded Reload
	s_wait_loadcnt 0x1
	v_dual_add_f32 v3, v3, v8 :: v_dual_add_f32 v2, v2, v9
	scratch_store_b64 off, v[2:3], s32 offset:364 ; 8-byte Folded Spill
	s_wait_loadcnt 0x0
	v_dual_add_f32 v17, v17, v6 :: v_dual_add_f32 v16, v16, v7
.LBB208_940:                            ;   in Loop: Header=BB208_941 Depth=1
	s_wait_xcnt 0x0
	s_or_b32 exec_lo, exec_lo, s3
	s_clause 0x1
	scratch_load_b32 v0, off, s32 offset:200
	scratch_load_b64 v[2:3], off, s32 offset:204 th:TH_LOAD_LU
	v_add_nc_u32_e32 v69, 4, v69
	v_add_nc_u64_e32 v[10:11], 16, v[10:11]
	v_add_nc_u32_e32 v82, 0x200, v82
	s_wait_loadcnt 0x1
	s_delay_alu instid0(VALU_DEP_3)
	v_cmp_ge_i32_e32 vcc_lo, v69, v0
	s_wait_loadcnt 0x0
	v_add_nc_u32_e32 v2, 0x80, v2
	s_or_b32 s2, vcc_lo, s2
	s_wait_xcnt 0x0
	s_and_not1_b32 exec_lo, exec_lo, s2
	s_cbranch_execz .LBB208_1894
.LBB208_941:                            ; =>This Inner Loop Header: Depth=1
	s_clause 0x1
	scratch_load_b64 v[0:1], off, s32 offset:232
	scratch_load_b32 v4, off, s32 offset:228
	v_dual_mov_b32 v3, v19 :: v_dual_mov_b32 v6, v2
	scratch_store_b64 off, v[6:7], s32 offset:204 ; 8-byte Folded Spill
	s_wait_loadcnt 0x1
	v_mul_u64_e32 v[0:1], v[2:3], v[0:1]
	s_wait_loadcnt 0x0
	s_delay_alu instid0(VALU_DEP_1) | instskip(NEXT) | instid1(VALU_DEP_1)
	v_mul_lo_u32 v0, v1, v4
	v_dual_sub_nc_u32 v0, v2, v0 :: v_dual_add_nc_u32 v2, 1, v1
	s_delay_alu instid0(VALU_DEP_1) | instskip(NEXT) | instid1(VALU_DEP_2)
	v_cmp_ge_u32_e32 vcc_lo, v0, v4
	v_dual_sub_nc_u32 v3, v0, v4 :: v_dual_cndmask_b32 v1, v1, v2, vcc_lo
	s_delay_alu instid0(VALU_DEP_1) | instskip(NEXT) | instid1(VALU_DEP_1)
	v_dual_cndmask_b32 v0, v0, v3, vcc_lo :: v_dual_add_nc_u32 v2, 1, v1
	v_cmp_ge_u32_e32 vcc_lo, v0, v4
	s_delay_alu instid0(VALU_DEP_2) | instskip(SKIP_3) | instid1(VALU_DEP_1)
	v_cndmask_b32_e32 v0, v1, v2, vcc_lo
	scratch_load_b32 v1, off, s32 offset:240 ; 4-byte Folded Reload
	s_wait_loadcnt 0x0
	v_xor_b32_e32 v0, v0, v1
	v_sub_nc_u32_e32 v2, v0, v1
	scratch_load_b32 v0, off, s32 offset:244 ; 4-byte Folded Reload
	s_wait_loadcnt 0x0
	v_add_nc_u32_e32 v3, v2, v0
	s_delay_alu instid0(VALU_DEP_1) | instskip(NEXT) | instid1(VALU_DEP_1)
	v_sub_nc_u32_e32 v0, 0, v3
	v_max_i32_e32 v18, v3, v0
	scratch_load_b64 v[0:1], off, s32 offset:372 ; 8-byte Folded Reload
	s_wait_loadcnt 0x0
	v_mul_u64_e32 v[0:1], v[18:19], v[0:1]
	s_delay_alu instid0(VALU_DEP_1) | instskip(NEXT) | instid1(VALU_DEP_1)
	v_mul_lo_u32 v0, v1, v68
	v_sub_nc_u32_e32 v0, v18, v0
	s_delay_alu instid0(VALU_DEP_1) | instskip(SKIP_1) | instid1(VALU_DEP_2)
	v_sub_nc_u32_e32 v1, v0, v68
	v_cmp_ge_u32_e32 vcc_lo, v0, v68
	v_dual_cndmask_b32 v0, v0, v1 :: v_dual_ashrrev_i32 v3, 31, v3
	s_delay_alu instid0(VALU_DEP_1) | instskip(SKIP_1) | instid1(VALU_DEP_2)
	v_sub_nc_u32_e32 v1, v0, v68
	v_cmp_ge_u32_e32 vcc_lo, v0, v68
	v_cndmask_b32_e32 v0, v0, v1, vcc_lo
	s_delay_alu instid0(VALU_DEP_1) | instskip(NEXT) | instid1(VALU_DEP_1)
	v_xor_b32_e32 v0, v0, v3
	v_sub_nc_u32_e32 v0, v0, v3
	s_delay_alu instid0(VALU_DEP_1)
	v_cmp_eq_u32_e32 vcc_lo, 0, v0
	scratch_load_b32 v0, off, s32 offset:248 ; 4-byte Folded Reload
	s_wait_loadcnt 0x0
	v_cmp_gt_i32_e64 s0, v2, v0
	s_or_b32 s0, vcc_lo, s0
	s_wait_xcnt 0x0
	s_and_saveexec_b32 s3, s0
	s_cbranch_execz .LBB208_940
; %bb.942:                              ;   in Loop: Header=BB208_941 Depth=1
	s_clause 0x1
	scratch_store_b64 off, v[16:17], s32 offset:388
	scratch_store_b64 off, v[14:15], s32 offset:380
	flat_load_b32 v0, v[10:11]
	s_clause 0x1
	scratch_load_b64 v[2:3], off, s32 offset:684
	scratch_load_b64 v[4:5], off, s32 offset:396
	v_mov_b64_e32 v[6:7], 0
	s_wait_loadcnt_dscnt 0x0
	v_mad_nc_i64_i32 v[80:81], v0, v2, v[4:5]
	flat_load_b32 v14, v[80:81]
	scratch_load_b64 v[0:1], off, s32 offset:748 ; 8-byte Folded Reload
	s_load_b32 s0, s[6:7], 0x0
	s_wait_loadcnt_dscnt 0x100
	v_and_b32_e32 v8, 0xff, v14
	s_wait_loadcnt 0x0
	flat_load_b32 v70, v[0:1]
	s_wait_kmcnt 0x0
	v_add_nc_u32_e32 v0, s0, v82
	s_mov_b32 s0, exec_lo
	ds_load_b128 v[2:5], v0
	v_mov_b64_e32 v[0:1], 0
	v_cmpx_ne_u16_e32 0, v8
	s_cbranch_execz .LBB208_950
; %bb.943:                              ;   in Loop: Header=BB208_941 Depth=1
	v_mov_b64_e32 v[6:7], 0x80000000
	s_mov_b32 s8, exec_lo
	v_cmpx_ne_u16_e32 0x80, v8
	s_cbranch_execz .LBB208_949
; %bb.944:                              ;   in Loop: Header=BB208_941 Depth=1
	v_mov_b64_e32 v[6:7], 0x7f800001
	v_and_b32_e32 v8, 0x7f, v14
	s_mov_b32 s9, exec_lo
	s_delay_alu instid0(VALU_DEP_1)
	v_cmpx_ne_u32_e32 0x7f, v8
	s_cbranch_execz .LBB208_948
; %bb.945:                              ;   in Loop: Header=BB208_941 Depth=1
	v_dual_lshrrev_b32 v6, 3, v8 :: v_dual_bitop2_b32 v18, 7, v14 bitop3:0x40
	s_mov_b32 s14, exec_lo
	v_cmpx_gt_u32_e32 8, v8
; %bb.946:                              ;   in Loop: Header=BB208_941 Depth=1
	s_delay_alu instid0(VALU_DEP_2) | instskip(NEXT) | instid1(VALU_DEP_1)
	v_clz_i32_u32_e32 v6, v18
	v_min_u32_e32 v6, 32, v6
	s_delay_alu instid0(VALU_DEP_1) | instskip(NEXT) | instid1(VALU_DEP_1)
	v_subrev_nc_u32_e32 v7, 28, v6
	v_lshlrev_b64_e32 v[8:9], v7, v[18:19]
	s_delay_alu instid0(VALU_DEP_1)
	v_dual_sub_nc_u32 v6, 29, v6 :: v_dual_bitop2_b32 v18, 7, v8 bitop3:0x40
; %bb.947:                              ;   in Loop: Header=BB208_941 Depth=1
	s_or_b32 exec_lo, exec_lo, s14
	v_lshlrev_b32_e32 v7, 24, v14
	s_delay_alu instid0(VALU_DEP_2) | instskip(NEXT) | instid1(VALU_DEP_3)
	v_lshlrev_b32_e32 v8, 20, v18
	v_lshl_add_u32 v6, v6, 23, 0x3c000000
	s_delay_alu instid0(VALU_DEP_3) | instskip(NEXT) | instid1(VALU_DEP_1)
	v_and_b32_e32 v7, 0x80000000, v7
	v_or3_b32 v18, v8, v7, v6
	s_delay_alu instid0(VALU_DEP_1)
	v_mov_b64_e32 v[6:7], v[18:19]
.LBB208_948:                            ;   in Loop: Header=BB208_941 Depth=1
	s_or_b32 exec_lo, exec_lo, s9
.LBB208_949:                            ;   in Loop: Header=BB208_941 Depth=1
	s_delay_alu instid0(SALU_CYCLE_1)
	s_or_b32 exec_lo, exec_lo, s8
.LBB208_950:                            ;   in Loop: Header=BB208_941 Depth=1
	s_delay_alu instid0(SALU_CYCLE_1) | instskip(SKIP_2) | instid1(VALU_DEP_1)
	s_or_b32 exec_lo, exec_lo, s0
	v_lshrrev_b16 v8, 8, v14
	s_mov_b32 s0, exec_lo
	v_cmpx_ne_u16_e32 0, v8
	s_cbranch_execz .LBB208_958
; %bb.951:                              ;   in Loop: Header=BB208_941 Depth=1
	v_mov_b64_e32 v[0:1], 0x8000000000000000
	s_mov_b32 s8, exec_lo
	v_cmpx_ne_u16_e32 0x80, v8
	s_cbranch_execz .LBB208_957
; %bb.952:                              ;   in Loop: Header=BB208_941 Depth=1
	v_and_b32_e32 v9, 0xffff, v8
	v_mov_b64_e32 v[0:1], 0x7f80000100000000
	s_mov_b32 s9, exec_lo
	s_delay_alu instid0(VALU_DEP_2) | instskip(NEXT) | instid1(VALU_DEP_1)
	v_and_b32_e32 v8, 0x7f, v9
	v_cmpx_ne_u32_e32 0x7f, v8
	s_cbranch_execz .LBB208_956
; %bb.953:                              ;   in Loop: Header=BB208_941 Depth=1
	v_dual_lshrrev_b32 v0, 3, v8 :: v_dual_bitop2_b32 v18, 7, v9 bitop3:0x40
	s_mov_b32 s14, exec_lo
	v_cmpx_gt_u32_e32 8, v8
; %bb.954:                              ;   in Loop: Header=BB208_941 Depth=1
	s_delay_alu instid0(VALU_DEP_2) | instskip(NEXT) | instid1(VALU_DEP_1)
	v_clz_i32_u32_e32 v0, v18
	v_min_u32_e32 v0, 32, v0
	s_delay_alu instid0(VALU_DEP_1) | instskip(SKIP_1) | instid1(VALU_DEP_2)
	v_subrev_nc_u32_e32 v1, 28, v0
	v_sub_nc_u32_e32 v0, 29, v0
	v_lshlrev_b64_e32 v[8:9], v1, v[18:19]
	s_delay_alu instid0(VALU_DEP_1)
	v_and_b32_e32 v18, 7, v8
; %bb.955:                              ;   in Loop: Header=BB208_941 Depth=1
	s_or_b32 exec_lo, exec_lo, s14
	v_lshlrev_b32_e32 v1, 16, v14
	s_delay_alu instid0(VALU_DEP_2) | instskip(SKIP_1) | instid1(VALU_DEP_3)
	v_lshlrev_b32_e32 v8, 20, v18
	v_lshl_add_u32 v0, v0, 23, 0x3c000000
	v_and_b32_e32 v1, 0x80000000, v1
	s_delay_alu instid0(VALU_DEP_1)
	v_or3_b32 v1, v8, v1, v0
	v_mov_b32_e32 v0, v19
.LBB208_956:                            ;   in Loop: Header=BB208_941 Depth=1
	s_or_b32 exec_lo, exec_lo, s9
.LBB208_957:                            ;   in Loop: Header=BB208_941 Depth=1
	s_delay_alu instid0(SALU_CYCLE_1)
	s_or_b32 exec_lo, exec_lo, s8
.LBB208_958:                            ;   in Loop: Header=BB208_941 Depth=1
	s_delay_alu instid0(SALU_CYCLE_1) | instskip(SKIP_4) | instid1(VALU_DEP_3)
	s_or_b32 exec_lo, exec_lo, s0
	v_lshrrev_b32_e32 v15, 16, v14
	v_mov_b64_e32 v[8:9], 0
	v_mov_b64_e32 v[16:17], 0
	s_mov_b32 s0, exec_lo
	v_and_b32_e32 v13, 0xff, v15
	s_delay_alu instid0(VALU_DEP_1)
	v_cmpx_ne_u16_e32 0, v13
	s_cbranch_execz .LBB208_966
; %bb.959:                              ;   in Loop: Header=BB208_941 Depth=1
	v_mov_b64_e32 v[16:17], 0x80000000
	s_mov_b32 s8, exec_lo
	v_cmpx_ne_u16_e32 0x80, v13
	s_cbranch_execz .LBB208_965
; %bb.960:                              ;   in Loop: Header=BB208_941 Depth=1
	v_mov_b64_e32 v[16:17], 0x7f800001
	v_bfe_u32 v13, v14, 16, 7
	s_mov_b32 s9, exec_lo
	s_delay_alu instid0(VALU_DEP_1)
	v_cmpx_ne_u32_e32 0x7f, v13
	s_cbranch_execz .LBB208_964
; %bb.961:                              ;   in Loop: Header=BB208_941 Depth=1
	v_dual_lshrrev_b32 v16, 3, v13 :: v_dual_bitop2_b32 v18, 7, v15 bitop3:0x40
	s_mov_b32 s14, exec_lo
	v_cmpx_gt_u32_e32 8, v13
; %bb.962:                              ;   in Loop: Header=BB208_941 Depth=1
	s_delay_alu instid0(VALU_DEP_2) | instskip(NEXT) | instid1(VALU_DEP_1)
	v_clz_i32_u32_e32 v13, v18
	v_min_u32_e32 v13, 32, v13
	s_delay_alu instid0(VALU_DEP_1) | instskip(NEXT) | instid1(VALU_DEP_1)
	v_subrev_nc_u32_e32 v16, 28, v13
	v_lshlrev_b64_e32 v[20:21], v16, v[18:19]
	s_delay_alu instid0(VALU_DEP_1)
	v_dual_sub_nc_u32 v16, 29, v13 :: v_dual_bitop2_b32 v18, 7, v20 bitop3:0x40
; %bb.963:                              ;   in Loop: Header=BB208_941 Depth=1
	s_or_b32 exec_lo, exec_lo, s14
	s_delay_alu instid0(VALU_DEP_1) | instskip(NEXT) | instid1(VALU_DEP_2)
	v_dual_lshlrev_b32 v13, 24, v15 :: v_dual_lshlrev_b32 v15, 20, v18
	v_lshl_add_u32 v16, v16, 23, 0x3c000000
	s_delay_alu instid0(VALU_DEP_2) | instskip(NEXT) | instid1(VALU_DEP_1)
	v_and_b32_e32 v13, 0x80000000, v13
	v_or3_b32 v18, v15, v13, v16
	s_delay_alu instid0(VALU_DEP_1)
	v_mov_b64_e32 v[16:17], v[18:19]
.LBB208_964:                            ;   in Loop: Header=BB208_941 Depth=1
	s_or_b32 exec_lo, exec_lo, s9
.LBB208_965:                            ;   in Loop: Header=BB208_941 Depth=1
	s_delay_alu instid0(SALU_CYCLE_1)
	s_or_b32 exec_lo, exec_lo, s8
.LBB208_966:                            ;   in Loop: Header=BB208_941 Depth=1
	s_delay_alu instid0(SALU_CYCLE_1) | instskip(NEXT) | instid1(SALU_CYCLE_1)
	s_or_b32 exec_lo, exec_lo, s0
	s_mov_b32 s0, exec_lo
	v_cmpx_lt_u32_e32 0xffffff, v14
	s_cbranch_execz .LBB208_974
; %bb.967:                              ;   in Loop: Header=BB208_941 Depth=1
	v_mov_b64_e32 v[8:9], 0x8000000000000000
	v_lshrrev_b32_e32 v15, 24, v14
	s_mov_b32 s8, exec_lo
	s_delay_alu instid0(VALU_DEP_1)
	v_cmpx_ne_u32_e32 0x80, v15
	s_cbranch_execz .LBB208_973
; %bb.968:                              ;   in Loop: Header=BB208_941 Depth=1
	v_mov_b64_e32 v[8:9], 0x7f80000100000000
	v_bfe_u32 v13, v14, 24, 7
	s_mov_b32 s9, exec_lo
	s_delay_alu instid0(VALU_DEP_1)
	v_cmpx_ne_u32_e32 0x7f, v13
	s_cbranch_execz .LBB208_972
; %bb.969:                              ;   in Loop: Header=BB208_941 Depth=1
	v_dual_lshrrev_b32 v8, 3, v13 :: v_dual_bitop2_b32 v18, 7, v15 bitop3:0x40
	s_mov_b32 s14, exec_lo
	v_cmpx_gt_u32_e32 8, v13
; %bb.970:                              ;   in Loop: Header=BB208_941 Depth=1
	s_delay_alu instid0(VALU_DEP_2) | instskip(NEXT) | instid1(VALU_DEP_1)
	v_clz_i32_u32_e32 v8, v18
	v_min_u32_e32 v8, 32, v8
	s_delay_alu instid0(VALU_DEP_1) | instskip(SKIP_1) | instid1(VALU_DEP_2)
	v_subrev_nc_u32_e32 v9, 28, v8
	v_sub_nc_u32_e32 v8, 29, v8
	v_lshlrev_b64_e32 v[20:21], v9, v[18:19]
	s_delay_alu instid0(VALU_DEP_1)
	v_and_b32_e32 v18, 7, v20
; %bb.971:                              ;   in Loop: Header=BB208_941 Depth=1
	s_or_b32 exec_lo, exec_lo, s14
	s_delay_alu instid0(VALU_DEP_1) | instskip(SKIP_1) | instid1(VALU_DEP_2)
	v_dual_lshlrev_b32 v9, 24, v15 :: v_dual_lshlrev_b32 v13, 20, v18
	v_lshl_add_u32 v8, v8, 23, 0x3c000000
	v_and_b32_e32 v9, 0x80000000, v9
	s_delay_alu instid0(VALU_DEP_1)
	v_or3_b32 v9, v13, v9, v8
	v_mov_b32_e32 v8, v19
.LBB208_972:                            ;   in Loop: Header=BB208_941 Depth=1
	s_or_b32 exec_lo, exec_lo, s9
.LBB208_973:                            ;   in Loop: Header=BB208_941 Depth=1
	s_delay_alu instid0(SALU_CYCLE_1)
	s_or_b32 exec_lo, exec_lo, s8
.LBB208_974:                            ;   in Loop: Header=BB208_941 Depth=1
	s_delay_alu instid0(SALU_CYCLE_1)
	s_or_b32 exec_lo, exec_lo, s0
	v_or_b32_e32 v0, v0, v6
	scratch_load_b32 v6, off, s32 offset:200 ; 4-byte Folded Reload
	v_or_b32_e32 v1, v1, v7
	s_wait_loadcnt 0x0
	v_dual_add_nc_u32 v13, -1, v6 :: v_dual_bitop2_b32 v7, v9, v17 bitop3:0x54
	v_or_b32_e32 v6, v8, v16
	scratch_load_b64 v[8:9], off, s32 offset:204 ; 8-byte Folded Reload
	s_wait_loadcnt 0x0
	scratch_load_b32 v9, off, s32 offset:404 ; 4-byte Folded Reload
	v_cmp_eq_u32_e32 vcc_lo, v13, v69
	s_wait_loadcnt 0x0
	v_add_nc_u32_e32 v83, v9, v8
	s_wait_dscnt 0x1
	v_pk_mul_f32 v[0:1], v[70:71], v[0:1] op_sel_hi:[0,1]
	s_delay_alu instid0(VALU_DEP_2)
	v_add_nc_u32_e32 v84, 2, v83
	scratch_store_b64 off, v[0:1], s32 offset:220 ; 8-byte Folded Spill
	s_wait_xcnt 0x0
	v_pk_mul_f32 v[0:1], v[70:71], v[6:7] op_sel_hi:[0,1]
	scratch_store_b64 off, v[0:1], s32 offset:212 ; 8-byte Folded Spill
	s_wait_xcnt 0x0
	v_dual_add_nc_u32 v0, 1, v83 :: v_dual_add_nc_u32 v1, 3, v83
	s_and_saveexec_b32 s8, vcc_lo
	s_cbranch_execz .LBB208_976
; %bb.975:                              ;   in Loop: Header=BB208_941 Depth=1
	scratch_load_b64 v[6:7], off, s32 offset:192 ; 8-byte Folded Reload
	s_wait_loadcnt 0x0
	v_mov_b32_e32 v8, v6
	scratch_load_b64 v[6:7], off, s32 offset:220 th:TH_LOAD_LU ; 8-byte Folded Reload
	v_cmp_lt_i32_e64 s0, v83, v8
	s_wait_loadcnt 0x0
	s_delay_alu instid0(VALU_DEP_1) | instskip(SKIP_1) | instid1(VALU_DEP_1)
	v_cndmask_b32_e64 v6, 0, v6, s0
	v_cmp_lt_i32_e64 s0, v0, v8
	v_cndmask_b32_e64 v7, 0, v7, s0
	v_cmp_lt_i32_e64 s0, v84, v8
	s_clause 0x1
	scratch_store_b64 off, v[6:7], s32 offset:220
	scratch_load_b64 v[6:7], off, s32 offset:212 th:TH_LOAD_LU
	s_wait_loadcnt 0x0
	v_cndmask_b32_e64 v6, 0, v6, s0
	v_cmp_lt_i32_e64 s0, v1, v8
	s_delay_alu instid0(VALU_DEP_1)
	v_cndmask_b32_e64 v7, 0, v7, s0
	scratch_store_b64 off, v[6:7], s32 offset:212 ; 8-byte Folded Spill
.LBB208_976:                            ;   in Loop: Header=BB208_941 Depth=1
	s_wait_xcnt 0x0
	s_or_b32 exec_lo, exec_lo, s8
	flat_load_b32 v14, v[80:81] offset:128
	v_mov_b64_e32 v[6:7], 0
	v_mov_b64_e32 v[8:9], 0
	s_mov_b32 s8, exec_lo
	s_wait_loadcnt_dscnt 0x0
	v_and_b32_e32 v13, 0xff, v14
	s_wait_xcnt 0x0
	s_delay_alu instid0(VALU_DEP_1)
	v_cmpx_ne_u16_e32 0, v13
	s_cbranch_execz .LBB208_984
; %bb.977:                              ;   in Loop: Header=BB208_941 Depth=1
	v_mov_b64_e32 v[8:9], 0x80000000
	s_mov_b32 s9, exec_lo
	v_cmpx_ne_u16_e32 0x80, v13
	s_cbranch_execz .LBB208_983
; %bb.978:                              ;   in Loop: Header=BB208_941 Depth=1
	v_mov_b64_e32 v[8:9], 0x7f800001
	v_and_b32_e32 v13, 0x7f, v14
	s_mov_b32 s14, exec_lo
	s_delay_alu instid0(VALU_DEP_1)
	v_cmpx_ne_u32_e32 0x7f, v13
	s_cbranch_execz .LBB208_982
; %bb.979:                              ;   in Loop: Header=BB208_941 Depth=1
	v_dual_lshrrev_b32 v8, 3, v13 :: v_dual_bitop2_b32 v18, 7, v14 bitop3:0x40
	s_mov_b32 s15, exec_lo
	v_cmpx_gt_u32_e32 8, v13
; %bb.980:                              ;   in Loop: Header=BB208_941 Depth=1
	s_delay_alu instid0(VALU_DEP_2) | instskip(NEXT) | instid1(VALU_DEP_1)
	v_clz_i32_u32_e32 v8, v18
	v_min_u32_e32 v8, 32, v8
	s_delay_alu instid0(VALU_DEP_1) | instskip(SKIP_1) | instid1(VALU_DEP_2)
	v_subrev_nc_u32_e32 v9, 28, v8
	v_sub_nc_u32_e32 v8, 29, v8
	v_lshlrev_b64_e32 v[16:17], v9, v[18:19]
	s_delay_alu instid0(VALU_DEP_1)
	v_and_b32_e32 v18, 7, v16
; %bb.981:                              ;   in Loop: Header=BB208_941 Depth=1
	s_or_b32 exec_lo, exec_lo, s15
	v_lshlrev_b32_e32 v9, 24, v14
	s_delay_alu instid0(VALU_DEP_2) | instskip(SKIP_1) | instid1(VALU_DEP_3)
	v_lshlrev_b32_e32 v13, 20, v18
	v_lshl_add_u32 v8, v8, 23, 0x3c000000
	v_and_b32_e32 v9, 0x80000000, v9
	s_delay_alu instid0(VALU_DEP_1) | instskip(NEXT) | instid1(VALU_DEP_1)
	v_or3_b32 v18, v13, v9, v8
	v_mov_b64_e32 v[8:9], v[18:19]
.LBB208_982:                            ;   in Loop: Header=BB208_941 Depth=1
	s_or_b32 exec_lo, exec_lo, s14
.LBB208_983:                            ;   in Loop: Header=BB208_941 Depth=1
	s_delay_alu instid0(SALU_CYCLE_1)
	s_or_b32 exec_lo, exec_lo, s9
.LBB208_984:                            ;   in Loop: Header=BB208_941 Depth=1
	s_delay_alu instid0(SALU_CYCLE_1) | instskip(SKIP_2) | instid1(VALU_DEP_1)
	s_or_b32 exec_lo, exec_lo, s8
	v_lshrrev_b16 v15, 8, v14
	s_mov_b32 s8, exec_lo
	v_cmpx_ne_u16_e32 0, v15
	s_cbranch_execz .LBB208_992
; %bb.985:                              ;   in Loop: Header=BB208_941 Depth=1
	v_mov_b64_e32 v[6:7], 0x8000000000000000
	s_mov_b32 s9, exec_lo
	v_cmpx_ne_u16_e32 0x80, v15
	s_cbranch_execz .LBB208_991
; %bb.986:                              ;   in Loop: Header=BB208_941 Depth=1
	v_and_b32_e32 v15, 0xffff, v15
	v_mov_b64_e32 v[6:7], 0x7f80000100000000
	s_mov_b32 s14, exec_lo
	s_delay_alu instid0(VALU_DEP_2) | instskip(NEXT) | instid1(VALU_DEP_1)
	v_and_b32_e32 v13, 0x7f, v15
	v_cmpx_ne_u32_e32 0x7f, v13
	s_cbranch_execz .LBB208_990
; %bb.987:                              ;   in Loop: Header=BB208_941 Depth=1
	v_dual_lshrrev_b32 v6, 3, v13 :: v_dual_bitop2_b32 v18, 7, v15 bitop3:0x40
	s_mov_b32 s15, exec_lo
	v_cmpx_gt_u32_e32 8, v13
; %bb.988:                              ;   in Loop: Header=BB208_941 Depth=1
	s_delay_alu instid0(VALU_DEP_2) | instskip(NEXT) | instid1(VALU_DEP_1)
	v_clz_i32_u32_e32 v6, v18
	v_min_u32_e32 v6, 32, v6
	s_delay_alu instid0(VALU_DEP_1) | instskip(NEXT) | instid1(VALU_DEP_1)
	v_subrev_nc_u32_e32 v7, 28, v6
	v_lshlrev_b64_e32 v[16:17], v7, v[18:19]
	s_delay_alu instid0(VALU_DEP_1)
	v_dual_sub_nc_u32 v6, 29, v6 :: v_dual_bitop2_b32 v18, 7, v16 bitop3:0x40
; %bb.989:                              ;   in Loop: Header=BB208_941 Depth=1
	s_or_b32 exec_lo, exec_lo, s15
	v_lshlrev_b32_e32 v7, 16, v14
	s_delay_alu instid0(VALU_DEP_2) | instskip(NEXT) | instid1(VALU_DEP_3)
	v_lshlrev_b32_e32 v13, 20, v18
	v_lshl_add_u32 v6, v6, 23, 0x3c000000
	s_delay_alu instid0(VALU_DEP_3) | instskip(NEXT) | instid1(VALU_DEP_1)
	v_and_b32_e32 v7, 0x80000000, v7
	v_or3_b32 v7, v13, v7, v6
	v_mov_b32_e32 v6, v19
.LBB208_990:                            ;   in Loop: Header=BB208_941 Depth=1
	s_or_b32 exec_lo, exec_lo, s14
.LBB208_991:                            ;   in Loop: Header=BB208_941 Depth=1
	s_delay_alu instid0(SALU_CYCLE_1)
	s_or_b32 exec_lo, exec_lo, s9
.LBB208_992:                            ;   in Loop: Header=BB208_941 Depth=1
	s_delay_alu instid0(SALU_CYCLE_1) | instskip(SKIP_4) | instid1(VALU_DEP_3)
	s_or_b32 exec_lo, exec_lo, s8
	v_lshrrev_b32_e32 v15, 16, v14
	v_mov_b64_e32 v[16:17], 0
	v_mov_b64_e32 v[20:21], 0
	s_mov_b32 s8, exec_lo
	v_and_b32_e32 v13, 0xff, v15
	s_delay_alu instid0(VALU_DEP_1)
	v_cmpx_ne_u16_e32 0, v13
	s_cbranch_execz .LBB208_1000
; %bb.993:                              ;   in Loop: Header=BB208_941 Depth=1
	v_mov_b64_e32 v[20:21], 0x80000000
	s_mov_b32 s9, exec_lo
	v_cmpx_ne_u16_e32 0x80, v13
	s_cbranch_execz .LBB208_999
; %bb.994:                              ;   in Loop: Header=BB208_941 Depth=1
	v_mov_b64_e32 v[20:21], 0x7f800001
	v_bfe_u32 v13, v14, 16, 7
	s_mov_b32 s14, exec_lo
	s_delay_alu instid0(VALU_DEP_1)
	v_cmpx_ne_u32_e32 0x7f, v13
	s_cbranch_execz .LBB208_998
; %bb.995:                              ;   in Loop: Header=BB208_941 Depth=1
	v_dual_lshrrev_b32 v20, 3, v13 :: v_dual_bitop2_b32 v18, 7, v15 bitop3:0x40
	s_mov_b32 s15, exec_lo
	v_cmpx_gt_u32_e32 8, v13
; %bb.996:                              ;   in Loop: Header=BB208_941 Depth=1
	s_delay_alu instid0(VALU_DEP_2) | instskip(NEXT) | instid1(VALU_DEP_1)
	v_clz_i32_u32_e32 v13, v18
	v_min_u32_e32 v13, 32, v13
	s_delay_alu instid0(VALU_DEP_1) | instskip(NEXT) | instid1(VALU_DEP_1)
	v_subrev_nc_u32_e32 v20, 28, v13
	v_lshlrev_b64_e32 v[22:23], v20, v[18:19]
	s_delay_alu instid0(VALU_DEP_1)
	v_dual_sub_nc_u32 v20, 29, v13 :: v_dual_bitop2_b32 v18, 7, v22 bitop3:0x40
; %bb.997:                              ;   in Loop: Header=BB208_941 Depth=1
	s_or_b32 exec_lo, exec_lo, s15
	s_delay_alu instid0(VALU_DEP_1) | instskip(NEXT) | instid1(VALU_DEP_2)
	v_dual_lshlrev_b32 v13, 24, v15 :: v_dual_lshlrev_b32 v15, 20, v18
	v_lshl_add_u32 v18, v20, 23, 0x3c000000
	s_delay_alu instid0(VALU_DEP_2) | instskip(NEXT) | instid1(VALU_DEP_1)
	v_and_b32_e32 v13, 0x80000000, v13
	v_or3_b32 v18, v15, v13, v18
	s_delay_alu instid0(VALU_DEP_1)
	v_mov_b64_e32 v[20:21], v[18:19]
.LBB208_998:                            ;   in Loop: Header=BB208_941 Depth=1
	s_or_b32 exec_lo, exec_lo, s14
.LBB208_999:                            ;   in Loop: Header=BB208_941 Depth=1
	s_delay_alu instid0(SALU_CYCLE_1)
	s_or_b32 exec_lo, exec_lo, s9
.LBB208_1000:                           ;   in Loop: Header=BB208_941 Depth=1
	s_delay_alu instid0(SALU_CYCLE_1) | instskip(NEXT) | instid1(SALU_CYCLE_1)
	s_or_b32 exec_lo, exec_lo, s8
	s_mov_b32 s8, exec_lo
	v_cmpx_lt_u32_e32 0xffffff, v14
	s_cbranch_execz .LBB208_1008
; %bb.1001:                             ;   in Loop: Header=BB208_941 Depth=1
	v_mov_b64_e32 v[16:17], 0x8000000000000000
	v_lshrrev_b32_e32 v15, 24, v14
	s_mov_b32 s9, exec_lo
	s_delay_alu instid0(VALU_DEP_1)
	v_cmpx_ne_u32_e32 0x80, v15
	s_cbranch_execz .LBB208_1007
; %bb.1002:                             ;   in Loop: Header=BB208_941 Depth=1
	v_mov_b64_e32 v[16:17], 0x7f80000100000000
	v_bfe_u32 v13, v14, 24, 7
	s_mov_b32 s14, exec_lo
	s_delay_alu instid0(VALU_DEP_1)
	v_cmpx_ne_u32_e32 0x7f, v13
	s_cbranch_execz .LBB208_1006
; %bb.1003:                             ;   in Loop: Header=BB208_941 Depth=1
	v_dual_lshrrev_b32 v14, 3, v13 :: v_dual_bitop2_b32 v18, 7, v15 bitop3:0x40
	s_mov_b32 s15, exec_lo
	v_cmpx_gt_u32_e32 8, v13
; %bb.1004:                             ;   in Loop: Header=BB208_941 Depth=1
	s_delay_alu instid0(VALU_DEP_2) | instskip(NEXT) | instid1(VALU_DEP_1)
	v_clz_i32_u32_e32 v13, v18
	v_min_u32_e32 v13, 32, v13
	s_delay_alu instid0(VALU_DEP_1) | instskip(NEXT) | instid1(VALU_DEP_1)
	v_subrev_nc_u32_e32 v14, 28, v13
	v_lshlrev_b64_e32 v[16:17], v14, v[18:19]
	s_delay_alu instid0(VALU_DEP_1)
	v_dual_sub_nc_u32 v14, 29, v13 :: v_dual_bitop2_b32 v18, 7, v16 bitop3:0x40
; %bb.1005:                             ;   in Loop: Header=BB208_941 Depth=1
	s_or_b32 exec_lo, exec_lo, s15
	s_delay_alu instid0(VALU_DEP_1) | instskip(NEXT) | instid1(VALU_DEP_2)
	v_dual_lshlrev_b32 v13, 24, v15 :: v_dual_lshlrev_b32 v15, 20, v18
	v_lshl_add_u32 v14, v14, 23, 0x3c000000
	v_mov_b32_e32 v16, v19
	s_delay_alu instid0(VALU_DEP_3) | instskip(NEXT) | instid1(VALU_DEP_1)
	v_and_b32_e32 v13, 0x80000000, v13
	v_or3_b32 v17, v15, v13, v14
.LBB208_1006:                           ;   in Loop: Header=BB208_941 Depth=1
	s_or_b32 exec_lo, exec_lo, s14
.LBB208_1007:                           ;   in Loop: Header=BB208_941 Depth=1
	s_delay_alu instid0(SALU_CYCLE_1)
	s_or_b32 exec_lo, exec_lo, s9
.LBB208_1008:                           ;   in Loop: Header=BB208_941 Depth=1
	s_delay_alu instid0(SALU_CYCLE_1) | instskip(SKIP_4) | instid1(VALU_DEP_3)
	s_or_b32 exec_lo, exec_lo, s8
	v_dual_mov_b32 v71, v70 :: v_dual_bitop2_b32 v7, v7, v9 bitop3:0x54
	v_or_b32_e32 v6, v6, v8
	v_or_b32_e32 v9, v17, v21
	;; [unrolled: 1-line block ×3, first 2 shown]
	v_pk_mul_f32 v[6:7], v[70:71], v[6:7]
	scratch_store_b64 off, v[6:7], s32 offset:260 ; 8-byte Folded Spill
	s_wait_xcnt 0x0
	v_pk_mul_f32 v[6:7], v[70:71], v[8:9]
	scratch_store_b64 off, v[6:7], s32 offset:252 ; 8-byte Folded Spill
	s_wait_xcnt 0x0
	s_and_saveexec_b32 s8, vcc_lo
	s_cbranch_execz .LBB208_1010
; %bb.1009:                             ;   in Loop: Header=BB208_941 Depth=1
	scratch_load_b64 v[6:7], off, s32 offset:192 ; 8-byte Folded Reload
	s_wait_loadcnt 0x0
	v_mov_b32_e32 v8, v6
	scratch_load_b64 v[6:7], off, s32 offset:260 th:TH_LOAD_LU ; 8-byte Folded Reload
	v_cmp_lt_i32_e64 s0, v83, v8
	s_wait_loadcnt 0x0
	s_delay_alu instid0(VALU_DEP_1) | instskip(SKIP_1) | instid1(VALU_DEP_1)
	v_cndmask_b32_e64 v6, 0, v6, s0
	v_cmp_lt_i32_e64 s0, v0, v8
	v_cndmask_b32_e64 v7, 0, v7, s0
	v_cmp_lt_i32_e64 s0, v84, v8
	s_clause 0x1
	scratch_store_b64 off, v[6:7], s32 offset:260
	scratch_load_b64 v[6:7], off, s32 offset:252 th:TH_LOAD_LU
	s_wait_loadcnt 0x0
	v_cndmask_b32_e64 v6, 0, v6, s0
	v_cmp_lt_i32_e64 s0, v1, v8
	s_delay_alu instid0(VALU_DEP_1)
	v_cndmask_b32_e64 v7, 0, v7, s0
	scratch_store_b64 off, v[6:7], s32 offset:252 ; 8-byte Folded Spill
.LBB208_1010:                           ;   in Loop: Header=BB208_941 Depth=1
	s_wait_xcnt 0x0
	s_or_b32 exec_lo, exec_lo, s8
	flat_load_b32 v20, v[80:81] offset:256
	v_mov_b64_e32 v[6:7], 0
	v_mov_b64_e32 v[8:9], 0
	s_mov_b32 s8, exec_lo
	s_wait_loadcnt_dscnt 0x0
	v_and_b32_e32 v13, 0xff, v20
	s_wait_xcnt 0x0
	s_delay_alu instid0(VALU_DEP_1)
	v_cmpx_ne_u16_e32 0, v13
	s_cbranch_execz .LBB208_1018
; %bb.1011:                             ;   in Loop: Header=BB208_941 Depth=1
	v_mov_b64_e32 v[8:9], 0x80000000
	s_mov_b32 s9, exec_lo
	v_cmpx_ne_u16_e32 0x80, v13
	s_cbranch_execz .LBB208_1017
; %bb.1012:                             ;   in Loop: Header=BB208_941 Depth=1
	v_mov_b64_e32 v[8:9], 0x7f800001
	v_and_b32_e32 v13, 0x7f, v20
	s_mov_b32 s14, exec_lo
	s_delay_alu instid0(VALU_DEP_1)
	v_cmpx_ne_u32_e32 0x7f, v13
	s_cbranch_execz .LBB208_1016
; %bb.1013:                             ;   in Loop: Header=BB208_941 Depth=1
	v_dual_lshrrev_b32 v8, 3, v13 :: v_dual_bitop2_b32 v18, 7, v20 bitop3:0x40
	s_mov_b32 s15, exec_lo
	v_cmpx_gt_u32_e32 8, v13
; %bb.1014:                             ;   in Loop: Header=BB208_941 Depth=1
	s_delay_alu instid0(VALU_DEP_2) | instskip(NEXT) | instid1(VALU_DEP_1)
	v_clz_i32_u32_e32 v8, v18
	v_min_u32_e32 v8, 32, v8
	s_delay_alu instid0(VALU_DEP_1) | instskip(NEXT) | instid1(VALU_DEP_1)
	v_subrev_nc_u32_e32 v9, 28, v8
	v_lshlrev_b64_e32 v[14:15], v9, v[18:19]
	s_delay_alu instid0(VALU_DEP_1)
	v_dual_sub_nc_u32 v8, 29, v8 :: v_dual_bitop2_b32 v18, 7, v14 bitop3:0x40
; %bb.1015:                             ;   in Loop: Header=BB208_941 Depth=1
	s_or_b32 exec_lo, exec_lo, s15
	s_delay_alu instid0(VALU_DEP_1) | instskip(NEXT) | instid1(VALU_DEP_2)
	v_dual_lshlrev_b32 v9, 24, v20 :: v_dual_lshlrev_b32 v13, 20, v18
	v_lshl_add_u32 v8, v8, 23, 0x3c000000
	s_delay_alu instid0(VALU_DEP_2) | instskip(NEXT) | instid1(VALU_DEP_1)
	v_and_b32_e32 v9, 0x80000000, v9
	v_or3_b32 v18, v13, v9, v8
	s_delay_alu instid0(VALU_DEP_1)
	v_mov_b64_e32 v[8:9], v[18:19]
.LBB208_1016:                           ;   in Loop: Header=BB208_941 Depth=1
	s_or_b32 exec_lo, exec_lo, s14
.LBB208_1017:                           ;   in Loop: Header=BB208_941 Depth=1
	s_delay_alu instid0(SALU_CYCLE_1)
	s_or_b32 exec_lo, exec_lo, s9
.LBB208_1018:                           ;   in Loop: Header=BB208_941 Depth=1
	s_delay_alu instid0(SALU_CYCLE_1) | instskip(SKIP_2) | instid1(VALU_DEP_1)
	s_or_b32 exec_lo, exec_lo, s8
	v_lshrrev_b16 v14, 8, v20
	s_mov_b32 s8, exec_lo
	v_cmpx_ne_u16_e32 0, v14
	s_cbranch_execz .LBB208_1026
; %bb.1019:                             ;   in Loop: Header=BB208_941 Depth=1
	v_mov_b64_e32 v[6:7], 0x8000000000000000
	s_mov_b32 s9, exec_lo
	v_cmpx_ne_u16_e32 0x80, v14
	s_cbranch_execz .LBB208_1025
; %bb.1020:                             ;   in Loop: Header=BB208_941 Depth=1
	v_and_b32_e32 v14, 0xffff, v14
	v_mov_b64_e32 v[6:7], 0x7f80000100000000
	s_mov_b32 s14, exec_lo
	s_delay_alu instid0(VALU_DEP_2) | instskip(NEXT) | instid1(VALU_DEP_1)
	v_and_b32_e32 v13, 0x7f, v14
	v_cmpx_ne_u32_e32 0x7f, v13
	s_cbranch_execz .LBB208_1024
; %bb.1021:                             ;   in Loop: Header=BB208_941 Depth=1
	v_dual_lshrrev_b32 v6, 3, v13 :: v_dual_bitop2_b32 v18, 7, v14 bitop3:0x40
	s_mov_b32 s15, exec_lo
	v_cmpx_gt_u32_e32 8, v13
; %bb.1022:                             ;   in Loop: Header=BB208_941 Depth=1
	s_delay_alu instid0(VALU_DEP_2) | instskip(NEXT) | instid1(VALU_DEP_1)
	v_clz_i32_u32_e32 v6, v18
	v_min_u32_e32 v6, 32, v6
	s_delay_alu instid0(VALU_DEP_1) | instskip(SKIP_1) | instid1(VALU_DEP_2)
	v_subrev_nc_u32_e32 v7, 28, v6
	v_sub_nc_u32_e32 v6, 29, v6
	v_lshlrev_b64_e32 v[14:15], v7, v[18:19]
	s_delay_alu instid0(VALU_DEP_1)
	v_and_b32_e32 v18, 7, v14
; %bb.1023:                             ;   in Loop: Header=BB208_941 Depth=1
	s_or_b32 exec_lo, exec_lo, s15
	s_delay_alu instid0(VALU_DEP_1) | instskip(SKIP_1) | instid1(VALU_DEP_2)
	v_dual_lshlrev_b32 v7, 16, v20 :: v_dual_lshlrev_b32 v13, 20, v18
	v_lshl_add_u32 v6, v6, 23, 0x3c000000
	v_and_b32_e32 v7, 0x80000000, v7
	s_delay_alu instid0(VALU_DEP_1)
	v_or3_b32 v7, v13, v7, v6
	v_mov_b32_e32 v6, v19
.LBB208_1024:                           ;   in Loop: Header=BB208_941 Depth=1
	s_or_b32 exec_lo, exec_lo, s14
.LBB208_1025:                           ;   in Loop: Header=BB208_941 Depth=1
	s_delay_alu instid0(SALU_CYCLE_1)
	s_or_b32 exec_lo, exec_lo, s9
.LBB208_1026:                           ;   in Loop: Header=BB208_941 Depth=1
	s_delay_alu instid0(SALU_CYCLE_1) | instskip(SKIP_4) | instid1(VALU_DEP_3)
	s_or_b32 exec_lo, exec_lo, s8
	v_lshrrev_b32_e32 v21, 16, v20
	v_mov_b64_e32 v[16:17], 0
	v_mov_b64_e32 v[14:15], 0
	s_mov_b32 s8, exec_lo
	v_and_b32_e32 v13, 0xff, v21
	s_delay_alu instid0(VALU_DEP_1)
	v_cmpx_ne_u16_e32 0, v13
	s_cbranch_execz .LBB208_1034
; %bb.1027:                             ;   in Loop: Header=BB208_941 Depth=1
	v_mov_b64_e32 v[14:15], 0x80000000
	s_mov_b32 s9, exec_lo
	v_cmpx_ne_u16_e32 0x80, v13
	s_cbranch_execz .LBB208_1033
; %bb.1028:                             ;   in Loop: Header=BB208_941 Depth=1
	v_mov_b64_e32 v[14:15], 0x7f800001
	v_bfe_u32 v13, v20, 16, 7
	s_mov_b32 s14, exec_lo
	s_delay_alu instid0(VALU_DEP_1)
	v_cmpx_ne_u32_e32 0x7f, v13
	s_cbranch_execz .LBB208_1032
; %bb.1029:                             ;   in Loop: Header=BB208_941 Depth=1
	v_and_b32_e32 v18, 7, v21
	v_lshrrev_b32_e32 v14, 3, v13
	s_mov_b32 s15, exec_lo
	v_cmpx_gt_u32_e32 8, v13
; %bb.1030:                             ;   in Loop: Header=BB208_941 Depth=1
	s_delay_alu instid0(VALU_DEP_3) | instskip(NEXT) | instid1(VALU_DEP_1)
	v_clz_i32_u32_e32 v13, v18
	v_min_u32_e32 v13, 32, v13
	s_delay_alu instid0(VALU_DEP_1) | instskip(NEXT) | instid1(VALU_DEP_1)
	v_subrev_nc_u32_e32 v14, 28, v13
	v_lshlrev_b64_e32 v[22:23], v14, v[18:19]
	s_delay_alu instid0(VALU_DEP_1)
	v_dual_sub_nc_u32 v14, 29, v13 :: v_dual_bitop2_b32 v18, 7, v22 bitop3:0x40
; %bb.1031:                             ;   in Loop: Header=BB208_941 Depth=1
	s_or_b32 exec_lo, exec_lo, s15
	s_delay_alu instid0(VALU_DEP_1) | instskip(NEXT) | instid1(VALU_DEP_2)
	v_dual_lshlrev_b32 v13, 24, v21 :: v_dual_lshlrev_b32 v15, 20, v18
	v_lshl_add_u32 v14, v14, 23, 0x3c000000
	s_delay_alu instid0(VALU_DEP_2) | instskip(NEXT) | instid1(VALU_DEP_1)
	v_and_b32_e32 v13, 0x80000000, v13
	v_or3_b32 v18, v15, v13, v14
	s_delay_alu instid0(VALU_DEP_1)
	v_mov_b64_e32 v[14:15], v[18:19]
.LBB208_1032:                           ;   in Loop: Header=BB208_941 Depth=1
	s_or_b32 exec_lo, exec_lo, s14
.LBB208_1033:                           ;   in Loop: Header=BB208_941 Depth=1
	s_delay_alu instid0(SALU_CYCLE_1)
	s_or_b32 exec_lo, exec_lo, s9
.LBB208_1034:                           ;   in Loop: Header=BB208_941 Depth=1
	s_delay_alu instid0(SALU_CYCLE_1) | instskip(NEXT) | instid1(SALU_CYCLE_1)
	s_or_b32 exec_lo, exec_lo, s8
	s_mov_b32 s8, exec_lo
	v_cmpx_lt_u32_e32 0xffffff, v20
	s_cbranch_execz .LBB208_1042
; %bb.1035:                             ;   in Loop: Header=BB208_941 Depth=1
	v_mov_b64_e32 v[16:17], 0x8000000000000000
	v_lshrrev_b32_e32 v21, 24, v20
	s_mov_b32 s9, exec_lo
	s_delay_alu instid0(VALU_DEP_1)
	v_cmpx_ne_u32_e32 0x80, v21
	s_cbranch_execz .LBB208_1041
; %bb.1036:                             ;   in Loop: Header=BB208_941 Depth=1
	v_mov_b64_e32 v[16:17], 0x7f80000100000000
	v_bfe_u32 v13, v20, 24, 7
	s_mov_b32 s14, exec_lo
	s_delay_alu instid0(VALU_DEP_1)
	v_cmpx_ne_u32_e32 0x7f, v13
	s_cbranch_execz .LBB208_1040
; %bb.1037:                             ;   in Loop: Header=BB208_941 Depth=1
	v_and_b32_e32 v18, 7, v21
	v_lshrrev_b32_e32 v16, 3, v13
	s_mov_b32 s15, exec_lo
	v_cmpx_gt_u32_e32 8, v13
; %bb.1038:                             ;   in Loop: Header=BB208_941 Depth=1
	s_delay_alu instid0(VALU_DEP_3) | instskip(NEXT) | instid1(VALU_DEP_1)
	v_clz_i32_u32_e32 v13, v18
	v_min_u32_e32 v13, 32, v13
	s_delay_alu instid0(VALU_DEP_1) | instskip(NEXT) | instid1(VALU_DEP_1)
	v_subrev_nc_u32_e32 v16, 28, v13
	v_lshlrev_b64_e32 v[22:23], v16, v[18:19]
	s_delay_alu instid0(VALU_DEP_1)
	v_dual_sub_nc_u32 v16, 29, v13 :: v_dual_bitop2_b32 v18, 7, v22 bitop3:0x40
; %bb.1039:                             ;   in Loop: Header=BB208_941 Depth=1
	s_or_b32 exec_lo, exec_lo, s15
	s_delay_alu instid0(VALU_DEP_1) | instskip(NEXT) | instid1(VALU_DEP_2)
	v_dual_lshlrev_b32 v13, 24, v21 :: v_dual_lshlrev_b32 v17, 20, v18
	v_lshl_add_u32 v16, v16, 23, 0x3c000000
	s_delay_alu instid0(VALU_DEP_2) | instskip(NEXT) | instid1(VALU_DEP_1)
	v_and_b32_e32 v13, 0x80000000, v13
	v_or3_b32 v17, v17, v13, v16
	v_mov_b32_e32 v16, v19
.LBB208_1040:                           ;   in Loop: Header=BB208_941 Depth=1
	s_or_b32 exec_lo, exec_lo, s14
.LBB208_1041:                           ;   in Loop: Header=BB208_941 Depth=1
	s_delay_alu instid0(SALU_CYCLE_1)
	s_or_b32 exec_lo, exec_lo, s9
.LBB208_1042:                           ;   in Loop: Header=BB208_941 Depth=1
	s_delay_alu instid0(SALU_CYCLE_1) | instskip(SKIP_4) | instid1(VALU_DEP_3)
	s_or_b32 exec_lo, exec_lo, s8
	v_or_b32_e32 v7, v7, v9
	v_or_b32_e32 v6, v6, v8
	;; [unrolled: 1-line block ×4, first 2 shown]
	v_pk_mul_f32 v[22:23], v[70:71], v[6:7]
	s_delay_alu instid0(VALU_DEP_2)
	v_pk_mul_f32 v[6:7], v[70:71], v[8:9]
	scratch_store_b64 off, v[6:7], s32 offset:268 ; 8-byte Folded Spill
	s_wait_xcnt 0x0
	s_and_saveexec_b32 s8, vcc_lo
	s_cbranch_execz .LBB208_1044
; %bb.1043:                             ;   in Loop: Header=BB208_941 Depth=1
	s_clause 0x1
	scratch_load_b64 v[6:7], off, s32 offset:192
	scratch_load_b64 v[8:9], off, s32 offset:268 th:TH_LOAD_LU
	s_wait_loadcnt 0x1
	v_cmp_lt_i32_e64 s0, v83, v6
	s_delay_alu instid0(VALU_DEP_1) | instskip(SKIP_1) | instid1(VALU_DEP_1)
	v_cndmask_b32_e64 v22, 0, v22, s0
	v_cmp_lt_i32_e64 s0, v0, v6
	v_cndmask_b32_e64 v23, 0, v23, s0
	v_cmp_lt_i32_e64 s0, v84, v6
	s_wait_loadcnt 0x0
	s_delay_alu instid0(VALU_DEP_1) | instskip(SKIP_1) | instid1(VALU_DEP_1)
	v_cndmask_b32_e64 v8, 0, v8, s0
	v_cmp_lt_i32_e64 s0, v1, v6
	v_cndmask_b32_e64 v9, 0, v9, s0
	scratch_store_b64 off, v[8:9], s32 offset:268 ; 8-byte Folded Spill
.LBB208_1044:                           ;   in Loop: Header=BB208_941 Depth=1
	s_wait_xcnt 0x0
	s_or_b32 exec_lo, exec_lo, s8
	flat_load_b32 v20, v[80:81] offset:384
	v_mov_b64_e32 v[6:7], 0
	v_mov_b64_e32 v[8:9], 0
	s_mov_b32 s8, exec_lo
	s_wait_loadcnt_dscnt 0x0
	v_and_b32_e32 v13, 0xff, v20
	s_wait_xcnt 0x0
	s_delay_alu instid0(VALU_DEP_1)
	v_cmpx_ne_u16_e32 0, v13
	s_cbranch_execz .LBB208_1052
; %bb.1045:                             ;   in Loop: Header=BB208_941 Depth=1
	v_mov_b64_e32 v[8:9], 0x80000000
	s_mov_b32 s9, exec_lo
	v_cmpx_ne_u16_e32 0x80, v13
	s_cbranch_execz .LBB208_1051
; %bb.1046:                             ;   in Loop: Header=BB208_941 Depth=1
	v_mov_b64_e32 v[8:9], 0x7f800001
	v_and_b32_e32 v13, 0x7f, v20
	s_mov_b32 s14, exec_lo
	s_delay_alu instid0(VALU_DEP_1)
	v_cmpx_ne_u32_e32 0x7f, v13
	s_cbranch_execz .LBB208_1050
; %bb.1047:                             ;   in Loop: Header=BB208_941 Depth=1
	v_dual_lshrrev_b32 v8, 3, v13 :: v_dual_bitop2_b32 v18, 7, v20 bitop3:0x40
	s_mov_b32 s15, exec_lo
	v_cmpx_gt_u32_e32 8, v13
; %bb.1048:                             ;   in Loop: Header=BB208_941 Depth=1
	s_delay_alu instid0(VALU_DEP_2) | instskip(NEXT) | instid1(VALU_DEP_1)
	v_clz_i32_u32_e32 v8, v18
	v_min_u32_e32 v8, 32, v8
	s_delay_alu instid0(VALU_DEP_1) | instskip(NEXT) | instid1(VALU_DEP_1)
	v_subrev_nc_u32_e32 v9, 28, v8
	v_lshlrev_b64_e32 v[14:15], v9, v[18:19]
	s_delay_alu instid0(VALU_DEP_1)
	v_dual_sub_nc_u32 v8, 29, v8 :: v_dual_bitop2_b32 v18, 7, v14 bitop3:0x40
; %bb.1049:                             ;   in Loop: Header=BB208_941 Depth=1
	s_or_b32 exec_lo, exec_lo, s15
	s_delay_alu instid0(VALU_DEP_1) | instskip(NEXT) | instid1(VALU_DEP_2)
	v_dual_lshlrev_b32 v9, 24, v20 :: v_dual_lshlrev_b32 v13, 20, v18
	v_lshl_add_u32 v8, v8, 23, 0x3c000000
	s_delay_alu instid0(VALU_DEP_2) | instskip(NEXT) | instid1(VALU_DEP_1)
	v_and_b32_e32 v9, 0x80000000, v9
	v_or3_b32 v18, v13, v9, v8
	s_delay_alu instid0(VALU_DEP_1)
	v_mov_b64_e32 v[8:9], v[18:19]
.LBB208_1050:                           ;   in Loop: Header=BB208_941 Depth=1
	s_or_b32 exec_lo, exec_lo, s14
.LBB208_1051:                           ;   in Loop: Header=BB208_941 Depth=1
	s_delay_alu instid0(SALU_CYCLE_1)
	s_or_b32 exec_lo, exec_lo, s9
.LBB208_1052:                           ;   in Loop: Header=BB208_941 Depth=1
	s_delay_alu instid0(SALU_CYCLE_1) | instskip(SKIP_2) | instid1(VALU_DEP_1)
	s_or_b32 exec_lo, exec_lo, s8
	v_lshrrev_b16 v14, 8, v20
	s_mov_b32 s8, exec_lo
	v_cmpx_ne_u16_e32 0, v14
	s_cbranch_execz .LBB208_1060
; %bb.1053:                             ;   in Loop: Header=BB208_941 Depth=1
	v_mov_b64_e32 v[6:7], 0x8000000000000000
	s_mov_b32 s9, exec_lo
	v_cmpx_ne_u16_e32 0x80, v14
	s_cbranch_execz .LBB208_1059
; %bb.1054:                             ;   in Loop: Header=BB208_941 Depth=1
	v_and_b32_e32 v14, 0xffff, v14
	v_mov_b64_e32 v[6:7], 0x7f80000100000000
	s_mov_b32 s14, exec_lo
	s_delay_alu instid0(VALU_DEP_2) | instskip(NEXT) | instid1(VALU_DEP_1)
	v_and_b32_e32 v13, 0x7f, v14
	v_cmpx_ne_u32_e32 0x7f, v13
	s_cbranch_execz .LBB208_1058
; %bb.1055:                             ;   in Loop: Header=BB208_941 Depth=1
	v_dual_lshrrev_b32 v6, 3, v13 :: v_dual_bitop2_b32 v18, 7, v14 bitop3:0x40
	s_mov_b32 s15, exec_lo
	v_cmpx_gt_u32_e32 8, v13
; %bb.1056:                             ;   in Loop: Header=BB208_941 Depth=1
	s_delay_alu instid0(VALU_DEP_2) | instskip(NEXT) | instid1(VALU_DEP_1)
	v_clz_i32_u32_e32 v6, v18
	v_min_u32_e32 v6, 32, v6
	s_delay_alu instid0(VALU_DEP_1) | instskip(SKIP_1) | instid1(VALU_DEP_2)
	v_subrev_nc_u32_e32 v7, 28, v6
	v_sub_nc_u32_e32 v6, 29, v6
	v_lshlrev_b64_e32 v[14:15], v7, v[18:19]
	s_delay_alu instid0(VALU_DEP_1)
	v_and_b32_e32 v18, 7, v14
; %bb.1057:                             ;   in Loop: Header=BB208_941 Depth=1
	s_or_b32 exec_lo, exec_lo, s15
	s_delay_alu instid0(VALU_DEP_1) | instskip(SKIP_1) | instid1(VALU_DEP_2)
	v_dual_lshlrev_b32 v7, 16, v20 :: v_dual_lshlrev_b32 v13, 20, v18
	v_lshl_add_u32 v6, v6, 23, 0x3c000000
	v_and_b32_e32 v7, 0x80000000, v7
	s_delay_alu instid0(VALU_DEP_1)
	v_or3_b32 v7, v13, v7, v6
	v_mov_b32_e32 v6, v19
.LBB208_1058:                           ;   in Loop: Header=BB208_941 Depth=1
	s_or_b32 exec_lo, exec_lo, s14
.LBB208_1059:                           ;   in Loop: Header=BB208_941 Depth=1
	s_delay_alu instid0(SALU_CYCLE_1)
	s_or_b32 exec_lo, exec_lo, s9
.LBB208_1060:                           ;   in Loop: Header=BB208_941 Depth=1
	s_delay_alu instid0(SALU_CYCLE_1) | instskip(SKIP_4) | instid1(VALU_DEP_3)
	s_or_b32 exec_lo, exec_lo, s8
	v_lshrrev_b32_e32 v21, 16, v20
	v_mov_b64_e32 v[16:17], 0
	v_mov_b64_e32 v[14:15], 0
	s_mov_b32 s8, exec_lo
	v_and_b32_e32 v13, 0xff, v21
	s_delay_alu instid0(VALU_DEP_1)
	v_cmpx_ne_u16_e32 0, v13
	s_cbranch_execz .LBB208_1068
; %bb.1061:                             ;   in Loop: Header=BB208_941 Depth=1
	v_mov_b64_e32 v[14:15], 0x80000000
	s_mov_b32 s9, exec_lo
	v_cmpx_ne_u16_e32 0x80, v13
	s_cbranch_execz .LBB208_1067
; %bb.1062:                             ;   in Loop: Header=BB208_941 Depth=1
	v_mov_b64_e32 v[14:15], 0x7f800001
	v_bfe_u32 v13, v20, 16, 7
	s_mov_b32 s14, exec_lo
	s_delay_alu instid0(VALU_DEP_1)
	v_cmpx_ne_u32_e32 0x7f, v13
	s_cbranch_execz .LBB208_1066
; %bb.1063:                             ;   in Loop: Header=BB208_941 Depth=1
	v_and_b32_e32 v18, 7, v21
	v_lshrrev_b32_e32 v14, 3, v13
	s_mov_b32 s15, exec_lo
	v_cmpx_gt_u32_e32 8, v13
; %bb.1064:                             ;   in Loop: Header=BB208_941 Depth=1
	s_delay_alu instid0(VALU_DEP_3) | instskip(NEXT) | instid1(VALU_DEP_1)
	v_clz_i32_u32_e32 v13, v18
	v_min_u32_e32 v13, 32, v13
	s_delay_alu instid0(VALU_DEP_1) | instskip(NEXT) | instid1(VALU_DEP_1)
	v_subrev_nc_u32_e32 v14, 28, v13
	v_lshlrev_b64_e32 v[24:25], v14, v[18:19]
	s_delay_alu instid0(VALU_DEP_1)
	v_dual_sub_nc_u32 v14, 29, v13 :: v_dual_bitop2_b32 v18, 7, v24 bitop3:0x40
; %bb.1065:                             ;   in Loop: Header=BB208_941 Depth=1
	s_or_b32 exec_lo, exec_lo, s15
	s_delay_alu instid0(VALU_DEP_1) | instskip(NEXT) | instid1(VALU_DEP_2)
	v_dual_lshlrev_b32 v13, 24, v21 :: v_dual_lshlrev_b32 v15, 20, v18
	v_lshl_add_u32 v14, v14, 23, 0x3c000000
	s_delay_alu instid0(VALU_DEP_2) | instskip(NEXT) | instid1(VALU_DEP_1)
	v_and_b32_e32 v13, 0x80000000, v13
	v_or3_b32 v18, v15, v13, v14
	s_delay_alu instid0(VALU_DEP_1)
	v_mov_b64_e32 v[14:15], v[18:19]
.LBB208_1066:                           ;   in Loop: Header=BB208_941 Depth=1
	s_or_b32 exec_lo, exec_lo, s14
.LBB208_1067:                           ;   in Loop: Header=BB208_941 Depth=1
	s_delay_alu instid0(SALU_CYCLE_1)
	s_or_b32 exec_lo, exec_lo, s9
.LBB208_1068:                           ;   in Loop: Header=BB208_941 Depth=1
	s_delay_alu instid0(SALU_CYCLE_1) | instskip(NEXT) | instid1(SALU_CYCLE_1)
	s_or_b32 exec_lo, exec_lo, s8
	s_mov_b32 s8, exec_lo
	v_cmpx_lt_u32_e32 0xffffff, v20
	s_cbranch_execz .LBB208_1076
; %bb.1069:                             ;   in Loop: Header=BB208_941 Depth=1
	v_mov_b64_e32 v[16:17], 0x8000000000000000
	v_lshrrev_b32_e32 v21, 24, v20
	s_mov_b32 s9, exec_lo
	s_delay_alu instid0(VALU_DEP_1)
	v_cmpx_ne_u32_e32 0x80, v21
	s_cbranch_execz .LBB208_1075
; %bb.1070:                             ;   in Loop: Header=BB208_941 Depth=1
	v_mov_b64_e32 v[16:17], 0x7f80000100000000
	v_bfe_u32 v13, v20, 24, 7
	s_mov_b32 s14, exec_lo
	s_delay_alu instid0(VALU_DEP_1)
	v_cmpx_ne_u32_e32 0x7f, v13
	s_cbranch_execz .LBB208_1074
; %bb.1071:                             ;   in Loop: Header=BB208_941 Depth=1
	v_and_b32_e32 v18, 7, v21
	v_lshrrev_b32_e32 v16, 3, v13
	s_mov_b32 s15, exec_lo
	v_cmpx_gt_u32_e32 8, v13
; %bb.1072:                             ;   in Loop: Header=BB208_941 Depth=1
	s_delay_alu instid0(VALU_DEP_3) | instskip(NEXT) | instid1(VALU_DEP_1)
	v_clz_i32_u32_e32 v13, v18
	v_min_u32_e32 v13, 32, v13
	s_delay_alu instid0(VALU_DEP_1) | instskip(NEXT) | instid1(VALU_DEP_1)
	v_subrev_nc_u32_e32 v16, 28, v13
	v_lshlrev_b64_e32 v[24:25], v16, v[18:19]
	s_delay_alu instid0(VALU_DEP_1)
	v_dual_sub_nc_u32 v16, 29, v13 :: v_dual_bitop2_b32 v18, 7, v24 bitop3:0x40
; %bb.1073:                             ;   in Loop: Header=BB208_941 Depth=1
	s_or_b32 exec_lo, exec_lo, s15
	s_delay_alu instid0(VALU_DEP_1) | instskip(NEXT) | instid1(VALU_DEP_2)
	v_dual_lshlrev_b32 v13, 24, v21 :: v_dual_lshlrev_b32 v17, 20, v18
	v_lshl_add_u32 v16, v16, 23, 0x3c000000
	s_delay_alu instid0(VALU_DEP_2) | instskip(NEXT) | instid1(VALU_DEP_1)
	v_and_b32_e32 v13, 0x80000000, v13
	v_or3_b32 v17, v17, v13, v16
	v_mov_b32_e32 v16, v19
.LBB208_1074:                           ;   in Loop: Header=BB208_941 Depth=1
	s_or_b32 exec_lo, exec_lo, s14
.LBB208_1075:                           ;   in Loop: Header=BB208_941 Depth=1
	s_delay_alu instid0(SALU_CYCLE_1)
	s_or_b32 exec_lo, exec_lo, s9
.LBB208_1076:                           ;   in Loop: Header=BB208_941 Depth=1
	s_delay_alu instid0(SALU_CYCLE_1) | instskip(SKIP_4) | instid1(VALU_DEP_3)
	s_or_b32 exec_lo, exec_lo, s8
	v_or_b32_e32 v7, v7, v9
	v_or_b32_e32 v6, v6, v8
	;; [unrolled: 1-line block ×4, first 2 shown]
	v_pk_mul_f32 v[96:97], v[70:71], v[6:7]
	s_delay_alu instid0(VALU_DEP_2)
	v_pk_mul_f32 v[86:87], v[70:71], v[8:9]
	s_and_saveexec_b32 s8, vcc_lo
	s_cbranch_execz .LBB208_1078
; %bb.1077:                             ;   in Loop: Header=BB208_941 Depth=1
	scratch_load_b64 v[6:7], off, s32 offset:192 ; 8-byte Folded Reload
	s_wait_loadcnt 0x0
	v_cmp_lt_i32_e64 s0, v83, v6
	s_delay_alu instid0(VALU_DEP_1) | instskip(SKIP_1) | instid1(VALU_DEP_1)
	v_cndmask_b32_e64 v96, 0, v96, s0
	v_cmp_lt_i32_e64 s0, v0, v6
	v_cndmask_b32_e64 v97, 0, v97, s0
	v_cmp_lt_i32_e64 s0, v84, v6
	s_delay_alu instid0(VALU_DEP_1) | instskip(SKIP_1) | instid1(VALU_DEP_1)
	v_cndmask_b32_e64 v86, 0, v86, s0
	v_cmp_lt_i32_e64 s0, v1, v6
	v_cndmask_b32_e64 v87, 0, v87, s0
.LBB208_1078:                           ;   in Loop: Header=BB208_941 Depth=1
	s_wait_xcnt 0x0
	s_or_b32 exec_lo, exec_lo, s8
	flat_load_b32 v20, v[80:81] offset:512
	v_mov_b64_e32 v[6:7], 0
	v_mov_b64_e32 v[8:9], 0
	s_mov_b32 s8, exec_lo
	s_wait_loadcnt_dscnt 0x0
	v_and_b32_e32 v13, 0xff, v20
	s_wait_xcnt 0x0
	s_delay_alu instid0(VALU_DEP_1)
	v_cmpx_ne_u16_e32 0, v13
	s_cbranch_execz .LBB208_1086
; %bb.1079:                             ;   in Loop: Header=BB208_941 Depth=1
	v_mov_b64_e32 v[8:9], 0x80000000
	s_mov_b32 s9, exec_lo
	v_cmpx_ne_u16_e32 0x80, v13
	s_cbranch_execz .LBB208_1085
; %bb.1080:                             ;   in Loop: Header=BB208_941 Depth=1
	v_mov_b64_e32 v[8:9], 0x7f800001
	v_and_b32_e32 v13, 0x7f, v20
	s_mov_b32 s14, exec_lo
	s_delay_alu instid0(VALU_DEP_1)
	v_cmpx_ne_u32_e32 0x7f, v13
	s_cbranch_execz .LBB208_1084
; %bb.1081:                             ;   in Loop: Header=BB208_941 Depth=1
	v_dual_lshrrev_b32 v8, 3, v13 :: v_dual_bitop2_b32 v18, 7, v20 bitop3:0x40
	s_mov_b32 s15, exec_lo
	v_cmpx_gt_u32_e32 8, v13
; %bb.1082:                             ;   in Loop: Header=BB208_941 Depth=1
	s_delay_alu instid0(VALU_DEP_2) | instskip(NEXT) | instid1(VALU_DEP_1)
	v_clz_i32_u32_e32 v8, v18
	v_min_u32_e32 v8, 32, v8
	s_delay_alu instid0(VALU_DEP_1) | instskip(NEXT) | instid1(VALU_DEP_1)
	v_subrev_nc_u32_e32 v9, 28, v8
	v_lshlrev_b64_e32 v[14:15], v9, v[18:19]
	s_delay_alu instid0(VALU_DEP_1)
	v_dual_sub_nc_u32 v8, 29, v8 :: v_dual_bitop2_b32 v18, 7, v14 bitop3:0x40
; %bb.1083:                             ;   in Loop: Header=BB208_941 Depth=1
	s_or_b32 exec_lo, exec_lo, s15
	s_delay_alu instid0(VALU_DEP_1) | instskip(NEXT) | instid1(VALU_DEP_2)
	v_dual_lshlrev_b32 v9, 24, v20 :: v_dual_lshlrev_b32 v13, 20, v18
	v_lshl_add_u32 v8, v8, 23, 0x3c000000
	s_delay_alu instid0(VALU_DEP_2) | instskip(NEXT) | instid1(VALU_DEP_1)
	v_and_b32_e32 v9, 0x80000000, v9
	v_or3_b32 v18, v13, v9, v8
	s_delay_alu instid0(VALU_DEP_1)
	v_mov_b64_e32 v[8:9], v[18:19]
.LBB208_1084:                           ;   in Loop: Header=BB208_941 Depth=1
	s_or_b32 exec_lo, exec_lo, s14
.LBB208_1085:                           ;   in Loop: Header=BB208_941 Depth=1
	s_delay_alu instid0(SALU_CYCLE_1)
	s_or_b32 exec_lo, exec_lo, s9
.LBB208_1086:                           ;   in Loop: Header=BB208_941 Depth=1
	s_delay_alu instid0(SALU_CYCLE_1) | instskip(SKIP_2) | instid1(VALU_DEP_1)
	s_or_b32 exec_lo, exec_lo, s8
	v_lshrrev_b16 v14, 8, v20
	s_mov_b32 s8, exec_lo
	v_cmpx_ne_u16_e32 0, v14
	s_cbranch_execz .LBB208_1094
; %bb.1087:                             ;   in Loop: Header=BB208_941 Depth=1
	v_mov_b64_e32 v[6:7], 0x8000000000000000
	s_mov_b32 s9, exec_lo
	v_cmpx_ne_u16_e32 0x80, v14
	s_cbranch_execz .LBB208_1093
; %bb.1088:                             ;   in Loop: Header=BB208_941 Depth=1
	v_and_b32_e32 v14, 0xffff, v14
	v_mov_b64_e32 v[6:7], 0x7f80000100000000
	s_mov_b32 s14, exec_lo
	s_delay_alu instid0(VALU_DEP_2) | instskip(NEXT) | instid1(VALU_DEP_1)
	v_and_b32_e32 v13, 0x7f, v14
	v_cmpx_ne_u32_e32 0x7f, v13
	s_cbranch_execz .LBB208_1092
; %bb.1089:                             ;   in Loop: Header=BB208_941 Depth=1
	v_dual_lshrrev_b32 v6, 3, v13 :: v_dual_bitop2_b32 v18, 7, v14 bitop3:0x40
	s_mov_b32 s15, exec_lo
	v_cmpx_gt_u32_e32 8, v13
; %bb.1090:                             ;   in Loop: Header=BB208_941 Depth=1
	s_delay_alu instid0(VALU_DEP_2) | instskip(NEXT) | instid1(VALU_DEP_1)
	v_clz_i32_u32_e32 v6, v18
	v_min_u32_e32 v6, 32, v6
	s_delay_alu instid0(VALU_DEP_1) | instskip(SKIP_1) | instid1(VALU_DEP_2)
	v_subrev_nc_u32_e32 v7, 28, v6
	v_sub_nc_u32_e32 v6, 29, v6
	v_lshlrev_b64_e32 v[14:15], v7, v[18:19]
	s_delay_alu instid0(VALU_DEP_1)
	v_and_b32_e32 v18, 7, v14
; %bb.1091:                             ;   in Loop: Header=BB208_941 Depth=1
	s_or_b32 exec_lo, exec_lo, s15
	s_delay_alu instid0(VALU_DEP_1) | instskip(SKIP_1) | instid1(VALU_DEP_2)
	v_dual_lshlrev_b32 v7, 16, v20 :: v_dual_lshlrev_b32 v13, 20, v18
	v_lshl_add_u32 v6, v6, 23, 0x3c000000
	v_and_b32_e32 v7, 0x80000000, v7
	s_delay_alu instid0(VALU_DEP_1)
	v_or3_b32 v7, v13, v7, v6
	v_mov_b32_e32 v6, v19
.LBB208_1092:                           ;   in Loop: Header=BB208_941 Depth=1
	s_or_b32 exec_lo, exec_lo, s14
.LBB208_1093:                           ;   in Loop: Header=BB208_941 Depth=1
	s_delay_alu instid0(SALU_CYCLE_1)
	s_or_b32 exec_lo, exec_lo, s9
.LBB208_1094:                           ;   in Loop: Header=BB208_941 Depth=1
	s_delay_alu instid0(SALU_CYCLE_1) | instskip(SKIP_4) | instid1(VALU_DEP_3)
	s_or_b32 exec_lo, exec_lo, s8
	v_lshrrev_b32_e32 v21, 16, v20
	v_mov_b64_e32 v[16:17], 0
	v_mov_b64_e32 v[14:15], 0
	s_mov_b32 s8, exec_lo
	v_and_b32_e32 v13, 0xff, v21
	s_delay_alu instid0(VALU_DEP_1)
	v_cmpx_ne_u16_e32 0, v13
	s_cbranch_execz .LBB208_1102
; %bb.1095:                             ;   in Loop: Header=BB208_941 Depth=1
	v_mov_b64_e32 v[14:15], 0x80000000
	s_mov_b32 s9, exec_lo
	v_cmpx_ne_u16_e32 0x80, v13
	s_cbranch_execz .LBB208_1101
; %bb.1096:                             ;   in Loop: Header=BB208_941 Depth=1
	v_mov_b64_e32 v[14:15], 0x7f800001
	v_bfe_u32 v13, v20, 16, 7
	s_mov_b32 s14, exec_lo
	s_delay_alu instid0(VALU_DEP_1)
	v_cmpx_ne_u32_e32 0x7f, v13
	s_cbranch_execz .LBB208_1100
; %bb.1097:                             ;   in Loop: Header=BB208_941 Depth=1
	v_and_b32_e32 v18, 7, v21
	v_lshrrev_b32_e32 v14, 3, v13
	s_mov_b32 s15, exec_lo
	v_cmpx_gt_u32_e32 8, v13
; %bb.1098:                             ;   in Loop: Header=BB208_941 Depth=1
	s_delay_alu instid0(VALU_DEP_3) | instskip(NEXT) | instid1(VALU_DEP_1)
	v_clz_i32_u32_e32 v13, v18
	v_min_u32_e32 v13, 32, v13
	s_delay_alu instid0(VALU_DEP_1) | instskip(NEXT) | instid1(VALU_DEP_1)
	v_subrev_nc_u32_e32 v14, 28, v13
	v_lshlrev_b64_e32 v[24:25], v14, v[18:19]
	s_delay_alu instid0(VALU_DEP_1)
	v_dual_sub_nc_u32 v14, 29, v13 :: v_dual_bitop2_b32 v18, 7, v24 bitop3:0x40
; %bb.1099:                             ;   in Loop: Header=BB208_941 Depth=1
	s_or_b32 exec_lo, exec_lo, s15
	s_delay_alu instid0(VALU_DEP_1) | instskip(NEXT) | instid1(VALU_DEP_2)
	v_dual_lshlrev_b32 v13, 24, v21 :: v_dual_lshlrev_b32 v15, 20, v18
	v_lshl_add_u32 v14, v14, 23, 0x3c000000
	s_delay_alu instid0(VALU_DEP_2) | instskip(NEXT) | instid1(VALU_DEP_1)
	v_and_b32_e32 v13, 0x80000000, v13
	v_or3_b32 v18, v15, v13, v14
	s_delay_alu instid0(VALU_DEP_1)
	v_mov_b64_e32 v[14:15], v[18:19]
.LBB208_1100:                           ;   in Loop: Header=BB208_941 Depth=1
	s_or_b32 exec_lo, exec_lo, s14
.LBB208_1101:                           ;   in Loop: Header=BB208_941 Depth=1
	s_delay_alu instid0(SALU_CYCLE_1)
	s_or_b32 exec_lo, exec_lo, s9
.LBB208_1102:                           ;   in Loop: Header=BB208_941 Depth=1
	s_delay_alu instid0(SALU_CYCLE_1) | instskip(NEXT) | instid1(SALU_CYCLE_1)
	s_or_b32 exec_lo, exec_lo, s8
	s_mov_b32 s8, exec_lo
	v_cmpx_lt_u32_e32 0xffffff, v20
	s_cbranch_execz .LBB208_1110
; %bb.1103:                             ;   in Loop: Header=BB208_941 Depth=1
	v_mov_b64_e32 v[16:17], 0x8000000000000000
	v_lshrrev_b32_e32 v21, 24, v20
	s_mov_b32 s9, exec_lo
	s_delay_alu instid0(VALU_DEP_1)
	v_cmpx_ne_u32_e32 0x80, v21
	s_cbranch_execz .LBB208_1109
; %bb.1104:                             ;   in Loop: Header=BB208_941 Depth=1
	v_mov_b64_e32 v[16:17], 0x7f80000100000000
	v_bfe_u32 v13, v20, 24, 7
	s_mov_b32 s14, exec_lo
	s_delay_alu instid0(VALU_DEP_1)
	v_cmpx_ne_u32_e32 0x7f, v13
	s_cbranch_execz .LBB208_1108
; %bb.1105:                             ;   in Loop: Header=BB208_941 Depth=1
	v_and_b32_e32 v18, 7, v21
	v_lshrrev_b32_e32 v16, 3, v13
	s_mov_b32 s15, exec_lo
	v_cmpx_gt_u32_e32 8, v13
; %bb.1106:                             ;   in Loop: Header=BB208_941 Depth=1
	s_delay_alu instid0(VALU_DEP_3) | instskip(NEXT) | instid1(VALU_DEP_1)
	v_clz_i32_u32_e32 v13, v18
	v_min_u32_e32 v13, 32, v13
	s_delay_alu instid0(VALU_DEP_1) | instskip(NEXT) | instid1(VALU_DEP_1)
	v_subrev_nc_u32_e32 v16, 28, v13
	v_lshlrev_b64_e32 v[24:25], v16, v[18:19]
	s_delay_alu instid0(VALU_DEP_1)
	v_dual_sub_nc_u32 v16, 29, v13 :: v_dual_bitop2_b32 v18, 7, v24 bitop3:0x40
; %bb.1107:                             ;   in Loop: Header=BB208_941 Depth=1
	s_or_b32 exec_lo, exec_lo, s15
	s_delay_alu instid0(VALU_DEP_1) | instskip(NEXT) | instid1(VALU_DEP_2)
	v_dual_lshlrev_b32 v13, 24, v21 :: v_dual_lshlrev_b32 v17, 20, v18
	v_lshl_add_u32 v16, v16, 23, 0x3c000000
	s_delay_alu instid0(VALU_DEP_2) | instskip(NEXT) | instid1(VALU_DEP_1)
	v_and_b32_e32 v13, 0x80000000, v13
	v_or3_b32 v17, v17, v13, v16
	v_mov_b32_e32 v16, v19
.LBB208_1108:                           ;   in Loop: Header=BB208_941 Depth=1
	s_or_b32 exec_lo, exec_lo, s14
.LBB208_1109:                           ;   in Loop: Header=BB208_941 Depth=1
	s_delay_alu instid0(SALU_CYCLE_1)
	s_or_b32 exec_lo, exec_lo, s9
.LBB208_1110:                           ;   in Loop: Header=BB208_941 Depth=1
	s_delay_alu instid0(SALU_CYCLE_1) | instskip(SKIP_4) | instid1(VALU_DEP_3)
	s_or_b32 exec_lo, exec_lo, s8
	v_or_b32_e32 v7, v7, v9
	v_or_b32_e32 v6, v6, v8
	v_or_b32_e32 v9, v17, v15
	v_or_b32_e32 v8, v16, v14
	v_pk_mul_f32 v[100:101], v[70:71], v[6:7]
	s_delay_alu instid0(VALU_DEP_2)
	v_pk_mul_f32 v[98:99], v[70:71], v[8:9]
	s_and_saveexec_b32 s8, vcc_lo
	s_cbranch_execz .LBB208_1112
; %bb.1111:                             ;   in Loop: Header=BB208_941 Depth=1
	scratch_load_b64 v[6:7], off, s32 offset:192 ; 8-byte Folded Reload
	s_wait_loadcnt 0x0
	v_cmp_lt_i32_e64 s0, v83, v6
	s_delay_alu instid0(VALU_DEP_1) | instskip(SKIP_1) | instid1(VALU_DEP_1)
	v_cndmask_b32_e64 v100, 0, v100, s0
	v_cmp_lt_i32_e64 s0, v0, v6
	v_cndmask_b32_e64 v101, 0, v101, s0
	v_cmp_lt_i32_e64 s0, v84, v6
	s_delay_alu instid0(VALU_DEP_1) | instskip(SKIP_1) | instid1(VALU_DEP_1)
	v_cndmask_b32_e64 v98, 0, v98, s0
	v_cmp_lt_i32_e64 s0, v1, v6
	v_cndmask_b32_e64 v99, 0, v99, s0
.LBB208_1112:                           ;   in Loop: Header=BB208_941 Depth=1
	s_wait_xcnt 0x0
	s_or_b32 exec_lo, exec_lo, s8
	flat_load_b32 v20, v[80:81] offset:640
	v_mov_b64_e32 v[6:7], 0
	v_mov_b64_e32 v[8:9], 0
	s_mov_b32 s8, exec_lo
	s_wait_loadcnt_dscnt 0x0
	v_and_b32_e32 v13, 0xff, v20
	s_wait_xcnt 0x0
	s_delay_alu instid0(VALU_DEP_1)
	v_cmpx_ne_u16_e32 0, v13
	s_cbranch_execz .LBB208_1120
; %bb.1113:                             ;   in Loop: Header=BB208_941 Depth=1
	v_mov_b64_e32 v[8:9], 0x80000000
	s_mov_b32 s9, exec_lo
	v_cmpx_ne_u16_e32 0x80, v13
	s_cbranch_execz .LBB208_1119
; %bb.1114:                             ;   in Loop: Header=BB208_941 Depth=1
	v_mov_b64_e32 v[8:9], 0x7f800001
	v_and_b32_e32 v13, 0x7f, v20
	s_mov_b32 s14, exec_lo
	s_delay_alu instid0(VALU_DEP_1)
	v_cmpx_ne_u32_e32 0x7f, v13
	s_cbranch_execz .LBB208_1118
; %bb.1115:                             ;   in Loop: Header=BB208_941 Depth=1
	v_dual_lshrrev_b32 v8, 3, v13 :: v_dual_bitop2_b32 v18, 7, v20 bitop3:0x40
	s_mov_b32 s15, exec_lo
	v_cmpx_gt_u32_e32 8, v13
; %bb.1116:                             ;   in Loop: Header=BB208_941 Depth=1
	s_delay_alu instid0(VALU_DEP_2) | instskip(NEXT) | instid1(VALU_DEP_1)
	v_clz_i32_u32_e32 v8, v18
	v_min_u32_e32 v8, 32, v8
	s_delay_alu instid0(VALU_DEP_1) | instskip(NEXT) | instid1(VALU_DEP_1)
	v_subrev_nc_u32_e32 v9, 28, v8
	v_lshlrev_b64_e32 v[14:15], v9, v[18:19]
	s_delay_alu instid0(VALU_DEP_1)
	v_dual_sub_nc_u32 v8, 29, v8 :: v_dual_bitop2_b32 v18, 7, v14 bitop3:0x40
; %bb.1117:                             ;   in Loop: Header=BB208_941 Depth=1
	s_or_b32 exec_lo, exec_lo, s15
	s_delay_alu instid0(VALU_DEP_1) | instskip(NEXT) | instid1(VALU_DEP_2)
	v_dual_lshlrev_b32 v9, 24, v20 :: v_dual_lshlrev_b32 v13, 20, v18
	v_lshl_add_u32 v8, v8, 23, 0x3c000000
	s_delay_alu instid0(VALU_DEP_2) | instskip(NEXT) | instid1(VALU_DEP_1)
	v_and_b32_e32 v9, 0x80000000, v9
	v_or3_b32 v18, v13, v9, v8
	s_delay_alu instid0(VALU_DEP_1)
	v_mov_b64_e32 v[8:9], v[18:19]
.LBB208_1118:                           ;   in Loop: Header=BB208_941 Depth=1
	s_or_b32 exec_lo, exec_lo, s14
.LBB208_1119:                           ;   in Loop: Header=BB208_941 Depth=1
	s_delay_alu instid0(SALU_CYCLE_1)
	s_or_b32 exec_lo, exec_lo, s9
.LBB208_1120:                           ;   in Loop: Header=BB208_941 Depth=1
	s_delay_alu instid0(SALU_CYCLE_1) | instskip(SKIP_2) | instid1(VALU_DEP_1)
	s_or_b32 exec_lo, exec_lo, s8
	v_lshrrev_b16 v14, 8, v20
	s_mov_b32 s8, exec_lo
	v_cmpx_ne_u16_e32 0, v14
	s_cbranch_execz .LBB208_1128
; %bb.1121:                             ;   in Loop: Header=BB208_941 Depth=1
	v_mov_b64_e32 v[6:7], 0x8000000000000000
	s_mov_b32 s9, exec_lo
	v_cmpx_ne_u16_e32 0x80, v14
	s_cbranch_execz .LBB208_1127
; %bb.1122:                             ;   in Loop: Header=BB208_941 Depth=1
	v_and_b32_e32 v14, 0xffff, v14
	v_mov_b64_e32 v[6:7], 0x7f80000100000000
	s_mov_b32 s14, exec_lo
	s_delay_alu instid0(VALU_DEP_2) | instskip(NEXT) | instid1(VALU_DEP_1)
	v_and_b32_e32 v13, 0x7f, v14
	v_cmpx_ne_u32_e32 0x7f, v13
	s_cbranch_execz .LBB208_1126
; %bb.1123:                             ;   in Loop: Header=BB208_941 Depth=1
	v_dual_lshrrev_b32 v6, 3, v13 :: v_dual_bitop2_b32 v18, 7, v14 bitop3:0x40
	s_mov_b32 s15, exec_lo
	v_cmpx_gt_u32_e32 8, v13
; %bb.1124:                             ;   in Loop: Header=BB208_941 Depth=1
	s_delay_alu instid0(VALU_DEP_2) | instskip(NEXT) | instid1(VALU_DEP_1)
	v_clz_i32_u32_e32 v6, v18
	v_min_u32_e32 v6, 32, v6
	s_delay_alu instid0(VALU_DEP_1) | instskip(SKIP_1) | instid1(VALU_DEP_2)
	v_subrev_nc_u32_e32 v7, 28, v6
	v_sub_nc_u32_e32 v6, 29, v6
	v_lshlrev_b64_e32 v[14:15], v7, v[18:19]
	s_delay_alu instid0(VALU_DEP_1)
	v_and_b32_e32 v18, 7, v14
; %bb.1125:                             ;   in Loop: Header=BB208_941 Depth=1
	s_or_b32 exec_lo, exec_lo, s15
	s_delay_alu instid0(VALU_DEP_1) | instskip(SKIP_1) | instid1(VALU_DEP_2)
	v_dual_lshlrev_b32 v7, 16, v20 :: v_dual_lshlrev_b32 v13, 20, v18
	v_lshl_add_u32 v6, v6, 23, 0x3c000000
	v_and_b32_e32 v7, 0x80000000, v7
	s_delay_alu instid0(VALU_DEP_1)
	v_or3_b32 v7, v13, v7, v6
	v_mov_b32_e32 v6, v19
.LBB208_1126:                           ;   in Loop: Header=BB208_941 Depth=1
	s_or_b32 exec_lo, exec_lo, s14
.LBB208_1127:                           ;   in Loop: Header=BB208_941 Depth=1
	s_delay_alu instid0(SALU_CYCLE_1)
	s_or_b32 exec_lo, exec_lo, s9
.LBB208_1128:                           ;   in Loop: Header=BB208_941 Depth=1
	s_delay_alu instid0(SALU_CYCLE_1) | instskip(SKIP_4) | instid1(VALU_DEP_3)
	s_or_b32 exec_lo, exec_lo, s8
	v_lshrrev_b32_e32 v21, 16, v20
	v_mov_b64_e32 v[16:17], 0
	v_mov_b64_e32 v[14:15], 0
	s_mov_b32 s8, exec_lo
	v_and_b32_e32 v13, 0xff, v21
	s_delay_alu instid0(VALU_DEP_1)
	v_cmpx_ne_u16_e32 0, v13
	s_cbranch_execz .LBB208_1136
; %bb.1129:                             ;   in Loop: Header=BB208_941 Depth=1
	v_mov_b64_e32 v[14:15], 0x80000000
	s_mov_b32 s9, exec_lo
	v_cmpx_ne_u16_e32 0x80, v13
	s_cbranch_execz .LBB208_1135
; %bb.1130:                             ;   in Loop: Header=BB208_941 Depth=1
	v_mov_b64_e32 v[14:15], 0x7f800001
	v_bfe_u32 v13, v20, 16, 7
	s_mov_b32 s14, exec_lo
	s_delay_alu instid0(VALU_DEP_1)
	v_cmpx_ne_u32_e32 0x7f, v13
	s_cbranch_execz .LBB208_1134
; %bb.1131:                             ;   in Loop: Header=BB208_941 Depth=1
	v_and_b32_e32 v18, 7, v21
	v_lshrrev_b32_e32 v14, 3, v13
	s_mov_b32 s15, exec_lo
	v_cmpx_gt_u32_e32 8, v13
; %bb.1132:                             ;   in Loop: Header=BB208_941 Depth=1
	s_delay_alu instid0(VALU_DEP_3) | instskip(NEXT) | instid1(VALU_DEP_1)
	v_clz_i32_u32_e32 v13, v18
	v_min_u32_e32 v13, 32, v13
	s_delay_alu instid0(VALU_DEP_1) | instskip(NEXT) | instid1(VALU_DEP_1)
	v_subrev_nc_u32_e32 v14, 28, v13
	v_lshlrev_b64_e32 v[24:25], v14, v[18:19]
	s_delay_alu instid0(VALU_DEP_1)
	v_dual_sub_nc_u32 v14, 29, v13 :: v_dual_bitop2_b32 v18, 7, v24 bitop3:0x40
; %bb.1133:                             ;   in Loop: Header=BB208_941 Depth=1
	s_or_b32 exec_lo, exec_lo, s15
	s_delay_alu instid0(VALU_DEP_1) | instskip(NEXT) | instid1(VALU_DEP_2)
	v_dual_lshlrev_b32 v13, 24, v21 :: v_dual_lshlrev_b32 v15, 20, v18
	v_lshl_add_u32 v14, v14, 23, 0x3c000000
	s_delay_alu instid0(VALU_DEP_2) | instskip(NEXT) | instid1(VALU_DEP_1)
	v_and_b32_e32 v13, 0x80000000, v13
	v_or3_b32 v18, v15, v13, v14
	s_delay_alu instid0(VALU_DEP_1)
	v_mov_b64_e32 v[14:15], v[18:19]
.LBB208_1134:                           ;   in Loop: Header=BB208_941 Depth=1
	s_or_b32 exec_lo, exec_lo, s14
.LBB208_1135:                           ;   in Loop: Header=BB208_941 Depth=1
	s_delay_alu instid0(SALU_CYCLE_1)
	s_or_b32 exec_lo, exec_lo, s9
.LBB208_1136:                           ;   in Loop: Header=BB208_941 Depth=1
	s_delay_alu instid0(SALU_CYCLE_1) | instskip(NEXT) | instid1(SALU_CYCLE_1)
	s_or_b32 exec_lo, exec_lo, s8
	s_mov_b32 s8, exec_lo
	v_cmpx_lt_u32_e32 0xffffff, v20
	s_cbranch_execz .LBB208_1144
; %bb.1137:                             ;   in Loop: Header=BB208_941 Depth=1
	v_mov_b64_e32 v[16:17], 0x8000000000000000
	v_lshrrev_b32_e32 v21, 24, v20
	s_mov_b32 s9, exec_lo
	s_delay_alu instid0(VALU_DEP_1)
	v_cmpx_ne_u32_e32 0x80, v21
	s_cbranch_execz .LBB208_1143
; %bb.1138:                             ;   in Loop: Header=BB208_941 Depth=1
	v_mov_b64_e32 v[16:17], 0x7f80000100000000
	v_bfe_u32 v13, v20, 24, 7
	s_mov_b32 s14, exec_lo
	s_delay_alu instid0(VALU_DEP_1)
	v_cmpx_ne_u32_e32 0x7f, v13
	s_cbranch_execz .LBB208_1142
; %bb.1139:                             ;   in Loop: Header=BB208_941 Depth=1
	v_and_b32_e32 v18, 7, v21
	v_lshrrev_b32_e32 v16, 3, v13
	s_mov_b32 s15, exec_lo
	v_cmpx_gt_u32_e32 8, v13
; %bb.1140:                             ;   in Loop: Header=BB208_941 Depth=1
	s_delay_alu instid0(VALU_DEP_3) | instskip(NEXT) | instid1(VALU_DEP_1)
	v_clz_i32_u32_e32 v13, v18
	v_min_u32_e32 v13, 32, v13
	s_delay_alu instid0(VALU_DEP_1) | instskip(NEXT) | instid1(VALU_DEP_1)
	v_subrev_nc_u32_e32 v16, 28, v13
	v_lshlrev_b64_e32 v[24:25], v16, v[18:19]
	s_delay_alu instid0(VALU_DEP_1)
	v_dual_sub_nc_u32 v16, 29, v13 :: v_dual_bitop2_b32 v18, 7, v24 bitop3:0x40
; %bb.1141:                             ;   in Loop: Header=BB208_941 Depth=1
	s_or_b32 exec_lo, exec_lo, s15
	s_delay_alu instid0(VALU_DEP_1) | instskip(NEXT) | instid1(VALU_DEP_2)
	v_dual_lshlrev_b32 v13, 24, v21 :: v_dual_lshlrev_b32 v17, 20, v18
	v_lshl_add_u32 v16, v16, 23, 0x3c000000
	s_delay_alu instid0(VALU_DEP_2) | instskip(NEXT) | instid1(VALU_DEP_1)
	v_and_b32_e32 v13, 0x80000000, v13
	v_or3_b32 v17, v17, v13, v16
	v_mov_b32_e32 v16, v19
.LBB208_1142:                           ;   in Loop: Header=BB208_941 Depth=1
	s_or_b32 exec_lo, exec_lo, s14
.LBB208_1143:                           ;   in Loop: Header=BB208_941 Depth=1
	s_delay_alu instid0(SALU_CYCLE_1)
	s_or_b32 exec_lo, exec_lo, s9
.LBB208_1144:                           ;   in Loop: Header=BB208_941 Depth=1
	s_delay_alu instid0(SALU_CYCLE_1) | instskip(SKIP_4) | instid1(VALU_DEP_3)
	s_or_b32 exec_lo, exec_lo, s8
	v_or_b32_e32 v7, v7, v9
	v_or_b32_e32 v6, v6, v8
	;; [unrolled: 1-line block ×4, first 2 shown]
	v_pk_mul_f32 v[112:113], v[70:71], v[6:7]
	s_delay_alu instid0(VALU_DEP_2)
	v_pk_mul_f32 v[102:103], v[70:71], v[8:9]
	s_and_saveexec_b32 s8, vcc_lo
	s_cbranch_execz .LBB208_1146
; %bb.1145:                             ;   in Loop: Header=BB208_941 Depth=1
	scratch_load_b64 v[6:7], off, s32 offset:192 ; 8-byte Folded Reload
	s_wait_loadcnt 0x0
	v_cmp_lt_i32_e64 s0, v83, v6
	s_delay_alu instid0(VALU_DEP_1) | instskip(SKIP_1) | instid1(VALU_DEP_1)
	v_cndmask_b32_e64 v112, 0, v112, s0
	v_cmp_lt_i32_e64 s0, v0, v6
	v_cndmask_b32_e64 v113, 0, v113, s0
	v_cmp_lt_i32_e64 s0, v84, v6
	s_delay_alu instid0(VALU_DEP_1) | instskip(SKIP_1) | instid1(VALU_DEP_1)
	v_cndmask_b32_e64 v102, 0, v102, s0
	v_cmp_lt_i32_e64 s0, v1, v6
	v_cndmask_b32_e64 v103, 0, v103, s0
.LBB208_1146:                           ;   in Loop: Header=BB208_941 Depth=1
	s_wait_xcnt 0x0
	s_or_b32 exec_lo, exec_lo, s8
	flat_load_b32 v20, v[80:81] offset:768
	v_mov_b64_e32 v[6:7], 0
	v_mov_b64_e32 v[8:9], 0
	s_mov_b32 s8, exec_lo
	s_wait_loadcnt_dscnt 0x0
	v_and_b32_e32 v13, 0xff, v20
	s_wait_xcnt 0x0
	s_delay_alu instid0(VALU_DEP_1)
	v_cmpx_ne_u16_e32 0, v13
	s_cbranch_execz .LBB208_1154
; %bb.1147:                             ;   in Loop: Header=BB208_941 Depth=1
	v_mov_b64_e32 v[8:9], 0x80000000
	s_mov_b32 s9, exec_lo
	v_cmpx_ne_u16_e32 0x80, v13
	s_cbranch_execz .LBB208_1153
; %bb.1148:                             ;   in Loop: Header=BB208_941 Depth=1
	v_mov_b64_e32 v[8:9], 0x7f800001
	v_and_b32_e32 v13, 0x7f, v20
	s_mov_b32 s14, exec_lo
	s_delay_alu instid0(VALU_DEP_1)
	v_cmpx_ne_u32_e32 0x7f, v13
	s_cbranch_execz .LBB208_1152
; %bb.1149:                             ;   in Loop: Header=BB208_941 Depth=1
	v_dual_lshrrev_b32 v8, 3, v13 :: v_dual_bitop2_b32 v18, 7, v20 bitop3:0x40
	s_mov_b32 s15, exec_lo
	v_cmpx_gt_u32_e32 8, v13
; %bb.1150:                             ;   in Loop: Header=BB208_941 Depth=1
	s_delay_alu instid0(VALU_DEP_2) | instskip(NEXT) | instid1(VALU_DEP_1)
	v_clz_i32_u32_e32 v8, v18
	v_min_u32_e32 v8, 32, v8
	s_delay_alu instid0(VALU_DEP_1) | instskip(NEXT) | instid1(VALU_DEP_1)
	v_subrev_nc_u32_e32 v9, 28, v8
	v_lshlrev_b64_e32 v[14:15], v9, v[18:19]
	s_delay_alu instid0(VALU_DEP_1)
	v_dual_sub_nc_u32 v8, 29, v8 :: v_dual_bitop2_b32 v18, 7, v14 bitop3:0x40
; %bb.1151:                             ;   in Loop: Header=BB208_941 Depth=1
	s_or_b32 exec_lo, exec_lo, s15
	s_delay_alu instid0(VALU_DEP_1) | instskip(NEXT) | instid1(VALU_DEP_2)
	v_dual_lshlrev_b32 v9, 24, v20 :: v_dual_lshlrev_b32 v13, 20, v18
	v_lshl_add_u32 v8, v8, 23, 0x3c000000
	s_delay_alu instid0(VALU_DEP_2) | instskip(NEXT) | instid1(VALU_DEP_1)
	v_and_b32_e32 v9, 0x80000000, v9
	v_or3_b32 v18, v13, v9, v8
	s_delay_alu instid0(VALU_DEP_1)
	v_mov_b64_e32 v[8:9], v[18:19]
.LBB208_1152:                           ;   in Loop: Header=BB208_941 Depth=1
	s_or_b32 exec_lo, exec_lo, s14
.LBB208_1153:                           ;   in Loop: Header=BB208_941 Depth=1
	s_delay_alu instid0(SALU_CYCLE_1)
	s_or_b32 exec_lo, exec_lo, s9
.LBB208_1154:                           ;   in Loop: Header=BB208_941 Depth=1
	s_delay_alu instid0(SALU_CYCLE_1) | instskip(SKIP_2) | instid1(VALU_DEP_1)
	s_or_b32 exec_lo, exec_lo, s8
	v_lshrrev_b16 v14, 8, v20
	s_mov_b32 s8, exec_lo
	v_cmpx_ne_u16_e32 0, v14
	s_cbranch_execz .LBB208_1162
; %bb.1155:                             ;   in Loop: Header=BB208_941 Depth=1
	v_mov_b64_e32 v[6:7], 0x8000000000000000
	s_mov_b32 s9, exec_lo
	v_cmpx_ne_u16_e32 0x80, v14
	s_cbranch_execz .LBB208_1161
; %bb.1156:                             ;   in Loop: Header=BB208_941 Depth=1
	v_and_b32_e32 v14, 0xffff, v14
	v_mov_b64_e32 v[6:7], 0x7f80000100000000
	s_mov_b32 s14, exec_lo
	s_delay_alu instid0(VALU_DEP_2) | instskip(NEXT) | instid1(VALU_DEP_1)
	v_and_b32_e32 v13, 0x7f, v14
	v_cmpx_ne_u32_e32 0x7f, v13
	s_cbranch_execz .LBB208_1160
; %bb.1157:                             ;   in Loop: Header=BB208_941 Depth=1
	v_dual_lshrrev_b32 v6, 3, v13 :: v_dual_bitop2_b32 v18, 7, v14 bitop3:0x40
	s_mov_b32 s15, exec_lo
	v_cmpx_gt_u32_e32 8, v13
; %bb.1158:                             ;   in Loop: Header=BB208_941 Depth=1
	s_delay_alu instid0(VALU_DEP_2) | instskip(NEXT) | instid1(VALU_DEP_1)
	v_clz_i32_u32_e32 v6, v18
	v_min_u32_e32 v6, 32, v6
	s_delay_alu instid0(VALU_DEP_1) | instskip(SKIP_1) | instid1(VALU_DEP_2)
	v_subrev_nc_u32_e32 v7, 28, v6
	v_sub_nc_u32_e32 v6, 29, v6
	v_lshlrev_b64_e32 v[14:15], v7, v[18:19]
	s_delay_alu instid0(VALU_DEP_1)
	v_and_b32_e32 v18, 7, v14
; %bb.1159:                             ;   in Loop: Header=BB208_941 Depth=1
	s_or_b32 exec_lo, exec_lo, s15
	s_delay_alu instid0(VALU_DEP_1) | instskip(SKIP_1) | instid1(VALU_DEP_2)
	v_dual_lshlrev_b32 v7, 16, v20 :: v_dual_lshlrev_b32 v13, 20, v18
	v_lshl_add_u32 v6, v6, 23, 0x3c000000
	v_and_b32_e32 v7, 0x80000000, v7
	s_delay_alu instid0(VALU_DEP_1)
	v_or3_b32 v7, v13, v7, v6
	v_mov_b32_e32 v6, v19
.LBB208_1160:                           ;   in Loop: Header=BB208_941 Depth=1
	s_or_b32 exec_lo, exec_lo, s14
.LBB208_1161:                           ;   in Loop: Header=BB208_941 Depth=1
	s_delay_alu instid0(SALU_CYCLE_1)
	s_or_b32 exec_lo, exec_lo, s9
.LBB208_1162:                           ;   in Loop: Header=BB208_941 Depth=1
	s_delay_alu instid0(SALU_CYCLE_1) | instskip(SKIP_4) | instid1(VALU_DEP_3)
	s_or_b32 exec_lo, exec_lo, s8
	v_lshrrev_b32_e32 v21, 16, v20
	v_mov_b64_e32 v[16:17], 0
	v_mov_b64_e32 v[14:15], 0
	s_mov_b32 s8, exec_lo
	v_and_b32_e32 v13, 0xff, v21
	s_delay_alu instid0(VALU_DEP_1)
	v_cmpx_ne_u16_e32 0, v13
	s_cbranch_execz .LBB208_1170
; %bb.1163:                             ;   in Loop: Header=BB208_941 Depth=1
	v_mov_b64_e32 v[14:15], 0x80000000
	s_mov_b32 s9, exec_lo
	v_cmpx_ne_u16_e32 0x80, v13
	s_cbranch_execz .LBB208_1169
; %bb.1164:                             ;   in Loop: Header=BB208_941 Depth=1
	v_mov_b64_e32 v[14:15], 0x7f800001
	v_bfe_u32 v13, v20, 16, 7
	s_mov_b32 s14, exec_lo
	s_delay_alu instid0(VALU_DEP_1)
	v_cmpx_ne_u32_e32 0x7f, v13
	s_cbranch_execz .LBB208_1168
; %bb.1165:                             ;   in Loop: Header=BB208_941 Depth=1
	v_and_b32_e32 v18, 7, v21
	v_lshrrev_b32_e32 v14, 3, v13
	s_mov_b32 s15, exec_lo
	v_cmpx_gt_u32_e32 8, v13
; %bb.1166:                             ;   in Loop: Header=BB208_941 Depth=1
	s_delay_alu instid0(VALU_DEP_3) | instskip(NEXT) | instid1(VALU_DEP_1)
	v_clz_i32_u32_e32 v13, v18
	v_min_u32_e32 v13, 32, v13
	s_delay_alu instid0(VALU_DEP_1) | instskip(NEXT) | instid1(VALU_DEP_1)
	v_subrev_nc_u32_e32 v14, 28, v13
	v_lshlrev_b64_e32 v[24:25], v14, v[18:19]
	s_delay_alu instid0(VALU_DEP_1)
	v_dual_sub_nc_u32 v14, 29, v13 :: v_dual_bitop2_b32 v18, 7, v24 bitop3:0x40
; %bb.1167:                             ;   in Loop: Header=BB208_941 Depth=1
	s_or_b32 exec_lo, exec_lo, s15
	s_delay_alu instid0(VALU_DEP_1) | instskip(NEXT) | instid1(VALU_DEP_2)
	v_dual_lshlrev_b32 v13, 24, v21 :: v_dual_lshlrev_b32 v15, 20, v18
	v_lshl_add_u32 v14, v14, 23, 0x3c000000
	s_delay_alu instid0(VALU_DEP_2) | instskip(NEXT) | instid1(VALU_DEP_1)
	v_and_b32_e32 v13, 0x80000000, v13
	v_or3_b32 v18, v15, v13, v14
	s_delay_alu instid0(VALU_DEP_1)
	v_mov_b64_e32 v[14:15], v[18:19]
.LBB208_1168:                           ;   in Loop: Header=BB208_941 Depth=1
	s_or_b32 exec_lo, exec_lo, s14
.LBB208_1169:                           ;   in Loop: Header=BB208_941 Depth=1
	s_delay_alu instid0(SALU_CYCLE_1)
	s_or_b32 exec_lo, exec_lo, s9
.LBB208_1170:                           ;   in Loop: Header=BB208_941 Depth=1
	s_delay_alu instid0(SALU_CYCLE_1) | instskip(NEXT) | instid1(SALU_CYCLE_1)
	s_or_b32 exec_lo, exec_lo, s8
	s_mov_b32 s8, exec_lo
	v_cmpx_lt_u32_e32 0xffffff, v20
	s_cbranch_execz .LBB208_1178
; %bb.1171:                             ;   in Loop: Header=BB208_941 Depth=1
	v_mov_b64_e32 v[16:17], 0x8000000000000000
	v_lshrrev_b32_e32 v21, 24, v20
	s_mov_b32 s9, exec_lo
	s_delay_alu instid0(VALU_DEP_1)
	v_cmpx_ne_u32_e32 0x80, v21
	s_cbranch_execz .LBB208_1177
; %bb.1172:                             ;   in Loop: Header=BB208_941 Depth=1
	v_mov_b64_e32 v[16:17], 0x7f80000100000000
	v_bfe_u32 v13, v20, 24, 7
	s_mov_b32 s14, exec_lo
	s_delay_alu instid0(VALU_DEP_1)
	v_cmpx_ne_u32_e32 0x7f, v13
	s_cbranch_execz .LBB208_1176
; %bb.1173:                             ;   in Loop: Header=BB208_941 Depth=1
	v_and_b32_e32 v18, 7, v21
	v_lshrrev_b32_e32 v16, 3, v13
	s_mov_b32 s15, exec_lo
	v_cmpx_gt_u32_e32 8, v13
; %bb.1174:                             ;   in Loop: Header=BB208_941 Depth=1
	s_delay_alu instid0(VALU_DEP_3) | instskip(NEXT) | instid1(VALU_DEP_1)
	v_clz_i32_u32_e32 v13, v18
	v_min_u32_e32 v13, 32, v13
	s_delay_alu instid0(VALU_DEP_1) | instskip(NEXT) | instid1(VALU_DEP_1)
	v_subrev_nc_u32_e32 v16, 28, v13
	v_lshlrev_b64_e32 v[24:25], v16, v[18:19]
	s_delay_alu instid0(VALU_DEP_1)
	v_dual_sub_nc_u32 v16, 29, v13 :: v_dual_bitop2_b32 v18, 7, v24 bitop3:0x40
; %bb.1175:                             ;   in Loop: Header=BB208_941 Depth=1
	s_or_b32 exec_lo, exec_lo, s15
	s_delay_alu instid0(VALU_DEP_1) | instskip(NEXT) | instid1(VALU_DEP_2)
	v_dual_lshlrev_b32 v13, 24, v21 :: v_dual_lshlrev_b32 v17, 20, v18
	v_lshl_add_u32 v16, v16, 23, 0x3c000000
	s_delay_alu instid0(VALU_DEP_2) | instskip(NEXT) | instid1(VALU_DEP_1)
	v_and_b32_e32 v13, 0x80000000, v13
	v_or3_b32 v17, v17, v13, v16
	v_mov_b32_e32 v16, v19
.LBB208_1176:                           ;   in Loop: Header=BB208_941 Depth=1
	s_or_b32 exec_lo, exec_lo, s14
.LBB208_1177:                           ;   in Loop: Header=BB208_941 Depth=1
	s_delay_alu instid0(SALU_CYCLE_1)
	s_or_b32 exec_lo, exec_lo, s9
.LBB208_1178:                           ;   in Loop: Header=BB208_941 Depth=1
	s_delay_alu instid0(SALU_CYCLE_1) | instskip(SKIP_4) | instid1(VALU_DEP_3)
	s_or_b32 exec_lo, exec_lo, s8
	v_or_b32_e32 v7, v7, v9
	v_or_b32_e32 v6, v6, v8
	v_or_b32_e32 v9, v17, v15
	v_or_b32_e32 v8, v16, v14
	v_pk_mul_f32 v[116:117], v[70:71], v[6:7]
	s_delay_alu instid0(VALU_DEP_2)
	v_pk_mul_f32 v[114:115], v[70:71], v[8:9]
	s_and_saveexec_b32 s8, vcc_lo
	s_cbranch_execz .LBB208_1180
; %bb.1179:                             ;   in Loop: Header=BB208_941 Depth=1
	scratch_load_b64 v[6:7], off, s32 offset:192 ; 8-byte Folded Reload
	s_wait_loadcnt 0x0
	v_cmp_lt_i32_e64 s0, v83, v6
	s_delay_alu instid0(VALU_DEP_1) | instskip(SKIP_1) | instid1(VALU_DEP_1)
	v_cndmask_b32_e64 v116, 0, v116, s0
	v_cmp_lt_i32_e64 s0, v0, v6
	v_cndmask_b32_e64 v117, 0, v117, s0
	v_cmp_lt_i32_e64 s0, v84, v6
	s_delay_alu instid0(VALU_DEP_1) | instskip(SKIP_1) | instid1(VALU_DEP_1)
	v_cndmask_b32_e64 v114, 0, v114, s0
	v_cmp_lt_i32_e64 s0, v1, v6
	v_cndmask_b32_e64 v115, 0, v115, s0
.LBB208_1180:                           ;   in Loop: Header=BB208_941 Depth=1
	s_wait_xcnt 0x0
	s_or_b32 exec_lo, exec_lo, s8
	flat_load_b32 v20, v[80:81] offset:896
	v_mov_b64_e32 v[6:7], 0
	v_mov_b64_e32 v[8:9], 0
	s_mov_b32 s8, exec_lo
	s_wait_loadcnt_dscnt 0x0
	v_and_b32_e32 v13, 0xff, v20
	s_wait_xcnt 0x0
	s_delay_alu instid0(VALU_DEP_1)
	v_cmpx_ne_u16_e32 0, v13
	s_cbranch_execz .LBB208_1188
; %bb.1181:                             ;   in Loop: Header=BB208_941 Depth=1
	v_mov_b64_e32 v[8:9], 0x80000000
	s_mov_b32 s9, exec_lo
	v_cmpx_ne_u16_e32 0x80, v13
	s_cbranch_execz .LBB208_1187
; %bb.1182:                             ;   in Loop: Header=BB208_941 Depth=1
	v_mov_b64_e32 v[8:9], 0x7f800001
	v_and_b32_e32 v13, 0x7f, v20
	s_mov_b32 s14, exec_lo
	s_delay_alu instid0(VALU_DEP_1)
	v_cmpx_ne_u32_e32 0x7f, v13
	s_cbranch_execz .LBB208_1186
; %bb.1183:                             ;   in Loop: Header=BB208_941 Depth=1
	v_dual_lshrrev_b32 v8, 3, v13 :: v_dual_bitop2_b32 v18, 7, v20 bitop3:0x40
	s_mov_b32 s15, exec_lo
	v_cmpx_gt_u32_e32 8, v13
; %bb.1184:                             ;   in Loop: Header=BB208_941 Depth=1
	s_delay_alu instid0(VALU_DEP_2) | instskip(NEXT) | instid1(VALU_DEP_1)
	v_clz_i32_u32_e32 v8, v18
	v_min_u32_e32 v8, 32, v8
	s_delay_alu instid0(VALU_DEP_1) | instskip(NEXT) | instid1(VALU_DEP_1)
	v_subrev_nc_u32_e32 v9, 28, v8
	v_lshlrev_b64_e32 v[14:15], v9, v[18:19]
	s_delay_alu instid0(VALU_DEP_1)
	v_dual_sub_nc_u32 v8, 29, v8 :: v_dual_bitop2_b32 v18, 7, v14 bitop3:0x40
; %bb.1185:                             ;   in Loop: Header=BB208_941 Depth=1
	s_or_b32 exec_lo, exec_lo, s15
	s_delay_alu instid0(VALU_DEP_1) | instskip(NEXT) | instid1(VALU_DEP_2)
	v_dual_lshlrev_b32 v9, 24, v20 :: v_dual_lshlrev_b32 v13, 20, v18
	v_lshl_add_u32 v8, v8, 23, 0x3c000000
	s_delay_alu instid0(VALU_DEP_2) | instskip(NEXT) | instid1(VALU_DEP_1)
	v_and_b32_e32 v9, 0x80000000, v9
	v_or3_b32 v18, v13, v9, v8
	s_delay_alu instid0(VALU_DEP_1)
	v_mov_b64_e32 v[8:9], v[18:19]
.LBB208_1186:                           ;   in Loop: Header=BB208_941 Depth=1
	s_or_b32 exec_lo, exec_lo, s14
.LBB208_1187:                           ;   in Loop: Header=BB208_941 Depth=1
	s_delay_alu instid0(SALU_CYCLE_1)
	s_or_b32 exec_lo, exec_lo, s9
.LBB208_1188:                           ;   in Loop: Header=BB208_941 Depth=1
	s_delay_alu instid0(SALU_CYCLE_1) | instskip(SKIP_2) | instid1(VALU_DEP_1)
	s_or_b32 exec_lo, exec_lo, s8
	v_lshrrev_b16 v14, 8, v20
	s_mov_b32 s8, exec_lo
	v_cmpx_ne_u16_e32 0, v14
	s_cbranch_execz .LBB208_1196
; %bb.1189:                             ;   in Loop: Header=BB208_941 Depth=1
	v_mov_b64_e32 v[6:7], 0x8000000000000000
	s_mov_b32 s9, exec_lo
	v_cmpx_ne_u16_e32 0x80, v14
	s_cbranch_execz .LBB208_1195
; %bb.1190:                             ;   in Loop: Header=BB208_941 Depth=1
	v_and_b32_e32 v14, 0xffff, v14
	v_mov_b64_e32 v[6:7], 0x7f80000100000000
	s_mov_b32 s14, exec_lo
	s_delay_alu instid0(VALU_DEP_2) | instskip(NEXT) | instid1(VALU_DEP_1)
	v_and_b32_e32 v13, 0x7f, v14
	v_cmpx_ne_u32_e32 0x7f, v13
	s_cbranch_execz .LBB208_1194
; %bb.1191:                             ;   in Loop: Header=BB208_941 Depth=1
	v_dual_lshrrev_b32 v6, 3, v13 :: v_dual_bitop2_b32 v18, 7, v14 bitop3:0x40
	s_mov_b32 s15, exec_lo
	v_cmpx_gt_u32_e32 8, v13
; %bb.1192:                             ;   in Loop: Header=BB208_941 Depth=1
	s_delay_alu instid0(VALU_DEP_2) | instskip(NEXT) | instid1(VALU_DEP_1)
	v_clz_i32_u32_e32 v6, v18
	v_min_u32_e32 v6, 32, v6
	s_delay_alu instid0(VALU_DEP_1) | instskip(SKIP_1) | instid1(VALU_DEP_2)
	v_subrev_nc_u32_e32 v7, 28, v6
	v_sub_nc_u32_e32 v6, 29, v6
	v_lshlrev_b64_e32 v[14:15], v7, v[18:19]
	s_delay_alu instid0(VALU_DEP_1)
	v_and_b32_e32 v18, 7, v14
; %bb.1193:                             ;   in Loop: Header=BB208_941 Depth=1
	s_or_b32 exec_lo, exec_lo, s15
	s_delay_alu instid0(VALU_DEP_1) | instskip(SKIP_1) | instid1(VALU_DEP_2)
	v_dual_lshlrev_b32 v7, 16, v20 :: v_dual_lshlrev_b32 v13, 20, v18
	v_lshl_add_u32 v6, v6, 23, 0x3c000000
	v_and_b32_e32 v7, 0x80000000, v7
	s_delay_alu instid0(VALU_DEP_1)
	v_or3_b32 v7, v13, v7, v6
	v_mov_b32_e32 v6, v19
.LBB208_1194:                           ;   in Loop: Header=BB208_941 Depth=1
	s_or_b32 exec_lo, exec_lo, s14
.LBB208_1195:                           ;   in Loop: Header=BB208_941 Depth=1
	s_delay_alu instid0(SALU_CYCLE_1)
	s_or_b32 exec_lo, exec_lo, s9
.LBB208_1196:                           ;   in Loop: Header=BB208_941 Depth=1
	s_delay_alu instid0(SALU_CYCLE_1) | instskip(SKIP_4) | instid1(VALU_DEP_3)
	s_or_b32 exec_lo, exec_lo, s8
	v_lshrrev_b32_e32 v21, 16, v20
	v_mov_b64_e32 v[16:17], 0
	v_mov_b64_e32 v[14:15], 0
	s_mov_b32 s8, exec_lo
	v_and_b32_e32 v13, 0xff, v21
	s_delay_alu instid0(VALU_DEP_1)
	v_cmpx_ne_u16_e32 0, v13
	s_cbranch_execz .LBB208_1204
; %bb.1197:                             ;   in Loop: Header=BB208_941 Depth=1
	v_mov_b64_e32 v[14:15], 0x80000000
	s_mov_b32 s9, exec_lo
	v_cmpx_ne_u16_e32 0x80, v13
	s_cbranch_execz .LBB208_1203
; %bb.1198:                             ;   in Loop: Header=BB208_941 Depth=1
	v_mov_b64_e32 v[14:15], 0x7f800001
	v_bfe_u32 v13, v20, 16, 7
	s_mov_b32 s14, exec_lo
	s_delay_alu instid0(VALU_DEP_1)
	v_cmpx_ne_u32_e32 0x7f, v13
	s_cbranch_execz .LBB208_1202
; %bb.1199:                             ;   in Loop: Header=BB208_941 Depth=1
	v_and_b32_e32 v18, 7, v21
	v_lshrrev_b32_e32 v14, 3, v13
	s_mov_b32 s15, exec_lo
	v_cmpx_gt_u32_e32 8, v13
; %bb.1200:                             ;   in Loop: Header=BB208_941 Depth=1
	s_delay_alu instid0(VALU_DEP_3) | instskip(NEXT) | instid1(VALU_DEP_1)
	v_clz_i32_u32_e32 v13, v18
	v_min_u32_e32 v13, 32, v13
	s_delay_alu instid0(VALU_DEP_1) | instskip(NEXT) | instid1(VALU_DEP_1)
	v_subrev_nc_u32_e32 v14, 28, v13
	v_lshlrev_b64_e32 v[24:25], v14, v[18:19]
	s_delay_alu instid0(VALU_DEP_1)
	v_dual_sub_nc_u32 v14, 29, v13 :: v_dual_bitop2_b32 v18, 7, v24 bitop3:0x40
; %bb.1201:                             ;   in Loop: Header=BB208_941 Depth=1
	s_or_b32 exec_lo, exec_lo, s15
	s_delay_alu instid0(VALU_DEP_1) | instskip(NEXT) | instid1(VALU_DEP_2)
	v_dual_lshlrev_b32 v13, 24, v21 :: v_dual_lshlrev_b32 v15, 20, v18
	v_lshl_add_u32 v14, v14, 23, 0x3c000000
	s_delay_alu instid0(VALU_DEP_2) | instskip(NEXT) | instid1(VALU_DEP_1)
	v_and_b32_e32 v13, 0x80000000, v13
	v_or3_b32 v18, v15, v13, v14
	s_delay_alu instid0(VALU_DEP_1)
	v_mov_b64_e32 v[14:15], v[18:19]
.LBB208_1202:                           ;   in Loop: Header=BB208_941 Depth=1
	s_or_b32 exec_lo, exec_lo, s14
.LBB208_1203:                           ;   in Loop: Header=BB208_941 Depth=1
	s_delay_alu instid0(SALU_CYCLE_1)
	s_or_b32 exec_lo, exec_lo, s9
.LBB208_1204:                           ;   in Loop: Header=BB208_941 Depth=1
	s_delay_alu instid0(SALU_CYCLE_1) | instskip(NEXT) | instid1(SALU_CYCLE_1)
	s_or_b32 exec_lo, exec_lo, s8
	s_mov_b32 s8, exec_lo
	v_cmpx_lt_u32_e32 0xffffff, v20
	s_cbranch_execz .LBB208_1212
; %bb.1205:                             ;   in Loop: Header=BB208_941 Depth=1
	v_mov_b64_e32 v[16:17], 0x8000000000000000
	v_lshrrev_b32_e32 v21, 24, v20
	s_mov_b32 s9, exec_lo
	s_delay_alu instid0(VALU_DEP_1)
	v_cmpx_ne_u32_e32 0x80, v21
	s_cbranch_execz .LBB208_1211
; %bb.1206:                             ;   in Loop: Header=BB208_941 Depth=1
	v_mov_b64_e32 v[16:17], 0x7f80000100000000
	v_bfe_u32 v13, v20, 24, 7
	s_mov_b32 s14, exec_lo
	s_delay_alu instid0(VALU_DEP_1)
	v_cmpx_ne_u32_e32 0x7f, v13
	s_cbranch_execz .LBB208_1210
; %bb.1207:                             ;   in Loop: Header=BB208_941 Depth=1
	v_and_b32_e32 v18, 7, v21
	v_lshrrev_b32_e32 v16, 3, v13
	s_mov_b32 s15, exec_lo
	v_cmpx_gt_u32_e32 8, v13
; %bb.1208:                             ;   in Loop: Header=BB208_941 Depth=1
	s_delay_alu instid0(VALU_DEP_3) | instskip(NEXT) | instid1(VALU_DEP_1)
	v_clz_i32_u32_e32 v13, v18
	v_min_u32_e32 v13, 32, v13
	s_delay_alu instid0(VALU_DEP_1) | instskip(NEXT) | instid1(VALU_DEP_1)
	v_subrev_nc_u32_e32 v16, 28, v13
	v_lshlrev_b64_e32 v[24:25], v16, v[18:19]
	s_delay_alu instid0(VALU_DEP_1)
	v_dual_sub_nc_u32 v16, 29, v13 :: v_dual_bitop2_b32 v18, 7, v24 bitop3:0x40
; %bb.1209:                             ;   in Loop: Header=BB208_941 Depth=1
	s_or_b32 exec_lo, exec_lo, s15
	s_delay_alu instid0(VALU_DEP_1) | instskip(NEXT) | instid1(VALU_DEP_2)
	v_dual_lshlrev_b32 v13, 24, v21 :: v_dual_lshlrev_b32 v17, 20, v18
	v_lshl_add_u32 v16, v16, 23, 0x3c000000
	s_delay_alu instid0(VALU_DEP_2) | instskip(NEXT) | instid1(VALU_DEP_1)
	v_and_b32_e32 v13, 0x80000000, v13
	v_or3_b32 v17, v17, v13, v16
	v_mov_b32_e32 v16, v19
.LBB208_1210:                           ;   in Loop: Header=BB208_941 Depth=1
	s_or_b32 exec_lo, exec_lo, s14
.LBB208_1211:                           ;   in Loop: Header=BB208_941 Depth=1
	s_delay_alu instid0(SALU_CYCLE_1)
	s_or_b32 exec_lo, exec_lo, s9
.LBB208_1212:                           ;   in Loop: Header=BB208_941 Depth=1
	s_delay_alu instid0(SALU_CYCLE_1) | instskip(SKIP_4) | instid1(VALU_DEP_3)
	s_or_b32 exec_lo, exec_lo, s8
	v_or_b32_e32 v7, v7, v9
	v_or_b32_e32 v6, v6, v8
	;; [unrolled: 1-line block ×4, first 2 shown]
	v_pk_mul_f32 v[40:41], v[70:71], v[6:7]
	s_delay_alu instid0(VALU_DEP_2)
	v_pk_mul_f32 v[118:119], v[70:71], v[8:9]
	s_and_saveexec_b32 s8, vcc_lo
	s_cbranch_execz .LBB208_1214
; %bb.1213:                             ;   in Loop: Header=BB208_941 Depth=1
	scratch_load_b64 v[6:7], off, s32 offset:192 ; 8-byte Folded Reload
	s_wait_loadcnt 0x0
	v_cmp_lt_i32_e64 s0, v83, v6
	s_delay_alu instid0(VALU_DEP_1) | instskip(SKIP_1) | instid1(VALU_DEP_1)
	v_cndmask_b32_e64 v40, 0, v40, s0
	v_cmp_lt_i32_e64 s0, v0, v6
	v_cndmask_b32_e64 v41, 0, v41, s0
	v_cmp_lt_i32_e64 s0, v84, v6
	s_delay_alu instid0(VALU_DEP_1) | instskip(SKIP_1) | instid1(VALU_DEP_1)
	v_cndmask_b32_e64 v118, 0, v118, s0
	v_cmp_lt_i32_e64 s0, v1, v6
	v_cndmask_b32_e64 v119, 0, v119, s0
.LBB208_1214:                           ;   in Loop: Header=BB208_941 Depth=1
	s_wait_xcnt 0x0
	s_or_b32 exec_lo, exec_lo, s8
	flat_load_b32 v20, v[80:81] offset:1024
	v_mov_b64_e32 v[6:7], 0
	v_mov_b64_e32 v[8:9], 0
	s_mov_b32 s8, exec_lo
	s_wait_loadcnt_dscnt 0x0
	v_and_b32_e32 v13, 0xff, v20
	s_wait_xcnt 0x0
	s_delay_alu instid0(VALU_DEP_1)
	v_cmpx_ne_u16_e32 0, v13
	s_cbranch_execz .LBB208_1222
; %bb.1215:                             ;   in Loop: Header=BB208_941 Depth=1
	v_mov_b64_e32 v[8:9], 0x80000000
	s_mov_b32 s9, exec_lo
	v_cmpx_ne_u16_e32 0x80, v13
	s_cbranch_execz .LBB208_1221
; %bb.1216:                             ;   in Loop: Header=BB208_941 Depth=1
	v_mov_b64_e32 v[8:9], 0x7f800001
	v_and_b32_e32 v13, 0x7f, v20
	s_mov_b32 s14, exec_lo
	s_delay_alu instid0(VALU_DEP_1)
	v_cmpx_ne_u32_e32 0x7f, v13
	s_cbranch_execz .LBB208_1220
; %bb.1217:                             ;   in Loop: Header=BB208_941 Depth=1
	v_dual_lshrrev_b32 v8, 3, v13 :: v_dual_bitop2_b32 v18, 7, v20 bitop3:0x40
	s_mov_b32 s15, exec_lo
	v_cmpx_gt_u32_e32 8, v13
; %bb.1218:                             ;   in Loop: Header=BB208_941 Depth=1
	s_delay_alu instid0(VALU_DEP_2) | instskip(NEXT) | instid1(VALU_DEP_1)
	v_clz_i32_u32_e32 v8, v18
	v_min_u32_e32 v8, 32, v8
	s_delay_alu instid0(VALU_DEP_1) | instskip(NEXT) | instid1(VALU_DEP_1)
	v_subrev_nc_u32_e32 v9, 28, v8
	v_lshlrev_b64_e32 v[14:15], v9, v[18:19]
	s_delay_alu instid0(VALU_DEP_1)
	v_dual_sub_nc_u32 v8, 29, v8 :: v_dual_bitop2_b32 v18, 7, v14 bitop3:0x40
; %bb.1219:                             ;   in Loop: Header=BB208_941 Depth=1
	s_or_b32 exec_lo, exec_lo, s15
	s_delay_alu instid0(VALU_DEP_1) | instskip(NEXT) | instid1(VALU_DEP_2)
	v_dual_lshlrev_b32 v9, 24, v20 :: v_dual_lshlrev_b32 v13, 20, v18
	v_lshl_add_u32 v8, v8, 23, 0x3c000000
	s_delay_alu instid0(VALU_DEP_2) | instskip(NEXT) | instid1(VALU_DEP_1)
	v_and_b32_e32 v9, 0x80000000, v9
	v_or3_b32 v18, v13, v9, v8
	s_delay_alu instid0(VALU_DEP_1)
	v_mov_b64_e32 v[8:9], v[18:19]
.LBB208_1220:                           ;   in Loop: Header=BB208_941 Depth=1
	s_or_b32 exec_lo, exec_lo, s14
.LBB208_1221:                           ;   in Loop: Header=BB208_941 Depth=1
	s_delay_alu instid0(SALU_CYCLE_1)
	s_or_b32 exec_lo, exec_lo, s9
.LBB208_1222:                           ;   in Loop: Header=BB208_941 Depth=1
	s_delay_alu instid0(SALU_CYCLE_1) | instskip(SKIP_2) | instid1(VALU_DEP_1)
	s_or_b32 exec_lo, exec_lo, s8
	v_lshrrev_b16 v14, 8, v20
	s_mov_b32 s8, exec_lo
	v_cmpx_ne_u16_e32 0, v14
	s_cbranch_execz .LBB208_1230
; %bb.1223:                             ;   in Loop: Header=BB208_941 Depth=1
	v_mov_b64_e32 v[6:7], 0x8000000000000000
	s_mov_b32 s9, exec_lo
	v_cmpx_ne_u16_e32 0x80, v14
	s_cbranch_execz .LBB208_1229
; %bb.1224:                             ;   in Loop: Header=BB208_941 Depth=1
	v_and_b32_e32 v14, 0xffff, v14
	v_mov_b64_e32 v[6:7], 0x7f80000100000000
	s_mov_b32 s14, exec_lo
	s_delay_alu instid0(VALU_DEP_2) | instskip(NEXT) | instid1(VALU_DEP_1)
	v_and_b32_e32 v13, 0x7f, v14
	v_cmpx_ne_u32_e32 0x7f, v13
	s_cbranch_execz .LBB208_1228
; %bb.1225:                             ;   in Loop: Header=BB208_941 Depth=1
	v_dual_lshrrev_b32 v6, 3, v13 :: v_dual_bitop2_b32 v18, 7, v14 bitop3:0x40
	s_mov_b32 s15, exec_lo
	v_cmpx_gt_u32_e32 8, v13
; %bb.1226:                             ;   in Loop: Header=BB208_941 Depth=1
	s_delay_alu instid0(VALU_DEP_2) | instskip(NEXT) | instid1(VALU_DEP_1)
	v_clz_i32_u32_e32 v6, v18
	v_min_u32_e32 v6, 32, v6
	s_delay_alu instid0(VALU_DEP_1) | instskip(SKIP_1) | instid1(VALU_DEP_2)
	v_subrev_nc_u32_e32 v7, 28, v6
	v_sub_nc_u32_e32 v6, 29, v6
	v_lshlrev_b64_e32 v[14:15], v7, v[18:19]
	s_delay_alu instid0(VALU_DEP_1)
	v_and_b32_e32 v18, 7, v14
; %bb.1227:                             ;   in Loop: Header=BB208_941 Depth=1
	s_or_b32 exec_lo, exec_lo, s15
	s_delay_alu instid0(VALU_DEP_1) | instskip(SKIP_1) | instid1(VALU_DEP_2)
	v_dual_lshlrev_b32 v7, 16, v20 :: v_dual_lshlrev_b32 v13, 20, v18
	v_lshl_add_u32 v6, v6, 23, 0x3c000000
	v_and_b32_e32 v7, 0x80000000, v7
	s_delay_alu instid0(VALU_DEP_1)
	v_or3_b32 v7, v13, v7, v6
	v_mov_b32_e32 v6, v19
.LBB208_1228:                           ;   in Loop: Header=BB208_941 Depth=1
	s_or_b32 exec_lo, exec_lo, s14
.LBB208_1229:                           ;   in Loop: Header=BB208_941 Depth=1
	s_delay_alu instid0(SALU_CYCLE_1)
	s_or_b32 exec_lo, exec_lo, s9
.LBB208_1230:                           ;   in Loop: Header=BB208_941 Depth=1
	s_delay_alu instid0(SALU_CYCLE_1) | instskip(SKIP_4) | instid1(VALU_DEP_3)
	s_or_b32 exec_lo, exec_lo, s8
	v_lshrrev_b32_e32 v21, 16, v20
	v_mov_b64_e32 v[16:17], 0
	v_mov_b64_e32 v[14:15], 0
	s_mov_b32 s8, exec_lo
	v_and_b32_e32 v13, 0xff, v21
	s_delay_alu instid0(VALU_DEP_1)
	v_cmpx_ne_u16_e32 0, v13
	s_cbranch_execz .LBB208_1238
; %bb.1231:                             ;   in Loop: Header=BB208_941 Depth=1
	v_mov_b64_e32 v[14:15], 0x80000000
	s_mov_b32 s9, exec_lo
	v_cmpx_ne_u16_e32 0x80, v13
	s_cbranch_execz .LBB208_1237
; %bb.1232:                             ;   in Loop: Header=BB208_941 Depth=1
	v_mov_b64_e32 v[14:15], 0x7f800001
	v_bfe_u32 v13, v20, 16, 7
	s_mov_b32 s14, exec_lo
	s_delay_alu instid0(VALU_DEP_1)
	v_cmpx_ne_u32_e32 0x7f, v13
	s_cbranch_execz .LBB208_1236
; %bb.1233:                             ;   in Loop: Header=BB208_941 Depth=1
	v_and_b32_e32 v18, 7, v21
	v_lshrrev_b32_e32 v14, 3, v13
	s_mov_b32 s15, exec_lo
	v_cmpx_gt_u32_e32 8, v13
; %bb.1234:                             ;   in Loop: Header=BB208_941 Depth=1
	s_delay_alu instid0(VALU_DEP_3) | instskip(NEXT) | instid1(VALU_DEP_1)
	v_clz_i32_u32_e32 v13, v18
	v_min_u32_e32 v13, 32, v13
	s_delay_alu instid0(VALU_DEP_1) | instskip(NEXT) | instid1(VALU_DEP_1)
	v_subrev_nc_u32_e32 v14, 28, v13
	v_lshlrev_b64_e32 v[24:25], v14, v[18:19]
	s_delay_alu instid0(VALU_DEP_1)
	v_dual_sub_nc_u32 v14, 29, v13 :: v_dual_bitop2_b32 v18, 7, v24 bitop3:0x40
; %bb.1235:                             ;   in Loop: Header=BB208_941 Depth=1
	s_or_b32 exec_lo, exec_lo, s15
	s_delay_alu instid0(VALU_DEP_1) | instskip(NEXT) | instid1(VALU_DEP_2)
	v_dual_lshlrev_b32 v13, 24, v21 :: v_dual_lshlrev_b32 v15, 20, v18
	v_lshl_add_u32 v14, v14, 23, 0x3c000000
	s_delay_alu instid0(VALU_DEP_2) | instskip(NEXT) | instid1(VALU_DEP_1)
	v_and_b32_e32 v13, 0x80000000, v13
	v_or3_b32 v18, v15, v13, v14
	s_delay_alu instid0(VALU_DEP_1)
	v_mov_b64_e32 v[14:15], v[18:19]
.LBB208_1236:                           ;   in Loop: Header=BB208_941 Depth=1
	s_or_b32 exec_lo, exec_lo, s14
.LBB208_1237:                           ;   in Loop: Header=BB208_941 Depth=1
	s_delay_alu instid0(SALU_CYCLE_1)
	s_or_b32 exec_lo, exec_lo, s9
.LBB208_1238:                           ;   in Loop: Header=BB208_941 Depth=1
	s_delay_alu instid0(SALU_CYCLE_1) | instskip(NEXT) | instid1(SALU_CYCLE_1)
	s_or_b32 exec_lo, exec_lo, s8
	s_mov_b32 s8, exec_lo
	v_cmpx_lt_u32_e32 0xffffff, v20
	s_cbranch_execz .LBB208_1246
; %bb.1239:                             ;   in Loop: Header=BB208_941 Depth=1
	v_mov_b64_e32 v[16:17], 0x8000000000000000
	v_lshrrev_b32_e32 v21, 24, v20
	s_mov_b32 s9, exec_lo
	s_delay_alu instid0(VALU_DEP_1)
	v_cmpx_ne_u32_e32 0x80, v21
	s_cbranch_execz .LBB208_1245
; %bb.1240:                             ;   in Loop: Header=BB208_941 Depth=1
	v_mov_b64_e32 v[16:17], 0x7f80000100000000
	v_bfe_u32 v13, v20, 24, 7
	s_mov_b32 s14, exec_lo
	s_delay_alu instid0(VALU_DEP_1)
	v_cmpx_ne_u32_e32 0x7f, v13
	s_cbranch_execz .LBB208_1244
; %bb.1241:                             ;   in Loop: Header=BB208_941 Depth=1
	v_and_b32_e32 v18, 7, v21
	v_lshrrev_b32_e32 v16, 3, v13
	s_mov_b32 s15, exec_lo
	v_cmpx_gt_u32_e32 8, v13
; %bb.1242:                             ;   in Loop: Header=BB208_941 Depth=1
	s_delay_alu instid0(VALU_DEP_3) | instskip(NEXT) | instid1(VALU_DEP_1)
	v_clz_i32_u32_e32 v13, v18
	v_min_u32_e32 v13, 32, v13
	s_delay_alu instid0(VALU_DEP_1) | instskip(NEXT) | instid1(VALU_DEP_1)
	v_subrev_nc_u32_e32 v16, 28, v13
	v_lshlrev_b64_e32 v[24:25], v16, v[18:19]
	s_delay_alu instid0(VALU_DEP_1)
	v_dual_sub_nc_u32 v16, 29, v13 :: v_dual_bitop2_b32 v18, 7, v24 bitop3:0x40
; %bb.1243:                             ;   in Loop: Header=BB208_941 Depth=1
	s_or_b32 exec_lo, exec_lo, s15
	s_delay_alu instid0(VALU_DEP_1) | instskip(NEXT) | instid1(VALU_DEP_2)
	v_dual_lshlrev_b32 v13, 24, v21 :: v_dual_lshlrev_b32 v17, 20, v18
	v_lshl_add_u32 v16, v16, 23, 0x3c000000
	s_delay_alu instid0(VALU_DEP_2) | instskip(NEXT) | instid1(VALU_DEP_1)
	v_and_b32_e32 v13, 0x80000000, v13
	v_or3_b32 v17, v17, v13, v16
	v_mov_b32_e32 v16, v19
.LBB208_1244:                           ;   in Loop: Header=BB208_941 Depth=1
	s_or_b32 exec_lo, exec_lo, s14
.LBB208_1245:                           ;   in Loop: Header=BB208_941 Depth=1
	s_delay_alu instid0(SALU_CYCLE_1)
	s_or_b32 exec_lo, exec_lo, s9
.LBB208_1246:                           ;   in Loop: Header=BB208_941 Depth=1
	s_delay_alu instid0(SALU_CYCLE_1) | instskip(SKIP_4) | instid1(VALU_DEP_3)
	s_or_b32 exec_lo, exec_lo, s8
	v_or_b32_e32 v7, v7, v9
	v_or_b32_e32 v6, v6, v8
	;; [unrolled: 1-line block ×4, first 2 shown]
	v_pk_mul_f32 v[44:45], v[70:71], v[6:7]
	s_delay_alu instid0(VALU_DEP_2)
	v_pk_mul_f32 v[42:43], v[70:71], v[8:9]
	s_and_saveexec_b32 s8, vcc_lo
	s_cbranch_execz .LBB208_1248
; %bb.1247:                             ;   in Loop: Header=BB208_941 Depth=1
	scratch_load_b64 v[6:7], off, s32 offset:192 ; 8-byte Folded Reload
	s_wait_loadcnt 0x0
	v_cmp_lt_i32_e64 s0, v83, v6
	s_delay_alu instid0(VALU_DEP_1) | instskip(SKIP_1) | instid1(VALU_DEP_1)
	v_cndmask_b32_e64 v44, 0, v44, s0
	v_cmp_lt_i32_e64 s0, v0, v6
	v_cndmask_b32_e64 v45, 0, v45, s0
	v_cmp_lt_i32_e64 s0, v84, v6
	s_delay_alu instid0(VALU_DEP_1) | instskip(SKIP_1) | instid1(VALU_DEP_1)
	v_cndmask_b32_e64 v42, 0, v42, s0
	v_cmp_lt_i32_e64 s0, v1, v6
	v_cndmask_b32_e64 v43, 0, v43, s0
.LBB208_1248:                           ;   in Loop: Header=BB208_941 Depth=1
	s_wait_xcnt 0x0
	s_or_b32 exec_lo, exec_lo, s8
	flat_load_b32 v20, v[80:81] offset:1152
	v_mov_b64_e32 v[6:7], 0
	v_mov_b64_e32 v[8:9], 0
	s_mov_b32 s8, exec_lo
	s_wait_loadcnt_dscnt 0x0
	v_and_b32_e32 v13, 0xff, v20
	s_wait_xcnt 0x0
	s_delay_alu instid0(VALU_DEP_1)
	v_cmpx_ne_u16_e32 0, v13
	s_cbranch_execz .LBB208_1256
; %bb.1249:                             ;   in Loop: Header=BB208_941 Depth=1
	v_mov_b64_e32 v[8:9], 0x80000000
	s_mov_b32 s9, exec_lo
	v_cmpx_ne_u16_e32 0x80, v13
	s_cbranch_execz .LBB208_1255
; %bb.1250:                             ;   in Loop: Header=BB208_941 Depth=1
	v_mov_b64_e32 v[8:9], 0x7f800001
	v_and_b32_e32 v13, 0x7f, v20
	s_mov_b32 s14, exec_lo
	s_delay_alu instid0(VALU_DEP_1)
	v_cmpx_ne_u32_e32 0x7f, v13
	s_cbranch_execz .LBB208_1254
; %bb.1251:                             ;   in Loop: Header=BB208_941 Depth=1
	v_dual_lshrrev_b32 v8, 3, v13 :: v_dual_bitop2_b32 v18, 7, v20 bitop3:0x40
	s_mov_b32 s15, exec_lo
	v_cmpx_gt_u32_e32 8, v13
; %bb.1252:                             ;   in Loop: Header=BB208_941 Depth=1
	s_delay_alu instid0(VALU_DEP_2) | instskip(NEXT) | instid1(VALU_DEP_1)
	v_clz_i32_u32_e32 v8, v18
	v_min_u32_e32 v8, 32, v8
	s_delay_alu instid0(VALU_DEP_1) | instskip(NEXT) | instid1(VALU_DEP_1)
	v_subrev_nc_u32_e32 v9, 28, v8
	v_lshlrev_b64_e32 v[14:15], v9, v[18:19]
	s_delay_alu instid0(VALU_DEP_1)
	v_dual_sub_nc_u32 v8, 29, v8 :: v_dual_bitop2_b32 v18, 7, v14 bitop3:0x40
; %bb.1253:                             ;   in Loop: Header=BB208_941 Depth=1
	s_or_b32 exec_lo, exec_lo, s15
	s_delay_alu instid0(VALU_DEP_1) | instskip(NEXT) | instid1(VALU_DEP_2)
	v_dual_lshlrev_b32 v9, 24, v20 :: v_dual_lshlrev_b32 v13, 20, v18
	v_lshl_add_u32 v8, v8, 23, 0x3c000000
	s_delay_alu instid0(VALU_DEP_2) | instskip(NEXT) | instid1(VALU_DEP_1)
	v_and_b32_e32 v9, 0x80000000, v9
	v_or3_b32 v18, v13, v9, v8
	s_delay_alu instid0(VALU_DEP_1)
	v_mov_b64_e32 v[8:9], v[18:19]
.LBB208_1254:                           ;   in Loop: Header=BB208_941 Depth=1
	s_or_b32 exec_lo, exec_lo, s14
.LBB208_1255:                           ;   in Loop: Header=BB208_941 Depth=1
	s_delay_alu instid0(SALU_CYCLE_1)
	s_or_b32 exec_lo, exec_lo, s9
.LBB208_1256:                           ;   in Loop: Header=BB208_941 Depth=1
	s_delay_alu instid0(SALU_CYCLE_1) | instskip(SKIP_2) | instid1(VALU_DEP_1)
	s_or_b32 exec_lo, exec_lo, s8
	v_lshrrev_b16 v14, 8, v20
	s_mov_b32 s8, exec_lo
	v_cmpx_ne_u16_e32 0, v14
	s_cbranch_execz .LBB208_1264
; %bb.1257:                             ;   in Loop: Header=BB208_941 Depth=1
	v_mov_b64_e32 v[6:7], 0x8000000000000000
	s_mov_b32 s9, exec_lo
	v_cmpx_ne_u16_e32 0x80, v14
	s_cbranch_execz .LBB208_1263
; %bb.1258:                             ;   in Loop: Header=BB208_941 Depth=1
	v_and_b32_e32 v14, 0xffff, v14
	v_mov_b64_e32 v[6:7], 0x7f80000100000000
	s_mov_b32 s14, exec_lo
	s_delay_alu instid0(VALU_DEP_2) | instskip(NEXT) | instid1(VALU_DEP_1)
	v_and_b32_e32 v13, 0x7f, v14
	v_cmpx_ne_u32_e32 0x7f, v13
	s_cbranch_execz .LBB208_1262
; %bb.1259:                             ;   in Loop: Header=BB208_941 Depth=1
	v_dual_lshrrev_b32 v6, 3, v13 :: v_dual_bitop2_b32 v18, 7, v14 bitop3:0x40
	s_mov_b32 s15, exec_lo
	v_cmpx_gt_u32_e32 8, v13
; %bb.1260:                             ;   in Loop: Header=BB208_941 Depth=1
	s_delay_alu instid0(VALU_DEP_2) | instskip(NEXT) | instid1(VALU_DEP_1)
	v_clz_i32_u32_e32 v6, v18
	v_min_u32_e32 v6, 32, v6
	s_delay_alu instid0(VALU_DEP_1) | instskip(SKIP_1) | instid1(VALU_DEP_2)
	v_subrev_nc_u32_e32 v7, 28, v6
	v_sub_nc_u32_e32 v6, 29, v6
	v_lshlrev_b64_e32 v[14:15], v7, v[18:19]
	s_delay_alu instid0(VALU_DEP_1)
	v_and_b32_e32 v18, 7, v14
; %bb.1261:                             ;   in Loop: Header=BB208_941 Depth=1
	s_or_b32 exec_lo, exec_lo, s15
	s_delay_alu instid0(VALU_DEP_1) | instskip(SKIP_1) | instid1(VALU_DEP_2)
	v_dual_lshlrev_b32 v7, 16, v20 :: v_dual_lshlrev_b32 v13, 20, v18
	v_lshl_add_u32 v6, v6, 23, 0x3c000000
	v_and_b32_e32 v7, 0x80000000, v7
	s_delay_alu instid0(VALU_DEP_1)
	v_or3_b32 v7, v13, v7, v6
	v_mov_b32_e32 v6, v19
.LBB208_1262:                           ;   in Loop: Header=BB208_941 Depth=1
	s_or_b32 exec_lo, exec_lo, s14
.LBB208_1263:                           ;   in Loop: Header=BB208_941 Depth=1
	s_delay_alu instid0(SALU_CYCLE_1)
	s_or_b32 exec_lo, exec_lo, s9
.LBB208_1264:                           ;   in Loop: Header=BB208_941 Depth=1
	s_delay_alu instid0(SALU_CYCLE_1) | instskip(SKIP_4) | instid1(VALU_DEP_3)
	s_or_b32 exec_lo, exec_lo, s8
	v_lshrrev_b32_e32 v21, 16, v20
	v_mov_b64_e32 v[16:17], 0
	v_mov_b64_e32 v[14:15], 0
	s_mov_b32 s8, exec_lo
	v_and_b32_e32 v13, 0xff, v21
	s_delay_alu instid0(VALU_DEP_1)
	v_cmpx_ne_u16_e32 0, v13
	s_cbranch_execz .LBB208_1272
; %bb.1265:                             ;   in Loop: Header=BB208_941 Depth=1
	v_mov_b64_e32 v[14:15], 0x80000000
	s_mov_b32 s9, exec_lo
	v_cmpx_ne_u16_e32 0x80, v13
	s_cbranch_execz .LBB208_1271
; %bb.1266:                             ;   in Loop: Header=BB208_941 Depth=1
	v_mov_b64_e32 v[14:15], 0x7f800001
	v_bfe_u32 v13, v20, 16, 7
	s_mov_b32 s14, exec_lo
	s_delay_alu instid0(VALU_DEP_1)
	v_cmpx_ne_u32_e32 0x7f, v13
	s_cbranch_execz .LBB208_1270
; %bb.1267:                             ;   in Loop: Header=BB208_941 Depth=1
	v_and_b32_e32 v18, 7, v21
	v_lshrrev_b32_e32 v14, 3, v13
	s_mov_b32 s15, exec_lo
	v_cmpx_gt_u32_e32 8, v13
; %bb.1268:                             ;   in Loop: Header=BB208_941 Depth=1
	s_delay_alu instid0(VALU_DEP_3) | instskip(NEXT) | instid1(VALU_DEP_1)
	v_clz_i32_u32_e32 v13, v18
	v_min_u32_e32 v13, 32, v13
	s_delay_alu instid0(VALU_DEP_1) | instskip(NEXT) | instid1(VALU_DEP_1)
	v_subrev_nc_u32_e32 v14, 28, v13
	v_lshlrev_b64_e32 v[24:25], v14, v[18:19]
	s_delay_alu instid0(VALU_DEP_1)
	v_dual_sub_nc_u32 v14, 29, v13 :: v_dual_bitop2_b32 v18, 7, v24 bitop3:0x40
; %bb.1269:                             ;   in Loop: Header=BB208_941 Depth=1
	s_or_b32 exec_lo, exec_lo, s15
	s_delay_alu instid0(VALU_DEP_1) | instskip(NEXT) | instid1(VALU_DEP_2)
	v_dual_lshlrev_b32 v13, 24, v21 :: v_dual_lshlrev_b32 v15, 20, v18
	v_lshl_add_u32 v14, v14, 23, 0x3c000000
	s_delay_alu instid0(VALU_DEP_2) | instskip(NEXT) | instid1(VALU_DEP_1)
	v_and_b32_e32 v13, 0x80000000, v13
	v_or3_b32 v18, v15, v13, v14
	s_delay_alu instid0(VALU_DEP_1)
	v_mov_b64_e32 v[14:15], v[18:19]
.LBB208_1270:                           ;   in Loop: Header=BB208_941 Depth=1
	s_or_b32 exec_lo, exec_lo, s14
.LBB208_1271:                           ;   in Loop: Header=BB208_941 Depth=1
	s_delay_alu instid0(SALU_CYCLE_1)
	s_or_b32 exec_lo, exec_lo, s9
.LBB208_1272:                           ;   in Loop: Header=BB208_941 Depth=1
	s_delay_alu instid0(SALU_CYCLE_1) | instskip(NEXT) | instid1(SALU_CYCLE_1)
	s_or_b32 exec_lo, exec_lo, s8
	s_mov_b32 s8, exec_lo
	v_cmpx_lt_u32_e32 0xffffff, v20
	s_cbranch_execz .LBB208_1280
; %bb.1273:                             ;   in Loop: Header=BB208_941 Depth=1
	v_mov_b64_e32 v[16:17], 0x8000000000000000
	v_lshrrev_b32_e32 v21, 24, v20
	s_mov_b32 s9, exec_lo
	s_delay_alu instid0(VALU_DEP_1)
	v_cmpx_ne_u32_e32 0x80, v21
	s_cbranch_execz .LBB208_1279
; %bb.1274:                             ;   in Loop: Header=BB208_941 Depth=1
	v_mov_b64_e32 v[16:17], 0x7f80000100000000
	v_bfe_u32 v13, v20, 24, 7
	s_mov_b32 s14, exec_lo
	s_delay_alu instid0(VALU_DEP_1)
	v_cmpx_ne_u32_e32 0x7f, v13
	s_cbranch_execz .LBB208_1278
; %bb.1275:                             ;   in Loop: Header=BB208_941 Depth=1
	v_and_b32_e32 v18, 7, v21
	v_lshrrev_b32_e32 v16, 3, v13
	s_mov_b32 s15, exec_lo
	v_cmpx_gt_u32_e32 8, v13
; %bb.1276:                             ;   in Loop: Header=BB208_941 Depth=1
	s_delay_alu instid0(VALU_DEP_3) | instskip(NEXT) | instid1(VALU_DEP_1)
	v_clz_i32_u32_e32 v13, v18
	v_min_u32_e32 v13, 32, v13
	s_delay_alu instid0(VALU_DEP_1) | instskip(NEXT) | instid1(VALU_DEP_1)
	v_subrev_nc_u32_e32 v16, 28, v13
	v_lshlrev_b64_e32 v[24:25], v16, v[18:19]
	s_delay_alu instid0(VALU_DEP_1)
	v_dual_sub_nc_u32 v16, 29, v13 :: v_dual_bitop2_b32 v18, 7, v24 bitop3:0x40
; %bb.1277:                             ;   in Loop: Header=BB208_941 Depth=1
	s_or_b32 exec_lo, exec_lo, s15
	s_delay_alu instid0(VALU_DEP_1) | instskip(NEXT) | instid1(VALU_DEP_2)
	v_dual_lshlrev_b32 v13, 24, v21 :: v_dual_lshlrev_b32 v17, 20, v18
	v_lshl_add_u32 v16, v16, 23, 0x3c000000
	s_delay_alu instid0(VALU_DEP_2) | instskip(NEXT) | instid1(VALU_DEP_1)
	v_and_b32_e32 v13, 0x80000000, v13
	v_or3_b32 v17, v17, v13, v16
	v_mov_b32_e32 v16, v19
.LBB208_1278:                           ;   in Loop: Header=BB208_941 Depth=1
	s_or_b32 exec_lo, exec_lo, s14
.LBB208_1279:                           ;   in Loop: Header=BB208_941 Depth=1
	s_delay_alu instid0(SALU_CYCLE_1)
	s_or_b32 exec_lo, exec_lo, s9
.LBB208_1280:                           ;   in Loop: Header=BB208_941 Depth=1
	s_delay_alu instid0(SALU_CYCLE_1) | instskip(SKIP_4) | instid1(VALU_DEP_3)
	s_or_b32 exec_lo, exec_lo, s8
	v_or_b32_e32 v7, v7, v9
	v_or_b32_e32 v6, v6, v8
	;; [unrolled: 1-line block ×4, first 2 shown]
	v_pk_mul_f32 v[46:47], v[70:71], v[6:7]
	s_delay_alu instid0(VALU_DEP_2)
	v_pk_mul_f32 v[16:17], v[70:71], v[8:9]
	s_and_saveexec_b32 s8, vcc_lo
	s_cbranch_execz .LBB208_1282
; %bb.1281:                             ;   in Loop: Header=BB208_941 Depth=1
	scratch_load_b64 v[6:7], off, s32 offset:192 ; 8-byte Folded Reload
	s_wait_loadcnt 0x0
	v_cmp_lt_i32_e64 s0, v83, v6
	s_delay_alu instid0(VALU_DEP_1) | instskip(SKIP_1) | instid1(VALU_DEP_1)
	v_cndmask_b32_e64 v46, 0, v46, s0
	v_cmp_lt_i32_e64 s0, v0, v6
	v_cndmask_b32_e64 v47, 0, v47, s0
	v_cmp_lt_i32_e64 s0, v84, v6
	s_delay_alu instid0(VALU_DEP_1) | instskip(SKIP_1) | instid1(VALU_DEP_1)
	v_cndmask_b32_e64 v16, 0, v16, s0
	v_cmp_lt_i32_e64 s0, v1, v6
	v_cndmask_b32_e64 v17, 0, v17, s0
.LBB208_1282:                           ;   in Loop: Header=BB208_941 Depth=1
	s_wait_xcnt 0x0
	s_or_b32 exec_lo, exec_lo, s8
	flat_load_b32 v24, v[80:81] offset:1280
	v_mov_b64_e32 v[6:7], 0
	v_mov_b64_e32 v[8:9], 0
	s_mov_b32 s8, exec_lo
	s_wait_loadcnt_dscnt 0x0
	v_and_b32_e32 v13, 0xff, v24
	s_wait_xcnt 0x0
	s_delay_alu instid0(VALU_DEP_1)
	v_cmpx_ne_u16_e32 0, v13
	s_cbranch_execz .LBB208_1290
; %bb.1283:                             ;   in Loop: Header=BB208_941 Depth=1
	v_mov_b64_e32 v[8:9], 0x80000000
	s_mov_b32 s9, exec_lo
	v_cmpx_ne_u16_e32 0x80, v13
	s_cbranch_execz .LBB208_1289
; %bb.1284:                             ;   in Loop: Header=BB208_941 Depth=1
	v_mov_b64_e32 v[8:9], 0x7f800001
	v_and_b32_e32 v13, 0x7f, v24
	s_mov_b32 s14, exec_lo
	s_delay_alu instid0(VALU_DEP_1)
	v_cmpx_ne_u32_e32 0x7f, v13
	s_cbranch_execz .LBB208_1288
; %bb.1285:                             ;   in Loop: Header=BB208_941 Depth=1
	v_dual_lshrrev_b32 v8, 3, v13 :: v_dual_bitop2_b32 v18, 7, v24 bitop3:0x40
	s_mov_b32 s15, exec_lo
	v_cmpx_gt_u32_e32 8, v13
; %bb.1286:                             ;   in Loop: Header=BB208_941 Depth=1
	s_delay_alu instid0(VALU_DEP_2) | instskip(NEXT) | instid1(VALU_DEP_1)
	v_clz_i32_u32_e32 v8, v18
	v_min_u32_e32 v8, 32, v8
	s_delay_alu instid0(VALU_DEP_1) | instskip(NEXT) | instid1(VALU_DEP_1)
	v_subrev_nc_u32_e32 v9, 28, v8
	v_lshlrev_b64_e32 v[14:15], v9, v[18:19]
	s_delay_alu instid0(VALU_DEP_1)
	v_dual_sub_nc_u32 v8, 29, v8 :: v_dual_bitop2_b32 v18, 7, v14 bitop3:0x40
; %bb.1287:                             ;   in Loop: Header=BB208_941 Depth=1
	s_or_b32 exec_lo, exec_lo, s15
	s_delay_alu instid0(VALU_DEP_1) | instskip(NEXT) | instid1(VALU_DEP_2)
	v_dual_lshlrev_b32 v9, 24, v24 :: v_dual_lshlrev_b32 v13, 20, v18
	v_lshl_add_u32 v8, v8, 23, 0x3c000000
	s_delay_alu instid0(VALU_DEP_2) | instskip(NEXT) | instid1(VALU_DEP_1)
	v_and_b32_e32 v9, 0x80000000, v9
	v_or3_b32 v18, v13, v9, v8
	s_delay_alu instid0(VALU_DEP_1)
	v_mov_b64_e32 v[8:9], v[18:19]
.LBB208_1288:                           ;   in Loop: Header=BB208_941 Depth=1
	s_or_b32 exec_lo, exec_lo, s14
.LBB208_1289:                           ;   in Loop: Header=BB208_941 Depth=1
	s_delay_alu instid0(SALU_CYCLE_1)
	s_or_b32 exec_lo, exec_lo, s9
.LBB208_1290:                           ;   in Loop: Header=BB208_941 Depth=1
	s_delay_alu instid0(SALU_CYCLE_1) | instskip(SKIP_2) | instid1(VALU_DEP_1)
	s_or_b32 exec_lo, exec_lo, s8
	v_lshrrev_b16 v14, 8, v24
	s_mov_b32 s8, exec_lo
	v_cmpx_ne_u16_e32 0, v14
	s_cbranch_execz .LBB208_1298
; %bb.1291:                             ;   in Loop: Header=BB208_941 Depth=1
	v_mov_b64_e32 v[6:7], 0x8000000000000000
	s_mov_b32 s9, exec_lo
	v_cmpx_ne_u16_e32 0x80, v14
	s_cbranch_execz .LBB208_1297
; %bb.1292:                             ;   in Loop: Header=BB208_941 Depth=1
	v_and_b32_e32 v14, 0xffff, v14
	v_mov_b64_e32 v[6:7], 0x7f80000100000000
	s_mov_b32 s14, exec_lo
	s_delay_alu instid0(VALU_DEP_2) | instskip(NEXT) | instid1(VALU_DEP_1)
	v_and_b32_e32 v13, 0x7f, v14
	v_cmpx_ne_u32_e32 0x7f, v13
	s_cbranch_execz .LBB208_1296
; %bb.1293:                             ;   in Loop: Header=BB208_941 Depth=1
	v_dual_lshrrev_b32 v6, 3, v13 :: v_dual_bitop2_b32 v18, 7, v14 bitop3:0x40
	s_mov_b32 s15, exec_lo
	v_cmpx_gt_u32_e32 8, v13
; %bb.1294:                             ;   in Loop: Header=BB208_941 Depth=1
	s_delay_alu instid0(VALU_DEP_2) | instskip(NEXT) | instid1(VALU_DEP_1)
	v_clz_i32_u32_e32 v6, v18
	v_min_u32_e32 v6, 32, v6
	s_delay_alu instid0(VALU_DEP_1) | instskip(SKIP_1) | instid1(VALU_DEP_2)
	v_subrev_nc_u32_e32 v7, 28, v6
	v_sub_nc_u32_e32 v6, 29, v6
	v_lshlrev_b64_e32 v[14:15], v7, v[18:19]
	s_delay_alu instid0(VALU_DEP_1)
	v_and_b32_e32 v18, 7, v14
; %bb.1295:                             ;   in Loop: Header=BB208_941 Depth=1
	s_or_b32 exec_lo, exec_lo, s15
	s_delay_alu instid0(VALU_DEP_1) | instskip(SKIP_1) | instid1(VALU_DEP_2)
	v_dual_lshlrev_b32 v7, 16, v24 :: v_dual_lshlrev_b32 v13, 20, v18
	v_lshl_add_u32 v6, v6, 23, 0x3c000000
	v_and_b32_e32 v7, 0x80000000, v7
	s_delay_alu instid0(VALU_DEP_1)
	v_or3_b32 v7, v13, v7, v6
	v_mov_b32_e32 v6, v19
.LBB208_1296:                           ;   in Loop: Header=BB208_941 Depth=1
	s_or_b32 exec_lo, exec_lo, s14
.LBB208_1297:                           ;   in Loop: Header=BB208_941 Depth=1
	s_delay_alu instid0(SALU_CYCLE_1)
	s_or_b32 exec_lo, exec_lo, s9
.LBB208_1298:                           ;   in Loop: Header=BB208_941 Depth=1
	s_delay_alu instid0(SALU_CYCLE_1) | instskip(SKIP_4) | instid1(VALU_DEP_3)
	s_or_b32 exec_lo, exec_lo, s8
	v_lshrrev_b32_e32 v25, 16, v24
	v_mov_b64_e32 v[20:21], 0
	v_mov_b64_e32 v[14:15], 0
	s_mov_b32 s8, exec_lo
	v_and_b32_e32 v13, 0xff, v25
	s_delay_alu instid0(VALU_DEP_1)
	v_cmpx_ne_u16_e32 0, v13
	s_cbranch_execz .LBB208_1306
; %bb.1299:                             ;   in Loop: Header=BB208_941 Depth=1
	v_mov_b64_e32 v[14:15], 0x80000000
	s_mov_b32 s9, exec_lo
	v_cmpx_ne_u16_e32 0x80, v13
	s_cbranch_execz .LBB208_1305
; %bb.1300:                             ;   in Loop: Header=BB208_941 Depth=1
	v_mov_b64_e32 v[14:15], 0x7f800001
	v_bfe_u32 v13, v24, 16, 7
	s_mov_b32 s14, exec_lo
	s_delay_alu instid0(VALU_DEP_1)
	v_cmpx_ne_u32_e32 0x7f, v13
	s_cbranch_execz .LBB208_1304
; %bb.1301:                             ;   in Loop: Header=BB208_941 Depth=1
	v_and_b32_e32 v18, 7, v25
	v_lshrrev_b32_e32 v14, 3, v13
	s_mov_b32 s15, exec_lo
	v_cmpx_gt_u32_e32 8, v13
; %bb.1302:                             ;   in Loop: Header=BB208_941 Depth=1
	s_delay_alu instid0(VALU_DEP_3) | instskip(NEXT) | instid1(VALU_DEP_1)
	v_clz_i32_u32_e32 v13, v18
	v_min_u32_e32 v13, 32, v13
	s_delay_alu instid0(VALU_DEP_1) | instskip(NEXT) | instid1(VALU_DEP_1)
	v_subrev_nc_u32_e32 v14, 28, v13
	v_lshlrev_b64_e32 v[26:27], v14, v[18:19]
	s_delay_alu instid0(VALU_DEP_1)
	v_dual_sub_nc_u32 v14, 29, v13 :: v_dual_bitop2_b32 v18, 7, v26 bitop3:0x40
; %bb.1303:                             ;   in Loop: Header=BB208_941 Depth=1
	s_or_b32 exec_lo, exec_lo, s15
	s_delay_alu instid0(VALU_DEP_1) | instskip(NEXT) | instid1(VALU_DEP_2)
	v_dual_lshlrev_b32 v13, 24, v25 :: v_dual_lshlrev_b32 v15, 20, v18
	v_lshl_add_u32 v14, v14, 23, 0x3c000000
	s_delay_alu instid0(VALU_DEP_2) | instskip(NEXT) | instid1(VALU_DEP_1)
	v_and_b32_e32 v13, 0x80000000, v13
	v_or3_b32 v18, v15, v13, v14
	s_delay_alu instid0(VALU_DEP_1)
	v_mov_b64_e32 v[14:15], v[18:19]
.LBB208_1304:                           ;   in Loop: Header=BB208_941 Depth=1
	s_or_b32 exec_lo, exec_lo, s14
.LBB208_1305:                           ;   in Loop: Header=BB208_941 Depth=1
	s_delay_alu instid0(SALU_CYCLE_1)
	s_or_b32 exec_lo, exec_lo, s9
.LBB208_1306:                           ;   in Loop: Header=BB208_941 Depth=1
	s_delay_alu instid0(SALU_CYCLE_1) | instskip(NEXT) | instid1(SALU_CYCLE_1)
	s_or_b32 exec_lo, exec_lo, s8
	s_mov_b32 s8, exec_lo
	v_cmpx_lt_u32_e32 0xffffff, v24
	s_cbranch_execz .LBB208_1314
; %bb.1307:                             ;   in Loop: Header=BB208_941 Depth=1
	v_mov_b64_e32 v[20:21], 0x8000000000000000
	v_lshrrev_b32_e32 v25, 24, v24
	s_mov_b32 s9, exec_lo
	s_delay_alu instid0(VALU_DEP_1)
	v_cmpx_ne_u32_e32 0x80, v25
	s_cbranch_execz .LBB208_1313
; %bb.1308:                             ;   in Loop: Header=BB208_941 Depth=1
	v_mov_b64_e32 v[20:21], 0x7f80000100000000
	v_bfe_u32 v13, v24, 24, 7
	s_mov_b32 s14, exec_lo
	s_delay_alu instid0(VALU_DEP_1)
	v_cmpx_ne_u32_e32 0x7f, v13
	s_cbranch_execz .LBB208_1312
; %bb.1309:                             ;   in Loop: Header=BB208_941 Depth=1
	v_and_b32_e32 v18, 7, v25
	v_lshrrev_b32_e32 v20, 3, v13
	s_mov_b32 s15, exec_lo
	v_cmpx_gt_u32_e32 8, v13
; %bb.1310:                             ;   in Loop: Header=BB208_941 Depth=1
	s_delay_alu instid0(VALU_DEP_3) | instskip(NEXT) | instid1(VALU_DEP_1)
	v_clz_i32_u32_e32 v13, v18
	v_min_u32_e32 v13, 32, v13
	s_delay_alu instid0(VALU_DEP_1) | instskip(NEXT) | instid1(VALU_DEP_1)
	v_subrev_nc_u32_e32 v20, 28, v13
	v_lshlrev_b64_e32 v[26:27], v20, v[18:19]
	s_delay_alu instid0(VALU_DEP_1)
	v_dual_sub_nc_u32 v20, 29, v13 :: v_dual_bitop2_b32 v18, 7, v26 bitop3:0x40
; %bb.1311:                             ;   in Loop: Header=BB208_941 Depth=1
	s_or_b32 exec_lo, exec_lo, s15
	s_delay_alu instid0(VALU_DEP_1) | instskip(NEXT) | instid1(VALU_DEP_2)
	v_dual_lshlrev_b32 v13, 24, v25 :: v_dual_lshlrev_b32 v18, 20, v18
	v_lshl_add_u32 v20, v20, 23, 0x3c000000
	s_delay_alu instid0(VALU_DEP_2) | instskip(NEXT) | instid1(VALU_DEP_1)
	v_and_b32_e32 v13, 0x80000000, v13
	v_or3_b32 v21, v18, v13, v20
	v_mov_b32_e32 v20, v19
.LBB208_1312:                           ;   in Loop: Header=BB208_941 Depth=1
	s_or_b32 exec_lo, exec_lo, s14
.LBB208_1313:                           ;   in Loop: Header=BB208_941 Depth=1
	s_delay_alu instid0(SALU_CYCLE_1)
	s_or_b32 exec_lo, exec_lo, s9
.LBB208_1314:                           ;   in Loop: Header=BB208_941 Depth=1
	s_delay_alu instid0(SALU_CYCLE_1) | instskip(SKIP_4) | instid1(VALU_DEP_3)
	s_or_b32 exec_lo, exec_lo, s8
	v_or_b32_e32 v7, v7, v9
	v_or_b32_e32 v6, v6, v8
	;; [unrolled: 1-line block ×4, first 2 shown]
	v_pk_mul_f32 v[58:59], v[70:71], v[6:7]
	s_delay_alu instid0(VALU_DEP_2)
	v_pk_mul_f32 v[56:57], v[70:71], v[8:9]
	s_and_saveexec_b32 s8, vcc_lo
	s_cbranch_execz .LBB208_1316
; %bb.1315:                             ;   in Loop: Header=BB208_941 Depth=1
	scratch_load_b64 v[6:7], off, s32 offset:192 ; 8-byte Folded Reload
	s_wait_loadcnt 0x0
	v_cmp_lt_i32_e64 s0, v83, v6
	s_delay_alu instid0(VALU_DEP_1) | instskip(SKIP_1) | instid1(VALU_DEP_1)
	v_cndmask_b32_e64 v58, 0, v58, s0
	v_cmp_lt_i32_e64 s0, v0, v6
	v_cndmask_b32_e64 v59, 0, v59, s0
	v_cmp_lt_i32_e64 s0, v84, v6
	s_delay_alu instid0(VALU_DEP_1) | instskip(SKIP_1) | instid1(VALU_DEP_1)
	v_cndmask_b32_e64 v56, 0, v56, s0
	v_cmp_lt_i32_e64 s0, v1, v6
	v_cndmask_b32_e64 v57, 0, v57, s0
.LBB208_1316:                           ;   in Loop: Header=BB208_941 Depth=1
	s_wait_xcnt 0x0
	s_or_b32 exec_lo, exec_lo, s8
	flat_load_b32 v14, v[80:81] offset:1408
	v_mov_b64_e32 v[6:7], 0
	v_mov_b64_e32 v[8:9], 0
	s_mov_b32 s8, exec_lo
	s_wait_loadcnt_dscnt 0x0
	v_and_b32_e32 v13, 0xff, v14
	s_wait_xcnt 0x0
	s_delay_alu instid0(VALU_DEP_1)
	v_cmpx_ne_u16_e32 0, v13
	s_cbranch_execz .LBB208_1324
; %bb.1317:                             ;   in Loop: Header=BB208_941 Depth=1
	v_mov_b64_e32 v[8:9], 0x80000000
	s_mov_b32 s9, exec_lo
	v_cmpx_ne_u16_e32 0x80, v13
	s_cbranch_execz .LBB208_1323
; %bb.1318:                             ;   in Loop: Header=BB208_941 Depth=1
	v_mov_b64_e32 v[8:9], 0x7f800001
	v_and_b32_e32 v13, 0x7f, v14
	s_mov_b32 s14, exec_lo
	s_delay_alu instid0(VALU_DEP_1)
	v_cmpx_ne_u32_e32 0x7f, v13
	s_cbranch_execz .LBB208_1322
; %bb.1319:                             ;   in Loop: Header=BB208_941 Depth=1
	v_dual_lshrrev_b32 v8, 3, v13 :: v_dual_bitop2_b32 v18, 7, v14 bitop3:0x40
	s_mov_b32 s15, exec_lo
	v_cmpx_gt_u32_e32 8, v13
; %bb.1320:                             ;   in Loop: Header=BB208_941 Depth=1
	s_delay_alu instid0(VALU_DEP_2) | instskip(NEXT) | instid1(VALU_DEP_1)
	v_clz_i32_u32_e32 v8, v18
	v_min_u32_e32 v8, 32, v8
	s_delay_alu instid0(VALU_DEP_1) | instskip(SKIP_1) | instid1(VALU_DEP_2)
	v_subrev_nc_u32_e32 v9, 28, v8
	v_sub_nc_u32_e32 v8, 29, v8
	v_lshlrev_b64_e32 v[20:21], v9, v[18:19]
	s_delay_alu instid0(VALU_DEP_1)
	v_and_b32_e32 v18, 7, v20
; %bb.1321:                             ;   in Loop: Header=BB208_941 Depth=1
	s_or_b32 exec_lo, exec_lo, s15
	v_lshlrev_b32_e32 v9, 24, v14
	s_delay_alu instid0(VALU_DEP_2) | instskip(SKIP_1) | instid1(VALU_DEP_3)
	v_lshlrev_b32_e32 v13, 20, v18
	v_lshl_add_u32 v8, v8, 23, 0x3c000000
	v_and_b32_e32 v9, 0x80000000, v9
	s_delay_alu instid0(VALU_DEP_1) | instskip(NEXT) | instid1(VALU_DEP_1)
	v_or3_b32 v18, v13, v9, v8
	v_mov_b64_e32 v[8:9], v[18:19]
.LBB208_1322:                           ;   in Loop: Header=BB208_941 Depth=1
	s_or_b32 exec_lo, exec_lo, s14
.LBB208_1323:                           ;   in Loop: Header=BB208_941 Depth=1
	s_delay_alu instid0(SALU_CYCLE_1)
	s_or_b32 exec_lo, exec_lo, s9
.LBB208_1324:                           ;   in Loop: Header=BB208_941 Depth=1
	s_delay_alu instid0(SALU_CYCLE_1) | instskip(SKIP_2) | instid1(VALU_DEP_1)
	s_or_b32 exec_lo, exec_lo, s8
	v_lshrrev_b16 v15, 8, v14
	s_mov_b32 s8, exec_lo
	v_cmpx_ne_u16_e32 0, v15
	s_cbranch_execz .LBB208_1332
; %bb.1325:                             ;   in Loop: Header=BB208_941 Depth=1
	v_mov_b64_e32 v[6:7], 0x8000000000000000
	s_mov_b32 s9, exec_lo
	v_cmpx_ne_u16_e32 0x80, v15
	s_cbranch_execz .LBB208_1331
; %bb.1326:                             ;   in Loop: Header=BB208_941 Depth=1
	v_and_b32_e32 v15, 0xffff, v15
	v_mov_b64_e32 v[6:7], 0x7f80000100000000
	s_mov_b32 s14, exec_lo
	s_delay_alu instid0(VALU_DEP_2) | instskip(NEXT) | instid1(VALU_DEP_1)
	v_and_b32_e32 v13, 0x7f, v15
	v_cmpx_ne_u32_e32 0x7f, v13
	s_cbranch_execz .LBB208_1330
; %bb.1327:                             ;   in Loop: Header=BB208_941 Depth=1
	v_dual_lshrrev_b32 v6, 3, v13 :: v_dual_bitop2_b32 v18, 7, v15 bitop3:0x40
	s_mov_b32 s15, exec_lo
	v_cmpx_gt_u32_e32 8, v13
; %bb.1328:                             ;   in Loop: Header=BB208_941 Depth=1
	s_delay_alu instid0(VALU_DEP_2) | instskip(NEXT) | instid1(VALU_DEP_1)
	v_clz_i32_u32_e32 v6, v18
	v_min_u32_e32 v6, 32, v6
	s_delay_alu instid0(VALU_DEP_1) | instskip(NEXT) | instid1(VALU_DEP_1)
	v_subrev_nc_u32_e32 v7, 28, v6
	v_lshlrev_b64_e32 v[20:21], v7, v[18:19]
	s_delay_alu instid0(VALU_DEP_1)
	v_dual_sub_nc_u32 v6, 29, v6 :: v_dual_bitop2_b32 v18, 7, v20 bitop3:0x40
; %bb.1329:                             ;   in Loop: Header=BB208_941 Depth=1
	s_or_b32 exec_lo, exec_lo, s15
	v_lshlrev_b32_e32 v7, 16, v14
	s_delay_alu instid0(VALU_DEP_2) | instskip(NEXT) | instid1(VALU_DEP_3)
	v_lshlrev_b32_e32 v13, 20, v18
	v_lshl_add_u32 v6, v6, 23, 0x3c000000
	s_delay_alu instid0(VALU_DEP_3) | instskip(NEXT) | instid1(VALU_DEP_1)
	v_and_b32_e32 v7, 0x80000000, v7
	v_or3_b32 v7, v13, v7, v6
	v_mov_b32_e32 v6, v19
.LBB208_1330:                           ;   in Loop: Header=BB208_941 Depth=1
	s_or_b32 exec_lo, exec_lo, s14
.LBB208_1331:                           ;   in Loop: Header=BB208_941 Depth=1
	s_delay_alu instid0(SALU_CYCLE_1)
	s_or_b32 exec_lo, exec_lo, s9
.LBB208_1332:                           ;   in Loop: Header=BB208_941 Depth=1
	s_delay_alu instid0(SALU_CYCLE_1) | instskip(SKIP_4) | instid1(VALU_DEP_3)
	s_or_b32 exec_lo, exec_lo, s8
	v_lshrrev_b32_e32 v15, 16, v14
	v_mov_b64_e32 v[20:21], 0
	v_mov_b64_e32 v[24:25], 0
	s_mov_b32 s8, exec_lo
	v_and_b32_e32 v13, 0xff, v15
	s_delay_alu instid0(VALU_DEP_1)
	v_cmpx_ne_u16_e32 0, v13
	s_cbranch_execz .LBB208_1340
; %bb.1333:                             ;   in Loop: Header=BB208_941 Depth=1
	v_mov_b64_e32 v[24:25], 0x80000000
	s_mov_b32 s9, exec_lo
	v_cmpx_ne_u16_e32 0x80, v13
	s_cbranch_execz .LBB208_1339
; %bb.1334:                             ;   in Loop: Header=BB208_941 Depth=1
	v_mov_b64_e32 v[24:25], 0x7f800001
	v_bfe_u32 v13, v14, 16, 7
	s_mov_b32 s14, exec_lo
	s_delay_alu instid0(VALU_DEP_1)
	v_cmpx_ne_u32_e32 0x7f, v13
	s_cbranch_execz .LBB208_1338
; %bb.1335:                             ;   in Loop: Header=BB208_941 Depth=1
	v_dual_lshrrev_b32 v24, 3, v13 :: v_dual_bitop2_b32 v18, 7, v15 bitop3:0x40
	s_mov_b32 s15, exec_lo
	v_cmpx_gt_u32_e32 8, v13
; %bb.1336:                             ;   in Loop: Header=BB208_941 Depth=1
	s_delay_alu instid0(VALU_DEP_2) | instskip(NEXT) | instid1(VALU_DEP_1)
	v_clz_i32_u32_e32 v13, v18
	v_min_u32_e32 v13, 32, v13
	s_delay_alu instid0(VALU_DEP_1) | instskip(NEXT) | instid1(VALU_DEP_1)
	v_subrev_nc_u32_e32 v24, 28, v13
	v_lshlrev_b64_e32 v[26:27], v24, v[18:19]
	s_delay_alu instid0(VALU_DEP_1)
	v_dual_sub_nc_u32 v24, 29, v13 :: v_dual_bitop2_b32 v18, 7, v26 bitop3:0x40
; %bb.1337:                             ;   in Loop: Header=BB208_941 Depth=1
	s_or_b32 exec_lo, exec_lo, s15
	s_delay_alu instid0(VALU_DEP_1) | instskip(NEXT) | instid1(VALU_DEP_2)
	v_dual_lshlrev_b32 v13, 24, v15 :: v_dual_lshlrev_b32 v15, 20, v18
	v_lshl_add_u32 v18, v24, 23, 0x3c000000
	s_delay_alu instid0(VALU_DEP_2) | instskip(NEXT) | instid1(VALU_DEP_1)
	v_and_b32_e32 v13, 0x80000000, v13
	v_or3_b32 v18, v15, v13, v18
	s_delay_alu instid0(VALU_DEP_1)
	v_mov_b64_e32 v[24:25], v[18:19]
.LBB208_1338:                           ;   in Loop: Header=BB208_941 Depth=1
	s_or_b32 exec_lo, exec_lo, s14
.LBB208_1339:                           ;   in Loop: Header=BB208_941 Depth=1
	s_delay_alu instid0(SALU_CYCLE_1)
	s_or_b32 exec_lo, exec_lo, s9
.LBB208_1340:                           ;   in Loop: Header=BB208_941 Depth=1
	s_delay_alu instid0(SALU_CYCLE_1) | instskip(NEXT) | instid1(SALU_CYCLE_1)
	s_or_b32 exec_lo, exec_lo, s8
	s_mov_b32 s8, exec_lo
	v_cmpx_lt_u32_e32 0xffffff, v14
	s_cbranch_execz .LBB208_1348
; %bb.1341:                             ;   in Loop: Header=BB208_941 Depth=1
	v_mov_b64_e32 v[20:21], 0x8000000000000000
	v_lshrrev_b32_e32 v15, 24, v14
	s_mov_b32 s9, exec_lo
	s_delay_alu instid0(VALU_DEP_1)
	v_cmpx_ne_u32_e32 0x80, v15
	s_cbranch_execz .LBB208_1347
; %bb.1342:                             ;   in Loop: Header=BB208_941 Depth=1
	v_mov_b64_e32 v[20:21], 0x7f80000100000000
	v_bfe_u32 v13, v14, 24, 7
	s_mov_b32 s14, exec_lo
	s_delay_alu instid0(VALU_DEP_1)
	v_cmpx_ne_u32_e32 0x7f, v13
	s_cbranch_execz .LBB208_1346
; %bb.1343:                             ;   in Loop: Header=BB208_941 Depth=1
	v_dual_lshrrev_b32 v14, 3, v13 :: v_dual_bitop2_b32 v18, 7, v15 bitop3:0x40
	s_mov_b32 s15, exec_lo
	v_cmpx_gt_u32_e32 8, v13
; %bb.1344:                             ;   in Loop: Header=BB208_941 Depth=1
	s_delay_alu instid0(VALU_DEP_2) | instskip(NEXT) | instid1(VALU_DEP_1)
	v_clz_i32_u32_e32 v13, v18
	v_min_u32_e32 v13, 32, v13
	s_delay_alu instid0(VALU_DEP_1) | instskip(NEXT) | instid1(VALU_DEP_1)
	v_subrev_nc_u32_e32 v14, 28, v13
	v_lshlrev_b64_e32 v[20:21], v14, v[18:19]
	s_delay_alu instid0(VALU_DEP_1)
	v_dual_sub_nc_u32 v14, 29, v13 :: v_dual_bitop2_b32 v18, 7, v20 bitop3:0x40
; %bb.1345:                             ;   in Loop: Header=BB208_941 Depth=1
	s_or_b32 exec_lo, exec_lo, s15
	s_delay_alu instid0(VALU_DEP_1) | instskip(NEXT) | instid1(VALU_DEP_2)
	v_dual_lshlrev_b32 v13, 24, v15 :: v_dual_lshlrev_b32 v15, 20, v18
	v_lshl_add_u32 v14, v14, 23, 0x3c000000
	v_mov_b32_e32 v20, v19
	s_delay_alu instid0(VALU_DEP_3) | instskip(NEXT) | instid1(VALU_DEP_1)
	v_and_b32_e32 v13, 0x80000000, v13
	v_or3_b32 v21, v15, v13, v14
.LBB208_1346:                           ;   in Loop: Header=BB208_941 Depth=1
	s_or_b32 exec_lo, exec_lo, s14
.LBB208_1347:                           ;   in Loop: Header=BB208_941 Depth=1
	s_delay_alu instid0(SALU_CYCLE_1)
	s_or_b32 exec_lo, exec_lo, s9
.LBB208_1348:                           ;   in Loop: Header=BB208_941 Depth=1
	s_delay_alu instid0(SALU_CYCLE_1) | instskip(SKIP_4) | instid1(VALU_DEP_3)
	s_or_b32 exec_lo, exec_lo, s8
	v_or_b32_e32 v7, v7, v9
	v_or_b32_e32 v6, v6, v8
	;; [unrolled: 1-line block ×4, first 2 shown]
	v_pk_mul_f32 v[62:63], v[70:71], v[6:7]
	s_delay_alu instid0(VALU_DEP_2)
	v_pk_mul_f32 v[60:61], v[70:71], v[8:9]
	s_and_saveexec_b32 s8, vcc_lo
	s_cbranch_execz .LBB208_1350
; %bb.1349:                             ;   in Loop: Header=BB208_941 Depth=1
	scratch_load_b64 v[6:7], off, s32 offset:192 ; 8-byte Folded Reload
	s_wait_loadcnt 0x0
	v_cmp_lt_i32_e64 s0, v83, v6
	s_delay_alu instid0(VALU_DEP_1) | instskip(SKIP_1) | instid1(VALU_DEP_1)
	v_cndmask_b32_e64 v62, 0, v62, s0
	v_cmp_lt_i32_e64 s0, v0, v6
	v_cndmask_b32_e64 v63, 0, v63, s0
	v_cmp_lt_i32_e64 s0, v84, v6
	s_delay_alu instid0(VALU_DEP_1) | instskip(SKIP_1) | instid1(VALU_DEP_1)
	v_cndmask_b32_e64 v60, 0, v60, s0
	v_cmp_lt_i32_e64 s0, v1, v6
	v_cndmask_b32_e64 v61, 0, v61, s0
.LBB208_1350:                           ;   in Loop: Header=BB208_941 Depth=1
	s_wait_xcnt 0x0
	s_or_b32 exec_lo, exec_lo, s8
	flat_load_b32 v14, v[80:81] offset:1536
	v_mov_b64_e32 v[6:7], 0
	v_mov_b64_e32 v[8:9], 0
	s_mov_b32 s8, exec_lo
	s_wait_loadcnt_dscnt 0x0
	v_and_b32_e32 v13, 0xff, v14
	s_wait_xcnt 0x0
	s_delay_alu instid0(VALU_DEP_1)
	v_cmpx_ne_u16_e32 0, v13
	s_cbranch_execz .LBB208_1358
; %bb.1351:                             ;   in Loop: Header=BB208_941 Depth=1
	v_mov_b64_e32 v[8:9], 0x80000000
	s_mov_b32 s9, exec_lo
	v_cmpx_ne_u16_e32 0x80, v13
	s_cbranch_execz .LBB208_1357
; %bb.1352:                             ;   in Loop: Header=BB208_941 Depth=1
	v_mov_b64_e32 v[8:9], 0x7f800001
	v_and_b32_e32 v13, 0x7f, v14
	s_mov_b32 s14, exec_lo
	s_delay_alu instid0(VALU_DEP_1)
	v_cmpx_ne_u32_e32 0x7f, v13
	s_cbranch_execz .LBB208_1356
; %bb.1353:                             ;   in Loop: Header=BB208_941 Depth=1
	v_dual_lshrrev_b32 v8, 3, v13 :: v_dual_bitop2_b32 v18, 7, v14 bitop3:0x40
	s_mov_b32 s15, exec_lo
	v_cmpx_gt_u32_e32 8, v13
; %bb.1354:                             ;   in Loop: Header=BB208_941 Depth=1
	s_delay_alu instid0(VALU_DEP_2) | instskip(NEXT) | instid1(VALU_DEP_1)
	v_clz_i32_u32_e32 v8, v18
	v_min_u32_e32 v8, 32, v8
	s_delay_alu instid0(VALU_DEP_1) | instskip(SKIP_1) | instid1(VALU_DEP_2)
	v_subrev_nc_u32_e32 v9, 28, v8
	v_sub_nc_u32_e32 v8, 29, v8
	v_lshlrev_b64_e32 v[20:21], v9, v[18:19]
	s_delay_alu instid0(VALU_DEP_1)
	v_and_b32_e32 v18, 7, v20
; %bb.1355:                             ;   in Loop: Header=BB208_941 Depth=1
	s_or_b32 exec_lo, exec_lo, s15
	v_lshlrev_b32_e32 v9, 24, v14
	s_delay_alu instid0(VALU_DEP_2) | instskip(SKIP_1) | instid1(VALU_DEP_3)
	v_lshlrev_b32_e32 v13, 20, v18
	v_lshl_add_u32 v8, v8, 23, 0x3c000000
	v_and_b32_e32 v9, 0x80000000, v9
	s_delay_alu instid0(VALU_DEP_1) | instskip(NEXT) | instid1(VALU_DEP_1)
	v_or3_b32 v18, v13, v9, v8
	v_mov_b64_e32 v[8:9], v[18:19]
.LBB208_1356:                           ;   in Loop: Header=BB208_941 Depth=1
	s_or_b32 exec_lo, exec_lo, s14
.LBB208_1357:                           ;   in Loop: Header=BB208_941 Depth=1
	s_delay_alu instid0(SALU_CYCLE_1)
	s_or_b32 exec_lo, exec_lo, s9
.LBB208_1358:                           ;   in Loop: Header=BB208_941 Depth=1
	s_delay_alu instid0(SALU_CYCLE_1) | instskip(SKIP_2) | instid1(VALU_DEP_1)
	s_or_b32 exec_lo, exec_lo, s8
	v_lshrrev_b16 v15, 8, v14
	s_mov_b32 s8, exec_lo
	v_cmpx_ne_u16_e32 0, v15
	s_cbranch_execz .LBB208_1366
; %bb.1359:                             ;   in Loop: Header=BB208_941 Depth=1
	v_mov_b64_e32 v[6:7], 0x8000000000000000
	s_mov_b32 s9, exec_lo
	v_cmpx_ne_u16_e32 0x80, v15
	s_cbranch_execz .LBB208_1365
; %bb.1360:                             ;   in Loop: Header=BB208_941 Depth=1
	v_and_b32_e32 v15, 0xffff, v15
	v_mov_b64_e32 v[6:7], 0x7f80000100000000
	s_mov_b32 s14, exec_lo
	s_delay_alu instid0(VALU_DEP_2) | instskip(NEXT) | instid1(VALU_DEP_1)
	v_and_b32_e32 v13, 0x7f, v15
	v_cmpx_ne_u32_e32 0x7f, v13
	s_cbranch_execz .LBB208_1364
; %bb.1361:                             ;   in Loop: Header=BB208_941 Depth=1
	v_dual_lshrrev_b32 v6, 3, v13 :: v_dual_bitop2_b32 v18, 7, v15 bitop3:0x40
	s_mov_b32 s15, exec_lo
	v_cmpx_gt_u32_e32 8, v13
; %bb.1362:                             ;   in Loop: Header=BB208_941 Depth=1
	s_delay_alu instid0(VALU_DEP_2) | instskip(NEXT) | instid1(VALU_DEP_1)
	v_clz_i32_u32_e32 v6, v18
	v_min_u32_e32 v6, 32, v6
	s_delay_alu instid0(VALU_DEP_1) | instskip(NEXT) | instid1(VALU_DEP_1)
	v_subrev_nc_u32_e32 v7, 28, v6
	v_lshlrev_b64_e32 v[20:21], v7, v[18:19]
	s_delay_alu instid0(VALU_DEP_1)
	v_dual_sub_nc_u32 v6, 29, v6 :: v_dual_bitop2_b32 v18, 7, v20 bitop3:0x40
; %bb.1363:                             ;   in Loop: Header=BB208_941 Depth=1
	s_or_b32 exec_lo, exec_lo, s15
	v_lshlrev_b32_e32 v7, 16, v14
	s_delay_alu instid0(VALU_DEP_2) | instskip(NEXT) | instid1(VALU_DEP_3)
	v_lshlrev_b32_e32 v13, 20, v18
	v_lshl_add_u32 v6, v6, 23, 0x3c000000
	s_delay_alu instid0(VALU_DEP_3) | instskip(NEXT) | instid1(VALU_DEP_1)
	v_and_b32_e32 v7, 0x80000000, v7
	v_or3_b32 v7, v13, v7, v6
	v_mov_b32_e32 v6, v19
.LBB208_1364:                           ;   in Loop: Header=BB208_941 Depth=1
	s_or_b32 exec_lo, exec_lo, s14
.LBB208_1365:                           ;   in Loop: Header=BB208_941 Depth=1
	s_delay_alu instid0(SALU_CYCLE_1)
	s_or_b32 exec_lo, exec_lo, s9
.LBB208_1366:                           ;   in Loop: Header=BB208_941 Depth=1
	s_delay_alu instid0(SALU_CYCLE_1) | instskip(SKIP_4) | instid1(VALU_DEP_3)
	s_or_b32 exec_lo, exec_lo, s8
	v_lshrrev_b32_e32 v15, 16, v14
	v_mov_b64_e32 v[20:21], 0
	v_mov_b64_e32 v[24:25], 0
	s_mov_b32 s8, exec_lo
	v_and_b32_e32 v13, 0xff, v15
	s_delay_alu instid0(VALU_DEP_1)
	v_cmpx_ne_u16_e32 0, v13
	s_cbranch_execz .LBB208_1374
; %bb.1367:                             ;   in Loop: Header=BB208_941 Depth=1
	v_mov_b64_e32 v[24:25], 0x80000000
	s_mov_b32 s9, exec_lo
	v_cmpx_ne_u16_e32 0x80, v13
	s_cbranch_execz .LBB208_1373
; %bb.1368:                             ;   in Loop: Header=BB208_941 Depth=1
	v_mov_b64_e32 v[24:25], 0x7f800001
	v_bfe_u32 v13, v14, 16, 7
	s_mov_b32 s14, exec_lo
	s_delay_alu instid0(VALU_DEP_1)
	v_cmpx_ne_u32_e32 0x7f, v13
	s_cbranch_execz .LBB208_1372
; %bb.1369:                             ;   in Loop: Header=BB208_941 Depth=1
	v_dual_lshrrev_b32 v24, 3, v13 :: v_dual_bitop2_b32 v18, 7, v15 bitop3:0x40
	s_mov_b32 s15, exec_lo
	v_cmpx_gt_u32_e32 8, v13
; %bb.1370:                             ;   in Loop: Header=BB208_941 Depth=1
	s_delay_alu instid0(VALU_DEP_2) | instskip(NEXT) | instid1(VALU_DEP_1)
	v_clz_i32_u32_e32 v13, v18
	v_min_u32_e32 v13, 32, v13
	s_delay_alu instid0(VALU_DEP_1) | instskip(NEXT) | instid1(VALU_DEP_1)
	v_subrev_nc_u32_e32 v24, 28, v13
	v_lshlrev_b64_e32 v[26:27], v24, v[18:19]
	s_delay_alu instid0(VALU_DEP_1)
	v_dual_sub_nc_u32 v24, 29, v13 :: v_dual_bitop2_b32 v18, 7, v26 bitop3:0x40
; %bb.1371:                             ;   in Loop: Header=BB208_941 Depth=1
	s_or_b32 exec_lo, exec_lo, s15
	s_delay_alu instid0(VALU_DEP_1) | instskip(NEXT) | instid1(VALU_DEP_2)
	v_dual_lshlrev_b32 v13, 24, v15 :: v_dual_lshlrev_b32 v15, 20, v18
	v_lshl_add_u32 v18, v24, 23, 0x3c000000
	s_delay_alu instid0(VALU_DEP_2) | instskip(NEXT) | instid1(VALU_DEP_1)
	v_and_b32_e32 v13, 0x80000000, v13
	v_or3_b32 v18, v15, v13, v18
	s_delay_alu instid0(VALU_DEP_1)
	v_mov_b64_e32 v[24:25], v[18:19]
.LBB208_1372:                           ;   in Loop: Header=BB208_941 Depth=1
	s_or_b32 exec_lo, exec_lo, s14
.LBB208_1373:                           ;   in Loop: Header=BB208_941 Depth=1
	s_delay_alu instid0(SALU_CYCLE_1)
	s_or_b32 exec_lo, exec_lo, s9
.LBB208_1374:                           ;   in Loop: Header=BB208_941 Depth=1
	s_delay_alu instid0(SALU_CYCLE_1) | instskip(NEXT) | instid1(SALU_CYCLE_1)
	s_or_b32 exec_lo, exec_lo, s8
	s_mov_b32 s8, exec_lo
	v_cmpx_lt_u32_e32 0xffffff, v14
	s_cbranch_execz .LBB208_1382
; %bb.1375:                             ;   in Loop: Header=BB208_941 Depth=1
	v_mov_b64_e32 v[20:21], 0x8000000000000000
	v_lshrrev_b32_e32 v15, 24, v14
	s_mov_b32 s9, exec_lo
	s_delay_alu instid0(VALU_DEP_1)
	v_cmpx_ne_u32_e32 0x80, v15
	s_cbranch_execz .LBB208_1381
; %bb.1376:                             ;   in Loop: Header=BB208_941 Depth=1
	v_mov_b64_e32 v[20:21], 0x7f80000100000000
	v_bfe_u32 v13, v14, 24, 7
	s_mov_b32 s14, exec_lo
	s_delay_alu instid0(VALU_DEP_1)
	v_cmpx_ne_u32_e32 0x7f, v13
	s_cbranch_execz .LBB208_1380
; %bb.1377:                             ;   in Loop: Header=BB208_941 Depth=1
	v_dual_lshrrev_b32 v14, 3, v13 :: v_dual_bitop2_b32 v18, 7, v15 bitop3:0x40
	s_mov_b32 s15, exec_lo
	v_cmpx_gt_u32_e32 8, v13
; %bb.1378:                             ;   in Loop: Header=BB208_941 Depth=1
	s_delay_alu instid0(VALU_DEP_2) | instskip(NEXT) | instid1(VALU_DEP_1)
	v_clz_i32_u32_e32 v13, v18
	v_min_u32_e32 v13, 32, v13
	s_delay_alu instid0(VALU_DEP_1) | instskip(NEXT) | instid1(VALU_DEP_1)
	v_subrev_nc_u32_e32 v14, 28, v13
	v_lshlrev_b64_e32 v[20:21], v14, v[18:19]
	s_delay_alu instid0(VALU_DEP_1)
	v_dual_sub_nc_u32 v14, 29, v13 :: v_dual_bitop2_b32 v18, 7, v20 bitop3:0x40
; %bb.1379:                             ;   in Loop: Header=BB208_941 Depth=1
	s_or_b32 exec_lo, exec_lo, s15
	s_delay_alu instid0(VALU_DEP_1) | instskip(NEXT) | instid1(VALU_DEP_2)
	v_dual_lshlrev_b32 v13, 24, v15 :: v_dual_lshlrev_b32 v15, 20, v18
	v_lshl_add_u32 v14, v14, 23, 0x3c000000
	v_mov_b32_e32 v20, v19
	s_delay_alu instid0(VALU_DEP_3) | instskip(NEXT) | instid1(VALU_DEP_1)
	v_and_b32_e32 v13, 0x80000000, v13
	v_or3_b32 v21, v15, v13, v14
.LBB208_1380:                           ;   in Loop: Header=BB208_941 Depth=1
	s_or_b32 exec_lo, exec_lo, s14
.LBB208_1381:                           ;   in Loop: Header=BB208_941 Depth=1
	s_delay_alu instid0(SALU_CYCLE_1)
	s_or_b32 exec_lo, exec_lo, s9
.LBB208_1382:                           ;   in Loop: Header=BB208_941 Depth=1
	s_delay_alu instid0(SALU_CYCLE_1) | instskip(SKIP_4) | instid1(VALU_DEP_3)
	s_or_b32 exec_lo, exec_lo, s8
	v_or_b32_e32 v7, v7, v9
	v_or_b32_e32 v6, v6, v8
	;; [unrolled: 1-line block ×4, first 2 shown]
	v_pk_mul_f32 v[74:75], v[70:71], v[6:7]
	s_delay_alu instid0(VALU_DEP_2)
	v_pk_mul_f32 v[72:73], v[70:71], v[8:9]
	s_and_saveexec_b32 s8, vcc_lo
	s_cbranch_execz .LBB208_1384
; %bb.1383:                             ;   in Loop: Header=BB208_941 Depth=1
	scratch_load_b64 v[6:7], off, s32 offset:192 ; 8-byte Folded Reload
	s_wait_loadcnt 0x0
	v_cmp_lt_i32_e64 s0, v83, v6
	s_delay_alu instid0(VALU_DEP_1) | instskip(SKIP_1) | instid1(VALU_DEP_1)
	v_cndmask_b32_e64 v74, 0, v74, s0
	v_cmp_lt_i32_e64 s0, v0, v6
	v_cndmask_b32_e64 v75, 0, v75, s0
	v_cmp_lt_i32_e64 s0, v84, v6
	s_delay_alu instid0(VALU_DEP_1) | instskip(SKIP_1) | instid1(VALU_DEP_1)
	v_cndmask_b32_e64 v72, 0, v72, s0
	v_cmp_lt_i32_e64 s0, v1, v6
	v_cndmask_b32_e64 v73, 0, v73, s0
.LBB208_1384:                           ;   in Loop: Header=BB208_941 Depth=1
	s_wait_xcnt 0x0
	s_or_b32 exec_lo, exec_lo, s8
	flat_load_b32 v14, v[80:81] offset:1664
	v_mov_b64_e32 v[6:7], 0
	v_mov_b64_e32 v[8:9], 0
	s_mov_b32 s8, exec_lo
	s_wait_loadcnt_dscnt 0x0
	v_and_b32_e32 v13, 0xff, v14
	s_wait_xcnt 0x0
	s_delay_alu instid0(VALU_DEP_1)
	v_cmpx_ne_u16_e32 0, v13
	s_cbranch_execz .LBB208_1392
; %bb.1385:                             ;   in Loop: Header=BB208_941 Depth=1
	v_mov_b64_e32 v[8:9], 0x80000000
	s_mov_b32 s9, exec_lo
	v_cmpx_ne_u16_e32 0x80, v13
	s_cbranch_execz .LBB208_1391
; %bb.1386:                             ;   in Loop: Header=BB208_941 Depth=1
	v_mov_b64_e32 v[8:9], 0x7f800001
	v_and_b32_e32 v13, 0x7f, v14
	s_mov_b32 s14, exec_lo
	s_delay_alu instid0(VALU_DEP_1)
	v_cmpx_ne_u32_e32 0x7f, v13
	s_cbranch_execz .LBB208_1390
; %bb.1387:                             ;   in Loop: Header=BB208_941 Depth=1
	v_dual_lshrrev_b32 v8, 3, v13 :: v_dual_bitop2_b32 v18, 7, v14 bitop3:0x40
	s_mov_b32 s15, exec_lo
	v_cmpx_gt_u32_e32 8, v13
; %bb.1388:                             ;   in Loop: Header=BB208_941 Depth=1
	s_delay_alu instid0(VALU_DEP_2) | instskip(NEXT) | instid1(VALU_DEP_1)
	v_clz_i32_u32_e32 v8, v18
	v_min_u32_e32 v8, 32, v8
	s_delay_alu instid0(VALU_DEP_1) | instskip(SKIP_1) | instid1(VALU_DEP_2)
	v_subrev_nc_u32_e32 v9, 28, v8
	v_sub_nc_u32_e32 v8, 29, v8
	v_lshlrev_b64_e32 v[20:21], v9, v[18:19]
	s_delay_alu instid0(VALU_DEP_1)
	v_and_b32_e32 v18, 7, v20
; %bb.1389:                             ;   in Loop: Header=BB208_941 Depth=1
	s_or_b32 exec_lo, exec_lo, s15
	v_lshlrev_b32_e32 v9, 24, v14
	s_delay_alu instid0(VALU_DEP_2) | instskip(SKIP_1) | instid1(VALU_DEP_3)
	v_lshlrev_b32_e32 v13, 20, v18
	v_lshl_add_u32 v8, v8, 23, 0x3c000000
	v_and_b32_e32 v9, 0x80000000, v9
	s_delay_alu instid0(VALU_DEP_1) | instskip(NEXT) | instid1(VALU_DEP_1)
	v_or3_b32 v18, v13, v9, v8
	v_mov_b64_e32 v[8:9], v[18:19]
.LBB208_1390:                           ;   in Loop: Header=BB208_941 Depth=1
	s_or_b32 exec_lo, exec_lo, s14
.LBB208_1391:                           ;   in Loop: Header=BB208_941 Depth=1
	s_delay_alu instid0(SALU_CYCLE_1)
	s_or_b32 exec_lo, exec_lo, s9
.LBB208_1392:                           ;   in Loop: Header=BB208_941 Depth=1
	s_delay_alu instid0(SALU_CYCLE_1) | instskip(SKIP_2) | instid1(VALU_DEP_1)
	s_or_b32 exec_lo, exec_lo, s8
	v_lshrrev_b16 v15, 8, v14
	s_mov_b32 s8, exec_lo
	v_cmpx_ne_u16_e32 0, v15
	s_cbranch_execz .LBB208_1400
; %bb.1393:                             ;   in Loop: Header=BB208_941 Depth=1
	v_mov_b64_e32 v[6:7], 0x8000000000000000
	s_mov_b32 s9, exec_lo
	v_cmpx_ne_u16_e32 0x80, v15
	s_cbranch_execz .LBB208_1399
; %bb.1394:                             ;   in Loop: Header=BB208_941 Depth=1
	v_and_b32_e32 v15, 0xffff, v15
	v_mov_b64_e32 v[6:7], 0x7f80000100000000
	s_mov_b32 s14, exec_lo
	s_delay_alu instid0(VALU_DEP_2) | instskip(NEXT) | instid1(VALU_DEP_1)
	v_and_b32_e32 v13, 0x7f, v15
	v_cmpx_ne_u32_e32 0x7f, v13
	s_cbranch_execz .LBB208_1398
; %bb.1395:                             ;   in Loop: Header=BB208_941 Depth=1
	v_dual_lshrrev_b32 v6, 3, v13 :: v_dual_bitop2_b32 v18, 7, v15 bitop3:0x40
	s_mov_b32 s15, exec_lo
	v_cmpx_gt_u32_e32 8, v13
; %bb.1396:                             ;   in Loop: Header=BB208_941 Depth=1
	s_delay_alu instid0(VALU_DEP_2) | instskip(NEXT) | instid1(VALU_DEP_1)
	v_clz_i32_u32_e32 v6, v18
	v_min_u32_e32 v6, 32, v6
	s_delay_alu instid0(VALU_DEP_1) | instskip(NEXT) | instid1(VALU_DEP_1)
	v_subrev_nc_u32_e32 v7, 28, v6
	v_lshlrev_b64_e32 v[20:21], v7, v[18:19]
	s_delay_alu instid0(VALU_DEP_1)
	v_dual_sub_nc_u32 v6, 29, v6 :: v_dual_bitop2_b32 v18, 7, v20 bitop3:0x40
; %bb.1397:                             ;   in Loop: Header=BB208_941 Depth=1
	s_or_b32 exec_lo, exec_lo, s15
	v_lshlrev_b32_e32 v7, 16, v14
	s_delay_alu instid0(VALU_DEP_2) | instskip(NEXT) | instid1(VALU_DEP_3)
	v_lshlrev_b32_e32 v13, 20, v18
	v_lshl_add_u32 v6, v6, 23, 0x3c000000
	s_delay_alu instid0(VALU_DEP_3) | instskip(NEXT) | instid1(VALU_DEP_1)
	v_and_b32_e32 v7, 0x80000000, v7
	v_or3_b32 v7, v13, v7, v6
	v_mov_b32_e32 v6, v19
.LBB208_1398:                           ;   in Loop: Header=BB208_941 Depth=1
	s_or_b32 exec_lo, exec_lo, s14
.LBB208_1399:                           ;   in Loop: Header=BB208_941 Depth=1
	s_delay_alu instid0(SALU_CYCLE_1)
	s_or_b32 exec_lo, exec_lo, s9
.LBB208_1400:                           ;   in Loop: Header=BB208_941 Depth=1
	s_delay_alu instid0(SALU_CYCLE_1) | instskip(SKIP_4) | instid1(VALU_DEP_3)
	s_or_b32 exec_lo, exec_lo, s8
	v_lshrrev_b32_e32 v15, 16, v14
	v_mov_b64_e32 v[20:21], 0
	v_mov_b64_e32 v[24:25], 0
	s_mov_b32 s8, exec_lo
	v_and_b32_e32 v13, 0xff, v15
	s_delay_alu instid0(VALU_DEP_1)
	v_cmpx_ne_u16_e32 0, v13
	s_cbranch_execz .LBB208_1408
; %bb.1401:                             ;   in Loop: Header=BB208_941 Depth=1
	v_mov_b64_e32 v[24:25], 0x80000000
	s_mov_b32 s9, exec_lo
	v_cmpx_ne_u16_e32 0x80, v13
	s_cbranch_execz .LBB208_1407
; %bb.1402:                             ;   in Loop: Header=BB208_941 Depth=1
	v_mov_b64_e32 v[24:25], 0x7f800001
	v_bfe_u32 v13, v14, 16, 7
	s_mov_b32 s14, exec_lo
	s_delay_alu instid0(VALU_DEP_1)
	v_cmpx_ne_u32_e32 0x7f, v13
	s_cbranch_execz .LBB208_1406
; %bb.1403:                             ;   in Loop: Header=BB208_941 Depth=1
	v_dual_lshrrev_b32 v24, 3, v13 :: v_dual_bitop2_b32 v18, 7, v15 bitop3:0x40
	s_mov_b32 s15, exec_lo
	v_cmpx_gt_u32_e32 8, v13
; %bb.1404:                             ;   in Loop: Header=BB208_941 Depth=1
	s_delay_alu instid0(VALU_DEP_2) | instskip(NEXT) | instid1(VALU_DEP_1)
	v_clz_i32_u32_e32 v13, v18
	v_min_u32_e32 v13, 32, v13
	s_delay_alu instid0(VALU_DEP_1) | instskip(NEXT) | instid1(VALU_DEP_1)
	v_subrev_nc_u32_e32 v24, 28, v13
	v_lshlrev_b64_e32 v[26:27], v24, v[18:19]
	s_delay_alu instid0(VALU_DEP_1)
	v_dual_sub_nc_u32 v24, 29, v13 :: v_dual_bitop2_b32 v18, 7, v26 bitop3:0x40
; %bb.1405:                             ;   in Loop: Header=BB208_941 Depth=1
	s_or_b32 exec_lo, exec_lo, s15
	s_delay_alu instid0(VALU_DEP_1) | instskip(NEXT) | instid1(VALU_DEP_2)
	v_dual_lshlrev_b32 v13, 24, v15 :: v_dual_lshlrev_b32 v15, 20, v18
	v_lshl_add_u32 v18, v24, 23, 0x3c000000
	s_delay_alu instid0(VALU_DEP_2) | instskip(NEXT) | instid1(VALU_DEP_1)
	v_and_b32_e32 v13, 0x80000000, v13
	v_or3_b32 v18, v15, v13, v18
	s_delay_alu instid0(VALU_DEP_1)
	v_mov_b64_e32 v[24:25], v[18:19]
.LBB208_1406:                           ;   in Loop: Header=BB208_941 Depth=1
	s_or_b32 exec_lo, exec_lo, s14
.LBB208_1407:                           ;   in Loop: Header=BB208_941 Depth=1
	s_delay_alu instid0(SALU_CYCLE_1)
	s_or_b32 exec_lo, exec_lo, s9
.LBB208_1408:                           ;   in Loop: Header=BB208_941 Depth=1
	s_delay_alu instid0(SALU_CYCLE_1) | instskip(NEXT) | instid1(SALU_CYCLE_1)
	s_or_b32 exec_lo, exec_lo, s8
	s_mov_b32 s8, exec_lo
	v_cmpx_lt_u32_e32 0xffffff, v14
	s_cbranch_execz .LBB208_1416
; %bb.1409:                             ;   in Loop: Header=BB208_941 Depth=1
	v_mov_b64_e32 v[20:21], 0x8000000000000000
	v_lshrrev_b32_e32 v15, 24, v14
	s_mov_b32 s9, exec_lo
	s_delay_alu instid0(VALU_DEP_1)
	v_cmpx_ne_u32_e32 0x80, v15
	s_cbranch_execz .LBB208_1415
; %bb.1410:                             ;   in Loop: Header=BB208_941 Depth=1
	v_mov_b64_e32 v[20:21], 0x7f80000100000000
	v_bfe_u32 v13, v14, 24, 7
	s_mov_b32 s14, exec_lo
	s_delay_alu instid0(VALU_DEP_1)
	v_cmpx_ne_u32_e32 0x7f, v13
	s_cbranch_execz .LBB208_1414
; %bb.1411:                             ;   in Loop: Header=BB208_941 Depth=1
	v_dual_lshrrev_b32 v14, 3, v13 :: v_dual_bitop2_b32 v18, 7, v15 bitop3:0x40
	s_mov_b32 s15, exec_lo
	v_cmpx_gt_u32_e32 8, v13
; %bb.1412:                             ;   in Loop: Header=BB208_941 Depth=1
	s_delay_alu instid0(VALU_DEP_2) | instskip(NEXT) | instid1(VALU_DEP_1)
	v_clz_i32_u32_e32 v13, v18
	v_min_u32_e32 v13, 32, v13
	s_delay_alu instid0(VALU_DEP_1) | instskip(NEXT) | instid1(VALU_DEP_1)
	v_subrev_nc_u32_e32 v14, 28, v13
	v_lshlrev_b64_e32 v[20:21], v14, v[18:19]
	s_delay_alu instid0(VALU_DEP_1)
	v_dual_sub_nc_u32 v14, 29, v13 :: v_dual_bitop2_b32 v18, 7, v20 bitop3:0x40
; %bb.1413:                             ;   in Loop: Header=BB208_941 Depth=1
	s_or_b32 exec_lo, exec_lo, s15
	s_delay_alu instid0(VALU_DEP_1) | instskip(NEXT) | instid1(VALU_DEP_2)
	v_dual_lshlrev_b32 v13, 24, v15 :: v_dual_lshlrev_b32 v15, 20, v18
	v_lshl_add_u32 v14, v14, 23, 0x3c000000
	v_mov_b32_e32 v20, v19
	s_delay_alu instid0(VALU_DEP_3) | instskip(NEXT) | instid1(VALU_DEP_1)
	v_and_b32_e32 v13, 0x80000000, v13
	v_or3_b32 v21, v15, v13, v14
.LBB208_1414:                           ;   in Loop: Header=BB208_941 Depth=1
	s_or_b32 exec_lo, exec_lo, s14
.LBB208_1415:                           ;   in Loop: Header=BB208_941 Depth=1
	s_delay_alu instid0(SALU_CYCLE_1)
	s_or_b32 exec_lo, exec_lo, s9
.LBB208_1416:                           ;   in Loop: Header=BB208_941 Depth=1
	s_delay_alu instid0(SALU_CYCLE_1) | instskip(SKIP_4) | instid1(VALU_DEP_3)
	s_or_b32 exec_lo, exec_lo, s8
	v_or_b32_e32 v7, v7, v9
	v_or_b32_e32 v6, v6, v8
	;; [unrolled: 1-line block ×4, first 2 shown]
	v_pk_mul_f32 v[78:79], v[70:71], v[6:7]
	s_delay_alu instid0(VALU_DEP_2)
	v_pk_mul_f32 v[76:77], v[70:71], v[8:9]
	s_and_saveexec_b32 s8, vcc_lo
	s_cbranch_execz .LBB208_1418
; %bb.1417:                             ;   in Loop: Header=BB208_941 Depth=1
	scratch_load_b64 v[6:7], off, s32 offset:192 ; 8-byte Folded Reload
	s_wait_loadcnt 0x0
	v_cmp_lt_i32_e64 s0, v83, v6
	s_delay_alu instid0(VALU_DEP_1) | instskip(SKIP_1) | instid1(VALU_DEP_1)
	v_cndmask_b32_e64 v78, 0, v78, s0
	v_cmp_lt_i32_e64 s0, v0, v6
	v_cndmask_b32_e64 v79, 0, v79, s0
	v_cmp_lt_i32_e64 s0, v84, v6
	s_delay_alu instid0(VALU_DEP_1) | instskip(SKIP_1) | instid1(VALU_DEP_1)
	v_cndmask_b32_e64 v76, 0, v76, s0
	v_cmp_lt_i32_e64 s0, v1, v6
	v_cndmask_b32_e64 v77, 0, v77, s0
.LBB208_1418:                           ;   in Loop: Header=BB208_941 Depth=1
	s_wait_xcnt 0x0
	s_or_b32 exec_lo, exec_lo, s8
	flat_load_b32 v14, v[80:81] offset:1792
	v_mov_b64_e32 v[6:7], 0
	v_mov_b64_e32 v[8:9], 0
	s_mov_b32 s8, exec_lo
	s_wait_loadcnt_dscnt 0x0
	v_and_b32_e32 v13, 0xff, v14
	s_wait_xcnt 0x0
	s_delay_alu instid0(VALU_DEP_1)
	v_cmpx_ne_u16_e32 0, v13
	s_cbranch_execz .LBB208_1426
; %bb.1419:                             ;   in Loop: Header=BB208_941 Depth=1
	v_mov_b64_e32 v[8:9], 0x80000000
	s_mov_b32 s9, exec_lo
	v_cmpx_ne_u16_e32 0x80, v13
	s_cbranch_execz .LBB208_1425
; %bb.1420:                             ;   in Loop: Header=BB208_941 Depth=1
	v_mov_b64_e32 v[8:9], 0x7f800001
	v_and_b32_e32 v13, 0x7f, v14
	s_mov_b32 s14, exec_lo
	s_delay_alu instid0(VALU_DEP_1)
	v_cmpx_ne_u32_e32 0x7f, v13
	s_cbranch_execz .LBB208_1424
; %bb.1421:                             ;   in Loop: Header=BB208_941 Depth=1
	v_dual_lshrrev_b32 v8, 3, v13 :: v_dual_bitop2_b32 v18, 7, v14 bitop3:0x40
	s_mov_b32 s15, exec_lo
	v_cmpx_gt_u32_e32 8, v13
; %bb.1422:                             ;   in Loop: Header=BB208_941 Depth=1
	s_delay_alu instid0(VALU_DEP_2) | instskip(NEXT) | instid1(VALU_DEP_1)
	v_clz_i32_u32_e32 v8, v18
	v_min_u32_e32 v8, 32, v8
	s_delay_alu instid0(VALU_DEP_1) | instskip(SKIP_1) | instid1(VALU_DEP_2)
	v_subrev_nc_u32_e32 v9, 28, v8
	v_sub_nc_u32_e32 v8, 29, v8
	v_lshlrev_b64_e32 v[20:21], v9, v[18:19]
	s_delay_alu instid0(VALU_DEP_1)
	v_and_b32_e32 v18, 7, v20
; %bb.1423:                             ;   in Loop: Header=BB208_941 Depth=1
	s_or_b32 exec_lo, exec_lo, s15
	v_lshlrev_b32_e32 v9, 24, v14
	s_delay_alu instid0(VALU_DEP_2) | instskip(SKIP_1) | instid1(VALU_DEP_3)
	v_lshlrev_b32_e32 v13, 20, v18
	v_lshl_add_u32 v8, v8, 23, 0x3c000000
	v_and_b32_e32 v9, 0x80000000, v9
	s_delay_alu instid0(VALU_DEP_1) | instskip(NEXT) | instid1(VALU_DEP_1)
	v_or3_b32 v18, v13, v9, v8
	v_mov_b64_e32 v[8:9], v[18:19]
.LBB208_1424:                           ;   in Loop: Header=BB208_941 Depth=1
	s_or_b32 exec_lo, exec_lo, s14
.LBB208_1425:                           ;   in Loop: Header=BB208_941 Depth=1
	s_delay_alu instid0(SALU_CYCLE_1)
	s_or_b32 exec_lo, exec_lo, s9
.LBB208_1426:                           ;   in Loop: Header=BB208_941 Depth=1
	s_delay_alu instid0(SALU_CYCLE_1) | instskip(SKIP_2) | instid1(VALU_DEP_1)
	s_or_b32 exec_lo, exec_lo, s8
	v_lshrrev_b16 v15, 8, v14
	s_mov_b32 s8, exec_lo
	v_cmpx_ne_u16_e32 0, v15
	s_cbranch_execz .LBB208_1434
; %bb.1427:                             ;   in Loop: Header=BB208_941 Depth=1
	v_mov_b64_e32 v[6:7], 0x8000000000000000
	s_mov_b32 s9, exec_lo
	v_cmpx_ne_u16_e32 0x80, v15
	s_cbranch_execz .LBB208_1433
; %bb.1428:                             ;   in Loop: Header=BB208_941 Depth=1
	v_and_b32_e32 v15, 0xffff, v15
	v_mov_b64_e32 v[6:7], 0x7f80000100000000
	s_mov_b32 s14, exec_lo
	s_delay_alu instid0(VALU_DEP_2) | instskip(NEXT) | instid1(VALU_DEP_1)
	v_and_b32_e32 v13, 0x7f, v15
	v_cmpx_ne_u32_e32 0x7f, v13
	s_cbranch_execz .LBB208_1432
; %bb.1429:                             ;   in Loop: Header=BB208_941 Depth=1
	v_dual_lshrrev_b32 v6, 3, v13 :: v_dual_bitop2_b32 v18, 7, v15 bitop3:0x40
	s_mov_b32 s15, exec_lo
	v_cmpx_gt_u32_e32 8, v13
; %bb.1430:                             ;   in Loop: Header=BB208_941 Depth=1
	s_delay_alu instid0(VALU_DEP_2) | instskip(NEXT) | instid1(VALU_DEP_1)
	v_clz_i32_u32_e32 v6, v18
	v_min_u32_e32 v6, 32, v6
	s_delay_alu instid0(VALU_DEP_1) | instskip(NEXT) | instid1(VALU_DEP_1)
	v_subrev_nc_u32_e32 v7, 28, v6
	v_lshlrev_b64_e32 v[20:21], v7, v[18:19]
	s_delay_alu instid0(VALU_DEP_1)
	v_dual_sub_nc_u32 v6, 29, v6 :: v_dual_bitop2_b32 v18, 7, v20 bitop3:0x40
; %bb.1431:                             ;   in Loop: Header=BB208_941 Depth=1
	s_or_b32 exec_lo, exec_lo, s15
	v_lshlrev_b32_e32 v7, 16, v14
	s_delay_alu instid0(VALU_DEP_2) | instskip(NEXT) | instid1(VALU_DEP_3)
	v_lshlrev_b32_e32 v13, 20, v18
	v_lshl_add_u32 v6, v6, 23, 0x3c000000
	s_delay_alu instid0(VALU_DEP_3) | instskip(NEXT) | instid1(VALU_DEP_1)
	v_and_b32_e32 v7, 0x80000000, v7
	v_or3_b32 v7, v13, v7, v6
	v_mov_b32_e32 v6, v19
.LBB208_1432:                           ;   in Loop: Header=BB208_941 Depth=1
	s_or_b32 exec_lo, exec_lo, s14
.LBB208_1433:                           ;   in Loop: Header=BB208_941 Depth=1
	s_delay_alu instid0(SALU_CYCLE_1)
	s_or_b32 exec_lo, exec_lo, s9
.LBB208_1434:                           ;   in Loop: Header=BB208_941 Depth=1
	s_delay_alu instid0(SALU_CYCLE_1) | instskip(SKIP_4) | instid1(VALU_DEP_3)
	s_or_b32 exec_lo, exec_lo, s8
	v_lshrrev_b32_e32 v15, 16, v14
	v_mov_b64_e32 v[20:21], 0
	v_mov_b64_e32 v[24:25], 0
	s_mov_b32 s8, exec_lo
	v_and_b32_e32 v13, 0xff, v15
	s_delay_alu instid0(VALU_DEP_1)
	v_cmpx_ne_u16_e32 0, v13
	s_cbranch_execz .LBB208_1442
; %bb.1435:                             ;   in Loop: Header=BB208_941 Depth=1
	v_mov_b64_e32 v[24:25], 0x80000000
	s_mov_b32 s9, exec_lo
	v_cmpx_ne_u16_e32 0x80, v13
	s_cbranch_execz .LBB208_1441
; %bb.1436:                             ;   in Loop: Header=BB208_941 Depth=1
	v_mov_b64_e32 v[24:25], 0x7f800001
	v_bfe_u32 v13, v14, 16, 7
	s_mov_b32 s14, exec_lo
	s_delay_alu instid0(VALU_DEP_1)
	v_cmpx_ne_u32_e32 0x7f, v13
	s_cbranch_execz .LBB208_1440
; %bb.1437:                             ;   in Loop: Header=BB208_941 Depth=1
	v_dual_lshrrev_b32 v24, 3, v13 :: v_dual_bitop2_b32 v18, 7, v15 bitop3:0x40
	s_mov_b32 s15, exec_lo
	v_cmpx_gt_u32_e32 8, v13
; %bb.1438:                             ;   in Loop: Header=BB208_941 Depth=1
	s_delay_alu instid0(VALU_DEP_2) | instskip(NEXT) | instid1(VALU_DEP_1)
	v_clz_i32_u32_e32 v13, v18
	v_min_u32_e32 v13, 32, v13
	s_delay_alu instid0(VALU_DEP_1) | instskip(NEXT) | instid1(VALU_DEP_1)
	v_subrev_nc_u32_e32 v24, 28, v13
	v_lshlrev_b64_e32 v[26:27], v24, v[18:19]
	s_delay_alu instid0(VALU_DEP_1)
	v_dual_sub_nc_u32 v24, 29, v13 :: v_dual_bitop2_b32 v18, 7, v26 bitop3:0x40
; %bb.1439:                             ;   in Loop: Header=BB208_941 Depth=1
	s_or_b32 exec_lo, exec_lo, s15
	s_delay_alu instid0(VALU_DEP_1) | instskip(NEXT) | instid1(VALU_DEP_2)
	v_dual_lshlrev_b32 v13, 24, v15 :: v_dual_lshlrev_b32 v15, 20, v18
	v_lshl_add_u32 v18, v24, 23, 0x3c000000
	s_delay_alu instid0(VALU_DEP_2) | instskip(NEXT) | instid1(VALU_DEP_1)
	v_and_b32_e32 v13, 0x80000000, v13
	v_or3_b32 v18, v15, v13, v18
	s_delay_alu instid0(VALU_DEP_1)
	v_mov_b64_e32 v[24:25], v[18:19]
.LBB208_1440:                           ;   in Loop: Header=BB208_941 Depth=1
	s_or_b32 exec_lo, exec_lo, s14
.LBB208_1441:                           ;   in Loop: Header=BB208_941 Depth=1
	s_delay_alu instid0(SALU_CYCLE_1)
	s_or_b32 exec_lo, exec_lo, s9
.LBB208_1442:                           ;   in Loop: Header=BB208_941 Depth=1
	s_delay_alu instid0(SALU_CYCLE_1) | instskip(NEXT) | instid1(SALU_CYCLE_1)
	s_or_b32 exec_lo, exec_lo, s8
	s_mov_b32 s8, exec_lo
	v_cmpx_lt_u32_e32 0xffffff, v14
	s_cbranch_execz .LBB208_1450
; %bb.1443:                             ;   in Loop: Header=BB208_941 Depth=1
	v_mov_b64_e32 v[20:21], 0x8000000000000000
	v_lshrrev_b32_e32 v15, 24, v14
	s_mov_b32 s9, exec_lo
	s_delay_alu instid0(VALU_DEP_1)
	v_cmpx_ne_u32_e32 0x80, v15
	s_cbranch_execz .LBB208_1449
; %bb.1444:                             ;   in Loop: Header=BB208_941 Depth=1
	v_mov_b64_e32 v[20:21], 0x7f80000100000000
	v_bfe_u32 v13, v14, 24, 7
	s_mov_b32 s14, exec_lo
	s_delay_alu instid0(VALU_DEP_1)
	v_cmpx_ne_u32_e32 0x7f, v13
	s_cbranch_execz .LBB208_1448
; %bb.1445:                             ;   in Loop: Header=BB208_941 Depth=1
	v_dual_lshrrev_b32 v14, 3, v13 :: v_dual_bitop2_b32 v18, 7, v15 bitop3:0x40
	s_mov_b32 s15, exec_lo
	v_cmpx_gt_u32_e32 8, v13
; %bb.1446:                             ;   in Loop: Header=BB208_941 Depth=1
	s_delay_alu instid0(VALU_DEP_2) | instskip(NEXT) | instid1(VALU_DEP_1)
	v_clz_i32_u32_e32 v13, v18
	v_min_u32_e32 v13, 32, v13
	s_delay_alu instid0(VALU_DEP_1) | instskip(NEXT) | instid1(VALU_DEP_1)
	v_subrev_nc_u32_e32 v14, 28, v13
	v_lshlrev_b64_e32 v[20:21], v14, v[18:19]
	s_delay_alu instid0(VALU_DEP_1)
	v_dual_sub_nc_u32 v14, 29, v13 :: v_dual_bitop2_b32 v18, 7, v20 bitop3:0x40
; %bb.1447:                             ;   in Loop: Header=BB208_941 Depth=1
	s_or_b32 exec_lo, exec_lo, s15
	s_delay_alu instid0(VALU_DEP_1) | instskip(NEXT) | instid1(VALU_DEP_2)
	v_dual_lshlrev_b32 v13, 24, v15 :: v_dual_lshlrev_b32 v15, 20, v18
	v_lshl_add_u32 v14, v14, 23, 0x3c000000
	v_mov_b32_e32 v20, v19
	s_delay_alu instid0(VALU_DEP_3) | instskip(NEXT) | instid1(VALU_DEP_1)
	v_and_b32_e32 v13, 0x80000000, v13
	v_or3_b32 v21, v15, v13, v14
.LBB208_1448:                           ;   in Loop: Header=BB208_941 Depth=1
	s_or_b32 exec_lo, exec_lo, s14
.LBB208_1449:                           ;   in Loop: Header=BB208_941 Depth=1
	s_delay_alu instid0(SALU_CYCLE_1)
	s_or_b32 exec_lo, exec_lo, s9
.LBB208_1450:                           ;   in Loop: Header=BB208_941 Depth=1
	s_delay_alu instid0(SALU_CYCLE_1) | instskip(SKIP_4) | instid1(VALU_DEP_3)
	s_or_b32 exec_lo, exec_lo, s8
	v_or_b32_e32 v7, v7, v9
	v_or_b32_e32 v6, v6, v8
	;; [unrolled: 1-line block ×4, first 2 shown]
	v_pk_mul_f32 v[90:91], v[70:71], v[6:7]
	s_delay_alu instid0(VALU_DEP_2)
	v_pk_mul_f32 v[88:89], v[70:71], v[8:9]
	s_and_saveexec_b32 s8, vcc_lo
	s_cbranch_execz .LBB208_1452
; %bb.1451:                             ;   in Loop: Header=BB208_941 Depth=1
	scratch_load_b64 v[6:7], off, s32 offset:192 ; 8-byte Folded Reload
	s_wait_loadcnt 0x0
	v_cmp_lt_i32_e64 s0, v83, v6
	s_delay_alu instid0(VALU_DEP_1) | instskip(SKIP_1) | instid1(VALU_DEP_1)
	v_cndmask_b32_e64 v90, 0, v90, s0
	v_cmp_lt_i32_e64 s0, v0, v6
	v_cndmask_b32_e64 v91, 0, v91, s0
	v_cmp_lt_i32_e64 s0, v84, v6
	s_delay_alu instid0(VALU_DEP_1) | instskip(SKIP_1) | instid1(VALU_DEP_1)
	v_cndmask_b32_e64 v88, 0, v88, s0
	v_cmp_lt_i32_e64 s0, v1, v6
	v_cndmask_b32_e64 v89, 0, v89, s0
.LBB208_1452:                           ;   in Loop: Header=BB208_941 Depth=1
	s_wait_xcnt 0x0
	s_or_b32 exec_lo, exec_lo, s8
	flat_load_b32 v14, v[80:81] offset:1920
	v_mov_b64_e32 v[6:7], 0
	v_mov_b64_e32 v[8:9], 0
	s_mov_b32 s8, exec_lo
	s_wait_loadcnt_dscnt 0x0
	v_and_b32_e32 v13, 0xff, v14
	s_wait_xcnt 0x0
	s_delay_alu instid0(VALU_DEP_1)
	v_cmpx_ne_u16_e32 0, v13
	s_cbranch_execz .LBB208_1460
; %bb.1453:                             ;   in Loop: Header=BB208_941 Depth=1
	v_mov_b64_e32 v[8:9], 0x80000000
	s_mov_b32 s9, exec_lo
	v_cmpx_ne_u16_e32 0x80, v13
	s_cbranch_execz .LBB208_1459
; %bb.1454:                             ;   in Loop: Header=BB208_941 Depth=1
	v_mov_b64_e32 v[8:9], 0x7f800001
	v_and_b32_e32 v13, 0x7f, v14
	s_mov_b32 s14, exec_lo
	s_delay_alu instid0(VALU_DEP_1)
	v_cmpx_ne_u32_e32 0x7f, v13
	s_cbranch_execz .LBB208_1458
; %bb.1455:                             ;   in Loop: Header=BB208_941 Depth=1
	v_dual_lshrrev_b32 v8, 3, v13 :: v_dual_bitop2_b32 v18, 7, v14 bitop3:0x40
	s_mov_b32 s15, exec_lo
	v_cmpx_gt_u32_e32 8, v13
; %bb.1456:                             ;   in Loop: Header=BB208_941 Depth=1
	s_delay_alu instid0(VALU_DEP_2) | instskip(NEXT) | instid1(VALU_DEP_1)
	v_clz_i32_u32_e32 v8, v18
	v_min_u32_e32 v8, 32, v8
	s_delay_alu instid0(VALU_DEP_1) | instskip(SKIP_1) | instid1(VALU_DEP_2)
	v_subrev_nc_u32_e32 v9, 28, v8
	v_sub_nc_u32_e32 v8, 29, v8
	v_lshlrev_b64_e32 v[20:21], v9, v[18:19]
	s_delay_alu instid0(VALU_DEP_1)
	v_and_b32_e32 v18, 7, v20
; %bb.1457:                             ;   in Loop: Header=BB208_941 Depth=1
	s_or_b32 exec_lo, exec_lo, s15
	v_lshlrev_b32_e32 v9, 24, v14
	s_delay_alu instid0(VALU_DEP_2) | instskip(SKIP_1) | instid1(VALU_DEP_3)
	v_lshlrev_b32_e32 v13, 20, v18
	v_lshl_add_u32 v8, v8, 23, 0x3c000000
	v_and_b32_e32 v9, 0x80000000, v9
	s_delay_alu instid0(VALU_DEP_1) | instskip(NEXT) | instid1(VALU_DEP_1)
	v_or3_b32 v18, v13, v9, v8
	v_mov_b64_e32 v[8:9], v[18:19]
.LBB208_1458:                           ;   in Loop: Header=BB208_941 Depth=1
	s_or_b32 exec_lo, exec_lo, s14
.LBB208_1459:                           ;   in Loop: Header=BB208_941 Depth=1
	s_delay_alu instid0(SALU_CYCLE_1)
	s_or_b32 exec_lo, exec_lo, s9
.LBB208_1460:                           ;   in Loop: Header=BB208_941 Depth=1
	s_delay_alu instid0(SALU_CYCLE_1) | instskip(SKIP_2) | instid1(VALU_DEP_1)
	s_or_b32 exec_lo, exec_lo, s8
	v_lshrrev_b16 v15, 8, v14
	s_mov_b32 s8, exec_lo
	v_cmpx_ne_u16_e32 0, v15
	s_cbranch_execz .LBB208_1468
; %bb.1461:                             ;   in Loop: Header=BB208_941 Depth=1
	v_mov_b64_e32 v[6:7], 0x8000000000000000
	s_mov_b32 s9, exec_lo
	v_cmpx_ne_u16_e32 0x80, v15
	s_cbranch_execz .LBB208_1467
; %bb.1462:                             ;   in Loop: Header=BB208_941 Depth=1
	v_and_b32_e32 v15, 0xffff, v15
	v_mov_b64_e32 v[6:7], 0x7f80000100000000
	s_mov_b32 s14, exec_lo
	s_delay_alu instid0(VALU_DEP_2) | instskip(NEXT) | instid1(VALU_DEP_1)
	v_and_b32_e32 v13, 0x7f, v15
	v_cmpx_ne_u32_e32 0x7f, v13
	s_cbranch_execz .LBB208_1466
; %bb.1463:                             ;   in Loop: Header=BB208_941 Depth=1
	v_dual_lshrrev_b32 v6, 3, v13 :: v_dual_bitop2_b32 v18, 7, v15 bitop3:0x40
	s_mov_b32 s15, exec_lo
	v_cmpx_gt_u32_e32 8, v13
; %bb.1464:                             ;   in Loop: Header=BB208_941 Depth=1
	s_delay_alu instid0(VALU_DEP_2) | instskip(NEXT) | instid1(VALU_DEP_1)
	v_clz_i32_u32_e32 v6, v18
	v_min_u32_e32 v6, 32, v6
	s_delay_alu instid0(VALU_DEP_1) | instskip(NEXT) | instid1(VALU_DEP_1)
	v_subrev_nc_u32_e32 v7, 28, v6
	v_lshlrev_b64_e32 v[20:21], v7, v[18:19]
	s_delay_alu instid0(VALU_DEP_1)
	v_dual_sub_nc_u32 v6, 29, v6 :: v_dual_bitop2_b32 v18, 7, v20 bitop3:0x40
; %bb.1465:                             ;   in Loop: Header=BB208_941 Depth=1
	s_or_b32 exec_lo, exec_lo, s15
	v_lshlrev_b32_e32 v7, 16, v14
	s_delay_alu instid0(VALU_DEP_2) | instskip(NEXT) | instid1(VALU_DEP_3)
	v_lshlrev_b32_e32 v13, 20, v18
	v_lshl_add_u32 v6, v6, 23, 0x3c000000
	s_delay_alu instid0(VALU_DEP_3) | instskip(NEXT) | instid1(VALU_DEP_1)
	v_and_b32_e32 v7, 0x80000000, v7
	v_or3_b32 v7, v13, v7, v6
	v_mov_b32_e32 v6, v19
.LBB208_1466:                           ;   in Loop: Header=BB208_941 Depth=1
	s_or_b32 exec_lo, exec_lo, s14
.LBB208_1467:                           ;   in Loop: Header=BB208_941 Depth=1
	s_delay_alu instid0(SALU_CYCLE_1)
	s_or_b32 exec_lo, exec_lo, s9
.LBB208_1468:                           ;   in Loop: Header=BB208_941 Depth=1
	s_delay_alu instid0(SALU_CYCLE_1) | instskip(SKIP_4) | instid1(VALU_DEP_3)
	s_or_b32 exec_lo, exec_lo, s8
	v_lshrrev_b32_e32 v15, 16, v14
	v_mov_b64_e32 v[20:21], 0
	v_mov_b64_e32 v[24:25], 0
	s_mov_b32 s8, exec_lo
	v_and_b32_e32 v13, 0xff, v15
	s_delay_alu instid0(VALU_DEP_1)
	v_cmpx_ne_u16_e32 0, v13
	s_cbranch_execz .LBB208_1476
; %bb.1469:                             ;   in Loop: Header=BB208_941 Depth=1
	v_mov_b64_e32 v[24:25], 0x80000000
	s_mov_b32 s9, exec_lo
	v_cmpx_ne_u16_e32 0x80, v13
	s_cbranch_execz .LBB208_1475
; %bb.1470:                             ;   in Loop: Header=BB208_941 Depth=1
	v_mov_b64_e32 v[24:25], 0x7f800001
	v_bfe_u32 v13, v14, 16, 7
	s_mov_b32 s14, exec_lo
	s_delay_alu instid0(VALU_DEP_1)
	v_cmpx_ne_u32_e32 0x7f, v13
	s_cbranch_execz .LBB208_1474
; %bb.1471:                             ;   in Loop: Header=BB208_941 Depth=1
	v_dual_lshrrev_b32 v24, 3, v13 :: v_dual_bitop2_b32 v18, 7, v15 bitop3:0x40
	s_mov_b32 s15, exec_lo
	v_cmpx_gt_u32_e32 8, v13
; %bb.1472:                             ;   in Loop: Header=BB208_941 Depth=1
	s_delay_alu instid0(VALU_DEP_2) | instskip(NEXT) | instid1(VALU_DEP_1)
	v_clz_i32_u32_e32 v13, v18
	v_min_u32_e32 v13, 32, v13
	s_delay_alu instid0(VALU_DEP_1) | instskip(NEXT) | instid1(VALU_DEP_1)
	v_subrev_nc_u32_e32 v24, 28, v13
	v_lshlrev_b64_e32 v[26:27], v24, v[18:19]
	s_delay_alu instid0(VALU_DEP_1)
	v_dual_sub_nc_u32 v24, 29, v13 :: v_dual_bitop2_b32 v18, 7, v26 bitop3:0x40
; %bb.1473:                             ;   in Loop: Header=BB208_941 Depth=1
	s_or_b32 exec_lo, exec_lo, s15
	s_delay_alu instid0(VALU_DEP_1) | instskip(NEXT) | instid1(VALU_DEP_2)
	v_dual_lshlrev_b32 v13, 24, v15 :: v_dual_lshlrev_b32 v15, 20, v18
	v_lshl_add_u32 v18, v24, 23, 0x3c000000
	s_delay_alu instid0(VALU_DEP_2) | instskip(NEXT) | instid1(VALU_DEP_1)
	v_and_b32_e32 v13, 0x80000000, v13
	v_or3_b32 v18, v15, v13, v18
	s_delay_alu instid0(VALU_DEP_1)
	v_mov_b64_e32 v[24:25], v[18:19]
.LBB208_1474:                           ;   in Loop: Header=BB208_941 Depth=1
	s_or_b32 exec_lo, exec_lo, s14
.LBB208_1475:                           ;   in Loop: Header=BB208_941 Depth=1
	s_delay_alu instid0(SALU_CYCLE_1)
	s_or_b32 exec_lo, exec_lo, s9
.LBB208_1476:                           ;   in Loop: Header=BB208_941 Depth=1
	s_delay_alu instid0(SALU_CYCLE_1) | instskip(NEXT) | instid1(SALU_CYCLE_1)
	s_or_b32 exec_lo, exec_lo, s8
	s_mov_b32 s8, exec_lo
	v_cmpx_lt_u32_e32 0xffffff, v14
	s_cbranch_execz .LBB208_1484
; %bb.1477:                             ;   in Loop: Header=BB208_941 Depth=1
	v_mov_b64_e32 v[20:21], 0x8000000000000000
	v_lshrrev_b32_e32 v15, 24, v14
	s_mov_b32 s9, exec_lo
	s_delay_alu instid0(VALU_DEP_1)
	v_cmpx_ne_u32_e32 0x80, v15
	s_cbranch_execz .LBB208_1483
; %bb.1478:                             ;   in Loop: Header=BB208_941 Depth=1
	v_mov_b64_e32 v[20:21], 0x7f80000100000000
	v_bfe_u32 v13, v14, 24, 7
	s_mov_b32 s14, exec_lo
	s_delay_alu instid0(VALU_DEP_1)
	v_cmpx_ne_u32_e32 0x7f, v13
	s_cbranch_execz .LBB208_1482
; %bb.1479:                             ;   in Loop: Header=BB208_941 Depth=1
	v_dual_lshrrev_b32 v14, 3, v13 :: v_dual_bitop2_b32 v18, 7, v15 bitop3:0x40
	s_mov_b32 s15, exec_lo
	v_cmpx_gt_u32_e32 8, v13
; %bb.1480:                             ;   in Loop: Header=BB208_941 Depth=1
	s_delay_alu instid0(VALU_DEP_2) | instskip(NEXT) | instid1(VALU_DEP_1)
	v_clz_i32_u32_e32 v13, v18
	v_min_u32_e32 v13, 32, v13
	s_delay_alu instid0(VALU_DEP_1) | instskip(NEXT) | instid1(VALU_DEP_1)
	v_subrev_nc_u32_e32 v14, 28, v13
	v_lshlrev_b64_e32 v[20:21], v14, v[18:19]
	s_delay_alu instid0(VALU_DEP_1)
	v_dual_sub_nc_u32 v14, 29, v13 :: v_dual_bitop2_b32 v18, 7, v20 bitop3:0x40
; %bb.1481:                             ;   in Loop: Header=BB208_941 Depth=1
	s_or_b32 exec_lo, exec_lo, s15
	s_delay_alu instid0(VALU_DEP_1) | instskip(NEXT) | instid1(VALU_DEP_2)
	v_dual_lshlrev_b32 v13, 24, v15 :: v_dual_lshlrev_b32 v15, 20, v18
	v_lshl_add_u32 v14, v14, 23, 0x3c000000
	v_mov_b32_e32 v20, v19
	s_delay_alu instid0(VALU_DEP_3) | instskip(NEXT) | instid1(VALU_DEP_1)
	v_and_b32_e32 v13, 0x80000000, v13
	v_or3_b32 v21, v15, v13, v14
.LBB208_1482:                           ;   in Loop: Header=BB208_941 Depth=1
	s_or_b32 exec_lo, exec_lo, s14
.LBB208_1483:                           ;   in Loop: Header=BB208_941 Depth=1
	s_delay_alu instid0(SALU_CYCLE_1)
	s_or_b32 exec_lo, exec_lo, s9
.LBB208_1484:                           ;   in Loop: Header=BB208_941 Depth=1
	s_delay_alu instid0(SALU_CYCLE_1) | instskip(SKIP_4) | instid1(VALU_DEP_3)
	s_or_b32 exec_lo, exec_lo, s8
	v_or_b32_e32 v7, v7, v9
	v_or_b32_e32 v6, v6, v8
	;; [unrolled: 1-line block ×4, first 2 shown]
	v_pk_mul_f32 v[94:95], v[70:71], v[6:7]
	s_delay_alu instid0(VALU_DEP_2)
	v_pk_mul_f32 v[92:93], v[70:71], v[8:9]
	s_and_saveexec_b32 s8, vcc_lo
	s_cbranch_execz .LBB208_1486
; %bb.1485:                             ;   in Loop: Header=BB208_941 Depth=1
	scratch_load_b64 v[6:7], off, s32 offset:192 ; 8-byte Folded Reload
	s_wait_loadcnt 0x0
	v_cmp_lt_i32_e64 s0, v83, v6
	s_delay_alu instid0(VALU_DEP_1) | instskip(SKIP_1) | instid1(VALU_DEP_1)
	v_cndmask_b32_e64 v94, 0, v94, s0
	v_cmp_lt_i32_e64 s0, v0, v6
	v_cndmask_b32_e64 v95, 0, v95, s0
	v_cmp_lt_i32_e64 s0, v84, v6
	s_delay_alu instid0(VALU_DEP_1) | instskip(SKIP_1) | instid1(VALU_DEP_1)
	v_cndmask_b32_e64 v92, 0, v92, s0
	v_cmp_lt_i32_e64 s0, v1, v6
	v_cndmask_b32_e64 v93, 0, v93, s0
.LBB208_1486:                           ;   in Loop: Header=BB208_941 Depth=1
	s_wait_xcnt 0x0
	s_or_b32 exec_lo, exec_lo, s8
	flat_load_b32 v14, v[80:81] offset:2048
	v_mov_b64_e32 v[6:7], 0
	v_mov_b64_e32 v[8:9], 0
	s_mov_b32 s8, exec_lo
	s_wait_loadcnt_dscnt 0x0
	v_and_b32_e32 v13, 0xff, v14
	s_wait_xcnt 0x0
	s_delay_alu instid0(VALU_DEP_1)
	v_cmpx_ne_u16_e32 0, v13
	s_cbranch_execz .LBB208_1494
; %bb.1487:                             ;   in Loop: Header=BB208_941 Depth=1
	v_mov_b64_e32 v[8:9], 0x80000000
	s_mov_b32 s9, exec_lo
	v_cmpx_ne_u16_e32 0x80, v13
	s_cbranch_execz .LBB208_1493
; %bb.1488:                             ;   in Loop: Header=BB208_941 Depth=1
	v_mov_b64_e32 v[8:9], 0x7f800001
	v_and_b32_e32 v13, 0x7f, v14
	s_mov_b32 s14, exec_lo
	s_delay_alu instid0(VALU_DEP_1)
	v_cmpx_ne_u32_e32 0x7f, v13
	s_cbranch_execz .LBB208_1492
; %bb.1489:                             ;   in Loop: Header=BB208_941 Depth=1
	v_dual_lshrrev_b32 v8, 3, v13 :: v_dual_bitop2_b32 v18, 7, v14 bitop3:0x40
	s_mov_b32 s15, exec_lo
	v_cmpx_gt_u32_e32 8, v13
; %bb.1490:                             ;   in Loop: Header=BB208_941 Depth=1
	s_delay_alu instid0(VALU_DEP_2) | instskip(NEXT) | instid1(VALU_DEP_1)
	v_clz_i32_u32_e32 v8, v18
	v_min_u32_e32 v8, 32, v8
	s_delay_alu instid0(VALU_DEP_1) | instskip(SKIP_1) | instid1(VALU_DEP_2)
	v_subrev_nc_u32_e32 v9, 28, v8
	v_sub_nc_u32_e32 v8, 29, v8
	v_lshlrev_b64_e32 v[20:21], v9, v[18:19]
	s_delay_alu instid0(VALU_DEP_1)
	v_and_b32_e32 v18, 7, v20
; %bb.1491:                             ;   in Loop: Header=BB208_941 Depth=1
	s_or_b32 exec_lo, exec_lo, s15
	v_lshlrev_b32_e32 v9, 24, v14
	s_delay_alu instid0(VALU_DEP_2) | instskip(SKIP_1) | instid1(VALU_DEP_3)
	v_lshlrev_b32_e32 v13, 20, v18
	v_lshl_add_u32 v8, v8, 23, 0x3c000000
	v_and_b32_e32 v9, 0x80000000, v9
	s_delay_alu instid0(VALU_DEP_1) | instskip(NEXT) | instid1(VALU_DEP_1)
	v_or3_b32 v18, v13, v9, v8
	v_mov_b64_e32 v[8:9], v[18:19]
.LBB208_1492:                           ;   in Loop: Header=BB208_941 Depth=1
	s_or_b32 exec_lo, exec_lo, s14
.LBB208_1493:                           ;   in Loop: Header=BB208_941 Depth=1
	s_delay_alu instid0(SALU_CYCLE_1)
	s_or_b32 exec_lo, exec_lo, s9
.LBB208_1494:                           ;   in Loop: Header=BB208_941 Depth=1
	s_delay_alu instid0(SALU_CYCLE_1) | instskip(SKIP_2) | instid1(VALU_DEP_1)
	s_or_b32 exec_lo, exec_lo, s8
	v_lshrrev_b16 v15, 8, v14
	s_mov_b32 s8, exec_lo
	v_cmpx_ne_u16_e32 0, v15
	s_cbranch_execz .LBB208_1502
; %bb.1495:                             ;   in Loop: Header=BB208_941 Depth=1
	v_mov_b64_e32 v[6:7], 0x8000000000000000
	s_mov_b32 s9, exec_lo
	v_cmpx_ne_u16_e32 0x80, v15
	s_cbranch_execz .LBB208_1501
; %bb.1496:                             ;   in Loop: Header=BB208_941 Depth=1
	v_and_b32_e32 v15, 0xffff, v15
	v_mov_b64_e32 v[6:7], 0x7f80000100000000
	s_mov_b32 s14, exec_lo
	s_delay_alu instid0(VALU_DEP_2) | instskip(NEXT) | instid1(VALU_DEP_1)
	v_and_b32_e32 v13, 0x7f, v15
	v_cmpx_ne_u32_e32 0x7f, v13
	s_cbranch_execz .LBB208_1500
; %bb.1497:                             ;   in Loop: Header=BB208_941 Depth=1
	v_dual_lshrrev_b32 v6, 3, v13 :: v_dual_bitop2_b32 v18, 7, v15 bitop3:0x40
	s_mov_b32 s15, exec_lo
	v_cmpx_gt_u32_e32 8, v13
; %bb.1498:                             ;   in Loop: Header=BB208_941 Depth=1
	s_delay_alu instid0(VALU_DEP_2) | instskip(NEXT) | instid1(VALU_DEP_1)
	v_clz_i32_u32_e32 v6, v18
	v_min_u32_e32 v6, 32, v6
	s_delay_alu instid0(VALU_DEP_1) | instskip(NEXT) | instid1(VALU_DEP_1)
	v_subrev_nc_u32_e32 v7, 28, v6
	v_lshlrev_b64_e32 v[20:21], v7, v[18:19]
	s_delay_alu instid0(VALU_DEP_1)
	v_dual_sub_nc_u32 v6, 29, v6 :: v_dual_bitop2_b32 v18, 7, v20 bitop3:0x40
; %bb.1499:                             ;   in Loop: Header=BB208_941 Depth=1
	s_or_b32 exec_lo, exec_lo, s15
	v_lshlrev_b32_e32 v7, 16, v14
	s_delay_alu instid0(VALU_DEP_2) | instskip(NEXT) | instid1(VALU_DEP_3)
	v_lshlrev_b32_e32 v13, 20, v18
	v_lshl_add_u32 v6, v6, 23, 0x3c000000
	s_delay_alu instid0(VALU_DEP_3) | instskip(NEXT) | instid1(VALU_DEP_1)
	v_and_b32_e32 v7, 0x80000000, v7
	v_or3_b32 v7, v13, v7, v6
	v_mov_b32_e32 v6, v19
.LBB208_1500:                           ;   in Loop: Header=BB208_941 Depth=1
	s_or_b32 exec_lo, exec_lo, s14
.LBB208_1501:                           ;   in Loop: Header=BB208_941 Depth=1
	s_delay_alu instid0(SALU_CYCLE_1)
	s_or_b32 exec_lo, exec_lo, s9
.LBB208_1502:                           ;   in Loop: Header=BB208_941 Depth=1
	s_delay_alu instid0(SALU_CYCLE_1) | instskip(SKIP_4) | instid1(VALU_DEP_3)
	s_or_b32 exec_lo, exec_lo, s8
	v_lshrrev_b32_e32 v15, 16, v14
	v_mov_b64_e32 v[20:21], 0
	v_mov_b64_e32 v[24:25], 0
	s_mov_b32 s8, exec_lo
	v_and_b32_e32 v13, 0xff, v15
	s_delay_alu instid0(VALU_DEP_1)
	v_cmpx_ne_u16_e32 0, v13
	s_cbranch_execz .LBB208_1510
; %bb.1503:                             ;   in Loop: Header=BB208_941 Depth=1
	v_mov_b64_e32 v[24:25], 0x80000000
	s_mov_b32 s9, exec_lo
	v_cmpx_ne_u16_e32 0x80, v13
	s_cbranch_execz .LBB208_1509
; %bb.1504:                             ;   in Loop: Header=BB208_941 Depth=1
	v_mov_b64_e32 v[24:25], 0x7f800001
	v_bfe_u32 v13, v14, 16, 7
	s_mov_b32 s14, exec_lo
	s_delay_alu instid0(VALU_DEP_1)
	v_cmpx_ne_u32_e32 0x7f, v13
	s_cbranch_execz .LBB208_1508
; %bb.1505:                             ;   in Loop: Header=BB208_941 Depth=1
	v_dual_lshrrev_b32 v24, 3, v13 :: v_dual_bitop2_b32 v18, 7, v15 bitop3:0x40
	s_mov_b32 s15, exec_lo
	v_cmpx_gt_u32_e32 8, v13
; %bb.1506:                             ;   in Loop: Header=BB208_941 Depth=1
	s_delay_alu instid0(VALU_DEP_2) | instskip(NEXT) | instid1(VALU_DEP_1)
	v_clz_i32_u32_e32 v13, v18
	v_min_u32_e32 v13, 32, v13
	s_delay_alu instid0(VALU_DEP_1) | instskip(NEXT) | instid1(VALU_DEP_1)
	v_subrev_nc_u32_e32 v24, 28, v13
	v_lshlrev_b64_e32 v[26:27], v24, v[18:19]
	s_delay_alu instid0(VALU_DEP_1)
	v_dual_sub_nc_u32 v24, 29, v13 :: v_dual_bitop2_b32 v18, 7, v26 bitop3:0x40
; %bb.1507:                             ;   in Loop: Header=BB208_941 Depth=1
	s_or_b32 exec_lo, exec_lo, s15
	s_delay_alu instid0(VALU_DEP_1) | instskip(NEXT) | instid1(VALU_DEP_2)
	v_dual_lshlrev_b32 v13, 24, v15 :: v_dual_lshlrev_b32 v15, 20, v18
	v_lshl_add_u32 v18, v24, 23, 0x3c000000
	s_delay_alu instid0(VALU_DEP_2) | instskip(NEXT) | instid1(VALU_DEP_1)
	v_and_b32_e32 v13, 0x80000000, v13
	v_or3_b32 v18, v15, v13, v18
	s_delay_alu instid0(VALU_DEP_1)
	v_mov_b64_e32 v[24:25], v[18:19]
.LBB208_1508:                           ;   in Loop: Header=BB208_941 Depth=1
	s_or_b32 exec_lo, exec_lo, s14
.LBB208_1509:                           ;   in Loop: Header=BB208_941 Depth=1
	s_delay_alu instid0(SALU_CYCLE_1)
	s_or_b32 exec_lo, exec_lo, s9
.LBB208_1510:                           ;   in Loop: Header=BB208_941 Depth=1
	s_delay_alu instid0(SALU_CYCLE_1) | instskip(NEXT) | instid1(SALU_CYCLE_1)
	s_or_b32 exec_lo, exec_lo, s8
	s_mov_b32 s8, exec_lo
	v_cmpx_lt_u32_e32 0xffffff, v14
	s_cbranch_execz .LBB208_1518
; %bb.1511:                             ;   in Loop: Header=BB208_941 Depth=1
	v_mov_b64_e32 v[20:21], 0x8000000000000000
	v_lshrrev_b32_e32 v15, 24, v14
	s_mov_b32 s9, exec_lo
	s_delay_alu instid0(VALU_DEP_1)
	v_cmpx_ne_u32_e32 0x80, v15
	s_cbranch_execz .LBB208_1517
; %bb.1512:                             ;   in Loop: Header=BB208_941 Depth=1
	v_mov_b64_e32 v[20:21], 0x7f80000100000000
	v_bfe_u32 v13, v14, 24, 7
	s_mov_b32 s14, exec_lo
	s_delay_alu instid0(VALU_DEP_1)
	v_cmpx_ne_u32_e32 0x7f, v13
	s_cbranch_execz .LBB208_1516
; %bb.1513:                             ;   in Loop: Header=BB208_941 Depth=1
	v_dual_lshrrev_b32 v14, 3, v13 :: v_dual_bitop2_b32 v18, 7, v15 bitop3:0x40
	s_mov_b32 s15, exec_lo
	v_cmpx_gt_u32_e32 8, v13
; %bb.1514:                             ;   in Loop: Header=BB208_941 Depth=1
	s_delay_alu instid0(VALU_DEP_2) | instskip(NEXT) | instid1(VALU_DEP_1)
	v_clz_i32_u32_e32 v13, v18
	v_min_u32_e32 v13, 32, v13
	s_delay_alu instid0(VALU_DEP_1) | instskip(NEXT) | instid1(VALU_DEP_1)
	v_subrev_nc_u32_e32 v14, 28, v13
	v_lshlrev_b64_e32 v[20:21], v14, v[18:19]
	s_delay_alu instid0(VALU_DEP_1)
	v_dual_sub_nc_u32 v14, 29, v13 :: v_dual_bitop2_b32 v18, 7, v20 bitop3:0x40
; %bb.1515:                             ;   in Loop: Header=BB208_941 Depth=1
	s_or_b32 exec_lo, exec_lo, s15
	s_delay_alu instid0(VALU_DEP_1) | instskip(NEXT) | instid1(VALU_DEP_2)
	v_dual_lshlrev_b32 v13, 24, v15 :: v_dual_lshlrev_b32 v15, 20, v18
	v_lshl_add_u32 v14, v14, 23, 0x3c000000
	v_mov_b32_e32 v20, v19
	s_delay_alu instid0(VALU_DEP_3) | instskip(NEXT) | instid1(VALU_DEP_1)
	v_and_b32_e32 v13, 0x80000000, v13
	v_or3_b32 v21, v15, v13, v14
.LBB208_1516:                           ;   in Loop: Header=BB208_941 Depth=1
	s_or_b32 exec_lo, exec_lo, s14
.LBB208_1517:                           ;   in Loop: Header=BB208_941 Depth=1
	s_delay_alu instid0(SALU_CYCLE_1)
	s_or_b32 exec_lo, exec_lo, s9
.LBB208_1518:                           ;   in Loop: Header=BB208_941 Depth=1
	s_delay_alu instid0(SALU_CYCLE_1) | instskip(SKIP_4) | instid1(VALU_DEP_3)
	s_or_b32 exec_lo, exec_lo, s8
	v_or_b32_e32 v7, v7, v9
	v_or_b32_e32 v6, v6, v8
	v_or_b32_e32 v9, v21, v25
	v_or_b32_e32 v8, v20, v24
	v_pk_mul_f32 v[106:107], v[70:71], v[6:7]
	s_delay_alu instid0(VALU_DEP_2)
	v_pk_mul_f32 v[104:105], v[70:71], v[8:9]
	s_and_saveexec_b32 s8, vcc_lo
	s_cbranch_execz .LBB208_1520
; %bb.1519:                             ;   in Loop: Header=BB208_941 Depth=1
	scratch_load_b64 v[6:7], off, s32 offset:192 ; 8-byte Folded Reload
	s_wait_loadcnt 0x0
	v_cmp_lt_i32_e64 s0, v83, v6
	s_delay_alu instid0(VALU_DEP_1) | instskip(SKIP_1) | instid1(VALU_DEP_1)
	v_cndmask_b32_e64 v106, 0, v106, s0
	v_cmp_lt_i32_e64 s0, v0, v6
	v_cndmask_b32_e64 v107, 0, v107, s0
	v_cmp_lt_i32_e64 s0, v84, v6
	s_delay_alu instid0(VALU_DEP_1) | instskip(SKIP_1) | instid1(VALU_DEP_1)
	v_cndmask_b32_e64 v104, 0, v104, s0
	v_cmp_lt_i32_e64 s0, v1, v6
	v_cndmask_b32_e64 v105, 0, v105, s0
.LBB208_1520:                           ;   in Loop: Header=BB208_941 Depth=1
	s_wait_xcnt 0x0
	s_or_b32 exec_lo, exec_lo, s8
	flat_load_b32 v14, v[80:81] offset:2176
	v_mov_b64_e32 v[6:7], 0
	v_mov_b64_e32 v[8:9], 0
	s_mov_b32 s8, exec_lo
	s_wait_loadcnt_dscnt 0x0
	v_and_b32_e32 v13, 0xff, v14
	s_wait_xcnt 0x0
	s_delay_alu instid0(VALU_DEP_1)
	v_cmpx_ne_u16_e32 0, v13
	s_cbranch_execz .LBB208_1528
; %bb.1521:                             ;   in Loop: Header=BB208_941 Depth=1
	v_mov_b64_e32 v[8:9], 0x80000000
	s_mov_b32 s9, exec_lo
	v_cmpx_ne_u16_e32 0x80, v13
	s_cbranch_execz .LBB208_1527
; %bb.1522:                             ;   in Loop: Header=BB208_941 Depth=1
	v_mov_b64_e32 v[8:9], 0x7f800001
	v_and_b32_e32 v13, 0x7f, v14
	s_mov_b32 s14, exec_lo
	s_delay_alu instid0(VALU_DEP_1)
	v_cmpx_ne_u32_e32 0x7f, v13
	s_cbranch_execz .LBB208_1526
; %bb.1523:                             ;   in Loop: Header=BB208_941 Depth=1
	v_dual_lshrrev_b32 v8, 3, v13 :: v_dual_bitop2_b32 v18, 7, v14 bitop3:0x40
	s_mov_b32 s15, exec_lo
	v_cmpx_gt_u32_e32 8, v13
; %bb.1524:                             ;   in Loop: Header=BB208_941 Depth=1
	s_delay_alu instid0(VALU_DEP_2) | instskip(NEXT) | instid1(VALU_DEP_1)
	v_clz_i32_u32_e32 v8, v18
	v_min_u32_e32 v8, 32, v8
	s_delay_alu instid0(VALU_DEP_1) | instskip(SKIP_1) | instid1(VALU_DEP_2)
	v_subrev_nc_u32_e32 v9, 28, v8
	v_sub_nc_u32_e32 v8, 29, v8
	v_lshlrev_b64_e32 v[20:21], v9, v[18:19]
	s_delay_alu instid0(VALU_DEP_1)
	v_and_b32_e32 v18, 7, v20
; %bb.1525:                             ;   in Loop: Header=BB208_941 Depth=1
	s_or_b32 exec_lo, exec_lo, s15
	v_lshlrev_b32_e32 v9, 24, v14
	s_delay_alu instid0(VALU_DEP_2) | instskip(SKIP_1) | instid1(VALU_DEP_3)
	v_lshlrev_b32_e32 v13, 20, v18
	v_lshl_add_u32 v8, v8, 23, 0x3c000000
	v_and_b32_e32 v9, 0x80000000, v9
	s_delay_alu instid0(VALU_DEP_1) | instskip(NEXT) | instid1(VALU_DEP_1)
	v_or3_b32 v18, v13, v9, v8
	v_mov_b64_e32 v[8:9], v[18:19]
.LBB208_1526:                           ;   in Loop: Header=BB208_941 Depth=1
	s_or_b32 exec_lo, exec_lo, s14
.LBB208_1527:                           ;   in Loop: Header=BB208_941 Depth=1
	s_delay_alu instid0(SALU_CYCLE_1)
	s_or_b32 exec_lo, exec_lo, s9
.LBB208_1528:                           ;   in Loop: Header=BB208_941 Depth=1
	s_delay_alu instid0(SALU_CYCLE_1) | instskip(SKIP_2) | instid1(VALU_DEP_1)
	s_or_b32 exec_lo, exec_lo, s8
	v_lshrrev_b16 v15, 8, v14
	s_mov_b32 s8, exec_lo
	v_cmpx_ne_u16_e32 0, v15
	s_cbranch_execz .LBB208_1536
; %bb.1529:                             ;   in Loop: Header=BB208_941 Depth=1
	v_mov_b64_e32 v[6:7], 0x8000000000000000
	s_mov_b32 s9, exec_lo
	v_cmpx_ne_u16_e32 0x80, v15
	s_cbranch_execz .LBB208_1535
; %bb.1530:                             ;   in Loop: Header=BB208_941 Depth=1
	v_and_b32_e32 v15, 0xffff, v15
	v_mov_b64_e32 v[6:7], 0x7f80000100000000
	s_mov_b32 s14, exec_lo
	s_delay_alu instid0(VALU_DEP_2) | instskip(NEXT) | instid1(VALU_DEP_1)
	v_and_b32_e32 v13, 0x7f, v15
	v_cmpx_ne_u32_e32 0x7f, v13
	s_cbranch_execz .LBB208_1534
; %bb.1531:                             ;   in Loop: Header=BB208_941 Depth=1
	v_dual_lshrrev_b32 v6, 3, v13 :: v_dual_bitop2_b32 v18, 7, v15 bitop3:0x40
	s_mov_b32 s15, exec_lo
	v_cmpx_gt_u32_e32 8, v13
; %bb.1532:                             ;   in Loop: Header=BB208_941 Depth=1
	s_delay_alu instid0(VALU_DEP_2) | instskip(NEXT) | instid1(VALU_DEP_1)
	v_clz_i32_u32_e32 v6, v18
	v_min_u32_e32 v6, 32, v6
	s_delay_alu instid0(VALU_DEP_1) | instskip(NEXT) | instid1(VALU_DEP_1)
	v_subrev_nc_u32_e32 v7, 28, v6
	v_lshlrev_b64_e32 v[20:21], v7, v[18:19]
	s_delay_alu instid0(VALU_DEP_1)
	v_dual_sub_nc_u32 v6, 29, v6 :: v_dual_bitop2_b32 v18, 7, v20 bitop3:0x40
; %bb.1533:                             ;   in Loop: Header=BB208_941 Depth=1
	s_or_b32 exec_lo, exec_lo, s15
	v_lshlrev_b32_e32 v7, 16, v14
	s_delay_alu instid0(VALU_DEP_2) | instskip(NEXT) | instid1(VALU_DEP_3)
	v_lshlrev_b32_e32 v13, 20, v18
	v_lshl_add_u32 v6, v6, 23, 0x3c000000
	s_delay_alu instid0(VALU_DEP_3) | instskip(NEXT) | instid1(VALU_DEP_1)
	v_and_b32_e32 v7, 0x80000000, v7
	v_or3_b32 v7, v13, v7, v6
	v_mov_b32_e32 v6, v19
.LBB208_1534:                           ;   in Loop: Header=BB208_941 Depth=1
	s_or_b32 exec_lo, exec_lo, s14
.LBB208_1535:                           ;   in Loop: Header=BB208_941 Depth=1
	s_delay_alu instid0(SALU_CYCLE_1)
	s_or_b32 exec_lo, exec_lo, s9
.LBB208_1536:                           ;   in Loop: Header=BB208_941 Depth=1
	s_delay_alu instid0(SALU_CYCLE_1) | instskip(SKIP_4) | instid1(VALU_DEP_3)
	s_or_b32 exec_lo, exec_lo, s8
	v_lshrrev_b32_e32 v15, 16, v14
	v_mov_b64_e32 v[20:21], 0
	v_mov_b64_e32 v[24:25], 0
	s_mov_b32 s8, exec_lo
	v_and_b32_e32 v13, 0xff, v15
	s_delay_alu instid0(VALU_DEP_1)
	v_cmpx_ne_u16_e32 0, v13
	s_cbranch_execz .LBB208_1544
; %bb.1537:                             ;   in Loop: Header=BB208_941 Depth=1
	v_mov_b64_e32 v[24:25], 0x80000000
	s_mov_b32 s9, exec_lo
	v_cmpx_ne_u16_e32 0x80, v13
	s_cbranch_execz .LBB208_1543
; %bb.1538:                             ;   in Loop: Header=BB208_941 Depth=1
	v_mov_b64_e32 v[24:25], 0x7f800001
	v_bfe_u32 v13, v14, 16, 7
	s_mov_b32 s14, exec_lo
	s_delay_alu instid0(VALU_DEP_1)
	v_cmpx_ne_u32_e32 0x7f, v13
	s_cbranch_execz .LBB208_1542
; %bb.1539:                             ;   in Loop: Header=BB208_941 Depth=1
	v_dual_lshrrev_b32 v24, 3, v13 :: v_dual_bitop2_b32 v18, 7, v15 bitop3:0x40
	s_mov_b32 s15, exec_lo
	v_cmpx_gt_u32_e32 8, v13
; %bb.1540:                             ;   in Loop: Header=BB208_941 Depth=1
	s_delay_alu instid0(VALU_DEP_2) | instskip(NEXT) | instid1(VALU_DEP_1)
	v_clz_i32_u32_e32 v13, v18
	v_min_u32_e32 v13, 32, v13
	s_delay_alu instid0(VALU_DEP_1) | instskip(NEXT) | instid1(VALU_DEP_1)
	v_subrev_nc_u32_e32 v24, 28, v13
	v_lshlrev_b64_e32 v[26:27], v24, v[18:19]
	s_delay_alu instid0(VALU_DEP_1)
	v_dual_sub_nc_u32 v24, 29, v13 :: v_dual_bitop2_b32 v18, 7, v26 bitop3:0x40
; %bb.1541:                             ;   in Loop: Header=BB208_941 Depth=1
	s_or_b32 exec_lo, exec_lo, s15
	s_delay_alu instid0(VALU_DEP_1) | instskip(NEXT) | instid1(VALU_DEP_2)
	v_dual_lshlrev_b32 v13, 24, v15 :: v_dual_lshlrev_b32 v15, 20, v18
	v_lshl_add_u32 v18, v24, 23, 0x3c000000
	s_delay_alu instid0(VALU_DEP_2) | instskip(NEXT) | instid1(VALU_DEP_1)
	v_and_b32_e32 v13, 0x80000000, v13
	v_or3_b32 v18, v15, v13, v18
	s_delay_alu instid0(VALU_DEP_1)
	v_mov_b64_e32 v[24:25], v[18:19]
.LBB208_1542:                           ;   in Loop: Header=BB208_941 Depth=1
	s_or_b32 exec_lo, exec_lo, s14
.LBB208_1543:                           ;   in Loop: Header=BB208_941 Depth=1
	s_delay_alu instid0(SALU_CYCLE_1)
	s_or_b32 exec_lo, exec_lo, s9
.LBB208_1544:                           ;   in Loop: Header=BB208_941 Depth=1
	s_delay_alu instid0(SALU_CYCLE_1) | instskip(NEXT) | instid1(SALU_CYCLE_1)
	s_or_b32 exec_lo, exec_lo, s8
	s_mov_b32 s8, exec_lo
	v_cmpx_lt_u32_e32 0xffffff, v14
	s_cbranch_execz .LBB208_1552
; %bb.1545:                             ;   in Loop: Header=BB208_941 Depth=1
	v_mov_b64_e32 v[20:21], 0x8000000000000000
	v_lshrrev_b32_e32 v15, 24, v14
	s_mov_b32 s9, exec_lo
	s_delay_alu instid0(VALU_DEP_1)
	v_cmpx_ne_u32_e32 0x80, v15
	s_cbranch_execz .LBB208_1551
; %bb.1546:                             ;   in Loop: Header=BB208_941 Depth=1
	v_mov_b64_e32 v[20:21], 0x7f80000100000000
	v_bfe_u32 v13, v14, 24, 7
	s_mov_b32 s14, exec_lo
	s_delay_alu instid0(VALU_DEP_1)
	v_cmpx_ne_u32_e32 0x7f, v13
	s_cbranch_execz .LBB208_1550
; %bb.1547:                             ;   in Loop: Header=BB208_941 Depth=1
	v_dual_lshrrev_b32 v14, 3, v13 :: v_dual_bitop2_b32 v18, 7, v15 bitop3:0x40
	s_mov_b32 s15, exec_lo
	v_cmpx_gt_u32_e32 8, v13
; %bb.1548:                             ;   in Loop: Header=BB208_941 Depth=1
	s_delay_alu instid0(VALU_DEP_2) | instskip(NEXT) | instid1(VALU_DEP_1)
	v_clz_i32_u32_e32 v13, v18
	v_min_u32_e32 v13, 32, v13
	s_delay_alu instid0(VALU_DEP_1) | instskip(NEXT) | instid1(VALU_DEP_1)
	v_subrev_nc_u32_e32 v14, 28, v13
	v_lshlrev_b64_e32 v[20:21], v14, v[18:19]
	s_delay_alu instid0(VALU_DEP_1)
	v_dual_sub_nc_u32 v14, 29, v13 :: v_dual_bitop2_b32 v18, 7, v20 bitop3:0x40
; %bb.1549:                             ;   in Loop: Header=BB208_941 Depth=1
	s_or_b32 exec_lo, exec_lo, s15
	s_delay_alu instid0(VALU_DEP_1) | instskip(NEXT) | instid1(VALU_DEP_2)
	v_dual_lshlrev_b32 v13, 24, v15 :: v_dual_lshlrev_b32 v15, 20, v18
	v_lshl_add_u32 v14, v14, 23, 0x3c000000
	v_mov_b32_e32 v20, v19
	s_delay_alu instid0(VALU_DEP_3) | instskip(NEXT) | instid1(VALU_DEP_1)
	v_and_b32_e32 v13, 0x80000000, v13
	v_or3_b32 v21, v15, v13, v14
.LBB208_1550:                           ;   in Loop: Header=BB208_941 Depth=1
	s_or_b32 exec_lo, exec_lo, s14
.LBB208_1551:                           ;   in Loop: Header=BB208_941 Depth=1
	s_delay_alu instid0(SALU_CYCLE_1)
	s_or_b32 exec_lo, exec_lo, s9
.LBB208_1552:                           ;   in Loop: Header=BB208_941 Depth=1
	s_delay_alu instid0(SALU_CYCLE_1) | instskip(SKIP_4) | instid1(VALU_DEP_3)
	s_or_b32 exec_lo, exec_lo, s8
	v_or_b32_e32 v7, v7, v9
	v_or_b32_e32 v6, v6, v8
	v_or_b32_e32 v9, v21, v25
	v_or_b32_e32 v8, v20, v24
	v_pk_mul_f32 v[110:111], v[70:71], v[6:7]
	s_delay_alu instid0(VALU_DEP_2)
	v_pk_mul_f32 v[108:109], v[70:71], v[8:9]
	s_and_saveexec_b32 s8, vcc_lo
	s_cbranch_execz .LBB208_1554
; %bb.1553:                             ;   in Loop: Header=BB208_941 Depth=1
	scratch_load_b64 v[6:7], off, s32 offset:192 ; 8-byte Folded Reload
	s_wait_loadcnt 0x0
	v_cmp_lt_i32_e64 s0, v83, v6
	s_delay_alu instid0(VALU_DEP_1) | instskip(SKIP_1) | instid1(VALU_DEP_1)
	v_cndmask_b32_e64 v110, 0, v110, s0
	v_cmp_lt_i32_e64 s0, v0, v6
	v_cndmask_b32_e64 v111, 0, v111, s0
	v_cmp_lt_i32_e64 s0, v84, v6
	s_delay_alu instid0(VALU_DEP_1) | instskip(SKIP_1) | instid1(VALU_DEP_1)
	v_cndmask_b32_e64 v108, 0, v108, s0
	v_cmp_lt_i32_e64 s0, v1, v6
	v_cndmask_b32_e64 v109, 0, v109, s0
.LBB208_1554:                           ;   in Loop: Header=BB208_941 Depth=1
	s_wait_xcnt 0x0
	s_or_b32 exec_lo, exec_lo, s8
	flat_load_b32 v14, v[80:81] offset:2304
	v_mov_b64_e32 v[6:7], 0
	v_mov_b64_e32 v[8:9], 0
	s_mov_b32 s8, exec_lo
	s_wait_loadcnt_dscnt 0x0
	v_and_b32_e32 v13, 0xff, v14
	s_wait_xcnt 0x0
	s_delay_alu instid0(VALU_DEP_1)
	v_cmpx_ne_u16_e32 0, v13
	s_cbranch_execz .LBB208_1562
; %bb.1555:                             ;   in Loop: Header=BB208_941 Depth=1
	v_mov_b64_e32 v[8:9], 0x80000000
	s_mov_b32 s9, exec_lo
	v_cmpx_ne_u16_e32 0x80, v13
	s_cbranch_execz .LBB208_1561
; %bb.1556:                             ;   in Loop: Header=BB208_941 Depth=1
	v_mov_b64_e32 v[8:9], 0x7f800001
	v_and_b32_e32 v13, 0x7f, v14
	s_mov_b32 s14, exec_lo
	s_delay_alu instid0(VALU_DEP_1)
	v_cmpx_ne_u32_e32 0x7f, v13
	s_cbranch_execz .LBB208_1560
; %bb.1557:                             ;   in Loop: Header=BB208_941 Depth=1
	v_dual_lshrrev_b32 v8, 3, v13 :: v_dual_bitop2_b32 v18, 7, v14 bitop3:0x40
	s_mov_b32 s15, exec_lo
	v_cmpx_gt_u32_e32 8, v13
; %bb.1558:                             ;   in Loop: Header=BB208_941 Depth=1
	s_delay_alu instid0(VALU_DEP_2) | instskip(NEXT) | instid1(VALU_DEP_1)
	v_clz_i32_u32_e32 v8, v18
	v_min_u32_e32 v8, 32, v8
	s_delay_alu instid0(VALU_DEP_1) | instskip(SKIP_1) | instid1(VALU_DEP_2)
	v_subrev_nc_u32_e32 v9, 28, v8
	v_sub_nc_u32_e32 v8, 29, v8
	v_lshlrev_b64_e32 v[20:21], v9, v[18:19]
	s_delay_alu instid0(VALU_DEP_1)
	v_and_b32_e32 v18, 7, v20
; %bb.1559:                             ;   in Loop: Header=BB208_941 Depth=1
	s_or_b32 exec_lo, exec_lo, s15
	v_lshlrev_b32_e32 v9, 24, v14
	s_delay_alu instid0(VALU_DEP_2) | instskip(SKIP_1) | instid1(VALU_DEP_3)
	v_lshlrev_b32_e32 v13, 20, v18
	v_lshl_add_u32 v8, v8, 23, 0x3c000000
	v_and_b32_e32 v9, 0x80000000, v9
	s_delay_alu instid0(VALU_DEP_1) | instskip(NEXT) | instid1(VALU_DEP_1)
	v_or3_b32 v18, v13, v9, v8
	v_mov_b64_e32 v[8:9], v[18:19]
.LBB208_1560:                           ;   in Loop: Header=BB208_941 Depth=1
	s_or_b32 exec_lo, exec_lo, s14
.LBB208_1561:                           ;   in Loop: Header=BB208_941 Depth=1
	s_delay_alu instid0(SALU_CYCLE_1)
	s_or_b32 exec_lo, exec_lo, s9
.LBB208_1562:                           ;   in Loop: Header=BB208_941 Depth=1
	s_delay_alu instid0(SALU_CYCLE_1) | instskip(SKIP_2) | instid1(VALU_DEP_1)
	s_or_b32 exec_lo, exec_lo, s8
	v_lshrrev_b16 v15, 8, v14
	s_mov_b32 s8, exec_lo
	v_cmpx_ne_u16_e32 0, v15
	s_cbranch_execz .LBB208_1570
; %bb.1563:                             ;   in Loop: Header=BB208_941 Depth=1
	v_mov_b64_e32 v[6:7], 0x8000000000000000
	s_mov_b32 s9, exec_lo
	v_cmpx_ne_u16_e32 0x80, v15
	s_cbranch_execz .LBB208_1569
; %bb.1564:                             ;   in Loop: Header=BB208_941 Depth=1
	v_and_b32_e32 v15, 0xffff, v15
	v_mov_b64_e32 v[6:7], 0x7f80000100000000
	s_mov_b32 s14, exec_lo
	s_delay_alu instid0(VALU_DEP_2) | instskip(NEXT) | instid1(VALU_DEP_1)
	v_and_b32_e32 v13, 0x7f, v15
	v_cmpx_ne_u32_e32 0x7f, v13
	s_cbranch_execz .LBB208_1568
; %bb.1565:                             ;   in Loop: Header=BB208_941 Depth=1
	v_dual_lshrrev_b32 v6, 3, v13 :: v_dual_bitop2_b32 v18, 7, v15 bitop3:0x40
	s_mov_b32 s15, exec_lo
	v_cmpx_gt_u32_e32 8, v13
; %bb.1566:                             ;   in Loop: Header=BB208_941 Depth=1
	s_delay_alu instid0(VALU_DEP_2) | instskip(NEXT) | instid1(VALU_DEP_1)
	v_clz_i32_u32_e32 v6, v18
	v_min_u32_e32 v6, 32, v6
	s_delay_alu instid0(VALU_DEP_1) | instskip(NEXT) | instid1(VALU_DEP_1)
	v_subrev_nc_u32_e32 v7, 28, v6
	v_lshlrev_b64_e32 v[20:21], v7, v[18:19]
	s_delay_alu instid0(VALU_DEP_1)
	v_dual_sub_nc_u32 v6, 29, v6 :: v_dual_bitop2_b32 v18, 7, v20 bitop3:0x40
; %bb.1567:                             ;   in Loop: Header=BB208_941 Depth=1
	s_or_b32 exec_lo, exec_lo, s15
	v_lshlrev_b32_e32 v7, 16, v14
	s_delay_alu instid0(VALU_DEP_2) | instskip(NEXT) | instid1(VALU_DEP_3)
	v_lshlrev_b32_e32 v13, 20, v18
	v_lshl_add_u32 v6, v6, 23, 0x3c000000
	s_delay_alu instid0(VALU_DEP_3) | instskip(NEXT) | instid1(VALU_DEP_1)
	v_and_b32_e32 v7, 0x80000000, v7
	v_or3_b32 v7, v13, v7, v6
	v_mov_b32_e32 v6, v19
.LBB208_1568:                           ;   in Loop: Header=BB208_941 Depth=1
	s_or_b32 exec_lo, exec_lo, s14
.LBB208_1569:                           ;   in Loop: Header=BB208_941 Depth=1
	s_delay_alu instid0(SALU_CYCLE_1)
	s_or_b32 exec_lo, exec_lo, s9
.LBB208_1570:                           ;   in Loop: Header=BB208_941 Depth=1
	s_delay_alu instid0(SALU_CYCLE_1) | instskip(SKIP_4) | instid1(VALU_DEP_3)
	s_or_b32 exec_lo, exec_lo, s8
	v_lshrrev_b32_e32 v15, 16, v14
	v_mov_b64_e32 v[20:21], 0
	v_mov_b64_e32 v[24:25], 0
	s_mov_b32 s8, exec_lo
	v_and_b32_e32 v13, 0xff, v15
	s_delay_alu instid0(VALU_DEP_1)
	v_cmpx_ne_u16_e32 0, v13
	s_cbranch_execz .LBB208_1578
; %bb.1571:                             ;   in Loop: Header=BB208_941 Depth=1
	v_mov_b64_e32 v[24:25], 0x80000000
	s_mov_b32 s9, exec_lo
	v_cmpx_ne_u16_e32 0x80, v13
	s_cbranch_execz .LBB208_1577
; %bb.1572:                             ;   in Loop: Header=BB208_941 Depth=1
	v_mov_b64_e32 v[24:25], 0x7f800001
	v_bfe_u32 v13, v14, 16, 7
	s_mov_b32 s14, exec_lo
	s_delay_alu instid0(VALU_DEP_1)
	v_cmpx_ne_u32_e32 0x7f, v13
	s_cbranch_execz .LBB208_1576
; %bb.1573:                             ;   in Loop: Header=BB208_941 Depth=1
	v_dual_lshrrev_b32 v24, 3, v13 :: v_dual_bitop2_b32 v18, 7, v15 bitop3:0x40
	s_mov_b32 s15, exec_lo
	v_cmpx_gt_u32_e32 8, v13
; %bb.1574:                             ;   in Loop: Header=BB208_941 Depth=1
	s_delay_alu instid0(VALU_DEP_2) | instskip(NEXT) | instid1(VALU_DEP_1)
	v_clz_i32_u32_e32 v13, v18
	v_min_u32_e32 v13, 32, v13
	s_delay_alu instid0(VALU_DEP_1) | instskip(NEXT) | instid1(VALU_DEP_1)
	v_subrev_nc_u32_e32 v24, 28, v13
	v_lshlrev_b64_e32 v[26:27], v24, v[18:19]
	s_delay_alu instid0(VALU_DEP_1)
	v_dual_sub_nc_u32 v24, 29, v13 :: v_dual_bitop2_b32 v18, 7, v26 bitop3:0x40
; %bb.1575:                             ;   in Loop: Header=BB208_941 Depth=1
	s_or_b32 exec_lo, exec_lo, s15
	s_delay_alu instid0(VALU_DEP_1) | instskip(NEXT) | instid1(VALU_DEP_2)
	v_dual_lshlrev_b32 v13, 24, v15 :: v_dual_lshlrev_b32 v15, 20, v18
	v_lshl_add_u32 v18, v24, 23, 0x3c000000
	s_delay_alu instid0(VALU_DEP_2) | instskip(NEXT) | instid1(VALU_DEP_1)
	v_and_b32_e32 v13, 0x80000000, v13
	v_or3_b32 v18, v15, v13, v18
	s_delay_alu instid0(VALU_DEP_1)
	v_mov_b64_e32 v[24:25], v[18:19]
.LBB208_1576:                           ;   in Loop: Header=BB208_941 Depth=1
	s_or_b32 exec_lo, exec_lo, s14
.LBB208_1577:                           ;   in Loop: Header=BB208_941 Depth=1
	s_delay_alu instid0(SALU_CYCLE_1)
	s_or_b32 exec_lo, exec_lo, s9
.LBB208_1578:                           ;   in Loop: Header=BB208_941 Depth=1
	s_delay_alu instid0(SALU_CYCLE_1) | instskip(NEXT) | instid1(SALU_CYCLE_1)
	s_or_b32 exec_lo, exec_lo, s8
	s_mov_b32 s8, exec_lo
	v_cmpx_lt_u32_e32 0xffffff, v14
	s_cbranch_execz .LBB208_1586
; %bb.1579:                             ;   in Loop: Header=BB208_941 Depth=1
	v_mov_b64_e32 v[20:21], 0x8000000000000000
	v_lshrrev_b32_e32 v15, 24, v14
	s_mov_b32 s9, exec_lo
	s_delay_alu instid0(VALU_DEP_1)
	v_cmpx_ne_u32_e32 0x80, v15
	s_cbranch_execz .LBB208_1585
; %bb.1580:                             ;   in Loop: Header=BB208_941 Depth=1
	v_mov_b64_e32 v[20:21], 0x7f80000100000000
	v_bfe_u32 v13, v14, 24, 7
	s_mov_b32 s14, exec_lo
	s_delay_alu instid0(VALU_DEP_1)
	v_cmpx_ne_u32_e32 0x7f, v13
	s_cbranch_execz .LBB208_1584
; %bb.1581:                             ;   in Loop: Header=BB208_941 Depth=1
	v_dual_lshrrev_b32 v14, 3, v13 :: v_dual_bitop2_b32 v18, 7, v15 bitop3:0x40
	s_mov_b32 s15, exec_lo
	v_cmpx_gt_u32_e32 8, v13
; %bb.1582:                             ;   in Loop: Header=BB208_941 Depth=1
	s_delay_alu instid0(VALU_DEP_2) | instskip(NEXT) | instid1(VALU_DEP_1)
	v_clz_i32_u32_e32 v13, v18
	v_min_u32_e32 v13, 32, v13
	s_delay_alu instid0(VALU_DEP_1) | instskip(NEXT) | instid1(VALU_DEP_1)
	v_subrev_nc_u32_e32 v14, 28, v13
	v_lshlrev_b64_e32 v[20:21], v14, v[18:19]
	s_delay_alu instid0(VALU_DEP_1)
	v_dual_sub_nc_u32 v14, 29, v13 :: v_dual_bitop2_b32 v18, 7, v20 bitop3:0x40
; %bb.1583:                             ;   in Loop: Header=BB208_941 Depth=1
	s_or_b32 exec_lo, exec_lo, s15
	s_delay_alu instid0(VALU_DEP_1) | instskip(NEXT) | instid1(VALU_DEP_2)
	v_dual_lshlrev_b32 v13, 24, v15 :: v_dual_lshlrev_b32 v15, 20, v18
	v_lshl_add_u32 v14, v14, 23, 0x3c000000
	v_mov_b32_e32 v20, v19
	s_delay_alu instid0(VALU_DEP_3) | instskip(NEXT) | instid1(VALU_DEP_1)
	v_and_b32_e32 v13, 0x80000000, v13
	v_or3_b32 v21, v15, v13, v14
.LBB208_1584:                           ;   in Loop: Header=BB208_941 Depth=1
	s_or_b32 exec_lo, exec_lo, s14
.LBB208_1585:                           ;   in Loop: Header=BB208_941 Depth=1
	s_delay_alu instid0(SALU_CYCLE_1)
	s_or_b32 exec_lo, exec_lo, s9
.LBB208_1586:                           ;   in Loop: Header=BB208_941 Depth=1
	s_delay_alu instid0(SALU_CYCLE_1) | instskip(SKIP_4) | instid1(VALU_DEP_3)
	s_or_b32 exec_lo, exec_lo, s8
	v_or_b32_e32 v7, v7, v9
	v_or_b32_e32 v6, v6, v8
	;; [unrolled: 1-line block ×4, first 2 shown]
	v_pk_mul_f32 v[122:123], v[70:71], v[6:7]
	s_delay_alu instid0(VALU_DEP_2)
	v_pk_mul_f32 v[120:121], v[70:71], v[8:9]
	s_and_saveexec_b32 s8, vcc_lo
	s_cbranch_execz .LBB208_1588
; %bb.1587:                             ;   in Loop: Header=BB208_941 Depth=1
	scratch_load_b64 v[6:7], off, s32 offset:192 ; 8-byte Folded Reload
	s_wait_loadcnt 0x0
	v_cmp_lt_i32_e64 s0, v83, v6
	s_delay_alu instid0(VALU_DEP_1) | instskip(SKIP_1) | instid1(VALU_DEP_1)
	v_cndmask_b32_e64 v122, 0, v122, s0
	v_cmp_lt_i32_e64 s0, v0, v6
	v_cndmask_b32_e64 v123, 0, v123, s0
	v_cmp_lt_i32_e64 s0, v84, v6
	s_delay_alu instid0(VALU_DEP_1) | instskip(SKIP_1) | instid1(VALU_DEP_1)
	v_cndmask_b32_e64 v120, 0, v120, s0
	v_cmp_lt_i32_e64 s0, v1, v6
	v_cndmask_b32_e64 v121, 0, v121, s0
.LBB208_1588:                           ;   in Loop: Header=BB208_941 Depth=1
	s_wait_xcnt 0x0
	s_or_b32 exec_lo, exec_lo, s8
	flat_load_b32 v14, v[80:81] offset:2432
	v_mov_b64_e32 v[6:7], 0
	v_mov_b64_e32 v[8:9], 0
	s_mov_b32 s8, exec_lo
	s_wait_loadcnt_dscnt 0x0
	v_and_b32_e32 v13, 0xff, v14
	s_wait_xcnt 0x0
	s_delay_alu instid0(VALU_DEP_1)
	v_cmpx_ne_u16_e32 0, v13
	s_cbranch_execz .LBB208_1596
; %bb.1589:                             ;   in Loop: Header=BB208_941 Depth=1
	v_mov_b64_e32 v[8:9], 0x80000000
	s_mov_b32 s9, exec_lo
	v_cmpx_ne_u16_e32 0x80, v13
	s_cbranch_execz .LBB208_1595
; %bb.1590:                             ;   in Loop: Header=BB208_941 Depth=1
	v_mov_b64_e32 v[8:9], 0x7f800001
	v_and_b32_e32 v13, 0x7f, v14
	s_mov_b32 s14, exec_lo
	s_delay_alu instid0(VALU_DEP_1)
	v_cmpx_ne_u32_e32 0x7f, v13
	s_cbranch_execz .LBB208_1594
; %bb.1591:                             ;   in Loop: Header=BB208_941 Depth=1
	v_dual_lshrrev_b32 v8, 3, v13 :: v_dual_bitop2_b32 v18, 7, v14 bitop3:0x40
	s_mov_b32 s15, exec_lo
	v_cmpx_gt_u32_e32 8, v13
; %bb.1592:                             ;   in Loop: Header=BB208_941 Depth=1
	s_delay_alu instid0(VALU_DEP_2) | instskip(NEXT) | instid1(VALU_DEP_1)
	v_clz_i32_u32_e32 v8, v18
	v_min_u32_e32 v8, 32, v8
	s_delay_alu instid0(VALU_DEP_1) | instskip(SKIP_1) | instid1(VALU_DEP_2)
	v_subrev_nc_u32_e32 v9, 28, v8
	v_sub_nc_u32_e32 v8, 29, v8
	v_lshlrev_b64_e32 v[20:21], v9, v[18:19]
	s_delay_alu instid0(VALU_DEP_1)
	v_and_b32_e32 v18, 7, v20
; %bb.1593:                             ;   in Loop: Header=BB208_941 Depth=1
	s_or_b32 exec_lo, exec_lo, s15
	v_lshlrev_b32_e32 v9, 24, v14
	s_delay_alu instid0(VALU_DEP_2) | instskip(SKIP_1) | instid1(VALU_DEP_3)
	v_lshlrev_b32_e32 v13, 20, v18
	v_lshl_add_u32 v8, v8, 23, 0x3c000000
	v_and_b32_e32 v9, 0x80000000, v9
	s_delay_alu instid0(VALU_DEP_1) | instskip(NEXT) | instid1(VALU_DEP_1)
	v_or3_b32 v18, v13, v9, v8
	v_mov_b64_e32 v[8:9], v[18:19]
.LBB208_1594:                           ;   in Loop: Header=BB208_941 Depth=1
	s_or_b32 exec_lo, exec_lo, s14
.LBB208_1595:                           ;   in Loop: Header=BB208_941 Depth=1
	s_delay_alu instid0(SALU_CYCLE_1)
	s_or_b32 exec_lo, exec_lo, s9
.LBB208_1596:                           ;   in Loop: Header=BB208_941 Depth=1
	s_delay_alu instid0(SALU_CYCLE_1) | instskip(SKIP_2) | instid1(VALU_DEP_1)
	s_or_b32 exec_lo, exec_lo, s8
	v_lshrrev_b16 v15, 8, v14
	s_mov_b32 s8, exec_lo
	v_cmpx_ne_u16_e32 0, v15
	s_cbranch_execz .LBB208_1604
; %bb.1597:                             ;   in Loop: Header=BB208_941 Depth=1
	v_mov_b64_e32 v[6:7], 0x8000000000000000
	s_mov_b32 s9, exec_lo
	v_cmpx_ne_u16_e32 0x80, v15
	s_cbranch_execz .LBB208_1603
; %bb.1598:                             ;   in Loop: Header=BB208_941 Depth=1
	v_and_b32_e32 v15, 0xffff, v15
	v_mov_b64_e32 v[6:7], 0x7f80000100000000
	s_mov_b32 s14, exec_lo
	s_delay_alu instid0(VALU_DEP_2) | instskip(NEXT) | instid1(VALU_DEP_1)
	v_and_b32_e32 v13, 0x7f, v15
	v_cmpx_ne_u32_e32 0x7f, v13
	s_cbranch_execz .LBB208_1602
; %bb.1599:                             ;   in Loop: Header=BB208_941 Depth=1
	v_dual_lshrrev_b32 v6, 3, v13 :: v_dual_bitop2_b32 v18, 7, v15 bitop3:0x40
	s_mov_b32 s15, exec_lo
	v_cmpx_gt_u32_e32 8, v13
; %bb.1600:                             ;   in Loop: Header=BB208_941 Depth=1
	s_delay_alu instid0(VALU_DEP_2) | instskip(NEXT) | instid1(VALU_DEP_1)
	v_clz_i32_u32_e32 v6, v18
	v_min_u32_e32 v6, 32, v6
	s_delay_alu instid0(VALU_DEP_1) | instskip(NEXT) | instid1(VALU_DEP_1)
	v_subrev_nc_u32_e32 v7, 28, v6
	v_lshlrev_b64_e32 v[20:21], v7, v[18:19]
	s_delay_alu instid0(VALU_DEP_1)
	v_dual_sub_nc_u32 v6, 29, v6 :: v_dual_bitop2_b32 v18, 7, v20 bitop3:0x40
; %bb.1601:                             ;   in Loop: Header=BB208_941 Depth=1
	s_or_b32 exec_lo, exec_lo, s15
	v_lshlrev_b32_e32 v7, 16, v14
	s_delay_alu instid0(VALU_DEP_2) | instskip(NEXT) | instid1(VALU_DEP_3)
	v_lshlrev_b32_e32 v13, 20, v18
	v_lshl_add_u32 v6, v6, 23, 0x3c000000
	s_delay_alu instid0(VALU_DEP_3) | instskip(NEXT) | instid1(VALU_DEP_1)
	v_and_b32_e32 v7, 0x80000000, v7
	v_or3_b32 v7, v13, v7, v6
	v_mov_b32_e32 v6, v19
.LBB208_1602:                           ;   in Loop: Header=BB208_941 Depth=1
	s_or_b32 exec_lo, exec_lo, s14
.LBB208_1603:                           ;   in Loop: Header=BB208_941 Depth=1
	s_delay_alu instid0(SALU_CYCLE_1)
	s_or_b32 exec_lo, exec_lo, s9
.LBB208_1604:                           ;   in Loop: Header=BB208_941 Depth=1
	s_delay_alu instid0(SALU_CYCLE_1) | instskip(SKIP_4) | instid1(VALU_DEP_3)
	s_or_b32 exec_lo, exec_lo, s8
	v_lshrrev_b32_e32 v15, 16, v14
	v_mov_b64_e32 v[20:21], 0
	v_mov_b64_e32 v[24:25], 0
	s_mov_b32 s8, exec_lo
	v_and_b32_e32 v13, 0xff, v15
	s_delay_alu instid0(VALU_DEP_1)
	v_cmpx_ne_u16_e32 0, v13
	s_cbranch_execz .LBB208_1612
; %bb.1605:                             ;   in Loop: Header=BB208_941 Depth=1
	v_mov_b64_e32 v[24:25], 0x80000000
	s_mov_b32 s9, exec_lo
	v_cmpx_ne_u16_e32 0x80, v13
	s_cbranch_execz .LBB208_1611
; %bb.1606:                             ;   in Loop: Header=BB208_941 Depth=1
	v_mov_b64_e32 v[24:25], 0x7f800001
	v_bfe_u32 v13, v14, 16, 7
	s_mov_b32 s14, exec_lo
	s_delay_alu instid0(VALU_DEP_1)
	v_cmpx_ne_u32_e32 0x7f, v13
	s_cbranch_execz .LBB208_1610
; %bb.1607:                             ;   in Loop: Header=BB208_941 Depth=1
	v_dual_lshrrev_b32 v24, 3, v13 :: v_dual_bitop2_b32 v18, 7, v15 bitop3:0x40
	s_mov_b32 s15, exec_lo
	v_cmpx_gt_u32_e32 8, v13
; %bb.1608:                             ;   in Loop: Header=BB208_941 Depth=1
	s_delay_alu instid0(VALU_DEP_2) | instskip(NEXT) | instid1(VALU_DEP_1)
	v_clz_i32_u32_e32 v13, v18
	v_min_u32_e32 v13, 32, v13
	s_delay_alu instid0(VALU_DEP_1) | instskip(NEXT) | instid1(VALU_DEP_1)
	v_subrev_nc_u32_e32 v24, 28, v13
	v_lshlrev_b64_e32 v[26:27], v24, v[18:19]
	s_delay_alu instid0(VALU_DEP_1)
	v_dual_sub_nc_u32 v24, 29, v13 :: v_dual_bitop2_b32 v18, 7, v26 bitop3:0x40
; %bb.1609:                             ;   in Loop: Header=BB208_941 Depth=1
	s_or_b32 exec_lo, exec_lo, s15
	s_delay_alu instid0(VALU_DEP_1) | instskip(NEXT) | instid1(VALU_DEP_2)
	v_dual_lshlrev_b32 v13, 24, v15 :: v_dual_lshlrev_b32 v15, 20, v18
	v_lshl_add_u32 v18, v24, 23, 0x3c000000
	s_delay_alu instid0(VALU_DEP_2) | instskip(NEXT) | instid1(VALU_DEP_1)
	v_and_b32_e32 v13, 0x80000000, v13
	v_or3_b32 v18, v15, v13, v18
	s_delay_alu instid0(VALU_DEP_1)
	v_mov_b64_e32 v[24:25], v[18:19]
.LBB208_1610:                           ;   in Loop: Header=BB208_941 Depth=1
	s_or_b32 exec_lo, exec_lo, s14
.LBB208_1611:                           ;   in Loop: Header=BB208_941 Depth=1
	s_delay_alu instid0(SALU_CYCLE_1)
	s_or_b32 exec_lo, exec_lo, s9
.LBB208_1612:                           ;   in Loop: Header=BB208_941 Depth=1
	s_delay_alu instid0(SALU_CYCLE_1) | instskip(NEXT) | instid1(SALU_CYCLE_1)
	s_or_b32 exec_lo, exec_lo, s8
	s_mov_b32 s8, exec_lo
	v_cmpx_lt_u32_e32 0xffffff, v14
	s_cbranch_execz .LBB208_1620
; %bb.1613:                             ;   in Loop: Header=BB208_941 Depth=1
	v_mov_b64_e32 v[20:21], 0x8000000000000000
	v_lshrrev_b32_e32 v15, 24, v14
	s_mov_b32 s9, exec_lo
	s_delay_alu instid0(VALU_DEP_1)
	v_cmpx_ne_u32_e32 0x80, v15
	s_cbranch_execz .LBB208_1619
; %bb.1614:                             ;   in Loop: Header=BB208_941 Depth=1
	v_mov_b64_e32 v[20:21], 0x7f80000100000000
	v_bfe_u32 v13, v14, 24, 7
	s_mov_b32 s14, exec_lo
	s_delay_alu instid0(VALU_DEP_1)
	v_cmpx_ne_u32_e32 0x7f, v13
	s_cbranch_execz .LBB208_1618
; %bb.1615:                             ;   in Loop: Header=BB208_941 Depth=1
	v_dual_lshrrev_b32 v14, 3, v13 :: v_dual_bitop2_b32 v18, 7, v15 bitop3:0x40
	s_mov_b32 s15, exec_lo
	v_cmpx_gt_u32_e32 8, v13
; %bb.1616:                             ;   in Loop: Header=BB208_941 Depth=1
	s_delay_alu instid0(VALU_DEP_2) | instskip(NEXT) | instid1(VALU_DEP_1)
	v_clz_i32_u32_e32 v13, v18
	v_min_u32_e32 v13, 32, v13
	s_delay_alu instid0(VALU_DEP_1) | instskip(NEXT) | instid1(VALU_DEP_1)
	v_subrev_nc_u32_e32 v14, 28, v13
	v_lshlrev_b64_e32 v[20:21], v14, v[18:19]
	s_delay_alu instid0(VALU_DEP_1)
	v_dual_sub_nc_u32 v14, 29, v13 :: v_dual_bitop2_b32 v18, 7, v20 bitop3:0x40
; %bb.1617:                             ;   in Loop: Header=BB208_941 Depth=1
	s_or_b32 exec_lo, exec_lo, s15
	s_delay_alu instid0(VALU_DEP_1) | instskip(NEXT) | instid1(VALU_DEP_2)
	v_dual_lshlrev_b32 v13, 24, v15 :: v_dual_lshlrev_b32 v15, 20, v18
	v_lshl_add_u32 v14, v14, 23, 0x3c000000
	v_mov_b32_e32 v20, v19
	s_delay_alu instid0(VALU_DEP_3) | instskip(NEXT) | instid1(VALU_DEP_1)
	v_and_b32_e32 v13, 0x80000000, v13
	v_or3_b32 v21, v15, v13, v14
.LBB208_1618:                           ;   in Loop: Header=BB208_941 Depth=1
	s_or_b32 exec_lo, exec_lo, s14
.LBB208_1619:                           ;   in Loop: Header=BB208_941 Depth=1
	s_delay_alu instid0(SALU_CYCLE_1)
	s_or_b32 exec_lo, exec_lo, s9
.LBB208_1620:                           ;   in Loop: Header=BB208_941 Depth=1
	s_delay_alu instid0(SALU_CYCLE_1) | instskip(SKIP_4) | instid1(VALU_DEP_3)
	s_or_b32 exec_lo, exec_lo, s8
	v_or_b32_e32 v7, v7, v9
	v_or_b32_e32 v6, v6, v8
	;; [unrolled: 1-line block ×4, first 2 shown]
	v_pk_mul_f32 v[126:127], v[70:71], v[6:7]
	s_delay_alu instid0(VALU_DEP_2)
	v_pk_mul_f32 v[124:125], v[70:71], v[8:9]
	s_and_saveexec_b32 s8, vcc_lo
	s_cbranch_execz .LBB208_1622
; %bb.1621:                             ;   in Loop: Header=BB208_941 Depth=1
	scratch_load_b64 v[6:7], off, s32 offset:192 ; 8-byte Folded Reload
	s_wait_loadcnt 0x0
	v_cmp_lt_i32_e64 s0, v83, v6
	s_delay_alu instid0(VALU_DEP_1) | instskip(SKIP_1) | instid1(VALU_DEP_1)
	v_cndmask_b32_e64 v126, 0, v126, s0
	v_cmp_lt_i32_e64 s0, v0, v6
	v_cndmask_b32_e64 v127, 0, v127, s0
	v_cmp_lt_i32_e64 s0, v84, v6
	s_delay_alu instid0(VALU_DEP_1) | instskip(SKIP_1) | instid1(VALU_DEP_1)
	v_cndmask_b32_e64 v124, 0, v124, s0
	v_cmp_lt_i32_e64 s0, v1, v6
	v_cndmask_b32_e64 v125, 0, v125, s0
.LBB208_1622:                           ;   in Loop: Header=BB208_941 Depth=1
	s_wait_xcnt 0x0
	s_or_b32 exec_lo, exec_lo, s8
	flat_load_b32 v14, v[80:81] offset:2560
	v_mov_b64_e32 v[6:7], 0
	v_mov_b64_e32 v[8:9], 0
	s_mov_b32 s8, exec_lo
	s_wait_loadcnt_dscnt 0x0
	v_and_b32_e32 v13, 0xff, v14
	s_wait_xcnt 0x0
	s_delay_alu instid0(VALU_DEP_1)
	v_cmpx_ne_u16_e32 0, v13
	s_cbranch_execz .LBB208_1630
; %bb.1623:                             ;   in Loop: Header=BB208_941 Depth=1
	v_mov_b64_e32 v[8:9], 0x80000000
	s_mov_b32 s9, exec_lo
	v_cmpx_ne_u16_e32 0x80, v13
	s_cbranch_execz .LBB208_1629
; %bb.1624:                             ;   in Loop: Header=BB208_941 Depth=1
	v_mov_b64_e32 v[8:9], 0x7f800001
	v_and_b32_e32 v13, 0x7f, v14
	s_mov_b32 s14, exec_lo
	s_delay_alu instid0(VALU_DEP_1)
	v_cmpx_ne_u32_e32 0x7f, v13
	s_cbranch_execz .LBB208_1628
; %bb.1625:                             ;   in Loop: Header=BB208_941 Depth=1
	v_dual_lshrrev_b32 v8, 3, v13 :: v_dual_bitop2_b32 v18, 7, v14 bitop3:0x40
	s_mov_b32 s15, exec_lo
	v_cmpx_gt_u32_e32 8, v13
; %bb.1626:                             ;   in Loop: Header=BB208_941 Depth=1
	s_delay_alu instid0(VALU_DEP_2) | instskip(NEXT) | instid1(VALU_DEP_1)
	v_clz_i32_u32_e32 v8, v18
	v_min_u32_e32 v8, 32, v8
	s_delay_alu instid0(VALU_DEP_1) | instskip(SKIP_1) | instid1(VALU_DEP_2)
	v_subrev_nc_u32_e32 v9, 28, v8
	v_sub_nc_u32_e32 v8, 29, v8
	v_lshlrev_b64_e32 v[20:21], v9, v[18:19]
	s_delay_alu instid0(VALU_DEP_1)
	v_and_b32_e32 v18, 7, v20
; %bb.1627:                             ;   in Loop: Header=BB208_941 Depth=1
	s_or_b32 exec_lo, exec_lo, s15
	v_lshlrev_b32_e32 v9, 24, v14
	s_delay_alu instid0(VALU_DEP_2) | instskip(SKIP_1) | instid1(VALU_DEP_3)
	v_lshlrev_b32_e32 v13, 20, v18
	v_lshl_add_u32 v8, v8, 23, 0x3c000000
	v_and_b32_e32 v9, 0x80000000, v9
	s_delay_alu instid0(VALU_DEP_1) | instskip(NEXT) | instid1(VALU_DEP_1)
	v_or3_b32 v18, v13, v9, v8
	v_mov_b64_e32 v[8:9], v[18:19]
.LBB208_1628:                           ;   in Loop: Header=BB208_941 Depth=1
	s_or_b32 exec_lo, exec_lo, s14
.LBB208_1629:                           ;   in Loop: Header=BB208_941 Depth=1
	s_delay_alu instid0(SALU_CYCLE_1)
	s_or_b32 exec_lo, exec_lo, s9
.LBB208_1630:                           ;   in Loop: Header=BB208_941 Depth=1
	s_delay_alu instid0(SALU_CYCLE_1) | instskip(SKIP_2) | instid1(VALU_DEP_1)
	s_or_b32 exec_lo, exec_lo, s8
	v_lshrrev_b16 v15, 8, v14
	s_mov_b32 s8, exec_lo
	v_cmpx_ne_u16_e32 0, v15
	s_cbranch_execz .LBB208_1638
; %bb.1631:                             ;   in Loop: Header=BB208_941 Depth=1
	v_mov_b64_e32 v[6:7], 0x8000000000000000
	s_mov_b32 s9, exec_lo
	v_cmpx_ne_u16_e32 0x80, v15
	s_cbranch_execz .LBB208_1637
; %bb.1632:                             ;   in Loop: Header=BB208_941 Depth=1
	v_and_b32_e32 v15, 0xffff, v15
	v_mov_b64_e32 v[6:7], 0x7f80000100000000
	s_mov_b32 s14, exec_lo
	s_delay_alu instid0(VALU_DEP_2) | instskip(NEXT) | instid1(VALU_DEP_1)
	v_and_b32_e32 v13, 0x7f, v15
	v_cmpx_ne_u32_e32 0x7f, v13
	s_cbranch_execz .LBB208_1636
; %bb.1633:                             ;   in Loop: Header=BB208_941 Depth=1
	v_dual_lshrrev_b32 v6, 3, v13 :: v_dual_bitop2_b32 v18, 7, v15 bitop3:0x40
	s_mov_b32 s15, exec_lo
	v_cmpx_gt_u32_e32 8, v13
; %bb.1634:                             ;   in Loop: Header=BB208_941 Depth=1
	s_delay_alu instid0(VALU_DEP_2) | instskip(NEXT) | instid1(VALU_DEP_1)
	v_clz_i32_u32_e32 v6, v18
	v_min_u32_e32 v6, 32, v6
	s_delay_alu instid0(VALU_DEP_1) | instskip(NEXT) | instid1(VALU_DEP_1)
	v_subrev_nc_u32_e32 v7, 28, v6
	v_lshlrev_b64_e32 v[20:21], v7, v[18:19]
	s_delay_alu instid0(VALU_DEP_1)
	v_dual_sub_nc_u32 v6, 29, v6 :: v_dual_bitop2_b32 v18, 7, v20 bitop3:0x40
; %bb.1635:                             ;   in Loop: Header=BB208_941 Depth=1
	s_or_b32 exec_lo, exec_lo, s15
	v_lshlrev_b32_e32 v7, 16, v14
	s_delay_alu instid0(VALU_DEP_2) | instskip(NEXT) | instid1(VALU_DEP_3)
	v_lshlrev_b32_e32 v13, 20, v18
	v_lshl_add_u32 v6, v6, 23, 0x3c000000
	s_delay_alu instid0(VALU_DEP_3) | instskip(NEXT) | instid1(VALU_DEP_1)
	v_and_b32_e32 v7, 0x80000000, v7
	v_or3_b32 v7, v13, v7, v6
	v_mov_b32_e32 v6, v19
.LBB208_1636:                           ;   in Loop: Header=BB208_941 Depth=1
	s_or_b32 exec_lo, exec_lo, s14
.LBB208_1637:                           ;   in Loop: Header=BB208_941 Depth=1
	s_delay_alu instid0(SALU_CYCLE_1)
	s_or_b32 exec_lo, exec_lo, s9
.LBB208_1638:                           ;   in Loop: Header=BB208_941 Depth=1
	s_delay_alu instid0(SALU_CYCLE_1) | instskip(SKIP_4) | instid1(VALU_DEP_3)
	s_or_b32 exec_lo, exec_lo, s8
	v_lshrrev_b32_e32 v15, 16, v14
	v_mov_b64_e32 v[20:21], 0
	v_mov_b64_e32 v[24:25], 0
	s_mov_b32 s8, exec_lo
	v_and_b32_e32 v13, 0xff, v15
	s_delay_alu instid0(VALU_DEP_1)
	v_cmpx_ne_u16_e32 0, v13
	s_cbranch_execz .LBB208_1646
; %bb.1639:                             ;   in Loop: Header=BB208_941 Depth=1
	v_mov_b64_e32 v[24:25], 0x80000000
	s_mov_b32 s9, exec_lo
	v_cmpx_ne_u16_e32 0x80, v13
	s_cbranch_execz .LBB208_1645
; %bb.1640:                             ;   in Loop: Header=BB208_941 Depth=1
	v_mov_b64_e32 v[24:25], 0x7f800001
	v_bfe_u32 v13, v14, 16, 7
	s_mov_b32 s14, exec_lo
	s_delay_alu instid0(VALU_DEP_1)
	v_cmpx_ne_u32_e32 0x7f, v13
	s_cbranch_execz .LBB208_1644
; %bb.1641:                             ;   in Loop: Header=BB208_941 Depth=1
	v_dual_lshrrev_b32 v24, 3, v13 :: v_dual_bitop2_b32 v18, 7, v15 bitop3:0x40
	s_mov_b32 s15, exec_lo
	v_cmpx_gt_u32_e32 8, v13
; %bb.1642:                             ;   in Loop: Header=BB208_941 Depth=1
	s_delay_alu instid0(VALU_DEP_2) | instskip(NEXT) | instid1(VALU_DEP_1)
	v_clz_i32_u32_e32 v13, v18
	v_min_u32_e32 v13, 32, v13
	s_delay_alu instid0(VALU_DEP_1) | instskip(NEXT) | instid1(VALU_DEP_1)
	v_subrev_nc_u32_e32 v24, 28, v13
	v_lshlrev_b64_e32 v[26:27], v24, v[18:19]
	s_delay_alu instid0(VALU_DEP_1)
	v_dual_sub_nc_u32 v24, 29, v13 :: v_dual_bitop2_b32 v18, 7, v26 bitop3:0x40
; %bb.1643:                             ;   in Loop: Header=BB208_941 Depth=1
	s_or_b32 exec_lo, exec_lo, s15
	s_delay_alu instid0(VALU_DEP_1) | instskip(NEXT) | instid1(VALU_DEP_2)
	v_dual_lshlrev_b32 v13, 24, v15 :: v_dual_lshlrev_b32 v15, 20, v18
	v_lshl_add_u32 v18, v24, 23, 0x3c000000
	s_delay_alu instid0(VALU_DEP_2) | instskip(NEXT) | instid1(VALU_DEP_1)
	v_and_b32_e32 v13, 0x80000000, v13
	v_or3_b32 v18, v15, v13, v18
	s_delay_alu instid0(VALU_DEP_1)
	v_mov_b64_e32 v[24:25], v[18:19]
.LBB208_1644:                           ;   in Loop: Header=BB208_941 Depth=1
	s_or_b32 exec_lo, exec_lo, s14
.LBB208_1645:                           ;   in Loop: Header=BB208_941 Depth=1
	s_delay_alu instid0(SALU_CYCLE_1)
	s_or_b32 exec_lo, exec_lo, s9
.LBB208_1646:                           ;   in Loop: Header=BB208_941 Depth=1
	s_delay_alu instid0(SALU_CYCLE_1) | instskip(NEXT) | instid1(SALU_CYCLE_1)
	s_or_b32 exec_lo, exec_lo, s8
	s_mov_b32 s8, exec_lo
	v_cmpx_lt_u32_e32 0xffffff, v14
	s_cbranch_execz .LBB208_1654
; %bb.1647:                             ;   in Loop: Header=BB208_941 Depth=1
	v_mov_b64_e32 v[20:21], 0x8000000000000000
	v_lshrrev_b32_e32 v15, 24, v14
	s_mov_b32 s9, exec_lo
	s_delay_alu instid0(VALU_DEP_1)
	v_cmpx_ne_u32_e32 0x80, v15
	s_cbranch_execz .LBB208_1653
; %bb.1648:                             ;   in Loop: Header=BB208_941 Depth=1
	v_mov_b64_e32 v[20:21], 0x7f80000100000000
	v_bfe_u32 v13, v14, 24, 7
	s_mov_b32 s14, exec_lo
	s_delay_alu instid0(VALU_DEP_1)
	v_cmpx_ne_u32_e32 0x7f, v13
	s_cbranch_execz .LBB208_1652
; %bb.1649:                             ;   in Loop: Header=BB208_941 Depth=1
	v_dual_lshrrev_b32 v14, 3, v13 :: v_dual_bitop2_b32 v18, 7, v15 bitop3:0x40
	s_mov_b32 s15, exec_lo
	v_cmpx_gt_u32_e32 8, v13
; %bb.1650:                             ;   in Loop: Header=BB208_941 Depth=1
	s_delay_alu instid0(VALU_DEP_2) | instskip(NEXT) | instid1(VALU_DEP_1)
	v_clz_i32_u32_e32 v13, v18
	v_min_u32_e32 v13, 32, v13
	s_delay_alu instid0(VALU_DEP_1) | instskip(NEXT) | instid1(VALU_DEP_1)
	v_subrev_nc_u32_e32 v14, 28, v13
	v_lshlrev_b64_e32 v[20:21], v14, v[18:19]
	s_delay_alu instid0(VALU_DEP_1)
	v_dual_sub_nc_u32 v14, 29, v13 :: v_dual_bitop2_b32 v18, 7, v20 bitop3:0x40
; %bb.1651:                             ;   in Loop: Header=BB208_941 Depth=1
	s_or_b32 exec_lo, exec_lo, s15
	s_delay_alu instid0(VALU_DEP_1) | instskip(NEXT) | instid1(VALU_DEP_2)
	v_dual_lshlrev_b32 v13, 24, v15 :: v_dual_lshlrev_b32 v15, 20, v18
	v_lshl_add_u32 v14, v14, 23, 0x3c000000
	v_mov_b32_e32 v20, v19
	s_delay_alu instid0(VALU_DEP_3) | instskip(NEXT) | instid1(VALU_DEP_1)
	v_and_b32_e32 v13, 0x80000000, v13
	v_or3_b32 v21, v15, v13, v14
.LBB208_1652:                           ;   in Loop: Header=BB208_941 Depth=1
	s_or_b32 exec_lo, exec_lo, s14
.LBB208_1653:                           ;   in Loop: Header=BB208_941 Depth=1
	s_delay_alu instid0(SALU_CYCLE_1)
	s_or_b32 exec_lo, exec_lo, s9
.LBB208_1654:                           ;   in Loop: Header=BB208_941 Depth=1
	s_delay_alu instid0(SALU_CYCLE_1) | instskip(SKIP_4) | instid1(VALU_DEP_3)
	s_or_b32 exec_lo, exec_lo, s8
	v_or_b32_e32 v7, v7, v9
	v_or_b32_e32 v6, v6, v8
	;; [unrolled: 1-line block ×4, first 2 shown]
	v_pk_mul_f32 v[66:67], v[70:71], v[6:7]
	s_delay_alu instid0(VALU_DEP_2)
	v_pk_mul_f32 v[64:65], v[70:71], v[8:9]
	s_and_saveexec_b32 s8, vcc_lo
	s_cbranch_execz .LBB208_1656
; %bb.1655:                             ;   in Loop: Header=BB208_941 Depth=1
	scratch_load_b64 v[6:7], off, s32 offset:192 ; 8-byte Folded Reload
	s_wait_loadcnt 0x0
	v_cmp_lt_i32_e64 s0, v83, v6
	s_delay_alu instid0(VALU_DEP_1) | instskip(SKIP_1) | instid1(VALU_DEP_1)
	v_cndmask_b32_e64 v66, 0, v66, s0
	v_cmp_lt_i32_e64 s0, v0, v6
	v_cndmask_b32_e64 v67, 0, v67, s0
	v_cmp_lt_i32_e64 s0, v84, v6
	s_delay_alu instid0(VALU_DEP_1) | instskip(SKIP_1) | instid1(VALU_DEP_1)
	v_cndmask_b32_e64 v64, 0, v64, s0
	v_cmp_lt_i32_e64 s0, v1, v6
	v_cndmask_b32_e64 v65, 0, v65, s0
.LBB208_1656:                           ;   in Loop: Header=BB208_941 Depth=1
	s_wait_xcnt 0x0
	s_or_b32 exec_lo, exec_lo, s8
	flat_load_b32 v14, v[80:81] offset:2688
	v_mov_b64_e32 v[6:7], 0
	v_mov_b64_e32 v[8:9], 0
	s_mov_b32 s8, exec_lo
	s_wait_loadcnt_dscnt 0x0
	v_and_b32_e32 v13, 0xff, v14
	s_wait_xcnt 0x0
	s_delay_alu instid0(VALU_DEP_1)
	v_cmpx_ne_u16_e32 0, v13
	s_cbranch_execz .LBB208_1664
; %bb.1657:                             ;   in Loop: Header=BB208_941 Depth=1
	v_mov_b64_e32 v[8:9], 0x80000000
	s_mov_b32 s9, exec_lo
	v_cmpx_ne_u16_e32 0x80, v13
	s_cbranch_execz .LBB208_1663
; %bb.1658:                             ;   in Loop: Header=BB208_941 Depth=1
	v_mov_b64_e32 v[8:9], 0x7f800001
	v_and_b32_e32 v13, 0x7f, v14
	s_mov_b32 s14, exec_lo
	s_delay_alu instid0(VALU_DEP_1)
	v_cmpx_ne_u32_e32 0x7f, v13
	s_cbranch_execz .LBB208_1662
; %bb.1659:                             ;   in Loop: Header=BB208_941 Depth=1
	v_dual_lshrrev_b32 v8, 3, v13 :: v_dual_bitop2_b32 v18, 7, v14 bitop3:0x40
	s_mov_b32 s15, exec_lo
	v_cmpx_gt_u32_e32 8, v13
; %bb.1660:                             ;   in Loop: Header=BB208_941 Depth=1
	s_delay_alu instid0(VALU_DEP_2) | instskip(NEXT) | instid1(VALU_DEP_1)
	v_clz_i32_u32_e32 v8, v18
	v_min_u32_e32 v8, 32, v8
	s_delay_alu instid0(VALU_DEP_1) | instskip(SKIP_1) | instid1(VALU_DEP_2)
	v_subrev_nc_u32_e32 v9, 28, v8
	v_sub_nc_u32_e32 v8, 29, v8
	v_lshlrev_b64_e32 v[20:21], v9, v[18:19]
	s_delay_alu instid0(VALU_DEP_1)
	v_and_b32_e32 v18, 7, v20
; %bb.1661:                             ;   in Loop: Header=BB208_941 Depth=1
	s_or_b32 exec_lo, exec_lo, s15
	v_lshlrev_b32_e32 v9, 24, v14
	s_delay_alu instid0(VALU_DEP_2) | instskip(SKIP_1) | instid1(VALU_DEP_3)
	v_lshlrev_b32_e32 v13, 20, v18
	v_lshl_add_u32 v8, v8, 23, 0x3c000000
	v_and_b32_e32 v9, 0x80000000, v9
	s_delay_alu instid0(VALU_DEP_1) | instskip(NEXT) | instid1(VALU_DEP_1)
	v_or3_b32 v18, v13, v9, v8
	v_mov_b64_e32 v[8:9], v[18:19]
.LBB208_1662:                           ;   in Loop: Header=BB208_941 Depth=1
	s_or_b32 exec_lo, exec_lo, s14
.LBB208_1663:                           ;   in Loop: Header=BB208_941 Depth=1
	s_delay_alu instid0(SALU_CYCLE_1)
	s_or_b32 exec_lo, exec_lo, s9
.LBB208_1664:                           ;   in Loop: Header=BB208_941 Depth=1
	s_delay_alu instid0(SALU_CYCLE_1) | instskip(SKIP_2) | instid1(VALU_DEP_1)
	s_or_b32 exec_lo, exec_lo, s8
	v_lshrrev_b16 v15, 8, v14
	s_mov_b32 s8, exec_lo
	v_cmpx_ne_u16_e32 0, v15
	s_cbranch_execz .LBB208_1672
; %bb.1665:                             ;   in Loop: Header=BB208_941 Depth=1
	v_mov_b64_e32 v[6:7], 0x8000000000000000
	s_mov_b32 s9, exec_lo
	v_cmpx_ne_u16_e32 0x80, v15
	s_cbranch_execz .LBB208_1671
; %bb.1666:                             ;   in Loop: Header=BB208_941 Depth=1
	v_and_b32_e32 v15, 0xffff, v15
	v_mov_b64_e32 v[6:7], 0x7f80000100000000
	s_mov_b32 s14, exec_lo
	s_delay_alu instid0(VALU_DEP_2) | instskip(NEXT) | instid1(VALU_DEP_1)
	v_and_b32_e32 v13, 0x7f, v15
	v_cmpx_ne_u32_e32 0x7f, v13
	s_cbranch_execz .LBB208_1670
; %bb.1667:                             ;   in Loop: Header=BB208_941 Depth=1
	v_dual_lshrrev_b32 v6, 3, v13 :: v_dual_bitop2_b32 v18, 7, v15 bitop3:0x40
	s_mov_b32 s15, exec_lo
	v_cmpx_gt_u32_e32 8, v13
; %bb.1668:                             ;   in Loop: Header=BB208_941 Depth=1
	s_delay_alu instid0(VALU_DEP_2) | instskip(NEXT) | instid1(VALU_DEP_1)
	v_clz_i32_u32_e32 v6, v18
	v_min_u32_e32 v6, 32, v6
	s_delay_alu instid0(VALU_DEP_1) | instskip(NEXT) | instid1(VALU_DEP_1)
	v_subrev_nc_u32_e32 v7, 28, v6
	v_lshlrev_b64_e32 v[20:21], v7, v[18:19]
	s_delay_alu instid0(VALU_DEP_1)
	v_dual_sub_nc_u32 v6, 29, v6 :: v_dual_bitop2_b32 v18, 7, v20 bitop3:0x40
; %bb.1669:                             ;   in Loop: Header=BB208_941 Depth=1
	s_or_b32 exec_lo, exec_lo, s15
	v_lshlrev_b32_e32 v7, 16, v14
	s_delay_alu instid0(VALU_DEP_2) | instskip(NEXT) | instid1(VALU_DEP_3)
	v_lshlrev_b32_e32 v13, 20, v18
	v_lshl_add_u32 v6, v6, 23, 0x3c000000
	s_delay_alu instid0(VALU_DEP_3) | instskip(NEXT) | instid1(VALU_DEP_1)
	v_and_b32_e32 v7, 0x80000000, v7
	v_or3_b32 v7, v13, v7, v6
	v_mov_b32_e32 v6, v19
.LBB208_1670:                           ;   in Loop: Header=BB208_941 Depth=1
	s_or_b32 exec_lo, exec_lo, s14
.LBB208_1671:                           ;   in Loop: Header=BB208_941 Depth=1
	s_delay_alu instid0(SALU_CYCLE_1)
	s_or_b32 exec_lo, exec_lo, s9
.LBB208_1672:                           ;   in Loop: Header=BB208_941 Depth=1
	s_delay_alu instid0(SALU_CYCLE_1) | instskip(SKIP_4) | instid1(VALU_DEP_3)
	s_or_b32 exec_lo, exec_lo, s8
	v_lshrrev_b32_e32 v15, 16, v14
	v_mov_b64_e32 v[20:21], 0
	v_mov_b64_e32 v[24:25], 0
	s_mov_b32 s8, exec_lo
	v_and_b32_e32 v13, 0xff, v15
	s_delay_alu instid0(VALU_DEP_1)
	v_cmpx_ne_u16_e32 0, v13
	s_cbranch_execz .LBB208_1680
; %bb.1673:                             ;   in Loop: Header=BB208_941 Depth=1
	v_mov_b64_e32 v[24:25], 0x80000000
	s_mov_b32 s9, exec_lo
	v_cmpx_ne_u16_e32 0x80, v13
	s_cbranch_execz .LBB208_1679
; %bb.1674:                             ;   in Loop: Header=BB208_941 Depth=1
	v_mov_b64_e32 v[24:25], 0x7f800001
	v_bfe_u32 v13, v14, 16, 7
	s_mov_b32 s14, exec_lo
	s_delay_alu instid0(VALU_DEP_1)
	v_cmpx_ne_u32_e32 0x7f, v13
	s_cbranch_execz .LBB208_1678
; %bb.1675:                             ;   in Loop: Header=BB208_941 Depth=1
	v_dual_lshrrev_b32 v24, 3, v13 :: v_dual_bitop2_b32 v18, 7, v15 bitop3:0x40
	s_mov_b32 s15, exec_lo
	v_cmpx_gt_u32_e32 8, v13
; %bb.1676:                             ;   in Loop: Header=BB208_941 Depth=1
	s_delay_alu instid0(VALU_DEP_2) | instskip(NEXT) | instid1(VALU_DEP_1)
	v_clz_i32_u32_e32 v13, v18
	v_min_u32_e32 v13, 32, v13
	s_delay_alu instid0(VALU_DEP_1) | instskip(NEXT) | instid1(VALU_DEP_1)
	v_subrev_nc_u32_e32 v24, 28, v13
	v_lshlrev_b64_e32 v[26:27], v24, v[18:19]
	s_delay_alu instid0(VALU_DEP_1)
	v_dual_sub_nc_u32 v24, 29, v13 :: v_dual_bitop2_b32 v18, 7, v26 bitop3:0x40
; %bb.1677:                             ;   in Loop: Header=BB208_941 Depth=1
	s_or_b32 exec_lo, exec_lo, s15
	s_delay_alu instid0(VALU_DEP_1) | instskip(NEXT) | instid1(VALU_DEP_2)
	v_dual_lshlrev_b32 v13, 24, v15 :: v_dual_lshlrev_b32 v15, 20, v18
	v_lshl_add_u32 v18, v24, 23, 0x3c000000
	s_delay_alu instid0(VALU_DEP_2) | instskip(NEXT) | instid1(VALU_DEP_1)
	v_and_b32_e32 v13, 0x80000000, v13
	v_or3_b32 v18, v15, v13, v18
	s_delay_alu instid0(VALU_DEP_1)
	v_mov_b64_e32 v[24:25], v[18:19]
.LBB208_1678:                           ;   in Loop: Header=BB208_941 Depth=1
	s_or_b32 exec_lo, exec_lo, s14
.LBB208_1679:                           ;   in Loop: Header=BB208_941 Depth=1
	s_delay_alu instid0(SALU_CYCLE_1)
	s_or_b32 exec_lo, exec_lo, s9
.LBB208_1680:                           ;   in Loop: Header=BB208_941 Depth=1
	s_delay_alu instid0(SALU_CYCLE_1) | instskip(NEXT) | instid1(SALU_CYCLE_1)
	s_or_b32 exec_lo, exec_lo, s8
	s_mov_b32 s8, exec_lo
	v_cmpx_lt_u32_e32 0xffffff, v14
	s_cbranch_execz .LBB208_1688
; %bb.1681:                             ;   in Loop: Header=BB208_941 Depth=1
	v_mov_b64_e32 v[20:21], 0x8000000000000000
	v_lshrrev_b32_e32 v15, 24, v14
	s_mov_b32 s9, exec_lo
	s_delay_alu instid0(VALU_DEP_1)
	v_cmpx_ne_u32_e32 0x80, v15
	s_cbranch_execz .LBB208_1687
; %bb.1682:                             ;   in Loop: Header=BB208_941 Depth=1
	v_mov_b64_e32 v[20:21], 0x7f80000100000000
	v_bfe_u32 v13, v14, 24, 7
	s_mov_b32 s14, exec_lo
	s_delay_alu instid0(VALU_DEP_1)
	v_cmpx_ne_u32_e32 0x7f, v13
	s_cbranch_execz .LBB208_1686
; %bb.1683:                             ;   in Loop: Header=BB208_941 Depth=1
	v_dual_lshrrev_b32 v14, 3, v13 :: v_dual_bitop2_b32 v18, 7, v15 bitop3:0x40
	s_mov_b32 s15, exec_lo
	v_cmpx_gt_u32_e32 8, v13
; %bb.1684:                             ;   in Loop: Header=BB208_941 Depth=1
	s_delay_alu instid0(VALU_DEP_2) | instskip(NEXT) | instid1(VALU_DEP_1)
	v_clz_i32_u32_e32 v13, v18
	v_min_u32_e32 v13, 32, v13
	s_delay_alu instid0(VALU_DEP_1) | instskip(NEXT) | instid1(VALU_DEP_1)
	v_subrev_nc_u32_e32 v14, 28, v13
	v_lshlrev_b64_e32 v[20:21], v14, v[18:19]
	s_delay_alu instid0(VALU_DEP_1)
	v_dual_sub_nc_u32 v14, 29, v13 :: v_dual_bitop2_b32 v18, 7, v20 bitop3:0x40
; %bb.1685:                             ;   in Loop: Header=BB208_941 Depth=1
	s_or_b32 exec_lo, exec_lo, s15
	s_delay_alu instid0(VALU_DEP_1) | instskip(NEXT) | instid1(VALU_DEP_2)
	v_dual_lshlrev_b32 v13, 24, v15 :: v_dual_lshlrev_b32 v15, 20, v18
	v_lshl_add_u32 v14, v14, 23, 0x3c000000
	v_mov_b32_e32 v20, v19
	s_delay_alu instid0(VALU_DEP_3) | instskip(NEXT) | instid1(VALU_DEP_1)
	v_and_b32_e32 v13, 0x80000000, v13
	v_or3_b32 v21, v15, v13, v14
.LBB208_1686:                           ;   in Loop: Header=BB208_941 Depth=1
	s_or_b32 exec_lo, exec_lo, s14
.LBB208_1687:                           ;   in Loop: Header=BB208_941 Depth=1
	s_delay_alu instid0(SALU_CYCLE_1)
	s_or_b32 exec_lo, exec_lo, s9
.LBB208_1688:                           ;   in Loop: Header=BB208_941 Depth=1
	s_delay_alu instid0(SALU_CYCLE_1) | instskip(SKIP_4) | instid1(VALU_DEP_3)
	s_or_b32 exec_lo, exec_lo, s8
	v_or_b32_e32 v7, v7, v9
	v_or_b32_e32 v6, v6, v8
	;; [unrolled: 1-line block ×4, first 2 shown]
	v_pk_mul_f32 v[20:21], v[70:71], v[6:7]
	s_delay_alu instid0(VALU_DEP_2)
	v_pk_mul_f32 v[8:9], v[70:71], v[8:9]
	s_and_saveexec_b32 s8, vcc_lo
	s_cbranch_execz .LBB208_1690
; %bb.1689:                             ;   in Loop: Header=BB208_941 Depth=1
	scratch_load_b64 v[6:7], off, s32 offset:192 ; 8-byte Folded Reload
	s_wait_loadcnt 0x0
	v_cmp_lt_i32_e64 s0, v83, v6
	s_delay_alu instid0(VALU_DEP_1) | instskip(SKIP_1) | instid1(VALU_DEP_1)
	v_cndmask_b32_e64 v20, 0, v20, s0
	v_cmp_lt_i32_e64 s0, v0, v6
	v_cndmask_b32_e64 v21, 0, v21, s0
	v_cmp_lt_i32_e64 s0, v84, v6
	s_delay_alu instid0(VALU_DEP_1) | instskip(SKIP_1) | instid1(VALU_DEP_1)
	v_cndmask_b32_e64 v8, 0, v8, s0
	v_cmp_lt_i32_e64 s0, v1, v6
	v_cndmask_b32_e64 v9, 0, v9, s0
.LBB208_1690:                           ;   in Loop: Header=BB208_941 Depth=1
	s_wait_xcnt 0x0
	s_or_b32 exec_lo, exec_lo, s8
	flat_load_b32 v14, v[80:81] offset:2816
	v_mov_b64_e32 v[6:7], 0
	v_mov_b64_e32 v[24:25], 0
	s_mov_b32 s8, exec_lo
	s_wait_loadcnt_dscnt 0x0
	v_and_b32_e32 v13, 0xff, v14
	s_wait_xcnt 0x0
	s_delay_alu instid0(VALU_DEP_1)
	v_cmpx_ne_u16_e32 0, v13
	s_cbranch_execz .LBB208_1698
; %bb.1691:                             ;   in Loop: Header=BB208_941 Depth=1
	v_mov_b64_e32 v[24:25], 0x80000000
	s_mov_b32 s9, exec_lo
	v_cmpx_ne_u16_e32 0x80, v13
	s_cbranch_execz .LBB208_1697
; %bb.1692:                             ;   in Loop: Header=BB208_941 Depth=1
	v_mov_b64_e32 v[24:25], 0x7f800001
	v_and_b32_e32 v13, 0x7f, v14
	s_mov_b32 s14, exec_lo
	s_delay_alu instid0(VALU_DEP_1)
	v_cmpx_ne_u32_e32 0x7f, v13
	s_cbranch_execz .LBB208_1696
; %bb.1693:                             ;   in Loop: Header=BB208_941 Depth=1
	v_dual_lshrrev_b32 v15, 3, v13 :: v_dual_bitop2_b32 v18, 7, v14 bitop3:0x40
	s_mov_b32 s15, exec_lo
	v_cmpx_gt_u32_e32 8, v13
; %bb.1694:                             ;   in Loop: Header=BB208_941 Depth=1
	s_delay_alu instid0(VALU_DEP_2) | instskip(NEXT) | instid1(VALU_DEP_1)
	v_clz_i32_u32_e32 v13, v18
	v_min_u32_e32 v13, 32, v13
	s_delay_alu instid0(VALU_DEP_1) | instskip(NEXT) | instid1(VALU_DEP_1)
	v_subrev_nc_u32_e32 v15, 28, v13
	v_lshlrev_b64_e32 v[24:25], v15, v[18:19]
	s_delay_alu instid0(VALU_DEP_1)
	v_dual_sub_nc_u32 v15, 29, v13 :: v_dual_bitop2_b32 v18, 7, v24 bitop3:0x40
; %bb.1695:                             ;   in Loop: Header=BB208_941 Depth=1
	s_or_b32 exec_lo, exec_lo, s15
	v_lshlrev_b32_e32 v13, 24, v14
	s_delay_alu instid0(VALU_DEP_2) | instskip(NEXT) | instid1(VALU_DEP_3)
	v_lshlrev_b32_e32 v18, 20, v18
	v_lshl_add_u32 v15, v15, 23, 0x3c000000
	s_delay_alu instid0(VALU_DEP_3) | instskip(NEXT) | instid1(VALU_DEP_1)
	v_and_b32_e32 v13, 0x80000000, v13
	v_or3_b32 v18, v18, v13, v15
	s_delay_alu instid0(VALU_DEP_1)
	v_mov_b64_e32 v[24:25], v[18:19]
.LBB208_1696:                           ;   in Loop: Header=BB208_941 Depth=1
	s_or_b32 exec_lo, exec_lo, s14
.LBB208_1697:                           ;   in Loop: Header=BB208_941 Depth=1
	s_delay_alu instid0(SALU_CYCLE_1)
	s_or_b32 exec_lo, exec_lo, s9
.LBB208_1698:                           ;   in Loop: Header=BB208_941 Depth=1
	s_delay_alu instid0(SALU_CYCLE_1) | instskip(SKIP_2) | instid1(VALU_DEP_1)
	s_or_b32 exec_lo, exec_lo, s8
	v_lshrrev_b16 v15, 8, v14
	s_mov_b32 s8, exec_lo
	v_cmpx_ne_u16_e32 0, v15
	s_cbranch_execz .LBB208_1706
; %bb.1699:                             ;   in Loop: Header=BB208_941 Depth=1
	v_mov_b64_e32 v[6:7], 0x8000000000000000
	s_mov_b32 s9, exec_lo
	v_cmpx_ne_u16_e32 0x80, v15
	s_cbranch_execz .LBB208_1705
; %bb.1700:                             ;   in Loop: Header=BB208_941 Depth=1
	v_and_b32_e32 v15, 0xffff, v15
	v_mov_b64_e32 v[6:7], 0x7f80000100000000
	s_mov_b32 s14, exec_lo
	s_delay_alu instid0(VALU_DEP_2) | instskip(NEXT) | instid1(VALU_DEP_1)
	v_and_b32_e32 v13, 0x7f, v15
	v_cmpx_ne_u32_e32 0x7f, v13
	s_cbranch_execz .LBB208_1704
; %bb.1701:                             ;   in Loop: Header=BB208_941 Depth=1
	v_dual_lshrrev_b32 v6, 3, v13 :: v_dual_bitop2_b32 v18, 7, v15 bitop3:0x40
	s_mov_b32 s15, exec_lo
	v_cmpx_gt_u32_e32 8, v13
; %bb.1702:                             ;   in Loop: Header=BB208_941 Depth=1
	s_delay_alu instid0(VALU_DEP_2) | instskip(NEXT) | instid1(VALU_DEP_1)
	v_clz_i32_u32_e32 v6, v18
	v_min_u32_e32 v6, 32, v6
	s_delay_alu instid0(VALU_DEP_1) | instskip(SKIP_1) | instid1(VALU_DEP_2)
	v_subrev_nc_u32_e32 v7, 28, v6
	v_sub_nc_u32_e32 v6, 29, v6
	v_lshlrev_b64_e32 v[26:27], v7, v[18:19]
	s_delay_alu instid0(VALU_DEP_1)
	v_and_b32_e32 v18, 7, v26
; %bb.1703:                             ;   in Loop: Header=BB208_941 Depth=1
	s_or_b32 exec_lo, exec_lo, s15
	v_lshlrev_b32_e32 v7, 16, v14
	s_delay_alu instid0(VALU_DEP_2) | instskip(SKIP_1) | instid1(VALU_DEP_3)
	v_lshlrev_b32_e32 v13, 20, v18
	v_lshl_add_u32 v6, v6, 23, 0x3c000000
	v_and_b32_e32 v7, 0x80000000, v7
	s_delay_alu instid0(VALU_DEP_1)
	v_or3_b32 v7, v13, v7, v6
	v_mov_b32_e32 v6, v19
.LBB208_1704:                           ;   in Loop: Header=BB208_941 Depth=1
	s_or_b32 exec_lo, exec_lo, s14
.LBB208_1705:                           ;   in Loop: Header=BB208_941 Depth=1
	s_delay_alu instid0(SALU_CYCLE_1)
	s_or_b32 exec_lo, exec_lo, s9
.LBB208_1706:                           ;   in Loop: Header=BB208_941 Depth=1
	s_delay_alu instid0(SALU_CYCLE_1) | instskip(SKIP_4) | instid1(VALU_DEP_3)
	s_or_b32 exec_lo, exec_lo, s8
	v_lshrrev_b32_e32 v15, 16, v14
	v_mov_b64_e32 v[26:27], 0
	v_mov_b64_e32 v[28:29], 0
	s_mov_b32 s8, exec_lo
	v_and_b32_e32 v13, 0xff, v15
	s_delay_alu instid0(VALU_DEP_1)
	v_cmpx_ne_u16_e32 0, v13
	s_cbranch_execz .LBB208_1714
; %bb.1707:                             ;   in Loop: Header=BB208_941 Depth=1
	v_mov_b64_e32 v[28:29], 0x80000000
	s_mov_b32 s9, exec_lo
	v_cmpx_ne_u16_e32 0x80, v13
	s_cbranch_execz .LBB208_1713
; %bb.1708:                             ;   in Loop: Header=BB208_941 Depth=1
	v_mov_b64_e32 v[28:29], 0x7f800001
	v_bfe_u32 v13, v14, 16, 7
	s_mov_b32 s14, exec_lo
	s_delay_alu instid0(VALU_DEP_1)
	v_cmpx_ne_u32_e32 0x7f, v13
	s_cbranch_execz .LBB208_1712
; %bb.1709:                             ;   in Loop: Header=BB208_941 Depth=1
	v_dual_lshrrev_b32 v28, 3, v13 :: v_dual_bitop2_b32 v18, 7, v15 bitop3:0x40
	s_mov_b32 s15, exec_lo
	v_cmpx_gt_u32_e32 8, v13
; %bb.1710:                             ;   in Loop: Header=BB208_941 Depth=1
	s_delay_alu instid0(VALU_DEP_2) | instskip(NEXT) | instid1(VALU_DEP_1)
	v_clz_i32_u32_e32 v13, v18
	v_min_u32_e32 v13, 32, v13
	s_delay_alu instid0(VALU_DEP_1) | instskip(NEXT) | instid1(VALU_DEP_1)
	v_subrev_nc_u32_e32 v28, 28, v13
	v_lshlrev_b64_e32 v[30:31], v28, v[18:19]
	s_delay_alu instid0(VALU_DEP_1)
	v_dual_sub_nc_u32 v28, 29, v13 :: v_dual_bitop2_b32 v18, 7, v30 bitop3:0x40
; %bb.1711:                             ;   in Loop: Header=BB208_941 Depth=1
	s_or_b32 exec_lo, exec_lo, s15
	s_delay_alu instid0(VALU_DEP_1) | instskip(NEXT) | instid1(VALU_DEP_2)
	v_dual_lshlrev_b32 v13, 24, v15 :: v_dual_lshlrev_b32 v15, 20, v18
	v_lshl_add_u32 v18, v28, 23, 0x3c000000
	s_delay_alu instid0(VALU_DEP_2) | instskip(NEXT) | instid1(VALU_DEP_1)
	v_and_b32_e32 v13, 0x80000000, v13
	v_or3_b32 v18, v15, v13, v18
	s_delay_alu instid0(VALU_DEP_1)
	v_mov_b64_e32 v[28:29], v[18:19]
.LBB208_1712:                           ;   in Loop: Header=BB208_941 Depth=1
	s_or_b32 exec_lo, exec_lo, s14
.LBB208_1713:                           ;   in Loop: Header=BB208_941 Depth=1
	s_delay_alu instid0(SALU_CYCLE_1)
	s_or_b32 exec_lo, exec_lo, s9
.LBB208_1714:                           ;   in Loop: Header=BB208_941 Depth=1
	s_delay_alu instid0(SALU_CYCLE_1) | instskip(NEXT) | instid1(SALU_CYCLE_1)
	s_or_b32 exec_lo, exec_lo, s8
	s_mov_b32 s8, exec_lo
	v_cmpx_lt_u32_e32 0xffffff, v14
	s_cbranch_execz .LBB208_1722
; %bb.1715:                             ;   in Loop: Header=BB208_941 Depth=1
	v_mov_b64_e32 v[26:27], 0x8000000000000000
	v_lshrrev_b32_e32 v15, 24, v14
	s_mov_b32 s9, exec_lo
	s_delay_alu instid0(VALU_DEP_1)
	v_cmpx_ne_u32_e32 0x80, v15
	s_cbranch_execz .LBB208_1721
; %bb.1716:                             ;   in Loop: Header=BB208_941 Depth=1
	v_mov_b64_e32 v[26:27], 0x7f80000100000000
	v_bfe_u32 v13, v14, 24, 7
	s_mov_b32 s14, exec_lo
	s_delay_alu instid0(VALU_DEP_1)
	v_cmpx_ne_u32_e32 0x7f, v13
	s_cbranch_execz .LBB208_1720
; %bb.1717:                             ;   in Loop: Header=BB208_941 Depth=1
	v_dual_lshrrev_b32 v14, 3, v13 :: v_dual_bitop2_b32 v18, 7, v15 bitop3:0x40
	s_mov_b32 s15, exec_lo
	v_cmpx_gt_u32_e32 8, v13
; %bb.1718:                             ;   in Loop: Header=BB208_941 Depth=1
	s_delay_alu instid0(VALU_DEP_2) | instskip(NEXT) | instid1(VALU_DEP_1)
	v_clz_i32_u32_e32 v13, v18
	v_min_u32_e32 v13, 32, v13
	s_delay_alu instid0(VALU_DEP_1) | instskip(NEXT) | instid1(VALU_DEP_1)
	v_subrev_nc_u32_e32 v14, 28, v13
	v_lshlrev_b64_e32 v[26:27], v14, v[18:19]
	s_delay_alu instid0(VALU_DEP_1)
	v_dual_sub_nc_u32 v14, 29, v13 :: v_dual_bitop2_b32 v18, 7, v26 bitop3:0x40
; %bb.1719:                             ;   in Loop: Header=BB208_941 Depth=1
	s_or_b32 exec_lo, exec_lo, s15
	s_delay_alu instid0(VALU_DEP_1) | instskip(NEXT) | instid1(VALU_DEP_2)
	v_dual_lshlrev_b32 v13, 24, v15 :: v_dual_lshlrev_b32 v15, 20, v18
	v_lshl_add_u32 v14, v14, 23, 0x3c000000
	v_mov_b32_e32 v26, v19
	s_delay_alu instid0(VALU_DEP_3) | instskip(NEXT) | instid1(VALU_DEP_1)
	v_and_b32_e32 v13, 0x80000000, v13
	v_or3_b32 v27, v15, v13, v14
.LBB208_1720:                           ;   in Loop: Header=BB208_941 Depth=1
	s_or_b32 exec_lo, exec_lo, s14
.LBB208_1721:                           ;   in Loop: Header=BB208_941 Depth=1
	s_delay_alu instid0(SALU_CYCLE_1)
	s_or_b32 exec_lo, exec_lo, s9
.LBB208_1722:                           ;   in Loop: Header=BB208_941 Depth=1
	s_delay_alu instid0(SALU_CYCLE_1) | instskip(SKIP_4) | instid1(VALU_DEP_3)
	s_or_b32 exec_lo, exec_lo, s8
	v_or_b32_e32 v7, v7, v25
	v_or_b32_e32 v6, v6, v24
	;; [unrolled: 1-line block ×4, first 2 shown]
	v_pk_mul_f32 v[26:27], v[70:71], v[6:7]
	s_delay_alu instid0(VALU_DEP_2)
	v_pk_mul_f32 v[24:25], v[70:71], v[14:15]
	s_and_saveexec_b32 s8, vcc_lo
	s_cbranch_execz .LBB208_1724
; %bb.1723:                             ;   in Loop: Header=BB208_941 Depth=1
	scratch_load_b64 v[6:7], off, s32 offset:192 ; 8-byte Folded Reload
	s_wait_loadcnt 0x0
	v_cmp_lt_i32_e64 s0, v83, v6
	s_delay_alu instid0(VALU_DEP_1) | instskip(SKIP_1) | instid1(VALU_DEP_1)
	v_cndmask_b32_e64 v26, 0, v26, s0
	v_cmp_lt_i32_e64 s0, v0, v6
	v_cndmask_b32_e64 v27, 0, v27, s0
	v_cmp_lt_i32_e64 s0, v84, v6
	s_delay_alu instid0(VALU_DEP_1) | instskip(SKIP_1) | instid1(VALU_DEP_1)
	v_cndmask_b32_e64 v24, 0, v24, s0
	v_cmp_lt_i32_e64 s0, v1, v6
	v_cndmask_b32_e64 v25, 0, v25, s0
.LBB208_1724:                           ;   in Loop: Header=BB208_941 Depth=1
	s_wait_xcnt 0x0
	s_or_b32 exec_lo, exec_lo, s8
	flat_load_b32 v14, v[80:81] offset:2944
	v_mov_b64_e32 v[6:7], 0
	v_mov_b64_e32 v[28:29], 0
	s_mov_b32 s8, exec_lo
	s_wait_loadcnt_dscnt 0x0
	v_and_b32_e32 v13, 0xff, v14
	s_wait_xcnt 0x0
	s_delay_alu instid0(VALU_DEP_1)
	v_cmpx_ne_u16_e32 0, v13
	s_cbranch_execz .LBB208_1732
; %bb.1725:                             ;   in Loop: Header=BB208_941 Depth=1
	v_mov_b64_e32 v[28:29], 0x80000000
	s_mov_b32 s9, exec_lo
	v_cmpx_ne_u16_e32 0x80, v13
	s_cbranch_execz .LBB208_1731
; %bb.1726:                             ;   in Loop: Header=BB208_941 Depth=1
	v_mov_b64_e32 v[28:29], 0x7f800001
	v_and_b32_e32 v13, 0x7f, v14
	s_mov_b32 s14, exec_lo
	s_delay_alu instid0(VALU_DEP_1)
	v_cmpx_ne_u32_e32 0x7f, v13
	s_cbranch_execz .LBB208_1730
; %bb.1727:                             ;   in Loop: Header=BB208_941 Depth=1
	v_dual_lshrrev_b32 v15, 3, v13 :: v_dual_bitop2_b32 v18, 7, v14 bitop3:0x40
	s_mov_b32 s15, exec_lo
	v_cmpx_gt_u32_e32 8, v13
; %bb.1728:                             ;   in Loop: Header=BB208_941 Depth=1
	s_delay_alu instid0(VALU_DEP_2) | instskip(NEXT) | instid1(VALU_DEP_1)
	v_clz_i32_u32_e32 v13, v18
	v_min_u32_e32 v13, 32, v13
	s_delay_alu instid0(VALU_DEP_1) | instskip(NEXT) | instid1(VALU_DEP_1)
	v_subrev_nc_u32_e32 v15, 28, v13
	v_lshlrev_b64_e32 v[28:29], v15, v[18:19]
	s_delay_alu instid0(VALU_DEP_1)
	v_dual_sub_nc_u32 v15, 29, v13 :: v_dual_bitop2_b32 v18, 7, v28 bitop3:0x40
; %bb.1729:                             ;   in Loop: Header=BB208_941 Depth=1
	s_or_b32 exec_lo, exec_lo, s15
	v_lshlrev_b32_e32 v13, 24, v14
	s_delay_alu instid0(VALU_DEP_2) | instskip(NEXT) | instid1(VALU_DEP_3)
	v_lshlrev_b32_e32 v18, 20, v18
	v_lshl_add_u32 v15, v15, 23, 0x3c000000
	s_delay_alu instid0(VALU_DEP_3) | instskip(NEXT) | instid1(VALU_DEP_1)
	v_and_b32_e32 v13, 0x80000000, v13
	v_or3_b32 v18, v18, v13, v15
	s_delay_alu instid0(VALU_DEP_1)
	v_mov_b64_e32 v[28:29], v[18:19]
.LBB208_1730:                           ;   in Loop: Header=BB208_941 Depth=1
	s_or_b32 exec_lo, exec_lo, s14
.LBB208_1731:                           ;   in Loop: Header=BB208_941 Depth=1
	s_delay_alu instid0(SALU_CYCLE_1)
	s_or_b32 exec_lo, exec_lo, s9
.LBB208_1732:                           ;   in Loop: Header=BB208_941 Depth=1
	s_delay_alu instid0(SALU_CYCLE_1) | instskip(SKIP_2) | instid1(VALU_DEP_1)
	s_or_b32 exec_lo, exec_lo, s8
	v_lshrrev_b16 v15, 8, v14
	s_mov_b32 s8, exec_lo
	v_cmpx_ne_u16_e32 0, v15
	s_cbranch_execz .LBB208_1740
; %bb.1733:                             ;   in Loop: Header=BB208_941 Depth=1
	v_mov_b64_e32 v[6:7], 0x8000000000000000
	s_mov_b32 s9, exec_lo
	v_cmpx_ne_u16_e32 0x80, v15
	s_cbranch_execz .LBB208_1739
; %bb.1734:                             ;   in Loop: Header=BB208_941 Depth=1
	v_and_b32_e32 v15, 0xffff, v15
	v_mov_b64_e32 v[6:7], 0x7f80000100000000
	s_mov_b32 s14, exec_lo
	s_delay_alu instid0(VALU_DEP_2) | instskip(NEXT) | instid1(VALU_DEP_1)
	v_and_b32_e32 v13, 0x7f, v15
	v_cmpx_ne_u32_e32 0x7f, v13
	s_cbranch_execz .LBB208_1738
; %bb.1735:                             ;   in Loop: Header=BB208_941 Depth=1
	v_dual_lshrrev_b32 v6, 3, v13 :: v_dual_bitop2_b32 v18, 7, v15 bitop3:0x40
	s_mov_b32 s15, exec_lo
	v_cmpx_gt_u32_e32 8, v13
; %bb.1736:                             ;   in Loop: Header=BB208_941 Depth=1
	s_delay_alu instid0(VALU_DEP_2) | instskip(NEXT) | instid1(VALU_DEP_1)
	v_clz_i32_u32_e32 v6, v18
	v_min_u32_e32 v6, 32, v6
	s_delay_alu instid0(VALU_DEP_1) | instskip(SKIP_1) | instid1(VALU_DEP_2)
	v_subrev_nc_u32_e32 v7, 28, v6
	v_sub_nc_u32_e32 v6, 29, v6
	v_lshlrev_b64_e32 v[30:31], v7, v[18:19]
	s_delay_alu instid0(VALU_DEP_1)
	v_and_b32_e32 v18, 7, v30
; %bb.1737:                             ;   in Loop: Header=BB208_941 Depth=1
	s_or_b32 exec_lo, exec_lo, s15
	v_lshlrev_b32_e32 v7, 16, v14
	s_delay_alu instid0(VALU_DEP_2) | instskip(SKIP_1) | instid1(VALU_DEP_3)
	v_lshlrev_b32_e32 v13, 20, v18
	v_lshl_add_u32 v6, v6, 23, 0x3c000000
	v_and_b32_e32 v7, 0x80000000, v7
	s_delay_alu instid0(VALU_DEP_1)
	v_or3_b32 v7, v13, v7, v6
	v_mov_b32_e32 v6, v19
.LBB208_1738:                           ;   in Loop: Header=BB208_941 Depth=1
	s_or_b32 exec_lo, exec_lo, s14
.LBB208_1739:                           ;   in Loop: Header=BB208_941 Depth=1
	s_delay_alu instid0(SALU_CYCLE_1)
	s_or_b32 exec_lo, exec_lo, s9
.LBB208_1740:                           ;   in Loop: Header=BB208_941 Depth=1
	s_delay_alu instid0(SALU_CYCLE_1) | instskip(SKIP_4) | instid1(VALU_DEP_3)
	s_or_b32 exec_lo, exec_lo, s8
	v_lshrrev_b32_e32 v15, 16, v14
	v_mov_b64_e32 v[30:31], 0
	v_mov_b64_e32 v[32:33], 0
	s_mov_b32 s8, exec_lo
	v_and_b32_e32 v13, 0xff, v15
	s_delay_alu instid0(VALU_DEP_1)
	v_cmpx_ne_u16_e32 0, v13
	s_cbranch_execz .LBB208_1748
; %bb.1741:                             ;   in Loop: Header=BB208_941 Depth=1
	v_mov_b64_e32 v[32:33], 0x80000000
	s_mov_b32 s9, exec_lo
	v_cmpx_ne_u16_e32 0x80, v13
	s_cbranch_execz .LBB208_1747
; %bb.1742:                             ;   in Loop: Header=BB208_941 Depth=1
	v_mov_b64_e32 v[32:33], 0x7f800001
	v_bfe_u32 v13, v14, 16, 7
	s_mov_b32 s14, exec_lo
	s_delay_alu instid0(VALU_DEP_1)
	v_cmpx_ne_u32_e32 0x7f, v13
	s_cbranch_execz .LBB208_1746
; %bb.1743:                             ;   in Loop: Header=BB208_941 Depth=1
	v_dual_lshrrev_b32 v32, 3, v13 :: v_dual_bitop2_b32 v18, 7, v15 bitop3:0x40
	s_mov_b32 s15, exec_lo
	v_cmpx_gt_u32_e32 8, v13
; %bb.1744:                             ;   in Loop: Header=BB208_941 Depth=1
	s_delay_alu instid0(VALU_DEP_2) | instskip(NEXT) | instid1(VALU_DEP_1)
	v_clz_i32_u32_e32 v13, v18
	v_min_u32_e32 v13, 32, v13
	s_delay_alu instid0(VALU_DEP_1) | instskip(NEXT) | instid1(VALU_DEP_1)
	v_subrev_nc_u32_e32 v32, 28, v13
	v_lshlrev_b64_e32 v[34:35], v32, v[18:19]
	s_delay_alu instid0(VALU_DEP_1)
	v_dual_sub_nc_u32 v32, 29, v13 :: v_dual_bitop2_b32 v18, 7, v34 bitop3:0x40
; %bb.1745:                             ;   in Loop: Header=BB208_941 Depth=1
	s_or_b32 exec_lo, exec_lo, s15
	s_delay_alu instid0(VALU_DEP_1) | instskip(NEXT) | instid1(VALU_DEP_2)
	v_dual_lshlrev_b32 v13, 24, v15 :: v_dual_lshlrev_b32 v15, 20, v18
	v_lshl_add_u32 v18, v32, 23, 0x3c000000
	s_delay_alu instid0(VALU_DEP_2) | instskip(NEXT) | instid1(VALU_DEP_1)
	v_and_b32_e32 v13, 0x80000000, v13
	v_or3_b32 v18, v15, v13, v18
	s_delay_alu instid0(VALU_DEP_1)
	v_mov_b64_e32 v[32:33], v[18:19]
.LBB208_1746:                           ;   in Loop: Header=BB208_941 Depth=1
	s_or_b32 exec_lo, exec_lo, s14
.LBB208_1747:                           ;   in Loop: Header=BB208_941 Depth=1
	s_delay_alu instid0(SALU_CYCLE_1)
	s_or_b32 exec_lo, exec_lo, s9
.LBB208_1748:                           ;   in Loop: Header=BB208_941 Depth=1
	s_delay_alu instid0(SALU_CYCLE_1) | instskip(NEXT) | instid1(SALU_CYCLE_1)
	s_or_b32 exec_lo, exec_lo, s8
	s_mov_b32 s8, exec_lo
	v_cmpx_lt_u32_e32 0xffffff, v14
	s_cbranch_execz .LBB208_1756
; %bb.1749:                             ;   in Loop: Header=BB208_941 Depth=1
	v_mov_b64_e32 v[30:31], 0x8000000000000000
	v_lshrrev_b32_e32 v15, 24, v14
	s_mov_b32 s9, exec_lo
	s_delay_alu instid0(VALU_DEP_1)
	v_cmpx_ne_u32_e32 0x80, v15
	s_cbranch_execz .LBB208_1755
; %bb.1750:                             ;   in Loop: Header=BB208_941 Depth=1
	v_mov_b64_e32 v[30:31], 0x7f80000100000000
	v_bfe_u32 v13, v14, 24, 7
	s_mov_b32 s14, exec_lo
	s_delay_alu instid0(VALU_DEP_1)
	v_cmpx_ne_u32_e32 0x7f, v13
	s_cbranch_execz .LBB208_1754
; %bb.1751:                             ;   in Loop: Header=BB208_941 Depth=1
	v_dual_lshrrev_b32 v14, 3, v13 :: v_dual_bitop2_b32 v18, 7, v15 bitop3:0x40
	s_mov_b32 s15, exec_lo
	v_cmpx_gt_u32_e32 8, v13
; %bb.1752:                             ;   in Loop: Header=BB208_941 Depth=1
	s_delay_alu instid0(VALU_DEP_2) | instskip(NEXT) | instid1(VALU_DEP_1)
	v_clz_i32_u32_e32 v13, v18
	v_min_u32_e32 v13, 32, v13
	s_delay_alu instid0(VALU_DEP_1) | instskip(NEXT) | instid1(VALU_DEP_1)
	v_subrev_nc_u32_e32 v14, 28, v13
	v_lshlrev_b64_e32 v[30:31], v14, v[18:19]
	s_delay_alu instid0(VALU_DEP_1)
	v_dual_sub_nc_u32 v14, 29, v13 :: v_dual_bitop2_b32 v18, 7, v30 bitop3:0x40
; %bb.1753:                             ;   in Loop: Header=BB208_941 Depth=1
	s_or_b32 exec_lo, exec_lo, s15
	s_delay_alu instid0(VALU_DEP_1) | instskip(NEXT) | instid1(VALU_DEP_2)
	v_dual_lshlrev_b32 v13, 24, v15 :: v_dual_lshlrev_b32 v15, 20, v18
	v_lshl_add_u32 v14, v14, 23, 0x3c000000
	v_mov_b32_e32 v30, v19
	s_delay_alu instid0(VALU_DEP_3) | instskip(NEXT) | instid1(VALU_DEP_1)
	v_and_b32_e32 v13, 0x80000000, v13
	v_or3_b32 v31, v15, v13, v14
.LBB208_1754:                           ;   in Loop: Header=BB208_941 Depth=1
	s_or_b32 exec_lo, exec_lo, s14
.LBB208_1755:                           ;   in Loop: Header=BB208_941 Depth=1
	s_delay_alu instid0(SALU_CYCLE_1)
	s_or_b32 exec_lo, exec_lo, s9
.LBB208_1756:                           ;   in Loop: Header=BB208_941 Depth=1
	s_delay_alu instid0(SALU_CYCLE_1) | instskip(SKIP_4) | instid1(VALU_DEP_3)
	s_or_b32 exec_lo, exec_lo, s8
	v_or_b32_e32 v7, v7, v29
	v_or_b32_e32 v6, v6, v28
	;; [unrolled: 1-line block ×4, first 2 shown]
	v_pk_mul_f32 v[30:31], v[70:71], v[6:7]
	s_delay_alu instid0(VALU_DEP_2)
	v_pk_mul_f32 v[28:29], v[70:71], v[14:15]
	s_and_saveexec_b32 s8, vcc_lo
	s_cbranch_execz .LBB208_1758
; %bb.1757:                             ;   in Loop: Header=BB208_941 Depth=1
	scratch_load_b64 v[6:7], off, s32 offset:192 ; 8-byte Folded Reload
	s_wait_loadcnt 0x0
	v_cmp_lt_i32_e64 s0, v83, v6
	s_delay_alu instid0(VALU_DEP_1) | instskip(SKIP_1) | instid1(VALU_DEP_1)
	v_cndmask_b32_e64 v30, 0, v30, s0
	v_cmp_lt_i32_e64 s0, v0, v6
	v_cndmask_b32_e64 v31, 0, v31, s0
	v_cmp_lt_i32_e64 s0, v84, v6
	s_delay_alu instid0(VALU_DEP_1) | instskip(SKIP_1) | instid1(VALU_DEP_1)
	v_cndmask_b32_e64 v28, 0, v28, s0
	v_cmp_lt_i32_e64 s0, v1, v6
	v_cndmask_b32_e64 v29, 0, v29, s0
.LBB208_1758:                           ;   in Loop: Header=BB208_941 Depth=1
	s_wait_xcnt 0x0
	s_or_b32 exec_lo, exec_lo, s8
	flat_load_b32 v14, v[80:81] offset:3072
	v_mov_b64_e32 v[6:7], 0
	v_mov_b64_e32 v[32:33], 0
	s_mov_b32 s8, exec_lo
	s_wait_loadcnt_dscnt 0x0
	v_and_b32_e32 v13, 0xff, v14
	s_wait_xcnt 0x0
	s_delay_alu instid0(VALU_DEP_1)
	v_cmpx_ne_u16_e32 0, v13
	s_cbranch_execz .LBB208_1766
; %bb.1759:                             ;   in Loop: Header=BB208_941 Depth=1
	v_mov_b64_e32 v[32:33], 0x80000000
	s_mov_b32 s9, exec_lo
	v_cmpx_ne_u16_e32 0x80, v13
	s_cbranch_execz .LBB208_1765
; %bb.1760:                             ;   in Loop: Header=BB208_941 Depth=1
	v_mov_b64_e32 v[32:33], 0x7f800001
	v_and_b32_e32 v13, 0x7f, v14
	s_mov_b32 s14, exec_lo
	s_delay_alu instid0(VALU_DEP_1)
	v_cmpx_ne_u32_e32 0x7f, v13
	s_cbranch_execz .LBB208_1764
; %bb.1761:                             ;   in Loop: Header=BB208_941 Depth=1
	v_dual_lshrrev_b32 v15, 3, v13 :: v_dual_bitop2_b32 v18, 7, v14 bitop3:0x40
	s_mov_b32 s15, exec_lo
	v_cmpx_gt_u32_e32 8, v13
; %bb.1762:                             ;   in Loop: Header=BB208_941 Depth=1
	s_delay_alu instid0(VALU_DEP_2) | instskip(NEXT) | instid1(VALU_DEP_1)
	v_clz_i32_u32_e32 v13, v18
	v_min_u32_e32 v13, 32, v13
	s_delay_alu instid0(VALU_DEP_1) | instskip(NEXT) | instid1(VALU_DEP_1)
	v_subrev_nc_u32_e32 v15, 28, v13
	v_lshlrev_b64_e32 v[32:33], v15, v[18:19]
	s_delay_alu instid0(VALU_DEP_1)
	v_dual_sub_nc_u32 v15, 29, v13 :: v_dual_bitop2_b32 v18, 7, v32 bitop3:0x40
; %bb.1763:                             ;   in Loop: Header=BB208_941 Depth=1
	s_or_b32 exec_lo, exec_lo, s15
	v_lshlrev_b32_e32 v13, 24, v14
	s_delay_alu instid0(VALU_DEP_2) | instskip(NEXT) | instid1(VALU_DEP_3)
	v_lshlrev_b32_e32 v18, 20, v18
	v_lshl_add_u32 v15, v15, 23, 0x3c000000
	s_delay_alu instid0(VALU_DEP_3) | instskip(NEXT) | instid1(VALU_DEP_1)
	v_and_b32_e32 v13, 0x80000000, v13
	v_or3_b32 v18, v18, v13, v15
	s_delay_alu instid0(VALU_DEP_1)
	v_mov_b64_e32 v[32:33], v[18:19]
.LBB208_1764:                           ;   in Loop: Header=BB208_941 Depth=1
	s_or_b32 exec_lo, exec_lo, s14
.LBB208_1765:                           ;   in Loop: Header=BB208_941 Depth=1
	s_delay_alu instid0(SALU_CYCLE_1)
	s_or_b32 exec_lo, exec_lo, s9
.LBB208_1766:                           ;   in Loop: Header=BB208_941 Depth=1
	s_delay_alu instid0(SALU_CYCLE_1) | instskip(SKIP_2) | instid1(VALU_DEP_1)
	s_or_b32 exec_lo, exec_lo, s8
	v_lshrrev_b16 v15, 8, v14
	s_mov_b32 s8, exec_lo
	v_cmpx_ne_u16_e32 0, v15
	s_cbranch_execz .LBB208_1774
; %bb.1767:                             ;   in Loop: Header=BB208_941 Depth=1
	v_mov_b64_e32 v[6:7], 0x8000000000000000
	s_mov_b32 s9, exec_lo
	v_cmpx_ne_u16_e32 0x80, v15
	s_cbranch_execz .LBB208_1773
; %bb.1768:                             ;   in Loop: Header=BB208_941 Depth=1
	v_and_b32_e32 v15, 0xffff, v15
	v_mov_b64_e32 v[6:7], 0x7f80000100000000
	s_mov_b32 s14, exec_lo
	s_delay_alu instid0(VALU_DEP_2) | instskip(NEXT) | instid1(VALU_DEP_1)
	v_and_b32_e32 v13, 0x7f, v15
	v_cmpx_ne_u32_e32 0x7f, v13
	s_cbranch_execz .LBB208_1772
; %bb.1769:                             ;   in Loop: Header=BB208_941 Depth=1
	v_dual_lshrrev_b32 v6, 3, v13 :: v_dual_bitop2_b32 v18, 7, v15 bitop3:0x40
	s_mov_b32 s15, exec_lo
	v_cmpx_gt_u32_e32 8, v13
; %bb.1770:                             ;   in Loop: Header=BB208_941 Depth=1
	s_delay_alu instid0(VALU_DEP_2) | instskip(NEXT) | instid1(VALU_DEP_1)
	v_clz_i32_u32_e32 v6, v18
	v_min_u32_e32 v6, 32, v6
	s_delay_alu instid0(VALU_DEP_1) | instskip(SKIP_1) | instid1(VALU_DEP_2)
	v_subrev_nc_u32_e32 v7, 28, v6
	v_sub_nc_u32_e32 v6, 29, v6
	v_lshlrev_b64_e32 v[34:35], v7, v[18:19]
	s_delay_alu instid0(VALU_DEP_1)
	v_and_b32_e32 v18, 7, v34
; %bb.1771:                             ;   in Loop: Header=BB208_941 Depth=1
	s_or_b32 exec_lo, exec_lo, s15
	v_lshlrev_b32_e32 v7, 16, v14
	s_delay_alu instid0(VALU_DEP_2) | instskip(SKIP_1) | instid1(VALU_DEP_3)
	v_lshlrev_b32_e32 v13, 20, v18
	v_lshl_add_u32 v6, v6, 23, 0x3c000000
	v_and_b32_e32 v7, 0x80000000, v7
	s_delay_alu instid0(VALU_DEP_1)
	v_or3_b32 v7, v13, v7, v6
	v_mov_b32_e32 v6, v19
.LBB208_1772:                           ;   in Loop: Header=BB208_941 Depth=1
	s_or_b32 exec_lo, exec_lo, s14
.LBB208_1773:                           ;   in Loop: Header=BB208_941 Depth=1
	s_delay_alu instid0(SALU_CYCLE_1)
	s_or_b32 exec_lo, exec_lo, s9
.LBB208_1774:                           ;   in Loop: Header=BB208_941 Depth=1
	s_delay_alu instid0(SALU_CYCLE_1) | instskip(SKIP_4) | instid1(VALU_DEP_3)
	s_or_b32 exec_lo, exec_lo, s8
	v_lshrrev_b32_e32 v15, 16, v14
	v_mov_b64_e32 v[34:35], 0
	v_mov_b64_e32 v[36:37], 0
	s_mov_b32 s8, exec_lo
	v_and_b32_e32 v13, 0xff, v15
	s_delay_alu instid0(VALU_DEP_1)
	v_cmpx_ne_u16_e32 0, v13
	s_cbranch_execz .LBB208_1782
; %bb.1775:                             ;   in Loop: Header=BB208_941 Depth=1
	v_mov_b64_e32 v[36:37], 0x80000000
	s_mov_b32 s9, exec_lo
	v_cmpx_ne_u16_e32 0x80, v13
	s_cbranch_execz .LBB208_1781
; %bb.1776:                             ;   in Loop: Header=BB208_941 Depth=1
	v_mov_b64_e32 v[36:37], 0x7f800001
	v_bfe_u32 v13, v14, 16, 7
	s_mov_b32 s14, exec_lo
	s_delay_alu instid0(VALU_DEP_1)
	v_cmpx_ne_u32_e32 0x7f, v13
	s_cbranch_execz .LBB208_1780
; %bb.1777:                             ;   in Loop: Header=BB208_941 Depth=1
	v_dual_lshrrev_b32 v36, 3, v13 :: v_dual_bitop2_b32 v18, 7, v15 bitop3:0x40
	s_mov_b32 s15, exec_lo
	v_cmpx_gt_u32_e32 8, v13
; %bb.1778:                             ;   in Loop: Header=BB208_941 Depth=1
	s_delay_alu instid0(VALU_DEP_2) | instskip(NEXT) | instid1(VALU_DEP_1)
	v_clz_i32_u32_e32 v13, v18
	v_min_u32_e32 v13, 32, v13
	s_delay_alu instid0(VALU_DEP_1) | instskip(NEXT) | instid1(VALU_DEP_1)
	v_subrev_nc_u32_e32 v36, 28, v13
	v_lshlrev_b64_e32 v[38:39], v36, v[18:19]
	s_delay_alu instid0(VALU_DEP_1)
	v_dual_sub_nc_u32 v36, 29, v13 :: v_dual_bitop2_b32 v18, 7, v38 bitop3:0x40
; %bb.1779:                             ;   in Loop: Header=BB208_941 Depth=1
	s_or_b32 exec_lo, exec_lo, s15
	s_delay_alu instid0(VALU_DEP_1) | instskip(NEXT) | instid1(VALU_DEP_2)
	v_dual_lshlrev_b32 v13, 24, v15 :: v_dual_lshlrev_b32 v15, 20, v18
	v_lshl_add_u32 v18, v36, 23, 0x3c000000
	s_delay_alu instid0(VALU_DEP_2) | instskip(NEXT) | instid1(VALU_DEP_1)
	v_and_b32_e32 v13, 0x80000000, v13
	v_or3_b32 v18, v15, v13, v18
	s_delay_alu instid0(VALU_DEP_1)
	v_mov_b64_e32 v[36:37], v[18:19]
.LBB208_1780:                           ;   in Loop: Header=BB208_941 Depth=1
	s_or_b32 exec_lo, exec_lo, s14
.LBB208_1781:                           ;   in Loop: Header=BB208_941 Depth=1
	s_delay_alu instid0(SALU_CYCLE_1)
	s_or_b32 exec_lo, exec_lo, s9
.LBB208_1782:                           ;   in Loop: Header=BB208_941 Depth=1
	s_delay_alu instid0(SALU_CYCLE_1) | instskip(NEXT) | instid1(SALU_CYCLE_1)
	s_or_b32 exec_lo, exec_lo, s8
	s_mov_b32 s8, exec_lo
	v_cmpx_lt_u32_e32 0xffffff, v14
	s_cbranch_execz .LBB208_1790
; %bb.1783:                             ;   in Loop: Header=BB208_941 Depth=1
	v_mov_b64_e32 v[34:35], 0x8000000000000000
	v_lshrrev_b32_e32 v15, 24, v14
	s_mov_b32 s9, exec_lo
	s_delay_alu instid0(VALU_DEP_1)
	v_cmpx_ne_u32_e32 0x80, v15
	s_cbranch_execz .LBB208_1789
; %bb.1784:                             ;   in Loop: Header=BB208_941 Depth=1
	v_mov_b64_e32 v[34:35], 0x7f80000100000000
	v_bfe_u32 v13, v14, 24, 7
	s_mov_b32 s14, exec_lo
	s_delay_alu instid0(VALU_DEP_1)
	v_cmpx_ne_u32_e32 0x7f, v13
	s_cbranch_execz .LBB208_1788
; %bb.1785:                             ;   in Loop: Header=BB208_941 Depth=1
	v_dual_lshrrev_b32 v14, 3, v13 :: v_dual_bitop2_b32 v18, 7, v15 bitop3:0x40
	s_mov_b32 s15, exec_lo
	v_cmpx_gt_u32_e32 8, v13
; %bb.1786:                             ;   in Loop: Header=BB208_941 Depth=1
	s_delay_alu instid0(VALU_DEP_2) | instskip(NEXT) | instid1(VALU_DEP_1)
	v_clz_i32_u32_e32 v13, v18
	v_min_u32_e32 v13, 32, v13
	s_delay_alu instid0(VALU_DEP_1) | instskip(NEXT) | instid1(VALU_DEP_1)
	v_subrev_nc_u32_e32 v14, 28, v13
	v_lshlrev_b64_e32 v[34:35], v14, v[18:19]
	s_delay_alu instid0(VALU_DEP_1)
	v_dual_sub_nc_u32 v14, 29, v13 :: v_dual_bitop2_b32 v18, 7, v34 bitop3:0x40
; %bb.1787:                             ;   in Loop: Header=BB208_941 Depth=1
	s_or_b32 exec_lo, exec_lo, s15
	s_delay_alu instid0(VALU_DEP_1) | instskip(NEXT) | instid1(VALU_DEP_2)
	v_dual_lshlrev_b32 v13, 24, v15 :: v_dual_lshlrev_b32 v15, 20, v18
	v_lshl_add_u32 v14, v14, 23, 0x3c000000
	v_mov_b32_e32 v34, v19
	s_delay_alu instid0(VALU_DEP_3) | instskip(NEXT) | instid1(VALU_DEP_1)
	v_and_b32_e32 v13, 0x80000000, v13
	v_or3_b32 v35, v15, v13, v14
.LBB208_1788:                           ;   in Loop: Header=BB208_941 Depth=1
	s_or_b32 exec_lo, exec_lo, s14
.LBB208_1789:                           ;   in Loop: Header=BB208_941 Depth=1
	s_delay_alu instid0(SALU_CYCLE_1)
	s_or_b32 exec_lo, exec_lo, s9
.LBB208_1790:                           ;   in Loop: Header=BB208_941 Depth=1
	s_delay_alu instid0(SALU_CYCLE_1) | instskip(SKIP_4) | instid1(VALU_DEP_3)
	s_or_b32 exec_lo, exec_lo, s8
	v_or_b32_e32 v7, v7, v33
	v_or_b32_e32 v6, v6, v32
	;; [unrolled: 1-line block ×4, first 2 shown]
	v_pk_mul_f32 v[6:7], v[70:71], v[6:7]
	s_delay_alu instid0(VALU_DEP_2)
	v_pk_mul_f32 v[32:33], v[70:71], v[14:15]
	s_and_saveexec_b32 s8, vcc_lo
	s_cbranch_execz .LBB208_1792
; %bb.1791:                             ;   in Loop: Header=BB208_941 Depth=1
	scratch_load_b64 v[12:13], off, s32 offset:192 ; 8-byte Folded Reload
	s_wait_loadcnt 0x0
	v_cmp_lt_i32_e64 s0, v83, v12
	s_delay_alu instid0(VALU_DEP_1) | instskip(SKIP_1) | instid1(VALU_DEP_1)
	v_cndmask_b32_e64 v6, 0, v6, s0
	v_cmp_lt_i32_e64 s0, v0, v12
	v_cndmask_b32_e64 v7, 0, v7, s0
	v_cmp_lt_i32_e64 s0, v84, v12
	s_delay_alu instid0(VALU_DEP_1) | instskip(SKIP_1) | instid1(VALU_DEP_1)
	v_cndmask_b32_e64 v32, 0, v32, s0
	v_cmp_lt_i32_e64 s0, v1, v12
	v_cndmask_b32_e64 v33, 0, v33, s0
.LBB208_1792:                           ;   in Loop: Header=BB208_941 Depth=1
	s_wait_xcnt 0x0
	s_or_b32 exec_lo, exec_lo, s8
	flat_load_b32 v14, v[80:81] offset:3200
	v_mov_b64_e32 v[34:35], 0
	v_mov_b64_e32 v[36:37], 0
	s_mov_b32 s8, exec_lo
	s_wait_loadcnt_dscnt 0x0
	v_and_b32_e32 v13, 0xff, v14
	s_wait_xcnt 0x0
	s_delay_alu instid0(VALU_DEP_1)
	v_cmpx_ne_u16_e32 0, v13
	s_cbranch_execz .LBB208_1800
; %bb.1793:                             ;   in Loop: Header=BB208_941 Depth=1
	v_mov_b64_e32 v[36:37], 0x80000000
	s_mov_b32 s9, exec_lo
	v_cmpx_ne_u16_e32 0x80, v13
	s_cbranch_execz .LBB208_1799
; %bb.1794:                             ;   in Loop: Header=BB208_941 Depth=1
	v_mov_b64_e32 v[36:37], 0x7f800001
	v_and_b32_e32 v13, 0x7f, v14
	s_mov_b32 s14, exec_lo
	s_delay_alu instid0(VALU_DEP_1)
	v_cmpx_ne_u32_e32 0x7f, v13
	s_cbranch_execz .LBB208_1798
; %bb.1795:                             ;   in Loop: Header=BB208_941 Depth=1
	v_dual_lshrrev_b32 v15, 3, v13 :: v_dual_bitop2_b32 v18, 7, v14 bitop3:0x40
	s_mov_b32 s15, exec_lo
	v_cmpx_gt_u32_e32 8, v13
; %bb.1796:                             ;   in Loop: Header=BB208_941 Depth=1
	s_delay_alu instid0(VALU_DEP_2) | instskip(NEXT) | instid1(VALU_DEP_1)
	v_clz_i32_u32_e32 v13, v18
	v_min_u32_e32 v13, 32, v13
	s_delay_alu instid0(VALU_DEP_1) | instskip(NEXT) | instid1(VALU_DEP_1)
	v_subrev_nc_u32_e32 v15, 28, v13
	v_lshlrev_b64_e32 v[36:37], v15, v[18:19]
	s_delay_alu instid0(VALU_DEP_1)
	v_dual_sub_nc_u32 v15, 29, v13 :: v_dual_bitop2_b32 v18, 7, v36 bitop3:0x40
; %bb.1797:                             ;   in Loop: Header=BB208_941 Depth=1
	s_or_b32 exec_lo, exec_lo, s15
	v_lshlrev_b32_e32 v13, 24, v14
	s_delay_alu instid0(VALU_DEP_2) | instskip(NEXT) | instid1(VALU_DEP_3)
	v_lshlrev_b32_e32 v18, 20, v18
	v_lshl_add_u32 v15, v15, 23, 0x3c000000
	s_delay_alu instid0(VALU_DEP_3) | instskip(NEXT) | instid1(VALU_DEP_1)
	v_and_b32_e32 v13, 0x80000000, v13
	v_or3_b32 v18, v18, v13, v15
	s_delay_alu instid0(VALU_DEP_1)
	v_mov_b64_e32 v[36:37], v[18:19]
.LBB208_1798:                           ;   in Loop: Header=BB208_941 Depth=1
	s_or_b32 exec_lo, exec_lo, s14
.LBB208_1799:                           ;   in Loop: Header=BB208_941 Depth=1
	s_delay_alu instid0(SALU_CYCLE_1)
	s_or_b32 exec_lo, exec_lo, s9
.LBB208_1800:                           ;   in Loop: Header=BB208_941 Depth=1
	s_delay_alu instid0(SALU_CYCLE_1) | instskip(SKIP_2) | instid1(VALU_DEP_1)
	s_or_b32 exec_lo, exec_lo, s8
	v_lshrrev_b16 v15, 8, v14
	s_mov_b32 s8, exec_lo
	v_cmpx_ne_u16_e32 0, v15
	s_cbranch_execz .LBB208_1808
; %bb.1801:                             ;   in Loop: Header=BB208_941 Depth=1
	v_mov_b64_e32 v[34:35], 0x8000000000000000
	s_mov_b32 s9, exec_lo
	v_cmpx_ne_u16_e32 0x80, v15
	s_cbranch_execz .LBB208_1807
; %bb.1802:                             ;   in Loop: Header=BB208_941 Depth=1
	v_and_b32_e32 v15, 0xffff, v15
	v_mov_b64_e32 v[34:35], 0x7f80000100000000
	s_mov_b32 s14, exec_lo
	s_delay_alu instid0(VALU_DEP_2) | instskip(NEXT) | instid1(VALU_DEP_1)
	v_and_b32_e32 v13, 0x7f, v15
	v_cmpx_ne_u32_e32 0x7f, v13
	s_cbranch_execz .LBB208_1806
; %bb.1803:                             ;   in Loop: Header=BB208_941 Depth=1
	v_dual_lshrrev_b32 v15, 3, v13 :: v_dual_bitop2_b32 v18, 7, v15 bitop3:0x40
	s_mov_b32 s15, exec_lo
	v_cmpx_gt_u32_e32 8, v13
; %bb.1804:                             ;   in Loop: Header=BB208_941 Depth=1
	s_delay_alu instid0(VALU_DEP_2) | instskip(NEXT) | instid1(VALU_DEP_1)
	v_clz_i32_u32_e32 v13, v18
	v_min_u32_e32 v13, 32, v13
	s_delay_alu instid0(VALU_DEP_1) | instskip(NEXT) | instid1(VALU_DEP_1)
	v_subrev_nc_u32_e32 v15, 28, v13
	v_lshlrev_b64_e32 v[34:35], v15, v[18:19]
	s_delay_alu instid0(VALU_DEP_1)
	v_dual_sub_nc_u32 v15, 29, v13 :: v_dual_bitop2_b32 v18, 7, v34 bitop3:0x40
; %bb.1805:                             ;   in Loop: Header=BB208_941 Depth=1
	s_or_b32 exec_lo, exec_lo, s15
	v_dual_mov_b32 v34, v19 :: v_dual_lshlrev_b32 v13, 16, v14
	s_delay_alu instid0(VALU_DEP_2) | instskip(NEXT) | instid1(VALU_DEP_3)
	v_lshlrev_b32_e32 v18, 20, v18
	v_lshl_add_u32 v15, v15, 23, 0x3c000000
	s_delay_alu instid0(VALU_DEP_3) | instskip(NEXT) | instid1(VALU_DEP_1)
	v_and_b32_e32 v13, 0x80000000, v13
	v_or3_b32 v35, v18, v13, v15
.LBB208_1806:                           ;   in Loop: Header=BB208_941 Depth=1
	s_or_b32 exec_lo, exec_lo, s14
.LBB208_1807:                           ;   in Loop: Header=BB208_941 Depth=1
	s_delay_alu instid0(SALU_CYCLE_1)
	s_or_b32 exec_lo, exec_lo, s9
.LBB208_1808:                           ;   in Loop: Header=BB208_941 Depth=1
	s_delay_alu instid0(SALU_CYCLE_1) | instskip(SKIP_4) | instid1(VALU_DEP_3)
	s_or_b32 exec_lo, exec_lo, s8
	v_lshrrev_b32_e32 v15, 16, v14
	v_mov_b64_e32 v[38:39], 0
	v_mov_b64_e32 v[48:49], 0
	s_mov_b32 s8, exec_lo
	v_and_b32_e32 v13, 0xff, v15
	s_delay_alu instid0(VALU_DEP_1)
	v_cmpx_ne_u16_e32 0, v13
	s_cbranch_execz .LBB208_1816
; %bb.1809:                             ;   in Loop: Header=BB208_941 Depth=1
	v_mov_b64_e32 v[48:49], 0x80000000
	s_mov_b32 s9, exec_lo
	v_cmpx_ne_u16_e32 0x80, v13
	s_cbranch_execz .LBB208_1815
; %bb.1810:                             ;   in Loop: Header=BB208_941 Depth=1
	v_mov_b64_e32 v[48:49], 0x7f800001
	v_bfe_u32 v13, v14, 16, 7
	s_mov_b32 s14, exec_lo
	s_delay_alu instid0(VALU_DEP_1)
	v_cmpx_ne_u32_e32 0x7f, v13
	s_cbranch_execz .LBB208_1814
; %bb.1811:                             ;   in Loop: Header=BB208_941 Depth=1
	v_dual_lshrrev_b32 v48, 3, v13 :: v_dual_bitop2_b32 v18, 7, v15 bitop3:0x40
	s_mov_b32 s15, exec_lo
	v_cmpx_gt_u32_e32 8, v13
; %bb.1812:                             ;   in Loop: Header=BB208_941 Depth=1
	s_delay_alu instid0(VALU_DEP_2) | instskip(NEXT) | instid1(VALU_DEP_1)
	v_clz_i32_u32_e32 v13, v18
	v_min_u32_e32 v13, 32, v13
	s_delay_alu instid0(VALU_DEP_1) | instskip(NEXT) | instid1(VALU_DEP_1)
	v_subrev_nc_u32_e32 v48, 28, v13
	v_lshlrev_b64_e32 v[52:53], v48, v[18:19]
	s_delay_alu instid0(VALU_DEP_1)
	v_dual_sub_nc_u32 v48, 29, v13 :: v_dual_bitop2_b32 v18, 7, v52 bitop3:0x40
; %bb.1813:                             ;   in Loop: Header=BB208_941 Depth=1
	s_or_b32 exec_lo, exec_lo, s15
	s_delay_alu instid0(VALU_DEP_1) | instskip(NEXT) | instid1(VALU_DEP_2)
	v_dual_lshlrev_b32 v13, 24, v15 :: v_dual_lshlrev_b32 v15, 20, v18
	v_lshl_add_u32 v18, v48, 23, 0x3c000000
	s_delay_alu instid0(VALU_DEP_2) | instskip(NEXT) | instid1(VALU_DEP_1)
	v_and_b32_e32 v13, 0x80000000, v13
	v_or3_b32 v18, v15, v13, v18
	s_delay_alu instid0(VALU_DEP_1)
	v_mov_b64_e32 v[48:49], v[18:19]
.LBB208_1814:                           ;   in Loop: Header=BB208_941 Depth=1
	s_or_b32 exec_lo, exec_lo, s14
.LBB208_1815:                           ;   in Loop: Header=BB208_941 Depth=1
	s_delay_alu instid0(SALU_CYCLE_1)
	s_or_b32 exec_lo, exec_lo, s9
.LBB208_1816:                           ;   in Loop: Header=BB208_941 Depth=1
	s_delay_alu instid0(SALU_CYCLE_1) | instskip(NEXT) | instid1(SALU_CYCLE_1)
	s_or_b32 exec_lo, exec_lo, s8
	s_mov_b32 s8, exec_lo
	v_cmpx_lt_u32_e32 0xffffff, v14
	s_cbranch_execz .LBB208_1824
; %bb.1817:                             ;   in Loop: Header=BB208_941 Depth=1
	v_mov_b64_e32 v[38:39], 0x8000000000000000
	v_lshrrev_b32_e32 v15, 24, v14
	s_mov_b32 s9, exec_lo
	s_delay_alu instid0(VALU_DEP_1)
	v_cmpx_ne_u32_e32 0x80, v15
	s_cbranch_execz .LBB208_1823
; %bb.1818:                             ;   in Loop: Header=BB208_941 Depth=1
	v_mov_b64_e32 v[38:39], 0x7f80000100000000
	v_bfe_u32 v13, v14, 24, 7
	s_mov_b32 s14, exec_lo
	s_delay_alu instid0(VALU_DEP_1)
	v_cmpx_ne_u32_e32 0x7f, v13
	s_cbranch_execz .LBB208_1822
; %bb.1819:                             ;   in Loop: Header=BB208_941 Depth=1
	v_dual_lshrrev_b32 v14, 3, v13 :: v_dual_bitop2_b32 v18, 7, v15 bitop3:0x40
	s_mov_b32 s15, exec_lo
	v_cmpx_gt_u32_e32 8, v13
; %bb.1820:                             ;   in Loop: Header=BB208_941 Depth=1
	s_delay_alu instid0(VALU_DEP_2) | instskip(NEXT) | instid1(VALU_DEP_1)
	v_clz_i32_u32_e32 v13, v18
	v_min_u32_e32 v13, 32, v13
	s_delay_alu instid0(VALU_DEP_1) | instskip(NEXT) | instid1(VALU_DEP_1)
	v_subrev_nc_u32_e32 v14, 28, v13
	v_lshlrev_b64_e32 v[38:39], v14, v[18:19]
	s_delay_alu instid0(VALU_DEP_1)
	v_dual_sub_nc_u32 v14, 29, v13 :: v_dual_bitop2_b32 v18, 7, v38 bitop3:0x40
; %bb.1821:                             ;   in Loop: Header=BB208_941 Depth=1
	s_or_b32 exec_lo, exec_lo, s15
	s_delay_alu instid0(VALU_DEP_1) | instskip(NEXT) | instid1(VALU_DEP_2)
	v_dual_lshlrev_b32 v13, 24, v15 :: v_dual_lshlrev_b32 v15, 20, v18
	v_lshl_add_u32 v14, v14, 23, 0x3c000000
	v_mov_b32_e32 v38, v19
	s_delay_alu instid0(VALU_DEP_3) | instskip(NEXT) | instid1(VALU_DEP_1)
	v_and_b32_e32 v13, 0x80000000, v13
	v_or3_b32 v39, v15, v13, v14
.LBB208_1822:                           ;   in Loop: Header=BB208_941 Depth=1
	s_or_b32 exec_lo, exec_lo, s14
.LBB208_1823:                           ;   in Loop: Header=BB208_941 Depth=1
	s_delay_alu instid0(SALU_CYCLE_1)
	s_or_b32 exec_lo, exec_lo, s9
.LBB208_1824:                           ;   in Loop: Header=BB208_941 Depth=1
	s_delay_alu instid0(SALU_CYCLE_1) | instskip(SKIP_4) | instid1(VALU_DEP_3)
	s_or_b32 exec_lo, exec_lo, s8
	v_or_b32_e32 v15, v35, v37
	v_or_b32_e32 v14, v34, v36
	;; [unrolled: 1-line block ×4, first 2 shown]
	v_pk_mul_f32 v[36:37], v[70:71], v[14:15]
	s_delay_alu instid0(VALU_DEP_2)
	v_pk_mul_f32 v[34:35], v[70:71], v[34:35]
	s_and_saveexec_b32 s8, vcc_lo
	s_cbranch_execz .LBB208_1826
; %bb.1825:                             ;   in Loop: Header=BB208_941 Depth=1
	scratch_load_b64 v[12:13], off, s32 offset:192 ; 8-byte Folded Reload
	s_wait_loadcnt 0x0
	v_cmp_lt_i32_e64 s0, v83, v12
	s_delay_alu instid0(VALU_DEP_1) | instskip(SKIP_1) | instid1(VALU_DEP_1)
	v_cndmask_b32_e64 v36, 0, v36, s0
	v_cmp_lt_i32_e64 s0, v0, v12
	v_cndmask_b32_e64 v37, 0, v37, s0
	v_cmp_lt_i32_e64 s0, v84, v12
	s_delay_alu instid0(VALU_DEP_1) | instskip(SKIP_1) | instid1(VALU_DEP_1)
	v_cndmask_b32_e64 v34, 0, v34, s0
	v_cmp_lt_i32_e64 s0, v1, v12
	v_cndmask_b32_e64 v35, 0, v35, s0
.LBB208_1826:                           ;   in Loop: Header=BB208_941 Depth=1
	s_wait_xcnt 0x0
	s_or_b32 exec_lo, exec_lo, s8
	flat_load_b32 v14, v[80:81] offset:3328
	v_mov_b64_e32 v[38:39], 0
	v_mov_b64_e32 v[48:49], 0
	s_mov_b32 s8, exec_lo
	s_wait_loadcnt_dscnt 0x0
	v_and_b32_e32 v13, 0xff, v14
	s_wait_xcnt 0x0
	s_delay_alu instid0(VALU_DEP_1)
	v_cmpx_ne_u16_e32 0, v13
	s_cbranch_execz .LBB208_1834
; %bb.1827:                             ;   in Loop: Header=BB208_941 Depth=1
	v_mov_b64_e32 v[48:49], 0x80000000
	s_mov_b32 s9, exec_lo
	v_cmpx_ne_u16_e32 0x80, v13
	s_cbranch_execz .LBB208_1833
; %bb.1828:                             ;   in Loop: Header=BB208_941 Depth=1
	v_mov_b64_e32 v[48:49], 0x7f800001
	v_and_b32_e32 v13, 0x7f, v14
	s_mov_b32 s14, exec_lo
	s_delay_alu instid0(VALU_DEP_1)
	v_cmpx_ne_u32_e32 0x7f, v13
	s_cbranch_execz .LBB208_1832
; %bb.1829:                             ;   in Loop: Header=BB208_941 Depth=1
	v_dual_lshrrev_b32 v15, 3, v13 :: v_dual_bitop2_b32 v18, 7, v14 bitop3:0x40
	s_mov_b32 s15, exec_lo
	v_cmpx_gt_u32_e32 8, v13
; %bb.1830:                             ;   in Loop: Header=BB208_941 Depth=1
	s_delay_alu instid0(VALU_DEP_2) | instskip(NEXT) | instid1(VALU_DEP_1)
	v_clz_i32_u32_e32 v13, v18
	v_min_u32_e32 v13, 32, v13
	s_delay_alu instid0(VALU_DEP_1) | instskip(NEXT) | instid1(VALU_DEP_1)
	v_subrev_nc_u32_e32 v15, 28, v13
	v_lshlrev_b64_e32 v[48:49], v15, v[18:19]
	s_delay_alu instid0(VALU_DEP_1)
	v_dual_sub_nc_u32 v15, 29, v13 :: v_dual_bitop2_b32 v18, 7, v48 bitop3:0x40
; %bb.1831:                             ;   in Loop: Header=BB208_941 Depth=1
	s_or_b32 exec_lo, exec_lo, s15
	v_lshlrev_b32_e32 v13, 24, v14
	s_delay_alu instid0(VALU_DEP_2) | instskip(NEXT) | instid1(VALU_DEP_3)
	v_lshlrev_b32_e32 v18, 20, v18
	v_lshl_add_u32 v15, v15, 23, 0x3c000000
	s_delay_alu instid0(VALU_DEP_3) | instskip(NEXT) | instid1(VALU_DEP_1)
	v_and_b32_e32 v13, 0x80000000, v13
	v_or3_b32 v18, v18, v13, v15
	s_delay_alu instid0(VALU_DEP_1)
	v_mov_b64_e32 v[48:49], v[18:19]
.LBB208_1832:                           ;   in Loop: Header=BB208_941 Depth=1
	s_or_b32 exec_lo, exec_lo, s14
.LBB208_1833:                           ;   in Loop: Header=BB208_941 Depth=1
	s_delay_alu instid0(SALU_CYCLE_1)
	s_or_b32 exec_lo, exec_lo, s9
.LBB208_1834:                           ;   in Loop: Header=BB208_941 Depth=1
	s_delay_alu instid0(SALU_CYCLE_1) | instskip(SKIP_2) | instid1(VALU_DEP_1)
	s_or_b32 exec_lo, exec_lo, s8
	v_lshrrev_b16 v15, 8, v14
	s_mov_b32 s8, exec_lo
	v_cmpx_ne_u16_e32 0, v15
	s_cbranch_execz .LBB208_1842
; %bb.1835:                             ;   in Loop: Header=BB208_941 Depth=1
	v_mov_b64_e32 v[38:39], 0x8000000000000000
	s_mov_b32 s9, exec_lo
	v_cmpx_ne_u16_e32 0x80, v15
	s_cbranch_execz .LBB208_1841
; %bb.1836:                             ;   in Loop: Header=BB208_941 Depth=1
	v_and_b32_e32 v15, 0xffff, v15
	v_mov_b64_e32 v[38:39], 0x7f80000100000000
	s_mov_b32 s14, exec_lo
	s_delay_alu instid0(VALU_DEP_2) | instskip(NEXT) | instid1(VALU_DEP_1)
	v_and_b32_e32 v13, 0x7f, v15
	v_cmpx_ne_u32_e32 0x7f, v13
	s_cbranch_execz .LBB208_1840
; %bb.1837:                             ;   in Loop: Header=BB208_941 Depth=1
	v_dual_lshrrev_b32 v15, 3, v13 :: v_dual_bitop2_b32 v18, 7, v15 bitop3:0x40
	s_mov_b32 s15, exec_lo
	v_cmpx_gt_u32_e32 8, v13
; %bb.1838:                             ;   in Loop: Header=BB208_941 Depth=1
	s_delay_alu instid0(VALU_DEP_2) | instskip(NEXT) | instid1(VALU_DEP_1)
	v_clz_i32_u32_e32 v13, v18
	v_min_u32_e32 v13, 32, v13
	s_delay_alu instid0(VALU_DEP_1) | instskip(NEXT) | instid1(VALU_DEP_1)
	v_subrev_nc_u32_e32 v15, 28, v13
	v_lshlrev_b64_e32 v[38:39], v15, v[18:19]
	s_delay_alu instid0(VALU_DEP_1)
	v_dual_sub_nc_u32 v15, 29, v13 :: v_dual_bitop2_b32 v18, 7, v38 bitop3:0x40
; %bb.1839:                             ;   in Loop: Header=BB208_941 Depth=1
	s_or_b32 exec_lo, exec_lo, s15
	v_dual_mov_b32 v38, v19 :: v_dual_lshlrev_b32 v13, 16, v14
	s_delay_alu instid0(VALU_DEP_2) | instskip(NEXT) | instid1(VALU_DEP_3)
	v_lshlrev_b32_e32 v18, 20, v18
	v_lshl_add_u32 v15, v15, 23, 0x3c000000
	s_delay_alu instid0(VALU_DEP_3) | instskip(NEXT) | instid1(VALU_DEP_1)
	v_and_b32_e32 v13, 0x80000000, v13
	v_or3_b32 v39, v18, v13, v15
.LBB208_1840:                           ;   in Loop: Header=BB208_941 Depth=1
	s_or_b32 exec_lo, exec_lo, s14
.LBB208_1841:                           ;   in Loop: Header=BB208_941 Depth=1
	s_delay_alu instid0(SALU_CYCLE_1)
	s_or_b32 exec_lo, exec_lo, s9
.LBB208_1842:                           ;   in Loop: Header=BB208_941 Depth=1
	s_delay_alu instid0(SALU_CYCLE_1) | instskip(SKIP_4) | instid1(VALU_DEP_3)
	s_or_b32 exec_lo, exec_lo, s8
	v_lshrrev_b32_e32 v15, 16, v14
	v_mov_b64_e32 v[54:55], 0
	v_mov_b64_e32 v[52:53], 0
	s_mov_b32 s8, exec_lo
	v_and_b32_e32 v13, 0xff, v15
	s_delay_alu instid0(VALU_DEP_1)
	v_cmpx_ne_u16_e32 0, v13
	s_cbranch_execz .LBB208_1850
; %bb.1843:                             ;   in Loop: Header=BB208_941 Depth=1
	v_mov_b64_e32 v[52:53], 0x80000000
	s_mov_b32 s9, exec_lo
	v_cmpx_ne_u16_e32 0x80, v13
	s_cbranch_execz .LBB208_1849
; %bb.1844:                             ;   in Loop: Header=BB208_941 Depth=1
	v_mov_b64_e32 v[52:53], 0x7f800001
	v_bfe_u32 v13, v14, 16, 7
	s_mov_b32 s14, exec_lo
	s_delay_alu instid0(VALU_DEP_1)
	v_cmpx_ne_u32_e32 0x7f, v13
	s_cbranch_execz .LBB208_1848
; %bb.1845:                             ;   in Loop: Header=BB208_941 Depth=1
	v_dual_lshrrev_b32 v52, 3, v13 :: v_dual_bitop2_b32 v18, 7, v15 bitop3:0x40
	s_mov_b32 s15, exec_lo
	v_cmpx_gt_u32_e32 8, v13
; %bb.1846:                             ;   in Loop: Header=BB208_941 Depth=1
	s_delay_alu instid0(VALU_DEP_2) | instskip(NEXT) | instid1(VALU_DEP_1)
	v_clz_i32_u32_e32 v13, v18
	v_min_u32_e32 v13, 32, v13
	s_delay_alu instid0(VALU_DEP_1) | instskip(NEXT) | instid1(VALU_DEP_1)
	v_subrev_nc_u32_e32 v50, 28, v13
	v_lshlrev_b64_e32 v[50:51], v50, v[18:19]
	s_delay_alu instid0(VALU_DEP_1)
	v_dual_sub_nc_u32 v52, 29, v13 :: v_dual_bitop2_b32 v18, 7, v50 bitop3:0x40
; %bb.1847:                             ;   in Loop: Header=BB208_941 Depth=1
	s_or_b32 exec_lo, exec_lo, s15
	s_delay_alu instid0(VALU_DEP_1) | instskip(NEXT) | instid1(VALU_DEP_2)
	v_dual_lshlrev_b32 v13, 24, v15 :: v_dual_lshlrev_b32 v15, 20, v18
	v_lshl_add_u32 v18, v52, 23, 0x3c000000
	s_delay_alu instid0(VALU_DEP_2) | instskip(NEXT) | instid1(VALU_DEP_1)
	v_and_b32_e32 v13, 0x80000000, v13
	v_or3_b32 v18, v15, v13, v18
	s_delay_alu instid0(VALU_DEP_1)
	v_mov_b64_e32 v[52:53], v[18:19]
.LBB208_1848:                           ;   in Loop: Header=BB208_941 Depth=1
	s_or_b32 exec_lo, exec_lo, s14
.LBB208_1849:                           ;   in Loop: Header=BB208_941 Depth=1
	s_delay_alu instid0(SALU_CYCLE_1)
	s_or_b32 exec_lo, exec_lo, s9
.LBB208_1850:                           ;   in Loop: Header=BB208_941 Depth=1
	s_delay_alu instid0(SALU_CYCLE_1) | instskip(NEXT) | instid1(SALU_CYCLE_1)
	s_or_b32 exec_lo, exec_lo, s8
	s_mov_b32 s8, exec_lo
	v_cmpx_lt_u32_e32 0xffffff, v14
	s_cbranch_execz .LBB208_1858
; %bb.1851:                             ;   in Loop: Header=BB208_941 Depth=1
	v_mov_b64_e32 v[54:55], 0x8000000000000000
	v_lshrrev_b32_e32 v15, 24, v14
	s_mov_b32 s9, exec_lo
	s_delay_alu instid0(VALU_DEP_1)
	v_cmpx_ne_u32_e32 0x80, v15
	s_cbranch_execz .LBB208_1857
; %bb.1852:                             ;   in Loop: Header=BB208_941 Depth=1
	v_mov_b64_e32 v[54:55], 0x7f80000100000000
	v_bfe_u32 v13, v14, 24, 7
	s_mov_b32 s14, exec_lo
	s_delay_alu instid0(VALU_DEP_1)
	v_cmpx_ne_u32_e32 0x7f, v13
	s_cbranch_execz .LBB208_1856
; %bb.1853:                             ;   in Loop: Header=BB208_941 Depth=1
	v_dual_lshrrev_b32 v14, 3, v13 :: v_dual_bitop2_b32 v18, 7, v15 bitop3:0x40
	s_mov_b32 s15, exec_lo
	v_cmpx_gt_u32_e32 8, v13
; %bb.1854:                             ;   in Loop: Header=BB208_941 Depth=1
	s_delay_alu instid0(VALU_DEP_2) | instskip(NEXT) | instid1(VALU_DEP_1)
	v_clz_i32_u32_e32 v13, v18
	v_min_u32_e32 v13, 32, v13
	s_delay_alu instid0(VALU_DEP_1) | instskip(NEXT) | instid1(VALU_DEP_1)
	v_subrev_nc_u32_e32 v14, 28, v13
	v_lshlrev_b64_e32 v[50:51], v14, v[18:19]
	s_delay_alu instid0(VALU_DEP_1)
	v_dual_sub_nc_u32 v14, 29, v13 :: v_dual_bitop2_b32 v18, 7, v50 bitop3:0x40
; %bb.1855:                             ;   in Loop: Header=BB208_941 Depth=1
	s_or_b32 exec_lo, exec_lo, s15
	s_delay_alu instid0(VALU_DEP_1) | instskip(NEXT) | instid1(VALU_DEP_2)
	v_dual_lshlrev_b32 v13, 24, v15 :: v_dual_lshlrev_b32 v15, 20, v18
	v_lshl_add_u32 v14, v14, 23, 0x3c000000
	v_mov_b32_e32 v54, v19
	s_delay_alu instid0(VALU_DEP_3) | instskip(NEXT) | instid1(VALU_DEP_1)
	v_and_b32_e32 v13, 0x80000000, v13
	v_or3_b32 v55, v15, v13, v14
.LBB208_1856:                           ;   in Loop: Header=BB208_941 Depth=1
	s_or_b32 exec_lo, exec_lo, s14
.LBB208_1857:                           ;   in Loop: Header=BB208_941 Depth=1
	s_delay_alu instid0(SALU_CYCLE_1)
	s_or_b32 exec_lo, exec_lo, s9
.LBB208_1858:                           ;   in Loop: Header=BB208_941 Depth=1
	s_delay_alu instid0(SALU_CYCLE_1) | instskip(SKIP_4) | instid1(VALU_DEP_3)
	s_or_b32 exec_lo, exec_lo, s8
	v_or_b32_e32 v15, v39, v49
	v_or_b32_e32 v14, v38, v48
	;; [unrolled: 1-line block ×4, first 2 shown]
	v_pk_mul_f32 v[48:49], v[70:71], v[14:15]
	s_delay_alu instid0(VALU_DEP_2)
	v_pk_mul_f32 v[38:39], v[70:71], v[38:39]
	s_and_saveexec_b32 s8, vcc_lo
	s_cbranch_execz .LBB208_1860
; %bb.1859:                             ;   in Loop: Header=BB208_941 Depth=1
	scratch_load_b64 v[12:13], off, s32 offset:192 ; 8-byte Folded Reload
	s_wait_loadcnt 0x0
	v_cmp_lt_i32_e64 s0, v83, v12
	s_delay_alu instid0(VALU_DEP_1) | instskip(SKIP_1) | instid1(VALU_DEP_1)
	v_cndmask_b32_e64 v48, 0, v48, s0
	v_cmp_lt_i32_e64 s0, v0, v12
	v_cndmask_b32_e64 v49, 0, v49, s0
	v_cmp_lt_i32_e64 s0, v84, v12
	s_delay_alu instid0(VALU_DEP_1) | instskip(SKIP_1) | instid1(VALU_DEP_1)
	v_cndmask_b32_e64 v38, 0, v38, s0
	v_cmp_lt_i32_e64 s0, v1, v12
	v_cndmask_b32_e64 v39, 0, v39, s0
.LBB208_1860:                           ;   in Loop: Header=BB208_941 Depth=1
	s_wait_xcnt 0x0
	s_or_b32 exec_lo, exec_lo, s8
	flat_load_b32 v1, v[80:81] offset:3456
	s_wait_xcnt 0x0
	v_mov_b64_e32 v[80:81], 0
	v_mov_b64_e32 v[54:55], 0
	s_mov_b32 s8, exec_lo
	s_wait_loadcnt_dscnt 0x0
	v_and_b32_e32 v13, 0xff, v1
	s_delay_alu instid0(VALU_DEP_1)
	v_cmpx_ne_u16_e32 0, v13
	s_cbranch_execz .LBB208_1868
; %bb.1861:                             ;   in Loop: Header=BB208_941 Depth=1
	v_mov_b64_e32 v[54:55], 0x80000000
	s_mov_b32 s9, exec_lo
	v_cmpx_ne_u16_e32 0x80, v13
	s_cbranch_execz .LBB208_1867
; %bb.1862:                             ;   in Loop: Header=BB208_941 Depth=1
	v_mov_b64_e32 v[54:55], 0x7f800001
	v_and_b32_e32 v13, 0x7f, v1
	s_mov_b32 s14, exec_lo
	s_delay_alu instid0(VALU_DEP_1)
	v_cmpx_ne_u32_e32 0x7f, v13
	s_cbranch_execz .LBB208_1866
; %bb.1863:                             ;   in Loop: Header=BB208_941 Depth=1
	v_and_b32_e32 v18, 7, v1
	v_lshrrev_b32_e32 v14, 3, v13
	s_mov_b32 s15, exec_lo
	v_cmpx_gt_u32_e32 8, v13
; %bb.1864:                             ;   in Loop: Header=BB208_941 Depth=1
	s_delay_alu instid0(VALU_DEP_3) | instskip(NEXT) | instid1(VALU_DEP_1)
	v_clz_i32_u32_e32 v13, v18
	v_min_u32_e32 v13, 32, v13
	s_delay_alu instid0(VALU_DEP_1) | instskip(NEXT) | instid1(VALU_DEP_1)
	v_subrev_nc_u32_e32 v14, 28, v13
	v_lshlrev_b64_e32 v[50:51], v14, v[18:19]
	s_delay_alu instid0(VALU_DEP_1)
	v_dual_sub_nc_u32 v14, 29, v13 :: v_dual_bitop2_b32 v18, 7, v50 bitop3:0x40
; %bb.1865:                             ;   in Loop: Header=BB208_941 Depth=1
	s_or_b32 exec_lo, exec_lo, s15
	s_delay_alu instid0(VALU_DEP_1) | instskip(NEXT) | instid1(VALU_DEP_2)
	v_dual_lshlrev_b32 v13, 24, v1 :: v_dual_lshlrev_b32 v15, 20, v18
	v_lshl_add_u32 v14, v14, 23, 0x3c000000
	s_delay_alu instid0(VALU_DEP_2) | instskip(NEXT) | instid1(VALU_DEP_1)
	v_and_b32_e32 v13, 0x80000000, v13
	v_or3_b32 v18, v15, v13, v14
	s_delay_alu instid0(VALU_DEP_1)
	v_mov_b64_e32 v[54:55], v[18:19]
.LBB208_1866:                           ;   in Loop: Header=BB208_941 Depth=1
	s_or_b32 exec_lo, exec_lo, s14
.LBB208_1867:                           ;   in Loop: Header=BB208_941 Depth=1
	s_delay_alu instid0(SALU_CYCLE_1)
	s_or_b32 exec_lo, exec_lo, s9
.LBB208_1868:                           ;   in Loop: Header=BB208_941 Depth=1
	s_delay_alu instid0(SALU_CYCLE_1) | instskip(SKIP_2) | instid1(VALU_DEP_1)
	s_or_b32 exec_lo, exec_lo, s8
	v_lshrrev_b16 v14, 8, v1
	s_mov_b32 s8, exec_lo
	v_cmpx_ne_u16_e32 0, v14
	s_cbranch_execz .LBB208_1876
; %bb.1869:                             ;   in Loop: Header=BB208_941 Depth=1
	v_mov_b64_e32 v[80:81], 0x8000000000000000
	s_mov_b32 s9, exec_lo
	v_cmpx_ne_u16_e32 0x80, v14
	s_cbranch_execz .LBB208_1875
; %bb.1870:                             ;   in Loop: Header=BB208_941 Depth=1
	v_and_b32_e32 v14, 0xffff, v14
	v_mov_b64_e32 v[80:81], 0x7f80000100000000
	s_mov_b32 s14, exec_lo
	s_delay_alu instid0(VALU_DEP_2) | instskip(NEXT) | instid1(VALU_DEP_1)
	v_and_b32_e32 v13, 0x7f, v14
	v_cmpx_ne_u32_e32 0x7f, v13
	s_cbranch_execz .LBB208_1874
; %bb.1871:                             ;   in Loop: Header=BB208_941 Depth=1
	v_dual_lshrrev_b32 v14, 3, v13 :: v_dual_bitop2_b32 v18, 7, v14 bitop3:0x40
	s_mov_b32 s15, exec_lo
	v_cmpx_gt_u32_e32 8, v13
; %bb.1872:                             ;   in Loop: Header=BB208_941 Depth=1
	s_delay_alu instid0(VALU_DEP_2) | instskip(NEXT) | instid1(VALU_DEP_1)
	v_clz_i32_u32_e32 v13, v18
	v_min_u32_e32 v13, 32, v13
	s_delay_alu instid0(VALU_DEP_1) | instskip(NEXT) | instid1(VALU_DEP_1)
	v_subrev_nc_u32_e32 v14, 28, v13
	v_lshlrev_b64_e32 v[50:51], v14, v[18:19]
	s_delay_alu instid0(VALU_DEP_1)
	v_dual_sub_nc_u32 v14, 29, v13 :: v_dual_bitop2_b32 v18, 7, v50 bitop3:0x40
; %bb.1873:                             ;   in Loop: Header=BB208_941 Depth=1
	s_or_b32 exec_lo, exec_lo, s15
	s_delay_alu instid0(VALU_DEP_1) | instskip(NEXT) | instid1(VALU_DEP_2)
	v_dual_lshlrev_b32 v13, 16, v1 :: v_dual_lshlrev_b32 v15, 20, v18
	v_lshl_add_u32 v14, v14, 23, 0x3c000000
	v_mov_b32_e32 v80, v19
	s_delay_alu instid0(VALU_DEP_3) | instskip(NEXT) | instid1(VALU_DEP_1)
	v_and_b32_e32 v13, 0x80000000, v13
	v_or3_b32 v81, v15, v13, v14
.LBB208_1874:                           ;   in Loop: Header=BB208_941 Depth=1
	s_or_b32 exec_lo, exec_lo, s14
.LBB208_1875:                           ;   in Loop: Header=BB208_941 Depth=1
	s_delay_alu instid0(SALU_CYCLE_1)
	s_or_b32 exec_lo, exec_lo, s9
.LBB208_1876:                           ;   in Loop: Header=BB208_941 Depth=1
	s_delay_alu instid0(SALU_CYCLE_1) | instskip(SKIP_4) | instid1(VALU_DEP_3)
	s_or_b32 exec_lo, exec_lo, s8
	v_lshrrev_b32_e32 v84, 16, v1
	v_mov_b64_e32 v[52:53], 0
	v_mov_b64_e32 v[14:15], 0
	s_mov_b32 s8, exec_lo
	v_and_b32_e32 v13, 0xff, v84
	s_delay_alu instid0(VALU_DEP_1)
	v_cmpx_ne_u16_e32 0, v13
	s_cbranch_execz .LBB208_1884
; %bb.1877:                             ;   in Loop: Header=BB208_941 Depth=1
	v_mov_b64_e32 v[14:15], 0x80000000
	s_mov_b32 s9, exec_lo
	v_cmpx_ne_u16_e32 0x80, v13
	s_cbranch_execz .LBB208_1883
; %bb.1878:                             ;   in Loop: Header=BB208_941 Depth=1
	v_mov_b64_e32 v[14:15], 0x7f800001
	v_bfe_u32 v13, v1, 16, 7
	s_mov_b32 s14, exec_lo
	s_delay_alu instid0(VALU_DEP_1)
	v_cmpx_ne_u32_e32 0x7f, v13
	s_cbranch_execz .LBB208_1882
; %bb.1879:                             ;   in Loop: Header=BB208_941 Depth=1
	v_dual_lshrrev_b32 v14, 3, v13 :: v_dual_bitop2_b32 v18, 7, v84 bitop3:0x40
	s_mov_b32 s15, exec_lo
	v_cmpx_gt_u32_e32 8, v13
; %bb.1880:                             ;   in Loop: Header=BB208_941 Depth=1
	s_delay_alu instid0(VALU_DEP_2) | instskip(NEXT) | instid1(VALU_DEP_1)
	v_clz_i32_u32_e32 v13, v18
	v_min_u32_e32 v13, 32, v13
	s_delay_alu instid0(VALU_DEP_1) | instskip(NEXT) | instid1(VALU_DEP_1)
	v_subrev_nc_u32_e32 v14, 28, v13
	v_lshlrev_b64_e32 v[50:51], v14, v[18:19]
	s_delay_alu instid0(VALU_DEP_1)
	v_dual_sub_nc_u32 v14, 29, v13 :: v_dual_bitop2_b32 v18, 7, v50 bitop3:0x40
; %bb.1881:                             ;   in Loop: Header=BB208_941 Depth=1
	s_or_b32 exec_lo, exec_lo, s15
	s_delay_alu instid0(VALU_DEP_1) | instskip(NEXT) | instid1(VALU_DEP_2)
	v_dual_lshlrev_b32 v13, 24, v84 :: v_dual_lshlrev_b32 v15, 20, v18
	v_lshl_add_u32 v14, v14, 23, 0x3c000000
	s_delay_alu instid0(VALU_DEP_2) | instskip(NEXT) | instid1(VALU_DEP_1)
	v_and_b32_e32 v13, 0x80000000, v13
	v_or3_b32 v18, v15, v13, v14
	s_delay_alu instid0(VALU_DEP_1)
	v_mov_b64_e32 v[14:15], v[18:19]
.LBB208_1882:                           ;   in Loop: Header=BB208_941 Depth=1
	s_or_b32 exec_lo, exec_lo, s14
.LBB208_1883:                           ;   in Loop: Header=BB208_941 Depth=1
	s_delay_alu instid0(SALU_CYCLE_1)
	s_or_b32 exec_lo, exec_lo, s9
.LBB208_1884:                           ;   in Loop: Header=BB208_941 Depth=1
	s_delay_alu instid0(SALU_CYCLE_1) | instskip(NEXT) | instid1(SALU_CYCLE_1)
	s_or_b32 exec_lo, exec_lo, s8
	s_mov_b32 s8, exec_lo
	v_cmpx_lt_u32_e32 0xffffff, v1
	s_cbranch_execz .LBB208_1892
; %bb.1885:                             ;   in Loop: Header=BB208_941 Depth=1
	v_mov_b64_e32 v[52:53], 0x8000000000000000
	v_lshrrev_b32_e32 v84, 24, v1
	s_mov_b32 s9, exec_lo
	s_delay_alu instid0(VALU_DEP_1)
	v_cmpx_ne_u32_e32 0x80, v84
	s_cbranch_execz .LBB208_1891
; %bb.1886:                             ;   in Loop: Header=BB208_941 Depth=1
	v_mov_b64_e32 v[52:53], 0x7f80000100000000
	v_bfe_u32 v13, v1, 24, 7
	s_mov_b32 s14, exec_lo
	s_delay_alu instid0(VALU_DEP_1)
	v_cmpx_ne_u32_e32 0x7f, v13
	s_cbranch_execz .LBB208_1890
; %bb.1887:                             ;   in Loop: Header=BB208_941 Depth=1
	v_dual_lshrrev_b32 v1, 3, v13 :: v_dual_bitop2_b32 v18, 7, v84 bitop3:0x40
	s_mov_b32 s15, exec_lo
	v_cmpx_gt_u32_e32 8, v13
; %bb.1888:                             ;   in Loop: Header=BB208_941 Depth=1
	s_delay_alu instid0(VALU_DEP_2) | instskip(NEXT) | instid1(VALU_DEP_1)
	v_clz_i32_u32_e32 v1, v18
	v_min_u32_e32 v1, 32, v1
	s_delay_alu instid0(VALU_DEP_1) | instskip(NEXT) | instid1(VALU_DEP_1)
	v_subrev_nc_u32_e32 v13, 28, v1
	v_lshlrev_b64_e32 v[50:51], v13, v[18:19]
	s_delay_alu instid0(VALU_DEP_1)
	v_dual_sub_nc_u32 v1, 29, v1 :: v_dual_bitop2_b32 v18, 7, v50 bitop3:0x40
; %bb.1889:                             ;   in Loop: Header=BB208_941 Depth=1
	s_or_b32 exec_lo, exec_lo, s15
	s_delay_alu instid0(VALU_DEP_1) | instskip(NEXT) | instid1(VALU_DEP_2)
	v_dual_lshlrev_b32 v13, 24, v84 :: v_dual_lshlrev_b32 v18, 20, v18
	v_lshl_add_u32 v1, v1, 23, 0x3c000000
	v_mov_b32_e32 v52, v19
	s_delay_alu instid0(VALU_DEP_3) | instskip(NEXT) | instid1(VALU_DEP_1)
	v_and_b32_e32 v13, 0x80000000, v13
	v_or3_b32 v53, v18, v13, v1
.LBB208_1890:                           ;   in Loop: Header=BB208_941 Depth=1
	s_or_b32 exec_lo, exec_lo, s14
.LBB208_1891:                           ;   in Loop: Header=BB208_941 Depth=1
	s_delay_alu instid0(SALU_CYCLE_1)
	s_or_b32 exec_lo, exec_lo, s9
.LBB208_1892:                           ;   in Loop: Header=BB208_941 Depth=1
	s_delay_alu instid0(SALU_CYCLE_1) | instskip(SKIP_4) | instid1(VALU_DEP_3)
	s_or_b32 exec_lo, exec_lo, s8
	v_or_b32_e32 v51, v81, v55
	v_or_b32_e32 v50, v80, v54
	;; [unrolled: 1-line block ×4, first 2 shown]
	v_pk_mul_f32 v[80:81], v[70:71], v[50:51]
	s_delay_alu instid0(VALU_DEP_2)
	v_pk_mul_f32 v[70:71], v[70:71], v[14:15]
	s_and_saveexec_b32 s8, vcc_lo
	s_cbranch_execz .LBB208_939
; %bb.1893:                             ;   in Loop: Header=BB208_941 Depth=1
	s_clause 0x1
	scratch_load_b64 v[12:13], off, s32 offset:192
	scratch_load_b64 v[14:15], off, s32 offset:412
	v_or_b32_e32 v1, 2, v83
	s_wait_loadcnt 0x1
	v_cmp_lt_i32_e32 vcc_lo, v83, v12
	s_wait_loadcnt 0x0
	v_dual_mov_b32 v13, v15 :: v_dual_cndmask_b32 v80, 0, v80
	s_delay_alu instid0(VALU_DEP_1) | instskip(SKIP_2) | instid1(VALU_DEP_3)
	v_cmp_lt_i32_e64 s0, v0, v13
	v_or_b32_e32 v0, 3, v83
	v_cmp_lt_i32_e32 vcc_lo, v1, v12
	v_cndmask_b32_e64 v81, 0, v81, s0
	s_delay_alu instid0(VALU_DEP_3) | instskip(NEXT) | instid1(VALU_DEP_1)
	v_cmp_lt_i32_e64 s0, v0, v13
	v_dual_cndmask_b32 v70, 0, v70, vcc_lo :: v_dual_cndmask_b32 v71, 0, v71, s0
	s_branch .LBB208_939
.LBB208_1894:
	s_or_b32 exec_lo, exec_lo, s2
	s_clause 0xd
	scratch_load_b32 v65, off, s32 offset:428
	scratch_load_b32 v38, off, s32 offset:436
	scratch_load_b64 v[54:55], off, s32 offset:276
	scratch_load_b64 v[66:67], off, s32 offset:284
	;; [unrolled: 1-line block ×12, first 2 shown]
.LBB208_1895:
	s_wait_xcnt 0x0
	s_or_b32 exec_lo, exec_lo, s1
	s_wait_loadcnt 0x0
	ds_bpermute_b32 v6, v38, v18
	ds_bpermute_b32 v7, v38, v19
	;; [unrolled: 1-line block ×12, first 2 shown]
	v_mov_b64_e32 v[34:35], v[16:17]
	ds_bpermute_b32 v16, v38, v48
	ds_bpermute_b32 v17, v38, v49
	v_mov_b64_e32 v[70:71], v[14:15]
	ds_bpermute_b32 v10, v38, v36
	ds_bpermute_b32 v11, v38, v37
	;; [unrolled: 1-line block ×5, first 2 shown]
	s_wait_dscnt 0x11
	v_pk_add_f32 v[6:7], v[18:19], v[6:7]
	ds_bpermute_b32 v18, v38, v52
	s_wait_dscnt 0x10
	v_pk_add_f32 v[0:1], v[34:35], v[0:1]
	ds_bpermute_b32 v19, v38, v53
	;; [unrolled: 3-line block ×3, first 2 shown]
	ds_bpermute_b32 v23, v65, v7
	ds_bpermute_b32 v21, v38, v51
	;; [unrolled: 1-line block ×5, first 2 shown]
	s_wait_dscnt 0x13
	v_pk_add_f32 v[4:5], v[28:29], v[4:5]
	ds_bpermute_b32 v28, v65, v0
	ds_bpermute_b32 v29, v65, v1
	;; [unrolled: 1-line block ×5, first 2 shown]
	s_wait_dscnt 0x16
	v_pk_add_f32 v[12:13], v[70:71], v[12:13]
	s_wait_dscnt 0x14
	v_pk_add_f32 v[8:9], v[32:33], v[8:9]
	ds_bpermute_b32 v32, v65, v4
	ds_bpermute_b32 v33, v65, v5
	s_wait_dscnt 0x14
	v_pk_add_f32 v[16:17], v[48:49], v[16:17]
	ds_bpermute_b32 v48, v65, v12
	ds_bpermute_b32 v49, v65, v13
	s_wait_dscnt 0x14
	v_pk_add_f32 v[10:11], v[36:37], v[10:11]
	s_wait_dscnt 0x12
	v_pk_add_f32 v[14:15], v[80:81], v[14:15]
	s_wait_dscnt 0xd
	v_pk_add_f32 v[6:7], v[6:7], v[22:23]
	ds_bpermute_b32 v22, v38, v54
	ds_bpermute_b32 v23, v38, v55
	v_pk_add_f32 v[18:19], v[52:53], v[18:19]
	s_wait_dscnt 0xe
	v_pk_add_f32 v[20:21], v[50:51], v[20:21]
	ds_bpermute_b32 v38, v85, v6
	ds_bpermute_b32 v39, v85, v7
	s_wait_dscnt 0xb
	v_pk_add_f32 v[52:53], v[0:1], v[28:29]
	v_pk_add_f32 v[24:25], v[68:69], v[24:25]
	s_wait_dscnt 0x9
	v_pk_add_f32 v[2:3], v[2:3], v[30:31]
	s_wait_dscnt 0x8
	v_pk_add_f32 v[26:27], v[66:67], v[26:27]
	ds_bpermute_b32 v34, v65, v8
	ds_bpermute_b32 v35, v65, v9
	;; [unrolled: 1-line block ×6, first 2 shown]
	s_wait_dscnt 0xc
	v_pk_add_f32 v[4:5], v[4:5], v[32:33]
	ds_bpermute_b32 v30, v85, v52
	ds_bpermute_b32 v31, v85, v53
	;; [unrolled: 1-line block ×4, first 2 shown]
	s_wait_dscnt 0xc
	v_pk_add_f32 v[22:23], v[54:55], v[22:23]
	ds_bpermute_b32 v28, v65, v18
	ds_bpermute_b32 v29, v65, v19
	v_pk_add_f32 v[12:13], v[12:13], v[48:49]
	s_wait_dscnt 0xc
	v_pk_add_f32 v[0:1], v[6:7], v[38:39]
	ds_bpermute_b32 v6, v65, v16
	ds_bpermute_b32 v7, v65, v17
	;; [unrolled: 1-line block ×10, first 2 shown]
	s_wait_storecnt_dscnt 0x0
	s_barrier_signal -1
	s_barrier_wait -1
	v_pk_add_f32 v[8:9], v[8:9], v[34:35]
	v_pk_add_f32 v[10:11], v[10:11], v[36:37]
	;; [unrolled: 1-line block ×4, first 2 shown]
	ds_bpermute_b32 v34, v85, v4
	ds_bpermute_b32 v35, v85, v5
	;; [unrolled: 1-line block ×3, first 2 shown]
	v_pk_add_f32 v[6:7], v[16:17], v[6:7]
	ds_bpermute_b32 v37, v85, v9
	v_pk_add_f32 v[38:39], v[20:21], v[38:39]
	ds_bpermute_b32 v66, v85, v10
	v_pk_add_f32 v[48:49], v[24:25], v[48:49]
	v_pk_add_f32 v[24:25], v[52:53], v[30:31]
	;; [unrolled: 1-line block ×3, first 2 shown]
	scratch_load_b32 v30, off, s32 offset:736 th:TH_LOAD_LU ; 4-byte Folded Reload
	v_pk_add_f32 v[26:27], v[22:23], v[64:65]
	v_pk_add_f32 v[22:23], v[2:3], v[32:33]
	scratch_load_b32 v2, off, s32 offset:740 ; 4-byte Folded Reload
	v_mov_b32_e32 v16, v85
	ds_bpermute_b32 v67, v85, v11
	ds_bpermute_b32 v14, v85, v12
	;; [unrolled: 1-line block ×11, first 2 shown]
	s_load_b32 s0, s[6:7], 0x0
	s_wait_dscnt 0xe
	v_pk_add_f32 v[20:21], v[4:5], v[34:35]
	s_wait_dscnt 0xc
	v_pk_add_f32 v[18:19], v[8:9], v[36:37]
	s_mov_b32 s1, exec_lo
	s_wait_dscnt 0x8
	v_pk_add_f32 v[14:15], v[12:13], v[14:15]
	s_wait_dscnt 0x6
	v_pk_add_f32 v[12:13], v[50:51], v[68:69]
	;; [unrolled: 2-line block ×3, first 2 shown]
	s_wait_loadcnt 0x1
	v_lshrrev_b32_e32 v30, 3, v30
	ds_bpermute_b32 v64, v16, v48
	ds_bpermute_b32 v65, v16, v49
	ds_bpermute_b32 v86, v16, v54
	ds_bpermute_b32 v87, v16, v55
	ds_bpermute_b32 v28, v16, v26
	ds_bpermute_b32 v29, v16, v27
	v_pk_add_f32 v[16:17], v[10:11], v[66:67]
	v_pk_add_f32 v[10:11], v[6:7], v[80:81]
	;; [unrolled: 1-line block ×3, first 2 shown]
	s_wait_loadcnt 0x0
	v_and_b32_e32 v31, 0x3c7, v2
	s_wait_dscnt 0x4
	v_pk_add_f32 v[4:5], v[48:49], v[64:65]
	s_wait_dscnt 0x2
	v_pk_add_f32 v[2:3], v[54:55], v[86:87]
	v_cmpx_ne_u32_e32 64, v31
	s_xor_b32 s1, exec_lo, s1
	s_delay_alu instid0(SALU_CYCLE_1)
	s_or_saveexec_b32 s1, s1
	s_wait_dscnt 0x0
	v_pk_add_f32 v[26:27], v[26:27], v[28:29]
	scratch_load_b32 v28, off, s32 offset:1228 th:TH_LOAD_LU ; 4-byte Folded Reload
	s_wait_kmcnt 0x0
	v_lshl_add_u32 v29, v30, 2, s0
	s_wait_loadcnt 0x0
	v_mul_u32_u24_e32 v28, 0x1c0, v28
	s_xor_b32 exec_lo, exec_lo, s1
	s_cbranch_execz .LBB208_1897
; %bb.1896:
	s_delay_alu instid0(VALU_DEP_1) | instskip(NEXT) | instid1(VALU_DEP_1)
	v_add_nc_u32_e32 v31, v29, v28
	v_add_nc_u32_e32 v32, 0xfffffc80, v31
	;; [unrolled: 1-line block ×9, first 2 shown]
	ds_store_b32 v32, v0
	ds_store_b32 v33, v1
	;; [unrolled: 1-line block ×8, first 2 shown]
	v_add_nc_u32_e32 v32, 0xfffffd00, v31
	v_add_nc_u32_e32 v33, 0xfffffd10, v31
	;; [unrolled: 1-line block ×8, first 2 shown]
	ds_store_b32 v32, v18
	ds_store_b32 v33, v19
	;; [unrolled: 1-line block ×8, first 2 shown]
	v_add_nc_u32_e32 v32, 0xfffffd80, v31
	v_add_nc_u32_e32 v33, 0xfffffd90, v31
	;; [unrolled: 1-line block ×12, first 2 shown]
	ds_store_b32 v32, v10
	ds_store_b32 v33, v11
	;; [unrolled: 1-line block ×12, first 2 shown]
.LBB208_1897:
	s_or_b32 exec_lo, exec_lo, s1
	v_lshlrev_b32_e32 v30, 2, v30
	scratch_load_b32 v31, off, s32 offset:420 th:TH_LOAD_LU ; 4-byte Folded Reload
	s_mov_b32 s1, exec_lo
	v_add3_u32 v28, s0, v28, v30
	scratch_load_b32 v30, off, s32 offset:740 ; 4-byte Folded Reload
	s_wait_loadcnt_dscnt 0x0
	s_barrier_signal -1
	s_barrier_wait -1
	v_cmp_eq_u32_e32 vcc_lo, 0, v31
	v_cmpx_gt_u32_e32 64, v30
	s_cbranch_execz .LBB208_1928
; %bb.1898:
	s_and_saveexec_b32 s0, vcc_lo
	s_cbranch_execnz .LBB208_1964
; %bb.1899:
	s_or_b32 exec_lo, exec_lo, s0
	s_and_saveexec_b32 s0, vcc_lo
	s_cbranch_execnz .LBB208_1965
.LBB208_1900:
	s_or_b32 exec_lo, exec_lo, s0
	s_and_saveexec_b32 s0, vcc_lo
	s_cbranch_execnz .LBB208_1966
.LBB208_1901:
	s_or_b32 exec_lo, exec_lo, s0
	s_and_saveexec_b32 s0, vcc_lo
	s_cbranch_execnz .LBB208_1967
.LBB208_1902:
	s_or_b32 exec_lo, exec_lo, s0
	s_and_saveexec_b32 s0, vcc_lo
	s_cbranch_execnz .LBB208_1968
.LBB208_1903:
	s_or_b32 exec_lo, exec_lo, s0
	s_and_saveexec_b32 s0, vcc_lo
	s_cbranch_execnz .LBB208_1969
.LBB208_1904:
	s_or_b32 exec_lo, exec_lo, s0
	s_and_saveexec_b32 s0, vcc_lo
	s_cbranch_execnz .LBB208_1970
.LBB208_1905:
	s_or_b32 exec_lo, exec_lo, s0
	s_and_saveexec_b32 s0, vcc_lo
	s_cbranch_execnz .LBB208_1971
.LBB208_1906:
	s_or_b32 exec_lo, exec_lo, s0
	s_and_saveexec_b32 s0, vcc_lo
	s_cbranch_execnz .LBB208_1972
.LBB208_1907:
	s_or_b32 exec_lo, exec_lo, s0
	s_and_saveexec_b32 s0, vcc_lo
	s_cbranch_execnz .LBB208_1973
.LBB208_1908:
	s_or_b32 exec_lo, exec_lo, s0
	s_and_saveexec_b32 s0, vcc_lo
	s_cbranch_execnz .LBB208_1974
.LBB208_1909:
	s_or_b32 exec_lo, exec_lo, s0
	s_and_saveexec_b32 s0, vcc_lo
	s_cbranch_execnz .LBB208_1975
.LBB208_1910:
	s_or_b32 exec_lo, exec_lo, s0
	s_and_saveexec_b32 s0, vcc_lo
	s_cbranch_execnz .LBB208_1976
.LBB208_1911:
	s_or_b32 exec_lo, exec_lo, s0
	s_and_saveexec_b32 s0, vcc_lo
	s_cbranch_execnz .LBB208_1977
.LBB208_1912:
	s_or_b32 exec_lo, exec_lo, s0
	s_and_saveexec_b32 s0, vcc_lo
	s_cbranch_execnz .LBB208_1978
.LBB208_1913:
	s_or_b32 exec_lo, exec_lo, s0
	s_and_saveexec_b32 s0, vcc_lo
	s_cbranch_execnz .LBB208_1979
.LBB208_1914:
	s_or_b32 exec_lo, exec_lo, s0
	s_and_saveexec_b32 s0, vcc_lo
	s_cbranch_execnz .LBB208_1980
.LBB208_1915:
	s_or_b32 exec_lo, exec_lo, s0
	s_and_saveexec_b32 s0, vcc_lo
	s_cbranch_execnz .LBB208_1981
.LBB208_1916:
	s_or_b32 exec_lo, exec_lo, s0
	s_and_saveexec_b32 s0, vcc_lo
	s_cbranch_execnz .LBB208_1982
.LBB208_1917:
	s_or_b32 exec_lo, exec_lo, s0
	s_and_saveexec_b32 s0, vcc_lo
	s_cbranch_execnz .LBB208_1983
.LBB208_1918:
	s_or_b32 exec_lo, exec_lo, s0
	s_and_saveexec_b32 s0, vcc_lo
	s_cbranch_execnz .LBB208_1984
.LBB208_1919:
	s_or_b32 exec_lo, exec_lo, s0
	s_and_saveexec_b32 s0, vcc_lo
	s_cbranch_execnz .LBB208_1985
.LBB208_1920:
	s_or_b32 exec_lo, exec_lo, s0
	s_and_saveexec_b32 s0, vcc_lo
	s_cbranch_execnz .LBB208_1986
.LBB208_1921:
	s_or_b32 exec_lo, exec_lo, s0
	s_and_saveexec_b32 s0, vcc_lo
	s_cbranch_execnz .LBB208_1987
.LBB208_1922:
	s_or_b32 exec_lo, exec_lo, s0
	s_and_saveexec_b32 s0, vcc_lo
	s_cbranch_execnz .LBB208_1988
.LBB208_1923:
	s_or_b32 exec_lo, exec_lo, s0
	s_and_saveexec_b32 s0, vcc_lo
	s_cbranch_execnz .LBB208_1989
.LBB208_1924:
	s_or_b32 exec_lo, exec_lo, s0
	s_and_saveexec_b32 s0, vcc_lo
	s_cbranch_execnz .LBB208_1990
.LBB208_1925:
	s_or_b32 exec_lo, exec_lo, s0
	s_and_saveexec_b32 s0, vcc_lo
	s_cbranch_execz .LBB208_1927
.LBB208_1926:
	ds_load_b32 v30, v28 offset:432
	s_wait_dscnt 0x0
	v_add_f32_e32 v27, v30, v27
.LBB208_1927:
	s_or_b32 exec_lo, exec_lo, s0
.LBB208_1928:
	s_delay_alu instid0(SALU_CYCLE_1)
	s_or_b32 exec_lo, exec_lo, s1
	scratch_load_b32 v30, off, s32 offset:740 ; 4-byte Folded Reload
	s_mov_b32 s1, exec_lo
	s_wait_loadcnt 0x0
	s_barrier_signal -1
	s_barrier_wait -1
	v_and_b32_e32 v30, 0x3e7, v30
	s_wait_xcnt 0x0
	s_delay_alu instid0(VALU_DEP_1)
	v_cmpx_eq_u32_e32 32, v30
	s_cbranch_execz .LBB208_1930
; %bb.1929:
	ds_store_2addr_b32 v29, v0, v1 offset1:4
	ds_store_2addr_b32 v29, v24, v25 offset0:8 offset1:12
	ds_store_2addr_b32 v29, v22, v23 offset0:16 offset1:20
	;; [unrolled: 1-line block ×13, first 2 shown]
.LBB208_1930:
	s_or_b32 exec_lo, exec_lo, s1
	scratch_load_b32 v29, off, s32 offset:740 ; 4-byte Folded Reload
	s_mov_b32 s1, exec_lo
	s_wait_loadcnt_dscnt 0x0
	s_barrier_signal -1
	s_barrier_wait -1
	v_cmpx_gt_u32_e32 32, v29
	s_cbranch_execz .LBB208_1961
; %bb.1931:
	s_and_saveexec_b32 s0, vcc_lo
	s_cbranch_execnz .LBB208_1991
; %bb.1932:
	s_or_b32 exec_lo, exec_lo, s0
	s_and_saveexec_b32 s0, vcc_lo
	s_cbranch_execnz .LBB208_1992
.LBB208_1933:
	s_or_b32 exec_lo, exec_lo, s0
	s_and_saveexec_b32 s0, vcc_lo
	s_cbranch_execnz .LBB208_1993
.LBB208_1934:
	s_or_b32 exec_lo, exec_lo, s0
	s_and_saveexec_b32 s0, vcc_lo
	s_cbranch_execnz .LBB208_1994
.LBB208_1935:
	s_or_b32 exec_lo, exec_lo, s0
	s_and_saveexec_b32 s0, vcc_lo
	s_cbranch_execnz .LBB208_1995
.LBB208_1936:
	s_or_b32 exec_lo, exec_lo, s0
	s_and_saveexec_b32 s0, vcc_lo
	s_cbranch_execnz .LBB208_1996
.LBB208_1937:
	s_or_b32 exec_lo, exec_lo, s0
	s_and_saveexec_b32 s0, vcc_lo
	s_cbranch_execnz .LBB208_1997
.LBB208_1938:
	s_or_b32 exec_lo, exec_lo, s0
	s_and_saveexec_b32 s0, vcc_lo
	s_cbranch_execnz .LBB208_1998
.LBB208_1939:
	s_or_b32 exec_lo, exec_lo, s0
	s_and_saveexec_b32 s0, vcc_lo
	s_cbranch_execnz .LBB208_1999
.LBB208_1940:
	s_or_b32 exec_lo, exec_lo, s0
	s_and_saveexec_b32 s0, vcc_lo
	s_cbranch_execnz .LBB208_2000
.LBB208_1941:
	s_or_b32 exec_lo, exec_lo, s0
	s_and_saveexec_b32 s0, vcc_lo
	s_cbranch_execnz .LBB208_2001
.LBB208_1942:
	s_or_b32 exec_lo, exec_lo, s0
	s_and_saveexec_b32 s0, vcc_lo
	s_cbranch_execnz .LBB208_2002
.LBB208_1943:
	s_or_b32 exec_lo, exec_lo, s0
	s_and_saveexec_b32 s0, vcc_lo
	s_cbranch_execnz .LBB208_2003
.LBB208_1944:
	s_or_b32 exec_lo, exec_lo, s0
	s_and_saveexec_b32 s0, vcc_lo
	s_cbranch_execnz .LBB208_2004
.LBB208_1945:
	s_or_b32 exec_lo, exec_lo, s0
	s_and_saveexec_b32 s0, vcc_lo
	s_cbranch_execnz .LBB208_2005
.LBB208_1946:
	s_or_b32 exec_lo, exec_lo, s0
	s_and_saveexec_b32 s0, vcc_lo
	s_cbranch_execnz .LBB208_2006
.LBB208_1947:
	s_or_b32 exec_lo, exec_lo, s0
	s_and_saveexec_b32 s0, vcc_lo
	s_cbranch_execnz .LBB208_2007
.LBB208_1948:
	s_or_b32 exec_lo, exec_lo, s0
	s_and_saveexec_b32 s0, vcc_lo
	s_cbranch_execnz .LBB208_2008
.LBB208_1949:
	s_or_b32 exec_lo, exec_lo, s0
	s_and_saveexec_b32 s0, vcc_lo
	s_cbranch_execnz .LBB208_2009
.LBB208_1950:
	s_or_b32 exec_lo, exec_lo, s0
	s_and_saveexec_b32 s0, vcc_lo
	s_cbranch_execnz .LBB208_2010
.LBB208_1951:
	s_or_b32 exec_lo, exec_lo, s0
	s_and_saveexec_b32 s0, vcc_lo
	s_cbranch_execnz .LBB208_2011
.LBB208_1952:
	s_or_b32 exec_lo, exec_lo, s0
	s_and_saveexec_b32 s0, vcc_lo
	s_cbranch_execnz .LBB208_2012
.LBB208_1953:
	s_or_b32 exec_lo, exec_lo, s0
	s_and_saveexec_b32 s0, vcc_lo
	s_cbranch_execnz .LBB208_2013
.LBB208_1954:
	s_or_b32 exec_lo, exec_lo, s0
	s_and_saveexec_b32 s0, vcc_lo
	s_cbranch_execnz .LBB208_2014
.LBB208_1955:
	s_or_b32 exec_lo, exec_lo, s0
	s_and_saveexec_b32 s0, vcc_lo
	s_cbranch_execnz .LBB208_2015
.LBB208_1956:
	s_or_b32 exec_lo, exec_lo, s0
	s_and_saveexec_b32 s0, vcc_lo
	s_cbranch_execnz .LBB208_2016
.LBB208_1957:
	s_or_b32 exec_lo, exec_lo, s0
	s_and_saveexec_b32 s0, vcc_lo
	s_cbranch_execnz .LBB208_2017
.LBB208_1958:
	s_or_b32 exec_lo, exec_lo, s0
	s_and_saveexec_b32 s0, vcc_lo
	s_cbranch_execz .LBB208_1960
.LBB208_1959:
	ds_load_b32 v28, v28 offset:432
	s_wait_dscnt 0x0
	v_add_f32_e32 v27, v28, v27
.LBB208_1960:
	s_or_b32 exec_lo, exec_lo, s0
.LBB208_1961:
	s_delay_alu instid0(SALU_CYCLE_1)
	s_or_b32 exec_lo, exec_lo, s1
	s_mov_b32 s1, 0
	s_mov_b32 s2, exec_lo
	s_barrier_signal -1
	s_barrier_wait -1
	v_cmpx_eq_u32_e32 0, v30
	s_cbranch_execz .LBB208_1963
; %bb.1962:
	s_clause 0x1
	scratch_load_b64 v[28:29], off, s32 offset:1248 th:TH_LOAD_LU
	scratch_load_b32 v30, off, s32 offset:740 th:TH_LOAD_LU
	s_and_b32 s0, 0xffff, s13
	v_mov_b32_e32 v31, 0
	s_cmp_lg_u32 s0, 0
	s_cselect_b32 s0, -1, 0
	s_delay_alu instid0(SALU_CYCLE_1)
	s_cmp_lg_u32 s0, 0
	s_add_co_ci_u32 s0, s5, 0
	s_bfe_u32 s8, ttmp6, 0x40014
	s_mul_i32 s5, s0, s11
	s_lshr_b32 s3, ttmp7, 16
	s_mul_i32 s5, s5, s12
	s_add_co_i32 s8, s8, 1
	s_mul_i32 s6, s5, 0x70
	s_bfe_u32 s9, ttmp6, 0x40008
	s_ashr_i32 s7, s6, 31
	s_mul_i32 s4, s4, s0
	s_mul_i32 s0, s3, s8
	s_ashr_i32 s5, s4, 31
	s_add_co_i32 s9, s9, s0
	s_cmp_eq_u32 s10, 0
	s_cselect_b32 s0, s3, s9
	s_delay_alu instid0(SALU_CYCLE_1) | instskip(SKIP_4) | instid1(VALU_DEP_2)
	s_mulk_i32 s0, 0x1c0
	s_wait_loadcnt 0x1
	v_lshl_add_u64 v[28:29], s[6:7], 2, v[28:29]
	s_wait_loadcnt 0x0
	v_lshrrev_b32_e32 v30, 1, v30
	v_lshl_add_u64 v[28:29], s[4:5], 2, v[28:29]
	s_delay_alu instid0(VALU_DEP_1) | instskip(NEXT) | instid1(VALU_DEP_1)
	v_add_nc_u64_e32 v[28:29], s[0:1], v[28:29]
	v_add_nc_u64_e32 v[28:29], v[28:29], v[30:31]
	s_clause 0x1b
	flat_store_b32 v[28:29], v0
	flat_store_b32 v[28:29], v1 offset:16
	flat_store_b32 v[28:29], v24 offset:32
	;; [unrolled: 1-line block ×27, first 2 shown]
.LBB208_1963:
	s_wait_xcnt 0x0
	s_or_b32 exec_lo, exec_lo, s2
	s_clause 0x2f
	scratch_load_b32 v127, off, s32
	scratch_load_b32 v126, off, s32 offset:4
	scratch_load_b32 v125, off, s32 offset:8
	;; [unrolled: 1-line block ×47, first 2 shown]
	s_wait_loadcnt_dscnt 0x0
	s_set_pc_i64 s[30:31]
.LBB208_1964:
	ds_load_b32 v30, v28
	s_wait_dscnt 0x0
	v_add_f32_e32 v0, v30, v0
	s_or_b32 exec_lo, exec_lo, s0
	s_and_saveexec_b32 s0, vcc_lo
	s_cbranch_execz .LBB208_1900
.LBB208_1965:
	ds_load_b32 v30, v28 offset:16
	s_wait_dscnt 0x0
	v_add_f32_e32 v1, v30, v1
	s_or_b32 exec_lo, exec_lo, s0
	s_and_saveexec_b32 s0, vcc_lo
	s_cbranch_execz .LBB208_1901
.LBB208_1966:
	ds_load_b32 v30, v28 offset:32
	s_wait_dscnt 0x0
	v_add_f32_e32 v24, v30, v24
	s_or_b32 exec_lo, exec_lo, s0
	s_and_saveexec_b32 s0, vcc_lo
	s_cbranch_execz .LBB208_1902
.LBB208_1967:
	ds_load_b32 v30, v28 offset:48
	s_wait_dscnt 0x0
	v_add_f32_e32 v25, v30, v25
	s_or_b32 exec_lo, exec_lo, s0
	s_and_saveexec_b32 s0, vcc_lo
	s_cbranch_execz .LBB208_1903
.LBB208_1968:
	ds_load_b32 v30, v28 offset:64
	s_wait_dscnt 0x0
	v_add_f32_e32 v22, v30, v22
	s_or_b32 exec_lo, exec_lo, s0
	s_and_saveexec_b32 s0, vcc_lo
	s_cbranch_execz .LBB208_1904
.LBB208_1969:
	ds_load_b32 v30, v28 offset:80
	s_wait_dscnt 0x0
	v_add_f32_e32 v23, v30, v23
	s_or_b32 exec_lo, exec_lo, s0
	s_and_saveexec_b32 s0, vcc_lo
	s_cbranch_execz .LBB208_1905
.LBB208_1970:
	ds_load_b32 v30, v28 offset:96
	s_wait_dscnt 0x0
	v_add_f32_e32 v20, v30, v20
	s_or_b32 exec_lo, exec_lo, s0
	s_and_saveexec_b32 s0, vcc_lo
	s_cbranch_execz .LBB208_1906
.LBB208_1971:
	ds_load_b32 v30, v28 offset:112
	s_wait_dscnt 0x0
	v_add_f32_e32 v21, v30, v21
	s_or_b32 exec_lo, exec_lo, s0
	s_and_saveexec_b32 s0, vcc_lo
	s_cbranch_execz .LBB208_1907
.LBB208_1972:
	ds_load_b32 v30, v28 offset:128
	s_wait_dscnt 0x0
	v_add_f32_e32 v18, v30, v18
	s_or_b32 exec_lo, exec_lo, s0
	s_and_saveexec_b32 s0, vcc_lo
	s_cbranch_execz .LBB208_1908
.LBB208_1973:
	ds_load_b32 v30, v28 offset:144
	s_wait_dscnt 0x0
	v_add_f32_e32 v19, v30, v19
	s_or_b32 exec_lo, exec_lo, s0
	s_and_saveexec_b32 s0, vcc_lo
	s_cbranch_execz .LBB208_1909
.LBB208_1974:
	ds_load_b32 v30, v28 offset:160
	s_wait_dscnt 0x0
	v_add_f32_e32 v16, v30, v16
	s_or_b32 exec_lo, exec_lo, s0
	s_and_saveexec_b32 s0, vcc_lo
	s_cbranch_execz .LBB208_1910
.LBB208_1975:
	ds_load_b32 v30, v28 offset:176
	s_wait_dscnt 0x0
	v_add_f32_e32 v17, v30, v17
	s_or_b32 exec_lo, exec_lo, s0
	s_and_saveexec_b32 s0, vcc_lo
	s_cbranch_execz .LBB208_1911
.LBB208_1976:
	ds_load_b32 v30, v28 offset:192
	s_wait_dscnt 0x0
	v_add_f32_e32 v14, v30, v14
	s_or_b32 exec_lo, exec_lo, s0
	s_and_saveexec_b32 s0, vcc_lo
	s_cbranch_execz .LBB208_1912
.LBB208_1977:
	ds_load_b32 v30, v28 offset:208
	s_wait_dscnt 0x0
	v_add_f32_e32 v15, v30, v15
	s_or_b32 exec_lo, exec_lo, s0
	s_and_saveexec_b32 s0, vcc_lo
	s_cbranch_execz .LBB208_1913
.LBB208_1978:
	ds_load_b32 v30, v28 offset:224
	s_wait_dscnt 0x0
	v_add_f32_e32 v12, v30, v12
	s_or_b32 exec_lo, exec_lo, s0
	s_and_saveexec_b32 s0, vcc_lo
	s_cbranch_execz .LBB208_1914
.LBB208_1979:
	ds_load_b32 v30, v28 offset:240
	s_wait_dscnt 0x0
	v_add_f32_e32 v13, v30, v13
	s_or_b32 exec_lo, exec_lo, s0
	s_and_saveexec_b32 s0, vcc_lo
	s_cbranch_execz .LBB208_1915
.LBB208_1980:
	ds_load_b32 v30, v28 offset:256
	s_wait_dscnt 0x0
	v_add_f32_e32 v10, v30, v10
	s_or_b32 exec_lo, exec_lo, s0
	s_and_saveexec_b32 s0, vcc_lo
	s_cbranch_execz .LBB208_1916
.LBB208_1981:
	ds_load_b32 v30, v28 offset:272
	s_wait_dscnt 0x0
	v_add_f32_e32 v11, v30, v11
	s_or_b32 exec_lo, exec_lo, s0
	s_and_saveexec_b32 s0, vcc_lo
	s_cbranch_execz .LBB208_1917
.LBB208_1982:
	ds_load_b32 v30, v28 offset:288
	s_wait_dscnt 0x0
	v_add_f32_e32 v6, v30, v6
	s_or_b32 exec_lo, exec_lo, s0
	s_and_saveexec_b32 s0, vcc_lo
	s_cbranch_execz .LBB208_1918
.LBB208_1983:
	ds_load_b32 v30, v28 offset:304
	s_wait_dscnt 0x0
	v_add_f32_e32 v7, v30, v7
	s_or_b32 exec_lo, exec_lo, s0
	s_and_saveexec_b32 s0, vcc_lo
	s_cbranch_execz .LBB208_1919
.LBB208_1984:
	ds_load_b32 v30, v28 offset:320
	s_wait_dscnt 0x0
	v_add_f32_e32 v8, v30, v8
	s_or_b32 exec_lo, exec_lo, s0
	s_and_saveexec_b32 s0, vcc_lo
	s_cbranch_execz .LBB208_1920
.LBB208_1985:
	ds_load_b32 v30, v28 offset:336
	s_wait_dscnt 0x0
	v_add_f32_e32 v9, v30, v9
	s_or_b32 exec_lo, exec_lo, s0
	s_and_saveexec_b32 s0, vcc_lo
	s_cbranch_execz .LBB208_1921
.LBB208_1986:
	ds_load_b32 v30, v28 offset:352
	s_wait_dscnt 0x0
	v_add_f32_e32 v4, v30, v4
	s_or_b32 exec_lo, exec_lo, s0
	s_and_saveexec_b32 s0, vcc_lo
	s_cbranch_execz .LBB208_1922
.LBB208_1987:
	ds_load_b32 v30, v28 offset:368
	s_wait_dscnt 0x0
	v_add_f32_e32 v5, v30, v5
	s_or_b32 exec_lo, exec_lo, s0
	s_and_saveexec_b32 s0, vcc_lo
	s_cbranch_execz .LBB208_1923
.LBB208_1988:
	ds_load_b32 v30, v28 offset:384
	s_wait_dscnt 0x0
	v_add_f32_e32 v2, v30, v2
	s_or_b32 exec_lo, exec_lo, s0
	s_and_saveexec_b32 s0, vcc_lo
	s_cbranch_execz .LBB208_1924
.LBB208_1989:
	ds_load_b32 v30, v28 offset:400
	s_wait_dscnt 0x0
	v_add_f32_e32 v3, v30, v3
	s_or_b32 exec_lo, exec_lo, s0
	s_and_saveexec_b32 s0, vcc_lo
	s_cbranch_execz .LBB208_1925
.LBB208_1990:
	ds_load_b32 v30, v28 offset:416
	s_wait_dscnt 0x0
	v_add_f32_e32 v26, v30, v26
	s_or_b32 exec_lo, exec_lo, s0
	s_and_saveexec_b32 s0, vcc_lo
	s_cbranch_execnz .LBB208_1926
	s_branch .LBB208_1927
.LBB208_1991:
	ds_load_b32 v29, v28
	s_wait_dscnt 0x0
	v_add_f32_e32 v0, v29, v0
	s_or_b32 exec_lo, exec_lo, s0
	s_and_saveexec_b32 s0, vcc_lo
	s_cbranch_execz .LBB208_1933
.LBB208_1992:
	ds_load_b32 v29, v28 offset:16
	s_wait_dscnt 0x0
	v_add_f32_e32 v1, v29, v1
	s_or_b32 exec_lo, exec_lo, s0
	s_and_saveexec_b32 s0, vcc_lo
	s_cbranch_execz .LBB208_1934
.LBB208_1993:
	ds_load_b32 v29, v28 offset:32
	s_wait_dscnt 0x0
	v_add_f32_e32 v24, v29, v24
	s_or_b32 exec_lo, exec_lo, s0
	s_and_saveexec_b32 s0, vcc_lo
	s_cbranch_execz .LBB208_1935
.LBB208_1994:
	ds_load_b32 v29, v28 offset:48
	s_wait_dscnt 0x0
	v_add_f32_e32 v25, v29, v25
	s_or_b32 exec_lo, exec_lo, s0
	s_and_saveexec_b32 s0, vcc_lo
	s_cbranch_execz .LBB208_1936
.LBB208_1995:
	ds_load_b32 v29, v28 offset:64
	s_wait_dscnt 0x0
	v_add_f32_e32 v22, v29, v22
	s_or_b32 exec_lo, exec_lo, s0
	s_and_saveexec_b32 s0, vcc_lo
	s_cbranch_execz .LBB208_1937
.LBB208_1996:
	ds_load_b32 v29, v28 offset:80
	s_wait_dscnt 0x0
	v_add_f32_e32 v23, v29, v23
	s_or_b32 exec_lo, exec_lo, s0
	s_and_saveexec_b32 s0, vcc_lo
	s_cbranch_execz .LBB208_1938
.LBB208_1997:
	ds_load_b32 v29, v28 offset:96
	s_wait_dscnt 0x0
	v_add_f32_e32 v20, v29, v20
	s_or_b32 exec_lo, exec_lo, s0
	s_and_saveexec_b32 s0, vcc_lo
	s_cbranch_execz .LBB208_1939
.LBB208_1998:
	ds_load_b32 v29, v28 offset:112
	s_wait_dscnt 0x0
	v_add_f32_e32 v21, v29, v21
	s_or_b32 exec_lo, exec_lo, s0
	s_and_saveexec_b32 s0, vcc_lo
	s_cbranch_execz .LBB208_1940
.LBB208_1999:
	ds_load_b32 v29, v28 offset:128
	s_wait_dscnt 0x0
	v_add_f32_e32 v18, v29, v18
	s_or_b32 exec_lo, exec_lo, s0
	s_and_saveexec_b32 s0, vcc_lo
	s_cbranch_execz .LBB208_1941
.LBB208_2000:
	ds_load_b32 v29, v28 offset:144
	s_wait_dscnt 0x0
	v_add_f32_e32 v19, v29, v19
	s_or_b32 exec_lo, exec_lo, s0
	s_and_saveexec_b32 s0, vcc_lo
	s_cbranch_execz .LBB208_1942
.LBB208_2001:
	ds_load_b32 v29, v28 offset:160
	s_wait_dscnt 0x0
	v_add_f32_e32 v16, v29, v16
	s_or_b32 exec_lo, exec_lo, s0
	s_and_saveexec_b32 s0, vcc_lo
	s_cbranch_execz .LBB208_1943
.LBB208_2002:
	ds_load_b32 v29, v28 offset:176
	s_wait_dscnt 0x0
	v_add_f32_e32 v17, v29, v17
	s_or_b32 exec_lo, exec_lo, s0
	s_and_saveexec_b32 s0, vcc_lo
	s_cbranch_execz .LBB208_1944
.LBB208_2003:
	ds_load_b32 v29, v28 offset:192
	s_wait_dscnt 0x0
	v_add_f32_e32 v14, v29, v14
	s_or_b32 exec_lo, exec_lo, s0
	s_and_saveexec_b32 s0, vcc_lo
	s_cbranch_execz .LBB208_1945
.LBB208_2004:
	ds_load_b32 v29, v28 offset:208
	s_wait_dscnt 0x0
	v_add_f32_e32 v15, v29, v15
	s_or_b32 exec_lo, exec_lo, s0
	s_and_saveexec_b32 s0, vcc_lo
	s_cbranch_execz .LBB208_1946
.LBB208_2005:
	ds_load_b32 v29, v28 offset:224
	s_wait_dscnt 0x0
	v_add_f32_e32 v12, v29, v12
	s_or_b32 exec_lo, exec_lo, s0
	s_and_saveexec_b32 s0, vcc_lo
	s_cbranch_execz .LBB208_1947
.LBB208_2006:
	ds_load_b32 v29, v28 offset:240
	s_wait_dscnt 0x0
	v_add_f32_e32 v13, v29, v13
	s_or_b32 exec_lo, exec_lo, s0
	s_and_saveexec_b32 s0, vcc_lo
	s_cbranch_execz .LBB208_1948
.LBB208_2007:
	ds_load_b32 v29, v28 offset:256
	s_wait_dscnt 0x0
	v_add_f32_e32 v10, v29, v10
	s_or_b32 exec_lo, exec_lo, s0
	s_and_saveexec_b32 s0, vcc_lo
	s_cbranch_execz .LBB208_1949
.LBB208_2008:
	ds_load_b32 v29, v28 offset:272
	s_wait_dscnt 0x0
	v_add_f32_e32 v11, v29, v11
	s_or_b32 exec_lo, exec_lo, s0
	s_and_saveexec_b32 s0, vcc_lo
	s_cbranch_execz .LBB208_1950
.LBB208_2009:
	ds_load_b32 v29, v28 offset:288
	s_wait_dscnt 0x0
	v_add_f32_e32 v6, v29, v6
	s_or_b32 exec_lo, exec_lo, s0
	s_and_saveexec_b32 s0, vcc_lo
	s_cbranch_execz .LBB208_1951
.LBB208_2010:
	ds_load_b32 v29, v28 offset:304
	s_wait_dscnt 0x0
	v_add_f32_e32 v7, v29, v7
	s_or_b32 exec_lo, exec_lo, s0
	s_and_saveexec_b32 s0, vcc_lo
	s_cbranch_execz .LBB208_1952
.LBB208_2011:
	ds_load_b32 v29, v28 offset:320
	s_wait_dscnt 0x0
	v_add_f32_e32 v8, v29, v8
	s_or_b32 exec_lo, exec_lo, s0
	s_and_saveexec_b32 s0, vcc_lo
	s_cbranch_execz .LBB208_1953
.LBB208_2012:
	ds_load_b32 v29, v28 offset:336
	s_wait_dscnt 0x0
	v_add_f32_e32 v9, v29, v9
	s_or_b32 exec_lo, exec_lo, s0
	s_and_saveexec_b32 s0, vcc_lo
	s_cbranch_execz .LBB208_1954
.LBB208_2013:
	ds_load_b32 v29, v28 offset:352
	s_wait_dscnt 0x0
	v_add_f32_e32 v4, v29, v4
	s_or_b32 exec_lo, exec_lo, s0
	s_and_saveexec_b32 s0, vcc_lo
	s_cbranch_execz .LBB208_1955
.LBB208_2014:
	ds_load_b32 v29, v28 offset:368
	s_wait_dscnt 0x0
	v_add_f32_e32 v5, v29, v5
	s_or_b32 exec_lo, exec_lo, s0
	s_and_saveexec_b32 s0, vcc_lo
	s_cbranch_execz .LBB208_1956
.LBB208_2015:
	ds_load_b32 v29, v28 offset:384
	s_wait_dscnt 0x0
	v_add_f32_e32 v2, v29, v2
	s_or_b32 exec_lo, exec_lo, s0
	s_and_saveexec_b32 s0, vcc_lo
	s_cbranch_execz .LBB208_1957
.LBB208_2016:
	ds_load_b32 v29, v28 offset:400
	s_wait_dscnt 0x0
	v_add_f32_e32 v3, v29, v3
	s_or_b32 exec_lo, exec_lo, s0
	s_and_saveexec_b32 s0, vcc_lo
	s_cbranch_execz .LBB208_1958
.LBB208_2017:
	ds_load_b32 v29, v28 offset:416
	s_wait_dscnt 0x0
	v_add_f32_e32 v26, v29, v26
	s_or_b32 exec_lo, exec_lo, s0
	s_and_saveexec_b32 s0, vcc_lo
	s_cbranch_execnz .LBB208_1959
	s_branch .LBB208_1960
.Lfunc_end208:
	.size	_ZN4vllm22paged_attention_kernelIfhLi112ELi32ELi128ELNS_18Fp8KVCacheDataTypeE1ELb1ELi0EEEvPfS2_PT_PKS3_PKT0_S9_ifPKiSB_iPKfiiiSD_SD_iiiii, .Lfunc_end208-_ZN4vllm22paged_attention_kernelIfhLi112ELi32ELi128ELNS_18Fp8KVCacheDataTypeE1ELb1ELi0EEEvPfS2_PT_PKS3_PKT0_S9_ifPKiSB_iPKfiiiSD_SD_iiiii
                                        ; -- End function
	.set .L_ZN4vllm22paged_attention_kernelIfhLi112ELi32ELi128ELNS_18Fp8KVCacheDataTypeE1ELb1ELi0EEEvPfS2_PT_PKS3_PKT0_S9_ifPKiSB_iPKfiiiSD_SD_iiiii.num_vgpr, 128
	.set .L_ZN4vllm22paged_attention_kernelIfhLi112ELi32ELi128ELNS_18Fp8KVCacheDataTypeE1ELb1ELi0EEEvPfS2_PT_PKS3_PKT0_S9_ifPKiSB_iPKfiiiSD_SD_iiiii.num_agpr, 0
	.set .L_ZN4vllm22paged_attention_kernelIfhLi112ELi32ELi128ELNS_18Fp8KVCacheDataTypeE1ELb1ELi0EEEvPfS2_PT_PKS3_PKT0_S9_ifPKiSB_iPKfiiiSD_SD_iiiii.numbered_sgpr, 33
	.set .L_ZN4vllm22paged_attention_kernelIfhLi112ELi32ELi128ELNS_18Fp8KVCacheDataTypeE1ELb1ELi0EEEvPfS2_PT_PKS3_PKT0_S9_ifPKiSB_iPKfiiiSD_SD_iiiii.num_named_barrier, 0
	.set .L_ZN4vllm22paged_attention_kernelIfhLi112ELi32ELi128ELNS_18Fp8KVCacheDataTypeE1ELb1ELi0EEEvPfS2_PT_PKS3_PKT0_S9_ifPKiSB_iPKfiiiSD_SD_iiiii.private_seg_size, 1292
	.set .L_ZN4vllm22paged_attention_kernelIfhLi112ELi32ELi128ELNS_18Fp8KVCacheDataTypeE1ELb1ELi0EEEvPfS2_PT_PKS3_PKT0_S9_ifPKiSB_iPKfiiiSD_SD_iiiii.uses_vcc, 1
	.set .L_ZN4vllm22paged_attention_kernelIfhLi112ELi32ELi128ELNS_18Fp8KVCacheDataTypeE1ELb1ELi0EEEvPfS2_PT_PKS3_PKT0_S9_ifPKiSB_iPKfiiiSD_SD_iiiii.uses_flat_scratch, 1
	.set .L_ZN4vllm22paged_attention_kernelIfhLi112ELi32ELi128ELNS_18Fp8KVCacheDataTypeE1ELb1ELi0EEEvPfS2_PT_PKS3_PKT0_S9_ifPKiSB_iPKfiiiSD_SD_iiiii.has_dyn_sized_stack, 0
	.set .L_ZN4vllm22paged_attention_kernelIfhLi112ELi32ELi128ELNS_18Fp8KVCacheDataTypeE1ELb1ELi0EEEvPfS2_PT_PKS3_PKT0_S9_ifPKiSB_iPKfiiiSD_SD_iiiii.has_recursion, 0
	.set .L_ZN4vllm22paged_attention_kernelIfhLi112ELi32ELi128ELNS_18Fp8KVCacheDataTypeE1ELb1ELi0EEEvPfS2_PT_PKS3_PKT0_S9_ifPKiSB_iPKfiiiSD_SD_iiiii.has_indirect_call, 0
	.section	.AMDGPU.csdata,"",@progbits
; Function info:
; codeLenInByte = 76396
; TotalNumSgprs: 35
; NumVgprs: 128
; ScratchSize: 1292
; MemoryBound: 0
	.section	.text._ZN4vllm25paged_attention_v1_kernelIfhLi112ELi32ELi128ELNS_18Fp8KVCacheDataTypeE1ELb1EEEvPT_PKS2_PKT0_S8_ifPKiSA_iPKfiiiSC_SC_iiiii,"axG",@progbits,_ZN4vllm25paged_attention_v1_kernelIfhLi112ELi32ELi128ELNS_18Fp8KVCacheDataTypeE1ELb1EEEvPT_PKS2_PKT0_S8_ifPKiSA_iPKfiiiSC_SC_iiiii,comdat
	.protected	_ZN4vllm25paged_attention_v1_kernelIfhLi112ELi32ELi128ELNS_18Fp8KVCacheDataTypeE1ELb1EEEvPT_PKS2_PKT0_S8_ifPKiSA_iPKfiiiSC_SC_iiiii ; -- Begin function _ZN4vllm25paged_attention_v1_kernelIfhLi112ELi32ELi128ELNS_18Fp8KVCacheDataTypeE1ELb1EEEvPT_PKS2_PKT0_S8_ifPKiSA_iPKfiiiSC_SC_iiiii
	.globl	_ZN4vllm25paged_attention_v1_kernelIfhLi112ELi32ELi128ELNS_18Fp8KVCacheDataTypeE1ELb1EEEvPT_PKS2_PKT0_S8_ifPKiSA_iPKfiiiSC_SC_iiiii
	.p2align	8
	.type	_ZN4vllm25paged_attention_v1_kernelIfhLi112ELi32ELi128ELNS_18Fp8KVCacheDataTypeE1ELb1EEEvPT_PKS2_PKT0_S8_ifPKiSA_iPKfiiiSC_SC_iiiii,@function
_ZN4vllm25paged_attention_v1_kernelIfhLi112ELi32ELi128ELNS_18Fp8KVCacheDataTypeE1ELb1EEEvPT_PKS2_PKT0_S8_ifPKiSA_iPKfiiiSC_SC_iiiii: ; @_ZN4vllm25paged_attention_v1_kernelIfhLi112ELi32ELi128ELNS_18Fp8KVCacheDataTypeE1ELb1EEEvPT_PKS2_PKT0_S8_ifPKiSA_iPKfiiiSC_SC_iiiii
; %bb.0:
	s_clause 0x6
	s_load_b256 s[12:19], s[0:1], 0x0
	s_load_b128 s[4:7], s[0:1], 0x20
	s_load_b96 s[28:30], s[0:1], 0x30
	s_load_b64 s[10:11], s[0:1], 0x40
	s_load_b96 s[36:38], s[0:1], 0x48
	s_load_b256 s[20:27], s[0:1], 0x58
	s_load_b32 s31, s[0:1], 0x78
	v_mov_b32_e32 v31, v0
	s_get_pc_i64 s[2:3]
	s_add_nc_u64 s[2:3], s[2:3], _ZN4vllm22paged_attention_kernelIfhLi112ELi32ELi128ELNS_18Fp8KVCacheDataTypeE1ELb1ELi0EEEvPfS2_PT_PKS3_PKT0_S9_ifPKiSB_iPKfiiiSD_SD_iiiii@rel64+4
	s_add_nc_u64 s[8:9], s[0:1], 0x80
	s_mov_b32 s32, 0
	s_wait_kmcnt 0x0
	v_dual_mov_b32 v15, s10 :: v_dual_mov_b32 v16, s11
	v_dual_mov_b32 v0, s12 :: v_dual_mov_b32 v1, s13
	;; [unrolled: 1-line block ×14, first 2 shown]
	v_mov_b32_e32 v28, s31
	s_mov_b32 s15, 17
	s_swap_pc_i64 s[30:31], s[2:3]
	s_endpgm
	.section	.rodata,"a",@progbits
	.p2align	6, 0x0
	.amdhsa_kernel _ZN4vllm25paged_attention_v1_kernelIfhLi112ELi32ELi128ELNS_18Fp8KVCacheDataTypeE1ELb1EEEvPT_PKS2_PKT0_S8_ifPKiSA_iPKfiiiSC_SC_iiiii
		.amdhsa_group_segment_fixed_size 480
		.amdhsa_private_segment_fixed_size 1292
		.amdhsa_kernarg_size 384
		.amdhsa_user_sgpr_count 2
		.amdhsa_user_sgpr_dispatch_ptr 0
		.amdhsa_user_sgpr_queue_ptr 0
		.amdhsa_user_sgpr_kernarg_segment_ptr 1
		.amdhsa_user_sgpr_dispatch_id 0
		.amdhsa_user_sgpr_kernarg_preload_length 0
		.amdhsa_user_sgpr_kernarg_preload_offset 0
		.amdhsa_user_sgpr_private_segment_size 0
		.amdhsa_wavefront_size32 1
		.amdhsa_uses_dynamic_stack 0
		.amdhsa_enable_private_segment 1
		.amdhsa_system_sgpr_workgroup_id_x 1
		.amdhsa_system_sgpr_workgroup_id_y 1
		.amdhsa_system_sgpr_workgroup_id_z 1
		.amdhsa_system_sgpr_workgroup_info 0
		.amdhsa_system_vgpr_workitem_id 0
		.amdhsa_next_free_vgpr 128
		.amdhsa_next_free_sgpr 39
		.amdhsa_named_barrier_count 0
		.amdhsa_reserve_vcc 1
		.amdhsa_float_round_mode_32 0
		.amdhsa_float_round_mode_16_64 0
		.amdhsa_float_denorm_mode_32 3
		.amdhsa_float_denorm_mode_16_64 3
		.amdhsa_fp16_overflow 0
		.amdhsa_memory_ordered 1
		.amdhsa_forward_progress 1
		.amdhsa_inst_pref_size 2
		.amdhsa_round_robin_scheduling 0
		.amdhsa_exception_fp_ieee_invalid_op 0
		.amdhsa_exception_fp_denorm_src 0
		.amdhsa_exception_fp_ieee_div_zero 0
		.amdhsa_exception_fp_ieee_overflow 0
		.amdhsa_exception_fp_ieee_underflow 0
		.amdhsa_exception_fp_ieee_inexact 0
		.amdhsa_exception_int_div_zero 0
	.end_amdhsa_kernel
	.section	.text._ZN4vllm25paged_attention_v1_kernelIfhLi112ELi32ELi128ELNS_18Fp8KVCacheDataTypeE1ELb1EEEvPT_PKS2_PKT0_S8_ifPKiSA_iPKfiiiSC_SC_iiiii,"axG",@progbits,_ZN4vllm25paged_attention_v1_kernelIfhLi112ELi32ELi128ELNS_18Fp8KVCacheDataTypeE1ELb1EEEvPT_PKS2_PKT0_S8_ifPKiSA_iPKfiiiSC_SC_iiiii,comdat
.Lfunc_end209:
	.size	_ZN4vllm25paged_attention_v1_kernelIfhLi112ELi32ELi128ELNS_18Fp8KVCacheDataTypeE1ELb1EEEvPT_PKS2_PKT0_S8_ifPKiSA_iPKfiiiSC_SC_iiiii, .Lfunc_end209-_ZN4vllm25paged_attention_v1_kernelIfhLi112ELi32ELi128ELNS_18Fp8KVCacheDataTypeE1ELb1EEEvPT_PKS2_PKT0_S8_ifPKiSA_iPKfiiiSC_SC_iiiii
                                        ; -- End function
	.set _ZN4vllm25paged_attention_v1_kernelIfhLi112ELi32ELi128ELNS_18Fp8KVCacheDataTypeE1ELb1EEEvPT_PKS2_PKT0_S8_ifPKiSA_iPKfiiiSC_SC_iiiii.num_vgpr, max(32, .L_ZN4vllm22paged_attention_kernelIfhLi112ELi32ELi128ELNS_18Fp8KVCacheDataTypeE1ELb1ELi0EEEvPfS2_PT_PKS3_PKT0_S9_ifPKiSB_iPKfiiiSD_SD_iiiii.num_vgpr)
	.set _ZN4vllm25paged_attention_v1_kernelIfhLi112ELi32ELi128ELNS_18Fp8KVCacheDataTypeE1ELb1EEEvPT_PKS2_PKT0_S8_ifPKiSA_iPKfiiiSC_SC_iiiii.num_agpr, max(0, .L_ZN4vllm22paged_attention_kernelIfhLi112ELi32ELi128ELNS_18Fp8KVCacheDataTypeE1ELb1ELi0EEEvPfS2_PT_PKS3_PKT0_S9_ifPKiSB_iPKfiiiSD_SD_iiiii.num_agpr)
	.set _ZN4vllm25paged_attention_v1_kernelIfhLi112ELi32ELi128ELNS_18Fp8KVCacheDataTypeE1ELb1EEEvPT_PKS2_PKT0_S8_ifPKiSA_iPKfiiiSC_SC_iiiii.numbered_sgpr, max(39, .L_ZN4vllm22paged_attention_kernelIfhLi112ELi32ELi128ELNS_18Fp8KVCacheDataTypeE1ELb1ELi0EEEvPfS2_PT_PKS3_PKT0_S9_ifPKiSB_iPKfiiiSD_SD_iiiii.numbered_sgpr)
	.set _ZN4vllm25paged_attention_v1_kernelIfhLi112ELi32ELi128ELNS_18Fp8KVCacheDataTypeE1ELb1EEEvPT_PKS2_PKT0_S8_ifPKiSA_iPKfiiiSC_SC_iiiii.num_named_barrier, max(0, .L_ZN4vllm22paged_attention_kernelIfhLi112ELi32ELi128ELNS_18Fp8KVCacheDataTypeE1ELb1ELi0EEEvPfS2_PT_PKS3_PKT0_S9_ifPKiSB_iPKfiiiSD_SD_iiiii.num_named_barrier)
	.set _ZN4vllm25paged_attention_v1_kernelIfhLi112ELi32ELi128ELNS_18Fp8KVCacheDataTypeE1ELb1EEEvPT_PKS2_PKT0_S8_ifPKiSA_iPKfiiiSC_SC_iiiii.private_seg_size, 0+max(.L_ZN4vllm22paged_attention_kernelIfhLi112ELi32ELi128ELNS_18Fp8KVCacheDataTypeE1ELb1ELi0EEEvPfS2_PT_PKS3_PKT0_S9_ifPKiSB_iPKfiiiSD_SD_iiiii.private_seg_size)
	.set _ZN4vllm25paged_attention_v1_kernelIfhLi112ELi32ELi128ELNS_18Fp8KVCacheDataTypeE1ELb1EEEvPT_PKS2_PKT0_S8_ifPKiSA_iPKfiiiSC_SC_iiiii.uses_vcc, or(1, .L_ZN4vllm22paged_attention_kernelIfhLi112ELi32ELi128ELNS_18Fp8KVCacheDataTypeE1ELb1ELi0EEEvPfS2_PT_PKS3_PKT0_S9_ifPKiSB_iPKfiiiSD_SD_iiiii.uses_vcc)
	.set _ZN4vllm25paged_attention_v1_kernelIfhLi112ELi32ELi128ELNS_18Fp8KVCacheDataTypeE1ELb1EEEvPT_PKS2_PKT0_S8_ifPKiSA_iPKfiiiSC_SC_iiiii.uses_flat_scratch, or(0, .L_ZN4vllm22paged_attention_kernelIfhLi112ELi32ELi128ELNS_18Fp8KVCacheDataTypeE1ELb1ELi0EEEvPfS2_PT_PKS3_PKT0_S9_ifPKiSB_iPKfiiiSD_SD_iiiii.uses_flat_scratch)
	.set _ZN4vllm25paged_attention_v1_kernelIfhLi112ELi32ELi128ELNS_18Fp8KVCacheDataTypeE1ELb1EEEvPT_PKS2_PKT0_S8_ifPKiSA_iPKfiiiSC_SC_iiiii.has_dyn_sized_stack, or(0, .L_ZN4vllm22paged_attention_kernelIfhLi112ELi32ELi128ELNS_18Fp8KVCacheDataTypeE1ELb1ELi0EEEvPfS2_PT_PKS3_PKT0_S9_ifPKiSB_iPKfiiiSD_SD_iiiii.has_dyn_sized_stack)
	.set _ZN4vllm25paged_attention_v1_kernelIfhLi112ELi32ELi128ELNS_18Fp8KVCacheDataTypeE1ELb1EEEvPT_PKS2_PKT0_S8_ifPKiSA_iPKfiiiSC_SC_iiiii.has_recursion, or(0, .L_ZN4vllm22paged_attention_kernelIfhLi112ELi32ELi128ELNS_18Fp8KVCacheDataTypeE1ELb1ELi0EEEvPfS2_PT_PKS3_PKT0_S9_ifPKiSB_iPKfiiiSD_SD_iiiii.has_recursion)
	.set _ZN4vllm25paged_attention_v1_kernelIfhLi112ELi32ELi128ELNS_18Fp8KVCacheDataTypeE1ELb1EEEvPT_PKS2_PKT0_S8_ifPKiSA_iPKfiiiSC_SC_iiiii.has_indirect_call, or(0, .L_ZN4vllm22paged_attention_kernelIfhLi112ELi32ELi128ELNS_18Fp8KVCacheDataTypeE1ELb1ELi0EEEvPfS2_PT_PKS3_PKT0_S9_ifPKiSB_iPKfiiiSD_SD_iiiii.has_indirect_call)
	.section	.AMDGPU.csdata,"",@progbits
; Kernel info:
; codeLenInByte = 224
; TotalNumSgprs: 41
; NumVgprs: 128
; ScratchSize: 1292
; MemoryBound: 0
; FloatMode: 240
; IeeeMode: 1
; LDSByteSize: 480 bytes/workgroup (compile time only)
; SGPRBlocks: 0
; VGPRBlocks: 7
; NumSGPRsForWavesPerEU: 41
; NumVGPRsForWavesPerEU: 128
; NamedBarCnt: 0
; Occupancy: 8
; WaveLimiterHint : 1
; COMPUTE_PGM_RSRC2:SCRATCH_EN: 1
; COMPUTE_PGM_RSRC2:USER_SGPR: 2
; COMPUTE_PGM_RSRC2:TRAP_HANDLER: 0
; COMPUTE_PGM_RSRC2:TGID_X_EN: 1
; COMPUTE_PGM_RSRC2:TGID_Y_EN: 1
; COMPUTE_PGM_RSRC2:TGID_Z_EN: 1
; COMPUTE_PGM_RSRC2:TIDIG_COMP_CNT: 0
	.text
	.p2align	2                               ; -- Begin function _ZN4vllm22paged_attention_kernelIfhLi120ELi32ELi128ELNS_18Fp8KVCacheDataTypeE1ELb1ELi0EEEvPfS2_PT_PKS3_PKT0_S9_ifPKiSB_iPKfiiiSD_SD_iiiii
	.type	_ZN4vllm22paged_attention_kernelIfhLi120ELi32ELi128ELNS_18Fp8KVCacheDataTypeE1ELb1ELi0EEEvPfS2_PT_PKS3_PKT0_S9_ifPKiSB_iPKfiiiSD_SD_iiiii,@function
_ZN4vllm22paged_attention_kernelIfhLi120ELi32ELi128ELNS_18Fp8KVCacheDataTypeE1ELb1ELi0EEEvPfS2_PT_PKS3_PKT0_S9_ifPKiSB_iPKfiiiSD_SD_iiiii: ; @_ZN4vllm22paged_attention_kernelIfhLi120ELi32ELi128ELNS_18Fp8KVCacheDataTypeE1ELb1ELi0EEEvPfS2_PT_PKS3_PKT0_S9_ifPKiSB_iPKfiiiSD_SD_iiiii
; %bb.0:
	s_wait_loadcnt_dscnt 0x0
	s_wait_kmcnt 0x0
	s_clause 0x2f
	scratch_store_b32 off, v40, s32 offset:188
	; meta instruction
	scratch_store_b32 off, v41, s32 offset:184
	; meta instruction
	;; [unrolled: 2-line block ×47, first 2 shown]
	scratch_store_b32 off, v127, s32
	s_bfe_u32 s0, ttmp6, 0x4000c
	s_bfe_u32 s3, ttmp6, 0x40010
	s_add_co_i32 s0, s0, 1
	s_and_b32 s1, ttmp6, 15
	s_mul_i32 s0, ttmp9, s0
	s_and_b32 s4, ttmp7, 0xffff
	s_add_co_i32 s3, s3, 1
	s_add_co_i32 s1, s1, s0
	s_mul_i32 s0, s4, s3
	s_bfe_u32 s3, ttmp6, 0x40004
	s_getreg_b32 s10, hwreg(HW_REG_IB_STS2, 6, 4)
	s_add_co_i32 s3, s3, s0
	s_cmp_eq_u32 s10, 0
	s_mov_b32 s7, 0
	s_cselect_b32 s11, s4, s3
	s_cselect_b32 s0, ttmp9, s1
	s_lshl_b32 s6, s11, 2
	s_clause 0x6
	scratch_store_b64 off, v[22:23], s32 offset:900
	scratch_store_b64 off, v[20:21], s32 offset:908
	;; [unrolled: 1-line block ×4, first 2 shown]
	scratch_store_b32 off, v9, s32 offset:916
	scratch_store_b64 off, v[6:7], s32 offset:1456
	scratch_store_b64 off, v[0:1], s32 offset:1448
	s_wait_xcnt 0x1
	v_add_nc_u64_e32 v[6:7], s[6:7], v[12:13]
	s_wait_xcnt 0x0
	v_mov_b32_e32 v1, 0
	s_clause 0x1
	s_load_u16 s1, s[8:9], 0x12
	s_load_b32 s3, s[8:9], 0x0
	v_dual_mov_b32 v33, v16 :: v_dual_mov_b32 v32, v15
	s_mov_b32 s2, s15
	flat_load_b32 v6, v[6:7]
	s_wait_kmcnt 0x0
	s_cmp_lg_u32 s1, 0
	s_cselect_b32 s1, -1, 0
	s_delay_alu instid0(SALU_CYCLE_1)
	s_cmp_lg_u32 s1, 0
	s_add_co_ci_u32 s12, s3, 0
	s_abs_i32 s6, s0
	s_mov_b32 s3, exec_lo
	s_abs_i32 s1, s12
	s_wait_loadcnt_dscnt 0x0
	scratch_store_b64 off, v[6:7], s32 offset:192 ; 8-byte Folded Spill
	s_wait_xcnt 0x0
	v_sub_nc_u32_e32 v6, 0, v8
	global_load_u16 v0, v1, s[8:9] offset:22
	v_max_i32_e32 v6, v8, v6
	s_delay_alu instid0(VALU_DEP_1) | instskip(NEXT) | instid1(VALU_DEP_1)
	v_cvt_f32_u32_e32 v7, v6
	v_rcp_iflag_f32_e32 v7, v7
	v_nop
	s_delay_alu instid0(TRANS32_DEP_1) | instskip(SKIP_1) | instid1(VALU_DEP_2)
	v_mul_f32_e32 v7, 0x4f7ffffe, v7
	v_sub_nc_u32_e32 v9, 0, v6
	v_cvt_u32_f32_e32 v7, v7
	s_delay_alu instid0(VALU_DEP_1) | instskip(NEXT) | instid1(VALU_DEP_1)
	v_mul_lo_u32 v9, v9, v7
	v_mul_hi_u32 v9, v7, v9
	s_delay_alu instid0(VALU_DEP_1) | instskip(NEXT) | instid1(VALU_DEP_1)
	v_add_nc_u32_e32 v7, v7, v9
	v_mul_hi_u32 v7, s1, v7
	s_delay_alu instid0(VALU_DEP_1) | instskip(NEXT) | instid1(VALU_DEP_1)
	v_mul_lo_u32 v9, v7, v6
	v_dual_add_nc_u32 v10, 1, v7 :: v_dual_sub_nc_u32 v9, s1, v9
	s_delay_alu instid0(VALU_DEP_1) | instskip(SKIP_1) | instid1(VALU_DEP_3)
	v_sub_nc_u32_e32 v11, v9, v6
	v_cmp_ge_u32_e32 vcc_lo, v9, v6
	v_dual_cndmask_b32 v7, v7, v10, vcc_lo :: v_dual_bitop2_b32 v10, s12, v8 bitop3:0x14
	s_delay_alu instid0(VALU_DEP_3) | instskip(NEXT) | instid1(VALU_DEP_2)
	v_cndmask_b32_e32 v9, v9, v11, vcc_lo
	v_dual_add_nc_u32 v11, 1, v7 :: v_dual_ashrrev_i32 v10, 31, v10
	s_delay_alu instid0(VALU_DEP_2) | instskip(NEXT) | instid1(VALU_DEP_2)
	v_cmp_ge_u32_e32 vcc_lo, v9, v6
	v_cndmask_b32_e32 v6, v7, v11, vcc_lo
	s_delay_alu instid0(VALU_DEP_1) | instskip(NEXT) | instid1(VALU_DEP_1)
	v_xor_b32_e32 v6, v6, v10
	v_sub_nc_u32_e32 v7, v6, v10
	s_delay_alu instid0(VALU_DEP_1) | instskip(NEXT) | instid1(VALU_DEP_1)
	v_sub_nc_u32_e32 v6, 0, v7
	v_max_i32_e32 v6, v7, v6
	s_delay_alu instid0(VALU_DEP_1) | instskip(SKIP_1) | instid1(VALU_DEP_2)
	v_cvt_f32_u32_e32 v9, v6
	v_sub_nc_u32_e32 v10, 0, v6
	v_rcp_iflag_f32_e32 v9, v9
	v_nop
	s_delay_alu instid0(TRANS32_DEP_1) | instskip(NEXT) | instid1(VALU_DEP_1)
	v_mul_f32_e32 v9, 0x4f7ffffe, v9
	v_cvt_u32_f32_e32 v9, v9
	s_delay_alu instid0(VALU_DEP_1) | instskip(NEXT) | instid1(VALU_DEP_1)
	v_mul_lo_u32 v10, v10, v9
	v_mul_hi_u32 v10, v9, v10
	s_wait_loadcnt 0x0
	v_readfirstlane_b32 s13, v0
	s_delay_alu instid0(VALU_DEP_2)
	v_add_nc_u32_e32 v0, v9, v10
	v_mov_b32_e32 v9, v1
	scratch_store_b32 off, v9, s32 offset:896 ; 4-byte Folded Spill
	s_wait_xcnt 0x0
	v_cmpx_ne_u64_e32 0, v[32:33]
	s_cbranch_execz .LBB210_2
; %bb.1:
	s_ashr_i32 s1, s0, 31
	s_delay_alu instid0(SALU_CYCLE_1)
	v_lshl_add_u64 v[10:11], s[0:1], 2, v[32:33]
	flat_load_b32 v9, v[10:11]
	s_wait_loadcnt_dscnt 0x0
	scratch_store_b32 off, v9, s32 offset:896 ; 4-byte Folded Spill
.LBB210_2:
	s_wait_xcnt 0x0
	s_or_b32 exec_lo, exec_lo, s3
	v_mul_u64_e32 v[0:1], s[6:7], v[0:1]
	v_and_b32_e32 v9, 0x3ff, v31
	v_ashrrev_i32_e32 v0, 31, v7
	s_ashr_i32 s1, s0, 31
	s_mul_i32 s4, s0, 0x78
	s_mov_b32 s3, exec_lo
	scratch_store_b32 off, v9, s32 offset:892 ; 4-byte Folded Spill
	s_wait_xcnt 0x0
	v_cmpx_gt_u32_e32 30, v9
	s_cbranch_execz .LBB210_4
; %bb.3:
	scratch_load_b32 v7, off, s32 offset:892 ; 4-byte Folded Reload
	v_mul_lo_u32 v10, v17, s11
	s_ashr_i32 s5, s4, 31
	s_delay_alu instid0(VALU_DEP_1) | instskip(SKIP_2) | instid1(VALU_DEP_2)
	v_dual_mov_b32 v17, 0 :: v_dual_ashrrev_i32 v11, 31, v10
	s_wait_loadcnt 0x0
	v_lshlrev_b32_e32 v16, 4, v7
	v_lshl_add_u64 v[2:3], v[10:11], 2, v[2:3]
	s_delay_alu instid0(VALU_DEP_1) | instskip(NEXT) | instid1(VALU_DEP_1)
	v_lshl_add_u64 v[2:3], s[4:5], 2, v[2:3]
	v_add_nc_u64_e32 v[2:3], v[2:3], v[16:17]
	flat_load_b128 v[10:13], v[2:3]
	s_wait_loadcnt_dscnt 0x0
	ds_store_b128 v16, v[10:13]
.LBB210_4:
	s_wait_xcnt 0x0
	s_or_b32 exec_lo, exec_lo, s3
	scratch_load_b64 v[12:13], off, s32 offset:192 ; 8-byte Folded Reload
	v_dual_sub_nc_u32 v2, 0, v27 :: v_dual_add_nc_u32 v9, 1, v1
	v_mul_lo_u32 v3, v1, v6
	v_xor_b32_e32 v11, s1, v0
	s_mov_b32 s1, exec_lo
	s_delay_alu instid0(VALU_DEP_3) | instskip(NEXT) | instid1(VALU_DEP_1)
	v_max_i32_e32 v7, v27, v2
	v_cvt_f32_u32_e32 v2, v7
	s_delay_alu instid0(VALU_DEP_4) | instskip(NEXT) | instid1(VALU_DEP_2)
	v_sub_nc_u32_e32 v3, s6, v3
	v_rcp_iflag_f32_e32 v2, v2
	s_delay_alu instid0(VALU_DEP_1) | instskip(NEXT) | instid1(TRANS32_DEP_1)
	v_cmp_ge_u32_e32 vcc_lo, v3, v6
	v_mul_f32_e32 v2, 0x4f7ffffe, v2
	scratch_store_b32 off, v7, s32 offset:220 ; 4-byte Folded Spill
	s_wait_xcnt 0x0
	v_dual_sub_nc_u32 v7, 0, v7 :: v_dual_cndmask_b32 v1, v1, v9, vcc_lo
	v_cvt_u32_f32_e32 v2, v2
	s_delay_alu instid0(VALU_DEP_2) | instskip(NEXT) | instid1(VALU_DEP_2)
	v_add_nc_u32_e32 v9, 1, v1
	v_mul_lo_u32 v10, v7, v2
	v_sub_nc_u32_e32 v7, v3, v6
	s_delay_alu instid0(VALU_DEP_1) | instskip(NEXT) | instid1(VALU_DEP_3)
	v_cndmask_b32_e32 v3, v3, v7, vcc_lo
	v_mul_hi_u32 v10, v2, v10
	s_wait_loadcnt 0x0
	v_add_nc_u32_e32 v7, -1, v12
	s_delay_alu instid0(VALU_DEP_3) | instskip(NEXT) | instid1(VALU_DEP_3)
	v_cmp_ge_u32_e32 vcc_lo, v3, v6
	v_add_nc_u32_e32 v12, v2, v10
                                        ; implicit-def: $vgpr2
                                        ; kill: killed $vgpr2
	v_dual_cndmask_b32 v0, v1, v9 :: v_dual_mov_b32 v1, 0
	s_delay_alu instid0(VALU_DEP_4) | instskip(NEXT) | instid1(VALU_DEP_2)
	v_sub_nc_u32_e32 v3, 0, v7
	v_dual_mov_b32 v13, v1 :: v_dual_bitop2_b32 v6, v0, v11 bitop3:0x14
	s_delay_alu instid0(VALU_DEP_2) | instskip(NEXT) | instid1(VALU_DEP_2)
	v_max_i32_e32 v0, v7, v3
	v_sub_nc_u32_e32 v6, v6, v11
	scratch_store_b64 off, v[12:13], s32 offset:224 ; 8-byte Folded Spill
	s_wait_storecnt_dscnt 0x0
	s_barrier_signal -1
	s_barrier_wait -1
	s_wait_xcnt 0x0
	v_cmpx_gt_i32_e32 0, v28
	s_xor_b32 s1, exec_lo, s1
	s_cbranch_execz .LBB210_6
; %bb.5:
	v_mad_u32 v2, v24, v8, v6
                                        ; implicit-def: $vgpr24
	s_delay_alu instid0(VALU_DEP_1) | instskip(NEXT) | instid1(VALU_DEP_1)
	v_mul_lo_u32 v2, v2, v28
                                        ; implicit-def: $vgpr28
	v_sub_nc_u32_e32 v2, 1, v2
	scratch_store_b32 off, v2, s32 offset:236 ; 4-byte Folded Spill
.LBB210_6:
	s_wait_xcnt 0x0
	s_or_saveexec_b32 s1, s1
	scratch_load_b64 v[2:3], off, s32 offset:224 ; 8-byte Folded Reload
	s_wait_loadcnt 0x0
	v_mul_u64_e32 v[2:3], v[0:1], v[2:3]
	v_ashrrev_i32_e32 v1, 31, v7
	v_ashrrev_i32_e32 v2, 31, v27
	scratch_store_b32 off, v2, s32 offset:232 ; 4-byte Folded Spill
	s_wait_xcnt 0x0
	s_xor_b32 exec_lo, exec_lo, s1
	s_cbranch_execz .LBB210_8
; %bb.7:
	v_mad_u32 v2, s12, v24, s0
	s_delay_alu instid0(VALU_DEP_1)
	v_mad_u32 v2, v2, v28, 1
	scratch_store_b32 off, v2, s32 offset:236 ; 4-byte Folded Spill
.LBB210_8:
	s_wait_xcnt 0x0
	s_or_b32 exec_lo, exec_lo, s1
	s_clause 0x1
	scratch_load_b32 v12, off, s32 offset:220
	scratch_load_b64 v[8:9], off, s32 offset:192
	v_mul_lo_u32 v14, v14, s11
	s_load_b32 s5, s[8:9], 0x8
	s_ashr_i32 s3, s2, 31
	s_get_pc_i64 s[6:7]
	s_add_nc_u64 s[6:7], s[6:7], llvm.amdgcn.dynlds.offset.table@rel64+4
	s_lshl_b64 s[2:3], s[2:3], 2
	s_wait_loadcnt 0x0
	scratch_load_b32 v9, off, s32 offset:892 ; 4-byte Folded Reload
	s_add_nc_u64 s[6:7], s[6:7], s[2:3]
	v_mul_lo_u32 v2, v3, v12
	s_wait_loadcnt 0x0
	s_delay_alu instid0(VALU_DEP_1) | instskip(SKIP_1) | instid1(VALU_DEP_2)
	v_dual_lshrrev_b32 v10, 5, v9 :: v_dual_sub_nc_u32 v0, v0, v2
	v_add_nc_u32_e32 v2, 1, v3
	v_cmp_ge_u32_e32 vcc_lo, v0, v12
	s_delay_alu instid0(VALU_DEP_2) | instskip(SKIP_3) | instid1(VALU_DEP_1)
	v_dual_cndmask_b32 v2, v3, v2 :: v_dual_add_nc_u32 v7, 31, v8
	scratch_load_b32 v3, off, s32 offset:232 ; 4-byte Folded Reload
	s_wait_loadcnt 0x0
	v_dual_sub_nc_u32 v8, v0, v12 :: v_dual_bitop2_b32 v1, v1, v3 bitop3:0x14
	v_dual_cndmask_b32 v0, v0, v8 :: v_dual_ashrrev_i32 v3, 31, v7
	v_dual_add_nc_u32 v8, 1, v2 :: v_dual_bitop2_b32 v11, 31, v9 bitop3:0x40
	s_delay_alu instid0(VALU_DEP_2) | instskip(NEXT) | instid1(VALU_DEP_3)
	v_lshrrev_b32_e32 v3, 27, v3
	v_cmp_ge_u32_e32 vcc_lo, v0, v12
	v_mul_lo_u32 v12, v6, v19
	v_mov_b32_e32 v20, 0xff7fffff
	s_delay_alu instid0(VALU_DEP_4) | instskip(NEXT) | instid1(VALU_DEP_1)
	v_dual_cndmask_b32 v0, v2, v8, vcc_lo :: v_dual_add_nc_u32 v2, v7, v3
	v_dual_sub_nc_u32 v3, 0, v26 :: v_dual_bitop2_b32 v0, v0, v1 bitop3:0x14
	v_lshlrev_b32_e32 v6, 5, v10
	s_delay_alu instid0(VALU_DEP_3)
	v_dual_ashrrev_i32 v2, 5, v2 :: v_dual_ashrrev_i32 v13, 31, v12
	scratch_store_b32 off, v3, s32 offset:1464 ; 4-byte Folded Spill
	v_dual_sub_nc_u32 v0, v0, v1 :: v_dual_lshlrev_b32 v1, 2, v11
	v_ashrrev_i32_e32 v15, 31, v14
	s_clause 0x1
	scratch_store_b64 off, v[6:7], s32 offset:204
	scratch_store_b32 off, v11, s32 offset:888
	v_sub_nc_u32_e32 v0, v0, v25
	s_clause 0x4
	scratch_store_b32 off, v1, s32 offset:1416
	scratch_store_b64 off, v[14:15], s32 offset:1428
	scratch_store_b64 off, v[12:13], s32 offset:1440
	scratch_store_b32 off, v10, s32 offset:1412
	scratch_store_b32 off, v2, s32 offset:200
	v_cmp_lt_i32_e64 s0, v10, v2
	scratch_store_b32 off, v0, s32 offset:240 ; 4-byte Folded Spill
	s_wait_xcnt 0x0
	v_lshrrev_b32_e32 v0, 3, v9
	scratch_store_b32 off, v0, s32 offset:1436 ; 4-byte Folded Spill
	s_wait_xcnt 0x0
	s_and_saveexec_b32 s3, s0
	s_cbranch_execz .LBB210_976
; %bb.9:
	v_sub_nc_u32_e32 v0, 0, v26
	s_load_b32 s8, s[6:7], 0x0
	s_mov_b32 s9, 0
	v_dual_mov_b32 v65, 0 :: v_dual_mov_b32 v20, 0xff7fffff
	s_delay_alu instid0(VALU_DEP_2)
	v_max_i32_e32 v8, v26, v0
	s_clause 0x2
	scratch_load_b64 v[0:1], off, s32 offset:1440
	scratch_load_b32 v6, off, s32 offset:896
	scratch_load_b32 v15, off, s32 offset:1412
	ds_load_b128 v[16:19], v65
	s_wait_loadcnt 0x2
	v_add_nc_u64_e32 v[2:3], v[4:5], v[0:1]
	scratch_load_b32 v5, off, s32 offset:888 ; 4-byte Folded Reload
	v_cvt_f32_u32_e32 v4, v8
	v_mov_b32_e32 v1, v65
	s_wait_loadcnt 0x2
	v_cmp_neq_f32_e32 vcc_lo, 0, v6
	scratch_load_b32 v6, off, s32 offset:1416 ; 4-byte Folded Reload
	v_rcp_iflag_f32_e32 v4, v4
	v_nop
	s_delay_alu instid0(TRANS32_DEP_1) | instskip(NEXT) | instid1(VALU_DEP_1)
	v_mul_f32_e32 v4, 0x4f7ffffe, v4
	v_cvt_u32_f32_e32 v4, v4
	s_wait_loadcnt 0x0
	v_lshl_or_b32 v13, v15, 7, v6
	scratch_load_b64 v[6:7], off, s32 offset:192 ; 8-byte Folded Reload
	v_dual_lshlrev_b32 v64, 4, v5 :: v_dual_lshlrev_b32 v10, 5, v15
	s_delay_alu instid0(VALU_DEP_1)
	v_add_nc_u64_e32 v[2:3], v[2:3], v[64:65]
	s_clause 0x1
	scratch_store_b64 off, v[2:3], s32 offset:1148
	scratch_load_b64 v[2:3], off, s32 offset:1428
	s_wait_loadcnt 0x1
	v_dual_sub_nc_u32 v5, v5, v6 :: v_dual_sub_nc_u32 v6, 0, v8
	s_delay_alu instid0(VALU_DEP_1)
	v_add_nc_u32_e32 v0, 1, v5
	scratch_store_b32 off, v8, s32 offset:772 ; 4-byte Folded Spill
	v_mul_lo_u32 v5, v6, v4
	s_wait_xcnt 0x0
	ds_load_b128 v[6:9], v65 offset:96
	s_wait_dscnt 0x1
	scratch_store_b128 off, v[16:19], s32 offset:920 ; 16-byte Folded Spill
	s_wait_xcnt 0x0
	ds_load_b128 v[16:19], v65 offset:16
	v_mul_hi_u32 v5, v4, v5
	s_wait_dscnt 0x1
	scratch_store_b128 off, v[6:9], s32 offset:1020 ; 16-byte Folded Spill
	s_wait_xcnt 0x0
	ds_load_b128 v[6:9], v65 offset:112
	s_wait_dscnt 0x1
	scratch_store_b128 off, v[16:19], s32 offset:936 ; 16-byte Folded Spill
	s_wait_xcnt 0x0
	ds_load_b128 v[16:19], v65 offset:32
	;; [unrolled: 4-line block ×9, first 2 shown]
	s_wait_dscnt 0x1
	scratch_store_b128 off, v[16:19], s32 offset:1000 ; 16-byte Folded Spill
	s_wait_dscnt 0x0
	scratch_store_b128 off, v[6:9], s32 offset:1100 ; 16-byte Folded Spill
	s_wait_xcnt 0x0
	ds_load_b128 v[6:9], v65 offset:192
	s_clause 0x1
	scratch_store_b32 off, v0, s32 offset:1016
	scratch_load_b32 v0, off, s32 offset:1436
	s_wait_dscnt 0x0
	scratch_store_b128 off, v[6:9], s32 offset:1116 ; 16-byte Folded Spill
	s_wait_xcnt 0x0
	ds_load_b128 v[6:9], v65 offset:208
	scratch_store_b32 off, v26, s32 offset:1468 ; 4-byte Folded Spill
	s_wait_dscnt 0x0
	scratch_store_b128 off, v[6:9], s32 offset:1132 ; 16-byte Folded Spill
	s_wait_xcnt 0x0
	ds_load_b128 v[6:9], v65 offset:224
	s_wait_dscnt 0x0
	scratch_store_b128 off, v[6:9], s32 offset:1156 ; 16-byte Folded Spill
	s_wait_xcnt 0x0
	ds_load_b128 v[6:9], v65 offset:240
	;; [unrolled: 4-line block ×8, first 2 shown]
	s_wait_dscnt 0x0
	s_clause 0x1
	scratch_store_b128 off, v[6:9], s32 offset:1268
	scratch_load_b64 v[6:7], off, s32 offset:1420
	s_wait_loadcnt 0x1
	v_and_b32_e32 v64, 0x7c, v0
	v_add_nc_u32_e32 v0, v4, v5
	s_delay_alu instid0(VALU_DEP_2)
	v_lshl_add_u64 v[2:3], v[2:3], 2, v[64:65]
	scratch_store_b64 off, v[0:1], s32 offset:776 ; 8-byte Folded Spill
	s_wait_loadcnt 0x0
	v_add_nc_u64_e32 v[2:3], v[6:7], v[2:3]
	scratch_store_b64 off, v[2:3], s32 offset:212 ; 8-byte Folded Spill
	s_wait_xcnt 0x0
	ds_load_b128 v[0:3], v65 offset:352
	s_wait_dscnt 0x0
	scratch_store_b128 off, v[0:3], s32 offset:1284 ; 16-byte Folded Spill
	s_wait_xcnt 0x0
	ds_load_b128 v[0:3], v65 offset:368
	s_wait_dscnt 0x0
	scratch_store_b128 off, v[0:3], s32 offset:1300 ; 16-byte Folded Spill
	;; [unrolled: 4-line block ×8, first 2 shown]
	s_branch .LBB210_15
.LBB210_10:                             ;   in Loop: Header=BB210_15 Depth=1
	s_or_b32 exec_lo, exec_lo, s17
	v_lshlrev_b32_e32 v8, 24, v8
	s_delay_alu instid0(VALU_DEP_2) | instskip(SKIP_2) | instid1(VALU_DEP_4)
	v_lshlrev_b32_e32 v0, 20, v64
	v_lshl_add_u32 v9, v34, 23, 0x3c000000
	v_mov_b32_e32 v34, v65
	v_and_b32_e32 v8, 0x80000000, v8
	s_delay_alu instid0(VALU_DEP_1)
	v_or3_b32 v35, v0, v8, v9
.LBB210_11:                             ;   in Loop: Header=BB210_15 Depth=1
	s_or_b32 exec_lo, exec_lo, s16
.LBB210_12:                             ;   in Loop: Header=BB210_15 Depth=1
	s_delay_alu instid0(SALU_CYCLE_1)
	s_or_b32 exec_lo, exec_lo, s15
.LBB210_13:                             ;   in Loop: Header=BB210_15 Depth=1
	s_delay_alu instid0(SALU_CYCLE_1)
	s_or_b32 exec_lo, exec_lo, s14
	v_or_b32_e32 v1, v29, v17
	v_or_b32_e32 v0, v28, v16
	v_or_b32_e32 v31, v115, v33
	v_or_b32_e32 v30, v114, v32
	v_or_b32_e32 v115, v87, v117
	v_or_b32_e32 v114, v86, v116
	scratch_store_b64 off, v[0:1], s32 offset:824 ; 8-byte Folded Spill
	s_wait_xcnt 0x0
	v_or_b32_e32 v1, v11, v25
	v_or_b32_e32 v0, v10, v24
	v_or_b32_e32 v87, v83, v113
	v_or_b32_e32 v86, v82, v112
	v_or_b32_e32 v83, v55, v85
	v_or_b32_e32 v82, v54, v84
	scratch_store_b64 off, v[0:1], s32 offset:808 ; 8-byte Folded Spill
	s_wait_xcnt 0x0
	;; [unrolled: 8-line block ×4, first 2 shown]
	v_or_b32_e32 v1, v127, v121
	v_or_b32_e32 v0, v126, v120
	;; [unrolled: 1-line block ×4, first 2 shown]
	scratch_store_b64 off, v[0:1], s32 offset:856 ; 8-byte Folded Spill
	s_wait_xcnt 0x0
	v_or_b32_e32 v1, v5, v125
	v_or_b32_e32 v0, v4, v124
	scratch_store_b64 off, v[0:1], s32 offset:832 ; 8-byte Folded Spill
	s_wait_xcnt 0x0
	v_or_b32_e32 v1, v111, v105
	v_or_b32_e32 v0, v110, v104
	;; [unrolled: 4-line block ×4, first 2 shown]
	v_or_b32_e32 v89, v61, v91
	v_or_b32_e32 v88, v60, v90
	;; [unrolled: 1-line block ×4, first 2 shown]
	scratch_store_b64 off, v[0:1], s32 offset:864 ; 8-byte Folded Spill
	s_wait_xcnt 0x0
	v_or_b32_e32 v1, v73, v95
	v_or_b32_e32 v0, v72, v94
	;; [unrolled: 1-line block ×6, first 2 shown]
	s_clause 0x1
	scratch_store_b64 off, v[0:1], s32 offset:880
	scratch_load_b64 v[0:1], off, s32 offset:500 th:TH_LOAD_LU
	v_or_b32_e32 v99, v71, v101
	v_or_b32_e32 v98, v70, v100
	v_or_b32_e32 v71, v67, v97
	v_or_b32_e32 v70, v66, v96
	v_or_b32_e32 v73, v47, v75
	v_or_b32_e32 v72, v46, v74
	v_or_b32_e32 v47, v43, v63
	v_or_b32_e32 v46, v42, v62
	s_wait_loadcnt 0x0
	v_or_b32_e32 v37, v37, v1
	v_or_b32_e32 v36, v36, v0
	scratch_load_b64 v[0:1], off, s32 offset:756 th:TH_LOAD_LU ; 8-byte Folded Reload
	s_wait_loadcnt 0x0
	v_or_b32_e32 v55, v49, v1
	v_or_b32_e32 v54, v48, v0
	s_clause 0x1
	scratch_load_b64 v[0:1], off, s32 offset:484 th:TH_LOAD_LU
	scratch_load_b64 v[4:5], off, s32 offset:740 th:TH_LOAD_LU
	s_wait_loadcnt 0x0
	v_or_b32_e32 v51, v1, v5
	v_or_b32_e32 v50, v0, v4
	s_clause 0x1
	scratch_load_b64 v[0:1], off, s32 offset:492 th:TH_LOAD_LU
	scratch_load_b64 v[4:5], off, s32 offset:748 th:TH_LOAD_LU
	;; [unrolled: 6-line block ×31, first 2 shown]
	scratch_load_b128 v[22:25], off, s32 offset:1000
	scratch_load_b128 v[26:29], off, s32 offset:1020
	;; [unrolled: 1-line block ×4, first 2 shown]
	s_wait_loadcnt 0x4
	v_or_b32_e32 v21, v1, v5
	v_or_b32_e32 v20, v0, v4
	scratch_load_b64 v[0:1], off, s32 offset:800 th:TH_LOAD_LU ; 8-byte Folded Reload
	s_wait_loadcnt 0x0
	v_mov_b32_e32 v64, v0
	scratch_load_b128 v[0:3], off, s32 offset:920 ; 16-byte Folded Reload
	v_pk_mul_f32 v[12:13], v[64:65], v[12:13] op_sel_hi:[0,1]
	v_pk_mul_f32 v[52:53], v[64:65], v[80:81] op_sel_hi:[0,1]
	;; [unrolled: 1-line block ×3, first 2 shown]
	s_delay_alu instid0(VALU_DEP_3)
	v_pk_mul_f32 v[12:13], v[6:7], v[12:13]
	scratch_load_b128 v[4:7], off, s32 offset:952 ; 16-byte Folded Reload
	s_wait_loadcnt 0x1
	v_pk_fma_f32 v[12:13], v[0:1], v[52:53], v[12:13]
	v_pk_mul_f32 v[52:53], v[64:65], v[124:125] op_sel_hi:[0,1]
	s_wait_loadcnt 0x0
	s_delay_alu instid0(VALU_DEP_1) | instskip(SKIP_3) | instid1(VALU_DEP_1)
	v_pk_fma_f32 v[0:1], v[4:5], v[52:53], v[12:13]
	scratch_load_b128 v[10:13], off, s32 offset:968 ; 16-byte Folded Reload
	v_pk_mul_f32 v[52:53], v[64:65], v[120:121] op_sel_hi:[0,1]
	s_wait_loadcnt 0x0
	v_pk_fma_f32 v[0:1], v[10:11], v[52:53], v[0:1]
	v_pk_mul_f32 v[52:53], v[64:65], v[108:109] op_sel_hi:[0,1]
	v_pk_mul_f32 v[10:11], v[64:65], v[34:35] op_sel_hi:[0,1]
	s_delay_alu instid0(VALU_DEP_2) | instskip(SKIP_1) | instid1(VALU_DEP_1)
	v_pk_fma_f32 v[0:1], v[14:15], v[52:53], v[0:1]
	v_pk_mul_f32 v[52:53], v[64:65], v[104:105] op_sel_hi:[0,1]
	v_pk_fma_f32 v[0:1], v[22:23], v[52:53], v[0:1]
	v_pk_mul_f32 v[52:53], v[64:65], v[92:93] op_sel_hi:[0,1]
	s_delay_alu instid0(VALU_DEP_1) | instskip(SKIP_1) | instid1(VALU_DEP_1)
	v_pk_fma_f32 v[4:5], v[26:27], v[52:53], v[0:1]
	v_pk_mul_f32 v[0:1], v[64:65], v[18:19] op_sel_hi:[0,1]
	v_pk_mul_f32 v[8:9], v[8:9], v[0:1]
	s_delay_alu instid0(VALU_DEP_1) | instskip(SKIP_2) | instid1(VALU_DEP_1)
	v_pk_fma_f32 v[8:9], v[2:3], v[20:21], v[8:9]
	scratch_load_b128 v[0:3], off, s32 offset:1036 ; 16-byte Folded Reload
	v_pk_mul_f32 v[20:21], v[64:65], v[126:127] op_sel_hi:[0,1]
	v_pk_fma_f32 v[8:9], v[6:7], v[20:21], v[8:9]
	v_pk_mul_f32 v[20:21], v[64:65], v[122:123] op_sel_hi:[0,1]
	s_delay_alu instid0(VALU_DEP_1)
	v_pk_fma_f32 v[8:9], v[12:13], v[20:21], v[8:9]
	v_pk_mul_f32 v[20:21], v[64:65], v[110:111] op_sel_hi:[0,1]
	scratch_load_b128 v[108:111], off, s32 offset:1204 ; 16-byte Folded Reload
	v_pk_fma_f32 v[8:9], v[16:17], v[20:21], v[8:9]
	v_pk_mul_f32 v[20:21], v[64:65], v[106:107] op_sel_hi:[0,1]
	s_clause 0x1
	scratch_load_b128 v[14:17], off, s32 offset:1068
	scratch_load_b128 v[104:107], off, s32 offset:1188
	v_pk_fma_f32 v[8:9], v[24:25], v[20:21], v[8:9]
	v_pk_mul_f32 v[20:21], v[64:65], v[94:95] op_sel_hi:[0,1]
	scratch_load_b128 v[22:25], off, s32 offset:1084 ; 16-byte Folded Reload
	v_pk_fma_f32 v[8:9], v[28:29], v[20:21], v[8:9]
	v_pk_mul_f32 v[20:21], v[64:65], v[90:91] op_sel_hi:[0,1]
	s_clause 0x1
	scratch_load_b128 v[26:29], off, s32 offset:1100
	scratch_load_b128 v[90:93], off, s32 offset:1132
	s_wait_loadcnt 0x6
	v_pk_fma_f32 v[12:13], v[0:1], v[20:21], v[4:5]
	scratch_load_b128 v[4:7], off, s32 offset:1052 ; 16-byte Folded Reload
	v_pk_mul_f32 v[20:21], v[64:65], v[78:79] op_sel_hi:[0,1]
	scratch_load_b128 v[78:81], off, s32 offset:1116 ; 16-byte Folded Reload
	s_wait_loadcnt 0x1
	v_pk_fma_f32 v[12:13], v[4:5], v[20:21], v[12:13]
	v_pk_mul_f32 v[20:21], v[64:65], v[62:63] op_sel_hi:[0,1]
	s_delay_alu instid0(VALU_DEP_1) | instskip(SKIP_1) | instid1(VALU_DEP_1)
	v_pk_fma_f32 v[12:13], v[14:15], v[20:21], v[12:13]
	v_pk_mul_f32 v[20:21], v[64:65], v[44:45] op_sel_hi:[0,1]
	v_pk_fma_f32 v[12:13], v[22:23], v[20:21], v[12:13]
	v_pk_mul_f32 v[20:21], v[64:65], v[40:41] op_sel_hi:[0,1]
	s_delay_alu instid0(VALU_DEP_1) | instskip(SKIP_2) | instid1(VALU_DEP_1)
	v_pk_fma_f32 v[12:13], v[26:27], v[20:21], v[12:13]
	v_pk_mul_f32 v[20:21], v[64:65], v[112:113] op_sel_hi:[0,1]
	s_wait_loadcnt 0x0
	v_pk_fma_f32 v[12:13], v[78:79], v[20:21], v[12:13]
	v_pk_mul_f32 v[20:21], v[64:65], v[96:97] op_sel_hi:[0,1]
	scratch_load_b128 v[94:97], off, s32 offset:1156 ; 16-byte Folded Reload
	v_pk_fma_f32 v[12:13], v[90:91], v[20:21], v[12:13]
	v_pk_mul_f32 v[20:21], v[64:65], v[68:69] op_sel_hi:[0,1]
	s_wait_loadcnt 0x0
	s_delay_alu instid0(VALU_DEP_1)
	v_pk_fma_f32 v[12:13], v[94:95], v[20:21], v[12:13]
	v_pk_mul_f32 v[20:21], v[64:65], v[50:51] op_sel_hi:[0,1]
	scratch_load_b128 v[50:53], off, s32 offset:1172 ; 16-byte Folded Reload
	s_wait_loadcnt 0x0
	v_pk_fma_f32 v[12:13], v[50:51], v[20:21], v[12:13]
	v_pk_mul_f32 v[20:21], v[64:65], v[36:37] op_sel_hi:[0,1]
	s_delay_alu instid0(VALU_DEP_1) | instskip(SKIP_1) | instid1(VALU_DEP_1)
	v_pk_fma_f32 v[12:13], v[104:105], v[20:21], v[12:13]
	v_pk_mul_f32 v[20:21], v[64:65], v[82:83] op_sel_hi:[0,1]
	v_pk_fma_f32 v[12:13], v[108:109], v[20:21], v[12:13]
	v_pk_mul_f32 v[20:21], v[64:65], v[74:75] op_sel_hi:[0,1]
	s_delay_alu instid0(VALU_DEP_1) | instskip(SKIP_2) | instid1(VALU_DEP_1)
	v_pk_fma_f32 v[8:9], v[2:3], v[20:21], v[8:9]
	scratch_load_b128 v[0:3], off, s32 offset:1220 ; 16-byte Folded Reload
	v_pk_mul_f32 v[20:21], v[64:65], v[58:59] op_sel_hi:[0,1]
	v_pk_fma_f32 v[8:9], v[6:7], v[20:21], v[8:9]
	v_pk_mul_f32 v[20:21], v[64:65], v[42:43] op_sel_hi:[0,1]
	v_pk_mul_f32 v[6:7], v[64:65], v[54:55] op_sel_hi:[0,1]
	s_delay_alu instid0(VALU_DEP_2)
	v_pk_fma_f32 v[8:9], v[16:17], v[20:21], v[8:9]
	v_pk_mul_f32 v[20:21], v[64:65], v[116:117] op_sel_hi:[0,1]
	scratch_load_b128 v[14:17], off, s32 offset:1236 ; 16-byte Folded Reload
	v_pk_fma_f32 v[8:9], v[24:25], v[20:21], v[8:9]
	v_pk_mul_f32 v[20:21], v[64:65], v[100:101] op_sel_hi:[0,1]
	scratch_load_b128 v[22:25], off, s32 offset:1268 ; 16-byte Folded Reload
	;; [unrolled: 3-line block ×3, first 2 shown]
	v_pk_fma_f32 v[8:9], v[80:81], v[20:21], v[8:9]
	v_pk_mul_f32 v[20:21], v[64:65], v[66:67] op_sel_hi:[0,1]
	s_clause 0x1
	scratch_load_b128 v[66:69], off, s32 offset:1332
	scratch_load_b128 v[80:83], off, s32 offset:1348
	v_pk_fma_f32 v[8:9], v[92:93], v[20:21], v[8:9]
	v_pk_mul_f32 v[20:21], v[64:65], v[48:49] op_sel_hi:[0,1]
	scratch_load_b128 v[48:51], off, s32 offset:1300 ; 16-byte Folded Reload
	v_pk_fma_f32 v[8:9], v[96:97], v[20:21], v[8:9]
	v_pk_mul_f32 v[20:21], v[64:65], v[32:33] op_sel_hi:[0,1]
	s_delay_alu instid0(VALU_DEP_1)
	v_pk_fma_f32 v[8:9], v[52:53], v[20:21], v[8:9]
	s_clause 0x1
	scratch_load_b128 v[18:21], off, s32 offset:1252
	scratch_load_b128 v[52:55], off, s32 offset:1316
	v_pk_fma_f32 v[6:7], v[106:107], v[6:7], v[8:9]
	v_pk_mul_f32 v[8:9], v[64:65], v[70:71] op_sel_hi:[0,1]
	s_delay_alu instid0(VALU_DEP_1)
	v_pk_fma_f32 v[6:7], v[110:111], v[8:9], v[6:7]
	v_pk_mul_f32 v[8:9], v[64:65], v[98:99] op_sel_hi:[0,1]
	scratch_load_b128 v[96:99], off, s32 offset:1364 ; 16-byte Folded Reload
	s_wait_loadcnt 0x9
	v_pk_fma_f32 v[8:9], v[0:1], v[8:9], v[12:13]
	scratch_load_b64 v[0:1], off, s32 offset:872 th:TH_LOAD_LU ; 8-byte Folded Reload
	v_pk_mul_f32 v[12:13], v[64:65], v[114:115] op_sel_hi:[0,1]
	s_wait_loadcnt 0x9
	s_delay_alu instid0(VALU_DEP_1)
	v_pk_fma_f32 v[8:9], v[14:15], v[12:13], v[8:9]
	v_pk_mul_f32 v[12:13], v[64:65], v[102:103] op_sel_hi:[0,1]
	scratch_load_b128 v[100:103], off, s32 offset:1380 ; 16-byte Folded Reload
	s_wait_loadcnt 0x4
	v_pk_fma_f32 v[8:9], v[18:19], v[12:13], v[8:9]
	v_pk_mul_f32 v[12:13], v[64:65], v[56:57] op_sel_hi:[0,1]
	s_delay_alu instid0(VALU_DEP_1) | instskip(SKIP_1) | instid1(VALU_DEP_1)
	v_pk_fma_f32 v[8:9], v[22:23], v[12:13], v[8:9]
	v_pk_mul_f32 v[12:13], v[64:65], v[72:73] op_sel_hi:[0,1]
	v_pk_fma_f32 v[8:9], v[26:27], v[12:13], v[8:9]
	v_pk_mul_f32 v[12:13], v[64:65], v[88:89] op_sel_hi:[0,1]
	s_delay_alu instid0(VALU_DEP_1) | instskip(SKIP_2) | instid1(VALU_DEP_1)
	v_pk_fma_f32 v[8:9], v[48:49], v[12:13], v[8:9]
	v_pk_mul_f32 v[12:13], v[64:65], v[76:77] op_sel_hi:[0,1]
	s_wait_loadcnt 0x3
	v_pk_fma_f32 v[8:9], v[52:53], v[12:13], v[8:9]
	s_wait_loadcnt 0x1
	v_pk_mul_f32 v[12:13], v[64:65], v[0:1] op_sel_hi:[0,1]
	scratch_load_b64 v[0:1], off, s32 offset:856 th:TH_LOAD_LU ; 8-byte Folded Reload
	v_pk_fma_f32 v[8:9], v[66:67], v[12:13], v[8:9]
	s_wait_loadcnt 0x0
	v_pk_mul_f32 v[12:13], v[64:65], v[0:1] op_sel_hi:[0,1]
	scratch_load_b64 v[0:1], off, s32 offset:840 th:TH_LOAD_LU ; 8-byte Folded Reload
	v_pk_fma_f32 v[8:9], v[80:81], v[12:13], v[8:9]
	s_wait_loadcnt 0x0
	v_pk_mul_f32 v[12:13], v[64:65], v[0:1] op_sel_hi:[0,1]
	scratch_load_b64 v[0:1], off, s32 offset:824 th:TH_LOAD_LU ; 8-byte Folded Reload
	v_pk_fma_f32 v[8:9], v[96:97], v[12:13], v[8:9]
	s_wait_loadcnt 0x0
	v_pk_mul_f32 v[12:13], v[64:65], v[0:1] op_sel_hi:[0,1]
	scratch_load_b64 v[0:1], off, s32 offset:880 th:TH_LOAD_LU ; 8-byte Folded Reload
	v_pk_fma_f32 v[8:9], v[100:101], v[12:13], v[8:9]
	v_pk_mul_f32 v[12:13], v[64:65], v[86:87] op_sel_hi:[0,1]
	s_delay_alu instid0(VALU_DEP_1) | instskip(SKIP_1) | instid1(VALU_DEP_1)
	v_pk_fma_f32 v[6:7], v[2:3], v[12:13], v[6:7]
	v_pk_mul_f32 v[12:13], v[64:65], v[118:119] op_sel_hi:[0,1]
	v_pk_fma_f32 v[6:7], v[16:17], v[12:13], v[6:7]
	v_pk_mul_f32 v[12:13], v[64:65], v[30:31] op_sel_hi:[0,1]
	s_delay_alu instid0(VALU_DEP_1) | instskip(SKIP_1) | instid1(VALU_DEP_1)
	v_pk_fma_f32 v[6:7], v[20:21], v[12:13], v[6:7]
	v_pk_mul_f32 v[12:13], v[64:65], v[46:47] op_sel_hi:[0,1]
	v_pk_fma_f32 v[6:7], v[24:25], v[12:13], v[6:7]
	v_pk_mul_f32 v[12:13], v[64:65], v[60:61] op_sel_hi:[0,1]
	s_delay_alu instid0(VALU_DEP_1)
	v_pk_fma_f32 v[6:7], v[28:29], v[12:13], v[6:7]
	s_wait_loadcnt 0x0
	v_pk_mul_f32 v[12:13], v[64:65], v[0:1] op_sel_hi:[0,1]
	scratch_load_b64 v[0:1], off, s32 offset:864 th:TH_LOAD_LU ; 8-byte Folded Reload
	v_pk_fma_f32 v[6:7], v[50:51], v[12:13], v[6:7]
	s_wait_loadcnt 0x0
	v_pk_mul_f32 v[12:13], v[64:65], v[0:1] op_sel_hi:[0,1]
	scratch_load_b64 v[0:1], off, s32 offset:848 th:TH_LOAD_LU ; 8-byte Folded Reload
	v_pk_fma_f32 v[6:7], v[54:55], v[12:13], v[6:7]
	s_wait_loadcnt 0x0
	v_pk_mul_f32 v[12:13], v[64:65], v[0:1] op_sel_hi:[0,1]
	scratch_load_b64 v[0:1], off, s32 offset:832 th:TH_LOAD_LU ; 8-byte Folded Reload
	v_pk_fma_f32 v[6:7], v[68:69], v[12:13], v[6:7]
	scratch_load_b128 v[12:15], off, s32 offset:1396 ; 16-byte Folded Reload
	s_wait_loadcnt 0x1
	v_pk_mul_f32 v[4:5], v[64:65], v[0:1] op_sel_hi:[0,1]
	scratch_load_b64 v[0:1], off, s32 offset:816 th:TH_LOAD_LU ; 8-byte Folded Reload
	v_pk_fma_f32 v[4:5], v[82:83], v[4:5], v[6:7]
	v_pk_mul_f32 v[6:7], v[64:65], v[38:39] op_sel_hi:[0,1]
	s_wait_loadcnt 0x0
	v_pk_mul_f32 v[2:3], v[64:65], v[0:1] op_sel_hi:[0,1]
	scratch_load_b64 v[0:1], off, s32 offset:808 th:TH_LOAD_LU ; 8-byte Folded Reload
	v_pk_fma_f32 v[2:3], v[98:99], v[2:3], v[4:5]
	s_wait_loadcnt 0x0
	v_pk_mul_f32 v[4:5], v[64:65], v[0:1] op_sel_hi:[0,1]
	s_delay_alu instid0(VALU_DEP_1) | instskip(SKIP_1) | instid1(VALU_DEP_2)
	v_pk_fma_f32 v[2:3], v[102:103], v[4:5], v[2:3]
	v_pk_fma_f32 v[4:5], v[12:13], v[6:7], v[8:9]
	v_pk_fma_f32 v[2:3], v[14:15], v[10:11], v[2:3]
	s_delay_alu instid0(VALU_DEP_2)
	v_add_f32_e32 v0, v4, v5
	s_clause 0x4
	scratch_load_b64 v[10:11], off, s32 offset:784
	scratch_load_b32 v1, off, s32 offset:1016
	scratch_load_b64 v[4:5], off, s32 offset:192
	scratch_load_b32 v13, off, s32 offset:796
	scratch_load_b32 v20, off, s32 offset:792 th:TH_LOAD_LU
	v_add_f32_e32 v0, v2, v0
	s_load_b32 s14, s[6:7], 0x0
	s_delay_alu instid0(VALU_DEP_1) | instskip(SKIP_3) | instid1(VALU_DEP_1)
	v_add_f32_e32 v0, v3, v0
	scratch_load_b32 v3, off, s32 offset:896 ; 4-byte Folded Reload
	s_wait_loadcnt 0x4
	v_add_nc_u32_e32 v2, v1, v10
	v_cvt_f32_i32_e32 v2, v2
	s_wait_loadcnt 0x0
	s_delay_alu instid0(VALU_DEP_1) | instskip(SKIP_3) | instid1(VALU_DEP_1)
	v_mul_f32_e32 v2, v3, v2
	scratch_load_b32 v3, off, s32 offset:916 ; 4-byte Folded Reload
	v_cndmask_b32_e32 v2, 0, v2, vcc_lo
	s_wait_loadcnt 0x0
	v_fmac_f32_e32 v2, v3, v0
	scratch_load_b32 v0, off, s32 offset:888 ; 4-byte Folded Reload
	s_wait_loadcnt 0x0
	v_add_nc_u32_e32 v0, v0, v10
	s_delay_alu instid0(VALU_DEP_1) | instskip(SKIP_1) | instid1(VALU_DEP_1)
	v_cmp_lt_i32_e64 s1, v0, v4
	s_wait_kmcnt 0x0
	v_dual_add_nc_u32 v0, s14, v13 :: v_dual_cndmask_b32 v3, 0, v2, s1
	ds_store_b32 v0, v3
	v_max_num_f32_e32 v0, v20, v20
	s_delay_alu instid0(VALU_DEP_1) | instskip(NEXT) | instid1(VALU_DEP_1)
	v_max_num_f32_e32 v0, v0, v2
	v_cndmask_b32_e64 v20, v20, v0, s1
.LBB210_14:                             ;   in Loop: Header=BB210_15 Depth=1
	s_wait_xcnt 0x0
	s_or_b32 exec_lo, exec_lo, s2
	s_clause 0x1
	scratch_load_b32 v15, off, s32 offset:244
	scratch_load_b32 v0, off, s32 offset:200
	v_add_nc_u32_e32 v10, 0x80, v10
	v_add_nc_u32_e32 v13, 0x200, v13
	s_wait_loadcnt 0x1
	v_add_nc_u32_e32 v15, 4, v15
	s_wait_loadcnt 0x0
	s_delay_alu instid0(VALU_DEP_1)
	v_cmp_ge_i32_e64 s1, v15, v0
	scratch_load_b64 v[0:1], off, s32 offset:212 ; 8-byte Folded Reload
	s_or_b32 s9, s1, s9
	s_wait_loadcnt 0x0
	v_add_nc_u64_e32 v[0:1], 16, v[0:1]
	scratch_store_b64 off, v[0:1], s32 offset:212 ; 8-byte Folded Spill
	s_wait_xcnt 0x0
	s_and_not1_b32 exec_lo, exec_lo, s9
	s_cbranch_execz .LBB210_975
.LBB210_15:                             ; =>This Inner Loop Header: Depth=1
	s_clause 0x2
	scratch_load_b64 v[2:3], off, s32 offset:224
	scratch_load_b32 v6, off, s32 offset:772
	scratch_load_b32 v5, off, s32 offset:220
	v_mov_b32_e32 v11, v65
	scratch_store_b32 off, v15, s32 offset:244 ; 4-byte Folded Spill
	s_wait_loadcnt 0x2
	v_mul_u64_e32 v[2:3], v[10:11], v[2:3]
	s_wait_loadcnt 0x0
	s_delay_alu instid0(VALU_DEP_1) | instskip(NEXT) | instid1(VALU_DEP_1)
	v_mul_lo_u32 v0, v3, v5
	v_dual_sub_nc_u32 v0, v10, v0 :: v_dual_add_nc_u32 v2, 1, v3
	s_delay_alu instid0(VALU_DEP_1) | instskip(SKIP_1) | instid1(VALU_DEP_1)
	v_sub_nc_u32_e32 v4, v0, v5
	v_cmp_ge_u32_e64 s1, v0, v5
	v_dual_cndmask_b32 v2, v3, v2, s1 :: v_dual_cndmask_b32 v0, v0, v4, s1
	s_delay_alu instid0(VALU_DEP_1) | instskip(NEXT) | instid1(VALU_DEP_2)
	v_add_nc_u32_e32 v3, 1, v2
	v_cmp_ge_u32_e64 s1, v0, v5
	s_delay_alu instid0(VALU_DEP_1) | instskip(SKIP_3) | instid1(VALU_DEP_1)
	v_cndmask_b32_e64 v0, v2, v3, s1
	scratch_load_b32 v2, off, s32 offset:232 ; 4-byte Folded Reload
	s_wait_loadcnt 0x0
	v_xor_b32_e32 v0, v0, v2
	v_sub_nc_u32_e32 v4, v0, v2
	scratch_load_b32 v0, off, s32 offset:236 ; 4-byte Folded Reload
	s_wait_loadcnt 0x0
	v_add_nc_u32_e32 v5, v4, v0
	s_delay_alu instid0(VALU_DEP_1) | instskip(NEXT) | instid1(VALU_DEP_1)
	v_sub_nc_u32_e32 v0, 0, v5
	v_max_i32_e32 v64, v5, v0
	scratch_load_b64 v[0:1], off, s32 offset:776 ; 8-byte Folded Reload
	s_wait_loadcnt 0x0
	v_mul_u64_e32 v[2:3], v[64:65], v[0:1]
	s_delay_alu instid0(VALU_DEP_1) | instskip(NEXT) | instid1(VALU_DEP_1)
	v_mul_lo_u32 v2, v3, v6
	v_dual_ashrrev_i32 v3, 31, v5 :: v_dual_sub_nc_u32 v0, v64, v2
	s_delay_alu instid0(VALU_DEP_1) | instskip(SKIP_1) | instid1(VALU_DEP_1)
	v_sub_nc_u32_e32 v2, v0, v6
	v_cmp_ge_u32_e64 s1, v0, v6
	v_cndmask_b32_e64 v0, v0, v2, s1
	s_delay_alu instid0(VALU_DEP_1) | instskip(SKIP_1) | instid1(VALU_DEP_1)
	v_sub_nc_u32_e32 v2, v0, v6
	v_cmp_ge_u32_e64 s1, v0, v6
	v_cndmask_b32_e64 v0, v0, v2, s1
	s_delay_alu instid0(VALU_DEP_1) | instskip(NEXT) | instid1(VALU_DEP_1)
	v_xor_b32_e32 v0, v0, v3
	v_sub_nc_u32_e32 v0, v0, v3
	s_delay_alu instid0(VALU_DEP_1)
	v_cmp_ne_u32_e64 s1, 0, v0
	scratch_load_b32 v0, off, s32 offset:240 ; 4-byte Folded Reload
	s_wait_loadcnt 0x0
	v_cmp_le_i32_e64 s2, v4, v0
	s_and_b32 s1, s1, s2
	s_wait_xcnt 0x0
	s_and_saveexec_b32 s2, s1
	s_delay_alu instid0(SALU_CYCLE_1)
	s_xor_b32 s1, exec_lo, s2
	s_cbranch_execz .LBB210_17
; %bb.16:                               ;   in Loop: Header=BB210_15 Depth=1
	s_wait_kmcnt 0x0
	v_add_nc_u32_e32 v0, s8, v13
	v_mov_b32_e32 v2, 0xff7fffff
	ds_store_b32 v0, v2
.LBB210_17:                             ;   in Loop: Header=BB210_15 Depth=1
	s_and_not1_saveexec_b32 s2, s1
	s_cbranch_execz .LBB210_14
; %bb.18:                               ;   in Loop: Header=BB210_15 Depth=1
	s_clause 0x1
	scratch_load_b64 v[0:1], off, s32 offset:212
	scratch_store_b64 off, v[10:11], s32 offset:784
	v_mov_b64_e32 v[30:31], 0
	v_mov_b64_e32 v[22:23], 0
	s_mov_b32 s14, exec_lo
	s_wait_loadcnt 0x0
	flat_load_b32 v0, v[0:1]
	s_clause 0x1
	scratch_load_b64 v[2:3], off, s32 offset:764
	scratch_load_b64 v[4:5], off, s32 offset:1148
	s_wait_loadcnt_dscnt 0x0
	v_mad_nc_i64_i32 v[52:53], v0, v2, v[4:5]
	flat_load_b32 v2, v[52:53]
	scratch_load_b64 v[4:5], off, s32 offset:908 ; 8-byte Folded Reload
	s_wait_loadcnt 0x0
	flat_load_b32 v0, v[4:5]
	s_wait_loadcnt_dscnt 0x0
	scratch_store_b64 off, v[0:1], s32 offset:800 ; 8-byte Folded Spill
	s_wait_xcnt 0x0
	v_and_b32_e32 v0, 0xff, v2
	s_delay_alu instid0(VALU_DEP_1)
	v_cmpx_ne_u16_e32 0, v0
	s_cbranch_execz .LBB210_26
; %bb.19:                               ;   in Loop: Header=BB210_15 Depth=1
	v_mov_b64_e32 v[22:23], 0x80000000
	s_mov_b32 s15, exec_lo
	v_cmpx_ne_u16_e32 0x80, v0
	s_cbranch_execz .LBB210_25
; %bb.20:                               ;   in Loop: Header=BB210_15 Depth=1
	v_mov_b64_e32 v[22:23], 0x7f800001
	v_and_b32_e32 v4, 0x7f, v2
	s_mov_b32 s16, exec_lo
	s_delay_alu instid0(VALU_DEP_1)
	v_cmpx_ne_u32_e32 0x7f, v4
	s_cbranch_execz .LBB210_24
; %bb.21:                               ;   in Loop: Header=BB210_15 Depth=1
	v_dual_lshrrev_b32 v3, 3, v4 :: v_dual_bitop2_b32 v64, 7, v2 bitop3:0x40
	s_mov_b32 s17, exec_lo
	v_cmpx_gt_u32_e32 8, v4
; %bb.22:                               ;   in Loop: Header=BB210_15 Depth=1
	s_delay_alu instid0(VALU_DEP_2) | instskip(NEXT) | instid1(VALU_DEP_1)
	v_clz_i32_u32_e32 v3, v64
	v_min_u32_e32 v3, 32, v3
	s_delay_alu instid0(VALU_DEP_1) | instskip(NEXT) | instid1(VALU_DEP_1)
	v_subrev_nc_u32_e32 v4, 28, v3
	v_lshlrev_b64_e32 v[4:5], v4, v[64:65]
	s_delay_alu instid0(VALU_DEP_1)
	v_dual_sub_nc_u32 v3, 29, v3 :: v_dual_bitop2_b32 v64, 7, v4 bitop3:0x40
; %bb.23:                               ;   in Loop: Header=BB210_15 Depth=1
	s_or_b32 exec_lo, exec_lo, s17
	s_delay_alu instid0(VALU_DEP_1) | instskip(NEXT) | instid1(VALU_DEP_2)
	v_dual_lshlrev_b32 v4, 24, v2 :: v_dual_lshlrev_b32 v0, 20, v64
	v_lshl_add_u32 v3, v3, 23, 0x3c000000
	s_delay_alu instid0(VALU_DEP_2) | instskip(NEXT) | instid1(VALU_DEP_1)
	v_and_b32_e32 v4, 0x80000000, v4
	v_or3_b32 v64, v0, v4, v3
	s_delay_alu instid0(VALU_DEP_1)
	v_mov_b64_e32 v[22:23], v[64:65]
.LBB210_24:                             ;   in Loop: Header=BB210_15 Depth=1
	s_or_b32 exec_lo, exec_lo, s16
.LBB210_25:                             ;   in Loop: Header=BB210_15 Depth=1
	s_delay_alu instid0(SALU_CYCLE_1)
	s_or_b32 exec_lo, exec_lo, s15
.LBB210_26:                             ;   in Loop: Header=BB210_15 Depth=1
	s_delay_alu instid0(SALU_CYCLE_1) | instskip(SKIP_2) | instid1(VALU_DEP_1)
	s_or_b32 exec_lo, exec_lo, s14
	v_lshrrev_b16 v0, 8, v2
	s_mov_b32 s14, exec_lo
	v_cmpx_ne_u16_e32 0, v0
	s_cbranch_execz .LBB210_34
; %bb.27:                               ;   in Loop: Header=BB210_15 Depth=1
	v_mov_b64_e32 v[30:31], 0x8000000000000000
	s_mov_b32 s15, exec_lo
	v_cmpx_ne_u16_e32 0x80, v0
	s_cbranch_execz .LBB210_33
; %bb.28:                               ;   in Loop: Header=BB210_15 Depth=1
	v_and_b32_e32 v0, 0xffff, v0
	v_mov_b64_e32 v[30:31], 0x7f80000100000000
	s_mov_b32 s16, exec_lo
	s_delay_alu instid0(VALU_DEP_2) | instskip(NEXT) | instid1(VALU_DEP_1)
	v_and_b32_e32 v4, 0x7f, v0
	v_cmpx_ne_u32_e32 0x7f, v4
	s_cbranch_execz .LBB210_32
; %bb.29:                               ;   in Loop: Header=BB210_15 Depth=1
	v_and_b32_e32 v64, 7, v0
	v_lshrrev_b32_e32 v3, 3, v4
	s_mov_b32 s17, exec_lo
	v_cmpx_gt_u32_e32 8, v4
; %bb.30:                               ;   in Loop: Header=BB210_15 Depth=1
	s_delay_alu instid0(VALU_DEP_3) | instskip(NEXT) | instid1(VALU_DEP_1)
	v_clz_i32_u32_e32 v3, v64
	v_min_u32_e32 v3, 32, v3
	s_delay_alu instid0(VALU_DEP_1) | instskip(NEXT) | instid1(VALU_DEP_1)
	v_subrev_nc_u32_e32 v4, 28, v3
	v_lshlrev_b64_e32 v[4:5], v4, v[64:65]
	s_delay_alu instid0(VALU_DEP_1)
	v_dual_sub_nc_u32 v3, 29, v3 :: v_dual_bitop2_b32 v64, 7, v4 bitop3:0x40
; %bb.31:                               ;   in Loop: Header=BB210_15 Depth=1
	s_or_b32 exec_lo, exec_lo, s17
	s_delay_alu instid0(VALU_DEP_1) | instskip(NEXT) | instid1(VALU_DEP_2)
	v_dual_lshlrev_b32 v4, 16, v2 :: v_dual_lshlrev_b32 v0, 20, v64
	v_lshl_add_u32 v3, v3, 23, 0x3c000000
	v_mov_b32_e32 v30, v65
	s_delay_alu instid0(VALU_DEP_3) | instskip(NEXT) | instid1(VALU_DEP_1)
	v_and_b32_e32 v4, 0x80000000, v4
	v_or3_b32 v31, v0, v4, v3
.LBB210_32:                             ;   in Loop: Header=BB210_15 Depth=1
	s_or_b32 exec_lo, exec_lo, s16
.LBB210_33:                             ;   in Loop: Header=BB210_15 Depth=1
	s_delay_alu instid0(SALU_CYCLE_1)
	s_or_b32 exec_lo, exec_lo, s15
.LBB210_34:                             ;   in Loop: Header=BB210_15 Depth=1
	s_delay_alu instid0(SALU_CYCLE_1) | instskip(SKIP_3) | instid1(VALU_DEP_1)
	s_or_b32 exec_lo, exec_lo, s14
	v_mov_b64_e32 v[4:5], 0
	v_lshrrev_b32_e32 v3, 16, v2
	s_mov_b32 s14, exec_lo
	v_and_b32_e32 v0, 0xff, v3
	scratch_store_b64 off, v[4:5], s32 offset:252 ; 8-byte Folded Spill
	s_wait_xcnt 0x0
	v_mov_b64_e32 v[4:5], 0
	scratch_store_b64 off, v[4:5], s32 offset:508 ; 8-byte Folded Spill
	s_wait_xcnt 0x0
	v_cmpx_ne_u16_e32 0, v0
	s_cbranch_execz .LBB210_42
; %bb.35:                               ;   in Loop: Header=BB210_15 Depth=1
	v_cmp_ne_u16_e64 s1, 0x80, v0
	v_mov_b64_e32 v[0:1], 0x80000000
	s_and_saveexec_b32 s15, s1
	s_cbranch_execz .LBB210_41
; %bb.36:                               ;   in Loop: Header=BB210_15 Depth=1
	v_mov_b64_e32 v[0:1], 0x7f800001
	v_bfe_u32 v5, v2, 16, 7
	s_mov_b32 s16, exec_lo
	s_delay_alu instid0(VALU_DEP_1)
	v_cmpx_ne_u32_e32 0x7f, v5
	s_cbranch_execz .LBB210_40
; %bb.37:                               ;   in Loop: Header=BB210_15 Depth=1
	v_dual_lshrrev_b32 v4, 3, v5 :: v_dual_bitop2_b32 v64, 7, v3 bitop3:0x40
	s_mov_b32 s17, exec_lo
	v_cmpx_gt_u32_e32 8, v5
; %bb.38:                               ;   in Loop: Header=BB210_15 Depth=1
	s_delay_alu instid0(VALU_DEP_2) | instskip(NEXT) | instid1(VALU_DEP_1)
	v_clz_i32_u32_e32 v4, v64
	v_min_u32_e32 v4, 32, v4
	s_delay_alu instid0(VALU_DEP_1) | instskip(NEXT) | instid1(VALU_DEP_1)
	v_subrev_nc_u32_e32 v5, 28, v4
	v_lshlrev_b64_e32 v[6:7], v5, v[64:65]
	s_delay_alu instid0(VALU_DEP_1)
	v_dual_sub_nc_u32 v4, 29, v4 :: v_dual_bitop2_b32 v64, 7, v6 bitop3:0x40
; %bb.39:                               ;   in Loop: Header=BB210_15 Depth=1
	s_or_b32 exec_lo, exec_lo, s17
	s_delay_alu instid0(VALU_DEP_1) | instskip(NEXT) | instid1(VALU_DEP_2)
	v_dual_lshlrev_b32 v3, 24, v3 :: v_dual_lshlrev_b32 v0, 20, v64
	v_lshl_add_u32 v4, v4, 23, 0x3c000000
	s_delay_alu instid0(VALU_DEP_2) | instskip(NEXT) | instid1(VALU_DEP_1)
	v_and_b32_e32 v3, 0x80000000, v3
	v_or3_b32 v64, v0, v3, v4
	s_delay_alu instid0(VALU_DEP_1)
	v_mov_b64_e32 v[0:1], v[64:65]
.LBB210_40:                             ;   in Loop: Header=BB210_15 Depth=1
	s_or_b32 exec_lo, exec_lo, s16
.LBB210_41:                             ;   in Loop: Header=BB210_15 Depth=1
	s_delay_alu instid0(SALU_CYCLE_1)
	s_or_b32 exec_lo, exec_lo, s15
	scratch_store_b64 off, v[0:1], s32 offset:508 ; 8-byte Folded Spill
.LBB210_42:                             ;   in Loop: Header=BB210_15 Depth=1
	s_wait_xcnt 0x0
	s_or_b32 exec_lo, exec_lo, s14
	s_delay_alu instid0(SALU_CYCLE_1)
	s_mov_b32 s14, exec_lo
	v_cmpx_lt_u32_e32 0xffffff, v2
	s_cbranch_execz .LBB210_50
; %bb.43:                               ;   in Loop: Header=BB210_15 Depth=1
	v_mov_b64_e32 v[0:1], 0x8000000000000000
	v_lshrrev_b32_e32 v3, 24, v2
	s_mov_b32 s15, exec_lo
	scratch_store_b64 off, v[0:1], s32 offset:252 ; 8-byte Folded Spill
	s_wait_xcnt 0x0
	v_cmpx_ne_u32_e32 0x80, v3
	s_cbranch_execz .LBB210_49
; %bb.44:                               ;   in Loop: Header=BB210_15 Depth=1
	v_mov_b64_e32 v[0:1], 0x7f80000100000000
	v_bfe_u32 v4, v2, 24, 7
	s_mov_b32 s16, exec_lo
	scratch_store_b64 off, v[0:1], s32 offset:252 ; 8-byte Folded Spill
	s_wait_xcnt 0x0
	v_cmpx_ne_u32_e32 0x7f, v4
	s_cbranch_execz .LBB210_48
; %bb.45:                               ;   in Loop: Header=BB210_15 Depth=1
	v_dual_lshrrev_b32 v2, 3, v4 :: v_dual_bitop2_b32 v64, 7, v3 bitop3:0x40
	s_mov_b32 s17, exec_lo
	v_cmpx_gt_u32_e32 8, v4
; %bb.46:                               ;   in Loop: Header=BB210_15 Depth=1
	s_delay_alu instid0(VALU_DEP_2) | instskip(NEXT) | instid1(VALU_DEP_1)
	v_clz_i32_u32_e32 v2, v64
	v_min_u32_e32 v2, 32, v2
	s_delay_alu instid0(VALU_DEP_1) | instskip(NEXT) | instid1(VALU_DEP_1)
	v_subrev_nc_u32_e32 v4, 28, v2
	v_lshlrev_b64_e32 v[4:5], v4, v[64:65]
	s_delay_alu instid0(VALU_DEP_1)
	v_dual_sub_nc_u32 v2, 29, v2 :: v_dual_bitop2_b32 v64, 7, v4 bitop3:0x40
; %bb.47:                               ;   in Loop: Header=BB210_15 Depth=1
	s_or_b32 exec_lo, exec_lo, s17
	s_delay_alu instid0(VALU_DEP_1) | instskip(NEXT) | instid1(VALU_DEP_2)
	v_dual_lshlrev_b32 v3, 24, v3 :: v_dual_lshlrev_b32 v0, 20, v64
	v_lshl_add_u32 v2, v2, 23, 0x3c000000
	s_delay_alu instid0(VALU_DEP_2) | instskip(NEXT) | instid1(VALU_DEP_1)
	v_and_b32_e32 v3, 0x80000000, v3
	v_or3_b32 v1, v0, v3, v2
	v_mov_b32_e32 v0, v65
	scratch_store_b64 off, v[0:1], s32 offset:252 ; 8-byte Folded Spill
.LBB210_48:                             ;   in Loop: Header=BB210_15 Depth=1
	s_wait_xcnt 0x0
	s_or_b32 exec_lo, exec_lo, s16
.LBB210_49:                             ;   in Loop: Header=BB210_15 Depth=1
	s_delay_alu instid0(SALU_CYCLE_1)
	s_or_b32 exec_lo, exec_lo, s15
.LBB210_50:                             ;   in Loop: Header=BB210_15 Depth=1
	s_delay_alu instid0(SALU_CYCLE_1)
	s_or_b32 exec_lo, exec_lo, s14
	flat_load_b32 v2, v[52:53] offset:4
	v_mov_b64_e32 v[4:5], 0
	s_mov_b32 s14, exec_lo
	scratch_store_b64 off, v[4:5], s32 offset:260 ; 8-byte Folded Spill
	s_wait_xcnt 0x0
	v_mov_b64_e32 v[4:5], 0
	scratch_store_b64 off, v[4:5], s32 offset:516 ; 8-byte Folded Spill
	s_wait_loadcnt_dscnt 0x0
	v_and_b32_e32 v0, 0xff, v2
	s_wait_xcnt 0x0
	s_delay_alu instid0(VALU_DEP_1)
	v_cmpx_ne_u16_e32 0, v0
	s_cbranch_execz .LBB210_58
; %bb.51:                               ;   in Loop: Header=BB210_15 Depth=1
	v_cmp_ne_u16_e64 s1, 0x80, v0
	v_mov_b64_e32 v[0:1], 0x80000000
	s_and_saveexec_b32 s15, s1
	s_cbranch_execz .LBB210_57
; %bb.52:                               ;   in Loop: Header=BB210_15 Depth=1
	v_mov_b64_e32 v[0:1], 0x7f800001
	v_and_b32_e32 v4, 0x7f, v2
	s_mov_b32 s16, exec_lo
	s_delay_alu instid0(VALU_DEP_1)
	v_cmpx_ne_u32_e32 0x7f, v4
	s_cbranch_execz .LBB210_56
; %bb.53:                               ;   in Loop: Header=BB210_15 Depth=1
	v_dual_lshrrev_b32 v3, 3, v4 :: v_dual_bitop2_b32 v64, 7, v2 bitop3:0x40
	s_mov_b32 s17, exec_lo
	v_cmpx_gt_u32_e32 8, v4
; %bb.54:                               ;   in Loop: Header=BB210_15 Depth=1
	s_delay_alu instid0(VALU_DEP_2) | instskip(NEXT) | instid1(VALU_DEP_1)
	v_clz_i32_u32_e32 v3, v64
	v_min_u32_e32 v3, 32, v3
	s_delay_alu instid0(VALU_DEP_1) | instskip(NEXT) | instid1(VALU_DEP_1)
	v_subrev_nc_u32_e32 v4, 28, v3
	v_lshlrev_b64_e32 v[4:5], v4, v[64:65]
	s_delay_alu instid0(VALU_DEP_1)
	v_dual_sub_nc_u32 v3, 29, v3 :: v_dual_bitop2_b32 v64, 7, v4 bitop3:0x40
; %bb.55:                               ;   in Loop: Header=BB210_15 Depth=1
	s_or_b32 exec_lo, exec_lo, s17
	s_delay_alu instid0(VALU_DEP_1) | instskip(NEXT) | instid1(VALU_DEP_2)
	v_dual_lshlrev_b32 v4, 24, v2 :: v_dual_lshlrev_b32 v0, 20, v64
	v_lshl_add_u32 v3, v3, 23, 0x3c000000
	s_delay_alu instid0(VALU_DEP_2) | instskip(NEXT) | instid1(VALU_DEP_1)
	v_and_b32_e32 v4, 0x80000000, v4
	v_or3_b32 v64, v0, v4, v3
	s_delay_alu instid0(VALU_DEP_1)
	v_mov_b64_e32 v[0:1], v[64:65]
.LBB210_56:                             ;   in Loop: Header=BB210_15 Depth=1
	s_or_b32 exec_lo, exec_lo, s16
.LBB210_57:                             ;   in Loop: Header=BB210_15 Depth=1
	s_delay_alu instid0(SALU_CYCLE_1)
	s_or_b32 exec_lo, exec_lo, s15
	scratch_store_b64 off, v[0:1], s32 offset:516 ; 8-byte Folded Spill
.LBB210_58:                             ;   in Loop: Header=BB210_15 Depth=1
	s_wait_xcnt 0x0
	s_or_b32 exec_lo, exec_lo, s14
	v_lshrrev_b16 v0, 8, v2
	s_mov_b32 s14, exec_lo
	s_delay_alu instid0(VALU_DEP_1)
	v_cmpx_ne_u16_e32 0, v0
	s_cbranch_execz .LBB210_66
; %bb.59:                               ;   in Loop: Header=BB210_15 Depth=1
	v_mov_b64_e32 v[4:5], 0x8000000000000000
	s_mov_b32 s15, exec_lo
	scratch_store_b64 off, v[4:5], s32 offset:260 ; 8-byte Folded Spill
	s_wait_xcnt 0x0
	v_cmpx_ne_u16_e32 0x80, v0
	s_cbranch_execz .LBB210_65
; %bb.60:                               ;   in Loop: Header=BB210_15 Depth=1
	v_and_b32_e32 v0, 0xffff, v0
	v_mov_b64_e32 v[6:7], 0x7f80000100000000
	s_mov_b32 s16, exec_lo
	s_delay_alu instid0(VALU_DEP_2)
	v_and_b32_e32 v4, 0x7f, v0
	scratch_store_b64 off, v[6:7], s32 offset:260 ; 8-byte Folded Spill
	s_wait_xcnt 0x0
	v_cmpx_ne_u32_e32 0x7f, v4
	s_cbranch_execz .LBB210_64
; %bb.61:                               ;   in Loop: Header=BB210_15 Depth=1
	v_and_b32_e32 v64, 7, v0
	v_lshrrev_b32_e32 v3, 3, v4
	s_mov_b32 s17, exec_lo
	v_cmpx_gt_u32_e32 8, v4
; %bb.62:                               ;   in Loop: Header=BB210_15 Depth=1
	s_delay_alu instid0(VALU_DEP_3) | instskip(NEXT) | instid1(VALU_DEP_1)
	v_clz_i32_u32_e32 v3, v64
	v_min_u32_e32 v3, 32, v3
	s_delay_alu instid0(VALU_DEP_1) | instskip(NEXT) | instid1(VALU_DEP_1)
	v_subrev_nc_u32_e32 v4, 28, v3
	v_lshlrev_b64_e32 v[4:5], v4, v[64:65]
	s_delay_alu instid0(VALU_DEP_1)
	v_dual_sub_nc_u32 v3, 29, v3 :: v_dual_bitop2_b32 v64, 7, v4 bitop3:0x40
; %bb.63:                               ;   in Loop: Header=BB210_15 Depth=1
	s_or_b32 exec_lo, exec_lo, s17
	s_delay_alu instid0(VALU_DEP_1) | instskip(NEXT) | instid1(VALU_DEP_2)
	v_dual_lshlrev_b32 v4, 16, v2 :: v_dual_lshlrev_b32 v0, 20, v64
	v_lshl_add_u32 v3, v3, 23, 0x3c000000
	s_delay_alu instid0(VALU_DEP_2) | instskip(NEXT) | instid1(VALU_DEP_1)
	v_and_b32_e32 v4, 0x80000000, v4
	v_or3_b32 v1, v0, v4, v3
	v_mov_b32_e32 v0, v65
	scratch_store_b64 off, v[0:1], s32 offset:260 ; 8-byte Folded Spill
.LBB210_64:                             ;   in Loop: Header=BB210_15 Depth=1
	s_wait_xcnt 0x0
	s_or_b32 exec_lo, exec_lo, s16
.LBB210_65:                             ;   in Loop: Header=BB210_15 Depth=1
	s_delay_alu instid0(SALU_CYCLE_1)
	s_or_b32 exec_lo, exec_lo, s15
.LBB210_66:                             ;   in Loop: Header=BB210_15 Depth=1
	s_delay_alu instid0(SALU_CYCLE_1) | instskip(SKIP_3) | instid1(VALU_DEP_1)
	s_or_b32 exec_lo, exec_lo, s14
	v_mov_b64_e32 v[4:5], 0
	v_lshrrev_b32_e32 v3, 16, v2
	s_mov_b32 s14, exec_lo
	v_and_b32_e32 v0, 0xff, v3
	scratch_store_b64 off, v[4:5], s32 offset:268 ; 8-byte Folded Spill
	s_wait_xcnt 0x0
	v_mov_b64_e32 v[4:5], 0
	scratch_store_b64 off, v[4:5], s32 offset:524 ; 8-byte Folded Spill
	s_wait_xcnt 0x0
	v_cmpx_ne_u16_e32 0, v0
	s_cbranch_execz .LBB210_74
; %bb.67:                               ;   in Loop: Header=BB210_15 Depth=1
	v_cmp_ne_u16_e64 s1, 0x80, v0
	v_mov_b64_e32 v[0:1], 0x80000000
	s_and_saveexec_b32 s15, s1
	s_cbranch_execz .LBB210_73
; %bb.68:                               ;   in Loop: Header=BB210_15 Depth=1
	v_mov_b64_e32 v[0:1], 0x7f800001
	v_bfe_u32 v5, v2, 16, 7
	s_mov_b32 s16, exec_lo
	s_delay_alu instid0(VALU_DEP_1)
	v_cmpx_ne_u32_e32 0x7f, v5
	s_cbranch_execz .LBB210_72
; %bb.69:                               ;   in Loop: Header=BB210_15 Depth=1
	v_dual_lshrrev_b32 v4, 3, v5 :: v_dual_bitop2_b32 v64, 7, v3 bitop3:0x40
	s_mov_b32 s17, exec_lo
	v_cmpx_gt_u32_e32 8, v5
; %bb.70:                               ;   in Loop: Header=BB210_15 Depth=1
	s_delay_alu instid0(VALU_DEP_2) | instskip(NEXT) | instid1(VALU_DEP_1)
	v_clz_i32_u32_e32 v4, v64
	v_min_u32_e32 v4, 32, v4
	s_delay_alu instid0(VALU_DEP_1) | instskip(NEXT) | instid1(VALU_DEP_1)
	v_subrev_nc_u32_e32 v5, 28, v4
	v_lshlrev_b64_e32 v[6:7], v5, v[64:65]
	s_delay_alu instid0(VALU_DEP_1)
	v_dual_sub_nc_u32 v4, 29, v4 :: v_dual_bitop2_b32 v64, 7, v6 bitop3:0x40
; %bb.71:                               ;   in Loop: Header=BB210_15 Depth=1
	s_or_b32 exec_lo, exec_lo, s17
	s_delay_alu instid0(VALU_DEP_1) | instskip(NEXT) | instid1(VALU_DEP_2)
	v_dual_lshlrev_b32 v3, 24, v3 :: v_dual_lshlrev_b32 v0, 20, v64
	v_lshl_add_u32 v4, v4, 23, 0x3c000000
	s_delay_alu instid0(VALU_DEP_2) | instskip(NEXT) | instid1(VALU_DEP_1)
	v_and_b32_e32 v3, 0x80000000, v3
	v_or3_b32 v64, v0, v3, v4
	s_delay_alu instid0(VALU_DEP_1)
	v_mov_b64_e32 v[0:1], v[64:65]
.LBB210_72:                             ;   in Loop: Header=BB210_15 Depth=1
	s_or_b32 exec_lo, exec_lo, s16
.LBB210_73:                             ;   in Loop: Header=BB210_15 Depth=1
	s_delay_alu instid0(SALU_CYCLE_1)
	s_or_b32 exec_lo, exec_lo, s15
	scratch_store_b64 off, v[0:1], s32 offset:524 ; 8-byte Folded Spill
.LBB210_74:                             ;   in Loop: Header=BB210_15 Depth=1
	s_wait_xcnt 0x0
	s_or_b32 exec_lo, exec_lo, s14
	s_delay_alu instid0(SALU_CYCLE_1)
	s_mov_b32 s14, exec_lo
	v_cmpx_lt_u32_e32 0xffffff, v2
	s_cbranch_execz .LBB210_82
; %bb.75:                               ;   in Loop: Header=BB210_15 Depth=1
	v_mov_b64_e32 v[0:1], 0x8000000000000000
	v_lshrrev_b32_e32 v3, 24, v2
	s_mov_b32 s15, exec_lo
	scratch_store_b64 off, v[0:1], s32 offset:268 ; 8-byte Folded Spill
	s_wait_xcnt 0x0
	v_cmpx_ne_u32_e32 0x80, v3
	s_cbranch_execz .LBB210_81
; %bb.76:                               ;   in Loop: Header=BB210_15 Depth=1
	v_mov_b64_e32 v[0:1], 0x7f80000100000000
	v_bfe_u32 v4, v2, 24, 7
	s_mov_b32 s16, exec_lo
	scratch_store_b64 off, v[0:1], s32 offset:268 ; 8-byte Folded Spill
	s_wait_xcnt 0x0
	v_cmpx_ne_u32_e32 0x7f, v4
	s_cbranch_execz .LBB210_80
; %bb.77:                               ;   in Loop: Header=BB210_15 Depth=1
	v_dual_lshrrev_b32 v2, 3, v4 :: v_dual_bitop2_b32 v64, 7, v3 bitop3:0x40
	s_mov_b32 s17, exec_lo
	v_cmpx_gt_u32_e32 8, v4
; %bb.78:                               ;   in Loop: Header=BB210_15 Depth=1
	s_delay_alu instid0(VALU_DEP_2) | instskip(NEXT) | instid1(VALU_DEP_1)
	v_clz_i32_u32_e32 v2, v64
	v_min_u32_e32 v2, 32, v2
	s_delay_alu instid0(VALU_DEP_1) | instskip(NEXT) | instid1(VALU_DEP_1)
	v_subrev_nc_u32_e32 v4, 28, v2
	v_lshlrev_b64_e32 v[4:5], v4, v[64:65]
	s_delay_alu instid0(VALU_DEP_1)
	v_dual_sub_nc_u32 v2, 29, v2 :: v_dual_bitop2_b32 v64, 7, v4 bitop3:0x40
; %bb.79:                               ;   in Loop: Header=BB210_15 Depth=1
	s_or_b32 exec_lo, exec_lo, s17
	s_delay_alu instid0(VALU_DEP_1) | instskip(NEXT) | instid1(VALU_DEP_2)
	v_dual_lshlrev_b32 v3, 24, v3 :: v_dual_lshlrev_b32 v0, 20, v64
	v_lshl_add_u32 v2, v2, 23, 0x3c000000
	s_delay_alu instid0(VALU_DEP_2) | instskip(NEXT) | instid1(VALU_DEP_1)
	v_and_b32_e32 v3, 0x80000000, v3
	v_or3_b32 v1, v0, v3, v2
	v_mov_b32_e32 v0, v65
	scratch_store_b64 off, v[0:1], s32 offset:268 ; 8-byte Folded Spill
.LBB210_80:                             ;   in Loop: Header=BB210_15 Depth=1
	s_wait_xcnt 0x0
	s_or_b32 exec_lo, exec_lo, s16
.LBB210_81:                             ;   in Loop: Header=BB210_15 Depth=1
	s_delay_alu instid0(SALU_CYCLE_1)
	s_or_b32 exec_lo, exec_lo, s15
.LBB210_82:                             ;   in Loop: Header=BB210_15 Depth=1
	s_delay_alu instid0(SALU_CYCLE_1)
	s_or_b32 exec_lo, exec_lo, s14
	flat_load_b32 v2, v[52:53] offset:8
	v_mov_b64_e32 v[4:5], 0
	s_mov_b32 s14, exec_lo
	scratch_store_b64 off, v[4:5], s32 offset:276 ; 8-byte Folded Spill
	s_wait_xcnt 0x0
	v_mov_b64_e32 v[4:5], 0
	scratch_store_b64 off, v[4:5], s32 offset:532 ; 8-byte Folded Spill
	s_wait_loadcnt_dscnt 0x0
	v_and_b32_e32 v0, 0xff, v2
	s_wait_xcnt 0x0
	s_delay_alu instid0(VALU_DEP_1)
	v_cmpx_ne_u16_e32 0, v0
	s_cbranch_execz .LBB210_90
; %bb.83:                               ;   in Loop: Header=BB210_15 Depth=1
	v_cmp_ne_u16_e64 s1, 0x80, v0
	v_mov_b64_e32 v[0:1], 0x80000000
	s_and_saveexec_b32 s15, s1
	s_cbranch_execz .LBB210_89
; %bb.84:                               ;   in Loop: Header=BB210_15 Depth=1
	v_mov_b64_e32 v[0:1], 0x7f800001
	v_and_b32_e32 v4, 0x7f, v2
	s_mov_b32 s16, exec_lo
	s_delay_alu instid0(VALU_DEP_1)
	v_cmpx_ne_u32_e32 0x7f, v4
	s_cbranch_execz .LBB210_88
; %bb.85:                               ;   in Loop: Header=BB210_15 Depth=1
	v_dual_lshrrev_b32 v3, 3, v4 :: v_dual_bitop2_b32 v64, 7, v2 bitop3:0x40
	s_mov_b32 s17, exec_lo
	v_cmpx_gt_u32_e32 8, v4
; %bb.86:                               ;   in Loop: Header=BB210_15 Depth=1
	s_delay_alu instid0(VALU_DEP_2) | instskip(NEXT) | instid1(VALU_DEP_1)
	v_clz_i32_u32_e32 v3, v64
	v_min_u32_e32 v3, 32, v3
	s_delay_alu instid0(VALU_DEP_1) | instskip(NEXT) | instid1(VALU_DEP_1)
	v_subrev_nc_u32_e32 v4, 28, v3
	v_lshlrev_b64_e32 v[4:5], v4, v[64:65]
	s_delay_alu instid0(VALU_DEP_1)
	v_dual_sub_nc_u32 v3, 29, v3 :: v_dual_bitop2_b32 v64, 7, v4 bitop3:0x40
; %bb.87:                               ;   in Loop: Header=BB210_15 Depth=1
	s_or_b32 exec_lo, exec_lo, s17
	s_delay_alu instid0(VALU_DEP_1) | instskip(NEXT) | instid1(VALU_DEP_2)
	v_dual_lshlrev_b32 v4, 24, v2 :: v_dual_lshlrev_b32 v0, 20, v64
	v_lshl_add_u32 v3, v3, 23, 0x3c000000
	s_delay_alu instid0(VALU_DEP_2) | instskip(NEXT) | instid1(VALU_DEP_1)
	v_and_b32_e32 v4, 0x80000000, v4
	v_or3_b32 v64, v0, v4, v3
	s_delay_alu instid0(VALU_DEP_1)
	v_mov_b64_e32 v[0:1], v[64:65]
.LBB210_88:                             ;   in Loop: Header=BB210_15 Depth=1
	s_or_b32 exec_lo, exec_lo, s16
.LBB210_89:                             ;   in Loop: Header=BB210_15 Depth=1
	s_delay_alu instid0(SALU_CYCLE_1)
	s_or_b32 exec_lo, exec_lo, s15
	scratch_store_b64 off, v[0:1], s32 offset:532 ; 8-byte Folded Spill
.LBB210_90:                             ;   in Loop: Header=BB210_15 Depth=1
	s_wait_xcnt 0x0
	s_or_b32 exec_lo, exec_lo, s14
	v_lshrrev_b16 v0, 8, v2
	s_mov_b32 s14, exec_lo
	s_delay_alu instid0(VALU_DEP_1)
	v_cmpx_ne_u16_e32 0, v0
	s_cbranch_execz .LBB210_98
; %bb.91:                               ;   in Loop: Header=BB210_15 Depth=1
	v_mov_b64_e32 v[4:5], 0x8000000000000000
	s_mov_b32 s15, exec_lo
	scratch_store_b64 off, v[4:5], s32 offset:276 ; 8-byte Folded Spill
	s_wait_xcnt 0x0
	v_cmpx_ne_u16_e32 0x80, v0
	s_cbranch_execz .LBB210_97
; %bb.92:                               ;   in Loop: Header=BB210_15 Depth=1
	v_and_b32_e32 v0, 0xffff, v0
	v_mov_b64_e32 v[6:7], 0x7f80000100000000
	s_mov_b32 s16, exec_lo
	s_delay_alu instid0(VALU_DEP_2)
	v_and_b32_e32 v4, 0x7f, v0
	scratch_store_b64 off, v[6:7], s32 offset:276 ; 8-byte Folded Spill
	s_wait_xcnt 0x0
	v_cmpx_ne_u32_e32 0x7f, v4
	s_cbranch_execz .LBB210_96
; %bb.93:                               ;   in Loop: Header=BB210_15 Depth=1
	v_and_b32_e32 v64, 7, v0
	v_lshrrev_b32_e32 v3, 3, v4
	s_mov_b32 s17, exec_lo
	v_cmpx_gt_u32_e32 8, v4
; %bb.94:                               ;   in Loop: Header=BB210_15 Depth=1
	s_delay_alu instid0(VALU_DEP_3) | instskip(NEXT) | instid1(VALU_DEP_1)
	v_clz_i32_u32_e32 v3, v64
	v_min_u32_e32 v3, 32, v3
	s_delay_alu instid0(VALU_DEP_1) | instskip(NEXT) | instid1(VALU_DEP_1)
	v_subrev_nc_u32_e32 v4, 28, v3
	v_lshlrev_b64_e32 v[4:5], v4, v[64:65]
	s_delay_alu instid0(VALU_DEP_1)
	v_dual_sub_nc_u32 v3, 29, v3 :: v_dual_bitop2_b32 v64, 7, v4 bitop3:0x40
; %bb.95:                               ;   in Loop: Header=BB210_15 Depth=1
	s_or_b32 exec_lo, exec_lo, s17
	s_delay_alu instid0(VALU_DEP_1) | instskip(NEXT) | instid1(VALU_DEP_2)
	v_dual_lshlrev_b32 v4, 16, v2 :: v_dual_lshlrev_b32 v0, 20, v64
	v_lshl_add_u32 v3, v3, 23, 0x3c000000
	s_delay_alu instid0(VALU_DEP_2) | instskip(NEXT) | instid1(VALU_DEP_1)
	v_and_b32_e32 v4, 0x80000000, v4
	v_or3_b32 v1, v0, v4, v3
	v_mov_b32_e32 v0, v65
	scratch_store_b64 off, v[0:1], s32 offset:276 ; 8-byte Folded Spill
.LBB210_96:                             ;   in Loop: Header=BB210_15 Depth=1
	s_wait_xcnt 0x0
	s_or_b32 exec_lo, exec_lo, s16
.LBB210_97:                             ;   in Loop: Header=BB210_15 Depth=1
	s_delay_alu instid0(SALU_CYCLE_1)
	s_or_b32 exec_lo, exec_lo, s15
.LBB210_98:                             ;   in Loop: Header=BB210_15 Depth=1
	s_delay_alu instid0(SALU_CYCLE_1) | instskip(SKIP_3) | instid1(VALU_DEP_1)
	s_or_b32 exec_lo, exec_lo, s14
	v_mov_b64_e32 v[4:5], 0
	v_lshrrev_b32_e32 v3, 16, v2
	s_mov_b32 s14, exec_lo
	v_and_b32_e32 v0, 0xff, v3
	scratch_store_b64 off, v[4:5], s32 offset:284 ; 8-byte Folded Spill
	s_wait_xcnt 0x0
	v_mov_b64_e32 v[4:5], 0
	scratch_store_b64 off, v[4:5], s32 offset:540 ; 8-byte Folded Spill
	s_wait_xcnt 0x0
	v_cmpx_ne_u16_e32 0, v0
	s_cbranch_execz .LBB210_106
; %bb.99:                               ;   in Loop: Header=BB210_15 Depth=1
	v_cmp_ne_u16_e64 s1, 0x80, v0
	v_mov_b64_e32 v[0:1], 0x80000000
	s_and_saveexec_b32 s15, s1
	s_cbranch_execz .LBB210_105
; %bb.100:                              ;   in Loop: Header=BB210_15 Depth=1
	v_mov_b64_e32 v[0:1], 0x7f800001
	v_bfe_u32 v5, v2, 16, 7
	s_mov_b32 s16, exec_lo
	s_delay_alu instid0(VALU_DEP_1)
	v_cmpx_ne_u32_e32 0x7f, v5
	s_cbranch_execz .LBB210_104
; %bb.101:                              ;   in Loop: Header=BB210_15 Depth=1
	v_dual_lshrrev_b32 v4, 3, v5 :: v_dual_bitop2_b32 v64, 7, v3 bitop3:0x40
	s_mov_b32 s17, exec_lo
	v_cmpx_gt_u32_e32 8, v5
; %bb.102:                              ;   in Loop: Header=BB210_15 Depth=1
	s_delay_alu instid0(VALU_DEP_2) | instskip(NEXT) | instid1(VALU_DEP_1)
	v_clz_i32_u32_e32 v4, v64
	v_min_u32_e32 v4, 32, v4
	s_delay_alu instid0(VALU_DEP_1) | instskip(NEXT) | instid1(VALU_DEP_1)
	v_subrev_nc_u32_e32 v5, 28, v4
	v_lshlrev_b64_e32 v[6:7], v5, v[64:65]
	s_delay_alu instid0(VALU_DEP_1)
	v_dual_sub_nc_u32 v4, 29, v4 :: v_dual_bitop2_b32 v64, 7, v6 bitop3:0x40
; %bb.103:                              ;   in Loop: Header=BB210_15 Depth=1
	s_or_b32 exec_lo, exec_lo, s17
	s_delay_alu instid0(VALU_DEP_1) | instskip(NEXT) | instid1(VALU_DEP_2)
	v_dual_lshlrev_b32 v3, 24, v3 :: v_dual_lshlrev_b32 v0, 20, v64
	v_lshl_add_u32 v4, v4, 23, 0x3c000000
	s_delay_alu instid0(VALU_DEP_2) | instskip(NEXT) | instid1(VALU_DEP_1)
	v_and_b32_e32 v3, 0x80000000, v3
	v_or3_b32 v64, v0, v3, v4
	s_delay_alu instid0(VALU_DEP_1)
	v_mov_b64_e32 v[0:1], v[64:65]
.LBB210_104:                            ;   in Loop: Header=BB210_15 Depth=1
	s_or_b32 exec_lo, exec_lo, s16
.LBB210_105:                            ;   in Loop: Header=BB210_15 Depth=1
	s_delay_alu instid0(SALU_CYCLE_1)
	s_or_b32 exec_lo, exec_lo, s15
	scratch_store_b64 off, v[0:1], s32 offset:540 ; 8-byte Folded Spill
.LBB210_106:                            ;   in Loop: Header=BB210_15 Depth=1
	s_wait_xcnt 0x0
	s_or_b32 exec_lo, exec_lo, s14
	s_delay_alu instid0(SALU_CYCLE_1)
	s_mov_b32 s14, exec_lo
	v_cmpx_lt_u32_e32 0xffffff, v2
	s_cbranch_execz .LBB210_114
; %bb.107:                              ;   in Loop: Header=BB210_15 Depth=1
	v_mov_b64_e32 v[0:1], 0x8000000000000000
	v_lshrrev_b32_e32 v3, 24, v2
	s_mov_b32 s15, exec_lo
	scratch_store_b64 off, v[0:1], s32 offset:284 ; 8-byte Folded Spill
	s_wait_xcnt 0x0
	v_cmpx_ne_u32_e32 0x80, v3
	s_cbranch_execz .LBB210_113
; %bb.108:                              ;   in Loop: Header=BB210_15 Depth=1
	v_mov_b64_e32 v[0:1], 0x7f80000100000000
	v_bfe_u32 v4, v2, 24, 7
	s_mov_b32 s16, exec_lo
	scratch_store_b64 off, v[0:1], s32 offset:284 ; 8-byte Folded Spill
	s_wait_xcnt 0x0
	v_cmpx_ne_u32_e32 0x7f, v4
	s_cbranch_execz .LBB210_112
; %bb.109:                              ;   in Loop: Header=BB210_15 Depth=1
	v_dual_lshrrev_b32 v2, 3, v4 :: v_dual_bitop2_b32 v64, 7, v3 bitop3:0x40
	s_mov_b32 s17, exec_lo
	v_cmpx_gt_u32_e32 8, v4
; %bb.110:                              ;   in Loop: Header=BB210_15 Depth=1
	s_delay_alu instid0(VALU_DEP_2) | instskip(NEXT) | instid1(VALU_DEP_1)
	v_clz_i32_u32_e32 v2, v64
	v_min_u32_e32 v2, 32, v2
	s_delay_alu instid0(VALU_DEP_1) | instskip(NEXT) | instid1(VALU_DEP_1)
	v_subrev_nc_u32_e32 v4, 28, v2
	v_lshlrev_b64_e32 v[4:5], v4, v[64:65]
	s_delay_alu instid0(VALU_DEP_1)
	v_dual_sub_nc_u32 v2, 29, v2 :: v_dual_bitop2_b32 v64, 7, v4 bitop3:0x40
; %bb.111:                              ;   in Loop: Header=BB210_15 Depth=1
	s_or_b32 exec_lo, exec_lo, s17
	s_delay_alu instid0(VALU_DEP_1) | instskip(NEXT) | instid1(VALU_DEP_2)
	v_dual_lshlrev_b32 v3, 24, v3 :: v_dual_lshlrev_b32 v0, 20, v64
	v_lshl_add_u32 v2, v2, 23, 0x3c000000
	s_delay_alu instid0(VALU_DEP_2) | instskip(NEXT) | instid1(VALU_DEP_1)
	v_and_b32_e32 v3, 0x80000000, v3
	v_or3_b32 v1, v0, v3, v2
	v_mov_b32_e32 v0, v65
	scratch_store_b64 off, v[0:1], s32 offset:284 ; 8-byte Folded Spill
.LBB210_112:                            ;   in Loop: Header=BB210_15 Depth=1
	s_wait_xcnt 0x0
	s_or_b32 exec_lo, exec_lo, s16
.LBB210_113:                            ;   in Loop: Header=BB210_15 Depth=1
	s_delay_alu instid0(SALU_CYCLE_1)
	s_or_b32 exec_lo, exec_lo, s15
.LBB210_114:                            ;   in Loop: Header=BB210_15 Depth=1
	s_delay_alu instid0(SALU_CYCLE_1)
	s_or_b32 exec_lo, exec_lo, s14
	flat_load_b32 v2, v[52:53] offset:12
	v_mov_b64_e32 v[4:5], 0
	s_mov_b32 s14, exec_lo
	scratch_store_b64 off, v[4:5], s32 offset:292 ; 8-byte Folded Spill
	s_wait_xcnt 0x0
	v_mov_b64_e32 v[4:5], 0
	scratch_store_b64 off, v[4:5], s32 offset:548 ; 8-byte Folded Spill
	s_wait_loadcnt_dscnt 0x0
	v_and_b32_e32 v0, 0xff, v2
	s_wait_xcnt 0x0
	s_delay_alu instid0(VALU_DEP_1)
	v_cmpx_ne_u16_e32 0, v0
	s_cbranch_execz .LBB210_122
; %bb.115:                              ;   in Loop: Header=BB210_15 Depth=1
	v_cmp_ne_u16_e64 s1, 0x80, v0
	v_mov_b64_e32 v[0:1], 0x80000000
	s_and_saveexec_b32 s15, s1
	s_cbranch_execz .LBB210_121
; %bb.116:                              ;   in Loop: Header=BB210_15 Depth=1
	v_mov_b64_e32 v[0:1], 0x7f800001
	v_and_b32_e32 v4, 0x7f, v2
	s_mov_b32 s16, exec_lo
	s_delay_alu instid0(VALU_DEP_1)
	v_cmpx_ne_u32_e32 0x7f, v4
	s_cbranch_execz .LBB210_120
; %bb.117:                              ;   in Loop: Header=BB210_15 Depth=1
	v_dual_lshrrev_b32 v3, 3, v4 :: v_dual_bitop2_b32 v64, 7, v2 bitop3:0x40
	s_mov_b32 s17, exec_lo
	v_cmpx_gt_u32_e32 8, v4
; %bb.118:                              ;   in Loop: Header=BB210_15 Depth=1
	s_delay_alu instid0(VALU_DEP_2) | instskip(NEXT) | instid1(VALU_DEP_1)
	v_clz_i32_u32_e32 v3, v64
	v_min_u32_e32 v3, 32, v3
	s_delay_alu instid0(VALU_DEP_1) | instskip(NEXT) | instid1(VALU_DEP_1)
	v_subrev_nc_u32_e32 v4, 28, v3
	v_lshlrev_b64_e32 v[4:5], v4, v[64:65]
	s_delay_alu instid0(VALU_DEP_1)
	v_dual_sub_nc_u32 v3, 29, v3 :: v_dual_bitop2_b32 v64, 7, v4 bitop3:0x40
; %bb.119:                              ;   in Loop: Header=BB210_15 Depth=1
	s_or_b32 exec_lo, exec_lo, s17
	s_delay_alu instid0(VALU_DEP_1) | instskip(NEXT) | instid1(VALU_DEP_2)
	v_dual_lshlrev_b32 v4, 24, v2 :: v_dual_lshlrev_b32 v0, 20, v64
	v_lshl_add_u32 v3, v3, 23, 0x3c000000
	s_delay_alu instid0(VALU_DEP_2) | instskip(NEXT) | instid1(VALU_DEP_1)
	v_and_b32_e32 v4, 0x80000000, v4
	v_or3_b32 v64, v0, v4, v3
	s_delay_alu instid0(VALU_DEP_1)
	v_mov_b64_e32 v[0:1], v[64:65]
.LBB210_120:                            ;   in Loop: Header=BB210_15 Depth=1
	s_or_b32 exec_lo, exec_lo, s16
.LBB210_121:                            ;   in Loop: Header=BB210_15 Depth=1
	s_delay_alu instid0(SALU_CYCLE_1)
	s_or_b32 exec_lo, exec_lo, s15
	scratch_store_b64 off, v[0:1], s32 offset:548 ; 8-byte Folded Spill
.LBB210_122:                            ;   in Loop: Header=BB210_15 Depth=1
	s_wait_xcnt 0x0
	s_or_b32 exec_lo, exec_lo, s14
	v_lshrrev_b16 v0, 8, v2
	s_mov_b32 s14, exec_lo
	s_delay_alu instid0(VALU_DEP_1)
	v_cmpx_ne_u16_e32 0, v0
	s_cbranch_execz .LBB210_130
; %bb.123:                              ;   in Loop: Header=BB210_15 Depth=1
	v_mov_b64_e32 v[4:5], 0x8000000000000000
	s_mov_b32 s15, exec_lo
	scratch_store_b64 off, v[4:5], s32 offset:292 ; 8-byte Folded Spill
	s_wait_xcnt 0x0
	v_cmpx_ne_u16_e32 0x80, v0
	s_cbranch_execz .LBB210_129
; %bb.124:                              ;   in Loop: Header=BB210_15 Depth=1
	v_and_b32_e32 v0, 0xffff, v0
	v_mov_b64_e32 v[6:7], 0x7f80000100000000
	s_mov_b32 s16, exec_lo
	s_delay_alu instid0(VALU_DEP_2)
	v_and_b32_e32 v4, 0x7f, v0
	scratch_store_b64 off, v[6:7], s32 offset:292 ; 8-byte Folded Spill
	s_wait_xcnt 0x0
	v_cmpx_ne_u32_e32 0x7f, v4
	s_cbranch_execz .LBB210_128
; %bb.125:                              ;   in Loop: Header=BB210_15 Depth=1
	v_and_b32_e32 v64, 7, v0
	v_lshrrev_b32_e32 v3, 3, v4
	s_mov_b32 s17, exec_lo
	v_cmpx_gt_u32_e32 8, v4
; %bb.126:                              ;   in Loop: Header=BB210_15 Depth=1
	s_delay_alu instid0(VALU_DEP_3) | instskip(NEXT) | instid1(VALU_DEP_1)
	v_clz_i32_u32_e32 v3, v64
	v_min_u32_e32 v3, 32, v3
	s_delay_alu instid0(VALU_DEP_1) | instskip(NEXT) | instid1(VALU_DEP_1)
	v_subrev_nc_u32_e32 v4, 28, v3
	v_lshlrev_b64_e32 v[4:5], v4, v[64:65]
	s_delay_alu instid0(VALU_DEP_1)
	v_dual_sub_nc_u32 v3, 29, v3 :: v_dual_bitop2_b32 v64, 7, v4 bitop3:0x40
; %bb.127:                              ;   in Loop: Header=BB210_15 Depth=1
	s_or_b32 exec_lo, exec_lo, s17
	s_delay_alu instid0(VALU_DEP_1) | instskip(NEXT) | instid1(VALU_DEP_2)
	v_dual_lshlrev_b32 v4, 16, v2 :: v_dual_lshlrev_b32 v0, 20, v64
	v_lshl_add_u32 v3, v3, 23, 0x3c000000
	s_delay_alu instid0(VALU_DEP_2) | instskip(NEXT) | instid1(VALU_DEP_1)
	v_and_b32_e32 v4, 0x80000000, v4
	v_or3_b32 v1, v0, v4, v3
	v_mov_b32_e32 v0, v65
	scratch_store_b64 off, v[0:1], s32 offset:292 ; 8-byte Folded Spill
.LBB210_128:                            ;   in Loop: Header=BB210_15 Depth=1
	s_wait_xcnt 0x0
	s_or_b32 exec_lo, exec_lo, s16
.LBB210_129:                            ;   in Loop: Header=BB210_15 Depth=1
	s_delay_alu instid0(SALU_CYCLE_1)
	s_or_b32 exec_lo, exec_lo, s15
.LBB210_130:                            ;   in Loop: Header=BB210_15 Depth=1
	s_delay_alu instid0(SALU_CYCLE_1) | instskip(SKIP_3) | instid1(VALU_DEP_1)
	s_or_b32 exec_lo, exec_lo, s14
	v_mov_b64_e32 v[4:5], 0
	v_lshrrev_b32_e32 v3, 16, v2
	s_mov_b32 s14, exec_lo
	v_and_b32_e32 v0, 0xff, v3
	scratch_store_b64 off, v[4:5], s32 offset:300 ; 8-byte Folded Spill
	s_wait_xcnt 0x0
	v_mov_b64_e32 v[4:5], 0
	scratch_store_b64 off, v[4:5], s32 offset:556 ; 8-byte Folded Spill
	s_wait_xcnt 0x0
	v_cmpx_ne_u16_e32 0, v0
	s_cbranch_execz .LBB210_138
; %bb.131:                              ;   in Loop: Header=BB210_15 Depth=1
	v_cmp_ne_u16_e64 s1, 0x80, v0
	v_mov_b64_e32 v[0:1], 0x80000000
	s_and_saveexec_b32 s15, s1
	s_cbranch_execz .LBB210_137
; %bb.132:                              ;   in Loop: Header=BB210_15 Depth=1
	v_mov_b64_e32 v[0:1], 0x7f800001
	v_bfe_u32 v5, v2, 16, 7
	s_mov_b32 s16, exec_lo
	s_delay_alu instid0(VALU_DEP_1)
	v_cmpx_ne_u32_e32 0x7f, v5
	s_cbranch_execz .LBB210_136
; %bb.133:                              ;   in Loop: Header=BB210_15 Depth=1
	v_dual_lshrrev_b32 v4, 3, v5 :: v_dual_bitop2_b32 v64, 7, v3 bitop3:0x40
	s_mov_b32 s17, exec_lo
	v_cmpx_gt_u32_e32 8, v5
; %bb.134:                              ;   in Loop: Header=BB210_15 Depth=1
	s_delay_alu instid0(VALU_DEP_2) | instskip(NEXT) | instid1(VALU_DEP_1)
	v_clz_i32_u32_e32 v4, v64
	v_min_u32_e32 v4, 32, v4
	s_delay_alu instid0(VALU_DEP_1) | instskip(NEXT) | instid1(VALU_DEP_1)
	v_subrev_nc_u32_e32 v5, 28, v4
	v_lshlrev_b64_e32 v[6:7], v5, v[64:65]
	s_delay_alu instid0(VALU_DEP_1)
	v_dual_sub_nc_u32 v4, 29, v4 :: v_dual_bitop2_b32 v64, 7, v6 bitop3:0x40
; %bb.135:                              ;   in Loop: Header=BB210_15 Depth=1
	s_or_b32 exec_lo, exec_lo, s17
	s_delay_alu instid0(VALU_DEP_1) | instskip(NEXT) | instid1(VALU_DEP_2)
	v_dual_lshlrev_b32 v3, 24, v3 :: v_dual_lshlrev_b32 v0, 20, v64
	v_lshl_add_u32 v4, v4, 23, 0x3c000000
	s_delay_alu instid0(VALU_DEP_2) | instskip(NEXT) | instid1(VALU_DEP_1)
	v_and_b32_e32 v3, 0x80000000, v3
	v_or3_b32 v64, v0, v3, v4
	s_delay_alu instid0(VALU_DEP_1)
	v_mov_b64_e32 v[0:1], v[64:65]
.LBB210_136:                            ;   in Loop: Header=BB210_15 Depth=1
	s_or_b32 exec_lo, exec_lo, s16
.LBB210_137:                            ;   in Loop: Header=BB210_15 Depth=1
	s_delay_alu instid0(SALU_CYCLE_1)
	s_or_b32 exec_lo, exec_lo, s15
	scratch_store_b64 off, v[0:1], s32 offset:556 ; 8-byte Folded Spill
.LBB210_138:                            ;   in Loop: Header=BB210_15 Depth=1
	s_wait_xcnt 0x0
	s_or_b32 exec_lo, exec_lo, s14
	s_delay_alu instid0(SALU_CYCLE_1)
	s_mov_b32 s14, exec_lo
	v_cmpx_lt_u32_e32 0xffffff, v2
	s_cbranch_execz .LBB210_146
; %bb.139:                              ;   in Loop: Header=BB210_15 Depth=1
	v_mov_b64_e32 v[0:1], 0x8000000000000000
	v_lshrrev_b32_e32 v3, 24, v2
	s_mov_b32 s15, exec_lo
	scratch_store_b64 off, v[0:1], s32 offset:300 ; 8-byte Folded Spill
	s_wait_xcnt 0x0
	v_cmpx_ne_u32_e32 0x80, v3
	s_cbranch_execz .LBB210_145
; %bb.140:                              ;   in Loop: Header=BB210_15 Depth=1
	v_mov_b64_e32 v[0:1], 0x7f80000100000000
	v_bfe_u32 v4, v2, 24, 7
	s_mov_b32 s16, exec_lo
	scratch_store_b64 off, v[0:1], s32 offset:300 ; 8-byte Folded Spill
	s_wait_xcnt 0x0
	v_cmpx_ne_u32_e32 0x7f, v4
	s_cbranch_execz .LBB210_144
; %bb.141:                              ;   in Loop: Header=BB210_15 Depth=1
	v_dual_lshrrev_b32 v2, 3, v4 :: v_dual_bitop2_b32 v64, 7, v3 bitop3:0x40
	s_mov_b32 s17, exec_lo
	v_cmpx_gt_u32_e32 8, v4
; %bb.142:                              ;   in Loop: Header=BB210_15 Depth=1
	s_delay_alu instid0(VALU_DEP_2) | instskip(NEXT) | instid1(VALU_DEP_1)
	v_clz_i32_u32_e32 v2, v64
	v_min_u32_e32 v2, 32, v2
	s_delay_alu instid0(VALU_DEP_1) | instskip(NEXT) | instid1(VALU_DEP_1)
	v_subrev_nc_u32_e32 v4, 28, v2
	v_lshlrev_b64_e32 v[4:5], v4, v[64:65]
	s_delay_alu instid0(VALU_DEP_1)
	v_dual_sub_nc_u32 v2, 29, v2 :: v_dual_bitop2_b32 v64, 7, v4 bitop3:0x40
; %bb.143:                              ;   in Loop: Header=BB210_15 Depth=1
	s_or_b32 exec_lo, exec_lo, s17
	s_delay_alu instid0(VALU_DEP_1) | instskip(NEXT) | instid1(VALU_DEP_2)
	v_dual_lshlrev_b32 v3, 24, v3 :: v_dual_lshlrev_b32 v0, 20, v64
	v_lshl_add_u32 v2, v2, 23, 0x3c000000
	s_delay_alu instid0(VALU_DEP_2) | instskip(NEXT) | instid1(VALU_DEP_1)
	v_and_b32_e32 v3, 0x80000000, v3
	v_or3_b32 v1, v0, v3, v2
	v_mov_b32_e32 v0, v65
	scratch_store_b64 off, v[0:1], s32 offset:300 ; 8-byte Folded Spill
.LBB210_144:                            ;   in Loop: Header=BB210_15 Depth=1
	s_wait_xcnt 0x0
	s_or_b32 exec_lo, exec_lo, s16
.LBB210_145:                            ;   in Loop: Header=BB210_15 Depth=1
	s_delay_alu instid0(SALU_CYCLE_1)
	s_or_b32 exec_lo, exec_lo, s15
.LBB210_146:                            ;   in Loop: Header=BB210_15 Depth=1
	s_delay_alu instid0(SALU_CYCLE_1)
	s_or_b32 exec_lo, exec_lo, s14
	flat_load_b32 v2, v[52:53] offset:512
	v_mov_b64_e32 v[4:5], 0
	s_mov_b32 s14, exec_lo
	scratch_store_b64 off, v[4:5], s32 offset:308 ; 8-byte Folded Spill
	s_wait_xcnt 0x0
	v_mov_b64_e32 v[4:5], 0
	scratch_store_b64 off, v[4:5], s32 offset:564 ; 8-byte Folded Spill
	s_wait_loadcnt_dscnt 0x0
	v_and_b32_e32 v0, 0xff, v2
	s_wait_xcnt 0x0
	s_delay_alu instid0(VALU_DEP_1)
	v_cmpx_ne_u16_e32 0, v0
	s_cbranch_execz .LBB210_154
; %bb.147:                              ;   in Loop: Header=BB210_15 Depth=1
	v_cmp_ne_u16_e64 s1, 0x80, v0
	v_mov_b64_e32 v[0:1], 0x80000000
	s_and_saveexec_b32 s15, s1
	s_cbranch_execz .LBB210_153
; %bb.148:                              ;   in Loop: Header=BB210_15 Depth=1
	v_mov_b64_e32 v[0:1], 0x7f800001
	v_and_b32_e32 v4, 0x7f, v2
	s_mov_b32 s16, exec_lo
	s_delay_alu instid0(VALU_DEP_1)
	v_cmpx_ne_u32_e32 0x7f, v4
	s_cbranch_execz .LBB210_152
; %bb.149:                              ;   in Loop: Header=BB210_15 Depth=1
	v_dual_lshrrev_b32 v3, 3, v4 :: v_dual_bitop2_b32 v64, 7, v2 bitop3:0x40
	s_mov_b32 s17, exec_lo
	v_cmpx_gt_u32_e32 8, v4
; %bb.150:                              ;   in Loop: Header=BB210_15 Depth=1
	s_delay_alu instid0(VALU_DEP_2) | instskip(NEXT) | instid1(VALU_DEP_1)
	v_clz_i32_u32_e32 v3, v64
	v_min_u32_e32 v3, 32, v3
	s_delay_alu instid0(VALU_DEP_1) | instskip(NEXT) | instid1(VALU_DEP_1)
	v_subrev_nc_u32_e32 v4, 28, v3
	v_lshlrev_b64_e32 v[4:5], v4, v[64:65]
	s_delay_alu instid0(VALU_DEP_1)
	v_dual_sub_nc_u32 v3, 29, v3 :: v_dual_bitop2_b32 v64, 7, v4 bitop3:0x40
; %bb.151:                              ;   in Loop: Header=BB210_15 Depth=1
	s_or_b32 exec_lo, exec_lo, s17
	s_delay_alu instid0(VALU_DEP_1) | instskip(NEXT) | instid1(VALU_DEP_2)
	v_dual_lshlrev_b32 v4, 24, v2 :: v_dual_lshlrev_b32 v0, 20, v64
	v_lshl_add_u32 v3, v3, 23, 0x3c000000
	s_delay_alu instid0(VALU_DEP_2) | instskip(NEXT) | instid1(VALU_DEP_1)
	v_and_b32_e32 v4, 0x80000000, v4
	v_or3_b32 v64, v0, v4, v3
	s_delay_alu instid0(VALU_DEP_1)
	v_mov_b64_e32 v[0:1], v[64:65]
.LBB210_152:                            ;   in Loop: Header=BB210_15 Depth=1
	s_or_b32 exec_lo, exec_lo, s16
.LBB210_153:                            ;   in Loop: Header=BB210_15 Depth=1
	s_delay_alu instid0(SALU_CYCLE_1)
	s_or_b32 exec_lo, exec_lo, s15
	scratch_store_b64 off, v[0:1], s32 offset:564 ; 8-byte Folded Spill
.LBB210_154:                            ;   in Loop: Header=BB210_15 Depth=1
	s_wait_xcnt 0x0
	s_or_b32 exec_lo, exec_lo, s14
	v_lshrrev_b16 v0, 8, v2
	s_mov_b32 s14, exec_lo
	s_delay_alu instid0(VALU_DEP_1)
	v_cmpx_ne_u16_e32 0, v0
	s_cbranch_execz .LBB210_162
; %bb.155:                              ;   in Loop: Header=BB210_15 Depth=1
	v_mov_b64_e32 v[4:5], 0x8000000000000000
	s_mov_b32 s15, exec_lo
	scratch_store_b64 off, v[4:5], s32 offset:308 ; 8-byte Folded Spill
	s_wait_xcnt 0x0
	v_cmpx_ne_u16_e32 0x80, v0
	s_cbranch_execz .LBB210_161
; %bb.156:                              ;   in Loop: Header=BB210_15 Depth=1
	v_and_b32_e32 v0, 0xffff, v0
	v_mov_b64_e32 v[6:7], 0x7f80000100000000
	s_mov_b32 s16, exec_lo
	s_delay_alu instid0(VALU_DEP_2)
	v_and_b32_e32 v4, 0x7f, v0
	scratch_store_b64 off, v[6:7], s32 offset:308 ; 8-byte Folded Spill
	s_wait_xcnt 0x0
	v_cmpx_ne_u32_e32 0x7f, v4
	s_cbranch_execz .LBB210_160
; %bb.157:                              ;   in Loop: Header=BB210_15 Depth=1
	v_and_b32_e32 v64, 7, v0
	v_lshrrev_b32_e32 v3, 3, v4
	s_mov_b32 s17, exec_lo
	v_cmpx_gt_u32_e32 8, v4
; %bb.158:                              ;   in Loop: Header=BB210_15 Depth=1
	s_delay_alu instid0(VALU_DEP_3) | instskip(NEXT) | instid1(VALU_DEP_1)
	v_clz_i32_u32_e32 v3, v64
	v_min_u32_e32 v3, 32, v3
	s_delay_alu instid0(VALU_DEP_1) | instskip(NEXT) | instid1(VALU_DEP_1)
	v_subrev_nc_u32_e32 v4, 28, v3
	v_lshlrev_b64_e32 v[4:5], v4, v[64:65]
	s_delay_alu instid0(VALU_DEP_1)
	v_dual_sub_nc_u32 v3, 29, v3 :: v_dual_bitop2_b32 v64, 7, v4 bitop3:0x40
; %bb.159:                              ;   in Loop: Header=BB210_15 Depth=1
	s_or_b32 exec_lo, exec_lo, s17
	s_delay_alu instid0(VALU_DEP_1) | instskip(NEXT) | instid1(VALU_DEP_2)
	v_dual_lshlrev_b32 v4, 16, v2 :: v_dual_lshlrev_b32 v0, 20, v64
	v_lshl_add_u32 v3, v3, 23, 0x3c000000
	s_delay_alu instid0(VALU_DEP_2) | instskip(NEXT) | instid1(VALU_DEP_1)
	v_and_b32_e32 v4, 0x80000000, v4
	v_or3_b32 v1, v0, v4, v3
	v_mov_b32_e32 v0, v65
	scratch_store_b64 off, v[0:1], s32 offset:308 ; 8-byte Folded Spill
.LBB210_160:                            ;   in Loop: Header=BB210_15 Depth=1
	s_wait_xcnt 0x0
	s_or_b32 exec_lo, exec_lo, s16
.LBB210_161:                            ;   in Loop: Header=BB210_15 Depth=1
	s_delay_alu instid0(SALU_CYCLE_1)
	s_or_b32 exec_lo, exec_lo, s15
.LBB210_162:                            ;   in Loop: Header=BB210_15 Depth=1
	s_delay_alu instid0(SALU_CYCLE_1) | instskip(SKIP_3) | instid1(VALU_DEP_1)
	s_or_b32 exec_lo, exec_lo, s14
	v_mov_b64_e32 v[4:5], 0
	v_lshrrev_b32_e32 v3, 16, v2
	s_mov_b32 s14, exec_lo
	v_and_b32_e32 v0, 0xff, v3
	scratch_store_b64 off, v[4:5], s32 offset:316 ; 8-byte Folded Spill
	s_wait_xcnt 0x0
	v_mov_b64_e32 v[4:5], 0
	scratch_store_b64 off, v[4:5], s32 offset:572 ; 8-byte Folded Spill
	s_wait_xcnt 0x0
	v_cmpx_ne_u16_e32 0, v0
	s_cbranch_execz .LBB210_170
; %bb.163:                              ;   in Loop: Header=BB210_15 Depth=1
	v_cmp_ne_u16_e64 s1, 0x80, v0
	v_mov_b64_e32 v[0:1], 0x80000000
	s_and_saveexec_b32 s15, s1
	s_cbranch_execz .LBB210_169
; %bb.164:                              ;   in Loop: Header=BB210_15 Depth=1
	v_mov_b64_e32 v[0:1], 0x7f800001
	v_bfe_u32 v5, v2, 16, 7
	s_mov_b32 s16, exec_lo
	s_delay_alu instid0(VALU_DEP_1)
	v_cmpx_ne_u32_e32 0x7f, v5
	s_cbranch_execz .LBB210_168
; %bb.165:                              ;   in Loop: Header=BB210_15 Depth=1
	v_dual_lshrrev_b32 v4, 3, v5 :: v_dual_bitop2_b32 v64, 7, v3 bitop3:0x40
	s_mov_b32 s17, exec_lo
	v_cmpx_gt_u32_e32 8, v5
; %bb.166:                              ;   in Loop: Header=BB210_15 Depth=1
	s_delay_alu instid0(VALU_DEP_2) | instskip(NEXT) | instid1(VALU_DEP_1)
	v_clz_i32_u32_e32 v4, v64
	v_min_u32_e32 v4, 32, v4
	s_delay_alu instid0(VALU_DEP_1) | instskip(NEXT) | instid1(VALU_DEP_1)
	v_subrev_nc_u32_e32 v5, 28, v4
	v_lshlrev_b64_e32 v[6:7], v5, v[64:65]
	s_delay_alu instid0(VALU_DEP_1)
	v_dual_sub_nc_u32 v4, 29, v4 :: v_dual_bitop2_b32 v64, 7, v6 bitop3:0x40
; %bb.167:                              ;   in Loop: Header=BB210_15 Depth=1
	s_or_b32 exec_lo, exec_lo, s17
	s_delay_alu instid0(VALU_DEP_1) | instskip(NEXT) | instid1(VALU_DEP_2)
	v_dual_lshlrev_b32 v3, 24, v3 :: v_dual_lshlrev_b32 v0, 20, v64
	v_lshl_add_u32 v4, v4, 23, 0x3c000000
	s_delay_alu instid0(VALU_DEP_2) | instskip(NEXT) | instid1(VALU_DEP_1)
	v_and_b32_e32 v3, 0x80000000, v3
	v_or3_b32 v64, v0, v3, v4
	s_delay_alu instid0(VALU_DEP_1)
	v_mov_b64_e32 v[0:1], v[64:65]
.LBB210_168:                            ;   in Loop: Header=BB210_15 Depth=1
	s_or_b32 exec_lo, exec_lo, s16
.LBB210_169:                            ;   in Loop: Header=BB210_15 Depth=1
	s_delay_alu instid0(SALU_CYCLE_1)
	s_or_b32 exec_lo, exec_lo, s15
	scratch_store_b64 off, v[0:1], s32 offset:572 ; 8-byte Folded Spill
.LBB210_170:                            ;   in Loop: Header=BB210_15 Depth=1
	s_wait_xcnt 0x0
	s_or_b32 exec_lo, exec_lo, s14
	s_delay_alu instid0(SALU_CYCLE_1)
	s_mov_b32 s14, exec_lo
	v_cmpx_lt_u32_e32 0xffffff, v2
	s_cbranch_execz .LBB210_178
; %bb.171:                              ;   in Loop: Header=BB210_15 Depth=1
	v_mov_b64_e32 v[0:1], 0x8000000000000000
	v_lshrrev_b32_e32 v3, 24, v2
	s_mov_b32 s15, exec_lo
	scratch_store_b64 off, v[0:1], s32 offset:316 ; 8-byte Folded Spill
	s_wait_xcnt 0x0
	v_cmpx_ne_u32_e32 0x80, v3
	s_cbranch_execz .LBB210_177
; %bb.172:                              ;   in Loop: Header=BB210_15 Depth=1
	v_mov_b64_e32 v[0:1], 0x7f80000100000000
	v_bfe_u32 v4, v2, 24, 7
	s_mov_b32 s16, exec_lo
	scratch_store_b64 off, v[0:1], s32 offset:316 ; 8-byte Folded Spill
	s_wait_xcnt 0x0
	v_cmpx_ne_u32_e32 0x7f, v4
	s_cbranch_execz .LBB210_176
; %bb.173:                              ;   in Loop: Header=BB210_15 Depth=1
	v_dual_lshrrev_b32 v2, 3, v4 :: v_dual_bitop2_b32 v64, 7, v3 bitop3:0x40
	s_mov_b32 s17, exec_lo
	v_cmpx_gt_u32_e32 8, v4
; %bb.174:                              ;   in Loop: Header=BB210_15 Depth=1
	s_delay_alu instid0(VALU_DEP_2) | instskip(NEXT) | instid1(VALU_DEP_1)
	v_clz_i32_u32_e32 v2, v64
	v_min_u32_e32 v2, 32, v2
	s_delay_alu instid0(VALU_DEP_1) | instskip(NEXT) | instid1(VALU_DEP_1)
	v_subrev_nc_u32_e32 v4, 28, v2
	v_lshlrev_b64_e32 v[4:5], v4, v[64:65]
	s_delay_alu instid0(VALU_DEP_1)
	v_dual_sub_nc_u32 v2, 29, v2 :: v_dual_bitop2_b32 v64, 7, v4 bitop3:0x40
; %bb.175:                              ;   in Loop: Header=BB210_15 Depth=1
	s_or_b32 exec_lo, exec_lo, s17
	s_delay_alu instid0(VALU_DEP_1) | instskip(NEXT) | instid1(VALU_DEP_2)
	v_dual_lshlrev_b32 v3, 24, v3 :: v_dual_lshlrev_b32 v0, 20, v64
	v_lshl_add_u32 v2, v2, 23, 0x3c000000
	s_delay_alu instid0(VALU_DEP_2) | instskip(NEXT) | instid1(VALU_DEP_1)
	v_and_b32_e32 v3, 0x80000000, v3
	v_or3_b32 v1, v0, v3, v2
	v_mov_b32_e32 v0, v65
	scratch_store_b64 off, v[0:1], s32 offset:316 ; 8-byte Folded Spill
.LBB210_176:                            ;   in Loop: Header=BB210_15 Depth=1
	s_wait_xcnt 0x0
	s_or_b32 exec_lo, exec_lo, s16
.LBB210_177:                            ;   in Loop: Header=BB210_15 Depth=1
	s_delay_alu instid0(SALU_CYCLE_1)
	s_or_b32 exec_lo, exec_lo, s15
.LBB210_178:                            ;   in Loop: Header=BB210_15 Depth=1
	s_delay_alu instid0(SALU_CYCLE_1)
	s_or_b32 exec_lo, exec_lo, s14
	flat_load_b32 v2, v[52:53] offset:516
	v_mov_b64_e32 v[4:5], 0
	s_mov_b32 s14, exec_lo
	scratch_store_b64 off, v[4:5], s32 offset:324 ; 8-byte Folded Spill
	s_wait_xcnt 0x0
	v_mov_b64_e32 v[4:5], 0
	scratch_store_b64 off, v[4:5], s32 offset:580 ; 8-byte Folded Spill
	s_wait_loadcnt_dscnt 0x0
	v_and_b32_e32 v0, 0xff, v2
	s_wait_xcnt 0x0
	s_delay_alu instid0(VALU_DEP_1)
	v_cmpx_ne_u16_e32 0, v0
	s_cbranch_execz .LBB210_186
; %bb.179:                              ;   in Loop: Header=BB210_15 Depth=1
	v_cmp_ne_u16_e64 s1, 0x80, v0
	v_mov_b64_e32 v[0:1], 0x80000000
	s_and_saveexec_b32 s15, s1
	s_cbranch_execz .LBB210_185
; %bb.180:                              ;   in Loop: Header=BB210_15 Depth=1
	v_mov_b64_e32 v[0:1], 0x7f800001
	v_and_b32_e32 v4, 0x7f, v2
	s_mov_b32 s16, exec_lo
	s_delay_alu instid0(VALU_DEP_1)
	v_cmpx_ne_u32_e32 0x7f, v4
	s_cbranch_execz .LBB210_184
; %bb.181:                              ;   in Loop: Header=BB210_15 Depth=1
	v_dual_lshrrev_b32 v3, 3, v4 :: v_dual_bitop2_b32 v64, 7, v2 bitop3:0x40
	s_mov_b32 s17, exec_lo
	v_cmpx_gt_u32_e32 8, v4
; %bb.182:                              ;   in Loop: Header=BB210_15 Depth=1
	s_delay_alu instid0(VALU_DEP_2) | instskip(NEXT) | instid1(VALU_DEP_1)
	v_clz_i32_u32_e32 v3, v64
	v_min_u32_e32 v3, 32, v3
	s_delay_alu instid0(VALU_DEP_1) | instskip(NEXT) | instid1(VALU_DEP_1)
	v_subrev_nc_u32_e32 v4, 28, v3
	v_lshlrev_b64_e32 v[4:5], v4, v[64:65]
	s_delay_alu instid0(VALU_DEP_1)
	v_dual_sub_nc_u32 v3, 29, v3 :: v_dual_bitop2_b32 v64, 7, v4 bitop3:0x40
; %bb.183:                              ;   in Loop: Header=BB210_15 Depth=1
	s_or_b32 exec_lo, exec_lo, s17
	s_delay_alu instid0(VALU_DEP_1) | instskip(NEXT) | instid1(VALU_DEP_2)
	v_dual_lshlrev_b32 v4, 24, v2 :: v_dual_lshlrev_b32 v0, 20, v64
	v_lshl_add_u32 v3, v3, 23, 0x3c000000
	s_delay_alu instid0(VALU_DEP_2) | instskip(NEXT) | instid1(VALU_DEP_1)
	v_and_b32_e32 v4, 0x80000000, v4
	v_or3_b32 v64, v0, v4, v3
	s_delay_alu instid0(VALU_DEP_1)
	v_mov_b64_e32 v[0:1], v[64:65]
.LBB210_184:                            ;   in Loop: Header=BB210_15 Depth=1
	s_or_b32 exec_lo, exec_lo, s16
.LBB210_185:                            ;   in Loop: Header=BB210_15 Depth=1
	s_delay_alu instid0(SALU_CYCLE_1)
	s_or_b32 exec_lo, exec_lo, s15
	scratch_store_b64 off, v[0:1], s32 offset:580 ; 8-byte Folded Spill
.LBB210_186:                            ;   in Loop: Header=BB210_15 Depth=1
	s_wait_xcnt 0x0
	s_or_b32 exec_lo, exec_lo, s14
	v_lshrrev_b16 v0, 8, v2
	s_mov_b32 s14, exec_lo
	s_delay_alu instid0(VALU_DEP_1)
	v_cmpx_ne_u16_e32 0, v0
	s_cbranch_execz .LBB210_194
; %bb.187:                              ;   in Loop: Header=BB210_15 Depth=1
	v_mov_b64_e32 v[4:5], 0x8000000000000000
	s_mov_b32 s15, exec_lo
	scratch_store_b64 off, v[4:5], s32 offset:324 ; 8-byte Folded Spill
	s_wait_xcnt 0x0
	v_cmpx_ne_u16_e32 0x80, v0
	s_cbranch_execz .LBB210_193
; %bb.188:                              ;   in Loop: Header=BB210_15 Depth=1
	v_and_b32_e32 v0, 0xffff, v0
	v_mov_b64_e32 v[6:7], 0x7f80000100000000
	s_mov_b32 s16, exec_lo
	s_delay_alu instid0(VALU_DEP_2)
	v_and_b32_e32 v4, 0x7f, v0
	scratch_store_b64 off, v[6:7], s32 offset:324 ; 8-byte Folded Spill
	s_wait_xcnt 0x0
	v_cmpx_ne_u32_e32 0x7f, v4
	s_cbranch_execz .LBB210_192
; %bb.189:                              ;   in Loop: Header=BB210_15 Depth=1
	v_and_b32_e32 v64, 7, v0
	v_lshrrev_b32_e32 v3, 3, v4
	s_mov_b32 s17, exec_lo
	v_cmpx_gt_u32_e32 8, v4
; %bb.190:                              ;   in Loop: Header=BB210_15 Depth=1
	s_delay_alu instid0(VALU_DEP_3) | instskip(NEXT) | instid1(VALU_DEP_1)
	v_clz_i32_u32_e32 v3, v64
	v_min_u32_e32 v3, 32, v3
	s_delay_alu instid0(VALU_DEP_1) | instskip(NEXT) | instid1(VALU_DEP_1)
	v_subrev_nc_u32_e32 v4, 28, v3
	v_lshlrev_b64_e32 v[4:5], v4, v[64:65]
	s_delay_alu instid0(VALU_DEP_1)
	v_dual_sub_nc_u32 v3, 29, v3 :: v_dual_bitop2_b32 v64, 7, v4 bitop3:0x40
; %bb.191:                              ;   in Loop: Header=BB210_15 Depth=1
	s_or_b32 exec_lo, exec_lo, s17
	s_delay_alu instid0(VALU_DEP_1) | instskip(NEXT) | instid1(VALU_DEP_2)
	v_dual_lshlrev_b32 v4, 16, v2 :: v_dual_lshlrev_b32 v0, 20, v64
	v_lshl_add_u32 v3, v3, 23, 0x3c000000
	s_delay_alu instid0(VALU_DEP_2) | instskip(NEXT) | instid1(VALU_DEP_1)
	v_and_b32_e32 v4, 0x80000000, v4
	v_or3_b32 v1, v0, v4, v3
	v_mov_b32_e32 v0, v65
	scratch_store_b64 off, v[0:1], s32 offset:324 ; 8-byte Folded Spill
.LBB210_192:                            ;   in Loop: Header=BB210_15 Depth=1
	s_wait_xcnt 0x0
	s_or_b32 exec_lo, exec_lo, s16
.LBB210_193:                            ;   in Loop: Header=BB210_15 Depth=1
	s_delay_alu instid0(SALU_CYCLE_1)
	s_or_b32 exec_lo, exec_lo, s15
.LBB210_194:                            ;   in Loop: Header=BB210_15 Depth=1
	s_delay_alu instid0(SALU_CYCLE_1) | instskip(SKIP_3) | instid1(VALU_DEP_1)
	s_or_b32 exec_lo, exec_lo, s14
	v_mov_b64_e32 v[4:5], 0
	v_lshrrev_b32_e32 v3, 16, v2
	s_mov_b32 s14, exec_lo
	v_and_b32_e32 v0, 0xff, v3
	scratch_store_b64 off, v[4:5], s32 offset:332 ; 8-byte Folded Spill
	s_wait_xcnt 0x0
	v_mov_b64_e32 v[4:5], 0
	scratch_store_b64 off, v[4:5], s32 offset:588 ; 8-byte Folded Spill
	s_wait_xcnt 0x0
	v_cmpx_ne_u16_e32 0, v0
	s_cbranch_execz .LBB210_202
; %bb.195:                              ;   in Loop: Header=BB210_15 Depth=1
	v_cmp_ne_u16_e64 s1, 0x80, v0
	v_mov_b64_e32 v[0:1], 0x80000000
	s_and_saveexec_b32 s15, s1
	s_cbranch_execz .LBB210_201
; %bb.196:                              ;   in Loop: Header=BB210_15 Depth=1
	v_mov_b64_e32 v[0:1], 0x7f800001
	v_bfe_u32 v5, v2, 16, 7
	s_mov_b32 s16, exec_lo
	s_delay_alu instid0(VALU_DEP_1)
	v_cmpx_ne_u32_e32 0x7f, v5
	s_cbranch_execz .LBB210_200
; %bb.197:                              ;   in Loop: Header=BB210_15 Depth=1
	v_dual_lshrrev_b32 v4, 3, v5 :: v_dual_bitop2_b32 v64, 7, v3 bitop3:0x40
	s_mov_b32 s17, exec_lo
	v_cmpx_gt_u32_e32 8, v5
; %bb.198:                              ;   in Loop: Header=BB210_15 Depth=1
	s_delay_alu instid0(VALU_DEP_2) | instskip(NEXT) | instid1(VALU_DEP_1)
	v_clz_i32_u32_e32 v4, v64
	v_min_u32_e32 v4, 32, v4
	s_delay_alu instid0(VALU_DEP_1) | instskip(NEXT) | instid1(VALU_DEP_1)
	v_subrev_nc_u32_e32 v5, 28, v4
	v_lshlrev_b64_e32 v[6:7], v5, v[64:65]
	s_delay_alu instid0(VALU_DEP_1)
	v_dual_sub_nc_u32 v4, 29, v4 :: v_dual_bitop2_b32 v64, 7, v6 bitop3:0x40
; %bb.199:                              ;   in Loop: Header=BB210_15 Depth=1
	s_or_b32 exec_lo, exec_lo, s17
	s_delay_alu instid0(VALU_DEP_1) | instskip(NEXT) | instid1(VALU_DEP_2)
	v_dual_lshlrev_b32 v3, 24, v3 :: v_dual_lshlrev_b32 v0, 20, v64
	v_lshl_add_u32 v4, v4, 23, 0x3c000000
	s_delay_alu instid0(VALU_DEP_2) | instskip(NEXT) | instid1(VALU_DEP_1)
	v_and_b32_e32 v3, 0x80000000, v3
	v_or3_b32 v64, v0, v3, v4
	s_delay_alu instid0(VALU_DEP_1)
	v_mov_b64_e32 v[0:1], v[64:65]
.LBB210_200:                            ;   in Loop: Header=BB210_15 Depth=1
	s_or_b32 exec_lo, exec_lo, s16
.LBB210_201:                            ;   in Loop: Header=BB210_15 Depth=1
	s_delay_alu instid0(SALU_CYCLE_1)
	s_or_b32 exec_lo, exec_lo, s15
	scratch_store_b64 off, v[0:1], s32 offset:588 ; 8-byte Folded Spill
.LBB210_202:                            ;   in Loop: Header=BB210_15 Depth=1
	s_wait_xcnt 0x0
	s_or_b32 exec_lo, exec_lo, s14
	s_delay_alu instid0(SALU_CYCLE_1)
	s_mov_b32 s14, exec_lo
	v_cmpx_lt_u32_e32 0xffffff, v2
	s_cbranch_execz .LBB210_210
; %bb.203:                              ;   in Loop: Header=BB210_15 Depth=1
	v_mov_b64_e32 v[0:1], 0x8000000000000000
	v_lshrrev_b32_e32 v3, 24, v2
	s_mov_b32 s15, exec_lo
	scratch_store_b64 off, v[0:1], s32 offset:332 ; 8-byte Folded Spill
	s_wait_xcnt 0x0
	v_cmpx_ne_u32_e32 0x80, v3
	s_cbranch_execz .LBB210_209
; %bb.204:                              ;   in Loop: Header=BB210_15 Depth=1
	v_mov_b64_e32 v[0:1], 0x7f80000100000000
	v_bfe_u32 v4, v2, 24, 7
	s_mov_b32 s16, exec_lo
	scratch_store_b64 off, v[0:1], s32 offset:332 ; 8-byte Folded Spill
	s_wait_xcnt 0x0
	v_cmpx_ne_u32_e32 0x7f, v4
	s_cbranch_execz .LBB210_208
; %bb.205:                              ;   in Loop: Header=BB210_15 Depth=1
	v_dual_lshrrev_b32 v2, 3, v4 :: v_dual_bitop2_b32 v64, 7, v3 bitop3:0x40
	s_mov_b32 s17, exec_lo
	v_cmpx_gt_u32_e32 8, v4
; %bb.206:                              ;   in Loop: Header=BB210_15 Depth=1
	s_delay_alu instid0(VALU_DEP_2) | instskip(NEXT) | instid1(VALU_DEP_1)
	v_clz_i32_u32_e32 v2, v64
	v_min_u32_e32 v2, 32, v2
	s_delay_alu instid0(VALU_DEP_1) | instskip(NEXT) | instid1(VALU_DEP_1)
	v_subrev_nc_u32_e32 v4, 28, v2
	v_lshlrev_b64_e32 v[4:5], v4, v[64:65]
	s_delay_alu instid0(VALU_DEP_1)
	v_dual_sub_nc_u32 v2, 29, v2 :: v_dual_bitop2_b32 v64, 7, v4 bitop3:0x40
; %bb.207:                              ;   in Loop: Header=BB210_15 Depth=1
	s_or_b32 exec_lo, exec_lo, s17
	s_delay_alu instid0(VALU_DEP_1) | instskip(NEXT) | instid1(VALU_DEP_2)
	v_dual_lshlrev_b32 v3, 24, v3 :: v_dual_lshlrev_b32 v0, 20, v64
	v_lshl_add_u32 v2, v2, 23, 0x3c000000
	s_delay_alu instid0(VALU_DEP_2) | instskip(NEXT) | instid1(VALU_DEP_1)
	v_and_b32_e32 v3, 0x80000000, v3
	v_or3_b32 v1, v0, v3, v2
	v_mov_b32_e32 v0, v65
	scratch_store_b64 off, v[0:1], s32 offset:332 ; 8-byte Folded Spill
.LBB210_208:                            ;   in Loop: Header=BB210_15 Depth=1
	s_wait_xcnt 0x0
	s_or_b32 exec_lo, exec_lo, s16
.LBB210_209:                            ;   in Loop: Header=BB210_15 Depth=1
	s_delay_alu instid0(SALU_CYCLE_1)
	s_or_b32 exec_lo, exec_lo, s15
.LBB210_210:                            ;   in Loop: Header=BB210_15 Depth=1
	s_delay_alu instid0(SALU_CYCLE_1)
	s_or_b32 exec_lo, exec_lo, s14
	flat_load_b32 v2, v[52:53] offset:520
	v_mov_b64_e32 v[4:5], 0
	s_mov_b32 s14, exec_lo
	scratch_store_b64 off, v[4:5], s32 offset:340 ; 8-byte Folded Spill
	s_wait_xcnt 0x0
	v_mov_b64_e32 v[4:5], 0
	scratch_store_b64 off, v[4:5], s32 offset:596 ; 8-byte Folded Spill
	s_wait_loadcnt_dscnt 0x0
	v_and_b32_e32 v0, 0xff, v2
	s_wait_xcnt 0x0
	s_delay_alu instid0(VALU_DEP_1)
	v_cmpx_ne_u16_e32 0, v0
	s_cbranch_execz .LBB210_218
; %bb.211:                              ;   in Loop: Header=BB210_15 Depth=1
	v_cmp_ne_u16_e64 s1, 0x80, v0
	v_mov_b64_e32 v[0:1], 0x80000000
	s_and_saveexec_b32 s15, s1
	s_cbranch_execz .LBB210_217
; %bb.212:                              ;   in Loop: Header=BB210_15 Depth=1
	v_mov_b64_e32 v[0:1], 0x7f800001
	v_and_b32_e32 v4, 0x7f, v2
	s_mov_b32 s16, exec_lo
	s_delay_alu instid0(VALU_DEP_1)
	v_cmpx_ne_u32_e32 0x7f, v4
	s_cbranch_execz .LBB210_216
; %bb.213:                              ;   in Loop: Header=BB210_15 Depth=1
	v_dual_lshrrev_b32 v3, 3, v4 :: v_dual_bitop2_b32 v64, 7, v2 bitop3:0x40
	s_mov_b32 s17, exec_lo
	v_cmpx_gt_u32_e32 8, v4
; %bb.214:                              ;   in Loop: Header=BB210_15 Depth=1
	s_delay_alu instid0(VALU_DEP_2) | instskip(NEXT) | instid1(VALU_DEP_1)
	v_clz_i32_u32_e32 v3, v64
	v_min_u32_e32 v3, 32, v3
	s_delay_alu instid0(VALU_DEP_1) | instskip(NEXT) | instid1(VALU_DEP_1)
	v_subrev_nc_u32_e32 v4, 28, v3
	v_lshlrev_b64_e32 v[4:5], v4, v[64:65]
	s_delay_alu instid0(VALU_DEP_1)
	v_dual_sub_nc_u32 v3, 29, v3 :: v_dual_bitop2_b32 v64, 7, v4 bitop3:0x40
; %bb.215:                              ;   in Loop: Header=BB210_15 Depth=1
	s_or_b32 exec_lo, exec_lo, s17
	s_delay_alu instid0(VALU_DEP_1) | instskip(NEXT) | instid1(VALU_DEP_2)
	v_dual_lshlrev_b32 v4, 24, v2 :: v_dual_lshlrev_b32 v0, 20, v64
	v_lshl_add_u32 v3, v3, 23, 0x3c000000
	s_delay_alu instid0(VALU_DEP_2) | instskip(NEXT) | instid1(VALU_DEP_1)
	v_and_b32_e32 v4, 0x80000000, v4
	v_or3_b32 v64, v0, v4, v3
	s_delay_alu instid0(VALU_DEP_1)
	v_mov_b64_e32 v[0:1], v[64:65]
.LBB210_216:                            ;   in Loop: Header=BB210_15 Depth=1
	s_or_b32 exec_lo, exec_lo, s16
.LBB210_217:                            ;   in Loop: Header=BB210_15 Depth=1
	s_delay_alu instid0(SALU_CYCLE_1)
	s_or_b32 exec_lo, exec_lo, s15
	scratch_store_b64 off, v[0:1], s32 offset:596 ; 8-byte Folded Spill
.LBB210_218:                            ;   in Loop: Header=BB210_15 Depth=1
	s_wait_xcnt 0x0
	s_or_b32 exec_lo, exec_lo, s14
	v_lshrrev_b16 v0, 8, v2
	s_mov_b32 s14, exec_lo
	s_delay_alu instid0(VALU_DEP_1)
	v_cmpx_ne_u16_e32 0, v0
	s_cbranch_execz .LBB210_226
; %bb.219:                              ;   in Loop: Header=BB210_15 Depth=1
	v_mov_b64_e32 v[4:5], 0x8000000000000000
	s_mov_b32 s15, exec_lo
	scratch_store_b64 off, v[4:5], s32 offset:340 ; 8-byte Folded Spill
	s_wait_xcnt 0x0
	v_cmpx_ne_u16_e32 0x80, v0
	s_cbranch_execz .LBB210_225
; %bb.220:                              ;   in Loop: Header=BB210_15 Depth=1
	v_and_b32_e32 v0, 0xffff, v0
	v_mov_b64_e32 v[6:7], 0x7f80000100000000
	s_mov_b32 s16, exec_lo
	s_delay_alu instid0(VALU_DEP_2)
	v_and_b32_e32 v4, 0x7f, v0
	scratch_store_b64 off, v[6:7], s32 offset:340 ; 8-byte Folded Spill
	s_wait_xcnt 0x0
	v_cmpx_ne_u32_e32 0x7f, v4
	s_cbranch_execz .LBB210_224
; %bb.221:                              ;   in Loop: Header=BB210_15 Depth=1
	v_and_b32_e32 v64, 7, v0
	v_lshrrev_b32_e32 v3, 3, v4
	s_mov_b32 s17, exec_lo
	v_cmpx_gt_u32_e32 8, v4
; %bb.222:                              ;   in Loop: Header=BB210_15 Depth=1
	s_delay_alu instid0(VALU_DEP_3) | instskip(NEXT) | instid1(VALU_DEP_1)
	v_clz_i32_u32_e32 v3, v64
	v_min_u32_e32 v3, 32, v3
	s_delay_alu instid0(VALU_DEP_1) | instskip(NEXT) | instid1(VALU_DEP_1)
	v_subrev_nc_u32_e32 v4, 28, v3
	v_lshlrev_b64_e32 v[4:5], v4, v[64:65]
	s_delay_alu instid0(VALU_DEP_1)
	v_dual_sub_nc_u32 v3, 29, v3 :: v_dual_bitop2_b32 v64, 7, v4 bitop3:0x40
; %bb.223:                              ;   in Loop: Header=BB210_15 Depth=1
	s_or_b32 exec_lo, exec_lo, s17
	s_delay_alu instid0(VALU_DEP_1) | instskip(NEXT) | instid1(VALU_DEP_2)
	v_dual_lshlrev_b32 v4, 16, v2 :: v_dual_lshlrev_b32 v0, 20, v64
	v_lshl_add_u32 v3, v3, 23, 0x3c000000
	s_delay_alu instid0(VALU_DEP_2) | instskip(NEXT) | instid1(VALU_DEP_1)
	v_and_b32_e32 v4, 0x80000000, v4
	v_or3_b32 v1, v0, v4, v3
	v_mov_b32_e32 v0, v65
	scratch_store_b64 off, v[0:1], s32 offset:340 ; 8-byte Folded Spill
.LBB210_224:                            ;   in Loop: Header=BB210_15 Depth=1
	s_wait_xcnt 0x0
	s_or_b32 exec_lo, exec_lo, s16
.LBB210_225:                            ;   in Loop: Header=BB210_15 Depth=1
	s_delay_alu instid0(SALU_CYCLE_1)
	s_or_b32 exec_lo, exec_lo, s15
.LBB210_226:                            ;   in Loop: Header=BB210_15 Depth=1
	s_delay_alu instid0(SALU_CYCLE_1) | instskip(SKIP_3) | instid1(VALU_DEP_1)
	s_or_b32 exec_lo, exec_lo, s14
	v_mov_b64_e32 v[4:5], 0
	v_lshrrev_b32_e32 v3, 16, v2
	s_mov_b32 s14, exec_lo
	v_and_b32_e32 v0, 0xff, v3
	scratch_store_b64 off, v[4:5], s32 offset:348 ; 8-byte Folded Spill
	s_wait_xcnt 0x0
	v_mov_b64_e32 v[4:5], 0
	scratch_store_b64 off, v[4:5], s32 offset:604 ; 8-byte Folded Spill
	s_wait_xcnt 0x0
	v_cmpx_ne_u16_e32 0, v0
	s_cbranch_execz .LBB210_234
; %bb.227:                              ;   in Loop: Header=BB210_15 Depth=1
	v_cmp_ne_u16_e64 s1, 0x80, v0
	v_mov_b64_e32 v[0:1], 0x80000000
	s_and_saveexec_b32 s15, s1
	s_cbranch_execz .LBB210_233
; %bb.228:                              ;   in Loop: Header=BB210_15 Depth=1
	v_mov_b64_e32 v[0:1], 0x7f800001
	v_bfe_u32 v5, v2, 16, 7
	s_mov_b32 s16, exec_lo
	s_delay_alu instid0(VALU_DEP_1)
	v_cmpx_ne_u32_e32 0x7f, v5
	s_cbranch_execz .LBB210_232
; %bb.229:                              ;   in Loop: Header=BB210_15 Depth=1
	v_dual_lshrrev_b32 v4, 3, v5 :: v_dual_bitop2_b32 v64, 7, v3 bitop3:0x40
	s_mov_b32 s17, exec_lo
	v_cmpx_gt_u32_e32 8, v5
; %bb.230:                              ;   in Loop: Header=BB210_15 Depth=1
	s_delay_alu instid0(VALU_DEP_2) | instskip(NEXT) | instid1(VALU_DEP_1)
	v_clz_i32_u32_e32 v4, v64
	v_min_u32_e32 v4, 32, v4
	s_delay_alu instid0(VALU_DEP_1) | instskip(NEXT) | instid1(VALU_DEP_1)
	v_subrev_nc_u32_e32 v5, 28, v4
	v_lshlrev_b64_e32 v[6:7], v5, v[64:65]
	s_delay_alu instid0(VALU_DEP_1)
	v_dual_sub_nc_u32 v4, 29, v4 :: v_dual_bitop2_b32 v64, 7, v6 bitop3:0x40
; %bb.231:                              ;   in Loop: Header=BB210_15 Depth=1
	s_or_b32 exec_lo, exec_lo, s17
	s_delay_alu instid0(VALU_DEP_1) | instskip(NEXT) | instid1(VALU_DEP_2)
	v_dual_lshlrev_b32 v3, 24, v3 :: v_dual_lshlrev_b32 v0, 20, v64
	v_lshl_add_u32 v4, v4, 23, 0x3c000000
	s_delay_alu instid0(VALU_DEP_2) | instskip(NEXT) | instid1(VALU_DEP_1)
	v_and_b32_e32 v3, 0x80000000, v3
	v_or3_b32 v64, v0, v3, v4
	s_delay_alu instid0(VALU_DEP_1)
	v_mov_b64_e32 v[0:1], v[64:65]
.LBB210_232:                            ;   in Loop: Header=BB210_15 Depth=1
	s_or_b32 exec_lo, exec_lo, s16
.LBB210_233:                            ;   in Loop: Header=BB210_15 Depth=1
	s_delay_alu instid0(SALU_CYCLE_1)
	s_or_b32 exec_lo, exec_lo, s15
	scratch_store_b64 off, v[0:1], s32 offset:604 ; 8-byte Folded Spill
.LBB210_234:                            ;   in Loop: Header=BB210_15 Depth=1
	s_wait_xcnt 0x0
	s_or_b32 exec_lo, exec_lo, s14
	s_delay_alu instid0(SALU_CYCLE_1)
	s_mov_b32 s14, exec_lo
	v_cmpx_lt_u32_e32 0xffffff, v2
	s_cbranch_execz .LBB210_242
; %bb.235:                              ;   in Loop: Header=BB210_15 Depth=1
	v_mov_b64_e32 v[0:1], 0x8000000000000000
	v_lshrrev_b32_e32 v3, 24, v2
	s_mov_b32 s15, exec_lo
	scratch_store_b64 off, v[0:1], s32 offset:348 ; 8-byte Folded Spill
	s_wait_xcnt 0x0
	v_cmpx_ne_u32_e32 0x80, v3
	s_cbranch_execz .LBB210_241
; %bb.236:                              ;   in Loop: Header=BB210_15 Depth=1
	v_mov_b64_e32 v[0:1], 0x7f80000100000000
	v_bfe_u32 v4, v2, 24, 7
	s_mov_b32 s16, exec_lo
	scratch_store_b64 off, v[0:1], s32 offset:348 ; 8-byte Folded Spill
	s_wait_xcnt 0x0
	v_cmpx_ne_u32_e32 0x7f, v4
	s_cbranch_execz .LBB210_240
; %bb.237:                              ;   in Loop: Header=BB210_15 Depth=1
	v_dual_lshrrev_b32 v2, 3, v4 :: v_dual_bitop2_b32 v64, 7, v3 bitop3:0x40
	s_mov_b32 s17, exec_lo
	v_cmpx_gt_u32_e32 8, v4
; %bb.238:                              ;   in Loop: Header=BB210_15 Depth=1
	s_delay_alu instid0(VALU_DEP_2) | instskip(NEXT) | instid1(VALU_DEP_1)
	v_clz_i32_u32_e32 v2, v64
	v_min_u32_e32 v2, 32, v2
	s_delay_alu instid0(VALU_DEP_1) | instskip(NEXT) | instid1(VALU_DEP_1)
	v_subrev_nc_u32_e32 v4, 28, v2
	v_lshlrev_b64_e32 v[4:5], v4, v[64:65]
	s_delay_alu instid0(VALU_DEP_1)
	v_dual_sub_nc_u32 v2, 29, v2 :: v_dual_bitop2_b32 v64, 7, v4 bitop3:0x40
; %bb.239:                              ;   in Loop: Header=BB210_15 Depth=1
	s_or_b32 exec_lo, exec_lo, s17
	s_delay_alu instid0(VALU_DEP_1) | instskip(NEXT) | instid1(VALU_DEP_2)
	v_dual_lshlrev_b32 v3, 24, v3 :: v_dual_lshlrev_b32 v0, 20, v64
	v_lshl_add_u32 v2, v2, 23, 0x3c000000
	s_delay_alu instid0(VALU_DEP_2) | instskip(NEXT) | instid1(VALU_DEP_1)
	v_and_b32_e32 v3, 0x80000000, v3
	v_or3_b32 v1, v0, v3, v2
	v_mov_b32_e32 v0, v65
	scratch_store_b64 off, v[0:1], s32 offset:348 ; 8-byte Folded Spill
.LBB210_240:                            ;   in Loop: Header=BB210_15 Depth=1
	s_wait_xcnt 0x0
	s_or_b32 exec_lo, exec_lo, s16
.LBB210_241:                            ;   in Loop: Header=BB210_15 Depth=1
	s_delay_alu instid0(SALU_CYCLE_1)
	s_or_b32 exec_lo, exec_lo, s15
.LBB210_242:                            ;   in Loop: Header=BB210_15 Depth=1
	s_delay_alu instid0(SALU_CYCLE_1)
	s_or_b32 exec_lo, exec_lo, s14
	flat_load_b32 v2, v[52:53] offset:524
	v_mov_b64_e32 v[4:5], 0
	s_mov_b32 s14, exec_lo
	scratch_store_b64 off, v[4:5], s32 offset:356 ; 8-byte Folded Spill
	s_wait_xcnt 0x0
	v_mov_b64_e32 v[4:5], 0
	scratch_store_b64 off, v[4:5], s32 offset:612 ; 8-byte Folded Spill
	s_wait_loadcnt_dscnt 0x0
	v_and_b32_e32 v0, 0xff, v2
	s_wait_xcnt 0x0
	s_delay_alu instid0(VALU_DEP_1)
	v_cmpx_ne_u16_e32 0, v0
	s_cbranch_execz .LBB210_250
; %bb.243:                              ;   in Loop: Header=BB210_15 Depth=1
	v_cmp_ne_u16_e64 s1, 0x80, v0
	v_mov_b64_e32 v[0:1], 0x80000000
	s_and_saveexec_b32 s15, s1
	s_cbranch_execz .LBB210_249
; %bb.244:                              ;   in Loop: Header=BB210_15 Depth=1
	v_mov_b64_e32 v[0:1], 0x7f800001
	v_and_b32_e32 v4, 0x7f, v2
	s_mov_b32 s16, exec_lo
	s_delay_alu instid0(VALU_DEP_1)
	v_cmpx_ne_u32_e32 0x7f, v4
	s_cbranch_execz .LBB210_248
; %bb.245:                              ;   in Loop: Header=BB210_15 Depth=1
	v_dual_lshrrev_b32 v3, 3, v4 :: v_dual_bitop2_b32 v64, 7, v2 bitop3:0x40
	s_mov_b32 s17, exec_lo
	v_cmpx_gt_u32_e32 8, v4
; %bb.246:                              ;   in Loop: Header=BB210_15 Depth=1
	s_delay_alu instid0(VALU_DEP_2) | instskip(NEXT) | instid1(VALU_DEP_1)
	v_clz_i32_u32_e32 v3, v64
	v_min_u32_e32 v3, 32, v3
	s_delay_alu instid0(VALU_DEP_1) | instskip(NEXT) | instid1(VALU_DEP_1)
	v_subrev_nc_u32_e32 v4, 28, v3
	v_lshlrev_b64_e32 v[4:5], v4, v[64:65]
	s_delay_alu instid0(VALU_DEP_1)
	v_dual_sub_nc_u32 v3, 29, v3 :: v_dual_bitop2_b32 v64, 7, v4 bitop3:0x40
; %bb.247:                              ;   in Loop: Header=BB210_15 Depth=1
	s_or_b32 exec_lo, exec_lo, s17
	s_delay_alu instid0(VALU_DEP_1) | instskip(NEXT) | instid1(VALU_DEP_2)
	v_dual_lshlrev_b32 v4, 24, v2 :: v_dual_lshlrev_b32 v0, 20, v64
	v_lshl_add_u32 v3, v3, 23, 0x3c000000
	s_delay_alu instid0(VALU_DEP_2) | instskip(NEXT) | instid1(VALU_DEP_1)
	v_and_b32_e32 v4, 0x80000000, v4
	v_or3_b32 v64, v0, v4, v3
	s_delay_alu instid0(VALU_DEP_1)
	v_mov_b64_e32 v[0:1], v[64:65]
.LBB210_248:                            ;   in Loop: Header=BB210_15 Depth=1
	s_or_b32 exec_lo, exec_lo, s16
.LBB210_249:                            ;   in Loop: Header=BB210_15 Depth=1
	s_delay_alu instid0(SALU_CYCLE_1)
	s_or_b32 exec_lo, exec_lo, s15
	scratch_store_b64 off, v[0:1], s32 offset:612 ; 8-byte Folded Spill
.LBB210_250:                            ;   in Loop: Header=BB210_15 Depth=1
	s_wait_xcnt 0x0
	s_or_b32 exec_lo, exec_lo, s14
	v_lshrrev_b16 v0, 8, v2
	s_mov_b32 s14, exec_lo
	s_delay_alu instid0(VALU_DEP_1)
	v_cmpx_ne_u16_e32 0, v0
	s_cbranch_execz .LBB210_258
; %bb.251:                              ;   in Loop: Header=BB210_15 Depth=1
	v_mov_b64_e32 v[4:5], 0x8000000000000000
	s_mov_b32 s15, exec_lo
	scratch_store_b64 off, v[4:5], s32 offset:356 ; 8-byte Folded Spill
	s_wait_xcnt 0x0
	v_cmpx_ne_u16_e32 0x80, v0
	s_cbranch_execz .LBB210_257
; %bb.252:                              ;   in Loop: Header=BB210_15 Depth=1
	v_and_b32_e32 v0, 0xffff, v0
	v_mov_b64_e32 v[6:7], 0x7f80000100000000
	s_mov_b32 s16, exec_lo
	s_delay_alu instid0(VALU_DEP_2)
	v_and_b32_e32 v4, 0x7f, v0
	scratch_store_b64 off, v[6:7], s32 offset:356 ; 8-byte Folded Spill
	s_wait_xcnt 0x0
	v_cmpx_ne_u32_e32 0x7f, v4
	s_cbranch_execz .LBB210_256
; %bb.253:                              ;   in Loop: Header=BB210_15 Depth=1
	v_and_b32_e32 v64, 7, v0
	v_lshrrev_b32_e32 v3, 3, v4
	s_mov_b32 s17, exec_lo
	v_cmpx_gt_u32_e32 8, v4
; %bb.254:                              ;   in Loop: Header=BB210_15 Depth=1
	s_delay_alu instid0(VALU_DEP_3) | instskip(NEXT) | instid1(VALU_DEP_1)
	v_clz_i32_u32_e32 v3, v64
	v_min_u32_e32 v3, 32, v3
	s_delay_alu instid0(VALU_DEP_1) | instskip(NEXT) | instid1(VALU_DEP_1)
	v_subrev_nc_u32_e32 v4, 28, v3
	v_lshlrev_b64_e32 v[4:5], v4, v[64:65]
	s_delay_alu instid0(VALU_DEP_1)
	v_dual_sub_nc_u32 v3, 29, v3 :: v_dual_bitop2_b32 v64, 7, v4 bitop3:0x40
; %bb.255:                              ;   in Loop: Header=BB210_15 Depth=1
	s_or_b32 exec_lo, exec_lo, s17
	s_delay_alu instid0(VALU_DEP_1) | instskip(NEXT) | instid1(VALU_DEP_2)
	v_dual_lshlrev_b32 v4, 16, v2 :: v_dual_lshlrev_b32 v0, 20, v64
	v_lshl_add_u32 v3, v3, 23, 0x3c000000
	s_delay_alu instid0(VALU_DEP_2) | instskip(NEXT) | instid1(VALU_DEP_1)
	v_and_b32_e32 v4, 0x80000000, v4
	v_or3_b32 v1, v0, v4, v3
	v_mov_b32_e32 v0, v65
	scratch_store_b64 off, v[0:1], s32 offset:356 ; 8-byte Folded Spill
.LBB210_256:                            ;   in Loop: Header=BB210_15 Depth=1
	s_wait_xcnt 0x0
	s_or_b32 exec_lo, exec_lo, s16
.LBB210_257:                            ;   in Loop: Header=BB210_15 Depth=1
	s_delay_alu instid0(SALU_CYCLE_1)
	s_or_b32 exec_lo, exec_lo, s15
.LBB210_258:                            ;   in Loop: Header=BB210_15 Depth=1
	s_delay_alu instid0(SALU_CYCLE_1) | instskip(SKIP_3) | instid1(VALU_DEP_1)
	s_or_b32 exec_lo, exec_lo, s14
	v_mov_b64_e32 v[4:5], 0
	v_lshrrev_b32_e32 v3, 16, v2
	s_mov_b32 s14, exec_lo
	v_and_b32_e32 v0, 0xff, v3
	scratch_store_b64 off, v[4:5], s32 offset:364 ; 8-byte Folded Spill
	s_wait_xcnt 0x0
	v_mov_b64_e32 v[4:5], 0
	scratch_store_b64 off, v[4:5], s32 offset:620 ; 8-byte Folded Spill
	s_wait_xcnt 0x0
	v_cmpx_ne_u16_e32 0, v0
	s_cbranch_execz .LBB210_266
; %bb.259:                              ;   in Loop: Header=BB210_15 Depth=1
	v_cmp_ne_u16_e64 s1, 0x80, v0
	v_mov_b64_e32 v[0:1], 0x80000000
	s_and_saveexec_b32 s15, s1
	s_cbranch_execz .LBB210_265
; %bb.260:                              ;   in Loop: Header=BB210_15 Depth=1
	v_mov_b64_e32 v[0:1], 0x7f800001
	v_bfe_u32 v5, v2, 16, 7
	s_mov_b32 s16, exec_lo
	s_delay_alu instid0(VALU_DEP_1)
	v_cmpx_ne_u32_e32 0x7f, v5
	s_cbranch_execz .LBB210_264
; %bb.261:                              ;   in Loop: Header=BB210_15 Depth=1
	v_dual_lshrrev_b32 v4, 3, v5 :: v_dual_bitop2_b32 v64, 7, v3 bitop3:0x40
	s_mov_b32 s17, exec_lo
	v_cmpx_gt_u32_e32 8, v5
; %bb.262:                              ;   in Loop: Header=BB210_15 Depth=1
	s_delay_alu instid0(VALU_DEP_2) | instskip(NEXT) | instid1(VALU_DEP_1)
	v_clz_i32_u32_e32 v4, v64
	v_min_u32_e32 v4, 32, v4
	s_delay_alu instid0(VALU_DEP_1) | instskip(NEXT) | instid1(VALU_DEP_1)
	v_subrev_nc_u32_e32 v5, 28, v4
	v_lshlrev_b64_e32 v[6:7], v5, v[64:65]
	s_delay_alu instid0(VALU_DEP_1)
	v_dual_sub_nc_u32 v4, 29, v4 :: v_dual_bitop2_b32 v64, 7, v6 bitop3:0x40
; %bb.263:                              ;   in Loop: Header=BB210_15 Depth=1
	s_or_b32 exec_lo, exec_lo, s17
	s_delay_alu instid0(VALU_DEP_1) | instskip(NEXT) | instid1(VALU_DEP_2)
	v_dual_lshlrev_b32 v3, 24, v3 :: v_dual_lshlrev_b32 v0, 20, v64
	v_lshl_add_u32 v4, v4, 23, 0x3c000000
	s_delay_alu instid0(VALU_DEP_2) | instskip(NEXT) | instid1(VALU_DEP_1)
	v_and_b32_e32 v3, 0x80000000, v3
	v_or3_b32 v64, v0, v3, v4
	s_delay_alu instid0(VALU_DEP_1)
	v_mov_b64_e32 v[0:1], v[64:65]
.LBB210_264:                            ;   in Loop: Header=BB210_15 Depth=1
	s_or_b32 exec_lo, exec_lo, s16
.LBB210_265:                            ;   in Loop: Header=BB210_15 Depth=1
	s_delay_alu instid0(SALU_CYCLE_1)
	s_or_b32 exec_lo, exec_lo, s15
	scratch_store_b64 off, v[0:1], s32 offset:620 ; 8-byte Folded Spill
.LBB210_266:                            ;   in Loop: Header=BB210_15 Depth=1
	s_wait_xcnt 0x0
	s_or_b32 exec_lo, exec_lo, s14
	s_delay_alu instid0(SALU_CYCLE_1)
	s_mov_b32 s14, exec_lo
	v_cmpx_lt_u32_e32 0xffffff, v2
	s_cbranch_execz .LBB210_274
; %bb.267:                              ;   in Loop: Header=BB210_15 Depth=1
	v_mov_b64_e32 v[0:1], 0x8000000000000000
	v_lshrrev_b32_e32 v3, 24, v2
	s_mov_b32 s15, exec_lo
	scratch_store_b64 off, v[0:1], s32 offset:364 ; 8-byte Folded Spill
	s_wait_xcnt 0x0
	v_cmpx_ne_u32_e32 0x80, v3
	s_cbranch_execz .LBB210_273
; %bb.268:                              ;   in Loop: Header=BB210_15 Depth=1
	v_mov_b64_e32 v[0:1], 0x7f80000100000000
	v_bfe_u32 v4, v2, 24, 7
	s_mov_b32 s16, exec_lo
	scratch_store_b64 off, v[0:1], s32 offset:364 ; 8-byte Folded Spill
	s_wait_xcnt 0x0
	v_cmpx_ne_u32_e32 0x7f, v4
	s_cbranch_execz .LBB210_272
; %bb.269:                              ;   in Loop: Header=BB210_15 Depth=1
	v_dual_lshrrev_b32 v2, 3, v4 :: v_dual_bitop2_b32 v64, 7, v3 bitop3:0x40
	s_mov_b32 s17, exec_lo
	v_cmpx_gt_u32_e32 8, v4
; %bb.270:                              ;   in Loop: Header=BB210_15 Depth=1
	s_delay_alu instid0(VALU_DEP_2) | instskip(NEXT) | instid1(VALU_DEP_1)
	v_clz_i32_u32_e32 v2, v64
	v_min_u32_e32 v2, 32, v2
	s_delay_alu instid0(VALU_DEP_1) | instskip(NEXT) | instid1(VALU_DEP_1)
	v_subrev_nc_u32_e32 v4, 28, v2
	v_lshlrev_b64_e32 v[4:5], v4, v[64:65]
	s_delay_alu instid0(VALU_DEP_1)
	v_dual_sub_nc_u32 v2, 29, v2 :: v_dual_bitop2_b32 v64, 7, v4 bitop3:0x40
; %bb.271:                              ;   in Loop: Header=BB210_15 Depth=1
	s_or_b32 exec_lo, exec_lo, s17
	s_delay_alu instid0(VALU_DEP_1) | instskip(NEXT) | instid1(VALU_DEP_2)
	v_dual_lshlrev_b32 v3, 24, v3 :: v_dual_lshlrev_b32 v0, 20, v64
	v_lshl_add_u32 v2, v2, 23, 0x3c000000
	s_delay_alu instid0(VALU_DEP_2) | instskip(NEXT) | instid1(VALU_DEP_1)
	v_and_b32_e32 v3, 0x80000000, v3
	v_or3_b32 v1, v0, v3, v2
	v_mov_b32_e32 v0, v65
	scratch_store_b64 off, v[0:1], s32 offset:364 ; 8-byte Folded Spill
.LBB210_272:                            ;   in Loop: Header=BB210_15 Depth=1
	s_wait_xcnt 0x0
	s_or_b32 exec_lo, exec_lo, s16
.LBB210_273:                            ;   in Loop: Header=BB210_15 Depth=1
	s_delay_alu instid0(SALU_CYCLE_1)
	s_or_b32 exec_lo, exec_lo, s15
.LBB210_274:                            ;   in Loop: Header=BB210_15 Depth=1
	s_delay_alu instid0(SALU_CYCLE_1)
	s_or_b32 exec_lo, exec_lo, s14
	flat_load_b32 v2, v[52:53] offset:1024
	v_mov_b64_e32 v[4:5], 0
	s_mov_b32 s14, exec_lo
	scratch_store_b64 off, v[4:5], s32 offset:372 ; 8-byte Folded Spill
	s_wait_xcnt 0x0
	v_mov_b64_e32 v[4:5], 0
	scratch_store_b64 off, v[4:5], s32 offset:628 ; 8-byte Folded Spill
	s_wait_loadcnt_dscnt 0x0
	v_and_b32_e32 v0, 0xff, v2
	s_wait_xcnt 0x0
	s_delay_alu instid0(VALU_DEP_1)
	v_cmpx_ne_u16_e32 0, v0
	s_cbranch_execz .LBB210_282
; %bb.275:                              ;   in Loop: Header=BB210_15 Depth=1
	v_cmp_ne_u16_e64 s1, 0x80, v0
	v_mov_b64_e32 v[0:1], 0x80000000
	s_and_saveexec_b32 s15, s1
	s_cbranch_execz .LBB210_281
; %bb.276:                              ;   in Loop: Header=BB210_15 Depth=1
	v_mov_b64_e32 v[0:1], 0x7f800001
	v_and_b32_e32 v4, 0x7f, v2
	s_mov_b32 s16, exec_lo
	s_delay_alu instid0(VALU_DEP_1)
	v_cmpx_ne_u32_e32 0x7f, v4
	s_cbranch_execz .LBB210_280
; %bb.277:                              ;   in Loop: Header=BB210_15 Depth=1
	v_dual_lshrrev_b32 v3, 3, v4 :: v_dual_bitop2_b32 v64, 7, v2 bitop3:0x40
	s_mov_b32 s17, exec_lo
	v_cmpx_gt_u32_e32 8, v4
; %bb.278:                              ;   in Loop: Header=BB210_15 Depth=1
	s_delay_alu instid0(VALU_DEP_2) | instskip(NEXT) | instid1(VALU_DEP_1)
	v_clz_i32_u32_e32 v3, v64
	v_min_u32_e32 v3, 32, v3
	s_delay_alu instid0(VALU_DEP_1) | instskip(NEXT) | instid1(VALU_DEP_1)
	v_subrev_nc_u32_e32 v4, 28, v3
	v_lshlrev_b64_e32 v[4:5], v4, v[64:65]
	s_delay_alu instid0(VALU_DEP_1)
	v_dual_sub_nc_u32 v3, 29, v3 :: v_dual_bitop2_b32 v64, 7, v4 bitop3:0x40
; %bb.279:                              ;   in Loop: Header=BB210_15 Depth=1
	s_or_b32 exec_lo, exec_lo, s17
	s_delay_alu instid0(VALU_DEP_1) | instskip(NEXT) | instid1(VALU_DEP_2)
	v_dual_lshlrev_b32 v4, 24, v2 :: v_dual_lshlrev_b32 v0, 20, v64
	v_lshl_add_u32 v3, v3, 23, 0x3c000000
	s_delay_alu instid0(VALU_DEP_2) | instskip(NEXT) | instid1(VALU_DEP_1)
	v_and_b32_e32 v4, 0x80000000, v4
	v_or3_b32 v64, v0, v4, v3
	s_delay_alu instid0(VALU_DEP_1)
	v_mov_b64_e32 v[0:1], v[64:65]
.LBB210_280:                            ;   in Loop: Header=BB210_15 Depth=1
	s_or_b32 exec_lo, exec_lo, s16
.LBB210_281:                            ;   in Loop: Header=BB210_15 Depth=1
	s_delay_alu instid0(SALU_CYCLE_1)
	s_or_b32 exec_lo, exec_lo, s15
	scratch_store_b64 off, v[0:1], s32 offset:628 ; 8-byte Folded Spill
.LBB210_282:                            ;   in Loop: Header=BB210_15 Depth=1
	s_wait_xcnt 0x0
	s_or_b32 exec_lo, exec_lo, s14
	v_lshrrev_b16 v0, 8, v2
	s_mov_b32 s14, exec_lo
	s_delay_alu instid0(VALU_DEP_1)
	v_cmpx_ne_u16_e32 0, v0
	s_cbranch_execz .LBB210_290
; %bb.283:                              ;   in Loop: Header=BB210_15 Depth=1
	v_mov_b64_e32 v[4:5], 0x8000000000000000
	s_mov_b32 s15, exec_lo
	scratch_store_b64 off, v[4:5], s32 offset:372 ; 8-byte Folded Spill
	s_wait_xcnt 0x0
	v_cmpx_ne_u16_e32 0x80, v0
	s_cbranch_execz .LBB210_289
; %bb.284:                              ;   in Loop: Header=BB210_15 Depth=1
	v_and_b32_e32 v0, 0xffff, v0
	v_mov_b64_e32 v[6:7], 0x7f80000100000000
	s_mov_b32 s16, exec_lo
	s_delay_alu instid0(VALU_DEP_2)
	v_and_b32_e32 v4, 0x7f, v0
	scratch_store_b64 off, v[6:7], s32 offset:372 ; 8-byte Folded Spill
	s_wait_xcnt 0x0
	v_cmpx_ne_u32_e32 0x7f, v4
	s_cbranch_execz .LBB210_288
; %bb.285:                              ;   in Loop: Header=BB210_15 Depth=1
	v_and_b32_e32 v64, 7, v0
	v_lshrrev_b32_e32 v3, 3, v4
	s_mov_b32 s17, exec_lo
	v_cmpx_gt_u32_e32 8, v4
; %bb.286:                              ;   in Loop: Header=BB210_15 Depth=1
	s_delay_alu instid0(VALU_DEP_3) | instskip(NEXT) | instid1(VALU_DEP_1)
	v_clz_i32_u32_e32 v3, v64
	v_min_u32_e32 v3, 32, v3
	s_delay_alu instid0(VALU_DEP_1) | instskip(NEXT) | instid1(VALU_DEP_1)
	v_subrev_nc_u32_e32 v4, 28, v3
	v_lshlrev_b64_e32 v[4:5], v4, v[64:65]
	s_delay_alu instid0(VALU_DEP_1)
	v_dual_sub_nc_u32 v3, 29, v3 :: v_dual_bitop2_b32 v64, 7, v4 bitop3:0x40
; %bb.287:                              ;   in Loop: Header=BB210_15 Depth=1
	s_or_b32 exec_lo, exec_lo, s17
	s_delay_alu instid0(VALU_DEP_1) | instskip(NEXT) | instid1(VALU_DEP_2)
	v_dual_lshlrev_b32 v4, 16, v2 :: v_dual_lshlrev_b32 v0, 20, v64
	v_lshl_add_u32 v3, v3, 23, 0x3c000000
	s_delay_alu instid0(VALU_DEP_2) | instskip(NEXT) | instid1(VALU_DEP_1)
	v_and_b32_e32 v4, 0x80000000, v4
	v_or3_b32 v1, v0, v4, v3
	v_mov_b32_e32 v0, v65
	scratch_store_b64 off, v[0:1], s32 offset:372 ; 8-byte Folded Spill
.LBB210_288:                            ;   in Loop: Header=BB210_15 Depth=1
	s_wait_xcnt 0x0
	s_or_b32 exec_lo, exec_lo, s16
.LBB210_289:                            ;   in Loop: Header=BB210_15 Depth=1
	s_delay_alu instid0(SALU_CYCLE_1)
	s_or_b32 exec_lo, exec_lo, s15
.LBB210_290:                            ;   in Loop: Header=BB210_15 Depth=1
	s_delay_alu instid0(SALU_CYCLE_1) | instskip(SKIP_3) | instid1(VALU_DEP_1)
	s_or_b32 exec_lo, exec_lo, s14
	v_mov_b64_e32 v[4:5], 0
	v_lshrrev_b32_e32 v3, 16, v2
	s_mov_b32 s14, exec_lo
	v_and_b32_e32 v0, 0xff, v3
	scratch_store_b64 off, v[4:5], s32 offset:380 ; 8-byte Folded Spill
	s_wait_xcnt 0x0
	v_mov_b64_e32 v[4:5], 0
	scratch_store_b64 off, v[4:5], s32 offset:636 ; 8-byte Folded Spill
	s_wait_xcnt 0x0
	v_cmpx_ne_u16_e32 0, v0
	s_cbranch_execz .LBB210_298
; %bb.291:                              ;   in Loop: Header=BB210_15 Depth=1
	v_cmp_ne_u16_e64 s1, 0x80, v0
	v_mov_b64_e32 v[0:1], 0x80000000
	s_and_saveexec_b32 s15, s1
	s_cbranch_execz .LBB210_297
; %bb.292:                              ;   in Loop: Header=BB210_15 Depth=1
	v_mov_b64_e32 v[0:1], 0x7f800001
	v_bfe_u32 v5, v2, 16, 7
	s_mov_b32 s16, exec_lo
	s_delay_alu instid0(VALU_DEP_1)
	v_cmpx_ne_u32_e32 0x7f, v5
	s_cbranch_execz .LBB210_296
; %bb.293:                              ;   in Loop: Header=BB210_15 Depth=1
	v_dual_lshrrev_b32 v4, 3, v5 :: v_dual_bitop2_b32 v64, 7, v3 bitop3:0x40
	s_mov_b32 s17, exec_lo
	v_cmpx_gt_u32_e32 8, v5
; %bb.294:                              ;   in Loop: Header=BB210_15 Depth=1
	s_delay_alu instid0(VALU_DEP_2) | instskip(NEXT) | instid1(VALU_DEP_1)
	v_clz_i32_u32_e32 v4, v64
	v_min_u32_e32 v4, 32, v4
	s_delay_alu instid0(VALU_DEP_1) | instskip(NEXT) | instid1(VALU_DEP_1)
	v_subrev_nc_u32_e32 v5, 28, v4
	v_lshlrev_b64_e32 v[6:7], v5, v[64:65]
	s_delay_alu instid0(VALU_DEP_1)
	v_dual_sub_nc_u32 v4, 29, v4 :: v_dual_bitop2_b32 v64, 7, v6 bitop3:0x40
; %bb.295:                              ;   in Loop: Header=BB210_15 Depth=1
	s_or_b32 exec_lo, exec_lo, s17
	s_delay_alu instid0(VALU_DEP_1) | instskip(NEXT) | instid1(VALU_DEP_2)
	v_dual_lshlrev_b32 v3, 24, v3 :: v_dual_lshlrev_b32 v0, 20, v64
	v_lshl_add_u32 v4, v4, 23, 0x3c000000
	s_delay_alu instid0(VALU_DEP_2) | instskip(NEXT) | instid1(VALU_DEP_1)
	v_and_b32_e32 v3, 0x80000000, v3
	v_or3_b32 v64, v0, v3, v4
	s_delay_alu instid0(VALU_DEP_1)
	v_mov_b64_e32 v[0:1], v[64:65]
.LBB210_296:                            ;   in Loop: Header=BB210_15 Depth=1
	s_or_b32 exec_lo, exec_lo, s16
.LBB210_297:                            ;   in Loop: Header=BB210_15 Depth=1
	s_delay_alu instid0(SALU_CYCLE_1)
	s_or_b32 exec_lo, exec_lo, s15
	scratch_store_b64 off, v[0:1], s32 offset:636 ; 8-byte Folded Spill
.LBB210_298:                            ;   in Loop: Header=BB210_15 Depth=1
	s_wait_xcnt 0x0
	s_or_b32 exec_lo, exec_lo, s14
	s_delay_alu instid0(SALU_CYCLE_1)
	s_mov_b32 s14, exec_lo
	v_cmpx_lt_u32_e32 0xffffff, v2
	s_cbranch_execz .LBB210_306
; %bb.299:                              ;   in Loop: Header=BB210_15 Depth=1
	v_mov_b64_e32 v[0:1], 0x8000000000000000
	v_lshrrev_b32_e32 v3, 24, v2
	s_mov_b32 s15, exec_lo
	scratch_store_b64 off, v[0:1], s32 offset:380 ; 8-byte Folded Spill
	s_wait_xcnt 0x0
	v_cmpx_ne_u32_e32 0x80, v3
	s_cbranch_execz .LBB210_305
; %bb.300:                              ;   in Loop: Header=BB210_15 Depth=1
	v_mov_b64_e32 v[0:1], 0x7f80000100000000
	v_bfe_u32 v4, v2, 24, 7
	s_mov_b32 s16, exec_lo
	scratch_store_b64 off, v[0:1], s32 offset:380 ; 8-byte Folded Spill
	s_wait_xcnt 0x0
	v_cmpx_ne_u32_e32 0x7f, v4
	s_cbranch_execz .LBB210_304
; %bb.301:                              ;   in Loop: Header=BB210_15 Depth=1
	v_dual_lshrrev_b32 v2, 3, v4 :: v_dual_bitop2_b32 v64, 7, v3 bitop3:0x40
	s_mov_b32 s17, exec_lo
	v_cmpx_gt_u32_e32 8, v4
; %bb.302:                              ;   in Loop: Header=BB210_15 Depth=1
	s_delay_alu instid0(VALU_DEP_2) | instskip(NEXT) | instid1(VALU_DEP_1)
	v_clz_i32_u32_e32 v2, v64
	v_min_u32_e32 v2, 32, v2
	s_delay_alu instid0(VALU_DEP_1) | instskip(NEXT) | instid1(VALU_DEP_1)
	v_subrev_nc_u32_e32 v4, 28, v2
	v_lshlrev_b64_e32 v[4:5], v4, v[64:65]
	s_delay_alu instid0(VALU_DEP_1)
	v_dual_sub_nc_u32 v2, 29, v2 :: v_dual_bitop2_b32 v64, 7, v4 bitop3:0x40
; %bb.303:                              ;   in Loop: Header=BB210_15 Depth=1
	s_or_b32 exec_lo, exec_lo, s17
	s_delay_alu instid0(VALU_DEP_1) | instskip(NEXT) | instid1(VALU_DEP_2)
	v_dual_lshlrev_b32 v3, 24, v3 :: v_dual_lshlrev_b32 v0, 20, v64
	v_lshl_add_u32 v2, v2, 23, 0x3c000000
	s_delay_alu instid0(VALU_DEP_2) | instskip(NEXT) | instid1(VALU_DEP_1)
	v_and_b32_e32 v3, 0x80000000, v3
	v_or3_b32 v1, v0, v3, v2
	v_mov_b32_e32 v0, v65
	scratch_store_b64 off, v[0:1], s32 offset:380 ; 8-byte Folded Spill
.LBB210_304:                            ;   in Loop: Header=BB210_15 Depth=1
	s_wait_xcnt 0x0
	s_or_b32 exec_lo, exec_lo, s16
.LBB210_305:                            ;   in Loop: Header=BB210_15 Depth=1
	s_delay_alu instid0(SALU_CYCLE_1)
	s_or_b32 exec_lo, exec_lo, s15
.LBB210_306:                            ;   in Loop: Header=BB210_15 Depth=1
	s_delay_alu instid0(SALU_CYCLE_1)
	s_or_b32 exec_lo, exec_lo, s14
	flat_load_b32 v2, v[52:53] offset:1028
	v_mov_b64_e32 v[4:5], 0
	s_mov_b32 s14, exec_lo
	scratch_store_b64 off, v[4:5], s32 offset:388 ; 8-byte Folded Spill
	s_wait_xcnt 0x0
	v_mov_b64_e32 v[4:5], 0
	scratch_store_b64 off, v[4:5], s32 offset:644 ; 8-byte Folded Spill
	s_wait_loadcnt_dscnt 0x0
	v_and_b32_e32 v0, 0xff, v2
	s_wait_xcnt 0x0
	s_delay_alu instid0(VALU_DEP_1)
	v_cmpx_ne_u16_e32 0, v0
	s_cbranch_execz .LBB210_314
; %bb.307:                              ;   in Loop: Header=BB210_15 Depth=1
	v_cmp_ne_u16_e64 s1, 0x80, v0
	v_mov_b64_e32 v[0:1], 0x80000000
	s_and_saveexec_b32 s15, s1
	s_cbranch_execz .LBB210_313
; %bb.308:                              ;   in Loop: Header=BB210_15 Depth=1
	v_mov_b64_e32 v[0:1], 0x7f800001
	v_and_b32_e32 v4, 0x7f, v2
	s_mov_b32 s16, exec_lo
	s_delay_alu instid0(VALU_DEP_1)
	v_cmpx_ne_u32_e32 0x7f, v4
	s_cbranch_execz .LBB210_312
; %bb.309:                              ;   in Loop: Header=BB210_15 Depth=1
	v_dual_lshrrev_b32 v3, 3, v4 :: v_dual_bitop2_b32 v64, 7, v2 bitop3:0x40
	s_mov_b32 s17, exec_lo
	v_cmpx_gt_u32_e32 8, v4
; %bb.310:                              ;   in Loop: Header=BB210_15 Depth=1
	s_delay_alu instid0(VALU_DEP_2) | instskip(NEXT) | instid1(VALU_DEP_1)
	v_clz_i32_u32_e32 v3, v64
	v_min_u32_e32 v3, 32, v3
	s_delay_alu instid0(VALU_DEP_1) | instskip(NEXT) | instid1(VALU_DEP_1)
	v_subrev_nc_u32_e32 v4, 28, v3
	v_lshlrev_b64_e32 v[4:5], v4, v[64:65]
	s_delay_alu instid0(VALU_DEP_1)
	v_dual_sub_nc_u32 v3, 29, v3 :: v_dual_bitop2_b32 v64, 7, v4 bitop3:0x40
; %bb.311:                              ;   in Loop: Header=BB210_15 Depth=1
	s_or_b32 exec_lo, exec_lo, s17
	s_delay_alu instid0(VALU_DEP_1) | instskip(NEXT) | instid1(VALU_DEP_2)
	v_dual_lshlrev_b32 v4, 24, v2 :: v_dual_lshlrev_b32 v0, 20, v64
	v_lshl_add_u32 v3, v3, 23, 0x3c000000
	s_delay_alu instid0(VALU_DEP_2) | instskip(NEXT) | instid1(VALU_DEP_1)
	v_and_b32_e32 v4, 0x80000000, v4
	v_or3_b32 v64, v0, v4, v3
	s_delay_alu instid0(VALU_DEP_1)
	v_mov_b64_e32 v[0:1], v[64:65]
.LBB210_312:                            ;   in Loop: Header=BB210_15 Depth=1
	s_or_b32 exec_lo, exec_lo, s16
.LBB210_313:                            ;   in Loop: Header=BB210_15 Depth=1
	s_delay_alu instid0(SALU_CYCLE_1)
	s_or_b32 exec_lo, exec_lo, s15
	scratch_store_b64 off, v[0:1], s32 offset:644 ; 8-byte Folded Spill
.LBB210_314:                            ;   in Loop: Header=BB210_15 Depth=1
	s_wait_xcnt 0x0
	s_or_b32 exec_lo, exec_lo, s14
	v_lshrrev_b16 v0, 8, v2
	s_mov_b32 s14, exec_lo
	s_delay_alu instid0(VALU_DEP_1)
	v_cmpx_ne_u16_e32 0, v0
	s_cbranch_execz .LBB210_322
; %bb.315:                              ;   in Loop: Header=BB210_15 Depth=1
	v_mov_b64_e32 v[4:5], 0x8000000000000000
	s_mov_b32 s15, exec_lo
	scratch_store_b64 off, v[4:5], s32 offset:388 ; 8-byte Folded Spill
	s_wait_xcnt 0x0
	v_cmpx_ne_u16_e32 0x80, v0
	s_cbranch_execz .LBB210_321
; %bb.316:                              ;   in Loop: Header=BB210_15 Depth=1
	v_and_b32_e32 v0, 0xffff, v0
	v_mov_b64_e32 v[6:7], 0x7f80000100000000
	s_mov_b32 s16, exec_lo
	s_delay_alu instid0(VALU_DEP_2)
	v_and_b32_e32 v4, 0x7f, v0
	scratch_store_b64 off, v[6:7], s32 offset:388 ; 8-byte Folded Spill
	s_wait_xcnt 0x0
	v_cmpx_ne_u32_e32 0x7f, v4
	s_cbranch_execz .LBB210_320
; %bb.317:                              ;   in Loop: Header=BB210_15 Depth=1
	v_and_b32_e32 v64, 7, v0
	v_lshrrev_b32_e32 v3, 3, v4
	s_mov_b32 s17, exec_lo
	v_cmpx_gt_u32_e32 8, v4
; %bb.318:                              ;   in Loop: Header=BB210_15 Depth=1
	s_delay_alu instid0(VALU_DEP_3) | instskip(NEXT) | instid1(VALU_DEP_1)
	v_clz_i32_u32_e32 v3, v64
	v_min_u32_e32 v3, 32, v3
	s_delay_alu instid0(VALU_DEP_1) | instskip(NEXT) | instid1(VALU_DEP_1)
	v_subrev_nc_u32_e32 v4, 28, v3
	v_lshlrev_b64_e32 v[4:5], v4, v[64:65]
	s_delay_alu instid0(VALU_DEP_1)
	v_dual_sub_nc_u32 v3, 29, v3 :: v_dual_bitop2_b32 v64, 7, v4 bitop3:0x40
; %bb.319:                              ;   in Loop: Header=BB210_15 Depth=1
	s_or_b32 exec_lo, exec_lo, s17
	s_delay_alu instid0(VALU_DEP_1) | instskip(NEXT) | instid1(VALU_DEP_2)
	v_dual_lshlrev_b32 v4, 16, v2 :: v_dual_lshlrev_b32 v0, 20, v64
	v_lshl_add_u32 v3, v3, 23, 0x3c000000
	s_delay_alu instid0(VALU_DEP_2) | instskip(NEXT) | instid1(VALU_DEP_1)
	v_and_b32_e32 v4, 0x80000000, v4
	v_or3_b32 v1, v0, v4, v3
	v_mov_b32_e32 v0, v65
	scratch_store_b64 off, v[0:1], s32 offset:388 ; 8-byte Folded Spill
.LBB210_320:                            ;   in Loop: Header=BB210_15 Depth=1
	s_wait_xcnt 0x0
	s_or_b32 exec_lo, exec_lo, s16
.LBB210_321:                            ;   in Loop: Header=BB210_15 Depth=1
	s_delay_alu instid0(SALU_CYCLE_1)
	s_or_b32 exec_lo, exec_lo, s15
.LBB210_322:                            ;   in Loop: Header=BB210_15 Depth=1
	s_delay_alu instid0(SALU_CYCLE_1) | instskip(SKIP_3) | instid1(VALU_DEP_1)
	s_or_b32 exec_lo, exec_lo, s14
	v_mov_b64_e32 v[4:5], 0
	v_lshrrev_b32_e32 v3, 16, v2
	s_mov_b32 s14, exec_lo
	v_and_b32_e32 v0, 0xff, v3
	scratch_store_b64 off, v[4:5], s32 offset:396 ; 8-byte Folded Spill
	s_wait_xcnt 0x0
	v_mov_b64_e32 v[4:5], 0
	scratch_store_b64 off, v[4:5], s32 offset:652 ; 8-byte Folded Spill
	s_wait_xcnt 0x0
	v_cmpx_ne_u16_e32 0, v0
	s_cbranch_execz .LBB210_330
; %bb.323:                              ;   in Loop: Header=BB210_15 Depth=1
	v_cmp_ne_u16_e64 s1, 0x80, v0
	v_mov_b64_e32 v[0:1], 0x80000000
	s_and_saveexec_b32 s15, s1
	s_cbranch_execz .LBB210_329
; %bb.324:                              ;   in Loop: Header=BB210_15 Depth=1
	v_mov_b64_e32 v[0:1], 0x7f800001
	v_bfe_u32 v5, v2, 16, 7
	s_mov_b32 s16, exec_lo
	s_delay_alu instid0(VALU_DEP_1)
	v_cmpx_ne_u32_e32 0x7f, v5
	s_cbranch_execz .LBB210_328
; %bb.325:                              ;   in Loop: Header=BB210_15 Depth=1
	v_dual_lshrrev_b32 v4, 3, v5 :: v_dual_bitop2_b32 v64, 7, v3 bitop3:0x40
	s_mov_b32 s17, exec_lo
	v_cmpx_gt_u32_e32 8, v5
; %bb.326:                              ;   in Loop: Header=BB210_15 Depth=1
	s_delay_alu instid0(VALU_DEP_2) | instskip(NEXT) | instid1(VALU_DEP_1)
	v_clz_i32_u32_e32 v4, v64
	v_min_u32_e32 v4, 32, v4
	s_delay_alu instid0(VALU_DEP_1) | instskip(NEXT) | instid1(VALU_DEP_1)
	v_subrev_nc_u32_e32 v5, 28, v4
	v_lshlrev_b64_e32 v[6:7], v5, v[64:65]
	s_delay_alu instid0(VALU_DEP_1)
	v_dual_sub_nc_u32 v4, 29, v4 :: v_dual_bitop2_b32 v64, 7, v6 bitop3:0x40
; %bb.327:                              ;   in Loop: Header=BB210_15 Depth=1
	s_or_b32 exec_lo, exec_lo, s17
	s_delay_alu instid0(VALU_DEP_1) | instskip(NEXT) | instid1(VALU_DEP_2)
	v_dual_lshlrev_b32 v3, 24, v3 :: v_dual_lshlrev_b32 v0, 20, v64
	v_lshl_add_u32 v4, v4, 23, 0x3c000000
	s_delay_alu instid0(VALU_DEP_2) | instskip(NEXT) | instid1(VALU_DEP_1)
	v_and_b32_e32 v3, 0x80000000, v3
	v_or3_b32 v64, v0, v3, v4
	s_delay_alu instid0(VALU_DEP_1)
	v_mov_b64_e32 v[0:1], v[64:65]
.LBB210_328:                            ;   in Loop: Header=BB210_15 Depth=1
	s_or_b32 exec_lo, exec_lo, s16
.LBB210_329:                            ;   in Loop: Header=BB210_15 Depth=1
	s_delay_alu instid0(SALU_CYCLE_1)
	s_or_b32 exec_lo, exec_lo, s15
	scratch_store_b64 off, v[0:1], s32 offset:652 ; 8-byte Folded Spill
.LBB210_330:                            ;   in Loop: Header=BB210_15 Depth=1
	s_wait_xcnt 0x0
	s_or_b32 exec_lo, exec_lo, s14
	s_delay_alu instid0(SALU_CYCLE_1)
	s_mov_b32 s14, exec_lo
	v_cmpx_lt_u32_e32 0xffffff, v2
	s_cbranch_execz .LBB210_338
; %bb.331:                              ;   in Loop: Header=BB210_15 Depth=1
	v_mov_b64_e32 v[0:1], 0x8000000000000000
	v_lshrrev_b32_e32 v3, 24, v2
	s_mov_b32 s15, exec_lo
	scratch_store_b64 off, v[0:1], s32 offset:396 ; 8-byte Folded Spill
	s_wait_xcnt 0x0
	v_cmpx_ne_u32_e32 0x80, v3
	s_cbranch_execz .LBB210_337
; %bb.332:                              ;   in Loop: Header=BB210_15 Depth=1
	v_mov_b64_e32 v[0:1], 0x7f80000100000000
	v_bfe_u32 v4, v2, 24, 7
	s_mov_b32 s16, exec_lo
	scratch_store_b64 off, v[0:1], s32 offset:396 ; 8-byte Folded Spill
	s_wait_xcnt 0x0
	v_cmpx_ne_u32_e32 0x7f, v4
	s_cbranch_execz .LBB210_336
; %bb.333:                              ;   in Loop: Header=BB210_15 Depth=1
	v_dual_lshrrev_b32 v2, 3, v4 :: v_dual_bitop2_b32 v64, 7, v3 bitop3:0x40
	s_mov_b32 s17, exec_lo
	v_cmpx_gt_u32_e32 8, v4
; %bb.334:                              ;   in Loop: Header=BB210_15 Depth=1
	s_delay_alu instid0(VALU_DEP_2) | instskip(NEXT) | instid1(VALU_DEP_1)
	v_clz_i32_u32_e32 v2, v64
	v_min_u32_e32 v2, 32, v2
	s_delay_alu instid0(VALU_DEP_1) | instskip(NEXT) | instid1(VALU_DEP_1)
	v_subrev_nc_u32_e32 v4, 28, v2
	v_lshlrev_b64_e32 v[4:5], v4, v[64:65]
	s_delay_alu instid0(VALU_DEP_1)
	v_dual_sub_nc_u32 v2, 29, v2 :: v_dual_bitop2_b32 v64, 7, v4 bitop3:0x40
; %bb.335:                              ;   in Loop: Header=BB210_15 Depth=1
	s_or_b32 exec_lo, exec_lo, s17
	s_delay_alu instid0(VALU_DEP_1) | instskip(NEXT) | instid1(VALU_DEP_2)
	v_dual_lshlrev_b32 v3, 24, v3 :: v_dual_lshlrev_b32 v0, 20, v64
	v_lshl_add_u32 v2, v2, 23, 0x3c000000
	s_delay_alu instid0(VALU_DEP_2) | instskip(NEXT) | instid1(VALU_DEP_1)
	v_and_b32_e32 v3, 0x80000000, v3
	v_or3_b32 v1, v0, v3, v2
	v_mov_b32_e32 v0, v65
	scratch_store_b64 off, v[0:1], s32 offset:396 ; 8-byte Folded Spill
.LBB210_336:                            ;   in Loop: Header=BB210_15 Depth=1
	s_wait_xcnt 0x0
	s_or_b32 exec_lo, exec_lo, s16
.LBB210_337:                            ;   in Loop: Header=BB210_15 Depth=1
	s_delay_alu instid0(SALU_CYCLE_1)
	s_or_b32 exec_lo, exec_lo, s15
.LBB210_338:                            ;   in Loop: Header=BB210_15 Depth=1
	s_delay_alu instid0(SALU_CYCLE_1)
	s_or_b32 exec_lo, exec_lo, s14
	flat_load_b32 v2, v[52:53] offset:1032
	v_mov_b64_e32 v[4:5], 0
	s_mov_b32 s14, exec_lo
	scratch_store_b64 off, v[4:5], s32 offset:404 ; 8-byte Folded Spill
	s_wait_xcnt 0x0
	v_mov_b64_e32 v[4:5], 0
	scratch_store_b64 off, v[4:5], s32 offset:660 ; 8-byte Folded Spill
	s_wait_loadcnt_dscnt 0x0
	v_and_b32_e32 v0, 0xff, v2
	s_wait_xcnt 0x0
	s_delay_alu instid0(VALU_DEP_1)
	v_cmpx_ne_u16_e32 0, v0
	s_cbranch_execz .LBB210_346
; %bb.339:                              ;   in Loop: Header=BB210_15 Depth=1
	v_cmp_ne_u16_e64 s1, 0x80, v0
	v_mov_b64_e32 v[0:1], 0x80000000
	s_and_saveexec_b32 s15, s1
	s_cbranch_execz .LBB210_345
; %bb.340:                              ;   in Loop: Header=BB210_15 Depth=1
	v_mov_b64_e32 v[0:1], 0x7f800001
	v_and_b32_e32 v4, 0x7f, v2
	s_mov_b32 s16, exec_lo
	s_delay_alu instid0(VALU_DEP_1)
	v_cmpx_ne_u32_e32 0x7f, v4
	s_cbranch_execz .LBB210_344
; %bb.341:                              ;   in Loop: Header=BB210_15 Depth=1
	v_dual_lshrrev_b32 v3, 3, v4 :: v_dual_bitop2_b32 v64, 7, v2 bitop3:0x40
	s_mov_b32 s17, exec_lo
	v_cmpx_gt_u32_e32 8, v4
; %bb.342:                              ;   in Loop: Header=BB210_15 Depth=1
	s_delay_alu instid0(VALU_DEP_2) | instskip(NEXT) | instid1(VALU_DEP_1)
	v_clz_i32_u32_e32 v3, v64
	v_min_u32_e32 v3, 32, v3
	s_delay_alu instid0(VALU_DEP_1) | instskip(NEXT) | instid1(VALU_DEP_1)
	v_subrev_nc_u32_e32 v4, 28, v3
	v_lshlrev_b64_e32 v[4:5], v4, v[64:65]
	s_delay_alu instid0(VALU_DEP_1)
	v_dual_sub_nc_u32 v3, 29, v3 :: v_dual_bitop2_b32 v64, 7, v4 bitop3:0x40
; %bb.343:                              ;   in Loop: Header=BB210_15 Depth=1
	s_or_b32 exec_lo, exec_lo, s17
	s_delay_alu instid0(VALU_DEP_1) | instskip(NEXT) | instid1(VALU_DEP_2)
	v_dual_lshlrev_b32 v4, 24, v2 :: v_dual_lshlrev_b32 v0, 20, v64
	v_lshl_add_u32 v3, v3, 23, 0x3c000000
	s_delay_alu instid0(VALU_DEP_2) | instskip(NEXT) | instid1(VALU_DEP_1)
	v_and_b32_e32 v4, 0x80000000, v4
	v_or3_b32 v64, v0, v4, v3
	s_delay_alu instid0(VALU_DEP_1)
	v_mov_b64_e32 v[0:1], v[64:65]
.LBB210_344:                            ;   in Loop: Header=BB210_15 Depth=1
	s_or_b32 exec_lo, exec_lo, s16
.LBB210_345:                            ;   in Loop: Header=BB210_15 Depth=1
	s_delay_alu instid0(SALU_CYCLE_1)
	s_or_b32 exec_lo, exec_lo, s15
	scratch_store_b64 off, v[0:1], s32 offset:660 ; 8-byte Folded Spill
.LBB210_346:                            ;   in Loop: Header=BB210_15 Depth=1
	s_wait_xcnt 0x0
	s_or_b32 exec_lo, exec_lo, s14
	v_lshrrev_b16 v0, 8, v2
	s_mov_b32 s14, exec_lo
	s_delay_alu instid0(VALU_DEP_1)
	v_cmpx_ne_u16_e32 0, v0
	s_cbranch_execz .LBB210_354
; %bb.347:                              ;   in Loop: Header=BB210_15 Depth=1
	v_mov_b64_e32 v[4:5], 0x8000000000000000
	s_mov_b32 s15, exec_lo
	scratch_store_b64 off, v[4:5], s32 offset:404 ; 8-byte Folded Spill
	s_wait_xcnt 0x0
	v_cmpx_ne_u16_e32 0x80, v0
	s_cbranch_execz .LBB210_353
; %bb.348:                              ;   in Loop: Header=BB210_15 Depth=1
	v_and_b32_e32 v0, 0xffff, v0
	v_mov_b64_e32 v[6:7], 0x7f80000100000000
	s_mov_b32 s16, exec_lo
	s_delay_alu instid0(VALU_DEP_2)
	v_and_b32_e32 v4, 0x7f, v0
	scratch_store_b64 off, v[6:7], s32 offset:404 ; 8-byte Folded Spill
	s_wait_xcnt 0x0
	v_cmpx_ne_u32_e32 0x7f, v4
	s_cbranch_execz .LBB210_352
; %bb.349:                              ;   in Loop: Header=BB210_15 Depth=1
	v_and_b32_e32 v64, 7, v0
	v_lshrrev_b32_e32 v3, 3, v4
	s_mov_b32 s17, exec_lo
	v_cmpx_gt_u32_e32 8, v4
; %bb.350:                              ;   in Loop: Header=BB210_15 Depth=1
	s_delay_alu instid0(VALU_DEP_3) | instskip(NEXT) | instid1(VALU_DEP_1)
	v_clz_i32_u32_e32 v3, v64
	v_min_u32_e32 v3, 32, v3
	s_delay_alu instid0(VALU_DEP_1) | instskip(NEXT) | instid1(VALU_DEP_1)
	v_subrev_nc_u32_e32 v4, 28, v3
	v_lshlrev_b64_e32 v[4:5], v4, v[64:65]
	s_delay_alu instid0(VALU_DEP_1)
	v_dual_sub_nc_u32 v3, 29, v3 :: v_dual_bitop2_b32 v64, 7, v4 bitop3:0x40
; %bb.351:                              ;   in Loop: Header=BB210_15 Depth=1
	s_or_b32 exec_lo, exec_lo, s17
	s_delay_alu instid0(VALU_DEP_1) | instskip(NEXT) | instid1(VALU_DEP_2)
	v_dual_lshlrev_b32 v4, 16, v2 :: v_dual_lshlrev_b32 v0, 20, v64
	v_lshl_add_u32 v3, v3, 23, 0x3c000000
	s_delay_alu instid0(VALU_DEP_2) | instskip(NEXT) | instid1(VALU_DEP_1)
	v_and_b32_e32 v4, 0x80000000, v4
	v_or3_b32 v1, v0, v4, v3
	v_mov_b32_e32 v0, v65
	scratch_store_b64 off, v[0:1], s32 offset:404 ; 8-byte Folded Spill
.LBB210_352:                            ;   in Loop: Header=BB210_15 Depth=1
	s_wait_xcnt 0x0
	s_or_b32 exec_lo, exec_lo, s16
.LBB210_353:                            ;   in Loop: Header=BB210_15 Depth=1
	s_delay_alu instid0(SALU_CYCLE_1)
	s_or_b32 exec_lo, exec_lo, s15
.LBB210_354:                            ;   in Loop: Header=BB210_15 Depth=1
	s_delay_alu instid0(SALU_CYCLE_1) | instskip(SKIP_3) | instid1(VALU_DEP_1)
	s_or_b32 exec_lo, exec_lo, s14
	v_mov_b64_e32 v[4:5], 0
	v_lshrrev_b32_e32 v3, 16, v2
	s_mov_b32 s14, exec_lo
	v_and_b32_e32 v0, 0xff, v3
	scratch_store_b64 off, v[4:5], s32 offset:412 ; 8-byte Folded Spill
	s_wait_xcnt 0x0
	v_mov_b64_e32 v[4:5], 0
	scratch_store_b64 off, v[4:5], s32 offset:668 ; 8-byte Folded Spill
	s_wait_xcnt 0x0
	v_cmpx_ne_u16_e32 0, v0
	s_cbranch_execz .LBB210_362
; %bb.355:                              ;   in Loop: Header=BB210_15 Depth=1
	v_cmp_ne_u16_e64 s1, 0x80, v0
	v_mov_b64_e32 v[0:1], 0x80000000
	s_and_saveexec_b32 s15, s1
	s_cbranch_execz .LBB210_361
; %bb.356:                              ;   in Loop: Header=BB210_15 Depth=1
	v_mov_b64_e32 v[0:1], 0x7f800001
	v_bfe_u32 v5, v2, 16, 7
	s_mov_b32 s16, exec_lo
	s_delay_alu instid0(VALU_DEP_1)
	v_cmpx_ne_u32_e32 0x7f, v5
	s_cbranch_execz .LBB210_360
; %bb.357:                              ;   in Loop: Header=BB210_15 Depth=1
	v_dual_lshrrev_b32 v4, 3, v5 :: v_dual_bitop2_b32 v64, 7, v3 bitop3:0x40
	s_mov_b32 s17, exec_lo
	v_cmpx_gt_u32_e32 8, v5
; %bb.358:                              ;   in Loop: Header=BB210_15 Depth=1
	s_delay_alu instid0(VALU_DEP_2) | instskip(NEXT) | instid1(VALU_DEP_1)
	v_clz_i32_u32_e32 v4, v64
	v_min_u32_e32 v4, 32, v4
	s_delay_alu instid0(VALU_DEP_1) | instskip(NEXT) | instid1(VALU_DEP_1)
	v_subrev_nc_u32_e32 v5, 28, v4
	v_lshlrev_b64_e32 v[6:7], v5, v[64:65]
	s_delay_alu instid0(VALU_DEP_1)
	v_dual_sub_nc_u32 v4, 29, v4 :: v_dual_bitop2_b32 v64, 7, v6 bitop3:0x40
; %bb.359:                              ;   in Loop: Header=BB210_15 Depth=1
	s_or_b32 exec_lo, exec_lo, s17
	s_delay_alu instid0(VALU_DEP_1) | instskip(NEXT) | instid1(VALU_DEP_2)
	v_dual_lshlrev_b32 v3, 24, v3 :: v_dual_lshlrev_b32 v0, 20, v64
	v_lshl_add_u32 v4, v4, 23, 0x3c000000
	s_delay_alu instid0(VALU_DEP_2) | instskip(NEXT) | instid1(VALU_DEP_1)
	v_and_b32_e32 v3, 0x80000000, v3
	v_or3_b32 v64, v0, v3, v4
	s_delay_alu instid0(VALU_DEP_1)
	v_mov_b64_e32 v[0:1], v[64:65]
.LBB210_360:                            ;   in Loop: Header=BB210_15 Depth=1
	s_or_b32 exec_lo, exec_lo, s16
.LBB210_361:                            ;   in Loop: Header=BB210_15 Depth=1
	s_delay_alu instid0(SALU_CYCLE_1)
	s_or_b32 exec_lo, exec_lo, s15
	scratch_store_b64 off, v[0:1], s32 offset:668 ; 8-byte Folded Spill
.LBB210_362:                            ;   in Loop: Header=BB210_15 Depth=1
	s_wait_xcnt 0x0
	s_or_b32 exec_lo, exec_lo, s14
	s_delay_alu instid0(SALU_CYCLE_1)
	s_mov_b32 s14, exec_lo
	v_cmpx_lt_u32_e32 0xffffff, v2
	s_cbranch_execz .LBB210_370
; %bb.363:                              ;   in Loop: Header=BB210_15 Depth=1
	v_mov_b64_e32 v[0:1], 0x8000000000000000
	v_lshrrev_b32_e32 v3, 24, v2
	s_mov_b32 s15, exec_lo
	scratch_store_b64 off, v[0:1], s32 offset:412 ; 8-byte Folded Spill
	s_wait_xcnt 0x0
	v_cmpx_ne_u32_e32 0x80, v3
	s_cbranch_execz .LBB210_369
; %bb.364:                              ;   in Loop: Header=BB210_15 Depth=1
	v_mov_b64_e32 v[0:1], 0x7f80000100000000
	v_bfe_u32 v4, v2, 24, 7
	s_mov_b32 s16, exec_lo
	scratch_store_b64 off, v[0:1], s32 offset:412 ; 8-byte Folded Spill
	s_wait_xcnt 0x0
	v_cmpx_ne_u32_e32 0x7f, v4
	s_cbranch_execz .LBB210_368
; %bb.365:                              ;   in Loop: Header=BB210_15 Depth=1
	v_dual_lshrrev_b32 v2, 3, v4 :: v_dual_bitop2_b32 v64, 7, v3 bitop3:0x40
	s_mov_b32 s17, exec_lo
	v_cmpx_gt_u32_e32 8, v4
; %bb.366:                              ;   in Loop: Header=BB210_15 Depth=1
	s_delay_alu instid0(VALU_DEP_2) | instskip(NEXT) | instid1(VALU_DEP_1)
	v_clz_i32_u32_e32 v2, v64
	v_min_u32_e32 v2, 32, v2
	s_delay_alu instid0(VALU_DEP_1) | instskip(NEXT) | instid1(VALU_DEP_1)
	v_subrev_nc_u32_e32 v4, 28, v2
	v_lshlrev_b64_e32 v[4:5], v4, v[64:65]
	s_delay_alu instid0(VALU_DEP_1)
	v_dual_sub_nc_u32 v2, 29, v2 :: v_dual_bitop2_b32 v64, 7, v4 bitop3:0x40
; %bb.367:                              ;   in Loop: Header=BB210_15 Depth=1
	s_or_b32 exec_lo, exec_lo, s17
	s_delay_alu instid0(VALU_DEP_1) | instskip(NEXT) | instid1(VALU_DEP_2)
	v_dual_lshlrev_b32 v3, 24, v3 :: v_dual_lshlrev_b32 v0, 20, v64
	v_lshl_add_u32 v2, v2, 23, 0x3c000000
	s_delay_alu instid0(VALU_DEP_2) | instskip(NEXT) | instid1(VALU_DEP_1)
	v_and_b32_e32 v3, 0x80000000, v3
	v_or3_b32 v1, v0, v3, v2
	v_mov_b32_e32 v0, v65
	scratch_store_b64 off, v[0:1], s32 offset:412 ; 8-byte Folded Spill
.LBB210_368:                            ;   in Loop: Header=BB210_15 Depth=1
	s_wait_xcnt 0x0
	s_or_b32 exec_lo, exec_lo, s16
.LBB210_369:                            ;   in Loop: Header=BB210_15 Depth=1
	s_delay_alu instid0(SALU_CYCLE_1)
	s_or_b32 exec_lo, exec_lo, s15
.LBB210_370:                            ;   in Loop: Header=BB210_15 Depth=1
	s_delay_alu instid0(SALU_CYCLE_1)
	s_or_b32 exec_lo, exec_lo, s14
	flat_load_b32 v2, v[52:53] offset:1036
	v_mov_b64_e32 v[4:5], 0
	s_mov_b32 s14, exec_lo
	scratch_store_b64 off, v[4:5], s32 offset:420 ; 8-byte Folded Spill
	s_wait_xcnt 0x0
	v_mov_b64_e32 v[4:5], 0
	scratch_store_b64 off, v[4:5], s32 offset:676 ; 8-byte Folded Spill
	s_wait_loadcnt_dscnt 0x0
	v_and_b32_e32 v0, 0xff, v2
	s_wait_xcnt 0x0
	s_delay_alu instid0(VALU_DEP_1)
	v_cmpx_ne_u16_e32 0, v0
	s_cbranch_execz .LBB210_378
; %bb.371:                              ;   in Loop: Header=BB210_15 Depth=1
	v_cmp_ne_u16_e64 s1, 0x80, v0
	v_mov_b64_e32 v[0:1], 0x80000000
	s_and_saveexec_b32 s15, s1
	s_cbranch_execz .LBB210_377
; %bb.372:                              ;   in Loop: Header=BB210_15 Depth=1
	v_mov_b64_e32 v[0:1], 0x7f800001
	v_and_b32_e32 v4, 0x7f, v2
	s_mov_b32 s16, exec_lo
	s_delay_alu instid0(VALU_DEP_1)
	v_cmpx_ne_u32_e32 0x7f, v4
	s_cbranch_execz .LBB210_376
; %bb.373:                              ;   in Loop: Header=BB210_15 Depth=1
	v_dual_lshrrev_b32 v3, 3, v4 :: v_dual_bitop2_b32 v64, 7, v2 bitop3:0x40
	s_mov_b32 s17, exec_lo
	v_cmpx_gt_u32_e32 8, v4
; %bb.374:                              ;   in Loop: Header=BB210_15 Depth=1
	s_delay_alu instid0(VALU_DEP_2) | instskip(NEXT) | instid1(VALU_DEP_1)
	v_clz_i32_u32_e32 v3, v64
	v_min_u32_e32 v3, 32, v3
	s_delay_alu instid0(VALU_DEP_1) | instskip(NEXT) | instid1(VALU_DEP_1)
	v_subrev_nc_u32_e32 v4, 28, v3
	v_lshlrev_b64_e32 v[4:5], v4, v[64:65]
	s_delay_alu instid0(VALU_DEP_1)
	v_dual_sub_nc_u32 v3, 29, v3 :: v_dual_bitop2_b32 v64, 7, v4 bitop3:0x40
; %bb.375:                              ;   in Loop: Header=BB210_15 Depth=1
	s_or_b32 exec_lo, exec_lo, s17
	s_delay_alu instid0(VALU_DEP_1) | instskip(NEXT) | instid1(VALU_DEP_2)
	v_dual_lshlrev_b32 v4, 24, v2 :: v_dual_lshlrev_b32 v0, 20, v64
	v_lshl_add_u32 v3, v3, 23, 0x3c000000
	s_delay_alu instid0(VALU_DEP_2) | instskip(NEXT) | instid1(VALU_DEP_1)
	v_and_b32_e32 v4, 0x80000000, v4
	v_or3_b32 v64, v0, v4, v3
	s_delay_alu instid0(VALU_DEP_1)
	v_mov_b64_e32 v[0:1], v[64:65]
.LBB210_376:                            ;   in Loop: Header=BB210_15 Depth=1
	s_or_b32 exec_lo, exec_lo, s16
.LBB210_377:                            ;   in Loop: Header=BB210_15 Depth=1
	s_delay_alu instid0(SALU_CYCLE_1)
	s_or_b32 exec_lo, exec_lo, s15
	scratch_store_b64 off, v[0:1], s32 offset:676 ; 8-byte Folded Spill
.LBB210_378:                            ;   in Loop: Header=BB210_15 Depth=1
	s_wait_xcnt 0x0
	s_or_b32 exec_lo, exec_lo, s14
	v_lshrrev_b16 v0, 8, v2
	s_mov_b32 s14, exec_lo
	s_delay_alu instid0(VALU_DEP_1)
	v_cmpx_ne_u16_e32 0, v0
	s_cbranch_execz .LBB210_386
; %bb.379:                              ;   in Loop: Header=BB210_15 Depth=1
	v_mov_b64_e32 v[4:5], 0x8000000000000000
	s_mov_b32 s15, exec_lo
	scratch_store_b64 off, v[4:5], s32 offset:420 ; 8-byte Folded Spill
	s_wait_xcnt 0x0
	v_cmpx_ne_u16_e32 0x80, v0
	s_cbranch_execz .LBB210_385
; %bb.380:                              ;   in Loop: Header=BB210_15 Depth=1
	v_and_b32_e32 v0, 0xffff, v0
	v_mov_b64_e32 v[6:7], 0x7f80000100000000
	s_mov_b32 s16, exec_lo
	s_delay_alu instid0(VALU_DEP_2)
	v_and_b32_e32 v4, 0x7f, v0
	scratch_store_b64 off, v[6:7], s32 offset:420 ; 8-byte Folded Spill
	s_wait_xcnt 0x0
	v_cmpx_ne_u32_e32 0x7f, v4
	s_cbranch_execz .LBB210_384
; %bb.381:                              ;   in Loop: Header=BB210_15 Depth=1
	v_and_b32_e32 v64, 7, v0
	v_lshrrev_b32_e32 v3, 3, v4
	s_mov_b32 s17, exec_lo
	v_cmpx_gt_u32_e32 8, v4
; %bb.382:                              ;   in Loop: Header=BB210_15 Depth=1
	s_delay_alu instid0(VALU_DEP_3) | instskip(NEXT) | instid1(VALU_DEP_1)
	v_clz_i32_u32_e32 v3, v64
	v_min_u32_e32 v3, 32, v3
	s_delay_alu instid0(VALU_DEP_1) | instskip(NEXT) | instid1(VALU_DEP_1)
	v_subrev_nc_u32_e32 v4, 28, v3
	v_lshlrev_b64_e32 v[4:5], v4, v[64:65]
	s_delay_alu instid0(VALU_DEP_1)
	v_dual_sub_nc_u32 v3, 29, v3 :: v_dual_bitop2_b32 v64, 7, v4 bitop3:0x40
; %bb.383:                              ;   in Loop: Header=BB210_15 Depth=1
	s_or_b32 exec_lo, exec_lo, s17
	s_delay_alu instid0(VALU_DEP_1) | instskip(NEXT) | instid1(VALU_DEP_2)
	v_dual_lshlrev_b32 v4, 16, v2 :: v_dual_lshlrev_b32 v0, 20, v64
	v_lshl_add_u32 v3, v3, 23, 0x3c000000
	s_delay_alu instid0(VALU_DEP_2) | instskip(NEXT) | instid1(VALU_DEP_1)
	v_and_b32_e32 v4, 0x80000000, v4
	v_or3_b32 v1, v0, v4, v3
	v_mov_b32_e32 v0, v65
	scratch_store_b64 off, v[0:1], s32 offset:420 ; 8-byte Folded Spill
.LBB210_384:                            ;   in Loop: Header=BB210_15 Depth=1
	s_wait_xcnt 0x0
	s_or_b32 exec_lo, exec_lo, s16
.LBB210_385:                            ;   in Loop: Header=BB210_15 Depth=1
	s_delay_alu instid0(SALU_CYCLE_1)
	s_or_b32 exec_lo, exec_lo, s15
.LBB210_386:                            ;   in Loop: Header=BB210_15 Depth=1
	s_delay_alu instid0(SALU_CYCLE_1) | instskip(SKIP_3) | instid1(VALU_DEP_1)
	s_or_b32 exec_lo, exec_lo, s14
	v_mov_b64_e32 v[4:5], 0
	v_lshrrev_b32_e32 v3, 16, v2
	s_mov_b32 s14, exec_lo
	v_and_b32_e32 v0, 0xff, v3
	scratch_store_b64 off, v[4:5], s32 offset:428 ; 8-byte Folded Spill
	s_wait_xcnt 0x0
	v_mov_b64_e32 v[4:5], 0
	scratch_store_b64 off, v[4:5], s32 offset:684 ; 8-byte Folded Spill
	s_wait_xcnt 0x0
	v_cmpx_ne_u16_e32 0, v0
	s_cbranch_execz .LBB210_394
; %bb.387:                              ;   in Loop: Header=BB210_15 Depth=1
	v_cmp_ne_u16_e64 s1, 0x80, v0
	v_mov_b64_e32 v[0:1], 0x80000000
	s_and_saveexec_b32 s15, s1
	s_cbranch_execz .LBB210_393
; %bb.388:                              ;   in Loop: Header=BB210_15 Depth=1
	v_mov_b64_e32 v[0:1], 0x7f800001
	v_bfe_u32 v5, v2, 16, 7
	s_mov_b32 s16, exec_lo
	s_delay_alu instid0(VALU_DEP_1)
	v_cmpx_ne_u32_e32 0x7f, v5
	s_cbranch_execz .LBB210_392
; %bb.389:                              ;   in Loop: Header=BB210_15 Depth=1
	v_dual_lshrrev_b32 v4, 3, v5 :: v_dual_bitop2_b32 v64, 7, v3 bitop3:0x40
	s_mov_b32 s17, exec_lo
	v_cmpx_gt_u32_e32 8, v5
; %bb.390:                              ;   in Loop: Header=BB210_15 Depth=1
	s_delay_alu instid0(VALU_DEP_2) | instskip(NEXT) | instid1(VALU_DEP_1)
	v_clz_i32_u32_e32 v4, v64
	v_min_u32_e32 v4, 32, v4
	s_delay_alu instid0(VALU_DEP_1) | instskip(NEXT) | instid1(VALU_DEP_1)
	v_subrev_nc_u32_e32 v5, 28, v4
	v_lshlrev_b64_e32 v[6:7], v5, v[64:65]
	s_delay_alu instid0(VALU_DEP_1)
	v_dual_sub_nc_u32 v4, 29, v4 :: v_dual_bitop2_b32 v64, 7, v6 bitop3:0x40
; %bb.391:                              ;   in Loop: Header=BB210_15 Depth=1
	s_or_b32 exec_lo, exec_lo, s17
	s_delay_alu instid0(VALU_DEP_1) | instskip(NEXT) | instid1(VALU_DEP_2)
	v_dual_lshlrev_b32 v3, 24, v3 :: v_dual_lshlrev_b32 v0, 20, v64
	v_lshl_add_u32 v4, v4, 23, 0x3c000000
	s_delay_alu instid0(VALU_DEP_2) | instskip(NEXT) | instid1(VALU_DEP_1)
	v_and_b32_e32 v3, 0x80000000, v3
	v_or3_b32 v64, v0, v3, v4
	s_delay_alu instid0(VALU_DEP_1)
	v_mov_b64_e32 v[0:1], v[64:65]
.LBB210_392:                            ;   in Loop: Header=BB210_15 Depth=1
	s_or_b32 exec_lo, exec_lo, s16
.LBB210_393:                            ;   in Loop: Header=BB210_15 Depth=1
	s_delay_alu instid0(SALU_CYCLE_1)
	s_or_b32 exec_lo, exec_lo, s15
	scratch_store_b64 off, v[0:1], s32 offset:684 ; 8-byte Folded Spill
.LBB210_394:                            ;   in Loop: Header=BB210_15 Depth=1
	s_wait_xcnt 0x0
	s_or_b32 exec_lo, exec_lo, s14
	s_delay_alu instid0(SALU_CYCLE_1)
	s_mov_b32 s14, exec_lo
	v_cmpx_lt_u32_e32 0xffffff, v2
	s_cbranch_execz .LBB210_402
; %bb.395:                              ;   in Loop: Header=BB210_15 Depth=1
	v_mov_b64_e32 v[0:1], 0x8000000000000000
	v_lshrrev_b32_e32 v3, 24, v2
	s_mov_b32 s15, exec_lo
	scratch_store_b64 off, v[0:1], s32 offset:428 ; 8-byte Folded Spill
	s_wait_xcnt 0x0
	v_cmpx_ne_u32_e32 0x80, v3
	s_cbranch_execz .LBB210_401
; %bb.396:                              ;   in Loop: Header=BB210_15 Depth=1
	v_mov_b64_e32 v[0:1], 0x7f80000100000000
	v_bfe_u32 v4, v2, 24, 7
	s_mov_b32 s16, exec_lo
	scratch_store_b64 off, v[0:1], s32 offset:428 ; 8-byte Folded Spill
	s_wait_xcnt 0x0
	v_cmpx_ne_u32_e32 0x7f, v4
	s_cbranch_execz .LBB210_400
; %bb.397:                              ;   in Loop: Header=BB210_15 Depth=1
	v_dual_lshrrev_b32 v2, 3, v4 :: v_dual_bitop2_b32 v64, 7, v3 bitop3:0x40
	s_mov_b32 s17, exec_lo
	v_cmpx_gt_u32_e32 8, v4
; %bb.398:                              ;   in Loop: Header=BB210_15 Depth=1
	s_delay_alu instid0(VALU_DEP_2) | instskip(NEXT) | instid1(VALU_DEP_1)
	v_clz_i32_u32_e32 v2, v64
	v_min_u32_e32 v2, 32, v2
	s_delay_alu instid0(VALU_DEP_1) | instskip(NEXT) | instid1(VALU_DEP_1)
	v_subrev_nc_u32_e32 v4, 28, v2
	v_lshlrev_b64_e32 v[4:5], v4, v[64:65]
	s_delay_alu instid0(VALU_DEP_1)
	v_dual_sub_nc_u32 v2, 29, v2 :: v_dual_bitop2_b32 v64, 7, v4 bitop3:0x40
; %bb.399:                              ;   in Loop: Header=BB210_15 Depth=1
	s_or_b32 exec_lo, exec_lo, s17
	s_delay_alu instid0(VALU_DEP_1) | instskip(NEXT) | instid1(VALU_DEP_2)
	v_dual_lshlrev_b32 v3, 24, v3 :: v_dual_lshlrev_b32 v0, 20, v64
	v_lshl_add_u32 v2, v2, 23, 0x3c000000
	s_delay_alu instid0(VALU_DEP_2) | instskip(NEXT) | instid1(VALU_DEP_1)
	v_and_b32_e32 v3, 0x80000000, v3
	v_or3_b32 v1, v0, v3, v2
	v_mov_b32_e32 v0, v65
	scratch_store_b64 off, v[0:1], s32 offset:428 ; 8-byte Folded Spill
.LBB210_400:                            ;   in Loop: Header=BB210_15 Depth=1
	s_wait_xcnt 0x0
	s_or_b32 exec_lo, exec_lo, s16
.LBB210_401:                            ;   in Loop: Header=BB210_15 Depth=1
	s_delay_alu instid0(SALU_CYCLE_1)
	s_or_b32 exec_lo, exec_lo, s15
.LBB210_402:                            ;   in Loop: Header=BB210_15 Depth=1
	s_delay_alu instid0(SALU_CYCLE_1)
	s_or_b32 exec_lo, exec_lo, s14
	flat_load_b32 v2, v[52:53] offset:1536
	v_mov_b64_e32 v[4:5], 0
	s_mov_b32 s14, exec_lo
	scratch_store_b64 off, v[4:5], s32 offset:436 ; 8-byte Folded Spill
	s_wait_xcnt 0x0
	v_mov_b64_e32 v[4:5], 0
	scratch_store_b64 off, v[4:5], s32 offset:692 ; 8-byte Folded Spill
	s_wait_loadcnt_dscnt 0x0
	v_and_b32_e32 v0, 0xff, v2
	s_wait_xcnt 0x0
	s_delay_alu instid0(VALU_DEP_1)
	v_cmpx_ne_u16_e32 0, v0
	s_cbranch_execz .LBB210_410
; %bb.403:                              ;   in Loop: Header=BB210_15 Depth=1
	v_cmp_ne_u16_e64 s1, 0x80, v0
	v_mov_b64_e32 v[0:1], 0x80000000
	s_and_saveexec_b32 s15, s1
	s_cbranch_execz .LBB210_409
; %bb.404:                              ;   in Loop: Header=BB210_15 Depth=1
	v_mov_b64_e32 v[0:1], 0x7f800001
	v_and_b32_e32 v4, 0x7f, v2
	s_mov_b32 s16, exec_lo
	s_delay_alu instid0(VALU_DEP_1)
	v_cmpx_ne_u32_e32 0x7f, v4
	s_cbranch_execz .LBB210_408
; %bb.405:                              ;   in Loop: Header=BB210_15 Depth=1
	v_dual_lshrrev_b32 v3, 3, v4 :: v_dual_bitop2_b32 v64, 7, v2 bitop3:0x40
	s_mov_b32 s17, exec_lo
	v_cmpx_gt_u32_e32 8, v4
; %bb.406:                              ;   in Loop: Header=BB210_15 Depth=1
	s_delay_alu instid0(VALU_DEP_2) | instskip(NEXT) | instid1(VALU_DEP_1)
	v_clz_i32_u32_e32 v3, v64
	v_min_u32_e32 v3, 32, v3
	s_delay_alu instid0(VALU_DEP_1) | instskip(NEXT) | instid1(VALU_DEP_1)
	v_subrev_nc_u32_e32 v4, 28, v3
	v_lshlrev_b64_e32 v[4:5], v4, v[64:65]
	s_delay_alu instid0(VALU_DEP_1)
	v_dual_sub_nc_u32 v3, 29, v3 :: v_dual_bitop2_b32 v64, 7, v4 bitop3:0x40
; %bb.407:                              ;   in Loop: Header=BB210_15 Depth=1
	s_or_b32 exec_lo, exec_lo, s17
	s_delay_alu instid0(VALU_DEP_1) | instskip(NEXT) | instid1(VALU_DEP_2)
	v_dual_lshlrev_b32 v4, 24, v2 :: v_dual_lshlrev_b32 v0, 20, v64
	v_lshl_add_u32 v3, v3, 23, 0x3c000000
	s_delay_alu instid0(VALU_DEP_2) | instskip(NEXT) | instid1(VALU_DEP_1)
	v_and_b32_e32 v4, 0x80000000, v4
	v_or3_b32 v64, v0, v4, v3
	s_delay_alu instid0(VALU_DEP_1)
	v_mov_b64_e32 v[0:1], v[64:65]
.LBB210_408:                            ;   in Loop: Header=BB210_15 Depth=1
	s_or_b32 exec_lo, exec_lo, s16
.LBB210_409:                            ;   in Loop: Header=BB210_15 Depth=1
	s_delay_alu instid0(SALU_CYCLE_1)
	s_or_b32 exec_lo, exec_lo, s15
	scratch_store_b64 off, v[0:1], s32 offset:692 ; 8-byte Folded Spill
.LBB210_410:                            ;   in Loop: Header=BB210_15 Depth=1
	s_wait_xcnt 0x0
	s_or_b32 exec_lo, exec_lo, s14
	v_lshrrev_b16 v0, 8, v2
	s_mov_b32 s14, exec_lo
	s_delay_alu instid0(VALU_DEP_1)
	v_cmpx_ne_u16_e32 0, v0
	s_cbranch_execz .LBB210_418
; %bb.411:                              ;   in Loop: Header=BB210_15 Depth=1
	v_mov_b64_e32 v[4:5], 0x8000000000000000
	s_mov_b32 s15, exec_lo
	scratch_store_b64 off, v[4:5], s32 offset:436 ; 8-byte Folded Spill
	s_wait_xcnt 0x0
	v_cmpx_ne_u16_e32 0x80, v0
	s_cbranch_execz .LBB210_417
; %bb.412:                              ;   in Loop: Header=BB210_15 Depth=1
	v_and_b32_e32 v0, 0xffff, v0
	v_mov_b64_e32 v[6:7], 0x7f80000100000000
	s_mov_b32 s16, exec_lo
	s_delay_alu instid0(VALU_DEP_2)
	v_and_b32_e32 v4, 0x7f, v0
	scratch_store_b64 off, v[6:7], s32 offset:436 ; 8-byte Folded Spill
	s_wait_xcnt 0x0
	v_cmpx_ne_u32_e32 0x7f, v4
	s_cbranch_execz .LBB210_416
; %bb.413:                              ;   in Loop: Header=BB210_15 Depth=1
	v_and_b32_e32 v64, 7, v0
	v_lshrrev_b32_e32 v3, 3, v4
	s_mov_b32 s17, exec_lo
	v_cmpx_gt_u32_e32 8, v4
; %bb.414:                              ;   in Loop: Header=BB210_15 Depth=1
	s_delay_alu instid0(VALU_DEP_3) | instskip(NEXT) | instid1(VALU_DEP_1)
	v_clz_i32_u32_e32 v3, v64
	v_min_u32_e32 v3, 32, v3
	s_delay_alu instid0(VALU_DEP_1) | instskip(NEXT) | instid1(VALU_DEP_1)
	v_subrev_nc_u32_e32 v4, 28, v3
	v_lshlrev_b64_e32 v[4:5], v4, v[64:65]
	s_delay_alu instid0(VALU_DEP_1)
	v_dual_sub_nc_u32 v3, 29, v3 :: v_dual_bitop2_b32 v64, 7, v4 bitop3:0x40
; %bb.415:                              ;   in Loop: Header=BB210_15 Depth=1
	s_or_b32 exec_lo, exec_lo, s17
	s_delay_alu instid0(VALU_DEP_1) | instskip(NEXT) | instid1(VALU_DEP_2)
	v_dual_lshlrev_b32 v4, 16, v2 :: v_dual_lshlrev_b32 v0, 20, v64
	v_lshl_add_u32 v3, v3, 23, 0x3c000000
	s_delay_alu instid0(VALU_DEP_2) | instskip(NEXT) | instid1(VALU_DEP_1)
	v_and_b32_e32 v4, 0x80000000, v4
	v_or3_b32 v1, v0, v4, v3
	v_mov_b32_e32 v0, v65
	scratch_store_b64 off, v[0:1], s32 offset:436 ; 8-byte Folded Spill
.LBB210_416:                            ;   in Loop: Header=BB210_15 Depth=1
	s_wait_xcnt 0x0
	s_or_b32 exec_lo, exec_lo, s16
.LBB210_417:                            ;   in Loop: Header=BB210_15 Depth=1
	s_delay_alu instid0(SALU_CYCLE_1)
	s_or_b32 exec_lo, exec_lo, s15
.LBB210_418:                            ;   in Loop: Header=BB210_15 Depth=1
	s_delay_alu instid0(SALU_CYCLE_1) | instskip(SKIP_3) | instid1(VALU_DEP_1)
	s_or_b32 exec_lo, exec_lo, s14
	v_mov_b64_e32 v[4:5], 0
	v_lshrrev_b32_e32 v3, 16, v2
	s_mov_b32 s14, exec_lo
	v_and_b32_e32 v0, 0xff, v3
	scratch_store_b64 off, v[4:5], s32 offset:444 ; 8-byte Folded Spill
	s_wait_xcnt 0x0
	v_mov_b64_e32 v[4:5], 0
	scratch_store_b64 off, v[4:5], s32 offset:700 ; 8-byte Folded Spill
	s_wait_xcnt 0x0
	v_cmpx_ne_u16_e32 0, v0
	s_cbranch_execz .LBB210_426
; %bb.419:                              ;   in Loop: Header=BB210_15 Depth=1
	v_cmp_ne_u16_e64 s1, 0x80, v0
	v_mov_b64_e32 v[0:1], 0x80000000
	s_and_saveexec_b32 s15, s1
	s_cbranch_execz .LBB210_425
; %bb.420:                              ;   in Loop: Header=BB210_15 Depth=1
	v_mov_b64_e32 v[0:1], 0x7f800001
	v_bfe_u32 v5, v2, 16, 7
	s_mov_b32 s16, exec_lo
	s_delay_alu instid0(VALU_DEP_1)
	v_cmpx_ne_u32_e32 0x7f, v5
	s_cbranch_execz .LBB210_424
; %bb.421:                              ;   in Loop: Header=BB210_15 Depth=1
	v_dual_lshrrev_b32 v4, 3, v5 :: v_dual_bitop2_b32 v64, 7, v3 bitop3:0x40
	s_mov_b32 s17, exec_lo
	v_cmpx_gt_u32_e32 8, v5
; %bb.422:                              ;   in Loop: Header=BB210_15 Depth=1
	s_delay_alu instid0(VALU_DEP_2) | instskip(NEXT) | instid1(VALU_DEP_1)
	v_clz_i32_u32_e32 v4, v64
	v_min_u32_e32 v4, 32, v4
	s_delay_alu instid0(VALU_DEP_1) | instskip(NEXT) | instid1(VALU_DEP_1)
	v_subrev_nc_u32_e32 v5, 28, v4
	v_lshlrev_b64_e32 v[6:7], v5, v[64:65]
	s_delay_alu instid0(VALU_DEP_1)
	v_dual_sub_nc_u32 v4, 29, v4 :: v_dual_bitop2_b32 v64, 7, v6 bitop3:0x40
; %bb.423:                              ;   in Loop: Header=BB210_15 Depth=1
	s_or_b32 exec_lo, exec_lo, s17
	s_delay_alu instid0(VALU_DEP_1) | instskip(NEXT) | instid1(VALU_DEP_2)
	v_dual_lshlrev_b32 v3, 24, v3 :: v_dual_lshlrev_b32 v0, 20, v64
	v_lshl_add_u32 v4, v4, 23, 0x3c000000
	s_delay_alu instid0(VALU_DEP_2) | instskip(NEXT) | instid1(VALU_DEP_1)
	v_and_b32_e32 v3, 0x80000000, v3
	v_or3_b32 v64, v0, v3, v4
	s_delay_alu instid0(VALU_DEP_1)
	v_mov_b64_e32 v[0:1], v[64:65]
.LBB210_424:                            ;   in Loop: Header=BB210_15 Depth=1
	s_or_b32 exec_lo, exec_lo, s16
.LBB210_425:                            ;   in Loop: Header=BB210_15 Depth=1
	s_delay_alu instid0(SALU_CYCLE_1)
	s_or_b32 exec_lo, exec_lo, s15
	scratch_store_b64 off, v[0:1], s32 offset:700 ; 8-byte Folded Spill
.LBB210_426:                            ;   in Loop: Header=BB210_15 Depth=1
	s_wait_xcnt 0x0
	s_or_b32 exec_lo, exec_lo, s14
	s_delay_alu instid0(SALU_CYCLE_1)
	s_mov_b32 s14, exec_lo
	v_cmpx_lt_u32_e32 0xffffff, v2
	s_cbranch_execz .LBB210_434
; %bb.427:                              ;   in Loop: Header=BB210_15 Depth=1
	v_mov_b64_e32 v[0:1], 0x8000000000000000
	v_lshrrev_b32_e32 v3, 24, v2
	s_mov_b32 s15, exec_lo
	scratch_store_b64 off, v[0:1], s32 offset:444 ; 8-byte Folded Spill
	s_wait_xcnt 0x0
	v_cmpx_ne_u32_e32 0x80, v3
	s_cbranch_execz .LBB210_433
; %bb.428:                              ;   in Loop: Header=BB210_15 Depth=1
	v_mov_b64_e32 v[0:1], 0x7f80000100000000
	v_bfe_u32 v4, v2, 24, 7
	s_mov_b32 s16, exec_lo
	scratch_store_b64 off, v[0:1], s32 offset:444 ; 8-byte Folded Spill
	s_wait_xcnt 0x0
	v_cmpx_ne_u32_e32 0x7f, v4
	s_cbranch_execz .LBB210_432
; %bb.429:                              ;   in Loop: Header=BB210_15 Depth=1
	v_dual_lshrrev_b32 v2, 3, v4 :: v_dual_bitop2_b32 v64, 7, v3 bitop3:0x40
	s_mov_b32 s17, exec_lo
	v_cmpx_gt_u32_e32 8, v4
; %bb.430:                              ;   in Loop: Header=BB210_15 Depth=1
	s_delay_alu instid0(VALU_DEP_2) | instskip(NEXT) | instid1(VALU_DEP_1)
	v_clz_i32_u32_e32 v2, v64
	v_min_u32_e32 v2, 32, v2
	s_delay_alu instid0(VALU_DEP_1) | instskip(NEXT) | instid1(VALU_DEP_1)
	v_subrev_nc_u32_e32 v4, 28, v2
	v_lshlrev_b64_e32 v[4:5], v4, v[64:65]
	s_delay_alu instid0(VALU_DEP_1)
	v_dual_sub_nc_u32 v2, 29, v2 :: v_dual_bitop2_b32 v64, 7, v4 bitop3:0x40
; %bb.431:                              ;   in Loop: Header=BB210_15 Depth=1
	s_or_b32 exec_lo, exec_lo, s17
	s_delay_alu instid0(VALU_DEP_1) | instskip(NEXT) | instid1(VALU_DEP_2)
	v_dual_lshlrev_b32 v3, 24, v3 :: v_dual_lshlrev_b32 v0, 20, v64
	v_lshl_add_u32 v2, v2, 23, 0x3c000000
	s_delay_alu instid0(VALU_DEP_2) | instskip(NEXT) | instid1(VALU_DEP_1)
	v_and_b32_e32 v3, 0x80000000, v3
	v_or3_b32 v1, v0, v3, v2
	v_mov_b32_e32 v0, v65
	scratch_store_b64 off, v[0:1], s32 offset:444 ; 8-byte Folded Spill
.LBB210_432:                            ;   in Loop: Header=BB210_15 Depth=1
	s_wait_xcnt 0x0
	s_or_b32 exec_lo, exec_lo, s16
.LBB210_433:                            ;   in Loop: Header=BB210_15 Depth=1
	s_delay_alu instid0(SALU_CYCLE_1)
	s_or_b32 exec_lo, exec_lo, s15
.LBB210_434:                            ;   in Loop: Header=BB210_15 Depth=1
	s_delay_alu instid0(SALU_CYCLE_1)
	s_or_b32 exec_lo, exec_lo, s14
	flat_load_b32 v2, v[52:53] offset:1540
	v_mov_b64_e32 v[4:5], 0
	s_mov_b32 s14, exec_lo
	scratch_store_b64 off, v[4:5], s32 offset:452 ; 8-byte Folded Spill
	s_wait_xcnt 0x0
	v_mov_b64_e32 v[4:5], 0
	scratch_store_b64 off, v[4:5], s32 offset:708 ; 8-byte Folded Spill
	s_wait_loadcnt_dscnt 0x0
	v_and_b32_e32 v0, 0xff, v2
	s_wait_xcnt 0x0
	s_delay_alu instid0(VALU_DEP_1)
	v_cmpx_ne_u16_e32 0, v0
	s_cbranch_execz .LBB210_442
; %bb.435:                              ;   in Loop: Header=BB210_15 Depth=1
	v_cmp_ne_u16_e64 s1, 0x80, v0
	v_mov_b64_e32 v[0:1], 0x80000000
	s_and_saveexec_b32 s15, s1
	s_cbranch_execz .LBB210_441
; %bb.436:                              ;   in Loop: Header=BB210_15 Depth=1
	v_mov_b64_e32 v[0:1], 0x7f800001
	v_and_b32_e32 v4, 0x7f, v2
	s_mov_b32 s16, exec_lo
	s_delay_alu instid0(VALU_DEP_1)
	v_cmpx_ne_u32_e32 0x7f, v4
	s_cbranch_execz .LBB210_440
; %bb.437:                              ;   in Loop: Header=BB210_15 Depth=1
	v_dual_lshrrev_b32 v3, 3, v4 :: v_dual_bitop2_b32 v64, 7, v2 bitop3:0x40
	s_mov_b32 s17, exec_lo
	v_cmpx_gt_u32_e32 8, v4
; %bb.438:                              ;   in Loop: Header=BB210_15 Depth=1
	s_delay_alu instid0(VALU_DEP_2) | instskip(NEXT) | instid1(VALU_DEP_1)
	v_clz_i32_u32_e32 v3, v64
	v_min_u32_e32 v3, 32, v3
	s_delay_alu instid0(VALU_DEP_1) | instskip(NEXT) | instid1(VALU_DEP_1)
	v_subrev_nc_u32_e32 v4, 28, v3
	v_lshlrev_b64_e32 v[4:5], v4, v[64:65]
	s_delay_alu instid0(VALU_DEP_1)
	v_dual_sub_nc_u32 v3, 29, v3 :: v_dual_bitop2_b32 v64, 7, v4 bitop3:0x40
; %bb.439:                              ;   in Loop: Header=BB210_15 Depth=1
	s_or_b32 exec_lo, exec_lo, s17
	s_delay_alu instid0(VALU_DEP_1) | instskip(NEXT) | instid1(VALU_DEP_2)
	v_dual_lshlrev_b32 v4, 24, v2 :: v_dual_lshlrev_b32 v0, 20, v64
	v_lshl_add_u32 v3, v3, 23, 0x3c000000
	s_delay_alu instid0(VALU_DEP_2) | instskip(NEXT) | instid1(VALU_DEP_1)
	v_and_b32_e32 v4, 0x80000000, v4
	v_or3_b32 v64, v0, v4, v3
	s_delay_alu instid0(VALU_DEP_1)
	v_mov_b64_e32 v[0:1], v[64:65]
.LBB210_440:                            ;   in Loop: Header=BB210_15 Depth=1
	s_or_b32 exec_lo, exec_lo, s16
.LBB210_441:                            ;   in Loop: Header=BB210_15 Depth=1
	s_delay_alu instid0(SALU_CYCLE_1)
	s_or_b32 exec_lo, exec_lo, s15
	scratch_store_b64 off, v[0:1], s32 offset:708 ; 8-byte Folded Spill
.LBB210_442:                            ;   in Loop: Header=BB210_15 Depth=1
	s_wait_xcnt 0x0
	s_or_b32 exec_lo, exec_lo, s14
	v_lshrrev_b16 v0, 8, v2
	s_mov_b32 s14, exec_lo
	s_delay_alu instid0(VALU_DEP_1)
	v_cmpx_ne_u16_e32 0, v0
	s_cbranch_execz .LBB210_450
; %bb.443:                              ;   in Loop: Header=BB210_15 Depth=1
	v_mov_b64_e32 v[4:5], 0x8000000000000000
	s_mov_b32 s15, exec_lo
	scratch_store_b64 off, v[4:5], s32 offset:452 ; 8-byte Folded Spill
	s_wait_xcnt 0x0
	v_cmpx_ne_u16_e32 0x80, v0
	s_cbranch_execz .LBB210_449
; %bb.444:                              ;   in Loop: Header=BB210_15 Depth=1
	v_and_b32_e32 v0, 0xffff, v0
	v_mov_b64_e32 v[6:7], 0x7f80000100000000
	s_mov_b32 s16, exec_lo
	s_delay_alu instid0(VALU_DEP_2)
	v_and_b32_e32 v4, 0x7f, v0
	scratch_store_b64 off, v[6:7], s32 offset:452 ; 8-byte Folded Spill
	s_wait_xcnt 0x0
	v_cmpx_ne_u32_e32 0x7f, v4
	s_cbranch_execz .LBB210_448
; %bb.445:                              ;   in Loop: Header=BB210_15 Depth=1
	v_and_b32_e32 v64, 7, v0
	v_lshrrev_b32_e32 v3, 3, v4
	s_mov_b32 s17, exec_lo
	v_cmpx_gt_u32_e32 8, v4
; %bb.446:                              ;   in Loop: Header=BB210_15 Depth=1
	s_delay_alu instid0(VALU_DEP_3) | instskip(NEXT) | instid1(VALU_DEP_1)
	v_clz_i32_u32_e32 v3, v64
	v_min_u32_e32 v3, 32, v3
	s_delay_alu instid0(VALU_DEP_1) | instskip(NEXT) | instid1(VALU_DEP_1)
	v_subrev_nc_u32_e32 v4, 28, v3
	v_lshlrev_b64_e32 v[4:5], v4, v[64:65]
	s_delay_alu instid0(VALU_DEP_1)
	v_dual_sub_nc_u32 v3, 29, v3 :: v_dual_bitop2_b32 v64, 7, v4 bitop3:0x40
; %bb.447:                              ;   in Loop: Header=BB210_15 Depth=1
	s_or_b32 exec_lo, exec_lo, s17
	s_delay_alu instid0(VALU_DEP_1) | instskip(NEXT) | instid1(VALU_DEP_2)
	v_dual_lshlrev_b32 v4, 16, v2 :: v_dual_lshlrev_b32 v0, 20, v64
	v_lshl_add_u32 v3, v3, 23, 0x3c000000
	s_delay_alu instid0(VALU_DEP_2) | instskip(NEXT) | instid1(VALU_DEP_1)
	v_and_b32_e32 v4, 0x80000000, v4
	v_or3_b32 v1, v0, v4, v3
	v_mov_b32_e32 v0, v65
	scratch_store_b64 off, v[0:1], s32 offset:452 ; 8-byte Folded Spill
.LBB210_448:                            ;   in Loop: Header=BB210_15 Depth=1
	s_wait_xcnt 0x0
	s_or_b32 exec_lo, exec_lo, s16
.LBB210_449:                            ;   in Loop: Header=BB210_15 Depth=1
	s_delay_alu instid0(SALU_CYCLE_1)
	s_or_b32 exec_lo, exec_lo, s15
.LBB210_450:                            ;   in Loop: Header=BB210_15 Depth=1
	s_delay_alu instid0(SALU_CYCLE_1) | instskip(SKIP_3) | instid1(VALU_DEP_1)
	s_or_b32 exec_lo, exec_lo, s14
	v_mov_b64_e32 v[4:5], 0
	v_lshrrev_b32_e32 v3, 16, v2
	s_mov_b32 s14, exec_lo
	v_and_b32_e32 v0, 0xff, v3
	scratch_store_b64 off, v[4:5], s32 offset:460 ; 8-byte Folded Spill
	s_wait_xcnt 0x0
	v_mov_b64_e32 v[4:5], 0
	scratch_store_b64 off, v[4:5], s32 offset:716 ; 8-byte Folded Spill
	s_wait_xcnt 0x0
	v_cmpx_ne_u16_e32 0, v0
	s_cbranch_execz .LBB210_458
; %bb.451:                              ;   in Loop: Header=BB210_15 Depth=1
	v_cmp_ne_u16_e64 s1, 0x80, v0
	v_mov_b64_e32 v[0:1], 0x80000000
	s_and_saveexec_b32 s15, s1
	s_cbranch_execz .LBB210_457
; %bb.452:                              ;   in Loop: Header=BB210_15 Depth=1
	v_mov_b64_e32 v[0:1], 0x7f800001
	v_bfe_u32 v5, v2, 16, 7
	s_mov_b32 s16, exec_lo
	s_delay_alu instid0(VALU_DEP_1)
	v_cmpx_ne_u32_e32 0x7f, v5
	s_cbranch_execz .LBB210_456
; %bb.453:                              ;   in Loop: Header=BB210_15 Depth=1
	v_dual_lshrrev_b32 v4, 3, v5 :: v_dual_bitop2_b32 v64, 7, v3 bitop3:0x40
	s_mov_b32 s17, exec_lo
	v_cmpx_gt_u32_e32 8, v5
; %bb.454:                              ;   in Loop: Header=BB210_15 Depth=1
	s_delay_alu instid0(VALU_DEP_2) | instskip(NEXT) | instid1(VALU_DEP_1)
	v_clz_i32_u32_e32 v4, v64
	v_min_u32_e32 v4, 32, v4
	s_delay_alu instid0(VALU_DEP_1) | instskip(NEXT) | instid1(VALU_DEP_1)
	v_subrev_nc_u32_e32 v5, 28, v4
	v_lshlrev_b64_e32 v[6:7], v5, v[64:65]
	s_delay_alu instid0(VALU_DEP_1)
	v_dual_sub_nc_u32 v4, 29, v4 :: v_dual_bitop2_b32 v64, 7, v6 bitop3:0x40
; %bb.455:                              ;   in Loop: Header=BB210_15 Depth=1
	s_or_b32 exec_lo, exec_lo, s17
	s_delay_alu instid0(VALU_DEP_1) | instskip(NEXT) | instid1(VALU_DEP_2)
	v_dual_lshlrev_b32 v3, 24, v3 :: v_dual_lshlrev_b32 v0, 20, v64
	v_lshl_add_u32 v4, v4, 23, 0x3c000000
	s_delay_alu instid0(VALU_DEP_2) | instskip(NEXT) | instid1(VALU_DEP_1)
	v_and_b32_e32 v3, 0x80000000, v3
	v_or3_b32 v64, v0, v3, v4
	s_delay_alu instid0(VALU_DEP_1)
	v_mov_b64_e32 v[0:1], v[64:65]
.LBB210_456:                            ;   in Loop: Header=BB210_15 Depth=1
	s_or_b32 exec_lo, exec_lo, s16
.LBB210_457:                            ;   in Loop: Header=BB210_15 Depth=1
	s_delay_alu instid0(SALU_CYCLE_1)
	s_or_b32 exec_lo, exec_lo, s15
	scratch_store_b64 off, v[0:1], s32 offset:716 ; 8-byte Folded Spill
.LBB210_458:                            ;   in Loop: Header=BB210_15 Depth=1
	s_wait_xcnt 0x0
	s_or_b32 exec_lo, exec_lo, s14
	s_delay_alu instid0(SALU_CYCLE_1)
	s_mov_b32 s14, exec_lo
	v_cmpx_lt_u32_e32 0xffffff, v2
	s_cbranch_execz .LBB210_466
; %bb.459:                              ;   in Loop: Header=BB210_15 Depth=1
	v_mov_b64_e32 v[0:1], 0x8000000000000000
	v_lshrrev_b32_e32 v3, 24, v2
	s_mov_b32 s15, exec_lo
	scratch_store_b64 off, v[0:1], s32 offset:460 ; 8-byte Folded Spill
	s_wait_xcnt 0x0
	v_cmpx_ne_u32_e32 0x80, v3
	s_cbranch_execz .LBB210_465
; %bb.460:                              ;   in Loop: Header=BB210_15 Depth=1
	v_mov_b64_e32 v[0:1], 0x7f80000100000000
	v_bfe_u32 v4, v2, 24, 7
	s_mov_b32 s16, exec_lo
	scratch_store_b64 off, v[0:1], s32 offset:460 ; 8-byte Folded Spill
	s_wait_xcnt 0x0
	v_cmpx_ne_u32_e32 0x7f, v4
	s_cbranch_execz .LBB210_464
; %bb.461:                              ;   in Loop: Header=BB210_15 Depth=1
	v_dual_lshrrev_b32 v2, 3, v4 :: v_dual_bitop2_b32 v64, 7, v3 bitop3:0x40
	s_mov_b32 s17, exec_lo
	v_cmpx_gt_u32_e32 8, v4
; %bb.462:                              ;   in Loop: Header=BB210_15 Depth=1
	s_delay_alu instid0(VALU_DEP_2) | instskip(NEXT) | instid1(VALU_DEP_1)
	v_clz_i32_u32_e32 v2, v64
	v_min_u32_e32 v2, 32, v2
	s_delay_alu instid0(VALU_DEP_1) | instskip(NEXT) | instid1(VALU_DEP_1)
	v_subrev_nc_u32_e32 v4, 28, v2
	v_lshlrev_b64_e32 v[4:5], v4, v[64:65]
	s_delay_alu instid0(VALU_DEP_1)
	v_dual_sub_nc_u32 v2, 29, v2 :: v_dual_bitop2_b32 v64, 7, v4 bitop3:0x40
; %bb.463:                              ;   in Loop: Header=BB210_15 Depth=1
	s_or_b32 exec_lo, exec_lo, s17
	s_delay_alu instid0(VALU_DEP_1) | instskip(NEXT) | instid1(VALU_DEP_2)
	v_dual_lshlrev_b32 v3, 24, v3 :: v_dual_lshlrev_b32 v0, 20, v64
	v_lshl_add_u32 v2, v2, 23, 0x3c000000
	s_delay_alu instid0(VALU_DEP_2) | instskip(NEXT) | instid1(VALU_DEP_1)
	v_and_b32_e32 v3, 0x80000000, v3
	v_or3_b32 v1, v0, v3, v2
	v_mov_b32_e32 v0, v65
	scratch_store_b64 off, v[0:1], s32 offset:460 ; 8-byte Folded Spill
.LBB210_464:                            ;   in Loop: Header=BB210_15 Depth=1
	s_wait_xcnt 0x0
	s_or_b32 exec_lo, exec_lo, s16
.LBB210_465:                            ;   in Loop: Header=BB210_15 Depth=1
	s_delay_alu instid0(SALU_CYCLE_1)
	s_or_b32 exec_lo, exec_lo, s15
.LBB210_466:                            ;   in Loop: Header=BB210_15 Depth=1
	s_delay_alu instid0(SALU_CYCLE_1)
	s_or_b32 exec_lo, exec_lo, s14
	flat_load_b32 v2, v[52:53] offset:1544
	v_mov_b64_e32 v[4:5], 0
	s_mov_b32 s14, exec_lo
	scratch_store_b64 off, v[4:5], s32 offset:468 ; 8-byte Folded Spill
	s_wait_xcnt 0x0
	v_mov_b64_e32 v[4:5], 0
	scratch_store_b64 off, v[4:5], s32 offset:724 ; 8-byte Folded Spill
	s_wait_loadcnt_dscnt 0x0
	v_and_b32_e32 v0, 0xff, v2
	s_wait_xcnt 0x0
	s_delay_alu instid0(VALU_DEP_1)
	v_cmpx_ne_u16_e32 0, v0
	s_cbranch_execz .LBB210_474
; %bb.467:                              ;   in Loop: Header=BB210_15 Depth=1
	v_cmp_ne_u16_e64 s1, 0x80, v0
	v_mov_b64_e32 v[0:1], 0x80000000
	s_and_saveexec_b32 s15, s1
	s_cbranch_execz .LBB210_473
; %bb.468:                              ;   in Loop: Header=BB210_15 Depth=1
	v_mov_b64_e32 v[0:1], 0x7f800001
	v_and_b32_e32 v4, 0x7f, v2
	s_mov_b32 s16, exec_lo
	s_delay_alu instid0(VALU_DEP_1)
	v_cmpx_ne_u32_e32 0x7f, v4
	s_cbranch_execz .LBB210_472
; %bb.469:                              ;   in Loop: Header=BB210_15 Depth=1
	v_dual_lshrrev_b32 v3, 3, v4 :: v_dual_bitop2_b32 v64, 7, v2 bitop3:0x40
	s_mov_b32 s17, exec_lo
	v_cmpx_gt_u32_e32 8, v4
; %bb.470:                              ;   in Loop: Header=BB210_15 Depth=1
	s_delay_alu instid0(VALU_DEP_2) | instskip(NEXT) | instid1(VALU_DEP_1)
	v_clz_i32_u32_e32 v3, v64
	v_min_u32_e32 v3, 32, v3
	s_delay_alu instid0(VALU_DEP_1) | instskip(NEXT) | instid1(VALU_DEP_1)
	v_subrev_nc_u32_e32 v4, 28, v3
	v_lshlrev_b64_e32 v[4:5], v4, v[64:65]
	s_delay_alu instid0(VALU_DEP_1)
	v_dual_sub_nc_u32 v3, 29, v3 :: v_dual_bitop2_b32 v64, 7, v4 bitop3:0x40
; %bb.471:                              ;   in Loop: Header=BB210_15 Depth=1
	s_or_b32 exec_lo, exec_lo, s17
	s_delay_alu instid0(VALU_DEP_1) | instskip(NEXT) | instid1(VALU_DEP_2)
	v_dual_lshlrev_b32 v4, 24, v2 :: v_dual_lshlrev_b32 v0, 20, v64
	v_lshl_add_u32 v3, v3, 23, 0x3c000000
	s_delay_alu instid0(VALU_DEP_2) | instskip(NEXT) | instid1(VALU_DEP_1)
	v_and_b32_e32 v4, 0x80000000, v4
	v_or3_b32 v64, v0, v4, v3
	s_delay_alu instid0(VALU_DEP_1)
	v_mov_b64_e32 v[0:1], v[64:65]
.LBB210_472:                            ;   in Loop: Header=BB210_15 Depth=1
	s_or_b32 exec_lo, exec_lo, s16
.LBB210_473:                            ;   in Loop: Header=BB210_15 Depth=1
	s_delay_alu instid0(SALU_CYCLE_1)
	s_or_b32 exec_lo, exec_lo, s15
	scratch_store_b64 off, v[0:1], s32 offset:724 ; 8-byte Folded Spill
.LBB210_474:                            ;   in Loop: Header=BB210_15 Depth=1
	s_wait_xcnt 0x0
	s_or_b32 exec_lo, exec_lo, s14
	v_lshrrev_b16 v0, 8, v2
	s_mov_b32 s14, exec_lo
	s_delay_alu instid0(VALU_DEP_1)
	v_cmpx_ne_u16_e32 0, v0
	s_cbranch_execz .LBB210_482
; %bb.475:                              ;   in Loop: Header=BB210_15 Depth=1
	v_mov_b64_e32 v[4:5], 0x8000000000000000
	s_mov_b32 s15, exec_lo
	scratch_store_b64 off, v[4:5], s32 offset:468 ; 8-byte Folded Spill
	s_wait_xcnt 0x0
	v_cmpx_ne_u16_e32 0x80, v0
	s_cbranch_execz .LBB210_481
; %bb.476:                              ;   in Loop: Header=BB210_15 Depth=1
	v_and_b32_e32 v0, 0xffff, v0
	v_mov_b64_e32 v[6:7], 0x7f80000100000000
	s_mov_b32 s16, exec_lo
	s_delay_alu instid0(VALU_DEP_2)
	v_and_b32_e32 v4, 0x7f, v0
	scratch_store_b64 off, v[6:7], s32 offset:468 ; 8-byte Folded Spill
	s_wait_xcnt 0x0
	v_cmpx_ne_u32_e32 0x7f, v4
	s_cbranch_execz .LBB210_480
; %bb.477:                              ;   in Loop: Header=BB210_15 Depth=1
	v_and_b32_e32 v64, 7, v0
	v_lshrrev_b32_e32 v3, 3, v4
	s_mov_b32 s17, exec_lo
	v_cmpx_gt_u32_e32 8, v4
; %bb.478:                              ;   in Loop: Header=BB210_15 Depth=1
	s_delay_alu instid0(VALU_DEP_3) | instskip(NEXT) | instid1(VALU_DEP_1)
	v_clz_i32_u32_e32 v3, v64
	v_min_u32_e32 v3, 32, v3
	s_delay_alu instid0(VALU_DEP_1) | instskip(NEXT) | instid1(VALU_DEP_1)
	v_subrev_nc_u32_e32 v4, 28, v3
	v_lshlrev_b64_e32 v[4:5], v4, v[64:65]
	s_delay_alu instid0(VALU_DEP_1)
	v_dual_sub_nc_u32 v3, 29, v3 :: v_dual_bitop2_b32 v64, 7, v4 bitop3:0x40
; %bb.479:                              ;   in Loop: Header=BB210_15 Depth=1
	s_or_b32 exec_lo, exec_lo, s17
	s_delay_alu instid0(VALU_DEP_1) | instskip(NEXT) | instid1(VALU_DEP_2)
	v_dual_lshlrev_b32 v4, 16, v2 :: v_dual_lshlrev_b32 v0, 20, v64
	v_lshl_add_u32 v3, v3, 23, 0x3c000000
	s_delay_alu instid0(VALU_DEP_2) | instskip(NEXT) | instid1(VALU_DEP_1)
	v_and_b32_e32 v4, 0x80000000, v4
	v_or3_b32 v1, v0, v4, v3
	v_mov_b32_e32 v0, v65
	scratch_store_b64 off, v[0:1], s32 offset:468 ; 8-byte Folded Spill
.LBB210_480:                            ;   in Loop: Header=BB210_15 Depth=1
	s_wait_xcnt 0x0
	s_or_b32 exec_lo, exec_lo, s16
.LBB210_481:                            ;   in Loop: Header=BB210_15 Depth=1
	s_delay_alu instid0(SALU_CYCLE_1)
	s_or_b32 exec_lo, exec_lo, s15
.LBB210_482:                            ;   in Loop: Header=BB210_15 Depth=1
	s_delay_alu instid0(SALU_CYCLE_1) | instskip(SKIP_3) | instid1(VALU_DEP_1)
	s_or_b32 exec_lo, exec_lo, s14
	v_mov_b64_e32 v[4:5], 0
	v_lshrrev_b32_e32 v3, 16, v2
	s_mov_b32 s14, exec_lo
	v_and_b32_e32 v0, 0xff, v3
	scratch_store_b64 off, v[4:5], s32 offset:476 ; 8-byte Folded Spill
	s_wait_xcnt 0x0
	v_mov_b64_e32 v[4:5], 0
	scratch_store_b64 off, v[4:5], s32 offset:732 ; 8-byte Folded Spill
	s_wait_xcnt 0x0
	v_cmpx_ne_u16_e32 0, v0
	s_cbranch_execz .LBB210_490
; %bb.483:                              ;   in Loop: Header=BB210_15 Depth=1
	v_cmp_ne_u16_e64 s1, 0x80, v0
	v_mov_b64_e32 v[0:1], 0x80000000
	s_and_saveexec_b32 s15, s1
	s_cbranch_execz .LBB210_489
; %bb.484:                              ;   in Loop: Header=BB210_15 Depth=1
	v_mov_b64_e32 v[0:1], 0x7f800001
	v_bfe_u32 v5, v2, 16, 7
	s_mov_b32 s16, exec_lo
	s_delay_alu instid0(VALU_DEP_1)
	v_cmpx_ne_u32_e32 0x7f, v5
	s_cbranch_execz .LBB210_488
; %bb.485:                              ;   in Loop: Header=BB210_15 Depth=1
	v_dual_lshrrev_b32 v4, 3, v5 :: v_dual_bitop2_b32 v64, 7, v3 bitop3:0x40
	s_mov_b32 s17, exec_lo
	v_cmpx_gt_u32_e32 8, v5
; %bb.486:                              ;   in Loop: Header=BB210_15 Depth=1
	s_delay_alu instid0(VALU_DEP_2) | instskip(NEXT) | instid1(VALU_DEP_1)
	v_clz_i32_u32_e32 v4, v64
	v_min_u32_e32 v4, 32, v4
	s_delay_alu instid0(VALU_DEP_1) | instskip(NEXT) | instid1(VALU_DEP_1)
	v_subrev_nc_u32_e32 v5, 28, v4
	v_lshlrev_b64_e32 v[6:7], v5, v[64:65]
	s_delay_alu instid0(VALU_DEP_1)
	v_dual_sub_nc_u32 v4, 29, v4 :: v_dual_bitop2_b32 v64, 7, v6 bitop3:0x40
; %bb.487:                              ;   in Loop: Header=BB210_15 Depth=1
	s_or_b32 exec_lo, exec_lo, s17
	s_delay_alu instid0(VALU_DEP_1) | instskip(NEXT) | instid1(VALU_DEP_2)
	v_dual_lshlrev_b32 v3, 24, v3 :: v_dual_lshlrev_b32 v0, 20, v64
	v_lshl_add_u32 v4, v4, 23, 0x3c000000
	s_delay_alu instid0(VALU_DEP_2) | instskip(NEXT) | instid1(VALU_DEP_1)
	v_and_b32_e32 v3, 0x80000000, v3
	v_or3_b32 v64, v0, v3, v4
	s_delay_alu instid0(VALU_DEP_1)
	v_mov_b64_e32 v[0:1], v[64:65]
.LBB210_488:                            ;   in Loop: Header=BB210_15 Depth=1
	s_or_b32 exec_lo, exec_lo, s16
.LBB210_489:                            ;   in Loop: Header=BB210_15 Depth=1
	s_delay_alu instid0(SALU_CYCLE_1)
	s_or_b32 exec_lo, exec_lo, s15
	scratch_store_b64 off, v[0:1], s32 offset:732 ; 8-byte Folded Spill
.LBB210_490:                            ;   in Loop: Header=BB210_15 Depth=1
	s_wait_xcnt 0x0
	s_or_b32 exec_lo, exec_lo, s14
	s_delay_alu instid0(SALU_CYCLE_1)
	s_mov_b32 s14, exec_lo
	v_cmpx_lt_u32_e32 0xffffff, v2
	s_cbranch_execz .LBB210_498
; %bb.491:                              ;   in Loop: Header=BB210_15 Depth=1
	v_mov_b64_e32 v[0:1], 0x8000000000000000
	v_lshrrev_b32_e32 v3, 24, v2
	s_mov_b32 s15, exec_lo
	scratch_store_b64 off, v[0:1], s32 offset:476 ; 8-byte Folded Spill
	s_wait_xcnt 0x0
	v_cmpx_ne_u32_e32 0x80, v3
	s_cbranch_execz .LBB210_497
; %bb.492:                              ;   in Loop: Header=BB210_15 Depth=1
	v_mov_b64_e32 v[0:1], 0x7f80000100000000
	v_bfe_u32 v4, v2, 24, 7
	s_mov_b32 s16, exec_lo
	scratch_store_b64 off, v[0:1], s32 offset:476 ; 8-byte Folded Spill
	s_wait_xcnt 0x0
	v_cmpx_ne_u32_e32 0x7f, v4
	s_cbranch_execz .LBB210_496
; %bb.493:                              ;   in Loop: Header=BB210_15 Depth=1
	v_dual_lshrrev_b32 v2, 3, v4 :: v_dual_bitop2_b32 v64, 7, v3 bitop3:0x40
	s_mov_b32 s17, exec_lo
	v_cmpx_gt_u32_e32 8, v4
; %bb.494:                              ;   in Loop: Header=BB210_15 Depth=1
	s_delay_alu instid0(VALU_DEP_2) | instskip(NEXT) | instid1(VALU_DEP_1)
	v_clz_i32_u32_e32 v2, v64
	v_min_u32_e32 v2, 32, v2
	s_delay_alu instid0(VALU_DEP_1) | instskip(NEXT) | instid1(VALU_DEP_1)
	v_subrev_nc_u32_e32 v4, 28, v2
	v_lshlrev_b64_e32 v[4:5], v4, v[64:65]
	s_delay_alu instid0(VALU_DEP_1)
	v_dual_sub_nc_u32 v2, 29, v2 :: v_dual_bitop2_b32 v64, 7, v4 bitop3:0x40
; %bb.495:                              ;   in Loop: Header=BB210_15 Depth=1
	s_or_b32 exec_lo, exec_lo, s17
	s_delay_alu instid0(VALU_DEP_1) | instskip(NEXT) | instid1(VALU_DEP_2)
	v_dual_lshlrev_b32 v3, 24, v3 :: v_dual_lshlrev_b32 v0, 20, v64
	v_lshl_add_u32 v2, v2, 23, 0x3c000000
	s_delay_alu instid0(VALU_DEP_2) | instskip(NEXT) | instid1(VALU_DEP_1)
	v_and_b32_e32 v3, 0x80000000, v3
	v_or3_b32 v1, v0, v3, v2
	v_mov_b32_e32 v0, v65
	scratch_store_b64 off, v[0:1], s32 offset:476 ; 8-byte Folded Spill
.LBB210_496:                            ;   in Loop: Header=BB210_15 Depth=1
	s_wait_xcnt 0x0
	s_or_b32 exec_lo, exec_lo, s16
.LBB210_497:                            ;   in Loop: Header=BB210_15 Depth=1
	s_delay_alu instid0(SALU_CYCLE_1)
	s_or_b32 exec_lo, exec_lo, s15
.LBB210_498:                            ;   in Loop: Header=BB210_15 Depth=1
	s_delay_alu instid0(SALU_CYCLE_1)
	s_or_b32 exec_lo, exec_lo, s14
	flat_load_b32 v2, v[52:53] offset:1548
	v_mov_b64_e32 v[4:5], 0
	s_mov_b32 s14, exec_lo
	scratch_store_b64 off, v[4:5], s32 offset:484 ; 8-byte Folded Spill
	s_wait_xcnt 0x0
	v_mov_b64_e32 v[4:5], 0
	scratch_store_b64 off, v[4:5], s32 offset:740 ; 8-byte Folded Spill
	s_wait_loadcnt_dscnt 0x0
	v_and_b32_e32 v0, 0xff, v2
	s_wait_xcnt 0x0
	s_delay_alu instid0(VALU_DEP_1)
	v_cmpx_ne_u16_e32 0, v0
	s_cbranch_execz .LBB210_506
; %bb.499:                              ;   in Loop: Header=BB210_15 Depth=1
	v_cmp_ne_u16_e64 s1, 0x80, v0
	v_mov_b64_e32 v[0:1], 0x80000000
	s_and_saveexec_b32 s15, s1
	s_cbranch_execz .LBB210_505
; %bb.500:                              ;   in Loop: Header=BB210_15 Depth=1
	v_mov_b64_e32 v[0:1], 0x7f800001
	v_and_b32_e32 v4, 0x7f, v2
	s_mov_b32 s16, exec_lo
	s_delay_alu instid0(VALU_DEP_1)
	v_cmpx_ne_u32_e32 0x7f, v4
	s_cbranch_execz .LBB210_504
; %bb.501:                              ;   in Loop: Header=BB210_15 Depth=1
	v_dual_lshrrev_b32 v3, 3, v4 :: v_dual_bitop2_b32 v64, 7, v2 bitop3:0x40
	s_mov_b32 s17, exec_lo
	v_cmpx_gt_u32_e32 8, v4
; %bb.502:                              ;   in Loop: Header=BB210_15 Depth=1
	s_delay_alu instid0(VALU_DEP_2) | instskip(NEXT) | instid1(VALU_DEP_1)
	v_clz_i32_u32_e32 v3, v64
	v_min_u32_e32 v3, 32, v3
	s_delay_alu instid0(VALU_DEP_1) | instskip(NEXT) | instid1(VALU_DEP_1)
	v_subrev_nc_u32_e32 v4, 28, v3
	v_lshlrev_b64_e32 v[4:5], v4, v[64:65]
	s_delay_alu instid0(VALU_DEP_1)
	v_dual_sub_nc_u32 v3, 29, v3 :: v_dual_bitop2_b32 v64, 7, v4 bitop3:0x40
; %bb.503:                              ;   in Loop: Header=BB210_15 Depth=1
	s_or_b32 exec_lo, exec_lo, s17
	s_delay_alu instid0(VALU_DEP_1) | instskip(NEXT) | instid1(VALU_DEP_2)
	v_dual_lshlrev_b32 v4, 24, v2 :: v_dual_lshlrev_b32 v0, 20, v64
	v_lshl_add_u32 v3, v3, 23, 0x3c000000
	s_delay_alu instid0(VALU_DEP_2) | instskip(NEXT) | instid1(VALU_DEP_1)
	v_and_b32_e32 v4, 0x80000000, v4
	v_or3_b32 v64, v0, v4, v3
	s_delay_alu instid0(VALU_DEP_1)
	v_mov_b64_e32 v[0:1], v[64:65]
.LBB210_504:                            ;   in Loop: Header=BB210_15 Depth=1
	s_or_b32 exec_lo, exec_lo, s16
.LBB210_505:                            ;   in Loop: Header=BB210_15 Depth=1
	s_delay_alu instid0(SALU_CYCLE_1)
	s_or_b32 exec_lo, exec_lo, s15
	scratch_store_b64 off, v[0:1], s32 offset:740 ; 8-byte Folded Spill
.LBB210_506:                            ;   in Loop: Header=BB210_15 Depth=1
	s_wait_xcnt 0x0
	s_or_b32 exec_lo, exec_lo, s14
	v_lshrrev_b16 v0, 8, v2
	s_mov_b32 s14, exec_lo
	s_delay_alu instid0(VALU_DEP_1)
	v_cmpx_ne_u16_e32 0, v0
	s_cbranch_execz .LBB210_514
; %bb.507:                              ;   in Loop: Header=BB210_15 Depth=1
	v_mov_b64_e32 v[4:5], 0x8000000000000000
	s_mov_b32 s15, exec_lo
	scratch_store_b64 off, v[4:5], s32 offset:484 ; 8-byte Folded Spill
	s_wait_xcnt 0x0
	v_cmpx_ne_u16_e32 0x80, v0
	s_cbranch_execz .LBB210_513
; %bb.508:                              ;   in Loop: Header=BB210_15 Depth=1
	v_and_b32_e32 v0, 0xffff, v0
	v_mov_b64_e32 v[6:7], 0x7f80000100000000
	s_mov_b32 s16, exec_lo
	s_delay_alu instid0(VALU_DEP_2)
	v_and_b32_e32 v4, 0x7f, v0
	scratch_store_b64 off, v[6:7], s32 offset:484 ; 8-byte Folded Spill
	s_wait_xcnt 0x0
	v_cmpx_ne_u32_e32 0x7f, v4
	s_cbranch_execz .LBB210_512
; %bb.509:                              ;   in Loop: Header=BB210_15 Depth=1
	v_and_b32_e32 v64, 7, v0
	v_lshrrev_b32_e32 v3, 3, v4
	s_mov_b32 s17, exec_lo
	v_cmpx_gt_u32_e32 8, v4
; %bb.510:                              ;   in Loop: Header=BB210_15 Depth=1
	s_delay_alu instid0(VALU_DEP_3) | instskip(NEXT) | instid1(VALU_DEP_1)
	v_clz_i32_u32_e32 v3, v64
	v_min_u32_e32 v3, 32, v3
	s_delay_alu instid0(VALU_DEP_1) | instskip(NEXT) | instid1(VALU_DEP_1)
	v_subrev_nc_u32_e32 v4, 28, v3
	v_lshlrev_b64_e32 v[4:5], v4, v[64:65]
	s_delay_alu instid0(VALU_DEP_1)
	v_dual_sub_nc_u32 v3, 29, v3 :: v_dual_bitop2_b32 v64, 7, v4 bitop3:0x40
; %bb.511:                              ;   in Loop: Header=BB210_15 Depth=1
	s_or_b32 exec_lo, exec_lo, s17
	s_delay_alu instid0(VALU_DEP_1) | instskip(NEXT) | instid1(VALU_DEP_2)
	v_dual_lshlrev_b32 v4, 16, v2 :: v_dual_lshlrev_b32 v0, 20, v64
	v_lshl_add_u32 v3, v3, 23, 0x3c000000
	s_delay_alu instid0(VALU_DEP_2) | instskip(NEXT) | instid1(VALU_DEP_1)
	v_and_b32_e32 v4, 0x80000000, v4
	v_or3_b32 v1, v0, v4, v3
	v_mov_b32_e32 v0, v65
	scratch_store_b64 off, v[0:1], s32 offset:484 ; 8-byte Folded Spill
.LBB210_512:                            ;   in Loop: Header=BB210_15 Depth=1
	s_wait_xcnt 0x0
	s_or_b32 exec_lo, exec_lo, s16
.LBB210_513:                            ;   in Loop: Header=BB210_15 Depth=1
	s_delay_alu instid0(SALU_CYCLE_1)
	s_or_b32 exec_lo, exec_lo, s15
.LBB210_514:                            ;   in Loop: Header=BB210_15 Depth=1
	s_delay_alu instid0(SALU_CYCLE_1) | instskip(SKIP_3) | instid1(VALU_DEP_1)
	s_or_b32 exec_lo, exec_lo, s14
	v_mov_b64_e32 v[4:5], 0
	v_lshrrev_b32_e32 v3, 16, v2
	s_mov_b32 s14, exec_lo
	v_and_b32_e32 v0, 0xff, v3
	scratch_store_b64 off, v[4:5], s32 offset:492 ; 8-byte Folded Spill
	s_wait_xcnt 0x0
	v_mov_b64_e32 v[4:5], 0
	scratch_store_b64 off, v[4:5], s32 offset:748 ; 8-byte Folded Spill
	s_wait_xcnt 0x0
	v_cmpx_ne_u16_e32 0, v0
	s_cbranch_execz .LBB210_522
; %bb.515:                              ;   in Loop: Header=BB210_15 Depth=1
	v_cmp_ne_u16_e64 s1, 0x80, v0
	v_mov_b64_e32 v[0:1], 0x80000000
	s_and_saveexec_b32 s15, s1
	s_cbranch_execz .LBB210_521
; %bb.516:                              ;   in Loop: Header=BB210_15 Depth=1
	v_mov_b64_e32 v[0:1], 0x7f800001
	v_bfe_u32 v5, v2, 16, 7
	s_mov_b32 s16, exec_lo
	s_delay_alu instid0(VALU_DEP_1)
	v_cmpx_ne_u32_e32 0x7f, v5
	s_cbranch_execz .LBB210_520
; %bb.517:                              ;   in Loop: Header=BB210_15 Depth=1
	v_dual_lshrrev_b32 v4, 3, v5 :: v_dual_bitop2_b32 v64, 7, v3 bitop3:0x40
	s_mov_b32 s17, exec_lo
	v_cmpx_gt_u32_e32 8, v5
; %bb.518:                              ;   in Loop: Header=BB210_15 Depth=1
	s_delay_alu instid0(VALU_DEP_2) | instskip(NEXT) | instid1(VALU_DEP_1)
	v_clz_i32_u32_e32 v4, v64
	v_min_u32_e32 v4, 32, v4
	s_delay_alu instid0(VALU_DEP_1) | instskip(NEXT) | instid1(VALU_DEP_1)
	v_subrev_nc_u32_e32 v5, 28, v4
	v_lshlrev_b64_e32 v[6:7], v5, v[64:65]
	s_delay_alu instid0(VALU_DEP_1)
	v_dual_sub_nc_u32 v4, 29, v4 :: v_dual_bitop2_b32 v64, 7, v6 bitop3:0x40
; %bb.519:                              ;   in Loop: Header=BB210_15 Depth=1
	s_or_b32 exec_lo, exec_lo, s17
	s_delay_alu instid0(VALU_DEP_1) | instskip(NEXT) | instid1(VALU_DEP_2)
	v_dual_lshlrev_b32 v3, 24, v3 :: v_dual_lshlrev_b32 v0, 20, v64
	v_lshl_add_u32 v4, v4, 23, 0x3c000000
	s_delay_alu instid0(VALU_DEP_2) | instskip(NEXT) | instid1(VALU_DEP_1)
	v_and_b32_e32 v3, 0x80000000, v3
	v_or3_b32 v64, v0, v3, v4
	s_delay_alu instid0(VALU_DEP_1)
	v_mov_b64_e32 v[0:1], v[64:65]
.LBB210_520:                            ;   in Loop: Header=BB210_15 Depth=1
	s_or_b32 exec_lo, exec_lo, s16
.LBB210_521:                            ;   in Loop: Header=BB210_15 Depth=1
	s_delay_alu instid0(SALU_CYCLE_1)
	s_or_b32 exec_lo, exec_lo, s15
	scratch_store_b64 off, v[0:1], s32 offset:748 ; 8-byte Folded Spill
.LBB210_522:                            ;   in Loop: Header=BB210_15 Depth=1
	s_wait_xcnt 0x0
	s_or_b32 exec_lo, exec_lo, s14
	s_delay_alu instid0(SALU_CYCLE_1)
	s_mov_b32 s14, exec_lo
	v_cmpx_lt_u32_e32 0xffffff, v2
	s_cbranch_execz .LBB210_530
; %bb.523:                              ;   in Loop: Header=BB210_15 Depth=1
	v_mov_b64_e32 v[0:1], 0x8000000000000000
	v_lshrrev_b32_e32 v3, 24, v2
	s_mov_b32 s15, exec_lo
	scratch_store_b64 off, v[0:1], s32 offset:492 ; 8-byte Folded Spill
	s_wait_xcnt 0x0
	v_cmpx_ne_u32_e32 0x80, v3
	s_cbranch_execz .LBB210_529
; %bb.524:                              ;   in Loop: Header=BB210_15 Depth=1
	v_mov_b64_e32 v[0:1], 0x7f80000100000000
	v_bfe_u32 v4, v2, 24, 7
	s_mov_b32 s16, exec_lo
	scratch_store_b64 off, v[0:1], s32 offset:492 ; 8-byte Folded Spill
	s_wait_xcnt 0x0
	v_cmpx_ne_u32_e32 0x7f, v4
	s_cbranch_execz .LBB210_528
; %bb.525:                              ;   in Loop: Header=BB210_15 Depth=1
	v_dual_lshrrev_b32 v2, 3, v4 :: v_dual_bitop2_b32 v64, 7, v3 bitop3:0x40
	s_mov_b32 s17, exec_lo
	v_cmpx_gt_u32_e32 8, v4
; %bb.526:                              ;   in Loop: Header=BB210_15 Depth=1
	s_delay_alu instid0(VALU_DEP_2) | instskip(NEXT) | instid1(VALU_DEP_1)
	v_clz_i32_u32_e32 v2, v64
	v_min_u32_e32 v2, 32, v2
	s_delay_alu instid0(VALU_DEP_1) | instskip(NEXT) | instid1(VALU_DEP_1)
	v_subrev_nc_u32_e32 v4, 28, v2
	v_lshlrev_b64_e32 v[4:5], v4, v[64:65]
	s_delay_alu instid0(VALU_DEP_1)
	v_dual_sub_nc_u32 v2, 29, v2 :: v_dual_bitop2_b32 v64, 7, v4 bitop3:0x40
; %bb.527:                              ;   in Loop: Header=BB210_15 Depth=1
	s_or_b32 exec_lo, exec_lo, s17
	s_delay_alu instid0(VALU_DEP_1) | instskip(NEXT) | instid1(VALU_DEP_2)
	v_dual_lshlrev_b32 v3, 24, v3 :: v_dual_lshlrev_b32 v0, 20, v64
	v_lshl_add_u32 v2, v2, 23, 0x3c000000
	s_delay_alu instid0(VALU_DEP_2) | instskip(NEXT) | instid1(VALU_DEP_1)
	v_and_b32_e32 v3, 0x80000000, v3
	v_or3_b32 v1, v0, v3, v2
	v_mov_b32_e32 v0, v65
	scratch_store_b64 off, v[0:1], s32 offset:492 ; 8-byte Folded Spill
.LBB210_528:                            ;   in Loop: Header=BB210_15 Depth=1
	s_wait_xcnt 0x0
	s_or_b32 exec_lo, exec_lo, s16
.LBB210_529:                            ;   in Loop: Header=BB210_15 Depth=1
	s_delay_alu instid0(SALU_CYCLE_1)
	s_or_b32 exec_lo, exec_lo, s15
.LBB210_530:                            ;   in Loop: Header=BB210_15 Depth=1
	s_delay_alu instid0(SALU_CYCLE_1)
	s_or_b32 exec_lo, exec_lo, s14
	flat_load_b32 v2, v[52:53] offset:2048
	v_mov_b64_e32 v[36:37], 0
	v_mov_b64_e32 v[4:5], 0
	s_mov_b32 s14, exec_lo
	scratch_store_b64 off, v[4:5], s32 offset:500 ; 8-byte Folded Spill
	s_wait_loadcnt_dscnt 0x0
	v_and_b32_e32 v0, 0xff, v2
	s_wait_xcnt 0x0
	s_delay_alu instid0(VALU_DEP_1)
	v_cmpx_ne_u16_e32 0, v0
	s_cbranch_execz .LBB210_538
; %bb.531:                              ;   in Loop: Header=BB210_15 Depth=1
	v_cmp_ne_u16_e64 s1, 0x80, v0
	v_mov_b64_e32 v[0:1], 0x80000000
	scratch_store_b64 off, v[0:1], s32 offset:500 ; 8-byte Folded Spill
	s_wait_xcnt 0x0
	s_and_saveexec_b32 s15, s1
	s_cbranch_execz .LBB210_537
; %bb.532:                              ;   in Loop: Header=BB210_15 Depth=1
	v_mov_b64_e32 v[0:1], 0x7f800001
	v_and_b32_e32 v4, 0x7f, v2
	s_mov_b32 s16, exec_lo
	scratch_store_b64 off, v[0:1], s32 offset:500 ; 8-byte Folded Spill
	s_wait_xcnt 0x0
	v_cmpx_ne_u32_e32 0x7f, v4
	s_cbranch_execz .LBB210_536
; %bb.533:                              ;   in Loop: Header=BB210_15 Depth=1
	v_dual_lshrrev_b32 v3, 3, v4 :: v_dual_bitop2_b32 v64, 7, v2 bitop3:0x40
	s_mov_b32 s17, exec_lo
	v_cmpx_gt_u32_e32 8, v4
; %bb.534:                              ;   in Loop: Header=BB210_15 Depth=1
	s_delay_alu instid0(VALU_DEP_2) | instskip(NEXT) | instid1(VALU_DEP_1)
	v_clz_i32_u32_e32 v3, v64
	v_min_u32_e32 v3, 32, v3
	s_delay_alu instid0(VALU_DEP_1) | instskip(NEXT) | instid1(VALU_DEP_1)
	v_subrev_nc_u32_e32 v4, 28, v3
	v_lshlrev_b64_e32 v[4:5], v4, v[64:65]
	s_delay_alu instid0(VALU_DEP_1)
	v_dual_sub_nc_u32 v3, 29, v3 :: v_dual_bitop2_b32 v64, 7, v4 bitop3:0x40
; %bb.535:                              ;   in Loop: Header=BB210_15 Depth=1
	s_or_b32 exec_lo, exec_lo, s17
	s_delay_alu instid0(VALU_DEP_1) | instskip(NEXT) | instid1(VALU_DEP_2)
	v_dual_lshlrev_b32 v4, 24, v2 :: v_dual_lshlrev_b32 v0, 20, v64
	v_lshl_add_u32 v3, v3, 23, 0x3c000000
	s_delay_alu instid0(VALU_DEP_2) | instskip(NEXT) | instid1(VALU_DEP_1)
	v_and_b32_e32 v4, 0x80000000, v4
	v_or3_b32 v64, v0, v4, v3
	scratch_store_b64 off, v[64:65], s32 offset:500 ; 8-byte Folded Spill
.LBB210_536:                            ;   in Loop: Header=BB210_15 Depth=1
	s_wait_xcnt 0x0
	s_or_b32 exec_lo, exec_lo, s16
.LBB210_537:                            ;   in Loop: Header=BB210_15 Depth=1
	s_delay_alu instid0(SALU_CYCLE_1)
	s_or_b32 exec_lo, exec_lo, s15
.LBB210_538:                            ;   in Loop: Header=BB210_15 Depth=1
	s_delay_alu instid0(SALU_CYCLE_1) | instskip(SKIP_2) | instid1(VALU_DEP_1)
	s_or_b32 exec_lo, exec_lo, s14
	v_lshrrev_b16 v0, 8, v2
	s_mov_b32 s14, exec_lo
	v_cmpx_ne_u16_e32 0, v0
	s_cbranch_execz .LBB210_546
; %bb.539:                              ;   in Loop: Header=BB210_15 Depth=1
	v_mov_b64_e32 v[36:37], 0x8000000000000000
	s_mov_b32 s15, exec_lo
	v_cmpx_ne_u16_e32 0x80, v0
	s_cbranch_execz .LBB210_545
; %bb.540:                              ;   in Loop: Header=BB210_15 Depth=1
	v_and_b32_e32 v0, 0xffff, v0
	v_mov_b64_e32 v[36:37], 0x7f80000100000000
	s_mov_b32 s16, exec_lo
	s_delay_alu instid0(VALU_DEP_2) | instskip(NEXT) | instid1(VALU_DEP_1)
	v_and_b32_e32 v4, 0x7f, v0
	v_cmpx_ne_u32_e32 0x7f, v4
	s_cbranch_execz .LBB210_544
; %bb.541:                              ;   in Loop: Header=BB210_15 Depth=1
	v_and_b32_e32 v64, 7, v0
	v_lshrrev_b32_e32 v3, 3, v4
	s_mov_b32 s17, exec_lo
	v_cmpx_gt_u32_e32 8, v4
; %bb.542:                              ;   in Loop: Header=BB210_15 Depth=1
	s_delay_alu instid0(VALU_DEP_3) | instskip(NEXT) | instid1(VALU_DEP_1)
	v_clz_i32_u32_e32 v3, v64
	v_min_u32_e32 v3, 32, v3
	s_delay_alu instid0(VALU_DEP_1) | instskip(NEXT) | instid1(VALU_DEP_1)
	v_subrev_nc_u32_e32 v4, 28, v3
	v_lshlrev_b64_e32 v[4:5], v4, v[64:65]
	s_delay_alu instid0(VALU_DEP_1)
	v_dual_sub_nc_u32 v3, 29, v3 :: v_dual_bitop2_b32 v64, 7, v4 bitop3:0x40
; %bb.543:                              ;   in Loop: Header=BB210_15 Depth=1
	s_or_b32 exec_lo, exec_lo, s17
	s_delay_alu instid0(VALU_DEP_1) | instskip(NEXT) | instid1(VALU_DEP_2)
	v_dual_lshlrev_b32 v4, 16, v2 :: v_dual_lshlrev_b32 v0, 20, v64
	v_lshl_add_u32 v3, v3, 23, 0x3c000000
	v_mov_b32_e32 v36, v65
	s_delay_alu instid0(VALU_DEP_3) | instskip(NEXT) | instid1(VALU_DEP_1)
	v_and_b32_e32 v4, 0x80000000, v4
	v_or3_b32 v37, v0, v4, v3
.LBB210_544:                            ;   in Loop: Header=BB210_15 Depth=1
	s_or_b32 exec_lo, exec_lo, s16
.LBB210_545:                            ;   in Loop: Header=BB210_15 Depth=1
	s_delay_alu instid0(SALU_CYCLE_1)
	s_or_b32 exec_lo, exec_lo, s15
.LBB210_546:                            ;   in Loop: Header=BB210_15 Depth=1
	s_delay_alu instid0(SALU_CYCLE_1) | instskip(SKIP_4) | instid1(VALU_DEP_3)
	s_or_b32 exec_lo, exec_lo, s14
	v_lshrrev_b32_e32 v3, 16, v2
	v_mov_b64_e32 v[48:49], 0
	v_mov_b64_e32 v[4:5], 0
	s_mov_b32 s14, exec_lo
	v_and_b32_e32 v0, 0xff, v3
	scratch_store_b64 off, v[4:5], s32 offset:756 ; 8-byte Folded Spill
	s_wait_xcnt 0x0
	v_cmpx_ne_u16_e32 0, v0
	s_cbranch_execz .LBB210_554
; %bb.547:                              ;   in Loop: Header=BB210_15 Depth=1
	v_cmp_ne_u16_e64 s1, 0x80, v0
	v_mov_b64_e32 v[0:1], 0x80000000
	s_and_saveexec_b32 s15, s1
	s_cbranch_execz .LBB210_553
; %bb.548:                              ;   in Loop: Header=BB210_15 Depth=1
	v_mov_b64_e32 v[0:1], 0x7f800001
	v_bfe_u32 v5, v2, 16, 7
	s_mov_b32 s16, exec_lo
	s_delay_alu instid0(VALU_DEP_1)
	v_cmpx_ne_u32_e32 0x7f, v5
	s_cbranch_execz .LBB210_552
; %bb.549:                              ;   in Loop: Header=BB210_15 Depth=1
	v_dual_lshrrev_b32 v4, 3, v5 :: v_dual_bitop2_b32 v64, 7, v3 bitop3:0x40
	s_mov_b32 s17, exec_lo
	v_cmpx_gt_u32_e32 8, v5
; %bb.550:                              ;   in Loop: Header=BB210_15 Depth=1
	s_delay_alu instid0(VALU_DEP_2) | instskip(NEXT) | instid1(VALU_DEP_1)
	v_clz_i32_u32_e32 v4, v64
	v_min_u32_e32 v4, 32, v4
	s_delay_alu instid0(VALU_DEP_1) | instskip(NEXT) | instid1(VALU_DEP_1)
	v_subrev_nc_u32_e32 v5, 28, v4
	v_lshlrev_b64_e32 v[6:7], v5, v[64:65]
	s_delay_alu instid0(VALU_DEP_1)
	v_dual_sub_nc_u32 v4, 29, v4 :: v_dual_bitop2_b32 v64, 7, v6 bitop3:0x40
; %bb.551:                              ;   in Loop: Header=BB210_15 Depth=1
	s_or_b32 exec_lo, exec_lo, s17
	s_delay_alu instid0(VALU_DEP_1) | instskip(NEXT) | instid1(VALU_DEP_2)
	v_dual_lshlrev_b32 v3, 24, v3 :: v_dual_lshlrev_b32 v0, 20, v64
	v_lshl_add_u32 v4, v4, 23, 0x3c000000
	s_delay_alu instid0(VALU_DEP_2) | instskip(NEXT) | instid1(VALU_DEP_1)
	v_and_b32_e32 v3, 0x80000000, v3
	v_or3_b32 v64, v0, v3, v4
	s_delay_alu instid0(VALU_DEP_1)
	v_mov_b64_e32 v[0:1], v[64:65]
.LBB210_552:                            ;   in Loop: Header=BB210_15 Depth=1
	s_or_b32 exec_lo, exec_lo, s16
.LBB210_553:                            ;   in Loop: Header=BB210_15 Depth=1
	s_delay_alu instid0(SALU_CYCLE_1)
	s_or_b32 exec_lo, exec_lo, s15
	scratch_store_b64 off, v[0:1], s32 offset:756 ; 8-byte Folded Spill
.LBB210_554:                            ;   in Loop: Header=BB210_15 Depth=1
	s_wait_xcnt 0x0
	s_or_b32 exec_lo, exec_lo, s14
	s_delay_alu instid0(SALU_CYCLE_1)
	s_mov_b32 s14, exec_lo
	v_cmpx_lt_u32_e32 0xffffff, v2
	s_cbranch_execz .LBB210_562
; %bb.555:                              ;   in Loop: Header=BB210_15 Depth=1
	v_mov_b64_e32 v[48:49], 0x8000000000000000
	v_lshrrev_b32_e32 v3, 24, v2
	s_mov_b32 s15, exec_lo
	s_delay_alu instid0(VALU_DEP_1)
	v_cmpx_ne_u32_e32 0x80, v3
	s_cbranch_execz .LBB210_561
; %bb.556:                              ;   in Loop: Header=BB210_15 Depth=1
	v_mov_b64_e32 v[48:49], 0x7f80000100000000
	v_bfe_u32 v4, v2, 24, 7
	s_mov_b32 s16, exec_lo
	s_delay_alu instid0(VALU_DEP_1)
	v_cmpx_ne_u32_e32 0x7f, v4
	s_cbranch_execz .LBB210_560
; %bb.557:                              ;   in Loop: Header=BB210_15 Depth=1
	v_dual_lshrrev_b32 v2, 3, v4 :: v_dual_bitop2_b32 v64, 7, v3 bitop3:0x40
	s_mov_b32 s17, exec_lo
	v_cmpx_gt_u32_e32 8, v4
; %bb.558:                              ;   in Loop: Header=BB210_15 Depth=1
	s_delay_alu instid0(VALU_DEP_2) | instskip(NEXT) | instid1(VALU_DEP_1)
	v_clz_i32_u32_e32 v2, v64
	v_min_u32_e32 v2, 32, v2
	s_delay_alu instid0(VALU_DEP_1) | instskip(NEXT) | instid1(VALU_DEP_1)
	v_subrev_nc_u32_e32 v4, 28, v2
	v_lshlrev_b64_e32 v[4:5], v4, v[64:65]
	s_delay_alu instid0(VALU_DEP_1)
	v_dual_sub_nc_u32 v2, 29, v2 :: v_dual_bitop2_b32 v64, 7, v4 bitop3:0x40
; %bb.559:                              ;   in Loop: Header=BB210_15 Depth=1
	s_or_b32 exec_lo, exec_lo, s17
	s_delay_alu instid0(VALU_DEP_1) | instskip(NEXT) | instid1(VALU_DEP_2)
	v_dual_lshlrev_b32 v3, 24, v3 :: v_dual_lshlrev_b32 v0, 20, v64
	v_lshl_add_u32 v2, v2, 23, 0x3c000000
	v_mov_b32_e32 v48, v65
	s_delay_alu instid0(VALU_DEP_3) | instskip(NEXT) | instid1(VALU_DEP_1)
	v_and_b32_e32 v3, 0x80000000, v3
	v_or3_b32 v49, v0, v3, v2
.LBB210_560:                            ;   in Loop: Header=BB210_15 Depth=1
	s_or_b32 exec_lo, exec_lo, s16
.LBB210_561:                            ;   in Loop: Header=BB210_15 Depth=1
	s_delay_alu instid0(SALU_CYCLE_1)
	s_or_b32 exec_lo, exec_lo, s15
.LBB210_562:                            ;   in Loop: Header=BB210_15 Depth=1
	s_delay_alu instid0(SALU_CYCLE_1)
	s_or_b32 exec_lo, exec_lo, s14
	flat_load_b32 v2, v[52:53] offset:2052
	v_mov_b64_e32 v[54:55], 0
	v_mov_b64_e32 v[84:85], 0
	s_mov_b32 s14, exec_lo
	s_wait_loadcnt_dscnt 0x0
	v_and_b32_e32 v0, 0xff, v2
	s_wait_xcnt 0x0
	s_delay_alu instid0(VALU_DEP_1)
	v_cmpx_ne_u16_e32 0, v0
	s_cbranch_execz .LBB210_570
; %bb.563:                              ;   in Loop: Header=BB210_15 Depth=1
	v_mov_b64_e32 v[84:85], 0x80000000
	s_mov_b32 s15, exec_lo
	v_cmpx_ne_u16_e32 0x80, v0
	s_cbranch_execz .LBB210_569
; %bb.564:                              ;   in Loop: Header=BB210_15 Depth=1
	v_mov_b64_e32 v[84:85], 0x7f800001
	v_and_b32_e32 v4, 0x7f, v2
	s_mov_b32 s16, exec_lo
	s_delay_alu instid0(VALU_DEP_1)
	v_cmpx_ne_u32_e32 0x7f, v4
	s_cbranch_execz .LBB210_568
; %bb.565:                              ;   in Loop: Header=BB210_15 Depth=1
	v_dual_lshrrev_b32 v3, 3, v4 :: v_dual_bitop2_b32 v64, 7, v2 bitop3:0x40
	s_mov_b32 s17, exec_lo
	v_cmpx_gt_u32_e32 8, v4
; %bb.566:                              ;   in Loop: Header=BB210_15 Depth=1
	s_delay_alu instid0(VALU_DEP_2) | instskip(NEXT) | instid1(VALU_DEP_1)
	v_clz_i32_u32_e32 v3, v64
	v_min_u32_e32 v3, 32, v3
	s_delay_alu instid0(VALU_DEP_1) | instskip(NEXT) | instid1(VALU_DEP_1)
	v_subrev_nc_u32_e32 v4, 28, v3
	v_lshlrev_b64_e32 v[4:5], v4, v[64:65]
	s_delay_alu instid0(VALU_DEP_1)
	v_dual_sub_nc_u32 v3, 29, v3 :: v_dual_bitop2_b32 v64, 7, v4 bitop3:0x40
; %bb.567:                              ;   in Loop: Header=BB210_15 Depth=1
	s_or_b32 exec_lo, exec_lo, s17
	s_delay_alu instid0(VALU_DEP_1) | instskip(NEXT) | instid1(VALU_DEP_2)
	v_dual_lshlrev_b32 v4, 24, v2 :: v_dual_lshlrev_b32 v0, 20, v64
	v_lshl_add_u32 v3, v3, 23, 0x3c000000
	s_delay_alu instid0(VALU_DEP_2) | instskip(NEXT) | instid1(VALU_DEP_1)
	v_and_b32_e32 v4, 0x80000000, v4
	v_or3_b32 v64, v0, v4, v3
	s_delay_alu instid0(VALU_DEP_1)
	v_mov_b64_e32 v[84:85], v[64:65]
.LBB210_568:                            ;   in Loop: Header=BB210_15 Depth=1
	s_or_b32 exec_lo, exec_lo, s16
.LBB210_569:                            ;   in Loop: Header=BB210_15 Depth=1
	s_delay_alu instid0(SALU_CYCLE_1)
	s_or_b32 exec_lo, exec_lo, s15
.LBB210_570:                            ;   in Loop: Header=BB210_15 Depth=1
	s_delay_alu instid0(SALU_CYCLE_1) | instskip(SKIP_2) | instid1(VALU_DEP_1)
	s_or_b32 exec_lo, exec_lo, s14
	v_lshrrev_b16 v0, 8, v2
	s_mov_b32 s14, exec_lo
	v_cmpx_ne_u16_e32 0, v0
	s_cbranch_execz .LBB210_578
; %bb.571:                              ;   in Loop: Header=BB210_15 Depth=1
	v_mov_b64_e32 v[54:55], 0x8000000000000000
	s_mov_b32 s15, exec_lo
	v_cmpx_ne_u16_e32 0x80, v0
	s_cbranch_execz .LBB210_577
; %bb.572:                              ;   in Loop: Header=BB210_15 Depth=1
	v_and_b32_e32 v0, 0xffff, v0
	v_mov_b64_e32 v[54:55], 0x7f80000100000000
	s_mov_b32 s16, exec_lo
	s_delay_alu instid0(VALU_DEP_2) | instskip(NEXT) | instid1(VALU_DEP_1)
	v_and_b32_e32 v4, 0x7f, v0
	v_cmpx_ne_u32_e32 0x7f, v4
	s_cbranch_execz .LBB210_576
; %bb.573:                              ;   in Loop: Header=BB210_15 Depth=1
	v_and_b32_e32 v64, 7, v0
	v_lshrrev_b32_e32 v3, 3, v4
	s_mov_b32 s17, exec_lo
	v_cmpx_gt_u32_e32 8, v4
; %bb.574:                              ;   in Loop: Header=BB210_15 Depth=1
	s_delay_alu instid0(VALU_DEP_3) | instskip(NEXT) | instid1(VALU_DEP_1)
	v_clz_i32_u32_e32 v3, v64
	v_min_u32_e32 v3, 32, v3
	s_delay_alu instid0(VALU_DEP_1) | instskip(NEXT) | instid1(VALU_DEP_1)
	v_subrev_nc_u32_e32 v4, 28, v3
	v_lshlrev_b64_e32 v[4:5], v4, v[64:65]
	s_delay_alu instid0(VALU_DEP_1)
	v_dual_sub_nc_u32 v3, 29, v3 :: v_dual_bitop2_b32 v64, 7, v4 bitop3:0x40
; %bb.575:                              ;   in Loop: Header=BB210_15 Depth=1
	s_or_b32 exec_lo, exec_lo, s17
	s_delay_alu instid0(VALU_DEP_1) | instskip(NEXT) | instid1(VALU_DEP_2)
	v_dual_lshlrev_b32 v4, 16, v2 :: v_dual_lshlrev_b32 v0, 20, v64
	v_lshl_add_u32 v3, v3, 23, 0x3c000000
	v_mov_b32_e32 v54, v65
	s_delay_alu instid0(VALU_DEP_3) | instskip(NEXT) | instid1(VALU_DEP_1)
	v_and_b32_e32 v4, 0x80000000, v4
	v_or3_b32 v55, v0, v4, v3
.LBB210_576:                            ;   in Loop: Header=BB210_15 Depth=1
	s_or_b32 exec_lo, exec_lo, s16
.LBB210_577:                            ;   in Loop: Header=BB210_15 Depth=1
	s_delay_alu instid0(SALU_CYCLE_1)
	s_or_b32 exec_lo, exec_lo, s15
.LBB210_578:                            ;   in Loop: Header=BB210_15 Depth=1
	s_delay_alu instid0(SALU_CYCLE_1) | instskip(SKIP_4) | instid1(VALU_DEP_3)
	s_or_b32 exec_lo, exec_lo, s14
	v_lshrrev_b32_e32 v3, 16, v2
	v_mov_b64_e32 v[66:67], 0
	v_mov_b64_e32 v[96:97], 0
	s_mov_b32 s14, exec_lo
	v_and_b32_e32 v0, 0xff, v3
	s_delay_alu instid0(VALU_DEP_1)
	v_cmpx_ne_u16_e32 0, v0
	s_cbranch_execz .LBB210_586
; %bb.579:                              ;   in Loop: Header=BB210_15 Depth=1
	v_mov_b64_e32 v[96:97], 0x80000000
	s_mov_b32 s15, exec_lo
	v_cmpx_ne_u16_e32 0x80, v0
	s_cbranch_execz .LBB210_585
; %bb.580:                              ;   in Loop: Header=BB210_15 Depth=1
	v_mov_b64_e32 v[96:97], 0x7f800001
	v_bfe_u32 v5, v2, 16, 7
	s_mov_b32 s16, exec_lo
	s_delay_alu instid0(VALU_DEP_1)
	v_cmpx_ne_u32_e32 0x7f, v5
	s_cbranch_execz .LBB210_584
; %bb.581:                              ;   in Loop: Header=BB210_15 Depth=1
	v_dual_lshrrev_b32 v4, 3, v5 :: v_dual_bitop2_b32 v64, 7, v3 bitop3:0x40
	s_mov_b32 s17, exec_lo
	v_cmpx_gt_u32_e32 8, v5
; %bb.582:                              ;   in Loop: Header=BB210_15 Depth=1
	s_delay_alu instid0(VALU_DEP_2) | instskip(NEXT) | instid1(VALU_DEP_1)
	v_clz_i32_u32_e32 v4, v64
	v_min_u32_e32 v4, 32, v4
	s_delay_alu instid0(VALU_DEP_1) | instskip(NEXT) | instid1(VALU_DEP_1)
	v_subrev_nc_u32_e32 v5, 28, v4
	v_lshlrev_b64_e32 v[10:11], v5, v[64:65]
	s_delay_alu instid0(VALU_DEP_1)
	v_dual_sub_nc_u32 v4, 29, v4 :: v_dual_bitop2_b32 v64, 7, v10 bitop3:0x40
; %bb.583:                              ;   in Loop: Header=BB210_15 Depth=1
	s_or_b32 exec_lo, exec_lo, s17
	s_delay_alu instid0(VALU_DEP_1) | instskip(NEXT) | instid1(VALU_DEP_2)
	v_dual_lshlrev_b32 v3, 24, v3 :: v_dual_lshlrev_b32 v0, 20, v64
	v_lshl_add_u32 v4, v4, 23, 0x3c000000
	s_delay_alu instid0(VALU_DEP_2) | instskip(NEXT) | instid1(VALU_DEP_1)
	v_and_b32_e32 v3, 0x80000000, v3
	v_or3_b32 v64, v0, v3, v4
	s_delay_alu instid0(VALU_DEP_1)
	v_mov_b64_e32 v[96:97], v[64:65]
.LBB210_584:                            ;   in Loop: Header=BB210_15 Depth=1
	s_or_b32 exec_lo, exec_lo, s16
.LBB210_585:                            ;   in Loop: Header=BB210_15 Depth=1
	s_delay_alu instid0(SALU_CYCLE_1)
	s_or_b32 exec_lo, exec_lo, s15
.LBB210_586:                            ;   in Loop: Header=BB210_15 Depth=1
	s_delay_alu instid0(SALU_CYCLE_1) | instskip(NEXT) | instid1(SALU_CYCLE_1)
	s_or_b32 exec_lo, exec_lo, s14
	s_mov_b32 s14, exec_lo
	v_cmpx_lt_u32_e32 0xffffff, v2
	s_cbranch_execz .LBB210_594
; %bb.587:                              ;   in Loop: Header=BB210_15 Depth=1
	v_mov_b64_e32 v[66:67], 0x8000000000000000
	v_lshrrev_b32_e32 v3, 24, v2
	s_mov_b32 s15, exec_lo
	s_delay_alu instid0(VALU_DEP_1)
	v_cmpx_ne_u32_e32 0x80, v3
	s_cbranch_execz .LBB210_593
; %bb.588:                              ;   in Loop: Header=BB210_15 Depth=1
	v_mov_b64_e32 v[66:67], 0x7f80000100000000
	v_bfe_u32 v4, v2, 24, 7
	s_mov_b32 s16, exec_lo
	s_delay_alu instid0(VALU_DEP_1)
	v_cmpx_ne_u32_e32 0x7f, v4
	s_cbranch_execz .LBB210_592
; %bb.589:                              ;   in Loop: Header=BB210_15 Depth=1
	v_dual_lshrrev_b32 v2, 3, v4 :: v_dual_bitop2_b32 v64, 7, v3 bitop3:0x40
	s_mov_b32 s17, exec_lo
	v_cmpx_gt_u32_e32 8, v4
; %bb.590:                              ;   in Loop: Header=BB210_15 Depth=1
	s_delay_alu instid0(VALU_DEP_2) | instskip(NEXT) | instid1(VALU_DEP_1)
	v_clz_i32_u32_e32 v2, v64
	v_min_u32_e32 v2, 32, v2
	s_delay_alu instid0(VALU_DEP_1) | instskip(NEXT) | instid1(VALU_DEP_1)
	v_subrev_nc_u32_e32 v4, 28, v2
	v_lshlrev_b64_e32 v[4:5], v4, v[64:65]
	s_delay_alu instid0(VALU_DEP_1)
	v_dual_sub_nc_u32 v2, 29, v2 :: v_dual_bitop2_b32 v64, 7, v4 bitop3:0x40
; %bb.591:                              ;   in Loop: Header=BB210_15 Depth=1
	s_or_b32 exec_lo, exec_lo, s17
	s_delay_alu instid0(VALU_DEP_1) | instskip(NEXT) | instid1(VALU_DEP_2)
	v_dual_lshlrev_b32 v3, 24, v3 :: v_dual_lshlrev_b32 v0, 20, v64
	v_lshl_add_u32 v2, v2, 23, 0x3c000000
	v_mov_b32_e32 v66, v65
	s_delay_alu instid0(VALU_DEP_3) | instskip(NEXT) | instid1(VALU_DEP_1)
	v_and_b32_e32 v3, 0x80000000, v3
	v_or3_b32 v67, v0, v3, v2
.LBB210_592:                            ;   in Loop: Header=BB210_15 Depth=1
	s_or_b32 exec_lo, exec_lo, s16
.LBB210_593:                            ;   in Loop: Header=BB210_15 Depth=1
	s_delay_alu instid0(SALU_CYCLE_1)
	s_or_b32 exec_lo, exec_lo, s15
.LBB210_594:                            ;   in Loop: Header=BB210_15 Depth=1
	s_delay_alu instid0(SALU_CYCLE_1)
	s_or_b32 exec_lo, exec_lo, s14
	flat_load_b32 v2, v[52:53] offset:2056
	v_mov_b64_e32 v[70:71], 0
	v_mov_b64_e32 v[100:101], 0
	s_mov_b32 s14, exec_lo
	s_wait_loadcnt_dscnt 0x0
	v_and_b32_e32 v0, 0xff, v2
	s_wait_xcnt 0x0
	s_delay_alu instid0(VALU_DEP_1)
	v_cmpx_ne_u16_e32 0, v0
	s_cbranch_execz .LBB210_602
; %bb.595:                              ;   in Loop: Header=BB210_15 Depth=1
	v_mov_b64_e32 v[100:101], 0x80000000
	s_mov_b32 s15, exec_lo
	v_cmpx_ne_u16_e32 0x80, v0
	s_cbranch_execz .LBB210_601
; %bb.596:                              ;   in Loop: Header=BB210_15 Depth=1
	v_mov_b64_e32 v[100:101], 0x7f800001
	v_and_b32_e32 v4, 0x7f, v2
	s_mov_b32 s16, exec_lo
	s_delay_alu instid0(VALU_DEP_1)
	v_cmpx_ne_u32_e32 0x7f, v4
	s_cbranch_execz .LBB210_600
; %bb.597:                              ;   in Loop: Header=BB210_15 Depth=1
	v_dual_lshrrev_b32 v3, 3, v4 :: v_dual_bitop2_b32 v64, 7, v2 bitop3:0x40
	s_mov_b32 s17, exec_lo
	v_cmpx_gt_u32_e32 8, v4
; %bb.598:                              ;   in Loop: Header=BB210_15 Depth=1
	s_delay_alu instid0(VALU_DEP_2) | instskip(NEXT) | instid1(VALU_DEP_1)
	v_clz_i32_u32_e32 v3, v64
	v_min_u32_e32 v3, 32, v3
	s_delay_alu instid0(VALU_DEP_1) | instskip(NEXT) | instid1(VALU_DEP_1)
	v_subrev_nc_u32_e32 v4, 28, v3
	v_lshlrev_b64_e32 v[4:5], v4, v[64:65]
	s_delay_alu instid0(VALU_DEP_1)
	v_dual_sub_nc_u32 v3, 29, v3 :: v_dual_bitop2_b32 v64, 7, v4 bitop3:0x40
; %bb.599:                              ;   in Loop: Header=BB210_15 Depth=1
	s_or_b32 exec_lo, exec_lo, s17
	s_delay_alu instid0(VALU_DEP_1) | instskip(NEXT) | instid1(VALU_DEP_2)
	v_dual_lshlrev_b32 v4, 24, v2 :: v_dual_lshlrev_b32 v0, 20, v64
	v_lshl_add_u32 v3, v3, 23, 0x3c000000
	s_delay_alu instid0(VALU_DEP_2) | instskip(NEXT) | instid1(VALU_DEP_1)
	v_and_b32_e32 v4, 0x80000000, v4
	v_or3_b32 v64, v0, v4, v3
	s_delay_alu instid0(VALU_DEP_1)
	v_mov_b64_e32 v[100:101], v[64:65]
.LBB210_600:                            ;   in Loop: Header=BB210_15 Depth=1
	s_or_b32 exec_lo, exec_lo, s16
.LBB210_601:                            ;   in Loop: Header=BB210_15 Depth=1
	s_delay_alu instid0(SALU_CYCLE_1)
	s_or_b32 exec_lo, exec_lo, s15
.LBB210_602:                            ;   in Loop: Header=BB210_15 Depth=1
	s_delay_alu instid0(SALU_CYCLE_1) | instskip(SKIP_2) | instid1(VALU_DEP_1)
	s_or_b32 exec_lo, exec_lo, s14
	v_lshrrev_b16 v0, 8, v2
	s_mov_b32 s14, exec_lo
	v_cmpx_ne_u16_e32 0, v0
	s_cbranch_execz .LBB210_610
; %bb.603:                              ;   in Loop: Header=BB210_15 Depth=1
	v_mov_b64_e32 v[70:71], 0x8000000000000000
	s_mov_b32 s15, exec_lo
	v_cmpx_ne_u16_e32 0x80, v0
	s_cbranch_execz .LBB210_609
; %bb.604:                              ;   in Loop: Header=BB210_15 Depth=1
	v_and_b32_e32 v0, 0xffff, v0
	v_mov_b64_e32 v[70:71], 0x7f80000100000000
	s_mov_b32 s16, exec_lo
	s_delay_alu instid0(VALU_DEP_2) | instskip(NEXT) | instid1(VALU_DEP_1)
	v_and_b32_e32 v4, 0x7f, v0
	v_cmpx_ne_u32_e32 0x7f, v4
	s_cbranch_execz .LBB210_608
; %bb.605:                              ;   in Loop: Header=BB210_15 Depth=1
	v_and_b32_e32 v64, 7, v0
	v_lshrrev_b32_e32 v3, 3, v4
	s_mov_b32 s17, exec_lo
	v_cmpx_gt_u32_e32 8, v4
; %bb.606:                              ;   in Loop: Header=BB210_15 Depth=1
	s_delay_alu instid0(VALU_DEP_3) | instskip(NEXT) | instid1(VALU_DEP_1)
	v_clz_i32_u32_e32 v3, v64
	v_min_u32_e32 v3, 32, v3
	s_delay_alu instid0(VALU_DEP_1) | instskip(NEXT) | instid1(VALU_DEP_1)
	v_subrev_nc_u32_e32 v4, 28, v3
	v_lshlrev_b64_e32 v[4:5], v4, v[64:65]
	s_delay_alu instid0(VALU_DEP_1)
	v_dual_sub_nc_u32 v3, 29, v3 :: v_dual_bitop2_b32 v64, 7, v4 bitop3:0x40
; %bb.607:                              ;   in Loop: Header=BB210_15 Depth=1
	s_or_b32 exec_lo, exec_lo, s17
	s_delay_alu instid0(VALU_DEP_1) | instskip(NEXT) | instid1(VALU_DEP_2)
	v_dual_lshlrev_b32 v4, 16, v2 :: v_dual_lshlrev_b32 v0, 20, v64
	v_lshl_add_u32 v3, v3, 23, 0x3c000000
	v_mov_b32_e32 v70, v65
	s_delay_alu instid0(VALU_DEP_3) | instskip(NEXT) | instid1(VALU_DEP_1)
	v_and_b32_e32 v4, 0x80000000, v4
	v_or3_b32 v71, v0, v4, v3
.LBB210_608:                            ;   in Loop: Header=BB210_15 Depth=1
	s_or_b32 exec_lo, exec_lo, s16
.LBB210_609:                            ;   in Loop: Header=BB210_15 Depth=1
	s_delay_alu instid0(SALU_CYCLE_1)
	s_or_b32 exec_lo, exec_lo, s15
.LBB210_610:                            ;   in Loop: Header=BB210_15 Depth=1
	s_delay_alu instid0(SALU_CYCLE_1) | instskip(SKIP_4) | instid1(VALU_DEP_3)
	s_or_b32 exec_lo, exec_lo, s14
	v_lshrrev_b32_e32 v3, 16, v2
	v_mov_b64_e32 v[82:83], 0
	v_mov_b64_e32 v[112:113], 0
	s_mov_b32 s14, exec_lo
	v_and_b32_e32 v0, 0xff, v3
	s_delay_alu instid0(VALU_DEP_1)
	v_cmpx_ne_u16_e32 0, v0
	s_cbranch_execz .LBB210_618
; %bb.611:                              ;   in Loop: Header=BB210_15 Depth=1
	v_mov_b64_e32 v[112:113], 0x80000000
	s_mov_b32 s15, exec_lo
	v_cmpx_ne_u16_e32 0x80, v0
	s_cbranch_execz .LBB210_617
; %bb.612:                              ;   in Loop: Header=BB210_15 Depth=1
	v_mov_b64_e32 v[112:113], 0x7f800001
	v_bfe_u32 v5, v2, 16, 7
	s_mov_b32 s16, exec_lo
	s_delay_alu instid0(VALU_DEP_1)
	v_cmpx_ne_u32_e32 0x7f, v5
	s_cbranch_execz .LBB210_616
; %bb.613:                              ;   in Loop: Header=BB210_15 Depth=1
	v_dual_lshrrev_b32 v4, 3, v5 :: v_dual_bitop2_b32 v64, 7, v3 bitop3:0x40
	s_mov_b32 s17, exec_lo
	v_cmpx_gt_u32_e32 8, v5
; %bb.614:                              ;   in Loop: Header=BB210_15 Depth=1
	s_delay_alu instid0(VALU_DEP_2) | instskip(NEXT) | instid1(VALU_DEP_1)
	v_clz_i32_u32_e32 v4, v64
	v_min_u32_e32 v4, 32, v4
	s_delay_alu instid0(VALU_DEP_1) | instskip(NEXT) | instid1(VALU_DEP_1)
	v_subrev_nc_u32_e32 v5, 28, v4
	v_lshlrev_b64_e32 v[10:11], v5, v[64:65]
	s_delay_alu instid0(VALU_DEP_1)
	v_dual_sub_nc_u32 v4, 29, v4 :: v_dual_bitop2_b32 v64, 7, v10 bitop3:0x40
; %bb.615:                              ;   in Loop: Header=BB210_15 Depth=1
	s_or_b32 exec_lo, exec_lo, s17
	s_delay_alu instid0(VALU_DEP_1) | instskip(NEXT) | instid1(VALU_DEP_2)
	v_dual_lshlrev_b32 v3, 24, v3 :: v_dual_lshlrev_b32 v0, 20, v64
	v_lshl_add_u32 v4, v4, 23, 0x3c000000
	s_delay_alu instid0(VALU_DEP_2) | instskip(NEXT) | instid1(VALU_DEP_1)
	v_and_b32_e32 v3, 0x80000000, v3
	v_or3_b32 v64, v0, v3, v4
	s_delay_alu instid0(VALU_DEP_1)
	v_mov_b64_e32 v[112:113], v[64:65]
.LBB210_616:                            ;   in Loop: Header=BB210_15 Depth=1
	s_or_b32 exec_lo, exec_lo, s16
.LBB210_617:                            ;   in Loop: Header=BB210_15 Depth=1
	s_delay_alu instid0(SALU_CYCLE_1)
	s_or_b32 exec_lo, exec_lo, s15
.LBB210_618:                            ;   in Loop: Header=BB210_15 Depth=1
	s_delay_alu instid0(SALU_CYCLE_1) | instskip(NEXT) | instid1(SALU_CYCLE_1)
	s_or_b32 exec_lo, exec_lo, s14
	s_mov_b32 s14, exec_lo
	v_cmpx_lt_u32_e32 0xffffff, v2
	s_cbranch_execz .LBB210_626
; %bb.619:                              ;   in Loop: Header=BB210_15 Depth=1
	v_mov_b64_e32 v[82:83], 0x8000000000000000
	v_lshrrev_b32_e32 v3, 24, v2
	s_mov_b32 s15, exec_lo
	s_delay_alu instid0(VALU_DEP_1)
	v_cmpx_ne_u32_e32 0x80, v3
	s_cbranch_execz .LBB210_625
; %bb.620:                              ;   in Loop: Header=BB210_15 Depth=1
	v_mov_b64_e32 v[82:83], 0x7f80000100000000
	v_bfe_u32 v4, v2, 24, 7
	s_mov_b32 s16, exec_lo
	s_delay_alu instid0(VALU_DEP_1)
	v_cmpx_ne_u32_e32 0x7f, v4
	s_cbranch_execz .LBB210_624
; %bb.621:                              ;   in Loop: Header=BB210_15 Depth=1
	v_dual_lshrrev_b32 v2, 3, v4 :: v_dual_bitop2_b32 v64, 7, v3 bitop3:0x40
	s_mov_b32 s17, exec_lo
	v_cmpx_gt_u32_e32 8, v4
; %bb.622:                              ;   in Loop: Header=BB210_15 Depth=1
	s_delay_alu instid0(VALU_DEP_2) | instskip(NEXT) | instid1(VALU_DEP_1)
	v_clz_i32_u32_e32 v2, v64
	v_min_u32_e32 v2, 32, v2
	s_delay_alu instid0(VALU_DEP_1) | instskip(NEXT) | instid1(VALU_DEP_1)
	v_subrev_nc_u32_e32 v4, 28, v2
	v_lshlrev_b64_e32 v[4:5], v4, v[64:65]
	s_delay_alu instid0(VALU_DEP_1)
	v_dual_sub_nc_u32 v2, 29, v2 :: v_dual_bitop2_b32 v64, 7, v4 bitop3:0x40
; %bb.623:                              ;   in Loop: Header=BB210_15 Depth=1
	s_or_b32 exec_lo, exec_lo, s17
	s_delay_alu instid0(VALU_DEP_1) | instskip(NEXT) | instid1(VALU_DEP_2)
	v_dual_lshlrev_b32 v3, 24, v3 :: v_dual_lshlrev_b32 v0, 20, v64
	v_lshl_add_u32 v2, v2, 23, 0x3c000000
	v_mov_b32_e32 v82, v65
	s_delay_alu instid0(VALU_DEP_3) | instskip(NEXT) | instid1(VALU_DEP_1)
	v_and_b32_e32 v3, 0x80000000, v3
	v_or3_b32 v83, v0, v3, v2
.LBB210_624:                            ;   in Loop: Header=BB210_15 Depth=1
	s_or_b32 exec_lo, exec_lo, s16
.LBB210_625:                            ;   in Loop: Header=BB210_15 Depth=1
	s_delay_alu instid0(SALU_CYCLE_1)
	s_or_b32 exec_lo, exec_lo, s15
.LBB210_626:                            ;   in Loop: Header=BB210_15 Depth=1
	s_delay_alu instid0(SALU_CYCLE_1)
	s_or_b32 exec_lo, exec_lo, s14
	flat_load_b32 v2, v[52:53] offset:2060
	v_mov_b64_e32 v[86:87], 0
	v_mov_b64_e32 v[116:117], 0
	s_mov_b32 s14, exec_lo
	s_wait_loadcnt_dscnt 0x0
	v_and_b32_e32 v0, 0xff, v2
	s_wait_xcnt 0x0
	s_delay_alu instid0(VALU_DEP_1)
	v_cmpx_ne_u16_e32 0, v0
	s_cbranch_execz .LBB210_634
; %bb.627:                              ;   in Loop: Header=BB210_15 Depth=1
	v_mov_b64_e32 v[116:117], 0x80000000
	s_mov_b32 s15, exec_lo
	v_cmpx_ne_u16_e32 0x80, v0
	s_cbranch_execz .LBB210_633
; %bb.628:                              ;   in Loop: Header=BB210_15 Depth=1
	v_mov_b64_e32 v[116:117], 0x7f800001
	v_and_b32_e32 v4, 0x7f, v2
	s_mov_b32 s16, exec_lo
	s_delay_alu instid0(VALU_DEP_1)
	v_cmpx_ne_u32_e32 0x7f, v4
	s_cbranch_execz .LBB210_632
; %bb.629:                              ;   in Loop: Header=BB210_15 Depth=1
	v_dual_lshrrev_b32 v3, 3, v4 :: v_dual_bitop2_b32 v64, 7, v2 bitop3:0x40
	s_mov_b32 s17, exec_lo
	v_cmpx_gt_u32_e32 8, v4
; %bb.630:                              ;   in Loop: Header=BB210_15 Depth=1
	s_delay_alu instid0(VALU_DEP_2) | instskip(NEXT) | instid1(VALU_DEP_1)
	v_clz_i32_u32_e32 v3, v64
	v_min_u32_e32 v3, 32, v3
	s_delay_alu instid0(VALU_DEP_1) | instskip(NEXT) | instid1(VALU_DEP_1)
	v_subrev_nc_u32_e32 v4, 28, v3
	v_lshlrev_b64_e32 v[4:5], v4, v[64:65]
	s_delay_alu instid0(VALU_DEP_1)
	v_dual_sub_nc_u32 v3, 29, v3 :: v_dual_bitop2_b32 v64, 7, v4 bitop3:0x40
; %bb.631:                              ;   in Loop: Header=BB210_15 Depth=1
	s_or_b32 exec_lo, exec_lo, s17
	s_delay_alu instid0(VALU_DEP_1) | instskip(NEXT) | instid1(VALU_DEP_2)
	v_dual_lshlrev_b32 v4, 24, v2 :: v_dual_lshlrev_b32 v0, 20, v64
	v_lshl_add_u32 v3, v3, 23, 0x3c000000
	s_delay_alu instid0(VALU_DEP_2) | instskip(NEXT) | instid1(VALU_DEP_1)
	v_and_b32_e32 v4, 0x80000000, v4
	v_or3_b32 v64, v0, v4, v3
	s_delay_alu instid0(VALU_DEP_1)
	v_mov_b64_e32 v[116:117], v[64:65]
.LBB210_632:                            ;   in Loop: Header=BB210_15 Depth=1
	s_or_b32 exec_lo, exec_lo, s16
.LBB210_633:                            ;   in Loop: Header=BB210_15 Depth=1
	s_delay_alu instid0(SALU_CYCLE_1)
	s_or_b32 exec_lo, exec_lo, s15
.LBB210_634:                            ;   in Loop: Header=BB210_15 Depth=1
	s_delay_alu instid0(SALU_CYCLE_1) | instskip(SKIP_2) | instid1(VALU_DEP_1)
	s_or_b32 exec_lo, exec_lo, s14
	v_lshrrev_b16 v0, 8, v2
	s_mov_b32 s14, exec_lo
	v_cmpx_ne_u16_e32 0, v0
	s_cbranch_execz .LBB210_642
; %bb.635:                              ;   in Loop: Header=BB210_15 Depth=1
	v_mov_b64_e32 v[86:87], 0x8000000000000000
	s_mov_b32 s15, exec_lo
	v_cmpx_ne_u16_e32 0x80, v0
	s_cbranch_execz .LBB210_641
; %bb.636:                              ;   in Loop: Header=BB210_15 Depth=1
	v_and_b32_e32 v0, 0xffff, v0
	v_mov_b64_e32 v[86:87], 0x7f80000100000000
	s_mov_b32 s16, exec_lo
	s_delay_alu instid0(VALU_DEP_2) | instskip(NEXT) | instid1(VALU_DEP_1)
	v_and_b32_e32 v4, 0x7f, v0
	v_cmpx_ne_u32_e32 0x7f, v4
	s_cbranch_execz .LBB210_640
; %bb.637:                              ;   in Loop: Header=BB210_15 Depth=1
	v_and_b32_e32 v64, 7, v0
	v_lshrrev_b32_e32 v3, 3, v4
	s_mov_b32 s17, exec_lo
	v_cmpx_gt_u32_e32 8, v4
; %bb.638:                              ;   in Loop: Header=BB210_15 Depth=1
	s_delay_alu instid0(VALU_DEP_3) | instskip(NEXT) | instid1(VALU_DEP_1)
	v_clz_i32_u32_e32 v3, v64
	v_min_u32_e32 v3, 32, v3
	s_delay_alu instid0(VALU_DEP_1) | instskip(NEXT) | instid1(VALU_DEP_1)
	v_subrev_nc_u32_e32 v4, 28, v3
	v_lshlrev_b64_e32 v[4:5], v4, v[64:65]
	s_delay_alu instid0(VALU_DEP_1)
	v_dual_sub_nc_u32 v3, 29, v3 :: v_dual_bitop2_b32 v64, 7, v4 bitop3:0x40
; %bb.639:                              ;   in Loop: Header=BB210_15 Depth=1
	s_or_b32 exec_lo, exec_lo, s17
	s_delay_alu instid0(VALU_DEP_1) | instskip(NEXT) | instid1(VALU_DEP_2)
	v_dual_lshlrev_b32 v4, 16, v2 :: v_dual_lshlrev_b32 v0, 20, v64
	v_lshl_add_u32 v3, v3, 23, 0x3c000000
	v_mov_b32_e32 v86, v65
	s_delay_alu instid0(VALU_DEP_3) | instskip(NEXT) | instid1(VALU_DEP_1)
	v_and_b32_e32 v4, 0x80000000, v4
	v_or3_b32 v87, v0, v4, v3
.LBB210_640:                            ;   in Loop: Header=BB210_15 Depth=1
	s_or_b32 exec_lo, exec_lo, s16
.LBB210_641:                            ;   in Loop: Header=BB210_15 Depth=1
	s_delay_alu instid0(SALU_CYCLE_1)
	s_or_b32 exec_lo, exec_lo, s15
.LBB210_642:                            ;   in Loop: Header=BB210_15 Depth=1
	s_delay_alu instid0(SALU_CYCLE_1) | instskip(SKIP_4) | instid1(VALU_DEP_3)
	s_or_b32 exec_lo, exec_lo, s14
	v_lshrrev_b32_e32 v3, 16, v2
	v_mov_b64_e32 v[98:99], 0
	v_mov_b64_e32 v[40:41], 0
	s_mov_b32 s14, exec_lo
	v_and_b32_e32 v0, 0xff, v3
	s_delay_alu instid0(VALU_DEP_1)
	v_cmpx_ne_u16_e32 0, v0
	s_cbranch_execz .LBB210_650
; %bb.643:                              ;   in Loop: Header=BB210_15 Depth=1
	v_mov_b64_e32 v[40:41], 0x80000000
	s_mov_b32 s15, exec_lo
	v_cmpx_ne_u16_e32 0x80, v0
	s_cbranch_execz .LBB210_649
; %bb.644:                              ;   in Loop: Header=BB210_15 Depth=1
	v_mov_b64_e32 v[40:41], 0x7f800001
	v_bfe_u32 v5, v2, 16, 7
	s_mov_b32 s16, exec_lo
	s_delay_alu instid0(VALU_DEP_1)
	v_cmpx_ne_u32_e32 0x7f, v5
	s_cbranch_execz .LBB210_648
; %bb.645:                              ;   in Loop: Header=BB210_15 Depth=1
	v_dual_lshrrev_b32 v4, 3, v5 :: v_dual_bitop2_b32 v64, 7, v3 bitop3:0x40
	s_mov_b32 s17, exec_lo
	v_cmpx_gt_u32_e32 8, v5
; %bb.646:                              ;   in Loop: Header=BB210_15 Depth=1
	s_delay_alu instid0(VALU_DEP_2) | instskip(NEXT) | instid1(VALU_DEP_1)
	v_clz_i32_u32_e32 v4, v64
	v_min_u32_e32 v4, 32, v4
	s_delay_alu instid0(VALU_DEP_1) | instskip(NEXT) | instid1(VALU_DEP_1)
	v_subrev_nc_u32_e32 v5, 28, v4
	v_lshlrev_b64_e32 v[10:11], v5, v[64:65]
	s_delay_alu instid0(VALU_DEP_1)
	v_dual_sub_nc_u32 v4, 29, v4 :: v_dual_bitop2_b32 v64, 7, v10 bitop3:0x40
; %bb.647:                              ;   in Loop: Header=BB210_15 Depth=1
	s_or_b32 exec_lo, exec_lo, s17
	s_delay_alu instid0(VALU_DEP_1) | instskip(NEXT) | instid1(VALU_DEP_2)
	v_dual_lshlrev_b32 v3, 24, v3 :: v_dual_lshlrev_b32 v0, 20, v64
	v_lshl_add_u32 v4, v4, 23, 0x3c000000
	s_delay_alu instid0(VALU_DEP_2) | instskip(NEXT) | instid1(VALU_DEP_1)
	v_and_b32_e32 v3, 0x80000000, v3
	v_or3_b32 v64, v0, v3, v4
	s_delay_alu instid0(VALU_DEP_1)
	v_mov_b64_e32 v[40:41], v[64:65]
.LBB210_648:                            ;   in Loop: Header=BB210_15 Depth=1
	s_or_b32 exec_lo, exec_lo, s16
.LBB210_649:                            ;   in Loop: Header=BB210_15 Depth=1
	s_delay_alu instid0(SALU_CYCLE_1)
	s_or_b32 exec_lo, exec_lo, s15
.LBB210_650:                            ;   in Loop: Header=BB210_15 Depth=1
	s_delay_alu instid0(SALU_CYCLE_1) | instskip(NEXT) | instid1(SALU_CYCLE_1)
	s_or_b32 exec_lo, exec_lo, s14
	s_mov_b32 s14, exec_lo
	v_cmpx_lt_u32_e32 0xffffff, v2
	s_cbranch_execz .LBB210_658
; %bb.651:                              ;   in Loop: Header=BB210_15 Depth=1
	v_mov_b64_e32 v[98:99], 0x8000000000000000
	v_lshrrev_b32_e32 v3, 24, v2
	s_mov_b32 s15, exec_lo
	s_delay_alu instid0(VALU_DEP_1)
	v_cmpx_ne_u32_e32 0x80, v3
	s_cbranch_execz .LBB210_657
; %bb.652:                              ;   in Loop: Header=BB210_15 Depth=1
	v_mov_b64_e32 v[98:99], 0x7f80000100000000
	v_bfe_u32 v4, v2, 24, 7
	s_mov_b32 s16, exec_lo
	s_delay_alu instid0(VALU_DEP_1)
	v_cmpx_ne_u32_e32 0x7f, v4
	s_cbranch_execz .LBB210_656
; %bb.653:                              ;   in Loop: Header=BB210_15 Depth=1
	v_dual_lshrrev_b32 v2, 3, v4 :: v_dual_bitop2_b32 v64, 7, v3 bitop3:0x40
	s_mov_b32 s17, exec_lo
	v_cmpx_gt_u32_e32 8, v4
; %bb.654:                              ;   in Loop: Header=BB210_15 Depth=1
	s_delay_alu instid0(VALU_DEP_2) | instskip(NEXT) | instid1(VALU_DEP_1)
	v_clz_i32_u32_e32 v2, v64
	v_min_u32_e32 v2, 32, v2
	s_delay_alu instid0(VALU_DEP_1) | instskip(NEXT) | instid1(VALU_DEP_1)
	v_subrev_nc_u32_e32 v4, 28, v2
	v_lshlrev_b64_e32 v[4:5], v4, v[64:65]
	s_delay_alu instid0(VALU_DEP_1)
	v_dual_sub_nc_u32 v2, 29, v2 :: v_dual_bitop2_b32 v64, 7, v4 bitop3:0x40
; %bb.655:                              ;   in Loop: Header=BB210_15 Depth=1
	s_or_b32 exec_lo, exec_lo, s17
	s_delay_alu instid0(VALU_DEP_1) | instskip(NEXT) | instid1(VALU_DEP_2)
	v_dual_lshlrev_b32 v3, 24, v3 :: v_dual_lshlrev_b32 v0, 20, v64
	v_lshl_add_u32 v2, v2, 23, 0x3c000000
	v_mov_b32_e32 v98, v65
	s_delay_alu instid0(VALU_DEP_3) | instskip(NEXT) | instid1(VALU_DEP_1)
	v_and_b32_e32 v3, 0x80000000, v3
	v_or3_b32 v99, v0, v3, v2
.LBB210_656:                            ;   in Loop: Header=BB210_15 Depth=1
	s_or_b32 exec_lo, exec_lo, s16
.LBB210_657:                            ;   in Loop: Header=BB210_15 Depth=1
	s_delay_alu instid0(SALU_CYCLE_1)
	s_or_b32 exec_lo, exec_lo, s15
.LBB210_658:                            ;   in Loop: Header=BB210_15 Depth=1
	s_delay_alu instid0(SALU_CYCLE_1)
	s_or_b32 exec_lo, exec_lo, s14
	flat_load_b32 v2, v[52:53] offset:2560
	v_mov_b64_e32 v[102:103], 0
	v_mov_b64_e32 v[44:45], 0
	s_mov_b32 s14, exec_lo
	s_wait_loadcnt_dscnt 0x0
	v_and_b32_e32 v0, 0xff, v2
	s_wait_xcnt 0x0
	s_delay_alu instid0(VALU_DEP_1)
	v_cmpx_ne_u16_e32 0, v0
	s_cbranch_execz .LBB210_666
; %bb.659:                              ;   in Loop: Header=BB210_15 Depth=1
	v_mov_b64_e32 v[44:45], 0x80000000
	s_mov_b32 s15, exec_lo
	v_cmpx_ne_u16_e32 0x80, v0
	s_cbranch_execz .LBB210_665
; %bb.660:                              ;   in Loop: Header=BB210_15 Depth=1
	v_mov_b64_e32 v[44:45], 0x7f800001
	v_and_b32_e32 v4, 0x7f, v2
	s_mov_b32 s16, exec_lo
	s_delay_alu instid0(VALU_DEP_1)
	v_cmpx_ne_u32_e32 0x7f, v4
	s_cbranch_execz .LBB210_664
; %bb.661:                              ;   in Loop: Header=BB210_15 Depth=1
	v_dual_lshrrev_b32 v3, 3, v4 :: v_dual_bitop2_b32 v64, 7, v2 bitop3:0x40
	s_mov_b32 s17, exec_lo
	v_cmpx_gt_u32_e32 8, v4
; %bb.662:                              ;   in Loop: Header=BB210_15 Depth=1
	s_delay_alu instid0(VALU_DEP_2) | instskip(NEXT) | instid1(VALU_DEP_1)
	v_clz_i32_u32_e32 v3, v64
	v_min_u32_e32 v3, 32, v3
	s_delay_alu instid0(VALU_DEP_1) | instskip(NEXT) | instid1(VALU_DEP_1)
	v_subrev_nc_u32_e32 v4, 28, v3
	v_lshlrev_b64_e32 v[4:5], v4, v[64:65]
	s_delay_alu instid0(VALU_DEP_1)
	v_dual_sub_nc_u32 v3, 29, v3 :: v_dual_bitop2_b32 v64, 7, v4 bitop3:0x40
; %bb.663:                              ;   in Loop: Header=BB210_15 Depth=1
	s_or_b32 exec_lo, exec_lo, s17
	s_delay_alu instid0(VALU_DEP_1) | instskip(NEXT) | instid1(VALU_DEP_2)
	v_dual_lshlrev_b32 v4, 24, v2 :: v_dual_lshlrev_b32 v0, 20, v64
	v_lshl_add_u32 v3, v3, 23, 0x3c000000
	s_delay_alu instid0(VALU_DEP_2) | instskip(NEXT) | instid1(VALU_DEP_1)
	v_and_b32_e32 v4, 0x80000000, v4
	v_or3_b32 v64, v0, v4, v3
	s_delay_alu instid0(VALU_DEP_1)
	v_mov_b64_e32 v[44:45], v[64:65]
.LBB210_664:                            ;   in Loop: Header=BB210_15 Depth=1
	s_or_b32 exec_lo, exec_lo, s16
.LBB210_665:                            ;   in Loop: Header=BB210_15 Depth=1
	s_delay_alu instid0(SALU_CYCLE_1)
	s_or_b32 exec_lo, exec_lo, s15
.LBB210_666:                            ;   in Loop: Header=BB210_15 Depth=1
	s_delay_alu instid0(SALU_CYCLE_1) | instskip(SKIP_2) | instid1(VALU_DEP_1)
	s_or_b32 exec_lo, exec_lo, s14
	v_lshrrev_b16 v0, 8, v2
	s_mov_b32 s14, exec_lo
	v_cmpx_ne_u16_e32 0, v0
	s_cbranch_execz .LBB210_674
; %bb.667:                              ;   in Loop: Header=BB210_15 Depth=1
	v_mov_b64_e32 v[102:103], 0x8000000000000000
	s_mov_b32 s15, exec_lo
	v_cmpx_ne_u16_e32 0x80, v0
	s_cbranch_execz .LBB210_673
; %bb.668:                              ;   in Loop: Header=BB210_15 Depth=1
	v_and_b32_e32 v0, 0xffff, v0
	v_mov_b64_e32 v[102:103], 0x7f80000100000000
	s_mov_b32 s16, exec_lo
	s_delay_alu instid0(VALU_DEP_2) | instskip(NEXT) | instid1(VALU_DEP_1)
	v_and_b32_e32 v4, 0x7f, v0
	v_cmpx_ne_u32_e32 0x7f, v4
	s_cbranch_execz .LBB210_672
; %bb.669:                              ;   in Loop: Header=BB210_15 Depth=1
	v_and_b32_e32 v64, 7, v0
	v_lshrrev_b32_e32 v3, 3, v4
	s_mov_b32 s17, exec_lo
	v_cmpx_gt_u32_e32 8, v4
; %bb.670:                              ;   in Loop: Header=BB210_15 Depth=1
	s_delay_alu instid0(VALU_DEP_3) | instskip(NEXT) | instid1(VALU_DEP_1)
	v_clz_i32_u32_e32 v3, v64
	v_min_u32_e32 v3, 32, v3
	s_delay_alu instid0(VALU_DEP_1) | instskip(NEXT) | instid1(VALU_DEP_1)
	v_subrev_nc_u32_e32 v4, 28, v3
	v_lshlrev_b64_e32 v[4:5], v4, v[64:65]
	s_delay_alu instid0(VALU_DEP_1)
	v_dual_sub_nc_u32 v3, 29, v3 :: v_dual_bitop2_b32 v64, 7, v4 bitop3:0x40
; %bb.671:                              ;   in Loop: Header=BB210_15 Depth=1
	s_or_b32 exec_lo, exec_lo, s17
	s_delay_alu instid0(VALU_DEP_1) | instskip(NEXT) | instid1(VALU_DEP_2)
	v_dual_lshlrev_b32 v4, 16, v2 :: v_dual_lshlrev_b32 v0, 20, v64
	v_lshl_add_u32 v3, v3, 23, 0x3c000000
	v_mov_b32_e32 v102, v65
	s_delay_alu instid0(VALU_DEP_3) | instskip(NEXT) | instid1(VALU_DEP_1)
	v_and_b32_e32 v4, 0x80000000, v4
	v_or3_b32 v103, v0, v4, v3
.LBB210_672:                            ;   in Loop: Header=BB210_15 Depth=1
	s_or_b32 exec_lo, exec_lo, s16
.LBB210_673:                            ;   in Loop: Header=BB210_15 Depth=1
	s_delay_alu instid0(SALU_CYCLE_1)
	s_or_b32 exec_lo, exec_lo, s15
.LBB210_674:                            ;   in Loop: Header=BB210_15 Depth=1
	s_delay_alu instid0(SALU_CYCLE_1) | instskip(SKIP_4) | instid1(VALU_DEP_3)
	s_or_b32 exec_lo, exec_lo, s14
	v_lshrrev_b32_e32 v3, 16, v2
	v_mov_b64_e32 v[114:115], 0
	v_mov_b64_e32 v[32:33], 0
	s_mov_b32 s14, exec_lo
	v_and_b32_e32 v0, 0xff, v3
	s_delay_alu instid0(VALU_DEP_1)
	v_cmpx_ne_u16_e32 0, v0
	s_cbranch_execz .LBB210_682
; %bb.675:                              ;   in Loop: Header=BB210_15 Depth=1
	v_mov_b64_e32 v[32:33], 0x80000000
	s_mov_b32 s15, exec_lo
	v_cmpx_ne_u16_e32 0x80, v0
	s_cbranch_execz .LBB210_681
; %bb.676:                              ;   in Loop: Header=BB210_15 Depth=1
	v_mov_b64_e32 v[32:33], 0x7f800001
	v_bfe_u32 v5, v2, 16, 7
	s_mov_b32 s16, exec_lo
	s_delay_alu instid0(VALU_DEP_1)
	v_cmpx_ne_u32_e32 0x7f, v5
	s_cbranch_execz .LBB210_680
; %bb.677:                              ;   in Loop: Header=BB210_15 Depth=1
	v_dual_lshrrev_b32 v4, 3, v5 :: v_dual_bitop2_b32 v64, 7, v3 bitop3:0x40
	s_mov_b32 s17, exec_lo
	v_cmpx_gt_u32_e32 8, v5
; %bb.678:                              ;   in Loop: Header=BB210_15 Depth=1
	s_delay_alu instid0(VALU_DEP_2) | instskip(NEXT) | instid1(VALU_DEP_1)
	v_clz_i32_u32_e32 v4, v64
	v_min_u32_e32 v4, 32, v4
	s_delay_alu instid0(VALU_DEP_1) | instskip(NEXT) | instid1(VALU_DEP_1)
	v_subrev_nc_u32_e32 v5, 28, v4
	v_lshlrev_b64_e32 v[10:11], v5, v[64:65]
	s_delay_alu instid0(VALU_DEP_1)
	v_dual_sub_nc_u32 v4, 29, v4 :: v_dual_bitop2_b32 v64, 7, v10 bitop3:0x40
; %bb.679:                              ;   in Loop: Header=BB210_15 Depth=1
	s_or_b32 exec_lo, exec_lo, s17
	s_delay_alu instid0(VALU_DEP_1) | instskip(NEXT) | instid1(VALU_DEP_2)
	v_dual_lshlrev_b32 v3, 24, v3 :: v_dual_lshlrev_b32 v0, 20, v64
	v_lshl_add_u32 v4, v4, 23, 0x3c000000
	s_delay_alu instid0(VALU_DEP_2) | instskip(NEXT) | instid1(VALU_DEP_1)
	v_and_b32_e32 v3, 0x80000000, v3
	v_or3_b32 v64, v0, v3, v4
	s_delay_alu instid0(VALU_DEP_1)
	v_mov_b64_e32 v[32:33], v[64:65]
.LBB210_680:                            ;   in Loop: Header=BB210_15 Depth=1
	s_or_b32 exec_lo, exec_lo, s16
.LBB210_681:                            ;   in Loop: Header=BB210_15 Depth=1
	s_delay_alu instid0(SALU_CYCLE_1)
	s_or_b32 exec_lo, exec_lo, s15
.LBB210_682:                            ;   in Loop: Header=BB210_15 Depth=1
	s_delay_alu instid0(SALU_CYCLE_1) | instskip(NEXT) | instid1(SALU_CYCLE_1)
	s_or_b32 exec_lo, exec_lo, s14
	s_mov_b32 s14, exec_lo
	v_cmpx_lt_u32_e32 0xffffff, v2
	s_cbranch_execz .LBB210_690
; %bb.683:                              ;   in Loop: Header=BB210_15 Depth=1
	v_mov_b64_e32 v[114:115], 0x8000000000000000
	v_lshrrev_b32_e32 v3, 24, v2
	s_mov_b32 s15, exec_lo
	s_delay_alu instid0(VALU_DEP_1)
	v_cmpx_ne_u32_e32 0x80, v3
	s_cbranch_execz .LBB210_689
; %bb.684:                              ;   in Loop: Header=BB210_15 Depth=1
	v_mov_b64_e32 v[114:115], 0x7f80000100000000
	v_bfe_u32 v4, v2, 24, 7
	s_mov_b32 s16, exec_lo
	s_delay_alu instid0(VALU_DEP_1)
	v_cmpx_ne_u32_e32 0x7f, v4
	s_cbranch_execz .LBB210_688
; %bb.685:                              ;   in Loop: Header=BB210_15 Depth=1
	v_dual_lshrrev_b32 v2, 3, v4 :: v_dual_bitop2_b32 v64, 7, v3 bitop3:0x40
	s_mov_b32 s17, exec_lo
	v_cmpx_gt_u32_e32 8, v4
; %bb.686:                              ;   in Loop: Header=BB210_15 Depth=1
	s_delay_alu instid0(VALU_DEP_2) | instskip(NEXT) | instid1(VALU_DEP_1)
	v_clz_i32_u32_e32 v2, v64
	v_min_u32_e32 v2, 32, v2
	s_delay_alu instid0(VALU_DEP_1) | instskip(NEXT) | instid1(VALU_DEP_1)
	v_subrev_nc_u32_e32 v4, 28, v2
	v_lshlrev_b64_e32 v[4:5], v4, v[64:65]
	s_delay_alu instid0(VALU_DEP_1)
	v_dual_sub_nc_u32 v2, 29, v2 :: v_dual_bitop2_b32 v64, 7, v4 bitop3:0x40
; %bb.687:                              ;   in Loop: Header=BB210_15 Depth=1
	s_or_b32 exec_lo, exec_lo, s17
	s_delay_alu instid0(VALU_DEP_1) | instskip(NEXT) | instid1(VALU_DEP_2)
	v_dual_lshlrev_b32 v3, 24, v3 :: v_dual_lshlrev_b32 v0, 20, v64
	v_lshl_add_u32 v2, v2, 23, 0x3c000000
	v_mov_b32_e32 v114, v65
	s_delay_alu instid0(VALU_DEP_3) | instskip(NEXT) | instid1(VALU_DEP_1)
	v_and_b32_e32 v3, 0x80000000, v3
	v_or3_b32 v115, v0, v3, v2
.LBB210_688:                            ;   in Loop: Header=BB210_15 Depth=1
	s_or_b32 exec_lo, exec_lo, s16
.LBB210_689:                            ;   in Loop: Header=BB210_15 Depth=1
	s_delay_alu instid0(SALU_CYCLE_1)
	s_or_b32 exec_lo, exec_lo, s15
.LBB210_690:                            ;   in Loop: Header=BB210_15 Depth=1
	s_delay_alu instid0(SALU_CYCLE_1)
	s_or_b32 exec_lo, exec_lo, s14
	flat_load_b32 v2, v[52:53] offset:2564
	v_mov_b64_e32 v[118:119], 0
	v_mov_b64_e32 v[58:59], 0
	s_mov_b32 s14, exec_lo
	s_wait_loadcnt_dscnt 0x0
	v_and_b32_e32 v0, 0xff, v2
	s_wait_xcnt 0x0
	s_delay_alu instid0(VALU_DEP_1)
	v_cmpx_ne_u16_e32 0, v0
	s_cbranch_execz .LBB210_698
; %bb.691:                              ;   in Loop: Header=BB210_15 Depth=1
	v_mov_b64_e32 v[58:59], 0x80000000
	s_mov_b32 s15, exec_lo
	v_cmpx_ne_u16_e32 0x80, v0
	s_cbranch_execz .LBB210_697
; %bb.692:                              ;   in Loop: Header=BB210_15 Depth=1
	v_mov_b64_e32 v[58:59], 0x7f800001
	v_and_b32_e32 v4, 0x7f, v2
	s_mov_b32 s16, exec_lo
	s_delay_alu instid0(VALU_DEP_1)
	v_cmpx_ne_u32_e32 0x7f, v4
	s_cbranch_execz .LBB210_696
; %bb.693:                              ;   in Loop: Header=BB210_15 Depth=1
	v_dual_lshrrev_b32 v3, 3, v4 :: v_dual_bitop2_b32 v64, 7, v2 bitop3:0x40
	s_mov_b32 s17, exec_lo
	v_cmpx_gt_u32_e32 8, v4
; %bb.694:                              ;   in Loop: Header=BB210_15 Depth=1
	s_delay_alu instid0(VALU_DEP_2) | instskip(NEXT) | instid1(VALU_DEP_1)
	v_clz_i32_u32_e32 v3, v64
	v_min_u32_e32 v3, 32, v3
	s_delay_alu instid0(VALU_DEP_1) | instskip(NEXT) | instid1(VALU_DEP_1)
	v_subrev_nc_u32_e32 v4, 28, v3
	v_lshlrev_b64_e32 v[4:5], v4, v[64:65]
	s_delay_alu instid0(VALU_DEP_1)
	v_dual_sub_nc_u32 v3, 29, v3 :: v_dual_bitop2_b32 v64, 7, v4 bitop3:0x40
; %bb.695:                              ;   in Loop: Header=BB210_15 Depth=1
	s_or_b32 exec_lo, exec_lo, s17
	s_delay_alu instid0(VALU_DEP_1) | instskip(NEXT) | instid1(VALU_DEP_2)
	v_dual_lshlrev_b32 v4, 24, v2 :: v_dual_lshlrev_b32 v0, 20, v64
	v_lshl_add_u32 v3, v3, 23, 0x3c000000
	s_delay_alu instid0(VALU_DEP_2) | instskip(NEXT) | instid1(VALU_DEP_1)
	v_and_b32_e32 v4, 0x80000000, v4
	v_or3_b32 v64, v0, v4, v3
	s_delay_alu instid0(VALU_DEP_1)
	v_mov_b64_e32 v[58:59], v[64:65]
.LBB210_696:                            ;   in Loop: Header=BB210_15 Depth=1
	s_or_b32 exec_lo, exec_lo, s16
.LBB210_697:                            ;   in Loop: Header=BB210_15 Depth=1
	s_delay_alu instid0(SALU_CYCLE_1)
	s_or_b32 exec_lo, exec_lo, s15
.LBB210_698:                            ;   in Loop: Header=BB210_15 Depth=1
	s_delay_alu instid0(SALU_CYCLE_1) | instskip(SKIP_2) | instid1(VALU_DEP_1)
	s_or_b32 exec_lo, exec_lo, s14
	v_lshrrev_b16 v0, 8, v2
	s_mov_b32 s14, exec_lo
	v_cmpx_ne_u16_e32 0, v0
	s_cbranch_execz .LBB210_706
; %bb.699:                              ;   in Loop: Header=BB210_15 Depth=1
	v_mov_b64_e32 v[118:119], 0x8000000000000000
	s_mov_b32 s15, exec_lo
	v_cmpx_ne_u16_e32 0x80, v0
	s_cbranch_execz .LBB210_705
; %bb.700:                              ;   in Loop: Header=BB210_15 Depth=1
	v_and_b32_e32 v0, 0xffff, v0
	v_mov_b64_e32 v[118:119], 0x7f80000100000000
	s_mov_b32 s16, exec_lo
	s_delay_alu instid0(VALU_DEP_2) | instskip(NEXT) | instid1(VALU_DEP_1)
	v_and_b32_e32 v4, 0x7f, v0
	v_cmpx_ne_u32_e32 0x7f, v4
	s_cbranch_execz .LBB210_704
; %bb.701:                              ;   in Loop: Header=BB210_15 Depth=1
	v_and_b32_e32 v64, 7, v0
	v_lshrrev_b32_e32 v3, 3, v4
	s_mov_b32 s17, exec_lo
	v_cmpx_gt_u32_e32 8, v4
; %bb.702:                              ;   in Loop: Header=BB210_15 Depth=1
	s_delay_alu instid0(VALU_DEP_3) | instskip(NEXT) | instid1(VALU_DEP_1)
	v_clz_i32_u32_e32 v3, v64
	v_min_u32_e32 v3, 32, v3
	s_delay_alu instid0(VALU_DEP_1) | instskip(NEXT) | instid1(VALU_DEP_1)
	v_subrev_nc_u32_e32 v4, 28, v3
	v_lshlrev_b64_e32 v[4:5], v4, v[64:65]
	s_delay_alu instid0(VALU_DEP_1)
	v_dual_sub_nc_u32 v3, 29, v3 :: v_dual_bitop2_b32 v64, 7, v4 bitop3:0x40
; %bb.703:                              ;   in Loop: Header=BB210_15 Depth=1
	s_or_b32 exec_lo, exec_lo, s17
	s_delay_alu instid0(VALU_DEP_1) | instskip(NEXT) | instid1(VALU_DEP_2)
	v_dual_lshlrev_b32 v4, 16, v2 :: v_dual_lshlrev_b32 v0, 20, v64
	v_lshl_add_u32 v3, v3, 23, 0x3c000000
	v_mov_b32_e32 v118, v65
	s_delay_alu instid0(VALU_DEP_3) | instskip(NEXT) | instid1(VALU_DEP_1)
	v_and_b32_e32 v4, 0x80000000, v4
	v_or3_b32 v119, v0, v4, v3
.LBB210_704:                            ;   in Loop: Header=BB210_15 Depth=1
	s_or_b32 exec_lo, exec_lo, s16
.LBB210_705:                            ;   in Loop: Header=BB210_15 Depth=1
	s_delay_alu instid0(SALU_CYCLE_1)
	s_or_b32 exec_lo, exec_lo, s15
.LBB210_706:                            ;   in Loop: Header=BB210_15 Depth=1
	s_delay_alu instid0(SALU_CYCLE_1) | instskip(SKIP_4) | instid1(VALU_DEP_3)
	s_or_b32 exec_lo, exec_lo, s14
	v_lshrrev_b32_e32 v3, 16, v2
	v_mov_b64_e32 v[42:43], 0
	v_mov_b64_e32 v[62:63], 0
	s_mov_b32 s14, exec_lo
	v_and_b32_e32 v0, 0xff, v3
	s_delay_alu instid0(VALU_DEP_1)
	v_cmpx_ne_u16_e32 0, v0
	s_cbranch_execz .LBB210_714
; %bb.707:                              ;   in Loop: Header=BB210_15 Depth=1
	v_mov_b64_e32 v[62:63], 0x80000000
	s_mov_b32 s15, exec_lo
	v_cmpx_ne_u16_e32 0x80, v0
	s_cbranch_execz .LBB210_713
; %bb.708:                              ;   in Loop: Header=BB210_15 Depth=1
	v_mov_b64_e32 v[62:63], 0x7f800001
	v_bfe_u32 v5, v2, 16, 7
	s_mov_b32 s16, exec_lo
	s_delay_alu instid0(VALU_DEP_1)
	v_cmpx_ne_u32_e32 0x7f, v5
	s_cbranch_execz .LBB210_712
; %bb.709:                              ;   in Loop: Header=BB210_15 Depth=1
	v_dual_lshrrev_b32 v4, 3, v5 :: v_dual_bitop2_b32 v64, 7, v3 bitop3:0x40
	s_mov_b32 s17, exec_lo
	v_cmpx_gt_u32_e32 8, v5
; %bb.710:                              ;   in Loop: Header=BB210_15 Depth=1
	s_delay_alu instid0(VALU_DEP_2) | instskip(NEXT) | instid1(VALU_DEP_1)
	v_clz_i32_u32_e32 v4, v64
	v_min_u32_e32 v4, 32, v4
	s_delay_alu instid0(VALU_DEP_1) | instskip(NEXT) | instid1(VALU_DEP_1)
	v_subrev_nc_u32_e32 v5, 28, v4
	v_lshlrev_b64_e32 v[10:11], v5, v[64:65]
	s_delay_alu instid0(VALU_DEP_1)
	v_dual_sub_nc_u32 v4, 29, v4 :: v_dual_bitop2_b32 v64, 7, v10 bitop3:0x40
; %bb.711:                              ;   in Loop: Header=BB210_15 Depth=1
	s_or_b32 exec_lo, exec_lo, s17
	s_delay_alu instid0(VALU_DEP_1) | instskip(NEXT) | instid1(VALU_DEP_2)
	v_dual_lshlrev_b32 v3, 24, v3 :: v_dual_lshlrev_b32 v0, 20, v64
	v_lshl_add_u32 v4, v4, 23, 0x3c000000
	s_delay_alu instid0(VALU_DEP_2) | instskip(NEXT) | instid1(VALU_DEP_1)
	v_and_b32_e32 v3, 0x80000000, v3
	v_or3_b32 v64, v0, v3, v4
	s_delay_alu instid0(VALU_DEP_1)
	v_mov_b64_e32 v[62:63], v[64:65]
.LBB210_712:                            ;   in Loop: Header=BB210_15 Depth=1
	s_or_b32 exec_lo, exec_lo, s16
.LBB210_713:                            ;   in Loop: Header=BB210_15 Depth=1
	s_delay_alu instid0(SALU_CYCLE_1)
	s_or_b32 exec_lo, exec_lo, s15
.LBB210_714:                            ;   in Loop: Header=BB210_15 Depth=1
	s_delay_alu instid0(SALU_CYCLE_1) | instskip(NEXT) | instid1(SALU_CYCLE_1)
	s_or_b32 exec_lo, exec_lo, s14
	s_mov_b32 s14, exec_lo
	v_cmpx_lt_u32_e32 0xffffff, v2
	s_cbranch_execz .LBB210_722
; %bb.715:                              ;   in Loop: Header=BB210_15 Depth=1
	v_mov_b64_e32 v[42:43], 0x8000000000000000
	v_lshrrev_b32_e32 v3, 24, v2
	s_mov_b32 s15, exec_lo
	s_delay_alu instid0(VALU_DEP_1)
	v_cmpx_ne_u32_e32 0x80, v3
	s_cbranch_execz .LBB210_721
; %bb.716:                              ;   in Loop: Header=BB210_15 Depth=1
	v_mov_b64_e32 v[42:43], 0x7f80000100000000
	v_bfe_u32 v4, v2, 24, 7
	s_mov_b32 s16, exec_lo
	s_delay_alu instid0(VALU_DEP_1)
	v_cmpx_ne_u32_e32 0x7f, v4
	s_cbranch_execz .LBB210_720
; %bb.717:                              ;   in Loop: Header=BB210_15 Depth=1
	v_dual_lshrrev_b32 v2, 3, v4 :: v_dual_bitop2_b32 v64, 7, v3 bitop3:0x40
	s_mov_b32 s17, exec_lo
	v_cmpx_gt_u32_e32 8, v4
; %bb.718:                              ;   in Loop: Header=BB210_15 Depth=1
	s_delay_alu instid0(VALU_DEP_2) | instskip(NEXT) | instid1(VALU_DEP_1)
	v_clz_i32_u32_e32 v2, v64
	v_min_u32_e32 v2, 32, v2
	s_delay_alu instid0(VALU_DEP_1) | instskip(NEXT) | instid1(VALU_DEP_1)
	v_subrev_nc_u32_e32 v4, 28, v2
	v_lshlrev_b64_e32 v[4:5], v4, v[64:65]
	s_delay_alu instid0(VALU_DEP_1)
	v_dual_sub_nc_u32 v2, 29, v2 :: v_dual_bitop2_b32 v64, 7, v4 bitop3:0x40
; %bb.719:                              ;   in Loop: Header=BB210_15 Depth=1
	s_or_b32 exec_lo, exec_lo, s17
	s_delay_alu instid0(VALU_DEP_1) | instskip(NEXT) | instid1(VALU_DEP_2)
	v_dual_lshlrev_b32 v3, 24, v3 :: v_dual_lshlrev_b32 v0, 20, v64
	v_lshl_add_u32 v2, v2, 23, 0x3c000000
	v_mov_b32_e32 v42, v65
	s_delay_alu instid0(VALU_DEP_3) | instskip(NEXT) | instid1(VALU_DEP_1)
	v_and_b32_e32 v3, 0x80000000, v3
	v_or3_b32 v43, v0, v3, v2
.LBB210_720:                            ;   in Loop: Header=BB210_15 Depth=1
	s_or_b32 exec_lo, exec_lo, s16
.LBB210_721:                            ;   in Loop: Header=BB210_15 Depth=1
	s_delay_alu instid0(SALU_CYCLE_1)
	s_or_b32 exec_lo, exec_lo, s15
.LBB210_722:                            ;   in Loop: Header=BB210_15 Depth=1
	s_delay_alu instid0(SALU_CYCLE_1)
	s_or_b32 exec_lo, exec_lo, s14
	flat_load_b32 v2, v[52:53] offset:2568
	v_mov_b64_e32 v[46:47], 0
	v_mov_b64_e32 v[74:75], 0
	s_mov_b32 s14, exec_lo
	s_wait_loadcnt_dscnt 0x0
	v_and_b32_e32 v0, 0xff, v2
	s_wait_xcnt 0x0
	s_delay_alu instid0(VALU_DEP_1)
	v_cmpx_ne_u16_e32 0, v0
	s_cbranch_execz .LBB210_730
; %bb.723:                              ;   in Loop: Header=BB210_15 Depth=1
	v_mov_b64_e32 v[74:75], 0x80000000
	s_mov_b32 s15, exec_lo
	v_cmpx_ne_u16_e32 0x80, v0
	s_cbranch_execz .LBB210_729
; %bb.724:                              ;   in Loop: Header=BB210_15 Depth=1
	v_mov_b64_e32 v[74:75], 0x7f800001
	v_and_b32_e32 v4, 0x7f, v2
	s_mov_b32 s16, exec_lo
	s_delay_alu instid0(VALU_DEP_1)
	v_cmpx_ne_u32_e32 0x7f, v4
	s_cbranch_execz .LBB210_728
; %bb.725:                              ;   in Loop: Header=BB210_15 Depth=1
	v_dual_lshrrev_b32 v3, 3, v4 :: v_dual_bitop2_b32 v64, 7, v2 bitop3:0x40
	s_mov_b32 s17, exec_lo
	v_cmpx_gt_u32_e32 8, v4
; %bb.726:                              ;   in Loop: Header=BB210_15 Depth=1
	s_delay_alu instid0(VALU_DEP_2) | instskip(NEXT) | instid1(VALU_DEP_1)
	v_clz_i32_u32_e32 v3, v64
	v_min_u32_e32 v3, 32, v3
	s_delay_alu instid0(VALU_DEP_1) | instskip(NEXT) | instid1(VALU_DEP_1)
	v_subrev_nc_u32_e32 v4, 28, v3
	v_lshlrev_b64_e32 v[4:5], v4, v[64:65]
	s_delay_alu instid0(VALU_DEP_1)
	v_dual_sub_nc_u32 v3, 29, v3 :: v_dual_bitop2_b32 v64, 7, v4 bitop3:0x40
; %bb.727:                              ;   in Loop: Header=BB210_15 Depth=1
	s_or_b32 exec_lo, exec_lo, s17
	s_delay_alu instid0(VALU_DEP_1) | instskip(NEXT) | instid1(VALU_DEP_2)
	v_dual_lshlrev_b32 v4, 24, v2 :: v_dual_lshlrev_b32 v0, 20, v64
	v_lshl_add_u32 v3, v3, 23, 0x3c000000
	s_delay_alu instid0(VALU_DEP_2) | instskip(NEXT) | instid1(VALU_DEP_1)
	v_and_b32_e32 v4, 0x80000000, v4
	v_or3_b32 v64, v0, v4, v3
	s_delay_alu instid0(VALU_DEP_1)
	v_mov_b64_e32 v[74:75], v[64:65]
.LBB210_728:                            ;   in Loop: Header=BB210_15 Depth=1
	s_or_b32 exec_lo, exec_lo, s16
.LBB210_729:                            ;   in Loop: Header=BB210_15 Depth=1
	s_delay_alu instid0(SALU_CYCLE_1)
	s_or_b32 exec_lo, exec_lo, s15
.LBB210_730:                            ;   in Loop: Header=BB210_15 Depth=1
	s_delay_alu instid0(SALU_CYCLE_1) | instskip(SKIP_2) | instid1(VALU_DEP_1)
	s_or_b32 exec_lo, exec_lo, s14
	v_lshrrev_b16 v0, 8, v2
	s_mov_b32 s14, exec_lo
	v_cmpx_ne_u16_e32 0, v0
	s_cbranch_execz .LBB210_738
; %bb.731:                              ;   in Loop: Header=BB210_15 Depth=1
	v_mov_b64_e32 v[46:47], 0x8000000000000000
	s_mov_b32 s15, exec_lo
	v_cmpx_ne_u16_e32 0x80, v0
	s_cbranch_execz .LBB210_737
; %bb.732:                              ;   in Loop: Header=BB210_15 Depth=1
	v_and_b32_e32 v0, 0xffff, v0
	v_mov_b64_e32 v[46:47], 0x7f80000100000000
	s_mov_b32 s16, exec_lo
	s_delay_alu instid0(VALU_DEP_2) | instskip(NEXT) | instid1(VALU_DEP_1)
	v_and_b32_e32 v4, 0x7f, v0
	v_cmpx_ne_u32_e32 0x7f, v4
	s_cbranch_execz .LBB210_736
; %bb.733:                              ;   in Loop: Header=BB210_15 Depth=1
	v_and_b32_e32 v64, 7, v0
	v_lshrrev_b32_e32 v3, 3, v4
	s_mov_b32 s17, exec_lo
	v_cmpx_gt_u32_e32 8, v4
; %bb.734:                              ;   in Loop: Header=BB210_15 Depth=1
	s_delay_alu instid0(VALU_DEP_3) | instskip(NEXT) | instid1(VALU_DEP_1)
	v_clz_i32_u32_e32 v3, v64
	v_min_u32_e32 v3, 32, v3
	s_delay_alu instid0(VALU_DEP_1) | instskip(NEXT) | instid1(VALU_DEP_1)
	v_subrev_nc_u32_e32 v4, 28, v3
	v_lshlrev_b64_e32 v[4:5], v4, v[64:65]
	s_delay_alu instid0(VALU_DEP_1)
	v_dual_sub_nc_u32 v3, 29, v3 :: v_dual_bitop2_b32 v64, 7, v4 bitop3:0x40
; %bb.735:                              ;   in Loop: Header=BB210_15 Depth=1
	s_or_b32 exec_lo, exec_lo, s17
	s_delay_alu instid0(VALU_DEP_1) | instskip(NEXT) | instid1(VALU_DEP_2)
	v_dual_lshlrev_b32 v4, 16, v2 :: v_dual_lshlrev_b32 v0, 20, v64
	v_lshl_add_u32 v3, v3, 23, 0x3c000000
	v_mov_b32_e32 v46, v65
	s_delay_alu instid0(VALU_DEP_3) | instskip(NEXT) | instid1(VALU_DEP_1)
	v_and_b32_e32 v4, 0x80000000, v4
	v_or3_b32 v47, v0, v4, v3
.LBB210_736:                            ;   in Loop: Header=BB210_15 Depth=1
	s_or_b32 exec_lo, exec_lo, s16
.LBB210_737:                            ;   in Loop: Header=BB210_15 Depth=1
	s_delay_alu instid0(SALU_CYCLE_1)
	s_or_b32 exec_lo, exec_lo, s15
.LBB210_738:                            ;   in Loop: Header=BB210_15 Depth=1
	s_delay_alu instid0(SALU_CYCLE_1) | instskip(SKIP_4) | instid1(VALU_DEP_3)
	s_or_b32 exec_lo, exec_lo, s14
	v_lshrrev_b32_e32 v3, 16, v2
	v_mov_b64_e32 v[56:57], 0
	v_mov_b64_e32 v[78:79], 0
	s_mov_b32 s14, exec_lo
	v_and_b32_e32 v0, 0xff, v3
	s_delay_alu instid0(VALU_DEP_1)
	v_cmpx_ne_u16_e32 0, v0
	s_cbranch_execz .LBB210_746
; %bb.739:                              ;   in Loop: Header=BB210_15 Depth=1
	v_mov_b64_e32 v[78:79], 0x80000000
	s_mov_b32 s15, exec_lo
	v_cmpx_ne_u16_e32 0x80, v0
	s_cbranch_execz .LBB210_745
; %bb.740:                              ;   in Loop: Header=BB210_15 Depth=1
	v_mov_b64_e32 v[78:79], 0x7f800001
	v_bfe_u32 v5, v2, 16, 7
	s_mov_b32 s16, exec_lo
	s_delay_alu instid0(VALU_DEP_1)
	v_cmpx_ne_u32_e32 0x7f, v5
	s_cbranch_execz .LBB210_744
; %bb.741:                              ;   in Loop: Header=BB210_15 Depth=1
	v_dual_lshrrev_b32 v4, 3, v5 :: v_dual_bitop2_b32 v64, 7, v3 bitop3:0x40
	s_mov_b32 s17, exec_lo
	v_cmpx_gt_u32_e32 8, v5
; %bb.742:                              ;   in Loop: Header=BB210_15 Depth=1
	s_delay_alu instid0(VALU_DEP_2) | instskip(NEXT) | instid1(VALU_DEP_1)
	v_clz_i32_u32_e32 v4, v64
	v_min_u32_e32 v4, 32, v4
	s_delay_alu instid0(VALU_DEP_1) | instskip(NEXT) | instid1(VALU_DEP_1)
	v_subrev_nc_u32_e32 v5, 28, v4
	v_lshlrev_b64_e32 v[10:11], v5, v[64:65]
	s_delay_alu instid0(VALU_DEP_1)
	v_dual_sub_nc_u32 v4, 29, v4 :: v_dual_bitop2_b32 v64, 7, v10 bitop3:0x40
; %bb.743:                              ;   in Loop: Header=BB210_15 Depth=1
	s_or_b32 exec_lo, exec_lo, s17
	s_delay_alu instid0(VALU_DEP_1) | instskip(NEXT) | instid1(VALU_DEP_2)
	v_dual_lshlrev_b32 v3, 24, v3 :: v_dual_lshlrev_b32 v0, 20, v64
	v_lshl_add_u32 v4, v4, 23, 0x3c000000
	s_delay_alu instid0(VALU_DEP_2) | instskip(NEXT) | instid1(VALU_DEP_1)
	v_and_b32_e32 v3, 0x80000000, v3
	v_or3_b32 v64, v0, v3, v4
	s_delay_alu instid0(VALU_DEP_1)
	v_mov_b64_e32 v[78:79], v[64:65]
.LBB210_744:                            ;   in Loop: Header=BB210_15 Depth=1
	s_or_b32 exec_lo, exec_lo, s16
.LBB210_745:                            ;   in Loop: Header=BB210_15 Depth=1
	s_delay_alu instid0(SALU_CYCLE_1)
	s_or_b32 exec_lo, exec_lo, s15
.LBB210_746:                            ;   in Loop: Header=BB210_15 Depth=1
	s_delay_alu instid0(SALU_CYCLE_1) | instskip(NEXT) | instid1(SALU_CYCLE_1)
	s_or_b32 exec_lo, exec_lo, s14
	s_mov_b32 s14, exec_lo
	v_cmpx_lt_u32_e32 0xffffff, v2
	s_cbranch_execz .LBB210_754
; %bb.747:                              ;   in Loop: Header=BB210_15 Depth=1
	v_mov_b64_e32 v[56:57], 0x8000000000000000
	v_lshrrev_b32_e32 v3, 24, v2
	s_mov_b32 s15, exec_lo
	s_delay_alu instid0(VALU_DEP_1)
	v_cmpx_ne_u32_e32 0x80, v3
	s_cbranch_execz .LBB210_753
; %bb.748:                              ;   in Loop: Header=BB210_15 Depth=1
	v_mov_b64_e32 v[56:57], 0x7f80000100000000
	v_bfe_u32 v4, v2, 24, 7
	s_mov_b32 s16, exec_lo
	s_delay_alu instid0(VALU_DEP_1)
	v_cmpx_ne_u32_e32 0x7f, v4
	s_cbranch_execz .LBB210_752
; %bb.749:                              ;   in Loop: Header=BB210_15 Depth=1
	v_dual_lshrrev_b32 v2, 3, v4 :: v_dual_bitop2_b32 v64, 7, v3 bitop3:0x40
	s_mov_b32 s17, exec_lo
	v_cmpx_gt_u32_e32 8, v4
; %bb.750:                              ;   in Loop: Header=BB210_15 Depth=1
	s_delay_alu instid0(VALU_DEP_2) | instskip(NEXT) | instid1(VALU_DEP_1)
	v_clz_i32_u32_e32 v2, v64
	v_min_u32_e32 v2, 32, v2
	s_delay_alu instid0(VALU_DEP_1) | instskip(NEXT) | instid1(VALU_DEP_1)
	v_subrev_nc_u32_e32 v4, 28, v2
	v_lshlrev_b64_e32 v[4:5], v4, v[64:65]
	s_delay_alu instid0(VALU_DEP_1)
	v_dual_sub_nc_u32 v2, 29, v2 :: v_dual_bitop2_b32 v64, 7, v4 bitop3:0x40
; %bb.751:                              ;   in Loop: Header=BB210_15 Depth=1
	s_or_b32 exec_lo, exec_lo, s17
	s_delay_alu instid0(VALU_DEP_1) | instskip(NEXT) | instid1(VALU_DEP_2)
	v_dual_lshlrev_b32 v3, 24, v3 :: v_dual_lshlrev_b32 v0, 20, v64
	v_lshl_add_u32 v2, v2, 23, 0x3c000000
	v_mov_b32_e32 v56, v65
	s_delay_alu instid0(VALU_DEP_3) | instskip(NEXT) | instid1(VALU_DEP_1)
	v_and_b32_e32 v3, 0x80000000, v3
	v_or3_b32 v57, v0, v3, v2
.LBB210_752:                            ;   in Loop: Header=BB210_15 Depth=1
	s_or_b32 exec_lo, exec_lo, s16
.LBB210_753:                            ;   in Loop: Header=BB210_15 Depth=1
	s_delay_alu instid0(SALU_CYCLE_1)
	s_or_b32 exec_lo, exec_lo, s15
.LBB210_754:                            ;   in Loop: Header=BB210_15 Depth=1
	s_delay_alu instid0(SALU_CYCLE_1)
	s_or_b32 exec_lo, exec_lo, s14
	flat_load_b32 v2, v[52:53] offset:2572
	v_mov_b64_e32 v[60:61], 0
	v_mov_b64_e32 v[90:91], 0
	s_mov_b32 s14, exec_lo
	s_wait_loadcnt_dscnt 0x0
	v_and_b32_e32 v0, 0xff, v2
	s_wait_xcnt 0x0
	s_delay_alu instid0(VALU_DEP_1)
	v_cmpx_ne_u16_e32 0, v0
	s_cbranch_execz .LBB210_762
; %bb.755:                              ;   in Loop: Header=BB210_15 Depth=1
	v_mov_b64_e32 v[90:91], 0x80000000
	s_mov_b32 s15, exec_lo
	v_cmpx_ne_u16_e32 0x80, v0
	s_cbranch_execz .LBB210_761
; %bb.756:                              ;   in Loop: Header=BB210_15 Depth=1
	v_mov_b64_e32 v[90:91], 0x7f800001
	v_and_b32_e32 v4, 0x7f, v2
	s_mov_b32 s16, exec_lo
	s_delay_alu instid0(VALU_DEP_1)
	v_cmpx_ne_u32_e32 0x7f, v4
	s_cbranch_execz .LBB210_760
; %bb.757:                              ;   in Loop: Header=BB210_15 Depth=1
	v_dual_lshrrev_b32 v3, 3, v4 :: v_dual_bitop2_b32 v64, 7, v2 bitop3:0x40
	s_mov_b32 s17, exec_lo
	v_cmpx_gt_u32_e32 8, v4
; %bb.758:                              ;   in Loop: Header=BB210_15 Depth=1
	s_delay_alu instid0(VALU_DEP_2) | instskip(NEXT) | instid1(VALU_DEP_1)
	v_clz_i32_u32_e32 v3, v64
	v_min_u32_e32 v3, 32, v3
	s_delay_alu instid0(VALU_DEP_1) | instskip(NEXT) | instid1(VALU_DEP_1)
	v_subrev_nc_u32_e32 v4, 28, v3
	v_lshlrev_b64_e32 v[4:5], v4, v[64:65]
	s_delay_alu instid0(VALU_DEP_1)
	v_dual_sub_nc_u32 v3, 29, v3 :: v_dual_bitop2_b32 v64, 7, v4 bitop3:0x40
; %bb.759:                              ;   in Loop: Header=BB210_15 Depth=1
	s_or_b32 exec_lo, exec_lo, s17
	s_delay_alu instid0(VALU_DEP_1) | instskip(NEXT) | instid1(VALU_DEP_2)
	v_dual_lshlrev_b32 v4, 24, v2 :: v_dual_lshlrev_b32 v0, 20, v64
	v_lshl_add_u32 v3, v3, 23, 0x3c000000
	s_delay_alu instid0(VALU_DEP_2) | instskip(NEXT) | instid1(VALU_DEP_1)
	v_and_b32_e32 v4, 0x80000000, v4
	v_or3_b32 v64, v0, v4, v3
	s_delay_alu instid0(VALU_DEP_1)
	v_mov_b64_e32 v[90:91], v[64:65]
.LBB210_760:                            ;   in Loop: Header=BB210_15 Depth=1
	s_or_b32 exec_lo, exec_lo, s16
.LBB210_761:                            ;   in Loop: Header=BB210_15 Depth=1
	s_delay_alu instid0(SALU_CYCLE_1)
	s_or_b32 exec_lo, exec_lo, s15
.LBB210_762:                            ;   in Loop: Header=BB210_15 Depth=1
	s_delay_alu instid0(SALU_CYCLE_1) | instskip(SKIP_2) | instid1(VALU_DEP_1)
	s_or_b32 exec_lo, exec_lo, s14
	v_lshrrev_b16 v0, 8, v2
	s_mov_b32 s14, exec_lo
	v_cmpx_ne_u16_e32 0, v0
	s_cbranch_execz .LBB210_770
; %bb.763:                              ;   in Loop: Header=BB210_15 Depth=1
	v_mov_b64_e32 v[60:61], 0x8000000000000000
	s_mov_b32 s15, exec_lo
	v_cmpx_ne_u16_e32 0x80, v0
	s_cbranch_execz .LBB210_769
; %bb.764:                              ;   in Loop: Header=BB210_15 Depth=1
	v_and_b32_e32 v0, 0xffff, v0
	v_mov_b64_e32 v[60:61], 0x7f80000100000000
	s_mov_b32 s16, exec_lo
	s_delay_alu instid0(VALU_DEP_2) | instskip(NEXT) | instid1(VALU_DEP_1)
	v_and_b32_e32 v4, 0x7f, v0
	v_cmpx_ne_u32_e32 0x7f, v4
	s_cbranch_execz .LBB210_768
; %bb.765:                              ;   in Loop: Header=BB210_15 Depth=1
	v_and_b32_e32 v64, 7, v0
	v_lshrrev_b32_e32 v3, 3, v4
	s_mov_b32 s17, exec_lo
	v_cmpx_gt_u32_e32 8, v4
; %bb.766:                              ;   in Loop: Header=BB210_15 Depth=1
	s_delay_alu instid0(VALU_DEP_3) | instskip(NEXT) | instid1(VALU_DEP_1)
	v_clz_i32_u32_e32 v3, v64
	v_min_u32_e32 v3, 32, v3
	s_delay_alu instid0(VALU_DEP_1) | instskip(NEXT) | instid1(VALU_DEP_1)
	v_subrev_nc_u32_e32 v4, 28, v3
	v_lshlrev_b64_e32 v[4:5], v4, v[64:65]
	s_delay_alu instid0(VALU_DEP_1)
	v_dual_sub_nc_u32 v3, 29, v3 :: v_dual_bitop2_b32 v64, 7, v4 bitop3:0x40
; %bb.767:                              ;   in Loop: Header=BB210_15 Depth=1
	s_or_b32 exec_lo, exec_lo, s17
	s_delay_alu instid0(VALU_DEP_1) | instskip(NEXT) | instid1(VALU_DEP_2)
	v_dual_lshlrev_b32 v4, 16, v2 :: v_dual_lshlrev_b32 v0, 20, v64
	v_lshl_add_u32 v3, v3, 23, 0x3c000000
	v_mov_b32_e32 v60, v65
	s_delay_alu instid0(VALU_DEP_3) | instskip(NEXT) | instid1(VALU_DEP_1)
	v_and_b32_e32 v4, 0x80000000, v4
	v_or3_b32 v61, v0, v4, v3
.LBB210_768:                            ;   in Loop: Header=BB210_15 Depth=1
	s_or_b32 exec_lo, exec_lo, s16
.LBB210_769:                            ;   in Loop: Header=BB210_15 Depth=1
	s_delay_alu instid0(SALU_CYCLE_1)
	s_or_b32 exec_lo, exec_lo, s15
.LBB210_770:                            ;   in Loop: Header=BB210_15 Depth=1
	s_delay_alu instid0(SALU_CYCLE_1) | instskip(SKIP_4) | instid1(VALU_DEP_3)
	s_or_b32 exec_lo, exec_lo, s14
	v_lshrrev_b32_e32 v3, 16, v2
	v_mov_b64_e32 v[72:73], 0
	v_mov_b64_e32 v[94:95], 0
	s_mov_b32 s14, exec_lo
	v_and_b32_e32 v0, 0xff, v3
	s_delay_alu instid0(VALU_DEP_1)
	v_cmpx_ne_u16_e32 0, v0
	s_cbranch_execz .LBB210_778
; %bb.771:                              ;   in Loop: Header=BB210_15 Depth=1
	v_mov_b64_e32 v[94:95], 0x80000000
	s_mov_b32 s15, exec_lo
	v_cmpx_ne_u16_e32 0x80, v0
	s_cbranch_execz .LBB210_777
; %bb.772:                              ;   in Loop: Header=BB210_15 Depth=1
	v_mov_b64_e32 v[94:95], 0x7f800001
	v_bfe_u32 v5, v2, 16, 7
	s_mov_b32 s16, exec_lo
	s_delay_alu instid0(VALU_DEP_1)
	v_cmpx_ne_u32_e32 0x7f, v5
	s_cbranch_execz .LBB210_776
; %bb.773:                              ;   in Loop: Header=BB210_15 Depth=1
	v_dual_lshrrev_b32 v4, 3, v5 :: v_dual_bitop2_b32 v64, 7, v3 bitop3:0x40
	s_mov_b32 s17, exec_lo
	v_cmpx_gt_u32_e32 8, v5
; %bb.774:                              ;   in Loop: Header=BB210_15 Depth=1
	s_delay_alu instid0(VALU_DEP_2) | instskip(NEXT) | instid1(VALU_DEP_1)
	v_clz_i32_u32_e32 v4, v64
	v_min_u32_e32 v4, 32, v4
	s_delay_alu instid0(VALU_DEP_1) | instskip(NEXT) | instid1(VALU_DEP_1)
	v_subrev_nc_u32_e32 v5, 28, v4
	v_lshlrev_b64_e32 v[10:11], v5, v[64:65]
	s_delay_alu instid0(VALU_DEP_1)
	v_dual_sub_nc_u32 v4, 29, v4 :: v_dual_bitop2_b32 v64, 7, v10 bitop3:0x40
; %bb.775:                              ;   in Loop: Header=BB210_15 Depth=1
	s_or_b32 exec_lo, exec_lo, s17
	s_delay_alu instid0(VALU_DEP_1) | instskip(NEXT) | instid1(VALU_DEP_2)
	v_dual_lshlrev_b32 v3, 24, v3 :: v_dual_lshlrev_b32 v0, 20, v64
	v_lshl_add_u32 v4, v4, 23, 0x3c000000
	s_delay_alu instid0(VALU_DEP_2) | instskip(NEXT) | instid1(VALU_DEP_1)
	v_and_b32_e32 v3, 0x80000000, v3
	v_or3_b32 v64, v0, v3, v4
	s_delay_alu instid0(VALU_DEP_1)
	v_mov_b64_e32 v[94:95], v[64:65]
.LBB210_776:                            ;   in Loop: Header=BB210_15 Depth=1
	s_or_b32 exec_lo, exec_lo, s16
.LBB210_777:                            ;   in Loop: Header=BB210_15 Depth=1
	s_delay_alu instid0(SALU_CYCLE_1)
	s_or_b32 exec_lo, exec_lo, s15
.LBB210_778:                            ;   in Loop: Header=BB210_15 Depth=1
	s_delay_alu instid0(SALU_CYCLE_1) | instskip(NEXT) | instid1(SALU_CYCLE_1)
	s_or_b32 exec_lo, exec_lo, s14
	s_mov_b32 s14, exec_lo
	v_cmpx_lt_u32_e32 0xffffff, v2
	s_cbranch_execz .LBB210_786
; %bb.779:                              ;   in Loop: Header=BB210_15 Depth=1
	v_mov_b64_e32 v[72:73], 0x8000000000000000
	v_lshrrev_b32_e32 v3, 24, v2
	s_mov_b32 s15, exec_lo
	s_delay_alu instid0(VALU_DEP_1)
	v_cmpx_ne_u32_e32 0x80, v3
	s_cbranch_execz .LBB210_785
; %bb.780:                              ;   in Loop: Header=BB210_15 Depth=1
	v_mov_b64_e32 v[72:73], 0x7f80000100000000
	v_bfe_u32 v4, v2, 24, 7
	s_mov_b32 s16, exec_lo
	s_delay_alu instid0(VALU_DEP_1)
	v_cmpx_ne_u32_e32 0x7f, v4
	s_cbranch_execz .LBB210_784
; %bb.781:                              ;   in Loop: Header=BB210_15 Depth=1
	v_dual_lshrrev_b32 v2, 3, v4 :: v_dual_bitop2_b32 v64, 7, v3 bitop3:0x40
	s_mov_b32 s17, exec_lo
	v_cmpx_gt_u32_e32 8, v4
; %bb.782:                              ;   in Loop: Header=BB210_15 Depth=1
	s_delay_alu instid0(VALU_DEP_2) | instskip(NEXT) | instid1(VALU_DEP_1)
	v_clz_i32_u32_e32 v2, v64
	v_min_u32_e32 v2, 32, v2
	s_delay_alu instid0(VALU_DEP_1) | instskip(NEXT) | instid1(VALU_DEP_1)
	v_subrev_nc_u32_e32 v4, 28, v2
	v_lshlrev_b64_e32 v[4:5], v4, v[64:65]
	s_delay_alu instid0(VALU_DEP_1)
	v_dual_sub_nc_u32 v2, 29, v2 :: v_dual_bitop2_b32 v64, 7, v4 bitop3:0x40
; %bb.783:                              ;   in Loop: Header=BB210_15 Depth=1
	s_or_b32 exec_lo, exec_lo, s17
	s_delay_alu instid0(VALU_DEP_1) | instskip(NEXT) | instid1(VALU_DEP_2)
	v_dual_lshlrev_b32 v3, 24, v3 :: v_dual_lshlrev_b32 v0, 20, v64
	v_lshl_add_u32 v2, v2, 23, 0x3c000000
	v_mov_b32_e32 v72, v65
	s_delay_alu instid0(VALU_DEP_3) | instskip(NEXT) | instid1(VALU_DEP_1)
	v_and_b32_e32 v3, 0x80000000, v3
	v_or3_b32 v73, v0, v3, v2
.LBB210_784:                            ;   in Loop: Header=BB210_15 Depth=1
	s_or_b32 exec_lo, exec_lo, s16
.LBB210_785:                            ;   in Loop: Header=BB210_15 Depth=1
	s_delay_alu instid0(SALU_CYCLE_1)
	s_or_b32 exec_lo, exec_lo, s15
.LBB210_786:                            ;   in Loop: Header=BB210_15 Depth=1
	s_delay_alu instid0(SALU_CYCLE_1)
	s_or_b32 exec_lo, exec_lo, s14
	flat_load_b32 v2, v[52:53] offset:3072
	v_mov_b64_e32 v[76:77], 0
	v_mov_b64_e32 v[106:107], 0
	s_mov_b32 s14, exec_lo
	s_wait_loadcnt_dscnt 0x0
	v_and_b32_e32 v0, 0xff, v2
	s_wait_xcnt 0x0
	s_delay_alu instid0(VALU_DEP_1)
	v_cmpx_ne_u16_e32 0, v0
	s_cbranch_execz .LBB210_794
; %bb.787:                              ;   in Loop: Header=BB210_15 Depth=1
	v_mov_b64_e32 v[106:107], 0x80000000
	s_mov_b32 s15, exec_lo
	v_cmpx_ne_u16_e32 0x80, v0
	s_cbranch_execz .LBB210_793
; %bb.788:                              ;   in Loop: Header=BB210_15 Depth=1
	v_mov_b64_e32 v[106:107], 0x7f800001
	v_and_b32_e32 v4, 0x7f, v2
	s_mov_b32 s16, exec_lo
	s_delay_alu instid0(VALU_DEP_1)
	v_cmpx_ne_u32_e32 0x7f, v4
	s_cbranch_execz .LBB210_792
; %bb.789:                              ;   in Loop: Header=BB210_15 Depth=1
	v_dual_lshrrev_b32 v3, 3, v4 :: v_dual_bitop2_b32 v64, 7, v2 bitop3:0x40
	s_mov_b32 s17, exec_lo
	v_cmpx_gt_u32_e32 8, v4
; %bb.790:                              ;   in Loop: Header=BB210_15 Depth=1
	s_delay_alu instid0(VALU_DEP_2) | instskip(NEXT) | instid1(VALU_DEP_1)
	v_clz_i32_u32_e32 v3, v64
	v_min_u32_e32 v3, 32, v3
	s_delay_alu instid0(VALU_DEP_1) | instskip(NEXT) | instid1(VALU_DEP_1)
	v_subrev_nc_u32_e32 v4, 28, v3
	v_lshlrev_b64_e32 v[4:5], v4, v[64:65]
	s_delay_alu instid0(VALU_DEP_1)
	v_dual_sub_nc_u32 v3, 29, v3 :: v_dual_bitop2_b32 v64, 7, v4 bitop3:0x40
; %bb.791:                              ;   in Loop: Header=BB210_15 Depth=1
	s_or_b32 exec_lo, exec_lo, s17
	s_delay_alu instid0(VALU_DEP_1) | instskip(NEXT) | instid1(VALU_DEP_2)
	v_dual_lshlrev_b32 v4, 24, v2 :: v_dual_lshlrev_b32 v0, 20, v64
	v_lshl_add_u32 v3, v3, 23, 0x3c000000
	s_delay_alu instid0(VALU_DEP_2) | instskip(NEXT) | instid1(VALU_DEP_1)
	v_and_b32_e32 v4, 0x80000000, v4
	v_or3_b32 v64, v0, v4, v3
	s_delay_alu instid0(VALU_DEP_1)
	v_mov_b64_e32 v[106:107], v[64:65]
.LBB210_792:                            ;   in Loop: Header=BB210_15 Depth=1
	s_or_b32 exec_lo, exec_lo, s16
.LBB210_793:                            ;   in Loop: Header=BB210_15 Depth=1
	s_delay_alu instid0(SALU_CYCLE_1)
	s_or_b32 exec_lo, exec_lo, s15
.LBB210_794:                            ;   in Loop: Header=BB210_15 Depth=1
	s_delay_alu instid0(SALU_CYCLE_1) | instskip(SKIP_2) | instid1(VALU_DEP_1)
	s_or_b32 exec_lo, exec_lo, s14
	v_lshrrev_b16 v0, 8, v2
	s_mov_b32 s14, exec_lo
	v_cmpx_ne_u16_e32 0, v0
	s_cbranch_execz .LBB210_802
; %bb.795:                              ;   in Loop: Header=BB210_15 Depth=1
	v_mov_b64_e32 v[76:77], 0x8000000000000000
	s_mov_b32 s15, exec_lo
	v_cmpx_ne_u16_e32 0x80, v0
	s_cbranch_execz .LBB210_801
; %bb.796:                              ;   in Loop: Header=BB210_15 Depth=1
	v_and_b32_e32 v0, 0xffff, v0
	v_mov_b64_e32 v[76:77], 0x7f80000100000000
	s_mov_b32 s16, exec_lo
	s_delay_alu instid0(VALU_DEP_2) | instskip(NEXT) | instid1(VALU_DEP_1)
	v_and_b32_e32 v4, 0x7f, v0
	v_cmpx_ne_u32_e32 0x7f, v4
	s_cbranch_execz .LBB210_800
; %bb.797:                              ;   in Loop: Header=BB210_15 Depth=1
	v_and_b32_e32 v64, 7, v0
	v_lshrrev_b32_e32 v3, 3, v4
	s_mov_b32 s17, exec_lo
	v_cmpx_gt_u32_e32 8, v4
; %bb.798:                              ;   in Loop: Header=BB210_15 Depth=1
	s_delay_alu instid0(VALU_DEP_3) | instskip(NEXT) | instid1(VALU_DEP_1)
	v_clz_i32_u32_e32 v3, v64
	v_min_u32_e32 v3, 32, v3
	s_delay_alu instid0(VALU_DEP_1) | instskip(NEXT) | instid1(VALU_DEP_1)
	v_subrev_nc_u32_e32 v4, 28, v3
	v_lshlrev_b64_e32 v[4:5], v4, v[64:65]
	s_delay_alu instid0(VALU_DEP_1)
	v_dual_sub_nc_u32 v3, 29, v3 :: v_dual_bitop2_b32 v64, 7, v4 bitop3:0x40
; %bb.799:                              ;   in Loop: Header=BB210_15 Depth=1
	s_or_b32 exec_lo, exec_lo, s17
	s_delay_alu instid0(VALU_DEP_1) | instskip(NEXT) | instid1(VALU_DEP_2)
	v_dual_lshlrev_b32 v4, 16, v2 :: v_dual_lshlrev_b32 v0, 20, v64
	v_lshl_add_u32 v3, v3, 23, 0x3c000000
	v_mov_b32_e32 v76, v65
	s_delay_alu instid0(VALU_DEP_3) | instskip(NEXT) | instid1(VALU_DEP_1)
	v_and_b32_e32 v4, 0x80000000, v4
	v_or3_b32 v77, v0, v4, v3
.LBB210_800:                            ;   in Loop: Header=BB210_15 Depth=1
	s_or_b32 exec_lo, exec_lo, s16
.LBB210_801:                            ;   in Loop: Header=BB210_15 Depth=1
	s_delay_alu instid0(SALU_CYCLE_1)
	s_or_b32 exec_lo, exec_lo, s15
.LBB210_802:                            ;   in Loop: Header=BB210_15 Depth=1
	s_delay_alu instid0(SALU_CYCLE_1) | instskip(SKIP_4) | instid1(VALU_DEP_3)
	s_or_b32 exec_lo, exec_lo, s14
	v_lshrrev_b32_e32 v3, 16, v2
	v_mov_b64_e32 v[88:89], 0
	v_mov_b64_e32 v[92:93], 0
	s_mov_b32 s14, exec_lo
	v_and_b32_e32 v0, 0xff, v3
	s_delay_alu instid0(VALU_DEP_1)
	v_cmpx_ne_u16_e32 0, v0
	s_cbranch_execz .LBB210_810
; %bb.803:                              ;   in Loop: Header=BB210_15 Depth=1
	v_mov_b64_e32 v[92:93], 0x80000000
	s_mov_b32 s15, exec_lo
	v_cmpx_ne_u16_e32 0x80, v0
	s_cbranch_execz .LBB210_809
; %bb.804:                              ;   in Loop: Header=BB210_15 Depth=1
	v_mov_b64_e32 v[92:93], 0x7f800001
	v_bfe_u32 v5, v2, 16, 7
	s_mov_b32 s16, exec_lo
	s_delay_alu instid0(VALU_DEP_1)
	v_cmpx_ne_u32_e32 0x7f, v5
	s_cbranch_execz .LBB210_808
; %bb.805:                              ;   in Loop: Header=BB210_15 Depth=1
	v_dual_lshrrev_b32 v4, 3, v5 :: v_dual_bitop2_b32 v64, 7, v3 bitop3:0x40
	s_mov_b32 s17, exec_lo
	v_cmpx_gt_u32_e32 8, v5
; %bb.806:                              ;   in Loop: Header=BB210_15 Depth=1
	s_delay_alu instid0(VALU_DEP_2) | instskip(NEXT) | instid1(VALU_DEP_1)
	v_clz_i32_u32_e32 v4, v64
	v_min_u32_e32 v4, 32, v4
	s_delay_alu instid0(VALU_DEP_1) | instskip(NEXT) | instid1(VALU_DEP_1)
	v_subrev_nc_u32_e32 v5, 28, v4
	v_lshlrev_b64_e32 v[10:11], v5, v[64:65]
	s_delay_alu instid0(VALU_DEP_1)
	v_dual_sub_nc_u32 v4, 29, v4 :: v_dual_bitop2_b32 v64, 7, v10 bitop3:0x40
; %bb.807:                              ;   in Loop: Header=BB210_15 Depth=1
	s_or_b32 exec_lo, exec_lo, s17
	s_delay_alu instid0(VALU_DEP_1) | instskip(NEXT) | instid1(VALU_DEP_2)
	v_dual_lshlrev_b32 v3, 24, v3 :: v_dual_lshlrev_b32 v0, 20, v64
	v_lshl_add_u32 v4, v4, 23, 0x3c000000
	s_delay_alu instid0(VALU_DEP_2) | instskip(NEXT) | instid1(VALU_DEP_1)
	v_and_b32_e32 v3, 0x80000000, v3
	v_or3_b32 v64, v0, v3, v4
	s_delay_alu instid0(VALU_DEP_1)
	v_mov_b64_e32 v[92:93], v[64:65]
.LBB210_808:                            ;   in Loop: Header=BB210_15 Depth=1
	s_or_b32 exec_lo, exec_lo, s16
.LBB210_809:                            ;   in Loop: Header=BB210_15 Depth=1
	s_delay_alu instid0(SALU_CYCLE_1)
	s_or_b32 exec_lo, exec_lo, s15
.LBB210_810:                            ;   in Loop: Header=BB210_15 Depth=1
	s_delay_alu instid0(SALU_CYCLE_1) | instskip(NEXT) | instid1(SALU_CYCLE_1)
	s_or_b32 exec_lo, exec_lo, s14
	s_mov_b32 s14, exec_lo
	v_cmpx_lt_u32_e32 0xffffff, v2
	s_cbranch_execz .LBB210_818
; %bb.811:                              ;   in Loop: Header=BB210_15 Depth=1
	v_mov_b64_e32 v[88:89], 0x8000000000000000
	v_lshrrev_b32_e32 v3, 24, v2
	s_mov_b32 s15, exec_lo
	s_delay_alu instid0(VALU_DEP_1)
	v_cmpx_ne_u32_e32 0x80, v3
	s_cbranch_execz .LBB210_817
; %bb.812:                              ;   in Loop: Header=BB210_15 Depth=1
	v_mov_b64_e32 v[88:89], 0x7f80000100000000
	v_bfe_u32 v4, v2, 24, 7
	s_mov_b32 s16, exec_lo
	s_delay_alu instid0(VALU_DEP_1)
	v_cmpx_ne_u32_e32 0x7f, v4
	s_cbranch_execz .LBB210_816
; %bb.813:                              ;   in Loop: Header=BB210_15 Depth=1
	v_dual_lshrrev_b32 v2, 3, v4 :: v_dual_bitop2_b32 v64, 7, v3 bitop3:0x40
	s_mov_b32 s17, exec_lo
	v_cmpx_gt_u32_e32 8, v4
; %bb.814:                              ;   in Loop: Header=BB210_15 Depth=1
	s_delay_alu instid0(VALU_DEP_2) | instskip(NEXT) | instid1(VALU_DEP_1)
	v_clz_i32_u32_e32 v2, v64
	v_min_u32_e32 v2, 32, v2
	s_delay_alu instid0(VALU_DEP_1) | instskip(NEXT) | instid1(VALU_DEP_1)
	v_subrev_nc_u32_e32 v4, 28, v2
	v_lshlrev_b64_e32 v[4:5], v4, v[64:65]
	s_delay_alu instid0(VALU_DEP_1)
	v_dual_sub_nc_u32 v2, 29, v2 :: v_dual_bitop2_b32 v64, 7, v4 bitop3:0x40
; %bb.815:                              ;   in Loop: Header=BB210_15 Depth=1
	s_or_b32 exec_lo, exec_lo, s17
	s_delay_alu instid0(VALU_DEP_1) | instskip(NEXT) | instid1(VALU_DEP_2)
	v_dual_lshlrev_b32 v3, 24, v3 :: v_dual_lshlrev_b32 v0, 20, v64
	v_lshl_add_u32 v2, v2, 23, 0x3c000000
	v_mov_b32_e32 v88, v65
	s_delay_alu instid0(VALU_DEP_3) | instskip(NEXT) | instid1(VALU_DEP_1)
	v_and_b32_e32 v3, 0x80000000, v3
	v_or3_b32 v89, v0, v3, v2
.LBB210_816:                            ;   in Loop: Header=BB210_15 Depth=1
	s_or_b32 exec_lo, exec_lo, s16
.LBB210_817:                            ;   in Loop: Header=BB210_15 Depth=1
	s_delay_alu instid0(SALU_CYCLE_1)
	s_or_b32 exec_lo, exec_lo, s15
.LBB210_818:                            ;   in Loop: Header=BB210_15 Depth=1
	s_delay_alu instid0(SALU_CYCLE_1)
	s_or_b32 exec_lo, exec_lo, s14
	flat_load_b32 v2, v[52:53] offset:3076
	v_mov_b64_e32 v[110:111], 0
	v_mov_b64_e32 v[104:105], 0
	s_mov_b32 s14, exec_lo
	s_wait_loadcnt_dscnt 0x0
	v_and_b32_e32 v0, 0xff, v2
	s_wait_xcnt 0x0
	s_delay_alu instid0(VALU_DEP_1)
	v_cmpx_ne_u16_e32 0, v0
	s_cbranch_execz .LBB210_826
; %bb.819:                              ;   in Loop: Header=BB210_15 Depth=1
	v_mov_b64_e32 v[104:105], 0x80000000
	s_mov_b32 s15, exec_lo
	v_cmpx_ne_u16_e32 0x80, v0
	s_cbranch_execz .LBB210_825
; %bb.820:                              ;   in Loop: Header=BB210_15 Depth=1
	v_mov_b64_e32 v[104:105], 0x7f800001
	v_and_b32_e32 v4, 0x7f, v2
	s_mov_b32 s16, exec_lo
	s_delay_alu instid0(VALU_DEP_1)
	v_cmpx_ne_u32_e32 0x7f, v4
	s_cbranch_execz .LBB210_824
; %bb.821:                              ;   in Loop: Header=BB210_15 Depth=1
	v_dual_lshrrev_b32 v3, 3, v4 :: v_dual_bitop2_b32 v64, 7, v2 bitop3:0x40
	s_mov_b32 s17, exec_lo
	v_cmpx_gt_u32_e32 8, v4
; %bb.822:                              ;   in Loop: Header=BB210_15 Depth=1
	s_delay_alu instid0(VALU_DEP_2) | instskip(NEXT) | instid1(VALU_DEP_1)
	v_clz_i32_u32_e32 v3, v64
	v_min_u32_e32 v3, 32, v3
	s_delay_alu instid0(VALU_DEP_1) | instskip(NEXT) | instid1(VALU_DEP_1)
	v_subrev_nc_u32_e32 v4, 28, v3
	v_lshlrev_b64_e32 v[4:5], v4, v[64:65]
	s_delay_alu instid0(VALU_DEP_1)
	v_dual_sub_nc_u32 v3, 29, v3 :: v_dual_bitop2_b32 v64, 7, v4 bitop3:0x40
; %bb.823:                              ;   in Loop: Header=BB210_15 Depth=1
	s_or_b32 exec_lo, exec_lo, s17
	s_delay_alu instid0(VALU_DEP_1) | instskip(NEXT) | instid1(VALU_DEP_2)
	v_dual_lshlrev_b32 v4, 24, v2 :: v_dual_lshlrev_b32 v0, 20, v64
	v_lshl_add_u32 v3, v3, 23, 0x3c000000
	s_delay_alu instid0(VALU_DEP_2) | instskip(NEXT) | instid1(VALU_DEP_1)
	v_and_b32_e32 v4, 0x80000000, v4
	v_or3_b32 v64, v0, v4, v3
	s_delay_alu instid0(VALU_DEP_1)
	v_mov_b64_e32 v[104:105], v[64:65]
.LBB210_824:                            ;   in Loop: Header=BB210_15 Depth=1
	s_or_b32 exec_lo, exec_lo, s16
.LBB210_825:                            ;   in Loop: Header=BB210_15 Depth=1
	s_delay_alu instid0(SALU_CYCLE_1)
	s_or_b32 exec_lo, exec_lo, s15
.LBB210_826:                            ;   in Loop: Header=BB210_15 Depth=1
	s_delay_alu instid0(SALU_CYCLE_1) | instskip(SKIP_2) | instid1(VALU_DEP_1)
	s_or_b32 exec_lo, exec_lo, s14
	v_lshrrev_b16 v0, 8, v2
	s_mov_b32 s14, exec_lo
	v_cmpx_ne_u16_e32 0, v0
	s_cbranch_execz .LBB210_834
; %bb.827:                              ;   in Loop: Header=BB210_15 Depth=1
	v_mov_b64_e32 v[110:111], 0x8000000000000000
	s_mov_b32 s15, exec_lo
	v_cmpx_ne_u16_e32 0x80, v0
	s_cbranch_execz .LBB210_833
; %bb.828:                              ;   in Loop: Header=BB210_15 Depth=1
	v_and_b32_e32 v0, 0xffff, v0
	v_mov_b64_e32 v[110:111], 0x7f80000100000000
	s_mov_b32 s16, exec_lo
	s_delay_alu instid0(VALU_DEP_2) | instskip(NEXT) | instid1(VALU_DEP_1)
	v_and_b32_e32 v4, 0x7f, v0
	v_cmpx_ne_u32_e32 0x7f, v4
	s_cbranch_execz .LBB210_832
; %bb.829:                              ;   in Loop: Header=BB210_15 Depth=1
	v_and_b32_e32 v64, 7, v0
	v_lshrrev_b32_e32 v3, 3, v4
	s_mov_b32 s17, exec_lo
	v_cmpx_gt_u32_e32 8, v4
; %bb.830:                              ;   in Loop: Header=BB210_15 Depth=1
	s_delay_alu instid0(VALU_DEP_3) | instskip(NEXT) | instid1(VALU_DEP_1)
	v_clz_i32_u32_e32 v3, v64
	v_min_u32_e32 v3, 32, v3
	s_delay_alu instid0(VALU_DEP_1) | instskip(NEXT) | instid1(VALU_DEP_1)
	v_subrev_nc_u32_e32 v4, 28, v3
	v_lshlrev_b64_e32 v[4:5], v4, v[64:65]
	s_delay_alu instid0(VALU_DEP_1)
	v_dual_sub_nc_u32 v3, 29, v3 :: v_dual_bitop2_b32 v64, 7, v4 bitop3:0x40
; %bb.831:                              ;   in Loop: Header=BB210_15 Depth=1
	s_or_b32 exec_lo, exec_lo, s17
	s_delay_alu instid0(VALU_DEP_1) | instskip(NEXT) | instid1(VALU_DEP_2)
	v_dual_lshlrev_b32 v4, 16, v2 :: v_dual_lshlrev_b32 v0, 20, v64
	v_lshl_add_u32 v3, v3, 23, 0x3c000000
	v_mov_b32_e32 v110, v65
	s_delay_alu instid0(VALU_DEP_3) | instskip(NEXT) | instid1(VALU_DEP_1)
	v_and_b32_e32 v4, 0x80000000, v4
	v_or3_b32 v111, v0, v4, v3
.LBB210_832:                            ;   in Loop: Header=BB210_15 Depth=1
	s_or_b32 exec_lo, exec_lo, s16
.LBB210_833:                            ;   in Loop: Header=BB210_15 Depth=1
	s_delay_alu instid0(SALU_CYCLE_1)
	s_or_b32 exec_lo, exec_lo, s15
.LBB210_834:                            ;   in Loop: Header=BB210_15 Depth=1
	s_delay_alu instid0(SALU_CYCLE_1) | instskip(SKIP_4) | instid1(VALU_DEP_3)
	s_or_b32 exec_lo, exec_lo, s14
	v_lshrrev_b32_e32 v3, 16, v2
	v_mov_b64_e32 v[122:123], 0
	v_mov_b64_e32 v[108:109], 0
	s_mov_b32 s14, exec_lo
	v_and_b32_e32 v0, 0xff, v3
	s_delay_alu instid0(VALU_DEP_1)
	v_cmpx_ne_u16_e32 0, v0
	s_cbranch_execz .LBB210_842
; %bb.835:                              ;   in Loop: Header=BB210_15 Depth=1
	v_mov_b64_e32 v[108:109], 0x80000000
	s_mov_b32 s15, exec_lo
	v_cmpx_ne_u16_e32 0x80, v0
	s_cbranch_execz .LBB210_841
; %bb.836:                              ;   in Loop: Header=BB210_15 Depth=1
	v_mov_b64_e32 v[108:109], 0x7f800001
	v_bfe_u32 v5, v2, 16, 7
	s_mov_b32 s16, exec_lo
	s_delay_alu instid0(VALU_DEP_1)
	v_cmpx_ne_u32_e32 0x7f, v5
	s_cbranch_execz .LBB210_840
; %bb.837:                              ;   in Loop: Header=BB210_15 Depth=1
	v_dual_lshrrev_b32 v4, 3, v5 :: v_dual_bitop2_b32 v64, 7, v3 bitop3:0x40
	s_mov_b32 s17, exec_lo
	v_cmpx_gt_u32_e32 8, v5
; %bb.838:                              ;   in Loop: Header=BB210_15 Depth=1
	s_delay_alu instid0(VALU_DEP_2) | instskip(NEXT) | instid1(VALU_DEP_1)
	v_clz_i32_u32_e32 v4, v64
	v_min_u32_e32 v4, 32, v4
	s_delay_alu instid0(VALU_DEP_1) | instskip(NEXT) | instid1(VALU_DEP_1)
	v_subrev_nc_u32_e32 v5, 28, v4
	v_lshlrev_b64_e32 v[10:11], v5, v[64:65]
	s_delay_alu instid0(VALU_DEP_1)
	v_dual_sub_nc_u32 v4, 29, v4 :: v_dual_bitop2_b32 v64, 7, v10 bitop3:0x40
; %bb.839:                              ;   in Loop: Header=BB210_15 Depth=1
	s_or_b32 exec_lo, exec_lo, s17
	s_delay_alu instid0(VALU_DEP_1) | instskip(NEXT) | instid1(VALU_DEP_2)
	v_dual_lshlrev_b32 v3, 24, v3 :: v_dual_lshlrev_b32 v0, 20, v64
	v_lshl_add_u32 v4, v4, 23, 0x3c000000
	s_delay_alu instid0(VALU_DEP_2) | instskip(NEXT) | instid1(VALU_DEP_1)
	v_and_b32_e32 v3, 0x80000000, v3
	v_or3_b32 v64, v0, v3, v4
	s_delay_alu instid0(VALU_DEP_1)
	v_mov_b64_e32 v[108:109], v[64:65]
.LBB210_840:                            ;   in Loop: Header=BB210_15 Depth=1
	s_or_b32 exec_lo, exec_lo, s16
.LBB210_841:                            ;   in Loop: Header=BB210_15 Depth=1
	s_delay_alu instid0(SALU_CYCLE_1)
	s_or_b32 exec_lo, exec_lo, s15
.LBB210_842:                            ;   in Loop: Header=BB210_15 Depth=1
	s_delay_alu instid0(SALU_CYCLE_1) | instskip(NEXT) | instid1(SALU_CYCLE_1)
	s_or_b32 exec_lo, exec_lo, s14
	s_mov_b32 s14, exec_lo
	v_cmpx_lt_u32_e32 0xffffff, v2
	s_cbranch_execz .LBB210_850
; %bb.843:                              ;   in Loop: Header=BB210_15 Depth=1
	v_mov_b64_e32 v[122:123], 0x8000000000000000
	v_lshrrev_b32_e32 v3, 24, v2
	s_mov_b32 s15, exec_lo
	s_delay_alu instid0(VALU_DEP_1)
	v_cmpx_ne_u32_e32 0x80, v3
	s_cbranch_execz .LBB210_849
; %bb.844:                              ;   in Loop: Header=BB210_15 Depth=1
	v_mov_b64_e32 v[122:123], 0x7f80000100000000
	v_bfe_u32 v4, v2, 24, 7
	s_mov_b32 s16, exec_lo
	s_delay_alu instid0(VALU_DEP_1)
	v_cmpx_ne_u32_e32 0x7f, v4
	s_cbranch_execz .LBB210_848
; %bb.845:                              ;   in Loop: Header=BB210_15 Depth=1
	v_dual_lshrrev_b32 v2, 3, v4 :: v_dual_bitop2_b32 v64, 7, v3 bitop3:0x40
	s_mov_b32 s17, exec_lo
	v_cmpx_gt_u32_e32 8, v4
; %bb.846:                              ;   in Loop: Header=BB210_15 Depth=1
	s_delay_alu instid0(VALU_DEP_2) | instskip(NEXT) | instid1(VALU_DEP_1)
	v_clz_i32_u32_e32 v2, v64
	v_min_u32_e32 v2, 32, v2
	s_delay_alu instid0(VALU_DEP_1) | instskip(NEXT) | instid1(VALU_DEP_1)
	v_subrev_nc_u32_e32 v4, 28, v2
	v_lshlrev_b64_e32 v[4:5], v4, v[64:65]
	s_delay_alu instid0(VALU_DEP_1)
	v_dual_sub_nc_u32 v2, 29, v2 :: v_dual_bitop2_b32 v64, 7, v4 bitop3:0x40
; %bb.847:                              ;   in Loop: Header=BB210_15 Depth=1
	s_or_b32 exec_lo, exec_lo, s17
	s_delay_alu instid0(VALU_DEP_1) | instskip(NEXT) | instid1(VALU_DEP_2)
	v_dual_lshlrev_b32 v3, 24, v3 :: v_dual_lshlrev_b32 v0, 20, v64
	v_lshl_add_u32 v2, v2, 23, 0x3c000000
	v_mov_b32_e32 v122, v65
	s_delay_alu instid0(VALU_DEP_3) | instskip(NEXT) | instid1(VALU_DEP_1)
	v_and_b32_e32 v3, 0x80000000, v3
	v_or3_b32 v123, v0, v3, v2
.LBB210_848:                            ;   in Loop: Header=BB210_15 Depth=1
	s_or_b32 exec_lo, exec_lo, s16
.LBB210_849:                            ;   in Loop: Header=BB210_15 Depth=1
	s_delay_alu instid0(SALU_CYCLE_1)
	s_or_b32 exec_lo, exec_lo, s15
.LBB210_850:                            ;   in Loop: Header=BB210_15 Depth=1
	s_delay_alu instid0(SALU_CYCLE_1)
	s_or_b32 exec_lo, exec_lo, s14
	flat_load_b32 v2, v[52:53] offset:3080
	v_mov_b64_e32 v[126:127], 0
	v_mov_b64_e32 v[120:121], 0
	s_mov_b32 s14, exec_lo
	s_wait_loadcnt_dscnt 0x0
	v_and_b32_e32 v0, 0xff, v2
	s_wait_xcnt 0x0
	s_delay_alu instid0(VALU_DEP_1)
	v_cmpx_ne_u16_e32 0, v0
	s_cbranch_execz .LBB210_858
; %bb.851:                              ;   in Loop: Header=BB210_15 Depth=1
	v_mov_b64_e32 v[120:121], 0x80000000
	s_mov_b32 s15, exec_lo
	v_cmpx_ne_u16_e32 0x80, v0
	s_cbranch_execz .LBB210_857
; %bb.852:                              ;   in Loop: Header=BB210_15 Depth=1
	v_mov_b64_e32 v[120:121], 0x7f800001
	v_and_b32_e32 v4, 0x7f, v2
	s_mov_b32 s16, exec_lo
	s_delay_alu instid0(VALU_DEP_1)
	v_cmpx_ne_u32_e32 0x7f, v4
	s_cbranch_execz .LBB210_856
; %bb.853:                              ;   in Loop: Header=BB210_15 Depth=1
	v_dual_lshrrev_b32 v3, 3, v4 :: v_dual_bitop2_b32 v64, 7, v2 bitop3:0x40
	s_mov_b32 s17, exec_lo
	v_cmpx_gt_u32_e32 8, v4
; %bb.854:                              ;   in Loop: Header=BB210_15 Depth=1
	s_delay_alu instid0(VALU_DEP_2) | instskip(NEXT) | instid1(VALU_DEP_1)
	v_clz_i32_u32_e32 v3, v64
	v_min_u32_e32 v3, 32, v3
	s_delay_alu instid0(VALU_DEP_1) | instskip(NEXT) | instid1(VALU_DEP_1)
	v_subrev_nc_u32_e32 v4, 28, v3
	v_lshlrev_b64_e32 v[4:5], v4, v[64:65]
	s_delay_alu instid0(VALU_DEP_1)
	v_dual_sub_nc_u32 v3, 29, v3 :: v_dual_bitop2_b32 v64, 7, v4 bitop3:0x40
; %bb.855:                              ;   in Loop: Header=BB210_15 Depth=1
	s_or_b32 exec_lo, exec_lo, s17
	s_delay_alu instid0(VALU_DEP_1) | instskip(NEXT) | instid1(VALU_DEP_2)
	v_dual_lshlrev_b32 v4, 24, v2 :: v_dual_lshlrev_b32 v0, 20, v64
	v_lshl_add_u32 v3, v3, 23, 0x3c000000
	s_delay_alu instid0(VALU_DEP_2) | instskip(NEXT) | instid1(VALU_DEP_1)
	v_and_b32_e32 v4, 0x80000000, v4
	v_or3_b32 v64, v0, v4, v3
	s_delay_alu instid0(VALU_DEP_1)
	v_mov_b64_e32 v[120:121], v[64:65]
.LBB210_856:                            ;   in Loop: Header=BB210_15 Depth=1
	s_or_b32 exec_lo, exec_lo, s16
.LBB210_857:                            ;   in Loop: Header=BB210_15 Depth=1
	s_delay_alu instid0(SALU_CYCLE_1)
	s_or_b32 exec_lo, exec_lo, s15
.LBB210_858:                            ;   in Loop: Header=BB210_15 Depth=1
	s_delay_alu instid0(SALU_CYCLE_1) | instskip(SKIP_2) | instid1(VALU_DEP_1)
	s_or_b32 exec_lo, exec_lo, s14
	v_lshrrev_b16 v0, 8, v2
	s_mov_b32 s14, exec_lo
	v_cmpx_ne_u16_e32 0, v0
	s_cbranch_execz .LBB210_866
; %bb.859:                              ;   in Loop: Header=BB210_15 Depth=1
	v_mov_b64_e32 v[126:127], 0x8000000000000000
	s_mov_b32 s15, exec_lo
	v_cmpx_ne_u16_e32 0x80, v0
	s_cbranch_execz .LBB210_865
; %bb.860:                              ;   in Loop: Header=BB210_15 Depth=1
	v_and_b32_e32 v0, 0xffff, v0
	v_mov_b64_e32 v[126:127], 0x7f80000100000000
	s_mov_b32 s16, exec_lo
	s_delay_alu instid0(VALU_DEP_2) | instskip(NEXT) | instid1(VALU_DEP_1)
	v_and_b32_e32 v4, 0x7f, v0
	v_cmpx_ne_u32_e32 0x7f, v4
	s_cbranch_execz .LBB210_864
; %bb.861:                              ;   in Loop: Header=BB210_15 Depth=1
	v_and_b32_e32 v64, 7, v0
	v_lshrrev_b32_e32 v3, 3, v4
	s_mov_b32 s17, exec_lo
	v_cmpx_gt_u32_e32 8, v4
; %bb.862:                              ;   in Loop: Header=BB210_15 Depth=1
	s_delay_alu instid0(VALU_DEP_3) | instskip(NEXT) | instid1(VALU_DEP_1)
	v_clz_i32_u32_e32 v3, v64
	v_min_u32_e32 v3, 32, v3
	s_delay_alu instid0(VALU_DEP_1) | instskip(NEXT) | instid1(VALU_DEP_1)
	v_subrev_nc_u32_e32 v4, 28, v3
	v_lshlrev_b64_e32 v[4:5], v4, v[64:65]
	s_delay_alu instid0(VALU_DEP_1)
	v_dual_sub_nc_u32 v3, 29, v3 :: v_dual_bitop2_b32 v64, 7, v4 bitop3:0x40
; %bb.863:                              ;   in Loop: Header=BB210_15 Depth=1
	s_or_b32 exec_lo, exec_lo, s17
	s_delay_alu instid0(VALU_DEP_1) | instskip(NEXT) | instid1(VALU_DEP_2)
	v_dual_lshlrev_b32 v4, 16, v2 :: v_dual_lshlrev_b32 v0, 20, v64
	v_lshl_add_u32 v3, v3, 23, 0x3c000000
	v_mov_b32_e32 v126, v65
	s_delay_alu instid0(VALU_DEP_3) | instskip(NEXT) | instid1(VALU_DEP_1)
	v_and_b32_e32 v4, 0x80000000, v4
	v_or3_b32 v127, v0, v4, v3
.LBB210_864:                            ;   in Loop: Header=BB210_15 Depth=1
	s_or_b32 exec_lo, exec_lo, s16
.LBB210_865:                            ;   in Loop: Header=BB210_15 Depth=1
	s_delay_alu instid0(SALU_CYCLE_1)
	s_or_b32 exec_lo, exec_lo, s15
.LBB210_866:                            ;   in Loop: Header=BB210_15 Depth=1
	s_delay_alu instid0(SALU_CYCLE_1) | instskip(SKIP_4) | instid1(VALU_DEP_3)
	s_or_b32 exec_lo, exec_lo, s14
	v_lshrrev_b32_e32 v3, 16, v2
	v_mov_b64_e32 v[4:5], 0
	v_mov_b64_e32 v[124:125], 0
	s_mov_b32 s14, exec_lo
	v_and_b32_e32 v0, 0xff, v3
	s_delay_alu instid0(VALU_DEP_1)
	v_cmpx_ne_u16_e32 0, v0
	s_cbranch_execz .LBB210_874
; %bb.867:                              ;   in Loop: Header=BB210_15 Depth=1
	v_mov_b64_e32 v[124:125], 0x80000000
	s_mov_b32 s15, exec_lo
	v_cmpx_ne_u16_e32 0x80, v0
	s_cbranch_execz .LBB210_873
; %bb.868:                              ;   in Loop: Header=BB210_15 Depth=1
	v_mov_b64_e32 v[124:125], 0x7f800001
	v_bfe_u32 v10, v2, 16, 7
	s_mov_b32 s16, exec_lo
	s_delay_alu instid0(VALU_DEP_1)
	v_cmpx_ne_u32_e32 0x7f, v10
	s_cbranch_execz .LBB210_872
; %bb.869:                              ;   in Loop: Header=BB210_15 Depth=1
	v_dual_lshrrev_b32 v8, 3, v10 :: v_dual_bitop2_b32 v64, 7, v3 bitop3:0x40
	s_mov_b32 s17, exec_lo
	v_cmpx_gt_u32_e32 8, v10
; %bb.870:                              ;   in Loop: Header=BB210_15 Depth=1
	s_delay_alu instid0(VALU_DEP_2) | instskip(NEXT) | instid1(VALU_DEP_1)
	v_clz_i32_u32_e32 v8, v64
	v_min_u32_e32 v8, 32, v8
	s_delay_alu instid0(VALU_DEP_1) | instskip(NEXT) | instid1(VALU_DEP_1)
	v_subrev_nc_u32_e32 v9, 28, v8
	v_lshlrev_b64_e32 v[10:11], v9, v[64:65]
	s_delay_alu instid0(VALU_DEP_1)
	v_dual_sub_nc_u32 v8, 29, v8 :: v_dual_bitop2_b32 v64, 7, v10 bitop3:0x40
; %bb.871:                              ;   in Loop: Header=BB210_15 Depth=1
	s_or_b32 exec_lo, exec_lo, s17
	s_delay_alu instid0(VALU_DEP_1) | instskip(NEXT) | instid1(VALU_DEP_2)
	v_dual_lshlrev_b32 v3, 24, v3 :: v_dual_lshlrev_b32 v0, 20, v64
	v_lshl_add_u32 v8, v8, 23, 0x3c000000
	s_delay_alu instid0(VALU_DEP_2) | instskip(NEXT) | instid1(VALU_DEP_1)
	v_and_b32_e32 v3, 0x80000000, v3
	v_or3_b32 v64, v0, v3, v8
	s_delay_alu instid0(VALU_DEP_1)
	v_mov_b64_e32 v[124:125], v[64:65]
.LBB210_872:                            ;   in Loop: Header=BB210_15 Depth=1
	s_or_b32 exec_lo, exec_lo, s16
.LBB210_873:                            ;   in Loop: Header=BB210_15 Depth=1
	s_delay_alu instid0(SALU_CYCLE_1)
	s_or_b32 exec_lo, exec_lo, s15
.LBB210_874:                            ;   in Loop: Header=BB210_15 Depth=1
	s_delay_alu instid0(SALU_CYCLE_1) | instskip(NEXT) | instid1(SALU_CYCLE_1)
	s_or_b32 exec_lo, exec_lo, s14
	s_mov_b32 s14, exec_lo
	v_cmpx_lt_u32_e32 0xffffff, v2
	s_cbranch_execz .LBB210_882
; %bb.875:                              ;   in Loop: Header=BB210_15 Depth=1
	v_mov_b64_e32 v[4:5], 0x8000000000000000
	v_lshrrev_b32_e32 v3, 24, v2
	s_mov_b32 s15, exec_lo
	s_delay_alu instid0(VALU_DEP_1)
	v_cmpx_ne_u32_e32 0x80, v3
	s_cbranch_execz .LBB210_881
; %bb.876:                              ;   in Loop: Header=BB210_15 Depth=1
	v_mov_b64_e32 v[4:5], 0x7f80000100000000
	v_bfe_u32 v8, v2, 24, 7
	s_mov_b32 s16, exec_lo
	s_delay_alu instid0(VALU_DEP_1)
	v_cmpx_ne_u32_e32 0x7f, v8
	s_cbranch_execz .LBB210_880
; %bb.877:                              ;   in Loop: Header=BB210_15 Depth=1
	v_dual_lshrrev_b32 v2, 3, v8 :: v_dual_bitop2_b32 v64, 7, v3 bitop3:0x40
	s_mov_b32 s17, exec_lo
	v_cmpx_gt_u32_e32 8, v8
; %bb.878:                              ;   in Loop: Header=BB210_15 Depth=1
	s_delay_alu instid0(VALU_DEP_2) | instskip(NEXT) | instid1(VALU_DEP_1)
	v_clz_i32_u32_e32 v2, v64
	v_min_u32_e32 v2, 32, v2
	s_delay_alu instid0(VALU_DEP_1) | instskip(NEXT) | instid1(VALU_DEP_1)
	v_subrev_nc_u32_e32 v4, 28, v2
	v_lshlrev_b64_e32 v[4:5], v4, v[64:65]
	s_delay_alu instid0(VALU_DEP_1)
	v_dual_sub_nc_u32 v2, 29, v2 :: v_dual_bitop2_b32 v64, 7, v4 bitop3:0x40
; %bb.879:                              ;   in Loop: Header=BB210_15 Depth=1
	s_or_b32 exec_lo, exec_lo, s17
	s_delay_alu instid0(VALU_DEP_1) | instskip(NEXT) | instid1(VALU_DEP_2)
	v_dual_lshlrev_b32 v3, 24, v3 :: v_dual_lshlrev_b32 v0, 20, v64
	v_lshl_add_u32 v2, v2, 23, 0x3c000000
	v_mov_b32_e32 v4, v65
	s_delay_alu instid0(VALU_DEP_3) | instskip(NEXT) | instid1(VALU_DEP_1)
	v_and_b32_e32 v3, 0x80000000, v3
	v_or3_b32 v5, v0, v3, v2
.LBB210_880:                            ;   in Loop: Header=BB210_15 Depth=1
	s_or_b32 exec_lo, exec_lo, s16
.LBB210_881:                            ;   in Loop: Header=BB210_15 Depth=1
	s_delay_alu instid0(SALU_CYCLE_1)
	s_or_b32 exec_lo, exec_lo, s15
.LBB210_882:                            ;   in Loop: Header=BB210_15 Depth=1
	s_delay_alu instid0(SALU_CYCLE_1)
	s_or_b32 exec_lo, exec_lo, s14
	flat_load_b32 v10, v[52:53] offset:3084
	v_mov_b64_e32 v[26:27], 0
	v_mov_b64_e32 v[14:15], 0
	s_mov_b32 s14, exec_lo
	s_wait_loadcnt_dscnt 0x0
	v_and_b32_e32 v0, 0xff, v10
	s_wait_xcnt 0x0
	s_delay_alu instid0(VALU_DEP_1)
	v_cmpx_ne_u16_e32 0, v0
	s_cbranch_execz .LBB210_890
; %bb.883:                              ;   in Loop: Header=BB210_15 Depth=1
	v_mov_b64_e32 v[14:15], 0x80000000
	s_mov_b32 s15, exec_lo
	v_cmpx_ne_u16_e32 0x80, v0
	s_cbranch_execz .LBB210_889
; %bb.884:                              ;   in Loop: Header=BB210_15 Depth=1
	v_mov_b64_e32 v[14:15], 0x7f800001
	v_and_b32_e32 v8, 0x7f, v10
	s_mov_b32 s16, exec_lo
	s_delay_alu instid0(VALU_DEP_1)
	v_cmpx_ne_u32_e32 0x7f, v8
	s_cbranch_execz .LBB210_888
; %bb.885:                              ;   in Loop: Header=BB210_15 Depth=1
	v_dual_lshrrev_b32 v2, 3, v8 :: v_dual_bitop2_b32 v64, 7, v10 bitop3:0x40
	s_mov_b32 s17, exec_lo
	v_cmpx_gt_u32_e32 8, v8
; %bb.886:                              ;   in Loop: Header=BB210_15 Depth=1
	s_delay_alu instid0(VALU_DEP_2) | instskip(NEXT) | instid1(VALU_DEP_1)
	v_clz_i32_u32_e32 v2, v64
	v_min_u32_e32 v2, 32, v2
	s_delay_alu instid0(VALU_DEP_1) | instskip(NEXT) | instid1(VALU_DEP_1)
	v_subrev_nc_u32_e32 v3, 28, v2
	v_lshlrev_b64_e32 v[16:17], v3, v[64:65]
	s_delay_alu instid0(VALU_DEP_1)
	v_dual_sub_nc_u32 v2, 29, v2 :: v_dual_bitop2_b32 v64, 7, v16 bitop3:0x40
; %bb.887:                              ;   in Loop: Header=BB210_15 Depth=1
	s_or_b32 exec_lo, exec_lo, s17
	s_delay_alu instid0(VALU_DEP_1) | instskip(NEXT) | instid1(VALU_DEP_2)
	v_dual_lshlrev_b32 v3, 24, v10 :: v_dual_lshlrev_b32 v0, 20, v64
	v_lshl_add_u32 v2, v2, 23, 0x3c000000
	s_delay_alu instid0(VALU_DEP_2) | instskip(NEXT) | instid1(VALU_DEP_1)
	v_and_b32_e32 v3, 0x80000000, v3
	v_or3_b32 v64, v0, v3, v2
	s_delay_alu instid0(VALU_DEP_1)
	v_mov_b64_e32 v[14:15], v[64:65]
.LBB210_888:                            ;   in Loop: Header=BB210_15 Depth=1
	s_or_b32 exec_lo, exec_lo, s16
.LBB210_889:                            ;   in Loop: Header=BB210_15 Depth=1
	s_delay_alu instid0(SALU_CYCLE_1)
	s_or_b32 exec_lo, exec_lo, s15
.LBB210_890:                            ;   in Loop: Header=BB210_15 Depth=1
	s_delay_alu instid0(SALU_CYCLE_1) | instskip(SKIP_2) | instid1(VALU_DEP_1)
	s_or_b32 exec_lo, exec_lo, s14
	v_lshrrev_b16 v0, 8, v10
	s_mov_b32 s14, exec_lo
	v_cmpx_ne_u16_e32 0, v0
	s_cbranch_execz .LBB210_898
; %bb.891:                              ;   in Loop: Header=BB210_15 Depth=1
	v_mov_b64_e32 v[26:27], 0x8000000000000000
	s_mov_b32 s15, exec_lo
	v_cmpx_ne_u16_e32 0x80, v0
	s_cbranch_execz .LBB210_897
; %bb.892:                              ;   in Loop: Header=BB210_15 Depth=1
	v_and_b32_e32 v0, 0xffff, v0
	v_mov_b64_e32 v[26:27], 0x7f80000100000000
	s_mov_b32 s16, exec_lo
	s_delay_alu instid0(VALU_DEP_2) | instskip(NEXT) | instid1(VALU_DEP_1)
	v_and_b32_e32 v11, 0x7f, v0
	v_cmpx_ne_u32_e32 0x7f, v11
	s_cbranch_execz .LBB210_896
; %bb.893:                              ;   in Loop: Header=BB210_15 Depth=1
	v_dual_lshrrev_b32 v8, 3, v11 :: v_dual_bitop2_b32 v64, 7, v0 bitop3:0x40
	s_mov_b32 s17, exec_lo
	v_cmpx_gt_u32_e32 8, v11
; %bb.894:                              ;   in Loop: Header=BB210_15 Depth=1
	s_delay_alu instid0(VALU_DEP_2) | instskip(NEXT) | instid1(VALU_DEP_1)
	v_clz_i32_u32_e32 v8, v64
	v_min_u32_e32 v8, 32, v8
	s_delay_alu instid0(VALU_DEP_1) | instskip(SKIP_1) | instid1(VALU_DEP_2)
	v_subrev_nc_u32_e32 v9, 28, v8
	v_sub_nc_u32_e32 v8, 29, v8
	v_lshlrev_b64_e32 v[16:17], v9, v[64:65]
	s_delay_alu instid0(VALU_DEP_1)
	v_and_b32_e32 v64, 7, v16
; %bb.895:                              ;   in Loop: Header=BB210_15 Depth=1
	s_or_b32 exec_lo, exec_lo, s17
	s_delay_alu instid0(VALU_DEP_1) | instskip(SKIP_2) | instid1(VALU_DEP_3)
	v_dual_lshlrev_b32 v9, 16, v10 :: v_dual_lshlrev_b32 v0, 20, v64
	v_lshl_add_u32 v8, v8, 23, 0x3c000000
	v_mov_b32_e32 v26, v65
	v_and_b32_e32 v9, 0x80000000, v9
	s_delay_alu instid0(VALU_DEP_1)
	v_or3_b32 v27, v0, v9, v8
.LBB210_896:                            ;   in Loop: Header=BB210_15 Depth=1
	s_or_b32 exec_lo, exec_lo, s16
.LBB210_897:                            ;   in Loop: Header=BB210_15 Depth=1
	s_delay_alu instid0(SALU_CYCLE_1)
	s_or_b32 exec_lo, exec_lo, s15
.LBB210_898:                            ;   in Loop: Header=BB210_15 Depth=1
	s_delay_alu instid0(SALU_CYCLE_1) | instskip(SKIP_4) | instid1(VALU_DEP_3)
	s_or_b32 exec_lo, exec_lo, s14
	v_lshrrev_b32_e32 v11, 16, v10
	v_mov_b64_e32 v[18:19], 0
	v_mov_b64_e32 v[68:69], 0
	s_mov_b32 s14, exec_lo
	v_and_b32_e32 v0, 0xff, v11
	s_delay_alu instid0(VALU_DEP_1)
	v_cmpx_ne_u16_e32 0, v0
	s_cbranch_execz .LBB210_906
; %bb.899:                              ;   in Loop: Header=BB210_15 Depth=1
	v_mov_b64_e32 v[68:69], 0x80000000
	s_mov_b32 s15, exec_lo
	v_cmpx_ne_u16_e32 0x80, v0
	s_cbranch_execz .LBB210_905
; %bb.900:                              ;   in Loop: Header=BB210_15 Depth=1
	v_mov_b64_e32 v[68:69], 0x7f800001
	v_bfe_u32 v16, v10, 16, 7
	s_mov_b32 s16, exec_lo
	s_delay_alu instid0(VALU_DEP_1)
	v_cmpx_ne_u32_e32 0x7f, v16
	s_cbranch_execz .LBB210_904
; %bb.901:                              ;   in Loop: Header=BB210_15 Depth=1
	v_dual_lshrrev_b32 v8, 3, v16 :: v_dual_bitop2_b32 v64, 7, v11 bitop3:0x40
	s_mov_b32 s17, exec_lo
	v_cmpx_gt_u32_e32 8, v16
; %bb.902:                              ;   in Loop: Header=BB210_15 Depth=1
	s_delay_alu instid0(VALU_DEP_2) | instskip(NEXT) | instid1(VALU_DEP_1)
	v_clz_i32_u32_e32 v8, v64
	v_min_u32_e32 v8, 32, v8
	s_delay_alu instid0(VALU_DEP_1) | instskip(SKIP_1) | instid1(VALU_DEP_2)
	v_subrev_nc_u32_e32 v9, 28, v8
	v_sub_nc_u32_e32 v8, 29, v8
	v_lshlrev_b64_e32 v[16:17], v9, v[64:65]
	s_delay_alu instid0(VALU_DEP_1)
	v_and_b32_e32 v64, 7, v16
; %bb.903:                              ;   in Loop: Header=BB210_15 Depth=1
	s_or_b32 exec_lo, exec_lo, s17
	s_delay_alu instid0(VALU_DEP_1) | instskip(SKIP_1) | instid1(VALU_DEP_2)
	v_dual_lshlrev_b32 v9, 24, v11 :: v_dual_lshlrev_b32 v0, 20, v64
	v_lshl_add_u32 v8, v8, 23, 0x3c000000
	v_and_b32_e32 v9, 0x80000000, v9
	s_delay_alu instid0(VALU_DEP_1) | instskip(NEXT) | instid1(VALU_DEP_1)
	v_or3_b32 v64, v0, v9, v8
	v_mov_b64_e32 v[68:69], v[64:65]
.LBB210_904:                            ;   in Loop: Header=BB210_15 Depth=1
	s_or_b32 exec_lo, exec_lo, s16
.LBB210_905:                            ;   in Loop: Header=BB210_15 Depth=1
	s_delay_alu instid0(SALU_CYCLE_1)
	s_or_b32 exec_lo, exec_lo, s15
.LBB210_906:                            ;   in Loop: Header=BB210_15 Depth=1
	s_delay_alu instid0(SALU_CYCLE_1) | instskip(NEXT) | instid1(SALU_CYCLE_1)
	s_or_b32 exec_lo, exec_lo, s14
	s_mov_b32 s14, exec_lo
	v_cmpx_lt_u32_e32 0xffffff, v10
	s_cbranch_execz .LBB210_914
; %bb.907:                              ;   in Loop: Header=BB210_15 Depth=1
	v_mov_b64_e32 v[18:19], 0x8000000000000000
	v_lshrrev_b32_e32 v8, 24, v10
	s_mov_b32 s15, exec_lo
	s_delay_alu instid0(VALU_DEP_1)
	v_cmpx_ne_u32_e32 0x80, v8
	s_cbranch_execz .LBB210_913
; %bb.908:                              ;   in Loop: Header=BB210_15 Depth=1
	v_mov_b64_e32 v[18:19], 0x7f80000100000000
	v_bfe_u32 v11, v10, 24, 7
	s_mov_b32 s16, exec_lo
	s_delay_alu instid0(VALU_DEP_1)
	v_cmpx_ne_u32_e32 0x7f, v11
	s_cbranch_execz .LBB210_912
; %bb.909:                              ;   in Loop: Header=BB210_15 Depth=1
	v_dual_lshrrev_b32 v10, 3, v11 :: v_dual_bitop2_b32 v64, 7, v8 bitop3:0x40
	s_mov_b32 s17, exec_lo
	v_cmpx_gt_u32_e32 8, v11
; %bb.910:                              ;   in Loop: Header=BB210_15 Depth=1
	s_delay_alu instid0(VALU_DEP_2) | instskip(NEXT) | instid1(VALU_DEP_1)
	v_clz_i32_u32_e32 v9, v64
	v_min_u32_e32 v9, 32, v9
	s_delay_alu instid0(VALU_DEP_1) | instskip(NEXT) | instid1(VALU_DEP_1)
	v_subrev_nc_u32_e32 v10, 28, v9
	v_lshlrev_b64_e32 v[16:17], v10, v[64:65]
	s_delay_alu instid0(VALU_DEP_1)
	v_dual_sub_nc_u32 v10, 29, v9 :: v_dual_bitop2_b32 v64, 7, v16 bitop3:0x40
; %bb.911:                              ;   in Loop: Header=BB210_15 Depth=1
	s_or_b32 exec_lo, exec_lo, s17
	v_dual_lshlrev_b32 v8, 24, v8 :: v_dual_mov_b32 v18, v65
	s_delay_alu instid0(VALU_DEP_2) | instskip(NEXT) | instid1(VALU_DEP_3)
	v_lshlrev_b32_e32 v0, 20, v64
	v_lshl_add_u32 v9, v10, 23, 0x3c000000
	s_delay_alu instid0(VALU_DEP_3) | instskip(NEXT) | instid1(VALU_DEP_1)
	v_and_b32_e32 v8, 0x80000000, v8
	v_or3_b32 v19, v0, v8, v9
.LBB210_912:                            ;   in Loop: Header=BB210_15 Depth=1
	s_or_b32 exec_lo, exec_lo, s16
.LBB210_913:                            ;   in Loop: Header=BB210_15 Depth=1
	s_delay_alu instid0(SALU_CYCLE_1)
	s_or_b32 exec_lo, exec_lo, s15
.LBB210_914:                            ;   in Loop: Header=BB210_15 Depth=1
	s_delay_alu instid0(SALU_CYCLE_1)
	s_or_b32 exec_lo, exec_lo, s14
	flat_load_b32 v34, v[52:53] offset:3584
	v_mov_b64_e32 v[28:29], 0
	v_mov_b64_e32 v[16:17], 0
	s_mov_b32 s14, exec_lo
	s_wait_loadcnt_dscnt 0x0
	v_and_b32_e32 v0, 0xff, v34
	s_wait_xcnt 0x0
	s_delay_alu instid0(VALU_DEP_1)
	v_cmpx_ne_u16_e32 0, v0
	s_cbranch_execz .LBB210_922
; %bb.915:                              ;   in Loop: Header=BB210_15 Depth=1
	v_mov_b64_e32 v[16:17], 0x80000000
	s_mov_b32 s15, exec_lo
	v_cmpx_ne_u16_e32 0x80, v0
	s_cbranch_execz .LBB210_921
; %bb.916:                              ;   in Loop: Header=BB210_15 Depth=1
	v_mov_b64_e32 v[16:17], 0x7f800001
	v_and_b32_e32 v10, 0x7f, v34
	s_mov_b32 s16, exec_lo
	s_delay_alu instid0(VALU_DEP_1)
	v_cmpx_ne_u32_e32 0x7f, v10
	s_cbranch_execz .LBB210_920
; %bb.917:                              ;   in Loop: Header=BB210_15 Depth=1
	v_and_b32_e32 v64, 7, v34
	v_lshrrev_b32_e32 v8, 3, v10
	s_mov_b32 s17, exec_lo
	v_cmpx_gt_u32_e32 8, v10
; %bb.918:                              ;   in Loop: Header=BB210_15 Depth=1
	s_delay_alu instid0(VALU_DEP_3) | instskip(NEXT) | instid1(VALU_DEP_1)
	v_clz_i32_u32_e32 v8, v64
	v_min_u32_e32 v8, 32, v8
	s_delay_alu instid0(VALU_DEP_1) | instskip(NEXT) | instid1(VALU_DEP_1)
	v_subrev_nc_u32_e32 v9, 28, v8
	v_lshlrev_b64_e32 v[10:11], v9, v[64:65]
	s_delay_alu instid0(VALU_DEP_1)
	v_dual_sub_nc_u32 v8, 29, v8 :: v_dual_bitop2_b32 v64, 7, v10 bitop3:0x40
; %bb.919:                              ;   in Loop: Header=BB210_15 Depth=1
	s_or_b32 exec_lo, exec_lo, s17
	s_delay_alu instid0(VALU_DEP_1) | instskip(NEXT) | instid1(VALU_DEP_2)
	v_dual_lshlrev_b32 v9, 24, v34 :: v_dual_lshlrev_b32 v0, 20, v64
	v_lshl_add_u32 v8, v8, 23, 0x3c000000
	s_delay_alu instid0(VALU_DEP_2) | instskip(NEXT) | instid1(VALU_DEP_1)
	v_and_b32_e32 v9, 0x80000000, v9
	v_or3_b32 v64, v0, v9, v8
	s_delay_alu instid0(VALU_DEP_1)
	v_mov_b64_e32 v[16:17], v[64:65]
.LBB210_920:                            ;   in Loop: Header=BB210_15 Depth=1
	s_or_b32 exec_lo, exec_lo, s16
.LBB210_921:                            ;   in Loop: Header=BB210_15 Depth=1
	s_delay_alu instid0(SALU_CYCLE_1)
	s_or_b32 exec_lo, exec_lo, s15
.LBB210_922:                            ;   in Loop: Header=BB210_15 Depth=1
	s_delay_alu instid0(SALU_CYCLE_1) | instskip(SKIP_2) | instid1(VALU_DEP_1)
	s_or_b32 exec_lo, exec_lo, s14
	v_lshrrev_b16 v0, 8, v34
	s_mov_b32 s14, exec_lo
	v_cmpx_ne_u16_e32 0, v0
	s_cbranch_execz .LBB210_930
; %bb.923:                              ;   in Loop: Header=BB210_15 Depth=1
	v_mov_b64_e32 v[28:29], 0x8000000000000000
	s_mov_b32 s15, exec_lo
	v_cmpx_ne_u16_e32 0x80, v0
	s_cbranch_execz .LBB210_929
; %bb.924:                              ;   in Loop: Header=BB210_15 Depth=1
	v_and_b32_e32 v0, 0xffff, v0
	v_mov_b64_e32 v[28:29], 0x7f80000100000000
	s_mov_b32 s16, exec_lo
	s_delay_alu instid0(VALU_DEP_2) | instskip(NEXT) | instid1(VALU_DEP_1)
	v_and_b32_e32 v10, 0x7f, v0
	v_cmpx_ne_u32_e32 0x7f, v10
	s_cbranch_execz .LBB210_928
; %bb.925:                              ;   in Loop: Header=BB210_15 Depth=1
	v_dual_lshrrev_b32 v8, 3, v10 :: v_dual_bitop2_b32 v64, 7, v0 bitop3:0x40
	s_mov_b32 s17, exec_lo
	v_cmpx_gt_u32_e32 8, v10
; %bb.926:                              ;   in Loop: Header=BB210_15 Depth=1
	s_delay_alu instid0(VALU_DEP_2) | instskip(NEXT) | instid1(VALU_DEP_1)
	v_clz_i32_u32_e32 v8, v64
	v_min_u32_e32 v8, 32, v8
	s_delay_alu instid0(VALU_DEP_1) | instskip(NEXT) | instid1(VALU_DEP_1)
	v_subrev_nc_u32_e32 v9, 28, v8
	v_lshlrev_b64_e32 v[10:11], v9, v[64:65]
	s_delay_alu instid0(VALU_DEP_1)
	v_dual_sub_nc_u32 v8, 29, v8 :: v_dual_bitop2_b32 v64, 7, v10 bitop3:0x40
; %bb.927:                              ;   in Loop: Header=BB210_15 Depth=1
	s_or_b32 exec_lo, exec_lo, s17
	s_delay_alu instid0(VALU_DEP_1) | instskip(NEXT) | instid1(VALU_DEP_2)
	v_dual_lshlrev_b32 v9, 16, v34 :: v_dual_lshlrev_b32 v0, 20, v64
	v_lshl_add_u32 v8, v8, 23, 0x3c000000
	v_mov_b32_e32 v28, v65
	s_delay_alu instid0(VALU_DEP_3) | instskip(NEXT) | instid1(VALU_DEP_1)
	v_and_b32_e32 v9, 0x80000000, v9
	v_or3_b32 v29, v0, v9, v8
.LBB210_928:                            ;   in Loop: Header=BB210_15 Depth=1
	s_or_b32 exec_lo, exec_lo, s16
.LBB210_929:                            ;   in Loop: Header=BB210_15 Depth=1
	s_delay_alu instid0(SALU_CYCLE_1)
	s_or_b32 exec_lo, exec_lo, s15
.LBB210_930:                            ;   in Loop: Header=BB210_15 Depth=1
	s_delay_alu instid0(SALU_CYCLE_1) | instskip(SKIP_4) | instid1(VALU_DEP_3)
	s_or_b32 exec_lo, exec_lo, s14
	v_lshrrev_b32_e32 v35, 16, v34
	v_mov_b64_e32 v[10:11], 0
	v_mov_b64_e32 v[24:25], 0
	s_mov_b32 s14, exec_lo
	v_and_b32_e32 v0, 0xff, v35
	s_delay_alu instid0(VALU_DEP_1)
	v_cmpx_ne_u16_e32 0, v0
	s_cbranch_execz .LBB210_938
; %bb.931:                              ;   in Loop: Header=BB210_15 Depth=1
	v_mov_b64_e32 v[24:25], 0x80000000
	s_mov_b32 s15, exec_lo
	v_cmpx_ne_u16_e32 0x80, v0
	s_cbranch_execz .LBB210_937
; %bb.932:                              ;   in Loop: Header=BB210_15 Depth=1
	v_mov_b64_e32 v[24:25], 0x7f800001
	v_bfe_u32 v38, v34, 16, 7
	s_mov_b32 s16, exec_lo
	s_delay_alu instid0(VALU_DEP_1)
	v_cmpx_ne_u32_e32 0x7f, v38
	s_cbranch_execz .LBB210_936
; %bb.933:                              ;   in Loop: Header=BB210_15 Depth=1
	v_dual_lshrrev_b32 v8, 3, v38 :: v_dual_bitop2_b32 v64, 7, v35 bitop3:0x40
	s_mov_b32 s17, exec_lo
	v_cmpx_gt_u32_e32 8, v38
; %bb.934:                              ;   in Loop: Header=BB210_15 Depth=1
	s_delay_alu instid0(VALU_DEP_2) | instskip(NEXT) | instid1(VALU_DEP_1)
	v_clz_i32_u32_e32 v8, v64
	v_min_u32_e32 v8, 32, v8
	s_delay_alu instid0(VALU_DEP_1) | instskip(SKIP_1) | instid1(VALU_DEP_2)
	v_subrev_nc_u32_e32 v9, 28, v8
	v_sub_nc_u32_e32 v8, 29, v8
	v_lshlrev_b64_e32 v[0:1], v9, v[64:65]
	s_delay_alu instid0(VALU_DEP_1)
	v_and_b32_e32 v64, 7, v0
; %bb.935:                              ;   in Loop: Header=BB210_15 Depth=1
	s_or_b32 exec_lo, exec_lo, s17
	s_delay_alu instid0(VALU_DEP_1) | instskip(SKIP_1) | instid1(VALU_DEP_2)
	v_dual_lshlrev_b32 v9, 24, v35 :: v_dual_lshlrev_b32 v0, 20, v64
	v_lshl_add_u32 v8, v8, 23, 0x3c000000
	v_and_b32_e32 v9, 0x80000000, v9
	s_delay_alu instid0(VALU_DEP_1) | instskip(NEXT) | instid1(VALU_DEP_1)
	v_or3_b32 v64, v0, v9, v8
	v_mov_b64_e32 v[24:25], v[64:65]
.LBB210_936:                            ;   in Loop: Header=BB210_15 Depth=1
	s_or_b32 exec_lo, exec_lo, s16
.LBB210_937:                            ;   in Loop: Header=BB210_15 Depth=1
	s_delay_alu instid0(SALU_CYCLE_1)
	s_or_b32 exec_lo, exec_lo, s15
.LBB210_938:                            ;   in Loop: Header=BB210_15 Depth=1
	s_delay_alu instid0(SALU_CYCLE_1) | instskip(NEXT) | instid1(SALU_CYCLE_1)
	s_or_b32 exec_lo, exec_lo, s14
	s_mov_b32 s14, exec_lo
	v_cmpx_lt_u32_e32 0xffffff, v34
	s_cbranch_execz .LBB210_946
; %bb.939:                              ;   in Loop: Header=BB210_15 Depth=1
	v_mov_b64_e32 v[10:11], 0x8000000000000000
	v_lshrrev_b32_e32 v8, 24, v34
	s_mov_b32 s15, exec_lo
	s_delay_alu instid0(VALU_DEP_1)
	v_cmpx_ne_u32_e32 0x80, v8
	s_cbranch_execz .LBB210_945
; %bb.940:                              ;   in Loop: Header=BB210_15 Depth=1
	v_mov_b64_e32 v[10:11], 0x7f80000100000000
	v_bfe_u32 v34, v34, 24, 7
	s_mov_b32 s16, exec_lo
	s_delay_alu instid0(VALU_DEP_1)
	v_cmpx_ne_u32_e32 0x7f, v34
	s_cbranch_execz .LBB210_944
; %bb.941:                              ;   in Loop: Header=BB210_15 Depth=1
	v_dual_lshrrev_b32 v10, 3, v34 :: v_dual_bitop2_b32 v64, 7, v8 bitop3:0x40
	s_mov_b32 s17, exec_lo
	v_cmpx_gt_u32_e32 8, v34
; %bb.942:                              ;   in Loop: Header=BB210_15 Depth=1
	s_delay_alu instid0(VALU_DEP_2) | instskip(NEXT) | instid1(VALU_DEP_1)
	v_clz_i32_u32_e32 v9, v64
	v_min_u32_e32 v9, 32, v9
	s_delay_alu instid0(VALU_DEP_1) | instskip(NEXT) | instid1(VALU_DEP_1)
	v_subrev_nc_u32_e32 v10, 28, v9
	v_lshlrev_b64_e32 v[34:35], v10, v[64:65]
	s_delay_alu instid0(VALU_DEP_1)
	v_dual_sub_nc_u32 v10, 29, v9 :: v_dual_bitop2_b32 v64, 7, v34 bitop3:0x40
; %bb.943:                              ;   in Loop: Header=BB210_15 Depth=1
	s_or_b32 exec_lo, exec_lo, s17
	v_lshlrev_b32_e32 v8, 24, v8
	s_delay_alu instid0(VALU_DEP_2) | instskip(NEXT) | instid1(VALU_DEP_3)
	v_lshlrev_b32_e32 v0, 20, v64
	v_lshl_add_u32 v9, v10, 23, 0x3c000000
	v_mov_b32_e32 v10, v65
	s_delay_alu instid0(VALU_DEP_4) | instskip(NEXT) | instid1(VALU_DEP_1)
	v_and_b32_e32 v8, 0x80000000, v8
	v_or3_b32 v11, v0, v8, v9
.LBB210_944:                            ;   in Loop: Header=BB210_15 Depth=1
	s_or_b32 exec_lo, exec_lo, s16
.LBB210_945:                            ;   in Loop: Header=BB210_15 Depth=1
	s_delay_alu instid0(SALU_CYCLE_1)
	s_or_b32 exec_lo, exec_lo, s15
.LBB210_946:                            ;   in Loop: Header=BB210_15 Depth=1
	s_delay_alu instid0(SALU_CYCLE_1)
	s_or_b32 exec_lo, exec_lo, s14
	flat_load_b32 v81, v[52:53] offset:3588
	s_wait_xcnt 0x0
	v_mov_b64_e32 v[52:53], 0
	v_mov_b64_e32 v[38:39], 0
	s_mov_b32 s14, exec_lo
	s_wait_loadcnt_dscnt 0x0
	v_and_b32_e32 v0, 0xff, v81
	s_delay_alu instid0(VALU_DEP_1)
	v_cmpx_ne_u16_e32 0, v0
	s_cbranch_execz .LBB210_954
; %bb.947:                              ;   in Loop: Header=BB210_15 Depth=1
	v_mov_b64_e32 v[38:39], 0x80000000
	s_mov_b32 s15, exec_lo
	v_cmpx_ne_u16_e32 0x80, v0
	s_cbranch_execz .LBB210_953
; %bb.948:                              ;   in Loop: Header=BB210_15 Depth=1
	v_mov_b64_e32 v[38:39], 0x7f800001
	v_and_b32_e32 v34, 0x7f, v81
	s_mov_b32 s16, exec_lo
	s_delay_alu instid0(VALU_DEP_1)
	v_cmpx_ne_u32_e32 0x7f, v34
	s_cbranch_execz .LBB210_952
; %bb.949:                              ;   in Loop: Header=BB210_15 Depth=1
	v_dual_lshrrev_b32 v8, 3, v34 :: v_dual_bitop2_b32 v64, 7, v81 bitop3:0x40
	s_mov_b32 s17, exec_lo
	v_cmpx_gt_u32_e32 8, v34
; %bb.950:                              ;   in Loop: Header=BB210_15 Depth=1
	s_delay_alu instid0(VALU_DEP_2) | instskip(NEXT) | instid1(VALU_DEP_1)
	v_clz_i32_u32_e32 v8, v64
	v_min_u32_e32 v8, 32, v8
	s_delay_alu instid0(VALU_DEP_1) | instskip(NEXT) | instid1(VALU_DEP_1)
	v_subrev_nc_u32_e32 v9, 28, v8
	v_lshlrev_b64_e32 v[34:35], v9, v[64:65]
	s_delay_alu instid0(VALU_DEP_1)
	v_dual_sub_nc_u32 v8, 29, v8 :: v_dual_bitop2_b32 v64, 7, v34 bitop3:0x40
; %bb.951:                              ;   in Loop: Header=BB210_15 Depth=1
	s_or_b32 exec_lo, exec_lo, s17
	s_delay_alu instid0(VALU_DEP_1) | instskip(NEXT) | instid1(VALU_DEP_2)
	v_dual_lshlrev_b32 v9, 24, v81 :: v_dual_lshlrev_b32 v0, 20, v64
	v_lshl_add_u32 v8, v8, 23, 0x3c000000
	s_delay_alu instid0(VALU_DEP_2) | instskip(NEXT) | instid1(VALU_DEP_1)
	v_and_b32_e32 v9, 0x80000000, v9
	v_or3_b32 v64, v0, v9, v8
	s_delay_alu instid0(VALU_DEP_1)
	v_mov_b64_e32 v[38:39], v[64:65]
.LBB210_952:                            ;   in Loop: Header=BB210_15 Depth=1
	s_or_b32 exec_lo, exec_lo, s16
.LBB210_953:                            ;   in Loop: Header=BB210_15 Depth=1
	s_delay_alu instid0(SALU_CYCLE_1)
	s_or_b32 exec_lo, exec_lo, s15
.LBB210_954:                            ;   in Loop: Header=BB210_15 Depth=1
	s_delay_alu instid0(SALU_CYCLE_1) | instskip(SKIP_2) | instid1(VALU_DEP_1)
	s_or_b32 exec_lo, exec_lo, s14
	v_lshrrev_b16 v0, 8, v81
	s_mov_b32 s14, exec_lo
	v_cmpx_ne_u16_e32 0, v0
	s_cbranch_execz .LBB210_962
; %bb.955:                              ;   in Loop: Header=BB210_15 Depth=1
	v_mov_b64_e32 v[52:53], 0x8000000000000000
	s_mov_b32 s15, exec_lo
	v_cmpx_ne_u16_e32 0x80, v0
	s_cbranch_execz .LBB210_961
; %bb.956:                              ;   in Loop: Header=BB210_15 Depth=1
	v_and_b32_e32 v0, 0xffff, v0
	v_mov_b64_e32 v[52:53], 0x7f80000100000000
	s_mov_b32 s16, exec_lo
	s_delay_alu instid0(VALU_DEP_2) | instskip(NEXT) | instid1(VALU_DEP_1)
	v_and_b32_e32 v34, 0x7f, v0
	v_cmpx_ne_u32_e32 0x7f, v34
	s_cbranch_execz .LBB210_960
; %bb.957:                              ;   in Loop: Header=BB210_15 Depth=1
	v_dual_lshrrev_b32 v8, 3, v34 :: v_dual_bitop2_b32 v64, 7, v0 bitop3:0x40
	s_mov_b32 s17, exec_lo
	v_cmpx_gt_u32_e32 8, v34
; %bb.958:                              ;   in Loop: Header=BB210_15 Depth=1
	s_delay_alu instid0(VALU_DEP_2) | instskip(NEXT) | instid1(VALU_DEP_1)
	v_clz_i32_u32_e32 v8, v64
	v_min_u32_e32 v8, 32, v8
	s_delay_alu instid0(VALU_DEP_1) | instskip(NEXT) | instid1(VALU_DEP_1)
	v_subrev_nc_u32_e32 v9, 28, v8
	v_lshlrev_b64_e32 v[34:35], v9, v[64:65]
	s_delay_alu instid0(VALU_DEP_1)
	v_dual_sub_nc_u32 v8, 29, v8 :: v_dual_bitop2_b32 v64, 7, v34 bitop3:0x40
; %bb.959:                              ;   in Loop: Header=BB210_15 Depth=1
	s_or_b32 exec_lo, exec_lo, s17
	s_delay_alu instid0(VALU_DEP_1) | instskip(NEXT) | instid1(VALU_DEP_2)
	v_dual_lshlrev_b32 v9, 16, v81 :: v_dual_lshlrev_b32 v0, 20, v64
	v_lshl_add_u32 v8, v8, 23, 0x3c000000
	v_mov_b32_e32 v52, v65
	s_delay_alu instid0(VALU_DEP_3) | instskip(NEXT) | instid1(VALU_DEP_1)
	v_and_b32_e32 v9, 0x80000000, v9
	v_or3_b32 v53, v0, v9, v8
.LBB210_960:                            ;   in Loop: Header=BB210_15 Depth=1
	s_or_b32 exec_lo, exec_lo, s16
.LBB210_961:                            ;   in Loop: Header=BB210_15 Depth=1
	s_delay_alu instid0(SALU_CYCLE_1)
	s_or_b32 exec_lo, exec_lo, s15
.LBB210_962:                            ;   in Loop: Header=BB210_15 Depth=1
	s_delay_alu instid0(SALU_CYCLE_1) | instskip(SKIP_4) | instid1(VALU_DEP_3)
	s_or_b32 exec_lo, exec_lo, s14
	v_lshrrev_b32_e32 v8, 16, v81
	v_mov_b64_e32 v[34:35], 0
	v_mov_b64_e32 v[2:3], 0
	s_mov_b32 s14, exec_lo
	v_and_b32_e32 v0, 0xff, v8
	s_delay_alu instid0(VALU_DEP_1)
	v_cmpx_ne_u16_e32 0, v0
	s_cbranch_execz .LBB210_970
; %bb.963:                              ;   in Loop: Header=BB210_15 Depth=1
	v_mov_b64_e32 v[2:3], 0x80000000
	s_mov_b32 s15, exec_lo
	v_cmpx_ne_u16_e32 0x80, v0
	s_cbranch_execz .LBB210_969
; %bb.964:                              ;   in Loop: Header=BB210_15 Depth=1
	v_mov_b64_e32 v[2:3], 0x7f800001
	v_bfe_u32 v21, v81, 16, 7
	s_mov_b32 s16, exec_lo
	s_delay_alu instid0(VALU_DEP_1)
	v_cmpx_ne_u32_e32 0x7f, v21
	s_cbranch_execz .LBB210_968
; %bb.965:                              ;   in Loop: Header=BB210_15 Depth=1
	v_dual_lshrrev_b32 v1, 3, v21 :: v_dual_bitop2_b32 v64, 7, v8 bitop3:0x40
	s_mov_b32 s17, exec_lo
	v_cmpx_gt_u32_e32 8, v21
; %bb.966:                              ;   in Loop: Header=BB210_15 Depth=1
	s_delay_alu instid0(VALU_DEP_2) | instskip(NEXT) | instid1(VALU_DEP_1)
	v_clz_i32_u32_e32 v9, v64
	v_min_u32_e32 v9, 32, v9
	s_delay_alu instid0(VALU_DEP_1) | instskip(NEXT) | instid1(VALU_DEP_1)
	v_subrev_nc_u32_e32 v12, 28, v9
	v_lshlrev_b64_e32 v[50:51], v12, v[64:65]
	s_delay_alu instid0(VALU_DEP_1)
	v_dual_sub_nc_u32 v1, 29, v9 :: v_dual_bitop2_b32 v64, 7, v50 bitop3:0x40
; %bb.967:                              ;   in Loop: Header=BB210_15 Depth=1
	s_or_b32 exec_lo, exec_lo, s17
	v_lshlrev_b32_e32 v8, 24, v8
	s_delay_alu instid0(VALU_DEP_2) | instskip(NEXT) | instid1(VALU_DEP_3)
	v_lshlrev_b32_e32 v0, 20, v64
	v_lshl_add_u32 v9, v1, 23, 0x3c000000
	s_delay_alu instid0(VALU_DEP_3) | instskip(NEXT) | instid1(VALU_DEP_1)
	v_and_b32_e32 v8, 0x80000000, v8
	v_or3_b32 v64, v0, v8, v9
	s_delay_alu instid0(VALU_DEP_1)
	v_mov_b64_e32 v[2:3], v[64:65]
.LBB210_968:                            ;   in Loop: Header=BB210_15 Depth=1
	s_or_b32 exec_lo, exec_lo, s16
.LBB210_969:                            ;   in Loop: Header=BB210_15 Depth=1
	s_delay_alu instid0(SALU_CYCLE_1)
	s_or_b32 exec_lo, exec_lo, s15
.LBB210_970:                            ;   in Loop: Header=BB210_15 Depth=1
	s_delay_alu instid0(SALU_CYCLE_1)
	s_or_b32 exec_lo, exec_lo, s14
	v_mov_b64_e32 v[6:7], v[30:31]
	s_mov_b32 s14, exec_lo
	s_clause 0x1
	scratch_store_b32 off, v13, s32 offset:796
	scratch_store_b32 off, v20, s32 offset:792
	s_wait_xcnt 0x0
	v_cmpx_lt_u32_e32 0xffffff, v81
	s_cbranch_execz .LBB210_13
; %bb.971:                              ;   in Loop: Header=BB210_15 Depth=1
	v_mov_b64_e32 v[34:35], 0x8000000000000000
	v_lshrrev_b32_e32 v8, 24, v81
	s_mov_b32 s15, exec_lo
	s_delay_alu instid0(VALU_DEP_1)
	v_cmpx_ne_u32_e32 0x80, v8
	s_cbranch_execz .LBB210_12
; %bb.972:                              ;   in Loop: Header=BB210_15 Depth=1
	v_mov_b64_e32 v[34:35], 0x7f80000100000000
	v_bfe_u32 v21, v81, 24, 7
	s_mov_b32 s16, exec_lo
	s_delay_alu instid0(VALU_DEP_1)
	v_cmpx_ne_u32_e32 0x7f, v21
	s_cbranch_execz .LBB210_11
; %bb.973:                              ;   in Loop: Header=BB210_15 Depth=1
	v_dual_lshrrev_b32 v34, 3, v21 :: v_dual_bitop2_b32 v64, 7, v8 bitop3:0x40
	s_mov_b32 s17, exec_lo
	v_cmpx_gt_u32_e32 8, v21
	s_cbranch_execz .LBB210_10
; %bb.974:                              ;   in Loop: Header=BB210_15 Depth=1
	s_delay_alu instid0(VALU_DEP_2) | instskip(NEXT) | instid1(VALU_DEP_1)
	v_clz_i32_u32_e32 v9, v64
	v_min_u32_e32 v9, 32, v9
	s_delay_alu instid0(VALU_DEP_1) | instskip(NEXT) | instid1(VALU_DEP_1)
	v_subrev_nc_u32_e32 v12, 28, v9
	v_lshlrev_b64_e32 v[50:51], v12, v[64:65]
	s_delay_alu instid0(VALU_DEP_1)
	v_dual_sub_nc_u32 v34, 29, v9 :: v_dual_bitop2_b32 v64, 7, v50 bitop3:0x40
	s_branch .LBB210_10
.LBB210_975:
	s_or_b32 exec_lo, exec_lo, s9
	scratch_load_b32 v26, off, s32 offset:1468 ; 4-byte Folded Reload
.LBB210_976:
	s_wait_xcnt 0x0
	s_or_b32 exec_lo, exec_lo, s3
	v_mbcnt_lo_u32_b32 v2, -1, 0
	s_delay_alu instid0(VALU_DEP_1) | instskip(SKIP_1) | instid1(VALU_DEP_2)
	v_dual_max_num_f32 v4, v20, v20 :: v_dual_bitop2_b32 v0, 16, v2 bitop3:0x14
	v_xor_b32_e32 v3, 8, v2
	v_cmp_gt_i32_e32 vcc_lo, 32, v0
	v_cndmask_b32_e32 v0, v2, v0, vcc_lo
	s_delay_alu instid0(VALU_DEP_3) | instskip(NEXT) | instid1(VALU_DEP_2)
	v_cmp_gt_i32_e32 vcc_lo, 32, v3
	v_dual_cndmask_b32 v3, v2, v3 :: v_dual_lshlrev_b32 v0, 2, v0
	ds_bpermute_b32 v1, v0, v20
	s_wait_dscnt 0x0
	v_dual_max_num_f32 v5, v1, v1 :: v_dual_lshlrev_b32 v1, 2, v3
	s_delay_alu instid0(VALU_DEP_1) | instskip(SKIP_4) | instid1(VALU_DEP_1)
	v_dual_max_num_f32 v3, v4, v5 :: v_dual_bitop2_b32 v5, 4, v2 bitop3:0x14
	ds_bpermute_b32 v4, v1, v3
	v_cmp_gt_i32_e32 vcc_lo, 32, v5
	s_wait_dscnt 0x0
	v_dual_cndmask_b32 v5, v2, v5 :: v_dual_max_num_f32 v4, v4, v4
	v_dual_lshlrev_b32 v51, 2, v5 :: v_dual_max_num_f32 v3, v3, v4
	ds_bpermute_b32 v4, v51, v3
	s_wait_dscnt 0x0
	v_dual_max_num_f32 v4, v4, v4 :: v_dual_bitop2_b32 v5, 2, v2 bitop3:0x14
	s_delay_alu instid0(VALU_DEP_1) | instskip(NEXT) | instid1(VALU_DEP_2)
	v_cmp_gt_i32_e32 vcc_lo, 32, v5
	v_dual_max_num_f32 v3, v3, v4 :: v_dual_cndmask_b32 v5, v2, v5, vcc_lo
	s_delay_alu instid0(VALU_DEP_1) | instskip(SKIP_4) | instid1(VALU_DEP_1)
	v_dual_lshlrev_b32 v67, 2, v5 :: v_dual_bitop2_b32 v5, 1, v2 bitop3:0x14
	ds_bpermute_b32 v4, v67, v3
	v_cmp_gt_i32_e32 vcc_lo, 32, v5
	v_cndmask_b32_e32 v5, v2, v5, vcc_lo
	s_wait_dscnt 0x0
	v_dual_max_num_f32 v4, v4, v4 :: v_dual_lshlrev_b32 v99, 2, v5
	s_delay_alu instid0(VALU_DEP_1)
	v_max_num_f32_e32 v2, v3, v4
	scratch_load_b32 v3, off, s32 offset:888 ; 4-byte Folded Reload
	ds_bpermute_b32 v4, v99, v2
	s_wait_loadcnt 0x0
	v_cmp_eq_u32_e32 vcc_lo, 0, v3
	scratch_load_b32 v3, off, s32 offset:1412 ; 4-byte Folded Reload
	s_wait_loadcnt 0x0
	v_lshlrev_b32_e32 v3, 2, v3
	s_wait_xcnt 0x0
	s_and_saveexec_b32 s1, vcc_lo
	s_cbranch_execz .LBB210_978
; %bb.977:
	s_wait_dscnt 0x0
	v_dual_max_num_f32 v4, v4, v4 :: v_dual_max_num_f32 v2, v2, v2
	s_delay_alu instid0(VALU_DEP_1)
	v_max_num_f32_e32 v2, v2, v4
	ds_store_b32 v3, v2 offset:480
.LBB210_978:
	s_or_b32 exec_lo, exec_lo, s1
	scratch_load_b32 v2, off, s32 offset:888 ; 4-byte Folded Reload
	s_wait_storecnt 0x0
	s_wait_loadcnt_dscnt 0x0
	s_barrier_signal -1
	s_barrier_wait -1
	v_cmp_gt_u32_e64 s1, 4, v2
	v_mov_b32_e32 v2, 0xff7fffff
	s_and_saveexec_b32 s2, s1
	s_cbranch_execz .LBB210_980
; %bb.979:
	scratch_load_b32 v2, off, s32 offset:1416 ; 4-byte Folded Reload
	s_wait_loadcnt 0x0
	ds_load_b32 v2, v2 offset:480
.LBB210_980:
	s_or_b32 exec_lo, exec_lo, s2
	s_wait_dscnt 0x0
	ds_bpermute_b32 v4, v67, v2
	v_max_num_f32_e32 v2, v2, v2
	scratch_load_b64 v[6:7], off, s32 offset:192 ; 8-byte Folded Reload
	s_wait_dscnt 0x0
	v_max_num_f32_e32 v4, v4, v4
	s_delay_alu instid0(VALU_DEP_1) | instskip(SKIP_3) | instid1(VALU_DEP_1)
	v_max_num_f32_e32 v2, v2, v4
	ds_bpermute_b32 v4, v99, v2
	s_wait_dscnt 0x0
	v_max_num_f32_e32 v4, v4, v4
	v_dual_max_num_f32 v2, v2, v4 :: v_dual_mov_b32 v4, 0
	ds_bpermute_b32 v5, v4, v2
	scratch_load_b32 v2, off, s32 offset:200 ; 4-byte Folded Reload
	s_wait_loadcnt 0x0
	v_lshlrev_b32_e32 v2, 5, v2
	s_delay_alu instid0(VALU_DEP_1)
	v_min_i32_e32 v2, v2, v6
	scratch_load_b32 v6, off, s32 offset:892 ; 4-byte Folded Reload
	s_wait_loadcnt 0x0
	v_cmp_lt_i32_e64 s2, v6, v2
	s_wait_kmcnt 0x0
	s_and_saveexec_b32 s8, s2
	s_cbranch_execz .LBB210_984
; %bb.981:
	scratch_load_b32 v7, off, s32 offset:892 ; 4-byte Folded Reload
	s_load_b32 s3, s[6:7], 0x0
	v_mov_b32_e32 v4, 0
	s_mov_b32 s9, 0
	s_wait_loadcnt 0x0
	s_wait_kmcnt 0x0
	v_lshl_add_u32 v6, v7, 2, s3
.LBB210_982:                            ; =>This Inner Loop Header: Depth=1
	ds_load_b32 v8, v6
	v_add_nc_u32_e32 v7, 0x80, v7
	s_delay_alu instid0(VALU_DEP_1) | instskip(SKIP_3) | instid1(VALU_DEP_1)
	v_cmp_ge_i32_e64 s3, v7, v2
	s_or_b32 s9, s3, s9
	s_wait_dscnt 0x0
	v_sub_f32_e32 v8, v8, v5
	v_mul_f32_e32 v8, 0x3fb8aa3b, v8
	s_delay_alu instid0(VALU_DEP_1)
	v_exp_f32_e32 v8, v8
	ds_store_b32 v6, v8
	v_nop
	v_add_f32_e32 v4, v4, v8
	v_add_nc_u32_e32 v6, 0x200, v6
	s_and_not1_b32 exec_lo, exec_lo, s9
	s_cbranch_execnz .LBB210_982
; %bb.983:
	s_or_b32 exec_lo, exec_lo, s9
.LBB210_984:
	s_delay_alu instid0(SALU_CYCLE_1)
	s_or_b32 exec_lo, exec_lo, s8
	ds_bpermute_b32 v0, v0, v4
	s_wait_dscnt 0x0
	v_add_f32_e32 v0, v4, v0
	ds_bpermute_b32 v1, v1, v0
	s_wait_dscnt 0x0
	v_add_f32_e32 v0, v0, v1
	;; [unrolled: 3-line block ×5, first 2 shown]
	s_and_saveexec_b32 s3, vcc_lo
; %bb.985:
	ds_store_b32 v3, v0 offset:496
; %bb.986:
	s_or_b32 exec_lo, exec_lo, s3
	s_wait_dscnt 0x0
	s_barrier_signal -1
	s_barrier_wait -1
	s_and_saveexec_b32 s3, s1
	s_cbranch_execz .LBB210_988
; %bb.987:
	scratch_load_b32 v0, off, s32 offset:1416 th:TH_LOAD_LU ; 4-byte Folded Reload
	s_wait_loadcnt 0x0
	ds_load_b32 v0, v0 offset:496
.LBB210_988:
	s_or_b32 exec_lo, exec_lo, s3
	s_wait_dscnt 0x0
	ds_bpermute_b32 v1, v67, v0
	s_wait_dscnt 0x0
	v_dual_mov_b32 v69, 0 :: v_dual_add_f32 v0, v0, v1
	ds_bpermute_b32 v1, v99, v0
	s_wait_dscnt 0x0
	v_add_f32_e32 v0, v0, v1
	ds_bpermute_b32 v0, v69, v0
	s_and_saveexec_b32 s1, s2
	s_cbranch_execz .LBB210_1001
; %bb.989:
	s_wait_dscnt 0x0
	v_add_f32_e32 v0, 0x358637bd, v0
	s_mov_b32 s3, -1
	s_mov_b32 s2, exec_lo
	s_delay_alu instid0(VALU_DEP_1) | instskip(SKIP_1) | instid1(VALU_DEP_2)
	v_div_scale_f32 v1, null, v0, v0, 1.0
	v_div_scale_f32 v5, vcc_lo, 1.0, v0, 1.0
	v_rcp_f32_e32 v4, v1
	v_nop
	s_delay_alu instid0(TRANS32_DEP_1) | instskip(NEXT) | instid1(VALU_DEP_1)
	v_fma_f32 v3, -v1, v4, 1.0
	v_fmac_f32_e32 v4, v3, v4
	s_delay_alu instid0(VALU_DEP_1) | instskip(NEXT) | instid1(VALU_DEP_1)
	v_mul_f32_e32 v6, v5, v4
	v_fma_f32 v3, -v1, v6, v5
	s_delay_alu instid0(VALU_DEP_1) | instskip(NEXT) | instid1(VALU_DEP_1)
	v_fmac_f32_e32 v6, v3, v4
	v_fma_f32 v1, -v1, v6, v5
	scratch_load_b32 v5, off, s32 offset:892 ; 4-byte Folded Reload
	v_div_fmas_f32 v1, v1, v4, v6
	s_delay_alu instid0(VALU_DEP_1) | instskip(SKIP_3) | instid1(VALU_DEP_2)
	v_div_fixup_f32 v0, v1, v0, 1.0
	s_wait_loadcnt 0x0
	v_xad_u32 v3, v5, -1, v2
	v_mov_b32_e32 v1, v5
	v_cmpx_lt_u32_e32 0x7f, v3
	s_cbranch_execz .LBB210_998
; %bb.990:
	v_dual_lshrrev_b32 v3, 7, v3 :: v_dual_mov_b32 v1, v0
	s_delay_alu instid0(VALU_DEP_1) | instskip(NEXT) | instid1(VALU_DEP_1)
	v_dual_mov_b32 v7, 0 :: v_dual_add_nc_u32 v4, -1, v3
	v_lshrrev_b32_e32 v5, 1, v4
	v_cmp_lt_u32_e32 vcc_lo, 13, v4
	s_delay_alu instid0(VALU_DEP_2)
	v_add_nc_u32_e32 v4, 1, v5
	s_and_saveexec_b32 s3, vcc_lo
	s_cbranch_execz .LBB210_994
; %bb.991:
	scratch_load_b32 v6, off, s32 offset:892 ; 4-byte Folded Reload
	s_load_b32 s8, s[6:7], 0x0
	v_and_b32_e32 v5, -8, v4
	s_mov_b32 s9, 0
	s_wait_loadcnt 0x0
	s_wait_kmcnt 0x0
	v_lshl_add_u32 v6, v6, 2, s8
	s_mov_b32 s8, 0
.LBB210_992:                            ; =>This Inner Loop Header: Depth=1
	ds_load_2addr_stride64_b32 v[8:9], v6 offset1:2
	ds_load_2addr_stride64_b32 v[10:11], v6 offset0:4 offset1:6
	ds_load_2addr_stride64_b32 v[12:13], v6 offset0:8 offset1:10
	;; [unrolled: 1-line block ×7, first 2 shown]
	s_add_co_i32 s9, s9, 16
	s_delay_alu instid0(SALU_CYCLE_1) | instskip(NEXT) | instid1(VALU_DEP_1)
	v_dual_add_nc_u32 v5, -8, v5 :: v_dual_mov_b32 v7, s9
	v_cmp_eq_u32_e32 vcc_lo, 0, v5
	s_or_b32 s8, vcc_lo, s8
	s_wait_dscnt 0x7
	v_pk_mul_f32 v[8:9], v[0:1], v[8:9]
	s_wait_dscnt 0x6
	v_pk_mul_f32 v[10:11], v[0:1], v[10:11]
	;; [unrolled: 2-line block ×8, first 2 shown]
	ds_store_2addr_stride64_b32 v6, v8, v9 offset1:2
	ds_store_2addr_stride64_b32 v6, v10, v11 offset0:4 offset1:6
	ds_store_2addr_stride64_b32 v6, v12, v13 offset0:8 offset1:10
	;; [unrolled: 1-line block ×7, first 2 shown]
	v_add_nc_u32_e32 v6, 0x2000, v6
	s_and_not1_b32 exec_lo, exec_lo, s8
	s_cbranch_execnz .LBB210_992
; %bb.993:
	s_or_b32 exec_lo, exec_lo, s8
.LBB210_994:
	s_delay_alu instid0(SALU_CYCLE_1) | instskip(NEXT) | instid1(VALU_DEP_1)
	s_or_b32 exec_lo, exec_lo, s3
	v_and_b32_e32 v4, 7, v4
	s_mov_b32 s8, 0
	s_mov_b32 s3, exec_lo
	s_delay_alu instid0(VALU_DEP_1)
	v_cmpx_ne_u32_e32 0, v4
	s_cbranch_execz .LBB210_997
; %bb.995:
	scratch_load_b32 v6, off, s32 offset:892 ; 4-byte Folded Reload
	s_load_b32 s9, s[6:7], 0x0
	s_wait_loadcnt 0x0
	v_dual_lshlrev_b32 v5, 9, v7 :: v_dual_lshlrev_b32 v6, 2, v6
	s_wait_kmcnt 0x0
	s_delay_alu instid0(VALU_DEP_1)
	v_add3_u32 v5, v5, v6, s9
.LBB210_996:                            ; =>This Inner Loop Header: Depth=1
	ds_load_2addr_stride64_b32 v[6:7], v5 offset1:2
	v_add_nc_u32_e32 v4, -1, v4
	s_delay_alu instid0(VALU_DEP_1)
	v_cmp_eq_u32_e32 vcc_lo, 0, v4
	s_or_b32 s8, vcc_lo, s8
	s_wait_dscnt 0x0
	v_pk_mul_f32 v[6:7], v[0:1], v[6:7]
	ds_store_2addr_stride64_b32 v5, v6, v7 offset1:2
	v_add_nc_u32_e32 v5, 0x400, v5
	s_and_not1_b32 exec_lo, exec_lo, s8
	s_cbranch_execnz .LBB210_996
.LBB210_997:
	s_or_b32 exec_lo, exec_lo, s3
	v_add_nc_u32_e32 v1, 1, v3
	s_delay_alu instid0(VALU_DEP_1) | instskip(NEXT) | instid1(VALU_DEP_1)
	v_and_b32_e32 v3, 0x3fffffe, v1
	v_cmp_ne_u32_e32 vcc_lo, v1, v3
	scratch_load_b32 v1, off, s32 offset:892 ; 4-byte Folded Reload
	s_or_not1_b32 s3, vcc_lo, exec_lo
	s_wait_loadcnt 0x0
	v_lshl_add_u32 v1, v3, 7, v1
.LBB210_998:
	s_or_b32 exec_lo, exec_lo, s2
	s_delay_alu instid0(SALU_CYCLE_1)
	s_and_b32 exec_lo, exec_lo, s3
	s_cbranch_execz .LBB210_1001
; %bb.999:
	s_load_b32 s2, s[6:7], 0x0
	s_wait_kmcnt 0x0
	v_lshl_add_u32 v3, v1, 2, s2
	s_mov_b32 s2, 0
.LBB210_1000:                           ; =>This Inner Loop Header: Depth=1
	ds_load_b32 v4, v3
	s_wait_dscnt 0x0
	v_dual_mul_f32 v4, v0, v4 :: v_dual_add_nc_u32 v1, 0x80, v1
	s_delay_alu instid0(VALU_DEP_1) | instskip(SKIP_3) | instid1(SALU_CYCLE_1)
	v_cmp_ge_i32_e32 vcc_lo, v1, v2
	ds_store_b32 v3, v4
	v_add_nc_u32_e32 v3, 0x200, v3
	s_or_b32 s2, vcc_lo, s2
	s_and_not1_b32 exec_lo, exec_lo, s2
	s_cbranch_execnz .LBB210_1000
.LBB210_1001:
	s_or_b32 exec_lo, exec_lo, s1
	s_wait_dscnt 0x0
	scratch_load_b32 v0, off, s32 offset:892 ; 4-byte Folded Reload
	v_dual_mov_b32 v1, 0 :: v_dual_mov_b32 v85, 0
	v_dual_mov_b32 v84, 0 :: v_dual_mov_b32 v71, 0
	;; [unrolled: 1-line block ×11, first 2 shown]
	s_wait_loadcnt 0x0
	v_and_b32_e32 v0, 7, v0
	scratch_store_b32 off, v0, s32 offset:452 ; 4-byte Folded Spill
	s_wait_xcnt 0x0
	v_mov_b32_e32 v0, 0
	scratch_store_b64 off, v[0:1], s32 offset:300 ; 8-byte Folded Spill
	s_wait_xcnt 0x0
	v_dual_mov_b32 v1, 0 :: v_dual_mov_b32 v0, 0
	scratch_store_b64 off, v[0:1], s32 offset:308 ; 8-byte Folded Spill
	s_wait_xcnt 0x0
	v_dual_mov_b32 v1, 0 :: v_dual_mov_b32 v0, 0
	;; [unrolled: 3-line block ×3, first 2 shown]
	s_wait_storecnt 0x0
	s_barrier_signal -1
	s_barrier_wait -1
	s_and_saveexec_b32 s1, s0
	s_cbranch_execz .LBB210_2027
; %bb.1002:
	s_clause 0x2
	scratch_store_b32 off, v51, s32 offset:468
	scratch_store_b32 off, v67, s32 offset:460
	scratch_load_b32 v0, off, s32 offset:1464 th:TH_LOAD_LU
	v_dual_mov_b32 v8, 0 :: v_dual_mov_b32 v9, 0
	s_mov_b32 s2, 0
	s_wait_loadcnt 0x0
	v_max_i32_e32 v84, v26, v0
	scratch_load_b32 v0, off, s32 offset:892 ; 4-byte Folded Reload
	s_wait_loadcnt 0x0
	v_lshlrev_b32_e32 v2, 2, v0
	s_clause 0x2
	scratch_load_b64 v[0:1], off, s32 offset:1456 th:TH_LOAD_LU
	scratch_load_b64 v[4:5], off, s32 offset:1440 th:TH_LOAD_LU
	scratch_store_b64 off, v[8:9], s32 offset:412
	s_wait_xcnt 0x0
	v_dual_mov_b32 v8, 0 :: v_dual_mov_b32 v9, 0
	v_and_b32_e32 v80, 0x7c, v2
	s_clause 0x2
	scratch_load_b64 v[10:11], off, s32 offset:1420 th:TH_LOAD_LU
	scratch_load_b32 v6, off, s32 offset:1412
	scratch_store_b64 off, v[8:9], s32 offset:404
	s_wait_xcnt 0x0
	v_dual_mov_b32 v8, 0 :: v_dual_mov_b32 v9, 0
	scratch_store_b64 off, v[8:9], s32 offset:396 ; 8-byte Folded Spill
	s_wait_xcnt 0x0
	v_dual_mov_b32 v8, 0 :: v_dual_mov_b32 v9, 0
	s_wait_loadcnt 0x2
	v_add_nc_u64_e32 v[0:1], v[0:1], v[4:5]
	scratch_load_b64 v[4:5], off, s32 offset:192 ; 8-byte Folded Reload
	v_mov_b32_e32 v81, 0
	s_delay_alu instid0(VALU_DEP_1)
	v_add_nc_u64_e32 v[0:1], v[0:1], v[80:81]
	scratch_store_b64 off, v[8:9], s32 offset:380 ; 8-byte Folded Spill
	s_wait_xcnt 0x0
	v_dual_mov_b32 v8, 0 :: v_dual_mov_b32 v9, 0
	s_clause 0x2
	scratch_store_b64 off, v[0:1], s32 offset:428
	scratch_load_b32 v0, off, s32 offset:1436 th:TH_LOAD_LU
	scratch_store_b64 off, v[8:9], s32 offset:388
	s_wait_loadcnt 0x1
	s_wait_xcnt 0x0
	v_dual_mov_b32 v8, 0 :: v_dual_sub_nc_u32 v5, 0, v84
	v_dual_mov_b32 v9, 0 :: v_dual_mov_b32 v1, 0
	v_dual_mov_b32 v85, v6 :: v_dual_mov_b32 v3, v4
	scratch_load_b32 v4, off, s32 offset:452 ; 4-byte Folded Reload
	v_mov_b32_e32 v7, v81
	s_wait_loadcnt 0x1
	v_and_b32_e32 v80, 0x7c, v0
	v_mov_b32_e32 v0, 0
	s_clause 0x1
	scratch_store_b64 off, v[8:9], s32 offset:316
	scratch_store_b64 off, v[2:3], s32 offset:444
	s_wait_xcnt 0x0
	v_cvt_f32_u32_e32 v3, v84
	v_dual_mov_b32 v8, 0 :: v_dual_mov_b32 v9, 0
	scratch_store_b64 off, v[0:1], s32 offset:372 ; 8-byte Folded Spill
	s_wait_xcnt 0x0
	v_dual_mov_b32 v0, 0 :: v_dual_mov_b32 v1, 0
	v_rcp_iflag_f32_e32 v3, v3
	scratch_store_b64 off, v[8:9], s32 offset:308 ; 8-byte Folded Spill
	s_wait_xcnt 0x0
	v_dual_mov_b32 v8, 0 :: v_dual_mov_b32 v9, 0
	v_mul_f32_e32 v3, 0x4f7ffffe, v3
	s_delay_alu instid0(VALU_DEP_1) | instskip(NEXT) | instid1(VALU_DEP_1)
	v_cvt_u32_f32_e32 v3, v3
	v_mul_lo_u32 v5, v5, v3
	s_delay_alu instid0(VALU_DEP_1)
	v_mul_hi_u32 v5, v3, v5
	v_and_b32_e32 v2, 28, v2
	s_clause 0x1
	scratch_store_b64 off, v[0:1], s32 offset:332
	scratch_load_b64 v[0:1], off, s32 offset:1428 th:TH_LOAD_LU
	s_wait_loadcnt 0x1
	v_lshlrev_b32_e32 v4, 4, v4
	s_delay_alu instid0(VALU_DEP_1)
	v_lshl_or_b32 v86, v6, 7, v4
	v_add_nc_u32_e32 v6, v3, v5
	s_clause 0x2
	scratch_store_b32 off, v2, s32 offset:436
	scratch_load_b64 v[2:3], off, s32 offset:204
	scratch_store_b64 off, v[6:7], s32 offset:420
	s_wait_loadcnt 0x1
	v_lshl_add_u64 v[0:1], v[0:1], 2, v[80:81]
	s_delay_alu instid0(VALU_DEP_1)
	v_add_nc_u64_e32 v[64:65], v[10:11], v[0:1]
	v_dual_mov_b32 v0, 0 :: v_dual_mov_b32 v1, 0
	scratch_store_b64 off, v[8:9], s32 offset:300 ; 8-byte Folded Spill
	s_wait_xcnt 0x0
	v_dual_mov_b32 v8, 0 :: v_dual_mov_b32 v9, 0
	s_clause 0x1
	scratch_store_b64 off, v[0:1], s32 offset:324
	scratch_store_b64 off, v[8:9], s32 offset:364
	s_wait_xcnt 0x0
	v_dual_mov_b32 v8, 0 :: v_dual_mov_b32 v9, 0
	scratch_store_b64 off, v[8:9], s32 offset:348 ; 8-byte Folded Spill
	s_wait_xcnt 0x0
	v_dual_mov_b32 v8, 0 :: v_dual_mov_b32 v9, 0
	scratch_store_b64 off, v[8:9], s32 offset:340 ; 8-byte Folded Spill
	;; [unrolled: 3-line block ×3, first 2 shown]
	s_branch .LBB210_1005
.LBB210_1003:                           ;   in Loop: Header=BB210_1005 Depth=1
	s_wait_xcnt 0x0
	s_or_b32 exec_lo, exec_lo, s8
	v_dual_mul_f32 v6, v3, v67 :: v_dual_mul_f32 v7, v3, v49
	s_delay_alu instid0(VALU_DEP_1) | instskip(NEXT) | instid1(VALU_DEP_2)
	v_dual_mul_f32 v11, v3, v11 :: v_dual_fmac_f32 v6, v2, v66
	v_dual_fmac_f32 v7, v2, v48 :: v_dual_mul_f32 v21, v3, v33
	s_delay_alu instid0(VALU_DEP_2) | instskip(NEXT) | instid1(VALU_DEP_2)
	v_dual_fmac_f32 v11, v2, v10 :: v_dual_fmac_f32 v6, v4, v0
	v_dual_mul_f32 v20, v3, v37 :: v_dual_fmac_f32 v21, v2, v32
	v_mul_f32_e32 v0, v3, v9
	s_delay_alu instid0(VALU_DEP_2) | instskip(NEXT) | instid1(VALU_DEP_2)
	v_dual_fmac_f32 v6, v5, v1 :: v_dual_fmac_f32 v20, v2, v36
	v_dual_mul_f32 v1, v3, v27 :: v_dual_fmac_f32 v0, v2, v8
	s_delay_alu instid0(VALU_DEP_4) | instskip(NEXT) | instid1(VALU_DEP_3)
	v_dual_mul_f32 v8, v3, v19 :: v_dual_fmac_f32 v21, v4, v30
	v_fmac_f32_e32 v20, v4, v34
	s_delay_alu instid0(VALU_DEP_3) | instskip(SKIP_1) | instid1(VALU_DEP_4)
	v_fmac_f32_e32 v1, v2, v26
	v_fmac_f32_e32 v7, v4, v38
	v_dual_fmac_f32 v8, v2, v18 :: v_dual_mul_f32 v9, v3, v15
	s_delay_alu instid0(VALU_DEP_3) | instskip(SKIP_1) | instid1(VALU_DEP_3)
	v_dual_fmac_f32 v20, v5, v35 :: v_dual_fmac_f32 v1, v4, v24
	v_fmac_f32_e32 v0, v4, v28
	v_dual_fmac_f32 v8, v4, v16 :: v_dual_fmac_f32 v9, v2, v14
	scratch_load_b64 v[14:15], off, s32 offset:356 th:TH_LOAD_LU ; 8-byte Folded Reload
	v_fmac_f32_e32 v1, v5, v25
	v_fmac_f32_e32 v0, v5, v29
	v_dual_fmac_f32 v8, v5, v17 :: v_dual_fmac_f32 v9, v4, v12
	v_fmac_f32_e32 v7, v5, v39
	v_fmac_f32_e32 v21, v5, v31
	s_clause 0x1
	scratch_load_b64 v[18:19], off, s32 offset:292 th:TH_LOAD_LU
	scratch_load_b64 v[16:17], off, s32 offset:276 th:TH_LOAD_LU
	v_fmac_f32_e32 v9, v5, v13
	scratch_load_b64 v[12:13], off, s32 offset:324 th:TH_LOAD_LU ; 8-byte Folded Reload
	s_wait_loadcnt 0x3
	v_dual_add_f32 v15, v15, v7 :: v_dual_add_f32 v14, v14, v20
	s_clause 0x1
	scratch_store_b64 off, v[14:15], s32 offset:356
	scratch_load_b64 v[14:15], off, s32 offset:348 th:TH_LOAD_LU
	s_wait_loadcnt 0x1
	v_dual_mul_f32 v10, v3, v53 :: v_dual_add_f32 v12, v12, v6
	scratch_load_b64 v[6:7], off, s32 offset:332 th:TH_LOAD_LU ; 8-byte Folded Reload
	v_dual_fmac_f32 v11, v4, v54 :: v_dual_fmac_f32 v10, v2, v52
	s_wait_loadcnt 0x0
	v_dual_add_f32 v7, v7, v21 :: v_dual_add_f32 v6, v6, v0
	s_delay_alu instid0(VALU_DEP_2) | instskip(SKIP_4) | instid1(VALU_DEP_1)
	v_dual_fmac_f32 v10, v4, v126 :: v_dual_fmac_f32 v11, v5, v55
	s_clause 0x1
	scratch_store_b64 off, v[6:7], s32 offset:332
	scratch_load_b64 v[6:7], off, s32 offset:372 th:TH_LOAD_LU
	v_fmac_f32_e32 v10, v5, v127
	v_add_f32_e32 v15, v15, v10
	s_wait_loadcnt 0x0
	v_add_f32_e32 v7, v7, v1
	scratch_load_b64 v[0:1], off, s32 offset:340 th:TH_LOAD_LU ; 8-byte Folded Reload
	s_wait_loadcnt 0x0
	v_dual_add_f32 v6, v6, v8 :: v_dual_add_f32 v1, v1, v9
	v_add_f32_e32 v0, v0, v11
	s_clause 0x1
	scratch_load_b64 v[10:11], off, s32 offset:364 th:TH_LOAD_LU
	scratch_store_b64 off, v[6:7], s32 offset:372
	s_wait_xcnt 0x0
	v_mul_f32_e32 v7, v3, v105
	v_mul_f32_e32 v6, v3, v109
	scratch_store_b64 off, v[0:1], s32 offset:340 ; 8-byte Folded Spill
	s_wait_xcnt 0x0
	v_mul_f32_e32 v1, v3, v121
	v_dual_mul_f32 v0, v3, v125 :: v_dual_fmac_f32 v7, v2, v104
	v_fmac_f32_e32 v6, v2, v108
	s_delay_alu instid0(VALU_DEP_3) | instskip(NEXT) | instid1(VALU_DEP_3)
	v_fmac_f32_e32 v1, v2, v120
	v_dual_fmac_f32 v0, v2, v124 :: v_dual_mul_f32 v8, v3, v93
	s_delay_alu instid0(VALU_DEP_2) | instskip(NEXT) | instid1(VALU_DEP_2)
	v_fmac_f32_e32 v1, v4, v110
	v_fmac_f32_e32 v0, v4, v122
	s_delay_alu instid0(VALU_DEP_3) | instskip(NEXT) | instid1(VALU_DEP_3)
	v_dual_fmac_f32 v8, v2, v92 :: v_dual_fmac_f32 v6, v4, v106
	v_dual_fmac_f32 v7, v4, v94 :: v_dual_fmac_f32 v1, v5, v111
	s_delay_alu instid0(VALU_DEP_3) | instskip(NEXT) | instid1(VALU_DEP_3)
	v_fmac_f32_e32 v0, v5, v123
	v_dual_fmac_f32 v8, v4, v90 :: v_dual_fmac_f32 v6, v5, v107
	s_delay_alu instid0(VALU_DEP_2) | instskip(SKIP_1) | instid1(VALU_DEP_2)
	v_dual_fmac_f32 v7, v5, v95 :: v_dual_add_f32 v14, v14, v0
	s_wait_loadcnt 0x0
	v_dual_fmac_f32 v8, v5, v91 :: v_dual_add_f32 v11, v11, v1
	s_delay_alu instid0(VALU_DEP_3)
	v_dual_add_f32 v10, v10, v6 :: v_dual_mul_f32 v6, v3, v73
	s_clause 0x1
	scratch_store_b64 off, v[10:11], s32 offset:364
	scratch_load_b64 v[10:11], off, s32 offset:300 th:TH_LOAD_LU
	s_wait_loadcnt 0x0
	v_dual_mul_f32 v0, v3, v89 :: v_dual_add_f32 v10, v10, v8
	v_add_f32_e32 v11, v11, v7
	scratch_store_b64 off, v[14:15], s32 offset:348 ; 8-byte Folded Spill
	v_dual_mul_f32 v1, v3, v77 :: v_dual_fmac_f32 v0, v2, v88
	v_mul_f32_e32 v7, v3, v61
	s_clause 0x1
	scratch_store_b64 off, v[10:11], s32 offset:300
	scratch_load_b64 v[10:11], off, s32 offset:308 th:TH_LOAD_LU
	v_dual_fmac_f32 v1, v2, v76 :: v_dual_mul_f32 v8, v3, v59
	v_dual_fmac_f32 v6, v2, v72 :: v_dual_fmac_f32 v0, v4, v78
	s_delay_alu instid0(VALU_DEP_2) | instskip(NEXT) | instid1(VALU_DEP_3)
	v_dual_fmac_f32 v7, v2, v60 :: v_dual_fmac_f32 v1, v4, v74
	v_fmac_f32_e32 v8, v2, v58
	s_delay_alu instid0(VALU_DEP_3) | instskip(NEXT) | instid1(VALU_DEP_3)
	v_dual_fmac_f32 v6, v4, v62 :: v_dual_fmac_f32 v0, v5, v79
	v_dual_fmac_f32 v7, v4, v22 :: v_dual_fmac_f32 v1, v5, v75
	s_delay_alu instid0(VALU_DEP_2)
	v_dual_fmac_f32 v8, v4, v56 :: v_dual_fmac_f32 v6, v5, v63
	scratch_load_b64 v[14:15], off, s32 offset:260 th:TH_LOAD_LU ; 8-byte Folded Reload
	v_dual_fmac_f32 v7, v5, v23 :: v_dual_fmac_f32 v8, v5, v57
	s_wait_loadcnt 0x1
	v_dual_add_f32 v11, v11, v0 :: v_dual_add_f32 v10, v10, v1
	s_clause 0x2
	scratch_load_b64 v[0:1], off, s32 offset:316 th:TH_LOAD_LU
	scratch_store_b64 off, v[10:11], s32 offset:308
	scratch_load_b64 v[10:11], off, s32 offset:388 th:TH_LOAD_LU
	s_wait_loadcnt 0x1
	v_dual_add_f32 v1, v1, v6 :: v_dual_add_f32 v0, v0, v7
	v_mul_f32_e32 v7, v3, v115
	v_mul_f32_e32 v6, v3, v119
	s_wait_loadcnt 0x0
	v_add_f32_e32 v11, v11, v8
	scratch_store_b64 off, v[0:1], s32 offset:316 ; 8-byte Folded Spill
	s_wait_xcnt 0x0
	v_mul_f32_e32 v1, v3, v43
	v_dual_mul_f32 v0, v3, v47 :: v_dual_fmac_f32 v7, v2, v114
	v_fmac_f32_e32 v6, v2, v118
	s_delay_alu instid0(VALU_DEP_3) | instskip(NEXT) | instid1(VALU_DEP_3)
	v_fmac_f32_e32 v1, v2, v42
	v_dual_fmac_f32 v0, v2, v46 :: v_dual_mul_f32 v8, v3, v103
	s_delay_alu instid0(VALU_DEP_2) | instskip(NEXT) | instid1(VALU_DEP_2)
	v_fmac_f32_e32 v1, v4, v40
	v_fmac_f32_e32 v0, v4, v44
	s_delay_alu instid0(VALU_DEP_3) | instskip(NEXT) | instid1(VALU_DEP_3)
	v_dual_fmac_f32 v8, v2, v102 :: v_dual_fmac_f32 v6, v4, v116
	v_dual_fmac_f32 v7, v4, v112 :: v_dual_fmac_f32 v1, v5, v41
	s_delay_alu instid0(VALU_DEP_3) | instskip(NEXT) | instid1(VALU_DEP_3)
	v_fmac_f32_e32 v0, v5, v45
	v_dual_fmac_f32 v8, v4, v100 :: v_dual_fmac_f32 v6, v5, v117
	s_delay_alu instid0(VALU_DEP_2)
	v_dual_fmac_f32 v7, v5, v113 :: v_dual_add_f32 v10, v10, v0
	s_clause 0x1
	scratch_store_b64 off, v[10:11], s32 offset:388
	scratch_load_b64 v[10:11], off, s32 offset:380 th:TH_LOAD_LU
	s_wait_loadcnt 0x0
	v_dual_fmac_f32 v8, v5, v101 :: v_dual_add_f32 v10, v10, v6
	v_add_f32_e32 v11, v11, v1
	scratch_load_b64 v[0:1], off, s32 offset:396 th:TH_LOAD_LU ; 8-byte Folded Reload
	s_wait_loadcnt 0x0
	v_dual_mul_f32 v6, v3, v19 :: v_dual_add_f32 v0, v0, v8
	v_add_f32_e32 v1, v1, v7
	s_clause 0x1
	scratch_store_b64 off, v[10:11], s32 offset:380
	scratch_load_b64 v[10:11], off, s32 offset:244 th:TH_LOAD_LU
	v_dual_mul_f32 v7, v3, v17 :: v_dual_mul_f32 v8, v3, v15
	scratch_store_b64 off, v[0:1], s32 offset:396 ; 8-byte Folded Spill
	s_wait_xcnt 0x0
	v_pk_mul_f32 v[0:1], v[2:3], v[82:83]
	v_dual_fmac_f32 v6, v2, v18 :: v_dual_fmac_f32 v7, v2, v16
	v_fmac_f32_e32 v8, v2, v14
	s_clause 0x2
	scratch_load_b64 v[18:19], off, s32 offset:284 th:TH_LOAD_LU
	scratch_load_b64 v[16:17], off, s32 offset:268 th:TH_LOAD_LU
	;; [unrolled: 1-line block ×3, first 2 shown]
	s_wait_loadcnt 0x3
	v_dual_add_f32 v0, v0, v1 :: v_dual_mul_f32 v9, v3, v11
	s_delay_alu instid0(VALU_DEP_1)
	v_fmac_f32_e32 v9, v2, v10
	scratch_load_b64 v[10:11], off, s32 offset:212 th:TH_LOAD_LU ; 8-byte Folded Reload
	v_pk_mul_f32 v[2:3], v[4:5], v[68:69]
	s_wait_loadcnt 0x2
	v_dual_fmac_f32 v6, v4, v18 :: v_dual_fmac_f32 v7, v4, v16
	s_wait_loadcnt 0x1
	s_delay_alu instid0(VALU_DEP_2) | instskip(NEXT) | instid1(VALU_DEP_2)
	v_dual_fmac_f32 v8, v4, v14 :: v_dual_add_f32 v0, v2, v0
	v_dual_fmac_f32 v6, v5, v19 :: v_dual_fmac_f32 v7, v5, v17
	s_delay_alu instid0(VALU_DEP_2)
	v_dual_fmac_f32 v8, v5, v15 :: v_dual_add_f32 v0, v3, v0
	scratch_load_b64 v[2:3], off, s32 offset:404 th:TH_LOAD_LU ; 8-byte Folded Reload
	v_add_f32_e32 v13, v13, v0
	scratch_store_b64 off, v[12:13], s32 offset:324 ; 8-byte Folded Spill
	s_wait_loadcnt 0x1
	v_fmac_f32_e32 v9, v4, v10
	s_wait_loadcnt 0x0
	s_delay_alu instid0(VALU_DEP_1)
	v_dual_fmac_f32 v9, v5, v11 :: v_dual_add_f32 v3, v3, v6
	v_add_f32_e32 v2, v2, v7
	s_clause 0x1
	scratch_store_b64 off, v[2:3], s32 offset:404
	scratch_load_b64 v[2:3], off, s32 offset:412 th:TH_LOAD_LU
	s_wait_loadcnt 0x0
	v_dual_add_f32 v3, v3, v8 :: v_dual_add_f32 v2, v2, v9
	scratch_store_b64 off, v[2:3], s32 offset:412 ; 8-byte Folded Spill
.LBB210_1004:                           ;   in Loop: Header=BB210_1005 Depth=1
	s_wait_xcnt 0x0
	s_or_b32 exec_lo, exec_lo, s3
	s_clause 0x1
	scratch_load_b32 v0, off, s32 offset:200
	scratch_load_b64 v[2:3], off, s32 offset:204 th:TH_LOAD_LU
	v_add_nc_u32_e32 v85, 4, v85
	v_add_nc_u64_e32 v[64:65], 16, v[64:65]
	v_add_nc_u32_e32 v86, 0x200, v86
	s_wait_loadcnt 0x1
	s_delay_alu instid0(VALU_DEP_3)
	v_cmp_ge_i32_e32 vcc_lo, v85, v0
	s_wait_loadcnt 0x0
	v_add_nc_u32_e32 v2, 0x80, v2
	s_or_b32 s2, vcc_lo, s2
	s_wait_xcnt 0x0
	s_and_not1_b32 exec_lo, exec_lo, s2
	s_cbranch_execz .LBB210_2026
.LBB210_1005:                           ; =>This Inner Loop Header: Depth=1
	s_clause 0x1
	scratch_load_b64 v[0:1], off, s32 offset:224
	scratch_load_b32 v4, off, s32 offset:220
	s_wait_loadcnt 0x2
	v_dual_mov_b32 v3, v81 :: v_dual_mov_b32 v6, v2
	scratch_store_b64 off, v[6:7], s32 offset:204 ; 8-byte Folded Spill
	s_wait_loadcnt 0x1
	v_mul_u64_e32 v[0:1], v[2:3], v[0:1]
	s_wait_loadcnt 0x0
	s_delay_alu instid0(VALU_DEP_1) | instskip(NEXT) | instid1(VALU_DEP_1)
	v_mul_lo_u32 v0, v1, v4
	v_dual_sub_nc_u32 v0, v2, v0 :: v_dual_add_nc_u32 v2, 1, v1
	s_delay_alu instid0(VALU_DEP_1) | instskip(NEXT) | instid1(VALU_DEP_2)
	v_cmp_ge_u32_e32 vcc_lo, v0, v4
	v_dual_sub_nc_u32 v3, v0, v4 :: v_dual_cndmask_b32 v1, v1, v2, vcc_lo
	s_delay_alu instid0(VALU_DEP_1) | instskip(NEXT) | instid1(VALU_DEP_1)
	v_dual_cndmask_b32 v0, v0, v3, vcc_lo :: v_dual_add_nc_u32 v2, 1, v1
	v_cmp_ge_u32_e32 vcc_lo, v0, v4
	s_delay_alu instid0(VALU_DEP_2) | instskip(SKIP_3) | instid1(VALU_DEP_1)
	v_cndmask_b32_e32 v0, v1, v2, vcc_lo
	scratch_load_b32 v1, off, s32 offset:232 ; 4-byte Folded Reload
	s_wait_loadcnt 0x0
	v_xor_b32_e32 v0, v0, v1
	v_sub_nc_u32_e32 v2, v0, v1
	scratch_load_b32 v0, off, s32 offset:236 ; 4-byte Folded Reload
	s_wait_loadcnt 0x0
	v_add_nc_u32_e32 v3, v2, v0
	s_delay_alu instid0(VALU_DEP_1) | instskip(NEXT) | instid1(VALU_DEP_1)
	v_sub_nc_u32_e32 v0, 0, v3
	v_max_i32_e32 v80, v3, v0
	scratch_load_b64 v[0:1], off, s32 offset:420 ; 8-byte Folded Reload
	s_wait_loadcnt 0x0
	v_mul_u64_e32 v[0:1], v[80:81], v[0:1]
	s_delay_alu instid0(VALU_DEP_1) | instskip(NEXT) | instid1(VALU_DEP_1)
	v_mul_lo_u32 v0, v1, v84
	v_dual_sub_nc_u32 v0, v80, v0 :: v_dual_ashrrev_i32 v3, 31, v3
	s_delay_alu instid0(VALU_DEP_1) | instskip(SKIP_1) | instid1(VALU_DEP_2)
	v_sub_nc_u32_e32 v1, v0, v84
	v_cmp_ge_u32_e32 vcc_lo, v0, v84
	v_cndmask_b32_e32 v0, v0, v1, vcc_lo
	s_delay_alu instid0(VALU_DEP_1) | instskip(SKIP_1) | instid1(VALU_DEP_2)
	v_sub_nc_u32_e32 v1, v0, v84
	v_cmp_ge_u32_e32 vcc_lo, v0, v84
	v_cndmask_b32_e32 v0, v0, v1, vcc_lo
	s_delay_alu instid0(VALU_DEP_1) | instskip(NEXT) | instid1(VALU_DEP_1)
	v_xor_b32_e32 v0, v0, v3
	v_sub_nc_u32_e32 v0, v0, v3
	s_delay_alu instid0(VALU_DEP_1)
	v_cmp_eq_u32_e32 vcc_lo, 0, v0
	scratch_load_b32 v0, off, s32 offset:240 ; 4-byte Folded Reload
	s_wait_loadcnt 0x0
	v_cmp_gt_i32_e64 s0, v2, v0
	s_or_b32 s0, vcc_lo, s0
	s_wait_xcnt 0x0
	s_and_saveexec_b32 s3, s0
	s_cbranch_execz .LBB210_1004
; %bb.1006:                             ;   in Loop: Header=BB210_1005 Depth=1
	flat_load_b32 v0, v[64:65]
	s_clause 0x1
	scratch_load_b64 v[2:3], off, s32 offset:764
	scratch_load_b64 v[4:5], off, s32 offset:428
	v_mov_b64_e32 v[8:9], 0
	s_wait_loadcnt_dscnt 0x0
	v_mad_nc_i64_i32 v[82:83], v0, v2, v[4:5]
	flat_load_b32 v6, v[82:83]
	scratch_load_b64 v[0:1], off, s32 offset:900 ; 8-byte Folded Reload
	s_load_b32 s0, s[6:7], 0x0
	s_wait_loadcnt_dscnt 0x100
	v_and_b32_e32 v7, 0xff, v6
	s_wait_loadcnt 0x0
	flat_load_b32 v68, v[0:1]
	s_wait_kmcnt 0x0
	v_add_nc_u32_e32 v0, s0, v86
	s_mov_b32 s0, exec_lo
	ds_load_b128 v[2:5], v0
	v_mov_b64_e32 v[0:1], 0
	v_cmpx_ne_u16_e32 0, v7
	s_cbranch_execz .LBB210_1014
; %bb.1007:                             ;   in Loop: Header=BB210_1005 Depth=1
	v_mov_b64_e32 v[8:9], 0x80000000
	s_mov_b32 s8, exec_lo
	v_cmpx_ne_u16_e32 0x80, v7
	s_cbranch_execz .LBB210_1013
; %bb.1008:                             ;   in Loop: Header=BB210_1005 Depth=1
	v_mov_b64_e32 v[8:9], 0x7f800001
	v_and_b32_e32 v10, 0x7f, v6
	s_mov_b32 s9, exec_lo
	s_delay_alu instid0(VALU_DEP_1)
	v_cmpx_ne_u32_e32 0x7f, v10
	s_cbranch_execz .LBB210_1012
; %bb.1009:                             ;   in Loop: Header=BB210_1005 Depth=1
	v_and_b32_e32 v80, 7, v6
	v_lshrrev_b32_e32 v7, 3, v10
	s_mov_b32 s14, exec_lo
	v_cmpx_gt_u32_e32 8, v10
; %bb.1010:                             ;   in Loop: Header=BB210_1005 Depth=1
	s_delay_alu instid0(VALU_DEP_3) | instskip(NEXT) | instid1(VALU_DEP_1)
	v_clz_i32_u32_e32 v7, v80
	v_min_u32_e32 v7, 32, v7
	s_delay_alu instid0(VALU_DEP_1) | instskip(NEXT) | instid1(VALU_DEP_1)
	v_subrev_nc_u32_e32 v8, 28, v7
	v_lshlrev_b64_e32 v[8:9], v8, v[80:81]
	s_delay_alu instid0(VALU_DEP_1)
	v_dual_sub_nc_u32 v7, 29, v7 :: v_dual_bitop2_b32 v80, 7, v8 bitop3:0x40
; %bb.1011:                             ;   in Loop: Header=BB210_1005 Depth=1
	s_or_b32 exec_lo, exec_lo, s14
	s_delay_alu instid0(VALU_DEP_1) | instskip(NEXT) | instid1(VALU_DEP_2)
	v_dual_lshlrev_b32 v8, 24, v6 :: v_dual_lshlrev_b32 v9, 20, v80
	v_lshl_add_u32 v7, v7, 23, 0x3c000000
	s_delay_alu instid0(VALU_DEP_2) | instskip(NEXT) | instid1(VALU_DEP_1)
	v_and_b32_e32 v8, 0x80000000, v8
	v_or3_b32 v80, v9, v8, v7
	s_delay_alu instid0(VALU_DEP_1)
	v_mov_b64_e32 v[8:9], v[80:81]
.LBB210_1012:                           ;   in Loop: Header=BB210_1005 Depth=1
	s_or_b32 exec_lo, exec_lo, s9
.LBB210_1013:                           ;   in Loop: Header=BB210_1005 Depth=1
	s_delay_alu instid0(SALU_CYCLE_1)
	s_or_b32 exec_lo, exec_lo, s8
.LBB210_1014:                           ;   in Loop: Header=BB210_1005 Depth=1
	s_delay_alu instid0(SALU_CYCLE_1) | instskip(SKIP_2) | instid1(VALU_DEP_1)
	s_or_b32 exec_lo, exec_lo, s0
	v_lshrrev_b16 v7, 8, v6
	s_mov_b32 s0, exec_lo
	v_cmpx_ne_u16_e32 0, v7
	s_cbranch_execz .LBB210_1022
; %bb.1015:                             ;   in Loop: Header=BB210_1005 Depth=1
	v_mov_b64_e32 v[0:1], 0x8000000000000000
	s_mov_b32 s8, exec_lo
	v_cmpx_ne_u16_e32 0x80, v7
	s_cbranch_execz .LBB210_1021
; %bb.1016:                             ;   in Loop: Header=BB210_1005 Depth=1
	v_and_b32_e32 v10, 0xffff, v7
	v_mov_b64_e32 v[0:1], 0x7f80000100000000
	s_mov_b32 s9, exec_lo
	s_delay_alu instid0(VALU_DEP_2) | instskip(NEXT) | instid1(VALU_DEP_1)
	v_and_b32_e32 v7, 0x7f, v10
	v_cmpx_ne_u32_e32 0x7f, v7
	s_cbranch_execz .LBB210_1020
; %bb.1017:                             ;   in Loop: Header=BB210_1005 Depth=1
	v_dual_lshrrev_b32 v0, 3, v7 :: v_dual_bitop2_b32 v80, 7, v10 bitop3:0x40
	s_mov_b32 s14, exec_lo
	v_cmpx_gt_u32_e32 8, v7
; %bb.1018:                             ;   in Loop: Header=BB210_1005 Depth=1
	s_delay_alu instid0(VALU_DEP_2) | instskip(NEXT) | instid1(VALU_DEP_1)
	v_clz_i32_u32_e32 v0, v80
	v_min_u32_e32 v0, 32, v0
	s_delay_alu instid0(VALU_DEP_1) | instskip(NEXT) | instid1(VALU_DEP_1)
	v_subrev_nc_u32_e32 v1, 28, v0
	v_lshlrev_b64_e32 v[10:11], v1, v[80:81]
	s_delay_alu instid0(VALU_DEP_1)
	v_dual_sub_nc_u32 v0, 29, v0 :: v_dual_bitop2_b32 v80, 7, v10 bitop3:0x40
; %bb.1019:                             ;   in Loop: Header=BB210_1005 Depth=1
	s_or_b32 exec_lo, exec_lo, s14
	s_delay_alu instid0(VALU_DEP_1) | instskip(NEXT) | instid1(VALU_DEP_2)
	v_dual_lshlrev_b32 v1, 16, v6 :: v_dual_lshlrev_b32 v7, 20, v80
	v_lshl_add_u32 v0, v0, 23, 0x3c000000
	s_delay_alu instid0(VALU_DEP_2) | instskip(NEXT) | instid1(VALU_DEP_1)
	v_and_b32_e32 v1, 0x80000000, v1
	v_or3_b32 v1, v7, v1, v0
	v_mov_b32_e32 v0, v81
.LBB210_1020:                           ;   in Loop: Header=BB210_1005 Depth=1
	s_or_b32 exec_lo, exec_lo, s9
.LBB210_1021:                           ;   in Loop: Header=BB210_1005 Depth=1
	s_delay_alu instid0(SALU_CYCLE_1)
	s_or_b32 exec_lo, exec_lo, s8
.LBB210_1022:                           ;   in Loop: Header=BB210_1005 Depth=1
	s_delay_alu instid0(SALU_CYCLE_1) | instskip(SKIP_4) | instid1(VALU_DEP_3)
	s_or_b32 exec_lo, exec_lo, s0
	v_lshrrev_b32_e32 v7, 16, v6
	v_mov_b64_e32 v[10:11], 0
	v_mov_b64_e32 v[12:13], 0
	s_mov_b32 s0, exec_lo
	v_and_b32_e32 v14, 0xff, v7
	s_delay_alu instid0(VALU_DEP_1)
	v_cmpx_ne_u16_e32 0, v14
	s_cbranch_execz .LBB210_1030
; %bb.1023:                             ;   in Loop: Header=BB210_1005 Depth=1
	v_mov_b64_e32 v[12:13], 0x80000000
	s_mov_b32 s8, exec_lo
	v_cmpx_ne_u16_e32 0x80, v14
	s_cbranch_execz .LBB210_1029
; %bb.1024:                             ;   in Loop: Header=BB210_1005 Depth=1
	v_mov_b64_e32 v[12:13], 0x7f800001
	v_bfe_u32 v14, v6, 16, 7
	s_mov_b32 s9, exec_lo
	s_delay_alu instid0(VALU_DEP_1)
	v_cmpx_ne_u32_e32 0x7f, v14
	s_cbranch_execz .LBB210_1028
; %bb.1025:                             ;   in Loop: Header=BB210_1005 Depth=1
	v_dual_lshrrev_b32 v12, 3, v14 :: v_dual_bitop2_b32 v80, 7, v7 bitop3:0x40
	s_mov_b32 s14, exec_lo
	v_cmpx_gt_u32_e32 8, v14
; %bb.1026:                             ;   in Loop: Header=BB210_1005 Depth=1
	s_delay_alu instid0(VALU_DEP_2) | instskip(NEXT) | instid1(VALU_DEP_1)
	v_clz_i32_u32_e32 v12, v80
	v_min_u32_e32 v12, 32, v12
	s_delay_alu instid0(VALU_DEP_1) | instskip(NEXT) | instid1(VALU_DEP_1)
	v_subrev_nc_u32_e32 v13, 28, v12
	v_lshlrev_b64_e32 v[14:15], v13, v[80:81]
	s_delay_alu instid0(VALU_DEP_1)
	v_dual_sub_nc_u32 v12, 29, v12 :: v_dual_bitop2_b32 v80, 7, v14 bitop3:0x40
; %bb.1027:                             ;   in Loop: Header=BB210_1005 Depth=1
	s_or_b32 exec_lo, exec_lo, s14
	s_delay_alu instid0(VALU_DEP_1) | instskip(NEXT) | instid1(VALU_DEP_2)
	v_dual_lshlrev_b32 v7, 24, v7 :: v_dual_lshlrev_b32 v13, 20, v80
	v_lshl_add_u32 v12, v12, 23, 0x3c000000
	s_delay_alu instid0(VALU_DEP_2) | instskip(NEXT) | instid1(VALU_DEP_1)
	v_and_b32_e32 v7, 0x80000000, v7
	v_or3_b32 v80, v13, v7, v12
	s_delay_alu instid0(VALU_DEP_1)
	v_mov_b64_e32 v[12:13], v[80:81]
.LBB210_1028:                           ;   in Loop: Header=BB210_1005 Depth=1
	s_or_b32 exec_lo, exec_lo, s9
.LBB210_1029:                           ;   in Loop: Header=BB210_1005 Depth=1
	s_delay_alu instid0(SALU_CYCLE_1)
	s_or_b32 exec_lo, exec_lo, s8
.LBB210_1030:                           ;   in Loop: Header=BB210_1005 Depth=1
	s_delay_alu instid0(SALU_CYCLE_1) | instskip(NEXT) | instid1(SALU_CYCLE_1)
	s_or_b32 exec_lo, exec_lo, s0
	s_mov_b32 s0, exec_lo
	v_cmpx_lt_u32_e32 0xffffff, v6
	s_cbranch_execz .LBB210_1038
; %bb.1031:                             ;   in Loop: Header=BB210_1005 Depth=1
	v_mov_b64_e32 v[10:11], 0x8000000000000000
	v_lshrrev_b32_e32 v7, 24, v6
	s_mov_b32 s8, exec_lo
	s_delay_alu instid0(VALU_DEP_1)
	v_cmpx_ne_u32_e32 0x80, v7
	s_cbranch_execz .LBB210_1037
; %bb.1032:                             ;   in Loop: Header=BB210_1005 Depth=1
	v_mov_b64_e32 v[10:11], 0x7f80000100000000
	v_bfe_u32 v14, v6, 24, 7
	s_mov_b32 s9, exec_lo
	s_delay_alu instid0(VALU_DEP_1)
	v_cmpx_ne_u32_e32 0x7f, v14
	s_cbranch_execz .LBB210_1036
; %bb.1033:                             ;   in Loop: Header=BB210_1005 Depth=1
	v_dual_lshrrev_b32 v6, 3, v14 :: v_dual_bitop2_b32 v80, 7, v7 bitop3:0x40
	s_mov_b32 s14, exec_lo
	v_cmpx_gt_u32_e32 8, v14
; %bb.1034:                             ;   in Loop: Header=BB210_1005 Depth=1
	s_delay_alu instid0(VALU_DEP_2) | instskip(NEXT) | instid1(VALU_DEP_1)
	v_clz_i32_u32_e32 v6, v80
	v_min_u32_e32 v6, 32, v6
	s_delay_alu instid0(VALU_DEP_1) | instskip(SKIP_1) | instid1(VALU_DEP_2)
	v_subrev_nc_u32_e32 v10, 28, v6
	v_sub_nc_u32_e32 v6, 29, v6
	v_lshlrev_b64_e32 v[10:11], v10, v[80:81]
	s_delay_alu instid0(VALU_DEP_1)
	v_and_b32_e32 v80, 7, v10
; %bb.1035:                             ;   in Loop: Header=BB210_1005 Depth=1
	s_or_b32 exec_lo, exec_lo, s14
	s_delay_alu instid0(VALU_DEP_1) | instskip(SKIP_1) | instid1(VALU_DEP_2)
	v_dual_lshlrev_b32 v7, 24, v7 :: v_dual_lshlrev_b32 v10, 20, v80
	v_lshl_add_u32 v6, v6, 23, 0x3c000000
	v_and_b32_e32 v7, 0x80000000, v7
	s_delay_alu instid0(VALU_DEP_1)
	v_or3_b32 v11, v10, v7, v6
	v_mov_b32_e32 v10, v81
.LBB210_1036:                           ;   in Loop: Header=BB210_1005 Depth=1
	s_or_b32 exec_lo, exec_lo, s9
.LBB210_1037:                           ;   in Loop: Header=BB210_1005 Depth=1
	s_delay_alu instid0(SALU_CYCLE_1)
	s_or_b32 exec_lo, exec_lo, s8
.LBB210_1038:                           ;   in Loop: Header=BB210_1005 Depth=1
	s_delay_alu instid0(SALU_CYCLE_1)
	s_or_b32 exec_lo, exec_lo, s0
	scratch_load_b32 v6, off, s32 offset:200 ; 4-byte Folded Reload
	v_or_b32_e32 v1, v1, v9
	v_or_b32_e32 v0, v0, v8
	s_wait_loadcnt 0x0
	v_dual_add_nc_u32 v8, -1, v6 :: v_dual_bitop2_b32 v7, v11, v13 bitop3:0x54
	v_or_b32_e32 v6, v10, v12
	s_clause 0x1
	scratch_load_b64 v[10:11], off, s32 offset:204
	scratch_load_b32 v9, off, s32 offset:436
	v_cmp_eq_u32_e32 vcc_lo, v8, v85
	s_wait_loadcnt 0x0
	v_add_nc_u32_e32 v87, v9, v10
	s_wait_dscnt 0x1
	v_pk_mul_f32 v[0:1], v[68:69], v[0:1] op_sel_hi:[0,1]
	s_delay_alu instid0(VALU_DEP_2)
	v_add_nc_u32_e32 v96, 1, v87
	scratch_store_b64 off, v[0:1], s32 offset:244 ; 8-byte Folded Spill
	v_add_nc_u32_e32 v98, 2, v87
	s_wait_xcnt 0x0
	v_pk_mul_f32 v[0:1], v[68:69], v[6:7] op_sel_hi:[0,1]
	v_add_nc_u32_e32 v97, 3, v87
	scratch_store_b64 off, v[0:1], s32 offset:212 ; 8-byte Folded Spill
	s_wait_xcnt 0x0
	s_and_saveexec_b32 s8, vcc_lo
	s_cbranch_execz .LBB210_1040
; %bb.1039:                             ;   in Loop: Header=BB210_1005 Depth=1
	s_clause 0x1
	scratch_load_b64 v[0:1], off, s32 offset:192
	scratch_load_b64 v[6:7], off, s32 offset:244 th:TH_LOAD_LU
	s_wait_loadcnt 0x1
	v_cmp_lt_i32_e64 s0, v87, v0
	s_wait_loadcnt 0x0
	s_delay_alu instid0(VALU_DEP_1) | instskip(SKIP_1) | instid1(VALU_DEP_1)
	v_cndmask_b32_e64 v6, 0, v6, s0
	v_cmp_lt_i32_e64 s0, v96, v0
	v_cndmask_b32_e64 v7, 0, v7, s0
	v_cmp_lt_i32_e64 s0, v98, v0
	s_clause 0x1
	scratch_store_b64 off, v[6:7], s32 offset:244
	scratch_load_b64 v[6:7], off, s32 offset:212 th:TH_LOAD_LU
	s_wait_loadcnt 0x0
	v_cndmask_b32_e64 v6, 0, v6, s0
	v_cmp_lt_i32_e64 s0, v97, v0
	s_delay_alu instid0(VALU_DEP_1)
	v_cndmask_b32_e64 v7, 0, v7, s0
	scratch_store_b64 off, v[6:7], s32 offset:212 ; 8-byte Folded Spill
.LBB210_1040:                           ;   in Loop: Header=BB210_1005 Depth=1
	s_wait_xcnt 0x0
	s_or_b32 exec_lo, exec_lo, s8
	flat_load_b32 v6, v[82:83] offset:128
	v_mov_b64_e32 v[0:1], 0
	v_mov_b64_e32 v[8:9], 0
	s_mov_b32 s8, exec_lo
	s_wait_loadcnt_dscnt 0x0
	v_and_b32_e32 v7, 0xff, v6
	s_wait_xcnt 0x0
	s_delay_alu instid0(VALU_DEP_1)
	v_cmpx_ne_u16_e32 0, v7
	s_cbranch_execz .LBB210_1048
; %bb.1041:                             ;   in Loop: Header=BB210_1005 Depth=1
	v_mov_b64_e32 v[8:9], 0x80000000
	s_mov_b32 s9, exec_lo
	v_cmpx_ne_u16_e32 0x80, v7
	s_cbranch_execz .LBB210_1047
; %bb.1042:                             ;   in Loop: Header=BB210_1005 Depth=1
	v_mov_b64_e32 v[8:9], 0x7f800001
	v_and_b32_e32 v10, 0x7f, v6
	s_mov_b32 s14, exec_lo
	s_delay_alu instid0(VALU_DEP_1)
	v_cmpx_ne_u32_e32 0x7f, v10
	s_cbranch_execz .LBB210_1046
; %bb.1043:                             ;   in Loop: Header=BB210_1005 Depth=1
	v_and_b32_e32 v80, 7, v6
	v_lshrrev_b32_e32 v7, 3, v10
	s_mov_b32 s15, exec_lo
	v_cmpx_gt_u32_e32 8, v10
; %bb.1044:                             ;   in Loop: Header=BB210_1005 Depth=1
	s_delay_alu instid0(VALU_DEP_3) | instskip(NEXT) | instid1(VALU_DEP_1)
	v_clz_i32_u32_e32 v7, v80
	v_min_u32_e32 v7, 32, v7
	s_delay_alu instid0(VALU_DEP_1) | instskip(NEXT) | instid1(VALU_DEP_1)
	v_subrev_nc_u32_e32 v8, 28, v7
	v_lshlrev_b64_e32 v[8:9], v8, v[80:81]
	s_delay_alu instid0(VALU_DEP_1)
	v_dual_sub_nc_u32 v7, 29, v7 :: v_dual_bitop2_b32 v80, 7, v8 bitop3:0x40
; %bb.1045:                             ;   in Loop: Header=BB210_1005 Depth=1
	s_or_b32 exec_lo, exec_lo, s15
	s_delay_alu instid0(VALU_DEP_1) | instskip(NEXT) | instid1(VALU_DEP_2)
	v_dual_lshlrev_b32 v8, 24, v6 :: v_dual_lshlrev_b32 v9, 20, v80
	v_lshl_add_u32 v7, v7, 23, 0x3c000000
	s_delay_alu instid0(VALU_DEP_2) | instskip(NEXT) | instid1(VALU_DEP_1)
	v_and_b32_e32 v8, 0x80000000, v8
	v_or3_b32 v80, v9, v8, v7
	s_delay_alu instid0(VALU_DEP_1)
	v_mov_b64_e32 v[8:9], v[80:81]
.LBB210_1046:                           ;   in Loop: Header=BB210_1005 Depth=1
	s_or_b32 exec_lo, exec_lo, s14
.LBB210_1047:                           ;   in Loop: Header=BB210_1005 Depth=1
	s_delay_alu instid0(SALU_CYCLE_1)
	s_or_b32 exec_lo, exec_lo, s9
.LBB210_1048:                           ;   in Loop: Header=BB210_1005 Depth=1
	s_delay_alu instid0(SALU_CYCLE_1) | instskip(SKIP_2) | instid1(VALU_DEP_1)
	s_or_b32 exec_lo, exec_lo, s8
	v_lshrrev_b16 v7, 8, v6
	s_mov_b32 s8, exec_lo
	v_cmpx_ne_u16_e32 0, v7
	s_cbranch_execz .LBB210_1056
; %bb.1049:                             ;   in Loop: Header=BB210_1005 Depth=1
	v_mov_b64_e32 v[0:1], 0x8000000000000000
	s_mov_b32 s9, exec_lo
	v_cmpx_ne_u16_e32 0x80, v7
	s_cbranch_execz .LBB210_1055
; %bb.1050:                             ;   in Loop: Header=BB210_1005 Depth=1
	v_and_b32_e32 v10, 0xffff, v7
	v_mov_b64_e32 v[0:1], 0x7f80000100000000
	s_mov_b32 s14, exec_lo
	s_delay_alu instid0(VALU_DEP_2) | instskip(NEXT) | instid1(VALU_DEP_1)
	v_and_b32_e32 v7, 0x7f, v10
	v_cmpx_ne_u32_e32 0x7f, v7
	s_cbranch_execz .LBB210_1054
; %bb.1051:                             ;   in Loop: Header=BB210_1005 Depth=1
	v_dual_lshrrev_b32 v0, 3, v7 :: v_dual_bitop2_b32 v80, 7, v10 bitop3:0x40
	s_mov_b32 s15, exec_lo
	v_cmpx_gt_u32_e32 8, v7
; %bb.1052:                             ;   in Loop: Header=BB210_1005 Depth=1
	s_delay_alu instid0(VALU_DEP_2) | instskip(NEXT) | instid1(VALU_DEP_1)
	v_clz_i32_u32_e32 v0, v80
	v_min_u32_e32 v0, 32, v0
	s_delay_alu instid0(VALU_DEP_1) | instskip(NEXT) | instid1(VALU_DEP_1)
	v_subrev_nc_u32_e32 v1, 28, v0
	v_lshlrev_b64_e32 v[10:11], v1, v[80:81]
	s_delay_alu instid0(VALU_DEP_1)
	v_dual_sub_nc_u32 v0, 29, v0 :: v_dual_bitop2_b32 v80, 7, v10 bitop3:0x40
; %bb.1053:                             ;   in Loop: Header=BB210_1005 Depth=1
	s_or_b32 exec_lo, exec_lo, s15
	s_delay_alu instid0(VALU_DEP_1) | instskip(NEXT) | instid1(VALU_DEP_2)
	v_dual_lshlrev_b32 v1, 16, v6 :: v_dual_lshlrev_b32 v7, 20, v80
	v_lshl_add_u32 v0, v0, 23, 0x3c000000
	s_delay_alu instid0(VALU_DEP_2) | instskip(NEXT) | instid1(VALU_DEP_1)
	v_and_b32_e32 v1, 0x80000000, v1
	v_or3_b32 v1, v7, v1, v0
	v_mov_b32_e32 v0, v81
.LBB210_1054:                           ;   in Loop: Header=BB210_1005 Depth=1
	s_or_b32 exec_lo, exec_lo, s14
.LBB210_1055:                           ;   in Loop: Header=BB210_1005 Depth=1
	s_delay_alu instid0(SALU_CYCLE_1)
	s_or_b32 exec_lo, exec_lo, s9
.LBB210_1056:                           ;   in Loop: Header=BB210_1005 Depth=1
	s_delay_alu instid0(SALU_CYCLE_1) | instskip(SKIP_4) | instid1(VALU_DEP_3)
	s_or_b32 exec_lo, exec_lo, s8
	v_lshrrev_b32_e32 v7, 16, v6
	v_mov_b64_e32 v[10:11], 0
	v_mov_b64_e32 v[12:13], 0
	s_mov_b32 s8, exec_lo
	v_and_b32_e32 v14, 0xff, v7
	s_delay_alu instid0(VALU_DEP_1)
	v_cmpx_ne_u16_e32 0, v14
	s_cbranch_execz .LBB210_1064
; %bb.1057:                             ;   in Loop: Header=BB210_1005 Depth=1
	v_mov_b64_e32 v[12:13], 0x80000000
	s_mov_b32 s9, exec_lo
	v_cmpx_ne_u16_e32 0x80, v14
	s_cbranch_execz .LBB210_1063
; %bb.1058:                             ;   in Loop: Header=BB210_1005 Depth=1
	v_mov_b64_e32 v[12:13], 0x7f800001
	v_bfe_u32 v14, v6, 16, 7
	s_mov_b32 s14, exec_lo
	s_delay_alu instid0(VALU_DEP_1)
	v_cmpx_ne_u32_e32 0x7f, v14
	s_cbranch_execz .LBB210_1062
; %bb.1059:                             ;   in Loop: Header=BB210_1005 Depth=1
	v_dual_lshrrev_b32 v12, 3, v14 :: v_dual_bitop2_b32 v80, 7, v7 bitop3:0x40
	s_mov_b32 s15, exec_lo
	v_cmpx_gt_u32_e32 8, v14
; %bb.1060:                             ;   in Loop: Header=BB210_1005 Depth=1
	s_delay_alu instid0(VALU_DEP_2) | instskip(NEXT) | instid1(VALU_DEP_1)
	v_clz_i32_u32_e32 v12, v80
	v_min_u32_e32 v12, 32, v12
	s_delay_alu instid0(VALU_DEP_1) | instskip(NEXT) | instid1(VALU_DEP_1)
	v_subrev_nc_u32_e32 v13, 28, v12
	v_lshlrev_b64_e32 v[14:15], v13, v[80:81]
	s_delay_alu instid0(VALU_DEP_1)
	v_dual_sub_nc_u32 v12, 29, v12 :: v_dual_bitop2_b32 v80, 7, v14 bitop3:0x40
; %bb.1061:                             ;   in Loop: Header=BB210_1005 Depth=1
	s_or_b32 exec_lo, exec_lo, s15
	s_delay_alu instid0(VALU_DEP_1) | instskip(NEXT) | instid1(VALU_DEP_2)
	v_dual_lshlrev_b32 v7, 24, v7 :: v_dual_lshlrev_b32 v13, 20, v80
	v_lshl_add_u32 v12, v12, 23, 0x3c000000
	s_delay_alu instid0(VALU_DEP_2) | instskip(NEXT) | instid1(VALU_DEP_1)
	v_and_b32_e32 v7, 0x80000000, v7
	v_or3_b32 v80, v13, v7, v12
	s_delay_alu instid0(VALU_DEP_1)
	v_mov_b64_e32 v[12:13], v[80:81]
.LBB210_1062:                           ;   in Loop: Header=BB210_1005 Depth=1
	s_or_b32 exec_lo, exec_lo, s14
.LBB210_1063:                           ;   in Loop: Header=BB210_1005 Depth=1
	s_delay_alu instid0(SALU_CYCLE_1)
	s_or_b32 exec_lo, exec_lo, s9
.LBB210_1064:                           ;   in Loop: Header=BB210_1005 Depth=1
	s_delay_alu instid0(SALU_CYCLE_1) | instskip(NEXT) | instid1(SALU_CYCLE_1)
	s_or_b32 exec_lo, exec_lo, s8
	s_mov_b32 s8, exec_lo
	v_cmpx_lt_u32_e32 0xffffff, v6
	s_cbranch_execz .LBB210_1072
; %bb.1065:                             ;   in Loop: Header=BB210_1005 Depth=1
	v_mov_b64_e32 v[10:11], 0x8000000000000000
	v_lshrrev_b32_e32 v7, 24, v6
	s_mov_b32 s9, exec_lo
	s_delay_alu instid0(VALU_DEP_1)
	v_cmpx_ne_u32_e32 0x80, v7
	s_cbranch_execz .LBB210_1071
; %bb.1066:                             ;   in Loop: Header=BB210_1005 Depth=1
	v_mov_b64_e32 v[10:11], 0x7f80000100000000
	v_bfe_u32 v14, v6, 24, 7
	s_mov_b32 s14, exec_lo
	s_delay_alu instid0(VALU_DEP_1)
	v_cmpx_ne_u32_e32 0x7f, v14
	s_cbranch_execz .LBB210_1070
; %bb.1067:                             ;   in Loop: Header=BB210_1005 Depth=1
	v_dual_lshrrev_b32 v6, 3, v14 :: v_dual_bitop2_b32 v80, 7, v7 bitop3:0x40
	s_mov_b32 s15, exec_lo
	v_cmpx_gt_u32_e32 8, v14
; %bb.1068:                             ;   in Loop: Header=BB210_1005 Depth=1
	s_delay_alu instid0(VALU_DEP_2) | instskip(NEXT) | instid1(VALU_DEP_1)
	v_clz_i32_u32_e32 v6, v80
	v_min_u32_e32 v6, 32, v6
	s_delay_alu instid0(VALU_DEP_1) | instskip(SKIP_1) | instid1(VALU_DEP_2)
	v_subrev_nc_u32_e32 v10, 28, v6
	v_sub_nc_u32_e32 v6, 29, v6
	v_lshlrev_b64_e32 v[10:11], v10, v[80:81]
	s_delay_alu instid0(VALU_DEP_1)
	v_and_b32_e32 v80, 7, v10
; %bb.1069:                             ;   in Loop: Header=BB210_1005 Depth=1
	s_or_b32 exec_lo, exec_lo, s15
	s_delay_alu instid0(VALU_DEP_1) | instskip(SKIP_1) | instid1(VALU_DEP_2)
	v_dual_lshlrev_b32 v7, 24, v7 :: v_dual_lshlrev_b32 v10, 20, v80
	v_lshl_add_u32 v6, v6, 23, 0x3c000000
	v_and_b32_e32 v7, 0x80000000, v7
	s_delay_alu instid0(VALU_DEP_1)
	v_or3_b32 v11, v10, v7, v6
	v_mov_b32_e32 v10, v81
.LBB210_1070:                           ;   in Loop: Header=BB210_1005 Depth=1
	s_or_b32 exec_lo, exec_lo, s14
.LBB210_1071:                           ;   in Loop: Header=BB210_1005 Depth=1
	s_delay_alu instid0(SALU_CYCLE_1)
	s_or_b32 exec_lo, exec_lo, s9
.LBB210_1072:                           ;   in Loop: Header=BB210_1005 Depth=1
	s_delay_alu instid0(SALU_CYCLE_1) | instskip(SKIP_4) | instid1(VALU_DEP_3)
	s_or_b32 exec_lo, exec_lo, s8
	v_dual_mov_b32 v69, v68 :: v_dual_bitop2_b32 v1, v1, v9 bitop3:0x54
	v_or_b32_e32 v0, v0, v8
	v_or_b32_e32 v7, v11, v13
	v_or_b32_e32 v6, v10, v12
	v_pk_mul_f32 v[0:1], v[68:69], v[0:1]
	scratch_store_b64 off, v[0:1], s32 offset:260 ; 8-byte Folded Spill
	s_wait_xcnt 0x0
	v_pk_mul_f32 v[0:1], v[68:69], v[6:7]
	scratch_store_b64 off, v[0:1], s32 offset:252 ; 8-byte Folded Spill
	s_wait_xcnt 0x0
	s_and_saveexec_b32 s8, vcc_lo
	s_cbranch_execz .LBB210_1074
; %bb.1073:                             ;   in Loop: Header=BB210_1005 Depth=1
	s_clause 0x1
	scratch_load_b64 v[0:1], off, s32 offset:192
	scratch_load_b64 v[6:7], off, s32 offset:260 th:TH_LOAD_LU
	s_wait_loadcnt 0x1
	v_cmp_lt_i32_e64 s0, v87, v0
	s_wait_loadcnt 0x0
	s_delay_alu instid0(VALU_DEP_1) | instskip(SKIP_1) | instid1(VALU_DEP_1)
	v_cndmask_b32_e64 v6, 0, v6, s0
	v_cmp_lt_i32_e64 s0, v96, v0
	v_cndmask_b32_e64 v7, 0, v7, s0
	v_cmp_lt_i32_e64 s0, v98, v0
	s_clause 0x1
	scratch_store_b64 off, v[6:7], s32 offset:260
	scratch_load_b64 v[6:7], off, s32 offset:252 th:TH_LOAD_LU
	s_wait_loadcnt 0x0
	v_cndmask_b32_e64 v6, 0, v6, s0
	v_cmp_lt_i32_e64 s0, v97, v0
	s_delay_alu instid0(VALU_DEP_1)
	v_cndmask_b32_e64 v7, 0, v7, s0
	scratch_store_b64 off, v[6:7], s32 offset:252 ; 8-byte Folded Spill
.LBB210_1074:                           ;   in Loop: Header=BB210_1005 Depth=1
	s_wait_xcnt 0x0
	s_or_b32 exec_lo, exec_lo, s8
	flat_load_b32 v12, v[82:83] offset:256
	v_mov_b64_e32 v[0:1], 0
	v_mov_b64_e32 v[8:9], 0
	s_mov_b32 s8, exec_lo
	s_wait_loadcnt_dscnt 0x0
	v_and_b32_e32 v6, 0xff, v12
	s_wait_xcnt 0x0
	s_delay_alu instid0(VALU_DEP_1)
	v_cmpx_ne_u16_e32 0, v6
	s_cbranch_execz .LBB210_1082
; %bb.1075:                             ;   in Loop: Header=BB210_1005 Depth=1
	v_mov_b64_e32 v[8:9], 0x80000000
	s_mov_b32 s9, exec_lo
	v_cmpx_ne_u16_e32 0x80, v6
	s_cbranch_execz .LBB210_1081
; %bb.1076:                             ;   in Loop: Header=BB210_1005 Depth=1
	v_mov_b64_e32 v[8:9], 0x7f800001
	v_and_b32_e32 v7, 0x7f, v12
	s_mov_b32 s14, exec_lo
	s_delay_alu instid0(VALU_DEP_1)
	v_cmpx_ne_u32_e32 0x7f, v7
	s_cbranch_execz .LBB210_1080
; %bb.1077:                             ;   in Loop: Header=BB210_1005 Depth=1
	v_dual_lshrrev_b32 v6, 3, v7 :: v_dual_bitop2_b32 v80, 7, v12 bitop3:0x40
	s_mov_b32 s15, exec_lo
	v_cmpx_gt_u32_e32 8, v7
; %bb.1078:                             ;   in Loop: Header=BB210_1005 Depth=1
	s_delay_alu instid0(VALU_DEP_2) | instskip(NEXT) | instid1(VALU_DEP_1)
	v_clz_i32_u32_e32 v6, v80
	v_min_u32_e32 v6, 32, v6
	s_delay_alu instid0(VALU_DEP_1) | instskip(NEXT) | instid1(VALU_DEP_1)
	v_subrev_nc_u32_e32 v7, 28, v6
	v_lshlrev_b64_e32 v[8:9], v7, v[80:81]
	s_delay_alu instid0(VALU_DEP_1)
	v_dual_sub_nc_u32 v6, 29, v6 :: v_dual_bitop2_b32 v80, 7, v8 bitop3:0x40
; %bb.1079:                             ;   in Loop: Header=BB210_1005 Depth=1
	s_or_b32 exec_lo, exec_lo, s15
	v_lshlrev_b32_e32 v7, 24, v12
	s_delay_alu instid0(VALU_DEP_2) | instskip(NEXT) | instid1(VALU_DEP_3)
	v_lshlrev_b32_e32 v8, 20, v80
	v_lshl_add_u32 v6, v6, 23, 0x3c000000
	s_delay_alu instid0(VALU_DEP_3) | instskip(NEXT) | instid1(VALU_DEP_1)
	v_and_b32_e32 v7, 0x80000000, v7
	v_or3_b32 v80, v8, v7, v6
	s_delay_alu instid0(VALU_DEP_1)
	v_mov_b64_e32 v[8:9], v[80:81]
.LBB210_1080:                           ;   in Loop: Header=BB210_1005 Depth=1
	s_or_b32 exec_lo, exec_lo, s14
.LBB210_1081:                           ;   in Loop: Header=BB210_1005 Depth=1
	s_delay_alu instid0(SALU_CYCLE_1)
	s_or_b32 exec_lo, exec_lo, s9
.LBB210_1082:                           ;   in Loop: Header=BB210_1005 Depth=1
	s_delay_alu instid0(SALU_CYCLE_1) | instskip(SKIP_2) | instid1(VALU_DEP_1)
	s_or_b32 exec_lo, exec_lo, s8
	v_lshrrev_b16 v6, 8, v12
	s_mov_b32 s8, exec_lo
	v_cmpx_ne_u16_e32 0, v6
	s_cbranch_execz .LBB210_1090
; %bb.1083:                             ;   in Loop: Header=BB210_1005 Depth=1
	v_mov_b64_e32 v[0:1], 0x8000000000000000
	s_mov_b32 s9, exec_lo
	v_cmpx_ne_u16_e32 0x80, v6
	s_cbranch_execz .LBB210_1089
; %bb.1084:                             ;   in Loop: Header=BB210_1005 Depth=1
	v_and_b32_e32 v7, 0xffff, v6
	v_mov_b64_e32 v[0:1], 0x7f80000100000000
	s_mov_b32 s14, exec_lo
	s_delay_alu instid0(VALU_DEP_2) | instskip(NEXT) | instid1(VALU_DEP_1)
	v_and_b32_e32 v6, 0x7f, v7
	v_cmpx_ne_u32_e32 0x7f, v6
	s_cbranch_execz .LBB210_1088
; %bb.1085:                             ;   in Loop: Header=BB210_1005 Depth=1
	v_dual_lshrrev_b32 v0, 3, v6 :: v_dual_bitop2_b32 v80, 7, v7 bitop3:0x40
	s_mov_b32 s15, exec_lo
	v_cmpx_gt_u32_e32 8, v6
; %bb.1086:                             ;   in Loop: Header=BB210_1005 Depth=1
	s_delay_alu instid0(VALU_DEP_2) | instskip(NEXT) | instid1(VALU_DEP_1)
	v_clz_i32_u32_e32 v0, v80
	v_min_u32_e32 v0, 32, v0
	s_delay_alu instid0(VALU_DEP_1) | instskip(NEXT) | instid1(VALU_DEP_1)
	v_subrev_nc_u32_e32 v1, 28, v0
	v_lshlrev_b64_e32 v[6:7], v1, v[80:81]
	s_delay_alu instid0(VALU_DEP_1)
	v_dual_sub_nc_u32 v0, 29, v0 :: v_dual_bitop2_b32 v80, 7, v6 bitop3:0x40
; %bb.1087:                             ;   in Loop: Header=BB210_1005 Depth=1
	s_or_b32 exec_lo, exec_lo, s15
	v_lshlrev_b32_e32 v1, 16, v12
	s_delay_alu instid0(VALU_DEP_2) | instskip(NEXT) | instid1(VALU_DEP_3)
	v_lshlrev_b32_e32 v6, 20, v80
	v_lshl_add_u32 v0, v0, 23, 0x3c000000
	s_delay_alu instid0(VALU_DEP_3) | instskip(NEXT) | instid1(VALU_DEP_1)
	v_and_b32_e32 v1, 0x80000000, v1
	v_or3_b32 v1, v6, v1, v0
	v_mov_b32_e32 v0, v81
.LBB210_1088:                           ;   in Loop: Header=BB210_1005 Depth=1
	s_or_b32 exec_lo, exec_lo, s14
.LBB210_1089:                           ;   in Loop: Header=BB210_1005 Depth=1
	s_delay_alu instid0(SALU_CYCLE_1)
	s_or_b32 exec_lo, exec_lo, s9
.LBB210_1090:                           ;   in Loop: Header=BB210_1005 Depth=1
	s_delay_alu instid0(SALU_CYCLE_1) | instskip(SKIP_4) | instid1(VALU_DEP_3)
	s_or_b32 exec_lo, exec_lo, s8
	v_lshrrev_b32_e32 v13, 16, v12
	v_mov_b64_e32 v[10:11], 0
	v_mov_b64_e32 v[6:7], 0
	s_mov_b32 s8, exec_lo
	v_and_b32_e32 v14, 0xff, v13
	s_delay_alu instid0(VALU_DEP_1)
	v_cmpx_ne_u16_e32 0, v14
	s_cbranch_execz .LBB210_1098
; %bb.1091:                             ;   in Loop: Header=BB210_1005 Depth=1
	v_mov_b64_e32 v[6:7], 0x80000000
	s_mov_b32 s9, exec_lo
	v_cmpx_ne_u16_e32 0x80, v14
	s_cbranch_execz .LBB210_1097
; %bb.1092:                             ;   in Loop: Header=BB210_1005 Depth=1
	v_mov_b64_e32 v[6:7], 0x7f800001
	v_bfe_u32 v14, v12, 16, 7
	s_mov_b32 s14, exec_lo
	s_delay_alu instid0(VALU_DEP_1)
	v_cmpx_ne_u32_e32 0x7f, v14
	s_cbranch_execz .LBB210_1096
; %bb.1093:                             ;   in Loop: Header=BB210_1005 Depth=1
	v_dual_lshrrev_b32 v6, 3, v14 :: v_dual_bitop2_b32 v80, 7, v13 bitop3:0x40
	s_mov_b32 s15, exec_lo
	v_cmpx_gt_u32_e32 8, v14
; %bb.1094:                             ;   in Loop: Header=BB210_1005 Depth=1
	s_delay_alu instid0(VALU_DEP_2) | instskip(NEXT) | instid1(VALU_DEP_1)
	v_clz_i32_u32_e32 v6, v80
	v_min_u32_e32 v6, 32, v6
	s_delay_alu instid0(VALU_DEP_1) | instskip(SKIP_1) | instid1(VALU_DEP_2)
	v_subrev_nc_u32_e32 v7, 28, v6
	v_sub_nc_u32_e32 v6, 29, v6
	v_lshlrev_b64_e32 v[14:15], v7, v[80:81]
	s_delay_alu instid0(VALU_DEP_1)
	v_and_b32_e32 v80, 7, v14
; %bb.1095:                             ;   in Loop: Header=BB210_1005 Depth=1
	s_or_b32 exec_lo, exec_lo, s15
	s_delay_alu instid0(VALU_DEP_1) | instskip(SKIP_1) | instid1(VALU_DEP_2)
	v_dual_lshlrev_b32 v7, 24, v13 :: v_dual_lshlrev_b32 v13, 20, v80
	v_lshl_add_u32 v6, v6, 23, 0x3c000000
	v_and_b32_e32 v7, 0x80000000, v7
	s_delay_alu instid0(VALU_DEP_1) | instskip(NEXT) | instid1(VALU_DEP_1)
	v_or3_b32 v80, v13, v7, v6
	v_mov_b64_e32 v[6:7], v[80:81]
.LBB210_1096:                           ;   in Loop: Header=BB210_1005 Depth=1
	s_or_b32 exec_lo, exec_lo, s14
.LBB210_1097:                           ;   in Loop: Header=BB210_1005 Depth=1
	s_delay_alu instid0(SALU_CYCLE_1)
	s_or_b32 exec_lo, exec_lo, s9
.LBB210_1098:                           ;   in Loop: Header=BB210_1005 Depth=1
	s_delay_alu instid0(SALU_CYCLE_1) | instskip(NEXT) | instid1(SALU_CYCLE_1)
	s_or_b32 exec_lo, exec_lo, s8
	s_mov_b32 s8, exec_lo
	v_cmpx_lt_u32_e32 0xffffff, v12
	s_cbranch_execz .LBB210_1106
; %bb.1099:                             ;   in Loop: Header=BB210_1005 Depth=1
	v_mov_b64_e32 v[10:11], 0x8000000000000000
	v_lshrrev_b32_e32 v13, 24, v12
	s_mov_b32 s9, exec_lo
	s_delay_alu instid0(VALU_DEP_1)
	v_cmpx_ne_u32_e32 0x80, v13
	s_cbranch_execz .LBB210_1105
; %bb.1100:                             ;   in Loop: Header=BB210_1005 Depth=1
	v_mov_b64_e32 v[10:11], 0x7f80000100000000
	v_bfe_u32 v12, v12, 24, 7
	s_mov_b32 s14, exec_lo
	s_delay_alu instid0(VALU_DEP_1)
	v_cmpx_ne_u32_e32 0x7f, v12
	s_cbranch_execz .LBB210_1104
; %bb.1101:                             ;   in Loop: Header=BB210_1005 Depth=1
	v_dual_lshrrev_b32 v10, 3, v12 :: v_dual_bitop2_b32 v80, 7, v13 bitop3:0x40
	s_mov_b32 s15, exec_lo
	v_cmpx_gt_u32_e32 8, v12
; %bb.1102:                             ;   in Loop: Header=BB210_1005 Depth=1
	s_delay_alu instid0(VALU_DEP_2) | instskip(NEXT) | instid1(VALU_DEP_1)
	v_clz_i32_u32_e32 v10, v80
	v_min_u32_e32 v10, 32, v10
	s_delay_alu instid0(VALU_DEP_1) | instskip(SKIP_1) | instid1(VALU_DEP_2)
	v_subrev_nc_u32_e32 v11, 28, v10
	v_sub_nc_u32_e32 v10, 29, v10
	v_lshlrev_b64_e32 v[14:15], v11, v[80:81]
	s_delay_alu instid0(VALU_DEP_1)
	v_and_b32_e32 v80, 7, v14
; %bb.1103:                             ;   in Loop: Header=BB210_1005 Depth=1
	s_or_b32 exec_lo, exec_lo, s15
	s_delay_alu instid0(VALU_DEP_1) | instskip(SKIP_1) | instid1(VALU_DEP_2)
	v_dual_lshlrev_b32 v11, 24, v13 :: v_dual_lshlrev_b32 v12, 20, v80
	v_lshl_add_u32 v10, v10, 23, 0x3c000000
	v_and_b32_e32 v11, 0x80000000, v11
	s_delay_alu instid0(VALU_DEP_1)
	v_or3_b32 v11, v12, v11, v10
	v_mov_b32_e32 v10, v81
.LBB210_1104:                           ;   in Loop: Header=BB210_1005 Depth=1
	s_or_b32 exec_lo, exec_lo, s14
.LBB210_1105:                           ;   in Loop: Header=BB210_1005 Depth=1
	s_delay_alu instid0(SALU_CYCLE_1)
	s_or_b32 exec_lo, exec_lo, s9
.LBB210_1106:                           ;   in Loop: Header=BB210_1005 Depth=1
	s_delay_alu instid0(SALU_CYCLE_1) | instskip(SKIP_4) | instid1(VALU_DEP_3)
	s_or_b32 exec_lo, exec_lo, s8
	v_or_b32_e32 v1, v1, v9
	v_or_b32_e32 v0, v0, v8
	v_or_b32_e32 v7, v11, v7
	v_or_b32_e32 v6, v10, v6
	v_pk_mul_f32 v[0:1], v[68:69], v[0:1]
	scratch_store_b64 off, v[0:1], s32 offset:276 ; 8-byte Folded Spill
	s_wait_xcnt 0x0
	v_pk_mul_f32 v[0:1], v[68:69], v[6:7]
	scratch_store_b64 off, v[0:1], s32 offset:268 ; 8-byte Folded Spill
	s_wait_xcnt 0x0
	s_and_saveexec_b32 s8, vcc_lo
	s_cbranch_execz .LBB210_1108
; %bb.1107:                             ;   in Loop: Header=BB210_1005 Depth=1
	s_clause 0x1
	scratch_load_b64 v[0:1], off, s32 offset:192
	scratch_load_b64 v[6:7], off, s32 offset:276 th:TH_LOAD_LU
	s_wait_loadcnt 0x1
	v_cmp_lt_i32_e64 s0, v87, v0
	s_wait_loadcnt 0x0
	s_delay_alu instid0(VALU_DEP_1) | instskip(SKIP_1) | instid1(VALU_DEP_1)
	v_cndmask_b32_e64 v6, 0, v6, s0
	v_cmp_lt_i32_e64 s0, v96, v0
	v_cndmask_b32_e64 v7, 0, v7, s0
	v_cmp_lt_i32_e64 s0, v98, v0
	s_clause 0x1
	scratch_store_b64 off, v[6:7], s32 offset:276
	scratch_load_b64 v[6:7], off, s32 offset:268 th:TH_LOAD_LU
	s_wait_loadcnt 0x0
	v_cndmask_b32_e64 v6, 0, v6, s0
	v_cmp_lt_i32_e64 s0, v97, v0
	s_delay_alu instid0(VALU_DEP_1)
	v_cndmask_b32_e64 v7, 0, v7, s0
	scratch_store_b64 off, v[6:7], s32 offset:268 ; 8-byte Folded Spill
.LBB210_1108:                           ;   in Loop: Header=BB210_1005 Depth=1
	s_wait_xcnt 0x0
	s_or_b32 exec_lo, exec_lo, s8
	flat_load_b32 v12, v[82:83] offset:384
	v_mov_b64_e32 v[0:1], 0
	v_mov_b64_e32 v[8:9], 0
	s_mov_b32 s8, exec_lo
	s_wait_loadcnt_dscnt 0x0
	v_and_b32_e32 v6, 0xff, v12
	s_wait_xcnt 0x0
	s_delay_alu instid0(VALU_DEP_1)
	v_cmpx_ne_u16_e32 0, v6
	s_cbranch_execz .LBB210_1116
; %bb.1109:                             ;   in Loop: Header=BB210_1005 Depth=1
	v_mov_b64_e32 v[8:9], 0x80000000
	s_mov_b32 s9, exec_lo
	v_cmpx_ne_u16_e32 0x80, v6
	s_cbranch_execz .LBB210_1115
; %bb.1110:                             ;   in Loop: Header=BB210_1005 Depth=1
	v_mov_b64_e32 v[8:9], 0x7f800001
	v_and_b32_e32 v7, 0x7f, v12
	s_mov_b32 s14, exec_lo
	s_delay_alu instid0(VALU_DEP_1)
	v_cmpx_ne_u32_e32 0x7f, v7
	s_cbranch_execz .LBB210_1114
; %bb.1111:                             ;   in Loop: Header=BB210_1005 Depth=1
	v_dual_lshrrev_b32 v6, 3, v7 :: v_dual_bitop2_b32 v80, 7, v12 bitop3:0x40
	s_mov_b32 s15, exec_lo
	v_cmpx_gt_u32_e32 8, v7
; %bb.1112:                             ;   in Loop: Header=BB210_1005 Depth=1
	s_delay_alu instid0(VALU_DEP_2) | instskip(NEXT) | instid1(VALU_DEP_1)
	v_clz_i32_u32_e32 v6, v80
	v_min_u32_e32 v6, 32, v6
	s_delay_alu instid0(VALU_DEP_1) | instskip(NEXT) | instid1(VALU_DEP_1)
	v_subrev_nc_u32_e32 v7, 28, v6
	v_lshlrev_b64_e32 v[8:9], v7, v[80:81]
	s_delay_alu instid0(VALU_DEP_1)
	v_dual_sub_nc_u32 v6, 29, v6 :: v_dual_bitop2_b32 v80, 7, v8 bitop3:0x40
; %bb.1113:                             ;   in Loop: Header=BB210_1005 Depth=1
	s_or_b32 exec_lo, exec_lo, s15
	v_lshlrev_b32_e32 v7, 24, v12
	s_delay_alu instid0(VALU_DEP_2) | instskip(NEXT) | instid1(VALU_DEP_3)
	v_lshlrev_b32_e32 v8, 20, v80
	v_lshl_add_u32 v6, v6, 23, 0x3c000000
	s_delay_alu instid0(VALU_DEP_3) | instskip(NEXT) | instid1(VALU_DEP_1)
	v_and_b32_e32 v7, 0x80000000, v7
	v_or3_b32 v80, v8, v7, v6
	s_delay_alu instid0(VALU_DEP_1)
	v_mov_b64_e32 v[8:9], v[80:81]
.LBB210_1114:                           ;   in Loop: Header=BB210_1005 Depth=1
	s_or_b32 exec_lo, exec_lo, s14
.LBB210_1115:                           ;   in Loop: Header=BB210_1005 Depth=1
	s_delay_alu instid0(SALU_CYCLE_1)
	s_or_b32 exec_lo, exec_lo, s9
.LBB210_1116:                           ;   in Loop: Header=BB210_1005 Depth=1
	s_delay_alu instid0(SALU_CYCLE_1) | instskip(SKIP_2) | instid1(VALU_DEP_1)
	s_or_b32 exec_lo, exec_lo, s8
	v_lshrrev_b16 v6, 8, v12
	s_mov_b32 s8, exec_lo
	v_cmpx_ne_u16_e32 0, v6
	s_cbranch_execz .LBB210_1124
; %bb.1117:                             ;   in Loop: Header=BB210_1005 Depth=1
	v_mov_b64_e32 v[0:1], 0x8000000000000000
	s_mov_b32 s9, exec_lo
	v_cmpx_ne_u16_e32 0x80, v6
	s_cbranch_execz .LBB210_1123
; %bb.1118:                             ;   in Loop: Header=BB210_1005 Depth=1
	v_and_b32_e32 v7, 0xffff, v6
	v_mov_b64_e32 v[0:1], 0x7f80000100000000
	s_mov_b32 s14, exec_lo
	s_delay_alu instid0(VALU_DEP_2) | instskip(NEXT) | instid1(VALU_DEP_1)
	v_and_b32_e32 v6, 0x7f, v7
	v_cmpx_ne_u32_e32 0x7f, v6
	s_cbranch_execz .LBB210_1122
; %bb.1119:                             ;   in Loop: Header=BB210_1005 Depth=1
	v_dual_lshrrev_b32 v0, 3, v6 :: v_dual_bitop2_b32 v80, 7, v7 bitop3:0x40
	s_mov_b32 s15, exec_lo
	v_cmpx_gt_u32_e32 8, v6
; %bb.1120:                             ;   in Loop: Header=BB210_1005 Depth=1
	s_delay_alu instid0(VALU_DEP_2) | instskip(NEXT) | instid1(VALU_DEP_1)
	v_clz_i32_u32_e32 v0, v80
	v_min_u32_e32 v0, 32, v0
	s_delay_alu instid0(VALU_DEP_1) | instskip(NEXT) | instid1(VALU_DEP_1)
	v_subrev_nc_u32_e32 v1, 28, v0
	v_lshlrev_b64_e32 v[6:7], v1, v[80:81]
	s_delay_alu instid0(VALU_DEP_1)
	v_dual_sub_nc_u32 v0, 29, v0 :: v_dual_bitop2_b32 v80, 7, v6 bitop3:0x40
; %bb.1121:                             ;   in Loop: Header=BB210_1005 Depth=1
	s_or_b32 exec_lo, exec_lo, s15
	v_lshlrev_b32_e32 v1, 16, v12
	s_delay_alu instid0(VALU_DEP_2) | instskip(NEXT) | instid1(VALU_DEP_3)
	v_lshlrev_b32_e32 v6, 20, v80
	v_lshl_add_u32 v0, v0, 23, 0x3c000000
	s_delay_alu instid0(VALU_DEP_3) | instskip(NEXT) | instid1(VALU_DEP_1)
	v_and_b32_e32 v1, 0x80000000, v1
	v_or3_b32 v1, v6, v1, v0
	v_mov_b32_e32 v0, v81
.LBB210_1122:                           ;   in Loop: Header=BB210_1005 Depth=1
	s_or_b32 exec_lo, exec_lo, s14
.LBB210_1123:                           ;   in Loop: Header=BB210_1005 Depth=1
	s_delay_alu instid0(SALU_CYCLE_1)
	s_or_b32 exec_lo, exec_lo, s9
.LBB210_1124:                           ;   in Loop: Header=BB210_1005 Depth=1
	s_delay_alu instid0(SALU_CYCLE_1) | instskip(SKIP_4) | instid1(VALU_DEP_3)
	s_or_b32 exec_lo, exec_lo, s8
	v_lshrrev_b32_e32 v13, 16, v12
	v_mov_b64_e32 v[10:11], 0
	v_mov_b64_e32 v[6:7], 0
	s_mov_b32 s8, exec_lo
	v_and_b32_e32 v14, 0xff, v13
	s_delay_alu instid0(VALU_DEP_1)
	v_cmpx_ne_u16_e32 0, v14
	s_cbranch_execz .LBB210_1132
; %bb.1125:                             ;   in Loop: Header=BB210_1005 Depth=1
	v_mov_b64_e32 v[6:7], 0x80000000
	s_mov_b32 s9, exec_lo
	v_cmpx_ne_u16_e32 0x80, v14
	s_cbranch_execz .LBB210_1131
; %bb.1126:                             ;   in Loop: Header=BB210_1005 Depth=1
	v_mov_b64_e32 v[6:7], 0x7f800001
	v_bfe_u32 v14, v12, 16, 7
	s_mov_b32 s14, exec_lo
	s_delay_alu instid0(VALU_DEP_1)
	v_cmpx_ne_u32_e32 0x7f, v14
	s_cbranch_execz .LBB210_1130
; %bb.1127:                             ;   in Loop: Header=BB210_1005 Depth=1
	v_dual_lshrrev_b32 v6, 3, v14 :: v_dual_bitop2_b32 v80, 7, v13 bitop3:0x40
	s_mov_b32 s15, exec_lo
	v_cmpx_gt_u32_e32 8, v14
; %bb.1128:                             ;   in Loop: Header=BB210_1005 Depth=1
	s_delay_alu instid0(VALU_DEP_2) | instskip(NEXT) | instid1(VALU_DEP_1)
	v_clz_i32_u32_e32 v6, v80
	v_min_u32_e32 v6, 32, v6
	s_delay_alu instid0(VALU_DEP_1) | instskip(SKIP_1) | instid1(VALU_DEP_2)
	v_subrev_nc_u32_e32 v7, 28, v6
	v_sub_nc_u32_e32 v6, 29, v6
	v_lshlrev_b64_e32 v[14:15], v7, v[80:81]
	s_delay_alu instid0(VALU_DEP_1)
	v_and_b32_e32 v80, 7, v14
; %bb.1129:                             ;   in Loop: Header=BB210_1005 Depth=1
	s_or_b32 exec_lo, exec_lo, s15
	s_delay_alu instid0(VALU_DEP_1) | instskip(SKIP_1) | instid1(VALU_DEP_2)
	v_dual_lshlrev_b32 v7, 24, v13 :: v_dual_lshlrev_b32 v13, 20, v80
	v_lshl_add_u32 v6, v6, 23, 0x3c000000
	v_and_b32_e32 v7, 0x80000000, v7
	s_delay_alu instid0(VALU_DEP_1) | instskip(NEXT) | instid1(VALU_DEP_1)
	v_or3_b32 v80, v13, v7, v6
	v_mov_b64_e32 v[6:7], v[80:81]
.LBB210_1130:                           ;   in Loop: Header=BB210_1005 Depth=1
	s_or_b32 exec_lo, exec_lo, s14
.LBB210_1131:                           ;   in Loop: Header=BB210_1005 Depth=1
	s_delay_alu instid0(SALU_CYCLE_1)
	s_or_b32 exec_lo, exec_lo, s9
.LBB210_1132:                           ;   in Loop: Header=BB210_1005 Depth=1
	s_delay_alu instid0(SALU_CYCLE_1) | instskip(NEXT) | instid1(SALU_CYCLE_1)
	s_or_b32 exec_lo, exec_lo, s8
	s_mov_b32 s8, exec_lo
	v_cmpx_lt_u32_e32 0xffffff, v12
	s_cbranch_execz .LBB210_1140
; %bb.1133:                             ;   in Loop: Header=BB210_1005 Depth=1
	v_mov_b64_e32 v[10:11], 0x8000000000000000
	v_lshrrev_b32_e32 v13, 24, v12
	s_mov_b32 s9, exec_lo
	s_delay_alu instid0(VALU_DEP_1)
	v_cmpx_ne_u32_e32 0x80, v13
	s_cbranch_execz .LBB210_1139
; %bb.1134:                             ;   in Loop: Header=BB210_1005 Depth=1
	v_mov_b64_e32 v[10:11], 0x7f80000100000000
	v_bfe_u32 v12, v12, 24, 7
	s_mov_b32 s14, exec_lo
	s_delay_alu instid0(VALU_DEP_1)
	v_cmpx_ne_u32_e32 0x7f, v12
	s_cbranch_execz .LBB210_1138
; %bb.1135:                             ;   in Loop: Header=BB210_1005 Depth=1
	v_dual_lshrrev_b32 v10, 3, v12 :: v_dual_bitop2_b32 v80, 7, v13 bitop3:0x40
	s_mov_b32 s15, exec_lo
	v_cmpx_gt_u32_e32 8, v12
; %bb.1136:                             ;   in Loop: Header=BB210_1005 Depth=1
	s_delay_alu instid0(VALU_DEP_2) | instskip(NEXT) | instid1(VALU_DEP_1)
	v_clz_i32_u32_e32 v10, v80
	v_min_u32_e32 v10, 32, v10
	s_delay_alu instid0(VALU_DEP_1) | instskip(SKIP_1) | instid1(VALU_DEP_2)
	v_subrev_nc_u32_e32 v11, 28, v10
	v_sub_nc_u32_e32 v10, 29, v10
	v_lshlrev_b64_e32 v[14:15], v11, v[80:81]
	s_delay_alu instid0(VALU_DEP_1)
	v_and_b32_e32 v80, 7, v14
; %bb.1137:                             ;   in Loop: Header=BB210_1005 Depth=1
	s_or_b32 exec_lo, exec_lo, s15
	s_delay_alu instid0(VALU_DEP_1) | instskip(SKIP_1) | instid1(VALU_DEP_2)
	v_dual_lshlrev_b32 v11, 24, v13 :: v_dual_lshlrev_b32 v12, 20, v80
	v_lshl_add_u32 v10, v10, 23, 0x3c000000
	v_and_b32_e32 v11, 0x80000000, v11
	s_delay_alu instid0(VALU_DEP_1)
	v_or3_b32 v11, v12, v11, v10
	v_mov_b32_e32 v10, v81
.LBB210_1138:                           ;   in Loop: Header=BB210_1005 Depth=1
	s_or_b32 exec_lo, exec_lo, s14
.LBB210_1139:                           ;   in Loop: Header=BB210_1005 Depth=1
	s_delay_alu instid0(SALU_CYCLE_1)
	s_or_b32 exec_lo, exec_lo, s9
.LBB210_1140:                           ;   in Loop: Header=BB210_1005 Depth=1
	s_delay_alu instid0(SALU_CYCLE_1) | instskip(SKIP_4) | instid1(VALU_DEP_3)
	s_or_b32 exec_lo, exec_lo, s8
	v_or_b32_e32 v1, v1, v9
	v_or_b32_e32 v0, v0, v8
	;; [unrolled: 1-line block ×4, first 2 shown]
	v_pk_mul_f32 v[0:1], v[68:69], v[0:1]
	scratch_store_b64 off, v[0:1], s32 offset:292 ; 8-byte Folded Spill
	s_wait_xcnt 0x0
	v_pk_mul_f32 v[0:1], v[68:69], v[6:7]
	scratch_store_b64 off, v[0:1], s32 offset:284 ; 8-byte Folded Spill
	s_wait_xcnt 0x0
	s_and_saveexec_b32 s8, vcc_lo
	s_cbranch_execz .LBB210_1142
; %bb.1141:                             ;   in Loop: Header=BB210_1005 Depth=1
	s_clause 0x1
	scratch_load_b64 v[0:1], off, s32 offset:192
	scratch_load_b64 v[6:7], off, s32 offset:292 th:TH_LOAD_LU
	s_wait_loadcnt 0x1
	v_cmp_lt_i32_e64 s0, v87, v0
	s_wait_loadcnt 0x0
	s_delay_alu instid0(VALU_DEP_1) | instskip(SKIP_1) | instid1(VALU_DEP_1)
	v_cndmask_b32_e64 v6, 0, v6, s0
	v_cmp_lt_i32_e64 s0, v96, v0
	v_cndmask_b32_e64 v7, 0, v7, s0
	v_cmp_lt_i32_e64 s0, v98, v0
	s_clause 0x1
	scratch_store_b64 off, v[6:7], s32 offset:292
	scratch_load_b64 v[6:7], off, s32 offset:284 th:TH_LOAD_LU
	s_wait_loadcnt 0x0
	v_cndmask_b32_e64 v6, 0, v6, s0
	v_cmp_lt_i32_e64 s0, v97, v0
	s_delay_alu instid0(VALU_DEP_1)
	v_cndmask_b32_e64 v7, 0, v7, s0
	scratch_store_b64 off, v[6:7], s32 offset:284 ; 8-byte Folded Spill
.LBB210_1142:                           ;   in Loop: Header=BB210_1005 Depth=1
	s_wait_xcnt 0x0
	s_or_b32 exec_lo, exec_lo, s8
	flat_load_b32 v12, v[82:83] offset:512
	v_mov_b64_e32 v[0:1], 0
	v_mov_b64_e32 v[8:9], 0
	s_mov_b32 s8, exec_lo
	s_wait_loadcnt_dscnt 0x0
	v_and_b32_e32 v6, 0xff, v12
	s_wait_xcnt 0x0
	s_delay_alu instid0(VALU_DEP_1)
	v_cmpx_ne_u16_e32 0, v6
	s_cbranch_execz .LBB210_1150
; %bb.1143:                             ;   in Loop: Header=BB210_1005 Depth=1
	v_mov_b64_e32 v[8:9], 0x80000000
	s_mov_b32 s9, exec_lo
	v_cmpx_ne_u16_e32 0x80, v6
	s_cbranch_execz .LBB210_1149
; %bb.1144:                             ;   in Loop: Header=BB210_1005 Depth=1
	v_mov_b64_e32 v[8:9], 0x7f800001
	v_and_b32_e32 v7, 0x7f, v12
	s_mov_b32 s14, exec_lo
	s_delay_alu instid0(VALU_DEP_1)
	v_cmpx_ne_u32_e32 0x7f, v7
	s_cbranch_execz .LBB210_1148
; %bb.1145:                             ;   in Loop: Header=BB210_1005 Depth=1
	v_dual_lshrrev_b32 v6, 3, v7 :: v_dual_bitop2_b32 v80, 7, v12 bitop3:0x40
	s_mov_b32 s15, exec_lo
	v_cmpx_gt_u32_e32 8, v7
; %bb.1146:                             ;   in Loop: Header=BB210_1005 Depth=1
	s_delay_alu instid0(VALU_DEP_2) | instskip(NEXT) | instid1(VALU_DEP_1)
	v_clz_i32_u32_e32 v6, v80
	v_min_u32_e32 v6, 32, v6
	s_delay_alu instid0(VALU_DEP_1) | instskip(NEXT) | instid1(VALU_DEP_1)
	v_subrev_nc_u32_e32 v7, 28, v6
	v_lshlrev_b64_e32 v[8:9], v7, v[80:81]
	s_delay_alu instid0(VALU_DEP_1)
	v_dual_sub_nc_u32 v6, 29, v6 :: v_dual_bitop2_b32 v80, 7, v8 bitop3:0x40
; %bb.1147:                             ;   in Loop: Header=BB210_1005 Depth=1
	s_or_b32 exec_lo, exec_lo, s15
	v_lshlrev_b32_e32 v7, 24, v12
	s_delay_alu instid0(VALU_DEP_2) | instskip(NEXT) | instid1(VALU_DEP_3)
	v_lshlrev_b32_e32 v8, 20, v80
	v_lshl_add_u32 v6, v6, 23, 0x3c000000
	s_delay_alu instid0(VALU_DEP_3) | instskip(NEXT) | instid1(VALU_DEP_1)
	v_and_b32_e32 v7, 0x80000000, v7
	v_or3_b32 v80, v8, v7, v6
	s_delay_alu instid0(VALU_DEP_1)
	v_mov_b64_e32 v[8:9], v[80:81]
.LBB210_1148:                           ;   in Loop: Header=BB210_1005 Depth=1
	s_or_b32 exec_lo, exec_lo, s14
.LBB210_1149:                           ;   in Loop: Header=BB210_1005 Depth=1
	s_delay_alu instid0(SALU_CYCLE_1)
	s_or_b32 exec_lo, exec_lo, s9
.LBB210_1150:                           ;   in Loop: Header=BB210_1005 Depth=1
	s_delay_alu instid0(SALU_CYCLE_1) | instskip(SKIP_2) | instid1(VALU_DEP_1)
	s_or_b32 exec_lo, exec_lo, s8
	v_lshrrev_b16 v6, 8, v12
	s_mov_b32 s8, exec_lo
	v_cmpx_ne_u16_e32 0, v6
	s_cbranch_execz .LBB210_1158
; %bb.1151:                             ;   in Loop: Header=BB210_1005 Depth=1
	v_mov_b64_e32 v[0:1], 0x8000000000000000
	s_mov_b32 s9, exec_lo
	v_cmpx_ne_u16_e32 0x80, v6
	s_cbranch_execz .LBB210_1157
; %bb.1152:                             ;   in Loop: Header=BB210_1005 Depth=1
	v_and_b32_e32 v7, 0xffff, v6
	v_mov_b64_e32 v[0:1], 0x7f80000100000000
	s_mov_b32 s14, exec_lo
	s_delay_alu instid0(VALU_DEP_2) | instskip(NEXT) | instid1(VALU_DEP_1)
	v_and_b32_e32 v6, 0x7f, v7
	v_cmpx_ne_u32_e32 0x7f, v6
	s_cbranch_execz .LBB210_1156
; %bb.1153:                             ;   in Loop: Header=BB210_1005 Depth=1
	v_dual_lshrrev_b32 v0, 3, v6 :: v_dual_bitop2_b32 v80, 7, v7 bitop3:0x40
	s_mov_b32 s15, exec_lo
	v_cmpx_gt_u32_e32 8, v6
; %bb.1154:                             ;   in Loop: Header=BB210_1005 Depth=1
	s_delay_alu instid0(VALU_DEP_2) | instskip(NEXT) | instid1(VALU_DEP_1)
	v_clz_i32_u32_e32 v0, v80
	v_min_u32_e32 v0, 32, v0
	s_delay_alu instid0(VALU_DEP_1) | instskip(NEXT) | instid1(VALU_DEP_1)
	v_subrev_nc_u32_e32 v1, 28, v0
	v_lshlrev_b64_e32 v[6:7], v1, v[80:81]
	s_delay_alu instid0(VALU_DEP_1)
	v_dual_sub_nc_u32 v0, 29, v0 :: v_dual_bitop2_b32 v80, 7, v6 bitop3:0x40
; %bb.1155:                             ;   in Loop: Header=BB210_1005 Depth=1
	s_or_b32 exec_lo, exec_lo, s15
	v_lshlrev_b32_e32 v1, 16, v12
	s_delay_alu instid0(VALU_DEP_2) | instskip(NEXT) | instid1(VALU_DEP_3)
	v_lshlrev_b32_e32 v6, 20, v80
	v_lshl_add_u32 v0, v0, 23, 0x3c000000
	s_delay_alu instid0(VALU_DEP_3) | instskip(NEXT) | instid1(VALU_DEP_1)
	v_and_b32_e32 v1, 0x80000000, v1
	v_or3_b32 v1, v6, v1, v0
	v_mov_b32_e32 v0, v81
.LBB210_1156:                           ;   in Loop: Header=BB210_1005 Depth=1
	s_or_b32 exec_lo, exec_lo, s14
.LBB210_1157:                           ;   in Loop: Header=BB210_1005 Depth=1
	s_delay_alu instid0(SALU_CYCLE_1)
	s_or_b32 exec_lo, exec_lo, s9
.LBB210_1158:                           ;   in Loop: Header=BB210_1005 Depth=1
	s_delay_alu instid0(SALU_CYCLE_1) | instskip(SKIP_4) | instid1(VALU_DEP_3)
	s_or_b32 exec_lo, exec_lo, s8
	v_lshrrev_b32_e32 v13, 16, v12
	v_mov_b64_e32 v[10:11], 0
	v_mov_b64_e32 v[6:7], 0
	s_mov_b32 s8, exec_lo
	v_and_b32_e32 v14, 0xff, v13
	s_delay_alu instid0(VALU_DEP_1)
	v_cmpx_ne_u16_e32 0, v14
	s_cbranch_execz .LBB210_1166
; %bb.1159:                             ;   in Loop: Header=BB210_1005 Depth=1
	v_mov_b64_e32 v[6:7], 0x80000000
	s_mov_b32 s9, exec_lo
	v_cmpx_ne_u16_e32 0x80, v14
	s_cbranch_execz .LBB210_1165
; %bb.1160:                             ;   in Loop: Header=BB210_1005 Depth=1
	v_mov_b64_e32 v[6:7], 0x7f800001
	v_bfe_u32 v14, v12, 16, 7
	s_mov_b32 s14, exec_lo
	s_delay_alu instid0(VALU_DEP_1)
	v_cmpx_ne_u32_e32 0x7f, v14
	s_cbranch_execz .LBB210_1164
; %bb.1161:                             ;   in Loop: Header=BB210_1005 Depth=1
	v_dual_lshrrev_b32 v6, 3, v14 :: v_dual_bitop2_b32 v80, 7, v13 bitop3:0x40
	s_mov_b32 s15, exec_lo
	v_cmpx_gt_u32_e32 8, v14
; %bb.1162:                             ;   in Loop: Header=BB210_1005 Depth=1
	s_delay_alu instid0(VALU_DEP_2) | instskip(NEXT) | instid1(VALU_DEP_1)
	v_clz_i32_u32_e32 v6, v80
	v_min_u32_e32 v6, 32, v6
	s_delay_alu instid0(VALU_DEP_1) | instskip(SKIP_1) | instid1(VALU_DEP_2)
	v_subrev_nc_u32_e32 v7, 28, v6
	v_sub_nc_u32_e32 v6, 29, v6
	v_lshlrev_b64_e32 v[14:15], v7, v[80:81]
	s_delay_alu instid0(VALU_DEP_1)
	v_and_b32_e32 v80, 7, v14
; %bb.1163:                             ;   in Loop: Header=BB210_1005 Depth=1
	s_or_b32 exec_lo, exec_lo, s15
	s_delay_alu instid0(VALU_DEP_1) | instskip(SKIP_1) | instid1(VALU_DEP_2)
	v_dual_lshlrev_b32 v7, 24, v13 :: v_dual_lshlrev_b32 v13, 20, v80
	v_lshl_add_u32 v6, v6, 23, 0x3c000000
	v_and_b32_e32 v7, 0x80000000, v7
	s_delay_alu instid0(VALU_DEP_1) | instskip(NEXT) | instid1(VALU_DEP_1)
	v_or3_b32 v80, v13, v7, v6
	v_mov_b64_e32 v[6:7], v[80:81]
.LBB210_1164:                           ;   in Loop: Header=BB210_1005 Depth=1
	s_or_b32 exec_lo, exec_lo, s14
.LBB210_1165:                           ;   in Loop: Header=BB210_1005 Depth=1
	s_delay_alu instid0(SALU_CYCLE_1)
	s_or_b32 exec_lo, exec_lo, s9
.LBB210_1166:                           ;   in Loop: Header=BB210_1005 Depth=1
	s_delay_alu instid0(SALU_CYCLE_1) | instskip(NEXT) | instid1(SALU_CYCLE_1)
	s_or_b32 exec_lo, exec_lo, s8
	s_mov_b32 s8, exec_lo
	v_cmpx_lt_u32_e32 0xffffff, v12
	s_cbranch_execz .LBB210_1174
; %bb.1167:                             ;   in Loop: Header=BB210_1005 Depth=1
	v_mov_b64_e32 v[10:11], 0x8000000000000000
	v_lshrrev_b32_e32 v13, 24, v12
	s_mov_b32 s9, exec_lo
	s_delay_alu instid0(VALU_DEP_1)
	v_cmpx_ne_u32_e32 0x80, v13
	s_cbranch_execz .LBB210_1173
; %bb.1168:                             ;   in Loop: Header=BB210_1005 Depth=1
	v_mov_b64_e32 v[10:11], 0x7f80000100000000
	v_bfe_u32 v12, v12, 24, 7
	s_mov_b32 s14, exec_lo
	s_delay_alu instid0(VALU_DEP_1)
	v_cmpx_ne_u32_e32 0x7f, v12
	s_cbranch_execz .LBB210_1172
; %bb.1169:                             ;   in Loop: Header=BB210_1005 Depth=1
	v_dual_lshrrev_b32 v10, 3, v12 :: v_dual_bitop2_b32 v80, 7, v13 bitop3:0x40
	s_mov_b32 s15, exec_lo
	v_cmpx_gt_u32_e32 8, v12
; %bb.1170:                             ;   in Loop: Header=BB210_1005 Depth=1
	s_delay_alu instid0(VALU_DEP_2) | instskip(NEXT) | instid1(VALU_DEP_1)
	v_clz_i32_u32_e32 v10, v80
	v_min_u32_e32 v10, 32, v10
	s_delay_alu instid0(VALU_DEP_1) | instskip(SKIP_1) | instid1(VALU_DEP_2)
	v_subrev_nc_u32_e32 v11, 28, v10
	v_sub_nc_u32_e32 v10, 29, v10
	v_lshlrev_b64_e32 v[14:15], v11, v[80:81]
	s_delay_alu instid0(VALU_DEP_1)
	v_and_b32_e32 v80, 7, v14
; %bb.1171:                             ;   in Loop: Header=BB210_1005 Depth=1
	s_or_b32 exec_lo, exec_lo, s15
	s_delay_alu instid0(VALU_DEP_1) | instskip(SKIP_1) | instid1(VALU_DEP_2)
	v_dual_lshlrev_b32 v11, 24, v13 :: v_dual_lshlrev_b32 v12, 20, v80
	v_lshl_add_u32 v10, v10, 23, 0x3c000000
	v_and_b32_e32 v11, 0x80000000, v11
	s_delay_alu instid0(VALU_DEP_1)
	v_or3_b32 v11, v12, v11, v10
	v_mov_b32_e32 v10, v81
.LBB210_1172:                           ;   in Loop: Header=BB210_1005 Depth=1
	s_or_b32 exec_lo, exec_lo, s14
.LBB210_1173:                           ;   in Loop: Header=BB210_1005 Depth=1
	s_delay_alu instid0(SALU_CYCLE_1)
	s_or_b32 exec_lo, exec_lo, s9
.LBB210_1174:                           ;   in Loop: Header=BB210_1005 Depth=1
	s_delay_alu instid0(SALU_CYCLE_1) | instskip(SKIP_4) | instid1(VALU_DEP_3)
	s_or_b32 exec_lo, exec_lo, s8
	v_or_b32_e32 v1, v1, v9
	v_or_b32_e32 v0, v0, v8
	;; [unrolled: 1-line block ×4, first 2 shown]
	v_pk_mul_f32 v[102:103], v[68:69], v[0:1]
	s_delay_alu instid0(VALU_DEP_2)
	v_pk_mul_f32 v[100:101], v[68:69], v[6:7]
	s_and_saveexec_b32 s8, vcc_lo
	s_cbranch_execz .LBB210_1176
; %bb.1175:                             ;   in Loop: Header=BB210_1005 Depth=1
	scratch_load_b64 v[0:1], off, s32 offset:192 ; 8-byte Folded Reload
	s_wait_loadcnt 0x0
	v_cmp_lt_i32_e64 s0, v87, v0
	s_delay_alu instid0(VALU_DEP_1) | instskip(SKIP_1) | instid1(VALU_DEP_1)
	v_cndmask_b32_e64 v102, 0, v102, s0
	v_cmp_lt_i32_e64 s0, v96, v0
	v_cndmask_b32_e64 v103, 0, v103, s0
	v_cmp_lt_i32_e64 s0, v98, v0
	s_delay_alu instid0(VALU_DEP_1) | instskip(SKIP_1) | instid1(VALU_DEP_1)
	v_cndmask_b32_e64 v100, 0, v100, s0
	v_cmp_lt_i32_e64 s0, v97, v0
	v_cndmask_b32_e64 v101, 0, v101, s0
.LBB210_1176:                           ;   in Loop: Header=BB210_1005 Depth=1
	s_wait_xcnt 0x0
	s_or_b32 exec_lo, exec_lo, s8
	flat_load_b32 v12, v[82:83] offset:640
	v_mov_b64_e32 v[0:1], 0
	v_mov_b64_e32 v[8:9], 0
	s_mov_b32 s8, exec_lo
	s_wait_loadcnt_dscnt 0x0
	v_and_b32_e32 v6, 0xff, v12
	s_wait_xcnt 0x0
	s_delay_alu instid0(VALU_DEP_1)
	v_cmpx_ne_u16_e32 0, v6
	s_cbranch_execz .LBB210_1184
; %bb.1177:                             ;   in Loop: Header=BB210_1005 Depth=1
	v_mov_b64_e32 v[8:9], 0x80000000
	s_mov_b32 s9, exec_lo
	v_cmpx_ne_u16_e32 0x80, v6
	s_cbranch_execz .LBB210_1183
; %bb.1178:                             ;   in Loop: Header=BB210_1005 Depth=1
	v_mov_b64_e32 v[8:9], 0x7f800001
	v_and_b32_e32 v7, 0x7f, v12
	s_mov_b32 s14, exec_lo
	s_delay_alu instid0(VALU_DEP_1)
	v_cmpx_ne_u32_e32 0x7f, v7
	s_cbranch_execz .LBB210_1182
; %bb.1179:                             ;   in Loop: Header=BB210_1005 Depth=1
	v_dual_lshrrev_b32 v6, 3, v7 :: v_dual_bitop2_b32 v80, 7, v12 bitop3:0x40
	s_mov_b32 s15, exec_lo
	v_cmpx_gt_u32_e32 8, v7
; %bb.1180:                             ;   in Loop: Header=BB210_1005 Depth=1
	s_delay_alu instid0(VALU_DEP_2) | instskip(NEXT) | instid1(VALU_DEP_1)
	v_clz_i32_u32_e32 v6, v80
	v_min_u32_e32 v6, 32, v6
	s_delay_alu instid0(VALU_DEP_1) | instskip(NEXT) | instid1(VALU_DEP_1)
	v_subrev_nc_u32_e32 v7, 28, v6
	v_lshlrev_b64_e32 v[8:9], v7, v[80:81]
	s_delay_alu instid0(VALU_DEP_1)
	v_dual_sub_nc_u32 v6, 29, v6 :: v_dual_bitop2_b32 v80, 7, v8 bitop3:0x40
; %bb.1181:                             ;   in Loop: Header=BB210_1005 Depth=1
	s_or_b32 exec_lo, exec_lo, s15
	v_lshlrev_b32_e32 v7, 24, v12
	s_delay_alu instid0(VALU_DEP_2) | instskip(NEXT) | instid1(VALU_DEP_3)
	v_lshlrev_b32_e32 v8, 20, v80
	v_lshl_add_u32 v6, v6, 23, 0x3c000000
	s_delay_alu instid0(VALU_DEP_3) | instskip(NEXT) | instid1(VALU_DEP_1)
	v_and_b32_e32 v7, 0x80000000, v7
	v_or3_b32 v80, v8, v7, v6
	s_delay_alu instid0(VALU_DEP_1)
	v_mov_b64_e32 v[8:9], v[80:81]
.LBB210_1182:                           ;   in Loop: Header=BB210_1005 Depth=1
	s_or_b32 exec_lo, exec_lo, s14
.LBB210_1183:                           ;   in Loop: Header=BB210_1005 Depth=1
	s_delay_alu instid0(SALU_CYCLE_1)
	s_or_b32 exec_lo, exec_lo, s9
.LBB210_1184:                           ;   in Loop: Header=BB210_1005 Depth=1
	s_delay_alu instid0(SALU_CYCLE_1) | instskip(SKIP_2) | instid1(VALU_DEP_1)
	s_or_b32 exec_lo, exec_lo, s8
	v_lshrrev_b16 v6, 8, v12
	s_mov_b32 s8, exec_lo
	v_cmpx_ne_u16_e32 0, v6
	s_cbranch_execz .LBB210_1192
; %bb.1185:                             ;   in Loop: Header=BB210_1005 Depth=1
	v_mov_b64_e32 v[0:1], 0x8000000000000000
	s_mov_b32 s9, exec_lo
	v_cmpx_ne_u16_e32 0x80, v6
	s_cbranch_execz .LBB210_1191
; %bb.1186:                             ;   in Loop: Header=BB210_1005 Depth=1
	v_and_b32_e32 v7, 0xffff, v6
	v_mov_b64_e32 v[0:1], 0x7f80000100000000
	s_mov_b32 s14, exec_lo
	s_delay_alu instid0(VALU_DEP_2) | instskip(NEXT) | instid1(VALU_DEP_1)
	v_and_b32_e32 v6, 0x7f, v7
	v_cmpx_ne_u32_e32 0x7f, v6
	s_cbranch_execz .LBB210_1190
; %bb.1187:                             ;   in Loop: Header=BB210_1005 Depth=1
	v_dual_lshrrev_b32 v0, 3, v6 :: v_dual_bitop2_b32 v80, 7, v7 bitop3:0x40
	s_mov_b32 s15, exec_lo
	v_cmpx_gt_u32_e32 8, v6
; %bb.1188:                             ;   in Loop: Header=BB210_1005 Depth=1
	s_delay_alu instid0(VALU_DEP_2) | instskip(NEXT) | instid1(VALU_DEP_1)
	v_clz_i32_u32_e32 v0, v80
	v_min_u32_e32 v0, 32, v0
	s_delay_alu instid0(VALU_DEP_1) | instskip(NEXT) | instid1(VALU_DEP_1)
	v_subrev_nc_u32_e32 v1, 28, v0
	v_lshlrev_b64_e32 v[6:7], v1, v[80:81]
	s_delay_alu instid0(VALU_DEP_1)
	v_dual_sub_nc_u32 v0, 29, v0 :: v_dual_bitop2_b32 v80, 7, v6 bitop3:0x40
; %bb.1189:                             ;   in Loop: Header=BB210_1005 Depth=1
	s_or_b32 exec_lo, exec_lo, s15
	v_lshlrev_b32_e32 v1, 16, v12
	s_delay_alu instid0(VALU_DEP_2) | instskip(NEXT) | instid1(VALU_DEP_3)
	v_lshlrev_b32_e32 v6, 20, v80
	v_lshl_add_u32 v0, v0, 23, 0x3c000000
	s_delay_alu instid0(VALU_DEP_3) | instskip(NEXT) | instid1(VALU_DEP_1)
	v_and_b32_e32 v1, 0x80000000, v1
	v_or3_b32 v1, v6, v1, v0
	v_mov_b32_e32 v0, v81
.LBB210_1190:                           ;   in Loop: Header=BB210_1005 Depth=1
	s_or_b32 exec_lo, exec_lo, s14
.LBB210_1191:                           ;   in Loop: Header=BB210_1005 Depth=1
	s_delay_alu instid0(SALU_CYCLE_1)
	s_or_b32 exec_lo, exec_lo, s9
.LBB210_1192:                           ;   in Loop: Header=BB210_1005 Depth=1
	s_delay_alu instid0(SALU_CYCLE_1) | instskip(SKIP_4) | instid1(VALU_DEP_3)
	s_or_b32 exec_lo, exec_lo, s8
	v_lshrrev_b32_e32 v13, 16, v12
	v_mov_b64_e32 v[10:11], 0
	v_mov_b64_e32 v[6:7], 0
	s_mov_b32 s8, exec_lo
	v_and_b32_e32 v14, 0xff, v13
	s_delay_alu instid0(VALU_DEP_1)
	v_cmpx_ne_u16_e32 0, v14
	s_cbranch_execz .LBB210_1200
; %bb.1193:                             ;   in Loop: Header=BB210_1005 Depth=1
	v_mov_b64_e32 v[6:7], 0x80000000
	s_mov_b32 s9, exec_lo
	v_cmpx_ne_u16_e32 0x80, v14
	s_cbranch_execz .LBB210_1199
; %bb.1194:                             ;   in Loop: Header=BB210_1005 Depth=1
	v_mov_b64_e32 v[6:7], 0x7f800001
	v_bfe_u32 v14, v12, 16, 7
	s_mov_b32 s14, exec_lo
	s_delay_alu instid0(VALU_DEP_1)
	v_cmpx_ne_u32_e32 0x7f, v14
	s_cbranch_execz .LBB210_1198
; %bb.1195:                             ;   in Loop: Header=BB210_1005 Depth=1
	v_dual_lshrrev_b32 v6, 3, v14 :: v_dual_bitop2_b32 v80, 7, v13 bitop3:0x40
	s_mov_b32 s15, exec_lo
	v_cmpx_gt_u32_e32 8, v14
; %bb.1196:                             ;   in Loop: Header=BB210_1005 Depth=1
	s_delay_alu instid0(VALU_DEP_2) | instskip(NEXT) | instid1(VALU_DEP_1)
	v_clz_i32_u32_e32 v6, v80
	v_min_u32_e32 v6, 32, v6
	s_delay_alu instid0(VALU_DEP_1) | instskip(SKIP_1) | instid1(VALU_DEP_2)
	v_subrev_nc_u32_e32 v7, 28, v6
	v_sub_nc_u32_e32 v6, 29, v6
	v_lshlrev_b64_e32 v[14:15], v7, v[80:81]
	s_delay_alu instid0(VALU_DEP_1)
	v_and_b32_e32 v80, 7, v14
; %bb.1197:                             ;   in Loop: Header=BB210_1005 Depth=1
	s_or_b32 exec_lo, exec_lo, s15
	s_delay_alu instid0(VALU_DEP_1) | instskip(SKIP_1) | instid1(VALU_DEP_2)
	v_dual_lshlrev_b32 v7, 24, v13 :: v_dual_lshlrev_b32 v13, 20, v80
	v_lshl_add_u32 v6, v6, 23, 0x3c000000
	v_and_b32_e32 v7, 0x80000000, v7
	s_delay_alu instid0(VALU_DEP_1) | instskip(NEXT) | instid1(VALU_DEP_1)
	v_or3_b32 v80, v13, v7, v6
	v_mov_b64_e32 v[6:7], v[80:81]
.LBB210_1198:                           ;   in Loop: Header=BB210_1005 Depth=1
	s_or_b32 exec_lo, exec_lo, s14
.LBB210_1199:                           ;   in Loop: Header=BB210_1005 Depth=1
	s_delay_alu instid0(SALU_CYCLE_1)
	s_or_b32 exec_lo, exec_lo, s9
.LBB210_1200:                           ;   in Loop: Header=BB210_1005 Depth=1
	s_delay_alu instid0(SALU_CYCLE_1) | instskip(NEXT) | instid1(SALU_CYCLE_1)
	s_or_b32 exec_lo, exec_lo, s8
	s_mov_b32 s8, exec_lo
	v_cmpx_lt_u32_e32 0xffffff, v12
	s_cbranch_execz .LBB210_1208
; %bb.1201:                             ;   in Loop: Header=BB210_1005 Depth=1
	v_mov_b64_e32 v[10:11], 0x8000000000000000
	v_lshrrev_b32_e32 v13, 24, v12
	s_mov_b32 s9, exec_lo
	s_delay_alu instid0(VALU_DEP_1)
	v_cmpx_ne_u32_e32 0x80, v13
	s_cbranch_execz .LBB210_1207
; %bb.1202:                             ;   in Loop: Header=BB210_1005 Depth=1
	v_mov_b64_e32 v[10:11], 0x7f80000100000000
	v_bfe_u32 v12, v12, 24, 7
	s_mov_b32 s14, exec_lo
	s_delay_alu instid0(VALU_DEP_1)
	v_cmpx_ne_u32_e32 0x7f, v12
	s_cbranch_execz .LBB210_1206
; %bb.1203:                             ;   in Loop: Header=BB210_1005 Depth=1
	v_dual_lshrrev_b32 v10, 3, v12 :: v_dual_bitop2_b32 v80, 7, v13 bitop3:0x40
	s_mov_b32 s15, exec_lo
	v_cmpx_gt_u32_e32 8, v12
; %bb.1204:                             ;   in Loop: Header=BB210_1005 Depth=1
	s_delay_alu instid0(VALU_DEP_2) | instskip(NEXT) | instid1(VALU_DEP_1)
	v_clz_i32_u32_e32 v10, v80
	v_min_u32_e32 v10, 32, v10
	s_delay_alu instid0(VALU_DEP_1) | instskip(SKIP_1) | instid1(VALU_DEP_2)
	v_subrev_nc_u32_e32 v11, 28, v10
	v_sub_nc_u32_e32 v10, 29, v10
	v_lshlrev_b64_e32 v[14:15], v11, v[80:81]
	s_delay_alu instid0(VALU_DEP_1)
	v_and_b32_e32 v80, 7, v14
; %bb.1205:                             ;   in Loop: Header=BB210_1005 Depth=1
	s_or_b32 exec_lo, exec_lo, s15
	s_delay_alu instid0(VALU_DEP_1) | instskip(SKIP_1) | instid1(VALU_DEP_2)
	v_dual_lshlrev_b32 v11, 24, v13 :: v_dual_lshlrev_b32 v12, 20, v80
	v_lshl_add_u32 v10, v10, 23, 0x3c000000
	v_and_b32_e32 v11, 0x80000000, v11
	s_delay_alu instid0(VALU_DEP_1)
	v_or3_b32 v11, v12, v11, v10
	v_mov_b32_e32 v10, v81
.LBB210_1206:                           ;   in Loop: Header=BB210_1005 Depth=1
	s_or_b32 exec_lo, exec_lo, s14
.LBB210_1207:                           ;   in Loop: Header=BB210_1005 Depth=1
	s_delay_alu instid0(SALU_CYCLE_1)
	s_or_b32 exec_lo, exec_lo, s9
.LBB210_1208:                           ;   in Loop: Header=BB210_1005 Depth=1
	s_delay_alu instid0(SALU_CYCLE_1) | instskip(SKIP_4) | instid1(VALU_DEP_3)
	s_or_b32 exec_lo, exec_lo, s8
	v_or_b32_e32 v1, v1, v9
	v_or_b32_e32 v0, v0, v8
	;; [unrolled: 1-line block ×4, first 2 shown]
	v_pk_mul_f32 v[114:115], v[68:69], v[0:1]
	s_delay_alu instid0(VALU_DEP_2)
	v_pk_mul_f32 v[112:113], v[68:69], v[6:7]
	s_and_saveexec_b32 s8, vcc_lo
	s_cbranch_execz .LBB210_1210
; %bb.1209:                             ;   in Loop: Header=BB210_1005 Depth=1
	scratch_load_b64 v[0:1], off, s32 offset:192 ; 8-byte Folded Reload
	s_wait_loadcnt 0x0
	v_cmp_lt_i32_e64 s0, v87, v0
	s_delay_alu instid0(VALU_DEP_1) | instskip(SKIP_1) | instid1(VALU_DEP_1)
	v_cndmask_b32_e64 v114, 0, v114, s0
	v_cmp_lt_i32_e64 s0, v96, v0
	v_cndmask_b32_e64 v115, 0, v115, s0
	v_cmp_lt_i32_e64 s0, v98, v0
	s_delay_alu instid0(VALU_DEP_1) | instskip(SKIP_1) | instid1(VALU_DEP_1)
	v_cndmask_b32_e64 v112, 0, v112, s0
	v_cmp_lt_i32_e64 s0, v97, v0
	v_cndmask_b32_e64 v113, 0, v113, s0
.LBB210_1210:                           ;   in Loop: Header=BB210_1005 Depth=1
	s_wait_xcnt 0x0
	s_or_b32 exec_lo, exec_lo, s8
	flat_load_b32 v12, v[82:83] offset:768
	v_mov_b64_e32 v[0:1], 0
	v_mov_b64_e32 v[8:9], 0
	s_mov_b32 s8, exec_lo
	s_wait_loadcnt_dscnt 0x0
	v_and_b32_e32 v6, 0xff, v12
	s_wait_xcnt 0x0
	s_delay_alu instid0(VALU_DEP_1)
	v_cmpx_ne_u16_e32 0, v6
	s_cbranch_execz .LBB210_1218
; %bb.1211:                             ;   in Loop: Header=BB210_1005 Depth=1
	v_mov_b64_e32 v[8:9], 0x80000000
	s_mov_b32 s9, exec_lo
	v_cmpx_ne_u16_e32 0x80, v6
	s_cbranch_execz .LBB210_1217
; %bb.1212:                             ;   in Loop: Header=BB210_1005 Depth=1
	v_mov_b64_e32 v[8:9], 0x7f800001
	v_and_b32_e32 v7, 0x7f, v12
	s_mov_b32 s14, exec_lo
	s_delay_alu instid0(VALU_DEP_1)
	v_cmpx_ne_u32_e32 0x7f, v7
	s_cbranch_execz .LBB210_1216
; %bb.1213:                             ;   in Loop: Header=BB210_1005 Depth=1
	v_dual_lshrrev_b32 v6, 3, v7 :: v_dual_bitop2_b32 v80, 7, v12 bitop3:0x40
	s_mov_b32 s15, exec_lo
	v_cmpx_gt_u32_e32 8, v7
; %bb.1214:                             ;   in Loop: Header=BB210_1005 Depth=1
	s_delay_alu instid0(VALU_DEP_2) | instskip(NEXT) | instid1(VALU_DEP_1)
	v_clz_i32_u32_e32 v6, v80
	v_min_u32_e32 v6, 32, v6
	s_delay_alu instid0(VALU_DEP_1) | instskip(NEXT) | instid1(VALU_DEP_1)
	v_subrev_nc_u32_e32 v7, 28, v6
	v_lshlrev_b64_e32 v[8:9], v7, v[80:81]
	s_delay_alu instid0(VALU_DEP_1)
	v_dual_sub_nc_u32 v6, 29, v6 :: v_dual_bitop2_b32 v80, 7, v8 bitop3:0x40
; %bb.1215:                             ;   in Loop: Header=BB210_1005 Depth=1
	s_or_b32 exec_lo, exec_lo, s15
	v_lshlrev_b32_e32 v7, 24, v12
	s_delay_alu instid0(VALU_DEP_2) | instskip(NEXT) | instid1(VALU_DEP_3)
	v_lshlrev_b32_e32 v8, 20, v80
	v_lshl_add_u32 v6, v6, 23, 0x3c000000
	s_delay_alu instid0(VALU_DEP_3) | instskip(NEXT) | instid1(VALU_DEP_1)
	v_and_b32_e32 v7, 0x80000000, v7
	v_or3_b32 v80, v8, v7, v6
	s_delay_alu instid0(VALU_DEP_1)
	v_mov_b64_e32 v[8:9], v[80:81]
.LBB210_1216:                           ;   in Loop: Header=BB210_1005 Depth=1
	s_or_b32 exec_lo, exec_lo, s14
.LBB210_1217:                           ;   in Loop: Header=BB210_1005 Depth=1
	s_delay_alu instid0(SALU_CYCLE_1)
	s_or_b32 exec_lo, exec_lo, s9
.LBB210_1218:                           ;   in Loop: Header=BB210_1005 Depth=1
	s_delay_alu instid0(SALU_CYCLE_1) | instskip(SKIP_2) | instid1(VALU_DEP_1)
	s_or_b32 exec_lo, exec_lo, s8
	v_lshrrev_b16 v6, 8, v12
	s_mov_b32 s8, exec_lo
	v_cmpx_ne_u16_e32 0, v6
	s_cbranch_execz .LBB210_1226
; %bb.1219:                             ;   in Loop: Header=BB210_1005 Depth=1
	v_mov_b64_e32 v[0:1], 0x8000000000000000
	s_mov_b32 s9, exec_lo
	v_cmpx_ne_u16_e32 0x80, v6
	s_cbranch_execz .LBB210_1225
; %bb.1220:                             ;   in Loop: Header=BB210_1005 Depth=1
	v_and_b32_e32 v7, 0xffff, v6
	v_mov_b64_e32 v[0:1], 0x7f80000100000000
	s_mov_b32 s14, exec_lo
	s_delay_alu instid0(VALU_DEP_2) | instskip(NEXT) | instid1(VALU_DEP_1)
	v_and_b32_e32 v6, 0x7f, v7
	v_cmpx_ne_u32_e32 0x7f, v6
	s_cbranch_execz .LBB210_1224
; %bb.1221:                             ;   in Loop: Header=BB210_1005 Depth=1
	v_dual_lshrrev_b32 v0, 3, v6 :: v_dual_bitop2_b32 v80, 7, v7 bitop3:0x40
	s_mov_b32 s15, exec_lo
	v_cmpx_gt_u32_e32 8, v6
; %bb.1222:                             ;   in Loop: Header=BB210_1005 Depth=1
	s_delay_alu instid0(VALU_DEP_2) | instskip(NEXT) | instid1(VALU_DEP_1)
	v_clz_i32_u32_e32 v0, v80
	v_min_u32_e32 v0, 32, v0
	s_delay_alu instid0(VALU_DEP_1) | instskip(NEXT) | instid1(VALU_DEP_1)
	v_subrev_nc_u32_e32 v1, 28, v0
	v_lshlrev_b64_e32 v[6:7], v1, v[80:81]
	s_delay_alu instid0(VALU_DEP_1)
	v_dual_sub_nc_u32 v0, 29, v0 :: v_dual_bitop2_b32 v80, 7, v6 bitop3:0x40
; %bb.1223:                             ;   in Loop: Header=BB210_1005 Depth=1
	s_or_b32 exec_lo, exec_lo, s15
	v_lshlrev_b32_e32 v1, 16, v12
	s_delay_alu instid0(VALU_DEP_2) | instskip(NEXT) | instid1(VALU_DEP_3)
	v_lshlrev_b32_e32 v6, 20, v80
	v_lshl_add_u32 v0, v0, 23, 0x3c000000
	s_delay_alu instid0(VALU_DEP_3) | instskip(NEXT) | instid1(VALU_DEP_1)
	v_and_b32_e32 v1, 0x80000000, v1
	v_or3_b32 v1, v6, v1, v0
	v_mov_b32_e32 v0, v81
.LBB210_1224:                           ;   in Loop: Header=BB210_1005 Depth=1
	s_or_b32 exec_lo, exec_lo, s14
.LBB210_1225:                           ;   in Loop: Header=BB210_1005 Depth=1
	s_delay_alu instid0(SALU_CYCLE_1)
	s_or_b32 exec_lo, exec_lo, s9
.LBB210_1226:                           ;   in Loop: Header=BB210_1005 Depth=1
	s_delay_alu instid0(SALU_CYCLE_1) | instskip(SKIP_4) | instid1(VALU_DEP_3)
	s_or_b32 exec_lo, exec_lo, s8
	v_lshrrev_b32_e32 v13, 16, v12
	v_mov_b64_e32 v[10:11], 0
	v_mov_b64_e32 v[6:7], 0
	s_mov_b32 s8, exec_lo
	v_and_b32_e32 v14, 0xff, v13
	s_delay_alu instid0(VALU_DEP_1)
	v_cmpx_ne_u16_e32 0, v14
	s_cbranch_execz .LBB210_1234
; %bb.1227:                             ;   in Loop: Header=BB210_1005 Depth=1
	v_mov_b64_e32 v[6:7], 0x80000000
	s_mov_b32 s9, exec_lo
	v_cmpx_ne_u16_e32 0x80, v14
	s_cbranch_execz .LBB210_1233
; %bb.1228:                             ;   in Loop: Header=BB210_1005 Depth=1
	v_mov_b64_e32 v[6:7], 0x7f800001
	v_bfe_u32 v14, v12, 16, 7
	s_mov_b32 s14, exec_lo
	s_delay_alu instid0(VALU_DEP_1)
	v_cmpx_ne_u32_e32 0x7f, v14
	s_cbranch_execz .LBB210_1232
; %bb.1229:                             ;   in Loop: Header=BB210_1005 Depth=1
	v_dual_lshrrev_b32 v6, 3, v14 :: v_dual_bitop2_b32 v80, 7, v13 bitop3:0x40
	s_mov_b32 s15, exec_lo
	v_cmpx_gt_u32_e32 8, v14
; %bb.1230:                             ;   in Loop: Header=BB210_1005 Depth=1
	s_delay_alu instid0(VALU_DEP_2) | instskip(NEXT) | instid1(VALU_DEP_1)
	v_clz_i32_u32_e32 v6, v80
	v_min_u32_e32 v6, 32, v6
	s_delay_alu instid0(VALU_DEP_1) | instskip(SKIP_1) | instid1(VALU_DEP_2)
	v_subrev_nc_u32_e32 v7, 28, v6
	v_sub_nc_u32_e32 v6, 29, v6
	v_lshlrev_b64_e32 v[14:15], v7, v[80:81]
	s_delay_alu instid0(VALU_DEP_1)
	v_and_b32_e32 v80, 7, v14
; %bb.1231:                             ;   in Loop: Header=BB210_1005 Depth=1
	s_or_b32 exec_lo, exec_lo, s15
	s_delay_alu instid0(VALU_DEP_1) | instskip(SKIP_1) | instid1(VALU_DEP_2)
	v_dual_lshlrev_b32 v7, 24, v13 :: v_dual_lshlrev_b32 v13, 20, v80
	v_lshl_add_u32 v6, v6, 23, 0x3c000000
	v_and_b32_e32 v7, 0x80000000, v7
	s_delay_alu instid0(VALU_DEP_1) | instskip(NEXT) | instid1(VALU_DEP_1)
	v_or3_b32 v80, v13, v7, v6
	v_mov_b64_e32 v[6:7], v[80:81]
.LBB210_1232:                           ;   in Loop: Header=BB210_1005 Depth=1
	s_or_b32 exec_lo, exec_lo, s14
.LBB210_1233:                           ;   in Loop: Header=BB210_1005 Depth=1
	s_delay_alu instid0(SALU_CYCLE_1)
	s_or_b32 exec_lo, exec_lo, s9
.LBB210_1234:                           ;   in Loop: Header=BB210_1005 Depth=1
	s_delay_alu instid0(SALU_CYCLE_1) | instskip(NEXT) | instid1(SALU_CYCLE_1)
	s_or_b32 exec_lo, exec_lo, s8
	s_mov_b32 s8, exec_lo
	v_cmpx_lt_u32_e32 0xffffff, v12
	s_cbranch_execz .LBB210_1242
; %bb.1235:                             ;   in Loop: Header=BB210_1005 Depth=1
	v_mov_b64_e32 v[10:11], 0x8000000000000000
	v_lshrrev_b32_e32 v13, 24, v12
	s_mov_b32 s9, exec_lo
	s_delay_alu instid0(VALU_DEP_1)
	v_cmpx_ne_u32_e32 0x80, v13
	s_cbranch_execz .LBB210_1241
; %bb.1236:                             ;   in Loop: Header=BB210_1005 Depth=1
	v_mov_b64_e32 v[10:11], 0x7f80000100000000
	v_bfe_u32 v12, v12, 24, 7
	s_mov_b32 s14, exec_lo
	s_delay_alu instid0(VALU_DEP_1)
	v_cmpx_ne_u32_e32 0x7f, v12
	s_cbranch_execz .LBB210_1240
; %bb.1237:                             ;   in Loop: Header=BB210_1005 Depth=1
	v_dual_lshrrev_b32 v10, 3, v12 :: v_dual_bitop2_b32 v80, 7, v13 bitop3:0x40
	s_mov_b32 s15, exec_lo
	v_cmpx_gt_u32_e32 8, v12
; %bb.1238:                             ;   in Loop: Header=BB210_1005 Depth=1
	s_delay_alu instid0(VALU_DEP_2) | instskip(NEXT) | instid1(VALU_DEP_1)
	v_clz_i32_u32_e32 v10, v80
	v_min_u32_e32 v10, 32, v10
	s_delay_alu instid0(VALU_DEP_1) | instskip(SKIP_1) | instid1(VALU_DEP_2)
	v_subrev_nc_u32_e32 v11, 28, v10
	v_sub_nc_u32_e32 v10, 29, v10
	v_lshlrev_b64_e32 v[14:15], v11, v[80:81]
	s_delay_alu instid0(VALU_DEP_1)
	v_and_b32_e32 v80, 7, v14
; %bb.1239:                             ;   in Loop: Header=BB210_1005 Depth=1
	s_or_b32 exec_lo, exec_lo, s15
	s_delay_alu instid0(VALU_DEP_1) | instskip(SKIP_1) | instid1(VALU_DEP_2)
	v_dual_lshlrev_b32 v11, 24, v13 :: v_dual_lshlrev_b32 v12, 20, v80
	v_lshl_add_u32 v10, v10, 23, 0x3c000000
	v_and_b32_e32 v11, 0x80000000, v11
	s_delay_alu instid0(VALU_DEP_1)
	v_or3_b32 v11, v12, v11, v10
	v_mov_b32_e32 v10, v81
.LBB210_1240:                           ;   in Loop: Header=BB210_1005 Depth=1
	s_or_b32 exec_lo, exec_lo, s14
.LBB210_1241:                           ;   in Loop: Header=BB210_1005 Depth=1
	s_delay_alu instid0(SALU_CYCLE_1)
	s_or_b32 exec_lo, exec_lo, s9
.LBB210_1242:                           ;   in Loop: Header=BB210_1005 Depth=1
	s_delay_alu instid0(SALU_CYCLE_1) | instskip(SKIP_4) | instid1(VALU_DEP_3)
	s_or_b32 exec_lo, exec_lo, s8
	v_or_b32_e32 v1, v1, v9
	v_or_b32_e32 v0, v0, v8
	;; [unrolled: 1-line block ×4, first 2 shown]
	v_pk_mul_f32 v[118:119], v[68:69], v[0:1]
	s_delay_alu instid0(VALU_DEP_2)
	v_pk_mul_f32 v[116:117], v[68:69], v[6:7]
	s_and_saveexec_b32 s8, vcc_lo
	s_cbranch_execz .LBB210_1244
; %bb.1243:                             ;   in Loop: Header=BB210_1005 Depth=1
	scratch_load_b64 v[0:1], off, s32 offset:192 ; 8-byte Folded Reload
	s_wait_loadcnt 0x0
	v_cmp_lt_i32_e64 s0, v87, v0
	s_delay_alu instid0(VALU_DEP_1) | instskip(SKIP_1) | instid1(VALU_DEP_1)
	v_cndmask_b32_e64 v118, 0, v118, s0
	v_cmp_lt_i32_e64 s0, v96, v0
	v_cndmask_b32_e64 v119, 0, v119, s0
	v_cmp_lt_i32_e64 s0, v98, v0
	s_delay_alu instid0(VALU_DEP_1) | instskip(SKIP_1) | instid1(VALU_DEP_1)
	v_cndmask_b32_e64 v116, 0, v116, s0
	v_cmp_lt_i32_e64 s0, v97, v0
	v_cndmask_b32_e64 v117, 0, v117, s0
.LBB210_1244:                           ;   in Loop: Header=BB210_1005 Depth=1
	s_wait_xcnt 0x0
	s_or_b32 exec_lo, exec_lo, s8
	flat_load_b32 v12, v[82:83] offset:896
	v_mov_b64_e32 v[0:1], 0
	v_mov_b64_e32 v[8:9], 0
	s_mov_b32 s8, exec_lo
	s_wait_loadcnt_dscnt 0x0
	v_and_b32_e32 v6, 0xff, v12
	s_wait_xcnt 0x0
	s_delay_alu instid0(VALU_DEP_1)
	v_cmpx_ne_u16_e32 0, v6
	s_cbranch_execz .LBB210_1252
; %bb.1245:                             ;   in Loop: Header=BB210_1005 Depth=1
	v_mov_b64_e32 v[8:9], 0x80000000
	s_mov_b32 s9, exec_lo
	v_cmpx_ne_u16_e32 0x80, v6
	s_cbranch_execz .LBB210_1251
; %bb.1246:                             ;   in Loop: Header=BB210_1005 Depth=1
	v_mov_b64_e32 v[8:9], 0x7f800001
	v_and_b32_e32 v7, 0x7f, v12
	s_mov_b32 s14, exec_lo
	s_delay_alu instid0(VALU_DEP_1)
	v_cmpx_ne_u32_e32 0x7f, v7
	s_cbranch_execz .LBB210_1250
; %bb.1247:                             ;   in Loop: Header=BB210_1005 Depth=1
	v_dual_lshrrev_b32 v6, 3, v7 :: v_dual_bitop2_b32 v80, 7, v12 bitop3:0x40
	s_mov_b32 s15, exec_lo
	v_cmpx_gt_u32_e32 8, v7
; %bb.1248:                             ;   in Loop: Header=BB210_1005 Depth=1
	s_delay_alu instid0(VALU_DEP_2) | instskip(NEXT) | instid1(VALU_DEP_1)
	v_clz_i32_u32_e32 v6, v80
	v_min_u32_e32 v6, 32, v6
	s_delay_alu instid0(VALU_DEP_1) | instskip(NEXT) | instid1(VALU_DEP_1)
	v_subrev_nc_u32_e32 v7, 28, v6
	v_lshlrev_b64_e32 v[8:9], v7, v[80:81]
	s_delay_alu instid0(VALU_DEP_1)
	v_dual_sub_nc_u32 v6, 29, v6 :: v_dual_bitop2_b32 v80, 7, v8 bitop3:0x40
; %bb.1249:                             ;   in Loop: Header=BB210_1005 Depth=1
	s_or_b32 exec_lo, exec_lo, s15
	v_lshlrev_b32_e32 v7, 24, v12
	s_delay_alu instid0(VALU_DEP_2) | instskip(NEXT) | instid1(VALU_DEP_3)
	v_lshlrev_b32_e32 v8, 20, v80
	v_lshl_add_u32 v6, v6, 23, 0x3c000000
	s_delay_alu instid0(VALU_DEP_3) | instskip(NEXT) | instid1(VALU_DEP_1)
	v_and_b32_e32 v7, 0x80000000, v7
	v_or3_b32 v80, v8, v7, v6
	s_delay_alu instid0(VALU_DEP_1)
	v_mov_b64_e32 v[8:9], v[80:81]
.LBB210_1250:                           ;   in Loop: Header=BB210_1005 Depth=1
	s_or_b32 exec_lo, exec_lo, s14
.LBB210_1251:                           ;   in Loop: Header=BB210_1005 Depth=1
	s_delay_alu instid0(SALU_CYCLE_1)
	s_or_b32 exec_lo, exec_lo, s9
.LBB210_1252:                           ;   in Loop: Header=BB210_1005 Depth=1
	s_delay_alu instid0(SALU_CYCLE_1) | instskip(SKIP_2) | instid1(VALU_DEP_1)
	s_or_b32 exec_lo, exec_lo, s8
	v_lshrrev_b16 v6, 8, v12
	s_mov_b32 s8, exec_lo
	v_cmpx_ne_u16_e32 0, v6
	s_cbranch_execz .LBB210_1260
; %bb.1253:                             ;   in Loop: Header=BB210_1005 Depth=1
	v_mov_b64_e32 v[0:1], 0x8000000000000000
	s_mov_b32 s9, exec_lo
	v_cmpx_ne_u16_e32 0x80, v6
	s_cbranch_execz .LBB210_1259
; %bb.1254:                             ;   in Loop: Header=BB210_1005 Depth=1
	v_and_b32_e32 v7, 0xffff, v6
	v_mov_b64_e32 v[0:1], 0x7f80000100000000
	s_mov_b32 s14, exec_lo
	s_delay_alu instid0(VALU_DEP_2) | instskip(NEXT) | instid1(VALU_DEP_1)
	v_and_b32_e32 v6, 0x7f, v7
	v_cmpx_ne_u32_e32 0x7f, v6
	s_cbranch_execz .LBB210_1258
; %bb.1255:                             ;   in Loop: Header=BB210_1005 Depth=1
	v_dual_lshrrev_b32 v0, 3, v6 :: v_dual_bitop2_b32 v80, 7, v7 bitop3:0x40
	s_mov_b32 s15, exec_lo
	v_cmpx_gt_u32_e32 8, v6
; %bb.1256:                             ;   in Loop: Header=BB210_1005 Depth=1
	s_delay_alu instid0(VALU_DEP_2) | instskip(NEXT) | instid1(VALU_DEP_1)
	v_clz_i32_u32_e32 v0, v80
	v_min_u32_e32 v0, 32, v0
	s_delay_alu instid0(VALU_DEP_1) | instskip(NEXT) | instid1(VALU_DEP_1)
	v_subrev_nc_u32_e32 v1, 28, v0
	v_lshlrev_b64_e32 v[6:7], v1, v[80:81]
	s_delay_alu instid0(VALU_DEP_1)
	v_dual_sub_nc_u32 v0, 29, v0 :: v_dual_bitop2_b32 v80, 7, v6 bitop3:0x40
; %bb.1257:                             ;   in Loop: Header=BB210_1005 Depth=1
	s_or_b32 exec_lo, exec_lo, s15
	v_lshlrev_b32_e32 v1, 16, v12
	s_delay_alu instid0(VALU_DEP_2) | instskip(NEXT) | instid1(VALU_DEP_3)
	v_lshlrev_b32_e32 v6, 20, v80
	v_lshl_add_u32 v0, v0, 23, 0x3c000000
	s_delay_alu instid0(VALU_DEP_3) | instskip(NEXT) | instid1(VALU_DEP_1)
	v_and_b32_e32 v1, 0x80000000, v1
	v_or3_b32 v1, v6, v1, v0
	v_mov_b32_e32 v0, v81
.LBB210_1258:                           ;   in Loop: Header=BB210_1005 Depth=1
	s_or_b32 exec_lo, exec_lo, s14
.LBB210_1259:                           ;   in Loop: Header=BB210_1005 Depth=1
	s_delay_alu instid0(SALU_CYCLE_1)
	s_or_b32 exec_lo, exec_lo, s9
.LBB210_1260:                           ;   in Loop: Header=BB210_1005 Depth=1
	s_delay_alu instid0(SALU_CYCLE_1) | instskip(SKIP_4) | instid1(VALU_DEP_3)
	s_or_b32 exec_lo, exec_lo, s8
	v_lshrrev_b32_e32 v13, 16, v12
	v_mov_b64_e32 v[10:11], 0
	v_mov_b64_e32 v[6:7], 0
	s_mov_b32 s8, exec_lo
	v_and_b32_e32 v14, 0xff, v13
	s_delay_alu instid0(VALU_DEP_1)
	v_cmpx_ne_u16_e32 0, v14
	s_cbranch_execz .LBB210_1268
; %bb.1261:                             ;   in Loop: Header=BB210_1005 Depth=1
	v_mov_b64_e32 v[6:7], 0x80000000
	s_mov_b32 s9, exec_lo
	v_cmpx_ne_u16_e32 0x80, v14
	s_cbranch_execz .LBB210_1267
; %bb.1262:                             ;   in Loop: Header=BB210_1005 Depth=1
	v_mov_b64_e32 v[6:7], 0x7f800001
	v_bfe_u32 v14, v12, 16, 7
	s_mov_b32 s14, exec_lo
	s_delay_alu instid0(VALU_DEP_1)
	v_cmpx_ne_u32_e32 0x7f, v14
	s_cbranch_execz .LBB210_1266
; %bb.1263:                             ;   in Loop: Header=BB210_1005 Depth=1
	v_dual_lshrrev_b32 v6, 3, v14 :: v_dual_bitop2_b32 v80, 7, v13 bitop3:0x40
	s_mov_b32 s15, exec_lo
	v_cmpx_gt_u32_e32 8, v14
; %bb.1264:                             ;   in Loop: Header=BB210_1005 Depth=1
	s_delay_alu instid0(VALU_DEP_2) | instskip(NEXT) | instid1(VALU_DEP_1)
	v_clz_i32_u32_e32 v6, v80
	v_min_u32_e32 v6, 32, v6
	s_delay_alu instid0(VALU_DEP_1) | instskip(SKIP_1) | instid1(VALU_DEP_2)
	v_subrev_nc_u32_e32 v7, 28, v6
	v_sub_nc_u32_e32 v6, 29, v6
	v_lshlrev_b64_e32 v[14:15], v7, v[80:81]
	s_delay_alu instid0(VALU_DEP_1)
	v_and_b32_e32 v80, 7, v14
; %bb.1265:                             ;   in Loop: Header=BB210_1005 Depth=1
	s_or_b32 exec_lo, exec_lo, s15
	s_delay_alu instid0(VALU_DEP_1) | instskip(SKIP_1) | instid1(VALU_DEP_2)
	v_dual_lshlrev_b32 v7, 24, v13 :: v_dual_lshlrev_b32 v13, 20, v80
	v_lshl_add_u32 v6, v6, 23, 0x3c000000
	v_and_b32_e32 v7, 0x80000000, v7
	s_delay_alu instid0(VALU_DEP_1) | instskip(NEXT) | instid1(VALU_DEP_1)
	v_or3_b32 v80, v13, v7, v6
	v_mov_b64_e32 v[6:7], v[80:81]
.LBB210_1266:                           ;   in Loop: Header=BB210_1005 Depth=1
	s_or_b32 exec_lo, exec_lo, s14
.LBB210_1267:                           ;   in Loop: Header=BB210_1005 Depth=1
	s_delay_alu instid0(SALU_CYCLE_1)
	s_or_b32 exec_lo, exec_lo, s9
.LBB210_1268:                           ;   in Loop: Header=BB210_1005 Depth=1
	s_delay_alu instid0(SALU_CYCLE_1) | instskip(NEXT) | instid1(SALU_CYCLE_1)
	s_or_b32 exec_lo, exec_lo, s8
	s_mov_b32 s8, exec_lo
	v_cmpx_lt_u32_e32 0xffffff, v12
	s_cbranch_execz .LBB210_1276
; %bb.1269:                             ;   in Loop: Header=BB210_1005 Depth=1
	v_mov_b64_e32 v[10:11], 0x8000000000000000
	v_lshrrev_b32_e32 v13, 24, v12
	s_mov_b32 s9, exec_lo
	s_delay_alu instid0(VALU_DEP_1)
	v_cmpx_ne_u32_e32 0x80, v13
	s_cbranch_execz .LBB210_1275
; %bb.1270:                             ;   in Loop: Header=BB210_1005 Depth=1
	v_mov_b64_e32 v[10:11], 0x7f80000100000000
	v_bfe_u32 v12, v12, 24, 7
	s_mov_b32 s14, exec_lo
	s_delay_alu instid0(VALU_DEP_1)
	v_cmpx_ne_u32_e32 0x7f, v12
	s_cbranch_execz .LBB210_1274
; %bb.1271:                             ;   in Loop: Header=BB210_1005 Depth=1
	v_dual_lshrrev_b32 v10, 3, v12 :: v_dual_bitop2_b32 v80, 7, v13 bitop3:0x40
	s_mov_b32 s15, exec_lo
	v_cmpx_gt_u32_e32 8, v12
; %bb.1272:                             ;   in Loop: Header=BB210_1005 Depth=1
	s_delay_alu instid0(VALU_DEP_2) | instskip(NEXT) | instid1(VALU_DEP_1)
	v_clz_i32_u32_e32 v10, v80
	v_min_u32_e32 v10, 32, v10
	s_delay_alu instid0(VALU_DEP_1) | instskip(SKIP_1) | instid1(VALU_DEP_2)
	v_subrev_nc_u32_e32 v11, 28, v10
	v_sub_nc_u32_e32 v10, 29, v10
	v_lshlrev_b64_e32 v[14:15], v11, v[80:81]
	s_delay_alu instid0(VALU_DEP_1)
	v_and_b32_e32 v80, 7, v14
; %bb.1273:                             ;   in Loop: Header=BB210_1005 Depth=1
	s_or_b32 exec_lo, exec_lo, s15
	s_delay_alu instid0(VALU_DEP_1) | instskip(SKIP_1) | instid1(VALU_DEP_2)
	v_dual_lshlrev_b32 v11, 24, v13 :: v_dual_lshlrev_b32 v12, 20, v80
	v_lshl_add_u32 v10, v10, 23, 0x3c000000
	v_and_b32_e32 v11, 0x80000000, v11
	s_delay_alu instid0(VALU_DEP_1)
	v_or3_b32 v11, v12, v11, v10
	v_mov_b32_e32 v10, v81
.LBB210_1274:                           ;   in Loop: Header=BB210_1005 Depth=1
	s_or_b32 exec_lo, exec_lo, s14
.LBB210_1275:                           ;   in Loop: Header=BB210_1005 Depth=1
	s_delay_alu instid0(SALU_CYCLE_1)
	s_or_b32 exec_lo, exec_lo, s9
.LBB210_1276:                           ;   in Loop: Header=BB210_1005 Depth=1
	s_delay_alu instid0(SALU_CYCLE_1) | instskip(SKIP_4) | instid1(VALU_DEP_3)
	s_or_b32 exec_lo, exec_lo, s8
	v_or_b32_e32 v1, v1, v9
	v_or_b32_e32 v0, v0, v8
	;; [unrolled: 1-line block ×4, first 2 shown]
	v_pk_mul_f32 v[42:43], v[68:69], v[0:1]
	s_delay_alu instid0(VALU_DEP_2)
	v_pk_mul_f32 v[40:41], v[68:69], v[6:7]
	s_and_saveexec_b32 s8, vcc_lo
	s_cbranch_execz .LBB210_1278
; %bb.1277:                             ;   in Loop: Header=BB210_1005 Depth=1
	scratch_load_b64 v[0:1], off, s32 offset:192 ; 8-byte Folded Reload
	s_wait_loadcnt 0x0
	v_cmp_lt_i32_e64 s0, v87, v0
	s_delay_alu instid0(VALU_DEP_1) | instskip(SKIP_1) | instid1(VALU_DEP_1)
	v_cndmask_b32_e64 v42, 0, v42, s0
	v_cmp_lt_i32_e64 s0, v96, v0
	v_cndmask_b32_e64 v43, 0, v43, s0
	v_cmp_lt_i32_e64 s0, v98, v0
	s_delay_alu instid0(VALU_DEP_1) | instskip(SKIP_1) | instid1(VALU_DEP_1)
	v_cndmask_b32_e64 v40, 0, v40, s0
	v_cmp_lt_i32_e64 s0, v97, v0
	v_cndmask_b32_e64 v41, 0, v41, s0
.LBB210_1278:                           ;   in Loop: Header=BB210_1005 Depth=1
	s_wait_xcnt 0x0
	s_or_b32 exec_lo, exec_lo, s8
	flat_load_b32 v12, v[82:83] offset:1024
	v_mov_b64_e32 v[0:1], 0
	v_mov_b64_e32 v[8:9], 0
	s_mov_b32 s8, exec_lo
	s_wait_loadcnt_dscnt 0x0
	v_and_b32_e32 v6, 0xff, v12
	s_wait_xcnt 0x0
	s_delay_alu instid0(VALU_DEP_1)
	v_cmpx_ne_u16_e32 0, v6
	s_cbranch_execz .LBB210_1286
; %bb.1279:                             ;   in Loop: Header=BB210_1005 Depth=1
	v_mov_b64_e32 v[8:9], 0x80000000
	s_mov_b32 s9, exec_lo
	v_cmpx_ne_u16_e32 0x80, v6
	s_cbranch_execz .LBB210_1285
; %bb.1280:                             ;   in Loop: Header=BB210_1005 Depth=1
	v_mov_b64_e32 v[8:9], 0x7f800001
	v_and_b32_e32 v7, 0x7f, v12
	s_mov_b32 s14, exec_lo
	s_delay_alu instid0(VALU_DEP_1)
	v_cmpx_ne_u32_e32 0x7f, v7
	s_cbranch_execz .LBB210_1284
; %bb.1281:                             ;   in Loop: Header=BB210_1005 Depth=1
	v_dual_lshrrev_b32 v6, 3, v7 :: v_dual_bitop2_b32 v80, 7, v12 bitop3:0x40
	s_mov_b32 s15, exec_lo
	v_cmpx_gt_u32_e32 8, v7
; %bb.1282:                             ;   in Loop: Header=BB210_1005 Depth=1
	s_delay_alu instid0(VALU_DEP_2) | instskip(NEXT) | instid1(VALU_DEP_1)
	v_clz_i32_u32_e32 v6, v80
	v_min_u32_e32 v6, 32, v6
	s_delay_alu instid0(VALU_DEP_1) | instskip(NEXT) | instid1(VALU_DEP_1)
	v_subrev_nc_u32_e32 v7, 28, v6
	v_lshlrev_b64_e32 v[8:9], v7, v[80:81]
	s_delay_alu instid0(VALU_DEP_1)
	v_dual_sub_nc_u32 v6, 29, v6 :: v_dual_bitop2_b32 v80, 7, v8 bitop3:0x40
; %bb.1283:                             ;   in Loop: Header=BB210_1005 Depth=1
	s_or_b32 exec_lo, exec_lo, s15
	v_lshlrev_b32_e32 v7, 24, v12
	s_delay_alu instid0(VALU_DEP_2) | instskip(NEXT) | instid1(VALU_DEP_3)
	v_lshlrev_b32_e32 v8, 20, v80
	v_lshl_add_u32 v6, v6, 23, 0x3c000000
	s_delay_alu instid0(VALU_DEP_3) | instskip(NEXT) | instid1(VALU_DEP_1)
	v_and_b32_e32 v7, 0x80000000, v7
	v_or3_b32 v80, v8, v7, v6
	s_delay_alu instid0(VALU_DEP_1)
	v_mov_b64_e32 v[8:9], v[80:81]
.LBB210_1284:                           ;   in Loop: Header=BB210_1005 Depth=1
	s_or_b32 exec_lo, exec_lo, s14
.LBB210_1285:                           ;   in Loop: Header=BB210_1005 Depth=1
	s_delay_alu instid0(SALU_CYCLE_1)
	s_or_b32 exec_lo, exec_lo, s9
.LBB210_1286:                           ;   in Loop: Header=BB210_1005 Depth=1
	s_delay_alu instid0(SALU_CYCLE_1) | instskip(SKIP_2) | instid1(VALU_DEP_1)
	s_or_b32 exec_lo, exec_lo, s8
	v_lshrrev_b16 v6, 8, v12
	s_mov_b32 s8, exec_lo
	v_cmpx_ne_u16_e32 0, v6
	s_cbranch_execz .LBB210_1294
; %bb.1287:                             ;   in Loop: Header=BB210_1005 Depth=1
	v_mov_b64_e32 v[0:1], 0x8000000000000000
	s_mov_b32 s9, exec_lo
	v_cmpx_ne_u16_e32 0x80, v6
	s_cbranch_execz .LBB210_1293
; %bb.1288:                             ;   in Loop: Header=BB210_1005 Depth=1
	v_and_b32_e32 v7, 0xffff, v6
	v_mov_b64_e32 v[0:1], 0x7f80000100000000
	s_mov_b32 s14, exec_lo
	s_delay_alu instid0(VALU_DEP_2) | instskip(NEXT) | instid1(VALU_DEP_1)
	v_and_b32_e32 v6, 0x7f, v7
	v_cmpx_ne_u32_e32 0x7f, v6
	s_cbranch_execz .LBB210_1292
; %bb.1289:                             ;   in Loop: Header=BB210_1005 Depth=1
	v_dual_lshrrev_b32 v0, 3, v6 :: v_dual_bitop2_b32 v80, 7, v7 bitop3:0x40
	s_mov_b32 s15, exec_lo
	v_cmpx_gt_u32_e32 8, v6
; %bb.1290:                             ;   in Loop: Header=BB210_1005 Depth=1
	s_delay_alu instid0(VALU_DEP_2) | instskip(NEXT) | instid1(VALU_DEP_1)
	v_clz_i32_u32_e32 v0, v80
	v_min_u32_e32 v0, 32, v0
	s_delay_alu instid0(VALU_DEP_1) | instskip(NEXT) | instid1(VALU_DEP_1)
	v_subrev_nc_u32_e32 v1, 28, v0
	v_lshlrev_b64_e32 v[6:7], v1, v[80:81]
	s_delay_alu instid0(VALU_DEP_1)
	v_dual_sub_nc_u32 v0, 29, v0 :: v_dual_bitop2_b32 v80, 7, v6 bitop3:0x40
; %bb.1291:                             ;   in Loop: Header=BB210_1005 Depth=1
	s_or_b32 exec_lo, exec_lo, s15
	v_lshlrev_b32_e32 v1, 16, v12
	s_delay_alu instid0(VALU_DEP_2) | instskip(NEXT) | instid1(VALU_DEP_3)
	v_lshlrev_b32_e32 v6, 20, v80
	v_lshl_add_u32 v0, v0, 23, 0x3c000000
	s_delay_alu instid0(VALU_DEP_3) | instskip(NEXT) | instid1(VALU_DEP_1)
	v_and_b32_e32 v1, 0x80000000, v1
	v_or3_b32 v1, v6, v1, v0
	v_mov_b32_e32 v0, v81
.LBB210_1292:                           ;   in Loop: Header=BB210_1005 Depth=1
	s_or_b32 exec_lo, exec_lo, s14
.LBB210_1293:                           ;   in Loop: Header=BB210_1005 Depth=1
	s_delay_alu instid0(SALU_CYCLE_1)
	s_or_b32 exec_lo, exec_lo, s9
.LBB210_1294:                           ;   in Loop: Header=BB210_1005 Depth=1
	s_delay_alu instid0(SALU_CYCLE_1) | instskip(SKIP_4) | instid1(VALU_DEP_3)
	s_or_b32 exec_lo, exec_lo, s8
	v_lshrrev_b32_e32 v13, 16, v12
	v_mov_b64_e32 v[10:11], 0
	v_mov_b64_e32 v[6:7], 0
	s_mov_b32 s8, exec_lo
	v_and_b32_e32 v14, 0xff, v13
	s_delay_alu instid0(VALU_DEP_1)
	v_cmpx_ne_u16_e32 0, v14
	s_cbranch_execz .LBB210_1302
; %bb.1295:                             ;   in Loop: Header=BB210_1005 Depth=1
	v_mov_b64_e32 v[6:7], 0x80000000
	s_mov_b32 s9, exec_lo
	v_cmpx_ne_u16_e32 0x80, v14
	s_cbranch_execz .LBB210_1301
; %bb.1296:                             ;   in Loop: Header=BB210_1005 Depth=1
	v_mov_b64_e32 v[6:7], 0x7f800001
	v_bfe_u32 v14, v12, 16, 7
	s_mov_b32 s14, exec_lo
	s_delay_alu instid0(VALU_DEP_1)
	v_cmpx_ne_u32_e32 0x7f, v14
	s_cbranch_execz .LBB210_1300
; %bb.1297:                             ;   in Loop: Header=BB210_1005 Depth=1
	v_dual_lshrrev_b32 v6, 3, v14 :: v_dual_bitop2_b32 v80, 7, v13 bitop3:0x40
	s_mov_b32 s15, exec_lo
	v_cmpx_gt_u32_e32 8, v14
; %bb.1298:                             ;   in Loop: Header=BB210_1005 Depth=1
	s_delay_alu instid0(VALU_DEP_2) | instskip(NEXT) | instid1(VALU_DEP_1)
	v_clz_i32_u32_e32 v6, v80
	v_min_u32_e32 v6, 32, v6
	s_delay_alu instid0(VALU_DEP_1) | instskip(SKIP_1) | instid1(VALU_DEP_2)
	v_subrev_nc_u32_e32 v7, 28, v6
	v_sub_nc_u32_e32 v6, 29, v6
	v_lshlrev_b64_e32 v[14:15], v7, v[80:81]
	s_delay_alu instid0(VALU_DEP_1)
	v_and_b32_e32 v80, 7, v14
; %bb.1299:                             ;   in Loop: Header=BB210_1005 Depth=1
	s_or_b32 exec_lo, exec_lo, s15
	s_delay_alu instid0(VALU_DEP_1) | instskip(SKIP_1) | instid1(VALU_DEP_2)
	v_dual_lshlrev_b32 v7, 24, v13 :: v_dual_lshlrev_b32 v13, 20, v80
	v_lshl_add_u32 v6, v6, 23, 0x3c000000
	v_and_b32_e32 v7, 0x80000000, v7
	s_delay_alu instid0(VALU_DEP_1) | instskip(NEXT) | instid1(VALU_DEP_1)
	v_or3_b32 v80, v13, v7, v6
	v_mov_b64_e32 v[6:7], v[80:81]
.LBB210_1300:                           ;   in Loop: Header=BB210_1005 Depth=1
	s_or_b32 exec_lo, exec_lo, s14
.LBB210_1301:                           ;   in Loop: Header=BB210_1005 Depth=1
	s_delay_alu instid0(SALU_CYCLE_1)
	s_or_b32 exec_lo, exec_lo, s9
.LBB210_1302:                           ;   in Loop: Header=BB210_1005 Depth=1
	s_delay_alu instid0(SALU_CYCLE_1) | instskip(NEXT) | instid1(SALU_CYCLE_1)
	s_or_b32 exec_lo, exec_lo, s8
	s_mov_b32 s8, exec_lo
	v_cmpx_lt_u32_e32 0xffffff, v12
	s_cbranch_execz .LBB210_1310
; %bb.1303:                             ;   in Loop: Header=BB210_1005 Depth=1
	v_mov_b64_e32 v[10:11], 0x8000000000000000
	v_lshrrev_b32_e32 v13, 24, v12
	s_mov_b32 s9, exec_lo
	s_delay_alu instid0(VALU_DEP_1)
	v_cmpx_ne_u32_e32 0x80, v13
	s_cbranch_execz .LBB210_1309
; %bb.1304:                             ;   in Loop: Header=BB210_1005 Depth=1
	v_mov_b64_e32 v[10:11], 0x7f80000100000000
	v_bfe_u32 v12, v12, 24, 7
	s_mov_b32 s14, exec_lo
	s_delay_alu instid0(VALU_DEP_1)
	v_cmpx_ne_u32_e32 0x7f, v12
	s_cbranch_execz .LBB210_1308
; %bb.1305:                             ;   in Loop: Header=BB210_1005 Depth=1
	v_dual_lshrrev_b32 v10, 3, v12 :: v_dual_bitop2_b32 v80, 7, v13 bitop3:0x40
	s_mov_b32 s15, exec_lo
	v_cmpx_gt_u32_e32 8, v12
; %bb.1306:                             ;   in Loop: Header=BB210_1005 Depth=1
	s_delay_alu instid0(VALU_DEP_2) | instskip(NEXT) | instid1(VALU_DEP_1)
	v_clz_i32_u32_e32 v10, v80
	v_min_u32_e32 v10, 32, v10
	s_delay_alu instid0(VALU_DEP_1) | instskip(SKIP_1) | instid1(VALU_DEP_2)
	v_subrev_nc_u32_e32 v11, 28, v10
	v_sub_nc_u32_e32 v10, 29, v10
	v_lshlrev_b64_e32 v[14:15], v11, v[80:81]
	s_delay_alu instid0(VALU_DEP_1)
	v_and_b32_e32 v80, 7, v14
; %bb.1307:                             ;   in Loop: Header=BB210_1005 Depth=1
	s_or_b32 exec_lo, exec_lo, s15
	s_delay_alu instid0(VALU_DEP_1) | instskip(SKIP_1) | instid1(VALU_DEP_2)
	v_dual_lshlrev_b32 v11, 24, v13 :: v_dual_lshlrev_b32 v12, 20, v80
	v_lshl_add_u32 v10, v10, 23, 0x3c000000
	v_and_b32_e32 v11, 0x80000000, v11
	s_delay_alu instid0(VALU_DEP_1)
	v_or3_b32 v11, v12, v11, v10
	v_mov_b32_e32 v10, v81
.LBB210_1308:                           ;   in Loop: Header=BB210_1005 Depth=1
	s_or_b32 exec_lo, exec_lo, s14
.LBB210_1309:                           ;   in Loop: Header=BB210_1005 Depth=1
	s_delay_alu instid0(SALU_CYCLE_1)
	s_or_b32 exec_lo, exec_lo, s9
.LBB210_1310:                           ;   in Loop: Header=BB210_1005 Depth=1
	s_delay_alu instid0(SALU_CYCLE_1) | instskip(SKIP_4) | instid1(VALU_DEP_3)
	s_or_b32 exec_lo, exec_lo, s8
	v_or_b32_e32 v1, v1, v9
	v_or_b32_e32 v0, v0, v8
	;; [unrolled: 1-line block ×4, first 2 shown]
	v_pk_mul_f32 v[46:47], v[68:69], v[0:1]
	s_delay_alu instid0(VALU_DEP_2)
	v_pk_mul_f32 v[44:45], v[68:69], v[6:7]
	s_and_saveexec_b32 s8, vcc_lo
	s_cbranch_execz .LBB210_1312
; %bb.1311:                             ;   in Loop: Header=BB210_1005 Depth=1
	scratch_load_b64 v[0:1], off, s32 offset:192 ; 8-byte Folded Reload
	s_wait_loadcnt 0x0
	v_cmp_lt_i32_e64 s0, v87, v0
	s_delay_alu instid0(VALU_DEP_1) | instskip(SKIP_1) | instid1(VALU_DEP_1)
	v_cndmask_b32_e64 v46, 0, v46, s0
	v_cmp_lt_i32_e64 s0, v96, v0
	v_cndmask_b32_e64 v47, 0, v47, s0
	v_cmp_lt_i32_e64 s0, v98, v0
	s_delay_alu instid0(VALU_DEP_1) | instskip(SKIP_1) | instid1(VALU_DEP_1)
	v_cndmask_b32_e64 v44, 0, v44, s0
	v_cmp_lt_i32_e64 s0, v97, v0
	v_cndmask_b32_e64 v45, 0, v45, s0
.LBB210_1312:                           ;   in Loop: Header=BB210_1005 Depth=1
	s_wait_xcnt 0x0
	s_or_b32 exec_lo, exec_lo, s8
	flat_load_b32 v12, v[82:83] offset:1152
	v_mov_b64_e32 v[0:1], 0
	v_mov_b64_e32 v[8:9], 0
	s_mov_b32 s8, exec_lo
	s_wait_loadcnt_dscnt 0x0
	v_and_b32_e32 v6, 0xff, v12
	s_wait_xcnt 0x0
	s_delay_alu instid0(VALU_DEP_1)
	v_cmpx_ne_u16_e32 0, v6
	s_cbranch_execz .LBB210_1320
; %bb.1313:                             ;   in Loop: Header=BB210_1005 Depth=1
	v_mov_b64_e32 v[8:9], 0x80000000
	s_mov_b32 s9, exec_lo
	v_cmpx_ne_u16_e32 0x80, v6
	s_cbranch_execz .LBB210_1319
; %bb.1314:                             ;   in Loop: Header=BB210_1005 Depth=1
	v_mov_b64_e32 v[8:9], 0x7f800001
	v_and_b32_e32 v7, 0x7f, v12
	s_mov_b32 s14, exec_lo
	s_delay_alu instid0(VALU_DEP_1)
	v_cmpx_ne_u32_e32 0x7f, v7
	s_cbranch_execz .LBB210_1318
; %bb.1315:                             ;   in Loop: Header=BB210_1005 Depth=1
	v_dual_lshrrev_b32 v6, 3, v7 :: v_dual_bitop2_b32 v80, 7, v12 bitop3:0x40
	s_mov_b32 s15, exec_lo
	v_cmpx_gt_u32_e32 8, v7
; %bb.1316:                             ;   in Loop: Header=BB210_1005 Depth=1
	s_delay_alu instid0(VALU_DEP_2) | instskip(NEXT) | instid1(VALU_DEP_1)
	v_clz_i32_u32_e32 v6, v80
	v_min_u32_e32 v6, 32, v6
	s_delay_alu instid0(VALU_DEP_1) | instskip(NEXT) | instid1(VALU_DEP_1)
	v_subrev_nc_u32_e32 v7, 28, v6
	v_lshlrev_b64_e32 v[8:9], v7, v[80:81]
	s_delay_alu instid0(VALU_DEP_1)
	v_dual_sub_nc_u32 v6, 29, v6 :: v_dual_bitop2_b32 v80, 7, v8 bitop3:0x40
; %bb.1317:                             ;   in Loop: Header=BB210_1005 Depth=1
	s_or_b32 exec_lo, exec_lo, s15
	v_lshlrev_b32_e32 v7, 24, v12
	s_delay_alu instid0(VALU_DEP_2) | instskip(NEXT) | instid1(VALU_DEP_3)
	v_lshlrev_b32_e32 v8, 20, v80
	v_lshl_add_u32 v6, v6, 23, 0x3c000000
	s_delay_alu instid0(VALU_DEP_3) | instskip(NEXT) | instid1(VALU_DEP_1)
	v_and_b32_e32 v7, 0x80000000, v7
	v_or3_b32 v80, v8, v7, v6
	s_delay_alu instid0(VALU_DEP_1)
	v_mov_b64_e32 v[8:9], v[80:81]
.LBB210_1318:                           ;   in Loop: Header=BB210_1005 Depth=1
	s_or_b32 exec_lo, exec_lo, s14
.LBB210_1319:                           ;   in Loop: Header=BB210_1005 Depth=1
	s_delay_alu instid0(SALU_CYCLE_1)
	s_or_b32 exec_lo, exec_lo, s9
.LBB210_1320:                           ;   in Loop: Header=BB210_1005 Depth=1
	s_delay_alu instid0(SALU_CYCLE_1) | instskip(SKIP_2) | instid1(VALU_DEP_1)
	s_or_b32 exec_lo, exec_lo, s8
	v_lshrrev_b16 v6, 8, v12
	s_mov_b32 s8, exec_lo
	v_cmpx_ne_u16_e32 0, v6
	s_cbranch_execz .LBB210_1328
; %bb.1321:                             ;   in Loop: Header=BB210_1005 Depth=1
	v_mov_b64_e32 v[0:1], 0x8000000000000000
	s_mov_b32 s9, exec_lo
	v_cmpx_ne_u16_e32 0x80, v6
	s_cbranch_execz .LBB210_1327
; %bb.1322:                             ;   in Loop: Header=BB210_1005 Depth=1
	v_and_b32_e32 v7, 0xffff, v6
	v_mov_b64_e32 v[0:1], 0x7f80000100000000
	s_mov_b32 s14, exec_lo
	s_delay_alu instid0(VALU_DEP_2) | instskip(NEXT) | instid1(VALU_DEP_1)
	v_and_b32_e32 v6, 0x7f, v7
	v_cmpx_ne_u32_e32 0x7f, v6
	s_cbranch_execz .LBB210_1326
; %bb.1323:                             ;   in Loop: Header=BB210_1005 Depth=1
	v_dual_lshrrev_b32 v0, 3, v6 :: v_dual_bitop2_b32 v80, 7, v7 bitop3:0x40
	s_mov_b32 s15, exec_lo
	v_cmpx_gt_u32_e32 8, v6
; %bb.1324:                             ;   in Loop: Header=BB210_1005 Depth=1
	s_delay_alu instid0(VALU_DEP_2) | instskip(NEXT) | instid1(VALU_DEP_1)
	v_clz_i32_u32_e32 v0, v80
	v_min_u32_e32 v0, 32, v0
	s_delay_alu instid0(VALU_DEP_1) | instskip(NEXT) | instid1(VALU_DEP_1)
	v_subrev_nc_u32_e32 v1, 28, v0
	v_lshlrev_b64_e32 v[6:7], v1, v[80:81]
	s_delay_alu instid0(VALU_DEP_1)
	v_dual_sub_nc_u32 v0, 29, v0 :: v_dual_bitop2_b32 v80, 7, v6 bitop3:0x40
; %bb.1325:                             ;   in Loop: Header=BB210_1005 Depth=1
	s_or_b32 exec_lo, exec_lo, s15
	v_lshlrev_b32_e32 v1, 16, v12
	s_delay_alu instid0(VALU_DEP_2) | instskip(NEXT) | instid1(VALU_DEP_3)
	v_lshlrev_b32_e32 v6, 20, v80
	v_lshl_add_u32 v0, v0, 23, 0x3c000000
	s_delay_alu instid0(VALU_DEP_3) | instskip(NEXT) | instid1(VALU_DEP_1)
	v_and_b32_e32 v1, 0x80000000, v1
	v_or3_b32 v1, v6, v1, v0
	v_mov_b32_e32 v0, v81
.LBB210_1326:                           ;   in Loop: Header=BB210_1005 Depth=1
	s_or_b32 exec_lo, exec_lo, s14
.LBB210_1327:                           ;   in Loop: Header=BB210_1005 Depth=1
	s_delay_alu instid0(SALU_CYCLE_1)
	s_or_b32 exec_lo, exec_lo, s9
.LBB210_1328:                           ;   in Loop: Header=BB210_1005 Depth=1
	s_delay_alu instid0(SALU_CYCLE_1) | instskip(SKIP_4) | instid1(VALU_DEP_3)
	s_or_b32 exec_lo, exec_lo, s8
	v_lshrrev_b32_e32 v13, 16, v12
	v_mov_b64_e32 v[10:11], 0
	v_mov_b64_e32 v[6:7], 0
	s_mov_b32 s8, exec_lo
	v_and_b32_e32 v14, 0xff, v13
	s_delay_alu instid0(VALU_DEP_1)
	v_cmpx_ne_u16_e32 0, v14
	s_cbranch_execz .LBB210_1336
; %bb.1329:                             ;   in Loop: Header=BB210_1005 Depth=1
	v_mov_b64_e32 v[6:7], 0x80000000
	s_mov_b32 s9, exec_lo
	v_cmpx_ne_u16_e32 0x80, v14
	s_cbranch_execz .LBB210_1335
; %bb.1330:                             ;   in Loop: Header=BB210_1005 Depth=1
	v_mov_b64_e32 v[6:7], 0x7f800001
	v_bfe_u32 v14, v12, 16, 7
	s_mov_b32 s14, exec_lo
	s_delay_alu instid0(VALU_DEP_1)
	v_cmpx_ne_u32_e32 0x7f, v14
	s_cbranch_execz .LBB210_1334
; %bb.1331:                             ;   in Loop: Header=BB210_1005 Depth=1
	v_dual_lshrrev_b32 v6, 3, v14 :: v_dual_bitop2_b32 v80, 7, v13 bitop3:0x40
	s_mov_b32 s15, exec_lo
	v_cmpx_gt_u32_e32 8, v14
; %bb.1332:                             ;   in Loop: Header=BB210_1005 Depth=1
	s_delay_alu instid0(VALU_DEP_2) | instskip(NEXT) | instid1(VALU_DEP_1)
	v_clz_i32_u32_e32 v6, v80
	v_min_u32_e32 v6, 32, v6
	s_delay_alu instid0(VALU_DEP_1) | instskip(SKIP_1) | instid1(VALU_DEP_2)
	v_subrev_nc_u32_e32 v7, 28, v6
	v_sub_nc_u32_e32 v6, 29, v6
	v_lshlrev_b64_e32 v[14:15], v7, v[80:81]
	s_delay_alu instid0(VALU_DEP_1)
	v_and_b32_e32 v80, 7, v14
; %bb.1333:                             ;   in Loop: Header=BB210_1005 Depth=1
	s_or_b32 exec_lo, exec_lo, s15
	s_delay_alu instid0(VALU_DEP_1) | instskip(SKIP_1) | instid1(VALU_DEP_2)
	v_dual_lshlrev_b32 v7, 24, v13 :: v_dual_lshlrev_b32 v13, 20, v80
	v_lshl_add_u32 v6, v6, 23, 0x3c000000
	v_and_b32_e32 v7, 0x80000000, v7
	s_delay_alu instid0(VALU_DEP_1) | instskip(NEXT) | instid1(VALU_DEP_1)
	v_or3_b32 v80, v13, v7, v6
	v_mov_b64_e32 v[6:7], v[80:81]
.LBB210_1334:                           ;   in Loop: Header=BB210_1005 Depth=1
	s_or_b32 exec_lo, exec_lo, s14
.LBB210_1335:                           ;   in Loop: Header=BB210_1005 Depth=1
	s_delay_alu instid0(SALU_CYCLE_1)
	s_or_b32 exec_lo, exec_lo, s9
.LBB210_1336:                           ;   in Loop: Header=BB210_1005 Depth=1
	s_delay_alu instid0(SALU_CYCLE_1) | instskip(NEXT) | instid1(SALU_CYCLE_1)
	s_or_b32 exec_lo, exec_lo, s8
	s_mov_b32 s8, exec_lo
	v_cmpx_lt_u32_e32 0xffffff, v12
	s_cbranch_execz .LBB210_1344
; %bb.1337:                             ;   in Loop: Header=BB210_1005 Depth=1
	v_mov_b64_e32 v[10:11], 0x8000000000000000
	v_lshrrev_b32_e32 v13, 24, v12
	s_mov_b32 s9, exec_lo
	s_delay_alu instid0(VALU_DEP_1)
	v_cmpx_ne_u32_e32 0x80, v13
	s_cbranch_execz .LBB210_1343
; %bb.1338:                             ;   in Loop: Header=BB210_1005 Depth=1
	v_mov_b64_e32 v[10:11], 0x7f80000100000000
	v_bfe_u32 v12, v12, 24, 7
	s_mov_b32 s14, exec_lo
	s_delay_alu instid0(VALU_DEP_1)
	v_cmpx_ne_u32_e32 0x7f, v12
	s_cbranch_execz .LBB210_1342
; %bb.1339:                             ;   in Loop: Header=BB210_1005 Depth=1
	v_dual_lshrrev_b32 v10, 3, v12 :: v_dual_bitop2_b32 v80, 7, v13 bitop3:0x40
	s_mov_b32 s15, exec_lo
	v_cmpx_gt_u32_e32 8, v12
; %bb.1340:                             ;   in Loop: Header=BB210_1005 Depth=1
	s_delay_alu instid0(VALU_DEP_2) | instskip(NEXT) | instid1(VALU_DEP_1)
	v_clz_i32_u32_e32 v10, v80
	v_min_u32_e32 v10, 32, v10
	s_delay_alu instid0(VALU_DEP_1) | instskip(SKIP_1) | instid1(VALU_DEP_2)
	v_subrev_nc_u32_e32 v11, 28, v10
	v_sub_nc_u32_e32 v10, 29, v10
	v_lshlrev_b64_e32 v[14:15], v11, v[80:81]
	s_delay_alu instid0(VALU_DEP_1)
	v_and_b32_e32 v80, 7, v14
; %bb.1341:                             ;   in Loop: Header=BB210_1005 Depth=1
	s_or_b32 exec_lo, exec_lo, s15
	s_delay_alu instid0(VALU_DEP_1) | instskip(SKIP_1) | instid1(VALU_DEP_2)
	v_dual_lshlrev_b32 v11, 24, v13 :: v_dual_lshlrev_b32 v12, 20, v80
	v_lshl_add_u32 v10, v10, 23, 0x3c000000
	v_and_b32_e32 v11, 0x80000000, v11
	s_delay_alu instid0(VALU_DEP_1)
	v_or3_b32 v11, v12, v11, v10
	v_mov_b32_e32 v10, v81
.LBB210_1342:                           ;   in Loop: Header=BB210_1005 Depth=1
	s_or_b32 exec_lo, exec_lo, s14
.LBB210_1343:                           ;   in Loop: Header=BB210_1005 Depth=1
	s_delay_alu instid0(SALU_CYCLE_1)
	s_or_b32 exec_lo, exec_lo, s9
.LBB210_1344:                           ;   in Loop: Header=BB210_1005 Depth=1
	s_delay_alu instid0(SALU_CYCLE_1) | instskip(SKIP_4) | instid1(VALU_DEP_3)
	s_or_b32 exec_lo, exec_lo, s8
	v_or_b32_e32 v1, v1, v9
	v_or_b32_e32 v0, v0, v8
	;; [unrolled: 1-line block ×4, first 2 shown]
	v_pk_mul_f32 v[58:59], v[68:69], v[0:1]
	s_delay_alu instid0(VALU_DEP_2)
	v_pk_mul_f32 v[56:57], v[68:69], v[6:7]
	s_and_saveexec_b32 s8, vcc_lo
	s_cbranch_execz .LBB210_1346
; %bb.1345:                             ;   in Loop: Header=BB210_1005 Depth=1
	scratch_load_b64 v[0:1], off, s32 offset:192 ; 8-byte Folded Reload
	s_wait_loadcnt 0x0
	v_cmp_lt_i32_e64 s0, v87, v0
	s_delay_alu instid0(VALU_DEP_1) | instskip(SKIP_1) | instid1(VALU_DEP_1)
	v_cndmask_b32_e64 v58, 0, v58, s0
	v_cmp_lt_i32_e64 s0, v96, v0
	v_cndmask_b32_e64 v59, 0, v59, s0
	v_cmp_lt_i32_e64 s0, v98, v0
	s_delay_alu instid0(VALU_DEP_1) | instskip(SKIP_1) | instid1(VALU_DEP_1)
	v_cndmask_b32_e64 v56, 0, v56, s0
	v_cmp_lt_i32_e64 s0, v97, v0
	v_cndmask_b32_e64 v57, 0, v57, s0
.LBB210_1346:                           ;   in Loop: Header=BB210_1005 Depth=1
	s_wait_xcnt 0x0
	s_or_b32 exec_lo, exec_lo, s8
	flat_load_b32 v12, v[82:83] offset:1280
	v_mov_b64_e32 v[0:1], 0
	v_mov_b64_e32 v[8:9], 0
	s_mov_b32 s8, exec_lo
	s_wait_loadcnt_dscnt 0x0
	v_and_b32_e32 v6, 0xff, v12
	s_wait_xcnt 0x0
	s_delay_alu instid0(VALU_DEP_1)
	v_cmpx_ne_u16_e32 0, v6
	s_cbranch_execz .LBB210_1354
; %bb.1347:                             ;   in Loop: Header=BB210_1005 Depth=1
	v_mov_b64_e32 v[8:9], 0x80000000
	s_mov_b32 s9, exec_lo
	v_cmpx_ne_u16_e32 0x80, v6
	s_cbranch_execz .LBB210_1353
; %bb.1348:                             ;   in Loop: Header=BB210_1005 Depth=1
	v_mov_b64_e32 v[8:9], 0x7f800001
	v_and_b32_e32 v7, 0x7f, v12
	s_mov_b32 s14, exec_lo
	s_delay_alu instid0(VALU_DEP_1)
	v_cmpx_ne_u32_e32 0x7f, v7
	s_cbranch_execz .LBB210_1352
; %bb.1349:                             ;   in Loop: Header=BB210_1005 Depth=1
	v_dual_lshrrev_b32 v6, 3, v7 :: v_dual_bitop2_b32 v80, 7, v12 bitop3:0x40
	s_mov_b32 s15, exec_lo
	v_cmpx_gt_u32_e32 8, v7
; %bb.1350:                             ;   in Loop: Header=BB210_1005 Depth=1
	s_delay_alu instid0(VALU_DEP_2) | instskip(NEXT) | instid1(VALU_DEP_1)
	v_clz_i32_u32_e32 v6, v80
	v_min_u32_e32 v6, 32, v6
	s_delay_alu instid0(VALU_DEP_1) | instskip(NEXT) | instid1(VALU_DEP_1)
	v_subrev_nc_u32_e32 v7, 28, v6
	v_lshlrev_b64_e32 v[8:9], v7, v[80:81]
	s_delay_alu instid0(VALU_DEP_1)
	v_dual_sub_nc_u32 v6, 29, v6 :: v_dual_bitop2_b32 v80, 7, v8 bitop3:0x40
; %bb.1351:                             ;   in Loop: Header=BB210_1005 Depth=1
	s_or_b32 exec_lo, exec_lo, s15
	v_lshlrev_b32_e32 v7, 24, v12
	s_delay_alu instid0(VALU_DEP_2) | instskip(NEXT) | instid1(VALU_DEP_3)
	v_lshlrev_b32_e32 v8, 20, v80
	v_lshl_add_u32 v6, v6, 23, 0x3c000000
	s_delay_alu instid0(VALU_DEP_3) | instskip(NEXT) | instid1(VALU_DEP_1)
	v_and_b32_e32 v7, 0x80000000, v7
	v_or3_b32 v80, v8, v7, v6
	s_delay_alu instid0(VALU_DEP_1)
	v_mov_b64_e32 v[8:9], v[80:81]
.LBB210_1352:                           ;   in Loop: Header=BB210_1005 Depth=1
	s_or_b32 exec_lo, exec_lo, s14
.LBB210_1353:                           ;   in Loop: Header=BB210_1005 Depth=1
	s_delay_alu instid0(SALU_CYCLE_1)
	s_or_b32 exec_lo, exec_lo, s9
.LBB210_1354:                           ;   in Loop: Header=BB210_1005 Depth=1
	s_delay_alu instid0(SALU_CYCLE_1) | instskip(SKIP_2) | instid1(VALU_DEP_1)
	s_or_b32 exec_lo, exec_lo, s8
	v_lshrrev_b16 v6, 8, v12
	s_mov_b32 s8, exec_lo
	v_cmpx_ne_u16_e32 0, v6
	s_cbranch_execz .LBB210_1362
; %bb.1355:                             ;   in Loop: Header=BB210_1005 Depth=1
	v_mov_b64_e32 v[0:1], 0x8000000000000000
	s_mov_b32 s9, exec_lo
	v_cmpx_ne_u16_e32 0x80, v6
	s_cbranch_execz .LBB210_1361
; %bb.1356:                             ;   in Loop: Header=BB210_1005 Depth=1
	v_and_b32_e32 v7, 0xffff, v6
	v_mov_b64_e32 v[0:1], 0x7f80000100000000
	s_mov_b32 s14, exec_lo
	s_delay_alu instid0(VALU_DEP_2) | instskip(NEXT) | instid1(VALU_DEP_1)
	v_and_b32_e32 v6, 0x7f, v7
	v_cmpx_ne_u32_e32 0x7f, v6
	s_cbranch_execz .LBB210_1360
; %bb.1357:                             ;   in Loop: Header=BB210_1005 Depth=1
	v_dual_lshrrev_b32 v0, 3, v6 :: v_dual_bitop2_b32 v80, 7, v7 bitop3:0x40
	s_mov_b32 s15, exec_lo
	v_cmpx_gt_u32_e32 8, v6
; %bb.1358:                             ;   in Loop: Header=BB210_1005 Depth=1
	s_delay_alu instid0(VALU_DEP_2) | instskip(NEXT) | instid1(VALU_DEP_1)
	v_clz_i32_u32_e32 v0, v80
	v_min_u32_e32 v0, 32, v0
	s_delay_alu instid0(VALU_DEP_1) | instskip(NEXT) | instid1(VALU_DEP_1)
	v_subrev_nc_u32_e32 v1, 28, v0
	v_lshlrev_b64_e32 v[6:7], v1, v[80:81]
	s_delay_alu instid0(VALU_DEP_1)
	v_dual_sub_nc_u32 v0, 29, v0 :: v_dual_bitop2_b32 v80, 7, v6 bitop3:0x40
; %bb.1359:                             ;   in Loop: Header=BB210_1005 Depth=1
	s_or_b32 exec_lo, exec_lo, s15
	v_lshlrev_b32_e32 v1, 16, v12
	s_delay_alu instid0(VALU_DEP_2) | instskip(NEXT) | instid1(VALU_DEP_3)
	v_lshlrev_b32_e32 v6, 20, v80
	v_lshl_add_u32 v0, v0, 23, 0x3c000000
	s_delay_alu instid0(VALU_DEP_3) | instskip(NEXT) | instid1(VALU_DEP_1)
	v_and_b32_e32 v1, 0x80000000, v1
	v_or3_b32 v1, v6, v1, v0
	v_mov_b32_e32 v0, v81
.LBB210_1360:                           ;   in Loop: Header=BB210_1005 Depth=1
	s_or_b32 exec_lo, exec_lo, s14
.LBB210_1361:                           ;   in Loop: Header=BB210_1005 Depth=1
	s_delay_alu instid0(SALU_CYCLE_1)
	s_or_b32 exec_lo, exec_lo, s9
.LBB210_1362:                           ;   in Loop: Header=BB210_1005 Depth=1
	s_delay_alu instid0(SALU_CYCLE_1) | instskip(SKIP_4) | instid1(VALU_DEP_3)
	s_or_b32 exec_lo, exec_lo, s8
	v_lshrrev_b32_e32 v13, 16, v12
	v_mov_b64_e32 v[10:11], 0
	v_mov_b64_e32 v[6:7], 0
	s_mov_b32 s8, exec_lo
	v_and_b32_e32 v14, 0xff, v13
	s_delay_alu instid0(VALU_DEP_1)
	v_cmpx_ne_u16_e32 0, v14
	s_cbranch_execz .LBB210_1370
; %bb.1363:                             ;   in Loop: Header=BB210_1005 Depth=1
	v_mov_b64_e32 v[6:7], 0x80000000
	s_mov_b32 s9, exec_lo
	v_cmpx_ne_u16_e32 0x80, v14
	s_cbranch_execz .LBB210_1369
; %bb.1364:                             ;   in Loop: Header=BB210_1005 Depth=1
	v_mov_b64_e32 v[6:7], 0x7f800001
	v_bfe_u32 v14, v12, 16, 7
	s_mov_b32 s14, exec_lo
	s_delay_alu instid0(VALU_DEP_1)
	v_cmpx_ne_u32_e32 0x7f, v14
	s_cbranch_execz .LBB210_1368
; %bb.1365:                             ;   in Loop: Header=BB210_1005 Depth=1
	v_dual_lshrrev_b32 v6, 3, v14 :: v_dual_bitop2_b32 v80, 7, v13 bitop3:0x40
	s_mov_b32 s15, exec_lo
	v_cmpx_gt_u32_e32 8, v14
; %bb.1366:                             ;   in Loop: Header=BB210_1005 Depth=1
	s_delay_alu instid0(VALU_DEP_2) | instskip(NEXT) | instid1(VALU_DEP_1)
	v_clz_i32_u32_e32 v6, v80
	v_min_u32_e32 v6, 32, v6
	s_delay_alu instid0(VALU_DEP_1) | instskip(SKIP_1) | instid1(VALU_DEP_2)
	v_subrev_nc_u32_e32 v7, 28, v6
	v_sub_nc_u32_e32 v6, 29, v6
	v_lshlrev_b64_e32 v[14:15], v7, v[80:81]
	s_delay_alu instid0(VALU_DEP_1)
	v_and_b32_e32 v80, 7, v14
; %bb.1367:                             ;   in Loop: Header=BB210_1005 Depth=1
	s_or_b32 exec_lo, exec_lo, s15
	s_delay_alu instid0(VALU_DEP_1) | instskip(SKIP_1) | instid1(VALU_DEP_2)
	v_dual_lshlrev_b32 v7, 24, v13 :: v_dual_lshlrev_b32 v13, 20, v80
	v_lshl_add_u32 v6, v6, 23, 0x3c000000
	v_and_b32_e32 v7, 0x80000000, v7
	s_delay_alu instid0(VALU_DEP_1) | instskip(NEXT) | instid1(VALU_DEP_1)
	v_or3_b32 v80, v13, v7, v6
	v_mov_b64_e32 v[6:7], v[80:81]
.LBB210_1368:                           ;   in Loop: Header=BB210_1005 Depth=1
	s_or_b32 exec_lo, exec_lo, s14
.LBB210_1369:                           ;   in Loop: Header=BB210_1005 Depth=1
	s_delay_alu instid0(SALU_CYCLE_1)
	s_or_b32 exec_lo, exec_lo, s9
.LBB210_1370:                           ;   in Loop: Header=BB210_1005 Depth=1
	s_delay_alu instid0(SALU_CYCLE_1) | instskip(NEXT) | instid1(SALU_CYCLE_1)
	s_or_b32 exec_lo, exec_lo, s8
	s_mov_b32 s8, exec_lo
	v_cmpx_lt_u32_e32 0xffffff, v12
	s_cbranch_execz .LBB210_1378
; %bb.1371:                             ;   in Loop: Header=BB210_1005 Depth=1
	v_mov_b64_e32 v[10:11], 0x8000000000000000
	v_lshrrev_b32_e32 v13, 24, v12
	s_mov_b32 s9, exec_lo
	s_delay_alu instid0(VALU_DEP_1)
	v_cmpx_ne_u32_e32 0x80, v13
	s_cbranch_execz .LBB210_1377
; %bb.1372:                             ;   in Loop: Header=BB210_1005 Depth=1
	v_mov_b64_e32 v[10:11], 0x7f80000100000000
	v_bfe_u32 v12, v12, 24, 7
	s_mov_b32 s14, exec_lo
	s_delay_alu instid0(VALU_DEP_1)
	v_cmpx_ne_u32_e32 0x7f, v12
	s_cbranch_execz .LBB210_1376
; %bb.1373:                             ;   in Loop: Header=BB210_1005 Depth=1
	v_dual_lshrrev_b32 v10, 3, v12 :: v_dual_bitop2_b32 v80, 7, v13 bitop3:0x40
	s_mov_b32 s15, exec_lo
	v_cmpx_gt_u32_e32 8, v12
; %bb.1374:                             ;   in Loop: Header=BB210_1005 Depth=1
	s_delay_alu instid0(VALU_DEP_2) | instskip(NEXT) | instid1(VALU_DEP_1)
	v_clz_i32_u32_e32 v10, v80
	v_min_u32_e32 v10, 32, v10
	s_delay_alu instid0(VALU_DEP_1) | instskip(SKIP_1) | instid1(VALU_DEP_2)
	v_subrev_nc_u32_e32 v11, 28, v10
	v_sub_nc_u32_e32 v10, 29, v10
	v_lshlrev_b64_e32 v[14:15], v11, v[80:81]
	s_delay_alu instid0(VALU_DEP_1)
	v_and_b32_e32 v80, 7, v14
; %bb.1375:                             ;   in Loop: Header=BB210_1005 Depth=1
	s_or_b32 exec_lo, exec_lo, s15
	s_delay_alu instid0(VALU_DEP_1) | instskip(SKIP_1) | instid1(VALU_DEP_2)
	v_dual_lshlrev_b32 v11, 24, v13 :: v_dual_lshlrev_b32 v12, 20, v80
	v_lshl_add_u32 v10, v10, 23, 0x3c000000
	v_and_b32_e32 v11, 0x80000000, v11
	s_delay_alu instid0(VALU_DEP_1)
	v_or3_b32 v11, v12, v11, v10
	v_mov_b32_e32 v10, v81
.LBB210_1376:                           ;   in Loop: Header=BB210_1005 Depth=1
	s_or_b32 exec_lo, exec_lo, s14
.LBB210_1377:                           ;   in Loop: Header=BB210_1005 Depth=1
	s_delay_alu instid0(SALU_CYCLE_1)
	s_or_b32 exec_lo, exec_lo, s9
.LBB210_1378:                           ;   in Loop: Header=BB210_1005 Depth=1
	s_delay_alu instid0(SALU_CYCLE_1) | instskip(SKIP_4) | instid1(VALU_DEP_3)
	s_or_b32 exec_lo, exec_lo, s8
	v_or_b32_e32 v1, v1, v9
	v_or_b32_e32 v0, v0, v8
	;; [unrolled: 1-line block ×4, first 2 shown]
	v_pk_mul_f32 v[60:61], v[68:69], v[0:1]
	s_delay_alu instid0(VALU_DEP_2)
	v_pk_mul_f32 v[22:23], v[68:69], v[6:7]
	s_and_saveexec_b32 s8, vcc_lo
	s_cbranch_execz .LBB210_1380
; %bb.1379:                             ;   in Loop: Header=BB210_1005 Depth=1
	scratch_load_b64 v[0:1], off, s32 offset:192 ; 8-byte Folded Reload
	s_wait_loadcnt 0x0
	v_cmp_lt_i32_e64 s0, v87, v0
	s_delay_alu instid0(VALU_DEP_1) | instskip(SKIP_1) | instid1(VALU_DEP_1)
	v_cndmask_b32_e64 v60, 0, v60, s0
	v_cmp_lt_i32_e64 s0, v96, v0
	v_cndmask_b32_e64 v61, 0, v61, s0
	v_cmp_lt_i32_e64 s0, v98, v0
	s_delay_alu instid0(VALU_DEP_1) | instskip(SKIP_1) | instid1(VALU_DEP_1)
	v_cndmask_b32_e64 v22, 0, v22, s0
	v_cmp_lt_i32_e64 s0, v97, v0
	v_cndmask_b32_e64 v23, 0, v23, s0
.LBB210_1380:                           ;   in Loop: Header=BB210_1005 Depth=1
	s_wait_xcnt 0x0
	s_or_b32 exec_lo, exec_lo, s8
	flat_load_b32 v6, v[82:83] offset:1408
	v_mov_b64_e32 v[0:1], 0
	v_mov_b64_e32 v[8:9], 0
	s_mov_b32 s8, exec_lo
	s_wait_loadcnt_dscnt 0x0
	v_and_b32_e32 v7, 0xff, v6
	s_wait_xcnt 0x0
	s_delay_alu instid0(VALU_DEP_1)
	v_cmpx_ne_u16_e32 0, v7
	s_cbranch_execz .LBB210_1388
; %bb.1381:                             ;   in Loop: Header=BB210_1005 Depth=1
	v_mov_b64_e32 v[8:9], 0x80000000
	s_mov_b32 s9, exec_lo
	v_cmpx_ne_u16_e32 0x80, v7
	s_cbranch_execz .LBB210_1387
; %bb.1382:                             ;   in Loop: Header=BB210_1005 Depth=1
	v_mov_b64_e32 v[8:9], 0x7f800001
	v_and_b32_e32 v10, 0x7f, v6
	s_mov_b32 s14, exec_lo
	s_delay_alu instid0(VALU_DEP_1)
	v_cmpx_ne_u32_e32 0x7f, v10
	s_cbranch_execz .LBB210_1386
; %bb.1383:                             ;   in Loop: Header=BB210_1005 Depth=1
	v_and_b32_e32 v80, 7, v6
	v_lshrrev_b32_e32 v7, 3, v10
	s_mov_b32 s15, exec_lo
	v_cmpx_gt_u32_e32 8, v10
; %bb.1384:                             ;   in Loop: Header=BB210_1005 Depth=1
	s_delay_alu instid0(VALU_DEP_3) | instskip(NEXT) | instid1(VALU_DEP_1)
	v_clz_i32_u32_e32 v7, v80
	v_min_u32_e32 v7, 32, v7
	s_delay_alu instid0(VALU_DEP_1) | instskip(NEXT) | instid1(VALU_DEP_1)
	v_subrev_nc_u32_e32 v8, 28, v7
	v_lshlrev_b64_e32 v[8:9], v8, v[80:81]
	s_delay_alu instid0(VALU_DEP_1)
	v_dual_sub_nc_u32 v7, 29, v7 :: v_dual_bitop2_b32 v80, 7, v8 bitop3:0x40
; %bb.1385:                             ;   in Loop: Header=BB210_1005 Depth=1
	s_or_b32 exec_lo, exec_lo, s15
	s_delay_alu instid0(VALU_DEP_1) | instskip(NEXT) | instid1(VALU_DEP_2)
	v_dual_lshlrev_b32 v8, 24, v6 :: v_dual_lshlrev_b32 v9, 20, v80
	v_lshl_add_u32 v7, v7, 23, 0x3c000000
	s_delay_alu instid0(VALU_DEP_2) | instskip(NEXT) | instid1(VALU_DEP_1)
	v_and_b32_e32 v8, 0x80000000, v8
	v_or3_b32 v80, v9, v8, v7
	s_delay_alu instid0(VALU_DEP_1)
	v_mov_b64_e32 v[8:9], v[80:81]
.LBB210_1386:                           ;   in Loop: Header=BB210_1005 Depth=1
	s_or_b32 exec_lo, exec_lo, s14
.LBB210_1387:                           ;   in Loop: Header=BB210_1005 Depth=1
	s_delay_alu instid0(SALU_CYCLE_1)
	s_or_b32 exec_lo, exec_lo, s9
.LBB210_1388:                           ;   in Loop: Header=BB210_1005 Depth=1
	s_delay_alu instid0(SALU_CYCLE_1) | instskip(SKIP_2) | instid1(VALU_DEP_1)
	s_or_b32 exec_lo, exec_lo, s8
	v_lshrrev_b16 v7, 8, v6
	s_mov_b32 s8, exec_lo
	v_cmpx_ne_u16_e32 0, v7
	s_cbranch_execz .LBB210_1396
; %bb.1389:                             ;   in Loop: Header=BB210_1005 Depth=1
	v_mov_b64_e32 v[0:1], 0x8000000000000000
	s_mov_b32 s9, exec_lo
	v_cmpx_ne_u16_e32 0x80, v7
	s_cbranch_execz .LBB210_1395
; %bb.1390:                             ;   in Loop: Header=BB210_1005 Depth=1
	v_and_b32_e32 v10, 0xffff, v7
	v_mov_b64_e32 v[0:1], 0x7f80000100000000
	s_mov_b32 s14, exec_lo
	s_delay_alu instid0(VALU_DEP_2) | instskip(NEXT) | instid1(VALU_DEP_1)
	v_and_b32_e32 v7, 0x7f, v10
	v_cmpx_ne_u32_e32 0x7f, v7
	s_cbranch_execz .LBB210_1394
; %bb.1391:                             ;   in Loop: Header=BB210_1005 Depth=1
	v_dual_lshrrev_b32 v0, 3, v7 :: v_dual_bitop2_b32 v80, 7, v10 bitop3:0x40
	s_mov_b32 s15, exec_lo
	v_cmpx_gt_u32_e32 8, v7
; %bb.1392:                             ;   in Loop: Header=BB210_1005 Depth=1
	s_delay_alu instid0(VALU_DEP_2) | instskip(NEXT) | instid1(VALU_DEP_1)
	v_clz_i32_u32_e32 v0, v80
	v_min_u32_e32 v0, 32, v0
	s_delay_alu instid0(VALU_DEP_1) | instskip(NEXT) | instid1(VALU_DEP_1)
	v_subrev_nc_u32_e32 v1, 28, v0
	v_lshlrev_b64_e32 v[10:11], v1, v[80:81]
	s_delay_alu instid0(VALU_DEP_1)
	v_dual_sub_nc_u32 v0, 29, v0 :: v_dual_bitop2_b32 v80, 7, v10 bitop3:0x40
; %bb.1393:                             ;   in Loop: Header=BB210_1005 Depth=1
	s_or_b32 exec_lo, exec_lo, s15
	s_delay_alu instid0(VALU_DEP_1) | instskip(NEXT) | instid1(VALU_DEP_2)
	v_dual_lshlrev_b32 v1, 16, v6 :: v_dual_lshlrev_b32 v7, 20, v80
	v_lshl_add_u32 v0, v0, 23, 0x3c000000
	s_delay_alu instid0(VALU_DEP_2) | instskip(NEXT) | instid1(VALU_DEP_1)
	v_and_b32_e32 v1, 0x80000000, v1
	v_or3_b32 v1, v7, v1, v0
	v_mov_b32_e32 v0, v81
.LBB210_1394:                           ;   in Loop: Header=BB210_1005 Depth=1
	s_or_b32 exec_lo, exec_lo, s14
.LBB210_1395:                           ;   in Loop: Header=BB210_1005 Depth=1
	s_delay_alu instid0(SALU_CYCLE_1)
	s_or_b32 exec_lo, exec_lo, s9
.LBB210_1396:                           ;   in Loop: Header=BB210_1005 Depth=1
	s_delay_alu instid0(SALU_CYCLE_1) | instskip(SKIP_4) | instid1(VALU_DEP_3)
	s_or_b32 exec_lo, exec_lo, s8
	v_lshrrev_b32_e32 v7, 16, v6
	v_mov_b64_e32 v[10:11], 0
	v_mov_b64_e32 v[12:13], 0
	s_mov_b32 s8, exec_lo
	v_and_b32_e32 v14, 0xff, v7
	s_delay_alu instid0(VALU_DEP_1)
	v_cmpx_ne_u16_e32 0, v14
	s_cbranch_execz .LBB210_1404
; %bb.1397:                             ;   in Loop: Header=BB210_1005 Depth=1
	v_mov_b64_e32 v[12:13], 0x80000000
	s_mov_b32 s9, exec_lo
	v_cmpx_ne_u16_e32 0x80, v14
	s_cbranch_execz .LBB210_1403
; %bb.1398:                             ;   in Loop: Header=BB210_1005 Depth=1
	v_mov_b64_e32 v[12:13], 0x7f800001
	v_bfe_u32 v14, v6, 16, 7
	s_mov_b32 s14, exec_lo
	s_delay_alu instid0(VALU_DEP_1)
	v_cmpx_ne_u32_e32 0x7f, v14
	s_cbranch_execz .LBB210_1402
; %bb.1399:                             ;   in Loop: Header=BB210_1005 Depth=1
	v_dual_lshrrev_b32 v12, 3, v14 :: v_dual_bitop2_b32 v80, 7, v7 bitop3:0x40
	s_mov_b32 s15, exec_lo
	v_cmpx_gt_u32_e32 8, v14
; %bb.1400:                             ;   in Loop: Header=BB210_1005 Depth=1
	s_delay_alu instid0(VALU_DEP_2) | instskip(NEXT) | instid1(VALU_DEP_1)
	v_clz_i32_u32_e32 v12, v80
	v_min_u32_e32 v12, 32, v12
	s_delay_alu instid0(VALU_DEP_1) | instskip(NEXT) | instid1(VALU_DEP_1)
	v_subrev_nc_u32_e32 v13, 28, v12
	v_lshlrev_b64_e32 v[14:15], v13, v[80:81]
	s_delay_alu instid0(VALU_DEP_1)
	v_dual_sub_nc_u32 v12, 29, v12 :: v_dual_bitop2_b32 v80, 7, v14 bitop3:0x40
; %bb.1401:                             ;   in Loop: Header=BB210_1005 Depth=1
	s_or_b32 exec_lo, exec_lo, s15
	s_delay_alu instid0(VALU_DEP_1) | instskip(NEXT) | instid1(VALU_DEP_2)
	v_dual_lshlrev_b32 v7, 24, v7 :: v_dual_lshlrev_b32 v13, 20, v80
	v_lshl_add_u32 v12, v12, 23, 0x3c000000
	s_delay_alu instid0(VALU_DEP_2) | instskip(NEXT) | instid1(VALU_DEP_1)
	v_and_b32_e32 v7, 0x80000000, v7
	v_or3_b32 v80, v13, v7, v12
	s_delay_alu instid0(VALU_DEP_1)
	v_mov_b64_e32 v[12:13], v[80:81]
.LBB210_1402:                           ;   in Loop: Header=BB210_1005 Depth=1
	s_or_b32 exec_lo, exec_lo, s14
.LBB210_1403:                           ;   in Loop: Header=BB210_1005 Depth=1
	s_delay_alu instid0(SALU_CYCLE_1)
	s_or_b32 exec_lo, exec_lo, s9
.LBB210_1404:                           ;   in Loop: Header=BB210_1005 Depth=1
	s_delay_alu instid0(SALU_CYCLE_1) | instskip(NEXT) | instid1(SALU_CYCLE_1)
	s_or_b32 exec_lo, exec_lo, s8
	s_mov_b32 s8, exec_lo
	v_cmpx_lt_u32_e32 0xffffff, v6
	s_cbranch_execz .LBB210_1412
; %bb.1405:                             ;   in Loop: Header=BB210_1005 Depth=1
	v_mov_b64_e32 v[10:11], 0x8000000000000000
	v_lshrrev_b32_e32 v7, 24, v6
	s_mov_b32 s9, exec_lo
	s_delay_alu instid0(VALU_DEP_1)
	v_cmpx_ne_u32_e32 0x80, v7
	s_cbranch_execz .LBB210_1411
; %bb.1406:                             ;   in Loop: Header=BB210_1005 Depth=1
	v_mov_b64_e32 v[10:11], 0x7f80000100000000
	v_bfe_u32 v14, v6, 24, 7
	s_mov_b32 s14, exec_lo
	s_delay_alu instid0(VALU_DEP_1)
	v_cmpx_ne_u32_e32 0x7f, v14
	s_cbranch_execz .LBB210_1410
; %bb.1407:                             ;   in Loop: Header=BB210_1005 Depth=1
	v_dual_lshrrev_b32 v6, 3, v14 :: v_dual_bitop2_b32 v80, 7, v7 bitop3:0x40
	s_mov_b32 s15, exec_lo
	v_cmpx_gt_u32_e32 8, v14
; %bb.1408:                             ;   in Loop: Header=BB210_1005 Depth=1
	s_delay_alu instid0(VALU_DEP_2) | instskip(NEXT) | instid1(VALU_DEP_1)
	v_clz_i32_u32_e32 v6, v80
	v_min_u32_e32 v6, 32, v6
	s_delay_alu instid0(VALU_DEP_1) | instskip(SKIP_1) | instid1(VALU_DEP_2)
	v_subrev_nc_u32_e32 v10, 28, v6
	v_sub_nc_u32_e32 v6, 29, v6
	v_lshlrev_b64_e32 v[10:11], v10, v[80:81]
	s_delay_alu instid0(VALU_DEP_1)
	v_and_b32_e32 v80, 7, v10
; %bb.1409:                             ;   in Loop: Header=BB210_1005 Depth=1
	s_or_b32 exec_lo, exec_lo, s15
	s_delay_alu instid0(VALU_DEP_1) | instskip(SKIP_1) | instid1(VALU_DEP_2)
	v_dual_lshlrev_b32 v7, 24, v7 :: v_dual_lshlrev_b32 v10, 20, v80
	v_lshl_add_u32 v6, v6, 23, 0x3c000000
	v_and_b32_e32 v7, 0x80000000, v7
	s_delay_alu instid0(VALU_DEP_1)
	v_or3_b32 v11, v10, v7, v6
	v_mov_b32_e32 v10, v81
.LBB210_1410:                           ;   in Loop: Header=BB210_1005 Depth=1
	s_or_b32 exec_lo, exec_lo, s14
.LBB210_1411:                           ;   in Loop: Header=BB210_1005 Depth=1
	s_delay_alu instid0(SALU_CYCLE_1)
	s_or_b32 exec_lo, exec_lo, s9
.LBB210_1412:                           ;   in Loop: Header=BB210_1005 Depth=1
	s_delay_alu instid0(SALU_CYCLE_1) | instskip(SKIP_4) | instid1(VALU_DEP_3)
	s_or_b32 exec_lo, exec_lo, s8
	v_or_b32_e32 v1, v1, v9
	v_or_b32_e32 v0, v0, v8
	;; [unrolled: 1-line block ×4, first 2 shown]
	v_pk_mul_f32 v[72:73], v[68:69], v[0:1]
	s_delay_alu instid0(VALU_DEP_2)
	v_pk_mul_f32 v[62:63], v[68:69], v[6:7]
	s_and_saveexec_b32 s8, vcc_lo
	s_cbranch_execz .LBB210_1414
; %bb.1413:                             ;   in Loop: Header=BB210_1005 Depth=1
	scratch_load_b64 v[0:1], off, s32 offset:192 ; 8-byte Folded Reload
	s_wait_loadcnt 0x0
	v_cmp_lt_i32_e64 s0, v87, v0
	s_delay_alu instid0(VALU_DEP_1) | instskip(SKIP_1) | instid1(VALU_DEP_1)
	v_cndmask_b32_e64 v72, 0, v72, s0
	v_cmp_lt_i32_e64 s0, v96, v0
	v_cndmask_b32_e64 v73, 0, v73, s0
	v_cmp_lt_i32_e64 s0, v98, v0
	s_delay_alu instid0(VALU_DEP_1) | instskip(SKIP_1) | instid1(VALU_DEP_1)
	v_cndmask_b32_e64 v62, 0, v62, s0
	v_cmp_lt_i32_e64 s0, v97, v0
	v_cndmask_b32_e64 v63, 0, v63, s0
.LBB210_1414:                           ;   in Loop: Header=BB210_1005 Depth=1
	s_wait_xcnt 0x0
	s_or_b32 exec_lo, exec_lo, s8
	flat_load_b32 v6, v[82:83] offset:1536
	v_mov_b64_e32 v[0:1], 0
	v_mov_b64_e32 v[8:9], 0
	s_mov_b32 s8, exec_lo
	s_wait_loadcnt_dscnt 0x0
	v_and_b32_e32 v7, 0xff, v6
	s_wait_xcnt 0x0
	s_delay_alu instid0(VALU_DEP_1)
	v_cmpx_ne_u16_e32 0, v7
	s_cbranch_execz .LBB210_1422
; %bb.1415:                             ;   in Loop: Header=BB210_1005 Depth=1
	v_mov_b64_e32 v[8:9], 0x80000000
	s_mov_b32 s9, exec_lo
	v_cmpx_ne_u16_e32 0x80, v7
	s_cbranch_execz .LBB210_1421
; %bb.1416:                             ;   in Loop: Header=BB210_1005 Depth=1
	v_mov_b64_e32 v[8:9], 0x7f800001
	v_and_b32_e32 v10, 0x7f, v6
	s_mov_b32 s14, exec_lo
	s_delay_alu instid0(VALU_DEP_1)
	v_cmpx_ne_u32_e32 0x7f, v10
	s_cbranch_execz .LBB210_1420
; %bb.1417:                             ;   in Loop: Header=BB210_1005 Depth=1
	v_and_b32_e32 v80, 7, v6
	v_lshrrev_b32_e32 v7, 3, v10
	s_mov_b32 s15, exec_lo
	v_cmpx_gt_u32_e32 8, v10
; %bb.1418:                             ;   in Loop: Header=BB210_1005 Depth=1
	s_delay_alu instid0(VALU_DEP_3) | instskip(NEXT) | instid1(VALU_DEP_1)
	v_clz_i32_u32_e32 v7, v80
	v_min_u32_e32 v7, 32, v7
	s_delay_alu instid0(VALU_DEP_1) | instskip(NEXT) | instid1(VALU_DEP_1)
	v_subrev_nc_u32_e32 v8, 28, v7
	v_lshlrev_b64_e32 v[8:9], v8, v[80:81]
	s_delay_alu instid0(VALU_DEP_1)
	v_dual_sub_nc_u32 v7, 29, v7 :: v_dual_bitop2_b32 v80, 7, v8 bitop3:0x40
; %bb.1419:                             ;   in Loop: Header=BB210_1005 Depth=1
	s_or_b32 exec_lo, exec_lo, s15
	s_delay_alu instid0(VALU_DEP_1) | instskip(NEXT) | instid1(VALU_DEP_2)
	v_dual_lshlrev_b32 v8, 24, v6 :: v_dual_lshlrev_b32 v9, 20, v80
	v_lshl_add_u32 v7, v7, 23, 0x3c000000
	s_delay_alu instid0(VALU_DEP_2) | instskip(NEXT) | instid1(VALU_DEP_1)
	v_and_b32_e32 v8, 0x80000000, v8
	v_or3_b32 v80, v9, v8, v7
	s_delay_alu instid0(VALU_DEP_1)
	v_mov_b64_e32 v[8:9], v[80:81]
.LBB210_1420:                           ;   in Loop: Header=BB210_1005 Depth=1
	s_or_b32 exec_lo, exec_lo, s14
.LBB210_1421:                           ;   in Loop: Header=BB210_1005 Depth=1
	s_delay_alu instid0(SALU_CYCLE_1)
	s_or_b32 exec_lo, exec_lo, s9
.LBB210_1422:                           ;   in Loop: Header=BB210_1005 Depth=1
	s_delay_alu instid0(SALU_CYCLE_1) | instskip(SKIP_2) | instid1(VALU_DEP_1)
	s_or_b32 exec_lo, exec_lo, s8
	v_lshrrev_b16 v7, 8, v6
	s_mov_b32 s8, exec_lo
	v_cmpx_ne_u16_e32 0, v7
	s_cbranch_execz .LBB210_1430
; %bb.1423:                             ;   in Loop: Header=BB210_1005 Depth=1
	v_mov_b64_e32 v[0:1], 0x8000000000000000
	s_mov_b32 s9, exec_lo
	v_cmpx_ne_u16_e32 0x80, v7
	s_cbranch_execz .LBB210_1429
; %bb.1424:                             ;   in Loop: Header=BB210_1005 Depth=1
	v_and_b32_e32 v10, 0xffff, v7
	v_mov_b64_e32 v[0:1], 0x7f80000100000000
	s_mov_b32 s14, exec_lo
	s_delay_alu instid0(VALU_DEP_2) | instskip(NEXT) | instid1(VALU_DEP_1)
	v_and_b32_e32 v7, 0x7f, v10
	v_cmpx_ne_u32_e32 0x7f, v7
	s_cbranch_execz .LBB210_1428
; %bb.1425:                             ;   in Loop: Header=BB210_1005 Depth=1
	v_dual_lshrrev_b32 v0, 3, v7 :: v_dual_bitop2_b32 v80, 7, v10 bitop3:0x40
	s_mov_b32 s15, exec_lo
	v_cmpx_gt_u32_e32 8, v7
; %bb.1426:                             ;   in Loop: Header=BB210_1005 Depth=1
	s_delay_alu instid0(VALU_DEP_2) | instskip(NEXT) | instid1(VALU_DEP_1)
	v_clz_i32_u32_e32 v0, v80
	v_min_u32_e32 v0, 32, v0
	s_delay_alu instid0(VALU_DEP_1) | instskip(NEXT) | instid1(VALU_DEP_1)
	v_subrev_nc_u32_e32 v1, 28, v0
	v_lshlrev_b64_e32 v[10:11], v1, v[80:81]
	s_delay_alu instid0(VALU_DEP_1)
	v_dual_sub_nc_u32 v0, 29, v0 :: v_dual_bitop2_b32 v80, 7, v10 bitop3:0x40
; %bb.1427:                             ;   in Loop: Header=BB210_1005 Depth=1
	s_or_b32 exec_lo, exec_lo, s15
	s_delay_alu instid0(VALU_DEP_1) | instskip(NEXT) | instid1(VALU_DEP_2)
	v_dual_lshlrev_b32 v1, 16, v6 :: v_dual_lshlrev_b32 v7, 20, v80
	v_lshl_add_u32 v0, v0, 23, 0x3c000000
	s_delay_alu instid0(VALU_DEP_2) | instskip(NEXT) | instid1(VALU_DEP_1)
	v_and_b32_e32 v1, 0x80000000, v1
	v_or3_b32 v1, v7, v1, v0
	v_mov_b32_e32 v0, v81
.LBB210_1428:                           ;   in Loop: Header=BB210_1005 Depth=1
	s_or_b32 exec_lo, exec_lo, s14
.LBB210_1429:                           ;   in Loop: Header=BB210_1005 Depth=1
	s_delay_alu instid0(SALU_CYCLE_1)
	s_or_b32 exec_lo, exec_lo, s9
.LBB210_1430:                           ;   in Loop: Header=BB210_1005 Depth=1
	s_delay_alu instid0(SALU_CYCLE_1) | instskip(SKIP_4) | instid1(VALU_DEP_3)
	s_or_b32 exec_lo, exec_lo, s8
	v_lshrrev_b32_e32 v7, 16, v6
	v_mov_b64_e32 v[10:11], 0
	v_mov_b64_e32 v[12:13], 0
	s_mov_b32 s8, exec_lo
	v_and_b32_e32 v14, 0xff, v7
	s_delay_alu instid0(VALU_DEP_1)
	v_cmpx_ne_u16_e32 0, v14
	s_cbranch_execz .LBB210_1438
; %bb.1431:                             ;   in Loop: Header=BB210_1005 Depth=1
	v_mov_b64_e32 v[12:13], 0x80000000
	s_mov_b32 s9, exec_lo
	v_cmpx_ne_u16_e32 0x80, v14
	s_cbranch_execz .LBB210_1437
; %bb.1432:                             ;   in Loop: Header=BB210_1005 Depth=1
	v_mov_b64_e32 v[12:13], 0x7f800001
	v_bfe_u32 v14, v6, 16, 7
	s_mov_b32 s14, exec_lo
	s_delay_alu instid0(VALU_DEP_1)
	v_cmpx_ne_u32_e32 0x7f, v14
	s_cbranch_execz .LBB210_1436
; %bb.1433:                             ;   in Loop: Header=BB210_1005 Depth=1
	v_dual_lshrrev_b32 v12, 3, v14 :: v_dual_bitop2_b32 v80, 7, v7 bitop3:0x40
	s_mov_b32 s15, exec_lo
	v_cmpx_gt_u32_e32 8, v14
; %bb.1434:                             ;   in Loop: Header=BB210_1005 Depth=1
	s_delay_alu instid0(VALU_DEP_2) | instskip(NEXT) | instid1(VALU_DEP_1)
	v_clz_i32_u32_e32 v12, v80
	v_min_u32_e32 v12, 32, v12
	s_delay_alu instid0(VALU_DEP_1) | instskip(NEXT) | instid1(VALU_DEP_1)
	v_subrev_nc_u32_e32 v13, 28, v12
	v_lshlrev_b64_e32 v[14:15], v13, v[80:81]
	s_delay_alu instid0(VALU_DEP_1)
	v_dual_sub_nc_u32 v12, 29, v12 :: v_dual_bitop2_b32 v80, 7, v14 bitop3:0x40
; %bb.1435:                             ;   in Loop: Header=BB210_1005 Depth=1
	s_or_b32 exec_lo, exec_lo, s15
	s_delay_alu instid0(VALU_DEP_1) | instskip(NEXT) | instid1(VALU_DEP_2)
	v_dual_lshlrev_b32 v7, 24, v7 :: v_dual_lshlrev_b32 v13, 20, v80
	v_lshl_add_u32 v12, v12, 23, 0x3c000000
	s_delay_alu instid0(VALU_DEP_2) | instskip(NEXT) | instid1(VALU_DEP_1)
	v_and_b32_e32 v7, 0x80000000, v7
	v_or3_b32 v80, v13, v7, v12
	s_delay_alu instid0(VALU_DEP_1)
	v_mov_b64_e32 v[12:13], v[80:81]
.LBB210_1436:                           ;   in Loop: Header=BB210_1005 Depth=1
	s_or_b32 exec_lo, exec_lo, s14
.LBB210_1437:                           ;   in Loop: Header=BB210_1005 Depth=1
	s_delay_alu instid0(SALU_CYCLE_1)
	s_or_b32 exec_lo, exec_lo, s9
.LBB210_1438:                           ;   in Loop: Header=BB210_1005 Depth=1
	s_delay_alu instid0(SALU_CYCLE_1) | instskip(NEXT) | instid1(SALU_CYCLE_1)
	s_or_b32 exec_lo, exec_lo, s8
	s_mov_b32 s8, exec_lo
	v_cmpx_lt_u32_e32 0xffffff, v6
	s_cbranch_execz .LBB210_1446
; %bb.1439:                             ;   in Loop: Header=BB210_1005 Depth=1
	v_mov_b64_e32 v[10:11], 0x8000000000000000
	v_lshrrev_b32_e32 v7, 24, v6
	s_mov_b32 s9, exec_lo
	s_delay_alu instid0(VALU_DEP_1)
	v_cmpx_ne_u32_e32 0x80, v7
	s_cbranch_execz .LBB210_1445
; %bb.1440:                             ;   in Loop: Header=BB210_1005 Depth=1
	v_mov_b64_e32 v[10:11], 0x7f80000100000000
	v_bfe_u32 v14, v6, 24, 7
	s_mov_b32 s14, exec_lo
	s_delay_alu instid0(VALU_DEP_1)
	v_cmpx_ne_u32_e32 0x7f, v14
	s_cbranch_execz .LBB210_1444
; %bb.1441:                             ;   in Loop: Header=BB210_1005 Depth=1
	v_dual_lshrrev_b32 v6, 3, v14 :: v_dual_bitop2_b32 v80, 7, v7 bitop3:0x40
	s_mov_b32 s15, exec_lo
	v_cmpx_gt_u32_e32 8, v14
; %bb.1442:                             ;   in Loop: Header=BB210_1005 Depth=1
	s_delay_alu instid0(VALU_DEP_2) | instskip(NEXT) | instid1(VALU_DEP_1)
	v_clz_i32_u32_e32 v6, v80
	v_min_u32_e32 v6, 32, v6
	s_delay_alu instid0(VALU_DEP_1) | instskip(SKIP_1) | instid1(VALU_DEP_2)
	v_subrev_nc_u32_e32 v10, 28, v6
	v_sub_nc_u32_e32 v6, 29, v6
	v_lshlrev_b64_e32 v[10:11], v10, v[80:81]
	s_delay_alu instid0(VALU_DEP_1)
	v_and_b32_e32 v80, 7, v10
; %bb.1443:                             ;   in Loop: Header=BB210_1005 Depth=1
	s_or_b32 exec_lo, exec_lo, s15
	s_delay_alu instid0(VALU_DEP_1) | instskip(SKIP_1) | instid1(VALU_DEP_2)
	v_dual_lshlrev_b32 v7, 24, v7 :: v_dual_lshlrev_b32 v10, 20, v80
	v_lshl_add_u32 v6, v6, 23, 0x3c000000
	v_and_b32_e32 v7, 0x80000000, v7
	s_delay_alu instid0(VALU_DEP_1)
	v_or3_b32 v11, v10, v7, v6
	v_mov_b32_e32 v10, v81
.LBB210_1444:                           ;   in Loop: Header=BB210_1005 Depth=1
	s_or_b32 exec_lo, exec_lo, s14
.LBB210_1445:                           ;   in Loop: Header=BB210_1005 Depth=1
	s_delay_alu instid0(SALU_CYCLE_1)
	s_or_b32 exec_lo, exec_lo, s9
.LBB210_1446:                           ;   in Loop: Header=BB210_1005 Depth=1
	s_delay_alu instid0(SALU_CYCLE_1) | instskip(SKIP_4) | instid1(VALU_DEP_3)
	s_or_b32 exec_lo, exec_lo, s8
	v_or_b32_e32 v1, v1, v9
	v_or_b32_e32 v0, v0, v8
	;; [unrolled: 1-line block ×4, first 2 shown]
	v_pk_mul_f32 v[76:77], v[68:69], v[0:1]
	s_delay_alu instid0(VALU_DEP_2)
	v_pk_mul_f32 v[74:75], v[68:69], v[6:7]
	s_and_saveexec_b32 s8, vcc_lo
	s_cbranch_execz .LBB210_1448
; %bb.1447:                             ;   in Loop: Header=BB210_1005 Depth=1
	scratch_load_b64 v[0:1], off, s32 offset:192 ; 8-byte Folded Reload
	s_wait_loadcnt 0x0
	v_cmp_lt_i32_e64 s0, v87, v0
	s_delay_alu instid0(VALU_DEP_1) | instskip(SKIP_1) | instid1(VALU_DEP_1)
	v_cndmask_b32_e64 v76, 0, v76, s0
	v_cmp_lt_i32_e64 s0, v96, v0
	v_cndmask_b32_e64 v77, 0, v77, s0
	v_cmp_lt_i32_e64 s0, v98, v0
	s_delay_alu instid0(VALU_DEP_1) | instskip(SKIP_1) | instid1(VALU_DEP_1)
	v_cndmask_b32_e64 v74, 0, v74, s0
	v_cmp_lt_i32_e64 s0, v97, v0
	v_cndmask_b32_e64 v75, 0, v75, s0
.LBB210_1448:                           ;   in Loop: Header=BB210_1005 Depth=1
	s_wait_xcnt 0x0
	s_or_b32 exec_lo, exec_lo, s8
	flat_load_b32 v6, v[82:83] offset:1664
	v_mov_b64_e32 v[0:1], 0
	v_mov_b64_e32 v[8:9], 0
	s_mov_b32 s8, exec_lo
	s_wait_loadcnt_dscnt 0x0
	v_and_b32_e32 v7, 0xff, v6
	s_wait_xcnt 0x0
	s_delay_alu instid0(VALU_DEP_1)
	v_cmpx_ne_u16_e32 0, v7
	s_cbranch_execz .LBB210_1456
; %bb.1449:                             ;   in Loop: Header=BB210_1005 Depth=1
	v_mov_b64_e32 v[8:9], 0x80000000
	s_mov_b32 s9, exec_lo
	v_cmpx_ne_u16_e32 0x80, v7
	s_cbranch_execz .LBB210_1455
; %bb.1450:                             ;   in Loop: Header=BB210_1005 Depth=1
	v_mov_b64_e32 v[8:9], 0x7f800001
	v_and_b32_e32 v10, 0x7f, v6
	s_mov_b32 s14, exec_lo
	s_delay_alu instid0(VALU_DEP_1)
	v_cmpx_ne_u32_e32 0x7f, v10
	s_cbranch_execz .LBB210_1454
; %bb.1451:                             ;   in Loop: Header=BB210_1005 Depth=1
	v_and_b32_e32 v80, 7, v6
	v_lshrrev_b32_e32 v7, 3, v10
	s_mov_b32 s15, exec_lo
	v_cmpx_gt_u32_e32 8, v10
; %bb.1452:                             ;   in Loop: Header=BB210_1005 Depth=1
	s_delay_alu instid0(VALU_DEP_3) | instskip(NEXT) | instid1(VALU_DEP_1)
	v_clz_i32_u32_e32 v7, v80
	v_min_u32_e32 v7, 32, v7
	s_delay_alu instid0(VALU_DEP_1) | instskip(NEXT) | instid1(VALU_DEP_1)
	v_subrev_nc_u32_e32 v8, 28, v7
	v_lshlrev_b64_e32 v[8:9], v8, v[80:81]
	s_delay_alu instid0(VALU_DEP_1)
	v_dual_sub_nc_u32 v7, 29, v7 :: v_dual_bitop2_b32 v80, 7, v8 bitop3:0x40
; %bb.1453:                             ;   in Loop: Header=BB210_1005 Depth=1
	s_or_b32 exec_lo, exec_lo, s15
	s_delay_alu instid0(VALU_DEP_1) | instskip(NEXT) | instid1(VALU_DEP_2)
	v_dual_lshlrev_b32 v8, 24, v6 :: v_dual_lshlrev_b32 v9, 20, v80
	v_lshl_add_u32 v7, v7, 23, 0x3c000000
	s_delay_alu instid0(VALU_DEP_2) | instskip(NEXT) | instid1(VALU_DEP_1)
	v_and_b32_e32 v8, 0x80000000, v8
	v_or3_b32 v80, v9, v8, v7
	s_delay_alu instid0(VALU_DEP_1)
	v_mov_b64_e32 v[8:9], v[80:81]
.LBB210_1454:                           ;   in Loop: Header=BB210_1005 Depth=1
	s_or_b32 exec_lo, exec_lo, s14
.LBB210_1455:                           ;   in Loop: Header=BB210_1005 Depth=1
	s_delay_alu instid0(SALU_CYCLE_1)
	s_or_b32 exec_lo, exec_lo, s9
.LBB210_1456:                           ;   in Loop: Header=BB210_1005 Depth=1
	s_delay_alu instid0(SALU_CYCLE_1) | instskip(SKIP_2) | instid1(VALU_DEP_1)
	s_or_b32 exec_lo, exec_lo, s8
	v_lshrrev_b16 v7, 8, v6
	s_mov_b32 s8, exec_lo
	v_cmpx_ne_u16_e32 0, v7
	s_cbranch_execz .LBB210_1464
; %bb.1457:                             ;   in Loop: Header=BB210_1005 Depth=1
	v_mov_b64_e32 v[0:1], 0x8000000000000000
	s_mov_b32 s9, exec_lo
	v_cmpx_ne_u16_e32 0x80, v7
	s_cbranch_execz .LBB210_1463
; %bb.1458:                             ;   in Loop: Header=BB210_1005 Depth=1
	v_and_b32_e32 v10, 0xffff, v7
	v_mov_b64_e32 v[0:1], 0x7f80000100000000
	s_mov_b32 s14, exec_lo
	s_delay_alu instid0(VALU_DEP_2) | instskip(NEXT) | instid1(VALU_DEP_1)
	v_and_b32_e32 v7, 0x7f, v10
	v_cmpx_ne_u32_e32 0x7f, v7
	s_cbranch_execz .LBB210_1462
; %bb.1459:                             ;   in Loop: Header=BB210_1005 Depth=1
	v_dual_lshrrev_b32 v0, 3, v7 :: v_dual_bitop2_b32 v80, 7, v10 bitop3:0x40
	s_mov_b32 s15, exec_lo
	v_cmpx_gt_u32_e32 8, v7
; %bb.1460:                             ;   in Loop: Header=BB210_1005 Depth=1
	s_delay_alu instid0(VALU_DEP_2) | instskip(NEXT) | instid1(VALU_DEP_1)
	v_clz_i32_u32_e32 v0, v80
	v_min_u32_e32 v0, 32, v0
	s_delay_alu instid0(VALU_DEP_1) | instskip(NEXT) | instid1(VALU_DEP_1)
	v_subrev_nc_u32_e32 v1, 28, v0
	v_lshlrev_b64_e32 v[10:11], v1, v[80:81]
	s_delay_alu instid0(VALU_DEP_1)
	v_dual_sub_nc_u32 v0, 29, v0 :: v_dual_bitop2_b32 v80, 7, v10 bitop3:0x40
; %bb.1461:                             ;   in Loop: Header=BB210_1005 Depth=1
	s_or_b32 exec_lo, exec_lo, s15
	s_delay_alu instid0(VALU_DEP_1) | instskip(NEXT) | instid1(VALU_DEP_2)
	v_dual_lshlrev_b32 v1, 16, v6 :: v_dual_lshlrev_b32 v7, 20, v80
	v_lshl_add_u32 v0, v0, 23, 0x3c000000
	s_delay_alu instid0(VALU_DEP_2) | instskip(NEXT) | instid1(VALU_DEP_1)
	v_and_b32_e32 v1, 0x80000000, v1
	v_or3_b32 v1, v7, v1, v0
	v_mov_b32_e32 v0, v81
.LBB210_1462:                           ;   in Loop: Header=BB210_1005 Depth=1
	s_or_b32 exec_lo, exec_lo, s14
.LBB210_1463:                           ;   in Loop: Header=BB210_1005 Depth=1
	s_delay_alu instid0(SALU_CYCLE_1)
	s_or_b32 exec_lo, exec_lo, s9
.LBB210_1464:                           ;   in Loop: Header=BB210_1005 Depth=1
	s_delay_alu instid0(SALU_CYCLE_1) | instskip(SKIP_4) | instid1(VALU_DEP_3)
	s_or_b32 exec_lo, exec_lo, s8
	v_lshrrev_b32_e32 v7, 16, v6
	v_mov_b64_e32 v[10:11], 0
	v_mov_b64_e32 v[12:13], 0
	s_mov_b32 s8, exec_lo
	v_and_b32_e32 v14, 0xff, v7
	s_delay_alu instid0(VALU_DEP_1)
	v_cmpx_ne_u16_e32 0, v14
	s_cbranch_execz .LBB210_1472
; %bb.1465:                             ;   in Loop: Header=BB210_1005 Depth=1
	v_mov_b64_e32 v[12:13], 0x80000000
	s_mov_b32 s9, exec_lo
	v_cmpx_ne_u16_e32 0x80, v14
	s_cbranch_execz .LBB210_1471
; %bb.1466:                             ;   in Loop: Header=BB210_1005 Depth=1
	v_mov_b64_e32 v[12:13], 0x7f800001
	v_bfe_u32 v14, v6, 16, 7
	s_mov_b32 s14, exec_lo
	s_delay_alu instid0(VALU_DEP_1)
	v_cmpx_ne_u32_e32 0x7f, v14
	s_cbranch_execz .LBB210_1470
; %bb.1467:                             ;   in Loop: Header=BB210_1005 Depth=1
	v_dual_lshrrev_b32 v12, 3, v14 :: v_dual_bitop2_b32 v80, 7, v7 bitop3:0x40
	s_mov_b32 s15, exec_lo
	v_cmpx_gt_u32_e32 8, v14
; %bb.1468:                             ;   in Loop: Header=BB210_1005 Depth=1
	s_delay_alu instid0(VALU_DEP_2) | instskip(NEXT) | instid1(VALU_DEP_1)
	v_clz_i32_u32_e32 v12, v80
	v_min_u32_e32 v12, 32, v12
	s_delay_alu instid0(VALU_DEP_1) | instskip(NEXT) | instid1(VALU_DEP_1)
	v_subrev_nc_u32_e32 v13, 28, v12
	v_lshlrev_b64_e32 v[14:15], v13, v[80:81]
	s_delay_alu instid0(VALU_DEP_1)
	v_dual_sub_nc_u32 v12, 29, v12 :: v_dual_bitop2_b32 v80, 7, v14 bitop3:0x40
; %bb.1469:                             ;   in Loop: Header=BB210_1005 Depth=1
	s_or_b32 exec_lo, exec_lo, s15
	s_delay_alu instid0(VALU_DEP_1) | instskip(NEXT) | instid1(VALU_DEP_2)
	v_dual_lshlrev_b32 v7, 24, v7 :: v_dual_lshlrev_b32 v13, 20, v80
	v_lshl_add_u32 v12, v12, 23, 0x3c000000
	s_delay_alu instid0(VALU_DEP_2) | instskip(NEXT) | instid1(VALU_DEP_1)
	v_and_b32_e32 v7, 0x80000000, v7
	v_or3_b32 v80, v13, v7, v12
	s_delay_alu instid0(VALU_DEP_1)
	v_mov_b64_e32 v[12:13], v[80:81]
.LBB210_1470:                           ;   in Loop: Header=BB210_1005 Depth=1
	s_or_b32 exec_lo, exec_lo, s14
.LBB210_1471:                           ;   in Loop: Header=BB210_1005 Depth=1
	s_delay_alu instid0(SALU_CYCLE_1)
	s_or_b32 exec_lo, exec_lo, s9
.LBB210_1472:                           ;   in Loop: Header=BB210_1005 Depth=1
	s_delay_alu instid0(SALU_CYCLE_1) | instskip(NEXT) | instid1(SALU_CYCLE_1)
	s_or_b32 exec_lo, exec_lo, s8
	s_mov_b32 s8, exec_lo
	v_cmpx_lt_u32_e32 0xffffff, v6
	s_cbranch_execz .LBB210_1480
; %bb.1473:                             ;   in Loop: Header=BB210_1005 Depth=1
	v_mov_b64_e32 v[10:11], 0x8000000000000000
	v_lshrrev_b32_e32 v7, 24, v6
	s_mov_b32 s9, exec_lo
	s_delay_alu instid0(VALU_DEP_1)
	v_cmpx_ne_u32_e32 0x80, v7
	s_cbranch_execz .LBB210_1479
; %bb.1474:                             ;   in Loop: Header=BB210_1005 Depth=1
	v_mov_b64_e32 v[10:11], 0x7f80000100000000
	v_bfe_u32 v14, v6, 24, 7
	s_mov_b32 s14, exec_lo
	s_delay_alu instid0(VALU_DEP_1)
	v_cmpx_ne_u32_e32 0x7f, v14
	s_cbranch_execz .LBB210_1478
; %bb.1475:                             ;   in Loop: Header=BB210_1005 Depth=1
	v_dual_lshrrev_b32 v6, 3, v14 :: v_dual_bitop2_b32 v80, 7, v7 bitop3:0x40
	s_mov_b32 s15, exec_lo
	v_cmpx_gt_u32_e32 8, v14
; %bb.1476:                             ;   in Loop: Header=BB210_1005 Depth=1
	s_delay_alu instid0(VALU_DEP_2) | instskip(NEXT) | instid1(VALU_DEP_1)
	v_clz_i32_u32_e32 v6, v80
	v_min_u32_e32 v6, 32, v6
	s_delay_alu instid0(VALU_DEP_1) | instskip(SKIP_1) | instid1(VALU_DEP_2)
	v_subrev_nc_u32_e32 v10, 28, v6
	v_sub_nc_u32_e32 v6, 29, v6
	v_lshlrev_b64_e32 v[10:11], v10, v[80:81]
	s_delay_alu instid0(VALU_DEP_1)
	v_and_b32_e32 v80, 7, v10
; %bb.1477:                             ;   in Loop: Header=BB210_1005 Depth=1
	s_or_b32 exec_lo, exec_lo, s15
	s_delay_alu instid0(VALU_DEP_1) | instskip(SKIP_1) | instid1(VALU_DEP_2)
	v_dual_lshlrev_b32 v7, 24, v7 :: v_dual_lshlrev_b32 v10, 20, v80
	v_lshl_add_u32 v6, v6, 23, 0x3c000000
	v_and_b32_e32 v7, 0x80000000, v7
	s_delay_alu instid0(VALU_DEP_1)
	v_or3_b32 v11, v10, v7, v6
	v_mov_b32_e32 v10, v81
.LBB210_1478:                           ;   in Loop: Header=BB210_1005 Depth=1
	s_or_b32 exec_lo, exec_lo, s14
.LBB210_1479:                           ;   in Loop: Header=BB210_1005 Depth=1
	s_delay_alu instid0(SALU_CYCLE_1)
	s_or_b32 exec_lo, exec_lo, s9
.LBB210_1480:                           ;   in Loop: Header=BB210_1005 Depth=1
	s_delay_alu instid0(SALU_CYCLE_1) | instskip(SKIP_4) | instid1(VALU_DEP_3)
	s_or_b32 exec_lo, exec_lo, s8
	v_or_b32_e32 v1, v1, v9
	v_or_b32_e32 v0, v0, v8
	;; [unrolled: 1-line block ×4, first 2 shown]
	v_pk_mul_f32 v[88:89], v[68:69], v[0:1]
	s_delay_alu instid0(VALU_DEP_2)
	v_pk_mul_f32 v[78:79], v[68:69], v[6:7]
	s_and_saveexec_b32 s8, vcc_lo
	s_cbranch_execz .LBB210_1482
; %bb.1481:                             ;   in Loop: Header=BB210_1005 Depth=1
	scratch_load_b64 v[0:1], off, s32 offset:192 ; 8-byte Folded Reload
	s_wait_loadcnt 0x0
	v_cmp_lt_i32_e64 s0, v87, v0
	s_delay_alu instid0(VALU_DEP_1) | instskip(SKIP_1) | instid1(VALU_DEP_1)
	v_cndmask_b32_e64 v88, 0, v88, s0
	v_cmp_lt_i32_e64 s0, v96, v0
	v_cndmask_b32_e64 v89, 0, v89, s0
	v_cmp_lt_i32_e64 s0, v98, v0
	s_delay_alu instid0(VALU_DEP_1) | instskip(SKIP_1) | instid1(VALU_DEP_1)
	v_cndmask_b32_e64 v78, 0, v78, s0
	v_cmp_lt_i32_e64 s0, v97, v0
	v_cndmask_b32_e64 v79, 0, v79, s0
.LBB210_1482:                           ;   in Loop: Header=BB210_1005 Depth=1
	s_wait_xcnt 0x0
	s_or_b32 exec_lo, exec_lo, s8
	flat_load_b32 v6, v[82:83] offset:1792
	v_mov_b64_e32 v[0:1], 0
	v_mov_b64_e32 v[8:9], 0
	s_mov_b32 s8, exec_lo
	s_wait_loadcnt_dscnt 0x0
	v_and_b32_e32 v7, 0xff, v6
	s_wait_xcnt 0x0
	s_delay_alu instid0(VALU_DEP_1)
	v_cmpx_ne_u16_e32 0, v7
	s_cbranch_execz .LBB210_1490
; %bb.1483:                             ;   in Loop: Header=BB210_1005 Depth=1
	v_mov_b64_e32 v[8:9], 0x80000000
	s_mov_b32 s9, exec_lo
	v_cmpx_ne_u16_e32 0x80, v7
	s_cbranch_execz .LBB210_1489
; %bb.1484:                             ;   in Loop: Header=BB210_1005 Depth=1
	v_mov_b64_e32 v[8:9], 0x7f800001
	v_and_b32_e32 v10, 0x7f, v6
	s_mov_b32 s14, exec_lo
	s_delay_alu instid0(VALU_DEP_1)
	v_cmpx_ne_u32_e32 0x7f, v10
	s_cbranch_execz .LBB210_1488
; %bb.1485:                             ;   in Loop: Header=BB210_1005 Depth=1
	v_and_b32_e32 v80, 7, v6
	v_lshrrev_b32_e32 v7, 3, v10
	s_mov_b32 s15, exec_lo
	v_cmpx_gt_u32_e32 8, v10
; %bb.1486:                             ;   in Loop: Header=BB210_1005 Depth=1
	s_delay_alu instid0(VALU_DEP_3) | instskip(NEXT) | instid1(VALU_DEP_1)
	v_clz_i32_u32_e32 v7, v80
	v_min_u32_e32 v7, 32, v7
	s_delay_alu instid0(VALU_DEP_1) | instskip(NEXT) | instid1(VALU_DEP_1)
	v_subrev_nc_u32_e32 v8, 28, v7
	v_lshlrev_b64_e32 v[8:9], v8, v[80:81]
	s_delay_alu instid0(VALU_DEP_1)
	v_dual_sub_nc_u32 v7, 29, v7 :: v_dual_bitop2_b32 v80, 7, v8 bitop3:0x40
; %bb.1487:                             ;   in Loop: Header=BB210_1005 Depth=1
	s_or_b32 exec_lo, exec_lo, s15
	s_delay_alu instid0(VALU_DEP_1) | instskip(NEXT) | instid1(VALU_DEP_2)
	v_dual_lshlrev_b32 v8, 24, v6 :: v_dual_lshlrev_b32 v9, 20, v80
	v_lshl_add_u32 v7, v7, 23, 0x3c000000
	s_delay_alu instid0(VALU_DEP_2) | instskip(NEXT) | instid1(VALU_DEP_1)
	v_and_b32_e32 v8, 0x80000000, v8
	v_or3_b32 v80, v9, v8, v7
	s_delay_alu instid0(VALU_DEP_1)
	v_mov_b64_e32 v[8:9], v[80:81]
.LBB210_1488:                           ;   in Loop: Header=BB210_1005 Depth=1
	s_or_b32 exec_lo, exec_lo, s14
.LBB210_1489:                           ;   in Loop: Header=BB210_1005 Depth=1
	s_delay_alu instid0(SALU_CYCLE_1)
	s_or_b32 exec_lo, exec_lo, s9
.LBB210_1490:                           ;   in Loop: Header=BB210_1005 Depth=1
	s_delay_alu instid0(SALU_CYCLE_1) | instskip(SKIP_2) | instid1(VALU_DEP_1)
	s_or_b32 exec_lo, exec_lo, s8
	v_lshrrev_b16 v7, 8, v6
	s_mov_b32 s8, exec_lo
	v_cmpx_ne_u16_e32 0, v7
	s_cbranch_execz .LBB210_1498
; %bb.1491:                             ;   in Loop: Header=BB210_1005 Depth=1
	v_mov_b64_e32 v[0:1], 0x8000000000000000
	s_mov_b32 s9, exec_lo
	v_cmpx_ne_u16_e32 0x80, v7
	s_cbranch_execz .LBB210_1497
; %bb.1492:                             ;   in Loop: Header=BB210_1005 Depth=1
	v_and_b32_e32 v10, 0xffff, v7
	v_mov_b64_e32 v[0:1], 0x7f80000100000000
	s_mov_b32 s14, exec_lo
	s_delay_alu instid0(VALU_DEP_2) | instskip(NEXT) | instid1(VALU_DEP_1)
	v_and_b32_e32 v7, 0x7f, v10
	v_cmpx_ne_u32_e32 0x7f, v7
	s_cbranch_execz .LBB210_1496
; %bb.1493:                             ;   in Loop: Header=BB210_1005 Depth=1
	v_dual_lshrrev_b32 v0, 3, v7 :: v_dual_bitop2_b32 v80, 7, v10 bitop3:0x40
	s_mov_b32 s15, exec_lo
	v_cmpx_gt_u32_e32 8, v7
; %bb.1494:                             ;   in Loop: Header=BB210_1005 Depth=1
	s_delay_alu instid0(VALU_DEP_2) | instskip(NEXT) | instid1(VALU_DEP_1)
	v_clz_i32_u32_e32 v0, v80
	v_min_u32_e32 v0, 32, v0
	s_delay_alu instid0(VALU_DEP_1) | instskip(NEXT) | instid1(VALU_DEP_1)
	v_subrev_nc_u32_e32 v1, 28, v0
	v_lshlrev_b64_e32 v[10:11], v1, v[80:81]
	s_delay_alu instid0(VALU_DEP_1)
	v_dual_sub_nc_u32 v0, 29, v0 :: v_dual_bitop2_b32 v80, 7, v10 bitop3:0x40
; %bb.1495:                             ;   in Loop: Header=BB210_1005 Depth=1
	s_or_b32 exec_lo, exec_lo, s15
	s_delay_alu instid0(VALU_DEP_1) | instskip(NEXT) | instid1(VALU_DEP_2)
	v_dual_lshlrev_b32 v1, 16, v6 :: v_dual_lshlrev_b32 v7, 20, v80
	v_lshl_add_u32 v0, v0, 23, 0x3c000000
	s_delay_alu instid0(VALU_DEP_2) | instskip(NEXT) | instid1(VALU_DEP_1)
	v_and_b32_e32 v1, 0x80000000, v1
	v_or3_b32 v1, v7, v1, v0
	v_mov_b32_e32 v0, v81
.LBB210_1496:                           ;   in Loop: Header=BB210_1005 Depth=1
	s_or_b32 exec_lo, exec_lo, s14
.LBB210_1497:                           ;   in Loop: Header=BB210_1005 Depth=1
	s_delay_alu instid0(SALU_CYCLE_1)
	s_or_b32 exec_lo, exec_lo, s9
.LBB210_1498:                           ;   in Loop: Header=BB210_1005 Depth=1
	s_delay_alu instid0(SALU_CYCLE_1) | instskip(SKIP_4) | instid1(VALU_DEP_3)
	s_or_b32 exec_lo, exec_lo, s8
	v_lshrrev_b32_e32 v7, 16, v6
	v_mov_b64_e32 v[10:11], 0
	v_mov_b64_e32 v[12:13], 0
	s_mov_b32 s8, exec_lo
	v_and_b32_e32 v14, 0xff, v7
	s_delay_alu instid0(VALU_DEP_1)
	v_cmpx_ne_u16_e32 0, v14
	s_cbranch_execz .LBB210_1506
; %bb.1499:                             ;   in Loop: Header=BB210_1005 Depth=1
	v_mov_b64_e32 v[12:13], 0x80000000
	s_mov_b32 s9, exec_lo
	v_cmpx_ne_u16_e32 0x80, v14
	s_cbranch_execz .LBB210_1505
; %bb.1500:                             ;   in Loop: Header=BB210_1005 Depth=1
	v_mov_b64_e32 v[12:13], 0x7f800001
	v_bfe_u32 v14, v6, 16, 7
	s_mov_b32 s14, exec_lo
	s_delay_alu instid0(VALU_DEP_1)
	v_cmpx_ne_u32_e32 0x7f, v14
	s_cbranch_execz .LBB210_1504
; %bb.1501:                             ;   in Loop: Header=BB210_1005 Depth=1
	v_dual_lshrrev_b32 v12, 3, v14 :: v_dual_bitop2_b32 v80, 7, v7 bitop3:0x40
	s_mov_b32 s15, exec_lo
	v_cmpx_gt_u32_e32 8, v14
; %bb.1502:                             ;   in Loop: Header=BB210_1005 Depth=1
	s_delay_alu instid0(VALU_DEP_2) | instskip(NEXT) | instid1(VALU_DEP_1)
	v_clz_i32_u32_e32 v12, v80
	v_min_u32_e32 v12, 32, v12
	s_delay_alu instid0(VALU_DEP_1) | instskip(NEXT) | instid1(VALU_DEP_1)
	v_subrev_nc_u32_e32 v13, 28, v12
	v_lshlrev_b64_e32 v[14:15], v13, v[80:81]
	s_delay_alu instid0(VALU_DEP_1)
	v_dual_sub_nc_u32 v12, 29, v12 :: v_dual_bitop2_b32 v80, 7, v14 bitop3:0x40
; %bb.1503:                             ;   in Loop: Header=BB210_1005 Depth=1
	s_or_b32 exec_lo, exec_lo, s15
	s_delay_alu instid0(VALU_DEP_1) | instskip(NEXT) | instid1(VALU_DEP_2)
	v_dual_lshlrev_b32 v7, 24, v7 :: v_dual_lshlrev_b32 v13, 20, v80
	v_lshl_add_u32 v12, v12, 23, 0x3c000000
	s_delay_alu instid0(VALU_DEP_2) | instskip(NEXT) | instid1(VALU_DEP_1)
	v_and_b32_e32 v7, 0x80000000, v7
	v_or3_b32 v80, v13, v7, v12
	s_delay_alu instid0(VALU_DEP_1)
	v_mov_b64_e32 v[12:13], v[80:81]
.LBB210_1504:                           ;   in Loop: Header=BB210_1005 Depth=1
	s_or_b32 exec_lo, exec_lo, s14
.LBB210_1505:                           ;   in Loop: Header=BB210_1005 Depth=1
	s_delay_alu instid0(SALU_CYCLE_1)
	s_or_b32 exec_lo, exec_lo, s9
.LBB210_1506:                           ;   in Loop: Header=BB210_1005 Depth=1
	s_delay_alu instid0(SALU_CYCLE_1) | instskip(NEXT) | instid1(SALU_CYCLE_1)
	s_or_b32 exec_lo, exec_lo, s8
	s_mov_b32 s8, exec_lo
	v_cmpx_lt_u32_e32 0xffffff, v6
	s_cbranch_execz .LBB210_1514
; %bb.1507:                             ;   in Loop: Header=BB210_1005 Depth=1
	v_mov_b64_e32 v[10:11], 0x8000000000000000
	v_lshrrev_b32_e32 v7, 24, v6
	s_mov_b32 s9, exec_lo
	s_delay_alu instid0(VALU_DEP_1)
	v_cmpx_ne_u32_e32 0x80, v7
	s_cbranch_execz .LBB210_1513
; %bb.1508:                             ;   in Loop: Header=BB210_1005 Depth=1
	v_mov_b64_e32 v[10:11], 0x7f80000100000000
	v_bfe_u32 v14, v6, 24, 7
	s_mov_b32 s14, exec_lo
	s_delay_alu instid0(VALU_DEP_1)
	v_cmpx_ne_u32_e32 0x7f, v14
	s_cbranch_execz .LBB210_1512
; %bb.1509:                             ;   in Loop: Header=BB210_1005 Depth=1
	v_dual_lshrrev_b32 v6, 3, v14 :: v_dual_bitop2_b32 v80, 7, v7 bitop3:0x40
	s_mov_b32 s15, exec_lo
	v_cmpx_gt_u32_e32 8, v14
; %bb.1510:                             ;   in Loop: Header=BB210_1005 Depth=1
	s_delay_alu instid0(VALU_DEP_2) | instskip(NEXT) | instid1(VALU_DEP_1)
	v_clz_i32_u32_e32 v6, v80
	v_min_u32_e32 v6, 32, v6
	s_delay_alu instid0(VALU_DEP_1) | instskip(SKIP_1) | instid1(VALU_DEP_2)
	v_subrev_nc_u32_e32 v10, 28, v6
	v_sub_nc_u32_e32 v6, 29, v6
	v_lshlrev_b64_e32 v[10:11], v10, v[80:81]
	s_delay_alu instid0(VALU_DEP_1)
	v_and_b32_e32 v80, 7, v10
; %bb.1511:                             ;   in Loop: Header=BB210_1005 Depth=1
	s_or_b32 exec_lo, exec_lo, s15
	s_delay_alu instid0(VALU_DEP_1) | instskip(SKIP_1) | instid1(VALU_DEP_2)
	v_dual_lshlrev_b32 v7, 24, v7 :: v_dual_lshlrev_b32 v10, 20, v80
	v_lshl_add_u32 v6, v6, 23, 0x3c000000
	v_and_b32_e32 v7, 0x80000000, v7
	s_delay_alu instid0(VALU_DEP_1)
	v_or3_b32 v11, v10, v7, v6
	v_mov_b32_e32 v10, v81
.LBB210_1512:                           ;   in Loop: Header=BB210_1005 Depth=1
	s_or_b32 exec_lo, exec_lo, s14
.LBB210_1513:                           ;   in Loop: Header=BB210_1005 Depth=1
	s_delay_alu instid0(SALU_CYCLE_1)
	s_or_b32 exec_lo, exec_lo, s9
.LBB210_1514:                           ;   in Loop: Header=BB210_1005 Depth=1
	s_delay_alu instid0(SALU_CYCLE_1) | instskip(SKIP_4) | instid1(VALU_DEP_3)
	s_or_b32 exec_lo, exec_lo, s8
	v_or_b32_e32 v1, v1, v9
	v_or_b32_e32 v0, v0, v8
	v_or_b32_e32 v7, v11, v13
	v_or_b32_e32 v6, v10, v12
	v_pk_mul_f32 v[92:93], v[68:69], v[0:1]
	s_delay_alu instid0(VALU_DEP_2)
	v_pk_mul_f32 v[90:91], v[68:69], v[6:7]
	s_and_saveexec_b32 s8, vcc_lo
	s_cbranch_execz .LBB210_1516
; %bb.1515:                             ;   in Loop: Header=BB210_1005 Depth=1
	scratch_load_b64 v[0:1], off, s32 offset:192 ; 8-byte Folded Reload
	s_wait_loadcnt 0x0
	v_cmp_lt_i32_e64 s0, v87, v0
	s_delay_alu instid0(VALU_DEP_1) | instskip(SKIP_1) | instid1(VALU_DEP_1)
	v_cndmask_b32_e64 v92, 0, v92, s0
	v_cmp_lt_i32_e64 s0, v96, v0
	v_cndmask_b32_e64 v93, 0, v93, s0
	v_cmp_lt_i32_e64 s0, v98, v0
	s_delay_alu instid0(VALU_DEP_1) | instskip(SKIP_1) | instid1(VALU_DEP_1)
	v_cndmask_b32_e64 v90, 0, v90, s0
	v_cmp_lt_i32_e64 s0, v97, v0
	v_cndmask_b32_e64 v91, 0, v91, s0
.LBB210_1516:                           ;   in Loop: Header=BB210_1005 Depth=1
	s_wait_xcnt 0x0
	s_or_b32 exec_lo, exec_lo, s8
	flat_load_b32 v6, v[82:83] offset:1920
	v_mov_b64_e32 v[0:1], 0
	v_mov_b64_e32 v[8:9], 0
	s_mov_b32 s8, exec_lo
	s_wait_loadcnt_dscnt 0x0
	v_and_b32_e32 v7, 0xff, v6
	s_wait_xcnt 0x0
	s_delay_alu instid0(VALU_DEP_1)
	v_cmpx_ne_u16_e32 0, v7
	s_cbranch_execz .LBB210_1524
; %bb.1517:                             ;   in Loop: Header=BB210_1005 Depth=1
	v_mov_b64_e32 v[8:9], 0x80000000
	s_mov_b32 s9, exec_lo
	v_cmpx_ne_u16_e32 0x80, v7
	s_cbranch_execz .LBB210_1523
; %bb.1518:                             ;   in Loop: Header=BB210_1005 Depth=1
	v_mov_b64_e32 v[8:9], 0x7f800001
	v_and_b32_e32 v10, 0x7f, v6
	s_mov_b32 s14, exec_lo
	s_delay_alu instid0(VALU_DEP_1)
	v_cmpx_ne_u32_e32 0x7f, v10
	s_cbranch_execz .LBB210_1522
; %bb.1519:                             ;   in Loop: Header=BB210_1005 Depth=1
	v_and_b32_e32 v80, 7, v6
	v_lshrrev_b32_e32 v7, 3, v10
	s_mov_b32 s15, exec_lo
	v_cmpx_gt_u32_e32 8, v10
; %bb.1520:                             ;   in Loop: Header=BB210_1005 Depth=1
	s_delay_alu instid0(VALU_DEP_3) | instskip(NEXT) | instid1(VALU_DEP_1)
	v_clz_i32_u32_e32 v7, v80
	v_min_u32_e32 v7, 32, v7
	s_delay_alu instid0(VALU_DEP_1) | instskip(NEXT) | instid1(VALU_DEP_1)
	v_subrev_nc_u32_e32 v8, 28, v7
	v_lshlrev_b64_e32 v[8:9], v8, v[80:81]
	s_delay_alu instid0(VALU_DEP_1)
	v_dual_sub_nc_u32 v7, 29, v7 :: v_dual_bitop2_b32 v80, 7, v8 bitop3:0x40
; %bb.1521:                             ;   in Loop: Header=BB210_1005 Depth=1
	s_or_b32 exec_lo, exec_lo, s15
	s_delay_alu instid0(VALU_DEP_1) | instskip(NEXT) | instid1(VALU_DEP_2)
	v_dual_lshlrev_b32 v8, 24, v6 :: v_dual_lshlrev_b32 v9, 20, v80
	v_lshl_add_u32 v7, v7, 23, 0x3c000000
	s_delay_alu instid0(VALU_DEP_2) | instskip(NEXT) | instid1(VALU_DEP_1)
	v_and_b32_e32 v8, 0x80000000, v8
	v_or3_b32 v80, v9, v8, v7
	s_delay_alu instid0(VALU_DEP_1)
	v_mov_b64_e32 v[8:9], v[80:81]
.LBB210_1522:                           ;   in Loop: Header=BB210_1005 Depth=1
	s_or_b32 exec_lo, exec_lo, s14
.LBB210_1523:                           ;   in Loop: Header=BB210_1005 Depth=1
	s_delay_alu instid0(SALU_CYCLE_1)
	s_or_b32 exec_lo, exec_lo, s9
.LBB210_1524:                           ;   in Loop: Header=BB210_1005 Depth=1
	s_delay_alu instid0(SALU_CYCLE_1) | instskip(SKIP_2) | instid1(VALU_DEP_1)
	s_or_b32 exec_lo, exec_lo, s8
	v_lshrrev_b16 v7, 8, v6
	s_mov_b32 s8, exec_lo
	v_cmpx_ne_u16_e32 0, v7
	s_cbranch_execz .LBB210_1532
; %bb.1525:                             ;   in Loop: Header=BB210_1005 Depth=1
	v_mov_b64_e32 v[0:1], 0x8000000000000000
	s_mov_b32 s9, exec_lo
	v_cmpx_ne_u16_e32 0x80, v7
	s_cbranch_execz .LBB210_1531
; %bb.1526:                             ;   in Loop: Header=BB210_1005 Depth=1
	v_and_b32_e32 v10, 0xffff, v7
	v_mov_b64_e32 v[0:1], 0x7f80000100000000
	s_mov_b32 s14, exec_lo
	s_delay_alu instid0(VALU_DEP_2) | instskip(NEXT) | instid1(VALU_DEP_1)
	v_and_b32_e32 v7, 0x7f, v10
	v_cmpx_ne_u32_e32 0x7f, v7
	s_cbranch_execz .LBB210_1530
; %bb.1527:                             ;   in Loop: Header=BB210_1005 Depth=1
	v_dual_lshrrev_b32 v0, 3, v7 :: v_dual_bitop2_b32 v80, 7, v10 bitop3:0x40
	s_mov_b32 s15, exec_lo
	v_cmpx_gt_u32_e32 8, v7
; %bb.1528:                             ;   in Loop: Header=BB210_1005 Depth=1
	s_delay_alu instid0(VALU_DEP_2) | instskip(NEXT) | instid1(VALU_DEP_1)
	v_clz_i32_u32_e32 v0, v80
	v_min_u32_e32 v0, 32, v0
	s_delay_alu instid0(VALU_DEP_1) | instskip(NEXT) | instid1(VALU_DEP_1)
	v_subrev_nc_u32_e32 v1, 28, v0
	v_lshlrev_b64_e32 v[10:11], v1, v[80:81]
	s_delay_alu instid0(VALU_DEP_1)
	v_dual_sub_nc_u32 v0, 29, v0 :: v_dual_bitop2_b32 v80, 7, v10 bitop3:0x40
; %bb.1529:                             ;   in Loop: Header=BB210_1005 Depth=1
	s_or_b32 exec_lo, exec_lo, s15
	s_delay_alu instid0(VALU_DEP_1) | instskip(NEXT) | instid1(VALU_DEP_2)
	v_dual_lshlrev_b32 v1, 16, v6 :: v_dual_lshlrev_b32 v7, 20, v80
	v_lshl_add_u32 v0, v0, 23, 0x3c000000
	s_delay_alu instid0(VALU_DEP_2) | instskip(NEXT) | instid1(VALU_DEP_1)
	v_and_b32_e32 v1, 0x80000000, v1
	v_or3_b32 v1, v7, v1, v0
	v_mov_b32_e32 v0, v81
.LBB210_1530:                           ;   in Loop: Header=BB210_1005 Depth=1
	s_or_b32 exec_lo, exec_lo, s14
.LBB210_1531:                           ;   in Loop: Header=BB210_1005 Depth=1
	s_delay_alu instid0(SALU_CYCLE_1)
	s_or_b32 exec_lo, exec_lo, s9
.LBB210_1532:                           ;   in Loop: Header=BB210_1005 Depth=1
	s_delay_alu instid0(SALU_CYCLE_1) | instskip(SKIP_4) | instid1(VALU_DEP_3)
	s_or_b32 exec_lo, exec_lo, s8
	v_lshrrev_b32_e32 v7, 16, v6
	v_mov_b64_e32 v[10:11], 0
	v_mov_b64_e32 v[12:13], 0
	s_mov_b32 s8, exec_lo
	v_and_b32_e32 v14, 0xff, v7
	s_delay_alu instid0(VALU_DEP_1)
	v_cmpx_ne_u16_e32 0, v14
	s_cbranch_execz .LBB210_1540
; %bb.1533:                             ;   in Loop: Header=BB210_1005 Depth=1
	v_mov_b64_e32 v[12:13], 0x80000000
	s_mov_b32 s9, exec_lo
	v_cmpx_ne_u16_e32 0x80, v14
	s_cbranch_execz .LBB210_1539
; %bb.1534:                             ;   in Loop: Header=BB210_1005 Depth=1
	v_mov_b64_e32 v[12:13], 0x7f800001
	v_bfe_u32 v14, v6, 16, 7
	s_mov_b32 s14, exec_lo
	s_delay_alu instid0(VALU_DEP_1)
	v_cmpx_ne_u32_e32 0x7f, v14
	s_cbranch_execz .LBB210_1538
; %bb.1535:                             ;   in Loop: Header=BB210_1005 Depth=1
	v_dual_lshrrev_b32 v12, 3, v14 :: v_dual_bitop2_b32 v80, 7, v7 bitop3:0x40
	s_mov_b32 s15, exec_lo
	v_cmpx_gt_u32_e32 8, v14
; %bb.1536:                             ;   in Loop: Header=BB210_1005 Depth=1
	s_delay_alu instid0(VALU_DEP_2) | instskip(NEXT) | instid1(VALU_DEP_1)
	v_clz_i32_u32_e32 v12, v80
	v_min_u32_e32 v12, 32, v12
	s_delay_alu instid0(VALU_DEP_1) | instskip(NEXT) | instid1(VALU_DEP_1)
	v_subrev_nc_u32_e32 v13, 28, v12
	v_lshlrev_b64_e32 v[14:15], v13, v[80:81]
	s_delay_alu instid0(VALU_DEP_1)
	v_dual_sub_nc_u32 v12, 29, v12 :: v_dual_bitop2_b32 v80, 7, v14 bitop3:0x40
; %bb.1537:                             ;   in Loop: Header=BB210_1005 Depth=1
	s_or_b32 exec_lo, exec_lo, s15
	s_delay_alu instid0(VALU_DEP_1) | instskip(NEXT) | instid1(VALU_DEP_2)
	v_dual_lshlrev_b32 v7, 24, v7 :: v_dual_lshlrev_b32 v13, 20, v80
	v_lshl_add_u32 v12, v12, 23, 0x3c000000
	s_delay_alu instid0(VALU_DEP_2) | instskip(NEXT) | instid1(VALU_DEP_1)
	v_and_b32_e32 v7, 0x80000000, v7
	v_or3_b32 v80, v13, v7, v12
	s_delay_alu instid0(VALU_DEP_1)
	v_mov_b64_e32 v[12:13], v[80:81]
.LBB210_1538:                           ;   in Loop: Header=BB210_1005 Depth=1
	s_or_b32 exec_lo, exec_lo, s14
.LBB210_1539:                           ;   in Loop: Header=BB210_1005 Depth=1
	s_delay_alu instid0(SALU_CYCLE_1)
	s_or_b32 exec_lo, exec_lo, s9
.LBB210_1540:                           ;   in Loop: Header=BB210_1005 Depth=1
	s_delay_alu instid0(SALU_CYCLE_1) | instskip(NEXT) | instid1(SALU_CYCLE_1)
	s_or_b32 exec_lo, exec_lo, s8
	s_mov_b32 s8, exec_lo
	v_cmpx_lt_u32_e32 0xffffff, v6
	s_cbranch_execz .LBB210_1548
; %bb.1541:                             ;   in Loop: Header=BB210_1005 Depth=1
	v_mov_b64_e32 v[10:11], 0x8000000000000000
	v_lshrrev_b32_e32 v7, 24, v6
	s_mov_b32 s9, exec_lo
	s_delay_alu instid0(VALU_DEP_1)
	v_cmpx_ne_u32_e32 0x80, v7
	s_cbranch_execz .LBB210_1547
; %bb.1542:                             ;   in Loop: Header=BB210_1005 Depth=1
	v_mov_b64_e32 v[10:11], 0x7f80000100000000
	v_bfe_u32 v14, v6, 24, 7
	s_mov_b32 s14, exec_lo
	s_delay_alu instid0(VALU_DEP_1)
	v_cmpx_ne_u32_e32 0x7f, v14
	s_cbranch_execz .LBB210_1546
; %bb.1543:                             ;   in Loop: Header=BB210_1005 Depth=1
	v_dual_lshrrev_b32 v6, 3, v14 :: v_dual_bitop2_b32 v80, 7, v7 bitop3:0x40
	s_mov_b32 s15, exec_lo
	v_cmpx_gt_u32_e32 8, v14
; %bb.1544:                             ;   in Loop: Header=BB210_1005 Depth=1
	s_delay_alu instid0(VALU_DEP_2) | instskip(NEXT) | instid1(VALU_DEP_1)
	v_clz_i32_u32_e32 v6, v80
	v_min_u32_e32 v6, 32, v6
	s_delay_alu instid0(VALU_DEP_1) | instskip(SKIP_1) | instid1(VALU_DEP_2)
	v_subrev_nc_u32_e32 v10, 28, v6
	v_sub_nc_u32_e32 v6, 29, v6
	v_lshlrev_b64_e32 v[10:11], v10, v[80:81]
	s_delay_alu instid0(VALU_DEP_1)
	v_and_b32_e32 v80, 7, v10
; %bb.1545:                             ;   in Loop: Header=BB210_1005 Depth=1
	s_or_b32 exec_lo, exec_lo, s15
	s_delay_alu instid0(VALU_DEP_1) | instskip(SKIP_1) | instid1(VALU_DEP_2)
	v_dual_lshlrev_b32 v7, 24, v7 :: v_dual_lshlrev_b32 v10, 20, v80
	v_lshl_add_u32 v6, v6, 23, 0x3c000000
	v_and_b32_e32 v7, 0x80000000, v7
	s_delay_alu instid0(VALU_DEP_1)
	v_or3_b32 v11, v10, v7, v6
	v_mov_b32_e32 v10, v81
.LBB210_1546:                           ;   in Loop: Header=BB210_1005 Depth=1
	s_or_b32 exec_lo, exec_lo, s14
.LBB210_1547:                           ;   in Loop: Header=BB210_1005 Depth=1
	s_delay_alu instid0(SALU_CYCLE_1)
	s_or_b32 exec_lo, exec_lo, s9
.LBB210_1548:                           ;   in Loop: Header=BB210_1005 Depth=1
	s_delay_alu instid0(SALU_CYCLE_1) | instskip(SKIP_4) | instid1(VALU_DEP_3)
	s_or_b32 exec_lo, exec_lo, s8
	v_or_b32_e32 v1, v1, v9
	v_or_b32_e32 v0, v0, v8
	;; [unrolled: 1-line block ×4, first 2 shown]
	v_pk_mul_f32 v[104:105], v[68:69], v[0:1]
	s_delay_alu instid0(VALU_DEP_2)
	v_pk_mul_f32 v[94:95], v[68:69], v[6:7]
	s_and_saveexec_b32 s8, vcc_lo
	s_cbranch_execz .LBB210_1550
; %bb.1549:                             ;   in Loop: Header=BB210_1005 Depth=1
	scratch_load_b64 v[0:1], off, s32 offset:192 ; 8-byte Folded Reload
	s_wait_loadcnt 0x0
	v_cmp_lt_i32_e64 s0, v87, v0
	s_delay_alu instid0(VALU_DEP_1) | instskip(SKIP_1) | instid1(VALU_DEP_1)
	v_cndmask_b32_e64 v104, 0, v104, s0
	v_cmp_lt_i32_e64 s0, v96, v0
	v_cndmask_b32_e64 v105, 0, v105, s0
	v_cmp_lt_i32_e64 s0, v98, v0
	s_delay_alu instid0(VALU_DEP_1) | instskip(SKIP_1) | instid1(VALU_DEP_1)
	v_cndmask_b32_e64 v94, 0, v94, s0
	v_cmp_lt_i32_e64 s0, v97, v0
	v_cndmask_b32_e64 v95, 0, v95, s0
.LBB210_1550:                           ;   in Loop: Header=BB210_1005 Depth=1
	s_wait_xcnt 0x0
	s_or_b32 exec_lo, exec_lo, s8
	flat_load_b32 v6, v[82:83] offset:2048
	v_mov_b64_e32 v[0:1], 0
	v_mov_b64_e32 v[8:9], 0
	s_mov_b32 s8, exec_lo
	s_wait_loadcnt_dscnt 0x0
	v_and_b32_e32 v7, 0xff, v6
	s_wait_xcnt 0x0
	s_delay_alu instid0(VALU_DEP_1)
	v_cmpx_ne_u16_e32 0, v7
	s_cbranch_execz .LBB210_1558
; %bb.1551:                             ;   in Loop: Header=BB210_1005 Depth=1
	v_mov_b64_e32 v[8:9], 0x80000000
	s_mov_b32 s9, exec_lo
	v_cmpx_ne_u16_e32 0x80, v7
	s_cbranch_execz .LBB210_1557
; %bb.1552:                             ;   in Loop: Header=BB210_1005 Depth=1
	v_mov_b64_e32 v[8:9], 0x7f800001
	v_and_b32_e32 v10, 0x7f, v6
	s_mov_b32 s14, exec_lo
	s_delay_alu instid0(VALU_DEP_1)
	v_cmpx_ne_u32_e32 0x7f, v10
	s_cbranch_execz .LBB210_1556
; %bb.1553:                             ;   in Loop: Header=BB210_1005 Depth=1
	v_and_b32_e32 v80, 7, v6
	v_lshrrev_b32_e32 v7, 3, v10
	s_mov_b32 s15, exec_lo
	v_cmpx_gt_u32_e32 8, v10
; %bb.1554:                             ;   in Loop: Header=BB210_1005 Depth=1
	s_delay_alu instid0(VALU_DEP_3) | instskip(NEXT) | instid1(VALU_DEP_1)
	v_clz_i32_u32_e32 v7, v80
	v_min_u32_e32 v7, 32, v7
	s_delay_alu instid0(VALU_DEP_1) | instskip(NEXT) | instid1(VALU_DEP_1)
	v_subrev_nc_u32_e32 v8, 28, v7
	v_lshlrev_b64_e32 v[8:9], v8, v[80:81]
	s_delay_alu instid0(VALU_DEP_1)
	v_dual_sub_nc_u32 v7, 29, v7 :: v_dual_bitop2_b32 v80, 7, v8 bitop3:0x40
; %bb.1555:                             ;   in Loop: Header=BB210_1005 Depth=1
	s_or_b32 exec_lo, exec_lo, s15
	s_delay_alu instid0(VALU_DEP_1) | instskip(NEXT) | instid1(VALU_DEP_2)
	v_dual_lshlrev_b32 v8, 24, v6 :: v_dual_lshlrev_b32 v9, 20, v80
	v_lshl_add_u32 v7, v7, 23, 0x3c000000
	s_delay_alu instid0(VALU_DEP_2) | instskip(NEXT) | instid1(VALU_DEP_1)
	v_and_b32_e32 v8, 0x80000000, v8
	v_or3_b32 v80, v9, v8, v7
	s_delay_alu instid0(VALU_DEP_1)
	v_mov_b64_e32 v[8:9], v[80:81]
.LBB210_1556:                           ;   in Loop: Header=BB210_1005 Depth=1
	s_or_b32 exec_lo, exec_lo, s14
.LBB210_1557:                           ;   in Loop: Header=BB210_1005 Depth=1
	s_delay_alu instid0(SALU_CYCLE_1)
	s_or_b32 exec_lo, exec_lo, s9
.LBB210_1558:                           ;   in Loop: Header=BB210_1005 Depth=1
	s_delay_alu instid0(SALU_CYCLE_1) | instskip(SKIP_2) | instid1(VALU_DEP_1)
	s_or_b32 exec_lo, exec_lo, s8
	v_lshrrev_b16 v7, 8, v6
	s_mov_b32 s8, exec_lo
	v_cmpx_ne_u16_e32 0, v7
	s_cbranch_execz .LBB210_1566
; %bb.1559:                             ;   in Loop: Header=BB210_1005 Depth=1
	v_mov_b64_e32 v[0:1], 0x8000000000000000
	s_mov_b32 s9, exec_lo
	v_cmpx_ne_u16_e32 0x80, v7
	s_cbranch_execz .LBB210_1565
; %bb.1560:                             ;   in Loop: Header=BB210_1005 Depth=1
	v_and_b32_e32 v10, 0xffff, v7
	v_mov_b64_e32 v[0:1], 0x7f80000100000000
	s_mov_b32 s14, exec_lo
	s_delay_alu instid0(VALU_DEP_2) | instskip(NEXT) | instid1(VALU_DEP_1)
	v_and_b32_e32 v7, 0x7f, v10
	v_cmpx_ne_u32_e32 0x7f, v7
	s_cbranch_execz .LBB210_1564
; %bb.1561:                             ;   in Loop: Header=BB210_1005 Depth=1
	v_dual_lshrrev_b32 v0, 3, v7 :: v_dual_bitop2_b32 v80, 7, v10 bitop3:0x40
	s_mov_b32 s15, exec_lo
	v_cmpx_gt_u32_e32 8, v7
; %bb.1562:                             ;   in Loop: Header=BB210_1005 Depth=1
	s_delay_alu instid0(VALU_DEP_2) | instskip(NEXT) | instid1(VALU_DEP_1)
	v_clz_i32_u32_e32 v0, v80
	v_min_u32_e32 v0, 32, v0
	s_delay_alu instid0(VALU_DEP_1) | instskip(NEXT) | instid1(VALU_DEP_1)
	v_subrev_nc_u32_e32 v1, 28, v0
	v_lshlrev_b64_e32 v[10:11], v1, v[80:81]
	s_delay_alu instid0(VALU_DEP_1)
	v_dual_sub_nc_u32 v0, 29, v0 :: v_dual_bitop2_b32 v80, 7, v10 bitop3:0x40
; %bb.1563:                             ;   in Loop: Header=BB210_1005 Depth=1
	s_or_b32 exec_lo, exec_lo, s15
	s_delay_alu instid0(VALU_DEP_1) | instskip(NEXT) | instid1(VALU_DEP_2)
	v_dual_lshlrev_b32 v1, 16, v6 :: v_dual_lshlrev_b32 v7, 20, v80
	v_lshl_add_u32 v0, v0, 23, 0x3c000000
	s_delay_alu instid0(VALU_DEP_2) | instskip(NEXT) | instid1(VALU_DEP_1)
	v_and_b32_e32 v1, 0x80000000, v1
	v_or3_b32 v1, v7, v1, v0
	v_mov_b32_e32 v0, v81
.LBB210_1564:                           ;   in Loop: Header=BB210_1005 Depth=1
	s_or_b32 exec_lo, exec_lo, s14
.LBB210_1565:                           ;   in Loop: Header=BB210_1005 Depth=1
	s_delay_alu instid0(SALU_CYCLE_1)
	s_or_b32 exec_lo, exec_lo, s9
.LBB210_1566:                           ;   in Loop: Header=BB210_1005 Depth=1
	s_delay_alu instid0(SALU_CYCLE_1) | instskip(SKIP_4) | instid1(VALU_DEP_3)
	s_or_b32 exec_lo, exec_lo, s8
	v_lshrrev_b32_e32 v7, 16, v6
	v_mov_b64_e32 v[10:11], 0
	v_mov_b64_e32 v[12:13], 0
	s_mov_b32 s8, exec_lo
	v_and_b32_e32 v14, 0xff, v7
	s_delay_alu instid0(VALU_DEP_1)
	v_cmpx_ne_u16_e32 0, v14
	s_cbranch_execz .LBB210_1574
; %bb.1567:                             ;   in Loop: Header=BB210_1005 Depth=1
	v_mov_b64_e32 v[12:13], 0x80000000
	s_mov_b32 s9, exec_lo
	v_cmpx_ne_u16_e32 0x80, v14
	s_cbranch_execz .LBB210_1573
; %bb.1568:                             ;   in Loop: Header=BB210_1005 Depth=1
	v_mov_b64_e32 v[12:13], 0x7f800001
	v_bfe_u32 v14, v6, 16, 7
	s_mov_b32 s14, exec_lo
	s_delay_alu instid0(VALU_DEP_1)
	v_cmpx_ne_u32_e32 0x7f, v14
	s_cbranch_execz .LBB210_1572
; %bb.1569:                             ;   in Loop: Header=BB210_1005 Depth=1
	v_dual_lshrrev_b32 v12, 3, v14 :: v_dual_bitop2_b32 v80, 7, v7 bitop3:0x40
	s_mov_b32 s15, exec_lo
	v_cmpx_gt_u32_e32 8, v14
; %bb.1570:                             ;   in Loop: Header=BB210_1005 Depth=1
	s_delay_alu instid0(VALU_DEP_2) | instskip(NEXT) | instid1(VALU_DEP_1)
	v_clz_i32_u32_e32 v12, v80
	v_min_u32_e32 v12, 32, v12
	s_delay_alu instid0(VALU_DEP_1) | instskip(NEXT) | instid1(VALU_DEP_1)
	v_subrev_nc_u32_e32 v13, 28, v12
	v_lshlrev_b64_e32 v[14:15], v13, v[80:81]
	s_delay_alu instid0(VALU_DEP_1)
	v_dual_sub_nc_u32 v12, 29, v12 :: v_dual_bitop2_b32 v80, 7, v14 bitop3:0x40
; %bb.1571:                             ;   in Loop: Header=BB210_1005 Depth=1
	s_or_b32 exec_lo, exec_lo, s15
	s_delay_alu instid0(VALU_DEP_1) | instskip(NEXT) | instid1(VALU_DEP_2)
	v_dual_lshlrev_b32 v7, 24, v7 :: v_dual_lshlrev_b32 v13, 20, v80
	v_lshl_add_u32 v12, v12, 23, 0x3c000000
	s_delay_alu instid0(VALU_DEP_2) | instskip(NEXT) | instid1(VALU_DEP_1)
	v_and_b32_e32 v7, 0x80000000, v7
	v_or3_b32 v80, v13, v7, v12
	s_delay_alu instid0(VALU_DEP_1)
	v_mov_b64_e32 v[12:13], v[80:81]
.LBB210_1572:                           ;   in Loop: Header=BB210_1005 Depth=1
	s_or_b32 exec_lo, exec_lo, s14
.LBB210_1573:                           ;   in Loop: Header=BB210_1005 Depth=1
	s_delay_alu instid0(SALU_CYCLE_1)
	s_or_b32 exec_lo, exec_lo, s9
.LBB210_1574:                           ;   in Loop: Header=BB210_1005 Depth=1
	s_delay_alu instid0(SALU_CYCLE_1) | instskip(NEXT) | instid1(SALU_CYCLE_1)
	s_or_b32 exec_lo, exec_lo, s8
	s_mov_b32 s8, exec_lo
	v_cmpx_lt_u32_e32 0xffffff, v6
	s_cbranch_execz .LBB210_1582
; %bb.1575:                             ;   in Loop: Header=BB210_1005 Depth=1
	v_mov_b64_e32 v[10:11], 0x8000000000000000
	v_lshrrev_b32_e32 v7, 24, v6
	s_mov_b32 s9, exec_lo
	s_delay_alu instid0(VALU_DEP_1)
	v_cmpx_ne_u32_e32 0x80, v7
	s_cbranch_execz .LBB210_1581
; %bb.1576:                             ;   in Loop: Header=BB210_1005 Depth=1
	v_mov_b64_e32 v[10:11], 0x7f80000100000000
	v_bfe_u32 v14, v6, 24, 7
	s_mov_b32 s14, exec_lo
	s_delay_alu instid0(VALU_DEP_1)
	v_cmpx_ne_u32_e32 0x7f, v14
	s_cbranch_execz .LBB210_1580
; %bb.1577:                             ;   in Loop: Header=BB210_1005 Depth=1
	v_dual_lshrrev_b32 v6, 3, v14 :: v_dual_bitop2_b32 v80, 7, v7 bitop3:0x40
	s_mov_b32 s15, exec_lo
	v_cmpx_gt_u32_e32 8, v14
; %bb.1578:                             ;   in Loop: Header=BB210_1005 Depth=1
	s_delay_alu instid0(VALU_DEP_2) | instskip(NEXT) | instid1(VALU_DEP_1)
	v_clz_i32_u32_e32 v6, v80
	v_min_u32_e32 v6, 32, v6
	s_delay_alu instid0(VALU_DEP_1) | instskip(SKIP_1) | instid1(VALU_DEP_2)
	v_subrev_nc_u32_e32 v10, 28, v6
	v_sub_nc_u32_e32 v6, 29, v6
	v_lshlrev_b64_e32 v[10:11], v10, v[80:81]
	s_delay_alu instid0(VALU_DEP_1)
	v_and_b32_e32 v80, 7, v10
; %bb.1579:                             ;   in Loop: Header=BB210_1005 Depth=1
	s_or_b32 exec_lo, exec_lo, s15
	s_delay_alu instid0(VALU_DEP_1) | instskip(SKIP_1) | instid1(VALU_DEP_2)
	v_dual_lshlrev_b32 v7, 24, v7 :: v_dual_lshlrev_b32 v10, 20, v80
	v_lshl_add_u32 v6, v6, 23, 0x3c000000
	v_and_b32_e32 v7, 0x80000000, v7
	s_delay_alu instid0(VALU_DEP_1)
	v_or3_b32 v11, v10, v7, v6
	v_mov_b32_e32 v10, v81
.LBB210_1580:                           ;   in Loop: Header=BB210_1005 Depth=1
	s_or_b32 exec_lo, exec_lo, s14
.LBB210_1581:                           ;   in Loop: Header=BB210_1005 Depth=1
	s_delay_alu instid0(SALU_CYCLE_1)
	s_or_b32 exec_lo, exec_lo, s9
.LBB210_1582:                           ;   in Loop: Header=BB210_1005 Depth=1
	s_delay_alu instid0(SALU_CYCLE_1) | instskip(SKIP_4) | instid1(VALU_DEP_3)
	s_or_b32 exec_lo, exec_lo, s8
	v_or_b32_e32 v1, v1, v9
	v_or_b32_e32 v0, v0, v8
	;; [unrolled: 1-line block ×4, first 2 shown]
	v_pk_mul_f32 v[108:109], v[68:69], v[0:1]
	s_delay_alu instid0(VALU_DEP_2)
	v_pk_mul_f32 v[106:107], v[68:69], v[6:7]
	s_and_saveexec_b32 s8, vcc_lo
	s_cbranch_execz .LBB210_1584
; %bb.1583:                             ;   in Loop: Header=BB210_1005 Depth=1
	scratch_load_b64 v[0:1], off, s32 offset:192 ; 8-byte Folded Reload
	s_wait_loadcnt 0x0
	v_cmp_lt_i32_e64 s0, v87, v0
	s_delay_alu instid0(VALU_DEP_1) | instskip(SKIP_1) | instid1(VALU_DEP_1)
	v_cndmask_b32_e64 v108, 0, v108, s0
	v_cmp_lt_i32_e64 s0, v96, v0
	v_cndmask_b32_e64 v109, 0, v109, s0
	v_cmp_lt_i32_e64 s0, v98, v0
	s_delay_alu instid0(VALU_DEP_1) | instskip(SKIP_1) | instid1(VALU_DEP_1)
	v_cndmask_b32_e64 v106, 0, v106, s0
	v_cmp_lt_i32_e64 s0, v97, v0
	v_cndmask_b32_e64 v107, 0, v107, s0
.LBB210_1584:                           ;   in Loop: Header=BB210_1005 Depth=1
	s_wait_xcnt 0x0
	s_or_b32 exec_lo, exec_lo, s8
	flat_load_b32 v6, v[82:83] offset:2176
	v_mov_b64_e32 v[0:1], 0
	v_mov_b64_e32 v[8:9], 0
	s_mov_b32 s8, exec_lo
	s_wait_loadcnt_dscnt 0x0
	v_and_b32_e32 v7, 0xff, v6
	s_wait_xcnt 0x0
	s_delay_alu instid0(VALU_DEP_1)
	v_cmpx_ne_u16_e32 0, v7
	s_cbranch_execz .LBB210_1592
; %bb.1585:                             ;   in Loop: Header=BB210_1005 Depth=1
	v_mov_b64_e32 v[8:9], 0x80000000
	s_mov_b32 s9, exec_lo
	v_cmpx_ne_u16_e32 0x80, v7
	s_cbranch_execz .LBB210_1591
; %bb.1586:                             ;   in Loop: Header=BB210_1005 Depth=1
	v_mov_b64_e32 v[8:9], 0x7f800001
	v_and_b32_e32 v10, 0x7f, v6
	s_mov_b32 s14, exec_lo
	s_delay_alu instid0(VALU_DEP_1)
	v_cmpx_ne_u32_e32 0x7f, v10
	s_cbranch_execz .LBB210_1590
; %bb.1587:                             ;   in Loop: Header=BB210_1005 Depth=1
	v_and_b32_e32 v80, 7, v6
	v_lshrrev_b32_e32 v7, 3, v10
	s_mov_b32 s15, exec_lo
	v_cmpx_gt_u32_e32 8, v10
; %bb.1588:                             ;   in Loop: Header=BB210_1005 Depth=1
	s_delay_alu instid0(VALU_DEP_3) | instskip(NEXT) | instid1(VALU_DEP_1)
	v_clz_i32_u32_e32 v7, v80
	v_min_u32_e32 v7, 32, v7
	s_delay_alu instid0(VALU_DEP_1) | instskip(NEXT) | instid1(VALU_DEP_1)
	v_subrev_nc_u32_e32 v8, 28, v7
	v_lshlrev_b64_e32 v[8:9], v8, v[80:81]
	s_delay_alu instid0(VALU_DEP_1)
	v_dual_sub_nc_u32 v7, 29, v7 :: v_dual_bitop2_b32 v80, 7, v8 bitop3:0x40
; %bb.1589:                             ;   in Loop: Header=BB210_1005 Depth=1
	s_or_b32 exec_lo, exec_lo, s15
	s_delay_alu instid0(VALU_DEP_1) | instskip(NEXT) | instid1(VALU_DEP_2)
	v_dual_lshlrev_b32 v8, 24, v6 :: v_dual_lshlrev_b32 v9, 20, v80
	v_lshl_add_u32 v7, v7, 23, 0x3c000000
	s_delay_alu instid0(VALU_DEP_2) | instskip(NEXT) | instid1(VALU_DEP_1)
	v_and_b32_e32 v8, 0x80000000, v8
	v_or3_b32 v80, v9, v8, v7
	s_delay_alu instid0(VALU_DEP_1)
	v_mov_b64_e32 v[8:9], v[80:81]
.LBB210_1590:                           ;   in Loop: Header=BB210_1005 Depth=1
	s_or_b32 exec_lo, exec_lo, s14
.LBB210_1591:                           ;   in Loop: Header=BB210_1005 Depth=1
	s_delay_alu instid0(SALU_CYCLE_1)
	s_or_b32 exec_lo, exec_lo, s9
.LBB210_1592:                           ;   in Loop: Header=BB210_1005 Depth=1
	s_delay_alu instid0(SALU_CYCLE_1) | instskip(SKIP_2) | instid1(VALU_DEP_1)
	s_or_b32 exec_lo, exec_lo, s8
	v_lshrrev_b16 v7, 8, v6
	s_mov_b32 s8, exec_lo
	v_cmpx_ne_u16_e32 0, v7
	s_cbranch_execz .LBB210_1600
; %bb.1593:                             ;   in Loop: Header=BB210_1005 Depth=1
	v_mov_b64_e32 v[0:1], 0x8000000000000000
	s_mov_b32 s9, exec_lo
	v_cmpx_ne_u16_e32 0x80, v7
	s_cbranch_execz .LBB210_1599
; %bb.1594:                             ;   in Loop: Header=BB210_1005 Depth=1
	v_and_b32_e32 v10, 0xffff, v7
	v_mov_b64_e32 v[0:1], 0x7f80000100000000
	s_mov_b32 s14, exec_lo
	s_delay_alu instid0(VALU_DEP_2) | instskip(NEXT) | instid1(VALU_DEP_1)
	v_and_b32_e32 v7, 0x7f, v10
	v_cmpx_ne_u32_e32 0x7f, v7
	s_cbranch_execz .LBB210_1598
; %bb.1595:                             ;   in Loop: Header=BB210_1005 Depth=1
	v_dual_lshrrev_b32 v0, 3, v7 :: v_dual_bitop2_b32 v80, 7, v10 bitop3:0x40
	s_mov_b32 s15, exec_lo
	v_cmpx_gt_u32_e32 8, v7
; %bb.1596:                             ;   in Loop: Header=BB210_1005 Depth=1
	s_delay_alu instid0(VALU_DEP_2) | instskip(NEXT) | instid1(VALU_DEP_1)
	v_clz_i32_u32_e32 v0, v80
	v_min_u32_e32 v0, 32, v0
	s_delay_alu instid0(VALU_DEP_1) | instskip(NEXT) | instid1(VALU_DEP_1)
	v_subrev_nc_u32_e32 v1, 28, v0
	v_lshlrev_b64_e32 v[10:11], v1, v[80:81]
	s_delay_alu instid0(VALU_DEP_1)
	v_dual_sub_nc_u32 v0, 29, v0 :: v_dual_bitop2_b32 v80, 7, v10 bitop3:0x40
; %bb.1597:                             ;   in Loop: Header=BB210_1005 Depth=1
	s_or_b32 exec_lo, exec_lo, s15
	s_delay_alu instid0(VALU_DEP_1) | instskip(NEXT) | instid1(VALU_DEP_2)
	v_dual_lshlrev_b32 v1, 16, v6 :: v_dual_lshlrev_b32 v7, 20, v80
	v_lshl_add_u32 v0, v0, 23, 0x3c000000
	s_delay_alu instid0(VALU_DEP_2) | instskip(NEXT) | instid1(VALU_DEP_1)
	v_and_b32_e32 v1, 0x80000000, v1
	v_or3_b32 v1, v7, v1, v0
	v_mov_b32_e32 v0, v81
.LBB210_1598:                           ;   in Loop: Header=BB210_1005 Depth=1
	s_or_b32 exec_lo, exec_lo, s14
.LBB210_1599:                           ;   in Loop: Header=BB210_1005 Depth=1
	s_delay_alu instid0(SALU_CYCLE_1)
	s_or_b32 exec_lo, exec_lo, s9
.LBB210_1600:                           ;   in Loop: Header=BB210_1005 Depth=1
	s_delay_alu instid0(SALU_CYCLE_1) | instskip(SKIP_4) | instid1(VALU_DEP_3)
	s_or_b32 exec_lo, exec_lo, s8
	v_lshrrev_b32_e32 v7, 16, v6
	v_mov_b64_e32 v[10:11], 0
	v_mov_b64_e32 v[12:13], 0
	s_mov_b32 s8, exec_lo
	v_and_b32_e32 v14, 0xff, v7
	s_delay_alu instid0(VALU_DEP_1)
	v_cmpx_ne_u16_e32 0, v14
	s_cbranch_execz .LBB210_1608
; %bb.1601:                             ;   in Loop: Header=BB210_1005 Depth=1
	v_mov_b64_e32 v[12:13], 0x80000000
	s_mov_b32 s9, exec_lo
	v_cmpx_ne_u16_e32 0x80, v14
	s_cbranch_execz .LBB210_1607
; %bb.1602:                             ;   in Loop: Header=BB210_1005 Depth=1
	v_mov_b64_e32 v[12:13], 0x7f800001
	v_bfe_u32 v14, v6, 16, 7
	s_mov_b32 s14, exec_lo
	s_delay_alu instid0(VALU_DEP_1)
	v_cmpx_ne_u32_e32 0x7f, v14
	s_cbranch_execz .LBB210_1606
; %bb.1603:                             ;   in Loop: Header=BB210_1005 Depth=1
	v_dual_lshrrev_b32 v12, 3, v14 :: v_dual_bitop2_b32 v80, 7, v7 bitop3:0x40
	s_mov_b32 s15, exec_lo
	v_cmpx_gt_u32_e32 8, v14
; %bb.1604:                             ;   in Loop: Header=BB210_1005 Depth=1
	s_delay_alu instid0(VALU_DEP_2) | instskip(NEXT) | instid1(VALU_DEP_1)
	v_clz_i32_u32_e32 v12, v80
	v_min_u32_e32 v12, 32, v12
	s_delay_alu instid0(VALU_DEP_1) | instskip(NEXT) | instid1(VALU_DEP_1)
	v_subrev_nc_u32_e32 v13, 28, v12
	v_lshlrev_b64_e32 v[14:15], v13, v[80:81]
	s_delay_alu instid0(VALU_DEP_1)
	v_dual_sub_nc_u32 v12, 29, v12 :: v_dual_bitop2_b32 v80, 7, v14 bitop3:0x40
; %bb.1605:                             ;   in Loop: Header=BB210_1005 Depth=1
	s_or_b32 exec_lo, exec_lo, s15
	s_delay_alu instid0(VALU_DEP_1) | instskip(NEXT) | instid1(VALU_DEP_2)
	v_dual_lshlrev_b32 v7, 24, v7 :: v_dual_lshlrev_b32 v13, 20, v80
	v_lshl_add_u32 v12, v12, 23, 0x3c000000
	s_delay_alu instid0(VALU_DEP_2) | instskip(NEXT) | instid1(VALU_DEP_1)
	v_and_b32_e32 v7, 0x80000000, v7
	v_or3_b32 v80, v13, v7, v12
	s_delay_alu instid0(VALU_DEP_1)
	v_mov_b64_e32 v[12:13], v[80:81]
.LBB210_1606:                           ;   in Loop: Header=BB210_1005 Depth=1
	s_or_b32 exec_lo, exec_lo, s14
.LBB210_1607:                           ;   in Loop: Header=BB210_1005 Depth=1
	s_delay_alu instid0(SALU_CYCLE_1)
	s_or_b32 exec_lo, exec_lo, s9
.LBB210_1608:                           ;   in Loop: Header=BB210_1005 Depth=1
	s_delay_alu instid0(SALU_CYCLE_1) | instskip(NEXT) | instid1(SALU_CYCLE_1)
	s_or_b32 exec_lo, exec_lo, s8
	s_mov_b32 s8, exec_lo
	v_cmpx_lt_u32_e32 0xffffff, v6
	s_cbranch_execz .LBB210_1616
; %bb.1609:                             ;   in Loop: Header=BB210_1005 Depth=1
	v_mov_b64_e32 v[10:11], 0x8000000000000000
	v_lshrrev_b32_e32 v7, 24, v6
	s_mov_b32 s9, exec_lo
	s_delay_alu instid0(VALU_DEP_1)
	v_cmpx_ne_u32_e32 0x80, v7
	s_cbranch_execz .LBB210_1615
; %bb.1610:                             ;   in Loop: Header=BB210_1005 Depth=1
	v_mov_b64_e32 v[10:11], 0x7f80000100000000
	v_bfe_u32 v14, v6, 24, 7
	s_mov_b32 s14, exec_lo
	s_delay_alu instid0(VALU_DEP_1)
	v_cmpx_ne_u32_e32 0x7f, v14
	s_cbranch_execz .LBB210_1614
; %bb.1611:                             ;   in Loop: Header=BB210_1005 Depth=1
	v_dual_lshrrev_b32 v6, 3, v14 :: v_dual_bitop2_b32 v80, 7, v7 bitop3:0x40
	s_mov_b32 s15, exec_lo
	v_cmpx_gt_u32_e32 8, v14
; %bb.1612:                             ;   in Loop: Header=BB210_1005 Depth=1
	s_delay_alu instid0(VALU_DEP_2) | instskip(NEXT) | instid1(VALU_DEP_1)
	v_clz_i32_u32_e32 v6, v80
	v_min_u32_e32 v6, 32, v6
	s_delay_alu instid0(VALU_DEP_1) | instskip(SKIP_1) | instid1(VALU_DEP_2)
	v_subrev_nc_u32_e32 v10, 28, v6
	v_sub_nc_u32_e32 v6, 29, v6
	v_lshlrev_b64_e32 v[10:11], v10, v[80:81]
	s_delay_alu instid0(VALU_DEP_1)
	v_and_b32_e32 v80, 7, v10
; %bb.1613:                             ;   in Loop: Header=BB210_1005 Depth=1
	s_or_b32 exec_lo, exec_lo, s15
	s_delay_alu instid0(VALU_DEP_1) | instskip(SKIP_1) | instid1(VALU_DEP_2)
	v_dual_lshlrev_b32 v7, 24, v7 :: v_dual_lshlrev_b32 v10, 20, v80
	v_lshl_add_u32 v6, v6, 23, 0x3c000000
	v_and_b32_e32 v7, 0x80000000, v7
	s_delay_alu instid0(VALU_DEP_1)
	v_or3_b32 v11, v10, v7, v6
	v_mov_b32_e32 v10, v81
.LBB210_1614:                           ;   in Loop: Header=BB210_1005 Depth=1
	s_or_b32 exec_lo, exec_lo, s14
.LBB210_1615:                           ;   in Loop: Header=BB210_1005 Depth=1
	s_delay_alu instid0(SALU_CYCLE_1)
	s_or_b32 exec_lo, exec_lo, s9
.LBB210_1616:                           ;   in Loop: Header=BB210_1005 Depth=1
	s_delay_alu instid0(SALU_CYCLE_1) | instskip(SKIP_4) | instid1(VALU_DEP_3)
	s_or_b32 exec_lo, exec_lo, s8
	v_or_b32_e32 v1, v1, v9
	v_or_b32_e32 v0, v0, v8
	;; [unrolled: 1-line block ×4, first 2 shown]
	v_pk_mul_f32 v[120:121], v[68:69], v[0:1]
	s_delay_alu instid0(VALU_DEP_2)
	v_pk_mul_f32 v[110:111], v[68:69], v[6:7]
	s_and_saveexec_b32 s8, vcc_lo
	s_cbranch_execz .LBB210_1618
; %bb.1617:                             ;   in Loop: Header=BB210_1005 Depth=1
	scratch_load_b64 v[0:1], off, s32 offset:192 ; 8-byte Folded Reload
	s_wait_loadcnt 0x0
	v_cmp_lt_i32_e64 s0, v87, v0
	s_delay_alu instid0(VALU_DEP_1) | instskip(SKIP_1) | instid1(VALU_DEP_1)
	v_cndmask_b32_e64 v120, 0, v120, s0
	v_cmp_lt_i32_e64 s0, v96, v0
	v_cndmask_b32_e64 v121, 0, v121, s0
	v_cmp_lt_i32_e64 s0, v98, v0
	s_delay_alu instid0(VALU_DEP_1) | instskip(SKIP_1) | instid1(VALU_DEP_1)
	v_cndmask_b32_e64 v110, 0, v110, s0
	v_cmp_lt_i32_e64 s0, v97, v0
	v_cndmask_b32_e64 v111, 0, v111, s0
.LBB210_1618:                           ;   in Loop: Header=BB210_1005 Depth=1
	s_wait_xcnt 0x0
	s_or_b32 exec_lo, exec_lo, s8
	flat_load_b32 v6, v[82:83] offset:2304
	v_mov_b64_e32 v[0:1], 0
	v_mov_b64_e32 v[8:9], 0
	s_mov_b32 s8, exec_lo
	s_wait_loadcnt_dscnt 0x0
	v_and_b32_e32 v7, 0xff, v6
	s_wait_xcnt 0x0
	s_delay_alu instid0(VALU_DEP_1)
	v_cmpx_ne_u16_e32 0, v7
	s_cbranch_execz .LBB210_1626
; %bb.1619:                             ;   in Loop: Header=BB210_1005 Depth=1
	v_mov_b64_e32 v[8:9], 0x80000000
	s_mov_b32 s9, exec_lo
	v_cmpx_ne_u16_e32 0x80, v7
	s_cbranch_execz .LBB210_1625
; %bb.1620:                             ;   in Loop: Header=BB210_1005 Depth=1
	v_mov_b64_e32 v[8:9], 0x7f800001
	v_and_b32_e32 v10, 0x7f, v6
	s_mov_b32 s14, exec_lo
	s_delay_alu instid0(VALU_DEP_1)
	v_cmpx_ne_u32_e32 0x7f, v10
	s_cbranch_execz .LBB210_1624
; %bb.1621:                             ;   in Loop: Header=BB210_1005 Depth=1
	v_and_b32_e32 v80, 7, v6
	v_lshrrev_b32_e32 v7, 3, v10
	s_mov_b32 s15, exec_lo
	v_cmpx_gt_u32_e32 8, v10
; %bb.1622:                             ;   in Loop: Header=BB210_1005 Depth=1
	s_delay_alu instid0(VALU_DEP_3) | instskip(NEXT) | instid1(VALU_DEP_1)
	v_clz_i32_u32_e32 v7, v80
	v_min_u32_e32 v7, 32, v7
	s_delay_alu instid0(VALU_DEP_1) | instskip(NEXT) | instid1(VALU_DEP_1)
	v_subrev_nc_u32_e32 v8, 28, v7
	v_lshlrev_b64_e32 v[8:9], v8, v[80:81]
	s_delay_alu instid0(VALU_DEP_1)
	v_dual_sub_nc_u32 v7, 29, v7 :: v_dual_bitop2_b32 v80, 7, v8 bitop3:0x40
; %bb.1623:                             ;   in Loop: Header=BB210_1005 Depth=1
	s_or_b32 exec_lo, exec_lo, s15
	s_delay_alu instid0(VALU_DEP_1) | instskip(NEXT) | instid1(VALU_DEP_2)
	v_dual_lshlrev_b32 v8, 24, v6 :: v_dual_lshlrev_b32 v9, 20, v80
	v_lshl_add_u32 v7, v7, 23, 0x3c000000
	s_delay_alu instid0(VALU_DEP_2) | instskip(NEXT) | instid1(VALU_DEP_1)
	v_and_b32_e32 v8, 0x80000000, v8
	v_or3_b32 v80, v9, v8, v7
	s_delay_alu instid0(VALU_DEP_1)
	v_mov_b64_e32 v[8:9], v[80:81]
.LBB210_1624:                           ;   in Loop: Header=BB210_1005 Depth=1
	s_or_b32 exec_lo, exec_lo, s14
.LBB210_1625:                           ;   in Loop: Header=BB210_1005 Depth=1
	s_delay_alu instid0(SALU_CYCLE_1)
	s_or_b32 exec_lo, exec_lo, s9
.LBB210_1626:                           ;   in Loop: Header=BB210_1005 Depth=1
	s_delay_alu instid0(SALU_CYCLE_1) | instskip(SKIP_2) | instid1(VALU_DEP_1)
	s_or_b32 exec_lo, exec_lo, s8
	v_lshrrev_b16 v7, 8, v6
	s_mov_b32 s8, exec_lo
	v_cmpx_ne_u16_e32 0, v7
	s_cbranch_execz .LBB210_1634
; %bb.1627:                             ;   in Loop: Header=BB210_1005 Depth=1
	v_mov_b64_e32 v[0:1], 0x8000000000000000
	s_mov_b32 s9, exec_lo
	v_cmpx_ne_u16_e32 0x80, v7
	s_cbranch_execz .LBB210_1633
; %bb.1628:                             ;   in Loop: Header=BB210_1005 Depth=1
	v_and_b32_e32 v10, 0xffff, v7
	v_mov_b64_e32 v[0:1], 0x7f80000100000000
	s_mov_b32 s14, exec_lo
	s_delay_alu instid0(VALU_DEP_2) | instskip(NEXT) | instid1(VALU_DEP_1)
	v_and_b32_e32 v7, 0x7f, v10
	v_cmpx_ne_u32_e32 0x7f, v7
	s_cbranch_execz .LBB210_1632
; %bb.1629:                             ;   in Loop: Header=BB210_1005 Depth=1
	v_dual_lshrrev_b32 v0, 3, v7 :: v_dual_bitop2_b32 v80, 7, v10 bitop3:0x40
	s_mov_b32 s15, exec_lo
	v_cmpx_gt_u32_e32 8, v7
; %bb.1630:                             ;   in Loop: Header=BB210_1005 Depth=1
	s_delay_alu instid0(VALU_DEP_2) | instskip(NEXT) | instid1(VALU_DEP_1)
	v_clz_i32_u32_e32 v0, v80
	v_min_u32_e32 v0, 32, v0
	s_delay_alu instid0(VALU_DEP_1) | instskip(NEXT) | instid1(VALU_DEP_1)
	v_subrev_nc_u32_e32 v1, 28, v0
	v_lshlrev_b64_e32 v[10:11], v1, v[80:81]
	s_delay_alu instid0(VALU_DEP_1)
	v_dual_sub_nc_u32 v0, 29, v0 :: v_dual_bitop2_b32 v80, 7, v10 bitop3:0x40
; %bb.1631:                             ;   in Loop: Header=BB210_1005 Depth=1
	s_or_b32 exec_lo, exec_lo, s15
	s_delay_alu instid0(VALU_DEP_1) | instskip(NEXT) | instid1(VALU_DEP_2)
	v_dual_lshlrev_b32 v1, 16, v6 :: v_dual_lshlrev_b32 v7, 20, v80
	v_lshl_add_u32 v0, v0, 23, 0x3c000000
	s_delay_alu instid0(VALU_DEP_2) | instskip(NEXT) | instid1(VALU_DEP_1)
	v_and_b32_e32 v1, 0x80000000, v1
	v_or3_b32 v1, v7, v1, v0
	v_mov_b32_e32 v0, v81
.LBB210_1632:                           ;   in Loop: Header=BB210_1005 Depth=1
	s_or_b32 exec_lo, exec_lo, s14
.LBB210_1633:                           ;   in Loop: Header=BB210_1005 Depth=1
	s_delay_alu instid0(SALU_CYCLE_1)
	s_or_b32 exec_lo, exec_lo, s9
.LBB210_1634:                           ;   in Loop: Header=BB210_1005 Depth=1
	s_delay_alu instid0(SALU_CYCLE_1) | instskip(SKIP_4) | instid1(VALU_DEP_3)
	s_or_b32 exec_lo, exec_lo, s8
	v_lshrrev_b32_e32 v7, 16, v6
	v_mov_b64_e32 v[10:11], 0
	v_mov_b64_e32 v[12:13], 0
	s_mov_b32 s8, exec_lo
	v_and_b32_e32 v14, 0xff, v7
	s_delay_alu instid0(VALU_DEP_1)
	v_cmpx_ne_u16_e32 0, v14
	s_cbranch_execz .LBB210_1642
; %bb.1635:                             ;   in Loop: Header=BB210_1005 Depth=1
	v_mov_b64_e32 v[12:13], 0x80000000
	s_mov_b32 s9, exec_lo
	v_cmpx_ne_u16_e32 0x80, v14
	s_cbranch_execz .LBB210_1641
; %bb.1636:                             ;   in Loop: Header=BB210_1005 Depth=1
	v_mov_b64_e32 v[12:13], 0x7f800001
	v_bfe_u32 v14, v6, 16, 7
	s_mov_b32 s14, exec_lo
	s_delay_alu instid0(VALU_DEP_1)
	v_cmpx_ne_u32_e32 0x7f, v14
	s_cbranch_execz .LBB210_1640
; %bb.1637:                             ;   in Loop: Header=BB210_1005 Depth=1
	v_dual_lshrrev_b32 v12, 3, v14 :: v_dual_bitop2_b32 v80, 7, v7 bitop3:0x40
	s_mov_b32 s15, exec_lo
	v_cmpx_gt_u32_e32 8, v14
; %bb.1638:                             ;   in Loop: Header=BB210_1005 Depth=1
	s_delay_alu instid0(VALU_DEP_2) | instskip(NEXT) | instid1(VALU_DEP_1)
	v_clz_i32_u32_e32 v12, v80
	v_min_u32_e32 v12, 32, v12
	s_delay_alu instid0(VALU_DEP_1) | instskip(NEXT) | instid1(VALU_DEP_1)
	v_subrev_nc_u32_e32 v13, 28, v12
	v_lshlrev_b64_e32 v[14:15], v13, v[80:81]
	s_delay_alu instid0(VALU_DEP_1)
	v_dual_sub_nc_u32 v12, 29, v12 :: v_dual_bitop2_b32 v80, 7, v14 bitop3:0x40
; %bb.1639:                             ;   in Loop: Header=BB210_1005 Depth=1
	s_or_b32 exec_lo, exec_lo, s15
	s_delay_alu instid0(VALU_DEP_1) | instskip(NEXT) | instid1(VALU_DEP_2)
	v_dual_lshlrev_b32 v7, 24, v7 :: v_dual_lshlrev_b32 v13, 20, v80
	v_lshl_add_u32 v12, v12, 23, 0x3c000000
	s_delay_alu instid0(VALU_DEP_2) | instskip(NEXT) | instid1(VALU_DEP_1)
	v_and_b32_e32 v7, 0x80000000, v7
	v_or3_b32 v80, v13, v7, v12
	s_delay_alu instid0(VALU_DEP_1)
	v_mov_b64_e32 v[12:13], v[80:81]
.LBB210_1640:                           ;   in Loop: Header=BB210_1005 Depth=1
	s_or_b32 exec_lo, exec_lo, s14
.LBB210_1641:                           ;   in Loop: Header=BB210_1005 Depth=1
	s_delay_alu instid0(SALU_CYCLE_1)
	s_or_b32 exec_lo, exec_lo, s9
.LBB210_1642:                           ;   in Loop: Header=BB210_1005 Depth=1
	s_delay_alu instid0(SALU_CYCLE_1) | instskip(NEXT) | instid1(SALU_CYCLE_1)
	s_or_b32 exec_lo, exec_lo, s8
	s_mov_b32 s8, exec_lo
	v_cmpx_lt_u32_e32 0xffffff, v6
	s_cbranch_execz .LBB210_1650
; %bb.1643:                             ;   in Loop: Header=BB210_1005 Depth=1
	v_mov_b64_e32 v[10:11], 0x8000000000000000
	v_lshrrev_b32_e32 v7, 24, v6
	s_mov_b32 s9, exec_lo
	s_delay_alu instid0(VALU_DEP_1)
	v_cmpx_ne_u32_e32 0x80, v7
	s_cbranch_execz .LBB210_1649
; %bb.1644:                             ;   in Loop: Header=BB210_1005 Depth=1
	v_mov_b64_e32 v[10:11], 0x7f80000100000000
	v_bfe_u32 v14, v6, 24, 7
	s_mov_b32 s14, exec_lo
	s_delay_alu instid0(VALU_DEP_1)
	v_cmpx_ne_u32_e32 0x7f, v14
	s_cbranch_execz .LBB210_1648
; %bb.1645:                             ;   in Loop: Header=BB210_1005 Depth=1
	v_dual_lshrrev_b32 v6, 3, v14 :: v_dual_bitop2_b32 v80, 7, v7 bitop3:0x40
	s_mov_b32 s15, exec_lo
	v_cmpx_gt_u32_e32 8, v14
; %bb.1646:                             ;   in Loop: Header=BB210_1005 Depth=1
	s_delay_alu instid0(VALU_DEP_2) | instskip(NEXT) | instid1(VALU_DEP_1)
	v_clz_i32_u32_e32 v6, v80
	v_min_u32_e32 v6, 32, v6
	s_delay_alu instid0(VALU_DEP_1) | instskip(SKIP_1) | instid1(VALU_DEP_2)
	v_subrev_nc_u32_e32 v10, 28, v6
	v_sub_nc_u32_e32 v6, 29, v6
	v_lshlrev_b64_e32 v[10:11], v10, v[80:81]
	s_delay_alu instid0(VALU_DEP_1)
	v_and_b32_e32 v80, 7, v10
; %bb.1647:                             ;   in Loop: Header=BB210_1005 Depth=1
	s_or_b32 exec_lo, exec_lo, s15
	s_delay_alu instid0(VALU_DEP_1) | instskip(SKIP_1) | instid1(VALU_DEP_2)
	v_dual_lshlrev_b32 v7, 24, v7 :: v_dual_lshlrev_b32 v10, 20, v80
	v_lshl_add_u32 v6, v6, 23, 0x3c000000
	v_and_b32_e32 v7, 0x80000000, v7
	s_delay_alu instid0(VALU_DEP_1)
	v_or3_b32 v11, v10, v7, v6
	v_mov_b32_e32 v10, v81
.LBB210_1648:                           ;   in Loop: Header=BB210_1005 Depth=1
	s_or_b32 exec_lo, exec_lo, s14
.LBB210_1649:                           ;   in Loop: Header=BB210_1005 Depth=1
	s_delay_alu instid0(SALU_CYCLE_1)
	s_or_b32 exec_lo, exec_lo, s9
.LBB210_1650:                           ;   in Loop: Header=BB210_1005 Depth=1
	s_delay_alu instid0(SALU_CYCLE_1) | instskip(SKIP_4) | instid1(VALU_DEP_3)
	s_or_b32 exec_lo, exec_lo, s8
	v_or_b32_e32 v1, v1, v9
	v_or_b32_e32 v0, v0, v8
	v_or_b32_e32 v7, v11, v13
	v_or_b32_e32 v6, v10, v12
	v_pk_mul_f32 v[124:125], v[68:69], v[0:1]
	s_delay_alu instid0(VALU_DEP_2)
	v_pk_mul_f32 v[122:123], v[68:69], v[6:7]
	s_and_saveexec_b32 s8, vcc_lo
	s_cbranch_execz .LBB210_1652
; %bb.1651:                             ;   in Loop: Header=BB210_1005 Depth=1
	scratch_load_b64 v[0:1], off, s32 offset:192 ; 8-byte Folded Reload
	s_wait_loadcnt 0x0
	v_cmp_lt_i32_e64 s0, v87, v0
	s_delay_alu instid0(VALU_DEP_1) | instskip(SKIP_1) | instid1(VALU_DEP_1)
	v_cndmask_b32_e64 v124, 0, v124, s0
	v_cmp_lt_i32_e64 s0, v96, v0
	v_cndmask_b32_e64 v125, 0, v125, s0
	v_cmp_lt_i32_e64 s0, v98, v0
	s_delay_alu instid0(VALU_DEP_1) | instskip(SKIP_1) | instid1(VALU_DEP_1)
	v_cndmask_b32_e64 v122, 0, v122, s0
	v_cmp_lt_i32_e64 s0, v97, v0
	v_cndmask_b32_e64 v123, 0, v123, s0
.LBB210_1652:                           ;   in Loop: Header=BB210_1005 Depth=1
	s_wait_xcnt 0x0
	s_or_b32 exec_lo, exec_lo, s8
	flat_load_b32 v6, v[82:83] offset:2432
	v_mov_b64_e32 v[0:1], 0
	v_mov_b64_e32 v[8:9], 0
	s_mov_b32 s8, exec_lo
	s_wait_loadcnt_dscnt 0x0
	v_and_b32_e32 v7, 0xff, v6
	s_wait_xcnt 0x0
	s_delay_alu instid0(VALU_DEP_1)
	v_cmpx_ne_u16_e32 0, v7
	s_cbranch_execz .LBB210_1660
; %bb.1653:                             ;   in Loop: Header=BB210_1005 Depth=1
	v_mov_b64_e32 v[8:9], 0x80000000
	s_mov_b32 s9, exec_lo
	v_cmpx_ne_u16_e32 0x80, v7
	s_cbranch_execz .LBB210_1659
; %bb.1654:                             ;   in Loop: Header=BB210_1005 Depth=1
	v_mov_b64_e32 v[8:9], 0x7f800001
	v_and_b32_e32 v10, 0x7f, v6
	s_mov_b32 s14, exec_lo
	s_delay_alu instid0(VALU_DEP_1)
	v_cmpx_ne_u32_e32 0x7f, v10
	s_cbranch_execz .LBB210_1658
; %bb.1655:                             ;   in Loop: Header=BB210_1005 Depth=1
	v_and_b32_e32 v80, 7, v6
	v_lshrrev_b32_e32 v7, 3, v10
	s_mov_b32 s15, exec_lo
	v_cmpx_gt_u32_e32 8, v10
; %bb.1656:                             ;   in Loop: Header=BB210_1005 Depth=1
	s_delay_alu instid0(VALU_DEP_3) | instskip(NEXT) | instid1(VALU_DEP_1)
	v_clz_i32_u32_e32 v7, v80
	v_min_u32_e32 v7, 32, v7
	s_delay_alu instid0(VALU_DEP_1) | instskip(NEXT) | instid1(VALU_DEP_1)
	v_subrev_nc_u32_e32 v8, 28, v7
	v_lshlrev_b64_e32 v[8:9], v8, v[80:81]
	s_delay_alu instid0(VALU_DEP_1)
	v_dual_sub_nc_u32 v7, 29, v7 :: v_dual_bitop2_b32 v80, 7, v8 bitop3:0x40
; %bb.1657:                             ;   in Loop: Header=BB210_1005 Depth=1
	s_or_b32 exec_lo, exec_lo, s15
	s_delay_alu instid0(VALU_DEP_1) | instskip(NEXT) | instid1(VALU_DEP_2)
	v_dual_lshlrev_b32 v8, 24, v6 :: v_dual_lshlrev_b32 v9, 20, v80
	v_lshl_add_u32 v7, v7, 23, 0x3c000000
	s_delay_alu instid0(VALU_DEP_2) | instskip(NEXT) | instid1(VALU_DEP_1)
	v_and_b32_e32 v8, 0x80000000, v8
	v_or3_b32 v80, v9, v8, v7
	s_delay_alu instid0(VALU_DEP_1)
	v_mov_b64_e32 v[8:9], v[80:81]
.LBB210_1658:                           ;   in Loop: Header=BB210_1005 Depth=1
	s_or_b32 exec_lo, exec_lo, s14
.LBB210_1659:                           ;   in Loop: Header=BB210_1005 Depth=1
	s_delay_alu instid0(SALU_CYCLE_1)
	s_or_b32 exec_lo, exec_lo, s9
.LBB210_1660:                           ;   in Loop: Header=BB210_1005 Depth=1
	s_delay_alu instid0(SALU_CYCLE_1) | instskip(SKIP_2) | instid1(VALU_DEP_1)
	s_or_b32 exec_lo, exec_lo, s8
	v_lshrrev_b16 v7, 8, v6
	s_mov_b32 s8, exec_lo
	v_cmpx_ne_u16_e32 0, v7
	s_cbranch_execz .LBB210_1668
; %bb.1661:                             ;   in Loop: Header=BB210_1005 Depth=1
	v_mov_b64_e32 v[0:1], 0x8000000000000000
	s_mov_b32 s9, exec_lo
	v_cmpx_ne_u16_e32 0x80, v7
	s_cbranch_execz .LBB210_1667
; %bb.1662:                             ;   in Loop: Header=BB210_1005 Depth=1
	v_and_b32_e32 v10, 0xffff, v7
	v_mov_b64_e32 v[0:1], 0x7f80000100000000
	s_mov_b32 s14, exec_lo
	s_delay_alu instid0(VALU_DEP_2) | instskip(NEXT) | instid1(VALU_DEP_1)
	v_and_b32_e32 v7, 0x7f, v10
	v_cmpx_ne_u32_e32 0x7f, v7
	s_cbranch_execz .LBB210_1666
; %bb.1663:                             ;   in Loop: Header=BB210_1005 Depth=1
	v_dual_lshrrev_b32 v0, 3, v7 :: v_dual_bitop2_b32 v80, 7, v10 bitop3:0x40
	s_mov_b32 s15, exec_lo
	v_cmpx_gt_u32_e32 8, v7
; %bb.1664:                             ;   in Loop: Header=BB210_1005 Depth=1
	s_delay_alu instid0(VALU_DEP_2) | instskip(NEXT) | instid1(VALU_DEP_1)
	v_clz_i32_u32_e32 v0, v80
	v_min_u32_e32 v0, 32, v0
	s_delay_alu instid0(VALU_DEP_1) | instskip(NEXT) | instid1(VALU_DEP_1)
	v_subrev_nc_u32_e32 v1, 28, v0
	v_lshlrev_b64_e32 v[10:11], v1, v[80:81]
	s_delay_alu instid0(VALU_DEP_1)
	v_dual_sub_nc_u32 v0, 29, v0 :: v_dual_bitop2_b32 v80, 7, v10 bitop3:0x40
; %bb.1665:                             ;   in Loop: Header=BB210_1005 Depth=1
	s_or_b32 exec_lo, exec_lo, s15
	s_delay_alu instid0(VALU_DEP_1) | instskip(NEXT) | instid1(VALU_DEP_2)
	v_dual_lshlrev_b32 v1, 16, v6 :: v_dual_lshlrev_b32 v7, 20, v80
	v_lshl_add_u32 v0, v0, 23, 0x3c000000
	s_delay_alu instid0(VALU_DEP_2) | instskip(NEXT) | instid1(VALU_DEP_1)
	v_and_b32_e32 v1, 0x80000000, v1
	v_or3_b32 v1, v7, v1, v0
	v_mov_b32_e32 v0, v81
.LBB210_1666:                           ;   in Loop: Header=BB210_1005 Depth=1
	s_or_b32 exec_lo, exec_lo, s14
.LBB210_1667:                           ;   in Loop: Header=BB210_1005 Depth=1
	s_delay_alu instid0(SALU_CYCLE_1)
	s_or_b32 exec_lo, exec_lo, s9
.LBB210_1668:                           ;   in Loop: Header=BB210_1005 Depth=1
	s_delay_alu instid0(SALU_CYCLE_1) | instskip(SKIP_4) | instid1(VALU_DEP_3)
	s_or_b32 exec_lo, exec_lo, s8
	v_lshrrev_b32_e32 v7, 16, v6
	v_mov_b64_e32 v[10:11], 0
	v_mov_b64_e32 v[12:13], 0
	s_mov_b32 s8, exec_lo
	v_and_b32_e32 v14, 0xff, v7
	s_delay_alu instid0(VALU_DEP_1)
	v_cmpx_ne_u16_e32 0, v14
	s_cbranch_execz .LBB210_1676
; %bb.1669:                             ;   in Loop: Header=BB210_1005 Depth=1
	v_mov_b64_e32 v[12:13], 0x80000000
	s_mov_b32 s9, exec_lo
	v_cmpx_ne_u16_e32 0x80, v14
	s_cbranch_execz .LBB210_1675
; %bb.1670:                             ;   in Loop: Header=BB210_1005 Depth=1
	v_mov_b64_e32 v[12:13], 0x7f800001
	v_bfe_u32 v14, v6, 16, 7
	s_mov_b32 s14, exec_lo
	s_delay_alu instid0(VALU_DEP_1)
	v_cmpx_ne_u32_e32 0x7f, v14
	s_cbranch_execz .LBB210_1674
; %bb.1671:                             ;   in Loop: Header=BB210_1005 Depth=1
	v_dual_lshrrev_b32 v12, 3, v14 :: v_dual_bitop2_b32 v80, 7, v7 bitop3:0x40
	s_mov_b32 s15, exec_lo
	v_cmpx_gt_u32_e32 8, v14
; %bb.1672:                             ;   in Loop: Header=BB210_1005 Depth=1
	s_delay_alu instid0(VALU_DEP_2) | instskip(NEXT) | instid1(VALU_DEP_1)
	v_clz_i32_u32_e32 v12, v80
	v_min_u32_e32 v12, 32, v12
	s_delay_alu instid0(VALU_DEP_1) | instskip(NEXT) | instid1(VALU_DEP_1)
	v_subrev_nc_u32_e32 v13, 28, v12
	v_lshlrev_b64_e32 v[14:15], v13, v[80:81]
	s_delay_alu instid0(VALU_DEP_1)
	v_dual_sub_nc_u32 v12, 29, v12 :: v_dual_bitop2_b32 v80, 7, v14 bitop3:0x40
; %bb.1673:                             ;   in Loop: Header=BB210_1005 Depth=1
	s_or_b32 exec_lo, exec_lo, s15
	s_delay_alu instid0(VALU_DEP_1) | instskip(NEXT) | instid1(VALU_DEP_2)
	v_dual_lshlrev_b32 v7, 24, v7 :: v_dual_lshlrev_b32 v13, 20, v80
	v_lshl_add_u32 v12, v12, 23, 0x3c000000
	s_delay_alu instid0(VALU_DEP_2) | instskip(NEXT) | instid1(VALU_DEP_1)
	v_and_b32_e32 v7, 0x80000000, v7
	v_or3_b32 v80, v13, v7, v12
	s_delay_alu instid0(VALU_DEP_1)
	v_mov_b64_e32 v[12:13], v[80:81]
.LBB210_1674:                           ;   in Loop: Header=BB210_1005 Depth=1
	s_or_b32 exec_lo, exec_lo, s14
.LBB210_1675:                           ;   in Loop: Header=BB210_1005 Depth=1
	s_delay_alu instid0(SALU_CYCLE_1)
	s_or_b32 exec_lo, exec_lo, s9
.LBB210_1676:                           ;   in Loop: Header=BB210_1005 Depth=1
	s_delay_alu instid0(SALU_CYCLE_1) | instskip(NEXT) | instid1(SALU_CYCLE_1)
	s_or_b32 exec_lo, exec_lo, s8
	s_mov_b32 s8, exec_lo
	v_cmpx_lt_u32_e32 0xffffff, v6
	s_cbranch_execz .LBB210_1684
; %bb.1677:                             ;   in Loop: Header=BB210_1005 Depth=1
	v_mov_b64_e32 v[10:11], 0x8000000000000000
	v_lshrrev_b32_e32 v7, 24, v6
	s_mov_b32 s9, exec_lo
	s_delay_alu instid0(VALU_DEP_1)
	v_cmpx_ne_u32_e32 0x80, v7
	s_cbranch_execz .LBB210_1683
; %bb.1678:                             ;   in Loop: Header=BB210_1005 Depth=1
	v_mov_b64_e32 v[10:11], 0x7f80000100000000
	v_bfe_u32 v14, v6, 24, 7
	s_mov_b32 s14, exec_lo
	s_delay_alu instid0(VALU_DEP_1)
	v_cmpx_ne_u32_e32 0x7f, v14
	s_cbranch_execz .LBB210_1682
; %bb.1679:                             ;   in Loop: Header=BB210_1005 Depth=1
	v_dual_lshrrev_b32 v6, 3, v14 :: v_dual_bitop2_b32 v80, 7, v7 bitop3:0x40
	s_mov_b32 s15, exec_lo
	v_cmpx_gt_u32_e32 8, v14
; %bb.1680:                             ;   in Loop: Header=BB210_1005 Depth=1
	s_delay_alu instid0(VALU_DEP_2) | instskip(NEXT) | instid1(VALU_DEP_1)
	v_clz_i32_u32_e32 v6, v80
	v_min_u32_e32 v6, 32, v6
	s_delay_alu instid0(VALU_DEP_1) | instskip(SKIP_1) | instid1(VALU_DEP_2)
	v_subrev_nc_u32_e32 v10, 28, v6
	v_sub_nc_u32_e32 v6, 29, v6
	v_lshlrev_b64_e32 v[10:11], v10, v[80:81]
	s_delay_alu instid0(VALU_DEP_1)
	v_and_b32_e32 v80, 7, v10
; %bb.1681:                             ;   in Loop: Header=BB210_1005 Depth=1
	s_or_b32 exec_lo, exec_lo, s15
	s_delay_alu instid0(VALU_DEP_1) | instskip(SKIP_1) | instid1(VALU_DEP_2)
	v_dual_lshlrev_b32 v7, 24, v7 :: v_dual_lshlrev_b32 v10, 20, v80
	v_lshl_add_u32 v6, v6, 23, 0x3c000000
	v_and_b32_e32 v7, 0x80000000, v7
	s_delay_alu instid0(VALU_DEP_1)
	v_or3_b32 v11, v10, v7, v6
	v_mov_b32_e32 v10, v81
.LBB210_1682:                           ;   in Loop: Header=BB210_1005 Depth=1
	s_or_b32 exec_lo, exec_lo, s14
.LBB210_1683:                           ;   in Loop: Header=BB210_1005 Depth=1
	s_delay_alu instid0(SALU_CYCLE_1)
	s_or_b32 exec_lo, exec_lo, s9
.LBB210_1684:                           ;   in Loop: Header=BB210_1005 Depth=1
	s_delay_alu instid0(SALU_CYCLE_1) | instskip(SKIP_4) | instid1(VALU_DEP_3)
	s_or_b32 exec_lo, exec_lo, s8
	v_or_b32_e32 v1, v1, v9
	v_or_b32_e32 v0, v0, v8
	v_or_b32_e32 v7, v11, v13
	v_or_b32_e32 v6, v10, v12
	v_pk_mul_f32 v[52:53], v[68:69], v[0:1]
	s_delay_alu instid0(VALU_DEP_2)
	v_pk_mul_f32 v[126:127], v[68:69], v[6:7]
	s_and_saveexec_b32 s8, vcc_lo
	s_cbranch_execz .LBB210_1686
; %bb.1685:                             ;   in Loop: Header=BB210_1005 Depth=1
	scratch_load_b64 v[0:1], off, s32 offset:192 ; 8-byte Folded Reload
	s_wait_loadcnt 0x0
	v_cmp_lt_i32_e64 s0, v87, v0
	s_delay_alu instid0(VALU_DEP_1) | instskip(SKIP_1) | instid1(VALU_DEP_1)
	v_cndmask_b32_e64 v52, 0, v52, s0
	v_cmp_lt_i32_e64 s0, v96, v0
	v_cndmask_b32_e64 v53, 0, v53, s0
	v_cmp_lt_i32_e64 s0, v98, v0
	s_delay_alu instid0(VALU_DEP_1) | instskip(SKIP_1) | instid1(VALU_DEP_1)
	v_cndmask_b32_e64 v126, 0, v126, s0
	v_cmp_lt_i32_e64 s0, v97, v0
	v_cndmask_b32_e64 v127, 0, v127, s0
.LBB210_1686:                           ;   in Loop: Header=BB210_1005 Depth=1
	s_wait_xcnt 0x0
	s_or_b32 exec_lo, exec_lo, s8
	flat_load_b32 v6, v[82:83] offset:2560
	v_mov_b64_e32 v[0:1], 0
	v_mov_b64_e32 v[8:9], 0
	s_mov_b32 s8, exec_lo
	s_wait_loadcnt_dscnt 0x0
	v_and_b32_e32 v7, 0xff, v6
	s_wait_xcnt 0x0
	s_delay_alu instid0(VALU_DEP_1)
	v_cmpx_ne_u16_e32 0, v7
	s_cbranch_execz .LBB210_1694
; %bb.1687:                             ;   in Loop: Header=BB210_1005 Depth=1
	v_mov_b64_e32 v[8:9], 0x80000000
	s_mov_b32 s9, exec_lo
	v_cmpx_ne_u16_e32 0x80, v7
	s_cbranch_execz .LBB210_1693
; %bb.1688:                             ;   in Loop: Header=BB210_1005 Depth=1
	v_mov_b64_e32 v[8:9], 0x7f800001
	v_and_b32_e32 v10, 0x7f, v6
	s_mov_b32 s14, exec_lo
	s_delay_alu instid0(VALU_DEP_1)
	v_cmpx_ne_u32_e32 0x7f, v10
	s_cbranch_execz .LBB210_1692
; %bb.1689:                             ;   in Loop: Header=BB210_1005 Depth=1
	v_and_b32_e32 v80, 7, v6
	v_lshrrev_b32_e32 v7, 3, v10
	s_mov_b32 s15, exec_lo
	v_cmpx_gt_u32_e32 8, v10
; %bb.1690:                             ;   in Loop: Header=BB210_1005 Depth=1
	s_delay_alu instid0(VALU_DEP_3) | instskip(NEXT) | instid1(VALU_DEP_1)
	v_clz_i32_u32_e32 v7, v80
	v_min_u32_e32 v7, 32, v7
	s_delay_alu instid0(VALU_DEP_1) | instskip(NEXT) | instid1(VALU_DEP_1)
	v_subrev_nc_u32_e32 v8, 28, v7
	v_lshlrev_b64_e32 v[8:9], v8, v[80:81]
	s_delay_alu instid0(VALU_DEP_1)
	v_dual_sub_nc_u32 v7, 29, v7 :: v_dual_bitop2_b32 v80, 7, v8 bitop3:0x40
; %bb.1691:                             ;   in Loop: Header=BB210_1005 Depth=1
	s_or_b32 exec_lo, exec_lo, s15
	s_delay_alu instid0(VALU_DEP_1) | instskip(NEXT) | instid1(VALU_DEP_2)
	v_dual_lshlrev_b32 v8, 24, v6 :: v_dual_lshlrev_b32 v9, 20, v80
	v_lshl_add_u32 v7, v7, 23, 0x3c000000
	s_delay_alu instid0(VALU_DEP_2) | instskip(NEXT) | instid1(VALU_DEP_1)
	v_and_b32_e32 v8, 0x80000000, v8
	v_or3_b32 v80, v9, v8, v7
	s_delay_alu instid0(VALU_DEP_1)
	v_mov_b64_e32 v[8:9], v[80:81]
.LBB210_1692:                           ;   in Loop: Header=BB210_1005 Depth=1
	s_or_b32 exec_lo, exec_lo, s14
.LBB210_1693:                           ;   in Loop: Header=BB210_1005 Depth=1
	s_delay_alu instid0(SALU_CYCLE_1)
	s_or_b32 exec_lo, exec_lo, s9
.LBB210_1694:                           ;   in Loop: Header=BB210_1005 Depth=1
	s_delay_alu instid0(SALU_CYCLE_1) | instskip(SKIP_2) | instid1(VALU_DEP_1)
	s_or_b32 exec_lo, exec_lo, s8
	v_lshrrev_b16 v7, 8, v6
	s_mov_b32 s8, exec_lo
	v_cmpx_ne_u16_e32 0, v7
	s_cbranch_execz .LBB210_1702
; %bb.1695:                             ;   in Loop: Header=BB210_1005 Depth=1
	v_mov_b64_e32 v[0:1], 0x8000000000000000
	s_mov_b32 s9, exec_lo
	v_cmpx_ne_u16_e32 0x80, v7
	s_cbranch_execz .LBB210_1701
; %bb.1696:                             ;   in Loop: Header=BB210_1005 Depth=1
	v_and_b32_e32 v10, 0xffff, v7
	v_mov_b64_e32 v[0:1], 0x7f80000100000000
	s_mov_b32 s14, exec_lo
	s_delay_alu instid0(VALU_DEP_2) | instskip(NEXT) | instid1(VALU_DEP_1)
	v_and_b32_e32 v7, 0x7f, v10
	v_cmpx_ne_u32_e32 0x7f, v7
	s_cbranch_execz .LBB210_1700
; %bb.1697:                             ;   in Loop: Header=BB210_1005 Depth=1
	v_dual_lshrrev_b32 v0, 3, v7 :: v_dual_bitop2_b32 v80, 7, v10 bitop3:0x40
	s_mov_b32 s15, exec_lo
	v_cmpx_gt_u32_e32 8, v7
; %bb.1698:                             ;   in Loop: Header=BB210_1005 Depth=1
	s_delay_alu instid0(VALU_DEP_2) | instskip(NEXT) | instid1(VALU_DEP_1)
	v_clz_i32_u32_e32 v0, v80
	v_min_u32_e32 v0, 32, v0
	s_delay_alu instid0(VALU_DEP_1) | instskip(NEXT) | instid1(VALU_DEP_1)
	v_subrev_nc_u32_e32 v1, 28, v0
	v_lshlrev_b64_e32 v[10:11], v1, v[80:81]
	s_delay_alu instid0(VALU_DEP_1)
	v_dual_sub_nc_u32 v0, 29, v0 :: v_dual_bitop2_b32 v80, 7, v10 bitop3:0x40
; %bb.1699:                             ;   in Loop: Header=BB210_1005 Depth=1
	s_or_b32 exec_lo, exec_lo, s15
	s_delay_alu instid0(VALU_DEP_1) | instskip(NEXT) | instid1(VALU_DEP_2)
	v_dual_lshlrev_b32 v1, 16, v6 :: v_dual_lshlrev_b32 v7, 20, v80
	v_lshl_add_u32 v0, v0, 23, 0x3c000000
	s_delay_alu instid0(VALU_DEP_2) | instskip(NEXT) | instid1(VALU_DEP_1)
	v_and_b32_e32 v1, 0x80000000, v1
	v_or3_b32 v1, v7, v1, v0
	v_mov_b32_e32 v0, v81
.LBB210_1700:                           ;   in Loop: Header=BB210_1005 Depth=1
	s_or_b32 exec_lo, exec_lo, s14
.LBB210_1701:                           ;   in Loop: Header=BB210_1005 Depth=1
	s_delay_alu instid0(SALU_CYCLE_1)
	s_or_b32 exec_lo, exec_lo, s9
.LBB210_1702:                           ;   in Loop: Header=BB210_1005 Depth=1
	s_delay_alu instid0(SALU_CYCLE_1) | instskip(SKIP_4) | instid1(VALU_DEP_3)
	s_or_b32 exec_lo, exec_lo, s8
	v_lshrrev_b32_e32 v7, 16, v6
	v_mov_b64_e32 v[10:11], 0
	v_mov_b64_e32 v[12:13], 0
	s_mov_b32 s8, exec_lo
	v_and_b32_e32 v14, 0xff, v7
	s_delay_alu instid0(VALU_DEP_1)
	v_cmpx_ne_u16_e32 0, v14
	s_cbranch_execz .LBB210_1710
; %bb.1703:                             ;   in Loop: Header=BB210_1005 Depth=1
	v_mov_b64_e32 v[12:13], 0x80000000
	s_mov_b32 s9, exec_lo
	v_cmpx_ne_u16_e32 0x80, v14
	s_cbranch_execz .LBB210_1709
; %bb.1704:                             ;   in Loop: Header=BB210_1005 Depth=1
	v_mov_b64_e32 v[12:13], 0x7f800001
	v_bfe_u32 v14, v6, 16, 7
	s_mov_b32 s14, exec_lo
	s_delay_alu instid0(VALU_DEP_1)
	v_cmpx_ne_u32_e32 0x7f, v14
	s_cbranch_execz .LBB210_1708
; %bb.1705:                             ;   in Loop: Header=BB210_1005 Depth=1
	v_dual_lshrrev_b32 v12, 3, v14 :: v_dual_bitop2_b32 v80, 7, v7 bitop3:0x40
	s_mov_b32 s15, exec_lo
	v_cmpx_gt_u32_e32 8, v14
; %bb.1706:                             ;   in Loop: Header=BB210_1005 Depth=1
	s_delay_alu instid0(VALU_DEP_2) | instskip(NEXT) | instid1(VALU_DEP_1)
	v_clz_i32_u32_e32 v12, v80
	v_min_u32_e32 v12, 32, v12
	s_delay_alu instid0(VALU_DEP_1) | instskip(NEXT) | instid1(VALU_DEP_1)
	v_subrev_nc_u32_e32 v13, 28, v12
	v_lshlrev_b64_e32 v[14:15], v13, v[80:81]
	s_delay_alu instid0(VALU_DEP_1)
	v_dual_sub_nc_u32 v12, 29, v12 :: v_dual_bitop2_b32 v80, 7, v14 bitop3:0x40
; %bb.1707:                             ;   in Loop: Header=BB210_1005 Depth=1
	s_or_b32 exec_lo, exec_lo, s15
	s_delay_alu instid0(VALU_DEP_1) | instskip(NEXT) | instid1(VALU_DEP_2)
	v_dual_lshlrev_b32 v7, 24, v7 :: v_dual_lshlrev_b32 v13, 20, v80
	v_lshl_add_u32 v12, v12, 23, 0x3c000000
	s_delay_alu instid0(VALU_DEP_2) | instskip(NEXT) | instid1(VALU_DEP_1)
	v_and_b32_e32 v7, 0x80000000, v7
	v_or3_b32 v80, v13, v7, v12
	s_delay_alu instid0(VALU_DEP_1)
	v_mov_b64_e32 v[12:13], v[80:81]
.LBB210_1708:                           ;   in Loop: Header=BB210_1005 Depth=1
	s_or_b32 exec_lo, exec_lo, s14
.LBB210_1709:                           ;   in Loop: Header=BB210_1005 Depth=1
	s_delay_alu instid0(SALU_CYCLE_1)
	s_or_b32 exec_lo, exec_lo, s9
.LBB210_1710:                           ;   in Loop: Header=BB210_1005 Depth=1
	s_delay_alu instid0(SALU_CYCLE_1) | instskip(NEXT) | instid1(SALU_CYCLE_1)
	s_or_b32 exec_lo, exec_lo, s8
	s_mov_b32 s8, exec_lo
	v_cmpx_lt_u32_e32 0xffffff, v6
	s_cbranch_execz .LBB210_1718
; %bb.1711:                             ;   in Loop: Header=BB210_1005 Depth=1
	v_mov_b64_e32 v[10:11], 0x8000000000000000
	v_lshrrev_b32_e32 v7, 24, v6
	s_mov_b32 s9, exec_lo
	s_delay_alu instid0(VALU_DEP_1)
	v_cmpx_ne_u32_e32 0x80, v7
	s_cbranch_execz .LBB210_1717
; %bb.1712:                             ;   in Loop: Header=BB210_1005 Depth=1
	v_mov_b64_e32 v[10:11], 0x7f80000100000000
	v_bfe_u32 v14, v6, 24, 7
	s_mov_b32 s14, exec_lo
	s_delay_alu instid0(VALU_DEP_1)
	v_cmpx_ne_u32_e32 0x7f, v14
	s_cbranch_execz .LBB210_1716
; %bb.1713:                             ;   in Loop: Header=BB210_1005 Depth=1
	v_dual_lshrrev_b32 v6, 3, v14 :: v_dual_bitop2_b32 v80, 7, v7 bitop3:0x40
	s_mov_b32 s15, exec_lo
	v_cmpx_gt_u32_e32 8, v14
; %bb.1714:                             ;   in Loop: Header=BB210_1005 Depth=1
	s_delay_alu instid0(VALU_DEP_2) | instskip(NEXT) | instid1(VALU_DEP_1)
	v_clz_i32_u32_e32 v6, v80
	v_min_u32_e32 v6, 32, v6
	s_delay_alu instid0(VALU_DEP_1) | instskip(SKIP_1) | instid1(VALU_DEP_2)
	v_subrev_nc_u32_e32 v10, 28, v6
	v_sub_nc_u32_e32 v6, 29, v6
	v_lshlrev_b64_e32 v[10:11], v10, v[80:81]
	s_delay_alu instid0(VALU_DEP_1)
	v_and_b32_e32 v80, 7, v10
; %bb.1715:                             ;   in Loop: Header=BB210_1005 Depth=1
	s_or_b32 exec_lo, exec_lo, s15
	s_delay_alu instid0(VALU_DEP_1) | instskip(SKIP_1) | instid1(VALU_DEP_2)
	v_dual_lshlrev_b32 v7, 24, v7 :: v_dual_lshlrev_b32 v10, 20, v80
	v_lshl_add_u32 v6, v6, 23, 0x3c000000
	v_and_b32_e32 v7, 0x80000000, v7
	s_delay_alu instid0(VALU_DEP_1)
	v_or3_b32 v11, v10, v7, v6
	v_mov_b32_e32 v10, v81
.LBB210_1716:                           ;   in Loop: Header=BB210_1005 Depth=1
	s_or_b32 exec_lo, exec_lo, s14
.LBB210_1717:                           ;   in Loop: Header=BB210_1005 Depth=1
	s_delay_alu instid0(SALU_CYCLE_1)
	s_or_b32 exec_lo, exec_lo, s9
.LBB210_1718:                           ;   in Loop: Header=BB210_1005 Depth=1
	s_delay_alu instid0(SALU_CYCLE_1) | instskip(SKIP_4) | instid1(VALU_DEP_3)
	s_or_b32 exec_lo, exec_lo, s8
	v_or_b32_e32 v1, v1, v9
	v_or_b32_e32 v0, v0, v8
	;; [unrolled: 1-line block ×4, first 2 shown]
	v_pk_mul_f32 v[10:11], v[68:69], v[0:1]
	s_delay_alu instid0(VALU_DEP_2)
	v_pk_mul_f32 v[54:55], v[68:69], v[6:7]
	s_and_saveexec_b32 s8, vcc_lo
	s_cbranch_execz .LBB210_1720
; %bb.1719:                             ;   in Loop: Header=BB210_1005 Depth=1
	scratch_load_b64 v[0:1], off, s32 offset:192 ; 8-byte Folded Reload
	s_wait_loadcnt 0x0
	v_cmp_lt_i32_e64 s0, v87, v0
	s_delay_alu instid0(VALU_DEP_1) | instskip(SKIP_1) | instid1(VALU_DEP_1)
	v_cndmask_b32_e64 v10, 0, v10, s0
	v_cmp_lt_i32_e64 s0, v96, v0
	v_cndmask_b32_e64 v11, 0, v11, s0
	v_cmp_lt_i32_e64 s0, v98, v0
	s_delay_alu instid0(VALU_DEP_1) | instskip(SKIP_1) | instid1(VALU_DEP_1)
	v_cndmask_b32_e64 v54, 0, v54, s0
	v_cmp_lt_i32_e64 s0, v97, v0
	v_cndmask_b32_e64 v55, 0, v55, s0
.LBB210_1720:                           ;   in Loop: Header=BB210_1005 Depth=1
	s_wait_xcnt 0x0
	s_or_b32 exec_lo, exec_lo, s8
	flat_load_b32 v6, v[82:83] offset:2688
	v_mov_b64_e32 v[0:1], 0
	v_mov_b64_e32 v[8:9], 0
	s_mov_b32 s8, exec_lo
	s_wait_loadcnt_dscnt 0x0
	v_and_b32_e32 v7, 0xff, v6
	s_wait_xcnt 0x0
	s_delay_alu instid0(VALU_DEP_1)
	v_cmpx_ne_u16_e32 0, v7
	s_cbranch_execz .LBB210_1728
; %bb.1721:                             ;   in Loop: Header=BB210_1005 Depth=1
	v_mov_b64_e32 v[8:9], 0x80000000
	s_mov_b32 s9, exec_lo
	v_cmpx_ne_u16_e32 0x80, v7
	s_cbranch_execz .LBB210_1727
; %bb.1722:                             ;   in Loop: Header=BB210_1005 Depth=1
	v_mov_b64_e32 v[8:9], 0x7f800001
	v_and_b32_e32 v12, 0x7f, v6
	s_mov_b32 s14, exec_lo
	s_delay_alu instid0(VALU_DEP_1)
	v_cmpx_ne_u32_e32 0x7f, v12
	s_cbranch_execz .LBB210_1726
; %bb.1723:                             ;   in Loop: Header=BB210_1005 Depth=1
	v_dual_lshrrev_b32 v7, 3, v12 :: v_dual_bitop2_b32 v80, 7, v6 bitop3:0x40
	s_mov_b32 s15, exec_lo
	v_cmpx_gt_u32_e32 8, v12
; %bb.1724:                             ;   in Loop: Header=BB210_1005 Depth=1
	s_delay_alu instid0(VALU_DEP_2) | instskip(NEXT) | instid1(VALU_DEP_1)
	v_clz_i32_u32_e32 v7, v80
	v_min_u32_e32 v7, 32, v7
	s_delay_alu instid0(VALU_DEP_1) | instskip(NEXT) | instid1(VALU_DEP_1)
	v_subrev_nc_u32_e32 v8, 28, v7
	v_lshlrev_b64_e32 v[8:9], v8, v[80:81]
	s_delay_alu instid0(VALU_DEP_1)
	v_dual_sub_nc_u32 v7, 29, v7 :: v_dual_bitop2_b32 v80, 7, v8 bitop3:0x40
; %bb.1725:                             ;   in Loop: Header=BB210_1005 Depth=1
	s_or_b32 exec_lo, exec_lo, s15
	s_delay_alu instid0(VALU_DEP_1) | instskip(NEXT) | instid1(VALU_DEP_2)
	v_dual_lshlrev_b32 v8, 24, v6 :: v_dual_lshlrev_b32 v9, 20, v80
	v_lshl_add_u32 v7, v7, 23, 0x3c000000
	s_delay_alu instid0(VALU_DEP_2) | instskip(NEXT) | instid1(VALU_DEP_1)
	v_and_b32_e32 v8, 0x80000000, v8
	v_or3_b32 v80, v9, v8, v7
	s_delay_alu instid0(VALU_DEP_1)
	v_mov_b64_e32 v[8:9], v[80:81]
.LBB210_1726:                           ;   in Loop: Header=BB210_1005 Depth=1
	s_or_b32 exec_lo, exec_lo, s14
.LBB210_1727:                           ;   in Loop: Header=BB210_1005 Depth=1
	s_delay_alu instid0(SALU_CYCLE_1)
	s_or_b32 exec_lo, exec_lo, s9
.LBB210_1728:                           ;   in Loop: Header=BB210_1005 Depth=1
	s_delay_alu instid0(SALU_CYCLE_1) | instskip(SKIP_2) | instid1(VALU_DEP_1)
	s_or_b32 exec_lo, exec_lo, s8
	v_lshrrev_b16 v7, 8, v6
	s_mov_b32 s8, exec_lo
	v_cmpx_ne_u16_e32 0, v7
	s_cbranch_execz .LBB210_1736
; %bb.1729:                             ;   in Loop: Header=BB210_1005 Depth=1
	v_mov_b64_e32 v[0:1], 0x8000000000000000
	s_mov_b32 s9, exec_lo
	v_cmpx_ne_u16_e32 0x80, v7
	s_cbranch_execz .LBB210_1735
; %bb.1730:                             ;   in Loop: Header=BB210_1005 Depth=1
	v_and_b32_e32 v12, 0xffff, v7
	v_mov_b64_e32 v[0:1], 0x7f80000100000000
	s_mov_b32 s14, exec_lo
	s_delay_alu instid0(VALU_DEP_2) | instskip(NEXT) | instid1(VALU_DEP_1)
	v_and_b32_e32 v7, 0x7f, v12
	v_cmpx_ne_u32_e32 0x7f, v7
	s_cbranch_execz .LBB210_1734
; %bb.1731:                             ;   in Loop: Header=BB210_1005 Depth=1
	v_dual_lshrrev_b32 v0, 3, v7 :: v_dual_bitop2_b32 v80, 7, v12 bitop3:0x40
	s_mov_b32 s15, exec_lo
	v_cmpx_gt_u32_e32 8, v7
; %bb.1732:                             ;   in Loop: Header=BB210_1005 Depth=1
	s_delay_alu instid0(VALU_DEP_2) | instskip(NEXT) | instid1(VALU_DEP_1)
	v_clz_i32_u32_e32 v0, v80
	v_min_u32_e32 v0, 32, v0
	s_delay_alu instid0(VALU_DEP_1) | instskip(SKIP_1) | instid1(VALU_DEP_2)
	v_subrev_nc_u32_e32 v1, 28, v0
	v_sub_nc_u32_e32 v0, 29, v0
	v_lshlrev_b64_e32 v[12:13], v1, v[80:81]
	s_delay_alu instid0(VALU_DEP_1)
	v_and_b32_e32 v80, 7, v12
; %bb.1733:                             ;   in Loop: Header=BB210_1005 Depth=1
	s_or_b32 exec_lo, exec_lo, s15
	s_delay_alu instid0(VALU_DEP_1) | instskip(SKIP_1) | instid1(VALU_DEP_2)
	v_dual_lshlrev_b32 v1, 16, v6 :: v_dual_lshlrev_b32 v7, 20, v80
	v_lshl_add_u32 v0, v0, 23, 0x3c000000
	v_and_b32_e32 v1, 0x80000000, v1
	s_delay_alu instid0(VALU_DEP_1)
	v_or3_b32 v1, v7, v1, v0
	v_mov_b32_e32 v0, v81
.LBB210_1734:                           ;   in Loop: Header=BB210_1005 Depth=1
	s_or_b32 exec_lo, exec_lo, s14
.LBB210_1735:                           ;   in Loop: Header=BB210_1005 Depth=1
	s_delay_alu instid0(SALU_CYCLE_1)
	s_or_b32 exec_lo, exec_lo, s9
.LBB210_1736:                           ;   in Loop: Header=BB210_1005 Depth=1
	s_delay_alu instid0(SALU_CYCLE_1) | instskip(SKIP_4) | instid1(VALU_DEP_3)
	s_or_b32 exec_lo, exec_lo, s8
	v_lshrrev_b32_e32 v7, 16, v6
	v_mov_b64_e32 v[12:13], 0
	v_mov_b64_e32 v[14:15], 0
	s_mov_b32 s8, exec_lo
	v_and_b32_e32 v16, 0xff, v7
	s_delay_alu instid0(VALU_DEP_1)
	v_cmpx_ne_u16_e32 0, v16
	s_cbranch_execz .LBB210_1744
; %bb.1737:                             ;   in Loop: Header=BB210_1005 Depth=1
	v_mov_b64_e32 v[14:15], 0x80000000
	s_mov_b32 s9, exec_lo
	v_cmpx_ne_u16_e32 0x80, v16
	s_cbranch_execz .LBB210_1743
; %bb.1738:                             ;   in Loop: Header=BB210_1005 Depth=1
	v_mov_b64_e32 v[14:15], 0x7f800001
	v_bfe_u32 v16, v6, 16, 7
	s_mov_b32 s14, exec_lo
	s_delay_alu instid0(VALU_DEP_1)
	v_cmpx_ne_u32_e32 0x7f, v16
	s_cbranch_execz .LBB210_1742
; %bb.1739:                             ;   in Loop: Header=BB210_1005 Depth=1
	v_dual_lshrrev_b32 v14, 3, v16 :: v_dual_bitop2_b32 v80, 7, v7 bitop3:0x40
	s_mov_b32 s15, exec_lo
	v_cmpx_gt_u32_e32 8, v16
; %bb.1740:                             ;   in Loop: Header=BB210_1005 Depth=1
	s_delay_alu instid0(VALU_DEP_2) | instskip(NEXT) | instid1(VALU_DEP_1)
	v_clz_i32_u32_e32 v14, v80
	v_min_u32_e32 v14, 32, v14
	s_delay_alu instid0(VALU_DEP_1) | instskip(NEXT) | instid1(VALU_DEP_1)
	v_subrev_nc_u32_e32 v15, 28, v14
	v_lshlrev_b64_e32 v[16:17], v15, v[80:81]
	s_delay_alu instid0(VALU_DEP_1)
	v_dual_sub_nc_u32 v14, 29, v14 :: v_dual_bitop2_b32 v80, 7, v16 bitop3:0x40
; %bb.1741:                             ;   in Loop: Header=BB210_1005 Depth=1
	s_or_b32 exec_lo, exec_lo, s15
	s_delay_alu instid0(VALU_DEP_1) | instskip(NEXT) | instid1(VALU_DEP_2)
	v_dual_lshlrev_b32 v7, 24, v7 :: v_dual_lshlrev_b32 v15, 20, v80
	v_lshl_add_u32 v14, v14, 23, 0x3c000000
	s_delay_alu instid0(VALU_DEP_2) | instskip(NEXT) | instid1(VALU_DEP_1)
	v_and_b32_e32 v7, 0x80000000, v7
	v_or3_b32 v80, v15, v7, v14
	s_delay_alu instid0(VALU_DEP_1)
	v_mov_b64_e32 v[14:15], v[80:81]
.LBB210_1742:                           ;   in Loop: Header=BB210_1005 Depth=1
	s_or_b32 exec_lo, exec_lo, s14
.LBB210_1743:                           ;   in Loop: Header=BB210_1005 Depth=1
	s_delay_alu instid0(SALU_CYCLE_1)
	s_or_b32 exec_lo, exec_lo, s9
.LBB210_1744:                           ;   in Loop: Header=BB210_1005 Depth=1
	s_delay_alu instid0(SALU_CYCLE_1) | instskip(NEXT) | instid1(SALU_CYCLE_1)
	s_or_b32 exec_lo, exec_lo, s8
	s_mov_b32 s8, exec_lo
	v_cmpx_lt_u32_e32 0xffffff, v6
	s_cbranch_execz .LBB210_1752
; %bb.1745:                             ;   in Loop: Header=BB210_1005 Depth=1
	v_mov_b64_e32 v[12:13], 0x8000000000000000
	v_lshrrev_b32_e32 v7, 24, v6
	s_mov_b32 s9, exec_lo
	s_delay_alu instid0(VALU_DEP_1)
	v_cmpx_ne_u32_e32 0x80, v7
	s_cbranch_execz .LBB210_1751
; %bb.1746:                             ;   in Loop: Header=BB210_1005 Depth=1
	v_mov_b64_e32 v[12:13], 0x7f80000100000000
	v_bfe_u32 v16, v6, 24, 7
	s_mov_b32 s14, exec_lo
	s_delay_alu instid0(VALU_DEP_1)
	v_cmpx_ne_u32_e32 0x7f, v16
	s_cbranch_execz .LBB210_1750
; %bb.1747:                             ;   in Loop: Header=BB210_1005 Depth=1
	v_dual_lshrrev_b32 v6, 3, v16 :: v_dual_bitop2_b32 v80, 7, v7 bitop3:0x40
	s_mov_b32 s15, exec_lo
	v_cmpx_gt_u32_e32 8, v16
; %bb.1748:                             ;   in Loop: Header=BB210_1005 Depth=1
	s_delay_alu instid0(VALU_DEP_2) | instskip(NEXT) | instid1(VALU_DEP_1)
	v_clz_i32_u32_e32 v6, v80
	v_min_u32_e32 v6, 32, v6
	s_delay_alu instid0(VALU_DEP_1) | instskip(NEXT) | instid1(VALU_DEP_1)
	v_subrev_nc_u32_e32 v12, 28, v6
	v_lshlrev_b64_e32 v[12:13], v12, v[80:81]
	s_delay_alu instid0(VALU_DEP_1)
	v_dual_sub_nc_u32 v6, 29, v6 :: v_dual_bitop2_b32 v80, 7, v12 bitop3:0x40
; %bb.1749:                             ;   in Loop: Header=BB210_1005 Depth=1
	s_or_b32 exec_lo, exec_lo, s15
	s_delay_alu instid0(VALU_DEP_1) | instskip(NEXT) | instid1(VALU_DEP_2)
	v_dual_lshlrev_b32 v7, 24, v7 :: v_dual_lshlrev_b32 v12, 20, v80
	v_lshl_add_u32 v6, v6, 23, 0x3c000000
	s_delay_alu instid0(VALU_DEP_2) | instskip(NEXT) | instid1(VALU_DEP_1)
	v_and_b32_e32 v7, 0x80000000, v7
	v_or3_b32 v13, v12, v7, v6
	v_mov_b32_e32 v12, v81
.LBB210_1750:                           ;   in Loop: Header=BB210_1005 Depth=1
	s_or_b32 exec_lo, exec_lo, s14
.LBB210_1751:                           ;   in Loop: Header=BB210_1005 Depth=1
	s_delay_alu instid0(SALU_CYCLE_1)
	s_or_b32 exec_lo, exec_lo, s9
.LBB210_1752:                           ;   in Loop: Header=BB210_1005 Depth=1
	s_delay_alu instid0(SALU_CYCLE_1) | instskip(SKIP_4) | instid1(VALU_DEP_3)
	s_or_b32 exec_lo, exec_lo, s8
	v_or_b32_e32 v1, v1, v9
	v_or_b32_e32 v0, v0, v8
	;; [unrolled: 1-line block ×4, first 2 shown]
	v_pk_mul_f32 v[14:15], v[68:69], v[0:1]
	s_delay_alu instid0(VALU_DEP_2)
	v_pk_mul_f32 v[12:13], v[68:69], v[6:7]
	s_and_saveexec_b32 s8, vcc_lo
	s_cbranch_execz .LBB210_1754
; %bb.1753:                             ;   in Loop: Header=BB210_1005 Depth=1
	scratch_load_b64 v[0:1], off, s32 offset:192 ; 8-byte Folded Reload
	s_wait_loadcnt 0x0
	v_cmp_lt_i32_e64 s0, v87, v0
	s_delay_alu instid0(VALU_DEP_1) | instskip(SKIP_1) | instid1(VALU_DEP_1)
	v_cndmask_b32_e64 v14, 0, v14, s0
	v_cmp_lt_i32_e64 s0, v96, v0
	v_cndmask_b32_e64 v15, 0, v15, s0
	v_cmp_lt_i32_e64 s0, v98, v0
	s_delay_alu instid0(VALU_DEP_1) | instskip(SKIP_1) | instid1(VALU_DEP_1)
	v_cndmask_b32_e64 v12, 0, v12, s0
	v_cmp_lt_i32_e64 s0, v97, v0
	v_cndmask_b32_e64 v13, 0, v13, s0
.LBB210_1754:                           ;   in Loop: Header=BB210_1005 Depth=1
	s_wait_xcnt 0x0
	s_or_b32 exec_lo, exec_lo, s8
	flat_load_b32 v6, v[82:83] offset:2816
	v_mov_b64_e32 v[0:1], 0
	v_mov_b64_e32 v[8:9], 0
	s_mov_b32 s8, exec_lo
	s_wait_loadcnt_dscnt 0x0
	v_and_b32_e32 v7, 0xff, v6
	s_wait_xcnt 0x0
	s_delay_alu instid0(VALU_DEP_1)
	v_cmpx_ne_u16_e32 0, v7
	s_cbranch_execz .LBB210_1762
; %bb.1755:                             ;   in Loop: Header=BB210_1005 Depth=1
	v_mov_b64_e32 v[8:9], 0x80000000
	s_mov_b32 s9, exec_lo
	v_cmpx_ne_u16_e32 0x80, v7
	s_cbranch_execz .LBB210_1761
; %bb.1756:                             ;   in Loop: Header=BB210_1005 Depth=1
	v_mov_b64_e32 v[8:9], 0x7f800001
	v_and_b32_e32 v16, 0x7f, v6
	s_mov_b32 s14, exec_lo
	s_delay_alu instid0(VALU_DEP_1)
	v_cmpx_ne_u32_e32 0x7f, v16
	s_cbranch_execz .LBB210_1760
; %bb.1757:                             ;   in Loop: Header=BB210_1005 Depth=1
	v_dual_lshrrev_b32 v7, 3, v16 :: v_dual_bitop2_b32 v80, 7, v6 bitop3:0x40
	s_mov_b32 s15, exec_lo
	v_cmpx_gt_u32_e32 8, v16
; %bb.1758:                             ;   in Loop: Header=BB210_1005 Depth=1
	s_delay_alu instid0(VALU_DEP_2) | instskip(NEXT) | instid1(VALU_DEP_1)
	v_clz_i32_u32_e32 v7, v80
	v_min_u32_e32 v7, 32, v7
	s_delay_alu instid0(VALU_DEP_1) | instskip(NEXT) | instid1(VALU_DEP_1)
	v_subrev_nc_u32_e32 v8, 28, v7
	v_lshlrev_b64_e32 v[8:9], v8, v[80:81]
	s_delay_alu instid0(VALU_DEP_1)
	v_dual_sub_nc_u32 v7, 29, v7 :: v_dual_bitop2_b32 v80, 7, v8 bitop3:0x40
; %bb.1759:                             ;   in Loop: Header=BB210_1005 Depth=1
	s_or_b32 exec_lo, exec_lo, s15
	s_delay_alu instid0(VALU_DEP_1) | instskip(NEXT) | instid1(VALU_DEP_2)
	v_dual_lshlrev_b32 v8, 24, v6 :: v_dual_lshlrev_b32 v9, 20, v80
	v_lshl_add_u32 v7, v7, 23, 0x3c000000
	s_delay_alu instid0(VALU_DEP_2) | instskip(NEXT) | instid1(VALU_DEP_1)
	v_and_b32_e32 v8, 0x80000000, v8
	v_or3_b32 v80, v9, v8, v7
	s_delay_alu instid0(VALU_DEP_1)
	v_mov_b64_e32 v[8:9], v[80:81]
.LBB210_1760:                           ;   in Loop: Header=BB210_1005 Depth=1
	s_or_b32 exec_lo, exec_lo, s14
.LBB210_1761:                           ;   in Loop: Header=BB210_1005 Depth=1
	s_delay_alu instid0(SALU_CYCLE_1)
	s_or_b32 exec_lo, exec_lo, s9
.LBB210_1762:                           ;   in Loop: Header=BB210_1005 Depth=1
	s_delay_alu instid0(SALU_CYCLE_1) | instskip(SKIP_2) | instid1(VALU_DEP_1)
	s_or_b32 exec_lo, exec_lo, s8
	v_lshrrev_b16 v7, 8, v6
	s_mov_b32 s8, exec_lo
	v_cmpx_ne_u16_e32 0, v7
	s_cbranch_execz .LBB210_1770
; %bb.1763:                             ;   in Loop: Header=BB210_1005 Depth=1
	v_mov_b64_e32 v[0:1], 0x8000000000000000
	s_mov_b32 s9, exec_lo
	v_cmpx_ne_u16_e32 0x80, v7
	s_cbranch_execz .LBB210_1769
; %bb.1764:                             ;   in Loop: Header=BB210_1005 Depth=1
	v_and_b32_e32 v16, 0xffff, v7
	v_mov_b64_e32 v[0:1], 0x7f80000100000000
	s_mov_b32 s14, exec_lo
	s_delay_alu instid0(VALU_DEP_2) | instskip(NEXT) | instid1(VALU_DEP_1)
	v_and_b32_e32 v7, 0x7f, v16
	v_cmpx_ne_u32_e32 0x7f, v7
	s_cbranch_execz .LBB210_1768
; %bb.1765:                             ;   in Loop: Header=BB210_1005 Depth=1
	v_dual_lshrrev_b32 v0, 3, v7 :: v_dual_bitop2_b32 v80, 7, v16 bitop3:0x40
	s_mov_b32 s15, exec_lo
	v_cmpx_gt_u32_e32 8, v7
; %bb.1766:                             ;   in Loop: Header=BB210_1005 Depth=1
	s_delay_alu instid0(VALU_DEP_2) | instskip(NEXT) | instid1(VALU_DEP_1)
	v_clz_i32_u32_e32 v0, v80
	v_min_u32_e32 v0, 32, v0
	s_delay_alu instid0(VALU_DEP_1) | instskip(SKIP_1) | instid1(VALU_DEP_2)
	v_subrev_nc_u32_e32 v1, 28, v0
	v_sub_nc_u32_e32 v0, 29, v0
	v_lshlrev_b64_e32 v[16:17], v1, v[80:81]
	s_delay_alu instid0(VALU_DEP_1)
	v_and_b32_e32 v80, 7, v16
; %bb.1767:                             ;   in Loop: Header=BB210_1005 Depth=1
	s_or_b32 exec_lo, exec_lo, s15
	s_delay_alu instid0(VALU_DEP_1) | instskip(SKIP_1) | instid1(VALU_DEP_2)
	v_dual_lshlrev_b32 v1, 16, v6 :: v_dual_lshlrev_b32 v7, 20, v80
	v_lshl_add_u32 v0, v0, 23, 0x3c000000
	v_and_b32_e32 v1, 0x80000000, v1
	s_delay_alu instid0(VALU_DEP_1)
	v_or3_b32 v1, v7, v1, v0
	v_mov_b32_e32 v0, v81
.LBB210_1768:                           ;   in Loop: Header=BB210_1005 Depth=1
	s_or_b32 exec_lo, exec_lo, s14
.LBB210_1769:                           ;   in Loop: Header=BB210_1005 Depth=1
	s_delay_alu instid0(SALU_CYCLE_1)
	s_or_b32 exec_lo, exec_lo, s9
.LBB210_1770:                           ;   in Loop: Header=BB210_1005 Depth=1
	s_delay_alu instid0(SALU_CYCLE_1) | instskip(SKIP_4) | instid1(VALU_DEP_3)
	s_or_b32 exec_lo, exec_lo, s8
	v_lshrrev_b32_e32 v7, 16, v6
	v_mov_b64_e32 v[16:17], 0
	v_mov_b64_e32 v[18:19], 0
	s_mov_b32 s8, exec_lo
	v_and_b32_e32 v21, 0xff, v7
	s_delay_alu instid0(VALU_DEP_1)
	v_cmpx_ne_u16_e32 0, v21
	s_cbranch_execz .LBB210_1778
; %bb.1771:                             ;   in Loop: Header=BB210_1005 Depth=1
	v_mov_b64_e32 v[18:19], 0x80000000
	s_mov_b32 s9, exec_lo
	v_cmpx_ne_u16_e32 0x80, v21
	s_cbranch_execz .LBB210_1777
; %bb.1772:                             ;   in Loop: Header=BB210_1005 Depth=1
	v_mov_b64_e32 v[18:19], 0x7f800001
	v_bfe_u32 v21, v6, 16, 7
	s_mov_b32 s14, exec_lo
	s_delay_alu instid0(VALU_DEP_1)
	v_cmpx_ne_u32_e32 0x7f, v21
	s_cbranch_execz .LBB210_1776
; %bb.1773:                             ;   in Loop: Header=BB210_1005 Depth=1
	v_dual_lshrrev_b32 v18, 3, v21 :: v_dual_bitop2_b32 v80, 7, v7 bitop3:0x40
	s_mov_b32 s15, exec_lo
	v_cmpx_gt_u32_e32 8, v21
; %bb.1774:                             ;   in Loop: Header=BB210_1005 Depth=1
	s_delay_alu instid0(VALU_DEP_2) | instskip(NEXT) | instid1(VALU_DEP_1)
	v_clz_i32_u32_e32 v18, v80
	v_min_u32_e32 v18, 32, v18
	s_delay_alu instid0(VALU_DEP_1) | instskip(NEXT) | instid1(VALU_DEP_1)
	v_subrev_nc_u32_e32 v19, 28, v18
	v_lshlrev_b64_e32 v[20:21], v19, v[80:81]
	s_delay_alu instid0(VALU_DEP_1)
	v_dual_sub_nc_u32 v18, 29, v18 :: v_dual_bitop2_b32 v80, 7, v20 bitop3:0x40
; %bb.1775:                             ;   in Loop: Header=BB210_1005 Depth=1
	s_or_b32 exec_lo, exec_lo, s15
	s_delay_alu instid0(VALU_DEP_1) | instskip(NEXT) | instid1(VALU_DEP_2)
	v_dual_lshlrev_b32 v7, 24, v7 :: v_dual_lshlrev_b32 v19, 20, v80
	v_lshl_add_u32 v18, v18, 23, 0x3c000000
	s_delay_alu instid0(VALU_DEP_2) | instskip(NEXT) | instid1(VALU_DEP_1)
	v_and_b32_e32 v7, 0x80000000, v7
	v_or3_b32 v80, v19, v7, v18
	s_delay_alu instid0(VALU_DEP_1)
	v_mov_b64_e32 v[18:19], v[80:81]
.LBB210_1776:                           ;   in Loop: Header=BB210_1005 Depth=1
	s_or_b32 exec_lo, exec_lo, s14
.LBB210_1777:                           ;   in Loop: Header=BB210_1005 Depth=1
	s_delay_alu instid0(SALU_CYCLE_1)
	s_or_b32 exec_lo, exec_lo, s9
.LBB210_1778:                           ;   in Loop: Header=BB210_1005 Depth=1
	s_delay_alu instid0(SALU_CYCLE_1) | instskip(NEXT) | instid1(SALU_CYCLE_1)
	s_or_b32 exec_lo, exec_lo, s8
	s_mov_b32 s8, exec_lo
	v_cmpx_lt_u32_e32 0xffffff, v6
	s_cbranch_execz .LBB210_1786
; %bb.1779:                             ;   in Loop: Header=BB210_1005 Depth=1
	v_mov_b64_e32 v[16:17], 0x8000000000000000
	v_lshrrev_b32_e32 v7, 24, v6
	s_mov_b32 s9, exec_lo
	s_delay_alu instid0(VALU_DEP_1)
	v_cmpx_ne_u32_e32 0x80, v7
	s_cbranch_execz .LBB210_1785
; %bb.1780:                             ;   in Loop: Header=BB210_1005 Depth=1
	v_mov_b64_e32 v[16:17], 0x7f80000100000000
	v_bfe_u32 v21, v6, 24, 7
	s_mov_b32 s14, exec_lo
	s_delay_alu instid0(VALU_DEP_1)
	v_cmpx_ne_u32_e32 0x7f, v21
	s_cbranch_execz .LBB210_1784
; %bb.1781:                             ;   in Loop: Header=BB210_1005 Depth=1
	v_dual_lshrrev_b32 v6, 3, v21 :: v_dual_bitop2_b32 v80, 7, v7 bitop3:0x40
	s_mov_b32 s15, exec_lo
	v_cmpx_gt_u32_e32 8, v21
; %bb.1782:                             ;   in Loop: Header=BB210_1005 Depth=1
	s_delay_alu instid0(VALU_DEP_2) | instskip(NEXT) | instid1(VALU_DEP_1)
	v_clz_i32_u32_e32 v6, v80
	v_min_u32_e32 v6, 32, v6
	s_delay_alu instid0(VALU_DEP_1) | instskip(NEXT) | instid1(VALU_DEP_1)
	v_subrev_nc_u32_e32 v16, 28, v6
	v_lshlrev_b64_e32 v[16:17], v16, v[80:81]
	s_delay_alu instid0(VALU_DEP_1)
	v_dual_sub_nc_u32 v6, 29, v6 :: v_dual_bitop2_b32 v80, 7, v16 bitop3:0x40
; %bb.1783:                             ;   in Loop: Header=BB210_1005 Depth=1
	s_or_b32 exec_lo, exec_lo, s15
	s_delay_alu instid0(VALU_DEP_1) | instskip(NEXT) | instid1(VALU_DEP_2)
	v_dual_lshlrev_b32 v7, 24, v7 :: v_dual_lshlrev_b32 v16, 20, v80
	v_lshl_add_u32 v6, v6, 23, 0x3c000000
	s_delay_alu instid0(VALU_DEP_2) | instskip(NEXT) | instid1(VALU_DEP_1)
	v_and_b32_e32 v7, 0x80000000, v7
	v_or3_b32 v17, v16, v7, v6
	v_mov_b32_e32 v16, v81
.LBB210_1784:                           ;   in Loop: Header=BB210_1005 Depth=1
	s_or_b32 exec_lo, exec_lo, s14
.LBB210_1785:                           ;   in Loop: Header=BB210_1005 Depth=1
	s_delay_alu instid0(SALU_CYCLE_1)
	s_or_b32 exec_lo, exec_lo, s9
.LBB210_1786:                           ;   in Loop: Header=BB210_1005 Depth=1
	s_delay_alu instid0(SALU_CYCLE_1) | instskip(SKIP_4) | instid1(VALU_DEP_3)
	s_or_b32 exec_lo, exec_lo, s8
	v_or_b32_e32 v1, v1, v9
	v_or_b32_e32 v0, v0, v8
	;; [unrolled: 1-line block ×4, first 2 shown]
	v_pk_mul_f32 v[18:19], v[68:69], v[0:1]
	s_delay_alu instid0(VALU_DEP_2)
	v_pk_mul_f32 v[16:17], v[68:69], v[6:7]
	s_and_saveexec_b32 s8, vcc_lo
	s_cbranch_execz .LBB210_1788
; %bb.1787:                             ;   in Loop: Header=BB210_1005 Depth=1
	scratch_load_b64 v[0:1], off, s32 offset:192 ; 8-byte Folded Reload
	s_wait_loadcnt 0x0
	v_cmp_lt_i32_e64 s0, v87, v0
	s_delay_alu instid0(VALU_DEP_1) | instskip(SKIP_1) | instid1(VALU_DEP_1)
	v_cndmask_b32_e64 v18, 0, v18, s0
	v_cmp_lt_i32_e64 s0, v96, v0
	v_cndmask_b32_e64 v19, 0, v19, s0
	v_cmp_lt_i32_e64 s0, v98, v0
	s_delay_alu instid0(VALU_DEP_1) | instskip(SKIP_1) | instid1(VALU_DEP_1)
	v_cndmask_b32_e64 v16, 0, v16, s0
	v_cmp_lt_i32_e64 s0, v97, v0
	v_cndmask_b32_e64 v17, 0, v17, s0
.LBB210_1788:                           ;   in Loop: Header=BB210_1005 Depth=1
	s_wait_xcnt 0x0
	s_or_b32 exec_lo, exec_lo, s8
	flat_load_b32 v6, v[82:83] offset:2944
	v_mov_b64_e32 v[0:1], 0
	v_mov_b64_e32 v[8:9], 0
	s_mov_b32 s8, exec_lo
	s_wait_loadcnt_dscnt 0x0
	v_and_b32_e32 v7, 0xff, v6
	s_wait_xcnt 0x0
	s_delay_alu instid0(VALU_DEP_1)
	v_cmpx_ne_u16_e32 0, v7
	s_cbranch_execz .LBB210_1796
; %bb.1789:                             ;   in Loop: Header=BB210_1005 Depth=1
	v_mov_b64_e32 v[8:9], 0x80000000
	s_mov_b32 s9, exec_lo
	v_cmpx_ne_u16_e32 0x80, v7
	s_cbranch_execz .LBB210_1795
; %bb.1790:                             ;   in Loop: Header=BB210_1005 Depth=1
	v_mov_b64_e32 v[8:9], 0x7f800001
	v_and_b32_e32 v21, 0x7f, v6
	s_mov_b32 s14, exec_lo
	s_delay_alu instid0(VALU_DEP_1)
	v_cmpx_ne_u32_e32 0x7f, v21
	s_cbranch_execz .LBB210_1794
; %bb.1791:                             ;   in Loop: Header=BB210_1005 Depth=1
	v_dual_lshrrev_b32 v7, 3, v21 :: v_dual_bitop2_b32 v80, 7, v6 bitop3:0x40
	s_mov_b32 s15, exec_lo
	v_cmpx_gt_u32_e32 8, v21
; %bb.1792:                             ;   in Loop: Header=BB210_1005 Depth=1
	s_delay_alu instid0(VALU_DEP_2) | instskip(NEXT) | instid1(VALU_DEP_1)
	v_clz_i32_u32_e32 v7, v80
	v_min_u32_e32 v7, 32, v7
	s_delay_alu instid0(VALU_DEP_1) | instskip(NEXT) | instid1(VALU_DEP_1)
	v_subrev_nc_u32_e32 v8, 28, v7
	v_lshlrev_b64_e32 v[8:9], v8, v[80:81]
	s_delay_alu instid0(VALU_DEP_1)
	v_dual_sub_nc_u32 v7, 29, v7 :: v_dual_bitop2_b32 v80, 7, v8 bitop3:0x40
; %bb.1793:                             ;   in Loop: Header=BB210_1005 Depth=1
	s_or_b32 exec_lo, exec_lo, s15
	s_delay_alu instid0(VALU_DEP_1) | instskip(NEXT) | instid1(VALU_DEP_2)
	v_dual_lshlrev_b32 v8, 24, v6 :: v_dual_lshlrev_b32 v9, 20, v80
	v_lshl_add_u32 v7, v7, 23, 0x3c000000
	s_delay_alu instid0(VALU_DEP_2) | instskip(NEXT) | instid1(VALU_DEP_1)
	v_and_b32_e32 v8, 0x80000000, v8
	v_or3_b32 v80, v9, v8, v7
	s_delay_alu instid0(VALU_DEP_1)
	v_mov_b64_e32 v[8:9], v[80:81]
.LBB210_1794:                           ;   in Loop: Header=BB210_1005 Depth=1
	s_or_b32 exec_lo, exec_lo, s14
.LBB210_1795:                           ;   in Loop: Header=BB210_1005 Depth=1
	s_delay_alu instid0(SALU_CYCLE_1)
	s_or_b32 exec_lo, exec_lo, s9
.LBB210_1796:                           ;   in Loop: Header=BB210_1005 Depth=1
	s_delay_alu instid0(SALU_CYCLE_1) | instskip(SKIP_2) | instid1(VALU_DEP_1)
	s_or_b32 exec_lo, exec_lo, s8
	v_lshrrev_b16 v7, 8, v6
	s_mov_b32 s8, exec_lo
	v_cmpx_ne_u16_e32 0, v7
	s_cbranch_execz .LBB210_1804
; %bb.1797:                             ;   in Loop: Header=BB210_1005 Depth=1
	v_mov_b64_e32 v[0:1], 0x8000000000000000
	s_mov_b32 s9, exec_lo
	v_cmpx_ne_u16_e32 0x80, v7
	s_cbranch_execz .LBB210_1803
; %bb.1798:                             ;   in Loop: Header=BB210_1005 Depth=1
	v_and_b32_e32 v21, 0xffff, v7
	v_mov_b64_e32 v[0:1], 0x7f80000100000000
	s_mov_b32 s14, exec_lo
	s_delay_alu instid0(VALU_DEP_2) | instskip(NEXT) | instid1(VALU_DEP_1)
	v_and_b32_e32 v7, 0x7f, v21
	v_cmpx_ne_u32_e32 0x7f, v7
	s_cbranch_execz .LBB210_1802
; %bb.1799:                             ;   in Loop: Header=BB210_1005 Depth=1
	v_dual_lshrrev_b32 v0, 3, v7 :: v_dual_bitop2_b32 v80, 7, v21 bitop3:0x40
	s_mov_b32 s15, exec_lo
	v_cmpx_gt_u32_e32 8, v7
; %bb.1800:                             ;   in Loop: Header=BB210_1005 Depth=1
	s_delay_alu instid0(VALU_DEP_2) | instskip(NEXT) | instid1(VALU_DEP_1)
	v_clz_i32_u32_e32 v0, v80
	v_min_u32_e32 v0, 32, v0
	s_delay_alu instid0(VALU_DEP_1) | instskip(SKIP_1) | instid1(VALU_DEP_2)
	v_subrev_nc_u32_e32 v1, 28, v0
	v_sub_nc_u32_e32 v0, 29, v0
	v_lshlrev_b64_e32 v[20:21], v1, v[80:81]
	s_delay_alu instid0(VALU_DEP_1)
	v_and_b32_e32 v80, 7, v20
; %bb.1801:                             ;   in Loop: Header=BB210_1005 Depth=1
	s_or_b32 exec_lo, exec_lo, s15
	s_delay_alu instid0(VALU_DEP_1) | instskip(SKIP_1) | instid1(VALU_DEP_2)
	v_dual_lshlrev_b32 v1, 16, v6 :: v_dual_lshlrev_b32 v7, 20, v80
	v_lshl_add_u32 v0, v0, 23, 0x3c000000
	v_and_b32_e32 v1, 0x80000000, v1
	s_delay_alu instid0(VALU_DEP_1)
	v_or3_b32 v1, v7, v1, v0
	v_mov_b32_e32 v0, v81
.LBB210_1802:                           ;   in Loop: Header=BB210_1005 Depth=1
	s_or_b32 exec_lo, exec_lo, s14
.LBB210_1803:                           ;   in Loop: Header=BB210_1005 Depth=1
	s_delay_alu instid0(SALU_CYCLE_1)
	s_or_b32 exec_lo, exec_lo, s9
.LBB210_1804:                           ;   in Loop: Header=BB210_1005 Depth=1
	s_delay_alu instid0(SALU_CYCLE_1) | instskip(SKIP_4) | instid1(VALU_DEP_3)
	s_or_b32 exec_lo, exec_lo, s8
	v_lshrrev_b32_e32 v7, 16, v6
	v_mov_b64_e32 v[24:25], 0
	v_mov_b64_e32 v[26:27], 0
	s_mov_b32 s8, exec_lo
	v_and_b32_e32 v21, 0xff, v7
	s_delay_alu instid0(VALU_DEP_1)
	v_cmpx_ne_u16_e32 0, v21
	s_cbranch_execz .LBB210_1812
; %bb.1805:                             ;   in Loop: Header=BB210_1005 Depth=1
	v_mov_b64_e32 v[26:27], 0x80000000
	s_mov_b32 s9, exec_lo
	v_cmpx_ne_u16_e32 0x80, v21
	s_cbranch_execz .LBB210_1811
; %bb.1806:                             ;   in Loop: Header=BB210_1005 Depth=1
	v_mov_b64_e32 v[26:27], 0x7f800001
	v_bfe_u32 v21, v6, 16, 7
	s_mov_b32 s14, exec_lo
	s_delay_alu instid0(VALU_DEP_1)
	v_cmpx_ne_u32_e32 0x7f, v21
	s_cbranch_execz .LBB210_1810
; %bb.1807:                             ;   in Loop: Header=BB210_1005 Depth=1
	v_dual_lshrrev_b32 v26, 3, v21 :: v_dual_bitop2_b32 v80, 7, v7 bitop3:0x40
	s_mov_b32 s15, exec_lo
	v_cmpx_gt_u32_e32 8, v21
; %bb.1808:                             ;   in Loop: Header=BB210_1005 Depth=1
	s_delay_alu instid0(VALU_DEP_2) | instskip(NEXT) | instid1(VALU_DEP_1)
	v_clz_i32_u32_e32 v20, v80
	v_min_u32_e32 v26, 32, v20
	s_delay_alu instid0(VALU_DEP_1) | instskip(NEXT) | instid1(VALU_DEP_1)
	v_subrev_nc_u32_e32 v20, 28, v26
	v_lshlrev_b64_e32 v[20:21], v20, v[80:81]
	s_delay_alu instid0(VALU_DEP_1)
	v_dual_sub_nc_u32 v26, 29, v26 :: v_dual_bitop2_b32 v80, 7, v20 bitop3:0x40
; %bb.1809:                             ;   in Loop: Header=BB210_1005 Depth=1
	s_or_b32 exec_lo, exec_lo, s15
	s_delay_alu instid0(VALU_DEP_1) | instskip(NEXT) | instid1(VALU_DEP_2)
	v_dual_lshlrev_b32 v7, 24, v7 :: v_dual_lshlrev_b32 v20, 20, v80
	v_lshl_add_u32 v21, v26, 23, 0x3c000000
	s_delay_alu instid0(VALU_DEP_2) | instskip(NEXT) | instid1(VALU_DEP_1)
	v_and_b32_e32 v7, 0x80000000, v7
	v_or3_b32 v80, v20, v7, v21
	s_delay_alu instid0(VALU_DEP_1)
	v_mov_b64_e32 v[26:27], v[80:81]
.LBB210_1810:                           ;   in Loop: Header=BB210_1005 Depth=1
	s_or_b32 exec_lo, exec_lo, s14
.LBB210_1811:                           ;   in Loop: Header=BB210_1005 Depth=1
	s_delay_alu instid0(SALU_CYCLE_1)
	s_or_b32 exec_lo, exec_lo, s9
.LBB210_1812:                           ;   in Loop: Header=BB210_1005 Depth=1
	s_delay_alu instid0(SALU_CYCLE_1) | instskip(NEXT) | instid1(SALU_CYCLE_1)
	s_or_b32 exec_lo, exec_lo, s8
	s_mov_b32 s8, exec_lo
	v_cmpx_lt_u32_e32 0xffffff, v6
	s_cbranch_execz .LBB210_1820
; %bb.1813:                             ;   in Loop: Header=BB210_1005 Depth=1
	v_mov_b64_e32 v[24:25], 0x8000000000000000
	v_lshrrev_b32_e32 v7, 24, v6
	s_mov_b32 s9, exec_lo
	s_delay_alu instid0(VALU_DEP_1)
	v_cmpx_ne_u32_e32 0x80, v7
	s_cbranch_execz .LBB210_1819
; %bb.1814:                             ;   in Loop: Header=BB210_1005 Depth=1
	v_mov_b64_e32 v[24:25], 0x7f80000100000000
	v_bfe_u32 v21, v6, 24, 7
	s_mov_b32 s14, exec_lo
	s_delay_alu instid0(VALU_DEP_1)
	v_cmpx_ne_u32_e32 0x7f, v21
	s_cbranch_execz .LBB210_1818
; %bb.1815:                             ;   in Loop: Header=BB210_1005 Depth=1
	v_dual_lshrrev_b32 v6, 3, v21 :: v_dual_bitop2_b32 v80, 7, v7 bitop3:0x40
	s_mov_b32 s15, exec_lo
	v_cmpx_gt_u32_e32 8, v21
; %bb.1816:                             ;   in Loop: Header=BB210_1005 Depth=1
	s_delay_alu instid0(VALU_DEP_2) | instskip(NEXT) | instid1(VALU_DEP_1)
	v_clz_i32_u32_e32 v6, v80
	v_min_u32_e32 v6, 32, v6
	s_delay_alu instid0(VALU_DEP_1) | instskip(NEXT) | instid1(VALU_DEP_1)
	v_subrev_nc_u32_e32 v20, 28, v6
	v_lshlrev_b64_e32 v[20:21], v20, v[80:81]
	s_delay_alu instid0(VALU_DEP_1)
	v_dual_sub_nc_u32 v6, 29, v6 :: v_dual_bitop2_b32 v80, 7, v20 bitop3:0x40
; %bb.1817:                             ;   in Loop: Header=BB210_1005 Depth=1
	s_or_b32 exec_lo, exec_lo, s15
	s_delay_alu instid0(VALU_DEP_1) | instskip(NEXT) | instid1(VALU_DEP_2)
	v_dual_lshlrev_b32 v7, 24, v7 :: v_dual_lshlrev_b32 v20, 20, v80
	v_lshl_add_u32 v6, v6, 23, 0x3c000000
	v_mov_b32_e32 v24, v81
	s_delay_alu instid0(VALU_DEP_3) | instskip(NEXT) | instid1(VALU_DEP_1)
	v_and_b32_e32 v7, 0x80000000, v7
	v_or3_b32 v25, v20, v7, v6
.LBB210_1818:                           ;   in Loop: Header=BB210_1005 Depth=1
	s_or_b32 exec_lo, exec_lo, s14
.LBB210_1819:                           ;   in Loop: Header=BB210_1005 Depth=1
	s_delay_alu instid0(SALU_CYCLE_1)
	s_or_b32 exec_lo, exec_lo, s9
.LBB210_1820:                           ;   in Loop: Header=BB210_1005 Depth=1
	s_delay_alu instid0(SALU_CYCLE_1) | instskip(SKIP_4) | instid1(VALU_DEP_3)
	s_or_b32 exec_lo, exec_lo, s8
	v_or_b32_e32 v1, v1, v9
	v_or_b32_e32 v0, v0, v8
	;; [unrolled: 1-line block ×4, first 2 shown]
	v_pk_mul_f32 v[26:27], v[68:69], v[0:1]
	s_delay_alu instid0(VALU_DEP_2)
	v_pk_mul_f32 v[24:25], v[68:69], v[6:7]
	s_and_saveexec_b32 s8, vcc_lo
	s_cbranch_execz .LBB210_1822
; %bb.1821:                             ;   in Loop: Header=BB210_1005 Depth=1
	scratch_load_b64 v[0:1], off, s32 offset:192 ; 8-byte Folded Reload
	s_wait_loadcnt 0x0
	v_cmp_lt_i32_e64 s0, v87, v0
	s_delay_alu instid0(VALU_DEP_1) | instskip(SKIP_1) | instid1(VALU_DEP_1)
	v_cndmask_b32_e64 v26, 0, v26, s0
	v_cmp_lt_i32_e64 s0, v96, v0
	v_cndmask_b32_e64 v27, 0, v27, s0
	v_cmp_lt_i32_e64 s0, v98, v0
	s_delay_alu instid0(VALU_DEP_1) | instskip(SKIP_1) | instid1(VALU_DEP_1)
	v_cndmask_b32_e64 v24, 0, v24, s0
	v_cmp_lt_i32_e64 s0, v97, v0
	v_cndmask_b32_e64 v25, 0, v25, s0
.LBB210_1822:                           ;   in Loop: Header=BB210_1005 Depth=1
	s_wait_xcnt 0x0
	s_or_b32 exec_lo, exec_lo, s8
	flat_load_b32 v6, v[82:83] offset:3072
	v_mov_b64_e32 v[0:1], 0
	v_mov_b64_e32 v[8:9], 0
	s_mov_b32 s8, exec_lo
	s_wait_loadcnt_dscnt 0x0
	v_and_b32_e32 v7, 0xff, v6
	s_wait_xcnt 0x0
	s_delay_alu instid0(VALU_DEP_1)
	v_cmpx_ne_u16_e32 0, v7
	s_cbranch_execz .LBB210_1830
; %bb.1823:                             ;   in Loop: Header=BB210_1005 Depth=1
	v_mov_b64_e32 v[8:9], 0x80000000
	s_mov_b32 s9, exec_lo
	v_cmpx_ne_u16_e32 0x80, v7
	s_cbranch_execz .LBB210_1829
; %bb.1824:                             ;   in Loop: Header=BB210_1005 Depth=1
	v_mov_b64_e32 v[8:9], 0x7f800001
	v_and_b32_e32 v21, 0x7f, v6
	s_mov_b32 s14, exec_lo
	s_delay_alu instid0(VALU_DEP_1)
	v_cmpx_ne_u32_e32 0x7f, v21
	s_cbranch_execz .LBB210_1828
; %bb.1825:                             ;   in Loop: Header=BB210_1005 Depth=1
	v_dual_lshrrev_b32 v7, 3, v21 :: v_dual_bitop2_b32 v80, 7, v6 bitop3:0x40
	s_mov_b32 s15, exec_lo
	v_cmpx_gt_u32_e32 8, v21
; %bb.1826:                             ;   in Loop: Header=BB210_1005 Depth=1
	s_delay_alu instid0(VALU_DEP_2) | instskip(NEXT) | instid1(VALU_DEP_1)
	v_clz_i32_u32_e32 v7, v80
	v_min_u32_e32 v7, 32, v7
	s_delay_alu instid0(VALU_DEP_1) | instskip(NEXT) | instid1(VALU_DEP_1)
	v_subrev_nc_u32_e32 v8, 28, v7
	v_lshlrev_b64_e32 v[8:9], v8, v[80:81]
	s_delay_alu instid0(VALU_DEP_1)
	v_dual_sub_nc_u32 v7, 29, v7 :: v_dual_bitop2_b32 v80, 7, v8 bitop3:0x40
; %bb.1827:                             ;   in Loop: Header=BB210_1005 Depth=1
	s_or_b32 exec_lo, exec_lo, s15
	s_delay_alu instid0(VALU_DEP_1) | instskip(NEXT) | instid1(VALU_DEP_2)
	v_dual_lshlrev_b32 v8, 24, v6 :: v_dual_lshlrev_b32 v9, 20, v80
	v_lshl_add_u32 v7, v7, 23, 0x3c000000
	s_delay_alu instid0(VALU_DEP_2) | instskip(NEXT) | instid1(VALU_DEP_1)
	v_and_b32_e32 v8, 0x80000000, v8
	v_or3_b32 v80, v9, v8, v7
	s_delay_alu instid0(VALU_DEP_1)
	v_mov_b64_e32 v[8:9], v[80:81]
.LBB210_1828:                           ;   in Loop: Header=BB210_1005 Depth=1
	s_or_b32 exec_lo, exec_lo, s14
.LBB210_1829:                           ;   in Loop: Header=BB210_1005 Depth=1
	s_delay_alu instid0(SALU_CYCLE_1)
	s_or_b32 exec_lo, exec_lo, s9
.LBB210_1830:                           ;   in Loop: Header=BB210_1005 Depth=1
	s_delay_alu instid0(SALU_CYCLE_1) | instskip(SKIP_2) | instid1(VALU_DEP_1)
	s_or_b32 exec_lo, exec_lo, s8
	v_lshrrev_b16 v7, 8, v6
	s_mov_b32 s8, exec_lo
	v_cmpx_ne_u16_e32 0, v7
	s_cbranch_execz .LBB210_1838
; %bb.1831:                             ;   in Loop: Header=BB210_1005 Depth=1
	v_mov_b64_e32 v[0:1], 0x8000000000000000
	s_mov_b32 s9, exec_lo
	v_cmpx_ne_u16_e32 0x80, v7
	s_cbranch_execz .LBB210_1837
; %bb.1832:                             ;   in Loop: Header=BB210_1005 Depth=1
	v_and_b32_e32 v21, 0xffff, v7
	v_mov_b64_e32 v[0:1], 0x7f80000100000000
	s_mov_b32 s14, exec_lo
	s_delay_alu instid0(VALU_DEP_2) | instskip(NEXT) | instid1(VALU_DEP_1)
	v_and_b32_e32 v7, 0x7f, v21
	v_cmpx_ne_u32_e32 0x7f, v7
	s_cbranch_execz .LBB210_1836
; %bb.1833:                             ;   in Loop: Header=BB210_1005 Depth=1
	v_dual_lshrrev_b32 v0, 3, v7 :: v_dual_bitop2_b32 v80, 7, v21 bitop3:0x40
	s_mov_b32 s15, exec_lo
	v_cmpx_gt_u32_e32 8, v7
; %bb.1834:                             ;   in Loop: Header=BB210_1005 Depth=1
	s_delay_alu instid0(VALU_DEP_2) | instskip(NEXT) | instid1(VALU_DEP_1)
	v_clz_i32_u32_e32 v0, v80
	v_min_u32_e32 v0, 32, v0
	s_delay_alu instid0(VALU_DEP_1) | instskip(SKIP_1) | instid1(VALU_DEP_2)
	v_subrev_nc_u32_e32 v1, 28, v0
	v_sub_nc_u32_e32 v0, 29, v0
	v_lshlrev_b64_e32 v[20:21], v1, v[80:81]
	s_delay_alu instid0(VALU_DEP_1)
	v_and_b32_e32 v80, 7, v20
; %bb.1835:                             ;   in Loop: Header=BB210_1005 Depth=1
	s_or_b32 exec_lo, exec_lo, s15
	s_delay_alu instid0(VALU_DEP_1) | instskip(SKIP_1) | instid1(VALU_DEP_2)
	v_dual_lshlrev_b32 v1, 16, v6 :: v_dual_lshlrev_b32 v7, 20, v80
	v_lshl_add_u32 v0, v0, 23, 0x3c000000
	v_and_b32_e32 v1, 0x80000000, v1
	s_delay_alu instid0(VALU_DEP_1)
	v_or3_b32 v1, v7, v1, v0
	v_mov_b32_e32 v0, v81
.LBB210_1836:                           ;   in Loop: Header=BB210_1005 Depth=1
	s_or_b32 exec_lo, exec_lo, s14
.LBB210_1837:                           ;   in Loop: Header=BB210_1005 Depth=1
	s_delay_alu instid0(SALU_CYCLE_1)
	s_or_b32 exec_lo, exec_lo, s9
.LBB210_1838:                           ;   in Loop: Header=BB210_1005 Depth=1
	s_delay_alu instid0(SALU_CYCLE_1) | instskip(SKIP_4) | instid1(VALU_DEP_3)
	s_or_b32 exec_lo, exec_lo, s8
	v_lshrrev_b32_e32 v7, 16, v6
	v_mov_b64_e32 v[28:29], 0
	v_mov_b64_e32 v[30:31], 0
	s_mov_b32 s8, exec_lo
	v_and_b32_e32 v21, 0xff, v7
	s_delay_alu instid0(VALU_DEP_1)
	v_cmpx_ne_u16_e32 0, v21
	s_cbranch_execz .LBB210_1846
; %bb.1839:                             ;   in Loop: Header=BB210_1005 Depth=1
	v_mov_b64_e32 v[30:31], 0x80000000
	s_mov_b32 s9, exec_lo
	v_cmpx_ne_u16_e32 0x80, v21
	s_cbranch_execz .LBB210_1845
; %bb.1840:                             ;   in Loop: Header=BB210_1005 Depth=1
	v_mov_b64_e32 v[30:31], 0x7f800001
	v_bfe_u32 v21, v6, 16, 7
	s_mov_b32 s14, exec_lo
	s_delay_alu instid0(VALU_DEP_1)
	v_cmpx_ne_u32_e32 0x7f, v21
	s_cbranch_execz .LBB210_1844
; %bb.1841:                             ;   in Loop: Header=BB210_1005 Depth=1
	v_dual_lshrrev_b32 v30, 3, v21 :: v_dual_bitop2_b32 v80, 7, v7 bitop3:0x40
	s_mov_b32 s15, exec_lo
	v_cmpx_gt_u32_e32 8, v21
; %bb.1842:                             ;   in Loop: Header=BB210_1005 Depth=1
	s_delay_alu instid0(VALU_DEP_2) | instskip(NEXT) | instid1(VALU_DEP_1)
	v_clz_i32_u32_e32 v20, v80
	v_min_u32_e32 v30, 32, v20
	s_delay_alu instid0(VALU_DEP_1) | instskip(NEXT) | instid1(VALU_DEP_1)
	v_subrev_nc_u32_e32 v20, 28, v30
	v_lshlrev_b64_e32 v[20:21], v20, v[80:81]
	s_delay_alu instid0(VALU_DEP_1)
	v_dual_sub_nc_u32 v30, 29, v30 :: v_dual_bitop2_b32 v80, 7, v20 bitop3:0x40
; %bb.1843:                             ;   in Loop: Header=BB210_1005 Depth=1
	s_or_b32 exec_lo, exec_lo, s15
	s_delay_alu instid0(VALU_DEP_1) | instskip(NEXT) | instid1(VALU_DEP_2)
	v_dual_lshlrev_b32 v7, 24, v7 :: v_dual_lshlrev_b32 v20, 20, v80
	v_lshl_add_u32 v21, v30, 23, 0x3c000000
	s_delay_alu instid0(VALU_DEP_2) | instskip(NEXT) | instid1(VALU_DEP_1)
	v_and_b32_e32 v7, 0x80000000, v7
	v_or3_b32 v80, v20, v7, v21
	s_delay_alu instid0(VALU_DEP_1)
	v_mov_b64_e32 v[30:31], v[80:81]
.LBB210_1844:                           ;   in Loop: Header=BB210_1005 Depth=1
	s_or_b32 exec_lo, exec_lo, s14
.LBB210_1845:                           ;   in Loop: Header=BB210_1005 Depth=1
	s_delay_alu instid0(SALU_CYCLE_1)
	s_or_b32 exec_lo, exec_lo, s9
.LBB210_1846:                           ;   in Loop: Header=BB210_1005 Depth=1
	s_delay_alu instid0(SALU_CYCLE_1) | instskip(NEXT) | instid1(SALU_CYCLE_1)
	s_or_b32 exec_lo, exec_lo, s8
	s_mov_b32 s8, exec_lo
	v_cmpx_lt_u32_e32 0xffffff, v6
	s_cbranch_execz .LBB210_1854
; %bb.1847:                             ;   in Loop: Header=BB210_1005 Depth=1
	v_mov_b64_e32 v[28:29], 0x8000000000000000
	v_lshrrev_b32_e32 v7, 24, v6
	s_mov_b32 s9, exec_lo
	s_delay_alu instid0(VALU_DEP_1)
	v_cmpx_ne_u32_e32 0x80, v7
	s_cbranch_execz .LBB210_1853
; %bb.1848:                             ;   in Loop: Header=BB210_1005 Depth=1
	v_mov_b64_e32 v[28:29], 0x7f80000100000000
	v_bfe_u32 v21, v6, 24, 7
	s_mov_b32 s14, exec_lo
	s_delay_alu instid0(VALU_DEP_1)
	v_cmpx_ne_u32_e32 0x7f, v21
	s_cbranch_execz .LBB210_1852
; %bb.1849:                             ;   in Loop: Header=BB210_1005 Depth=1
	v_dual_lshrrev_b32 v6, 3, v21 :: v_dual_bitop2_b32 v80, 7, v7 bitop3:0x40
	s_mov_b32 s15, exec_lo
	v_cmpx_gt_u32_e32 8, v21
; %bb.1850:                             ;   in Loop: Header=BB210_1005 Depth=1
	s_delay_alu instid0(VALU_DEP_2) | instskip(NEXT) | instid1(VALU_DEP_1)
	v_clz_i32_u32_e32 v6, v80
	v_min_u32_e32 v6, 32, v6
	s_delay_alu instid0(VALU_DEP_1) | instskip(NEXT) | instid1(VALU_DEP_1)
	v_subrev_nc_u32_e32 v20, 28, v6
	v_lshlrev_b64_e32 v[20:21], v20, v[80:81]
	s_delay_alu instid0(VALU_DEP_1)
	v_dual_sub_nc_u32 v6, 29, v6 :: v_dual_bitop2_b32 v80, 7, v20 bitop3:0x40
; %bb.1851:                             ;   in Loop: Header=BB210_1005 Depth=1
	s_or_b32 exec_lo, exec_lo, s15
	s_delay_alu instid0(VALU_DEP_1) | instskip(NEXT) | instid1(VALU_DEP_2)
	v_dual_lshlrev_b32 v7, 24, v7 :: v_dual_lshlrev_b32 v20, 20, v80
	v_lshl_add_u32 v6, v6, 23, 0x3c000000
	v_mov_b32_e32 v28, v81
	s_delay_alu instid0(VALU_DEP_3) | instskip(NEXT) | instid1(VALU_DEP_1)
	v_and_b32_e32 v7, 0x80000000, v7
	v_or3_b32 v29, v20, v7, v6
.LBB210_1852:                           ;   in Loop: Header=BB210_1005 Depth=1
	s_or_b32 exec_lo, exec_lo, s14
.LBB210_1853:                           ;   in Loop: Header=BB210_1005 Depth=1
	s_delay_alu instid0(SALU_CYCLE_1)
	s_or_b32 exec_lo, exec_lo, s9
.LBB210_1854:                           ;   in Loop: Header=BB210_1005 Depth=1
	s_delay_alu instid0(SALU_CYCLE_1) | instskip(SKIP_4) | instid1(VALU_DEP_3)
	s_or_b32 exec_lo, exec_lo, s8
	v_or_b32_e32 v1, v1, v9
	v_or_b32_e32 v0, v0, v8
	;; [unrolled: 1-line block ×4, first 2 shown]
	v_pk_mul_f32 v[8:9], v[68:69], v[0:1]
	s_delay_alu instid0(VALU_DEP_2)
	v_pk_mul_f32 v[28:29], v[68:69], v[6:7]
	s_and_saveexec_b32 s8, vcc_lo
	s_cbranch_execz .LBB210_1856
; %bb.1855:                             ;   in Loop: Header=BB210_1005 Depth=1
	scratch_load_b64 v[0:1], off, s32 offset:192 ; 8-byte Folded Reload
	s_wait_loadcnt 0x0
	v_cmp_lt_i32_e64 s0, v87, v0
	s_delay_alu instid0(VALU_DEP_1) | instskip(SKIP_1) | instid1(VALU_DEP_1)
	v_cndmask_b32_e64 v8, 0, v8, s0
	v_cmp_lt_i32_e64 s0, v96, v0
	v_cndmask_b32_e64 v9, 0, v9, s0
	v_cmp_lt_i32_e64 s0, v98, v0
	s_delay_alu instid0(VALU_DEP_1) | instskip(SKIP_1) | instid1(VALU_DEP_1)
	v_cndmask_b32_e64 v28, 0, v28, s0
	v_cmp_lt_i32_e64 s0, v97, v0
	v_cndmask_b32_e64 v29, 0, v29, s0
.LBB210_1856:                           ;   in Loop: Header=BB210_1005 Depth=1
	s_wait_xcnt 0x0
	s_or_b32 exec_lo, exec_lo, s8
	flat_load_b32 v6, v[82:83] offset:3200
	v_mov_b64_e32 v[0:1], 0
	v_mov_b64_e32 v[30:31], 0
	s_mov_b32 s8, exec_lo
	s_wait_loadcnt_dscnt 0x0
	v_and_b32_e32 v7, 0xff, v6
	s_wait_xcnt 0x0
	s_delay_alu instid0(VALU_DEP_1)
	v_cmpx_ne_u16_e32 0, v7
	s_cbranch_execz .LBB210_1864
; %bb.1857:                             ;   in Loop: Header=BB210_1005 Depth=1
	v_mov_b64_e32 v[30:31], 0x80000000
	s_mov_b32 s9, exec_lo
	v_cmpx_ne_u16_e32 0x80, v7
	s_cbranch_execz .LBB210_1863
; %bb.1858:                             ;   in Loop: Header=BB210_1005 Depth=1
	v_mov_b64_e32 v[30:31], 0x7f800001
	v_and_b32_e32 v21, 0x7f, v6
	s_mov_b32 s14, exec_lo
	s_delay_alu instid0(VALU_DEP_1)
	v_cmpx_ne_u32_e32 0x7f, v21
	s_cbranch_execz .LBB210_1862
; %bb.1859:                             ;   in Loop: Header=BB210_1005 Depth=1
	v_dual_lshrrev_b32 v7, 3, v21 :: v_dual_bitop2_b32 v80, 7, v6 bitop3:0x40
	s_mov_b32 s15, exec_lo
	v_cmpx_gt_u32_e32 8, v21
; %bb.1860:                             ;   in Loop: Header=BB210_1005 Depth=1
	s_delay_alu instid0(VALU_DEP_2) | instskip(NEXT) | instid1(VALU_DEP_1)
	v_clz_i32_u32_e32 v7, v80
	v_min_u32_e32 v7, 32, v7
	s_delay_alu instid0(VALU_DEP_1) | instskip(NEXT) | instid1(VALU_DEP_1)
	v_subrev_nc_u32_e32 v20, 28, v7
	v_lshlrev_b64_e32 v[20:21], v20, v[80:81]
	s_delay_alu instid0(VALU_DEP_1)
	v_dual_sub_nc_u32 v7, 29, v7 :: v_dual_bitop2_b32 v80, 7, v20 bitop3:0x40
; %bb.1861:                             ;   in Loop: Header=BB210_1005 Depth=1
	s_or_b32 exec_lo, exec_lo, s15
	s_delay_alu instid0(VALU_DEP_1) | instskip(NEXT) | instid1(VALU_DEP_2)
	v_dual_lshlrev_b32 v20, 24, v6 :: v_dual_lshlrev_b32 v21, 20, v80
	v_lshl_add_u32 v7, v7, 23, 0x3c000000
	s_delay_alu instid0(VALU_DEP_2) | instskip(NEXT) | instid1(VALU_DEP_1)
	v_and_b32_e32 v20, 0x80000000, v20
	v_or3_b32 v80, v21, v20, v7
	s_delay_alu instid0(VALU_DEP_1)
	v_mov_b64_e32 v[30:31], v[80:81]
.LBB210_1862:                           ;   in Loop: Header=BB210_1005 Depth=1
	s_or_b32 exec_lo, exec_lo, s14
.LBB210_1863:                           ;   in Loop: Header=BB210_1005 Depth=1
	s_delay_alu instid0(SALU_CYCLE_1)
	s_or_b32 exec_lo, exec_lo, s9
.LBB210_1864:                           ;   in Loop: Header=BB210_1005 Depth=1
	s_delay_alu instid0(SALU_CYCLE_1) | instskip(SKIP_2) | instid1(VALU_DEP_1)
	s_or_b32 exec_lo, exec_lo, s8
	v_lshrrev_b16 v7, 8, v6
	s_mov_b32 s8, exec_lo
	v_cmpx_ne_u16_e32 0, v7
	s_cbranch_execz .LBB210_1872
; %bb.1865:                             ;   in Loop: Header=BB210_1005 Depth=1
	v_mov_b64_e32 v[0:1], 0x8000000000000000
	s_mov_b32 s9, exec_lo
	v_cmpx_ne_u16_e32 0x80, v7
	s_cbranch_execz .LBB210_1871
; %bb.1866:                             ;   in Loop: Header=BB210_1005 Depth=1
	v_and_b32_e32 v21, 0xffff, v7
	v_mov_b64_e32 v[0:1], 0x7f80000100000000
	s_mov_b32 s14, exec_lo
	s_delay_alu instid0(VALU_DEP_2) | instskip(NEXT) | instid1(VALU_DEP_1)
	v_and_b32_e32 v7, 0x7f, v21
	v_cmpx_ne_u32_e32 0x7f, v7
	s_cbranch_execz .LBB210_1870
; %bb.1867:                             ;   in Loop: Header=BB210_1005 Depth=1
	v_dual_lshrrev_b32 v0, 3, v7 :: v_dual_bitop2_b32 v80, 7, v21 bitop3:0x40
	s_mov_b32 s15, exec_lo
	v_cmpx_gt_u32_e32 8, v7
; %bb.1868:                             ;   in Loop: Header=BB210_1005 Depth=1
	s_delay_alu instid0(VALU_DEP_2) | instskip(NEXT) | instid1(VALU_DEP_1)
	v_clz_i32_u32_e32 v0, v80
	v_min_u32_e32 v0, 32, v0
	s_delay_alu instid0(VALU_DEP_1) | instskip(SKIP_1) | instid1(VALU_DEP_2)
	v_subrev_nc_u32_e32 v1, 28, v0
	v_sub_nc_u32_e32 v0, 29, v0
	v_lshlrev_b64_e32 v[20:21], v1, v[80:81]
	s_delay_alu instid0(VALU_DEP_1)
	v_and_b32_e32 v80, 7, v20
; %bb.1869:                             ;   in Loop: Header=BB210_1005 Depth=1
	s_or_b32 exec_lo, exec_lo, s15
	s_delay_alu instid0(VALU_DEP_1) | instskip(SKIP_1) | instid1(VALU_DEP_2)
	v_dual_lshlrev_b32 v1, 16, v6 :: v_dual_lshlrev_b32 v7, 20, v80
	v_lshl_add_u32 v0, v0, 23, 0x3c000000
	v_and_b32_e32 v1, 0x80000000, v1
	s_delay_alu instid0(VALU_DEP_1)
	v_or3_b32 v1, v7, v1, v0
	v_mov_b32_e32 v0, v81
.LBB210_1870:                           ;   in Loop: Header=BB210_1005 Depth=1
	s_or_b32 exec_lo, exec_lo, s14
.LBB210_1871:                           ;   in Loop: Header=BB210_1005 Depth=1
	s_delay_alu instid0(SALU_CYCLE_1)
	s_or_b32 exec_lo, exec_lo, s9
.LBB210_1872:                           ;   in Loop: Header=BB210_1005 Depth=1
	s_delay_alu instid0(SALU_CYCLE_1) | instskip(SKIP_4) | instid1(VALU_DEP_3)
	s_or_b32 exec_lo, exec_lo, s8
	v_lshrrev_b32_e32 v7, 16, v6
	v_mov_b64_e32 v[32:33], 0
	v_mov_b64_e32 v[34:35], 0
	s_mov_b32 s8, exec_lo
	v_and_b32_e32 v21, 0xff, v7
	s_delay_alu instid0(VALU_DEP_1)
	v_cmpx_ne_u16_e32 0, v21
	s_cbranch_execz .LBB210_1880
; %bb.1873:                             ;   in Loop: Header=BB210_1005 Depth=1
	v_mov_b64_e32 v[34:35], 0x80000000
	s_mov_b32 s9, exec_lo
	v_cmpx_ne_u16_e32 0x80, v21
	s_cbranch_execz .LBB210_1879
; %bb.1874:                             ;   in Loop: Header=BB210_1005 Depth=1
	v_mov_b64_e32 v[34:35], 0x7f800001
	v_bfe_u32 v21, v6, 16, 7
	s_mov_b32 s14, exec_lo
	s_delay_alu instid0(VALU_DEP_1)
	v_cmpx_ne_u32_e32 0x7f, v21
	s_cbranch_execz .LBB210_1878
; %bb.1875:                             ;   in Loop: Header=BB210_1005 Depth=1
	v_dual_lshrrev_b32 v34, 3, v21 :: v_dual_bitop2_b32 v80, 7, v7 bitop3:0x40
	s_mov_b32 s15, exec_lo
	v_cmpx_gt_u32_e32 8, v21
; %bb.1876:                             ;   in Loop: Header=BB210_1005 Depth=1
	s_delay_alu instid0(VALU_DEP_2) | instskip(NEXT) | instid1(VALU_DEP_1)
	v_clz_i32_u32_e32 v20, v80
	v_min_u32_e32 v34, 32, v20
	s_delay_alu instid0(VALU_DEP_1) | instskip(NEXT) | instid1(VALU_DEP_1)
	v_subrev_nc_u32_e32 v20, 28, v34
	v_lshlrev_b64_e32 v[20:21], v20, v[80:81]
	s_delay_alu instid0(VALU_DEP_1)
	v_dual_sub_nc_u32 v34, 29, v34 :: v_dual_bitop2_b32 v80, 7, v20 bitop3:0x40
; %bb.1877:                             ;   in Loop: Header=BB210_1005 Depth=1
	s_or_b32 exec_lo, exec_lo, s15
	s_delay_alu instid0(VALU_DEP_1) | instskip(NEXT) | instid1(VALU_DEP_2)
	v_dual_lshlrev_b32 v7, 24, v7 :: v_dual_lshlrev_b32 v20, 20, v80
	v_lshl_add_u32 v21, v34, 23, 0x3c000000
	s_delay_alu instid0(VALU_DEP_2) | instskip(NEXT) | instid1(VALU_DEP_1)
	v_and_b32_e32 v7, 0x80000000, v7
	v_or3_b32 v80, v20, v7, v21
	s_delay_alu instid0(VALU_DEP_1)
	v_mov_b64_e32 v[34:35], v[80:81]
.LBB210_1878:                           ;   in Loop: Header=BB210_1005 Depth=1
	s_or_b32 exec_lo, exec_lo, s14
.LBB210_1879:                           ;   in Loop: Header=BB210_1005 Depth=1
	s_delay_alu instid0(SALU_CYCLE_1)
	s_or_b32 exec_lo, exec_lo, s9
.LBB210_1880:                           ;   in Loop: Header=BB210_1005 Depth=1
	s_delay_alu instid0(SALU_CYCLE_1) | instskip(NEXT) | instid1(SALU_CYCLE_1)
	s_or_b32 exec_lo, exec_lo, s8
	s_mov_b32 s8, exec_lo
	v_cmpx_lt_u32_e32 0xffffff, v6
	s_cbranch_execz .LBB210_1888
; %bb.1881:                             ;   in Loop: Header=BB210_1005 Depth=1
	v_mov_b64_e32 v[32:33], 0x8000000000000000
	v_lshrrev_b32_e32 v7, 24, v6
	s_mov_b32 s9, exec_lo
	s_delay_alu instid0(VALU_DEP_1)
	v_cmpx_ne_u32_e32 0x80, v7
	s_cbranch_execz .LBB210_1887
; %bb.1882:                             ;   in Loop: Header=BB210_1005 Depth=1
	v_mov_b64_e32 v[32:33], 0x7f80000100000000
	v_bfe_u32 v21, v6, 24, 7
	s_mov_b32 s14, exec_lo
	s_delay_alu instid0(VALU_DEP_1)
	v_cmpx_ne_u32_e32 0x7f, v21
	s_cbranch_execz .LBB210_1886
; %bb.1883:                             ;   in Loop: Header=BB210_1005 Depth=1
	v_dual_lshrrev_b32 v6, 3, v21 :: v_dual_bitop2_b32 v80, 7, v7 bitop3:0x40
	s_mov_b32 s15, exec_lo
	v_cmpx_gt_u32_e32 8, v21
; %bb.1884:                             ;   in Loop: Header=BB210_1005 Depth=1
	s_delay_alu instid0(VALU_DEP_2) | instskip(NEXT) | instid1(VALU_DEP_1)
	v_clz_i32_u32_e32 v6, v80
	v_min_u32_e32 v6, 32, v6
	s_delay_alu instid0(VALU_DEP_1) | instskip(NEXT) | instid1(VALU_DEP_1)
	v_subrev_nc_u32_e32 v20, 28, v6
	v_lshlrev_b64_e32 v[20:21], v20, v[80:81]
	s_delay_alu instid0(VALU_DEP_1)
	v_dual_sub_nc_u32 v6, 29, v6 :: v_dual_bitop2_b32 v80, 7, v20 bitop3:0x40
; %bb.1885:                             ;   in Loop: Header=BB210_1005 Depth=1
	s_or_b32 exec_lo, exec_lo, s15
	s_delay_alu instid0(VALU_DEP_1) | instskip(NEXT) | instid1(VALU_DEP_2)
	v_dual_lshlrev_b32 v7, 24, v7 :: v_dual_lshlrev_b32 v20, 20, v80
	v_lshl_add_u32 v6, v6, 23, 0x3c000000
	v_mov_b32_e32 v32, v81
	s_delay_alu instid0(VALU_DEP_3) | instskip(NEXT) | instid1(VALU_DEP_1)
	v_and_b32_e32 v7, 0x80000000, v7
	v_or3_b32 v33, v20, v7, v6
.LBB210_1886:                           ;   in Loop: Header=BB210_1005 Depth=1
	s_or_b32 exec_lo, exec_lo, s14
.LBB210_1887:                           ;   in Loop: Header=BB210_1005 Depth=1
	s_delay_alu instid0(SALU_CYCLE_1)
	s_or_b32 exec_lo, exec_lo, s9
.LBB210_1888:                           ;   in Loop: Header=BB210_1005 Depth=1
	s_delay_alu instid0(SALU_CYCLE_1) | instskip(SKIP_4) | instid1(VALU_DEP_3)
	s_or_b32 exec_lo, exec_lo, s8
	v_or_b32_e32 v1, v1, v31
	v_or_b32_e32 v0, v0, v30
	;; [unrolled: 1-line block ×4, first 2 shown]
	v_pk_mul_f32 v[32:33], v[68:69], v[0:1]
	s_delay_alu instid0(VALU_DEP_2)
	v_pk_mul_f32 v[30:31], v[68:69], v[6:7]
	s_and_saveexec_b32 s8, vcc_lo
	s_cbranch_execz .LBB210_1890
; %bb.1889:                             ;   in Loop: Header=BB210_1005 Depth=1
	scratch_load_b64 v[0:1], off, s32 offset:192 ; 8-byte Folded Reload
	s_wait_loadcnt 0x0
	v_cmp_lt_i32_e64 s0, v87, v0
	s_delay_alu instid0(VALU_DEP_1) | instskip(SKIP_1) | instid1(VALU_DEP_1)
	v_cndmask_b32_e64 v32, 0, v32, s0
	v_cmp_lt_i32_e64 s0, v96, v0
	v_cndmask_b32_e64 v33, 0, v33, s0
	v_cmp_lt_i32_e64 s0, v98, v0
	s_delay_alu instid0(VALU_DEP_1) | instskip(SKIP_1) | instid1(VALU_DEP_1)
	v_cndmask_b32_e64 v30, 0, v30, s0
	v_cmp_lt_i32_e64 s0, v97, v0
	v_cndmask_b32_e64 v31, 0, v31, s0
.LBB210_1890:                           ;   in Loop: Header=BB210_1005 Depth=1
	s_wait_xcnt 0x0
	s_or_b32 exec_lo, exec_lo, s8
	flat_load_b32 v6, v[82:83] offset:3328
	v_mov_b64_e32 v[0:1], 0
	v_mov_b64_e32 v[34:35], 0
	s_mov_b32 s8, exec_lo
	s_wait_loadcnt_dscnt 0x0
	v_and_b32_e32 v7, 0xff, v6
	s_wait_xcnt 0x0
	s_delay_alu instid0(VALU_DEP_1)
	v_cmpx_ne_u16_e32 0, v7
	s_cbranch_execz .LBB210_1898
; %bb.1891:                             ;   in Loop: Header=BB210_1005 Depth=1
	v_mov_b64_e32 v[34:35], 0x80000000
	s_mov_b32 s9, exec_lo
	v_cmpx_ne_u16_e32 0x80, v7
	s_cbranch_execz .LBB210_1897
; %bb.1892:                             ;   in Loop: Header=BB210_1005 Depth=1
	v_mov_b64_e32 v[34:35], 0x7f800001
	v_and_b32_e32 v21, 0x7f, v6
	s_mov_b32 s14, exec_lo
	s_delay_alu instid0(VALU_DEP_1)
	v_cmpx_ne_u32_e32 0x7f, v21
	s_cbranch_execz .LBB210_1896
; %bb.1893:                             ;   in Loop: Header=BB210_1005 Depth=1
	v_dual_lshrrev_b32 v7, 3, v21 :: v_dual_bitop2_b32 v80, 7, v6 bitop3:0x40
	s_mov_b32 s15, exec_lo
	v_cmpx_gt_u32_e32 8, v21
; %bb.1894:                             ;   in Loop: Header=BB210_1005 Depth=1
	s_delay_alu instid0(VALU_DEP_2) | instskip(NEXT) | instid1(VALU_DEP_1)
	v_clz_i32_u32_e32 v7, v80
	v_min_u32_e32 v7, 32, v7
	s_delay_alu instid0(VALU_DEP_1) | instskip(NEXT) | instid1(VALU_DEP_1)
	v_subrev_nc_u32_e32 v20, 28, v7
	v_lshlrev_b64_e32 v[20:21], v20, v[80:81]
	s_delay_alu instid0(VALU_DEP_1)
	v_dual_sub_nc_u32 v7, 29, v7 :: v_dual_bitop2_b32 v80, 7, v20 bitop3:0x40
; %bb.1895:                             ;   in Loop: Header=BB210_1005 Depth=1
	s_or_b32 exec_lo, exec_lo, s15
	s_delay_alu instid0(VALU_DEP_1) | instskip(NEXT) | instid1(VALU_DEP_2)
	v_dual_lshlrev_b32 v20, 24, v6 :: v_dual_lshlrev_b32 v21, 20, v80
	v_lshl_add_u32 v7, v7, 23, 0x3c000000
	s_delay_alu instid0(VALU_DEP_2) | instskip(NEXT) | instid1(VALU_DEP_1)
	v_and_b32_e32 v20, 0x80000000, v20
	v_or3_b32 v80, v21, v20, v7
	s_delay_alu instid0(VALU_DEP_1)
	v_mov_b64_e32 v[34:35], v[80:81]
.LBB210_1896:                           ;   in Loop: Header=BB210_1005 Depth=1
	s_or_b32 exec_lo, exec_lo, s14
.LBB210_1897:                           ;   in Loop: Header=BB210_1005 Depth=1
	s_delay_alu instid0(SALU_CYCLE_1)
	s_or_b32 exec_lo, exec_lo, s9
.LBB210_1898:                           ;   in Loop: Header=BB210_1005 Depth=1
	s_delay_alu instid0(SALU_CYCLE_1) | instskip(SKIP_2) | instid1(VALU_DEP_1)
	s_or_b32 exec_lo, exec_lo, s8
	v_lshrrev_b16 v7, 8, v6
	s_mov_b32 s8, exec_lo
	v_cmpx_ne_u16_e32 0, v7
	s_cbranch_execz .LBB210_1906
; %bb.1899:                             ;   in Loop: Header=BB210_1005 Depth=1
	v_mov_b64_e32 v[0:1], 0x8000000000000000
	s_mov_b32 s9, exec_lo
	v_cmpx_ne_u16_e32 0x80, v7
	s_cbranch_execz .LBB210_1905
; %bb.1900:                             ;   in Loop: Header=BB210_1005 Depth=1
	v_and_b32_e32 v21, 0xffff, v7
	v_mov_b64_e32 v[0:1], 0x7f80000100000000
	s_mov_b32 s14, exec_lo
	s_delay_alu instid0(VALU_DEP_2) | instskip(NEXT) | instid1(VALU_DEP_1)
	v_and_b32_e32 v7, 0x7f, v21
	v_cmpx_ne_u32_e32 0x7f, v7
	s_cbranch_execz .LBB210_1904
; %bb.1901:                             ;   in Loop: Header=BB210_1005 Depth=1
	v_dual_lshrrev_b32 v0, 3, v7 :: v_dual_bitop2_b32 v80, 7, v21 bitop3:0x40
	s_mov_b32 s15, exec_lo
	v_cmpx_gt_u32_e32 8, v7
; %bb.1902:                             ;   in Loop: Header=BB210_1005 Depth=1
	s_delay_alu instid0(VALU_DEP_2) | instskip(NEXT) | instid1(VALU_DEP_1)
	v_clz_i32_u32_e32 v0, v80
	v_min_u32_e32 v0, 32, v0
	s_delay_alu instid0(VALU_DEP_1) | instskip(SKIP_1) | instid1(VALU_DEP_2)
	v_subrev_nc_u32_e32 v1, 28, v0
	v_sub_nc_u32_e32 v0, 29, v0
	v_lshlrev_b64_e32 v[20:21], v1, v[80:81]
	s_delay_alu instid0(VALU_DEP_1)
	v_and_b32_e32 v80, 7, v20
; %bb.1903:                             ;   in Loop: Header=BB210_1005 Depth=1
	s_or_b32 exec_lo, exec_lo, s15
	s_delay_alu instid0(VALU_DEP_1) | instskip(SKIP_1) | instid1(VALU_DEP_2)
	v_dual_lshlrev_b32 v1, 16, v6 :: v_dual_lshlrev_b32 v7, 20, v80
	v_lshl_add_u32 v0, v0, 23, 0x3c000000
	v_and_b32_e32 v1, 0x80000000, v1
	s_delay_alu instid0(VALU_DEP_1)
	v_or3_b32 v1, v7, v1, v0
	v_mov_b32_e32 v0, v81
.LBB210_1904:                           ;   in Loop: Header=BB210_1005 Depth=1
	s_or_b32 exec_lo, exec_lo, s14
.LBB210_1905:                           ;   in Loop: Header=BB210_1005 Depth=1
	s_delay_alu instid0(SALU_CYCLE_1)
	s_or_b32 exec_lo, exec_lo, s9
.LBB210_1906:                           ;   in Loop: Header=BB210_1005 Depth=1
	s_delay_alu instid0(SALU_CYCLE_1) | instskip(SKIP_4) | instid1(VALU_DEP_3)
	s_or_b32 exec_lo, exec_lo, s8
	v_lshrrev_b32_e32 v7, 16, v6
	v_mov_b64_e32 v[36:37], 0
	v_mov_b64_e32 v[38:39], 0
	s_mov_b32 s8, exec_lo
	v_and_b32_e32 v21, 0xff, v7
	s_delay_alu instid0(VALU_DEP_1)
	v_cmpx_ne_u16_e32 0, v21
	s_cbranch_execz .LBB210_1914
; %bb.1907:                             ;   in Loop: Header=BB210_1005 Depth=1
	v_mov_b64_e32 v[38:39], 0x80000000
	s_mov_b32 s9, exec_lo
	v_cmpx_ne_u16_e32 0x80, v21
	s_cbranch_execz .LBB210_1913
; %bb.1908:                             ;   in Loop: Header=BB210_1005 Depth=1
	v_mov_b64_e32 v[38:39], 0x7f800001
	v_bfe_u32 v21, v6, 16, 7
	s_mov_b32 s14, exec_lo
	s_delay_alu instid0(VALU_DEP_1)
	v_cmpx_ne_u32_e32 0x7f, v21
	s_cbranch_execz .LBB210_1912
; %bb.1909:                             ;   in Loop: Header=BB210_1005 Depth=1
	v_dual_lshrrev_b32 v38, 3, v21 :: v_dual_bitop2_b32 v80, 7, v7 bitop3:0x40
	s_mov_b32 s15, exec_lo
	v_cmpx_gt_u32_e32 8, v21
; %bb.1910:                             ;   in Loop: Header=BB210_1005 Depth=1
	s_delay_alu instid0(VALU_DEP_2) | instskip(NEXT) | instid1(VALU_DEP_1)
	v_clz_i32_u32_e32 v20, v80
	v_min_u32_e32 v38, 32, v20
	s_delay_alu instid0(VALU_DEP_1) | instskip(NEXT) | instid1(VALU_DEP_1)
	v_subrev_nc_u32_e32 v20, 28, v38
	v_lshlrev_b64_e32 v[20:21], v20, v[80:81]
	s_delay_alu instid0(VALU_DEP_1)
	v_dual_sub_nc_u32 v38, 29, v38 :: v_dual_bitop2_b32 v80, 7, v20 bitop3:0x40
; %bb.1911:                             ;   in Loop: Header=BB210_1005 Depth=1
	s_or_b32 exec_lo, exec_lo, s15
	s_delay_alu instid0(VALU_DEP_1) | instskip(NEXT) | instid1(VALU_DEP_2)
	v_dual_lshlrev_b32 v7, 24, v7 :: v_dual_lshlrev_b32 v20, 20, v80
	v_lshl_add_u32 v21, v38, 23, 0x3c000000
	s_delay_alu instid0(VALU_DEP_2) | instskip(NEXT) | instid1(VALU_DEP_1)
	v_and_b32_e32 v7, 0x80000000, v7
	v_or3_b32 v80, v20, v7, v21
	s_delay_alu instid0(VALU_DEP_1)
	v_mov_b64_e32 v[38:39], v[80:81]
.LBB210_1912:                           ;   in Loop: Header=BB210_1005 Depth=1
	s_or_b32 exec_lo, exec_lo, s14
.LBB210_1913:                           ;   in Loop: Header=BB210_1005 Depth=1
	s_delay_alu instid0(SALU_CYCLE_1)
	s_or_b32 exec_lo, exec_lo, s9
.LBB210_1914:                           ;   in Loop: Header=BB210_1005 Depth=1
	s_delay_alu instid0(SALU_CYCLE_1) | instskip(NEXT) | instid1(SALU_CYCLE_1)
	s_or_b32 exec_lo, exec_lo, s8
	s_mov_b32 s8, exec_lo
	v_cmpx_lt_u32_e32 0xffffff, v6
	s_cbranch_execz .LBB210_1922
; %bb.1915:                             ;   in Loop: Header=BB210_1005 Depth=1
	v_mov_b64_e32 v[36:37], 0x8000000000000000
	v_lshrrev_b32_e32 v7, 24, v6
	s_mov_b32 s9, exec_lo
	s_delay_alu instid0(VALU_DEP_1)
	v_cmpx_ne_u32_e32 0x80, v7
	s_cbranch_execz .LBB210_1921
; %bb.1916:                             ;   in Loop: Header=BB210_1005 Depth=1
	v_mov_b64_e32 v[36:37], 0x7f80000100000000
	v_bfe_u32 v21, v6, 24, 7
	s_mov_b32 s14, exec_lo
	s_delay_alu instid0(VALU_DEP_1)
	v_cmpx_ne_u32_e32 0x7f, v21
	s_cbranch_execz .LBB210_1920
; %bb.1917:                             ;   in Loop: Header=BB210_1005 Depth=1
	v_dual_lshrrev_b32 v6, 3, v21 :: v_dual_bitop2_b32 v80, 7, v7 bitop3:0x40
	s_mov_b32 s15, exec_lo
	v_cmpx_gt_u32_e32 8, v21
; %bb.1918:                             ;   in Loop: Header=BB210_1005 Depth=1
	s_delay_alu instid0(VALU_DEP_2) | instskip(NEXT) | instid1(VALU_DEP_1)
	v_clz_i32_u32_e32 v6, v80
	v_min_u32_e32 v6, 32, v6
	s_delay_alu instid0(VALU_DEP_1) | instskip(NEXT) | instid1(VALU_DEP_1)
	v_subrev_nc_u32_e32 v20, 28, v6
	v_lshlrev_b64_e32 v[20:21], v20, v[80:81]
	s_delay_alu instid0(VALU_DEP_1)
	v_dual_sub_nc_u32 v6, 29, v6 :: v_dual_bitop2_b32 v80, 7, v20 bitop3:0x40
; %bb.1919:                             ;   in Loop: Header=BB210_1005 Depth=1
	s_or_b32 exec_lo, exec_lo, s15
	s_delay_alu instid0(VALU_DEP_1) | instskip(NEXT) | instid1(VALU_DEP_2)
	v_dual_lshlrev_b32 v7, 24, v7 :: v_dual_lshlrev_b32 v20, 20, v80
	v_lshl_add_u32 v6, v6, 23, 0x3c000000
	v_mov_b32_e32 v36, v81
	s_delay_alu instid0(VALU_DEP_3) | instskip(NEXT) | instid1(VALU_DEP_1)
	v_and_b32_e32 v7, 0x80000000, v7
	v_or3_b32 v37, v20, v7, v6
.LBB210_1920:                           ;   in Loop: Header=BB210_1005 Depth=1
	s_or_b32 exec_lo, exec_lo, s14
.LBB210_1921:                           ;   in Loop: Header=BB210_1005 Depth=1
	s_delay_alu instid0(SALU_CYCLE_1)
	s_or_b32 exec_lo, exec_lo, s9
.LBB210_1922:                           ;   in Loop: Header=BB210_1005 Depth=1
	s_delay_alu instid0(SALU_CYCLE_1) | instskip(SKIP_4) | instid1(VALU_DEP_3)
	s_or_b32 exec_lo, exec_lo, s8
	v_or_b32_e32 v1, v1, v35
	v_or_b32_e32 v0, v0, v34
	;; [unrolled: 1-line block ×4, first 2 shown]
	v_pk_mul_f32 v[36:37], v[68:69], v[0:1]
	s_delay_alu instid0(VALU_DEP_2)
	v_pk_mul_f32 v[34:35], v[68:69], v[6:7]
	s_and_saveexec_b32 s8, vcc_lo
	s_cbranch_execz .LBB210_1924
; %bb.1923:                             ;   in Loop: Header=BB210_1005 Depth=1
	scratch_load_b64 v[0:1], off, s32 offset:192 ; 8-byte Folded Reload
	s_wait_loadcnt 0x0
	v_cmp_lt_i32_e64 s0, v87, v0
	s_delay_alu instid0(VALU_DEP_1) | instskip(SKIP_1) | instid1(VALU_DEP_1)
	v_cndmask_b32_e64 v36, 0, v36, s0
	v_cmp_lt_i32_e64 s0, v96, v0
	v_cndmask_b32_e64 v37, 0, v37, s0
	v_cmp_lt_i32_e64 s0, v98, v0
	s_delay_alu instid0(VALU_DEP_1) | instskip(SKIP_1) | instid1(VALU_DEP_1)
	v_cndmask_b32_e64 v34, 0, v34, s0
	v_cmp_lt_i32_e64 s0, v97, v0
	v_cndmask_b32_e64 v35, 0, v35, s0
.LBB210_1924:                           ;   in Loop: Header=BB210_1005 Depth=1
	s_wait_xcnt 0x0
	s_or_b32 exec_lo, exec_lo, s8
	flat_load_b32 v6, v[82:83] offset:3456
	v_mov_b64_e32 v[0:1], 0
	v_mov_b64_e32 v[38:39], 0
	s_mov_b32 s8, exec_lo
	s_wait_loadcnt_dscnt 0x0
	v_and_b32_e32 v7, 0xff, v6
	s_wait_xcnt 0x0
	s_delay_alu instid0(VALU_DEP_1)
	v_cmpx_ne_u16_e32 0, v7
	s_cbranch_execz .LBB210_1932
; %bb.1925:                             ;   in Loop: Header=BB210_1005 Depth=1
	v_mov_b64_e32 v[38:39], 0x80000000
	s_mov_b32 s9, exec_lo
	v_cmpx_ne_u16_e32 0x80, v7
	s_cbranch_execz .LBB210_1931
; %bb.1926:                             ;   in Loop: Header=BB210_1005 Depth=1
	v_mov_b64_e32 v[38:39], 0x7f800001
	v_and_b32_e32 v21, 0x7f, v6
	s_mov_b32 s14, exec_lo
	s_delay_alu instid0(VALU_DEP_1)
	v_cmpx_ne_u32_e32 0x7f, v21
	s_cbranch_execz .LBB210_1930
; %bb.1927:                             ;   in Loop: Header=BB210_1005 Depth=1
	v_dual_lshrrev_b32 v7, 3, v21 :: v_dual_bitop2_b32 v80, 7, v6 bitop3:0x40
	s_mov_b32 s15, exec_lo
	v_cmpx_gt_u32_e32 8, v21
; %bb.1928:                             ;   in Loop: Header=BB210_1005 Depth=1
	s_delay_alu instid0(VALU_DEP_2) | instskip(NEXT) | instid1(VALU_DEP_1)
	v_clz_i32_u32_e32 v7, v80
	v_min_u32_e32 v7, 32, v7
	s_delay_alu instid0(VALU_DEP_1) | instskip(NEXT) | instid1(VALU_DEP_1)
	v_subrev_nc_u32_e32 v20, 28, v7
	v_lshlrev_b64_e32 v[20:21], v20, v[80:81]
	s_delay_alu instid0(VALU_DEP_1)
	v_dual_sub_nc_u32 v7, 29, v7 :: v_dual_bitop2_b32 v80, 7, v20 bitop3:0x40
; %bb.1929:                             ;   in Loop: Header=BB210_1005 Depth=1
	s_or_b32 exec_lo, exec_lo, s15
	s_delay_alu instid0(VALU_DEP_1) | instskip(NEXT) | instid1(VALU_DEP_2)
	v_dual_lshlrev_b32 v20, 24, v6 :: v_dual_lshlrev_b32 v21, 20, v80
	v_lshl_add_u32 v7, v7, 23, 0x3c000000
	s_delay_alu instid0(VALU_DEP_2) | instskip(NEXT) | instid1(VALU_DEP_1)
	v_and_b32_e32 v20, 0x80000000, v20
	v_or3_b32 v80, v21, v20, v7
	s_delay_alu instid0(VALU_DEP_1)
	v_mov_b64_e32 v[38:39], v[80:81]
.LBB210_1930:                           ;   in Loop: Header=BB210_1005 Depth=1
	s_or_b32 exec_lo, exec_lo, s14
.LBB210_1931:                           ;   in Loop: Header=BB210_1005 Depth=1
	s_delay_alu instid0(SALU_CYCLE_1)
	s_or_b32 exec_lo, exec_lo, s9
.LBB210_1932:                           ;   in Loop: Header=BB210_1005 Depth=1
	s_delay_alu instid0(SALU_CYCLE_1) | instskip(SKIP_2) | instid1(VALU_DEP_1)
	s_or_b32 exec_lo, exec_lo, s8
	v_lshrrev_b16 v7, 8, v6
	s_mov_b32 s8, exec_lo
	v_cmpx_ne_u16_e32 0, v7
	s_cbranch_execz .LBB210_1940
; %bb.1933:                             ;   in Loop: Header=BB210_1005 Depth=1
	v_mov_b64_e32 v[0:1], 0x8000000000000000
	s_mov_b32 s9, exec_lo
	v_cmpx_ne_u16_e32 0x80, v7
	s_cbranch_execz .LBB210_1939
; %bb.1934:                             ;   in Loop: Header=BB210_1005 Depth=1
	v_and_b32_e32 v21, 0xffff, v7
	v_mov_b64_e32 v[0:1], 0x7f80000100000000
	s_mov_b32 s14, exec_lo
	s_delay_alu instid0(VALU_DEP_2) | instskip(NEXT) | instid1(VALU_DEP_1)
	v_and_b32_e32 v7, 0x7f, v21
	v_cmpx_ne_u32_e32 0x7f, v7
	s_cbranch_execz .LBB210_1938
; %bb.1935:                             ;   in Loop: Header=BB210_1005 Depth=1
	v_dual_lshrrev_b32 v0, 3, v7 :: v_dual_bitop2_b32 v80, 7, v21 bitop3:0x40
	s_mov_b32 s15, exec_lo
	v_cmpx_gt_u32_e32 8, v7
; %bb.1936:                             ;   in Loop: Header=BB210_1005 Depth=1
	s_delay_alu instid0(VALU_DEP_2) | instskip(NEXT) | instid1(VALU_DEP_1)
	v_clz_i32_u32_e32 v0, v80
	v_min_u32_e32 v0, 32, v0
	s_delay_alu instid0(VALU_DEP_1) | instskip(SKIP_1) | instid1(VALU_DEP_2)
	v_subrev_nc_u32_e32 v1, 28, v0
	v_sub_nc_u32_e32 v0, 29, v0
	v_lshlrev_b64_e32 v[20:21], v1, v[80:81]
	s_delay_alu instid0(VALU_DEP_1)
	v_and_b32_e32 v80, 7, v20
; %bb.1937:                             ;   in Loop: Header=BB210_1005 Depth=1
	s_or_b32 exec_lo, exec_lo, s15
	s_delay_alu instid0(VALU_DEP_1) | instskip(SKIP_1) | instid1(VALU_DEP_2)
	v_dual_lshlrev_b32 v1, 16, v6 :: v_dual_lshlrev_b32 v7, 20, v80
	v_lshl_add_u32 v0, v0, 23, 0x3c000000
	v_and_b32_e32 v1, 0x80000000, v1
	s_delay_alu instid0(VALU_DEP_1)
	v_or3_b32 v1, v7, v1, v0
	v_mov_b32_e32 v0, v81
.LBB210_1938:                           ;   in Loop: Header=BB210_1005 Depth=1
	s_or_b32 exec_lo, exec_lo, s14
.LBB210_1939:                           ;   in Loop: Header=BB210_1005 Depth=1
	s_delay_alu instid0(SALU_CYCLE_1)
	s_or_b32 exec_lo, exec_lo, s9
.LBB210_1940:                           ;   in Loop: Header=BB210_1005 Depth=1
	s_delay_alu instid0(SALU_CYCLE_1) | instskip(SKIP_4) | instid1(VALU_DEP_3)
	s_or_b32 exec_lo, exec_lo, s8
	v_lshrrev_b32_e32 v7, 16, v6
	v_mov_b64_e32 v[48:49], 0
	v_mov_b64_e32 v[50:51], 0
	s_mov_b32 s8, exec_lo
	v_and_b32_e32 v21, 0xff, v7
	s_delay_alu instid0(VALU_DEP_1)
	v_cmpx_ne_u16_e32 0, v21
	s_cbranch_execz .LBB210_1948
; %bb.1941:                             ;   in Loop: Header=BB210_1005 Depth=1
	v_mov_b64_e32 v[50:51], 0x80000000
	s_mov_b32 s9, exec_lo
	v_cmpx_ne_u16_e32 0x80, v21
	s_cbranch_execz .LBB210_1947
; %bb.1942:                             ;   in Loop: Header=BB210_1005 Depth=1
	v_mov_b64_e32 v[50:51], 0x7f800001
	v_bfe_u32 v21, v6, 16, 7
	s_mov_b32 s14, exec_lo
	s_delay_alu instid0(VALU_DEP_1)
	v_cmpx_ne_u32_e32 0x7f, v21
	s_cbranch_execz .LBB210_1946
; %bb.1943:                             ;   in Loop: Header=BB210_1005 Depth=1
	v_dual_lshrrev_b32 v50, 3, v21 :: v_dual_bitop2_b32 v80, 7, v7 bitop3:0x40
	s_mov_b32 s15, exec_lo
	v_cmpx_gt_u32_e32 8, v21
; %bb.1944:                             ;   in Loop: Header=BB210_1005 Depth=1
	s_delay_alu instid0(VALU_DEP_2) | instskip(NEXT) | instid1(VALU_DEP_1)
	v_clz_i32_u32_e32 v20, v80
	v_min_u32_e32 v50, 32, v20
	s_delay_alu instid0(VALU_DEP_1) | instskip(NEXT) | instid1(VALU_DEP_1)
	v_subrev_nc_u32_e32 v20, 28, v50
	v_lshlrev_b64_e32 v[20:21], v20, v[80:81]
	s_delay_alu instid0(VALU_DEP_1)
	v_dual_sub_nc_u32 v50, 29, v50 :: v_dual_bitop2_b32 v80, 7, v20 bitop3:0x40
; %bb.1945:                             ;   in Loop: Header=BB210_1005 Depth=1
	s_or_b32 exec_lo, exec_lo, s15
	s_delay_alu instid0(VALU_DEP_1) | instskip(NEXT) | instid1(VALU_DEP_2)
	v_dual_lshlrev_b32 v7, 24, v7 :: v_dual_lshlrev_b32 v20, 20, v80
	v_lshl_add_u32 v21, v50, 23, 0x3c000000
	s_delay_alu instid0(VALU_DEP_2) | instskip(NEXT) | instid1(VALU_DEP_1)
	v_and_b32_e32 v7, 0x80000000, v7
	v_or3_b32 v80, v20, v7, v21
	s_delay_alu instid0(VALU_DEP_1)
	v_mov_b64_e32 v[50:51], v[80:81]
.LBB210_1946:                           ;   in Loop: Header=BB210_1005 Depth=1
	s_or_b32 exec_lo, exec_lo, s14
.LBB210_1947:                           ;   in Loop: Header=BB210_1005 Depth=1
	s_delay_alu instid0(SALU_CYCLE_1)
	s_or_b32 exec_lo, exec_lo, s9
.LBB210_1948:                           ;   in Loop: Header=BB210_1005 Depth=1
	s_delay_alu instid0(SALU_CYCLE_1) | instskip(NEXT) | instid1(SALU_CYCLE_1)
	s_or_b32 exec_lo, exec_lo, s8
	s_mov_b32 s8, exec_lo
	v_cmpx_lt_u32_e32 0xffffff, v6
	s_cbranch_execz .LBB210_1956
; %bb.1949:                             ;   in Loop: Header=BB210_1005 Depth=1
	v_mov_b64_e32 v[48:49], 0x8000000000000000
	v_lshrrev_b32_e32 v7, 24, v6
	s_mov_b32 s9, exec_lo
	s_delay_alu instid0(VALU_DEP_1)
	v_cmpx_ne_u32_e32 0x80, v7
	s_cbranch_execz .LBB210_1955
; %bb.1950:                             ;   in Loop: Header=BB210_1005 Depth=1
	v_mov_b64_e32 v[48:49], 0x7f80000100000000
	v_bfe_u32 v21, v6, 24, 7
	s_mov_b32 s14, exec_lo
	s_delay_alu instid0(VALU_DEP_1)
	v_cmpx_ne_u32_e32 0x7f, v21
	s_cbranch_execz .LBB210_1954
; %bb.1951:                             ;   in Loop: Header=BB210_1005 Depth=1
	v_dual_lshrrev_b32 v6, 3, v21 :: v_dual_bitop2_b32 v80, 7, v7 bitop3:0x40
	s_mov_b32 s15, exec_lo
	v_cmpx_gt_u32_e32 8, v21
; %bb.1952:                             ;   in Loop: Header=BB210_1005 Depth=1
	s_delay_alu instid0(VALU_DEP_2) | instskip(NEXT) | instid1(VALU_DEP_1)
	v_clz_i32_u32_e32 v6, v80
	v_min_u32_e32 v6, 32, v6
	s_delay_alu instid0(VALU_DEP_1) | instskip(NEXT) | instid1(VALU_DEP_1)
	v_subrev_nc_u32_e32 v20, 28, v6
	v_lshlrev_b64_e32 v[20:21], v20, v[80:81]
	s_delay_alu instid0(VALU_DEP_1)
	v_dual_sub_nc_u32 v6, 29, v6 :: v_dual_bitop2_b32 v80, 7, v20 bitop3:0x40
; %bb.1953:                             ;   in Loop: Header=BB210_1005 Depth=1
	s_or_b32 exec_lo, exec_lo, s15
	s_delay_alu instid0(VALU_DEP_1) | instskip(NEXT) | instid1(VALU_DEP_2)
	v_dual_lshlrev_b32 v7, 24, v7 :: v_dual_lshlrev_b32 v20, 20, v80
	v_lshl_add_u32 v6, v6, 23, 0x3c000000
	v_mov_b32_e32 v48, v81
	s_delay_alu instid0(VALU_DEP_3) | instskip(NEXT) | instid1(VALU_DEP_1)
	v_and_b32_e32 v7, 0x80000000, v7
	v_or3_b32 v49, v20, v7, v6
.LBB210_1954:                           ;   in Loop: Header=BB210_1005 Depth=1
	s_or_b32 exec_lo, exec_lo, s14
.LBB210_1955:                           ;   in Loop: Header=BB210_1005 Depth=1
	s_delay_alu instid0(SALU_CYCLE_1)
	s_or_b32 exec_lo, exec_lo, s9
.LBB210_1956:                           ;   in Loop: Header=BB210_1005 Depth=1
	s_delay_alu instid0(SALU_CYCLE_1) | instskip(SKIP_4) | instid1(VALU_DEP_3)
	s_or_b32 exec_lo, exec_lo, s8
	v_or_b32_e32 v1, v1, v39
	v_or_b32_e32 v0, v0, v38
	;; [unrolled: 1-line block ×4, first 2 shown]
	v_pk_mul_f32 v[48:49], v[68:69], v[0:1]
	s_delay_alu instid0(VALU_DEP_2)
	v_pk_mul_f32 v[38:39], v[68:69], v[6:7]
	s_and_saveexec_b32 s8, vcc_lo
	s_cbranch_execz .LBB210_1958
; %bb.1957:                             ;   in Loop: Header=BB210_1005 Depth=1
	scratch_load_b64 v[0:1], off, s32 offset:192 ; 8-byte Folded Reload
	s_wait_loadcnt 0x0
	v_cmp_lt_i32_e64 s0, v87, v0
	s_delay_alu instid0(VALU_DEP_1) | instskip(SKIP_1) | instid1(VALU_DEP_1)
	v_cndmask_b32_e64 v48, 0, v48, s0
	v_cmp_lt_i32_e64 s0, v96, v0
	v_cndmask_b32_e64 v49, 0, v49, s0
	v_cmp_lt_i32_e64 s0, v98, v0
	s_delay_alu instid0(VALU_DEP_1) | instskip(SKIP_1) | instid1(VALU_DEP_1)
	v_cndmask_b32_e64 v38, 0, v38, s0
	v_cmp_lt_i32_e64 s0, v97, v0
	v_cndmask_b32_e64 v39, 0, v39, s0
.LBB210_1958:                           ;   in Loop: Header=BB210_1005 Depth=1
	s_wait_xcnt 0x0
	s_or_b32 exec_lo, exec_lo, s8
	flat_load_b32 v6, v[82:83] offset:3584
	v_mov_b64_e32 v[0:1], 0
	v_mov_b64_e32 v[66:67], 0
	s_mov_b32 s8, exec_lo
	s_wait_loadcnt_dscnt 0x0
	v_and_b32_e32 v7, 0xff, v6
	s_wait_xcnt 0x0
	s_delay_alu instid0(VALU_DEP_1)
	v_cmpx_ne_u16_e32 0, v7
	s_cbranch_execz .LBB210_1966
; %bb.1959:                             ;   in Loop: Header=BB210_1005 Depth=1
	v_mov_b64_e32 v[66:67], 0x80000000
	s_mov_b32 s9, exec_lo
	v_cmpx_ne_u16_e32 0x80, v7
	s_cbranch_execz .LBB210_1965
; %bb.1960:                             ;   in Loop: Header=BB210_1005 Depth=1
	v_mov_b64_e32 v[66:67], 0x7f800001
	v_and_b32_e32 v21, 0x7f, v6
	s_mov_b32 s14, exec_lo
	s_delay_alu instid0(VALU_DEP_1)
	v_cmpx_ne_u32_e32 0x7f, v21
	s_cbranch_execz .LBB210_1964
; %bb.1961:                             ;   in Loop: Header=BB210_1005 Depth=1
	v_dual_lshrrev_b32 v7, 3, v21 :: v_dual_bitop2_b32 v80, 7, v6 bitop3:0x40
	s_mov_b32 s15, exec_lo
	v_cmpx_gt_u32_e32 8, v21
; %bb.1962:                             ;   in Loop: Header=BB210_1005 Depth=1
	s_delay_alu instid0(VALU_DEP_2) | instskip(NEXT) | instid1(VALU_DEP_1)
	v_clz_i32_u32_e32 v7, v80
	v_min_u32_e32 v7, 32, v7
	s_delay_alu instid0(VALU_DEP_1) | instskip(NEXT) | instid1(VALU_DEP_1)
	v_subrev_nc_u32_e32 v20, 28, v7
	v_lshlrev_b64_e32 v[20:21], v20, v[80:81]
	s_delay_alu instid0(VALU_DEP_1)
	v_dual_sub_nc_u32 v7, 29, v7 :: v_dual_bitop2_b32 v80, 7, v20 bitop3:0x40
; %bb.1963:                             ;   in Loop: Header=BB210_1005 Depth=1
	s_or_b32 exec_lo, exec_lo, s15
	s_delay_alu instid0(VALU_DEP_1) | instskip(NEXT) | instid1(VALU_DEP_2)
	v_dual_lshlrev_b32 v20, 24, v6 :: v_dual_lshlrev_b32 v21, 20, v80
	v_lshl_add_u32 v7, v7, 23, 0x3c000000
	s_delay_alu instid0(VALU_DEP_2) | instskip(NEXT) | instid1(VALU_DEP_1)
	v_and_b32_e32 v20, 0x80000000, v20
	v_or3_b32 v80, v21, v20, v7
	s_delay_alu instid0(VALU_DEP_1)
	v_mov_b64_e32 v[66:67], v[80:81]
.LBB210_1964:                           ;   in Loop: Header=BB210_1005 Depth=1
	s_or_b32 exec_lo, exec_lo, s14
.LBB210_1965:                           ;   in Loop: Header=BB210_1005 Depth=1
	s_delay_alu instid0(SALU_CYCLE_1)
	s_or_b32 exec_lo, exec_lo, s9
.LBB210_1966:                           ;   in Loop: Header=BB210_1005 Depth=1
	s_delay_alu instid0(SALU_CYCLE_1) | instskip(SKIP_2) | instid1(VALU_DEP_1)
	s_or_b32 exec_lo, exec_lo, s8
	v_lshrrev_b16 v7, 8, v6
	s_mov_b32 s8, exec_lo
	v_cmpx_ne_u16_e32 0, v7
	s_cbranch_execz .LBB210_1974
; %bb.1967:                             ;   in Loop: Header=BB210_1005 Depth=1
	v_mov_b64_e32 v[0:1], 0x8000000000000000
	s_mov_b32 s9, exec_lo
	v_cmpx_ne_u16_e32 0x80, v7
	s_cbranch_execz .LBB210_1973
; %bb.1968:                             ;   in Loop: Header=BB210_1005 Depth=1
	v_and_b32_e32 v21, 0xffff, v7
	v_mov_b64_e32 v[0:1], 0x7f80000100000000
	s_mov_b32 s14, exec_lo
	s_delay_alu instid0(VALU_DEP_2) | instskip(NEXT) | instid1(VALU_DEP_1)
	v_and_b32_e32 v7, 0x7f, v21
	v_cmpx_ne_u32_e32 0x7f, v7
	s_cbranch_execz .LBB210_1972
; %bb.1969:                             ;   in Loop: Header=BB210_1005 Depth=1
	v_dual_lshrrev_b32 v0, 3, v7 :: v_dual_bitop2_b32 v80, 7, v21 bitop3:0x40
	s_mov_b32 s15, exec_lo
	v_cmpx_gt_u32_e32 8, v7
; %bb.1970:                             ;   in Loop: Header=BB210_1005 Depth=1
	s_delay_alu instid0(VALU_DEP_2) | instskip(NEXT) | instid1(VALU_DEP_1)
	v_clz_i32_u32_e32 v0, v80
	v_min_u32_e32 v0, 32, v0
	s_delay_alu instid0(VALU_DEP_1) | instskip(SKIP_1) | instid1(VALU_DEP_2)
	v_subrev_nc_u32_e32 v1, 28, v0
	v_sub_nc_u32_e32 v0, 29, v0
	v_lshlrev_b64_e32 v[20:21], v1, v[80:81]
	s_delay_alu instid0(VALU_DEP_1)
	v_and_b32_e32 v80, 7, v20
; %bb.1971:                             ;   in Loop: Header=BB210_1005 Depth=1
	s_or_b32 exec_lo, exec_lo, s15
	s_delay_alu instid0(VALU_DEP_1) | instskip(SKIP_1) | instid1(VALU_DEP_2)
	v_dual_lshlrev_b32 v1, 16, v6 :: v_dual_lshlrev_b32 v7, 20, v80
	v_lshl_add_u32 v0, v0, 23, 0x3c000000
	v_and_b32_e32 v1, 0x80000000, v1
	s_delay_alu instid0(VALU_DEP_1)
	v_or3_b32 v1, v7, v1, v0
	v_mov_b32_e32 v0, v81
.LBB210_1972:                           ;   in Loop: Header=BB210_1005 Depth=1
	s_or_b32 exec_lo, exec_lo, s14
.LBB210_1973:                           ;   in Loop: Header=BB210_1005 Depth=1
	s_delay_alu instid0(SALU_CYCLE_1)
	s_or_b32 exec_lo, exec_lo, s9
.LBB210_1974:                           ;   in Loop: Header=BB210_1005 Depth=1
	s_delay_alu instid0(SALU_CYCLE_1) | instskip(SKIP_4) | instid1(VALU_DEP_3)
	s_or_b32 exec_lo, exec_lo, s8
	v_lshrrev_b32_e32 v7, 16, v6
	v_mov_b64_e32 v[50:51], 0
	v_mov_b64_e32 v[70:71], 0
	s_mov_b32 s8, exec_lo
	v_and_b32_e32 v21, 0xff, v7
	s_delay_alu instid0(VALU_DEP_1)
	v_cmpx_ne_u16_e32 0, v21
	s_cbranch_execz .LBB210_1982
; %bb.1975:                             ;   in Loop: Header=BB210_1005 Depth=1
	v_mov_b64_e32 v[70:71], 0x80000000
	s_mov_b32 s9, exec_lo
	v_cmpx_ne_u16_e32 0x80, v21
	s_cbranch_execz .LBB210_1981
; %bb.1976:                             ;   in Loop: Header=BB210_1005 Depth=1
	v_mov_b64_e32 v[70:71], 0x7f800001
	v_bfe_u32 v21, v6, 16, 7
	s_mov_b32 s14, exec_lo
	s_delay_alu instid0(VALU_DEP_1)
	v_cmpx_ne_u32_e32 0x7f, v21
	s_cbranch_execz .LBB210_1980
; %bb.1977:                             ;   in Loop: Header=BB210_1005 Depth=1
	v_dual_lshrrev_b32 v70, 3, v21 :: v_dual_bitop2_b32 v80, 7, v7 bitop3:0x40
	s_mov_b32 s15, exec_lo
	v_cmpx_gt_u32_e32 8, v21
; %bb.1978:                             ;   in Loop: Header=BB210_1005 Depth=1
	s_delay_alu instid0(VALU_DEP_2) | instskip(NEXT) | instid1(VALU_DEP_1)
	v_clz_i32_u32_e32 v20, v80
	v_min_u32_e32 v70, 32, v20
	s_delay_alu instid0(VALU_DEP_1) | instskip(NEXT) | instid1(VALU_DEP_1)
	v_subrev_nc_u32_e32 v20, 28, v70
	v_lshlrev_b64_e32 v[20:21], v20, v[80:81]
	s_delay_alu instid0(VALU_DEP_1)
	v_dual_sub_nc_u32 v70, 29, v70 :: v_dual_bitop2_b32 v80, 7, v20 bitop3:0x40
; %bb.1979:                             ;   in Loop: Header=BB210_1005 Depth=1
	s_or_b32 exec_lo, exec_lo, s15
	s_delay_alu instid0(VALU_DEP_1) | instskip(NEXT) | instid1(VALU_DEP_2)
	v_dual_lshlrev_b32 v7, 24, v7 :: v_dual_lshlrev_b32 v20, 20, v80
	v_lshl_add_u32 v21, v70, 23, 0x3c000000
	s_delay_alu instid0(VALU_DEP_2) | instskip(NEXT) | instid1(VALU_DEP_1)
	v_and_b32_e32 v7, 0x80000000, v7
	v_or3_b32 v80, v20, v7, v21
	s_delay_alu instid0(VALU_DEP_1)
	v_mov_b64_e32 v[70:71], v[80:81]
.LBB210_1980:                           ;   in Loop: Header=BB210_1005 Depth=1
	s_or_b32 exec_lo, exec_lo, s14
.LBB210_1981:                           ;   in Loop: Header=BB210_1005 Depth=1
	s_delay_alu instid0(SALU_CYCLE_1)
	s_or_b32 exec_lo, exec_lo, s9
.LBB210_1982:                           ;   in Loop: Header=BB210_1005 Depth=1
	s_delay_alu instid0(SALU_CYCLE_1) | instskip(NEXT) | instid1(SALU_CYCLE_1)
	s_or_b32 exec_lo, exec_lo, s8
	s_mov_b32 s8, exec_lo
	v_cmpx_lt_u32_e32 0xffffff, v6
	s_cbranch_execz .LBB210_1990
; %bb.1983:                             ;   in Loop: Header=BB210_1005 Depth=1
	v_mov_b64_e32 v[50:51], 0x8000000000000000
	v_lshrrev_b32_e32 v7, 24, v6
	s_mov_b32 s9, exec_lo
	s_delay_alu instid0(VALU_DEP_1)
	v_cmpx_ne_u32_e32 0x80, v7
	s_cbranch_execz .LBB210_1989
; %bb.1984:                             ;   in Loop: Header=BB210_1005 Depth=1
	v_mov_b64_e32 v[50:51], 0x7f80000100000000
	v_bfe_u32 v21, v6, 24, 7
	s_mov_b32 s14, exec_lo
	s_delay_alu instid0(VALU_DEP_1)
	v_cmpx_ne_u32_e32 0x7f, v21
	s_cbranch_execz .LBB210_1988
; %bb.1985:                             ;   in Loop: Header=BB210_1005 Depth=1
	v_dual_lshrrev_b32 v6, 3, v21 :: v_dual_bitop2_b32 v80, 7, v7 bitop3:0x40
	s_mov_b32 s15, exec_lo
	v_cmpx_gt_u32_e32 8, v21
; %bb.1986:                             ;   in Loop: Header=BB210_1005 Depth=1
	s_delay_alu instid0(VALU_DEP_2) | instskip(NEXT) | instid1(VALU_DEP_1)
	v_clz_i32_u32_e32 v6, v80
	v_min_u32_e32 v6, 32, v6
	s_delay_alu instid0(VALU_DEP_1) | instskip(NEXT) | instid1(VALU_DEP_1)
	v_subrev_nc_u32_e32 v20, 28, v6
	v_lshlrev_b64_e32 v[20:21], v20, v[80:81]
	s_delay_alu instid0(VALU_DEP_1)
	v_dual_sub_nc_u32 v6, 29, v6 :: v_dual_bitop2_b32 v80, 7, v20 bitop3:0x40
; %bb.1987:                             ;   in Loop: Header=BB210_1005 Depth=1
	s_or_b32 exec_lo, exec_lo, s15
	s_delay_alu instid0(VALU_DEP_1) | instskip(NEXT) | instid1(VALU_DEP_2)
	v_dual_lshlrev_b32 v7, 24, v7 :: v_dual_lshlrev_b32 v20, 20, v80
	v_lshl_add_u32 v6, v6, 23, 0x3c000000
	v_mov_b32_e32 v50, v81
	s_delay_alu instid0(VALU_DEP_3) | instskip(NEXT) | instid1(VALU_DEP_1)
	v_and_b32_e32 v7, 0x80000000, v7
	v_or3_b32 v51, v20, v7, v6
.LBB210_1988:                           ;   in Loop: Header=BB210_1005 Depth=1
	s_or_b32 exec_lo, exec_lo, s14
.LBB210_1989:                           ;   in Loop: Header=BB210_1005 Depth=1
	s_delay_alu instid0(SALU_CYCLE_1)
	s_or_b32 exec_lo, exec_lo, s9
.LBB210_1990:                           ;   in Loop: Header=BB210_1005 Depth=1
	s_delay_alu instid0(SALU_CYCLE_1) | instskip(SKIP_4) | instid1(VALU_DEP_3)
	s_or_b32 exec_lo, exec_lo, s8
	v_or_b32_e32 v1, v1, v67
	v_or_b32_e32 v0, v0, v66
	;; [unrolled: 1-line block ×4, first 2 shown]
	v_pk_mul_f32 v[66:67], v[68:69], v[0:1]
	s_delay_alu instid0(VALU_DEP_2)
	v_pk_mul_f32 v[0:1], v[68:69], v[6:7]
	s_and_saveexec_b32 s8, vcc_lo
	s_cbranch_execz .LBB210_1992
; %bb.1991:                             ;   in Loop: Header=BB210_1005 Depth=1
	scratch_load_b64 v[6:7], off, s32 offset:192 ; 8-byte Folded Reload
	s_wait_loadcnt 0x0
	v_cmp_lt_i32_e64 s0, v87, v6
	s_delay_alu instid0(VALU_DEP_1) | instskip(SKIP_1) | instid1(VALU_DEP_1)
	v_cndmask_b32_e64 v66, 0, v66, s0
	v_cmp_lt_i32_e64 s0, v96, v6
	v_cndmask_b32_e64 v67, 0, v67, s0
	v_cmp_lt_i32_e64 s0, v98, v6
	s_delay_alu instid0(VALU_DEP_1) | instskip(SKIP_1) | instid1(VALU_DEP_1)
	v_cndmask_b32_e64 v0, 0, v0, s0
	v_cmp_lt_i32_e64 s0, v97, v6
	v_cndmask_b32_e64 v1, 0, v1, s0
.LBB210_1992:                           ;   in Loop: Header=BB210_1005 Depth=1
	s_wait_xcnt 0x0
	s_or_b32 exec_lo, exec_lo, s8
	flat_load_b32 v97, v[82:83] offset:3712
	s_wait_xcnt 0x0
	v_mov_b64_e32 v[82:83], 0
	v_mov_b64_e32 v[50:51], 0
	s_mov_b32 s8, exec_lo
	s_wait_loadcnt_dscnt 0x0
	v_and_b32_e32 v6, 0xff, v97
	s_delay_alu instid0(VALU_DEP_1)
	v_cmpx_ne_u16_e32 0, v6
	s_cbranch_execz .LBB210_2000
; %bb.1993:                             ;   in Loop: Header=BB210_1005 Depth=1
	v_mov_b64_e32 v[50:51], 0x80000000
	s_mov_b32 s9, exec_lo
	v_cmpx_ne_u16_e32 0x80, v6
	s_cbranch_execz .LBB210_1999
; %bb.1994:                             ;   in Loop: Header=BB210_1005 Depth=1
	v_mov_b64_e32 v[50:51], 0x7f800001
	v_and_b32_e32 v7, 0x7f, v97
	s_mov_b32 s14, exec_lo
	s_delay_alu instid0(VALU_DEP_1)
	v_cmpx_ne_u32_e32 0x7f, v7
	s_cbranch_execz .LBB210_1998
; %bb.1995:                             ;   in Loop: Header=BB210_1005 Depth=1
	v_dual_lshrrev_b32 v6, 3, v7 :: v_dual_bitop2_b32 v80, 7, v97 bitop3:0x40
	s_mov_b32 s15, exec_lo
	v_cmpx_gt_u32_e32 8, v7
; %bb.1996:                             ;   in Loop: Header=BB210_1005 Depth=1
	s_delay_alu instid0(VALU_DEP_2) | instskip(NEXT) | instid1(VALU_DEP_1)
	v_clz_i32_u32_e32 v6, v80
	v_min_u32_e32 v6, 32, v6
	s_delay_alu instid0(VALU_DEP_1) | instskip(NEXT) | instid1(VALU_DEP_1)
	v_subrev_nc_u32_e32 v7, 28, v6
	v_lshlrev_b64_e32 v[20:21], v7, v[80:81]
	s_delay_alu instid0(VALU_DEP_1)
	v_dual_sub_nc_u32 v6, 29, v6 :: v_dual_bitop2_b32 v80, 7, v20 bitop3:0x40
; %bb.1997:                             ;   in Loop: Header=BB210_1005 Depth=1
	s_or_b32 exec_lo, exec_lo, s15
	s_delay_alu instid0(VALU_DEP_1) | instskip(NEXT) | instid1(VALU_DEP_2)
	v_dual_lshlrev_b32 v7, 24, v97 :: v_dual_lshlrev_b32 v20, 20, v80
	v_lshl_add_u32 v6, v6, 23, 0x3c000000
	s_delay_alu instid0(VALU_DEP_2) | instskip(NEXT) | instid1(VALU_DEP_1)
	v_and_b32_e32 v7, 0x80000000, v7
	v_or3_b32 v80, v20, v7, v6
	s_delay_alu instid0(VALU_DEP_1)
	v_mov_b64_e32 v[50:51], v[80:81]
.LBB210_1998:                           ;   in Loop: Header=BB210_1005 Depth=1
	s_or_b32 exec_lo, exec_lo, s14
.LBB210_1999:                           ;   in Loop: Header=BB210_1005 Depth=1
	s_delay_alu instid0(SALU_CYCLE_1)
	s_or_b32 exec_lo, exec_lo, s9
.LBB210_2000:                           ;   in Loop: Header=BB210_1005 Depth=1
	s_delay_alu instid0(SALU_CYCLE_1) | instskip(SKIP_2) | instid1(VALU_DEP_1)
	s_or_b32 exec_lo, exec_lo, s8
	v_lshrrev_b16 v6, 8, v97
	s_mov_b32 s8, exec_lo
	v_cmpx_ne_u16_e32 0, v6
	s_cbranch_execz .LBB210_2008
; %bb.2001:                             ;   in Loop: Header=BB210_1005 Depth=1
	v_mov_b64_e32 v[82:83], 0x8000000000000000
	s_mov_b32 s9, exec_lo
	v_cmpx_ne_u16_e32 0x80, v6
	s_cbranch_execz .LBB210_2007
; %bb.2002:                             ;   in Loop: Header=BB210_1005 Depth=1
	v_and_b32_e32 v6, 0xffff, v6
	v_mov_b64_e32 v[82:83], 0x7f80000100000000
	s_mov_b32 s14, exec_lo
	s_delay_alu instid0(VALU_DEP_2) | instskip(NEXT) | instid1(VALU_DEP_1)
	v_and_b32_e32 v7, 0x7f, v6
	v_cmpx_ne_u32_e32 0x7f, v7
	s_cbranch_execz .LBB210_2006
; %bb.2003:                             ;   in Loop: Header=BB210_1005 Depth=1
	v_dual_lshrrev_b32 v6, 3, v7 :: v_dual_bitop2_b32 v80, 7, v6 bitop3:0x40
	s_mov_b32 s15, exec_lo
	v_cmpx_gt_u32_e32 8, v7
; %bb.2004:                             ;   in Loop: Header=BB210_1005 Depth=1
	s_delay_alu instid0(VALU_DEP_2) | instskip(NEXT) | instid1(VALU_DEP_1)
	v_clz_i32_u32_e32 v6, v80
	v_min_u32_e32 v6, 32, v6
	s_delay_alu instid0(VALU_DEP_1) | instskip(NEXT) | instid1(VALU_DEP_1)
	v_subrev_nc_u32_e32 v7, 28, v6
	v_lshlrev_b64_e32 v[20:21], v7, v[80:81]
	s_delay_alu instid0(VALU_DEP_1)
	v_dual_sub_nc_u32 v6, 29, v6 :: v_dual_bitop2_b32 v80, 7, v20 bitop3:0x40
; %bb.2005:                             ;   in Loop: Header=BB210_1005 Depth=1
	s_or_b32 exec_lo, exec_lo, s15
	s_delay_alu instid0(VALU_DEP_1) | instskip(NEXT) | instid1(VALU_DEP_2)
	v_dual_lshlrev_b32 v7, 16, v97 :: v_dual_lshlrev_b32 v20, 20, v80
	v_lshl_add_u32 v6, v6, 23, 0x3c000000
	v_mov_b32_e32 v82, v81
	s_delay_alu instid0(VALU_DEP_3) | instskip(NEXT) | instid1(VALU_DEP_1)
	v_and_b32_e32 v7, 0x80000000, v7
	v_or3_b32 v83, v20, v7, v6
.LBB210_2006:                           ;   in Loop: Header=BB210_1005 Depth=1
	s_or_b32 exec_lo, exec_lo, s14
.LBB210_2007:                           ;   in Loop: Header=BB210_1005 Depth=1
	s_delay_alu instid0(SALU_CYCLE_1)
	s_or_b32 exec_lo, exec_lo, s9
.LBB210_2008:                           ;   in Loop: Header=BB210_1005 Depth=1
	s_delay_alu instid0(SALU_CYCLE_1) | instskip(SKIP_4) | instid1(VALU_DEP_3)
	s_or_b32 exec_lo, exec_lo, s8
	v_lshrrev_b32_e32 v98, 16, v97
	v_mov_b64_e32 v[70:71], 0
	v_mov_b64_e32 v[6:7], 0
	s_mov_b32 s8, exec_lo
	v_and_b32_e32 v21, 0xff, v98
	s_delay_alu instid0(VALU_DEP_1)
	v_cmpx_ne_u16_e32 0, v21
	s_cbranch_execz .LBB210_2016
; %bb.2009:                             ;   in Loop: Header=BB210_1005 Depth=1
	v_mov_b64_e32 v[6:7], 0x80000000
	s_mov_b32 s9, exec_lo
	v_cmpx_ne_u16_e32 0x80, v21
	s_cbranch_execz .LBB210_2015
; %bb.2010:                             ;   in Loop: Header=BB210_1005 Depth=1
	v_mov_b64_e32 v[6:7], 0x7f800001
	v_bfe_u32 v21, v97, 16, 7
	s_mov_b32 s14, exec_lo
	s_delay_alu instid0(VALU_DEP_1)
	v_cmpx_ne_u32_e32 0x7f, v21
	s_cbranch_execz .LBB210_2014
; %bb.2011:                             ;   in Loop: Header=BB210_1005 Depth=1
	v_dual_lshrrev_b32 v6, 3, v21 :: v_dual_bitop2_b32 v80, 7, v98 bitop3:0x40
	s_mov_b32 s15, exec_lo
	v_cmpx_gt_u32_e32 8, v21
; %bb.2012:                             ;   in Loop: Header=BB210_1005 Depth=1
	s_delay_alu instid0(VALU_DEP_2) | instskip(NEXT) | instid1(VALU_DEP_1)
	v_clz_i32_u32_e32 v6, v80
	v_min_u32_e32 v6, 32, v6
	s_delay_alu instid0(VALU_DEP_1) | instskip(NEXT) | instid1(VALU_DEP_1)
	v_subrev_nc_u32_e32 v7, 28, v6
	v_lshlrev_b64_e32 v[20:21], v7, v[80:81]
	s_delay_alu instid0(VALU_DEP_1)
	v_dual_sub_nc_u32 v6, 29, v6 :: v_dual_bitop2_b32 v80, 7, v20 bitop3:0x40
; %bb.2013:                             ;   in Loop: Header=BB210_1005 Depth=1
	s_or_b32 exec_lo, exec_lo, s15
	s_delay_alu instid0(VALU_DEP_1) | instskip(NEXT) | instid1(VALU_DEP_2)
	v_dual_lshlrev_b32 v7, 24, v98 :: v_dual_lshlrev_b32 v20, 20, v80
	v_lshl_add_u32 v6, v6, 23, 0x3c000000
	s_delay_alu instid0(VALU_DEP_2) | instskip(NEXT) | instid1(VALU_DEP_1)
	v_and_b32_e32 v7, 0x80000000, v7
	v_or3_b32 v80, v20, v7, v6
	s_delay_alu instid0(VALU_DEP_1)
	v_mov_b64_e32 v[6:7], v[80:81]
.LBB210_2014:                           ;   in Loop: Header=BB210_1005 Depth=1
	s_or_b32 exec_lo, exec_lo, s14
.LBB210_2015:                           ;   in Loop: Header=BB210_1005 Depth=1
	s_delay_alu instid0(SALU_CYCLE_1)
	s_or_b32 exec_lo, exec_lo, s9
.LBB210_2016:                           ;   in Loop: Header=BB210_1005 Depth=1
	s_delay_alu instid0(SALU_CYCLE_1) | instskip(NEXT) | instid1(SALU_CYCLE_1)
	s_or_b32 exec_lo, exec_lo, s8
	s_mov_b32 s8, exec_lo
	v_cmpx_lt_u32_e32 0xffffff, v97
	s_cbranch_execz .LBB210_2024
; %bb.2017:                             ;   in Loop: Header=BB210_1005 Depth=1
	v_mov_b64_e32 v[70:71], 0x8000000000000000
	v_lshrrev_b32_e32 v98, 24, v97
	s_mov_b32 s9, exec_lo
	s_delay_alu instid0(VALU_DEP_1)
	v_cmpx_ne_u32_e32 0x80, v98
	s_cbranch_execz .LBB210_2023
; %bb.2018:                             ;   in Loop: Header=BB210_1005 Depth=1
	v_mov_b64_e32 v[70:71], 0x7f80000100000000
	v_bfe_u32 v21, v97, 24, 7
	s_mov_b32 s14, exec_lo
	s_delay_alu instid0(VALU_DEP_1)
	v_cmpx_ne_u32_e32 0x7f, v21
	s_cbranch_execz .LBB210_2022
; %bb.2019:                             ;   in Loop: Header=BB210_1005 Depth=1
	v_dual_lshrrev_b32 v70, 3, v21 :: v_dual_bitop2_b32 v80, 7, v98 bitop3:0x40
	s_mov_b32 s15, exec_lo
	v_cmpx_gt_u32_e32 8, v21
; %bb.2020:                             ;   in Loop: Header=BB210_1005 Depth=1
	s_delay_alu instid0(VALU_DEP_2) | instskip(NEXT) | instid1(VALU_DEP_1)
	v_clz_i32_u32_e32 v20, v80
	v_min_u32_e32 v70, 32, v20
	s_delay_alu instid0(VALU_DEP_1) | instskip(NEXT) | instid1(VALU_DEP_1)
	v_subrev_nc_u32_e32 v20, 28, v70
	v_lshlrev_b64_e32 v[20:21], v20, v[80:81]
	s_delay_alu instid0(VALU_DEP_1)
	v_dual_sub_nc_u32 v70, 29, v70 :: v_dual_bitop2_b32 v80, 7, v20 bitop3:0x40
; %bb.2021:                             ;   in Loop: Header=BB210_1005 Depth=1
	s_or_b32 exec_lo, exec_lo, s15
	s_delay_alu instid0(VALU_DEP_1) | instskip(NEXT) | instid1(VALU_DEP_2)
	v_dual_lshlrev_b32 v20, 24, v98 :: v_dual_lshlrev_b32 v21, 20, v80
	v_lshl_add_u32 v70, v70, 23, 0x3c000000
	s_delay_alu instid0(VALU_DEP_2) | instskip(NEXT) | instid1(VALU_DEP_1)
	v_and_b32_e32 v20, 0x80000000, v20
	v_or3_b32 v71, v21, v20, v70
	v_mov_b32_e32 v70, v81
.LBB210_2022:                           ;   in Loop: Header=BB210_1005 Depth=1
	s_or_b32 exec_lo, exec_lo, s14
.LBB210_2023:                           ;   in Loop: Header=BB210_1005 Depth=1
	s_delay_alu instid0(SALU_CYCLE_1)
	s_or_b32 exec_lo, exec_lo, s9
.LBB210_2024:                           ;   in Loop: Header=BB210_1005 Depth=1
	s_delay_alu instid0(SALU_CYCLE_1) | instskip(SKIP_4) | instid1(VALU_DEP_3)
	s_or_b32 exec_lo, exec_lo, s8
	v_or_b32_e32 v21, v83, v51
	v_or_b32_e32 v20, v82, v50
	;; [unrolled: 1-line block ×4, first 2 shown]
	v_pk_mul_f32 v[82:83], v[68:69], v[20:21]
	s_delay_alu instid0(VALU_DEP_2)
	v_pk_mul_f32 v[68:69], v[68:69], v[6:7]
	s_and_saveexec_b32 s8, vcc_lo
	s_cbranch_execz .LBB210_1003
; %bb.2025:                             ;   in Loop: Header=BB210_1005 Depth=1
	scratch_load_b64 v[6:7], off, s32 offset:192 ; 8-byte Folded Reload
	s_wait_loadcnt 0x0
	v_mov_b32_e32 v20, v6
	scratch_load_b64 v[6:7], off, s32 offset:444 ; 8-byte Folded Reload
	s_wait_loadcnt 0x0
	v_dual_mov_b32 v21, v7 :: v_dual_bitop2_b32 v6, 3, v87 bitop3:0x54
	v_cmp_lt_i32_e32 vcc_lo, v87, v20
	v_or_b32_e32 v7, 2, v87
	s_delay_alu instid0(VALU_DEP_3) | instskip(SKIP_1) | instid1(VALU_DEP_3)
	v_cmp_lt_i32_e64 s0, v96, v21
	v_cndmask_b32_e32 v82, 0, v82, vcc_lo
	v_cmp_lt_i32_e32 vcc_lo, v7, v20
	s_delay_alu instid0(VALU_DEP_3) | instskip(SKIP_1) | instid1(VALU_DEP_1)
	v_cndmask_b32_e64 v83, 0, v83, s0
	v_cmp_lt_i32_e64 s0, v6, v21
	v_dual_cndmask_b32 v68, 0, v68, vcc_lo :: v_dual_cndmask_b32 v69, 0, v69, s0
	s_branch .LBB210_1003
.LBB210_2026:
	s_or_b32 exec_lo, exec_lo, s2
	s_clause 0xd
	scratch_load_b32 v67, off, s32 offset:460
	scratch_load_b32 v51, off, s32 offset:468
	scratch_load_b64 v[68:69], off, s32 offset:324
	scratch_load_b64 v[70:71], off, s32 offset:332
	;; [unrolled: 1-line block ×12, first 2 shown]
.LBB210_2027:
	s_wait_xcnt 0x0
	s_or_b32 exec_lo, exec_lo, s1
	s_clause 0x2
	scratch_load_b64 v[34:35], off, s32 offset:316 th:TH_LOAD_LU
	scratch_load_b64 v[38:39], off, s32 offset:308 th:TH_LOAD_LU
	;; [unrolled: 1-line block ×3, first 2 shown]
	s_wait_loadcnt 0x3
	v_mov_b64_e32 v[16:17], v[4:5]
	ds_bpermute_b32 v8, v51, v2
	ds_bpermute_b32 v9, v51, v3
	v_mov_b64_e32 v[18:19], v[2:3]
	ds_bpermute_b32 v2, v51, v0
	ds_bpermute_b32 v3, v51, v1
	;; [unrolled: 3-line block ×3, first 2 shown]
	ds_bpermute_b32 v0, v51, v30
	ds_bpermute_b32 v1, v51, v31
	v_mov_b64_e32 v[32:33], v[6:7]
	ds_bpermute_b32 v24, v51, v80
	ds_bpermute_b32 v25, v51, v81
	;; [unrolled: 1-line block ×5, first 2 shown]
	s_wait_storecnt 0x0
	s_wait_loadcnt_dscnt 0x0
	ds_bpermute_b32 v6, v51, v32
	ds_bpermute_b32 v7, v51, v33
	s_barrier_signal -1
	s_barrier_wait -1
	v_pk_add_f32 v[8:9], v[18:19], v[8:9]
	ds_bpermute_b32 v18, v51, v82
	ds_bpermute_b32 v19, v51, v83
	v_pk_add_f32 v[2:3], v[28:29], v[2:3]
	ds_bpermute_b32 v28, v51, v70
	ds_bpermute_b32 v22, v67, v8
	;; [unrolled: 3-line block ×3, first 2 shown]
	ds_bpermute_b32 v5, v51, v87
	v_pk_add_f32 v[0:1], v[30:31], v[0:1]
	ds_bpermute_b32 v20, v67, v16
	ds_bpermute_b32 v21, v67, v17
	ds_bpermute_b32 v30, v67, v2
	ds_bpermute_b32 v31, v67, v3
	ds_bpermute_b32 v29, v51, v71
	s_wait_dscnt 0x0
	v_pk_add_f32 v[6:7], v[32:33], v[6:7]
	ds_bpermute_b32 v32, v67, v0
	ds_bpermute_b32 v33, v67, v1
	s_load_b32 s0, s[6:7], 0x0
	s_mov_b32 s1, exec_lo
	v_pk_add_f32 v[8:9], v[8:9], v[22:23]
	v_pk_add_f32 v[4:5], v[86:87], v[4:5]
	;; [unrolled: 1-line block ×3, first 2 shown]
	ds_bpermute_b32 v22, v99, v8
	ds_bpermute_b32 v23, v99, v9
	v_pk_add_f32 v[54:55], v[2:3], v[30:31]
	v_mov_b64_e32 v[30:31], v[64:65]
	ds_bpermute_b32 v20, v99, v16
	ds_bpermute_b32 v21, v99, v17
	s_wait_dscnt 0x4
	v_pk_add_f32 v[32:33], v[0:1], v[32:33]
	v_pk_add_f32 v[28:29], v[70:71], v[28:29]
	s_wait_dscnt 0x2
	v_pk_add_f32 v[0:1], v[8:9], v[22:23]
	v_pk_add_f32 v[22:23], v[30:31], v[26:27]
	;; [unrolled: 3-line block ×3, first 2 shown]
	ds_bpermute_b32 v18, v67, v4
	ds_bpermute_b32 v19, v67, v5
	v_pk_add_f32 v[20:21], v[80:81], v[24:25]
	ds_bpermute_b32 v30, v67, v22
	ds_bpermute_b32 v24, v67, v16
	;; [unrolled: 1-line block ×6, first 2 shown]
	s_wait_dscnt 0x6
	v_pk_add_f32 v[4:5], v[4:5], v[18:19]
	s_wait_dscnt 0x3
	v_pk_add_f32 v[80:81], v[16:17], v[24:25]
	ds_bpermute_b32 v82, v99, v4
	ds_bpermute_b32 v83, v99, v5
	s_wait_dscnt 0x4
	v_pk_add_f32 v[96:97], v[22:23], v[30:31]
	v_mov_b32_e32 v16, v99
	ds_bpermute_b32 v86, v99, v80
	ds_bpermute_b32 v87, v99, v81
	;; [unrolled: 1-line block ×10, first 2 shown]
	s_wait_dscnt 0x3
	v_pk_add_f32 v[12:13], v[38:39], v[12:13]
	ds_bpermute_b32 v38, v51, v84
	s_wait_dscnt 0x2
	v_pk_add_f32 v[14:15], v[48:49], v[14:15]
	ds_bpermute_b32 v39, v51, v85
	ds_bpermute_b32 v51, v51, v69
	;; [unrolled: 1-line block ×4, first 2 shown]
	s_wait_dscnt 0x5
	v_pk_add_f32 v[10:11], v[34:35], v[10:11]
	ds_bpermute_b32 v52, v67, v14
	ds_bpermute_b32 v53, v67, v15
	;; [unrolled: 1-line block ×6, first 2 shown]
	s_wait_dscnt 0x9
	v_pk_add_f32 v[38:39], v[84:85], v[38:39]
	v_pk_add_f32 v[84:85], v[20:21], v[26:27]
	s_wait_dscnt 0x6
	v_pk_add_f32 v[12:13], v[12:13], v[48:49]
	v_pk_add_f32 v[48:49], v[68:69], v[50:51]
	ds_bpermute_b32 v50, v67, v28
	s_wait_dscnt 0x5
	v_pk_add_f32 v[14:15], v[14:15], v[52:53]
	ds_bpermute_b32 v51, v67, v29
	ds_bpermute_b32 v52, v67, v38
	;; [unrolled: 1-line block ×5, first 2 shown]
	s_wait_dscnt 0x6
	v_pk_add_f32 v[10:11], v[10:11], v[36:37]
	ds_bpermute_b32 v36, v99, v32
	ds_bpermute_b32 v37, v99, v33
	;; [unrolled: 1-line block ×4, first 2 shown]
	v_pk_add_f32 v[6:7], v[6:7], v[34:35]
	ds_bpermute_b32 v34, v99, v54
	ds_bpermute_b32 v35, v99, v55
	;; [unrolled: 1-line block ×9, first 2 shown]
	s_wait_dscnt 0x11
	v_pk_add_f32 v[50:51], v[28:29], v[50:51]
	ds_bpermute_b32 v99, v99, v85
	s_wait_dscnt 0x10
	v_pk_add_f32 v[38:39], v[38:39], v[52:53]
	s_wait_dscnt 0xe
	v_pk_add_f32 v[28:29], v[48:49], v[66:67]
	ds_bpermute_b32 v48, v16, v50
	ds_bpermute_b32 v49, v16, v51
	;; [unrolled: 1-line block ×6, first 2 shown]
	s_wait_dscnt 0x12
	v_pk_add_f32 v[24:25], v[32:33], v[36:37]
	s_wait_dscnt 0x10
	v_pk_add_f32 v[16:17], v[14:15], v[70:71]
	v_pk_add_f32 v[14:15], v[4:5], v[82:83]
	s_clause 0x1
	scratch_load_b32 v4, off, s32 offset:892
	scratch_load_b32 v32, off, s32 offset:888 th:TH_LOAD_LU
	s_wait_dscnt 0xe
	v_pk_add_f32 v[26:27], v[54:55], v[34:35]
	s_wait_dscnt 0xa
	v_pk_add_f32 v[22:23], v[6:7], v[64:65]
	v_pk_add_f32 v[20:21], v[10:11], v[8:9]
	s_wait_dscnt 0x8
	v_pk_add_f32 v[18:19], v[12:13], v[68:69]
	;; [unrolled: 3-line block ×4, first 2 shown]
	s_wait_loadcnt 0x1
	v_and_b32_e32 v33, 0x3c7, v4
	s_wait_dscnt 0x2
	v_pk_add_f32 v[4:5], v[38:39], v[52:53]
	s_wait_loadcnt 0x0
	v_lshrrev_b32_e32 v32, 3, v32
	v_cmpx_ne_u32_e32 64, v33
	s_xor_b32 s1, exec_lo, s1
	s_delay_alu instid0(SALU_CYCLE_1)
	s_or_saveexec_b32 s1, s1
	s_wait_dscnt 0x0
	v_pk_add_f32 v[28:29], v[28:29], v[30:31]
	scratch_load_b32 v30, off, s32 offset:1412 th:TH_LOAD_LU ; 4-byte Folded Reload
	s_wait_kmcnt 0x0
	v_lshl_add_u32 v31, v32, 2, s0
	s_wait_loadcnt 0x0
	v_mul_u32_u24_e32 v30, 0x1e0, v30
	s_xor_b32 exec_lo, exec_lo, s1
	s_cbranch_execz .LBB210_2029
; %bb.2028:
	s_delay_alu instid0(VALU_DEP_1) | instskip(NEXT) | instid1(VALU_DEP_1)
	v_add_nc_u32_e32 v33, v31, v30
	v_add_nc_u32_e32 v34, 0xfffffc40, v33
	;; [unrolled: 1-line block ×9, first 2 shown]
	ds_store_b32 v34, v2
	ds_store_b32 v35, v3
	;; [unrolled: 1-line block ×8, first 2 shown]
	v_add_nc_u32_e32 v34, 0xfffffcc0, v33
	v_add_nc_u32_e32 v35, 0xfffffcd0, v33
	;; [unrolled: 1-line block ×8, first 2 shown]
	ds_store_b32 v34, v22
	ds_store_b32 v35, v23
	;; [unrolled: 1-line block ×8, first 2 shown]
	v_add_nc_u32_e32 v34, 0xfffffd40, v33
	v_add_nc_u32_e32 v35, 0xfffffd50, v33
	v_add_nc_u32_e32 v36, 0xfffffd60, v33
	v_add_nc_u32_e32 v37, 0xfffffd70, v33
	v_add_nc_u32_e32 v38, 0xfffffd80, v33
	v_add_nc_u32_e32 v39, 0xfffffd90, v33
	v_add_nc_u32_e32 v48, 0xfffffda0, v33
	v_add_nc_u32_e32 v49, 0xfffffdb0, v33
	ds_store_b32 v34, v14
	ds_store_b32 v35, v15
	;; [unrolled: 1-line block ×8, first 2 shown]
	v_add_nc_u32_e32 v34, 0xfffffdc0, v33
	v_add_nc_u32_e32 v35, 0xfffffdd0, v33
	;; [unrolled: 1-line block ×6, first 2 shown]
	ds_store_b32 v34, v6
	ds_store_b32 v35, v7
	;; [unrolled: 1-line block ×6, first 2 shown]
.LBB210_2029:
	s_or_b32 exec_lo, exec_lo, s1
	v_lshlrev_b32_e32 v32, 2, v32
	scratch_load_b32 v33, off, s32 offset:452 th:TH_LOAD_LU ; 4-byte Folded Reload
	s_mov_b32 s1, exec_lo
	v_add3_u32 v30, s0, v30, v32
	scratch_load_b32 v32, off, s32 offset:892 ; 4-byte Folded Reload
	s_wait_loadcnt_dscnt 0x0
	s_barrier_signal -1
	s_barrier_wait -1
	v_cmp_eq_u32_e32 vcc_lo, 0, v33
	v_cmpx_gt_u32_e32 64, v32
	s_cbranch_execz .LBB210_2062
; %bb.2030:
	s_and_saveexec_b32 s0, vcc_lo
	s_cbranch_execnz .LBB210_2100
; %bb.2031:
	s_or_b32 exec_lo, exec_lo, s0
	s_and_saveexec_b32 s0, vcc_lo
	s_cbranch_execnz .LBB210_2101
.LBB210_2032:
	s_or_b32 exec_lo, exec_lo, s0
	s_and_saveexec_b32 s0, vcc_lo
	s_cbranch_execnz .LBB210_2102
.LBB210_2033:
	s_or_b32 exec_lo, exec_lo, s0
	s_and_saveexec_b32 s0, vcc_lo
	s_cbranch_execnz .LBB210_2103
.LBB210_2034:
	s_or_b32 exec_lo, exec_lo, s0
	s_and_saveexec_b32 s0, vcc_lo
	s_cbranch_execnz .LBB210_2104
.LBB210_2035:
	s_or_b32 exec_lo, exec_lo, s0
	s_and_saveexec_b32 s0, vcc_lo
	s_cbranch_execnz .LBB210_2105
.LBB210_2036:
	s_or_b32 exec_lo, exec_lo, s0
	s_and_saveexec_b32 s0, vcc_lo
	s_cbranch_execnz .LBB210_2106
.LBB210_2037:
	s_or_b32 exec_lo, exec_lo, s0
	s_and_saveexec_b32 s0, vcc_lo
	s_cbranch_execnz .LBB210_2107
.LBB210_2038:
	s_or_b32 exec_lo, exec_lo, s0
	s_and_saveexec_b32 s0, vcc_lo
	s_cbranch_execnz .LBB210_2108
.LBB210_2039:
	s_or_b32 exec_lo, exec_lo, s0
	s_and_saveexec_b32 s0, vcc_lo
	s_cbranch_execnz .LBB210_2109
.LBB210_2040:
	s_or_b32 exec_lo, exec_lo, s0
	s_and_saveexec_b32 s0, vcc_lo
	s_cbranch_execnz .LBB210_2110
.LBB210_2041:
	s_or_b32 exec_lo, exec_lo, s0
	s_and_saveexec_b32 s0, vcc_lo
	s_cbranch_execnz .LBB210_2111
.LBB210_2042:
	s_or_b32 exec_lo, exec_lo, s0
	s_and_saveexec_b32 s0, vcc_lo
	s_cbranch_execnz .LBB210_2112
.LBB210_2043:
	s_or_b32 exec_lo, exec_lo, s0
	s_and_saveexec_b32 s0, vcc_lo
	s_cbranch_execnz .LBB210_2113
.LBB210_2044:
	s_or_b32 exec_lo, exec_lo, s0
	s_and_saveexec_b32 s0, vcc_lo
	s_cbranch_execnz .LBB210_2114
.LBB210_2045:
	s_or_b32 exec_lo, exec_lo, s0
	s_and_saveexec_b32 s0, vcc_lo
	s_cbranch_execnz .LBB210_2115
.LBB210_2046:
	s_or_b32 exec_lo, exec_lo, s0
	s_and_saveexec_b32 s0, vcc_lo
	s_cbranch_execnz .LBB210_2116
.LBB210_2047:
	s_or_b32 exec_lo, exec_lo, s0
	s_and_saveexec_b32 s0, vcc_lo
	s_cbranch_execnz .LBB210_2117
.LBB210_2048:
	s_or_b32 exec_lo, exec_lo, s0
	s_and_saveexec_b32 s0, vcc_lo
	s_cbranch_execnz .LBB210_2118
.LBB210_2049:
	s_or_b32 exec_lo, exec_lo, s0
	s_and_saveexec_b32 s0, vcc_lo
	s_cbranch_execnz .LBB210_2119
.LBB210_2050:
	s_or_b32 exec_lo, exec_lo, s0
	s_and_saveexec_b32 s0, vcc_lo
	s_cbranch_execnz .LBB210_2120
.LBB210_2051:
	s_or_b32 exec_lo, exec_lo, s0
	s_and_saveexec_b32 s0, vcc_lo
	s_cbranch_execnz .LBB210_2121
.LBB210_2052:
	s_or_b32 exec_lo, exec_lo, s0
	s_and_saveexec_b32 s0, vcc_lo
	s_cbranch_execnz .LBB210_2122
.LBB210_2053:
	s_or_b32 exec_lo, exec_lo, s0
	s_and_saveexec_b32 s0, vcc_lo
	s_cbranch_execnz .LBB210_2123
.LBB210_2054:
	s_or_b32 exec_lo, exec_lo, s0
	s_and_saveexec_b32 s0, vcc_lo
	s_cbranch_execnz .LBB210_2124
.LBB210_2055:
	s_or_b32 exec_lo, exec_lo, s0
	s_and_saveexec_b32 s0, vcc_lo
	s_cbranch_execnz .LBB210_2125
.LBB210_2056:
	s_or_b32 exec_lo, exec_lo, s0
	s_and_saveexec_b32 s0, vcc_lo
	s_cbranch_execnz .LBB210_2126
.LBB210_2057:
	s_or_b32 exec_lo, exec_lo, s0
	s_and_saveexec_b32 s0, vcc_lo
	s_cbranch_execnz .LBB210_2127
.LBB210_2058:
	s_or_b32 exec_lo, exec_lo, s0
	s_and_saveexec_b32 s0, vcc_lo
	s_cbranch_execnz .LBB210_2128
.LBB210_2059:
	s_or_b32 exec_lo, exec_lo, s0
	s_and_saveexec_b32 s0, vcc_lo
	s_cbranch_execz .LBB210_2061
.LBB210_2060:
	ds_load_b32 v32, v30 offset:464
	s_wait_dscnt 0x0
	v_add_f32_e32 v29, v32, v29
.LBB210_2061:
	s_or_b32 exec_lo, exec_lo, s0
.LBB210_2062:
	s_delay_alu instid0(SALU_CYCLE_1)
	s_or_b32 exec_lo, exec_lo, s1
	scratch_load_b32 v32, off, s32 offset:892 ; 4-byte Folded Reload
	s_mov_b32 s1, exec_lo
	s_wait_loadcnt 0x0
	s_barrier_signal -1
	s_barrier_wait -1
	v_and_b32_e32 v32, 0x3e7, v32
	s_wait_xcnt 0x0
	s_delay_alu instid0(VALU_DEP_1)
	v_cmpx_eq_u32_e32 32, v32
	s_cbranch_execz .LBB210_2064
; %bb.2063:
	ds_store_2addr_b32 v31, v2, v3 offset1:4
	ds_store_2addr_b32 v31, v0, v1 offset0:8 offset1:12
	ds_store_2addr_b32 v31, v26, v27 offset0:16 offset1:20
	;; [unrolled: 1-line block ×14, first 2 shown]
.LBB210_2064:
	s_or_b32 exec_lo, exec_lo, s1
	scratch_load_b32 v31, off, s32 offset:892 ; 4-byte Folded Reload
	s_mov_b32 s1, exec_lo
	s_wait_loadcnt_dscnt 0x0
	s_barrier_signal -1
	s_barrier_wait -1
	v_cmpx_gt_u32_e32 32, v31
	s_cbranch_execz .LBB210_2097
; %bb.2065:
	s_and_saveexec_b32 s0, vcc_lo
	s_cbranch_execnz .LBB210_2129
; %bb.2066:
	s_or_b32 exec_lo, exec_lo, s0
	s_and_saveexec_b32 s0, vcc_lo
	s_cbranch_execnz .LBB210_2130
.LBB210_2067:
	s_or_b32 exec_lo, exec_lo, s0
	s_and_saveexec_b32 s0, vcc_lo
	s_cbranch_execnz .LBB210_2131
.LBB210_2068:
	s_or_b32 exec_lo, exec_lo, s0
	s_and_saveexec_b32 s0, vcc_lo
	s_cbranch_execnz .LBB210_2132
.LBB210_2069:
	s_or_b32 exec_lo, exec_lo, s0
	s_and_saveexec_b32 s0, vcc_lo
	s_cbranch_execnz .LBB210_2133
.LBB210_2070:
	s_or_b32 exec_lo, exec_lo, s0
	s_and_saveexec_b32 s0, vcc_lo
	s_cbranch_execnz .LBB210_2134
.LBB210_2071:
	s_or_b32 exec_lo, exec_lo, s0
	s_and_saveexec_b32 s0, vcc_lo
	s_cbranch_execnz .LBB210_2135
.LBB210_2072:
	s_or_b32 exec_lo, exec_lo, s0
	s_and_saveexec_b32 s0, vcc_lo
	s_cbranch_execnz .LBB210_2136
.LBB210_2073:
	s_or_b32 exec_lo, exec_lo, s0
	s_and_saveexec_b32 s0, vcc_lo
	s_cbranch_execnz .LBB210_2137
.LBB210_2074:
	s_or_b32 exec_lo, exec_lo, s0
	s_and_saveexec_b32 s0, vcc_lo
	s_cbranch_execnz .LBB210_2138
.LBB210_2075:
	s_or_b32 exec_lo, exec_lo, s0
	s_and_saveexec_b32 s0, vcc_lo
	s_cbranch_execnz .LBB210_2139
.LBB210_2076:
	s_or_b32 exec_lo, exec_lo, s0
	s_and_saveexec_b32 s0, vcc_lo
	s_cbranch_execnz .LBB210_2140
.LBB210_2077:
	s_or_b32 exec_lo, exec_lo, s0
	s_and_saveexec_b32 s0, vcc_lo
	s_cbranch_execnz .LBB210_2141
.LBB210_2078:
	s_or_b32 exec_lo, exec_lo, s0
	s_and_saveexec_b32 s0, vcc_lo
	s_cbranch_execnz .LBB210_2142
.LBB210_2079:
	s_or_b32 exec_lo, exec_lo, s0
	s_and_saveexec_b32 s0, vcc_lo
	s_cbranch_execnz .LBB210_2143
.LBB210_2080:
	s_or_b32 exec_lo, exec_lo, s0
	s_and_saveexec_b32 s0, vcc_lo
	s_cbranch_execnz .LBB210_2144
.LBB210_2081:
	s_or_b32 exec_lo, exec_lo, s0
	s_and_saveexec_b32 s0, vcc_lo
	s_cbranch_execnz .LBB210_2145
.LBB210_2082:
	s_or_b32 exec_lo, exec_lo, s0
	s_and_saveexec_b32 s0, vcc_lo
	s_cbranch_execnz .LBB210_2146
.LBB210_2083:
	s_or_b32 exec_lo, exec_lo, s0
	s_and_saveexec_b32 s0, vcc_lo
	s_cbranch_execnz .LBB210_2147
.LBB210_2084:
	s_or_b32 exec_lo, exec_lo, s0
	s_and_saveexec_b32 s0, vcc_lo
	s_cbranch_execnz .LBB210_2148
.LBB210_2085:
	s_or_b32 exec_lo, exec_lo, s0
	s_and_saveexec_b32 s0, vcc_lo
	s_cbranch_execnz .LBB210_2149
.LBB210_2086:
	s_or_b32 exec_lo, exec_lo, s0
	s_and_saveexec_b32 s0, vcc_lo
	s_cbranch_execnz .LBB210_2150
.LBB210_2087:
	s_or_b32 exec_lo, exec_lo, s0
	s_and_saveexec_b32 s0, vcc_lo
	s_cbranch_execnz .LBB210_2151
.LBB210_2088:
	s_or_b32 exec_lo, exec_lo, s0
	s_and_saveexec_b32 s0, vcc_lo
	s_cbranch_execnz .LBB210_2152
.LBB210_2089:
	s_or_b32 exec_lo, exec_lo, s0
	s_and_saveexec_b32 s0, vcc_lo
	s_cbranch_execnz .LBB210_2153
.LBB210_2090:
	s_or_b32 exec_lo, exec_lo, s0
	s_and_saveexec_b32 s0, vcc_lo
	s_cbranch_execnz .LBB210_2154
.LBB210_2091:
	s_or_b32 exec_lo, exec_lo, s0
	s_and_saveexec_b32 s0, vcc_lo
	s_cbranch_execnz .LBB210_2155
.LBB210_2092:
	s_or_b32 exec_lo, exec_lo, s0
	s_and_saveexec_b32 s0, vcc_lo
	s_cbranch_execnz .LBB210_2156
.LBB210_2093:
	s_or_b32 exec_lo, exec_lo, s0
	s_and_saveexec_b32 s0, vcc_lo
	s_cbranch_execnz .LBB210_2157
.LBB210_2094:
	s_or_b32 exec_lo, exec_lo, s0
	s_and_saveexec_b32 s0, vcc_lo
	s_cbranch_execz .LBB210_2096
.LBB210_2095:
	ds_load_b32 v30, v30 offset:464
	s_wait_dscnt 0x0
	v_add_f32_e32 v29, v30, v29
.LBB210_2096:
	s_or_b32 exec_lo, exec_lo, s0
.LBB210_2097:
	s_delay_alu instid0(SALU_CYCLE_1)
	s_or_b32 exec_lo, exec_lo, s1
	s_mov_b32 s1, 0
	s_mov_b32 s2, exec_lo
	s_barrier_signal -1
	s_barrier_wait -1
	v_cmpx_eq_u32_e32 0, v32
	s_cbranch_execz .LBB210_2099
; %bb.2098:
	s_clause 0x1
	scratch_load_b64 v[30:31], off, s32 offset:1448 th:TH_LOAD_LU
	scratch_load_b32 v32, off, s32 offset:892 th:TH_LOAD_LU
	s_and_b32 s0, 0xffff, s13
	v_mov_b32_e32 v33, 0
	s_cmp_lg_u32 s0, 0
	s_cselect_b32 s0, -1, 0
	s_delay_alu instid0(SALU_CYCLE_1)
	s_cmp_lg_u32 s0, 0
	s_add_co_ci_u32 s0, s5, 0
	s_bfe_u32 s8, ttmp6, 0x40014
	s_mul_i32 s5, s0, s11
	s_lshr_b32 s3, ttmp7, 16
	s_mul_i32 s5, s5, s12
	s_add_co_i32 s8, s8, 1
	s_mul_i32 s6, s5, 0x78
	s_bfe_u32 s9, ttmp6, 0x40008
	s_ashr_i32 s7, s6, 31
	s_mul_i32 s4, s4, s0
	s_mul_i32 s0, s3, s8
	s_ashr_i32 s5, s4, 31
	s_add_co_i32 s9, s9, s0
	s_cmp_eq_u32 s10, 0
	s_cselect_b32 s0, s3, s9
	s_delay_alu instid0(SALU_CYCLE_1) | instskip(SKIP_4) | instid1(VALU_DEP_2)
	s_mulk_i32 s0, 0x1e0
	s_wait_loadcnt 0x1
	v_lshl_add_u64 v[30:31], s[6:7], 2, v[30:31]
	s_wait_loadcnt 0x0
	v_lshrrev_b32_e32 v32, 1, v32
	v_lshl_add_u64 v[30:31], s[4:5], 2, v[30:31]
	s_delay_alu instid0(VALU_DEP_1) | instskip(NEXT) | instid1(VALU_DEP_1)
	v_add_nc_u64_e32 v[30:31], s[0:1], v[30:31]
	v_add_nc_u64_e32 v[30:31], v[30:31], v[32:33]
	s_clause 0x1d
	flat_store_b32 v[30:31], v2
	flat_store_b32 v[30:31], v3 offset:16
	flat_store_b32 v[30:31], v0 offset:32
	;; [unrolled: 1-line block ×29, first 2 shown]
.LBB210_2099:
	s_wait_xcnt 0x0
	s_or_b32 exec_lo, exec_lo, s2
	s_clause 0x2f
	scratch_load_b32 v127, off, s32
	scratch_load_b32 v126, off, s32 offset:4
	scratch_load_b32 v125, off, s32 offset:8
	;; [unrolled: 1-line block ×47, first 2 shown]
	s_wait_loadcnt_dscnt 0x0
	s_set_pc_i64 s[30:31]
.LBB210_2100:
	ds_load_b32 v32, v30
	s_wait_dscnt 0x0
	v_add_f32_e32 v2, v32, v2
	s_or_b32 exec_lo, exec_lo, s0
	s_and_saveexec_b32 s0, vcc_lo
	s_cbranch_execz .LBB210_2032
.LBB210_2101:
	ds_load_b32 v32, v30 offset:16
	s_wait_dscnt 0x0
	v_add_f32_e32 v3, v32, v3
	s_or_b32 exec_lo, exec_lo, s0
	s_and_saveexec_b32 s0, vcc_lo
	s_cbranch_execz .LBB210_2033
.LBB210_2102:
	ds_load_b32 v32, v30 offset:32
	s_wait_dscnt 0x0
	v_add_f32_e32 v0, v32, v0
	s_or_b32 exec_lo, exec_lo, s0
	s_and_saveexec_b32 s0, vcc_lo
	s_cbranch_execz .LBB210_2034
.LBB210_2103:
	ds_load_b32 v32, v30 offset:48
	s_wait_dscnt 0x0
	v_add_f32_e32 v1, v32, v1
	s_or_b32 exec_lo, exec_lo, s0
	s_and_saveexec_b32 s0, vcc_lo
	s_cbranch_execz .LBB210_2035
.LBB210_2104:
	ds_load_b32 v32, v30 offset:64
	s_wait_dscnt 0x0
	v_add_f32_e32 v26, v32, v26
	s_or_b32 exec_lo, exec_lo, s0
	s_and_saveexec_b32 s0, vcc_lo
	s_cbranch_execz .LBB210_2036
.LBB210_2105:
	ds_load_b32 v32, v30 offset:80
	s_wait_dscnt 0x0
	v_add_f32_e32 v27, v32, v27
	s_or_b32 exec_lo, exec_lo, s0
	s_and_saveexec_b32 s0, vcc_lo
	s_cbranch_execz .LBB210_2037
.LBB210_2106:
	ds_load_b32 v32, v30 offset:96
	s_wait_dscnt 0x0
	v_add_f32_e32 v24, v32, v24
	s_or_b32 exec_lo, exec_lo, s0
	s_and_saveexec_b32 s0, vcc_lo
	s_cbranch_execz .LBB210_2038
.LBB210_2107:
	ds_load_b32 v32, v30 offset:112
	s_wait_dscnt 0x0
	v_add_f32_e32 v25, v32, v25
	s_or_b32 exec_lo, exec_lo, s0
	s_and_saveexec_b32 s0, vcc_lo
	s_cbranch_execz .LBB210_2039
.LBB210_2108:
	ds_load_b32 v32, v30 offset:128
	s_wait_dscnt 0x0
	v_add_f32_e32 v22, v32, v22
	s_or_b32 exec_lo, exec_lo, s0
	s_and_saveexec_b32 s0, vcc_lo
	s_cbranch_execz .LBB210_2040
.LBB210_2109:
	ds_load_b32 v32, v30 offset:144
	s_wait_dscnt 0x0
	v_add_f32_e32 v23, v32, v23
	s_or_b32 exec_lo, exec_lo, s0
	s_and_saveexec_b32 s0, vcc_lo
	s_cbranch_execz .LBB210_2041
.LBB210_2110:
	ds_load_b32 v32, v30 offset:160
	s_wait_dscnt 0x0
	v_add_f32_e32 v20, v32, v20
	s_or_b32 exec_lo, exec_lo, s0
	s_and_saveexec_b32 s0, vcc_lo
	s_cbranch_execz .LBB210_2042
.LBB210_2111:
	ds_load_b32 v32, v30 offset:176
	s_wait_dscnt 0x0
	v_add_f32_e32 v21, v32, v21
	s_or_b32 exec_lo, exec_lo, s0
	s_and_saveexec_b32 s0, vcc_lo
	s_cbranch_execz .LBB210_2043
.LBB210_2112:
	ds_load_b32 v32, v30 offset:192
	s_wait_dscnt 0x0
	v_add_f32_e32 v18, v32, v18
	s_or_b32 exec_lo, exec_lo, s0
	s_and_saveexec_b32 s0, vcc_lo
	s_cbranch_execz .LBB210_2044
.LBB210_2113:
	ds_load_b32 v32, v30 offset:208
	s_wait_dscnt 0x0
	v_add_f32_e32 v19, v32, v19
	s_or_b32 exec_lo, exec_lo, s0
	s_and_saveexec_b32 s0, vcc_lo
	s_cbranch_execz .LBB210_2045
.LBB210_2114:
	ds_load_b32 v32, v30 offset:224
	s_wait_dscnt 0x0
	v_add_f32_e32 v16, v32, v16
	s_or_b32 exec_lo, exec_lo, s0
	s_and_saveexec_b32 s0, vcc_lo
	s_cbranch_execz .LBB210_2046
.LBB210_2115:
	ds_load_b32 v32, v30 offset:240
	s_wait_dscnt 0x0
	v_add_f32_e32 v17, v32, v17
	s_or_b32 exec_lo, exec_lo, s0
	s_and_saveexec_b32 s0, vcc_lo
	s_cbranch_execz .LBB210_2047
.LBB210_2116:
	ds_load_b32 v32, v30 offset:256
	s_wait_dscnt 0x0
	v_add_f32_e32 v14, v32, v14
	s_or_b32 exec_lo, exec_lo, s0
	s_and_saveexec_b32 s0, vcc_lo
	s_cbranch_execz .LBB210_2048
.LBB210_2117:
	ds_load_b32 v32, v30 offset:272
	s_wait_dscnt 0x0
	v_add_f32_e32 v15, v32, v15
	s_or_b32 exec_lo, exec_lo, s0
	s_and_saveexec_b32 s0, vcc_lo
	s_cbranch_execz .LBB210_2049
.LBB210_2118:
	ds_load_b32 v32, v30 offset:288
	s_wait_dscnt 0x0
	v_add_f32_e32 v12, v32, v12
	s_or_b32 exec_lo, exec_lo, s0
	s_and_saveexec_b32 s0, vcc_lo
	s_cbranch_execz .LBB210_2050
.LBB210_2119:
	ds_load_b32 v32, v30 offset:304
	s_wait_dscnt 0x0
	v_add_f32_e32 v13, v32, v13
	s_or_b32 exec_lo, exec_lo, s0
	s_and_saveexec_b32 s0, vcc_lo
	s_cbranch_execz .LBB210_2051
.LBB210_2120:
	ds_load_b32 v32, v30 offset:320
	s_wait_dscnt 0x0
	v_add_f32_e32 v8, v32, v8
	s_or_b32 exec_lo, exec_lo, s0
	s_and_saveexec_b32 s0, vcc_lo
	s_cbranch_execz .LBB210_2052
.LBB210_2121:
	ds_load_b32 v32, v30 offset:336
	s_wait_dscnt 0x0
	v_add_f32_e32 v9, v32, v9
	s_or_b32 exec_lo, exec_lo, s0
	s_and_saveexec_b32 s0, vcc_lo
	s_cbranch_execz .LBB210_2053
.LBB210_2122:
	ds_load_b32 v32, v30 offset:352
	s_wait_dscnt 0x0
	v_add_f32_e32 v10, v32, v10
	s_or_b32 exec_lo, exec_lo, s0
	s_and_saveexec_b32 s0, vcc_lo
	s_cbranch_execz .LBB210_2054
.LBB210_2123:
	ds_load_b32 v32, v30 offset:368
	s_wait_dscnt 0x0
	v_add_f32_e32 v11, v32, v11
	s_or_b32 exec_lo, exec_lo, s0
	s_and_saveexec_b32 s0, vcc_lo
	s_cbranch_execz .LBB210_2055
.LBB210_2124:
	ds_load_b32 v32, v30 offset:384
	s_wait_dscnt 0x0
	v_add_f32_e32 v6, v32, v6
	s_or_b32 exec_lo, exec_lo, s0
	s_and_saveexec_b32 s0, vcc_lo
	s_cbranch_execz .LBB210_2056
.LBB210_2125:
	ds_load_b32 v32, v30 offset:400
	s_wait_dscnt 0x0
	v_add_f32_e32 v7, v32, v7
	s_or_b32 exec_lo, exec_lo, s0
	s_and_saveexec_b32 s0, vcc_lo
	s_cbranch_execz .LBB210_2057
.LBB210_2126:
	ds_load_b32 v32, v30 offset:416
	s_wait_dscnt 0x0
	v_add_f32_e32 v4, v32, v4
	s_or_b32 exec_lo, exec_lo, s0
	s_and_saveexec_b32 s0, vcc_lo
	s_cbranch_execz .LBB210_2058
.LBB210_2127:
	ds_load_b32 v32, v30 offset:432
	s_wait_dscnt 0x0
	v_add_f32_e32 v5, v32, v5
	s_or_b32 exec_lo, exec_lo, s0
	s_and_saveexec_b32 s0, vcc_lo
	s_cbranch_execz .LBB210_2059
.LBB210_2128:
	ds_load_b32 v32, v30 offset:448
	s_wait_dscnt 0x0
	v_add_f32_e32 v28, v32, v28
	s_or_b32 exec_lo, exec_lo, s0
	s_and_saveexec_b32 s0, vcc_lo
	s_cbranch_execnz .LBB210_2060
	s_branch .LBB210_2061
.LBB210_2129:
	ds_load_b32 v31, v30
	s_wait_dscnt 0x0
	v_add_f32_e32 v2, v31, v2
	s_or_b32 exec_lo, exec_lo, s0
	s_and_saveexec_b32 s0, vcc_lo
	s_cbranch_execz .LBB210_2067
.LBB210_2130:
	ds_load_b32 v31, v30 offset:16
	s_wait_dscnt 0x0
	v_add_f32_e32 v3, v31, v3
	s_or_b32 exec_lo, exec_lo, s0
	s_and_saveexec_b32 s0, vcc_lo
	s_cbranch_execz .LBB210_2068
.LBB210_2131:
	ds_load_b32 v31, v30 offset:32
	s_wait_dscnt 0x0
	v_add_f32_e32 v0, v31, v0
	s_or_b32 exec_lo, exec_lo, s0
	s_and_saveexec_b32 s0, vcc_lo
	s_cbranch_execz .LBB210_2069
.LBB210_2132:
	ds_load_b32 v31, v30 offset:48
	s_wait_dscnt 0x0
	v_add_f32_e32 v1, v31, v1
	s_or_b32 exec_lo, exec_lo, s0
	s_and_saveexec_b32 s0, vcc_lo
	s_cbranch_execz .LBB210_2070
.LBB210_2133:
	ds_load_b32 v31, v30 offset:64
	s_wait_dscnt 0x0
	v_add_f32_e32 v26, v31, v26
	s_or_b32 exec_lo, exec_lo, s0
	s_and_saveexec_b32 s0, vcc_lo
	s_cbranch_execz .LBB210_2071
.LBB210_2134:
	ds_load_b32 v31, v30 offset:80
	s_wait_dscnt 0x0
	v_add_f32_e32 v27, v31, v27
	s_or_b32 exec_lo, exec_lo, s0
	s_and_saveexec_b32 s0, vcc_lo
	s_cbranch_execz .LBB210_2072
.LBB210_2135:
	ds_load_b32 v31, v30 offset:96
	s_wait_dscnt 0x0
	v_add_f32_e32 v24, v31, v24
	s_or_b32 exec_lo, exec_lo, s0
	s_and_saveexec_b32 s0, vcc_lo
	s_cbranch_execz .LBB210_2073
.LBB210_2136:
	ds_load_b32 v31, v30 offset:112
	s_wait_dscnt 0x0
	v_add_f32_e32 v25, v31, v25
	s_or_b32 exec_lo, exec_lo, s0
	s_and_saveexec_b32 s0, vcc_lo
	s_cbranch_execz .LBB210_2074
.LBB210_2137:
	ds_load_b32 v31, v30 offset:128
	s_wait_dscnt 0x0
	v_add_f32_e32 v22, v31, v22
	s_or_b32 exec_lo, exec_lo, s0
	s_and_saveexec_b32 s0, vcc_lo
	s_cbranch_execz .LBB210_2075
.LBB210_2138:
	ds_load_b32 v31, v30 offset:144
	s_wait_dscnt 0x0
	v_add_f32_e32 v23, v31, v23
	s_or_b32 exec_lo, exec_lo, s0
	s_and_saveexec_b32 s0, vcc_lo
	s_cbranch_execz .LBB210_2076
.LBB210_2139:
	ds_load_b32 v31, v30 offset:160
	s_wait_dscnt 0x0
	v_add_f32_e32 v20, v31, v20
	s_or_b32 exec_lo, exec_lo, s0
	s_and_saveexec_b32 s0, vcc_lo
	s_cbranch_execz .LBB210_2077
.LBB210_2140:
	ds_load_b32 v31, v30 offset:176
	s_wait_dscnt 0x0
	v_add_f32_e32 v21, v31, v21
	s_or_b32 exec_lo, exec_lo, s0
	s_and_saveexec_b32 s0, vcc_lo
	s_cbranch_execz .LBB210_2078
.LBB210_2141:
	ds_load_b32 v31, v30 offset:192
	s_wait_dscnt 0x0
	v_add_f32_e32 v18, v31, v18
	s_or_b32 exec_lo, exec_lo, s0
	s_and_saveexec_b32 s0, vcc_lo
	s_cbranch_execz .LBB210_2079
.LBB210_2142:
	ds_load_b32 v31, v30 offset:208
	s_wait_dscnt 0x0
	v_add_f32_e32 v19, v31, v19
	s_or_b32 exec_lo, exec_lo, s0
	s_and_saveexec_b32 s0, vcc_lo
	s_cbranch_execz .LBB210_2080
.LBB210_2143:
	ds_load_b32 v31, v30 offset:224
	s_wait_dscnt 0x0
	v_add_f32_e32 v16, v31, v16
	s_or_b32 exec_lo, exec_lo, s0
	s_and_saveexec_b32 s0, vcc_lo
	s_cbranch_execz .LBB210_2081
.LBB210_2144:
	ds_load_b32 v31, v30 offset:240
	s_wait_dscnt 0x0
	v_add_f32_e32 v17, v31, v17
	s_or_b32 exec_lo, exec_lo, s0
	s_and_saveexec_b32 s0, vcc_lo
	s_cbranch_execz .LBB210_2082
.LBB210_2145:
	ds_load_b32 v31, v30 offset:256
	s_wait_dscnt 0x0
	v_add_f32_e32 v14, v31, v14
	s_or_b32 exec_lo, exec_lo, s0
	s_and_saveexec_b32 s0, vcc_lo
	s_cbranch_execz .LBB210_2083
.LBB210_2146:
	ds_load_b32 v31, v30 offset:272
	s_wait_dscnt 0x0
	v_add_f32_e32 v15, v31, v15
	s_or_b32 exec_lo, exec_lo, s0
	s_and_saveexec_b32 s0, vcc_lo
	s_cbranch_execz .LBB210_2084
.LBB210_2147:
	ds_load_b32 v31, v30 offset:288
	s_wait_dscnt 0x0
	v_add_f32_e32 v12, v31, v12
	s_or_b32 exec_lo, exec_lo, s0
	s_and_saveexec_b32 s0, vcc_lo
	s_cbranch_execz .LBB210_2085
.LBB210_2148:
	ds_load_b32 v31, v30 offset:304
	s_wait_dscnt 0x0
	v_add_f32_e32 v13, v31, v13
	s_or_b32 exec_lo, exec_lo, s0
	s_and_saveexec_b32 s0, vcc_lo
	s_cbranch_execz .LBB210_2086
.LBB210_2149:
	ds_load_b32 v31, v30 offset:320
	s_wait_dscnt 0x0
	v_add_f32_e32 v8, v31, v8
	s_or_b32 exec_lo, exec_lo, s0
	s_and_saveexec_b32 s0, vcc_lo
	s_cbranch_execz .LBB210_2087
.LBB210_2150:
	ds_load_b32 v31, v30 offset:336
	s_wait_dscnt 0x0
	v_add_f32_e32 v9, v31, v9
	s_or_b32 exec_lo, exec_lo, s0
	s_and_saveexec_b32 s0, vcc_lo
	s_cbranch_execz .LBB210_2088
.LBB210_2151:
	ds_load_b32 v31, v30 offset:352
	s_wait_dscnt 0x0
	v_add_f32_e32 v10, v31, v10
	s_or_b32 exec_lo, exec_lo, s0
	s_and_saveexec_b32 s0, vcc_lo
	s_cbranch_execz .LBB210_2089
.LBB210_2152:
	ds_load_b32 v31, v30 offset:368
	s_wait_dscnt 0x0
	v_add_f32_e32 v11, v31, v11
	s_or_b32 exec_lo, exec_lo, s0
	s_and_saveexec_b32 s0, vcc_lo
	s_cbranch_execz .LBB210_2090
.LBB210_2153:
	ds_load_b32 v31, v30 offset:384
	s_wait_dscnt 0x0
	v_add_f32_e32 v6, v31, v6
	s_or_b32 exec_lo, exec_lo, s0
	s_and_saveexec_b32 s0, vcc_lo
	s_cbranch_execz .LBB210_2091
.LBB210_2154:
	ds_load_b32 v31, v30 offset:400
	s_wait_dscnt 0x0
	v_add_f32_e32 v7, v31, v7
	s_or_b32 exec_lo, exec_lo, s0
	s_and_saveexec_b32 s0, vcc_lo
	s_cbranch_execz .LBB210_2092
.LBB210_2155:
	ds_load_b32 v31, v30 offset:416
	s_wait_dscnt 0x0
	v_add_f32_e32 v4, v31, v4
	s_or_b32 exec_lo, exec_lo, s0
	s_and_saveexec_b32 s0, vcc_lo
	s_cbranch_execz .LBB210_2093
.LBB210_2156:
	ds_load_b32 v31, v30 offset:432
	s_wait_dscnt 0x0
	v_add_f32_e32 v5, v31, v5
	s_or_b32 exec_lo, exec_lo, s0
	s_and_saveexec_b32 s0, vcc_lo
	s_cbranch_execz .LBB210_2094
.LBB210_2157:
	ds_load_b32 v31, v30 offset:448
	s_wait_dscnt 0x0
	v_add_f32_e32 v28, v31, v28
	s_or_b32 exec_lo, exec_lo, s0
	s_and_saveexec_b32 s0, vcc_lo
	s_cbranch_execnz .LBB210_2095
	s_branch .LBB210_2096
.Lfunc_end210:
	.size	_ZN4vllm22paged_attention_kernelIfhLi120ELi32ELi128ELNS_18Fp8KVCacheDataTypeE1ELb1ELi0EEEvPfS2_PT_PKS3_PKT0_S9_ifPKiSB_iPKfiiiSD_SD_iiiii, .Lfunc_end210-_ZN4vllm22paged_attention_kernelIfhLi120ELi32ELi128ELNS_18Fp8KVCacheDataTypeE1ELb1ELi0EEEvPfS2_PT_PKS3_PKT0_S9_ifPKiSB_iPKfiiiSD_SD_iiiii
                                        ; -- End function
	.set .L_ZN4vllm22paged_attention_kernelIfhLi120ELi32ELi128ELNS_18Fp8KVCacheDataTypeE1ELb1ELi0EEEvPfS2_PT_PKS3_PKT0_S9_ifPKiSB_iPKfiiiSD_SD_iiiii.num_vgpr, 128
	.set .L_ZN4vllm22paged_attention_kernelIfhLi120ELi32ELi128ELNS_18Fp8KVCacheDataTypeE1ELb1ELi0EEEvPfS2_PT_PKS3_PKT0_S9_ifPKiSB_iPKfiiiSD_SD_iiiii.num_agpr, 0
	.set .L_ZN4vllm22paged_attention_kernelIfhLi120ELi32ELi128ELNS_18Fp8KVCacheDataTypeE1ELb1ELi0EEEvPfS2_PT_PKS3_PKT0_S9_ifPKiSB_iPKfiiiSD_SD_iiiii.numbered_sgpr, 33
	.set .L_ZN4vllm22paged_attention_kernelIfhLi120ELi32ELi128ELNS_18Fp8KVCacheDataTypeE1ELb1ELi0EEEvPfS2_PT_PKS3_PKT0_S9_ifPKiSB_iPKfiiiSD_SD_iiiii.num_named_barrier, 0
	.set .L_ZN4vllm22paged_attention_kernelIfhLi120ELi32ELi128ELNS_18Fp8KVCacheDataTypeE1ELb1ELi0EEEvPfS2_PT_PKS3_PKT0_S9_ifPKiSB_iPKfiiiSD_SD_iiiii.private_seg_size, 1476
	.set .L_ZN4vllm22paged_attention_kernelIfhLi120ELi32ELi128ELNS_18Fp8KVCacheDataTypeE1ELb1ELi0EEEvPfS2_PT_PKS3_PKT0_S9_ifPKiSB_iPKfiiiSD_SD_iiiii.uses_vcc, 1
	.set .L_ZN4vllm22paged_attention_kernelIfhLi120ELi32ELi128ELNS_18Fp8KVCacheDataTypeE1ELb1ELi0EEEvPfS2_PT_PKS3_PKT0_S9_ifPKiSB_iPKfiiiSD_SD_iiiii.uses_flat_scratch, 1
	.set .L_ZN4vllm22paged_attention_kernelIfhLi120ELi32ELi128ELNS_18Fp8KVCacheDataTypeE1ELb1ELi0EEEvPfS2_PT_PKS3_PKT0_S9_ifPKiSB_iPKfiiiSD_SD_iiiii.has_dyn_sized_stack, 0
	.set .L_ZN4vllm22paged_attention_kernelIfhLi120ELi32ELi128ELNS_18Fp8KVCacheDataTypeE1ELb1ELi0EEEvPfS2_PT_PKS3_PKT0_S9_ifPKiSB_iPKfiiiSD_SD_iiiii.has_recursion, 0
	.set .L_ZN4vllm22paged_attention_kernelIfhLi120ELi32ELi128ELNS_18Fp8KVCacheDataTypeE1ELb1ELi0EEEvPfS2_PT_PKS3_PKT0_S9_ifPKiSB_iPKfiiiSD_SD_iiiii.has_indirect_call, 0
	.section	.AMDGPU.csdata,"",@progbits
; Function info:
; codeLenInByte = 82252
; TotalNumSgprs: 35
; NumVgprs: 128
; ScratchSize: 1476
; MemoryBound: 0
	.section	.text._ZN4vllm25paged_attention_v1_kernelIfhLi120ELi32ELi128ELNS_18Fp8KVCacheDataTypeE1ELb1EEEvPT_PKS2_PKT0_S8_ifPKiSA_iPKfiiiSC_SC_iiiii,"axG",@progbits,_ZN4vllm25paged_attention_v1_kernelIfhLi120ELi32ELi128ELNS_18Fp8KVCacheDataTypeE1ELb1EEEvPT_PKS2_PKT0_S8_ifPKiSA_iPKfiiiSC_SC_iiiii,comdat
	.protected	_ZN4vllm25paged_attention_v1_kernelIfhLi120ELi32ELi128ELNS_18Fp8KVCacheDataTypeE1ELb1EEEvPT_PKS2_PKT0_S8_ifPKiSA_iPKfiiiSC_SC_iiiii ; -- Begin function _ZN4vllm25paged_attention_v1_kernelIfhLi120ELi32ELi128ELNS_18Fp8KVCacheDataTypeE1ELb1EEEvPT_PKS2_PKT0_S8_ifPKiSA_iPKfiiiSC_SC_iiiii
	.globl	_ZN4vllm25paged_attention_v1_kernelIfhLi120ELi32ELi128ELNS_18Fp8KVCacheDataTypeE1ELb1EEEvPT_PKS2_PKT0_S8_ifPKiSA_iPKfiiiSC_SC_iiiii
	.p2align	8
	.type	_ZN4vllm25paged_attention_v1_kernelIfhLi120ELi32ELi128ELNS_18Fp8KVCacheDataTypeE1ELb1EEEvPT_PKS2_PKT0_S8_ifPKiSA_iPKfiiiSC_SC_iiiii,@function
_ZN4vllm25paged_attention_v1_kernelIfhLi120ELi32ELi128ELNS_18Fp8KVCacheDataTypeE1ELb1EEEvPT_PKS2_PKT0_S8_ifPKiSA_iPKfiiiSC_SC_iiiii: ; @_ZN4vllm25paged_attention_v1_kernelIfhLi120ELi32ELi128ELNS_18Fp8KVCacheDataTypeE1ELb1EEEvPT_PKS2_PKT0_S8_ifPKiSA_iPKfiiiSC_SC_iiiii
; %bb.0:
	s_clause 0x6
	s_load_b256 s[12:19], s[0:1], 0x0
	s_load_b128 s[4:7], s[0:1], 0x20
	s_load_b96 s[28:30], s[0:1], 0x30
	s_load_b64 s[10:11], s[0:1], 0x40
	s_load_b96 s[36:38], s[0:1], 0x48
	s_load_b256 s[20:27], s[0:1], 0x58
	s_load_b32 s31, s[0:1], 0x78
	v_mov_b32_e32 v31, v0
	s_get_pc_i64 s[2:3]
	s_add_nc_u64 s[2:3], s[2:3], _ZN4vllm22paged_attention_kernelIfhLi120ELi32ELi128ELNS_18Fp8KVCacheDataTypeE1ELb1ELi0EEEvPfS2_PT_PKS3_PKT0_S9_ifPKiSB_iPKfiiiSD_SD_iiiii@rel64+4
	s_add_nc_u64 s[8:9], s[0:1], 0x80
	s_mov_b32 s32, 0
	s_wait_kmcnt 0x0
	v_dual_mov_b32 v15, s10 :: v_dual_mov_b32 v16, s11
	v_dual_mov_b32 v0, s12 :: v_dual_mov_b32 v1, s13
	;; [unrolled: 1-line block ×14, first 2 shown]
	v_mov_b32_e32 v28, s31
	s_mov_b32 s15, 19
	s_swap_pc_i64 s[30:31], s[2:3]
	s_endpgm
	.section	.rodata,"a",@progbits
	.p2align	6, 0x0
	.amdhsa_kernel _ZN4vllm25paged_attention_v1_kernelIfhLi120ELi32ELi128ELNS_18Fp8KVCacheDataTypeE1ELb1EEEvPT_PKS2_PKT0_S8_ifPKiSA_iPKfiiiSC_SC_iiiii
		.amdhsa_group_segment_fixed_size 512
		.amdhsa_private_segment_fixed_size 1476
		.amdhsa_kernarg_size 384
		.amdhsa_user_sgpr_count 2
		.amdhsa_user_sgpr_dispatch_ptr 0
		.amdhsa_user_sgpr_queue_ptr 0
		.amdhsa_user_sgpr_kernarg_segment_ptr 1
		.amdhsa_user_sgpr_dispatch_id 0
		.amdhsa_user_sgpr_kernarg_preload_length 0
		.amdhsa_user_sgpr_kernarg_preload_offset 0
		.amdhsa_user_sgpr_private_segment_size 0
		.amdhsa_wavefront_size32 1
		.amdhsa_uses_dynamic_stack 0
		.amdhsa_enable_private_segment 1
		.amdhsa_system_sgpr_workgroup_id_x 1
		.amdhsa_system_sgpr_workgroup_id_y 1
		.amdhsa_system_sgpr_workgroup_id_z 1
		.amdhsa_system_sgpr_workgroup_info 0
		.amdhsa_system_vgpr_workitem_id 0
		.amdhsa_next_free_vgpr 128
		.amdhsa_next_free_sgpr 39
		.amdhsa_named_barrier_count 0
		.amdhsa_reserve_vcc 1
		.amdhsa_float_round_mode_32 0
		.amdhsa_float_round_mode_16_64 0
		.amdhsa_float_denorm_mode_32 3
		.amdhsa_float_denorm_mode_16_64 3
		.amdhsa_fp16_overflow 0
		.amdhsa_memory_ordered 1
		.amdhsa_forward_progress 1
		.amdhsa_inst_pref_size 2
		.amdhsa_round_robin_scheduling 0
		.amdhsa_exception_fp_ieee_invalid_op 0
		.amdhsa_exception_fp_denorm_src 0
		.amdhsa_exception_fp_ieee_div_zero 0
		.amdhsa_exception_fp_ieee_overflow 0
		.amdhsa_exception_fp_ieee_underflow 0
		.amdhsa_exception_fp_ieee_inexact 0
		.amdhsa_exception_int_div_zero 0
	.end_amdhsa_kernel
	.section	.text._ZN4vllm25paged_attention_v1_kernelIfhLi120ELi32ELi128ELNS_18Fp8KVCacheDataTypeE1ELb1EEEvPT_PKS2_PKT0_S8_ifPKiSA_iPKfiiiSC_SC_iiiii,"axG",@progbits,_ZN4vllm25paged_attention_v1_kernelIfhLi120ELi32ELi128ELNS_18Fp8KVCacheDataTypeE1ELb1EEEvPT_PKS2_PKT0_S8_ifPKiSA_iPKfiiiSC_SC_iiiii,comdat
.Lfunc_end211:
	.size	_ZN4vllm25paged_attention_v1_kernelIfhLi120ELi32ELi128ELNS_18Fp8KVCacheDataTypeE1ELb1EEEvPT_PKS2_PKT0_S8_ifPKiSA_iPKfiiiSC_SC_iiiii, .Lfunc_end211-_ZN4vllm25paged_attention_v1_kernelIfhLi120ELi32ELi128ELNS_18Fp8KVCacheDataTypeE1ELb1EEEvPT_PKS2_PKT0_S8_ifPKiSA_iPKfiiiSC_SC_iiiii
                                        ; -- End function
	.set _ZN4vllm25paged_attention_v1_kernelIfhLi120ELi32ELi128ELNS_18Fp8KVCacheDataTypeE1ELb1EEEvPT_PKS2_PKT0_S8_ifPKiSA_iPKfiiiSC_SC_iiiii.num_vgpr, max(32, .L_ZN4vllm22paged_attention_kernelIfhLi120ELi32ELi128ELNS_18Fp8KVCacheDataTypeE1ELb1ELi0EEEvPfS2_PT_PKS3_PKT0_S9_ifPKiSB_iPKfiiiSD_SD_iiiii.num_vgpr)
	.set _ZN4vllm25paged_attention_v1_kernelIfhLi120ELi32ELi128ELNS_18Fp8KVCacheDataTypeE1ELb1EEEvPT_PKS2_PKT0_S8_ifPKiSA_iPKfiiiSC_SC_iiiii.num_agpr, max(0, .L_ZN4vllm22paged_attention_kernelIfhLi120ELi32ELi128ELNS_18Fp8KVCacheDataTypeE1ELb1ELi0EEEvPfS2_PT_PKS3_PKT0_S9_ifPKiSB_iPKfiiiSD_SD_iiiii.num_agpr)
	.set _ZN4vllm25paged_attention_v1_kernelIfhLi120ELi32ELi128ELNS_18Fp8KVCacheDataTypeE1ELb1EEEvPT_PKS2_PKT0_S8_ifPKiSA_iPKfiiiSC_SC_iiiii.numbered_sgpr, max(39, .L_ZN4vllm22paged_attention_kernelIfhLi120ELi32ELi128ELNS_18Fp8KVCacheDataTypeE1ELb1ELi0EEEvPfS2_PT_PKS3_PKT0_S9_ifPKiSB_iPKfiiiSD_SD_iiiii.numbered_sgpr)
	.set _ZN4vllm25paged_attention_v1_kernelIfhLi120ELi32ELi128ELNS_18Fp8KVCacheDataTypeE1ELb1EEEvPT_PKS2_PKT0_S8_ifPKiSA_iPKfiiiSC_SC_iiiii.num_named_barrier, max(0, .L_ZN4vllm22paged_attention_kernelIfhLi120ELi32ELi128ELNS_18Fp8KVCacheDataTypeE1ELb1ELi0EEEvPfS2_PT_PKS3_PKT0_S9_ifPKiSB_iPKfiiiSD_SD_iiiii.num_named_barrier)
	.set _ZN4vllm25paged_attention_v1_kernelIfhLi120ELi32ELi128ELNS_18Fp8KVCacheDataTypeE1ELb1EEEvPT_PKS2_PKT0_S8_ifPKiSA_iPKfiiiSC_SC_iiiii.private_seg_size, 0+max(.L_ZN4vllm22paged_attention_kernelIfhLi120ELi32ELi128ELNS_18Fp8KVCacheDataTypeE1ELb1ELi0EEEvPfS2_PT_PKS3_PKT0_S9_ifPKiSB_iPKfiiiSD_SD_iiiii.private_seg_size)
	.set _ZN4vllm25paged_attention_v1_kernelIfhLi120ELi32ELi128ELNS_18Fp8KVCacheDataTypeE1ELb1EEEvPT_PKS2_PKT0_S8_ifPKiSA_iPKfiiiSC_SC_iiiii.uses_vcc, or(1, .L_ZN4vllm22paged_attention_kernelIfhLi120ELi32ELi128ELNS_18Fp8KVCacheDataTypeE1ELb1ELi0EEEvPfS2_PT_PKS3_PKT0_S9_ifPKiSB_iPKfiiiSD_SD_iiiii.uses_vcc)
	.set _ZN4vllm25paged_attention_v1_kernelIfhLi120ELi32ELi128ELNS_18Fp8KVCacheDataTypeE1ELb1EEEvPT_PKS2_PKT0_S8_ifPKiSA_iPKfiiiSC_SC_iiiii.uses_flat_scratch, or(0, .L_ZN4vllm22paged_attention_kernelIfhLi120ELi32ELi128ELNS_18Fp8KVCacheDataTypeE1ELb1ELi0EEEvPfS2_PT_PKS3_PKT0_S9_ifPKiSB_iPKfiiiSD_SD_iiiii.uses_flat_scratch)
	.set _ZN4vllm25paged_attention_v1_kernelIfhLi120ELi32ELi128ELNS_18Fp8KVCacheDataTypeE1ELb1EEEvPT_PKS2_PKT0_S8_ifPKiSA_iPKfiiiSC_SC_iiiii.has_dyn_sized_stack, or(0, .L_ZN4vllm22paged_attention_kernelIfhLi120ELi32ELi128ELNS_18Fp8KVCacheDataTypeE1ELb1ELi0EEEvPfS2_PT_PKS3_PKT0_S9_ifPKiSB_iPKfiiiSD_SD_iiiii.has_dyn_sized_stack)
	.set _ZN4vllm25paged_attention_v1_kernelIfhLi120ELi32ELi128ELNS_18Fp8KVCacheDataTypeE1ELb1EEEvPT_PKS2_PKT0_S8_ifPKiSA_iPKfiiiSC_SC_iiiii.has_recursion, or(0, .L_ZN4vllm22paged_attention_kernelIfhLi120ELi32ELi128ELNS_18Fp8KVCacheDataTypeE1ELb1ELi0EEEvPfS2_PT_PKS3_PKT0_S9_ifPKiSB_iPKfiiiSD_SD_iiiii.has_recursion)
	.set _ZN4vllm25paged_attention_v1_kernelIfhLi120ELi32ELi128ELNS_18Fp8KVCacheDataTypeE1ELb1EEEvPT_PKS2_PKT0_S8_ifPKiSA_iPKfiiiSC_SC_iiiii.has_indirect_call, or(0, .L_ZN4vllm22paged_attention_kernelIfhLi120ELi32ELi128ELNS_18Fp8KVCacheDataTypeE1ELb1ELi0EEEvPfS2_PT_PKS3_PKT0_S9_ifPKiSB_iPKfiiiSD_SD_iiiii.has_indirect_call)
	.section	.AMDGPU.csdata,"",@progbits
; Kernel info:
; codeLenInByte = 224
; TotalNumSgprs: 41
; NumVgprs: 128
; ScratchSize: 1476
; MemoryBound: 0
; FloatMode: 240
; IeeeMode: 1
; LDSByteSize: 512 bytes/workgroup (compile time only)
; SGPRBlocks: 0
; VGPRBlocks: 7
; NumSGPRsForWavesPerEU: 41
; NumVGPRsForWavesPerEU: 128
; NamedBarCnt: 0
; Occupancy: 8
; WaveLimiterHint : 1
; COMPUTE_PGM_RSRC2:SCRATCH_EN: 1
; COMPUTE_PGM_RSRC2:USER_SGPR: 2
; COMPUTE_PGM_RSRC2:TRAP_HANDLER: 0
; COMPUTE_PGM_RSRC2:TGID_X_EN: 1
; COMPUTE_PGM_RSRC2:TGID_Y_EN: 1
; COMPUTE_PGM_RSRC2:TGID_Z_EN: 1
; COMPUTE_PGM_RSRC2:TIDIG_COMP_CNT: 0
	.text
	.p2align	2                               ; -- Begin function _ZN4vllm22paged_attention_kernelIfhLi128ELi32ELi128ELNS_18Fp8KVCacheDataTypeE1ELb1ELi0EEEvPfS2_PT_PKS3_PKT0_S9_ifPKiSB_iPKfiiiSD_SD_iiiii
	.type	_ZN4vllm22paged_attention_kernelIfhLi128ELi32ELi128ELNS_18Fp8KVCacheDataTypeE1ELb1ELi0EEEvPfS2_PT_PKS3_PKT0_S9_ifPKiSB_iPKfiiiSD_SD_iiiii,@function
_ZN4vllm22paged_attention_kernelIfhLi128ELi32ELi128ELNS_18Fp8KVCacheDataTypeE1ELb1ELi0EEEvPfS2_PT_PKS3_PKT0_S9_ifPKiSB_iPKfiiiSD_SD_iiiii: ; @_ZN4vllm22paged_attention_kernelIfhLi128ELi32ELi128ELNS_18Fp8KVCacheDataTypeE1ELb1ELi0EEEvPfS2_PT_PKS3_PKT0_S9_ifPKiSB_iPKfiiiSD_SD_iiiii
; %bb.0:
	s_wait_loadcnt_dscnt 0x0
	s_wait_kmcnt 0x0
	s_clause 0x2f
	scratch_store_b32 off, v40, s32 offset:188
	; meta instruction
	scratch_store_b32 off, v41, s32 offset:184
	; meta instruction
	scratch_store_b32 off, v42, s32 offset:180
	; meta instruction
	scratch_store_b32 off, v43, s32 offset:176
	; meta instruction
	scratch_store_b32 off, v44, s32 offset:172
	; meta instruction
	scratch_store_b32 off, v45, s32 offset:168
	; meta instruction
	scratch_store_b32 off, v46, s32 offset:164
	; meta instruction
	scratch_store_b32 off, v47, s32 offset:160
	; meta instruction
	scratch_store_b32 off, v56, s32 offset:156
	; meta instruction
	scratch_store_b32 off, v57, s32 offset:152
	; meta instruction
	scratch_store_b32 off, v58, s32 offset:148
	; meta instruction
	scratch_store_b32 off, v59, s32 offset:144
	; meta instruction
	scratch_store_b32 off, v60, s32 offset:140
	; meta instruction
	scratch_store_b32 off, v61, s32 offset:136
	; meta instruction
	scratch_store_b32 off, v62, s32 offset:132
	; meta instruction
	scratch_store_b32 off, v63, s32 offset:128
	; meta instruction
	scratch_store_b32 off, v72, s32 offset:124
	; meta instruction
	scratch_store_b32 off, v73, s32 offset:120
	; meta instruction
	scratch_store_b32 off, v74, s32 offset:116
	; meta instruction
	scratch_store_b32 off, v75, s32 offset:112
	; meta instruction
	scratch_store_b32 off, v76, s32 offset:108
	; meta instruction
	scratch_store_b32 off, v77, s32 offset:104
	; meta instruction
	scratch_store_b32 off, v78, s32 offset:100
	; meta instruction
	scratch_store_b32 off, v79, s32 offset:96
	; meta instruction
	scratch_store_b32 off, v88, s32 offset:92
	; meta instruction
	scratch_store_b32 off, v89, s32 offset:88
	; meta instruction
	scratch_store_b32 off, v90, s32 offset:84
	; meta instruction
	scratch_store_b32 off, v91, s32 offset:80
	; meta instruction
	scratch_store_b32 off, v92, s32 offset:76
	; meta instruction
	scratch_store_b32 off, v93, s32 offset:72
	; meta instruction
	scratch_store_b32 off, v94, s32 offset:68
	; meta instruction
	scratch_store_b32 off, v95, s32 offset:64
	; meta instruction
	scratch_store_b32 off, v104, s32 offset:60
	; meta instruction
	scratch_store_b32 off, v105, s32 offset:56
	; meta instruction
	scratch_store_b32 off, v106, s32 offset:52
	; meta instruction
	scratch_store_b32 off, v107, s32 offset:48
	; meta instruction
	scratch_store_b32 off, v108, s32 offset:44
	; meta instruction
	scratch_store_b32 off, v109, s32 offset:40
	; meta instruction
	scratch_store_b32 off, v110, s32 offset:36
	; meta instruction
	scratch_store_b32 off, v111, s32 offset:32
	; meta instruction
	scratch_store_b32 off, v120, s32 offset:28
	; meta instruction
	scratch_store_b32 off, v121, s32 offset:24
	; meta instruction
	scratch_store_b32 off, v122, s32 offset:20
	; meta instruction
	scratch_store_b32 off, v123, s32 offset:16
	; meta instruction
	scratch_store_b32 off, v124, s32 offset:12
	; meta instruction
	scratch_store_b32 off, v125, s32 offset:8
	; meta instruction
	scratch_store_b32 off, v126, s32 offset:4
	; meta instruction
	scratch_store_b32 off, v127, s32
	s_bfe_u32 s0, ttmp6, 0x4000c
	s_bfe_u32 s3, ttmp6, 0x40010
	s_add_co_i32 s0, s0, 1
	s_and_b32 s1, ttmp6, 15
	s_mul_i32 s0, ttmp9, s0
	s_and_b32 s4, ttmp7, 0xffff
	s_add_co_i32 s3, s3, 1
	s_add_co_i32 s1, s1, s0
	s_mul_i32 s0, s4, s3
	s_bfe_u32 s3, ttmp6, 0x40004
	s_getreg_b32 s10, hwreg(HW_REG_IB_STS2, 6, 4)
	s_add_co_i32 s3, s3, s0
	s_cmp_eq_u32 s10, 0
	s_mov_b32 s7, 0
	s_cselect_b32 s11, s4, s3
	s_cselect_b32 s0, ttmp9, s1
	s_lshl_b32 s6, s11, 2
	s_clause 0x7
	scratch_store_b32 off, v26, s32 offset:1552
	scratch_store_b64 off, v[22:23], s32 offset:1004
	scratch_store_b64 off, v[20:21], s32 offset:1012
	;; [unrolled: 1-line block ×4, first 2 shown]
	scratch_store_b32 off, v9, s32 offset:1020
	scratch_store_b64 off, v[6:7], s32 offset:1596
	scratch_store_b64 off, v[0:1], s32 offset:1588
	s_wait_xcnt 0x1
	v_add_nc_u64_e32 v[6:7], s[6:7], v[12:13]
	s_wait_xcnt 0x0
	v_mov_b32_e32 v1, 0
	s_clause 0x1
	s_load_u16 s1, s[8:9], 0x12
	s_load_b32 s3, s[8:9], 0x0
	v_dual_mov_b32 v33, v16 :: v_dual_mov_b32 v32, v15
	s_mov_b32 s2, s15
	flat_load_b32 v6, v[6:7]
	s_wait_kmcnt 0x0
	s_cmp_lg_u32 s1, 0
	s_cselect_b32 s1, -1, 0
	s_delay_alu instid0(SALU_CYCLE_1)
	s_cmp_lg_u32 s1, 0
	s_add_co_ci_u32 s12, s3, 0
	s_abs_i32 s6, s0
	s_mov_b32 s3, exec_lo
	s_abs_i32 s1, s12
	s_wait_loadcnt_dscnt 0x0
	scratch_store_b64 off, v[6:7], s32 offset:200 ; 8-byte Folded Spill
	s_wait_xcnt 0x0
	v_sub_nc_u32_e32 v6, 0, v8
	global_load_u16 v0, v1, s[8:9] offset:22
	v_max_i32_e32 v6, v8, v6
	s_delay_alu instid0(VALU_DEP_1) | instskip(NEXT) | instid1(VALU_DEP_1)
	v_cvt_f32_u32_e32 v7, v6
	v_rcp_iflag_f32_e32 v7, v7
	v_nop
	s_delay_alu instid0(TRANS32_DEP_1) | instskip(SKIP_1) | instid1(VALU_DEP_2)
	v_mul_f32_e32 v7, 0x4f7ffffe, v7
	v_sub_nc_u32_e32 v9, 0, v6
	v_cvt_u32_f32_e32 v7, v7
	s_delay_alu instid0(VALU_DEP_1) | instskip(NEXT) | instid1(VALU_DEP_1)
	v_mul_lo_u32 v9, v9, v7
	v_mul_hi_u32 v9, v7, v9
	s_delay_alu instid0(VALU_DEP_1) | instskip(NEXT) | instid1(VALU_DEP_1)
	v_add_nc_u32_e32 v7, v7, v9
	v_mul_hi_u32 v7, s1, v7
	s_delay_alu instid0(VALU_DEP_1) | instskip(NEXT) | instid1(VALU_DEP_1)
	v_mul_lo_u32 v9, v7, v6
	v_dual_add_nc_u32 v10, 1, v7 :: v_dual_sub_nc_u32 v9, s1, v9
	s_delay_alu instid0(VALU_DEP_1) | instskip(SKIP_1) | instid1(VALU_DEP_3)
	v_sub_nc_u32_e32 v11, v9, v6
	v_cmp_ge_u32_e32 vcc_lo, v9, v6
	v_dual_cndmask_b32 v7, v7, v10, vcc_lo :: v_dual_bitop2_b32 v10, s12, v8 bitop3:0x14
	s_delay_alu instid0(VALU_DEP_3) | instskip(NEXT) | instid1(VALU_DEP_2)
	v_cndmask_b32_e32 v9, v9, v11, vcc_lo
	v_dual_add_nc_u32 v11, 1, v7 :: v_dual_ashrrev_i32 v10, 31, v10
	s_delay_alu instid0(VALU_DEP_2) | instskip(NEXT) | instid1(VALU_DEP_2)
	v_cmp_ge_u32_e32 vcc_lo, v9, v6
	v_cndmask_b32_e32 v6, v7, v11, vcc_lo
	s_delay_alu instid0(VALU_DEP_1) | instskip(NEXT) | instid1(VALU_DEP_1)
	v_xor_b32_e32 v6, v6, v10
	v_sub_nc_u32_e32 v7, v6, v10
	s_delay_alu instid0(VALU_DEP_1) | instskip(NEXT) | instid1(VALU_DEP_1)
	v_sub_nc_u32_e32 v6, 0, v7
	v_max_i32_e32 v6, v7, v6
	s_delay_alu instid0(VALU_DEP_1) | instskip(SKIP_1) | instid1(VALU_DEP_2)
	v_cvt_f32_u32_e32 v9, v6
	v_sub_nc_u32_e32 v10, 0, v6
	v_rcp_iflag_f32_e32 v9, v9
	v_nop
	s_delay_alu instid0(TRANS32_DEP_1) | instskip(NEXT) | instid1(VALU_DEP_1)
	v_mul_f32_e32 v9, 0x4f7ffffe, v9
	v_cvt_u32_f32_e32 v9, v9
	s_delay_alu instid0(VALU_DEP_1) | instskip(NEXT) | instid1(VALU_DEP_1)
	v_mul_lo_u32 v10, v10, v9
	v_mul_hi_u32 v10, v9, v10
	s_wait_loadcnt 0x0
	v_readfirstlane_b32 s13, v0
	s_delay_alu instid0(VALU_DEP_2)
	v_add_nc_u32_e32 v0, v9, v10
	v_mov_b32_e32 v9, v1
	scratch_store_b32 off, v9, s32 offset:1000 ; 4-byte Folded Spill
	s_wait_xcnt 0x0
	v_cmpx_ne_u64_e32 0, v[32:33]
	s_cbranch_execz .LBB212_2
; %bb.1:
	s_ashr_i32 s1, s0, 31
	s_delay_alu instid0(SALU_CYCLE_1)
	v_lshl_add_u64 v[12:13], s[0:1], 2, v[32:33]
	flat_load_b32 v9, v[12:13]
	s_wait_loadcnt_dscnt 0x0
	scratch_store_b32 off, v9, s32 offset:1000 ; 4-byte Folded Spill
.LBB212_2:
	s_wait_xcnt 0x0
	s_or_b32 exec_lo, exec_lo, s3
	v_mul_u64_e32 v[0:1], s[6:7], v[0:1]
	v_and_b32_e32 v9, 0x3ff, v31
	v_ashrrev_i32_e32 v0, 31, v7
	s_ashr_i32 s1, s0, 31
	s_lshl_b32 s4, s0, 7
	s_mov_b32 s3, exec_lo
	scratch_store_b32 off, v9, s32 offset:996 ; 4-byte Folded Spill
	s_wait_xcnt 0x0
	v_cmpx_gt_u32_e32 32, v9
	s_cbranch_execz .LBB212_4
; %bb.3:
	scratch_load_b32 v7, off, s32 offset:996 ; 4-byte Folded Reload
	v_mul_lo_u32 v12, v17, s11
	s_ashr_i32 s5, s4, 31
	s_delay_alu instid0(VALU_DEP_1) | instskip(NEXT) | instid1(VALU_DEP_1)
	v_ashrrev_i32_e32 v13, 31, v12
	v_lshl_add_u64 v[2:3], v[12:13], 2, v[2:3]
	v_mov_b32_e32 v13, 0
	s_delay_alu instid0(VALU_DEP_2) | instskip(SKIP_2) | instid1(VALU_DEP_1)
	v_lshl_add_u64 v[2:3], s[4:5], 2, v[2:3]
	s_wait_loadcnt 0x0
	v_lshlrev_b32_e32 v12, 4, v7
	v_add_nc_u64_e32 v[2:3], v[2:3], v[12:13]
	flat_load_b128 v[20:23], v[2:3]
	s_wait_loadcnt_dscnt 0x0
	ds_store_b128 v12, v[20:23]
.LBB212_4:
	s_wait_xcnt 0x0
	s_or_b32 exec_lo, exec_lo, s3
	scratch_load_b64 v[12:13], off, s32 offset:200 ; 8-byte Folded Reload
	v_dual_sub_nc_u32 v2, 0, v27 :: v_dual_add_nc_u32 v9, 1, v1
	v_mul_lo_u32 v3, v1, v6
	v_xor_b32_e32 v11, s1, v0
	s_mov_b32 s1, exec_lo
	s_delay_alu instid0(VALU_DEP_3) | instskip(NEXT) | instid1(VALU_DEP_1)
	v_max_i32_e32 v7, v27, v2
	v_cvt_f32_u32_e32 v2, v7
	s_delay_alu instid0(VALU_DEP_4) | instskip(NEXT) | instid1(VALU_DEP_2)
	v_sub_nc_u32_e32 v3, s6, v3
	v_rcp_iflag_f32_e32 v2, v2
	s_delay_alu instid0(VALU_DEP_1) | instskip(NEXT) | instid1(TRANS32_DEP_1)
	v_cmp_ge_u32_e32 vcc_lo, v3, v6
	v_mul_f32_e32 v2, 0x4f7ffffe, v2
	scratch_store_b32 off, v7, s32 offset:228 ; 4-byte Folded Spill
	s_wait_xcnt 0x0
	v_dual_sub_nc_u32 v7, 0, v7 :: v_dual_cndmask_b32 v1, v1, v9, vcc_lo
	v_cvt_u32_f32_e32 v2, v2
	s_delay_alu instid0(VALU_DEP_2) | instskip(NEXT) | instid1(VALU_DEP_2)
	v_add_nc_u32_e32 v9, 1, v1
	v_mul_lo_u32 v10, v7, v2
	v_sub_nc_u32_e32 v7, v3, v6
	s_delay_alu instid0(VALU_DEP_1) | instskip(NEXT) | instid1(VALU_DEP_3)
	v_cndmask_b32_e32 v3, v3, v7, vcc_lo
	v_mul_hi_u32 v10, v2, v10
	s_wait_loadcnt 0x0
	v_add_nc_u32_e32 v7, -1, v12
	s_delay_alu instid0(VALU_DEP_3) | instskip(NEXT) | instid1(VALU_DEP_3)
	v_cmp_ge_u32_e32 vcc_lo, v3, v6
	v_add_nc_u32_e32 v12, v2, v10
                                        ; implicit-def: $vgpr2
                                        ; kill: killed $vgpr2
	v_dual_cndmask_b32 v0, v1, v9 :: v_dual_mov_b32 v1, 0
	s_delay_alu instid0(VALU_DEP_4) | instskip(NEXT) | instid1(VALU_DEP_2)
	v_sub_nc_u32_e32 v3, 0, v7
	v_dual_mov_b32 v13, v1 :: v_dual_bitop2_b32 v6, v0, v11 bitop3:0x14
	s_delay_alu instid0(VALU_DEP_2) | instskip(NEXT) | instid1(VALU_DEP_2)
	v_max_i32_e32 v0, v7, v3
	v_sub_nc_u32_e32 v6, v6, v11
	scratch_store_b64 off, v[12:13], s32 offset:232 ; 8-byte Folded Spill
	s_wait_storecnt_dscnt 0x0
	s_barrier_signal -1
	s_barrier_wait -1
	s_wait_xcnt 0x0
	v_cmpx_gt_i32_e32 0, v28
	s_xor_b32 s1, exec_lo, s1
	s_cbranch_execz .LBB212_6
; %bb.5:
	v_mad_u32 v2, v24, v8, v6
                                        ; implicit-def: $vgpr24
	s_delay_alu instid0(VALU_DEP_1) | instskip(NEXT) | instid1(VALU_DEP_1)
	v_mul_lo_u32 v2, v2, v28
                                        ; implicit-def: $vgpr28
	v_sub_nc_u32_e32 v2, 1, v2
	scratch_store_b32 off, v2, s32 offset:244 ; 4-byte Folded Spill
.LBB212_6:
	s_wait_xcnt 0x0
	s_or_saveexec_b32 s1, s1
	scratch_load_b64 v[2:3], off, s32 offset:232 ; 8-byte Folded Reload
	s_wait_loadcnt 0x0
	v_mul_u64_e32 v[2:3], v[0:1], v[2:3]
	v_ashrrev_i32_e32 v1, 31, v7
	v_ashrrev_i32_e32 v2, 31, v27
	scratch_store_b32 off, v2, s32 offset:240 ; 4-byte Folded Spill
	s_wait_xcnt 0x0
	s_xor_b32 exec_lo, exec_lo, s1
	s_cbranch_execz .LBB212_8
; %bb.7:
	v_mad_u32 v2, s12, v24, s0
	s_delay_alu instid0(VALU_DEP_1)
	v_mad_u32 v2, v2, v28, 1
	scratch_store_b32 off, v2, s32 offset:244 ; 4-byte Folded Spill
.LBB212_8:
	s_wait_xcnt 0x0
	s_or_b32 exec_lo, exec_lo, s1
	s_clause 0x1
	scratch_load_b32 v12, off, s32 offset:228
	scratch_load_b64 v[8:9], off, s32 offset:200
	v_mul_lo_u32 v14, v14, s11
	s_load_b32 s5, s[8:9], 0x8
	v_mov_b32_e32 v28, 0xff7fffff
	s_ashr_i32 s3, s2, 31
	s_get_pc_i64 s[6:7]
	s_add_nc_u64 s[6:7], s[6:7], llvm.amdgcn.dynlds.offset.table@rel64+4
	s_lshl_b64 s[2:3], s[2:3], 2
	s_wait_loadcnt 0x0
	scratch_load_b32 v9, off, s32 offset:996 ; 4-byte Folded Reload
	s_add_nc_u64 s[6:7], s[6:7], s[2:3]
	v_ashrrev_i32_e32 v15, 31, v14
	scratch_store_b64 off, v[14:15], s32 offset:1564 ; 8-byte Folded Spill
	v_mul_lo_u32 v2, v3, v12
	s_wait_loadcnt 0x0
	s_delay_alu instid0(VALU_DEP_1) | instskip(SKIP_1) | instid1(VALU_DEP_2)
	v_dual_lshrrev_b32 v10, 5, v9 :: v_dual_sub_nc_u32 v0, v0, v2
	v_add_nc_u32_e32 v2, 1, v3
	v_cmp_ge_u32_e32 vcc_lo, v0, v12
	s_delay_alu instid0(VALU_DEP_2) | instskip(SKIP_3) | instid1(VALU_DEP_1)
	v_dual_cndmask_b32 v2, v3, v2 :: v_dual_add_nc_u32 v7, 31, v8
	scratch_load_b32 v3, off, s32 offset:240 ; 4-byte Folded Reload
	s_wait_loadcnt 0x0
	v_dual_sub_nc_u32 v8, v0, v12 :: v_dual_bitop2_b32 v1, v1, v3 bitop3:0x14
	v_dual_cndmask_b32 v0, v0, v8 :: v_dual_ashrrev_i32 v3, 31, v7
	v_dual_add_nc_u32 v8, 1, v2 :: v_dual_bitop2_b32 v11, 31, v9 bitop3:0x40
	s_delay_alu instid0(VALU_DEP_2) | instskip(NEXT) | instid1(VALU_DEP_3)
	v_lshrrev_b32_e32 v3, 27, v3
	v_cmp_ge_u32_e32 vcc_lo, v0, v12
	v_mul_lo_u32 v12, v6, v19
	scratch_store_b32 off, v11, s32 offset:992 ; 4-byte Folded Spill
	v_dual_cndmask_b32 v0, v2, v8, vcc_lo :: v_dual_add_nc_u32 v2, v7, v3
	scratch_load_b32 v3, off, s32 offset:1552 ; 4-byte Folded Reload
	v_dual_lshlrev_b32 v8, 2, v11 :: v_dual_bitop2_b32 v0, v0, v1 bitop3:0x14
	v_ashrrev_i32_e32 v2, 5, v2
	s_delay_alu instid0(VALU_DEP_1)
	v_cmp_lt_i32_e64 s0, v10, v2
	s_wait_loadcnt 0x0
	v_dual_sub_nc_u32 v3, 0, v3 :: v_dual_lshlrev_b32 v6, 5, v10
	v_dual_sub_nc_u32 v0, v0, v1 :: v_dual_ashrrev_i32 v13, 31, v12
	s_clause 0x1
	scratch_store_b32 off, v3, s32 offset:1584
	scratch_store_b64 off, v[6:7], s32 offset:212
	v_sub_nc_u32_e32 v0, v0, v25
	s_clause 0x3
	scratch_store_b64 off, v[12:13], s32 offset:1576
	scratch_store_b32 off, v10, s32 offset:1548
	scratch_store_b32 off, v2, s32 offset:208
	;; [unrolled: 1-line block ×3, first 2 shown]
	s_wait_xcnt 0x0
	v_lshrrev_b32_e32 v0, 3, v9
	scratch_store_b32 off, v0, s32 offset:1572 ; 4-byte Folded Spill
	s_wait_xcnt 0x0
	s_and_saveexec_b32 s3, s0
	s_cbranch_execz .LBB212_1040
; %bb.9:
	s_clause 0x2
	scratch_load_b32 v0, off, s32 offset:1552
	scratch_load_b32 v1, off, s32 offset:1584
	scratch_store_b32 off, v8, s32 offset:1604
	s_load_b32 s8, s[6:7], 0x0
	s_mov_b32 s9, 0
	v_mov_b32_e32 v17, 0
	scratch_load_b32 v6, off, s32 offset:1000 ; 4-byte Folded Reload
	v_mov_b32_e32 v28, 0xff7fffff
	ds_load_b128 v[12:15], v17
	s_wait_loadcnt 0x1
	v_max_i32_e32 v7, v0, v1
	scratch_load_b64 v[0:1], off, s32 offset:1576 ; 8-byte Folded Reload
	s_wait_loadcnt 0x1
	v_cmp_neq_f32_e32 vcc_lo, 0, v6
	scratch_load_b32 v6, off, s32 offset:1548 ; 4-byte Folded Reload
	s_wait_loadcnt 0x1
	v_add_nc_u64_e32 v[2:3], v[4:5], v[0:1]
	scratch_load_b32 v5, off, s32 offset:992 ; 4-byte Folded Reload
	v_cvt_f32_u32_e32 v4, v7
	v_mov_b32_e32 v1, v17
	s_wait_loadcnt 0x1
	v_lshl_or_b32 v34, v6, 7, v8
	scratch_load_b64 v[8:9], off, s32 offset:200 ; 8-byte Folded Reload
	v_rcp_iflag_f32_e32 v4, v4
	v_lshlrev_b32_e32 v10, 5, v6
	s_delay_alu instid0(TRANS32_DEP_1) | instskip(NEXT) | instid1(VALU_DEP_1)
	v_mul_f32_e32 v4, 0x4f7ffffe, v4
	v_cvt_u32_f32_e32 v4, v4
	s_wait_loadcnt 0x0
	v_dual_lshlrev_b32 v16, 4, v5 :: v_dual_sub_nc_u32 v5, v5, v8
	s_delay_alu instid0(VALU_DEP_1) | instskip(SKIP_1) | instid1(VALU_DEP_3)
	v_add_nc_u64_e32 v[2:3], v[2:3], v[16:17]
	v_dual_mov_b32 v8, v6 :: v_dual_sub_nc_u32 v6, 0, v7
	v_add_nc_u32_e32 v0, 1, v5
	s_clause 0x4
	scratch_store_b32 off, v7, s32 offset:828
	scratch_store_b64 off, v[2:3], s32 offset:1252
	scratch_load_b64 v[2:3], off, s32 offset:1564
	scratch_store_b32 off, v0, s32 offset:1120
	scratch_load_b32 v0, off, s32 offset:1572
	v_mul_lo_u32 v5, v6, v4
	scratch_load_b64 v[6:7], off, s32 offset:1556 ; 8-byte Folded Reload
	v_mul_hi_u32 v5, v4, v5
	s_wait_loadcnt 0x1
	v_and_b32_e32 v16, 0x7c, v0
	s_delay_alu instid0(VALU_DEP_2) | instskip(NEXT) | instid1(VALU_DEP_2)
	v_add_nc_u32_e32 v0, v4, v5
	v_lshl_add_u64 v[2:3], v[2:3], 2, v[16:17]
	scratch_store_b64 off, v[0:1], s32 offset:832 ; 8-byte Folded Spill
	s_wait_loadcnt 0x0
	v_add_nc_u64_e32 v[2:3], v[6:7], v[2:3]
	scratch_store_b64 off, v[2:3], s32 offset:220 ; 8-byte Folded Spill
	s_wait_xcnt 0x0
	ds_load_b128 v[0:3], v17 offset:352
	s_wait_dscnt 0x1
	scratch_store_b128 off, v[12:15], s32 offset:1024 ; 16-byte Folded Spill
	s_wait_xcnt 0x0
	ds_load_b128 v[12:15], v17 offset:16
	s_wait_dscnt 0x1
	scratch_store_b128 off, v[0:3], s32 offset:1388 ; 16-byte Folded Spill
	;; [unrolled: 4-line block ×17, first 2 shown]
	s_wait_xcnt 0x0
	v_mov_b32_e32 v1, v17
	scratch_store_b128 off, v[12:15], s32 offset:1156 ; 16-byte Folded Spill
	s_wait_xcnt 0x0
	ds_load_b128 v[12:15], v17 offset:144
	scratch_store_b64 off, v[0:1], s32 offset:192 ; 8-byte Folded Spill
	s_wait_xcnt 0x0
	ds_load_b128 v[0:3], v17 offset:496
	s_wait_dscnt 0x1
	scratch_store_b128 off, v[12:15], s32 offset:1172 ; 16-byte Folded Spill
	s_wait_xcnt 0x0
	ds_load_b128 v[12:15], v17 offset:160
	s_wait_dscnt 0x1
	scratch_store_b128 off, v[0:3], s32 offset:1532 ; 16-byte Folded Spill
	s_wait_dscnt 0x0
	scratch_store_b128 off, v[12:15], s32 offset:1188 ; 16-byte Folded Spill
	s_wait_xcnt 0x0
	ds_load_b128 v[12:15], v17 offset:176
	s_wait_dscnt 0x0
	scratch_store_b128 off, v[12:15], s32 offset:1204 ; 16-byte Folded Spill
	s_wait_xcnt 0x0
	ds_load_b128 v[12:15], v17 offset:192
	;; [unrolled: 4-line block ×11, first 2 shown]
	s_wait_dscnt 0x0
	scratch_store_b128 off, v[12:15], s32 offset:1372 ; 16-byte Folded Spill
	s_branch .LBB212_15
.LBB212_10:                             ;   in Loop: Header=BB212_15 Depth=1
	s_or_b32 exec_lo, exec_lo, s17
	v_lshlrev_b32_e32 v8, 24, v8
	v_dual_lshlrev_b32 v0, 20, v0 :: v_dual_mov_b32 v68, v1
	v_lshl_add_u32 v9, v29, 23, 0x3c000000
	s_delay_alu instid0(VALU_DEP_3) | instskip(NEXT) | instid1(VALU_DEP_1)
	v_and_b32_e32 v8, 0x80000000, v8
	v_or3_b32 v69, v0, v8, v9
	v_mov_b32_e32 v9, v1
	scratch_store_b64 off, v[8:9], s32 offset:192 ; 8-byte Folded Spill
.LBB212_11:                             ;   in Loop: Header=BB212_15 Depth=1
	s_wait_xcnt 0x0
	s_or_b32 exec_lo, exec_lo, s16
.LBB212_12:                             ;   in Loop: Header=BB212_15 Depth=1
	s_delay_alu instid0(SALU_CYCLE_1)
	s_or_b32 exec_lo, exec_lo, s15
.LBB212_13:                             ;   in Loop: Header=BB212_15 Depth=1
	s_delay_alu instid0(SALU_CYCLE_1)
	s_or_b32 exec_lo, exec_lo, s14
	v_or_b32_e32 v1, v33, v81
	v_or_b32_e32 v0, v32, v80
	v_or_b32_e32 v81, v73, v95
	v_or_b32_e32 v80, v72, v94
	v_or_b32_e32 v117, v117, v59
	v_or_b32_e32 v116, v116, v58
	scratch_store_b64 off, v[0:1], s32 offset:880 ; 8-byte Folded Spill
	s_wait_xcnt 0x0
	v_or_b32_e32 v1, v85, v71
	v_or_b32_e32 v0, v84, v70
	v_or_b32_e32 v85, v45, v75
	v_or_b32_e32 v84, v44, v74
	v_or_b32_e32 v71, v41, v63
	v_or_b32_e32 v70, v40, v62
	scratch_store_b64 off, v[0:1], s32 offset:864 ; 8-byte Folded Spill
	s_wait_xcnt 0x0
	;; [unrolled: 8-line block ×4, first 2 shown]
	v_or_b32_e32 v1, v25, v13
	v_or_b32_e32 v0, v24, v12
	scratch_store_b64 off, v[0:1], s32 offset:912 ; 8-byte Folded Spill
	s_wait_xcnt 0x0
	v_or_b32_e32 v1, v55, v31
	v_or_b32_e32 v0, v54, v30
	;; [unrolled: 1-line block ×4, first 2 shown]
	scratch_store_b64 off, v[0:1], s32 offset:888 ; 8-byte Folded Spill
	s_wait_xcnt 0x0
	v_or_b32_e32 v1, v23, v17
	v_or_b32_e32 v0, v22, v16
	scratch_store_b64 off, v[0:1], s32 offset:928 ; 8-byte Folded Spill
	s_wait_xcnt 0x0
	v_or_b32_e32 v1, v15, v21
	v_or_b32_e32 v0, v14, v20
	;; [unrolled: 4-line block ×5, first 2 shown]
	v_mov_b64_e32 v[4:5], v[68:69]
	scratch_store_b64 off, v[0:1], s32 offset:960 ; 8-byte Folded Spill
	s_wait_xcnt 0x0
	v_or_b32_e32 v1, v121, v27
	v_or_b32_e32 v0, v120, v26
	;; [unrolled: 1-line block ×4, first 2 shown]
	scratch_store_b64 off, v[0:1], s32 offset:936 ; 8-byte Folded Spill
	s_wait_xcnt 0x0
	v_or_b32_e32 v1, v93, v123
	v_or_b32_e32 v0, v92, v122
	scratch_store_b64 off, v[0:1], s32 offset:976 ; 8-byte Folded Spill
	s_wait_xcnt 0x0
	v_or_b32_e32 v1, v105, v127
	v_or_b32_e32 v0, v104, v126
	;; [unrolled: 4-line block ×4, first 2 shown]
	s_clause 0x1
	scratch_store_b64 off, v[0:1], s32 offset:968
	scratch_load_b64 v[0:1], off, s32 offset:532 th:TH_LOAD_LU
	s_wait_loadcnt 0x0
	v_or_b32_e32 v101, v87, v1
	v_or_b32_e32 v100, v86, v0
	s_clause 0x1
	scratch_load_b64 v[0:1], off, s32 offset:524 th:TH_LOAD_LU
	scratch_load_b64 v[2:3], off, s32 offset:804 th:TH_LOAD_LU
	v_or_b32_e32 v87, v99, v119
	v_or_b32_e32 v86, v98, v118
	s_wait_loadcnt 0x0
	v_or_b32_e32 v99, v1, v3
	v_or_b32_e32 v98, v0, v2
	scratch_load_b64 v[0:1], off, s32 offset:812 th:TH_LOAD_LU ; 8-byte Folded Reload
	s_wait_loadcnt 0x0
	v_or_b32_e32 v115, v83, v1
	v_or_b32_e32 v114, v82, v0
	s_clause 0x1
	scratch_load_b64 v[0:1], off, s32 offset:508 th:TH_LOAD_LU
	scratch_load_b64 v[2:3], off, s32 offset:788 th:TH_LOAD_LU
	s_wait_loadcnt 0x0
	v_or_b32_e32 v119, v1, v3
	v_or_b32_e32 v118, v0, v2
	s_clause 0x1
	scratch_load_b64 v[0:1], off, s32 offset:516 th:TH_LOAD_LU
	scratch_load_b64 v[2:3], off, s32 offset:796 th:TH_LOAD_LU
	;; [unrolled: 6-line block ×32, first 2 shown]
	scratch_load_b128 v[12:15], off, s32 offset:1072
	scratch_load_b128 v[16:19], off, s32 offset:1088
	scratch_load_b128 v[20:23], off, s32 offset:1104
	scratch_load_b128 v[24:27], off, s32 offset:1124
	scratch_load_b64 v[36:37], off, s32 offset:856 th:TH_LOAD_LU
	scratch_load_b128 v[8:11], off, s32 offset:1040
	scratch_load_b128 v[4:7], off, s32 offset:1056
	s_wait_loadcnt 0x7
	v_or_b32_e32 v69, v1, v3
	v_or_b32_e32 v68, v0, v2
	scratch_load_b64 v[0:1], off, s32 offset:260 th:TH_LOAD_LU ; 8-byte Folded Reload
	s_wait_loadcnt 0x3
	v_pk_mul_f32 v[34:35], v[36:37], v[34:35] op_sel_hi:[0,1]
	v_pk_mul_f32 v[28:29], v[36:37], v[28:29] op_sel_hi:[0,1]
	;; [unrolled: 1-line block ×3, first 2 shown]
	s_wait_loadcnt 0x2
	s_delay_alu instid0(VALU_DEP_3)
	v_pk_mul_f32 v[34:35], v[8:9], v[34:35]
	s_wait_loadcnt 0x0
	v_or_b32_e32 v97, v1, v97
	v_or_b32_e32 v96, v0, v96
	scratch_load_b64 v[0:1], off, s32 offset:540 th:TH_LOAD_LU ; 8-byte Folded Reload
	v_pk_mul_f32 v[96:97], v[36:37], v[96:97] op_sel_hi:[0,1]
	s_wait_loadcnt 0x0
	v_or_b32_e32 v53, v53, v1
	v_or_b32_e32 v52, v52, v0
	scratch_load_b128 v[0:3], off, s32 offset:1024 ; 16-byte Folded Reload
	s_wait_loadcnt 0x0
	v_pk_fma_f32 v[34:35], v[0:1], v[96:97], v[34:35]
	s_delay_alu instid0(VALU_DEP_1) | instskip(NEXT) | instid1(VALU_DEP_1)
	v_pk_fma_f32 v[28:29], v[4:5], v[28:29], v[34:35]
	v_pk_fma_f32 v[28:29], v[12:13], v[32:33], v[28:29]
	v_pk_mul_f32 v[32:33], v[36:37], v[124:125] op_sel_hi:[0,1]
	s_delay_alu instid0(VALU_DEP_1) | instskip(SKIP_1) | instid1(VALU_DEP_1)
	v_pk_fma_f32 v[28:29], v[16:17], v[32:33], v[28:29]
	v_pk_mul_f32 v[32:33], v[36:37], v[120:121] op_sel_hi:[0,1]
	v_pk_fma_f32 v[28:29], v[20:21], v[32:33], v[28:29]
	v_pk_mul_f32 v[32:33], v[36:37], v[108:109] op_sel_hi:[0,1]
	s_delay_alu instid0(VALU_DEP_1)
	v_pk_fma_f32 v[28:29], v[24:25], v[32:33], v[28:29]
	v_pk_mul_f32 v[32:33], v[36:37], v[104:105] op_sel_hi:[0,1]
	v_mov_b32_e32 v104, v36
	scratch_load_b128 v[36:39], off, s32 offset:1140 ; 16-byte Folded Reload
	v_pk_mul_f32 v[8:9], v[104:105], v[30:31] op_sel_hi:[0,1]
	s_wait_loadcnt 0x0
	v_pk_fma_f32 v[28:29], v[36:37], v[32:33], v[28:29]
	scratch_load_b128 v[34:37], off, s32 offset:1156 ; 16-byte Folded Reload
	v_pk_mul_f32 v[32:33], v[104:105], v[94:95] op_sel_hi:[0,1]
	s_wait_loadcnt 0x0
	s_delay_alu instid0(VALU_DEP_1) | instskip(SKIP_2) | instid1(VALU_DEP_2)
	v_pk_fma_f32 v[28:29], v[34:35], v[32:33], v[28:29]
	v_pk_mul_f32 v[32:33], v[104:105], v[68:69] op_sel_hi:[0,1]
	v_pk_mul_f32 v[34:35], v[104:105], v[52:53] op_sel_hi:[0,1]
	v_pk_mul_f32 v[32:33], v[10:11], v[32:33]
	v_pk_mul_f32 v[10:11], v[104:105], v[48:49] op_sel_hi:[0,1]
	s_delay_alu instid0(VALU_DEP_2)
	v_pk_fma_f32 v[32:33], v[2:3], v[34:35], v[32:33]
	scratch_load_b128 v[0:3], off, s32 offset:1172 ; 16-byte Folded Reload
	v_pk_fma_f32 v[10:11], v[6:7], v[10:11], v[32:33]
	s_clause 0x1
	scratch_load_b128 v[4:7], off, s32 offset:1188
	scratch_load_b128 v[30:33], off, s32 offset:1276
	v_pk_fma_f32 v[8:9], v[14:15], v[8:9], v[10:11]
	v_pk_mul_f32 v[10:11], v[104:105], v[126:127] op_sel_hi:[0,1]
	scratch_load_b128 v[12:15], off, s32 offset:1204 ; 16-byte Folded Reload
	v_pk_fma_f32 v[8:9], v[18:19], v[10:11], v[8:9]
	v_pk_mul_f32 v[10:11], v[104:105], v[122:123] op_sel_hi:[0,1]
	scratch_load_b128 v[16:19], off, s32 offset:1220 ; 16-byte Folded Reload
	;; [unrolled: 3-line block ×4, first 2 shown]
	v_pk_fma_f32 v[8:9], v[38:39], v[10:11], v[8:9]
	v_pk_mul_f32 v[10:11], v[104:105], v[92:93] op_sel_hi:[0,1]
	s_delay_alu instid0(VALU_DEP_1) | instskip(SKIP_3) | instid1(VALU_DEP_1)
	v_pk_fma_f32 v[8:9], v[36:37], v[10:11], v[8:9]
	scratch_load_b128 v[34:37], off, s32 offset:1292 ; 16-byte Folded Reload
	v_pk_mul_f32 v[10:11], v[104:105], v[90:91] op_sel_hi:[0,1]
	s_wait_loadcnt 0x7
	v_pk_fma_f32 v[10:11], v[0:1], v[10:11], v[28:29]
	v_pk_mul_f32 v[28:29], v[104:105], v[88:89] op_sel_hi:[0,1]
	scratch_load_b128 v[88:91], off, s32 offset:1324 ; 16-byte Folded Reload
	s_wait_loadcnt 0x7
	v_pk_fma_f32 v[10:11], v[4:5], v[28:29], v[10:11]
	v_pk_mul_f32 v[28:29], v[104:105], v[76:77] op_sel_hi:[0,1]
	s_wait_loadcnt 0x5
	s_delay_alu instid0(VALU_DEP_1) | instskip(SKIP_2) | instid1(VALU_DEP_1)
	v_pk_fma_f32 v[10:11], v[12:13], v[28:29], v[10:11]
	v_pk_mul_f32 v[28:29], v[104:105], v[72:73] op_sel_hi:[0,1]
	s_wait_loadcnt 0x4
	v_pk_fma_f32 v[10:11], v[16:17], v[28:29], v[10:11]
	v_pk_mul_f32 v[28:29], v[104:105], v[60:61] op_sel_hi:[0,1]
	s_wait_loadcnt 0x3
	s_delay_alu instid0(VALU_DEP_1) | instskip(SKIP_2) | instid1(VALU_DEP_1)
	v_pk_fma_f32 v[10:11], v[20:21], v[28:29], v[10:11]
	v_pk_mul_f32 v[28:29], v[104:105], v[56:57] op_sel_hi:[0,1]
	s_wait_loadcnt 0x2
	v_pk_fma_f32 v[10:11], v[24:25], v[28:29], v[10:11]
	v_pk_mul_f32 v[28:29], v[104:105], v[44:45] op_sel_hi:[0,1]
	s_delay_alu instid0(VALU_DEP_1) | instskip(SKIP_2) | instid1(VALU_DEP_1)
	v_pk_fma_f32 v[10:11], v[30:31], v[28:29], v[10:11]
	v_pk_mul_f32 v[28:29], v[104:105], v[118:119] op_sel_hi:[0,1]
	s_wait_loadcnt 0x1
	v_pk_fma_f32 v[10:11], v[34:35], v[28:29], v[10:11]
	v_pk_mul_f32 v[28:29], v[104:105], v[98:99] op_sel_hi:[0,1]
	scratch_load_b128 v[96:99], off, s32 offset:1308 ; 16-byte Folded Reload
	s_wait_loadcnt 0x0
	v_pk_fma_f32 v[10:11], v[96:97], v[28:29], v[10:11]
	v_pk_mul_f32 v[28:29], v[104:105], v[100:101] op_sel_hi:[0,1]
	s_delay_alu instid0(VALU_DEP_1)
	v_pk_fma_f32 v[10:11], v[88:89], v[28:29], v[10:11]
	v_pk_mul_f32 v[28:29], v[104:105], v[40:41] op_sel_hi:[0,1]
	scratch_load_b128 v[38:41], off, s32 offset:1340 ; 16-byte Folded Reload
	s_wait_loadcnt 0x0
	v_pk_fma_f32 v[10:11], v[38:39], v[28:29], v[10:11]
	v_pk_mul_f32 v[28:29], v[104:105], v[78:79] op_sel_hi:[0,1]
	s_delay_alu instid0(VALU_DEP_1) | instskip(SKIP_2) | instid1(VALU_DEP_1)
	v_pk_fma_f32 v[8:9], v[2:3], v[28:29], v[8:9]
	scratch_load_b128 v[0:3], off, s32 offset:1356 ; 16-byte Folded Reload
	v_pk_mul_f32 v[28:29], v[104:105], v[74:75] op_sel_hi:[0,1]
	v_pk_fma_f32 v[8:9], v[6:7], v[28:29], v[8:9]
	v_pk_mul_f32 v[28:29], v[104:105], v[62:63] op_sel_hi:[0,1]
	scratch_load_b128 v[4:7], off, s32 offset:1372 ; 16-byte Folded Reload
	v_pk_fma_f32 v[8:9], v[14:15], v[28:29], v[8:9]
	v_pk_mul_f32 v[28:29], v[104:105], v[58:59] op_sel_hi:[0,1]
	scratch_load_b128 v[12:15], off, s32 offset:1388 ; 16-byte Folded Reload
	;; [unrolled: 3-line block ×4, first 2 shown]
	v_pk_fma_f32 v[8:9], v[26:27], v[28:29], v[8:9]
	v_pk_mul_f32 v[28:29], v[104:105], v[112:113] op_sel_hi:[0,1]
	s_delay_alu instid0(VALU_DEP_1)
	v_pk_fma_f32 v[8:9], v[32:33], v[28:29], v[8:9]
	v_pk_mul_f32 v[28:29], v[104:105], v[82:83] op_sel_hi:[0,1]
	scratch_load_b128 v[30:33], off, s32 offset:1452 ; 16-byte Folded Reload
	v_pk_fma_f32 v[8:9], v[36:37], v[28:29], v[8:9]
	v_pk_mul_f32 v[28:29], v[104:105], v[114:115] op_sel_hi:[0,1]
	scratch_load_b128 v[34:37], off, s32 offset:1468 ; 16-byte Folded Reload
	;; [unrolled: 3-line block ×3, first 2 shown]
	v_pk_fma_f32 v[8:9], v[90:91], v[28:29], v[8:9]
	v_pk_mul_f32 v[28:29], v[104:105], v[102:103] op_sel_hi:[0,1]
	s_delay_alu instid0(VALU_DEP_1) | instskip(SKIP_2) | instid1(VALU_DEP_1)
	v_pk_fma_f32 v[8:9], v[40:41], v[28:29], v[8:9]
	v_pk_mul_f32 v[28:29], v[104:105], v[116:117] op_sel_hi:[0,1]
	s_wait_loadcnt 0x7
	v_pk_fma_f32 v[10:11], v[0:1], v[28:29], v[10:11]
	scratch_load_b64 v[0:1], off, s32 offset:984 th:TH_LOAD_LU ; 8-byte Folded Reload
	v_pk_mul_f32 v[28:29], v[104:105], v[84:85] op_sel_hi:[0,1]
	scratch_load_b128 v[82:85], off, s32 offset:1500 ; 16-byte Folded Reload
	s_wait_loadcnt 0x8
	v_pk_fma_f32 v[10:11], v[4:5], v[28:29], v[10:11]
	v_pk_mul_f32 v[28:29], v[104:105], v[66:67] op_sel_hi:[0,1]
	scratch_load_b128 v[66:69], off, s32 offset:1484 ; 16-byte Folded Reload
	s_wait_loadcnt 0x8
	v_pk_fma_f32 v[10:11], v[12:13], v[28:29], v[10:11]
	s_wait_loadcnt 0x2
	v_pk_mul_f32 v[28:29], v[104:105], v[0:1] op_sel_hi:[0,1]
	scratch_load_b64 v[0:1], off, s32 offset:976 th:TH_LOAD_LU ; 8-byte Folded Reload
	s_wait_loadcnt 0x0
	v_pk_mul_f32 v[26:27], v[104:105], v[0:1] op_sel_hi:[0,1]
	scratch_load_b64 v[0:1], off, s32 offset:960 th:TH_LOAD_LU ; 8-byte Folded Reload
	v_pk_fma_f32 v[10:11], v[18:19], v[28:29], v[10:11]
	s_delay_alu instid0(VALU_DEP_1)
	v_pk_fma_f32 v[10:11], v[22:23], v[26:27], v[10:11]
	scratch_load_b128 v[26:29], off, s32 offset:1436 ; 16-byte Folded Reload
	s_wait_loadcnt 0x1
	v_pk_mul_f32 v[22:23], v[104:105], v[0:1] op_sel_hi:[0,1]
	scratch_load_b64 v[0:1], off, s32 offset:944 th:TH_LOAD_LU ; 8-byte Folded Reload
	s_wait_loadcnt 0x0
	v_pk_mul_f32 v[18:19], v[104:105], v[0:1] op_sel_hi:[0,1]
	scratch_load_b64 v[0:1], off, s32 offset:928 th:TH_LOAD_LU ; 8-byte Folded Reload
	;; [unrolled: 3-line block ×3, first 2 shown]
	v_pk_fma_f32 v[10:11], v[26:27], v[22:23], v[10:11]
	s_delay_alu instid0(VALU_DEP_1) | instskip(NEXT) | instid1(VALU_DEP_1)
	v_pk_fma_f32 v[10:11], v[30:31], v[18:19], v[10:11]
	v_pk_fma_f32 v[10:11], v[34:35], v[16:17], v[10:11]
	s_wait_loadcnt 0x0
	v_pk_mul_f32 v[16:17], v[104:105], v[0:1] op_sel_hi:[0,1]
	scratch_load_b64 v[0:1], off, s32 offset:896 th:TH_LOAD_LU ; 8-byte Folded Reload
	v_pk_fma_f32 v[10:11], v[66:67], v[16:17], v[10:11]
	s_wait_loadcnt 0x0
	v_pk_mul_f32 v[16:17], v[104:105], v[0:1] op_sel_hi:[0,1]
	scratch_load_b64 v[0:1], off, s32 offset:880 th:TH_LOAD_LU ; 8-byte Folded Reload
	;; [unrolled: 4-line block ×3, first 2 shown]
	v_pk_fma_f32 v[10:11], v[96:97], v[16:17], v[10:11]
	v_pk_mul_f32 v[16:17], v[104:105], v[70:71] op_sel_hi:[0,1]
	s_delay_alu instid0(VALU_DEP_1) | instskip(SKIP_1) | instid1(VALU_DEP_1)
	v_pk_fma_f32 v[8:9], v[2:3], v[16:17], v[8:9]
	v_pk_mul_f32 v[16:17], v[104:105], v[54:55] op_sel_hi:[0,1]
	v_pk_fma_f32 v[8:9], v[6:7], v[16:17], v[8:9]
	v_pk_mul_f32 v[16:17], v[104:105], v[80:81] op_sel_hi:[0,1]
	v_pk_mul_f32 v[6:7], v[104:105], v[50:51] op_sel_hi:[0,1]
	s_delay_alu instid0(VALU_DEP_2)
	v_pk_fma_f32 v[8:9], v[14:15], v[16:17], v[8:9]
	scratch_load_b128 v[12:15], off, s32 offset:1532 ; 16-byte Folded Reload
	s_wait_loadcnt 0x1
	v_pk_mul_f32 v[16:17], v[104:105], v[0:1] op_sel_hi:[0,1]
	scratch_load_b64 v[0:1], off, s32 offset:952 th:TH_LOAD_LU ; 8-byte Folded Reload
	v_pk_fma_f32 v[8:9], v[20:21], v[16:17], v[8:9]
	s_wait_loadcnt 0x0
	v_pk_mul_f32 v[16:17], v[104:105], v[0:1] op_sel_hi:[0,1]
	scratch_load_b64 v[0:1], off, s32 offset:936 th:TH_LOAD_LU ; 8-byte Folded Reload
	v_pk_fma_f32 v[8:9], v[24:25], v[16:17], v[8:9]
	;; [unrolled: 4-line block ×3, first 2 shown]
	v_pk_mul_f32 v[8:9], v[104:105], v[64:65] op_sel_hi:[0,1]
	s_wait_loadcnt 0x0
	v_pk_mul_f32 v[2:3], v[104:105], v[0:1] op_sel_hi:[0,1]
	scratch_load_b64 v[0:1], off, s32 offset:904 th:TH_LOAD_LU ; 8-byte Folded Reload
	v_pk_fma_f32 v[2:3], v[32:33], v[2:3], v[4:5]
	s_wait_loadcnt 0x0
	v_pk_mul_f32 v[4:5], v[104:105], v[0:1] op_sel_hi:[0,1]
	scratch_load_b64 v[0:1], off, s32 offset:888 th:TH_LOAD_LU ; 8-byte Folded Reload
	v_pk_fma_f32 v[2:3], v[36:37], v[4:5], v[2:3]
	;; [unrolled: 4-line block ×4, first 2 shown]
	s_wait_loadcnt 0x0
	v_pk_mul_f32 v[4:5], v[104:105], v[0:1] op_sel_hi:[0,1]
	s_delay_alu instid0(VALU_DEP_1)
	v_pk_fma_f32 v[2:3], v[98:99], v[4:5], v[2:3]
	v_pk_fma_f32 v[4:5], v[12:13], v[8:9], v[10:11]
	s_clause 0x1
	scratch_load_b64 v[10:11], off, s32 offset:844
	scratch_load_b32 v1, off, s32 offset:1120
	s_load_b32 s14, s[6:7], 0x0
	s_clause 0x1
	scratch_load_b32 v34, off, s32 offset:852
	scratch_load_b32 v28, off, s32 offset:840 th:TH_LOAD_LU
	v_pk_fma_f32 v[2:3], v[14:15], v[6:7], v[2:3]
	v_add_f32_e32 v0, v4, v5
	scratch_load_b64 v[4:5], off, s32 offset:200 ; 8-byte Folded Reload
	v_add_f32_e32 v0, v2, v0
	s_delay_alu instid0(VALU_DEP_1) | instskip(SKIP_3) | instid1(VALU_DEP_1)
	v_add_f32_e32 v0, v3, v0
	scratch_load_b32 v3, off, s32 offset:1000 ; 4-byte Folded Reload
	s_wait_loadcnt 0x4
	v_add_nc_u32_e32 v2, v1, v10
	v_cvt_f32_i32_e32 v2, v2
	s_wait_loadcnt 0x0
	s_delay_alu instid0(VALU_DEP_1) | instskip(SKIP_3) | instid1(VALU_DEP_1)
	v_mul_f32_e32 v2, v3, v2
	scratch_load_b32 v3, off, s32 offset:1020 ; 4-byte Folded Reload
	v_cndmask_b32_e32 v2, 0, v2, vcc_lo
	s_wait_loadcnt 0x0
	v_fmac_f32_e32 v2, v3, v0
	scratch_load_b32 v0, off, s32 offset:992 ; 4-byte Folded Reload
	s_wait_loadcnt 0x0
	v_add_nc_u32_e32 v0, v0, v10
	s_delay_alu instid0(VALU_DEP_1) | instskip(SKIP_2) | instid1(VALU_DEP_2)
	v_cmp_lt_i32_e64 s1, v0, v4
	s_wait_kmcnt 0x0
	v_add_nc_u32_e32 v0, s14, v34
	v_cndmask_b32_e64 v3, 0, v2, s1
	ds_store_b32 v0, v3
	v_max_num_f32_e32 v0, v28, v28
	s_delay_alu instid0(VALU_DEP_1) | instskip(NEXT) | instid1(VALU_DEP_1)
	v_max_num_f32_e32 v0, v0, v2
	v_cndmask_b32_e64 v28, v28, v0, s1
.LBB212_14:                             ;   in Loop: Header=BB212_15 Depth=1
	s_wait_xcnt 0x0
	s_or_b32 exec_lo, exec_lo, s2
	s_clause 0x1
	scratch_load_b32 v8, off, s32 offset:252
	scratch_load_b32 v0, off, s32 offset:208
	v_add_nc_u32_e32 v10, 0x80, v10
	v_add_nc_u32_e32 v34, 0x200, v34
	s_wait_loadcnt 0x1
	v_add_nc_u32_e32 v8, 4, v8
	s_wait_loadcnt 0x0
	s_delay_alu instid0(VALU_DEP_1)
	v_cmp_ge_i32_e64 s1, v8, v0
	scratch_load_b64 v[0:1], off, s32 offset:220 ; 8-byte Folded Reload
	s_or_b32 s9, s1, s9
	s_wait_loadcnt 0x0
	v_add_nc_u64_e32 v[0:1], 16, v[0:1]
	scratch_store_b64 off, v[0:1], s32 offset:220 ; 8-byte Folded Spill
	s_wait_xcnt 0x0
	s_and_not1_b32 exec_lo, exec_lo, s9
	s_cbranch_execz .LBB212_1039
.LBB212_15:                             ; =>This Inner Loop Header: Depth=1
	s_clause 0x4
	scratch_load_b64 v[0:1], off, s32 offset:192 th:TH_LOAD_LU
	scratch_load_b64 v[2:3], off, s32 offset:232
	scratch_load_b32 v6, off, s32 offset:828
	scratch_load_b32 v5, off, s32 offset:228
	scratch_store_b32 off, v8, s32 offset:252
	s_wait_loadcnt 0x3
	v_dual_mov_b32 v9, v1 :: v_dual_mov_b32 v11, v1
	s_wait_loadcnt 0x2
	s_delay_alu instid0(VALU_DEP_1) | instskip(SKIP_1) | instid1(VALU_DEP_1)
	v_mul_u64_e32 v[2:3], v[10:11], v[2:3]
	s_wait_loadcnt 0x0
	v_mul_lo_u32 v0, v3, v5
	s_delay_alu instid0(VALU_DEP_1) | instskip(NEXT) | instid1(VALU_DEP_1)
	v_dual_add_nc_u32 v2, 1, v3 :: v_dual_sub_nc_u32 v0, v10, v0
	v_cmp_ge_u32_e64 s1, v0, v5
	s_delay_alu instid0(VALU_DEP_1) | instskip(NEXT) | instid1(VALU_DEP_1)
	v_dual_sub_nc_u32 v4, v0, v5 :: v_dual_cndmask_b32 v2, v3, v2, s1
	v_dual_cndmask_b32 v0, v0, v4, s1 :: v_dual_add_nc_u32 v3, 1, v2
	s_delay_alu instid0(VALU_DEP_1) | instskip(NEXT) | instid1(VALU_DEP_1)
	v_cmp_ge_u32_e64 s1, v0, v5
	v_cndmask_b32_e64 v0, v2, v3, s1
	scratch_load_b32 v2, off, s32 offset:240 ; 4-byte Folded Reload
	s_wait_loadcnt 0x0
	v_xor_b32_e32 v0, v0, v2
	s_delay_alu instid0(VALU_DEP_1) | instskip(SKIP_3) | instid1(VALU_DEP_1)
	v_sub_nc_u32_e32 v4, v0, v2
	scratch_load_b32 v0, off, s32 offset:244 ; 4-byte Folded Reload
	s_wait_loadcnt 0x0
	v_add_nc_u32_e32 v5, v4, v0
	v_sub_nc_u32_e32 v0, 0, v5
	s_wait_xcnt 0x2
	s_delay_alu instid0(VALU_DEP_1)
	v_max_i32_e32 v8, v5, v0
	scratch_load_b64 v[0:1], off, s32 offset:832 ; 8-byte Folded Reload
	s_wait_loadcnt 0x0
	v_mul_u64_e32 v[2:3], v[8:9], v[0:1]
	v_mov_b32_e32 v1, v9
	scratch_store_b64 off, v[0:1], s32 offset:192 ; 8-byte Folded Spill
	v_mul_lo_u32 v2, v3, v6
	s_wait_xcnt 0x0
	s_delay_alu instid0(VALU_DEP_1) | instskip(NEXT) | instid1(VALU_DEP_1)
	v_dual_ashrrev_i32 v3, 31, v5 :: v_dual_sub_nc_u32 v0, v8, v2
	v_sub_nc_u32_e32 v2, v0, v6
	v_cmp_ge_u32_e64 s1, v0, v6
	s_delay_alu instid0(VALU_DEP_1) | instskip(NEXT) | instid1(VALU_DEP_1)
	v_cndmask_b32_e64 v0, v0, v2, s1
	v_sub_nc_u32_e32 v2, v0, v6
	v_cmp_ge_u32_e64 s1, v0, v6
	s_delay_alu instid0(VALU_DEP_1) | instskip(NEXT) | instid1(VALU_DEP_1)
	v_cndmask_b32_e64 v0, v0, v2, s1
	v_xor_b32_e32 v0, v0, v3
	s_delay_alu instid0(VALU_DEP_1) | instskip(NEXT) | instid1(VALU_DEP_1)
	v_sub_nc_u32_e32 v0, v0, v3
	v_cmp_ne_u32_e64 s1, 0, v0
	scratch_load_b32 v0, off, s32 offset:248 ; 4-byte Folded Reload
	s_wait_loadcnt 0x0
	v_cmp_le_i32_e64 s2, v4, v0
	s_and_b32 s1, s1, s2
	s_wait_xcnt 0x0
	s_and_saveexec_b32 s2, s1
	s_delay_alu instid0(SALU_CYCLE_1)
	s_xor_b32 s1, exec_lo, s2
	s_cbranch_execz .LBB212_17
; %bb.16:                               ;   in Loop: Header=BB212_15 Depth=1
	s_wait_kmcnt 0x0
	v_add_nc_u32_e32 v0, s8, v34
	v_mov_b32_e32 v2, 0xff7fffff
	ds_store_b32 v0, v2
.LBB212_17:                             ;   in Loop: Header=BB212_15 Depth=1
	s_and_not1_saveexec_b32 s2, s1
	s_cbranch_execz .LBB212_14
; %bb.18:                               ;   in Loop: Header=BB212_15 Depth=1
	scratch_load_b64 v[0:1], off, s32 offset:220 ; 8-byte Folded Reload
	v_mov_b64_e32 v[96:97], 0
	s_mov_b32 s14, exec_lo
	s_wait_loadcnt 0x0
	flat_load_b32 v0, v[0:1]
	s_clause 0x1
	scratch_load_b64 v[2:3], off, s32 offset:820
	scratch_load_b64 v[4:5], off, s32 offset:1252
	s_wait_loadcnt_dscnt 0x0
	v_mad_nc_i64_i32 v[68:69], v0, v2, v[4:5]
	flat_load_b32 v2, v[68:69]
	scratch_load_b64 v[4:5], off, s32 offset:1012 ; 8-byte Folded Reload
	s_wait_loadcnt 0x0
	flat_load_b32 v0, v[4:5]
	s_wait_xcnt 0x0
	v_mov_b64_e32 v[4:5], 0
	scratch_store_b64 off, v[4:5], s32 offset:260 ; 8-byte Folded Spill
	s_wait_loadcnt_dscnt 0x0
	scratch_store_b64 off, v[0:1], s32 offset:856 ; 8-byte Folded Spill
	s_wait_xcnt 0x0
	v_and_b32_e32 v0, 0xff, v2
	s_delay_alu instid0(VALU_DEP_1)
	v_cmpx_ne_u16_e32 0, v0
	s_cbranch_execz .LBB212_26
; %bb.19:                               ;   in Loop: Header=BB212_15 Depth=1
	v_mov_b64_e32 v[96:97], 0x80000000
	s_mov_b32 s15, exec_lo
	v_cmpx_ne_u16_e32 0x80, v0
	s_cbranch_execz .LBB212_25
; %bb.20:                               ;   in Loop: Header=BB212_15 Depth=1
	v_mov_b64_e32 v[96:97], 0x7f800001
	v_and_b32_e32 v4, 0x7f, v2
	s_mov_b32 s16, exec_lo
	s_delay_alu instid0(VALU_DEP_1)
	v_cmpx_ne_u32_e32 0x7f, v4
	s_cbranch_execz .LBB212_24
; %bb.21:                               ;   in Loop: Header=BB212_15 Depth=1
	scratch_load_b64 v[0:1], off, s32 offset:192 th:TH_LOAD_LU ; 8-byte Folded Reload
	s_wait_loadcnt 0x0
	v_dual_lshrrev_b32 v3, 3, v4 :: v_dual_bitop2_b32 v0, 7, v2 bitop3:0x40
	s_mov_b32 s17, exec_lo
	s_wait_xcnt 0x0
	v_cmpx_gt_u32_e32 8, v4
; %bb.22:                               ;   in Loop: Header=BB212_15 Depth=1
	s_delay_alu instid0(VALU_DEP_2) | instskip(NEXT) | instid1(VALU_DEP_1)
	v_clz_i32_u32_e32 v3, v0
	v_min_u32_e32 v3, 32, v3
	s_delay_alu instid0(VALU_DEP_1) | instskip(NEXT) | instid1(VALU_DEP_1)
	v_subrev_nc_u32_e32 v4, 28, v3
	v_lshlrev_b64_e32 v[4:5], v4, v[0:1]
	s_delay_alu instid0(VALU_DEP_1)
	v_dual_sub_nc_u32 v3, 29, v3 :: v_dual_bitop2_b32 v0, 7, v4 bitop3:0x40
; %bb.23:                               ;   in Loop: Header=BB212_15 Depth=1
	s_or_b32 exec_lo, exec_lo, s17
	s_delay_alu instid0(VALU_DEP_1) | instskip(NEXT) | instid1(VALU_DEP_2)
	v_dual_lshlrev_b32 v4, 24, v2 :: v_dual_lshlrev_b32 v0, 20, v0
	v_lshl_add_u32 v3, v3, 23, 0x3c000000
	s_delay_alu instid0(VALU_DEP_2) | instskip(NEXT) | instid1(VALU_DEP_1)
	v_and_b32_e32 v4, 0x80000000, v4
	v_or3_b32 v0, v0, v4, v3
	v_mov_b32_e32 v3, v1
	s_delay_alu instid0(VALU_DEP_2)
	v_mov_b64_e32 v[96:97], v[0:1]
	scratch_store_b64 off, v[2:3], s32 offset:192 ; 8-byte Folded Spill
.LBB212_24:                             ;   in Loop: Header=BB212_15 Depth=1
	s_wait_xcnt 0x0
	s_or_b32 exec_lo, exec_lo, s16
.LBB212_25:                             ;   in Loop: Header=BB212_15 Depth=1
	s_delay_alu instid0(SALU_CYCLE_1)
	s_or_b32 exec_lo, exec_lo, s15
.LBB212_26:                             ;   in Loop: Header=BB212_15 Depth=1
	s_delay_alu instid0(SALU_CYCLE_1) | instskip(SKIP_2) | instid1(VALU_DEP_1)
	s_or_b32 exec_lo, exec_lo, s14
	v_lshrrev_b16 v0, 8, v2
	s_mov_b32 s14, exec_lo
	v_cmpx_ne_u16_e32 0, v0
	s_cbranch_execz .LBB212_34
; %bb.27:                               ;   in Loop: Header=BB212_15 Depth=1
	v_mov_b64_e32 v[4:5], 0x8000000000000000
	s_mov_b32 s15, exec_lo
	scratch_store_b64 off, v[4:5], s32 offset:260 ; 8-byte Folded Spill
	s_wait_xcnt 0x0
	v_cmpx_ne_u16_e32 0x80, v0
	s_cbranch_execz .LBB212_33
; %bb.28:                               ;   in Loop: Header=BB212_15 Depth=1
	v_and_b32_e32 v0, 0xffff, v0
	v_mov_b64_e32 v[6:7], 0x7f80000100000000
	s_mov_b32 s16, exec_lo
	s_delay_alu instid0(VALU_DEP_2)
	v_and_b32_e32 v4, 0x7f, v0
	scratch_store_b64 off, v[6:7], s32 offset:260 ; 8-byte Folded Spill
	s_wait_xcnt 0x0
	v_cmpx_ne_u32_e32 0x7f, v4
	s_cbranch_execz .LBB212_32
; %bb.29:                               ;   in Loop: Header=BB212_15 Depth=1
	scratch_load_b64 v[6:7], off, s32 offset:192 th:TH_LOAD_LU ; 8-byte Folded Reload
	v_lshrrev_b32_e32 v3, 3, v4
	s_mov_b32 s17, exec_lo
	s_wait_loadcnt 0x0
	v_dual_mov_b32 v1, v7 :: v_dual_bitop2_b32 v0, 7, v0 bitop3:0x40
	s_wait_xcnt 0x0
	v_cmpx_gt_u32_e32 8, v4
; %bb.30:                               ;   in Loop: Header=BB212_15 Depth=1
	s_delay_alu instid0(VALU_DEP_2) | instskip(NEXT) | instid1(VALU_DEP_1)
	v_clz_i32_u32_e32 v3, v0
	v_min_u32_e32 v3, 32, v3
	s_delay_alu instid0(VALU_DEP_1) | instskip(NEXT) | instid1(VALU_DEP_1)
	v_subrev_nc_u32_e32 v4, 28, v3
	v_lshlrev_b64_e32 v[4:5], v4, v[0:1]
	s_delay_alu instid0(VALU_DEP_1)
	v_dual_sub_nc_u32 v3, 29, v3 :: v_dual_bitop2_b32 v0, 7, v4 bitop3:0x40
; %bb.31:                               ;   in Loop: Header=BB212_15 Depth=1
	s_or_b32 exec_lo, exec_lo, s17
	s_delay_alu instid0(VALU_DEP_1) | instskip(NEXT) | instid1(VALU_DEP_2)
	v_dual_lshlrev_b32 v4, 16, v2 :: v_dual_lshlrev_b32 v0, 20, v0
	v_lshl_add_u32 v3, v3, 23, 0x3c000000
	s_delay_alu instid0(VALU_DEP_2) | instskip(NEXT) | instid1(VALU_DEP_1)
	v_and_b32_e32 v4, 0x80000000, v4
	v_or3_b32 v5, v0, v4, v3
	v_dual_mov_b32 v3, v1 :: v_dual_mov_b32 v4, v1
	s_clause 0x1
	scratch_store_b64 off, v[2:3], s32 offset:192
	scratch_store_b64 off, v[4:5], s32 offset:260
.LBB212_32:                             ;   in Loop: Header=BB212_15 Depth=1
	s_wait_xcnt 0x0
	s_or_b32 exec_lo, exec_lo, s16
.LBB212_33:                             ;   in Loop: Header=BB212_15 Depth=1
	s_delay_alu instid0(SALU_CYCLE_1)
	s_or_b32 exec_lo, exec_lo, s15
.LBB212_34:                             ;   in Loop: Header=BB212_15 Depth=1
	s_delay_alu instid0(SALU_CYCLE_1) | instskip(SKIP_4) | instid1(VALU_DEP_3)
	s_or_b32 exec_lo, exec_lo, s14
	v_lshrrev_b32_e32 v3, 16, v2
	v_mov_b64_e32 v[114:115], 0
	v_mov_b64_e32 v[4:5], 0
	s_mov_b32 s14, exec_lo
	v_and_b32_e32 v0, 0xff, v3
	scratch_store_b64 off, v[4:5], s32 offset:540 ; 8-byte Folded Spill
	s_wait_xcnt 0x0
	v_cmpx_ne_u16_e32 0, v0
	s_cbranch_execz .LBB212_42
; %bb.35:                               ;   in Loop: Header=BB212_15 Depth=1
	v_cmp_ne_u16_e64 s1, 0x80, v0
	v_mov_b64_e32 v[0:1], 0x80000000
	s_and_saveexec_b32 s15, s1
	s_cbranch_execz .LBB212_41
; %bb.36:                               ;   in Loop: Header=BB212_15 Depth=1
	v_mov_b64_e32 v[0:1], 0x7f800001
	v_bfe_u32 v5, v2, 16, 7
	s_mov_b32 s16, exec_lo
	s_delay_alu instid0(VALU_DEP_1)
	v_cmpx_ne_u32_e32 0x7f, v5
	s_cbranch_execz .LBB212_40
; %bb.37:                               ;   in Loop: Header=BB212_15 Depth=1
	scratch_load_b64 v[0:1], off, s32 offset:192 th:TH_LOAD_LU ; 8-byte Folded Reload
	s_wait_loadcnt 0x0
	v_dual_lshrrev_b32 v4, 3, v5 :: v_dual_bitop2_b32 v0, 7, v3 bitop3:0x40
	s_mov_b32 s17, exec_lo
	s_wait_xcnt 0x0
	v_cmpx_gt_u32_e32 8, v5
; %bb.38:                               ;   in Loop: Header=BB212_15 Depth=1
	s_delay_alu instid0(VALU_DEP_2) | instskip(NEXT) | instid1(VALU_DEP_1)
	v_clz_i32_u32_e32 v4, v0
	v_min_u32_e32 v4, 32, v4
	s_delay_alu instid0(VALU_DEP_1) | instskip(NEXT) | instid1(VALU_DEP_1)
	v_subrev_nc_u32_e32 v5, 28, v4
	v_lshlrev_b64_e32 v[6:7], v5, v[0:1]
	s_delay_alu instid0(VALU_DEP_1)
	v_dual_sub_nc_u32 v4, 29, v4 :: v_dual_bitop2_b32 v0, 7, v6 bitop3:0x40
; %bb.39:                               ;   in Loop: Header=BB212_15 Depth=1
	s_or_b32 exec_lo, exec_lo, s17
	s_delay_alu instid0(VALU_DEP_1) | instskip(NEXT) | instid1(VALU_DEP_2)
	v_dual_lshlrev_b32 v3, 24, v3 :: v_dual_lshlrev_b32 v0, 20, v0
	v_lshl_add_u32 v4, v4, 23, 0x3c000000
	s_delay_alu instid0(VALU_DEP_2) | instskip(NEXT) | instid1(VALU_DEP_1)
	v_and_b32_e32 v3, 0x80000000, v3
	v_or3_b32 v0, v0, v3, v4
	v_mov_b32_e32 v3, v1
	scratch_store_b64 off, v[2:3], s32 offset:192 ; 8-byte Folded Spill
.LBB212_40:                             ;   in Loop: Header=BB212_15 Depth=1
	s_wait_xcnt 0x0
	s_or_b32 exec_lo, exec_lo, s16
.LBB212_41:                             ;   in Loop: Header=BB212_15 Depth=1
	s_delay_alu instid0(SALU_CYCLE_1)
	s_or_b32 exec_lo, exec_lo, s15
	scratch_store_b64 off, v[0:1], s32 offset:540 ; 8-byte Folded Spill
.LBB212_42:                             ;   in Loop: Header=BB212_15 Depth=1
	s_wait_xcnt 0x0
	s_or_b32 exec_lo, exec_lo, s14
	s_delay_alu instid0(SALU_CYCLE_1)
	s_mov_b32 s14, exec_lo
	v_cmpx_lt_u32_e32 0xffffff, v2
	s_cbranch_execz .LBB212_50
; %bb.43:                               ;   in Loop: Header=BB212_15 Depth=1
	v_mov_b64_e32 v[114:115], 0x8000000000000000
	v_lshrrev_b32_e32 v3, 24, v2
	s_mov_b32 s15, exec_lo
	s_delay_alu instid0(VALU_DEP_1)
	v_cmpx_ne_u32_e32 0x80, v3
	s_cbranch_execz .LBB212_49
; %bb.44:                               ;   in Loop: Header=BB212_15 Depth=1
	v_mov_b64_e32 v[114:115], 0x7f80000100000000
	v_bfe_u32 v4, v2, 24, 7
	s_mov_b32 s16, exec_lo
	s_delay_alu instid0(VALU_DEP_1)
	v_cmpx_ne_u32_e32 0x7f, v4
	s_cbranch_execz .LBB212_48
; %bb.45:                               ;   in Loop: Header=BB212_15 Depth=1
	scratch_load_b64 v[0:1], off, s32 offset:192 th:TH_LOAD_LU ; 8-byte Folded Reload
	s_wait_loadcnt 0x0
	v_dual_lshrrev_b32 v2, 3, v4 :: v_dual_bitop2_b32 v0, 7, v3 bitop3:0x40
	s_mov_b32 s17, exec_lo
	s_wait_xcnt 0x0
	v_cmpx_gt_u32_e32 8, v4
; %bb.46:                               ;   in Loop: Header=BB212_15 Depth=1
	s_delay_alu instid0(VALU_DEP_2) | instskip(NEXT) | instid1(VALU_DEP_1)
	v_clz_i32_u32_e32 v2, v0
	v_min_u32_e32 v2, 32, v2
	s_delay_alu instid0(VALU_DEP_1) | instskip(NEXT) | instid1(VALU_DEP_1)
	v_subrev_nc_u32_e32 v4, 28, v2
	v_lshlrev_b64_e32 v[4:5], v4, v[0:1]
	s_delay_alu instid0(VALU_DEP_1)
	v_dual_sub_nc_u32 v2, 29, v2 :: v_dual_bitop2_b32 v0, 7, v4 bitop3:0x40
; %bb.47:                               ;   in Loop: Header=BB212_15 Depth=1
	s_or_b32 exec_lo, exec_lo, s17
	s_delay_alu instid0(VALU_DEP_1) | instskip(NEXT) | instid1(VALU_DEP_2)
	v_dual_lshlrev_b32 v3, 24, v3 :: v_dual_lshlrev_b32 v0, 20, v0
	v_lshl_add_u32 v2, v2, 23, 0x3c000000
	v_mov_b32_e32 v114, v1
	s_delay_alu instid0(VALU_DEP_3) | instskip(NEXT) | instid1(VALU_DEP_1)
	v_and_b32_e32 v3, 0x80000000, v3
	v_or3_b32 v115, v0, v3, v2
	v_mov_b32_e32 v3, v1
	scratch_store_b64 off, v[2:3], s32 offset:192 ; 8-byte Folded Spill
.LBB212_48:                             ;   in Loop: Header=BB212_15 Depth=1
	s_wait_xcnt 0x0
	s_or_b32 exec_lo, exec_lo, s16
.LBB212_49:                             ;   in Loop: Header=BB212_15 Depth=1
	s_delay_alu instid0(SALU_CYCLE_1)
	s_or_b32 exec_lo, exec_lo, s15
.LBB212_50:                             ;   in Loop: Header=BB212_15 Depth=1
	s_delay_alu instid0(SALU_CYCLE_1)
	s_or_b32 exec_lo, exec_lo, s14
	flat_load_b32 v2, v[68:69] offset:4
	v_mov_b64_e32 v[4:5], 0
	s_mov_b32 s14, exec_lo
	scratch_store_b64 off, v[4:5], s32 offset:268 ; 8-byte Folded Spill
	s_wait_xcnt 0x0
	v_mov_b64_e32 v[4:5], 0
	scratch_store_b64 off, v[4:5], s32 offset:548 ; 8-byte Folded Spill
	s_wait_loadcnt_dscnt 0x0
	v_and_b32_e32 v0, 0xff, v2
	s_wait_xcnt 0x0
	s_delay_alu instid0(VALU_DEP_1)
	v_cmpx_ne_u16_e32 0, v0
	s_cbranch_execz .LBB212_58
; %bb.51:                               ;   in Loop: Header=BB212_15 Depth=1
	v_cmp_ne_u16_e64 s1, 0x80, v0
	v_mov_b64_e32 v[0:1], 0x80000000
	s_and_saveexec_b32 s15, s1
	s_cbranch_execz .LBB212_57
; %bb.52:                               ;   in Loop: Header=BB212_15 Depth=1
	v_mov_b64_e32 v[0:1], 0x7f800001
	v_and_b32_e32 v4, 0x7f, v2
	s_mov_b32 s16, exec_lo
	s_delay_alu instid0(VALU_DEP_1)
	v_cmpx_ne_u32_e32 0x7f, v4
	s_cbranch_execz .LBB212_56
; %bb.53:                               ;   in Loop: Header=BB212_15 Depth=1
	scratch_load_b64 v[0:1], off, s32 offset:192 th:TH_LOAD_LU ; 8-byte Folded Reload
	s_wait_loadcnt 0x0
	v_dual_lshrrev_b32 v3, 3, v4 :: v_dual_bitop2_b32 v0, 7, v2 bitop3:0x40
	s_mov_b32 s17, exec_lo
	s_wait_xcnt 0x0
	v_cmpx_gt_u32_e32 8, v4
; %bb.54:                               ;   in Loop: Header=BB212_15 Depth=1
	s_delay_alu instid0(VALU_DEP_2) | instskip(NEXT) | instid1(VALU_DEP_1)
	v_clz_i32_u32_e32 v3, v0
	v_min_u32_e32 v3, 32, v3
	s_delay_alu instid0(VALU_DEP_1) | instskip(NEXT) | instid1(VALU_DEP_1)
	v_subrev_nc_u32_e32 v4, 28, v3
	v_lshlrev_b64_e32 v[4:5], v4, v[0:1]
	s_delay_alu instid0(VALU_DEP_1)
	v_dual_sub_nc_u32 v3, 29, v3 :: v_dual_bitop2_b32 v0, 7, v4 bitop3:0x40
; %bb.55:                               ;   in Loop: Header=BB212_15 Depth=1
	s_or_b32 exec_lo, exec_lo, s17
	s_delay_alu instid0(VALU_DEP_1) | instskip(NEXT) | instid1(VALU_DEP_2)
	v_dual_lshlrev_b32 v4, 24, v2 :: v_dual_lshlrev_b32 v0, 20, v0
	v_lshl_add_u32 v3, v3, 23, 0x3c000000
	s_delay_alu instid0(VALU_DEP_2) | instskip(NEXT) | instid1(VALU_DEP_1)
	v_and_b32_e32 v4, 0x80000000, v4
	v_or3_b32 v0, v0, v4, v3
	v_mov_b32_e32 v3, v1
	scratch_store_b64 off, v[2:3], s32 offset:192 ; 8-byte Folded Spill
.LBB212_56:                             ;   in Loop: Header=BB212_15 Depth=1
	s_wait_xcnt 0x0
	s_or_b32 exec_lo, exec_lo, s16
.LBB212_57:                             ;   in Loop: Header=BB212_15 Depth=1
	s_delay_alu instid0(SALU_CYCLE_1)
	s_or_b32 exec_lo, exec_lo, s15
	scratch_store_b64 off, v[0:1], s32 offset:548 ; 8-byte Folded Spill
.LBB212_58:                             ;   in Loop: Header=BB212_15 Depth=1
	s_wait_xcnt 0x0
	s_or_b32 exec_lo, exec_lo, s14
	v_lshrrev_b16 v0, 8, v2
	s_mov_b32 s14, exec_lo
	s_delay_alu instid0(VALU_DEP_1)
	v_cmpx_ne_u16_e32 0, v0
	s_cbranch_execz .LBB212_66
; %bb.59:                               ;   in Loop: Header=BB212_15 Depth=1
	v_mov_b64_e32 v[4:5], 0x8000000000000000
	s_mov_b32 s15, exec_lo
	scratch_store_b64 off, v[4:5], s32 offset:268 ; 8-byte Folded Spill
	s_wait_xcnt 0x0
	v_cmpx_ne_u16_e32 0x80, v0
	s_cbranch_execz .LBB212_65
; %bb.60:                               ;   in Loop: Header=BB212_15 Depth=1
	v_and_b32_e32 v0, 0xffff, v0
	v_mov_b64_e32 v[6:7], 0x7f80000100000000
	s_mov_b32 s16, exec_lo
	s_delay_alu instid0(VALU_DEP_2)
	v_and_b32_e32 v4, 0x7f, v0
	scratch_store_b64 off, v[6:7], s32 offset:268 ; 8-byte Folded Spill
	s_wait_xcnt 0x0
	v_cmpx_ne_u32_e32 0x7f, v4
	s_cbranch_execz .LBB212_64
; %bb.61:                               ;   in Loop: Header=BB212_15 Depth=1
	scratch_load_b64 v[6:7], off, s32 offset:192 th:TH_LOAD_LU ; 8-byte Folded Reload
	v_lshrrev_b32_e32 v3, 3, v4
	s_mov_b32 s17, exec_lo
	s_wait_loadcnt 0x0
	v_dual_mov_b32 v1, v7 :: v_dual_bitop2_b32 v0, 7, v0 bitop3:0x40
	s_wait_xcnt 0x0
	v_cmpx_gt_u32_e32 8, v4
; %bb.62:                               ;   in Loop: Header=BB212_15 Depth=1
	s_delay_alu instid0(VALU_DEP_2) | instskip(NEXT) | instid1(VALU_DEP_1)
	v_clz_i32_u32_e32 v3, v0
	v_min_u32_e32 v3, 32, v3
	s_delay_alu instid0(VALU_DEP_1) | instskip(NEXT) | instid1(VALU_DEP_1)
	v_subrev_nc_u32_e32 v4, 28, v3
	v_lshlrev_b64_e32 v[4:5], v4, v[0:1]
	s_delay_alu instid0(VALU_DEP_1)
	v_dual_sub_nc_u32 v3, 29, v3 :: v_dual_bitop2_b32 v0, 7, v4 bitop3:0x40
; %bb.63:                               ;   in Loop: Header=BB212_15 Depth=1
	s_or_b32 exec_lo, exec_lo, s17
	s_delay_alu instid0(VALU_DEP_1) | instskip(NEXT) | instid1(VALU_DEP_2)
	v_dual_lshlrev_b32 v4, 16, v2 :: v_dual_lshlrev_b32 v0, 20, v0
	v_lshl_add_u32 v3, v3, 23, 0x3c000000
	s_delay_alu instid0(VALU_DEP_2) | instskip(NEXT) | instid1(VALU_DEP_1)
	v_and_b32_e32 v4, 0x80000000, v4
	v_or3_b32 v5, v0, v4, v3
	v_dual_mov_b32 v3, v1 :: v_dual_mov_b32 v4, v1
	s_clause 0x1
	scratch_store_b64 off, v[2:3], s32 offset:192
	scratch_store_b64 off, v[4:5], s32 offset:268
.LBB212_64:                             ;   in Loop: Header=BB212_15 Depth=1
	s_wait_xcnt 0x0
	s_or_b32 exec_lo, exec_lo, s16
.LBB212_65:                             ;   in Loop: Header=BB212_15 Depth=1
	s_delay_alu instid0(SALU_CYCLE_1)
	s_or_b32 exec_lo, exec_lo, s15
.LBB212_66:                             ;   in Loop: Header=BB212_15 Depth=1
	s_delay_alu instid0(SALU_CYCLE_1) | instskip(SKIP_3) | instid1(VALU_DEP_1)
	s_or_b32 exec_lo, exec_lo, s14
	v_mov_b64_e32 v[4:5], 0
	v_lshrrev_b32_e32 v3, 16, v2
	s_mov_b32 s14, exec_lo
	v_and_b32_e32 v0, 0xff, v3
	scratch_store_b64 off, v[4:5], s32 offset:276 ; 8-byte Folded Spill
	s_wait_xcnt 0x0
	v_mov_b64_e32 v[4:5], 0
	scratch_store_b64 off, v[4:5], s32 offset:556 ; 8-byte Folded Spill
	s_wait_xcnt 0x0
	v_cmpx_ne_u16_e32 0, v0
	s_cbranch_execz .LBB212_74
; %bb.67:                               ;   in Loop: Header=BB212_15 Depth=1
	v_cmp_ne_u16_e64 s1, 0x80, v0
	v_mov_b64_e32 v[0:1], 0x80000000
	s_and_saveexec_b32 s15, s1
	s_cbranch_execz .LBB212_73
; %bb.68:                               ;   in Loop: Header=BB212_15 Depth=1
	v_mov_b64_e32 v[0:1], 0x7f800001
	v_bfe_u32 v5, v2, 16, 7
	s_mov_b32 s16, exec_lo
	s_delay_alu instid0(VALU_DEP_1)
	v_cmpx_ne_u32_e32 0x7f, v5
	s_cbranch_execz .LBB212_72
; %bb.69:                               ;   in Loop: Header=BB212_15 Depth=1
	scratch_load_b64 v[0:1], off, s32 offset:192 th:TH_LOAD_LU ; 8-byte Folded Reload
	s_wait_loadcnt 0x0
	v_dual_lshrrev_b32 v4, 3, v5 :: v_dual_bitop2_b32 v0, 7, v3 bitop3:0x40
	s_mov_b32 s17, exec_lo
	s_wait_xcnt 0x0
	v_cmpx_gt_u32_e32 8, v5
; %bb.70:                               ;   in Loop: Header=BB212_15 Depth=1
	s_delay_alu instid0(VALU_DEP_2) | instskip(NEXT) | instid1(VALU_DEP_1)
	v_clz_i32_u32_e32 v4, v0
	v_min_u32_e32 v4, 32, v4
	s_delay_alu instid0(VALU_DEP_1) | instskip(NEXT) | instid1(VALU_DEP_1)
	v_subrev_nc_u32_e32 v5, 28, v4
	v_lshlrev_b64_e32 v[6:7], v5, v[0:1]
	s_delay_alu instid0(VALU_DEP_1)
	v_dual_sub_nc_u32 v4, 29, v4 :: v_dual_bitop2_b32 v0, 7, v6 bitop3:0x40
; %bb.71:                               ;   in Loop: Header=BB212_15 Depth=1
	s_or_b32 exec_lo, exec_lo, s17
	s_delay_alu instid0(VALU_DEP_1) | instskip(NEXT) | instid1(VALU_DEP_2)
	v_dual_lshlrev_b32 v3, 24, v3 :: v_dual_lshlrev_b32 v0, 20, v0
	v_lshl_add_u32 v4, v4, 23, 0x3c000000
	s_delay_alu instid0(VALU_DEP_2) | instskip(NEXT) | instid1(VALU_DEP_1)
	v_and_b32_e32 v3, 0x80000000, v3
	v_or3_b32 v0, v0, v3, v4
	v_mov_b32_e32 v3, v1
	scratch_store_b64 off, v[2:3], s32 offset:192 ; 8-byte Folded Spill
.LBB212_72:                             ;   in Loop: Header=BB212_15 Depth=1
	s_wait_xcnt 0x0
	s_or_b32 exec_lo, exec_lo, s16
.LBB212_73:                             ;   in Loop: Header=BB212_15 Depth=1
	s_delay_alu instid0(SALU_CYCLE_1)
	s_or_b32 exec_lo, exec_lo, s15
	scratch_store_b64 off, v[0:1], s32 offset:556 ; 8-byte Folded Spill
.LBB212_74:                             ;   in Loop: Header=BB212_15 Depth=1
	s_wait_xcnt 0x0
	s_or_b32 exec_lo, exec_lo, s14
	s_delay_alu instid0(SALU_CYCLE_1)
	s_mov_b32 s14, exec_lo
	v_cmpx_lt_u32_e32 0xffffff, v2
	s_cbranch_execz .LBB212_82
; %bb.75:                               ;   in Loop: Header=BB212_15 Depth=1
	v_mov_b64_e32 v[0:1], 0x8000000000000000
	v_lshrrev_b32_e32 v3, 24, v2
	s_mov_b32 s15, exec_lo
	scratch_store_b64 off, v[0:1], s32 offset:276 ; 8-byte Folded Spill
	s_wait_xcnt 0x0
	v_cmpx_ne_u32_e32 0x80, v3
	s_cbranch_execz .LBB212_81
; %bb.76:                               ;   in Loop: Header=BB212_15 Depth=1
	v_mov_b64_e32 v[0:1], 0x7f80000100000000
	v_bfe_u32 v4, v2, 24, 7
	s_mov_b32 s16, exec_lo
	scratch_store_b64 off, v[0:1], s32 offset:276 ; 8-byte Folded Spill
	s_wait_xcnt 0x0
	v_cmpx_ne_u32_e32 0x7f, v4
	s_cbranch_execz .LBB212_80
; %bb.77:                               ;   in Loop: Header=BB212_15 Depth=1
	scratch_load_b64 v[0:1], off, s32 offset:192 th:TH_LOAD_LU ; 8-byte Folded Reload
	s_wait_loadcnt 0x0
	v_dual_lshrrev_b32 v2, 3, v4 :: v_dual_bitop2_b32 v0, 7, v3 bitop3:0x40
	s_mov_b32 s17, exec_lo
	s_wait_xcnt 0x0
	v_cmpx_gt_u32_e32 8, v4
; %bb.78:                               ;   in Loop: Header=BB212_15 Depth=1
	s_delay_alu instid0(VALU_DEP_2) | instskip(NEXT) | instid1(VALU_DEP_1)
	v_clz_i32_u32_e32 v2, v0
	v_min_u32_e32 v2, 32, v2
	s_delay_alu instid0(VALU_DEP_1) | instskip(NEXT) | instid1(VALU_DEP_1)
	v_subrev_nc_u32_e32 v4, 28, v2
	v_lshlrev_b64_e32 v[4:5], v4, v[0:1]
	s_delay_alu instid0(VALU_DEP_1)
	v_dual_sub_nc_u32 v2, 29, v2 :: v_dual_bitop2_b32 v0, 7, v4 bitop3:0x40
; %bb.79:                               ;   in Loop: Header=BB212_15 Depth=1
	s_or_b32 exec_lo, exec_lo, s17
	s_delay_alu instid0(VALU_DEP_1) | instskip(NEXT) | instid1(VALU_DEP_2)
	v_dual_lshlrev_b32 v3, 24, v3 :: v_dual_lshlrev_b32 v0, 20, v0
	v_lshl_add_u32 v2, v2, 23, 0x3c000000
	v_mov_b32_e32 v4, v1
	s_delay_alu instid0(VALU_DEP_3) | instskip(NEXT) | instid1(VALU_DEP_1)
	v_and_b32_e32 v3, 0x80000000, v3
	v_or3_b32 v5, v0, v3, v2
	v_mov_b32_e32 v3, v1
	s_clause 0x1
	scratch_store_b64 off, v[4:5], s32 offset:276
	scratch_store_b64 off, v[2:3], s32 offset:192
.LBB212_80:                             ;   in Loop: Header=BB212_15 Depth=1
	s_wait_xcnt 0x0
	s_or_b32 exec_lo, exec_lo, s16
.LBB212_81:                             ;   in Loop: Header=BB212_15 Depth=1
	s_delay_alu instid0(SALU_CYCLE_1)
	s_or_b32 exec_lo, exec_lo, s15
.LBB212_82:                             ;   in Loop: Header=BB212_15 Depth=1
	s_delay_alu instid0(SALU_CYCLE_1)
	s_or_b32 exec_lo, exec_lo, s14
	flat_load_b32 v2, v[68:69] offset:8
	v_mov_b64_e32 v[4:5], 0
	s_mov_b32 s14, exec_lo
	scratch_store_b64 off, v[4:5], s32 offset:284 ; 8-byte Folded Spill
	s_wait_xcnt 0x0
	v_mov_b64_e32 v[4:5], 0
	scratch_store_b64 off, v[4:5], s32 offset:564 ; 8-byte Folded Spill
	s_wait_loadcnt_dscnt 0x0
	v_and_b32_e32 v0, 0xff, v2
	s_wait_xcnt 0x0
	s_delay_alu instid0(VALU_DEP_1)
	v_cmpx_ne_u16_e32 0, v0
	s_cbranch_execz .LBB212_90
; %bb.83:                               ;   in Loop: Header=BB212_15 Depth=1
	v_cmp_ne_u16_e64 s1, 0x80, v0
	v_mov_b64_e32 v[0:1], 0x80000000
	s_and_saveexec_b32 s15, s1
	s_cbranch_execz .LBB212_89
; %bb.84:                               ;   in Loop: Header=BB212_15 Depth=1
	v_mov_b64_e32 v[0:1], 0x7f800001
	v_and_b32_e32 v4, 0x7f, v2
	s_mov_b32 s16, exec_lo
	s_delay_alu instid0(VALU_DEP_1)
	v_cmpx_ne_u32_e32 0x7f, v4
	s_cbranch_execz .LBB212_88
; %bb.85:                               ;   in Loop: Header=BB212_15 Depth=1
	scratch_load_b64 v[0:1], off, s32 offset:192 th:TH_LOAD_LU ; 8-byte Folded Reload
	s_wait_loadcnt 0x0
	v_dual_lshrrev_b32 v3, 3, v4 :: v_dual_bitop2_b32 v0, 7, v2 bitop3:0x40
	s_mov_b32 s17, exec_lo
	s_wait_xcnt 0x0
	v_cmpx_gt_u32_e32 8, v4
; %bb.86:                               ;   in Loop: Header=BB212_15 Depth=1
	s_delay_alu instid0(VALU_DEP_2) | instskip(NEXT) | instid1(VALU_DEP_1)
	v_clz_i32_u32_e32 v3, v0
	v_min_u32_e32 v3, 32, v3
	s_delay_alu instid0(VALU_DEP_1) | instskip(NEXT) | instid1(VALU_DEP_1)
	v_subrev_nc_u32_e32 v4, 28, v3
	v_lshlrev_b64_e32 v[4:5], v4, v[0:1]
	s_delay_alu instid0(VALU_DEP_1)
	v_dual_sub_nc_u32 v3, 29, v3 :: v_dual_bitop2_b32 v0, 7, v4 bitop3:0x40
; %bb.87:                               ;   in Loop: Header=BB212_15 Depth=1
	s_or_b32 exec_lo, exec_lo, s17
	s_delay_alu instid0(VALU_DEP_1) | instskip(NEXT) | instid1(VALU_DEP_2)
	v_dual_lshlrev_b32 v4, 24, v2 :: v_dual_lshlrev_b32 v0, 20, v0
	v_lshl_add_u32 v3, v3, 23, 0x3c000000
	s_delay_alu instid0(VALU_DEP_2) | instskip(NEXT) | instid1(VALU_DEP_1)
	v_and_b32_e32 v4, 0x80000000, v4
	v_or3_b32 v0, v0, v4, v3
	v_mov_b32_e32 v3, v1
	scratch_store_b64 off, v[2:3], s32 offset:192 ; 8-byte Folded Spill
.LBB212_88:                             ;   in Loop: Header=BB212_15 Depth=1
	s_wait_xcnt 0x0
	s_or_b32 exec_lo, exec_lo, s16
.LBB212_89:                             ;   in Loop: Header=BB212_15 Depth=1
	s_delay_alu instid0(SALU_CYCLE_1)
	s_or_b32 exec_lo, exec_lo, s15
	scratch_store_b64 off, v[0:1], s32 offset:564 ; 8-byte Folded Spill
.LBB212_90:                             ;   in Loop: Header=BB212_15 Depth=1
	s_wait_xcnt 0x0
	s_or_b32 exec_lo, exec_lo, s14
	v_lshrrev_b16 v0, 8, v2
	s_mov_b32 s14, exec_lo
	s_delay_alu instid0(VALU_DEP_1)
	v_cmpx_ne_u16_e32 0, v0
	s_cbranch_execz .LBB212_98
; %bb.91:                               ;   in Loop: Header=BB212_15 Depth=1
	v_mov_b64_e32 v[4:5], 0x8000000000000000
	s_mov_b32 s15, exec_lo
	scratch_store_b64 off, v[4:5], s32 offset:284 ; 8-byte Folded Spill
	s_wait_xcnt 0x0
	v_cmpx_ne_u16_e32 0x80, v0
	s_cbranch_execz .LBB212_97
; %bb.92:                               ;   in Loop: Header=BB212_15 Depth=1
	v_and_b32_e32 v0, 0xffff, v0
	v_mov_b64_e32 v[6:7], 0x7f80000100000000
	s_mov_b32 s16, exec_lo
	s_delay_alu instid0(VALU_DEP_2)
	v_and_b32_e32 v4, 0x7f, v0
	scratch_store_b64 off, v[6:7], s32 offset:284 ; 8-byte Folded Spill
	s_wait_xcnt 0x0
	v_cmpx_ne_u32_e32 0x7f, v4
	s_cbranch_execz .LBB212_96
; %bb.93:                               ;   in Loop: Header=BB212_15 Depth=1
	scratch_load_b64 v[6:7], off, s32 offset:192 th:TH_LOAD_LU ; 8-byte Folded Reload
	v_lshrrev_b32_e32 v3, 3, v4
	s_mov_b32 s17, exec_lo
	s_wait_loadcnt 0x0
	v_dual_mov_b32 v1, v7 :: v_dual_bitop2_b32 v0, 7, v0 bitop3:0x40
	s_wait_xcnt 0x0
	v_cmpx_gt_u32_e32 8, v4
; %bb.94:                               ;   in Loop: Header=BB212_15 Depth=1
	s_delay_alu instid0(VALU_DEP_2) | instskip(NEXT) | instid1(VALU_DEP_1)
	v_clz_i32_u32_e32 v3, v0
	v_min_u32_e32 v3, 32, v3
	s_delay_alu instid0(VALU_DEP_1) | instskip(NEXT) | instid1(VALU_DEP_1)
	v_subrev_nc_u32_e32 v4, 28, v3
	v_lshlrev_b64_e32 v[4:5], v4, v[0:1]
	s_delay_alu instid0(VALU_DEP_1)
	v_dual_sub_nc_u32 v3, 29, v3 :: v_dual_bitop2_b32 v0, 7, v4 bitop3:0x40
; %bb.95:                               ;   in Loop: Header=BB212_15 Depth=1
	s_or_b32 exec_lo, exec_lo, s17
	s_delay_alu instid0(VALU_DEP_1) | instskip(NEXT) | instid1(VALU_DEP_2)
	v_dual_lshlrev_b32 v4, 16, v2 :: v_dual_lshlrev_b32 v0, 20, v0
	v_lshl_add_u32 v3, v3, 23, 0x3c000000
	s_delay_alu instid0(VALU_DEP_2) | instskip(NEXT) | instid1(VALU_DEP_1)
	v_and_b32_e32 v4, 0x80000000, v4
	v_or3_b32 v5, v0, v4, v3
	v_dual_mov_b32 v3, v1 :: v_dual_mov_b32 v4, v1
	s_clause 0x1
	scratch_store_b64 off, v[2:3], s32 offset:192
	scratch_store_b64 off, v[4:5], s32 offset:284
.LBB212_96:                             ;   in Loop: Header=BB212_15 Depth=1
	s_wait_xcnt 0x0
	s_or_b32 exec_lo, exec_lo, s16
.LBB212_97:                             ;   in Loop: Header=BB212_15 Depth=1
	s_delay_alu instid0(SALU_CYCLE_1)
	s_or_b32 exec_lo, exec_lo, s15
.LBB212_98:                             ;   in Loop: Header=BB212_15 Depth=1
	s_delay_alu instid0(SALU_CYCLE_1) | instskip(SKIP_3) | instid1(VALU_DEP_1)
	s_or_b32 exec_lo, exec_lo, s14
	v_mov_b64_e32 v[4:5], 0
	v_lshrrev_b32_e32 v3, 16, v2
	s_mov_b32 s14, exec_lo
	v_and_b32_e32 v0, 0xff, v3
	scratch_store_b64 off, v[4:5], s32 offset:292 ; 8-byte Folded Spill
	s_wait_xcnt 0x0
	v_mov_b64_e32 v[4:5], 0
	scratch_store_b64 off, v[4:5], s32 offset:572 ; 8-byte Folded Spill
	s_wait_xcnt 0x0
	v_cmpx_ne_u16_e32 0, v0
	s_cbranch_execz .LBB212_106
; %bb.99:                               ;   in Loop: Header=BB212_15 Depth=1
	v_cmp_ne_u16_e64 s1, 0x80, v0
	v_mov_b64_e32 v[0:1], 0x80000000
	s_and_saveexec_b32 s15, s1
	s_cbranch_execz .LBB212_105
; %bb.100:                              ;   in Loop: Header=BB212_15 Depth=1
	v_mov_b64_e32 v[0:1], 0x7f800001
	v_bfe_u32 v5, v2, 16, 7
	s_mov_b32 s16, exec_lo
	s_delay_alu instid0(VALU_DEP_1)
	v_cmpx_ne_u32_e32 0x7f, v5
	s_cbranch_execz .LBB212_104
; %bb.101:                              ;   in Loop: Header=BB212_15 Depth=1
	scratch_load_b64 v[0:1], off, s32 offset:192 th:TH_LOAD_LU ; 8-byte Folded Reload
	s_wait_loadcnt 0x0
	v_dual_lshrrev_b32 v4, 3, v5 :: v_dual_bitop2_b32 v0, 7, v3 bitop3:0x40
	s_mov_b32 s17, exec_lo
	s_wait_xcnt 0x0
	v_cmpx_gt_u32_e32 8, v5
; %bb.102:                              ;   in Loop: Header=BB212_15 Depth=1
	s_delay_alu instid0(VALU_DEP_2) | instskip(NEXT) | instid1(VALU_DEP_1)
	v_clz_i32_u32_e32 v4, v0
	v_min_u32_e32 v4, 32, v4
	s_delay_alu instid0(VALU_DEP_1) | instskip(NEXT) | instid1(VALU_DEP_1)
	v_subrev_nc_u32_e32 v5, 28, v4
	v_lshlrev_b64_e32 v[6:7], v5, v[0:1]
	s_delay_alu instid0(VALU_DEP_1)
	v_dual_sub_nc_u32 v4, 29, v4 :: v_dual_bitop2_b32 v0, 7, v6 bitop3:0x40
; %bb.103:                              ;   in Loop: Header=BB212_15 Depth=1
	s_or_b32 exec_lo, exec_lo, s17
	s_delay_alu instid0(VALU_DEP_1) | instskip(NEXT) | instid1(VALU_DEP_2)
	v_dual_lshlrev_b32 v3, 24, v3 :: v_dual_lshlrev_b32 v0, 20, v0
	v_lshl_add_u32 v4, v4, 23, 0x3c000000
	s_delay_alu instid0(VALU_DEP_2) | instskip(NEXT) | instid1(VALU_DEP_1)
	v_and_b32_e32 v3, 0x80000000, v3
	v_or3_b32 v0, v0, v3, v4
	v_mov_b32_e32 v3, v1
	scratch_store_b64 off, v[2:3], s32 offset:192 ; 8-byte Folded Spill
.LBB212_104:                            ;   in Loop: Header=BB212_15 Depth=1
	s_wait_xcnt 0x0
	s_or_b32 exec_lo, exec_lo, s16
.LBB212_105:                            ;   in Loop: Header=BB212_15 Depth=1
	s_delay_alu instid0(SALU_CYCLE_1)
	s_or_b32 exec_lo, exec_lo, s15
	scratch_store_b64 off, v[0:1], s32 offset:572 ; 8-byte Folded Spill
.LBB212_106:                            ;   in Loop: Header=BB212_15 Depth=1
	s_wait_xcnt 0x0
	s_or_b32 exec_lo, exec_lo, s14
	s_delay_alu instid0(SALU_CYCLE_1)
	s_mov_b32 s14, exec_lo
	v_cmpx_lt_u32_e32 0xffffff, v2
	s_cbranch_execz .LBB212_114
; %bb.107:                              ;   in Loop: Header=BB212_15 Depth=1
	v_mov_b64_e32 v[0:1], 0x8000000000000000
	v_lshrrev_b32_e32 v3, 24, v2
	s_mov_b32 s15, exec_lo
	scratch_store_b64 off, v[0:1], s32 offset:292 ; 8-byte Folded Spill
	s_wait_xcnt 0x0
	v_cmpx_ne_u32_e32 0x80, v3
	s_cbranch_execz .LBB212_113
; %bb.108:                              ;   in Loop: Header=BB212_15 Depth=1
	v_mov_b64_e32 v[0:1], 0x7f80000100000000
	v_bfe_u32 v4, v2, 24, 7
	s_mov_b32 s16, exec_lo
	scratch_store_b64 off, v[0:1], s32 offset:292 ; 8-byte Folded Spill
	s_wait_xcnt 0x0
	v_cmpx_ne_u32_e32 0x7f, v4
	s_cbranch_execz .LBB212_112
; %bb.109:                              ;   in Loop: Header=BB212_15 Depth=1
	scratch_load_b64 v[0:1], off, s32 offset:192 th:TH_LOAD_LU ; 8-byte Folded Reload
	s_wait_loadcnt 0x0
	v_dual_lshrrev_b32 v2, 3, v4 :: v_dual_bitop2_b32 v0, 7, v3 bitop3:0x40
	s_mov_b32 s17, exec_lo
	s_wait_xcnt 0x0
	v_cmpx_gt_u32_e32 8, v4
; %bb.110:                              ;   in Loop: Header=BB212_15 Depth=1
	s_delay_alu instid0(VALU_DEP_2) | instskip(NEXT) | instid1(VALU_DEP_1)
	v_clz_i32_u32_e32 v2, v0
	v_min_u32_e32 v2, 32, v2
	s_delay_alu instid0(VALU_DEP_1) | instskip(NEXT) | instid1(VALU_DEP_1)
	v_subrev_nc_u32_e32 v4, 28, v2
	v_lshlrev_b64_e32 v[4:5], v4, v[0:1]
	s_delay_alu instid0(VALU_DEP_1)
	v_dual_sub_nc_u32 v2, 29, v2 :: v_dual_bitop2_b32 v0, 7, v4 bitop3:0x40
; %bb.111:                              ;   in Loop: Header=BB212_15 Depth=1
	s_or_b32 exec_lo, exec_lo, s17
	s_delay_alu instid0(VALU_DEP_1) | instskip(NEXT) | instid1(VALU_DEP_2)
	v_dual_lshlrev_b32 v3, 24, v3 :: v_dual_lshlrev_b32 v0, 20, v0
	v_lshl_add_u32 v2, v2, 23, 0x3c000000
	v_mov_b32_e32 v4, v1
	s_delay_alu instid0(VALU_DEP_3) | instskip(NEXT) | instid1(VALU_DEP_1)
	v_and_b32_e32 v3, 0x80000000, v3
	v_or3_b32 v5, v0, v3, v2
	v_mov_b32_e32 v3, v1
	s_clause 0x1
	scratch_store_b64 off, v[4:5], s32 offset:292
	scratch_store_b64 off, v[2:3], s32 offset:192
.LBB212_112:                            ;   in Loop: Header=BB212_15 Depth=1
	s_wait_xcnt 0x0
	s_or_b32 exec_lo, exec_lo, s16
.LBB212_113:                            ;   in Loop: Header=BB212_15 Depth=1
	s_delay_alu instid0(SALU_CYCLE_1)
	s_or_b32 exec_lo, exec_lo, s15
.LBB212_114:                            ;   in Loop: Header=BB212_15 Depth=1
	s_delay_alu instid0(SALU_CYCLE_1)
	s_or_b32 exec_lo, exec_lo, s14
	flat_load_b32 v2, v[68:69] offset:12
	v_mov_b64_e32 v[4:5], 0
	s_mov_b32 s14, exec_lo
	scratch_store_b64 off, v[4:5], s32 offset:300 ; 8-byte Folded Spill
	s_wait_xcnt 0x0
	v_mov_b64_e32 v[4:5], 0
	scratch_store_b64 off, v[4:5], s32 offset:580 ; 8-byte Folded Spill
	s_wait_loadcnt_dscnt 0x0
	v_and_b32_e32 v0, 0xff, v2
	s_wait_xcnt 0x0
	s_delay_alu instid0(VALU_DEP_1)
	v_cmpx_ne_u16_e32 0, v0
	s_cbranch_execz .LBB212_122
; %bb.115:                              ;   in Loop: Header=BB212_15 Depth=1
	v_cmp_ne_u16_e64 s1, 0x80, v0
	v_mov_b64_e32 v[0:1], 0x80000000
	s_and_saveexec_b32 s15, s1
	s_cbranch_execz .LBB212_121
; %bb.116:                              ;   in Loop: Header=BB212_15 Depth=1
	v_mov_b64_e32 v[0:1], 0x7f800001
	v_and_b32_e32 v4, 0x7f, v2
	s_mov_b32 s16, exec_lo
	s_delay_alu instid0(VALU_DEP_1)
	v_cmpx_ne_u32_e32 0x7f, v4
	s_cbranch_execz .LBB212_120
; %bb.117:                              ;   in Loop: Header=BB212_15 Depth=1
	scratch_load_b64 v[0:1], off, s32 offset:192 th:TH_LOAD_LU ; 8-byte Folded Reload
	s_wait_loadcnt 0x0
	v_dual_lshrrev_b32 v3, 3, v4 :: v_dual_bitop2_b32 v0, 7, v2 bitop3:0x40
	s_mov_b32 s17, exec_lo
	s_wait_xcnt 0x0
	v_cmpx_gt_u32_e32 8, v4
; %bb.118:                              ;   in Loop: Header=BB212_15 Depth=1
	s_delay_alu instid0(VALU_DEP_2) | instskip(NEXT) | instid1(VALU_DEP_1)
	v_clz_i32_u32_e32 v3, v0
	v_min_u32_e32 v3, 32, v3
	s_delay_alu instid0(VALU_DEP_1) | instskip(NEXT) | instid1(VALU_DEP_1)
	v_subrev_nc_u32_e32 v4, 28, v3
	v_lshlrev_b64_e32 v[4:5], v4, v[0:1]
	s_delay_alu instid0(VALU_DEP_1)
	v_dual_sub_nc_u32 v3, 29, v3 :: v_dual_bitop2_b32 v0, 7, v4 bitop3:0x40
; %bb.119:                              ;   in Loop: Header=BB212_15 Depth=1
	s_or_b32 exec_lo, exec_lo, s17
	s_delay_alu instid0(VALU_DEP_1) | instskip(NEXT) | instid1(VALU_DEP_2)
	v_dual_lshlrev_b32 v4, 24, v2 :: v_dual_lshlrev_b32 v0, 20, v0
	v_lshl_add_u32 v3, v3, 23, 0x3c000000
	s_delay_alu instid0(VALU_DEP_2) | instskip(NEXT) | instid1(VALU_DEP_1)
	v_and_b32_e32 v4, 0x80000000, v4
	v_or3_b32 v0, v0, v4, v3
	v_mov_b32_e32 v3, v1
	scratch_store_b64 off, v[2:3], s32 offset:192 ; 8-byte Folded Spill
.LBB212_120:                            ;   in Loop: Header=BB212_15 Depth=1
	s_wait_xcnt 0x0
	s_or_b32 exec_lo, exec_lo, s16
.LBB212_121:                            ;   in Loop: Header=BB212_15 Depth=1
	s_delay_alu instid0(SALU_CYCLE_1)
	s_or_b32 exec_lo, exec_lo, s15
	scratch_store_b64 off, v[0:1], s32 offset:580 ; 8-byte Folded Spill
.LBB212_122:                            ;   in Loop: Header=BB212_15 Depth=1
	s_wait_xcnt 0x0
	s_or_b32 exec_lo, exec_lo, s14
	v_lshrrev_b16 v0, 8, v2
	s_mov_b32 s14, exec_lo
	s_delay_alu instid0(VALU_DEP_1)
	v_cmpx_ne_u16_e32 0, v0
	s_cbranch_execz .LBB212_130
; %bb.123:                              ;   in Loop: Header=BB212_15 Depth=1
	v_mov_b64_e32 v[4:5], 0x8000000000000000
	s_mov_b32 s15, exec_lo
	scratch_store_b64 off, v[4:5], s32 offset:300 ; 8-byte Folded Spill
	s_wait_xcnt 0x0
	v_cmpx_ne_u16_e32 0x80, v0
	s_cbranch_execz .LBB212_129
; %bb.124:                              ;   in Loop: Header=BB212_15 Depth=1
	v_and_b32_e32 v0, 0xffff, v0
	v_mov_b64_e32 v[6:7], 0x7f80000100000000
	s_mov_b32 s16, exec_lo
	s_delay_alu instid0(VALU_DEP_2)
	v_and_b32_e32 v4, 0x7f, v0
	scratch_store_b64 off, v[6:7], s32 offset:300 ; 8-byte Folded Spill
	s_wait_xcnt 0x0
	v_cmpx_ne_u32_e32 0x7f, v4
	s_cbranch_execz .LBB212_128
; %bb.125:                              ;   in Loop: Header=BB212_15 Depth=1
	scratch_load_b64 v[6:7], off, s32 offset:192 th:TH_LOAD_LU ; 8-byte Folded Reload
	v_lshrrev_b32_e32 v3, 3, v4
	s_mov_b32 s17, exec_lo
	s_wait_loadcnt 0x0
	v_dual_mov_b32 v1, v7 :: v_dual_bitop2_b32 v0, 7, v0 bitop3:0x40
	s_wait_xcnt 0x0
	v_cmpx_gt_u32_e32 8, v4
; %bb.126:                              ;   in Loop: Header=BB212_15 Depth=1
	s_delay_alu instid0(VALU_DEP_2) | instskip(NEXT) | instid1(VALU_DEP_1)
	v_clz_i32_u32_e32 v3, v0
	v_min_u32_e32 v3, 32, v3
	s_delay_alu instid0(VALU_DEP_1) | instskip(NEXT) | instid1(VALU_DEP_1)
	v_subrev_nc_u32_e32 v4, 28, v3
	v_lshlrev_b64_e32 v[4:5], v4, v[0:1]
	s_delay_alu instid0(VALU_DEP_1)
	v_dual_sub_nc_u32 v3, 29, v3 :: v_dual_bitop2_b32 v0, 7, v4 bitop3:0x40
; %bb.127:                              ;   in Loop: Header=BB212_15 Depth=1
	s_or_b32 exec_lo, exec_lo, s17
	s_delay_alu instid0(VALU_DEP_1) | instskip(NEXT) | instid1(VALU_DEP_2)
	v_dual_lshlrev_b32 v4, 16, v2 :: v_dual_lshlrev_b32 v0, 20, v0
	v_lshl_add_u32 v3, v3, 23, 0x3c000000
	s_delay_alu instid0(VALU_DEP_2) | instskip(NEXT) | instid1(VALU_DEP_1)
	v_and_b32_e32 v4, 0x80000000, v4
	v_or3_b32 v5, v0, v4, v3
	v_dual_mov_b32 v3, v1 :: v_dual_mov_b32 v4, v1
	s_clause 0x1
	scratch_store_b64 off, v[2:3], s32 offset:192
	scratch_store_b64 off, v[4:5], s32 offset:300
.LBB212_128:                            ;   in Loop: Header=BB212_15 Depth=1
	s_wait_xcnt 0x0
	s_or_b32 exec_lo, exec_lo, s16
.LBB212_129:                            ;   in Loop: Header=BB212_15 Depth=1
	s_delay_alu instid0(SALU_CYCLE_1)
	s_or_b32 exec_lo, exec_lo, s15
.LBB212_130:                            ;   in Loop: Header=BB212_15 Depth=1
	s_delay_alu instid0(SALU_CYCLE_1) | instskip(SKIP_3) | instid1(VALU_DEP_1)
	s_or_b32 exec_lo, exec_lo, s14
	v_mov_b64_e32 v[4:5], 0
	v_lshrrev_b32_e32 v3, 16, v2
	s_mov_b32 s14, exec_lo
	v_and_b32_e32 v0, 0xff, v3
	scratch_store_b64 off, v[4:5], s32 offset:308 ; 8-byte Folded Spill
	s_wait_xcnt 0x0
	v_mov_b64_e32 v[4:5], 0
	scratch_store_b64 off, v[4:5], s32 offset:588 ; 8-byte Folded Spill
	s_wait_xcnt 0x0
	v_cmpx_ne_u16_e32 0, v0
	s_cbranch_execz .LBB212_138
; %bb.131:                              ;   in Loop: Header=BB212_15 Depth=1
	v_cmp_ne_u16_e64 s1, 0x80, v0
	v_mov_b64_e32 v[0:1], 0x80000000
	s_and_saveexec_b32 s15, s1
	s_cbranch_execz .LBB212_137
; %bb.132:                              ;   in Loop: Header=BB212_15 Depth=1
	v_mov_b64_e32 v[0:1], 0x7f800001
	v_bfe_u32 v5, v2, 16, 7
	s_mov_b32 s16, exec_lo
	s_delay_alu instid0(VALU_DEP_1)
	v_cmpx_ne_u32_e32 0x7f, v5
	s_cbranch_execz .LBB212_136
; %bb.133:                              ;   in Loop: Header=BB212_15 Depth=1
	scratch_load_b64 v[0:1], off, s32 offset:192 th:TH_LOAD_LU ; 8-byte Folded Reload
	s_wait_loadcnt 0x0
	v_dual_lshrrev_b32 v4, 3, v5 :: v_dual_bitop2_b32 v0, 7, v3 bitop3:0x40
	s_mov_b32 s17, exec_lo
	s_wait_xcnt 0x0
	v_cmpx_gt_u32_e32 8, v5
; %bb.134:                              ;   in Loop: Header=BB212_15 Depth=1
	s_delay_alu instid0(VALU_DEP_2) | instskip(NEXT) | instid1(VALU_DEP_1)
	v_clz_i32_u32_e32 v4, v0
	v_min_u32_e32 v4, 32, v4
	s_delay_alu instid0(VALU_DEP_1) | instskip(NEXT) | instid1(VALU_DEP_1)
	v_subrev_nc_u32_e32 v5, 28, v4
	v_lshlrev_b64_e32 v[6:7], v5, v[0:1]
	s_delay_alu instid0(VALU_DEP_1)
	v_dual_sub_nc_u32 v4, 29, v4 :: v_dual_bitop2_b32 v0, 7, v6 bitop3:0x40
; %bb.135:                              ;   in Loop: Header=BB212_15 Depth=1
	s_or_b32 exec_lo, exec_lo, s17
	s_delay_alu instid0(VALU_DEP_1) | instskip(NEXT) | instid1(VALU_DEP_2)
	v_dual_lshlrev_b32 v3, 24, v3 :: v_dual_lshlrev_b32 v0, 20, v0
	v_lshl_add_u32 v4, v4, 23, 0x3c000000
	s_delay_alu instid0(VALU_DEP_2) | instskip(NEXT) | instid1(VALU_DEP_1)
	v_and_b32_e32 v3, 0x80000000, v3
	v_or3_b32 v0, v0, v3, v4
	v_mov_b32_e32 v3, v1
	scratch_store_b64 off, v[2:3], s32 offset:192 ; 8-byte Folded Spill
.LBB212_136:                            ;   in Loop: Header=BB212_15 Depth=1
	s_wait_xcnt 0x0
	s_or_b32 exec_lo, exec_lo, s16
.LBB212_137:                            ;   in Loop: Header=BB212_15 Depth=1
	s_delay_alu instid0(SALU_CYCLE_1)
	s_or_b32 exec_lo, exec_lo, s15
	scratch_store_b64 off, v[0:1], s32 offset:588 ; 8-byte Folded Spill
.LBB212_138:                            ;   in Loop: Header=BB212_15 Depth=1
	s_wait_xcnt 0x0
	s_or_b32 exec_lo, exec_lo, s14
	s_delay_alu instid0(SALU_CYCLE_1)
	s_mov_b32 s14, exec_lo
	v_cmpx_lt_u32_e32 0xffffff, v2
	s_cbranch_execz .LBB212_146
; %bb.139:                              ;   in Loop: Header=BB212_15 Depth=1
	v_mov_b64_e32 v[0:1], 0x8000000000000000
	v_lshrrev_b32_e32 v3, 24, v2
	s_mov_b32 s15, exec_lo
	scratch_store_b64 off, v[0:1], s32 offset:308 ; 8-byte Folded Spill
	s_wait_xcnt 0x0
	v_cmpx_ne_u32_e32 0x80, v3
	s_cbranch_execz .LBB212_145
; %bb.140:                              ;   in Loop: Header=BB212_15 Depth=1
	v_mov_b64_e32 v[0:1], 0x7f80000100000000
	v_bfe_u32 v4, v2, 24, 7
	s_mov_b32 s16, exec_lo
	scratch_store_b64 off, v[0:1], s32 offset:308 ; 8-byte Folded Spill
	s_wait_xcnt 0x0
	v_cmpx_ne_u32_e32 0x7f, v4
	s_cbranch_execz .LBB212_144
; %bb.141:                              ;   in Loop: Header=BB212_15 Depth=1
	scratch_load_b64 v[0:1], off, s32 offset:192 th:TH_LOAD_LU ; 8-byte Folded Reload
	s_wait_loadcnt 0x0
	v_dual_lshrrev_b32 v2, 3, v4 :: v_dual_bitop2_b32 v0, 7, v3 bitop3:0x40
	s_mov_b32 s17, exec_lo
	s_wait_xcnt 0x0
	v_cmpx_gt_u32_e32 8, v4
; %bb.142:                              ;   in Loop: Header=BB212_15 Depth=1
	s_delay_alu instid0(VALU_DEP_2) | instskip(NEXT) | instid1(VALU_DEP_1)
	v_clz_i32_u32_e32 v2, v0
	v_min_u32_e32 v2, 32, v2
	s_delay_alu instid0(VALU_DEP_1) | instskip(NEXT) | instid1(VALU_DEP_1)
	v_subrev_nc_u32_e32 v4, 28, v2
	v_lshlrev_b64_e32 v[4:5], v4, v[0:1]
	s_delay_alu instid0(VALU_DEP_1)
	v_dual_sub_nc_u32 v2, 29, v2 :: v_dual_bitop2_b32 v0, 7, v4 bitop3:0x40
; %bb.143:                              ;   in Loop: Header=BB212_15 Depth=1
	s_or_b32 exec_lo, exec_lo, s17
	s_delay_alu instid0(VALU_DEP_1) | instskip(NEXT) | instid1(VALU_DEP_2)
	v_dual_lshlrev_b32 v3, 24, v3 :: v_dual_lshlrev_b32 v0, 20, v0
	v_lshl_add_u32 v2, v2, 23, 0x3c000000
	v_mov_b32_e32 v4, v1
	s_delay_alu instid0(VALU_DEP_3) | instskip(NEXT) | instid1(VALU_DEP_1)
	v_and_b32_e32 v3, 0x80000000, v3
	v_or3_b32 v5, v0, v3, v2
	v_mov_b32_e32 v3, v1
	s_clause 0x1
	scratch_store_b64 off, v[4:5], s32 offset:308
	scratch_store_b64 off, v[2:3], s32 offset:192
.LBB212_144:                            ;   in Loop: Header=BB212_15 Depth=1
	s_wait_xcnt 0x0
	s_or_b32 exec_lo, exec_lo, s16
.LBB212_145:                            ;   in Loop: Header=BB212_15 Depth=1
	s_delay_alu instid0(SALU_CYCLE_1)
	s_or_b32 exec_lo, exec_lo, s15
.LBB212_146:                            ;   in Loop: Header=BB212_15 Depth=1
	s_delay_alu instid0(SALU_CYCLE_1)
	s_or_b32 exec_lo, exec_lo, s14
	flat_load_b32 v2, v[68:69] offset:512
	v_mov_b64_e32 v[4:5], 0
	s_mov_b32 s14, exec_lo
	scratch_store_b64 off, v[4:5], s32 offset:316 ; 8-byte Folded Spill
	s_wait_xcnt 0x0
	v_mov_b64_e32 v[4:5], 0
	scratch_store_b64 off, v[4:5], s32 offset:596 ; 8-byte Folded Spill
	s_wait_loadcnt_dscnt 0x0
	v_and_b32_e32 v0, 0xff, v2
	s_wait_xcnt 0x0
	s_delay_alu instid0(VALU_DEP_1)
	v_cmpx_ne_u16_e32 0, v0
	s_cbranch_execz .LBB212_154
; %bb.147:                              ;   in Loop: Header=BB212_15 Depth=1
	v_cmp_ne_u16_e64 s1, 0x80, v0
	v_mov_b64_e32 v[0:1], 0x80000000
	s_and_saveexec_b32 s15, s1
	s_cbranch_execz .LBB212_153
; %bb.148:                              ;   in Loop: Header=BB212_15 Depth=1
	v_mov_b64_e32 v[0:1], 0x7f800001
	v_and_b32_e32 v4, 0x7f, v2
	s_mov_b32 s16, exec_lo
	s_delay_alu instid0(VALU_DEP_1)
	v_cmpx_ne_u32_e32 0x7f, v4
	s_cbranch_execz .LBB212_152
; %bb.149:                              ;   in Loop: Header=BB212_15 Depth=1
	scratch_load_b64 v[0:1], off, s32 offset:192 th:TH_LOAD_LU ; 8-byte Folded Reload
	s_wait_loadcnt 0x0
	v_dual_lshrrev_b32 v3, 3, v4 :: v_dual_bitop2_b32 v0, 7, v2 bitop3:0x40
	s_mov_b32 s17, exec_lo
	s_wait_xcnt 0x0
	v_cmpx_gt_u32_e32 8, v4
; %bb.150:                              ;   in Loop: Header=BB212_15 Depth=1
	s_delay_alu instid0(VALU_DEP_2) | instskip(NEXT) | instid1(VALU_DEP_1)
	v_clz_i32_u32_e32 v3, v0
	v_min_u32_e32 v3, 32, v3
	s_delay_alu instid0(VALU_DEP_1) | instskip(NEXT) | instid1(VALU_DEP_1)
	v_subrev_nc_u32_e32 v4, 28, v3
	v_lshlrev_b64_e32 v[4:5], v4, v[0:1]
	s_delay_alu instid0(VALU_DEP_1)
	v_dual_sub_nc_u32 v3, 29, v3 :: v_dual_bitop2_b32 v0, 7, v4 bitop3:0x40
; %bb.151:                              ;   in Loop: Header=BB212_15 Depth=1
	s_or_b32 exec_lo, exec_lo, s17
	s_delay_alu instid0(VALU_DEP_1) | instskip(NEXT) | instid1(VALU_DEP_2)
	v_dual_lshlrev_b32 v4, 24, v2 :: v_dual_lshlrev_b32 v0, 20, v0
	v_lshl_add_u32 v3, v3, 23, 0x3c000000
	s_delay_alu instid0(VALU_DEP_2) | instskip(NEXT) | instid1(VALU_DEP_1)
	v_and_b32_e32 v4, 0x80000000, v4
	v_or3_b32 v0, v0, v4, v3
	v_mov_b32_e32 v3, v1
	scratch_store_b64 off, v[2:3], s32 offset:192 ; 8-byte Folded Spill
.LBB212_152:                            ;   in Loop: Header=BB212_15 Depth=1
	s_wait_xcnt 0x0
	s_or_b32 exec_lo, exec_lo, s16
.LBB212_153:                            ;   in Loop: Header=BB212_15 Depth=1
	s_delay_alu instid0(SALU_CYCLE_1)
	s_or_b32 exec_lo, exec_lo, s15
	scratch_store_b64 off, v[0:1], s32 offset:596 ; 8-byte Folded Spill
.LBB212_154:                            ;   in Loop: Header=BB212_15 Depth=1
	s_wait_xcnt 0x0
	s_or_b32 exec_lo, exec_lo, s14
	v_lshrrev_b16 v0, 8, v2
	s_mov_b32 s14, exec_lo
	s_delay_alu instid0(VALU_DEP_1)
	v_cmpx_ne_u16_e32 0, v0
	s_cbranch_execz .LBB212_162
; %bb.155:                              ;   in Loop: Header=BB212_15 Depth=1
	v_mov_b64_e32 v[4:5], 0x8000000000000000
	s_mov_b32 s15, exec_lo
	scratch_store_b64 off, v[4:5], s32 offset:316 ; 8-byte Folded Spill
	s_wait_xcnt 0x0
	v_cmpx_ne_u16_e32 0x80, v0
	s_cbranch_execz .LBB212_161
; %bb.156:                              ;   in Loop: Header=BB212_15 Depth=1
	v_and_b32_e32 v0, 0xffff, v0
	v_mov_b64_e32 v[6:7], 0x7f80000100000000
	s_mov_b32 s16, exec_lo
	s_delay_alu instid0(VALU_DEP_2)
	v_and_b32_e32 v4, 0x7f, v0
	scratch_store_b64 off, v[6:7], s32 offset:316 ; 8-byte Folded Spill
	s_wait_xcnt 0x0
	v_cmpx_ne_u32_e32 0x7f, v4
	s_cbranch_execz .LBB212_160
; %bb.157:                              ;   in Loop: Header=BB212_15 Depth=1
	scratch_load_b64 v[6:7], off, s32 offset:192 th:TH_LOAD_LU ; 8-byte Folded Reload
	v_lshrrev_b32_e32 v3, 3, v4
	s_mov_b32 s17, exec_lo
	s_wait_loadcnt 0x0
	v_dual_mov_b32 v1, v7 :: v_dual_bitop2_b32 v0, 7, v0 bitop3:0x40
	s_wait_xcnt 0x0
	v_cmpx_gt_u32_e32 8, v4
; %bb.158:                              ;   in Loop: Header=BB212_15 Depth=1
	s_delay_alu instid0(VALU_DEP_2) | instskip(NEXT) | instid1(VALU_DEP_1)
	v_clz_i32_u32_e32 v3, v0
	v_min_u32_e32 v3, 32, v3
	s_delay_alu instid0(VALU_DEP_1) | instskip(NEXT) | instid1(VALU_DEP_1)
	v_subrev_nc_u32_e32 v4, 28, v3
	v_lshlrev_b64_e32 v[4:5], v4, v[0:1]
	s_delay_alu instid0(VALU_DEP_1)
	v_dual_sub_nc_u32 v3, 29, v3 :: v_dual_bitop2_b32 v0, 7, v4 bitop3:0x40
; %bb.159:                              ;   in Loop: Header=BB212_15 Depth=1
	s_or_b32 exec_lo, exec_lo, s17
	s_delay_alu instid0(VALU_DEP_1) | instskip(NEXT) | instid1(VALU_DEP_2)
	v_dual_lshlrev_b32 v4, 16, v2 :: v_dual_lshlrev_b32 v0, 20, v0
	v_lshl_add_u32 v3, v3, 23, 0x3c000000
	s_delay_alu instid0(VALU_DEP_2) | instskip(NEXT) | instid1(VALU_DEP_1)
	v_and_b32_e32 v4, 0x80000000, v4
	v_or3_b32 v5, v0, v4, v3
	v_dual_mov_b32 v3, v1 :: v_dual_mov_b32 v4, v1
	s_clause 0x1
	scratch_store_b64 off, v[2:3], s32 offset:192
	scratch_store_b64 off, v[4:5], s32 offset:316
.LBB212_160:                            ;   in Loop: Header=BB212_15 Depth=1
	s_wait_xcnt 0x0
	s_or_b32 exec_lo, exec_lo, s16
.LBB212_161:                            ;   in Loop: Header=BB212_15 Depth=1
	s_delay_alu instid0(SALU_CYCLE_1)
	s_or_b32 exec_lo, exec_lo, s15
.LBB212_162:                            ;   in Loop: Header=BB212_15 Depth=1
	s_delay_alu instid0(SALU_CYCLE_1) | instskip(SKIP_3) | instid1(VALU_DEP_1)
	s_or_b32 exec_lo, exec_lo, s14
	v_mov_b64_e32 v[4:5], 0
	v_lshrrev_b32_e32 v3, 16, v2
	s_mov_b32 s14, exec_lo
	v_and_b32_e32 v0, 0xff, v3
	scratch_store_b64 off, v[4:5], s32 offset:324 ; 8-byte Folded Spill
	s_wait_xcnt 0x0
	v_mov_b64_e32 v[4:5], 0
	scratch_store_b64 off, v[4:5], s32 offset:604 ; 8-byte Folded Spill
	s_wait_xcnt 0x0
	v_cmpx_ne_u16_e32 0, v0
	s_cbranch_execz .LBB212_170
; %bb.163:                              ;   in Loop: Header=BB212_15 Depth=1
	v_cmp_ne_u16_e64 s1, 0x80, v0
	v_mov_b64_e32 v[0:1], 0x80000000
	s_and_saveexec_b32 s15, s1
	s_cbranch_execz .LBB212_169
; %bb.164:                              ;   in Loop: Header=BB212_15 Depth=1
	v_mov_b64_e32 v[0:1], 0x7f800001
	v_bfe_u32 v5, v2, 16, 7
	s_mov_b32 s16, exec_lo
	s_delay_alu instid0(VALU_DEP_1)
	v_cmpx_ne_u32_e32 0x7f, v5
	s_cbranch_execz .LBB212_168
; %bb.165:                              ;   in Loop: Header=BB212_15 Depth=1
	scratch_load_b64 v[0:1], off, s32 offset:192 th:TH_LOAD_LU ; 8-byte Folded Reload
	s_wait_loadcnt 0x0
	v_dual_lshrrev_b32 v4, 3, v5 :: v_dual_bitop2_b32 v0, 7, v3 bitop3:0x40
	s_mov_b32 s17, exec_lo
	s_wait_xcnt 0x0
	v_cmpx_gt_u32_e32 8, v5
; %bb.166:                              ;   in Loop: Header=BB212_15 Depth=1
	s_delay_alu instid0(VALU_DEP_2) | instskip(NEXT) | instid1(VALU_DEP_1)
	v_clz_i32_u32_e32 v4, v0
	v_min_u32_e32 v4, 32, v4
	s_delay_alu instid0(VALU_DEP_1) | instskip(NEXT) | instid1(VALU_DEP_1)
	v_subrev_nc_u32_e32 v5, 28, v4
	v_lshlrev_b64_e32 v[6:7], v5, v[0:1]
	s_delay_alu instid0(VALU_DEP_1)
	v_dual_sub_nc_u32 v4, 29, v4 :: v_dual_bitop2_b32 v0, 7, v6 bitop3:0x40
; %bb.167:                              ;   in Loop: Header=BB212_15 Depth=1
	s_or_b32 exec_lo, exec_lo, s17
	s_delay_alu instid0(VALU_DEP_1) | instskip(NEXT) | instid1(VALU_DEP_2)
	v_dual_lshlrev_b32 v3, 24, v3 :: v_dual_lshlrev_b32 v0, 20, v0
	v_lshl_add_u32 v4, v4, 23, 0x3c000000
	s_delay_alu instid0(VALU_DEP_2) | instskip(NEXT) | instid1(VALU_DEP_1)
	v_and_b32_e32 v3, 0x80000000, v3
	v_or3_b32 v0, v0, v3, v4
	v_mov_b32_e32 v3, v1
	scratch_store_b64 off, v[2:3], s32 offset:192 ; 8-byte Folded Spill
.LBB212_168:                            ;   in Loop: Header=BB212_15 Depth=1
	s_wait_xcnt 0x0
	s_or_b32 exec_lo, exec_lo, s16
.LBB212_169:                            ;   in Loop: Header=BB212_15 Depth=1
	s_delay_alu instid0(SALU_CYCLE_1)
	s_or_b32 exec_lo, exec_lo, s15
	scratch_store_b64 off, v[0:1], s32 offset:604 ; 8-byte Folded Spill
.LBB212_170:                            ;   in Loop: Header=BB212_15 Depth=1
	s_wait_xcnt 0x0
	s_or_b32 exec_lo, exec_lo, s14
	s_delay_alu instid0(SALU_CYCLE_1)
	s_mov_b32 s14, exec_lo
	v_cmpx_lt_u32_e32 0xffffff, v2
	s_cbranch_execz .LBB212_178
; %bb.171:                              ;   in Loop: Header=BB212_15 Depth=1
	v_mov_b64_e32 v[0:1], 0x8000000000000000
	v_lshrrev_b32_e32 v3, 24, v2
	s_mov_b32 s15, exec_lo
	scratch_store_b64 off, v[0:1], s32 offset:324 ; 8-byte Folded Spill
	s_wait_xcnt 0x0
	v_cmpx_ne_u32_e32 0x80, v3
	s_cbranch_execz .LBB212_177
; %bb.172:                              ;   in Loop: Header=BB212_15 Depth=1
	v_mov_b64_e32 v[0:1], 0x7f80000100000000
	v_bfe_u32 v4, v2, 24, 7
	s_mov_b32 s16, exec_lo
	scratch_store_b64 off, v[0:1], s32 offset:324 ; 8-byte Folded Spill
	s_wait_xcnt 0x0
	v_cmpx_ne_u32_e32 0x7f, v4
	s_cbranch_execz .LBB212_176
; %bb.173:                              ;   in Loop: Header=BB212_15 Depth=1
	scratch_load_b64 v[0:1], off, s32 offset:192 th:TH_LOAD_LU ; 8-byte Folded Reload
	s_wait_loadcnt 0x0
	v_dual_lshrrev_b32 v2, 3, v4 :: v_dual_bitop2_b32 v0, 7, v3 bitop3:0x40
	s_mov_b32 s17, exec_lo
	s_wait_xcnt 0x0
	v_cmpx_gt_u32_e32 8, v4
; %bb.174:                              ;   in Loop: Header=BB212_15 Depth=1
	s_delay_alu instid0(VALU_DEP_2) | instskip(NEXT) | instid1(VALU_DEP_1)
	v_clz_i32_u32_e32 v2, v0
	v_min_u32_e32 v2, 32, v2
	s_delay_alu instid0(VALU_DEP_1) | instskip(NEXT) | instid1(VALU_DEP_1)
	v_subrev_nc_u32_e32 v4, 28, v2
	v_lshlrev_b64_e32 v[4:5], v4, v[0:1]
	s_delay_alu instid0(VALU_DEP_1)
	v_dual_sub_nc_u32 v2, 29, v2 :: v_dual_bitop2_b32 v0, 7, v4 bitop3:0x40
; %bb.175:                              ;   in Loop: Header=BB212_15 Depth=1
	s_or_b32 exec_lo, exec_lo, s17
	s_delay_alu instid0(VALU_DEP_1) | instskip(NEXT) | instid1(VALU_DEP_2)
	v_dual_lshlrev_b32 v3, 24, v3 :: v_dual_lshlrev_b32 v0, 20, v0
	v_lshl_add_u32 v2, v2, 23, 0x3c000000
	v_mov_b32_e32 v4, v1
	s_delay_alu instid0(VALU_DEP_3) | instskip(NEXT) | instid1(VALU_DEP_1)
	v_and_b32_e32 v3, 0x80000000, v3
	v_or3_b32 v5, v0, v3, v2
	v_mov_b32_e32 v3, v1
	s_clause 0x1
	scratch_store_b64 off, v[4:5], s32 offset:324
	scratch_store_b64 off, v[2:3], s32 offset:192
.LBB212_176:                            ;   in Loop: Header=BB212_15 Depth=1
	s_wait_xcnt 0x0
	s_or_b32 exec_lo, exec_lo, s16
.LBB212_177:                            ;   in Loop: Header=BB212_15 Depth=1
	s_delay_alu instid0(SALU_CYCLE_1)
	s_or_b32 exec_lo, exec_lo, s15
.LBB212_178:                            ;   in Loop: Header=BB212_15 Depth=1
	s_delay_alu instid0(SALU_CYCLE_1)
	s_or_b32 exec_lo, exec_lo, s14
	flat_load_b32 v2, v[68:69] offset:516
	v_mov_b64_e32 v[4:5], 0
	s_mov_b32 s14, exec_lo
	scratch_store_b64 off, v[4:5], s32 offset:332 ; 8-byte Folded Spill
	s_wait_xcnt 0x0
	v_mov_b64_e32 v[4:5], 0
	scratch_store_b64 off, v[4:5], s32 offset:612 ; 8-byte Folded Spill
	s_wait_loadcnt_dscnt 0x0
	v_and_b32_e32 v0, 0xff, v2
	s_wait_xcnt 0x0
	s_delay_alu instid0(VALU_DEP_1)
	v_cmpx_ne_u16_e32 0, v0
	s_cbranch_execz .LBB212_186
; %bb.179:                              ;   in Loop: Header=BB212_15 Depth=1
	v_cmp_ne_u16_e64 s1, 0x80, v0
	v_mov_b64_e32 v[0:1], 0x80000000
	s_and_saveexec_b32 s15, s1
	s_cbranch_execz .LBB212_185
; %bb.180:                              ;   in Loop: Header=BB212_15 Depth=1
	v_mov_b64_e32 v[0:1], 0x7f800001
	v_and_b32_e32 v4, 0x7f, v2
	s_mov_b32 s16, exec_lo
	s_delay_alu instid0(VALU_DEP_1)
	v_cmpx_ne_u32_e32 0x7f, v4
	s_cbranch_execz .LBB212_184
; %bb.181:                              ;   in Loop: Header=BB212_15 Depth=1
	scratch_load_b64 v[0:1], off, s32 offset:192 th:TH_LOAD_LU ; 8-byte Folded Reload
	s_wait_loadcnt 0x0
	v_dual_lshrrev_b32 v3, 3, v4 :: v_dual_bitop2_b32 v0, 7, v2 bitop3:0x40
	s_mov_b32 s17, exec_lo
	s_wait_xcnt 0x0
	v_cmpx_gt_u32_e32 8, v4
; %bb.182:                              ;   in Loop: Header=BB212_15 Depth=1
	s_delay_alu instid0(VALU_DEP_2) | instskip(NEXT) | instid1(VALU_DEP_1)
	v_clz_i32_u32_e32 v3, v0
	v_min_u32_e32 v3, 32, v3
	s_delay_alu instid0(VALU_DEP_1) | instskip(NEXT) | instid1(VALU_DEP_1)
	v_subrev_nc_u32_e32 v4, 28, v3
	v_lshlrev_b64_e32 v[4:5], v4, v[0:1]
	s_delay_alu instid0(VALU_DEP_1)
	v_dual_sub_nc_u32 v3, 29, v3 :: v_dual_bitop2_b32 v0, 7, v4 bitop3:0x40
; %bb.183:                              ;   in Loop: Header=BB212_15 Depth=1
	s_or_b32 exec_lo, exec_lo, s17
	s_delay_alu instid0(VALU_DEP_1) | instskip(NEXT) | instid1(VALU_DEP_2)
	v_dual_lshlrev_b32 v4, 24, v2 :: v_dual_lshlrev_b32 v0, 20, v0
	v_lshl_add_u32 v3, v3, 23, 0x3c000000
	s_delay_alu instid0(VALU_DEP_2) | instskip(NEXT) | instid1(VALU_DEP_1)
	v_and_b32_e32 v4, 0x80000000, v4
	v_or3_b32 v0, v0, v4, v3
	v_mov_b32_e32 v3, v1
	scratch_store_b64 off, v[2:3], s32 offset:192 ; 8-byte Folded Spill
.LBB212_184:                            ;   in Loop: Header=BB212_15 Depth=1
	s_wait_xcnt 0x0
	s_or_b32 exec_lo, exec_lo, s16
.LBB212_185:                            ;   in Loop: Header=BB212_15 Depth=1
	s_delay_alu instid0(SALU_CYCLE_1)
	s_or_b32 exec_lo, exec_lo, s15
	scratch_store_b64 off, v[0:1], s32 offset:612 ; 8-byte Folded Spill
.LBB212_186:                            ;   in Loop: Header=BB212_15 Depth=1
	s_wait_xcnt 0x0
	s_or_b32 exec_lo, exec_lo, s14
	v_lshrrev_b16 v0, 8, v2
	s_mov_b32 s14, exec_lo
	s_delay_alu instid0(VALU_DEP_1)
	v_cmpx_ne_u16_e32 0, v0
	s_cbranch_execz .LBB212_194
; %bb.187:                              ;   in Loop: Header=BB212_15 Depth=1
	v_mov_b64_e32 v[4:5], 0x8000000000000000
	s_mov_b32 s15, exec_lo
	scratch_store_b64 off, v[4:5], s32 offset:332 ; 8-byte Folded Spill
	s_wait_xcnt 0x0
	v_cmpx_ne_u16_e32 0x80, v0
	s_cbranch_execz .LBB212_193
; %bb.188:                              ;   in Loop: Header=BB212_15 Depth=1
	v_and_b32_e32 v0, 0xffff, v0
	v_mov_b64_e32 v[6:7], 0x7f80000100000000
	s_mov_b32 s16, exec_lo
	s_delay_alu instid0(VALU_DEP_2)
	v_and_b32_e32 v4, 0x7f, v0
	scratch_store_b64 off, v[6:7], s32 offset:332 ; 8-byte Folded Spill
	s_wait_xcnt 0x0
	v_cmpx_ne_u32_e32 0x7f, v4
	s_cbranch_execz .LBB212_192
; %bb.189:                              ;   in Loop: Header=BB212_15 Depth=1
	scratch_load_b64 v[6:7], off, s32 offset:192 th:TH_LOAD_LU ; 8-byte Folded Reload
	v_lshrrev_b32_e32 v3, 3, v4
	s_mov_b32 s17, exec_lo
	s_wait_loadcnt 0x0
	v_dual_mov_b32 v1, v7 :: v_dual_bitop2_b32 v0, 7, v0 bitop3:0x40
	s_wait_xcnt 0x0
	v_cmpx_gt_u32_e32 8, v4
; %bb.190:                              ;   in Loop: Header=BB212_15 Depth=1
	s_delay_alu instid0(VALU_DEP_2) | instskip(NEXT) | instid1(VALU_DEP_1)
	v_clz_i32_u32_e32 v3, v0
	v_min_u32_e32 v3, 32, v3
	s_delay_alu instid0(VALU_DEP_1) | instskip(NEXT) | instid1(VALU_DEP_1)
	v_subrev_nc_u32_e32 v4, 28, v3
	v_lshlrev_b64_e32 v[4:5], v4, v[0:1]
	s_delay_alu instid0(VALU_DEP_1)
	v_dual_sub_nc_u32 v3, 29, v3 :: v_dual_bitop2_b32 v0, 7, v4 bitop3:0x40
; %bb.191:                              ;   in Loop: Header=BB212_15 Depth=1
	s_or_b32 exec_lo, exec_lo, s17
	s_delay_alu instid0(VALU_DEP_1) | instskip(NEXT) | instid1(VALU_DEP_2)
	v_dual_lshlrev_b32 v4, 16, v2 :: v_dual_lshlrev_b32 v0, 20, v0
	v_lshl_add_u32 v3, v3, 23, 0x3c000000
	s_delay_alu instid0(VALU_DEP_2) | instskip(NEXT) | instid1(VALU_DEP_1)
	v_and_b32_e32 v4, 0x80000000, v4
	v_or3_b32 v5, v0, v4, v3
	v_dual_mov_b32 v3, v1 :: v_dual_mov_b32 v4, v1
	s_clause 0x1
	scratch_store_b64 off, v[2:3], s32 offset:192
	scratch_store_b64 off, v[4:5], s32 offset:332
.LBB212_192:                            ;   in Loop: Header=BB212_15 Depth=1
	s_wait_xcnt 0x0
	s_or_b32 exec_lo, exec_lo, s16
.LBB212_193:                            ;   in Loop: Header=BB212_15 Depth=1
	s_delay_alu instid0(SALU_CYCLE_1)
	s_or_b32 exec_lo, exec_lo, s15
.LBB212_194:                            ;   in Loop: Header=BB212_15 Depth=1
	s_delay_alu instid0(SALU_CYCLE_1) | instskip(SKIP_3) | instid1(VALU_DEP_1)
	s_or_b32 exec_lo, exec_lo, s14
	v_mov_b64_e32 v[4:5], 0
	v_lshrrev_b32_e32 v3, 16, v2
	s_mov_b32 s14, exec_lo
	v_and_b32_e32 v0, 0xff, v3
	scratch_store_b64 off, v[4:5], s32 offset:340 ; 8-byte Folded Spill
	s_wait_xcnt 0x0
	v_mov_b64_e32 v[4:5], 0
	scratch_store_b64 off, v[4:5], s32 offset:620 ; 8-byte Folded Spill
	s_wait_xcnt 0x0
	v_cmpx_ne_u16_e32 0, v0
	s_cbranch_execz .LBB212_202
; %bb.195:                              ;   in Loop: Header=BB212_15 Depth=1
	v_cmp_ne_u16_e64 s1, 0x80, v0
	v_mov_b64_e32 v[0:1], 0x80000000
	s_and_saveexec_b32 s15, s1
	s_cbranch_execz .LBB212_201
; %bb.196:                              ;   in Loop: Header=BB212_15 Depth=1
	v_mov_b64_e32 v[0:1], 0x7f800001
	v_bfe_u32 v5, v2, 16, 7
	s_mov_b32 s16, exec_lo
	s_delay_alu instid0(VALU_DEP_1)
	v_cmpx_ne_u32_e32 0x7f, v5
	s_cbranch_execz .LBB212_200
; %bb.197:                              ;   in Loop: Header=BB212_15 Depth=1
	scratch_load_b64 v[0:1], off, s32 offset:192 th:TH_LOAD_LU ; 8-byte Folded Reload
	s_wait_loadcnt 0x0
	v_dual_lshrrev_b32 v4, 3, v5 :: v_dual_bitop2_b32 v0, 7, v3 bitop3:0x40
	s_mov_b32 s17, exec_lo
	s_wait_xcnt 0x0
	v_cmpx_gt_u32_e32 8, v5
; %bb.198:                              ;   in Loop: Header=BB212_15 Depth=1
	s_delay_alu instid0(VALU_DEP_2) | instskip(NEXT) | instid1(VALU_DEP_1)
	v_clz_i32_u32_e32 v4, v0
	v_min_u32_e32 v4, 32, v4
	s_delay_alu instid0(VALU_DEP_1) | instskip(NEXT) | instid1(VALU_DEP_1)
	v_subrev_nc_u32_e32 v5, 28, v4
	v_lshlrev_b64_e32 v[6:7], v5, v[0:1]
	s_delay_alu instid0(VALU_DEP_1)
	v_dual_sub_nc_u32 v4, 29, v4 :: v_dual_bitop2_b32 v0, 7, v6 bitop3:0x40
; %bb.199:                              ;   in Loop: Header=BB212_15 Depth=1
	s_or_b32 exec_lo, exec_lo, s17
	s_delay_alu instid0(VALU_DEP_1) | instskip(NEXT) | instid1(VALU_DEP_2)
	v_dual_lshlrev_b32 v3, 24, v3 :: v_dual_lshlrev_b32 v0, 20, v0
	v_lshl_add_u32 v4, v4, 23, 0x3c000000
	s_delay_alu instid0(VALU_DEP_2) | instskip(NEXT) | instid1(VALU_DEP_1)
	v_and_b32_e32 v3, 0x80000000, v3
	v_or3_b32 v0, v0, v3, v4
	v_mov_b32_e32 v3, v1
	scratch_store_b64 off, v[2:3], s32 offset:192 ; 8-byte Folded Spill
.LBB212_200:                            ;   in Loop: Header=BB212_15 Depth=1
	s_wait_xcnt 0x0
	s_or_b32 exec_lo, exec_lo, s16
.LBB212_201:                            ;   in Loop: Header=BB212_15 Depth=1
	s_delay_alu instid0(SALU_CYCLE_1)
	s_or_b32 exec_lo, exec_lo, s15
	scratch_store_b64 off, v[0:1], s32 offset:620 ; 8-byte Folded Spill
.LBB212_202:                            ;   in Loop: Header=BB212_15 Depth=1
	s_wait_xcnt 0x0
	s_or_b32 exec_lo, exec_lo, s14
	s_delay_alu instid0(SALU_CYCLE_1)
	s_mov_b32 s14, exec_lo
	v_cmpx_lt_u32_e32 0xffffff, v2
	s_cbranch_execz .LBB212_210
; %bb.203:                              ;   in Loop: Header=BB212_15 Depth=1
	v_mov_b64_e32 v[0:1], 0x8000000000000000
	v_lshrrev_b32_e32 v3, 24, v2
	s_mov_b32 s15, exec_lo
	scratch_store_b64 off, v[0:1], s32 offset:340 ; 8-byte Folded Spill
	s_wait_xcnt 0x0
	v_cmpx_ne_u32_e32 0x80, v3
	s_cbranch_execz .LBB212_209
; %bb.204:                              ;   in Loop: Header=BB212_15 Depth=1
	v_mov_b64_e32 v[0:1], 0x7f80000100000000
	v_bfe_u32 v4, v2, 24, 7
	s_mov_b32 s16, exec_lo
	scratch_store_b64 off, v[0:1], s32 offset:340 ; 8-byte Folded Spill
	s_wait_xcnt 0x0
	v_cmpx_ne_u32_e32 0x7f, v4
	s_cbranch_execz .LBB212_208
; %bb.205:                              ;   in Loop: Header=BB212_15 Depth=1
	scratch_load_b64 v[0:1], off, s32 offset:192 th:TH_LOAD_LU ; 8-byte Folded Reload
	s_wait_loadcnt 0x0
	v_dual_lshrrev_b32 v2, 3, v4 :: v_dual_bitop2_b32 v0, 7, v3 bitop3:0x40
	s_mov_b32 s17, exec_lo
	s_wait_xcnt 0x0
	v_cmpx_gt_u32_e32 8, v4
; %bb.206:                              ;   in Loop: Header=BB212_15 Depth=1
	s_delay_alu instid0(VALU_DEP_2) | instskip(NEXT) | instid1(VALU_DEP_1)
	v_clz_i32_u32_e32 v2, v0
	v_min_u32_e32 v2, 32, v2
	s_delay_alu instid0(VALU_DEP_1) | instskip(NEXT) | instid1(VALU_DEP_1)
	v_subrev_nc_u32_e32 v4, 28, v2
	v_lshlrev_b64_e32 v[4:5], v4, v[0:1]
	s_delay_alu instid0(VALU_DEP_1)
	v_dual_sub_nc_u32 v2, 29, v2 :: v_dual_bitop2_b32 v0, 7, v4 bitop3:0x40
; %bb.207:                              ;   in Loop: Header=BB212_15 Depth=1
	s_or_b32 exec_lo, exec_lo, s17
	s_delay_alu instid0(VALU_DEP_1) | instskip(NEXT) | instid1(VALU_DEP_2)
	v_dual_lshlrev_b32 v3, 24, v3 :: v_dual_lshlrev_b32 v0, 20, v0
	v_lshl_add_u32 v2, v2, 23, 0x3c000000
	v_mov_b32_e32 v4, v1
	s_delay_alu instid0(VALU_DEP_3) | instskip(NEXT) | instid1(VALU_DEP_1)
	v_and_b32_e32 v3, 0x80000000, v3
	v_or3_b32 v5, v0, v3, v2
	v_mov_b32_e32 v3, v1
	s_clause 0x1
	scratch_store_b64 off, v[4:5], s32 offset:340
	scratch_store_b64 off, v[2:3], s32 offset:192
.LBB212_208:                            ;   in Loop: Header=BB212_15 Depth=1
	s_wait_xcnt 0x0
	s_or_b32 exec_lo, exec_lo, s16
.LBB212_209:                            ;   in Loop: Header=BB212_15 Depth=1
	s_delay_alu instid0(SALU_CYCLE_1)
	s_or_b32 exec_lo, exec_lo, s15
.LBB212_210:                            ;   in Loop: Header=BB212_15 Depth=1
	s_delay_alu instid0(SALU_CYCLE_1)
	s_or_b32 exec_lo, exec_lo, s14
	flat_load_b32 v2, v[68:69] offset:520
	v_mov_b64_e32 v[4:5], 0
	s_mov_b32 s14, exec_lo
	scratch_store_b64 off, v[4:5], s32 offset:348 ; 8-byte Folded Spill
	s_wait_xcnt 0x0
	v_mov_b64_e32 v[4:5], 0
	scratch_store_b64 off, v[4:5], s32 offset:628 ; 8-byte Folded Spill
	s_wait_loadcnt_dscnt 0x0
	v_and_b32_e32 v0, 0xff, v2
	s_wait_xcnt 0x0
	s_delay_alu instid0(VALU_DEP_1)
	v_cmpx_ne_u16_e32 0, v0
	s_cbranch_execz .LBB212_218
; %bb.211:                              ;   in Loop: Header=BB212_15 Depth=1
	v_cmp_ne_u16_e64 s1, 0x80, v0
	v_mov_b64_e32 v[0:1], 0x80000000
	s_and_saveexec_b32 s15, s1
	s_cbranch_execz .LBB212_217
; %bb.212:                              ;   in Loop: Header=BB212_15 Depth=1
	v_mov_b64_e32 v[0:1], 0x7f800001
	v_and_b32_e32 v4, 0x7f, v2
	s_mov_b32 s16, exec_lo
	s_delay_alu instid0(VALU_DEP_1)
	v_cmpx_ne_u32_e32 0x7f, v4
	s_cbranch_execz .LBB212_216
; %bb.213:                              ;   in Loop: Header=BB212_15 Depth=1
	scratch_load_b64 v[0:1], off, s32 offset:192 th:TH_LOAD_LU ; 8-byte Folded Reload
	s_wait_loadcnt 0x0
	v_dual_lshrrev_b32 v3, 3, v4 :: v_dual_bitop2_b32 v0, 7, v2 bitop3:0x40
	s_mov_b32 s17, exec_lo
	s_wait_xcnt 0x0
	v_cmpx_gt_u32_e32 8, v4
; %bb.214:                              ;   in Loop: Header=BB212_15 Depth=1
	s_delay_alu instid0(VALU_DEP_2) | instskip(NEXT) | instid1(VALU_DEP_1)
	v_clz_i32_u32_e32 v3, v0
	v_min_u32_e32 v3, 32, v3
	s_delay_alu instid0(VALU_DEP_1) | instskip(NEXT) | instid1(VALU_DEP_1)
	v_subrev_nc_u32_e32 v4, 28, v3
	v_lshlrev_b64_e32 v[4:5], v4, v[0:1]
	s_delay_alu instid0(VALU_DEP_1)
	v_dual_sub_nc_u32 v3, 29, v3 :: v_dual_bitop2_b32 v0, 7, v4 bitop3:0x40
; %bb.215:                              ;   in Loop: Header=BB212_15 Depth=1
	s_or_b32 exec_lo, exec_lo, s17
	s_delay_alu instid0(VALU_DEP_1) | instskip(NEXT) | instid1(VALU_DEP_2)
	v_dual_lshlrev_b32 v4, 24, v2 :: v_dual_lshlrev_b32 v0, 20, v0
	v_lshl_add_u32 v3, v3, 23, 0x3c000000
	s_delay_alu instid0(VALU_DEP_2) | instskip(NEXT) | instid1(VALU_DEP_1)
	v_and_b32_e32 v4, 0x80000000, v4
	v_or3_b32 v0, v0, v4, v3
	v_mov_b32_e32 v3, v1
	scratch_store_b64 off, v[2:3], s32 offset:192 ; 8-byte Folded Spill
.LBB212_216:                            ;   in Loop: Header=BB212_15 Depth=1
	s_wait_xcnt 0x0
	s_or_b32 exec_lo, exec_lo, s16
.LBB212_217:                            ;   in Loop: Header=BB212_15 Depth=1
	s_delay_alu instid0(SALU_CYCLE_1)
	s_or_b32 exec_lo, exec_lo, s15
	scratch_store_b64 off, v[0:1], s32 offset:628 ; 8-byte Folded Spill
.LBB212_218:                            ;   in Loop: Header=BB212_15 Depth=1
	s_wait_xcnt 0x0
	s_or_b32 exec_lo, exec_lo, s14
	v_lshrrev_b16 v0, 8, v2
	s_mov_b32 s14, exec_lo
	s_delay_alu instid0(VALU_DEP_1)
	v_cmpx_ne_u16_e32 0, v0
	s_cbranch_execz .LBB212_226
; %bb.219:                              ;   in Loop: Header=BB212_15 Depth=1
	v_mov_b64_e32 v[4:5], 0x8000000000000000
	s_mov_b32 s15, exec_lo
	scratch_store_b64 off, v[4:5], s32 offset:348 ; 8-byte Folded Spill
	s_wait_xcnt 0x0
	v_cmpx_ne_u16_e32 0x80, v0
	s_cbranch_execz .LBB212_225
; %bb.220:                              ;   in Loop: Header=BB212_15 Depth=1
	v_and_b32_e32 v0, 0xffff, v0
	v_mov_b64_e32 v[6:7], 0x7f80000100000000
	s_mov_b32 s16, exec_lo
	s_delay_alu instid0(VALU_DEP_2)
	v_and_b32_e32 v4, 0x7f, v0
	scratch_store_b64 off, v[6:7], s32 offset:348 ; 8-byte Folded Spill
	s_wait_xcnt 0x0
	v_cmpx_ne_u32_e32 0x7f, v4
	s_cbranch_execz .LBB212_224
; %bb.221:                              ;   in Loop: Header=BB212_15 Depth=1
	scratch_load_b64 v[6:7], off, s32 offset:192 th:TH_LOAD_LU ; 8-byte Folded Reload
	v_lshrrev_b32_e32 v3, 3, v4
	s_mov_b32 s17, exec_lo
	s_wait_loadcnt 0x0
	v_dual_mov_b32 v1, v7 :: v_dual_bitop2_b32 v0, 7, v0 bitop3:0x40
	s_wait_xcnt 0x0
	v_cmpx_gt_u32_e32 8, v4
; %bb.222:                              ;   in Loop: Header=BB212_15 Depth=1
	s_delay_alu instid0(VALU_DEP_2) | instskip(NEXT) | instid1(VALU_DEP_1)
	v_clz_i32_u32_e32 v3, v0
	v_min_u32_e32 v3, 32, v3
	s_delay_alu instid0(VALU_DEP_1) | instskip(NEXT) | instid1(VALU_DEP_1)
	v_subrev_nc_u32_e32 v4, 28, v3
	v_lshlrev_b64_e32 v[4:5], v4, v[0:1]
	s_delay_alu instid0(VALU_DEP_1)
	v_dual_sub_nc_u32 v3, 29, v3 :: v_dual_bitop2_b32 v0, 7, v4 bitop3:0x40
; %bb.223:                              ;   in Loop: Header=BB212_15 Depth=1
	s_or_b32 exec_lo, exec_lo, s17
	s_delay_alu instid0(VALU_DEP_1) | instskip(NEXT) | instid1(VALU_DEP_2)
	v_dual_lshlrev_b32 v4, 16, v2 :: v_dual_lshlrev_b32 v0, 20, v0
	v_lshl_add_u32 v3, v3, 23, 0x3c000000
	s_delay_alu instid0(VALU_DEP_2) | instskip(NEXT) | instid1(VALU_DEP_1)
	v_and_b32_e32 v4, 0x80000000, v4
	v_or3_b32 v5, v0, v4, v3
	v_dual_mov_b32 v3, v1 :: v_dual_mov_b32 v4, v1
	s_clause 0x1
	scratch_store_b64 off, v[2:3], s32 offset:192
	scratch_store_b64 off, v[4:5], s32 offset:348
.LBB212_224:                            ;   in Loop: Header=BB212_15 Depth=1
	s_wait_xcnt 0x0
	s_or_b32 exec_lo, exec_lo, s16
.LBB212_225:                            ;   in Loop: Header=BB212_15 Depth=1
	s_delay_alu instid0(SALU_CYCLE_1)
	s_or_b32 exec_lo, exec_lo, s15
.LBB212_226:                            ;   in Loop: Header=BB212_15 Depth=1
	s_delay_alu instid0(SALU_CYCLE_1) | instskip(SKIP_3) | instid1(VALU_DEP_1)
	s_or_b32 exec_lo, exec_lo, s14
	v_mov_b64_e32 v[4:5], 0
	v_lshrrev_b32_e32 v3, 16, v2
	s_mov_b32 s14, exec_lo
	v_and_b32_e32 v0, 0xff, v3
	scratch_store_b64 off, v[4:5], s32 offset:356 ; 8-byte Folded Spill
	s_wait_xcnt 0x0
	v_mov_b64_e32 v[4:5], 0
	scratch_store_b64 off, v[4:5], s32 offset:636 ; 8-byte Folded Spill
	s_wait_xcnt 0x0
	v_cmpx_ne_u16_e32 0, v0
	s_cbranch_execz .LBB212_234
; %bb.227:                              ;   in Loop: Header=BB212_15 Depth=1
	v_cmp_ne_u16_e64 s1, 0x80, v0
	v_mov_b64_e32 v[0:1], 0x80000000
	s_and_saveexec_b32 s15, s1
	s_cbranch_execz .LBB212_233
; %bb.228:                              ;   in Loop: Header=BB212_15 Depth=1
	v_mov_b64_e32 v[0:1], 0x7f800001
	v_bfe_u32 v5, v2, 16, 7
	s_mov_b32 s16, exec_lo
	s_delay_alu instid0(VALU_DEP_1)
	v_cmpx_ne_u32_e32 0x7f, v5
	s_cbranch_execz .LBB212_232
; %bb.229:                              ;   in Loop: Header=BB212_15 Depth=1
	scratch_load_b64 v[0:1], off, s32 offset:192 th:TH_LOAD_LU ; 8-byte Folded Reload
	s_wait_loadcnt 0x0
	v_dual_lshrrev_b32 v4, 3, v5 :: v_dual_bitop2_b32 v0, 7, v3 bitop3:0x40
	s_mov_b32 s17, exec_lo
	s_wait_xcnt 0x0
	v_cmpx_gt_u32_e32 8, v5
; %bb.230:                              ;   in Loop: Header=BB212_15 Depth=1
	s_delay_alu instid0(VALU_DEP_2) | instskip(NEXT) | instid1(VALU_DEP_1)
	v_clz_i32_u32_e32 v4, v0
	v_min_u32_e32 v4, 32, v4
	s_delay_alu instid0(VALU_DEP_1) | instskip(NEXT) | instid1(VALU_DEP_1)
	v_subrev_nc_u32_e32 v5, 28, v4
	v_lshlrev_b64_e32 v[6:7], v5, v[0:1]
	s_delay_alu instid0(VALU_DEP_1)
	v_dual_sub_nc_u32 v4, 29, v4 :: v_dual_bitop2_b32 v0, 7, v6 bitop3:0x40
; %bb.231:                              ;   in Loop: Header=BB212_15 Depth=1
	s_or_b32 exec_lo, exec_lo, s17
	s_delay_alu instid0(VALU_DEP_1) | instskip(NEXT) | instid1(VALU_DEP_2)
	v_dual_lshlrev_b32 v3, 24, v3 :: v_dual_lshlrev_b32 v0, 20, v0
	v_lshl_add_u32 v4, v4, 23, 0x3c000000
	s_delay_alu instid0(VALU_DEP_2) | instskip(NEXT) | instid1(VALU_DEP_1)
	v_and_b32_e32 v3, 0x80000000, v3
	v_or3_b32 v0, v0, v3, v4
	v_mov_b32_e32 v3, v1
	scratch_store_b64 off, v[2:3], s32 offset:192 ; 8-byte Folded Spill
.LBB212_232:                            ;   in Loop: Header=BB212_15 Depth=1
	s_wait_xcnt 0x0
	s_or_b32 exec_lo, exec_lo, s16
.LBB212_233:                            ;   in Loop: Header=BB212_15 Depth=1
	s_delay_alu instid0(SALU_CYCLE_1)
	s_or_b32 exec_lo, exec_lo, s15
	scratch_store_b64 off, v[0:1], s32 offset:636 ; 8-byte Folded Spill
.LBB212_234:                            ;   in Loop: Header=BB212_15 Depth=1
	s_wait_xcnt 0x0
	s_or_b32 exec_lo, exec_lo, s14
	s_delay_alu instid0(SALU_CYCLE_1)
	s_mov_b32 s14, exec_lo
	v_cmpx_lt_u32_e32 0xffffff, v2
	s_cbranch_execz .LBB212_242
; %bb.235:                              ;   in Loop: Header=BB212_15 Depth=1
	v_mov_b64_e32 v[0:1], 0x8000000000000000
	v_lshrrev_b32_e32 v3, 24, v2
	s_mov_b32 s15, exec_lo
	scratch_store_b64 off, v[0:1], s32 offset:356 ; 8-byte Folded Spill
	s_wait_xcnt 0x0
	v_cmpx_ne_u32_e32 0x80, v3
	s_cbranch_execz .LBB212_241
; %bb.236:                              ;   in Loop: Header=BB212_15 Depth=1
	v_mov_b64_e32 v[0:1], 0x7f80000100000000
	v_bfe_u32 v4, v2, 24, 7
	s_mov_b32 s16, exec_lo
	scratch_store_b64 off, v[0:1], s32 offset:356 ; 8-byte Folded Spill
	s_wait_xcnt 0x0
	v_cmpx_ne_u32_e32 0x7f, v4
	s_cbranch_execz .LBB212_240
; %bb.237:                              ;   in Loop: Header=BB212_15 Depth=1
	scratch_load_b64 v[0:1], off, s32 offset:192 th:TH_LOAD_LU ; 8-byte Folded Reload
	s_wait_loadcnt 0x0
	v_dual_lshrrev_b32 v2, 3, v4 :: v_dual_bitop2_b32 v0, 7, v3 bitop3:0x40
	s_mov_b32 s17, exec_lo
	s_wait_xcnt 0x0
	v_cmpx_gt_u32_e32 8, v4
; %bb.238:                              ;   in Loop: Header=BB212_15 Depth=1
	s_delay_alu instid0(VALU_DEP_2) | instskip(NEXT) | instid1(VALU_DEP_1)
	v_clz_i32_u32_e32 v2, v0
	v_min_u32_e32 v2, 32, v2
	s_delay_alu instid0(VALU_DEP_1) | instskip(NEXT) | instid1(VALU_DEP_1)
	v_subrev_nc_u32_e32 v4, 28, v2
	v_lshlrev_b64_e32 v[4:5], v4, v[0:1]
	s_delay_alu instid0(VALU_DEP_1)
	v_dual_sub_nc_u32 v2, 29, v2 :: v_dual_bitop2_b32 v0, 7, v4 bitop3:0x40
; %bb.239:                              ;   in Loop: Header=BB212_15 Depth=1
	s_or_b32 exec_lo, exec_lo, s17
	s_delay_alu instid0(VALU_DEP_1) | instskip(NEXT) | instid1(VALU_DEP_2)
	v_dual_lshlrev_b32 v3, 24, v3 :: v_dual_lshlrev_b32 v0, 20, v0
	v_lshl_add_u32 v2, v2, 23, 0x3c000000
	v_mov_b32_e32 v4, v1
	s_delay_alu instid0(VALU_DEP_3) | instskip(NEXT) | instid1(VALU_DEP_1)
	v_and_b32_e32 v3, 0x80000000, v3
	v_or3_b32 v5, v0, v3, v2
	v_mov_b32_e32 v3, v1
	s_clause 0x1
	scratch_store_b64 off, v[4:5], s32 offset:356
	scratch_store_b64 off, v[2:3], s32 offset:192
.LBB212_240:                            ;   in Loop: Header=BB212_15 Depth=1
	s_wait_xcnt 0x0
	s_or_b32 exec_lo, exec_lo, s16
.LBB212_241:                            ;   in Loop: Header=BB212_15 Depth=1
	s_delay_alu instid0(SALU_CYCLE_1)
	s_or_b32 exec_lo, exec_lo, s15
.LBB212_242:                            ;   in Loop: Header=BB212_15 Depth=1
	s_delay_alu instid0(SALU_CYCLE_1)
	s_or_b32 exec_lo, exec_lo, s14
	flat_load_b32 v2, v[68:69] offset:524
	v_mov_b64_e32 v[4:5], 0
	s_mov_b32 s14, exec_lo
	scratch_store_b64 off, v[4:5], s32 offset:364 ; 8-byte Folded Spill
	s_wait_xcnt 0x0
	v_mov_b64_e32 v[4:5], 0
	scratch_store_b64 off, v[4:5], s32 offset:644 ; 8-byte Folded Spill
	s_wait_loadcnt_dscnt 0x0
	v_and_b32_e32 v0, 0xff, v2
	s_wait_xcnt 0x0
	s_delay_alu instid0(VALU_DEP_1)
	v_cmpx_ne_u16_e32 0, v0
	s_cbranch_execz .LBB212_250
; %bb.243:                              ;   in Loop: Header=BB212_15 Depth=1
	v_cmp_ne_u16_e64 s1, 0x80, v0
	v_mov_b64_e32 v[0:1], 0x80000000
	s_and_saveexec_b32 s15, s1
	s_cbranch_execz .LBB212_249
; %bb.244:                              ;   in Loop: Header=BB212_15 Depth=1
	v_mov_b64_e32 v[0:1], 0x7f800001
	v_and_b32_e32 v4, 0x7f, v2
	s_mov_b32 s16, exec_lo
	s_delay_alu instid0(VALU_DEP_1)
	v_cmpx_ne_u32_e32 0x7f, v4
	s_cbranch_execz .LBB212_248
; %bb.245:                              ;   in Loop: Header=BB212_15 Depth=1
	scratch_load_b64 v[0:1], off, s32 offset:192 th:TH_LOAD_LU ; 8-byte Folded Reload
	s_wait_loadcnt 0x0
	v_dual_lshrrev_b32 v3, 3, v4 :: v_dual_bitop2_b32 v0, 7, v2 bitop3:0x40
	s_mov_b32 s17, exec_lo
	s_wait_xcnt 0x0
	v_cmpx_gt_u32_e32 8, v4
; %bb.246:                              ;   in Loop: Header=BB212_15 Depth=1
	s_delay_alu instid0(VALU_DEP_2) | instskip(NEXT) | instid1(VALU_DEP_1)
	v_clz_i32_u32_e32 v3, v0
	v_min_u32_e32 v3, 32, v3
	s_delay_alu instid0(VALU_DEP_1) | instskip(NEXT) | instid1(VALU_DEP_1)
	v_subrev_nc_u32_e32 v4, 28, v3
	v_lshlrev_b64_e32 v[4:5], v4, v[0:1]
	s_delay_alu instid0(VALU_DEP_1)
	v_dual_sub_nc_u32 v3, 29, v3 :: v_dual_bitop2_b32 v0, 7, v4 bitop3:0x40
; %bb.247:                              ;   in Loop: Header=BB212_15 Depth=1
	s_or_b32 exec_lo, exec_lo, s17
	s_delay_alu instid0(VALU_DEP_1) | instskip(NEXT) | instid1(VALU_DEP_2)
	v_dual_lshlrev_b32 v4, 24, v2 :: v_dual_lshlrev_b32 v0, 20, v0
	v_lshl_add_u32 v3, v3, 23, 0x3c000000
	s_delay_alu instid0(VALU_DEP_2) | instskip(NEXT) | instid1(VALU_DEP_1)
	v_and_b32_e32 v4, 0x80000000, v4
	v_or3_b32 v0, v0, v4, v3
	v_mov_b32_e32 v3, v1
	scratch_store_b64 off, v[2:3], s32 offset:192 ; 8-byte Folded Spill
.LBB212_248:                            ;   in Loop: Header=BB212_15 Depth=1
	s_wait_xcnt 0x0
	s_or_b32 exec_lo, exec_lo, s16
.LBB212_249:                            ;   in Loop: Header=BB212_15 Depth=1
	s_delay_alu instid0(SALU_CYCLE_1)
	s_or_b32 exec_lo, exec_lo, s15
	scratch_store_b64 off, v[0:1], s32 offset:644 ; 8-byte Folded Spill
.LBB212_250:                            ;   in Loop: Header=BB212_15 Depth=1
	s_wait_xcnt 0x0
	s_or_b32 exec_lo, exec_lo, s14
	v_lshrrev_b16 v0, 8, v2
	s_mov_b32 s14, exec_lo
	s_delay_alu instid0(VALU_DEP_1)
	v_cmpx_ne_u16_e32 0, v0
	s_cbranch_execz .LBB212_258
; %bb.251:                              ;   in Loop: Header=BB212_15 Depth=1
	v_mov_b64_e32 v[4:5], 0x8000000000000000
	s_mov_b32 s15, exec_lo
	scratch_store_b64 off, v[4:5], s32 offset:364 ; 8-byte Folded Spill
	s_wait_xcnt 0x0
	v_cmpx_ne_u16_e32 0x80, v0
	s_cbranch_execz .LBB212_257
; %bb.252:                              ;   in Loop: Header=BB212_15 Depth=1
	v_and_b32_e32 v0, 0xffff, v0
	v_mov_b64_e32 v[6:7], 0x7f80000100000000
	s_mov_b32 s16, exec_lo
	s_delay_alu instid0(VALU_DEP_2)
	v_and_b32_e32 v4, 0x7f, v0
	scratch_store_b64 off, v[6:7], s32 offset:364 ; 8-byte Folded Spill
	s_wait_xcnt 0x0
	v_cmpx_ne_u32_e32 0x7f, v4
	s_cbranch_execz .LBB212_256
; %bb.253:                              ;   in Loop: Header=BB212_15 Depth=1
	scratch_load_b64 v[6:7], off, s32 offset:192 th:TH_LOAD_LU ; 8-byte Folded Reload
	v_lshrrev_b32_e32 v3, 3, v4
	s_mov_b32 s17, exec_lo
	s_wait_loadcnt 0x0
	v_dual_mov_b32 v1, v7 :: v_dual_bitop2_b32 v0, 7, v0 bitop3:0x40
	s_wait_xcnt 0x0
	v_cmpx_gt_u32_e32 8, v4
; %bb.254:                              ;   in Loop: Header=BB212_15 Depth=1
	s_delay_alu instid0(VALU_DEP_2) | instskip(NEXT) | instid1(VALU_DEP_1)
	v_clz_i32_u32_e32 v3, v0
	v_min_u32_e32 v3, 32, v3
	s_delay_alu instid0(VALU_DEP_1) | instskip(NEXT) | instid1(VALU_DEP_1)
	v_subrev_nc_u32_e32 v4, 28, v3
	v_lshlrev_b64_e32 v[4:5], v4, v[0:1]
	s_delay_alu instid0(VALU_DEP_1)
	v_dual_sub_nc_u32 v3, 29, v3 :: v_dual_bitop2_b32 v0, 7, v4 bitop3:0x40
; %bb.255:                              ;   in Loop: Header=BB212_15 Depth=1
	s_or_b32 exec_lo, exec_lo, s17
	s_delay_alu instid0(VALU_DEP_1) | instskip(NEXT) | instid1(VALU_DEP_2)
	v_dual_lshlrev_b32 v4, 16, v2 :: v_dual_lshlrev_b32 v0, 20, v0
	v_lshl_add_u32 v3, v3, 23, 0x3c000000
	s_delay_alu instid0(VALU_DEP_2) | instskip(NEXT) | instid1(VALU_DEP_1)
	v_and_b32_e32 v4, 0x80000000, v4
	v_or3_b32 v5, v0, v4, v3
	v_dual_mov_b32 v3, v1 :: v_dual_mov_b32 v4, v1
	s_clause 0x1
	scratch_store_b64 off, v[2:3], s32 offset:192
	scratch_store_b64 off, v[4:5], s32 offset:364
.LBB212_256:                            ;   in Loop: Header=BB212_15 Depth=1
	s_wait_xcnt 0x0
	s_or_b32 exec_lo, exec_lo, s16
.LBB212_257:                            ;   in Loop: Header=BB212_15 Depth=1
	s_delay_alu instid0(SALU_CYCLE_1)
	s_or_b32 exec_lo, exec_lo, s15
.LBB212_258:                            ;   in Loop: Header=BB212_15 Depth=1
	s_delay_alu instid0(SALU_CYCLE_1) | instskip(SKIP_3) | instid1(VALU_DEP_1)
	s_or_b32 exec_lo, exec_lo, s14
	v_mov_b64_e32 v[4:5], 0
	v_lshrrev_b32_e32 v3, 16, v2
	s_mov_b32 s14, exec_lo
	v_and_b32_e32 v0, 0xff, v3
	scratch_store_b64 off, v[4:5], s32 offset:372 ; 8-byte Folded Spill
	s_wait_xcnt 0x0
	v_mov_b64_e32 v[4:5], 0
	scratch_store_b64 off, v[4:5], s32 offset:652 ; 8-byte Folded Spill
	s_wait_xcnt 0x0
	v_cmpx_ne_u16_e32 0, v0
	s_cbranch_execz .LBB212_266
; %bb.259:                              ;   in Loop: Header=BB212_15 Depth=1
	v_cmp_ne_u16_e64 s1, 0x80, v0
	v_mov_b64_e32 v[0:1], 0x80000000
	s_and_saveexec_b32 s15, s1
	s_cbranch_execz .LBB212_265
; %bb.260:                              ;   in Loop: Header=BB212_15 Depth=1
	v_mov_b64_e32 v[0:1], 0x7f800001
	v_bfe_u32 v5, v2, 16, 7
	s_mov_b32 s16, exec_lo
	s_delay_alu instid0(VALU_DEP_1)
	v_cmpx_ne_u32_e32 0x7f, v5
	s_cbranch_execz .LBB212_264
; %bb.261:                              ;   in Loop: Header=BB212_15 Depth=1
	scratch_load_b64 v[0:1], off, s32 offset:192 th:TH_LOAD_LU ; 8-byte Folded Reload
	s_wait_loadcnt 0x0
	v_dual_lshrrev_b32 v4, 3, v5 :: v_dual_bitop2_b32 v0, 7, v3 bitop3:0x40
	s_mov_b32 s17, exec_lo
	s_wait_xcnt 0x0
	v_cmpx_gt_u32_e32 8, v5
; %bb.262:                              ;   in Loop: Header=BB212_15 Depth=1
	s_delay_alu instid0(VALU_DEP_2) | instskip(NEXT) | instid1(VALU_DEP_1)
	v_clz_i32_u32_e32 v4, v0
	v_min_u32_e32 v4, 32, v4
	s_delay_alu instid0(VALU_DEP_1) | instskip(NEXT) | instid1(VALU_DEP_1)
	v_subrev_nc_u32_e32 v5, 28, v4
	v_lshlrev_b64_e32 v[6:7], v5, v[0:1]
	s_delay_alu instid0(VALU_DEP_1)
	v_dual_sub_nc_u32 v4, 29, v4 :: v_dual_bitop2_b32 v0, 7, v6 bitop3:0x40
; %bb.263:                              ;   in Loop: Header=BB212_15 Depth=1
	s_or_b32 exec_lo, exec_lo, s17
	s_delay_alu instid0(VALU_DEP_1) | instskip(NEXT) | instid1(VALU_DEP_2)
	v_dual_lshlrev_b32 v3, 24, v3 :: v_dual_lshlrev_b32 v0, 20, v0
	v_lshl_add_u32 v4, v4, 23, 0x3c000000
	s_delay_alu instid0(VALU_DEP_2) | instskip(NEXT) | instid1(VALU_DEP_1)
	v_and_b32_e32 v3, 0x80000000, v3
	v_or3_b32 v0, v0, v3, v4
	v_mov_b32_e32 v3, v1
	scratch_store_b64 off, v[2:3], s32 offset:192 ; 8-byte Folded Spill
.LBB212_264:                            ;   in Loop: Header=BB212_15 Depth=1
	s_wait_xcnt 0x0
	s_or_b32 exec_lo, exec_lo, s16
.LBB212_265:                            ;   in Loop: Header=BB212_15 Depth=1
	s_delay_alu instid0(SALU_CYCLE_1)
	s_or_b32 exec_lo, exec_lo, s15
	scratch_store_b64 off, v[0:1], s32 offset:652 ; 8-byte Folded Spill
.LBB212_266:                            ;   in Loop: Header=BB212_15 Depth=1
	s_wait_xcnt 0x0
	s_or_b32 exec_lo, exec_lo, s14
	s_delay_alu instid0(SALU_CYCLE_1)
	s_mov_b32 s14, exec_lo
	v_cmpx_lt_u32_e32 0xffffff, v2
	s_cbranch_execz .LBB212_274
; %bb.267:                              ;   in Loop: Header=BB212_15 Depth=1
	v_mov_b64_e32 v[0:1], 0x8000000000000000
	v_lshrrev_b32_e32 v3, 24, v2
	s_mov_b32 s15, exec_lo
	scratch_store_b64 off, v[0:1], s32 offset:372 ; 8-byte Folded Spill
	s_wait_xcnt 0x0
	v_cmpx_ne_u32_e32 0x80, v3
	s_cbranch_execz .LBB212_273
; %bb.268:                              ;   in Loop: Header=BB212_15 Depth=1
	v_mov_b64_e32 v[0:1], 0x7f80000100000000
	v_bfe_u32 v4, v2, 24, 7
	s_mov_b32 s16, exec_lo
	scratch_store_b64 off, v[0:1], s32 offset:372 ; 8-byte Folded Spill
	s_wait_xcnt 0x0
	v_cmpx_ne_u32_e32 0x7f, v4
	s_cbranch_execz .LBB212_272
; %bb.269:                              ;   in Loop: Header=BB212_15 Depth=1
	scratch_load_b64 v[0:1], off, s32 offset:192 th:TH_LOAD_LU ; 8-byte Folded Reload
	s_wait_loadcnt 0x0
	v_dual_lshrrev_b32 v2, 3, v4 :: v_dual_bitop2_b32 v0, 7, v3 bitop3:0x40
	s_mov_b32 s17, exec_lo
	s_wait_xcnt 0x0
	v_cmpx_gt_u32_e32 8, v4
; %bb.270:                              ;   in Loop: Header=BB212_15 Depth=1
	s_delay_alu instid0(VALU_DEP_2) | instskip(NEXT) | instid1(VALU_DEP_1)
	v_clz_i32_u32_e32 v2, v0
	v_min_u32_e32 v2, 32, v2
	s_delay_alu instid0(VALU_DEP_1) | instskip(NEXT) | instid1(VALU_DEP_1)
	v_subrev_nc_u32_e32 v4, 28, v2
	v_lshlrev_b64_e32 v[4:5], v4, v[0:1]
	s_delay_alu instid0(VALU_DEP_1)
	v_dual_sub_nc_u32 v2, 29, v2 :: v_dual_bitop2_b32 v0, 7, v4 bitop3:0x40
; %bb.271:                              ;   in Loop: Header=BB212_15 Depth=1
	s_or_b32 exec_lo, exec_lo, s17
	s_delay_alu instid0(VALU_DEP_1) | instskip(NEXT) | instid1(VALU_DEP_2)
	v_dual_lshlrev_b32 v3, 24, v3 :: v_dual_lshlrev_b32 v0, 20, v0
	v_lshl_add_u32 v2, v2, 23, 0x3c000000
	v_mov_b32_e32 v4, v1
	s_delay_alu instid0(VALU_DEP_3) | instskip(NEXT) | instid1(VALU_DEP_1)
	v_and_b32_e32 v3, 0x80000000, v3
	v_or3_b32 v5, v0, v3, v2
	v_mov_b32_e32 v3, v1
	s_clause 0x1
	scratch_store_b64 off, v[4:5], s32 offset:372
	scratch_store_b64 off, v[2:3], s32 offset:192
.LBB212_272:                            ;   in Loop: Header=BB212_15 Depth=1
	s_wait_xcnt 0x0
	s_or_b32 exec_lo, exec_lo, s16
.LBB212_273:                            ;   in Loop: Header=BB212_15 Depth=1
	s_delay_alu instid0(SALU_CYCLE_1)
	s_or_b32 exec_lo, exec_lo, s15
.LBB212_274:                            ;   in Loop: Header=BB212_15 Depth=1
	s_delay_alu instid0(SALU_CYCLE_1)
	s_or_b32 exec_lo, exec_lo, s14
	flat_load_b32 v2, v[68:69] offset:1024
	v_mov_b64_e32 v[4:5], 0
	s_mov_b32 s14, exec_lo
	scratch_store_b64 off, v[4:5], s32 offset:380 ; 8-byte Folded Spill
	s_wait_xcnt 0x0
	v_mov_b64_e32 v[4:5], 0
	scratch_store_b64 off, v[4:5], s32 offset:660 ; 8-byte Folded Spill
	s_wait_loadcnt_dscnt 0x0
	v_and_b32_e32 v0, 0xff, v2
	s_wait_xcnt 0x0
	s_delay_alu instid0(VALU_DEP_1)
	v_cmpx_ne_u16_e32 0, v0
	s_cbranch_execz .LBB212_282
; %bb.275:                              ;   in Loop: Header=BB212_15 Depth=1
	v_cmp_ne_u16_e64 s1, 0x80, v0
	v_mov_b64_e32 v[0:1], 0x80000000
	s_and_saveexec_b32 s15, s1
	s_cbranch_execz .LBB212_281
; %bb.276:                              ;   in Loop: Header=BB212_15 Depth=1
	v_mov_b64_e32 v[0:1], 0x7f800001
	v_and_b32_e32 v4, 0x7f, v2
	s_mov_b32 s16, exec_lo
	s_delay_alu instid0(VALU_DEP_1)
	v_cmpx_ne_u32_e32 0x7f, v4
	s_cbranch_execz .LBB212_280
; %bb.277:                              ;   in Loop: Header=BB212_15 Depth=1
	scratch_load_b64 v[0:1], off, s32 offset:192 th:TH_LOAD_LU ; 8-byte Folded Reload
	s_wait_loadcnt 0x0
	v_dual_lshrrev_b32 v3, 3, v4 :: v_dual_bitop2_b32 v0, 7, v2 bitop3:0x40
	s_mov_b32 s17, exec_lo
	s_wait_xcnt 0x0
	v_cmpx_gt_u32_e32 8, v4
; %bb.278:                              ;   in Loop: Header=BB212_15 Depth=1
	s_delay_alu instid0(VALU_DEP_2) | instskip(NEXT) | instid1(VALU_DEP_1)
	v_clz_i32_u32_e32 v3, v0
	v_min_u32_e32 v3, 32, v3
	s_delay_alu instid0(VALU_DEP_1) | instskip(NEXT) | instid1(VALU_DEP_1)
	v_subrev_nc_u32_e32 v4, 28, v3
	v_lshlrev_b64_e32 v[4:5], v4, v[0:1]
	s_delay_alu instid0(VALU_DEP_1)
	v_dual_sub_nc_u32 v3, 29, v3 :: v_dual_bitop2_b32 v0, 7, v4 bitop3:0x40
; %bb.279:                              ;   in Loop: Header=BB212_15 Depth=1
	s_or_b32 exec_lo, exec_lo, s17
	s_delay_alu instid0(VALU_DEP_1) | instskip(NEXT) | instid1(VALU_DEP_2)
	v_dual_lshlrev_b32 v4, 24, v2 :: v_dual_lshlrev_b32 v0, 20, v0
	v_lshl_add_u32 v3, v3, 23, 0x3c000000
	s_delay_alu instid0(VALU_DEP_2) | instskip(NEXT) | instid1(VALU_DEP_1)
	v_and_b32_e32 v4, 0x80000000, v4
	v_or3_b32 v0, v0, v4, v3
	v_mov_b32_e32 v3, v1
	scratch_store_b64 off, v[2:3], s32 offset:192 ; 8-byte Folded Spill
.LBB212_280:                            ;   in Loop: Header=BB212_15 Depth=1
	s_wait_xcnt 0x0
	s_or_b32 exec_lo, exec_lo, s16
.LBB212_281:                            ;   in Loop: Header=BB212_15 Depth=1
	s_delay_alu instid0(SALU_CYCLE_1)
	s_or_b32 exec_lo, exec_lo, s15
	scratch_store_b64 off, v[0:1], s32 offset:660 ; 8-byte Folded Spill
.LBB212_282:                            ;   in Loop: Header=BB212_15 Depth=1
	s_wait_xcnt 0x0
	s_or_b32 exec_lo, exec_lo, s14
	v_lshrrev_b16 v0, 8, v2
	s_mov_b32 s14, exec_lo
	s_delay_alu instid0(VALU_DEP_1)
	v_cmpx_ne_u16_e32 0, v0
	s_cbranch_execz .LBB212_290
; %bb.283:                              ;   in Loop: Header=BB212_15 Depth=1
	v_mov_b64_e32 v[4:5], 0x8000000000000000
	s_mov_b32 s15, exec_lo
	scratch_store_b64 off, v[4:5], s32 offset:380 ; 8-byte Folded Spill
	s_wait_xcnt 0x0
	v_cmpx_ne_u16_e32 0x80, v0
	s_cbranch_execz .LBB212_289
; %bb.284:                              ;   in Loop: Header=BB212_15 Depth=1
	v_and_b32_e32 v0, 0xffff, v0
	v_mov_b64_e32 v[6:7], 0x7f80000100000000
	s_mov_b32 s16, exec_lo
	s_delay_alu instid0(VALU_DEP_2)
	v_and_b32_e32 v4, 0x7f, v0
	scratch_store_b64 off, v[6:7], s32 offset:380 ; 8-byte Folded Spill
	s_wait_xcnt 0x0
	v_cmpx_ne_u32_e32 0x7f, v4
	s_cbranch_execz .LBB212_288
; %bb.285:                              ;   in Loop: Header=BB212_15 Depth=1
	scratch_load_b64 v[6:7], off, s32 offset:192 th:TH_LOAD_LU ; 8-byte Folded Reload
	v_lshrrev_b32_e32 v3, 3, v4
	s_mov_b32 s17, exec_lo
	s_wait_loadcnt 0x0
	v_dual_mov_b32 v1, v7 :: v_dual_bitop2_b32 v0, 7, v0 bitop3:0x40
	s_wait_xcnt 0x0
	v_cmpx_gt_u32_e32 8, v4
; %bb.286:                              ;   in Loop: Header=BB212_15 Depth=1
	s_delay_alu instid0(VALU_DEP_2) | instskip(NEXT) | instid1(VALU_DEP_1)
	v_clz_i32_u32_e32 v3, v0
	v_min_u32_e32 v3, 32, v3
	s_delay_alu instid0(VALU_DEP_1) | instskip(NEXT) | instid1(VALU_DEP_1)
	v_subrev_nc_u32_e32 v4, 28, v3
	v_lshlrev_b64_e32 v[4:5], v4, v[0:1]
	s_delay_alu instid0(VALU_DEP_1)
	v_dual_sub_nc_u32 v3, 29, v3 :: v_dual_bitop2_b32 v0, 7, v4 bitop3:0x40
; %bb.287:                              ;   in Loop: Header=BB212_15 Depth=1
	s_or_b32 exec_lo, exec_lo, s17
	s_delay_alu instid0(VALU_DEP_1) | instskip(NEXT) | instid1(VALU_DEP_2)
	v_dual_lshlrev_b32 v4, 16, v2 :: v_dual_lshlrev_b32 v0, 20, v0
	v_lshl_add_u32 v3, v3, 23, 0x3c000000
	s_delay_alu instid0(VALU_DEP_2) | instskip(NEXT) | instid1(VALU_DEP_1)
	v_and_b32_e32 v4, 0x80000000, v4
	v_or3_b32 v5, v0, v4, v3
	v_dual_mov_b32 v3, v1 :: v_dual_mov_b32 v4, v1
	s_clause 0x1
	scratch_store_b64 off, v[2:3], s32 offset:192
	scratch_store_b64 off, v[4:5], s32 offset:380
.LBB212_288:                            ;   in Loop: Header=BB212_15 Depth=1
	s_wait_xcnt 0x0
	s_or_b32 exec_lo, exec_lo, s16
.LBB212_289:                            ;   in Loop: Header=BB212_15 Depth=1
	s_delay_alu instid0(SALU_CYCLE_1)
	s_or_b32 exec_lo, exec_lo, s15
.LBB212_290:                            ;   in Loop: Header=BB212_15 Depth=1
	s_delay_alu instid0(SALU_CYCLE_1) | instskip(SKIP_3) | instid1(VALU_DEP_1)
	s_or_b32 exec_lo, exec_lo, s14
	v_mov_b64_e32 v[4:5], 0
	v_lshrrev_b32_e32 v3, 16, v2
	s_mov_b32 s14, exec_lo
	v_and_b32_e32 v0, 0xff, v3
	scratch_store_b64 off, v[4:5], s32 offset:388 ; 8-byte Folded Spill
	s_wait_xcnt 0x0
	v_mov_b64_e32 v[4:5], 0
	scratch_store_b64 off, v[4:5], s32 offset:668 ; 8-byte Folded Spill
	s_wait_xcnt 0x0
	v_cmpx_ne_u16_e32 0, v0
	s_cbranch_execz .LBB212_298
; %bb.291:                              ;   in Loop: Header=BB212_15 Depth=1
	v_cmp_ne_u16_e64 s1, 0x80, v0
	v_mov_b64_e32 v[0:1], 0x80000000
	s_and_saveexec_b32 s15, s1
	s_cbranch_execz .LBB212_297
; %bb.292:                              ;   in Loop: Header=BB212_15 Depth=1
	v_mov_b64_e32 v[0:1], 0x7f800001
	v_bfe_u32 v5, v2, 16, 7
	s_mov_b32 s16, exec_lo
	s_delay_alu instid0(VALU_DEP_1)
	v_cmpx_ne_u32_e32 0x7f, v5
	s_cbranch_execz .LBB212_296
; %bb.293:                              ;   in Loop: Header=BB212_15 Depth=1
	scratch_load_b64 v[0:1], off, s32 offset:192 th:TH_LOAD_LU ; 8-byte Folded Reload
	s_wait_loadcnt 0x0
	v_dual_lshrrev_b32 v4, 3, v5 :: v_dual_bitop2_b32 v0, 7, v3 bitop3:0x40
	s_mov_b32 s17, exec_lo
	s_wait_xcnt 0x0
	v_cmpx_gt_u32_e32 8, v5
; %bb.294:                              ;   in Loop: Header=BB212_15 Depth=1
	s_delay_alu instid0(VALU_DEP_2) | instskip(NEXT) | instid1(VALU_DEP_1)
	v_clz_i32_u32_e32 v4, v0
	v_min_u32_e32 v4, 32, v4
	s_delay_alu instid0(VALU_DEP_1) | instskip(NEXT) | instid1(VALU_DEP_1)
	v_subrev_nc_u32_e32 v5, 28, v4
	v_lshlrev_b64_e32 v[6:7], v5, v[0:1]
	s_delay_alu instid0(VALU_DEP_1)
	v_dual_sub_nc_u32 v4, 29, v4 :: v_dual_bitop2_b32 v0, 7, v6 bitop3:0x40
; %bb.295:                              ;   in Loop: Header=BB212_15 Depth=1
	s_or_b32 exec_lo, exec_lo, s17
	s_delay_alu instid0(VALU_DEP_1) | instskip(NEXT) | instid1(VALU_DEP_2)
	v_dual_lshlrev_b32 v3, 24, v3 :: v_dual_lshlrev_b32 v0, 20, v0
	v_lshl_add_u32 v4, v4, 23, 0x3c000000
	s_delay_alu instid0(VALU_DEP_2) | instskip(NEXT) | instid1(VALU_DEP_1)
	v_and_b32_e32 v3, 0x80000000, v3
	v_or3_b32 v0, v0, v3, v4
	v_mov_b32_e32 v3, v1
	scratch_store_b64 off, v[2:3], s32 offset:192 ; 8-byte Folded Spill
.LBB212_296:                            ;   in Loop: Header=BB212_15 Depth=1
	s_wait_xcnt 0x0
	s_or_b32 exec_lo, exec_lo, s16
.LBB212_297:                            ;   in Loop: Header=BB212_15 Depth=1
	s_delay_alu instid0(SALU_CYCLE_1)
	s_or_b32 exec_lo, exec_lo, s15
	scratch_store_b64 off, v[0:1], s32 offset:668 ; 8-byte Folded Spill
.LBB212_298:                            ;   in Loop: Header=BB212_15 Depth=1
	s_wait_xcnt 0x0
	s_or_b32 exec_lo, exec_lo, s14
	s_delay_alu instid0(SALU_CYCLE_1)
	s_mov_b32 s14, exec_lo
	v_cmpx_lt_u32_e32 0xffffff, v2
	s_cbranch_execz .LBB212_306
; %bb.299:                              ;   in Loop: Header=BB212_15 Depth=1
	v_mov_b64_e32 v[0:1], 0x8000000000000000
	v_lshrrev_b32_e32 v3, 24, v2
	s_mov_b32 s15, exec_lo
	scratch_store_b64 off, v[0:1], s32 offset:388 ; 8-byte Folded Spill
	s_wait_xcnt 0x0
	v_cmpx_ne_u32_e32 0x80, v3
	s_cbranch_execz .LBB212_305
; %bb.300:                              ;   in Loop: Header=BB212_15 Depth=1
	v_mov_b64_e32 v[0:1], 0x7f80000100000000
	v_bfe_u32 v4, v2, 24, 7
	s_mov_b32 s16, exec_lo
	scratch_store_b64 off, v[0:1], s32 offset:388 ; 8-byte Folded Spill
	s_wait_xcnt 0x0
	v_cmpx_ne_u32_e32 0x7f, v4
	s_cbranch_execz .LBB212_304
; %bb.301:                              ;   in Loop: Header=BB212_15 Depth=1
	scratch_load_b64 v[0:1], off, s32 offset:192 th:TH_LOAD_LU ; 8-byte Folded Reload
	s_wait_loadcnt 0x0
	v_dual_lshrrev_b32 v2, 3, v4 :: v_dual_bitop2_b32 v0, 7, v3 bitop3:0x40
	s_mov_b32 s17, exec_lo
	s_wait_xcnt 0x0
	v_cmpx_gt_u32_e32 8, v4
; %bb.302:                              ;   in Loop: Header=BB212_15 Depth=1
	s_delay_alu instid0(VALU_DEP_2) | instskip(NEXT) | instid1(VALU_DEP_1)
	v_clz_i32_u32_e32 v2, v0
	v_min_u32_e32 v2, 32, v2
	s_delay_alu instid0(VALU_DEP_1) | instskip(NEXT) | instid1(VALU_DEP_1)
	v_subrev_nc_u32_e32 v4, 28, v2
	v_lshlrev_b64_e32 v[4:5], v4, v[0:1]
	s_delay_alu instid0(VALU_DEP_1)
	v_dual_sub_nc_u32 v2, 29, v2 :: v_dual_bitop2_b32 v0, 7, v4 bitop3:0x40
; %bb.303:                              ;   in Loop: Header=BB212_15 Depth=1
	s_or_b32 exec_lo, exec_lo, s17
	s_delay_alu instid0(VALU_DEP_1) | instskip(NEXT) | instid1(VALU_DEP_2)
	v_dual_lshlrev_b32 v3, 24, v3 :: v_dual_lshlrev_b32 v0, 20, v0
	v_lshl_add_u32 v2, v2, 23, 0x3c000000
	v_mov_b32_e32 v4, v1
	s_delay_alu instid0(VALU_DEP_3) | instskip(NEXT) | instid1(VALU_DEP_1)
	v_and_b32_e32 v3, 0x80000000, v3
	v_or3_b32 v5, v0, v3, v2
	v_mov_b32_e32 v3, v1
	s_clause 0x1
	scratch_store_b64 off, v[4:5], s32 offset:388
	scratch_store_b64 off, v[2:3], s32 offset:192
.LBB212_304:                            ;   in Loop: Header=BB212_15 Depth=1
	s_wait_xcnt 0x0
	s_or_b32 exec_lo, exec_lo, s16
.LBB212_305:                            ;   in Loop: Header=BB212_15 Depth=1
	s_delay_alu instid0(SALU_CYCLE_1)
	s_or_b32 exec_lo, exec_lo, s15
.LBB212_306:                            ;   in Loop: Header=BB212_15 Depth=1
	s_delay_alu instid0(SALU_CYCLE_1)
	s_or_b32 exec_lo, exec_lo, s14
	flat_load_b32 v2, v[68:69] offset:1028
	v_mov_b64_e32 v[4:5], 0
	s_mov_b32 s14, exec_lo
	scratch_store_b64 off, v[4:5], s32 offset:396 ; 8-byte Folded Spill
	s_wait_xcnt 0x0
	v_mov_b64_e32 v[4:5], 0
	scratch_store_b64 off, v[4:5], s32 offset:676 ; 8-byte Folded Spill
	s_wait_loadcnt_dscnt 0x0
	v_and_b32_e32 v0, 0xff, v2
	s_wait_xcnt 0x0
	s_delay_alu instid0(VALU_DEP_1)
	v_cmpx_ne_u16_e32 0, v0
	s_cbranch_execz .LBB212_314
; %bb.307:                              ;   in Loop: Header=BB212_15 Depth=1
	v_cmp_ne_u16_e64 s1, 0x80, v0
	v_mov_b64_e32 v[0:1], 0x80000000
	s_and_saveexec_b32 s15, s1
	s_cbranch_execz .LBB212_313
; %bb.308:                              ;   in Loop: Header=BB212_15 Depth=1
	v_mov_b64_e32 v[0:1], 0x7f800001
	v_and_b32_e32 v4, 0x7f, v2
	s_mov_b32 s16, exec_lo
	s_delay_alu instid0(VALU_DEP_1)
	v_cmpx_ne_u32_e32 0x7f, v4
	s_cbranch_execz .LBB212_312
; %bb.309:                              ;   in Loop: Header=BB212_15 Depth=1
	scratch_load_b64 v[0:1], off, s32 offset:192 th:TH_LOAD_LU ; 8-byte Folded Reload
	s_wait_loadcnt 0x0
	v_dual_lshrrev_b32 v3, 3, v4 :: v_dual_bitop2_b32 v0, 7, v2 bitop3:0x40
	s_mov_b32 s17, exec_lo
	s_wait_xcnt 0x0
	v_cmpx_gt_u32_e32 8, v4
; %bb.310:                              ;   in Loop: Header=BB212_15 Depth=1
	s_delay_alu instid0(VALU_DEP_2) | instskip(NEXT) | instid1(VALU_DEP_1)
	v_clz_i32_u32_e32 v3, v0
	v_min_u32_e32 v3, 32, v3
	s_delay_alu instid0(VALU_DEP_1) | instskip(NEXT) | instid1(VALU_DEP_1)
	v_subrev_nc_u32_e32 v4, 28, v3
	v_lshlrev_b64_e32 v[4:5], v4, v[0:1]
	s_delay_alu instid0(VALU_DEP_1)
	v_dual_sub_nc_u32 v3, 29, v3 :: v_dual_bitop2_b32 v0, 7, v4 bitop3:0x40
; %bb.311:                              ;   in Loop: Header=BB212_15 Depth=1
	s_or_b32 exec_lo, exec_lo, s17
	s_delay_alu instid0(VALU_DEP_1) | instskip(NEXT) | instid1(VALU_DEP_2)
	v_dual_lshlrev_b32 v4, 24, v2 :: v_dual_lshlrev_b32 v0, 20, v0
	v_lshl_add_u32 v3, v3, 23, 0x3c000000
	s_delay_alu instid0(VALU_DEP_2) | instskip(NEXT) | instid1(VALU_DEP_1)
	v_and_b32_e32 v4, 0x80000000, v4
	v_or3_b32 v0, v0, v4, v3
	v_mov_b32_e32 v3, v1
	scratch_store_b64 off, v[2:3], s32 offset:192 ; 8-byte Folded Spill
.LBB212_312:                            ;   in Loop: Header=BB212_15 Depth=1
	s_wait_xcnt 0x0
	s_or_b32 exec_lo, exec_lo, s16
.LBB212_313:                            ;   in Loop: Header=BB212_15 Depth=1
	s_delay_alu instid0(SALU_CYCLE_1)
	s_or_b32 exec_lo, exec_lo, s15
	scratch_store_b64 off, v[0:1], s32 offset:676 ; 8-byte Folded Spill
.LBB212_314:                            ;   in Loop: Header=BB212_15 Depth=1
	s_wait_xcnt 0x0
	s_or_b32 exec_lo, exec_lo, s14
	v_lshrrev_b16 v0, 8, v2
	s_mov_b32 s14, exec_lo
	s_delay_alu instid0(VALU_DEP_1)
	v_cmpx_ne_u16_e32 0, v0
	s_cbranch_execz .LBB212_322
; %bb.315:                              ;   in Loop: Header=BB212_15 Depth=1
	v_mov_b64_e32 v[4:5], 0x8000000000000000
	s_mov_b32 s15, exec_lo
	scratch_store_b64 off, v[4:5], s32 offset:396 ; 8-byte Folded Spill
	s_wait_xcnt 0x0
	v_cmpx_ne_u16_e32 0x80, v0
	s_cbranch_execz .LBB212_321
; %bb.316:                              ;   in Loop: Header=BB212_15 Depth=1
	v_and_b32_e32 v0, 0xffff, v0
	v_mov_b64_e32 v[6:7], 0x7f80000100000000
	s_mov_b32 s16, exec_lo
	s_delay_alu instid0(VALU_DEP_2)
	v_and_b32_e32 v4, 0x7f, v0
	scratch_store_b64 off, v[6:7], s32 offset:396 ; 8-byte Folded Spill
	s_wait_xcnt 0x0
	v_cmpx_ne_u32_e32 0x7f, v4
	s_cbranch_execz .LBB212_320
; %bb.317:                              ;   in Loop: Header=BB212_15 Depth=1
	scratch_load_b64 v[6:7], off, s32 offset:192 th:TH_LOAD_LU ; 8-byte Folded Reload
	v_lshrrev_b32_e32 v3, 3, v4
	s_mov_b32 s17, exec_lo
	s_wait_loadcnt 0x0
	v_dual_mov_b32 v1, v7 :: v_dual_bitop2_b32 v0, 7, v0 bitop3:0x40
	s_wait_xcnt 0x0
	v_cmpx_gt_u32_e32 8, v4
; %bb.318:                              ;   in Loop: Header=BB212_15 Depth=1
	s_delay_alu instid0(VALU_DEP_2) | instskip(NEXT) | instid1(VALU_DEP_1)
	v_clz_i32_u32_e32 v3, v0
	v_min_u32_e32 v3, 32, v3
	s_delay_alu instid0(VALU_DEP_1) | instskip(NEXT) | instid1(VALU_DEP_1)
	v_subrev_nc_u32_e32 v4, 28, v3
	v_lshlrev_b64_e32 v[4:5], v4, v[0:1]
	s_delay_alu instid0(VALU_DEP_1)
	v_dual_sub_nc_u32 v3, 29, v3 :: v_dual_bitop2_b32 v0, 7, v4 bitop3:0x40
; %bb.319:                              ;   in Loop: Header=BB212_15 Depth=1
	s_or_b32 exec_lo, exec_lo, s17
	s_delay_alu instid0(VALU_DEP_1) | instskip(NEXT) | instid1(VALU_DEP_2)
	v_dual_lshlrev_b32 v4, 16, v2 :: v_dual_lshlrev_b32 v0, 20, v0
	v_lshl_add_u32 v3, v3, 23, 0x3c000000
	s_delay_alu instid0(VALU_DEP_2) | instskip(NEXT) | instid1(VALU_DEP_1)
	v_and_b32_e32 v4, 0x80000000, v4
	v_or3_b32 v5, v0, v4, v3
	v_dual_mov_b32 v3, v1 :: v_dual_mov_b32 v4, v1
	s_clause 0x1
	scratch_store_b64 off, v[2:3], s32 offset:192
	scratch_store_b64 off, v[4:5], s32 offset:396
.LBB212_320:                            ;   in Loop: Header=BB212_15 Depth=1
	s_wait_xcnt 0x0
	s_or_b32 exec_lo, exec_lo, s16
.LBB212_321:                            ;   in Loop: Header=BB212_15 Depth=1
	s_delay_alu instid0(SALU_CYCLE_1)
	s_or_b32 exec_lo, exec_lo, s15
.LBB212_322:                            ;   in Loop: Header=BB212_15 Depth=1
	s_delay_alu instid0(SALU_CYCLE_1) | instskip(SKIP_3) | instid1(VALU_DEP_1)
	s_or_b32 exec_lo, exec_lo, s14
	v_mov_b64_e32 v[4:5], 0
	v_lshrrev_b32_e32 v3, 16, v2
	s_mov_b32 s14, exec_lo
	v_and_b32_e32 v0, 0xff, v3
	scratch_store_b64 off, v[4:5], s32 offset:404 ; 8-byte Folded Spill
	s_wait_xcnt 0x0
	v_mov_b64_e32 v[4:5], 0
	scratch_store_b64 off, v[4:5], s32 offset:684 ; 8-byte Folded Spill
	s_wait_xcnt 0x0
	v_cmpx_ne_u16_e32 0, v0
	s_cbranch_execz .LBB212_330
; %bb.323:                              ;   in Loop: Header=BB212_15 Depth=1
	v_cmp_ne_u16_e64 s1, 0x80, v0
	v_mov_b64_e32 v[0:1], 0x80000000
	s_and_saveexec_b32 s15, s1
	s_cbranch_execz .LBB212_329
; %bb.324:                              ;   in Loop: Header=BB212_15 Depth=1
	v_mov_b64_e32 v[0:1], 0x7f800001
	v_bfe_u32 v5, v2, 16, 7
	s_mov_b32 s16, exec_lo
	s_delay_alu instid0(VALU_DEP_1)
	v_cmpx_ne_u32_e32 0x7f, v5
	s_cbranch_execz .LBB212_328
; %bb.325:                              ;   in Loop: Header=BB212_15 Depth=1
	scratch_load_b64 v[0:1], off, s32 offset:192 th:TH_LOAD_LU ; 8-byte Folded Reload
	s_wait_loadcnt 0x0
	v_dual_lshrrev_b32 v4, 3, v5 :: v_dual_bitop2_b32 v0, 7, v3 bitop3:0x40
	s_mov_b32 s17, exec_lo
	s_wait_xcnt 0x0
	v_cmpx_gt_u32_e32 8, v5
; %bb.326:                              ;   in Loop: Header=BB212_15 Depth=1
	s_delay_alu instid0(VALU_DEP_2) | instskip(NEXT) | instid1(VALU_DEP_1)
	v_clz_i32_u32_e32 v4, v0
	v_min_u32_e32 v4, 32, v4
	s_delay_alu instid0(VALU_DEP_1) | instskip(NEXT) | instid1(VALU_DEP_1)
	v_subrev_nc_u32_e32 v5, 28, v4
	v_lshlrev_b64_e32 v[6:7], v5, v[0:1]
	s_delay_alu instid0(VALU_DEP_1)
	v_dual_sub_nc_u32 v4, 29, v4 :: v_dual_bitop2_b32 v0, 7, v6 bitop3:0x40
; %bb.327:                              ;   in Loop: Header=BB212_15 Depth=1
	s_or_b32 exec_lo, exec_lo, s17
	s_delay_alu instid0(VALU_DEP_1) | instskip(NEXT) | instid1(VALU_DEP_2)
	v_dual_lshlrev_b32 v3, 24, v3 :: v_dual_lshlrev_b32 v0, 20, v0
	v_lshl_add_u32 v4, v4, 23, 0x3c000000
	s_delay_alu instid0(VALU_DEP_2) | instskip(NEXT) | instid1(VALU_DEP_1)
	v_and_b32_e32 v3, 0x80000000, v3
	v_or3_b32 v0, v0, v3, v4
	v_mov_b32_e32 v3, v1
	scratch_store_b64 off, v[2:3], s32 offset:192 ; 8-byte Folded Spill
.LBB212_328:                            ;   in Loop: Header=BB212_15 Depth=1
	s_wait_xcnt 0x0
	s_or_b32 exec_lo, exec_lo, s16
.LBB212_329:                            ;   in Loop: Header=BB212_15 Depth=1
	s_delay_alu instid0(SALU_CYCLE_1)
	s_or_b32 exec_lo, exec_lo, s15
	scratch_store_b64 off, v[0:1], s32 offset:684 ; 8-byte Folded Spill
.LBB212_330:                            ;   in Loop: Header=BB212_15 Depth=1
	s_wait_xcnt 0x0
	s_or_b32 exec_lo, exec_lo, s14
	s_delay_alu instid0(SALU_CYCLE_1)
	s_mov_b32 s14, exec_lo
	v_cmpx_lt_u32_e32 0xffffff, v2
	s_cbranch_execz .LBB212_338
; %bb.331:                              ;   in Loop: Header=BB212_15 Depth=1
	v_mov_b64_e32 v[0:1], 0x8000000000000000
	v_lshrrev_b32_e32 v3, 24, v2
	s_mov_b32 s15, exec_lo
	scratch_store_b64 off, v[0:1], s32 offset:404 ; 8-byte Folded Spill
	s_wait_xcnt 0x0
	v_cmpx_ne_u32_e32 0x80, v3
	s_cbranch_execz .LBB212_337
; %bb.332:                              ;   in Loop: Header=BB212_15 Depth=1
	v_mov_b64_e32 v[0:1], 0x7f80000100000000
	v_bfe_u32 v4, v2, 24, 7
	s_mov_b32 s16, exec_lo
	scratch_store_b64 off, v[0:1], s32 offset:404 ; 8-byte Folded Spill
	s_wait_xcnt 0x0
	v_cmpx_ne_u32_e32 0x7f, v4
	s_cbranch_execz .LBB212_336
; %bb.333:                              ;   in Loop: Header=BB212_15 Depth=1
	scratch_load_b64 v[0:1], off, s32 offset:192 th:TH_LOAD_LU ; 8-byte Folded Reload
	s_wait_loadcnt 0x0
	v_dual_lshrrev_b32 v2, 3, v4 :: v_dual_bitop2_b32 v0, 7, v3 bitop3:0x40
	s_mov_b32 s17, exec_lo
	s_wait_xcnt 0x0
	v_cmpx_gt_u32_e32 8, v4
; %bb.334:                              ;   in Loop: Header=BB212_15 Depth=1
	s_delay_alu instid0(VALU_DEP_2) | instskip(NEXT) | instid1(VALU_DEP_1)
	v_clz_i32_u32_e32 v2, v0
	v_min_u32_e32 v2, 32, v2
	s_delay_alu instid0(VALU_DEP_1) | instskip(NEXT) | instid1(VALU_DEP_1)
	v_subrev_nc_u32_e32 v4, 28, v2
	v_lshlrev_b64_e32 v[4:5], v4, v[0:1]
	s_delay_alu instid0(VALU_DEP_1)
	v_dual_sub_nc_u32 v2, 29, v2 :: v_dual_bitop2_b32 v0, 7, v4 bitop3:0x40
; %bb.335:                              ;   in Loop: Header=BB212_15 Depth=1
	s_or_b32 exec_lo, exec_lo, s17
	s_delay_alu instid0(VALU_DEP_1) | instskip(NEXT) | instid1(VALU_DEP_2)
	v_dual_lshlrev_b32 v3, 24, v3 :: v_dual_lshlrev_b32 v0, 20, v0
	v_lshl_add_u32 v2, v2, 23, 0x3c000000
	v_mov_b32_e32 v4, v1
	s_delay_alu instid0(VALU_DEP_3) | instskip(NEXT) | instid1(VALU_DEP_1)
	v_and_b32_e32 v3, 0x80000000, v3
	v_or3_b32 v5, v0, v3, v2
	v_mov_b32_e32 v3, v1
	s_clause 0x1
	scratch_store_b64 off, v[4:5], s32 offset:404
	scratch_store_b64 off, v[2:3], s32 offset:192
.LBB212_336:                            ;   in Loop: Header=BB212_15 Depth=1
	s_wait_xcnt 0x0
	s_or_b32 exec_lo, exec_lo, s16
.LBB212_337:                            ;   in Loop: Header=BB212_15 Depth=1
	s_delay_alu instid0(SALU_CYCLE_1)
	s_or_b32 exec_lo, exec_lo, s15
.LBB212_338:                            ;   in Loop: Header=BB212_15 Depth=1
	s_delay_alu instid0(SALU_CYCLE_1)
	s_or_b32 exec_lo, exec_lo, s14
	flat_load_b32 v2, v[68:69] offset:1032
	v_mov_b64_e32 v[4:5], 0
	s_mov_b32 s14, exec_lo
	scratch_store_b64 off, v[4:5], s32 offset:412 ; 8-byte Folded Spill
	s_wait_xcnt 0x0
	v_mov_b64_e32 v[4:5], 0
	scratch_store_b64 off, v[4:5], s32 offset:692 ; 8-byte Folded Spill
	s_wait_loadcnt_dscnt 0x0
	v_and_b32_e32 v0, 0xff, v2
	s_wait_xcnt 0x0
	s_delay_alu instid0(VALU_DEP_1)
	v_cmpx_ne_u16_e32 0, v0
	s_cbranch_execz .LBB212_346
; %bb.339:                              ;   in Loop: Header=BB212_15 Depth=1
	v_cmp_ne_u16_e64 s1, 0x80, v0
	v_mov_b64_e32 v[0:1], 0x80000000
	s_and_saveexec_b32 s15, s1
	s_cbranch_execz .LBB212_345
; %bb.340:                              ;   in Loop: Header=BB212_15 Depth=1
	v_mov_b64_e32 v[0:1], 0x7f800001
	v_and_b32_e32 v4, 0x7f, v2
	s_mov_b32 s16, exec_lo
	s_delay_alu instid0(VALU_DEP_1)
	v_cmpx_ne_u32_e32 0x7f, v4
	s_cbranch_execz .LBB212_344
; %bb.341:                              ;   in Loop: Header=BB212_15 Depth=1
	scratch_load_b64 v[0:1], off, s32 offset:192 th:TH_LOAD_LU ; 8-byte Folded Reload
	s_wait_loadcnt 0x0
	v_dual_lshrrev_b32 v3, 3, v4 :: v_dual_bitop2_b32 v0, 7, v2 bitop3:0x40
	s_mov_b32 s17, exec_lo
	s_wait_xcnt 0x0
	v_cmpx_gt_u32_e32 8, v4
; %bb.342:                              ;   in Loop: Header=BB212_15 Depth=1
	s_delay_alu instid0(VALU_DEP_2) | instskip(NEXT) | instid1(VALU_DEP_1)
	v_clz_i32_u32_e32 v3, v0
	v_min_u32_e32 v3, 32, v3
	s_delay_alu instid0(VALU_DEP_1) | instskip(NEXT) | instid1(VALU_DEP_1)
	v_subrev_nc_u32_e32 v4, 28, v3
	v_lshlrev_b64_e32 v[4:5], v4, v[0:1]
	s_delay_alu instid0(VALU_DEP_1)
	v_dual_sub_nc_u32 v3, 29, v3 :: v_dual_bitop2_b32 v0, 7, v4 bitop3:0x40
; %bb.343:                              ;   in Loop: Header=BB212_15 Depth=1
	s_or_b32 exec_lo, exec_lo, s17
	s_delay_alu instid0(VALU_DEP_1) | instskip(NEXT) | instid1(VALU_DEP_2)
	v_dual_lshlrev_b32 v4, 24, v2 :: v_dual_lshlrev_b32 v0, 20, v0
	v_lshl_add_u32 v3, v3, 23, 0x3c000000
	s_delay_alu instid0(VALU_DEP_2) | instskip(NEXT) | instid1(VALU_DEP_1)
	v_and_b32_e32 v4, 0x80000000, v4
	v_or3_b32 v0, v0, v4, v3
	v_mov_b32_e32 v3, v1
	scratch_store_b64 off, v[2:3], s32 offset:192 ; 8-byte Folded Spill
.LBB212_344:                            ;   in Loop: Header=BB212_15 Depth=1
	s_wait_xcnt 0x0
	s_or_b32 exec_lo, exec_lo, s16
.LBB212_345:                            ;   in Loop: Header=BB212_15 Depth=1
	s_delay_alu instid0(SALU_CYCLE_1)
	s_or_b32 exec_lo, exec_lo, s15
	scratch_store_b64 off, v[0:1], s32 offset:692 ; 8-byte Folded Spill
.LBB212_346:                            ;   in Loop: Header=BB212_15 Depth=1
	s_wait_xcnt 0x0
	s_or_b32 exec_lo, exec_lo, s14
	v_lshrrev_b16 v0, 8, v2
	s_mov_b32 s14, exec_lo
	s_delay_alu instid0(VALU_DEP_1)
	v_cmpx_ne_u16_e32 0, v0
	s_cbranch_execz .LBB212_354
; %bb.347:                              ;   in Loop: Header=BB212_15 Depth=1
	v_mov_b64_e32 v[4:5], 0x8000000000000000
	s_mov_b32 s15, exec_lo
	scratch_store_b64 off, v[4:5], s32 offset:412 ; 8-byte Folded Spill
	s_wait_xcnt 0x0
	v_cmpx_ne_u16_e32 0x80, v0
	s_cbranch_execz .LBB212_353
; %bb.348:                              ;   in Loop: Header=BB212_15 Depth=1
	v_and_b32_e32 v0, 0xffff, v0
	v_mov_b64_e32 v[6:7], 0x7f80000100000000
	s_mov_b32 s16, exec_lo
	s_delay_alu instid0(VALU_DEP_2)
	v_and_b32_e32 v4, 0x7f, v0
	scratch_store_b64 off, v[6:7], s32 offset:412 ; 8-byte Folded Spill
	s_wait_xcnt 0x0
	v_cmpx_ne_u32_e32 0x7f, v4
	s_cbranch_execz .LBB212_352
; %bb.349:                              ;   in Loop: Header=BB212_15 Depth=1
	scratch_load_b64 v[6:7], off, s32 offset:192 th:TH_LOAD_LU ; 8-byte Folded Reload
	v_lshrrev_b32_e32 v3, 3, v4
	s_mov_b32 s17, exec_lo
	s_wait_loadcnt 0x0
	v_dual_mov_b32 v1, v7 :: v_dual_bitop2_b32 v0, 7, v0 bitop3:0x40
	s_wait_xcnt 0x0
	v_cmpx_gt_u32_e32 8, v4
; %bb.350:                              ;   in Loop: Header=BB212_15 Depth=1
	s_delay_alu instid0(VALU_DEP_2) | instskip(NEXT) | instid1(VALU_DEP_1)
	v_clz_i32_u32_e32 v3, v0
	v_min_u32_e32 v3, 32, v3
	s_delay_alu instid0(VALU_DEP_1) | instskip(NEXT) | instid1(VALU_DEP_1)
	v_subrev_nc_u32_e32 v4, 28, v3
	v_lshlrev_b64_e32 v[4:5], v4, v[0:1]
	s_delay_alu instid0(VALU_DEP_1)
	v_dual_sub_nc_u32 v3, 29, v3 :: v_dual_bitop2_b32 v0, 7, v4 bitop3:0x40
; %bb.351:                              ;   in Loop: Header=BB212_15 Depth=1
	s_or_b32 exec_lo, exec_lo, s17
	s_delay_alu instid0(VALU_DEP_1) | instskip(NEXT) | instid1(VALU_DEP_2)
	v_dual_lshlrev_b32 v4, 16, v2 :: v_dual_lshlrev_b32 v0, 20, v0
	v_lshl_add_u32 v3, v3, 23, 0x3c000000
	s_delay_alu instid0(VALU_DEP_2) | instskip(NEXT) | instid1(VALU_DEP_1)
	v_and_b32_e32 v4, 0x80000000, v4
	v_or3_b32 v5, v0, v4, v3
	v_dual_mov_b32 v3, v1 :: v_dual_mov_b32 v4, v1
	s_clause 0x1
	scratch_store_b64 off, v[2:3], s32 offset:192
	scratch_store_b64 off, v[4:5], s32 offset:412
.LBB212_352:                            ;   in Loop: Header=BB212_15 Depth=1
	s_wait_xcnt 0x0
	s_or_b32 exec_lo, exec_lo, s16
.LBB212_353:                            ;   in Loop: Header=BB212_15 Depth=1
	s_delay_alu instid0(SALU_CYCLE_1)
	s_or_b32 exec_lo, exec_lo, s15
.LBB212_354:                            ;   in Loop: Header=BB212_15 Depth=1
	s_delay_alu instid0(SALU_CYCLE_1) | instskip(SKIP_3) | instid1(VALU_DEP_1)
	s_or_b32 exec_lo, exec_lo, s14
	v_mov_b64_e32 v[4:5], 0
	v_lshrrev_b32_e32 v3, 16, v2
	s_mov_b32 s14, exec_lo
	v_and_b32_e32 v0, 0xff, v3
	scratch_store_b64 off, v[4:5], s32 offset:420 ; 8-byte Folded Spill
	s_wait_xcnt 0x0
	v_mov_b64_e32 v[4:5], 0
	scratch_store_b64 off, v[4:5], s32 offset:700 ; 8-byte Folded Spill
	s_wait_xcnt 0x0
	v_cmpx_ne_u16_e32 0, v0
	s_cbranch_execz .LBB212_362
; %bb.355:                              ;   in Loop: Header=BB212_15 Depth=1
	v_cmp_ne_u16_e64 s1, 0x80, v0
	v_mov_b64_e32 v[0:1], 0x80000000
	s_and_saveexec_b32 s15, s1
	s_cbranch_execz .LBB212_361
; %bb.356:                              ;   in Loop: Header=BB212_15 Depth=1
	v_mov_b64_e32 v[0:1], 0x7f800001
	v_bfe_u32 v5, v2, 16, 7
	s_mov_b32 s16, exec_lo
	s_delay_alu instid0(VALU_DEP_1)
	v_cmpx_ne_u32_e32 0x7f, v5
	s_cbranch_execz .LBB212_360
; %bb.357:                              ;   in Loop: Header=BB212_15 Depth=1
	scratch_load_b64 v[0:1], off, s32 offset:192 th:TH_LOAD_LU ; 8-byte Folded Reload
	s_wait_loadcnt 0x0
	v_dual_lshrrev_b32 v4, 3, v5 :: v_dual_bitop2_b32 v0, 7, v3 bitop3:0x40
	s_mov_b32 s17, exec_lo
	s_wait_xcnt 0x0
	v_cmpx_gt_u32_e32 8, v5
; %bb.358:                              ;   in Loop: Header=BB212_15 Depth=1
	s_delay_alu instid0(VALU_DEP_2) | instskip(NEXT) | instid1(VALU_DEP_1)
	v_clz_i32_u32_e32 v4, v0
	v_min_u32_e32 v4, 32, v4
	s_delay_alu instid0(VALU_DEP_1) | instskip(NEXT) | instid1(VALU_DEP_1)
	v_subrev_nc_u32_e32 v5, 28, v4
	v_lshlrev_b64_e32 v[6:7], v5, v[0:1]
	s_delay_alu instid0(VALU_DEP_1)
	v_dual_sub_nc_u32 v4, 29, v4 :: v_dual_bitop2_b32 v0, 7, v6 bitop3:0x40
; %bb.359:                              ;   in Loop: Header=BB212_15 Depth=1
	s_or_b32 exec_lo, exec_lo, s17
	s_delay_alu instid0(VALU_DEP_1) | instskip(NEXT) | instid1(VALU_DEP_2)
	v_dual_lshlrev_b32 v3, 24, v3 :: v_dual_lshlrev_b32 v0, 20, v0
	v_lshl_add_u32 v4, v4, 23, 0x3c000000
	s_delay_alu instid0(VALU_DEP_2) | instskip(NEXT) | instid1(VALU_DEP_1)
	v_and_b32_e32 v3, 0x80000000, v3
	v_or3_b32 v0, v0, v3, v4
	v_mov_b32_e32 v3, v1
	scratch_store_b64 off, v[2:3], s32 offset:192 ; 8-byte Folded Spill
.LBB212_360:                            ;   in Loop: Header=BB212_15 Depth=1
	s_wait_xcnt 0x0
	s_or_b32 exec_lo, exec_lo, s16
.LBB212_361:                            ;   in Loop: Header=BB212_15 Depth=1
	s_delay_alu instid0(SALU_CYCLE_1)
	s_or_b32 exec_lo, exec_lo, s15
	scratch_store_b64 off, v[0:1], s32 offset:700 ; 8-byte Folded Spill
.LBB212_362:                            ;   in Loop: Header=BB212_15 Depth=1
	s_wait_xcnt 0x0
	s_or_b32 exec_lo, exec_lo, s14
	s_delay_alu instid0(SALU_CYCLE_1)
	s_mov_b32 s14, exec_lo
	v_cmpx_lt_u32_e32 0xffffff, v2
	s_cbranch_execz .LBB212_370
; %bb.363:                              ;   in Loop: Header=BB212_15 Depth=1
	v_mov_b64_e32 v[0:1], 0x8000000000000000
	v_lshrrev_b32_e32 v3, 24, v2
	s_mov_b32 s15, exec_lo
	scratch_store_b64 off, v[0:1], s32 offset:420 ; 8-byte Folded Spill
	s_wait_xcnt 0x0
	v_cmpx_ne_u32_e32 0x80, v3
	s_cbranch_execz .LBB212_369
; %bb.364:                              ;   in Loop: Header=BB212_15 Depth=1
	v_mov_b64_e32 v[0:1], 0x7f80000100000000
	v_bfe_u32 v4, v2, 24, 7
	s_mov_b32 s16, exec_lo
	scratch_store_b64 off, v[0:1], s32 offset:420 ; 8-byte Folded Spill
	s_wait_xcnt 0x0
	v_cmpx_ne_u32_e32 0x7f, v4
	s_cbranch_execz .LBB212_368
; %bb.365:                              ;   in Loop: Header=BB212_15 Depth=1
	scratch_load_b64 v[0:1], off, s32 offset:192 th:TH_LOAD_LU ; 8-byte Folded Reload
	s_wait_loadcnt 0x0
	v_dual_lshrrev_b32 v2, 3, v4 :: v_dual_bitop2_b32 v0, 7, v3 bitop3:0x40
	s_mov_b32 s17, exec_lo
	s_wait_xcnt 0x0
	v_cmpx_gt_u32_e32 8, v4
; %bb.366:                              ;   in Loop: Header=BB212_15 Depth=1
	s_delay_alu instid0(VALU_DEP_2) | instskip(NEXT) | instid1(VALU_DEP_1)
	v_clz_i32_u32_e32 v2, v0
	v_min_u32_e32 v2, 32, v2
	s_delay_alu instid0(VALU_DEP_1) | instskip(NEXT) | instid1(VALU_DEP_1)
	v_subrev_nc_u32_e32 v4, 28, v2
	v_lshlrev_b64_e32 v[4:5], v4, v[0:1]
	s_delay_alu instid0(VALU_DEP_1)
	v_dual_sub_nc_u32 v2, 29, v2 :: v_dual_bitop2_b32 v0, 7, v4 bitop3:0x40
; %bb.367:                              ;   in Loop: Header=BB212_15 Depth=1
	s_or_b32 exec_lo, exec_lo, s17
	s_delay_alu instid0(VALU_DEP_1) | instskip(NEXT) | instid1(VALU_DEP_2)
	v_dual_lshlrev_b32 v3, 24, v3 :: v_dual_lshlrev_b32 v0, 20, v0
	v_lshl_add_u32 v2, v2, 23, 0x3c000000
	v_mov_b32_e32 v4, v1
	s_delay_alu instid0(VALU_DEP_3) | instskip(NEXT) | instid1(VALU_DEP_1)
	v_and_b32_e32 v3, 0x80000000, v3
	v_or3_b32 v5, v0, v3, v2
	v_mov_b32_e32 v3, v1
	s_clause 0x1
	scratch_store_b64 off, v[4:5], s32 offset:420
	scratch_store_b64 off, v[2:3], s32 offset:192
.LBB212_368:                            ;   in Loop: Header=BB212_15 Depth=1
	s_wait_xcnt 0x0
	s_or_b32 exec_lo, exec_lo, s16
.LBB212_369:                            ;   in Loop: Header=BB212_15 Depth=1
	s_delay_alu instid0(SALU_CYCLE_1)
	s_or_b32 exec_lo, exec_lo, s15
.LBB212_370:                            ;   in Loop: Header=BB212_15 Depth=1
	s_delay_alu instid0(SALU_CYCLE_1)
	s_or_b32 exec_lo, exec_lo, s14
	flat_load_b32 v2, v[68:69] offset:1036
	v_mov_b64_e32 v[4:5], 0
	s_mov_b32 s14, exec_lo
	scratch_store_b64 off, v[4:5], s32 offset:428 ; 8-byte Folded Spill
	s_wait_xcnt 0x0
	v_mov_b64_e32 v[4:5], 0
	scratch_store_b64 off, v[4:5], s32 offset:708 ; 8-byte Folded Spill
	s_wait_loadcnt_dscnt 0x0
	v_and_b32_e32 v0, 0xff, v2
	s_wait_xcnt 0x0
	s_delay_alu instid0(VALU_DEP_1)
	v_cmpx_ne_u16_e32 0, v0
	s_cbranch_execz .LBB212_378
; %bb.371:                              ;   in Loop: Header=BB212_15 Depth=1
	v_cmp_ne_u16_e64 s1, 0x80, v0
	v_mov_b64_e32 v[0:1], 0x80000000
	s_and_saveexec_b32 s15, s1
	s_cbranch_execz .LBB212_377
; %bb.372:                              ;   in Loop: Header=BB212_15 Depth=1
	v_mov_b64_e32 v[0:1], 0x7f800001
	v_and_b32_e32 v4, 0x7f, v2
	s_mov_b32 s16, exec_lo
	s_delay_alu instid0(VALU_DEP_1)
	v_cmpx_ne_u32_e32 0x7f, v4
	s_cbranch_execz .LBB212_376
; %bb.373:                              ;   in Loop: Header=BB212_15 Depth=1
	scratch_load_b64 v[0:1], off, s32 offset:192 th:TH_LOAD_LU ; 8-byte Folded Reload
	s_wait_loadcnt 0x0
	v_dual_lshrrev_b32 v3, 3, v4 :: v_dual_bitop2_b32 v0, 7, v2 bitop3:0x40
	s_mov_b32 s17, exec_lo
	s_wait_xcnt 0x0
	v_cmpx_gt_u32_e32 8, v4
; %bb.374:                              ;   in Loop: Header=BB212_15 Depth=1
	s_delay_alu instid0(VALU_DEP_2) | instskip(NEXT) | instid1(VALU_DEP_1)
	v_clz_i32_u32_e32 v3, v0
	v_min_u32_e32 v3, 32, v3
	s_delay_alu instid0(VALU_DEP_1) | instskip(NEXT) | instid1(VALU_DEP_1)
	v_subrev_nc_u32_e32 v4, 28, v3
	v_lshlrev_b64_e32 v[4:5], v4, v[0:1]
	s_delay_alu instid0(VALU_DEP_1)
	v_dual_sub_nc_u32 v3, 29, v3 :: v_dual_bitop2_b32 v0, 7, v4 bitop3:0x40
; %bb.375:                              ;   in Loop: Header=BB212_15 Depth=1
	s_or_b32 exec_lo, exec_lo, s17
	s_delay_alu instid0(VALU_DEP_1) | instskip(NEXT) | instid1(VALU_DEP_2)
	v_dual_lshlrev_b32 v4, 24, v2 :: v_dual_lshlrev_b32 v0, 20, v0
	v_lshl_add_u32 v3, v3, 23, 0x3c000000
	s_delay_alu instid0(VALU_DEP_2) | instskip(NEXT) | instid1(VALU_DEP_1)
	v_and_b32_e32 v4, 0x80000000, v4
	v_or3_b32 v0, v0, v4, v3
	v_mov_b32_e32 v3, v1
	scratch_store_b64 off, v[2:3], s32 offset:192 ; 8-byte Folded Spill
.LBB212_376:                            ;   in Loop: Header=BB212_15 Depth=1
	s_wait_xcnt 0x0
	s_or_b32 exec_lo, exec_lo, s16
.LBB212_377:                            ;   in Loop: Header=BB212_15 Depth=1
	s_delay_alu instid0(SALU_CYCLE_1)
	s_or_b32 exec_lo, exec_lo, s15
	scratch_store_b64 off, v[0:1], s32 offset:708 ; 8-byte Folded Spill
.LBB212_378:                            ;   in Loop: Header=BB212_15 Depth=1
	s_wait_xcnt 0x0
	s_or_b32 exec_lo, exec_lo, s14
	v_lshrrev_b16 v0, 8, v2
	s_mov_b32 s14, exec_lo
	s_delay_alu instid0(VALU_DEP_1)
	v_cmpx_ne_u16_e32 0, v0
	s_cbranch_execz .LBB212_386
; %bb.379:                              ;   in Loop: Header=BB212_15 Depth=1
	v_mov_b64_e32 v[4:5], 0x8000000000000000
	s_mov_b32 s15, exec_lo
	scratch_store_b64 off, v[4:5], s32 offset:428 ; 8-byte Folded Spill
	s_wait_xcnt 0x0
	v_cmpx_ne_u16_e32 0x80, v0
	s_cbranch_execz .LBB212_385
; %bb.380:                              ;   in Loop: Header=BB212_15 Depth=1
	v_and_b32_e32 v0, 0xffff, v0
	v_mov_b64_e32 v[6:7], 0x7f80000100000000
	s_mov_b32 s16, exec_lo
	s_delay_alu instid0(VALU_DEP_2)
	v_and_b32_e32 v4, 0x7f, v0
	scratch_store_b64 off, v[6:7], s32 offset:428 ; 8-byte Folded Spill
	s_wait_xcnt 0x0
	v_cmpx_ne_u32_e32 0x7f, v4
	s_cbranch_execz .LBB212_384
; %bb.381:                              ;   in Loop: Header=BB212_15 Depth=1
	scratch_load_b64 v[6:7], off, s32 offset:192 th:TH_LOAD_LU ; 8-byte Folded Reload
	v_lshrrev_b32_e32 v3, 3, v4
	s_mov_b32 s17, exec_lo
	s_wait_loadcnt 0x0
	v_dual_mov_b32 v1, v7 :: v_dual_bitop2_b32 v0, 7, v0 bitop3:0x40
	s_wait_xcnt 0x0
	v_cmpx_gt_u32_e32 8, v4
; %bb.382:                              ;   in Loop: Header=BB212_15 Depth=1
	s_delay_alu instid0(VALU_DEP_2) | instskip(NEXT) | instid1(VALU_DEP_1)
	v_clz_i32_u32_e32 v3, v0
	v_min_u32_e32 v3, 32, v3
	s_delay_alu instid0(VALU_DEP_1) | instskip(NEXT) | instid1(VALU_DEP_1)
	v_subrev_nc_u32_e32 v4, 28, v3
	v_lshlrev_b64_e32 v[4:5], v4, v[0:1]
	s_delay_alu instid0(VALU_DEP_1)
	v_dual_sub_nc_u32 v3, 29, v3 :: v_dual_bitop2_b32 v0, 7, v4 bitop3:0x40
; %bb.383:                              ;   in Loop: Header=BB212_15 Depth=1
	s_or_b32 exec_lo, exec_lo, s17
	s_delay_alu instid0(VALU_DEP_1) | instskip(NEXT) | instid1(VALU_DEP_2)
	v_dual_lshlrev_b32 v4, 16, v2 :: v_dual_lshlrev_b32 v0, 20, v0
	v_lshl_add_u32 v3, v3, 23, 0x3c000000
	s_delay_alu instid0(VALU_DEP_2) | instskip(NEXT) | instid1(VALU_DEP_1)
	v_and_b32_e32 v4, 0x80000000, v4
	v_or3_b32 v5, v0, v4, v3
	v_dual_mov_b32 v3, v1 :: v_dual_mov_b32 v4, v1
	s_clause 0x1
	scratch_store_b64 off, v[2:3], s32 offset:192
	scratch_store_b64 off, v[4:5], s32 offset:428
.LBB212_384:                            ;   in Loop: Header=BB212_15 Depth=1
	s_wait_xcnt 0x0
	s_or_b32 exec_lo, exec_lo, s16
.LBB212_385:                            ;   in Loop: Header=BB212_15 Depth=1
	s_delay_alu instid0(SALU_CYCLE_1)
	s_or_b32 exec_lo, exec_lo, s15
.LBB212_386:                            ;   in Loop: Header=BB212_15 Depth=1
	s_delay_alu instid0(SALU_CYCLE_1) | instskip(SKIP_3) | instid1(VALU_DEP_1)
	s_or_b32 exec_lo, exec_lo, s14
	v_mov_b64_e32 v[4:5], 0
	v_lshrrev_b32_e32 v3, 16, v2
	s_mov_b32 s14, exec_lo
	v_and_b32_e32 v0, 0xff, v3
	scratch_store_b64 off, v[4:5], s32 offset:436 ; 8-byte Folded Spill
	s_wait_xcnt 0x0
	v_mov_b64_e32 v[4:5], 0
	scratch_store_b64 off, v[4:5], s32 offset:716 ; 8-byte Folded Spill
	s_wait_xcnt 0x0
	v_cmpx_ne_u16_e32 0, v0
	s_cbranch_execz .LBB212_394
; %bb.387:                              ;   in Loop: Header=BB212_15 Depth=1
	v_cmp_ne_u16_e64 s1, 0x80, v0
	v_mov_b64_e32 v[0:1], 0x80000000
	s_and_saveexec_b32 s15, s1
	s_cbranch_execz .LBB212_393
; %bb.388:                              ;   in Loop: Header=BB212_15 Depth=1
	v_mov_b64_e32 v[0:1], 0x7f800001
	v_bfe_u32 v5, v2, 16, 7
	s_mov_b32 s16, exec_lo
	s_delay_alu instid0(VALU_DEP_1)
	v_cmpx_ne_u32_e32 0x7f, v5
	s_cbranch_execz .LBB212_392
; %bb.389:                              ;   in Loop: Header=BB212_15 Depth=1
	scratch_load_b64 v[0:1], off, s32 offset:192 th:TH_LOAD_LU ; 8-byte Folded Reload
	s_wait_loadcnt 0x0
	v_dual_lshrrev_b32 v4, 3, v5 :: v_dual_bitop2_b32 v0, 7, v3 bitop3:0x40
	s_mov_b32 s17, exec_lo
	s_wait_xcnt 0x0
	v_cmpx_gt_u32_e32 8, v5
; %bb.390:                              ;   in Loop: Header=BB212_15 Depth=1
	s_delay_alu instid0(VALU_DEP_2) | instskip(NEXT) | instid1(VALU_DEP_1)
	v_clz_i32_u32_e32 v4, v0
	v_min_u32_e32 v4, 32, v4
	s_delay_alu instid0(VALU_DEP_1) | instskip(NEXT) | instid1(VALU_DEP_1)
	v_subrev_nc_u32_e32 v5, 28, v4
	v_lshlrev_b64_e32 v[6:7], v5, v[0:1]
	s_delay_alu instid0(VALU_DEP_1)
	v_dual_sub_nc_u32 v4, 29, v4 :: v_dual_bitop2_b32 v0, 7, v6 bitop3:0x40
; %bb.391:                              ;   in Loop: Header=BB212_15 Depth=1
	s_or_b32 exec_lo, exec_lo, s17
	s_delay_alu instid0(VALU_DEP_1) | instskip(NEXT) | instid1(VALU_DEP_2)
	v_dual_lshlrev_b32 v3, 24, v3 :: v_dual_lshlrev_b32 v0, 20, v0
	v_lshl_add_u32 v4, v4, 23, 0x3c000000
	s_delay_alu instid0(VALU_DEP_2) | instskip(NEXT) | instid1(VALU_DEP_1)
	v_and_b32_e32 v3, 0x80000000, v3
	v_or3_b32 v0, v0, v3, v4
	v_mov_b32_e32 v3, v1
	scratch_store_b64 off, v[2:3], s32 offset:192 ; 8-byte Folded Spill
.LBB212_392:                            ;   in Loop: Header=BB212_15 Depth=1
	s_wait_xcnt 0x0
	s_or_b32 exec_lo, exec_lo, s16
.LBB212_393:                            ;   in Loop: Header=BB212_15 Depth=1
	s_delay_alu instid0(SALU_CYCLE_1)
	s_or_b32 exec_lo, exec_lo, s15
	scratch_store_b64 off, v[0:1], s32 offset:716 ; 8-byte Folded Spill
.LBB212_394:                            ;   in Loop: Header=BB212_15 Depth=1
	s_wait_xcnt 0x0
	s_or_b32 exec_lo, exec_lo, s14
	s_delay_alu instid0(SALU_CYCLE_1)
	s_mov_b32 s14, exec_lo
	v_cmpx_lt_u32_e32 0xffffff, v2
	s_cbranch_execz .LBB212_402
; %bb.395:                              ;   in Loop: Header=BB212_15 Depth=1
	v_mov_b64_e32 v[0:1], 0x8000000000000000
	v_lshrrev_b32_e32 v3, 24, v2
	s_mov_b32 s15, exec_lo
	scratch_store_b64 off, v[0:1], s32 offset:436 ; 8-byte Folded Spill
	s_wait_xcnt 0x0
	v_cmpx_ne_u32_e32 0x80, v3
	s_cbranch_execz .LBB212_401
; %bb.396:                              ;   in Loop: Header=BB212_15 Depth=1
	v_mov_b64_e32 v[0:1], 0x7f80000100000000
	v_bfe_u32 v4, v2, 24, 7
	s_mov_b32 s16, exec_lo
	scratch_store_b64 off, v[0:1], s32 offset:436 ; 8-byte Folded Spill
	s_wait_xcnt 0x0
	v_cmpx_ne_u32_e32 0x7f, v4
	s_cbranch_execz .LBB212_400
; %bb.397:                              ;   in Loop: Header=BB212_15 Depth=1
	scratch_load_b64 v[0:1], off, s32 offset:192 th:TH_LOAD_LU ; 8-byte Folded Reload
	s_wait_loadcnt 0x0
	v_dual_lshrrev_b32 v2, 3, v4 :: v_dual_bitop2_b32 v0, 7, v3 bitop3:0x40
	s_mov_b32 s17, exec_lo
	s_wait_xcnt 0x0
	v_cmpx_gt_u32_e32 8, v4
; %bb.398:                              ;   in Loop: Header=BB212_15 Depth=1
	s_delay_alu instid0(VALU_DEP_2) | instskip(NEXT) | instid1(VALU_DEP_1)
	v_clz_i32_u32_e32 v2, v0
	v_min_u32_e32 v2, 32, v2
	s_delay_alu instid0(VALU_DEP_1) | instskip(NEXT) | instid1(VALU_DEP_1)
	v_subrev_nc_u32_e32 v4, 28, v2
	v_lshlrev_b64_e32 v[4:5], v4, v[0:1]
	s_delay_alu instid0(VALU_DEP_1)
	v_dual_sub_nc_u32 v2, 29, v2 :: v_dual_bitop2_b32 v0, 7, v4 bitop3:0x40
; %bb.399:                              ;   in Loop: Header=BB212_15 Depth=1
	s_or_b32 exec_lo, exec_lo, s17
	s_delay_alu instid0(VALU_DEP_1) | instskip(NEXT) | instid1(VALU_DEP_2)
	v_dual_lshlrev_b32 v3, 24, v3 :: v_dual_lshlrev_b32 v0, 20, v0
	v_lshl_add_u32 v2, v2, 23, 0x3c000000
	v_mov_b32_e32 v4, v1
	s_delay_alu instid0(VALU_DEP_3) | instskip(NEXT) | instid1(VALU_DEP_1)
	v_and_b32_e32 v3, 0x80000000, v3
	v_or3_b32 v5, v0, v3, v2
	v_mov_b32_e32 v3, v1
	s_clause 0x1
	scratch_store_b64 off, v[4:5], s32 offset:436
	scratch_store_b64 off, v[2:3], s32 offset:192
.LBB212_400:                            ;   in Loop: Header=BB212_15 Depth=1
	s_wait_xcnt 0x0
	s_or_b32 exec_lo, exec_lo, s16
.LBB212_401:                            ;   in Loop: Header=BB212_15 Depth=1
	s_delay_alu instid0(SALU_CYCLE_1)
	s_or_b32 exec_lo, exec_lo, s15
.LBB212_402:                            ;   in Loop: Header=BB212_15 Depth=1
	s_delay_alu instid0(SALU_CYCLE_1)
	s_or_b32 exec_lo, exec_lo, s14
	flat_load_b32 v2, v[68:69] offset:1536
	v_mov_b64_e32 v[4:5], 0
	s_mov_b32 s14, exec_lo
	scratch_store_b64 off, v[4:5], s32 offset:444 ; 8-byte Folded Spill
	s_wait_xcnt 0x0
	v_mov_b64_e32 v[4:5], 0
	scratch_store_b64 off, v[4:5], s32 offset:724 ; 8-byte Folded Spill
	s_wait_loadcnt_dscnt 0x0
	v_and_b32_e32 v0, 0xff, v2
	s_wait_xcnt 0x0
	s_delay_alu instid0(VALU_DEP_1)
	v_cmpx_ne_u16_e32 0, v0
	s_cbranch_execz .LBB212_410
; %bb.403:                              ;   in Loop: Header=BB212_15 Depth=1
	v_cmp_ne_u16_e64 s1, 0x80, v0
	v_mov_b64_e32 v[0:1], 0x80000000
	s_and_saveexec_b32 s15, s1
	s_cbranch_execz .LBB212_409
; %bb.404:                              ;   in Loop: Header=BB212_15 Depth=1
	v_mov_b64_e32 v[0:1], 0x7f800001
	v_and_b32_e32 v4, 0x7f, v2
	s_mov_b32 s16, exec_lo
	s_delay_alu instid0(VALU_DEP_1)
	v_cmpx_ne_u32_e32 0x7f, v4
	s_cbranch_execz .LBB212_408
; %bb.405:                              ;   in Loop: Header=BB212_15 Depth=1
	scratch_load_b64 v[0:1], off, s32 offset:192 th:TH_LOAD_LU ; 8-byte Folded Reload
	s_wait_loadcnt 0x0
	v_dual_lshrrev_b32 v3, 3, v4 :: v_dual_bitop2_b32 v0, 7, v2 bitop3:0x40
	s_mov_b32 s17, exec_lo
	s_wait_xcnt 0x0
	v_cmpx_gt_u32_e32 8, v4
; %bb.406:                              ;   in Loop: Header=BB212_15 Depth=1
	s_delay_alu instid0(VALU_DEP_2) | instskip(NEXT) | instid1(VALU_DEP_1)
	v_clz_i32_u32_e32 v3, v0
	v_min_u32_e32 v3, 32, v3
	s_delay_alu instid0(VALU_DEP_1) | instskip(NEXT) | instid1(VALU_DEP_1)
	v_subrev_nc_u32_e32 v4, 28, v3
	v_lshlrev_b64_e32 v[4:5], v4, v[0:1]
	s_delay_alu instid0(VALU_DEP_1)
	v_dual_sub_nc_u32 v3, 29, v3 :: v_dual_bitop2_b32 v0, 7, v4 bitop3:0x40
; %bb.407:                              ;   in Loop: Header=BB212_15 Depth=1
	s_or_b32 exec_lo, exec_lo, s17
	s_delay_alu instid0(VALU_DEP_1) | instskip(NEXT) | instid1(VALU_DEP_2)
	v_dual_lshlrev_b32 v4, 24, v2 :: v_dual_lshlrev_b32 v0, 20, v0
	v_lshl_add_u32 v3, v3, 23, 0x3c000000
	s_delay_alu instid0(VALU_DEP_2) | instskip(NEXT) | instid1(VALU_DEP_1)
	v_and_b32_e32 v4, 0x80000000, v4
	v_or3_b32 v0, v0, v4, v3
	v_mov_b32_e32 v3, v1
	scratch_store_b64 off, v[2:3], s32 offset:192 ; 8-byte Folded Spill
.LBB212_408:                            ;   in Loop: Header=BB212_15 Depth=1
	s_wait_xcnt 0x0
	s_or_b32 exec_lo, exec_lo, s16
.LBB212_409:                            ;   in Loop: Header=BB212_15 Depth=1
	s_delay_alu instid0(SALU_CYCLE_1)
	s_or_b32 exec_lo, exec_lo, s15
	scratch_store_b64 off, v[0:1], s32 offset:724 ; 8-byte Folded Spill
.LBB212_410:                            ;   in Loop: Header=BB212_15 Depth=1
	s_wait_xcnt 0x0
	s_or_b32 exec_lo, exec_lo, s14
	v_lshrrev_b16 v0, 8, v2
	s_mov_b32 s14, exec_lo
	s_delay_alu instid0(VALU_DEP_1)
	v_cmpx_ne_u16_e32 0, v0
	s_cbranch_execz .LBB212_418
; %bb.411:                              ;   in Loop: Header=BB212_15 Depth=1
	v_mov_b64_e32 v[4:5], 0x8000000000000000
	s_mov_b32 s15, exec_lo
	scratch_store_b64 off, v[4:5], s32 offset:444 ; 8-byte Folded Spill
	s_wait_xcnt 0x0
	v_cmpx_ne_u16_e32 0x80, v0
	s_cbranch_execz .LBB212_417
; %bb.412:                              ;   in Loop: Header=BB212_15 Depth=1
	v_and_b32_e32 v0, 0xffff, v0
	v_mov_b64_e32 v[6:7], 0x7f80000100000000
	s_mov_b32 s16, exec_lo
	s_delay_alu instid0(VALU_DEP_2)
	v_and_b32_e32 v4, 0x7f, v0
	scratch_store_b64 off, v[6:7], s32 offset:444 ; 8-byte Folded Spill
	s_wait_xcnt 0x0
	v_cmpx_ne_u32_e32 0x7f, v4
	s_cbranch_execz .LBB212_416
; %bb.413:                              ;   in Loop: Header=BB212_15 Depth=1
	scratch_load_b64 v[6:7], off, s32 offset:192 th:TH_LOAD_LU ; 8-byte Folded Reload
	v_lshrrev_b32_e32 v3, 3, v4
	s_mov_b32 s17, exec_lo
	s_wait_loadcnt 0x0
	v_dual_mov_b32 v1, v7 :: v_dual_bitop2_b32 v0, 7, v0 bitop3:0x40
	s_wait_xcnt 0x0
	v_cmpx_gt_u32_e32 8, v4
; %bb.414:                              ;   in Loop: Header=BB212_15 Depth=1
	s_delay_alu instid0(VALU_DEP_2) | instskip(NEXT) | instid1(VALU_DEP_1)
	v_clz_i32_u32_e32 v3, v0
	v_min_u32_e32 v3, 32, v3
	s_delay_alu instid0(VALU_DEP_1) | instskip(NEXT) | instid1(VALU_DEP_1)
	v_subrev_nc_u32_e32 v4, 28, v3
	v_lshlrev_b64_e32 v[4:5], v4, v[0:1]
	s_delay_alu instid0(VALU_DEP_1)
	v_dual_sub_nc_u32 v3, 29, v3 :: v_dual_bitop2_b32 v0, 7, v4 bitop3:0x40
; %bb.415:                              ;   in Loop: Header=BB212_15 Depth=1
	s_or_b32 exec_lo, exec_lo, s17
	s_delay_alu instid0(VALU_DEP_1) | instskip(NEXT) | instid1(VALU_DEP_2)
	v_dual_lshlrev_b32 v4, 16, v2 :: v_dual_lshlrev_b32 v0, 20, v0
	v_lshl_add_u32 v3, v3, 23, 0x3c000000
	s_delay_alu instid0(VALU_DEP_2) | instskip(NEXT) | instid1(VALU_DEP_1)
	v_and_b32_e32 v4, 0x80000000, v4
	v_or3_b32 v5, v0, v4, v3
	v_dual_mov_b32 v3, v1 :: v_dual_mov_b32 v4, v1
	s_clause 0x1
	scratch_store_b64 off, v[2:3], s32 offset:192
	scratch_store_b64 off, v[4:5], s32 offset:444
.LBB212_416:                            ;   in Loop: Header=BB212_15 Depth=1
	s_wait_xcnt 0x0
	s_or_b32 exec_lo, exec_lo, s16
.LBB212_417:                            ;   in Loop: Header=BB212_15 Depth=1
	s_delay_alu instid0(SALU_CYCLE_1)
	s_or_b32 exec_lo, exec_lo, s15
.LBB212_418:                            ;   in Loop: Header=BB212_15 Depth=1
	s_delay_alu instid0(SALU_CYCLE_1) | instskip(SKIP_3) | instid1(VALU_DEP_1)
	s_or_b32 exec_lo, exec_lo, s14
	v_mov_b64_e32 v[4:5], 0
	v_lshrrev_b32_e32 v3, 16, v2
	s_mov_b32 s14, exec_lo
	v_and_b32_e32 v0, 0xff, v3
	scratch_store_b64 off, v[4:5], s32 offset:452 ; 8-byte Folded Spill
	s_wait_xcnt 0x0
	v_mov_b64_e32 v[4:5], 0
	scratch_store_b64 off, v[4:5], s32 offset:732 ; 8-byte Folded Spill
	s_wait_xcnt 0x0
	v_cmpx_ne_u16_e32 0, v0
	s_cbranch_execz .LBB212_426
; %bb.419:                              ;   in Loop: Header=BB212_15 Depth=1
	v_cmp_ne_u16_e64 s1, 0x80, v0
	v_mov_b64_e32 v[0:1], 0x80000000
	s_and_saveexec_b32 s15, s1
	s_cbranch_execz .LBB212_425
; %bb.420:                              ;   in Loop: Header=BB212_15 Depth=1
	v_mov_b64_e32 v[0:1], 0x7f800001
	v_bfe_u32 v5, v2, 16, 7
	s_mov_b32 s16, exec_lo
	s_delay_alu instid0(VALU_DEP_1)
	v_cmpx_ne_u32_e32 0x7f, v5
	s_cbranch_execz .LBB212_424
; %bb.421:                              ;   in Loop: Header=BB212_15 Depth=1
	scratch_load_b64 v[0:1], off, s32 offset:192 th:TH_LOAD_LU ; 8-byte Folded Reload
	s_wait_loadcnt 0x0
	v_dual_lshrrev_b32 v4, 3, v5 :: v_dual_bitop2_b32 v0, 7, v3 bitop3:0x40
	s_mov_b32 s17, exec_lo
	s_wait_xcnt 0x0
	v_cmpx_gt_u32_e32 8, v5
; %bb.422:                              ;   in Loop: Header=BB212_15 Depth=1
	s_delay_alu instid0(VALU_DEP_2) | instskip(NEXT) | instid1(VALU_DEP_1)
	v_clz_i32_u32_e32 v4, v0
	v_min_u32_e32 v4, 32, v4
	s_delay_alu instid0(VALU_DEP_1) | instskip(NEXT) | instid1(VALU_DEP_1)
	v_subrev_nc_u32_e32 v5, 28, v4
	v_lshlrev_b64_e32 v[6:7], v5, v[0:1]
	s_delay_alu instid0(VALU_DEP_1)
	v_dual_sub_nc_u32 v4, 29, v4 :: v_dual_bitop2_b32 v0, 7, v6 bitop3:0x40
; %bb.423:                              ;   in Loop: Header=BB212_15 Depth=1
	s_or_b32 exec_lo, exec_lo, s17
	s_delay_alu instid0(VALU_DEP_1) | instskip(NEXT) | instid1(VALU_DEP_2)
	v_dual_lshlrev_b32 v3, 24, v3 :: v_dual_lshlrev_b32 v0, 20, v0
	v_lshl_add_u32 v4, v4, 23, 0x3c000000
	s_delay_alu instid0(VALU_DEP_2) | instskip(NEXT) | instid1(VALU_DEP_1)
	v_and_b32_e32 v3, 0x80000000, v3
	v_or3_b32 v0, v0, v3, v4
	v_mov_b32_e32 v3, v1
	scratch_store_b64 off, v[2:3], s32 offset:192 ; 8-byte Folded Spill
.LBB212_424:                            ;   in Loop: Header=BB212_15 Depth=1
	s_wait_xcnt 0x0
	s_or_b32 exec_lo, exec_lo, s16
.LBB212_425:                            ;   in Loop: Header=BB212_15 Depth=1
	s_delay_alu instid0(SALU_CYCLE_1)
	s_or_b32 exec_lo, exec_lo, s15
	scratch_store_b64 off, v[0:1], s32 offset:732 ; 8-byte Folded Spill
.LBB212_426:                            ;   in Loop: Header=BB212_15 Depth=1
	s_wait_xcnt 0x0
	s_or_b32 exec_lo, exec_lo, s14
	s_delay_alu instid0(SALU_CYCLE_1)
	s_mov_b32 s14, exec_lo
	v_cmpx_lt_u32_e32 0xffffff, v2
	s_cbranch_execz .LBB212_434
; %bb.427:                              ;   in Loop: Header=BB212_15 Depth=1
	v_mov_b64_e32 v[0:1], 0x8000000000000000
	v_lshrrev_b32_e32 v3, 24, v2
	s_mov_b32 s15, exec_lo
	scratch_store_b64 off, v[0:1], s32 offset:452 ; 8-byte Folded Spill
	s_wait_xcnt 0x0
	v_cmpx_ne_u32_e32 0x80, v3
	s_cbranch_execz .LBB212_433
; %bb.428:                              ;   in Loop: Header=BB212_15 Depth=1
	v_mov_b64_e32 v[0:1], 0x7f80000100000000
	v_bfe_u32 v4, v2, 24, 7
	s_mov_b32 s16, exec_lo
	scratch_store_b64 off, v[0:1], s32 offset:452 ; 8-byte Folded Spill
	s_wait_xcnt 0x0
	v_cmpx_ne_u32_e32 0x7f, v4
	s_cbranch_execz .LBB212_432
; %bb.429:                              ;   in Loop: Header=BB212_15 Depth=1
	scratch_load_b64 v[0:1], off, s32 offset:192 th:TH_LOAD_LU ; 8-byte Folded Reload
	s_wait_loadcnt 0x0
	v_dual_lshrrev_b32 v2, 3, v4 :: v_dual_bitop2_b32 v0, 7, v3 bitop3:0x40
	s_mov_b32 s17, exec_lo
	s_wait_xcnt 0x0
	v_cmpx_gt_u32_e32 8, v4
; %bb.430:                              ;   in Loop: Header=BB212_15 Depth=1
	s_delay_alu instid0(VALU_DEP_2) | instskip(NEXT) | instid1(VALU_DEP_1)
	v_clz_i32_u32_e32 v2, v0
	v_min_u32_e32 v2, 32, v2
	s_delay_alu instid0(VALU_DEP_1) | instskip(NEXT) | instid1(VALU_DEP_1)
	v_subrev_nc_u32_e32 v4, 28, v2
	v_lshlrev_b64_e32 v[4:5], v4, v[0:1]
	s_delay_alu instid0(VALU_DEP_1)
	v_dual_sub_nc_u32 v2, 29, v2 :: v_dual_bitop2_b32 v0, 7, v4 bitop3:0x40
; %bb.431:                              ;   in Loop: Header=BB212_15 Depth=1
	s_or_b32 exec_lo, exec_lo, s17
	s_delay_alu instid0(VALU_DEP_1) | instskip(NEXT) | instid1(VALU_DEP_2)
	v_dual_lshlrev_b32 v3, 24, v3 :: v_dual_lshlrev_b32 v0, 20, v0
	v_lshl_add_u32 v2, v2, 23, 0x3c000000
	v_mov_b32_e32 v4, v1
	s_delay_alu instid0(VALU_DEP_3) | instskip(NEXT) | instid1(VALU_DEP_1)
	v_and_b32_e32 v3, 0x80000000, v3
	v_or3_b32 v5, v0, v3, v2
	v_mov_b32_e32 v3, v1
	s_clause 0x1
	scratch_store_b64 off, v[4:5], s32 offset:452
	scratch_store_b64 off, v[2:3], s32 offset:192
.LBB212_432:                            ;   in Loop: Header=BB212_15 Depth=1
	s_wait_xcnt 0x0
	s_or_b32 exec_lo, exec_lo, s16
.LBB212_433:                            ;   in Loop: Header=BB212_15 Depth=1
	s_delay_alu instid0(SALU_CYCLE_1)
	s_or_b32 exec_lo, exec_lo, s15
.LBB212_434:                            ;   in Loop: Header=BB212_15 Depth=1
	s_delay_alu instid0(SALU_CYCLE_1)
	s_or_b32 exec_lo, exec_lo, s14
	flat_load_b32 v2, v[68:69] offset:1540
	v_mov_b64_e32 v[4:5], 0
	s_mov_b32 s14, exec_lo
	scratch_store_b64 off, v[4:5], s32 offset:460 ; 8-byte Folded Spill
	s_wait_xcnt 0x0
	v_mov_b64_e32 v[4:5], 0
	scratch_store_b64 off, v[4:5], s32 offset:740 ; 8-byte Folded Spill
	s_wait_loadcnt_dscnt 0x0
	v_and_b32_e32 v0, 0xff, v2
	s_wait_xcnt 0x0
	s_delay_alu instid0(VALU_DEP_1)
	v_cmpx_ne_u16_e32 0, v0
	s_cbranch_execz .LBB212_442
; %bb.435:                              ;   in Loop: Header=BB212_15 Depth=1
	v_cmp_ne_u16_e64 s1, 0x80, v0
	v_mov_b64_e32 v[0:1], 0x80000000
	s_and_saveexec_b32 s15, s1
	s_cbranch_execz .LBB212_441
; %bb.436:                              ;   in Loop: Header=BB212_15 Depth=1
	v_mov_b64_e32 v[0:1], 0x7f800001
	v_and_b32_e32 v4, 0x7f, v2
	s_mov_b32 s16, exec_lo
	s_delay_alu instid0(VALU_DEP_1)
	v_cmpx_ne_u32_e32 0x7f, v4
	s_cbranch_execz .LBB212_440
; %bb.437:                              ;   in Loop: Header=BB212_15 Depth=1
	scratch_load_b64 v[0:1], off, s32 offset:192 th:TH_LOAD_LU ; 8-byte Folded Reload
	s_wait_loadcnt 0x0
	v_dual_lshrrev_b32 v3, 3, v4 :: v_dual_bitop2_b32 v0, 7, v2 bitop3:0x40
	s_mov_b32 s17, exec_lo
	s_wait_xcnt 0x0
	v_cmpx_gt_u32_e32 8, v4
; %bb.438:                              ;   in Loop: Header=BB212_15 Depth=1
	s_delay_alu instid0(VALU_DEP_2) | instskip(NEXT) | instid1(VALU_DEP_1)
	v_clz_i32_u32_e32 v3, v0
	v_min_u32_e32 v3, 32, v3
	s_delay_alu instid0(VALU_DEP_1) | instskip(NEXT) | instid1(VALU_DEP_1)
	v_subrev_nc_u32_e32 v4, 28, v3
	v_lshlrev_b64_e32 v[4:5], v4, v[0:1]
	s_delay_alu instid0(VALU_DEP_1)
	v_dual_sub_nc_u32 v3, 29, v3 :: v_dual_bitop2_b32 v0, 7, v4 bitop3:0x40
; %bb.439:                              ;   in Loop: Header=BB212_15 Depth=1
	s_or_b32 exec_lo, exec_lo, s17
	s_delay_alu instid0(VALU_DEP_1) | instskip(NEXT) | instid1(VALU_DEP_2)
	v_dual_lshlrev_b32 v4, 24, v2 :: v_dual_lshlrev_b32 v0, 20, v0
	v_lshl_add_u32 v3, v3, 23, 0x3c000000
	s_delay_alu instid0(VALU_DEP_2) | instskip(NEXT) | instid1(VALU_DEP_1)
	v_and_b32_e32 v4, 0x80000000, v4
	v_or3_b32 v0, v0, v4, v3
	v_mov_b32_e32 v3, v1
	scratch_store_b64 off, v[2:3], s32 offset:192 ; 8-byte Folded Spill
.LBB212_440:                            ;   in Loop: Header=BB212_15 Depth=1
	s_wait_xcnt 0x0
	s_or_b32 exec_lo, exec_lo, s16
.LBB212_441:                            ;   in Loop: Header=BB212_15 Depth=1
	s_delay_alu instid0(SALU_CYCLE_1)
	s_or_b32 exec_lo, exec_lo, s15
	scratch_store_b64 off, v[0:1], s32 offset:740 ; 8-byte Folded Spill
.LBB212_442:                            ;   in Loop: Header=BB212_15 Depth=1
	s_wait_xcnt 0x0
	s_or_b32 exec_lo, exec_lo, s14
	v_lshrrev_b16 v0, 8, v2
	s_mov_b32 s14, exec_lo
	s_delay_alu instid0(VALU_DEP_1)
	v_cmpx_ne_u16_e32 0, v0
	s_cbranch_execz .LBB212_450
; %bb.443:                              ;   in Loop: Header=BB212_15 Depth=1
	v_mov_b64_e32 v[4:5], 0x8000000000000000
	s_mov_b32 s15, exec_lo
	scratch_store_b64 off, v[4:5], s32 offset:460 ; 8-byte Folded Spill
	s_wait_xcnt 0x0
	v_cmpx_ne_u16_e32 0x80, v0
	s_cbranch_execz .LBB212_449
; %bb.444:                              ;   in Loop: Header=BB212_15 Depth=1
	v_and_b32_e32 v0, 0xffff, v0
	v_mov_b64_e32 v[6:7], 0x7f80000100000000
	s_mov_b32 s16, exec_lo
	s_delay_alu instid0(VALU_DEP_2)
	v_and_b32_e32 v4, 0x7f, v0
	scratch_store_b64 off, v[6:7], s32 offset:460 ; 8-byte Folded Spill
	s_wait_xcnt 0x0
	v_cmpx_ne_u32_e32 0x7f, v4
	s_cbranch_execz .LBB212_448
; %bb.445:                              ;   in Loop: Header=BB212_15 Depth=1
	scratch_load_b64 v[6:7], off, s32 offset:192 th:TH_LOAD_LU ; 8-byte Folded Reload
	v_lshrrev_b32_e32 v3, 3, v4
	s_mov_b32 s17, exec_lo
	s_wait_loadcnt 0x0
	v_dual_mov_b32 v1, v7 :: v_dual_bitop2_b32 v0, 7, v0 bitop3:0x40
	s_wait_xcnt 0x0
	v_cmpx_gt_u32_e32 8, v4
; %bb.446:                              ;   in Loop: Header=BB212_15 Depth=1
	s_delay_alu instid0(VALU_DEP_2) | instskip(NEXT) | instid1(VALU_DEP_1)
	v_clz_i32_u32_e32 v3, v0
	v_min_u32_e32 v3, 32, v3
	s_delay_alu instid0(VALU_DEP_1) | instskip(NEXT) | instid1(VALU_DEP_1)
	v_subrev_nc_u32_e32 v4, 28, v3
	v_lshlrev_b64_e32 v[4:5], v4, v[0:1]
	s_delay_alu instid0(VALU_DEP_1)
	v_dual_sub_nc_u32 v3, 29, v3 :: v_dual_bitop2_b32 v0, 7, v4 bitop3:0x40
; %bb.447:                              ;   in Loop: Header=BB212_15 Depth=1
	s_or_b32 exec_lo, exec_lo, s17
	s_delay_alu instid0(VALU_DEP_1) | instskip(NEXT) | instid1(VALU_DEP_2)
	v_dual_lshlrev_b32 v4, 16, v2 :: v_dual_lshlrev_b32 v0, 20, v0
	v_lshl_add_u32 v3, v3, 23, 0x3c000000
	s_delay_alu instid0(VALU_DEP_2) | instskip(NEXT) | instid1(VALU_DEP_1)
	v_and_b32_e32 v4, 0x80000000, v4
	v_or3_b32 v5, v0, v4, v3
	v_dual_mov_b32 v3, v1 :: v_dual_mov_b32 v4, v1
	s_clause 0x1
	scratch_store_b64 off, v[2:3], s32 offset:192
	scratch_store_b64 off, v[4:5], s32 offset:460
.LBB212_448:                            ;   in Loop: Header=BB212_15 Depth=1
	s_wait_xcnt 0x0
	s_or_b32 exec_lo, exec_lo, s16
.LBB212_449:                            ;   in Loop: Header=BB212_15 Depth=1
	s_delay_alu instid0(SALU_CYCLE_1)
	s_or_b32 exec_lo, exec_lo, s15
.LBB212_450:                            ;   in Loop: Header=BB212_15 Depth=1
	s_delay_alu instid0(SALU_CYCLE_1) | instskip(SKIP_3) | instid1(VALU_DEP_1)
	s_or_b32 exec_lo, exec_lo, s14
	v_mov_b64_e32 v[4:5], 0
	v_lshrrev_b32_e32 v3, 16, v2
	s_mov_b32 s14, exec_lo
	v_and_b32_e32 v0, 0xff, v3
	scratch_store_b64 off, v[4:5], s32 offset:468 ; 8-byte Folded Spill
	s_wait_xcnt 0x0
	v_mov_b64_e32 v[4:5], 0
	scratch_store_b64 off, v[4:5], s32 offset:748 ; 8-byte Folded Spill
	s_wait_xcnt 0x0
	v_cmpx_ne_u16_e32 0, v0
	s_cbranch_execz .LBB212_458
; %bb.451:                              ;   in Loop: Header=BB212_15 Depth=1
	v_cmp_ne_u16_e64 s1, 0x80, v0
	v_mov_b64_e32 v[0:1], 0x80000000
	s_and_saveexec_b32 s15, s1
	s_cbranch_execz .LBB212_457
; %bb.452:                              ;   in Loop: Header=BB212_15 Depth=1
	v_mov_b64_e32 v[0:1], 0x7f800001
	v_bfe_u32 v5, v2, 16, 7
	s_mov_b32 s16, exec_lo
	s_delay_alu instid0(VALU_DEP_1)
	v_cmpx_ne_u32_e32 0x7f, v5
	s_cbranch_execz .LBB212_456
; %bb.453:                              ;   in Loop: Header=BB212_15 Depth=1
	scratch_load_b64 v[0:1], off, s32 offset:192 th:TH_LOAD_LU ; 8-byte Folded Reload
	s_wait_loadcnt 0x0
	v_dual_lshrrev_b32 v4, 3, v5 :: v_dual_bitop2_b32 v0, 7, v3 bitop3:0x40
	s_mov_b32 s17, exec_lo
	s_wait_xcnt 0x0
	v_cmpx_gt_u32_e32 8, v5
; %bb.454:                              ;   in Loop: Header=BB212_15 Depth=1
	s_delay_alu instid0(VALU_DEP_2) | instskip(NEXT) | instid1(VALU_DEP_1)
	v_clz_i32_u32_e32 v4, v0
	v_min_u32_e32 v4, 32, v4
	s_delay_alu instid0(VALU_DEP_1) | instskip(NEXT) | instid1(VALU_DEP_1)
	v_subrev_nc_u32_e32 v5, 28, v4
	v_lshlrev_b64_e32 v[6:7], v5, v[0:1]
	s_delay_alu instid0(VALU_DEP_1)
	v_dual_sub_nc_u32 v4, 29, v4 :: v_dual_bitop2_b32 v0, 7, v6 bitop3:0x40
; %bb.455:                              ;   in Loop: Header=BB212_15 Depth=1
	s_or_b32 exec_lo, exec_lo, s17
	s_delay_alu instid0(VALU_DEP_1) | instskip(NEXT) | instid1(VALU_DEP_2)
	v_dual_lshlrev_b32 v3, 24, v3 :: v_dual_lshlrev_b32 v0, 20, v0
	v_lshl_add_u32 v4, v4, 23, 0x3c000000
	s_delay_alu instid0(VALU_DEP_2) | instskip(NEXT) | instid1(VALU_DEP_1)
	v_and_b32_e32 v3, 0x80000000, v3
	v_or3_b32 v0, v0, v3, v4
	v_mov_b32_e32 v3, v1
	scratch_store_b64 off, v[2:3], s32 offset:192 ; 8-byte Folded Spill
.LBB212_456:                            ;   in Loop: Header=BB212_15 Depth=1
	s_wait_xcnt 0x0
	s_or_b32 exec_lo, exec_lo, s16
.LBB212_457:                            ;   in Loop: Header=BB212_15 Depth=1
	s_delay_alu instid0(SALU_CYCLE_1)
	s_or_b32 exec_lo, exec_lo, s15
	scratch_store_b64 off, v[0:1], s32 offset:748 ; 8-byte Folded Spill
.LBB212_458:                            ;   in Loop: Header=BB212_15 Depth=1
	s_wait_xcnt 0x0
	s_or_b32 exec_lo, exec_lo, s14
	s_delay_alu instid0(SALU_CYCLE_1)
	s_mov_b32 s14, exec_lo
	v_cmpx_lt_u32_e32 0xffffff, v2
	s_cbranch_execz .LBB212_466
; %bb.459:                              ;   in Loop: Header=BB212_15 Depth=1
	v_mov_b64_e32 v[0:1], 0x8000000000000000
	v_lshrrev_b32_e32 v3, 24, v2
	s_mov_b32 s15, exec_lo
	scratch_store_b64 off, v[0:1], s32 offset:468 ; 8-byte Folded Spill
	s_wait_xcnt 0x0
	v_cmpx_ne_u32_e32 0x80, v3
	s_cbranch_execz .LBB212_465
; %bb.460:                              ;   in Loop: Header=BB212_15 Depth=1
	v_mov_b64_e32 v[0:1], 0x7f80000100000000
	v_bfe_u32 v4, v2, 24, 7
	s_mov_b32 s16, exec_lo
	scratch_store_b64 off, v[0:1], s32 offset:468 ; 8-byte Folded Spill
	s_wait_xcnt 0x0
	v_cmpx_ne_u32_e32 0x7f, v4
	s_cbranch_execz .LBB212_464
; %bb.461:                              ;   in Loop: Header=BB212_15 Depth=1
	scratch_load_b64 v[0:1], off, s32 offset:192 th:TH_LOAD_LU ; 8-byte Folded Reload
	s_wait_loadcnt 0x0
	v_dual_lshrrev_b32 v2, 3, v4 :: v_dual_bitop2_b32 v0, 7, v3 bitop3:0x40
	s_mov_b32 s17, exec_lo
	s_wait_xcnt 0x0
	v_cmpx_gt_u32_e32 8, v4
; %bb.462:                              ;   in Loop: Header=BB212_15 Depth=1
	s_delay_alu instid0(VALU_DEP_2) | instskip(NEXT) | instid1(VALU_DEP_1)
	v_clz_i32_u32_e32 v2, v0
	v_min_u32_e32 v2, 32, v2
	s_delay_alu instid0(VALU_DEP_1) | instskip(NEXT) | instid1(VALU_DEP_1)
	v_subrev_nc_u32_e32 v4, 28, v2
	v_lshlrev_b64_e32 v[4:5], v4, v[0:1]
	s_delay_alu instid0(VALU_DEP_1)
	v_dual_sub_nc_u32 v2, 29, v2 :: v_dual_bitop2_b32 v0, 7, v4 bitop3:0x40
; %bb.463:                              ;   in Loop: Header=BB212_15 Depth=1
	s_or_b32 exec_lo, exec_lo, s17
	s_delay_alu instid0(VALU_DEP_1) | instskip(NEXT) | instid1(VALU_DEP_2)
	v_dual_lshlrev_b32 v3, 24, v3 :: v_dual_lshlrev_b32 v0, 20, v0
	v_lshl_add_u32 v2, v2, 23, 0x3c000000
	v_mov_b32_e32 v4, v1
	s_delay_alu instid0(VALU_DEP_3) | instskip(NEXT) | instid1(VALU_DEP_1)
	v_and_b32_e32 v3, 0x80000000, v3
	v_or3_b32 v5, v0, v3, v2
	v_mov_b32_e32 v3, v1
	s_clause 0x1
	scratch_store_b64 off, v[4:5], s32 offset:468
	scratch_store_b64 off, v[2:3], s32 offset:192
.LBB212_464:                            ;   in Loop: Header=BB212_15 Depth=1
	s_wait_xcnt 0x0
	s_or_b32 exec_lo, exec_lo, s16
.LBB212_465:                            ;   in Loop: Header=BB212_15 Depth=1
	s_delay_alu instid0(SALU_CYCLE_1)
	s_or_b32 exec_lo, exec_lo, s15
.LBB212_466:                            ;   in Loop: Header=BB212_15 Depth=1
	s_delay_alu instid0(SALU_CYCLE_1)
	s_or_b32 exec_lo, exec_lo, s14
	flat_load_b32 v2, v[68:69] offset:1544
	v_mov_b64_e32 v[4:5], 0
	s_mov_b32 s14, exec_lo
	scratch_store_b64 off, v[4:5], s32 offset:476 ; 8-byte Folded Spill
	s_wait_xcnt 0x0
	v_mov_b64_e32 v[4:5], 0
	scratch_store_b64 off, v[4:5], s32 offset:756 ; 8-byte Folded Spill
	s_wait_loadcnt_dscnt 0x0
	v_and_b32_e32 v0, 0xff, v2
	s_wait_xcnt 0x0
	s_delay_alu instid0(VALU_DEP_1)
	v_cmpx_ne_u16_e32 0, v0
	s_cbranch_execz .LBB212_474
; %bb.467:                              ;   in Loop: Header=BB212_15 Depth=1
	v_cmp_ne_u16_e64 s1, 0x80, v0
	v_mov_b64_e32 v[0:1], 0x80000000
	s_and_saveexec_b32 s15, s1
	s_cbranch_execz .LBB212_473
; %bb.468:                              ;   in Loop: Header=BB212_15 Depth=1
	v_mov_b64_e32 v[0:1], 0x7f800001
	v_and_b32_e32 v4, 0x7f, v2
	s_mov_b32 s16, exec_lo
	s_delay_alu instid0(VALU_DEP_1)
	v_cmpx_ne_u32_e32 0x7f, v4
	s_cbranch_execz .LBB212_472
; %bb.469:                              ;   in Loop: Header=BB212_15 Depth=1
	scratch_load_b64 v[0:1], off, s32 offset:192 th:TH_LOAD_LU ; 8-byte Folded Reload
	s_wait_loadcnt 0x0
	v_dual_lshrrev_b32 v3, 3, v4 :: v_dual_bitop2_b32 v0, 7, v2 bitop3:0x40
	s_mov_b32 s17, exec_lo
	s_wait_xcnt 0x0
	v_cmpx_gt_u32_e32 8, v4
; %bb.470:                              ;   in Loop: Header=BB212_15 Depth=1
	s_delay_alu instid0(VALU_DEP_2) | instskip(NEXT) | instid1(VALU_DEP_1)
	v_clz_i32_u32_e32 v3, v0
	v_min_u32_e32 v3, 32, v3
	s_delay_alu instid0(VALU_DEP_1) | instskip(NEXT) | instid1(VALU_DEP_1)
	v_subrev_nc_u32_e32 v4, 28, v3
	v_lshlrev_b64_e32 v[4:5], v4, v[0:1]
	s_delay_alu instid0(VALU_DEP_1)
	v_dual_sub_nc_u32 v3, 29, v3 :: v_dual_bitop2_b32 v0, 7, v4 bitop3:0x40
; %bb.471:                              ;   in Loop: Header=BB212_15 Depth=1
	s_or_b32 exec_lo, exec_lo, s17
	s_delay_alu instid0(VALU_DEP_1) | instskip(NEXT) | instid1(VALU_DEP_2)
	v_dual_lshlrev_b32 v4, 24, v2 :: v_dual_lshlrev_b32 v0, 20, v0
	v_lshl_add_u32 v3, v3, 23, 0x3c000000
	s_delay_alu instid0(VALU_DEP_2) | instskip(NEXT) | instid1(VALU_DEP_1)
	v_and_b32_e32 v4, 0x80000000, v4
	v_or3_b32 v0, v0, v4, v3
	v_mov_b32_e32 v3, v1
	scratch_store_b64 off, v[2:3], s32 offset:192 ; 8-byte Folded Spill
.LBB212_472:                            ;   in Loop: Header=BB212_15 Depth=1
	s_wait_xcnt 0x0
	s_or_b32 exec_lo, exec_lo, s16
.LBB212_473:                            ;   in Loop: Header=BB212_15 Depth=1
	s_delay_alu instid0(SALU_CYCLE_1)
	s_or_b32 exec_lo, exec_lo, s15
	scratch_store_b64 off, v[0:1], s32 offset:756 ; 8-byte Folded Spill
.LBB212_474:                            ;   in Loop: Header=BB212_15 Depth=1
	s_wait_xcnt 0x0
	s_or_b32 exec_lo, exec_lo, s14
	v_lshrrev_b16 v0, 8, v2
	s_mov_b32 s14, exec_lo
	s_delay_alu instid0(VALU_DEP_1)
	v_cmpx_ne_u16_e32 0, v0
	s_cbranch_execz .LBB212_482
; %bb.475:                              ;   in Loop: Header=BB212_15 Depth=1
	v_mov_b64_e32 v[4:5], 0x8000000000000000
	s_mov_b32 s15, exec_lo
	scratch_store_b64 off, v[4:5], s32 offset:476 ; 8-byte Folded Spill
	s_wait_xcnt 0x0
	v_cmpx_ne_u16_e32 0x80, v0
	s_cbranch_execz .LBB212_481
; %bb.476:                              ;   in Loop: Header=BB212_15 Depth=1
	v_and_b32_e32 v0, 0xffff, v0
	v_mov_b64_e32 v[6:7], 0x7f80000100000000
	s_mov_b32 s16, exec_lo
	s_delay_alu instid0(VALU_DEP_2)
	v_and_b32_e32 v4, 0x7f, v0
	scratch_store_b64 off, v[6:7], s32 offset:476 ; 8-byte Folded Spill
	s_wait_xcnt 0x0
	v_cmpx_ne_u32_e32 0x7f, v4
	s_cbranch_execz .LBB212_480
; %bb.477:                              ;   in Loop: Header=BB212_15 Depth=1
	scratch_load_b64 v[6:7], off, s32 offset:192 th:TH_LOAD_LU ; 8-byte Folded Reload
	v_lshrrev_b32_e32 v3, 3, v4
	s_mov_b32 s17, exec_lo
	s_wait_loadcnt 0x0
	v_dual_mov_b32 v1, v7 :: v_dual_bitop2_b32 v0, 7, v0 bitop3:0x40
	s_wait_xcnt 0x0
	v_cmpx_gt_u32_e32 8, v4
; %bb.478:                              ;   in Loop: Header=BB212_15 Depth=1
	s_delay_alu instid0(VALU_DEP_2) | instskip(NEXT) | instid1(VALU_DEP_1)
	v_clz_i32_u32_e32 v3, v0
	v_min_u32_e32 v3, 32, v3
	s_delay_alu instid0(VALU_DEP_1) | instskip(NEXT) | instid1(VALU_DEP_1)
	v_subrev_nc_u32_e32 v4, 28, v3
	v_lshlrev_b64_e32 v[4:5], v4, v[0:1]
	s_delay_alu instid0(VALU_DEP_1)
	v_dual_sub_nc_u32 v3, 29, v3 :: v_dual_bitop2_b32 v0, 7, v4 bitop3:0x40
; %bb.479:                              ;   in Loop: Header=BB212_15 Depth=1
	s_or_b32 exec_lo, exec_lo, s17
	s_delay_alu instid0(VALU_DEP_1) | instskip(NEXT) | instid1(VALU_DEP_2)
	v_dual_lshlrev_b32 v4, 16, v2 :: v_dual_lshlrev_b32 v0, 20, v0
	v_lshl_add_u32 v3, v3, 23, 0x3c000000
	s_delay_alu instid0(VALU_DEP_2) | instskip(NEXT) | instid1(VALU_DEP_1)
	v_and_b32_e32 v4, 0x80000000, v4
	v_or3_b32 v5, v0, v4, v3
	v_dual_mov_b32 v3, v1 :: v_dual_mov_b32 v4, v1
	s_clause 0x1
	scratch_store_b64 off, v[2:3], s32 offset:192
	scratch_store_b64 off, v[4:5], s32 offset:476
.LBB212_480:                            ;   in Loop: Header=BB212_15 Depth=1
	s_wait_xcnt 0x0
	s_or_b32 exec_lo, exec_lo, s16
.LBB212_481:                            ;   in Loop: Header=BB212_15 Depth=1
	s_delay_alu instid0(SALU_CYCLE_1)
	s_or_b32 exec_lo, exec_lo, s15
.LBB212_482:                            ;   in Loop: Header=BB212_15 Depth=1
	s_delay_alu instid0(SALU_CYCLE_1) | instskip(SKIP_3) | instid1(VALU_DEP_1)
	s_or_b32 exec_lo, exec_lo, s14
	v_mov_b64_e32 v[4:5], 0
	v_lshrrev_b32_e32 v3, 16, v2
	s_mov_b32 s14, exec_lo
	v_and_b32_e32 v0, 0xff, v3
	scratch_store_b64 off, v[4:5], s32 offset:484 ; 8-byte Folded Spill
	s_wait_xcnt 0x0
	v_mov_b64_e32 v[4:5], 0
	scratch_store_b64 off, v[4:5], s32 offset:764 ; 8-byte Folded Spill
	s_wait_xcnt 0x0
	v_cmpx_ne_u16_e32 0, v0
	s_cbranch_execz .LBB212_490
; %bb.483:                              ;   in Loop: Header=BB212_15 Depth=1
	v_cmp_ne_u16_e64 s1, 0x80, v0
	v_mov_b64_e32 v[0:1], 0x80000000
	s_and_saveexec_b32 s15, s1
	s_cbranch_execz .LBB212_489
; %bb.484:                              ;   in Loop: Header=BB212_15 Depth=1
	v_mov_b64_e32 v[0:1], 0x7f800001
	v_bfe_u32 v5, v2, 16, 7
	s_mov_b32 s16, exec_lo
	s_delay_alu instid0(VALU_DEP_1)
	v_cmpx_ne_u32_e32 0x7f, v5
	s_cbranch_execz .LBB212_488
; %bb.485:                              ;   in Loop: Header=BB212_15 Depth=1
	scratch_load_b64 v[0:1], off, s32 offset:192 th:TH_LOAD_LU ; 8-byte Folded Reload
	s_wait_loadcnt 0x0
	v_dual_lshrrev_b32 v4, 3, v5 :: v_dual_bitop2_b32 v0, 7, v3 bitop3:0x40
	s_mov_b32 s17, exec_lo
	s_wait_xcnt 0x0
	v_cmpx_gt_u32_e32 8, v5
; %bb.486:                              ;   in Loop: Header=BB212_15 Depth=1
	s_delay_alu instid0(VALU_DEP_2) | instskip(NEXT) | instid1(VALU_DEP_1)
	v_clz_i32_u32_e32 v4, v0
	v_min_u32_e32 v4, 32, v4
	s_delay_alu instid0(VALU_DEP_1) | instskip(NEXT) | instid1(VALU_DEP_1)
	v_subrev_nc_u32_e32 v5, 28, v4
	v_lshlrev_b64_e32 v[6:7], v5, v[0:1]
	s_delay_alu instid0(VALU_DEP_1)
	v_dual_sub_nc_u32 v4, 29, v4 :: v_dual_bitop2_b32 v0, 7, v6 bitop3:0x40
; %bb.487:                              ;   in Loop: Header=BB212_15 Depth=1
	s_or_b32 exec_lo, exec_lo, s17
	s_delay_alu instid0(VALU_DEP_1) | instskip(NEXT) | instid1(VALU_DEP_2)
	v_dual_lshlrev_b32 v3, 24, v3 :: v_dual_lshlrev_b32 v0, 20, v0
	v_lshl_add_u32 v4, v4, 23, 0x3c000000
	s_delay_alu instid0(VALU_DEP_2) | instskip(NEXT) | instid1(VALU_DEP_1)
	v_and_b32_e32 v3, 0x80000000, v3
	v_or3_b32 v0, v0, v3, v4
	v_mov_b32_e32 v3, v1
	scratch_store_b64 off, v[2:3], s32 offset:192 ; 8-byte Folded Spill
.LBB212_488:                            ;   in Loop: Header=BB212_15 Depth=1
	s_wait_xcnt 0x0
	s_or_b32 exec_lo, exec_lo, s16
.LBB212_489:                            ;   in Loop: Header=BB212_15 Depth=1
	s_delay_alu instid0(SALU_CYCLE_1)
	s_or_b32 exec_lo, exec_lo, s15
	scratch_store_b64 off, v[0:1], s32 offset:764 ; 8-byte Folded Spill
.LBB212_490:                            ;   in Loop: Header=BB212_15 Depth=1
	s_wait_xcnt 0x0
	s_or_b32 exec_lo, exec_lo, s14
	s_delay_alu instid0(SALU_CYCLE_1)
	s_mov_b32 s14, exec_lo
	v_cmpx_lt_u32_e32 0xffffff, v2
	s_cbranch_execz .LBB212_498
; %bb.491:                              ;   in Loop: Header=BB212_15 Depth=1
	v_mov_b64_e32 v[0:1], 0x8000000000000000
	v_lshrrev_b32_e32 v3, 24, v2
	s_mov_b32 s15, exec_lo
	scratch_store_b64 off, v[0:1], s32 offset:484 ; 8-byte Folded Spill
	s_wait_xcnt 0x0
	v_cmpx_ne_u32_e32 0x80, v3
	s_cbranch_execz .LBB212_497
; %bb.492:                              ;   in Loop: Header=BB212_15 Depth=1
	v_mov_b64_e32 v[0:1], 0x7f80000100000000
	v_bfe_u32 v4, v2, 24, 7
	s_mov_b32 s16, exec_lo
	scratch_store_b64 off, v[0:1], s32 offset:484 ; 8-byte Folded Spill
	s_wait_xcnt 0x0
	v_cmpx_ne_u32_e32 0x7f, v4
	s_cbranch_execz .LBB212_496
; %bb.493:                              ;   in Loop: Header=BB212_15 Depth=1
	scratch_load_b64 v[0:1], off, s32 offset:192 th:TH_LOAD_LU ; 8-byte Folded Reload
	s_wait_loadcnt 0x0
	v_dual_lshrrev_b32 v2, 3, v4 :: v_dual_bitop2_b32 v0, 7, v3 bitop3:0x40
	s_mov_b32 s17, exec_lo
	s_wait_xcnt 0x0
	v_cmpx_gt_u32_e32 8, v4
; %bb.494:                              ;   in Loop: Header=BB212_15 Depth=1
	s_delay_alu instid0(VALU_DEP_2) | instskip(NEXT) | instid1(VALU_DEP_1)
	v_clz_i32_u32_e32 v2, v0
	v_min_u32_e32 v2, 32, v2
	s_delay_alu instid0(VALU_DEP_1) | instskip(NEXT) | instid1(VALU_DEP_1)
	v_subrev_nc_u32_e32 v4, 28, v2
	v_lshlrev_b64_e32 v[4:5], v4, v[0:1]
	s_delay_alu instid0(VALU_DEP_1)
	v_dual_sub_nc_u32 v2, 29, v2 :: v_dual_bitop2_b32 v0, 7, v4 bitop3:0x40
; %bb.495:                              ;   in Loop: Header=BB212_15 Depth=1
	s_or_b32 exec_lo, exec_lo, s17
	s_delay_alu instid0(VALU_DEP_1) | instskip(NEXT) | instid1(VALU_DEP_2)
	v_dual_lshlrev_b32 v3, 24, v3 :: v_dual_lshlrev_b32 v0, 20, v0
	v_lshl_add_u32 v2, v2, 23, 0x3c000000
	v_mov_b32_e32 v4, v1
	s_delay_alu instid0(VALU_DEP_3) | instskip(NEXT) | instid1(VALU_DEP_1)
	v_and_b32_e32 v3, 0x80000000, v3
	v_or3_b32 v5, v0, v3, v2
	v_mov_b32_e32 v3, v1
	s_clause 0x1
	scratch_store_b64 off, v[4:5], s32 offset:484
	scratch_store_b64 off, v[2:3], s32 offset:192
.LBB212_496:                            ;   in Loop: Header=BB212_15 Depth=1
	s_wait_xcnt 0x0
	s_or_b32 exec_lo, exec_lo, s16
.LBB212_497:                            ;   in Loop: Header=BB212_15 Depth=1
	s_delay_alu instid0(SALU_CYCLE_1)
	s_or_b32 exec_lo, exec_lo, s15
.LBB212_498:                            ;   in Loop: Header=BB212_15 Depth=1
	s_delay_alu instid0(SALU_CYCLE_1)
	s_or_b32 exec_lo, exec_lo, s14
	flat_load_b32 v2, v[68:69] offset:1548
	v_mov_b64_e32 v[4:5], 0
	s_mov_b32 s14, exec_lo
	scratch_store_b64 off, v[4:5], s32 offset:492 ; 8-byte Folded Spill
	s_wait_xcnt 0x0
	v_mov_b64_e32 v[4:5], 0
	scratch_store_b64 off, v[4:5], s32 offset:772 ; 8-byte Folded Spill
	s_wait_loadcnt_dscnt 0x0
	v_and_b32_e32 v0, 0xff, v2
	s_wait_xcnt 0x0
	s_delay_alu instid0(VALU_DEP_1)
	v_cmpx_ne_u16_e32 0, v0
	s_cbranch_execz .LBB212_506
; %bb.499:                              ;   in Loop: Header=BB212_15 Depth=1
	v_cmp_ne_u16_e64 s1, 0x80, v0
	v_mov_b64_e32 v[0:1], 0x80000000
	s_and_saveexec_b32 s15, s1
	s_cbranch_execz .LBB212_505
; %bb.500:                              ;   in Loop: Header=BB212_15 Depth=1
	v_mov_b64_e32 v[0:1], 0x7f800001
	v_and_b32_e32 v4, 0x7f, v2
	s_mov_b32 s16, exec_lo
	s_delay_alu instid0(VALU_DEP_1)
	v_cmpx_ne_u32_e32 0x7f, v4
	s_cbranch_execz .LBB212_504
; %bb.501:                              ;   in Loop: Header=BB212_15 Depth=1
	scratch_load_b64 v[0:1], off, s32 offset:192 th:TH_LOAD_LU ; 8-byte Folded Reload
	s_wait_loadcnt 0x0
	v_dual_lshrrev_b32 v3, 3, v4 :: v_dual_bitop2_b32 v0, 7, v2 bitop3:0x40
	s_mov_b32 s17, exec_lo
	s_wait_xcnt 0x0
	v_cmpx_gt_u32_e32 8, v4
; %bb.502:                              ;   in Loop: Header=BB212_15 Depth=1
	s_delay_alu instid0(VALU_DEP_2) | instskip(NEXT) | instid1(VALU_DEP_1)
	v_clz_i32_u32_e32 v3, v0
	v_min_u32_e32 v3, 32, v3
	s_delay_alu instid0(VALU_DEP_1) | instskip(NEXT) | instid1(VALU_DEP_1)
	v_subrev_nc_u32_e32 v4, 28, v3
	v_lshlrev_b64_e32 v[4:5], v4, v[0:1]
	s_delay_alu instid0(VALU_DEP_1)
	v_dual_sub_nc_u32 v3, 29, v3 :: v_dual_bitop2_b32 v0, 7, v4 bitop3:0x40
; %bb.503:                              ;   in Loop: Header=BB212_15 Depth=1
	s_or_b32 exec_lo, exec_lo, s17
	s_delay_alu instid0(VALU_DEP_1) | instskip(NEXT) | instid1(VALU_DEP_2)
	v_dual_lshlrev_b32 v4, 24, v2 :: v_dual_lshlrev_b32 v0, 20, v0
	v_lshl_add_u32 v3, v3, 23, 0x3c000000
	s_delay_alu instid0(VALU_DEP_2) | instskip(NEXT) | instid1(VALU_DEP_1)
	v_and_b32_e32 v4, 0x80000000, v4
	v_or3_b32 v0, v0, v4, v3
	v_mov_b32_e32 v3, v1
	scratch_store_b64 off, v[2:3], s32 offset:192 ; 8-byte Folded Spill
.LBB212_504:                            ;   in Loop: Header=BB212_15 Depth=1
	s_wait_xcnt 0x0
	s_or_b32 exec_lo, exec_lo, s16
.LBB212_505:                            ;   in Loop: Header=BB212_15 Depth=1
	s_delay_alu instid0(SALU_CYCLE_1)
	s_or_b32 exec_lo, exec_lo, s15
	scratch_store_b64 off, v[0:1], s32 offset:772 ; 8-byte Folded Spill
.LBB212_506:                            ;   in Loop: Header=BB212_15 Depth=1
	s_wait_xcnt 0x0
	s_or_b32 exec_lo, exec_lo, s14
	v_lshrrev_b16 v0, 8, v2
	s_mov_b32 s14, exec_lo
	s_delay_alu instid0(VALU_DEP_1)
	v_cmpx_ne_u16_e32 0, v0
	s_cbranch_execz .LBB212_514
; %bb.507:                              ;   in Loop: Header=BB212_15 Depth=1
	v_mov_b64_e32 v[4:5], 0x8000000000000000
	s_mov_b32 s15, exec_lo
	scratch_store_b64 off, v[4:5], s32 offset:492 ; 8-byte Folded Spill
	s_wait_xcnt 0x0
	v_cmpx_ne_u16_e32 0x80, v0
	s_cbranch_execz .LBB212_513
; %bb.508:                              ;   in Loop: Header=BB212_15 Depth=1
	v_and_b32_e32 v0, 0xffff, v0
	v_mov_b64_e32 v[6:7], 0x7f80000100000000
	s_mov_b32 s16, exec_lo
	s_delay_alu instid0(VALU_DEP_2)
	v_and_b32_e32 v4, 0x7f, v0
	scratch_store_b64 off, v[6:7], s32 offset:492 ; 8-byte Folded Spill
	s_wait_xcnt 0x0
	v_cmpx_ne_u32_e32 0x7f, v4
	s_cbranch_execz .LBB212_512
; %bb.509:                              ;   in Loop: Header=BB212_15 Depth=1
	scratch_load_b64 v[6:7], off, s32 offset:192 th:TH_LOAD_LU ; 8-byte Folded Reload
	v_lshrrev_b32_e32 v3, 3, v4
	s_mov_b32 s17, exec_lo
	s_wait_loadcnt 0x0
	v_dual_mov_b32 v1, v7 :: v_dual_bitop2_b32 v0, 7, v0 bitop3:0x40
	s_wait_xcnt 0x0
	v_cmpx_gt_u32_e32 8, v4
; %bb.510:                              ;   in Loop: Header=BB212_15 Depth=1
	s_delay_alu instid0(VALU_DEP_2) | instskip(NEXT) | instid1(VALU_DEP_1)
	v_clz_i32_u32_e32 v3, v0
	v_min_u32_e32 v3, 32, v3
	s_delay_alu instid0(VALU_DEP_1) | instskip(NEXT) | instid1(VALU_DEP_1)
	v_subrev_nc_u32_e32 v4, 28, v3
	v_lshlrev_b64_e32 v[4:5], v4, v[0:1]
	s_delay_alu instid0(VALU_DEP_1)
	v_dual_sub_nc_u32 v3, 29, v3 :: v_dual_bitop2_b32 v0, 7, v4 bitop3:0x40
; %bb.511:                              ;   in Loop: Header=BB212_15 Depth=1
	s_or_b32 exec_lo, exec_lo, s17
	s_delay_alu instid0(VALU_DEP_1) | instskip(NEXT) | instid1(VALU_DEP_2)
	v_dual_lshlrev_b32 v4, 16, v2 :: v_dual_lshlrev_b32 v0, 20, v0
	v_lshl_add_u32 v3, v3, 23, 0x3c000000
	s_delay_alu instid0(VALU_DEP_2) | instskip(NEXT) | instid1(VALU_DEP_1)
	v_and_b32_e32 v4, 0x80000000, v4
	v_or3_b32 v5, v0, v4, v3
	v_dual_mov_b32 v3, v1 :: v_dual_mov_b32 v4, v1
	s_clause 0x1
	scratch_store_b64 off, v[2:3], s32 offset:192
	scratch_store_b64 off, v[4:5], s32 offset:492
.LBB212_512:                            ;   in Loop: Header=BB212_15 Depth=1
	s_wait_xcnt 0x0
	s_or_b32 exec_lo, exec_lo, s16
.LBB212_513:                            ;   in Loop: Header=BB212_15 Depth=1
	s_delay_alu instid0(SALU_CYCLE_1)
	s_or_b32 exec_lo, exec_lo, s15
.LBB212_514:                            ;   in Loop: Header=BB212_15 Depth=1
	s_delay_alu instid0(SALU_CYCLE_1) | instskip(SKIP_3) | instid1(VALU_DEP_1)
	s_or_b32 exec_lo, exec_lo, s14
	v_mov_b64_e32 v[4:5], 0
	v_lshrrev_b32_e32 v3, 16, v2
	s_mov_b32 s14, exec_lo
	v_and_b32_e32 v0, 0xff, v3
	scratch_store_b64 off, v[4:5], s32 offset:500 ; 8-byte Folded Spill
	s_wait_xcnt 0x0
	v_mov_b64_e32 v[4:5], 0
	scratch_store_b64 off, v[4:5], s32 offset:780 ; 8-byte Folded Spill
	s_wait_xcnt 0x0
	v_cmpx_ne_u16_e32 0, v0
	s_cbranch_execz .LBB212_522
; %bb.515:                              ;   in Loop: Header=BB212_15 Depth=1
	v_cmp_ne_u16_e64 s1, 0x80, v0
	v_mov_b64_e32 v[0:1], 0x80000000
	s_and_saveexec_b32 s15, s1
	s_cbranch_execz .LBB212_521
; %bb.516:                              ;   in Loop: Header=BB212_15 Depth=1
	v_mov_b64_e32 v[0:1], 0x7f800001
	v_bfe_u32 v5, v2, 16, 7
	s_mov_b32 s16, exec_lo
	s_delay_alu instid0(VALU_DEP_1)
	v_cmpx_ne_u32_e32 0x7f, v5
	s_cbranch_execz .LBB212_520
; %bb.517:                              ;   in Loop: Header=BB212_15 Depth=1
	scratch_load_b64 v[0:1], off, s32 offset:192 th:TH_LOAD_LU ; 8-byte Folded Reload
	s_wait_loadcnt 0x0
	v_dual_lshrrev_b32 v4, 3, v5 :: v_dual_bitop2_b32 v0, 7, v3 bitop3:0x40
	s_mov_b32 s17, exec_lo
	s_wait_xcnt 0x0
	v_cmpx_gt_u32_e32 8, v5
; %bb.518:                              ;   in Loop: Header=BB212_15 Depth=1
	s_delay_alu instid0(VALU_DEP_2) | instskip(NEXT) | instid1(VALU_DEP_1)
	v_clz_i32_u32_e32 v4, v0
	v_min_u32_e32 v4, 32, v4
	s_delay_alu instid0(VALU_DEP_1) | instskip(NEXT) | instid1(VALU_DEP_1)
	v_subrev_nc_u32_e32 v5, 28, v4
	v_lshlrev_b64_e32 v[6:7], v5, v[0:1]
	s_delay_alu instid0(VALU_DEP_1)
	v_dual_sub_nc_u32 v4, 29, v4 :: v_dual_bitop2_b32 v0, 7, v6 bitop3:0x40
; %bb.519:                              ;   in Loop: Header=BB212_15 Depth=1
	s_or_b32 exec_lo, exec_lo, s17
	s_delay_alu instid0(VALU_DEP_1) | instskip(NEXT) | instid1(VALU_DEP_2)
	v_dual_lshlrev_b32 v3, 24, v3 :: v_dual_lshlrev_b32 v0, 20, v0
	v_lshl_add_u32 v4, v4, 23, 0x3c000000
	s_delay_alu instid0(VALU_DEP_2) | instskip(NEXT) | instid1(VALU_DEP_1)
	v_and_b32_e32 v3, 0x80000000, v3
	v_or3_b32 v0, v0, v3, v4
	v_mov_b32_e32 v3, v1
	scratch_store_b64 off, v[2:3], s32 offset:192 ; 8-byte Folded Spill
.LBB212_520:                            ;   in Loop: Header=BB212_15 Depth=1
	s_wait_xcnt 0x0
	s_or_b32 exec_lo, exec_lo, s16
.LBB212_521:                            ;   in Loop: Header=BB212_15 Depth=1
	s_delay_alu instid0(SALU_CYCLE_1)
	s_or_b32 exec_lo, exec_lo, s15
	scratch_store_b64 off, v[0:1], s32 offset:780 ; 8-byte Folded Spill
.LBB212_522:                            ;   in Loop: Header=BB212_15 Depth=1
	s_wait_xcnt 0x0
	s_or_b32 exec_lo, exec_lo, s14
	s_delay_alu instid0(SALU_CYCLE_1)
	s_mov_b32 s14, exec_lo
	v_cmpx_lt_u32_e32 0xffffff, v2
	s_cbranch_execz .LBB212_530
; %bb.523:                              ;   in Loop: Header=BB212_15 Depth=1
	v_mov_b64_e32 v[0:1], 0x8000000000000000
	v_lshrrev_b32_e32 v3, 24, v2
	s_mov_b32 s15, exec_lo
	scratch_store_b64 off, v[0:1], s32 offset:500 ; 8-byte Folded Spill
	s_wait_xcnt 0x0
	v_cmpx_ne_u32_e32 0x80, v3
	s_cbranch_execz .LBB212_529
; %bb.524:                              ;   in Loop: Header=BB212_15 Depth=1
	v_mov_b64_e32 v[0:1], 0x7f80000100000000
	v_bfe_u32 v4, v2, 24, 7
	s_mov_b32 s16, exec_lo
	scratch_store_b64 off, v[0:1], s32 offset:500 ; 8-byte Folded Spill
	s_wait_xcnt 0x0
	v_cmpx_ne_u32_e32 0x7f, v4
	s_cbranch_execz .LBB212_528
; %bb.525:                              ;   in Loop: Header=BB212_15 Depth=1
	scratch_load_b64 v[0:1], off, s32 offset:192 th:TH_LOAD_LU ; 8-byte Folded Reload
	s_wait_loadcnt 0x0
	v_dual_lshrrev_b32 v2, 3, v4 :: v_dual_bitop2_b32 v0, 7, v3 bitop3:0x40
	s_mov_b32 s17, exec_lo
	s_wait_xcnt 0x0
	v_cmpx_gt_u32_e32 8, v4
; %bb.526:                              ;   in Loop: Header=BB212_15 Depth=1
	s_delay_alu instid0(VALU_DEP_2) | instskip(NEXT) | instid1(VALU_DEP_1)
	v_clz_i32_u32_e32 v2, v0
	v_min_u32_e32 v2, 32, v2
	s_delay_alu instid0(VALU_DEP_1) | instskip(NEXT) | instid1(VALU_DEP_1)
	v_subrev_nc_u32_e32 v4, 28, v2
	v_lshlrev_b64_e32 v[4:5], v4, v[0:1]
	s_delay_alu instid0(VALU_DEP_1)
	v_dual_sub_nc_u32 v2, 29, v2 :: v_dual_bitop2_b32 v0, 7, v4 bitop3:0x40
; %bb.527:                              ;   in Loop: Header=BB212_15 Depth=1
	s_or_b32 exec_lo, exec_lo, s17
	s_delay_alu instid0(VALU_DEP_1) | instskip(NEXT) | instid1(VALU_DEP_2)
	v_dual_lshlrev_b32 v3, 24, v3 :: v_dual_lshlrev_b32 v0, 20, v0
	v_lshl_add_u32 v2, v2, 23, 0x3c000000
	v_mov_b32_e32 v4, v1
	s_delay_alu instid0(VALU_DEP_3) | instskip(NEXT) | instid1(VALU_DEP_1)
	v_and_b32_e32 v3, 0x80000000, v3
	v_or3_b32 v5, v0, v3, v2
	v_mov_b32_e32 v3, v1
	s_clause 0x1
	scratch_store_b64 off, v[4:5], s32 offset:500
	scratch_store_b64 off, v[2:3], s32 offset:192
.LBB212_528:                            ;   in Loop: Header=BB212_15 Depth=1
	s_wait_xcnt 0x0
	s_or_b32 exec_lo, exec_lo, s16
.LBB212_529:                            ;   in Loop: Header=BB212_15 Depth=1
	s_delay_alu instid0(SALU_CYCLE_1)
	s_or_b32 exec_lo, exec_lo, s15
.LBB212_530:                            ;   in Loop: Header=BB212_15 Depth=1
	s_delay_alu instid0(SALU_CYCLE_1)
	s_or_b32 exec_lo, exec_lo, s14
	flat_load_b32 v2, v[68:69] offset:2048
	v_mov_b64_e32 v[4:5], 0
	s_mov_b32 s14, exec_lo
	scratch_store_b64 off, v[4:5], s32 offset:508 ; 8-byte Folded Spill
	s_wait_xcnt 0x0
	v_mov_b64_e32 v[4:5], 0
	scratch_store_b64 off, v[4:5], s32 offset:788 ; 8-byte Folded Spill
	s_wait_loadcnt_dscnt 0x0
	v_and_b32_e32 v0, 0xff, v2
	s_wait_xcnt 0x0
	s_delay_alu instid0(VALU_DEP_1)
	v_cmpx_ne_u16_e32 0, v0
	s_cbranch_execz .LBB212_538
; %bb.531:                              ;   in Loop: Header=BB212_15 Depth=1
	v_cmp_ne_u16_e64 s1, 0x80, v0
	v_mov_b64_e32 v[0:1], 0x80000000
	s_and_saveexec_b32 s15, s1
	s_cbranch_execz .LBB212_537
; %bb.532:                              ;   in Loop: Header=BB212_15 Depth=1
	v_mov_b64_e32 v[0:1], 0x7f800001
	v_and_b32_e32 v4, 0x7f, v2
	s_mov_b32 s16, exec_lo
	s_delay_alu instid0(VALU_DEP_1)
	v_cmpx_ne_u32_e32 0x7f, v4
	s_cbranch_execz .LBB212_536
; %bb.533:                              ;   in Loop: Header=BB212_15 Depth=1
	scratch_load_b64 v[0:1], off, s32 offset:192 th:TH_LOAD_LU ; 8-byte Folded Reload
	s_wait_loadcnt 0x0
	v_dual_lshrrev_b32 v3, 3, v4 :: v_dual_bitop2_b32 v0, 7, v2 bitop3:0x40
	s_mov_b32 s17, exec_lo
	s_wait_xcnt 0x0
	v_cmpx_gt_u32_e32 8, v4
; %bb.534:                              ;   in Loop: Header=BB212_15 Depth=1
	s_delay_alu instid0(VALU_DEP_2) | instskip(NEXT) | instid1(VALU_DEP_1)
	v_clz_i32_u32_e32 v3, v0
	v_min_u32_e32 v3, 32, v3
	s_delay_alu instid0(VALU_DEP_1) | instskip(NEXT) | instid1(VALU_DEP_1)
	v_subrev_nc_u32_e32 v4, 28, v3
	v_lshlrev_b64_e32 v[4:5], v4, v[0:1]
	s_delay_alu instid0(VALU_DEP_1)
	v_dual_sub_nc_u32 v3, 29, v3 :: v_dual_bitop2_b32 v0, 7, v4 bitop3:0x40
; %bb.535:                              ;   in Loop: Header=BB212_15 Depth=1
	s_or_b32 exec_lo, exec_lo, s17
	s_delay_alu instid0(VALU_DEP_1) | instskip(NEXT) | instid1(VALU_DEP_2)
	v_dual_lshlrev_b32 v4, 24, v2 :: v_dual_lshlrev_b32 v0, 20, v0
	v_lshl_add_u32 v3, v3, 23, 0x3c000000
	s_delay_alu instid0(VALU_DEP_2) | instskip(NEXT) | instid1(VALU_DEP_1)
	v_and_b32_e32 v4, 0x80000000, v4
	v_or3_b32 v0, v0, v4, v3
	v_mov_b32_e32 v3, v1
	scratch_store_b64 off, v[2:3], s32 offset:192 ; 8-byte Folded Spill
.LBB212_536:                            ;   in Loop: Header=BB212_15 Depth=1
	s_wait_xcnt 0x0
	s_or_b32 exec_lo, exec_lo, s16
.LBB212_537:                            ;   in Loop: Header=BB212_15 Depth=1
	s_delay_alu instid0(SALU_CYCLE_1)
	s_or_b32 exec_lo, exec_lo, s15
	scratch_store_b64 off, v[0:1], s32 offset:788 ; 8-byte Folded Spill
.LBB212_538:                            ;   in Loop: Header=BB212_15 Depth=1
	s_wait_xcnt 0x0
	s_or_b32 exec_lo, exec_lo, s14
	v_lshrrev_b16 v0, 8, v2
	s_mov_b32 s14, exec_lo
	s_delay_alu instid0(VALU_DEP_1)
	v_cmpx_ne_u16_e32 0, v0
	s_cbranch_execz .LBB212_546
; %bb.539:                              ;   in Loop: Header=BB212_15 Depth=1
	v_mov_b64_e32 v[4:5], 0x8000000000000000
	s_mov_b32 s15, exec_lo
	scratch_store_b64 off, v[4:5], s32 offset:508 ; 8-byte Folded Spill
	s_wait_xcnt 0x0
	v_cmpx_ne_u16_e32 0x80, v0
	s_cbranch_execz .LBB212_545
; %bb.540:                              ;   in Loop: Header=BB212_15 Depth=1
	v_and_b32_e32 v0, 0xffff, v0
	v_mov_b64_e32 v[6:7], 0x7f80000100000000
	s_mov_b32 s16, exec_lo
	s_delay_alu instid0(VALU_DEP_2)
	v_and_b32_e32 v4, 0x7f, v0
	scratch_store_b64 off, v[6:7], s32 offset:508 ; 8-byte Folded Spill
	s_wait_xcnt 0x0
	v_cmpx_ne_u32_e32 0x7f, v4
	s_cbranch_execz .LBB212_544
; %bb.541:                              ;   in Loop: Header=BB212_15 Depth=1
	scratch_load_b64 v[6:7], off, s32 offset:192 th:TH_LOAD_LU ; 8-byte Folded Reload
	v_lshrrev_b32_e32 v3, 3, v4
	s_mov_b32 s17, exec_lo
	s_wait_loadcnt 0x0
	v_dual_mov_b32 v1, v7 :: v_dual_bitop2_b32 v0, 7, v0 bitop3:0x40
	s_wait_xcnt 0x0
	v_cmpx_gt_u32_e32 8, v4
; %bb.542:                              ;   in Loop: Header=BB212_15 Depth=1
	s_delay_alu instid0(VALU_DEP_2) | instskip(NEXT) | instid1(VALU_DEP_1)
	v_clz_i32_u32_e32 v3, v0
	v_min_u32_e32 v3, 32, v3
	s_delay_alu instid0(VALU_DEP_1) | instskip(NEXT) | instid1(VALU_DEP_1)
	v_subrev_nc_u32_e32 v4, 28, v3
	v_lshlrev_b64_e32 v[4:5], v4, v[0:1]
	s_delay_alu instid0(VALU_DEP_1)
	v_dual_sub_nc_u32 v3, 29, v3 :: v_dual_bitop2_b32 v0, 7, v4 bitop3:0x40
; %bb.543:                              ;   in Loop: Header=BB212_15 Depth=1
	s_or_b32 exec_lo, exec_lo, s17
	s_delay_alu instid0(VALU_DEP_1) | instskip(NEXT) | instid1(VALU_DEP_2)
	v_dual_lshlrev_b32 v4, 16, v2 :: v_dual_lshlrev_b32 v0, 20, v0
	v_lshl_add_u32 v3, v3, 23, 0x3c000000
	s_delay_alu instid0(VALU_DEP_2) | instskip(NEXT) | instid1(VALU_DEP_1)
	v_and_b32_e32 v4, 0x80000000, v4
	v_or3_b32 v5, v0, v4, v3
	v_dual_mov_b32 v3, v1 :: v_dual_mov_b32 v4, v1
	s_clause 0x1
	scratch_store_b64 off, v[2:3], s32 offset:192
	scratch_store_b64 off, v[4:5], s32 offset:508
.LBB212_544:                            ;   in Loop: Header=BB212_15 Depth=1
	s_wait_xcnt 0x0
	s_or_b32 exec_lo, exec_lo, s16
.LBB212_545:                            ;   in Loop: Header=BB212_15 Depth=1
	s_delay_alu instid0(SALU_CYCLE_1)
	s_or_b32 exec_lo, exec_lo, s15
.LBB212_546:                            ;   in Loop: Header=BB212_15 Depth=1
	s_delay_alu instid0(SALU_CYCLE_1) | instskip(SKIP_3) | instid1(VALU_DEP_1)
	s_or_b32 exec_lo, exec_lo, s14
	v_mov_b64_e32 v[4:5], 0
	v_lshrrev_b32_e32 v3, 16, v2
	s_mov_b32 s14, exec_lo
	v_and_b32_e32 v0, 0xff, v3
	scratch_store_b64 off, v[4:5], s32 offset:516 ; 8-byte Folded Spill
	s_wait_xcnt 0x0
	v_mov_b64_e32 v[4:5], 0
	scratch_store_b64 off, v[4:5], s32 offset:796 ; 8-byte Folded Spill
	s_wait_xcnt 0x0
	v_cmpx_ne_u16_e32 0, v0
	s_cbranch_execz .LBB212_554
; %bb.547:                              ;   in Loop: Header=BB212_15 Depth=1
	v_cmp_ne_u16_e64 s1, 0x80, v0
	v_mov_b64_e32 v[0:1], 0x80000000
	s_and_saveexec_b32 s15, s1
	s_cbranch_execz .LBB212_553
; %bb.548:                              ;   in Loop: Header=BB212_15 Depth=1
	v_mov_b64_e32 v[0:1], 0x7f800001
	v_bfe_u32 v5, v2, 16, 7
	s_mov_b32 s16, exec_lo
	s_delay_alu instid0(VALU_DEP_1)
	v_cmpx_ne_u32_e32 0x7f, v5
	s_cbranch_execz .LBB212_552
; %bb.549:                              ;   in Loop: Header=BB212_15 Depth=1
	scratch_load_b64 v[0:1], off, s32 offset:192 th:TH_LOAD_LU ; 8-byte Folded Reload
	s_wait_loadcnt 0x0
	v_dual_lshrrev_b32 v4, 3, v5 :: v_dual_bitop2_b32 v0, 7, v3 bitop3:0x40
	s_mov_b32 s17, exec_lo
	s_wait_xcnt 0x0
	v_cmpx_gt_u32_e32 8, v5
; %bb.550:                              ;   in Loop: Header=BB212_15 Depth=1
	s_delay_alu instid0(VALU_DEP_2) | instskip(NEXT) | instid1(VALU_DEP_1)
	v_clz_i32_u32_e32 v4, v0
	v_min_u32_e32 v4, 32, v4
	s_delay_alu instid0(VALU_DEP_1) | instskip(NEXT) | instid1(VALU_DEP_1)
	v_subrev_nc_u32_e32 v5, 28, v4
	v_lshlrev_b64_e32 v[6:7], v5, v[0:1]
	s_delay_alu instid0(VALU_DEP_1)
	v_dual_sub_nc_u32 v4, 29, v4 :: v_dual_bitop2_b32 v0, 7, v6 bitop3:0x40
; %bb.551:                              ;   in Loop: Header=BB212_15 Depth=1
	s_or_b32 exec_lo, exec_lo, s17
	s_delay_alu instid0(VALU_DEP_1) | instskip(NEXT) | instid1(VALU_DEP_2)
	v_dual_lshlrev_b32 v3, 24, v3 :: v_dual_lshlrev_b32 v0, 20, v0
	v_lshl_add_u32 v4, v4, 23, 0x3c000000
	s_delay_alu instid0(VALU_DEP_2) | instskip(NEXT) | instid1(VALU_DEP_1)
	v_and_b32_e32 v3, 0x80000000, v3
	v_or3_b32 v0, v0, v3, v4
	v_mov_b32_e32 v3, v1
	scratch_store_b64 off, v[2:3], s32 offset:192 ; 8-byte Folded Spill
.LBB212_552:                            ;   in Loop: Header=BB212_15 Depth=1
	s_wait_xcnt 0x0
	s_or_b32 exec_lo, exec_lo, s16
.LBB212_553:                            ;   in Loop: Header=BB212_15 Depth=1
	s_delay_alu instid0(SALU_CYCLE_1)
	s_or_b32 exec_lo, exec_lo, s15
	scratch_store_b64 off, v[0:1], s32 offset:796 ; 8-byte Folded Spill
.LBB212_554:                            ;   in Loop: Header=BB212_15 Depth=1
	s_wait_xcnt 0x0
	s_or_b32 exec_lo, exec_lo, s14
	s_delay_alu instid0(SALU_CYCLE_1)
	s_mov_b32 s14, exec_lo
	v_cmpx_lt_u32_e32 0xffffff, v2
	s_cbranch_execz .LBB212_562
; %bb.555:                              ;   in Loop: Header=BB212_15 Depth=1
	v_mov_b64_e32 v[0:1], 0x8000000000000000
	v_lshrrev_b32_e32 v3, 24, v2
	s_mov_b32 s15, exec_lo
	scratch_store_b64 off, v[0:1], s32 offset:516 ; 8-byte Folded Spill
	s_wait_xcnt 0x0
	v_cmpx_ne_u32_e32 0x80, v3
	s_cbranch_execz .LBB212_561
; %bb.556:                              ;   in Loop: Header=BB212_15 Depth=1
	v_mov_b64_e32 v[0:1], 0x7f80000100000000
	v_bfe_u32 v4, v2, 24, 7
	s_mov_b32 s16, exec_lo
	scratch_store_b64 off, v[0:1], s32 offset:516 ; 8-byte Folded Spill
	s_wait_xcnt 0x0
	v_cmpx_ne_u32_e32 0x7f, v4
	s_cbranch_execz .LBB212_560
; %bb.557:                              ;   in Loop: Header=BB212_15 Depth=1
	scratch_load_b64 v[0:1], off, s32 offset:192 th:TH_LOAD_LU ; 8-byte Folded Reload
	s_wait_loadcnt 0x0
	v_dual_lshrrev_b32 v2, 3, v4 :: v_dual_bitop2_b32 v0, 7, v3 bitop3:0x40
	s_mov_b32 s17, exec_lo
	s_wait_xcnt 0x0
	v_cmpx_gt_u32_e32 8, v4
; %bb.558:                              ;   in Loop: Header=BB212_15 Depth=1
	s_delay_alu instid0(VALU_DEP_2) | instskip(NEXT) | instid1(VALU_DEP_1)
	v_clz_i32_u32_e32 v2, v0
	v_min_u32_e32 v2, 32, v2
	s_delay_alu instid0(VALU_DEP_1) | instskip(NEXT) | instid1(VALU_DEP_1)
	v_subrev_nc_u32_e32 v4, 28, v2
	v_lshlrev_b64_e32 v[4:5], v4, v[0:1]
	s_delay_alu instid0(VALU_DEP_1)
	v_dual_sub_nc_u32 v2, 29, v2 :: v_dual_bitop2_b32 v0, 7, v4 bitop3:0x40
; %bb.559:                              ;   in Loop: Header=BB212_15 Depth=1
	s_or_b32 exec_lo, exec_lo, s17
	s_delay_alu instid0(VALU_DEP_1) | instskip(NEXT) | instid1(VALU_DEP_2)
	v_dual_lshlrev_b32 v3, 24, v3 :: v_dual_lshlrev_b32 v0, 20, v0
	v_lshl_add_u32 v2, v2, 23, 0x3c000000
	v_mov_b32_e32 v4, v1
	s_delay_alu instid0(VALU_DEP_3) | instskip(NEXT) | instid1(VALU_DEP_1)
	v_and_b32_e32 v3, 0x80000000, v3
	v_or3_b32 v5, v0, v3, v2
	v_mov_b32_e32 v3, v1
	s_clause 0x1
	scratch_store_b64 off, v[4:5], s32 offset:516
	scratch_store_b64 off, v[2:3], s32 offset:192
.LBB212_560:                            ;   in Loop: Header=BB212_15 Depth=1
	s_wait_xcnt 0x0
	s_or_b32 exec_lo, exec_lo, s16
.LBB212_561:                            ;   in Loop: Header=BB212_15 Depth=1
	s_delay_alu instid0(SALU_CYCLE_1)
	s_or_b32 exec_lo, exec_lo, s15
.LBB212_562:                            ;   in Loop: Header=BB212_15 Depth=1
	s_delay_alu instid0(SALU_CYCLE_1)
	s_or_b32 exec_lo, exec_lo, s14
	flat_load_b32 v2, v[68:69] offset:2052
	v_mov_b64_e32 v[4:5], 0
	s_mov_b32 s14, exec_lo
	scratch_store_b64 off, v[4:5], s32 offset:524 ; 8-byte Folded Spill
	s_wait_xcnt 0x0
	v_mov_b64_e32 v[4:5], 0
	scratch_store_b64 off, v[4:5], s32 offset:804 ; 8-byte Folded Spill
	s_wait_loadcnt_dscnt 0x0
	v_and_b32_e32 v0, 0xff, v2
	s_wait_xcnt 0x0
	s_delay_alu instid0(VALU_DEP_1)
	v_cmpx_ne_u16_e32 0, v0
	s_cbranch_execz .LBB212_570
; %bb.563:                              ;   in Loop: Header=BB212_15 Depth=1
	v_cmp_ne_u16_e64 s1, 0x80, v0
	v_mov_b64_e32 v[0:1], 0x80000000
	s_and_saveexec_b32 s15, s1
	s_cbranch_execz .LBB212_569
; %bb.564:                              ;   in Loop: Header=BB212_15 Depth=1
	v_mov_b64_e32 v[0:1], 0x7f800001
	v_and_b32_e32 v4, 0x7f, v2
	s_mov_b32 s16, exec_lo
	s_delay_alu instid0(VALU_DEP_1)
	v_cmpx_ne_u32_e32 0x7f, v4
	s_cbranch_execz .LBB212_568
; %bb.565:                              ;   in Loop: Header=BB212_15 Depth=1
	scratch_load_b64 v[0:1], off, s32 offset:192 th:TH_LOAD_LU ; 8-byte Folded Reload
	s_wait_loadcnt 0x0
	v_dual_lshrrev_b32 v3, 3, v4 :: v_dual_bitop2_b32 v0, 7, v2 bitop3:0x40
	s_mov_b32 s17, exec_lo
	s_wait_xcnt 0x0
	v_cmpx_gt_u32_e32 8, v4
; %bb.566:                              ;   in Loop: Header=BB212_15 Depth=1
	s_delay_alu instid0(VALU_DEP_2) | instskip(NEXT) | instid1(VALU_DEP_1)
	v_clz_i32_u32_e32 v3, v0
	v_min_u32_e32 v3, 32, v3
	s_delay_alu instid0(VALU_DEP_1) | instskip(NEXT) | instid1(VALU_DEP_1)
	v_subrev_nc_u32_e32 v4, 28, v3
	v_lshlrev_b64_e32 v[4:5], v4, v[0:1]
	s_delay_alu instid0(VALU_DEP_1)
	v_dual_sub_nc_u32 v3, 29, v3 :: v_dual_bitop2_b32 v0, 7, v4 bitop3:0x40
; %bb.567:                              ;   in Loop: Header=BB212_15 Depth=1
	s_or_b32 exec_lo, exec_lo, s17
	s_delay_alu instid0(VALU_DEP_1) | instskip(NEXT) | instid1(VALU_DEP_2)
	v_dual_lshlrev_b32 v4, 24, v2 :: v_dual_lshlrev_b32 v0, 20, v0
	v_lshl_add_u32 v3, v3, 23, 0x3c000000
	s_delay_alu instid0(VALU_DEP_2) | instskip(NEXT) | instid1(VALU_DEP_1)
	v_and_b32_e32 v4, 0x80000000, v4
	v_or3_b32 v0, v0, v4, v3
	v_mov_b32_e32 v3, v1
	scratch_store_b64 off, v[2:3], s32 offset:192 ; 8-byte Folded Spill
.LBB212_568:                            ;   in Loop: Header=BB212_15 Depth=1
	s_wait_xcnt 0x0
	s_or_b32 exec_lo, exec_lo, s16
.LBB212_569:                            ;   in Loop: Header=BB212_15 Depth=1
	s_delay_alu instid0(SALU_CYCLE_1)
	s_or_b32 exec_lo, exec_lo, s15
	scratch_store_b64 off, v[0:1], s32 offset:804 ; 8-byte Folded Spill
.LBB212_570:                            ;   in Loop: Header=BB212_15 Depth=1
	s_wait_xcnt 0x0
	s_or_b32 exec_lo, exec_lo, s14
	v_lshrrev_b16 v0, 8, v2
	s_mov_b32 s14, exec_lo
	s_delay_alu instid0(VALU_DEP_1)
	v_cmpx_ne_u16_e32 0, v0
	s_cbranch_execz .LBB212_578
; %bb.571:                              ;   in Loop: Header=BB212_15 Depth=1
	v_mov_b64_e32 v[4:5], 0x8000000000000000
	s_mov_b32 s15, exec_lo
	scratch_store_b64 off, v[4:5], s32 offset:524 ; 8-byte Folded Spill
	s_wait_xcnt 0x0
	v_cmpx_ne_u16_e32 0x80, v0
	s_cbranch_execz .LBB212_577
; %bb.572:                              ;   in Loop: Header=BB212_15 Depth=1
	v_and_b32_e32 v0, 0xffff, v0
	v_mov_b64_e32 v[6:7], 0x7f80000100000000
	s_mov_b32 s16, exec_lo
	s_delay_alu instid0(VALU_DEP_2)
	v_and_b32_e32 v4, 0x7f, v0
	scratch_store_b64 off, v[6:7], s32 offset:524 ; 8-byte Folded Spill
	s_wait_xcnt 0x0
	v_cmpx_ne_u32_e32 0x7f, v4
	s_cbranch_execz .LBB212_576
; %bb.573:                              ;   in Loop: Header=BB212_15 Depth=1
	scratch_load_b64 v[6:7], off, s32 offset:192 th:TH_LOAD_LU ; 8-byte Folded Reload
	v_lshrrev_b32_e32 v3, 3, v4
	s_mov_b32 s17, exec_lo
	s_wait_loadcnt 0x0
	v_dual_mov_b32 v1, v7 :: v_dual_bitop2_b32 v0, 7, v0 bitop3:0x40
	s_wait_xcnt 0x0
	v_cmpx_gt_u32_e32 8, v4
; %bb.574:                              ;   in Loop: Header=BB212_15 Depth=1
	s_delay_alu instid0(VALU_DEP_2) | instskip(NEXT) | instid1(VALU_DEP_1)
	v_clz_i32_u32_e32 v3, v0
	v_min_u32_e32 v3, 32, v3
	s_delay_alu instid0(VALU_DEP_1) | instskip(NEXT) | instid1(VALU_DEP_1)
	v_subrev_nc_u32_e32 v4, 28, v3
	v_lshlrev_b64_e32 v[4:5], v4, v[0:1]
	s_delay_alu instid0(VALU_DEP_1)
	v_dual_sub_nc_u32 v3, 29, v3 :: v_dual_bitop2_b32 v0, 7, v4 bitop3:0x40
; %bb.575:                              ;   in Loop: Header=BB212_15 Depth=1
	s_or_b32 exec_lo, exec_lo, s17
	s_delay_alu instid0(VALU_DEP_1) | instskip(NEXT) | instid1(VALU_DEP_2)
	v_dual_lshlrev_b32 v4, 16, v2 :: v_dual_lshlrev_b32 v0, 20, v0
	v_lshl_add_u32 v3, v3, 23, 0x3c000000
	s_delay_alu instid0(VALU_DEP_2) | instskip(NEXT) | instid1(VALU_DEP_1)
	v_and_b32_e32 v4, 0x80000000, v4
	v_or3_b32 v5, v0, v4, v3
	v_dual_mov_b32 v3, v1 :: v_dual_mov_b32 v4, v1
	s_clause 0x1
	scratch_store_b64 off, v[2:3], s32 offset:192
	scratch_store_b64 off, v[4:5], s32 offset:524
.LBB212_576:                            ;   in Loop: Header=BB212_15 Depth=1
	s_wait_xcnt 0x0
	s_or_b32 exec_lo, exec_lo, s16
.LBB212_577:                            ;   in Loop: Header=BB212_15 Depth=1
	s_delay_alu instid0(SALU_CYCLE_1)
	s_or_b32 exec_lo, exec_lo, s15
.LBB212_578:                            ;   in Loop: Header=BB212_15 Depth=1
	s_delay_alu instid0(SALU_CYCLE_1) | instskip(SKIP_4) | instid1(VALU_DEP_3)
	s_or_b32 exec_lo, exec_lo, s14
	v_lshrrev_b32_e32 v3, 16, v2
	v_mov_b64_e32 v[82:83], 0
	v_mov_b64_e32 v[4:5], 0
	s_mov_b32 s14, exec_lo
	v_and_b32_e32 v0, 0xff, v3
	scratch_store_b64 off, v[4:5], s32 offset:812 ; 8-byte Folded Spill
	s_wait_xcnt 0x0
	v_cmpx_ne_u16_e32 0, v0
	s_cbranch_execz .LBB212_586
; %bb.579:                              ;   in Loop: Header=BB212_15 Depth=1
	v_cmp_ne_u16_e64 s1, 0x80, v0
	v_mov_b64_e32 v[0:1], 0x80000000
	s_and_saveexec_b32 s15, s1
	s_cbranch_execz .LBB212_585
; %bb.580:                              ;   in Loop: Header=BB212_15 Depth=1
	v_mov_b64_e32 v[0:1], 0x7f800001
	v_bfe_u32 v5, v2, 16, 7
	s_mov_b32 s16, exec_lo
	s_delay_alu instid0(VALU_DEP_1)
	v_cmpx_ne_u32_e32 0x7f, v5
	s_cbranch_execz .LBB212_584
; %bb.581:                              ;   in Loop: Header=BB212_15 Depth=1
	scratch_load_b64 v[0:1], off, s32 offset:192 th:TH_LOAD_LU ; 8-byte Folded Reload
	s_wait_loadcnt 0x0
	v_dual_lshrrev_b32 v4, 3, v5 :: v_dual_bitop2_b32 v0, 7, v3 bitop3:0x40
	s_mov_b32 s17, exec_lo
	s_wait_xcnt 0x0
	v_cmpx_gt_u32_e32 8, v5
; %bb.582:                              ;   in Loop: Header=BB212_15 Depth=1
	s_delay_alu instid0(VALU_DEP_2) | instskip(NEXT) | instid1(VALU_DEP_1)
	v_clz_i32_u32_e32 v4, v0
	v_min_u32_e32 v4, 32, v4
	s_delay_alu instid0(VALU_DEP_1) | instskip(NEXT) | instid1(VALU_DEP_1)
	v_subrev_nc_u32_e32 v5, 28, v4
	v_lshlrev_b64_e32 v[6:7], v5, v[0:1]
	s_delay_alu instid0(VALU_DEP_1)
	v_dual_sub_nc_u32 v4, 29, v4 :: v_dual_bitop2_b32 v0, 7, v6 bitop3:0x40
; %bb.583:                              ;   in Loop: Header=BB212_15 Depth=1
	s_or_b32 exec_lo, exec_lo, s17
	s_delay_alu instid0(VALU_DEP_1) | instskip(NEXT) | instid1(VALU_DEP_2)
	v_dual_lshlrev_b32 v3, 24, v3 :: v_dual_lshlrev_b32 v0, 20, v0
	v_lshl_add_u32 v4, v4, 23, 0x3c000000
	s_delay_alu instid0(VALU_DEP_2) | instskip(NEXT) | instid1(VALU_DEP_1)
	v_and_b32_e32 v3, 0x80000000, v3
	v_or3_b32 v0, v0, v3, v4
	v_mov_b32_e32 v3, v1
	scratch_store_b64 off, v[2:3], s32 offset:192 ; 8-byte Folded Spill
.LBB212_584:                            ;   in Loop: Header=BB212_15 Depth=1
	s_wait_xcnt 0x0
	s_or_b32 exec_lo, exec_lo, s16
.LBB212_585:                            ;   in Loop: Header=BB212_15 Depth=1
	s_delay_alu instid0(SALU_CYCLE_1)
	s_or_b32 exec_lo, exec_lo, s15
	scratch_store_b64 off, v[0:1], s32 offset:812 ; 8-byte Folded Spill
.LBB212_586:                            ;   in Loop: Header=BB212_15 Depth=1
	s_wait_xcnt 0x0
	s_or_b32 exec_lo, exec_lo, s14
	s_delay_alu instid0(SALU_CYCLE_1)
	s_mov_b32 s14, exec_lo
	v_cmpx_lt_u32_e32 0xffffff, v2
	s_cbranch_execz .LBB212_594
; %bb.587:                              ;   in Loop: Header=BB212_15 Depth=1
	v_mov_b64_e32 v[82:83], 0x8000000000000000
	v_lshrrev_b32_e32 v3, 24, v2
	s_mov_b32 s15, exec_lo
	s_delay_alu instid0(VALU_DEP_1)
	v_cmpx_ne_u32_e32 0x80, v3
	s_cbranch_execz .LBB212_593
; %bb.588:                              ;   in Loop: Header=BB212_15 Depth=1
	v_mov_b64_e32 v[82:83], 0x7f80000100000000
	v_bfe_u32 v4, v2, 24, 7
	s_mov_b32 s16, exec_lo
	s_delay_alu instid0(VALU_DEP_1)
	v_cmpx_ne_u32_e32 0x7f, v4
	s_cbranch_execz .LBB212_592
; %bb.589:                              ;   in Loop: Header=BB212_15 Depth=1
	scratch_load_b64 v[0:1], off, s32 offset:192 th:TH_LOAD_LU ; 8-byte Folded Reload
	s_wait_loadcnt 0x0
	v_dual_lshrrev_b32 v2, 3, v4 :: v_dual_bitop2_b32 v0, 7, v3 bitop3:0x40
	s_mov_b32 s17, exec_lo
	s_wait_xcnt 0x0
	v_cmpx_gt_u32_e32 8, v4
; %bb.590:                              ;   in Loop: Header=BB212_15 Depth=1
	s_delay_alu instid0(VALU_DEP_2) | instskip(NEXT) | instid1(VALU_DEP_1)
	v_clz_i32_u32_e32 v2, v0
	v_min_u32_e32 v2, 32, v2
	s_delay_alu instid0(VALU_DEP_1) | instskip(NEXT) | instid1(VALU_DEP_1)
	v_subrev_nc_u32_e32 v4, 28, v2
	v_lshlrev_b64_e32 v[4:5], v4, v[0:1]
	s_delay_alu instid0(VALU_DEP_1)
	v_dual_sub_nc_u32 v2, 29, v2 :: v_dual_bitop2_b32 v0, 7, v4 bitop3:0x40
; %bb.591:                              ;   in Loop: Header=BB212_15 Depth=1
	s_or_b32 exec_lo, exec_lo, s17
	s_delay_alu instid0(VALU_DEP_1) | instskip(NEXT) | instid1(VALU_DEP_2)
	v_dual_lshlrev_b32 v3, 24, v3 :: v_dual_lshlrev_b32 v0, 20, v0
	v_lshl_add_u32 v2, v2, 23, 0x3c000000
	v_mov_b32_e32 v82, v1
	s_delay_alu instid0(VALU_DEP_3) | instskip(NEXT) | instid1(VALU_DEP_1)
	v_and_b32_e32 v3, 0x80000000, v3
	v_or3_b32 v83, v0, v3, v2
	v_mov_b32_e32 v3, v1
	scratch_store_b64 off, v[2:3], s32 offset:192 ; 8-byte Folded Spill
.LBB212_592:                            ;   in Loop: Header=BB212_15 Depth=1
	s_wait_xcnt 0x0
	s_or_b32 exec_lo, exec_lo, s16
.LBB212_593:                            ;   in Loop: Header=BB212_15 Depth=1
	s_delay_alu instid0(SALU_CYCLE_1)
	s_or_b32 exec_lo, exec_lo, s15
.LBB212_594:                            ;   in Loop: Header=BB212_15 Depth=1
	s_delay_alu instid0(SALU_CYCLE_1)
	s_or_b32 exec_lo, exec_lo, s14
	flat_load_b32 v2, v[68:69] offset:2056
	v_mov_b64_e32 v[86:87], 0
	v_mov_b64_e32 v[4:5], 0
	s_mov_b32 s14, exec_lo
	scratch_store_b64 off, v[4:5], s32 offset:532 ; 8-byte Folded Spill
	s_wait_loadcnt_dscnt 0x0
	v_and_b32_e32 v0, 0xff, v2
	s_wait_xcnt 0x0
	s_delay_alu instid0(VALU_DEP_1)
	v_cmpx_ne_u16_e32 0, v0
	s_cbranch_execz .LBB212_602
; %bb.595:                              ;   in Loop: Header=BB212_15 Depth=1
	v_cmp_ne_u16_e64 s1, 0x80, v0
	v_mov_b64_e32 v[0:1], 0x80000000
	scratch_store_b64 off, v[0:1], s32 offset:532 ; 8-byte Folded Spill
	s_wait_xcnt 0x0
	s_and_saveexec_b32 s15, s1
	s_cbranch_execz .LBB212_601
; %bb.596:                              ;   in Loop: Header=BB212_15 Depth=1
	v_mov_b64_e32 v[0:1], 0x7f800001
	v_and_b32_e32 v4, 0x7f, v2
	s_mov_b32 s16, exec_lo
	scratch_store_b64 off, v[0:1], s32 offset:532 ; 8-byte Folded Spill
	s_wait_xcnt 0x0
	v_cmpx_ne_u32_e32 0x7f, v4
	s_cbranch_execz .LBB212_600
; %bb.597:                              ;   in Loop: Header=BB212_15 Depth=1
	scratch_load_b64 v[0:1], off, s32 offset:192 th:TH_LOAD_LU ; 8-byte Folded Reload
	s_wait_loadcnt 0x0
	v_dual_lshrrev_b32 v3, 3, v4 :: v_dual_bitop2_b32 v0, 7, v2 bitop3:0x40
	s_mov_b32 s17, exec_lo
	s_wait_xcnt 0x0
	v_cmpx_gt_u32_e32 8, v4
; %bb.598:                              ;   in Loop: Header=BB212_15 Depth=1
	s_delay_alu instid0(VALU_DEP_2) | instskip(NEXT) | instid1(VALU_DEP_1)
	v_clz_i32_u32_e32 v3, v0
	v_min_u32_e32 v3, 32, v3
	s_delay_alu instid0(VALU_DEP_1) | instskip(NEXT) | instid1(VALU_DEP_1)
	v_subrev_nc_u32_e32 v4, 28, v3
	v_lshlrev_b64_e32 v[4:5], v4, v[0:1]
	s_delay_alu instid0(VALU_DEP_1)
	v_dual_sub_nc_u32 v3, 29, v3 :: v_dual_bitop2_b32 v0, 7, v4 bitop3:0x40
; %bb.599:                              ;   in Loop: Header=BB212_15 Depth=1
	s_or_b32 exec_lo, exec_lo, s17
	s_delay_alu instid0(VALU_DEP_1) | instskip(NEXT) | instid1(VALU_DEP_2)
	v_dual_lshlrev_b32 v4, 24, v2 :: v_dual_lshlrev_b32 v0, 20, v0
	v_lshl_add_u32 v3, v3, 23, 0x3c000000
	s_delay_alu instid0(VALU_DEP_2) | instskip(NEXT) | instid1(VALU_DEP_1)
	v_and_b32_e32 v4, 0x80000000, v4
	v_or3_b32 v0, v0, v4, v3
	v_mov_b32_e32 v3, v1
	s_clause 0x1
	scratch_store_b64 off, v[2:3], s32 offset:192
	scratch_store_b64 off, v[0:1], s32 offset:532
.LBB212_600:                            ;   in Loop: Header=BB212_15 Depth=1
	s_wait_xcnt 0x0
	s_or_b32 exec_lo, exec_lo, s16
.LBB212_601:                            ;   in Loop: Header=BB212_15 Depth=1
	s_delay_alu instid0(SALU_CYCLE_1)
	s_or_b32 exec_lo, exec_lo, s15
.LBB212_602:                            ;   in Loop: Header=BB212_15 Depth=1
	s_delay_alu instid0(SALU_CYCLE_1) | instskip(SKIP_2) | instid1(VALU_DEP_1)
	s_or_b32 exec_lo, exec_lo, s14
	v_lshrrev_b16 v0, 8, v2
	s_mov_b32 s14, exec_lo
	v_cmpx_ne_u16_e32 0, v0
	s_cbranch_execz .LBB212_610
; %bb.603:                              ;   in Loop: Header=BB212_15 Depth=1
	v_mov_b64_e32 v[86:87], 0x8000000000000000
	s_mov_b32 s15, exec_lo
	v_cmpx_ne_u16_e32 0x80, v0
	s_cbranch_execz .LBB212_609
; %bb.604:                              ;   in Loop: Header=BB212_15 Depth=1
	v_and_b32_e32 v0, 0xffff, v0
	v_mov_b64_e32 v[86:87], 0x7f80000100000000
	s_mov_b32 s16, exec_lo
	s_delay_alu instid0(VALU_DEP_2) | instskip(NEXT) | instid1(VALU_DEP_1)
	v_and_b32_e32 v4, 0x7f, v0
	v_cmpx_ne_u32_e32 0x7f, v4
	s_cbranch_execz .LBB212_608
; %bb.605:                              ;   in Loop: Header=BB212_15 Depth=1
	scratch_load_b64 v[6:7], off, s32 offset:192 th:TH_LOAD_LU ; 8-byte Folded Reload
	v_lshrrev_b32_e32 v3, 3, v4
	s_mov_b32 s17, exec_lo
	s_wait_loadcnt 0x0
	v_dual_mov_b32 v1, v7 :: v_dual_bitop2_b32 v0, 7, v0 bitop3:0x40
	s_wait_xcnt 0x0
	v_cmpx_gt_u32_e32 8, v4
; %bb.606:                              ;   in Loop: Header=BB212_15 Depth=1
	s_delay_alu instid0(VALU_DEP_2) | instskip(NEXT) | instid1(VALU_DEP_1)
	v_clz_i32_u32_e32 v3, v0
	v_min_u32_e32 v3, 32, v3
	s_delay_alu instid0(VALU_DEP_1) | instskip(NEXT) | instid1(VALU_DEP_1)
	v_subrev_nc_u32_e32 v4, 28, v3
	v_lshlrev_b64_e32 v[4:5], v4, v[0:1]
	s_delay_alu instid0(VALU_DEP_1)
	v_dual_sub_nc_u32 v3, 29, v3 :: v_dual_bitop2_b32 v0, 7, v4 bitop3:0x40
; %bb.607:                              ;   in Loop: Header=BB212_15 Depth=1
	s_or_b32 exec_lo, exec_lo, s17
	s_delay_alu instid0(VALU_DEP_1) | instskip(NEXT) | instid1(VALU_DEP_2)
	v_dual_lshlrev_b32 v4, 16, v2 :: v_dual_lshlrev_b32 v0, 20, v0
	v_lshl_add_u32 v3, v3, 23, 0x3c000000
	v_mov_b32_e32 v86, v1
	s_delay_alu instid0(VALU_DEP_3) | instskip(NEXT) | instid1(VALU_DEP_1)
	v_and_b32_e32 v4, 0x80000000, v4
	v_or3_b32 v87, v0, v4, v3
	v_mov_b32_e32 v3, v1
	scratch_store_b64 off, v[2:3], s32 offset:192 ; 8-byte Folded Spill
.LBB212_608:                            ;   in Loop: Header=BB212_15 Depth=1
	s_wait_xcnt 0x0
	s_or_b32 exec_lo, exec_lo, s16
.LBB212_609:                            ;   in Loop: Header=BB212_15 Depth=1
	s_delay_alu instid0(SALU_CYCLE_1)
	s_or_b32 exec_lo, exec_lo, s15
.LBB212_610:                            ;   in Loop: Header=BB212_15 Depth=1
	s_delay_alu instid0(SALU_CYCLE_1) | instskip(SKIP_4) | instid1(VALU_DEP_3)
	s_or_b32 exec_lo, exec_lo, s14
	v_lshrrev_b32_e32 v3, 16, v2
	v_mov_b64_e32 v[98:99], 0
	v_mov_b64_e32 v[118:119], 0
	s_mov_b32 s14, exec_lo
	v_and_b32_e32 v0, 0xff, v3
	s_delay_alu instid0(VALU_DEP_1)
	v_cmpx_ne_u16_e32 0, v0
	s_cbranch_execz .LBB212_618
; %bb.611:                              ;   in Loop: Header=BB212_15 Depth=1
	v_mov_b64_e32 v[118:119], 0x80000000
	s_mov_b32 s15, exec_lo
	v_cmpx_ne_u16_e32 0x80, v0
	s_cbranch_execz .LBB212_617
; %bb.612:                              ;   in Loop: Header=BB212_15 Depth=1
	v_mov_b64_e32 v[118:119], 0x7f800001
	v_bfe_u32 v5, v2, 16, 7
	s_mov_b32 s16, exec_lo
	s_delay_alu instid0(VALU_DEP_1)
	v_cmpx_ne_u32_e32 0x7f, v5
	s_cbranch_execz .LBB212_616
; %bb.613:                              ;   in Loop: Header=BB212_15 Depth=1
	scratch_load_b64 v[118:119], off, s32 offset:192 th:TH_LOAD_LU ; 8-byte Folded Reload
	s_wait_loadcnt 0x0
	v_dual_lshrrev_b32 v4, 3, v5 :: v_dual_bitop2_b32 v118, 7, v3 bitop3:0x40
	s_mov_b32 s17, exec_lo
	s_wait_xcnt 0x0
	v_cmpx_gt_u32_e32 8, v5
; %bb.614:                              ;   in Loop: Header=BB212_15 Depth=1
	s_delay_alu instid0(VALU_DEP_2) | instskip(NEXT) | instid1(VALU_DEP_1)
	v_clz_i32_u32_e32 v4, v118
	v_min_u32_e32 v4, 32, v4
	s_delay_alu instid0(VALU_DEP_1) | instskip(NEXT) | instid1(VALU_DEP_1)
	v_subrev_nc_u32_e32 v5, 28, v4
	v_lshlrev_b64_e32 v[6:7], v5, v[118:119]
	s_delay_alu instid0(VALU_DEP_1)
	v_dual_sub_nc_u32 v4, 29, v4 :: v_dual_bitop2_b32 v118, 7, v6 bitop3:0x40
; %bb.615:                              ;   in Loop: Header=BB212_15 Depth=1
	s_or_b32 exec_lo, exec_lo, s17
	s_delay_alu instid0(VALU_DEP_1) | instskip(NEXT) | instid1(VALU_DEP_2)
	v_dual_lshlrev_b32 v3, 24, v3 :: v_dual_lshlrev_b32 v0, 20, v118
	v_lshl_add_u32 v4, v4, 23, 0x3c000000
	v_mov_b32_e32 v1, v119
	s_delay_alu instid0(VALU_DEP_3)
	v_and_b32_e32 v3, 0x80000000, v3
	scratch_store_b64 off, v[0:1], s32 offset:192 ; 8-byte Folded Spill
	v_or3_b32 v118, v0, v3, v4
.LBB212_616:                            ;   in Loop: Header=BB212_15 Depth=1
	s_wait_xcnt 0x0
	s_or_b32 exec_lo, exec_lo, s16
.LBB212_617:                            ;   in Loop: Header=BB212_15 Depth=1
	s_delay_alu instid0(SALU_CYCLE_1)
	s_or_b32 exec_lo, exec_lo, s15
.LBB212_618:                            ;   in Loop: Header=BB212_15 Depth=1
	s_delay_alu instid0(SALU_CYCLE_1) | instskip(NEXT) | instid1(SALU_CYCLE_1)
	s_or_b32 exec_lo, exec_lo, s14
	s_mov_b32 s14, exec_lo
	v_cmpx_lt_u32_e32 0xffffff, v2
	s_cbranch_execz .LBB212_626
; %bb.619:                              ;   in Loop: Header=BB212_15 Depth=1
	v_mov_b64_e32 v[98:99], 0x8000000000000000
	v_lshrrev_b32_e32 v3, 24, v2
	s_mov_b32 s15, exec_lo
	s_delay_alu instid0(VALU_DEP_1)
	v_cmpx_ne_u32_e32 0x80, v3
	s_cbranch_execz .LBB212_625
; %bb.620:                              ;   in Loop: Header=BB212_15 Depth=1
	v_mov_b64_e32 v[98:99], 0x7f80000100000000
	v_bfe_u32 v4, v2, 24, 7
	s_mov_b32 s16, exec_lo
	s_delay_alu instid0(VALU_DEP_1)
	v_cmpx_ne_u32_e32 0x7f, v4
	s_cbranch_execz .LBB212_624
; %bb.621:                              ;   in Loop: Header=BB212_15 Depth=1
	scratch_load_b64 v[0:1], off, s32 offset:192 th:TH_LOAD_LU ; 8-byte Folded Reload
	s_wait_loadcnt 0x0
	v_dual_lshrrev_b32 v2, 3, v4 :: v_dual_bitop2_b32 v0, 7, v3 bitop3:0x40
	s_mov_b32 s17, exec_lo
	s_wait_xcnt 0x0
	v_cmpx_gt_u32_e32 8, v4
; %bb.622:                              ;   in Loop: Header=BB212_15 Depth=1
	s_delay_alu instid0(VALU_DEP_2) | instskip(NEXT) | instid1(VALU_DEP_1)
	v_clz_i32_u32_e32 v2, v0
	v_min_u32_e32 v2, 32, v2
	s_delay_alu instid0(VALU_DEP_1) | instskip(NEXT) | instid1(VALU_DEP_1)
	v_subrev_nc_u32_e32 v4, 28, v2
	v_lshlrev_b64_e32 v[4:5], v4, v[0:1]
	s_delay_alu instid0(VALU_DEP_1)
	v_dual_sub_nc_u32 v2, 29, v2 :: v_dual_bitop2_b32 v0, 7, v4 bitop3:0x40
; %bb.623:                              ;   in Loop: Header=BB212_15 Depth=1
	s_or_b32 exec_lo, exec_lo, s17
	s_delay_alu instid0(VALU_DEP_1) | instskip(NEXT) | instid1(VALU_DEP_2)
	v_dual_lshlrev_b32 v3, 24, v3 :: v_dual_lshlrev_b32 v0, 20, v0
	v_lshl_add_u32 v2, v2, 23, 0x3c000000
	v_mov_b32_e32 v98, v1
	s_delay_alu instid0(VALU_DEP_3) | instskip(NEXT) | instid1(VALU_DEP_1)
	v_and_b32_e32 v3, 0x80000000, v3
	v_or3_b32 v99, v0, v3, v2
	v_mov_b32_e32 v3, v1
	scratch_store_b64 off, v[2:3], s32 offset:192 ; 8-byte Folded Spill
.LBB212_624:                            ;   in Loop: Header=BB212_15 Depth=1
	s_wait_xcnt 0x0
	s_or_b32 exec_lo, exec_lo, s16
.LBB212_625:                            ;   in Loop: Header=BB212_15 Depth=1
	s_delay_alu instid0(SALU_CYCLE_1)
	s_or_b32 exec_lo, exec_lo, s15
.LBB212_626:                            ;   in Loop: Header=BB212_15 Depth=1
	s_delay_alu instid0(SALU_CYCLE_1)
	s_or_b32 exec_lo, exec_lo, s14
	flat_load_b32 v2, v[68:69] offset:2060
	v_mov_b64_e32 v[102:103], 0
	v_mov_b64_e32 v[42:43], 0
	s_mov_b32 s14, exec_lo
	s_wait_loadcnt_dscnt 0x0
	v_and_b32_e32 v0, 0xff, v2
	s_wait_xcnt 0x0
	s_delay_alu instid0(VALU_DEP_1)
	v_cmpx_ne_u16_e32 0, v0
	s_cbranch_execz .LBB212_634
; %bb.627:                              ;   in Loop: Header=BB212_15 Depth=1
	v_mov_b64_e32 v[42:43], 0x80000000
	s_mov_b32 s15, exec_lo
	v_cmpx_ne_u16_e32 0x80, v0
	s_cbranch_execz .LBB212_633
; %bb.628:                              ;   in Loop: Header=BB212_15 Depth=1
	v_mov_b64_e32 v[42:43], 0x7f800001
	v_and_b32_e32 v4, 0x7f, v2
	s_mov_b32 s16, exec_lo
	s_delay_alu instid0(VALU_DEP_1)
	v_cmpx_ne_u32_e32 0x7f, v4
	s_cbranch_execz .LBB212_632
; %bb.629:                              ;   in Loop: Header=BB212_15 Depth=1
	scratch_load_b64 v[42:43], off, s32 offset:192 th:TH_LOAD_LU ; 8-byte Folded Reload
	s_wait_loadcnt 0x0
	v_dual_lshrrev_b32 v3, 3, v4 :: v_dual_bitop2_b32 v42, 7, v2 bitop3:0x40
	s_mov_b32 s17, exec_lo
	s_wait_xcnt 0x0
	v_cmpx_gt_u32_e32 8, v4
; %bb.630:                              ;   in Loop: Header=BB212_15 Depth=1
	s_delay_alu instid0(VALU_DEP_2) | instskip(NEXT) | instid1(VALU_DEP_1)
	v_clz_i32_u32_e32 v3, v42
	v_min_u32_e32 v3, 32, v3
	s_delay_alu instid0(VALU_DEP_1) | instskip(NEXT) | instid1(VALU_DEP_1)
	v_subrev_nc_u32_e32 v4, 28, v3
	v_lshlrev_b64_e32 v[4:5], v4, v[42:43]
	s_delay_alu instid0(VALU_DEP_1)
	v_dual_sub_nc_u32 v3, 29, v3 :: v_dual_bitop2_b32 v42, 7, v4 bitop3:0x40
; %bb.631:                              ;   in Loop: Header=BB212_15 Depth=1
	s_or_b32 exec_lo, exec_lo, s17
	v_dual_mov_b32 v1, v43 :: v_dual_lshlrev_b32 v4, 24, v2
	s_delay_alu instid0(VALU_DEP_2) | instskip(NEXT) | instid1(VALU_DEP_3)
	v_lshlrev_b32_e32 v0, 20, v42
	v_lshl_add_u32 v3, v3, 23, 0x3c000000
	s_delay_alu instid0(VALU_DEP_3)
	v_and_b32_e32 v4, 0x80000000, v4
	scratch_store_b64 off, v[0:1], s32 offset:192 ; 8-byte Folded Spill
	v_or3_b32 v42, v0, v4, v3
.LBB212_632:                            ;   in Loop: Header=BB212_15 Depth=1
	s_wait_xcnt 0x0
	s_or_b32 exec_lo, exec_lo, s16
.LBB212_633:                            ;   in Loop: Header=BB212_15 Depth=1
	s_delay_alu instid0(SALU_CYCLE_1)
	s_or_b32 exec_lo, exec_lo, s15
.LBB212_634:                            ;   in Loop: Header=BB212_15 Depth=1
	s_delay_alu instid0(SALU_CYCLE_1) | instskip(SKIP_2) | instid1(VALU_DEP_1)
	s_or_b32 exec_lo, exec_lo, s14
	v_lshrrev_b16 v0, 8, v2
	s_mov_b32 s14, exec_lo
	v_cmpx_ne_u16_e32 0, v0
	s_cbranch_execz .LBB212_642
; %bb.635:                              ;   in Loop: Header=BB212_15 Depth=1
	v_mov_b64_e32 v[102:103], 0x8000000000000000
	s_mov_b32 s15, exec_lo
	v_cmpx_ne_u16_e32 0x80, v0
	s_cbranch_execz .LBB212_641
; %bb.636:                              ;   in Loop: Header=BB212_15 Depth=1
	v_and_b32_e32 v0, 0xffff, v0
	v_mov_b64_e32 v[102:103], 0x7f80000100000000
	s_mov_b32 s16, exec_lo
	s_delay_alu instid0(VALU_DEP_2) | instskip(NEXT) | instid1(VALU_DEP_1)
	v_and_b32_e32 v4, 0x7f, v0
	v_cmpx_ne_u32_e32 0x7f, v4
	s_cbranch_execz .LBB212_640
; %bb.637:                              ;   in Loop: Header=BB212_15 Depth=1
	scratch_load_b64 v[6:7], off, s32 offset:192 th:TH_LOAD_LU ; 8-byte Folded Reload
	v_lshrrev_b32_e32 v3, 3, v4
	s_mov_b32 s17, exec_lo
	s_wait_loadcnt 0x0
	v_dual_mov_b32 v1, v7 :: v_dual_bitop2_b32 v0, 7, v0 bitop3:0x40
	s_wait_xcnt 0x0
	v_cmpx_gt_u32_e32 8, v4
; %bb.638:                              ;   in Loop: Header=BB212_15 Depth=1
	s_delay_alu instid0(VALU_DEP_2) | instskip(NEXT) | instid1(VALU_DEP_1)
	v_clz_i32_u32_e32 v3, v0
	v_min_u32_e32 v3, 32, v3
	s_delay_alu instid0(VALU_DEP_1) | instskip(NEXT) | instid1(VALU_DEP_1)
	v_subrev_nc_u32_e32 v4, 28, v3
	v_lshlrev_b64_e32 v[4:5], v4, v[0:1]
	s_delay_alu instid0(VALU_DEP_1)
	v_dual_sub_nc_u32 v3, 29, v3 :: v_dual_bitop2_b32 v0, 7, v4 bitop3:0x40
; %bb.639:                              ;   in Loop: Header=BB212_15 Depth=1
	s_or_b32 exec_lo, exec_lo, s17
	s_delay_alu instid0(VALU_DEP_1) | instskip(NEXT) | instid1(VALU_DEP_2)
	v_dual_lshlrev_b32 v4, 16, v2 :: v_dual_lshlrev_b32 v0, 20, v0
	v_lshl_add_u32 v3, v3, 23, 0x3c000000
	v_mov_b32_e32 v102, v1
	s_delay_alu instid0(VALU_DEP_3) | instskip(NEXT) | instid1(VALU_DEP_1)
	v_and_b32_e32 v4, 0x80000000, v4
	v_or3_b32 v103, v0, v4, v3
	v_mov_b32_e32 v3, v1
	scratch_store_b64 off, v[2:3], s32 offset:192 ; 8-byte Folded Spill
.LBB212_640:                            ;   in Loop: Header=BB212_15 Depth=1
	s_wait_xcnt 0x0
	s_or_b32 exec_lo, exec_lo, s16
.LBB212_641:                            ;   in Loop: Header=BB212_15 Depth=1
	s_delay_alu instid0(SALU_CYCLE_1)
	s_or_b32 exec_lo, exec_lo, s15
.LBB212_642:                            ;   in Loop: Header=BB212_15 Depth=1
	s_delay_alu instid0(SALU_CYCLE_1) | instskip(SKIP_4) | instid1(VALU_DEP_3)
	s_or_b32 exec_lo, exec_lo, s14
	v_lshrrev_b32_e32 v3, 16, v2
	v_mov_b64_e32 v[112:113], 0
	v_mov_b64_e32 v[46:47], 0
	s_mov_b32 s14, exec_lo
	v_and_b32_e32 v0, 0xff, v3
	s_delay_alu instid0(VALU_DEP_1)
	v_cmpx_ne_u16_e32 0, v0
	s_cbranch_execz .LBB212_650
; %bb.643:                              ;   in Loop: Header=BB212_15 Depth=1
	v_mov_b64_e32 v[46:47], 0x80000000
	s_mov_b32 s15, exec_lo
	v_cmpx_ne_u16_e32 0x80, v0
	s_cbranch_execz .LBB212_649
; %bb.644:                              ;   in Loop: Header=BB212_15 Depth=1
	v_mov_b64_e32 v[46:47], 0x7f800001
	v_bfe_u32 v5, v2, 16, 7
	s_mov_b32 s16, exec_lo
	s_delay_alu instid0(VALU_DEP_1)
	v_cmpx_ne_u32_e32 0x7f, v5
	s_cbranch_execz .LBB212_648
; %bb.645:                              ;   in Loop: Header=BB212_15 Depth=1
	scratch_load_b64 v[46:47], off, s32 offset:192 th:TH_LOAD_LU ; 8-byte Folded Reload
	s_wait_loadcnt 0x0
	v_dual_lshrrev_b32 v4, 3, v5 :: v_dual_bitop2_b32 v46, 7, v3 bitop3:0x40
	s_mov_b32 s17, exec_lo
	s_wait_xcnt 0x0
	v_cmpx_gt_u32_e32 8, v5
; %bb.646:                              ;   in Loop: Header=BB212_15 Depth=1
	s_delay_alu instid0(VALU_DEP_2) | instskip(NEXT) | instid1(VALU_DEP_1)
	v_clz_i32_u32_e32 v4, v46
	v_min_u32_e32 v4, 32, v4
	s_delay_alu instid0(VALU_DEP_1) | instskip(NEXT) | instid1(VALU_DEP_1)
	v_subrev_nc_u32_e32 v5, 28, v4
	v_lshlrev_b64_e32 v[6:7], v5, v[46:47]
	s_delay_alu instid0(VALU_DEP_1)
	v_dual_sub_nc_u32 v4, 29, v4 :: v_dual_bitop2_b32 v46, 7, v6 bitop3:0x40
; %bb.647:                              ;   in Loop: Header=BB212_15 Depth=1
	s_or_b32 exec_lo, exec_lo, s17
	s_delay_alu instid0(VALU_DEP_1) | instskip(NEXT) | instid1(VALU_DEP_2)
	v_dual_lshlrev_b32 v3, 24, v3 :: v_dual_lshlrev_b32 v0, 20, v46
	v_lshl_add_u32 v4, v4, 23, 0x3c000000
	v_mov_b32_e32 v1, v47
	s_delay_alu instid0(VALU_DEP_3)
	v_and_b32_e32 v3, 0x80000000, v3
	scratch_store_b64 off, v[0:1], s32 offset:192 ; 8-byte Folded Spill
	v_or3_b32 v46, v0, v3, v4
.LBB212_648:                            ;   in Loop: Header=BB212_15 Depth=1
	s_wait_xcnt 0x0
	s_or_b32 exec_lo, exec_lo, s16
.LBB212_649:                            ;   in Loop: Header=BB212_15 Depth=1
	s_delay_alu instid0(SALU_CYCLE_1)
	s_or_b32 exec_lo, exec_lo, s15
.LBB212_650:                            ;   in Loop: Header=BB212_15 Depth=1
	s_delay_alu instid0(SALU_CYCLE_1) | instskip(NEXT) | instid1(SALU_CYCLE_1)
	s_or_b32 exec_lo, exec_lo, s14
	s_mov_b32 s14, exec_lo
	v_cmpx_lt_u32_e32 0xffffff, v2
	s_cbranch_execz .LBB212_658
; %bb.651:                              ;   in Loop: Header=BB212_15 Depth=1
	v_mov_b64_e32 v[112:113], 0x8000000000000000
	v_lshrrev_b32_e32 v3, 24, v2
	s_mov_b32 s15, exec_lo
	s_delay_alu instid0(VALU_DEP_1)
	v_cmpx_ne_u32_e32 0x80, v3
	s_cbranch_execz .LBB212_657
; %bb.652:                              ;   in Loop: Header=BB212_15 Depth=1
	v_mov_b64_e32 v[112:113], 0x7f80000100000000
	v_bfe_u32 v4, v2, 24, 7
	s_mov_b32 s16, exec_lo
	s_delay_alu instid0(VALU_DEP_1)
	v_cmpx_ne_u32_e32 0x7f, v4
	s_cbranch_execz .LBB212_656
; %bb.653:                              ;   in Loop: Header=BB212_15 Depth=1
	scratch_load_b64 v[0:1], off, s32 offset:192 th:TH_LOAD_LU ; 8-byte Folded Reload
	s_wait_loadcnt 0x0
	v_dual_lshrrev_b32 v2, 3, v4 :: v_dual_bitop2_b32 v0, 7, v3 bitop3:0x40
	s_mov_b32 s17, exec_lo
	s_wait_xcnt 0x0
	v_cmpx_gt_u32_e32 8, v4
; %bb.654:                              ;   in Loop: Header=BB212_15 Depth=1
	s_delay_alu instid0(VALU_DEP_2) | instskip(NEXT) | instid1(VALU_DEP_1)
	v_clz_i32_u32_e32 v2, v0
	v_min_u32_e32 v2, 32, v2
	s_delay_alu instid0(VALU_DEP_1) | instskip(NEXT) | instid1(VALU_DEP_1)
	v_subrev_nc_u32_e32 v4, 28, v2
	v_lshlrev_b64_e32 v[4:5], v4, v[0:1]
	s_delay_alu instid0(VALU_DEP_1)
	v_dual_sub_nc_u32 v2, 29, v2 :: v_dual_bitop2_b32 v0, 7, v4 bitop3:0x40
; %bb.655:                              ;   in Loop: Header=BB212_15 Depth=1
	s_or_b32 exec_lo, exec_lo, s17
	s_delay_alu instid0(VALU_DEP_1) | instskip(NEXT) | instid1(VALU_DEP_2)
	v_dual_lshlrev_b32 v3, 24, v3 :: v_dual_lshlrev_b32 v0, 20, v0
	v_lshl_add_u32 v2, v2, 23, 0x3c000000
	v_mov_b32_e32 v112, v1
	s_delay_alu instid0(VALU_DEP_3) | instskip(NEXT) | instid1(VALU_DEP_1)
	v_and_b32_e32 v3, 0x80000000, v3
	v_or3_b32 v113, v0, v3, v2
	v_mov_b32_e32 v3, v1
	scratch_store_b64 off, v[2:3], s32 offset:192 ; 8-byte Folded Spill
.LBB212_656:                            ;   in Loop: Header=BB212_15 Depth=1
	s_wait_xcnt 0x0
	s_or_b32 exec_lo, exec_lo, s16
.LBB212_657:                            ;   in Loop: Header=BB212_15 Depth=1
	s_delay_alu instid0(SALU_CYCLE_1)
	s_or_b32 exec_lo, exec_lo, s15
.LBB212_658:                            ;   in Loop: Header=BB212_15 Depth=1
	s_delay_alu instid0(SALU_CYCLE_1)
	s_or_b32 exec_lo, exec_lo, s14
	flat_load_b32 v2, v[68:69] offset:2560
	v_mov_b64_e32 v[116:117], 0
	v_mov_b64_e32 v[58:59], 0
	s_mov_b32 s14, exec_lo
	s_wait_loadcnt_dscnt 0x0
	v_and_b32_e32 v0, 0xff, v2
	s_wait_xcnt 0x0
	s_delay_alu instid0(VALU_DEP_1)
	v_cmpx_ne_u16_e32 0, v0
	s_cbranch_execz .LBB212_666
; %bb.659:                              ;   in Loop: Header=BB212_15 Depth=1
	v_mov_b64_e32 v[58:59], 0x80000000
	s_mov_b32 s15, exec_lo
	v_cmpx_ne_u16_e32 0x80, v0
	s_cbranch_execz .LBB212_665
; %bb.660:                              ;   in Loop: Header=BB212_15 Depth=1
	v_mov_b64_e32 v[58:59], 0x7f800001
	v_and_b32_e32 v4, 0x7f, v2
	s_mov_b32 s16, exec_lo
	s_delay_alu instid0(VALU_DEP_1)
	v_cmpx_ne_u32_e32 0x7f, v4
	s_cbranch_execz .LBB212_664
; %bb.661:                              ;   in Loop: Header=BB212_15 Depth=1
	scratch_load_b64 v[58:59], off, s32 offset:192 th:TH_LOAD_LU ; 8-byte Folded Reload
	s_wait_loadcnt 0x0
	v_dual_lshrrev_b32 v3, 3, v4 :: v_dual_bitop2_b32 v58, 7, v2 bitop3:0x40
	s_mov_b32 s17, exec_lo
	s_wait_xcnt 0x0
	v_cmpx_gt_u32_e32 8, v4
; %bb.662:                              ;   in Loop: Header=BB212_15 Depth=1
	s_delay_alu instid0(VALU_DEP_2) | instskip(NEXT) | instid1(VALU_DEP_1)
	v_clz_i32_u32_e32 v3, v58
	v_min_u32_e32 v3, 32, v3
	s_delay_alu instid0(VALU_DEP_1) | instskip(NEXT) | instid1(VALU_DEP_1)
	v_subrev_nc_u32_e32 v4, 28, v3
	v_lshlrev_b64_e32 v[4:5], v4, v[58:59]
	s_delay_alu instid0(VALU_DEP_1)
	v_dual_sub_nc_u32 v3, 29, v3 :: v_dual_bitop2_b32 v58, 7, v4 bitop3:0x40
; %bb.663:                              ;   in Loop: Header=BB212_15 Depth=1
	s_or_b32 exec_lo, exec_lo, s17
	v_dual_mov_b32 v1, v59 :: v_dual_lshlrev_b32 v4, 24, v2
	s_delay_alu instid0(VALU_DEP_2) | instskip(NEXT) | instid1(VALU_DEP_3)
	v_lshlrev_b32_e32 v0, 20, v58
	v_lshl_add_u32 v3, v3, 23, 0x3c000000
	s_delay_alu instid0(VALU_DEP_3)
	v_and_b32_e32 v4, 0x80000000, v4
	scratch_store_b64 off, v[0:1], s32 offset:192 ; 8-byte Folded Spill
	v_or3_b32 v58, v0, v4, v3
.LBB212_664:                            ;   in Loop: Header=BB212_15 Depth=1
	s_wait_xcnt 0x0
	s_or_b32 exec_lo, exec_lo, s16
.LBB212_665:                            ;   in Loop: Header=BB212_15 Depth=1
	s_delay_alu instid0(SALU_CYCLE_1)
	s_or_b32 exec_lo, exec_lo, s15
.LBB212_666:                            ;   in Loop: Header=BB212_15 Depth=1
	s_delay_alu instid0(SALU_CYCLE_1) | instskip(SKIP_2) | instid1(VALU_DEP_1)
	s_or_b32 exec_lo, exec_lo, s14
	v_lshrrev_b16 v0, 8, v2
	s_mov_b32 s14, exec_lo
	v_cmpx_ne_u16_e32 0, v0
	s_cbranch_execz .LBB212_674
; %bb.667:                              ;   in Loop: Header=BB212_15 Depth=1
	v_mov_b64_e32 v[116:117], 0x8000000000000000
	s_mov_b32 s15, exec_lo
	v_cmpx_ne_u16_e32 0x80, v0
	s_cbranch_execz .LBB212_673
; %bb.668:                              ;   in Loop: Header=BB212_15 Depth=1
	v_and_b32_e32 v0, 0xffff, v0
	v_mov_b64_e32 v[116:117], 0x7f80000100000000
	s_mov_b32 s16, exec_lo
	s_delay_alu instid0(VALU_DEP_2) | instskip(NEXT) | instid1(VALU_DEP_1)
	v_and_b32_e32 v4, 0x7f, v0
	v_cmpx_ne_u32_e32 0x7f, v4
	s_cbranch_execz .LBB212_672
; %bb.669:                              ;   in Loop: Header=BB212_15 Depth=1
	scratch_load_b64 v[6:7], off, s32 offset:192 th:TH_LOAD_LU ; 8-byte Folded Reload
	v_lshrrev_b32_e32 v3, 3, v4
	s_mov_b32 s17, exec_lo
	s_wait_loadcnt 0x0
	v_dual_mov_b32 v1, v7 :: v_dual_bitop2_b32 v0, 7, v0 bitop3:0x40
	s_wait_xcnt 0x0
	v_cmpx_gt_u32_e32 8, v4
; %bb.670:                              ;   in Loop: Header=BB212_15 Depth=1
	s_delay_alu instid0(VALU_DEP_2) | instskip(NEXT) | instid1(VALU_DEP_1)
	v_clz_i32_u32_e32 v3, v0
	v_min_u32_e32 v3, 32, v3
	s_delay_alu instid0(VALU_DEP_1) | instskip(NEXT) | instid1(VALU_DEP_1)
	v_subrev_nc_u32_e32 v4, 28, v3
	v_lshlrev_b64_e32 v[4:5], v4, v[0:1]
	s_delay_alu instid0(VALU_DEP_1)
	v_dual_sub_nc_u32 v3, 29, v3 :: v_dual_bitop2_b32 v0, 7, v4 bitop3:0x40
; %bb.671:                              ;   in Loop: Header=BB212_15 Depth=1
	s_or_b32 exec_lo, exec_lo, s17
	s_delay_alu instid0(VALU_DEP_1) | instskip(NEXT) | instid1(VALU_DEP_2)
	v_dual_lshlrev_b32 v4, 16, v2 :: v_dual_lshlrev_b32 v0, 20, v0
	v_lshl_add_u32 v3, v3, 23, 0x3c000000
	v_mov_b32_e32 v116, v1
	s_delay_alu instid0(VALU_DEP_3) | instskip(NEXT) | instid1(VALU_DEP_1)
	v_and_b32_e32 v4, 0x80000000, v4
	v_or3_b32 v117, v0, v4, v3
	v_mov_b32_e32 v3, v1
	scratch_store_b64 off, v[2:3], s32 offset:192 ; 8-byte Folded Spill
.LBB212_672:                            ;   in Loop: Header=BB212_15 Depth=1
	s_wait_xcnt 0x0
	s_or_b32 exec_lo, exec_lo, s16
.LBB212_673:                            ;   in Loop: Header=BB212_15 Depth=1
	s_delay_alu instid0(SALU_CYCLE_1)
	s_or_b32 exec_lo, exec_lo, s15
.LBB212_674:                            ;   in Loop: Header=BB212_15 Depth=1
	s_delay_alu instid0(SALU_CYCLE_1) | instskip(SKIP_4) | instid1(VALU_DEP_3)
	s_or_b32 exec_lo, exec_lo, s14
	v_lshrrev_b32_e32 v3, 16, v2
	v_mov_b64_e32 v[40:41], 0
	v_mov_b64_e32 v[62:63], 0
	s_mov_b32 s14, exec_lo
	v_and_b32_e32 v0, 0xff, v3
	s_delay_alu instid0(VALU_DEP_1)
	v_cmpx_ne_u16_e32 0, v0
	s_cbranch_execz .LBB212_682
; %bb.675:                              ;   in Loop: Header=BB212_15 Depth=1
	v_mov_b64_e32 v[62:63], 0x80000000
	s_mov_b32 s15, exec_lo
	v_cmpx_ne_u16_e32 0x80, v0
	s_cbranch_execz .LBB212_681
; %bb.676:                              ;   in Loop: Header=BB212_15 Depth=1
	v_mov_b64_e32 v[62:63], 0x7f800001
	v_bfe_u32 v5, v2, 16, 7
	s_mov_b32 s16, exec_lo
	s_delay_alu instid0(VALU_DEP_1)
	v_cmpx_ne_u32_e32 0x7f, v5
	s_cbranch_execz .LBB212_680
; %bb.677:                              ;   in Loop: Header=BB212_15 Depth=1
	scratch_load_b64 v[62:63], off, s32 offset:192 th:TH_LOAD_LU ; 8-byte Folded Reload
	s_wait_loadcnt 0x0
	v_dual_lshrrev_b32 v4, 3, v5 :: v_dual_bitop2_b32 v62, 7, v3 bitop3:0x40
	s_mov_b32 s17, exec_lo
	s_wait_xcnt 0x0
	v_cmpx_gt_u32_e32 8, v5
; %bb.678:                              ;   in Loop: Header=BB212_15 Depth=1
	s_delay_alu instid0(VALU_DEP_2) | instskip(NEXT) | instid1(VALU_DEP_1)
	v_clz_i32_u32_e32 v4, v62
	v_min_u32_e32 v4, 32, v4
	s_delay_alu instid0(VALU_DEP_1) | instskip(NEXT) | instid1(VALU_DEP_1)
	v_subrev_nc_u32_e32 v5, 28, v4
	v_lshlrev_b64_e32 v[6:7], v5, v[62:63]
	s_delay_alu instid0(VALU_DEP_1)
	v_dual_sub_nc_u32 v4, 29, v4 :: v_dual_bitop2_b32 v62, 7, v6 bitop3:0x40
; %bb.679:                              ;   in Loop: Header=BB212_15 Depth=1
	s_or_b32 exec_lo, exec_lo, s17
	s_delay_alu instid0(VALU_DEP_1) | instskip(NEXT) | instid1(VALU_DEP_2)
	v_dual_lshlrev_b32 v3, 24, v3 :: v_dual_lshlrev_b32 v0, 20, v62
	v_lshl_add_u32 v4, v4, 23, 0x3c000000
	v_mov_b32_e32 v1, v63
	s_delay_alu instid0(VALU_DEP_3)
	v_and_b32_e32 v3, 0x80000000, v3
	scratch_store_b64 off, v[0:1], s32 offset:192 ; 8-byte Folded Spill
	v_or3_b32 v62, v0, v3, v4
.LBB212_680:                            ;   in Loop: Header=BB212_15 Depth=1
	s_wait_xcnt 0x0
	s_or_b32 exec_lo, exec_lo, s16
.LBB212_681:                            ;   in Loop: Header=BB212_15 Depth=1
	s_delay_alu instid0(SALU_CYCLE_1)
	s_or_b32 exec_lo, exec_lo, s15
.LBB212_682:                            ;   in Loop: Header=BB212_15 Depth=1
	s_delay_alu instid0(SALU_CYCLE_1) | instskip(NEXT) | instid1(SALU_CYCLE_1)
	s_or_b32 exec_lo, exec_lo, s14
	s_mov_b32 s14, exec_lo
	v_cmpx_lt_u32_e32 0xffffff, v2
	s_cbranch_execz .LBB212_690
; %bb.683:                              ;   in Loop: Header=BB212_15 Depth=1
	v_mov_b64_e32 v[40:41], 0x8000000000000000
	v_lshrrev_b32_e32 v3, 24, v2
	s_mov_b32 s15, exec_lo
	s_delay_alu instid0(VALU_DEP_1)
	v_cmpx_ne_u32_e32 0x80, v3
	s_cbranch_execz .LBB212_689
; %bb.684:                              ;   in Loop: Header=BB212_15 Depth=1
	v_mov_b64_e32 v[40:41], 0x7f80000100000000
	v_bfe_u32 v4, v2, 24, 7
	s_mov_b32 s16, exec_lo
	s_delay_alu instid0(VALU_DEP_1)
	v_cmpx_ne_u32_e32 0x7f, v4
	s_cbranch_execz .LBB212_688
; %bb.685:                              ;   in Loop: Header=BB212_15 Depth=1
	scratch_load_b64 v[0:1], off, s32 offset:192 th:TH_LOAD_LU ; 8-byte Folded Reload
	s_wait_loadcnt 0x0
	v_dual_lshrrev_b32 v2, 3, v4 :: v_dual_bitop2_b32 v0, 7, v3 bitop3:0x40
	s_mov_b32 s17, exec_lo
	s_wait_xcnt 0x0
	v_cmpx_gt_u32_e32 8, v4
; %bb.686:                              ;   in Loop: Header=BB212_15 Depth=1
	s_delay_alu instid0(VALU_DEP_2) | instskip(NEXT) | instid1(VALU_DEP_1)
	v_clz_i32_u32_e32 v2, v0
	v_min_u32_e32 v2, 32, v2
	s_delay_alu instid0(VALU_DEP_1) | instskip(NEXT) | instid1(VALU_DEP_1)
	v_subrev_nc_u32_e32 v4, 28, v2
	v_lshlrev_b64_e32 v[4:5], v4, v[0:1]
	s_delay_alu instid0(VALU_DEP_1)
	v_dual_sub_nc_u32 v2, 29, v2 :: v_dual_bitop2_b32 v0, 7, v4 bitop3:0x40
; %bb.687:                              ;   in Loop: Header=BB212_15 Depth=1
	s_or_b32 exec_lo, exec_lo, s17
	s_delay_alu instid0(VALU_DEP_1) | instskip(NEXT) | instid1(VALU_DEP_2)
	v_dual_lshlrev_b32 v3, 24, v3 :: v_dual_lshlrev_b32 v0, 20, v0
	v_lshl_add_u32 v2, v2, 23, 0x3c000000
	v_mov_b32_e32 v40, v1
	s_delay_alu instid0(VALU_DEP_3) | instskip(NEXT) | instid1(VALU_DEP_1)
	v_and_b32_e32 v3, 0x80000000, v3
	v_or3_b32 v41, v0, v3, v2
	v_mov_b32_e32 v3, v1
	scratch_store_b64 off, v[2:3], s32 offset:192 ; 8-byte Folded Spill
.LBB212_688:                            ;   in Loop: Header=BB212_15 Depth=1
	s_wait_xcnt 0x0
	s_or_b32 exec_lo, exec_lo, s16
.LBB212_689:                            ;   in Loop: Header=BB212_15 Depth=1
	s_delay_alu instid0(SALU_CYCLE_1)
	s_or_b32 exec_lo, exec_lo, s15
.LBB212_690:                            ;   in Loop: Header=BB212_15 Depth=1
	s_delay_alu instid0(SALU_CYCLE_1)
	s_or_b32 exec_lo, exec_lo, s14
	flat_load_b32 v2, v[68:69] offset:2564
	v_mov_b64_e32 v[44:45], 0
	v_mov_b64_e32 v[74:75], 0
	s_mov_b32 s14, exec_lo
	s_wait_loadcnt_dscnt 0x0
	v_and_b32_e32 v0, 0xff, v2
	s_wait_xcnt 0x0
	s_delay_alu instid0(VALU_DEP_1)
	v_cmpx_ne_u16_e32 0, v0
	s_cbranch_execz .LBB212_698
; %bb.691:                              ;   in Loop: Header=BB212_15 Depth=1
	v_mov_b64_e32 v[74:75], 0x80000000
	s_mov_b32 s15, exec_lo
	v_cmpx_ne_u16_e32 0x80, v0
	s_cbranch_execz .LBB212_697
; %bb.692:                              ;   in Loop: Header=BB212_15 Depth=1
	v_mov_b64_e32 v[74:75], 0x7f800001
	v_and_b32_e32 v4, 0x7f, v2
	s_mov_b32 s16, exec_lo
	s_delay_alu instid0(VALU_DEP_1)
	v_cmpx_ne_u32_e32 0x7f, v4
	s_cbranch_execz .LBB212_696
; %bb.693:                              ;   in Loop: Header=BB212_15 Depth=1
	scratch_load_b64 v[74:75], off, s32 offset:192 th:TH_LOAD_LU ; 8-byte Folded Reload
	s_wait_loadcnt 0x0
	v_dual_lshrrev_b32 v3, 3, v4 :: v_dual_bitop2_b32 v74, 7, v2 bitop3:0x40
	s_mov_b32 s17, exec_lo
	s_wait_xcnt 0x0
	v_cmpx_gt_u32_e32 8, v4
; %bb.694:                              ;   in Loop: Header=BB212_15 Depth=1
	s_delay_alu instid0(VALU_DEP_2) | instskip(NEXT) | instid1(VALU_DEP_1)
	v_clz_i32_u32_e32 v3, v74
	v_min_u32_e32 v3, 32, v3
	s_delay_alu instid0(VALU_DEP_1) | instskip(NEXT) | instid1(VALU_DEP_1)
	v_subrev_nc_u32_e32 v4, 28, v3
	v_lshlrev_b64_e32 v[4:5], v4, v[74:75]
	s_delay_alu instid0(VALU_DEP_1)
	v_dual_sub_nc_u32 v3, 29, v3 :: v_dual_bitop2_b32 v74, 7, v4 bitop3:0x40
; %bb.695:                              ;   in Loop: Header=BB212_15 Depth=1
	s_or_b32 exec_lo, exec_lo, s17
	v_dual_mov_b32 v1, v75 :: v_dual_lshlrev_b32 v4, 24, v2
	s_delay_alu instid0(VALU_DEP_2) | instskip(NEXT) | instid1(VALU_DEP_3)
	v_lshlrev_b32_e32 v0, 20, v74
	v_lshl_add_u32 v3, v3, 23, 0x3c000000
	s_delay_alu instid0(VALU_DEP_3)
	v_and_b32_e32 v4, 0x80000000, v4
	scratch_store_b64 off, v[0:1], s32 offset:192 ; 8-byte Folded Spill
	v_or3_b32 v74, v0, v4, v3
.LBB212_696:                            ;   in Loop: Header=BB212_15 Depth=1
	s_wait_xcnt 0x0
	s_or_b32 exec_lo, exec_lo, s16
.LBB212_697:                            ;   in Loop: Header=BB212_15 Depth=1
	s_delay_alu instid0(SALU_CYCLE_1)
	s_or_b32 exec_lo, exec_lo, s15
.LBB212_698:                            ;   in Loop: Header=BB212_15 Depth=1
	s_delay_alu instid0(SALU_CYCLE_1) | instskip(SKIP_2) | instid1(VALU_DEP_1)
	s_or_b32 exec_lo, exec_lo, s14
	v_lshrrev_b16 v0, 8, v2
	s_mov_b32 s14, exec_lo
	v_cmpx_ne_u16_e32 0, v0
	s_cbranch_execz .LBB212_706
; %bb.699:                              ;   in Loop: Header=BB212_15 Depth=1
	v_mov_b64_e32 v[44:45], 0x8000000000000000
	s_mov_b32 s15, exec_lo
	v_cmpx_ne_u16_e32 0x80, v0
	s_cbranch_execz .LBB212_705
; %bb.700:                              ;   in Loop: Header=BB212_15 Depth=1
	v_and_b32_e32 v0, 0xffff, v0
	v_mov_b64_e32 v[44:45], 0x7f80000100000000
	s_mov_b32 s16, exec_lo
	s_delay_alu instid0(VALU_DEP_2) | instskip(NEXT) | instid1(VALU_DEP_1)
	v_and_b32_e32 v4, 0x7f, v0
	v_cmpx_ne_u32_e32 0x7f, v4
	s_cbranch_execz .LBB212_704
; %bb.701:                              ;   in Loop: Header=BB212_15 Depth=1
	scratch_load_b64 v[6:7], off, s32 offset:192 th:TH_LOAD_LU ; 8-byte Folded Reload
	v_lshrrev_b32_e32 v3, 3, v4
	s_mov_b32 s17, exec_lo
	s_wait_loadcnt 0x0
	v_dual_mov_b32 v1, v7 :: v_dual_bitop2_b32 v0, 7, v0 bitop3:0x40
	s_wait_xcnt 0x0
	v_cmpx_gt_u32_e32 8, v4
; %bb.702:                              ;   in Loop: Header=BB212_15 Depth=1
	s_delay_alu instid0(VALU_DEP_2) | instskip(NEXT) | instid1(VALU_DEP_1)
	v_clz_i32_u32_e32 v3, v0
	v_min_u32_e32 v3, 32, v3
	s_delay_alu instid0(VALU_DEP_1) | instskip(NEXT) | instid1(VALU_DEP_1)
	v_subrev_nc_u32_e32 v4, 28, v3
	v_lshlrev_b64_e32 v[4:5], v4, v[0:1]
	s_delay_alu instid0(VALU_DEP_1)
	v_dual_sub_nc_u32 v3, 29, v3 :: v_dual_bitop2_b32 v0, 7, v4 bitop3:0x40
; %bb.703:                              ;   in Loop: Header=BB212_15 Depth=1
	s_or_b32 exec_lo, exec_lo, s17
	s_delay_alu instid0(VALU_DEP_1) | instskip(NEXT) | instid1(VALU_DEP_2)
	v_dual_lshlrev_b32 v4, 16, v2 :: v_dual_lshlrev_b32 v0, 20, v0
	v_lshl_add_u32 v3, v3, 23, 0x3c000000
	v_mov_b32_e32 v44, v1
	s_delay_alu instid0(VALU_DEP_3) | instskip(NEXT) | instid1(VALU_DEP_1)
	v_and_b32_e32 v4, 0x80000000, v4
	v_or3_b32 v45, v0, v4, v3
	v_mov_b32_e32 v3, v1
	scratch_store_b64 off, v[2:3], s32 offset:192 ; 8-byte Folded Spill
.LBB212_704:                            ;   in Loop: Header=BB212_15 Depth=1
	s_wait_xcnt 0x0
	s_or_b32 exec_lo, exec_lo, s16
.LBB212_705:                            ;   in Loop: Header=BB212_15 Depth=1
	s_delay_alu instid0(SALU_CYCLE_1)
	s_or_b32 exec_lo, exec_lo, s15
.LBB212_706:                            ;   in Loop: Header=BB212_15 Depth=1
	s_delay_alu instid0(SALU_CYCLE_1) | instskip(SKIP_4) | instid1(VALU_DEP_3)
	s_or_b32 exec_lo, exec_lo, s14
	v_lshrrev_b32_e32 v3, 16, v2
	v_mov_b64_e32 v[56:57], 0
	v_mov_b64_e32 v[78:79], 0
	s_mov_b32 s14, exec_lo
	v_and_b32_e32 v0, 0xff, v3
	s_delay_alu instid0(VALU_DEP_1)
	v_cmpx_ne_u16_e32 0, v0
	s_cbranch_execz .LBB212_714
; %bb.707:                              ;   in Loop: Header=BB212_15 Depth=1
	v_mov_b64_e32 v[78:79], 0x80000000
	s_mov_b32 s15, exec_lo
	v_cmpx_ne_u16_e32 0x80, v0
	s_cbranch_execz .LBB212_713
; %bb.708:                              ;   in Loop: Header=BB212_15 Depth=1
	v_mov_b64_e32 v[78:79], 0x7f800001
	v_bfe_u32 v5, v2, 16, 7
	s_mov_b32 s16, exec_lo
	s_delay_alu instid0(VALU_DEP_1)
	v_cmpx_ne_u32_e32 0x7f, v5
	s_cbranch_execz .LBB212_712
; %bb.709:                              ;   in Loop: Header=BB212_15 Depth=1
	scratch_load_b64 v[78:79], off, s32 offset:192 th:TH_LOAD_LU ; 8-byte Folded Reload
	s_wait_loadcnt 0x0
	v_dual_lshrrev_b32 v4, 3, v5 :: v_dual_bitop2_b32 v78, 7, v3 bitop3:0x40
	s_mov_b32 s17, exec_lo
	s_wait_xcnt 0x0
	v_cmpx_gt_u32_e32 8, v5
; %bb.710:                              ;   in Loop: Header=BB212_15 Depth=1
	s_delay_alu instid0(VALU_DEP_2) | instskip(NEXT) | instid1(VALU_DEP_1)
	v_clz_i32_u32_e32 v4, v78
	v_min_u32_e32 v4, 32, v4
	s_delay_alu instid0(VALU_DEP_1) | instskip(NEXT) | instid1(VALU_DEP_1)
	v_subrev_nc_u32_e32 v5, 28, v4
	v_lshlrev_b64_e32 v[6:7], v5, v[78:79]
	s_delay_alu instid0(VALU_DEP_1)
	v_dual_sub_nc_u32 v4, 29, v4 :: v_dual_bitop2_b32 v78, 7, v6 bitop3:0x40
; %bb.711:                              ;   in Loop: Header=BB212_15 Depth=1
	s_or_b32 exec_lo, exec_lo, s17
	s_delay_alu instid0(VALU_DEP_1) | instskip(NEXT) | instid1(VALU_DEP_2)
	v_dual_lshlrev_b32 v3, 24, v3 :: v_dual_lshlrev_b32 v0, 20, v78
	v_lshl_add_u32 v4, v4, 23, 0x3c000000
	v_mov_b32_e32 v1, v79
	s_delay_alu instid0(VALU_DEP_3)
	v_and_b32_e32 v3, 0x80000000, v3
	scratch_store_b64 off, v[0:1], s32 offset:192 ; 8-byte Folded Spill
	v_or3_b32 v78, v0, v3, v4
.LBB212_712:                            ;   in Loop: Header=BB212_15 Depth=1
	s_wait_xcnt 0x0
	s_or_b32 exec_lo, exec_lo, s16
.LBB212_713:                            ;   in Loop: Header=BB212_15 Depth=1
	s_delay_alu instid0(SALU_CYCLE_1)
	s_or_b32 exec_lo, exec_lo, s15
.LBB212_714:                            ;   in Loop: Header=BB212_15 Depth=1
	s_delay_alu instid0(SALU_CYCLE_1) | instskip(NEXT) | instid1(SALU_CYCLE_1)
	s_or_b32 exec_lo, exec_lo, s14
	s_mov_b32 s14, exec_lo
	v_cmpx_lt_u32_e32 0xffffff, v2
	s_cbranch_execz .LBB212_722
; %bb.715:                              ;   in Loop: Header=BB212_15 Depth=1
	v_mov_b64_e32 v[56:57], 0x8000000000000000
	v_lshrrev_b32_e32 v3, 24, v2
	s_mov_b32 s15, exec_lo
	s_delay_alu instid0(VALU_DEP_1)
	v_cmpx_ne_u32_e32 0x80, v3
	s_cbranch_execz .LBB212_721
; %bb.716:                              ;   in Loop: Header=BB212_15 Depth=1
	v_mov_b64_e32 v[56:57], 0x7f80000100000000
	v_bfe_u32 v4, v2, 24, 7
	s_mov_b32 s16, exec_lo
	s_delay_alu instid0(VALU_DEP_1)
	v_cmpx_ne_u32_e32 0x7f, v4
	s_cbranch_execz .LBB212_720
; %bb.717:                              ;   in Loop: Header=BB212_15 Depth=1
	scratch_load_b64 v[0:1], off, s32 offset:192 th:TH_LOAD_LU ; 8-byte Folded Reload
	s_wait_loadcnt 0x0
	v_dual_lshrrev_b32 v2, 3, v4 :: v_dual_bitop2_b32 v0, 7, v3 bitop3:0x40
	s_mov_b32 s17, exec_lo
	s_wait_xcnt 0x0
	v_cmpx_gt_u32_e32 8, v4
; %bb.718:                              ;   in Loop: Header=BB212_15 Depth=1
	s_delay_alu instid0(VALU_DEP_2) | instskip(NEXT) | instid1(VALU_DEP_1)
	v_clz_i32_u32_e32 v2, v0
	v_min_u32_e32 v2, 32, v2
	s_delay_alu instid0(VALU_DEP_1) | instskip(NEXT) | instid1(VALU_DEP_1)
	v_subrev_nc_u32_e32 v4, 28, v2
	v_lshlrev_b64_e32 v[4:5], v4, v[0:1]
	s_delay_alu instid0(VALU_DEP_1)
	v_dual_sub_nc_u32 v2, 29, v2 :: v_dual_bitop2_b32 v0, 7, v4 bitop3:0x40
; %bb.719:                              ;   in Loop: Header=BB212_15 Depth=1
	s_or_b32 exec_lo, exec_lo, s17
	s_delay_alu instid0(VALU_DEP_1) | instskip(NEXT) | instid1(VALU_DEP_2)
	v_dual_lshlrev_b32 v3, 24, v3 :: v_dual_lshlrev_b32 v0, 20, v0
	v_lshl_add_u32 v2, v2, 23, 0x3c000000
	v_mov_b32_e32 v56, v1
	s_delay_alu instid0(VALU_DEP_3) | instskip(NEXT) | instid1(VALU_DEP_1)
	v_and_b32_e32 v3, 0x80000000, v3
	v_or3_b32 v57, v0, v3, v2
	v_mov_b32_e32 v3, v1
	scratch_store_b64 off, v[2:3], s32 offset:192 ; 8-byte Folded Spill
.LBB212_720:                            ;   in Loop: Header=BB212_15 Depth=1
	s_wait_xcnt 0x0
	s_or_b32 exec_lo, exec_lo, s16
.LBB212_721:                            ;   in Loop: Header=BB212_15 Depth=1
	s_delay_alu instid0(SALU_CYCLE_1)
	s_or_b32 exec_lo, exec_lo, s15
.LBB212_722:                            ;   in Loop: Header=BB212_15 Depth=1
	s_delay_alu instid0(SALU_CYCLE_1)
	s_or_b32 exec_lo, exec_lo, s14
	flat_load_b32 v2, v[68:69] offset:2568
	v_mov_b64_e32 v[60:61], 0
	v_mov_b64_e32 v[90:91], 0
	s_mov_b32 s14, exec_lo
	s_wait_loadcnt_dscnt 0x0
	v_and_b32_e32 v0, 0xff, v2
	s_wait_xcnt 0x0
	s_delay_alu instid0(VALU_DEP_1)
	v_cmpx_ne_u16_e32 0, v0
	s_cbranch_execz .LBB212_730
; %bb.723:                              ;   in Loop: Header=BB212_15 Depth=1
	v_mov_b64_e32 v[90:91], 0x80000000
	s_mov_b32 s15, exec_lo
	v_cmpx_ne_u16_e32 0x80, v0
	s_cbranch_execz .LBB212_729
; %bb.724:                              ;   in Loop: Header=BB212_15 Depth=1
	v_mov_b64_e32 v[90:91], 0x7f800001
	v_and_b32_e32 v4, 0x7f, v2
	s_mov_b32 s16, exec_lo
	s_delay_alu instid0(VALU_DEP_1)
	v_cmpx_ne_u32_e32 0x7f, v4
	s_cbranch_execz .LBB212_728
; %bb.725:                              ;   in Loop: Header=BB212_15 Depth=1
	scratch_load_b64 v[90:91], off, s32 offset:192 th:TH_LOAD_LU ; 8-byte Folded Reload
	s_wait_loadcnt 0x0
	v_dual_lshrrev_b32 v3, 3, v4 :: v_dual_bitop2_b32 v90, 7, v2 bitop3:0x40
	s_mov_b32 s17, exec_lo
	s_wait_xcnt 0x0
	v_cmpx_gt_u32_e32 8, v4
; %bb.726:                              ;   in Loop: Header=BB212_15 Depth=1
	s_delay_alu instid0(VALU_DEP_2) | instskip(NEXT) | instid1(VALU_DEP_1)
	v_clz_i32_u32_e32 v3, v90
	v_min_u32_e32 v3, 32, v3
	s_delay_alu instid0(VALU_DEP_1) | instskip(NEXT) | instid1(VALU_DEP_1)
	v_subrev_nc_u32_e32 v4, 28, v3
	v_lshlrev_b64_e32 v[4:5], v4, v[90:91]
	s_delay_alu instid0(VALU_DEP_1)
	v_dual_sub_nc_u32 v3, 29, v3 :: v_dual_bitop2_b32 v90, 7, v4 bitop3:0x40
; %bb.727:                              ;   in Loop: Header=BB212_15 Depth=1
	s_or_b32 exec_lo, exec_lo, s17
	v_dual_mov_b32 v1, v91 :: v_dual_lshlrev_b32 v4, 24, v2
	s_delay_alu instid0(VALU_DEP_2) | instskip(NEXT) | instid1(VALU_DEP_3)
	v_lshlrev_b32_e32 v0, 20, v90
	v_lshl_add_u32 v3, v3, 23, 0x3c000000
	s_delay_alu instid0(VALU_DEP_3)
	v_and_b32_e32 v4, 0x80000000, v4
	scratch_store_b64 off, v[0:1], s32 offset:192 ; 8-byte Folded Spill
	v_or3_b32 v90, v0, v4, v3
.LBB212_728:                            ;   in Loop: Header=BB212_15 Depth=1
	s_wait_xcnt 0x0
	s_or_b32 exec_lo, exec_lo, s16
.LBB212_729:                            ;   in Loop: Header=BB212_15 Depth=1
	s_delay_alu instid0(SALU_CYCLE_1)
	s_or_b32 exec_lo, exec_lo, s15
.LBB212_730:                            ;   in Loop: Header=BB212_15 Depth=1
	s_delay_alu instid0(SALU_CYCLE_1) | instskip(SKIP_2) | instid1(VALU_DEP_1)
	s_or_b32 exec_lo, exec_lo, s14
	v_lshrrev_b16 v0, 8, v2
	s_mov_b32 s14, exec_lo
	v_cmpx_ne_u16_e32 0, v0
	s_cbranch_execz .LBB212_738
; %bb.731:                              ;   in Loop: Header=BB212_15 Depth=1
	v_mov_b64_e32 v[60:61], 0x8000000000000000
	s_mov_b32 s15, exec_lo
	v_cmpx_ne_u16_e32 0x80, v0
	s_cbranch_execz .LBB212_737
; %bb.732:                              ;   in Loop: Header=BB212_15 Depth=1
	v_and_b32_e32 v0, 0xffff, v0
	v_mov_b64_e32 v[60:61], 0x7f80000100000000
	s_mov_b32 s16, exec_lo
	s_delay_alu instid0(VALU_DEP_2) | instskip(NEXT) | instid1(VALU_DEP_1)
	v_and_b32_e32 v4, 0x7f, v0
	v_cmpx_ne_u32_e32 0x7f, v4
	s_cbranch_execz .LBB212_736
; %bb.733:                              ;   in Loop: Header=BB212_15 Depth=1
	scratch_load_b64 v[6:7], off, s32 offset:192 th:TH_LOAD_LU ; 8-byte Folded Reload
	v_lshrrev_b32_e32 v3, 3, v4
	s_mov_b32 s17, exec_lo
	s_wait_loadcnt 0x0
	v_dual_mov_b32 v1, v7 :: v_dual_bitop2_b32 v0, 7, v0 bitop3:0x40
	s_wait_xcnt 0x0
	v_cmpx_gt_u32_e32 8, v4
; %bb.734:                              ;   in Loop: Header=BB212_15 Depth=1
	s_delay_alu instid0(VALU_DEP_2) | instskip(NEXT) | instid1(VALU_DEP_1)
	v_clz_i32_u32_e32 v3, v0
	v_min_u32_e32 v3, 32, v3
	s_delay_alu instid0(VALU_DEP_1) | instskip(NEXT) | instid1(VALU_DEP_1)
	v_subrev_nc_u32_e32 v4, 28, v3
	v_lshlrev_b64_e32 v[4:5], v4, v[0:1]
	s_delay_alu instid0(VALU_DEP_1)
	v_dual_sub_nc_u32 v3, 29, v3 :: v_dual_bitop2_b32 v0, 7, v4 bitop3:0x40
; %bb.735:                              ;   in Loop: Header=BB212_15 Depth=1
	s_or_b32 exec_lo, exec_lo, s17
	s_delay_alu instid0(VALU_DEP_1) | instskip(NEXT) | instid1(VALU_DEP_2)
	v_dual_lshlrev_b32 v4, 16, v2 :: v_dual_lshlrev_b32 v0, 20, v0
	v_lshl_add_u32 v3, v3, 23, 0x3c000000
	v_mov_b32_e32 v60, v1
	s_delay_alu instid0(VALU_DEP_3) | instskip(NEXT) | instid1(VALU_DEP_1)
	v_and_b32_e32 v4, 0x80000000, v4
	v_or3_b32 v61, v0, v4, v3
	v_mov_b32_e32 v3, v1
	scratch_store_b64 off, v[2:3], s32 offset:192 ; 8-byte Folded Spill
.LBB212_736:                            ;   in Loop: Header=BB212_15 Depth=1
	s_wait_xcnt 0x0
	s_or_b32 exec_lo, exec_lo, s16
.LBB212_737:                            ;   in Loop: Header=BB212_15 Depth=1
	s_delay_alu instid0(SALU_CYCLE_1)
	s_or_b32 exec_lo, exec_lo, s15
.LBB212_738:                            ;   in Loop: Header=BB212_15 Depth=1
	s_delay_alu instid0(SALU_CYCLE_1) | instskip(SKIP_4) | instid1(VALU_DEP_3)
	s_or_b32 exec_lo, exec_lo, s14
	v_lshrrev_b32_e32 v3, 16, v2
	v_mov_b64_e32 v[72:73], 0
	v_mov_b64_e32 v[94:95], 0
	s_mov_b32 s14, exec_lo
	v_and_b32_e32 v0, 0xff, v3
	s_delay_alu instid0(VALU_DEP_1)
	v_cmpx_ne_u16_e32 0, v0
	s_cbranch_execz .LBB212_746
; %bb.739:                              ;   in Loop: Header=BB212_15 Depth=1
	v_mov_b64_e32 v[94:95], 0x80000000
	s_mov_b32 s15, exec_lo
	v_cmpx_ne_u16_e32 0x80, v0
	s_cbranch_execz .LBB212_745
; %bb.740:                              ;   in Loop: Header=BB212_15 Depth=1
	v_mov_b64_e32 v[94:95], 0x7f800001
	v_bfe_u32 v5, v2, 16, 7
	s_mov_b32 s16, exec_lo
	s_delay_alu instid0(VALU_DEP_1)
	v_cmpx_ne_u32_e32 0x7f, v5
	s_cbranch_execz .LBB212_744
; %bb.741:                              ;   in Loop: Header=BB212_15 Depth=1
	scratch_load_b64 v[94:95], off, s32 offset:192 th:TH_LOAD_LU ; 8-byte Folded Reload
	s_wait_loadcnt 0x0
	v_dual_lshrrev_b32 v4, 3, v5 :: v_dual_bitop2_b32 v94, 7, v3 bitop3:0x40
	s_mov_b32 s17, exec_lo
	s_wait_xcnt 0x0
	v_cmpx_gt_u32_e32 8, v5
; %bb.742:                              ;   in Loop: Header=BB212_15 Depth=1
	s_delay_alu instid0(VALU_DEP_2) | instskip(NEXT) | instid1(VALU_DEP_1)
	v_clz_i32_u32_e32 v4, v94
	v_min_u32_e32 v4, 32, v4
	s_delay_alu instid0(VALU_DEP_1) | instskip(NEXT) | instid1(VALU_DEP_1)
	v_subrev_nc_u32_e32 v5, 28, v4
	v_lshlrev_b64_e32 v[6:7], v5, v[94:95]
	s_delay_alu instid0(VALU_DEP_1)
	v_dual_sub_nc_u32 v4, 29, v4 :: v_dual_bitop2_b32 v94, 7, v6 bitop3:0x40
; %bb.743:                              ;   in Loop: Header=BB212_15 Depth=1
	s_or_b32 exec_lo, exec_lo, s17
	s_delay_alu instid0(VALU_DEP_1) | instskip(NEXT) | instid1(VALU_DEP_2)
	v_dual_lshlrev_b32 v3, 24, v3 :: v_dual_lshlrev_b32 v0, 20, v94
	v_lshl_add_u32 v4, v4, 23, 0x3c000000
	v_mov_b32_e32 v1, v95
	s_delay_alu instid0(VALU_DEP_3)
	v_and_b32_e32 v3, 0x80000000, v3
	scratch_store_b64 off, v[0:1], s32 offset:192 ; 8-byte Folded Spill
	v_or3_b32 v94, v0, v3, v4
.LBB212_744:                            ;   in Loop: Header=BB212_15 Depth=1
	s_wait_xcnt 0x0
	s_or_b32 exec_lo, exec_lo, s16
.LBB212_745:                            ;   in Loop: Header=BB212_15 Depth=1
	s_delay_alu instid0(SALU_CYCLE_1)
	s_or_b32 exec_lo, exec_lo, s15
.LBB212_746:                            ;   in Loop: Header=BB212_15 Depth=1
	s_delay_alu instid0(SALU_CYCLE_1) | instskip(NEXT) | instid1(SALU_CYCLE_1)
	s_or_b32 exec_lo, exec_lo, s14
	s_mov_b32 s14, exec_lo
	v_cmpx_lt_u32_e32 0xffffff, v2
	s_cbranch_execz .LBB212_754
; %bb.747:                              ;   in Loop: Header=BB212_15 Depth=1
	v_mov_b64_e32 v[72:73], 0x8000000000000000
	v_lshrrev_b32_e32 v3, 24, v2
	s_mov_b32 s15, exec_lo
	s_delay_alu instid0(VALU_DEP_1)
	v_cmpx_ne_u32_e32 0x80, v3
	s_cbranch_execz .LBB212_753
; %bb.748:                              ;   in Loop: Header=BB212_15 Depth=1
	v_mov_b64_e32 v[72:73], 0x7f80000100000000
	v_bfe_u32 v4, v2, 24, 7
	s_mov_b32 s16, exec_lo
	s_delay_alu instid0(VALU_DEP_1)
	v_cmpx_ne_u32_e32 0x7f, v4
	s_cbranch_execz .LBB212_752
; %bb.749:                              ;   in Loop: Header=BB212_15 Depth=1
	scratch_load_b64 v[0:1], off, s32 offset:192 th:TH_LOAD_LU ; 8-byte Folded Reload
	s_wait_loadcnt 0x0
	v_dual_lshrrev_b32 v2, 3, v4 :: v_dual_bitop2_b32 v0, 7, v3 bitop3:0x40
	s_mov_b32 s17, exec_lo
	s_wait_xcnt 0x0
	v_cmpx_gt_u32_e32 8, v4
; %bb.750:                              ;   in Loop: Header=BB212_15 Depth=1
	s_delay_alu instid0(VALU_DEP_2) | instskip(NEXT) | instid1(VALU_DEP_1)
	v_clz_i32_u32_e32 v2, v0
	v_min_u32_e32 v2, 32, v2
	s_delay_alu instid0(VALU_DEP_1) | instskip(NEXT) | instid1(VALU_DEP_1)
	v_subrev_nc_u32_e32 v4, 28, v2
	v_lshlrev_b64_e32 v[4:5], v4, v[0:1]
	s_delay_alu instid0(VALU_DEP_1)
	v_dual_sub_nc_u32 v2, 29, v2 :: v_dual_bitop2_b32 v0, 7, v4 bitop3:0x40
; %bb.751:                              ;   in Loop: Header=BB212_15 Depth=1
	s_or_b32 exec_lo, exec_lo, s17
	s_delay_alu instid0(VALU_DEP_1) | instskip(NEXT) | instid1(VALU_DEP_2)
	v_dual_lshlrev_b32 v3, 24, v3 :: v_dual_lshlrev_b32 v0, 20, v0
	v_lshl_add_u32 v2, v2, 23, 0x3c000000
	v_mov_b32_e32 v72, v1
	s_delay_alu instid0(VALU_DEP_3) | instskip(NEXT) | instid1(VALU_DEP_1)
	v_and_b32_e32 v3, 0x80000000, v3
	v_or3_b32 v73, v0, v3, v2
	v_mov_b32_e32 v3, v1
	scratch_store_b64 off, v[2:3], s32 offset:192 ; 8-byte Folded Spill
.LBB212_752:                            ;   in Loop: Header=BB212_15 Depth=1
	s_wait_xcnt 0x0
	s_or_b32 exec_lo, exec_lo, s16
.LBB212_753:                            ;   in Loop: Header=BB212_15 Depth=1
	s_delay_alu instid0(SALU_CYCLE_1)
	s_or_b32 exec_lo, exec_lo, s15
.LBB212_754:                            ;   in Loop: Header=BB212_15 Depth=1
	s_delay_alu instid0(SALU_CYCLE_1)
	s_or_b32 exec_lo, exec_lo, s14
	flat_load_b32 v2, v[68:69] offset:2572
	v_mov_b64_e32 v[76:77], 0
	v_mov_b64_e32 v[106:107], 0
	s_mov_b32 s14, exec_lo
	s_wait_loadcnt_dscnt 0x0
	v_and_b32_e32 v0, 0xff, v2
	s_wait_xcnt 0x0
	s_delay_alu instid0(VALU_DEP_1)
	v_cmpx_ne_u16_e32 0, v0
	s_cbranch_execz .LBB212_762
; %bb.755:                              ;   in Loop: Header=BB212_15 Depth=1
	v_mov_b64_e32 v[106:107], 0x80000000
	s_mov_b32 s15, exec_lo
	v_cmpx_ne_u16_e32 0x80, v0
	s_cbranch_execz .LBB212_761
; %bb.756:                              ;   in Loop: Header=BB212_15 Depth=1
	v_mov_b64_e32 v[106:107], 0x7f800001
	v_and_b32_e32 v4, 0x7f, v2
	s_mov_b32 s16, exec_lo
	s_delay_alu instid0(VALU_DEP_1)
	v_cmpx_ne_u32_e32 0x7f, v4
	s_cbranch_execz .LBB212_760
; %bb.757:                              ;   in Loop: Header=BB212_15 Depth=1
	scratch_load_b64 v[106:107], off, s32 offset:192 th:TH_LOAD_LU ; 8-byte Folded Reload
	s_wait_loadcnt 0x0
	v_dual_lshrrev_b32 v3, 3, v4 :: v_dual_bitop2_b32 v106, 7, v2 bitop3:0x40
	s_mov_b32 s17, exec_lo
	s_wait_xcnt 0x0
	v_cmpx_gt_u32_e32 8, v4
; %bb.758:                              ;   in Loop: Header=BB212_15 Depth=1
	s_delay_alu instid0(VALU_DEP_2) | instskip(NEXT) | instid1(VALU_DEP_1)
	v_clz_i32_u32_e32 v3, v106
	v_min_u32_e32 v3, 32, v3
	s_delay_alu instid0(VALU_DEP_1) | instskip(NEXT) | instid1(VALU_DEP_1)
	v_subrev_nc_u32_e32 v4, 28, v3
	v_lshlrev_b64_e32 v[4:5], v4, v[106:107]
	s_delay_alu instid0(VALU_DEP_1)
	v_dual_sub_nc_u32 v3, 29, v3 :: v_dual_bitop2_b32 v106, 7, v4 bitop3:0x40
; %bb.759:                              ;   in Loop: Header=BB212_15 Depth=1
	s_or_b32 exec_lo, exec_lo, s17
	v_dual_mov_b32 v1, v107 :: v_dual_lshlrev_b32 v4, 24, v2
	s_delay_alu instid0(VALU_DEP_2) | instskip(NEXT) | instid1(VALU_DEP_3)
	v_lshlrev_b32_e32 v0, 20, v106
	v_lshl_add_u32 v3, v3, 23, 0x3c000000
	s_delay_alu instid0(VALU_DEP_3)
	v_and_b32_e32 v4, 0x80000000, v4
	scratch_store_b64 off, v[0:1], s32 offset:192 ; 8-byte Folded Spill
	v_or3_b32 v106, v0, v4, v3
.LBB212_760:                            ;   in Loop: Header=BB212_15 Depth=1
	s_wait_xcnt 0x0
	s_or_b32 exec_lo, exec_lo, s16
.LBB212_761:                            ;   in Loop: Header=BB212_15 Depth=1
	s_delay_alu instid0(SALU_CYCLE_1)
	s_or_b32 exec_lo, exec_lo, s15
.LBB212_762:                            ;   in Loop: Header=BB212_15 Depth=1
	s_delay_alu instid0(SALU_CYCLE_1) | instskip(SKIP_2) | instid1(VALU_DEP_1)
	s_or_b32 exec_lo, exec_lo, s14
	v_lshrrev_b16 v0, 8, v2
	s_mov_b32 s14, exec_lo
	v_cmpx_ne_u16_e32 0, v0
	s_cbranch_execz .LBB212_770
; %bb.763:                              ;   in Loop: Header=BB212_15 Depth=1
	v_mov_b64_e32 v[76:77], 0x8000000000000000
	s_mov_b32 s15, exec_lo
	v_cmpx_ne_u16_e32 0x80, v0
	s_cbranch_execz .LBB212_769
; %bb.764:                              ;   in Loop: Header=BB212_15 Depth=1
	v_and_b32_e32 v0, 0xffff, v0
	v_mov_b64_e32 v[76:77], 0x7f80000100000000
	s_mov_b32 s16, exec_lo
	s_delay_alu instid0(VALU_DEP_2) | instskip(NEXT) | instid1(VALU_DEP_1)
	v_and_b32_e32 v4, 0x7f, v0
	v_cmpx_ne_u32_e32 0x7f, v4
	s_cbranch_execz .LBB212_768
; %bb.765:                              ;   in Loop: Header=BB212_15 Depth=1
	scratch_load_b64 v[6:7], off, s32 offset:192 th:TH_LOAD_LU ; 8-byte Folded Reload
	v_lshrrev_b32_e32 v3, 3, v4
	s_mov_b32 s17, exec_lo
	s_wait_loadcnt 0x0
	v_dual_mov_b32 v1, v7 :: v_dual_bitop2_b32 v0, 7, v0 bitop3:0x40
	s_wait_xcnt 0x0
	v_cmpx_gt_u32_e32 8, v4
; %bb.766:                              ;   in Loop: Header=BB212_15 Depth=1
	s_delay_alu instid0(VALU_DEP_2) | instskip(NEXT) | instid1(VALU_DEP_1)
	v_clz_i32_u32_e32 v3, v0
	v_min_u32_e32 v3, 32, v3
	s_delay_alu instid0(VALU_DEP_1) | instskip(NEXT) | instid1(VALU_DEP_1)
	v_subrev_nc_u32_e32 v4, 28, v3
	v_lshlrev_b64_e32 v[4:5], v4, v[0:1]
	s_delay_alu instid0(VALU_DEP_1)
	v_dual_sub_nc_u32 v3, 29, v3 :: v_dual_bitop2_b32 v0, 7, v4 bitop3:0x40
; %bb.767:                              ;   in Loop: Header=BB212_15 Depth=1
	s_or_b32 exec_lo, exec_lo, s17
	s_delay_alu instid0(VALU_DEP_1) | instskip(NEXT) | instid1(VALU_DEP_2)
	v_dual_lshlrev_b32 v4, 16, v2 :: v_dual_lshlrev_b32 v0, 20, v0
	v_lshl_add_u32 v3, v3, 23, 0x3c000000
	v_mov_b32_e32 v76, v1
	s_delay_alu instid0(VALU_DEP_3) | instskip(NEXT) | instid1(VALU_DEP_1)
	v_and_b32_e32 v4, 0x80000000, v4
	v_or3_b32 v77, v0, v4, v3
	v_mov_b32_e32 v3, v1
	scratch_store_b64 off, v[2:3], s32 offset:192 ; 8-byte Folded Spill
.LBB212_768:                            ;   in Loop: Header=BB212_15 Depth=1
	s_wait_xcnt 0x0
	s_or_b32 exec_lo, exec_lo, s16
.LBB212_769:                            ;   in Loop: Header=BB212_15 Depth=1
	s_delay_alu instid0(SALU_CYCLE_1)
	s_or_b32 exec_lo, exec_lo, s15
.LBB212_770:                            ;   in Loop: Header=BB212_15 Depth=1
	s_delay_alu instid0(SALU_CYCLE_1) | instskip(SKIP_4) | instid1(VALU_DEP_3)
	s_or_b32 exec_lo, exec_lo, s14
	v_lshrrev_b32_e32 v3, 16, v2
	v_mov_b64_e32 v[88:89], 0
	v_mov_b64_e32 v[110:111], 0
	s_mov_b32 s14, exec_lo
	v_and_b32_e32 v0, 0xff, v3
	s_delay_alu instid0(VALU_DEP_1)
	v_cmpx_ne_u16_e32 0, v0
	s_cbranch_execz .LBB212_778
; %bb.771:                              ;   in Loop: Header=BB212_15 Depth=1
	v_mov_b64_e32 v[110:111], 0x80000000
	s_mov_b32 s15, exec_lo
	v_cmpx_ne_u16_e32 0x80, v0
	s_cbranch_execz .LBB212_777
; %bb.772:                              ;   in Loop: Header=BB212_15 Depth=1
	v_mov_b64_e32 v[110:111], 0x7f800001
	v_bfe_u32 v5, v2, 16, 7
	s_mov_b32 s16, exec_lo
	s_delay_alu instid0(VALU_DEP_1)
	v_cmpx_ne_u32_e32 0x7f, v5
	s_cbranch_execz .LBB212_776
; %bb.773:                              ;   in Loop: Header=BB212_15 Depth=1
	scratch_load_b64 v[110:111], off, s32 offset:192 th:TH_LOAD_LU ; 8-byte Folded Reload
	s_wait_loadcnt 0x0
	v_dual_lshrrev_b32 v4, 3, v5 :: v_dual_bitop2_b32 v110, 7, v3 bitop3:0x40
	s_mov_b32 s17, exec_lo
	s_wait_xcnt 0x0
	v_cmpx_gt_u32_e32 8, v5
; %bb.774:                              ;   in Loop: Header=BB212_15 Depth=1
	s_delay_alu instid0(VALU_DEP_2) | instskip(NEXT) | instid1(VALU_DEP_1)
	v_clz_i32_u32_e32 v4, v110
	v_min_u32_e32 v4, 32, v4
	s_delay_alu instid0(VALU_DEP_1) | instskip(NEXT) | instid1(VALU_DEP_1)
	v_subrev_nc_u32_e32 v5, 28, v4
	v_lshlrev_b64_e32 v[6:7], v5, v[110:111]
	s_delay_alu instid0(VALU_DEP_1)
	v_dual_sub_nc_u32 v4, 29, v4 :: v_dual_bitop2_b32 v110, 7, v6 bitop3:0x40
; %bb.775:                              ;   in Loop: Header=BB212_15 Depth=1
	s_or_b32 exec_lo, exec_lo, s17
	s_delay_alu instid0(VALU_DEP_1) | instskip(NEXT) | instid1(VALU_DEP_2)
	v_dual_lshlrev_b32 v3, 24, v3 :: v_dual_lshlrev_b32 v0, 20, v110
	v_lshl_add_u32 v4, v4, 23, 0x3c000000
	v_mov_b32_e32 v1, v111
	s_delay_alu instid0(VALU_DEP_3)
	v_and_b32_e32 v3, 0x80000000, v3
	scratch_store_b64 off, v[0:1], s32 offset:192 ; 8-byte Folded Spill
	v_or3_b32 v110, v0, v3, v4
.LBB212_776:                            ;   in Loop: Header=BB212_15 Depth=1
	s_wait_xcnt 0x0
	s_or_b32 exec_lo, exec_lo, s16
.LBB212_777:                            ;   in Loop: Header=BB212_15 Depth=1
	s_delay_alu instid0(SALU_CYCLE_1)
	s_or_b32 exec_lo, exec_lo, s15
.LBB212_778:                            ;   in Loop: Header=BB212_15 Depth=1
	s_delay_alu instid0(SALU_CYCLE_1) | instskip(NEXT) | instid1(SALU_CYCLE_1)
	s_or_b32 exec_lo, exec_lo, s14
	s_mov_b32 s14, exec_lo
	v_cmpx_lt_u32_e32 0xffffff, v2
	s_cbranch_execz .LBB212_786
; %bb.779:                              ;   in Loop: Header=BB212_15 Depth=1
	v_mov_b64_e32 v[88:89], 0x8000000000000000
	v_lshrrev_b32_e32 v3, 24, v2
	s_mov_b32 s15, exec_lo
	s_delay_alu instid0(VALU_DEP_1)
	v_cmpx_ne_u32_e32 0x80, v3
	s_cbranch_execz .LBB212_785
; %bb.780:                              ;   in Loop: Header=BB212_15 Depth=1
	v_mov_b64_e32 v[88:89], 0x7f80000100000000
	v_bfe_u32 v4, v2, 24, 7
	s_mov_b32 s16, exec_lo
	s_delay_alu instid0(VALU_DEP_1)
	v_cmpx_ne_u32_e32 0x7f, v4
	s_cbranch_execz .LBB212_784
; %bb.781:                              ;   in Loop: Header=BB212_15 Depth=1
	scratch_load_b64 v[0:1], off, s32 offset:192 th:TH_LOAD_LU ; 8-byte Folded Reload
	s_wait_loadcnt 0x0
	v_dual_lshrrev_b32 v2, 3, v4 :: v_dual_bitop2_b32 v0, 7, v3 bitop3:0x40
	s_mov_b32 s17, exec_lo
	s_wait_xcnt 0x0
	v_cmpx_gt_u32_e32 8, v4
; %bb.782:                              ;   in Loop: Header=BB212_15 Depth=1
	s_delay_alu instid0(VALU_DEP_2) | instskip(NEXT) | instid1(VALU_DEP_1)
	v_clz_i32_u32_e32 v2, v0
	v_min_u32_e32 v2, 32, v2
	s_delay_alu instid0(VALU_DEP_1) | instskip(NEXT) | instid1(VALU_DEP_1)
	v_subrev_nc_u32_e32 v4, 28, v2
	v_lshlrev_b64_e32 v[4:5], v4, v[0:1]
	s_delay_alu instid0(VALU_DEP_1)
	v_dual_sub_nc_u32 v2, 29, v2 :: v_dual_bitop2_b32 v0, 7, v4 bitop3:0x40
; %bb.783:                              ;   in Loop: Header=BB212_15 Depth=1
	s_or_b32 exec_lo, exec_lo, s17
	s_delay_alu instid0(VALU_DEP_1) | instskip(NEXT) | instid1(VALU_DEP_2)
	v_dual_lshlrev_b32 v3, 24, v3 :: v_dual_lshlrev_b32 v0, 20, v0
	v_lshl_add_u32 v2, v2, 23, 0x3c000000
	v_mov_b32_e32 v88, v1
	s_delay_alu instid0(VALU_DEP_3) | instskip(NEXT) | instid1(VALU_DEP_1)
	v_and_b32_e32 v3, 0x80000000, v3
	v_or3_b32 v89, v0, v3, v2
	v_mov_b32_e32 v3, v1
	scratch_store_b64 off, v[2:3], s32 offset:192 ; 8-byte Folded Spill
.LBB212_784:                            ;   in Loop: Header=BB212_15 Depth=1
	s_wait_xcnt 0x0
	s_or_b32 exec_lo, exec_lo, s16
.LBB212_785:                            ;   in Loop: Header=BB212_15 Depth=1
	s_delay_alu instid0(SALU_CYCLE_1)
	s_or_b32 exec_lo, exec_lo, s15
.LBB212_786:                            ;   in Loop: Header=BB212_15 Depth=1
	s_delay_alu instid0(SALU_CYCLE_1)
	s_or_b32 exec_lo, exec_lo, s14
	flat_load_b32 v2, v[68:69] offset:3072
	v_mov_b64_e32 v[92:93], 0
	v_mov_b64_e32 v[122:123], 0
	s_mov_b32 s14, exec_lo
	s_wait_loadcnt_dscnt 0x0
	v_and_b32_e32 v0, 0xff, v2
	s_wait_xcnt 0x0
	s_delay_alu instid0(VALU_DEP_1)
	v_cmpx_ne_u16_e32 0, v0
	s_cbranch_execz .LBB212_794
; %bb.787:                              ;   in Loop: Header=BB212_15 Depth=1
	v_mov_b64_e32 v[122:123], 0x80000000
	s_mov_b32 s15, exec_lo
	v_cmpx_ne_u16_e32 0x80, v0
	s_cbranch_execz .LBB212_793
; %bb.788:                              ;   in Loop: Header=BB212_15 Depth=1
	v_mov_b64_e32 v[122:123], 0x7f800001
	v_and_b32_e32 v4, 0x7f, v2
	s_mov_b32 s16, exec_lo
	s_delay_alu instid0(VALU_DEP_1)
	v_cmpx_ne_u32_e32 0x7f, v4
	s_cbranch_execz .LBB212_792
; %bb.789:                              ;   in Loop: Header=BB212_15 Depth=1
	scratch_load_b64 v[122:123], off, s32 offset:192 th:TH_LOAD_LU ; 8-byte Folded Reload
	s_wait_loadcnt 0x0
	v_dual_lshrrev_b32 v3, 3, v4 :: v_dual_bitop2_b32 v122, 7, v2 bitop3:0x40
	s_mov_b32 s17, exec_lo
	s_wait_xcnt 0x0
	v_cmpx_gt_u32_e32 8, v4
; %bb.790:                              ;   in Loop: Header=BB212_15 Depth=1
	s_delay_alu instid0(VALU_DEP_2) | instskip(NEXT) | instid1(VALU_DEP_1)
	v_clz_i32_u32_e32 v3, v122
	v_min_u32_e32 v3, 32, v3
	s_delay_alu instid0(VALU_DEP_1) | instskip(NEXT) | instid1(VALU_DEP_1)
	v_subrev_nc_u32_e32 v4, 28, v3
	v_lshlrev_b64_e32 v[4:5], v4, v[122:123]
	s_delay_alu instid0(VALU_DEP_1)
	v_dual_sub_nc_u32 v3, 29, v3 :: v_dual_bitop2_b32 v122, 7, v4 bitop3:0x40
; %bb.791:                              ;   in Loop: Header=BB212_15 Depth=1
	s_or_b32 exec_lo, exec_lo, s17
	v_dual_mov_b32 v1, v123 :: v_dual_lshlrev_b32 v4, 24, v2
	s_delay_alu instid0(VALU_DEP_2) | instskip(NEXT) | instid1(VALU_DEP_3)
	v_lshlrev_b32_e32 v0, 20, v122
	v_lshl_add_u32 v3, v3, 23, 0x3c000000
	s_delay_alu instid0(VALU_DEP_3)
	v_and_b32_e32 v4, 0x80000000, v4
	scratch_store_b64 off, v[0:1], s32 offset:192 ; 8-byte Folded Spill
	v_or3_b32 v122, v0, v4, v3
.LBB212_792:                            ;   in Loop: Header=BB212_15 Depth=1
	s_wait_xcnt 0x0
	s_or_b32 exec_lo, exec_lo, s16
.LBB212_793:                            ;   in Loop: Header=BB212_15 Depth=1
	s_delay_alu instid0(SALU_CYCLE_1)
	s_or_b32 exec_lo, exec_lo, s15
.LBB212_794:                            ;   in Loop: Header=BB212_15 Depth=1
	s_delay_alu instid0(SALU_CYCLE_1) | instskip(SKIP_2) | instid1(VALU_DEP_1)
	s_or_b32 exec_lo, exec_lo, s14
	v_lshrrev_b16 v0, 8, v2
	s_mov_b32 s14, exec_lo
	v_cmpx_ne_u16_e32 0, v0
	s_cbranch_execz .LBB212_802
; %bb.795:                              ;   in Loop: Header=BB212_15 Depth=1
	v_mov_b64_e32 v[92:93], 0x8000000000000000
	s_mov_b32 s15, exec_lo
	v_cmpx_ne_u16_e32 0x80, v0
	s_cbranch_execz .LBB212_801
; %bb.796:                              ;   in Loop: Header=BB212_15 Depth=1
	v_and_b32_e32 v0, 0xffff, v0
	v_mov_b64_e32 v[92:93], 0x7f80000100000000
	s_mov_b32 s16, exec_lo
	s_delay_alu instid0(VALU_DEP_2) | instskip(NEXT) | instid1(VALU_DEP_1)
	v_and_b32_e32 v4, 0x7f, v0
	v_cmpx_ne_u32_e32 0x7f, v4
	s_cbranch_execz .LBB212_800
; %bb.797:                              ;   in Loop: Header=BB212_15 Depth=1
	scratch_load_b64 v[6:7], off, s32 offset:192 th:TH_LOAD_LU ; 8-byte Folded Reload
	v_lshrrev_b32_e32 v3, 3, v4
	s_mov_b32 s17, exec_lo
	s_wait_loadcnt 0x0
	v_dual_mov_b32 v1, v7 :: v_dual_bitop2_b32 v0, 7, v0 bitop3:0x40
	s_wait_xcnt 0x0
	v_cmpx_gt_u32_e32 8, v4
; %bb.798:                              ;   in Loop: Header=BB212_15 Depth=1
	s_delay_alu instid0(VALU_DEP_2) | instskip(NEXT) | instid1(VALU_DEP_1)
	v_clz_i32_u32_e32 v3, v0
	v_min_u32_e32 v3, 32, v3
	s_delay_alu instid0(VALU_DEP_1) | instskip(NEXT) | instid1(VALU_DEP_1)
	v_subrev_nc_u32_e32 v4, 28, v3
	v_lshlrev_b64_e32 v[4:5], v4, v[0:1]
	s_delay_alu instid0(VALU_DEP_1)
	v_dual_sub_nc_u32 v3, 29, v3 :: v_dual_bitop2_b32 v0, 7, v4 bitop3:0x40
; %bb.799:                              ;   in Loop: Header=BB212_15 Depth=1
	s_or_b32 exec_lo, exec_lo, s17
	s_delay_alu instid0(VALU_DEP_1) | instskip(NEXT) | instid1(VALU_DEP_2)
	v_dual_lshlrev_b32 v4, 16, v2 :: v_dual_lshlrev_b32 v0, 20, v0
	v_lshl_add_u32 v3, v3, 23, 0x3c000000
	v_mov_b32_e32 v92, v1
	s_delay_alu instid0(VALU_DEP_3) | instskip(NEXT) | instid1(VALU_DEP_1)
	v_and_b32_e32 v4, 0x80000000, v4
	v_or3_b32 v93, v0, v4, v3
	v_mov_b32_e32 v3, v1
	scratch_store_b64 off, v[2:3], s32 offset:192 ; 8-byte Folded Spill
.LBB212_800:                            ;   in Loop: Header=BB212_15 Depth=1
	s_wait_xcnt 0x0
	s_or_b32 exec_lo, exec_lo, s16
.LBB212_801:                            ;   in Loop: Header=BB212_15 Depth=1
	s_delay_alu instid0(SALU_CYCLE_1)
	s_or_b32 exec_lo, exec_lo, s15
.LBB212_802:                            ;   in Loop: Header=BB212_15 Depth=1
	s_delay_alu instid0(SALU_CYCLE_1) | instskip(SKIP_4) | instid1(VALU_DEP_3)
	s_or_b32 exec_lo, exec_lo, s14
	v_lshrrev_b32_e32 v3, 16, v2
	v_mov_b64_e32 v[104:105], 0
	v_mov_b64_e32 v[126:127], 0
	s_mov_b32 s14, exec_lo
	v_and_b32_e32 v0, 0xff, v3
	s_delay_alu instid0(VALU_DEP_1)
	v_cmpx_ne_u16_e32 0, v0
	s_cbranch_execz .LBB212_810
; %bb.803:                              ;   in Loop: Header=BB212_15 Depth=1
	v_mov_b64_e32 v[126:127], 0x80000000
	s_mov_b32 s15, exec_lo
	v_cmpx_ne_u16_e32 0x80, v0
	s_cbranch_execz .LBB212_809
; %bb.804:                              ;   in Loop: Header=BB212_15 Depth=1
	v_mov_b64_e32 v[126:127], 0x7f800001
	v_bfe_u32 v5, v2, 16, 7
	s_mov_b32 s16, exec_lo
	s_delay_alu instid0(VALU_DEP_1)
	v_cmpx_ne_u32_e32 0x7f, v5
	s_cbranch_execz .LBB212_808
; %bb.805:                              ;   in Loop: Header=BB212_15 Depth=1
	scratch_load_b64 v[126:127], off, s32 offset:192 th:TH_LOAD_LU ; 8-byte Folded Reload
	s_wait_loadcnt 0x0
	v_dual_lshrrev_b32 v4, 3, v5 :: v_dual_bitop2_b32 v126, 7, v3 bitop3:0x40
	s_mov_b32 s17, exec_lo
	s_wait_xcnt 0x0
	v_cmpx_gt_u32_e32 8, v5
; %bb.806:                              ;   in Loop: Header=BB212_15 Depth=1
	s_delay_alu instid0(VALU_DEP_2) | instskip(NEXT) | instid1(VALU_DEP_1)
	v_clz_i32_u32_e32 v4, v126
	v_min_u32_e32 v4, 32, v4
	s_delay_alu instid0(VALU_DEP_1) | instskip(NEXT) | instid1(VALU_DEP_1)
	v_subrev_nc_u32_e32 v5, 28, v4
	v_lshlrev_b64_e32 v[6:7], v5, v[126:127]
	s_delay_alu instid0(VALU_DEP_1)
	v_dual_sub_nc_u32 v4, 29, v4 :: v_dual_bitop2_b32 v126, 7, v6 bitop3:0x40
; %bb.807:                              ;   in Loop: Header=BB212_15 Depth=1
	s_or_b32 exec_lo, exec_lo, s17
	s_delay_alu instid0(VALU_DEP_1) | instskip(NEXT) | instid1(VALU_DEP_2)
	v_dual_lshlrev_b32 v3, 24, v3 :: v_dual_lshlrev_b32 v0, 20, v126
	v_lshl_add_u32 v4, v4, 23, 0x3c000000
	v_mov_b32_e32 v1, v127
	s_delay_alu instid0(VALU_DEP_3)
	v_and_b32_e32 v3, 0x80000000, v3
	scratch_store_b64 off, v[0:1], s32 offset:192 ; 8-byte Folded Spill
	v_or3_b32 v126, v0, v3, v4
.LBB212_808:                            ;   in Loop: Header=BB212_15 Depth=1
	s_wait_xcnt 0x0
	s_or_b32 exec_lo, exec_lo, s16
.LBB212_809:                            ;   in Loop: Header=BB212_15 Depth=1
	s_delay_alu instid0(SALU_CYCLE_1)
	s_or_b32 exec_lo, exec_lo, s15
.LBB212_810:                            ;   in Loop: Header=BB212_15 Depth=1
	s_delay_alu instid0(SALU_CYCLE_1) | instskip(NEXT) | instid1(SALU_CYCLE_1)
	s_or_b32 exec_lo, exec_lo, s14
	s_mov_b32 s14, exec_lo
	v_cmpx_lt_u32_e32 0xffffff, v2
	s_cbranch_execz .LBB212_818
; %bb.811:                              ;   in Loop: Header=BB212_15 Depth=1
	v_mov_b64_e32 v[104:105], 0x8000000000000000
	v_lshrrev_b32_e32 v3, 24, v2
	s_mov_b32 s15, exec_lo
	s_delay_alu instid0(VALU_DEP_1)
	v_cmpx_ne_u32_e32 0x80, v3
	s_cbranch_execz .LBB212_817
; %bb.812:                              ;   in Loop: Header=BB212_15 Depth=1
	v_mov_b64_e32 v[104:105], 0x7f80000100000000
	v_bfe_u32 v4, v2, 24, 7
	s_mov_b32 s16, exec_lo
	s_delay_alu instid0(VALU_DEP_1)
	v_cmpx_ne_u32_e32 0x7f, v4
	s_cbranch_execz .LBB212_816
; %bb.813:                              ;   in Loop: Header=BB212_15 Depth=1
	scratch_load_b64 v[0:1], off, s32 offset:192 th:TH_LOAD_LU ; 8-byte Folded Reload
	s_wait_loadcnt 0x0
	v_dual_lshrrev_b32 v2, 3, v4 :: v_dual_bitop2_b32 v0, 7, v3 bitop3:0x40
	s_mov_b32 s17, exec_lo
	s_wait_xcnt 0x0
	v_cmpx_gt_u32_e32 8, v4
; %bb.814:                              ;   in Loop: Header=BB212_15 Depth=1
	s_delay_alu instid0(VALU_DEP_2) | instskip(NEXT) | instid1(VALU_DEP_1)
	v_clz_i32_u32_e32 v2, v0
	v_min_u32_e32 v2, 32, v2
	s_delay_alu instid0(VALU_DEP_1) | instskip(NEXT) | instid1(VALU_DEP_1)
	v_subrev_nc_u32_e32 v4, 28, v2
	v_lshlrev_b64_e32 v[4:5], v4, v[0:1]
	s_delay_alu instid0(VALU_DEP_1)
	v_dual_sub_nc_u32 v2, 29, v2 :: v_dual_bitop2_b32 v0, 7, v4 bitop3:0x40
; %bb.815:                              ;   in Loop: Header=BB212_15 Depth=1
	s_or_b32 exec_lo, exec_lo, s17
	s_delay_alu instid0(VALU_DEP_1) | instskip(NEXT) | instid1(VALU_DEP_2)
	v_dual_lshlrev_b32 v3, 24, v3 :: v_dual_lshlrev_b32 v0, 20, v0
	v_lshl_add_u32 v2, v2, 23, 0x3c000000
	v_mov_b32_e32 v104, v1
	s_delay_alu instid0(VALU_DEP_3) | instskip(NEXT) | instid1(VALU_DEP_1)
	v_and_b32_e32 v3, 0x80000000, v3
	v_or3_b32 v105, v0, v3, v2
	v_mov_b32_e32 v3, v1
	scratch_store_b64 off, v[2:3], s32 offset:192 ; 8-byte Folded Spill
.LBB212_816:                            ;   in Loop: Header=BB212_15 Depth=1
	s_wait_xcnt 0x0
	s_or_b32 exec_lo, exec_lo, s16
.LBB212_817:                            ;   in Loop: Header=BB212_15 Depth=1
	s_delay_alu instid0(SALU_CYCLE_1)
	s_or_b32 exec_lo, exec_lo, s15
.LBB212_818:                            ;   in Loop: Header=BB212_15 Depth=1
	s_delay_alu instid0(SALU_CYCLE_1)
	s_or_b32 exec_lo, exec_lo, s14
	flat_load_b32 v2, v[68:69] offset:3076
	v_mov_b64_e32 v[108:109], 0
	v_mov_b64_e32 v[4:5], 0
	s_mov_b32 s14, exec_lo
	s_wait_loadcnt_dscnt 0x0
	v_and_b32_e32 v0, 0xff, v2
	s_wait_xcnt 0x0
	s_delay_alu instid0(VALU_DEP_1)
	v_cmpx_ne_u16_e32 0, v0
	s_cbranch_execz .LBB212_826
; %bb.819:                              ;   in Loop: Header=BB212_15 Depth=1
	v_mov_b64_e32 v[4:5], 0x80000000
	s_mov_b32 s15, exec_lo
	v_cmpx_ne_u16_e32 0x80, v0
	s_cbranch_execz .LBB212_825
; %bb.820:                              ;   in Loop: Header=BB212_15 Depth=1
	v_mov_b64_e32 v[4:5], 0x7f800001
	v_and_b32_e32 v6, 0x7f, v2
	s_mov_b32 s16, exec_lo
	s_delay_alu instid0(VALU_DEP_1)
	v_cmpx_ne_u32_e32 0x7f, v6
	s_cbranch_execz .LBB212_824
; %bb.821:                              ;   in Loop: Header=BB212_15 Depth=1
	scratch_load_b64 v[0:1], off, s32 offset:192 th:TH_LOAD_LU ; 8-byte Folded Reload
	s_wait_loadcnt 0x0
	v_and_b32_e32 v0, 7, v2
	v_lshrrev_b32_e32 v3, 3, v6
	s_mov_b32 s17, exec_lo
	s_wait_xcnt 0x0
	v_cmpx_gt_u32_e32 8, v6
; %bb.822:                              ;   in Loop: Header=BB212_15 Depth=1
	v_clz_i32_u32_e32 v3, v0
	s_delay_alu instid0(VALU_DEP_1) | instskip(NEXT) | instid1(VALU_DEP_1)
	v_min_u32_e32 v3, 32, v3
	v_subrev_nc_u32_e32 v4, 28, v3
	s_delay_alu instid0(VALU_DEP_1) | instskip(NEXT) | instid1(VALU_DEP_1)
	v_lshlrev_b64_e32 v[4:5], v4, v[0:1]
	v_dual_sub_nc_u32 v3, 29, v3 :: v_dual_bitop2_b32 v0, 7, v4 bitop3:0x40
; %bb.823:                              ;   in Loop: Header=BB212_15 Depth=1
	s_or_b32 exec_lo, exec_lo, s17
	s_delay_alu instid0(VALU_DEP_1) | instskip(NEXT) | instid1(VALU_DEP_2)
	v_dual_lshlrev_b32 v4, 24, v2 :: v_dual_lshlrev_b32 v0, 20, v0
	v_lshl_add_u32 v3, v3, 23, 0x3c000000
	s_delay_alu instid0(VALU_DEP_2) | instskip(NEXT) | instid1(VALU_DEP_1)
	v_and_b32_e32 v4, 0x80000000, v4
	v_or3_b32 v0, v0, v4, v3
	v_mov_b32_e32 v3, v1
	s_delay_alu instid0(VALU_DEP_2)
	v_mov_b64_e32 v[4:5], v[0:1]
	scratch_store_b64 off, v[2:3], s32 offset:192 ; 8-byte Folded Spill
.LBB212_824:                            ;   in Loop: Header=BB212_15 Depth=1
	s_wait_xcnt 0x0
	s_or_b32 exec_lo, exec_lo, s16
.LBB212_825:                            ;   in Loop: Header=BB212_15 Depth=1
	s_delay_alu instid0(SALU_CYCLE_1)
	s_or_b32 exec_lo, exec_lo, s15
.LBB212_826:                            ;   in Loop: Header=BB212_15 Depth=1
	s_delay_alu instid0(SALU_CYCLE_1) | instskip(SKIP_2) | instid1(VALU_DEP_1)
	s_or_b32 exec_lo, exec_lo, s14
	v_lshrrev_b16 v0, 8, v2
	s_mov_b32 s14, exec_lo
	v_cmpx_ne_u16_e32 0, v0
	s_cbranch_execz .LBB212_834
; %bb.827:                              ;   in Loop: Header=BB212_15 Depth=1
	v_mov_b64_e32 v[108:109], 0x8000000000000000
	s_mov_b32 s15, exec_lo
	v_cmpx_ne_u16_e32 0x80, v0
	s_cbranch_execz .LBB212_833
; %bb.828:                              ;   in Loop: Header=BB212_15 Depth=1
	v_and_b32_e32 v0, 0xffff, v0
	v_mov_b64_e32 v[108:109], 0x7f80000100000000
	s_mov_b32 s16, exec_lo
	s_delay_alu instid0(VALU_DEP_2) | instskip(NEXT) | instid1(VALU_DEP_1)
	v_and_b32_e32 v6, 0x7f, v0
	v_cmpx_ne_u32_e32 0x7f, v6
	s_cbranch_execz .LBB212_832
; %bb.829:                              ;   in Loop: Header=BB212_15 Depth=1
	scratch_load_b64 v[8:9], off, s32 offset:192 th:TH_LOAD_LU ; 8-byte Folded Reload
	v_lshrrev_b32_e32 v3, 3, v6
	s_mov_b32 s17, exec_lo
	s_wait_loadcnt 0x0
	v_dual_mov_b32 v1, v9 :: v_dual_bitop2_b32 v0, 7, v0 bitop3:0x40
	s_wait_xcnt 0x0
	v_cmpx_gt_u32_e32 8, v6
; %bb.830:                              ;   in Loop: Header=BB212_15 Depth=1
	s_delay_alu instid0(VALU_DEP_2) | instskip(NEXT) | instid1(VALU_DEP_1)
	v_clz_i32_u32_e32 v3, v0
	v_min_u32_e32 v3, 32, v3
	s_delay_alu instid0(VALU_DEP_1) | instskip(NEXT) | instid1(VALU_DEP_1)
	v_subrev_nc_u32_e32 v6, 28, v3
	v_lshlrev_b64_e32 v[6:7], v6, v[0:1]
	s_delay_alu instid0(VALU_DEP_1)
	v_dual_sub_nc_u32 v3, 29, v3 :: v_dual_bitop2_b32 v0, 7, v6 bitop3:0x40
; %bb.831:                              ;   in Loop: Header=BB212_15 Depth=1
	s_or_b32 exec_lo, exec_lo, s17
	s_delay_alu instid0(VALU_DEP_1) | instskip(NEXT) | instid1(VALU_DEP_2)
	v_dual_lshlrev_b32 v6, 16, v2 :: v_dual_lshlrev_b32 v0, 20, v0
	v_lshl_add_u32 v3, v3, 23, 0x3c000000
	v_mov_b32_e32 v108, v1
	s_delay_alu instid0(VALU_DEP_3) | instskip(NEXT) | instid1(VALU_DEP_1)
	v_and_b32_e32 v6, 0x80000000, v6
	v_or3_b32 v109, v0, v6, v3
	v_mov_b32_e32 v3, v1
	scratch_store_b64 off, v[2:3], s32 offset:192 ; 8-byte Folded Spill
.LBB212_832:                            ;   in Loop: Header=BB212_15 Depth=1
	s_wait_xcnt 0x0
	s_or_b32 exec_lo, exec_lo, s16
.LBB212_833:                            ;   in Loop: Header=BB212_15 Depth=1
	s_delay_alu instid0(SALU_CYCLE_1)
	s_or_b32 exec_lo, exec_lo, s15
.LBB212_834:                            ;   in Loop: Header=BB212_15 Depth=1
	s_delay_alu instid0(SALU_CYCLE_1) | instskip(SKIP_4) | instid1(VALU_DEP_3)
	s_or_b32 exec_lo, exec_lo, s14
	v_lshrrev_b32_e32 v3, 16, v2
	v_mov_b64_e32 v[120:121], 0
	v_mov_b64_e32 v[26:27], 0
	s_mov_b32 s14, exec_lo
	v_and_b32_e32 v0, 0xff, v3
	s_delay_alu instid0(VALU_DEP_1)
	v_cmpx_ne_u16_e32 0, v0
	s_cbranch_execz .LBB212_842
; %bb.835:                              ;   in Loop: Header=BB212_15 Depth=1
	v_mov_b64_e32 v[26:27], 0x80000000
	s_mov_b32 s15, exec_lo
	v_cmpx_ne_u16_e32 0x80, v0
	s_cbranch_execz .LBB212_841
; %bb.836:                              ;   in Loop: Header=BB212_15 Depth=1
	v_mov_b64_e32 v[26:27], 0x7f800001
	v_bfe_u32 v7, v2, 16, 7
	s_mov_b32 s16, exec_lo
	s_delay_alu instid0(VALU_DEP_1)
	v_cmpx_ne_u32_e32 0x7f, v7
	s_cbranch_execz .LBB212_840
; %bb.837:                              ;   in Loop: Header=BB212_15 Depth=1
	scratch_load_b64 v[26:27], off, s32 offset:192 th:TH_LOAD_LU ; 8-byte Folded Reload
	s_wait_loadcnt 0x0
	v_and_b32_e32 v26, 7, v3
	v_lshrrev_b32_e32 v6, 3, v7
	s_mov_b32 s17, exec_lo
	s_wait_xcnt 0x0
	v_cmpx_gt_u32_e32 8, v7
; %bb.838:                              ;   in Loop: Header=BB212_15 Depth=1
	v_clz_i32_u32_e32 v6, v26
	s_delay_alu instid0(VALU_DEP_1) | instskip(NEXT) | instid1(VALU_DEP_1)
	v_min_u32_e32 v6, 32, v6
	v_subrev_nc_u32_e32 v7, 28, v6
	s_delay_alu instid0(VALU_DEP_1) | instskip(NEXT) | instid1(VALU_DEP_1)
	v_lshlrev_b64_e32 v[12:13], v7, v[26:27]
	v_dual_sub_nc_u32 v6, 29, v6 :: v_dual_bitop2_b32 v26, 7, v12 bitop3:0x40
; %bb.839:                              ;   in Loop: Header=BB212_15 Depth=1
	s_or_b32 exec_lo, exec_lo, s17
	s_delay_alu instid0(VALU_DEP_1) | instskip(NEXT) | instid1(VALU_DEP_2)
	v_dual_lshlrev_b32 v3, 24, v3 :: v_dual_lshlrev_b32 v0, 20, v26
	v_lshl_add_u32 v6, v6, 23, 0x3c000000
	v_mov_b32_e32 v1, v27
	s_delay_alu instid0(VALU_DEP_3)
	v_and_b32_e32 v3, 0x80000000, v3
	scratch_store_b64 off, v[0:1], s32 offset:192 ; 8-byte Folded Spill
	v_or3_b32 v26, v0, v3, v6
.LBB212_840:                            ;   in Loop: Header=BB212_15 Depth=1
	s_wait_xcnt 0x0
	s_or_b32 exec_lo, exec_lo, s16
.LBB212_841:                            ;   in Loop: Header=BB212_15 Depth=1
	s_delay_alu instid0(SALU_CYCLE_1)
	s_or_b32 exec_lo, exec_lo, s15
.LBB212_842:                            ;   in Loop: Header=BB212_15 Depth=1
	s_delay_alu instid0(SALU_CYCLE_1) | instskip(NEXT) | instid1(SALU_CYCLE_1)
	s_or_b32 exec_lo, exec_lo, s14
	s_mov_b32 s14, exec_lo
	v_cmpx_lt_u32_e32 0xffffff, v2
	s_cbranch_execz .LBB212_850
; %bb.843:                              ;   in Loop: Header=BB212_15 Depth=1
	v_mov_b64_e32 v[120:121], 0x8000000000000000
	v_lshrrev_b32_e32 v3, 24, v2
	s_mov_b32 s15, exec_lo
	s_delay_alu instid0(VALU_DEP_1)
	v_cmpx_ne_u32_e32 0x80, v3
	s_cbranch_execz .LBB212_849
; %bb.844:                              ;   in Loop: Header=BB212_15 Depth=1
	v_mov_b64_e32 v[120:121], 0x7f80000100000000
	v_bfe_u32 v6, v2, 24, 7
	s_mov_b32 s16, exec_lo
	s_delay_alu instid0(VALU_DEP_1)
	v_cmpx_ne_u32_e32 0x7f, v6
	s_cbranch_execz .LBB212_848
; %bb.845:                              ;   in Loop: Header=BB212_15 Depth=1
	scratch_load_b64 v[0:1], off, s32 offset:192 th:TH_LOAD_LU ; 8-byte Folded Reload
	s_wait_loadcnt 0x0
	v_dual_lshrrev_b32 v2, 3, v6 :: v_dual_bitop2_b32 v0, 7, v3 bitop3:0x40
	s_mov_b32 s17, exec_lo
	s_wait_xcnt 0x0
	v_cmpx_gt_u32_e32 8, v6
; %bb.846:                              ;   in Loop: Header=BB212_15 Depth=1
	s_delay_alu instid0(VALU_DEP_2) | instskip(NEXT) | instid1(VALU_DEP_1)
	v_clz_i32_u32_e32 v2, v0
	v_min_u32_e32 v2, 32, v2
	s_delay_alu instid0(VALU_DEP_1) | instskip(SKIP_1) | instid1(VALU_DEP_2)
	v_subrev_nc_u32_e32 v6, 28, v2
	v_sub_nc_u32_e32 v2, 29, v2
	v_lshlrev_b64_e32 v[6:7], v6, v[0:1]
	s_delay_alu instid0(VALU_DEP_1)
	v_and_b32_e32 v0, 7, v6
; %bb.847:                              ;   in Loop: Header=BB212_15 Depth=1
	s_or_b32 exec_lo, exec_lo, s17
	s_delay_alu instid0(VALU_DEP_1) | instskip(SKIP_2) | instid1(VALU_DEP_3)
	v_dual_lshlrev_b32 v3, 24, v3 :: v_dual_lshlrev_b32 v0, 20, v0
	v_lshl_add_u32 v2, v2, 23, 0x3c000000
	v_mov_b32_e32 v120, v1
	v_and_b32_e32 v3, 0x80000000, v3
	s_delay_alu instid0(VALU_DEP_1)
	v_or3_b32 v121, v0, v3, v2
	v_mov_b32_e32 v3, v1
	scratch_store_b64 off, v[2:3], s32 offset:192 ; 8-byte Folded Spill
.LBB212_848:                            ;   in Loop: Header=BB212_15 Depth=1
	s_wait_xcnt 0x0
	s_or_b32 exec_lo, exec_lo, s16
.LBB212_849:                            ;   in Loop: Header=BB212_15 Depth=1
	s_delay_alu instid0(SALU_CYCLE_1)
	s_or_b32 exec_lo, exec_lo, s15
.LBB212_850:                            ;   in Loop: Header=BB212_15 Depth=1
	s_delay_alu instid0(SALU_CYCLE_1)
	s_or_b32 exec_lo, exec_lo, s14
	flat_load_b32 v6, v[68:69] offset:3080
	v_mov_b64_e32 v[124:125], 0
	v_mov_b64_e32 v[18:19], 0
	s_mov_b32 s14, exec_lo
	s_wait_loadcnt_dscnt 0x0
	v_and_b32_e32 v0, 0xff, v6
	s_wait_xcnt 0x0
	s_delay_alu instid0(VALU_DEP_1)
	v_cmpx_ne_u16_e32 0, v0
	s_cbranch_execz .LBB212_858
; %bb.851:                              ;   in Loop: Header=BB212_15 Depth=1
	v_mov_b64_e32 v[18:19], 0x80000000
	s_mov_b32 s15, exec_lo
	v_cmpx_ne_u16_e32 0x80, v0
	s_cbranch_execz .LBB212_857
; %bb.852:                              ;   in Loop: Header=BB212_15 Depth=1
	v_mov_b64_e32 v[18:19], 0x7f800001
	v_and_b32_e32 v3, 0x7f, v6
	s_mov_b32 s16, exec_lo
	s_delay_alu instid0(VALU_DEP_1)
	v_cmpx_ne_u32_e32 0x7f, v3
	s_cbranch_execz .LBB212_856
; %bb.853:                              ;   in Loop: Header=BB212_15 Depth=1
	scratch_load_b64 v[18:19], off, s32 offset:192 th:TH_LOAD_LU ; 8-byte Folded Reload
	s_wait_loadcnt 0x0
	v_dual_lshrrev_b32 v2, 3, v3 :: v_dual_bitop2_b32 v18, 7, v6 bitop3:0x40
	s_mov_b32 s17, exec_lo
	s_wait_xcnt 0x0
	v_cmpx_gt_u32_e32 8, v3
; %bb.854:                              ;   in Loop: Header=BB212_15 Depth=1
	s_delay_alu instid0(VALU_DEP_2) | instskip(NEXT) | instid1(VALU_DEP_1)
	v_clz_i32_u32_e32 v2, v18
	v_min_u32_e32 v2, 32, v2
	s_delay_alu instid0(VALU_DEP_1) | instskip(NEXT) | instid1(VALU_DEP_1)
	v_subrev_nc_u32_e32 v3, 28, v2
	v_lshlrev_b64_e32 v[12:13], v3, v[18:19]
	s_delay_alu instid0(VALU_DEP_1)
	v_dual_sub_nc_u32 v2, 29, v2 :: v_dual_bitop2_b32 v18, 7, v12 bitop3:0x40
; %bb.855:                              ;   in Loop: Header=BB212_15 Depth=1
	s_or_b32 exec_lo, exec_lo, s17
	v_dual_lshlrev_b32 v3, 24, v6 :: v_dual_mov_b32 v1, v19
	s_delay_alu instid0(VALU_DEP_2) | instskip(NEXT) | instid1(VALU_DEP_3)
	v_lshlrev_b32_e32 v0, 20, v18
	v_lshl_add_u32 v2, v2, 23, 0x3c000000
	s_delay_alu instid0(VALU_DEP_3)
	v_and_b32_e32 v3, 0x80000000, v3
	scratch_store_b64 off, v[0:1], s32 offset:192 ; 8-byte Folded Spill
	v_or3_b32 v18, v0, v3, v2
.LBB212_856:                            ;   in Loop: Header=BB212_15 Depth=1
	s_wait_xcnt 0x0
	s_or_b32 exec_lo, exec_lo, s16
.LBB212_857:                            ;   in Loop: Header=BB212_15 Depth=1
	s_delay_alu instid0(SALU_CYCLE_1)
	s_or_b32 exec_lo, exec_lo, s15
.LBB212_858:                            ;   in Loop: Header=BB212_15 Depth=1
	s_delay_alu instid0(SALU_CYCLE_1) | instskip(SKIP_2) | instid1(VALU_DEP_1)
	s_or_b32 exec_lo, exec_lo, s14
	v_lshrrev_b16 v0, 8, v6
	s_mov_b32 s14, exec_lo
	v_cmpx_ne_u16_e32 0, v0
	s_cbranch_execz .LBB212_866
; %bb.859:                              ;   in Loop: Header=BB212_15 Depth=1
	v_mov_b64_e32 v[124:125], 0x8000000000000000
	s_mov_b32 s15, exec_lo
	v_cmpx_ne_u16_e32 0x80, v0
	s_cbranch_execz .LBB212_865
; %bb.860:                              ;   in Loop: Header=BB212_15 Depth=1
	v_and_b32_e32 v0, 0xffff, v0
	v_mov_b64_e32 v[124:125], 0x7f80000100000000
	s_mov_b32 s16, exec_lo
	s_delay_alu instid0(VALU_DEP_2) | instskip(NEXT) | instid1(VALU_DEP_1)
	v_and_b32_e32 v3, 0x7f, v0
	v_cmpx_ne_u32_e32 0x7f, v3
	s_cbranch_execz .LBB212_864
; %bb.861:                              ;   in Loop: Header=BB212_15 Depth=1
	scratch_load_b64 v[8:9], off, s32 offset:192 th:TH_LOAD_LU ; 8-byte Folded Reload
	v_lshrrev_b32_e32 v2, 3, v3
	s_mov_b32 s17, exec_lo
	s_wait_loadcnt 0x0
	v_dual_mov_b32 v1, v9 :: v_dual_bitop2_b32 v0, 7, v0 bitop3:0x40
	s_wait_xcnt 0x0
	v_cmpx_gt_u32_e32 8, v3
; %bb.862:                              ;   in Loop: Header=BB212_15 Depth=1
	s_delay_alu instid0(VALU_DEP_2) | instskip(NEXT) | instid1(VALU_DEP_1)
	v_clz_i32_u32_e32 v2, v0
	v_min_u32_e32 v2, 32, v2
	s_delay_alu instid0(VALU_DEP_1) | instskip(NEXT) | instid1(VALU_DEP_1)
	v_subrev_nc_u32_e32 v3, 28, v2
	v_lshlrev_b64_e32 v[12:13], v3, v[0:1]
	s_delay_alu instid0(VALU_DEP_1)
	v_dual_sub_nc_u32 v2, 29, v2 :: v_dual_bitop2_b32 v0, 7, v12 bitop3:0x40
; %bb.863:                              ;   in Loop: Header=BB212_15 Depth=1
	s_or_b32 exec_lo, exec_lo, s17
	s_delay_alu instid0(VALU_DEP_1) | instskip(NEXT) | instid1(VALU_DEP_2)
	v_dual_lshlrev_b32 v3, 16, v6 :: v_dual_lshlrev_b32 v0, 20, v0
	v_lshl_add_u32 v2, v2, 23, 0x3c000000
	v_mov_b32_e32 v124, v1
	s_delay_alu instid0(VALU_DEP_3) | instskip(NEXT) | instid1(VALU_DEP_1)
	v_and_b32_e32 v3, 0x80000000, v3
	v_or3_b32 v125, v0, v3, v2
	v_mov_b32_e32 v3, v1
	scratch_store_b64 off, v[2:3], s32 offset:192 ; 8-byte Folded Spill
.LBB212_864:                            ;   in Loop: Header=BB212_15 Depth=1
	s_wait_xcnt 0x0
	s_or_b32 exec_lo, exec_lo, s16
.LBB212_865:                            ;   in Loop: Header=BB212_15 Depth=1
	s_delay_alu instid0(SALU_CYCLE_1)
	s_or_b32 exec_lo, exec_lo, s15
.LBB212_866:                            ;   in Loop: Header=BB212_15 Depth=1
	s_delay_alu instid0(SALU_CYCLE_1) | instskip(SKIP_4) | instid1(VALU_DEP_3)
	s_or_b32 exec_lo, exec_lo, s14
	v_lshrrev_b32_e32 v7, 16, v6
	v_mov_b64_e32 v[2:3], 0
	v_mov_b64_e32 v[100:101], 0
	s_mov_b32 s14, exec_lo
	v_and_b32_e32 v0, 0xff, v7
	s_delay_alu instid0(VALU_DEP_1)
	v_cmpx_ne_u16_e32 0, v0
	s_cbranch_execz .LBB212_874
; %bb.867:                              ;   in Loop: Header=BB212_15 Depth=1
	v_mov_b64_e32 v[100:101], 0x80000000
	s_mov_b32 s15, exec_lo
	v_cmpx_ne_u16_e32 0x80, v0
	s_cbranch_execz .LBB212_873
; %bb.868:                              ;   in Loop: Header=BB212_15 Depth=1
	v_mov_b64_e32 v[100:101], 0x7f800001
	v_bfe_u32 v12, v6, 16, 7
	s_mov_b32 s16, exec_lo
	s_delay_alu instid0(VALU_DEP_1)
	v_cmpx_ne_u32_e32 0x7f, v12
	s_cbranch_execz .LBB212_872
; %bb.869:                              ;   in Loop: Header=BB212_15 Depth=1
	scratch_load_b64 v[100:101], off, s32 offset:192 th:TH_LOAD_LU ; 8-byte Folded Reload
	s_wait_loadcnt 0x0
	v_dual_lshrrev_b32 v8, 3, v12 :: v_dual_bitop2_b32 v100, 7, v7 bitop3:0x40
	s_mov_b32 s17, exec_lo
	s_wait_xcnt 0x0
	v_cmpx_gt_u32_e32 8, v12
; %bb.870:                              ;   in Loop: Header=BB212_15 Depth=1
	s_delay_alu instid0(VALU_DEP_2) | instskip(NEXT) | instid1(VALU_DEP_1)
	v_clz_i32_u32_e32 v8, v100
	v_min_u32_e32 v8, 32, v8
	s_delay_alu instid0(VALU_DEP_1) | instskip(SKIP_1) | instid1(VALU_DEP_2)
	v_subrev_nc_u32_e32 v9, 28, v8
	v_sub_nc_u32_e32 v8, 29, v8
	v_lshlrev_b64_e32 v[12:13], v9, v[100:101]
	s_delay_alu instid0(VALU_DEP_1)
	v_and_b32_e32 v100, 7, v12
; %bb.871:                              ;   in Loop: Header=BB212_15 Depth=1
	s_or_b32 exec_lo, exec_lo, s17
	s_delay_alu instid0(VALU_DEP_1) | instskip(SKIP_2) | instid1(VALU_DEP_3)
	v_dual_lshlrev_b32 v7, 24, v7 :: v_dual_lshlrev_b32 v0, 20, v100
	v_lshl_add_u32 v8, v8, 23, 0x3c000000
	v_mov_b32_e32 v1, v101
	v_and_b32_e32 v7, 0x80000000, v7
	scratch_store_b64 off, v[0:1], s32 offset:192 ; 8-byte Folded Spill
	v_or3_b32 v100, v0, v7, v8
.LBB212_872:                            ;   in Loop: Header=BB212_15 Depth=1
	s_wait_xcnt 0x0
	s_or_b32 exec_lo, exec_lo, s16
.LBB212_873:                            ;   in Loop: Header=BB212_15 Depth=1
	s_delay_alu instid0(SALU_CYCLE_1)
	s_or_b32 exec_lo, exec_lo, s15
.LBB212_874:                            ;   in Loop: Header=BB212_15 Depth=1
	s_delay_alu instid0(SALU_CYCLE_1) | instskip(NEXT) | instid1(SALU_CYCLE_1)
	s_or_b32 exec_lo, exec_lo, s14
	s_mov_b32 s14, exec_lo
	v_cmpx_lt_u32_e32 0xffffff, v6
	s_cbranch_execz .LBB212_882
; %bb.875:                              ;   in Loop: Header=BB212_15 Depth=1
	v_mov_b64_e32 v[2:3], 0x8000000000000000
	v_lshrrev_b32_e32 v7, 24, v6
	s_mov_b32 s15, exec_lo
	s_delay_alu instid0(VALU_DEP_1)
	v_cmpx_ne_u32_e32 0x80, v7
	s_cbranch_execz .LBB212_881
; %bb.876:                              ;   in Loop: Header=BB212_15 Depth=1
	v_mov_b64_e32 v[2:3], 0x7f80000100000000
	v_bfe_u32 v6, v6, 24, 7
	s_mov_b32 s16, exec_lo
	s_delay_alu instid0(VALU_DEP_1)
	v_cmpx_ne_u32_e32 0x7f, v6
	s_cbranch_execz .LBB212_880
; %bb.877:                              ;   in Loop: Header=BB212_15 Depth=1
	scratch_load_b64 v[0:1], off, s32 offset:192 th:TH_LOAD_LU ; 8-byte Folded Reload
	s_wait_loadcnt 0x0
	v_dual_lshrrev_b32 v2, 3, v6 :: v_dual_bitop2_b32 v0, 7, v7 bitop3:0x40
	s_mov_b32 s17, exec_lo
	s_wait_xcnt 0x0
	v_cmpx_gt_u32_e32 8, v6
; %bb.878:                              ;   in Loop: Header=BB212_15 Depth=1
	s_delay_alu instid0(VALU_DEP_2) | instskip(NEXT) | instid1(VALU_DEP_1)
	v_clz_i32_u32_e32 v2, v0
	v_min_u32_e32 v2, 32, v2
	s_delay_alu instid0(VALU_DEP_1) | instskip(NEXT) | instid1(VALU_DEP_1)
	v_subrev_nc_u32_e32 v3, 28, v2
	v_lshlrev_b64_e32 v[12:13], v3, v[0:1]
	s_delay_alu instid0(VALU_DEP_1)
	v_dual_sub_nc_u32 v2, 29, v2 :: v_dual_bitop2_b32 v0, 7, v12 bitop3:0x40
; %bb.879:                              ;   in Loop: Header=BB212_15 Depth=1
	s_or_b32 exec_lo, exec_lo, s17
	s_delay_alu instid0(VALU_DEP_1) | instskip(NEXT) | instid1(VALU_DEP_2)
	v_dual_lshlrev_b32 v3, 24, v7 :: v_dual_lshlrev_b32 v0, 20, v0
	v_lshl_add_u32 v2, v2, 23, 0x3c000000
	v_mov_b32_e32 v7, v1
	s_delay_alu instid0(VALU_DEP_3) | instskip(NEXT) | instid1(VALU_DEP_1)
	v_and_b32_e32 v3, 0x80000000, v3
	v_or3_b32 v3, v0, v3, v2
	v_mov_b32_e32 v2, v1
	scratch_store_b64 off, v[6:7], s32 offset:192 ; 8-byte Folded Spill
.LBB212_880:                            ;   in Loop: Header=BB212_15 Depth=1
	s_wait_xcnt 0x0
	s_or_b32 exec_lo, exec_lo, s16
.LBB212_881:                            ;   in Loop: Header=BB212_15 Depth=1
	s_delay_alu instid0(SALU_CYCLE_1)
	s_or_b32 exec_lo, exec_lo, s15
.LBB212_882:                            ;   in Loop: Header=BB212_15 Depth=1
	s_delay_alu instid0(SALU_CYCLE_1)
	s_or_b32 exec_lo, exec_lo, s14
	flat_load_b32 v6, v[68:69] offset:3084
	v_mov_b64_e32 v[22:23], 0
	v_mov_b64_e32 v[16:17], 0
	s_mov_b32 s14, exec_lo
	s_wait_loadcnt_dscnt 0x0
	v_and_b32_e32 v0, 0xff, v6
	s_wait_xcnt 0x0
	s_delay_alu instid0(VALU_DEP_1)
	v_cmpx_ne_u16_e32 0, v0
	s_cbranch_execz .LBB212_890
; %bb.883:                              ;   in Loop: Header=BB212_15 Depth=1
	v_mov_b64_e32 v[16:17], 0x80000000
	s_mov_b32 s15, exec_lo
	v_cmpx_ne_u16_e32 0x80, v0
	s_cbranch_execz .LBB212_889
; %bb.884:                              ;   in Loop: Header=BB212_15 Depth=1
	v_mov_b64_e32 v[16:17], 0x7f800001
	v_and_b32_e32 v8, 0x7f, v6
	s_mov_b32 s16, exec_lo
	s_delay_alu instid0(VALU_DEP_1)
	v_cmpx_ne_u32_e32 0x7f, v8
	s_cbranch_execz .LBB212_888
; %bb.885:                              ;   in Loop: Header=BB212_15 Depth=1
	scratch_load_b64 v[16:17], off, s32 offset:192 th:TH_LOAD_LU ; 8-byte Folded Reload
	s_wait_loadcnt 0x0
	v_dual_lshrrev_b32 v7, 3, v8 :: v_dual_bitop2_b32 v16, 7, v6 bitop3:0x40
	s_mov_b32 s17, exec_lo
	s_wait_xcnt 0x0
	v_cmpx_gt_u32_e32 8, v8
; %bb.886:                              ;   in Loop: Header=BB212_15 Depth=1
	s_delay_alu instid0(VALU_DEP_2) | instskip(NEXT) | instid1(VALU_DEP_1)
	v_clz_i32_u32_e32 v7, v16
	v_min_u32_e32 v7, 32, v7
	s_delay_alu instid0(VALU_DEP_1) | instskip(NEXT) | instid1(VALU_DEP_1)
	v_subrev_nc_u32_e32 v8, 28, v7
	v_lshlrev_b64_e32 v[12:13], v8, v[16:17]
	s_delay_alu instid0(VALU_DEP_1)
	v_dual_sub_nc_u32 v7, 29, v7 :: v_dual_bitop2_b32 v16, 7, v12 bitop3:0x40
; %bb.887:                              ;   in Loop: Header=BB212_15 Depth=1
	s_or_b32 exec_lo, exec_lo, s17
	s_delay_alu instid0(VALU_DEP_1) | instskip(NEXT) | instid1(VALU_DEP_2)
	v_dual_lshlrev_b32 v8, 24, v6 :: v_dual_lshlrev_b32 v0, 20, v16
	v_lshl_add_u32 v7, v7, 23, 0x3c000000
	v_mov_b32_e32 v1, v17
	s_delay_alu instid0(VALU_DEP_3)
	v_and_b32_e32 v8, 0x80000000, v8
	scratch_store_b64 off, v[0:1], s32 offset:192 ; 8-byte Folded Spill
	v_or3_b32 v16, v0, v8, v7
.LBB212_888:                            ;   in Loop: Header=BB212_15 Depth=1
	s_wait_xcnt 0x0
	s_or_b32 exec_lo, exec_lo, s16
.LBB212_889:                            ;   in Loop: Header=BB212_15 Depth=1
	s_delay_alu instid0(SALU_CYCLE_1)
	s_or_b32 exec_lo, exec_lo, s15
.LBB212_890:                            ;   in Loop: Header=BB212_15 Depth=1
	s_delay_alu instid0(SALU_CYCLE_1) | instskip(SKIP_2) | instid1(VALU_DEP_1)
	s_or_b32 exec_lo, exec_lo, s14
	v_lshrrev_b16 v0, 8, v6
	s_mov_b32 s14, exec_lo
	v_cmpx_ne_u16_e32 0, v0
	s_cbranch_execz .LBB212_898
; %bb.891:                              ;   in Loop: Header=BB212_15 Depth=1
	v_mov_b64_e32 v[22:23], 0x8000000000000000
	s_mov_b32 s15, exec_lo
	v_cmpx_ne_u16_e32 0x80, v0
	s_cbranch_execz .LBB212_897
; %bb.892:                              ;   in Loop: Header=BB212_15 Depth=1
	v_and_b32_e32 v0, 0xffff, v0
	v_mov_b64_e32 v[22:23], 0x7f80000100000000
	s_mov_b32 s16, exec_lo
	s_delay_alu instid0(VALU_DEP_2) | instskip(NEXT) | instid1(VALU_DEP_1)
	v_and_b32_e32 v8, 0x7f, v0
	v_cmpx_ne_u32_e32 0x7f, v8
	s_cbranch_execz .LBB212_896
; %bb.893:                              ;   in Loop: Header=BB212_15 Depth=1
	scratch_load_b64 v[12:13], off, s32 offset:192 th:TH_LOAD_LU ; 8-byte Folded Reload
	v_lshrrev_b32_e32 v7, 3, v8
	s_mov_b32 s17, exec_lo
	s_wait_loadcnt 0x0
	v_dual_mov_b32 v1, v13 :: v_dual_bitop2_b32 v0, 7, v0 bitop3:0x40
	s_wait_xcnt 0x0
	v_cmpx_gt_u32_e32 8, v8
; %bb.894:                              ;   in Loop: Header=BB212_15 Depth=1
	s_delay_alu instid0(VALU_DEP_2) | instskip(NEXT) | instid1(VALU_DEP_1)
	v_clz_i32_u32_e32 v7, v0
	v_min_u32_e32 v7, 32, v7
	s_delay_alu instid0(VALU_DEP_1) | instskip(NEXT) | instid1(VALU_DEP_1)
	v_subrev_nc_u32_e32 v8, 28, v7
	v_lshlrev_b64_e32 v[12:13], v8, v[0:1]
	s_delay_alu instid0(VALU_DEP_1)
	v_dual_sub_nc_u32 v7, 29, v7 :: v_dual_bitop2_b32 v0, 7, v12 bitop3:0x40
; %bb.895:                              ;   in Loop: Header=BB212_15 Depth=1
	s_or_b32 exec_lo, exec_lo, s17
	s_delay_alu instid0(VALU_DEP_1) | instskip(NEXT) | instid1(VALU_DEP_2)
	v_dual_lshlrev_b32 v8, 16, v6 :: v_dual_lshlrev_b32 v0, 20, v0
	v_lshl_add_u32 v7, v7, 23, 0x3c000000
	v_mov_b32_e32 v22, v1
	s_delay_alu instid0(VALU_DEP_3) | instskip(NEXT) | instid1(VALU_DEP_1)
	v_and_b32_e32 v8, 0x80000000, v8
	v_or3_b32 v23, v0, v8, v7
	v_mov_b32_e32 v7, v1
	scratch_store_b64 off, v[6:7], s32 offset:192 ; 8-byte Folded Spill
.LBB212_896:                            ;   in Loop: Header=BB212_15 Depth=1
	s_wait_xcnt 0x0
	s_or_b32 exec_lo, exec_lo, s16
.LBB212_897:                            ;   in Loop: Header=BB212_15 Depth=1
	s_delay_alu instid0(SALU_CYCLE_1)
	s_or_b32 exec_lo, exec_lo, s15
.LBB212_898:                            ;   in Loop: Header=BB212_15 Depth=1
	s_delay_alu instid0(SALU_CYCLE_1) | instskip(SKIP_4) | instid1(VALU_DEP_3)
	s_or_b32 exec_lo, exec_lo, s14
	v_lshrrev_b32_e32 v7, 16, v6
	v_mov_b64_e32 v[14:15], 0
	v_mov_b64_e32 v[20:21], 0
	s_mov_b32 s14, exec_lo
	v_and_b32_e32 v0, 0xff, v7
	s_delay_alu instid0(VALU_DEP_1)
	v_cmpx_ne_u16_e32 0, v0
	s_cbranch_execz .LBB212_906
; %bb.899:                              ;   in Loop: Header=BB212_15 Depth=1
	v_mov_b64_e32 v[20:21], 0x80000000
	s_mov_b32 s15, exec_lo
	v_cmpx_ne_u16_e32 0x80, v0
	s_cbranch_execz .LBB212_905
; %bb.900:                              ;   in Loop: Header=BB212_15 Depth=1
	v_mov_b64_e32 v[20:21], 0x7f800001
	v_bfe_u32 v12, v6, 16, 7
	s_mov_b32 s16, exec_lo
	s_delay_alu instid0(VALU_DEP_1)
	v_cmpx_ne_u32_e32 0x7f, v12
	s_cbranch_execz .LBB212_904
; %bb.901:                              ;   in Loop: Header=BB212_15 Depth=1
	scratch_load_b64 v[20:21], off, s32 offset:192 th:TH_LOAD_LU ; 8-byte Folded Reload
	s_wait_loadcnt 0x0
	v_dual_lshrrev_b32 v8, 3, v12 :: v_dual_bitop2_b32 v20, 7, v7 bitop3:0x40
	s_mov_b32 s17, exec_lo
	s_wait_xcnt 0x0
	v_cmpx_gt_u32_e32 8, v12
; %bb.902:                              ;   in Loop: Header=BB212_15 Depth=1
	s_delay_alu instid0(VALU_DEP_2) | instskip(NEXT) | instid1(VALU_DEP_1)
	v_clz_i32_u32_e32 v8, v20
	v_min_u32_e32 v8, 32, v8
	s_delay_alu instid0(VALU_DEP_1) | instskip(SKIP_1) | instid1(VALU_DEP_2)
	v_subrev_nc_u32_e32 v9, 28, v8
	v_sub_nc_u32_e32 v8, 29, v8
	v_lshlrev_b64_e32 v[12:13], v9, v[20:21]
	s_delay_alu instid0(VALU_DEP_1)
	v_and_b32_e32 v20, 7, v12
; %bb.903:                              ;   in Loop: Header=BB212_15 Depth=1
	s_or_b32 exec_lo, exec_lo, s17
	s_delay_alu instid0(VALU_DEP_1) | instskip(SKIP_2) | instid1(VALU_DEP_3)
	v_dual_lshlrev_b32 v7, 24, v7 :: v_dual_lshlrev_b32 v0, 20, v20
	v_lshl_add_u32 v8, v8, 23, 0x3c000000
	v_mov_b32_e32 v1, v21
	v_and_b32_e32 v7, 0x80000000, v7
	scratch_store_b64 off, v[0:1], s32 offset:192 ; 8-byte Folded Spill
	v_or3_b32 v20, v0, v7, v8
.LBB212_904:                            ;   in Loop: Header=BB212_15 Depth=1
	s_wait_xcnt 0x0
	s_or_b32 exec_lo, exec_lo, s16
.LBB212_905:                            ;   in Loop: Header=BB212_15 Depth=1
	s_delay_alu instid0(SALU_CYCLE_1)
	s_or_b32 exec_lo, exec_lo, s15
.LBB212_906:                            ;   in Loop: Header=BB212_15 Depth=1
	s_delay_alu instid0(SALU_CYCLE_1) | instskip(NEXT) | instid1(SALU_CYCLE_1)
	s_or_b32 exec_lo, exec_lo, s14
	s_mov_b32 s14, exec_lo
	v_cmpx_lt_u32_e32 0xffffff, v6
	s_cbranch_execz .LBB212_914
; %bb.907:                              ;   in Loop: Header=BB212_15 Depth=1
	v_mov_b64_e32 v[14:15], 0x8000000000000000
	v_lshrrev_b32_e32 v7, 24, v6
	s_mov_b32 s15, exec_lo
	s_delay_alu instid0(VALU_DEP_1)
	v_cmpx_ne_u32_e32 0x80, v7
	s_cbranch_execz .LBB212_913
; %bb.908:                              ;   in Loop: Header=BB212_15 Depth=1
	v_mov_b64_e32 v[14:15], 0x7f80000100000000
	v_bfe_u32 v8, v6, 24, 7
	s_mov_b32 s16, exec_lo
	s_delay_alu instid0(VALU_DEP_1)
	v_cmpx_ne_u32_e32 0x7f, v8
	s_cbranch_execz .LBB212_912
; %bb.909:                              ;   in Loop: Header=BB212_15 Depth=1
	scratch_load_b64 v[0:1], off, s32 offset:192 th:TH_LOAD_LU ; 8-byte Folded Reload
	s_wait_loadcnt 0x0
	v_dual_lshrrev_b32 v6, 3, v8 :: v_dual_bitop2_b32 v0, 7, v7 bitop3:0x40
	s_mov_b32 s17, exec_lo
	s_wait_xcnt 0x0
	v_cmpx_gt_u32_e32 8, v8
; %bb.910:                              ;   in Loop: Header=BB212_15 Depth=1
	s_delay_alu instid0(VALU_DEP_2) | instskip(NEXT) | instid1(VALU_DEP_1)
	v_clz_i32_u32_e32 v6, v0
	v_min_u32_e32 v6, 32, v6
	s_delay_alu instid0(VALU_DEP_1) | instskip(NEXT) | instid1(VALU_DEP_1)
	v_subrev_nc_u32_e32 v8, 28, v6
	v_lshlrev_b64_e32 v[12:13], v8, v[0:1]
	s_delay_alu instid0(VALU_DEP_1)
	v_dual_sub_nc_u32 v6, 29, v6 :: v_dual_bitop2_b32 v0, 7, v12 bitop3:0x40
; %bb.911:                              ;   in Loop: Header=BB212_15 Depth=1
	s_or_b32 exec_lo, exec_lo, s17
	s_delay_alu instid0(VALU_DEP_1) | instskip(NEXT) | instid1(VALU_DEP_2)
	v_dual_lshlrev_b32 v7, 24, v7 :: v_dual_lshlrev_b32 v0, 20, v0
	v_lshl_add_u32 v6, v6, 23, 0x3c000000
	v_mov_b32_e32 v14, v1
	s_delay_alu instid0(VALU_DEP_3) | instskip(NEXT) | instid1(VALU_DEP_1)
	v_and_b32_e32 v7, 0x80000000, v7
	v_or3_b32 v15, v0, v7, v6
	v_mov_b32_e32 v7, v1
	scratch_store_b64 off, v[6:7], s32 offset:192 ; 8-byte Folded Spill
.LBB212_912:                            ;   in Loop: Header=BB212_15 Depth=1
	s_wait_xcnt 0x0
	s_or_b32 exec_lo, exec_lo, s16
.LBB212_913:                            ;   in Loop: Header=BB212_15 Depth=1
	s_delay_alu instid0(SALU_CYCLE_1)
	s_or_b32 exec_lo, exec_lo, s15
.LBB212_914:                            ;   in Loop: Header=BB212_15 Depth=1
	s_delay_alu instid0(SALU_CYCLE_1)
	s_or_b32 exec_lo, exec_lo, s14
	flat_load_b32 v6, v[68:69] offset:3584
	v_mov_b64_e32 v[24:25], 0
	v_mov_b64_e32 v[12:13], 0
	s_mov_b32 s14, exec_lo
	s_wait_loadcnt_dscnt 0x0
	v_and_b32_e32 v0, 0xff, v6
	s_wait_xcnt 0x0
	s_delay_alu instid0(VALU_DEP_1)
	v_cmpx_ne_u16_e32 0, v0
	s_cbranch_execz .LBB212_922
; %bb.915:                              ;   in Loop: Header=BB212_15 Depth=1
	v_mov_b64_e32 v[12:13], 0x80000000
	s_mov_b32 s15, exec_lo
	v_cmpx_ne_u16_e32 0x80, v0
	s_cbranch_execz .LBB212_921
; %bb.916:                              ;   in Loop: Header=BB212_15 Depth=1
	v_mov_b64_e32 v[12:13], 0x7f800001
	v_and_b32_e32 v8, 0x7f, v6
	s_mov_b32 s16, exec_lo
	s_delay_alu instid0(VALU_DEP_1)
	v_cmpx_ne_u32_e32 0x7f, v8
	s_cbranch_execz .LBB212_920
; %bb.917:                              ;   in Loop: Header=BB212_15 Depth=1
	scratch_load_b64 v[0:1], off, s32 offset:192 th:TH_LOAD_LU ; 8-byte Folded Reload
	s_wait_loadcnt 0x0
	v_dual_lshrrev_b32 v7, 3, v8 :: v_dual_bitop2_b32 v0, 7, v6 bitop3:0x40
	s_mov_b32 s17, exec_lo
	s_wait_xcnt 0x0
	v_cmpx_gt_u32_e32 8, v8
; %bb.918:                              ;   in Loop: Header=BB212_15 Depth=1
	s_delay_alu instid0(VALU_DEP_2) | instskip(NEXT) | instid1(VALU_DEP_1)
	v_clz_i32_u32_e32 v7, v0
	v_min_u32_e32 v7, 32, v7
	s_delay_alu instid0(VALU_DEP_1) | instskip(NEXT) | instid1(VALU_DEP_1)
	v_subrev_nc_u32_e32 v8, 28, v7
	v_lshlrev_b64_e32 v[12:13], v8, v[0:1]
	s_delay_alu instid0(VALU_DEP_1)
	v_dual_sub_nc_u32 v7, 29, v7 :: v_dual_bitop2_b32 v0, 7, v12 bitop3:0x40
; %bb.919:                              ;   in Loop: Header=BB212_15 Depth=1
	s_or_b32 exec_lo, exec_lo, s17
	s_delay_alu instid0(VALU_DEP_1) | instskip(NEXT) | instid1(VALU_DEP_2)
	v_dual_lshlrev_b32 v8, 24, v6 :: v_dual_lshlrev_b32 v0, 20, v0
	v_lshl_add_u32 v7, v7, 23, 0x3c000000
	s_delay_alu instid0(VALU_DEP_2) | instskip(NEXT) | instid1(VALU_DEP_1)
	v_and_b32_e32 v8, 0x80000000, v8
	v_or3_b32 v0, v0, v8, v7
	v_mov_b32_e32 v7, v1
	s_delay_alu instid0(VALU_DEP_2)
	v_mov_b64_e32 v[12:13], v[0:1]
	scratch_store_b64 off, v[6:7], s32 offset:192 ; 8-byte Folded Spill
.LBB212_920:                            ;   in Loop: Header=BB212_15 Depth=1
	s_wait_xcnt 0x0
	s_or_b32 exec_lo, exec_lo, s16
.LBB212_921:                            ;   in Loop: Header=BB212_15 Depth=1
	s_delay_alu instid0(SALU_CYCLE_1)
	s_or_b32 exec_lo, exec_lo, s15
.LBB212_922:                            ;   in Loop: Header=BB212_15 Depth=1
	s_delay_alu instid0(SALU_CYCLE_1) | instskip(SKIP_2) | instid1(VALU_DEP_1)
	s_or_b32 exec_lo, exec_lo, s14
	v_lshrrev_b16 v0, 8, v6
	s_mov_b32 s14, exec_lo
	v_cmpx_ne_u16_e32 0, v0
	s_cbranch_execz .LBB212_930
; %bb.923:                              ;   in Loop: Header=BB212_15 Depth=1
	v_mov_b64_e32 v[24:25], 0x8000000000000000
	s_mov_b32 s15, exec_lo
	v_cmpx_ne_u16_e32 0x80, v0
	s_cbranch_execz .LBB212_929
; %bb.924:                              ;   in Loop: Header=BB212_15 Depth=1
	v_and_b32_e32 v0, 0xffff, v0
	v_mov_b64_e32 v[24:25], 0x7f80000100000000
	s_mov_b32 s16, exec_lo
	s_delay_alu instid0(VALU_DEP_2) | instskip(NEXT) | instid1(VALU_DEP_1)
	v_and_b32_e32 v8, 0x7f, v0
	v_cmpx_ne_u32_e32 0x7f, v8
	s_cbranch_execz .LBB212_928
; %bb.925:                              ;   in Loop: Header=BB212_15 Depth=1
	scratch_load_b64 v[24:25], off, s32 offset:192 th:TH_LOAD_LU ; 8-byte Folded Reload
	v_lshrrev_b32_e32 v7, 3, v8
	s_mov_b32 s17, exec_lo
	s_wait_loadcnt 0x0
	v_dual_mov_b32 v1, v25 :: v_dual_bitop2_b32 v0, 7, v0 bitop3:0x40
	s_wait_xcnt 0x0
	v_cmpx_gt_u32_e32 8, v8
; %bb.926:                              ;   in Loop: Header=BB212_15 Depth=1
	s_delay_alu instid0(VALU_DEP_2) | instskip(NEXT) | instid1(VALU_DEP_1)
	v_clz_i32_u32_e32 v7, v0
	v_min_u32_e32 v7, 32, v7
	s_delay_alu instid0(VALU_DEP_1) | instskip(NEXT) | instid1(VALU_DEP_1)
	v_subrev_nc_u32_e32 v8, 28, v7
	v_lshlrev_b64_e32 v[30:31], v8, v[0:1]
	s_delay_alu instid0(VALU_DEP_1)
	v_dual_sub_nc_u32 v7, 29, v7 :: v_dual_bitop2_b32 v0, 7, v30 bitop3:0x40
; %bb.927:                              ;   in Loop: Header=BB212_15 Depth=1
	s_or_b32 exec_lo, exec_lo, s17
	s_delay_alu instid0(VALU_DEP_1) | instskip(NEXT) | instid1(VALU_DEP_2)
	v_dual_lshlrev_b32 v8, 16, v6 :: v_dual_lshlrev_b32 v0, 20, v0
	v_lshl_add_u32 v7, v7, 23, 0x3c000000
	v_mov_b32_e32 v24, v1
	s_delay_alu instid0(VALU_DEP_3) | instskip(NEXT) | instid1(VALU_DEP_1)
	v_and_b32_e32 v8, 0x80000000, v8
	v_or3_b32 v25, v0, v8, v7
	v_mov_b32_e32 v7, v1
	scratch_store_b64 off, v[6:7], s32 offset:192 ; 8-byte Folded Spill
.LBB212_928:                            ;   in Loop: Header=BB212_15 Depth=1
	s_wait_xcnt 0x0
	s_or_b32 exec_lo, exec_lo, s16
.LBB212_929:                            ;   in Loop: Header=BB212_15 Depth=1
	s_delay_alu instid0(SALU_CYCLE_1)
	s_or_b32 exec_lo, exec_lo, s15
.LBB212_930:                            ;   in Loop: Header=BB212_15 Depth=1
	s_delay_alu instid0(SALU_CYCLE_1) | instskip(SKIP_4) | instid1(VALU_DEP_3)
	s_or_b32 exec_lo, exec_lo, s14
	v_lshrrev_b32_e32 v7, 16, v6
	v_mov_b64_e32 v[54:55], 0
	v_mov_b64_e32 v[30:31], 0
	s_mov_b32 s14, exec_lo
	v_and_b32_e32 v0, 0xff, v7
	s_delay_alu instid0(VALU_DEP_1)
	v_cmpx_ne_u16_e32 0, v0
	s_cbranch_execz .LBB212_938
; %bb.931:                              ;   in Loop: Header=BB212_15 Depth=1
	v_mov_b64_e32 v[30:31], 0x80000000
	s_mov_b32 s15, exec_lo
	v_cmpx_ne_u16_e32 0x80, v0
	s_cbranch_execz .LBB212_937
; %bb.932:                              ;   in Loop: Header=BB212_15 Depth=1
	v_mov_b64_e32 v[30:31], 0x7f800001
	v_bfe_u32 v29, v6, 16, 7
	s_mov_b32 s16, exec_lo
	s_delay_alu instid0(VALU_DEP_1)
	v_cmpx_ne_u32_e32 0x7f, v29
	s_cbranch_execz .LBB212_936
; %bb.933:                              ;   in Loop: Header=BB212_15 Depth=1
	scratch_load_b64 v[0:1], off, s32 offset:192 th:TH_LOAD_LU ; 8-byte Folded Reload
	s_wait_loadcnt 0x0
	v_dual_lshrrev_b32 v8, 3, v29 :: v_dual_bitop2_b32 v0, 7, v7 bitop3:0x40
	s_mov_b32 s17, exec_lo
	s_wait_xcnt 0x0
	v_cmpx_gt_u32_e32 8, v29
; %bb.934:                              ;   in Loop: Header=BB212_15 Depth=1
	s_delay_alu instid0(VALU_DEP_2) | instskip(NEXT) | instid1(VALU_DEP_1)
	v_clz_i32_u32_e32 v8, v0
	v_min_u32_e32 v8, 32, v8
	s_delay_alu instid0(VALU_DEP_1) | instskip(NEXT) | instid1(VALU_DEP_1)
	v_subrev_nc_u32_e32 v9, 28, v8
	v_lshlrev_b64_e32 v[30:31], v9, v[0:1]
	s_delay_alu instid0(VALU_DEP_1)
	v_dual_sub_nc_u32 v8, 29, v8 :: v_dual_bitop2_b32 v0, 7, v30 bitop3:0x40
; %bb.935:                              ;   in Loop: Header=BB212_15 Depth=1
	s_or_b32 exec_lo, exec_lo, s17
	s_delay_alu instid0(VALU_DEP_1) | instskip(NEXT) | instid1(VALU_DEP_2)
	v_dual_lshlrev_b32 v7, 24, v7 :: v_dual_lshlrev_b32 v0, 20, v0
	v_lshl_add_u32 v8, v8, 23, 0x3c000000
	s_delay_alu instid0(VALU_DEP_2) | instskip(NEXT) | instid1(VALU_DEP_1)
	v_and_b32_e32 v7, 0x80000000, v7
	v_or3_b32 v0, v0, v7, v8
	v_mov_b32_e32 v7, v1
	s_delay_alu instid0(VALU_DEP_2)
	v_mov_b64_e32 v[30:31], v[0:1]
	scratch_store_b64 off, v[6:7], s32 offset:192 ; 8-byte Folded Spill
.LBB212_936:                            ;   in Loop: Header=BB212_15 Depth=1
	s_wait_xcnt 0x0
	s_or_b32 exec_lo, exec_lo, s16
.LBB212_937:                            ;   in Loop: Header=BB212_15 Depth=1
	s_delay_alu instid0(SALU_CYCLE_1)
	s_or_b32 exec_lo, exec_lo, s15
.LBB212_938:                            ;   in Loop: Header=BB212_15 Depth=1
	s_delay_alu instid0(SALU_CYCLE_1) | instskip(NEXT) | instid1(SALU_CYCLE_1)
	s_or_b32 exec_lo, exec_lo, s14
	s_mov_b32 s14, exec_lo
	v_cmpx_lt_u32_e32 0xffffff, v6
	s_cbranch_execz .LBB212_946
; %bb.939:                              ;   in Loop: Header=BB212_15 Depth=1
	v_mov_b64_e32 v[54:55], 0x8000000000000000
	v_lshrrev_b32_e32 v7, 24, v6
	s_mov_b32 s15, exec_lo
	s_delay_alu instid0(VALU_DEP_1)
	v_cmpx_ne_u32_e32 0x80, v7
	s_cbranch_execz .LBB212_945
; %bb.940:                              ;   in Loop: Header=BB212_15 Depth=1
	v_mov_b64_e32 v[54:55], 0x7f80000100000000
	v_bfe_u32 v8, v6, 24, 7
	s_mov_b32 s16, exec_lo
	s_delay_alu instid0(VALU_DEP_1)
	v_cmpx_ne_u32_e32 0x7f, v8
	s_cbranch_execz .LBB212_944
; %bb.941:                              ;   in Loop: Header=BB212_15 Depth=1
	scratch_load_b64 v[32:33], off, s32 offset:192 th:TH_LOAD_LU ; 8-byte Folded Reload
	s_wait_loadcnt 0x0
	v_dual_lshrrev_b32 v6, 3, v8 :: v_dual_bitop2_b32 v32, 7, v7 bitop3:0x40
	s_mov_b32 s17, exec_lo
	s_wait_xcnt 0x0
	v_cmpx_gt_u32_e32 8, v8
; %bb.942:                              ;   in Loop: Header=BB212_15 Depth=1
	s_delay_alu instid0(VALU_DEP_2) | instskip(NEXT) | instid1(VALU_DEP_1)
	v_clz_i32_u32_e32 v6, v32
	v_min_u32_e32 v6, 32, v6
	s_delay_alu instid0(VALU_DEP_1) | instskip(NEXT) | instid1(VALU_DEP_1)
	v_subrev_nc_u32_e32 v8, 28, v6
	v_lshlrev_b64_e32 v[0:1], v8, v[32:33]
	s_delay_alu instid0(VALU_DEP_1)
	v_dual_sub_nc_u32 v6, 29, v6 :: v_dual_bitop2_b32 v32, 7, v0 bitop3:0x40
; %bb.943:                              ;   in Loop: Header=BB212_15 Depth=1
	s_or_b32 exec_lo, exec_lo, s17
	s_delay_alu instid0(VALU_DEP_1) | instskip(NEXT) | instid1(VALU_DEP_2)
	v_dual_lshlrev_b32 v7, 24, v7 :: v_dual_lshlrev_b32 v0, 20, v32
	v_lshl_add_u32 v6, v6, 23, 0x3c000000
	v_dual_mov_b32 v1, v33 :: v_dual_mov_b32 v54, v33
	s_delay_alu instid0(VALU_DEP_3)
	v_and_b32_e32 v7, 0x80000000, v7
	scratch_store_b64 off, v[0:1], s32 offset:192 ; 8-byte Folded Spill
	v_or3_b32 v55, v0, v7, v6
.LBB212_944:                            ;   in Loop: Header=BB212_15 Depth=1
	s_wait_xcnt 0x0
	s_or_b32 exec_lo, exec_lo, s16
.LBB212_945:                            ;   in Loop: Header=BB212_15 Depth=1
	s_delay_alu instid0(SALU_CYCLE_1)
	s_or_b32 exec_lo, exec_lo, s15
.LBB212_946:                            ;   in Loop: Header=BB212_15 Depth=1
	s_delay_alu instid0(SALU_CYCLE_1)
	s_or_b32 exec_lo, exec_lo, s14
	flat_load_b32 v6, v[68:69] offset:3588
	v_mov_b64_e32 v[50:51], 0
	v_mov_b64_e32 v[38:39], 0
	s_mov_b32 s14, exec_lo
	s_wait_loadcnt_dscnt 0x0
	v_and_b32_e32 v0, 0xff, v6
	s_wait_xcnt 0x0
	s_delay_alu instid0(VALU_DEP_1)
	v_cmpx_ne_u16_e32 0, v0
	s_cbranch_execz .LBB212_954
; %bb.947:                              ;   in Loop: Header=BB212_15 Depth=1
	v_mov_b64_e32 v[38:39], 0x80000000
	s_mov_b32 s15, exec_lo
	v_cmpx_ne_u16_e32 0x80, v0
	s_cbranch_execz .LBB212_953
; %bb.948:                              ;   in Loop: Header=BB212_15 Depth=1
	v_mov_b64_e32 v[38:39], 0x7f800001
	v_and_b32_e32 v8, 0x7f, v6
	s_mov_b32 s16, exec_lo
	s_delay_alu instid0(VALU_DEP_1)
	v_cmpx_ne_u32_e32 0x7f, v8
	s_cbranch_execz .LBB212_952
; %bb.949:                              ;   in Loop: Header=BB212_15 Depth=1
	scratch_load_b64 v[38:39], off, s32 offset:192 th:TH_LOAD_LU ; 8-byte Folded Reload
	s_wait_loadcnt 0x0
	v_dual_lshrrev_b32 v7, 3, v8 :: v_dual_bitop2_b32 v38, 7, v6 bitop3:0x40
	s_mov_b32 s17, exec_lo
	s_wait_xcnt 0x0
	v_cmpx_gt_u32_e32 8, v8
; %bb.950:                              ;   in Loop: Header=BB212_15 Depth=1
	s_delay_alu instid0(VALU_DEP_2) | instskip(NEXT) | instid1(VALU_DEP_1)
	v_clz_i32_u32_e32 v7, v38
	v_min_u32_e32 v7, 32, v7
	s_delay_alu instid0(VALU_DEP_1) | instskip(NEXT) | instid1(VALU_DEP_1)
	v_subrev_nc_u32_e32 v8, 28, v7
	v_lshlrev_b64_e32 v[48:49], v8, v[38:39]
	s_delay_alu instid0(VALU_DEP_1)
	v_dual_sub_nc_u32 v7, 29, v7 :: v_dual_bitop2_b32 v38, 7, v48 bitop3:0x40
; %bb.951:                              ;   in Loop: Header=BB212_15 Depth=1
	s_or_b32 exec_lo, exec_lo, s17
	v_dual_mov_b32 v1, v39 :: v_dual_lshlrev_b32 v8, 24, v6
	s_delay_alu instid0(VALU_DEP_2) | instskip(NEXT) | instid1(VALU_DEP_3)
	v_lshlrev_b32_e32 v0, 20, v38
	v_lshl_add_u32 v7, v7, 23, 0x3c000000
	s_delay_alu instid0(VALU_DEP_3)
	v_and_b32_e32 v8, 0x80000000, v8
	scratch_store_b64 off, v[0:1], s32 offset:192 ; 8-byte Folded Spill
	v_or3_b32 v38, v0, v8, v7
.LBB212_952:                            ;   in Loop: Header=BB212_15 Depth=1
	s_wait_xcnt 0x0
	s_or_b32 exec_lo, exec_lo, s16
.LBB212_953:                            ;   in Loop: Header=BB212_15 Depth=1
	s_delay_alu instid0(SALU_CYCLE_1)
	s_or_b32 exec_lo, exec_lo, s15
.LBB212_954:                            ;   in Loop: Header=BB212_15 Depth=1
	s_delay_alu instid0(SALU_CYCLE_1) | instskip(SKIP_2) | instid1(VALU_DEP_1)
	s_or_b32 exec_lo, exec_lo, s14
	v_lshrrev_b16 v0, 8, v6
	s_mov_b32 s14, exec_lo
	v_cmpx_ne_u16_e32 0, v0
	s_cbranch_execz .LBB212_962
; %bb.955:                              ;   in Loop: Header=BB212_15 Depth=1
	v_mov_b64_e32 v[50:51], 0x8000000000000000
	s_mov_b32 s15, exec_lo
	v_cmpx_ne_u16_e32 0x80, v0
	s_cbranch_execz .LBB212_961
; %bb.956:                              ;   in Loop: Header=BB212_15 Depth=1
	v_and_b32_e32 v0, 0xffff, v0
	v_mov_b64_e32 v[50:51], 0x7f80000100000000
	s_mov_b32 s16, exec_lo
	s_delay_alu instid0(VALU_DEP_2) | instskip(NEXT) | instid1(VALU_DEP_1)
	v_and_b32_e32 v8, 0x7f, v0
	v_cmpx_ne_u32_e32 0x7f, v8
	s_cbranch_execz .LBB212_960
; %bb.957:                              ;   in Loop: Header=BB212_15 Depth=1
	scratch_load_b64 v[32:33], off, s32 offset:192 th:TH_LOAD_LU ; 8-byte Folded Reload
	s_wait_loadcnt 0x0
	v_and_b32_e32 v32, 7, v0
	v_lshrrev_b32_e32 v7, 3, v8
	s_mov_b32 s17, exec_lo
	s_wait_xcnt 0x0
	v_cmpx_gt_u32_e32 8, v8
; %bb.958:                              ;   in Loop: Header=BB212_15 Depth=1
	v_clz_i32_u32_e32 v7, v32
	s_delay_alu instid0(VALU_DEP_1) | instskip(NEXT) | instid1(VALU_DEP_1)
	v_min_u32_e32 v7, 32, v7
	v_subrev_nc_u32_e32 v8, 28, v7
	s_delay_alu instid0(VALU_DEP_1) | instskip(NEXT) | instid1(VALU_DEP_1)
	v_lshlrev_b64_e32 v[0:1], v8, v[32:33]
	v_dual_sub_nc_u32 v7, 29, v7 :: v_dual_bitop2_b32 v32, 7, v0 bitop3:0x40
; %bb.959:                              ;   in Loop: Header=BB212_15 Depth=1
	s_or_b32 exec_lo, exec_lo, s17
	s_delay_alu instid0(VALU_DEP_1) | instskip(NEXT) | instid1(VALU_DEP_2)
	v_dual_lshlrev_b32 v8, 16, v6 :: v_dual_lshlrev_b32 v0, 20, v32
	v_lshl_add_u32 v7, v7, 23, 0x3c000000
	v_dual_mov_b32 v1, v33 :: v_dual_mov_b32 v50, v33
	s_delay_alu instid0(VALU_DEP_3)
	v_and_b32_e32 v8, 0x80000000, v8
	scratch_store_b64 off, v[0:1], s32 offset:192 ; 8-byte Folded Spill
	v_or3_b32 v51, v0, v8, v7
.LBB212_960:                            ;   in Loop: Header=BB212_15 Depth=1
	s_wait_xcnt 0x0
	s_or_b32 exec_lo, exec_lo, s16
.LBB212_961:                            ;   in Loop: Header=BB212_15 Depth=1
	s_delay_alu instid0(SALU_CYCLE_1)
	s_or_b32 exec_lo, exec_lo, s15
.LBB212_962:                            ;   in Loop: Header=BB212_15 Depth=1
	s_delay_alu instid0(SALU_CYCLE_1) | instskip(SKIP_4) | instid1(VALU_DEP_3)
	s_or_b32 exec_lo, exec_lo, s14
	v_lshrrev_b32_e32 v7, 16, v6
	v_mov_b64_e32 v[48:49], 0
	v_mov_b64_e32 v[66:67], 0
	s_mov_b32 s14, exec_lo
	v_and_b32_e32 v0, 0xff, v7
	s_delay_alu instid0(VALU_DEP_1)
	v_cmpx_ne_u16_e32 0, v0
	s_cbranch_execz .LBB212_970
; %bb.963:                              ;   in Loop: Header=BB212_15 Depth=1
	v_mov_b64_e32 v[66:67], 0x80000000
	s_mov_b32 s15, exec_lo
	v_cmpx_ne_u16_e32 0x80, v0
	s_cbranch_execz .LBB212_969
; %bb.964:                              ;   in Loop: Header=BB212_15 Depth=1
	v_mov_b64_e32 v[66:67], 0x7f800001
	v_bfe_u32 v29, v6, 16, 7
	s_mov_b32 s16, exec_lo
	s_delay_alu instid0(VALU_DEP_1)
	v_cmpx_ne_u32_e32 0x7f, v29
	s_cbranch_execz .LBB212_968
; %bb.965:                              ;   in Loop: Header=BB212_15 Depth=1
	scratch_load_b64 v[66:67], off, s32 offset:192 th:TH_LOAD_LU ; 8-byte Folded Reload
	s_wait_loadcnt 0x0
	v_dual_lshrrev_b32 v8, 3, v29 :: v_dual_bitop2_b32 v66, 7, v7 bitop3:0x40
	s_mov_b32 s17, exec_lo
	s_wait_xcnt 0x0
	v_cmpx_gt_u32_e32 8, v29
; %bb.966:                              ;   in Loop: Header=BB212_15 Depth=1
	s_delay_alu instid0(VALU_DEP_2) | instskip(NEXT) | instid1(VALU_DEP_1)
	v_clz_i32_u32_e32 v8, v66
	v_min_u32_e32 v8, 32, v8
	s_delay_alu instid0(VALU_DEP_1) | instskip(SKIP_1) | instid1(VALU_DEP_2)
	v_subrev_nc_u32_e32 v9, 28, v8
	v_sub_nc_u32_e32 v8, 29, v8
	v_lshlrev_b64_e32 v[52:53], v9, v[66:67]
	s_delay_alu instid0(VALU_DEP_1)
	v_and_b32_e32 v66, 7, v52
; %bb.967:                              ;   in Loop: Header=BB212_15 Depth=1
	s_or_b32 exec_lo, exec_lo, s17
	s_delay_alu instid0(VALU_DEP_1) | instskip(SKIP_2) | instid1(VALU_DEP_3)
	v_dual_lshlrev_b32 v7, 24, v7 :: v_dual_lshlrev_b32 v0, 20, v66
	v_lshl_add_u32 v8, v8, 23, 0x3c000000
	v_mov_b32_e32 v1, v67
	v_and_b32_e32 v7, 0x80000000, v7
	scratch_store_b64 off, v[0:1], s32 offset:192 ; 8-byte Folded Spill
	v_or3_b32 v66, v0, v7, v8
.LBB212_968:                            ;   in Loop: Header=BB212_15 Depth=1
	s_wait_xcnt 0x0
	s_or_b32 exec_lo, exec_lo, s16
.LBB212_969:                            ;   in Loop: Header=BB212_15 Depth=1
	s_delay_alu instid0(SALU_CYCLE_1)
	s_or_b32 exec_lo, exec_lo, s15
.LBB212_970:                            ;   in Loop: Header=BB212_15 Depth=1
	s_delay_alu instid0(SALU_CYCLE_1) | instskip(NEXT) | instid1(SALU_CYCLE_1)
	s_or_b32 exec_lo, exec_lo, s14
	s_mov_b32 s14, exec_lo
	v_cmpx_lt_u32_e32 0xffffff, v6
	s_cbranch_execz .LBB212_978
; %bb.971:                              ;   in Loop: Header=BB212_15 Depth=1
	v_mov_b64_e32 v[48:49], 0x8000000000000000
	v_lshrrev_b32_e32 v7, 24, v6
	s_mov_b32 s15, exec_lo
	s_delay_alu instid0(VALU_DEP_1)
	v_cmpx_ne_u32_e32 0x80, v7
	s_cbranch_execz .LBB212_977
; %bb.972:                              ;   in Loop: Header=BB212_15 Depth=1
	v_mov_b64_e32 v[48:49], 0x7f80000100000000
	v_bfe_u32 v8, v6, 24, 7
	s_mov_b32 s16, exec_lo
	s_delay_alu instid0(VALU_DEP_1)
	v_cmpx_ne_u32_e32 0x7f, v8
	s_cbranch_execz .LBB212_976
; %bb.973:                              ;   in Loop: Header=BB212_15 Depth=1
	scratch_load_b64 v[0:1], off, s32 offset:192 th:TH_LOAD_LU ; 8-byte Folded Reload
	s_wait_loadcnt 0x0
	v_dual_lshrrev_b32 v6, 3, v8 :: v_dual_bitop2_b32 v0, 7, v7 bitop3:0x40
	s_mov_b32 s17, exec_lo
	s_wait_xcnt 0x0
	v_cmpx_gt_u32_e32 8, v8
; %bb.974:                              ;   in Loop: Header=BB212_15 Depth=1
	s_delay_alu instid0(VALU_DEP_2) | instskip(NEXT) | instid1(VALU_DEP_1)
	v_clz_i32_u32_e32 v6, v0
	v_min_u32_e32 v6, 32, v6
	s_delay_alu instid0(VALU_DEP_1) | instskip(NEXT) | instid1(VALU_DEP_1)
	v_subrev_nc_u32_e32 v8, 28, v6
	v_lshlrev_b64_e32 v[48:49], v8, v[0:1]
	s_delay_alu instid0(VALU_DEP_1)
	v_dual_sub_nc_u32 v6, 29, v6 :: v_dual_bitop2_b32 v0, 7, v48 bitop3:0x40
; %bb.975:                              ;   in Loop: Header=BB212_15 Depth=1
	s_or_b32 exec_lo, exec_lo, s17
	s_delay_alu instid0(VALU_DEP_1) | instskip(NEXT) | instid1(VALU_DEP_2)
	v_dual_lshlrev_b32 v7, 24, v7 :: v_dual_lshlrev_b32 v0, 20, v0
	v_lshl_add_u32 v6, v6, 23, 0x3c000000
	v_mov_b32_e32 v48, v1
	s_delay_alu instid0(VALU_DEP_3) | instskip(NEXT) | instid1(VALU_DEP_1)
	v_and_b32_e32 v7, 0x80000000, v7
	v_or3_b32 v49, v0, v7, v6
	v_mov_b32_e32 v7, v1
	scratch_store_b64 off, v[6:7], s32 offset:192 ; 8-byte Folded Spill
.LBB212_976:                            ;   in Loop: Header=BB212_15 Depth=1
	s_wait_xcnt 0x0
	s_or_b32 exec_lo, exec_lo, s16
.LBB212_977:                            ;   in Loop: Header=BB212_15 Depth=1
	s_delay_alu instid0(SALU_CYCLE_1)
	s_or_b32 exec_lo, exec_lo, s15
.LBB212_978:                            ;   in Loop: Header=BB212_15 Depth=1
	s_delay_alu instid0(SALU_CYCLE_1)
	s_or_b32 exec_lo, exec_lo, s14
	flat_load_b32 v6, v[68:69] offset:3592
	v_mov_b64_e32 v[32:33], 0
	v_mov_b64_e32 v[80:81], 0
	s_mov_b32 s14, exec_lo
	s_wait_loadcnt_dscnt 0x0
	v_and_b32_e32 v0, 0xff, v6
	s_wait_xcnt 0x0
	s_delay_alu instid0(VALU_DEP_1)
	v_cmpx_ne_u16_e32 0, v0
	s_cbranch_execz .LBB212_986
; %bb.979:                              ;   in Loop: Header=BB212_15 Depth=1
	v_mov_b64_e32 v[80:81], 0x80000000
	s_mov_b32 s15, exec_lo
	v_cmpx_ne_u16_e32 0x80, v0
	s_cbranch_execz .LBB212_985
; %bb.980:                              ;   in Loop: Header=BB212_15 Depth=1
	v_mov_b64_e32 v[80:81], 0x7f800001
	v_and_b32_e32 v8, 0x7f, v6
	s_mov_b32 s16, exec_lo
	s_delay_alu instid0(VALU_DEP_1)
	v_cmpx_ne_u32_e32 0x7f, v8
	s_cbranch_execz .LBB212_984
; %bb.981:                              ;   in Loop: Header=BB212_15 Depth=1
	scratch_load_b64 v[80:81], off, s32 offset:192 th:TH_LOAD_LU ; 8-byte Folded Reload
	s_wait_loadcnt 0x0
	v_dual_lshrrev_b32 v7, 3, v8 :: v_dual_bitop2_b32 v80, 7, v6 bitop3:0x40
	s_mov_b32 s17, exec_lo
	s_wait_xcnt 0x0
	v_cmpx_gt_u32_e32 8, v8
; %bb.982:                              ;   in Loop: Header=BB212_15 Depth=1
	s_delay_alu instid0(VALU_DEP_2) | instskip(NEXT) | instid1(VALU_DEP_1)
	v_clz_i32_u32_e32 v7, v80
	v_min_u32_e32 v7, 32, v7
	s_delay_alu instid0(VALU_DEP_1) | instskip(NEXT) | instid1(VALU_DEP_1)
	v_subrev_nc_u32_e32 v8, 28, v7
	v_lshlrev_b64_e32 v[64:65], v8, v[80:81]
	s_delay_alu instid0(VALU_DEP_1)
	v_dual_sub_nc_u32 v7, 29, v7 :: v_dual_bitop2_b32 v80, 7, v64 bitop3:0x40
; %bb.983:                              ;   in Loop: Header=BB212_15 Depth=1
	s_or_b32 exec_lo, exec_lo, s17
	s_delay_alu instid0(VALU_DEP_1) | instskip(NEXT) | instid1(VALU_DEP_2)
	v_dual_lshlrev_b32 v8, 24, v6 :: v_dual_lshlrev_b32 v0, 20, v80
	v_lshl_add_u32 v7, v7, 23, 0x3c000000
	v_mov_b32_e32 v1, v81
	s_delay_alu instid0(VALU_DEP_3)
	v_and_b32_e32 v8, 0x80000000, v8
	scratch_store_b64 off, v[0:1], s32 offset:192 ; 8-byte Folded Spill
	v_or3_b32 v80, v0, v8, v7
.LBB212_984:                            ;   in Loop: Header=BB212_15 Depth=1
	s_wait_xcnt 0x0
	s_or_b32 exec_lo, exec_lo, s16
.LBB212_985:                            ;   in Loop: Header=BB212_15 Depth=1
	s_delay_alu instid0(SALU_CYCLE_1)
	s_or_b32 exec_lo, exec_lo, s15
.LBB212_986:                            ;   in Loop: Header=BB212_15 Depth=1
	s_delay_alu instid0(SALU_CYCLE_1) | instskip(SKIP_2) | instid1(VALU_DEP_1)
	s_or_b32 exec_lo, exec_lo, s14
	v_lshrrev_b16 v0, 8, v6
	s_mov_b32 s14, exec_lo
	v_cmpx_ne_u16_e32 0, v0
	s_cbranch_execz .LBB212_994
; %bb.987:                              ;   in Loop: Header=BB212_15 Depth=1
	v_mov_b64_e32 v[32:33], 0x8000000000000000
	s_mov_b32 s15, exec_lo
	v_cmpx_ne_u16_e32 0x80, v0
	s_cbranch_execz .LBB212_993
; %bb.988:                              ;   in Loop: Header=BB212_15 Depth=1
	v_and_b32_e32 v0, 0xffff, v0
	v_mov_b64_e32 v[32:33], 0x7f80000100000000
	s_mov_b32 s16, exec_lo
	s_delay_alu instid0(VALU_DEP_2) | instskip(NEXT) | instid1(VALU_DEP_1)
	v_and_b32_e32 v8, 0x7f, v0
	v_cmpx_ne_u32_e32 0x7f, v8
	s_cbranch_execz .LBB212_992
; %bb.989:                              ;   in Loop: Header=BB212_15 Depth=1
	scratch_load_b64 v[32:33], off, s32 offset:192 th:TH_LOAD_LU ; 8-byte Folded Reload
	v_lshrrev_b32_e32 v7, 3, v8
	s_mov_b32 s17, exec_lo
	s_wait_loadcnt 0x0
	v_dual_mov_b32 v1, v33 :: v_dual_bitop2_b32 v0, 7, v0 bitop3:0x40
	s_wait_xcnt 0x0
	v_cmpx_gt_u32_e32 8, v8
; %bb.990:                              ;   in Loop: Header=BB212_15 Depth=1
	s_delay_alu instid0(VALU_DEP_2) | instskip(NEXT) | instid1(VALU_DEP_1)
	v_clz_i32_u32_e32 v7, v0
	v_min_u32_e32 v7, 32, v7
	s_delay_alu instid0(VALU_DEP_1) | instskip(NEXT) | instid1(VALU_DEP_1)
	v_subrev_nc_u32_e32 v8, 28, v7
	v_lshlrev_b64_e32 v[52:53], v8, v[0:1]
	s_delay_alu instid0(VALU_DEP_1)
	v_dual_sub_nc_u32 v7, 29, v7 :: v_dual_bitop2_b32 v0, 7, v52 bitop3:0x40
; %bb.991:                              ;   in Loop: Header=BB212_15 Depth=1
	s_or_b32 exec_lo, exec_lo, s17
	s_delay_alu instid0(VALU_DEP_1) | instskip(NEXT) | instid1(VALU_DEP_2)
	v_dual_lshlrev_b32 v8, 16, v6 :: v_dual_lshlrev_b32 v0, 20, v0
	v_lshl_add_u32 v7, v7, 23, 0x3c000000
	v_mov_b32_e32 v32, v1
	s_delay_alu instid0(VALU_DEP_3) | instskip(NEXT) | instid1(VALU_DEP_1)
	v_and_b32_e32 v8, 0x80000000, v8
	v_or3_b32 v33, v0, v8, v7
	v_mov_b32_e32 v7, v1
	scratch_store_b64 off, v[6:7], s32 offset:192 ; 8-byte Folded Spill
.LBB212_992:                            ;   in Loop: Header=BB212_15 Depth=1
	s_wait_xcnt 0x0
	s_or_b32 exec_lo, exec_lo, s16
.LBB212_993:                            ;   in Loop: Header=BB212_15 Depth=1
	s_delay_alu instid0(SALU_CYCLE_1)
	s_or_b32 exec_lo, exec_lo, s15
.LBB212_994:                            ;   in Loop: Header=BB212_15 Depth=1
	s_delay_alu instid0(SALU_CYCLE_1) | instskip(SKIP_4) | instid1(VALU_DEP_3)
	s_or_b32 exec_lo, exec_lo, s14
	v_lshrrev_b32_e32 v7, 16, v6
	v_mov_b64_e32 v[84:85], 0
	v_mov_b64_e32 v[70:71], 0
	s_mov_b32 s14, exec_lo
	v_and_b32_e32 v0, 0xff, v7
	s_delay_alu instid0(VALU_DEP_1)
	v_cmpx_ne_u16_e32 0, v0
	s_cbranch_execz .LBB212_1002
; %bb.995:                              ;   in Loop: Header=BB212_15 Depth=1
	v_mov_b64_e32 v[70:71], 0x80000000
	s_mov_b32 s15, exec_lo
	v_cmpx_ne_u16_e32 0x80, v0
	s_cbranch_execz .LBB212_1001
; %bb.996:                              ;   in Loop: Header=BB212_15 Depth=1
	v_mov_b64_e32 v[70:71], 0x7f800001
	v_bfe_u32 v29, v6, 16, 7
	s_mov_b32 s16, exec_lo
	s_delay_alu instid0(VALU_DEP_1)
	v_cmpx_ne_u32_e32 0x7f, v29
	s_cbranch_execz .LBB212_1000
; %bb.997:                              ;   in Loop: Header=BB212_15 Depth=1
	scratch_load_b64 v[70:71], off, s32 offset:192 th:TH_LOAD_LU ; 8-byte Folded Reload
	s_wait_loadcnt 0x0
	v_dual_lshrrev_b32 v8, 3, v29 :: v_dual_bitop2_b32 v70, 7, v7 bitop3:0x40
	s_mov_b32 s17, exec_lo
	s_wait_xcnt 0x0
	v_cmpx_gt_u32_e32 8, v29
; %bb.998:                              ;   in Loop: Header=BB212_15 Depth=1
	s_delay_alu instid0(VALU_DEP_2) | instskip(NEXT) | instid1(VALU_DEP_1)
	v_clz_i32_u32_e32 v8, v70
	v_min_u32_e32 v8, 32, v8
	s_delay_alu instid0(VALU_DEP_1) | instskip(SKIP_1) | instid1(VALU_DEP_2)
	v_subrev_nc_u32_e32 v9, 28, v8
	v_sub_nc_u32_e32 v8, 29, v8
	v_lshlrev_b64_e32 v[64:65], v9, v[70:71]
	s_delay_alu instid0(VALU_DEP_1)
	v_and_b32_e32 v70, 7, v64
; %bb.999:                              ;   in Loop: Header=BB212_15 Depth=1
	s_or_b32 exec_lo, exec_lo, s17
	s_delay_alu instid0(VALU_DEP_1) | instskip(SKIP_2) | instid1(VALU_DEP_3)
	v_dual_lshlrev_b32 v7, 24, v7 :: v_dual_lshlrev_b32 v0, 20, v70
	v_lshl_add_u32 v8, v8, 23, 0x3c000000
	v_mov_b32_e32 v1, v71
	v_and_b32_e32 v7, 0x80000000, v7
	scratch_store_b64 off, v[0:1], s32 offset:192 ; 8-byte Folded Spill
	v_or3_b32 v70, v0, v7, v8
.LBB212_1000:                           ;   in Loop: Header=BB212_15 Depth=1
	s_wait_xcnt 0x0
	s_or_b32 exec_lo, exec_lo, s16
.LBB212_1001:                           ;   in Loop: Header=BB212_15 Depth=1
	s_delay_alu instid0(SALU_CYCLE_1)
	s_or_b32 exec_lo, exec_lo, s15
.LBB212_1002:                           ;   in Loop: Header=BB212_15 Depth=1
	s_delay_alu instid0(SALU_CYCLE_1) | instskip(NEXT) | instid1(SALU_CYCLE_1)
	s_or_b32 exec_lo, exec_lo, s14
	s_mov_b32 s14, exec_lo
	v_cmpx_lt_u32_e32 0xffffff, v6
	s_cbranch_execz .LBB212_1010
; %bb.1003:                             ;   in Loop: Header=BB212_15 Depth=1
	v_mov_b64_e32 v[84:85], 0x8000000000000000
	v_lshrrev_b32_e32 v7, 24, v6
	s_mov_b32 s15, exec_lo
	s_delay_alu instid0(VALU_DEP_1)
	v_cmpx_ne_u32_e32 0x80, v7
	s_cbranch_execz .LBB212_1009
; %bb.1004:                             ;   in Loop: Header=BB212_15 Depth=1
	v_mov_b64_e32 v[84:85], 0x7f80000100000000
	v_bfe_u32 v8, v6, 24, 7
	s_mov_b32 s16, exec_lo
	s_delay_alu instid0(VALU_DEP_1)
	v_cmpx_ne_u32_e32 0x7f, v8
	s_cbranch_execz .LBB212_1008
; %bb.1005:                             ;   in Loop: Header=BB212_15 Depth=1
	scratch_load_b64 v[0:1], off, s32 offset:192 th:TH_LOAD_LU ; 8-byte Folded Reload
	s_wait_loadcnt 0x0
	v_dual_lshrrev_b32 v6, 3, v8 :: v_dual_bitop2_b32 v0, 7, v7 bitop3:0x40
	s_mov_b32 s17, exec_lo
	s_wait_xcnt 0x0
	v_cmpx_gt_u32_e32 8, v8
; %bb.1006:                             ;   in Loop: Header=BB212_15 Depth=1
	s_delay_alu instid0(VALU_DEP_2) | instskip(NEXT) | instid1(VALU_DEP_1)
	v_clz_i32_u32_e32 v6, v0
	v_min_u32_e32 v6, 32, v6
	s_delay_alu instid0(VALU_DEP_1) | instskip(NEXT) | instid1(VALU_DEP_1)
	v_subrev_nc_u32_e32 v8, 28, v6
	v_lshlrev_b64_e32 v[64:65], v8, v[0:1]
	s_delay_alu instid0(VALU_DEP_1)
	v_dual_sub_nc_u32 v6, 29, v6 :: v_dual_bitop2_b32 v0, 7, v64 bitop3:0x40
; %bb.1007:                             ;   in Loop: Header=BB212_15 Depth=1
	s_or_b32 exec_lo, exec_lo, s17
	s_delay_alu instid0(VALU_DEP_1) | instskip(NEXT) | instid1(VALU_DEP_2)
	v_dual_lshlrev_b32 v7, 24, v7 :: v_dual_lshlrev_b32 v0, 20, v0
	v_lshl_add_u32 v6, v6, 23, 0x3c000000
	v_mov_b32_e32 v84, v1
	s_delay_alu instid0(VALU_DEP_3) | instskip(NEXT) | instid1(VALU_DEP_1)
	v_and_b32_e32 v7, 0x80000000, v7
	v_or3_b32 v85, v0, v7, v6
	v_mov_b32_e32 v7, v1
	scratch_store_b64 off, v[6:7], s32 offset:192 ; 8-byte Folded Spill
.LBB212_1008:                           ;   in Loop: Header=BB212_15 Depth=1
	s_wait_xcnt 0x0
	s_or_b32 exec_lo, exec_lo, s16
.LBB212_1009:                           ;   in Loop: Header=BB212_15 Depth=1
	s_delay_alu instid0(SALU_CYCLE_1)
	s_or_b32 exec_lo, exec_lo, s15
.LBB212_1010:                           ;   in Loop: Header=BB212_15 Depth=1
	s_delay_alu instid0(SALU_CYCLE_1)
	s_or_b32 exec_lo, exec_lo, s14
	flat_load_b32 v29, v[68:69] offset:3596
	v_mov_b64_e32 v[36:37], 0
	v_mov_b64_e32 v[64:65], 0
	s_mov_b32 s14, exec_lo
	s_wait_loadcnt_dscnt 0x0
	v_and_b32_e32 v0, 0xff, v29
	s_wait_xcnt 0x0
	s_delay_alu instid0(VALU_DEP_1)
	v_cmpx_ne_u16_e32 0, v0
	s_cbranch_execz .LBB212_1018
; %bb.1011:                             ;   in Loop: Header=BB212_15 Depth=1
	v_mov_b64_e32 v[64:65], 0x80000000
	s_mov_b32 s15, exec_lo
	v_cmpx_ne_u16_e32 0x80, v0
	s_cbranch_execz .LBB212_1017
; %bb.1012:                             ;   in Loop: Header=BB212_15 Depth=1
	v_mov_b64_e32 v[64:65], 0x7f800001
	v_and_b32_e32 v7, 0x7f, v29
	s_mov_b32 s16, exec_lo
	s_delay_alu instid0(VALU_DEP_1)
	v_cmpx_ne_u32_e32 0x7f, v7
	s_cbranch_execz .LBB212_1016
; %bb.1013:                             ;   in Loop: Header=BB212_15 Depth=1
	scratch_load_b64 v[0:1], off, s32 offset:192 th:TH_LOAD_LU ; 8-byte Folded Reload
	s_wait_loadcnt 0x0
	v_dual_lshrrev_b32 v6, 3, v7 :: v_dual_bitop2_b32 v0, 7, v29 bitop3:0x40
	s_mov_b32 s17, exec_lo
	s_wait_xcnt 0x0
	v_cmpx_gt_u32_e32 8, v7
; %bb.1014:                             ;   in Loop: Header=BB212_15 Depth=1
	s_delay_alu instid0(VALU_DEP_2) | instskip(NEXT) | instid1(VALU_DEP_1)
	v_clz_i32_u32_e32 v6, v0
	v_min_u32_e32 v6, 32, v6
	s_delay_alu instid0(VALU_DEP_1) | instskip(NEXT) | instid1(VALU_DEP_1)
	v_subrev_nc_u32_e32 v7, 28, v6
	v_lshlrev_b64_e32 v[64:65], v7, v[0:1]
	s_delay_alu instid0(VALU_DEP_1)
	v_dual_sub_nc_u32 v6, 29, v6 :: v_dual_bitop2_b32 v0, 7, v64 bitop3:0x40
; %bb.1015:                             ;   in Loop: Header=BB212_15 Depth=1
	s_or_b32 exec_lo, exec_lo, s17
	s_delay_alu instid0(VALU_DEP_1) | instskip(NEXT) | instid1(VALU_DEP_2)
	v_dual_lshlrev_b32 v7, 24, v29 :: v_dual_lshlrev_b32 v0, 20, v0
	v_lshl_add_u32 v6, v6, 23, 0x3c000000
	s_delay_alu instid0(VALU_DEP_2) | instskip(NEXT) | instid1(VALU_DEP_1)
	v_and_b32_e32 v7, 0x80000000, v7
	v_or3_b32 v0, v0, v7, v6
	v_mov_b32_e32 v7, v1
	s_delay_alu instid0(VALU_DEP_2)
	v_mov_b64_e32 v[64:65], v[0:1]
	scratch_store_b64 off, v[6:7], s32 offset:192 ; 8-byte Folded Spill
.LBB212_1016:                           ;   in Loop: Header=BB212_15 Depth=1
	s_wait_xcnt 0x0
	s_or_b32 exec_lo, exec_lo, s16
.LBB212_1017:                           ;   in Loop: Header=BB212_15 Depth=1
	s_delay_alu instid0(SALU_CYCLE_1)
	s_or_b32 exec_lo, exec_lo, s15
.LBB212_1018:                           ;   in Loop: Header=BB212_15 Depth=1
	s_delay_alu instid0(SALU_CYCLE_1) | instskip(SKIP_2) | instid1(VALU_DEP_1)
	s_or_b32 exec_lo, exec_lo, s14
	v_lshrrev_b16 v0, 8, v29
	s_mov_b32 s14, exec_lo
	v_cmpx_ne_u16_e32 0, v0
	s_cbranch_execz .LBB212_1026
; %bb.1019:                             ;   in Loop: Header=BB212_15 Depth=1
	v_mov_b64_e32 v[36:37], 0x8000000000000000
	s_mov_b32 s15, exec_lo
	v_cmpx_ne_u16_e32 0x80, v0
	s_cbranch_execz .LBB212_1025
; %bb.1020:                             ;   in Loop: Header=BB212_15 Depth=1
	v_and_b32_e32 v0, 0xffff, v0
	v_mov_b64_e32 v[36:37], 0x7f80000100000000
	s_mov_b32 s16, exec_lo
	s_delay_alu instid0(VALU_DEP_2) | instskip(NEXT) | instid1(VALU_DEP_1)
	v_and_b32_e32 v7, 0x7f, v0
	v_cmpx_ne_u32_e32 0x7f, v7
	s_cbranch_execz .LBB212_1024
; %bb.1021:                             ;   in Loop: Header=BB212_15 Depth=1
	scratch_load_b64 v[8:9], off, s32 offset:192 th:TH_LOAD_LU ; 8-byte Folded Reload
	v_lshrrev_b32_e32 v6, 3, v7
	s_mov_b32 s17, exec_lo
	s_wait_loadcnt 0x0
	v_dual_mov_b32 v1, v9 :: v_dual_bitop2_b32 v0, 7, v0 bitop3:0x40
	s_wait_xcnt 0x0
	v_cmpx_gt_u32_e32 8, v7
; %bb.1022:                             ;   in Loop: Header=BB212_15 Depth=1
	s_delay_alu instid0(VALU_DEP_2) | instskip(NEXT) | instid1(VALU_DEP_1)
	v_clz_i32_u32_e32 v6, v0
	v_min_u32_e32 v6, 32, v6
	s_delay_alu instid0(VALU_DEP_1) | instskip(NEXT) | instid1(VALU_DEP_1)
	v_subrev_nc_u32_e32 v7, 28, v6
	v_lshlrev_b64_e32 v[68:69], v7, v[0:1]
	s_delay_alu instid0(VALU_DEP_1)
	v_dual_sub_nc_u32 v6, 29, v6 :: v_dual_bitop2_b32 v0, 7, v68 bitop3:0x40
; %bb.1023:                             ;   in Loop: Header=BB212_15 Depth=1
	s_or_b32 exec_lo, exec_lo, s17
	s_delay_alu instid0(VALU_DEP_1) | instskip(NEXT) | instid1(VALU_DEP_2)
	v_dual_lshlrev_b32 v7, 16, v29 :: v_dual_lshlrev_b32 v0, 20, v0
	v_lshl_add_u32 v6, v6, 23, 0x3c000000
	v_mov_b32_e32 v36, v1
	s_delay_alu instid0(VALU_DEP_3) | instskip(NEXT) | instid1(VALU_DEP_1)
	v_and_b32_e32 v7, 0x80000000, v7
	v_or3_b32 v37, v0, v7, v6
	v_mov_b32_e32 v7, v1
	scratch_store_b64 off, v[6:7], s32 offset:192 ; 8-byte Folded Spill
.LBB212_1024:                           ;   in Loop: Header=BB212_15 Depth=1
	s_wait_xcnt 0x0
	s_or_b32 exec_lo, exec_lo, s16
.LBB212_1025:                           ;   in Loop: Header=BB212_15 Depth=1
	s_delay_alu instid0(SALU_CYCLE_1)
	s_or_b32 exec_lo, exec_lo, s15
.LBB212_1026:                           ;   in Loop: Header=BB212_15 Depth=1
	s_delay_alu instid0(SALU_CYCLE_1) | instskip(SKIP_4) | instid1(VALU_DEP_3)
	s_or_b32 exec_lo, exec_lo, s14
	v_lshrrev_b32_e32 v8, 16, v29
	v_mov_b64_e32 v[68:69], 0
	v_mov_b64_e32 v[6:7], 0
	s_mov_b32 s14, exec_lo
	v_and_b32_e32 v0, 0xff, v8
	s_delay_alu instid0(VALU_DEP_1)
	v_cmpx_ne_u16_e32 0, v0
	s_cbranch_execz .LBB212_1034
; %bb.1027:                             ;   in Loop: Header=BB212_15 Depth=1
	v_mov_b64_e32 v[6:7], 0x80000000
	s_mov_b32 s15, exec_lo
	v_cmpx_ne_u16_e32 0x80, v0
	s_cbranch_execz .LBB212_1033
; %bb.1028:                             ;   in Loop: Header=BB212_15 Depth=1
	v_mov_b64_e32 v[6:7], 0x7f800001
	v_bfe_u32 v11, v29, 16, 7
	s_mov_b32 s16, exec_lo
	s_delay_alu instid0(VALU_DEP_1)
	v_cmpx_ne_u32_e32 0x7f, v11
	s_cbranch_execz .LBB212_1032
; %bb.1029:                             ;   in Loop: Header=BB212_15 Depth=1
	scratch_load_b64 v[0:1], off, s32 offset:192 th:TH_LOAD_LU ; 8-byte Folded Reload
	s_wait_loadcnt 0x0
	v_dual_lshrrev_b32 v6, 3, v11 :: v_dual_bitop2_b32 v0, 7, v8 bitop3:0x40
	s_mov_b32 s17, exec_lo
	s_wait_xcnt 0x0
	v_cmpx_gt_u32_e32 8, v11
	s_cbranch_execz .LBB212_1031
; %bb.1030:                             ;   in Loop: Header=BB212_15 Depth=1
	v_clz_i32_u32_e32 v6, v0
	v_mov_b64_e32 v[52:53], v[114:115]
	s_delay_alu instid0(VALU_DEP_2) | instskip(NEXT) | instid1(VALU_DEP_1)
	v_min_u32_e32 v6, 32, v6
	v_subrev_nc_u32_e32 v7, 28, v6
	v_sub_nc_u32_e32 v6, 29, v6
	s_delay_alu instid0(VALU_DEP_2) | instskip(NEXT) | instid1(VALU_DEP_1)
	v_lshlrev_b64_e32 v[114:115], v7, v[0:1]
	v_and_b32_e32 v0, 7, v114
	v_mov_b64_e32 v[114:115], v[52:53]
.LBB212_1031:                           ;   in Loop: Header=BB212_15 Depth=1
	s_or_b32 exec_lo, exec_lo, s17
	v_lshlrev_b32_e32 v7, 24, v8
	s_delay_alu instid0(VALU_DEP_3) | instskip(SKIP_1) | instid1(VALU_DEP_3)
	v_lshlrev_b32_e32 v0, 20, v0
	v_lshl_add_u32 v6, v6, 23, 0x3c000000
	v_and_b32_e32 v7, 0x80000000, v7
	s_delay_alu instid0(VALU_DEP_1)
	v_or3_b32 v0, v0, v7, v6
	v_mov_b32_e32 v7, v1
	scratch_store_b64 off, v[6:7], s32 offset:192 ; 8-byte Folded Spill
	s_wait_xcnt 0x0
	v_mov_b64_e32 v[6:7], v[0:1]
.LBB212_1032:                           ;   in Loop: Header=BB212_15 Depth=1
	s_or_b32 exec_lo, exec_lo, s16
.LBB212_1033:                           ;   in Loop: Header=BB212_15 Depth=1
	s_delay_alu instid0(SALU_CYCLE_1)
	s_or_b32 exec_lo, exec_lo, s15
.LBB212_1034:                           ;   in Loop: Header=BB212_15 Depth=1
	s_delay_alu instid0(SALU_CYCLE_1)
	s_or_b32 exec_lo, exec_lo, s14
	v_mov_b64_e32 v[52:53], v[114:115]
	s_mov_b32 s14, exec_lo
	s_clause 0x2
	scratch_store_b32 off, v34, s32 offset:852
	scratch_store_b64 off, v[10:11], s32 offset:844
	scratch_store_b32 off, v28, s32 offset:840
	s_wait_xcnt 0x0
	v_cmpx_lt_u32_e32 0xffffff, v29
	s_cbranch_execz .LBB212_13
; %bb.1035:                             ;   in Loop: Header=BB212_15 Depth=1
	v_mov_b64_e32 v[68:69], 0x8000000000000000
	v_lshrrev_b32_e32 v8, 24, v29
	s_mov_b32 s15, exec_lo
	s_delay_alu instid0(VALU_DEP_1)
	v_cmpx_ne_u32_e32 0x80, v8
	s_cbranch_execz .LBB212_12
; %bb.1036:                             ;   in Loop: Header=BB212_15 Depth=1
	v_mov_b64_e32 v[68:69], 0x7f80000100000000
	v_bfe_u32 v11, v29, 24, 7
	s_mov_b32 s16, exec_lo
	s_delay_alu instid0(VALU_DEP_1)
	v_cmpx_ne_u32_e32 0x7f, v11
	s_cbranch_execz .LBB212_11
; %bb.1037:                             ;   in Loop: Header=BB212_15 Depth=1
	scratch_load_b64 v[0:1], off, s32 offset:192 th:TH_LOAD_LU ; 8-byte Folded Reload
	s_wait_loadcnt 0x0
	v_dual_lshrrev_b32 v29, 3, v11 :: v_dual_bitop2_b32 v0, 7, v8 bitop3:0x40
	s_mov_b32 s17, exec_lo
	s_wait_xcnt 0x0
	v_cmpx_gt_u32_e32 8, v11
	s_cbranch_execz .LBB212_10
; %bb.1038:                             ;   in Loop: Header=BB212_15 Depth=1
	v_clz_i32_u32_e32 v9, v0
	v_mov_b64_e32 v[34:35], v[96:97]
	s_delay_alu instid0(VALU_DEP_2) | instskip(NEXT) | instid1(VALU_DEP_1)
	v_min_u32_e32 v9, 32, v9
	v_subrev_nc_u32_e32 v10, 28, v9
	s_delay_alu instid0(VALU_DEP_1) | instskip(NEXT) | instid1(VALU_DEP_1)
	v_lshlrev_b64_e32 v[96:97], v10, v[0:1]
	v_dual_sub_nc_u32 v29, 29, v9 :: v_dual_bitop2_b32 v0, 7, v96 bitop3:0x40
	v_mov_b64_e32 v[96:97], v[34:35]
	s_branch .LBB212_10
.LBB212_1039:
	s_or_b32 exec_lo, exec_lo, s9
	scratch_load_b32 v8, off, s32 offset:1604 ; 4-byte Folded Reload
.LBB212_1040:
	s_wait_xcnt 0x0
	s_or_b32 exec_lo, exec_lo, s3
	v_mbcnt_lo_u32_b32 v2, -1, 0
	s_delay_alu instid0(VALU_DEP_1) | instskip(SKIP_1) | instid1(VALU_DEP_2)
	v_dual_max_num_f32 v4, v28, v28 :: v_dual_bitop2_b32 v0, 16, v2 bitop3:0x14
	v_xor_b32_e32 v3, 8, v2
	v_cmp_gt_i32_e32 vcc_lo, 32, v0
	v_cndmask_b32_e32 v0, v2, v0, vcc_lo
	s_delay_alu instid0(VALU_DEP_3) | instskip(NEXT) | instid1(VALU_DEP_2)
	v_cmp_gt_i32_e32 vcc_lo, 32, v3
	v_dual_cndmask_b32 v3, v2, v3 :: v_dual_lshlrev_b32 v0, 2, v0
	ds_bpermute_b32 v1, v0, v28
	s_wait_dscnt 0x0
	v_dual_max_num_f32 v5, v1, v1 :: v_dual_lshlrev_b32 v1, 2, v3
	s_delay_alu instid0(VALU_DEP_1) | instskip(SKIP_4) | instid1(VALU_DEP_1)
	v_dual_max_num_f32 v3, v4, v5 :: v_dual_bitop2_b32 v5, 4, v2 bitop3:0x14
	ds_bpermute_b32 v4, v1, v3
	v_cmp_gt_i32_e32 vcc_lo, 32, v5
	s_wait_dscnt 0x0
	v_dual_cndmask_b32 v5, v2, v5 :: v_dual_max_num_f32 v4, v4, v4
	v_dual_max_num_f32 v3, v3, v4 :: v_dual_lshlrev_b32 v52, 2, v5
	ds_bpermute_b32 v4, v52, v3
	s_wait_dscnt 0x0
	v_dual_max_num_f32 v4, v4, v4 :: v_dual_bitop2_b32 v5, 2, v2 bitop3:0x14
	s_delay_alu instid0(VALU_DEP_1) | instskip(NEXT) | instid1(VALU_DEP_2)
	v_cmp_gt_i32_e32 vcc_lo, 32, v5
	v_dual_max_num_f32 v3, v3, v4 :: v_dual_cndmask_b32 v5, v2, v5, vcc_lo
	s_delay_alu instid0(VALU_DEP_1) | instskip(SKIP_4) | instid1(VALU_DEP_1)
	v_dual_lshlrev_b32 v53, 2, v5 :: v_dual_bitop2_b32 v5, 1, v2 bitop3:0x14
	ds_bpermute_b32 v4, v53, v3
	v_cmp_gt_i32_e32 vcc_lo, 32, v5
	v_cndmask_b32_e32 v5, v2, v5, vcc_lo
	s_wait_dscnt 0x0
	v_dual_max_num_f32 v4, v4, v4 :: v_dual_lshlrev_b32 v43, 2, v5
	s_delay_alu instid0(VALU_DEP_1)
	v_max_num_f32_e32 v2, v3, v4
	scratch_load_b32 v3, off, s32 offset:992 ; 4-byte Folded Reload
	ds_bpermute_b32 v4, v43, v2
	s_wait_loadcnt 0x0
	v_cmp_eq_u32_e32 vcc_lo, 0, v3
	scratch_load_b32 v3, off, s32 offset:1548 ; 4-byte Folded Reload
	s_wait_loadcnt 0x0
	v_lshlrev_b32_e32 v3, 2, v3
	s_wait_xcnt 0x0
	s_and_saveexec_b32 s1, vcc_lo
	s_cbranch_execz .LBB212_1042
; %bb.1041:
	s_wait_dscnt 0x0
	v_dual_max_num_f32 v4, v4, v4 :: v_dual_max_num_f32 v2, v2, v2
	s_delay_alu instid0(VALU_DEP_1)
	v_max_num_f32_e32 v2, v2, v4
	ds_store_b32 v3, v2 offset:512
.LBB212_1042:
	s_or_b32 exec_lo, exec_lo, s1
	scratch_load_b32 v2, off, s32 offset:992 ; 4-byte Folded Reload
	s_wait_storecnt 0x0
	s_wait_loadcnt_dscnt 0x0
	s_barrier_signal -1
	s_barrier_wait -1
	v_cmp_gt_u32_e64 s1, 4, v2
	v_mov_b32_e32 v2, 0xff7fffff
	s_and_saveexec_b32 s2, s1
; %bb.1043:
	ds_load_b32 v2, v8 offset:512
; %bb.1044:
	s_or_b32 exec_lo, exec_lo, s2
	s_wait_dscnt 0x0
	ds_bpermute_b32 v4, v53, v2
	v_max_num_f32_e32 v2, v2, v2
	scratch_load_b64 v[6:7], off, s32 offset:200 ; 8-byte Folded Reload
	s_wait_dscnt 0x0
	v_max_num_f32_e32 v4, v4, v4
	s_delay_alu instid0(VALU_DEP_1) | instskip(SKIP_3) | instid1(VALU_DEP_1)
	v_max_num_f32_e32 v2, v2, v4
	ds_bpermute_b32 v4, v43, v2
	s_wait_dscnt 0x0
	v_max_num_f32_e32 v4, v4, v4
	v_dual_max_num_f32 v2, v2, v4 :: v_dual_mov_b32 v4, 0
	ds_bpermute_b32 v5, v4, v2
	scratch_load_b32 v2, off, s32 offset:208 ; 4-byte Folded Reload
	s_wait_loadcnt 0x0
	v_lshlrev_b32_e32 v2, 5, v2
	s_delay_alu instid0(VALU_DEP_1)
	v_min_i32_e32 v2, v2, v6
	scratch_load_b32 v6, off, s32 offset:996 ; 4-byte Folded Reload
	s_wait_loadcnt 0x0
	v_cmp_lt_i32_e64 s2, v6, v2
	s_wait_kmcnt 0x0
	s_and_saveexec_b32 s8, s2
	s_cbranch_execz .LBB212_1048
; %bb.1045:
	scratch_load_b32 v7, off, s32 offset:996 ; 4-byte Folded Reload
	s_load_b32 s3, s[6:7], 0x0
	v_dual_mov_b32 v9, v8 :: v_dual_mov_b32 v4, 0
	s_mov_b32 s9, 0
	s_wait_loadcnt 0x0
	s_wait_kmcnt 0x0
	v_lshl_add_u32 v6, v7, 2, s3
.LBB212_1046:                           ; =>This Inner Loop Header: Depth=1
	ds_load_b32 v8, v6
	v_add_nc_u32_e32 v7, 0x80, v7
	s_delay_alu instid0(VALU_DEP_1) | instskip(SKIP_3) | instid1(VALU_DEP_1)
	v_cmp_ge_i32_e64 s3, v7, v2
	s_or_b32 s9, s3, s9
	s_wait_dscnt 0x0
	v_sub_f32_e32 v8, v8, v5
	v_mul_f32_e32 v8, 0x3fb8aa3b, v8
	s_delay_alu instid0(VALU_DEP_1)
	v_exp_f32_e32 v8, v8
	ds_store_b32 v6, v8
	v_nop
	v_add_f32_e32 v4, v4, v8
	v_add_nc_u32_e32 v6, 0x200, v6
	s_and_not1_b32 exec_lo, exec_lo, s9
	s_cbranch_execnz .LBB212_1046
; %bb.1047:
	s_or_b32 exec_lo, exec_lo, s9
	v_mov_b32_e32 v8, v9
.LBB212_1048:
	s_or_b32 exec_lo, exec_lo, s8
	ds_bpermute_b32 v0, v0, v4
	s_wait_dscnt 0x0
	v_add_f32_e32 v0, v4, v0
	ds_bpermute_b32 v1, v1, v0
	s_wait_dscnt 0x0
	v_add_f32_e32 v0, v0, v1
	;; [unrolled: 3-line block ×5, first 2 shown]
	s_and_saveexec_b32 s3, vcc_lo
; %bb.1049:
	ds_store_b32 v3, v0 offset:528
; %bb.1050:
	s_or_b32 exec_lo, exec_lo, s3
	s_wait_dscnt 0x0
	s_barrier_signal -1
	s_barrier_wait -1
	s_and_saveexec_b32 s3, s1
; %bb.1051:
	ds_load_b32 v0, v8 offset:528
; %bb.1052:
	s_or_b32 exec_lo, exec_lo, s3
	s_wait_dscnt 0x0
	ds_bpermute_b32 v1, v53, v0
	s_wait_dscnt 0x0
	v_dual_mov_b32 v81, 0 :: v_dual_add_f32 v0, v0, v1
	ds_bpermute_b32 v1, v43, v0
	s_wait_dscnt 0x0
	v_add_f32_e32 v0, v0, v1
	ds_bpermute_b32 v0, v81, v0
	s_and_saveexec_b32 s1, s2
	s_cbranch_execz .LBB212_1065
; %bb.1053:
	s_wait_dscnt 0x0
	v_add_f32_e32 v0, 0x358637bd, v0
	s_mov_b32 s3, -1
	s_mov_b32 s2, exec_lo
	s_delay_alu instid0(VALU_DEP_1) | instskip(SKIP_1) | instid1(VALU_DEP_2)
	v_div_scale_f32 v1, null, v0, v0, 1.0
	v_div_scale_f32 v5, vcc_lo, 1.0, v0, 1.0
	v_rcp_f32_e32 v4, v1
	v_nop
	s_delay_alu instid0(TRANS32_DEP_1) | instskip(NEXT) | instid1(VALU_DEP_1)
	v_fma_f32 v3, -v1, v4, 1.0
	v_fmac_f32_e32 v4, v3, v4
	s_delay_alu instid0(VALU_DEP_1) | instskip(NEXT) | instid1(VALU_DEP_1)
	v_mul_f32_e32 v6, v5, v4
	v_fma_f32 v3, -v1, v6, v5
	s_delay_alu instid0(VALU_DEP_1) | instskip(NEXT) | instid1(VALU_DEP_1)
	v_fmac_f32_e32 v6, v3, v4
	v_fma_f32 v1, -v1, v6, v5
	scratch_load_b32 v5, off, s32 offset:996 ; 4-byte Folded Reload
	v_div_fmas_f32 v1, v1, v4, v6
	s_delay_alu instid0(VALU_DEP_1) | instskip(SKIP_3) | instid1(VALU_DEP_2)
	v_div_fixup_f32 v0, v1, v0, 1.0
	s_wait_loadcnt 0x0
	v_xad_u32 v3, v5, -1, v2
	v_mov_b32_e32 v1, v5
	v_cmpx_lt_u32_e32 0x7f, v3
	s_cbranch_execz .LBB212_1062
; %bb.1054:
	v_dual_lshrrev_b32 v3, 7, v3 :: v_dual_mov_b32 v1, v0
	s_delay_alu instid0(VALU_DEP_1) | instskip(NEXT) | instid1(VALU_DEP_1)
	v_dual_mov_b32 v7, 0 :: v_dual_add_nc_u32 v4, -1, v3
	v_lshrrev_b32_e32 v5, 1, v4
	v_cmp_lt_u32_e32 vcc_lo, 13, v4
	s_delay_alu instid0(VALU_DEP_2)
	v_add_nc_u32_e32 v4, 1, v5
	s_and_saveexec_b32 s3, vcc_lo
	s_cbranch_execz .LBB212_1058
; %bb.1055:
	scratch_load_b32 v6, off, s32 offset:996 ; 4-byte Folded Reload
	s_load_b32 s8, s[6:7], 0x0
	v_and_b32_e32 v5, -8, v4
	s_mov_b32 s9, 0
	s_wait_loadcnt 0x0
	s_wait_kmcnt 0x0
	v_lshl_add_u32 v6, v6, 2, s8
	s_mov_b32 s8, 0
.LBB212_1056:                           ; =>This Inner Loop Header: Depth=1
	ds_load_2addr_stride64_b32 v[8:9], v6 offset1:2
	ds_load_2addr_stride64_b32 v[10:11], v6 offset0:4 offset1:6
	ds_load_2addr_stride64_b32 v[12:13], v6 offset0:8 offset1:10
	;; [unrolled: 1-line block ×7, first 2 shown]
	s_add_co_i32 s9, s9, 16
	s_delay_alu instid0(SALU_CYCLE_1) | instskip(NEXT) | instid1(VALU_DEP_1)
	v_dual_add_nc_u32 v5, -8, v5 :: v_dual_mov_b32 v7, s9
	v_cmp_eq_u32_e32 vcc_lo, 0, v5
	s_or_b32 s8, vcc_lo, s8
	s_wait_dscnt 0x7
	v_pk_mul_f32 v[8:9], v[0:1], v[8:9]
	s_wait_dscnt 0x6
	v_pk_mul_f32 v[10:11], v[0:1], v[10:11]
	;; [unrolled: 2-line block ×8, first 2 shown]
	ds_store_2addr_stride64_b32 v6, v8, v9 offset1:2
	ds_store_2addr_stride64_b32 v6, v10, v11 offset0:4 offset1:6
	ds_store_2addr_stride64_b32 v6, v12, v13 offset0:8 offset1:10
	;; [unrolled: 1-line block ×7, first 2 shown]
	v_add_nc_u32_e32 v6, 0x2000, v6
	s_and_not1_b32 exec_lo, exec_lo, s8
	s_cbranch_execnz .LBB212_1056
; %bb.1057:
	s_or_b32 exec_lo, exec_lo, s8
.LBB212_1058:
	s_delay_alu instid0(SALU_CYCLE_1) | instskip(NEXT) | instid1(VALU_DEP_1)
	s_or_b32 exec_lo, exec_lo, s3
	v_and_b32_e32 v4, 7, v4
	s_mov_b32 s8, 0
	s_mov_b32 s3, exec_lo
	s_delay_alu instid0(VALU_DEP_1)
	v_cmpx_ne_u32_e32 0, v4
	s_cbranch_execz .LBB212_1061
; %bb.1059:
	scratch_load_b32 v6, off, s32 offset:996 ; 4-byte Folded Reload
	s_load_b32 s9, s[6:7], 0x0
	s_wait_loadcnt 0x0
	v_dual_lshlrev_b32 v5, 9, v7 :: v_dual_lshlrev_b32 v6, 2, v6
	s_wait_kmcnt 0x0
	s_delay_alu instid0(VALU_DEP_1)
	v_add3_u32 v5, v5, v6, s9
.LBB212_1060:                           ; =>This Inner Loop Header: Depth=1
	ds_load_2addr_stride64_b32 v[6:7], v5 offset1:2
	v_add_nc_u32_e32 v4, -1, v4
	s_delay_alu instid0(VALU_DEP_1)
	v_cmp_eq_u32_e32 vcc_lo, 0, v4
	s_or_b32 s8, vcc_lo, s8
	s_wait_dscnt 0x0
	v_pk_mul_f32 v[6:7], v[0:1], v[6:7]
	ds_store_2addr_stride64_b32 v5, v6, v7 offset1:2
	v_add_nc_u32_e32 v5, 0x400, v5
	s_and_not1_b32 exec_lo, exec_lo, s8
	s_cbranch_execnz .LBB212_1060
.LBB212_1061:
	s_or_b32 exec_lo, exec_lo, s3
	v_add_nc_u32_e32 v1, 1, v3
	s_delay_alu instid0(VALU_DEP_1) | instskip(NEXT) | instid1(VALU_DEP_1)
	v_and_b32_e32 v3, 0x3fffffe, v1
	v_cmp_ne_u32_e32 vcc_lo, v1, v3
	scratch_load_b32 v1, off, s32 offset:996 ; 4-byte Folded Reload
	s_or_not1_b32 s3, vcc_lo, exec_lo
	s_wait_loadcnt 0x0
	v_lshl_add_u32 v1, v3, 7, v1
.LBB212_1062:
	s_or_b32 exec_lo, exec_lo, s2
	s_delay_alu instid0(SALU_CYCLE_1)
	s_and_b32 exec_lo, exec_lo, s3
	s_cbranch_execz .LBB212_1065
; %bb.1063:
	s_load_b32 s2, s[6:7], 0x0
	s_wait_kmcnt 0x0
	v_lshl_add_u32 v3, v1, 2, s2
	s_mov_b32 s2, 0
.LBB212_1064:                           ; =>This Inner Loop Header: Depth=1
	ds_load_b32 v4, v3
	s_wait_dscnt 0x0
	v_dual_mul_f32 v4, v0, v4 :: v_dual_add_nc_u32 v1, 0x80, v1
	s_delay_alu instid0(VALU_DEP_1) | instskip(SKIP_3) | instid1(SALU_CYCLE_1)
	v_cmp_ge_i32_e32 vcc_lo, v1, v2
	ds_store_b32 v3, v4
	v_add_nc_u32_e32 v3, 0x200, v3
	s_or_b32 s2, vcc_lo, s2
	s_and_not1_b32 exec_lo, exec_lo, s2
	s_cbranch_execnz .LBB212_1064
.LBB212_1065:
	s_or_b32 exec_lo, exec_lo, s1
	s_wait_dscnt 0x0
	scratch_load_b32 v0, off, s32 offset:996 ; 4-byte Folded Reload
	v_dual_mov_b32 v97, 0 :: v_dual_mov_b32 v96, 0
	v_dual_mov_b32 v99, 0 :: v_dual_mov_b32 v98, 0
	;; [unrolled: 1-line block ×15, first 2 shown]
	s_wait_loadcnt 0x0
	s_barrier_signal -1
	s_barrier_wait -1
	v_dual_mov_b32 v80, 0 :: v_dual_bitop2_b32 v100, 7, v0 bitop3:0x40
	s_wait_xcnt 0x0
	s_and_saveexec_b32 s1, s0
	s_cbranch_execz .LBB212_2159
; %bb.1066:
	s_clause 0x3
	scratch_store_b32 off, v52, s32 offset:524
	scratch_store_b32 off, v53, s32 offset:516
	scratch_load_b32 v0, off, s32 offset:1552 th:TH_LOAD_LU
	scratch_load_b32 v1, off, s32 offset:1584 th:TH_LOAD_LU
	v_dual_mov_b32 v115, 0 :: v_dual_mov_b32 v16, 0
	v_dual_mov_b32 v17, 0 :: v_dual_mov_b32 v20, 0
	s_delay_alu instid0(VALU_DEP_2)
	v_dual_mov_b32 v21, 0 :: v_dual_mov_b32 v9, v115
	v_dual_mov_b32 v18, 0 :: v_dual_mov_b32 v19, 0
	;; [unrolled: 1-line block ×13, first 2 shown]
	v_mov_b32_e32 v81, 0
	s_mov_b32 s2, 0
	s_wait_loadcnt 0x0
	v_dual_mov_b32 v29, 0 :: v_dual_max_i32 v116, v0, v1
	scratch_load_b32 v0, off, s32 offset:996 ; 4-byte Folded Reload
	s_wait_loadcnt 0x0
	v_lshlrev_b32_e32 v2, 2, v0
	s_clause 0x2
	scratch_load_b64 v[0:1], off, s32 offset:1596 th:TH_LOAD_LU
	scratch_load_b64 v[4:5], off, s32 offset:1576 th:TH_LOAD_LU
	scratch_load_b32 v6, off, s32 offset:1548
	v_dual_mov_b32 v28, 0 :: v_dual_lshlrev_b32 v3, 4, v100
	v_or_b32_e32 v8, 0xf80, v2
	v_mov_b32_e32 v86, 0
	s_wait_loadcnt 0x1
	v_add_nc_u64_e32 v[0:1], v[0:1], v[4:5]
	s_wait_loadcnt 0x0
	v_mov_b32_e32 v117, v6
	v_lshl_or_b32 v118, v6, 7, v3
	s_clause 0x1
	scratch_store_b64 off, v[0:1], s32 offset:476
	scratch_load_b64 v[0:1], off, s32 offset:200
	s_wait_loadcnt 0x0
	v_dual_mov_b32 v1, v0 :: v_dual_mov_b32 v7, v115
	s_clause 0x1
	scratch_store_b64 off, v[0:1], s32 offset:508
	scratch_load_b32 v1, off, s32 offset:1572 th:TH_LOAD_LU
	v_cvt_f32_u32_e32 v0, v116
	s_delay_alu instid0(VALU_DEP_1) | instskip(SKIP_1) | instid1(TRANS32_DEP_1)
	v_rcp_iflag_f32_e32 v0, v0
	v_nop
	v_mul_f32_e32 v0, 0x4f7ffffe, v0
	s_delay_alu instid0(VALU_DEP_1) | instskip(SKIP_3) | instid1(VALU_DEP_1)
	v_cvt_u32_f32_e32 v4, v0
	s_wait_loadcnt 0x0
	v_and_b32_e32 v114, 0x7c, v1
	v_sub_nc_u32_e32 v1, 0, v116
	v_mul_lo_u32 v0, v1, v4
	v_mov_b32_e32 v1, v115
	s_delay_alu instid0(VALU_DEP_2) | instskip(NEXT) | instid1(VALU_DEP_1)
	v_mul_hi_u32 v5, v4, v0
	v_dual_add_nc_u32 v6, v4, v5 :: v_dual_bitop2_b32 v0, 28, v2 bitop3:0x40
	s_clause 0x1
	scratch_store_b32 off, v100, s32 offset:532
	scratch_store_b32 off, v0, s32 offset:484
	s_wait_xcnt 0x0
	v_and_b32_e32 v0, 0x7c, v2
	s_clause 0x4
	scratch_load_b64 v[2:3], off, s32 offset:1556 th:TH_LOAD_LU
	scratch_store_b64 off, v[8:9], s32 offset:500
	scratch_store_b64 off, v[6:7], s32 offset:332
	;; [unrolled: 1-line block ×3, first 2 shown]
	scratch_load_b64 v[0:1], off, s32 offset:1564 th:TH_LOAD_LU
	s_wait_loadcnt 0x0
	v_lshl_add_u64 v[0:1], v[0:1], 2, v[114:115]
	s_delay_alu instid0(VALU_DEP_1)
	v_add_nc_u64_e32 v[70:71], v[2:3], v[0:1]
	scratch_load_b64 v[2:3], off, s32 offset:212 ; 8-byte Folded Reload
	s_branch .LBB212_1069
.LBB212_1067:                           ;   in Loop: Header=BB212_1069 Depth=1
	s_wait_xcnt 0x0
	s_or_b32 exec_lo, exec_lo, s8
	v_mul_f32_e32 v9, v3, v87
	v_mul_f32_e32 v8, v3, v99
	scratch_load_b64 v[54:55], off, s32 offset:348 th:TH_LOAD_LU ; 8-byte Folded Reload
	v_mul_f32_e32 v10, v3, v81
	v_dual_mul_f32 v21, v3, v21 :: v_dual_fmac_f32 v9, v2, v86
	v_dual_fmac_f32 v8, v2, v98 :: v_dual_mul_f32 v39, v3, v39
	s_delay_alu instid0(VALU_DEP_3) | instskip(SKIP_4) | instid1(VALU_DEP_2)
	v_fmac_f32_e32 v10, v2, v80
	scratch_load_b64 v[80:81], off, s32 offset:340 th:TH_LOAD_LU ; 8-byte Folded Reload
	v_dual_mul_f32 v17, v3, v17 :: v_dual_fmac_f32 v8, v4, v102
	v_dual_mul_f32 v11, v3, v51 :: v_dual_fmac_f32 v39, v2, v38
	v_dual_fmac_f32 v10, v4, v0 :: v_dual_mul_f32 v0, v3, v35
	v_dual_fmac_f32 v9, v4, v84 :: v_dual_fmac_f32 v11, v2, v50
	s_delay_alu instid0(VALU_DEP_3) | instskip(NEXT) | instid1(VALU_DEP_3)
	v_dual_fmac_f32 v8, v5, v103 :: v_dual_fmac_f32 v39, v4, v36
	v_dual_fmac_f32 v10, v5, v1 :: v_dual_fmac_f32 v0, v2, v34
	s_delay_alu instid0(VALU_DEP_3) | instskip(NEXT) | instid1(VALU_DEP_4)
	v_dual_mul_f32 v1, v3, v31 :: v_dual_fmac_f32 v9, v5, v85
	v_fmac_f32_e32 v11, v4, v48
	s_delay_alu instid0(VALU_DEP_3) | instskip(NEXT) | instid1(VALU_DEP_3)
	v_dual_fmac_f32 v39, v5, v37 :: v_dual_fmac_f32 v0, v4, v32
	v_fmac_f32_e32 v1, v2, v30
	s_delay_alu instid0(VALU_DEP_3)
	v_dual_fmac_f32 v21, v2, v20 :: v_dual_fmac_f32 v11, v5, v49
	scratch_load_b64 v[84:85], off, s32 offset:364 th:TH_LOAD_LU ; 8-byte Folded Reload
	v_dual_fmac_f32 v0, v5, v33 :: v_dual_fmac_f32 v1, v4, v12
	v_mul_f32_e32 v12, v3, v29
	s_clause 0x1
	scratch_load_b64 v[30:31], off, s32 offset:420 th:TH_LOAD_LU
	scratch_load_b64 v[32:33], off, s32 offset:428 th:TH_LOAD_LU
	v_fmac_f32_e32 v17, v2, v16
	v_dual_fmac_f32 v1, v5, v13 :: v_dual_fmac_f32 v12, v2, v28
	v_mul_f32_e32 v13, v3, v25
	s_clause 0x2
	scratch_load_b64 v[98:99], off, s32 offset:388 th:TH_LOAD_LU
	scratch_load_b64 v[48:49], off, s32 offset:396 th:TH_LOAD_LU
	scratch_load_b64 v[86:87], off, s32 offset:372 th:TH_LOAD_LU
	v_dual_fmac_f32 v12, v4, v26 :: v_dual_fmac_f32 v13, v2, v24
	v_dual_fmac_f32 v17, v4, v14 :: v_dual_mul_f32 v14, v3, v97
	s_delay_alu instid0(VALU_DEP_2) | instskip(NEXT) | instid1(VALU_DEP_3)
	v_dual_fmac_f32 v21, v4, v18 :: v_dual_fmac_f32 v12, v5, v27
	v_fmac_f32_e32 v13, v4, v22
	scratch_load_b64 v[26:27], off, s32 offset:436 th:TH_LOAD_LU ; 8-byte Folded Reload
	v_fmac_f32_e32 v14, v2, v96
	s_clause 0x1
	scratch_load_b64 v[96:97], off, s32 offset:380 th:TH_LOAD_LU
	scratch_load_b64 v[28:29], off, s32 offset:412 th:TH_LOAD_LU
	v_dual_fmac_f32 v13, v5, v23 :: v_dual_fmac_f32 v14, v4, v68
	s_wait_loadcnt 0x5
	v_add_f32_e32 v98, v98, v39
	scratch_load_b64 v[38:39], off, s32 offset:404 th:TH_LOAD_LU ; 8-byte Folded Reload
	s_wait_loadcnt 0x4
	v_add_f32_e32 v86, v86, v1
	v_fmac_f32_e32 v14, v5, v69
	scratch_load_b64 v[68:69], off, s32 offset:356 th:TH_LOAD_LU ; 8-byte Folded Reload
	v_add_f32_e32 v99, v99, v11
	v_dual_fmac_f32 v17, v5, v15 :: v_dual_add_f32 v87, v87, v0
	v_dual_mul_f32 v0, v3, v67 :: v_dual_add_f32 v85, v85, v14
	scratch_load_b64 v[14:15], off, s32 offset:324 th:TH_LOAD_LU ; 8-byte Folded Reload
	v_dual_add_f32 v55, v55, v12 :: v_dual_add_f32 v54, v54, v13
	s_wait_loadcnt 0x4
	v_add_f32_e32 v96, v96, v10
	scratch_load_b64 v[12:13], off, s32 offset:308 th:TH_LOAD_LU ; 8-byte Folded Reload
	v_add_f32_e32 v97, v97, v9
	v_mul_f32_e32 v9, v3, v121
	v_dual_mul_f32 v10, v3, v109 :: v_dual_fmac_f32 v0, v2, v66
	s_delay_alu instid0(VALU_DEP_2) | instskip(NEXT) | instid1(VALU_DEP_1)
	v_fmac_f32_e32 v9, v2, v120
	v_dual_fmac_f32 v0, v4, v64 :: v_dual_fmac_f32 v9, v4, v110
	s_delay_alu instid0(VALU_DEP_1) | instskip(SKIP_1) | instid1(VALU_DEP_1)
	v_dual_fmac_f32 v0, v5, v65 :: v_dual_fmac_f32 v9, v5, v111
	s_wait_loadcnt 0x3
	v_dual_add_f32 v84, v84, v0 :: v_dual_add_f32 v39, v39, v9
	v_mul_f32_e32 v9, v3, v77
	s_wait_loadcnt 0x2
	v_add_f32_e32 v68, v68, v17
	scratch_load_b64 v[16:17], off, s32 offset:284 th:TH_LOAD_LU ; 8-byte Folded Reload
	v_fmac_f32_e32 v9, v2, v76
	s_delay_alu instid0(VALU_DEP_1) | instskip(NEXT) | instid1(VALU_DEP_1)
	v_fmac_f32_e32 v9, v4, v74
	v_fmac_f32_e32 v9, v5, v75
	s_wait_loadcnt 0x2
	s_delay_alu instid0(VALU_DEP_1) | instskip(NEXT) | instid1(VALU_DEP_1)
	v_dual_add_f32 v32, v32, v9 :: v_dual_mul_f32 v9, v3, v15
	v_fmac_f32_e32 v9, v2, v14
	scratch_load_b64 v[14:15], off, s32 offset:316 th:TH_LOAD_LU ; 8-byte Folded Reload
	v_dual_fmac_f32 v21, v5, v19 :: v_dual_add_f32 v80, v80, v8
	v_mul_f32_e32 v8, v3, v125
	v_mul_f32_e32 v1, v3, v53
	scratch_load_b64 v[18:19], off, s32 offset:444 th:TH_LOAD_LU ; 8-byte Folded Reload
	v_add_f32_e32 v69, v69, v21
	scratch_load_b64 v[20:21], off, s32 offset:452 th:TH_LOAD_LU ; 8-byte Folded Reload
	v_fmac_f32_e32 v8, v2, v124
	v_fmac_f32_e32 v1, v2, v52
	s_delay_alu instid0(VALU_DEP_1) | instskip(NEXT) | instid1(VALU_DEP_1)
	v_dual_fmac_f32 v10, v2, v108 :: v_dual_fmac_f32 v1, v4, v126
	v_dual_fmac_f32 v8, v4, v122 :: v_dual_fmac_f32 v1, v5, v127
	s_delay_alu instid0(VALU_DEP_1) | instskip(NEXT) | instid1(VALU_DEP_1)
	v_dual_fmac_f32 v10, v4, v106 :: v_dual_fmac_f32 v8, v5, v123
	v_dual_fmac_f32 v10, v5, v107 :: v_dual_add_f32 v48, v48, v8
	s_delay_alu instid0(VALU_DEP_3) | instskip(SKIP_1) | instid1(VALU_DEP_3)
	v_add_f32_e32 v49, v49, v1
	v_mul_f32_e32 v8, v3, v89
	v_dual_mul_f32 v1, v3, v93 :: v_dual_add_f32 v38, v38, v10
	s_delay_alu instid0(VALU_DEP_2) | instskip(NEXT) | instid1(VALU_DEP_2)
	v_dual_fmac_f32 v8, v2, v88 :: v_dual_mul_f32 v0, v3, v105
	v_dual_fmac_f32 v1, v2, v92 :: v_dual_mul_f32 v10, v3, v73
	s_delay_alu instid0(VALU_DEP_2) | instskip(NEXT) | instid1(VALU_DEP_2)
	v_fmac_f32_e32 v8, v4, v78
	v_dual_fmac_f32 v0, v2, v104 :: v_dual_fmac_f32 v1, v4, v90
	s_delay_alu instid0(VALU_DEP_1) | instskip(NEXT) | instid1(VALU_DEP_1)
	v_dual_fmac_f32 v10, v2, v72 :: v_dual_fmac_f32 v0, v4, v94
	v_dual_fmac_f32 v1, v5, v91 :: v_dual_fmac_f32 v10, v4, v62
	s_delay_alu instid0(VALU_DEP_2) | instskip(SKIP_1) | instid1(VALU_DEP_3)
	v_fmac_f32_e32 v0, v5, v95
	v_fmac_f32_e32 v8, v5, v79
	v_dual_fmac_f32 v10, v5, v63 :: v_dual_add_f32 v30, v30, v1
	v_mul_f32_e32 v1, v3, v57
	s_delay_alu instid0(VALU_DEP_4) | instskip(NEXT) | instid1(VALU_DEP_3)
	v_add_f32_e32 v31, v31, v0
	v_dual_mul_f32 v0, v3, v61 :: v_dual_add_f32 v29, v29, v10
	s_wait_loadcnt 0x4
	v_dual_mul_f32 v10, v3, v13 :: v_dual_add_f32 v33, v33, v8
	s_delay_alu instid0(VALU_DEP_2) | instskip(SKIP_1) | instid1(VALU_DEP_3)
	v_dual_mul_f32 v8, v3, v47 :: v_dual_fmac_f32 v0, v2, v60
	v_fmac_f32_e32 v1, v2, v56
	v_fmac_f32_e32 v10, v2, v12
	scratch_load_b64 v[12:13], off, s32 offset:300 th:TH_LOAD_LU ; 8-byte Folded Reload
	v_fmac_f32_e32 v8, v2, v46
	v_fmac_f32_e32 v0, v4, v58
	s_delay_alu instid0(VALU_DEP_2) | instskip(NEXT) | instid1(VALU_DEP_1)
	v_dual_fmac_f32 v1, v4, v6 :: v_dual_fmac_f32 v8, v4, v44
	v_dual_fmac_f32 v1, v5, v7 :: v_dual_fmac_f32 v8, v5, v45
	s_delay_alu instid0(VALU_DEP_1) | instskip(SKIP_2) | instid1(VALU_DEP_1)
	v_add_f32_e32 v26, v26, v8
	s_wait_loadcnt 0x0
	v_dual_fmac_f32 v10, v4, v12 :: v_dual_fmac_f32 v9, v4, v14
	v_dual_fmac_f32 v0, v5, v59 :: v_dual_fmac_f32 v10, v5, v13
	s_delay_alu instid0(VALU_DEP_1)
	v_dual_fmac_f32 v9, v5, v15 :: v_dual_add_f32 v28, v28, v0
	v_add_f32_e32 v27, v27, v1
	s_clause 0x2
	scratch_load_b64 v[0:1], off, s32 offset:292 th:TH_LOAD_LU
	scratch_load_b64 v[14:15], off, s32 offset:276 th:TH_LOAD_LU
	;; [unrolled: 1-line block ×3, first 2 shown]
	v_add_f32_e32 v18, v18, v10
	scratch_load_b64 v[10:11], off, s32 offset:220 th:TH_LOAD_LU ; 8-byte Folded Reload
	s_wait_loadcnt 0x2
	v_dual_mul_f32 v6, v3, v1 :: v_dual_mul_f32 v7, v3, v15
	v_add_f32_e32 v19, v19, v9
	s_wait_loadcnt 0x0
	v_dual_mul_f32 v8, v3, v13 :: v_dual_mul_f32 v9, v3, v11
	s_delay_alu instid0(VALU_DEP_3)
	v_dual_fmac_f32 v6, v2, v0 :: v_dual_fmac_f32 v7, v2, v14
	scratch_load_b64 v[14:15], off, s32 offset:268 th:TH_LOAD_LU ; 8-byte Folded Reload
	v_pk_mul_f32 v[0:1], v[2:3], v[100:101]
	v_fmac_f32_e32 v8, v2, v12
	scratch_load_b64 v[12:13], off, s32 offset:252 th:TH_LOAD_LU ; 8-byte Folded Reload
	v_fmac_f32_e32 v9, v2, v10
	scratch_load_b64 v[10:11], off, s32 offset:192 th:TH_LOAD_LU ; 8-byte Folded Reload
	v_pk_mul_f32 v[2:3], v[4:5], v[82:83]
	v_add_f32_e32 v0, v0, v1
	s_wait_loadcnt 0x2
	v_dual_fmac_f32 v6, v4, v16 :: v_dual_fmac_f32 v7, v4, v14
	s_delay_alu instid0(VALU_DEP_1) | instskip(SKIP_4) | instid1(VALU_DEP_2)
	v_dual_add_f32 v0, v2, v0 :: v_dual_fmac_f32 v6, v5, v17
	scratch_load_b64 v[16:17], off, s32 offset:460 th:TH_LOAD_LU ; 8-byte Folded Reload
	s_wait_loadcnt 0x1
	v_dual_fmac_f32 v8, v4, v12 :: v_dual_fmac_f32 v9, v4, v10
	v_dual_fmac_f32 v7, v5, v15 :: v_dual_add_f32 v0, v3, v0
	v_dual_fmac_f32 v8, v5, v13 :: v_dual_fmac_f32 v9, v5, v11
	s_delay_alu instid0(VALU_DEP_2) | instskip(NEXT) | instid1(VALU_DEP_3)
	v_dual_add_f32 v21, v21, v6 :: v_dual_add_f32 v20, v20, v7
	v_add_f32_e32 v81, v81, v0
	s_wait_loadcnt 0x0
	s_delay_alu instid0(VALU_DEP_3)
	v_dual_add_f32 v17, v17, v8 :: v_dual_add_f32 v16, v16, v9
.LBB212_1068:                           ;   in Loop: Header=BB212_1069 Depth=1
	s_wait_xcnt 0x0
	s_or_b32 exec_lo, exec_lo, s3
	s_clause 0x1
	scratch_load_b32 v0, off, s32 offset:208
	scratch_load_b64 v[2:3], off, s32 offset:212 th:TH_LOAD_LU
	v_add_nc_u32_e32 v117, 4, v117
	v_add_nc_u64_e32 v[70:71], 16, v[70:71]
	v_add_nc_u32_e32 v118, 0x200, v118
	s_wait_loadcnt 0x1
	s_delay_alu instid0(VALU_DEP_3)
	v_cmp_ge_i32_e32 vcc_lo, v117, v0
	s_wait_loadcnt 0x0
	v_add_nc_u32_e32 v2, 0x80, v2
	s_or_b32 s2, vcc_lo, s2
	s_wait_xcnt 0x0
	s_and_not1_b32 exec_lo, exec_lo, s2
	s_cbranch_execz .LBB212_2158
.LBB212_1069:                           ; =>This Inner Loop Header: Depth=1
	s_clause 0x1
	scratch_load_b64 v[0:1], off, s32 offset:232
	scratch_load_b32 v4, off, s32 offset:228
	s_wait_loadcnt 0x2
	v_dual_mov_b32 v3, v115 :: v_dual_mov_b32 v6, v2
	scratch_store_b64 off, v[6:7], s32 offset:212 ; 8-byte Folded Spill
	s_wait_loadcnt 0x1
	v_mul_u64_e32 v[0:1], v[2:3], v[0:1]
	s_wait_loadcnt 0x0
	s_delay_alu instid0(VALU_DEP_1) | instskip(NEXT) | instid1(VALU_DEP_1)
	v_mul_lo_u32 v0, v1, v4
	v_dual_sub_nc_u32 v0, v2, v0 :: v_dual_add_nc_u32 v2, 1, v1
	s_delay_alu instid0(VALU_DEP_1) | instskip(NEXT) | instid1(VALU_DEP_2)
	v_cmp_ge_u32_e32 vcc_lo, v0, v4
	v_dual_sub_nc_u32 v3, v0, v4 :: v_dual_cndmask_b32 v1, v1, v2, vcc_lo
	s_delay_alu instid0(VALU_DEP_1) | instskip(NEXT) | instid1(VALU_DEP_1)
	v_dual_cndmask_b32 v0, v0, v3, vcc_lo :: v_dual_add_nc_u32 v2, 1, v1
	v_cmp_ge_u32_e32 vcc_lo, v0, v4
	s_delay_alu instid0(VALU_DEP_2) | instskip(SKIP_3) | instid1(VALU_DEP_1)
	v_cndmask_b32_e32 v0, v1, v2, vcc_lo
	scratch_load_b32 v1, off, s32 offset:240 ; 4-byte Folded Reload
	s_wait_loadcnt 0x0
	v_xor_b32_e32 v0, v0, v1
	v_sub_nc_u32_e32 v2, v0, v1
	scratch_load_b32 v0, off, s32 offset:244 ; 4-byte Folded Reload
	s_wait_loadcnt 0x0
	v_add_nc_u32_e32 v3, v2, v0
	s_delay_alu instid0(VALU_DEP_1) | instskip(NEXT) | instid1(VALU_DEP_1)
	v_sub_nc_u32_e32 v0, 0, v3
	v_max_i32_e32 v114, v3, v0
	scratch_load_b64 v[0:1], off, s32 offset:332 ; 8-byte Folded Reload
	s_wait_loadcnt 0x0
	v_mul_u64_e32 v[0:1], v[114:115], v[0:1]
	s_delay_alu instid0(VALU_DEP_1) | instskip(NEXT) | instid1(VALU_DEP_1)
	v_mul_lo_u32 v0, v1, v116
	v_sub_nc_u32_e32 v0, v114, v0
	s_delay_alu instid0(VALU_DEP_1) | instskip(SKIP_1) | instid1(VALU_DEP_2)
	v_sub_nc_u32_e32 v1, v0, v116
	v_cmp_ge_u32_e32 vcc_lo, v0, v116
	v_dual_cndmask_b32 v0, v0, v1 :: v_dual_ashrrev_i32 v3, 31, v3
	s_delay_alu instid0(VALU_DEP_1) | instskip(SKIP_1) | instid1(VALU_DEP_2)
	v_sub_nc_u32_e32 v1, v0, v116
	v_cmp_ge_u32_e32 vcc_lo, v0, v116
	v_cndmask_b32_e32 v0, v0, v1, vcc_lo
	s_delay_alu instid0(VALU_DEP_1) | instskip(NEXT) | instid1(VALU_DEP_1)
	v_xor_b32_e32 v0, v0, v3
	v_sub_nc_u32_e32 v0, v0, v3
	s_delay_alu instid0(VALU_DEP_1)
	v_cmp_eq_u32_e32 vcc_lo, 0, v0
	scratch_load_b32 v0, off, s32 offset:248 ; 4-byte Folded Reload
	s_wait_loadcnt 0x0
	v_cmp_gt_i32_e64 s0, v2, v0
	s_or_b32 s0, vcc_lo, s0
	s_wait_xcnt 0x0
	s_and_saveexec_b32 s3, s0
	s_cbranch_execz .LBB212_1068
; %bb.1070:                             ;   in Loop: Header=BB212_1069 Depth=1
	s_clause 0xf
	scratch_store_b64 off, v[16:17], s32 offset:460
	scratch_store_b64 off, v[20:21], s32 offset:452
	;; [unrolled: 1-line block ×16, first 2 shown]
	flat_load_b32 v0, v[70:71]
	s_clause 0x1
	scratch_load_b64 v[2:3], off, s32 offset:820
	scratch_load_b64 v[4:5], off, s32 offset:476
	v_mov_b64_e32 v[6:7], 0
	s_wait_loadcnt_dscnt 0x0
	v_mad_nc_i64_i32 v[2:3], v0, v2, v[4:5]
	s_clause 0x1
	scratch_load_b64 v[0:1], off, s32 offset:492
	scratch_store_b64 off, v[2:3], s32 offset:468
	s_wait_loadcnt 0x0
	v_add_nc_u64_e32 v[102:103], v[2:3], v[0:1]
	flat_load_b32 v8, v[102:103]
	scratch_load_b64 v[0:1], off, s32 offset:1004 ; 8-byte Folded Reload
	s_load_b32 s0, s[6:7], 0x0
	s_wait_loadcnt_dscnt 0x100
	v_and_b32_e32 v9, 0xff, v8
	s_wait_loadcnt 0x0
	flat_load_b32 v82, v[0:1]
	s_wait_kmcnt 0x0
	v_add_nc_u32_e32 v0, s0, v118
	s_mov_b32 s0, exec_lo
	ds_load_b128 v[2:5], v0
	v_mov_b64_e32 v[0:1], 0
	v_cmpx_ne_u16_e32 0, v9
	s_cbranch_execz .LBB212_1078
; %bb.1071:                             ;   in Loop: Header=BB212_1069 Depth=1
	v_mov_b64_e32 v[6:7], 0x80000000
	s_mov_b32 s8, exec_lo
	v_cmpx_ne_u16_e32 0x80, v9
	s_cbranch_execz .LBB212_1077
; %bb.1072:                             ;   in Loop: Header=BB212_1069 Depth=1
	v_mov_b64_e32 v[6:7], 0x7f800001
	v_and_b32_e32 v9, 0x7f, v8
	s_mov_b32 s9, exec_lo
	s_delay_alu instid0(VALU_DEP_1)
	v_cmpx_ne_u32_e32 0x7f, v9
	s_cbranch_execz .LBB212_1076
; %bb.1073:                             ;   in Loop: Header=BB212_1069 Depth=1
	v_dual_lshrrev_b32 v6, 3, v9 :: v_dual_bitop2_b32 v114, 7, v8 bitop3:0x40
	s_mov_b32 s14, exec_lo
	v_cmpx_gt_u32_e32 8, v9
; %bb.1074:                             ;   in Loop: Header=BB212_1069 Depth=1
	s_delay_alu instid0(VALU_DEP_2) | instskip(NEXT) | instid1(VALU_DEP_1)
	v_clz_i32_u32_e32 v6, v114
	v_min_u32_e32 v6, 32, v6
	s_delay_alu instid0(VALU_DEP_1) | instskip(SKIP_1) | instid1(VALU_DEP_2)
	v_subrev_nc_u32_e32 v7, 28, v6
	v_sub_nc_u32_e32 v6, 29, v6
	v_lshlrev_b64_e32 v[10:11], v7, v[114:115]
	s_delay_alu instid0(VALU_DEP_1)
	v_and_b32_e32 v114, 7, v10
; %bb.1075:                             ;   in Loop: Header=BB212_1069 Depth=1
	s_or_b32 exec_lo, exec_lo, s14
	s_delay_alu instid0(VALU_DEP_1) | instskip(SKIP_1) | instid1(VALU_DEP_2)
	v_dual_lshlrev_b32 v7, 24, v8 :: v_dual_lshlrev_b32 v9, 20, v114
	v_lshl_add_u32 v6, v6, 23, 0x3c000000
	v_and_b32_e32 v7, 0x80000000, v7
	s_delay_alu instid0(VALU_DEP_1) | instskip(NEXT) | instid1(VALU_DEP_1)
	v_or3_b32 v114, v9, v7, v6
	v_mov_b64_e32 v[6:7], v[114:115]
.LBB212_1076:                           ;   in Loop: Header=BB212_1069 Depth=1
	s_or_b32 exec_lo, exec_lo, s9
.LBB212_1077:                           ;   in Loop: Header=BB212_1069 Depth=1
	s_delay_alu instid0(SALU_CYCLE_1)
	s_or_b32 exec_lo, exec_lo, s8
.LBB212_1078:                           ;   in Loop: Header=BB212_1069 Depth=1
	s_delay_alu instid0(SALU_CYCLE_1) | instskip(SKIP_2) | instid1(VALU_DEP_1)
	s_or_b32 exec_lo, exec_lo, s0
	v_lshrrev_b16 v9, 8, v8
	s_mov_b32 s0, exec_lo
	v_cmpx_ne_u16_e32 0, v9
	s_cbranch_execz .LBB212_1086
; %bb.1079:                             ;   in Loop: Header=BB212_1069 Depth=1
	v_mov_b64_e32 v[0:1], 0x8000000000000000
	s_mov_b32 s8, exec_lo
	v_cmpx_ne_u16_e32 0x80, v9
	s_cbranch_execz .LBB212_1085
; %bb.1080:                             ;   in Loop: Header=BB212_1069 Depth=1
	v_and_b32_e32 v11, 0xffff, v9
	v_mov_b64_e32 v[0:1], 0x7f80000100000000
	s_mov_b32 s9, exec_lo
	s_delay_alu instid0(VALU_DEP_2) | instskip(NEXT) | instid1(VALU_DEP_1)
	v_and_b32_e32 v9, 0x7f, v11
	v_cmpx_ne_u32_e32 0x7f, v9
	s_cbranch_execz .LBB212_1084
; %bb.1081:                             ;   in Loop: Header=BB212_1069 Depth=1
	v_dual_lshrrev_b32 v0, 3, v9 :: v_dual_bitop2_b32 v114, 7, v11 bitop3:0x40
	s_mov_b32 s14, exec_lo
	v_cmpx_gt_u32_e32 8, v9
; %bb.1082:                             ;   in Loop: Header=BB212_1069 Depth=1
	s_delay_alu instid0(VALU_DEP_2) | instskip(NEXT) | instid1(VALU_DEP_1)
	v_clz_i32_u32_e32 v0, v114
	v_min_u32_e32 v0, 32, v0
	s_delay_alu instid0(VALU_DEP_1) | instskip(NEXT) | instid1(VALU_DEP_1)
	v_subrev_nc_u32_e32 v1, 28, v0
	v_lshlrev_b64_e32 v[10:11], v1, v[114:115]
	s_delay_alu instid0(VALU_DEP_1)
	v_dual_sub_nc_u32 v0, 29, v0 :: v_dual_bitop2_b32 v114, 7, v10 bitop3:0x40
; %bb.1083:                             ;   in Loop: Header=BB212_1069 Depth=1
	s_or_b32 exec_lo, exec_lo, s14
	s_delay_alu instid0(VALU_DEP_1) | instskip(NEXT) | instid1(VALU_DEP_2)
	v_dual_lshlrev_b32 v1, 16, v8 :: v_dual_lshlrev_b32 v9, 20, v114
	v_lshl_add_u32 v0, v0, 23, 0x3c000000
	s_delay_alu instid0(VALU_DEP_2) | instskip(NEXT) | instid1(VALU_DEP_1)
	v_and_b32_e32 v1, 0x80000000, v1
	v_or3_b32 v1, v9, v1, v0
	v_mov_b32_e32 v0, v115
.LBB212_1084:                           ;   in Loop: Header=BB212_1069 Depth=1
	s_or_b32 exec_lo, exec_lo, s9
.LBB212_1085:                           ;   in Loop: Header=BB212_1069 Depth=1
	s_delay_alu instid0(SALU_CYCLE_1)
	s_or_b32 exec_lo, exec_lo, s8
.LBB212_1086:                           ;   in Loop: Header=BB212_1069 Depth=1
	s_delay_alu instid0(SALU_CYCLE_1) | instskip(SKIP_4) | instid1(VALU_DEP_3)
	s_or_b32 exec_lo, exec_lo, s0
	v_lshrrev_b32_e32 v9, 16, v8
	v_mov_b64_e32 v[12:13], 0
	v_mov_b64_e32 v[14:15], 0
	s_mov_b32 s0, exec_lo
	v_and_b32_e32 v11, 0xff, v9
	s_delay_alu instid0(VALU_DEP_1)
	v_cmpx_ne_u16_e32 0, v11
	s_cbranch_execz .LBB212_1094
; %bb.1087:                             ;   in Loop: Header=BB212_1069 Depth=1
	v_mov_b64_e32 v[14:15], 0x80000000
	s_mov_b32 s8, exec_lo
	v_cmpx_ne_u16_e32 0x80, v11
	s_cbranch_execz .LBB212_1093
; %bb.1088:                             ;   in Loop: Header=BB212_1069 Depth=1
	v_mov_b64_e32 v[14:15], 0x7f800001
	v_bfe_u32 v11, v8, 16, 7
	s_mov_b32 s9, exec_lo
	s_delay_alu instid0(VALU_DEP_1)
	v_cmpx_ne_u32_e32 0x7f, v11
	s_cbranch_execz .LBB212_1092
; %bb.1089:                             ;   in Loop: Header=BB212_1069 Depth=1
	v_dual_lshrrev_b32 v14, 3, v11 :: v_dual_bitop2_b32 v114, 7, v9 bitop3:0x40
	s_mov_b32 s14, exec_lo
	v_cmpx_gt_u32_e32 8, v11
; %bb.1090:                             ;   in Loop: Header=BB212_1069 Depth=1
	s_delay_alu instid0(VALU_DEP_2) | instskip(NEXT) | instid1(VALU_DEP_1)
	v_clz_i32_u32_e32 v10, v114
	v_min_u32_e32 v14, 32, v10
	s_delay_alu instid0(VALU_DEP_1) | instskip(SKIP_1) | instid1(VALU_DEP_2)
	v_subrev_nc_u32_e32 v10, 28, v14
	v_sub_nc_u32_e32 v14, 29, v14
	v_lshlrev_b64_e32 v[10:11], v10, v[114:115]
	s_delay_alu instid0(VALU_DEP_1)
	v_and_b32_e32 v114, 7, v10
; %bb.1091:                             ;   in Loop: Header=BB212_1069 Depth=1
	s_or_b32 exec_lo, exec_lo, s14
	s_delay_alu instid0(VALU_DEP_1) | instskip(SKIP_1) | instid1(VALU_DEP_2)
	v_dual_lshlrev_b32 v9, 24, v9 :: v_dual_lshlrev_b32 v10, 20, v114
	v_lshl_add_u32 v11, v14, 23, 0x3c000000
	v_and_b32_e32 v9, 0x80000000, v9
	s_delay_alu instid0(VALU_DEP_1) | instskip(NEXT) | instid1(VALU_DEP_1)
	v_or3_b32 v114, v10, v9, v11
	v_mov_b64_e32 v[14:15], v[114:115]
.LBB212_1092:                           ;   in Loop: Header=BB212_1069 Depth=1
	s_or_b32 exec_lo, exec_lo, s9
.LBB212_1093:                           ;   in Loop: Header=BB212_1069 Depth=1
	s_delay_alu instid0(SALU_CYCLE_1)
	s_or_b32 exec_lo, exec_lo, s8
.LBB212_1094:                           ;   in Loop: Header=BB212_1069 Depth=1
	s_delay_alu instid0(SALU_CYCLE_1) | instskip(NEXT) | instid1(SALU_CYCLE_1)
	s_or_b32 exec_lo, exec_lo, s0
	s_mov_b32 s0, exec_lo
	v_cmpx_lt_u32_e32 0xffffff, v8
	s_cbranch_execz .LBB212_1102
; %bb.1095:                             ;   in Loop: Header=BB212_1069 Depth=1
	v_mov_b64_e32 v[12:13], 0x8000000000000000
	v_lshrrev_b32_e32 v9, 24, v8
	s_mov_b32 s8, exec_lo
	s_delay_alu instid0(VALU_DEP_1)
	v_cmpx_ne_u32_e32 0x80, v9
	s_cbranch_execz .LBB212_1101
; %bb.1096:                             ;   in Loop: Header=BB212_1069 Depth=1
	v_mov_b64_e32 v[12:13], 0x7f80000100000000
	v_bfe_u32 v11, v8, 24, 7
	s_mov_b32 s9, exec_lo
	s_delay_alu instid0(VALU_DEP_1)
	v_cmpx_ne_u32_e32 0x7f, v11
	s_cbranch_execz .LBB212_1100
; %bb.1097:                             ;   in Loop: Header=BB212_1069 Depth=1
	v_dual_lshrrev_b32 v8, 3, v11 :: v_dual_bitop2_b32 v114, 7, v9 bitop3:0x40
	s_mov_b32 s14, exec_lo
	v_cmpx_gt_u32_e32 8, v11
; %bb.1098:                             ;   in Loop: Header=BB212_1069 Depth=1
	s_delay_alu instid0(VALU_DEP_2) | instskip(NEXT) | instid1(VALU_DEP_1)
	v_clz_i32_u32_e32 v8, v114
	v_min_u32_e32 v8, 32, v8
	s_delay_alu instid0(VALU_DEP_1) | instskip(NEXT) | instid1(VALU_DEP_1)
	v_subrev_nc_u32_e32 v10, 28, v8
	v_lshlrev_b64_e32 v[10:11], v10, v[114:115]
	s_delay_alu instid0(VALU_DEP_1)
	v_dual_sub_nc_u32 v8, 29, v8 :: v_dual_bitop2_b32 v114, 7, v10 bitop3:0x40
; %bb.1099:                             ;   in Loop: Header=BB212_1069 Depth=1
	s_or_b32 exec_lo, exec_lo, s14
	s_delay_alu instid0(VALU_DEP_1) | instskip(NEXT) | instid1(VALU_DEP_2)
	v_dual_lshlrev_b32 v9, 24, v9 :: v_dual_lshlrev_b32 v10, 20, v114
	v_lshl_add_u32 v8, v8, 23, 0x3c000000
	v_mov_b32_e32 v12, v115
	s_delay_alu instid0(VALU_DEP_3) | instskip(NEXT) | instid1(VALU_DEP_1)
	v_and_b32_e32 v9, 0x80000000, v9
	v_or3_b32 v13, v10, v9, v8
.LBB212_1100:                           ;   in Loop: Header=BB212_1069 Depth=1
	s_or_b32 exec_lo, exec_lo, s9
.LBB212_1101:                           ;   in Loop: Header=BB212_1069 Depth=1
	s_delay_alu instid0(SALU_CYCLE_1)
	s_or_b32 exec_lo, exec_lo, s8
.LBB212_1102:                           ;   in Loop: Header=BB212_1069 Depth=1
	s_delay_alu instid0(SALU_CYCLE_1)
	s_or_b32 exec_lo, exec_lo, s0
	v_or_b32_e32 v0, v0, v6
	s_clause 0x2
	scratch_load_b32 v6, off, s32 offset:208
	scratch_load_b64 v[10:11], off, s32 offset:212
	scratch_load_b32 v9, off, s32 offset:484
	v_or_b32_e32 v1, v1, v7
	s_wait_loadcnt 0x2
	v_dual_add_nc_u32 v8, -1, v6 :: v_dual_bitop2_b32 v7, v13, v15 bitop3:0x54
	s_wait_loadcnt 0x0
	v_add_nc_u32_e32 v119, v9, v10
	v_or_b32_e32 v6, v12, v14
	s_delay_alu instid0(VALU_DEP_3) | instskip(NEXT) | instid1(VALU_DEP_3)
	v_cmp_eq_u32_e32 vcc_lo, v8, v117
	v_add_nc_u32_e32 v40, 1, v119
	s_wait_dscnt 0x1
	v_pk_mul_f32 v[0:1], v[82:83], v[0:1] op_sel_hi:[0,1]
	v_dual_add_nc_u32 v113, 2, v119 :: v_dual_add_nc_u32 v112, 3, v119
	scratch_store_b64 off, v[0:1], s32 offset:220 ; 8-byte Folded Spill
	s_wait_xcnt 0x0
	v_pk_mul_f32 v[0:1], v[82:83], v[6:7] op_sel_hi:[0,1]
	scratch_store_b64 off, v[0:1], s32 offset:192 ; 8-byte Folded Spill
	s_wait_xcnt 0x0
	s_and_saveexec_b32 s8, vcc_lo
	s_cbranch_execz .LBB212_1104
; %bb.1103:                             ;   in Loop: Header=BB212_1069 Depth=1
	s_clause 0x1
	scratch_load_b64 v[0:1], off, s32 offset:200
	scratch_load_b64 v[6:7], off, s32 offset:220 th:TH_LOAD_LU
	s_wait_loadcnt 0x1
	v_cmp_lt_i32_e64 s0, v119, v0
	s_wait_loadcnt 0x0
	s_delay_alu instid0(VALU_DEP_1) | instskip(SKIP_1) | instid1(VALU_DEP_1)
	v_cndmask_b32_e64 v6, 0, v6, s0
	v_cmp_lt_i32_e64 s0, v40, v0
	v_cndmask_b32_e64 v7, 0, v7, s0
	v_cmp_lt_i32_e64 s0, v113, v0
	s_clause 0x1
	scratch_store_b64 off, v[6:7], s32 offset:220
	scratch_load_b64 v[6:7], off, s32 offset:192 th:TH_LOAD_LU
	s_wait_loadcnt 0x0
	v_cndmask_b32_e64 v6, 0, v6, s0
	v_cmp_lt_i32_e64 s0, v112, v0
	s_delay_alu instid0(VALU_DEP_1)
	v_cndmask_b32_e64 v7, 0, v7, s0
	scratch_store_b64 off, v[6:7], s32 offset:192 ; 8-byte Folded Spill
.LBB212_1104:                           ;   in Loop: Header=BB212_1069 Depth=1
	s_wait_xcnt 0x0
	s_or_b32 exec_lo, exec_lo, s8
	flat_load_b32 v8, v[102:103] offset:128
	v_mov_b64_e32 v[0:1], 0
	v_mov_b64_e32 v[6:7], 0
	s_mov_b32 s8, exec_lo
	s_wait_loadcnt_dscnt 0x0
	v_and_b32_e32 v9, 0xff, v8
	s_wait_xcnt 0x0
	s_delay_alu instid0(VALU_DEP_1)
	v_cmpx_ne_u16_e32 0, v9
	s_cbranch_execz .LBB212_1112
; %bb.1105:                             ;   in Loop: Header=BB212_1069 Depth=1
	v_mov_b64_e32 v[6:7], 0x80000000
	s_mov_b32 s9, exec_lo
	v_cmpx_ne_u16_e32 0x80, v9
	s_cbranch_execz .LBB212_1111
; %bb.1106:                             ;   in Loop: Header=BB212_1069 Depth=1
	v_mov_b64_e32 v[6:7], 0x7f800001
	v_and_b32_e32 v9, 0x7f, v8
	s_mov_b32 s14, exec_lo
	s_delay_alu instid0(VALU_DEP_1)
	v_cmpx_ne_u32_e32 0x7f, v9
	s_cbranch_execz .LBB212_1110
; %bb.1107:                             ;   in Loop: Header=BB212_1069 Depth=1
	v_dual_lshrrev_b32 v6, 3, v9 :: v_dual_bitop2_b32 v114, 7, v8 bitop3:0x40
	s_mov_b32 s15, exec_lo
	v_cmpx_gt_u32_e32 8, v9
; %bb.1108:                             ;   in Loop: Header=BB212_1069 Depth=1
	s_delay_alu instid0(VALU_DEP_2) | instskip(NEXT) | instid1(VALU_DEP_1)
	v_clz_i32_u32_e32 v6, v114
	v_min_u32_e32 v6, 32, v6
	s_delay_alu instid0(VALU_DEP_1) | instskip(SKIP_1) | instid1(VALU_DEP_2)
	v_subrev_nc_u32_e32 v7, 28, v6
	v_sub_nc_u32_e32 v6, 29, v6
	v_lshlrev_b64_e32 v[10:11], v7, v[114:115]
	s_delay_alu instid0(VALU_DEP_1)
	v_and_b32_e32 v114, 7, v10
; %bb.1109:                             ;   in Loop: Header=BB212_1069 Depth=1
	s_or_b32 exec_lo, exec_lo, s15
	s_delay_alu instid0(VALU_DEP_1) | instskip(SKIP_1) | instid1(VALU_DEP_2)
	v_dual_lshlrev_b32 v7, 24, v8 :: v_dual_lshlrev_b32 v9, 20, v114
	v_lshl_add_u32 v6, v6, 23, 0x3c000000
	v_and_b32_e32 v7, 0x80000000, v7
	s_delay_alu instid0(VALU_DEP_1) | instskip(NEXT) | instid1(VALU_DEP_1)
	v_or3_b32 v114, v9, v7, v6
	v_mov_b64_e32 v[6:7], v[114:115]
.LBB212_1110:                           ;   in Loop: Header=BB212_1069 Depth=1
	s_or_b32 exec_lo, exec_lo, s14
.LBB212_1111:                           ;   in Loop: Header=BB212_1069 Depth=1
	s_delay_alu instid0(SALU_CYCLE_1)
	s_or_b32 exec_lo, exec_lo, s9
.LBB212_1112:                           ;   in Loop: Header=BB212_1069 Depth=1
	s_delay_alu instid0(SALU_CYCLE_1) | instskip(SKIP_2) | instid1(VALU_DEP_1)
	s_or_b32 exec_lo, exec_lo, s8
	v_lshrrev_b16 v9, 8, v8
	s_mov_b32 s8, exec_lo
	v_cmpx_ne_u16_e32 0, v9
	s_cbranch_execz .LBB212_1120
; %bb.1113:                             ;   in Loop: Header=BB212_1069 Depth=1
	v_mov_b64_e32 v[0:1], 0x8000000000000000
	s_mov_b32 s9, exec_lo
	v_cmpx_ne_u16_e32 0x80, v9
	s_cbranch_execz .LBB212_1119
; %bb.1114:                             ;   in Loop: Header=BB212_1069 Depth=1
	v_and_b32_e32 v11, 0xffff, v9
	v_mov_b64_e32 v[0:1], 0x7f80000100000000
	s_mov_b32 s14, exec_lo
	s_delay_alu instid0(VALU_DEP_2) | instskip(NEXT) | instid1(VALU_DEP_1)
	v_and_b32_e32 v9, 0x7f, v11
	v_cmpx_ne_u32_e32 0x7f, v9
	s_cbranch_execz .LBB212_1118
; %bb.1115:                             ;   in Loop: Header=BB212_1069 Depth=1
	v_dual_lshrrev_b32 v0, 3, v9 :: v_dual_bitop2_b32 v114, 7, v11 bitop3:0x40
	s_mov_b32 s15, exec_lo
	v_cmpx_gt_u32_e32 8, v9
; %bb.1116:                             ;   in Loop: Header=BB212_1069 Depth=1
	s_delay_alu instid0(VALU_DEP_2) | instskip(NEXT) | instid1(VALU_DEP_1)
	v_clz_i32_u32_e32 v0, v114
	v_min_u32_e32 v0, 32, v0
	s_delay_alu instid0(VALU_DEP_1) | instskip(NEXT) | instid1(VALU_DEP_1)
	v_subrev_nc_u32_e32 v1, 28, v0
	v_lshlrev_b64_e32 v[10:11], v1, v[114:115]
	s_delay_alu instid0(VALU_DEP_1)
	v_dual_sub_nc_u32 v0, 29, v0 :: v_dual_bitop2_b32 v114, 7, v10 bitop3:0x40
; %bb.1117:                             ;   in Loop: Header=BB212_1069 Depth=1
	s_or_b32 exec_lo, exec_lo, s15
	s_delay_alu instid0(VALU_DEP_1) | instskip(NEXT) | instid1(VALU_DEP_2)
	v_dual_lshlrev_b32 v1, 16, v8 :: v_dual_lshlrev_b32 v9, 20, v114
	v_lshl_add_u32 v0, v0, 23, 0x3c000000
	s_delay_alu instid0(VALU_DEP_2) | instskip(NEXT) | instid1(VALU_DEP_1)
	v_and_b32_e32 v1, 0x80000000, v1
	v_or3_b32 v1, v9, v1, v0
	v_mov_b32_e32 v0, v115
.LBB212_1118:                           ;   in Loop: Header=BB212_1069 Depth=1
	s_or_b32 exec_lo, exec_lo, s14
.LBB212_1119:                           ;   in Loop: Header=BB212_1069 Depth=1
	s_delay_alu instid0(SALU_CYCLE_1)
	s_or_b32 exec_lo, exec_lo, s9
.LBB212_1120:                           ;   in Loop: Header=BB212_1069 Depth=1
	s_delay_alu instid0(SALU_CYCLE_1) | instskip(SKIP_4) | instid1(VALU_DEP_3)
	s_or_b32 exec_lo, exec_lo, s8
	v_lshrrev_b32_e32 v9, 16, v8
	v_mov_b64_e32 v[12:13], 0
	v_mov_b64_e32 v[14:15], 0
	s_mov_b32 s8, exec_lo
	v_and_b32_e32 v11, 0xff, v9
	s_delay_alu instid0(VALU_DEP_1)
	v_cmpx_ne_u16_e32 0, v11
	s_cbranch_execz .LBB212_1128
; %bb.1121:                             ;   in Loop: Header=BB212_1069 Depth=1
	v_mov_b64_e32 v[14:15], 0x80000000
	s_mov_b32 s9, exec_lo
	v_cmpx_ne_u16_e32 0x80, v11
	s_cbranch_execz .LBB212_1127
; %bb.1122:                             ;   in Loop: Header=BB212_1069 Depth=1
	v_mov_b64_e32 v[14:15], 0x7f800001
	v_bfe_u32 v11, v8, 16, 7
	s_mov_b32 s14, exec_lo
	s_delay_alu instid0(VALU_DEP_1)
	v_cmpx_ne_u32_e32 0x7f, v11
	s_cbranch_execz .LBB212_1126
; %bb.1123:                             ;   in Loop: Header=BB212_1069 Depth=1
	v_dual_lshrrev_b32 v14, 3, v11 :: v_dual_bitop2_b32 v114, 7, v9 bitop3:0x40
	s_mov_b32 s15, exec_lo
	v_cmpx_gt_u32_e32 8, v11
; %bb.1124:                             ;   in Loop: Header=BB212_1069 Depth=1
	s_delay_alu instid0(VALU_DEP_2) | instskip(NEXT) | instid1(VALU_DEP_1)
	v_clz_i32_u32_e32 v10, v114
	v_min_u32_e32 v14, 32, v10
	s_delay_alu instid0(VALU_DEP_1) | instskip(SKIP_1) | instid1(VALU_DEP_2)
	v_subrev_nc_u32_e32 v10, 28, v14
	v_sub_nc_u32_e32 v14, 29, v14
	v_lshlrev_b64_e32 v[10:11], v10, v[114:115]
	s_delay_alu instid0(VALU_DEP_1)
	v_and_b32_e32 v114, 7, v10
; %bb.1125:                             ;   in Loop: Header=BB212_1069 Depth=1
	s_or_b32 exec_lo, exec_lo, s15
	s_delay_alu instid0(VALU_DEP_1) | instskip(SKIP_1) | instid1(VALU_DEP_2)
	v_dual_lshlrev_b32 v9, 24, v9 :: v_dual_lshlrev_b32 v10, 20, v114
	v_lshl_add_u32 v11, v14, 23, 0x3c000000
	v_and_b32_e32 v9, 0x80000000, v9
	s_delay_alu instid0(VALU_DEP_1) | instskip(NEXT) | instid1(VALU_DEP_1)
	v_or3_b32 v114, v10, v9, v11
	v_mov_b64_e32 v[14:15], v[114:115]
.LBB212_1126:                           ;   in Loop: Header=BB212_1069 Depth=1
	s_or_b32 exec_lo, exec_lo, s14
.LBB212_1127:                           ;   in Loop: Header=BB212_1069 Depth=1
	s_delay_alu instid0(SALU_CYCLE_1)
	s_or_b32 exec_lo, exec_lo, s9
.LBB212_1128:                           ;   in Loop: Header=BB212_1069 Depth=1
	s_delay_alu instid0(SALU_CYCLE_1) | instskip(NEXT) | instid1(SALU_CYCLE_1)
	s_or_b32 exec_lo, exec_lo, s8
	s_mov_b32 s8, exec_lo
	v_cmpx_lt_u32_e32 0xffffff, v8
	s_cbranch_execz .LBB212_1136
; %bb.1129:                             ;   in Loop: Header=BB212_1069 Depth=1
	v_mov_b64_e32 v[12:13], 0x8000000000000000
	v_lshrrev_b32_e32 v9, 24, v8
	s_mov_b32 s9, exec_lo
	s_delay_alu instid0(VALU_DEP_1)
	v_cmpx_ne_u32_e32 0x80, v9
	s_cbranch_execz .LBB212_1135
; %bb.1130:                             ;   in Loop: Header=BB212_1069 Depth=1
	v_mov_b64_e32 v[12:13], 0x7f80000100000000
	v_bfe_u32 v11, v8, 24, 7
	s_mov_b32 s14, exec_lo
	s_delay_alu instid0(VALU_DEP_1)
	v_cmpx_ne_u32_e32 0x7f, v11
	s_cbranch_execz .LBB212_1134
; %bb.1131:                             ;   in Loop: Header=BB212_1069 Depth=1
	v_dual_lshrrev_b32 v8, 3, v11 :: v_dual_bitop2_b32 v114, 7, v9 bitop3:0x40
	s_mov_b32 s15, exec_lo
	v_cmpx_gt_u32_e32 8, v11
; %bb.1132:                             ;   in Loop: Header=BB212_1069 Depth=1
	s_delay_alu instid0(VALU_DEP_2) | instskip(NEXT) | instid1(VALU_DEP_1)
	v_clz_i32_u32_e32 v8, v114
	v_min_u32_e32 v8, 32, v8
	s_delay_alu instid0(VALU_DEP_1) | instskip(NEXT) | instid1(VALU_DEP_1)
	v_subrev_nc_u32_e32 v10, 28, v8
	v_lshlrev_b64_e32 v[10:11], v10, v[114:115]
	s_delay_alu instid0(VALU_DEP_1)
	v_dual_sub_nc_u32 v8, 29, v8 :: v_dual_bitop2_b32 v114, 7, v10 bitop3:0x40
; %bb.1133:                             ;   in Loop: Header=BB212_1069 Depth=1
	s_or_b32 exec_lo, exec_lo, s15
	s_delay_alu instid0(VALU_DEP_1) | instskip(NEXT) | instid1(VALU_DEP_2)
	v_dual_lshlrev_b32 v9, 24, v9 :: v_dual_lshlrev_b32 v10, 20, v114
	v_lshl_add_u32 v8, v8, 23, 0x3c000000
	v_mov_b32_e32 v12, v115
	s_delay_alu instid0(VALU_DEP_3) | instskip(NEXT) | instid1(VALU_DEP_1)
	v_and_b32_e32 v9, 0x80000000, v9
	v_or3_b32 v13, v10, v9, v8
.LBB212_1134:                           ;   in Loop: Header=BB212_1069 Depth=1
	s_or_b32 exec_lo, exec_lo, s14
.LBB212_1135:                           ;   in Loop: Header=BB212_1069 Depth=1
	s_delay_alu instid0(SALU_CYCLE_1)
	s_or_b32 exec_lo, exec_lo, s9
.LBB212_1136:                           ;   in Loop: Header=BB212_1069 Depth=1
	s_delay_alu instid0(SALU_CYCLE_1) | instskip(SKIP_4) | instid1(VALU_DEP_3)
	s_or_b32 exec_lo, exec_lo, s8
	v_dual_mov_b32 v83, v82 :: v_dual_bitop2_b32 v1, v1, v7 bitop3:0x54
	v_or_b32_e32 v0, v0, v6
	v_or_b32_e32 v7, v13, v15
	;; [unrolled: 1-line block ×3, first 2 shown]
	v_pk_mul_f32 v[0:1], v[82:83], v[0:1]
	scratch_store_b64 off, v[0:1], s32 offset:260 ; 8-byte Folded Spill
	s_wait_xcnt 0x0
	v_pk_mul_f32 v[0:1], v[82:83], v[6:7]
	scratch_store_b64 off, v[0:1], s32 offset:252 ; 8-byte Folded Spill
	s_wait_xcnt 0x0
	s_and_saveexec_b32 s8, vcc_lo
	s_cbranch_execz .LBB212_1138
; %bb.1137:                             ;   in Loop: Header=BB212_1069 Depth=1
	s_clause 0x1
	scratch_load_b64 v[0:1], off, s32 offset:200
	scratch_load_b64 v[6:7], off, s32 offset:260 th:TH_LOAD_LU
	s_wait_loadcnt 0x1
	v_cmp_lt_i32_e64 s0, v119, v0
	s_wait_loadcnt 0x0
	s_delay_alu instid0(VALU_DEP_1) | instskip(SKIP_1) | instid1(VALU_DEP_1)
	v_cndmask_b32_e64 v6, 0, v6, s0
	v_cmp_lt_i32_e64 s0, v40, v0
	v_cndmask_b32_e64 v7, 0, v7, s0
	v_cmp_lt_i32_e64 s0, v113, v0
	s_clause 0x1
	scratch_store_b64 off, v[6:7], s32 offset:260
	scratch_load_b64 v[6:7], off, s32 offset:252 th:TH_LOAD_LU
	s_wait_loadcnt 0x0
	v_cndmask_b32_e64 v6, 0, v6, s0
	v_cmp_lt_i32_e64 s0, v112, v0
	s_delay_alu instid0(VALU_DEP_1)
	v_cndmask_b32_e64 v7, 0, v7, s0
	scratch_store_b64 off, v[6:7], s32 offset:252 ; 8-byte Folded Spill
.LBB212_1138:                           ;   in Loop: Header=BB212_1069 Depth=1
	s_wait_xcnt 0x0
	s_or_b32 exec_lo, exec_lo, s8
	flat_load_b32 v14, v[102:103] offset:256
	v_mov_b64_e32 v[0:1], 0
	v_mov_b64_e32 v[6:7], 0
	s_mov_b32 s8, exec_lo
	s_wait_loadcnt_dscnt 0x0
	v_and_b32_e32 v8, 0xff, v14
	s_wait_xcnt 0x0
	s_delay_alu instid0(VALU_DEP_1)
	v_cmpx_ne_u16_e32 0, v8
	s_cbranch_execz .LBB212_1146
; %bb.1139:                             ;   in Loop: Header=BB212_1069 Depth=1
	v_mov_b64_e32 v[6:7], 0x80000000
	s_mov_b32 s9, exec_lo
	v_cmpx_ne_u16_e32 0x80, v8
	s_cbranch_execz .LBB212_1145
; %bb.1140:                             ;   in Loop: Header=BB212_1069 Depth=1
	v_mov_b64_e32 v[6:7], 0x7f800001
	v_and_b32_e32 v8, 0x7f, v14
	s_mov_b32 s14, exec_lo
	s_delay_alu instid0(VALU_DEP_1)
	v_cmpx_ne_u32_e32 0x7f, v8
	s_cbranch_execz .LBB212_1144
; %bb.1141:                             ;   in Loop: Header=BB212_1069 Depth=1
	v_dual_lshrrev_b32 v6, 3, v8 :: v_dual_bitop2_b32 v114, 7, v14 bitop3:0x40
	s_mov_b32 s15, exec_lo
	v_cmpx_gt_u32_e32 8, v8
; %bb.1142:                             ;   in Loop: Header=BB212_1069 Depth=1
	s_delay_alu instid0(VALU_DEP_2) | instskip(NEXT) | instid1(VALU_DEP_1)
	v_clz_i32_u32_e32 v6, v114
	v_min_u32_e32 v6, 32, v6
	s_delay_alu instid0(VALU_DEP_1) | instskip(NEXT) | instid1(VALU_DEP_1)
	v_subrev_nc_u32_e32 v7, 28, v6
	v_lshlrev_b64_e32 v[8:9], v7, v[114:115]
	s_delay_alu instid0(VALU_DEP_1)
	v_dual_sub_nc_u32 v6, 29, v6 :: v_dual_bitop2_b32 v114, 7, v8 bitop3:0x40
; %bb.1143:                             ;   in Loop: Header=BB212_1069 Depth=1
	s_or_b32 exec_lo, exec_lo, s15
	v_lshlrev_b32_e32 v7, 24, v14
	s_delay_alu instid0(VALU_DEP_2) | instskip(NEXT) | instid1(VALU_DEP_3)
	v_lshlrev_b32_e32 v8, 20, v114
	v_lshl_add_u32 v6, v6, 23, 0x3c000000
	s_delay_alu instid0(VALU_DEP_3) | instskip(NEXT) | instid1(VALU_DEP_1)
	v_and_b32_e32 v7, 0x80000000, v7
	v_or3_b32 v114, v8, v7, v6
	s_delay_alu instid0(VALU_DEP_1)
	v_mov_b64_e32 v[6:7], v[114:115]
.LBB212_1144:                           ;   in Loop: Header=BB212_1069 Depth=1
	s_or_b32 exec_lo, exec_lo, s14
.LBB212_1145:                           ;   in Loop: Header=BB212_1069 Depth=1
	s_delay_alu instid0(SALU_CYCLE_1)
	s_or_b32 exec_lo, exec_lo, s9
.LBB212_1146:                           ;   in Loop: Header=BB212_1069 Depth=1
	s_delay_alu instid0(SALU_CYCLE_1) | instskip(SKIP_2) | instid1(VALU_DEP_1)
	s_or_b32 exec_lo, exec_lo, s8
	v_lshrrev_b16 v8, 8, v14
	s_mov_b32 s8, exec_lo
	v_cmpx_ne_u16_e32 0, v8
	s_cbranch_execz .LBB212_1154
; %bb.1147:                             ;   in Loop: Header=BB212_1069 Depth=1
	v_mov_b64_e32 v[0:1], 0x8000000000000000
	s_mov_b32 s9, exec_lo
	v_cmpx_ne_u16_e32 0x80, v8
	s_cbranch_execz .LBB212_1153
; %bb.1148:                             ;   in Loop: Header=BB212_1069 Depth=1
	v_and_b32_e32 v9, 0xffff, v8
	v_mov_b64_e32 v[0:1], 0x7f80000100000000
	s_mov_b32 s14, exec_lo
	s_delay_alu instid0(VALU_DEP_2) | instskip(NEXT) | instid1(VALU_DEP_1)
	v_and_b32_e32 v8, 0x7f, v9
	v_cmpx_ne_u32_e32 0x7f, v8
	s_cbranch_execz .LBB212_1152
; %bb.1149:                             ;   in Loop: Header=BB212_1069 Depth=1
	v_dual_lshrrev_b32 v0, 3, v8 :: v_dual_bitop2_b32 v114, 7, v9 bitop3:0x40
	s_mov_b32 s15, exec_lo
	v_cmpx_gt_u32_e32 8, v8
; %bb.1150:                             ;   in Loop: Header=BB212_1069 Depth=1
	s_delay_alu instid0(VALU_DEP_2) | instskip(NEXT) | instid1(VALU_DEP_1)
	v_clz_i32_u32_e32 v0, v114
	v_min_u32_e32 v0, 32, v0
	s_delay_alu instid0(VALU_DEP_1) | instskip(SKIP_1) | instid1(VALU_DEP_2)
	v_subrev_nc_u32_e32 v1, 28, v0
	v_sub_nc_u32_e32 v0, 29, v0
	v_lshlrev_b64_e32 v[8:9], v1, v[114:115]
	s_delay_alu instid0(VALU_DEP_1)
	v_and_b32_e32 v114, 7, v8
; %bb.1151:                             ;   in Loop: Header=BB212_1069 Depth=1
	s_or_b32 exec_lo, exec_lo, s15
	v_lshlrev_b32_e32 v1, 16, v14
	s_delay_alu instid0(VALU_DEP_2) | instskip(SKIP_1) | instid1(VALU_DEP_3)
	v_lshlrev_b32_e32 v8, 20, v114
	v_lshl_add_u32 v0, v0, 23, 0x3c000000
	v_and_b32_e32 v1, 0x80000000, v1
	s_delay_alu instid0(VALU_DEP_1)
	v_or3_b32 v1, v8, v1, v0
	v_mov_b32_e32 v0, v115
.LBB212_1152:                           ;   in Loop: Header=BB212_1069 Depth=1
	s_or_b32 exec_lo, exec_lo, s14
.LBB212_1153:                           ;   in Loop: Header=BB212_1069 Depth=1
	s_delay_alu instid0(SALU_CYCLE_1)
	s_or_b32 exec_lo, exec_lo, s9
.LBB212_1154:                           ;   in Loop: Header=BB212_1069 Depth=1
	s_delay_alu instid0(SALU_CYCLE_1) | instskip(SKIP_4) | instid1(VALU_DEP_3)
	s_or_b32 exec_lo, exec_lo, s8
	v_lshrrev_b32_e32 v15, 16, v14
	v_mov_b64_e32 v[12:13], 0
	v_mov_b64_e32 v[8:9], 0
	s_mov_b32 s8, exec_lo
	v_and_b32_e32 v11, 0xff, v15
	s_delay_alu instid0(VALU_DEP_1)
	v_cmpx_ne_u16_e32 0, v11
	s_cbranch_execz .LBB212_1162
; %bb.1155:                             ;   in Loop: Header=BB212_1069 Depth=1
	v_mov_b64_e32 v[8:9], 0x80000000
	s_mov_b32 s9, exec_lo
	v_cmpx_ne_u16_e32 0x80, v11
	s_cbranch_execz .LBB212_1161
; %bb.1156:                             ;   in Loop: Header=BB212_1069 Depth=1
	v_mov_b64_e32 v[8:9], 0x7f800001
	v_bfe_u32 v11, v14, 16, 7
	s_mov_b32 s14, exec_lo
	s_delay_alu instid0(VALU_DEP_1)
	v_cmpx_ne_u32_e32 0x7f, v11
	s_cbranch_execz .LBB212_1160
; %bb.1157:                             ;   in Loop: Header=BB212_1069 Depth=1
	v_and_b32_e32 v114, 7, v15
	v_lshrrev_b32_e32 v8, 3, v11
	s_mov_b32 s15, exec_lo
	v_cmpx_gt_u32_e32 8, v11
; %bb.1158:                             ;   in Loop: Header=BB212_1069 Depth=1
	s_delay_alu instid0(VALU_DEP_3) | instskip(NEXT) | instid1(VALU_DEP_1)
	v_clz_i32_u32_e32 v8, v114
	v_min_u32_e32 v8, 32, v8
	s_delay_alu instid0(VALU_DEP_1) | instskip(NEXT) | instid1(VALU_DEP_1)
	v_subrev_nc_u32_e32 v9, 28, v8
	v_lshlrev_b64_e32 v[10:11], v9, v[114:115]
	s_delay_alu instid0(VALU_DEP_1)
	v_dual_sub_nc_u32 v8, 29, v8 :: v_dual_bitop2_b32 v114, 7, v10 bitop3:0x40
; %bb.1159:                             ;   in Loop: Header=BB212_1069 Depth=1
	s_or_b32 exec_lo, exec_lo, s15
	s_delay_alu instid0(VALU_DEP_1) | instskip(NEXT) | instid1(VALU_DEP_2)
	v_dual_lshlrev_b32 v9, 24, v15 :: v_dual_lshlrev_b32 v10, 20, v114
	v_lshl_add_u32 v8, v8, 23, 0x3c000000
	s_delay_alu instid0(VALU_DEP_2) | instskip(NEXT) | instid1(VALU_DEP_1)
	v_and_b32_e32 v9, 0x80000000, v9
	v_or3_b32 v114, v10, v9, v8
	s_delay_alu instid0(VALU_DEP_1)
	v_mov_b64_e32 v[8:9], v[114:115]
.LBB212_1160:                           ;   in Loop: Header=BB212_1069 Depth=1
	s_or_b32 exec_lo, exec_lo, s14
.LBB212_1161:                           ;   in Loop: Header=BB212_1069 Depth=1
	s_delay_alu instid0(SALU_CYCLE_1)
	s_or_b32 exec_lo, exec_lo, s9
.LBB212_1162:                           ;   in Loop: Header=BB212_1069 Depth=1
	s_delay_alu instid0(SALU_CYCLE_1) | instskip(NEXT) | instid1(SALU_CYCLE_1)
	s_or_b32 exec_lo, exec_lo, s8
	s_mov_b32 s8, exec_lo
	v_cmpx_lt_u32_e32 0xffffff, v14
	s_cbranch_execz .LBB212_1170
; %bb.1163:                             ;   in Loop: Header=BB212_1069 Depth=1
	v_mov_b64_e32 v[12:13], 0x8000000000000000
	v_lshrrev_b32_e32 v15, 24, v14
	s_mov_b32 s9, exec_lo
	s_delay_alu instid0(VALU_DEP_1)
	v_cmpx_ne_u32_e32 0x80, v15
	s_cbranch_execz .LBB212_1169
; %bb.1164:                             ;   in Loop: Header=BB212_1069 Depth=1
	v_mov_b64_e32 v[12:13], 0x7f80000100000000
	v_bfe_u32 v11, v14, 24, 7
	s_mov_b32 s14, exec_lo
	s_delay_alu instid0(VALU_DEP_1)
	v_cmpx_ne_u32_e32 0x7f, v11
	s_cbranch_execz .LBB212_1168
; %bb.1165:                             ;   in Loop: Header=BB212_1069 Depth=1
	v_and_b32_e32 v114, 7, v15
	v_lshrrev_b32_e32 v12, 3, v11
	s_mov_b32 s15, exec_lo
	v_cmpx_gt_u32_e32 8, v11
; %bb.1166:                             ;   in Loop: Header=BB212_1069 Depth=1
	s_delay_alu instid0(VALU_DEP_3) | instskip(NEXT) | instid1(VALU_DEP_1)
	v_clz_i32_u32_e32 v10, v114
	v_min_u32_e32 v12, 32, v10
	s_delay_alu instid0(VALU_DEP_1) | instskip(NEXT) | instid1(VALU_DEP_1)
	v_subrev_nc_u32_e32 v10, 28, v12
	v_lshlrev_b64_e32 v[10:11], v10, v[114:115]
	s_delay_alu instid0(VALU_DEP_1)
	v_dual_sub_nc_u32 v12, 29, v12 :: v_dual_bitop2_b32 v114, 7, v10 bitop3:0x40
; %bb.1167:                             ;   in Loop: Header=BB212_1069 Depth=1
	s_or_b32 exec_lo, exec_lo, s15
	s_delay_alu instid0(VALU_DEP_1) | instskip(NEXT) | instid1(VALU_DEP_2)
	v_dual_lshlrev_b32 v10, 24, v15 :: v_dual_lshlrev_b32 v11, 20, v114
	v_lshl_add_u32 v12, v12, 23, 0x3c000000
	s_delay_alu instid0(VALU_DEP_2) | instskip(NEXT) | instid1(VALU_DEP_1)
	v_and_b32_e32 v10, 0x80000000, v10
	v_or3_b32 v13, v11, v10, v12
	v_mov_b32_e32 v12, v115
.LBB212_1168:                           ;   in Loop: Header=BB212_1069 Depth=1
	s_or_b32 exec_lo, exec_lo, s14
.LBB212_1169:                           ;   in Loop: Header=BB212_1069 Depth=1
	s_delay_alu instid0(SALU_CYCLE_1)
	s_or_b32 exec_lo, exec_lo, s9
.LBB212_1170:                           ;   in Loop: Header=BB212_1069 Depth=1
	s_delay_alu instid0(SALU_CYCLE_1) | instskip(SKIP_4) | instid1(VALU_DEP_3)
	s_or_b32 exec_lo, exec_lo, s8
	v_or_b32_e32 v1, v1, v7
	v_or_b32_e32 v0, v0, v6
	;; [unrolled: 1-line block ×4, first 2 shown]
	v_pk_mul_f32 v[0:1], v[82:83], v[0:1]
	scratch_store_b64 off, v[0:1], s32 offset:276 ; 8-byte Folded Spill
	s_wait_xcnt 0x0
	v_pk_mul_f32 v[0:1], v[82:83], v[6:7]
	scratch_store_b64 off, v[0:1], s32 offset:268 ; 8-byte Folded Spill
	s_wait_xcnt 0x0
	s_and_saveexec_b32 s8, vcc_lo
	s_cbranch_execz .LBB212_1172
; %bb.1171:                             ;   in Loop: Header=BB212_1069 Depth=1
	s_clause 0x1
	scratch_load_b64 v[0:1], off, s32 offset:200
	scratch_load_b64 v[6:7], off, s32 offset:276 th:TH_LOAD_LU
	s_wait_loadcnt 0x1
	v_cmp_lt_i32_e64 s0, v119, v0
	s_wait_loadcnt 0x0
	s_delay_alu instid0(VALU_DEP_1) | instskip(SKIP_1) | instid1(VALU_DEP_1)
	v_cndmask_b32_e64 v6, 0, v6, s0
	v_cmp_lt_i32_e64 s0, v40, v0
	v_cndmask_b32_e64 v7, 0, v7, s0
	v_cmp_lt_i32_e64 s0, v113, v0
	s_clause 0x1
	scratch_store_b64 off, v[6:7], s32 offset:276
	scratch_load_b64 v[6:7], off, s32 offset:268 th:TH_LOAD_LU
	s_wait_loadcnt 0x0
	v_cndmask_b32_e64 v6, 0, v6, s0
	v_cmp_lt_i32_e64 s0, v112, v0
	s_delay_alu instid0(VALU_DEP_1)
	v_cndmask_b32_e64 v7, 0, v7, s0
	scratch_store_b64 off, v[6:7], s32 offset:268 ; 8-byte Folded Spill
.LBB212_1172:                           ;   in Loop: Header=BB212_1069 Depth=1
	s_wait_xcnt 0x0
	s_or_b32 exec_lo, exec_lo, s8
	flat_load_b32 v14, v[102:103] offset:384
	v_mov_b64_e32 v[0:1], 0
	v_mov_b64_e32 v[6:7], 0
	s_mov_b32 s8, exec_lo
	s_wait_loadcnt_dscnt 0x0
	v_and_b32_e32 v8, 0xff, v14
	s_wait_xcnt 0x0
	s_delay_alu instid0(VALU_DEP_1)
	v_cmpx_ne_u16_e32 0, v8
	s_cbranch_execz .LBB212_1180
; %bb.1173:                             ;   in Loop: Header=BB212_1069 Depth=1
	v_mov_b64_e32 v[6:7], 0x80000000
	s_mov_b32 s9, exec_lo
	v_cmpx_ne_u16_e32 0x80, v8
	s_cbranch_execz .LBB212_1179
; %bb.1174:                             ;   in Loop: Header=BB212_1069 Depth=1
	v_mov_b64_e32 v[6:7], 0x7f800001
	v_and_b32_e32 v8, 0x7f, v14
	s_mov_b32 s14, exec_lo
	s_delay_alu instid0(VALU_DEP_1)
	v_cmpx_ne_u32_e32 0x7f, v8
	s_cbranch_execz .LBB212_1178
; %bb.1175:                             ;   in Loop: Header=BB212_1069 Depth=1
	v_dual_lshrrev_b32 v6, 3, v8 :: v_dual_bitop2_b32 v114, 7, v14 bitop3:0x40
	s_mov_b32 s15, exec_lo
	v_cmpx_gt_u32_e32 8, v8
; %bb.1176:                             ;   in Loop: Header=BB212_1069 Depth=1
	s_delay_alu instid0(VALU_DEP_2) | instskip(NEXT) | instid1(VALU_DEP_1)
	v_clz_i32_u32_e32 v6, v114
	v_min_u32_e32 v6, 32, v6
	s_delay_alu instid0(VALU_DEP_1) | instskip(NEXT) | instid1(VALU_DEP_1)
	v_subrev_nc_u32_e32 v7, 28, v6
	v_lshlrev_b64_e32 v[8:9], v7, v[114:115]
	s_delay_alu instid0(VALU_DEP_1)
	v_dual_sub_nc_u32 v6, 29, v6 :: v_dual_bitop2_b32 v114, 7, v8 bitop3:0x40
; %bb.1177:                             ;   in Loop: Header=BB212_1069 Depth=1
	s_or_b32 exec_lo, exec_lo, s15
	v_lshlrev_b32_e32 v7, 24, v14
	s_delay_alu instid0(VALU_DEP_2) | instskip(NEXT) | instid1(VALU_DEP_3)
	v_lshlrev_b32_e32 v8, 20, v114
	v_lshl_add_u32 v6, v6, 23, 0x3c000000
	s_delay_alu instid0(VALU_DEP_3) | instskip(NEXT) | instid1(VALU_DEP_1)
	v_and_b32_e32 v7, 0x80000000, v7
	v_or3_b32 v114, v8, v7, v6
	s_delay_alu instid0(VALU_DEP_1)
	v_mov_b64_e32 v[6:7], v[114:115]
.LBB212_1178:                           ;   in Loop: Header=BB212_1069 Depth=1
	s_or_b32 exec_lo, exec_lo, s14
.LBB212_1179:                           ;   in Loop: Header=BB212_1069 Depth=1
	s_delay_alu instid0(SALU_CYCLE_1)
	s_or_b32 exec_lo, exec_lo, s9
.LBB212_1180:                           ;   in Loop: Header=BB212_1069 Depth=1
	s_delay_alu instid0(SALU_CYCLE_1) | instskip(SKIP_2) | instid1(VALU_DEP_1)
	s_or_b32 exec_lo, exec_lo, s8
	v_lshrrev_b16 v8, 8, v14
	s_mov_b32 s8, exec_lo
	v_cmpx_ne_u16_e32 0, v8
	s_cbranch_execz .LBB212_1188
; %bb.1181:                             ;   in Loop: Header=BB212_1069 Depth=1
	v_mov_b64_e32 v[0:1], 0x8000000000000000
	s_mov_b32 s9, exec_lo
	v_cmpx_ne_u16_e32 0x80, v8
	s_cbranch_execz .LBB212_1187
; %bb.1182:                             ;   in Loop: Header=BB212_1069 Depth=1
	v_and_b32_e32 v9, 0xffff, v8
	v_mov_b64_e32 v[0:1], 0x7f80000100000000
	s_mov_b32 s14, exec_lo
	s_delay_alu instid0(VALU_DEP_2) | instskip(NEXT) | instid1(VALU_DEP_1)
	v_and_b32_e32 v8, 0x7f, v9
	v_cmpx_ne_u32_e32 0x7f, v8
	s_cbranch_execz .LBB212_1186
; %bb.1183:                             ;   in Loop: Header=BB212_1069 Depth=1
	v_dual_lshrrev_b32 v0, 3, v8 :: v_dual_bitop2_b32 v114, 7, v9 bitop3:0x40
	s_mov_b32 s15, exec_lo
	v_cmpx_gt_u32_e32 8, v8
; %bb.1184:                             ;   in Loop: Header=BB212_1069 Depth=1
	s_delay_alu instid0(VALU_DEP_2) | instskip(NEXT) | instid1(VALU_DEP_1)
	v_clz_i32_u32_e32 v0, v114
	v_min_u32_e32 v0, 32, v0
	s_delay_alu instid0(VALU_DEP_1) | instskip(SKIP_1) | instid1(VALU_DEP_2)
	v_subrev_nc_u32_e32 v1, 28, v0
	v_sub_nc_u32_e32 v0, 29, v0
	v_lshlrev_b64_e32 v[8:9], v1, v[114:115]
	s_delay_alu instid0(VALU_DEP_1)
	v_and_b32_e32 v114, 7, v8
; %bb.1185:                             ;   in Loop: Header=BB212_1069 Depth=1
	s_or_b32 exec_lo, exec_lo, s15
	v_lshlrev_b32_e32 v1, 16, v14
	s_delay_alu instid0(VALU_DEP_2) | instskip(SKIP_1) | instid1(VALU_DEP_3)
	v_lshlrev_b32_e32 v8, 20, v114
	v_lshl_add_u32 v0, v0, 23, 0x3c000000
	v_and_b32_e32 v1, 0x80000000, v1
	s_delay_alu instid0(VALU_DEP_1)
	v_or3_b32 v1, v8, v1, v0
	v_mov_b32_e32 v0, v115
.LBB212_1186:                           ;   in Loop: Header=BB212_1069 Depth=1
	s_or_b32 exec_lo, exec_lo, s14
.LBB212_1187:                           ;   in Loop: Header=BB212_1069 Depth=1
	s_delay_alu instid0(SALU_CYCLE_1)
	s_or_b32 exec_lo, exec_lo, s9
.LBB212_1188:                           ;   in Loop: Header=BB212_1069 Depth=1
	s_delay_alu instid0(SALU_CYCLE_1) | instskip(SKIP_4) | instid1(VALU_DEP_3)
	s_or_b32 exec_lo, exec_lo, s8
	v_lshrrev_b32_e32 v15, 16, v14
	v_mov_b64_e32 v[12:13], 0
	v_mov_b64_e32 v[8:9], 0
	s_mov_b32 s8, exec_lo
	v_and_b32_e32 v11, 0xff, v15
	s_delay_alu instid0(VALU_DEP_1)
	v_cmpx_ne_u16_e32 0, v11
	s_cbranch_execz .LBB212_1196
; %bb.1189:                             ;   in Loop: Header=BB212_1069 Depth=1
	v_mov_b64_e32 v[8:9], 0x80000000
	s_mov_b32 s9, exec_lo
	v_cmpx_ne_u16_e32 0x80, v11
	s_cbranch_execz .LBB212_1195
; %bb.1190:                             ;   in Loop: Header=BB212_1069 Depth=1
	v_mov_b64_e32 v[8:9], 0x7f800001
	v_bfe_u32 v11, v14, 16, 7
	s_mov_b32 s14, exec_lo
	s_delay_alu instid0(VALU_DEP_1)
	v_cmpx_ne_u32_e32 0x7f, v11
	s_cbranch_execz .LBB212_1194
; %bb.1191:                             ;   in Loop: Header=BB212_1069 Depth=1
	v_and_b32_e32 v114, 7, v15
	v_lshrrev_b32_e32 v8, 3, v11
	s_mov_b32 s15, exec_lo
	v_cmpx_gt_u32_e32 8, v11
; %bb.1192:                             ;   in Loop: Header=BB212_1069 Depth=1
	s_delay_alu instid0(VALU_DEP_3) | instskip(NEXT) | instid1(VALU_DEP_1)
	v_clz_i32_u32_e32 v8, v114
	v_min_u32_e32 v8, 32, v8
	s_delay_alu instid0(VALU_DEP_1) | instskip(NEXT) | instid1(VALU_DEP_1)
	v_subrev_nc_u32_e32 v9, 28, v8
	v_lshlrev_b64_e32 v[10:11], v9, v[114:115]
	s_delay_alu instid0(VALU_DEP_1)
	v_dual_sub_nc_u32 v8, 29, v8 :: v_dual_bitop2_b32 v114, 7, v10 bitop3:0x40
; %bb.1193:                             ;   in Loop: Header=BB212_1069 Depth=1
	s_or_b32 exec_lo, exec_lo, s15
	s_delay_alu instid0(VALU_DEP_1) | instskip(NEXT) | instid1(VALU_DEP_2)
	v_dual_lshlrev_b32 v9, 24, v15 :: v_dual_lshlrev_b32 v10, 20, v114
	v_lshl_add_u32 v8, v8, 23, 0x3c000000
	s_delay_alu instid0(VALU_DEP_2) | instskip(NEXT) | instid1(VALU_DEP_1)
	v_and_b32_e32 v9, 0x80000000, v9
	v_or3_b32 v114, v10, v9, v8
	s_delay_alu instid0(VALU_DEP_1)
	v_mov_b64_e32 v[8:9], v[114:115]
.LBB212_1194:                           ;   in Loop: Header=BB212_1069 Depth=1
	s_or_b32 exec_lo, exec_lo, s14
.LBB212_1195:                           ;   in Loop: Header=BB212_1069 Depth=1
	s_delay_alu instid0(SALU_CYCLE_1)
	s_or_b32 exec_lo, exec_lo, s9
.LBB212_1196:                           ;   in Loop: Header=BB212_1069 Depth=1
	s_delay_alu instid0(SALU_CYCLE_1) | instskip(NEXT) | instid1(SALU_CYCLE_1)
	s_or_b32 exec_lo, exec_lo, s8
	s_mov_b32 s8, exec_lo
	v_cmpx_lt_u32_e32 0xffffff, v14
	s_cbranch_execz .LBB212_1204
; %bb.1197:                             ;   in Loop: Header=BB212_1069 Depth=1
	v_mov_b64_e32 v[12:13], 0x8000000000000000
	v_lshrrev_b32_e32 v15, 24, v14
	s_mov_b32 s9, exec_lo
	s_delay_alu instid0(VALU_DEP_1)
	v_cmpx_ne_u32_e32 0x80, v15
	s_cbranch_execz .LBB212_1203
; %bb.1198:                             ;   in Loop: Header=BB212_1069 Depth=1
	v_mov_b64_e32 v[12:13], 0x7f80000100000000
	v_bfe_u32 v11, v14, 24, 7
	s_mov_b32 s14, exec_lo
	s_delay_alu instid0(VALU_DEP_1)
	v_cmpx_ne_u32_e32 0x7f, v11
	s_cbranch_execz .LBB212_1202
; %bb.1199:                             ;   in Loop: Header=BB212_1069 Depth=1
	v_and_b32_e32 v114, 7, v15
	v_lshrrev_b32_e32 v12, 3, v11
	s_mov_b32 s15, exec_lo
	v_cmpx_gt_u32_e32 8, v11
; %bb.1200:                             ;   in Loop: Header=BB212_1069 Depth=1
	s_delay_alu instid0(VALU_DEP_3) | instskip(NEXT) | instid1(VALU_DEP_1)
	v_clz_i32_u32_e32 v10, v114
	v_min_u32_e32 v12, 32, v10
	s_delay_alu instid0(VALU_DEP_1) | instskip(NEXT) | instid1(VALU_DEP_1)
	v_subrev_nc_u32_e32 v10, 28, v12
	v_lshlrev_b64_e32 v[10:11], v10, v[114:115]
	s_delay_alu instid0(VALU_DEP_1)
	v_dual_sub_nc_u32 v12, 29, v12 :: v_dual_bitop2_b32 v114, 7, v10 bitop3:0x40
; %bb.1201:                             ;   in Loop: Header=BB212_1069 Depth=1
	s_or_b32 exec_lo, exec_lo, s15
	s_delay_alu instid0(VALU_DEP_1) | instskip(NEXT) | instid1(VALU_DEP_2)
	v_dual_lshlrev_b32 v10, 24, v15 :: v_dual_lshlrev_b32 v11, 20, v114
	v_lshl_add_u32 v12, v12, 23, 0x3c000000
	s_delay_alu instid0(VALU_DEP_2) | instskip(NEXT) | instid1(VALU_DEP_1)
	v_and_b32_e32 v10, 0x80000000, v10
	v_or3_b32 v13, v11, v10, v12
	v_mov_b32_e32 v12, v115
.LBB212_1202:                           ;   in Loop: Header=BB212_1069 Depth=1
	s_or_b32 exec_lo, exec_lo, s14
.LBB212_1203:                           ;   in Loop: Header=BB212_1069 Depth=1
	s_delay_alu instid0(SALU_CYCLE_1)
	s_or_b32 exec_lo, exec_lo, s9
.LBB212_1204:                           ;   in Loop: Header=BB212_1069 Depth=1
	s_delay_alu instid0(SALU_CYCLE_1) | instskip(SKIP_4) | instid1(VALU_DEP_3)
	s_or_b32 exec_lo, exec_lo, s8
	v_or_b32_e32 v1, v1, v7
	v_or_b32_e32 v0, v0, v6
	;; [unrolled: 1-line block ×4, first 2 shown]
	v_pk_mul_f32 v[0:1], v[82:83], v[0:1]
	scratch_store_b64 off, v[0:1], s32 offset:292 ; 8-byte Folded Spill
	s_wait_xcnt 0x0
	v_pk_mul_f32 v[0:1], v[82:83], v[6:7]
	scratch_store_b64 off, v[0:1], s32 offset:284 ; 8-byte Folded Spill
	s_wait_xcnt 0x0
	s_and_saveexec_b32 s8, vcc_lo
	s_cbranch_execz .LBB212_1206
; %bb.1205:                             ;   in Loop: Header=BB212_1069 Depth=1
	s_clause 0x1
	scratch_load_b64 v[0:1], off, s32 offset:200
	scratch_load_b64 v[6:7], off, s32 offset:292 th:TH_LOAD_LU
	s_wait_loadcnt 0x1
	v_cmp_lt_i32_e64 s0, v119, v0
	s_wait_loadcnt 0x0
	s_delay_alu instid0(VALU_DEP_1) | instskip(SKIP_1) | instid1(VALU_DEP_1)
	v_cndmask_b32_e64 v6, 0, v6, s0
	v_cmp_lt_i32_e64 s0, v40, v0
	v_cndmask_b32_e64 v7, 0, v7, s0
	v_cmp_lt_i32_e64 s0, v113, v0
	s_clause 0x1
	scratch_store_b64 off, v[6:7], s32 offset:292
	scratch_load_b64 v[6:7], off, s32 offset:284 th:TH_LOAD_LU
	s_wait_loadcnt 0x0
	v_cndmask_b32_e64 v6, 0, v6, s0
	v_cmp_lt_i32_e64 s0, v112, v0
	s_delay_alu instid0(VALU_DEP_1)
	v_cndmask_b32_e64 v7, 0, v7, s0
	scratch_store_b64 off, v[6:7], s32 offset:284 ; 8-byte Folded Spill
.LBB212_1206:                           ;   in Loop: Header=BB212_1069 Depth=1
	s_wait_xcnt 0x0
	s_or_b32 exec_lo, exec_lo, s8
	flat_load_b32 v14, v[102:103] offset:512
	v_mov_b64_e32 v[0:1], 0
	v_mov_b64_e32 v[6:7], 0
	s_mov_b32 s8, exec_lo
	s_wait_loadcnt_dscnt 0x0
	v_and_b32_e32 v8, 0xff, v14
	s_wait_xcnt 0x0
	s_delay_alu instid0(VALU_DEP_1)
	v_cmpx_ne_u16_e32 0, v8
	s_cbranch_execz .LBB212_1214
; %bb.1207:                             ;   in Loop: Header=BB212_1069 Depth=1
	v_mov_b64_e32 v[6:7], 0x80000000
	s_mov_b32 s9, exec_lo
	v_cmpx_ne_u16_e32 0x80, v8
	s_cbranch_execz .LBB212_1213
; %bb.1208:                             ;   in Loop: Header=BB212_1069 Depth=1
	v_mov_b64_e32 v[6:7], 0x7f800001
	v_and_b32_e32 v8, 0x7f, v14
	s_mov_b32 s14, exec_lo
	s_delay_alu instid0(VALU_DEP_1)
	v_cmpx_ne_u32_e32 0x7f, v8
	s_cbranch_execz .LBB212_1212
; %bb.1209:                             ;   in Loop: Header=BB212_1069 Depth=1
	v_dual_lshrrev_b32 v6, 3, v8 :: v_dual_bitop2_b32 v114, 7, v14 bitop3:0x40
	s_mov_b32 s15, exec_lo
	v_cmpx_gt_u32_e32 8, v8
; %bb.1210:                             ;   in Loop: Header=BB212_1069 Depth=1
	s_delay_alu instid0(VALU_DEP_2) | instskip(NEXT) | instid1(VALU_DEP_1)
	v_clz_i32_u32_e32 v6, v114
	v_min_u32_e32 v6, 32, v6
	s_delay_alu instid0(VALU_DEP_1) | instskip(NEXT) | instid1(VALU_DEP_1)
	v_subrev_nc_u32_e32 v7, 28, v6
	v_lshlrev_b64_e32 v[8:9], v7, v[114:115]
	s_delay_alu instid0(VALU_DEP_1)
	v_dual_sub_nc_u32 v6, 29, v6 :: v_dual_bitop2_b32 v114, 7, v8 bitop3:0x40
; %bb.1211:                             ;   in Loop: Header=BB212_1069 Depth=1
	s_or_b32 exec_lo, exec_lo, s15
	v_lshlrev_b32_e32 v7, 24, v14
	s_delay_alu instid0(VALU_DEP_2) | instskip(NEXT) | instid1(VALU_DEP_3)
	v_lshlrev_b32_e32 v8, 20, v114
	v_lshl_add_u32 v6, v6, 23, 0x3c000000
	s_delay_alu instid0(VALU_DEP_3) | instskip(NEXT) | instid1(VALU_DEP_1)
	v_and_b32_e32 v7, 0x80000000, v7
	v_or3_b32 v114, v8, v7, v6
	s_delay_alu instid0(VALU_DEP_1)
	v_mov_b64_e32 v[6:7], v[114:115]
.LBB212_1212:                           ;   in Loop: Header=BB212_1069 Depth=1
	s_or_b32 exec_lo, exec_lo, s14
.LBB212_1213:                           ;   in Loop: Header=BB212_1069 Depth=1
	s_delay_alu instid0(SALU_CYCLE_1)
	s_or_b32 exec_lo, exec_lo, s9
.LBB212_1214:                           ;   in Loop: Header=BB212_1069 Depth=1
	s_delay_alu instid0(SALU_CYCLE_1) | instskip(SKIP_2) | instid1(VALU_DEP_1)
	s_or_b32 exec_lo, exec_lo, s8
	v_lshrrev_b16 v8, 8, v14
	s_mov_b32 s8, exec_lo
	v_cmpx_ne_u16_e32 0, v8
	s_cbranch_execz .LBB212_1222
; %bb.1215:                             ;   in Loop: Header=BB212_1069 Depth=1
	v_mov_b64_e32 v[0:1], 0x8000000000000000
	s_mov_b32 s9, exec_lo
	v_cmpx_ne_u16_e32 0x80, v8
	s_cbranch_execz .LBB212_1221
; %bb.1216:                             ;   in Loop: Header=BB212_1069 Depth=1
	v_and_b32_e32 v9, 0xffff, v8
	v_mov_b64_e32 v[0:1], 0x7f80000100000000
	s_mov_b32 s14, exec_lo
	s_delay_alu instid0(VALU_DEP_2) | instskip(NEXT) | instid1(VALU_DEP_1)
	v_and_b32_e32 v8, 0x7f, v9
	v_cmpx_ne_u32_e32 0x7f, v8
	s_cbranch_execz .LBB212_1220
; %bb.1217:                             ;   in Loop: Header=BB212_1069 Depth=1
	v_dual_lshrrev_b32 v0, 3, v8 :: v_dual_bitop2_b32 v114, 7, v9 bitop3:0x40
	s_mov_b32 s15, exec_lo
	v_cmpx_gt_u32_e32 8, v8
; %bb.1218:                             ;   in Loop: Header=BB212_1069 Depth=1
	s_delay_alu instid0(VALU_DEP_2) | instskip(NEXT) | instid1(VALU_DEP_1)
	v_clz_i32_u32_e32 v0, v114
	v_min_u32_e32 v0, 32, v0
	s_delay_alu instid0(VALU_DEP_1) | instskip(SKIP_1) | instid1(VALU_DEP_2)
	v_subrev_nc_u32_e32 v1, 28, v0
	v_sub_nc_u32_e32 v0, 29, v0
	v_lshlrev_b64_e32 v[8:9], v1, v[114:115]
	s_delay_alu instid0(VALU_DEP_1)
	v_and_b32_e32 v114, 7, v8
; %bb.1219:                             ;   in Loop: Header=BB212_1069 Depth=1
	s_or_b32 exec_lo, exec_lo, s15
	v_lshlrev_b32_e32 v1, 16, v14
	s_delay_alu instid0(VALU_DEP_2) | instskip(SKIP_1) | instid1(VALU_DEP_3)
	v_lshlrev_b32_e32 v8, 20, v114
	v_lshl_add_u32 v0, v0, 23, 0x3c000000
	v_and_b32_e32 v1, 0x80000000, v1
	s_delay_alu instid0(VALU_DEP_1)
	v_or3_b32 v1, v8, v1, v0
	v_mov_b32_e32 v0, v115
.LBB212_1220:                           ;   in Loop: Header=BB212_1069 Depth=1
	s_or_b32 exec_lo, exec_lo, s14
.LBB212_1221:                           ;   in Loop: Header=BB212_1069 Depth=1
	s_delay_alu instid0(SALU_CYCLE_1)
	s_or_b32 exec_lo, exec_lo, s9
.LBB212_1222:                           ;   in Loop: Header=BB212_1069 Depth=1
	s_delay_alu instid0(SALU_CYCLE_1) | instskip(SKIP_4) | instid1(VALU_DEP_3)
	s_or_b32 exec_lo, exec_lo, s8
	v_lshrrev_b32_e32 v15, 16, v14
	v_mov_b64_e32 v[12:13], 0
	v_mov_b64_e32 v[8:9], 0
	s_mov_b32 s8, exec_lo
	v_and_b32_e32 v11, 0xff, v15
	s_delay_alu instid0(VALU_DEP_1)
	v_cmpx_ne_u16_e32 0, v11
	s_cbranch_execz .LBB212_1230
; %bb.1223:                             ;   in Loop: Header=BB212_1069 Depth=1
	v_mov_b64_e32 v[8:9], 0x80000000
	s_mov_b32 s9, exec_lo
	v_cmpx_ne_u16_e32 0x80, v11
	s_cbranch_execz .LBB212_1229
; %bb.1224:                             ;   in Loop: Header=BB212_1069 Depth=1
	v_mov_b64_e32 v[8:9], 0x7f800001
	v_bfe_u32 v11, v14, 16, 7
	s_mov_b32 s14, exec_lo
	s_delay_alu instid0(VALU_DEP_1)
	v_cmpx_ne_u32_e32 0x7f, v11
	s_cbranch_execz .LBB212_1228
; %bb.1225:                             ;   in Loop: Header=BB212_1069 Depth=1
	v_and_b32_e32 v114, 7, v15
	v_lshrrev_b32_e32 v8, 3, v11
	s_mov_b32 s15, exec_lo
	v_cmpx_gt_u32_e32 8, v11
; %bb.1226:                             ;   in Loop: Header=BB212_1069 Depth=1
	s_delay_alu instid0(VALU_DEP_3) | instskip(NEXT) | instid1(VALU_DEP_1)
	v_clz_i32_u32_e32 v8, v114
	v_min_u32_e32 v8, 32, v8
	s_delay_alu instid0(VALU_DEP_1) | instskip(NEXT) | instid1(VALU_DEP_1)
	v_subrev_nc_u32_e32 v9, 28, v8
	v_lshlrev_b64_e32 v[10:11], v9, v[114:115]
	s_delay_alu instid0(VALU_DEP_1)
	v_dual_sub_nc_u32 v8, 29, v8 :: v_dual_bitop2_b32 v114, 7, v10 bitop3:0x40
; %bb.1227:                             ;   in Loop: Header=BB212_1069 Depth=1
	s_or_b32 exec_lo, exec_lo, s15
	s_delay_alu instid0(VALU_DEP_1) | instskip(NEXT) | instid1(VALU_DEP_2)
	v_dual_lshlrev_b32 v9, 24, v15 :: v_dual_lshlrev_b32 v10, 20, v114
	v_lshl_add_u32 v8, v8, 23, 0x3c000000
	s_delay_alu instid0(VALU_DEP_2) | instskip(NEXT) | instid1(VALU_DEP_1)
	v_and_b32_e32 v9, 0x80000000, v9
	v_or3_b32 v114, v10, v9, v8
	s_delay_alu instid0(VALU_DEP_1)
	v_mov_b64_e32 v[8:9], v[114:115]
.LBB212_1228:                           ;   in Loop: Header=BB212_1069 Depth=1
	s_or_b32 exec_lo, exec_lo, s14
.LBB212_1229:                           ;   in Loop: Header=BB212_1069 Depth=1
	s_delay_alu instid0(SALU_CYCLE_1)
	s_or_b32 exec_lo, exec_lo, s9
.LBB212_1230:                           ;   in Loop: Header=BB212_1069 Depth=1
	s_delay_alu instid0(SALU_CYCLE_1) | instskip(NEXT) | instid1(SALU_CYCLE_1)
	s_or_b32 exec_lo, exec_lo, s8
	s_mov_b32 s8, exec_lo
	v_cmpx_lt_u32_e32 0xffffff, v14
	s_cbranch_execz .LBB212_1238
; %bb.1231:                             ;   in Loop: Header=BB212_1069 Depth=1
	v_mov_b64_e32 v[12:13], 0x8000000000000000
	v_lshrrev_b32_e32 v15, 24, v14
	s_mov_b32 s9, exec_lo
	s_delay_alu instid0(VALU_DEP_1)
	v_cmpx_ne_u32_e32 0x80, v15
	s_cbranch_execz .LBB212_1237
; %bb.1232:                             ;   in Loop: Header=BB212_1069 Depth=1
	v_mov_b64_e32 v[12:13], 0x7f80000100000000
	v_bfe_u32 v11, v14, 24, 7
	s_mov_b32 s14, exec_lo
	s_delay_alu instid0(VALU_DEP_1)
	v_cmpx_ne_u32_e32 0x7f, v11
	s_cbranch_execz .LBB212_1236
; %bb.1233:                             ;   in Loop: Header=BB212_1069 Depth=1
	v_and_b32_e32 v114, 7, v15
	v_lshrrev_b32_e32 v12, 3, v11
	s_mov_b32 s15, exec_lo
	v_cmpx_gt_u32_e32 8, v11
; %bb.1234:                             ;   in Loop: Header=BB212_1069 Depth=1
	s_delay_alu instid0(VALU_DEP_3) | instskip(NEXT) | instid1(VALU_DEP_1)
	v_clz_i32_u32_e32 v10, v114
	v_min_u32_e32 v12, 32, v10
	s_delay_alu instid0(VALU_DEP_1) | instskip(NEXT) | instid1(VALU_DEP_1)
	v_subrev_nc_u32_e32 v10, 28, v12
	v_lshlrev_b64_e32 v[10:11], v10, v[114:115]
	s_delay_alu instid0(VALU_DEP_1)
	v_dual_sub_nc_u32 v12, 29, v12 :: v_dual_bitop2_b32 v114, 7, v10 bitop3:0x40
; %bb.1235:                             ;   in Loop: Header=BB212_1069 Depth=1
	s_or_b32 exec_lo, exec_lo, s15
	s_delay_alu instid0(VALU_DEP_1) | instskip(NEXT) | instid1(VALU_DEP_2)
	v_dual_lshlrev_b32 v10, 24, v15 :: v_dual_lshlrev_b32 v11, 20, v114
	v_lshl_add_u32 v12, v12, 23, 0x3c000000
	s_delay_alu instid0(VALU_DEP_2) | instskip(NEXT) | instid1(VALU_DEP_1)
	v_and_b32_e32 v10, 0x80000000, v10
	v_or3_b32 v13, v11, v10, v12
	v_mov_b32_e32 v12, v115
.LBB212_1236:                           ;   in Loop: Header=BB212_1069 Depth=1
	s_or_b32 exec_lo, exec_lo, s14
.LBB212_1237:                           ;   in Loop: Header=BB212_1069 Depth=1
	s_delay_alu instid0(SALU_CYCLE_1)
	s_or_b32 exec_lo, exec_lo, s9
.LBB212_1238:                           ;   in Loop: Header=BB212_1069 Depth=1
	s_delay_alu instid0(SALU_CYCLE_1) | instskip(SKIP_4) | instid1(VALU_DEP_3)
	s_or_b32 exec_lo, exec_lo, s8
	v_or_b32_e32 v1, v1, v7
	v_or_b32_e32 v0, v0, v6
	;; [unrolled: 1-line block ×4, first 2 shown]
	v_pk_mul_f32 v[0:1], v[82:83], v[0:1]
	scratch_store_b64 off, v[0:1], s32 offset:308 ; 8-byte Folded Spill
	s_wait_xcnt 0x0
	v_pk_mul_f32 v[0:1], v[82:83], v[6:7]
	scratch_store_b64 off, v[0:1], s32 offset:300 ; 8-byte Folded Spill
	s_wait_xcnt 0x0
	s_and_saveexec_b32 s8, vcc_lo
	s_cbranch_execz .LBB212_1240
; %bb.1239:                             ;   in Loop: Header=BB212_1069 Depth=1
	s_clause 0x1
	scratch_load_b64 v[0:1], off, s32 offset:200
	scratch_load_b64 v[6:7], off, s32 offset:308 th:TH_LOAD_LU
	s_wait_loadcnt 0x1
	v_cmp_lt_i32_e64 s0, v119, v0
	s_wait_loadcnt 0x0
	s_delay_alu instid0(VALU_DEP_1) | instskip(SKIP_1) | instid1(VALU_DEP_1)
	v_cndmask_b32_e64 v6, 0, v6, s0
	v_cmp_lt_i32_e64 s0, v40, v0
	v_cndmask_b32_e64 v7, 0, v7, s0
	v_cmp_lt_i32_e64 s0, v113, v0
	s_clause 0x1
	scratch_store_b64 off, v[6:7], s32 offset:308
	scratch_load_b64 v[6:7], off, s32 offset:300 th:TH_LOAD_LU
	s_wait_loadcnt 0x0
	v_cndmask_b32_e64 v6, 0, v6, s0
	v_cmp_lt_i32_e64 s0, v112, v0
	s_delay_alu instid0(VALU_DEP_1)
	v_cndmask_b32_e64 v7, 0, v7, s0
	scratch_store_b64 off, v[6:7], s32 offset:300 ; 8-byte Folded Spill
.LBB212_1240:                           ;   in Loop: Header=BB212_1069 Depth=1
	s_wait_xcnt 0x0
	s_or_b32 exec_lo, exec_lo, s8
	flat_load_b32 v14, v[102:103] offset:640
	v_mov_b64_e32 v[0:1], 0
	v_mov_b64_e32 v[6:7], 0
	s_mov_b32 s8, exec_lo
	s_wait_loadcnt_dscnt 0x0
	v_and_b32_e32 v8, 0xff, v14
	s_wait_xcnt 0x0
	s_delay_alu instid0(VALU_DEP_1)
	v_cmpx_ne_u16_e32 0, v8
	s_cbranch_execz .LBB212_1248
; %bb.1241:                             ;   in Loop: Header=BB212_1069 Depth=1
	v_mov_b64_e32 v[6:7], 0x80000000
	s_mov_b32 s9, exec_lo
	v_cmpx_ne_u16_e32 0x80, v8
	s_cbranch_execz .LBB212_1247
; %bb.1242:                             ;   in Loop: Header=BB212_1069 Depth=1
	v_mov_b64_e32 v[6:7], 0x7f800001
	v_and_b32_e32 v8, 0x7f, v14
	s_mov_b32 s14, exec_lo
	s_delay_alu instid0(VALU_DEP_1)
	v_cmpx_ne_u32_e32 0x7f, v8
	s_cbranch_execz .LBB212_1246
; %bb.1243:                             ;   in Loop: Header=BB212_1069 Depth=1
	v_dual_lshrrev_b32 v6, 3, v8 :: v_dual_bitop2_b32 v114, 7, v14 bitop3:0x40
	s_mov_b32 s15, exec_lo
	v_cmpx_gt_u32_e32 8, v8
; %bb.1244:                             ;   in Loop: Header=BB212_1069 Depth=1
	s_delay_alu instid0(VALU_DEP_2) | instskip(NEXT) | instid1(VALU_DEP_1)
	v_clz_i32_u32_e32 v6, v114
	v_min_u32_e32 v6, 32, v6
	s_delay_alu instid0(VALU_DEP_1) | instskip(NEXT) | instid1(VALU_DEP_1)
	v_subrev_nc_u32_e32 v7, 28, v6
	v_lshlrev_b64_e32 v[8:9], v7, v[114:115]
	s_delay_alu instid0(VALU_DEP_1)
	v_dual_sub_nc_u32 v6, 29, v6 :: v_dual_bitop2_b32 v114, 7, v8 bitop3:0x40
; %bb.1245:                             ;   in Loop: Header=BB212_1069 Depth=1
	s_or_b32 exec_lo, exec_lo, s15
	v_lshlrev_b32_e32 v7, 24, v14
	s_delay_alu instid0(VALU_DEP_2) | instskip(NEXT) | instid1(VALU_DEP_3)
	v_lshlrev_b32_e32 v8, 20, v114
	v_lshl_add_u32 v6, v6, 23, 0x3c000000
	s_delay_alu instid0(VALU_DEP_3) | instskip(NEXT) | instid1(VALU_DEP_1)
	v_and_b32_e32 v7, 0x80000000, v7
	v_or3_b32 v114, v8, v7, v6
	s_delay_alu instid0(VALU_DEP_1)
	v_mov_b64_e32 v[6:7], v[114:115]
.LBB212_1246:                           ;   in Loop: Header=BB212_1069 Depth=1
	s_or_b32 exec_lo, exec_lo, s14
.LBB212_1247:                           ;   in Loop: Header=BB212_1069 Depth=1
	s_delay_alu instid0(SALU_CYCLE_1)
	s_or_b32 exec_lo, exec_lo, s9
.LBB212_1248:                           ;   in Loop: Header=BB212_1069 Depth=1
	s_delay_alu instid0(SALU_CYCLE_1) | instskip(SKIP_2) | instid1(VALU_DEP_1)
	s_or_b32 exec_lo, exec_lo, s8
	v_lshrrev_b16 v8, 8, v14
	s_mov_b32 s8, exec_lo
	v_cmpx_ne_u16_e32 0, v8
	s_cbranch_execz .LBB212_1256
; %bb.1249:                             ;   in Loop: Header=BB212_1069 Depth=1
	v_mov_b64_e32 v[0:1], 0x8000000000000000
	s_mov_b32 s9, exec_lo
	v_cmpx_ne_u16_e32 0x80, v8
	s_cbranch_execz .LBB212_1255
; %bb.1250:                             ;   in Loop: Header=BB212_1069 Depth=1
	v_and_b32_e32 v9, 0xffff, v8
	v_mov_b64_e32 v[0:1], 0x7f80000100000000
	s_mov_b32 s14, exec_lo
	s_delay_alu instid0(VALU_DEP_2) | instskip(NEXT) | instid1(VALU_DEP_1)
	v_and_b32_e32 v8, 0x7f, v9
	v_cmpx_ne_u32_e32 0x7f, v8
	s_cbranch_execz .LBB212_1254
; %bb.1251:                             ;   in Loop: Header=BB212_1069 Depth=1
	v_dual_lshrrev_b32 v0, 3, v8 :: v_dual_bitop2_b32 v114, 7, v9 bitop3:0x40
	s_mov_b32 s15, exec_lo
	v_cmpx_gt_u32_e32 8, v8
; %bb.1252:                             ;   in Loop: Header=BB212_1069 Depth=1
	s_delay_alu instid0(VALU_DEP_2) | instskip(NEXT) | instid1(VALU_DEP_1)
	v_clz_i32_u32_e32 v0, v114
	v_min_u32_e32 v0, 32, v0
	s_delay_alu instid0(VALU_DEP_1) | instskip(SKIP_1) | instid1(VALU_DEP_2)
	v_subrev_nc_u32_e32 v1, 28, v0
	v_sub_nc_u32_e32 v0, 29, v0
	v_lshlrev_b64_e32 v[8:9], v1, v[114:115]
	s_delay_alu instid0(VALU_DEP_1)
	v_and_b32_e32 v114, 7, v8
; %bb.1253:                             ;   in Loop: Header=BB212_1069 Depth=1
	s_or_b32 exec_lo, exec_lo, s15
	v_lshlrev_b32_e32 v1, 16, v14
	s_delay_alu instid0(VALU_DEP_2) | instskip(SKIP_1) | instid1(VALU_DEP_3)
	v_lshlrev_b32_e32 v8, 20, v114
	v_lshl_add_u32 v0, v0, 23, 0x3c000000
	v_and_b32_e32 v1, 0x80000000, v1
	s_delay_alu instid0(VALU_DEP_1)
	v_or3_b32 v1, v8, v1, v0
	v_mov_b32_e32 v0, v115
.LBB212_1254:                           ;   in Loop: Header=BB212_1069 Depth=1
	s_or_b32 exec_lo, exec_lo, s14
.LBB212_1255:                           ;   in Loop: Header=BB212_1069 Depth=1
	s_delay_alu instid0(SALU_CYCLE_1)
	s_or_b32 exec_lo, exec_lo, s9
.LBB212_1256:                           ;   in Loop: Header=BB212_1069 Depth=1
	s_delay_alu instid0(SALU_CYCLE_1) | instskip(SKIP_4) | instid1(VALU_DEP_3)
	s_or_b32 exec_lo, exec_lo, s8
	v_lshrrev_b32_e32 v15, 16, v14
	v_mov_b64_e32 v[12:13], 0
	v_mov_b64_e32 v[8:9], 0
	s_mov_b32 s8, exec_lo
	v_and_b32_e32 v11, 0xff, v15
	s_delay_alu instid0(VALU_DEP_1)
	v_cmpx_ne_u16_e32 0, v11
	s_cbranch_execz .LBB212_1264
; %bb.1257:                             ;   in Loop: Header=BB212_1069 Depth=1
	v_mov_b64_e32 v[8:9], 0x80000000
	s_mov_b32 s9, exec_lo
	v_cmpx_ne_u16_e32 0x80, v11
	s_cbranch_execz .LBB212_1263
; %bb.1258:                             ;   in Loop: Header=BB212_1069 Depth=1
	v_mov_b64_e32 v[8:9], 0x7f800001
	v_bfe_u32 v11, v14, 16, 7
	s_mov_b32 s14, exec_lo
	s_delay_alu instid0(VALU_DEP_1)
	v_cmpx_ne_u32_e32 0x7f, v11
	s_cbranch_execz .LBB212_1262
; %bb.1259:                             ;   in Loop: Header=BB212_1069 Depth=1
	v_and_b32_e32 v114, 7, v15
	v_lshrrev_b32_e32 v8, 3, v11
	s_mov_b32 s15, exec_lo
	v_cmpx_gt_u32_e32 8, v11
; %bb.1260:                             ;   in Loop: Header=BB212_1069 Depth=1
	s_delay_alu instid0(VALU_DEP_3) | instskip(NEXT) | instid1(VALU_DEP_1)
	v_clz_i32_u32_e32 v8, v114
	v_min_u32_e32 v8, 32, v8
	s_delay_alu instid0(VALU_DEP_1) | instskip(NEXT) | instid1(VALU_DEP_1)
	v_subrev_nc_u32_e32 v9, 28, v8
	v_lshlrev_b64_e32 v[10:11], v9, v[114:115]
	s_delay_alu instid0(VALU_DEP_1)
	v_dual_sub_nc_u32 v8, 29, v8 :: v_dual_bitop2_b32 v114, 7, v10 bitop3:0x40
; %bb.1261:                             ;   in Loop: Header=BB212_1069 Depth=1
	s_or_b32 exec_lo, exec_lo, s15
	s_delay_alu instid0(VALU_DEP_1) | instskip(NEXT) | instid1(VALU_DEP_2)
	v_dual_lshlrev_b32 v9, 24, v15 :: v_dual_lshlrev_b32 v10, 20, v114
	v_lshl_add_u32 v8, v8, 23, 0x3c000000
	s_delay_alu instid0(VALU_DEP_2) | instskip(NEXT) | instid1(VALU_DEP_1)
	v_and_b32_e32 v9, 0x80000000, v9
	v_or3_b32 v114, v10, v9, v8
	s_delay_alu instid0(VALU_DEP_1)
	v_mov_b64_e32 v[8:9], v[114:115]
.LBB212_1262:                           ;   in Loop: Header=BB212_1069 Depth=1
	s_or_b32 exec_lo, exec_lo, s14
.LBB212_1263:                           ;   in Loop: Header=BB212_1069 Depth=1
	s_delay_alu instid0(SALU_CYCLE_1)
	s_or_b32 exec_lo, exec_lo, s9
.LBB212_1264:                           ;   in Loop: Header=BB212_1069 Depth=1
	s_delay_alu instid0(SALU_CYCLE_1) | instskip(NEXT) | instid1(SALU_CYCLE_1)
	s_or_b32 exec_lo, exec_lo, s8
	s_mov_b32 s8, exec_lo
	v_cmpx_lt_u32_e32 0xffffff, v14
	s_cbranch_execz .LBB212_1272
; %bb.1265:                             ;   in Loop: Header=BB212_1069 Depth=1
	v_mov_b64_e32 v[12:13], 0x8000000000000000
	v_lshrrev_b32_e32 v15, 24, v14
	s_mov_b32 s9, exec_lo
	s_delay_alu instid0(VALU_DEP_1)
	v_cmpx_ne_u32_e32 0x80, v15
	s_cbranch_execz .LBB212_1271
; %bb.1266:                             ;   in Loop: Header=BB212_1069 Depth=1
	v_mov_b64_e32 v[12:13], 0x7f80000100000000
	v_bfe_u32 v11, v14, 24, 7
	s_mov_b32 s14, exec_lo
	s_delay_alu instid0(VALU_DEP_1)
	v_cmpx_ne_u32_e32 0x7f, v11
	s_cbranch_execz .LBB212_1270
; %bb.1267:                             ;   in Loop: Header=BB212_1069 Depth=1
	v_and_b32_e32 v114, 7, v15
	v_lshrrev_b32_e32 v12, 3, v11
	s_mov_b32 s15, exec_lo
	v_cmpx_gt_u32_e32 8, v11
; %bb.1268:                             ;   in Loop: Header=BB212_1069 Depth=1
	s_delay_alu instid0(VALU_DEP_3) | instskip(NEXT) | instid1(VALU_DEP_1)
	v_clz_i32_u32_e32 v10, v114
	v_min_u32_e32 v12, 32, v10
	s_delay_alu instid0(VALU_DEP_1) | instskip(NEXT) | instid1(VALU_DEP_1)
	v_subrev_nc_u32_e32 v10, 28, v12
	v_lshlrev_b64_e32 v[10:11], v10, v[114:115]
	s_delay_alu instid0(VALU_DEP_1)
	v_dual_sub_nc_u32 v12, 29, v12 :: v_dual_bitop2_b32 v114, 7, v10 bitop3:0x40
; %bb.1269:                             ;   in Loop: Header=BB212_1069 Depth=1
	s_or_b32 exec_lo, exec_lo, s15
	s_delay_alu instid0(VALU_DEP_1) | instskip(NEXT) | instid1(VALU_DEP_2)
	v_dual_lshlrev_b32 v10, 24, v15 :: v_dual_lshlrev_b32 v11, 20, v114
	v_lshl_add_u32 v12, v12, 23, 0x3c000000
	s_delay_alu instid0(VALU_DEP_2) | instskip(NEXT) | instid1(VALU_DEP_1)
	v_and_b32_e32 v10, 0x80000000, v10
	v_or3_b32 v13, v11, v10, v12
	v_mov_b32_e32 v12, v115
.LBB212_1270:                           ;   in Loop: Header=BB212_1069 Depth=1
	s_or_b32 exec_lo, exec_lo, s14
.LBB212_1271:                           ;   in Loop: Header=BB212_1069 Depth=1
	s_delay_alu instid0(SALU_CYCLE_1)
	s_or_b32 exec_lo, exec_lo, s9
.LBB212_1272:                           ;   in Loop: Header=BB212_1069 Depth=1
	s_delay_alu instid0(SALU_CYCLE_1) | instskip(SKIP_4) | instid1(VALU_DEP_3)
	s_or_b32 exec_lo, exec_lo, s8
	v_or_b32_e32 v1, v1, v7
	v_or_b32_e32 v0, v0, v6
	v_or_b32_e32 v7, v13, v9
	v_or_b32_e32 v6, v12, v8
	v_pk_mul_f32 v[0:1], v[82:83], v[0:1]
	scratch_store_b64 off, v[0:1], s32 offset:324 ; 8-byte Folded Spill
	s_wait_xcnt 0x0
	v_pk_mul_f32 v[0:1], v[82:83], v[6:7]
	scratch_store_b64 off, v[0:1], s32 offset:316 ; 8-byte Folded Spill
	s_wait_xcnt 0x0
	s_and_saveexec_b32 s8, vcc_lo
	s_cbranch_execz .LBB212_1274
; %bb.1273:                             ;   in Loop: Header=BB212_1069 Depth=1
	s_clause 0x1
	scratch_load_b64 v[0:1], off, s32 offset:200
	scratch_load_b64 v[6:7], off, s32 offset:324 th:TH_LOAD_LU
	s_wait_loadcnt 0x1
	v_cmp_lt_i32_e64 s0, v119, v0
	s_wait_loadcnt 0x0
	s_delay_alu instid0(VALU_DEP_1) | instskip(SKIP_1) | instid1(VALU_DEP_1)
	v_cndmask_b32_e64 v6, 0, v6, s0
	v_cmp_lt_i32_e64 s0, v40, v0
	v_cndmask_b32_e64 v7, 0, v7, s0
	v_cmp_lt_i32_e64 s0, v113, v0
	s_clause 0x1
	scratch_store_b64 off, v[6:7], s32 offset:324
	scratch_load_b64 v[6:7], off, s32 offset:316 th:TH_LOAD_LU
	s_wait_loadcnt 0x0
	v_cndmask_b32_e64 v6, 0, v6, s0
	v_cmp_lt_i32_e64 s0, v112, v0
	s_delay_alu instid0(VALU_DEP_1)
	v_cndmask_b32_e64 v7, 0, v7, s0
	scratch_store_b64 off, v[6:7], s32 offset:316 ; 8-byte Folded Spill
.LBB212_1274:                           ;   in Loop: Header=BB212_1069 Depth=1
	s_wait_xcnt 0x0
	s_or_b32 exec_lo, exec_lo, s8
	flat_load_b32 v14, v[102:103] offset:768
	v_mov_b64_e32 v[0:1], 0
	v_mov_b64_e32 v[6:7], 0
	s_mov_b32 s8, exec_lo
	s_wait_loadcnt_dscnt 0x0
	v_and_b32_e32 v8, 0xff, v14
	s_wait_xcnt 0x0
	s_delay_alu instid0(VALU_DEP_1)
	v_cmpx_ne_u16_e32 0, v8
	s_cbranch_execz .LBB212_1282
; %bb.1275:                             ;   in Loop: Header=BB212_1069 Depth=1
	v_mov_b64_e32 v[6:7], 0x80000000
	s_mov_b32 s9, exec_lo
	v_cmpx_ne_u16_e32 0x80, v8
	s_cbranch_execz .LBB212_1281
; %bb.1276:                             ;   in Loop: Header=BB212_1069 Depth=1
	v_mov_b64_e32 v[6:7], 0x7f800001
	v_and_b32_e32 v8, 0x7f, v14
	s_mov_b32 s14, exec_lo
	s_delay_alu instid0(VALU_DEP_1)
	v_cmpx_ne_u32_e32 0x7f, v8
	s_cbranch_execz .LBB212_1280
; %bb.1277:                             ;   in Loop: Header=BB212_1069 Depth=1
	v_dual_lshrrev_b32 v6, 3, v8 :: v_dual_bitop2_b32 v114, 7, v14 bitop3:0x40
	s_mov_b32 s15, exec_lo
	v_cmpx_gt_u32_e32 8, v8
; %bb.1278:                             ;   in Loop: Header=BB212_1069 Depth=1
	s_delay_alu instid0(VALU_DEP_2) | instskip(NEXT) | instid1(VALU_DEP_1)
	v_clz_i32_u32_e32 v6, v114
	v_min_u32_e32 v6, 32, v6
	s_delay_alu instid0(VALU_DEP_1) | instskip(NEXT) | instid1(VALU_DEP_1)
	v_subrev_nc_u32_e32 v7, 28, v6
	v_lshlrev_b64_e32 v[8:9], v7, v[114:115]
	s_delay_alu instid0(VALU_DEP_1)
	v_dual_sub_nc_u32 v6, 29, v6 :: v_dual_bitop2_b32 v114, 7, v8 bitop3:0x40
; %bb.1279:                             ;   in Loop: Header=BB212_1069 Depth=1
	s_or_b32 exec_lo, exec_lo, s15
	v_lshlrev_b32_e32 v7, 24, v14
	s_delay_alu instid0(VALU_DEP_2) | instskip(NEXT) | instid1(VALU_DEP_3)
	v_lshlrev_b32_e32 v8, 20, v114
	v_lshl_add_u32 v6, v6, 23, 0x3c000000
	s_delay_alu instid0(VALU_DEP_3) | instskip(NEXT) | instid1(VALU_DEP_1)
	v_and_b32_e32 v7, 0x80000000, v7
	v_or3_b32 v114, v8, v7, v6
	s_delay_alu instid0(VALU_DEP_1)
	v_mov_b64_e32 v[6:7], v[114:115]
.LBB212_1280:                           ;   in Loop: Header=BB212_1069 Depth=1
	s_or_b32 exec_lo, exec_lo, s14
.LBB212_1281:                           ;   in Loop: Header=BB212_1069 Depth=1
	s_delay_alu instid0(SALU_CYCLE_1)
	s_or_b32 exec_lo, exec_lo, s9
.LBB212_1282:                           ;   in Loop: Header=BB212_1069 Depth=1
	s_delay_alu instid0(SALU_CYCLE_1) | instskip(SKIP_2) | instid1(VALU_DEP_1)
	s_or_b32 exec_lo, exec_lo, s8
	v_lshrrev_b16 v8, 8, v14
	s_mov_b32 s8, exec_lo
	v_cmpx_ne_u16_e32 0, v8
	s_cbranch_execz .LBB212_1290
; %bb.1283:                             ;   in Loop: Header=BB212_1069 Depth=1
	v_mov_b64_e32 v[0:1], 0x8000000000000000
	s_mov_b32 s9, exec_lo
	v_cmpx_ne_u16_e32 0x80, v8
	s_cbranch_execz .LBB212_1289
; %bb.1284:                             ;   in Loop: Header=BB212_1069 Depth=1
	v_and_b32_e32 v9, 0xffff, v8
	v_mov_b64_e32 v[0:1], 0x7f80000100000000
	s_mov_b32 s14, exec_lo
	s_delay_alu instid0(VALU_DEP_2) | instskip(NEXT) | instid1(VALU_DEP_1)
	v_and_b32_e32 v8, 0x7f, v9
	v_cmpx_ne_u32_e32 0x7f, v8
	s_cbranch_execz .LBB212_1288
; %bb.1285:                             ;   in Loop: Header=BB212_1069 Depth=1
	v_dual_lshrrev_b32 v0, 3, v8 :: v_dual_bitop2_b32 v114, 7, v9 bitop3:0x40
	s_mov_b32 s15, exec_lo
	v_cmpx_gt_u32_e32 8, v8
; %bb.1286:                             ;   in Loop: Header=BB212_1069 Depth=1
	s_delay_alu instid0(VALU_DEP_2) | instskip(NEXT) | instid1(VALU_DEP_1)
	v_clz_i32_u32_e32 v0, v114
	v_min_u32_e32 v0, 32, v0
	s_delay_alu instid0(VALU_DEP_1) | instskip(SKIP_1) | instid1(VALU_DEP_2)
	v_subrev_nc_u32_e32 v1, 28, v0
	v_sub_nc_u32_e32 v0, 29, v0
	v_lshlrev_b64_e32 v[8:9], v1, v[114:115]
	s_delay_alu instid0(VALU_DEP_1)
	v_and_b32_e32 v114, 7, v8
; %bb.1287:                             ;   in Loop: Header=BB212_1069 Depth=1
	s_or_b32 exec_lo, exec_lo, s15
	v_lshlrev_b32_e32 v1, 16, v14
	s_delay_alu instid0(VALU_DEP_2) | instskip(SKIP_1) | instid1(VALU_DEP_3)
	v_lshlrev_b32_e32 v8, 20, v114
	v_lshl_add_u32 v0, v0, 23, 0x3c000000
	v_and_b32_e32 v1, 0x80000000, v1
	s_delay_alu instid0(VALU_DEP_1)
	v_or3_b32 v1, v8, v1, v0
	v_mov_b32_e32 v0, v115
.LBB212_1288:                           ;   in Loop: Header=BB212_1069 Depth=1
	s_or_b32 exec_lo, exec_lo, s14
.LBB212_1289:                           ;   in Loop: Header=BB212_1069 Depth=1
	s_delay_alu instid0(SALU_CYCLE_1)
	s_or_b32 exec_lo, exec_lo, s9
.LBB212_1290:                           ;   in Loop: Header=BB212_1069 Depth=1
	s_delay_alu instid0(SALU_CYCLE_1) | instskip(SKIP_4) | instid1(VALU_DEP_3)
	s_or_b32 exec_lo, exec_lo, s8
	v_lshrrev_b32_e32 v15, 16, v14
	v_mov_b64_e32 v[12:13], 0
	v_mov_b64_e32 v[8:9], 0
	s_mov_b32 s8, exec_lo
	v_and_b32_e32 v11, 0xff, v15
	s_delay_alu instid0(VALU_DEP_1)
	v_cmpx_ne_u16_e32 0, v11
	s_cbranch_execz .LBB212_1298
; %bb.1291:                             ;   in Loop: Header=BB212_1069 Depth=1
	v_mov_b64_e32 v[8:9], 0x80000000
	s_mov_b32 s9, exec_lo
	v_cmpx_ne_u16_e32 0x80, v11
	s_cbranch_execz .LBB212_1297
; %bb.1292:                             ;   in Loop: Header=BB212_1069 Depth=1
	v_mov_b64_e32 v[8:9], 0x7f800001
	v_bfe_u32 v11, v14, 16, 7
	s_mov_b32 s14, exec_lo
	s_delay_alu instid0(VALU_DEP_1)
	v_cmpx_ne_u32_e32 0x7f, v11
	s_cbranch_execz .LBB212_1296
; %bb.1293:                             ;   in Loop: Header=BB212_1069 Depth=1
	v_and_b32_e32 v114, 7, v15
	v_lshrrev_b32_e32 v8, 3, v11
	s_mov_b32 s15, exec_lo
	v_cmpx_gt_u32_e32 8, v11
; %bb.1294:                             ;   in Loop: Header=BB212_1069 Depth=1
	s_delay_alu instid0(VALU_DEP_3) | instskip(NEXT) | instid1(VALU_DEP_1)
	v_clz_i32_u32_e32 v8, v114
	v_min_u32_e32 v8, 32, v8
	s_delay_alu instid0(VALU_DEP_1) | instskip(NEXT) | instid1(VALU_DEP_1)
	v_subrev_nc_u32_e32 v9, 28, v8
	v_lshlrev_b64_e32 v[10:11], v9, v[114:115]
	s_delay_alu instid0(VALU_DEP_1)
	v_dual_sub_nc_u32 v8, 29, v8 :: v_dual_bitop2_b32 v114, 7, v10 bitop3:0x40
; %bb.1295:                             ;   in Loop: Header=BB212_1069 Depth=1
	s_or_b32 exec_lo, exec_lo, s15
	s_delay_alu instid0(VALU_DEP_1) | instskip(NEXT) | instid1(VALU_DEP_2)
	v_dual_lshlrev_b32 v9, 24, v15 :: v_dual_lshlrev_b32 v10, 20, v114
	v_lshl_add_u32 v8, v8, 23, 0x3c000000
	s_delay_alu instid0(VALU_DEP_2) | instskip(NEXT) | instid1(VALU_DEP_1)
	v_and_b32_e32 v9, 0x80000000, v9
	v_or3_b32 v114, v10, v9, v8
	s_delay_alu instid0(VALU_DEP_1)
	v_mov_b64_e32 v[8:9], v[114:115]
.LBB212_1296:                           ;   in Loop: Header=BB212_1069 Depth=1
	s_or_b32 exec_lo, exec_lo, s14
.LBB212_1297:                           ;   in Loop: Header=BB212_1069 Depth=1
	s_delay_alu instid0(SALU_CYCLE_1)
	s_or_b32 exec_lo, exec_lo, s9
.LBB212_1298:                           ;   in Loop: Header=BB212_1069 Depth=1
	s_delay_alu instid0(SALU_CYCLE_1) | instskip(NEXT) | instid1(SALU_CYCLE_1)
	s_or_b32 exec_lo, exec_lo, s8
	s_mov_b32 s8, exec_lo
	v_cmpx_lt_u32_e32 0xffffff, v14
	s_cbranch_execz .LBB212_1306
; %bb.1299:                             ;   in Loop: Header=BB212_1069 Depth=1
	v_mov_b64_e32 v[12:13], 0x8000000000000000
	v_lshrrev_b32_e32 v15, 24, v14
	s_mov_b32 s9, exec_lo
	s_delay_alu instid0(VALU_DEP_1)
	v_cmpx_ne_u32_e32 0x80, v15
	s_cbranch_execz .LBB212_1305
; %bb.1300:                             ;   in Loop: Header=BB212_1069 Depth=1
	v_mov_b64_e32 v[12:13], 0x7f80000100000000
	v_bfe_u32 v11, v14, 24, 7
	s_mov_b32 s14, exec_lo
	s_delay_alu instid0(VALU_DEP_1)
	v_cmpx_ne_u32_e32 0x7f, v11
	s_cbranch_execz .LBB212_1304
; %bb.1301:                             ;   in Loop: Header=BB212_1069 Depth=1
	v_and_b32_e32 v114, 7, v15
	v_lshrrev_b32_e32 v12, 3, v11
	s_mov_b32 s15, exec_lo
	v_cmpx_gt_u32_e32 8, v11
; %bb.1302:                             ;   in Loop: Header=BB212_1069 Depth=1
	s_delay_alu instid0(VALU_DEP_3) | instskip(NEXT) | instid1(VALU_DEP_1)
	v_clz_i32_u32_e32 v10, v114
	v_min_u32_e32 v12, 32, v10
	s_delay_alu instid0(VALU_DEP_1) | instskip(NEXT) | instid1(VALU_DEP_1)
	v_subrev_nc_u32_e32 v10, 28, v12
	v_lshlrev_b64_e32 v[10:11], v10, v[114:115]
	s_delay_alu instid0(VALU_DEP_1)
	v_dual_sub_nc_u32 v12, 29, v12 :: v_dual_bitop2_b32 v114, 7, v10 bitop3:0x40
; %bb.1303:                             ;   in Loop: Header=BB212_1069 Depth=1
	s_or_b32 exec_lo, exec_lo, s15
	s_delay_alu instid0(VALU_DEP_1) | instskip(NEXT) | instid1(VALU_DEP_2)
	v_dual_lshlrev_b32 v10, 24, v15 :: v_dual_lshlrev_b32 v11, 20, v114
	v_lshl_add_u32 v12, v12, 23, 0x3c000000
	s_delay_alu instid0(VALU_DEP_2) | instskip(NEXT) | instid1(VALU_DEP_1)
	v_and_b32_e32 v10, 0x80000000, v10
	v_or3_b32 v13, v11, v10, v12
	v_mov_b32_e32 v12, v115
.LBB212_1304:                           ;   in Loop: Header=BB212_1069 Depth=1
	s_or_b32 exec_lo, exec_lo, s14
.LBB212_1305:                           ;   in Loop: Header=BB212_1069 Depth=1
	s_delay_alu instid0(SALU_CYCLE_1)
	s_or_b32 exec_lo, exec_lo, s9
.LBB212_1306:                           ;   in Loop: Header=BB212_1069 Depth=1
	s_delay_alu instid0(SALU_CYCLE_1) | instskip(SKIP_4) | instid1(VALU_DEP_3)
	s_or_b32 exec_lo, exec_lo, s8
	v_or_b32_e32 v1, v1, v7
	v_or_b32_e32 v0, v0, v6
	;; [unrolled: 1-line block ×4, first 2 shown]
	v_pk_mul_f32 v[46:47], v[82:83], v[0:1]
	s_delay_alu instid0(VALU_DEP_2)
	v_pk_mul_f32 v[44:45], v[82:83], v[6:7]
	s_and_saveexec_b32 s8, vcc_lo
	s_cbranch_execz .LBB212_1308
; %bb.1307:                             ;   in Loop: Header=BB212_1069 Depth=1
	scratch_load_b64 v[0:1], off, s32 offset:200 ; 8-byte Folded Reload
	s_wait_loadcnt 0x0
	v_cmp_lt_i32_e64 s0, v119, v0
	s_delay_alu instid0(VALU_DEP_1) | instskip(SKIP_1) | instid1(VALU_DEP_1)
	v_cndmask_b32_e64 v46, 0, v46, s0
	v_cmp_lt_i32_e64 s0, v40, v0
	v_cndmask_b32_e64 v47, 0, v47, s0
	v_cmp_lt_i32_e64 s0, v113, v0
	s_delay_alu instid0(VALU_DEP_1) | instskip(SKIP_1) | instid1(VALU_DEP_1)
	v_cndmask_b32_e64 v44, 0, v44, s0
	v_cmp_lt_i32_e64 s0, v112, v0
	v_cndmask_b32_e64 v45, 0, v45, s0
.LBB212_1308:                           ;   in Loop: Header=BB212_1069 Depth=1
	s_wait_xcnt 0x0
	s_or_b32 exec_lo, exec_lo, s8
	flat_load_b32 v14, v[102:103] offset:896
	v_mov_b64_e32 v[0:1], 0
	v_mov_b64_e32 v[6:7], 0
	s_mov_b32 s8, exec_lo
	s_wait_loadcnt_dscnt 0x0
	v_and_b32_e32 v8, 0xff, v14
	s_wait_xcnt 0x0
	s_delay_alu instid0(VALU_DEP_1)
	v_cmpx_ne_u16_e32 0, v8
	s_cbranch_execz .LBB212_1316
; %bb.1309:                             ;   in Loop: Header=BB212_1069 Depth=1
	v_mov_b64_e32 v[6:7], 0x80000000
	s_mov_b32 s9, exec_lo
	v_cmpx_ne_u16_e32 0x80, v8
	s_cbranch_execz .LBB212_1315
; %bb.1310:                             ;   in Loop: Header=BB212_1069 Depth=1
	v_mov_b64_e32 v[6:7], 0x7f800001
	v_and_b32_e32 v8, 0x7f, v14
	s_mov_b32 s14, exec_lo
	s_delay_alu instid0(VALU_DEP_1)
	v_cmpx_ne_u32_e32 0x7f, v8
	s_cbranch_execz .LBB212_1314
; %bb.1311:                             ;   in Loop: Header=BB212_1069 Depth=1
	v_dual_lshrrev_b32 v6, 3, v8 :: v_dual_bitop2_b32 v114, 7, v14 bitop3:0x40
	s_mov_b32 s15, exec_lo
	v_cmpx_gt_u32_e32 8, v8
; %bb.1312:                             ;   in Loop: Header=BB212_1069 Depth=1
	s_delay_alu instid0(VALU_DEP_2) | instskip(NEXT) | instid1(VALU_DEP_1)
	v_clz_i32_u32_e32 v6, v114
	v_min_u32_e32 v6, 32, v6
	s_delay_alu instid0(VALU_DEP_1) | instskip(NEXT) | instid1(VALU_DEP_1)
	v_subrev_nc_u32_e32 v7, 28, v6
	v_lshlrev_b64_e32 v[8:9], v7, v[114:115]
	s_delay_alu instid0(VALU_DEP_1)
	v_dual_sub_nc_u32 v6, 29, v6 :: v_dual_bitop2_b32 v114, 7, v8 bitop3:0x40
; %bb.1313:                             ;   in Loop: Header=BB212_1069 Depth=1
	s_or_b32 exec_lo, exec_lo, s15
	v_lshlrev_b32_e32 v7, 24, v14
	s_delay_alu instid0(VALU_DEP_2) | instskip(NEXT) | instid1(VALU_DEP_3)
	v_lshlrev_b32_e32 v8, 20, v114
	v_lshl_add_u32 v6, v6, 23, 0x3c000000
	s_delay_alu instid0(VALU_DEP_3) | instskip(NEXT) | instid1(VALU_DEP_1)
	v_and_b32_e32 v7, 0x80000000, v7
	v_or3_b32 v114, v8, v7, v6
	s_delay_alu instid0(VALU_DEP_1)
	v_mov_b64_e32 v[6:7], v[114:115]
.LBB212_1314:                           ;   in Loop: Header=BB212_1069 Depth=1
	s_or_b32 exec_lo, exec_lo, s14
.LBB212_1315:                           ;   in Loop: Header=BB212_1069 Depth=1
	s_delay_alu instid0(SALU_CYCLE_1)
	s_or_b32 exec_lo, exec_lo, s9
.LBB212_1316:                           ;   in Loop: Header=BB212_1069 Depth=1
	s_delay_alu instid0(SALU_CYCLE_1) | instskip(SKIP_2) | instid1(VALU_DEP_1)
	s_or_b32 exec_lo, exec_lo, s8
	v_lshrrev_b16 v8, 8, v14
	s_mov_b32 s8, exec_lo
	v_cmpx_ne_u16_e32 0, v8
	s_cbranch_execz .LBB212_1324
; %bb.1317:                             ;   in Loop: Header=BB212_1069 Depth=1
	v_mov_b64_e32 v[0:1], 0x8000000000000000
	s_mov_b32 s9, exec_lo
	v_cmpx_ne_u16_e32 0x80, v8
	s_cbranch_execz .LBB212_1323
; %bb.1318:                             ;   in Loop: Header=BB212_1069 Depth=1
	v_and_b32_e32 v9, 0xffff, v8
	v_mov_b64_e32 v[0:1], 0x7f80000100000000
	s_mov_b32 s14, exec_lo
	s_delay_alu instid0(VALU_DEP_2) | instskip(NEXT) | instid1(VALU_DEP_1)
	v_and_b32_e32 v8, 0x7f, v9
	v_cmpx_ne_u32_e32 0x7f, v8
	s_cbranch_execz .LBB212_1322
; %bb.1319:                             ;   in Loop: Header=BB212_1069 Depth=1
	v_dual_lshrrev_b32 v0, 3, v8 :: v_dual_bitop2_b32 v114, 7, v9 bitop3:0x40
	s_mov_b32 s15, exec_lo
	v_cmpx_gt_u32_e32 8, v8
; %bb.1320:                             ;   in Loop: Header=BB212_1069 Depth=1
	s_delay_alu instid0(VALU_DEP_2) | instskip(NEXT) | instid1(VALU_DEP_1)
	v_clz_i32_u32_e32 v0, v114
	v_min_u32_e32 v0, 32, v0
	s_delay_alu instid0(VALU_DEP_1) | instskip(SKIP_1) | instid1(VALU_DEP_2)
	v_subrev_nc_u32_e32 v1, 28, v0
	v_sub_nc_u32_e32 v0, 29, v0
	v_lshlrev_b64_e32 v[8:9], v1, v[114:115]
	s_delay_alu instid0(VALU_DEP_1)
	v_and_b32_e32 v114, 7, v8
; %bb.1321:                             ;   in Loop: Header=BB212_1069 Depth=1
	s_or_b32 exec_lo, exec_lo, s15
	v_lshlrev_b32_e32 v1, 16, v14
	s_delay_alu instid0(VALU_DEP_2) | instskip(SKIP_1) | instid1(VALU_DEP_3)
	v_lshlrev_b32_e32 v8, 20, v114
	v_lshl_add_u32 v0, v0, 23, 0x3c000000
	v_and_b32_e32 v1, 0x80000000, v1
	s_delay_alu instid0(VALU_DEP_1)
	v_or3_b32 v1, v8, v1, v0
	v_mov_b32_e32 v0, v115
.LBB212_1322:                           ;   in Loop: Header=BB212_1069 Depth=1
	s_or_b32 exec_lo, exec_lo, s14
.LBB212_1323:                           ;   in Loop: Header=BB212_1069 Depth=1
	s_delay_alu instid0(SALU_CYCLE_1)
	s_or_b32 exec_lo, exec_lo, s9
.LBB212_1324:                           ;   in Loop: Header=BB212_1069 Depth=1
	s_delay_alu instid0(SALU_CYCLE_1) | instskip(SKIP_4) | instid1(VALU_DEP_3)
	s_or_b32 exec_lo, exec_lo, s8
	v_lshrrev_b32_e32 v15, 16, v14
	v_mov_b64_e32 v[12:13], 0
	v_mov_b64_e32 v[8:9], 0
	s_mov_b32 s8, exec_lo
	v_and_b32_e32 v11, 0xff, v15
	s_delay_alu instid0(VALU_DEP_1)
	v_cmpx_ne_u16_e32 0, v11
	s_cbranch_execz .LBB212_1332
; %bb.1325:                             ;   in Loop: Header=BB212_1069 Depth=1
	v_mov_b64_e32 v[8:9], 0x80000000
	s_mov_b32 s9, exec_lo
	v_cmpx_ne_u16_e32 0x80, v11
	s_cbranch_execz .LBB212_1331
; %bb.1326:                             ;   in Loop: Header=BB212_1069 Depth=1
	v_mov_b64_e32 v[8:9], 0x7f800001
	v_bfe_u32 v11, v14, 16, 7
	s_mov_b32 s14, exec_lo
	s_delay_alu instid0(VALU_DEP_1)
	v_cmpx_ne_u32_e32 0x7f, v11
	s_cbranch_execz .LBB212_1330
; %bb.1327:                             ;   in Loop: Header=BB212_1069 Depth=1
	v_and_b32_e32 v114, 7, v15
	v_lshrrev_b32_e32 v8, 3, v11
	s_mov_b32 s15, exec_lo
	v_cmpx_gt_u32_e32 8, v11
; %bb.1328:                             ;   in Loop: Header=BB212_1069 Depth=1
	s_delay_alu instid0(VALU_DEP_3) | instskip(NEXT) | instid1(VALU_DEP_1)
	v_clz_i32_u32_e32 v8, v114
	v_min_u32_e32 v8, 32, v8
	s_delay_alu instid0(VALU_DEP_1) | instskip(NEXT) | instid1(VALU_DEP_1)
	v_subrev_nc_u32_e32 v9, 28, v8
	v_lshlrev_b64_e32 v[10:11], v9, v[114:115]
	s_delay_alu instid0(VALU_DEP_1)
	v_dual_sub_nc_u32 v8, 29, v8 :: v_dual_bitop2_b32 v114, 7, v10 bitop3:0x40
; %bb.1329:                             ;   in Loop: Header=BB212_1069 Depth=1
	s_or_b32 exec_lo, exec_lo, s15
	s_delay_alu instid0(VALU_DEP_1) | instskip(NEXT) | instid1(VALU_DEP_2)
	v_dual_lshlrev_b32 v9, 24, v15 :: v_dual_lshlrev_b32 v10, 20, v114
	v_lshl_add_u32 v8, v8, 23, 0x3c000000
	s_delay_alu instid0(VALU_DEP_2) | instskip(NEXT) | instid1(VALU_DEP_1)
	v_and_b32_e32 v9, 0x80000000, v9
	v_or3_b32 v114, v10, v9, v8
	s_delay_alu instid0(VALU_DEP_1)
	v_mov_b64_e32 v[8:9], v[114:115]
.LBB212_1330:                           ;   in Loop: Header=BB212_1069 Depth=1
	s_or_b32 exec_lo, exec_lo, s14
.LBB212_1331:                           ;   in Loop: Header=BB212_1069 Depth=1
	s_delay_alu instid0(SALU_CYCLE_1)
	s_or_b32 exec_lo, exec_lo, s9
.LBB212_1332:                           ;   in Loop: Header=BB212_1069 Depth=1
	s_delay_alu instid0(SALU_CYCLE_1) | instskip(NEXT) | instid1(SALU_CYCLE_1)
	s_or_b32 exec_lo, exec_lo, s8
	s_mov_b32 s8, exec_lo
	v_cmpx_lt_u32_e32 0xffffff, v14
	s_cbranch_execz .LBB212_1340
; %bb.1333:                             ;   in Loop: Header=BB212_1069 Depth=1
	v_mov_b64_e32 v[12:13], 0x8000000000000000
	v_lshrrev_b32_e32 v15, 24, v14
	s_mov_b32 s9, exec_lo
	s_delay_alu instid0(VALU_DEP_1)
	v_cmpx_ne_u32_e32 0x80, v15
	s_cbranch_execz .LBB212_1339
; %bb.1334:                             ;   in Loop: Header=BB212_1069 Depth=1
	v_mov_b64_e32 v[12:13], 0x7f80000100000000
	v_bfe_u32 v11, v14, 24, 7
	s_mov_b32 s14, exec_lo
	s_delay_alu instid0(VALU_DEP_1)
	v_cmpx_ne_u32_e32 0x7f, v11
	s_cbranch_execz .LBB212_1338
; %bb.1335:                             ;   in Loop: Header=BB212_1069 Depth=1
	v_and_b32_e32 v114, 7, v15
	v_lshrrev_b32_e32 v12, 3, v11
	s_mov_b32 s15, exec_lo
	v_cmpx_gt_u32_e32 8, v11
; %bb.1336:                             ;   in Loop: Header=BB212_1069 Depth=1
	s_delay_alu instid0(VALU_DEP_3) | instskip(NEXT) | instid1(VALU_DEP_1)
	v_clz_i32_u32_e32 v10, v114
	v_min_u32_e32 v12, 32, v10
	s_delay_alu instid0(VALU_DEP_1) | instskip(NEXT) | instid1(VALU_DEP_1)
	v_subrev_nc_u32_e32 v10, 28, v12
	v_lshlrev_b64_e32 v[10:11], v10, v[114:115]
	s_delay_alu instid0(VALU_DEP_1)
	v_dual_sub_nc_u32 v12, 29, v12 :: v_dual_bitop2_b32 v114, 7, v10 bitop3:0x40
; %bb.1337:                             ;   in Loop: Header=BB212_1069 Depth=1
	s_or_b32 exec_lo, exec_lo, s15
	s_delay_alu instid0(VALU_DEP_1) | instskip(NEXT) | instid1(VALU_DEP_2)
	v_dual_lshlrev_b32 v10, 24, v15 :: v_dual_lshlrev_b32 v11, 20, v114
	v_lshl_add_u32 v12, v12, 23, 0x3c000000
	s_delay_alu instid0(VALU_DEP_2) | instskip(NEXT) | instid1(VALU_DEP_1)
	v_and_b32_e32 v10, 0x80000000, v10
	v_or3_b32 v13, v11, v10, v12
	v_mov_b32_e32 v12, v115
.LBB212_1338:                           ;   in Loop: Header=BB212_1069 Depth=1
	s_or_b32 exec_lo, exec_lo, s14
.LBB212_1339:                           ;   in Loop: Header=BB212_1069 Depth=1
	s_delay_alu instid0(SALU_CYCLE_1)
	s_or_b32 exec_lo, exec_lo, s9
.LBB212_1340:                           ;   in Loop: Header=BB212_1069 Depth=1
	s_delay_alu instid0(SALU_CYCLE_1) | instskip(SKIP_4) | instid1(VALU_DEP_3)
	s_or_b32 exec_lo, exec_lo, s8
	v_or_b32_e32 v1, v1, v7
	v_or_b32_e32 v0, v0, v6
	;; [unrolled: 1-line block ×4, first 2 shown]
	v_pk_mul_f32 v[56:57], v[82:83], v[0:1]
	s_delay_alu instid0(VALU_DEP_2)
	v_pk_mul_f32 v[6:7], v[82:83], v[6:7]
	s_and_saveexec_b32 s8, vcc_lo
	s_cbranch_execz .LBB212_1342
; %bb.1341:                             ;   in Loop: Header=BB212_1069 Depth=1
	scratch_load_b64 v[0:1], off, s32 offset:200 ; 8-byte Folded Reload
	s_wait_loadcnt 0x0
	v_cmp_lt_i32_e64 s0, v119, v0
	s_delay_alu instid0(VALU_DEP_1) | instskip(SKIP_1) | instid1(VALU_DEP_1)
	v_cndmask_b32_e64 v56, 0, v56, s0
	v_cmp_lt_i32_e64 s0, v40, v0
	v_cndmask_b32_e64 v57, 0, v57, s0
	v_cmp_lt_i32_e64 s0, v113, v0
	s_delay_alu instid0(VALU_DEP_1) | instskip(SKIP_1) | instid1(VALU_DEP_1)
	v_cndmask_b32_e64 v6, 0, v6, s0
	v_cmp_lt_i32_e64 s0, v112, v0
	v_cndmask_b32_e64 v7, 0, v7, s0
.LBB212_1342:                           ;   in Loop: Header=BB212_1069 Depth=1
	s_wait_xcnt 0x0
	s_or_b32 exec_lo, exec_lo, s8
	flat_load_b32 v16, v[102:103] offset:1024
	v_mov_b64_e32 v[0:1], 0
	v_mov_b64_e32 v[12:13], 0
	s_mov_b32 s8, exec_lo
	s_wait_loadcnt_dscnt 0x0
	v_and_b32_e32 v8, 0xff, v16
	s_wait_xcnt 0x0
	s_delay_alu instid0(VALU_DEP_1)
	v_cmpx_ne_u16_e32 0, v8
	s_cbranch_execz .LBB212_1350
; %bb.1343:                             ;   in Loop: Header=BB212_1069 Depth=1
	v_mov_b64_e32 v[12:13], 0x80000000
	s_mov_b32 s9, exec_lo
	v_cmpx_ne_u16_e32 0x80, v8
	s_cbranch_execz .LBB212_1349
; %bb.1344:                             ;   in Loop: Header=BB212_1069 Depth=1
	v_mov_b64_e32 v[12:13], 0x7f800001
	v_and_b32_e32 v9, 0x7f, v16
	s_mov_b32 s14, exec_lo
	s_delay_alu instid0(VALU_DEP_1)
	v_cmpx_ne_u32_e32 0x7f, v9
	s_cbranch_execz .LBB212_1348
; %bb.1345:                             ;   in Loop: Header=BB212_1069 Depth=1
	v_dual_lshrrev_b32 v8, 3, v9 :: v_dual_bitop2_b32 v114, 7, v16 bitop3:0x40
	s_mov_b32 s15, exec_lo
	v_cmpx_gt_u32_e32 8, v9
; %bb.1346:                             ;   in Loop: Header=BB212_1069 Depth=1
	s_delay_alu instid0(VALU_DEP_2) | instskip(NEXT) | instid1(VALU_DEP_1)
	v_clz_i32_u32_e32 v8, v114
	v_min_u32_e32 v8, 32, v8
	s_delay_alu instid0(VALU_DEP_1) | instskip(NEXT) | instid1(VALU_DEP_1)
	v_subrev_nc_u32_e32 v9, 28, v8
	v_lshlrev_b64_e32 v[10:11], v9, v[114:115]
	s_delay_alu instid0(VALU_DEP_1)
	v_dual_sub_nc_u32 v8, 29, v8 :: v_dual_bitop2_b32 v114, 7, v10 bitop3:0x40
; %bb.1347:                             ;   in Loop: Header=BB212_1069 Depth=1
	s_or_b32 exec_lo, exec_lo, s15
	s_delay_alu instid0(VALU_DEP_1) | instskip(NEXT) | instid1(VALU_DEP_2)
	v_dual_lshlrev_b32 v9, 24, v16 :: v_dual_lshlrev_b32 v10, 20, v114
	v_lshl_add_u32 v8, v8, 23, 0x3c000000
	s_delay_alu instid0(VALU_DEP_2) | instskip(NEXT) | instid1(VALU_DEP_1)
	v_and_b32_e32 v9, 0x80000000, v9
	v_or3_b32 v114, v10, v9, v8
	s_delay_alu instid0(VALU_DEP_1)
	v_mov_b64_e32 v[12:13], v[114:115]
.LBB212_1348:                           ;   in Loop: Header=BB212_1069 Depth=1
	s_or_b32 exec_lo, exec_lo, s14
.LBB212_1349:                           ;   in Loop: Header=BB212_1069 Depth=1
	s_delay_alu instid0(SALU_CYCLE_1)
	s_or_b32 exec_lo, exec_lo, s9
.LBB212_1350:                           ;   in Loop: Header=BB212_1069 Depth=1
	s_delay_alu instid0(SALU_CYCLE_1) | instskip(SKIP_2) | instid1(VALU_DEP_1)
	s_or_b32 exec_lo, exec_lo, s8
	v_lshrrev_b16 v8, 8, v16
	s_mov_b32 s8, exec_lo
	v_cmpx_ne_u16_e32 0, v8
	s_cbranch_execz .LBB212_1358
; %bb.1351:                             ;   in Loop: Header=BB212_1069 Depth=1
	v_mov_b64_e32 v[0:1], 0x8000000000000000
	s_mov_b32 s9, exec_lo
	v_cmpx_ne_u16_e32 0x80, v8
	s_cbranch_execz .LBB212_1357
; %bb.1352:                             ;   in Loop: Header=BB212_1069 Depth=1
	v_and_b32_e32 v9, 0xffff, v8
	v_mov_b64_e32 v[0:1], 0x7f80000100000000
	s_mov_b32 s14, exec_lo
	s_delay_alu instid0(VALU_DEP_2) | instskip(NEXT) | instid1(VALU_DEP_1)
	v_and_b32_e32 v8, 0x7f, v9
	v_cmpx_ne_u32_e32 0x7f, v8
	s_cbranch_execz .LBB212_1356
; %bb.1353:                             ;   in Loop: Header=BB212_1069 Depth=1
	v_dual_lshrrev_b32 v0, 3, v8 :: v_dual_bitop2_b32 v114, 7, v9 bitop3:0x40
	s_mov_b32 s15, exec_lo
	v_cmpx_gt_u32_e32 8, v8
; %bb.1354:                             ;   in Loop: Header=BB212_1069 Depth=1
	s_delay_alu instid0(VALU_DEP_2) | instskip(NEXT) | instid1(VALU_DEP_1)
	v_clz_i32_u32_e32 v0, v114
	v_min_u32_e32 v0, 32, v0
	s_delay_alu instid0(VALU_DEP_1) | instskip(SKIP_1) | instid1(VALU_DEP_2)
	v_subrev_nc_u32_e32 v1, 28, v0
	v_sub_nc_u32_e32 v0, 29, v0
	v_lshlrev_b64_e32 v[8:9], v1, v[114:115]
	s_delay_alu instid0(VALU_DEP_1)
	v_and_b32_e32 v114, 7, v8
; %bb.1355:                             ;   in Loop: Header=BB212_1069 Depth=1
	s_or_b32 exec_lo, exec_lo, s15
	s_delay_alu instid0(VALU_DEP_1) | instskip(SKIP_1) | instid1(VALU_DEP_2)
	v_dual_lshlrev_b32 v1, 16, v16 :: v_dual_lshlrev_b32 v8, 20, v114
	v_lshl_add_u32 v0, v0, 23, 0x3c000000
	v_and_b32_e32 v1, 0x80000000, v1
	s_delay_alu instid0(VALU_DEP_1)
	v_or3_b32 v1, v8, v1, v0
	v_mov_b32_e32 v0, v115
.LBB212_1356:                           ;   in Loop: Header=BB212_1069 Depth=1
	s_or_b32 exec_lo, exec_lo, s14
.LBB212_1357:                           ;   in Loop: Header=BB212_1069 Depth=1
	s_delay_alu instid0(SALU_CYCLE_1)
	s_or_b32 exec_lo, exec_lo, s9
.LBB212_1358:                           ;   in Loop: Header=BB212_1069 Depth=1
	s_delay_alu instid0(SALU_CYCLE_1) | instskip(SKIP_4) | instid1(VALU_DEP_3)
	s_or_b32 exec_lo, exec_lo, s8
	v_lshrrev_b32_e32 v17, 16, v16
	v_mov_b64_e32 v[14:15], 0
	v_mov_b64_e32 v[8:9], 0
	s_mov_b32 s8, exec_lo
	v_and_b32_e32 v11, 0xff, v17
	s_delay_alu instid0(VALU_DEP_1)
	v_cmpx_ne_u16_e32 0, v11
	s_cbranch_execz .LBB212_1366
; %bb.1359:                             ;   in Loop: Header=BB212_1069 Depth=1
	v_mov_b64_e32 v[8:9], 0x80000000
	s_mov_b32 s9, exec_lo
	v_cmpx_ne_u16_e32 0x80, v11
	s_cbranch_execz .LBB212_1365
; %bb.1360:                             ;   in Loop: Header=BB212_1069 Depth=1
	v_mov_b64_e32 v[8:9], 0x7f800001
	v_bfe_u32 v11, v16, 16, 7
	s_mov_b32 s14, exec_lo
	s_delay_alu instid0(VALU_DEP_1)
	v_cmpx_ne_u32_e32 0x7f, v11
	s_cbranch_execz .LBB212_1364
; %bb.1361:                             ;   in Loop: Header=BB212_1069 Depth=1
	v_dual_lshrrev_b32 v8, 3, v11 :: v_dual_bitop2_b32 v114, 7, v17 bitop3:0x40
	s_mov_b32 s15, exec_lo
	v_cmpx_gt_u32_e32 8, v11
; %bb.1362:                             ;   in Loop: Header=BB212_1069 Depth=1
	s_delay_alu instid0(VALU_DEP_2) | instskip(NEXT) | instid1(VALU_DEP_1)
	v_clz_i32_u32_e32 v8, v114
	v_min_u32_e32 v8, 32, v8
	s_delay_alu instid0(VALU_DEP_1) | instskip(NEXT) | instid1(VALU_DEP_1)
	v_subrev_nc_u32_e32 v9, 28, v8
	v_lshlrev_b64_e32 v[10:11], v9, v[114:115]
	s_delay_alu instid0(VALU_DEP_1)
	v_dual_sub_nc_u32 v8, 29, v8 :: v_dual_bitop2_b32 v114, 7, v10 bitop3:0x40
; %bb.1363:                             ;   in Loop: Header=BB212_1069 Depth=1
	s_or_b32 exec_lo, exec_lo, s15
	s_delay_alu instid0(VALU_DEP_1) | instskip(NEXT) | instid1(VALU_DEP_2)
	v_dual_lshlrev_b32 v9, 24, v17 :: v_dual_lshlrev_b32 v10, 20, v114
	v_lshl_add_u32 v8, v8, 23, 0x3c000000
	s_delay_alu instid0(VALU_DEP_2) | instskip(NEXT) | instid1(VALU_DEP_1)
	v_and_b32_e32 v9, 0x80000000, v9
	v_or3_b32 v114, v10, v9, v8
	s_delay_alu instid0(VALU_DEP_1)
	v_mov_b64_e32 v[8:9], v[114:115]
.LBB212_1364:                           ;   in Loop: Header=BB212_1069 Depth=1
	s_or_b32 exec_lo, exec_lo, s14
.LBB212_1365:                           ;   in Loop: Header=BB212_1069 Depth=1
	s_delay_alu instid0(SALU_CYCLE_1)
	s_or_b32 exec_lo, exec_lo, s9
.LBB212_1366:                           ;   in Loop: Header=BB212_1069 Depth=1
	s_delay_alu instid0(SALU_CYCLE_1) | instskip(NEXT) | instid1(SALU_CYCLE_1)
	s_or_b32 exec_lo, exec_lo, s8
	s_mov_b32 s8, exec_lo
	v_cmpx_lt_u32_e32 0xffffff, v16
	s_cbranch_execz .LBB212_1374
; %bb.1367:                             ;   in Loop: Header=BB212_1069 Depth=1
	v_mov_b64_e32 v[14:15], 0x8000000000000000
	v_lshrrev_b32_e32 v17, 24, v16
	s_mov_b32 s9, exec_lo
	s_delay_alu instid0(VALU_DEP_1)
	v_cmpx_ne_u32_e32 0x80, v17
	s_cbranch_execz .LBB212_1373
; %bb.1368:                             ;   in Loop: Header=BB212_1069 Depth=1
	v_mov_b64_e32 v[14:15], 0x7f80000100000000
	v_bfe_u32 v11, v16, 24, 7
	s_mov_b32 s14, exec_lo
	s_delay_alu instid0(VALU_DEP_1)
	v_cmpx_ne_u32_e32 0x7f, v11
	s_cbranch_execz .LBB212_1372
; %bb.1369:                             ;   in Loop: Header=BB212_1069 Depth=1
	v_dual_lshrrev_b32 v14, 3, v11 :: v_dual_bitop2_b32 v114, 7, v17 bitop3:0x40
	s_mov_b32 s15, exec_lo
	v_cmpx_gt_u32_e32 8, v11
; %bb.1370:                             ;   in Loop: Header=BB212_1069 Depth=1
	s_delay_alu instid0(VALU_DEP_2) | instskip(NEXT) | instid1(VALU_DEP_1)
	v_clz_i32_u32_e32 v10, v114
	v_min_u32_e32 v14, 32, v10
	s_delay_alu instid0(VALU_DEP_1) | instskip(SKIP_1) | instid1(VALU_DEP_2)
	v_subrev_nc_u32_e32 v10, 28, v14
	v_sub_nc_u32_e32 v14, 29, v14
	v_lshlrev_b64_e32 v[10:11], v10, v[114:115]
	s_delay_alu instid0(VALU_DEP_1)
	v_and_b32_e32 v114, 7, v10
; %bb.1371:                             ;   in Loop: Header=BB212_1069 Depth=1
	s_or_b32 exec_lo, exec_lo, s15
	s_delay_alu instid0(VALU_DEP_1) | instskip(SKIP_1) | instid1(VALU_DEP_2)
	v_dual_lshlrev_b32 v10, 24, v17 :: v_dual_lshlrev_b32 v11, 20, v114
	v_lshl_add_u32 v14, v14, 23, 0x3c000000
	v_and_b32_e32 v10, 0x80000000, v10
	s_delay_alu instid0(VALU_DEP_1)
	v_or3_b32 v15, v11, v10, v14
	v_mov_b32_e32 v14, v115
.LBB212_1372:                           ;   in Loop: Header=BB212_1069 Depth=1
	s_or_b32 exec_lo, exec_lo, s14
.LBB212_1373:                           ;   in Loop: Header=BB212_1069 Depth=1
	s_delay_alu instid0(SALU_CYCLE_1)
	s_or_b32 exec_lo, exec_lo, s9
.LBB212_1374:                           ;   in Loop: Header=BB212_1069 Depth=1
	s_delay_alu instid0(SALU_CYCLE_1) | instskip(SKIP_4) | instid1(VALU_DEP_3)
	s_or_b32 exec_lo, exec_lo, s8
	v_or_b32_e32 v1, v1, v13
	v_or_b32_e32 v0, v0, v12
	v_or_b32_e32 v9, v15, v9
	v_or_b32_e32 v8, v14, v8
	v_pk_mul_f32 v[60:61], v[82:83], v[0:1]
	s_delay_alu instid0(VALU_DEP_2)
	v_pk_mul_f32 v[58:59], v[82:83], v[8:9]
	s_and_saveexec_b32 s8, vcc_lo
	s_cbranch_execz .LBB212_1376
; %bb.1375:                             ;   in Loop: Header=BB212_1069 Depth=1
	scratch_load_b64 v[0:1], off, s32 offset:200 ; 8-byte Folded Reload
	s_wait_loadcnt 0x0
	v_cmp_lt_i32_e64 s0, v119, v0
	s_delay_alu instid0(VALU_DEP_1) | instskip(SKIP_1) | instid1(VALU_DEP_1)
	v_cndmask_b32_e64 v60, 0, v60, s0
	v_cmp_lt_i32_e64 s0, v40, v0
	v_cndmask_b32_e64 v61, 0, v61, s0
	v_cmp_lt_i32_e64 s0, v113, v0
	s_delay_alu instid0(VALU_DEP_1) | instskip(SKIP_1) | instid1(VALU_DEP_1)
	v_cndmask_b32_e64 v58, 0, v58, s0
	v_cmp_lt_i32_e64 s0, v112, v0
	v_cndmask_b32_e64 v59, 0, v59, s0
.LBB212_1376:                           ;   in Loop: Header=BB212_1069 Depth=1
	s_wait_xcnt 0x0
	s_or_b32 exec_lo, exec_lo, s8
	flat_load_b32 v8, v[102:103] offset:1152
	v_mov_b64_e32 v[0:1], 0
	v_mov_b64_e32 v[12:13], 0
	s_mov_b32 s8, exec_lo
	s_wait_loadcnt_dscnt 0x0
	v_and_b32_e32 v9, 0xff, v8
	s_wait_xcnt 0x0
	s_delay_alu instid0(VALU_DEP_1)
	v_cmpx_ne_u16_e32 0, v9
	s_cbranch_execz .LBB212_1384
; %bb.1377:                             ;   in Loop: Header=BB212_1069 Depth=1
	v_mov_b64_e32 v[12:13], 0x80000000
	s_mov_b32 s9, exec_lo
	v_cmpx_ne_u16_e32 0x80, v9
	s_cbranch_execz .LBB212_1383
; %bb.1378:                             ;   in Loop: Header=BB212_1069 Depth=1
	v_mov_b64_e32 v[12:13], 0x7f800001
	v_and_b32_e32 v11, 0x7f, v8
	s_mov_b32 s14, exec_lo
	s_delay_alu instid0(VALU_DEP_1)
	v_cmpx_ne_u32_e32 0x7f, v11
	s_cbranch_execz .LBB212_1382
; %bb.1379:                             ;   in Loop: Header=BB212_1069 Depth=1
	v_dual_lshrrev_b32 v9, 3, v11 :: v_dual_bitop2_b32 v114, 7, v8 bitop3:0x40
	s_mov_b32 s15, exec_lo
	v_cmpx_gt_u32_e32 8, v11
; %bb.1380:                             ;   in Loop: Header=BB212_1069 Depth=1
	s_delay_alu instid0(VALU_DEP_2) | instskip(NEXT) | instid1(VALU_DEP_1)
	v_clz_i32_u32_e32 v9, v114
	v_min_u32_e32 v9, 32, v9
	s_delay_alu instid0(VALU_DEP_1) | instskip(NEXT) | instid1(VALU_DEP_1)
	v_subrev_nc_u32_e32 v10, 28, v9
	v_lshlrev_b64_e32 v[10:11], v10, v[114:115]
	s_delay_alu instid0(VALU_DEP_1)
	v_dual_sub_nc_u32 v9, 29, v9 :: v_dual_bitop2_b32 v114, 7, v10 bitop3:0x40
; %bb.1381:                             ;   in Loop: Header=BB212_1069 Depth=1
	s_or_b32 exec_lo, exec_lo, s15
	s_delay_alu instid0(VALU_DEP_1) | instskip(NEXT) | instid1(VALU_DEP_2)
	v_dual_lshlrev_b32 v10, 24, v8 :: v_dual_lshlrev_b32 v11, 20, v114
	v_lshl_add_u32 v9, v9, 23, 0x3c000000
	s_delay_alu instid0(VALU_DEP_2) | instskip(NEXT) | instid1(VALU_DEP_1)
	v_and_b32_e32 v10, 0x80000000, v10
	v_or3_b32 v114, v11, v10, v9
	s_delay_alu instid0(VALU_DEP_1)
	v_mov_b64_e32 v[12:13], v[114:115]
.LBB212_1382:                           ;   in Loop: Header=BB212_1069 Depth=1
	s_or_b32 exec_lo, exec_lo, s14
.LBB212_1383:                           ;   in Loop: Header=BB212_1069 Depth=1
	s_delay_alu instid0(SALU_CYCLE_1)
	s_or_b32 exec_lo, exec_lo, s9
.LBB212_1384:                           ;   in Loop: Header=BB212_1069 Depth=1
	s_delay_alu instid0(SALU_CYCLE_1) | instskip(SKIP_2) | instid1(VALU_DEP_1)
	s_or_b32 exec_lo, exec_lo, s8
	v_lshrrev_b16 v9, 8, v8
	s_mov_b32 s8, exec_lo
	v_cmpx_ne_u16_e32 0, v9
	s_cbranch_execz .LBB212_1392
; %bb.1385:                             ;   in Loop: Header=BB212_1069 Depth=1
	v_mov_b64_e32 v[0:1], 0x8000000000000000
	s_mov_b32 s9, exec_lo
	v_cmpx_ne_u16_e32 0x80, v9
	s_cbranch_execz .LBB212_1391
; %bb.1386:                             ;   in Loop: Header=BB212_1069 Depth=1
	v_and_b32_e32 v11, 0xffff, v9
	v_mov_b64_e32 v[0:1], 0x7f80000100000000
	s_mov_b32 s14, exec_lo
	s_delay_alu instid0(VALU_DEP_2) | instskip(NEXT) | instid1(VALU_DEP_1)
	v_and_b32_e32 v9, 0x7f, v11
	v_cmpx_ne_u32_e32 0x7f, v9
	s_cbranch_execz .LBB212_1390
; %bb.1387:                             ;   in Loop: Header=BB212_1069 Depth=1
	v_dual_lshrrev_b32 v0, 3, v9 :: v_dual_bitop2_b32 v114, 7, v11 bitop3:0x40
	s_mov_b32 s15, exec_lo
	v_cmpx_gt_u32_e32 8, v9
; %bb.1388:                             ;   in Loop: Header=BB212_1069 Depth=1
	s_delay_alu instid0(VALU_DEP_2) | instskip(NEXT) | instid1(VALU_DEP_1)
	v_clz_i32_u32_e32 v0, v114
	v_min_u32_e32 v0, 32, v0
	s_delay_alu instid0(VALU_DEP_1) | instskip(NEXT) | instid1(VALU_DEP_1)
	v_subrev_nc_u32_e32 v1, 28, v0
	v_lshlrev_b64_e32 v[10:11], v1, v[114:115]
	s_delay_alu instid0(VALU_DEP_1)
	v_dual_sub_nc_u32 v0, 29, v0 :: v_dual_bitop2_b32 v114, 7, v10 bitop3:0x40
; %bb.1389:                             ;   in Loop: Header=BB212_1069 Depth=1
	s_or_b32 exec_lo, exec_lo, s15
	s_delay_alu instid0(VALU_DEP_1) | instskip(NEXT) | instid1(VALU_DEP_2)
	v_dual_lshlrev_b32 v1, 16, v8 :: v_dual_lshlrev_b32 v9, 20, v114
	v_lshl_add_u32 v0, v0, 23, 0x3c000000
	s_delay_alu instid0(VALU_DEP_2) | instskip(NEXT) | instid1(VALU_DEP_1)
	v_and_b32_e32 v1, 0x80000000, v1
	v_or3_b32 v1, v9, v1, v0
	v_mov_b32_e32 v0, v115
.LBB212_1390:                           ;   in Loop: Header=BB212_1069 Depth=1
	s_or_b32 exec_lo, exec_lo, s14
.LBB212_1391:                           ;   in Loop: Header=BB212_1069 Depth=1
	s_delay_alu instid0(SALU_CYCLE_1)
	s_or_b32 exec_lo, exec_lo, s9
.LBB212_1392:                           ;   in Loop: Header=BB212_1069 Depth=1
	s_delay_alu instid0(SALU_CYCLE_1) | instskip(SKIP_4) | instid1(VALU_DEP_3)
	s_or_b32 exec_lo, exec_lo, s8
	v_lshrrev_b32_e32 v9, 16, v8
	v_mov_b64_e32 v[14:15], 0
	v_mov_b64_e32 v[16:17], 0
	s_mov_b32 s8, exec_lo
	v_and_b32_e32 v11, 0xff, v9
	s_delay_alu instid0(VALU_DEP_1)
	v_cmpx_ne_u16_e32 0, v11
	s_cbranch_execz .LBB212_1400
; %bb.1393:                             ;   in Loop: Header=BB212_1069 Depth=1
	v_mov_b64_e32 v[16:17], 0x80000000
	s_mov_b32 s9, exec_lo
	v_cmpx_ne_u16_e32 0x80, v11
	s_cbranch_execz .LBB212_1399
; %bb.1394:                             ;   in Loop: Header=BB212_1069 Depth=1
	v_mov_b64_e32 v[16:17], 0x7f800001
	v_bfe_u32 v11, v8, 16, 7
	s_mov_b32 s14, exec_lo
	s_delay_alu instid0(VALU_DEP_1)
	v_cmpx_ne_u32_e32 0x7f, v11
	s_cbranch_execz .LBB212_1398
; %bb.1395:                             ;   in Loop: Header=BB212_1069 Depth=1
	v_dual_lshrrev_b32 v16, 3, v11 :: v_dual_bitop2_b32 v114, 7, v9 bitop3:0x40
	s_mov_b32 s15, exec_lo
	v_cmpx_gt_u32_e32 8, v11
; %bb.1396:                             ;   in Loop: Header=BB212_1069 Depth=1
	s_delay_alu instid0(VALU_DEP_2) | instskip(NEXT) | instid1(VALU_DEP_1)
	v_clz_i32_u32_e32 v10, v114
	v_min_u32_e32 v16, 32, v10
	s_delay_alu instid0(VALU_DEP_1) | instskip(NEXT) | instid1(VALU_DEP_1)
	v_subrev_nc_u32_e32 v10, 28, v16
	v_lshlrev_b64_e32 v[10:11], v10, v[114:115]
	s_delay_alu instid0(VALU_DEP_1)
	v_dual_sub_nc_u32 v16, 29, v16 :: v_dual_bitop2_b32 v114, 7, v10 bitop3:0x40
; %bb.1397:                             ;   in Loop: Header=BB212_1069 Depth=1
	s_or_b32 exec_lo, exec_lo, s15
	s_delay_alu instid0(VALU_DEP_1) | instskip(NEXT) | instid1(VALU_DEP_2)
	v_dual_lshlrev_b32 v9, 24, v9 :: v_dual_lshlrev_b32 v10, 20, v114
	v_lshl_add_u32 v11, v16, 23, 0x3c000000
	s_delay_alu instid0(VALU_DEP_2) | instskip(NEXT) | instid1(VALU_DEP_1)
	v_and_b32_e32 v9, 0x80000000, v9
	v_or3_b32 v114, v10, v9, v11
	s_delay_alu instid0(VALU_DEP_1)
	v_mov_b64_e32 v[16:17], v[114:115]
.LBB212_1398:                           ;   in Loop: Header=BB212_1069 Depth=1
	s_or_b32 exec_lo, exec_lo, s14
.LBB212_1399:                           ;   in Loop: Header=BB212_1069 Depth=1
	s_delay_alu instid0(SALU_CYCLE_1)
	s_or_b32 exec_lo, exec_lo, s9
.LBB212_1400:                           ;   in Loop: Header=BB212_1069 Depth=1
	s_delay_alu instid0(SALU_CYCLE_1) | instskip(NEXT) | instid1(SALU_CYCLE_1)
	s_or_b32 exec_lo, exec_lo, s8
	s_mov_b32 s8, exec_lo
	v_cmpx_lt_u32_e32 0xffffff, v8
	s_cbranch_execz .LBB212_1408
; %bb.1401:                             ;   in Loop: Header=BB212_1069 Depth=1
	v_mov_b64_e32 v[14:15], 0x8000000000000000
	v_lshrrev_b32_e32 v9, 24, v8
	s_mov_b32 s9, exec_lo
	s_delay_alu instid0(VALU_DEP_1)
	v_cmpx_ne_u32_e32 0x80, v9
	s_cbranch_execz .LBB212_1407
; %bb.1402:                             ;   in Loop: Header=BB212_1069 Depth=1
	v_mov_b64_e32 v[14:15], 0x7f80000100000000
	v_bfe_u32 v11, v8, 24, 7
	s_mov_b32 s14, exec_lo
	s_delay_alu instid0(VALU_DEP_1)
	v_cmpx_ne_u32_e32 0x7f, v11
	s_cbranch_execz .LBB212_1406
; %bb.1403:                             ;   in Loop: Header=BB212_1069 Depth=1
	v_dual_lshrrev_b32 v8, 3, v11 :: v_dual_bitop2_b32 v114, 7, v9 bitop3:0x40
	s_mov_b32 s15, exec_lo
	v_cmpx_gt_u32_e32 8, v11
; %bb.1404:                             ;   in Loop: Header=BB212_1069 Depth=1
	s_delay_alu instid0(VALU_DEP_2) | instskip(NEXT) | instid1(VALU_DEP_1)
	v_clz_i32_u32_e32 v8, v114
	v_min_u32_e32 v8, 32, v8
	s_delay_alu instid0(VALU_DEP_1) | instskip(NEXT) | instid1(VALU_DEP_1)
	v_subrev_nc_u32_e32 v10, 28, v8
	v_lshlrev_b64_e32 v[10:11], v10, v[114:115]
	s_delay_alu instid0(VALU_DEP_1)
	v_dual_sub_nc_u32 v8, 29, v8 :: v_dual_bitop2_b32 v114, 7, v10 bitop3:0x40
; %bb.1405:                             ;   in Loop: Header=BB212_1069 Depth=1
	s_or_b32 exec_lo, exec_lo, s15
	s_delay_alu instid0(VALU_DEP_1) | instskip(NEXT) | instid1(VALU_DEP_2)
	v_dual_lshlrev_b32 v9, 24, v9 :: v_dual_lshlrev_b32 v10, 20, v114
	v_lshl_add_u32 v8, v8, 23, 0x3c000000
	v_mov_b32_e32 v14, v115
	s_delay_alu instid0(VALU_DEP_3) | instskip(NEXT) | instid1(VALU_DEP_1)
	v_and_b32_e32 v9, 0x80000000, v9
	v_or3_b32 v15, v10, v9, v8
.LBB212_1406:                           ;   in Loop: Header=BB212_1069 Depth=1
	s_or_b32 exec_lo, exec_lo, s14
.LBB212_1407:                           ;   in Loop: Header=BB212_1069 Depth=1
	s_delay_alu instid0(SALU_CYCLE_1)
	s_or_b32 exec_lo, exec_lo, s9
.LBB212_1408:                           ;   in Loop: Header=BB212_1069 Depth=1
	s_delay_alu instid0(SALU_CYCLE_1) | instskip(SKIP_4) | instid1(VALU_DEP_3)
	s_or_b32 exec_lo, exec_lo, s8
	v_or_b32_e32 v1, v1, v13
	v_or_b32_e32 v0, v0, v12
	;; [unrolled: 1-line block ×4, first 2 shown]
	v_pk_mul_f32 v[72:73], v[82:83], v[0:1]
	s_delay_alu instid0(VALU_DEP_2)
	v_pk_mul_f32 v[62:63], v[82:83], v[8:9]
	s_and_saveexec_b32 s8, vcc_lo
	s_cbranch_execz .LBB212_1410
; %bb.1409:                             ;   in Loop: Header=BB212_1069 Depth=1
	scratch_load_b64 v[0:1], off, s32 offset:200 ; 8-byte Folded Reload
	s_wait_loadcnt 0x0
	v_cmp_lt_i32_e64 s0, v119, v0
	s_delay_alu instid0(VALU_DEP_1) | instskip(SKIP_1) | instid1(VALU_DEP_1)
	v_cndmask_b32_e64 v72, 0, v72, s0
	v_cmp_lt_i32_e64 s0, v40, v0
	v_cndmask_b32_e64 v73, 0, v73, s0
	v_cmp_lt_i32_e64 s0, v113, v0
	s_delay_alu instid0(VALU_DEP_1) | instskip(SKIP_1) | instid1(VALU_DEP_1)
	v_cndmask_b32_e64 v62, 0, v62, s0
	v_cmp_lt_i32_e64 s0, v112, v0
	v_cndmask_b32_e64 v63, 0, v63, s0
.LBB212_1410:                           ;   in Loop: Header=BB212_1069 Depth=1
	s_wait_xcnt 0x0
	s_or_b32 exec_lo, exec_lo, s8
	flat_load_b32 v8, v[102:103] offset:1280
	v_mov_b64_e32 v[0:1], 0
	v_mov_b64_e32 v[12:13], 0
	s_mov_b32 s8, exec_lo
	s_wait_loadcnt_dscnt 0x0
	v_and_b32_e32 v9, 0xff, v8
	s_wait_xcnt 0x0
	s_delay_alu instid0(VALU_DEP_1)
	v_cmpx_ne_u16_e32 0, v9
	s_cbranch_execz .LBB212_1418
; %bb.1411:                             ;   in Loop: Header=BB212_1069 Depth=1
	v_mov_b64_e32 v[12:13], 0x80000000
	s_mov_b32 s9, exec_lo
	v_cmpx_ne_u16_e32 0x80, v9
	s_cbranch_execz .LBB212_1417
; %bb.1412:                             ;   in Loop: Header=BB212_1069 Depth=1
	v_mov_b64_e32 v[12:13], 0x7f800001
	v_and_b32_e32 v11, 0x7f, v8
	s_mov_b32 s14, exec_lo
	s_delay_alu instid0(VALU_DEP_1)
	v_cmpx_ne_u32_e32 0x7f, v11
	s_cbranch_execz .LBB212_1416
; %bb.1413:                             ;   in Loop: Header=BB212_1069 Depth=1
	v_dual_lshrrev_b32 v9, 3, v11 :: v_dual_bitop2_b32 v114, 7, v8 bitop3:0x40
	s_mov_b32 s15, exec_lo
	v_cmpx_gt_u32_e32 8, v11
; %bb.1414:                             ;   in Loop: Header=BB212_1069 Depth=1
	s_delay_alu instid0(VALU_DEP_2) | instskip(NEXT) | instid1(VALU_DEP_1)
	v_clz_i32_u32_e32 v9, v114
	v_min_u32_e32 v9, 32, v9
	s_delay_alu instid0(VALU_DEP_1) | instskip(NEXT) | instid1(VALU_DEP_1)
	v_subrev_nc_u32_e32 v10, 28, v9
	v_lshlrev_b64_e32 v[10:11], v10, v[114:115]
	s_delay_alu instid0(VALU_DEP_1)
	v_dual_sub_nc_u32 v9, 29, v9 :: v_dual_bitop2_b32 v114, 7, v10 bitop3:0x40
; %bb.1415:                             ;   in Loop: Header=BB212_1069 Depth=1
	s_or_b32 exec_lo, exec_lo, s15
	s_delay_alu instid0(VALU_DEP_1) | instskip(NEXT) | instid1(VALU_DEP_2)
	v_dual_lshlrev_b32 v10, 24, v8 :: v_dual_lshlrev_b32 v11, 20, v114
	v_lshl_add_u32 v9, v9, 23, 0x3c000000
	s_delay_alu instid0(VALU_DEP_2) | instskip(NEXT) | instid1(VALU_DEP_1)
	v_and_b32_e32 v10, 0x80000000, v10
	v_or3_b32 v114, v11, v10, v9
	s_delay_alu instid0(VALU_DEP_1)
	v_mov_b64_e32 v[12:13], v[114:115]
.LBB212_1416:                           ;   in Loop: Header=BB212_1069 Depth=1
	s_or_b32 exec_lo, exec_lo, s14
.LBB212_1417:                           ;   in Loop: Header=BB212_1069 Depth=1
	s_delay_alu instid0(SALU_CYCLE_1)
	s_or_b32 exec_lo, exec_lo, s9
.LBB212_1418:                           ;   in Loop: Header=BB212_1069 Depth=1
	s_delay_alu instid0(SALU_CYCLE_1) | instskip(SKIP_2) | instid1(VALU_DEP_1)
	s_or_b32 exec_lo, exec_lo, s8
	v_lshrrev_b16 v9, 8, v8
	s_mov_b32 s8, exec_lo
	v_cmpx_ne_u16_e32 0, v9
	s_cbranch_execz .LBB212_1426
; %bb.1419:                             ;   in Loop: Header=BB212_1069 Depth=1
	v_mov_b64_e32 v[0:1], 0x8000000000000000
	s_mov_b32 s9, exec_lo
	v_cmpx_ne_u16_e32 0x80, v9
	s_cbranch_execz .LBB212_1425
; %bb.1420:                             ;   in Loop: Header=BB212_1069 Depth=1
	v_and_b32_e32 v11, 0xffff, v9
	v_mov_b64_e32 v[0:1], 0x7f80000100000000
	s_mov_b32 s14, exec_lo
	s_delay_alu instid0(VALU_DEP_2) | instskip(NEXT) | instid1(VALU_DEP_1)
	v_and_b32_e32 v9, 0x7f, v11
	v_cmpx_ne_u32_e32 0x7f, v9
	s_cbranch_execz .LBB212_1424
; %bb.1421:                             ;   in Loop: Header=BB212_1069 Depth=1
	v_dual_lshrrev_b32 v0, 3, v9 :: v_dual_bitop2_b32 v114, 7, v11 bitop3:0x40
	s_mov_b32 s15, exec_lo
	v_cmpx_gt_u32_e32 8, v9
; %bb.1422:                             ;   in Loop: Header=BB212_1069 Depth=1
	s_delay_alu instid0(VALU_DEP_2) | instskip(NEXT) | instid1(VALU_DEP_1)
	v_clz_i32_u32_e32 v0, v114
	v_min_u32_e32 v0, 32, v0
	s_delay_alu instid0(VALU_DEP_1) | instskip(NEXT) | instid1(VALU_DEP_1)
	v_subrev_nc_u32_e32 v1, 28, v0
	v_lshlrev_b64_e32 v[10:11], v1, v[114:115]
	s_delay_alu instid0(VALU_DEP_1)
	v_dual_sub_nc_u32 v0, 29, v0 :: v_dual_bitop2_b32 v114, 7, v10 bitop3:0x40
; %bb.1423:                             ;   in Loop: Header=BB212_1069 Depth=1
	s_or_b32 exec_lo, exec_lo, s15
	s_delay_alu instid0(VALU_DEP_1) | instskip(NEXT) | instid1(VALU_DEP_2)
	v_dual_lshlrev_b32 v1, 16, v8 :: v_dual_lshlrev_b32 v9, 20, v114
	v_lshl_add_u32 v0, v0, 23, 0x3c000000
	s_delay_alu instid0(VALU_DEP_2) | instskip(NEXT) | instid1(VALU_DEP_1)
	v_and_b32_e32 v1, 0x80000000, v1
	v_or3_b32 v1, v9, v1, v0
	v_mov_b32_e32 v0, v115
.LBB212_1424:                           ;   in Loop: Header=BB212_1069 Depth=1
	s_or_b32 exec_lo, exec_lo, s14
.LBB212_1425:                           ;   in Loop: Header=BB212_1069 Depth=1
	s_delay_alu instid0(SALU_CYCLE_1)
	s_or_b32 exec_lo, exec_lo, s9
.LBB212_1426:                           ;   in Loop: Header=BB212_1069 Depth=1
	s_delay_alu instid0(SALU_CYCLE_1) | instskip(SKIP_4) | instid1(VALU_DEP_3)
	s_or_b32 exec_lo, exec_lo, s8
	v_lshrrev_b32_e32 v9, 16, v8
	v_mov_b64_e32 v[14:15], 0
	v_mov_b64_e32 v[16:17], 0
	s_mov_b32 s8, exec_lo
	v_and_b32_e32 v11, 0xff, v9
	s_delay_alu instid0(VALU_DEP_1)
	v_cmpx_ne_u16_e32 0, v11
	s_cbranch_execz .LBB212_1434
; %bb.1427:                             ;   in Loop: Header=BB212_1069 Depth=1
	v_mov_b64_e32 v[16:17], 0x80000000
	s_mov_b32 s9, exec_lo
	v_cmpx_ne_u16_e32 0x80, v11
	s_cbranch_execz .LBB212_1433
; %bb.1428:                             ;   in Loop: Header=BB212_1069 Depth=1
	v_mov_b64_e32 v[16:17], 0x7f800001
	v_bfe_u32 v11, v8, 16, 7
	s_mov_b32 s14, exec_lo
	s_delay_alu instid0(VALU_DEP_1)
	v_cmpx_ne_u32_e32 0x7f, v11
	s_cbranch_execz .LBB212_1432
; %bb.1429:                             ;   in Loop: Header=BB212_1069 Depth=1
	v_dual_lshrrev_b32 v16, 3, v11 :: v_dual_bitop2_b32 v114, 7, v9 bitop3:0x40
	s_mov_b32 s15, exec_lo
	v_cmpx_gt_u32_e32 8, v11
; %bb.1430:                             ;   in Loop: Header=BB212_1069 Depth=1
	s_delay_alu instid0(VALU_DEP_2) | instskip(NEXT) | instid1(VALU_DEP_1)
	v_clz_i32_u32_e32 v10, v114
	v_min_u32_e32 v16, 32, v10
	s_delay_alu instid0(VALU_DEP_1) | instskip(NEXT) | instid1(VALU_DEP_1)
	v_subrev_nc_u32_e32 v10, 28, v16
	v_lshlrev_b64_e32 v[10:11], v10, v[114:115]
	s_delay_alu instid0(VALU_DEP_1)
	v_dual_sub_nc_u32 v16, 29, v16 :: v_dual_bitop2_b32 v114, 7, v10 bitop3:0x40
; %bb.1431:                             ;   in Loop: Header=BB212_1069 Depth=1
	s_or_b32 exec_lo, exec_lo, s15
	s_delay_alu instid0(VALU_DEP_1) | instskip(NEXT) | instid1(VALU_DEP_2)
	v_dual_lshlrev_b32 v9, 24, v9 :: v_dual_lshlrev_b32 v10, 20, v114
	v_lshl_add_u32 v11, v16, 23, 0x3c000000
	s_delay_alu instid0(VALU_DEP_2) | instskip(NEXT) | instid1(VALU_DEP_1)
	v_and_b32_e32 v9, 0x80000000, v9
	v_or3_b32 v114, v10, v9, v11
	s_delay_alu instid0(VALU_DEP_1)
	v_mov_b64_e32 v[16:17], v[114:115]
.LBB212_1432:                           ;   in Loop: Header=BB212_1069 Depth=1
	s_or_b32 exec_lo, exec_lo, s14
.LBB212_1433:                           ;   in Loop: Header=BB212_1069 Depth=1
	s_delay_alu instid0(SALU_CYCLE_1)
	s_or_b32 exec_lo, exec_lo, s9
.LBB212_1434:                           ;   in Loop: Header=BB212_1069 Depth=1
	s_delay_alu instid0(SALU_CYCLE_1) | instskip(NEXT) | instid1(SALU_CYCLE_1)
	s_or_b32 exec_lo, exec_lo, s8
	s_mov_b32 s8, exec_lo
	v_cmpx_lt_u32_e32 0xffffff, v8
	s_cbranch_execz .LBB212_1442
; %bb.1435:                             ;   in Loop: Header=BB212_1069 Depth=1
	v_mov_b64_e32 v[14:15], 0x8000000000000000
	v_lshrrev_b32_e32 v9, 24, v8
	s_mov_b32 s9, exec_lo
	s_delay_alu instid0(VALU_DEP_1)
	v_cmpx_ne_u32_e32 0x80, v9
	s_cbranch_execz .LBB212_1441
; %bb.1436:                             ;   in Loop: Header=BB212_1069 Depth=1
	v_mov_b64_e32 v[14:15], 0x7f80000100000000
	v_bfe_u32 v11, v8, 24, 7
	s_mov_b32 s14, exec_lo
	s_delay_alu instid0(VALU_DEP_1)
	v_cmpx_ne_u32_e32 0x7f, v11
	s_cbranch_execz .LBB212_1440
; %bb.1437:                             ;   in Loop: Header=BB212_1069 Depth=1
	v_dual_lshrrev_b32 v8, 3, v11 :: v_dual_bitop2_b32 v114, 7, v9 bitop3:0x40
	s_mov_b32 s15, exec_lo
	v_cmpx_gt_u32_e32 8, v11
; %bb.1438:                             ;   in Loop: Header=BB212_1069 Depth=1
	s_delay_alu instid0(VALU_DEP_2) | instskip(NEXT) | instid1(VALU_DEP_1)
	v_clz_i32_u32_e32 v8, v114
	v_min_u32_e32 v8, 32, v8
	s_delay_alu instid0(VALU_DEP_1) | instskip(NEXT) | instid1(VALU_DEP_1)
	v_subrev_nc_u32_e32 v10, 28, v8
	v_lshlrev_b64_e32 v[10:11], v10, v[114:115]
	s_delay_alu instid0(VALU_DEP_1)
	v_dual_sub_nc_u32 v8, 29, v8 :: v_dual_bitop2_b32 v114, 7, v10 bitop3:0x40
; %bb.1439:                             ;   in Loop: Header=BB212_1069 Depth=1
	s_or_b32 exec_lo, exec_lo, s15
	s_delay_alu instid0(VALU_DEP_1) | instskip(NEXT) | instid1(VALU_DEP_2)
	v_dual_lshlrev_b32 v9, 24, v9 :: v_dual_lshlrev_b32 v10, 20, v114
	v_lshl_add_u32 v8, v8, 23, 0x3c000000
	v_mov_b32_e32 v14, v115
	s_delay_alu instid0(VALU_DEP_3) | instskip(NEXT) | instid1(VALU_DEP_1)
	v_and_b32_e32 v9, 0x80000000, v9
	v_or3_b32 v15, v10, v9, v8
.LBB212_1440:                           ;   in Loop: Header=BB212_1069 Depth=1
	s_or_b32 exec_lo, exec_lo, s14
.LBB212_1441:                           ;   in Loop: Header=BB212_1069 Depth=1
	s_delay_alu instid0(SALU_CYCLE_1)
	s_or_b32 exec_lo, exec_lo, s9
.LBB212_1442:                           ;   in Loop: Header=BB212_1069 Depth=1
	s_delay_alu instid0(SALU_CYCLE_1) | instskip(SKIP_4) | instid1(VALU_DEP_3)
	s_or_b32 exec_lo, exec_lo, s8
	v_or_b32_e32 v1, v1, v13
	v_or_b32_e32 v0, v0, v12
	;; [unrolled: 1-line block ×4, first 2 shown]
	v_pk_mul_f32 v[76:77], v[82:83], v[0:1]
	s_delay_alu instid0(VALU_DEP_2)
	v_pk_mul_f32 v[74:75], v[82:83], v[8:9]
	s_and_saveexec_b32 s8, vcc_lo
	s_cbranch_execz .LBB212_1444
; %bb.1443:                             ;   in Loop: Header=BB212_1069 Depth=1
	scratch_load_b64 v[0:1], off, s32 offset:200 ; 8-byte Folded Reload
	s_wait_loadcnt 0x0
	v_cmp_lt_i32_e64 s0, v119, v0
	s_delay_alu instid0(VALU_DEP_1) | instskip(SKIP_1) | instid1(VALU_DEP_1)
	v_cndmask_b32_e64 v76, 0, v76, s0
	v_cmp_lt_i32_e64 s0, v40, v0
	v_cndmask_b32_e64 v77, 0, v77, s0
	v_cmp_lt_i32_e64 s0, v113, v0
	s_delay_alu instid0(VALU_DEP_1) | instskip(SKIP_1) | instid1(VALU_DEP_1)
	v_cndmask_b32_e64 v74, 0, v74, s0
	v_cmp_lt_i32_e64 s0, v112, v0
	v_cndmask_b32_e64 v75, 0, v75, s0
.LBB212_1444:                           ;   in Loop: Header=BB212_1069 Depth=1
	s_wait_xcnt 0x0
	s_or_b32 exec_lo, exec_lo, s8
	flat_load_b32 v8, v[102:103] offset:1408
	v_mov_b64_e32 v[0:1], 0
	v_mov_b64_e32 v[12:13], 0
	s_mov_b32 s8, exec_lo
	s_wait_loadcnt_dscnt 0x0
	v_and_b32_e32 v9, 0xff, v8
	s_wait_xcnt 0x0
	s_delay_alu instid0(VALU_DEP_1)
	v_cmpx_ne_u16_e32 0, v9
	s_cbranch_execz .LBB212_1452
; %bb.1445:                             ;   in Loop: Header=BB212_1069 Depth=1
	v_mov_b64_e32 v[12:13], 0x80000000
	s_mov_b32 s9, exec_lo
	v_cmpx_ne_u16_e32 0x80, v9
	s_cbranch_execz .LBB212_1451
; %bb.1446:                             ;   in Loop: Header=BB212_1069 Depth=1
	v_mov_b64_e32 v[12:13], 0x7f800001
	v_and_b32_e32 v11, 0x7f, v8
	s_mov_b32 s14, exec_lo
	s_delay_alu instid0(VALU_DEP_1)
	v_cmpx_ne_u32_e32 0x7f, v11
	s_cbranch_execz .LBB212_1450
; %bb.1447:                             ;   in Loop: Header=BB212_1069 Depth=1
	v_dual_lshrrev_b32 v9, 3, v11 :: v_dual_bitop2_b32 v114, 7, v8 bitop3:0x40
	s_mov_b32 s15, exec_lo
	v_cmpx_gt_u32_e32 8, v11
; %bb.1448:                             ;   in Loop: Header=BB212_1069 Depth=1
	s_delay_alu instid0(VALU_DEP_2) | instskip(NEXT) | instid1(VALU_DEP_1)
	v_clz_i32_u32_e32 v9, v114
	v_min_u32_e32 v9, 32, v9
	s_delay_alu instid0(VALU_DEP_1) | instskip(NEXT) | instid1(VALU_DEP_1)
	v_subrev_nc_u32_e32 v10, 28, v9
	v_lshlrev_b64_e32 v[10:11], v10, v[114:115]
	s_delay_alu instid0(VALU_DEP_1)
	v_dual_sub_nc_u32 v9, 29, v9 :: v_dual_bitop2_b32 v114, 7, v10 bitop3:0x40
; %bb.1449:                             ;   in Loop: Header=BB212_1069 Depth=1
	s_or_b32 exec_lo, exec_lo, s15
	s_delay_alu instid0(VALU_DEP_1) | instskip(NEXT) | instid1(VALU_DEP_2)
	v_dual_lshlrev_b32 v10, 24, v8 :: v_dual_lshlrev_b32 v11, 20, v114
	v_lshl_add_u32 v9, v9, 23, 0x3c000000
	s_delay_alu instid0(VALU_DEP_2) | instskip(NEXT) | instid1(VALU_DEP_1)
	v_and_b32_e32 v10, 0x80000000, v10
	v_or3_b32 v114, v11, v10, v9
	s_delay_alu instid0(VALU_DEP_1)
	v_mov_b64_e32 v[12:13], v[114:115]
.LBB212_1450:                           ;   in Loop: Header=BB212_1069 Depth=1
	s_or_b32 exec_lo, exec_lo, s14
.LBB212_1451:                           ;   in Loop: Header=BB212_1069 Depth=1
	s_delay_alu instid0(SALU_CYCLE_1)
	s_or_b32 exec_lo, exec_lo, s9
.LBB212_1452:                           ;   in Loop: Header=BB212_1069 Depth=1
	s_delay_alu instid0(SALU_CYCLE_1) | instskip(SKIP_2) | instid1(VALU_DEP_1)
	s_or_b32 exec_lo, exec_lo, s8
	v_lshrrev_b16 v9, 8, v8
	s_mov_b32 s8, exec_lo
	v_cmpx_ne_u16_e32 0, v9
	s_cbranch_execz .LBB212_1460
; %bb.1453:                             ;   in Loop: Header=BB212_1069 Depth=1
	v_mov_b64_e32 v[0:1], 0x8000000000000000
	s_mov_b32 s9, exec_lo
	v_cmpx_ne_u16_e32 0x80, v9
	s_cbranch_execz .LBB212_1459
; %bb.1454:                             ;   in Loop: Header=BB212_1069 Depth=1
	v_and_b32_e32 v11, 0xffff, v9
	v_mov_b64_e32 v[0:1], 0x7f80000100000000
	s_mov_b32 s14, exec_lo
	s_delay_alu instid0(VALU_DEP_2) | instskip(NEXT) | instid1(VALU_DEP_1)
	v_and_b32_e32 v9, 0x7f, v11
	v_cmpx_ne_u32_e32 0x7f, v9
	s_cbranch_execz .LBB212_1458
; %bb.1455:                             ;   in Loop: Header=BB212_1069 Depth=1
	v_dual_lshrrev_b32 v0, 3, v9 :: v_dual_bitop2_b32 v114, 7, v11 bitop3:0x40
	s_mov_b32 s15, exec_lo
	v_cmpx_gt_u32_e32 8, v9
; %bb.1456:                             ;   in Loop: Header=BB212_1069 Depth=1
	s_delay_alu instid0(VALU_DEP_2) | instskip(NEXT) | instid1(VALU_DEP_1)
	v_clz_i32_u32_e32 v0, v114
	v_min_u32_e32 v0, 32, v0
	s_delay_alu instid0(VALU_DEP_1) | instskip(NEXT) | instid1(VALU_DEP_1)
	v_subrev_nc_u32_e32 v1, 28, v0
	v_lshlrev_b64_e32 v[10:11], v1, v[114:115]
	s_delay_alu instid0(VALU_DEP_1)
	v_dual_sub_nc_u32 v0, 29, v0 :: v_dual_bitop2_b32 v114, 7, v10 bitop3:0x40
; %bb.1457:                             ;   in Loop: Header=BB212_1069 Depth=1
	s_or_b32 exec_lo, exec_lo, s15
	s_delay_alu instid0(VALU_DEP_1) | instskip(NEXT) | instid1(VALU_DEP_2)
	v_dual_lshlrev_b32 v1, 16, v8 :: v_dual_lshlrev_b32 v9, 20, v114
	v_lshl_add_u32 v0, v0, 23, 0x3c000000
	s_delay_alu instid0(VALU_DEP_2) | instskip(NEXT) | instid1(VALU_DEP_1)
	v_and_b32_e32 v1, 0x80000000, v1
	v_or3_b32 v1, v9, v1, v0
	v_mov_b32_e32 v0, v115
.LBB212_1458:                           ;   in Loop: Header=BB212_1069 Depth=1
	s_or_b32 exec_lo, exec_lo, s14
.LBB212_1459:                           ;   in Loop: Header=BB212_1069 Depth=1
	s_delay_alu instid0(SALU_CYCLE_1)
	s_or_b32 exec_lo, exec_lo, s9
.LBB212_1460:                           ;   in Loop: Header=BB212_1069 Depth=1
	s_delay_alu instid0(SALU_CYCLE_1) | instskip(SKIP_4) | instid1(VALU_DEP_3)
	s_or_b32 exec_lo, exec_lo, s8
	v_lshrrev_b32_e32 v9, 16, v8
	v_mov_b64_e32 v[14:15], 0
	v_mov_b64_e32 v[16:17], 0
	s_mov_b32 s8, exec_lo
	v_and_b32_e32 v11, 0xff, v9
	s_delay_alu instid0(VALU_DEP_1)
	v_cmpx_ne_u16_e32 0, v11
	s_cbranch_execz .LBB212_1468
; %bb.1461:                             ;   in Loop: Header=BB212_1069 Depth=1
	v_mov_b64_e32 v[16:17], 0x80000000
	s_mov_b32 s9, exec_lo
	v_cmpx_ne_u16_e32 0x80, v11
	s_cbranch_execz .LBB212_1467
; %bb.1462:                             ;   in Loop: Header=BB212_1069 Depth=1
	v_mov_b64_e32 v[16:17], 0x7f800001
	v_bfe_u32 v11, v8, 16, 7
	s_mov_b32 s14, exec_lo
	s_delay_alu instid0(VALU_DEP_1)
	v_cmpx_ne_u32_e32 0x7f, v11
	s_cbranch_execz .LBB212_1466
; %bb.1463:                             ;   in Loop: Header=BB212_1069 Depth=1
	v_dual_lshrrev_b32 v16, 3, v11 :: v_dual_bitop2_b32 v114, 7, v9 bitop3:0x40
	s_mov_b32 s15, exec_lo
	v_cmpx_gt_u32_e32 8, v11
; %bb.1464:                             ;   in Loop: Header=BB212_1069 Depth=1
	s_delay_alu instid0(VALU_DEP_2) | instskip(NEXT) | instid1(VALU_DEP_1)
	v_clz_i32_u32_e32 v10, v114
	v_min_u32_e32 v16, 32, v10
	s_delay_alu instid0(VALU_DEP_1) | instskip(NEXT) | instid1(VALU_DEP_1)
	v_subrev_nc_u32_e32 v10, 28, v16
	v_lshlrev_b64_e32 v[10:11], v10, v[114:115]
	s_delay_alu instid0(VALU_DEP_1)
	v_dual_sub_nc_u32 v16, 29, v16 :: v_dual_bitop2_b32 v114, 7, v10 bitop3:0x40
; %bb.1465:                             ;   in Loop: Header=BB212_1069 Depth=1
	s_or_b32 exec_lo, exec_lo, s15
	s_delay_alu instid0(VALU_DEP_1) | instskip(NEXT) | instid1(VALU_DEP_2)
	v_dual_lshlrev_b32 v9, 24, v9 :: v_dual_lshlrev_b32 v10, 20, v114
	v_lshl_add_u32 v11, v16, 23, 0x3c000000
	s_delay_alu instid0(VALU_DEP_2) | instskip(NEXT) | instid1(VALU_DEP_1)
	v_and_b32_e32 v9, 0x80000000, v9
	v_or3_b32 v114, v10, v9, v11
	s_delay_alu instid0(VALU_DEP_1)
	v_mov_b64_e32 v[16:17], v[114:115]
.LBB212_1466:                           ;   in Loop: Header=BB212_1069 Depth=1
	s_or_b32 exec_lo, exec_lo, s14
.LBB212_1467:                           ;   in Loop: Header=BB212_1069 Depth=1
	s_delay_alu instid0(SALU_CYCLE_1)
	s_or_b32 exec_lo, exec_lo, s9
.LBB212_1468:                           ;   in Loop: Header=BB212_1069 Depth=1
	s_delay_alu instid0(SALU_CYCLE_1) | instskip(NEXT) | instid1(SALU_CYCLE_1)
	s_or_b32 exec_lo, exec_lo, s8
	s_mov_b32 s8, exec_lo
	v_cmpx_lt_u32_e32 0xffffff, v8
	s_cbranch_execz .LBB212_1476
; %bb.1469:                             ;   in Loop: Header=BB212_1069 Depth=1
	v_mov_b64_e32 v[14:15], 0x8000000000000000
	v_lshrrev_b32_e32 v9, 24, v8
	s_mov_b32 s9, exec_lo
	s_delay_alu instid0(VALU_DEP_1)
	v_cmpx_ne_u32_e32 0x80, v9
	s_cbranch_execz .LBB212_1475
; %bb.1470:                             ;   in Loop: Header=BB212_1069 Depth=1
	v_mov_b64_e32 v[14:15], 0x7f80000100000000
	v_bfe_u32 v11, v8, 24, 7
	s_mov_b32 s14, exec_lo
	s_delay_alu instid0(VALU_DEP_1)
	v_cmpx_ne_u32_e32 0x7f, v11
	s_cbranch_execz .LBB212_1474
; %bb.1471:                             ;   in Loop: Header=BB212_1069 Depth=1
	v_dual_lshrrev_b32 v8, 3, v11 :: v_dual_bitop2_b32 v114, 7, v9 bitop3:0x40
	s_mov_b32 s15, exec_lo
	v_cmpx_gt_u32_e32 8, v11
; %bb.1472:                             ;   in Loop: Header=BB212_1069 Depth=1
	s_delay_alu instid0(VALU_DEP_2) | instskip(NEXT) | instid1(VALU_DEP_1)
	v_clz_i32_u32_e32 v8, v114
	v_min_u32_e32 v8, 32, v8
	s_delay_alu instid0(VALU_DEP_1) | instskip(NEXT) | instid1(VALU_DEP_1)
	v_subrev_nc_u32_e32 v10, 28, v8
	v_lshlrev_b64_e32 v[10:11], v10, v[114:115]
	s_delay_alu instid0(VALU_DEP_1)
	v_dual_sub_nc_u32 v8, 29, v8 :: v_dual_bitop2_b32 v114, 7, v10 bitop3:0x40
; %bb.1473:                             ;   in Loop: Header=BB212_1069 Depth=1
	s_or_b32 exec_lo, exec_lo, s15
	s_delay_alu instid0(VALU_DEP_1) | instskip(NEXT) | instid1(VALU_DEP_2)
	v_dual_lshlrev_b32 v9, 24, v9 :: v_dual_lshlrev_b32 v10, 20, v114
	v_lshl_add_u32 v8, v8, 23, 0x3c000000
	v_mov_b32_e32 v14, v115
	s_delay_alu instid0(VALU_DEP_3) | instskip(NEXT) | instid1(VALU_DEP_1)
	v_and_b32_e32 v9, 0x80000000, v9
	v_or3_b32 v15, v10, v9, v8
.LBB212_1474:                           ;   in Loop: Header=BB212_1069 Depth=1
	s_or_b32 exec_lo, exec_lo, s14
.LBB212_1475:                           ;   in Loop: Header=BB212_1069 Depth=1
	s_delay_alu instid0(SALU_CYCLE_1)
	s_or_b32 exec_lo, exec_lo, s9
.LBB212_1476:                           ;   in Loop: Header=BB212_1069 Depth=1
	s_delay_alu instid0(SALU_CYCLE_1) | instskip(SKIP_4) | instid1(VALU_DEP_3)
	s_or_b32 exec_lo, exec_lo, s8
	v_or_b32_e32 v1, v1, v13
	v_or_b32_e32 v0, v0, v12
	;; [unrolled: 1-line block ×4, first 2 shown]
	v_pk_mul_f32 v[88:89], v[82:83], v[0:1]
	s_delay_alu instid0(VALU_DEP_2)
	v_pk_mul_f32 v[78:79], v[82:83], v[8:9]
	s_and_saveexec_b32 s8, vcc_lo
	s_cbranch_execz .LBB212_1478
; %bb.1477:                             ;   in Loop: Header=BB212_1069 Depth=1
	scratch_load_b64 v[0:1], off, s32 offset:200 ; 8-byte Folded Reload
	s_wait_loadcnt 0x0
	v_cmp_lt_i32_e64 s0, v119, v0
	s_delay_alu instid0(VALU_DEP_1) | instskip(SKIP_1) | instid1(VALU_DEP_1)
	v_cndmask_b32_e64 v88, 0, v88, s0
	v_cmp_lt_i32_e64 s0, v40, v0
	v_cndmask_b32_e64 v89, 0, v89, s0
	v_cmp_lt_i32_e64 s0, v113, v0
	s_delay_alu instid0(VALU_DEP_1) | instskip(SKIP_1) | instid1(VALU_DEP_1)
	v_cndmask_b32_e64 v78, 0, v78, s0
	v_cmp_lt_i32_e64 s0, v112, v0
	v_cndmask_b32_e64 v79, 0, v79, s0
.LBB212_1478:                           ;   in Loop: Header=BB212_1069 Depth=1
	s_wait_xcnt 0x0
	s_or_b32 exec_lo, exec_lo, s8
	flat_load_b32 v8, v[102:103] offset:1536
	v_mov_b64_e32 v[0:1], 0
	v_mov_b64_e32 v[12:13], 0
	s_mov_b32 s8, exec_lo
	s_wait_loadcnt_dscnt 0x0
	v_and_b32_e32 v9, 0xff, v8
	s_wait_xcnt 0x0
	s_delay_alu instid0(VALU_DEP_1)
	v_cmpx_ne_u16_e32 0, v9
	s_cbranch_execz .LBB212_1486
; %bb.1479:                             ;   in Loop: Header=BB212_1069 Depth=1
	v_mov_b64_e32 v[12:13], 0x80000000
	s_mov_b32 s9, exec_lo
	v_cmpx_ne_u16_e32 0x80, v9
	s_cbranch_execz .LBB212_1485
; %bb.1480:                             ;   in Loop: Header=BB212_1069 Depth=1
	v_mov_b64_e32 v[12:13], 0x7f800001
	v_and_b32_e32 v11, 0x7f, v8
	s_mov_b32 s14, exec_lo
	s_delay_alu instid0(VALU_DEP_1)
	v_cmpx_ne_u32_e32 0x7f, v11
	s_cbranch_execz .LBB212_1484
; %bb.1481:                             ;   in Loop: Header=BB212_1069 Depth=1
	v_dual_lshrrev_b32 v9, 3, v11 :: v_dual_bitop2_b32 v114, 7, v8 bitop3:0x40
	s_mov_b32 s15, exec_lo
	v_cmpx_gt_u32_e32 8, v11
; %bb.1482:                             ;   in Loop: Header=BB212_1069 Depth=1
	s_delay_alu instid0(VALU_DEP_2) | instskip(NEXT) | instid1(VALU_DEP_1)
	v_clz_i32_u32_e32 v9, v114
	v_min_u32_e32 v9, 32, v9
	s_delay_alu instid0(VALU_DEP_1) | instskip(NEXT) | instid1(VALU_DEP_1)
	v_subrev_nc_u32_e32 v10, 28, v9
	v_lshlrev_b64_e32 v[10:11], v10, v[114:115]
	s_delay_alu instid0(VALU_DEP_1)
	v_dual_sub_nc_u32 v9, 29, v9 :: v_dual_bitop2_b32 v114, 7, v10 bitop3:0x40
; %bb.1483:                             ;   in Loop: Header=BB212_1069 Depth=1
	s_or_b32 exec_lo, exec_lo, s15
	s_delay_alu instid0(VALU_DEP_1) | instskip(NEXT) | instid1(VALU_DEP_2)
	v_dual_lshlrev_b32 v10, 24, v8 :: v_dual_lshlrev_b32 v11, 20, v114
	v_lshl_add_u32 v9, v9, 23, 0x3c000000
	s_delay_alu instid0(VALU_DEP_2) | instskip(NEXT) | instid1(VALU_DEP_1)
	v_and_b32_e32 v10, 0x80000000, v10
	v_or3_b32 v114, v11, v10, v9
	s_delay_alu instid0(VALU_DEP_1)
	v_mov_b64_e32 v[12:13], v[114:115]
.LBB212_1484:                           ;   in Loop: Header=BB212_1069 Depth=1
	s_or_b32 exec_lo, exec_lo, s14
.LBB212_1485:                           ;   in Loop: Header=BB212_1069 Depth=1
	s_delay_alu instid0(SALU_CYCLE_1)
	s_or_b32 exec_lo, exec_lo, s9
.LBB212_1486:                           ;   in Loop: Header=BB212_1069 Depth=1
	s_delay_alu instid0(SALU_CYCLE_1) | instskip(SKIP_2) | instid1(VALU_DEP_1)
	s_or_b32 exec_lo, exec_lo, s8
	v_lshrrev_b16 v9, 8, v8
	s_mov_b32 s8, exec_lo
	v_cmpx_ne_u16_e32 0, v9
	s_cbranch_execz .LBB212_1494
; %bb.1487:                             ;   in Loop: Header=BB212_1069 Depth=1
	v_mov_b64_e32 v[0:1], 0x8000000000000000
	s_mov_b32 s9, exec_lo
	v_cmpx_ne_u16_e32 0x80, v9
	s_cbranch_execz .LBB212_1493
; %bb.1488:                             ;   in Loop: Header=BB212_1069 Depth=1
	v_and_b32_e32 v11, 0xffff, v9
	v_mov_b64_e32 v[0:1], 0x7f80000100000000
	s_mov_b32 s14, exec_lo
	s_delay_alu instid0(VALU_DEP_2) | instskip(NEXT) | instid1(VALU_DEP_1)
	v_and_b32_e32 v9, 0x7f, v11
	v_cmpx_ne_u32_e32 0x7f, v9
	s_cbranch_execz .LBB212_1492
; %bb.1489:                             ;   in Loop: Header=BB212_1069 Depth=1
	v_dual_lshrrev_b32 v0, 3, v9 :: v_dual_bitop2_b32 v114, 7, v11 bitop3:0x40
	s_mov_b32 s15, exec_lo
	v_cmpx_gt_u32_e32 8, v9
; %bb.1490:                             ;   in Loop: Header=BB212_1069 Depth=1
	s_delay_alu instid0(VALU_DEP_2) | instskip(NEXT) | instid1(VALU_DEP_1)
	v_clz_i32_u32_e32 v0, v114
	v_min_u32_e32 v0, 32, v0
	s_delay_alu instid0(VALU_DEP_1) | instskip(NEXT) | instid1(VALU_DEP_1)
	v_subrev_nc_u32_e32 v1, 28, v0
	v_lshlrev_b64_e32 v[10:11], v1, v[114:115]
	s_delay_alu instid0(VALU_DEP_1)
	v_dual_sub_nc_u32 v0, 29, v0 :: v_dual_bitop2_b32 v114, 7, v10 bitop3:0x40
; %bb.1491:                             ;   in Loop: Header=BB212_1069 Depth=1
	s_or_b32 exec_lo, exec_lo, s15
	s_delay_alu instid0(VALU_DEP_1) | instskip(NEXT) | instid1(VALU_DEP_2)
	v_dual_lshlrev_b32 v1, 16, v8 :: v_dual_lshlrev_b32 v9, 20, v114
	v_lshl_add_u32 v0, v0, 23, 0x3c000000
	s_delay_alu instid0(VALU_DEP_2) | instskip(NEXT) | instid1(VALU_DEP_1)
	v_and_b32_e32 v1, 0x80000000, v1
	v_or3_b32 v1, v9, v1, v0
	v_mov_b32_e32 v0, v115
.LBB212_1492:                           ;   in Loop: Header=BB212_1069 Depth=1
	s_or_b32 exec_lo, exec_lo, s14
.LBB212_1493:                           ;   in Loop: Header=BB212_1069 Depth=1
	s_delay_alu instid0(SALU_CYCLE_1)
	s_or_b32 exec_lo, exec_lo, s9
.LBB212_1494:                           ;   in Loop: Header=BB212_1069 Depth=1
	s_delay_alu instid0(SALU_CYCLE_1) | instskip(SKIP_4) | instid1(VALU_DEP_3)
	s_or_b32 exec_lo, exec_lo, s8
	v_lshrrev_b32_e32 v9, 16, v8
	v_mov_b64_e32 v[14:15], 0
	v_mov_b64_e32 v[16:17], 0
	s_mov_b32 s8, exec_lo
	v_and_b32_e32 v11, 0xff, v9
	s_delay_alu instid0(VALU_DEP_1)
	v_cmpx_ne_u16_e32 0, v11
	s_cbranch_execz .LBB212_1502
; %bb.1495:                             ;   in Loop: Header=BB212_1069 Depth=1
	v_mov_b64_e32 v[16:17], 0x80000000
	s_mov_b32 s9, exec_lo
	v_cmpx_ne_u16_e32 0x80, v11
	s_cbranch_execz .LBB212_1501
; %bb.1496:                             ;   in Loop: Header=BB212_1069 Depth=1
	v_mov_b64_e32 v[16:17], 0x7f800001
	v_bfe_u32 v11, v8, 16, 7
	s_mov_b32 s14, exec_lo
	s_delay_alu instid0(VALU_DEP_1)
	v_cmpx_ne_u32_e32 0x7f, v11
	s_cbranch_execz .LBB212_1500
; %bb.1497:                             ;   in Loop: Header=BB212_1069 Depth=1
	v_dual_lshrrev_b32 v16, 3, v11 :: v_dual_bitop2_b32 v114, 7, v9 bitop3:0x40
	s_mov_b32 s15, exec_lo
	v_cmpx_gt_u32_e32 8, v11
; %bb.1498:                             ;   in Loop: Header=BB212_1069 Depth=1
	s_delay_alu instid0(VALU_DEP_2) | instskip(NEXT) | instid1(VALU_DEP_1)
	v_clz_i32_u32_e32 v10, v114
	v_min_u32_e32 v16, 32, v10
	s_delay_alu instid0(VALU_DEP_1) | instskip(NEXT) | instid1(VALU_DEP_1)
	v_subrev_nc_u32_e32 v10, 28, v16
	v_lshlrev_b64_e32 v[10:11], v10, v[114:115]
	s_delay_alu instid0(VALU_DEP_1)
	v_dual_sub_nc_u32 v16, 29, v16 :: v_dual_bitop2_b32 v114, 7, v10 bitop3:0x40
; %bb.1499:                             ;   in Loop: Header=BB212_1069 Depth=1
	s_or_b32 exec_lo, exec_lo, s15
	s_delay_alu instid0(VALU_DEP_1) | instskip(NEXT) | instid1(VALU_DEP_2)
	v_dual_lshlrev_b32 v9, 24, v9 :: v_dual_lshlrev_b32 v10, 20, v114
	v_lshl_add_u32 v11, v16, 23, 0x3c000000
	s_delay_alu instid0(VALU_DEP_2) | instskip(NEXT) | instid1(VALU_DEP_1)
	v_and_b32_e32 v9, 0x80000000, v9
	v_or3_b32 v114, v10, v9, v11
	s_delay_alu instid0(VALU_DEP_1)
	v_mov_b64_e32 v[16:17], v[114:115]
.LBB212_1500:                           ;   in Loop: Header=BB212_1069 Depth=1
	s_or_b32 exec_lo, exec_lo, s14
.LBB212_1501:                           ;   in Loop: Header=BB212_1069 Depth=1
	s_delay_alu instid0(SALU_CYCLE_1)
	s_or_b32 exec_lo, exec_lo, s9
.LBB212_1502:                           ;   in Loop: Header=BB212_1069 Depth=1
	s_delay_alu instid0(SALU_CYCLE_1) | instskip(NEXT) | instid1(SALU_CYCLE_1)
	s_or_b32 exec_lo, exec_lo, s8
	s_mov_b32 s8, exec_lo
	v_cmpx_lt_u32_e32 0xffffff, v8
	s_cbranch_execz .LBB212_1510
; %bb.1503:                             ;   in Loop: Header=BB212_1069 Depth=1
	v_mov_b64_e32 v[14:15], 0x8000000000000000
	v_lshrrev_b32_e32 v9, 24, v8
	s_mov_b32 s9, exec_lo
	s_delay_alu instid0(VALU_DEP_1)
	v_cmpx_ne_u32_e32 0x80, v9
	s_cbranch_execz .LBB212_1509
; %bb.1504:                             ;   in Loop: Header=BB212_1069 Depth=1
	v_mov_b64_e32 v[14:15], 0x7f80000100000000
	v_bfe_u32 v11, v8, 24, 7
	s_mov_b32 s14, exec_lo
	s_delay_alu instid0(VALU_DEP_1)
	v_cmpx_ne_u32_e32 0x7f, v11
	s_cbranch_execz .LBB212_1508
; %bb.1505:                             ;   in Loop: Header=BB212_1069 Depth=1
	v_dual_lshrrev_b32 v8, 3, v11 :: v_dual_bitop2_b32 v114, 7, v9 bitop3:0x40
	s_mov_b32 s15, exec_lo
	v_cmpx_gt_u32_e32 8, v11
; %bb.1506:                             ;   in Loop: Header=BB212_1069 Depth=1
	s_delay_alu instid0(VALU_DEP_2) | instskip(NEXT) | instid1(VALU_DEP_1)
	v_clz_i32_u32_e32 v8, v114
	v_min_u32_e32 v8, 32, v8
	s_delay_alu instid0(VALU_DEP_1) | instskip(NEXT) | instid1(VALU_DEP_1)
	v_subrev_nc_u32_e32 v10, 28, v8
	v_lshlrev_b64_e32 v[10:11], v10, v[114:115]
	s_delay_alu instid0(VALU_DEP_1)
	v_dual_sub_nc_u32 v8, 29, v8 :: v_dual_bitop2_b32 v114, 7, v10 bitop3:0x40
; %bb.1507:                             ;   in Loop: Header=BB212_1069 Depth=1
	s_or_b32 exec_lo, exec_lo, s15
	s_delay_alu instid0(VALU_DEP_1) | instskip(NEXT) | instid1(VALU_DEP_2)
	v_dual_lshlrev_b32 v9, 24, v9 :: v_dual_lshlrev_b32 v10, 20, v114
	v_lshl_add_u32 v8, v8, 23, 0x3c000000
	v_mov_b32_e32 v14, v115
	s_delay_alu instid0(VALU_DEP_3) | instskip(NEXT) | instid1(VALU_DEP_1)
	v_and_b32_e32 v9, 0x80000000, v9
	v_or3_b32 v15, v10, v9, v8
.LBB212_1508:                           ;   in Loop: Header=BB212_1069 Depth=1
	s_or_b32 exec_lo, exec_lo, s14
.LBB212_1509:                           ;   in Loop: Header=BB212_1069 Depth=1
	s_delay_alu instid0(SALU_CYCLE_1)
	s_or_b32 exec_lo, exec_lo, s9
.LBB212_1510:                           ;   in Loop: Header=BB212_1069 Depth=1
	s_delay_alu instid0(SALU_CYCLE_1) | instskip(SKIP_4) | instid1(VALU_DEP_3)
	s_or_b32 exec_lo, exec_lo, s8
	v_or_b32_e32 v1, v1, v13
	v_or_b32_e32 v0, v0, v12
	;; [unrolled: 1-line block ×4, first 2 shown]
	v_pk_mul_f32 v[92:93], v[82:83], v[0:1]
	s_delay_alu instid0(VALU_DEP_2)
	v_pk_mul_f32 v[90:91], v[82:83], v[8:9]
	s_and_saveexec_b32 s8, vcc_lo
	s_cbranch_execz .LBB212_1512
; %bb.1511:                             ;   in Loop: Header=BB212_1069 Depth=1
	scratch_load_b64 v[0:1], off, s32 offset:200 ; 8-byte Folded Reload
	s_wait_loadcnt 0x0
	v_cmp_lt_i32_e64 s0, v119, v0
	s_delay_alu instid0(VALU_DEP_1) | instskip(SKIP_1) | instid1(VALU_DEP_1)
	v_cndmask_b32_e64 v92, 0, v92, s0
	v_cmp_lt_i32_e64 s0, v40, v0
	v_cndmask_b32_e64 v93, 0, v93, s0
	v_cmp_lt_i32_e64 s0, v113, v0
	s_delay_alu instid0(VALU_DEP_1) | instskip(SKIP_1) | instid1(VALU_DEP_1)
	v_cndmask_b32_e64 v90, 0, v90, s0
	v_cmp_lt_i32_e64 s0, v112, v0
	v_cndmask_b32_e64 v91, 0, v91, s0
.LBB212_1512:                           ;   in Loop: Header=BB212_1069 Depth=1
	s_wait_xcnt 0x0
	s_or_b32 exec_lo, exec_lo, s8
	flat_load_b32 v8, v[102:103] offset:1664
	v_mov_b64_e32 v[0:1], 0
	v_mov_b64_e32 v[12:13], 0
	s_mov_b32 s8, exec_lo
	s_wait_loadcnt_dscnt 0x0
	v_and_b32_e32 v9, 0xff, v8
	s_wait_xcnt 0x0
	s_delay_alu instid0(VALU_DEP_1)
	v_cmpx_ne_u16_e32 0, v9
	s_cbranch_execz .LBB212_1520
; %bb.1513:                             ;   in Loop: Header=BB212_1069 Depth=1
	v_mov_b64_e32 v[12:13], 0x80000000
	s_mov_b32 s9, exec_lo
	v_cmpx_ne_u16_e32 0x80, v9
	s_cbranch_execz .LBB212_1519
; %bb.1514:                             ;   in Loop: Header=BB212_1069 Depth=1
	v_mov_b64_e32 v[12:13], 0x7f800001
	v_and_b32_e32 v11, 0x7f, v8
	s_mov_b32 s14, exec_lo
	s_delay_alu instid0(VALU_DEP_1)
	v_cmpx_ne_u32_e32 0x7f, v11
	s_cbranch_execz .LBB212_1518
; %bb.1515:                             ;   in Loop: Header=BB212_1069 Depth=1
	v_dual_lshrrev_b32 v9, 3, v11 :: v_dual_bitop2_b32 v114, 7, v8 bitop3:0x40
	s_mov_b32 s15, exec_lo
	v_cmpx_gt_u32_e32 8, v11
; %bb.1516:                             ;   in Loop: Header=BB212_1069 Depth=1
	s_delay_alu instid0(VALU_DEP_2) | instskip(NEXT) | instid1(VALU_DEP_1)
	v_clz_i32_u32_e32 v9, v114
	v_min_u32_e32 v9, 32, v9
	s_delay_alu instid0(VALU_DEP_1) | instskip(NEXT) | instid1(VALU_DEP_1)
	v_subrev_nc_u32_e32 v10, 28, v9
	v_lshlrev_b64_e32 v[10:11], v10, v[114:115]
	s_delay_alu instid0(VALU_DEP_1)
	v_dual_sub_nc_u32 v9, 29, v9 :: v_dual_bitop2_b32 v114, 7, v10 bitop3:0x40
; %bb.1517:                             ;   in Loop: Header=BB212_1069 Depth=1
	s_or_b32 exec_lo, exec_lo, s15
	s_delay_alu instid0(VALU_DEP_1) | instskip(NEXT) | instid1(VALU_DEP_2)
	v_dual_lshlrev_b32 v10, 24, v8 :: v_dual_lshlrev_b32 v11, 20, v114
	v_lshl_add_u32 v9, v9, 23, 0x3c000000
	s_delay_alu instid0(VALU_DEP_2) | instskip(NEXT) | instid1(VALU_DEP_1)
	v_and_b32_e32 v10, 0x80000000, v10
	v_or3_b32 v114, v11, v10, v9
	s_delay_alu instid0(VALU_DEP_1)
	v_mov_b64_e32 v[12:13], v[114:115]
.LBB212_1518:                           ;   in Loop: Header=BB212_1069 Depth=1
	s_or_b32 exec_lo, exec_lo, s14
.LBB212_1519:                           ;   in Loop: Header=BB212_1069 Depth=1
	s_delay_alu instid0(SALU_CYCLE_1)
	s_or_b32 exec_lo, exec_lo, s9
.LBB212_1520:                           ;   in Loop: Header=BB212_1069 Depth=1
	s_delay_alu instid0(SALU_CYCLE_1) | instskip(SKIP_2) | instid1(VALU_DEP_1)
	s_or_b32 exec_lo, exec_lo, s8
	v_lshrrev_b16 v9, 8, v8
	s_mov_b32 s8, exec_lo
	v_cmpx_ne_u16_e32 0, v9
	s_cbranch_execz .LBB212_1528
; %bb.1521:                             ;   in Loop: Header=BB212_1069 Depth=1
	v_mov_b64_e32 v[0:1], 0x8000000000000000
	s_mov_b32 s9, exec_lo
	v_cmpx_ne_u16_e32 0x80, v9
	s_cbranch_execz .LBB212_1527
; %bb.1522:                             ;   in Loop: Header=BB212_1069 Depth=1
	v_and_b32_e32 v11, 0xffff, v9
	v_mov_b64_e32 v[0:1], 0x7f80000100000000
	s_mov_b32 s14, exec_lo
	s_delay_alu instid0(VALU_DEP_2) | instskip(NEXT) | instid1(VALU_DEP_1)
	v_and_b32_e32 v9, 0x7f, v11
	v_cmpx_ne_u32_e32 0x7f, v9
	s_cbranch_execz .LBB212_1526
; %bb.1523:                             ;   in Loop: Header=BB212_1069 Depth=1
	v_dual_lshrrev_b32 v0, 3, v9 :: v_dual_bitop2_b32 v114, 7, v11 bitop3:0x40
	s_mov_b32 s15, exec_lo
	v_cmpx_gt_u32_e32 8, v9
; %bb.1524:                             ;   in Loop: Header=BB212_1069 Depth=1
	s_delay_alu instid0(VALU_DEP_2) | instskip(NEXT) | instid1(VALU_DEP_1)
	v_clz_i32_u32_e32 v0, v114
	v_min_u32_e32 v0, 32, v0
	s_delay_alu instid0(VALU_DEP_1) | instskip(NEXT) | instid1(VALU_DEP_1)
	v_subrev_nc_u32_e32 v1, 28, v0
	v_lshlrev_b64_e32 v[10:11], v1, v[114:115]
	s_delay_alu instid0(VALU_DEP_1)
	v_dual_sub_nc_u32 v0, 29, v0 :: v_dual_bitop2_b32 v114, 7, v10 bitop3:0x40
; %bb.1525:                             ;   in Loop: Header=BB212_1069 Depth=1
	s_or_b32 exec_lo, exec_lo, s15
	s_delay_alu instid0(VALU_DEP_1) | instskip(NEXT) | instid1(VALU_DEP_2)
	v_dual_lshlrev_b32 v1, 16, v8 :: v_dual_lshlrev_b32 v9, 20, v114
	v_lshl_add_u32 v0, v0, 23, 0x3c000000
	s_delay_alu instid0(VALU_DEP_2) | instskip(NEXT) | instid1(VALU_DEP_1)
	v_and_b32_e32 v1, 0x80000000, v1
	v_or3_b32 v1, v9, v1, v0
	v_mov_b32_e32 v0, v115
.LBB212_1526:                           ;   in Loop: Header=BB212_1069 Depth=1
	s_or_b32 exec_lo, exec_lo, s14
.LBB212_1527:                           ;   in Loop: Header=BB212_1069 Depth=1
	s_delay_alu instid0(SALU_CYCLE_1)
	s_or_b32 exec_lo, exec_lo, s9
.LBB212_1528:                           ;   in Loop: Header=BB212_1069 Depth=1
	s_delay_alu instid0(SALU_CYCLE_1) | instskip(SKIP_4) | instid1(VALU_DEP_3)
	s_or_b32 exec_lo, exec_lo, s8
	v_lshrrev_b32_e32 v9, 16, v8
	v_mov_b64_e32 v[14:15], 0
	v_mov_b64_e32 v[16:17], 0
	s_mov_b32 s8, exec_lo
	v_and_b32_e32 v11, 0xff, v9
	s_delay_alu instid0(VALU_DEP_1)
	v_cmpx_ne_u16_e32 0, v11
	s_cbranch_execz .LBB212_1536
; %bb.1529:                             ;   in Loop: Header=BB212_1069 Depth=1
	v_mov_b64_e32 v[16:17], 0x80000000
	s_mov_b32 s9, exec_lo
	v_cmpx_ne_u16_e32 0x80, v11
	s_cbranch_execz .LBB212_1535
; %bb.1530:                             ;   in Loop: Header=BB212_1069 Depth=1
	v_mov_b64_e32 v[16:17], 0x7f800001
	v_bfe_u32 v11, v8, 16, 7
	s_mov_b32 s14, exec_lo
	s_delay_alu instid0(VALU_DEP_1)
	v_cmpx_ne_u32_e32 0x7f, v11
	s_cbranch_execz .LBB212_1534
; %bb.1531:                             ;   in Loop: Header=BB212_1069 Depth=1
	v_dual_lshrrev_b32 v16, 3, v11 :: v_dual_bitop2_b32 v114, 7, v9 bitop3:0x40
	s_mov_b32 s15, exec_lo
	v_cmpx_gt_u32_e32 8, v11
; %bb.1532:                             ;   in Loop: Header=BB212_1069 Depth=1
	s_delay_alu instid0(VALU_DEP_2) | instskip(NEXT) | instid1(VALU_DEP_1)
	v_clz_i32_u32_e32 v10, v114
	v_min_u32_e32 v16, 32, v10
	s_delay_alu instid0(VALU_DEP_1) | instskip(NEXT) | instid1(VALU_DEP_1)
	v_subrev_nc_u32_e32 v10, 28, v16
	v_lshlrev_b64_e32 v[10:11], v10, v[114:115]
	s_delay_alu instid0(VALU_DEP_1)
	v_dual_sub_nc_u32 v16, 29, v16 :: v_dual_bitop2_b32 v114, 7, v10 bitop3:0x40
; %bb.1533:                             ;   in Loop: Header=BB212_1069 Depth=1
	s_or_b32 exec_lo, exec_lo, s15
	s_delay_alu instid0(VALU_DEP_1) | instskip(NEXT) | instid1(VALU_DEP_2)
	v_dual_lshlrev_b32 v9, 24, v9 :: v_dual_lshlrev_b32 v10, 20, v114
	v_lshl_add_u32 v11, v16, 23, 0x3c000000
	s_delay_alu instid0(VALU_DEP_2) | instskip(NEXT) | instid1(VALU_DEP_1)
	v_and_b32_e32 v9, 0x80000000, v9
	v_or3_b32 v114, v10, v9, v11
	s_delay_alu instid0(VALU_DEP_1)
	v_mov_b64_e32 v[16:17], v[114:115]
.LBB212_1534:                           ;   in Loop: Header=BB212_1069 Depth=1
	s_or_b32 exec_lo, exec_lo, s14
.LBB212_1535:                           ;   in Loop: Header=BB212_1069 Depth=1
	s_delay_alu instid0(SALU_CYCLE_1)
	s_or_b32 exec_lo, exec_lo, s9
.LBB212_1536:                           ;   in Loop: Header=BB212_1069 Depth=1
	s_delay_alu instid0(SALU_CYCLE_1) | instskip(NEXT) | instid1(SALU_CYCLE_1)
	s_or_b32 exec_lo, exec_lo, s8
	s_mov_b32 s8, exec_lo
	v_cmpx_lt_u32_e32 0xffffff, v8
	s_cbranch_execz .LBB212_1544
; %bb.1537:                             ;   in Loop: Header=BB212_1069 Depth=1
	v_mov_b64_e32 v[14:15], 0x8000000000000000
	v_lshrrev_b32_e32 v9, 24, v8
	s_mov_b32 s9, exec_lo
	s_delay_alu instid0(VALU_DEP_1)
	v_cmpx_ne_u32_e32 0x80, v9
	s_cbranch_execz .LBB212_1543
; %bb.1538:                             ;   in Loop: Header=BB212_1069 Depth=1
	v_mov_b64_e32 v[14:15], 0x7f80000100000000
	v_bfe_u32 v11, v8, 24, 7
	s_mov_b32 s14, exec_lo
	s_delay_alu instid0(VALU_DEP_1)
	v_cmpx_ne_u32_e32 0x7f, v11
	s_cbranch_execz .LBB212_1542
; %bb.1539:                             ;   in Loop: Header=BB212_1069 Depth=1
	v_dual_lshrrev_b32 v8, 3, v11 :: v_dual_bitop2_b32 v114, 7, v9 bitop3:0x40
	s_mov_b32 s15, exec_lo
	v_cmpx_gt_u32_e32 8, v11
; %bb.1540:                             ;   in Loop: Header=BB212_1069 Depth=1
	s_delay_alu instid0(VALU_DEP_2) | instskip(NEXT) | instid1(VALU_DEP_1)
	v_clz_i32_u32_e32 v8, v114
	v_min_u32_e32 v8, 32, v8
	s_delay_alu instid0(VALU_DEP_1) | instskip(NEXT) | instid1(VALU_DEP_1)
	v_subrev_nc_u32_e32 v10, 28, v8
	v_lshlrev_b64_e32 v[10:11], v10, v[114:115]
	s_delay_alu instid0(VALU_DEP_1)
	v_dual_sub_nc_u32 v8, 29, v8 :: v_dual_bitop2_b32 v114, 7, v10 bitop3:0x40
; %bb.1541:                             ;   in Loop: Header=BB212_1069 Depth=1
	s_or_b32 exec_lo, exec_lo, s15
	s_delay_alu instid0(VALU_DEP_1) | instskip(NEXT) | instid1(VALU_DEP_2)
	v_dual_lshlrev_b32 v9, 24, v9 :: v_dual_lshlrev_b32 v10, 20, v114
	v_lshl_add_u32 v8, v8, 23, 0x3c000000
	v_mov_b32_e32 v14, v115
	s_delay_alu instid0(VALU_DEP_3) | instskip(NEXT) | instid1(VALU_DEP_1)
	v_and_b32_e32 v9, 0x80000000, v9
	v_or3_b32 v15, v10, v9, v8
.LBB212_1542:                           ;   in Loop: Header=BB212_1069 Depth=1
	s_or_b32 exec_lo, exec_lo, s14
.LBB212_1543:                           ;   in Loop: Header=BB212_1069 Depth=1
	s_delay_alu instid0(SALU_CYCLE_1)
	s_or_b32 exec_lo, exec_lo, s9
.LBB212_1544:                           ;   in Loop: Header=BB212_1069 Depth=1
	s_delay_alu instid0(SALU_CYCLE_1) | instskip(SKIP_4) | instid1(VALU_DEP_3)
	s_or_b32 exec_lo, exec_lo, s8
	v_or_b32_e32 v1, v1, v13
	v_or_b32_e32 v0, v0, v12
	;; [unrolled: 1-line block ×4, first 2 shown]
	v_pk_mul_f32 v[104:105], v[82:83], v[0:1]
	s_delay_alu instid0(VALU_DEP_2)
	v_pk_mul_f32 v[94:95], v[82:83], v[8:9]
	s_and_saveexec_b32 s8, vcc_lo
	s_cbranch_execz .LBB212_1546
; %bb.1545:                             ;   in Loop: Header=BB212_1069 Depth=1
	scratch_load_b64 v[0:1], off, s32 offset:200 ; 8-byte Folded Reload
	s_wait_loadcnt 0x0
	v_cmp_lt_i32_e64 s0, v119, v0
	s_delay_alu instid0(VALU_DEP_1) | instskip(SKIP_1) | instid1(VALU_DEP_1)
	v_cndmask_b32_e64 v104, 0, v104, s0
	v_cmp_lt_i32_e64 s0, v40, v0
	v_cndmask_b32_e64 v105, 0, v105, s0
	v_cmp_lt_i32_e64 s0, v113, v0
	s_delay_alu instid0(VALU_DEP_1) | instskip(SKIP_1) | instid1(VALU_DEP_1)
	v_cndmask_b32_e64 v94, 0, v94, s0
	v_cmp_lt_i32_e64 s0, v112, v0
	v_cndmask_b32_e64 v95, 0, v95, s0
.LBB212_1546:                           ;   in Loop: Header=BB212_1069 Depth=1
	s_wait_xcnt 0x0
	s_or_b32 exec_lo, exec_lo, s8
	flat_load_b32 v8, v[102:103] offset:1792
	v_mov_b64_e32 v[0:1], 0
	v_mov_b64_e32 v[12:13], 0
	s_mov_b32 s8, exec_lo
	s_wait_loadcnt_dscnt 0x0
	v_and_b32_e32 v9, 0xff, v8
	s_wait_xcnt 0x0
	s_delay_alu instid0(VALU_DEP_1)
	v_cmpx_ne_u16_e32 0, v9
	s_cbranch_execz .LBB212_1554
; %bb.1547:                             ;   in Loop: Header=BB212_1069 Depth=1
	v_mov_b64_e32 v[12:13], 0x80000000
	s_mov_b32 s9, exec_lo
	v_cmpx_ne_u16_e32 0x80, v9
	s_cbranch_execz .LBB212_1553
; %bb.1548:                             ;   in Loop: Header=BB212_1069 Depth=1
	v_mov_b64_e32 v[12:13], 0x7f800001
	v_and_b32_e32 v11, 0x7f, v8
	s_mov_b32 s14, exec_lo
	s_delay_alu instid0(VALU_DEP_1)
	v_cmpx_ne_u32_e32 0x7f, v11
	s_cbranch_execz .LBB212_1552
; %bb.1549:                             ;   in Loop: Header=BB212_1069 Depth=1
	v_dual_lshrrev_b32 v9, 3, v11 :: v_dual_bitop2_b32 v114, 7, v8 bitop3:0x40
	s_mov_b32 s15, exec_lo
	v_cmpx_gt_u32_e32 8, v11
; %bb.1550:                             ;   in Loop: Header=BB212_1069 Depth=1
	s_delay_alu instid0(VALU_DEP_2) | instskip(NEXT) | instid1(VALU_DEP_1)
	v_clz_i32_u32_e32 v9, v114
	v_min_u32_e32 v9, 32, v9
	s_delay_alu instid0(VALU_DEP_1) | instskip(NEXT) | instid1(VALU_DEP_1)
	v_subrev_nc_u32_e32 v10, 28, v9
	v_lshlrev_b64_e32 v[10:11], v10, v[114:115]
	s_delay_alu instid0(VALU_DEP_1)
	v_dual_sub_nc_u32 v9, 29, v9 :: v_dual_bitop2_b32 v114, 7, v10 bitop3:0x40
; %bb.1551:                             ;   in Loop: Header=BB212_1069 Depth=1
	s_or_b32 exec_lo, exec_lo, s15
	s_delay_alu instid0(VALU_DEP_1) | instskip(NEXT) | instid1(VALU_DEP_2)
	v_dual_lshlrev_b32 v10, 24, v8 :: v_dual_lshlrev_b32 v11, 20, v114
	v_lshl_add_u32 v9, v9, 23, 0x3c000000
	s_delay_alu instid0(VALU_DEP_2) | instskip(NEXT) | instid1(VALU_DEP_1)
	v_and_b32_e32 v10, 0x80000000, v10
	v_or3_b32 v114, v11, v10, v9
	s_delay_alu instid0(VALU_DEP_1)
	v_mov_b64_e32 v[12:13], v[114:115]
.LBB212_1552:                           ;   in Loop: Header=BB212_1069 Depth=1
	s_or_b32 exec_lo, exec_lo, s14
.LBB212_1553:                           ;   in Loop: Header=BB212_1069 Depth=1
	s_delay_alu instid0(SALU_CYCLE_1)
	s_or_b32 exec_lo, exec_lo, s9
.LBB212_1554:                           ;   in Loop: Header=BB212_1069 Depth=1
	s_delay_alu instid0(SALU_CYCLE_1) | instskip(SKIP_2) | instid1(VALU_DEP_1)
	s_or_b32 exec_lo, exec_lo, s8
	v_lshrrev_b16 v9, 8, v8
	s_mov_b32 s8, exec_lo
	v_cmpx_ne_u16_e32 0, v9
	s_cbranch_execz .LBB212_1562
; %bb.1555:                             ;   in Loop: Header=BB212_1069 Depth=1
	v_mov_b64_e32 v[0:1], 0x8000000000000000
	s_mov_b32 s9, exec_lo
	v_cmpx_ne_u16_e32 0x80, v9
	s_cbranch_execz .LBB212_1561
; %bb.1556:                             ;   in Loop: Header=BB212_1069 Depth=1
	v_and_b32_e32 v11, 0xffff, v9
	v_mov_b64_e32 v[0:1], 0x7f80000100000000
	s_mov_b32 s14, exec_lo
	s_delay_alu instid0(VALU_DEP_2) | instskip(NEXT) | instid1(VALU_DEP_1)
	v_and_b32_e32 v9, 0x7f, v11
	v_cmpx_ne_u32_e32 0x7f, v9
	s_cbranch_execz .LBB212_1560
; %bb.1557:                             ;   in Loop: Header=BB212_1069 Depth=1
	v_dual_lshrrev_b32 v0, 3, v9 :: v_dual_bitop2_b32 v114, 7, v11 bitop3:0x40
	s_mov_b32 s15, exec_lo
	v_cmpx_gt_u32_e32 8, v9
; %bb.1558:                             ;   in Loop: Header=BB212_1069 Depth=1
	s_delay_alu instid0(VALU_DEP_2) | instskip(NEXT) | instid1(VALU_DEP_1)
	v_clz_i32_u32_e32 v0, v114
	v_min_u32_e32 v0, 32, v0
	s_delay_alu instid0(VALU_DEP_1) | instskip(NEXT) | instid1(VALU_DEP_1)
	v_subrev_nc_u32_e32 v1, 28, v0
	v_lshlrev_b64_e32 v[10:11], v1, v[114:115]
	s_delay_alu instid0(VALU_DEP_1)
	v_dual_sub_nc_u32 v0, 29, v0 :: v_dual_bitop2_b32 v114, 7, v10 bitop3:0x40
; %bb.1559:                             ;   in Loop: Header=BB212_1069 Depth=1
	s_or_b32 exec_lo, exec_lo, s15
	s_delay_alu instid0(VALU_DEP_1) | instskip(NEXT) | instid1(VALU_DEP_2)
	v_dual_lshlrev_b32 v1, 16, v8 :: v_dual_lshlrev_b32 v9, 20, v114
	v_lshl_add_u32 v0, v0, 23, 0x3c000000
	s_delay_alu instid0(VALU_DEP_2) | instskip(NEXT) | instid1(VALU_DEP_1)
	v_and_b32_e32 v1, 0x80000000, v1
	v_or3_b32 v1, v9, v1, v0
	v_mov_b32_e32 v0, v115
.LBB212_1560:                           ;   in Loop: Header=BB212_1069 Depth=1
	s_or_b32 exec_lo, exec_lo, s14
.LBB212_1561:                           ;   in Loop: Header=BB212_1069 Depth=1
	s_delay_alu instid0(SALU_CYCLE_1)
	s_or_b32 exec_lo, exec_lo, s9
.LBB212_1562:                           ;   in Loop: Header=BB212_1069 Depth=1
	s_delay_alu instid0(SALU_CYCLE_1) | instskip(SKIP_4) | instid1(VALU_DEP_3)
	s_or_b32 exec_lo, exec_lo, s8
	v_lshrrev_b32_e32 v9, 16, v8
	v_mov_b64_e32 v[14:15], 0
	v_mov_b64_e32 v[16:17], 0
	s_mov_b32 s8, exec_lo
	v_and_b32_e32 v11, 0xff, v9
	s_delay_alu instid0(VALU_DEP_1)
	v_cmpx_ne_u16_e32 0, v11
	s_cbranch_execz .LBB212_1570
; %bb.1563:                             ;   in Loop: Header=BB212_1069 Depth=1
	v_mov_b64_e32 v[16:17], 0x80000000
	s_mov_b32 s9, exec_lo
	v_cmpx_ne_u16_e32 0x80, v11
	s_cbranch_execz .LBB212_1569
; %bb.1564:                             ;   in Loop: Header=BB212_1069 Depth=1
	v_mov_b64_e32 v[16:17], 0x7f800001
	v_bfe_u32 v11, v8, 16, 7
	s_mov_b32 s14, exec_lo
	s_delay_alu instid0(VALU_DEP_1)
	v_cmpx_ne_u32_e32 0x7f, v11
	s_cbranch_execz .LBB212_1568
; %bb.1565:                             ;   in Loop: Header=BB212_1069 Depth=1
	v_dual_lshrrev_b32 v16, 3, v11 :: v_dual_bitop2_b32 v114, 7, v9 bitop3:0x40
	s_mov_b32 s15, exec_lo
	v_cmpx_gt_u32_e32 8, v11
; %bb.1566:                             ;   in Loop: Header=BB212_1069 Depth=1
	s_delay_alu instid0(VALU_DEP_2) | instskip(NEXT) | instid1(VALU_DEP_1)
	v_clz_i32_u32_e32 v10, v114
	v_min_u32_e32 v16, 32, v10
	s_delay_alu instid0(VALU_DEP_1) | instskip(NEXT) | instid1(VALU_DEP_1)
	v_subrev_nc_u32_e32 v10, 28, v16
	v_lshlrev_b64_e32 v[10:11], v10, v[114:115]
	s_delay_alu instid0(VALU_DEP_1)
	v_dual_sub_nc_u32 v16, 29, v16 :: v_dual_bitop2_b32 v114, 7, v10 bitop3:0x40
; %bb.1567:                             ;   in Loop: Header=BB212_1069 Depth=1
	s_or_b32 exec_lo, exec_lo, s15
	s_delay_alu instid0(VALU_DEP_1) | instskip(NEXT) | instid1(VALU_DEP_2)
	v_dual_lshlrev_b32 v9, 24, v9 :: v_dual_lshlrev_b32 v10, 20, v114
	v_lshl_add_u32 v11, v16, 23, 0x3c000000
	s_delay_alu instid0(VALU_DEP_2) | instskip(NEXT) | instid1(VALU_DEP_1)
	v_and_b32_e32 v9, 0x80000000, v9
	v_or3_b32 v114, v10, v9, v11
	s_delay_alu instid0(VALU_DEP_1)
	v_mov_b64_e32 v[16:17], v[114:115]
.LBB212_1568:                           ;   in Loop: Header=BB212_1069 Depth=1
	s_or_b32 exec_lo, exec_lo, s14
.LBB212_1569:                           ;   in Loop: Header=BB212_1069 Depth=1
	s_delay_alu instid0(SALU_CYCLE_1)
	s_or_b32 exec_lo, exec_lo, s9
.LBB212_1570:                           ;   in Loop: Header=BB212_1069 Depth=1
	s_delay_alu instid0(SALU_CYCLE_1) | instskip(NEXT) | instid1(SALU_CYCLE_1)
	s_or_b32 exec_lo, exec_lo, s8
	s_mov_b32 s8, exec_lo
	v_cmpx_lt_u32_e32 0xffffff, v8
	s_cbranch_execz .LBB212_1578
; %bb.1571:                             ;   in Loop: Header=BB212_1069 Depth=1
	v_mov_b64_e32 v[14:15], 0x8000000000000000
	v_lshrrev_b32_e32 v9, 24, v8
	s_mov_b32 s9, exec_lo
	s_delay_alu instid0(VALU_DEP_1)
	v_cmpx_ne_u32_e32 0x80, v9
	s_cbranch_execz .LBB212_1577
; %bb.1572:                             ;   in Loop: Header=BB212_1069 Depth=1
	v_mov_b64_e32 v[14:15], 0x7f80000100000000
	v_bfe_u32 v11, v8, 24, 7
	s_mov_b32 s14, exec_lo
	s_delay_alu instid0(VALU_DEP_1)
	v_cmpx_ne_u32_e32 0x7f, v11
	s_cbranch_execz .LBB212_1576
; %bb.1573:                             ;   in Loop: Header=BB212_1069 Depth=1
	v_dual_lshrrev_b32 v8, 3, v11 :: v_dual_bitop2_b32 v114, 7, v9 bitop3:0x40
	s_mov_b32 s15, exec_lo
	v_cmpx_gt_u32_e32 8, v11
; %bb.1574:                             ;   in Loop: Header=BB212_1069 Depth=1
	s_delay_alu instid0(VALU_DEP_2) | instskip(NEXT) | instid1(VALU_DEP_1)
	v_clz_i32_u32_e32 v8, v114
	v_min_u32_e32 v8, 32, v8
	s_delay_alu instid0(VALU_DEP_1) | instskip(NEXT) | instid1(VALU_DEP_1)
	v_subrev_nc_u32_e32 v10, 28, v8
	v_lshlrev_b64_e32 v[10:11], v10, v[114:115]
	s_delay_alu instid0(VALU_DEP_1)
	v_dual_sub_nc_u32 v8, 29, v8 :: v_dual_bitop2_b32 v114, 7, v10 bitop3:0x40
; %bb.1575:                             ;   in Loop: Header=BB212_1069 Depth=1
	s_or_b32 exec_lo, exec_lo, s15
	s_delay_alu instid0(VALU_DEP_1) | instskip(NEXT) | instid1(VALU_DEP_2)
	v_dual_lshlrev_b32 v9, 24, v9 :: v_dual_lshlrev_b32 v10, 20, v114
	v_lshl_add_u32 v8, v8, 23, 0x3c000000
	v_mov_b32_e32 v14, v115
	s_delay_alu instid0(VALU_DEP_3) | instskip(NEXT) | instid1(VALU_DEP_1)
	v_and_b32_e32 v9, 0x80000000, v9
	v_or3_b32 v15, v10, v9, v8
.LBB212_1576:                           ;   in Loop: Header=BB212_1069 Depth=1
	s_or_b32 exec_lo, exec_lo, s14
.LBB212_1577:                           ;   in Loop: Header=BB212_1069 Depth=1
	s_delay_alu instid0(SALU_CYCLE_1)
	s_or_b32 exec_lo, exec_lo, s9
.LBB212_1578:                           ;   in Loop: Header=BB212_1069 Depth=1
	s_delay_alu instid0(SALU_CYCLE_1) | instskip(SKIP_4) | instid1(VALU_DEP_3)
	s_or_b32 exec_lo, exec_lo, s8
	v_or_b32_e32 v1, v1, v13
	v_or_b32_e32 v0, v0, v12
	;; [unrolled: 1-line block ×4, first 2 shown]
	v_pk_mul_f32 v[108:109], v[82:83], v[0:1]
	s_delay_alu instid0(VALU_DEP_2)
	v_pk_mul_f32 v[106:107], v[82:83], v[8:9]
	s_and_saveexec_b32 s8, vcc_lo
	s_cbranch_execz .LBB212_1580
; %bb.1579:                             ;   in Loop: Header=BB212_1069 Depth=1
	scratch_load_b64 v[0:1], off, s32 offset:200 ; 8-byte Folded Reload
	s_wait_loadcnt 0x0
	v_cmp_lt_i32_e64 s0, v119, v0
	s_delay_alu instid0(VALU_DEP_1) | instskip(SKIP_1) | instid1(VALU_DEP_1)
	v_cndmask_b32_e64 v108, 0, v108, s0
	v_cmp_lt_i32_e64 s0, v40, v0
	v_cndmask_b32_e64 v109, 0, v109, s0
	v_cmp_lt_i32_e64 s0, v113, v0
	s_delay_alu instid0(VALU_DEP_1) | instskip(SKIP_1) | instid1(VALU_DEP_1)
	v_cndmask_b32_e64 v106, 0, v106, s0
	v_cmp_lt_i32_e64 s0, v112, v0
	v_cndmask_b32_e64 v107, 0, v107, s0
.LBB212_1580:                           ;   in Loop: Header=BB212_1069 Depth=1
	s_wait_xcnt 0x0
	s_or_b32 exec_lo, exec_lo, s8
	flat_load_b32 v8, v[102:103] offset:1920
	v_mov_b64_e32 v[0:1], 0
	v_mov_b64_e32 v[12:13], 0
	s_mov_b32 s8, exec_lo
	s_wait_loadcnt_dscnt 0x0
	v_and_b32_e32 v9, 0xff, v8
	s_wait_xcnt 0x0
	s_delay_alu instid0(VALU_DEP_1)
	v_cmpx_ne_u16_e32 0, v9
	s_cbranch_execz .LBB212_1588
; %bb.1581:                             ;   in Loop: Header=BB212_1069 Depth=1
	v_mov_b64_e32 v[12:13], 0x80000000
	s_mov_b32 s9, exec_lo
	v_cmpx_ne_u16_e32 0x80, v9
	s_cbranch_execz .LBB212_1587
; %bb.1582:                             ;   in Loop: Header=BB212_1069 Depth=1
	v_mov_b64_e32 v[12:13], 0x7f800001
	v_and_b32_e32 v11, 0x7f, v8
	s_mov_b32 s14, exec_lo
	s_delay_alu instid0(VALU_DEP_1)
	v_cmpx_ne_u32_e32 0x7f, v11
	s_cbranch_execz .LBB212_1586
; %bb.1583:                             ;   in Loop: Header=BB212_1069 Depth=1
	v_dual_lshrrev_b32 v9, 3, v11 :: v_dual_bitop2_b32 v114, 7, v8 bitop3:0x40
	s_mov_b32 s15, exec_lo
	v_cmpx_gt_u32_e32 8, v11
; %bb.1584:                             ;   in Loop: Header=BB212_1069 Depth=1
	s_delay_alu instid0(VALU_DEP_2) | instskip(NEXT) | instid1(VALU_DEP_1)
	v_clz_i32_u32_e32 v9, v114
	v_min_u32_e32 v9, 32, v9
	s_delay_alu instid0(VALU_DEP_1) | instskip(NEXT) | instid1(VALU_DEP_1)
	v_subrev_nc_u32_e32 v10, 28, v9
	v_lshlrev_b64_e32 v[10:11], v10, v[114:115]
	s_delay_alu instid0(VALU_DEP_1)
	v_dual_sub_nc_u32 v9, 29, v9 :: v_dual_bitop2_b32 v114, 7, v10 bitop3:0x40
; %bb.1585:                             ;   in Loop: Header=BB212_1069 Depth=1
	s_or_b32 exec_lo, exec_lo, s15
	s_delay_alu instid0(VALU_DEP_1) | instskip(NEXT) | instid1(VALU_DEP_2)
	v_dual_lshlrev_b32 v10, 24, v8 :: v_dual_lshlrev_b32 v11, 20, v114
	v_lshl_add_u32 v9, v9, 23, 0x3c000000
	s_delay_alu instid0(VALU_DEP_2) | instskip(NEXT) | instid1(VALU_DEP_1)
	v_and_b32_e32 v10, 0x80000000, v10
	v_or3_b32 v114, v11, v10, v9
	s_delay_alu instid0(VALU_DEP_1)
	v_mov_b64_e32 v[12:13], v[114:115]
.LBB212_1586:                           ;   in Loop: Header=BB212_1069 Depth=1
	s_or_b32 exec_lo, exec_lo, s14
.LBB212_1587:                           ;   in Loop: Header=BB212_1069 Depth=1
	s_delay_alu instid0(SALU_CYCLE_1)
	s_or_b32 exec_lo, exec_lo, s9
.LBB212_1588:                           ;   in Loop: Header=BB212_1069 Depth=1
	s_delay_alu instid0(SALU_CYCLE_1) | instskip(SKIP_2) | instid1(VALU_DEP_1)
	s_or_b32 exec_lo, exec_lo, s8
	v_lshrrev_b16 v9, 8, v8
	s_mov_b32 s8, exec_lo
	v_cmpx_ne_u16_e32 0, v9
	s_cbranch_execz .LBB212_1596
; %bb.1589:                             ;   in Loop: Header=BB212_1069 Depth=1
	v_mov_b64_e32 v[0:1], 0x8000000000000000
	s_mov_b32 s9, exec_lo
	v_cmpx_ne_u16_e32 0x80, v9
	s_cbranch_execz .LBB212_1595
; %bb.1590:                             ;   in Loop: Header=BB212_1069 Depth=1
	v_and_b32_e32 v11, 0xffff, v9
	v_mov_b64_e32 v[0:1], 0x7f80000100000000
	s_mov_b32 s14, exec_lo
	s_delay_alu instid0(VALU_DEP_2) | instskip(NEXT) | instid1(VALU_DEP_1)
	v_and_b32_e32 v9, 0x7f, v11
	v_cmpx_ne_u32_e32 0x7f, v9
	s_cbranch_execz .LBB212_1594
; %bb.1591:                             ;   in Loop: Header=BB212_1069 Depth=1
	v_dual_lshrrev_b32 v0, 3, v9 :: v_dual_bitop2_b32 v114, 7, v11 bitop3:0x40
	s_mov_b32 s15, exec_lo
	v_cmpx_gt_u32_e32 8, v9
; %bb.1592:                             ;   in Loop: Header=BB212_1069 Depth=1
	s_delay_alu instid0(VALU_DEP_2) | instskip(NEXT) | instid1(VALU_DEP_1)
	v_clz_i32_u32_e32 v0, v114
	v_min_u32_e32 v0, 32, v0
	s_delay_alu instid0(VALU_DEP_1) | instskip(NEXT) | instid1(VALU_DEP_1)
	v_subrev_nc_u32_e32 v1, 28, v0
	v_lshlrev_b64_e32 v[10:11], v1, v[114:115]
	s_delay_alu instid0(VALU_DEP_1)
	v_dual_sub_nc_u32 v0, 29, v0 :: v_dual_bitop2_b32 v114, 7, v10 bitop3:0x40
; %bb.1593:                             ;   in Loop: Header=BB212_1069 Depth=1
	s_or_b32 exec_lo, exec_lo, s15
	s_delay_alu instid0(VALU_DEP_1) | instskip(NEXT) | instid1(VALU_DEP_2)
	v_dual_lshlrev_b32 v1, 16, v8 :: v_dual_lshlrev_b32 v9, 20, v114
	v_lshl_add_u32 v0, v0, 23, 0x3c000000
	s_delay_alu instid0(VALU_DEP_2) | instskip(NEXT) | instid1(VALU_DEP_1)
	v_and_b32_e32 v1, 0x80000000, v1
	v_or3_b32 v1, v9, v1, v0
	v_mov_b32_e32 v0, v115
.LBB212_1594:                           ;   in Loop: Header=BB212_1069 Depth=1
	s_or_b32 exec_lo, exec_lo, s14
.LBB212_1595:                           ;   in Loop: Header=BB212_1069 Depth=1
	s_delay_alu instid0(SALU_CYCLE_1)
	s_or_b32 exec_lo, exec_lo, s9
.LBB212_1596:                           ;   in Loop: Header=BB212_1069 Depth=1
	s_delay_alu instid0(SALU_CYCLE_1) | instskip(SKIP_4) | instid1(VALU_DEP_3)
	s_or_b32 exec_lo, exec_lo, s8
	v_lshrrev_b32_e32 v9, 16, v8
	v_mov_b64_e32 v[14:15], 0
	v_mov_b64_e32 v[16:17], 0
	s_mov_b32 s8, exec_lo
	v_and_b32_e32 v11, 0xff, v9
	s_delay_alu instid0(VALU_DEP_1)
	v_cmpx_ne_u16_e32 0, v11
	s_cbranch_execz .LBB212_1604
; %bb.1597:                             ;   in Loop: Header=BB212_1069 Depth=1
	v_mov_b64_e32 v[16:17], 0x80000000
	s_mov_b32 s9, exec_lo
	v_cmpx_ne_u16_e32 0x80, v11
	s_cbranch_execz .LBB212_1603
; %bb.1598:                             ;   in Loop: Header=BB212_1069 Depth=1
	v_mov_b64_e32 v[16:17], 0x7f800001
	v_bfe_u32 v11, v8, 16, 7
	s_mov_b32 s14, exec_lo
	s_delay_alu instid0(VALU_DEP_1)
	v_cmpx_ne_u32_e32 0x7f, v11
	s_cbranch_execz .LBB212_1602
; %bb.1599:                             ;   in Loop: Header=BB212_1069 Depth=1
	v_dual_lshrrev_b32 v16, 3, v11 :: v_dual_bitop2_b32 v114, 7, v9 bitop3:0x40
	s_mov_b32 s15, exec_lo
	v_cmpx_gt_u32_e32 8, v11
; %bb.1600:                             ;   in Loop: Header=BB212_1069 Depth=1
	s_delay_alu instid0(VALU_DEP_2) | instskip(NEXT) | instid1(VALU_DEP_1)
	v_clz_i32_u32_e32 v10, v114
	v_min_u32_e32 v16, 32, v10
	s_delay_alu instid0(VALU_DEP_1) | instskip(NEXT) | instid1(VALU_DEP_1)
	v_subrev_nc_u32_e32 v10, 28, v16
	v_lshlrev_b64_e32 v[10:11], v10, v[114:115]
	s_delay_alu instid0(VALU_DEP_1)
	v_dual_sub_nc_u32 v16, 29, v16 :: v_dual_bitop2_b32 v114, 7, v10 bitop3:0x40
; %bb.1601:                             ;   in Loop: Header=BB212_1069 Depth=1
	s_or_b32 exec_lo, exec_lo, s15
	s_delay_alu instid0(VALU_DEP_1) | instskip(NEXT) | instid1(VALU_DEP_2)
	v_dual_lshlrev_b32 v9, 24, v9 :: v_dual_lshlrev_b32 v10, 20, v114
	v_lshl_add_u32 v11, v16, 23, 0x3c000000
	s_delay_alu instid0(VALU_DEP_2) | instskip(NEXT) | instid1(VALU_DEP_1)
	v_and_b32_e32 v9, 0x80000000, v9
	v_or3_b32 v114, v10, v9, v11
	s_delay_alu instid0(VALU_DEP_1)
	v_mov_b64_e32 v[16:17], v[114:115]
.LBB212_1602:                           ;   in Loop: Header=BB212_1069 Depth=1
	s_or_b32 exec_lo, exec_lo, s14
.LBB212_1603:                           ;   in Loop: Header=BB212_1069 Depth=1
	s_delay_alu instid0(SALU_CYCLE_1)
	s_or_b32 exec_lo, exec_lo, s9
.LBB212_1604:                           ;   in Loop: Header=BB212_1069 Depth=1
	s_delay_alu instid0(SALU_CYCLE_1) | instskip(NEXT) | instid1(SALU_CYCLE_1)
	s_or_b32 exec_lo, exec_lo, s8
	s_mov_b32 s8, exec_lo
	v_cmpx_lt_u32_e32 0xffffff, v8
	s_cbranch_execz .LBB212_1612
; %bb.1605:                             ;   in Loop: Header=BB212_1069 Depth=1
	v_mov_b64_e32 v[14:15], 0x8000000000000000
	v_lshrrev_b32_e32 v9, 24, v8
	s_mov_b32 s9, exec_lo
	s_delay_alu instid0(VALU_DEP_1)
	v_cmpx_ne_u32_e32 0x80, v9
	s_cbranch_execz .LBB212_1611
; %bb.1606:                             ;   in Loop: Header=BB212_1069 Depth=1
	v_mov_b64_e32 v[14:15], 0x7f80000100000000
	v_bfe_u32 v11, v8, 24, 7
	s_mov_b32 s14, exec_lo
	s_delay_alu instid0(VALU_DEP_1)
	v_cmpx_ne_u32_e32 0x7f, v11
	s_cbranch_execz .LBB212_1610
; %bb.1607:                             ;   in Loop: Header=BB212_1069 Depth=1
	v_dual_lshrrev_b32 v8, 3, v11 :: v_dual_bitop2_b32 v114, 7, v9 bitop3:0x40
	s_mov_b32 s15, exec_lo
	v_cmpx_gt_u32_e32 8, v11
; %bb.1608:                             ;   in Loop: Header=BB212_1069 Depth=1
	s_delay_alu instid0(VALU_DEP_2) | instskip(NEXT) | instid1(VALU_DEP_1)
	v_clz_i32_u32_e32 v8, v114
	v_min_u32_e32 v8, 32, v8
	s_delay_alu instid0(VALU_DEP_1) | instskip(NEXT) | instid1(VALU_DEP_1)
	v_subrev_nc_u32_e32 v10, 28, v8
	v_lshlrev_b64_e32 v[10:11], v10, v[114:115]
	s_delay_alu instid0(VALU_DEP_1)
	v_dual_sub_nc_u32 v8, 29, v8 :: v_dual_bitop2_b32 v114, 7, v10 bitop3:0x40
; %bb.1609:                             ;   in Loop: Header=BB212_1069 Depth=1
	s_or_b32 exec_lo, exec_lo, s15
	s_delay_alu instid0(VALU_DEP_1) | instskip(NEXT) | instid1(VALU_DEP_2)
	v_dual_lshlrev_b32 v9, 24, v9 :: v_dual_lshlrev_b32 v10, 20, v114
	v_lshl_add_u32 v8, v8, 23, 0x3c000000
	v_mov_b32_e32 v14, v115
	s_delay_alu instid0(VALU_DEP_3) | instskip(NEXT) | instid1(VALU_DEP_1)
	v_and_b32_e32 v9, 0x80000000, v9
	v_or3_b32 v15, v10, v9, v8
.LBB212_1610:                           ;   in Loop: Header=BB212_1069 Depth=1
	s_or_b32 exec_lo, exec_lo, s14
.LBB212_1611:                           ;   in Loop: Header=BB212_1069 Depth=1
	s_delay_alu instid0(SALU_CYCLE_1)
	s_or_b32 exec_lo, exec_lo, s9
.LBB212_1612:                           ;   in Loop: Header=BB212_1069 Depth=1
	s_delay_alu instid0(SALU_CYCLE_1) | instskip(SKIP_4) | instid1(VALU_DEP_3)
	s_or_b32 exec_lo, exec_lo, s8
	v_or_b32_e32 v1, v1, v13
	v_or_b32_e32 v0, v0, v12
	;; [unrolled: 1-line block ×4, first 2 shown]
	v_pk_mul_f32 v[120:121], v[82:83], v[0:1]
	s_delay_alu instid0(VALU_DEP_2)
	v_pk_mul_f32 v[110:111], v[82:83], v[8:9]
	s_and_saveexec_b32 s8, vcc_lo
	s_cbranch_execz .LBB212_1614
; %bb.1613:                             ;   in Loop: Header=BB212_1069 Depth=1
	scratch_load_b64 v[0:1], off, s32 offset:200 ; 8-byte Folded Reload
	s_wait_loadcnt 0x0
	v_cmp_lt_i32_e64 s0, v119, v0
	s_delay_alu instid0(VALU_DEP_1) | instskip(SKIP_1) | instid1(VALU_DEP_1)
	v_cndmask_b32_e64 v120, 0, v120, s0
	v_cmp_lt_i32_e64 s0, v40, v0
	v_cndmask_b32_e64 v121, 0, v121, s0
	v_cmp_lt_i32_e64 s0, v113, v0
	s_delay_alu instid0(VALU_DEP_1) | instskip(SKIP_1) | instid1(VALU_DEP_1)
	v_cndmask_b32_e64 v110, 0, v110, s0
	v_cmp_lt_i32_e64 s0, v112, v0
	v_cndmask_b32_e64 v111, 0, v111, s0
.LBB212_1614:                           ;   in Loop: Header=BB212_1069 Depth=1
	s_wait_xcnt 0x0
	s_or_b32 exec_lo, exec_lo, s8
	flat_load_b32 v8, v[102:103] offset:2048
	v_mov_b64_e32 v[0:1], 0
	v_mov_b64_e32 v[12:13], 0
	s_mov_b32 s8, exec_lo
	s_wait_loadcnt_dscnt 0x0
	v_and_b32_e32 v9, 0xff, v8
	s_wait_xcnt 0x0
	s_delay_alu instid0(VALU_DEP_1)
	v_cmpx_ne_u16_e32 0, v9
	s_cbranch_execz .LBB212_1622
; %bb.1615:                             ;   in Loop: Header=BB212_1069 Depth=1
	v_mov_b64_e32 v[12:13], 0x80000000
	s_mov_b32 s9, exec_lo
	v_cmpx_ne_u16_e32 0x80, v9
	s_cbranch_execz .LBB212_1621
; %bb.1616:                             ;   in Loop: Header=BB212_1069 Depth=1
	v_mov_b64_e32 v[12:13], 0x7f800001
	v_and_b32_e32 v11, 0x7f, v8
	s_mov_b32 s14, exec_lo
	s_delay_alu instid0(VALU_DEP_1)
	v_cmpx_ne_u32_e32 0x7f, v11
	s_cbranch_execz .LBB212_1620
; %bb.1617:                             ;   in Loop: Header=BB212_1069 Depth=1
	v_dual_lshrrev_b32 v9, 3, v11 :: v_dual_bitop2_b32 v114, 7, v8 bitop3:0x40
	s_mov_b32 s15, exec_lo
	v_cmpx_gt_u32_e32 8, v11
; %bb.1618:                             ;   in Loop: Header=BB212_1069 Depth=1
	s_delay_alu instid0(VALU_DEP_2) | instskip(NEXT) | instid1(VALU_DEP_1)
	v_clz_i32_u32_e32 v9, v114
	v_min_u32_e32 v9, 32, v9
	s_delay_alu instid0(VALU_DEP_1) | instskip(NEXT) | instid1(VALU_DEP_1)
	v_subrev_nc_u32_e32 v10, 28, v9
	v_lshlrev_b64_e32 v[10:11], v10, v[114:115]
	s_delay_alu instid0(VALU_DEP_1)
	v_dual_sub_nc_u32 v9, 29, v9 :: v_dual_bitop2_b32 v114, 7, v10 bitop3:0x40
; %bb.1619:                             ;   in Loop: Header=BB212_1069 Depth=1
	s_or_b32 exec_lo, exec_lo, s15
	s_delay_alu instid0(VALU_DEP_1) | instskip(NEXT) | instid1(VALU_DEP_2)
	v_dual_lshlrev_b32 v10, 24, v8 :: v_dual_lshlrev_b32 v11, 20, v114
	v_lshl_add_u32 v9, v9, 23, 0x3c000000
	s_delay_alu instid0(VALU_DEP_2) | instskip(NEXT) | instid1(VALU_DEP_1)
	v_and_b32_e32 v10, 0x80000000, v10
	v_or3_b32 v114, v11, v10, v9
	s_delay_alu instid0(VALU_DEP_1)
	v_mov_b64_e32 v[12:13], v[114:115]
.LBB212_1620:                           ;   in Loop: Header=BB212_1069 Depth=1
	s_or_b32 exec_lo, exec_lo, s14
.LBB212_1621:                           ;   in Loop: Header=BB212_1069 Depth=1
	s_delay_alu instid0(SALU_CYCLE_1)
	s_or_b32 exec_lo, exec_lo, s9
.LBB212_1622:                           ;   in Loop: Header=BB212_1069 Depth=1
	s_delay_alu instid0(SALU_CYCLE_1) | instskip(SKIP_2) | instid1(VALU_DEP_1)
	s_or_b32 exec_lo, exec_lo, s8
	v_lshrrev_b16 v9, 8, v8
	s_mov_b32 s8, exec_lo
	v_cmpx_ne_u16_e32 0, v9
	s_cbranch_execz .LBB212_1630
; %bb.1623:                             ;   in Loop: Header=BB212_1069 Depth=1
	v_mov_b64_e32 v[0:1], 0x8000000000000000
	s_mov_b32 s9, exec_lo
	v_cmpx_ne_u16_e32 0x80, v9
	s_cbranch_execz .LBB212_1629
; %bb.1624:                             ;   in Loop: Header=BB212_1069 Depth=1
	v_and_b32_e32 v11, 0xffff, v9
	v_mov_b64_e32 v[0:1], 0x7f80000100000000
	s_mov_b32 s14, exec_lo
	s_delay_alu instid0(VALU_DEP_2) | instskip(NEXT) | instid1(VALU_DEP_1)
	v_and_b32_e32 v9, 0x7f, v11
	v_cmpx_ne_u32_e32 0x7f, v9
	s_cbranch_execz .LBB212_1628
; %bb.1625:                             ;   in Loop: Header=BB212_1069 Depth=1
	v_dual_lshrrev_b32 v0, 3, v9 :: v_dual_bitop2_b32 v114, 7, v11 bitop3:0x40
	s_mov_b32 s15, exec_lo
	v_cmpx_gt_u32_e32 8, v9
; %bb.1626:                             ;   in Loop: Header=BB212_1069 Depth=1
	s_delay_alu instid0(VALU_DEP_2) | instskip(NEXT) | instid1(VALU_DEP_1)
	v_clz_i32_u32_e32 v0, v114
	v_min_u32_e32 v0, 32, v0
	s_delay_alu instid0(VALU_DEP_1) | instskip(NEXT) | instid1(VALU_DEP_1)
	v_subrev_nc_u32_e32 v1, 28, v0
	v_lshlrev_b64_e32 v[10:11], v1, v[114:115]
	s_delay_alu instid0(VALU_DEP_1)
	v_dual_sub_nc_u32 v0, 29, v0 :: v_dual_bitop2_b32 v114, 7, v10 bitop3:0x40
; %bb.1627:                             ;   in Loop: Header=BB212_1069 Depth=1
	s_or_b32 exec_lo, exec_lo, s15
	s_delay_alu instid0(VALU_DEP_1) | instskip(NEXT) | instid1(VALU_DEP_2)
	v_dual_lshlrev_b32 v1, 16, v8 :: v_dual_lshlrev_b32 v9, 20, v114
	v_lshl_add_u32 v0, v0, 23, 0x3c000000
	s_delay_alu instid0(VALU_DEP_2) | instskip(NEXT) | instid1(VALU_DEP_1)
	v_and_b32_e32 v1, 0x80000000, v1
	v_or3_b32 v1, v9, v1, v0
	v_mov_b32_e32 v0, v115
.LBB212_1628:                           ;   in Loop: Header=BB212_1069 Depth=1
	s_or_b32 exec_lo, exec_lo, s14
.LBB212_1629:                           ;   in Loop: Header=BB212_1069 Depth=1
	s_delay_alu instid0(SALU_CYCLE_1)
	s_or_b32 exec_lo, exec_lo, s9
.LBB212_1630:                           ;   in Loop: Header=BB212_1069 Depth=1
	s_delay_alu instid0(SALU_CYCLE_1) | instskip(SKIP_4) | instid1(VALU_DEP_3)
	s_or_b32 exec_lo, exec_lo, s8
	v_lshrrev_b32_e32 v9, 16, v8
	v_mov_b64_e32 v[14:15], 0
	v_mov_b64_e32 v[16:17], 0
	s_mov_b32 s8, exec_lo
	v_and_b32_e32 v11, 0xff, v9
	s_delay_alu instid0(VALU_DEP_1)
	v_cmpx_ne_u16_e32 0, v11
	s_cbranch_execz .LBB212_1638
; %bb.1631:                             ;   in Loop: Header=BB212_1069 Depth=1
	v_mov_b64_e32 v[16:17], 0x80000000
	s_mov_b32 s9, exec_lo
	v_cmpx_ne_u16_e32 0x80, v11
	s_cbranch_execz .LBB212_1637
; %bb.1632:                             ;   in Loop: Header=BB212_1069 Depth=1
	v_mov_b64_e32 v[16:17], 0x7f800001
	v_bfe_u32 v11, v8, 16, 7
	s_mov_b32 s14, exec_lo
	s_delay_alu instid0(VALU_DEP_1)
	v_cmpx_ne_u32_e32 0x7f, v11
	s_cbranch_execz .LBB212_1636
; %bb.1633:                             ;   in Loop: Header=BB212_1069 Depth=1
	v_dual_lshrrev_b32 v16, 3, v11 :: v_dual_bitop2_b32 v114, 7, v9 bitop3:0x40
	s_mov_b32 s15, exec_lo
	v_cmpx_gt_u32_e32 8, v11
; %bb.1634:                             ;   in Loop: Header=BB212_1069 Depth=1
	s_delay_alu instid0(VALU_DEP_2) | instskip(NEXT) | instid1(VALU_DEP_1)
	v_clz_i32_u32_e32 v10, v114
	v_min_u32_e32 v16, 32, v10
	s_delay_alu instid0(VALU_DEP_1) | instskip(NEXT) | instid1(VALU_DEP_1)
	v_subrev_nc_u32_e32 v10, 28, v16
	v_lshlrev_b64_e32 v[10:11], v10, v[114:115]
	s_delay_alu instid0(VALU_DEP_1)
	v_dual_sub_nc_u32 v16, 29, v16 :: v_dual_bitop2_b32 v114, 7, v10 bitop3:0x40
; %bb.1635:                             ;   in Loop: Header=BB212_1069 Depth=1
	s_or_b32 exec_lo, exec_lo, s15
	s_delay_alu instid0(VALU_DEP_1) | instskip(NEXT) | instid1(VALU_DEP_2)
	v_dual_lshlrev_b32 v9, 24, v9 :: v_dual_lshlrev_b32 v10, 20, v114
	v_lshl_add_u32 v11, v16, 23, 0x3c000000
	s_delay_alu instid0(VALU_DEP_2) | instskip(NEXT) | instid1(VALU_DEP_1)
	v_and_b32_e32 v9, 0x80000000, v9
	v_or3_b32 v114, v10, v9, v11
	s_delay_alu instid0(VALU_DEP_1)
	v_mov_b64_e32 v[16:17], v[114:115]
.LBB212_1636:                           ;   in Loop: Header=BB212_1069 Depth=1
	s_or_b32 exec_lo, exec_lo, s14
.LBB212_1637:                           ;   in Loop: Header=BB212_1069 Depth=1
	s_delay_alu instid0(SALU_CYCLE_1)
	s_or_b32 exec_lo, exec_lo, s9
.LBB212_1638:                           ;   in Loop: Header=BB212_1069 Depth=1
	s_delay_alu instid0(SALU_CYCLE_1) | instskip(NEXT) | instid1(SALU_CYCLE_1)
	s_or_b32 exec_lo, exec_lo, s8
	s_mov_b32 s8, exec_lo
	v_cmpx_lt_u32_e32 0xffffff, v8
	s_cbranch_execz .LBB212_1646
; %bb.1639:                             ;   in Loop: Header=BB212_1069 Depth=1
	v_mov_b64_e32 v[14:15], 0x8000000000000000
	v_lshrrev_b32_e32 v9, 24, v8
	s_mov_b32 s9, exec_lo
	s_delay_alu instid0(VALU_DEP_1)
	v_cmpx_ne_u32_e32 0x80, v9
	s_cbranch_execz .LBB212_1645
; %bb.1640:                             ;   in Loop: Header=BB212_1069 Depth=1
	v_mov_b64_e32 v[14:15], 0x7f80000100000000
	v_bfe_u32 v11, v8, 24, 7
	s_mov_b32 s14, exec_lo
	s_delay_alu instid0(VALU_DEP_1)
	v_cmpx_ne_u32_e32 0x7f, v11
	s_cbranch_execz .LBB212_1644
; %bb.1641:                             ;   in Loop: Header=BB212_1069 Depth=1
	v_dual_lshrrev_b32 v8, 3, v11 :: v_dual_bitop2_b32 v114, 7, v9 bitop3:0x40
	s_mov_b32 s15, exec_lo
	v_cmpx_gt_u32_e32 8, v11
; %bb.1642:                             ;   in Loop: Header=BB212_1069 Depth=1
	s_delay_alu instid0(VALU_DEP_2) | instskip(NEXT) | instid1(VALU_DEP_1)
	v_clz_i32_u32_e32 v8, v114
	v_min_u32_e32 v8, 32, v8
	s_delay_alu instid0(VALU_DEP_1) | instskip(NEXT) | instid1(VALU_DEP_1)
	v_subrev_nc_u32_e32 v10, 28, v8
	v_lshlrev_b64_e32 v[10:11], v10, v[114:115]
	s_delay_alu instid0(VALU_DEP_1)
	v_dual_sub_nc_u32 v8, 29, v8 :: v_dual_bitop2_b32 v114, 7, v10 bitop3:0x40
; %bb.1643:                             ;   in Loop: Header=BB212_1069 Depth=1
	s_or_b32 exec_lo, exec_lo, s15
	s_delay_alu instid0(VALU_DEP_1) | instskip(NEXT) | instid1(VALU_DEP_2)
	v_dual_lshlrev_b32 v9, 24, v9 :: v_dual_lshlrev_b32 v10, 20, v114
	v_lshl_add_u32 v8, v8, 23, 0x3c000000
	v_mov_b32_e32 v14, v115
	s_delay_alu instid0(VALU_DEP_3) | instskip(NEXT) | instid1(VALU_DEP_1)
	v_and_b32_e32 v9, 0x80000000, v9
	v_or3_b32 v15, v10, v9, v8
.LBB212_1644:                           ;   in Loop: Header=BB212_1069 Depth=1
	s_or_b32 exec_lo, exec_lo, s14
.LBB212_1645:                           ;   in Loop: Header=BB212_1069 Depth=1
	s_delay_alu instid0(SALU_CYCLE_1)
	s_or_b32 exec_lo, exec_lo, s9
.LBB212_1646:                           ;   in Loop: Header=BB212_1069 Depth=1
	s_delay_alu instid0(SALU_CYCLE_1) | instskip(SKIP_4) | instid1(VALU_DEP_3)
	s_or_b32 exec_lo, exec_lo, s8
	v_or_b32_e32 v1, v1, v13
	v_or_b32_e32 v0, v0, v12
	;; [unrolled: 1-line block ×4, first 2 shown]
	v_pk_mul_f32 v[124:125], v[82:83], v[0:1]
	s_delay_alu instid0(VALU_DEP_2)
	v_pk_mul_f32 v[122:123], v[82:83], v[8:9]
	s_and_saveexec_b32 s8, vcc_lo
	s_cbranch_execz .LBB212_1648
; %bb.1647:                             ;   in Loop: Header=BB212_1069 Depth=1
	scratch_load_b64 v[0:1], off, s32 offset:200 ; 8-byte Folded Reload
	s_wait_loadcnt 0x0
	v_cmp_lt_i32_e64 s0, v119, v0
	s_delay_alu instid0(VALU_DEP_1) | instskip(SKIP_1) | instid1(VALU_DEP_1)
	v_cndmask_b32_e64 v124, 0, v124, s0
	v_cmp_lt_i32_e64 s0, v40, v0
	v_cndmask_b32_e64 v125, 0, v125, s0
	v_cmp_lt_i32_e64 s0, v113, v0
	s_delay_alu instid0(VALU_DEP_1) | instskip(SKIP_1) | instid1(VALU_DEP_1)
	v_cndmask_b32_e64 v122, 0, v122, s0
	v_cmp_lt_i32_e64 s0, v112, v0
	v_cndmask_b32_e64 v123, 0, v123, s0
.LBB212_1648:                           ;   in Loop: Header=BB212_1069 Depth=1
	s_wait_xcnt 0x0
	s_or_b32 exec_lo, exec_lo, s8
	flat_load_b32 v8, v[102:103] offset:2176
	v_mov_b64_e32 v[0:1], 0
	v_mov_b64_e32 v[12:13], 0
	s_mov_b32 s8, exec_lo
	s_wait_loadcnt_dscnt 0x0
	v_and_b32_e32 v9, 0xff, v8
	s_wait_xcnt 0x0
	s_delay_alu instid0(VALU_DEP_1)
	v_cmpx_ne_u16_e32 0, v9
	s_cbranch_execz .LBB212_1656
; %bb.1649:                             ;   in Loop: Header=BB212_1069 Depth=1
	v_mov_b64_e32 v[12:13], 0x80000000
	s_mov_b32 s9, exec_lo
	v_cmpx_ne_u16_e32 0x80, v9
	s_cbranch_execz .LBB212_1655
; %bb.1650:                             ;   in Loop: Header=BB212_1069 Depth=1
	v_mov_b64_e32 v[12:13], 0x7f800001
	v_and_b32_e32 v11, 0x7f, v8
	s_mov_b32 s14, exec_lo
	s_delay_alu instid0(VALU_DEP_1)
	v_cmpx_ne_u32_e32 0x7f, v11
	s_cbranch_execz .LBB212_1654
; %bb.1651:                             ;   in Loop: Header=BB212_1069 Depth=1
	v_dual_lshrrev_b32 v9, 3, v11 :: v_dual_bitop2_b32 v114, 7, v8 bitop3:0x40
	s_mov_b32 s15, exec_lo
	v_cmpx_gt_u32_e32 8, v11
; %bb.1652:                             ;   in Loop: Header=BB212_1069 Depth=1
	s_delay_alu instid0(VALU_DEP_2) | instskip(NEXT) | instid1(VALU_DEP_1)
	v_clz_i32_u32_e32 v9, v114
	v_min_u32_e32 v9, 32, v9
	s_delay_alu instid0(VALU_DEP_1) | instskip(NEXT) | instid1(VALU_DEP_1)
	v_subrev_nc_u32_e32 v10, 28, v9
	v_lshlrev_b64_e32 v[10:11], v10, v[114:115]
	s_delay_alu instid0(VALU_DEP_1)
	v_dual_sub_nc_u32 v9, 29, v9 :: v_dual_bitop2_b32 v114, 7, v10 bitop3:0x40
; %bb.1653:                             ;   in Loop: Header=BB212_1069 Depth=1
	s_or_b32 exec_lo, exec_lo, s15
	s_delay_alu instid0(VALU_DEP_1) | instskip(NEXT) | instid1(VALU_DEP_2)
	v_dual_lshlrev_b32 v10, 24, v8 :: v_dual_lshlrev_b32 v11, 20, v114
	v_lshl_add_u32 v9, v9, 23, 0x3c000000
	s_delay_alu instid0(VALU_DEP_2) | instskip(NEXT) | instid1(VALU_DEP_1)
	v_and_b32_e32 v10, 0x80000000, v10
	v_or3_b32 v114, v11, v10, v9
	s_delay_alu instid0(VALU_DEP_1)
	v_mov_b64_e32 v[12:13], v[114:115]
.LBB212_1654:                           ;   in Loop: Header=BB212_1069 Depth=1
	s_or_b32 exec_lo, exec_lo, s14
.LBB212_1655:                           ;   in Loop: Header=BB212_1069 Depth=1
	s_delay_alu instid0(SALU_CYCLE_1)
	s_or_b32 exec_lo, exec_lo, s9
.LBB212_1656:                           ;   in Loop: Header=BB212_1069 Depth=1
	s_delay_alu instid0(SALU_CYCLE_1) | instskip(SKIP_2) | instid1(VALU_DEP_1)
	s_or_b32 exec_lo, exec_lo, s8
	v_lshrrev_b16 v9, 8, v8
	s_mov_b32 s8, exec_lo
	v_cmpx_ne_u16_e32 0, v9
	s_cbranch_execz .LBB212_1664
; %bb.1657:                             ;   in Loop: Header=BB212_1069 Depth=1
	v_mov_b64_e32 v[0:1], 0x8000000000000000
	s_mov_b32 s9, exec_lo
	v_cmpx_ne_u16_e32 0x80, v9
	s_cbranch_execz .LBB212_1663
; %bb.1658:                             ;   in Loop: Header=BB212_1069 Depth=1
	v_and_b32_e32 v11, 0xffff, v9
	v_mov_b64_e32 v[0:1], 0x7f80000100000000
	s_mov_b32 s14, exec_lo
	s_delay_alu instid0(VALU_DEP_2) | instskip(NEXT) | instid1(VALU_DEP_1)
	v_and_b32_e32 v9, 0x7f, v11
	v_cmpx_ne_u32_e32 0x7f, v9
	s_cbranch_execz .LBB212_1662
; %bb.1659:                             ;   in Loop: Header=BB212_1069 Depth=1
	v_dual_lshrrev_b32 v0, 3, v9 :: v_dual_bitop2_b32 v114, 7, v11 bitop3:0x40
	s_mov_b32 s15, exec_lo
	v_cmpx_gt_u32_e32 8, v9
; %bb.1660:                             ;   in Loop: Header=BB212_1069 Depth=1
	s_delay_alu instid0(VALU_DEP_2) | instskip(NEXT) | instid1(VALU_DEP_1)
	v_clz_i32_u32_e32 v0, v114
	v_min_u32_e32 v0, 32, v0
	s_delay_alu instid0(VALU_DEP_1) | instskip(NEXT) | instid1(VALU_DEP_1)
	v_subrev_nc_u32_e32 v1, 28, v0
	v_lshlrev_b64_e32 v[10:11], v1, v[114:115]
	s_delay_alu instid0(VALU_DEP_1)
	v_dual_sub_nc_u32 v0, 29, v0 :: v_dual_bitop2_b32 v114, 7, v10 bitop3:0x40
; %bb.1661:                             ;   in Loop: Header=BB212_1069 Depth=1
	s_or_b32 exec_lo, exec_lo, s15
	s_delay_alu instid0(VALU_DEP_1) | instskip(NEXT) | instid1(VALU_DEP_2)
	v_dual_lshlrev_b32 v1, 16, v8 :: v_dual_lshlrev_b32 v9, 20, v114
	v_lshl_add_u32 v0, v0, 23, 0x3c000000
	s_delay_alu instid0(VALU_DEP_2) | instskip(NEXT) | instid1(VALU_DEP_1)
	v_and_b32_e32 v1, 0x80000000, v1
	v_or3_b32 v1, v9, v1, v0
	v_mov_b32_e32 v0, v115
.LBB212_1662:                           ;   in Loop: Header=BB212_1069 Depth=1
	s_or_b32 exec_lo, exec_lo, s14
.LBB212_1663:                           ;   in Loop: Header=BB212_1069 Depth=1
	s_delay_alu instid0(SALU_CYCLE_1)
	s_or_b32 exec_lo, exec_lo, s9
.LBB212_1664:                           ;   in Loop: Header=BB212_1069 Depth=1
	s_delay_alu instid0(SALU_CYCLE_1) | instskip(SKIP_4) | instid1(VALU_DEP_3)
	s_or_b32 exec_lo, exec_lo, s8
	v_lshrrev_b32_e32 v9, 16, v8
	v_mov_b64_e32 v[14:15], 0
	v_mov_b64_e32 v[16:17], 0
	s_mov_b32 s8, exec_lo
	v_and_b32_e32 v11, 0xff, v9
	s_delay_alu instid0(VALU_DEP_1)
	v_cmpx_ne_u16_e32 0, v11
	s_cbranch_execz .LBB212_1672
; %bb.1665:                             ;   in Loop: Header=BB212_1069 Depth=1
	v_mov_b64_e32 v[16:17], 0x80000000
	s_mov_b32 s9, exec_lo
	v_cmpx_ne_u16_e32 0x80, v11
	s_cbranch_execz .LBB212_1671
; %bb.1666:                             ;   in Loop: Header=BB212_1069 Depth=1
	v_mov_b64_e32 v[16:17], 0x7f800001
	v_bfe_u32 v11, v8, 16, 7
	s_mov_b32 s14, exec_lo
	s_delay_alu instid0(VALU_DEP_1)
	v_cmpx_ne_u32_e32 0x7f, v11
	s_cbranch_execz .LBB212_1670
; %bb.1667:                             ;   in Loop: Header=BB212_1069 Depth=1
	v_dual_lshrrev_b32 v16, 3, v11 :: v_dual_bitop2_b32 v114, 7, v9 bitop3:0x40
	s_mov_b32 s15, exec_lo
	v_cmpx_gt_u32_e32 8, v11
; %bb.1668:                             ;   in Loop: Header=BB212_1069 Depth=1
	s_delay_alu instid0(VALU_DEP_2) | instskip(NEXT) | instid1(VALU_DEP_1)
	v_clz_i32_u32_e32 v10, v114
	v_min_u32_e32 v16, 32, v10
	s_delay_alu instid0(VALU_DEP_1) | instskip(NEXT) | instid1(VALU_DEP_1)
	v_subrev_nc_u32_e32 v10, 28, v16
	v_lshlrev_b64_e32 v[10:11], v10, v[114:115]
	s_delay_alu instid0(VALU_DEP_1)
	v_dual_sub_nc_u32 v16, 29, v16 :: v_dual_bitop2_b32 v114, 7, v10 bitop3:0x40
; %bb.1669:                             ;   in Loop: Header=BB212_1069 Depth=1
	s_or_b32 exec_lo, exec_lo, s15
	s_delay_alu instid0(VALU_DEP_1) | instskip(NEXT) | instid1(VALU_DEP_2)
	v_dual_lshlrev_b32 v9, 24, v9 :: v_dual_lshlrev_b32 v10, 20, v114
	v_lshl_add_u32 v11, v16, 23, 0x3c000000
	s_delay_alu instid0(VALU_DEP_2) | instskip(NEXT) | instid1(VALU_DEP_1)
	v_and_b32_e32 v9, 0x80000000, v9
	v_or3_b32 v114, v10, v9, v11
	s_delay_alu instid0(VALU_DEP_1)
	v_mov_b64_e32 v[16:17], v[114:115]
.LBB212_1670:                           ;   in Loop: Header=BB212_1069 Depth=1
	s_or_b32 exec_lo, exec_lo, s14
.LBB212_1671:                           ;   in Loop: Header=BB212_1069 Depth=1
	s_delay_alu instid0(SALU_CYCLE_1)
	s_or_b32 exec_lo, exec_lo, s9
.LBB212_1672:                           ;   in Loop: Header=BB212_1069 Depth=1
	s_delay_alu instid0(SALU_CYCLE_1) | instskip(NEXT) | instid1(SALU_CYCLE_1)
	s_or_b32 exec_lo, exec_lo, s8
	s_mov_b32 s8, exec_lo
	v_cmpx_lt_u32_e32 0xffffff, v8
	s_cbranch_execz .LBB212_1680
; %bb.1673:                             ;   in Loop: Header=BB212_1069 Depth=1
	v_mov_b64_e32 v[14:15], 0x8000000000000000
	v_lshrrev_b32_e32 v9, 24, v8
	s_mov_b32 s9, exec_lo
	s_delay_alu instid0(VALU_DEP_1)
	v_cmpx_ne_u32_e32 0x80, v9
	s_cbranch_execz .LBB212_1679
; %bb.1674:                             ;   in Loop: Header=BB212_1069 Depth=1
	v_mov_b64_e32 v[14:15], 0x7f80000100000000
	v_bfe_u32 v11, v8, 24, 7
	s_mov_b32 s14, exec_lo
	s_delay_alu instid0(VALU_DEP_1)
	v_cmpx_ne_u32_e32 0x7f, v11
	s_cbranch_execz .LBB212_1678
; %bb.1675:                             ;   in Loop: Header=BB212_1069 Depth=1
	v_dual_lshrrev_b32 v8, 3, v11 :: v_dual_bitop2_b32 v114, 7, v9 bitop3:0x40
	s_mov_b32 s15, exec_lo
	v_cmpx_gt_u32_e32 8, v11
; %bb.1676:                             ;   in Loop: Header=BB212_1069 Depth=1
	s_delay_alu instid0(VALU_DEP_2) | instskip(NEXT) | instid1(VALU_DEP_1)
	v_clz_i32_u32_e32 v8, v114
	v_min_u32_e32 v8, 32, v8
	s_delay_alu instid0(VALU_DEP_1) | instskip(NEXT) | instid1(VALU_DEP_1)
	v_subrev_nc_u32_e32 v10, 28, v8
	v_lshlrev_b64_e32 v[10:11], v10, v[114:115]
	s_delay_alu instid0(VALU_DEP_1)
	v_dual_sub_nc_u32 v8, 29, v8 :: v_dual_bitop2_b32 v114, 7, v10 bitop3:0x40
; %bb.1677:                             ;   in Loop: Header=BB212_1069 Depth=1
	s_or_b32 exec_lo, exec_lo, s15
	s_delay_alu instid0(VALU_DEP_1) | instskip(NEXT) | instid1(VALU_DEP_2)
	v_dual_lshlrev_b32 v9, 24, v9 :: v_dual_lshlrev_b32 v10, 20, v114
	v_lshl_add_u32 v8, v8, 23, 0x3c000000
	v_mov_b32_e32 v14, v115
	s_delay_alu instid0(VALU_DEP_3) | instskip(NEXT) | instid1(VALU_DEP_1)
	v_and_b32_e32 v9, 0x80000000, v9
	v_or3_b32 v15, v10, v9, v8
.LBB212_1678:                           ;   in Loop: Header=BB212_1069 Depth=1
	s_or_b32 exec_lo, exec_lo, s14
.LBB212_1679:                           ;   in Loop: Header=BB212_1069 Depth=1
	s_delay_alu instid0(SALU_CYCLE_1)
	s_or_b32 exec_lo, exec_lo, s9
.LBB212_1680:                           ;   in Loop: Header=BB212_1069 Depth=1
	s_delay_alu instid0(SALU_CYCLE_1) | instskip(SKIP_4) | instid1(VALU_DEP_3)
	s_or_b32 exec_lo, exec_lo, s8
	v_or_b32_e32 v1, v1, v13
	v_or_b32_e32 v0, v0, v12
	v_or_b32_e32 v9, v15, v17
	v_or_b32_e32 v8, v14, v16
	v_pk_mul_f32 v[52:53], v[82:83], v[0:1]
	s_delay_alu instid0(VALU_DEP_2)
	v_pk_mul_f32 v[126:127], v[82:83], v[8:9]
	s_and_saveexec_b32 s8, vcc_lo
	s_cbranch_execz .LBB212_1682
; %bb.1681:                             ;   in Loop: Header=BB212_1069 Depth=1
	scratch_load_b64 v[0:1], off, s32 offset:200 ; 8-byte Folded Reload
	s_wait_loadcnt 0x0
	v_cmp_lt_i32_e64 s0, v119, v0
	s_delay_alu instid0(VALU_DEP_1) | instskip(SKIP_1) | instid1(VALU_DEP_1)
	v_cndmask_b32_e64 v52, 0, v52, s0
	v_cmp_lt_i32_e64 s0, v40, v0
	v_cndmask_b32_e64 v53, 0, v53, s0
	v_cmp_lt_i32_e64 s0, v113, v0
	s_delay_alu instid0(VALU_DEP_1) | instskip(SKIP_1) | instid1(VALU_DEP_1)
	v_cndmask_b32_e64 v126, 0, v126, s0
	v_cmp_lt_i32_e64 s0, v112, v0
	v_cndmask_b32_e64 v127, 0, v127, s0
.LBB212_1682:                           ;   in Loop: Header=BB212_1069 Depth=1
	s_wait_xcnt 0x0
	s_or_b32 exec_lo, exec_lo, s8
	flat_load_b32 v8, v[102:103] offset:2304
	v_mov_b64_e32 v[0:1], 0
	v_mov_b64_e32 v[12:13], 0
	s_mov_b32 s8, exec_lo
	s_wait_loadcnt_dscnt 0x0
	v_and_b32_e32 v9, 0xff, v8
	s_wait_xcnt 0x0
	s_delay_alu instid0(VALU_DEP_1)
	v_cmpx_ne_u16_e32 0, v9
	s_cbranch_execz .LBB212_1690
; %bb.1683:                             ;   in Loop: Header=BB212_1069 Depth=1
	v_mov_b64_e32 v[12:13], 0x80000000
	s_mov_b32 s9, exec_lo
	v_cmpx_ne_u16_e32 0x80, v9
	s_cbranch_execz .LBB212_1689
; %bb.1684:                             ;   in Loop: Header=BB212_1069 Depth=1
	v_mov_b64_e32 v[12:13], 0x7f800001
	v_and_b32_e32 v11, 0x7f, v8
	s_mov_b32 s14, exec_lo
	s_delay_alu instid0(VALU_DEP_1)
	v_cmpx_ne_u32_e32 0x7f, v11
	s_cbranch_execz .LBB212_1688
; %bb.1685:                             ;   in Loop: Header=BB212_1069 Depth=1
	v_dual_lshrrev_b32 v9, 3, v11 :: v_dual_bitop2_b32 v114, 7, v8 bitop3:0x40
	s_mov_b32 s15, exec_lo
	v_cmpx_gt_u32_e32 8, v11
; %bb.1686:                             ;   in Loop: Header=BB212_1069 Depth=1
	s_delay_alu instid0(VALU_DEP_2) | instskip(NEXT) | instid1(VALU_DEP_1)
	v_clz_i32_u32_e32 v9, v114
	v_min_u32_e32 v9, 32, v9
	s_delay_alu instid0(VALU_DEP_1) | instskip(NEXT) | instid1(VALU_DEP_1)
	v_subrev_nc_u32_e32 v10, 28, v9
	v_lshlrev_b64_e32 v[10:11], v10, v[114:115]
	s_delay_alu instid0(VALU_DEP_1)
	v_dual_sub_nc_u32 v9, 29, v9 :: v_dual_bitop2_b32 v114, 7, v10 bitop3:0x40
; %bb.1687:                             ;   in Loop: Header=BB212_1069 Depth=1
	s_or_b32 exec_lo, exec_lo, s15
	s_delay_alu instid0(VALU_DEP_1) | instskip(NEXT) | instid1(VALU_DEP_2)
	v_dual_lshlrev_b32 v10, 24, v8 :: v_dual_lshlrev_b32 v11, 20, v114
	v_lshl_add_u32 v9, v9, 23, 0x3c000000
	s_delay_alu instid0(VALU_DEP_2) | instskip(NEXT) | instid1(VALU_DEP_1)
	v_and_b32_e32 v10, 0x80000000, v10
	v_or3_b32 v114, v11, v10, v9
	s_delay_alu instid0(VALU_DEP_1)
	v_mov_b64_e32 v[12:13], v[114:115]
.LBB212_1688:                           ;   in Loop: Header=BB212_1069 Depth=1
	s_or_b32 exec_lo, exec_lo, s14
.LBB212_1689:                           ;   in Loop: Header=BB212_1069 Depth=1
	s_delay_alu instid0(SALU_CYCLE_1)
	s_or_b32 exec_lo, exec_lo, s9
.LBB212_1690:                           ;   in Loop: Header=BB212_1069 Depth=1
	s_delay_alu instid0(SALU_CYCLE_1) | instskip(SKIP_2) | instid1(VALU_DEP_1)
	s_or_b32 exec_lo, exec_lo, s8
	v_lshrrev_b16 v9, 8, v8
	s_mov_b32 s8, exec_lo
	v_cmpx_ne_u16_e32 0, v9
	s_cbranch_execz .LBB212_1698
; %bb.1691:                             ;   in Loop: Header=BB212_1069 Depth=1
	v_mov_b64_e32 v[0:1], 0x8000000000000000
	s_mov_b32 s9, exec_lo
	v_cmpx_ne_u16_e32 0x80, v9
	s_cbranch_execz .LBB212_1697
; %bb.1692:                             ;   in Loop: Header=BB212_1069 Depth=1
	v_and_b32_e32 v11, 0xffff, v9
	v_mov_b64_e32 v[0:1], 0x7f80000100000000
	s_mov_b32 s14, exec_lo
	s_delay_alu instid0(VALU_DEP_2) | instskip(NEXT) | instid1(VALU_DEP_1)
	v_and_b32_e32 v9, 0x7f, v11
	v_cmpx_ne_u32_e32 0x7f, v9
	s_cbranch_execz .LBB212_1696
; %bb.1693:                             ;   in Loop: Header=BB212_1069 Depth=1
	v_dual_lshrrev_b32 v0, 3, v9 :: v_dual_bitop2_b32 v114, 7, v11 bitop3:0x40
	s_mov_b32 s15, exec_lo
	v_cmpx_gt_u32_e32 8, v9
; %bb.1694:                             ;   in Loop: Header=BB212_1069 Depth=1
	s_delay_alu instid0(VALU_DEP_2) | instskip(NEXT) | instid1(VALU_DEP_1)
	v_clz_i32_u32_e32 v0, v114
	v_min_u32_e32 v0, 32, v0
	s_delay_alu instid0(VALU_DEP_1) | instskip(NEXT) | instid1(VALU_DEP_1)
	v_subrev_nc_u32_e32 v1, 28, v0
	v_lshlrev_b64_e32 v[10:11], v1, v[114:115]
	s_delay_alu instid0(VALU_DEP_1)
	v_dual_sub_nc_u32 v0, 29, v0 :: v_dual_bitop2_b32 v114, 7, v10 bitop3:0x40
; %bb.1695:                             ;   in Loop: Header=BB212_1069 Depth=1
	s_or_b32 exec_lo, exec_lo, s15
	s_delay_alu instid0(VALU_DEP_1) | instskip(NEXT) | instid1(VALU_DEP_2)
	v_dual_lshlrev_b32 v1, 16, v8 :: v_dual_lshlrev_b32 v9, 20, v114
	v_lshl_add_u32 v0, v0, 23, 0x3c000000
	s_delay_alu instid0(VALU_DEP_2) | instskip(NEXT) | instid1(VALU_DEP_1)
	v_and_b32_e32 v1, 0x80000000, v1
	v_or3_b32 v1, v9, v1, v0
	v_mov_b32_e32 v0, v115
.LBB212_1696:                           ;   in Loop: Header=BB212_1069 Depth=1
	s_or_b32 exec_lo, exec_lo, s14
.LBB212_1697:                           ;   in Loop: Header=BB212_1069 Depth=1
	s_delay_alu instid0(SALU_CYCLE_1)
	s_or_b32 exec_lo, exec_lo, s9
.LBB212_1698:                           ;   in Loop: Header=BB212_1069 Depth=1
	s_delay_alu instid0(SALU_CYCLE_1) | instskip(SKIP_4) | instid1(VALU_DEP_3)
	s_or_b32 exec_lo, exec_lo, s8
	v_lshrrev_b32_e32 v9, 16, v8
	v_mov_b64_e32 v[14:15], 0
	v_mov_b64_e32 v[16:17], 0
	s_mov_b32 s8, exec_lo
	v_and_b32_e32 v11, 0xff, v9
	s_delay_alu instid0(VALU_DEP_1)
	v_cmpx_ne_u16_e32 0, v11
	s_cbranch_execz .LBB212_1706
; %bb.1699:                             ;   in Loop: Header=BB212_1069 Depth=1
	v_mov_b64_e32 v[16:17], 0x80000000
	s_mov_b32 s9, exec_lo
	v_cmpx_ne_u16_e32 0x80, v11
	s_cbranch_execz .LBB212_1705
; %bb.1700:                             ;   in Loop: Header=BB212_1069 Depth=1
	v_mov_b64_e32 v[16:17], 0x7f800001
	v_bfe_u32 v11, v8, 16, 7
	s_mov_b32 s14, exec_lo
	s_delay_alu instid0(VALU_DEP_1)
	v_cmpx_ne_u32_e32 0x7f, v11
	s_cbranch_execz .LBB212_1704
; %bb.1701:                             ;   in Loop: Header=BB212_1069 Depth=1
	v_dual_lshrrev_b32 v16, 3, v11 :: v_dual_bitop2_b32 v114, 7, v9 bitop3:0x40
	s_mov_b32 s15, exec_lo
	v_cmpx_gt_u32_e32 8, v11
; %bb.1702:                             ;   in Loop: Header=BB212_1069 Depth=1
	s_delay_alu instid0(VALU_DEP_2) | instskip(NEXT) | instid1(VALU_DEP_1)
	v_clz_i32_u32_e32 v10, v114
	v_min_u32_e32 v16, 32, v10
	s_delay_alu instid0(VALU_DEP_1) | instskip(NEXT) | instid1(VALU_DEP_1)
	v_subrev_nc_u32_e32 v10, 28, v16
	v_lshlrev_b64_e32 v[10:11], v10, v[114:115]
	s_delay_alu instid0(VALU_DEP_1)
	v_dual_sub_nc_u32 v16, 29, v16 :: v_dual_bitop2_b32 v114, 7, v10 bitop3:0x40
; %bb.1703:                             ;   in Loop: Header=BB212_1069 Depth=1
	s_or_b32 exec_lo, exec_lo, s15
	s_delay_alu instid0(VALU_DEP_1) | instskip(NEXT) | instid1(VALU_DEP_2)
	v_dual_lshlrev_b32 v9, 24, v9 :: v_dual_lshlrev_b32 v10, 20, v114
	v_lshl_add_u32 v11, v16, 23, 0x3c000000
	s_delay_alu instid0(VALU_DEP_2) | instskip(NEXT) | instid1(VALU_DEP_1)
	v_and_b32_e32 v9, 0x80000000, v9
	v_or3_b32 v114, v10, v9, v11
	s_delay_alu instid0(VALU_DEP_1)
	v_mov_b64_e32 v[16:17], v[114:115]
.LBB212_1704:                           ;   in Loop: Header=BB212_1069 Depth=1
	s_or_b32 exec_lo, exec_lo, s14
.LBB212_1705:                           ;   in Loop: Header=BB212_1069 Depth=1
	s_delay_alu instid0(SALU_CYCLE_1)
	s_or_b32 exec_lo, exec_lo, s9
.LBB212_1706:                           ;   in Loop: Header=BB212_1069 Depth=1
	s_delay_alu instid0(SALU_CYCLE_1) | instskip(NEXT) | instid1(SALU_CYCLE_1)
	s_or_b32 exec_lo, exec_lo, s8
	s_mov_b32 s8, exec_lo
	v_cmpx_lt_u32_e32 0xffffff, v8
	s_cbranch_execz .LBB212_1714
; %bb.1707:                             ;   in Loop: Header=BB212_1069 Depth=1
	v_mov_b64_e32 v[14:15], 0x8000000000000000
	v_lshrrev_b32_e32 v9, 24, v8
	s_mov_b32 s9, exec_lo
	s_delay_alu instid0(VALU_DEP_1)
	v_cmpx_ne_u32_e32 0x80, v9
	s_cbranch_execz .LBB212_1713
; %bb.1708:                             ;   in Loop: Header=BB212_1069 Depth=1
	v_mov_b64_e32 v[14:15], 0x7f80000100000000
	v_bfe_u32 v11, v8, 24, 7
	s_mov_b32 s14, exec_lo
	s_delay_alu instid0(VALU_DEP_1)
	v_cmpx_ne_u32_e32 0x7f, v11
	s_cbranch_execz .LBB212_1712
; %bb.1709:                             ;   in Loop: Header=BB212_1069 Depth=1
	v_dual_lshrrev_b32 v8, 3, v11 :: v_dual_bitop2_b32 v114, 7, v9 bitop3:0x40
	s_mov_b32 s15, exec_lo
	v_cmpx_gt_u32_e32 8, v11
; %bb.1710:                             ;   in Loop: Header=BB212_1069 Depth=1
	s_delay_alu instid0(VALU_DEP_2) | instskip(NEXT) | instid1(VALU_DEP_1)
	v_clz_i32_u32_e32 v8, v114
	v_min_u32_e32 v8, 32, v8
	s_delay_alu instid0(VALU_DEP_1) | instskip(NEXT) | instid1(VALU_DEP_1)
	v_subrev_nc_u32_e32 v10, 28, v8
	v_lshlrev_b64_e32 v[10:11], v10, v[114:115]
	s_delay_alu instid0(VALU_DEP_1)
	v_dual_sub_nc_u32 v8, 29, v8 :: v_dual_bitop2_b32 v114, 7, v10 bitop3:0x40
; %bb.1711:                             ;   in Loop: Header=BB212_1069 Depth=1
	s_or_b32 exec_lo, exec_lo, s15
	s_delay_alu instid0(VALU_DEP_1) | instskip(NEXT) | instid1(VALU_DEP_2)
	v_dual_lshlrev_b32 v9, 24, v9 :: v_dual_lshlrev_b32 v10, 20, v114
	v_lshl_add_u32 v8, v8, 23, 0x3c000000
	v_mov_b32_e32 v14, v115
	s_delay_alu instid0(VALU_DEP_3) | instskip(NEXT) | instid1(VALU_DEP_1)
	v_and_b32_e32 v9, 0x80000000, v9
	v_or3_b32 v15, v10, v9, v8
.LBB212_1712:                           ;   in Loop: Header=BB212_1069 Depth=1
	s_or_b32 exec_lo, exec_lo, s14
.LBB212_1713:                           ;   in Loop: Header=BB212_1069 Depth=1
	s_delay_alu instid0(SALU_CYCLE_1)
	s_or_b32 exec_lo, exec_lo, s9
.LBB212_1714:                           ;   in Loop: Header=BB212_1069 Depth=1
	s_delay_alu instid0(SALU_CYCLE_1) | instskip(SKIP_4) | instid1(VALU_DEP_3)
	s_or_b32 exec_lo, exec_lo, s8
	v_or_b32_e32 v1, v1, v13
	v_or_b32_e32 v0, v0, v12
	;; [unrolled: 1-line block ×4, first 2 shown]
	v_pk_mul_f32 v[66:67], v[82:83], v[0:1]
	s_delay_alu instid0(VALU_DEP_2)
	v_pk_mul_f32 v[64:65], v[82:83], v[8:9]
	s_and_saveexec_b32 s8, vcc_lo
	s_cbranch_execz .LBB212_1716
; %bb.1715:                             ;   in Loop: Header=BB212_1069 Depth=1
	scratch_load_b64 v[0:1], off, s32 offset:200 ; 8-byte Folded Reload
	s_wait_loadcnt 0x0
	v_cmp_lt_i32_e64 s0, v119, v0
	s_delay_alu instid0(VALU_DEP_1) | instskip(SKIP_1) | instid1(VALU_DEP_1)
	v_cndmask_b32_e64 v66, 0, v66, s0
	v_cmp_lt_i32_e64 s0, v40, v0
	v_cndmask_b32_e64 v67, 0, v67, s0
	v_cmp_lt_i32_e64 s0, v113, v0
	s_delay_alu instid0(VALU_DEP_1) | instskip(SKIP_1) | instid1(VALU_DEP_1)
	v_cndmask_b32_e64 v64, 0, v64, s0
	v_cmp_lt_i32_e64 s0, v112, v0
	v_cndmask_b32_e64 v65, 0, v65, s0
.LBB212_1716:                           ;   in Loop: Header=BB212_1069 Depth=1
	s_wait_xcnt 0x0
	s_or_b32 exec_lo, exec_lo, s8
	flat_load_b32 v8, v[102:103] offset:2432
	v_mov_b64_e32 v[0:1], 0
	v_mov_b64_e32 v[12:13], 0
	s_mov_b32 s8, exec_lo
	s_wait_loadcnt_dscnt 0x0
	v_and_b32_e32 v9, 0xff, v8
	s_wait_xcnt 0x0
	s_delay_alu instid0(VALU_DEP_1)
	v_cmpx_ne_u16_e32 0, v9
	s_cbranch_execz .LBB212_1724
; %bb.1717:                             ;   in Loop: Header=BB212_1069 Depth=1
	v_mov_b64_e32 v[12:13], 0x80000000
	s_mov_b32 s9, exec_lo
	v_cmpx_ne_u16_e32 0x80, v9
	s_cbranch_execz .LBB212_1723
; %bb.1718:                             ;   in Loop: Header=BB212_1069 Depth=1
	v_mov_b64_e32 v[12:13], 0x7f800001
	v_and_b32_e32 v11, 0x7f, v8
	s_mov_b32 s14, exec_lo
	s_delay_alu instid0(VALU_DEP_1)
	v_cmpx_ne_u32_e32 0x7f, v11
	s_cbranch_execz .LBB212_1722
; %bb.1719:                             ;   in Loop: Header=BB212_1069 Depth=1
	v_dual_lshrrev_b32 v9, 3, v11 :: v_dual_bitop2_b32 v114, 7, v8 bitop3:0x40
	s_mov_b32 s15, exec_lo
	v_cmpx_gt_u32_e32 8, v11
; %bb.1720:                             ;   in Loop: Header=BB212_1069 Depth=1
	s_delay_alu instid0(VALU_DEP_2) | instskip(NEXT) | instid1(VALU_DEP_1)
	v_clz_i32_u32_e32 v9, v114
	v_min_u32_e32 v9, 32, v9
	s_delay_alu instid0(VALU_DEP_1) | instskip(NEXT) | instid1(VALU_DEP_1)
	v_subrev_nc_u32_e32 v10, 28, v9
	v_lshlrev_b64_e32 v[10:11], v10, v[114:115]
	s_delay_alu instid0(VALU_DEP_1)
	v_dual_sub_nc_u32 v9, 29, v9 :: v_dual_bitop2_b32 v114, 7, v10 bitop3:0x40
; %bb.1721:                             ;   in Loop: Header=BB212_1069 Depth=1
	s_or_b32 exec_lo, exec_lo, s15
	s_delay_alu instid0(VALU_DEP_1) | instskip(NEXT) | instid1(VALU_DEP_2)
	v_dual_lshlrev_b32 v10, 24, v8 :: v_dual_lshlrev_b32 v11, 20, v114
	v_lshl_add_u32 v9, v9, 23, 0x3c000000
	s_delay_alu instid0(VALU_DEP_2) | instskip(NEXT) | instid1(VALU_DEP_1)
	v_and_b32_e32 v10, 0x80000000, v10
	v_or3_b32 v114, v11, v10, v9
	s_delay_alu instid0(VALU_DEP_1)
	v_mov_b64_e32 v[12:13], v[114:115]
.LBB212_1722:                           ;   in Loop: Header=BB212_1069 Depth=1
	s_or_b32 exec_lo, exec_lo, s14
.LBB212_1723:                           ;   in Loop: Header=BB212_1069 Depth=1
	s_delay_alu instid0(SALU_CYCLE_1)
	s_or_b32 exec_lo, exec_lo, s9
.LBB212_1724:                           ;   in Loop: Header=BB212_1069 Depth=1
	s_delay_alu instid0(SALU_CYCLE_1) | instskip(SKIP_2) | instid1(VALU_DEP_1)
	s_or_b32 exec_lo, exec_lo, s8
	v_lshrrev_b16 v9, 8, v8
	s_mov_b32 s8, exec_lo
	v_cmpx_ne_u16_e32 0, v9
	s_cbranch_execz .LBB212_1732
; %bb.1725:                             ;   in Loop: Header=BB212_1069 Depth=1
	v_mov_b64_e32 v[0:1], 0x8000000000000000
	s_mov_b32 s9, exec_lo
	v_cmpx_ne_u16_e32 0x80, v9
	s_cbranch_execz .LBB212_1731
; %bb.1726:                             ;   in Loop: Header=BB212_1069 Depth=1
	v_and_b32_e32 v11, 0xffff, v9
	v_mov_b64_e32 v[0:1], 0x7f80000100000000
	s_mov_b32 s14, exec_lo
	s_delay_alu instid0(VALU_DEP_2) | instskip(NEXT) | instid1(VALU_DEP_1)
	v_and_b32_e32 v9, 0x7f, v11
	v_cmpx_ne_u32_e32 0x7f, v9
	s_cbranch_execz .LBB212_1730
; %bb.1727:                             ;   in Loop: Header=BB212_1069 Depth=1
	v_dual_lshrrev_b32 v0, 3, v9 :: v_dual_bitop2_b32 v114, 7, v11 bitop3:0x40
	s_mov_b32 s15, exec_lo
	v_cmpx_gt_u32_e32 8, v9
; %bb.1728:                             ;   in Loop: Header=BB212_1069 Depth=1
	s_delay_alu instid0(VALU_DEP_2) | instskip(NEXT) | instid1(VALU_DEP_1)
	v_clz_i32_u32_e32 v0, v114
	v_min_u32_e32 v0, 32, v0
	s_delay_alu instid0(VALU_DEP_1) | instskip(NEXT) | instid1(VALU_DEP_1)
	v_subrev_nc_u32_e32 v1, 28, v0
	v_lshlrev_b64_e32 v[10:11], v1, v[114:115]
	s_delay_alu instid0(VALU_DEP_1)
	v_dual_sub_nc_u32 v0, 29, v0 :: v_dual_bitop2_b32 v114, 7, v10 bitop3:0x40
; %bb.1729:                             ;   in Loop: Header=BB212_1069 Depth=1
	s_or_b32 exec_lo, exec_lo, s15
	s_delay_alu instid0(VALU_DEP_1) | instskip(NEXT) | instid1(VALU_DEP_2)
	v_dual_lshlrev_b32 v1, 16, v8 :: v_dual_lshlrev_b32 v9, 20, v114
	v_lshl_add_u32 v0, v0, 23, 0x3c000000
	s_delay_alu instid0(VALU_DEP_2) | instskip(NEXT) | instid1(VALU_DEP_1)
	v_and_b32_e32 v1, 0x80000000, v1
	v_or3_b32 v1, v9, v1, v0
	v_mov_b32_e32 v0, v115
.LBB212_1730:                           ;   in Loop: Header=BB212_1069 Depth=1
	s_or_b32 exec_lo, exec_lo, s14
.LBB212_1731:                           ;   in Loop: Header=BB212_1069 Depth=1
	s_delay_alu instid0(SALU_CYCLE_1)
	s_or_b32 exec_lo, exec_lo, s9
.LBB212_1732:                           ;   in Loop: Header=BB212_1069 Depth=1
	s_delay_alu instid0(SALU_CYCLE_1) | instskip(SKIP_4) | instid1(VALU_DEP_3)
	s_or_b32 exec_lo, exec_lo, s8
	v_lshrrev_b32_e32 v9, 16, v8
	v_mov_b64_e32 v[14:15], 0
	v_mov_b64_e32 v[16:17], 0
	s_mov_b32 s8, exec_lo
	v_and_b32_e32 v11, 0xff, v9
	s_delay_alu instid0(VALU_DEP_1)
	v_cmpx_ne_u16_e32 0, v11
	s_cbranch_execz .LBB212_1740
; %bb.1733:                             ;   in Loop: Header=BB212_1069 Depth=1
	v_mov_b64_e32 v[16:17], 0x80000000
	s_mov_b32 s9, exec_lo
	v_cmpx_ne_u16_e32 0x80, v11
	s_cbranch_execz .LBB212_1739
; %bb.1734:                             ;   in Loop: Header=BB212_1069 Depth=1
	v_mov_b64_e32 v[16:17], 0x7f800001
	v_bfe_u32 v11, v8, 16, 7
	s_mov_b32 s14, exec_lo
	s_delay_alu instid0(VALU_DEP_1)
	v_cmpx_ne_u32_e32 0x7f, v11
	s_cbranch_execz .LBB212_1738
; %bb.1735:                             ;   in Loop: Header=BB212_1069 Depth=1
	v_dual_lshrrev_b32 v16, 3, v11 :: v_dual_bitop2_b32 v114, 7, v9 bitop3:0x40
	s_mov_b32 s15, exec_lo
	v_cmpx_gt_u32_e32 8, v11
; %bb.1736:                             ;   in Loop: Header=BB212_1069 Depth=1
	s_delay_alu instid0(VALU_DEP_2) | instskip(NEXT) | instid1(VALU_DEP_1)
	v_clz_i32_u32_e32 v10, v114
	v_min_u32_e32 v16, 32, v10
	s_delay_alu instid0(VALU_DEP_1) | instskip(NEXT) | instid1(VALU_DEP_1)
	v_subrev_nc_u32_e32 v10, 28, v16
	v_lshlrev_b64_e32 v[10:11], v10, v[114:115]
	s_delay_alu instid0(VALU_DEP_1)
	v_dual_sub_nc_u32 v16, 29, v16 :: v_dual_bitop2_b32 v114, 7, v10 bitop3:0x40
; %bb.1737:                             ;   in Loop: Header=BB212_1069 Depth=1
	s_or_b32 exec_lo, exec_lo, s15
	s_delay_alu instid0(VALU_DEP_1) | instskip(NEXT) | instid1(VALU_DEP_2)
	v_dual_lshlrev_b32 v9, 24, v9 :: v_dual_lshlrev_b32 v10, 20, v114
	v_lshl_add_u32 v11, v16, 23, 0x3c000000
	s_delay_alu instid0(VALU_DEP_2) | instskip(NEXT) | instid1(VALU_DEP_1)
	v_and_b32_e32 v9, 0x80000000, v9
	v_or3_b32 v114, v10, v9, v11
	s_delay_alu instid0(VALU_DEP_1)
	v_mov_b64_e32 v[16:17], v[114:115]
.LBB212_1738:                           ;   in Loop: Header=BB212_1069 Depth=1
	s_or_b32 exec_lo, exec_lo, s14
.LBB212_1739:                           ;   in Loop: Header=BB212_1069 Depth=1
	s_delay_alu instid0(SALU_CYCLE_1)
	s_or_b32 exec_lo, exec_lo, s9
.LBB212_1740:                           ;   in Loop: Header=BB212_1069 Depth=1
	s_delay_alu instid0(SALU_CYCLE_1) | instskip(NEXT) | instid1(SALU_CYCLE_1)
	s_or_b32 exec_lo, exec_lo, s8
	s_mov_b32 s8, exec_lo
	v_cmpx_lt_u32_e32 0xffffff, v8
	s_cbranch_execz .LBB212_1748
; %bb.1741:                             ;   in Loop: Header=BB212_1069 Depth=1
	v_mov_b64_e32 v[14:15], 0x8000000000000000
	v_lshrrev_b32_e32 v9, 24, v8
	s_mov_b32 s9, exec_lo
	s_delay_alu instid0(VALU_DEP_1)
	v_cmpx_ne_u32_e32 0x80, v9
	s_cbranch_execz .LBB212_1747
; %bb.1742:                             ;   in Loop: Header=BB212_1069 Depth=1
	v_mov_b64_e32 v[14:15], 0x7f80000100000000
	v_bfe_u32 v11, v8, 24, 7
	s_mov_b32 s14, exec_lo
	s_delay_alu instid0(VALU_DEP_1)
	v_cmpx_ne_u32_e32 0x7f, v11
	s_cbranch_execz .LBB212_1746
; %bb.1743:                             ;   in Loop: Header=BB212_1069 Depth=1
	v_dual_lshrrev_b32 v8, 3, v11 :: v_dual_bitop2_b32 v114, 7, v9 bitop3:0x40
	s_mov_b32 s15, exec_lo
	v_cmpx_gt_u32_e32 8, v11
; %bb.1744:                             ;   in Loop: Header=BB212_1069 Depth=1
	s_delay_alu instid0(VALU_DEP_2) | instskip(NEXT) | instid1(VALU_DEP_1)
	v_clz_i32_u32_e32 v8, v114
	v_min_u32_e32 v8, 32, v8
	s_delay_alu instid0(VALU_DEP_1) | instskip(NEXT) | instid1(VALU_DEP_1)
	v_subrev_nc_u32_e32 v10, 28, v8
	v_lshlrev_b64_e32 v[10:11], v10, v[114:115]
	s_delay_alu instid0(VALU_DEP_1)
	v_dual_sub_nc_u32 v8, 29, v8 :: v_dual_bitop2_b32 v114, 7, v10 bitop3:0x40
; %bb.1745:                             ;   in Loop: Header=BB212_1069 Depth=1
	s_or_b32 exec_lo, exec_lo, s15
	s_delay_alu instid0(VALU_DEP_1) | instskip(NEXT) | instid1(VALU_DEP_2)
	v_dual_lshlrev_b32 v9, 24, v9 :: v_dual_lshlrev_b32 v10, 20, v114
	v_lshl_add_u32 v8, v8, 23, 0x3c000000
	v_mov_b32_e32 v14, v115
	s_delay_alu instid0(VALU_DEP_3) | instskip(NEXT) | instid1(VALU_DEP_1)
	v_and_b32_e32 v9, 0x80000000, v9
	v_or3_b32 v15, v10, v9, v8
.LBB212_1746:                           ;   in Loop: Header=BB212_1069 Depth=1
	s_or_b32 exec_lo, exec_lo, s14
.LBB212_1747:                           ;   in Loop: Header=BB212_1069 Depth=1
	s_delay_alu instid0(SALU_CYCLE_1)
	s_or_b32 exec_lo, exec_lo, s9
.LBB212_1748:                           ;   in Loop: Header=BB212_1069 Depth=1
	s_delay_alu instid0(SALU_CYCLE_1) | instskip(SKIP_4) | instid1(VALU_DEP_3)
	s_or_b32 exec_lo, exec_lo, s8
	v_or_b32_e32 v1, v1, v13
	v_or_b32_e32 v0, v0, v12
	;; [unrolled: 1-line block ×4, first 2 shown]
	v_pk_mul_f32 v[96:97], v[82:83], v[0:1]
	s_delay_alu instid0(VALU_DEP_2)
	v_pk_mul_f32 v[68:69], v[82:83], v[8:9]
	s_and_saveexec_b32 s8, vcc_lo
	s_cbranch_execz .LBB212_1750
; %bb.1749:                             ;   in Loop: Header=BB212_1069 Depth=1
	scratch_load_b64 v[0:1], off, s32 offset:200 ; 8-byte Folded Reload
	s_wait_loadcnt 0x0
	v_cmp_lt_i32_e64 s0, v119, v0
	s_delay_alu instid0(VALU_DEP_1) | instskip(SKIP_1) | instid1(VALU_DEP_1)
	v_cndmask_b32_e64 v96, 0, v96, s0
	v_cmp_lt_i32_e64 s0, v40, v0
	v_cndmask_b32_e64 v97, 0, v97, s0
	v_cmp_lt_i32_e64 s0, v113, v0
	s_delay_alu instid0(VALU_DEP_1) | instskip(SKIP_1) | instid1(VALU_DEP_1)
	v_cndmask_b32_e64 v68, 0, v68, s0
	v_cmp_lt_i32_e64 s0, v112, v0
	v_cndmask_b32_e64 v69, 0, v69, s0
.LBB212_1750:                           ;   in Loop: Header=BB212_1069 Depth=1
	s_wait_xcnt 0x0
	s_or_b32 exec_lo, exec_lo, s8
	flat_load_b32 v8, v[102:103] offset:2560
	v_mov_b64_e32 v[0:1], 0
	v_mov_b64_e32 v[12:13], 0
	s_mov_b32 s8, exec_lo
	s_wait_loadcnt_dscnt 0x0
	v_and_b32_e32 v9, 0xff, v8
	s_wait_xcnt 0x0
	s_delay_alu instid0(VALU_DEP_1)
	v_cmpx_ne_u16_e32 0, v9
	s_cbranch_execz .LBB212_1758
; %bb.1751:                             ;   in Loop: Header=BB212_1069 Depth=1
	v_mov_b64_e32 v[12:13], 0x80000000
	s_mov_b32 s9, exec_lo
	v_cmpx_ne_u16_e32 0x80, v9
	s_cbranch_execz .LBB212_1757
; %bb.1752:                             ;   in Loop: Header=BB212_1069 Depth=1
	v_mov_b64_e32 v[12:13], 0x7f800001
	v_and_b32_e32 v11, 0x7f, v8
	s_mov_b32 s14, exec_lo
	s_delay_alu instid0(VALU_DEP_1)
	v_cmpx_ne_u32_e32 0x7f, v11
	s_cbranch_execz .LBB212_1756
; %bb.1753:                             ;   in Loop: Header=BB212_1069 Depth=1
	v_dual_lshrrev_b32 v9, 3, v11 :: v_dual_bitop2_b32 v114, 7, v8 bitop3:0x40
	s_mov_b32 s15, exec_lo
	v_cmpx_gt_u32_e32 8, v11
; %bb.1754:                             ;   in Loop: Header=BB212_1069 Depth=1
	s_delay_alu instid0(VALU_DEP_2) | instskip(NEXT) | instid1(VALU_DEP_1)
	v_clz_i32_u32_e32 v9, v114
	v_min_u32_e32 v9, 32, v9
	s_delay_alu instid0(VALU_DEP_1) | instskip(NEXT) | instid1(VALU_DEP_1)
	v_subrev_nc_u32_e32 v10, 28, v9
	v_lshlrev_b64_e32 v[10:11], v10, v[114:115]
	s_delay_alu instid0(VALU_DEP_1)
	v_dual_sub_nc_u32 v9, 29, v9 :: v_dual_bitop2_b32 v114, 7, v10 bitop3:0x40
; %bb.1755:                             ;   in Loop: Header=BB212_1069 Depth=1
	s_or_b32 exec_lo, exec_lo, s15
	s_delay_alu instid0(VALU_DEP_1) | instskip(NEXT) | instid1(VALU_DEP_2)
	v_dual_lshlrev_b32 v10, 24, v8 :: v_dual_lshlrev_b32 v11, 20, v114
	v_lshl_add_u32 v9, v9, 23, 0x3c000000
	s_delay_alu instid0(VALU_DEP_2) | instskip(NEXT) | instid1(VALU_DEP_1)
	v_and_b32_e32 v10, 0x80000000, v10
	v_or3_b32 v114, v11, v10, v9
	s_delay_alu instid0(VALU_DEP_1)
	v_mov_b64_e32 v[12:13], v[114:115]
.LBB212_1756:                           ;   in Loop: Header=BB212_1069 Depth=1
	s_or_b32 exec_lo, exec_lo, s14
.LBB212_1757:                           ;   in Loop: Header=BB212_1069 Depth=1
	s_delay_alu instid0(SALU_CYCLE_1)
	s_or_b32 exec_lo, exec_lo, s9
.LBB212_1758:                           ;   in Loop: Header=BB212_1069 Depth=1
	s_delay_alu instid0(SALU_CYCLE_1) | instskip(SKIP_2) | instid1(VALU_DEP_1)
	s_or_b32 exec_lo, exec_lo, s8
	v_lshrrev_b16 v9, 8, v8
	s_mov_b32 s8, exec_lo
	v_cmpx_ne_u16_e32 0, v9
	s_cbranch_execz .LBB212_1766
; %bb.1759:                             ;   in Loop: Header=BB212_1069 Depth=1
	v_mov_b64_e32 v[0:1], 0x8000000000000000
	s_mov_b32 s9, exec_lo
	v_cmpx_ne_u16_e32 0x80, v9
	s_cbranch_execz .LBB212_1765
; %bb.1760:                             ;   in Loop: Header=BB212_1069 Depth=1
	v_and_b32_e32 v11, 0xffff, v9
	v_mov_b64_e32 v[0:1], 0x7f80000100000000
	s_mov_b32 s14, exec_lo
	s_delay_alu instid0(VALU_DEP_2) | instskip(NEXT) | instid1(VALU_DEP_1)
	v_and_b32_e32 v9, 0x7f, v11
	v_cmpx_ne_u32_e32 0x7f, v9
	s_cbranch_execz .LBB212_1764
; %bb.1761:                             ;   in Loop: Header=BB212_1069 Depth=1
	v_dual_lshrrev_b32 v0, 3, v9 :: v_dual_bitop2_b32 v114, 7, v11 bitop3:0x40
	s_mov_b32 s15, exec_lo
	v_cmpx_gt_u32_e32 8, v9
; %bb.1762:                             ;   in Loop: Header=BB212_1069 Depth=1
	s_delay_alu instid0(VALU_DEP_2) | instskip(NEXT) | instid1(VALU_DEP_1)
	v_clz_i32_u32_e32 v0, v114
	v_min_u32_e32 v0, 32, v0
	s_delay_alu instid0(VALU_DEP_1) | instskip(NEXT) | instid1(VALU_DEP_1)
	v_subrev_nc_u32_e32 v1, 28, v0
	v_lshlrev_b64_e32 v[10:11], v1, v[114:115]
	s_delay_alu instid0(VALU_DEP_1)
	v_dual_sub_nc_u32 v0, 29, v0 :: v_dual_bitop2_b32 v114, 7, v10 bitop3:0x40
; %bb.1763:                             ;   in Loop: Header=BB212_1069 Depth=1
	s_or_b32 exec_lo, exec_lo, s15
	s_delay_alu instid0(VALU_DEP_1) | instskip(NEXT) | instid1(VALU_DEP_2)
	v_dual_lshlrev_b32 v1, 16, v8 :: v_dual_lshlrev_b32 v9, 20, v114
	v_lshl_add_u32 v0, v0, 23, 0x3c000000
	s_delay_alu instid0(VALU_DEP_2) | instskip(NEXT) | instid1(VALU_DEP_1)
	v_and_b32_e32 v1, 0x80000000, v1
	v_or3_b32 v1, v9, v1, v0
	v_mov_b32_e32 v0, v115
.LBB212_1764:                           ;   in Loop: Header=BB212_1069 Depth=1
	s_or_b32 exec_lo, exec_lo, s14
.LBB212_1765:                           ;   in Loop: Header=BB212_1069 Depth=1
	s_delay_alu instid0(SALU_CYCLE_1)
	s_or_b32 exec_lo, exec_lo, s9
.LBB212_1766:                           ;   in Loop: Header=BB212_1069 Depth=1
	s_delay_alu instid0(SALU_CYCLE_1) | instskip(SKIP_4) | instid1(VALU_DEP_3)
	s_or_b32 exec_lo, exec_lo, s8
	v_lshrrev_b32_e32 v9, 16, v8
	v_mov_b64_e32 v[14:15], 0
	v_mov_b64_e32 v[16:17], 0
	s_mov_b32 s8, exec_lo
	v_and_b32_e32 v11, 0xff, v9
	s_delay_alu instid0(VALU_DEP_1)
	v_cmpx_ne_u16_e32 0, v11
	s_cbranch_execz .LBB212_1774
; %bb.1767:                             ;   in Loop: Header=BB212_1069 Depth=1
	v_mov_b64_e32 v[16:17], 0x80000000
	s_mov_b32 s9, exec_lo
	v_cmpx_ne_u16_e32 0x80, v11
	s_cbranch_execz .LBB212_1773
; %bb.1768:                             ;   in Loop: Header=BB212_1069 Depth=1
	v_mov_b64_e32 v[16:17], 0x7f800001
	v_bfe_u32 v11, v8, 16, 7
	s_mov_b32 s14, exec_lo
	s_delay_alu instid0(VALU_DEP_1)
	v_cmpx_ne_u32_e32 0x7f, v11
	s_cbranch_execz .LBB212_1772
; %bb.1769:                             ;   in Loop: Header=BB212_1069 Depth=1
	v_dual_lshrrev_b32 v16, 3, v11 :: v_dual_bitop2_b32 v114, 7, v9 bitop3:0x40
	s_mov_b32 s15, exec_lo
	v_cmpx_gt_u32_e32 8, v11
; %bb.1770:                             ;   in Loop: Header=BB212_1069 Depth=1
	s_delay_alu instid0(VALU_DEP_2) | instskip(NEXT) | instid1(VALU_DEP_1)
	v_clz_i32_u32_e32 v10, v114
	v_min_u32_e32 v16, 32, v10
	s_delay_alu instid0(VALU_DEP_1) | instskip(NEXT) | instid1(VALU_DEP_1)
	v_subrev_nc_u32_e32 v10, 28, v16
	v_lshlrev_b64_e32 v[10:11], v10, v[114:115]
	s_delay_alu instid0(VALU_DEP_1)
	v_dual_sub_nc_u32 v16, 29, v16 :: v_dual_bitop2_b32 v114, 7, v10 bitop3:0x40
; %bb.1771:                             ;   in Loop: Header=BB212_1069 Depth=1
	s_or_b32 exec_lo, exec_lo, s15
	s_delay_alu instid0(VALU_DEP_1) | instskip(NEXT) | instid1(VALU_DEP_2)
	v_dual_lshlrev_b32 v9, 24, v9 :: v_dual_lshlrev_b32 v10, 20, v114
	v_lshl_add_u32 v11, v16, 23, 0x3c000000
	s_delay_alu instid0(VALU_DEP_2) | instskip(NEXT) | instid1(VALU_DEP_1)
	v_and_b32_e32 v9, 0x80000000, v9
	v_or3_b32 v114, v10, v9, v11
	s_delay_alu instid0(VALU_DEP_1)
	v_mov_b64_e32 v[16:17], v[114:115]
.LBB212_1772:                           ;   in Loop: Header=BB212_1069 Depth=1
	s_or_b32 exec_lo, exec_lo, s14
.LBB212_1773:                           ;   in Loop: Header=BB212_1069 Depth=1
	s_delay_alu instid0(SALU_CYCLE_1)
	s_or_b32 exec_lo, exec_lo, s9
.LBB212_1774:                           ;   in Loop: Header=BB212_1069 Depth=1
	s_delay_alu instid0(SALU_CYCLE_1) | instskip(NEXT) | instid1(SALU_CYCLE_1)
	s_or_b32 exec_lo, exec_lo, s8
	s_mov_b32 s8, exec_lo
	v_cmpx_lt_u32_e32 0xffffff, v8
	s_cbranch_execz .LBB212_1782
; %bb.1775:                             ;   in Loop: Header=BB212_1069 Depth=1
	v_mov_b64_e32 v[14:15], 0x8000000000000000
	v_lshrrev_b32_e32 v9, 24, v8
	s_mov_b32 s9, exec_lo
	s_delay_alu instid0(VALU_DEP_1)
	v_cmpx_ne_u32_e32 0x80, v9
	s_cbranch_execz .LBB212_1781
; %bb.1776:                             ;   in Loop: Header=BB212_1069 Depth=1
	v_mov_b64_e32 v[14:15], 0x7f80000100000000
	v_bfe_u32 v11, v8, 24, 7
	s_mov_b32 s14, exec_lo
	s_delay_alu instid0(VALU_DEP_1)
	v_cmpx_ne_u32_e32 0x7f, v11
	s_cbranch_execz .LBB212_1780
; %bb.1777:                             ;   in Loop: Header=BB212_1069 Depth=1
	v_dual_lshrrev_b32 v8, 3, v11 :: v_dual_bitop2_b32 v114, 7, v9 bitop3:0x40
	s_mov_b32 s15, exec_lo
	v_cmpx_gt_u32_e32 8, v11
; %bb.1778:                             ;   in Loop: Header=BB212_1069 Depth=1
	s_delay_alu instid0(VALU_DEP_2) | instskip(NEXT) | instid1(VALU_DEP_1)
	v_clz_i32_u32_e32 v8, v114
	v_min_u32_e32 v8, 32, v8
	s_delay_alu instid0(VALU_DEP_1) | instskip(NEXT) | instid1(VALU_DEP_1)
	v_subrev_nc_u32_e32 v10, 28, v8
	v_lshlrev_b64_e32 v[10:11], v10, v[114:115]
	s_delay_alu instid0(VALU_DEP_1)
	v_dual_sub_nc_u32 v8, 29, v8 :: v_dual_bitop2_b32 v114, 7, v10 bitop3:0x40
; %bb.1779:                             ;   in Loop: Header=BB212_1069 Depth=1
	s_or_b32 exec_lo, exec_lo, s15
	s_delay_alu instid0(VALU_DEP_1) | instskip(NEXT) | instid1(VALU_DEP_2)
	v_dual_lshlrev_b32 v9, 24, v9 :: v_dual_lshlrev_b32 v10, 20, v114
	v_lshl_add_u32 v8, v8, 23, 0x3c000000
	v_mov_b32_e32 v14, v115
	s_delay_alu instid0(VALU_DEP_3) | instskip(NEXT) | instid1(VALU_DEP_1)
	v_and_b32_e32 v9, 0x80000000, v9
	v_or3_b32 v15, v10, v9, v8
.LBB212_1780:                           ;   in Loop: Header=BB212_1069 Depth=1
	s_or_b32 exec_lo, exec_lo, s14
.LBB212_1781:                           ;   in Loop: Header=BB212_1069 Depth=1
	s_delay_alu instid0(SALU_CYCLE_1)
	s_or_b32 exec_lo, exec_lo, s9
.LBB212_1782:                           ;   in Loop: Header=BB212_1069 Depth=1
	s_delay_alu instid0(SALU_CYCLE_1) | instskip(SKIP_4) | instid1(VALU_DEP_3)
	s_or_b32 exec_lo, exec_lo, s8
	v_or_b32_e32 v1, v1, v13
	v_or_b32_e32 v0, v0, v12
	;; [unrolled: 1-line block ×4, first 2 shown]
	v_pk_mul_f32 v[16:17], v[82:83], v[0:1]
	s_delay_alu instid0(VALU_DEP_2)
	v_pk_mul_f32 v[14:15], v[82:83], v[8:9]
	s_and_saveexec_b32 s8, vcc_lo
	s_cbranch_execz .LBB212_1784
; %bb.1783:                             ;   in Loop: Header=BB212_1069 Depth=1
	scratch_load_b64 v[0:1], off, s32 offset:200 ; 8-byte Folded Reload
	s_wait_loadcnt 0x0
	v_cmp_lt_i32_e64 s0, v119, v0
	s_delay_alu instid0(VALU_DEP_1) | instskip(SKIP_1) | instid1(VALU_DEP_1)
	v_cndmask_b32_e64 v16, 0, v16, s0
	v_cmp_lt_i32_e64 s0, v40, v0
	v_cndmask_b32_e64 v17, 0, v17, s0
	v_cmp_lt_i32_e64 s0, v113, v0
	s_delay_alu instid0(VALU_DEP_1) | instskip(SKIP_1) | instid1(VALU_DEP_1)
	v_cndmask_b32_e64 v14, 0, v14, s0
	v_cmp_lt_i32_e64 s0, v112, v0
	v_cndmask_b32_e64 v15, 0, v15, s0
.LBB212_1784:                           ;   in Loop: Header=BB212_1069 Depth=1
	s_wait_xcnt 0x0
	s_or_b32 exec_lo, exec_lo, s8
	flat_load_b32 v8, v[102:103] offset:2688
	v_mov_b64_e32 v[0:1], 0
	v_mov_b64_e32 v[12:13], 0
	s_mov_b32 s8, exec_lo
	s_wait_loadcnt_dscnt 0x0
	v_and_b32_e32 v9, 0xff, v8
	s_wait_xcnt 0x0
	s_delay_alu instid0(VALU_DEP_1)
	v_cmpx_ne_u16_e32 0, v9
	s_cbranch_execz .LBB212_1792
; %bb.1785:                             ;   in Loop: Header=BB212_1069 Depth=1
	v_mov_b64_e32 v[12:13], 0x80000000
	s_mov_b32 s9, exec_lo
	v_cmpx_ne_u16_e32 0x80, v9
	s_cbranch_execz .LBB212_1791
; %bb.1786:                             ;   in Loop: Header=BB212_1069 Depth=1
	v_mov_b64_e32 v[12:13], 0x7f800001
	v_and_b32_e32 v11, 0x7f, v8
	s_mov_b32 s14, exec_lo
	s_delay_alu instid0(VALU_DEP_1)
	v_cmpx_ne_u32_e32 0x7f, v11
	s_cbranch_execz .LBB212_1790
; %bb.1787:                             ;   in Loop: Header=BB212_1069 Depth=1
	v_dual_lshrrev_b32 v9, 3, v11 :: v_dual_bitop2_b32 v114, 7, v8 bitop3:0x40
	s_mov_b32 s15, exec_lo
	v_cmpx_gt_u32_e32 8, v11
; %bb.1788:                             ;   in Loop: Header=BB212_1069 Depth=1
	s_delay_alu instid0(VALU_DEP_2) | instskip(NEXT) | instid1(VALU_DEP_1)
	v_clz_i32_u32_e32 v9, v114
	v_min_u32_e32 v9, 32, v9
	s_delay_alu instid0(VALU_DEP_1) | instskip(NEXT) | instid1(VALU_DEP_1)
	v_subrev_nc_u32_e32 v10, 28, v9
	v_lshlrev_b64_e32 v[10:11], v10, v[114:115]
	s_delay_alu instid0(VALU_DEP_1)
	v_dual_sub_nc_u32 v9, 29, v9 :: v_dual_bitop2_b32 v114, 7, v10 bitop3:0x40
; %bb.1789:                             ;   in Loop: Header=BB212_1069 Depth=1
	s_or_b32 exec_lo, exec_lo, s15
	s_delay_alu instid0(VALU_DEP_1) | instskip(NEXT) | instid1(VALU_DEP_2)
	v_dual_lshlrev_b32 v10, 24, v8 :: v_dual_lshlrev_b32 v11, 20, v114
	v_lshl_add_u32 v9, v9, 23, 0x3c000000
	s_delay_alu instid0(VALU_DEP_2) | instskip(NEXT) | instid1(VALU_DEP_1)
	v_and_b32_e32 v10, 0x80000000, v10
	v_or3_b32 v114, v11, v10, v9
	s_delay_alu instid0(VALU_DEP_1)
	v_mov_b64_e32 v[12:13], v[114:115]
.LBB212_1790:                           ;   in Loop: Header=BB212_1069 Depth=1
	s_or_b32 exec_lo, exec_lo, s14
.LBB212_1791:                           ;   in Loop: Header=BB212_1069 Depth=1
	s_delay_alu instid0(SALU_CYCLE_1)
	s_or_b32 exec_lo, exec_lo, s9
.LBB212_1792:                           ;   in Loop: Header=BB212_1069 Depth=1
	s_delay_alu instid0(SALU_CYCLE_1) | instskip(SKIP_2) | instid1(VALU_DEP_1)
	s_or_b32 exec_lo, exec_lo, s8
	v_lshrrev_b16 v9, 8, v8
	s_mov_b32 s8, exec_lo
	v_cmpx_ne_u16_e32 0, v9
	s_cbranch_execz .LBB212_1800
; %bb.1793:                             ;   in Loop: Header=BB212_1069 Depth=1
	v_mov_b64_e32 v[0:1], 0x8000000000000000
	s_mov_b32 s9, exec_lo
	v_cmpx_ne_u16_e32 0x80, v9
	s_cbranch_execz .LBB212_1799
; %bb.1794:                             ;   in Loop: Header=BB212_1069 Depth=1
	v_and_b32_e32 v11, 0xffff, v9
	v_mov_b64_e32 v[0:1], 0x7f80000100000000
	s_mov_b32 s14, exec_lo
	s_delay_alu instid0(VALU_DEP_2) | instskip(NEXT) | instid1(VALU_DEP_1)
	v_and_b32_e32 v9, 0x7f, v11
	v_cmpx_ne_u32_e32 0x7f, v9
	s_cbranch_execz .LBB212_1798
; %bb.1795:                             ;   in Loop: Header=BB212_1069 Depth=1
	v_dual_lshrrev_b32 v0, 3, v9 :: v_dual_bitop2_b32 v114, 7, v11 bitop3:0x40
	s_mov_b32 s15, exec_lo
	v_cmpx_gt_u32_e32 8, v9
; %bb.1796:                             ;   in Loop: Header=BB212_1069 Depth=1
	s_delay_alu instid0(VALU_DEP_2) | instskip(NEXT) | instid1(VALU_DEP_1)
	v_clz_i32_u32_e32 v0, v114
	v_min_u32_e32 v0, 32, v0
	s_delay_alu instid0(VALU_DEP_1) | instskip(NEXT) | instid1(VALU_DEP_1)
	v_subrev_nc_u32_e32 v1, 28, v0
	v_lshlrev_b64_e32 v[10:11], v1, v[114:115]
	s_delay_alu instid0(VALU_DEP_1)
	v_dual_sub_nc_u32 v0, 29, v0 :: v_dual_bitop2_b32 v114, 7, v10 bitop3:0x40
; %bb.1797:                             ;   in Loop: Header=BB212_1069 Depth=1
	s_or_b32 exec_lo, exec_lo, s15
	s_delay_alu instid0(VALU_DEP_1) | instskip(NEXT) | instid1(VALU_DEP_2)
	v_dual_lshlrev_b32 v1, 16, v8 :: v_dual_lshlrev_b32 v9, 20, v114
	v_lshl_add_u32 v0, v0, 23, 0x3c000000
	s_delay_alu instid0(VALU_DEP_2) | instskip(NEXT) | instid1(VALU_DEP_1)
	v_and_b32_e32 v1, 0x80000000, v1
	v_or3_b32 v1, v9, v1, v0
	v_mov_b32_e32 v0, v115
.LBB212_1798:                           ;   in Loop: Header=BB212_1069 Depth=1
	s_or_b32 exec_lo, exec_lo, s14
.LBB212_1799:                           ;   in Loop: Header=BB212_1069 Depth=1
	s_delay_alu instid0(SALU_CYCLE_1)
	s_or_b32 exec_lo, exec_lo, s9
.LBB212_1800:                           ;   in Loop: Header=BB212_1069 Depth=1
	s_delay_alu instid0(SALU_CYCLE_1) | instskip(SKIP_4) | instid1(VALU_DEP_3)
	s_or_b32 exec_lo, exec_lo, s8
	v_lshrrev_b32_e32 v9, 16, v8
	v_mov_b64_e32 v[18:19], 0
	v_mov_b64_e32 v[20:21], 0
	s_mov_b32 s8, exec_lo
	v_and_b32_e32 v11, 0xff, v9
	s_delay_alu instid0(VALU_DEP_1)
	v_cmpx_ne_u16_e32 0, v11
	s_cbranch_execz .LBB212_1808
; %bb.1801:                             ;   in Loop: Header=BB212_1069 Depth=1
	v_mov_b64_e32 v[20:21], 0x80000000
	s_mov_b32 s9, exec_lo
	v_cmpx_ne_u16_e32 0x80, v11
	s_cbranch_execz .LBB212_1807
; %bb.1802:                             ;   in Loop: Header=BB212_1069 Depth=1
	v_mov_b64_e32 v[20:21], 0x7f800001
	v_bfe_u32 v11, v8, 16, 7
	s_mov_b32 s14, exec_lo
	s_delay_alu instid0(VALU_DEP_1)
	v_cmpx_ne_u32_e32 0x7f, v11
	s_cbranch_execz .LBB212_1806
; %bb.1803:                             ;   in Loop: Header=BB212_1069 Depth=1
	v_dual_lshrrev_b32 v20, 3, v11 :: v_dual_bitop2_b32 v114, 7, v9 bitop3:0x40
	s_mov_b32 s15, exec_lo
	v_cmpx_gt_u32_e32 8, v11
; %bb.1804:                             ;   in Loop: Header=BB212_1069 Depth=1
	s_delay_alu instid0(VALU_DEP_2) | instskip(NEXT) | instid1(VALU_DEP_1)
	v_clz_i32_u32_e32 v10, v114
	v_min_u32_e32 v20, 32, v10
	s_delay_alu instid0(VALU_DEP_1) | instskip(NEXT) | instid1(VALU_DEP_1)
	v_subrev_nc_u32_e32 v10, 28, v20
	v_lshlrev_b64_e32 v[10:11], v10, v[114:115]
	s_delay_alu instid0(VALU_DEP_1)
	v_dual_sub_nc_u32 v20, 29, v20 :: v_dual_bitop2_b32 v114, 7, v10 bitop3:0x40
; %bb.1805:                             ;   in Loop: Header=BB212_1069 Depth=1
	s_or_b32 exec_lo, exec_lo, s15
	s_delay_alu instid0(VALU_DEP_1) | instskip(NEXT) | instid1(VALU_DEP_2)
	v_dual_lshlrev_b32 v9, 24, v9 :: v_dual_lshlrev_b32 v10, 20, v114
	v_lshl_add_u32 v11, v20, 23, 0x3c000000
	s_delay_alu instid0(VALU_DEP_2) | instskip(NEXT) | instid1(VALU_DEP_1)
	v_and_b32_e32 v9, 0x80000000, v9
	v_or3_b32 v114, v10, v9, v11
	s_delay_alu instid0(VALU_DEP_1)
	v_mov_b64_e32 v[20:21], v[114:115]
.LBB212_1806:                           ;   in Loop: Header=BB212_1069 Depth=1
	s_or_b32 exec_lo, exec_lo, s14
.LBB212_1807:                           ;   in Loop: Header=BB212_1069 Depth=1
	s_delay_alu instid0(SALU_CYCLE_1)
	s_or_b32 exec_lo, exec_lo, s9
.LBB212_1808:                           ;   in Loop: Header=BB212_1069 Depth=1
	s_delay_alu instid0(SALU_CYCLE_1) | instskip(NEXT) | instid1(SALU_CYCLE_1)
	s_or_b32 exec_lo, exec_lo, s8
	s_mov_b32 s8, exec_lo
	v_cmpx_lt_u32_e32 0xffffff, v8
	s_cbranch_execz .LBB212_1816
; %bb.1809:                             ;   in Loop: Header=BB212_1069 Depth=1
	v_mov_b64_e32 v[18:19], 0x8000000000000000
	v_lshrrev_b32_e32 v9, 24, v8
	s_mov_b32 s9, exec_lo
	s_delay_alu instid0(VALU_DEP_1)
	v_cmpx_ne_u32_e32 0x80, v9
	s_cbranch_execz .LBB212_1815
; %bb.1810:                             ;   in Loop: Header=BB212_1069 Depth=1
	v_mov_b64_e32 v[18:19], 0x7f80000100000000
	v_bfe_u32 v11, v8, 24, 7
	s_mov_b32 s14, exec_lo
	s_delay_alu instid0(VALU_DEP_1)
	v_cmpx_ne_u32_e32 0x7f, v11
	s_cbranch_execz .LBB212_1814
; %bb.1811:                             ;   in Loop: Header=BB212_1069 Depth=1
	v_dual_lshrrev_b32 v8, 3, v11 :: v_dual_bitop2_b32 v114, 7, v9 bitop3:0x40
	s_mov_b32 s15, exec_lo
	v_cmpx_gt_u32_e32 8, v11
; %bb.1812:                             ;   in Loop: Header=BB212_1069 Depth=1
	s_delay_alu instid0(VALU_DEP_2) | instskip(NEXT) | instid1(VALU_DEP_1)
	v_clz_i32_u32_e32 v8, v114
	v_min_u32_e32 v8, 32, v8
	s_delay_alu instid0(VALU_DEP_1) | instskip(NEXT) | instid1(VALU_DEP_1)
	v_subrev_nc_u32_e32 v10, 28, v8
	v_lshlrev_b64_e32 v[10:11], v10, v[114:115]
	s_delay_alu instid0(VALU_DEP_1)
	v_dual_sub_nc_u32 v8, 29, v8 :: v_dual_bitop2_b32 v114, 7, v10 bitop3:0x40
; %bb.1813:                             ;   in Loop: Header=BB212_1069 Depth=1
	s_or_b32 exec_lo, exec_lo, s15
	s_delay_alu instid0(VALU_DEP_1) | instskip(NEXT) | instid1(VALU_DEP_2)
	v_dual_lshlrev_b32 v9, 24, v9 :: v_dual_lshlrev_b32 v10, 20, v114
	v_lshl_add_u32 v8, v8, 23, 0x3c000000
	v_mov_b32_e32 v18, v115
	s_delay_alu instid0(VALU_DEP_3) | instskip(NEXT) | instid1(VALU_DEP_1)
	v_and_b32_e32 v9, 0x80000000, v9
	v_or3_b32 v19, v10, v9, v8
.LBB212_1814:                           ;   in Loop: Header=BB212_1069 Depth=1
	s_or_b32 exec_lo, exec_lo, s14
.LBB212_1815:                           ;   in Loop: Header=BB212_1069 Depth=1
	s_delay_alu instid0(SALU_CYCLE_1)
	s_or_b32 exec_lo, exec_lo, s9
.LBB212_1816:                           ;   in Loop: Header=BB212_1069 Depth=1
	s_delay_alu instid0(SALU_CYCLE_1) | instskip(SKIP_4) | instid1(VALU_DEP_3)
	s_or_b32 exec_lo, exec_lo, s8
	v_or_b32_e32 v1, v1, v13
	v_or_b32_e32 v0, v0, v12
	;; [unrolled: 1-line block ×4, first 2 shown]
	v_pk_mul_f32 v[20:21], v[82:83], v[0:1]
	s_delay_alu instid0(VALU_DEP_2)
	v_pk_mul_f32 v[18:19], v[82:83], v[8:9]
	s_and_saveexec_b32 s8, vcc_lo
	s_cbranch_execz .LBB212_1818
; %bb.1817:                             ;   in Loop: Header=BB212_1069 Depth=1
	scratch_load_b64 v[0:1], off, s32 offset:200 ; 8-byte Folded Reload
	s_wait_loadcnt 0x0
	v_cmp_lt_i32_e64 s0, v119, v0
	s_delay_alu instid0(VALU_DEP_1) | instskip(SKIP_1) | instid1(VALU_DEP_1)
	v_cndmask_b32_e64 v20, 0, v20, s0
	v_cmp_lt_i32_e64 s0, v40, v0
	v_cndmask_b32_e64 v21, 0, v21, s0
	v_cmp_lt_i32_e64 s0, v113, v0
	s_delay_alu instid0(VALU_DEP_1) | instskip(SKIP_1) | instid1(VALU_DEP_1)
	v_cndmask_b32_e64 v18, 0, v18, s0
	v_cmp_lt_i32_e64 s0, v112, v0
	v_cndmask_b32_e64 v19, 0, v19, s0
.LBB212_1818:                           ;   in Loop: Header=BB212_1069 Depth=1
	s_wait_xcnt 0x0
	s_or_b32 exec_lo, exec_lo, s8
	flat_load_b32 v8, v[102:103] offset:2816
	v_mov_b64_e32 v[0:1], 0
	v_mov_b64_e32 v[12:13], 0
	s_mov_b32 s8, exec_lo
	s_wait_loadcnt_dscnt 0x0
	v_and_b32_e32 v9, 0xff, v8
	s_wait_xcnt 0x0
	s_delay_alu instid0(VALU_DEP_1)
	v_cmpx_ne_u16_e32 0, v9
	s_cbranch_execz .LBB212_1826
; %bb.1819:                             ;   in Loop: Header=BB212_1069 Depth=1
	v_mov_b64_e32 v[12:13], 0x80000000
	s_mov_b32 s9, exec_lo
	v_cmpx_ne_u16_e32 0x80, v9
	s_cbranch_execz .LBB212_1825
; %bb.1820:                             ;   in Loop: Header=BB212_1069 Depth=1
	v_mov_b64_e32 v[12:13], 0x7f800001
	v_and_b32_e32 v11, 0x7f, v8
	s_mov_b32 s14, exec_lo
	s_delay_alu instid0(VALU_DEP_1)
	v_cmpx_ne_u32_e32 0x7f, v11
	s_cbranch_execz .LBB212_1824
; %bb.1821:                             ;   in Loop: Header=BB212_1069 Depth=1
	v_dual_lshrrev_b32 v9, 3, v11 :: v_dual_bitop2_b32 v114, 7, v8 bitop3:0x40
	s_mov_b32 s15, exec_lo
	v_cmpx_gt_u32_e32 8, v11
; %bb.1822:                             ;   in Loop: Header=BB212_1069 Depth=1
	s_delay_alu instid0(VALU_DEP_2) | instskip(NEXT) | instid1(VALU_DEP_1)
	v_clz_i32_u32_e32 v9, v114
	v_min_u32_e32 v9, 32, v9
	s_delay_alu instid0(VALU_DEP_1) | instskip(NEXT) | instid1(VALU_DEP_1)
	v_subrev_nc_u32_e32 v10, 28, v9
	v_lshlrev_b64_e32 v[10:11], v10, v[114:115]
	s_delay_alu instid0(VALU_DEP_1)
	v_dual_sub_nc_u32 v9, 29, v9 :: v_dual_bitop2_b32 v114, 7, v10 bitop3:0x40
; %bb.1823:                             ;   in Loop: Header=BB212_1069 Depth=1
	s_or_b32 exec_lo, exec_lo, s15
	s_delay_alu instid0(VALU_DEP_1) | instskip(NEXT) | instid1(VALU_DEP_2)
	v_dual_lshlrev_b32 v10, 24, v8 :: v_dual_lshlrev_b32 v11, 20, v114
	v_lshl_add_u32 v9, v9, 23, 0x3c000000
	s_delay_alu instid0(VALU_DEP_2) | instskip(NEXT) | instid1(VALU_DEP_1)
	v_and_b32_e32 v10, 0x80000000, v10
	v_or3_b32 v114, v11, v10, v9
	s_delay_alu instid0(VALU_DEP_1)
	v_mov_b64_e32 v[12:13], v[114:115]
.LBB212_1824:                           ;   in Loop: Header=BB212_1069 Depth=1
	s_or_b32 exec_lo, exec_lo, s14
.LBB212_1825:                           ;   in Loop: Header=BB212_1069 Depth=1
	s_delay_alu instid0(SALU_CYCLE_1)
	s_or_b32 exec_lo, exec_lo, s9
.LBB212_1826:                           ;   in Loop: Header=BB212_1069 Depth=1
	s_delay_alu instid0(SALU_CYCLE_1) | instskip(SKIP_2) | instid1(VALU_DEP_1)
	s_or_b32 exec_lo, exec_lo, s8
	v_lshrrev_b16 v9, 8, v8
	s_mov_b32 s8, exec_lo
	v_cmpx_ne_u16_e32 0, v9
	s_cbranch_execz .LBB212_1834
; %bb.1827:                             ;   in Loop: Header=BB212_1069 Depth=1
	v_mov_b64_e32 v[0:1], 0x8000000000000000
	s_mov_b32 s9, exec_lo
	v_cmpx_ne_u16_e32 0x80, v9
	s_cbranch_execz .LBB212_1833
; %bb.1828:                             ;   in Loop: Header=BB212_1069 Depth=1
	v_and_b32_e32 v11, 0xffff, v9
	v_mov_b64_e32 v[0:1], 0x7f80000100000000
	s_mov_b32 s14, exec_lo
	s_delay_alu instid0(VALU_DEP_2) | instskip(NEXT) | instid1(VALU_DEP_1)
	v_and_b32_e32 v9, 0x7f, v11
	v_cmpx_ne_u32_e32 0x7f, v9
	s_cbranch_execz .LBB212_1832
; %bb.1829:                             ;   in Loop: Header=BB212_1069 Depth=1
	v_dual_lshrrev_b32 v0, 3, v9 :: v_dual_bitop2_b32 v114, 7, v11 bitop3:0x40
	s_mov_b32 s15, exec_lo
	v_cmpx_gt_u32_e32 8, v9
; %bb.1830:                             ;   in Loop: Header=BB212_1069 Depth=1
	s_delay_alu instid0(VALU_DEP_2) | instskip(NEXT) | instid1(VALU_DEP_1)
	v_clz_i32_u32_e32 v0, v114
	v_min_u32_e32 v0, 32, v0
	s_delay_alu instid0(VALU_DEP_1) | instskip(NEXT) | instid1(VALU_DEP_1)
	v_subrev_nc_u32_e32 v1, 28, v0
	v_lshlrev_b64_e32 v[10:11], v1, v[114:115]
	s_delay_alu instid0(VALU_DEP_1)
	v_dual_sub_nc_u32 v0, 29, v0 :: v_dual_bitop2_b32 v114, 7, v10 bitop3:0x40
; %bb.1831:                             ;   in Loop: Header=BB212_1069 Depth=1
	s_or_b32 exec_lo, exec_lo, s15
	s_delay_alu instid0(VALU_DEP_1) | instskip(NEXT) | instid1(VALU_DEP_2)
	v_dual_lshlrev_b32 v1, 16, v8 :: v_dual_lshlrev_b32 v9, 20, v114
	v_lshl_add_u32 v0, v0, 23, 0x3c000000
	s_delay_alu instid0(VALU_DEP_2) | instskip(NEXT) | instid1(VALU_DEP_1)
	v_and_b32_e32 v1, 0x80000000, v1
	v_or3_b32 v1, v9, v1, v0
	v_mov_b32_e32 v0, v115
.LBB212_1832:                           ;   in Loop: Header=BB212_1069 Depth=1
	s_or_b32 exec_lo, exec_lo, s14
.LBB212_1833:                           ;   in Loop: Header=BB212_1069 Depth=1
	s_delay_alu instid0(SALU_CYCLE_1)
	s_or_b32 exec_lo, exec_lo, s9
.LBB212_1834:                           ;   in Loop: Header=BB212_1069 Depth=1
	s_delay_alu instid0(SALU_CYCLE_1) | instskip(SKIP_4) | instid1(VALU_DEP_3)
	s_or_b32 exec_lo, exec_lo, s8
	v_lshrrev_b32_e32 v9, 16, v8
	v_mov_b64_e32 v[22:23], 0
	v_mov_b64_e32 v[24:25], 0
	s_mov_b32 s8, exec_lo
	v_and_b32_e32 v11, 0xff, v9
	s_delay_alu instid0(VALU_DEP_1)
	v_cmpx_ne_u16_e32 0, v11
	s_cbranch_execz .LBB212_1842
; %bb.1835:                             ;   in Loop: Header=BB212_1069 Depth=1
	v_mov_b64_e32 v[24:25], 0x80000000
	s_mov_b32 s9, exec_lo
	v_cmpx_ne_u16_e32 0x80, v11
	s_cbranch_execz .LBB212_1841
; %bb.1836:                             ;   in Loop: Header=BB212_1069 Depth=1
	v_mov_b64_e32 v[24:25], 0x7f800001
	v_bfe_u32 v11, v8, 16, 7
	s_mov_b32 s14, exec_lo
	s_delay_alu instid0(VALU_DEP_1)
	v_cmpx_ne_u32_e32 0x7f, v11
	s_cbranch_execz .LBB212_1840
; %bb.1837:                             ;   in Loop: Header=BB212_1069 Depth=1
	v_dual_lshrrev_b32 v24, 3, v11 :: v_dual_bitop2_b32 v114, 7, v9 bitop3:0x40
	s_mov_b32 s15, exec_lo
	v_cmpx_gt_u32_e32 8, v11
; %bb.1838:                             ;   in Loop: Header=BB212_1069 Depth=1
	s_delay_alu instid0(VALU_DEP_2) | instskip(NEXT) | instid1(VALU_DEP_1)
	v_clz_i32_u32_e32 v10, v114
	v_min_u32_e32 v24, 32, v10
	s_delay_alu instid0(VALU_DEP_1) | instskip(NEXT) | instid1(VALU_DEP_1)
	v_subrev_nc_u32_e32 v10, 28, v24
	v_lshlrev_b64_e32 v[10:11], v10, v[114:115]
	s_delay_alu instid0(VALU_DEP_1)
	v_dual_sub_nc_u32 v24, 29, v24 :: v_dual_bitop2_b32 v114, 7, v10 bitop3:0x40
; %bb.1839:                             ;   in Loop: Header=BB212_1069 Depth=1
	s_or_b32 exec_lo, exec_lo, s15
	s_delay_alu instid0(VALU_DEP_1) | instskip(NEXT) | instid1(VALU_DEP_2)
	v_dual_lshlrev_b32 v9, 24, v9 :: v_dual_lshlrev_b32 v10, 20, v114
	v_lshl_add_u32 v11, v24, 23, 0x3c000000
	s_delay_alu instid0(VALU_DEP_2) | instskip(NEXT) | instid1(VALU_DEP_1)
	v_and_b32_e32 v9, 0x80000000, v9
	v_or3_b32 v114, v10, v9, v11
	s_delay_alu instid0(VALU_DEP_1)
	v_mov_b64_e32 v[24:25], v[114:115]
.LBB212_1840:                           ;   in Loop: Header=BB212_1069 Depth=1
	s_or_b32 exec_lo, exec_lo, s14
.LBB212_1841:                           ;   in Loop: Header=BB212_1069 Depth=1
	s_delay_alu instid0(SALU_CYCLE_1)
	s_or_b32 exec_lo, exec_lo, s9
.LBB212_1842:                           ;   in Loop: Header=BB212_1069 Depth=1
	s_delay_alu instid0(SALU_CYCLE_1) | instskip(NEXT) | instid1(SALU_CYCLE_1)
	s_or_b32 exec_lo, exec_lo, s8
	s_mov_b32 s8, exec_lo
	v_cmpx_lt_u32_e32 0xffffff, v8
	s_cbranch_execz .LBB212_1850
; %bb.1843:                             ;   in Loop: Header=BB212_1069 Depth=1
	v_mov_b64_e32 v[22:23], 0x8000000000000000
	v_lshrrev_b32_e32 v9, 24, v8
	s_mov_b32 s9, exec_lo
	s_delay_alu instid0(VALU_DEP_1)
	v_cmpx_ne_u32_e32 0x80, v9
	s_cbranch_execz .LBB212_1849
; %bb.1844:                             ;   in Loop: Header=BB212_1069 Depth=1
	v_mov_b64_e32 v[22:23], 0x7f80000100000000
	v_bfe_u32 v11, v8, 24, 7
	s_mov_b32 s14, exec_lo
	s_delay_alu instid0(VALU_DEP_1)
	v_cmpx_ne_u32_e32 0x7f, v11
	s_cbranch_execz .LBB212_1848
; %bb.1845:                             ;   in Loop: Header=BB212_1069 Depth=1
	v_dual_lshrrev_b32 v8, 3, v11 :: v_dual_bitop2_b32 v114, 7, v9 bitop3:0x40
	s_mov_b32 s15, exec_lo
	v_cmpx_gt_u32_e32 8, v11
; %bb.1846:                             ;   in Loop: Header=BB212_1069 Depth=1
	s_delay_alu instid0(VALU_DEP_2) | instskip(NEXT) | instid1(VALU_DEP_1)
	v_clz_i32_u32_e32 v8, v114
	v_min_u32_e32 v8, 32, v8
	s_delay_alu instid0(VALU_DEP_1) | instskip(NEXT) | instid1(VALU_DEP_1)
	v_subrev_nc_u32_e32 v10, 28, v8
	v_lshlrev_b64_e32 v[10:11], v10, v[114:115]
	s_delay_alu instid0(VALU_DEP_1)
	v_dual_sub_nc_u32 v8, 29, v8 :: v_dual_bitop2_b32 v114, 7, v10 bitop3:0x40
; %bb.1847:                             ;   in Loop: Header=BB212_1069 Depth=1
	s_or_b32 exec_lo, exec_lo, s15
	s_delay_alu instid0(VALU_DEP_1) | instskip(NEXT) | instid1(VALU_DEP_2)
	v_dual_lshlrev_b32 v9, 24, v9 :: v_dual_lshlrev_b32 v10, 20, v114
	v_lshl_add_u32 v8, v8, 23, 0x3c000000
	v_mov_b32_e32 v22, v115
	s_delay_alu instid0(VALU_DEP_3) | instskip(NEXT) | instid1(VALU_DEP_1)
	v_and_b32_e32 v9, 0x80000000, v9
	v_or3_b32 v23, v10, v9, v8
.LBB212_1848:                           ;   in Loop: Header=BB212_1069 Depth=1
	s_or_b32 exec_lo, exec_lo, s14
.LBB212_1849:                           ;   in Loop: Header=BB212_1069 Depth=1
	s_delay_alu instid0(SALU_CYCLE_1)
	s_or_b32 exec_lo, exec_lo, s9
.LBB212_1850:                           ;   in Loop: Header=BB212_1069 Depth=1
	s_delay_alu instid0(SALU_CYCLE_1) | instskip(SKIP_4) | instid1(VALU_DEP_3)
	s_or_b32 exec_lo, exec_lo, s8
	v_or_b32_e32 v1, v1, v13
	v_or_b32_e32 v0, v0, v12
	v_or_b32_e32 v9, v23, v25
	v_or_b32_e32 v8, v22, v24
	v_pk_mul_f32 v[24:25], v[82:83], v[0:1]
	s_delay_alu instid0(VALU_DEP_2)
	v_pk_mul_f32 v[22:23], v[82:83], v[8:9]
	s_and_saveexec_b32 s8, vcc_lo
	s_cbranch_execz .LBB212_1852
; %bb.1851:                             ;   in Loop: Header=BB212_1069 Depth=1
	scratch_load_b64 v[0:1], off, s32 offset:200 ; 8-byte Folded Reload
	s_wait_loadcnt 0x0
	v_cmp_lt_i32_e64 s0, v119, v0
	s_delay_alu instid0(VALU_DEP_1) | instskip(SKIP_1) | instid1(VALU_DEP_1)
	v_cndmask_b32_e64 v24, 0, v24, s0
	v_cmp_lt_i32_e64 s0, v40, v0
	v_cndmask_b32_e64 v25, 0, v25, s0
	v_cmp_lt_i32_e64 s0, v113, v0
	s_delay_alu instid0(VALU_DEP_1) | instskip(SKIP_1) | instid1(VALU_DEP_1)
	v_cndmask_b32_e64 v22, 0, v22, s0
	v_cmp_lt_i32_e64 s0, v112, v0
	v_cndmask_b32_e64 v23, 0, v23, s0
.LBB212_1852:                           ;   in Loop: Header=BB212_1069 Depth=1
	s_wait_xcnt 0x0
	s_or_b32 exec_lo, exec_lo, s8
	flat_load_b32 v8, v[102:103] offset:2944
	v_mov_b64_e32 v[0:1], 0
	v_mov_b64_e32 v[12:13], 0
	s_mov_b32 s8, exec_lo
	s_wait_loadcnt_dscnt 0x0
	v_and_b32_e32 v9, 0xff, v8
	s_wait_xcnt 0x0
	s_delay_alu instid0(VALU_DEP_1)
	v_cmpx_ne_u16_e32 0, v9
	s_cbranch_execz .LBB212_1860
; %bb.1853:                             ;   in Loop: Header=BB212_1069 Depth=1
	v_mov_b64_e32 v[12:13], 0x80000000
	s_mov_b32 s9, exec_lo
	v_cmpx_ne_u16_e32 0x80, v9
	s_cbranch_execz .LBB212_1859
; %bb.1854:                             ;   in Loop: Header=BB212_1069 Depth=1
	v_mov_b64_e32 v[12:13], 0x7f800001
	v_and_b32_e32 v11, 0x7f, v8
	s_mov_b32 s14, exec_lo
	s_delay_alu instid0(VALU_DEP_1)
	v_cmpx_ne_u32_e32 0x7f, v11
	s_cbranch_execz .LBB212_1858
; %bb.1855:                             ;   in Loop: Header=BB212_1069 Depth=1
	v_dual_lshrrev_b32 v9, 3, v11 :: v_dual_bitop2_b32 v114, 7, v8 bitop3:0x40
	s_mov_b32 s15, exec_lo
	v_cmpx_gt_u32_e32 8, v11
; %bb.1856:                             ;   in Loop: Header=BB212_1069 Depth=1
	s_delay_alu instid0(VALU_DEP_2) | instskip(NEXT) | instid1(VALU_DEP_1)
	v_clz_i32_u32_e32 v9, v114
	v_min_u32_e32 v9, 32, v9
	s_delay_alu instid0(VALU_DEP_1) | instskip(NEXT) | instid1(VALU_DEP_1)
	v_subrev_nc_u32_e32 v10, 28, v9
	v_lshlrev_b64_e32 v[10:11], v10, v[114:115]
	s_delay_alu instid0(VALU_DEP_1)
	v_dual_sub_nc_u32 v9, 29, v9 :: v_dual_bitop2_b32 v114, 7, v10 bitop3:0x40
; %bb.1857:                             ;   in Loop: Header=BB212_1069 Depth=1
	s_or_b32 exec_lo, exec_lo, s15
	s_delay_alu instid0(VALU_DEP_1) | instskip(NEXT) | instid1(VALU_DEP_2)
	v_dual_lshlrev_b32 v10, 24, v8 :: v_dual_lshlrev_b32 v11, 20, v114
	v_lshl_add_u32 v9, v9, 23, 0x3c000000
	s_delay_alu instid0(VALU_DEP_2) | instskip(NEXT) | instid1(VALU_DEP_1)
	v_and_b32_e32 v10, 0x80000000, v10
	v_or3_b32 v114, v11, v10, v9
	s_delay_alu instid0(VALU_DEP_1)
	v_mov_b64_e32 v[12:13], v[114:115]
.LBB212_1858:                           ;   in Loop: Header=BB212_1069 Depth=1
	s_or_b32 exec_lo, exec_lo, s14
.LBB212_1859:                           ;   in Loop: Header=BB212_1069 Depth=1
	s_delay_alu instid0(SALU_CYCLE_1)
	s_or_b32 exec_lo, exec_lo, s9
.LBB212_1860:                           ;   in Loop: Header=BB212_1069 Depth=1
	s_delay_alu instid0(SALU_CYCLE_1) | instskip(SKIP_2) | instid1(VALU_DEP_1)
	s_or_b32 exec_lo, exec_lo, s8
	v_lshrrev_b16 v9, 8, v8
	s_mov_b32 s8, exec_lo
	v_cmpx_ne_u16_e32 0, v9
	s_cbranch_execz .LBB212_1868
; %bb.1861:                             ;   in Loop: Header=BB212_1069 Depth=1
	v_mov_b64_e32 v[0:1], 0x8000000000000000
	s_mov_b32 s9, exec_lo
	v_cmpx_ne_u16_e32 0x80, v9
	s_cbranch_execz .LBB212_1867
; %bb.1862:                             ;   in Loop: Header=BB212_1069 Depth=1
	v_and_b32_e32 v11, 0xffff, v9
	v_mov_b64_e32 v[0:1], 0x7f80000100000000
	s_mov_b32 s14, exec_lo
	s_delay_alu instid0(VALU_DEP_2) | instskip(NEXT) | instid1(VALU_DEP_1)
	v_and_b32_e32 v9, 0x7f, v11
	v_cmpx_ne_u32_e32 0x7f, v9
	s_cbranch_execz .LBB212_1866
; %bb.1863:                             ;   in Loop: Header=BB212_1069 Depth=1
	v_dual_lshrrev_b32 v0, 3, v9 :: v_dual_bitop2_b32 v114, 7, v11 bitop3:0x40
	s_mov_b32 s15, exec_lo
	v_cmpx_gt_u32_e32 8, v9
; %bb.1864:                             ;   in Loop: Header=BB212_1069 Depth=1
	s_delay_alu instid0(VALU_DEP_2) | instskip(NEXT) | instid1(VALU_DEP_1)
	v_clz_i32_u32_e32 v0, v114
	v_min_u32_e32 v0, 32, v0
	s_delay_alu instid0(VALU_DEP_1) | instskip(NEXT) | instid1(VALU_DEP_1)
	v_subrev_nc_u32_e32 v1, 28, v0
	v_lshlrev_b64_e32 v[10:11], v1, v[114:115]
	s_delay_alu instid0(VALU_DEP_1)
	v_dual_sub_nc_u32 v0, 29, v0 :: v_dual_bitop2_b32 v114, 7, v10 bitop3:0x40
; %bb.1865:                             ;   in Loop: Header=BB212_1069 Depth=1
	s_or_b32 exec_lo, exec_lo, s15
	s_delay_alu instid0(VALU_DEP_1) | instskip(NEXT) | instid1(VALU_DEP_2)
	v_dual_lshlrev_b32 v1, 16, v8 :: v_dual_lshlrev_b32 v9, 20, v114
	v_lshl_add_u32 v0, v0, 23, 0x3c000000
	s_delay_alu instid0(VALU_DEP_2) | instskip(NEXT) | instid1(VALU_DEP_1)
	v_and_b32_e32 v1, 0x80000000, v1
	v_or3_b32 v1, v9, v1, v0
	v_mov_b32_e32 v0, v115
.LBB212_1866:                           ;   in Loop: Header=BB212_1069 Depth=1
	s_or_b32 exec_lo, exec_lo, s14
.LBB212_1867:                           ;   in Loop: Header=BB212_1069 Depth=1
	s_delay_alu instid0(SALU_CYCLE_1)
	s_or_b32 exec_lo, exec_lo, s9
.LBB212_1868:                           ;   in Loop: Header=BB212_1069 Depth=1
	s_delay_alu instid0(SALU_CYCLE_1) | instskip(SKIP_4) | instid1(VALU_DEP_3)
	s_or_b32 exec_lo, exec_lo, s8
	v_lshrrev_b32_e32 v9, 16, v8
	v_mov_b64_e32 v[26:27], 0
	v_mov_b64_e32 v[28:29], 0
	s_mov_b32 s8, exec_lo
	v_and_b32_e32 v11, 0xff, v9
	s_delay_alu instid0(VALU_DEP_1)
	v_cmpx_ne_u16_e32 0, v11
	s_cbranch_execz .LBB212_1876
; %bb.1869:                             ;   in Loop: Header=BB212_1069 Depth=1
	v_mov_b64_e32 v[28:29], 0x80000000
	s_mov_b32 s9, exec_lo
	v_cmpx_ne_u16_e32 0x80, v11
	s_cbranch_execz .LBB212_1875
; %bb.1870:                             ;   in Loop: Header=BB212_1069 Depth=1
	v_mov_b64_e32 v[28:29], 0x7f800001
	v_bfe_u32 v11, v8, 16, 7
	s_mov_b32 s14, exec_lo
	s_delay_alu instid0(VALU_DEP_1)
	v_cmpx_ne_u32_e32 0x7f, v11
	s_cbranch_execz .LBB212_1874
; %bb.1871:                             ;   in Loop: Header=BB212_1069 Depth=1
	v_dual_lshrrev_b32 v28, 3, v11 :: v_dual_bitop2_b32 v114, 7, v9 bitop3:0x40
	s_mov_b32 s15, exec_lo
	v_cmpx_gt_u32_e32 8, v11
; %bb.1872:                             ;   in Loop: Header=BB212_1069 Depth=1
	s_delay_alu instid0(VALU_DEP_2) | instskip(NEXT) | instid1(VALU_DEP_1)
	v_clz_i32_u32_e32 v10, v114
	v_min_u32_e32 v28, 32, v10
	s_delay_alu instid0(VALU_DEP_1) | instskip(NEXT) | instid1(VALU_DEP_1)
	v_subrev_nc_u32_e32 v10, 28, v28
	v_lshlrev_b64_e32 v[10:11], v10, v[114:115]
	s_delay_alu instid0(VALU_DEP_1)
	v_dual_sub_nc_u32 v28, 29, v28 :: v_dual_bitop2_b32 v114, 7, v10 bitop3:0x40
; %bb.1873:                             ;   in Loop: Header=BB212_1069 Depth=1
	s_or_b32 exec_lo, exec_lo, s15
	s_delay_alu instid0(VALU_DEP_1) | instskip(NEXT) | instid1(VALU_DEP_2)
	v_dual_lshlrev_b32 v9, 24, v9 :: v_dual_lshlrev_b32 v10, 20, v114
	v_lshl_add_u32 v11, v28, 23, 0x3c000000
	s_delay_alu instid0(VALU_DEP_2) | instskip(NEXT) | instid1(VALU_DEP_1)
	v_and_b32_e32 v9, 0x80000000, v9
	v_or3_b32 v114, v10, v9, v11
	s_delay_alu instid0(VALU_DEP_1)
	v_mov_b64_e32 v[28:29], v[114:115]
.LBB212_1874:                           ;   in Loop: Header=BB212_1069 Depth=1
	s_or_b32 exec_lo, exec_lo, s14
.LBB212_1875:                           ;   in Loop: Header=BB212_1069 Depth=1
	s_delay_alu instid0(SALU_CYCLE_1)
	s_or_b32 exec_lo, exec_lo, s9
.LBB212_1876:                           ;   in Loop: Header=BB212_1069 Depth=1
	s_delay_alu instid0(SALU_CYCLE_1) | instskip(NEXT) | instid1(SALU_CYCLE_1)
	s_or_b32 exec_lo, exec_lo, s8
	s_mov_b32 s8, exec_lo
	v_cmpx_lt_u32_e32 0xffffff, v8
	s_cbranch_execz .LBB212_1884
; %bb.1877:                             ;   in Loop: Header=BB212_1069 Depth=1
	v_mov_b64_e32 v[26:27], 0x8000000000000000
	v_lshrrev_b32_e32 v9, 24, v8
	s_mov_b32 s9, exec_lo
	s_delay_alu instid0(VALU_DEP_1)
	v_cmpx_ne_u32_e32 0x80, v9
	s_cbranch_execz .LBB212_1883
; %bb.1878:                             ;   in Loop: Header=BB212_1069 Depth=1
	v_mov_b64_e32 v[26:27], 0x7f80000100000000
	v_bfe_u32 v11, v8, 24, 7
	s_mov_b32 s14, exec_lo
	s_delay_alu instid0(VALU_DEP_1)
	v_cmpx_ne_u32_e32 0x7f, v11
	s_cbranch_execz .LBB212_1882
; %bb.1879:                             ;   in Loop: Header=BB212_1069 Depth=1
	v_dual_lshrrev_b32 v8, 3, v11 :: v_dual_bitop2_b32 v114, 7, v9 bitop3:0x40
	s_mov_b32 s15, exec_lo
	v_cmpx_gt_u32_e32 8, v11
; %bb.1880:                             ;   in Loop: Header=BB212_1069 Depth=1
	s_delay_alu instid0(VALU_DEP_2) | instskip(NEXT) | instid1(VALU_DEP_1)
	v_clz_i32_u32_e32 v8, v114
	v_min_u32_e32 v8, 32, v8
	s_delay_alu instid0(VALU_DEP_1) | instskip(NEXT) | instid1(VALU_DEP_1)
	v_subrev_nc_u32_e32 v10, 28, v8
	v_lshlrev_b64_e32 v[10:11], v10, v[114:115]
	s_delay_alu instid0(VALU_DEP_1)
	v_dual_sub_nc_u32 v8, 29, v8 :: v_dual_bitop2_b32 v114, 7, v10 bitop3:0x40
; %bb.1881:                             ;   in Loop: Header=BB212_1069 Depth=1
	s_or_b32 exec_lo, exec_lo, s15
	s_delay_alu instid0(VALU_DEP_1) | instskip(NEXT) | instid1(VALU_DEP_2)
	v_dual_lshlrev_b32 v9, 24, v9 :: v_dual_lshlrev_b32 v10, 20, v114
	v_lshl_add_u32 v8, v8, 23, 0x3c000000
	v_mov_b32_e32 v26, v115
	s_delay_alu instid0(VALU_DEP_3) | instskip(NEXT) | instid1(VALU_DEP_1)
	v_and_b32_e32 v9, 0x80000000, v9
	v_or3_b32 v27, v10, v9, v8
.LBB212_1882:                           ;   in Loop: Header=BB212_1069 Depth=1
	s_or_b32 exec_lo, exec_lo, s14
.LBB212_1883:                           ;   in Loop: Header=BB212_1069 Depth=1
	s_delay_alu instid0(SALU_CYCLE_1)
	s_or_b32 exec_lo, exec_lo, s9
.LBB212_1884:                           ;   in Loop: Header=BB212_1069 Depth=1
	s_delay_alu instid0(SALU_CYCLE_1) | instskip(SKIP_4) | instid1(VALU_DEP_3)
	s_or_b32 exec_lo, exec_lo, s8
	v_or_b32_e32 v1, v1, v13
	v_or_b32_e32 v0, v0, v12
	;; [unrolled: 1-line block ×4, first 2 shown]
	v_pk_mul_f32 v[28:29], v[82:83], v[0:1]
	s_delay_alu instid0(VALU_DEP_2)
	v_pk_mul_f32 v[26:27], v[82:83], v[8:9]
	s_and_saveexec_b32 s8, vcc_lo
	s_cbranch_execz .LBB212_1886
; %bb.1885:                             ;   in Loop: Header=BB212_1069 Depth=1
	scratch_load_b64 v[0:1], off, s32 offset:200 ; 8-byte Folded Reload
	s_wait_loadcnt 0x0
	v_cmp_lt_i32_e64 s0, v119, v0
	s_delay_alu instid0(VALU_DEP_1) | instskip(SKIP_1) | instid1(VALU_DEP_1)
	v_cndmask_b32_e64 v28, 0, v28, s0
	v_cmp_lt_i32_e64 s0, v40, v0
	v_cndmask_b32_e64 v29, 0, v29, s0
	v_cmp_lt_i32_e64 s0, v113, v0
	s_delay_alu instid0(VALU_DEP_1) | instskip(SKIP_1) | instid1(VALU_DEP_1)
	v_cndmask_b32_e64 v26, 0, v26, s0
	v_cmp_lt_i32_e64 s0, v112, v0
	v_cndmask_b32_e64 v27, 0, v27, s0
.LBB212_1886:                           ;   in Loop: Header=BB212_1069 Depth=1
	s_wait_xcnt 0x0
	s_or_b32 exec_lo, exec_lo, s8
	flat_load_b32 v8, v[102:103] offset:3072
	v_mov_b64_e32 v[0:1], 0
	v_mov_b64_e32 v[12:13], 0
	s_mov_b32 s8, exec_lo
	s_wait_loadcnt_dscnt 0x0
	v_and_b32_e32 v9, 0xff, v8
	s_wait_xcnt 0x0
	s_delay_alu instid0(VALU_DEP_1)
	v_cmpx_ne_u16_e32 0, v9
	s_cbranch_execz .LBB212_1894
; %bb.1887:                             ;   in Loop: Header=BB212_1069 Depth=1
	v_mov_b64_e32 v[12:13], 0x80000000
	s_mov_b32 s9, exec_lo
	v_cmpx_ne_u16_e32 0x80, v9
	s_cbranch_execz .LBB212_1893
; %bb.1888:                             ;   in Loop: Header=BB212_1069 Depth=1
	v_mov_b64_e32 v[12:13], 0x7f800001
	v_and_b32_e32 v11, 0x7f, v8
	s_mov_b32 s14, exec_lo
	s_delay_alu instid0(VALU_DEP_1)
	v_cmpx_ne_u32_e32 0x7f, v11
	s_cbranch_execz .LBB212_1892
; %bb.1889:                             ;   in Loop: Header=BB212_1069 Depth=1
	v_dual_lshrrev_b32 v9, 3, v11 :: v_dual_bitop2_b32 v114, 7, v8 bitop3:0x40
	s_mov_b32 s15, exec_lo
	v_cmpx_gt_u32_e32 8, v11
; %bb.1890:                             ;   in Loop: Header=BB212_1069 Depth=1
	s_delay_alu instid0(VALU_DEP_2) | instskip(NEXT) | instid1(VALU_DEP_1)
	v_clz_i32_u32_e32 v9, v114
	v_min_u32_e32 v9, 32, v9
	s_delay_alu instid0(VALU_DEP_1) | instskip(NEXT) | instid1(VALU_DEP_1)
	v_subrev_nc_u32_e32 v10, 28, v9
	v_lshlrev_b64_e32 v[10:11], v10, v[114:115]
	s_delay_alu instid0(VALU_DEP_1)
	v_dual_sub_nc_u32 v9, 29, v9 :: v_dual_bitop2_b32 v114, 7, v10 bitop3:0x40
; %bb.1891:                             ;   in Loop: Header=BB212_1069 Depth=1
	s_or_b32 exec_lo, exec_lo, s15
	s_delay_alu instid0(VALU_DEP_1) | instskip(NEXT) | instid1(VALU_DEP_2)
	v_dual_lshlrev_b32 v10, 24, v8 :: v_dual_lshlrev_b32 v11, 20, v114
	v_lshl_add_u32 v9, v9, 23, 0x3c000000
	s_delay_alu instid0(VALU_DEP_2) | instskip(NEXT) | instid1(VALU_DEP_1)
	v_and_b32_e32 v10, 0x80000000, v10
	v_or3_b32 v114, v11, v10, v9
	s_delay_alu instid0(VALU_DEP_1)
	v_mov_b64_e32 v[12:13], v[114:115]
.LBB212_1892:                           ;   in Loop: Header=BB212_1069 Depth=1
	s_or_b32 exec_lo, exec_lo, s14
.LBB212_1893:                           ;   in Loop: Header=BB212_1069 Depth=1
	s_delay_alu instid0(SALU_CYCLE_1)
	s_or_b32 exec_lo, exec_lo, s9
.LBB212_1894:                           ;   in Loop: Header=BB212_1069 Depth=1
	s_delay_alu instid0(SALU_CYCLE_1) | instskip(SKIP_2) | instid1(VALU_DEP_1)
	s_or_b32 exec_lo, exec_lo, s8
	v_lshrrev_b16 v9, 8, v8
	s_mov_b32 s8, exec_lo
	v_cmpx_ne_u16_e32 0, v9
	s_cbranch_execz .LBB212_1902
; %bb.1895:                             ;   in Loop: Header=BB212_1069 Depth=1
	v_mov_b64_e32 v[0:1], 0x8000000000000000
	s_mov_b32 s9, exec_lo
	v_cmpx_ne_u16_e32 0x80, v9
	s_cbranch_execz .LBB212_1901
; %bb.1896:                             ;   in Loop: Header=BB212_1069 Depth=1
	v_and_b32_e32 v11, 0xffff, v9
	v_mov_b64_e32 v[0:1], 0x7f80000100000000
	s_mov_b32 s14, exec_lo
	s_delay_alu instid0(VALU_DEP_2) | instskip(NEXT) | instid1(VALU_DEP_1)
	v_and_b32_e32 v9, 0x7f, v11
	v_cmpx_ne_u32_e32 0x7f, v9
	s_cbranch_execz .LBB212_1900
; %bb.1897:                             ;   in Loop: Header=BB212_1069 Depth=1
	v_dual_lshrrev_b32 v0, 3, v9 :: v_dual_bitop2_b32 v114, 7, v11 bitop3:0x40
	s_mov_b32 s15, exec_lo
	v_cmpx_gt_u32_e32 8, v9
; %bb.1898:                             ;   in Loop: Header=BB212_1069 Depth=1
	s_delay_alu instid0(VALU_DEP_2) | instskip(NEXT) | instid1(VALU_DEP_1)
	v_clz_i32_u32_e32 v0, v114
	v_min_u32_e32 v0, 32, v0
	s_delay_alu instid0(VALU_DEP_1) | instskip(NEXT) | instid1(VALU_DEP_1)
	v_subrev_nc_u32_e32 v1, 28, v0
	v_lshlrev_b64_e32 v[10:11], v1, v[114:115]
	s_delay_alu instid0(VALU_DEP_1)
	v_dual_sub_nc_u32 v0, 29, v0 :: v_dual_bitop2_b32 v114, 7, v10 bitop3:0x40
; %bb.1899:                             ;   in Loop: Header=BB212_1069 Depth=1
	s_or_b32 exec_lo, exec_lo, s15
	s_delay_alu instid0(VALU_DEP_1) | instskip(NEXT) | instid1(VALU_DEP_2)
	v_dual_lshlrev_b32 v1, 16, v8 :: v_dual_lshlrev_b32 v9, 20, v114
	v_lshl_add_u32 v0, v0, 23, 0x3c000000
	s_delay_alu instid0(VALU_DEP_2) | instskip(NEXT) | instid1(VALU_DEP_1)
	v_and_b32_e32 v1, 0x80000000, v1
	v_or3_b32 v1, v9, v1, v0
	v_mov_b32_e32 v0, v115
.LBB212_1900:                           ;   in Loop: Header=BB212_1069 Depth=1
	s_or_b32 exec_lo, exec_lo, s14
.LBB212_1901:                           ;   in Loop: Header=BB212_1069 Depth=1
	s_delay_alu instid0(SALU_CYCLE_1)
	s_or_b32 exec_lo, exec_lo, s9
.LBB212_1902:                           ;   in Loop: Header=BB212_1069 Depth=1
	s_delay_alu instid0(SALU_CYCLE_1) | instskip(SKIP_4) | instid1(VALU_DEP_3)
	s_or_b32 exec_lo, exec_lo, s8
	v_lshrrev_b32_e32 v9, 16, v8
	v_mov_b64_e32 v[30:31], 0
	v_mov_b64_e32 v[32:33], 0
	s_mov_b32 s8, exec_lo
	v_and_b32_e32 v11, 0xff, v9
	s_delay_alu instid0(VALU_DEP_1)
	v_cmpx_ne_u16_e32 0, v11
	s_cbranch_execz .LBB212_1910
; %bb.1903:                             ;   in Loop: Header=BB212_1069 Depth=1
	v_mov_b64_e32 v[32:33], 0x80000000
	s_mov_b32 s9, exec_lo
	v_cmpx_ne_u16_e32 0x80, v11
	s_cbranch_execz .LBB212_1909
; %bb.1904:                             ;   in Loop: Header=BB212_1069 Depth=1
	v_mov_b64_e32 v[32:33], 0x7f800001
	v_bfe_u32 v11, v8, 16, 7
	s_mov_b32 s14, exec_lo
	s_delay_alu instid0(VALU_DEP_1)
	v_cmpx_ne_u32_e32 0x7f, v11
	s_cbranch_execz .LBB212_1908
; %bb.1905:                             ;   in Loop: Header=BB212_1069 Depth=1
	v_dual_lshrrev_b32 v32, 3, v11 :: v_dual_bitop2_b32 v114, 7, v9 bitop3:0x40
	s_mov_b32 s15, exec_lo
	v_cmpx_gt_u32_e32 8, v11
; %bb.1906:                             ;   in Loop: Header=BB212_1069 Depth=1
	s_delay_alu instid0(VALU_DEP_2) | instskip(NEXT) | instid1(VALU_DEP_1)
	v_clz_i32_u32_e32 v10, v114
	v_min_u32_e32 v32, 32, v10
	s_delay_alu instid0(VALU_DEP_1) | instskip(NEXT) | instid1(VALU_DEP_1)
	v_subrev_nc_u32_e32 v10, 28, v32
	v_lshlrev_b64_e32 v[10:11], v10, v[114:115]
	s_delay_alu instid0(VALU_DEP_1)
	v_dual_sub_nc_u32 v32, 29, v32 :: v_dual_bitop2_b32 v114, 7, v10 bitop3:0x40
; %bb.1907:                             ;   in Loop: Header=BB212_1069 Depth=1
	s_or_b32 exec_lo, exec_lo, s15
	s_delay_alu instid0(VALU_DEP_1) | instskip(NEXT) | instid1(VALU_DEP_2)
	v_dual_lshlrev_b32 v9, 24, v9 :: v_dual_lshlrev_b32 v10, 20, v114
	v_lshl_add_u32 v11, v32, 23, 0x3c000000
	s_delay_alu instid0(VALU_DEP_2) | instskip(NEXT) | instid1(VALU_DEP_1)
	v_and_b32_e32 v9, 0x80000000, v9
	v_or3_b32 v114, v10, v9, v11
	s_delay_alu instid0(VALU_DEP_1)
	v_mov_b64_e32 v[32:33], v[114:115]
.LBB212_1908:                           ;   in Loop: Header=BB212_1069 Depth=1
	s_or_b32 exec_lo, exec_lo, s14
.LBB212_1909:                           ;   in Loop: Header=BB212_1069 Depth=1
	s_delay_alu instid0(SALU_CYCLE_1)
	s_or_b32 exec_lo, exec_lo, s9
.LBB212_1910:                           ;   in Loop: Header=BB212_1069 Depth=1
	s_delay_alu instid0(SALU_CYCLE_1) | instskip(NEXT) | instid1(SALU_CYCLE_1)
	s_or_b32 exec_lo, exec_lo, s8
	s_mov_b32 s8, exec_lo
	v_cmpx_lt_u32_e32 0xffffff, v8
	s_cbranch_execz .LBB212_1918
; %bb.1911:                             ;   in Loop: Header=BB212_1069 Depth=1
	v_mov_b64_e32 v[30:31], 0x8000000000000000
	v_lshrrev_b32_e32 v9, 24, v8
	s_mov_b32 s9, exec_lo
	s_delay_alu instid0(VALU_DEP_1)
	v_cmpx_ne_u32_e32 0x80, v9
	s_cbranch_execz .LBB212_1917
; %bb.1912:                             ;   in Loop: Header=BB212_1069 Depth=1
	v_mov_b64_e32 v[30:31], 0x7f80000100000000
	v_bfe_u32 v11, v8, 24, 7
	s_mov_b32 s14, exec_lo
	s_delay_alu instid0(VALU_DEP_1)
	v_cmpx_ne_u32_e32 0x7f, v11
	s_cbranch_execz .LBB212_1916
; %bb.1913:                             ;   in Loop: Header=BB212_1069 Depth=1
	v_dual_lshrrev_b32 v8, 3, v11 :: v_dual_bitop2_b32 v114, 7, v9 bitop3:0x40
	s_mov_b32 s15, exec_lo
	v_cmpx_gt_u32_e32 8, v11
; %bb.1914:                             ;   in Loop: Header=BB212_1069 Depth=1
	s_delay_alu instid0(VALU_DEP_2) | instskip(NEXT) | instid1(VALU_DEP_1)
	v_clz_i32_u32_e32 v8, v114
	v_min_u32_e32 v8, 32, v8
	s_delay_alu instid0(VALU_DEP_1) | instskip(NEXT) | instid1(VALU_DEP_1)
	v_subrev_nc_u32_e32 v10, 28, v8
	v_lshlrev_b64_e32 v[10:11], v10, v[114:115]
	s_delay_alu instid0(VALU_DEP_1)
	v_dual_sub_nc_u32 v8, 29, v8 :: v_dual_bitop2_b32 v114, 7, v10 bitop3:0x40
; %bb.1915:                             ;   in Loop: Header=BB212_1069 Depth=1
	s_or_b32 exec_lo, exec_lo, s15
	s_delay_alu instid0(VALU_DEP_1) | instskip(NEXT) | instid1(VALU_DEP_2)
	v_dual_lshlrev_b32 v9, 24, v9 :: v_dual_lshlrev_b32 v10, 20, v114
	v_lshl_add_u32 v8, v8, 23, 0x3c000000
	v_mov_b32_e32 v30, v115
	s_delay_alu instid0(VALU_DEP_3) | instskip(NEXT) | instid1(VALU_DEP_1)
	v_and_b32_e32 v9, 0x80000000, v9
	v_or3_b32 v31, v10, v9, v8
.LBB212_1916:                           ;   in Loop: Header=BB212_1069 Depth=1
	s_or_b32 exec_lo, exec_lo, s14
.LBB212_1917:                           ;   in Loop: Header=BB212_1069 Depth=1
	s_delay_alu instid0(SALU_CYCLE_1)
	s_or_b32 exec_lo, exec_lo, s9
.LBB212_1918:                           ;   in Loop: Header=BB212_1069 Depth=1
	s_delay_alu instid0(SALU_CYCLE_1) | instskip(SKIP_4) | instid1(VALU_DEP_3)
	s_or_b32 exec_lo, exec_lo, s8
	v_or_b32_e32 v1, v1, v13
	v_or_b32_e32 v0, v0, v12
	;; [unrolled: 1-line block ×4, first 2 shown]
	v_pk_mul_f32 v[30:31], v[82:83], v[0:1]
	s_delay_alu instid0(VALU_DEP_2)
	v_pk_mul_f32 v[12:13], v[82:83], v[8:9]
	s_and_saveexec_b32 s8, vcc_lo
	s_cbranch_execz .LBB212_1920
; %bb.1919:                             ;   in Loop: Header=BB212_1069 Depth=1
	scratch_load_b64 v[0:1], off, s32 offset:200 ; 8-byte Folded Reload
	s_wait_loadcnt 0x0
	v_cmp_lt_i32_e64 s0, v119, v0
	s_delay_alu instid0(VALU_DEP_1) | instskip(SKIP_1) | instid1(VALU_DEP_1)
	v_cndmask_b32_e64 v30, 0, v30, s0
	v_cmp_lt_i32_e64 s0, v40, v0
	v_cndmask_b32_e64 v31, 0, v31, s0
	v_cmp_lt_i32_e64 s0, v113, v0
	s_delay_alu instid0(VALU_DEP_1) | instskip(SKIP_1) | instid1(VALU_DEP_1)
	v_cndmask_b32_e64 v12, 0, v12, s0
	v_cmp_lt_i32_e64 s0, v112, v0
	v_cndmask_b32_e64 v13, 0, v13, s0
.LBB212_1920:                           ;   in Loop: Header=BB212_1069 Depth=1
	s_wait_xcnt 0x0
	s_or_b32 exec_lo, exec_lo, s8
	flat_load_b32 v8, v[102:103] offset:3200
	v_mov_b64_e32 v[0:1], 0
	v_mov_b64_e32 v[32:33], 0
	s_mov_b32 s8, exec_lo
	s_wait_loadcnt_dscnt 0x0
	v_and_b32_e32 v9, 0xff, v8
	s_wait_xcnt 0x0
	s_delay_alu instid0(VALU_DEP_1)
	v_cmpx_ne_u16_e32 0, v9
	s_cbranch_execz .LBB212_1928
; %bb.1921:                             ;   in Loop: Header=BB212_1069 Depth=1
	v_mov_b64_e32 v[32:33], 0x80000000
	s_mov_b32 s9, exec_lo
	v_cmpx_ne_u16_e32 0x80, v9
	s_cbranch_execz .LBB212_1927
; %bb.1922:                             ;   in Loop: Header=BB212_1069 Depth=1
	v_mov_b64_e32 v[32:33], 0x7f800001
	v_and_b32_e32 v11, 0x7f, v8
	s_mov_b32 s14, exec_lo
	s_delay_alu instid0(VALU_DEP_1)
	v_cmpx_ne_u32_e32 0x7f, v11
	s_cbranch_execz .LBB212_1926
; %bb.1923:                             ;   in Loop: Header=BB212_1069 Depth=1
	v_dual_lshrrev_b32 v9, 3, v11 :: v_dual_bitop2_b32 v114, 7, v8 bitop3:0x40
	s_mov_b32 s15, exec_lo
	v_cmpx_gt_u32_e32 8, v11
; %bb.1924:                             ;   in Loop: Header=BB212_1069 Depth=1
	s_delay_alu instid0(VALU_DEP_2) | instskip(NEXT) | instid1(VALU_DEP_1)
	v_clz_i32_u32_e32 v9, v114
	v_min_u32_e32 v9, 32, v9
	s_delay_alu instid0(VALU_DEP_1) | instskip(NEXT) | instid1(VALU_DEP_1)
	v_subrev_nc_u32_e32 v10, 28, v9
	v_lshlrev_b64_e32 v[10:11], v10, v[114:115]
	s_delay_alu instid0(VALU_DEP_1)
	v_dual_sub_nc_u32 v9, 29, v9 :: v_dual_bitop2_b32 v114, 7, v10 bitop3:0x40
; %bb.1925:                             ;   in Loop: Header=BB212_1069 Depth=1
	s_or_b32 exec_lo, exec_lo, s15
	s_delay_alu instid0(VALU_DEP_1) | instskip(NEXT) | instid1(VALU_DEP_2)
	v_dual_lshlrev_b32 v10, 24, v8 :: v_dual_lshlrev_b32 v11, 20, v114
	v_lshl_add_u32 v9, v9, 23, 0x3c000000
	s_delay_alu instid0(VALU_DEP_2) | instskip(NEXT) | instid1(VALU_DEP_1)
	v_and_b32_e32 v10, 0x80000000, v10
	v_or3_b32 v114, v11, v10, v9
	s_delay_alu instid0(VALU_DEP_1)
	v_mov_b64_e32 v[32:33], v[114:115]
.LBB212_1926:                           ;   in Loop: Header=BB212_1069 Depth=1
	s_or_b32 exec_lo, exec_lo, s14
.LBB212_1927:                           ;   in Loop: Header=BB212_1069 Depth=1
	s_delay_alu instid0(SALU_CYCLE_1)
	s_or_b32 exec_lo, exec_lo, s9
.LBB212_1928:                           ;   in Loop: Header=BB212_1069 Depth=1
	s_delay_alu instid0(SALU_CYCLE_1) | instskip(SKIP_2) | instid1(VALU_DEP_1)
	s_or_b32 exec_lo, exec_lo, s8
	v_lshrrev_b16 v9, 8, v8
	s_mov_b32 s8, exec_lo
	v_cmpx_ne_u16_e32 0, v9
	s_cbranch_execz .LBB212_1936
; %bb.1929:                             ;   in Loop: Header=BB212_1069 Depth=1
	v_mov_b64_e32 v[0:1], 0x8000000000000000
	s_mov_b32 s9, exec_lo
	v_cmpx_ne_u16_e32 0x80, v9
	s_cbranch_execz .LBB212_1935
; %bb.1930:                             ;   in Loop: Header=BB212_1069 Depth=1
	v_and_b32_e32 v11, 0xffff, v9
	v_mov_b64_e32 v[0:1], 0x7f80000100000000
	s_mov_b32 s14, exec_lo
	s_delay_alu instid0(VALU_DEP_2) | instskip(NEXT) | instid1(VALU_DEP_1)
	v_and_b32_e32 v9, 0x7f, v11
	v_cmpx_ne_u32_e32 0x7f, v9
	s_cbranch_execz .LBB212_1934
; %bb.1931:                             ;   in Loop: Header=BB212_1069 Depth=1
	v_dual_lshrrev_b32 v0, 3, v9 :: v_dual_bitop2_b32 v114, 7, v11 bitop3:0x40
	s_mov_b32 s15, exec_lo
	v_cmpx_gt_u32_e32 8, v9
; %bb.1932:                             ;   in Loop: Header=BB212_1069 Depth=1
	s_delay_alu instid0(VALU_DEP_2) | instskip(NEXT) | instid1(VALU_DEP_1)
	v_clz_i32_u32_e32 v0, v114
	v_min_u32_e32 v0, 32, v0
	s_delay_alu instid0(VALU_DEP_1) | instskip(NEXT) | instid1(VALU_DEP_1)
	v_subrev_nc_u32_e32 v1, 28, v0
	v_lshlrev_b64_e32 v[10:11], v1, v[114:115]
	s_delay_alu instid0(VALU_DEP_1)
	v_dual_sub_nc_u32 v0, 29, v0 :: v_dual_bitop2_b32 v114, 7, v10 bitop3:0x40
; %bb.1933:                             ;   in Loop: Header=BB212_1069 Depth=1
	s_or_b32 exec_lo, exec_lo, s15
	s_delay_alu instid0(VALU_DEP_1) | instskip(NEXT) | instid1(VALU_DEP_2)
	v_dual_lshlrev_b32 v1, 16, v8 :: v_dual_lshlrev_b32 v9, 20, v114
	v_lshl_add_u32 v0, v0, 23, 0x3c000000
	s_delay_alu instid0(VALU_DEP_2) | instskip(NEXT) | instid1(VALU_DEP_1)
	v_and_b32_e32 v1, 0x80000000, v1
	v_or3_b32 v1, v9, v1, v0
	v_mov_b32_e32 v0, v115
.LBB212_1934:                           ;   in Loop: Header=BB212_1069 Depth=1
	s_or_b32 exec_lo, exec_lo, s14
.LBB212_1935:                           ;   in Loop: Header=BB212_1069 Depth=1
	s_delay_alu instid0(SALU_CYCLE_1)
	s_or_b32 exec_lo, exec_lo, s9
.LBB212_1936:                           ;   in Loop: Header=BB212_1069 Depth=1
	s_delay_alu instid0(SALU_CYCLE_1) | instskip(SKIP_4) | instid1(VALU_DEP_3)
	s_or_b32 exec_lo, exec_lo, s8
	v_lshrrev_b32_e32 v9, 16, v8
	v_mov_b64_e32 v[34:35], 0
	v_mov_b64_e32 v[36:37], 0
	s_mov_b32 s8, exec_lo
	v_and_b32_e32 v11, 0xff, v9
	s_delay_alu instid0(VALU_DEP_1)
	v_cmpx_ne_u16_e32 0, v11
	s_cbranch_execz .LBB212_1944
; %bb.1937:                             ;   in Loop: Header=BB212_1069 Depth=1
	v_mov_b64_e32 v[36:37], 0x80000000
	s_mov_b32 s9, exec_lo
	v_cmpx_ne_u16_e32 0x80, v11
	s_cbranch_execz .LBB212_1943
; %bb.1938:                             ;   in Loop: Header=BB212_1069 Depth=1
	v_mov_b64_e32 v[36:37], 0x7f800001
	v_bfe_u32 v11, v8, 16, 7
	s_mov_b32 s14, exec_lo
	s_delay_alu instid0(VALU_DEP_1)
	v_cmpx_ne_u32_e32 0x7f, v11
	s_cbranch_execz .LBB212_1942
; %bb.1939:                             ;   in Loop: Header=BB212_1069 Depth=1
	v_dual_lshrrev_b32 v36, 3, v11 :: v_dual_bitop2_b32 v114, 7, v9 bitop3:0x40
	s_mov_b32 s15, exec_lo
	v_cmpx_gt_u32_e32 8, v11
; %bb.1940:                             ;   in Loop: Header=BB212_1069 Depth=1
	s_delay_alu instid0(VALU_DEP_2) | instskip(NEXT) | instid1(VALU_DEP_1)
	v_clz_i32_u32_e32 v10, v114
	v_min_u32_e32 v36, 32, v10
	s_delay_alu instid0(VALU_DEP_1) | instskip(NEXT) | instid1(VALU_DEP_1)
	v_subrev_nc_u32_e32 v10, 28, v36
	v_lshlrev_b64_e32 v[10:11], v10, v[114:115]
	s_delay_alu instid0(VALU_DEP_1)
	v_dual_sub_nc_u32 v36, 29, v36 :: v_dual_bitop2_b32 v114, 7, v10 bitop3:0x40
; %bb.1941:                             ;   in Loop: Header=BB212_1069 Depth=1
	s_or_b32 exec_lo, exec_lo, s15
	s_delay_alu instid0(VALU_DEP_1) | instskip(NEXT) | instid1(VALU_DEP_2)
	v_dual_lshlrev_b32 v9, 24, v9 :: v_dual_lshlrev_b32 v10, 20, v114
	v_lshl_add_u32 v11, v36, 23, 0x3c000000
	s_delay_alu instid0(VALU_DEP_2) | instskip(NEXT) | instid1(VALU_DEP_1)
	v_and_b32_e32 v9, 0x80000000, v9
	v_or3_b32 v114, v10, v9, v11
	s_delay_alu instid0(VALU_DEP_1)
	v_mov_b64_e32 v[36:37], v[114:115]
.LBB212_1942:                           ;   in Loop: Header=BB212_1069 Depth=1
	s_or_b32 exec_lo, exec_lo, s14
.LBB212_1943:                           ;   in Loop: Header=BB212_1069 Depth=1
	s_delay_alu instid0(SALU_CYCLE_1)
	s_or_b32 exec_lo, exec_lo, s9
.LBB212_1944:                           ;   in Loop: Header=BB212_1069 Depth=1
	s_delay_alu instid0(SALU_CYCLE_1) | instskip(NEXT) | instid1(SALU_CYCLE_1)
	s_or_b32 exec_lo, exec_lo, s8
	s_mov_b32 s8, exec_lo
	v_cmpx_lt_u32_e32 0xffffff, v8
	s_cbranch_execz .LBB212_1952
; %bb.1945:                             ;   in Loop: Header=BB212_1069 Depth=1
	v_mov_b64_e32 v[34:35], 0x8000000000000000
	v_lshrrev_b32_e32 v9, 24, v8
	s_mov_b32 s9, exec_lo
	s_delay_alu instid0(VALU_DEP_1)
	v_cmpx_ne_u32_e32 0x80, v9
	s_cbranch_execz .LBB212_1951
; %bb.1946:                             ;   in Loop: Header=BB212_1069 Depth=1
	v_mov_b64_e32 v[34:35], 0x7f80000100000000
	v_bfe_u32 v11, v8, 24, 7
	s_mov_b32 s14, exec_lo
	s_delay_alu instid0(VALU_DEP_1)
	v_cmpx_ne_u32_e32 0x7f, v11
	s_cbranch_execz .LBB212_1950
; %bb.1947:                             ;   in Loop: Header=BB212_1069 Depth=1
	v_dual_lshrrev_b32 v8, 3, v11 :: v_dual_bitop2_b32 v114, 7, v9 bitop3:0x40
	s_mov_b32 s15, exec_lo
	v_cmpx_gt_u32_e32 8, v11
; %bb.1948:                             ;   in Loop: Header=BB212_1069 Depth=1
	s_delay_alu instid0(VALU_DEP_2) | instskip(NEXT) | instid1(VALU_DEP_1)
	v_clz_i32_u32_e32 v8, v114
	v_min_u32_e32 v8, 32, v8
	s_delay_alu instid0(VALU_DEP_1) | instskip(NEXT) | instid1(VALU_DEP_1)
	v_subrev_nc_u32_e32 v10, 28, v8
	v_lshlrev_b64_e32 v[10:11], v10, v[114:115]
	s_delay_alu instid0(VALU_DEP_1)
	v_dual_sub_nc_u32 v8, 29, v8 :: v_dual_bitop2_b32 v114, 7, v10 bitop3:0x40
; %bb.1949:                             ;   in Loop: Header=BB212_1069 Depth=1
	s_or_b32 exec_lo, exec_lo, s15
	s_delay_alu instid0(VALU_DEP_1) | instskip(NEXT) | instid1(VALU_DEP_2)
	v_dual_lshlrev_b32 v9, 24, v9 :: v_dual_lshlrev_b32 v10, 20, v114
	v_lshl_add_u32 v8, v8, 23, 0x3c000000
	v_mov_b32_e32 v34, v115
	s_delay_alu instid0(VALU_DEP_3) | instskip(NEXT) | instid1(VALU_DEP_1)
	v_and_b32_e32 v9, 0x80000000, v9
	v_or3_b32 v35, v10, v9, v8
.LBB212_1950:                           ;   in Loop: Header=BB212_1069 Depth=1
	s_or_b32 exec_lo, exec_lo, s14
.LBB212_1951:                           ;   in Loop: Header=BB212_1069 Depth=1
	s_delay_alu instid0(SALU_CYCLE_1)
	s_or_b32 exec_lo, exec_lo, s9
.LBB212_1952:                           ;   in Loop: Header=BB212_1069 Depth=1
	s_delay_alu instid0(SALU_CYCLE_1) | instskip(SKIP_4) | instid1(VALU_DEP_3)
	s_or_b32 exec_lo, exec_lo, s8
	v_or_b32_e32 v1, v1, v33
	v_or_b32_e32 v0, v0, v32
	;; [unrolled: 1-line block ×4, first 2 shown]
	v_pk_mul_f32 v[34:35], v[82:83], v[0:1]
	s_delay_alu instid0(VALU_DEP_2)
	v_pk_mul_f32 v[32:33], v[82:83], v[8:9]
	s_and_saveexec_b32 s8, vcc_lo
	s_cbranch_execz .LBB212_1954
; %bb.1953:                             ;   in Loop: Header=BB212_1069 Depth=1
	scratch_load_b64 v[0:1], off, s32 offset:200 ; 8-byte Folded Reload
	s_wait_loadcnt 0x0
	v_cmp_lt_i32_e64 s0, v119, v0
	s_delay_alu instid0(VALU_DEP_1) | instskip(SKIP_1) | instid1(VALU_DEP_1)
	v_cndmask_b32_e64 v34, 0, v34, s0
	v_cmp_lt_i32_e64 s0, v40, v0
	v_cndmask_b32_e64 v35, 0, v35, s0
	v_cmp_lt_i32_e64 s0, v113, v0
	s_delay_alu instid0(VALU_DEP_1) | instskip(SKIP_1) | instid1(VALU_DEP_1)
	v_cndmask_b32_e64 v32, 0, v32, s0
	v_cmp_lt_i32_e64 s0, v112, v0
	v_cndmask_b32_e64 v33, 0, v33, s0
.LBB212_1954:                           ;   in Loop: Header=BB212_1069 Depth=1
	s_wait_xcnt 0x0
	s_or_b32 exec_lo, exec_lo, s8
	flat_load_b32 v8, v[102:103] offset:3328
	v_mov_b64_e32 v[0:1], 0
	v_mov_b64_e32 v[36:37], 0
	s_mov_b32 s8, exec_lo
	s_wait_loadcnt_dscnt 0x0
	v_and_b32_e32 v9, 0xff, v8
	s_wait_xcnt 0x0
	s_delay_alu instid0(VALU_DEP_1)
	v_cmpx_ne_u16_e32 0, v9
	s_cbranch_execz .LBB212_1962
; %bb.1955:                             ;   in Loop: Header=BB212_1069 Depth=1
	v_mov_b64_e32 v[36:37], 0x80000000
	s_mov_b32 s9, exec_lo
	v_cmpx_ne_u16_e32 0x80, v9
	s_cbranch_execz .LBB212_1961
; %bb.1956:                             ;   in Loop: Header=BB212_1069 Depth=1
	v_mov_b64_e32 v[36:37], 0x7f800001
	v_and_b32_e32 v11, 0x7f, v8
	s_mov_b32 s14, exec_lo
	s_delay_alu instid0(VALU_DEP_1)
	v_cmpx_ne_u32_e32 0x7f, v11
	s_cbranch_execz .LBB212_1960
; %bb.1957:                             ;   in Loop: Header=BB212_1069 Depth=1
	v_dual_lshrrev_b32 v9, 3, v11 :: v_dual_bitop2_b32 v114, 7, v8 bitop3:0x40
	s_mov_b32 s15, exec_lo
	v_cmpx_gt_u32_e32 8, v11
; %bb.1958:                             ;   in Loop: Header=BB212_1069 Depth=1
	s_delay_alu instid0(VALU_DEP_2) | instskip(NEXT) | instid1(VALU_DEP_1)
	v_clz_i32_u32_e32 v9, v114
	v_min_u32_e32 v9, 32, v9
	s_delay_alu instid0(VALU_DEP_1) | instskip(NEXT) | instid1(VALU_DEP_1)
	v_subrev_nc_u32_e32 v10, 28, v9
	v_lshlrev_b64_e32 v[10:11], v10, v[114:115]
	s_delay_alu instid0(VALU_DEP_1)
	v_dual_sub_nc_u32 v9, 29, v9 :: v_dual_bitop2_b32 v114, 7, v10 bitop3:0x40
; %bb.1959:                             ;   in Loop: Header=BB212_1069 Depth=1
	s_or_b32 exec_lo, exec_lo, s15
	s_delay_alu instid0(VALU_DEP_1) | instskip(NEXT) | instid1(VALU_DEP_2)
	v_dual_lshlrev_b32 v10, 24, v8 :: v_dual_lshlrev_b32 v11, 20, v114
	v_lshl_add_u32 v9, v9, 23, 0x3c000000
	s_delay_alu instid0(VALU_DEP_2) | instskip(NEXT) | instid1(VALU_DEP_1)
	v_and_b32_e32 v10, 0x80000000, v10
	v_or3_b32 v114, v11, v10, v9
	s_delay_alu instid0(VALU_DEP_1)
	v_mov_b64_e32 v[36:37], v[114:115]
.LBB212_1960:                           ;   in Loop: Header=BB212_1069 Depth=1
	s_or_b32 exec_lo, exec_lo, s14
.LBB212_1961:                           ;   in Loop: Header=BB212_1069 Depth=1
	s_delay_alu instid0(SALU_CYCLE_1)
	s_or_b32 exec_lo, exec_lo, s9
.LBB212_1962:                           ;   in Loop: Header=BB212_1069 Depth=1
	s_delay_alu instid0(SALU_CYCLE_1) | instskip(SKIP_2) | instid1(VALU_DEP_1)
	s_or_b32 exec_lo, exec_lo, s8
	v_lshrrev_b16 v9, 8, v8
	s_mov_b32 s8, exec_lo
	v_cmpx_ne_u16_e32 0, v9
	s_cbranch_execz .LBB212_1970
; %bb.1963:                             ;   in Loop: Header=BB212_1069 Depth=1
	v_mov_b64_e32 v[0:1], 0x8000000000000000
	s_mov_b32 s9, exec_lo
	v_cmpx_ne_u16_e32 0x80, v9
	s_cbranch_execz .LBB212_1969
; %bb.1964:                             ;   in Loop: Header=BB212_1069 Depth=1
	v_and_b32_e32 v11, 0xffff, v9
	v_mov_b64_e32 v[0:1], 0x7f80000100000000
	s_mov_b32 s14, exec_lo
	s_delay_alu instid0(VALU_DEP_2) | instskip(NEXT) | instid1(VALU_DEP_1)
	v_and_b32_e32 v9, 0x7f, v11
	v_cmpx_ne_u32_e32 0x7f, v9
	s_cbranch_execz .LBB212_1968
; %bb.1965:                             ;   in Loop: Header=BB212_1069 Depth=1
	v_dual_lshrrev_b32 v0, 3, v9 :: v_dual_bitop2_b32 v114, 7, v11 bitop3:0x40
	s_mov_b32 s15, exec_lo
	v_cmpx_gt_u32_e32 8, v9
; %bb.1966:                             ;   in Loop: Header=BB212_1069 Depth=1
	s_delay_alu instid0(VALU_DEP_2) | instskip(NEXT) | instid1(VALU_DEP_1)
	v_clz_i32_u32_e32 v0, v114
	v_min_u32_e32 v0, 32, v0
	s_delay_alu instid0(VALU_DEP_1) | instskip(NEXT) | instid1(VALU_DEP_1)
	v_subrev_nc_u32_e32 v1, 28, v0
	v_lshlrev_b64_e32 v[10:11], v1, v[114:115]
	s_delay_alu instid0(VALU_DEP_1)
	v_dual_sub_nc_u32 v0, 29, v0 :: v_dual_bitop2_b32 v114, 7, v10 bitop3:0x40
; %bb.1967:                             ;   in Loop: Header=BB212_1069 Depth=1
	s_or_b32 exec_lo, exec_lo, s15
	s_delay_alu instid0(VALU_DEP_1) | instskip(NEXT) | instid1(VALU_DEP_2)
	v_dual_lshlrev_b32 v1, 16, v8 :: v_dual_lshlrev_b32 v9, 20, v114
	v_lshl_add_u32 v0, v0, 23, 0x3c000000
	s_delay_alu instid0(VALU_DEP_2) | instskip(NEXT) | instid1(VALU_DEP_1)
	v_and_b32_e32 v1, 0x80000000, v1
	v_or3_b32 v1, v9, v1, v0
	v_mov_b32_e32 v0, v115
.LBB212_1968:                           ;   in Loop: Header=BB212_1069 Depth=1
	s_or_b32 exec_lo, exec_lo, s14
.LBB212_1969:                           ;   in Loop: Header=BB212_1069 Depth=1
	s_delay_alu instid0(SALU_CYCLE_1)
	s_or_b32 exec_lo, exec_lo, s9
.LBB212_1970:                           ;   in Loop: Header=BB212_1069 Depth=1
	s_delay_alu instid0(SALU_CYCLE_1) | instskip(SKIP_4) | instid1(VALU_DEP_3)
	s_or_b32 exec_lo, exec_lo, s8
	v_lshrrev_b32_e32 v9, 16, v8
	v_mov_b64_e32 v[38:39], 0
	v_mov_b64_e32 v[48:49], 0
	s_mov_b32 s8, exec_lo
	v_and_b32_e32 v11, 0xff, v9
	s_delay_alu instid0(VALU_DEP_1)
	v_cmpx_ne_u16_e32 0, v11
	s_cbranch_execz .LBB212_1978
; %bb.1971:                             ;   in Loop: Header=BB212_1069 Depth=1
	v_mov_b64_e32 v[48:49], 0x80000000
	s_mov_b32 s9, exec_lo
	v_cmpx_ne_u16_e32 0x80, v11
	s_cbranch_execz .LBB212_1977
; %bb.1972:                             ;   in Loop: Header=BB212_1069 Depth=1
	v_mov_b64_e32 v[48:49], 0x7f800001
	v_bfe_u32 v11, v8, 16, 7
	s_mov_b32 s14, exec_lo
	s_delay_alu instid0(VALU_DEP_1)
	v_cmpx_ne_u32_e32 0x7f, v11
	s_cbranch_execz .LBB212_1976
; %bb.1973:                             ;   in Loop: Header=BB212_1069 Depth=1
	v_dual_lshrrev_b32 v48, 3, v11 :: v_dual_bitop2_b32 v114, 7, v9 bitop3:0x40
	s_mov_b32 s15, exec_lo
	v_cmpx_gt_u32_e32 8, v11
; %bb.1974:                             ;   in Loop: Header=BB212_1069 Depth=1
	s_delay_alu instid0(VALU_DEP_2) | instskip(NEXT) | instid1(VALU_DEP_1)
	v_clz_i32_u32_e32 v10, v114
	v_min_u32_e32 v48, 32, v10
	s_delay_alu instid0(VALU_DEP_1) | instskip(NEXT) | instid1(VALU_DEP_1)
	v_subrev_nc_u32_e32 v10, 28, v48
	v_lshlrev_b64_e32 v[10:11], v10, v[114:115]
	s_delay_alu instid0(VALU_DEP_1)
	v_dual_sub_nc_u32 v48, 29, v48 :: v_dual_bitop2_b32 v114, 7, v10 bitop3:0x40
; %bb.1975:                             ;   in Loop: Header=BB212_1069 Depth=1
	s_or_b32 exec_lo, exec_lo, s15
	s_delay_alu instid0(VALU_DEP_1) | instskip(NEXT) | instid1(VALU_DEP_2)
	v_dual_lshlrev_b32 v9, 24, v9 :: v_dual_lshlrev_b32 v10, 20, v114
	v_lshl_add_u32 v11, v48, 23, 0x3c000000
	s_delay_alu instid0(VALU_DEP_2) | instskip(NEXT) | instid1(VALU_DEP_1)
	v_and_b32_e32 v9, 0x80000000, v9
	v_or3_b32 v114, v10, v9, v11
	s_delay_alu instid0(VALU_DEP_1)
	v_mov_b64_e32 v[48:49], v[114:115]
.LBB212_1976:                           ;   in Loop: Header=BB212_1069 Depth=1
	s_or_b32 exec_lo, exec_lo, s14
.LBB212_1977:                           ;   in Loop: Header=BB212_1069 Depth=1
	s_delay_alu instid0(SALU_CYCLE_1)
	s_or_b32 exec_lo, exec_lo, s9
.LBB212_1978:                           ;   in Loop: Header=BB212_1069 Depth=1
	s_delay_alu instid0(SALU_CYCLE_1) | instskip(NEXT) | instid1(SALU_CYCLE_1)
	s_or_b32 exec_lo, exec_lo, s8
	s_mov_b32 s8, exec_lo
	v_cmpx_lt_u32_e32 0xffffff, v8
	s_cbranch_execz .LBB212_1986
; %bb.1979:                             ;   in Loop: Header=BB212_1069 Depth=1
	v_mov_b64_e32 v[38:39], 0x8000000000000000
	v_lshrrev_b32_e32 v9, 24, v8
	s_mov_b32 s9, exec_lo
	s_delay_alu instid0(VALU_DEP_1)
	v_cmpx_ne_u32_e32 0x80, v9
	s_cbranch_execz .LBB212_1985
; %bb.1980:                             ;   in Loop: Header=BB212_1069 Depth=1
	v_mov_b64_e32 v[38:39], 0x7f80000100000000
	v_bfe_u32 v11, v8, 24, 7
	s_mov_b32 s14, exec_lo
	s_delay_alu instid0(VALU_DEP_1)
	v_cmpx_ne_u32_e32 0x7f, v11
	s_cbranch_execz .LBB212_1984
; %bb.1981:                             ;   in Loop: Header=BB212_1069 Depth=1
	v_dual_lshrrev_b32 v8, 3, v11 :: v_dual_bitop2_b32 v114, 7, v9 bitop3:0x40
	s_mov_b32 s15, exec_lo
	v_cmpx_gt_u32_e32 8, v11
; %bb.1982:                             ;   in Loop: Header=BB212_1069 Depth=1
	s_delay_alu instid0(VALU_DEP_2) | instskip(NEXT) | instid1(VALU_DEP_1)
	v_clz_i32_u32_e32 v8, v114
	v_min_u32_e32 v8, 32, v8
	s_delay_alu instid0(VALU_DEP_1) | instskip(NEXT) | instid1(VALU_DEP_1)
	v_subrev_nc_u32_e32 v10, 28, v8
	v_lshlrev_b64_e32 v[10:11], v10, v[114:115]
	s_delay_alu instid0(VALU_DEP_1)
	v_dual_sub_nc_u32 v8, 29, v8 :: v_dual_bitop2_b32 v114, 7, v10 bitop3:0x40
; %bb.1983:                             ;   in Loop: Header=BB212_1069 Depth=1
	s_or_b32 exec_lo, exec_lo, s15
	s_delay_alu instid0(VALU_DEP_1) | instskip(NEXT) | instid1(VALU_DEP_2)
	v_dual_lshlrev_b32 v9, 24, v9 :: v_dual_lshlrev_b32 v10, 20, v114
	v_lshl_add_u32 v8, v8, 23, 0x3c000000
	v_mov_b32_e32 v38, v115
	s_delay_alu instid0(VALU_DEP_3) | instskip(NEXT) | instid1(VALU_DEP_1)
	v_and_b32_e32 v9, 0x80000000, v9
	v_or3_b32 v39, v10, v9, v8
.LBB212_1984:                           ;   in Loop: Header=BB212_1069 Depth=1
	s_or_b32 exec_lo, exec_lo, s14
.LBB212_1985:                           ;   in Loop: Header=BB212_1069 Depth=1
	s_delay_alu instid0(SALU_CYCLE_1)
	s_or_b32 exec_lo, exec_lo, s9
.LBB212_1986:                           ;   in Loop: Header=BB212_1069 Depth=1
	s_delay_alu instid0(SALU_CYCLE_1) | instskip(SKIP_4) | instid1(VALU_DEP_3)
	s_or_b32 exec_lo, exec_lo, s8
	v_or_b32_e32 v1, v1, v37
	v_or_b32_e32 v0, v0, v36
	;; [unrolled: 1-line block ×4, first 2 shown]
	v_pk_mul_f32 v[38:39], v[82:83], v[0:1]
	s_delay_alu instid0(VALU_DEP_2)
	v_pk_mul_f32 v[36:37], v[82:83], v[8:9]
	s_and_saveexec_b32 s8, vcc_lo
	s_cbranch_execz .LBB212_1988
; %bb.1987:                             ;   in Loop: Header=BB212_1069 Depth=1
	scratch_load_b64 v[0:1], off, s32 offset:200 ; 8-byte Folded Reload
	s_wait_loadcnt 0x0
	v_cmp_lt_i32_e64 s0, v119, v0
	s_delay_alu instid0(VALU_DEP_1) | instskip(SKIP_1) | instid1(VALU_DEP_1)
	v_cndmask_b32_e64 v38, 0, v38, s0
	v_cmp_lt_i32_e64 s0, v40, v0
	v_cndmask_b32_e64 v39, 0, v39, s0
	v_cmp_lt_i32_e64 s0, v113, v0
	s_delay_alu instid0(VALU_DEP_1) | instskip(SKIP_1) | instid1(VALU_DEP_1)
	v_cndmask_b32_e64 v36, 0, v36, s0
	v_cmp_lt_i32_e64 s0, v112, v0
	v_cndmask_b32_e64 v37, 0, v37, s0
.LBB212_1988:                           ;   in Loop: Header=BB212_1069 Depth=1
	s_wait_xcnt 0x0
	s_or_b32 exec_lo, exec_lo, s8
	flat_load_b32 v8, v[102:103] offset:3456
	v_mov_b64_e32 v[0:1], 0
	v_mov_b64_e32 v[48:49], 0
	s_mov_b32 s8, exec_lo
	s_wait_loadcnt_dscnt 0x0
	v_and_b32_e32 v9, 0xff, v8
	s_wait_xcnt 0x0
	s_delay_alu instid0(VALU_DEP_1)
	v_cmpx_ne_u16_e32 0, v9
	s_cbranch_execz .LBB212_1996
; %bb.1989:                             ;   in Loop: Header=BB212_1069 Depth=1
	v_mov_b64_e32 v[48:49], 0x80000000
	s_mov_b32 s9, exec_lo
	v_cmpx_ne_u16_e32 0x80, v9
	s_cbranch_execz .LBB212_1995
; %bb.1990:                             ;   in Loop: Header=BB212_1069 Depth=1
	v_mov_b64_e32 v[48:49], 0x7f800001
	v_and_b32_e32 v11, 0x7f, v8
	s_mov_b32 s14, exec_lo
	s_delay_alu instid0(VALU_DEP_1)
	v_cmpx_ne_u32_e32 0x7f, v11
	s_cbranch_execz .LBB212_1994
; %bb.1991:                             ;   in Loop: Header=BB212_1069 Depth=1
	v_dual_lshrrev_b32 v9, 3, v11 :: v_dual_bitop2_b32 v114, 7, v8 bitop3:0x40
	s_mov_b32 s15, exec_lo
	v_cmpx_gt_u32_e32 8, v11
; %bb.1992:                             ;   in Loop: Header=BB212_1069 Depth=1
	s_delay_alu instid0(VALU_DEP_2) | instskip(NEXT) | instid1(VALU_DEP_1)
	v_clz_i32_u32_e32 v9, v114
	v_min_u32_e32 v9, 32, v9
	s_delay_alu instid0(VALU_DEP_1) | instskip(NEXT) | instid1(VALU_DEP_1)
	v_subrev_nc_u32_e32 v10, 28, v9
	v_lshlrev_b64_e32 v[10:11], v10, v[114:115]
	s_delay_alu instid0(VALU_DEP_1)
	v_dual_sub_nc_u32 v9, 29, v9 :: v_dual_bitop2_b32 v114, 7, v10 bitop3:0x40
; %bb.1993:                             ;   in Loop: Header=BB212_1069 Depth=1
	s_or_b32 exec_lo, exec_lo, s15
	s_delay_alu instid0(VALU_DEP_1) | instskip(NEXT) | instid1(VALU_DEP_2)
	v_dual_lshlrev_b32 v10, 24, v8 :: v_dual_lshlrev_b32 v11, 20, v114
	v_lshl_add_u32 v9, v9, 23, 0x3c000000
	s_delay_alu instid0(VALU_DEP_2) | instskip(NEXT) | instid1(VALU_DEP_1)
	v_and_b32_e32 v10, 0x80000000, v10
	v_or3_b32 v114, v11, v10, v9
	s_delay_alu instid0(VALU_DEP_1)
	v_mov_b64_e32 v[48:49], v[114:115]
.LBB212_1994:                           ;   in Loop: Header=BB212_1069 Depth=1
	s_or_b32 exec_lo, exec_lo, s14
.LBB212_1995:                           ;   in Loop: Header=BB212_1069 Depth=1
	s_delay_alu instid0(SALU_CYCLE_1)
	s_or_b32 exec_lo, exec_lo, s9
.LBB212_1996:                           ;   in Loop: Header=BB212_1069 Depth=1
	s_delay_alu instid0(SALU_CYCLE_1) | instskip(SKIP_2) | instid1(VALU_DEP_1)
	s_or_b32 exec_lo, exec_lo, s8
	v_lshrrev_b16 v9, 8, v8
	s_mov_b32 s8, exec_lo
	v_cmpx_ne_u16_e32 0, v9
	s_cbranch_execz .LBB212_2004
; %bb.1997:                             ;   in Loop: Header=BB212_1069 Depth=1
	v_mov_b64_e32 v[0:1], 0x8000000000000000
	s_mov_b32 s9, exec_lo
	v_cmpx_ne_u16_e32 0x80, v9
	s_cbranch_execz .LBB212_2003
; %bb.1998:                             ;   in Loop: Header=BB212_1069 Depth=1
	v_and_b32_e32 v11, 0xffff, v9
	v_mov_b64_e32 v[0:1], 0x7f80000100000000
	s_mov_b32 s14, exec_lo
	s_delay_alu instid0(VALU_DEP_2) | instskip(NEXT) | instid1(VALU_DEP_1)
	v_and_b32_e32 v9, 0x7f, v11
	v_cmpx_ne_u32_e32 0x7f, v9
	s_cbranch_execz .LBB212_2002
; %bb.1999:                             ;   in Loop: Header=BB212_1069 Depth=1
	v_dual_lshrrev_b32 v0, 3, v9 :: v_dual_bitop2_b32 v114, 7, v11 bitop3:0x40
	s_mov_b32 s15, exec_lo
	v_cmpx_gt_u32_e32 8, v9
; %bb.2000:                             ;   in Loop: Header=BB212_1069 Depth=1
	s_delay_alu instid0(VALU_DEP_2) | instskip(NEXT) | instid1(VALU_DEP_1)
	v_clz_i32_u32_e32 v0, v114
	v_min_u32_e32 v0, 32, v0
	s_delay_alu instid0(VALU_DEP_1) | instskip(NEXT) | instid1(VALU_DEP_1)
	v_subrev_nc_u32_e32 v1, 28, v0
	v_lshlrev_b64_e32 v[10:11], v1, v[114:115]
	s_delay_alu instid0(VALU_DEP_1)
	v_dual_sub_nc_u32 v0, 29, v0 :: v_dual_bitop2_b32 v114, 7, v10 bitop3:0x40
; %bb.2001:                             ;   in Loop: Header=BB212_1069 Depth=1
	s_or_b32 exec_lo, exec_lo, s15
	s_delay_alu instid0(VALU_DEP_1) | instskip(NEXT) | instid1(VALU_DEP_2)
	v_dual_lshlrev_b32 v1, 16, v8 :: v_dual_lshlrev_b32 v9, 20, v114
	v_lshl_add_u32 v0, v0, 23, 0x3c000000
	s_delay_alu instid0(VALU_DEP_2) | instskip(NEXT) | instid1(VALU_DEP_1)
	v_and_b32_e32 v1, 0x80000000, v1
	v_or3_b32 v1, v9, v1, v0
	v_mov_b32_e32 v0, v115
.LBB212_2002:                           ;   in Loop: Header=BB212_1069 Depth=1
	s_or_b32 exec_lo, exec_lo, s14
.LBB212_2003:                           ;   in Loop: Header=BB212_1069 Depth=1
	s_delay_alu instid0(SALU_CYCLE_1)
	s_or_b32 exec_lo, exec_lo, s9
.LBB212_2004:                           ;   in Loop: Header=BB212_1069 Depth=1
	s_delay_alu instid0(SALU_CYCLE_1) | instskip(SKIP_4) | instid1(VALU_DEP_3)
	s_or_b32 exec_lo, exec_lo, s8
	v_lshrrev_b32_e32 v9, 16, v8
	v_mov_b64_e32 v[50:51], 0
	v_mov_b64_e32 v[54:55], 0
	s_mov_b32 s8, exec_lo
	v_and_b32_e32 v11, 0xff, v9
	s_delay_alu instid0(VALU_DEP_1)
	v_cmpx_ne_u16_e32 0, v11
	s_cbranch_execz .LBB212_2012
; %bb.2005:                             ;   in Loop: Header=BB212_1069 Depth=1
	v_mov_b64_e32 v[54:55], 0x80000000
	s_mov_b32 s9, exec_lo
	v_cmpx_ne_u16_e32 0x80, v11
	s_cbranch_execz .LBB212_2011
; %bb.2006:                             ;   in Loop: Header=BB212_1069 Depth=1
	v_mov_b64_e32 v[54:55], 0x7f800001
	v_bfe_u32 v11, v8, 16, 7
	s_mov_b32 s14, exec_lo
	s_delay_alu instid0(VALU_DEP_1)
	v_cmpx_ne_u32_e32 0x7f, v11
	s_cbranch_execz .LBB212_2010
; %bb.2007:                             ;   in Loop: Header=BB212_1069 Depth=1
	v_dual_lshrrev_b32 v54, 3, v11 :: v_dual_bitop2_b32 v114, 7, v9 bitop3:0x40
	s_mov_b32 s15, exec_lo
	v_cmpx_gt_u32_e32 8, v11
; %bb.2008:                             ;   in Loop: Header=BB212_1069 Depth=1
	s_delay_alu instid0(VALU_DEP_2) | instskip(NEXT) | instid1(VALU_DEP_1)
	v_clz_i32_u32_e32 v10, v114
	v_min_u32_e32 v54, 32, v10
	s_delay_alu instid0(VALU_DEP_1) | instskip(SKIP_1) | instid1(VALU_DEP_2)
	v_subrev_nc_u32_e32 v10, 28, v54
	v_sub_nc_u32_e32 v54, 29, v54
	v_lshlrev_b64_e32 v[10:11], v10, v[114:115]
	s_delay_alu instid0(VALU_DEP_1)
	v_and_b32_e32 v114, 7, v10
; %bb.2009:                             ;   in Loop: Header=BB212_1069 Depth=1
	s_or_b32 exec_lo, exec_lo, s15
	s_delay_alu instid0(VALU_DEP_1) | instskip(SKIP_1) | instid1(VALU_DEP_2)
	v_dual_lshlrev_b32 v9, 24, v9 :: v_dual_lshlrev_b32 v10, 20, v114
	v_lshl_add_u32 v11, v54, 23, 0x3c000000
	v_and_b32_e32 v9, 0x80000000, v9
	s_delay_alu instid0(VALU_DEP_1) | instskip(NEXT) | instid1(VALU_DEP_1)
	v_or3_b32 v114, v10, v9, v11
	v_mov_b64_e32 v[54:55], v[114:115]
.LBB212_2010:                           ;   in Loop: Header=BB212_1069 Depth=1
	s_or_b32 exec_lo, exec_lo, s14
.LBB212_2011:                           ;   in Loop: Header=BB212_1069 Depth=1
	s_delay_alu instid0(SALU_CYCLE_1)
	s_or_b32 exec_lo, exec_lo, s9
.LBB212_2012:                           ;   in Loop: Header=BB212_1069 Depth=1
	s_delay_alu instid0(SALU_CYCLE_1) | instskip(NEXT) | instid1(SALU_CYCLE_1)
	s_or_b32 exec_lo, exec_lo, s8
	s_mov_b32 s8, exec_lo
	v_cmpx_lt_u32_e32 0xffffff, v8
	s_cbranch_execz .LBB212_2020
; %bb.2013:                             ;   in Loop: Header=BB212_1069 Depth=1
	v_mov_b64_e32 v[50:51], 0x8000000000000000
	v_lshrrev_b32_e32 v9, 24, v8
	s_mov_b32 s9, exec_lo
	s_delay_alu instid0(VALU_DEP_1)
	v_cmpx_ne_u32_e32 0x80, v9
	s_cbranch_execz .LBB212_2019
; %bb.2014:                             ;   in Loop: Header=BB212_1069 Depth=1
	v_mov_b64_e32 v[50:51], 0x7f80000100000000
	v_bfe_u32 v11, v8, 24, 7
	s_mov_b32 s14, exec_lo
	s_delay_alu instid0(VALU_DEP_1)
	v_cmpx_ne_u32_e32 0x7f, v11
	s_cbranch_execz .LBB212_2018
; %bb.2015:                             ;   in Loop: Header=BB212_1069 Depth=1
	v_dual_lshrrev_b32 v8, 3, v11 :: v_dual_bitop2_b32 v114, 7, v9 bitop3:0x40
	s_mov_b32 s15, exec_lo
	v_cmpx_gt_u32_e32 8, v11
; %bb.2016:                             ;   in Loop: Header=BB212_1069 Depth=1
	s_delay_alu instid0(VALU_DEP_2) | instskip(NEXT) | instid1(VALU_DEP_1)
	v_clz_i32_u32_e32 v8, v114
	v_min_u32_e32 v8, 32, v8
	s_delay_alu instid0(VALU_DEP_1) | instskip(NEXT) | instid1(VALU_DEP_1)
	v_subrev_nc_u32_e32 v10, 28, v8
	v_lshlrev_b64_e32 v[10:11], v10, v[114:115]
	s_delay_alu instid0(VALU_DEP_1)
	v_dual_sub_nc_u32 v8, 29, v8 :: v_dual_bitop2_b32 v114, 7, v10 bitop3:0x40
; %bb.2017:                             ;   in Loop: Header=BB212_1069 Depth=1
	s_or_b32 exec_lo, exec_lo, s15
	s_delay_alu instid0(VALU_DEP_1) | instskip(NEXT) | instid1(VALU_DEP_2)
	v_dual_lshlrev_b32 v9, 24, v9 :: v_dual_lshlrev_b32 v10, 20, v114
	v_lshl_add_u32 v8, v8, 23, 0x3c000000
	v_mov_b32_e32 v50, v115
	s_delay_alu instid0(VALU_DEP_3) | instskip(NEXT) | instid1(VALU_DEP_1)
	v_and_b32_e32 v9, 0x80000000, v9
	v_or3_b32 v51, v10, v9, v8
.LBB212_2018:                           ;   in Loop: Header=BB212_1069 Depth=1
	s_or_b32 exec_lo, exec_lo, s14
.LBB212_2019:                           ;   in Loop: Header=BB212_1069 Depth=1
	s_delay_alu instid0(SALU_CYCLE_1)
	s_or_b32 exec_lo, exec_lo, s9
.LBB212_2020:                           ;   in Loop: Header=BB212_1069 Depth=1
	s_delay_alu instid0(SALU_CYCLE_1) | instskip(SKIP_4) | instid1(VALU_DEP_3)
	s_or_b32 exec_lo, exec_lo, s8
	v_or_b32_e32 v1, v1, v49
	v_or_b32_e32 v0, v0, v48
	;; [unrolled: 1-line block ×4, first 2 shown]
	v_pk_mul_f32 v[50:51], v[82:83], v[0:1]
	s_delay_alu instid0(VALU_DEP_2)
	v_pk_mul_f32 v[48:49], v[82:83], v[8:9]
	s_and_saveexec_b32 s8, vcc_lo
	s_cbranch_execz .LBB212_2022
; %bb.2021:                             ;   in Loop: Header=BB212_1069 Depth=1
	scratch_load_b64 v[0:1], off, s32 offset:200 ; 8-byte Folded Reload
	s_wait_loadcnt 0x0
	v_cmp_lt_i32_e64 s0, v119, v0
	s_delay_alu instid0(VALU_DEP_1) | instskip(SKIP_1) | instid1(VALU_DEP_1)
	v_cndmask_b32_e64 v50, 0, v50, s0
	v_cmp_lt_i32_e64 s0, v40, v0
	v_cndmask_b32_e64 v51, 0, v51, s0
	v_cmp_lt_i32_e64 s0, v113, v0
	s_delay_alu instid0(VALU_DEP_1) | instskip(SKIP_1) | instid1(VALU_DEP_1)
	v_cndmask_b32_e64 v48, 0, v48, s0
	v_cmp_lt_i32_e64 s0, v112, v0
	v_cndmask_b32_e64 v49, 0, v49, s0
.LBB212_2022:                           ;   in Loop: Header=BB212_1069 Depth=1
	s_wait_xcnt 0x0
	s_or_b32 exec_lo, exec_lo, s8
	flat_load_b32 v8, v[102:103] offset:3584
	v_mov_b64_e32 v[0:1], 0
	v_mov_b64_e32 v[80:81], 0
	s_mov_b32 s8, exec_lo
	s_wait_loadcnt_dscnt 0x0
	v_and_b32_e32 v9, 0xff, v8
	s_wait_xcnt 0x0
	s_delay_alu instid0(VALU_DEP_1)
	v_cmpx_ne_u16_e32 0, v9
	s_cbranch_execz .LBB212_2030
; %bb.2023:                             ;   in Loop: Header=BB212_1069 Depth=1
	v_mov_b64_e32 v[80:81], 0x80000000
	s_mov_b32 s9, exec_lo
	v_cmpx_ne_u16_e32 0x80, v9
	s_cbranch_execz .LBB212_2029
; %bb.2024:                             ;   in Loop: Header=BB212_1069 Depth=1
	v_mov_b64_e32 v[80:81], 0x7f800001
	v_and_b32_e32 v11, 0x7f, v8
	s_mov_b32 s14, exec_lo
	s_delay_alu instid0(VALU_DEP_1)
	v_cmpx_ne_u32_e32 0x7f, v11
	s_cbranch_execz .LBB212_2028
; %bb.2025:                             ;   in Loop: Header=BB212_1069 Depth=1
	v_dual_lshrrev_b32 v9, 3, v11 :: v_dual_bitop2_b32 v114, 7, v8 bitop3:0x40
	s_mov_b32 s15, exec_lo
	v_cmpx_gt_u32_e32 8, v11
; %bb.2026:                             ;   in Loop: Header=BB212_1069 Depth=1
	s_delay_alu instid0(VALU_DEP_2) | instskip(NEXT) | instid1(VALU_DEP_1)
	v_clz_i32_u32_e32 v9, v114
	v_min_u32_e32 v9, 32, v9
	s_delay_alu instid0(VALU_DEP_1) | instskip(NEXT) | instid1(VALU_DEP_1)
	v_subrev_nc_u32_e32 v10, 28, v9
	v_lshlrev_b64_e32 v[10:11], v10, v[114:115]
	s_delay_alu instid0(VALU_DEP_1)
	v_dual_sub_nc_u32 v9, 29, v9 :: v_dual_bitop2_b32 v114, 7, v10 bitop3:0x40
; %bb.2027:                             ;   in Loop: Header=BB212_1069 Depth=1
	s_or_b32 exec_lo, exec_lo, s15
	s_delay_alu instid0(VALU_DEP_1) | instskip(NEXT) | instid1(VALU_DEP_2)
	v_dual_lshlrev_b32 v10, 24, v8 :: v_dual_lshlrev_b32 v11, 20, v114
	v_lshl_add_u32 v9, v9, 23, 0x3c000000
	s_delay_alu instid0(VALU_DEP_2) | instskip(NEXT) | instid1(VALU_DEP_1)
	v_and_b32_e32 v10, 0x80000000, v10
	v_or3_b32 v114, v11, v10, v9
	s_delay_alu instid0(VALU_DEP_1)
	v_mov_b64_e32 v[80:81], v[114:115]
.LBB212_2028:                           ;   in Loop: Header=BB212_1069 Depth=1
	s_or_b32 exec_lo, exec_lo, s14
.LBB212_2029:                           ;   in Loop: Header=BB212_1069 Depth=1
	s_delay_alu instid0(SALU_CYCLE_1)
	s_or_b32 exec_lo, exec_lo, s9
.LBB212_2030:                           ;   in Loop: Header=BB212_1069 Depth=1
	s_delay_alu instid0(SALU_CYCLE_1) | instskip(SKIP_2) | instid1(VALU_DEP_1)
	s_or_b32 exec_lo, exec_lo, s8
	v_lshrrev_b16 v9, 8, v8
	s_mov_b32 s8, exec_lo
	v_cmpx_ne_u16_e32 0, v9
	s_cbranch_execz .LBB212_2038
; %bb.2031:                             ;   in Loop: Header=BB212_1069 Depth=1
	v_mov_b64_e32 v[0:1], 0x8000000000000000
	s_mov_b32 s9, exec_lo
	v_cmpx_ne_u16_e32 0x80, v9
	s_cbranch_execz .LBB212_2037
; %bb.2032:                             ;   in Loop: Header=BB212_1069 Depth=1
	v_and_b32_e32 v11, 0xffff, v9
	v_mov_b64_e32 v[0:1], 0x7f80000100000000
	s_mov_b32 s14, exec_lo
	s_delay_alu instid0(VALU_DEP_2) | instskip(NEXT) | instid1(VALU_DEP_1)
	v_and_b32_e32 v9, 0x7f, v11
	v_cmpx_ne_u32_e32 0x7f, v9
	s_cbranch_execz .LBB212_2036
; %bb.2033:                             ;   in Loop: Header=BB212_1069 Depth=1
	v_dual_lshrrev_b32 v0, 3, v9 :: v_dual_bitop2_b32 v114, 7, v11 bitop3:0x40
	s_mov_b32 s15, exec_lo
	v_cmpx_gt_u32_e32 8, v9
; %bb.2034:                             ;   in Loop: Header=BB212_1069 Depth=1
	s_delay_alu instid0(VALU_DEP_2) | instskip(NEXT) | instid1(VALU_DEP_1)
	v_clz_i32_u32_e32 v0, v114
	v_min_u32_e32 v0, 32, v0
	s_delay_alu instid0(VALU_DEP_1) | instskip(NEXT) | instid1(VALU_DEP_1)
	v_subrev_nc_u32_e32 v1, 28, v0
	v_lshlrev_b64_e32 v[10:11], v1, v[114:115]
	s_delay_alu instid0(VALU_DEP_1)
	v_dual_sub_nc_u32 v0, 29, v0 :: v_dual_bitop2_b32 v114, 7, v10 bitop3:0x40
; %bb.2035:                             ;   in Loop: Header=BB212_1069 Depth=1
	s_or_b32 exec_lo, exec_lo, s15
	s_delay_alu instid0(VALU_DEP_1) | instskip(NEXT) | instid1(VALU_DEP_2)
	v_dual_lshlrev_b32 v1, 16, v8 :: v_dual_lshlrev_b32 v9, 20, v114
	v_lshl_add_u32 v0, v0, 23, 0x3c000000
	s_delay_alu instid0(VALU_DEP_2) | instskip(NEXT) | instid1(VALU_DEP_1)
	v_and_b32_e32 v1, 0x80000000, v1
	v_or3_b32 v1, v9, v1, v0
	v_mov_b32_e32 v0, v115
.LBB212_2036:                           ;   in Loop: Header=BB212_1069 Depth=1
	s_or_b32 exec_lo, exec_lo, s14
.LBB212_2037:                           ;   in Loop: Header=BB212_1069 Depth=1
	s_delay_alu instid0(SALU_CYCLE_1)
	s_or_b32 exec_lo, exec_lo, s9
.LBB212_2038:                           ;   in Loop: Header=BB212_1069 Depth=1
	s_delay_alu instid0(SALU_CYCLE_1) | instskip(SKIP_4) | instid1(VALU_DEP_3)
	s_or_b32 exec_lo, exec_lo, s8
	v_lshrrev_b32_e32 v9, 16, v8
	v_mov_b64_e32 v[54:55], 0
	v_mov_b64_e32 v[84:85], 0
	s_mov_b32 s8, exec_lo
	v_and_b32_e32 v11, 0xff, v9
	s_delay_alu instid0(VALU_DEP_1)
	v_cmpx_ne_u16_e32 0, v11
	s_cbranch_execz .LBB212_2046
; %bb.2039:                             ;   in Loop: Header=BB212_1069 Depth=1
	v_mov_b64_e32 v[84:85], 0x80000000
	s_mov_b32 s9, exec_lo
	v_cmpx_ne_u16_e32 0x80, v11
	s_cbranch_execz .LBB212_2045
; %bb.2040:                             ;   in Loop: Header=BB212_1069 Depth=1
	v_mov_b64_e32 v[84:85], 0x7f800001
	v_bfe_u32 v11, v8, 16, 7
	s_mov_b32 s14, exec_lo
	s_delay_alu instid0(VALU_DEP_1)
	v_cmpx_ne_u32_e32 0x7f, v11
	s_cbranch_execz .LBB212_2044
; %bb.2041:                             ;   in Loop: Header=BB212_1069 Depth=1
	v_dual_lshrrev_b32 v84, 3, v11 :: v_dual_bitop2_b32 v114, 7, v9 bitop3:0x40
	s_mov_b32 s15, exec_lo
	v_cmpx_gt_u32_e32 8, v11
; %bb.2042:                             ;   in Loop: Header=BB212_1069 Depth=1
	s_delay_alu instid0(VALU_DEP_2) | instskip(NEXT) | instid1(VALU_DEP_1)
	v_clz_i32_u32_e32 v10, v114
	v_min_u32_e32 v84, 32, v10
	s_delay_alu instid0(VALU_DEP_1) | instskip(NEXT) | instid1(VALU_DEP_1)
	v_subrev_nc_u32_e32 v10, 28, v84
	v_lshlrev_b64_e32 v[10:11], v10, v[114:115]
	s_delay_alu instid0(VALU_DEP_1)
	v_dual_sub_nc_u32 v84, 29, v84 :: v_dual_bitop2_b32 v114, 7, v10 bitop3:0x40
; %bb.2043:                             ;   in Loop: Header=BB212_1069 Depth=1
	s_or_b32 exec_lo, exec_lo, s15
	s_delay_alu instid0(VALU_DEP_1) | instskip(NEXT) | instid1(VALU_DEP_2)
	v_dual_lshlrev_b32 v9, 24, v9 :: v_dual_lshlrev_b32 v10, 20, v114
	v_lshl_add_u32 v11, v84, 23, 0x3c000000
	s_delay_alu instid0(VALU_DEP_2) | instskip(NEXT) | instid1(VALU_DEP_1)
	v_and_b32_e32 v9, 0x80000000, v9
	v_or3_b32 v114, v10, v9, v11
	s_delay_alu instid0(VALU_DEP_1)
	v_mov_b64_e32 v[84:85], v[114:115]
.LBB212_2044:                           ;   in Loop: Header=BB212_1069 Depth=1
	s_or_b32 exec_lo, exec_lo, s14
.LBB212_2045:                           ;   in Loop: Header=BB212_1069 Depth=1
	s_delay_alu instid0(SALU_CYCLE_1)
	s_or_b32 exec_lo, exec_lo, s9
.LBB212_2046:                           ;   in Loop: Header=BB212_1069 Depth=1
	s_delay_alu instid0(SALU_CYCLE_1) | instskip(NEXT) | instid1(SALU_CYCLE_1)
	s_or_b32 exec_lo, exec_lo, s8
	s_mov_b32 s8, exec_lo
	v_cmpx_lt_u32_e32 0xffffff, v8
	s_cbranch_execz .LBB212_2054
; %bb.2047:                             ;   in Loop: Header=BB212_1069 Depth=1
	v_mov_b64_e32 v[54:55], 0x8000000000000000
	v_lshrrev_b32_e32 v9, 24, v8
	s_mov_b32 s9, exec_lo
	s_delay_alu instid0(VALU_DEP_1)
	v_cmpx_ne_u32_e32 0x80, v9
	s_cbranch_execz .LBB212_2053
; %bb.2048:                             ;   in Loop: Header=BB212_1069 Depth=1
	v_mov_b64_e32 v[54:55], 0x7f80000100000000
	v_bfe_u32 v11, v8, 24, 7
	s_mov_b32 s14, exec_lo
	s_delay_alu instid0(VALU_DEP_1)
	v_cmpx_ne_u32_e32 0x7f, v11
	s_cbranch_execz .LBB212_2052
; %bb.2049:                             ;   in Loop: Header=BB212_1069 Depth=1
	v_dual_lshrrev_b32 v8, 3, v11 :: v_dual_bitop2_b32 v114, 7, v9 bitop3:0x40
	s_mov_b32 s15, exec_lo
	v_cmpx_gt_u32_e32 8, v11
; %bb.2050:                             ;   in Loop: Header=BB212_1069 Depth=1
	s_delay_alu instid0(VALU_DEP_2) | instskip(NEXT) | instid1(VALU_DEP_1)
	v_clz_i32_u32_e32 v8, v114
	v_min_u32_e32 v8, 32, v8
	s_delay_alu instid0(VALU_DEP_1) | instskip(NEXT) | instid1(VALU_DEP_1)
	v_subrev_nc_u32_e32 v10, 28, v8
	v_lshlrev_b64_e32 v[10:11], v10, v[114:115]
	s_delay_alu instid0(VALU_DEP_1)
	v_dual_sub_nc_u32 v8, 29, v8 :: v_dual_bitop2_b32 v114, 7, v10 bitop3:0x40
; %bb.2051:                             ;   in Loop: Header=BB212_1069 Depth=1
	s_or_b32 exec_lo, exec_lo, s15
	s_delay_alu instid0(VALU_DEP_1) | instskip(NEXT) | instid1(VALU_DEP_2)
	v_dual_lshlrev_b32 v9, 24, v9 :: v_dual_lshlrev_b32 v10, 20, v114
	v_lshl_add_u32 v8, v8, 23, 0x3c000000
	v_mov_b32_e32 v54, v115
	s_delay_alu instid0(VALU_DEP_3) | instskip(NEXT) | instid1(VALU_DEP_1)
	v_and_b32_e32 v9, 0x80000000, v9
	v_or3_b32 v55, v10, v9, v8
.LBB212_2052:                           ;   in Loop: Header=BB212_1069 Depth=1
	s_or_b32 exec_lo, exec_lo, s14
.LBB212_2053:                           ;   in Loop: Header=BB212_1069 Depth=1
	s_delay_alu instid0(SALU_CYCLE_1)
	s_or_b32 exec_lo, exec_lo, s9
.LBB212_2054:                           ;   in Loop: Header=BB212_1069 Depth=1
	s_delay_alu instid0(SALU_CYCLE_1) | instskip(SKIP_4) | instid1(VALU_DEP_3)
	s_or_b32 exec_lo, exec_lo, s8
	v_or_b32_e32 v1, v1, v81
	v_or_b32_e32 v0, v0, v80
	v_or_b32_e32 v9, v55, v85
	v_or_b32_e32 v8, v54, v84
	v_pk_mul_f32 v[80:81], v[82:83], v[0:1]
	s_delay_alu instid0(VALU_DEP_2)
	v_pk_mul_f32 v[0:1], v[82:83], v[8:9]
	s_and_saveexec_b32 s8, vcc_lo
	s_cbranch_execz .LBB212_2056
; %bb.2055:                             ;   in Loop: Header=BB212_1069 Depth=1
	scratch_load_b64 v[8:9], off, s32 offset:200 ; 8-byte Folded Reload
	s_wait_loadcnt 0x0
	v_cmp_lt_i32_e64 s0, v119, v8
	s_delay_alu instid0(VALU_DEP_1) | instskip(SKIP_1) | instid1(VALU_DEP_1)
	v_cndmask_b32_e64 v80, 0, v80, s0
	v_cmp_lt_i32_e64 s0, v40, v8
	v_cndmask_b32_e64 v81, 0, v81, s0
	v_cmp_lt_i32_e64 s0, v113, v8
	s_delay_alu instid0(VALU_DEP_1) | instskip(SKIP_1) | instid1(VALU_DEP_1)
	v_cndmask_b32_e64 v0, 0, v0, s0
	v_cmp_lt_i32_e64 s0, v112, v8
	v_cndmask_b32_e64 v1, 0, v1, s0
.LBB212_2056:                           ;   in Loop: Header=BB212_1069 Depth=1
	s_wait_xcnt 0x0
	s_or_b32 exec_lo, exec_lo, s8
	flat_load_b32 v8, v[102:103] offset:3712
	v_mov_b64_e32 v[84:85], 0
	v_mov_b64_e32 v[86:87], 0
	s_mov_b32 s8, exec_lo
	s_wait_loadcnt_dscnt 0x0
	v_and_b32_e32 v9, 0xff, v8
	s_wait_xcnt 0x0
	s_delay_alu instid0(VALU_DEP_1)
	v_cmpx_ne_u16_e32 0, v9
	s_cbranch_execz .LBB212_2064
; %bb.2057:                             ;   in Loop: Header=BB212_1069 Depth=1
	v_mov_b64_e32 v[86:87], 0x80000000
	s_mov_b32 s9, exec_lo
	v_cmpx_ne_u16_e32 0x80, v9
	s_cbranch_execz .LBB212_2063
; %bb.2058:                             ;   in Loop: Header=BB212_1069 Depth=1
	v_mov_b64_e32 v[86:87], 0x7f800001
	v_and_b32_e32 v11, 0x7f, v8
	s_mov_b32 s14, exec_lo
	s_delay_alu instid0(VALU_DEP_1)
	v_cmpx_ne_u32_e32 0x7f, v11
	s_cbranch_execz .LBB212_2062
; %bb.2059:                             ;   in Loop: Header=BB212_1069 Depth=1
	v_dual_lshrrev_b32 v9, 3, v11 :: v_dual_bitop2_b32 v114, 7, v8 bitop3:0x40
	s_mov_b32 s15, exec_lo
	v_cmpx_gt_u32_e32 8, v11
; %bb.2060:                             ;   in Loop: Header=BB212_1069 Depth=1
	s_delay_alu instid0(VALU_DEP_2) | instskip(NEXT) | instid1(VALU_DEP_1)
	v_clz_i32_u32_e32 v9, v114
	v_min_u32_e32 v9, 32, v9
	s_delay_alu instid0(VALU_DEP_1) | instskip(NEXT) | instid1(VALU_DEP_1)
	v_subrev_nc_u32_e32 v10, 28, v9
	v_lshlrev_b64_e32 v[10:11], v10, v[114:115]
	s_delay_alu instid0(VALU_DEP_1)
	v_dual_sub_nc_u32 v9, 29, v9 :: v_dual_bitop2_b32 v114, 7, v10 bitop3:0x40
; %bb.2061:                             ;   in Loop: Header=BB212_1069 Depth=1
	s_or_b32 exec_lo, exec_lo, s15
	s_delay_alu instid0(VALU_DEP_1) | instskip(NEXT) | instid1(VALU_DEP_2)
	v_dual_lshlrev_b32 v10, 24, v8 :: v_dual_lshlrev_b32 v11, 20, v114
	v_lshl_add_u32 v9, v9, 23, 0x3c000000
	s_delay_alu instid0(VALU_DEP_2) | instskip(NEXT) | instid1(VALU_DEP_1)
	v_and_b32_e32 v10, 0x80000000, v10
	v_or3_b32 v114, v11, v10, v9
	s_delay_alu instid0(VALU_DEP_1)
	v_mov_b64_e32 v[86:87], v[114:115]
.LBB212_2062:                           ;   in Loop: Header=BB212_1069 Depth=1
	s_or_b32 exec_lo, exec_lo, s14
.LBB212_2063:                           ;   in Loop: Header=BB212_1069 Depth=1
	s_delay_alu instid0(SALU_CYCLE_1)
	s_or_b32 exec_lo, exec_lo, s9
.LBB212_2064:                           ;   in Loop: Header=BB212_1069 Depth=1
	s_delay_alu instid0(SALU_CYCLE_1) | instskip(SKIP_2) | instid1(VALU_DEP_1)
	s_or_b32 exec_lo, exec_lo, s8
	v_lshrrev_b16 v9, 8, v8
	s_mov_b32 s8, exec_lo
	v_cmpx_ne_u16_e32 0, v9
	s_cbranch_execz .LBB212_2072
; %bb.2065:                             ;   in Loop: Header=BB212_1069 Depth=1
	v_mov_b64_e32 v[84:85], 0x8000000000000000
	s_mov_b32 s9, exec_lo
	v_cmpx_ne_u16_e32 0x80, v9
	s_cbranch_execz .LBB212_2071
; %bb.2066:                             ;   in Loop: Header=BB212_1069 Depth=1
	v_and_b32_e32 v9, 0xffff, v9
	v_mov_b64_e32 v[84:85], 0x7f80000100000000
	s_mov_b32 s14, exec_lo
	s_delay_alu instid0(VALU_DEP_2) | instskip(NEXT) | instid1(VALU_DEP_1)
	v_and_b32_e32 v11, 0x7f, v9
	v_cmpx_ne_u32_e32 0x7f, v11
	s_cbranch_execz .LBB212_2070
; %bb.2067:                             ;   in Loop: Header=BB212_1069 Depth=1
	v_dual_lshrrev_b32 v9, 3, v11 :: v_dual_bitop2_b32 v114, 7, v9 bitop3:0x40
	s_mov_b32 s15, exec_lo
	v_cmpx_gt_u32_e32 8, v11
; %bb.2068:                             ;   in Loop: Header=BB212_1069 Depth=1
	s_delay_alu instid0(VALU_DEP_2) | instskip(NEXT) | instid1(VALU_DEP_1)
	v_clz_i32_u32_e32 v9, v114
	v_min_u32_e32 v9, 32, v9
	s_delay_alu instid0(VALU_DEP_1) | instskip(NEXT) | instid1(VALU_DEP_1)
	v_subrev_nc_u32_e32 v10, 28, v9
	v_lshlrev_b64_e32 v[10:11], v10, v[114:115]
	s_delay_alu instid0(VALU_DEP_1)
	v_dual_sub_nc_u32 v9, 29, v9 :: v_dual_bitop2_b32 v114, 7, v10 bitop3:0x40
; %bb.2069:                             ;   in Loop: Header=BB212_1069 Depth=1
	s_or_b32 exec_lo, exec_lo, s15
	s_delay_alu instid0(VALU_DEP_1) | instskip(NEXT) | instid1(VALU_DEP_2)
	v_dual_lshlrev_b32 v10, 16, v8 :: v_dual_lshlrev_b32 v11, 20, v114
	v_lshl_add_u32 v9, v9, 23, 0x3c000000
	v_mov_b32_e32 v84, v115
	s_delay_alu instid0(VALU_DEP_3) | instskip(NEXT) | instid1(VALU_DEP_1)
	v_and_b32_e32 v10, 0x80000000, v10
	v_or3_b32 v85, v11, v10, v9
.LBB212_2070:                           ;   in Loop: Header=BB212_1069 Depth=1
	s_or_b32 exec_lo, exec_lo, s14
.LBB212_2071:                           ;   in Loop: Header=BB212_1069 Depth=1
	s_delay_alu instid0(SALU_CYCLE_1)
	s_or_b32 exec_lo, exec_lo, s9
.LBB212_2072:                           ;   in Loop: Header=BB212_1069 Depth=1
	s_delay_alu instid0(SALU_CYCLE_1) | instskip(SKIP_4) | instid1(VALU_DEP_3)
	s_or_b32 exec_lo, exec_lo, s8
	v_lshrrev_b32_e32 v9, 16, v8
	v_mov_b64_e32 v[54:55], 0
	v_mov_b64_e32 v[98:99], 0
	s_mov_b32 s8, exec_lo
	v_and_b32_e32 v11, 0xff, v9
	s_delay_alu instid0(VALU_DEP_1)
	v_cmpx_ne_u16_e32 0, v11
	s_cbranch_execz .LBB212_2080
; %bb.2073:                             ;   in Loop: Header=BB212_1069 Depth=1
	v_mov_b64_e32 v[98:99], 0x80000000
	s_mov_b32 s9, exec_lo
	v_cmpx_ne_u16_e32 0x80, v11
	s_cbranch_execz .LBB212_2079
; %bb.2074:                             ;   in Loop: Header=BB212_1069 Depth=1
	v_mov_b64_e32 v[98:99], 0x7f800001
	v_bfe_u32 v11, v8, 16, 7
	s_mov_b32 s14, exec_lo
	s_delay_alu instid0(VALU_DEP_1)
	v_cmpx_ne_u32_e32 0x7f, v11
	s_cbranch_execz .LBB212_2078
; %bb.2075:                             ;   in Loop: Header=BB212_1069 Depth=1
	v_dual_lshrrev_b32 v98, 3, v11 :: v_dual_bitop2_b32 v114, 7, v9 bitop3:0x40
	s_mov_b32 s15, exec_lo
	v_cmpx_gt_u32_e32 8, v11
; %bb.2076:                             ;   in Loop: Header=BB212_1069 Depth=1
	s_delay_alu instid0(VALU_DEP_2) | instskip(NEXT) | instid1(VALU_DEP_1)
	v_clz_i32_u32_e32 v10, v114
	v_min_u32_e32 v98, 32, v10
	s_delay_alu instid0(VALU_DEP_1) | instskip(SKIP_1) | instid1(VALU_DEP_2)
	v_subrev_nc_u32_e32 v10, 28, v98
	v_sub_nc_u32_e32 v98, 29, v98
	v_lshlrev_b64_e32 v[10:11], v10, v[114:115]
	s_delay_alu instid0(VALU_DEP_1)
	v_and_b32_e32 v114, 7, v10
; %bb.2077:                             ;   in Loop: Header=BB212_1069 Depth=1
	s_or_b32 exec_lo, exec_lo, s15
	s_delay_alu instid0(VALU_DEP_1) | instskip(SKIP_1) | instid1(VALU_DEP_2)
	v_dual_lshlrev_b32 v9, 24, v9 :: v_dual_lshlrev_b32 v10, 20, v114
	v_lshl_add_u32 v11, v98, 23, 0x3c000000
	v_and_b32_e32 v9, 0x80000000, v9
	s_delay_alu instid0(VALU_DEP_1) | instskip(NEXT) | instid1(VALU_DEP_1)
	v_or3_b32 v114, v10, v9, v11
	v_mov_b64_e32 v[98:99], v[114:115]
.LBB212_2078:                           ;   in Loop: Header=BB212_1069 Depth=1
	s_or_b32 exec_lo, exec_lo, s14
.LBB212_2079:                           ;   in Loop: Header=BB212_1069 Depth=1
	s_delay_alu instid0(SALU_CYCLE_1)
	s_or_b32 exec_lo, exec_lo, s9
.LBB212_2080:                           ;   in Loop: Header=BB212_1069 Depth=1
	s_delay_alu instid0(SALU_CYCLE_1) | instskip(NEXT) | instid1(SALU_CYCLE_1)
	s_or_b32 exec_lo, exec_lo, s8
	s_mov_b32 s8, exec_lo
	v_cmpx_lt_u32_e32 0xffffff, v8
	s_cbranch_execz .LBB212_2088
; %bb.2081:                             ;   in Loop: Header=BB212_1069 Depth=1
	v_mov_b64_e32 v[54:55], 0x8000000000000000
	v_lshrrev_b32_e32 v9, 24, v8
	s_mov_b32 s9, exec_lo
	s_delay_alu instid0(VALU_DEP_1)
	v_cmpx_ne_u32_e32 0x80, v9
	s_cbranch_execz .LBB212_2087
; %bb.2082:                             ;   in Loop: Header=BB212_1069 Depth=1
	v_mov_b64_e32 v[54:55], 0x7f80000100000000
	v_bfe_u32 v11, v8, 24, 7
	s_mov_b32 s14, exec_lo
	s_delay_alu instid0(VALU_DEP_1)
	v_cmpx_ne_u32_e32 0x7f, v11
	s_cbranch_execz .LBB212_2086
; %bb.2083:                             ;   in Loop: Header=BB212_1069 Depth=1
	v_dual_lshrrev_b32 v8, 3, v11 :: v_dual_bitop2_b32 v114, 7, v9 bitop3:0x40
	s_mov_b32 s15, exec_lo
	v_cmpx_gt_u32_e32 8, v11
; %bb.2084:                             ;   in Loop: Header=BB212_1069 Depth=1
	s_delay_alu instid0(VALU_DEP_2) | instskip(NEXT) | instid1(VALU_DEP_1)
	v_clz_i32_u32_e32 v8, v114
	v_min_u32_e32 v8, 32, v8
	s_delay_alu instid0(VALU_DEP_1) | instskip(NEXT) | instid1(VALU_DEP_1)
	v_subrev_nc_u32_e32 v10, 28, v8
	v_lshlrev_b64_e32 v[10:11], v10, v[114:115]
	s_delay_alu instid0(VALU_DEP_1)
	v_dual_sub_nc_u32 v8, 29, v8 :: v_dual_bitop2_b32 v114, 7, v10 bitop3:0x40
; %bb.2085:                             ;   in Loop: Header=BB212_1069 Depth=1
	s_or_b32 exec_lo, exec_lo, s15
	s_delay_alu instid0(VALU_DEP_1) | instskip(NEXT) | instid1(VALU_DEP_2)
	v_dual_lshlrev_b32 v9, 24, v9 :: v_dual_lshlrev_b32 v10, 20, v114
	v_lshl_add_u32 v8, v8, 23, 0x3c000000
	v_mov_b32_e32 v54, v115
	s_delay_alu instid0(VALU_DEP_3) | instskip(NEXT) | instid1(VALU_DEP_1)
	v_and_b32_e32 v9, 0x80000000, v9
	v_or3_b32 v55, v10, v9, v8
.LBB212_2086:                           ;   in Loop: Header=BB212_1069 Depth=1
	s_or_b32 exec_lo, exec_lo, s14
.LBB212_2087:                           ;   in Loop: Header=BB212_1069 Depth=1
	s_delay_alu instid0(SALU_CYCLE_1)
	s_or_b32 exec_lo, exec_lo, s9
.LBB212_2088:                           ;   in Loop: Header=BB212_1069 Depth=1
	s_delay_alu instid0(SALU_CYCLE_1) | instskip(SKIP_4) | instid1(VALU_DEP_3)
	s_or_b32 exec_lo, exec_lo, s8
	v_or_b32_e32 v9, v85, v87
	v_or_b32_e32 v8, v84, v86
	;; [unrolled: 1-line block ×4, first 2 shown]
	v_pk_mul_f32 v[86:87], v[82:83], v[8:9]
	s_delay_alu instid0(VALU_DEP_2)
	v_pk_mul_f32 v[84:85], v[82:83], v[10:11]
	s_and_saveexec_b32 s8, vcc_lo
	s_cbranch_execz .LBB212_2090
; %bb.2089:                             ;   in Loop: Header=BB212_1069 Depth=1
	scratch_load_b64 v[8:9], off, s32 offset:200 ; 8-byte Folded Reload
	s_wait_loadcnt 0x0
	v_cmp_lt_i32_e64 s0, v119, v8
	s_delay_alu instid0(VALU_DEP_1) | instskip(SKIP_1) | instid1(VALU_DEP_1)
	v_cndmask_b32_e64 v86, 0, v86, s0
	v_cmp_lt_i32_e64 s0, v40, v8
	v_cndmask_b32_e64 v87, 0, v87, s0
	v_cmp_lt_i32_e64 s0, v113, v8
	s_delay_alu instid0(VALU_DEP_1) | instskip(SKIP_1) | instid1(VALU_DEP_1)
	v_cndmask_b32_e64 v84, 0, v84, s0
	v_cmp_lt_i32_e64 s0, v112, v8
	v_cndmask_b32_e64 v85, 0, v85, s0
.LBB212_2090:                           ;   in Loop: Header=BB212_1069 Depth=1
	s_wait_xcnt 0x0
	s_or_b32 exec_lo, exec_lo, s8
	flat_load_b32 v8, v[102:103] offset:3840
	v_mov_b64_e32 v[98:99], 0
	v_mov_b64_e32 v[100:101], 0
	s_mov_b32 s8, exec_lo
	s_wait_loadcnt_dscnt 0x0
	v_and_b32_e32 v9, 0xff, v8
	s_wait_xcnt 0x0
	s_delay_alu instid0(VALU_DEP_1)
	v_cmpx_ne_u16_e32 0, v9
	s_cbranch_execz .LBB212_2098
; %bb.2091:                             ;   in Loop: Header=BB212_1069 Depth=1
	v_mov_b64_e32 v[100:101], 0x80000000
	s_mov_b32 s9, exec_lo
	v_cmpx_ne_u16_e32 0x80, v9
	s_cbranch_execz .LBB212_2097
; %bb.2092:                             ;   in Loop: Header=BB212_1069 Depth=1
	v_mov_b64_e32 v[100:101], 0x7f800001
	v_and_b32_e32 v11, 0x7f, v8
	s_mov_b32 s14, exec_lo
	s_delay_alu instid0(VALU_DEP_1)
	v_cmpx_ne_u32_e32 0x7f, v11
	s_cbranch_execz .LBB212_2096
; %bb.2093:                             ;   in Loop: Header=BB212_1069 Depth=1
	v_dual_lshrrev_b32 v9, 3, v11 :: v_dual_bitop2_b32 v114, 7, v8 bitop3:0x40
	s_mov_b32 s15, exec_lo
	v_cmpx_gt_u32_e32 8, v11
; %bb.2094:                             ;   in Loop: Header=BB212_1069 Depth=1
	s_delay_alu instid0(VALU_DEP_2) | instskip(NEXT) | instid1(VALU_DEP_1)
	v_clz_i32_u32_e32 v9, v114
	v_min_u32_e32 v9, 32, v9
	s_delay_alu instid0(VALU_DEP_1) | instskip(NEXT) | instid1(VALU_DEP_1)
	v_subrev_nc_u32_e32 v10, 28, v9
	v_lshlrev_b64_e32 v[10:11], v10, v[114:115]
	s_delay_alu instid0(VALU_DEP_1)
	v_dual_sub_nc_u32 v9, 29, v9 :: v_dual_bitop2_b32 v114, 7, v10 bitop3:0x40
; %bb.2095:                             ;   in Loop: Header=BB212_1069 Depth=1
	s_or_b32 exec_lo, exec_lo, s15
	s_delay_alu instid0(VALU_DEP_1) | instskip(NEXT) | instid1(VALU_DEP_2)
	v_dual_lshlrev_b32 v10, 24, v8 :: v_dual_lshlrev_b32 v11, 20, v114
	v_lshl_add_u32 v9, v9, 23, 0x3c000000
	s_delay_alu instid0(VALU_DEP_2) | instskip(NEXT) | instid1(VALU_DEP_1)
	v_and_b32_e32 v10, 0x80000000, v10
	v_or3_b32 v114, v11, v10, v9
	s_delay_alu instid0(VALU_DEP_1)
	v_mov_b64_e32 v[100:101], v[114:115]
.LBB212_2096:                           ;   in Loop: Header=BB212_1069 Depth=1
	s_or_b32 exec_lo, exec_lo, s14
.LBB212_2097:                           ;   in Loop: Header=BB212_1069 Depth=1
	s_delay_alu instid0(SALU_CYCLE_1)
	s_or_b32 exec_lo, exec_lo, s9
.LBB212_2098:                           ;   in Loop: Header=BB212_1069 Depth=1
	s_delay_alu instid0(SALU_CYCLE_1) | instskip(SKIP_2) | instid1(VALU_DEP_1)
	s_or_b32 exec_lo, exec_lo, s8
	v_lshrrev_b16 v9, 8, v8
	s_mov_b32 s8, exec_lo
	v_cmpx_ne_u16_e32 0, v9
	s_cbranch_execz .LBB212_2106
; %bb.2099:                             ;   in Loop: Header=BB212_1069 Depth=1
	v_mov_b64_e32 v[98:99], 0x8000000000000000
	s_mov_b32 s9, exec_lo
	v_cmpx_ne_u16_e32 0x80, v9
	s_cbranch_execz .LBB212_2105
; %bb.2100:                             ;   in Loop: Header=BB212_1069 Depth=1
	v_and_b32_e32 v9, 0xffff, v9
	v_mov_b64_e32 v[98:99], 0x7f80000100000000
	s_mov_b32 s14, exec_lo
	s_delay_alu instid0(VALU_DEP_2) | instskip(NEXT) | instid1(VALU_DEP_1)
	v_and_b32_e32 v11, 0x7f, v9
	v_cmpx_ne_u32_e32 0x7f, v11
	s_cbranch_execz .LBB212_2104
; %bb.2101:                             ;   in Loop: Header=BB212_1069 Depth=1
	v_dual_lshrrev_b32 v9, 3, v11 :: v_dual_bitop2_b32 v114, 7, v9 bitop3:0x40
	s_mov_b32 s15, exec_lo
	v_cmpx_gt_u32_e32 8, v11
; %bb.2102:                             ;   in Loop: Header=BB212_1069 Depth=1
	s_delay_alu instid0(VALU_DEP_2) | instskip(NEXT) | instid1(VALU_DEP_1)
	v_clz_i32_u32_e32 v9, v114
	v_min_u32_e32 v9, 32, v9
	s_delay_alu instid0(VALU_DEP_1) | instskip(NEXT) | instid1(VALU_DEP_1)
	v_subrev_nc_u32_e32 v10, 28, v9
	v_lshlrev_b64_e32 v[10:11], v10, v[114:115]
	s_delay_alu instid0(VALU_DEP_1)
	v_dual_sub_nc_u32 v9, 29, v9 :: v_dual_bitop2_b32 v114, 7, v10 bitop3:0x40
; %bb.2103:                             ;   in Loop: Header=BB212_1069 Depth=1
	s_or_b32 exec_lo, exec_lo, s15
	s_delay_alu instid0(VALU_DEP_1) | instskip(NEXT) | instid1(VALU_DEP_2)
	v_dual_lshlrev_b32 v10, 16, v8 :: v_dual_lshlrev_b32 v11, 20, v114
	v_lshl_add_u32 v9, v9, 23, 0x3c000000
	v_mov_b32_e32 v98, v115
	s_delay_alu instid0(VALU_DEP_3) | instskip(NEXT) | instid1(VALU_DEP_1)
	v_and_b32_e32 v10, 0x80000000, v10
	v_or3_b32 v99, v11, v10, v9
.LBB212_2104:                           ;   in Loop: Header=BB212_1069 Depth=1
	s_or_b32 exec_lo, exec_lo, s14
.LBB212_2105:                           ;   in Loop: Header=BB212_1069 Depth=1
	s_delay_alu instid0(SALU_CYCLE_1)
	s_or_b32 exec_lo, exec_lo, s9
.LBB212_2106:                           ;   in Loop: Header=BB212_1069 Depth=1
	s_delay_alu instid0(SALU_CYCLE_1) | instskip(SKIP_4) | instid1(VALU_DEP_3)
	s_or_b32 exec_lo, exec_lo, s8
	v_lshrrev_b32_e32 v9, 16, v8
	v_mov_b64_e32 v[54:55], 0
	v_mov_b64_e32 v[102:103], 0
	s_mov_b32 s8, exec_lo
	v_and_b32_e32 v11, 0xff, v9
	s_delay_alu instid0(VALU_DEP_1)
	v_cmpx_ne_u16_e32 0, v11
	s_cbranch_execz .LBB212_2114
; %bb.2107:                             ;   in Loop: Header=BB212_1069 Depth=1
	v_mov_b64_e32 v[102:103], 0x80000000
	s_mov_b32 s9, exec_lo
	v_cmpx_ne_u16_e32 0x80, v11
	s_cbranch_execz .LBB212_2113
; %bb.2108:                             ;   in Loop: Header=BB212_1069 Depth=1
	v_mov_b64_e32 v[102:103], 0x7f800001
	v_bfe_u32 v11, v8, 16, 7
	s_mov_b32 s14, exec_lo
	s_delay_alu instid0(VALU_DEP_1)
	v_cmpx_ne_u32_e32 0x7f, v11
	s_cbranch_execz .LBB212_2112
; %bb.2109:                             ;   in Loop: Header=BB212_1069 Depth=1
	v_dual_lshrrev_b32 v102, 3, v11 :: v_dual_bitop2_b32 v114, 7, v9 bitop3:0x40
	s_mov_b32 s15, exec_lo
	v_cmpx_gt_u32_e32 8, v11
; %bb.2110:                             ;   in Loop: Header=BB212_1069 Depth=1
	s_delay_alu instid0(VALU_DEP_2) | instskip(NEXT) | instid1(VALU_DEP_1)
	v_clz_i32_u32_e32 v10, v114
	v_min_u32_e32 v102, 32, v10
	s_delay_alu instid0(VALU_DEP_1) | instskip(SKIP_1) | instid1(VALU_DEP_2)
	v_subrev_nc_u32_e32 v10, 28, v102
	v_sub_nc_u32_e32 v102, 29, v102
	v_lshlrev_b64_e32 v[10:11], v10, v[114:115]
	s_delay_alu instid0(VALU_DEP_1)
	v_and_b32_e32 v114, 7, v10
; %bb.2111:                             ;   in Loop: Header=BB212_1069 Depth=1
	s_or_b32 exec_lo, exec_lo, s15
	s_delay_alu instid0(VALU_DEP_1) | instskip(SKIP_1) | instid1(VALU_DEP_2)
	v_dual_lshlrev_b32 v9, 24, v9 :: v_dual_lshlrev_b32 v10, 20, v114
	v_lshl_add_u32 v11, v102, 23, 0x3c000000
	v_and_b32_e32 v9, 0x80000000, v9
	s_delay_alu instid0(VALU_DEP_1) | instskip(NEXT) | instid1(VALU_DEP_1)
	v_or3_b32 v114, v10, v9, v11
	v_mov_b64_e32 v[102:103], v[114:115]
.LBB212_2112:                           ;   in Loop: Header=BB212_1069 Depth=1
	s_or_b32 exec_lo, exec_lo, s14
.LBB212_2113:                           ;   in Loop: Header=BB212_1069 Depth=1
	s_delay_alu instid0(SALU_CYCLE_1)
	s_or_b32 exec_lo, exec_lo, s9
.LBB212_2114:                           ;   in Loop: Header=BB212_1069 Depth=1
	s_delay_alu instid0(SALU_CYCLE_1) | instskip(NEXT) | instid1(SALU_CYCLE_1)
	s_or_b32 exec_lo, exec_lo, s8
	s_mov_b32 s8, exec_lo
	v_cmpx_lt_u32_e32 0xffffff, v8
	s_cbranch_execz .LBB212_2122
; %bb.2115:                             ;   in Loop: Header=BB212_1069 Depth=1
	v_mov_b64_e32 v[54:55], 0x8000000000000000
	v_lshrrev_b32_e32 v9, 24, v8
	s_mov_b32 s9, exec_lo
	s_delay_alu instid0(VALU_DEP_1)
	v_cmpx_ne_u32_e32 0x80, v9
	s_cbranch_execz .LBB212_2121
; %bb.2116:                             ;   in Loop: Header=BB212_1069 Depth=1
	v_mov_b64_e32 v[54:55], 0x7f80000100000000
	v_bfe_u32 v11, v8, 24, 7
	s_mov_b32 s14, exec_lo
	s_delay_alu instid0(VALU_DEP_1)
	v_cmpx_ne_u32_e32 0x7f, v11
	s_cbranch_execz .LBB212_2120
; %bb.2117:                             ;   in Loop: Header=BB212_1069 Depth=1
	v_dual_lshrrev_b32 v8, 3, v11 :: v_dual_bitop2_b32 v114, 7, v9 bitop3:0x40
	s_mov_b32 s15, exec_lo
	v_cmpx_gt_u32_e32 8, v11
; %bb.2118:                             ;   in Loop: Header=BB212_1069 Depth=1
	s_delay_alu instid0(VALU_DEP_2) | instskip(NEXT) | instid1(VALU_DEP_1)
	v_clz_i32_u32_e32 v8, v114
	v_min_u32_e32 v8, 32, v8
	s_delay_alu instid0(VALU_DEP_1) | instskip(NEXT) | instid1(VALU_DEP_1)
	v_subrev_nc_u32_e32 v10, 28, v8
	v_lshlrev_b64_e32 v[10:11], v10, v[114:115]
	s_delay_alu instid0(VALU_DEP_1)
	v_dual_sub_nc_u32 v8, 29, v8 :: v_dual_bitop2_b32 v114, 7, v10 bitop3:0x40
; %bb.2119:                             ;   in Loop: Header=BB212_1069 Depth=1
	s_or_b32 exec_lo, exec_lo, s15
	s_delay_alu instid0(VALU_DEP_1) | instskip(NEXT) | instid1(VALU_DEP_2)
	v_dual_lshlrev_b32 v9, 24, v9 :: v_dual_lshlrev_b32 v10, 20, v114
	v_lshl_add_u32 v8, v8, 23, 0x3c000000
	v_mov_b32_e32 v54, v115
	s_delay_alu instid0(VALU_DEP_3) | instskip(NEXT) | instid1(VALU_DEP_1)
	v_and_b32_e32 v9, 0x80000000, v9
	v_or3_b32 v55, v10, v9, v8
.LBB212_2120:                           ;   in Loop: Header=BB212_1069 Depth=1
	s_or_b32 exec_lo, exec_lo, s14
.LBB212_2121:                           ;   in Loop: Header=BB212_1069 Depth=1
	s_delay_alu instid0(SALU_CYCLE_1)
	s_or_b32 exec_lo, exec_lo, s9
.LBB212_2122:                           ;   in Loop: Header=BB212_1069 Depth=1
	s_delay_alu instid0(SALU_CYCLE_1) | instskip(SKIP_4) | instid1(VALU_DEP_3)
	s_or_b32 exec_lo, exec_lo, s8
	v_or_b32_e32 v9, v99, v101
	v_or_b32_e32 v8, v98, v100
	;; [unrolled: 1-line block ×4, first 2 shown]
	v_pk_mul_f32 v[98:99], v[82:83], v[8:9]
	s_delay_alu instid0(VALU_DEP_2)
	v_pk_mul_f32 v[102:103], v[82:83], v[10:11]
	s_and_saveexec_b32 s8, vcc_lo
	s_cbranch_execz .LBB212_2124
; %bb.2123:                             ;   in Loop: Header=BB212_1069 Depth=1
	scratch_load_b64 v[8:9], off, s32 offset:200 ; 8-byte Folded Reload
	s_wait_loadcnt 0x0
	v_cmp_lt_i32_e64 s0, v119, v8
	s_delay_alu instid0(VALU_DEP_1) | instskip(SKIP_1) | instid1(VALU_DEP_1)
	v_cndmask_b32_e64 v98, 0, v98, s0
	v_cmp_lt_i32_e64 s0, v40, v8
	v_cndmask_b32_e64 v99, 0, v99, s0
	v_cmp_lt_i32_e64 s0, v113, v8
	s_delay_alu instid0(VALU_DEP_1) | instskip(SKIP_1) | instid1(VALU_DEP_1)
	v_cndmask_b32_e64 v102, 0, v102, s0
	v_cmp_lt_i32_e64 s0, v112, v8
	v_cndmask_b32_e64 v103, 0, v103, s0
.LBB212_2124:                           ;   in Loop: Header=BB212_1069 Depth=1
	s_wait_xcnt 0x0
	s_or_b32 exec_lo, exec_lo, s8
	s_clause 0x1
	scratch_load_b64 v[8:9], off, s32 offset:500
	scratch_load_b64 v[10:11], off, s32 offset:468 th:TH_LOAD_LU
	v_mov_b64_e32 v[100:101], 0
	v_mov_b64_e32 v[54:55], 0
	s_mov_b32 s8, exec_lo
	s_wait_loadcnt 0x0
	v_add_nc_u64_e32 v[8:9], v[10:11], v[8:9]
	flat_load_b32 v41, v[8:9]
	s_wait_loadcnt_dscnt 0x0
	v_and_b32_e32 v8, 0xff, v41
	s_delay_alu instid0(VALU_DEP_1)
	v_cmpx_ne_u16_e32 0, v8
	s_cbranch_execz .LBB212_2132
; %bb.2125:                             ;   in Loop: Header=BB212_1069 Depth=1
	v_mov_b64_e32 v[54:55], 0x80000000
	s_mov_b32 s9, exec_lo
	v_cmpx_ne_u16_e32 0x80, v8
	s_cbranch_execz .LBB212_2131
; %bb.2126:                             ;   in Loop: Header=BB212_1069 Depth=1
	v_mov_b64_e32 v[54:55], 0x7f800001
	v_and_b32_e32 v9, 0x7f, v41
	s_mov_b32 s14, exec_lo
	s_delay_alu instid0(VALU_DEP_1)
	v_cmpx_ne_u32_e32 0x7f, v9
	s_cbranch_execz .LBB212_2130
; %bb.2127:                             ;   in Loop: Header=BB212_1069 Depth=1
	v_and_b32_e32 v114, 7, v41
	v_lshrrev_b32_e32 v8, 3, v9
	s_mov_b32 s15, exec_lo
	v_cmpx_gt_u32_e32 8, v9
; %bb.2128:                             ;   in Loop: Header=BB212_1069 Depth=1
	s_delay_alu instid0(VALU_DEP_3) | instskip(NEXT) | instid1(VALU_DEP_1)
	v_clz_i32_u32_e32 v8, v114
	v_min_u32_e32 v8, 32, v8
	s_delay_alu instid0(VALU_DEP_1) | instskip(NEXT) | instid1(VALU_DEP_1)
	v_subrev_nc_u32_e32 v9, 28, v8
	v_lshlrev_b64_e32 v[10:11], v9, v[114:115]
	s_delay_alu instid0(VALU_DEP_1)
	v_dual_sub_nc_u32 v8, 29, v8 :: v_dual_bitop2_b32 v114, 7, v10 bitop3:0x40
; %bb.2129:                             ;   in Loop: Header=BB212_1069 Depth=1
	s_or_b32 exec_lo, exec_lo, s15
	s_delay_alu instid0(VALU_DEP_1) | instskip(NEXT) | instid1(VALU_DEP_2)
	v_dual_lshlrev_b32 v9, 24, v41 :: v_dual_lshlrev_b32 v10, 20, v114
	v_lshl_add_u32 v8, v8, 23, 0x3c000000
	s_delay_alu instid0(VALU_DEP_2) | instskip(NEXT) | instid1(VALU_DEP_1)
	v_and_b32_e32 v9, 0x80000000, v9
	v_or3_b32 v114, v10, v9, v8
	s_delay_alu instid0(VALU_DEP_1)
	v_mov_b64_e32 v[54:55], v[114:115]
.LBB212_2130:                           ;   in Loop: Header=BB212_1069 Depth=1
	s_or_b32 exec_lo, exec_lo, s14
.LBB212_2131:                           ;   in Loop: Header=BB212_1069 Depth=1
	s_delay_alu instid0(SALU_CYCLE_1)
	s_or_b32 exec_lo, exec_lo, s9
.LBB212_2132:                           ;   in Loop: Header=BB212_1069 Depth=1
	s_delay_alu instid0(SALU_CYCLE_1) | instskip(SKIP_2) | instid1(VALU_DEP_1)
	s_or_b32 exec_lo, exec_lo, s8
	v_lshrrev_b16 v8, 8, v41
	s_mov_b32 s8, exec_lo
	v_cmpx_ne_u16_e32 0, v8
	s_cbranch_execz .LBB212_2140
; %bb.2133:                             ;   in Loop: Header=BB212_1069 Depth=1
	v_mov_b64_e32 v[100:101], 0x8000000000000000
	s_mov_b32 s9, exec_lo
	v_cmpx_ne_u16_e32 0x80, v8
	s_cbranch_execz .LBB212_2139
; %bb.2134:                             ;   in Loop: Header=BB212_1069 Depth=1
	v_and_b32_e32 v8, 0xffff, v8
	v_mov_b64_e32 v[100:101], 0x7f80000100000000
	s_mov_b32 s14, exec_lo
	s_delay_alu instid0(VALU_DEP_2) | instskip(NEXT) | instid1(VALU_DEP_1)
	v_and_b32_e32 v9, 0x7f, v8
	v_cmpx_ne_u32_e32 0x7f, v9
	s_cbranch_execz .LBB212_2138
; %bb.2135:                             ;   in Loop: Header=BB212_1069 Depth=1
	v_dual_lshrrev_b32 v8, 3, v9 :: v_dual_bitop2_b32 v114, 7, v8 bitop3:0x40
	s_mov_b32 s15, exec_lo
	v_cmpx_gt_u32_e32 8, v9
; %bb.2136:                             ;   in Loop: Header=BB212_1069 Depth=1
	s_delay_alu instid0(VALU_DEP_2) | instskip(NEXT) | instid1(VALU_DEP_1)
	v_clz_i32_u32_e32 v8, v114
	v_min_u32_e32 v8, 32, v8
	s_delay_alu instid0(VALU_DEP_1) | instskip(NEXT) | instid1(VALU_DEP_1)
	v_subrev_nc_u32_e32 v9, 28, v8
	v_lshlrev_b64_e32 v[10:11], v9, v[114:115]
	s_delay_alu instid0(VALU_DEP_1)
	v_dual_sub_nc_u32 v8, 29, v8 :: v_dual_bitop2_b32 v114, 7, v10 bitop3:0x40
; %bb.2137:                             ;   in Loop: Header=BB212_1069 Depth=1
	s_or_b32 exec_lo, exec_lo, s15
	s_delay_alu instid0(VALU_DEP_1) | instskip(NEXT) | instid1(VALU_DEP_2)
	v_dual_lshlrev_b32 v9, 16, v41 :: v_dual_lshlrev_b32 v10, 20, v114
	v_lshl_add_u32 v8, v8, 23, 0x3c000000
	v_mov_b32_e32 v100, v115
	s_delay_alu instid0(VALU_DEP_3) | instskip(NEXT) | instid1(VALU_DEP_1)
	v_and_b32_e32 v9, 0x80000000, v9
	v_or3_b32 v101, v10, v9, v8
.LBB212_2138:                           ;   in Loop: Header=BB212_1069 Depth=1
	s_or_b32 exec_lo, exec_lo, s14
.LBB212_2139:                           ;   in Loop: Header=BB212_1069 Depth=1
	s_delay_alu instid0(SALU_CYCLE_1)
	s_or_b32 exec_lo, exec_lo, s9
.LBB212_2140:                           ;   in Loop: Header=BB212_1069 Depth=1
	s_delay_alu instid0(SALU_CYCLE_1) | instskip(SKIP_4) | instid1(VALU_DEP_3)
	s_or_b32 exec_lo, exec_lo, s8
	v_lshrrev_b32_e32 v42, 16, v41
	v_mov_b64_e32 v[112:113], 0
	v_mov_b64_e32 v[8:9], 0
	s_mov_b32 s8, exec_lo
	v_and_b32_e32 v11, 0xff, v42
	s_delay_alu instid0(VALU_DEP_1)
	v_cmpx_ne_u16_e32 0, v11
	s_cbranch_execz .LBB212_2148
; %bb.2141:                             ;   in Loop: Header=BB212_1069 Depth=1
	v_mov_b64_e32 v[8:9], 0x80000000
	s_mov_b32 s9, exec_lo
	v_cmpx_ne_u16_e32 0x80, v11
	s_cbranch_execz .LBB212_2147
; %bb.2142:                             ;   in Loop: Header=BB212_1069 Depth=1
	v_mov_b64_e32 v[8:9], 0x7f800001
	v_bfe_u32 v11, v41, 16, 7
	s_mov_b32 s14, exec_lo
	s_delay_alu instid0(VALU_DEP_1)
	v_cmpx_ne_u32_e32 0x7f, v11
	s_cbranch_execz .LBB212_2146
; %bb.2143:                             ;   in Loop: Header=BB212_1069 Depth=1
	v_dual_lshrrev_b32 v8, 3, v11 :: v_dual_bitop2_b32 v114, 7, v42 bitop3:0x40
	s_mov_b32 s15, exec_lo
	v_cmpx_gt_u32_e32 8, v11
; %bb.2144:                             ;   in Loop: Header=BB212_1069 Depth=1
	s_delay_alu instid0(VALU_DEP_2) | instskip(NEXT) | instid1(VALU_DEP_1)
	v_clz_i32_u32_e32 v8, v114
	v_min_u32_e32 v8, 32, v8
	s_delay_alu instid0(VALU_DEP_1) | instskip(NEXT) | instid1(VALU_DEP_1)
	v_subrev_nc_u32_e32 v9, 28, v8
	v_lshlrev_b64_e32 v[10:11], v9, v[114:115]
	s_delay_alu instid0(VALU_DEP_1)
	v_dual_sub_nc_u32 v8, 29, v8 :: v_dual_bitop2_b32 v114, 7, v10 bitop3:0x40
; %bb.2145:                             ;   in Loop: Header=BB212_1069 Depth=1
	s_or_b32 exec_lo, exec_lo, s15
	v_lshlrev_b32_e32 v9, 24, v42
	s_delay_alu instid0(VALU_DEP_2) | instskip(NEXT) | instid1(VALU_DEP_3)
	v_lshlrev_b32_e32 v10, 20, v114
	v_lshl_add_u32 v8, v8, 23, 0x3c000000
	s_delay_alu instid0(VALU_DEP_3) | instskip(NEXT) | instid1(VALU_DEP_1)
	v_and_b32_e32 v9, 0x80000000, v9
	v_or3_b32 v114, v10, v9, v8
	s_delay_alu instid0(VALU_DEP_1)
	v_mov_b64_e32 v[8:9], v[114:115]
.LBB212_2146:                           ;   in Loop: Header=BB212_1069 Depth=1
	s_or_b32 exec_lo, exec_lo, s14
.LBB212_2147:                           ;   in Loop: Header=BB212_1069 Depth=1
	s_delay_alu instid0(SALU_CYCLE_1)
	s_or_b32 exec_lo, exec_lo, s9
.LBB212_2148:                           ;   in Loop: Header=BB212_1069 Depth=1
	s_delay_alu instid0(SALU_CYCLE_1) | instskip(NEXT) | instid1(SALU_CYCLE_1)
	s_or_b32 exec_lo, exec_lo, s8
	s_mov_b32 s8, exec_lo
	v_cmpx_lt_u32_e32 0xffffff, v41
	s_cbranch_execz .LBB212_2156
; %bb.2149:                             ;   in Loop: Header=BB212_1069 Depth=1
	v_mov_b64_e32 v[112:113], 0x8000000000000000
	v_lshrrev_b32_e32 v42, 24, v41
	s_mov_b32 s9, exec_lo
	s_delay_alu instid0(VALU_DEP_1)
	v_cmpx_ne_u32_e32 0x80, v42
	s_cbranch_execz .LBB212_2155
; %bb.2150:                             ;   in Loop: Header=BB212_1069 Depth=1
	v_mov_b64_e32 v[112:113], 0x7f80000100000000
	v_bfe_u32 v11, v41, 24, 7
	s_mov_b32 s14, exec_lo
	s_delay_alu instid0(VALU_DEP_1)
	v_cmpx_ne_u32_e32 0x7f, v11
	s_cbranch_execz .LBB212_2154
; %bb.2151:                             ;   in Loop: Header=BB212_1069 Depth=1
	v_dual_lshrrev_b32 v112, 3, v11 :: v_dual_bitop2_b32 v114, 7, v42 bitop3:0x40
	s_mov_b32 s15, exec_lo
	v_cmpx_gt_u32_e32 8, v11
; %bb.2152:                             ;   in Loop: Header=BB212_1069 Depth=1
	s_delay_alu instid0(VALU_DEP_2) | instskip(NEXT) | instid1(VALU_DEP_1)
	v_clz_i32_u32_e32 v10, v114
	v_min_u32_e32 v112, 32, v10
	s_delay_alu instid0(VALU_DEP_1) | instskip(NEXT) | instid1(VALU_DEP_1)
	v_subrev_nc_u32_e32 v10, 28, v112
	v_lshlrev_b64_e32 v[10:11], v10, v[114:115]
	s_delay_alu instid0(VALU_DEP_1)
	v_dual_sub_nc_u32 v112, 29, v112 :: v_dual_bitop2_b32 v114, 7, v10 bitop3:0x40
; %bb.2153:                             ;   in Loop: Header=BB212_1069 Depth=1
	s_or_b32 exec_lo, exec_lo, s15
	v_lshlrev_b32_e32 v10, 24, v42
	s_delay_alu instid0(VALU_DEP_2) | instskip(NEXT) | instid1(VALU_DEP_3)
	v_lshlrev_b32_e32 v11, 20, v114
	v_lshl_add_u32 v112, v112, 23, 0x3c000000
	s_delay_alu instid0(VALU_DEP_3) | instskip(NEXT) | instid1(VALU_DEP_1)
	v_and_b32_e32 v10, 0x80000000, v10
	v_or3_b32 v113, v11, v10, v112
	v_mov_b32_e32 v112, v115
.LBB212_2154:                           ;   in Loop: Header=BB212_1069 Depth=1
	s_or_b32 exec_lo, exec_lo, s14
.LBB212_2155:                           ;   in Loop: Header=BB212_1069 Depth=1
	s_delay_alu instid0(SALU_CYCLE_1)
	s_or_b32 exec_lo, exec_lo, s9
.LBB212_2156:                           ;   in Loop: Header=BB212_1069 Depth=1
	s_delay_alu instid0(SALU_CYCLE_1) | instskip(SKIP_4) | instid1(VALU_DEP_3)
	s_or_b32 exec_lo, exec_lo, s8
	v_or_b32_e32 v11, v101, v55
	v_or_b32_e32 v10, v100, v54
	;; [unrolled: 1-line block ×4, first 2 shown]
	v_pk_mul_f32 v[100:101], v[82:83], v[10:11]
	s_delay_alu instid0(VALU_DEP_2)
	v_pk_mul_f32 v[82:83], v[82:83], v[8:9]
	s_and_saveexec_b32 s8, vcc_lo
	s_cbranch_execz .LBB212_1067
; %bb.2157:                             ;   in Loop: Header=BB212_1069 Depth=1
	scratch_load_b64 v[8:9], off, s32 offset:200 ; 8-byte Folded Reload
	s_wait_loadcnt 0x0
	v_mov_b32_e32 v10, v8
	scratch_load_b64 v[8:9], off, s32 offset:508 ; 8-byte Folded Reload
	s_wait_loadcnt 0x0
	v_mov_b32_e32 v11, v9
	v_cmp_lt_i32_e32 vcc_lo, v119, v10
	v_or_b32_e32 v9, 2, v119
	s_delay_alu instid0(VALU_DEP_3) | instskip(SKIP_1) | instid1(VALU_DEP_3)
	v_cmp_lt_i32_e64 s0, v40, v11
	v_cndmask_b32_e32 v100, 0, v100, vcc_lo
	v_cmp_lt_i32_e32 vcc_lo, v9, v10
	s_delay_alu instid0(VALU_DEP_3) | instskip(SKIP_1) | instid1(VALU_DEP_2)
	v_dual_cndmask_b32 v101, 0, v101, s0 :: v_dual_bitop2_b32 v8, 3, v119 bitop3:0x54
	v_cndmask_b32_e32 v82, 0, v82, vcc_lo
	v_cmp_lt_i32_e64 s0, v8, v11
	s_delay_alu instid0(VALU_DEP_1)
	v_cndmask_b32_e64 v83, 0, v83, s0
	s_branch .LBB212_1067
.LBB212_2158:
	s_or_b32 exec_lo, exec_lo, s2
	s_clause 0x2
	scratch_load_b32 v53, off, s32 offset:516
	scratch_load_b32 v52, off, s32 offset:524
	;; [unrolled: 1-line block ×3, first 2 shown]
.LBB212_2159:
	s_wait_xcnt 0x0
	s_or_b32 exec_lo, exec_lo, s1
	s_wait_loadcnt 0x1
	ds_bpermute_b32 v0, v52, v16
	ds_bpermute_b32 v1, v52, v17
	;; [unrolled: 1-line block ×18, first 2 shown]
	s_wait_storecnt 0x0
	s_wait_loadcnt_dscnt 0x0
	s_barrier_signal -1
	s_barrier_wait -1
	v_pk_add_f32 v[0:1], v[16:17], v[0:1]
	ds_bpermute_b32 v16, v52, v38
	v_pk_add_f32 v[2:3], v[20:21], v[2:3]
	ds_bpermute_b32 v17, v52, v39
	;; [unrolled: 2-line block ×3, first 2 shown]
	ds_bpermute_b32 v19, v53, v1
	ds_bpermute_b32 v20, v53, v2
	ds_bpermute_b32 v21, v53, v3
	ds_bpermute_b32 v22, v53, v4
	ds_bpermute_b32 v23, v53, v5
	v_pk_add_f32 v[8:9], v[26:27], v[8:9]
	v_pk_add_f32 v[10:11], v[28:29], v[10:11]
	;; [unrolled: 1-line block ×5, first 2 shown]
	ds_bpermute_b32 v28, v53, v8
	ds_bpermute_b32 v29, v53, v9
	;; [unrolled: 1-line block ×6, first 2 shown]
	v_pk_add_f32 v[6:7], v[84:85], v[6:7]
	s_wait_dscnt 0xc
	v_pk_add_f32 v[16:17], v[38:39], v[16:17]
	ds_bpermute_b32 v26, v52, v68
	ds_bpermute_b32 v27, v52, v69
	s_wait_dscnt 0xc
	v_pk_add_f32 v[0:1], v[0:1], v[18:19]
	s_wait_dscnt 0x0
	v_pk_add_f32 v[2:3], v[2:3], v[20:21]
	ds_bpermute_b32 v48, v53, v16
	v_pk_add_f32 v[20:21], v[4:5], v[22:23]
	ds_bpermute_b32 v4, v43, v0
	ds_bpermute_b32 v5, v43, v1
	;; [unrolled: 1-line block ×6, first 2 shown]
	v_pk_add_f32 v[8:9], v[8:9], v[28:29]
	ds_bpermute_b32 v49, v53, v17
	v_pk_add_f32 v[10:11], v[10:11], v[30:31]
	ds_bpermute_b32 v28, v52, v96
	;; [unrolled: 2-line block ×3, first 2 shown]
	ds_bpermute_b32 v30, v52, v80
	ds_bpermute_b32 v31, v52, v81
	;; [unrolled: 1-line block ×4, first 2 shown]
	v_pk_add_f32 v[26:27], v[68:69], v[26:27]
	ds_bpermute_b32 v36, v52, v54
	ds_bpermute_b32 v37, v52, v55
	;; [unrolled: 1-line block ×4, first 2 shown]
	s_wait_dscnt 0xf
	v_pk_add_f32 v[4:5], v[0:1], v[4:5]
	ds_bpermute_b32 v18, v53, v14
	s_wait_dscnt 0xe
	v_pk_add_f32 v[2:3], v[2:3], v[22:23]
	ds_bpermute_b32 v22, v52, v98
	;; [unrolled: 3-line block ×3, first 2 shown]
	ds_bpermute_b32 v21, v53, v25
	ds_bpermute_b32 v23, v52, v99
	s_wait_dscnt 0xf
	v_pk_add_f32 v[16:17], v[16:17], v[48:49]
	ds_bpermute_b32 v34, v43, v12
	s_wait_dscnt 0xe
	v_pk_add_f32 v[28:29], v[96:97], v[28:29]
	ds_bpermute_b32 v35, v43, v13
	ds_bpermute_b32 v19, v53, v15
	;; [unrolled: 1-line block ×3, first 2 shown]
	s_wait_dscnt 0xd
	v_pk_add_f32 v[6:7], v[6:7], v[32:33]
	ds_bpermute_b32 v71, v43, v17
	ds_bpermute_b32 v48, v53, v26
	s_wait_dscnt 0xd
	v_pk_add_f32 v[36:37], v[54:55], v[36:37]
	ds_bpermute_b32 v49, v53, v27
	ds_bpermute_b32 v82, v43, v6
	;; [unrolled: 1-line block ×3, first 2 shown]
	s_wait_dscnt 0xe
	v_pk_add_f32 v[38:39], v[86:87], v[38:39]
	ds_bpermute_b32 v54, v53, v36
	ds_bpermute_b32 v55, v53, v37
	;; [unrolled: 1-line block ×4, first 2 shown]
	s_wait_dscnt 0xe
	v_pk_add_f32 v[66:67], v[24:25], v[20:21]
	s_wait_dscnt 0xd
	v_pk_add_f32 v[22:23], v[98:99], v[22:23]
	v_pk_add_f32 v[20:21], v[80:81], v[30:31]
	ds_bpermute_b32 v30, v53, v28
	ds_bpermute_b32 v31, v53, v29
	;; [unrolled: 1-line block ×8, first 2 shown]
	s_wait_dscnt 0x12
	v_pk_add_f32 v[14:15], v[14:15], v[18:19]
	s_wait_dscnt 0xe
	v_pk_add_f32 v[48:49], v[26:27], v[48:49]
	ds_bpermute_b32 v18, v43, v8
	ds_bpermute_b32 v19, v43, v9
	;; [unrolled: 1-line block ×4, first 2 shown]
	s_wait_dscnt 0xe
	v_pk_add_f32 v[36:37], v[36:37], v[54:55]
	ds_bpermute_b32 v53, v43, v15
	ds_bpermute_b32 v81, v43, v67
	ds_bpermute_b32 v54, v43, v48
	ds_bpermute_b32 v55, v43, v49
	s_load_b32 s0, s[6:7], 0x0
	s_wait_dscnt 0x10
	v_pk_add_f32 v[26:27], v[10:11], v[50:51]
	s_wait_dscnt 0xe
	v_pk_add_f32 v[96:97], v[28:29], v[30:31]
	s_mov_b32 s1, exec_lo
	s_wait_dscnt 0xb
	v_pk_add_f32 v[84:85], v[22:23], v[24:25]
	v_pk_add_f32 v[24:25], v[12:13], v[34:35]
	s_wait_dscnt 0x9
	v_pk_add_f32 v[30:31], v[20:21], v[68:69]
	v_pk_add_f32 v[20:21], v[16:17], v[70:71]
	v_pk_add_f32 v[16:17], v[6:7], v[82:83]
	s_clause 0x1
	scratch_load_b32 v6, off, s32 offset:996
	scratch_load_b32 v34, off, s32 offset:992 th:TH_LOAD_LU
	s_wait_dscnt 0x8
	v_pk_add_f32 v[38:39], v[38:39], v[64:65]
	ds_bpermute_b32 v64, v43, v36
	ds_bpermute_b32 v65, v43, v37
	ds_bpermute_b32 v68, v43, v84
	ds_bpermute_b32 v69, v43, v85
	ds_bpermute_b32 v86, v43, v38
	ds_bpermute_b32 v87, v43, v39
	ds_bpermute_b32 v98, v43, v96
	ds_bpermute_b32 v99, v43, v97
	ds_bpermute_b32 v32, v43, v30
	ds_bpermute_b32 v33, v43, v31
	s_wait_dscnt 0x10
	v_pk_add_f32 v[28:29], v[8:9], v[18:19]
	s_wait_dscnt 0xd
	v_pk_add_f32 v[22:23], v[14:15], v[52:53]
	;; [unrolled: 2-line block ×7, first 2 shown]
	s_wait_loadcnt 0x1
	v_and_b32_e32 v35, 0x3c7, v6
	s_wait_dscnt 0x2
	v_pk_add_f32 v[6:7], v[96:97], v[98:99]
	s_wait_loadcnt 0x0
	v_lshrrev_b32_e32 v34, 3, v34
	v_cmpx_ne_u32_e32 64, v35
	s_xor_b32 s1, exec_lo, s1
	s_delay_alu instid0(SALU_CYCLE_1)
	s_or_saveexec_b32 s1, s1
	s_wait_dscnt 0x0
	v_pk_add_f32 v[30:31], v[30:31], v[32:33]
	scratch_load_b32 v32, off, s32 offset:1548 th:TH_LOAD_LU ; 4-byte Folded Reload
	s_wait_kmcnt 0x0
	v_lshl_add_u32 v33, v34, 2, s0
	s_wait_loadcnt 0x0
	v_lshlrev_b32_e32 v32, 9, v32
	s_xor_b32 exec_lo, exec_lo, s1
	s_cbranch_execz .LBB212_2161
; %bb.2160:
	s_delay_alu instid0(VALU_DEP_1) | instskip(NEXT) | instid1(VALU_DEP_1)
	v_add_nc_u32_e32 v35, v33, v32
	v_add_nc_u32_e32 v36, 0xfffffc00, v35
	;; [unrolled: 1-line block ×9, first 2 shown]
	ds_store_b32 v36, v4
	ds_store_b32 v37, v5
	ds_store_b32 v38, v2
	ds_store_b32 v39, v3
	ds_store_b32 v48, v0
	ds_store_b32 v49, v1
	ds_store_b32 v50, v28
	ds_store_b32 v51, v29
	v_add_nc_u32_e32 v36, 0xfffffc80, v35
	v_add_nc_u32_e32 v37, 0xfffffc90, v35
	v_add_nc_u32_e32 v38, 0xfffffca0, v35
	v_add_nc_u32_e32 v39, 0xfffffcb0, v35
	v_add_nc_u32_e32 v48, 0xfffffcc0, v35
	v_add_nc_u32_e32 v49, 0xfffffcd0, v35
	v_add_nc_u32_e32 v50, 0xfffffce0, v35
	v_add_nc_u32_e32 v51, 0xfffffcf0, v35
	ds_store_b32 v36, v26
	ds_store_b32 v37, v27
	ds_store_b32 v38, v24
	ds_store_b32 v39, v25
	ds_store_b32 v48, v22
	ds_store_b32 v49, v23
	ds_store_b32 v50, v20
	ds_store_b32 v51, v21
	v_add_nc_u32_e32 v36, 0xfffffd00, v35
	v_add_nc_u32_e32 v37, 0xfffffd10, v35
	v_add_nc_u32_e32 v38, 0xfffffd20, v35
	v_add_nc_u32_e32 v39, 0xfffffd30, v35
	v_add_nc_u32_e32 v48, 0xfffffd40, v35
	v_add_nc_u32_e32 v49, 0xfffffd50, v35
	v_add_nc_u32_e32 v50, 0xfffffd60, v35
	v_add_nc_u32_e32 v51, 0xfffffd70, v35
	;; [unrolled: 16-line block ×3, first 2 shown]
	ds_store_b32 v36, v12
	ds_store_b32 v37, v13
	;; [unrolled: 1-line block ×8, first 2 shown]
.LBB212_2161:
	s_or_b32 exec_lo, exec_lo, s1
	v_lshlrev_b32_e32 v34, 2, v34
	s_mov_b32 s1, exec_lo
	v_cmp_eq_u32_e32 vcc_lo, 0, v100
	s_delay_alu instid0(VALU_DEP_2)
	v_add3_u32 v32, s0, v32, v34
	scratch_load_b32 v34, off, s32 offset:996 ; 4-byte Folded Reload
	s_wait_loadcnt_dscnt 0x0
	s_barrier_signal -1
	s_barrier_wait -1
	v_cmpx_gt_u32_e32 64, v34
	s_cbranch_execz .LBB212_2196
; %bb.2162:
	s_and_saveexec_b32 s0, vcc_lo
	s_cbranch_execnz .LBB212_2236
; %bb.2163:
	s_or_b32 exec_lo, exec_lo, s0
	s_and_saveexec_b32 s0, vcc_lo
	s_cbranch_execnz .LBB212_2237
.LBB212_2164:
	s_or_b32 exec_lo, exec_lo, s0
	s_and_saveexec_b32 s0, vcc_lo
	s_cbranch_execnz .LBB212_2238
.LBB212_2165:
	s_or_b32 exec_lo, exec_lo, s0
	s_and_saveexec_b32 s0, vcc_lo
	s_cbranch_execnz .LBB212_2239
.LBB212_2166:
	s_or_b32 exec_lo, exec_lo, s0
	s_and_saveexec_b32 s0, vcc_lo
	s_cbranch_execnz .LBB212_2240
.LBB212_2167:
	s_or_b32 exec_lo, exec_lo, s0
	s_and_saveexec_b32 s0, vcc_lo
	s_cbranch_execnz .LBB212_2241
.LBB212_2168:
	s_or_b32 exec_lo, exec_lo, s0
	s_and_saveexec_b32 s0, vcc_lo
	s_cbranch_execnz .LBB212_2242
.LBB212_2169:
	s_or_b32 exec_lo, exec_lo, s0
	s_and_saveexec_b32 s0, vcc_lo
	s_cbranch_execnz .LBB212_2243
.LBB212_2170:
	s_or_b32 exec_lo, exec_lo, s0
	s_and_saveexec_b32 s0, vcc_lo
	s_cbranch_execnz .LBB212_2244
.LBB212_2171:
	s_or_b32 exec_lo, exec_lo, s0
	s_and_saveexec_b32 s0, vcc_lo
	s_cbranch_execnz .LBB212_2245
.LBB212_2172:
	s_or_b32 exec_lo, exec_lo, s0
	s_and_saveexec_b32 s0, vcc_lo
	s_cbranch_execnz .LBB212_2246
.LBB212_2173:
	s_or_b32 exec_lo, exec_lo, s0
	s_and_saveexec_b32 s0, vcc_lo
	s_cbranch_execnz .LBB212_2247
.LBB212_2174:
	s_or_b32 exec_lo, exec_lo, s0
	s_and_saveexec_b32 s0, vcc_lo
	s_cbranch_execnz .LBB212_2248
.LBB212_2175:
	s_or_b32 exec_lo, exec_lo, s0
	s_and_saveexec_b32 s0, vcc_lo
	s_cbranch_execnz .LBB212_2249
.LBB212_2176:
	s_or_b32 exec_lo, exec_lo, s0
	s_and_saveexec_b32 s0, vcc_lo
	s_cbranch_execnz .LBB212_2250
.LBB212_2177:
	s_or_b32 exec_lo, exec_lo, s0
	s_and_saveexec_b32 s0, vcc_lo
	s_cbranch_execnz .LBB212_2251
.LBB212_2178:
	s_or_b32 exec_lo, exec_lo, s0
	s_and_saveexec_b32 s0, vcc_lo
	s_cbranch_execnz .LBB212_2252
.LBB212_2179:
	s_or_b32 exec_lo, exec_lo, s0
	s_and_saveexec_b32 s0, vcc_lo
	s_cbranch_execnz .LBB212_2253
.LBB212_2180:
	s_or_b32 exec_lo, exec_lo, s0
	s_and_saveexec_b32 s0, vcc_lo
	s_cbranch_execnz .LBB212_2254
.LBB212_2181:
	s_or_b32 exec_lo, exec_lo, s0
	s_and_saveexec_b32 s0, vcc_lo
	s_cbranch_execnz .LBB212_2255
.LBB212_2182:
	s_or_b32 exec_lo, exec_lo, s0
	s_and_saveexec_b32 s0, vcc_lo
	s_cbranch_execnz .LBB212_2256
.LBB212_2183:
	s_or_b32 exec_lo, exec_lo, s0
	s_and_saveexec_b32 s0, vcc_lo
	s_cbranch_execnz .LBB212_2257
.LBB212_2184:
	s_or_b32 exec_lo, exec_lo, s0
	s_and_saveexec_b32 s0, vcc_lo
	s_cbranch_execnz .LBB212_2258
.LBB212_2185:
	s_or_b32 exec_lo, exec_lo, s0
	s_and_saveexec_b32 s0, vcc_lo
	s_cbranch_execnz .LBB212_2259
.LBB212_2186:
	s_or_b32 exec_lo, exec_lo, s0
	s_and_saveexec_b32 s0, vcc_lo
	s_cbranch_execnz .LBB212_2260
.LBB212_2187:
	s_or_b32 exec_lo, exec_lo, s0
	s_and_saveexec_b32 s0, vcc_lo
	s_cbranch_execnz .LBB212_2261
.LBB212_2188:
	s_or_b32 exec_lo, exec_lo, s0
	s_and_saveexec_b32 s0, vcc_lo
	s_cbranch_execnz .LBB212_2262
.LBB212_2189:
	s_or_b32 exec_lo, exec_lo, s0
	s_and_saveexec_b32 s0, vcc_lo
	s_cbranch_execnz .LBB212_2263
.LBB212_2190:
	s_or_b32 exec_lo, exec_lo, s0
	s_and_saveexec_b32 s0, vcc_lo
	s_cbranch_execnz .LBB212_2264
.LBB212_2191:
	s_or_b32 exec_lo, exec_lo, s0
	s_and_saveexec_b32 s0, vcc_lo
	s_cbranch_execnz .LBB212_2265
.LBB212_2192:
	s_or_b32 exec_lo, exec_lo, s0
	s_and_saveexec_b32 s0, vcc_lo
	s_cbranch_execnz .LBB212_2266
.LBB212_2193:
	s_or_b32 exec_lo, exec_lo, s0
	s_and_saveexec_b32 s0, vcc_lo
	s_cbranch_execz .LBB212_2195
.LBB212_2194:
	ds_load_b32 v34, v32 offset:496
	s_wait_dscnt 0x0
	v_add_f32_e32 v31, v34, v31
.LBB212_2195:
	s_or_b32 exec_lo, exec_lo, s0
.LBB212_2196:
	s_delay_alu instid0(SALU_CYCLE_1)
	s_or_b32 exec_lo, exec_lo, s1
	scratch_load_b32 v34, off, s32 offset:996 ; 4-byte Folded Reload
	s_mov_b32 s1, exec_lo
	s_wait_loadcnt 0x0
	s_barrier_signal -1
	s_barrier_wait -1
	v_and_b32_e32 v34, 0x3e7, v34
	s_wait_xcnt 0x0
	s_delay_alu instid0(VALU_DEP_1)
	v_cmpx_eq_u32_e32 32, v34
	s_cbranch_execz .LBB212_2198
; %bb.2197:
	ds_store_2addr_b32 v33, v4, v5 offset1:4
	ds_store_2addr_b32 v33, v2, v3 offset0:8 offset1:12
	ds_store_2addr_b32 v33, v0, v1 offset0:16 offset1:20
	;; [unrolled: 1-line block ×15, first 2 shown]
.LBB212_2198:
	s_or_b32 exec_lo, exec_lo, s1
	scratch_load_b32 v33, off, s32 offset:996 ; 4-byte Folded Reload
	s_mov_b32 s1, exec_lo
	s_wait_loadcnt_dscnt 0x0
	s_barrier_signal -1
	s_barrier_wait -1
	v_cmpx_gt_u32_e32 32, v33
	s_cbranch_execz .LBB212_2233
; %bb.2199:
	s_and_saveexec_b32 s0, vcc_lo
	s_cbranch_execnz .LBB212_2267
; %bb.2200:
	s_or_b32 exec_lo, exec_lo, s0
	s_and_saveexec_b32 s0, vcc_lo
	s_cbranch_execnz .LBB212_2268
.LBB212_2201:
	s_or_b32 exec_lo, exec_lo, s0
	s_and_saveexec_b32 s0, vcc_lo
	s_cbranch_execnz .LBB212_2269
.LBB212_2202:
	s_or_b32 exec_lo, exec_lo, s0
	s_and_saveexec_b32 s0, vcc_lo
	s_cbranch_execnz .LBB212_2270
.LBB212_2203:
	s_or_b32 exec_lo, exec_lo, s0
	s_and_saveexec_b32 s0, vcc_lo
	s_cbranch_execnz .LBB212_2271
.LBB212_2204:
	s_or_b32 exec_lo, exec_lo, s0
	s_and_saveexec_b32 s0, vcc_lo
	s_cbranch_execnz .LBB212_2272
.LBB212_2205:
	s_or_b32 exec_lo, exec_lo, s0
	s_and_saveexec_b32 s0, vcc_lo
	s_cbranch_execnz .LBB212_2273
.LBB212_2206:
	s_or_b32 exec_lo, exec_lo, s0
	s_and_saveexec_b32 s0, vcc_lo
	s_cbranch_execnz .LBB212_2274
.LBB212_2207:
	s_or_b32 exec_lo, exec_lo, s0
	s_and_saveexec_b32 s0, vcc_lo
	s_cbranch_execnz .LBB212_2275
.LBB212_2208:
	s_or_b32 exec_lo, exec_lo, s0
	s_and_saveexec_b32 s0, vcc_lo
	s_cbranch_execnz .LBB212_2276
.LBB212_2209:
	s_or_b32 exec_lo, exec_lo, s0
	s_and_saveexec_b32 s0, vcc_lo
	s_cbranch_execnz .LBB212_2277
.LBB212_2210:
	s_or_b32 exec_lo, exec_lo, s0
	s_and_saveexec_b32 s0, vcc_lo
	s_cbranch_execnz .LBB212_2278
.LBB212_2211:
	s_or_b32 exec_lo, exec_lo, s0
	s_and_saveexec_b32 s0, vcc_lo
	s_cbranch_execnz .LBB212_2279
.LBB212_2212:
	s_or_b32 exec_lo, exec_lo, s0
	s_and_saveexec_b32 s0, vcc_lo
	s_cbranch_execnz .LBB212_2280
.LBB212_2213:
	s_or_b32 exec_lo, exec_lo, s0
	s_and_saveexec_b32 s0, vcc_lo
	s_cbranch_execnz .LBB212_2281
.LBB212_2214:
	s_or_b32 exec_lo, exec_lo, s0
	s_and_saveexec_b32 s0, vcc_lo
	s_cbranch_execnz .LBB212_2282
.LBB212_2215:
	s_or_b32 exec_lo, exec_lo, s0
	s_and_saveexec_b32 s0, vcc_lo
	s_cbranch_execnz .LBB212_2283
.LBB212_2216:
	s_or_b32 exec_lo, exec_lo, s0
	s_and_saveexec_b32 s0, vcc_lo
	s_cbranch_execnz .LBB212_2284
.LBB212_2217:
	s_or_b32 exec_lo, exec_lo, s0
	s_and_saveexec_b32 s0, vcc_lo
	s_cbranch_execnz .LBB212_2285
.LBB212_2218:
	s_or_b32 exec_lo, exec_lo, s0
	s_and_saveexec_b32 s0, vcc_lo
	s_cbranch_execnz .LBB212_2286
.LBB212_2219:
	s_or_b32 exec_lo, exec_lo, s0
	s_and_saveexec_b32 s0, vcc_lo
	s_cbranch_execnz .LBB212_2287
.LBB212_2220:
	s_or_b32 exec_lo, exec_lo, s0
	s_and_saveexec_b32 s0, vcc_lo
	s_cbranch_execnz .LBB212_2288
.LBB212_2221:
	s_or_b32 exec_lo, exec_lo, s0
	s_and_saveexec_b32 s0, vcc_lo
	s_cbranch_execnz .LBB212_2289
.LBB212_2222:
	s_or_b32 exec_lo, exec_lo, s0
	s_and_saveexec_b32 s0, vcc_lo
	s_cbranch_execnz .LBB212_2290
.LBB212_2223:
	s_or_b32 exec_lo, exec_lo, s0
	s_and_saveexec_b32 s0, vcc_lo
	s_cbranch_execnz .LBB212_2291
.LBB212_2224:
	s_or_b32 exec_lo, exec_lo, s0
	s_and_saveexec_b32 s0, vcc_lo
	s_cbranch_execnz .LBB212_2292
.LBB212_2225:
	s_or_b32 exec_lo, exec_lo, s0
	s_and_saveexec_b32 s0, vcc_lo
	s_cbranch_execnz .LBB212_2293
.LBB212_2226:
	s_or_b32 exec_lo, exec_lo, s0
	s_and_saveexec_b32 s0, vcc_lo
	s_cbranch_execnz .LBB212_2294
.LBB212_2227:
	s_or_b32 exec_lo, exec_lo, s0
	s_and_saveexec_b32 s0, vcc_lo
	s_cbranch_execnz .LBB212_2295
.LBB212_2228:
	s_or_b32 exec_lo, exec_lo, s0
	s_and_saveexec_b32 s0, vcc_lo
	s_cbranch_execnz .LBB212_2296
.LBB212_2229:
	s_or_b32 exec_lo, exec_lo, s0
	s_and_saveexec_b32 s0, vcc_lo
	s_cbranch_execnz .LBB212_2297
.LBB212_2230:
	s_or_b32 exec_lo, exec_lo, s0
	s_and_saveexec_b32 s0, vcc_lo
	s_cbranch_execz .LBB212_2232
.LBB212_2231:
	ds_load_b32 v32, v32 offset:496
	s_wait_dscnt 0x0
	v_add_f32_e32 v31, v32, v31
.LBB212_2232:
	s_or_b32 exec_lo, exec_lo, s0
.LBB212_2233:
	s_delay_alu instid0(SALU_CYCLE_1)
	s_or_b32 exec_lo, exec_lo, s1
	s_mov_b32 s1, 0
	s_mov_b32 s2, exec_lo
	s_barrier_signal -1
	s_barrier_wait -1
	v_cmpx_eq_u32_e32 0, v34
	s_cbranch_execz .LBB212_2235
; %bb.2234:
	s_clause 0x1
	scratch_load_b64 v[32:33], off, s32 offset:1588 th:TH_LOAD_LU
	scratch_load_b32 v34, off, s32 offset:996 th:TH_LOAD_LU
	s_and_b32 s0, 0xffff, s13
	v_mov_b32_e32 v35, 0
	s_cmp_lg_u32 s0, 0
	s_cselect_b32 s0, -1, 0
	s_delay_alu instid0(SALU_CYCLE_1)
	s_cmp_lg_u32 s0, 0
	s_add_co_ci_u32 s0, s5, 0
	s_bfe_u32 s8, ttmp6, 0x40014
	s_mul_i32 s5, s11, s0
	s_lshr_b32 s3, ttmp7, 16
	s_mul_i32 s5, s5, s12
	s_add_co_i32 s8, s8, 1
	s_lshl_b32 s6, s5, 7
	s_bfe_u32 s9, ttmp6, 0x40008
	s_ashr_i32 s7, s6, 31
	s_mul_i32 s4, s4, s0
	s_mul_i32 s0, s3, s8
	s_ashr_i32 s5, s4, 31
	s_add_co_i32 s9, s9, s0
	s_cmp_eq_u32 s10, 0
	s_cselect_b32 s0, s3, s9
	s_delay_alu instid0(SALU_CYCLE_1) | instskip(SKIP_4) | instid1(VALU_DEP_2)
	s_lshl_b32 s0, s0, 9
	s_wait_loadcnt 0x1
	v_lshl_add_u64 v[32:33], s[6:7], 2, v[32:33]
	s_wait_loadcnt 0x0
	v_lshrrev_b32_e32 v34, 1, v34
	v_lshl_add_u64 v[32:33], s[4:5], 2, v[32:33]
	s_delay_alu instid0(VALU_DEP_1) | instskip(NEXT) | instid1(VALU_DEP_1)
	v_add_nc_u64_e32 v[32:33], s[0:1], v[32:33]
	v_add_nc_u64_e32 v[32:33], v[32:33], v[34:35]
	s_clause 0x1f
	flat_store_b32 v[32:33], v4
	flat_store_b32 v[32:33], v5 offset:16
	flat_store_b32 v[32:33], v2 offset:32
	flat_store_b32 v[32:33], v3 offset:48
	flat_store_b32 v[32:33], v0 offset:64
	flat_store_b32 v[32:33], v1 offset:80
	flat_store_b32 v[32:33], v28 offset:96
	flat_store_b32 v[32:33], v29 offset:112
	flat_store_b32 v[32:33], v26 offset:128
	flat_store_b32 v[32:33], v27 offset:144
	flat_store_b32 v[32:33], v24 offset:160
	flat_store_b32 v[32:33], v25 offset:176
	flat_store_b32 v[32:33], v22 offset:192
	flat_store_b32 v[32:33], v23 offset:208
	flat_store_b32 v[32:33], v20 offset:224
	flat_store_b32 v[32:33], v21 offset:240
	flat_store_b32 v[32:33], v18 offset:256
	flat_store_b32 v[32:33], v19 offset:272
	flat_store_b32 v[32:33], v16 offset:288
	flat_store_b32 v[32:33], v17 offset:304
	flat_store_b32 v[32:33], v14 offset:320
	flat_store_b32 v[32:33], v15 offset:336
	flat_store_b32 v[32:33], v10 offset:352
	flat_store_b32 v[32:33], v11 offset:368
	flat_store_b32 v[32:33], v12 offset:384
	flat_store_b32 v[32:33], v13 offset:400
	flat_store_b32 v[32:33], v8 offset:416
	flat_store_b32 v[32:33], v9 offset:432
	flat_store_b32 v[32:33], v6 offset:448
	flat_store_b32 v[32:33], v7 offset:464
	flat_store_b32 v[32:33], v30 offset:480
	flat_store_b32 v[32:33], v31 offset:496
.LBB212_2235:
	s_wait_xcnt 0x0
	s_or_b32 exec_lo, exec_lo, s2
	s_clause 0x2f
	scratch_load_b32 v127, off, s32
	scratch_load_b32 v126, off, s32 offset:4
	scratch_load_b32 v125, off, s32 offset:8
	;; [unrolled: 1-line block ×47, first 2 shown]
	s_wait_loadcnt_dscnt 0x0
	s_set_pc_i64 s[30:31]
.LBB212_2236:
	ds_load_b32 v34, v32
	s_wait_dscnt 0x0
	v_add_f32_e32 v4, v34, v4
	s_or_b32 exec_lo, exec_lo, s0
	s_and_saveexec_b32 s0, vcc_lo
	s_cbranch_execz .LBB212_2164
.LBB212_2237:
	ds_load_b32 v34, v32 offset:16
	s_wait_dscnt 0x0
	v_add_f32_e32 v5, v34, v5
	s_or_b32 exec_lo, exec_lo, s0
	s_and_saveexec_b32 s0, vcc_lo
	s_cbranch_execz .LBB212_2165
.LBB212_2238:
	ds_load_b32 v34, v32 offset:32
	s_wait_dscnt 0x0
	v_add_f32_e32 v2, v34, v2
	s_or_b32 exec_lo, exec_lo, s0
	s_and_saveexec_b32 s0, vcc_lo
	s_cbranch_execz .LBB212_2166
.LBB212_2239:
	ds_load_b32 v34, v32 offset:48
	s_wait_dscnt 0x0
	v_add_f32_e32 v3, v34, v3
	s_or_b32 exec_lo, exec_lo, s0
	s_and_saveexec_b32 s0, vcc_lo
	s_cbranch_execz .LBB212_2167
.LBB212_2240:
	ds_load_b32 v34, v32 offset:64
	s_wait_dscnt 0x0
	v_add_f32_e32 v0, v34, v0
	s_or_b32 exec_lo, exec_lo, s0
	s_and_saveexec_b32 s0, vcc_lo
	s_cbranch_execz .LBB212_2168
.LBB212_2241:
	ds_load_b32 v34, v32 offset:80
	s_wait_dscnt 0x0
	v_add_f32_e32 v1, v34, v1
	s_or_b32 exec_lo, exec_lo, s0
	s_and_saveexec_b32 s0, vcc_lo
	s_cbranch_execz .LBB212_2169
.LBB212_2242:
	ds_load_b32 v34, v32 offset:96
	s_wait_dscnt 0x0
	v_add_f32_e32 v28, v34, v28
	s_or_b32 exec_lo, exec_lo, s0
	s_and_saveexec_b32 s0, vcc_lo
	s_cbranch_execz .LBB212_2170
.LBB212_2243:
	ds_load_b32 v34, v32 offset:112
	s_wait_dscnt 0x0
	v_add_f32_e32 v29, v34, v29
	s_or_b32 exec_lo, exec_lo, s0
	s_and_saveexec_b32 s0, vcc_lo
	s_cbranch_execz .LBB212_2171
.LBB212_2244:
	ds_load_b32 v34, v32 offset:128
	s_wait_dscnt 0x0
	v_add_f32_e32 v26, v34, v26
	s_or_b32 exec_lo, exec_lo, s0
	s_and_saveexec_b32 s0, vcc_lo
	s_cbranch_execz .LBB212_2172
.LBB212_2245:
	ds_load_b32 v34, v32 offset:144
	s_wait_dscnt 0x0
	v_add_f32_e32 v27, v34, v27
	s_or_b32 exec_lo, exec_lo, s0
	s_and_saveexec_b32 s0, vcc_lo
	s_cbranch_execz .LBB212_2173
.LBB212_2246:
	ds_load_b32 v34, v32 offset:160
	s_wait_dscnt 0x0
	v_add_f32_e32 v24, v34, v24
	s_or_b32 exec_lo, exec_lo, s0
	s_and_saveexec_b32 s0, vcc_lo
	s_cbranch_execz .LBB212_2174
.LBB212_2247:
	ds_load_b32 v34, v32 offset:176
	s_wait_dscnt 0x0
	v_add_f32_e32 v25, v34, v25
	s_or_b32 exec_lo, exec_lo, s0
	s_and_saveexec_b32 s0, vcc_lo
	s_cbranch_execz .LBB212_2175
.LBB212_2248:
	ds_load_b32 v34, v32 offset:192
	s_wait_dscnt 0x0
	v_add_f32_e32 v22, v34, v22
	s_or_b32 exec_lo, exec_lo, s0
	s_and_saveexec_b32 s0, vcc_lo
	s_cbranch_execz .LBB212_2176
.LBB212_2249:
	ds_load_b32 v34, v32 offset:208
	s_wait_dscnt 0x0
	v_add_f32_e32 v23, v34, v23
	s_or_b32 exec_lo, exec_lo, s0
	s_and_saveexec_b32 s0, vcc_lo
	s_cbranch_execz .LBB212_2177
.LBB212_2250:
	ds_load_b32 v34, v32 offset:224
	s_wait_dscnt 0x0
	v_add_f32_e32 v20, v34, v20
	s_or_b32 exec_lo, exec_lo, s0
	s_and_saveexec_b32 s0, vcc_lo
	s_cbranch_execz .LBB212_2178
.LBB212_2251:
	ds_load_b32 v34, v32 offset:240
	s_wait_dscnt 0x0
	v_add_f32_e32 v21, v34, v21
	s_or_b32 exec_lo, exec_lo, s0
	s_and_saveexec_b32 s0, vcc_lo
	s_cbranch_execz .LBB212_2179
.LBB212_2252:
	ds_load_b32 v34, v32 offset:256
	s_wait_dscnt 0x0
	v_add_f32_e32 v18, v34, v18
	s_or_b32 exec_lo, exec_lo, s0
	s_and_saveexec_b32 s0, vcc_lo
	s_cbranch_execz .LBB212_2180
.LBB212_2253:
	ds_load_b32 v34, v32 offset:272
	s_wait_dscnt 0x0
	v_add_f32_e32 v19, v34, v19
	s_or_b32 exec_lo, exec_lo, s0
	s_and_saveexec_b32 s0, vcc_lo
	s_cbranch_execz .LBB212_2181
.LBB212_2254:
	ds_load_b32 v34, v32 offset:288
	s_wait_dscnt 0x0
	v_add_f32_e32 v16, v34, v16
	s_or_b32 exec_lo, exec_lo, s0
	s_and_saveexec_b32 s0, vcc_lo
	s_cbranch_execz .LBB212_2182
.LBB212_2255:
	ds_load_b32 v34, v32 offset:304
	s_wait_dscnt 0x0
	v_add_f32_e32 v17, v34, v17
	s_or_b32 exec_lo, exec_lo, s0
	s_and_saveexec_b32 s0, vcc_lo
	s_cbranch_execz .LBB212_2183
.LBB212_2256:
	ds_load_b32 v34, v32 offset:320
	s_wait_dscnt 0x0
	v_add_f32_e32 v14, v34, v14
	s_or_b32 exec_lo, exec_lo, s0
	s_and_saveexec_b32 s0, vcc_lo
	s_cbranch_execz .LBB212_2184
.LBB212_2257:
	ds_load_b32 v34, v32 offset:336
	s_wait_dscnt 0x0
	v_add_f32_e32 v15, v34, v15
	s_or_b32 exec_lo, exec_lo, s0
	s_and_saveexec_b32 s0, vcc_lo
	s_cbranch_execz .LBB212_2185
.LBB212_2258:
	ds_load_b32 v34, v32 offset:352
	s_wait_dscnt 0x0
	v_add_f32_e32 v10, v34, v10
	s_or_b32 exec_lo, exec_lo, s0
	s_and_saveexec_b32 s0, vcc_lo
	s_cbranch_execz .LBB212_2186
.LBB212_2259:
	ds_load_b32 v34, v32 offset:368
	s_wait_dscnt 0x0
	v_add_f32_e32 v11, v34, v11
	s_or_b32 exec_lo, exec_lo, s0
	s_and_saveexec_b32 s0, vcc_lo
	s_cbranch_execz .LBB212_2187
.LBB212_2260:
	ds_load_b32 v34, v32 offset:384
	s_wait_dscnt 0x0
	v_add_f32_e32 v12, v34, v12
	s_or_b32 exec_lo, exec_lo, s0
	s_and_saveexec_b32 s0, vcc_lo
	s_cbranch_execz .LBB212_2188
.LBB212_2261:
	ds_load_b32 v34, v32 offset:400
	s_wait_dscnt 0x0
	v_add_f32_e32 v13, v34, v13
	s_or_b32 exec_lo, exec_lo, s0
	s_and_saveexec_b32 s0, vcc_lo
	s_cbranch_execz .LBB212_2189
.LBB212_2262:
	ds_load_b32 v34, v32 offset:416
	s_wait_dscnt 0x0
	v_add_f32_e32 v8, v34, v8
	s_or_b32 exec_lo, exec_lo, s0
	s_and_saveexec_b32 s0, vcc_lo
	s_cbranch_execz .LBB212_2190
.LBB212_2263:
	ds_load_b32 v34, v32 offset:432
	s_wait_dscnt 0x0
	v_add_f32_e32 v9, v34, v9
	s_or_b32 exec_lo, exec_lo, s0
	s_and_saveexec_b32 s0, vcc_lo
	s_cbranch_execz .LBB212_2191
.LBB212_2264:
	ds_load_b32 v34, v32 offset:448
	s_wait_dscnt 0x0
	v_add_f32_e32 v6, v34, v6
	s_or_b32 exec_lo, exec_lo, s0
	s_and_saveexec_b32 s0, vcc_lo
	s_cbranch_execz .LBB212_2192
.LBB212_2265:
	ds_load_b32 v34, v32 offset:464
	s_wait_dscnt 0x0
	v_add_f32_e32 v7, v34, v7
	s_or_b32 exec_lo, exec_lo, s0
	s_and_saveexec_b32 s0, vcc_lo
	s_cbranch_execz .LBB212_2193
.LBB212_2266:
	ds_load_b32 v34, v32 offset:480
	s_wait_dscnt 0x0
	v_add_f32_e32 v30, v34, v30
	s_or_b32 exec_lo, exec_lo, s0
	s_and_saveexec_b32 s0, vcc_lo
	s_cbranch_execnz .LBB212_2194
	s_branch .LBB212_2195
.LBB212_2267:
	ds_load_b32 v33, v32
	s_wait_dscnt 0x0
	v_add_f32_e32 v4, v33, v4
	s_or_b32 exec_lo, exec_lo, s0
	s_and_saveexec_b32 s0, vcc_lo
	s_cbranch_execz .LBB212_2201
.LBB212_2268:
	ds_load_b32 v33, v32 offset:16
	s_wait_dscnt 0x0
	v_add_f32_e32 v5, v33, v5
	s_or_b32 exec_lo, exec_lo, s0
	s_and_saveexec_b32 s0, vcc_lo
	s_cbranch_execz .LBB212_2202
.LBB212_2269:
	ds_load_b32 v33, v32 offset:32
	s_wait_dscnt 0x0
	v_add_f32_e32 v2, v33, v2
	s_or_b32 exec_lo, exec_lo, s0
	s_and_saveexec_b32 s0, vcc_lo
	s_cbranch_execz .LBB212_2203
.LBB212_2270:
	ds_load_b32 v33, v32 offset:48
	s_wait_dscnt 0x0
	v_add_f32_e32 v3, v33, v3
	s_or_b32 exec_lo, exec_lo, s0
	s_and_saveexec_b32 s0, vcc_lo
	s_cbranch_execz .LBB212_2204
.LBB212_2271:
	ds_load_b32 v33, v32 offset:64
	s_wait_dscnt 0x0
	v_add_f32_e32 v0, v33, v0
	s_or_b32 exec_lo, exec_lo, s0
	s_and_saveexec_b32 s0, vcc_lo
	s_cbranch_execz .LBB212_2205
.LBB212_2272:
	ds_load_b32 v33, v32 offset:80
	s_wait_dscnt 0x0
	v_add_f32_e32 v1, v33, v1
	s_or_b32 exec_lo, exec_lo, s0
	s_and_saveexec_b32 s0, vcc_lo
	s_cbranch_execz .LBB212_2206
.LBB212_2273:
	ds_load_b32 v33, v32 offset:96
	s_wait_dscnt 0x0
	v_add_f32_e32 v28, v33, v28
	s_or_b32 exec_lo, exec_lo, s0
	s_and_saveexec_b32 s0, vcc_lo
	s_cbranch_execz .LBB212_2207
.LBB212_2274:
	ds_load_b32 v33, v32 offset:112
	s_wait_dscnt 0x0
	v_add_f32_e32 v29, v33, v29
	s_or_b32 exec_lo, exec_lo, s0
	s_and_saveexec_b32 s0, vcc_lo
	s_cbranch_execz .LBB212_2208
.LBB212_2275:
	ds_load_b32 v33, v32 offset:128
	s_wait_dscnt 0x0
	v_add_f32_e32 v26, v33, v26
	s_or_b32 exec_lo, exec_lo, s0
	s_and_saveexec_b32 s0, vcc_lo
	s_cbranch_execz .LBB212_2209
.LBB212_2276:
	ds_load_b32 v33, v32 offset:144
	s_wait_dscnt 0x0
	v_add_f32_e32 v27, v33, v27
	s_or_b32 exec_lo, exec_lo, s0
	s_and_saveexec_b32 s0, vcc_lo
	s_cbranch_execz .LBB212_2210
.LBB212_2277:
	ds_load_b32 v33, v32 offset:160
	s_wait_dscnt 0x0
	v_add_f32_e32 v24, v33, v24
	s_or_b32 exec_lo, exec_lo, s0
	s_and_saveexec_b32 s0, vcc_lo
	s_cbranch_execz .LBB212_2211
.LBB212_2278:
	ds_load_b32 v33, v32 offset:176
	s_wait_dscnt 0x0
	v_add_f32_e32 v25, v33, v25
	s_or_b32 exec_lo, exec_lo, s0
	s_and_saveexec_b32 s0, vcc_lo
	s_cbranch_execz .LBB212_2212
.LBB212_2279:
	ds_load_b32 v33, v32 offset:192
	s_wait_dscnt 0x0
	v_add_f32_e32 v22, v33, v22
	s_or_b32 exec_lo, exec_lo, s0
	s_and_saveexec_b32 s0, vcc_lo
	s_cbranch_execz .LBB212_2213
.LBB212_2280:
	ds_load_b32 v33, v32 offset:208
	s_wait_dscnt 0x0
	v_add_f32_e32 v23, v33, v23
	s_or_b32 exec_lo, exec_lo, s0
	s_and_saveexec_b32 s0, vcc_lo
	s_cbranch_execz .LBB212_2214
.LBB212_2281:
	ds_load_b32 v33, v32 offset:224
	s_wait_dscnt 0x0
	v_add_f32_e32 v20, v33, v20
	s_or_b32 exec_lo, exec_lo, s0
	s_and_saveexec_b32 s0, vcc_lo
	s_cbranch_execz .LBB212_2215
.LBB212_2282:
	ds_load_b32 v33, v32 offset:240
	s_wait_dscnt 0x0
	v_add_f32_e32 v21, v33, v21
	s_or_b32 exec_lo, exec_lo, s0
	s_and_saveexec_b32 s0, vcc_lo
	s_cbranch_execz .LBB212_2216
.LBB212_2283:
	ds_load_b32 v33, v32 offset:256
	s_wait_dscnt 0x0
	v_add_f32_e32 v18, v33, v18
	s_or_b32 exec_lo, exec_lo, s0
	s_and_saveexec_b32 s0, vcc_lo
	s_cbranch_execz .LBB212_2217
.LBB212_2284:
	ds_load_b32 v33, v32 offset:272
	s_wait_dscnt 0x0
	v_add_f32_e32 v19, v33, v19
	s_or_b32 exec_lo, exec_lo, s0
	s_and_saveexec_b32 s0, vcc_lo
	s_cbranch_execz .LBB212_2218
.LBB212_2285:
	ds_load_b32 v33, v32 offset:288
	s_wait_dscnt 0x0
	v_add_f32_e32 v16, v33, v16
	s_or_b32 exec_lo, exec_lo, s0
	s_and_saveexec_b32 s0, vcc_lo
	s_cbranch_execz .LBB212_2219
.LBB212_2286:
	ds_load_b32 v33, v32 offset:304
	s_wait_dscnt 0x0
	v_add_f32_e32 v17, v33, v17
	s_or_b32 exec_lo, exec_lo, s0
	s_and_saveexec_b32 s0, vcc_lo
	s_cbranch_execz .LBB212_2220
.LBB212_2287:
	ds_load_b32 v33, v32 offset:320
	s_wait_dscnt 0x0
	v_add_f32_e32 v14, v33, v14
	s_or_b32 exec_lo, exec_lo, s0
	s_and_saveexec_b32 s0, vcc_lo
	s_cbranch_execz .LBB212_2221
.LBB212_2288:
	ds_load_b32 v33, v32 offset:336
	s_wait_dscnt 0x0
	v_add_f32_e32 v15, v33, v15
	s_or_b32 exec_lo, exec_lo, s0
	s_and_saveexec_b32 s0, vcc_lo
	s_cbranch_execz .LBB212_2222
.LBB212_2289:
	ds_load_b32 v33, v32 offset:352
	s_wait_dscnt 0x0
	v_add_f32_e32 v10, v33, v10
	s_or_b32 exec_lo, exec_lo, s0
	s_and_saveexec_b32 s0, vcc_lo
	s_cbranch_execz .LBB212_2223
.LBB212_2290:
	ds_load_b32 v33, v32 offset:368
	s_wait_dscnt 0x0
	v_add_f32_e32 v11, v33, v11
	s_or_b32 exec_lo, exec_lo, s0
	s_and_saveexec_b32 s0, vcc_lo
	s_cbranch_execz .LBB212_2224
.LBB212_2291:
	ds_load_b32 v33, v32 offset:384
	s_wait_dscnt 0x0
	v_add_f32_e32 v12, v33, v12
	s_or_b32 exec_lo, exec_lo, s0
	s_and_saveexec_b32 s0, vcc_lo
	s_cbranch_execz .LBB212_2225
.LBB212_2292:
	ds_load_b32 v33, v32 offset:400
	s_wait_dscnt 0x0
	v_add_f32_e32 v13, v33, v13
	s_or_b32 exec_lo, exec_lo, s0
	s_and_saveexec_b32 s0, vcc_lo
	s_cbranch_execz .LBB212_2226
.LBB212_2293:
	ds_load_b32 v33, v32 offset:416
	s_wait_dscnt 0x0
	v_add_f32_e32 v8, v33, v8
	s_or_b32 exec_lo, exec_lo, s0
	s_and_saveexec_b32 s0, vcc_lo
	s_cbranch_execz .LBB212_2227
.LBB212_2294:
	ds_load_b32 v33, v32 offset:432
	s_wait_dscnt 0x0
	v_add_f32_e32 v9, v33, v9
	s_or_b32 exec_lo, exec_lo, s0
	s_and_saveexec_b32 s0, vcc_lo
	s_cbranch_execz .LBB212_2228
.LBB212_2295:
	ds_load_b32 v33, v32 offset:448
	s_wait_dscnt 0x0
	v_add_f32_e32 v6, v33, v6
	s_or_b32 exec_lo, exec_lo, s0
	s_and_saveexec_b32 s0, vcc_lo
	s_cbranch_execz .LBB212_2229
.LBB212_2296:
	ds_load_b32 v33, v32 offset:464
	s_wait_dscnt 0x0
	v_add_f32_e32 v7, v33, v7
	s_or_b32 exec_lo, exec_lo, s0
	s_and_saveexec_b32 s0, vcc_lo
	s_cbranch_execz .LBB212_2230
.LBB212_2297:
	ds_load_b32 v33, v32 offset:480
	s_wait_dscnt 0x0
	v_add_f32_e32 v30, v33, v30
	s_or_b32 exec_lo, exec_lo, s0
	s_and_saveexec_b32 s0, vcc_lo
	s_cbranch_execnz .LBB212_2231
	s_branch .LBB212_2232
.Lfunc_end212:
	.size	_ZN4vllm22paged_attention_kernelIfhLi128ELi32ELi128ELNS_18Fp8KVCacheDataTypeE1ELb1ELi0EEEvPfS2_PT_PKS3_PKT0_S9_ifPKiSB_iPKfiiiSD_SD_iiiii, .Lfunc_end212-_ZN4vllm22paged_attention_kernelIfhLi128ELi32ELi128ELNS_18Fp8KVCacheDataTypeE1ELb1ELi0EEEvPfS2_PT_PKS3_PKT0_S9_ifPKiSB_iPKfiiiSD_SD_iiiii
                                        ; -- End function
	.set .L_ZN4vllm22paged_attention_kernelIfhLi128ELi32ELi128ELNS_18Fp8KVCacheDataTypeE1ELb1ELi0EEEvPfS2_PT_PKS3_PKT0_S9_ifPKiSB_iPKfiiiSD_SD_iiiii.num_vgpr, 128
	.set .L_ZN4vllm22paged_attention_kernelIfhLi128ELi32ELi128ELNS_18Fp8KVCacheDataTypeE1ELb1ELi0EEEvPfS2_PT_PKS3_PKT0_S9_ifPKiSB_iPKfiiiSD_SD_iiiii.num_agpr, 0
	.set .L_ZN4vllm22paged_attention_kernelIfhLi128ELi32ELi128ELNS_18Fp8KVCacheDataTypeE1ELb1ELi0EEEvPfS2_PT_PKS3_PKT0_S9_ifPKiSB_iPKfiiiSD_SD_iiiii.numbered_sgpr, 33
	.set .L_ZN4vllm22paged_attention_kernelIfhLi128ELi32ELi128ELNS_18Fp8KVCacheDataTypeE1ELb1ELi0EEEvPfS2_PT_PKS3_PKT0_S9_ifPKiSB_iPKfiiiSD_SD_iiiii.num_named_barrier, 0
	.set .L_ZN4vllm22paged_attention_kernelIfhLi128ELi32ELi128ELNS_18Fp8KVCacheDataTypeE1ELb1ELi0EEEvPfS2_PT_PKS3_PKT0_S9_ifPKiSB_iPKfiiiSD_SD_iiiii.private_seg_size, 1612
	.set .L_ZN4vllm22paged_attention_kernelIfhLi128ELi32ELi128ELNS_18Fp8KVCacheDataTypeE1ELb1ELi0EEEvPfS2_PT_PKS3_PKT0_S9_ifPKiSB_iPKfiiiSD_SD_iiiii.uses_vcc, 1
	.set .L_ZN4vllm22paged_attention_kernelIfhLi128ELi32ELi128ELNS_18Fp8KVCacheDataTypeE1ELb1ELi0EEEvPfS2_PT_PKS3_PKT0_S9_ifPKiSB_iPKfiiiSD_SD_iiiii.uses_flat_scratch, 1
	.set .L_ZN4vllm22paged_attention_kernelIfhLi128ELi32ELi128ELNS_18Fp8KVCacheDataTypeE1ELb1ELi0EEEvPfS2_PT_PKS3_PKT0_S9_ifPKiSB_iPKfiiiSD_SD_iiiii.has_dyn_sized_stack, 0
	.set .L_ZN4vllm22paged_attention_kernelIfhLi128ELi32ELi128ELNS_18Fp8KVCacheDataTypeE1ELb1ELi0EEEvPfS2_PT_PKS3_PKT0_S9_ifPKiSB_iPKfiiiSD_SD_iiiii.has_recursion, 0
	.set .L_ZN4vllm22paged_attention_kernelIfhLi128ELi32ELi128ELNS_18Fp8KVCacheDataTypeE1ELb1ELi0EEEvPfS2_PT_PKS3_PKT0_S9_ifPKiSB_iPKfiiiSD_SD_iiiii.has_indirect_call, 0
	.section	.AMDGPU.csdata,"",@progbits
; Function info:
; codeLenInByte = 92208
; TotalNumSgprs: 35
; NumVgprs: 128
; ScratchSize: 1612
; MemoryBound: 0
	.section	.text._ZN4vllm25paged_attention_v1_kernelIfhLi128ELi32ELi128ELNS_18Fp8KVCacheDataTypeE1ELb1EEEvPT_PKS2_PKT0_S8_ifPKiSA_iPKfiiiSC_SC_iiiii,"axG",@progbits,_ZN4vllm25paged_attention_v1_kernelIfhLi128ELi32ELi128ELNS_18Fp8KVCacheDataTypeE1ELb1EEEvPT_PKS2_PKT0_S8_ifPKiSA_iPKfiiiSC_SC_iiiii,comdat
	.protected	_ZN4vllm25paged_attention_v1_kernelIfhLi128ELi32ELi128ELNS_18Fp8KVCacheDataTypeE1ELb1EEEvPT_PKS2_PKT0_S8_ifPKiSA_iPKfiiiSC_SC_iiiii ; -- Begin function _ZN4vllm25paged_attention_v1_kernelIfhLi128ELi32ELi128ELNS_18Fp8KVCacheDataTypeE1ELb1EEEvPT_PKS2_PKT0_S8_ifPKiSA_iPKfiiiSC_SC_iiiii
	.globl	_ZN4vllm25paged_attention_v1_kernelIfhLi128ELi32ELi128ELNS_18Fp8KVCacheDataTypeE1ELb1EEEvPT_PKS2_PKT0_S8_ifPKiSA_iPKfiiiSC_SC_iiiii
	.p2align	8
	.type	_ZN4vllm25paged_attention_v1_kernelIfhLi128ELi32ELi128ELNS_18Fp8KVCacheDataTypeE1ELb1EEEvPT_PKS2_PKT0_S8_ifPKiSA_iPKfiiiSC_SC_iiiii,@function
_ZN4vllm25paged_attention_v1_kernelIfhLi128ELi32ELi128ELNS_18Fp8KVCacheDataTypeE1ELb1EEEvPT_PKS2_PKT0_S8_ifPKiSA_iPKfiiiSC_SC_iiiii: ; @_ZN4vllm25paged_attention_v1_kernelIfhLi128ELi32ELi128ELNS_18Fp8KVCacheDataTypeE1ELb1EEEvPT_PKS2_PKT0_S8_ifPKiSA_iPKfiiiSC_SC_iiiii
; %bb.0:
	s_clause 0x6
	s_load_b256 s[12:19], s[0:1], 0x0
	s_load_b128 s[4:7], s[0:1], 0x20
	s_load_b96 s[28:30], s[0:1], 0x30
	s_load_b64 s[10:11], s[0:1], 0x40
	s_load_b96 s[36:38], s[0:1], 0x48
	s_load_b256 s[20:27], s[0:1], 0x58
	s_load_b32 s31, s[0:1], 0x78
	v_mov_b32_e32 v31, v0
	s_get_pc_i64 s[2:3]
	s_add_nc_u64 s[2:3], s[2:3], _ZN4vllm22paged_attention_kernelIfhLi128ELi32ELi128ELNS_18Fp8KVCacheDataTypeE1ELb1ELi0EEEvPfS2_PT_PKS3_PKT0_S9_ifPKiSB_iPKfiiiSD_SD_iiiii@rel64+4
	s_add_nc_u64 s[8:9], s[0:1], 0x80
	s_mov_b32 s32, 0
	s_wait_kmcnt 0x0
	v_dual_mov_b32 v15, s10 :: v_dual_mov_b32 v16, s11
	v_dual_mov_b32 v0, s12 :: v_dual_mov_b32 v1, s13
	;; [unrolled: 1-line block ×14, first 2 shown]
	v_mov_b32_e32 v28, s31
	s_mov_b32 s15, 21
	s_swap_pc_i64 s[30:31], s[2:3]
	s_endpgm
	.section	.rodata,"a",@progbits
	.p2align	6, 0x0
	.amdhsa_kernel _ZN4vllm25paged_attention_v1_kernelIfhLi128ELi32ELi128ELNS_18Fp8KVCacheDataTypeE1ELb1EEEvPT_PKS2_PKT0_S8_ifPKiSA_iPKfiiiSC_SC_iiiii
		.amdhsa_group_segment_fixed_size 544
		.amdhsa_private_segment_fixed_size 1612
		.amdhsa_kernarg_size 384
		.amdhsa_user_sgpr_count 2
		.amdhsa_user_sgpr_dispatch_ptr 0
		.amdhsa_user_sgpr_queue_ptr 0
		.amdhsa_user_sgpr_kernarg_segment_ptr 1
		.amdhsa_user_sgpr_dispatch_id 0
		.amdhsa_user_sgpr_kernarg_preload_length 0
		.amdhsa_user_sgpr_kernarg_preload_offset 0
		.amdhsa_user_sgpr_private_segment_size 0
		.amdhsa_wavefront_size32 1
		.amdhsa_uses_dynamic_stack 0
		.amdhsa_enable_private_segment 1
		.amdhsa_system_sgpr_workgroup_id_x 1
		.amdhsa_system_sgpr_workgroup_id_y 1
		.amdhsa_system_sgpr_workgroup_id_z 1
		.amdhsa_system_sgpr_workgroup_info 0
		.amdhsa_system_vgpr_workitem_id 0
		.amdhsa_next_free_vgpr 128
		.amdhsa_next_free_sgpr 39
		.amdhsa_named_barrier_count 0
		.amdhsa_reserve_vcc 1
		.amdhsa_float_round_mode_32 0
		.amdhsa_float_round_mode_16_64 0
		.amdhsa_float_denorm_mode_32 3
		.amdhsa_float_denorm_mode_16_64 3
		.amdhsa_fp16_overflow 0
		.amdhsa_memory_ordered 1
		.amdhsa_forward_progress 1
		.amdhsa_inst_pref_size 2
		.amdhsa_round_robin_scheduling 0
		.amdhsa_exception_fp_ieee_invalid_op 0
		.amdhsa_exception_fp_denorm_src 0
		.amdhsa_exception_fp_ieee_div_zero 0
		.amdhsa_exception_fp_ieee_overflow 0
		.amdhsa_exception_fp_ieee_underflow 0
		.amdhsa_exception_fp_ieee_inexact 0
		.amdhsa_exception_int_div_zero 0
	.end_amdhsa_kernel
	.section	.text._ZN4vllm25paged_attention_v1_kernelIfhLi128ELi32ELi128ELNS_18Fp8KVCacheDataTypeE1ELb1EEEvPT_PKS2_PKT0_S8_ifPKiSA_iPKfiiiSC_SC_iiiii,"axG",@progbits,_ZN4vllm25paged_attention_v1_kernelIfhLi128ELi32ELi128ELNS_18Fp8KVCacheDataTypeE1ELb1EEEvPT_PKS2_PKT0_S8_ifPKiSA_iPKfiiiSC_SC_iiiii,comdat
.Lfunc_end213:
	.size	_ZN4vllm25paged_attention_v1_kernelIfhLi128ELi32ELi128ELNS_18Fp8KVCacheDataTypeE1ELb1EEEvPT_PKS2_PKT0_S8_ifPKiSA_iPKfiiiSC_SC_iiiii, .Lfunc_end213-_ZN4vllm25paged_attention_v1_kernelIfhLi128ELi32ELi128ELNS_18Fp8KVCacheDataTypeE1ELb1EEEvPT_PKS2_PKT0_S8_ifPKiSA_iPKfiiiSC_SC_iiiii
                                        ; -- End function
	.set _ZN4vllm25paged_attention_v1_kernelIfhLi128ELi32ELi128ELNS_18Fp8KVCacheDataTypeE1ELb1EEEvPT_PKS2_PKT0_S8_ifPKiSA_iPKfiiiSC_SC_iiiii.num_vgpr, max(32, .L_ZN4vllm22paged_attention_kernelIfhLi128ELi32ELi128ELNS_18Fp8KVCacheDataTypeE1ELb1ELi0EEEvPfS2_PT_PKS3_PKT0_S9_ifPKiSB_iPKfiiiSD_SD_iiiii.num_vgpr)
	.set _ZN4vllm25paged_attention_v1_kernelIfhLi128ELi32ELi128ELNS_18Fp8KVCacheDataTypeE1ELb1EEEvPT_PKS2_PKT0_S8_ifPKiSA_iPKfiiiSC_SC_iiiii.num_agpr, max(0, .L_ZN4vllm22paged_attention_kernelIfhLi128ELi32ELi128ELNS_18Fp8KVCacheDataTypeE1ELb1ELi0EEEvPfS2_PT_PKS3_PKT0_S9_ifPKiSB_iPKfiiiSD_SD_iiiii.num_agpr)
	.set _ZN4vllm25paged_attention_v1_kernelIfhLi128ELi32ELi128ELNS_18Fp8KVCacheDataTypeE1ELb1EEEvPT_PKS2_PKT0_S8_ifPKiSA_iPKfiiiSC_SC_iiiii.numbered_sgpr, max(39, .L_ZN4vllm22paged_attention_kernelIfhLi128ELi32ELi128ELNS_18Fp8KVCacheDataTypeE1ELb1ELi0EEEvPfS2_PT_PKS3_PKT0_S9_ifPKiSB_iPKfiiiSD_SD_iiiii.numbered_sgpr)
	.set _ZN4vllm25paged_attention_v1_kernelIfhLi128ELi32ELi128ELNS_18Fp8KVCacheDataTypeE1ELb1EEEvPT_PKS2_PKT0_S8_ifPKiSA_iPKfiiiSC_SC_iiiii.num_named_barrier, max(0, .L_ZN4vllm22paged_attention_kernelIfhLi128ELi32ELi128ELNS_18Fp8KVCacheDataTypeE1ELb1ELi0EEEvPfS2_PT_PKS3_PKT0_S9_ifPKiSB_iPKfiiiSD_SD_iiiii.num_named_barrier)
	.set _ZN4vllm25paged_attention_v1_kernelIfhLi128ELi32ELi128ELNS_18Fp8KVCacheDataTypeE1ELb1EEEvPT_PKS2_PKT0_S8_ifPKiSA_iPKfiiiSC_SC_iiiii.private_seg_size, 0+max(.L_ZN4vllm22paged_attention_kernelIfhLi128ELi32ELi128ELNS_18Fp8KVCacheDataTypeE1ELb1ELi0EEEvPfS2_PT_PKS3_PKT0_S9_ifPKiSB_iPKfiiiSD_SD_iiiii.private_seg_size)
	.set _ZN4vllm25paged_attention_v1_kernelIfhLi128ELi32ELi128ELNS_18Fp8KVCacheDataTypeE1ELb1EEEvPT_PKS2_PKT0_S8_ifPKiSA_iPKfiiiSC_SC_iiiii.uses_vcc, or(1, .L_ZN4vllm22paged_attention_kernelIfhLi128ELi32ELi128ELNS_18Fp8KVCacheDataTypeE1ELb1ELi0EEEvPfS2_PT_PKS3_PKT0_S9_ifPKiSB_iPKfiiiSD_SD_iiiii.uses_vcc)
	.set _ZN4vllm25paged_attention_v1_kernelIfhLi128ELi32ELi128ELNS_18Fp8KVCacheDataTypeE1ELb1EEEvPT_PKS2_PKT0_S8_ifPKiSA_iPKfiiiSC_SC_iiiii.uses_flat_scratch, or(0, .L_ZN4vllm22paged_attention_kernelIfhLi128ELi32ELi128ELNS_18Fp8KVCacheDataTypeE1ELb1ELi0EEEvPfS2_PT_PKS3_PKT0_S9_ifPKiSB_iPKfiiiSD_SD_iiiii.uses_flat_scratch)
	.set _ZN4vllm25paged_attention_v1_kernelIfhLi128ELi32ELi128ELNS_18Fp8KVCacheDataTypeE1ELb1EEEvPT_PKS2_PKT0_S8_ifPKiSA_iPKfiiiSC_SC_iiiii.has_dyn_sized_stack, or(0, .L_ZN4vllm22paged_attention_kernelIfhLi128ELi32ELi128ELNS_18Fp8KVCacheDataTypeE1ELb1ELi0EEEvPfS2_PT_PKS3_PKT0_S9_ifPKiSB_iPKfiiiSD_SD_iiiii.has_dyn_sized_stack)
	.set _ZN4vllm25paged_attention_v1_kernelIfhLi128ELi32ELi128ELNS_18Fp8KVCacheDataTypeE1ELb1EEEvPT_PKS2_PKT0_S8_ifPKiSA_iPKfiiiSC_SC_iiiii.has_recursion, or(0, .L_ZN4vllm22paged_attention_kernelIfhLi128ELi32ELi128ELNS_18Fp8KVCacheDataTypeE1ELb1ELi0EEEvPfS2_PT_PKS3_PKT0_S9_ifPKiSB_iPKfiiiSD_SD_iiiii.has_recursion)
	.set _ZN4vllm25paged_attention_v1_kernelIfhLi128ELi32ELi128ELNS_18Fp8KVCacheDataTypeE1ELb1EEEvPT_PKS2_PKT0_S8_ifPKiSA_iPKfiiiSC_SC_iiiii.has_indirect_call, or(0, .L_ZN4vllm22paged_attention_kernelIfhLi128ELi32ELi128ELNS_18Fp8KVCacheDataTypeE1ELb1ELi0EEEvPfS2_PT_PKS3_PKT0_S9_ifPKiSB_iPKfiiiSD_SD_iiiii.has_indirect_call)
	.section	.AMDGPU.csdata,"",@progbits
; Kernel info:
; codeLenInByte = 224
; TotalNumSgprs: 41
; NumVgprs: 128
; ScratchSize: 1612
; MemoryBound: 0
; FloatMode: 240
; IeeeMode: 1
; LDSByteSize: 544 bytes/workgroup (compile time only)
; SGPRBlocks: 0
; VGPRBlocks: 7
; NumSGPRsForWavesPerEU: 41
; NumVGPRsForWavesPerEU: 128
; NamedBarCnt: 0
; Occupancy: 8
; WaveLimiterHint : 1
; COMPUTE_PGM_RSRC2:SCRATCH_EN: 1
; COMPUTE_PGM_RSRC2:USER_SGPR: 2
; COMPUTE_PGM_RSRC2:TRAP_HANDLER: 0
; COMPUTE_PGM_RSRC2:TGID_X_EN: 1
; COMPUTE_PGM_RSRC2:TGID_Y_EN: 1
; COMPUTE_PGM_RSRC2:TGID_Z_EN: 1
; COMPUTE_PGM_RSRC2:TIDIG_COMP_CNT: 0
	.text
	.p2align	2                               ; -- Begin function _ZN4vllm22paged_attention_kernelIfhLi192ELi32ELi128ELNS_18Fp8KVCacheDataTypeE1ELb1ELi0EEEvPfS2_PT_PKS3_PKT0_S9_ifPKiSB_iPKfiiiSD_SD_iiiii
	.type	_ZN4vllm22paged_attention_kernelIfhLi192ELi32ELi128ELNS_18Fp8KVCacheDataTypeE1ELb1ELi0EEEvPfS2_PT_PKS3_PKT0_S9_ifPKiSB_iPKfiiiSD_SD_iiiii,@function
_ZN4vllm22paged_attention_kernelIfhLi192ELi32ELi128ELNS_18Fp8KVCacheDataTypeE1ELb1ELi0EEEvPfS2_PT_PKS3_PKT0_S9_ifPKiSB_iPKfiiiSD_SD_iiiii: ; @_ZN4vllm22paged_attention_kernelIfhLi192ELi32ELi128ELNS_18Fp8KVCacheDataTypeE1ELb1ELi0EEEvPfS2_PT_PKS3_PKT0_S9_ifPKiSB_iPKfiiiSD_SD_iiiii
; %bb.0:
	s_wait_loadcnt_dscnt 0x0
	s_wait_kmcnt 0x0
	s_clause 0x2f
	scratch_store_b32 off, v40, s32 offset:188
	; meta instruction
	scratch_store_b32 off, v41, s32 offset:184
	; meta instruction
	;; [unrolled: 2-line block ×47, first 2 shown]
	scratch_store_b32 off, v127, s32
	s_bfe_u32 s0, ttmp6, 0x4000c
	s_bfe_u32 s3, ttmp6, 0x40010
	s_add_co_i32 s0, s0, 1
	s_and_b32 s1, ttmp6, 15
	s_mul_i32 s0, ttmp9, s0
	s_and_b32 s4, ttmp7, 0xffff
	s_add_co_i32 s3, s3, 1
	s_add_co_i32 s1, s1, s0
	s_mul_i32 s0, s4, s3
	s_bfe_u32 s3, ttmp6, 0x40004
	s_getreg_b32 s10, hwreg(HW_REG_IB_STS2, 6, 4)
	s_add_co_i32 s3, s3, s0
	s_cmp_eq_u32 s10, 0
	s_mov_b32 s7, 0
	s_cselect_b32 s11, s4, s3
	s_cselect_b32 s0, ttmp9, s1
	s_lshl_b32 s6, s11, 2
	v_dual_mov_b32 v35, v7 :: v_dual_mov_b32 v34, v6
	v_add_nc_u64_e32 v[6:7], s[6:7], v[12:13]
	s_clause 0x4
	scratch_store_b64 off, v[22:23], s32 offset:1604
	scratch_store_b64 off, v[20:21], s32 offset:1612
	;; [unrolled: 1-line block ×4, first 2 shown]
	scratch_store_b32 off, v9, s32 offset:1620
	s_clause 0x1
	s_load_u16 s1, s[8:9], 0x12
	s_load_b32 s3, s[8:9], 0x0
	v_dual_mov_b32 v33, v16 :: v_dual_mov_b32 v32, v15
	s_mov_b32 s2, s15
	flat_load_b32 v6, v[6:7]
	scratch_store_b64 off, v[0:1], s32 offset:2428 ; 8-byte Folded Spill
	s_wait_xcnt 0x0
	v_mov_b32_e32 v1, 0
	s_wait_kmcnt 0x0
	s_cmp_lg_u32 s1, 0
	s_cselect_b32 s1, -1, 0
	s_delay_alu instid0(SALU_CYCLE_1)
	s_cmp_lg_u32 s1, 0
	s_add_co_ci_u32 s12, s3, 0
	s_abs_i32 s6, s0
	s_mov_b32 s3, exec_lo
	s_abs_i32 s1, s12
	s_wait_loadcnt_dscnt 0x0
	scratch_store_b64 off, v[6:7], s32 offset:200 ; 8-byte Folded Spill
	s_wait_xcnt 0x0
	v_sub_nc_u32_e32 v6, 0, v8
	global_load_u16 v0, v1, s[8:9] offset:22
	v_max_i32_e32 v6, v8, v6
	s_delay_alu instid0(VALU_DEP_1) | instskip(NEXT) | instid1(VALU_DEP_1)
	v_cvt_f32_u32_e32 v7, v6
	v_rcp_iflag_f32_e32 v7, v7
	v_nop
	s_delay_alu instid0(TRANS32_DEP_1) | instskip(SKIP_1) | instid1(VALU_DEP_2)
	v_mul_f32_e32 v7, 0x4f7ffffe, v7
	v_sub_nc_u32_e32 v9, 0, v6
	v_cvt_u32_f32_e32 v7, v7
	s_delay_alu instid0(VALU_DEP_1) | instskip(NEXT) | instid1(VALU_DEP_1)
	v_mul_lo_u32 v9, v9, v7
	v_mul_hi_u32 v9, v7, v9
	s_delay_alu instid0(VALU_DEP_1) | instskip(NEXT) | instid1(VALU_DEP_1)
	v_add_nc_u32_e32 v7, v7, v9
	v_mul_hi_u32 v7, s1, v7
	s_delay_alu instid0(VALU_DEP_1) | instskip(NEXT) | instid1(VALU_DEP_1)
	v_mul_lo_u32 v9, v7, v6
	v_dual_add_nc_u32 v10, 1, v7 :: v_dual_sub_nc_u32 v9, s1, v9
	s_delay_alu instid0(VALU_DEP_1) | instskip(SKIP_1) | instid1(VALU_DEP_3)
	v_sub_nc_u32_e32 v11, v9, v6
	v_cmp_ge_u32_e32 vcc_lo, v9, v6
	v_dual_cndmask_b32 v7, v7, v10, vcc_lo :: v_dual_bitop2_b32 v10, s12, v8 bitop3:0x14
	s_delay_alu instid0(VALU_DEP_3) | instskip(NEXT) | instid1(VALU_DEP_2)
	v_cndmask_b32_e32 v9, v9, v11, vcc_lo
	v_dual_add_nc_u32 v11, 1, v7 :: v_dual_ashrrev_i32 v10, 31, v10
	s_delay_alu instid0(VALU_DEP_2) | instskip(NEXT) | instid1(VALU_DEP_2)
	v_cmp_ge_u32_e32 vcc_lo, v9, v6
	v_cndmask_b32_e32 v6, v7, v11, vcc_lo
	s_delay_alu instid0(VALU_DEP_1) | instskip(NEXT) | instid1(VALU_DEP_1)
	v_xor_b32_e32 v6, v6, v10
	v_sub_nc_u32_e32 v7, v6, v10
	s_delay_alu instid0(VALU_DEP_1) | instskip(NEXT) | instid1(VALU_DEP_1)
	v_sub_nc_u32_e32 v6, 0, v7
	v_max_i32_e32 v6, v7, v6
	s_delay_alu instid0(VALU_DEP_1) | instskip(SKIP_1) | instid1(VALU_DEP_2)
	v_cvt_f32_u32_e32 v9, v6
	v_sub_nc_u32_e32 v10, 0, v6
	v_rcp_iflag_f32_e32 v9, v9
	v_nop
	s_delay_alu instid0(TRANS32_DEP_1) | instskip(NEXT) | instid1(VALU_DEP_1)
	v_mul_f32_e32 v9, 0x4f7ffffe, v9
	v_cvt_u32_f32_e32 v9, v9
	s_delay_alu instid0(VALU_DEP_1) | instskip(NEXT) | instid1(VALU_DEP_1)
	v_mul_lo_u32 v10, v10, v9
	v_mul_hi_u32 v10, v9, v10
	s_wait_loadcnt 0x0
	v_readfirstlane_b32 s13, v0
	s_delay_alu instid0(VALU_DEP_2)
	v_add_nc_u32_e32 v0, v9, v10
	v_mov_b32_e32 v9, v1
	scratch_store_b32 off, v9, s32 offset:1600 ; 4-byte Folded Spill
	s_wait_xcnt 0x0
	v_cmpx_ne_u64_e32 0, v[32:33]
	s_cbranch_execz .LBB214_2
; %bb.1:
	s_ashr_i32 s1, s0, 31
	s_delay_alu instid0(SALU_CYCLE_1)
	v_lshl_add_u64 v[10:11], s[0:1], 2, v[32:33]
	flat_load_b32 v9, v[10:11]
	s_wait_loadcnt_dscnt 0x0
	scratch_store_b32 off, v9, s32 offset:1600 ; 4-byte Folded Spill
.LBB214_2:
	s_wait_xcnt 0x0
	s_or_b32 exec_lo, exec_lo, s3
	v_mul_u64_e32 v[0:1], s[6:7], v[0:1]
	v_and_b32_e32 v9, 0x3ff, v31
	v_ashrrev_i32_e32 v0, 31, v7
	s_ashr_i32 s1, s0, 31
	s_mul_i32 s4, s0, 0xc0
	s_mov_b32 s3, exec_lo
	scratch_store_b32 off, v9, s32 offset:1596 ; 4-byte Folded Spill
	s_wait_xcnt 0x0
	v_cmpx_gt_u32_e32 48, v9
	s_cbranch_execz .LBB214_4
; %bb.3:
	scratch_load_b32 v7, off, s32 offset:1596 ; 4-byte Folded Reload
	v_mul_lo_u32 v10, v17, s11
	s_ashr_i32 s5, s4, 31
	s_delay_alu instid0(VALU_DEP_1) | instskip(SKIP_2) | instid1(VALU_DEP_2)
	v_dual_mov_b32 v17, 0 :: v_dual_ashrrev_i32 v11, 31, v10
	s_wait_loadcnt 0x0
	v_lshlrev_b32_e32 v16, 4, v7
	v_lshl_add_u64 v[2:3], v[10:11], 2, v[2:3]
	s_delay_alu instid0(VALU_DEP_1) | instskip(NEXT) | instid1(VALU_DEP_1)
	v_lshl_add_u64 v[2:3], s[4:5], 2, v[2:3]
	v_add_nc_u64_e32 v[2:3], v[2:3], v[16:17]
	flat_load_b128 v[10:13], v[2:3]
	s_wait_loadcnt_dscnt 0x0
	ds_store_b128 v16, v[10:13]
.LBB214_4:
	s_wait_xcnt 0x0
	s_or_b32 exec_lo, exec_lo, s3
	scratch_load_b64 v[12:13], off, s32 offset:200 ; 8-byte Folded Reload
	v_dual_sub_nc_u32 v2, 0, v27 :: v_dual_add_nc_u32 v9, 1, v1
	v_mul_lo_u32 v3, v1, v6
	v_xor_b32_e32 v11, s1, v0
	s_mov_b32 s1, exec_lo
	s_delay_alu instid0(VALU_DEP_3) | instskip(NEXT) | instid1(VALU_DEP_1)
	v_max_i32_e32 v7, v27, v2
	v_cvt_f32_u32_e32 v2, v7
	s_delay_alu instid0(VALU_DEP_4) | instskip(NEXT) | instid1(VALU_DEP_2)
	v_sub_nc_u32_e32 v3, s6, v3
	v_rcp_iflag_f32_e32 v2, v2
	s_delay_alu instid0(VALU_DEP_1) | instskip(NEXT) | instid1(TRANS32_DEP_1)
	v_cmp_ge_u32_e32 vcc_lo, v3, v6
	v_mul_f32_e32 v2, 0x4f7ffffe, v2
	scratch_store_b32 off, v7, s32 offset:228 ; 4-byte Folded Spill
	s_wait_xcnt 0x0
	v_dual_sub_nc_u32 v7, 0, v7 :: v_dual_cndmask_b32 v1, v1, v9, vcc_lo
	v_cvt_u32_f32_e32 v2, v2
	s_delay_alu instid0(VALU_DEP_2) | instskip(NEXT) | instid1(VALU_DEP_2)
	v_add_nc_u32_e32 v9, 1, v1
	v_mul_lo_u32 v10, v7, v2
	v_sub_nc_u32_e32 v7, v3, v6
	s_delay_alu instid0(VALU_DEP_1) | instskip(NEXT) | instid1(VALU_DEP_3)
	v_cndmask_b32_e32 v3, v3, v7, vcc_lo
	v_mul_hi_u32 v10, v2, v10
	s_wait_loadcnt 0x0
	v_add_nc_u32_e32 v7, -1, v12
	s_delay_alu instid0(VALU_DEP_3) | instskip(NEXT) | instid1(VALU_DEP_3)
	v_cmp_ge_u32_e32 vcc_lo, v3, v6
	v_add_nc_u32_e32 v12, v2, v10
                                        ; implicit-def: $vgpr2
                                        ; kill: killed $vgpr2
	v_dual_cndmask_b32 v0, v1, v9 :: v_dual_mov_b32 v1, 0
	s_delay_alu instid0(VALU_DEP_4) | instskip(NEXT) | instid1(VALU_DEP_2)
	v_sub_nc_u32_e32 v3, 0, v7
	v_dual_mov_b32 v13, v1 :: v_dual_bitop2_b32 v6, v0, v11 bitop3:0x14
	s_delay_alu instid0(VALU_DEP_2) | instskip(NEXT) | instid1(VALU_DEP_2)
	v_max_i32_e32 v0, v7, v3
	v_sub_nc_u32_e32 v6, v6, v11
	scratch_store_b64 off, v[12:13], s32 offset:232 ; 8-byte Folded Spill
	s_wait_storecnt_dscnt 0x0
	s_barrier_signal -1
	s_barrier_wait -1
	s_wait_xcnt 0x0
	v_cmpx_gt_i32_e32 0, v28
	s_xor_b32 s1, exec_lo, s1
	s_cbranch_execz .LBB214_6
; %bb.5:
	v_mad_u32 v2, v24, v8, v6
                                        ; implicit-def: $vgpr24
	s_delay_alu instid0(VALU_DEP_1) | instskip(NEXT) | instid1(VALU_DEP_1)
	v_mul_lo_u32 v2, v2, v28
                                        ; implicit-def: $vgpr28
	v_sub_nc_u32_e32 v2, 1, v2
	scratch_store_b32 off, v2, s32 offset:244 ; 4-byte Folded Spill
.LBB214_6:
	s_wait_xcnt 0x0
	s_or_saveexec_b32 s1, s1
	scratch_load_b64 v[2:3], off, s32 offset:232 ; 8-byte Folded Reload
	s_wait_loadcnt 0x0
	v_mul_u64_e32 v[2:3], v[0:1], v[2:3]
	v_ashrrev_i32_e32 v1, 31, v7
	v_ashrrev_i32_e32 v2, 31, v27
	scratch_store_b32 off, v2, s32 offset:240 ; 4-byte Folded Spill
	s_wait_xcnt 0x0
	s_xor_b32 exec_lo, exec_lo, s1
	s_cbranch_execz .LBB214_8
; %bb.7:
	v_mad_u32 v2, s12, v24, s0
	s_delay_alu instid0(VALU_DEP_1)
	v_mad_u32 v2, v2, v28, 1
	scratch_store_b32 off, v2, s32 offset:244 ; 4-byte Folded Spill
.LBB214_8:
	s_wait_xcnt 0x0
	s_or_b32 exec_lo, exec_lo, s1
	s_clause 0x1
	scratch_load_b32 v12, off, s32 offset:228
	scratch_load_b64 v[8:9], off, s32 offset:200
	v_mul_lo_u32 v14, v14, s11
	s_load_b32 s5, s[8:9], 0x8
	v_mul_lo_u32 v30, v6, v19
	s_ashr_i32 s3, s2, 31
	s_get_pc_i64 s[6:7]
	s_add_nc_u64 s[6:7], s[6:7], llvm.amdgcn.dynlds.offset.table@rel64+4
	s_lshl_b64 s[2:3], s[2:3], 2
	s_wait_loadcnt 0x0
	scratch_load_b32 v9, off, s32 offset:1596 ; 4-byte Folded Reload
	s_add_nc_u64 s[6:7], s[6:7], s[2:3]
	v_sub_nc_u32_e32 v27, 0, v26
	v_ashrrev_i32_e32 v15, 31, v14
	v_ashrrev_i32_e32 v31, 31, v30
	scratch_store_b64 off, v[14:15], s32 offset:2416 ; 8-byte Folded Spill
	v_mul_lo_u32 v2, v3, v12
	s_wait_loadcnt 0x0
	s_delay_alu instid0(VALU_DEP_1) | instskip(SKIP_1) | instid1(VALU_DEP_2)
	v_dual_lshrrev_b32 v10, 5, v9 :: v_dual_sub_nc_u32 v0, v0, v2
	v_add_nc_u32_e32 v2, 1, v3
	v_cmp_ge_u32_e32 vcc_lo, v0, v12
	s_delay_alu instid0(VALU_DEP_2) | instskip(SKIP_3) | instid1(VALU_DEP_1)
	v_dual_cndmask_b32 v2, v3, v2 :: v_dual_add_nc_u32 v7, 31, v8
	scratch_load_b32 v3, off, s32 offset:240 ; 4-byte Folded Reload
	s_wait_loadcnt 0x0
	v_dual_sub_nc_u32 v8, v0, v12 :: v_dual_bitop2_b32 v1, v1, v3 bitop3:0x14
	v_dual_cndmask_b32 v0, v0, v8 :: v_dual_ashrrev_i32 v3, 31, v7
	v_dual_add_nc_u32 v8, 1, v2 :: v_dual_bitop2_b32 v11, 31, v9 bitop3:0x40
	s_delay_alu instid0(VALU_DEP_2) | instskip(NEXT) | instid1(VALU_DEP_3)
	v_lshrrev_b32_e32 v3, 27, v3
	v_cmp_ge_u32_e32 vcc_lo, v0, v12
	v_mov_b32_e32 v40, 0xff7fffff
	scratch_store_b32 off, v11, s32 offset:1592 ; 4-byte Folded Spill
	s_wait_xcnt 0x0
	v_dual_cndmask_b32 v0, v2, v8 :: v_dual_lshlrev_b32 v11, 2, v11
	s_delay_alu instid0(VALU_DEP_1) | instskip(NEXT) | instid1(VALU_DEP_1)
	v_dual_add_nc_u32 v2, v7, v3 :: v_dual_bitop2_b32 v0, v0, v1 bitop3:0x14
	v_dual_lshlrev_b32 v6, 5, v10 :: v_dual_sub_nc_u32 v0, v0, v1
	s_delay_alu instid0(VALU_DEP_2)
	v_ashrrev_i32_e32 v2, 5, v2
	scratch_store_b64 off, v[6:7], s32 offset:212 ; 8-byte Folded Spill
	v_sub_nc_u32_e32 v0, v0, v25
	s_clause 0x1
	scratch_store_b32 off, v10, s32 offset:2404
	scratch_store_b32 off, v2, s32 offset:208
	v_cmp_lt_i32_e64 s0, v10, v2
	scratch_store_b32 off, v0, s32 offset:248 ; 4-byte Folded Spill
	s_wait_xcnt 0x0
	v_lshrrev_b32_e32 v0, 3, v9
	scratch_store_b32 off, v0, s32 offset:2424 ; 4-byte Folded Spill
	s_wait_xcnt 0x0
	s_and_saveexec_b32 s3, s0
	s_cbranch_execz .LBB214_1552
; %bb.9:
	s_clause 0x2
	scratch_store_b64 off, v[34:35], s32 offset:2440
	scratch_store_b32 off, v26, s32 offset:2436
	scratch_store_b32 off, v27, s32 offset:2456
	v_add_nc_u64_e32 v[0:1], v[4:5], v[30:31]
	s_clause 0x2
	scratch_load_b32 v3, off, s32 offset:1592
	scratch_load_b32 v4, off, s32 offset:1600
	scratch_load_b64 v[6:7], off, s32 offset:200
	v_dual_mov_b32 v17, 0 :: v_dual_max_i32 v8, v26, v27
	s_load_b32 s8, s[6:7], 0x0
	s_mov_b32 s9, 0
	v_mov_b32_e32 v40, 0xff7fffff
	s_delay_alu instid0(VALU_DEP_2) | instskip(SKIP_4) | instid1(TRANS32_DEP_1)
	v_cvt_f32_u32_e32 v2, v8
	v_mov_b32_e32 v9, v17
	ds_load_b128 v[12:15], v17
	v_rcp_iflag_f32_e32 v2, v2
	v_nop
	v_mul_f32_e32 v2, 0x4f7ffffe, v2
	s_delay_alu instid0(VALU_DEP_1)
	v_cvt_u32_f32_e32 v2, v2
	s_wait_loadcnt 0x1
	v_cmp_neq_f32_e32 vcc_lo, 0, v4
	scratch_load_b32 v4, off, s32 offset:2404 ; 4-byte Folded Reload
	s_wait_loadcnt 0x1
	v_dual_lshlrev_b32 v16, 4, v3 :: v_dual_sub_nc_u32 v3, v3, v6
	s_delay_alu instid0(VALU_DEP_1) | instskip(NEXT) | instid1(VALU_DEP_2)
	v_add_nc_u64_e32 v[0:1], v[0:1], v[16:17]
	v_add_nc_u32_e32 v3, 1, v3
	s_clause 0x3
	scratch_store_b32 off, v3, s32 offset:1720
	scratch_store_b32 off, v11, s32 offset:2460
	scratch_store_b64 off, v[0:1], s32 offset:1852
	scratch_load_b32 v0, off, s32 offset:2424
	s_wait_loadcnt 0x0
	v_and_b32_e32 v16, 0x7c, v0
	scratch_load_b64 v[0:1], off, s32 offset:2416 ; 8-byte Folded Reload
	v_lshlrev_b32_e32 v10, 5, v4
	v_lshl_or_b32 v41, v4, 7, v11
	v_dual_mov_b32 v6, v4 :: v_dual_sub_nc_u32 v4, 0, v8
	s_delay_alu instid0(VALU_DEP_1)
	v_mul_lo_u32 v3, v4, v2
	scratch_load_b64 v[4:5], off, s32 offset:2408 ; 8-byte Folded Reload
	v_mul_hi_u32 v3, v2, v3
	s_wait_loadcnt 0x1
	v_lshl_add_u64 v[0:1], v[0:1], 2, v[16:17]
	s_wait_loadcnt 0x0
	s_delay_alu instid0(VALU_DEP_1)
	v_add_nc_u64_e32 v[0:1], v[4:5], v[0:1]
	s_clause 0x1
	scratch_store_b64 off, v[30:31], s32 offset:2448
	scratch_store_b32 off, v8, s32 offset:1348
	s_wait_xcnt 0x0
	v_add_nc_u32_e32 v8, v2, v3
	scratch_store_b64 off, v[0:1], s32 offset:220 ; 8-byte Folded Spill
	s_wait_xcnt 0x0
	ds_load_b128 v[0:3], v17 offset:352
	s_wait_dscnt 0x1
	s_clause 0x1
	scratch_store_b128 off, v[12:15], s32 offset:1624
	scratch_store_b64 off, v[8:9], s32 offset:1352
	s_wait_xcnt 0x1
	ds_load_b128 v[12:15], v17 offset:16
	s_wait_dscnt 0x1
	scratch_store_b128 off, v[0:3], s32 offset:1988 ; 16-byte Folded Spill
	s_wait_xcnt 0x0
	ds_load_b128 v[0:3], v17 offset:368
	s_wait_dscnt 0x1
	scratch_store_b128 off, v[12:15], s32 offset:1640 ; 16-byte Folded Spill
	;; [unrolled: 4-line block ×42, first 2 shown]
	s_wait_dscnt 0x0
	scratch_store_b128 off, v[0:3], s32 offset:2324 ; 16-byte Folded Spill
	s_wait_xcnt 0x0
	ds_load_b128 v[0:3], v17 offset:704
	s_wait_dscnt 0x0
	scratch_store_b128 off, v[0:3], s32 offset:2340 ; 16-byte Folded Spill
	s_wait_xcnt 0x0
	ds_load_b128 v[0:3], v17 offset:720
	;; [unrolled: 4-line block ×4, first 2 shown]
	s_wait_dscnt 0x0
	scratch_store_b128 off, v[0:3], s32 offset:2388 ; 16-byte Folded Spill
	s_branch .LBB214_15
.LBB214_10:                             ;   in Loop: Header=BB214_15 Depth=1
	s_or_b32 exec_lo, exec_lo, s17
	s_delay_alu instid0(VALU_DEP_1) | instskip(SKIP_2) | instid1(VALU_DEP_3)
	v_dual_lshlrev_b32 v38, 24, v75 :: v_dual_lshlrev_b32 v68, 20, v116
	v_lshl_add_u32 v69, v74, 23, 0x3c000000
	v_dual_mov_b32 v39, v35 :: v_dual_mov_b32 v120, v35
	v_and_b32_e32 v38, 0x80000000, v38
	s_delay_alu instid0(VALU_DEP_1)
	v_or3_b32 v121, v68, v38, v69
	scratch_store_b64 off, v[38:39], s32 offset:192 ; 8-byte Folded Spill
.LBB214_11:                             ;   in Loop: Header=BB214_15 Depth=1
	s_wait_xcnt 0x0
	s_or_b32 exec_lo, exec_lo, s16
.LBB214_12:                             ;   in Loop: Header=BB214_15 Depth=1
	s_delay_alu instid0(SALU_CYCLE_1)
	s_or_b32 exec_lo, exec_lo, s15
.LBB214_13:                             ;   in Loop: Header=BB214_15 Depth=1
	s_delay_alu instid0(SALU_CYCLE_1)
	s_or_b32 exec_lo, exec_lo, s14
	v_or_b32_e32 v11, v61, v11
	v_or_b32_e32 v10, v60, v10
	;; [unrolled: 1-line block ×6, first 2 shown]
	scratch_store_b64 off, v[10:11], s32 offset:1400 ; 8-byte Folded Spill
	s_wait_xcnt 0x0
	v_or_b32_e32 v11, v123, v73
	v_or_b32_e32 v10, v122, v72
	scratch_store_b64 off, v[2:3], s32 offset:1416 ; 8-byte Folded Spill
	s_wait_xcnt 0x0
	v_or_b32_e32 v3, v9, v93
	v_or_b32_e32 v2, v8, v92
	s_clause 0x2
	scratch_store_b64 off, v[0:1], s32 offset:1568
	scratch_store_b64 off, v[10:11], s32 offset:1384
	;; [unrolled: 1-line block ×3, first 2 shown]
	s_wait_xcnt 0x0
	v_or_b32_e32 v3, v125, v107
	v_or_b32_e32 v2, v124, v106
	scratch_store_b64 off, v[2:3], s32 offset:1432 ; 8-byte Folded Spill
	s_wait_xcnt 0x0
	v_or_b32_e32 v3, v17, v21
	v_or_b32_e32 v2, v16, v20
	scratch_store_b64 off, v[2:3], s32 offset:1408 ; 8-byte Folded Spill
	;; [unrolled: 4-line block ×4, first 2 shown]
	s_wait_xcnt 0x0
	v_or_b32_e32 v3, v15, v63
	v_or_b32_e32 v2, v14, v62
	;; [unrolled: 1-line block ×4, first 2 shown]
	scratch_store_b64 off, v[2:3], s32 offset:1464 ; 8-byte Folded Spill
	s_wait_xcnt 0x0
	v_or_b32_e32 v3, v79, v57
	v_or_b32_e32 v2, v78, v56
	scratch_store_b64 off, v[2:3], s32 offset:1440 ; 8-byte Folded Spill
	s_wait_xcnt 0x0
	v_or_b32_e32 v3, v113, v103
	v_or_b32_e32 v2, v112, v102
	;; [unrolled: 4-line block ×16, first 2 shown]
	s_clause 0x2
	scratch_store_b64 off, v[2:3], s32 offset:1584
	scratch_load_b64 v[2:3], off, s32 offset:1316 th:TH_LOAD_LU
	scratch_load_b64 v[4:5], off, s32 offset:1324 th:TH_LOAD_LU
	s_wait_loadcnt 0x0
	v_or_b32_e32 v1, v5, v3
	v_or_b32_e32 v0, v4, v2
	v_mov_b64_e32 v[4:5], v[120:121]
	s_clause 0x1
	scratch_store_b64 off, v[0:1], s32 offset:1324
	scratch_load_b64 v[0:1], off, s32 offset:1332 th:TH_LOAD_LU
	v_or_b32_e32 v89, v5, v89
	v_or_b32_e32 v88, v4, v88
	s_wait_loadcnt 0x0
	v_or_b32_e32 v1, v127, v1
	v_or_b32_e32 v0, v126, v0
	s_clause 0x2
	scratch_store_b64 off, v[0:1], s32 offset:1316
	scratch_load_b64 v[0:1], off, s32 offset:1284 th:TH_LOAD_LU
	scratch_load_b64 v[2:3], off, s32 offset:1292 th:TH_LOAD_LU
	s_wait_loadcnt 0x0
	v_or_b32_e32 v1, v1, v3
	v_or_b32_e32 v0, v0, v2
	s_clause 0x2
	scratch_store_b64 off, v[0:1], s32 offset:1292
	scratch_load_b64 v[0:1], off, s32 offset:1300 th:TH_LOAD_LU
	scratch_load_b64 v[2:3], off, s32 offset:1308 th:TH_LOAD_LU
	;; [unrolled: 7-line block ×13, first 2 shown]
	s_wait_loadcnt 0x0
	v_or_b32_e32 v31, v1, v3
	v_or_b32_e32 v30, v0, v2
	s_clause 0x1
	scratch_load_b64 v[0:1], off, s32 offset:1108 th:TH_LOAD_LU
	scratch_load_b64 v[2:3], off, s32 offset:1116 th:TH_LOAD_LU
	s_wait_loadcnt 0x0
	v_or_b32_e32 v1, v1, v3
	v_or_b32_e32 v0, v0, v2
	s_clause 0x2
	scratch_store_b64 off, v[0:1], s32 offset:1092
	scratch_load_b64 v[0:1], off, s32 offset:1060 th:TH_LOAD_LU
	scratch_load_b64 v[2:3], off, s32 offset:1068 th:TH_LOAD_LU
	s_wait_loadcnt 0x0
	v_or_b32_e32 v1, v1, v3
	v_or_b32_e32 v0, v0, v2
	s_clause 0x2
	scratch_store_b64 off, v[0:1], s32 offset:1068
	;; [unrolled: 7-line block ×3, first 2 shown]
	scratch_load_b64 v[0:1], off, s32 offset:1028 th:TH_LOAD_LU
	scratch_load_b64 v[2:3], off, s32 offset:1036 th:TH_LOAD_LU
	s_wait_loadcnt 0x0
	v_or_b32_e32 v73, v1, v3
	v_or_b32_e32 v72, v0, v2
	s_clause 0x1
	scratch_load_b64 v[0:1], off, s32 offset:1044 th:TH_LOAD_LU
	scratch_load_b64 v[2:3], off, s32 offset:1052 th:TH_LOAD_LU
	s_wait_loadcnt 0x0
	v_or_b32_e32 v1, v1, v3
	v_or_b32_e32 v0, v0, v2
	s_clause 0x2
	scratch_store_b64 off, v[0:1], s32 offset:1028
	scratch_load_b64 v[0:1], off, s32 offset:996 th:TH_LOAD_LU
	scratch_load_b64 v[2:3], off, s32 offset:1004 th:TH_LOAD_LU
	s_wait_loadcnt 0x0
	v_or_b32_e32 v91, v1, v3
	v_or_b32_e32 v90, v0, v2
	s_clause 0x1
	scratch_load_b64 v[0:1], off, s32 offset:1012 th:TH_LOAD_LU
	scratch_load_b64 v[2:3], off, s32 offset:1020 th:TH_LOAD_LU
	s_wait_loadcnt 0x0
	v_or_b32_e32 v1, v1, v3
	v_or_b32_e32 v0, v0, v2
	s_clause 0x2
	scratch_store_b64 off, v[0:1], s32 offset:996
	scratch_load_b64 v[0:1], off, s32 offset:964 th:TH_LOAD_LU
	scratch_load_b64 v[2:3], off, s32 offset:972 th:TH_LOAD_LU
	s_wait_loadcnt 0x0
	v_or_b32_e32 v95, v1, v3
	v_or_b32_e32 v94, v0, v2
	s_clause 0x1
	scratch_load_b64 v[0:1], off, s32 offset:980 th:TH_LOAD_LU
	scratch_load_b64 v[2:3], off, s32 offset:988 th:TH_LOAD_LU
	s_wait_loadcnt 0x0
	v_or_b32_e32 v79, v1, v3
	v_or_b32_e32 v78, v0, v2
	s_clause 0x1
	;; [unrolled: 6-line block ×45, first 2 shown]
	scratch_load_b64 v[0:1], off, s32 offset:276 th:TH_LOAD_LU
	scratch_load_b64 v[2:3], off, s32 offset:284 th:TH_LOAD_LU
	;; [unrolled: 1-line block ×3, first 2 shown]
	scratch_load_b128 v[8:11], off, s32 offset:1640
	scratch_load_b128 v[4:7], off, s32 offset:1656
	;; [unrolled: 1-line block ×4, first 2 shown]
	s_wait_loadcnt 0x5
	v_or_b32_e32 v51, v1, v3
	v_or_b32_e32 v50, v0, v2
	scratch_load_b128 v[0:3], off, s32 offset:1624 ; 16-byte Folded Reload
	s_wait_loadcnt 0x5
	v_pk_mul_f32 v[40:41], v[102:103], v[40:41] op_sel_hi:[0,1]
	v_pk_mul_f32 v[96:97], v[102:103], v[96:97] op_sel_hi:[0,1]
	;; [unrolled: 1-line block ×5, first 2 shown]
	s_wait_loadcnt 0x4
	v_pk_mul_f32 v[40:41], v[8:9], v[40:41]
	v_pk_mul_f32 v[70:71], v[102:103], v[70:71] op_sel_hi:[0,1]
	v_pk_mul_f32 v[54:55], v[102:103], v[54:55] op_sel_hi:[0,1]
	;; [unrolled: 1-line block ×6, first 2 shown]
	s_wait_loadcnt 0x0
	v_pk_fma_f32 v[96:97], v[0:1], v[96:97], v[40:41]
	scratch_load_b128 v[40:43], off, s32 offset:1740 ; 16-byte Folded Reload
	v_pk_fma_f32 v[96:97], v[4:5], v[98:99], v[96:97]
	v_pk_mul_f32 v[98:99], v[102:103], v[118:119] op_sel_hi:[0,1]
	s_delay_alu instid0(VALU_DEP_1) | instskip(SKIP_4) | instid1(VALU_DEP_1)
	v_pk_mul_f32 v[98:99], v[10:11], v[98:99]
	scratch_load_b128 v[8:11], off, s32 offset:1704 ; 16-byte Folded Reload
	v_pk_fma_f32 v[50:51], v[2:3], v[50:51], v[98:99]
	scratch_load_b128 v[0:3], off, s32 offset:1672 ; 16-byte Folded Reload
	v_pk_mul_f32 v[98:99], v[102:103], v[112:113] op_sel_hi:[0,1]
	v_pk_fma_f32 v[50:51], v[6:7], v[98:99], v[50:51]
	scratch_load_b128 v[4:7], off, s32 offset:1688 ; 16-byte Folded Reload
	s_wait_loadcnt 0x1
	v_pk_fma_f32 v[86:87], v[0:1], v[86:87], v[96:97]
	scratch_load_b128 v[96:99], off, s32 offset:1724 ; 16-byte Folded Reload
	v_pk_mul_f32 v[0:1], v[102:103], v[38:39] op_sel_hi:[0,1]
	s_wait_loadcnt 0x1
	v_pk_fma_f32 v[70:71], v[4:5], v[70:71], v[86:87]
	s_delay_alu instid0(VALU_DEP_1) | instskip(SKIP_2) | instid1(VALU_DEP_1)
	v_pk_fma_f32 v[54:55], v[8:9], v[54:55], v[70:71]
	v_pk_mul_f32 v[70:71], v[102:103], v[80:81] op_sel_hi:[0,1]
	s_wait_loadcnt 0x0
	v_pk_fma_f32 v[54:55], v[96:97], v[70:71], v[54:55]
	s_delay_alu instid0(VALU_DEP_1)
	v_pk_fma_f32 v[54:55], v[40:41], v[68:69], v[54:55]
	s_clause 0x1
	scratch_load_b128 v[68:71], off, s32 offset:1756
	scratch_load_b128 v[38:41], off, s32 offset:1788
	s_wait_loadcnt 0x1
	v_pk_fma_f32 v[54:55], v[68:69], v[64:65], v[54:55]
	s_delay_alu instid0(VALU_DEP_1) | instskip(SKIP_1) | instid1(VALU_DEP_1)
	v_pk_fma_f32 v[48:49], v[16:17], v[48:49], v[54:55]
	s_wait_loadcnt 0x0
	v_pk_fma_f32 v[0:1], v[38:39], v[0:1], v[48:49]
	v_pk_mul_f32 v[48:49], v[102:103], v[22:23] op_sel_hi:[0,1]
	scratch_load_b128 v[22:25], off, s32 offset:1804 ; 16-byte Folded Reload
	s_wait_loadcnt 0x0
	v_pk_fma_f32 v[0:1], v[22:23], v[48:49], v[0:1]
	s_delay_alu instid0(VALU_DEP_1)
	v_pk_fma_f32 v[0:1], v[26:27], v[14:15], v[0:1]
	v_pk_mul_f32 v[14:15], v[102:103], v[20:21] op_sel_hi:[0,1]
	scratch_load_b128 v[20:23], off, s32 offset:1836 ; 16-byte Folded Reload
	s_wait_loadcnt 0x0
	v_pk_fma_f32 v[0:1], v[20:21], v[14:15], v[0:1]
	v_pk_mul_f32 v[14:15], v[102:103], v[32:33] op_sel_hi:[0,1]
	v_pk_mul_f32 v[20:21], v[102:103], v[82:83] op_sel_hi:[0,1]
	s_delay_alu instid0(VALU_DEP_2)
	v_pk_fma_f32 v[14:15], v[2:3], v[14:15], v[50:51]
	s_clause 0x1
	scratch_load_b128 v[2:5], off, s32 offset:1860
	scratch_load_b128 v[48:51], off, s32 offset:1972
	v_pk_fma_f32 v[14:15], v[6:7], v[20:21], v[14:15]
	v_pk_mul_f32 v[20:21], v[102:103], v[66:67] op_sel_hi:[0,1]
	s_clause 0x1
	scratch_load_b128 v[6:9], off, s32 offset:1876
	scratch_load_b128 v[64:67], off, s32 offset:2004
	v_pk_fma_f32 v[14:15], v[10:11], v[20:21], v[14:15]
	v_pk_mul_f32 v[20:21], v[102:103], v[84:85] op_sel_hi:[0,1]
	s_delay_alu instid0(VALU_DEP_1)
	v_pk_fma_f32 v[14:15], v[98:99], v[20:21], v[14:15]
	v_pk_mul_f32 v[20:21], v[102:103], v[52:53] op_sel_hi:[0,1]
	scratch_load_b128 v[52:55], off, s32 offset:1988 ; 16-byte Folded Reload
	v_pk_fma_f32 v[14:15], v[42:43], v[20:21], v[14:15]
	v_pk_mul_f32 v[20:21], v[102:103], v[36:37] op_sel_hi:[0,1]
	scratch_load_b128 v[36:39], off, s32 offset:1956 ; 16-byte Folded Reload
	;; [unrolled: 3-line block ×4, first 2 shown]
	v_pk_fma_f32 v[14:15], v[40:41], v[20:21], v[14:15]
	v_pk_mul_f32 v[20:21], v[102:103], v[76:77] op_sel_hi:[0,1]
	s_delay_alu instid0(VALU_DEP_1) | instskip(SKIP_4) | instid1(VALU_DEP_1)
	v_pk_fma_f32 v[14:15], v[24:25], v[20:21], v[14:15]
	v_pk_mul_f32 v[20:21], v[102:103], v[108:109] op_sel_hi:[0,1]
	scratch_load_b128 v[24:27], off, s32 offset:1940 ; 16-byte Folded Reload
	v_pk_fma_f32 v[14:15], v[28:29], v[20:21], v[14:15]
	v_pk_mul_f32 v[20:21], v[102:103], v[104:105] op_sel_hi:[0,1]
	v_pk_fma_f32 v[14:15], v[22:23], v[20:21], v[14:15]
	v_pk_mul_f32 v[20:21], v[102:103], v[12:13] op_sel_hi:[0,1]
	scratch_load_b128 v[10:13], off, s32 offset:1892 ; 16-byte Folded Reload
	s_wait_loadcnt 0x9
	v_pk_fma_f32 v[0:1], v[2:3], v[20:21], v[0:1]
	scratch_load_b128 v[20:23], off, s32 offset:1924 ; 16-byte Folded Reload
	v_pk_mul_f32 v[2:3], v[102:103], v[100:101] op_sel_hi:[0,1]
	s_wait_loadcnt 0x8
	s_delay_alu instid0(VALU_DEP_1) | instskip(SKIP_2) | instid1(VALU_DEP_1)
	v_pk_fma_f32 v[0:1], v[6:7], v[2:3], v[0:1]
	v_pk_mul_f32 v[2:3], v[102:103], v[114:115] op_sel_hi:[0,1]
	s_wait_loadcnt 0x1
	v_pk_fma_f32 v[0:1], v[10:11], v[2:3], v[0:1]
	v_pk_mul_f32 v[2:3], v[102:103], v[74:75] op_sel_hi:[0,1]
	v_pk_mul_f32 v[10:11], v[102:103], v[44:45] op_sel_hi:[0,1]
	s_delay_alu instid0(VALU_DEP_2) | instskip(SKIP_2) | instid1(VALU_DEP_1)
	v_pk_fma_f32 v[0:1], v[16:17], v[2:3], v[0:1]
	v_pk_mul_f32 v[2:3], v[102:103], v[120:121] op_sel_hi:[0,1]
	s_wait_loadcnt 0x0
	v_pk_fma_f32 v[0:1], v[20:21], v[2:3], v[0:1]
	v_pk_mul_f32 v[2:3], v[102:103], v[60:61] op_sel_hi:[0,1]
	s_delay_alu instid0(VALU_DEP_1) | instskip(SKIP_1) | instid1(VALU_DEP_1)
	v_pk_fma_f32 v[0:1], v[24:25], v[2:3], v[0:1]
	v_pk_mul_f32 v[2:3], v[102:103], v[124:125] op_sel_hi:[0,1]
	v_pk_fma_f32 v[0:1], v[36:37], v[2:3], v[0:1]
	v_pk_mul_f32 v[2:3], v[102:103], v[110:111] op_sel_hi:[0,1]
	s_delay_alu instid0(VALU_DEP_1) | instskip(SKIP_1) | instid1(VALU_DEP_1)
	v_pk_fma_f32 v[0:1], v[48:49], v[2:3], v[0:1]
	v_pk_mul_f32 v[2:3], v[102:103], v[94:95] op_sel_hi:[0,1]
	;; [unrolled: 5-line block ×3, first 2 shown]
	v_pk_fma_f32 v[0:1], v[68:69], v[2:3], v[0:1]
	v_pk_mul_f32 v[2:3], v[102:103], v[34:35] op_sel_hi:[0,1]
	scratch_load_b128 v[32:35], off, s32 offset:2148 ; 16-byte Folded Reload
	v_pk_fma_f32 v[2:3], v[4:5], v[2:3], v[14:15]
	scratch_load_b64 v[4:5], off, s32 offset:996 th:TH_LOAD_LU ; 8-byte Folded Reload
	v_pk_fma_f32 v[2:3], v[8:9], v[10:11], v[2:3]
	v_pk_mul_f32 v[8:9], v[102:103], v[56:57] op_sel_hi:[0,1]
	s_delay_alu instid0(VALU_DEP_1)
	v_pk_fma_f32 v[2:3], v[12:13], v[8:9], v[2:3]
	v_pk_mul_f32 v[8:9], v[102:103], v[58:59] op_sel_hi:[0,1]
	scratch_load_b128 v[12:15], off, s32 offset:2068 ; 16-byte Folded Reload
	v_pk_fma_f32 v[2:3], v[18:19], v[8:9], v[2:3]
	v_pk_mul_f32 v[8:9], v[102:103], v[126:127] op_sel_hi:[0,1]
	scratch_load_b128 v[16:19], off, s32 offset:2084 ; 16-byte Folded Reload
	;; [unrolled: 3-line block ×6, first 2 shown]
	v_pk_fma_f32 v[2:3], v[54:55], v[8:9], v[2:3]
	scratch_load_b128 v[52:55], off, s32 offset:2196 ; 16-byte Folded Reload
	s_wait_loadcnt 0x7
	v_pk_mul_f32 v[8:9], v[102:103], v[4:5] op_sel_hi:[0,1]
	scratch_load_b64 v[4:5], off, s32 offset:1028 th:TH_LOAD_LU ; 8-byte Folded Reload
	v_pk_fma_f32 v[2:3], v[66:67], v[8:9], v[2:3]
	scratch_load_b128 v[64:67], off, s32 offset:2372 ; 16-byte Folded Reload
	s_wait_loadcnt 0x1
	v_pk_mul_f32 v[8:9], v[102:103], v[4:5] op_sel_hi:[0,1]
	scratch_load_b64 v[4:5], off, s32 offset:1068 th:TH_LOAD_LU ; 8-byte Folded Reload
	v_pk_fma_f32 v[2:3], v[70:71], v[8:9], v[2:3]
	s_wait_loadcnt 0x0
	v_pk_mul_f32 v[8:9], v[102:103], v[4:5] op_sel_hi:[0,1]
	scratch_load_b128 v[4:7], off, s32 offset:2036 ; 16-byte Folded Reload
	s_wait_loadcnt 0x0
	v_pk_fma_f32 v[0:1], v[4:5], v[8:9], v[0:1]
	scratch_load_b128 v[8:11], off, s32 offset:2052 ; 16-byte Folded Reload
	v_pk_mul_f32 v[4:5], v[102:103], v[30:31] op_sel_hi:[0,1]
	scratch_load_b128 v[28:31], off, s32 offset:2132 ; 16-byte Folded Reload
	s_wait_loadcnt 0x1
	v_pk_fma_f32 v[0:1], v[8:9], v[4:5], v[0:1]
	scratch_load_b64 v[4:5], off, s32 offset:1132 th:TH_LOAD_LU ; 8-byte Folded Reload
	s_wait_loadcnt 0x0
	v_pk_mul_f32 v[4:5], v[102:103], v[4:5] op_sel_hi:[0,1]
	s_delay_alu instid0(VALU_DEP_1) | instskip(SKIP_3) | instid1(VALU_DEP_1)
	v_pk_fma_f32 v[0:1], v[12:13], v[4:5], v[0:1]
	scratch_load_b64 v[4:5], off, s32 offset:1164 th:TH_LOAD_LU ; 8-byte Folded Reload
	s_wait_loadcnt 0x0
	v_pk_mul_f32 v[4:5], v[102:103], v[4:5] op_sel_hi:[0,1]
	v_pk_fma_f32 v[0:1], v[16:17], v[4:5], v[0:1]
	scratch_load_b64 v[4:5], off, s32 offset:1196 th:TH_LOAD_LU ; 8-byte Folded Reload
	s_wait_loadcnt 0x0
	v_pk_mul_f32 v[4:5], v[102:103], v[4:5] op_sel_hi:[0,1]
	s_delay_alu instid0(VALU_DEP_1) | instskip(SKIP_3) | instid1(VALU_DEP_1)
	v_pk_fma_f32 v[0:1], v[20:21], v[4:5], v[0:1]
	scratch_load_b64 v[4:5], off, s32 offset:1228 th:TH_LOAD_LU ; 8-byte Folded Reload
	s_wait_loadcnt 0x0
	v_pk_mul_f32 v[4:5], v[102:103], v[4:5] op_sel_hi:[0,1]
	;; [unrolled: 9-line block ×5, first 2 shown]
	v_pk_fma_f32 v[2:3], v[6:7], v[4:5], v[2:3]
	s_clause 0x1
	scratch_load_b64 v[4:5], off, s32 offset:1092 th:TH_LOAD_LU
	scratch_load_b128 v[6:9], off, s32 offset:2212
	s_wait_loadcnt 0x1
	v_pk_mul_f32 v[4:5], v[102:103], v[4:5] op_sel_hi:[0,1]
	s_delay_alu instid0(VALU_DEP_1)
	v_pk_fma_f32 v[2:3], v[10:11], v[4:5], v[2:3]
	s_clause 0x1
	scratch_load_b64 v[4:5], off, s32 offset:1124 th:TH_LOAD_LU
	scratch_load_b128 v[10:13], off, s32 offset:2228
	s_wait_loadcnt 0x1
	v_pk_mul_f32 v[4:5], v[102:103], v[4:5] op_sel_hi:[0,1]
	s_delay_alu instid0(VALU_DEP_1)
	;; [unrolled: 7-line block ×7, first 2 shown]
	v_pk_fma_f32 v[2:3], v[34:35], v[4:5], v[2:3]
	s_clause 0x1
	scratch_load_b64 v[4:5], off, s32 offset:1316 th:TH_LOAD_LU
	scratch_load_b128 v[34:37], off, s32 offset:2324
	s_wait_loadcnt 0x1
	v_pk_mul_f32 v[4:5], v[102:103], v[4:5] op_sel_hi:[0,1]
	s_delay_alu instid0(VALU_DEP_1) | instskip(SKIP_3) | instid1(VALU_DEP_1)
	v_pk_fma_f32 v[2:3], v[38:39], v[4:5], v[2:3]
	scratch_load_b64 v[4:5], off, s32 offset:1568 th:TH_LOAD_LU ; 8-byte Folded Reload
	s_wait_loadcnt 0x0
	v_pk_mul_f32 v[4:5], v[102:103], v[4:5] op_sel_hi:[0,1]
	v_pk_fma_f32 v[2:3], v[50:51], v[4:5], v[2:3]
	s_clause 0x1
	scratch_load_b64 v[4:5], off, s32 offset:1560 th:TH_LOAD_LU
	scratch_load_b128 v[48:51], off, s32 offset:2340
	s_wait_loadcnt 0x1
	v_pk_mul_f32 v[4:5], v[102:103], v[4:5] op_sel_hi:[0,1]
	s_delay_alu instid0(VALU_DEP_1)
	v_pk_fma_f32 v[2:3], v[54:55], v[4:5], v[2:3]
	s_clause 0x1
	scratch_load_b64 v[4:5], off, s32 offset:1552 th:TH_LOAD_LU
	scratch_load_b128 v[52:55], off, s32 offset:2356
	s_wait_loadcnt 0x1
	v_pk_mul_f32 v[4:5], v[102:103], v[4:5] op_sel_hi:[0,1]
	s_delay_alu instid0(VALU_DEP_1) | instskip(SKIP_4) | instid1(VALU_DEP_1)
	v_pk_fma_f32 v[0:1], v[6:7], v[4:5], v[0:1]
	scratch_load_b64 v[4:5], off, s32 offset:1544 th:TH_LOAD_LU ; 8-byte Folded Reload
	v_pk_mul_f32 v[6:7], v[102:103], v[62:63] op_sel_hi:[0,1]
	s_wait_loadcnt 0x0
	v_pk_mul_f32 v[4:5], v[102:103], v[4:5] op_sel_hi:[0,1]
	v_pk_fma_f32 v[0:1], v[10:11], v[4:5], v[0:1]
	scratch_load_b64 v[4:5], off, s32 offset:1528 th:TH_LOAD_LU ; 8-byte Folded Reload
	s_wait_loadcnt 0x0
	v_pk_mul_f32 v[4:5], v[102:103], v[4:5] op_sel_hi:[0,1]
	s_delay_alu instid0(VALU_DEP_1) | instskip(SKIP_3) | instid1(VALU_DEP_1)
	v_pk_fma_f32 v[0:1], v[14:15], v[4:5], v[0:1]
	scratch_load_b64 v[4:5], off, s32 offset:1512 th:TH_LOAD_LU ; 8-byte Folded Reload
	s_wait_loadcnt 0x0
	v_pk_mul_f32 v[4:5], v[102:103], v[4:5] op_sel_hi:[0,1]
	v_pk_fma_f32 v[0:1], v[18:19], v[4:5], v[0:1]
	scratch_load_b64 v[4:5], off, s32 offset:1496 th:TH_LOAD_LU ; 8-byte Folded Reload
	s_wait_loadcnt 0x0
	v_pk_mul_f32 v[4:5], v[102:103], v[4:5] op_sel_hi:[0,1]
	s_delay_alu instid0(VALU_DEP_1) | instskip(SKIP_3) | instid1(VALU_DEP_1)
	v_pk_fma_f32 v[0:1], v[22:23], v[4:5], v[0:1]
	scratch_load_b64 v[4:5], off, s32 offset:1480 th:TH_LOAD_LU ; 8-byte Folded Reload
	;; [unrolled: 9-line block ×5, first 2 shown]
	s_wait_loadcnt 0x0
	v_pk_mul_f32 v[4:5], v[102:103], v[4:5] op_sel_hi:[0,1]
	v_pk_fma_f32 v[2:3], v[8:9], v[4:5], v[2:3]
	scratch_load_b64 v[4:5], off, s32 offset:1520 th:TH_LOAD_LU ; 8-byte Folded Reload
	v_pk_mul_f32 v[8:9], v[102:103], v[88:89] op_sel_hi:[0,1]
	s_wait_loadcnt 0x0
	v_pk_mul_f32 v[4:5], v[102:103], v[4:5] op_sel_hi:[0,1]
	s_delay_alu instid0(VALU_DEP_1)
	v_pk_fma_f32 v[2:3], v[12:13], v[4:5], v[2:3]
	s_clause 0x1
	scratch_load_b64 v[4:5], off, s32 offset:1504 th:TH_LOAD_LU
	scratch_load_b128 v[10:13], off, s32 offset:2388
	s_wait_loadcnt 0x1
	v_pk_mul_f32 v[4:5], v[102:103], v[4:5] op_sel_hi:[0,1]
	s_wait_loadcnt 0x0
	v_pk_fma_f32 v[0:1], v[10:11], v[6:7], v[0:1]
	s_delay_alu instid0(VALU_DEP_2) | instskip(SKIP_4) | instid1(VALU_DEP_1)
	v_pk_fma_f32 v[2:3], v[16:17], v[4:5], v[2:3]
	scratch_load_b64 v[4:5], off, s32 offset:1488 th:TH_LOAD_LU ; 8-byte Folded Reload
	v_add_f32_e32 v0, v0, v1
	s_wait_loadcnt 0x0
	v_pk_mul_f32 v[4:5], v[102:103], v[4:5] op_sel_hi:[0,1]
	v_pk_fma_f32 v[2:3], v[20:21], v[4:5], v[2:3]
	scratch_load_b64 v[4:5], off, s32 offset:1472 th:TH_LOAD_LU ; 8-byte Folded Reload
	s_wait_loadcnt 0x0
	v_pk_mul_f32 v[4:5], v[102:103], v[4:5] op_sel_hi:[0,1]
	s_delay_alu instid0(VALU_DEP_1) | instskip(SKIP_3) | instid1(VALU_DEP_1)
	v_pk_fma_f32 v[2:3], v[24:25], v[4:5], v[2:3]
	scratch_load_b64 v[4:5], off, s32 offset:1456 th:TH_LOAD_LU ; 8-byte Folded Reload
	s_wait_loadcnt 0x0
	v_pk_mul_f32 v[4:5], v[102:103], v[4:5] op_sel_hi:[0,1]
	v_pk_fma_f32 v[2:3], v[28:29], v[4:5], v[2:3]
	scratch_load_b64 v[4:5], off, s32 offset:1440 th:TH_LOAD_LU ; 8-byte Folded Reload
	s_wait_loadcnt 0x0
	v_pk_mul_f32 v[4:5], v[102:103], v[4:5] op_sel_hi:[0,1]
	s_delay_alu instid0(VALU_DEP_1) | instskip(SKIP_3) | instid1(VALU_DEP_1)
	v_pk_fma_f32 v[2:3], v[32:33], v[4:5], v[2:3]
	scratch_load_b64 v[4:5], off, s32 offset:1424 th:TH_LOAD_LU ; 8-byte Folded Reload
	;; [unrolled: 9-line block ×3, first 2 shown]
	s_wait_loadcnt 0x0
	v_pk_mul_f32 v[4:5], v[102:103], v[4:5] op_sel_hi:[0,1]
	v_pk_fma_f32 v[2:3], v[54:55], v[4:5], v[2:3]
	s_clause 0x2
	scratch_load_b64 v[4:5], off, s32 offset:1384 th:TH_LOAD_LU
	scratch_load_b64 v[10:11], off, s32 offset:1364
	scratch_load_b32 v1, off, s32 offset:1720
	s_load_b32 s14, s[6:7], 0x0
	s_clause 0x1
	scratch_load_b32 v41, off, s32 offset:1372
	scratch_load_b32 v40, off, s32 offset:1360 th:TH_LOAD_LU
	s_wait_loadcnt 0x4
	v_pk_mul_f32 v[4:5], v[102:103], v[4:5] op_sel_hi:[0,1]
	s_wait_loadcnt 0x2
	v_add_nc_u32_e32 v1, v1, v10
	s_delay_alu instid0(VALU_DEP_2) | instskip(NEXT) | instid1(VALU_DEP_2)
	v_pk_fma_f32 v[2:3], v[66:67], v[4:5], v[2:3]
	v_cvt_f32_i32_e32 v1, v1
	s_delay_alu instid0(VALU_DEP_2) | instskip(NEXT) | instid1(VALU_DEP_1)
	v_pk_fma_f32 v[2:3], v[12:13], v[8:9], v[2:3]
	v_add_f32_e32 v0, v2, v0
	scratch_load_b32 v2, off, s32 offset:1600 ; 4-byte Folded Reload
	s_wait_loadcnt 0x0
	v_dual_add_f32 v0, v3, v0 :: v_dual_mul_f32 v1, v2, v1
	scratch_load_b32 v2, off, s32 offset:1620 ; 4-byte Folded Reload
	v_cndmask_b32_e32 v1, 0, v1, vcc_lo
	s_wait_loadcnt 0x0
	s_delay_alu instid0(VALU_DEP_1)
	v_fmac_f32_e32 v1, v2, v0
	s_clause 0x1
	scratch_load_b32 v0, off, s32 offset:1592
	scratch_load_b64 v[2:3], off, s32 offset:200
	s_wait_loadcnt 0x1
	v_add_nc_u32_e32 v0, v0, v10
	s_wait_loadcnt 0x0
	s_delay_alu instid0(VALU_DEP_1) | instskip(SKIP_2) | instid1(VALU_DEP_2)
	v_cmp_lt_i32_e64 s1, v0, v2
	s_wait_kmcnt 0x0
	v_add_nc_u32_e32 v0, s14, v41
	v_cndmask_b32_e64 v2, 0, v1, s1
	ds_store_b32 v0, v2
	v_max_num_f32_e32 v0, v40, v40
	s_delay_alu instid0(VALU_DEP_1) | instskip(NEXT) | instid1(VALU_DEP_1)
	v_max_num_f32_e32 v0, v0, v1
	v_cndmask_b32_e64 v40, v40, v0, s1
.LBB214_14:                             ;   in Loop: Header=BB214_15 Depth=1
	s_wait_xcnt 0x0
	s_or_b32 exec_lo, exec_lo, s2
	s_clause 0x2
	scratch_load_b32 v6, off, s32 offset:252
	scratch_load_b32 v0, off, s32 offset:208
	scratch_load_b64 v[16:17], off, s32 offset:192
	v_add_nc_u32_e32 v10, 0x80, v10
	v_add_nc_u32_e32 v41, 0x200, v41
	s_wait_loadcnt 0x2
	v_add_nc_u32_e32 v6, 4, v6
	s_wait_loadcnt 0x1
	s_delay_alu instid0(VALU_DEP_1)
	v_cmp_ge_i32_e64 s1, v6, v0
	scratch_load_b64 v[0:1], off, s32 offset:220 ; 8-byte Folded Reload
	s_or_b32 s9, s1, s9
	s_wait_loadcnt 0x0
	v_add_nc_u64_e32 v[0:1], 16, v[0:1]
	scratch_store_b64 off, v[0:1], s32 offset:220 ; 8-byte Folded Spill
	s_wait_xcnt 0x0
	s_and_not1_b32 exec_lo, exec_lo, s9
	s_cbranch_execz .LBB214_1551
.LBB214_15:                             ; =>This Inner Loop Header: Depth=1
	s_clause 0x1
	scratch_load_b64 v[0:1], off, s32 offset:232
	scratch_load_b32 v4, off, s32 offset:228
	v_mov_b32_e32 v11, v17
	s_wait_loadcnt 0x1
	s_delay_alu instid0(VALU_DEP_1) | instskip(SKIP_1) | instid1(VALU_DEP_1)
	v_mul_u64_e32 v[0:1], v[10:11], v[0:1]
	s_wait_loadcnt 0x0
	v_mul_lo_u32 v0, v1, v4
	s_delay_alu instid0(VALU_DEP_1) | instskip(NEXT) | instid1(VALU_DEP_1)
	v_dual_sub_nc_u32 v0, v10, v0 :: v_dual_add_nc_u32 v2, 1, v1
	v_sub_nc_u32_e32 v3, v0, v4
	v_cmp_ge_u32_e64 s1, v0, v4
	s_delay_alu instid0(VALU_DEP_1) | instskip(NEXT) | instid1(VALU_DEP_1)
	v_dual_cndmask_b32 v1, v1, v2, s1 :: v_dual_cndmask_b32 v0, v0, v3, s1
	v_add_nc_u32_e32 v2, 1, v1
	s_delay_alu instid0(VALU_DEP_2)
	v_cmp_ge_u32_e64 s1, v0, v4
	scratch_load_b32 v4, off, s32 offset:1348 ; 4-byte Folded Reload
	v_cndmask_b32_e64 v0, v1, v2, s1
	scratch_load_b32 v1, off, s32 offset:240 ; 4-byte Folded Reload
	s_wait_loadcnt 0x0
	v_xor_b32_e32 v0, v0, v1
	s_delay_alu instid0(VALU_DEP_1) | instskip(SKIP_3) | instid1(VALU_DEP_1)
	v_sub_nc_u32_e32 v2, v0, v1
	scratch_load_b32 v0, off, s32 offset:244 ; 4-byte Folded Reload
	s_wait_loadcnt 0x0
	v_add_nc_u32_e32 v3, v2, v0
	v_sub_nc_u32_e32 v0, 0, v3
	s_delay_alu instid0(VALU_DEP_1) | instskip(SKIP_3) | instid1(VALU_DEP_1)
	v_max_i32_e32 v16, v3, v0
	scratch_load_b64 v[0:1], off, s32 offset:1352 ; 8-byte Folded Reload
	s_wait_loadcnt 0x0
	v_mul_u64_e32 v[0:1], v[16:17], v[0:1]
	v_mul_lo_u32 v0, v1, v4
	v_mov_b32_e32 v1, v17
	scratch_store_b32 off, v6, s32 offset:252 ; 4-byte Folded Spill
	v_ashrrev_i32_e32 v3, 31, v3
	scratch_store_b64 off, v[0:1], s32 offset:192 ; 8-byte Folded Spill
	s_wait_xcnt 0x0
	v_sub_nc_u32_e32 v0, v16, v0
	s_delay_alu instid0(VALU_DEP_1) | instskip(SKIP_1) | instid1(VALU_DEP_1)
	v_sub_nc_u32_e32 v1, v0, v4
	v_cmp_ge_u32_e64 s1, v0, v4
	v_cndmask_b32_e64 v0, v0, v1, s1
	s_delay_alu instid0(VALU_DEP_1) | instskip(SKIP_1) | instid1(VALU_DEP_1)
	v_sub_nc_u32_e32 v1, v0, v4
	v_cmp_ge_u32_e64 s1, v0, v4
	v_cndmask_b32_e64 v0, v0, v1, s1
	s_delay_alu instid0(VALU_DEP_1) | instskip(NEXT) | instid1(VALU_DEP_1)
	v_xor_b32_e32 v0, v0, v3
	v_sub_nc_u32_e32 v0, v0, v3
	s_delay_alu instid0(VALU_DEP_1)
	v_cmp_ne_u32_e64 s1, 0, v0
	scratch_load_b32 v0, off, s32 offset:248 ; 4-byte Folded Reload
	s_wait_loadcnt 0x0
	v_cmp_le_i32_e64 s2, v2, v0
	s_and_b32 s1, s1, s2
	s_wait_xcnt 0x0
	s_and_saveexec_b32 s2, s1
	s_delay_alu instid0(SALU_CYCLE_1)
	s_xor_b32 s1, exec_lo, s2
	s_cbranch_execz .LBB214_17
; %bb.16:                               ;   in Loop: Header=BB214_15 Depth=1
	s_wait_kmcnt 0x0
	v_dual_mov_b32 v1, 0xff7fffff :: v_dual_add_nc_u32 v0, s8, v41
	ds_store_b32 v0, v1
.LBB214_17:                             ;   in Loop: Header=BB214_15 Depth=1
	s_and_not1_saveexec_b32 s2, s1
	s_cbranch_execz .LBB214_14
; %bb.18:                               ;   in Loop: Header=BB214_15 Depth=1
	s_clause 0x1
	scratch_load_b64 v[0:1], off, s32 offset:220
	scratch_store_b64 off, v[10:11], s32 offset:1364
	s_mov_b32 s14, exec_lo
	s_wait_loadcnt 0x0
	flat_load_b32 v0, v[0:1]
	s_clause 0x1
	scratch_load_b64 v[2:3], off, s32 offset:1340
	scratch_load_b64 v[4:5], off, s32 offset:1852
	s_wait_loadcnt_dscnt 0x0
	v_mad_nc_i64_i32 v[120:121], v0, v2, v[4:5]
	flat_load_b32 v0, v[120:121]
	scratch_load_b64 v[2:3], off, s32 offset:1612 ; 8-byte Folded Reload
	s_wait_loadcnt_dscnt 0x100
	v_and_b32_e32 v1, 0xff, v0
	s_wait_loadcnt 0x0
	flat_load_b32 v2, v[2:3]
	s_wait_loadcnt_dscnt 0x0
	scratch_store_b64 off, v[2:3], s32 offset:1376 ; 8-byte Folded Spill
	s_wait_xcnt 0x0
	v_mov_b64_e32 v[2:3], 0
	scratch_store_b64 off, v[2:3], s32 offset:260 ; 8-byte Folded Spill
	s_wait_xcnt 0x0
	v_mov_b64_e32 v[2:3], 0
	scratch_store_b64 off, v[2:3], s32 offset:268 ; 8-byte Folded Spill
	s_wait_xcnt 0x0
	v_cmpx_ne_u16_e32 0, v1
	s_cbranch_execz .LBB214_26
; %bb.19:                               ;   in Loop: Header=BB214_15 Depth=1
	v_mov_b64_e32 v[2:3], 0x80000000
	s_mov_b32 s15, exec_lo
	scratch_store_b64 off, v[2:3], s32 offset:268 ; 8-byte Folded Spill
	s_wait_xcnt 0x0
	v_cmpx_ne_u16_e32 0x80, v1
	s_cbranch_execz .LBB214_25
; %bb.20:                               ;   in Loop: Header=BB214_15 Depth=1
	v_mov_b64_e32 v[4:5], 0x7f800001
	v_and_b32_e32 v2, 0x7f, v0
	s_mov_b32 s16, exec_lo
	scratch_store_b64 off, v[4:5], s32 offset:268 ; 8-byte Folded Spill
	s_wait_xcnt 0x0
	v_cmpx_ne_u32_e32 0x7f, v2
	s_cbranch_execz .LBB214_24
; %bb.21:                               ;   in Loop: Header=BB214_15 Depth=1
	scratch_load_b64 v[4:5], off, s32 offset:192 th:TH_LOAD_LU ; 8-byte Folded Reload
	s_wait_loadcnt 0x0
	v_dual_lshrrev_b32 v1, 3, v2 :: v_dual_bitop2_b32 v4, 7, v0 bitop3:0x40
	s_mov_b32 s17, exec_lo
	s_wait_xcnt 0x0
	v_cmpx_gt_u32_e32 8, v2
; %bb.22:                               ;   in Loop: Header=BB214_15 Depth=1
	s_delay_alu instid0(VALU_DEP_2) | instskip(NEXT) | instid1(VALU_DEP_1)
	v_clz_i32_u32_e32 v1, v4
	v_min_u32_e32 v1, 32, v1
	s_delay_alu instid0(VALU_DEP_1) | instskip(NEXT) | instid1(VALU_DEP_1)
	v_subrev_nc_u32_e32 v2, 28, v1
	v_lshlrev_b64_e32 v[2:3], v2, v[4:5]
	s_delay_alu instid0(VALU_DEP_1)
	v_dual_sub_nc_u32 v1, 29, v1 :: v_dual_bitop2_b32 v4, 7, v2 bitop3:0x40
; %bb.23:                               ;   in Loop: Header=BB214_15 Depth=1
	s_or_b32 exec_lo, exec_lo, s17
	v_lshlrev_b32_e32 v2, 24, v0
	s_delay_alu instid0(VALU_DEP_2) | instskip(NEXT) | instid1(VALU_DEP_3)
	v_lshlrev_b32_e32 v3, 20, v4
	v_lshl_add_u32 v1, v1, 23, 0x3c000000
	s_delay_alu instid0(VALU_DEP_3) | instskip(NEXT) | instid1(VALU_DEP_1)
	v_and_b32_e32 v2, 0x80000000, v2
	v_or3_b32 v4, v3, v2, v1
	v_mov_b32_e32 v1, v5
	s_clause 0x1
	scratch_store_b64 off, v[0:1], s32 offset:192
	scratch_store_b64 off, v[4:5], s32 offset:268
.LBB214_24:                             ;   in Loop: Header=BB214_15 Depth=1
	s_wait_xcnt 0x0
	s_or_b32 exec_lo, exec_lo, s16
.LBB214_25:                             ;   in Loop: Header=BB214_15 Depth=1
	s_delay_alu instid0(SALU_CYCLE_1)
	s_or_b32 exec_lo, exec_lo, s15
.LBB214_26:                             ;   in Loop: Header=BB214_15 Depth=1
	s_delay_alu instid0(SALU_CYCLE_1) | instskip(SKIP_2) | instid1(VALU_DEP_1)
	s_or_b32 exec_lo, exec_lo, s14
	v_lshrrev_b16 v1, 8, v0
	s_mov_b32 s14, exec_lo
	v_cmpx_ne_u16_e32 0, v1
	s_cbranch_execz .LBB214_34
; %bb.27:                               ;   in Loop: Header=BB214_15 Depth=1
	v_mov_b64_e32 v[2:3], 0x8000000000000000
	s_mov_b32 s15, exec_lo
	scratch_store_b64 off, v[2:3], s32 offset:260 ; 8-byte Folded Spill
	s_wait_xcnt 0x0
	v_cmpx_ne_u16_e32 0x80, v1
	s_cbranch_execz .LBB214_33
; %bb.28:                               ;   in Loop: Header=BB214_15 Depth=1
	v_and_b32_e32 v1, 0xffff, v1
	v_mov_b64_e32 v[4:5], 0x7f80000100000000
	s_mov_b32 s16, exec_lo
	s_delay_alu instid0(VALU_DEP_2)
	v_and_b32_e32 v2, 0x7f, v1
	scratch_store_b64 off, v[4:5], s32 offset:260 ; 8-byte Folded Spill
	s_wait_xcnt 0x0
	v_cmpx_ne_u32_e32 0x7f, v2
	s_cbranch_execz .LBB214_32
; %bb.29:                               ;   in Loop: Header=BB214_15 Depth=1
	scratch_load_b64 v[4:5], off, s32 offset:192 th:TH_LOAD_LU ; 8-byte Folded Reload
	s_wait_loadcnt 0x0
	v_dual_lshrrev_b32 v1, 3, v2 :: v_dual_bitop2_b32 v4, 7, v1 bitop3:0x40
	s_mov_b32 s17, exec_lo
	s_wait_xcnt 0x0
	v_cmpx_gt_u32_e32 8, v2
; %bb.30:                               ;   in Loop: Header=BB214_15 Depth=1
	s_delay_alu instid0(VALU_DEP_2) | instskip(NEXT) | instid1(VALU_DEP_1)
	v_clz_i32_u32_e32 v1, v4
	v_min_u32_e32 v1, 32, v1
	s_delay_alu instid0(VALU_DEP_1) | instskip(NEXT) | instid1(VALU_DEP_1)
	v_subrev_nc_u32_e32 v2, 28, v1
	v_lshlrev_b64_e32 v[2:3], v2, v[4:5]
	s_delay_alu instid0(VALU_DEP_1)
	v_dual_sub_nc_u32 v1, 29, v1 :: v_dual_bitop2_b32 v4, 7, v2 bitop3:0x40
; %bb.31:                               ;   in Loop: Header=BB214_15 Depth=1
	s_or_b32 exec_lo, exec_lo, s17
	v_lshlrev_b32_e32 v2, 16, v0
	s_delay_alu instid0(VALU_DEP_2) | instskip(NEXT) | instid1(VALU_DEP_3)
	v_lshlrev_b32_e32 v3, 20, v4
	v_lshl_add_u32 v1, v1, 23, 0x3c000000
	s_delay_alu instid0(VALU_DEP_3) | instskip(NEXT) | instid1(VALU_DEP_1)
	v_and_b32_e32 v2, 0x80000000, v2
	v_or3_b32 v3, v3, v2, v1
	v_dual_mov_b32 v1, v5 :: v_dual_mov_b32 v2, v5
	s_clause 0x1
	scratch_store_b64 off, v[0:1], s32 offset:192
	scratch_store_b64 off, v[2:3], s32 offset:260
.LBB214_32:                             ;   in Loop: Header=BB214_15 Depth=1
	s_wait_xcnt 0x0
	s_or_b32 exec_lo, exec_lo, s16
.LBB214_33:                             ;   in Loop: Header=BB214_15 Depth=1
	s_delay_alu instid0(SALU_CYCLE_1)
	s_or_b32 exec_lo, exec_lo, s15
.LBB214_34:                             ;   in Loop: Header=BB214_15 Depth=1
	s_delay_alu instid0(SALU_CYCLE_1) | instskip(SKIP_3) | instid1(VALU_DEP_1)
	s_or_b32 exec_lo, exec_lo, s14
	v_mov_b64_e32 v[4:5], 0
	v_lshrrev_b32_e32 v1, 16, v0
	s_mov_b32 s14, exec_lo
	v_and_b32_e32 v2, 0xff, v1
	scratch_store_b64 off, v[4:5], s32 offset:276 ; 8-byte Folded Spill
	s_wait_xcnt 0x0
	v_mov_b64_e32 v[4:5], 0
	scratch_store_b64 off, v[4:5], s32 offset:284 ; 8-byte Folded Spill
	s_wait_xcnt 0x0
	v_cmpx_ne_u16_e32 0, v2
	s_cbranch_execz .LBB214_42
; %bb.35:                               ;   in Loop: Header=BB214_15 Depth=1
	v_cmp_ne_u16_e64 s1, 0x80, v2
	v_mov_b64_e32 v[2:3], 0x80000000
	scratch_store_b64 off, v[2:3], s32 offset:284 ; 8-byte Folded Spill
	s_wait_xcnt 0x0
	s_and_saveexec_b32 s15, s1
	s_cbranch_execz .LBB214_41
; %bb.36:                               ;   in Loop: Header=BB214_15 Depth=1
	v_mov_b64_e32 v[4:5], 0x7f800001
	v_bfe_u32 v3, v0, 16, 7
	s_mov_b32 s16, exec_lo
	scratch_store_b64 off, v[4:5], s32 offset:284 ; 8-byte Folded Spill
	s_wait_xcnt 0x0
	v_cmpx_ne_u32_e32 0x7f, v3
	s_cbranch_execz .LBB214_40
; %bb.37:                               ;   in Loop: Header=BB214_15 Depth=1
	scratch_load_b64 v[6:7], off, s32 offset:192 th:TH_LOAD_LU ; 8-byte Folded Reload
	s_wait_loadcnt 0x0
	v_dual_lshrrev_b32 v2, 3, v3 :: v_dual_bitop2_b32 v6, 7, v1 bitop3:0x40
	s_mov_b32 s17, exec_lo
	s_wait_xcnt 0x0
	v_cmpx_gt_u32_e32 8, v3
; %bb.38:                               ;   in Loop: Header=BB214_15 Depth=1
	s_delay_alu instid0(VALU_DEP_2) | instskip(NEXT) | instid1(VALU_DEP_1)
	v_clz_i32_u32_e32 v2, v6
	v_min_u32_e32 v2, 32, v2
	s_delay_alu instid0(VALU_DEP_1) | instskip(NEXT) | instid1(VALU_DEP_1)
	v_subrev_nc_u32_e32 v3, 28, v2
	v_lshlrev_b64_e32 v[4:5], v3, v[6:7]
	s_delay_alu instid0(VALU_DEP_1)
	v_dual_sub_nc_u32 v2, 29, v2 :: v_dual_bitop2_b32 v6, 7, v4 bitop3:0x40
; %bb.39:                               ;   in Loop: Header=BB214_15 Depth=1
	s_or_b32 exec_lo, exec_lo, s17
	s_delay_alu instid0(VALU_DEP_1) | instskip(NEXT) | instid1(VALU_DEP_2)
	v_dual_lshlrev_b32 v1, 24, v1 :: v_dual_lshlrev_b32 v3, 20, v6
	v_lshl_add_u32 v2, v2, 23, 0x3c000000
	s_delay_alu instid0(VALU_DEP_2) | instskip(NEXT) | instid1(VALU_DEP_1)
	v_and_b32_e32 v1, 0x80000000, v1
	v_or3_b32 v6, v3, v1, v2
	v_mov_b32_e32 v1, v7
	s_clause 0x1
	scratch_store_b64 off, v[0:1], s32 offset:192
	scratch_store_b64 off, v[6:7], s32 offset:284
.LBB214_40:                             ;   in Loop: Header=BB214_15 Depth=1
	s_wait_xcnt 0x0
	s_or_b32 exec_lo, exec_lo, s16
.LBB214_41:                             ;   in Loop: Header=BB214_15 Depth=1
	s_delay_alu instid0(SALU_CYCLE_1)
	s_or_b32 exec_lo, exec_lo, s15
.LBB214_42:                             ;   in Loop: Header=BB214_15 Depth=1
	s_delay_alu instid0(SALU_CYCLE_1) | instskip(NEXT) | instid1(SALU_CYCLE_1)
	s_or_b32 exec_lo, exec_lo, s14
	s_mov_b32 s14, exec_lo
	v_cmpx_lt_u32_e32 0xffffff, v0
	s_cbranch_execz .LBB214_50
; %bb.43:                               ;   in Loop: Header=BB214_15 Depth=1
	v_mov_b64_e32 v[2:3], 0x8000000000000000
	v_lshrrev_b32_e32 v1, 24, v0
	s_mov_b32 s15, exec_lo
	scratch_store_b64 off, v[2:3], s32 offset:276 ; 8-byte Folded Spill
	s_wait_xcnt 0x0
	v_cmpx_ne_u32_e32 0x80, v1
	s_cbranch_execz .LBB214_49
; %bb.44:                               ;   in Loop: Header=BB214_15 Depth=1
	v_mov_b64_e32 v[4:5], 0x7f80000100000000
	v_bfe_u32 v2, v0, 24, 7
	s_mov_b32 s16, exec_lo
	scratch_store_b64 off, v[4:5], s32 offset:276 ; 8-byte Folded Spill
	s_wait_xcnt 0x0
	v_cmpx_ne_u32_e32 0x7f, v2
	s_cbranch_execz .LBB214_48
; %bb.45:                               ;   in Loop: Header=BB214_15 Depth=1
	scratch_load_b64 v[4:5], off, s32 offset:192 th:TH_LOAD_LU ; 8-byte Folded Reload
	s_wait_loadcnt 0x0
	v_dual_lshrrev_b32 v0, 3, v2 :: v_dual_bitop2_b32 v4, 7, v1 bitop3:0x40
	s_mov_b32 s17, exec_lo
	s_wait_xcnt 0x0
	v_cmpx_gt_u32_e32 8, v2
; %bb.46:                               ;   in Loop: Header=BB214_15 Depth=1
	s_delay_alu instid0(VALU_DEP_2) | instskip(NEXT) | instid1(VALU_DEP_1)
	v_clz_i32_u32_e32 v0, v4
	v_min_u32_e32 v0, 32, v0
	s_delay_alu instid0(VALU_DEP_1) | instskip(NEXT) | instid1(VALU_DEP_1)
	v_subrev_nc_u32_e32 v2, 28, v0
	v_lshlrev_b64_e32 v[2:3], v2, v[4:5]
	s_delay_alu instid0(VALU_DEP_1)
	v_dual_sub_nc_u32 v0, 29, v0 :: v_dual_bitop2_b32 v4, 7, v2 bitop3:0x40
; %bb.47:                               ;   in Loop: Header=BB214_15 Depth=1
	s_or_b32 exec_lo, exec_lo, s17
	s_delay_alu instid0(VALU_DEP_1) | instskip(NEXT) | instid1(VALU_DEP_2)
	v_dual_lshlrev_b32 v1, 24, v1 :: v_dual_lshlrev_b32 v2, 20, v4
	v_lshl_add_u32 v0, v0, 23, 0x3c000000
	s_delay_alu instid0(VALU_DEP_2) | instskip(NEXT) | instid1(VALU_DEP_1)
	v_and_b32_e32 v1, 0x80000000, v1
	v_or3_b32 v3, v2, v1, v0
	v_dual_mov_b32 v1, v5 :: v_dual_mov_b32 v2, v5
	s_clause 0x1
	scratch_store_b64 off, v[0:1], s32 offset:192
	scratch_store_b64 off, v[2:3], s32 offset:276
.LBB214_48:                             ;   in Loop: Header=BB214_15 Depth=1
	s_wait_xcnt 0x0
	s_or_b32 exec_lo, exec_lo, s16
.LBB214_49:                             ;   in Loop: Header=BB214_15 Depth=1
	s_delay_alu instid0(SALU_CYCLE_1)
	s_or_b32 exec_lo, exec_lo, s15
.LBB214_50:                             ;   in Loop: Header=BB214_15 Depth=1
	s_delay_alu instid0(SALU_CYCLE_1)
	s_or_b32 exec_lo, exec_lo, s14
	flat_load_b32 v0, v[120:121] offset:4
	v_mov_b64_e32 v[2:3], 0
	s_mov_b32 s14, exec_lo
	scratch_store_b64 off, v[2:3], s32 offset:292 ; 8-byte Folded Spill
	s_wait_xcnt 0x0
	v_mov_b64_e32 v[2:3], 0
	scratch_store_b64 off, v[2:3], s32 offset:300 ; 8-byte Folded Spill
	s_wait_loadcnt_dscnt 0x0
	v_and_b32_e32 v1, 0xff, v0
	s_wait_xcnt 0x0
	s_delay_alu instid0(VALU_DEP_1)
	v_cmpx_ne_u16_e32 0, v1
	s_cbranch_execz .LBB214_58
; %bb.51:                               ;   in Loop: Header=BB214_15 Depth=1
	v_mov_b64_e32 v[2:3], 0x80000000
	s_mov_b32 s15, exec_lo
	scratch_store_b64 off, v[2:3], s32 offset:300 ; 8-byte Folded Spill
	s_wait_xcnt 0x0
	v_cmpx_ne_u16_e32 0x80, v1
	s_cbranch_execz .LBB214_57
; %bb.52:                               ;   in Loop: Header=BB214_15 Depth=1
	v_mov_b64_e32 v[4:5], 0x7f800001
	v_and_b32_e32 v2, 0x7f, v0
	s_mov_b32 s16, exec_lo
	scratch_store_b64 off, v[4:5], s32 offset:300 ; 8-byte Folded Spill
	s_wait_xcnt 0x0
	v_cmpx_ne_u32_e32 0x7f, v2
	s_cbranch_execz .LBB214_56
; %bb.53:                               ;   in Loop: Header=BB214_15 Depth=1
	scratch_load_b64 v[4:5], off, s32 offset:192 th:TH_LOAD_LU ; 8-byte Folded Reload
	s_wait_loadcnt 0x0
	v_dual_lshrrev_b32 v1, 3, v2 :: v_dual_bitop2_b32 v4, 7, v0 bitop3:0x40
	s_mov_b32 s17, exec_lo
	s_wait_xcnt 0x0
	v_cmpx_gt_u32_e32 8, v2
; %bb.54:                               ;   in Loop: Header=BB214_15 Depth=1
	s_delay_alu instid0(VALU_DEP_2) | instskip(NEXT) | instid1(VALU_DEP_1)
	v_clz_i32_u32_e32 v1, v4
	v_min_u32_e32 v1, 32, v1
	s_delay_alu instid0(VALU_DEP_1) | instskip(NEXT) | instid1(VALU_DEP_1)
	v_subrev_nc_u32_e32 v2, 28, v1
	v_lshlrev_b64_e32 v[2:3], v2, v[4:5]
	s_delay_alu instid0(VALU_DEP_1)
	v_dual_sub_nc_u32 v1, 29, v1 :: v_dual_bitop2_b32 v4, 7, v2 bitop3:0x40
; %bb.55:                               ;   in Loop: Header=BB214_15 Depth=1
	s_or_b32 exec_lo, exec_lo, s17
	v_lshlrev_b32_e32 v2, 24, v0
	s_delay_alu instid0(VALU_DEP_2) | instskip(NEXT) | instid1(VALU_DEP_3)
	v_lshlrev_b32_e32 v3, 20, v4
	v_lshl_add_u32 v1, v1, 23, 0x3c000000
	s_delay_alu instid0(VALU_DEP_3) | instskip(NEXT) | instid1(VALU_DEP_1)
	v_and_b32_e32 v2, 0x80000000, v2
	v_or3_b32 v4, v3, v2, v1
	v_mov_b32_e32 v1, v5
	s_clause 0x1
	scratch_store_b64 off, v[0:1], s32 offset:192
	scratch_store_b64 off, v[4:5], s32 offset:300
.LBB214_56:                             ;   in Loop: Header=BB214_15 Depth=1
	s_wait_xcnt 0x0
	s_or_b32 exec_lo, exec_lo, s16
.LBB214_57:                             ;   in Loop: Header=BB214_15 Depth=1
	s_delay_alu instid0(SALU_CYCLE_1)
	s_or_b32 exec_lo, exec_lo, s15
.LBB214_58:                             ;   in Loop: Header=BB214_15 Depth=1
	s_delay_alu instid0(SALU_CYCLE_1) | instskip(SKIP_2) | instid1(VALU_DEP_1)
	s_or_b32 exec_lo, exec_lo, s14
	v_lshrrev_b16 v1, 8, v0
	s_mov_b32 s14, exec_lo
	v_cmpx_ne_u16_e32 0, v1
	s_cbranch_execz .LBB214_66
; %bb.59:                               ;   in Loop: Header=BB214_15 Depth=1
	v_mov_b64_e32 v[2:3], 0x8000000000000000
	s_mov_b32 s15, exec_lo
	scratch_store_b64 off, v[2:3], s32 offset:292 ; 8-byte Folded Spill
	s_wait_xcnt 0x0
	v_cmpx_ne_u16_e32 0x80, v1
	s_cbranch_execz .LBB214_65
; %bb.60:                               ;   in Loop: Header=BB214_15 Depth=1
	v_and_b32_e32 v1, 0xffff, v1
	v_mov_b64_e32 v[4:5], 0x7f80000100000000
	s_mov_b32 s16, exec_lo
	s_delay_alu instid0(VALU_DEP_2)
	v_and_b32_e32 v2, 0x7f, v1
	scratch_store_b64 off, v[4:5], s32 offset:292 ; 8-byte Folded Spill
	s_wait_xcnt 0x0
	v_cmpx_ne_u32_e32 0x7f, v2
	s_cbranch_execz .LBB214_64
; %bb.61:                               ;   in Loop: Header=BB214_15 Depth=1
	scratch_load_b64 v[4:5], off, s32 offset:192 th:TH_LOAD_LU ; 8-byte Folded Reload
	s_wait_loadcnt 0x0
	v_dual_lshrrev_b32 v1, 3, v2 :: v_dual_bitop2_b32 v4, 7, v1 bitop3:0x40
	s_mov_b32 s17, exec_lo
	s_wait_xcnt 0x0
	v_cmpx_gt_u32_e32 8, v2
; %bb.62:                               ;   in Loop: Header=BB214_15 Depth=1
	s_delay_alu instid0(VALU_DEP_2) | instskip(NEXT) | instid1(VALU_DEP_1)
	v_clz_i32_u32_e32 v1, v4
	v_min_u32_e32 v1, 32, v1
	s_delay_alu instid0(VALU_DEP_1) | instskip(NEXT) | instid1(VALU_DEP_1)
	v_subrev_nc_u32_e32 v2, 28, v1
	v_lshlrev_b64_e32 v[2:3], v2, v[4:5]
	s_delay_alu instid0(VALU_DEP_1)
	v_dual_sub_nc_u32 v1, 29, v1 :: v_dual_bitop2_b32 v4, 7, v2 bitop3:0x40
; %bb.63:                               ;   in Loop: Header=BB214_15 Depth=1
	s_or_b32 exec_lo, exec_lo, s17
	v_lshlrev_b32_e32 v2, 16, v0
	s_delay_alu instid0(VALU_DEP_2) | instskip(NEXT) | instid1(VALU_DEP_3)
	v_lshlrev_b32_e32 v3, 20, v4
	v_lshl_add_u32 v1, v1, 23, 0x3c000000
	s_delay_alu instid0(VALU_DEP_3) | instskip(NEXT) | instid1(VALU_DEP_1)
	v_and_b32_e32 v2, 0x80000000, v2
	v_or3_b32 v3, v3, v2, v1
	v_dual_mov_b32 v1, v5 :: v_dual_mov_b32 v2, v5
	s_clause 0x1
	scratch_store_b64 off, v[0:1], s32 offset:192
	scratch_store_b64 off, v[2:3], s32 offset:292
.LBB214_64:                             ;   in Loop: Header=BB214_15 Depth=1
	s_wait_xcnt 0x0
	s_or_b32 exec_lo, exec_lo, s16
.LBB214_65:                             ;   in Loop: Header=BB214_15 Depth=1
	s_delay_alu instid0(SALU_CYCLE_1)
	s_or_b32 exec_lo, exec_lo, s15
.LBB214_66:                             ;   in Loop: Header=BB214_15 Depth=1
	s_delay_alu instid0(SALU_CYCLE_1) | instskip(SKIP_3) | instid1(VALU_DEP_1)
	s_or_b32 exec_lo, exec_lo, s14
	v_mov_b64_e32 v[4:5], 0
	v_lshrrev_b32_e32 v1, 16, v0
	s_mov_b32 s14, exec_lo
	v_and_b32_e32 v2, 0xff, v1
	scratch_store_b64 off, v[4:5], s32 offset:308 ; 8-byte Folded Spill
	s_wait_xcnt 0x0
	v_mov_b64_e32 v[4:5], 0
	scratch_store_b64 off, v[4:5], s32 offset:316 ; 8-byte Folded Spill
	s_wait_xcnt 0x0
	v_cmpx_ne_u16_e32 0, v2
	s_cbranch_execz .LBB214_74
; %bb.67:                               ;   in Loop: Header=BB214_15 Depth=1
	v_cmp_ne_u16_e64 s1, 0x80, v2
	v_mov_b64_e32 v[2:3], 0x80000000
	scratch_store_b64 off, v[2:3], s32 offset:316 ; 8-byte Folded Spill
	s_wait_xcnt 0x0
	s_and_saveexec_b32 s15, s1
	s_cbranch_execz .LBB214_73
; %bb.68:                               ;   in Loop: Header=BB214_15 Depth=1
	v_mov_b64_e32 v[4:5], 0x7f800001
	v_bfe_u32 v3, v0, 16, 7
	s_mov_b32 s16, exec_lo
	scratch_store_b64 off, v[4:5], s32 offset:316 ; 8-byte Folded Spill
	s_wait_xcnt 0x0
	v_cmpx_ne_u32_e32 0x7f, v3
	s_cbranch_execz .LBB214_72
; %bb.69:                               ;   in Loop: Header=BB214_15 Depth=1
	scratch_load_b64 v[6:7], off, s32 offset:192 th:TH_LOAD_LU ; 8-byte Folded Reload
	s_wait_loadcnt 0x0
	v_dual_lshrrev_b32 v2, 3, v3 :: v_dual_bitop2_b32 v6, 7, v1 bitop3:0x40
	s_mov_b32 s17, exec_lo
	s_wait_xcnt 0x0
	v_cmpx_gt_u32_e32 8, v3
; %bb.70:                               ;   in Loop: Header=BB214_15 Depth=1
	s_delay_alu instid0(VALU_DEP_2) | instskip(NEXT) | instid1(VALU_DEP_1)
	v_clz_i32_u32_e32 v2, v6
	v_min_u32_e32 v2, 32, v2
	s_delay_alu instid0(VALU_DEP_1) | instskip(NEXT) | instid1(VALU_DEP_1)
	v_subrev_nc_u32_e32 v3, 28, v2
	v_lshlrev_b64_e32 v[4:5], v3, v[6:7]
	s_delay_alu instid0(VALU_DEP_1)
	v_dual_sub_nc_u32 v2, 29, v2 :: v_dual_bitop2_b32 v6, 7, v4 bitop3:0x40
; %bb.71:                               ;   in Loop: Header=BB214_15 Depth=1
	s_or_b32 exec_lo, exec_lo, s17
	s_delay_alu instid0(VALU_DEP_1) | instskip(NEXT) | instid1(VALU_DEP_2)
	v_dual_lshlrev_b32 v1, 24, v1 :: v_dual_lshlrev_b32 v3, 20, v6
	v_lshl_add_u32 v2, v2, 23, 0x3c000000
	s_delay_alu instid0(VALU_DEP_2) | instskip(NEXT) | instid1(VALU_DEP_1)
	v_and_b32_e32 v1, 0x80000000, v1
	v_or3_b32 v6, v3, v1, v2
	v_mov_b32_e32 v1, v7
	s_clause 0x1
	scratch_store_b64 off, v[0:1], s32 offset:192
	scratch_store_b64 off, v[6:7], s32 offset:316
.LBB214_72:                             ;   in Loop: Header=BB214_15 Depth=1
	s_wait_xcnt 0x0
	s_or_b32 exec_lo, exec_lo, s16
.LBB214_73:                             ;   in Loop: Header=BB214_15 Depth=1
	s_delay_alu instid0(SALU_CYCLE_1)
	s_or_b32 exec_lo, exec_lo, s15
.LBB214_74:                             ;   in Loop: Header=BB214_15 Depth=1
	s_delay_alu instid0(SALU_CYCLE_1) | instskip(NEXT) | instid1(SALU_CYCLE_1)
	s_or_b32 exec_lo, exec_lo, s14
	s_mov_b32 s14, exec_lo
	v_cmpx_lt_u32_e32 0xffffff, v0
	s_cbranch_execz .LBB214_82
; %bb.75:                               ;   in Loop: Header=BB214_15 Depth=1
	v_mov_b64_e32 v[2:3], 0x8000000000000000
	v_lshrrev_b32_e32 v1, 24, v0
	s_mov_b32 s15, exec_lo
	scratch_store_b64 off, v[2:3], s32 offset:308 ; 8-byte Folded Spill
	s_wait_xcnt 0x0
	v_cmpx_ne_u32_e32 0x80, v1
	s_cbranch_execz .LBB214_81
; %bb.76:                               ;   in Loop: Header=BB214_15 Depth=1
	v_mov_b64_e32 v[4:5], 0x7f80000100000000
	v_bfe_u32 v2, v0, 24, 7
	s_mov_b32 s16, exec_lo
	scratch_store_b64 off, v[4:5], s32 offset:308 ; 8-byte Folded Spill
	s_wait_xcnt 0x0
	v_cmpx_ne_u32_e32 0x7f, v2
	s_cbranch_execz .LBB214_80
; %bb.77:                               ;   in Loop: Header=BB214_15 Depth=1
	scratch_load_b64 v[4:5], off, s32 offset:192 th:TH_LOAD_LU ; 8-byte Folded Reload
	s_wait_loadcnt 0x0
	v_dual_lshrrev_b32 v0, 3, v2 :: v_dual_bitop2_b32 v4, 7, v1 bitop3:0x40
	s_mov_b32 s17, exec_lo
	s_wait_xcnt 0x0
	v_cmpx_gt_u32_e32 8, v2
; %bb.78:                               ;   in Loop: Header=BB214_15 Depth=1
	s_delay_alu instid0(VALU_DEP_2) | instskip(NEXT) | instid1(VALU_DEP_1)
	v_clz_i32_u32_e32 v0, v4
	v_min_u32_e32 v0, 32, v0
	s_delay_alu instid0(VALU_DEP_1) | instskip(NEXT) | instid1(VALU_DEP_1)
	v_subrev_nc_u32_e32 v2, 28, v0
	v_lshlrev_b64_e32 v[2:3], v2, v[4:5]
	s_delay_alu instid0(VALU_DEP_1)
	v_dual_sub_nc_u32 v0, 29, v0 :: v_dual_bitop2_b32 v4, 7, v2 bitop3:0x40
; %bb.79:                               ;   in Loop: Header=BB214_15 Depth=1
	s_or_b32 exec_lo, exec_lo, s17
	s_delay_alu instid0(VALU_DEP_1) | instskip(NEXT) | instid1(VALU_DEP_2)
	v_dual_lshlrev_b32 v1, 24, v1 :: v_dual_lshlrev_b32 v2, 20, v4
	v_lshl_add_u32 v0, v0, 23, 0x3c000000
	s_delay_alu instid0(VALU_DEP_2) | instskip(NEXT) | instid1(VALU_DEP_1)
	v_and_b32_e32 v1, 0x80000000, v1
	v_or3_b32 v3, v2, v1, v0
	v_dual_mov_b32 v1, v5 :: v_dual_mov_b32 v2, v5
	s_clause 0x1
	scratch_store_b64 off, v[0:1], s32 offset:192
	scratch_store_b64 off, v[2:3], s32 offset:308
.LBB214_80:                             ;   in Loop: Header=BB214_15 Depth=1
	s_wait_xcnt 0x0
	s_or_b32 exec_lo, exec_lo, s16
.LBB214_81:                             ;   in Loop: Header=BB214_15 Depth=1
	s_delay_alu instid0(SALU_CYCLE_1)
	s_or_b32 exec_lo, exec_lo, s15
.LBB214_82:                             ;   in Loop: Header=BB214_15 Depth=1
	s_delay_alu instid0(SALU_CYCLE_1)
	s_or_b32 exec_lo, exec_lo, s14
	flat_load_b32 v0, v[120:121] offset:8
	v_mov_b64_e32 v[2:3], 0
	s_mov_b32 s14, exec_lo
	scratch_store_b64 off, v[2:3], s32 offset:324 ; 8-byte Folded Spill
	s_wait_xcnt 0x0
	v_mov_b64_e32 v[2:3], 0
	scratch_store_b64 off, v[2:3], s32 offset:332 ; 8-byte Folded Spill
	s_wait_loadcnt_dscnt 0x0
	v_and_b32_e32 v1, 0xff, v0
	s_wait_xcnt 0x0
	s_delay_alu instid0(VALU_DEP_1)
	v_cmpx_ne_u16_e32 0, v1
	s_cbranch_execz .LBB214_90
; %bb.83:                               ;   in Loop: Header=BB214_15 Depth=1
	v_mov_b64_e32 v[2:3], 0x80000000
	s_mov_b32 s15, exec_lo
	scratch_store_b64 off, v[2:3], s32 offset:332 ; 8-byte Folded Spill
	s_wait_xcnt 0x0
	v_cmpx_ne_u16_e32 0x80, v1
	s_cbranch_execz .LBB214_89
; %bb.84:                               ;   in Loop: Header=BB214_15 Depth=1
	v_mov_b64_e32 v[4:5], 0x7f800001
	v_and_b32_e32 v2, 0x7f, v0
	s_mov_b32 s16, exec_lo
	scratch_store_b64 off, v[4:5], s32 offset:332 ; 8-byte Folded Spill
	s_wait_xcnt 0x0
	v_cmpx_ne_u32_e32 0x7f, v2
	s_cbranch_execz .LBB214_88
; %bb.85:                               ;   in Loop: Header=BB214_15 Depth=1
	scratch_load_b64 v[4:5], off, s32 offset:192 th:TH_LOAD_LU ; 8-byte Folded Reload
	s_wait_loadcnt 0x0
	v_dual_lshrrev_b32 v1, 3, v2 :: v_dual_bitop2_b32 v4, 7, v0 bitop3:0x40
	s_mov_b32 s17, exec_lo
	s_wait_xcnt 0x0
	v_cmpx_gt_u32_e32 8, v2
; %bb.86:                               ;   in Loop: Header=BB214_15 Depth=1
	s_delay_alu instid0(VALU_DEP_2) | instskip(NEXT) | instid1(VALU_DEP_1)
	v_clz_i32_u32_e32 v1, v4
	v_min_u32_e32 v1, 32, v1
	s_delay_alu instid0(VALU_DEP_1) | instskip(NEXT) | instid1(VALU_DEP_1)
	v_subrev_nc_u32_e32 v2, 28, v1
	v_lshlrev_b64_e32 v[2:3], v2, v[4:5]
	s_delay_alu instid0(VALU_DEP_1)
	v_dual_sub_nc_u32 v1, 29, v1 :: v_dual_bitop2_b32 v4, 7, v2 bitop3:0x40
; %bb.87:                               ;   in Loop: Header=BB214_15 Depth=1
	s_or_b32 exec_lo, exec_lo, s17
	v_lshlrev_b32_e32 v2, 24, v0
	s_delay_alu instid0(VALU_DEP_2) | instskip(NEXT) | instid1(VALU_DEP_3)
	v_lshlrev_b32_e32 v3, 20, v4
	v_lshl_add_u32 v1, v1, 23, 0x3c000000
	s_delay_alu instid0(VALU_DEP_3) | instskip(NEXT) | instid1(VALU_DEP_1)
	v_and_b32_e32 v2, 0x80000000, v2
	v_or3_b32 v4, v3, v2, v1
	v_mov_b32_e32 v1, v5
	s_clause 0x1
	scratch_store_b64 off, v[0:1], s32 offset:192
	scratch_store_b64 off, v[4:5], s32 offset:332
.LBB214_88:                             ;   in Loop: Header=BB214_15 Depth=1
	s_wait_xcnt 0x0
	s_or_b32 exec_lo, exec_lo, s16
.LBB214_89:                             ;   in Loop: Header=BB214_15 Depth=1
	s_delay_alu instid0(SALU_CYCLE_1)
	s_or_b32 exec_lo, exec_lo, s15
.LBB214_90:                             ;   in Loop: Header=BB214_15 Depth=1
	s_delay_alu instid0(SALU_CYCLE_1) | instskip(SKIP_2) | instid1(VALU_DEP_1)
	s_or_b32 exec_lo, exec_lo, s14
	v_lshrrev_b16 v1, 8, v0
	s_mov_b32 s14, exec_lo
	v_cmpx_ne_u16_e32 0, v1
	s_cbranch_execz .LBB214_98
; %bb.91:                               ;   in Loop: Header=BB214_15 Depth=1
	v_mov_b64_e32 v[2:3], 0x8000000000000000
	s_mov_b32 s15, exec_lo
	scratch_store_b64 off, v[2:3], s32 offset:324 ; 8-byte Folded Spill
	s_wait_xcnt 0x0
	v_cmpx_ne_u16_e32 0x80, v1
	s_cbranch_execz .LBB214_97
; %bb.92:                               ;   in Loop: Header=BB214_15 Depth=1
	v_and_b32_e32 v1, 0xffff, v1
	v_mov_b64_e32 v[4:5], 0x7f80000100000000
	s_mov_b32 s16, exec_lo
	s_delay_alu instid0(VALU_DEP_2)
	v_and_b32_e32 v2, 0x7f, v1
	scratch_store_b64 off, v[4:5], s32 offset:324 ; 8-byte Folded Spill
	s_wait_xcnt 0x0
	v_cmpx_ne_u32_e32 0x7f, v2
	s_cbranch_execz .LBB214_96
; %bb.93:                               ;   in Loop: Header=BB214_15 Depth=1
	scratch_load_b64 v[4:5], off, s32 offset:192 th:TH_LOAD_LU ; 8-byte Folded Reload
	s_wait_loadcnt 0x0
	v_dual_lshrrev_b32 v1, 3, v2 :: v_dual_bitop2_b32 v4, 7, v1 bitop3:0x40
	s_mov_b32 s17, exec_lo
	s_wait_xcnt 0x0
	v_cmpx_gt_u32_e32 8, v2
; %bb.94:                               ;   in Loop: Header=BB214_15 Depth=1
	s_delay_alu instid0(VALU_DEP_2) | instskip(NEXT) | instid1(VALU_DEP_1)
	v_clz_i32_u32_e32 v1, v4
	v_min_u32_e32 v1, 32, v1
	s_delay_alu instid0(VALU_DEP_1) | instskip(NEXT) | instid1(VALU_DEP_1)
	v_subrev_nc_u32_e32 v2, 28, v1
	v_lshlrev_b64_e32 v[2:3], v2, v[4:5]
	s_delay_alu instid0(VALU_DEP_1)
	v_dual_sub_nc_u32 v1, 29, v1 :: v_dual_bitop2_b32 v4, 7, v2 bitop3:0x40
; %bb.95:                               ;   in Loop: Header=BB214_15 Depth=1
	s_or_b32 exec_lo, exec_lo, s17
	v_lshlrev_b32_e32 v2, 16, v0
	s_delay_alu instid0(VALU_DEP_2) | instskip(NEXT) | instid1(VALU_DEP_3)
	v_lshlrev_b32_e32 v3, 20, v4
	v_lshl_add_u32 v1, v1, 23, 0x3c000000
	s_delay_alu instid0(VALU_DEP_3) | instskip(NEXT) | instid1(VALU_DEP_1)
	v_and_b32_e32 v2, 0x80000000, v2
	v_or3_b32 v3, v3, v2, v1
	v_dual_mov_b32 v1, v5 :: v_dual_mov_b32 v2, v5
	s_clause 0x1
	scratch_store_b64 off, v[0:1], s32 offset:192
	scratch_store_b64 off, v[2:3], s32 offset:324
.LBB214_96:                             ;   in Loop: Header=BB214_15 Depth=1
	s_wait_xcnt 0x0
	s_or_b32 exec_lo, exec_lo, s16
.LBB214_97:                             ;   in Loop: Header=BB214_15 Depth=1
	s_delay_alu instid0(SALU_CYCLE_1)
	s_or_b32 exec_lo, exec_lo, s15
.LBB214_98:                             ;   in Loop: Header=BB214_15 Depth=1
	s_delay_alu instid0(SALU_CYCLE_1) | instskip(SKIP_3) | instid1(VALU_DEP_1)
	s_or_b32 exec_lo, exec_lo, s14
	v_mov_b64_e32 v[4:5], 0
	v_lshrrev_b32_e32 v1, 16, v0
	s_mov_b32 s14, exec_lo
	v_and_b32_e32 v2, 0xff, v1
	scratch_store_b64 off, v[4:5], s32 offset:340 ; 8-byte Folded Spill
	s_wait_xcnt 0x0
	v_mov_b64_e32 v[4:5], 0
	scratch_store_b64 off, v[4:5], s32 offset:348 ; 8-byte Folded Spill
	s_wait_xcnt 0x0
	v_cmpx_ne_u16_e32 0, v2
	s_cbranch_execz .LBB214_106
; %bb.99:                               ;   in Loop: Header=BB214_15 Depth=1
	v_cmp_ne_u16_e64 s1, 0x80, v2
	v_mov_b64_e32 v[2:3], 0x80000000
	scratch_store_b64 off, v[2:3], s32 offset:348 ; 8-byte Folded Spill
	s_wait_xcnt 0x0
	s_and_saveexec_b32 s15, s1
	s_cbranch_execz .LBB214_105
; %bb.100:                              ;   in Loop: Header=BB214_15 Depth=1
	v_mov_b64_e32 v[4:5], 0x7f800001
	v_bfe_u32 v3, v0, 16, 7
	s_mov_b32 s16, exec_lo
	scratch_store_b64 off, v[4:5], s32 offset:348 ; 8-byte Folded Spill
	s_wait_xcnt 0x0
	v_cmpx_ne_u32_e32 0x7f, v3
	s_cbranch_execz .LBB214_104
; %bb.101:                              ;   in Loop: Header=BB214_15 Depth=1
	scratch_load_b64 v[6:7], off, s32 offset:192 th:TH_LOAD_LU ; 8-byte Folded Reload
	s_wait_loadcnt 0x0
	v_dual_lshrrev_b32 v2, 3, v3 :: v_dual_bitop2_b32 v6, 7, v1 bitop3:0x40
	s_mov_b32 s17, exec_lo
	s_wait_xcnt 0x0
	v_cmpx_gt_u32_e32 8, v3
; %bb.102:                              ;   in Loop: Header=BB214_15 Depth=1
	s_delay_alu instid0(VALU_DEP_2) | instskip(NEXT) | instid1(VALU_DEP_1)
	v_clz_i32_u32_e32 v2, v6
	v_min_u32_e32 v2, 32, v2
	s_delay_alu instid0(VALU_DEP_1) | instskip(NEXT) | instid1(VALU_DEP_1)
	v_subrev_nc_u32_e32 v3, 28, v2
	v_lshlrev_b64_e32 v[4:5], v3, v[6:7]
	s_delay_alu instid0(VALU_DEP_1)
	v_dual_sub_nc_u32 v2, 29, v2 :: v_dual_bitop2_b32 v6, 7, v4 bitop3:0x40
; %bb.103:                              ;   in Loop: Header=BB214_15 Depth=1
	s_or_b32 exec_lo, exec_lo, s17
	s_delay_alu instid0(VALU_DEP_1) | instskip(NEXT) | instid1(VALU_DEP_2)
	v_dual_lshlrev_b32 v1, 24, v1 :: v_dual_lshlrev_b32 v3, 20, v6
	v_lshl_add_u32 v2, v2, 23, 0x3c000000
	s_delay_alu instid0(VALU_DEP_2) | instskip(NEXT) | instid1(VALU_DEP_1)
	v_and_b32_e32 v1, 0x80000000, v1
	v_or3_b32 v6, v3, v1, v2
	v_mov_b32_e32 v1, v7
	s_clause 0x1
	scratch_store_b64 off, v[0:1], s32 offset:192
	scratch_store_b64 off, v[6:7], s32 offset:348
.LBB214_104:                            ;   in Loop: Header=BB214_15 Depth=1
	s_wait_xcnt 0x0
	s_or_b32 exec_lo, exec_lo, s16
.LBB214_105:                            ;   in Loop: Header=BB214_15 Depth=1
	s_delay_alu instid0(SALU_CYCLE_1)
	s_or_b32 exec_lo, exec_lo, s15
.LBB214_106:                            ;   in Loop: Header=BB214_15 Depth=1
	s_delay_alu instid0(SALU_CYCLE_1) | instskip(NEXT) | instid1(SALU_CYCLE_1)
	s_or_b32 exec_lo, exec_lo, s14
	s_mov_b32 s14, exec_lo
	v_cmpx_lt_u32_e32 0xffffff, v0
	s_cbranch_execz .LBB214_114
; %bb.107:                              ;   in Loop: Header=BB214_15 Depth=1
	v_mov_b64_e32 v[2:3], 0x8000000000000000
	v_lshrrev_b32_e32 v1, 24, v0
	s_mov_b32 s15, exec_lo
	scratch_store_b64 off, v[2:3], s32 offset:340 ; 8-byte Folded Spill
	s_wait_xcnt 0x0
	v_cmpx_ne_u32_e32 0x80, v1
	s_cbranch_execz .LBB214_113
; %bb.108:                              ;   in Loop: Header=BB214_15 Depth=1
	v_mov_b64_e32 v[4:5], 0x7f80000100000000
	v_bfe_u32 v2, v0, 24, 7
	s_mov_b32 s16, exec_lo
	scratch_store_b64 off, v[4:5], s32 offset:340 ; 8-byte Folded Spill
	s_wait_xcnt 0x0
	v_cmpx_ne_u32_e32 0x7f, v2
	s_cbranch_execz .LBB214_112
; %bb.109:                              ;   in Loop: Header=BB214_15 Depth=1
	scratch_load_b64 v[4:5], off, s32 offset:192 th:TH_LOAD_LU ; 8-byte Folded Reload
	s_wait_loadcnt 0x0
	v_dual_lshrrev_b32 v0, 3, v2 :: v_dual_bitop2_b32 v4, 7, v1 bitop3:0x40
	s_mov_b32 s17, exec_lo
	s_wait_xcnt 0x0
	v_cmpx_gt_u32_e32 8, v2
; %bb.110:                              ;   in Loop: Header=BB214_15 Depth=1
	s_delay_alu instid0(VALU_DEP_2) | instskip(NEXT) | instid1(VALU_DEP_1)
	v_clz_i32_u32_e32 v0, v4
	v_min_u32_e32 v0, 32, v0
	s_delay_alu instid0(VALU_DEP_1) | instskip(NEXT) | instid1(VALU_DEP_1)
	v_subrev_nc_u32_e32 v2, 28, v0
	v_lshlrev_b64_e32 v[2:3], v2, v[4:5]
	s_delay_alu instid0(VALU_DEP_1)
	v_dual_sub_nc_u32 v0, 29, v0 :: v_dual_bitop2_b32 v4, 7, v2 bitop3:0x40
; %bb.111:                              ;   in Loop: Header=BB214_15 Depth=1
	s_or_b32 exec_lo, exec_lo, s17
	s_delay_alu instid0(VALU_DEP_1) | instskip(NEXT) | instid1(VALU_DEP_2)
	v_dual_lshlrev_b32 v1, 24, v1 :: v_dual_lshlrev_b32 v2, 20, v4
	v_lshl_add_u32 v0, v0, 23, 0x3c000000
	s_delay_alu instid0(VALU_DEP_2) | instskip(NEXT) | instid1(VALU_DEP_1)
	v_and_b32_e32 v1, 0x80000000, v1
	v_or3_b32 v3, v2, v1, v0
	v_dual_mov_b32 v1, v5 :: v_dual_mov_b32 v2, v5
	s_clause 0x1
	scratch_store_b64 off, v[0:1], s32 offset:192
	scratch_store_b64 off, v[2:3], s32 offset:340
.LBB214_112:                            ;   in Loop: Header=BB214_15 Depth=1
	s_wait_xcnt 0x0
	s_or_b32 exec_lo, exec_lo, s16
.LBB214_113:                            ;   in Loop: Header=BB214_15 Depth=1
	s_delay_alu instid0(SALU_CYCLE_1)
	s_or_b32 exec_lo, exec_lo, s15
.LBB214_114:                            ;   in Loop: Header=BB214_15 Depth=1
	s_delay_alu instid0(SALU_CYCLE_1)
	s_or_b32 exec_lo, exec_lo, s14
	flat_load_b32 v0, v[120:121] offset:12
	v_mov_b64_e32 v[2:3], 0
	s_mov_b32 s14, exec_lo
	scratch_store_b64 off, v[2:3], s32 offset:356 ; 8-byte Folded Spill
	s_wait_xcnt 0x0
	v_mov_b64_e32 v[2:3], 0
	scratch_store_b64 off, v[2:3], s32 offset:364 ; 8-byte Folded Spill
	s_wait_loadcnt_dscnt 0x0
	v_and_b32_e32 v1, 0xff, v0
	s_wait_xcnt 0x0
	s_delay_alu instid0(VALU_DEP_1)
	v_cmpx_ne_u16_e32 0, v1
	s_cbranch_execz .LBB214_122
; %bb.115:                              ;   in Loop: Header=BB214_15 Depth=1
	v_mov_b64_e32 v[2:3], 0x80000000
	s_mov_b32 s15, exec_lo
	scratch_store_b64 off, v[2:3], s32 offset:364 ; 8-byte Folded Spill
	s_wait_xcnt 0x0
	v_cmpx_ne_u16_e32 0x80, v1
	s_cbranch_execz .LBB214_121
; %bb.116:                              ;   in Loop: Header=BB214_15 Depth=1
	v_mov_b64_e32 v[4:5], 0x7f800001
	v_and_b32_e32 v2, 0x7f, v0
	s_mov_b32 s16, exec_lo
	scratch_store_b64 off, v[4:5], s32 offset:364 ; 8-byte Folded Spill
	s_wait_xcnt 0x0
	v_cmpx_ne_u32_e32 0x7f, v2
	s_cbranch_execz .LBB214_120
; %bb.117:                              ;   in Loop: Header=BB214_15 Depth=1
	scratch_load_b64 v[4:5], off, s32 offset:192 th:TH_LOAD_LU ; 8-byte Folded Reload
	s_wait_loadcnt 0x0
	v_dual_lshrrev_b32 v1, 3, v2 :: v_dual_bitop2_b32 v4, 7, v0 bitop3:0x40
	s_mov_b32 s17, exec_lo
	s_wait_xcnt 0x0
	v_cmpx_gt_u32_e32 8, v2
; %bb.118:                              ;   in Loop: Header=BB214_15 Depth=1
	s_delay_alu instid0(VALU_DEP_2) | instskip(NEXT) | instid1(VALU_DEP_1)
	v_clz_i32_u32_e32 v1, v4
	v_min_u32_e32 v1, 32, v1
	s_delay_alu instid0(VALU_DEP_1) | instskip(NEXT) | instid1(VALU_DEP_1)
	v_subrev_nc_u32_e32 v2, 28, v1
	v_lshlrev_b64_e32 v[2:3], v2, v[4:5]
	s_delay_alu instid0(VALU_DEP_1)
	v_dual_sub_nc_u32 v1, 29, v1 :: v_dual_bitop2_b32 v4, 7, v2 bitop3:0x40
; %bb.119:                              ;   in Loop: Header=BB214_15 Depth=1
	s_or_b32 exec_lo, exec_lo, s17
	v_lshlrev_b32_e32 v2, 24, v0
	s_delay_alu instid0(VALU_DEP_2) | instskip(NEXT) | instid1(VALU_DEP_3)
	v_lshlrev_b32_e32 v3, 20, v4
	v_lshl_add_u32 v1, v1, 23, 0x3c000000
	s_delay_alu instid0(VALU_DEP_3) | instskip(NEXT) | instid1(VALU_DEP_1)
	v_and_b32_e32 v2, 0x80000000, v2
	v_or3_b32 v4, v3, v2, v1
	v_mov_b32_e32 v1, v5
	s_clause 0x1
	scratch_store_b64 off, v[0:1], s32 offset:192
	scratch_store_b64 off, v[4:5], s32 offset:364
.LBB214_120:                            ;   in Loop: Header=BB214_15 Depth=1
	s_wait_xcnt 0x0
	s_or_b32 exec_lo, exec_lo, s16
.LBB214_121:                            ;   in Loop: Header=BB214_15 Depth=1
	s_delay_alu instid0(SALU_CYCLE_1)
	s_or_b32 exec_lo, exec_lo, s15
.LBB214_122:                            ;   in Loop: Header=BB214_15 Depth=1
	s_delay_alu instid0(SALU_CYCLE_1) | instskip(SKIP_2) | instid1(VALU_DEP_1)
	s_or_b32 exec_lo, exec_lo, s14
	v_lshrrev_b16 v1, 8, v0
	s_mov_b32 s14, exec_lo
	v_cmpx_ne_u16_e32 0, v1
	s_cbranch_execz .LBB214_130
; %bb.123:                              ;   in Loop: Header=BB214_15 Depth=1
	v_mov_b64_e32 v[2:3], 0x8000000000000000
	s_mov_b32 s15, exec_lo
	scratch_store_b64 off, v[2:3], s32 offset:356 ; 8-byte Folded Spill
	s_wait_xcnt 0x0
	v_cmpx_ne_u16_e32 0x80, v1
	s_cbranch_execz .LBB214_129
; %bb.124:                              ;   in Loop: Header=BB214_15 Depth=1
	v_and_b32_e32 v1, 0xffff, v1
	v_mov_b64_e32 v[4:5], 0x7f80000100000000
	s_mov_b32 s16, exec_lo
	s_delay_alu instid0(VALU_DEP_2)
	v_and_b32_e32 v2, 0x7f, v1
	scratch_store_b64 off, v[4:5], s32 offset:356 ; 8-byte Folded Spill
	s_wait_xcnt 0x0
	v_cmpx_ne_u32_e32 0x7f, v2
	s_cbranch_execz .LBB214_128
; %bb.125:                              ;   in Loop: Header=BB214_15 Depth=1
	scratch_load_b64 v[4:5], off, s32 offset:192 th:TH_LOAD_LU ; 8-byte Folded Reload
	s_wait_loadcnt 0x0
	v_dual_lshrrev_b32 v1, 3, v2 :: v_dual_bitop2_b32 v4, 7, v1 bitop3:0x40
	s_mov_b32 s17, exec_lo
	s_wait_xcnt 0x0
	v_cmpx_gt_u32_e32 8, v2
; %bb.126:                              ;   in Loop: Header=BB214_15 Depth=1
	s_delay_alu instid0(VALU_DEP_2) | instskip(NEXT) | instid1(VALU_DEP_1)
	v_clz_i32_u32_e32 v1, v4
	v_min_u32_e32 v1, 32, v1
	s_delay_alu instid0(VALU_DEP_1) | instskip(NEXT) | instid1(VALU_DEP_1)
	v_subrev_nc_u32_e32 v2, 28, v1
	v_lshlrev_b64_e32 v[2:3], v2, v[4:5]
	s_delay_alu instid0(VALU_DEP_1)
	v_dual_sub_nc_u32 v1, 29, v1 :: v_dual_bitop2_b32 v4, 7, v2 bitop3:0x40
; %bb.127:                              ;   in Loop: Header=BB214_15 Depth=1
	s_or_b32 exec_lo, exec_lo, s17
	v_lshlrev_b32_e32 v2, 16, v0
	s_delay_alu instid0(VALU_DEP_2) | instskip(NEXT) | instid1(VALU_DEP_3)
	v_lshlrev_b32_e32 v3, 20, v4
	v_lshl_add_u32 v1, v1, 23, 0x3c000000
	s_delay_alu instid0(VALU_DEP_3) | instskip(NEXT) | instid1(VALU_DEP_1)
	v_and_b32_e32 v2, 0x80000000, v2
	v_or3_b32 v3, v3, v2, v1
	v_dual_mov_b32 v1, v5 :: v_dual_mov_b32 v2, v5
	s_clause 0x1
	scratch_store_b64 off, v[0:1], s32 offset:192
	scratch_store_b64 off, v[2:3], s32 offset:356
.LBB214_128:                            ;   in Loop: Header=BB214_15 Depth=1
	s_wait_xcnt 0x0
	s_or_b32 exec_lo, exec_lo, s16
.LBB214_129:                            ;   in Loop: Header=BB214_15 Depth=1
	s_delay_alu instid0(SALU_CYCLE_1)
	s_or_b32 exec_lo, exec_lo, s15
.LBB214_130:                            ;   in Loop: Header=BB214_15 Depth=1
	s_delay_alu instid0(SALU_CYCLE_1) | instskip(SKIP_3) | instid1(VALU_DEP_1)
	s_or_b32 exec_lo, exec_lo, s14
	v_mov_b64_e32 v[4:5], 0
	v_lshrrev_b32_e32 v1, 16, v0
	s_mov_b32 s14, exec_lo
	v_and_b32_e32 v2, 0xff, v1
	scratch_store_b64 off, v[4:5], s32 offset:372 ; 8-byte Folded Spill
	s_wait_xcnt 0x0
	v_mov_b64_e32 v[4:5], 0
	scratch_store_b64 off, v[4:5], s32 offset:380 ; 8-byte Folded Spill
	s_wait_xcnt 0x0
	v_cmpx_ne_u16_e32 0, v2
	s_cbranch_execz .LBB214_138
; %bb.131:                              ;   in Loop: Header=BB214_15 Depth=1
	v_cmp_ne_u16_e64 s1, 0x80, v2
	v_mov_b64_e32 v[2:3], 0x80000000
	scratch_store_b64 off, v[2:3], s32 offset:380 ; 8-byte Folded Spill
	s_wait_xcnt 0x0
	s_and_saveexec_b32 s15, s1
	s_cbranch_execz .LBB214_137
; %bb.132:                              ;   in Loop: Header=BB214_15 Depth=1
	v_mov_b64_e32 v[4:5], 0x7f800001
	v_bfe_u32 v3, v0, 16, 7
	s_mov_b32 s16, exec_lo
	scratch_store_b64 off, v[4:5], s32 offset:380 ; 8-byte Folded Spill
	s_wait_xcnt 0x0
	v_cmpx_ne_u32_e32 0x7f, v3
	s_cbranch_execz .LBB214_136
; %bb.133:                              ;   in Loop: Header=BB214_15 Depth=1
	scratch_load_b64 v[6:7], off, s32 offset:192 th:TH_LOAD_LU ; 8-byte Folded Reload
	s_wait_loadcnt 0x0
	v_dual_lshrrev_b32 v2, 3, v3 :: v_dual_bitop2_b32 v6, 7, v1 bitop3:0x40
	s_mov_b32 s17, exec_lo
	s_wait_xcnt 0x0
	v_cmpx_gt_u32_e32 8, v3
; %bb.134:                              ;   in Loop: Header=BB214_15 Depth=1
	s_delay_alu instid0(VALU_DEP_2) | instskip(NEXT) | instid1(VALU_DEP_1)
	v_clz_i32_u32_e32 v2, v6
	v_min_u32_e32 v2, 32, v2
	s_delay_alu instid0(VALU_DEP_1) | instskip(NEXT) | instid1(VALU_DEP_1)
	v_subrev_nc_u32_e32 v3, 28, v2
	v_lshlrev_b64_e32 v[4:5], v3, v[6:7]
	s_delay_alu instid0(VALU_DEP_1)
	v_dual_sub_nc_u32 v2, 29, v2 :: v_dual_bitop2_b32 v6, 7, v4 bitop3:0x40
; %bb.135:                              ;   in Loop: Header=BB214_15 Depth=1
	s_or_b32 exec_lo, exec_lo, s17
	s_delay_alu instid0(VALU_DEP_1) | instskip(NEXT) | instid1(VALU_DEP_2)
	v_dual_lshlrev_b32 v1, 24, v1 :: v_dual_lshlrev_b32 v3, 20, v6
	v_lshl_add_u32 v2, v2, 23, 0x3c000000
	s_delay_alu instid0(VALU_DEP_2) | instskip(NEXT) | instid1(VALU_DEP_1)
	v_and_b32_e32 v1, 0x80000000, v1
	v_or3_b32 v6, v3, v1, v2
	v_mov_b32_e32 v1, v7
	s_clause 0x1
	scratch_store_b64 off, v[0:1], s32 offset:192
	scratch_store_b64 off, v[6:7], s32 offset:380
.LBB214_136:                            ;   in Loop: Header=BB214_15 Depth=1
	s_wait_xcnt 0x0
	s_or_b32 exec_lo, exec_lo, s16
.LBB214_137:                            ;   in Loop: Header=BB214_15 Depth=1
	s_delay_alu instid0(SALU_CYCLE_1)
	s_or_b32 exec_lo, exec_lo, s15
.LBB214_138:                            ;   in Loop: Header=BB214_15 Depth=1
	s_delay_alu instid0(SALU_CYCLE_1) | instskip(NEXT) | instid1(SALU_CYCLE_1)
	s_or_b32 exec_lo, exec_lo, s14
	s_mov_b32 s14, exec_lo
	v_cmpx_lt_u32_e32 0xffffff, v0
	s_cbranch_execz .LBB214_146
; %bb.139:                              ;   in Loop: Header=BB214_15 Depth=1
	v_mov_b64_e32 v[2:3], 0x8000000000000000
	v_lshrrev_b32_e32 v1, 24, v0
	s_mov_b32 s15, exec_lo
	scratch_store_b64 off, v[2:3], s32 offset:372 ; 8-byte Folded Spill
	s_wait_xcnt 0x0
	v_cmpx_ne_u32_e32 0x80, v1
	s_cbranch_execz .LBB214_145
; %bb.140:                              ;   in Loop: Header=BB214_15 Depth=1
	v_mov_b64_e32 v[4:5], 0x7f80000100000000
	v_bfe_u32 v2, v0, 24, 7
	s_mov_b32 s16, exec_lo
	scratch_store_b64 off, v[4:5], s32 offset:372 ; 8-byte Folded Spill
	s_wait_xcnt 0x0
	v_cmpx_ne_u32_e32 0x7f, v2
	s_cbranch_execz .LBB214_144
; %bb.141:                              ;   in Loop: Header=BB214_15 Depth=1
	scratch_load_b64 v[4:5], off, s32 offset:192 th:TH_LOAD_LU ; 8-byte Folded Reload
	s_wait_loadcnt 0x0
	v_dual_lshrrev_b32 v0, 3, v2 :: v_dual_bitop2_b32 v4, 7, v1 bitop3:0x40
	s_mov_b32 s17, exec_lo
	s_wait_xcnt 0x0
	v_cmpx_gt_u32_e32 8, v2
; %bb.142:                              ;   in Loop: Header=BB214_15 Depth=1
	s_delay_alu instid0(VALU_DEP_2) | instskip(NEXT) | instid1(VALU_DEP_1)
	v_clz_i32_u32_e32 v0, v4
	v_min_u32_e32 v0, 32, v0
	s_delay_alu instid0(VALU_DEP_1) | instskip(NEXT) | instid1(VALU_DEP_1)
	v_subrev_nc_u32_e32 v2, 28, v0
	v_lshlrev_b64_e32 v[2:3], v2, v[4:5]
	s_delay_alu instid0(VALU_DEP_1)
	v_dual_sub_nc_u32 v0, 29, v0 :: v_dual_bitop2_b32 v4, 7, v2 bitop3:0x40
; %bb.143:                              ;   in Loop: Header=BB214_15 Depth=1
	s_or_b32 exec_lo, exec_lo, s17
	s_delay_alu instid0(VALU_DEP_1) | instskip(NEXT) | instid1(VALU_DEP_2)
	v_dual_lshlrev_b32 v1, 24, v1 :: v_dual_lshlrev_b32 v2, 20, v4
	v_lshl_add_u32 v0, v0, 23, 0x3c000000
	s_delay_alu instid0(VALU_DEP_2) | instskip(NEXT) | instid1(VALU_DEP_1)
	v_and_b32_e32 v1, 0x80000000, v1
	v_or3_b32 v3, v2, v1, v0
	v_dual_mov_b32 v1, v5 :: v_dual_mov_b32 v2, v5
	s_clause 0x1
	scratch_store_b64 off, v[0:1], s32 offset:192
	scratch_store_b64 off, v[2:3], s32 offset:372
.LBB214_144:                            ;   in Loop: Header=BB214_15 Depth=1
	s_wait_xcnt 0x0
	s_or_b32 exec_lo, exec_lo, s16
.LBB214_145:                            ;   in Loop: Header=BB214_15 Depth=1
	s_delay_alu instid0(SALU_CYCLE_1)
	s_or_b32 exec_lo, exec_lo, s15
.LBB214_146:                            ;   in Loop: Header=BB214_15 Depth=1
	s_delay_alu instid0(SALU_CYCLE_1)
	s_or_b32 exec_lo, exec_lo, s14
	flat_load_b32 v0, v[120:121] offset:512
	v_mov_b64_e32 v[2:3], 0
	s_mov_b32 s14, exec_lo
	scratch_store_b64 off, v[2:3], s32 offset:388 ; 8-byte Folded Spill
	s_wait_xcnt 0x0
	v_mov_b64_e32 v[2:3], 0
	scratch_store_b64 off, v[2:3], s32 offset:396 ; 8-byte Folded Spill
	s_wait_loadcnt_dscnt 0x0
	v_and_b32_e32 v1, 0xff, v0
	s_wait_xcnt 0x0
	s_delay_alu instid0(VALU_DEP_1)
	v_cmpx_ne_u16_e32 0, v1
	s_cbranch_execz .LBB214_154
; %bb.147:                              ;   in Loop: Header=BB214_15 Depth=1
	v_mov_b64_e32 v[2:3], 0x80000000
	s_mov_b32 s15, exec_lo
	scratch_store_b64 off, v[2:3], s32 offset:396 ; 8-byte Folded Spill
	s_wait_xcnt 0x0
	v_cmpx_ne_u16_e32 0x80, v1
	s_cbranch_execz .LBB214_153
; %bb.148:                              ;   in Loop: Header=BB214_15 Depth=1
	v_mov_b64_e32 v[4:5], 0x7f800001
	v_and_b32_e32 v2, 0x7f, v0
	s_mov_b32 s16, exec_lo
	scratch_store_b64 off, v[4:5], s32 offset:396 ; 8-byte Folded Spill
	s_wait_xcnt 0x0
	v_cmpx_ne_u32_e32 0x7f, v2
	s_cbranch_execz .LBB214_152
; %bb.149:                              ;   in Loop: Header=BB214_15 Depth=1
	scratch_load_b64 v[4:5], off, s32 offset:192 th:TH_LOAD_LU ; 8-byte Folded Reload
	s_wait_loadcnt 0x0
	v_dual_lshrrev_b32 v1, 3, v2 :: v_dual_bitop2_b32 v4, 7, v0 bitop3:0x40
	s_mov_b32 s17, exec_lo
	s_wait_xcnt 0x0
	v_cmpx_gt_u32_e32 8, v2
; %bb.150:                              ;   in Loop: Header=BB214_15 Depth=1
	s_delay_alu instid0(VALU_DEP_2) | instskip(NEXT) | instid1(VALU_DEP_1)
	v_clz_i32_u32_e32 v1, v4
	v_min_u32_e32 v1, 32, v1
	s_delay_alu instid0(VALU_DEP_1) | instskip(NEXT) | instid1(VALU_DEP_1)
	v_subrev_nc_u32_e32 v2, 28, v1
	v_lshlrev_b64_e32 v[2:3], v2, v[4:5]
	s_delay_alu instid0(VALU_DEP_1)
	v_dual_sub_nc_u32 v1, 29, v1 :: v_dual_bitop2_b32 v4, 7, v2 bitop3:0x40
; %bb.151:                              ;   in Loop: Header=BB214_15 Depth=1
	s_or_b32 exec_lo, exec_lo, s17
	v_lshlrev_b32_e32 v2, 24, v0
	s_delay_alu instid0(VALU_DEP_2) | instskip(NEXT) | instid1(VALU_DEP_3)
	v_lshlrev_b32_e32 v3, 20, v4
	v_lshl_add_u32 v1, v1, 23, 0x3c000000
	s_delay_alu instid0(VALU_DEP_3) | instskip(NEXT) | instid1(VALU_DEP_1)
	v_and_b32_e32 v2, 0x80000000, v2
	v_or3_b32 v4, v3, v2, v1
	v_mov_b32_e32 v1, v5
	s_clause 0x1
	scratch_store_b64 off, v[0:1], s32 offset:192
	scratch_store_b64 off, v[4:5], s32 offset:396
.LBB214_152:                            ;   in Loop: Header=BB214_15 Depth=1
	s_wait_xcnt 0x0
	s_or_b32 exec_lo, exec_lo, s16
.LBB214_153:                            ;   in Loop: Header=BB214_15 Depth=1
	s_delay_alu instid0(SALU_CYCLE_1)
	s_or_b32 exec_lo, exec_lo, s15
.LBB214_154:                            ;   in Loop: Header=BB214_15 Depth=1
	s_delay_alu instid0(SALU_CYCLE_1) | instskip(SKIP_2) | instid1(VALU_DEP_1)
	s_or_b32 exec_lo, exec_lo, s14
	v_lshrrev_b16 v1, 8, v0
	s_mov_b32 s14, exec_lo
	v_cmpx_ne_u16_e32 0, v1
	s_cbranch_execz .LBB214_162
; %bb.155:                              ;   in Loop: Header=BB214_15 Depth=1
	v_mov_b64_e32 v[2:3], 0x8000000000000000
	s_mov_b32 s15, exec_lo
	scratch_store_b64 off, v[2:3], s32 offset:388 ; 8-byte Folded Spill
	s_wait_xcnt 0x0
	v_cmpx_ne_u16_e32 0x80, v1
	s_cbranch_execz .LBB214_161
; %bb.156:                              ;   in Loop: Header=BB214_15 Depth=1
	v_and_b32_e32 v1, 0xffff, v1
	v_mov_b64_e32 v[4:5], 0x7f80000100000000
	s_mov_b32 s16, exec_lo
	s_delay_alu instid0(VALU_DEP_2)
	v_and_b32_e32 v2, 0x7f, v1
	scratch_store_b64 off, v[4:5], s32 offset:388 ; 8-byte Folded Spill
	s_wait_xcnt 0x0
	v_cmpx_ne_u32_e32 0x7f, v2
	s_cbranch_execz .LBB214_160
; %bb.157:                              ;   in Loop: Header=BB214_15 Depth=1
	scratch_load_b64 v[4:5], off, s32 offset:192 th:TH_LOAD_LU ; 8-byte Folded Reload
	s_wait_loadcnt 0x0
	v_dual_lshrrev_b32 v1, 3, v2 :: v_dual_bitop2_b32 v4, 7, v1 bitop3:0x40
	s_mov_b32 s17, exec_lo
	s_wait_xcnt 0x0
	v_cmpx_gt_u32_e32 8, v2
; %bb.158:                              ;   in Loop: Header=BB214_15 Depth=1
	s_delay_alu instid0(VALU_DEP_2) | instskip(NEXT) | instid1(VALU_DEP_1)
	v_clz_i32_u32_e32 v1, v4
	v_min_u32_e32 v1, 32, v1
	s_delay_alu instid0(VALU_DEP_1) | instskip(NEXT) | instid1(VALU_DEP_1)
	v_subrev_nc_u32_e32 v2, 28, v1
	v_lshlrev_b64_e32 v[2:3], v2, v[4:5]
	s_delay_alu instid0(VALU_DEP_1)
	v_dual_sub_nc_u32 v1, 29, v1 :: v_dual_bitop2_b32 v4, 7, v2 bitop3:0x40
; %bb.159:                              ;   in Loop: Header=BB214_15 Depth=1
	s_or_b32 exec_lo, exec_lo, s17
	v_lshlrev_b32_e32 v2, 16, v0
	s_delay_alu instid0(VALU_DEP_2) | instskip(NEXT) | instid1(VALU_DEP_3)
	v_lshlrev_b32_e32 v3, 20, v4
	v_lshl_add_u32 v1, v1, 23, 0x3c000000
	s_delay_alu instid0(VALU_DEP_3) | instskip(NEXT) | instid1(VALU_DEP_1)
	v_and_b32_e32 v2, 0x80000000, v2
	v_or3_b32 v3, v3, v2, v1
	v_dual_mov_b32 v1, v5 :: v_dual_mov_b32 v2, v5
	s_clause 0x1
	scratch_store_b64 off, v[0:1], s32 offset:192
	scratch_store_b64 off, v[2:3], s32 offset:388
.LBB214_160:                            ;   in Loop: Header=BB214_15 Depth=1
	s_wait_xcnt 0x0
	s_or_b32 exec_lo, exec_lo, s16
.LBB214_161:                            ;   in Loop: Header=BB214_15 Depth=1
	s_delay_alu instid0(SALU_CYCLE_1)
	s_or_b32 exec_lo, exec_lo, s15
.LBB214_162:                            ;   in Loop: Header=BB214_15 Depth=1
	s_delay_alu instid0(SALU_CYCLE_1) | instskip(SKIP_3) | instid1(VALU_DEP_1)
	s_or_b32 exec_lo, exec_lo, s14
	v_mov_b64_e32 v[4:5], 0
	v_lshrrev_b32_e32 v1, 16, v0
	s_mov_b32 s14, exec_lo
	v_and_b32_e32 v2, 0xff, v1
	scratch_store_b64 off, v[4:5], s32 offset:404 ; 8-byte Folded Spill
	s_wait_xcnt 0x0
	v_mov_b64_e32 v[4:5], 0
	scratch_store_b64 off, v[4:5], s32 offset:412 ; 8-byte Folded Spill
	s_wait_xcnt 0x0
	v_cmpx_ne_u16_e32 0, v2
	s_cbranch_execz .LBB214_170
; %bb.163:                              ;   in Loop: Header=BB214_15 Depth=1
	v_cmp_ne_u16_e64 s1, 0x80, v2
	v_mov_b64_e32 v[2:3], 0x80000000
	scratch_store_b64 off, v[2:3], s32 offset:412 ; 8-byte Folded Spill
	s_wait_xcnt 0x0
	s_and_saveexec_b32 s15, s1
	s_cbranch_execz .LBB214_169
; %bb.164:                              ;   in Loop: Header=BB214_15 Depth=1
	v_mov_b64_e32 v[4:5], 0x7f800001
	v_bfe_u32 v3, v0, 16, 7
	s_mov_b32 s16, exec_lo
	scratch_store_b64 off, v[4:5], s32 offset:412 ; 8-byte Folded Spill
	s_wait_xcnt 0x0
	v_cmpx_ne_u32_e32 0x7f, v3
	s_cbranch_execz .LBB214_168
; %bb.165:                              ;   in Loop: Header=BB214_15 Depth=1
	scratch_load_b64 v[6:7], off, s32 offset:192 th:TH_LOAD_LU ; 8-byte Folded Reload
	s_wait_loadcnt 0x0
	v_dual_lshrrev_b32 v2, 3, v3 :: v_dual_bitop2_b32 v6, 7, v1 bitop3:0x40
	s_mov_b32 s17, exec_lo
	s_wait_xcnt 0x0
	v_cmpx_gt_u32_e32 8, v3
; %bb.166:                              ;   in Loop: Header=BB214_15 Depth=1
	s_delay_alu instid0(VALU_DEP_2) | instskip(NEXT) | instid1(VALU_DEP_1)
	v_clz_i32_u32_e32 v2, v6
	v_min_u32_e32 v2, 32, v2
	s_delay_alu instid0(VALU_DEP_1) | instskip(NEXT) | instid1(VALU_DEP_1)
	v_subrev_nc_u32_e32 v3, 28, v2
	v_lshlrev_b64_e32 v[4:5], v3, v[6:7]
	s_delay_alu instid0(VALU_DEP_1)
	v_dual_sub_nc_u32 v2, 29, v2 :: v_dual_bitop2_b32 v6, 7, v4 bitop3:0x40
; %bb.167:                              ;   in Loop: Header=BB214_15 Depth=1
	s_or_b32 exec_lo, exec_lo, s17
	s_delay_alu instid0(VALU_DEP_1) | instskip(NEXT) | instid1(VALU_DEP_2)
	v_dual_lshlrev_b32 v1, 24, v1 :: v_dual_lshlrev_b32 v3, 20, v6
	v_lshl_add_u32 v2, v2, 23, 0x3c000000
	s_delay_alu instid0(VALU_DEP_2) | instskip(NEXT) | instid1(VALU_DEP_1)
	v_and_b32_e32 v1, 0x80000000, v1
	v_or3_b32 v6, v3, v1, v2
	v_mov_b32_e32 v1, v7
	s_clause 0x1
	scratch_store_b64 off, v[0:1], s32 offset:192
	scratch_store_b64 off, v[6:7], s32 offset:412
.LBB214_168:                            ;   in Loop: Header=BB214_15 Depth=1
	s_wait_xcnt 0x0
	s_or_b32 exec_lo, exec_lo, s16
.LBB214_169:                            ;   in Loop: Header=BB214_15 Depth=1
	s_delay_alu instid0(SALU_CYCLE_1)
	s_or_b32 exec_lo, exec_lo, s15
.LBB214_170:                            ;   in Loop: Header=BB214_15 Depth=1
	s_delay_alu instid0(SALU_CYCLE_1) | instskip(NEXT) | instid1(SALU_CYCLE_1)
	s_or_b32 exec_lo, exec_lo, s14
	s_mov_b32 s14, exec_lo
	v_cmpx_lt_u32_e32 0xffffff, v0
	s_cbranch_execz .LBB214_178
; %bb.171:                              ;   in Loop: Header=BB214_15 Depth=1
	v_mov_b64_e32 v[2:3], 0x8000000000000000
	v_lshrrev_b32_e32 v1, 24, v0
	s_mov_b32 s15, exec_lo
	scratch_store_b64 off, v[2:3], s32 offset:404 ; 8-byte Folded Spill
	s_wait_xcnt 0x0
	v_cmpx_ne_u32_e32 0x80, v1
	s_cbranch_execz .LBB214_177
; %bb.172:                              ;   in Loop: Header=BB214_15 Depth=1
	v_mov_b64_e32 v[4:5], 0x7f80000100000000
	v_bfe_u32 v2, v0, 24, 7
	s_mov_b32 s16, exec_lo
	scratch_store_b64 off, v[4:5], s32 offset:404 ; 8-byte Folded Spill
	s_wait_xcnt 0x0
	v_cmpx_ne_u32_e32 0x7f, v2
	s_cbranch_execz .LBB214_176
; %bb.173:                              ;   in Loop: Header=BB214_15 Depth=1
	scratch_load_b64 v[4:5], off, s32 offset:192 th:TH_LOAD_LU ; 8-byte Folded Reload
	s_wait_loadcnt 0x0
	v_dual_lshrrev_b32 v0, 3, v2 :: v_dual_bitop2_b32 v4, 7, v1 bitop3:0x40
	s_mov_b32 s17, exec_lo
	s_wait_xcnt 0x0
	v_cmpx_gt_u32_e32 8, v2
; %bb.174:                              ;   in Loop: Header=BB214_15 Depth=1
	s_delay_alu instid0(VALU_DEP_2) | instskip(NEXT) | instid1(VALU_DEP_1)
	v_clz_i32_u32_e32 v0, v4
	v_min_u32_e32 v0, 32, v0
	s_delay_alu instid0(VALU_DEP_1) | instskip(NEXT) | instid1(VALU_DEP_1)
	v_subrev_nc_u32_e32 v2, 28, v0
	v_lshlrev_b64_e32 v[2:3], v2, v[4:5]
	s_delay_alu instid0(VALU_DEP_1)
	v_dual_sub_nc_u32 v0, 29, v0 :: v_dual_bitop2_b32 v4, 7, v2 bitop3:0x40
; %bb.175:                              ;   in Loop: Header=BB214_15 Depth=1
	s_or_b32 exec_lo, exec_lo, s17
	s_delay_alu instid0(VALU_DEP_1) | instskip(NEXT) | instid1(VALU_DEP_2)
	v_dual_lshlrev_b32 v1, 24, v1 :: v_dual_lshlrev_b32 v2, 20, v4
	v_lshl_add_u32 v0, v0, 23, 0x3c000000
	s_delay_alu instid0(VALU_DEP_2) | instskip(NEXT) | instid1(VALU_DEP_1)
	v_and_b32_e32 v1, 0x80000000, v1
	v_or3_b32 v3, v2, v1, v0
	v_dual_mov_b32 v1, v5 :: v_dual_mov_b32 v2, v5
	s_clause 0x1
	scratch_store_b64 off, v[0:1], s32 offset:192
	scratch_store_b64 off, v[2:3], s32 offset:404
.LBB214_176:                            ;   in Loop: Header=BB214_15 Depth=1
	s_wait_xcnt 0x0
	s_or_b32 exec_lo, exec_lo, s16
.LBB214_177:                            ;   in Loop: Header=BB214_15 Depth=1
	s_delay_alu instid0(SALU_CYCLE_1)
	s_or_b32 exec_lo, exec_lo, s15
.LBB214_178:                            ;   in Loop: Header=BB214_15 Depth=1
	s_delay_alu instid0(SALU_CYCLE_1)
	s_or_b32 exec_lo, exec_lo, s14
	flat_load_b32 v0, v[120:121] offset:516
	v_mov_b64_e32 v[2:3], 0
	s_mov_b32 s14, exec_lo
	scratch_store_b64 off, v[2:3], s32 offset:420 ; 8-byte Folded Spill
	s_wait_xcnt 0x0
	v_mov_b64_e32 v[2:3], 0
	scratch_store_b64 off, v[2:3], s32 offset:428 ; 8-byte Folded Spill
	s_wait_loadcnt_dscnt 0x0
	v_and_b32_e32 v1, 0xff, v0
	s_wait_xcnt 0x0
	s_delay_alu instid0(VALU_DEP_1)
	v_cmpx_ne_u16_e32 0, v1
	s_cbranch_execz .LBB214_186
; %bb.179:                              ;   in Loop: Header=BB214_15 Depth=1
	v_mov_b64_e32 v[2:3], 0x80000000
	s_mov_b32 s15, exec_lo
	scratch_store_b64 off, v[2:3], s32 offset:428 ; 8-byte Folded Spill
	s_wait_xcnt 0x0
	v_cmpx_ne_u16_e32 0x80, v1
	s_cbranch_execz .LBB214_185
; %bb.180:                              ;   in Loop: Header=BB214_15 Depth=1
	v_mov_b64_e32 v[4:5], 0x7f800001
	v_and_b32_e32 v2, 0x7f, v0
	s_mov_b32 s16, exec_lo
	scratch_store_b64 off, v[4:5], s32 offset:428 ; 8-byte Folded Spill
	s_wait_xcnt 0x0
	v_cmpx_ne_u32_e32 0x7f, v2
	s_cbranch_execz .LBB214_184
; %bb.181:                              ;   in Loop: Header=BB214_15 Depth=1
	scratch_load_b64 v[4:5], off, s32 offset:192 th:TH_LOAD_LU ; 8-byte Folded Reload
	s_wait_loadcnt 0x0
	v_dual_lshrrev_b32 v1, 3, v2 :: v_dual_bitop2_b32 v4, 7, v0 bitop3:0x40
	s_mov_b32 s17, exec_lo
	s_wait_xcnt 0x0
	v_cmpx_gt_u32_e32 8, v2
; %bb.182:                              ;   in Loop: Header=BB214_15 Depth=1
	s_delay_alu instid0(VALU_DEP_2) | instskip(NEXT) | instid1(VALU_DEP_1)
	v_clz_i32_u32_e32 v1, v4
	v_min_u32_e32 v1, 32, v1
	s_delay_alu instid0(VALU_DEP_1) | instskip(NEXT) | instid1(VALU_DEP_1)
	v_subrev_nc_u32_e32 v2, 28, v1
	v_lshlrev_b64_e32 v[2:3], v2, v[4:5]
	s_delay_alu instid0(VALU_DEP_1)
	v_dual_sub_nc_u32 v1, 29, v1 :: v_dual_bitop2_b32 v4, 7, v2 bitop3:0x40
; %bb.183:                              ;   in Loop: Header=BB214_15 Depth=1
	s_or_b32 exec_lo, exec_lo, s17
	v_lshlrev_b32_e32 v2, 24, v0
	s_delay_alu instid0(VALU_DEP_2) | instskip(NEXT) | instid1(VALU_DEP_3)
	v_lshlrev_b32_e32 v3, 20, v4
	v_lshl_add_u32 v1, v1, 23, 0x3c000000
	s_delay_alu instid0(VALU_DEP_3) | instskip(NEXT) | instid1(VALU_DEP_1)
	v_and_b32_e32 v2, 0x80000000, v2
	v_or3_b32 v4, v3, v2, v1
	v_mov_b32_e32 v1, v5
	s_clause 0x1
	scratch_store_b64 off, v[0:1], s32 offset:192
	scratch_store_b64 off, v[4:5], s32 offset:428
.LBB214_184:                            ;   in Loop: Header=BB214_15 Depth=1
	s_wait_xcnt 0x0
	s_or_b32 exec_lo, exec_lo, s16
.LBB214_185:                            ;   in Loop: Header=BB214_15 Depth=1
	s_delay_alu instid0(SALU_CYCLE_1)
	s_or_b32 exec_lo, exec_lo, s15
.LBB214_186:                            ;   in Loop: Header=BB214_15 Depth=1
	s_delay_alu instid0(SALU_CYCLE_1) | instskip(SKIP_2) | instid1(VALU_DEP_1)
	s_or_b32 exec_lo, exec_lo, s14
	v_lshrrev_b16 v1, 8, v0
	s_mov_b32 s14, exec_lo
	v_cmpx_ne_u16_e32 0, v1
	s_cbranch_execz .LBB214_194
; %bb.187:                              ;   in Loop: Header=BB214_15 Depth=1
	v_mov_b64_e32 v[2:3], 0x8000000000000000
	s_mov_b32 s15, exec_lo
	scratch_store_b64 off, v[2:3], s32 offset:420 ; 8-byte Folded Spill
	s_wait_xcnt 0x0
	v_cmpx_ne_u16_e32 0x80, v1
	s_cbranch_execz .LBB214_193
; %bb.188:                              ;   in Loop: Header=BB214_15 Depth=1
	v_and_b32_e32 v1, 0xffff, v1
	v_mov_b64_e32 v[4:5], 0x7f80000100000000
	s_mov_b32 s16, exec_lo
	s_delay_alu instid0(VALU_DEP_2)
	v_and_b32_e32 v2, 0x7f, v1
	scratch_store_b64 off, v[4:5], s32 offset:420 ; 8-byte Folded Spill
	s_wait_xcnt 0x0
	v_cmpx_ne_u32_e32 0x7f, v2
	s_cbranch_execz .LBB214_192
; %bb.189:                              ;   in Loop: Header=BB214_15 Depth=1
	scratch_load_b64 v[4:5], off, s32 offset:192 th:TH_LOAD_LU ; 8-byte Folded Reload
	s_wait_loadcnt 0x0
	v_dual_lshrrev_b32 v1, 3, v2 :: v_dual_bitop2_b32 v4, 7, v1 bitop3:0x40
	s_mov_b32 s17, exec_lo
	s_wait_xcnt 0x0
	v_cmpx_gt_u32_e32 8, v2
; %bb.190:                              ;   in Loop: Header=BB214_15 Depth=1
	s_delay_alu instid0(VALU_DEP_2) | instskip(NEXT) | instid1(VALU_DEP_1)
	v_clz_i32_u32_e32 v1, v4
	v_min_u32_e32 v1, 32, v1
	s_delay_alu instid0(VALU_DEP_1) | instskip(NEXT) | instid1(VALU_DEP_1)
	v_subrev_nc_u32_e32 v2, 28, v1
	v_lshlrev_b64_e32 v[2:3], v2, v[4:5]
	s_delay_alu instid0(VALU_DEP_1)
	v_dual_sub_nc_u32 v1, 29, v1 :: v_dual_bitop2_b32 v4, 7, v2 bitop3:0x40
; %bb.191:                              ;   in Loop: Header=BB214_15 Depth=1
	s_or_b32 exec_lo, exec_lo, s17
	v_lshlrev_b32_e32 v2, 16, v0
	s_delay_alu instid0(VALU_DEP_2) | instskip(NEXT) | instid1(VALU_DEP_3)
	v_lshlrev_b32_e32 v3, 20, v4
	v_lshl_add_u32 v1, v1, 23, 0x3c000000
	s_delay_alu instid0(VALU_DEP_3) | instskip(NEXT) | instid1(VALU_DEP_1)
	v_and_b32_e32 v2, 0x80000000, v2
	v_or3_b32 v3, v3, v2, v1
	v_dual_mov_b32 v1, v5 :: v_dual_mov_b32 v2, v5
	s_clause 0x1
	scratch_store_b64 off, v[0:1], s32 offset:192
	scratch_store_b64 off, v[2:3], s32 offset:420
.LBB214_192:                            ;   in Loop: Header=BB214_15 Depth=1
	s_wait_xcnt 0x0
	s_or_b32 exec_lo, exec_lo, s16
.LBB214_193:                            ;   in Loop: Header=BB214_15 Depth=1
	s_delay_alu instid0(SALU_CYCLE_1)
	s_or_b32 exec_lo, exec_lo, s15
.LBB214_194:                            ;   in Loop: Header=BB214_15 Depth=1
	s_delay_alu instid0(SALU_CYCLE_1) | instskip(SKIP_3) | instid1(VALU_DEP_1)
	s_or_b32 exec_lo, exec_lo, s14
	v_mov_b64_e32 v[4:5], 0
	v_lshrrev_b32_e32 v1, 16, v0
	s_mov_b32 s14, exec_lo
	v_and_b32_e32 v2, 0xff, v1
	scratch_store_b64 off, v[4:5], s32 offset:436 ; 8-byte Folded Spill
	s_wait_xcnt 0x0
	v_mov_b64_e32 v[4:5], 0
	scratch_store_b64 off, v[4:5], s32 offset:444 ; 8-byte Folded Spill
	s_wait_xcnt 0x0
	v_cmpx_ne_u16_e32 0, v2
	s_cbranch_execz .LBB214_202
; %bb.195:                              ;   in Loop: Header=BB214_15 Depth=1
	v_cmp_ne_u16_e64 s1, 0x80, v2
	v_mov_b64_e32 v[2:3], 0x80000000
	scratch_store_b64 off, v[2:3], s32 offset:444 ; 8-byte Folded Spill
	s_wait_xcnt 0x0
	s_and_saveexec_b32 s15, s1
	s_cbranch_execz .LBB214_201
; %bb.196:                              ;   in Loop: Header=BB214_15 Depth=1
	v_mov_b64_e32 v[4:5], 0x7f800001
	v_bfe_u32 v3, v0, 16, 7
	s_mov_b32 s16, exec_lo
	scratch_store_b64 off, v[4:5], s32 offset:444 ; 8-byte Folded Spill
	s_wait_xcnt 0x0
	v_cmpx_ne_u32_e32 0x7f, v3
	s_cbranch_execz .LBB214_200
; %bb.197:                              ;   in Loop: Header=BB214_15 Depth=1
	scratch_load_b64 v[6:7], off, s32 offset:192 th:TH_LOAD_LU ; 8-byte Folded Reload
	s_wait_loadcnt 0x0
	v_dual_lshrrev_b32 v2, 3, v3 :: v_dual_bitop2_b32 v6, 7, v1 bitop3:0x40
	s_mov_b32 s17, exec_lo
	s_wait_xcnt 0x0
	v_cmpx_gt_u32_e32 8, v3
; %bb.198:                              ;   in Loop: Header=BB214_15 Depth=1
	s_delay_alu instid0(VALU_DEP_2) | instskip(NEXT) | instid1(VALU_DEP_1)
	v_clz_i32_u32_e32 v2, v6
	v_min_u32_e32 v2, 32, v2
	s_delay_alu instid0(VALU_DEP_1) | instskip(NEXT) | instid1(VALU_DEP_1)
	v_subrev_nc_u32_e32 v3, 28, v2
	v_lshlrev_b64_e32 v[4:5], v3, v[6:7]
	s_delay_alu instid0(VALU_DEP_1)
	v_dual_sub_nc_u32 v2, 29, v2 :: v_dual_bitop2_b32 v6, 7, v4 bitop3:0x40
; %bb.199:                              ;   in Loop: Header=BB214_15 Depth=1
	s_or_b32 exec_lo, exec_lo, s17
	s_delay_alu instid0(VALU_DEP_1) | instskip(NEXT) | instid1(VALU_DEP_2)
	v_dual_lshlrev_b32 v1, 24, v1 :: v_dual_lshlrev_b32 v3, 20, v6
	v_lshl_add_u32 v2, v2, 23, 0x3c000000
	s_delay_alu instid0(VALU_DEP_2) | instskip(NEXT) | instid1(VALU_DEP_1)
	v_and_b32_e32 v1, 0x80000000, v1
	v_or3_b32 v6, v3, v1, v2
	v_mov_b32_e32 v1, v7
	s_clause 0x1
	scratch_store_b64 off, v[0:1], s32 offset:192
	scratch_store_b64 off, v[6:7], s32 offset:444
.LBB214_200:                            ;   in Loop: Header=BB214_15 Depth=1
	s_wait_xcnt 0x0
	s_or_b32 exec_lo, exec_lo, s16
.LBB214_201:                            ;   in Loop: Header=BB214_15 Depth=1
	s_delay_alu instid0(SALU_CYCLE_1)
	s_or_b32 exec_lo, exec_lo, s15
.LBB214_202:                            ;   in Loop: Header=BB214_15 Depth=1
	s_delay_alu instid0(SALU_CYCLE_1) | instskip(NEXT) | instid1(SALU_CYCLE_1)
	s_or_b32 exec_lo, exec_lo, s14
	s_mov_b32 s14, exec_lo
	v_cmpx_lt_u32_e32 0xffffff, v0
	s_cbranch_execz .LBB214_210
; %bb.203:                              ;   in Loop: Header=BB214_15 Depth=1
	v_mov_b64_e32 v[2:3], 0x8000000000000000
	v_lshrrev_b32_e32 v1, 24, v0
	s_mov_b32 s15, exec_lo
	scratch_store_b64 off, v[2:3], s32 offset:436 ; 8-byte Folded Spill
	s_wait_xcnt 0x0
	v_cmpx_ne_u32_e32 0x80, v1
	s_cbranch_execz .LBB214_209
; %bb.204:                              ;   in Loop: Header=BB214_15 Depth=1
	v_mov_b64_e32 v[4:5], 0x7f80000100000000
	v_bfe_u32 v2, v0, 24, 7
	s_mov_b32 s16, exec_lo
	scratch_store_b64 off, v[4:5], s32 offset:436 ; 8-byte Folded Spill
	s_wait_xcnt 0x0
	v_cmpx_ne_u32_e32 0x7f, v2
	s_cbranch_execz .LBB214_208
; %bb.205:                              ;   in Loop: Header=BB214_15 Depth=1
	scratch_load_b64 v[4:5], off, s32 offset:192 th:TH_LOAD_LU ; 8-byte Folded Reload
	s_wait_loadcnt 0x0
	v_dual_lshrrev_b32 v0, 3, v2 :: v_dual_bitop2_b32 v4, 7, v1 bitop3:0x40
	s_mov_b32 s17, exec_lo
	s_wait_xcnt 0x0
	v_cmpx_gt_u32_e32 8, v2
; %bb.206:                              ;   in Loop: Header=BB214_15 Depth=1
	s_delay_alu instid0(VALU_DEP_2) | instskip(NEXT) | instid1(VALU_DEP_1)
	v_clz_i32_u32_e32 v0, v4
	v_min_u32_e32 v0, 32, v0
	s_delay_alu instid0(VALU_DEP_1) | instskip(NEXT) | instid1(VALU_DEP_1)
	v_subrev_nc_u32_e32 v2, 28, v0
	v_lshlrev_b64_e32 v[2:3], v2, v[4:5]
	s_delay_alu instid0(VALU_DEP_1)
	v_dual_sub_nc_u32 v0, 29, v0 :: v_dual_bitop2_b32 v4, 7, v2 bitop3:0x40
; %bb.207:                              ;   in Loop: Header=BB214_15 Depth=1
	s_or_b32 exec_lo, exec_lo, s17
	s_delay_alu instid0(VALU_DEP_1) | instskip(NEXT) | instid1(VALU_DEP_2)
	v_dual_lshlrev_b32 v1, 24, v1 :: v_dual_lshlrev_b32 v2, 20, v4
	v_lshl_add_u32 v0, v0, 23, 0x3c000000
	s_delay_alu instid0(VALU_DEP_2) | instskip(NEXT) | instid1(VALU_DEP_1)
	v_and_b32_e32 v1, 0x80000000, v1
	v_or3_b32 v3, v2, v1, v0
	v_dual_mov_b32 v1, v5 :: v_dual_mov_b32 v2, v5
	s_clause 0x1
	scratch_store_b64 off, v[0:1], s32 offset:192
	scratch_store_b64 off, v[2:3], s32 offset:436
.LBB214_208:                            ;   in Loop: Header=BB214_15 Depth=1
	s_wait_xcnt 0x0
	s_or_b32 exec_lo, exec_lo, s16
.LBB214_209:                            ;   in Loop: Header=BB214_15 Depth=1
	s_delay_alu instid0(SALU_CYCLE_1)
	s_or_b32 exec_lo, exec_lo, s15
.LBB214_210:                            ;   in Loop: Header=BB214_15 Depth=1
	s_delay_alu instid0(SALU_CYCLE_1)
	s_or_b32 exec_lo, exec_lo, s14
	flat_load_b32 v0, v[120:121] offset:520
	v_mov_b64_e32 v[2:3], 0
	s_mov_b32 s14, exec_lo
	scratch_store_b64 off, v[2:3], s32 offset:452 ; 8-byte Folded Spill
	s_wait_xcnt 0x0
	v_mov_b64_e32 v[2:3], 0
	scratch_store_b64 off, v[2:3], s32 offset:460 ; 8-byte Folded Spill
	s_wait_loadcnt_dscnt 0x0
	v_and_b32_e32 v1, 0xff, v0
	s_wait_xcnt 0x0
	s_delay_alu instid0(VALU_DEP_1)
	v_cmpx_ne_u16_e32 0, v1
	s_cbranch_execz .LBB214_218
; %bb.211:                              ;   in Loop: Header=BB214_15 Depth=1
	v_mov_b64_e32 v[2:3], 0x80000000
	s_mov_b32 s15, exec_lo
	scratch_store_b64 off, v[2:3], s32 offset:460 ; 8-byte Folded Spill
	s_wait_xcnt 0x0
	v_cmpx_ne_u16_e32 0x80, v1
	s_cbranch_execz .LBB214_217
; %bb.212:                              ;   in Loop: Header=BB214_15 Depth=1
	v_mov_b64_e32 v[4:5], 0x7f800001
	v_and_b32_e32 v2, 0x7f, v0
	s_mov_b32 s16, exec_lo
	scratch_store_b64 off, v[4:5], s32 offset:460 ; 8-byte Folded Spill
	s_wait_xcnt 0x0
	v_cmpx_ne_u32_e32 0x7f, v2
	s_cbranch_execz .LBB214_216
; %bb.213:                              ;   in Loop: Header=BB214_15 Depth=1
	scratch_load_b64 v[4:5], off, s32 offset:192 th:TH_LOAD_LU ; 8-byte Folded Reload
	s_wait_loadcnt 0x0
	v_dual_lshrrev_b32 v1, 3, v2 :: v_dual_bitop2_b32 v4, 7, v0 bitop3:0x40
	s_mov_b32 s17, exec_lo
	s_wait_xcnt 0x0
	v_cmpx_gt_u32_e32 8, v2
; %bb.214:                              ;   in Loop: Header=BB214_15 Depth=1
	s_delay_alu instid0(VALU_DEP_2) | instskip(NEXT) | instid1(VALU_DEP_1)
	v_clz_i32_u32_e32 v1, v4
	v_min_u32_e32 v1, 32, v1
	s_delay_alu instid0(VALU_DEP_1) | instskip(NEXT) | instid1(VALU_DEP_1)
	v_subrev_nc_u32_e32 v2, 28, v1
	v_lshlrev_b64_e32 v[2:3], v2, v[4:5]
	s_delay_alu instid0(VALU_DEP_1)
	v_dual_sub_nc_u32 v1, 29, v1 :: v_dual_bitop2_b32 v4, 7, v2 bitop3:0x40
; %bb.215:                              ;   in Loop: Header=BB214_15 Depth=1
	s_or_b32 exec_lo, exec_lo, s17
	v_lshlrev_b32_e32 v2, 24, v0
	s_delay_alu instid0(VALU_DEP_2) | instskip(NEXT) | instid1(VALU_DEP_3)
	v_lshlrev_b32_e32 v3, 20, v4
	v_lshl_add_u32 v1, v1, 23, 0x3c000000
	s_delay_alu instid0(VALU_DEP_3) | instskip(NEXT) | instid1(VALU_DEP_1)
	v_and_b32_e32 v2, 0x80000000, v2
	v_or3_b32 v4, v3, v2, v1
	v_mov_b32_e32 v1, v5
	s_clause 0x1
	scratch_store_b64 off, v[0:1], s32 offset:192
	scratch_store_b64 off, v[4:5], s32 offset:460
.LBB214_216:                            ;   in Loop: Header=BB214_15 Depth=1
	s_wait_xcnt 0x0
	s_or_b32 exec_lo, exec_lo, s16
.LBB214_217:                            ;   in Loop: Header=BB214_15 Depth=1
	s_delay_alu instid0(SALU_CYCLE_1)
	s_or_b32 exec_lo, exec_lo, s15
.LBB214_218:                            ;   in Loop: Header=BB214_15 Depth=1
	s_delay_alu instid0(SALU_CYCLE_1) | instskip(SKIP_2) | instid1(VALU_DEP_1)
	s_or_b32 exec_lo, exec_lo, s14
	v_lshrrev_b16 v1, 8, v0
	s_mov_b32 s14, exec_lo
	v_cmpx_ne_u16_e32 0, v1
	s_cbranch_execz .LBB214_226
; %bb.219:                              ;   in Loop: Header=BB214_15 Depth=1
	v_mov_b64_e32 v[2:3], 0x8000000000000000
	s_mov_b32 s15, exec_lo
	scratch_store_b64 off, v[2:3], s32 offset:452 ; 8-byte Folded Spill
	s_wait_xcnt 0x0
	v_cmpx_ne_u16_e32 0x80, v1
	s_cbranch_execz .LBB214_225
; %bb.220:                              ;   in Loop: Header=BB214_15 Depth=1
	v_and_b32_e32 v1, 0xffff, v1
	v_mov_b64_e32 v[4:5], 0x7f80000100000000
	s_mov_b32 s16, exec_lo
	s_delay_alu instid0(VALU_DEP_2)
	v_and_b32_e32 v2, 0x7f, v1
	scratch_store_b64 off, v[4:5], s32 offset:452 ; 8-byte Folded Spill
	s_wait_xcnt 0x0
	v_cmpx_ne_u32_e32 0x7f, v2
	s_cbranch_execz .LBB214_224
; %bb.221:                              ;   in Loop: Header=BB214_15 Depth=1
	scratch_load_b64 v[4:5], off, s32 offset:192 th:TH_LOAD_LU ; 8-byte Folded Reload
	s_wait_loadcnt 0x0
	v_dual_lshrrev_b32 v1, 3, v2 :: v_dual_bitop2_b32 v4, 7, v1 bitop3:0x40
	s_mov_b32 s17, exec_lo
	s_wait_xcnt 0x0
	v_cmpx_gt_u32_e32 8, v2
; %bb.222:                              ;   in Loop: Header=BB214_15 Depth=1
	s_delay_alu instid0(VALU_DEP_2) | instskip(NEXT) | instid1(VALU_DEP_1)
	v_clz_i32_u32_e32 v1, v4
	v_min_u32_e32 v1, 32, v1
	s_delay_alu instid0(VALU_DEP_1) | instskip(NEXT) | instid1(VALU_DEP_1)
	v_subrev_nc_u32_e32 v2, 28, v1
	v_lshlrev_b64_e32 v[2:3], v2, v[4:5]
	s_delay_alu instid0(VALU_DEP_1)
	v_dual_sub_nc_u32 v1, 29, v1 :: v_dual_bitop2_b32 v4, 7, v2 bitop3:0x40
; %bb.223:                              ;   in Loop: Header=BB214_15 Depth=1
	s_or_b32 exec_lo, exec_lo, s17
	v_lshlrev_b32_e32 v2, 16, v0
	s_delay_alu instid0(VALU_DEP_2) | instskip(NEXT) | instid1(VALU_DEP_3)
	v_lshlrev_b32_e32 v3, 20, v4
	v_lshl_add_u32 v1, v1, 23, 0x3c000000
	s_delay_alu instid0(VALU_DEP_3) | instskip(NEXT) | instid1(VALU_DEP_1)
	v_and_b32_e32 v2, 0x80000000, v2
	v_or3_b32 v3, v3, v2, v1
	v_dual_mov_b32 v1, v5 :: v_dual_mov_b32 v2, v5
	s_clause 0x1
	scratch_store_b64 off, v[0:1], s32 offset:192
	scratch_store_b64 off, v[2:3], s32 offset:452
.LBB214_224:                            ;   in Loop: Header=BB214_15 Depth=1
	s_wait_xcnt 0x0
	s_or_b32 exec_lo, exec_lo, s16
.LBB214_225:                            ;   in Loop: Header=BB214_15 Depth=1
	s_delay_alu instid0(SALU_CYCLE_1)
	s_or_b32 exec_lo, exec_lo, s15
.LBB214_226:                            ;   in Loop: Header=BB214_15 Depth=1
	s_delay_alu instid0(SALU_CYCLE_1) | instskip(SKIP_3) | instid1(VALU_DEP_1)
	s_or_b32 exec_lo, exec_lo, s14
	v_mov_b64_e32 v[4:5], 0
	v_lshrrev_b32_e32 v1, 16, v0
	s_mov_b32 s14, exec_lo
	v_and_b32_e32 v2, 0xff, v1
	scratch_store_b64 off, v[4:5], s32 offset:468 ; 8-byte Folded Spill
	s_wait_xcnt 0x0
	v_mov_b64_e32 v[4:5], 0
	scratch_store_b64 off, v[4:5], s32 offset:476 ; 8-byte Folded Spill
	s_wait_xcnt 0x0
	v_cmpx_ne_u16_e32 0, v2
	s_cbranch_execz .LBB214_234
; %bb.227:                              ;   in Loop: Header=BB214_15 Depth=1
	v_cmp_ne_u16_e64 s1, 0x80, v2
	v_mov_b64_e32 v[2:3], 0x80000000
	scratch_store_b64 off, v[2:3], s32 offset:476 ; 8-byte Folded Spill
	s_wait_xcnt 0x0
	s_and_saveexec_b32 s15, s1
	s_cbranch_execz .LBB214_233
; %bb.228:                              ;   in Loop: Header=BB214_15 Depth=1
	v_mov_b64_e32 v[4:5], 0x7f800001
	v_bfe_u32 v3, v0, 16, 7
	s_mov_b32 s16, exec_lo
	scratch_store_b64 off, v[4:5], s32 offset:476 ; 8-byte Folded Spill
	s_wait_xcnt 0x0
	v_cmpx_ne_u32_e32 0x7f, v3
	s_cbranch_execz .LBB214_232
; %bb.229:                              ;   in Loop: Header=BB214_15 Depth=1
	scratch_load_b64 v[6:7], off, s32 offset:192 th:TH_LOAD_LU ; 8-byte Folded Reload
	s_wait_loadcnt 0x0
	v_dual_lshrrev_b32 v2, 3, v3 :: v_dual_bitop2_b32 v6, 7, v1 bitop3:0x40
	s_mov_b32 s17, exec_lo
	s_wait_xcnt 0x0
	v_cmpx_gt_u32_e32 8, v3
; %bb.230:                              ;   in Loop: Header=BB214_15 Depth=1
	s_delay_alu instid0(VALU_DEP_2) | instskip(NEXT) | instid1(VALU_DEP_1)
	v_clz_i32_u32_e32 v2, v6
	v_min_u32_e32 v2, 32, v2
	s_delay_alu instid0(VALU_DEP_1) | instskip(NEXT) | instid1(VALU_DEP_1)
	v_subrev_nc_u32_e32 v3, 28, v2
	v_lshlrev_b64_e32 v[4:5], v3, v[6:7]
	s_delay_alu instid0(VALU_DEP_1)
	v_dual_sub_nc_u32 v2, 29, v2 :: v_dual_bitop2_b32 v6, 7, v4 bitop3:0x40
; %bb.231:                              ;   in Loop: Header=BB214_15 Depth=1
	s_or_b32 exec_lo, exec_lo, s17
	s_delay_alu instid0(VALU_DEP_1) | instskip(NEXT) | instid1(VALU_DEP_2)
	v_dual_lshlrev_b32 v1, 24, v1 :: v_dual_lshlrev_b32 v3, 20, v6
	v_lshl_add_u32 v2, v2, 23, 0x3c000000
	s_delay_alu instid0(VALU_DEP_2) | instskip(NEXT) | instid1(VALU_DEP_1)
	v_and_b32_e32 v1, 0x80000000, v1
	v_or3_b32 v6, v3, v1, v2
	v_mov_b32_e32 v1, v7
	s_clause 0x1
	scratch_store_b64 off, v[0:1], s32 offset:192
	scratch_store_b64 off, v[6:7], s32 offset:476
.LBB214_232:                            ;   in Loop: Header=BB214_15 Depth=1
	s_wait_xcnt 0x0
	s_or_b32 exec_lo, exec_lo, s16
.LBB214_233:                            ;   in Loop: Header=BB214_15 Depth=1
	s_delay_alu instid0(SALU_CYCLE_1)
	s_or_b32 exec_lo, exec_lo, s15
.LBB214_234:                            ;   in Loop: Header=BB214_15 Depth=1
	s_delay_alu instid0(SALU_CYCLE_1) | instskip(NEXT) | instid1(SALU_CYCLE_1)
	s_or_b32 exec_lo, exec_lo, s14
	s_mov_b32 s14, exec_lo
	v_cmpx_lt_u32_e32 0xffffff, v0
	s_cbranch_execz .LBB214_242
; %bb.235:                              ;   in Loop: Header=BB214_15 Depth=1
	v_mov_b64_e32 v[2:3], 0x8000000000000000
	v_lshrrev_b32_e32 v1, 24, v0
	s_mov_b32 s15, exec_lo
	scratch_store_b64 off, v[2:3], s32 offset:468 ; 8-byte Folded Spill
	s_wait_xcnt 0x0
	v_cmpx_ne_u32_e32 0x80, v1
	s_cbranch_execz .LBB214_241
; %bb.236:                              ;   in Loop: Header=BB214_15 Depth=1
	v_mov_b64_e32 v[4:5], 0x7f80000100000000
	v_bfe_u32 v2, v0, 24, 7
	s_mov_b32 s16, exec_lo
	scratch_store_b64 off, v[4:5], s32 offset:468 ; 8-byte Folded Spill
	s_wait_xcnt 0x0
	v_cmpx_ne_u32_e32 0x7f, v2
	s_cbranch_execz .LBB214_240
; %bb.237:                              ;   in Loop: Header=BB214_15 Depth=1
	scratch_load_b64 v[4:5], off, s32 offset:192 th:TH_LOAD_LU ; 8-byte Folded Reload
	s_wait_loadcnt 0x0
	v_dual_lshrrev_b32 v0, 3, v2 :: v_dual_bitop2_b32 v4, 7, v1 bitop3:0x40
	s_mov_b32 s17, exec_lo
	s_wait_xcnt 0x0
	v_cmpx_gt_u32_e32 8, v2
; %bb.238:                              ;   in Loop: Header=BB214_15 Depth=1
	s_delay_alu instid0(VALU_DEP_2) | instskip(NEXT) | instid1(VALU_DEP_1)
	v_clz_i32_u32_e32 v0, v4
	v_min_u32_e32 v0, 32, v0
	s_delay_alu instid0(VALU_DEP_1) | instskip(NEXT) | instid1(VALU_DEP_1)
	v_subrev_nc_u32_e32 v2, 28, v0
	v_lshlrev_b64_e32 v[2:3], v2, v[4:5]
	s_delay_alu instid0(VALU_DEP_1)
	v_dual_sub_nc_u32 v0, 29, v0 :: v_dual_bitop2_b32 v4, 7, v2 bitop3:0x40
; %bb.239:                              ;   in Loop: Header=BB214_15 Depth=1
	s_or_b32 exec_lo, exec_lo, s17
	s_delay_alu instid0(VALU_DEP_1) | instskip(NEXT) | instid1(VALU_DEP_2)
	v_dual_lshlrev_b32 v1, 24, v1 :: v_dual_lshlrev_b32 v2, 20, v4
	v_lshl_add_u32 v0, v0, 23, 0x3c000000
	s_delay_alu instid0(VALU_DEP_2) | instskip(NEXT) | instid1(VALU_DEP_1)
	v_and_b32_e32 v1, 0x80000000, v1
	v_or3_b32 v3, v2, v1, v0
	v_dual_mov_b32 v1, v5 :: v_dual_mov_b32 v2, v5
	s_clause 0x1
	scratch_store_b64 off, v[0:1], s32 offset:192
	scratch_store_b64 off, v[2:3], s32 offset:468
.LBB214_240:                            ;   in Loop: Header=BB214_15 Depth=1
	s_wait_xcnt 0x0
	s_or_b32 exec_lo, exec_lo, s16
.LBB214_241:                            ;   in Loop: Header=BB214_15 Depth=1
	s_delay_alu instid0(SALU_CYCLE_1)
	s_or_b32 exec_lo, exec_lo, s15
.LBB214_242:                            ;   in Loop: Header=BB214_15 Depth=1
	s_delay_alu instid0(SALU_CYCLE_1)
	s_or_b32 exec_lo, exec_lo, s14
	flat_load_b32 v0, v[120:121] offset:524
	v_mov_b64_e32 v[2:3], 0
	s_mov_b32 s14, exec_lo
	scratch_store_b64 off, v[2:3], s32 offset:484 ; 8-byte Folded Spill
	s_wait_xcnt 0x0
	v_mov_b64_e32 v[2:3], 0
	scratch_store_b64 off, v[2:3], s32 offset:492 ; 8-byte Folded Spill
	s_wait_loadcnt_dscnt 0x0
	v_and_b32_e32 v1, 0xff, v0
	s_wait_xcnt 0x0
	s_delay_alu instid0(VALU_DEP_1)
	v_cmpx_ne_u16_e32 0, v1
	s_cbranch_execz .LBB214_250
; %bb.243:                              ;   in Loop: Header=BB214_15 Depth=1
	v_mov_b64_e32 v[2:3], 0x80000000
	s_mov_b32 s15, exec_lo
	scratch_store_b64 off, v[2:3], s32 offset:492 ; 8-byte Folded Spill
	s_wait_xcnt 0x0
	v_cmpx_ne_u16_e32 0x80, v1
	s_cbranch_execz .LBB214_249
; %bb.244:                              ;   in Loop: Header=BB214_15 Depth=1
	v_mov_b64_e32 v[4:5], 0x7f800001
	v_and_b32_e32 v2, 0x7f, v0
	s_mov_b32 s16, exec_lo
	scratch_store_b64 off, v[4:5], s32 offset:492 ; 8-byte Folded Spill
	s_wait_xcnt 0x0
	v_cmpx_ne_u32_e32 0x7f, v2
	s_cbranch_execz .LBB214_248
; %bb.245:                              ;   in Loop: Header=BB214_15 Depth=1
	scratch_load_b64 v[4:5], off, s32 offset:192 th:TH_LOAD_LU ; 8-byte Folded Reload
	s_wait_loadcnt 0x0
	v_dual_lshrrev_b32 v1, 3, v2 :: v_dual_bitop2_b32 v4, 7, v0 bitop3:0x40
	s_mov_b32 s17, exec_lo
	s_wait_xcnt 0x0
	v_cmpx_gt_u32_e32 8, v2
; %bb.246:                              ;   in Loop: Header=BB214_15 Depth=1
	s_delay_alu instid0(VALU_DEP_2) | instskip(NEXT) | instid1(VALU_DEP_1)
	v_clz_i32_u32_e32 v1, v4
	v_min_u32_e32 v1, 32, v1
	s_delay_alu instid0(VALU_DEP_1) | instskip(NEXT) | instid1(VALU_DEP_1)
	v_subrev_nc_u32_e32 v2, 28, v1
	v_lshlrev_b64_e32 v[2:3], v2, v[4:5]
	s_delay_alu instid0(VALU_DEP_1)
	v_dual_sub_nc_u32 v1, 29, v1 :: v_dual_bitop2_b32 v4, 7, v2 bitop3:0x40
; %bb.247:                              ;   in Loop: Header=BB214_15 Depth=1
	s_or_b32 exec_lo, exec_lo, s17
	v_lshlrev_b32_e32 v2, 24, v0
	s_delay_alu instid0(VALU_DEP_2) | instskip(NEXT) | instid1(VALU_DEP_3)
	v_lshlrev_b32_e32 v3, 20, v4
	v_lshl_add_u32 v1, v1, 23, 0x3c000000
	s_delay_alu instid0(VALU_DEP_3) | instskip(NEXT) | instid1(VALU_DEP_1)
	v_and_b32_e32 v2, 0x80000000, v2
	v_or3_b32 v4, v3, v2, v1
	v_mov_b32_e32 v1, v5
	s_clause 0x1
	scratch_store_b64 off, v[0:1], s32 offset:192
	scratch_store_b64 off, v[4:5], s32 offset:492
.LBB214_248:                            ;   in Loop: Header=BB214_15 Depth=1
	s_wait_xcnt 0x0
	s_or_b32 exec_lo, exec_lo, s16
.LBB214_249:                            ;   in Loop: Header=BB214_15 Depth=1
	s_delay_alu instid0(SALU_CYCLE_1)
	s_or_b32 exec_lo, exec_lo, s15
.LBB214_250:                            ;   in Loop: Header=BB214_15 Depth=1
	s_delay_alu instid0(SALU_CYCLE_1) | instskip(SKIP_2) | instid1(VALU_DEP_1)
	s_or_b32 exec_lo, exec_lo, s14
	v_lshrrev_b16 v1, 8, v0
	s_mov_b32 s14, exec_lo
	v_cmpx_ne_u16_e32 0, v1
	s_cbranch_execz .LBB214_258
; %bb.251:                              ;   in Loop: Header=BB214_15 Depth=1
	v_mov_b64_e32 v[2:3], 0x8000000000000000
	s_mov_b32 s15, exec_lo
	scratch_store_b64 off, v[2:3], s32 offset:484 ; 8-byte Folded Spill
	s_wait_xcnt 0x0
	v_cmpx_ne_u16_e32 0x80, v1
	s_cbranch_execz .LBB214_257
; %bb.252:                              ;   in Loop: Header=BB214_15 Depth=1
	v_and_b32_e32 v1, 0xffff, v1
	v_mov_b64_e32 v[4:5], 0x7f80000100000000
	s_mov_b32 s16, exec_lo
	s_delay_alu instid0(VALU_DEP_2)
	v_and_b32_e32 v2, 0x7f, v1
	scratch_store_b64 off, v[4:5], s32 offset:484 ; 8-byte Folded Spill
	s_wait_xcnt 0x0
	v_cmpx_ne_u32_e32 0x7f, v2
	s_cbranch_execz .LBB214_256
; %bb.253:                              ;   in Loop: Header=BB214_15 Depth=1
	scratch_load_b64 v[4:5], off, s32 offset:192 th:TH_LOAD_LU ; 8-byte Folded Reload
	s_wait_loadcnt 0x0
	v_dual_lshrrev_b32 v1, 3, v2 :: v_dual_bitop2_b32 v4, 7, v1 bitop3:0x40
	s_mov_b32 s17, exec_lo
	s_wait_xcnt 0x0
	v_cmpx_gt_u32_e32 8, v2
; %bb.254:                              ;   in Loop: Header=BB214_15 Depth=1
	s_delay_alu instid0(VALU_DEP_2) | instskip(NEXT) | instid1(VALU_DEP_1)
	v_clz_i32_u32_e32 v1, v4
	v_min_u32_e32 v1, 32, v1
	s_delay_alu instid0(VALU_DEP_1) | instskip(NEXT) | instid1(VALU_DEP_1)
	v_subrev_nc_u32_e32 v2, 28, v1
	v_lshlrev_b64_e32 v[2:3], v2, v[4:5]
	s_delay_alu instid0(VALU_DEP_1)
	v_dual_sub_nc_u32 v1, 29, v1 :: v_dual_bitop2_b32 v4, 7, v2 bitop3:0x40
; %bb.255:                              ;   in Loop: Header=BB214_15 Depth=1
	s_or_b32 exec_lo, exec_lo, s17
	v_lshlrev_b32_e32 v2, 16, v0
	s_delay_alu instid0(VALU_DEP_2) | instskip(NEXT) | instid1(VALU_DEP_3)
	v_lshlrev_b32_e32 v3, 20, v4
	v_lshl_add_u32 v1, v1, 23, 0x3c000000
	s_delay_alu instid0(VALU_DEP_3) | instskip(NEXT) | instid1(VALU_DEP_1)
	v_and_b32_e32 v2, 0x80000000, v2
	v_or3_b32 v3, v3, v2, v1
	v_dual_mov_b32 v1, v5 :: v_dual_mov_b32 v2, v5
	s_clause 0x1
	scratch_store_b64 off, v[0:1], s32 offset:192
	scratch_store_b64 off, v[2:3], s32 offset:484
.LBB214_256:                            ;   in Loop: Header=BB214_15 Depth=1
	s_wait_xcnt 0x0
	s_or_b32 exec_lo, exec_lo, s16
.LBB214_257:                            ;   in Loop: Header=BB214_15 Depth=1
	s_delay_alu instid0(SALU_CYCLE_1)
	s_or_b32 exec_lo, exec_lo, s15
.LBB214_258:                            ;   in Loop: Header=BB214_15 Depth=1
	s_delay_alu instid0(SALU_CYCLE_1) | instskip(SKIP_3) | instid1(VALU_DEP_1)
	s_or_b32 exec_lo, exec_lo, s14
	v_mov_b64_e32 v[4:5], 0
	v_lshrrev_b32_e32 v1, 16, v0
	s_mov_b32 s14, exec_lo
	v_and_b32_e32 v2, 0xff, v1
	scratch_store_b64 off, v[4:5], s32 offset:500 ; 8-byte Folded Spill
	s_wait_xcnt 0x0
	v_mov_b64_e32 v[4:5], 0
	scratch_store_b64 off, v[4:5], s32 offset:508 ; 8-byte Folded Spill
	s_wait_xcnt 0x0
	v_cmpx_ne_u16_e32 0, v2
	s_cbranch_execz .LBB214_266
; %bb.259:                              ;   in Loop: Header=BB214_15 Depth=1
	v_cmp_ne_u16_e64 s1, 0x80, v2
	v_mov_b64_e32 v[2:3], 0x80000000
	scratch_store_b64 off, v[2:3], s32 offset:508 ; 8-byte Folded Spill
	s_wait_xcnt 0x0
	s_and_saveexec_b32 s15, s1
	s_cbranch_execz .LBB214_265
; %bb.260:                              ;   in Loop: Header=BB214_15 Depth=1
	v_mov_b64_e32 v[4:5], 0x7f800001
	v_bfe_u32 v3, v0, 16, 7
	s_mov_b32 s16, exec_lo
	scratch_store_b64 off, v[4:5], s32 offset:508 ; 8-byte Folded Spill
	s_wait_xcnt 0x0
	v_cmpx_ne_u32_e32 0x7f, v3
	s_cbranch_execz .LBB214_264
; %bb.261:                              ;   in Loop: Header=BB214_15 Depth=1
	scratch_load_b64 v[6:7], off, s32 offset:192 th:TH_LOAD_LU ; 8-byte Folded Reload
	s_wait_loadcnt 0x0
	v_dual_lshrrev_b32 v2, 3, v3 :: v_dual_bitop2_b32 v6, 7, v1 bitop3:0x40
	s_mov_b32 s17, exec_lo
	s_wait_xcnt 0x0
	v_cmpx_gt_u32_e32 8, v3
; %bb.262:                              ;   in Loop: Header=BB214_15 Depth=1
	s_delay_alu instid0(VALU_DEP_2) | instskip(NEXT) | instid1(VALU_DEP_1)
	v_clz_i32_u32_e32 v2, v6
	v_min_u32_e32 v2, 32, v2
	s_delay_alu instid0(VALU_DEP_1) | instskip(NEXT) | instid1(VALU_DEP_1)
	v_subrev_nc_u32_e32 v3, 28, v2
	v_lshlrev_b64_e32 v[4:5], v3, v[6:7]
	s_delay_alu instid0(VALU_DEP_1)
	v_dual_sub_nc_u32 v2, 29, v2 :: v_dual_bitop2_b32 v6, 7, v4 bitop3:0x40
; %bb.263:                              ;   in Loop: Header=BB214_15 Depth=1
	s_or_b32 exec_lo, exec_lo, s17
	s_delay_alu instid0(VALU_DEP_1) | instskip(NEXT) | instid1(VALU_DEP_2)
	v_dual_lshlrev_b32 v1, 24, v1 :: v_dual_lshlrev_b32 v3, 20, v6
	v_lshl_add_u32 v2, v2, 23, 0x3c000000
	s_delay_alu instid0(VALU_DEP_2) | instskip(NEXT) | instid1(VALU_DEP_1)
	v_and_b32_e32 v1, 0x80000000, v1
	v_or3_b32 v6, v3, v1, v2
	v_mov_b32_e32 v1, v7
	s_clause 0x1
	scratch_store_b64 off, v[0:1], s32 offset:192
	scratch_store_b64 off, v[6:7], s32 offset:508
.LBB214_264:                            ;   in Loop: Header=BB214_15 Depth=1
	s_wait_xcnt 0x0
	s_or_b32 exec_lo, exec_lo, s16
.LBB214_265:                            ;   in Loop: Header=BB214_15 Depth=1
	s_delay_alu instid0(SALU_CYCLE_1)
	s_or_b32 exec_lo, exec_lo, s15
.LBB214_266:                            ;   in Loop: Header=BB214_15 Depth=1
	s_delay_alu instid0(SALU_CYCLE_1) | instskip(NEXT) | instid1(SALU_CYCLE_1)
	s_or_b32 exec_lo, exec_lo, s14
	s_mov_b32 s14, exec_lo
	v_cmpx_lt_u32_e32 0xffffff, v0
	s_cbranch_execz .LBB214_274
; %bb.267:                              ;   in Loop: Header=BB214_15 Depth=1
	v_mov_b64_e32 v[2:3], 0x8000000000000000
	v_lshrrev_b32_e32 v1, 24, v0
	s_mov_b32 s15, exec_lo
	scratch_store_b64 off, v[2:3], s32 offset:500 ; 8-byte Folded Spill
	s_wait_xcnt 0x0
	v_cmpx_ne_u32_e32 0x80, v1
	s_cbranch_execz .LBB214_273
; %bb.268:                              ;   in Loop: Header=BB214_15 Depth=1
	v_mov_b64_e32 v[4:5], 0x7f80000100000000
	v_bfe_u32 v2, v0, 24, 7
	s_mov_b32 s16, exec_lo
	scratch_store_b64 off, v[4:5], s32 offset:500 ; 8-byte Folded Spill
	s_wait_xcnt 0x0
	v_cmpx_ne_u32_e32 0x7f, v2
	s_cbranch_execz .LBB214_272
; %bb.269:                              ;   in Loop: Header=BB214_15 Depth=1
	scratch_load_b64 v[4:5], off, s32 offset:192 th:TH_LOAD_LU ; 8-byte Folded Reload
	s_wait_loadcnt 0x0
	v_dual_lshrrev_b32 v0, 3, v2 :: v_dual_bitop2_b32 v4, 7, v1 bitop3:0x40
	s_mov_b32 s17, exec_lo
	s_wait_xcnt 0x0
	v_cmpx_gt_u32_e32 8, v2
; %bb.270:                              ;   in Loop: Header=BB214_15 Depth=1
	s_delay_alu instid0(VALU_DEP_2) | instskip(NEXT) | instid1(VALU_DEP_1)
	v_clz_i32_u32_e32 v0, v4
	v_min_u32_e32 v0, 32, v0
	s_delay_alu instid0(VALU_DEP_1) | instskip(NEXT) | instid1(VALU_DEP_1)
	v_subrev_nc_u32_e32 v2, 28, v0
	v_lshlrev_b64_e32 v[2:3], v2, v[4:5]
	s_delay_alu instid0(VALU_DEP_1)
	v_dual_sub_nc_u32 v0, 29, v0 :: v_dual_bitop2_b32 v4, 7, v2 bitop3:0x40
; %bb.271:                              ;   in Loop: Header=BB214_15 Depth=1
	s_or_b32 exec_lo, exec_lo, s17
	s_delay_alu instid0(VALU_DEP_1) | instskip(NEXT) | instid1(VALU_DEP_2)
	v_dual_lshlrev_b32 v1, 24, v1 :: v_dual_lshlrev_b32 v2, 20, v4
	v_lshl_add_u32 v0, v0, 23, 0x3c000000
	s_delay_alu instid0(VALU_DEP_2) | instskip(NEXT) | instid1(VALU_DEP_1)
	v_and_b32_e32 v1, 0x80000000, v1
	v_or3_b32 v3, v2, v1, v0
	v_dual_mov_b32 v1, v5 :: v_dual_mov_b32 v2, v5
	s_clause 0x1
	scratch_store_b64 off, v[0:1], s32 offset:192
	scratch_store_b64 off, v[2:3], s32 offset:500
.LBB214_272:                            ;   in Loop: Header=BB214_15 Depth=1
	s_wait_xcnt 0x0
	s_or_b32 exec_lo, exec_lo, s16
.LBB214_273:                            ;   in Loop: Header=BB214_15 Depth=1
	s_delay_alu instid0(SALU_CYCLE_1)
	s_or_b32 exec_lo, exec_lo, s15
.LBB214_274:                            ;   in Loop: Header=BB214_15 Depth=1
	s_delay_alu instid0(SALU_CYCLE_1)
	s_or_b32 exec_lo, exec_lo, s14
	flat_load_b32 v0, v[120:121] offset:1024
	v_mov_b64_e32 v[2:3], 0
	s_mov_b32 s14, exec_lo
	scratch_store_b64 off, v[2:3], s32 offset:516 ; 8-byte Folded Spill
	s_wait_xcnt 0x0
	v_mov_b64_e32 v[2:3], 0
	scratch_store_b64 off, v[2:3], s32 offset:524 ; 8-byte Folded Spill
	s_wait_loadcnt_dscnt 0x0
	v_and_b32_e32 v1, 0xff, v0
	s_wait_xcnt 0x0
	s_delay_alu instid0(VALU_DEP_1)
	v_cmpx_ne_u16_e32 0, v1
	s_cbranch_execz .LBB214_282
; %bb.275:                              ;   in Loop: Header=BB214_15 Depth=1
	v_mov_b64_e32 v[2:3], 0x80000000
	s_mov_b32 s15, exec_lo
	scratch_store_b64 off, v[2:3], s32 offset:524 ; 8-byte Folded Spill
	s_wait_xcnt 0x0
	v_cmpx_ne_u16_e32 0x80, v1
	s_cbranch_execz .LBB214_281
; %bb.276:                              ;   in Loop: Header=BB214_15 Depth=1
	v_mov_b64_e32 v[4:5], 0x7f800001
	v_and_b32_e32 v2, 0x7f, v0
	s_mov_b32 s16, exec_lo
	scratch_store_b64 off, v[4:5], s32 offset:524 ; 8-byte Folded Spill
	s_wait_xcnt 0x0
	v_cmpx_ne_u32_e32 0x7f, v2
	s_cbranch_execz .LBB214_280
; %bb.277:                              ;   in Loop: Header=BB214_15 Depth=1
	scratch_load_b64 v[4:5], off, s32 offset:192 th:TH_LOAD_LU ; 8-byte Folded Reload
	s_wait_loadcnt 0x0
	v_dual_lshrrev_b32 v1, 3, v2 :: v_dual_bitop2_b32 v4, 7, v0 bitop3:0x40
	s_mov_b32 s17, exec_lo
	s_wait_xcnt 0x0
	v_cmpx_gt_u32_e32 8, v2
; %bb.278:                              ;   in Loop: Header=BB214_15 Depth=1
	s_delay_alu instid0(VALU_DEP_2) | instskip(NEXT) | instid1(VALU_DEP_1)
	v_clz_i32_u32_e32 v1, v4
	v_min_u32_e32 v1, 32, v1
	s_delay_alu instid0(VALU_DEP_1) | instskip(NEXT) | instid1(VALU_DEP_1)
	v_subrev_nc_u32_e32 v2, 28, v1
	v_lshlrev_b64_e32 v[2:3], v2, v[4:5]
	s_delay_alu instid0(VALU_DEP_1)
	v_dual_sub_nc_u32 v1, 29, v1 :: v_dual_bitop2_b32 v4, 7, v2 bitop3:0x40
; %bb.279:                              ;   in Loop: Header=BB214_15 Depth=1
	s_or_b32 exec_lo, exec_lo, s17
	v_lshlrev_b32_e32 v2, 24, v0
	s_delay_alu instid0(VALU_DEP_2) | instskip(NEXT) | instid1(VALU_DEP_3)
	v_lshlrev_b32_e32 v3, 20, v4
	v_lshl_add_u32 v1, v1, 23, 0x3c000000
	s_delay_alu instid0(VALU_DEP_3) | instskip(NEXT) | instid1(VALU_DEP_1)
	v_and_b32_e32 v2, 0x80000000, v2
	v_or3_b32 v4, v3, v2, v1
	v_mov_b32_e32 v1, v5
	s_clause 0x1
	scratch_store_b64 off, v[0:1], s32 offset:192
	scratch_store_b64 off, v[4:5], s32 offset:524
.LBB214_280:                            ;   in Loop: Header=BB214_15 Depth=1
	s_wait_xcnt 0x0
	s_or_b32 exec_lo, exec_lo, s16
.LBB214_281:                            ;   in Loop: Header=BB214_15 Depth=1
	s_delay_alu instid0(SALU_CYCLE_1)
	s_or_b32 exec_lo, exec_lo, s15
.LBB214_282:                            ;   in Loop: Header=BB214_15 Depth=1
	s_delay_alu instid0(SALU_CYCLE_1) | instskip(SKIP_2) | instid1(VALU_DEP_1)
	s_or_b32 exec_lo, exec_lo, s14
	v_lshrrev_b16 v1, 8, v0
	s_mov_b32 s14, exec_lo
	v_cmpx_ne_u16_e32 0, v1
	s_cbranch_execz .LBB214_290
; %bb.283:                              ;   in Loop: Header=BB214_15 Depth=1
	v_mov_b64_e32 v[2:3], 0x8000000000000000
	s_mov_b32 s15, exec_lo
	scratch_store_b64 off, v[2:3], s32 offset:516 ; 8-byte Folded Spill
	s_wait_xcnt 0x0
	v_cmpx_ne_u16_e32 0x80, v1
	s_cbranch_execz .LBB214_289
; %bb.284:                              ;   in Loop: Header=BB214_15 Depth=1
	v_and_b32_e32 v1, 0xffff, v1
	v_mov_b64_e32 v[4:5], 0x7f80000100000000
	s_mov_b32 s16, exec_lo
	s_delay_alu instid0(VALU_DEP_2)
	v_and_b32_e32 v2, 0x7f, v1
	scratch_store_b64 off, v[4:5], s32 offset:516 ; 8-byte Folded Spill
	s_wait_xcnt 0x0
	v_cmpx_ne_u32_e32 0x7f, v2
	s_cbranch_execz .LBB214_288
; %bb.285:                              ;   in Loop: Header=BB214_15 Depth=1
	scratch_load_b64 v[4:5], off, s32 offset:192 th:TH_LOAD_LU ; 8-byte Folded Reload
	s_wait_loadcnt 0x0
	v_dual_lshrrev_b32 v1, 3, v2 :: v_dual_bitop2_b32 v4, 7, v1 bitop3:0x40
	s_mov_b32 s17, exec_lo
	s_wait_xcnt 0x0
	v_cmpx_gt_u32_e32 8, v2
; %bb.286:                              ;   in Loop: Header=BB214_15 Depth=1
	s_delay_alu instid0(VALU_DEP_2) | instskip(NEXT) | instid1(VALU_DEP_1)
	v_clz_i32_u32_e32 v1, v4
	v_min_u32_e32 v1, 32, v1
	s_delay_alu instid0(VALU_DEP_1) | instskip(NEXT) | instid1(VALU_DEP_1)
	v_subrev_nc_u32_e32 v2, 28, v1
	v_lshlrev_b64_e32 v[2:3], v2, v[4:5]
	s_delay_alu instid0(VALU_DEP_1)
	v_dual_sub_nc_u32 v1, 29, v1 :: v_dual_bitop2_b32 v4, 7, v2 bitop3:0x40
; %bb.287:                              ;   in Loop: Header=BB214_15 Depth=1
	s_or_b32 exec_lo, exec_lo, s17
	v_lshlrev_b32_e32 v2, 16, v0
	s_delay_alu instid0(VALU_DEP_2) | instskip(NEXT) | instid1(VALU_DEP_3)
	v_lshlrev_b32_e32 v3, 20, v4
	v_lshl_add_u32 v1, v1, 23, 0x3c000000
	s_delay_alu instid0(VALU_DEP_3) | instskip(NEXT) | instid1(VALU_DEP_1)
	v_and_b32_e32 v2, 0x80000000, v2
	v_or3_b32 v3, v3, v2, v1
	v_dual_mov_b32 v1, v5 :: v_dual_mov_b32 v2, v5
	s_clause 0x1
	scratch_store_b64 off, v[0:1], s32 offset:192
	scratch_store_b64 off, v[2:3], s32 offset:516
.LBB214_288:                            ;   in Loop: Header=BB214_15 Depth=1
	s_wait_xcnt 0x0
	s_or_b32 exec_lo, exec_lo, s16
.LBB214_289:                            ;   in Loop: Header=BB214_15 Depth=1
	s_delay_alu instid0(SALU_CYCLE_1)
	s_or_b32 exec_lo, exec_lo, s15
.LBB214_290:                            ;   in Loop: Header=BB214_15 Depth=1
	s_delay_alu instid0(SALU_CYCLE_1) | instskip(SKIP_3) | instid1(VALU_DEP_1)
	s_or_b32 exec_lo, exec_lo, s14
	v_mov_b64_e32 v[4:5], 0
	v_lshrrev_b32_e32 v1, 16, v0
	s_mov_b32 s14, exec_lo
	v_and_b32_e32 v2, 0xff, v1
	scratch_store_b64 off, v[4:5], s32 offset:532 ; 8-byte Folded Spill
	s_wait_xcnt 0x0
	v_mov_b64_e32 v[4:5], 0
	scratch_store_b64 off, v[4:5], s32 offset:540 ; 8-byte Folded Spill
	s_wait_xcnt 0x0
	v_cmpx_ne_u16_e32 0, v2
	s_cbranch_execz .LBB214_298
; %bb.291:                              ;   in Loop: Header=BB214_15 Depth=1
	v_cmp_ne_u16_e64 s1, 0x80, v2
	v_mov_b64_e32 v[2:3], 0x80000000
	scratch_store_b64 off, v[2:3], s32 offset:540 ; 8-byte Folded Spill
	s_wait_xcnt 0x0
	s_and_saveexec_b32 s15, s1
	s_cbranch_execz .LBB214_297
; %bb.292:                              ;   in Loop: Header=BB214_15 Depth=1
	v_mov_b64_e32 v[4:5], 0x7f800001
	v_bfe_u32 v3, v0, 16, 7
	s_mov_b32 s16, exec_lo
	scratch_store_b64 off, v[4:5], s32 offset:540 ; 8-byte Folded Spill
	s_wait_xcnt 0x0
	v_cmpx_ne_u32_e32 0x7f, v3
	s_cbranch_execz .LBB214_296
; %bb.293:                              ;   in Loop: Header=BB214_15 Depth=1
	scratch_load_b64 v[6:7], off, s32 offset:192 th:TH_LOAD_LU ; 8-byte Folded Reload
	s_wait_loadcnt 0x0
	v_dual_lshrrev_b32 v2, 3, v3 :: v_dual_bitop2_b32 v6, 7, v1 bitop3:0x40
	s_mov_b32 s17, exec_lo
	s_wait_xcnt 0x0
	v_cmpx_gt_u32_e32 8, v3
; %bb.294:                              ;   in Loop: Header=BB214_15 Depth=1
	s_delay_alu instid0(VALU_DEP_2) | instskip(NEXT) | instid1(VALU_DEP_1)
	v_clz_i32_u32_e32 v2, v6
	v_min_u32_e32 v2, 32, v2
	s_delay_alu instid0(VALU_DEP_1) | instskip(NEXT) | instid1(VALU_DEP_1)
	v_subrev_nc_u32_e32 v3, 28, v2
	v_lshlrev_b64_e32 v[4:5], v3, v[6:7]
	s_delay_alu instid0(VALU_DEP_1)
	v_dual_sub_nc_u32 v2, 29, v2 :: v_dual_bitop2_b32 v6, 7, v4 bitop3:0x40
; %bb.295:                              ;   in Loop: Header=BB214_15 Depth=1
	s_or_b32 exec_lo, exec_lo, s17
	s_delay_alu instid0(VALU_DEP_1) | instskip(NEXT) | instid1(VALU_DEP_2)
	v_dual_lshlrev_b32 v1, 24, v1 :: v_dual_lshlrev_b32 v3, 20, v6
	v_lshl_add_u32 v2, v2, 23, 0x3c000000
	s_delay_alu instid0(VALU_DEP_2) | instskip(NEXT) | instid1(VALU_DEP_1)
	v_and_b32_e32 v1, 0x80000000, v1
	v_or3_b32 v6, v3, v1, v2
	v_mov_b32_e32 v1, v7
	s_clause 0x1
	scratch_store_b64 off, v[0:1], s32 offset:192
	scratch_store_b64 off, v[6:7], s32 offset:540
.LBB214_296:                            ;   in Loop: Header=BB214_15 Depth=1
	s_wait_xcnt 0x0
	s_or_b32 exec_lo, exec_lo, s16
.LBB214_297:                            ;   in Loop: Header=BB214_15 Depth=1
	s_delay_alu instid0(SALU_CYCLE_1)
	s_or_b32 exec_lo, exec_lo, s15
.LBB214_298:                            ;   in Loop: Header=BB214_15 Depth=1
	s_delay_alu instid0(SALU_CYCLE_1) | instskip(NEXT) | instid1(SALU_CYCLE_1)
	s_or_b32 exec_lo, exec_lo, s14
	s_mov_b32 s14, exec_lo
	v_cmpx_lt_u32_e32 0xffffff, v0
	s_cbranch_execz .LBB214_306
; %bb.299:                              ;   in Loop: Header=BB214_15 Depth=1
	v_mov_b64_e32 v[2:3], 0x8000000000000000
	v_lshrrev_b32_e32 v1, 24, v0
	s_mov_b32 s15, exec_lo
	scratch_store_b64 off, v[2:3], s32 offset:532 ; 8-byte Folded Spill
	s_wait_xcnt 0x0
	v_cmpx_ne_u32_e32 0x80, v1
	s_cbranch_execz .LBB214_305
; %bb.300:                              ;   in Loop: Header=BB214_15 Depth=1
	v_mov_b64_e32 v[4:5], 0x7f80000100000000
	v_bfe_u32 v2, v0, 24, 7
	s_mov_b32 s16, exec_lo
	scratch_store_b64 off, v[4:5], s32 offset:532 ; 8-byte Folded Spill
	s_wait_xcnt 0x0
	v_cmpx_ne_u32_e32 0x7f, v2
	s_cbranch_execz .LBB214_304
; %bb.301:                              ;   in Loop: Header=BB214_15 Depth=1
	scratch_load_b64 v[4:5], off, s32 offset:192 th:TH_LOAD_LU ; 8-byte Folded Reload
	s_wait_loadcnt 0x0
	v_dual_lshrrev_b32 v0, 3, v2 :: v_dual_bitop2_b32 v4, 7, v1 bitop3:0x40
	s_mov_b32 s17, exec_lo
	s_wait_xcnt 0x0
	v_cmpx_gt_u32_e32 8, v2
; %bb.302:                              ;   in Loop: Header=BB214_15 Depth=1
	s_delay_alu instid0(VALU_DEP_2) | instskip(NEXT) | instid1(VALU_DEP_1)
	v_clz_i32_u32_e32 v0, v4
	v_min_u32_e32 v0, 32, v0
	s_delay_alu instid0(VALU_DEP_1) | instskip(NEXT) | instid1(VALU_DEP_1)
	v_subrev_nc_u32_e32 v2, 28, v0
	v_lshlrev_b64_e32 v[2:3], v2, v[4:5]
	s_delay_alu instid0(VALU_DEP_1)
	v_dual_sub_nc_u32 v0, 29, v0 :: v_dual_bitop2_b32 v4, 7, v2 bitop3:0x40
; %bb.303:                              ;   in Loop: Header=BB214_15 Depth=1
	s_or_b32 exec_lo, exec_lo, s17
	s_delay_alu instid0(VALU_DEP_1) | instskip(NEXT) | instid1(VALU_DEP_2)
	v_dual_lshlrev_b32 v1, 24, v1 :: v_dual_lshlrev_b32 v2, 20, v4
	v_lshl_add_u32 v0, v0, 23, 0x3c000000
	s_delay_alu instid0(VALU_DEP_2) | instskip(NEXT) | instid1(VALU_DEP_1)
	v_and_b32_e32 v1, 0x80000000, v1
	v_or3_b32 v3, v2, v1, v0
	v_dual_mov_b32 v1, v5 :: v_dual_mov_b32 v2, v5
	s_clause 0x1
	scratch_store_b64 off, v[0:1], s32 offset:192
	scratch_store_b64 off, v[2:3], s32 offset:532
.LBB214_304:                            ;   in Loop: Header=BB214_15 Depth=1
	s_wait_xcnt 0x0
	s_or_b32 exec_lo, exec_lo, s16
.LBB214_305:                            ;   in Loop: Header=BB214_15 Depth=1
	s_delay_alu instid0(SALU_CYCLE_1)
	s_or_b32 exec_lo, exec_lo, s15
.LBB214_306:                            ;   in Loop: Header=BB214_15 Depth=1
	s_delay_alu instid0(SALU_CYCLE_1)
	s_or_b32 exec_lo, exec_lo, s14
	flat_load_b32 v0, v[120:121] offset:1028
	v_mov_b64_e32 v[2:3], 0
	s_mov_b32 s14, exec_lo
	scratch_store_b64 off, v[2:3], s32 offset:548 ; 8-byte Folded Spill
	s_wait_xcnt 0x0
	v_mov_b64_e32 v[2:3], 0
	scratch_store_b64 off, v[2:3], s32 offset:556 ; 8-byte Folded Spill
	s_wait_loadcnt_dscnt 0x0
	v_and_b32_e32 v1, 0xff, v0
	s_wait_xcnt 0x0
	s_delay_alu instid0(VALU_DEP_1)
	v_cmpx_ne_u16_e32 0, v1
	s_cbranch_execz .LBB214_314
; %bb.307:                              ;   in Loop: Header=BB214_15 Depth=1
	v_mov_b64_e32 v[2:3], 0x80000000
	s_mov_b32 s15, exec_lo
	scratch_store_b64 off, v[2:3], s32 offset:556 ; 8-byte Folded Spill
	s_wait_xcnt 0x0
	v_cmpx_ne_u16_e32 0x80, v1
	s_cbranch_execz .LBB214_313
; %bb.308:                              ;   in Loop: Header=BB214_15 Depth=1
	v_mov_b64_e32 v[4:5], 0x7f800001
	v_and_b32_e32 v2, 0x7f, v0
	s_mov_b32 s16, exec_lo
	scratch_store_b64 off, v[4:5], s32 offset:556 ; 8-byte Folded Spill
	s_wait_xcnt 0x0
	v_cmpx_ne_u32_e32 0x7f, v2
	s_cbranch_execz .LBB214_312
; %bb.309:                              ;   in Loop: Header=BB214_15 Depth=1
	scratch_load_b64 v[4:5], off, s32 offset:192 th:TH_LOAD_LU ; 8-byte Folded Reload
	s_wait_loadcnt 0x0
	v_dual_lshrrev_b32 v1, 3, v2 :: v_dual_bitop2_b32 v4, 7, v0 bitop3:0x40
	s_mov_b32 s17, exec_lo
	s_wait_xcnt 0x0
	v_cmpx_gt_u32_e32 8, v2
; %bb.310:                              ;   in Loop: Header=BB214_15 Depth=1
	s_delay_alu instid0(VALU_DEP_2) | instskip(NEXT) | instid1(VALU_DEP_1)
	v_clz_i32_u32_e32 v1, v4
	v_min_u32_e32 v1, 32, v1
	s_delay_alu instid0(VALU_DEP_1) | instskip(NEXT) | instid1(VALU_DEP_1)
	v_subrev_nc_u32_e32 v2, 28, v1
	v_lshlrev_b64_e32 v[2:3], v2, v[4:5]
	s_delay_alu instid0(VALU_DEP_1)
	v_dual_sub_nc_u32 v1, 29, v1 :: v_dual_bitop2_b32 v4, 7, v2 bitop3:0x40
; %bb.311:                              ;   in Loop: Header=BB214_15 Depth=1
	s_or_b32 exec_lo, exec_lo, s17
	v_lshlrev_b32_e32 v2, 24, v0
	s_delay_alu instid0(VALU_DEP_2) | instskip(NEXT) | instid1(VALU_DEP_3)
	v_lshlrev_b32_e32 v3, 20, v4
	v_lshl_add_u32 v1, v1, 23, 0x3c000000
	s_delay_alu instid0(VALU_DEP_3) | instskip(NEXT) | instid1(VALU_DEP_1)
	v_and_b32_e32 v2, 0x80000000, v2
	v_or3_b32 v4, v3, v2, v1
	v_mov_b32_e32 v1, v5
	s_clause 0x1
	scratch_store_b64 off, v[0:1], s32 offset:192
	scratch_store_b64 off, v[4:5], s32 offset:556
.LBB214_312:                            ;   in Loop: Header=BB214_15 Depth=1
	s_wait_xcnt 0x0
	s_or_b32 exec_lo, exec_lo, s16
.LBB214_313:                            ;   in Loop: Header=BB214_15 Depth=1
	s_delay_alu instid0(SALU_CYCLE_1)
	s_or_b32 exec_lo, exec_lo, s15
.LBB214_314:                            ;   in Loop: Header=BB214_15 Depth=1
	s_delay_alu instid0(SALU_CYCLE_1) | instskip(SKIP_2) | instid1(VALU_DEP_1)
	s_or_b32 exec_lo, exec_lo, s14
	v_lshrrev_b16 v1, 8, v0
	s_mov_b32 s14, exec_lo
	v_cmpx_ne_u16_e32 0, v1
	s_cbranch_execz .LBB214_322
; %bb.315:                              ;   in Loop: Header=BB214_15 Depth=1
	v_mov_b64_e32 v[2:3], 0x8000000000000000
	s_mov_b32 s15, exec_lo
	scratch_store_b64 off, v[2:3], s32 offset:548 ; 8-byte Folded Spill
	s_wait_xcnt 0x0
	v_cmpx_ne_u16_e32 0x80, v1
	s_cbranch_execz .LBB214_321
; %bb.316:                              ;   in Loop: Header=BB214_15 Depth=1
	v_and_b32_e32 v1, 0xffff, v1
	v_mov_b64_e32 v[4:5], 0x7f80000100000000
	s_mov_b32 s16, exec_lo
	s_delay_alu instid0(VALU_DEP_2)
	v_and_b32_e32 v2, 0x7f, v1
	scratch_store_b64 off, v[4:5], s32 offset:548 ; 8-byte Folded Spill
	s_wait_xcnt 0x0
	v_cmpx_ne_u32_e32 0x7f, v2
	s_cbranch_execz .LBB214_320
; %bb.317:                              ;   in Loop: Header=BB214_15 Depth=1
	scratch_load_b64 v[4:5], off, s32 offset:192 th:TH_LOAD_LU ; 8-byte Folded Reload
	s_wait_loadcnt 0x0
	v_dual_lshrrev_b32 v1, 3, v2 :: v_dual_bitop2_b32 v4, 7, v1 bitop3:0x40
	s_mov_b32 s17, exec_lo
	s_wait_xcnt 0x0
	v_cmpx_gt_u32_e32 8, v2
; %bb.318:                              ;   in Loop: Header=BB214_15 Depth=1
	s_delay_alu instid0(VALU_DEP_2) | instskip(NEXT) | instid1(VALU_DEP_1)
	v_clz_i32_u32_e32 v1, v4
	v_min_u32_e32 v1, 32, v1
	s_delay_alu instid0(VALU_DEP_1) | instskip(NEXT) | instid1(VALU_DEP_1)
	v_subrev_nc_u32_e32 v2, 28, v1
	v_lshlrev_b64_e32 v[2:3], v2, v[4:5]
	s_delay_alu instid0(VALU_DEP_1)
	v_dual_sub_nc_u32 v1, 29, v1 :: v_dual_bitop2_b32 v4, 7, v2 bitop3:0x40
; %bb.319:                              ;   in Loop: Header=BB214_15 Depth=1
	s_or_b32 exec_lo, exec_lo, s17
	v_lshlrev_b32_e32 v2, 16, v0
	s_delay_alu instid0(VALU_DEP_2) | instskip(NEXT) | instid1(VALU_DEP_3)
	v_lshlrev_b32_e32 v3, 20, v4
	v_lshl_add_u32 v1, v1, 23, 0x3c000000
	s_delay_alu instid0(VALU_DEP_3) | instskip(NEXT) | instid1(VALU_DEP_1)
	v_and_b32_e32 v2, 0x80000000, v2
	v_or3_b32 v3, v3, v2, v1
	v_dual_mov_b32 v1, v5 :: v_dual_mov_b32 v2, v5
	s_clause 0x1
	scratch_store_b64 off, v[0:1], s32 offset:192
	scratch_store_b64 off, v[2:3], s32 offset:548
.LBB214_320:                            ;   in Loop: Header=BB214_15 Depth=1
	s_wait_xcnt 0x0
	s_or_b32 exec_lo, exec_lo, s16
.LBB214_321:                            ;   in Loop: Header=BB214_15 Depth=1
	s_delay_alu instid0(SALU_CYCLE_1)
	s_or_b32 exec_lo, exec_lo, s15
.LBB214_322:                            ;   in Loop: Header=BB214_15 Depth=1
	s_delay_alu instid0(SALU_CYCLE_1) | instskip(SKIP_3) | instid1(VALU_DEP_1)
	s_or_b32 exec_lo, exec_lo, s14
	v_mov_b64_e32 v[4:5], 0
	v_lshrrev_b32_e32 v1, 16, v0
	s_mov_b32 s14, exec_lo
	v_and_b32_e32 v2, 0xff, v1
	scratch_store_b64 off, v[4:5], s32 offset:564 ; 8-byte Folded Spill
	s_wait_xcnt 0x0
	v_mov_b64_e32 v[4:5], 0
	scratch_store_b64 off, v[4:5], s32 offset:572 ; 8-byte Folded Spill
	s_wait_xcnt 0x0
	v_cmpx_ne_u16_e32 0, v2
	s_cbranch_execz .LBB214_330
; %bb.323:                              ;   in Loop: Header=BB214_15 Depth=1
	v_cmp_ne_u16_e64 s1, 0x80, v2
	v_mov_b64_e32 v[2:3], 0x80000000
	scratch_store_b64 off, v[2:3], s32 offset:572 ; 8-byte Folded Spill
	s_wait_xcnt 0x0
	s_and_saveexec_b32 s15, s1
	s_cbranch_execz .LBB214_329
; %bb.324:                              ;   in Loop: Header=BB214_15 Depth=1
	v_mov_b64_e32 v[4:5], 0x7f800001
	v_bfe_u32 v3, v0, 16, 7
	s_mov_b32 s16, exec_lo
	scratch_store_b64 off, v[4:5], s32 offset:572 ; 8-byte Folded Spill
	s_wait_xcnt 0x0
	v_cmpx_ne_u32_e32 0x7f, v3
	s_cbranch_execz .LBB214_328
; %bb.325:                              ;   in Loop: Header=BB214_15 Depth=1
	scratch_load_b64 v[6:7], off, s32 offset:192 th:TH_LOAD_LU ; 8-byte Folded Reload
	s_wait_loadcnt 0x0
	v_dual_lshrrev_b32 v2, 3, v3 :: v_dual_bitop2_b32 v6, 7, v1 bitop3:0x40
	s_mov_b32 s17, exec_lo
	s_wait_xcnt 0x0
	v_cmpx_gt_u32_e32 8, v3
; %bb.326:                              ;   in Loop: Header=BB214_15 Depth=1
	s_delay_alu instid0(VALU_DEP_2) | instskip(NEXT) | instid1(VALU_DEP_1)
	v_clz_i32_u32_e32 v2, v6
	v_min_u32_e32 v2, 32, v2
	s_delay_alu instid0(VALU_DEP_1) | instskip(NEXT) | instid1(VALU_DEP_1)
	v_subrev_nc_u32_e32 v3, 28, v2
	v_lshlrev_b64_e32 v[4:5], v3, v[6:7]
	s_delay_alu instid0(VALU_DEP_1)
	v_dual_sub_nc_u32 v2, 29, v2 :: v_dual_bitop2_b32 v6, 7, v4 bitop3:0x40
; %bb.327:                              ;   in Loop: Header=BB214_15 Depth=1
	s_or_b32 exec_lo, exec_lo, s17
	s_delay_alu instid0(VALU_DEP_1) | instskip(NEXT) | instid1(VALU_DEP_2)
	v_dual_lshlrev_b32 v1, 24, v1 :: v_dual_lshlrev_b32 v3, 20, v6
	v_lshl_add_u32 v2, v2, 23, 0x3c000000
	s_delay_alu instid0(VALU_DEP_2) | instskip(NEXT) | instid1(VALU_DEP_1)
	v_and_b32_e32 v1, 0x80000000, v1
	v_or3_b32 v6, v3, v1, v2
	v_mov_b32_e32 v1, v7
	s_clause 0x1
	scratch_store_b64 off, v[0:1], s32 offset:192
	scratch_store_b64 off, v[6:7], s32 offset:572
.LBB214_328:                            ;   in Loop: Header=BB214_15 Depth=1
	s_wait_xcnt 0x0
	s_or_b32 exec_lo, exec_lo, s16
.LBB214_329:                            ;   in Loop: Header=BB214_15 Depth=1
	s_delay_alu instid0(SALU_CYCLE_1)
	s_or_b32 exec_lo, exec_lo, s15
.LBB214_330:                            ;   in Loop: Header=BB214_15 Depth=1
	s_delay_alu instid0(SALU_CYCLE_1) | instskip(NEXT) | instid1(SALU_CYCLE_1)
	s_or_b32 exec_lo, exec_lo, s14
	s_mov_b32 s14, exec_lo
	v_cmpx_lt_u32_e32 0xffffff, v0
	s_cbranch_execz .LBB214_338
; %bb.331:                              ;   in Loop: Header=BB214_15 Depth=1
	v_mov_b64_e32 v[2:3], 0x8000000000000000
	v_lshrrev_b32_e32 v1, 24, v0
	s_mov_b32 s15, exec_lo
	scratch_store_b64 off, v[2:3], s32 offset:564 ; 8-byte Folded Spill
	s_wait_xcnt 0x0
	v_cmpx_ne_u32_e32 0x80, v1
	s_cbranch_execz .LBB214_337
; %bb.332:                              ;   in Loop: Header=BB214_15 Depth=1
	v_mov_b64_e32 v[4:5], 0x7f80000100000000
	v_bfe_u32 v2, v0, 24, 7
	s_mov_b32 s16, exec_lo
	scratch_store_b64 off, v[4:5], s32 offset:564 ; 8-byte Folded Spill
	s_wait_xcnt 0x0
	v_cmpx_ne_u32_e32 0x7f, v2
	s_cbranch_execz .LBB214_336
; %bb.333:                              ;   in Loop: Header=BB214_15 Depth=1
	scratch_load_b64 v[4:5], off, s32 offset:192 th:TH_LOAD_LU ; 8-byte Folded Reload
	s_wait_loadcnt 0x0
	v_dual_lshrrev_b32 v0, 3, v2 :: v_dual_bitop2_b32 v4, 7, v1 bitop3:0x40
	s_mov_b32 s17, exec_lo
	s_wait_xcnt 0x0
	v_cmpx_gt_u32_e32 8, v2
; %bb.334:                              ;   in Loop: Header=BB214_15 Depth=1
	s_delay_alu instid0(VALU_DEP_2) | instskip(NEXT) | instid1(VALU_DEP_1)
	v_clz_i32_u32_e32 v0, v4
	v_min_u32_e32 v0, 32, v0
	s_delay_alu instid0(VALU_DEP_1) | instskip(NEXT) | instid1(VALU_DEP_1)
	v_subrev_nc_u32_e32 v2, 28, v0
	v_lshlrev_b64_e32 v[2:3], v2, v[4:5]
	s_delay_alu instid0(VALU_DEP_1)
	v_dual_sub_nc_u32 v0, 29, v0 :: v_dual_bitop2_b32 v4, 7, v2 bitop3:0x40
; %bb.335:                              ;   in Loop: Header=BB214_15 Depth=1
	s_or_b32 exec_lo, exec_lo, s17
	s_delay_alu instid0(VALU_DEP_1) | instskip(NEXT) | instid1(VALU_DEP_2)
	v_dual_lshlrev_b32 v1, 24, v1 :: v_dual_lshlrev_b32 v2, 20, v4
	v_lshl_add_u32 v0, v0, 23, 0x3c000000
	s_delay_alu instid0(VALU_DEP_2) | instskip(NEXT) | instid1(VALU_DEP_1)
	v_and_b32_e32 v1, 0x80000000, v1
	v_or3_b32 v3, v2, v1, v0
	v_dual_mov_b32 v1, v5 :: v_dual_mov_b32 v2, v5
	s_clause 0x1
	scratch_store_b64 off, v[0:1], s32 offset:192
	scratch_store_b64 off, v[2:3], s32 offset:564
.LBB214_336:                            ;   in Loop: Header=BB214_15 Depth=1
	s_wait_xcnt 0x0
	s_or_b32 exec_lo, exec_lo, s16
.LBB214_337:                            ;   in Loop: Header=BB214_15 Depth=1
	s_delay_alu instid0(SALU_CYCLE_1)
	s_or_b32 exec_lo, exec_lo, s15
.LBB214_338:                            ;   in Loop: Header=BB214_15 Depth=1
	s_delay_alu instid0(SALU_CYCLE_1)
	s_or_b32 exec_lo, exec_lo, s14
	flat_load_b32 v0, v[120:121] offset:1032
	v_mov_b64_e32 v[2:3], 0
	s_mov_b32 s14, exec_lo
	scratch_store_b64 off, v[2:3], s32 offset:580 ; 8-byte Folded Spill
	s_wait_xcnt 0x0
	v_mov_b64_e32 v[2:3], 0
	scratch_store_b64 off, v[2:3], s32 offset:588 ; 8-byte Folded Spill
	s_wait_loadcnt_dscnt 0x0
	v_and_b32_e32 v1, 0xff, v0
	s_wait_xcnt 0x0
	s_delay_alu instid0(VALU_DEP_1)
	v_cmpx_ne_u16_e32 0, v1
	s_cbranch_execz .LBB214_346
; %bb.339:                              ;   in Loop: Header=BB214_15 Depth=1
	v_mov_b64_e32 v[2:3], 0x80000000
	s_mov_b32 s15, exec_lo
	scratch_store_b64 off, v[2:3], s32 offset:588 ; 8-byte Folded Spill
	s_wait_xcnt 0x0
	v_cmpx_ne_u16_e32 0x80, v1
	s_cbranch_execz .LBB214_345
; %bb.340:                              ;   in Loop: Header=BB214_15 Depth=1
	v_mov_b64_e32 v[4:5], 0x7f800001
	v_and_b32_e32 v2, 0x7f, v0
	s_mov_b32 s16, exec_lo
	scratch_store_b64 off, v[4:5], s32 offset:588 ; 8-byte Folded Spill
	s_wait_xcnt 0x0
	v_cmpx_ne_u32_e32 0x7f, v2
	s_cbranch_execz .LBB214_344
; %bb.341:                              ;   in Loop: Header=BB214_15 Depth=1
	scratch_load_b64 v[4:5], off, s32 offset:192 th:TH_LOAD_LU ; 8-byte Folded Reload
	s_wait_loadcnt 0x0
	v_dual_lshrrev_b32 v1, 3, v2 :: v_dual_bitop2_b32 v4, 7, v0 bitop3:0x40
	s_mov_b32 s17, exec_lo
	s_wait_xcnt 0x0
	v_cmpx_gt_u32_e32 8, v2
; %bb.342:                              ;   in Loop: Header=BB214_15 Depth=1
	s_delay_alu instid0(VALU_DEP_2) | instskip(NEXT) | instid1(VALU_DEP_1)
	v_clz_i32_u32_e32 v1, v4
	v_min_u32_e32 v1, 32, v1
	s_delay_alu instid0(VALU_DEP_1) | instskip(NEXT) | instid1(VALU_DEP_1)
	v_subrev_nc_u32_e32 v2, 28, v1
	v_lshlrev_b64_e32 v[2:3], v2, v[4:5]
	s_delay_alu instid0(VALU_DEP_1)
	v_dual_sub_nc_u32 v1, 29, v1 :: v_dual_bitop2_b32 v4, 7, v2 bitop3:0x40
; %bb.343:                              ;   in Loop: Header=BB214_15 Depth=1
	s_or_b32 exec_lo, exec_lo, s17
	v_lshlrev_b32_e32 v2, 24, v0
	s_delay_alu instid0(VALU_DEP_2) | instskip(NEXT) | instid1(VALU_DEP_3)
	v_lshlrev_b32_e32 v3, 20, v4
	v_lshl_add_u32 v1, v1, 23, 0x3c000000
	s_delay_alu instid0(VALU_DEP_3) | instskip(NEXT) | instid1(VALU_DEP_1)
	v_and_b32_e32 v2, 0x80000000, v2
	v_or3_b32 v4, v3, v2, v1
	v_mov_b32_e32 v1, v5
	s_clause 0x1
	scratch_store_b64 off, v[0:1], s32 offset:192
	scratch_store_b64 off, v[4:5], s32 offset:588
.LBB214_344:                            ;   in Loop: Header=BB214_15 Depth=1
	s_wait_xcnt 0x0
	s_or_b32 exec_lo, exec_lo, s16
.LBB214_345:                            ;   in Loop: Header=BB214_15 Depth=1
	s_delay_alu instid0(SALU_CYCLE_1)
	s_or_b32 exec_lo, exec_lo, s15
.LBB214_346:                            ;   in Loop: Header=BB214_15 Depth=1
	s_delay_alu instid0(SALU_CYCLE_1) | instskip(SKIP_2) | instid1(VALU_DEP_1)
	s_or_b32 exec_lo, exec_lo, s14
	v_lshrrev_b16 v1, 8, v0
	s_mov_b32 s14, exec_lo
	v_cmpx_ne_u16_e32 0, v1
	s_cbranch_execz .LBB214_354
; %bb.347:                              ;   in Loop: Header=BB214_15 Depth=1
	v_mov_b64_e32 v[2:3], 0x8000000000000000
	s_mov_b32 s15, exec_lo
	scratch_store_b64 off, v[2:3], s32 offset:580 ; 8-byte Folded Spill
	s_wait_xcnt 0x0
	v_cmpx_ne_u16_e32 0x80, v1
	s_cbranch_execz .LBB214_353
; %bb.348:                              ;   in Loop: Header=BB214_15 Depth=1
	v_and_b32_e32 v1, 0xffff, v1
	v_mov_b64_e32 v[4:5], 0x7f80000100000000
	s_mov_b32 s16, exec_lo
	s_delay_alu instid0(VALU_DEP_2)
	v_and_b32_e32 v2, 0x7f, v1
	scratch_store_b64 off, v[4:5], s32 offset:580 ; 8-byte Folded Spill
	s_wait_xcnt 0x0
	v_cmpx_ne_u32_e32 0x7f, v2
	s_cbranch_execz .LBB214_352
; %bb.349:                              ;   in Loop: Header=BB214_15 Depth=1
	scratch_load_b64 v[4:5], off, s32 offset:192 th:TH_LOAD_LU ; 8-byte Folded Reload
	s_wait_loadcnt 0x0
	v_dual_lshrrev_b32 v1, 3, v2 :: v_dual_bitop2_b32 v4, 7, v1 bitop3:0x40
	s_mov_b32 s17, exec_lo
	s_wait_xcnt 0x0
	v_cmpx_gt_u32_e32 8, v2
; %bb.350:                              ;   in Loop: Header=BB214_15 Depth=1
	s_delay_alu instid0(VALU_DEP_2) | instskip(NEXT) | instid1(VALU_DEP_1)
	v_clz_i32_u32_e32 v1, v4
	v_min_u32_e32 v1, 32, v1
	s_delay_alu instid0(VALU_DEP_1) | instskip(NEXT) | instid1(VALU_DEP_1)
	v_subrev_nc_u32_e32 v2, 28, v1
	v_lshlrev_b64_e32 v[2:3], v2, v[4:5]
	s_delay_alu instid0(VALU_DEP_1)
	v_dual_sub_nc_u32 v1, 29, v1 :: v_dual_bitop2_b32 v4, 7, v2 bitop3:0x40
; %bb.351:                              ;   in Loop: Header=BB214_15 Depth=1
	s_or_b32 exec_lo, exec_lo, s17
	v_lshlrev_b32_e32 v2, 16, v0
	s_delay_alu instid0(VALU_DEP_2) | instskip(NEXT) | instid1(VALU_DEP_3)
	v_lshlrev_b32_e32 v3, 20, v4
	v_lshl_add_u32 v1, v1, 23, 0x3c000000
	s_delay_alu instid0(VALU_DEP_3) | instskip(NEXT) | instid1(VALU_DEP_1)
	v_and_b32_e32 v2, 0x80000000, v2
	v_or3_b32 v3, v3, v2, v1
	v_dual_mov_b32 v1, v5 :: v_dual_mov_b32 v2, v5
	s_clause 0x1
	scratch_store_b64 off, v[0:1], s32 offset:192
	scratch_store_b64 off, v[2:3], s32 offset:580
.LBB214_352:                            ;   in Loop: Header=BB214_15 Depth=1
	s_wait_xcnt 0x0
	s_or_b32 exec_lo, exec_lo, s16
.LBB214_353:                            ;   in Loop: Header=BB214_15 Depth=1
	s_delay_alu instid0(SALU_CYCLE_1)
	s_or_b32 exec_lo, exec_lo, s15
.LBB214_354:                            ;   in Loop: Header=BB214_15 Depth=1
	s_delay_alu instid0(SALU_CYCLE_1) | instskip(SKIP_3) | instid1(VALU_DEP_1)
	s_or_b32 exec_lo, exec_lo, s14
	v_mov_b64_e32 v[4:5], 0
	v_lshrrev_b32_e32 v1, 16, v0
	s_mov_b32 s14, exec_lo
	v_and_b32_e32 v2, 0xff, v1
	scratch_store_b64 off, v[4:5], s32 offset:596 ; 8-byte Folded Spill
	s_wait_xcnt 0x0
	v_mov_b64_e32 v[4:5], 0
	scratch_store_b64 off, v[4:5], s32 offset:604 ; 8-byte Folded Spill
	s_wait_xcnt 0x0
	v_cmpx_ne_u16_e32 0, v2
	s_cbranch_execz .LBB214_362
; %bb.355:                              ;   in Loop: Header=BB214_15 Depth=1
	v_cmp_ne_u16_e64 s1, 0x80, v2
	v_mov_b64_e32 v[2:3], 0x80000000
	scratch_store_b64 off, v[2:3], s32 offset:604 ; 8-byte Folded Spill
	s_wait_xcnt 0x0
	s_and_saveexec_b32 s15, s1
	s_cbranch_execz .LBB214_361
; %bb.356:                              ;   in Loop: Header=BB214_15 Depth=1
	v_mov_b64_e32 v[4:5], 0x7f800001
	v_bfe_u32 v3, v0, 16, 7
	s_mov_b32 s16, exec_lo
	scratch_store_b64 off, v[4:5], s32 offset:604 ; 8-byte Folded Spill
	s_wait_xcnt 0x0
	v_cmpx_ne_u32_e32 0x7f, v3
	s_cbranch_execz .LBB214_360
; %bb.357:                              ;   in Loop: Header=BB214_15 Depth=1
	scratch_load_b64 v[6:7], off, s32 offset:192 th:TH_LOAD_LU ; 8-byte Folded Reload
	s_wait_loadcnt 0x0
	v_dual_lshrrev_b32 v2, 3, v3 :: v_dual_bitop2_b32 v6, 7, v1 bitop3:0x40
	s_mov_b32 s17, exec_lo
	s_wait_xcnt 0x0
	v_cmpx_gt_u32_e32 8, v3
; %bb.358:                              ;   in Loop: Header=BB214_15 Depth=1
	s_delay_alu instid0(VALU_DEP_2) | instskip(NEXT) | instid1(VALU_DEP_1)
	v_clz_i32_u32_e32 v2, v6
	v_min_u32_e32 v2, 32, v2
	s_delay_alu instid0(VALU_DEP_1) | instskip(NEXT) | instid1(VALU_DEP_1)
	v_subrev_nc_u32_e32 v3, 28, v2
	v_lshlrev_b64_e32 v[4:5], v3, v[6:7]
	s_delay_alu instid0(VALU_DEP_1)
	v_dual_sub_nc_u32 v2, 29, v2 :: v_dual_bitop2_b32 v6, 7, v4 bitop3:0x40
; %bb.359:                              ;   in Loop: Header=BB214_15 Depth=1
	s_or_b32 exec_lo, exec_lo, s17
	s_delay_alu instid0(VALU_DEP_1) | instskip(NEXT) | instid1(VALU_DEP_2)
	v_dual_lshlrev_b32 v1, 24, v1 :: v_dual_lshlrev_b32 v3, 20, v6
	v_lshl_add_u32 v2, v2, 23, 0x3c000000
	s_delay_alu instid0(VALU_DEP_2) | instskip(NEXT) | instid1(VALU_DEP_1)
	v_and_b32_e32 v1, 0x80000000, v1
	v_or3_b32 v6, v3, v1, v2
	v_mov_b32_e32 v1, v7
	s_clause 0x1
	scratch_store_b64 off, v[0:1], s32 offset:192
	scratch_store_b64 off, v[6:7], s32 offset:604
.LBB214_360:                            ;   in Loop: Header=BB214_15 Depth=1
	s_wait_xcnt 0x0
	s_or_b32 exec_lo, exec_lo, s16
.LBB214_361:                            ;   in Loop: Header=BB214_15 Depth=1
	s_delay_alu instid0(SALU_CYCLE_1)
	s_or_b32 exec_lo, exec_lo, s15
.LBB214_362:                            ;   in Loop: Header=BB214_15 Depth=1
	s_delay_alu instid0(SALU_CYCLE_1) | instskip(NEXT) | instid1(SALU_CYCLE_1)
	s_or_b32 exec_lo, exec_lo, s14
	s_mov_b32 s14, exec_lo
	v_cmpx_lt_u32_e32 0xffffff, v0
	s_cbranch_execz .LBB214_370
; %bb.363:                              ;   in Loop: Header=BB214_15 Depth=1
	v_mov_b64_e32 v[2:3], 0x8000000000000000
	v_lshrrev_b32_e32 v1, 24, v0
	s_mov_b32 s15, exec_lo
	scratch_store_b64 off, v[2:3], s32 offset:596 ; 8-byte Folded Spill
	s_wait_xcnt 0x0
	v_cmpx_ne_u32_e32 0x80, v1
	s_cbranch_execz .LBB214_369
; %bb.364:                              ;   in Loop: Header=BB214_15 Depth=1
	v_mov_b64_e32 v[4:5], 0x7f80000100000000
	v_bfe_u32 v2, v0, 24, 7
	s_mov_b32 s16, exec_lo
	scratch_store_b64 off, v[4:5], s32 offset:596 ; 8-byte Folded Spill
	s_wait_xcnt 0x0
	v_cmpx_ne_u32_e32 0x7f, v2
	s_cbranch_execz .LBB214_368
; %bb.365:                              ;   in Loop: Header=BB214_15 Depth=1
	scratch_load_b64 v[4:5], off, s32 offset:192 th:TH_LOAD_LU ; 8-byte Folded Reload
	s_wait_loadcnt 0x0
	v_dual_lshrrev_b32 v0, 3, v2 :: v_dual_bitop2_b32 v4, 7, v1 bitop3:0x40
	s_mov_b32 s17, exec_lo
	s_wait_xcnt 0x0
	v_cmpx_gt_u32_e32 8, v2
; %bb.366:                              ;   in Loop: Header=BB214_15 Depth=1
	s_delay_alu instid0(VALU_DEP_2) | instskip(NEXT) | instid1(VALU_DEP_1)
	v_clz_i32_u32_e32 v0, v4
	v_min_u32_e32 v0, 32, v0
	s_delay_alu instid0(VALU_DEP_1) | instskip(NEXT) | instid1(VALU_DEP_1)
	v_subrev_nc_u32_e32 v2, 28, v0
	v_lshlrev_b64_e32 v[2:3], v2, v[4:5]
	s_delay_alu instid0(VALU_DEP_1)
	v_dual_sub_nc_u32 v0, 29, v0 :: v_dual_bitop2_b32 v4, 7, v2 bitop3:0x40
; %bb.367:                              ;   in Loop: Header=BB214_15 Depth=1
	s_or_b32 exec_lo, exec_lo, s17
	s_delay_alu instid0(VALU_DEP_1) | instskip(NEXT) | instid1(VALU_DEP_2)
	v_dual_lshlrev_b32 v1, 24, v1 :: v_dual_lshlrev_b32 v2, 20, v4
	v_lshl_add_u32 v0, v0, 23, 0x3c000000
	s_delay_alu instid0(VALU_DEP_2) | instskip(NEXT) | instid1(VALU_DEP_1)
	v_and_b32_e32 v1, 0x80000000, v1
	v_or3_b32 v3, v2, v1, v0
	v_dual_mov_b32 v1, v5 :: v_dual_mov_b32 v2, v5
	s_clause 0x1
	scratch_store_b64 off, v[0:1], s32 offset:192
	scratch_store_b64 off, v[2:3], s32 offset:596
.LBB214_368:                            ;   in Loop: Header=BB214_15 Depth=1
	s_wait_xcnt 0x0
	s_or_b32 exec_lo, exec_lo, s16
.LBB214_369:                            ;   in Loop: Header=BB214_15 Depth=1
	s_delay_alu instid0(SALU_CYCLE_1)
	s_or_b32 exec_lo, exec_lo, s15
.LBB214_370:                            ;   in Loop: Header=BB214_15 Depth=1
	s_delay_alu instid0(SALU_CYCLE_1)
	s_or_b32 exec_lo, exec_lo, s14
	flat_load_b32 v0, v[120:121] offset:1036
	v_mov_b64_e32 v[2:3], 0
	s_mov_b32 s14, exec_lo
	scratch_store_b64 off, v[2:3], s32 offset:612 ; 8-byte Folded Spill
	s_wait_xcnt 0x0
	v_mov_b64_e32 v[2:3], 0
	scratch_store_b64 off, v[2:3], s32 offset:620 ; 8-byte Folded Spill
	s_wait_loadcnt_dscnt 0x0
	v_and_b32_e32 v1, 0xff, v0
	s_wait_xcnt 0x0
	s_delay_alu instid0(VALU_DEP_1)
	v_cmpx_ne_u16_e32 0, v1
	s_cbranch_execz .LBB214_378
; %bb.371:                              ;   in Loop: Header=BB214_15 Depth=1
	v_mov_b64_e32 v[2:3], 0x80000000
	s_mov_b32 s15, exec_lo
	scratch_store_b64 off, v[2:3], s32 offset:620 ; 8-byte Folded Spill
	s_wait_xcnt 0x0
	v_cmpx_ne_u16_e32 0x80, v1
	s_cbranch_execz .LBB214_377
; %bb.372:                              ;   in Loop: Header=BB214_15 Depth=1
	v_mov_b64_e32 v[4:5], 0x7f800001
	v_and_b32_e32 v2, 0x7f, v0
	s_mov_b32 s16, exec_lo
	scratch_store_b64 off, v[4:5], s32 offset:620 ; 8-byte Folded Spill
	s_wait_xcnt 0x0
	v_cmpx_ne_u32_e32 0x7f, v2
	s_cbranch_execz .LBB214_376
; %bb.373:                              ;   in Loop: Header=BB214_15 Depth=1
	scratch_load_b64 v[4:5], off, s32 offset:192 th:TH_LOAD_LU ; 8-byte Folded Reload
	s_wait_loadcnt 0x0
	v_dual_lshrrev_b32 v1, 3, v2 :: v_dual_bitop2_b32 v4, 7, v0 bitop3:0x40
	s_mov_b32 s17, exec_lo
	s_wait_xcnt 0x0
	v_cmpx_gt_u32_e32 8, v2
; %bb.374:                              ;   in Loop: Header=BB214_15 Depth=1
	s_delay_alu instid0(VALU_DEP_2) | instskip(NEXT) | instid1(VALU_DEP_1)
	v_clz_i32_u32_e32 v1, v4
	v_min_u32_e32 v1, 32, v1
	s_delay_alu instid0(VALU_DEP_1) | instskip(NEXT) | instid1(VALU_DEP_1)
	v_subrev_nc_u32_e32 v2, 28, v1
	v_lshlrev_b64_e32 v[2:3], v2, v[4:5]
	s_delay_alu instid0(VALU_DEP_1)
	v_dual_sub_nc_u32 v1, 29, v1 :: v_dual_bitop2_b32 v4, 7, v2 bitop3:0x40
; %bb.375:                              ;   in Loop: Header=BB214_15 Depth=1
	s_or_b32 exec_lo, exec_lo, s17
	v_lshlrev_b32_e32 v2, 24, v0
	s_delay_alu instid0(VALU_DEP_2) | instskip(NEXT) | instid1(VALU_DEP_3)
	v_lshlrev_b32_e32 v3, 20, v4
	v_lshl_add_u32 v1, v1, 23, 0x3c000000
	s_delay_alu instid0(VALU_DEP_3) | instskip(NEXT) | instid1(VALU_DEP_1)
	v_and_b32_e32 v2, 0x80000000, v2
	v_or3_b32 v4, v3, v2, v1
	v_mov_b32_e32 v1, v5
	s_clause 0x1
	scratch_store_b64 off, v[0:1], s32 offset:192
	scratch_store_b64 off, v[4:5], s32 offset:620
.LBB214_376:                            ;   in Loop: Header=BB214_15 Depth=1
	s_wait_xcnt 0x0
	s_or_b32 exec_lo, exec_lo, s16
.LBB214_377:                            ;   in Loop: Header=BB214_15 Depth=1
	s_delay_alu instid0(SALU_CYCLE_1)
	s_or_b32 exec_lo, exec_lo, s15
.LBB214_378:                            ;   in Loop: Header=BB214_15 Depth=1
	s_delay_alu instid0(SALU_CYCLE_1) | instskip(SKIP_2) | instid1(VALU_DEP_1)
	s_or_b32 exec_lo, exec_lo, s14
	v_lshrrev_b16 v1, 8, v0
	s_mov_b32 s14, exec_lo
	v_cmpx_ne_u16_e32 0, v1
	s_cbranch_execz .LBB214_386
; %bb.379:                              ;   in Loop: Header=BB214_15 Depth=1
	v_mov_b64_e32 v[2:3], 0x8000000000000000
	s_mov_b32 s15, exec_lo
	scratch_store_b64 off, v[2:3], s32 offset:612 ; 8-byte Folded Spill
	s_wait_xcnt 0x0
	v_cmpx_ne_u16_e32 0x80, v1
	s_cbranch_execz .LBB214_385
; %bb.380:                              ;   in Loop: Header=BB214_15 Depth=1
	v_and_b32_e32 v1, 0xffff, v1
	v_mov_b64_e32 v[4:5], 0x7f80000100000000
	s_mov_b32 s16, exec_lo
	s_delay_alu instid0(VALU_DEP_2)
	v_and_b32_e32 v2, 0x7f, v1
	scratch_store_b64 off, v[4:5], s32 offset:612 ; 8-byte Folded Spill
	s_wait_xcnt 0x0
	v_cmpx_ne_u32_e32 0x7f, v2
	s_cbranch_execz .LBB214_384
; %bb.381:                              ;   in Loop: Header=BB214_15 Depth=1
	scratch_load_b64 v[4:5], off, s32 offset:192 th:TH_LOAD_LU ; 8-byte Folded Reload
	s_wait_loadcnt 0x0
	v_dual_lshrrev_b32 v1, 3, v2 :: v_dual_bitop2_b32 v4, 7, v1 bitop3:0x40
	s_mov_b32 s17, exec_lo
	s_wait_xcnt 0x0
	v_cmpx_gt_u32_e32 8, v2
; %bb.382:                              ;   in Loop: Header=BB214_15 Depth=1
	s_delay_alu instid0(VALU_DEP_2) | instskip(NEXT) | instid1(VALU_DEP_1)
	v_clz_i32_u32_e32 v1, v4
	v_min_u32_e32 v1, 32, v1
	s_delay_alu instid0(VALU_DEP_1) | instskip(NEXT) | instid1(VALU_DEP_1)
	v_subrev_nc_u32_e32 v2, 28, v1
	v_lshlrev_b64_e32 v[2:3], v2, v[4:5]
	s_delay_alu instid0(VALU_DEP_1)
	v_dual_sub_nc_u32 v1, 29, v1 :: v_dual_bitop2_b32 v4, 7, v2 bitop3:0x40
; %bb.383:                              ;   in Loop: Header=BB214_15 Depth=1
	s_or_b32 exec_lo, exec_lo, s17
	v_lshlrev_b32_e32 v2, 16, v0
	s_delay_alu instid0(VALU_DEP_2) | instskip(NEXT) | instid1(VALU_DEP_3)
	v_lshlrev_b32_e32 v3, 20, v4
	v_lshl_add_u32 v1, v1, 23, 0x3c000000
	s_delay_alu instid0(VALU_DEP_3) | instskip(NEXT) | instid1(VALU_DEP_1)
	v_and_b32_e32 v2, 0x80000000, v2
	v_or3_b32 v3, v3, v2, v1
	v_dual_mov_b32 v1, v5 :: v_dual_mov_b32 v2, v5
	s_clause 0x1
	scratch_store_b64 off, v[0:1], s32 offset:192
	scratch_store_b64 off, v[2:3], s32 offset:612
.LBB214_384:                            ;   in Loop: Header=BB214_15 Depth=1
	s_wait_xcnt 0x0
	s_or_b32 exec_lo, exec_lo, s16
.LBB214_385:                            ;   in Loop: Header=BB214_15 Depth=1
	s_delay_alu instid0(SALU_CYCLE_1)
	s_or_b32 exec_lo, exec_lo, s15
.LBB214_386:                            ;   in Loop: Header=BB214_15 Depth=1
	s_delay_alu instid0(SALU_CYCLE_1) | instskip(SKIP_3) | instid1(VALU_DEP_1)
	s_or_b32 exec_lo, exec_lo, s14
	v_mov_b64_e32 v[4:5], 0
	v_lshrrev_b32_e32 v1, 16, v0
	s_mov_b32 s14, exec_lo
	v_and_b32_e32 v2, 0xff, v1
	scratch_store_b64 off, v[4:5], s32 offset:628 ; 8-byte Folded Spill
	s_wait_xcnt 0x0
	v_mov_b64_e32 v[4:5], 0
	scratch_store_b64 off, v[4:5], s32 offset:636 ; 8-byte Folded Spill
	s_wait_xcnt 0x0
	v_cmpx_ne_u16_e32 0, v2
	s_cbranch_execz .LBB214_394
; %bb.387:                              ;   in Loop: Header=BB214_15 Depth=1
	v_cmp_ne_u16_e64 s1, 0x80, v2
	v_mov_b64_e32 v[2:3], 0x80000000
	scratch_store_b64 off, v[2:3], s32 offset:636 ; 8-byte Folded Spill
	s_wait_xcnt 0x0
	s_and_saveexec_b32 s15, s1
	s_cbranch_execz .LBB214_393
; %bb.388:                              ;   in Loop: Header=BB214_15 Depth=1
	v_mov_b64_e32 v[4:5], 0x7f800001
	v_bfe_u32 v3, v0, 16, 7
	s_mov_b32 s16, exec_lo
	scratch_store_b64 off, v[4:5], s32 offset:636 ; 8-byte Folded Spill
	s_wait_xcnt 0x0
	v_cmpx_ne_u32_e32 0x7f, v3
	s_cbranch_execz .LBB214_392
; %bb.389:                              ;   in Loop: Header=BB214_15 Depth=1
	scratch_load_b64 v[6:7], off, s32 offset:192 th:TH_LOAD_LU ; 8-byte Folded Reload
	s_wait_loadcnt 0x0
	v_dual_lshrrev_b32 v2, 3, v3 :: v_dual_bitop2_b32 v6, 7, v1 bitop3:0x40
	s_mov_b32 s17, exec_lo
	s_wait_xcnt 0x0
	v_cmpx_gt_u32_e32 8, v3
; %bb.390:                              ;   in Loop: Header=BB214_15 Depth=1
	s_delay_alu instid0(VALU_DEP_2) | instskip(NEXT) | instid1(VALU_DEP_1)
	v_clz_i32_u32_e32 v2, v6
	v_min_u32_e32 v2, 32, v2
	s_delay_alu instid0(VALU_DEP_1) | instskip(NEXT) | instid1(VALU_DEP_1)
	v_subrev_nc_u32_e32 v3, 28, v2
	v_lshlrev_b64_e32 v[4:5], v3, v[6:7]
	s_delay_alu instid0(VALU_DEP_1)
	v_dual_sub_nc_u32 v2, 29, v2 :: v_dual_bitop2_b32 v6, 7, v4 bitop3:0x40
; %bb.391:                              ;   in Loop: Header=BB214_15 Depth=1
	s_or_b32 exec_lo, exec_lo, s17
	s_delay_alu instid0(VALU_DEP_1) | instskip(NEXT) | instid1(VALU_DEP_2)
	v_dual_lshlrev_b32 v1, 24, v1 :: v_dual_lshlrev_b32 v3, 20, v6
	v_lshl_add_u32 v2, v2, 23, 0x3c000000
	s_delay_alu instid0(VALU_DEP_2) | instskip(NEXT) | instid1(VALU_DEP_1)
	v_and_b32_e32 v1, 0x80000000, v1
	v_or3_b32 v6, v3, v1, v2
	v_mov_b32_e32 v1, v7
	s_clause 0x1
	scratch_store_b64 off, v[0:1], s32 offset:192
	scratch_store_b64 off, v[6:7], s32 offset:636
.LBB214_392:                            ;   in Loop: Header=BB214_15 Depth=1
	s_wait_xcnt 0x0
	s_or_b32 exec_lo, exec_lo, s16
.LBB214_393:                            ;   in Loop: Header=BB214_15 Depth=1
	s_delay_alu instid0(SALU_CYCLE_1)
	s_or_b32 exec_lo, exec_lo, s15
.LBB214_394:                            ;   in Loop: Header=BB214_15 Depth=1
	s_delay_alu instid0(SALU_CYCLE_1) | instskip(NEXT) | instid1(SALU_CYCLE_1)
	s_or_b32 exec_lo, exec_lo, s14
	s_mov_b32 s14, exec_lo
	v_cmpx_lt_u32_e32 0xffffff, v0
	s_cbranch_execz .LBB214_402
; %bb.395:                              ;   in Loop: Header=BB214_15 Depth=1
	v_mov_b64_e32 v[2:3], 0x8000000000000000
	v_lshrrev_b32_e32 v1, 24, v0
	s_mov_b32 s15, exec_lo
	scratch_store_b64 off, v[2:3], s32 offset:628 ; 8-byte Folded Spill
	s_wait_xcnt 0x0
	v_cmpx_ne_u32_e32 0x80, v1
	s_cbranch_execz .LBB214_401
; %bb.396:                              ;   in Loop: Header=BB214_15 Depth=1
	v_mov_b64_e32 v[4:5], 0x7f80000100000000
	v_bfe_u32 v2, v0, 24, 7
	s_mov_b32 s16, exec_lo
	scratch_store_b64 off, v[4:5], s32 offset:628 ; 8-byte Folded Spill
	s_wait_xcnt 0x0
	v_cmpx_ne_u32_e32 0x7f, v2
	s_cbranch_execz .LBB214_400
; %bb.397:                              ;   in Loop: Header=BB214_15 Depth=1
	scratch_load_b64 v[4:5], off, s32 offset:192 th:TH_LOAD_LU ; 8-byte Folded Reload
	s_wait_loadcnt 0x0
	v_dual_lshrrev_b32 v0, 3, v2 :: v_dual_bitop2_b32 v4, 7, v1 bitop3:0x40
	s_mov_b32 s17, exec_lo
	s_wait_xcnt 0x0
	v_cmpx_gt_u32_e32 8, v2
; %bb.398:                              ;   in Loop: Header=BB214_15 Depth=1
	s_delay_alu instid0(VALU_DEP_2) | instskip(NEXT) | instid1(VALU_DEP_1)
	v_clz_i32_u32_e32 v0, v4
	v_min_u32_e32 v0, 32, v0
	s_delay_alu instid0(VALU_DEP_1) | instskip(NEXT) | instid1(VALU_DEP_1)
	v_subrev_nc_u32_e32 v2, 28, v0
	v_lshlrev_b64_e32 v[2:3], v2, v[4:5]
	s_delay_alu instid0(VALU_DEP_1)
	v_dual_sub_nc_u32 v0, 29, v0 :: v_dual_bitop2_b32 v4, 7, v2 bitop3:0x40
; %bb.399:                              ;   in Loop: Header=BB214_15 Depth=1
	s_or_b32 exec_lo, exec_lo, s17
	s_delay_alu instid0(VALU_DEP_1) | instskip(NEXT) | instid1(VALU_DEP_2)
	v_dual_lshlrev_b32 v1, 24, v1 :: v_dual_lshlrev_b32 v2, 20, v4
	v_lshl_add_u32 v0, v0, 23, 0x3c000000
	s_delay_alu instid0(VALU_DEP_2) | instskip(NEXT) | instid1(VALU_DEP_1)
	v_and_b32_e32 v1, 0x80000000, v1
	v_or3_b32 v3, v2, v1, v0
	v_dual_mov_b32 v1, v5 :: v_dual_mov_b32 v2, v5
	s_clause 0x1
	scratch_store_b64 off, v[0:1], s32 offset:192
	scratch_store_b64 off, v[2:3], s32 offset:628
.LBB214_400:                            ;   in Loop: Header=BB214_15 Depth=1
	s_wait_xcnt 0x0
	s_or_b32 exec_lo, exec_lo, s16
.LBB214_401:                            ;   in Loop: Header=BB214_15 Depth=1
	s_delay_alu instid0(SALU_CYCLE_1)
	s_or_b32 exec_lo, exec_lo, s15
.LBB214_402:                            ;   in Loop: Header=BB214_15 Depth=1
	s_delay_alu instid0(SALU_CYCLE_1)
	s_or_b32 exec_lo, exec_lo, s14
	flat_load_b32 v0, v[120:121] offset:1536
	v_mov_b64_e32 v[2:3], 0
	s_mov_b32 s14, exec_lo
	scratch_store_b64 off, v[2:3], s32 offset:644 ; 8-byte Folded Spill
	s_wait_xcnt 0x0
	v_mov_b64_e32 v[2:3], 0
	scratch_store_b64 off, v[2:3], s32 offset:652 ; 8-byte Folded Spill
	s_wait_loadcnt_dscnt 0x0
	v_and_b32_e32 v1, 0xff, v0
	s_wait_xcnt 0x0
	s_delay_alu instid0(VALU_DEP_1)
	v_cmpx_ne_u16_e32 0, v1
	s_cbranch_execz .LBB214_410
; %bb.403:                              ;   in Loop: Header=BB214_15 Depth=1
	v_mov_b64_e32 v[2:3], 0x80000000
	s_mov_b32 s15, exec_lo
	scratch_store_b64 off, v[2:3], s32 offset:652 ; 8-byte Folded Spill
	s_wait_xcnt 0x0
	v_cmpx_ne_u16_e32 0x80, v1
	s_cbranch_execz .LBB214_409
; %bb.404:                              ;   in Loop: Header=BB214_15 Depth=1
	v_mov_b64_e32 v[4:5], 0x7f800001
	v_and_b32_e32 v2, 0x7f, v0
	s_mov_b32 s16, exec_lo
	scratch_store_b64 off, v[4:5], s32 offset:652 ; 8-byte Folded Spill
	s_wait_xcnt 0x0
	v_cmpx_ne_u32_e32 0x7f, v2
	s_cbranch_execz .LBB214_408
; %bb.405:                              ;   in Loop: Header=BB214_15 Depth=1
	scratch_load_b64 v[4:5], off, s32 offset:192 th:TH_LOAD_LU ; 8-byte Folded Reload
	s_wait_loadcnt 0x0
	v_dual_lshrrev_b32 v1, 3, v2 :: v_dual_bitop2_b32 v4, 7, v0 bitop3:0x40
	s_mov_b32 s17, exec_lo
	s_wait_xcnt 0x0
	v_cmpx_gt_u32_e32 8, v2
; %bb.406:                              ;   in Loop: Header=BB214_15 Depth=1
	s_delay_alu instid0(VALU_DEP_2) | instskip(NEXT) | instid1(VALU_DEP_1)
	v_clz_i32_u32_e32 v1, v4
	v_min_u32_e32 v1, 32, v1
	s_delay_alu instid0(VALU_DEP_1) | instskip(NEXT) | instid1(VALU_DEP_1)
	v_subrev_nc_u32_e32 v2, 28, v1
	v_lshlrev_b64_e32 v[2:3], v2, v[4:5]
	s_delay_alu instid0(VALU_DEP_1)
	v_dual_sub_nc_u32 v1, 29, v1 :: v_dual_bitop2_b32 v4, 7, v2 bitop3:0x40
; %bb.407:                              ;   in Loop: Header=BB214_15 Depth=1
	s_or_b32 exec_lo, exec_lo, s17
	v_lshlrev_b32_e32 v2, 24, v0
	s_delay_alu instid0(VALU_DEP_2) | instskip(NEXT) | instid1(VALU_DEP_3)
	v_lshlrev_b32_e32 v3, 20, v4
	v_lshl_add_u32 v1, v1, 23, 0x3c000000
	s_delay_alu instid0(VALU_DEP_3) | instskip(NEXT) | instid1(VALU_DEP_1)
	v_and_b32_e32 v2, 0x80000000, v2
	v_or3_b32 v4, v3, v2, v1
	v_mov_b32_e32 v1, v5
	s_clause 0x1
	scratch_store_b64 off, v[0:1], s32 offset:192
	scratch_store_b64 off, v[4:5], s32 offset:652
.LBB214_408:                            ;   in Loop: Header=BB214_15 Depth=1
	s_wait_xcnt 0x0
	s_or_b32 exec_lo, exec_lo, s16
.LBB214_409:                            ;   in Loop: Header=BB214_15 Depth=1
	s_delay_alu instid0(SALU_CYCLE_1)
	s_or_b32 exec_lo, exec_lo, s15
.LBB214_410:                            ;   in Loop: Header=BB214_15 Depth=1
	s_delay_alu instid0(SALU_CYCLE_1) | instskip(SKIP_2) | instid1(VALU_DEP_1)
	s_or_b32 exec_lo, exec_lo, s14
	v_lshrrev_b16 v1, 8, v0
	s_mov_b32 s14, exec_lo
	v_cmpx_ne_u16_e32 0, v1
	s_cbranch_execz .LBB214_418
; %bb.411:                              ;   in Loop: Header=BB214_15 Depth=1
	v_mov_b64_e32 v[2:3], 0x8000000000000000
	s_mov_b32 s15, exec_lo
	scratch_store_b64 off, v[2:3], s32 offset:644 ; 8-byte Folded Spill
	s_wait_xcnt 0x0
	v_cmpx_ne_u16_e32 0x80, v1
	s_cbranch_execz .LBB214_417
; %bb.412:                              ;   in Loop: Header=BB214_15 Depth=1
	v_and_b32_e32 v1, 0xffff, v1
	v_mov_b64_e32 v[4:5], 0x7f80000100000000
	s_mov_b32 s16, exec_lo
	s_delay_alu instid0(VALU_DEP_2)
	v_and_b32_e32 v2, 0x7f, v1
	scratch_store_b64 off, v[4:5], s32 offset:644 ; 8-byte Folded Spill
	s_wait_xcnt 0x0
	v_cmpx_ne_u32_e32 0x7f, v2
	s_cbranch_execz .LBB214_416
; %bb.413:                              ;   in Loop: Header=BB214_15 Depth=1
	scratch_load_b64 v[4:5], off, s32 offset:192 th:TH_LOAD_LU ; 8-byte Folded Reload
	s_wait_loadcnt 0x0
	v_dual_lshrrev_b32 v1, 3, v2 :: v_dual_bitop2_b32 v4, 7, v1 bitop3:0x40
	s_mov_b32 s17, exec_lo
	s_wait_xcnt 0x0
	v_cmpx_gt_u32_e32 8, v2
; %bb.414:                              ;   in Loop: Header=BB214_15 Depth=1
	s_delay_alu instid0(VALU_DEP_2) | instskip(NEXT) | instid1(VALU_DEP_1)
	v_clz_i32_u32_e32 v1, v4
	v_min_u32_e32 v1, 32, v1
	s_delay_alu instid0(VALU_DEP_1) | instskip(NEXT) | instid1(VALU_DEP_1)
	v_subrev_nc_u32_e32 v2, 28, v1
	v_lshlrev_b64_e32 v[2:3], v2, v[4:5]
	s_delay_alu instid0(VALU_DEP_1)
	v_dual_sub_nc_u32 v1, 29, v1 :: v_dual_bitop2_b32 v4, 7, v2 bitop3:0x40
; %bb.415:                              ;   in Loop: Header=BB214_15 Depth=1
	s_or_b32 exec_lo, exec_lo, s17
	v_lshlrev_b32_e32 v2, 16, v0
	s_delay_alu instid0(VALU_DEP_2) | instskip(NEXT) | instid1(VALU_DEP_3)
	v_lshlrev_b32_e32 v3, 20, v4
	v_lshl_add_u32 v1, v1, 23, 0x3c000000
	s_delay_alu instid0(VALU_DEP_3) | instskip(NEXT) | instid1(VALU_DEP_1)
	v_and_b32_e32 v2, 0x80000000, v2
	v_or3_b32 v3, v3, v2, v1
	v_dual_mov_b32 v1, v5 :: v_dual_mov_b32 v2, v5
	s_clause 0x1
	scratch_store_b64 off, v[0:1], s32 offset:192
	scratch_store_b64 off, v[2:3], s32 offset:644
.LBB214_416:                            ;   in Loop: Header=BB214_15 Depth=1
	s_wait_xcnt 0x0
	s_or_b32 exec_lo, exec_lo, s16
.LBB214_417:                            ;   in Loop: Header=BB214_15 Depth=1
	s_delay_alu instid0(SALU_CYCLE_1)
	s_or_b32 exec_lo, exec_lo, s15
.LBB214_418:                            ;   in Loop: Header=BB214_15 Depth=1
	s_delay_alu instid0(SALU_CYCLE_1) | instskip(SKIP_3) | instid1(VALU_DEP_1)
	s_or_b32 exec_lo, exec_lo, s14
	v_mov_b64_e32 v[4:5], 0
	v_lshrrev_b32_e32 v1, 16, v0
	s_mov_b32 s14, exec_lo
	v_and_b32_e32 v2, 0xff, v1
	scratch_store_b64 off, v[4:5], s32 offset:660 ; 8-byte Folded Spill
	s_wait_xcnt 0x0
	v_mov_b64_e32 v[4:5], 0
	scratch_store_b64 off, v[4:5], s32 offset:668 ; 8-byte Folded Spill
	s_wait_xcnt 0x0
	v_cmpx_ne_u16_e32 0, v2
	s_cbranch_execz .LBB214_426
; %bb.419:                              ;   in Loop: Header=BB214_15 Depth=1
	v_cmp_ne_u16_e64 s1, 0x80, v2
	v_mov_b64_e32 v[2:3], 0x80000000
	scratch_store_b64 off, v[2:3], s32 offset:668 ; 8-byte Folded Spill
	s_wait_xcnt 0x0
	s_and_saveexec_b32 s15, s1
	s_cbranch_execz .LBB214_425
; %bb.420:                              ;   in Loop: Header=BB214_15 Depth=1
	v_mov_b64_e32 v[4:5], 0x7f800001
	v_bfe_u32 v3, v0, 16, 7
	s_mov_b32 s16, exec_lo
	scratch_store_b64 off, v[4:5], s32 offset:668 ; 8-byte Folded Spill
	s_wait_xcnt 0x0
	v_cmpx_ne_u32_e32 0x7f, v3
	s_cbranch_execz .LBB214_424
; %bb.421:                              ;   in Loop: Header=BB214_15 Depth=1
	scratch_load_b64 v[6:7], off, s32 offset:192 th:TH_LOAD_LU ; 8-byte Folded Reload
	s_wait_loadcnt 0x0
	v_dual_lshrrev_b32 v2, 3, v3 :: v_dual_bitop2_b32 v6, 7, v1 bitop3:0x40
	s_mov_b32 s17, exec_lo
	s_wait_xcnt 0x0
	v_cmpx_gt_u32_e32 8, v3
; %bb.422:                              ;   in Loop: Header=BB214_15 Depth=1
	s_delay_alu instid0(VALU_DEP_2) | instskip(NEXT) | instid1(VALU_DEP_1)
	v_clz_i32_u32_e32 v2, v6
	v_min_u32_e32 v2, 32, v2
	s_delay_alu instid0(VALU_DEP_1) | instskip(NEXT) | instid1(VALU_DEP_1)
	v_subrev_nc_u32_e32 v3, 28, v2
	v_lshlrev_b64_e32 v[4:5], v3, v[6:7]
	s_delay_alu instid0(VALU_DEP_1)
	v_dual_sub_nc_u32 v2, 29, v2 :: v_dual_bitop2_b32 v6, 7, v4 bitop3:0x40
; %bb.423:                              ;   in Loop: Header=BB214_15 Depth=1
	s_or_b32 exec_lo, exec_lo, s17
	s_delay_alu instid0(VALU_DEP_1) | instskip(NEXT) | instid1(VALU_DEP_2)
	v_dual_lshlrev_b32 v1, 24, v1 :: v_dual_lshlrev_b32 v3, 20, v6
	v_lshl_add_u32 v2, v2, 23, 0x3c000000
	s_delay_alu instid0(VALU_DEP_2) | instskip(NEXT) | instid1(VALU_DEP_1)
	v_and_b32_e32 v1, 0x80000000, v1
	v_or3_b32 v6, v3, v1, v2
	v_mov_b32_e32 v1, v7
	s_clause 0x1
	scratch_store_b64 off, v[0:1], s32 offset:192
	scratch_store_b64 off, v[6:7], s32 offset:668
.LBB214_424:                            ;   in Loop: Header=BB214_15 Depth=1
	s_wait_xcnt 0x0
	s_or_b32 exec_lo, exec_lo, s16
.LBB214_425:                            ;   in Loop: Header=BB214_15 Depth=1
	s_delay_alu instid0(SALU_CYCLE_1)
	s_or_b32 exec_lo, exec_lo, s15
.LBB214_426:                            ;   in Loop: Header=BB214_15 Depth=1
	s_delay_alu instid0(SALU_CYCLE_1) | instskip(NEXT) | instid1(SALU_CYCLE_1)
	s_or_b32 exec_lo, exec_lo, s14
	s_mov_b32 s14, exec_lo
	v_cmpx_lt_u32_e32 0xffffff, v0
	s_cbranch_execz .LBB214_434
; %bb.427:                              ;   in Loop: Header=BB214_15 Depth=1
	v_mov_b64_e32 v[2:3], 0x8000000000000000
	v_lshrrev_b32_e32 v1, 24, v0
	s_mov_b32 s15, exec_lo
	scratch_store_b64 off, v[2:3], s32 offset:660 ; 8-byte Folded Spill
	s_wait_xcnt 0x0
	v_cmpx_ne_u32_e32 0x80, v1
	s_cbranch_execz .LBB214_433
; %bb.428:                              ;   in Loop: Header=BB214_15 Depth=1
	v_mov_b64_e32 v[4:5], 0x7f80000100000000
	v_bfe_u32 v2, v0, 24, 7
	s_mov_b32 s16, exec_lo
	scratch_store_b64 off, v[4:5], s32 offset:660 ; 8-byte Folded Spill
	s_wait_xcnt 0x0
	v_cmpx_ne_u32_e32 0x7f, v2
	s_cbranch_execz .LBB214_432
; %bb.429:                              ;   in Loop: Header=BB214_15 Depth=1
	scratch_load_b64 v[4:5], off, s32 offset:192 th:TH_LOAD_LU ; 8-byte Folded Reload
	s_wait_loadcnt 0x0
	v_dual_lshrrev_b32 v0, 3, v2 :: v_dual_bitop2_b32 v4, 7, v1 bitop3:0x40
	s_mov_b32 s17, exec_lo
	s_wait_xcnt 0x0
	v_cmpx_gt_u32_e32 8, v2
; %bb.430:                              ;   in Loop: Header=BB214_15 Depth=1
	s_delay_alu instid0(VALU_DEP_2) | instskip(NEXT) | instid1(VALU_DEP_1)
	v_clz_i32_u32_e32 v0, v4
	v_min_u32_e32 v0, 32, v0
	s_delay_alu instid0(VALU_DEP_1) | instskip(NEXT) | instid1(VALU_DEP_1)
	v_subrev_nc_u32_e32 v2, 28, v0
	v_lshlrev_b64_e32 v[2:3], v2, v[4:5]
	s_delay_alu instid0(VALU_DEP_1)
	v_dual_sub_nc_u32 v0, 29, v0 :: v_dual_bitop2_b32 v4, 7, v2 bitop3:0x40
; %bb.431:                              ;   in Loop: Header=BB214_15 Depth=1
	s_or_b32 exec_lo, exec_lo, s17
	s_delay_alu instid0(VALU_DEP_1) | instskip(NEXT) | instid1(VALU_DEP_2)
	v_dual_lshlrev_b32 v1, 24, v1 :: v_dual_lshlrev_b32 v2, 20, v4
	v_lshl_add_u32 v0, v0, 23, 0x3c000000
	s_delay_alu instid0(VALU_DEP_2) | instskip(NEXT) | instid1(VALU_DEP_1)
	v_and_b32_e32 v1, 0x80000000, v1
	v_or3_b32 v3, v2, v1, v0
	v_dual_mov_b32 v1, v5 :: v_dual_mov_b32 v2, v5
	s_clause 0x1
	scratch_store_b64 off, v[0:1], s32 offset:192
	scratch_store_b64 off, v[2:3], s32 offset:660
.LBB214_432:                            ;   in Loop: Header=BB214_15 Depth=1
	s_wait_xcnt 0x0
	s_or_b32 exec_lo, exec_lo, s16
.LBB214_433:                            ;   in Loop: Header=BB214_15 Depth=1
	s_delay_alu instid0(SALU_CYCLE_1)
	s_or_b32 exec_lo, exec_lo, s15
.LBB214_434:                            ;   in Loop: Header=BB214_15 Depth=1
	s_delay_alu instid0(SALU_CYCLE_1)
	s_or_b32 exec_lo, exec_lo, s14
	flat_load_b32 v0, v[120:121] offset:1540
	v_mov_b64_e32 v[2:3], 0
	s_mov_b32 s14, exec_lo
	scratch_store_b64 off, v[2:3], s32 offset:676 ; 8-byte Folded Spill
	s_wait_xcnt 0x0
	v_mov_b64_e32 v[2:3], 0
	scratch_store_b64 off, v[2:3], s32 offset:684 ; 8-byte Folded Spill
	s_wait_loadcnt_dscnt 0x0
	v_and_b32_e32 v1, 0xff, v0
	s_wait_xcnt 0x0
	s_delay_alu instid0(VALU_DEP_1)
	v_cmpx_ne_u16_e32 0, v1
	s_cbranch_execz .LBB214_442
; %bb.435:                              ;   in Loop: Header=BB214_15 Depth=1
	v_mov_b64_e32 v[2:3], 0x80000000
	s_mov_b32 s15, exec_lo
	scratch_store_b64 off, v[2:3], s32 offset:684 ; 8-byte Folded Spill
	s_wait_xcnt 0x0
	v_cmpx_ne_u16_e32 0x80, v1
	s_cbranch_execz .LBB214_441
; %bb.436:                              ;   in Loop: Header=BB214_15 Depth=1
	v_mov_b64_e32 v[4:5], 0x7f800001
	v_and_b32_e32 v2, 0x7f, v0
	s_mov_b32 s16, exec_lo
	scratch_store_b64 off, v[4:5], s32 offset:684 ; 8-byte Folded Spill
	s_wait_xcnt 0x0
	v_cmpx_ne_u32_e32 0x7f, v2
	s_cbranch_execz .LBB214_440
; %bb.437:                              ;   in Loop: Header=BB214_15 Depth=1
	scratch_load_b64 v[4:5], off, s32 offset:192 th:TH_LOAD_LU ; 8-byte Folded Reload
	s_wait_loadcnt 0x0
	v_dual_lshrrev_b32 v1, 3, v2 :: v_dual_bitop2_b32 v4, 7, v0 bitop3:0x40
	s_mov_b32 s17, exec_lo
	s_wait_xcnt 0x0
	v_cmpx_gt_u32_e32 8, v2
; %bb.438:                              ;   in Loop: Header=BB214_15 Depth=1
	s_delay_alu instid0(VALU_DEP_2) | instskip(NEXT) | instid1(VALU_DEP_1)
	v_clz_i32_u32_e32 v1, v4
	v_min_u32_e32 v1, 32, v1
	s_delay_alu instid0(VALU_DEP_1) | instskip(NEXT) | instid1(VALU_DEP_1)
	v_subrev_nc_u32_e32 v2, 28, v1
	v_lshlrev_b64_e32 v[2:3], v2, v[4:5]
	s_delay_alu instid0(VALU_DEP_1)
	v_dual_sub_nc_u32 v1, 29, v1 :: v_dual_bitop2_b32 v4, 7, v2 bitop3:0x40
; %bb.439:                              ;   in Loop: Header=BB214_15 Depth=1
	s_or_b32 exec_lo, exec_lo, s17
	v_lshlrev_b32_e32 v2, 24, v0
	s_delay_alu instid0(VALU_DEP_2) | instskip(NEXT) | instid1(VALU_DEP_3)
	v_lshlrev_b32_e32 v3, 20, v4
	v_lshl_add_u32 v1, v1, 23, 0x3c000000
	s_delay_alu instid0(VALU_DEP_3) | instskip(NEXT) | instid1(VALU_DEP_1)
	v_and_b32_e32 v2, 0x80000000, v2
	v_or3_b32 v4, v3, v2, v1
	v_mov_b32_e32 v1, v5
	s_clause 0x1
	scratch_store_b64 off, v[0:1], s32 offset:192
	scratch_store_b64 off, v[4:5], s32 offset:684
.LBB214_440:                            ;   in Loop: Header=BB214_15 Depth=1
	s_wait_xcnt 0x0
	s_or_b32 exec_lo, exec_lo, s16
.LBB214_441:                            ;   in Loop: Header=BB214_15 Depth=1
	s_delay_alu instid0(SALU_CYCLE_1)
	s_or_b32 exec_lo, exec_lo, s15
.LBB214_442:                            ;   in Loop: Header=BB214_15 Depth=1
	s_delay_alu instid0(SALU_CYCLE_1) | instskip(SKIP_2) | instid1(VALU_DEP_1)
	s_or_b32 exec_lo, exec_lo, s14
	v_lshrrev_b16 v1, 8, v0
	s_mov_b32 s14, exec_lo
	v_cmpx_ne_u16_e32 0, v1
	s_cbranch_execz .LBB214_450
; %bb.443:                              ;   in Loop: Header=BB214_15 Depth=1
	v_mov_b64_e32 v[2:3], 0x8000000000000000
	s_mov_b32 s15, exec_lo
	scratch_store_b64 off, v[2:3], s32 offset:676 ; 8-byte Folded Spill
	s_wait_xcnt 0x0
	v_cmpx_ne_u16_e32 0x80, v1
	s_cbranch_execz .LBB214_449
; %bb.444:                              ;   in Loop: Header=BB214_15 Depth=1
	v_and_b32_e32 v1, 0xffff, v1
	v_mov_b64_e32 v[4:5], 0x7f80000100000000
	s_mov_b32 s16, exec_lo
	s_delay_alu instid0(VALU_DEP_2)
	v_and_b32_e32 v2, 0x7f, v1
	scratch_store_b64 off, v[4:5], s32 offset:676 ; 8-byte Folded Spill
	s_wait_xcnt 0x0
	v_cmpx_ne_u32_e32 0x7f, v2
	s_cbranch_execz .LBB214_448
; %bb.445:                              ;   in Loop: Header=BB214_15 Depth=1
	scratch_load_b64 v[4:5], off, s32 offset:192 th:TH_LOAD_LU ; 8-byte Folded Reload
	s_wait_loadcnt 0x0
	v_dual_lshrrev_b32 v1, 3, v2 :: v_dual_bitop2_b32 v4, 7, v1 bitop3:0x40
	s_mov_b32 s17, exec_lo
	s_wait_xcnt 0x0
	v_cmpx_gt_u32_e32 8, v2
; %bb.446:                              ;   in Loop: Header=BB214_15 Depth=1
	s_delay_alu instid0(VALU_DEP_2) | instskip(NEXT) | instid1(VALU_DEP_1)
	v_clz_i32_u32_e32 v1, v4
	v_min_u32_e32 v1, 32, v1
	s_delay_alu instid0(VALU_DEP_1) | instskip(NEXT) | instid1(VALU_DEP_1)
	v_subrev_nc_u32_e32 v2, 28, v1
	v_lshlrev_b64_e32 v[2:3], v2, v[4:5]
	s_delay_alu instid0(VALU_DEP_1)
	v_dual_sub_nc_u32 v1, 29, v1 :: v_dual_bitop2_b32 v4, 7, v2 bitop3:0x40
; %bb.447:                              ;   in Loop: Header=BB214_15 Depth=1
	s_or_b32 exec_lo, exec_lo, s17
	v_lshlrev_b32_e32 v2, 16, v0
	s_delay_alu instid0(VALU_DEP_2) | instskip(NEXT) | instid1(VALU_DEP_3)
	v_lshlrev_b32_e32 v3, 20, v4
	v_lshl_add_u32 v1, v1, 23, 0x3c000000
	s_delay_alu instid0(VALU_DEP_3) | instskip(NEXT) | instid1(VALU_DEP_1)
	v_and_b32_e32 v2, 0x80000000, v2
	v_or3_b32 v3, v3, v2, v1
	v_dual_mov_b32 v1, v5 :: v_dual_mov_b32 v2, v5
	s_clause 0x1
	scratch_store_b64 off, v[0:1], s32 offset:192
	scratch_store_b64 off, v[2:3], s32 offset:676
.LBB214_448:                            ;   in Loop: Header=BB214_15 Depth=1
	s_wait_xcnt 0x0
	s_or_b32 exec_lo, exec_lo, s16
.LBB214_449:                            ;   in Loop: Header=BB214_15 Depth=1
	s_delay_alu instid0(SALU_CYCLE_1)
	s_or_b32 exec_lo, exec_lo, s15
.LBB214_450:                            ;   in Loop: Header=BB214_15 Depth=1
	s_delay_alu instid0(SALU_CYCLE_1) | instskip(SKIP_3) | instid1(VALU_DEP_1)
	s_or_b32 exec_lo, exec_lo, s14
	v_mov_b64_e32 v[4:5], 0
	v_lshrrev_b32_e32 v1, 16, v0
	s_mov_b32 s14, exec_lo
	v_and_b32_e32 v2, 0xff, v1
	scratch_store_b64 off, v[4:5], s32 offset:692 ; 8-byte Folded Spill
	s_wait_xcnt 0x0
	v_mov_b64_e32 v[4:5], 0
	scratch_store_b64 off, v[4:5], s32 offset:700 ; 8-byte Folded Spill
	s_wait_xcnt 0x0
	v_cmpx_ne_u16_e32 0, v2
	s_cbranch_execz .LBB214_458
; %bb.451:                              ;   in Loop: Header=BB214_15 Depth=1
	v_cmp_ne_u16_e64 s1, 0x80, v2
	v_mov_b64_e32 v[2:3], 0x80000000
	scratch_store_b64 off, v[2:3], s32 offset:700 ; 8-byte Folded Spill
	s_wait_xcnt 0x0
	s_and_saveexec_b32 s15, s1
	s_cbranch_execz .LBB214_457
; %bb.452:                              ;   in Loop: Header=BB214_15 Depth=1
	v_mov_b64_e32 v[4:5], 0x7f800001
	v_bfe_u32 v3, v0, 16, 7
	s_mov_b32 s16, exec_lo
	scratch_store_b64 off, v[4:5], s32 offset:700 ; 8-byte Folded Spill
	s_wait_xcnt 0x0
	v_cmpx_ne_u32_e32 0x7f, v3
	s_cbranch_execz .LBB214_456
; %bb.453:                              ;   in Loop: Header=BB214_15 Depth=1
	scratch_load_b64 v[6:7], off, s32 offset:192 th:TH_LOAD_LU ; 8-byte Folded Reload
	s_wait_loadcnt 0x0
	v_dual_lshrrev_b32 v2, 3, v3 :: v_dual_bitop2_b32 v6, 7, v1 bitop3:0x40
	s_mov_b32 s17, exec_lo
	s_wait_xcnt 0x0
	v_cmpx_gt_u32_e32 8, v3
; %bb.454:                              ;   in Loop: Header=BB214_15 Depth=1
	s_delay_alu instid0(VALU_DEP_2) | instskip(NEXT) | instid1(VALU_DEP_1)
	v_clz_i32_u32_e32 v2, v6
	v_min_u32_e32 v2, 32, v2
	s_delay_alu instid0(VALU_DEP_1) | instskip(NEXT) | instid1(VALU_DEP_1)
	v_subrev_nc_u32_e32 v3, 28, v2
	v_lshlrev_b64_e32 v[4:5], v3, v[6:7]
	s_delay_alu instid0(VALU_DEP_1)
	v_dual_sub_nc_u32 v2, 29, v2 :: v_dual_bitop2_b32 v6, 7, v4 bitop3:0x40
; %bb.455:                              ;   in Loop: Header=BB214_15 Depth=1
	s_or_b32 exec_lo, exec_lo, s17
	s_delay_alu instid0(VALU_DEP_1) | instskip(NEXT) | instid1(VALU_DEP_2)
	v_dual_lshlrev_b32 v1, 24, v1 :: v_dual_lshlrev_b32 v3, 20, v6
	v_lshl_add_u32 v2, v2, 23, 0x3c000000
	s_delay_alu instid0(VALU_DEP_2) | instskip(NEXT) | instid1(VALU_DEP_1)
	v_and_b32_e32 v1, 0x80000000, v1
	v_or3_b32 v6, v3, v1, v2
	v_mov_b32_e32 v1, v7
	s_clause 0x1
	scratch_store_b64 off, v[0:1], s32 offset:192
	scratch_store_b64 off, v[6:7], s32 offset:700
.LBB214_456:                            ;   in Loop: Header=BB214_15 Depth=1
	s_wait_xcnt 0x0
	s_or_b32 exec_lo, exec_lo, s16
.LBB214_457:                            ;   in Loop: Header=BB214_15 Depth=1
	s_delay_alu instid0(SALU_CYCLE_1)
	s_or_b32 exec_lo, exec_lo, s15
.LBB214_458:                            ;   in Loop: Header=BB214_15 Depth=1
	s_delay_alu instid0(SALU_CYCLE_1) | instskip(NEXT) | instid1(SALU_CYCLE_1)
	s_or_b32 exec_lo, exec_lo, s14
	s_mov_b32 s14, exec_lo
	v_cmpx_lt_u32_e32 0xffffff, v0
	s_cbranch_execz .LBB214_466
; %bb.459:                              ;   in Loop: Header=BB214_15 Depth=1
	v_mov_b64_e32 v[2:3], 0x8000000000000000
	v_lshrrev_b32_e32 v1, 24, v0
	s_mov_b32 s15, exec_lo
	scratch_store_b64 off, v[2:3], s32 offset:692 ; 8-byte Folded Spill
	s_wait_xcnt 0x0
	v_cmpx_ne_u32_e32 0x80, v1
	s_cbranch_execz .LBB214_465
; %bb.460:                              ;   in Loop: Header=BB214_15 Depth=1
	v_mov_b64_e32 v[4:5], 0x7f80000100000000
	v_bfe_u32 v2, v0, 24, 7
	s_mov_b32 s16, exec_lo
	scratch_store_b64 off, v[4:5], s32 offset:692 ; 8-byte Folded Spill
	s_wait_xcnt 0x0
	v_cmpx_ne_u32_e32 0x7f, v2
	s_cbranch_execz .LBB214_464
; %bb.461:                              ;   in Loop: Header=BB214_15 Depth=1
	scratch_load_b64 v[4:5], off, s32 offset:192 th:TH_LOAD_LU ; 8-byte Folded Reload
	s_wait_loadcnt 0x0
	v_dual_lshrrev_b32 v0, 3, v2 :: v_dual_bitop2_b32 v4, 7, v1 bitop3:0x40
	s_mov_b32 s17, exec_lo
	s_wait_xcnt 0x0
	v_cmpx_gt_u32_e32 8, v2
; %bb.462:                              ;   in Loop: Header=BB214_15 Depth=1
	s_delay_alu instid0(VALU_DEP_2) | instskip(NEXT) | instid1(VALU_DEP_1)
	v_clz_i32_u32_e32 v0, v4
	v_min_u32_e32 v0, 32, v0
	s_delay_alu instid0(VALU_DEP_1) | instskip(NEXT) | instid1(VALU_DEP_1)
	v_subrev_nc_u32_e32 v2, 28, v0
	v_lshlrev_b64_e32 v[2:3], v2, v[4:5]
	s_delay_alu instid0(VALU_DEP_1)
	v_dual_sub_nc_u32 v0, 29, v0 :: v_dual_bitop2_b32 v4, 7, v2 bitop3:0x40
; %bb.463:                              ;   in Loop: Header=BB214_15 Depth=1
	s_or_b32 exec_lo, exec_lo, s17
	s_delay_alu instid0(VALU_DEP_1) | instskip(NEXT) | instid1(VALU_DEP_2)
	v_dual_lshlrev_b32 v1, 24, v1 :: v_dual_lshlrev_b32 v2, 20, v4
	v_lshl_add_u32 v0, v0, 23, 0x3c000000
	s_delay_alu instid0(VALU_DEP_2) | instskip(NEXT) | instid1(VALU_DEP_1)
	v_and_b32_e32 v1, 0x80000000, v1
	v_or3_b32 v3, v2, v1, v0
	v_dual_mov_b32 v1, v5 :: v_dual_mov_b32 v2, v5
	s_clause 0x1
	scratch_store_b64 off, v[0:1], s32 offset:192
	scratch_store_b64 off, v[2:3], s32 offset:692
.LBB214_464:                            ;   in Loop: Header=BB214_15 Depth=1
	s_wait_xcnt 0x0
	s_or_b32 exec_lo, exec_lo, s16
.LBB214_465:                            ;   in Loop: Header=BB214_15 Depth=1
	s_delay_alu instid0(SALU_CYCLE_1)
	s_or_b32 exec_lo, exec_lo, s15
.LBB214_466:                            ;   in Loop: Header=BB214_15 Depth=1
	s_delay_alu instid0(SALU_CYCLE_1)
	s_or_b32 exec_lo, exec_lo, s14
	flat_load_b32 v0, v[120:121] offset:1544
	v_mov_b64_e32 v[2:3], 0
	s_mov_b32 s14, exec_lo
	scratch_store_b64 off, v[2:3], s32 offset:708 ; 8-byte Folded Spill
	s_wait_xcnt 0x0
	v_mov_b64_e32 v[2:3], 0
	scratch_store_b64 off, v[2:3], s32 offset:716 ; 8-byte Folded Spill
	s_wait_loadcnt_dscnt 0x0
	v_and_b32_e32 v1, 0xff, v0
	s_wait_xcnt 0x0
	s_delay_alu instid0(VALU_DEP_1)
	v_cmpx_ne_u16_e32 0, v1
	s_cbranch_execz .LBB214_474
; %bb.467:                              ;   in Loop: Header=BB214_15 Depth=1
	v_mov_b64_e32 v[2:3], 0x80000000
	s_mov_b32 s15, exec_lo
	scratch_store_b64 off, v[2:3], s32 offset:716 ; 8-byte Folded Spill
	s_wait_xcnt 0x0
	v_cmpx_ne_u16_e32 0x80, v1
	s_cbranch_execz .LBB214_473
; %bb.468:                              ;   in Loop: Header=BB214_15 Depth=1
	v_mov_b64_e32 v[4:5], 0x7f800001
	v_and_b32_e32 v2, 0x7f, v0
	s_mov_b32 s16, exec_lo
	scratch_store_b64 off, v[4:5], s32 offset:716 ; 8-byte Folded Spill
	s_wait_xcnt 0x0
	v_cmpx_ne_u32_e32 0x7f, v2
	s_cbranch_execz .LBB214_472
; %bb.469:                              ;   in Loop: Header=BB214_15 Depth=1
	scratch_load_b64 v[4:5], off, s32 offset:192 th:TH_LOAD_LU ; 8-byte Folded Reload
	s_wait_loadcnt 0x0
	v_dual_lshrrev_b32 v1, 3, v2 :: v_dual_bitop2_b32 v4, 7, v0 bitop3:0x40
	s_mov_b32 s17, exec_lo
	s_wait_xcnt 0x0
	v_cmpx_gt_u32_e32 8, v2
; %bb.470:                              ;   in Loop: Header=BB214_15 Depth=1
	s_delay_alu instid0(VALU_DEP_2) | instskip(NEXT) | instid1(VALU_DEP_1)
	v_clz_i32_u32_e32 v1, v4
	v_min_u32_e32 v1, 32, v1
	s_delay_alu instid0(VALU_DEP_1) | instskip(NEXT) | instid1(VALU_DEP_1)
	v_subrev_nc_u32_e32 v2, 28, v1
	v_lshlrev_b64_e32 v[2:3], v2, v[4:5]
	s_delay_alu instid0(VALU_DEP_1)
	v_dual_sub_nc_u32 v1, 29, v1 :: v_dual_bitop2_b32 v4, 7, v2 bitop3:0x40
; %bb.471:                              ;   in Loop: Header=BB214_15 Depth=1
	s_or_b32 exec_lo, exec_lo, s17
	v_lshlrev_b32_e32 v2, 24, v0
	s_delay_alu instid0(VALU_DEP_2) | instskip(NEXT) | instid1(VALU_DEP_3)
	v_lshlrev_b32_e32 v3, 20, v4
	v_lshl_add_u32 v1, v1, 23, 0x3c000000
	s_delay_alu instid0(VALU_DEP_3) | instskip(NEXT) | instid1(VALU_DEP_1)
	v_and_b32_e32 v2, 0x80000000, v2
	v_or3_b32 v4, v3, v2, v1
	v_mov_b32_e32 v1, v5
	s_clause 0x1
	scratch_store_b64 off, v[0:1], s32 offset:192
	scratch_store_b64 off, v[4:5], s32 offset:716
.LBB214_472:                            ;   in Loop: Header=BB214_15 Depth=1
	s_wait_xcnt 0x0
	s_or_b32 exec_lo, exec_lo, s16
.LBB214_473:                            ;   in Loop: Header=BB214_15 Depth=1
	s_delay_alu instid0(SALU_CYCLE_1)
	s_or_b32 exec_lo, exec_lo, s15
.LBB214_474:                            ;   in Loop: Header=BB214_15 Depth=1
	s_delay_alu instid0(SALU_CYCLE_1) | instskip(SKIP_2) | instid1(VALU_DEP_1)
	s_or_b32 exec_lo, exec_lo, s14
	v_lshrrev_b16 v1, 8, v0
	s_mov_b32 s14, exec_lo
	v_cmpx_ne_u16_e32 0, v1
	s_cbranch_execz .LBB214_482
; %bb.475:                              ;   in Loop: Header=BB214_15 Depth=1
	v_mov_b64_e32 v[2:3], 0x8000000000000000
	s_mov_b32 s15, exec_lo
	scratch_store_b64 off, v[2:3], s32 offset:708 ; 8-byte Folded Spill
	s_wait_xcnt 0x0
	v_cmpx_ne_u16_e32 0x80, v1
	s_cbranch_execz .LBB214_481
; %bb.476:                              ;   in Loop: Header=BB214_15 Depth=1
	v_and_b32_e32 v1, 0xffff, v1
	v_mov_b64_e32 v[4:5], 0x7f80000100000000
	s_mov_b32 s16, exec_lo
	s_delay_alu instid0(VALU_DEP_2)
	v_and_b32_e32 v2, 0x7f, v1
	scratch_store_b64 off, v[4:5], s32 offset:708 ; 8-byte Folded Spill
	s_wait_xcnt 0x0
	v_cmpx_ne_u32_e32 0x7f, v2
	s_cbranch_execz .LBB214_480
; %bb.477:                              ;   in Loop: Header=BB214_15 Depth=1
	scratch_load_b64 v[4:5], off, s32 offset:192 th:TH_LOAD_LU ; 8-byte Folded Reload
	s_wait_loadcnt 0x0
	v_dual_lshrrev_b32 v1, 3, v2 :: v_dual_bitop2_b32 v4, 7, v1 bitop3:0x40
	s_mov_b32 s17, exec_lo
	s_wait_xcnt 0x0
	v_cmpx_gt_u32_e32 8, v2
; %bb.478:                              ;   in Loop: Header=BB214_15 Depth=1
	s_delay_alu instid0(VALU_DEP_2) | instskip(NEXT) | instid1(VALU_DEP_1)
	v_clz_i32_u32_e32 v1, v4
	v_min_u32_e32 v1, 32, v1
	s_delay_alu instid0(VALU_DEP_1) | instskip(NEXT) | instid1(VALU_DEP_1)
	v_subrev_nc_u32_e32 v2, 28, v1
	v_lshlrev_b64_e32 v[2:3], v2, v[4:5]
	s_delay_alu instid0(VALU_DEP_1)
	v_dual_sub_nc_u32 v1, 29, v1 :: v_dual_bitop2_b32 v4, 7, v2 bitop3:0x40
; %bb.479:                              ;   in Loop: Header=BB214_15 Depth=1
	s_or_b32 exec_lo, exec_lo, s17
	v_lshlrev_b32_e32 v2, 16, v0
	s_delay_alu instid0(VALU_DEP_2) | instskip(NEXT) | instid1(VALU_DEP_3)
	v_lshlrev_b32_e32 v3, 20, v4
	v_lshl_add_u32 v1, v1, 23, 0x3c000000
	s_delay_alu instid0(VALU_DEP_3) | instskip(NEXT) | instid1(VALU_DEP_1)
	v_and_b32_e32 v2, 0x80000000, v2
	v_or3_b32 v3, v3, v2, v1
	v_dual_mov_b32 v1, v5 :: v_dual_mov_b32 v2, v5
	s_clause 0x1
	scratch_store_b64 off, v[0:1], s32 offset:192
	scratch_store_b64 off, v[2:3], s32 offset:708
.LBB214_480:                            ;   in Loop: Header=BB214_15 Depth=1
	s_wait_xcnt 0x0
	s_or_b32 exec_lo, exec_lo, s16
.LBB214_481:                            ;   in Loop: Header=BB214_15 Depth=1
	s_delay_alu instid0(SALU_CYCLE_1)
	s_or_b32 exec_lo, exec_lo, s15
.LBB214_482:                            ;   in Loop: Header=BB214_15 Depth=1
	s_delay_alu instid0(SALU_CYCLE_1) | instskip(SKIP_3) | instid1(VALU_DEP_1)
	s_or_b32 exec_lo, exec_lo, s14
	v_mov_b64_e32 v[4:5], 0
	v_lshrrev_b32_e32 v1, 16, v0
	s_mov_b32 s14, exec_lo
	v_and_b32_e32 v2, 0xff, v1
	scratch_store_b64 off, v[4:5], s32 offset:724 ; 8-byte Folded Spill
	s_wait_xcnt 0x0
	v_mov_b64_e32 v[4:5], 0
	scratch_store_b64 off, v[4:5], s32 offset:732 ; 8-byte Folded Spill
	s_wait_xcnt 0x0
	v_cmpx_ne_u16_e32 0, v2
	s_cbranch_execz .LBB214_490
; %bb.483:                              ;   in Loop: Header=BB214_15 Depth=1
	v_cmp_ne_u16_e64 s1, 0x80, v2
	v_mov_b64_e32 v[2:3], 0x80000000
	scratch_store_b64 off, v[2:3], s32 offset:732 ; 8-byte Folded Spill
	s_wait_xcnt 0x0
	s_and_saveexec_b32 s15, s1
	s_cbranch_execz .LBB214_489
; %bb.484:                              ;   in Loop: Header=BB214_15 Depth=1
	v_mov_b64_e32 v[4:5], 0x7f800001
	v_bfe_u32 v3, v0, 16, 7
	s_mov_b32 s16, exec_lo
	scratch_store_b64 off, v[4:5], s32 offset:732 ; 8-byte Folded Spill
	s_wait_xcnt 0x0
	v_cmpx_ne_u32_e32 0x7f, v3
	s_cbranch_execz .LBB214_488
; %bb.485:                              ;   in Loop: Header=BB214_15 Depth=1
	scratch_load_b64 v[6:7], off, s32 offset:192 th:TH_LOAD_LU ; 8-byte Folded Reload
	s_wait_loadcnt 0x0
	v_dual_lshrrev_b32 v2, 3, v3 :: v_dual_bitop2_b32 v6, 7, v1 bitop3:0x40
	s_mov_b32 s17, exec_lo
	s_wait_xcnt 0x0
	v_cmpx_gt_u32_e32 8, v3
; %bb.486:                              ;   in Loop: Header=BB214_15 Depth=1
	s_delay_alu instid0(VALU_DEP_2) | instskip(NEXT) | instid1(VALU_DEP_1)
	v_clz_i32_u32_e32 v2, v6
	v_min_u32_e32 v2, 32, v2
	s_delay_alu instid0(VALU_DEP_1) | instskip(NEXT) | instid1(VALU_DEP_1)
	v_subrev_nc_u32_e32 v3, 28, v2
	v_lshlrev_b64_e32 v[4:5], v3, v[6:7]
	s_delay_alu instid0(VALU_DEP_1)
	v_dual_sub_nc_u32 v2, 29, v2 :: v_dual_bitop2_b32 v6, 7, v4 bitop3:0x40
; %bb.487:                              ;   in Loop: Header=BB214_15 Depth=1
	s_or_b32 exec_lo, exec_lo, s17
	s_delay_alu instid0(VALU_DEP_1) | instskip(NEXT) | instid1(VALU_DEP_2)
	v_dual_lshlrev_b32 v1, 24, v1 :: v_dual_lshlrev_b32 v3, 20, v6
	v_lshl_add_u32 v2, v2, 23, 0x3c000000
	s_delay_alu instid0(VALU_DEP_2) | instskip(NEXT) | instid1(VALU_DEP_1)
	v_and_b32_e32 v1, 0x80000000, v1
	v_or3_b32 v6, v3, v1, v2
	v_mov_b32_e32 v1, v7
	s_clause 0x1
	scratch_store_b64 off, v[0:1], s32 offset:192
	scratch_store_b64 off, v[6:7], s32 offset:732
.LBB214_488:                            ;   in Loop: Header=BB214_15 Depth=1
	s_wait_xcnt 0x0
	s_or_b32 exec_lo, exec_lo, s16
.LBB214_489:                            ;   in Loop: Header=BB214_15 Depth=1
	s_delay_alu instid0(SALU_CYCLE_1)
	s_or_b32 exec_lo, exec_lo, s15
.LBB214_490:                            ;   in Loop: Header=BB214_15 Depth=1
	s_delay_alu instid0(SALU_CYCLE_1) | instskip(NEXT) | instid1(SALU_CYCLE_1)
	s_or_b32 exec_lo, exec_lo, s14
	s_mov_b32 s14, exec_lo
	v_cmpx_lt_u32_e32 0xffffff, v0
	s_cbranch_execz .LBB214_498
; %bb.491:                              ;   in Loop: Header=BB214_15 Depth=1
	v_mov_b64_e32 v[2:3], 0x8000000000000000
	v_lshrrev_b32_e32 v1, 24, v0
	s_mov_b32 s15, exec_lo
	scratch_store_b64 off, v[2:3], s32 offset:724 ; 8-byte Folded Spill
	s_wait_xcnt 0x0
	v_cmpx_ne_u32_e32 0x80, v1
	s_cbranch_execz .LBB214_497
; %bb.492:                              ;   in Loop: Header=BB214_15 Depth=1
	v_mov_b64_e32 v[4:5], 0x7f80000100000000
	v_bfe_u32 v2, v0, 24, 7
	s_mov_b32 s16, exec_lo
	scratch_store_b64 off, v[4:5], s32 offset:724 ; 8-byte Folded Spill
	s_wait_xcnt 0x0
	v_cmpx_ne_u32_e32 0x7f, v2
	s_cbranch_execz .LBB214_496
; %bb.493:                              ;   in Loop: Header=BB214_15 Depth=1
	scratch_load_b64 v[4:5], off, s32 offset:192 th:TH_LOAD_LU ; 8-byte Folded Reload
	s_wait_loadcnt 0x0
	v_dual_lshrrev_b32 v0, 3, v2 :: v_dual_bitop2_b32 v4, 7, v1 bitop3:0x40
	s_mov_b32 s17, exec_lo
	s_wait_xcnt 0x0
	v_cmpx_gt_u32_e32 8, v2
; %bb.494:                              ;   in Loop: Header=BB214_15 Depth=1
	s_delay_alu instid0(VALU_DEP_2) | instskip(NEXT) | instid1(VALU_DEP_1)
	v_clz_i32_u32_e32 v0, v4
	v_min_u32_e32 v0, 32, v0
	s_delay_alu instid0(VALU_DEP_1) | instskip(NEXT) | instid1(VALU_DEP_1)
	v_subrev_nc_u32_e32 v2, 28, v0
	v_lshlrev_b64_e32 v[2:3], v2, v[4:5]
	s_delay_alu instid0(VALU_DEP_1)
	v_dual_sub_nc_u32 v0, 29, v0 :: v_dual_bitop2_b32 v4, 7, v2 bitop3:0x40
; %bb.495:                              ;   in Loop: Header=BB214_15 Depth=1
	s_or_b32 exec_lo, exec_lo, s17
	s_delay_alu instid0(VALU_DEP_1) | instskip(NEXT) | instid1(VALU_DEP_2)
	v_dual_lshlrev_b32 v1, 24, v1 :: v_dual_lshlrev_b32 v2, 20, v4
	v_lshl_add_u32 v0, v0, 23, 0x3c000000
	s_delay_alu instid0(VALU_DEP_2) | instskip(NEXT) | instid1(VALU_DEP_1)
	v_and_b32_e32 v1, 0x80000000, v1
	v_or3_b32 v3, v2, v1, v0
	v_dual_mov_b32 v1, v5 :: v_dual_mov_b32 v2, v5
	s_clause 0x1
	scratch_store_b64 off, v[0:1], s32 offset:192
	scratch_store_b64 off, v[2:3], s32 offset:724
.LBB214_496:                            ;   in Loop: Header=BB214_15 Depth=1
	s_wait_xcnt 0x0
	s_or_b32 exec_lo, exec_lo, s16
.LBB214_497:                            ;   in Loop: Header=BB214_15 Depth=1
	s_delay_alu instid0(SALU_CYCLE_1)
	s_or_b32 exec_lo, exec_lo, s15
.LBB214_498:                            ;   in Loop: Header=BB214_15 Depth=1
	s_delay_alu instid0(SALU_CYCLE_1)
	s_or_b32 exec_lo, exec_lo, s14
	flat_load_b32 v0, v[120:121] offset:1548
	v_mov_b64_e32 v[2:3], 0
	s_mov_b32 s14, exec_lo
	scratch_store_b64 off, v[2:3], s32 offset:740 ; 8-byte Folded Spill
	s_wait_xcnt 0x0
	v_mov_b64_e32 v[2:3], 0
	scratch_store_b64 off, v[2:3], s32 offset:748 ; 8-byte Folded Spill
	s_wait_loadcnt_dscnt 0x0
	v_and_b32_e32 v1, 0xff, v0
	s_wait_xcnt 0x0
	s_delay_alu instid0(VALU_DEP_1)
	v_cmpx_ne_u16_e32 0, v1
	s_cbranch_execz .LBB214_506
; %bb.499:                              ;   in Loop: Header=BB214_15 Depth=1
	v_mov_b64_e32 v[2:3], 0x80000000
	s_mov_b32 s15, exec_lo
	scratch_store_b64 off, v[2:3], s32 offset:748 ; 8-byte Folded Spill
	s_wait_xcnt 0x0
	v_cmpx_ne_u16_e32 0x80, v1
	s_cbranch_execz .LBB214_505
; %bb.500:                              ;   in Loop: Header=BB214_15 Depth=1
	v_mov_b64_e32 v[4:5], 0x7f800001
	v_and_b32_e32 v2, 0x7f, v0
	s_mov_b32 s16, exec_lo
	scratch_store_b64 off, v[4:5], s32 offset:748 ; 8-byte Folded Spill
	s_wait_xcnt 0x0
	v_cmpx_ne_u32_e32 0x7f, v2
	s_cbranch_execz .LBB214_504
; %bb.501:                              ;   in Loop: Header=BB214_15 Depth=1
	scratch_load_b64 v[4:5], off, s32 offset:192 th:TH_LOAD_LU ; 8-byte Folded Reload
	s_wait_loadcnt 0x0
	v_dual_lshrrev_b32 v1, 3, v2 :: v_dual_bitop2_b32 v4, 7, v0 bitop3:0x40
	s_mov_b32 s17, exec_lo
	s_wait_xcnt 0x0
	v_cmpx_gt_u32_e32 8, v2
; %bb.502:                              ;   in Loop: Header=BB214_15 Depth=1
	s_delay_alu instid0(VALU_DEP_2) | instskip(NEXT) | instid1(VALU_DEP_1)
	v_clz_i32_u32_e32 v1, v4
	v_min_u32_e32 v1, 32, v1
	s_delay_alu instid0(VALU_DEP_1) | instskip(NEXT) | instid1(VALU_DEP_1)
	v_subrev_nc_u32_e32 v2, 28, v1
	v_lshlrev_b64_e32 v[2:3], v2, v[4:5]
	s_delay_alu instid0(VALU_DEP_1)
	v_dual_sub_nc_u32 v1, 29, v1 :: v_dual_bitop2_b32 v4, 7, v2 bitop3:0x40
; %bb.503:                              ;   in Loop: Header=BB214_15 Depth=1
	s_or_b32 exec_lo, exec_lo, s17
	v_lshlrev_b32_e32 v2, 24, v0
	s_delay_alu instid0(VALU_DEP_2) | instskip(NEXT) | instid1(VALU_DEP_3)
	v_lshlrev_b32_e32 v3, 20, v4
	v_lshl_add_u32 v1, v1, 23, 0x3c000000
	s_delay_alu instid0(VALU_DEP_3) | instskip(NEXT) | instid1(VALU_DEP_1)
	v_and_b32_e32 v2, 0x80000000, v2
	v_or3_b32 v4, v3, v2, v1
	v_mov_b32_e32 v1, v5
	s_clause 0x1
	scratch_store_b64 off, v[0:1], s32 offset:192
	scratch_store_b64 off, v[4:5], s32 offset:748
.LBB214_504:                            ;   in Loop: Header=BB214_15 Depth=1
	s_wait_xcnt 0x0
	s_or_b32 exec_lo, exec_lo, s16
.LBB214_505:                            ;   in Loop: Header=BB214_15 Depth=1
	s_delay_alu instid0(SALU_CYCLE_1)
	s_or_b32 exec_lo, exec_lo, s15
.LBB214_506:                            ;   in Loop: Header=BB214_15 Depth=1
	s_delay_alu instid0(SALU_CYCLE_1) | instskip(SKIP_2) | instid1(VALU_DEP_1)
	s_or_b32 exec_lo, exec_lo, s14
	v_lshrrev_b16 v1, 8, v0
	s_mov_b32 s14, exec_lo
	v_cmpx_ne_u16_e32 0, v1
	s_cbranch_execz .LBB214_514
; %bb.507:                              ;   in Loop: Header=BB214_15 Depth=1
	v_mov_b64_e32 v[2:3], 0x8000000000000000
	s_mov_b32 s15, exec_lo
	scratch_store_b64 off, v[2:3], s32 offset:740 ; 8-byte Folded Spill
	s_wait_xcnt 0x0
	v_cmpx_ne_u16_e32 0x80, v1
	s_cbranch_execz .LBB214_513
; %bb.508:                              ;   in Loop: Header=BB214_15 Depth=1
	v_and_b32_e32 v1, 0xffff, v1
	v_mov_b64_e32 v[4:5], 0x7f80000100000000
	s_mov_b32 s16, exec_lo
	s_delay_alu instid0(VALU_DEP_2)
	v_and_b32_e32 v2, 0x7f, v1
	scratch_store_b64 off, v[4:5], s32 offset:740 ; 8-byte Folded Spill
	s_wait_xcnt 0x0
	v_cmpx_ne_u32_e32 0x7f, v2
	s_cbranch_execz .LBB214_512
; %bb.509:                              ;   in Loop: Header=BB214_15 Depth=1
	scratch_load_b64 v[4:5], off, s32 offset:192 th:TH_LOAD_LU ; 8-byte Folded Reload
	s_wait_loadcnt 0x0
	v_dual_lshrrev_b32 v1, 3, v2 :: v_dual_bitop2_b32 v4, 7, v1 bitop3:0x40
	s_mov_b32 s17, exec_lo
	s_wait_xcnt 0x0
	v_cmpx_gt_u32_e32 8, v2
; %bb.510:                              ;   in Loop: Header=BB214_15 Depth=1
	s_delay_alu instid0(VALU_DEP_2) | instskip(NEXT) | instid1(VALU_DEP_1)
	v_clz_i32_u32_e32 v1, v4
	v_min_u32_e32 v1, 32, v1
	s_delay_alu instid0(VALU_DEP_1) | instskip(NEXT) | instid1(VALU_DEP_1)
	v_subrev_nc_u32_e32 v2, 28, v1
	v_lshlrev_b64_e32 v[2:3], v2, v[4:5]
	s_delay_alu instid0(VALU_DEP_1)
	v_dual_sub_nc_u32 v1, 29, v1 :: v_dual_bitop2_b32 v4, 7, v2 bitop3:0x40
; %bb.511:                              ;   in Loop: Header=BB214_15 Depth=1
	s_or_b32 exec_lo, exec_lo, s17
	v_lshlrev_b32_e32 v2, 16, v0
	s_delay_alu instid0(VALU_DEP_2) | instskip(NEXT) | instid1(VALU_DEP_3)
	v_lshlrev_b32_e32 v3, 20, v4
	v_lshl_add_u32 v1, v1, 23, 0x3c000000
	s_delay_alu instid0(VALU_DEP_3) | instskip(NEXT) | instid1(VALU_DEP_1)
	v_and_b32_e32 v2, 0x80000000, v2
	v_or3_b32 v3, v3, v2, v1
	v_dual_mov_b32 v1, v5 :: v_dual_mov_b32 v2, v5
	s_clause 0x1
	scratch_store_b64 off, v[0:1], s32 offset:192
	scratch_store_b64 off, v[2:3], s32 offset:740
.LBB214_512:                            ;   in Loop: Header=BB214_15 Depth=1
	s_wait_xcnt 0x0
	s_or_b32 exec_lo, exec_lo, s16
.LBB214_513:                            ;   in Loop: Header=BB214_15 Depth=1
	s_delay_alu instid0(SALU_CYCLE_1)
	s_or_b32 exec_lo, exec_lo, s15
.LBB214_514:                            ;   in Loop: Header=BB214_15 Depth=1
	s_delay_alu instid0(SALU_CYCLE_1) | instskip(SKIP_3) | instid1(VALU_DEP_1)
	s_or_b32 exec_lo, exec_lo, s14
	v_mov_b64_e32 v[4:5], 0
	v_lshrrev_b32_e32 v1, 16, v0
	s_mov_b32 s14, exec_lo
	v_and_b32_e32 v2, 0xff, v1
	scratch_store_b64 off, v[4:5], s32 offset:756 ; 8-byte Folded Spill
	s_wait_xcnt 0x0
	v_mov_b64_e32 v[4:5], 0
	scratch_store_b64 off, v[4:5], s32 offset:764 ; 8-byte Folded Spill
	s_wait_xcnt 0x0
	v_cmpx_ne_u16_e32 0, v2
	s_cbranch_execz .LBB214_522
; %bb.515:                              ;   in Loop: Header=BB214_15 Depth=1
	v_cmp_ne_u16_e64 s1, 0x80, v2
	v_mov_b64_e32 v[2:3], 0x80000000
	scratch_store_b64 off, v[2:3], s32 offset:764 ; 8-byte Folded Spill
	s_wait_xcnt 0x0
	s_and_saveexec_b32 s15, s1
	s_cbranch_execz .LBB214_521
; %bb.516:                              ;   in Loop: Header=BB214_15 Depth=1
	v_mov_b64_e32 v[4:5], 0x7f800001
	v_bfe_u32 v3, v0, 16, 7
	s_mov_b32 s16, exec_lo
	scratch_store_b64 off, v[4:5], s32 offset:764 ; 8-byte Folded Spill
	s_wait_xcnt 0x0
	v_cmpx_ne_u32_e32 0x7f, v3
	s_cbranch_execz .LBB214_520
; %bb.517:                              ;   in Loop: Header=BB214_15 Depth=1
	scratch_load_b64 v[6:7], off, s32 offset:192 th:TH_LOAD_LU ; 8-byte Folded Reload
	s_wait_loadcnt 0x0
	v_dual_lshrrev_b32 v2, 3, v3 :: v_dual_bitop2_b32 v6, 7, v1 bitop3:0x40
	s_mov_b32 s17, exec_lo
	s_wait_xcnt 0x0
	v_cmpx_gt_u32_e32 8, v3
; %bb.518:                              ;   in Loop: Header=BB214_15 Depth=1
	s_delay_alu instid0(VALU_DEP_2) | instskip(NEXT) | instid1(VALU_DEP_1)
	v_clz_i32_u32_e32 v2, v6
	v_min_u32_e32 v2, 32, v2
	s_delay_alu instid0(VALU_DEP_1) | instskip(NEXT) | instid1(VALU_DEP_1)
	v_subrev_nc_u32_e32 v3, 28, v2
	v_lshlrev_b64_e32 v[4:5], v3, v[6:7]
	s_delay_alu instid0(VALU_DEP_1)
	v_dual_sub_nc_u32 v2, 29, v2 :: v_dual_bitop2_b32 v6, 7, v4 bitop3:0x40
; %bb.519:                              ;   in Loop: Header=BB214_15 Depth=1
	s_or_b32 exec_lo, exec_lo, s17
	s_delay_alu instid0(VALU_DEP_1) | instskip(NEXT) | instid1(VALU_DEP_2)
	v_dual_lshlrev_b32 v1, 24, v1 :: v_dual_lshlrev_b32 v3, 20, v6
	v_lshl_add_u32 v2, v2, 23, 0x3c000000
	s_delay_alu instid0(VALU_DEP_2) | instskip(NEXT) | instid1(VALU_DEP_1)
	v_and_b32_e32 v1, 0x80000000, v1
	v_or3_b32 v6, v3, v1, v2
	v_mov_b32_e32 v1, v7
	s_clause 0x1
	scratch_store_b64 off, v[0:1], s32 offset:192
	scratch_store_b64 off, v[6:7], s32 offset:764
.LBB214_520:                            ;   in Loop: Header=BB214_15 Depth=1
	s_wait_xcnt 0x0
	s_or_b32 exec_lo, exec_lo, s16
.LBB214_521:                            ;   in Loop: Header=BB214_15 Depth=1
	s_delay_alu instid0(SALU_CYCLE_1)
	s_or_b32 exec_lo, exec_lo, s15
.LBB214_522:                            ;   in Loop: Header=BB214_15 Depth=1
	s_delay_alu instid0(SALU_CYCLE_1) | instskip(NEXT) | instid1(SALU_CYCLE_1)
	s_or_b32 exec_lo, exec_lo, s14
	s_mov_b32 s14, exec_lo
	v_cmpx_lt_u32_e32 0xffffff, v0
	s_cbranch_execz .LBB214_530
; %bb.523:                              ;   in Loop: Header=BB214_15 Depth=1
	v_mov_b64_e32 v[2:3], 0x8000000000000000
	v_lshrrev_b32_e32 v1, 24, v0
	s_mov_b32 s15, exec_lo
	scratch_store_b64 off, v[2:3], s32 offset:756 ; 8-byte Folded Spill
	s_wait_xcnt 0x0
	v_cmpx_ne_u32_e32 0x80, v1
	s_cbranch_execz .LBB214_529
; %bb.524:                              ;   in Loop: Header=BB214_15 Depth=1
	v_mov_b64_e32 v[4:5], 0x7f80000100000000
	v_bfe_u32 v2, v0, 24, 7
	s_mov_b32 s16, exec_lo
	scratch_store_b64 off, v[4:5], s32 offset:756 ; 8-byte Folded Spill
	s_wait_xcnt 0x0
	v_cmpx_ne_u32_e32 0x7f, v2
	s_cbranch_execz .LBB214_528
; %bb.525:                              ;   in Loop: Header=BB214_15 Depth=1
	scratch_load_b64 v[4:5], off, s32 offset:192 th:TH_LOAD_LU ; 8-byte Folded Reload
	s_wait_loadcnt 0x0
	v_dual_lshrrev_b32 v0, 3, v2 :: v_dual_bitop2_b32 v4, 7, v1 bitop3:0x40
	s_mov_b32 s17, exec_lo
	s_wait_xcnt 0x0
	v_cmpx_gt_u32_e32 8, v2
; %bb.526:                              ;   in Loop: Header=BB214_15 Depth=1
	s_delay_alu instid0(VALU_DEP_2) | instskip(NEXT) | instid1(VALU_DEP_1)
	v_clz_i32_u32_e32 v0, v4
	v_min_u32_e32 v0, 32, v0
	s_delay_alu instid0(VALU_DEP_1) | instskip(NEXT) | instid1(VALU_DEP_1)
	v_subrev_nc_u32_e32 v2, 28, v0
	v_lshlrev_b64_e32 v[2:3], v2, v[4:5]
	s_delay_alu instid0(VALU_DEP_1)
	v_dual_sub_nc_u32 v0, 29, v0 :: v_dual_bitop2_b32 v4, 7, v2 bitop3:0x40
; %bb.527:                              ;   in Loop: Header=BB214_15 Depth=1
	s_or_b32 exec_lo, exec_lo, s17
	s_delay_alu instid0(VALU_DEP_1) | instskip(NEXT) | instid1(VALU_DEP_2)
	v_dual_lshlrev_b32 v1, 24, v1 :: v_dual_lshlrev_b32 v2, 20, v4
	v_lshl_add_u32 v0, v0, 23, 0x3c000000
	s_delay_alu instid0(VALU_DEP_2) | instskip(NEXT) | instid1(VALU_DEP_1)
	v_and_b32_e32 v1, 0x80000000, v1
	v_or3_b32 v3, v2, v1, v0
	v_dual_mov_b32 v1, v5 :: v_dual_mov_b32 v2, v5
	s_clause 0x1
	scratch_store_b64 off, v[0:1], s32 offset:192
	scratch_store_b64 off, v[2:3], s32 offset:756
.LBB214_528:                            ;   in Loop: Header=BB214_15 Depth=1
	s_wait_xcnt 0x0
	s_or_b32 exec_lo, exec_lo, s16
.LBB214_529:                            ;   in Loop: Header=BB214_15 Depth=1
	s_delay_alu instid0(SALU_CYCLE_1)
	s_or_b32 exec_lo, exec_lo, s15
.LBB214_530:                            ;   in Loop: Header=BB214_15 Depth=1
	s_delay_alu instid0(SALU_CYCLE_1)
	s_or_b32 exec_lo, exec_lo, s14
	flat_load_b32 v0, v[120:121] offset:2048
	v_mov_b64_e32 v[2:3], 0
	s_mov_b32 s14, exec_lo
	scratch_store_b64 off, v[2:3], s32 offset:772 ; 8-byte Folded Spill
	s_wait_xcnt 0x0
	v_mov_b64_e32 v[2:3], 0
	scratch_store_b64 off, v[2:3], s32 offset:780 ; 8-byte Folded Spill
	s_wait_loadcnt_dscnt 0x0
	v_and_b32_e32 v1, 0xff, v0
	s_wait_xcnt 0x0
	s_delay_alu instid0(VALU_DEP_1)
	v_cmpx_ne_u16_e32 0, v1
	s_cbranch_execz .LBB214_538
; %bb.531:                              ;   in Loop: Header=BB214_15 Depth=1
	v_mov_b64_e32 v[2:3], 0x80000000
	s_mov_b32 s15, exec_lo
	scratch_store_b64 off, v[2:3], s32 offset:780 ; 8-byte Folded Spill
	s_wait_xcnt 0x0
	v_cmpx_ne_u16_e32 0x80, v1
	s_cbranch_execz .LBB214_537
; %bb.532:                              ;   in Loop: Header=BB214_15 Depth=1
	v_mov_b64_e32 v[4:5], 0x7f800001
	v_and_b32_e32 v2, 0x7f, v0
	s_mov_b32 s16, exec_lo
	scratch_store_b64 off, v[4:5], s32 offset:780 ; 8-byte Folded Spill
	s_wait_xcnt 0x0
	v_cmpx_ne_u32_e32 0x7f, v2
	s_cbranch_execz .LBB214_536
; %bb.533:                              ;   in Loop: Header=BB214_15 Depth=1
	scratch_load_b64 v[4:5], off, s32 offset:192 th:TH_LOAD_LU ; 8-byte Folded Reload
	s_wait_loadcnt 0x0
	v_dual_lshrrev_b32 v1, 3, v2 :: v_dual_bitop2_b32 v4, 7, v0 bitop3:0x40
	s_mov_b32 s17, exec_lo
	s_wait_xcnt 0x0
	v_cmpx_gt_u32_e32 8, v2
; %bb.534:                              ;   in Loop: Header=BB214_15 Depth=1
	s_delay_alu instid0(VALU_DEP_2) | instskip(NEXT) | instid1(VALU_DEP_1)
	v_clz_i32_u32_e32 v1, v4
	v_min_u32_e32 v1, 32, v1
	s_delay_alu instid0(VALU_DEP_1) | instskip(NEXT) | instid1(VALU_DEP_1)
	v_subrev_nc_u32_e32 v2, 28, v1
	v_lshlrev_b64_e32 v[2:3], v2, v[4:5]
	s_delay_alu instid0(VALU_DEP_1)
	v_dual_sub_nc_u32 v1, 29, v1 :: v_dual_bitop2_b32 v4, 7, v2 bitop3:0x40
; %bb.535:                              ;   in Loop: Header=BB214_15 Depth=1
	s_or_b32 exec_lo, exec_lo, s17
	v_lshlrev_b32_e32 v2, 24, v0
	s_delay_alu instid0(VALU_DEP_2) | instskip(NEXT) | instid1(VALU_DEP_3)
	v_lshlrev_b32_e32 v3, 20, v4
	v_lshl_add_u32 v1, v1, 23, 0x3c000000
	s_delay_alu instid0(VALU_DEP_3) | instskip(NEXT) | instid1(VALU_DEP_1)
	v_and_b32_e32 v2, 0x80000000, v2
	v_or3_b32 v4, v3, v2, v1
	v_mov_b32_e32 v1, v5
	s_clause 0x1
	scratch_store_b64 off, v[0:1], s32 offset:192
	scratch_store_b64 off, v[4:5], s32 offset:780
.LBB214_536:                            ;   in Loop: Header=BB214_15 Depth=1
	s_wait_xcnt 0x0
	s_or_b32 exec_lo, exec_lo, s16
.LBB214_537:                            ;   in Loop: Header=BB214_15 Depth=1
	s_delay_alu instid0(SALU_CYCLE_1)
	s_or_b32 exec_lo, exec_lo, s15
.LBB214_538:                            ;   in Loop: Header=BB214_15 Depth=1
	s_delay_alu instid0(SALU_CYCLE_1) | instskip(SKIP_2) | instid1(VALU_DEP_1)
	s_or_b32 exec_lo, exec_lo, s14
	v_lshrrev_b16 v1, 8, v0
	s_mov_b32 s14, exec_lo
	v_cmpx_ne_u16_e32 0, v1
	s_cbranch_execz .LBB214_546
; %bb.539:                              ;   in Loop: Header=BB214_15 Depth=1
	v_mov_b64_e32 v[2:3], 0x8000000000000000
	s_mov_b32 s15, exec_lo
	scratch_store_b64 off, v[2:3], s32 offset:772 ; 8-byte Folded Spill
	s_wait_xcnt 0x0
	v_cmpx_ne_u16_e32 0x80, v1
	s_cbranch_execz .LBB214_545
; %bb.540:                              ;   in Loop: Header=BB214_15 Depth=1
	v_and_b32_e32 v1, 0xffff, v1
	v_mov_b64_e32 v[4:5], 0x7f80000100000000
	s_mov_b32 s16, exec_lo
	s_delay_alu instid0(VALU_DEP_2)
	v_and_b32_e32 v2, 0x7f, v1
	scratch_store_b64 off, v[4:5], s32 offset:772 ; 8-byte Folded Spill
	s_wait_xcnt 0x0
	v_cmpx_ne_u32_e32 0x7f, v2
	s_cbranch_execz .LBB214_544
; %bb.541:                              ;   in Loop: Header=BB214_15 Depth=1
	scratch_load_b64 v[4:5], off, s32 offset:192 th:TH_LOAD_LU ; 8-byte Folded Reload
	s_wait_loadcnt 0x0
	v_dual_lshrrev_b32 v1, 3, v2 :: v_dual_bitop2_b32 v4, 7, v1 bitop3:0x40
	s_mov_b32 s17, exec_lo
	s_wait_xcnt 0x0
	v_cmpx_gt_u32_e32 8, v2
; %bb.542:                              ;   in Loop: Header=BB214_15 Depth=1
	s_delay_alu instid0(VALU_DEP_2) | instskip(NEXT) | instid1(VALU_DEP_1)
	v_clz_i32_u32_e32 v1, v4
	v_min_u32_e32 v1, 32, v1
	s_delay_alu instid0(VALU_DEP_1) | instskip(NEXT) | instid1(VALU_DEP_1)
	v_subrev_nc_u32_e32 v2, 28, v1
	v_lshlrev_b64_e32 v[2:3], v2, v[4:5]
	s_delay_alu instid0(VALU_DEP_1)
	v_dual_sub_nc_u32 v1, 29, v1 :: v_dual_bitop2_b32 v4, 7, v2 bitop3:0x40
; %bb.543:                              ;   in Loop: Header=BB214_15 Depth=1
	s_or_b32 exec_lo, exec_lo, s17
	v_lshlrev_b32_e32 v2, 16, v0
	s_delay_alu instid0(VALU_DEP_2) | instskip(NEXT) | instid1(VALU_DEP_3)
	v_lshlrev_b32_e32 v3, 20, v4
	v_lshl_add_u32 v1, v1, 23, 0x3c000000
	s_delay_alu instid0(VALU_DEP_3) | instskip(NEXT) | instid1(VALU_DEP_1)
	v_and_b32_e32 v2, 0x80000000, v2
	v_or3_b32 v3, v3, v2, v1
	v_dual_mov_b32 v1, v5 :: v_dual_mov_b32 v2, v5
	s_clause 0x1
	scratch_store_b64 off, v[0:1], s32 offset:192
	scratch_store_b64 off, v[2:3], s32 offset:772
.LBB214_544:                            ;   in Loop: Header=BB214_15 Depth=1
	s_wait_xcnt 0x0
	s_or_b32 exec_lo, exec_lo, s16
.LBB214_545:                            ;   in Loop: Header=BB214_15 Depth=1
	s_delay_alu instid0(SALU_CYCLE_1)
	s_or_b32 exec_lo, exec_lo, s15
.LBB214_546:                            ;   in Loop: Header=BB214_15 Depth=1
	s_delay_alu instid0(SALU_CYCLE_1) | instskip(SKIP_3) | instid1(VALU_DEP_1)
	s_or_b32 exec_lo, exec_lo, s14
	v_mov_b64_e32 v[4:5], 0
	v_lshrrev_b32_e32 v1, 16, v0
	s_mov_b32 s14, exec_lo
	v_and_b32_e32 v2, 0xff, v1
	scratch_store_b64 off, v[4:5], s32 offset:788 ; 8-byte Folded Spill
	s_wait_xcnt 0x0
	v_mov_b64_e32 v[4:5], 0
	scratch_store_b64 off, v[4:5], s32 offset:796 ; 8-byte Folded Spill
	s_wait_xcnt 0x0
	v_cmpx_ne_u16_e32 0, v2
	s_cbranch_execz .LBB214_554
; %bb.547:                              ;   in Loop: Header=BB214_15 Depth=1
	v_cmp_ne_u16_e64 s1, 0x80, v2
	v_mov_b64_e32 v[2:3], 0x80000000
	scratch_store_b64 off, v[2:3], s32 offset:796 ; 8-byte Folded Spill
	s_wait_xcnt 0x0
	s_and_saveexec_b32 s15, s1
	s_cbranch_execz .LBB214_553
; %bb.548:                              ;   in Loop: Header=BB214_15 Depth=1
	v_mov_b64_e32 v[4:5], 0x7f800001
	v_bfe_u32 v3, v0, 16, 7
	s_mov_b32 s16, exec_lo
	scratch_store_b64 off, v[4:5], s32 offset:796 ; 8-byte Folded Spill
	s_wait_xcnt 0x0
	v_cmpx_ne_u32_e32 0x7f, v3
	s_cbranch_execz .LBB214_552
; %bb.549:                              ;   in Loop: Header=BB214_15 Depth=1
	scratch_load_b64 v[6:7], off, s32 offset:192 th:TH_LOAD_LU ; 8-byte Folded Reload
	s_wait_loadcnt 0x0
	v_dual_lshrrev_b32 v2, 3, v3 :: v_dual_bitop2_b32 v6, 7, v1 bitop3:0x40
	s_mov_b32 s17, exec_lo
	s_wait_xcnt 0x0
	v_cmpx_gt_u32_e32 8, v3
; %bb.550:                              ;   in Loop: Header=BB214_15 Depth=1
	s_delay_alu instid0(VALU_DEP_2) | instskip(NEXT) | instid1(VALU_DEP_1)
	v_clz_i32_u32_e32 v2, v6
	v_min_u32_e32 v2, 32, v2
	s_delay_alu instid0(VALU_DEP_1) | instskip(NEXT) | instid1(VALU_DEP_1)
	v_subrev_nc_u32_e32 v3, 28, v2
	v_lshlrev_b64_e32 v[4:5], v3, v[6:7]
	s_delay_alu instid0(VALU_DEP_1)
	v_dual_sub_nc_u32 v2, 29, v2 :: v_dual_bitop2_b32 v6, 7, v4 bitop3:0x40
; %bb.551:                              ;   in Loop: Header=BB214_15 Depth=1
	s_or_b32 exec_lo, exec_lo, s17
	s_delay_alu instid0(VALU_DEP_1) | instskip(NEXT) | instid1(VALU_DEP_2)
	v_dual_lshlrev_b32 v1, 24, v1 :: v_dual_lshlrev_b32 v3, 20, v6
	v_lshl_add_u32 v2, v2, 23, 0x3c000000
	s_delay_alu instid0(VALU_DEP_2) | instskip(NEXT) | instid1(VALU_DEP_1)
	v_and_b32_e32 v1, 0x80000000, v1
	v_or3_b32 v6, v3, v1, v2
	v_mov_b32_e32 v1, v7
	s_clause 0x1
	scratch_store_b64 off, v[0:1], s32 offset:192
	scratch_store_b64 off, v[6:7], s32 offset:796
.LBB214_552:                            ;   in Loop: Header=BB214_15 Depth=1
	s_wait_xcnt 0x0
	s_or_b32 exec_lo, exec_lo, s16
.LBB214_553:                            ;   in Loop: Header=BB214_15 Depth=1
	s_delay_alu instid0(SALU_CYCLE_1)
	s_or_b32 exec_lo, exec_lo, s15
.LBB214_554:                            ;   in Loop: Header=BB214_15 Depth=1
	s_delay_alu instid0(SALU_CYCLE_1) | instskip(NEXT) | instid1(SALU_CYCLE_1)
	s_or_b32 exec_lo, exec_lo, s14
	s_mov_b32 s14, exec_lo
	v_cmpx_lt_u32_e32 0xffffff, v0
	s_cbranch_execz .LBB214_562
; %bb.555:                              ;   in Loop: Header=BB214_15 Depth=1
	v_mov_b64_e32 v[2:3], 0x8000000000000000
	v_lshrrev_b32_e32 v1, 24, v0
	s_mov_b32 s15, exec_lo
	scratch_store_b64 off, v[2:3], s32 offset:788 ; 8-byte Folded Spill
	s_wait_xcnt 0x0
	v_cmpx_ne_u32_e32 0x80, v1
	s_cbranch_execz .LBB214_561
; %bb.556:                              ;   in Loop: Header=BB214_15 Depth=1
	v_mov_b64_e32 v[4:5], 0x7f80000100000000
	v_bfe_u32 v2, v0, 24, 7
	s_mov_b32 s16, exec_lo
	scratch_store_b64 off, v[4:5], s32 offset:788 ; 8-byte Folded Spill
	s_wait_xcnt 0x0
	v_cmpx_ne_u32_e32 0x7f, v2
	s_cbranch_execz .LBB214_560
; %bb.557:                              ;   in Loop: Header=BB214_15 Depth=1
	scratch_load_b64 v[4:5], off, s32 offset:192 th:TH_LOAD_LU ; 8-byte Folded Reload
	s_wait_loadcnt 0x0
	v_dual_lshrrev_b32 v0, 3, v2 :: v_dual_bitop2_b32 v4, 7, v1 bitop3:0x40
	s_mov_b32 s17, exec_lo
	s_wait_xcnt 0x0
	v_cmpx_gt_u32_e32 8, v2
; %bb.558:                              ;   in Loop: Header=BB214_15 Depth=1
	s_delay_alu instid0(VALU_DEP_2) | instskip(NEXT) | instid1(VALU_DEP_1)
	v_clz_i32_u32_e32 v0, v4
	v_min_u32_e32 v0, 32, v0
	s_delay_alu instid0(VALU_DEP_1) | instskip(NEXT) | instid1(VALU_DEP_1)
	v_subrev_nc_u32_e32 v2, 28, v0
	v_lshlrev_b64_e32 v[2:3], v2, v[4:5]
	s_delay_alu instid0(VALU_DEP_1)
	v_dual_sub_nc_u32 v0, 29, v0 :: v_dual_bitop2_b32 v4, 7, v2 bitop3:0x40
; %bb.559:                              ;   in Loop: Header=BB214_15 Depth=1
	s_or_b32 exec_lo, exec_lo, s17
	s_delay_alu instid0(VALU_DEP_1) | instskip(NEXT) | instid1(VALU_DEP_2)
	v_dual_lshlrev_b32 v1, 24, v1 :: v_dual_lshlrev_b32 v2, 20, v4
	v_lshl_add_u32 v0, v0, 23, 0x3c000000
	s_delay_alu instid0(VALU_DEP_2) | instskip(NEXT) | instid1(VALU_DEP_1)
	v_and_b32_e32 v1, 0x80000000, v1
	v_or3_b32 v3, v2, v1, v0
	v_dual_mov_b32 v1, v5 :: v_dual_mov_b32 v2, v5
	s_clause 0x1
	scratch_store_b64 off, v[0:1], s32 offset:192
	scratch_store_b64 off, v[2:3], s32 offset:788
.LBB214_560:                            ;   in Loop: Header=BB214_15 Depth=1
	s_wait_xcnt 0x0
	s_or_b32 exec_lo, exec_lo, s16
.LBB214_561:                            ;   in Loop: Header=BB214_15 Depth=1
	s_delay_alu instid0(SALU_CYCLE_1)
	s_or_b32 exec_lo, exec_lo, s15
.LBB214_562:                            ;   in Loop: Header=BB214_15 Depth=1
	s_delay_alu instid0(SALU_CYCLE_1)
	s_or_b32 exec_lo, exec_lo, s14
	flat_load_b32 v0, v[120:121] offset:2052
	v_mov_b64_e32 v[2:3], 0
	s_mov_b32 s14, exec_lo
	scratch_store_b64 off, v[2:3], s32 offset:804 ; 8-byte Folded Spill
	s_wait_xcnt 0x0
	v_mov_b64_e32 v[2:3], 0
	scratch_store_b64 off, v[2:3], s32 offset:812 ; 8-byte Folded Spill
	s_wait_loadcnt_dscnt 0x0
	v_and_b32_e32 v1, 0xff, v0
	s_wait_xcnt 0x0
	s_delay_alu instid0(VALU_DEP_1)
	v_cmpx_ne_u16_e32 0, v1
	s_cbranch_execz .LBB214_570
; %bb.563:                              ;   in Loop: Header=BB214_15 Depth=1
	v_mov_b64_e32 v[2:3], 0x80000000
	s_mov_b32 s15, exec_lo
	scratch_store_b64 off, v[2:3], s32 offset:812 ; 8-byte Folded Spill
	s_wait_xcnt 0x0
	v_cmpx_ne_u16_e32 0x80, v1
	s_cbranch_execz .LBB214_569
; %bb.564:                              ;   in Loop: Header=BB214_15 Depth=1
	v_mov_b64_e32 v[4:5], 0x7f800001
	v_and_b32_e32 v2, 0x7f, v0
	s_mov_b32 s16, exec_lo
	scratch_store_b64 off, v[4:5], s32 offset:812 ; 8-byte Folded Spill
	s_wait_xcnt 0x0
	v_cmpx_ne_u32_e32 0x7f, v2
	s_cbranch_execz .LBB214_568
; %bb.565:                              ;   in Loop: Header=BB214_15 Depth=1
	scratch_load_b64 v[4:5], off, s32 offset:192 th:TH_LOAD_LU ; 8-byte Folded Reload
	s_wait_loadcnt 0x0
	v_dual_lshrrev_b32 v1, 3, v2 :: v_dual_bitop2_b32 v4, 7, v0 bitop3:0x40
	s_mov_b32 s17, exec_lo
	s_wait_xcnt 0x0
	v_cmpx_gt_u32_e32 8, v2
; %bb.566:                              ;   in Loop: Header=BB214_15 Depth=1
	s_delay_alu instid0(VALU_DEP_2) | instskip(NEXT) | instid1(VALU_DEP_1)
	v_clz_i32_u32_e32 v1, v4
	v_min_u32_e32 v1, 32, v1
	s_delay_alu instid0(VALU_DEP_1) | instskip(NEXT) | instid1(VALU_DEP_1)
	v_subrev_nc_u32_e32 v2, 28, v1
	v_lshlrev_b64_e32 v[2:3], v2, v[4:5]
	s_delay_alu instid0(VALU_DEP_1)
	v_dual_sub_nc_u32 v1, 29, v1 :: v_dual_bitop2_b32 v4, 7, v2 bitop3:0x40
; %bb.567:                              ;   in Loop: Header=BB214_15 Depth=1
	s_or_b32 exec_lo, exec_lo, s17
	v_lshlrev_b32_e32 v2, 24, v0
	s_delay_alu instid0(VALU_DEP_2) | instskip(NEXT) | instid1(VALU_DEP_3)
	v_lshlrev_b32_e32 v3, 20, v4
	v_lshl_add_u32 v1, v1, 23, 0x3c000000
	s_delay_alu instid0(VALU_DEP_3) | instskip(NEXT) | instid1(VALU_DEP_1)
	v_and_b32_e32 v2, 0x80000000, v2
	v_or3_b32 v4, v3, v2, v1
	v_mov_b32_e32 v1, v5
	s_clause 0x1
	scratch_store_b64 off, v[0:1], s32 offset:192
	scratch_store_b64 off, v[4:5], s32 offset:812
.LBB214_568:                            ;   in Loop: Header=BB214_15 Depth=1
	s_wait_xcnt 0x0
	s_or_b32 exec_lo, exec_lo, s16
.LBB214_569:                            ;   in Loop: Header=BB214_15 Depth=1
	s_delay_alu instid0(SALU_CYCLE_1)
	s_or_b32 exec_lo, exec_lo, s15
.LBB214_570:                            ;   in Loop: Header=BB214_15 Depth=1
	s_delay_alu instid0(SALU_CYCLE_1) | instskip(SKIP_2) | instid1(VALU_DEP_1)
	s_or_b32 exec_lo, exec_lo, s14
	v_lshrrev_b16 v1, 8, v0
	s_mov_b32 s14, exec_lo
	v_cmpx_ne_u16_e32 0, v1
	s_cbranch_execz .LBB214_578
; %bb.571:                              ;   in Loop: Header=BB214_15 Depth=1
	v_mov_b64_e32 v[2:3], 0x8000000000000000
	s_mov_b32 s15, exec_lo
	scratch_store_b64 off, v[2:3], s32 offset:804 ; 8-byte Folded Spill
	s_wait_xcnt 0x0
	v_cmpx_ne_u16_e32 0x80, v1
	s_cbranch_execz .LBB214_577
; %bb.572:                              ;   in Loop: Header=BB214_15 Depth=1
	v_and_b32_e32 v1, 0xffff, v1
	v_mov_b64_e32 v[4:5], 0x7f80000100000000
	s_mov_b32 s16, exec_lo
	s_delay_alu instid0(VALU_DEP_2)
	v_and_b32_e32 v2, 0x7f, v1
	scratch_store_b64 off, v[4:5], s32 offset:804 ; 8-byte Folded Spill
	s_wait_xcnt 0x0
	v_cmpx_ne_u32_e32 0x7f, v2
	s_cbranch_execz .LBB214_576
; %bb.573:                              ;   in Loop: Header=BB214_15 Depth=1
	scratch_load_b64 v[4:5], off, s32 offset:192 th:TH_LOAD_LU ; 8-byte Folded Reload
	s_wait_loadcnt 0x0
	v_dual_lshrrev_b32 v1, 3, v2 :: v_dual_bitop2_b32 v4, 7, v1 bitop3:0x40
	s_mov_b32 s17, exec_lo
	s_wait_xcnt 0x0
	v_cmpx_gt_u32_e32 8, v2
; %bb.574:                              ;   in Loop: Header=BB214_15 Depth=1
	s_delay_alu instid0(VALU_DEP_2) | instskip(NEXT) | instid1(VALU_DEP_1)
	v_clz_i32_u32_e32 v1, v4
	v_min_u32_e32 v1, 32, v1
	s_delay_alu instid0(VALU_DEP_1) | instskip(NEXT) | instid1(VALU_DEP_1)
	v_subrev_nc_u32_e32 v2, 28, v1
	v_lshlrev_b64_e32 v[2:3], v2, v[4:5]
	s_delay_alu instid0(VALU_DEP_1)
	v_dual_sub_nc_u32 v1, 29, v1 :: v_dual_bitop2_b32 v4, 7, v2 bitop3:0x40
; %bb.575:                              ;   in Loop: Header=BB214_15 Depth=1
	s_or_b32 exec_lo, exec_lo, s17
	v_lshlrev_b32_e32 v2, 16, v0
	s_delay_alu instid0(VALU_DEP_2) | instskip(NEXT) | instid1(VALU_DEP_3)
	v_lshlrev_b32_e32 v3, 20, v4
	v_lshl_add_u32 v1, v1, 23, 0x3c000000
	s_delay_alu instid0(VALU_DEP_3) | instskip(NEXT) | instid1(VALU_DEP_1)
	v_and_b32_e32 v2, 0x80000000, v2
	v_or3_b32 v3, v3, v2, v1
	v_dual_mov_b32 v1, v5 :: v_dual_mov_b32 v2, v5
	s_clause 0x1
	scratch_store_b64 off, v[0:1], s32 offset:192
	scratch_store_b64 off, v[2:3], s32 offset:804
.LBB214_576:                            ;   in Loop: Header=BB214_15 Depth=1
	s_wait_xcnt 0x0
	s_or_b32 exec_lo, exec_lo, s16
.LBB214_577:                            ;   in Loop: Header=BB214_15 Depth=1
	s_delay_alu instid0(SALU_CYCLE_1)
	s_or_b32 exec_lo, exec_lo, s15
.LBB214_578:                            ;   in Loop: Header=BB214_15 Depth=1
	s_delay_alu instid0(SALU_CYCLE_1) | instskip(SKIP_3) | instid1(VALU_DEP_1)
	s_or_b32 exec_lo, exec_lo, s14
	v_mov_b64_e32 v[4:5], 0
	v_lshrrev_b32_e32 v1, 16, v0
	s_mov_b32 s14, exec_lo
	v_and_b32_e32 v2, 0xff, v1
	scratch_store_b64 off, v[4:5], s32 offset:820 ; 8-byte Folded Spill
	s_wait_xcnt 0x0
	v_mov_b64_e32 v[4:5], 0
	scratch_store_b64 off, v[4:5], s32 offset:828 ; 8-byte Folded Spill
	s_wait_xcnt 0x0
	v_cmpx_ne_u16_e32 0, v2
	s_cbranch_execz .LBB214_586
; %bb.579:                              ;   in Loop: Header=BB214_15 Depth=1
	v_cmp_ne_u16_e64 s1, 0x80, v2
	v_mov_b64_e32 v[2:3], 0x80000000
	scratch_store_b64 off, v[2:3], s32 offset:828 ; 8-byte Folded Spill
	s_wait_xcnt 0x0
	s_and_saveexec_b32 s15, s1
	s_cbranch_execz .LBB214_585
; %bb.580:                              ;   in Loop: Header=BB214_15 Depth=1
	v_mov_b64_e32 v[4:5], 0x7f800001
	v_bfe_u32 v3, v0, 16, 7
	s_mov_b32 s16, exec_lo
	scratch_store_b64 off, v[4:5], s32 offset:828 ; 8-byte Folded Spill
	s_wait_xcnt 0x0
	v_cmpx_ne_u32_e32 0x7f, v3
	s_cbranch_execz .LBB214_584
; %bb.581:                              ;   in Loop: Header=BB214_15 Depth=1
	scratch_load_b64 v[6:7], off, s32 offset:192 th:TH_LOAD_LU ; 8-byte Folded Reload
	s_wait_loadcnt 0x0
	v_dual_lshrrev_b32 v2, 3, v3 :: v_dual_bitop2_b32 v6, 7, v1 bitop3:0x40
	s_mov_b32 s17, exec_lo
	s_wait_xcnt 0x0
	v_cmpx_gt_u32_e32 8, v3
; %bb.582:                              ;   in Loop: Header=BB214_15 Depth=1
	s_delay_alu instid0(VALU_DEP_2) | instskip(NEXT) | instid1(VALU_DEP_1)
	v_clz_i32_u32_e32 v2, v6
	v_min_u32_e32 v2, 32, v2
	s_delay_alu instid0(VALU_DEP_1) | instskip(NEXT) | instid1(VALU_DEP_1)
	v_subrev_nc_u32_e32 v3, 28, v2
	v_lshlrev_b64_e32 v[4:5], v3, v[6:7]
	s_delay_alu instid0(VALU_DEP_1)
	v_dual_sub_nc_u32 v2, 29, v2 :: v_dual_bitop2_b32 v6, 7, v4 bitop3:0x40
; %bb.583:                              ;   in Loop: Header=BB214_15 Depth=1
	s_or_b32 exec_lo, exec_lo, s17
	s_delay_alu instid0(VALU_DEP_1) | instskip(NEXT) | instid1(VALU_DEP_2)
	v_dual_lshlrev_b32 v1, 24, v1 :: v_dual_lshlrev_b32 v3, 20, v6
	v_lshl_add_u32 v2, v2, 23, 0x3c000000
	s_delay_alu instid0(VALU_DEP_2) | instskip(NEXT) | instid1(VALU_DEP_1)
	v_and_b32_e32 v1, 0x80000000, v1
	v_or3_b32 v6, v3, v1, v2
	v_mov_b32_e32 v1, v7
	s_clause 0x1
	scratch_store_b64 off, v[0:1], s32 offset:192
	scratch_store_b64 off, v[6:7], s32 offset:828
.LBB214_584:                            ;   in Loop: Header=BB214_15 Depth=1
	s_wait_xcnt 0x0
	s_or_b32 exec_lo, exec_lo, s16
.LBB214_585:                            ;   in Loop: Header=BB214_15 Depth=1
	s_delay_alu instid0(SALU_CYCLE_1)
	s_or_b32 exec_lo, exec_lo, s15
.LBB214_586:                            ;   in Loop: Header=BB214_15 Depth=1
	s_delay_alu instid0(SALU_CYCLE_1) | instskip(NEXT) | instid1(SALU_CYCLE_1)
	s_or_b32 exec_lo, exec_lo, s14
	s_mov_b32 s14, exec_lo
	v_cmpx_lt_u32_e32 0xffffff, v0
	s_cbranch_execz .LBB214_594
; %bb.587:                              ;   in Loop: Header=BB214_15 Depth=1
	v_mov_b64_e32 v[2:3], 0x8000000000000000
	v_lshrrev_b32_e32 v1, 24, v0
	s_mov_b32 s15, exec_lo
	scratch_store_b64 off, v[2:3], s32 offset:820 ; 8-byte Folded Spill
	s_wait_xcnt 0x0
	v_cmpx_ne_u32_e32 0x80, v1
	s_cbranch_execz .LBB214_593
; %bb.588:                              ;   in Loop: Header=BB214_15 Depth=1
	v_mov_b64_e32 v[4:5], 0x7f80000100000000
	v_bfe_u32 v2, v0, 24, 7
	s_mov_b32 s16, exec_lo
	scratch_store_b64 off, v[4:5], s32 offset:820 ; 8-byte Folded Spill
	s_wait_xcnt 0x0
	v_cmpx_ne_u32_e32 0x7f, v2
	s_cbranch_execz .LBB214_592
; %bb.589:                              ;   in Loop: Header=BB214_15 Depth=1
	scratch_load_b64 v[4:5], off, s32 offset:192 th:TH_LOAD_LU ; 8-byte Folded Reload
	s_wait_loadcnt 0x0
	v_dual_lshrrev_b32 v0, 3, v2 :: v_dual_bitop2_b32 v4, 7, v1 bitop3:0x40
	s_mov_b32 s17, exec_lo
	s_wait_xcnt 0x0
	v_cmpx_gt_u32_e32 8, v2
; %bb.590:                              ;   in Loop: Header=BB214_15 Depth=1
	s_delay_alu instid0(VALU_DEP_2) | instskip(NEXT) | instid1(VALU_DEP_1)
	v_clz_i32_u32_e32 v0, v4
	v_min_u32_e32 v0, 32, v0
	s_delay_alu instid0(VALU_DEP_1) | instskip(NEXT) | instid1(VALU_DEP_1)
	v_subrev_nc_u32_e32 v2, 28, v0
	v_lshlrev_b64_e32 v[2:3], v2, v[4:5]
	s_delay_alu instid0(VALU_DEP_1)
	v_dual_sub_nc_u32 v0, 29, v0 :: v_dual_bitop2_b32 v4, 7, v2 bitop3:0x40
; %bb.591:                              ;   in Loop: Header=BB214_15 Depth=1
	s_or_b32 exec_lo, exec_lo, s17
	s_delay_alu instid0(VALU_DEP_1) | instskip(NEXT) | instid1(VALU_DEP_2)
	v_dual_lshlrev_b32 v1, 24, v1 :: v_dual_lshlrev_b32 v2, 20, v4
	v_lshl_add_u32 v0, v0, 23, 0x3c000000
	s_delay_alu instid0(VALU_DEP_2) | instskip(NEXT) | instid1(VALU_DEP_1)
	v_and_b32_e32 v1, 0x80000000, v1
	v_or3_b32 v3, v2, v1, v0
	v_dual_mov_b32 v1, v5 :: v_dual_mov_b32 v2, v5
	s_clause 0x1
	scratch_store_b64 off, v[0:1], s32 offset:192
	scratch_store_b64 off, v[2:3], s32 offset:820
.LBB214_592:                            ;   in Loop: Header=BB214_15 Depth=1
	s_wait_xcnt 0x0
	s_or_b32 exec_lo, exec_lo, s16
.LBB214_593:                            ;   in Loop: Header=BB214_15 Depth=1
	s_delay_alu instid0(SALU_CYCLE_1)
	s_or_b32 exec_lo, exec_lo, s15
.LBB214_594:                            ;   in Loop: Header=BB214_15 Depth=1
	s_delay_alu instid0(SALU_CYCLE_1)
	s_or_b32 exec_lo, exec_lo, s14
	flat_load_b32 v0, v[120:121] offset:2056
	v_mov_b64_e32 v[2:3], 0
	s_mov_b32 s14, exec_lo
	scratch_store_b64 off, v[2:3], s32 offset:836 ; 8-byte Folded Spill
	s_wait_xcnt 0x0
	v_mov_b64_e32 v[2:3], 0
	scratch_store_b64 off, v[2:3], s32 offset:844 ; 8-byte Folded Spill
	s_wait_loadcnt_dscnt 0x0
	v_and_b32_e32 v1, 0xff, v0
	s_wait_xcnt 0x0
	s_delay_alu instid0(VALU_DEP_1)
	v_cmpx_ne_u16_e32 0, v1
	s_cbranch_execz .LBB214_602
; %bb.595:                              ;   in Loop: Header=BB214_15 Depth=1
	v_mov_b64_e32 v[2:3], 0x80000000
	s_mov_b32 s15, exec_lo
	scratch_store_b64 off, v[2:3], s32 offset:844 ; 8-byte Folded Spill
	s_wait_xcnt 0x0
	v_cmpx_ne_u16_e32 0x80, v1
	s_cbranch_execz .LBB214_601
; %bb.596:                              ;   in Loop: Header=BB214_15 Depth=1
	v_mov_b64_e32 v[4:5], 0x7f800001
	v_and_b32_e32 v2, 0x7f, v0
	s_mov_b32 s16, exec_lo
	scratch_store_b64 off, v[4:5], s32 offset:844 ; 8-byte Folded Spill
	s_wait_xcnt 0x0
	v_cmpx_ne_u32_e32 0x7f, v2
	s_cbranch_execz .LBB214_600
; %bb.597:                              ;   in Loop: Header=BB214_15 Depth=1
	scratch_load_b64 v[4:5], off, s32 offset:192 th:TH_LOAD_LU ; 8-byte Folded Reload
	s_wait_loadcnt 0x0
	v_dual_lshrrev_b32 v1, 3, v2 :: v_dual_bitop2_b32 v4, 7, v0 bitop3:0x40
	s_mov_b32 s17, exec_lo
	s_wait_xcnt 0x0
	v_cmpx_gt_u32_e32 8, v2
; %bb.598:                              ;   in Loop: Header=BB214_15 Depth=1
	s_delay_alu instid0(VALU_DEP_2) | instskip(NEXT) | instid1(VALU_DEP_1)
	v_clz_i32_u32_e32 v1, v4
	v_min_u32_e32 v1, 32, v1
	s_delay_alu instid0(VALU_DEP_1) | instskip(NEXT) | instid1(VALU_DEP_1)
	v_subrev_nc_u32_e32 v2, 28, v1
	v_lshlrev_b64_e32 v[2:3], v2, v[4:5]
	s_delay_alu instid0(VALU_DEP_1)
	v_dual_sub_nc_u32 v1, 29, v1 :: v_dual_bitop2_b32 v4, 7, v2 bitop3:0x40
; %bb.599:                              ;   in Loop: Header=BB214_15 Depth=1
	s_or_b32 exec_lo, exec_lo, s17
	v_lshlrev_b32_e32 v2, 24, v0
	s_delay_alu instid0(VALU_DEP_2) | instskip(NEXT) | instid1(VALU_DEP_3)
	v_lshlrev_b32_e32 v3, 20, v4
	v_lshl_add_u32 v1, v1, 23, 0x3c000000
	s_delay_alu instid0(VALU_DEP_3) | instskip(NEXT) | instid1(VALU_DEP_1)
	v_and_b32_e32 v2, 0x80000000, v2
	v_or3_b32 v4, v3, v2, v1
	v_mov_b32_e32 v1, v5
	s_clause 0x1
	scratch_store_b64 off, v[0:1], s32 offset:192
	scratch_store_b64 off, v[4:5], s32 offset:844
.LBB214_600:                            ;   in Loop: Header=BB214_15 Depth=1
	s_wait_xcnt 0x0
	s_or_b32 exec_lo, exec_lo, s16
.LBB214_601:                            ;   in Loop: Header=BB214_15 Depth=1
	s_delay_alu instid0(SALU_CYCLE_1)
	s_or_b32 exec_lo, exec_lo, s15
.LBB214_602:                            ;   in Loop: Header=BB214_15 Depth=1
	s_delay_alu instid0(SALU_CYCLE_1) | instskip(SKIP_2) | instid1(VALU_DEP_1)
	s_or_b32 exec_lo, exec_lo, s14
	v_lshrrev_b16 v1, 8, v0
	s_mov_b32 s14, exec_lo
	v_cmpx_ne_u16_e32 0, v1
	s_cbranch_execz .LBB214_610
; %bb.603:                              ;   in Loop: Header=BB214_15 Depth=1
	v_mov_b64_e32 v[2:3], 0x8000000000000000
	s_mov_b32 s15, exec_lo
	scratch_store_b64 off, v[2:3], s32 offset:836 ; 8-byte Folded Spill
	s_wait_xcnt 0x0
	v_cmpx_ne_u16_e32 0x80, v1
	s_cbranch_execz .LBB214_609
; %bb.604:                              ;   in Loop: Header=BB214_15 Depth=1
	v_and_b32_e32 v1, 0xffff, v1
	v_mov_b64_e32 v[4:5], 0x7f80000100000000
	s_mov_b32 s16, exec_lo
	s_delay_alu instid0(VALU_DEP_2)
	v_and_b32_e32 v2, 0x7f, v1
	scratch_store_b64 off, v[4:5], s32 offset:836 ; 8-byte Folded Spill
	s_wait_xcnt 0x0
	v_cmpx_ne_u32_e32 0x7f, v2
	s_cbranch_execz .LBB214_608
; %bb.605:                              ;   in Loop: Header=BB214_15 Depth=1
	scratch_load_b64 v[4:5], off, s32 offset:192 th:TH_LOAD_LU ; 8-byte Folded Reload
	s_wait_loadcnt 0x0
	v_dual_lshrrev_b32 v1, 3, v2 :: v_dual_bitop2_b32 v4, 7, v1 bitop3:0x40
	s_mov_b32 s17, exec_lo
	s_wait_xcnt 0x0
	v_cmpx_gt_u32_e32 8, v2
; %bb.606:                              ;   in Loop: Header=BB214_15 Depth=1
	s_delay_alu instid0(VALU_DEP_2) | instskip(NEXT) | instid1(VALU_DEP_1)
	v_clz_i32_u32_e32 v1, v4
	v_min_u32_e32 v1, 32, v1
	s_delay_alu instid0(VALU_DEP_1) | instskip(NEXT) | instid1(VALU_DEP_1)
	v_subrev_nc_u32_e32 v2, 28, v1
	v_lshlrev_b64_e32 v[2:3], v2, v[4:5]
	s_delay_alu instid0(VALU_DEP_1)
	v_dual_sub_nc_u32 v1, 29, v1 :: v_dual_bitop2_b32 v4, 7, v2 bitop3:0x40
; %bb.607:                              ;   in Loop: Header=BB214_15 Depth=1
	s_or_b32 exec_lo, exec_lo, s17
	v_lshlrev_b32_e32 v2, 16, v0
	s_delay_alu instid0(VALU_DEP_2) | instskip(NEXT) | instid1(VALU_DEP_3)
	v_lshlrev_b32_e32 v3, 20, v4
	v_lshl_add_u32 v1, v1, 23, 0x3c000000
	s_delay_alu instid0(VALU_DEP_3) | instskip(NEXT) | instid1(VALU_DEP_1)
	v_and_b32_e32 v2, 0x80000000, v2
	v_or3_b32 v3, v3, v2, v1
	v_dual_mov_b32 v1, v5 :: v_dual_mov_b32 v2, v5
	s_clause 0x1
	scratch_store_b64 off, v[0:1], s32 offset:192
	scratch_store_b64 off, v[2:3], s32 offset:836
.LBB214_608:                            ;   in Loop: Header=BB214_15 Depth=1
	s_wait_xcnt 0x0
	s_or_b32 exec_lo, exec_lo, s16
.LBB214_609:                            ;   in Loop: Header=BB214_15 Depth=1
	s_delay_alu instid0(SALU_CYCLE_1)
	s_or_b32 exec_lo, exec_lo, s15
.LBB214_610:                            ;   in Loop: Header=BB214_15 Depth=1
	s_delay_alu instid0(SALU_CYCLE_1) | instskip(SKIP_3) | instid1(VALU_DEP_1)
	s_or_b32 exec_lo, exec_lo, s14
	v_mov_b64_e32 v[4:5], 0
	v_lshrrev_b32_e32 v1, 16, v0
	s_mov_b32 s14, exec_lo
	v_and_b32_e32 v2, 0xff, v1
	scratch_store_b64 off, v[4:5], s32 offset:852 ; 8-byte Folded Spill
	s_wait_xcnt 0x0
	v_mov_b64_e32 v[4:5], 0
	scratch_store_b64 off, v[4:5], s32 offset:860 ; 8-byte Folded Spill
	s_wait_xcnt 0x0
	v_cmpx_ne_u16_e32 0, v2
	s_cbranch_execz .LBB214_618
; %bb.611:                              ;   in Loop: Header=BB214_15 Depth=1
	v_cmp_ne_u16_e64 s1, 0x80, v2
	v_mov_b64_e32 v[2:3], 0x80000000
	scratch_store_b64 off, v[2:3], s32 offset:860 ; 8-byte Folded Spill
	s_wait_xcnt 0x0
	s_and_saveexec_b32 s15, s1
	s_cbranch_execz .LBB214_617
; %bb.612:                              ;   in Loop: Header=BB214_15 Depth=1
	v_mov_b64_e32 v[4:5], 0x7f800001
	v_bfe_u32 v3, v0, 16, 7
	s_mov_b32 s16, exec_lo
	scratch_store_b64 off, v[4:5], s32 offset:860 ; 8-byte Folded Spill
	s_wait_xcnt 0x0
	v_cmpx_ne_u32_e32 0x7f, v3
	s_cbranch_execz .LBB214_616
; %bb.613:                              ;   in Loop: Header=BB214_15 Depth=1
	scratch_load_b64 v[6:7], off, s32 offset:192 th:TH_LOAD_LU ; 8-byte Folded Reload
	s_wait_loadcnt 0x0
	v_dual_lshrrev_b32 v2, 3, v3 :: v_dual_bitop2_b32 v6, 7, v1 bitop3:0x40
	s_mov_b32 s17, exec_lo
	s_wait_xcnt 0x0
	v_cmpx_gt_u32_e32 8, v3
; %bb.614:                              ;   in Loop: Header=BB214_15 Depth=1
	s_delay_alu instid0(VALU_DEP_2) | instskip(NEXT) | instid1(VALU_DEP_1)
	v_clz_i32_u32_e32 v2, v6
	v_min_u32_e32 v2, 32, v2
	s_delay_alu instid0(VALU_DEP_1) | instskip(NEXT) | instid1(VALU_DEP_1)
	v_subrev_nc_u32_e32 v3, 28, v2
	v_lshlrev_b64_e32 v[4:5], v3, v[6:7]
	s_delay_alu instid0(VALU_DEP_1)
	v_dual_sub_nc_u32 v2, 29, v2 :: v_dual_bitop2_b32 v6, 7, v4 bitop3:0x40
; %bb.615:                              ;   in Loop: Header=BB214_15 Depth=1
	s_or_b32 exec_lo, exec_lo, s17
	s_delay_alu instid0(VALU_DEP_1) | instskip(NEXT) | instid1(VALU_DEP_2)
	v_dual_lshlrev_b32 v1, 24, v1 :: v_dual_lshlrev_b32 v3, 20, v6
	v_lshl_add_u32 v2, v2, 23, 0x3c000000
	s_delay_alu instid0(VALU_DEP_2) | instskip(NEXT) | instid1(VALU_DEP_1)
	v_and_b32_e32 v1, 0x80000000, v1
	v_or3_b32 v6, v3, v1, v2
	v_mov_b32_e32 v1, v7
	s_clause 0x1
	scratch_store_b64 off, v[0:1], s32 offset:192
	scratch_store_b64 off, v[6:7], s32 offset:860
.LBB214_616:                            ;   in Loop: Header=BB214_15 Depth=1
	s_wait_xcnt 0x0
	s_or_b32 exec_lo, exec_lo, s16
.LBB214_617:                            ;   in Loop: Header=BB214_15 Depth=1
	s_delay_alu instid0(SALU_CYCLE_1)
	s_or_b32 exec_lo, exec_lo, s15
.LBB214_618:                            ;   in Loop: Header=BB214_15 Depth=1
	s_delay_alu instid0(SALU_CYCLE_1) | instskip(NEXT) | instid1(SALU_CYCLE_1)
	s_or_b32 exec_lo, exec_lo, s14
	s_mov_b32 s14, exec_lo
	v_cmpx_lt_u32_e32 0xffffff, v0
	s_cbranch_execz .LBB214_626
; %bb.619:                              ;   in Loop: Header=BB214_15 Depth=1
	v_mov_b64_e32 v[2:3], 0x8000000000000000
	v_lshrrev_b32_e32 v1, 24, v0
	s_mov_b32 s15, exec_lo
	scratch_store_b64 off, v[2:3], s32 offset:852 ; 8-byte Folded Spill
	s_wait_xcnt 0x0
	v_cmpx_ne_u32_e32 0x80, v1
	s_cbranch_execz .LBB214_625
; %bb.620:                              ;   in Loop: Header=BB214_15 Depth=1
	v_mov_b64_e32 v[4:5], 0x7f80000100000000
	v_bfe_u32 v2, v0, 24, 7
	s_mov_b32 s16, exec_lo
	scratch_store_b64 off, v[4:5], s32 offset:852 ; 8-byte Folded Spill
	s_wait_xcnt 0x0
	v_cmpx_ne_u32_e32 0x7f, v2
	s_cbranch_execz .LBB214_624
; %bb.621:                              ;   in Loop: Header=BB214_15 Depth=1
	scratch_load_b64 v[4:5], off, s32 offset:192 th:TH_LOAD_LU ; 8-byte Folded Reload
	s_wait_loadcnt 0x0
	v_dual_lshrrev_b32 v0, 3, v2 :: v_dual_bitop2_b32 v4, 7, v1 bitop3:0x40
	s_mov_b32 s17, exec_lo
	s_wait_xcnt 0x0
	v_cmpx_gt_u32_e32 8, v2
; %bb.622:                              ;   in Loop: Header=BB214_15 Depth=1
	s_delay_alu instid0(VALU_DEP_2) | instskip(NEXT) | instid1(VALU_DEP_1)
	v_clz_i32_u32_e32 v0, v4
	v_min_u32_e32 v0, 32, v0
	s_delay_alu instid0(VALU_DEP_1) | instskip(NEXT) | instid1(VALU_DEP_1)
	v_subrev_nc_u32_e32 v2, 28, v0
	v_lshlrev_b64_e32 v[2:3], v2, v[4:5]
	s_delay_alu instid0(VALU_DEP_1)
	v_dual_sub_nc_u32 v0, 29, v0 :: v_dual_bitop2_b32 v4, 7, v2 bitop3:0x40
; %bb.623:                              ;   in Loop: Header=BB214_15 Depth=1
	s_or_b32 exec_lo, exec_lo, s17
	s_delay_alu instid0(VALU_DEP_1) | instskip(NEXT) | instid1(VALU_DEP_2)
	v_dual_lshlrev_b32 v1, 24, v1 :: v_dual_lshlrev_b32 v2, 20, v4
	v_lshl_add_u32 v0, v0, 23, 0x3c000000
	s_delay_alu instid0(VALU_DEP_2) | instskip(NEXT) | instid1(VALU_DEP_1)
	v_and_b32_e32 v1, 0x80000000, v1
	v_or3_b32 v3, v2, v1, v0
	v_dual_mov_b32 v1, v5 :: v_dual_mov_b32 v2, v5
	s_clause 0x1
	scratch_store_b64 off, v[0:1], s32 offset:192
	scratch_store_b64 off, v[2:3], s32 offset:852
.LBB214_624:                            ;   in Loop: Header=BB214_15 Depth=1
	s_wait_xcnt 0x0
	s_or_b32 exec_lo, exec_lo, s16
.LBB214_625:                            ;   in Loop: Header=BB214_15 Depth=1
	s_delay_alu instid0(SALU_CYCLE_1)
	s_or_b32 exec_lo, exec_lo, s15
.LBB214_626:                            ;   in Loop: Header=BB214_15 Depth=1
	s_delay_alu instid0(SALU_CYCLE_1)
	s_or_b32 exec_lo, exec_lo, s14
	flat_load_b32 v0, v[120:121] offset:2060
	v_mov_b64_e32 v[2:3], 0
	s_mov_b32 s14, exec_lo
	scratch_store_b64 off, v[2:3], s32 offset:868 ; 8-byte Folded Spill
	s_wait_xcnt 0x0
	v_mov_b64_e32 v[2:3], 0
	scratch_store_b64 off, v[2:3], s32 offset:876 ; 8-byte Folded Spill
	s_wait_loadcnt_dscnt 0x0
	v_and_b32_e32 v1, 0xff, v0
	s_wait_xcnt 0x0
	s_delay_alu instid0(VALU_DEP_1)
	v_cmpx_ne_u16_e32 0, v1
	s_cbranch_execz .LBB214_634
; %bb.627:                              ;   in Loop: Header=BB214_15 Depth=1
	v_mov_b64_e32 v[2:3], 0x80000000
	s_mov_b32 s15, exec_lo
	scratch_store_b64 off, v[2:3], s32 offset:876 ; 8-byte Folded Spill
	s_wait_xcnt 0x0
	v_cmpx_ne_u16_e32 0x80, v1
	s_cbranch_execz .LBB214_633
; %bb.628:                              ;   in Loop: Header=BB214_15 Depth=1
	v_mov_b64_e32 v[4:5], 0x7f800001
	v_and_b32_e32 v2, 0x7f, v0
	s_mov_b32 s16, exec_lo
	scratch_store_b64 off, v[4:5], s32 offset:876 ; 8-byte Folded Spill
	s_wait_xcnt 0x0
	v_cmpx_ne_u32_e32 0x7f, v2
	s_cbranch_execz .LBB214_632
; %bb.629:                              ;   in Loop: Header=BB214_15 Depth=1
	scratch_load_b64 v[4:5], off, s32 offset:192 th:TH_LOAD_LU ; 8-byte Folded Reload
	s_wait_loadcnt 0x0
	v_dual_lshrrev_b32 v1, 3, v2 :: v_dual_bitop2_b32 v4, 7, v0 bitop3:0x40
	s_mov_b32 s17, exec_lo
	s_wait_xcnt 0x0
	v_cmpx_gt_u32_e32 8, v2
; %bb.630:                              ;   in Loop: Header=BB214_15 Depth=1
	s_delay_alu instid0(VALU_DEP_2) | instskip(NEXT) | instid1(VALU_DEP_1)
	v_clz_i32_u32_e32 v1, v4
	v_min_u32_e32 v1, 32, v1
	s_delay_alu instid0(VALU_DEP_1) | instskip(NEXT) | instid1(VALU_DEP_1)
	v_subrev_nc_u32_e32 v2, 28, v1
	v_lshlrev_b64_e32 v[2:3], v2, v[4:5]
	s_delay_alu instid0(VALU_DEP_1)
	v_dual_sub_nc_u32 v1, 29, v1 :: v_dual_bitop2_b32 v4, 7, v2 bitop3:0x40
; %bb.631:                              ;   in Loop: Header=BB214_15 Depth=1
	s_or_b32 exec_lo, exec_lo, s17
	v_lshlrev_b32_e32 v2, 24, v0
	s_delay_alu instid0(VALU_DEP_2) | instskip(NEXT) | instid1(VALU_DEP_3)
	v_lshlrev_b32_e32 v3, 20, v4
	v_lshl_add_u32 v1, v1, 23, 0x3c000000
	s_delay_alu instid0(VALU_DEP_3) | instskip(NEXT) | instid1(VALU_DEP_1)
	v_and_b32_e32 v2, 0x80000000, v2
	v_or3_b32 v4, v3, v2, v1
	v_mov_b32_e32 v1, v5
	s_clause 0x1
	scratch_store_b64 off, v[0:1], s32 offset:192
	scratch_store_b64 off, v[4:5], s32 offset:876
.LBB214_632:                            ;   in Loop: Header=BB214_15 Depth=1
	s_wait_xcnt 0x0
	s_or_b32 exec_lo, exec_lo, s16
.LBB214_633:                            ;   in Loop: Header=BB214_15 Depth=1
	s_delay_alu instid0(SALU_CYCLE_1)
	s_or_b32 exec_lo, exec_lo, s15
.LBB214_634:                            ;   in Loop: Header=BB214_15 Depth=1
	s_delay_alu instid0(SALU_CYCLE_1) | instskip(SKIP_2) | instid1(VALU_DEP_1)
	s_or_b32 exec_lo, exec_lo, s14
	v_lshrrev_b16 v1, 8, v0
	s_mov_b32 s14, exec_lo
	v_cmpx_ne_u16_e32 0, v1
	s_cbranch_execz .LBB214_642
; %bb.635:                              ;   in Loop: Header=BB214_15 Depth=1
	v_mov_b64_e32 v[2:3], 0x8000000000000000
	s_mov_b32 s15, exec_lo
	scratch_store_b64 off, v[2:3], s32 offset:868 ; 8-byte Folded Spill
	s_wait_xcnt 0x0
	v_cmpx_ne_u16_e32 0x80, v1
	s_cbranch_execz .LBB214_641
; %bb.636:                              ;   in Loop: Header=BB214_15 Depth=1
	v_and_b32_e32 v1, 0xffff, v1
	v_mov_b64_e32 v[4:5], 0x7f80000100000000
	s_mov_b32 s16, exec_lo
	s_delay_alu instid0(VALU_DEP_2)
	v_and_b32_e32 v2, 0x7f, v1
	scratch_store_b64 off, v[4:5], s32 offset:868 ; 8-byte Folded Spill
	s_wait_xcnt 0x0
	v_cmpx_ne_u32_e32 0x7f, v2
	s_cbranch_execz .LBB214_640
; %bb.637:                              ;   in Loop: Header=BB214_15 Depth=1
	scratch_load_b64 v[4:5], off, s32 offset:192 th:TH_LOAD_LU ; 8-byte Folded Reload
	s_wait_loadcnt 0x0
	v_dual_lshrrev_b32 v1, 3, v2 :: v_dual_bitop2_b32 v4, 7, v1 bitop3:0x40
	s_mov_b32 s17, exec_lo
	s_wait_xcnt 0x0
	v_cmpx_gt_u32_e32 8, v2
; %bb.638:                              ;   in Loop: Header=BB214_15 Depth=1
	s_delay_alu instid0(VALU_DEP_2) | instskip(NEXT) | instid1(VALU_DEP_1)
	v_clz_i32_u32_e32 v1, v4
	v_min_u32_e32 v1, 32, v1
	s_delay_alu instid0(VALU_DEP_1) | instskip(NEXT) | instid1(VALU_DEP_1)
	v_subrev_nc_u32_e32 v2, 28, v1
	v_lshlrev_b64_e32 v[2:3], v2, v[4:5]
	s_delay_alu instid0(VALU_DEP_1)
	v_dual_sub_nc_u32 v1, 29, v1 :: v_dual_bitop2_b32 v4, 7, v2 bitop3:0x40
; %bb.639:                              ;   in Loop: Header=BB214_15 Depth=1
	s_or_b32 exec_lo, exec_lo, s17
	v_lshlrev_b32_e32 v2, 16, v0
	s_delay_alu instid0(VALU_DEP_2) | instskip(NEXT) | instid1(VALU_DEP_3)
	v_lshlrev_b32_e32 v3, 20, v4
	v_lshl_add_u32 v1, v1, 23, 0x3c000000
	s_delay_alu instid0(VALU_DEP_3) | instskip(NEXT) | instid1(VALU_DEP_1)
	v_and_b32_e32 v2, 0x80000000, v2
	v_or3_b32 v3, v3, v2, v1
	v_dual_mov_b32 v1, v5 :: v_dual_mov_b32 v2, v5
	s_clause 0x1
	scratch_store_b64 off, v[0:1], s32 offset:192
	scratch_store_b64 off, v[2:3], s32 offset:868
.LBB214_640:                            ;   in Loop: Header=BB214_15 Depth=1
	s_wait_xcnt 0x0
	s_or_b32 exec_lo, exec_lo, s16
.LBB214_641:                            ;   in Loop: Header=BB214_15 Depth=1
	s_delay_alu instid0(SALU_CYCLE_1)
	s_or_b32 exec_lo, exec_lo, s15
.LBB214_642:                            ;   in Loop: Header=BB214_15 Depth=1
	s_delay_alu instid0(SALU_CYCLE_1) | instskip(SKIP_3) | instid1(VALU_DEP_1)
	s_or_b32 exec_lo, exec_lo, s14
	v_mov_b64_e32 v[4:5], 0
	v_lshrrev_b32_e32 v1, 16, v0
	s_mov_b32 s14, exec_lo
	v_and_b32_e32 v2, 0xff, v1
	scratch_store_b64 off, v[4:5], s32 offset:884 ; 8-byte Folded Spill
	s_wait_xcnt 0x0
	v_mov_b64_e32 v[4:5], 0
	scratch_store_b64 off, v[4:5], s32 offset:892 ; 8-byte Folded Spill
	s_wait_xcnt 0x0
	v_cmpx_ne_u16_e32 0, v2
	s_cbranch_execz .LBB214_650
; %bb.643:                              ;   in Loop: Header=BB214_15 Depth=1
	v_cmp_ne_u16_e64 s1, 0x80, v2
	v_mov_b64_e32 v[2:3], 0x80000000
	scratch_store_b64 off, v[2:3], s32 offset:892 ; 8-byte Folded Spill
	s_wait_xcnt 0x0
	s_and_saveexec_b32 s15, s1
	s_cbranch_execz .LBB214_649
; %bb.644:                              ;   in Loop: Header=BB214_15 Depth=1
	v_mov_b64_e32 v[4:5], 0x7f800001
	v_bfe_u32 v3, v0, 16, 7
	s_mov_b32 s16, exec_lo
	scratch_store_b64 off, v[4:5], s32 offset:892 ; 8-byte Folded Spill
	s_wait_xcnt 0x0
	v_cmpx_ne_u32_e32 0x7f, v3
	s_cbranch_execz .LBB214_648
; %bb.645:                              ;   in Loop: Header=BB214_15 Depth=1
	scratch_load_b64 v[6:7], off, s32 offset:192 th:TH_LOAD_LU ; 8-byte Folded Reload
	s_wait_loadcnt 0x0
	v_dual_lshrrev_b32 v2, 3, v3 :: v_dual_bitop2_b32 v6, 7, v1 bitop3:0x40
	s_mov_b32 s17, exec_lo
	s_wait_xcnt 0x0
	v_cmpx_gt_u32_e32 8, v3
; %bb.646:                              ;   in Loop: Header=BB214_15 Depth=1
	s_delay_alu instid0(VALU_DEP_2) | instskip(NEXT) | instid1(VALU_DEP_1)
	v_clz_i32_u32_e32 v2, v6
	v_min_u32_e32 v2, 32, v2
	s_delay_alu instid0(VALU_DEP_1) | instskip(NEXT) | instid1(VALU_DEP_1)
	v_subrev_nc_u32_e32 v3, 28, v2
	v_lshlrev_b64_e32 v[4:5], v3, v[6:7]
	s_delay_alu instid0(VALU_DEP_1)
	v_dual_sub_nc_u32 v2, 29, v2 :: v_dual_bitop2_b32 v6, 7, v4 bitop3:0x40
; %bb.647:                              ;   in Loop: Header=BB214_15 Depth=1
	s_or_b32 exec_lo, exec_lo, s17
	s_delay_alu instid0(VALU_DEP_1) | instskip(NEXT) | instid1(VALU_DEP_2)
	v_dual_lshlrev_b32 v1, 24, v1 :: v_dual_lshlrev_b32 v3, 20, v6
	v_lshl_add_u32 v2, v2, 23, 0x3c000000
	s_delay_alu instid0(VALU_DEP_2) | instskip(NEXT) | instid1(VALU_DEP_1)
	v_and_b32_e32 v1, 0x80000000, v1
	v_or3_b32 v6, v3, v1, v2
	v_mov_b32_e32 v1, v7
	s_clause 0x1
	scratch_store_b64 off, v[0:1], s32 offset:192
	scratch_store_b64 off, v[6:7], s32 offset:892
.LBB214_648:                            ;   in Loop: Header=BB214_15 Depth=1
	s_wait_xcnt 0x0
	s_or_b32 exec_lo, exec_lo, s16
.LBB214_649:                            ;   in Loop: Header=BB214_15 Depth=1
	s_delay_alu instid0(SALU_CYCLE_1)
	s_or_b32 exec_lo, exec_lo, s15
.LBB214_650:                            ;   in Loop: Header=BB214_15 Depth=1
	s_delay_alu instid0(SALU_CYCLE_1) | instskip(NEXT) | instid1(SALU_CYCLE_1)
	s_or_b32 exec_lo, exec_lo, s14
	s_mov_b32 s14, exec_lo
	v_cmpx_lt_u32_e32 0xffffff, v0
	s_cbranch_execz .LBB214_658
; %bb.651:                              ;   in Loop: Header=BB214_15 Depth=1
	v_mov_b64_e32 v[2:3], 0x8000000000000000
	v_lshrrev_b32_e32 v1, 24, v0
	s_mov_b32 s15, exec_lo
	scratch_store_b64 off, v[2:3], s32 offset:884 ; 8-byte Folded Spill
	s_wait_xcnt 0x0
	v_cmpx_ne_u32_e32 0x80, v1
	s_cbranch_execz .LBB214_657
; %bb.652:                              ;   in Loop: Header=BB214_15 Depth=1
	v_mov_b64_e32 v[4:5], 0x7f80000100000000
	v_bfe_u32 v2, v0, 24, 7
	s_mov_b32 s16, exec_lo
	scratch_store_b64 off, v[4:5], s32 offset:884 ; 8-byte Folded Spill
	s_wait_xcnt 0x0
	v_cmpx_ne_u32_e32 0x7f, v2
	s_cbranch_execz .LBB214_656
; %bb.653:                              ;   in Loop: Header=BB214_15 Depth=1
	scratch_load_b64 v[4:5], off, s32 offset:192 th:TH_LOAD_LU ; 8-byte Folded Reload
	s_wait_loadcnt 0x0
	v_dual_lshrrev_b32 v0, 3, v2 :: v_dual_bitop2_b32 v4, 7, v1 bitop3:0x40
	s_mov_b32 s17, exec_lo
	s_wait_xcnt 0x0
	v_cmpx_gt_u32_e32 8, v2
; %bb.654:                              ;   in Loop: Header=BB214_15 Depth=1
	s_delay_alu instid0(VALU_DEP_2) | instskip(NEXT) | instid1(VALU_DEP_1)
	v_clz_i32_u32_e32 v0, v4
	v_min_u32_e32 v0, 32, v0
	s_delay_alu instid0(VALU_DEP_1) | instskip(NEXT) | instid1(VALU_DEP_1)
	v_subrev_nc_u32_e32 v2, 28, v0
	v_lshlrev_b64_e32 v[2:3], v2, v[4:5]
	s_delay_alu instid0(VALU_DEP_1)
	v_dual_sub_nc_u32 v0, 29, v0 :: v_dual_bitop2_b32 v4, 7, v2 bitop3:0x40
; %bb.655:                              ;   in Loop: Header=BB214_15 Depth=1
	s_or_b32 exec_lo, exec_lo, s17
	s_delay_alu instid0(VALU_DEP_1) | instskip(NEXT) | instid1(VALU_DEP_2)
	v_dual_lshlrev_b32 v1, 24, v1 :: v_dual_lshlrev_b32 v2, 20, v4
	v_lshl_add_u32 v0, v0, 23, 0x3c000000
	s_delay_alu instid0(VALU_DEP_2) | instskip(NEXT) | instid1(VALU_DEP_1)
	v_and_b32_e32 v1, 0x80000000, v1
	v_or3_b32 v3, v2, v1, v0
	v_dual_mov_b32 v1, v5 :: v_dual_mov_b32 v2, v5
	s_clause 0x1
	scratch_store_b64 off, v[0:1], s32 offset:192
	scratch_store_b64 off, v[2:3], s32 offset:884
.LBB214_656:                            ;   in Loop: Header=BB214_15 Depth=1
	s_wait_xcnt 0x0
	s_or_b32 exec_lo, exec_lo, s16
.LBB214_657:                            ;   in Loop: Header=BB214_15 Depth=1
	s_delay_alu instid0(SALU_CYCLE_1)
	s_or_b32 exec_lo, exec_lo, s15
.LBB214_658:                            ;   in Loop: Header=BB214_15 Depth=1
	s_delay_alu instid0(SALU_CYCLE_1)
	s_or_b32 exec_lo, exec_lo, s14
	flat_load_b32 v0, v[120:121] offset:2560
	v_mov_b64_e32 v[2:3], 0
	s_mov_b32 s14, exec_lo
	scratch_store_b64 off, v[2:3], s32 offset:900 ; 8-byte Folded Spill
	s_wait_xcnt 0x0
	v_mov_b64_e32 v[2:3], 0
	scratch_store_b64 off, v[2:3], s32 offset:908 ; 8-byte Folded Spill
	s_wait_loadcnt_dscnt 0x0
	v_and_b32_e32 v1, 0xff, v0
	s_wait_xcnt 0x0
	s_delay_alu instid0(VALU_DEP_1)
	v_cmpx_ne_u16_e32 0, v1
	s_cbranch_execz .LBB214_666
; %bb.659:                              ;   in Loop: Header=BB214_15 Depth=1
	v_mov_b64_e32 v[2:3], 0x80000000
	s_mov_b32 s15, exec_lo
	scratch_store_b64 off, v[2:3], s32 offset:908 ; 8-byte Folded Spill
	s_wait_xcnt 0x0
	v_cmpx_ne_u16_e32 0x80, v1
	s_cbranch_execz .LBB214_665
; %bb.660:                              ;   in Loop: Header=BB214_15 Depth=1
	v_mov_b64_e32 v[4:5], 0x7f800001
	v_and_b32_e32 v2, 0x7f, v0
	s_mov_b32 s16, exec_lo
	scratch_store_b64 off, v[4:5], s32 offset:908 ; 8-byte Folded Spill
	s_wait_xcnt 0x0
	v_cmpx_ne_u32_e32 0x7f, v2
	s_cbranch_execz .LBB214_664
; %bb.661:                              ;   in Loop: Header=BB214_15 Depth=1
	scratch_load_b64 v[4:5], off, s32 offset:192 th:TH_LOAD_LU ; 8-byte Folded Reload
	s_wait_loadcnt 0x0
	v_dual_lshrrev_b32 v1, 3, v2 :: v_dual_bitop2_b32 v4, 7, v0 bitop3:0x40
	s_mov_b32 s17, exec_lo
	s_wait_xcnt 0x0
	v_cmpx_gt_u32_e32 8, v2
; %bb.662:                              ;   in Loop: Header=BB214_15 Depth=1
	s_delay_alu instid0(VALU_DEP_2) | instskip(NEXT) | instid1(VALU_DEP_1)
	v_clz_i32_u32_e32 v1, v4
	v_min_u32_e32 v1, 32, v1
	s_delay_alu instid0(VALU_DEP_1) | instskip(NEXT) | instid1(VALU_DEP_1)
	v_subrev_nc_u32_e32 v2, 28, v1
	v_lshlrev_b64_e32 v[2:3], v2, v[4:5]
	s_delay_alu instid0(VALU_DEP_1)
	v_dual_sub_nc_u32 v1, 29, v1 :: v_dual_bitop2_b32 v4, 7, v2 bitop3:0x40
; %bb.663:                              ;   in Loop: Header=BB214_15 Depth=1
	s_or_b32 exec_lo, exec_lo, s17
	v_lshlrev_b32_e32 v2, 24, v0
	s_delay_alu instid0(VALU_DEP_2) | instskip(NEXT) | instid1(VALU_DEP_3)
	v_lshlrev_b32_e32 v3, 20, v4
	v_lshl_add_u32 v1, v1, 23, 0x3c000000
	s_delay_alu instid0(VALU_DEP_3) | instskip(NEXT) | instid1(VALU_DEP_1)
	v_and_b32_e32 v2, 0x80000000, v2
	v_or3_b32 v4, v3, v2, v1
	v_mov_b32_e32 v1, v5
	s_clause 0x1
	scratch_store_b64 off, v[0:1], s32 offset:192
	scratch_store_b64 off, v[4:5], s32 offset:908
.LBB214_664:                            ;   in Loop: Header=BB214_15 Depth=1
	s_wait_xcnt 0x0
	s_or_b32 exec_lo, exec_lo, s16
.LBB214_665:                            ;   in Loop: Header=BB214_15 Depth=1
	s_delay_alu instid0(SALU_CYCLE_1)
	s_or_b32 exec_lo, exec_lo, s15
.LBB214_666:                            ;   in Loop: Header=BB214_15 Depth=1
	s_delay_alu instid0(SALU_CYCLE_1) | instskip(SKIP_2) | instid1(VALU_DEP_1)
	s_or_b32 exec_lo, exec_lo, s14
	v_lshrrev_b16 v1, 8, v0
	s_mov_b32 s14, exec_lo
	v_cmpx_ne_u16_e32 0, v1
	s_cbranch_execz .LBB214_674
; %bb.667:                              ;   in Loop: Header=BB214_15 Depth=1
	v_mov_b64_e32 v[2:3], 0x8000000000000000
	s_mov_b32 s15, exec_lo
	scratch_store_b64 off, v[2:3], s32 offset:900 ; 8-byte Folded Spill
	s_wait_xcnt 0x0
	v_cmpx_ne_u16_e32 0x80, v1
	s_cbranch_execz .LBB214_673
; %bb.668:                              ;   in Loop: Header=BB214_15 Depth=1
	v_and_b32_e32 v1, 0xffff, v1
	v_mov_b64_e32 v[4:5], 0x7f80000100000000
	s_mov_b32 s16, exec_lo
	s_delay_alu instid0(VALU_DEP_2)
	v_and_b32_e32 v2, 0x7f, v1
	scratch_store_b64 off, v[4:5], s32 offset:900 ; 8-byte Folded Spill
	s_wait_xcnt 0x0
	v_cmpx_ne_u32_e32 0x7f, v2
	s_cbranch_execz .LBB214_672
; %bb.669:                              ;   in Loop: Header=BB214_15 Depth=1
	scratch_load_b64 v[4:5], off, s32 offset:192 th:TH_LOAD_LU ; 8-byte Folded Reload
	s_wait_loadcnt 0x0
	v_dual_lshrrev_b32 v1, 3, v2 :: v_dual_bitop2_b32 v4, 7, v1 bitop3:0x40
	s_mov_b32 s17, exec_lo
	s_wait_xcnt 0x0
	v_cmpx_gt_u32_e32 8, v2
; %bb.670:                              ;   in Loop: Header=BB214_15 Depth=1
	s_delay_alu instid0(VALU_DEP_2) | instskip(NEXT) | instid1(VALU_DEP_1)
	v_clz_i32_u32_e32 v1, v4
	v_min_u32_e32 v1, 32, v1
	s_delay_alu instid0(VALU_DEP_1) | instskip(NEXT) | instid1(VALU_DEP_1)
	v_subrev_nc_u32_e32 v2, 28, v1
	v_lshlrev_b64_e32 v[2:3], v2, v[4:5]
	s_delay_alu instid0(VALU_DEP_1)
	v_dual_sub_nc_u32 v1, 29, v1 :: v_dual_bitop2_b32 v4, 7, v2 bitop3:0x40
; %bb.671:                              ;   in Loop: Header=BB214_15 Depth=1
	s_or_b32 exec_lo, exec_lo, s17
	v_lshlrev_b32_e32 v2, 16, v0
	s_delay_alu instid0(VALU_DEP_2) | instskip(NEXT) | instid1(VALU_DEP_3)
	v_lshlrev_b32_e32 v3, 20, v4
	v_lshl_add_u32 v1, v1, 23, 0x3c000000
	s_delay_alu instid0(VALU_DEP_3) | instskip(NEXT) | instid1(VALU_DEP_1)
	v_and_b32_e32 v2, 0x80000000, v2
	v_or3_b32 v3, v3, v2, v1
	v_dual_mov_b32 v1, v5 :: v_dual_mov_b32 v2, v5
	s_clause 0x1
	scratch_store_b64 off, v[0:1], s32 offset:192
	scratch_store_b64 off, v[2:3], s32 offset:900
.LBB214_672:                            ;   in Loop: Header=BB214_15 Depth=1
	s_wait_xcnt 0x0
	s_or_b32 exec_lo, exec_lo, s16
.LBB214_673:                            ;   in Loop: Header=BB214_15 Depth=1
	s_delay_alu instid0(SALU_CYCLE_1)
	s_or_b32 exec_lo, exec_lo, s15
.LBB214_674:                            ;   in Loop: Header=BB214_15 Depth=1
	s_delay_alu instid0(SALU_CYCLE_1) | instskip(SKIP_3) | instid1(VALU_DEP_1)
	s_or_b32 exec_lo, exec_lo, s14
	v_mov_b64_e32 v[4:5], 0
	v_lshrrev_b32_e32 v1, 16, v0
	s_mov_b32 s14, exec_lo
	v_and_b32_e32 v2, 0xff, v1
	scratch_store_b64 off, v[4:5], s32 offset:916 ; 8-byte Folded Spill
	s_wait_xcnt 0x0
	v_mov_b64_e32 v[4:5], 0
	scratch_store_b64 off, v[4:5], s32 offset:924 ; 8-byte Folded Spill
	s_wait_xcnt 0x0
	v_cmpx_ne_u16_e32 0, v2
	s_cbranch_execz .LBB214_682
; %bb.675:                              ;   in Loop: Header=BB214_15 Depth=1
	v_cmp_ne_u16_e64 s1, 0x80, v2
	v_mov_b64_e32 v[2:3], 0x80000000
	scratch_store_b64 off, v[2:3], s32 offset:924 ; 8-byte Folded Spill
	s_wait_xcnt 0x0
	s_and_saveexec_b32 s15, s1
	s_cbranch_execz .LBB214_681
; %bb.676:                              ;   in Loop: Header=BB214_15 Depth=1
	v_mov_b64_e32 v[4:5], 0x7f800001
	v_bfe_u32 v3, v0, 16, 7
	s_mov_b32 s16, exec_lo
	scratch_store_b64 off, v[4:5], s32 offset:924 ; 8-byte Folded Spill
	s_wait_xcnt 0x0
	v_cmpx_ne_u32_e32 0x7f, v3
	s_cbranch_execz .LBB214_680
; %bb.677:                              ;   in Loop: Header=BB214_15 Depth=1
	scratch_load_b64 v[6:7], off, s32 offset:192 th:TH_LOAD_LU ; 8-byte Folded Reload
	s_wait_loadcnt 0x0
	v_dual_lshrrev_b32 v2, 3, v3 :: v_dual_bitop2_b32 v6, 7, v1 bitop3:0x40
	s_mov_b32 s17, exec_lo
	s_wait_xcnt 0x0
	v_cmpx_gt_u32_e32 8, v3
; %bb.678:                              ;   in Loop: Header=BB214_15 Depth=1
	s_delay_alu instid0(VALU_DEP_2) | instskip(NEXT) | instid1(VALU_DEP_1)
	v_clz_i32_u32_e32 v2, v6
	v_min_u32_e32 v2, 32, v2
	s_delay_alu instid0(VALU_DEP_1) | instskip(NEXT) | instid1(VALU_DEP_1)
	v_subrev_nc_u32_e32 v3, 28, v2
	v_lshlrev_b64_e32 v[4:5], v3, v[6:7]
	s_delay_alu instid0(VALU_DEP_1)
	v_dual_sub_nc_u32 v2, 29, v2 :: v_dual_bitop2_b32 v6, 7, v4 bitop3:0x40
; %bb.679:                              ;   in Loop: Header=BB214_15 Depth=1
	s_or_b32 exec_lo, exec_lo, s17
	s_delay_alu instid0(VALU_DEP_1) | instskip(NEXT) | instid1(VALU_DEP_2)
	v_dual_lshlrev_b32 v1, 24, v1 :: v_dual_lshlrev_b32 v3, 20, v6
	v_lshl_add_u32 v2, v2, 23, 0x3c000000
	s_delay_alu instid0(VALU_DEP_2) | instskip(NEXT) | instid1(VALU_DEP_1)
	v_and_b32_e32 v1, 0x80000000, v1
	v_or3_b32 v6, v3, v1, v2
	v_mov_b32_e32 v1, v7
	s_clause 0x1
	scratch_store_b64 off, v[0:1], s32 offset:192
	scratch_store_b64 off, v[6:7], s32 offset:924
.LBB214_680:                            ;   in Loop: Header=BB214_15 Depth=1
	s_wait_xcnt 0x0
	s_or_b32 exec_lo, exec_lo, s16
.LBB214_681:                            ;   in Loop: Header=BB214_15 Depth=1
	s_delay_alu instid0(SALU_CYCLE_1)
	s_or_b32 exec_lo, exec_lo, s15
.LBB214_682:                            ;   in Loop: Header=BB214_15 Depth=1
	s_delay_alu instid0(SALU_CYCLE_1) | instskip(NEXT) | instid1(SALU_CYCLE_1)
	s_or_b32 exec_lo, exec_lo, s14
	s_mov_b32 s14, exec_lo
	v_cmpx_lt_u32_e32 0xffffff, v0
	s_cbranch_execz .LBB214_690
; %bb.683:                              ;   in Loop: Header=BB214_15 Depth=1
	v_mov_b64_e32 v[2:3], 0x8000000000000000
	v_lshrrev_b32_e32 v1, 24, v0
	s_mov_b32 s15, exec_lo
	scratch_store_b64 off, v[2:3], s32 offset:916 ; 8-byte Folded Spill
	s_wait_xcnt 0x0
	v_cmpx_ne_u32_e32 0x80, v1
	s_cbranch_execz .LBB214_689
; %bb.684:                              ;   in Loop: Header=BB214_15 Depth=1
	v_mov_b64_e32 v[4:5], 0x7f80000100000000
	v_bfe_u32 v2, v0, 24, 7
	s_mov_b32 s16, exec_lo
	scratch_store_b64 off, v[4:5], s32 offset:916 ; 8-byte Folded Spill
	s_wait_xcnt 0x0
	v_cmpx_ne_u32_e32 0x7f, v2
	s_cbranch_execz .LBB214_688
; %bb.685:                              ;   in Loop: Header=BB214_15 Depth=1
	scratch_load_b64 v[4:5], off, s32 offset:192 th:TH_LOAD_LU ; 8-byte Folded Reload
	s_wait_loadcnt 0x0
	v_dual_lshrrev_b32 v0, 3, v2 :: v_dual_bitop2_b32 v4, 7, v1 bitop3:0x40
	s_mov_b32 s17, exec_lo
	s_wait_xcnt 0x0
	v_cmpx_gt_u32_e32 8, v2
; %bb.686:                              ;   in Loop: Header=BB214_15 Depth=1
	s_delay_alu instid0(VALU_DEP_2) | instskip(NEXT) | instid1(VALU_DEP_1)
	v_clz_i32_u32_e32 v0, v4
	v_min_u32_e32 v0, 32, v0
	s_delay_alu instid0(VALU_DEP_1) | instskip(NEXT) | instid1(VALU_DEP_1)
	v_subrev_nc_u32_e32 v2, 28, v0
	v_lshlrev_b64_e32 v[2:3], v2, v[4:5]
	s_delay_alu instid0(VALU_DEP_1)
	v_dual_sub_nc_u32 v0, 29, v0 :: v_dual_bitop2_b32 v4, 7, v2 bitop3:0x40
; %bb.687:                              ;   in Loop: Header=BB214_15 Depth=1
	s_or_b32 exec_lo, exec_lo, s17
	s_delay_alu instid0(VALU_DEP_1) | instskip(NEXT) | instid1(VALU_DEP_2)
	v_dual_lshlrev_b32 v1, 24, v1 :: v_dual_lshlrev_b32 v2, 20, v4
	v_lshl_add_u32 v0, v0, 23, 0x3c000000
	s_delay_alu instid0(VALU_DEP_2) | instskip(NEXT) | instid1(VALU_DEP_1)
	v_and_b32_e32 v1, 0x80000000, v1
	v_or3_b32 v3, v2, v1, v0
	v_dual_mov_b32 v1, v5 :: v_dual_mov_b32 v2, v5
	s_clause 0x1
	scratch_store_b64 off, v[0:1], s32 offset:192
	scratch_store_b64 off, v[2:3], s32 offset:916
.LBB214_688:                            ;   in Loop: Header=BB214_15 Depth=1
	s_wait_xcnt 0x0
	s_or_b32 exec_lo, exec_lo, s16
.LBB214_689:                            ;   in Loop: Header=BB214_15 Depth=1
	s_delay_alu instid0(SALU_CYCLE_1)
	s_or_b32 exec_lo, exec_lo, s15
.LBB214_690:                            ;   in Loop: Header=BB214_15 Depth=1
	s_delay_alu instid0(SALU_CYCLE_1)
	s_or_b32 exec_lo, exec_lo, s14
	flat_load_b32 v0, v[120:121] offset:2564
	v_mov_b64_e32 v[2:3], 0
	s_mov_b32 s14, exec_lo
	scratch_store_b64 off, v[2:3], s32 offset:932 ; 8-byte Folded Spill
	s_wait_xcnt 0x0
	v_mov_b64_e32 v[2:3], 0
	scratch_store_b64 off, v[2:3], s32 offset:940 ; 8-byte Folded Spill
	s_wait_loadcnt_dscnt 0x0
	v_and_b32_e32 v1, 0xff, v0
	s_wait_xcnt 0x0
	s_delay_alu instid0(VALU_DEP_1)
	v_cmpx_ne_u16_e32 0, v1
	s_cbranch_execz .LBB214_698
; %bb.691:                              ;   in Loop: Header=BB214_15 Depth=1
	v_mov_b64_e32 v[2:3], 0x80000000
	s_mov_b32 s15, exec_lo
	scratch_store_b64 off, v[2:3], s32 offset:940 ; 8-byte Folded Spill
	s_wait_xcnt 0x0
	v_cmpx_ne_u16_e32 0x80, v1
	s_cbranch_execz .LBB214_697
; %bb.692:                              ;   in Loop: Header=BB214_15 Depth=1
	v_mov_b64_e32 v[4:5], 0x7f800001
	v_and_b32_e32 v2, 0x7f, v0
	s_mov_b32 s16, exec_lo
	scratch_store_b64 off, v[4:5], s32 offset:940 ; 8-byte Folded Spill
	s_wait_xcnt 0x0
	v_cmpx_ne_u32_e32 0x7f, v2
	s_cbranch_execz .LBB214_696
; %bb.693:                              ;   in Loop: Header=BB214_15 Depth=1
	scratch_load_b64 v[4:5], off, s32 offset:192 th:TH_LOAD_LU ; 8-byte Folded Reload
	s_wait_loadcnt 0x0
	v_dual_lshrrev_b32 v1, 3, v2 :: v_dual_bitop2_b32 v4, 7, v0 bitop3:0x40
	s_mov_b32 s17, exec_lo
	s_wait_xcnt 0x0
	v_cmpx_gt_u32_e32 8, v2
; %bb.694:                              ;   in Loop: Header=BB214_15 Depth=1
	s_delay_alu instid0(VALU_DEP_2) | instskip(NEXT) | instid1(VALU_DEP_1)
	v_clz_i32_u32_e32 v1, v4
	v_min_u32_e32 v1, 32, v1
	s_delay_alu instid0(VALU_DEP_1) | instskip(NEXT) | instid1(VALU_DEP_1)
	v_subrev_nc_u32_e32 v2, 28, v1
	v_lshlrev_b64_e32 v[2:3], v2, v[4:5]
	s_delay_alu instid0(VALU_DEP_1)
	v_dual_sub_nc_u32 v1, 29, v1 :: v_dual_bitop2_b32 v4, 7, v2 bitop3:0x40
; %bb.695:                              ;   in Loop: Header=BB214_15 Depth=1
	s_or_b32 exec_lo, exec_lo, s17
	v_lshlrev_b32_e32 v2, 24, v0
	s_delay_alu instid0(VALU_DEP_2) | instskip(NEXT) | instid1(VALU_DEP_3)
	v_lshlrev_b32_e32 v3, 20, v4
	v_lshl_add_u32 v1, v1, 23, 0x3c000000
	s_delay_alu instid0(VALU_DEP_3) | instskip(NEXT) | instid1(VALU_DEP_1)
	v_and_b32_e32 v2, 0x80000000, v2
	v_or3_b32 v4, v3, v2, v1
	v_mov_b32_e32 v1, v5
	s_clause 0x1
	scratch_store_b64 off, v[0:1], s32 offset:192
	scratch_store_b64 off, v[4:5], s32 offset:940
.LBB214_696:                            ;   in Loop: Header=BB214_15 Depth=1
	s_wait_xcnt 0x0
	s_or_b32 exec_lo, exec_lo, s16
.LBB214_697:                            ;   in Loop: Header=BB214_15 Depth=1
	s_delay_alu instid0(SALU_CYCLE_1)
	s_or_b32 exec_lo, exec_lo, s15
.LBB214_698:                            ;   in Loop: Header=BB214_15 Depth=1
	s_delay_alu instid0(SALU_CYCLE_1) | instskip(SKIP_2) | instid1(VALU_DEP_1)
	s_or_b32 exec_lo, exec_lo, s14
	v_lshrrev_b16 v1, 8, v0
	s_mov_b32 s14, exec_lo
	v_cmpx_ne_u16_e32 0, v1
	s_cbranch_execz .LBB214_706
; %bb.699:                              ;   in Loop: Header=BB214_15 Depth=1
	v_mov_b64_e32 v[2:3], 0x8000000000000000
	s_mov_b32 s15, exec_lo
	scratch_store_b64 off, v[2:3], s32 offset:932 ; 8-byte Folded Spill
	s_wait_xcnt 0x0
	v_cmpx_ne_u16_e32 0x80, v1
	s_cbranch_execz .LBB214_705
; %bb.700:                              ;   in Loop: Header=BB214_15 Depth=1
	v_and_b32_e32 v1, 0xffff, v1
	v_mov_b64_e32 v[4:5], 0x7f80000100000000
	s_mov_b32 s16, exec_lo
	s_delay_alu instid0(VALU_DEP_2)
	v_and_b32_e32 v2, 0x7f, v1
	scratch_store_b64 off, v[4:5], s32 offset:932 ; 8-byte Folded Spill
	s_wait_xcnt 0x0
	v_cmpx_ne_u32_e32 0x7f, v2
	s_cbranch_execz .LBB214_704
; %bb.701:                              ;   in Loop: Header=BB214_15 Depth=1
	scratch_load_b64 v[4:5], off, s32 offset:192 th:TH_LOAD_LU ; 8-byte Folded Reload
	s_wait_loadcnt 0x0
	v_dual_lshrrev_b32 v1, 3, v2 :: v_dual_bitop2_b32 v4, 7, v1 bitop3:0x40
	s_mov_b32 s17, exec_lo
	s_wait_xcnt 0x0
	v_cmpx_gt_u32_e32 8, v2
; %bb.702:                              ;   in Loop: Header=BB214_15 Depth=1
	s_delay_alu instid0(VALU_DEP_2) | instskip(NEXT) | instid1(VALU_DEP_1)
	v_clz_i32_u32_e32 v1, v4
	v_min_u32_e32 v1, 32, v1
	s_delay_alu instid0(VALU_DEP_1) | instskip(NEXT) | instid1(VALU_DEP_1)
	v_subrev_nc_u32_e32 v2, 28, v1
	v_lshlrev_b64_e32 v[2:3], v2, v[4:5]
	s_delay_alu instid0(VALU_DEP_1)
	v_dual_sub_nc_u32 v1, 29, v1 :: v_dual_bitop2_b32 v4, 7, v2 bitop3:0x40
; %bb.703:                              ;   in Loop: Header=BB214_15 Depth=1
	s_or_b32 exec_lo, exec_lo, s17
	v_lshlrev_b32_e32 v2, 16, v0
	s_delay_alu instid0(VALU_DEP_2) | instskip(NEXT) | instid1(VALU_DEP_3)
	v_lshlrev_b32_e32 v3, 20, v4
	v_lshl_add_u32 v1, v1, 23, 0x3c000000
	s_delay_alu instid0(VALU_DEP_3) | instskip(NEXT) | instid1(VALU_DEP_1)
	v_and_b32_e32 v2, 0x80000000, v2
	v_or3_b32 v3, v3, v2, v1
	v_dual_mov_b32 v1, v5 :: v_dual_mov_b32 v2, v5
	s_clause 0x1
	scratch_store_b64 off, v[0:1], s32 offset:192
	scratch_store_b64 off, v[2:3], s32 offset:932
.LBB214_704:                            ;   in Loop: Header=BB214_15 Depth=1
	s_wait_xcnt 0x0
	s_or_b32 exec_lo, exec_lo, s16
.LBB214_705:                            ;   in Loop: Header=BB214_15 Depth=1
	s_delay_alu instid0(SALU_CYCLE_1)
	s_or_b32 exec_lo, exec_lo, s15
.LBB214_706:                            ;   in Loop: Header=BB214_15 Depth=1
	s_delay_alu instid0(SALU_CYCLE_1) | instskip(SKIP_3) | instid1(VALU_DEP_1)
	s_or_b32 exec_lo, exec_lo, s14
	v_mov_b64_e32 v[4:5], 0
	v_lshrrev_b32_e32 v1, 16, v0
	s_mov_b32 s14, exec_lo
	v_and_b32_e32 v2, 0xff, v1
	scratch_store_b64 off, v[4:5], s32 offset:948 ; 8-byte Folded Spill
	s_wait_xcnt 0x0
	v_mov_b64_e32 v[4:5], 0
	scratch_store_b64 off, v[4:5], s32 offset:956 ; 8-byte Folded Spill
	s_wait_xcnt 0x0
	v_cmpx_ne_u16_e32 0, v2
	s_cbranch_execz .LBB214_714
; %bb.707:                              ;   in Loop: Header=BB214_15 Depth=1
	v_cmp_ne_u16_e64 s1, 0x80, v2
	v_mov_b64_e32 v[2:3], 0x80000000
	scratch_store_b64 off, v[2:3], s32 offset:956 ; 8-byte Folded Spill
	s_wait_xcnt 0x0
	s_and_saveexec_b32 s15, s1
	s_cbranch_execz .LBB214_713
; %bb.708:                              ;   in Loop: Header=BB214_15 Depth=1
	v_mov_b64_e32 v[4:5], 0x7f800001
	v_bfe_u32 v3, v0, 16, 7
	s_mov_b32 s16, exec_lo
	scratch_store_b64 off, v[4:5], s32 offset:956 ; 8-byte Folded Spill
	s_wait_xcnt 0x0
	v_cmpx_ne_u32_e32 0x7f, v3
	s_cbranch_execz .LBB214_712
; %bb.709:                              ;   in Loop: Header=BB214_15 Depth=1
	scratch_load_b64 v[6:7], off, s32 offset:192 th:TH_LOAD_LU ; 8-byte Folded Reload
	s_wait_loadcnt 0x0
	v_dual_lshrrev_b32 v2, 3, v3 :: v_dual_bitop2_b32 v6, 7, v1 bitop3:0x40
	s_mov_b32 s17, exec_lo
	s_wait_xcnt 0x0
	v_cmpx_gt_u32_e32 8, v3
; %bb.710:                              ;   in Loop: Header=BB214_15 Depth=1
	s_delay_alu instid0(VALU_DEP_2) | instskip(NEXT) | instid1(VALU_DEP_1)
	v_clz_i32_u32_e32 v2, v6
	v_min_u32_e32 v2, 32, v2
	s_delay_alu instid0(VALU_DEP_1) | instskip(NEXT) | instid1(VALU_DEP_1)
	v_subrev_nc_u32_e32 v3, 28, v2
	v_lshlrev_b64_e32 v[4:5], v3, v[6:7]
	s_delay_alu instid0(VALU_DEP_1)
	v_dual_sub_nc_u32 v2, 29, v2 :: v_dual_bitop2_b32 v6, 7, v4 bitop3:0x40
; %bb.711:                              ;   in Loop: Header=BB214_15 Depth=1
	s_or_b32 exec_lo, exec_lo, s17
	s_delay_alu instid0(VALU_DEP_1) | instskip(NEXT) | instid1(VALU_DEP_2)
	v_dual_lshlrev_b32 v1, 24, v1 :: v_dual_lshlrev_b32 v3, 20, v6
	v_lshl_add_u32 v2, v2, 23, 0x3c000000
	s_delay_alu instid0(VALU_DEP_2) | instskip(NEXT) | instid1(VALU_DEP_1)
	v_and_b32_e32 v1, 0x80000000, v1
	v_or3_b32 v6, v3, v1, v2
	v_mov_b32_e32 v1, v7
	s_clause 0x1
	scratch_store_b64 off, v[0:1], s32 offset:192
	scratch_store_b64 off, v[6:7], s32 offset:956
.LBB214_712:                            ;   in Loop: Header=BB214_15 Depth=1
	s_wait_xcnt 0x0
	s_or_b32 exec_lo, exec_lo, s16
.LBB214_713:                            ;   in Loop: Header=BB214_15 Depth=1
	s_delay_alu instid0(SALU_CYCLE_1)
	s_or_b32 exec_lo, exec_lo, s15
.LBB214_714:                            ;   in Loop: Header=BB214_15 Depth=1
	s_delay_alu instid0(SALU_CYCLE_1) | instskip(NEXT) | instid1(SALU_CYCLE_1)
	s_or_b32 exec_lo, exec_lo, s14
	s_mov_b32 s14, exec_lo
	v_cmpx_lt_u32_e32 0xffffff, v0
	s_cbranch_execz .LBB214_722
; %bb.715:                              ;   in Loop: Header=BB214_15 Depth=1
	v_mov_b64_e32 v[2:3], 0x8000000000000000
	v_lshrrev_b32_e32 v1, 24, v0
	s_mov_b32 s15, exec_lo
	scratch_store_b64 off, v[2:3], s32 offset:948 ; 8-byte Folded Spill
	s_wait_xcnt 0x0
	v_cmpx_ne_u32_e32 0x80, v1
	s_cbranch_execz .LBB214_721
; %bb.716:                              ;   in Loop: Header=BB214_15 Depth=1
	v_mov_b64_e32 v[4:5], 0x7f80000100000000
	v_bfe_u32 v2, v0, 24, 7
	s_mov_b32 s16, exec_lo
	scratch_store_b64 off, v[4:5], s32 offset:948 ; 8-byte Folded Spill
	s_wait_xcnt 0x0
	v_cmpx_ne_u32_e32 0x7f, v2
	s_cbranch_execz .LBB214_720
; %bb.717:                              ;   in Loop: Header=BB214_15 Depth=1
	scratch_load_b64 v[4:5], off, s32 offset:192 th:TH_LOAD_LU ; 8-byte Folded Reload
	s_wait_loadcnt 0x0
	v_dual_lshrrev_b32 v0, 3, v2 :: v_dual_bitop2_b32 v4, 7, v1 bitop3:0x40
	s_mov_b32 s17, exec_lo
	s_wait_xcnt 0x0
	v_cmpx_gt_u32_e32 8, v2
; %bb.718:                              ;   in Loop: Header=BB214_15 Depth=1
	s_delay_alu instid0(VALU_DEP_2) | instskip(NEXT) | instid1(VALU_DEP_1)
	v_clz_i32_u32_e32 v0, v4
	v_min_u32_e32 v0, 32, v0
	s_delay_alu instid0(VALU_DEP_1) | instskip(NEXT) | instid1(VALU_DEP_1)
	v_subrev_nc_u32_e32 v2, 28, v0
	v_lshlrev_b64_e32 v[2:3], v2, v[4:5]
	s_delay_alu instid0(VALU_DEP_1)
	v_dual_sub_nc_u32 v0, 29, v0 :: v_dual_bitop2_b32 v4, 7, v2 bitop3:0x40
; %bb.719:                              ;   in Loop: Header=BB214_15 Depth=1
	s_or_b32 exec_lo, exec_lo, s17
	s_delay_alu instid0(VALU_DEP_1) | instskip(NEXT) | instid1(VALU_DEP_2)
	v_dual_lshlrev_b32 v1, 24, v1 :: v_dual_lshlrev_b32 v2, 20, v4
	v_lshl_add_u32 v0, v0, 23, 0x3c000000
	s_delay_alu instid0(VALU_DEP_2) | instskip(NEXT) | instid1(VALU_DEP_1)
	v_and_b32_e32 v1, 0x80000000, v1
	v_or3_b32 v3, v2, v1, v0
	v_dual_mov_b32 v1, v5 :: v_dual_mov_b32 v2, v5
	s_clause 0x1
	scratch_store_b64 off, v[0:1], s32 offset:192
	scratch_store_b64 off, v[2:3], s32 offset:948
.LBB214_720:                            ;   in Loop: Header=BB214_15 Depth=1
	s_wait_xcnt 0x0
	s_or_b32 exec_lo, exec_lo, s16
.LBB214_721:                            ;   in Loop: Header=BB214_15 Depth=1
	s_delay_alu instid0(SALU_CYCLE_1)
	s_or_b32 exec_lo, exec_lo, s15
.LBB214_722:                            ;   in Loop: Header=BB214_15 Depth=1
	s_delay_alu instid0(SALU_CYCLE_1)
	s_or_b32 exec_lo, exec_lo, s14
	flat_load_b32 v0, v[120:121] offset:2568
	v_mov_b64_e32 v[2:3], 0
	s_mov_b32 s14, exec_lo
	scratch_store_b64 off, v[2:3], s32 offset:964 ; 8-byte Folded Spill
	s_wait_xcnt 0x0
	v_mov_b64_e32 v[2:3], 0
	scratch_store_b64 off, v[2:3], s32 offset:972 ; 8-byte Folded Spill
	s_wait_loadcnt_dscnt 0x0
	v_and_b32_e32 v1, 0xff, v0
	s_wait_xcnt 0x0
	s_delay_alu instid0(VALU_DEP_1)
	v_cmpx_ne_u16_e32 0, v1
	s_cbranch_execz .LBB214_730
; %bb.723:                              ;   in Loop: Header=BB214_15 Depth=1
	v_mov_b64_e32 v[2:3], 0x80000000
	s_mov_b32 s15, exec_lo
	scratch_store_b64 off, v[2:3], s32 offset:972 ; 8-byte Folded Spill
	s_wait_xcnt 0x0
	v_cmpx_ne_u16_e32 0x80, v1
	s_cbranch_execz .LBB214_729
; %bb.724:                              ;   in Loop: Header=BB214_15 Depth=1
	v_mov_b64_e32 v[4:5], 0x7f800001
	v_and_b32_e32 v2, 0x7f, v0
	s_mov_b32 s16, exec_lo
	scratch_store_b64 off, v[4:5], s32 offset:972 ; 8-byte Folded Spill
	s_wait_xcnt 0x0
	v_cmpx_ne_u32_e32 0x7f, v2
	s_cbranch_execz .LBB214_728
; %bb.725:                              ;   in Loop: Header=BB214_15 Depth=1
	scratch_load_b64 v[4:5], off, s32 offset:192 th:TH_LOAD_LU ; 8-byte Folded Reload
	s_wait_loadcnt 0x0
	v_dual_lshrrev_b32 v1, 3, v2 :: v_dual_bitop2_b32 v4, 7, v0 bitop3:0x40
	s_mov_b32 s17, exec_lo
	s_wait_xcnt 0x0
	v_cmpx_gt_u32_e32 8, v2
; %bb.726:                              ;   in Loop: Header=BB214_15 Depth=1
	s_delay_alu instid0(VALU_DEP_2) | instskip(NEXT) | instid1(VALU_DEP_1)
	v_clz_i32_u32_e32 v1, v4
	v_min_u32_e32 v1, 32, v1
	s_delay_alu instid0(VALU_DEP_1) | instskip(NEXT) | instid1(VALU_DEP_1)
	v_subrev_nc_u32_e32 v2, 28, v1
	v_lshlrev_b64_e32 v[2:3], v2, v[4:5]
	s_delay_alu instid0(VALU_DEP_1)
	v_dual_sub_nc_u32 v1, 29, v1 :: v_dual_bitop2_b32 v4, 7, v2 bitop3:0x40
; %bb.727:                              ;   in Loop: Header=BB214_15 Depth=1
	s_or_b32 exec_lo, exec_lo, s17
	v_lshlrev_b32_e32 v2, 24, v0
	s_delay_alu instid0(VALU_DEP_2) | instskip(NEXT) | instid1(VALU_DEP_3)
	v_lshlrev_b32_e32 v3, 20, v4
	v_lshl_add_u32 v1, v1, 23, 0x3c000000
	s_delay_alu instid0(VALU_DEP_3) | instskip(NEXT) | instid1(VALU_DEP_1)
	v_and_b32_e32 v2, 0x80000000, v2
	v_or3_b32 v4, v3, v2, v1
	v_mov_b32_e32 v1, v5
	s_clause 0x1
	scratch_store_b64 off, v[0:1], s32 offset:192
	scratch_store_b64 off, v[4:5], s32 offset:972
.LBB214_728:                            ;   in Loop: Header=BB214_15 Depth=1
	s_wait_xcnt 0x0
	s_or_b32 exec_lo, exec_lo, s16
.LBB214_729:                            ;   in Loop: Header=BB214_15 Depth=1
	s_delay_alu instid0(SALU_CYCLE_1)
	s_or_b32 exec_lo, exec_lo, s15
.LBB214_730:                            ;   in Loop: Header=BB214_15 Depth=1
	s_delay_alu instid0(SALU_CYCLE_1) | instskip(SKIP_2) | instid1(VALU_DEP_1)
	s_or_b32 exec_lo, exec_lo, s14
	v_lshrrev_b16 v1, 8, v0
	s_mov_b32 s14, exec_lo
	v_cmpx_ne_u16_e32 0, v1
	s_cbranch_execz .LBB214_738
; %bb.731:                              ;   in Loop: Header=BB214_15 Depth=1
	v_mov_b64_e32 v[2:3], 0x8000000000000000
	s_mov_b32 s15, exec_lo
	scratch_store_b64 off, v[2:3], s32 offset:964 ; 8-byte Folded Spill
	s_wait_xcnt 0x0
	v_cmpx_ne_u16_e32 0x80, v1
	s_cbranch_execz .LBB214_737
; %bb.732:                              ;   in Loop: Header=BB214_15 Depth=1
	v_and_b32_e32 v1, 0xffff, v1
	v_mov_b64_e32 v[4:5], 0x7f80000100000000
	s_mov_b32 s16, exec_lo
	s_delay_alu instid0(VALU_DEP_2)
	v_and_b32_e32 v2, 0x7f, v1
	scratch_store_b64 off, v[4:5], s32 offset:964 ; 8-byte Folded Spill
	s_wait_xcnt 0x0
	v_cmpx_ne_u32_e32 0x7f, v2
	s_cbranch_execz .LBB214_736
; %bb.733:                              ;   in Loop: Header=BB214_15 Depth=1
	scratch_load_b64 v[4:5], off, s32 offset:192 th:TH_LOAD_LU ; 8-byte Folded Reload
	s_wait_loadcnt 0x0
	v_dual_lshrrev_b32 v1, 3, v2 :: v_dual_bitop2_b32 v4, 7, v1 bitop3:0x40
	s_mov_b32 s17, exec_lo
	s_wait_xcnt 0x0
	v_cmpx_gt_u32_e32 8, v2
; %bb.734:                              ;   in Loop: Header=BB214_15 Depth=1
	s_delay_alu instid0(VALU_DEP_2) | instskip(NEXT) | instid1(VALU_DEP_1)
	v_clz_i32_u32_e32 v1, v4
	v_min_u32_e32 v1, 32, v1
	s_delay_alu instid0(VALU_DEP_1) | instskip(NEXT) | instid1(VALU_DEP_1)
	v_subrev_nc_u32_e32 v2, 28, v1
	v_lshlrev_b64_e32 v[2:3], v2, v[4:5]
	s_delay_alu instid0(VALU_DEP_1)
	v_dual_sub_nc_u32 v1, 29, v1 :: v_dual_bitop2_b32 v4, 7, v2 bitop3:0x40
; %bb.735:                              ;   in Loop: Header=BB214_15 Depth=1
	s_or_b32 exec_lo, exec_lo, s17
	v_lshlrev_b32_e32 v2, 16, v0
	s_delay_alu instid0(VALU_DEP_2) | instskip(NEXT) | instid1(VALU_DEP_3)
	v_lshlrev_b32_e32 v3, 20, v4
	v_lshl_add_u32 v1, v1, 23, 0x3c000000
	s_delay_alu instid0(VALU_DEP_3) | instskip(NEXT) | instid1(VALU_DEP_1)
	v_and_b32_e32 v2, 0x80000000, v2
	v_or3_b32 v3, v3, v2, v1
	v_dual_mov_b32 v1, v5 :: v_dual_mov_b32 v2, v5
	s_clause 0x1
	scratch_store_b64 off, v[0:1], s32 offset:192
	scratch_store_b64 off, v[2:3], s32 offset:964
.LBB214_736:                            ;   in Loop: Header=BB214_15 Depth=1
	s_wait_xcnt 0x0
	s_or_b32 exec_lo, exec_lo, s16
.LBB214_737:                            ;   in Loop: Header=BB214_15 Depth=1
	s_delay_alu instid0(SALU_CYCLE_1)
	s_or_b32 exec_lo, exec_lo, s15
.LBB214_738:                            ;   in Loop: Header=BB214_15 Depth=1
	s_delay_alu instid0(SALU_CYCLE_1) | instskip(SKIP_3) | instid1(VALU_DEP_1)
	s_or_b32 exec_lo, exec_lo, s14
	v_mov_b64_e32 v[4:5], 0
	v_lshrrev_b32_e32 v1, 16, v0
	s_mov_b32 s14, exec_lo
	v_and_b32_e32 v2, 0xff, v1
	scratch_store_b64 off, v[4:5], s32 offset:980 ; 8-byte Folded Spill
	s_wait_xcnt 0x0
	v_mov_b64_e32 v[4:5], 0
	scratch_store_b64 off, v[4:5], s32 offset:988 ; 8-byte Folded Spill
	s_wait_xcnt 0x0
	v_cmpx_ne_u16_e32 0, v2
	s_cbranch_execz .LBB214_746
; %bb.739:                              ;   in Loop: Header=BB214_15 Depth=1
	v_cmp_ne_u16_e64 s1, 0x80, v2
	v_mov_b64_e32 v[2:3], 0x80000000
	scratch_store_b64 off, v[2:3], s32 offset:988 ; 8-byte Folded Spill
	s_wait_xcnt 0x0
	s_and_saveexec_b32 s15, s1
	s_cbranch_execz .LBB214_745
; %bb.740:                              ;   in Loop: Header=BB214_15 Depth=1
	v_mov_b64_e32 v[4:5], 0x7f800001
	v_bfe_u32 v3, v0, 16, 7
	s_mov_b32 s16, exec_lo
	scratch_store_b64 off, v[4:5], s32 offset:988 ; 8-byte Folded Spill
	s_wait_xcnt 0x0
	v_cmpx_ne_u32_e32 0x7f, v3
	s_cbranch_execz .LBB214_744
; %bb.741:                              ;   in Loop: Header=BB214_15 Depth=1
	scratch_load_b64 v[6:7], off, s32 offset:192 th:TH_LOAD_LU ; 8-byte Folded Reload
	s_wait_loadcnt 0x0
	v_dual_lshrrev_b32 v2, 3, v3 :: v_dual_bitop2_b32 v6, 7, v1 bitop3:0x40
	s_mov_b32 s17, exec_lo
	s_wait_xcnt 0x0
	v_cmpx_gt_u32_e32 8, v3
; %bb.742:                              ;   in Loop: Header=BB214_15 Depth=1
	s_delay_alu instid0(VALU_DEP_2) | instskip(NEXT) | instid1(VALU_DEP_1)
	v_clz_i32_u32_e32 v2, v6
	v_min_u32_e32 v2, 32, v2
	s_delay_alu instid0(VALU_DEP_1) | instskip(NEXT) | instid1(VALU_DEP_1)
	v_subrev_nc_u32_e32 v3, 28, v2
	v_lshlrev_b64_e32 v[4:5], v3, v[6:7]
	s_delay_alu instid0(VALU_DEP_1)
	v_dual_sub_nc_u32 v2, 29, v2 :: v_dual_bitop2_b32 v6, 7, v4 bitop3:0x40
; %bb.743:                              ;   in Loop: Header=BB214_15 Depth=1
	s_or_b32 exec_lo, exec_lo, s17
	s_delay_alu instid0(VALU_DEP_1) | instskip(NEXT) | instid1(VALU_DEP_2)
	v_dual_lshlrev_b32 v1, 24, v1 :: v_dual_lshlrev_b32 v3, 20, v6
	v_lshl_add_u32 v2, v2, 23, 0x3c000000
	s_delay_alu instid0(VALU_DEP_2) | instskip(NEXT) | instid1(VALU_DEP_1)
	v_and_b32_e32 v1, 0x80000000, v1
	v_or3_b32 v6, v3, v1, v2
	v_mov_b32_e32 v1, v7
	s_clause 0x1
	scratch_store_b64 off, v[0:1], s32 offset:192
	scratch_store_b64 off, v[6:7], s32 offset:988
.LBB214_744:                            ;   in Loop: Header=BB214_15 Depth=1
	s_wait_xcnt 0x0
	s_or_b32 exec_lo, exec_lo, s16
.LBB214_745:                            ;   in Loop: Header=BB214_15 Depth=1
	s_delay_alu instid0(SALU_CYCLE_1)
	s_or_b32 exec_lo, exec_lo, s15
.LBB214_746:                            ;   in Loop: Header=BB214_15 Depth=1
	s_delay_alu instid0(SALU_CYCLE_1) | instskip(NEXT) | instid1(SALU_CYCLE_1)
	s_or_b32 exec_lo, exec_lo, s14
	s_mov_b32 s14, exec_lo
	v_cmpx_lt_u32_e32 0xffffff, v0
	s_cbranch_execz .LBB214_754
; %bb.747:                              ;   in Loop: Header=BB214_15 Depth=1
	v_mov_b64_e32 v[2:3], 0x8000000000000000
	v_lshrrev_b32_e32 v1, 24, v0
	s_mov_b32 s15, exec_lo
	scratch_store_b64 off, v[2:3], s32 offset:980 ; 8-byte Folded Spill
	s_wait_xcnt 0x0
	v_cmpx_ne_u32_e32 0x80, v1
	s_cbranch_execz .LBB214_753
; %bb.748:                              ;   in Loop: Header=BB214_15 Depth=1
	v_mov_b64_e32 v[4:5], 0x7f80000100000000
	v_bfe_u32 v2, v0, 24, 7
	s_mov_b32 s16, exec_lo
	scratch_store_b64 off, v[4:5], s32 offset:980 ; 8-byte Folded Spill
	s_wait_xcnt 0x0
	v_cmpx_ne_u32_e32 0x7f, v2
	s_cbranch_execz .LBB214_752
; %bb.749:                              ;   in Loop: Header=BB214_15 Depth=1
	scratch_load_b64 v[4:5], off, s32 offset:192 th:TH_LOAD_LU ; 8-byte Folded Reload
	s_wait_loadcnt 0x0
	v_dual_lshrrev_b32 v0, 3, v2 :: v_dual_bitop2_b32 v4, 7, v1 bitop3:0x40
	s_mov_b32 s17, exec_lo
	s_wait_xcnt 0x0
	v_cmpx_gt_u32_e32 8, v2
; %bb.750:                              ;   in Loop: Header=BB214_15 Depth=1
	s_delay_alu instid0(VALU_DEP_2) | instskip(NEXT) | instid1(VALU_DEP_1)
	v_clz_i32_u32_e32 v0, v4
	v_min_u32_e32 v0, 32, v0
	s_delay_alu instid0(VALU_DEP_1) | instskip(NEXT) | instid1(VALU_DEP_1)
	v_subrev_nc_u32_e32 v2, 28, v0
	v_lshlrev_b64_e32 v[2:3], v2, v[4:5]
	s_delay_alu instid0(VALU_DEP_1)
	v_dual_sub_nc_u32 v0, 29, v0 :: v_dual_bitop2_b32 v4, 7, v2 bitop3:0x40
; %bb.751:                              ;   in Loop: Header=BB214_15 Depth=1
	s_or_b32 exec_lo, exec_lo, s17
	s_delay_alu instid0(VALU_DEP_1) | instskip(NEXT) | instid1(VALU_DEP_2)
	v_dual_lshlrev_b32 v1, 24, v1 :: v_dual_lshlrev_b32 v2, 20, v4
	v_lshl_add_u32 v0, v0, 23, 0x3c000000
	s_delay_alu instid0(VALU_DEP_2) | instskip(NEXT) | instid1(VALU_DEP_1)
	v_and_b32_e32 v1, 0x80000000, v1
	v_or3_b32 v3, v2, v1, v0
	v_dual_mov_b32 v1, v5 :: v_dual_mov_b32 v2, v5
	s_clause 0x1
	scratch_store_b64 off, v[0:1], s32 offset:192
	scratch_store_b64 off, v[2:3], s32 offset:980
.LBB214_752:                            ;   in Loop: Header=BB214_15 Depth=1
	s_wait_xcnt 0x0
	s_or_b32 exec_lo, exec_lo, s16
.LBB214_753:                            ;   in Loop: Header=BB214_15 Depth=1
	s_delay_alu instid0(SALU_CYCLE_1)
	s_or_b32 exec_lo, exec_lo, s15
.LBB214_754:                            ;   in Loop: Header=BB214_15 Depth=1
	s_delay_alu instid0(SALU_CYCLE_1)
	s_or_b32 exec_lo, exec_lo, s14
	flat_load_b32 v0, v[120:121] offset:2572
	v_mov_b64_e32 v[2:3], 0
	s_mov_b32 s14, exec_lo
	scratch_store_b64 off, v[2:3], s32 offset:996 ; 8-byte Folded Spill
	s_wait_xcnt 0x0
	v_mov_b64_e32 v[2:3], 0
	scratch_store_b64 off, v[2:3], s32 offset:1004 ; 8-byte Folded Spill
	s_wait_loadcnt_dscnt 0x0
	v_and_b32_e32 v1, 0xff, v0
	s_wait_xcnt 0x0
	s_delay_alu instid0(VALU_DEP_1)
	v_cmpx_ne_u16_e32 0, v1
	s_cbranch_execz .LBB214_762
; %bb.755:                              ;   in Loop: Header=BB214_15 Depth=1
	v_mov_b64_e32 v[2:3], 0x80000000
	s_mov_b32 s15, exec_lo
	scratch_store_b64 off, v[2:3], s32 offset:1004 ; 8-byte Folded Spill
	s_wait_xcnt 0x0
	v_cmpx_ne_u16_e32 0x80, v1
	s_cbranch_execz .LBB214_761
; %bb.756:                              ;   in Loop: Header=BB214_15 Depth=1
	v_mov_b64_e32 v[4:5], 0x7f800001
	v_and_b32_e32 v2, 0x7f, v0
	s_mov_b32 s16, exec_lo
	scratch_store_b64 off, v[4:5], s32 offset:1004 ; 8-byte Folded Spill
	s_wait_xcnt 0x0
	v_cmpx_ne_u32_e32 0x7f, v2
	s_cbranch_execz .LBB214_760
; %bb.757:                              ;   in Loop: Header=BB214_15 Depth=1
	scratch_load_b64 v[4:5], off, s32 offset:192 th:TH_LOAD_LU ; 8-byte Folded Reload
	s_wait_loadcnt 0x0
	v_dual_lshrrev_b32 v1, 3, v2 :: v_dual_bitop2_b32 v4, 7, v0 bitop3:0x40
	s_mov_b32 s17, exec_lo
	s_wait_xcnt 0x0
	v_cmpx_gt_u32_e32 8, v2
; %bb.758:                              ;   in Loop: Header=BB214_15 Depth=1
	s_delay_alu instid0(VALU_DEP_2) | instskip(NEXT) | instid1(VALU_DEP_1)
	v_clz_i32_u32_e32 v1, v4
	v_min_u32_e32 v1, 32, v1
	s_delay_alu instid0(VALU_DEP_1) | instskip(NEXT) | instid1(VALU_DEP_1)
	v_subrev_nc_u32_e32 v2, 28, v1
	v_lshlrev_b64_e32 v[2:3], v2, v[4:5]
	s_delay_alu instid0(VALU_DEP_1)
	v_dual_sub_nc_u32 v1, 29, v1 :: v_dual_bitop2_b32 v4, 7, v2 bitop3:0x40
; %bb.759:                              ;   in Loop: Header=BB214_15 Depth=1
	s_or_b32 exec_lo, exec_lo, s17
	v_lshlrev_b32_e32 v2, 24, v0
	s_delay_alu instid0(VALU_DEP_2) | instskip(NEXT) | instid1(VALU_DEP_3)
	v_lshlrev_b32_e32 v3, 20, v4
	v_lshl_add_u32 v1, v1, 23, 0x3c000000
	s_delay_alu instid0(VALU_DEP_3) | instskip(NEXT) | instid1(VALU_DEP_1)
	v_and_b32_e32 v2, 0x80000000, v2
	v_or3_b32 v4, v3, v2, v1
	v_mov_b32_e32 v1, v5
	s_clause 0x1
	scratch_store_b64 off, v[0:1], s32 offset:192
	scratch_store_b64 off, v[4:5], s32 offset:1004
.LBB214_760:                            ;   in Loop: Header=BB214_15 Depth=1
	s_wait_xcnt 0x0
	s_or_b32 exec_lo, exec_lo, s16
.LBB214_761:                            ;   in Loop: Header=BB214_15 Depth=1
	s_delay_alu instid0(SALU_CYCLE_1)
	s_or_b32 exec_lo, exec_lo, s15
.LBB214_762:                            ;   in Loop: Header=BB214_15 Depth=1
	s_delay_alu instid0(SALU_CYCLE_1) | instskip(SKIP_2) | instid1(VALU_DEP_1)
	s_or_b32 exec_lo, exec_lo, s14
	v_lshrrev_b16 v1, 8, v0
	s_mov_b32 s14, exec_lo
	v_cmpx_ne_u16_e32 0, v1
	s_cbranch_execz .LBB214_770
; %bb.763:                              ;   in Loop: Header=BB214_15 Depth=1
	v_mov_b64_e32 v[2:3], 0x8000000000000000
	s_mov_b32 s15, exec_lo
	scratch_store_b64 off, v[2:3], s32 offset:996 ; 8-byte Folded Spill
	s_wait_xcnt 0x0
	v_cmpx_ne_u16_e32 0x80, v1
	s_cbranch_execz .LBB214_769
; %bb.764:                              ;   in Loop: Header=BB214_15 Depth=1
	v_and_b32_e32 v1, 0xffff, v1
	v_mov_b64_e32 v[4:5], 0x7f80000100000000
	s_mov_b32 s16, exec_lo
	s_delay_alu instid0(VALU_DEP_2)
	v_and_b32_e32 v2, 0x7f, v1
	scratch_store_b64 off, v[4:5], s32 offset:996 ; 8-byte Folded Spill
	s_wait_xcnt 0x0
	v_cmpx_ne_u32_e32 0x7f, v2
	s_cbranch_execz .LBB214_768
; %bb.765:                              ;   in Loop: Header=BB214_15 Depth=1
	scratch_load_b64 v[4:5], off, s32 offset:192 th:TH_LOAD_LU ; 8-byte Folded Reload
	s_wait_loadcnt 0x0
	v_dual_lshrrev_b32 v1, 3, v2 :: v_dual_bitop2_b32 v4, 7, v1 bitop3:0x40
	s_mov_b32 s17, exec_lo
	s_wait_xcnt 0x0
	v_cmpx_gt_u32_e32 8, v2
; %bb.766:                              ;   in Loop: Header=BB214_15 Depth=1
	s_delay_alu instid0(VALU_DEP_2) | instskip(NEXT) | instid1(VALU_DEP_1)
	v_clz_i32_u32_e32 v1, v4
	v_min_u32_e32 v1, 32, v1
	s_delay_alu instid0(VALU_DEP_1) | instskip(NEXT) | instid1(VALU_DEP_1)
	v_subrev_nc_u32_e32 v2, 28, v1
	v_lshlrev_b64_e32 v[2:3], v2, v[4:5]
	s_delay_alu instid0(VALU_DEP_1)
	v_dual_sub_nc_u32 v1, 29, v1 :: v_dual_bitop2_b32 v4, 7, v2 bitop3:0x40
; %bb.767:                              ;   in Loop: Header=BB214_15 Depth=1
	s_or_b32 exec_lo, exec_lo, s17
	v_lshlrev_b32_e32 v2, 16, v0
	s_delay_alu instid0(VALU_DEP_2) | instskip(NEXT) | instid1(VALU_DEP_3)
	v_lshlrev_b32_e32 v3, 20, v4
	v_lshl_add_u32 v1, v1, 23, 0x3c000000
	s_delay_alu instid0(VALU_DEP_3) | instskip(NEXT) | instid1(VALU_DEP_1)
	v_and_b32_e32 v2, 0x80000000, v2
	v_or3_b32 v3, v3, v2, v1
	v_dual_mov_b32 v1, v5 :: v_dual_mov_b32 v2, v5
	s_clause 0x1
	scratch_store_b64 off, v[0:1], s32 offset:192
	scratch_store_b64 off, v[2:3], s32 offset:996
.LBB214_768:                            ;   in Loop: Header=BB214_15 Depth=1
	s_wait_xcnt 0x0
	s_or_b32 exec_lo, exec_lo, s16
.LBB214_769:                            ;   in Loop: Header=BB214_15 Depth=1
	s_delay_alu instid0(SALU_CYCLE_1)
	s_or_b32 exec_lo, exec_lo, s15
.LBB214_770:                            ;   in Loop: Header=BB214_15 Depth=1
	s_delay_alu instid0(SALU_CYCLE_1) | instskip(SKIP_3) | instid1(VALU_DEP_1)
	s_or_b32 exec_lo, exec_lo, s14
	v_mov_b64_e32 v[4:5], 0
	v_lshrrev_b32_e32 v1, 16, v0
	s_mov_b32 s14, exec_lo
	v_and_b32_e32 v2, 0xff, v1
	scratch_store_b64 off, v[4:5], s32 offset:1012 ; 8-byte Folded Spill
	s_wait_xcnt 0x0
	v_mov_b64_e32 v[4:5], 0
	scratch_store_b64 off, v[4:5], s32 offset:1020 ; 8-byte Folded Spill
	s_wait_xcnt 0x0
	v_cmpx_ne_u16_e32 0, v2
	s_cbranch_execz .LBB214_778
; %bb.771:                              ;   in Loop: Header=BB214_15 Depth=1
	v_cmp_ne_u16_e64 s1, 0x80, v2
	v_mov_b64_e32 v[2:3], 0x80000000
	scratch_store_b64 off, v[2:3], s32 offset:1020 ; 8-byte Folded Spill
	s_wait_xcnt 0x0
	s_and_saveexec_b32 s15, s1
	s_cbranch_execz .LBB214_777
; %bb.772:                              ;   in Loop: Header=BB214_15 Depth=1
	v_mov_b64_e32 v[4:5], 0x7f800001
	v_bfe_u32 v3, v0, 16, 7
	s_mov_b32 s16, exec_lo
	scratch_store_b64 off, v[4:5], s32 offset:1020 ; 8-byte Folded Spill
	s_wait_xcnt 0x0
	v_cmpx_ne_u32_e32 0x7f, v3
	s_cbranch_execz .LBB214_776
; %bb.773:                              ;   in Loop: Header=BB214_15 Depth=1
	scratch_load_b64 v[6:7], off, s32 offset:192 th:TH_LOAD_LU ; 8-byte Folded Reload
	s_wait_loadcnt 0x0
	v_dual_lshrrev_b32 v2, 3, v3 :: v_dual_bitop2_b32 v6, 7, v1 bitop3:0x40
	s_mov_b32 s17, exec_lo
	s_wait_xcnt 0x0
	v_cmpx_gt_u32_e32 8, v3
; %bb.774:                              ;   in Loop: Header=BB214_15 Depth=1
	s_delay_alu instid0(VALU_DEP_2) | instskip(NEXT) | instid1(VALU_DEP_1)
	v_clz_i32_u32_e32 v2, v6
	v_min_u32_e32 v2, 32, v2
	s_delay_alu instid0(VALU_DEP_1) | instskip(NEXT) | instid1(VALU_DEP_1)
	v_subrev_nc_u32_e32 v3, 28, v2
	v_lshlrev_b64_e32 v[4:5], v3, v[6:7]
	s_delay_alu instid0(VALU_DEP_1)
	v_dual_sub_nc_u32 v2, 29, v2 :: v_dual_bitop2_b32 v6, 7, v4 bitop3:0x40
; %bb.775:                              ;   in Loop: Header=BB214_15 Depth=1
	s_or_b32 exec_lo, exec_lo, s17
	s_delay_alu instid0(VALU_DEP_1) | instskip(NEXT) | instid1(VALU_DEP_2)
	v_dual_lshlrev_b32 v1, 24, v1 :: v_dual_lshlrev_b32 v3, 20, v6
	v_lshl_add_u32 v2, v2, 23, 0x3c000000
	s_delay_alu instid0(VALU_DEP_2) | instskip(NEXT) | instid1(VALU_DEP_1)
	v_and_b32_e32 v1, 0x80000000, v1
	v_or3_b32 v6, v3, v1, v2
	v_mov_b32_e32 v1, v7
	s_clause 0x1
	scratch_store_b64 off, v[0:1], s32 offset:192
	scratch_store_b64 off, v[6:7], s32 offset:1020
.LBB214_776:                            ;   in Loop: Header=BB214_15 Depth=1
	s_wait_xcnt 0x0
	s_or_b32 exec_lo, exec_lo, s16
.LBB214_777:                            ;   in Loop: Header=BB214_15 Depth=1
	s_delay_alu instid0(SALU_CYCLE_1)
	s_or_b32 exec_lo, exec_lo, s15
.LBB214_778:                            ;   in Loop: Header=BB214_15 Depth=1
	s_delay_alu instid0(SALU_CYCLE_1) | instskip(NEXT) | instid1(SALU_CYCLE_1)
	s_or_b32 exec_lo, exec_lo, s14
	s_mov_b32 s14, exec_lo
	v_cmpx_lt_u32_e32 0xffffff, v0
	s_cbranch_execz .LBB214_786
; %bb.779:                              ;   in Loop: Header=BB214_15 Depth=1
	v_mov_b64_e32 v[2:3], 0x8000000000000000
	v_lshrrev_b32_e32 v1, 24, v0
	s_mov_b32 s15, exec_lo
	scratch_store_b64 off, v[2:3], s32 offset:1012 ; 8-byte Folded Spill
	s_wait_xcnt 0x0
	v_cmpx_ne_u32_e32 0x80, v1
	s_cbranch_execz .LBB214_785
; %bb.780:                              ;   in Loop: Header=BB214_15 Depth=1
	v_mov_b64_e32 v[4:5], 0x7f80000100000000
	v_bfe_u32 v2, v0, 24, 7
	s_mov_b32 s16, exec_lo
	scratch_store_b64 off, v[4:5], s32 offset:1012 ; 8-byte Folded Spill
	s_wait_xcnt 0x0
	v_cmpx_ne_u32_e32 0x7f, v2
	s_cbranch_execz .LBB214_784
; %bb.781:                              ;   in Loop: Header=BB214_15 Depth=1
	scratch_load_b64 v[4:5], off, s32 offset:192 th:TH_LOAD_LU ; 8-byte Folded Reload
	s_wait_loadcnt 0x0
	v_dual_lshrrev_b32 v0, 3, v2 :: v_dual_bitop2_b32 v4, 7, v1 bitop3:0x40
	s_mov_b32 s17, exec_lo
	s_wait_xcnt 0x0
	v_cmpx_gt_u32_e32 8, v2
; %bb.782:                              ;   in Loop: Header=BB214_15 Depth=1
	s_delay_alu instid0(VALU_DEP_2) | instskip(NEXT) | instid1(VALU_DEP_1)
	v_clz_i32_u32_e32 v0, v4
	v_min_u32_e32 v0, 32, v0
	s_delay_alu instid0(VALU_DEP_1) | instskip(NEXT) | instid1(VALU_DEP_1)
	v_subrev_nc_u32_e32 v2, 28, v0
	v_lshlrev_b64_e32 v[2:3], v2, v[4:5]
	s_delay_alu instid0(VALU_DEP_1)
	v_dual_sub_nc_u32 v0, 29, v0 :: v_dual_bitop2_b32 v4, 7, v2 bitop3:0x40
; %bb.783:                              ;   in Loop: Header=BB214_15 Depth=1
	s_or_b32 exec_lo, exec_lo, s17
	s_delay_alu instid0(VALU_DEP_1) | instskip(NEXT) | instid1(VALU_DEP_2)
	v_dual_lshlrev_b32 v1, 24, v1 :: v_dual_lshlrev_b32 v2, 20, v4
	v_lshl_add_u32 v0, v0, 23, 0x3c000000
	s_delay_alu instid0(VALU_DEP_2) | instskip(NEXT) | instid1(VALU_DEP_1)
	v_and_b32_e32 v1, 0x80000000, v1
	v_or3_b32 v3, v2, v1, v0
	v_dual_mov_b32 v1, v5 :: v_dual_mov_b32 v2, v5
	s_clause 0x1
	scratch_store_b64 off, v[0:1], s32 offset:192
	scratch_store_b64 off, v[2:3], s32 offset:1012
.LBB214_784:                            ;   in Loop: Header=BB214_15 Depth=1
	s_wait_xcnt 0x0
	s_or_b32 exec_lo, exec_lo, s16
.LBB214_785:                            ;   in Loop: Header=BB214_15 Depth=1
	s_delay_alu instid0(SALU_CYCLE_1)
	s_or_b32 exec_lo, exec_lo, s15
.LBB214_786:                            ;   in Loop: Header=BB214_15 Depth=1
	s_delay_alu instid0(SALU_CYCLE_1)
	s_or_b32 exec_lo, exec_lo, s14
	flat_load_b32 v0, v[120:121] offset:3072
	v_mov_b64_e32 v[2:3], 0
	s_mov_b32 s14, exec_lo
	scratch_store_b64 off, v[2:3], s32 offset:1028 ; 8-byte Folded Spill
	s_wait_xcnt 0x0
	v_mov_b64_e32 v[2:3], 0
	scratch_store_b64 off, v[2:3], s32 offset:1036 ; 8-byte Folded Spill
	s_wait_loadcnt_dscnt 0x0
	v_and_b32_e32 v1, 0xff, v0
	s_wait_xcnt 0x0
	s_delay_alu instid0(VALU_DEP_1)
	v_cmpx_ne_u16_e32 0, v1
	s_cbranch_execz .LBB214_794
; %bb.787:                              ;   in Loop: Header=BB214_15 Depth=1
	v_mov_b64_e32 v[2:3], 0x80000000
	s_mov_b32 s15, exec_lo
	scratch_store_b64 off, v[2:3], s32 offset:1036 ; 8-byte Folded Spill
	s_wait_xcnt 0x0
	v_cmpx_ne_u16_e32 0x80, v1
	s_cbranch_execz .LBB214_793
; %bb.788:                              ;   in Loop: Header=BB214_15 Depth=1
	v_mov_b64_e32 v[4:5], 0x7f800001
	v_and_b32_e32 v2, 0x7f, v0
	s_mov_b32 s16, exec_lo
	scratch_store_b64 off, v[4:5], s32 offset:1036 ; 8-byte Folded Spill
	s_wait_xcnt 0x0
	v_cmpx_ne_u32_e32 0x7f, v2
	s_cbranch_execz .LBB214_792
; %bb.789:                              ;   in Loop: Header=BB214_15 Depth=1
	scratch_load_b64 v[4:5], off, s32 offset:192 th:TH_LOAD_LU ; 8-byte Folded Reload
	s_wait_loadcnt 0x0
	v_dual_lshrrev_b32 v1, 3, v2 :: v_dual_bitop2_b32 v4, 7, v0 bitop3:0x40
	s_mov_b32 s17, exec_lo
	s_wait_xcnt 0x0
	v_cmpx_gt_u32_e32 8, v2
; %bb.790:                              ;   in Loop: Header=BB214_15 Depth=1
	s_delay_alu instid0(VALU_DEP_2) | instskip(NEXT) | instid1(VALU_DEP_1)
	v_clz_i32_u32_e32 v1, v4
	v_min_u32_e32 v1, 32, v1
	s_delay_alu instid0(VALU_DEP_1) | instskip(NEXT) | instid1(VALU_DEP_1)
	v_subrev_nc_u32_e32 v2, 28, v1
	v_lshlrev_b64_e32 v[2:3], v2, v[4:5]
	s_delay_alu instid0(VALU_DEP_1)
	v_dual_sub_nc_u32 v1, 29, v1 :: v_dual_bitop2_b32 v4, 7, v2 bitop3:0x40
; %bb.791:                              ;   in Loop: Header=BB214_15 Depth=1
	s_or_b32 exec_lo, exec_lo, s17
	v_lshlrev_b32_e32 v2, 24, v0
	s_delay_alu instid0(VALU_DEP_2) | instskip(NEXT) | instid1(VALU_DEP_3)
	v_lshlrev_b32_e32 v3, 20, v4
	v_lshl_add_u32 v1, v1, 23, 0x3c000000
	s_delay_alu instid0(VALU_DEP_3) | instskip(NEXT) | instid1(VALU_DEP_1)
	v_and_b32_e32 v2, 0x80000000, v2
	v_or3_b32 v4, v3, v2, v1
	v_mov_b32_e32 v1, v5
	s_clause 0x1
	scratch_store_b64 off, v[0:1], s32 offset:192
	scratch_store_b64 off, v[4:5], s32 offset:1036
.LBB214_792:                            ;   in Loop: Header=BB214_15 Depth=1
	s_wait_xcnt 0x0
	s_or_b32 exec_lo, exec_lo, s16
.LBB214_793:                            ;   in Loop: Header=BB214_15 Depth=1
	s_delay_alu instid0(SALU_CYCLE_1)
	s_or_b32 exec_lo, exec_lo, s15
.LBB214_794:                            ;   in Loop: Header=BB214_15 Depth=1
	s_delay_alu instid0(SALU_CYCLE_1) | instskip(SKIP_2) | instid1(VALU_DEP_1)
	s_or_b32 exec_lo, exec_lo, s14
	v_lshrrev_b16 v1, 8, v0
	s_mov_b32 s14, exec_lo
	v_cmpx_ne_u16_e32 0, v1
	s_cbranch_execz .LBB214_802
; %bb.795:                              ;   in Loop: Header=BB214_15 Depth=1
	v_mov_b64_e32 v[2:3], 0x8000000000000000
	s_mov_b32 s15, exec_lo
	scratch_store_b64 off, v[2:3], s32 offset:1028 ; 8-byte Folded Spill
	s_wait_xcnt 0x0
	v_cmpx_ne_u16_e32 0x80, v1
	s_cbranch_execz .LBB214_801
; %bb.796:                              ;   in Loop: Header=BB214_15 Depth=1
	v_and_b32_e32 v1, 0xffff, v1
	v_mov_b64_e32 v[4:5], 0x7f80000100000000
	s_mov_b32 s16, exec_lo
	s_delay_alu instid0(VALU_DEP_2)
	v_and_b32_e32 v2, 0x7f, v1
	scratch_store_b64 off, v[4:5], s32 offset:1028 ; 8-byte Folded Spill
	s_wait_xcnt 0x0
	v_cmpx_ne_u32_e32 0x7f, v2
	s_cbranch_execz .LBB214_800
; %bb.797:                              ;   in Loop: Header=BB214_15 Depth=1
	scratch_load_b64 v[4:5], off, s32 offset:192 th:TH_LOAD_LU ; 8-byte Folded Reload
	s_wait_loadcnt 0x0
	v_dual_lshrrev_b32 v1, 3, v2 :: v_dual_bitop2_b32 v4, 7, v1 bitop3:0x40
	s_mov_b32 s17, exec_lo
	s_wait_xcnt 0x0
	v_cmpx_gt_u32_e32 8, v2
; %bb.798:                              ;   in Loop: Header=BB214_15 Depth=1
	s_delay_alu instid0(VALU_DEP_2) | instskip(NEXT) | instid1(VALU_DEP_1)
	v_clz_i32_u32_e32 v1, v4
	v_min_u32_e32 v1, 32, v1
	s_delay_alu instid0(VALU_DEP_1) | instskip(NEXT) | instid1(VALU_DEP_1)
	v_subrev_nc_u32_e32 v2, 28, v1
	v_lshlrev_b64_e32 v[2:3], v2, v[4:5]
	s_delay_alu instid0(VALU_DEP_1)
	v_dual_sub_nc_u32 v1, 29, v1 :: v_dual_bitop2_b32 v4, 7, v2 bitop3:0x40
; %bb.799:                              ;   in Loop: Header=BB214_15 Depth=1
	s_or_b32 exec_lo, exec_lo, s17
	v_lshlrev_b32_e32 v2, 16, v0
	s_delay_alu instid0(VALU_DEP_2) | instskip(NEXT) | instid1(VALU_DEP_3)
	v_lshlrev_b32_e32 v3, 20, v4
	v_lshl_add_u32 v1, v1, 23, 0x3c000000
	s_delay_alu instid0(VALU_DEP_3) | instskip(NEXT) | instid1(VALU_DEP_1)
	v_and_b32_e32 v2, 0x80000000, v2
	v_or3_b32 v3, v3, v2, v1
	v_dual_mov_b32 v1, v5 :: v_dual_mov_b32 v2, v5
	s_clause 0x1
	scratch_store_b64 off, v[0:1], s32 offset:192
	scratch_store_b64 off, v[2:3], s32 offset:1028
.LBB214_800:                            ;   in Loop: Header=BB214_15 Depth=1
	s_wait_xcnt 0x0
	s_or_b32 exec_lo, exec_lo, s16
.LBB214_801:                            ;   in Loop: Header=BB214_15 Depth=1
	s_delay_alu instid0(SALU_CYCLE_1)
	s_or_b32 exec_lo, exec_lo, s15
.LBB214_802:                            ;   in Loop: Header=BB214_15 Depth=1
	s_delay_alu instid0(SALU_CYCLE_1) | instskip(SKIP_3) | instid1(VALU_DEP_1)
	s_or_b32 exec_lo, exec_lo, s14
	v_mov_b64_e32 v[4:5], 0
	v_lshrrev_b32_e32 v1, 16, v0
	s_mov_b32 s14, exec_lo
	v_and_b32_e32 v2, 0xff, v1
	scratch_store_b64 off, v[4:5], s32 offset:1044 ; 8-byte Folded Spill
	s_wait_xcnt 0x0
	v_mov_b64_e32 v[4:5], 0
	scratch_store_b64 off, v[4:5], s32 offset:1052 ; 8-byte Folded Spill
	s_wait_xcnt 0x0
	v_cmpx_ne_u16_e32 0, v2
	s_cbranch_execz .LBB214_810
; %bb.803:                              ;   in Loop: Header=BB214_15 Depth=1
	v_cmp_ne_u16_e64 s1, 0x80, v2
	v_mov_b64_e32 v[2:3], 0x80000000
	scratch_store_b64 off, v[2:3], s32 offset:1052 ; 8-byte Folded Spill
	s_wait_xcnt 0x0
	s_and_saveexec_b32 s15, s1
	s_cbranch_execz .LBB214_809
; %bb.804:                              ;   in Loop: Header=BB214_15 Depth=1
	v_mov_b64_e32 v[4:5], 0x7f800001
	v_bfe_u32 v3, v0, 16, 7
	s_mov_b32 s16, exec_lo
	scratch_store_b64 off, v[4:5], s32 offset:1052 ; 8-byte Folded Spill
	s_wait_xcnt 0x0
	v_cmpx_ne_u32_e32 0x7f, v3
	s_cbranch_execz .LBB214_808
; %bb.805:                              ;   in Loop: Header=BB214_15 Depth=1
	scratch_load_b64 v[6:7], off, s32 offset:192 th:TH_LOAD_LU ; 8-byte Folded Reload
	s_wait_loadcnt 0x0
	v_dual_lshrrev_b32 v2, 3, v3 :: v_dual_bitop2_b32 v6, 7, v1 bitop3:0x40
	s_mov_b32 s17, exec_lo
	s_wait_xcnt 0x0
	v_cmpx_gt_u32_e32 8, v3
; %bb.806:                              ;   in Loop: Header=BB214_15 Depth=1
	s_delay_alu instid0(VALU_DEP_2) | instskip(NEXT) | instid1(VALU_DEP_1)
	v_clz_i32_u32_e32 v2, v6
	v_min_u32_e32 v2, 32, v2
	s_delay_alu instid0(VALU_DEP_1) | instskip(NEXT) | instid1(VALU_DEP_1)
	v_subrev_nc_u32_e32 v3, 28, v2
	v_lshlrev_b64_e32 v[4:5], v3, v[6:7]
	s_delay_alu instid0(VALU_DEP_1)
	v_dual_sub_nc_u32 v2, 29, v2 :: v_dual_bitop2_b32 v6, 7, v4 bitop3:0x40
; %bb.807:                              ;   in Loop: Header=BB214_15 Depth=1
	s_or_b32 exec_lo, exec_lo, s17
	s_delay_alu instid0(VALU_DEP_1) | instskip(NEXT) | instid1(VALU_DEP_2)
	v_dual_lshlrev_b32 v1, 24, v1 :: v_dual_lshlrev_b32 v3, 20, v6
	v_lshl_add_u32 v2, v2, 23, 0x3c000000
	s_delay_alu instid0(VALU_DEP_2) | instskip(NEXT) | instid1(VALU_DEP_1)
	v_and_b32_e32 v1, 0x80000000, v1
	v_or3_b32 v6, v3, v1, v2
	v_mov_b32_e32 v1, v7
	s_clause 0x1
	scratch_store_b64 off, v[0:1], s32 offset:192
	scratch_store_b64 off, v[6:7], s32 offset:1052
.LBB214_808:                            ;   in Loop: Header=BB214_15 Depth=1
	s_wait_xcnt 0x0
	s_or_b32 exec_lo, exec_lo, s16
.LBB214_809:                            ;   in Loop: Header=BB214_15 Depth=1
	s_delay_alu instid0(SALU_CYCLE_1)
	s_or_b32 exec_lo, exec_lo, s15
.LBB214_810:                            ;   in Loop: Header=BB214_15 Depth=1
	s_delay_alu instid0(SALU_CYCLE_1) | instskip(NEXT) | instid1(SALU_CYCLE_1)
	s_or_b32 exec_lo, exec_lo, s14
	s_mov_b32 s14, exec_lo
	v_cmpx_lt_u32_e32 0xffffff, v0
	s_cbranch_execz .LBB214_818
; %bb.811:                              ;   in Loop: Header=BB214_15 Depth=1
	v_mov_b64_e32 v[2:3], 0x8000000000000000
	v_lshrrev_b32_e32 v1, 24, v0
	s_mov_b32 s15, exec_lo
	scratch_store_b64 off, v[2:3], s32 offset:1044 ; 8-byte Folded Spill
	s_wait_xcnt 0x0
	v_cmpx_ne_u32_e32 0x80, v1
	s_cbranch_execz .LBB214_817
; %bb.812:                              ;   in Loop: Header=BB214_15 Depth=1
	v_mov_b64_e32 v[4:5], 0x7f80000100000000
	v_bfe_u32 v2, v0, 24, 7
	s_mov_b32 s16, exec_lo
	scratch_store_b64 off, v[4:5], s32 offset:1044 ; 8-byte Folded Spill
	s_wait_xcnt 0x0
	v_cmpx_ne_u32_e32 0x7f, v2
	s_cbranch_execz .LBB214_816
; %bb.813:                              ;   in Loop: Header=BB214_15 Depth=1
	scratch_load_b64 v[4:5], off, s32 offset:192 th:TH_LOAD_LU ; 8-byte Folded Reload
	s_wait_loadcnt 0x0
	v_dual_lshrrev_b32 v0, 3, v2 :: v_dual_bitop2_b32 v4, 7, v1 bitop3:0x40
	s_mov_b32 s17, exec_lo
	s_wait_xcnt 0x0
	v_cmpx_gt_u32_e32 8, v2
; %bb.814:                              ;   in Loop: Header=BB214_15 Depth=1
	s_delay_alu instid0(VALU_DEP_2) | instskip(NEXT) | instid1(VALU_DEP_1)
	v_clz_i32_u32_e32 v0, v4
	v_min_u32_e32 v0, 32, v0
	s_delay_alu instid0(VALU_DEP_1) | instskip(NEXT) | instid1(VALU_DEP_1)
	v_subrev_nc_u32_e32 v2, 28, v0
	v_lshlrev_b64_e32 v[2:3], v2, v[4:5]
	s_delay_alu instid0(VALU_DEP_1)
	v_dual_sub_nc_u32 v0, 29, v0 :: v_dual_bitop2_b32 v4, 7, v2 bitop3:0x40
; %bb.815:                              ;   in Loop: Header=BB214_15 Depth=1
	s_or_b32 exec_lo, exec_lo, s17
	s_delay_alu instid0(VALU_DEP_1) | instskip(NEXT) | instid1(VALU_DEP_2)
	v_dual_lshlrev_b32 v1, 24, v1 :: v_dual_lshlrev_b32 v2, 20, v4
	v_lshl_add_u32 v0, v0, 23, 0x3c000000
	s_delay_alu instid0(VALU_DEP_2) | instskip(NEXT) | instid1(VALU_DEP_1)
	v_and_b32_e32 v1, 0x80000000, v1
	v_or3_b32 v3, v2, v1, v0
	v_dual_mov_b32 v1, v5 :: v_dual_mov_b32 v2, v5
	s_clause 0x1
	scratch_store_b64 off, v[0:1], s32 offset:192
	scratch_store_b64 off, v[2:3], s32 offset:1044
.LBB214_816:                            ;   in Loop: Header=BB214_15 Depth=1
	s_wait_xcnt 0x0
	s_or_b32 exec_lo, exec_lo, s16
.LBB214_817:                            ;   in Loop: Header=BB214_15 Depth=1
	s_delay_alu instid0(SALU_CYCLE_1)
	s_or_b32 exec_lo, exec_lo, s15
.LBB214_818:                            ;   in Loop: Header=BB214_15 Depth=1
	s_delay_alu instid0(SALU_CYCLE_1)
	s_or_b32 exec_lo, exec_lo, s14
	flat_load_b32 v0, v[120:121] offset:3076
	v_mov_b64_e32 v[2:3], 0
	s_mov_b32 s14, exec_lo
	scratch_store_b64 off, v[2:3], s32 offset:1060 ; 8-byte Folded Spill
	s_wait_xcnt 0x0
	v_mov_b64_e32 v[2:3], 0
	scratch_store_b64 off, v[2:3], s32 offset:1068 ; 8-byte Folded Spill
	s_wait_loadcnt_dscnt 0x0
	v_and_b32_e32 v1, 0xff, v0
	s_wait_xcnt 0x0
	s_delay_alu instid0(VALU_DEP_1)
	v_cmpx_ne_u16_e32 0, v1
	s_cbranch_execz .LBB214_826
; %bb.819:                              ;   in Loop: Header=BB214_15 Depth=1
	v_mov_b64_e32 v[2:3], 0x80000000
	s_mov_b32 s15, exec_lo
	scratch_store_b64 off, v[2:3], s32 offset:1068 ; 8-byte Folded Spill
	s_wait_xcnt 0x0
	v_cmpx_ne_u16_e32 0x80, v1
	s_cbranch_execz .LBB214_825
; %bb.820:                              ;   in Loop: Header=BB214_15 Depth=1
	v_mov_b64_e32 v[4:5], 0x7f800001
	v_and_b32_e32 v2, 0x7f, v0
	s_mov_b32 s16, exec_lo
	scratch_store_b64 off, v[4:5], s32 offset:1068 ; 8-byte Folded Spill
	s_wait_xcnt 0x0
	v_cmpx_ne_u32_e32 0x7f, v2
	s_cbranch_execz .LBB214_824
; %bb.821:                              ;   in Loop: Header=BB214_15 Depth=1
	scratch_load_b64 v[4:5], off, s32 offset:192 th:TH_LOAD_LU ; 8-byte Folded Reload
	s_wait_loadcnt 0x0
	v_dual_lshrrev_b32 v1, 3, v2 :: v_dual_bitop2_b32 v4, 7, v0 bitop3:0x40
	s_mov_b32 s17, exec_lo
	s_wait_xcnt 0x0
	v_cmpx_gt_u32_e32 8, v2
; %bb.822:                              ;   in Loop: Header=BB214_15 Depth=1
	s_delay_alu instid0(VALU_DEP_2) | instskip(NEXT) | instid1(VALU_DEP_1)
	v_clz_i32_u32_e32 v1, v4
	v_min_u32_e32 v1, 32, v1
	s_delay_alu instid0(VALU_DEP_1) | instskip(NEXT) | instid1(VALU_DEP_1)
	v_subrev_nc_u32_e32 v2, 28, v1
	v_lshlrev_b64_e32 v[2:3], v2, v[4:5]
	s_delay_alu instid0(VALU_DEP_1)
	v_dual_sub_nc_u32 v1, 29, v1 :: v_dual_bitop2_b32 v4, 7, v2 bitop3:0x40
; %bb.823:                              ;   in Loop: Header=BB214_15 Depth=1
	s_or_b32 exec_lo, exec_lo, s17
	v_lshlrev_b32_e32 v2, 24, v0
	s_delay_alu instid0(VALU_DEP_2) | instskip(NEXT) | instid1(VALU_DEP_3)
	v_lshlrev_b32_e32 v3, 20, v4
	v_lshl_add_u32 v1, v1, 23, 0x3c000000
	s_delay_alu instid0(VALU_DEP_3) | instskip(NEXT) | instid1(VALU_DEP_1)
	v_and_b32_e32 v2, 0x80000000, v2
	v_or3_b32 v4, v3, v2, v1
	v_mov_b32_e32 v1, v5
	s_clause 0x1
	scratch_store_b64 off, v[0:1], s32 offset:192
	scratch_store_b64 off, v[4:5], s32 offset:1068
.LBB214_824:                            ;   in Loop: Header=BB214_15 Depth=1
	s_wait_xcnt 0x0
	s_or_b32 exec_lo, exec_lo, s16
.LBB214_825:                            ;   in Loop: Header=BB214_15 Depth=1
	s_delay_alu instid0(SALU_CYCLE_1)
	s_or_b32 exec_lo, exec_lo, s15
.LBB214_826:                            ;   in Loop: Header=BB214_15 Depth=1
	s_delay_alu instid0(SALU_CYCLE_1) | instskip(SKIP_2) | instid1(VALU_DEP_1)
	s_or_b32 exec_lo, exec_lo, s14
	v_lshrrev_b16 v1, 8, v0
	s_mov_b32 s14, exec_lo
	v_cmpx_ne_u16_e32 0, v1
	s_cbranch_execz .LBB214_834
; %bb.827:                              ;   in Loop: Header=BB214_15 Depth=1
	v_mov_b64_e32 v[2:3], 0x8000000000000000
	s_mov_b32 s15, exec_lo
	scratch_store_b64 off, v[2:3], s32 offset:1060 ; 8-byte Folded Spill
	s_wait_xcnt 0x0
	v_cmpx_ne_u16_e32 0x80, v1
	s_cbranch_execz .LBB214_833
; %bb.828:                              ;   in Loop: Header=BB214_15 Depth=1
	v_and_b32_e32 v1, 0xffff, v1
	v_mov_b64_e32 v[4:5], 0x7f80000100000000
	s_mov_b32 s16, exec_lo
	s_delay_alu instid0(VALU_DEP_2)
	v_and_b32_e32 v2, 0x7f, v1
	scratch_store_b64 off, v[4:5], s32 offset:1060 ; 8-byte Folded Spill
	s_wait_xcnt 0x0
	v_cmpx_ne_u32_e32 0x7f, v2
	s_cbranch_execz .LBB214_832
; %bb.829:                              ;   in Loop: Header=BB214_15 Depth=1
	scratch_load_b64 v[4:5], off, s32 offset:192 th:TH_LOAD_LU ; 8-byte Folded Reload
	s_wait_loadcnt 0x0
	v_dual_lshrrev_b32 v1, 3, v2 :: v_dual_bitop2_b32 v4, 7, v1 bitop3:0x40
	s_mov_b32 s17, exec_lo
	s_wait_xcnt 0x0
	v_cmpx_gt_u32_e32 8, v2
; %bb.830:                              ;   in Loop: Header=BB214_15 Depth=1
	s_delay_alu instid0(VALU_DEP_2) | instskip(NEXT) | instid1(VALU_DEP_1)
	v_clz_i32_u32_e32 v1, v4
	v_min_u32_e32 v1, 32, v1
	s_delay_alu instid0(VALU_DEP_1) | instskip(NEXT) | instid1(VALU_DEP_1)
	v_subrev_nc_u32_e32 v2, 28, v1
	v_lshlrev_b64_e32 v[2:3], v2, v[4:5]
	s_delay_alu instid0(VALU_DEP_1)
	v_dual_sub_nc_u32 v1, 29, v1 :: v_dual_bitop2_b32 v4, 7, v2 bitop3:0x40
; %bb.831:                              ;   in Loop: Header=BB214_15 Depth=1
	s_or_b32 exec_lo, exec_lo, s17
	v_lshlrev_b32_e32 v2, 16, v0
	s_delay_alu instid0(VALU_DEP_2) | instskip(NEXT) | instid1(VALU_DEP_3)
	v_lshlrev_b32_e32 v3, 20, v4
	v_lshl_add_u32 v1, v1, 23, 0x3c000000
	s_delay_alu instid0(VALU_DEP_3) | instskip(NEXT) | instid1(VALU_DEP_1)
	v_and_b32_e32 v2, 0x80000000, v2
	v_or3_b32 v3, v3, v2, v1
	v_dual_mov_b32 v1, v5 :: v_dual_mov_b32 v2, v5
	s_clause 0x1
	scratch_store_b64 off, v[0:1], s32 offset:192
	scratch_store_b64 off, v[2:3], s32 offset:1060
.LBB214_832:                            ;   in Loop: Header=BB214_15 Depth=1
	s_wait_xcnt 0x0
	s_or_b32 exec_lo, exec_lo, s16
.LBB214_833:                            ;   in Loop: Header=BB214_15 Depth=1
	s_delay_alu instid0(SALU_CYCLE_1)
	s_or_b32 exec_lo, exec_lo, s15
.LBB214_834:                            ;   in Loop: Header=BB214_15 Depth=1
	s_delay_alu instid0(SALU_CYCLE_1) | instskip(SKIP_3) | instid1(VALU_DEP_1)
	s_or_b32 exec_lo, exec_lo, s14
	v_mov_b64_e32 v[4:5], 0
	v_lshrrev_b32_e32 v1, 16, v0
	s_mov_b32 s14, exec_lo
	v_and_b32_e32 v2, 0xff, v1
	scratch_store_b64 off, v[4:5], s32 offset:1076 ; 8-byte Folded Spill
	s_wait_xcnt 0x0
	v_mov_b64_e32 v[4:5], 0
	scratch_store_b64 off, v[4:5], s32 offset:1084 ; 8-byte Folded Spill
	s_wait_xcnt 0x0
	v_cmpx_ne_u16_e32 0, v2
	s_cbranch_execz .LBB214_842
; %bb.835:                              ;   in Loop: Header=BB214_15 Depth=1
	v_cmp_ne_u16_e64 s1, 0x80, v2
	v_mov_b64_e32 v[2:3], 0x80000000
	scratch_store_b64 off, v[2:3], s32 offset:1084 ; 8-byte Folded Spill
	s_wait_xcnt 0x0
	s_and_saveexec_b32 s15, s1
	s_cbranch_execz .LBB214_841
; %bb.836:                              ;   in Loop: Header=BB214_15 Depth=1
	v_mov_b64_e32 v[4:5], 0x7f800001
	v_bfe_u32 v3, v0, 16, 7
	s_mov_b32 s16, exec_lo
	scratch_store_b64 off, v[4:5], s32 offset:1084 ; 8-byte Folded Spill
	s_wait_xcnt 0x0
	v_cmpx_ne_u32_e32 0x7f, v3
	s_cbranch_execz .LBB214_840
; %bb.837:                              ;   in Loop: Header=BB214_15 Depth=1
	scratch_load_b64 v[6:7], off, s32 offset:192 th:TH_LOAD_LU ; 8-byte Folded Reload
	s_wait_loadcnt 0x0
	v_dual_lshrrev_b32 v2, 3, v3 :: v_dual_bitop2_b32 v6, 7, v1 bitop3:0x40
	s_mov_b32 s17, exec_lo
	s_wait_xcnt 0x0
	v_cmpx_gt_u32_e32 8, v3
; %bb.838:                              ;   in Loop: Header=BB214_15 Depth=1
	s_delay_alu instid0(VALU_DEP_2) | instskip(NEXT) | instid1(VALU_DEP_1)
	v_clz_i32_u32_e32 v2, v6
	v_min_u32_e32 v2, 32, v2
	s_delay_alu instid0(VALU_DEP_1) | instskip(NEXT) | instid1(VALU_DEP_1)
	v_subrev_nc_u32_e32 v3, 28, v2
	v_lshlrev_b64_e32 v[4:5], v3, v[6:7]
	s_delay_alu instid0(VALU_DEP_1)
	v_dual_sub_nc_u32 v2, 29, v2 :: v_dual_bitop2_b32 v6, 7, v4 bitop3:0x40
; %bb.839:                              ;   in Loop: Header=BB214_15 Depth=1
	s_or_b32 exec_lo, exec_lo, s17
	s_delay_alu instid0(VALU_DEP_1) | instskip(NEXT) | instid1(VALU_DEP_2)
	v_dual_lshlrev_b32 v1, 24, v1 :: v_dual_lshlrev_b32 v3, 20, v6
	v_lshl_add_u32 v2, v2, 23, 0x3c000000
	s_delay_alu instid0(VALU_DEP_2) | instskip(NEXT) | instid1(VALU_DEP_1)
	v_and_b32_e32 v1, 0x80000000, v1
	v_or3_b32 v6, v3, v1, v2
	v_mov_b32_e32 v1, v7
	s_clause 0x1
	scratch_store_b64 off, v[0:1], s32 offset:192
	scratch_store_b64 off, v[6:7], s32 offset:1084
.LBB214_840:                            ;   in Loop: Header=BB214_15 Depth=1
	s_wait_xcnt 0x0
	s_or_b32 exec_lo, exec_lo, s16
.LBB214_841:                            ;   in Loop: Header=BB214_15 Depth=1
	s_delay_alu instid0(SALU_CYCLE_1)
	s_or_b32 exec_lo, exec_lo, s15
.LBB214_842:                            ;   in Loop: Header=BB214_15 Depth=1
	s_delay_alu instid0(SALU_CYCLE_1) | instskip(NEXT) | instid1(SALU_CYCLE_1)
	s_or_b32 exec_lo, exec_lo, s14
	s_mov_b32 s14, exec_lo
	v_cmpx_lt_u32_e32 0xffffff, v0
	s_cbranch_execz .LBB214_850
; %bb.843:                              ;   in Loop: Header=BB214_15 Depth=1
	v_mov_b64_e32 v[2:3], 0x8000000000000000
	v_lshrrev_b32_e32 v1, 24, v0
	s_mov_b32 s15, exec_lo
	scratch_store_b64 off, v[2:3], s32 offset:1076 ; 8-byte Folded Spill
	s_wait_xcnt 0x0
	v_cmpx_ne_u32_e32 0x80, v1
	s_cbranch_execz .LBB214_849
; %bb.844:                              ;   in Loop: Header=BB214_15 Depth=1
	v_mov_b64_e32 v[4:5], 0x7f80000100000000
	v_bfe_u32 v2, v0, 24, 7
	s_mov_b32 s16, exec_lo
	scratch_store_b64 off, v[4:5], s32 offset:1076 ; 8-byte Folded Spill
	s_wait_xcnt 0x0
	v_cmpx_ne_u32_e32 0x7f, v2
	s_cbranch_execz .LBB214_848
; %bb.845:                              ;   in Loop: Header=BB214_15 Depth=1
	scratch_load_b64 v[4:5], off, s32 offset:192 th:TH_LOAD_LU ; 8-byte Folded Reload
	s_wait_loadcnt 0x0
	v_dual_lshrrev_b32 v0, 3, v2 :: v_dual_bitop2_b32 v4, 7, v1 bitop3:0x40
	s_mov_b32 s17, exec_lo
	s_wait_xcnt 0x0
	v_cmpx_gt_u32_e32 8, v2
; %bb.846:                              ;   in Loop: Header=BB214_15 Depth=1
	s_delay_alu instid0(VALU_DEP_2) | instskip(NEXT) | instid1(VALU_DEP_1)
	v_clz_i32_u32_e32 v0, v4
	v_min_u32_e32 v0, 32, v0
	s_delay_alu instid0(VALU_DEP_1) | instskip(NEXT) | instid1(VALU_DEP_1)
	v_subrev_nc_u32_e32 v2, 28, v0
	v_lshlrev_b64_e32 v[2:3], v2, v[4:5]
	s_delay_alu instid0(VALU_DEP_1)
	v_dual_sub_nc_u32 v0, 29, v0 :: v_dual_bitop2_b32 v4, 7, v2 bitop3:0x40
; %bb.847:                              ;   in Loop: Header=BB214_15 Depth=1
	s_or_b32 exec_lo, exec_lo, s17
	s_delay_alu instid0(VALU_DEP_1) | instskip(NEXT) | instid1(VALU_DEP_2)
	v_dual_lshlrev_b32 v1, 24, v1 :: v_dual_lshlrev_b32 v2, 20, v4
	v_lshl_add_u32 v0, v0, 23, 0x3c000000
	s_delay_alu instid0(VALU_DEP_2) | instskip(NEXT) | instid1(VALU_DEP_1)
	v_and_b32_e32 v1, 0x80000000, v1
	v_or3_b32 v3, v2, v1, v0
	v_dual_mov_b32 v1, v5 :: v_dual_mov_b32 v2, v5
	s_clause 0x1
	scratch_store_b64 off, v[0:1], s32 offset:192
	scratch_store_b64 off, v[2:3], s32 offset:1076
.LBB214_848:                            ;   in Loop: Header=BB214_15 Depth=1
	s_wait_xcnt 0x0
	s_or_b32 exec_lo, exec_lo, s16
.LBB214_849:                            ;   in Loop: Header=BB214_15 Depth=1
	s_delay_alu instid0(SALU_CYCLE_1)
	s_or_b32 exec_lo, exec_lo, s15
.LBB214_850:                            ;   in Loop: Header=BB214_15 Depth=1
	s_delay_alu instid0(SALU_CYCLE_1)
	s_or_b32 exec_lo, exec_lo, s14
	flat_load_b32 v0, v[120:121] offset:3080
	v_mov_b64_e32 v[2:3], 0
	s_mov_b32 s14, exec_lo
	scratch_store_b64 off, v[2:3], s32 offset:1092 ; 8-byte Folded Spill
	s_wait_xcnt 0x0
	v_mov_b64_e32 v[2:3], 0
	scratch_store_b64 off, v[2:3], s32 offset:1100 ; 8-byte Folded Spill
	s_wait_loadcnt_dscnt 0x0
	v_and_b32_e32 v1, 0xff, v0
	s_wait_xcnt 0x0
	s_delay_alu instid0(VALU_DEP_1)
	v_cmpx_ne_u16_e32 0, v1
	s_cbranch_execz .LBB214_858
; %bb.851:                              ;   in Loop: Header=BB214_15 Depth=1
	v_mov_b64_e32 v[2:3], 0x80000000
	s_mov_b32 s15, exec_lo
	scratch_store_b64 off, v[2:3], s32 offset:1100 ; 8-byte Folded Spill
	s_wait_xcnt 0x0
	v_cmpx_ne_u16_e32 0x80, v1
	s_cbranch_execz .LBB214_857
; %bb.852:                              ;   in Loop: Header=BB214_15 Depth=1
	v_mov_b64_e32 v[4:5], 0x7f800001
	v_and_b32_e32 v2, 0x7f, v0
	s_mov_b32 s16, exec_lo
	scratch_store_b64 off, v[4:5], s32 offset:1100 ; 8-byte Folded Spill
	s_wait_xcnt 0x0
	v_cmpx_ne_u32_e32 0x7f, v2
	s_cbranch_execz .LBB214_856
; %bb.853:                              ;   in Loop: Header=BB214_15 Depth=1
	scratch_load_b64 v[4:5], off, s32 offset:192 th:TH_LOAD_LU ; 8-byte Folded Reload
	s_wait_loadcnt 0x0
	v_dual_lshrrev_b32 v1, 3, v2 :: v_dual_bitop2_b32 v4, 7, v0 bitop3:0x40
	s_mov_b32 s17, exec_lo
	s_wait_xcnt 0x0
	v_cmpx_gt_u32_e32 8, v2
; %bb.854:                              ;   in Loop: Header=BB214_15 Depth=1
	s_delay_alu instid0(VALU_DEP_2) | instskip(NEXT) | instid1(VALU_DEP_1)
	v_clz_i32_u32_e32 v1, v4
	v_min_u32_e32 v1, 32, v1
	s_delay_alu instid0(VALU_DEP_1) | instskip(NEXT) | instid1(VALU_DEP_1)
	v_subrev_nc_u32_e32 v2, 28, v1
	v_lshlrev_b64_e32 v[2:3], v2, v[4:5]
	s_delay_alu instid0(VALU_DEP_1)
	v_dual_sub_nc_u32 v1, 29, v1 :: v_dual_bitop2_b32 v4, 7, v2 bitop3:0x40
; %bb.855:                              ;   in Loop: Header=BB214_15 Depth=1
	s_or_b32 exec_lo, exec_lo, s17
	v_lshlrev_b32_e32 v2, 24, v0
	s_delay_alu instid0(VALU_DEP_2) | instskip(NEXT) | instid1(VALU_DEP_3)
	v_lshlrev_b32_e32 v3, 20, v4
	v_lshl_add_u32 v1, v1, 23, 0x3c000000
	s_delay_alu instid0(VALU_DEP_3) | instskip(NEXT) | instid1(VALU_DEP_1)
	v_and_b32_e32 v2, 0x80000000, v2
	v_or3_b32 v4, v3, v2, v1
	v_mov_b32_e32 v1, v5
	s_clause 0x1
	scratch_store_b64 off, v[0:1], s32 offset:192
	scratch_store_b64 off, v[4:5], s32 offset:1100
.LBB214_856:                            ;   in Loop: Header=BB214_15 Depth=1
	s_wait_xcnt 0x0
	s_or_b32 exec_lo, exec_lo, s16
.LBB214_857:                            ;   in Loop: Header=BB214_15 Depth=1
	s_delay_alu instid0(SALU_CYCLE_1)
	s_or_b32 exec_lo, exec_lo, s15
.LBB214_858:                            ;   in Loop: Header=BB214_15 Depth=1
	s_delay_alu instid0(SALU_CYCLE_1) | instskip(SKIP_2) | instid1(VALU_DEP_1)
	s_or_b32 exec_lo, exec_lo, s14
	v_lshrrev_b16 v1, 8, v0
	s_mov_b32 s14, exec_lo
	v_cmpx_ne_u16_e32 0, v1
	s_cbranch_execz .LBB214_866
; %bb.859:                              ;   in Loop: Header=BB214_15 Depth=1
	v_mov_b64_e32 v[2:3], 0x8000000000000000
	s_mov_b32 s15, exec_lo
	scratch_store_b64 off, v[2:3], s32 offset:1092 ; 8-byte Folded Spill
	s_wait_xcnt 0x0
	v_cmpx_ne_u16_e32 0x80, v1
	s_cbranch_execz .LBB214_865
; %bb.860:                              ;   in Loop: Header=BB214_15 Depth=1
	v_and_b32_e32 v1, 0xffff, v1
	v_mov_b64_e32 v[4:5], 0x7f80000100000000
	s_mov_b32 s16, exec_lo
	s_delay_alu instid0(VALU_DEP_2)
	v_and_b32_e32 v2, 0x7f, v1
	scratch_store_b64 off, v[4:5], s32 offset:1092 ; 8-byte Folded Spill
	s_wait_xcnt 0x0
	v_cmpx_ne_u32_e32 0x7f, v2
	s_cbranch_execz .LBB214_864
; %bb.861:                              ;   in Loop: Header=BB214_15 Depth=1
	scratch_load_b64 v[4:5], off, s32 offset:192 th:TH_LOAD_LU ; 8-byte Folded Reload
	s_wait_loadcnt 0x0
	v_dual_lshrrev_b32 v1, 3, v2 :: v_dual_bitop2_b32 v4, 7, v1 bitop3:0x40
	s_mov_b32 s17, exec_lo
	s_wait_xcnt 0x0
	v_cmpx_gt_u32_e32 8, v2
; %bb.862:                              ;   in Loop: Header=BB214_15 Depth=1
	s_delay_alu instid0(VALU_DEP_2) | instskip(NEXT) | instid1(VALU_DEP_1)
	v_clz_i32_u32_e32 v1, v4
	v_min_u32_e32 v1, 32, v1
	s_delay_alu instid0(VALU_DEP_1) | instskip(NEXT) | instid1(VALU_DEP_1)
	v_subrev_nc_u32_e32 v2, 28, v1
	v_lshlrev_b64_e32 v[2:3], v2, v[4:5]
	s_delay_alu instid0(VALU_DEP_1)
	v_dual_sub_nc_u32 v1, 29, v1 :: v_dual_bitop2_b32 v4, 7, v2 bitop3:0x40
; %bb.863:                              ;   in Loop: Header=BB214_15 Depth=1
	s_or_b32 exec_lo, exec_lo, s17
	v_lshlrev_b32_e32 v2, 16, v0
	s_delay_alu instid0(VALU_DEP_2) | instskip(NEXT) | instid1(VALU_DEP_3)
	v_lshlrev_b32_e32 v3, 20, v4
	v_lshl_add_u32 v1, v1, 23, 0x3c000000
	s_delay_alu instid0(VALU_DEP_3) | instskip(NEXT) | instid1(VALU_DEP_1)
	v_and_b32_e32 v2, 0x80000000, v2
	v_or3_b32 v3, v3, v2, v1
	v_dual_mov_b32 v1, v5 :: v_dual_mov_b32 v2, v5
	s_clause 0x1
	scratch_store_b64 off, v[0:1], s32 offset:192
	scratch_store_b64 off, v[2:3], s32 offset:1092
.LBB214_864:                            ;   in Loop: Header=BB214_15 Depth=1
	s_wait_xcnt 0x0
	s_or_b32 exec_lo, exec_lo, s16
.LBB214_865:                            ;   in Loop: Header=BB214_15 Depth=1
	s_delay_alu instid0(SALU_CYCLE_1)
	s_or_b32 exec_lo, exec_lo, s15
.LBB214_866:                            ;   in Loop: Header=BB214_15 Depth=1
	s_delay_alu instid0(SALU_CYCLE_1) | instskip(SKIP_3) | instid1(VALU_DEP_1)
	s_or_b32 exec_lo, exec_lo, s14
	v_mov_b64_e32 v[4:5], 0
	v_lshrrev_b32_e32 v1, 16, v0
	s_mov_b32 s14, exec_lo
	v_and_b32_e32 v2, 0xff, v1
	scratch_store_b64 off, v[4:5], s32 offset:1108 ; 8-byte Folded Spill
	s_wait_xcnt 0x0
	v_mov_b64_e32 v[4:5], 0
	scratch_store_b64 off, v[4:5], s32 offset:1116 ; 8-byte Folded Spill
	s_wait_xcnt 0x0
	v_cmpx_ne_u16_e32 0, v2
	s_cbranch_execz .LBB214_874
; %bb.867:                              ;   in Loop: Header=BB214_15 Depth=1
	v_cmp_ne_u16_e64 s1, 0x80, v2
	v_mov_b64_e32 v[2:3], 0x80000000
	scratch_store_b64 off, v[2:3], s32 offset:1116 ; 8-byte Folded Spill
	s_wait_xcnt 0x0
	s_and_saveexec_b32 s15, s1
	s_cbranch_execz .LBB214_873
; %bb.868:                              ;   in Loop: Header=BB214_15 Depth=1
	v_mov_b64_e32 v[4:5], 0x7f800001
	v_bfe_u32 v3, v0, 16, 7
	s_mov_b32 s16, exec_lo
	scratch_store_b64 off, v[4:5], s32 offset:1116 ; 8-byte Folded Spill
	s_wait_xcnt 0x0
	v_cmpx_ne_u32_e32 0x7f, v3
	s_cbranch_execz .LBB214_872
; %bb.869:                              ;   in Loop: Header=BB214_15 Depth=1
	scratch_load_b64 v[6:7], off, s32 offset:192 th:TH_LOAD_LU ; 8-byte Folded Reload
	s_wait_loadcnt 0x0
	v_dual_lshrrev_b32 v2, 3, v3 :: v_dual_bitop2_b32 v6, 7, v1 bitop3:0x40
	s_mov_b32 s17, exec_lo
	s_wait_xcnt 0x0
	v_cmpx_gt_u32_e32 8, v3
; %bb.870:                              ;   in Loop: Header=BB214_15 Depth=1
	s_delay_alu instid0(VALU_DEP_2) | instskip(NEXT) | instid1(VALU_DEP_1)
	v_clz_i32_u32_e32 v2, v6
	v_min_u32_e32 v2, 32, v2
	s_delay_alu instid0(VALU_DEP_1) | instskip(NEXT) | instid1(VALU_DEP_1)
	v_subrev_nc_u32_e32 v3, 28, v2
	v_lshlrev_b64_e32 v[4:5], v3, v[6:7]
	s_delay_alu instid0(VALU_DEP_1)
	v_dual_sub_nc_u32 v2, 29, v2 :: v_dual_bitop2_b32 v6, 7, v4 bitop3:0x40
; %bb.871:                              ;   in Loop: Header=BB214_15 Depth=1
	s_or_b32 exec_lo, exec_lo, s17
	s_delay_alu instid0(VALU_DEP_1) | instskip(NEXT) | instid1(VALU_DEP_2)
	v_dual_lshlrev_b32 v1, 24, v1 :: v_dual_lshlrev_b32 v3, 20, v6
	v_lshl_add_u32 v2, v2, 23, 0x3c000000
	s_delay_alu instid0(VALU_DEP_2) | instskip(NEXT) | instid1(VALU_DEP_1)
	v_and_b32_e32 v1, 0x80000000, v1
	v_or3_b32 v6, v3, v1, v2
	v_mov_b32_e32 v1, v7
	s_clause 0x1
	scratch_store_b64 off, v[0:1], s32 offset:192
	scratch_store_b64 off, v[6:7], s32 offset:1116
.LBB214_872:                            ;   in Loop: Header=BB214_15 Depth=1
	s_wait_xcnt 0x0
	s_or_b32 exec_lo, exec_lo, s16
.LBB214_873:                            ;   in Loop: Header=BB214_15 Depth=1
	s_delay_alu instid0(SALU_CYCLE_1)
	s_or_b32 exec_lo, exec_lo, s15
.LBB214_874:                            ;   in Loop: Header=BB214_15 Depth=1
	s_delay_alu instid0(SALU_CYCLE_1) | instskip(NEXT) | instid1(SALU_CYCLE_1)
	s_or_b32 exec_lo, exec_lo, s14
	s_mov_b32 s14, exec_lo
	v_cmpx_lt_u32_e32 0xffffff, v0
	s_cbranch_execz .LBB214_882
; %bb.875:                              ;   in Loop: Header=BB214_15 Depth=1
	v_mov_b64_e32 v[2:3], 0x8000000000000000
	v_lshrrev_b32_e32 v1, 24, v0
	s_mov_b32 s15, exec_lo
	scratch_store_b64 off, v[2:3], s32 offset:1108 ; 8-byte Folded Spill
	s_wait_xcnt 0x0
	v_cmpx_ne_u32_e32 0x80, v1
	s_cbranch_execz .LBB214_881
; %bb.876:                              ;   in Loop: Header=BB214_15 Depth=1
	v_mov_b64_e32 v[4:5], 0x7f80000100000000
	v_bfe_u32 v2, v0, 24, 7
	s_mov_b32 s16, exec_lo
	scratch_store_b64 off, v[4:5], s32 offset:1108 ; 8-byte Folded Spill
	s_wait_xcnt 0x0
	v_cmpx_ne_u32_e32 0x7f, v2
	s_cbranch_execz .LBB214_880
; %bb.877:                              ;   in Loop: Header=BB214_15 Depth=1
	scratch_load_b64 v[4:5], off, s32 offset:192 th:TH_LOAD_LU ; 8-byte Folded Reload
	s_wait_loadcnt 0x0
	v_dual_lshrrev_b32 v0, 3, v2 :: v_dual_bitop2_b32 v4, 7, v1 bitop3:0x40
	s_mov_b32 s17, exec_lo
	s_wait_xcnt 0x0
	v_cmpx_gt_u32_e32 8, v2
; %bb.878:                              ;   in Loop: Header=BB214_15 Depth=1
	s_delay_alu instid0(VALU_DEP_2) | instskip(NEXT) | instid1(VALU_DEP_1)
	v_clz_i32_u32_e32 v0, v4
	v_min_u32_e32 v0, 32, v0
	s_delay_alu instid0(VALU_DEP_1) | instskip(NEXT) | instid1(VALU_DEP_1)
	v_subrev_nc_u32_e32 v2, 28, v0
	v_lshlrev_b64_e32 v[2:3], v2, v[4:5]
	s_delay_alu instid0(VALU_DEP_1)
	v_dual_sub_nc_u32 v0, 29, v0 :: v_dual_bitop2_b32 v4, 7, v2 bitop3:0x40
; %bb.879:                              ;   in Loop: Header=BB214_15 Depth=1
	s_or_b32 exec_lo, exec_lo, s17
	s_delay_alu instid0(VALU_DEP_1) | instskip(NEXT) | instid1(VALU_DEP_2)
	v_dual_lshlrev_b32 v1, 24, v1 :: v_dual_lshlrev_b32 v2, 20, v4
	v_lshl_add_u32 v0, v0, 23, 0x3c000000
	s_delay_alu instid0(VALU_DEP_2) | instskip(NEXT) | instid1(VALU_DEP_1)
	v_and_b32_e32 v1, 0x80000000, v1
	v_or3_b32 v3, v2, v1, v0
	v_dual_mov_b32 v1, v5 :: v_dual_mov_b32 v2, v5
	s_clause 0x1
	scratch_store_b64 off, v[0:1], s32 offset:192
	scratch_store_b64 off, v[2:3], s32 offset:1108
.LBB214_880:                            ;   in Loop: Header=BB214_15 Depth=1
	s_wait_xcnt 0x0
	s_or_b32 exec_lo, exec_lo, s16
.LBB214_881:                            ;   in Loop: Header=BB214_15 Depth=1
	s_delay_alu instid0(SALU_CYCLE_1)
	s_or_b32 exec_lo, exec_lo, s15
.LBB214_882:                            ;   in Loop: Header=BB214_15 Depth=1
	s_delay_alu instid0(SALU_CYCLE_1)
	s_or_b32 exec_lo, exec_lo, s14
	flat_load_b32 v0, v[120:121] offset:3084
	v_mov_b64_e32 v[2:3], 0
	s_mov_b32 s14, exec_lo
	scratch_store_b64 off, v[2:3], s32 offset:1124 ; 8-byte Folded Spill
	s_wait_xcnt 0x0
	v_mov_b64_e32 v[2:3], 0
	scratch_store_b64 off, v[2:3], s32 offset:1132 ; 8-byte Folded Spill
	s_wait_loadcnt_dscnt 0x0
	v_and_b32_e32 v1, 0xff, v0
	s_wait_xcnt 0x0
	s_delay_alu instid0(VALU_DEP_1)
	v_cmpx_ne_u16_e32 0, v1
	s_cbranch_execz .LBB214_890
; %bb.883:                              ;   in Loop: Header=BB214_15 Depth=1
	v_mov_b64_e32 v[2:3], 0x80000000
	s_mov_b32 s15, exec_lo
	scratch_store_b64 off, v[2:3], s32 offset:1132 ; 8-byte Folded Spill
	s_wait_xcnt 0x0
	v_cmpx_ne_u16_e32 0x80, v1
	s_cbranch_execz .LBB214_889
; %bb.884:                              ;   in Loop: Header=BB214_15 Depth=1
	v_mov_b64_e32 v[4:5], 0x7f800001
	v_and_b32_e32 v2, 0x7f, v0
	s_mov_b32 s16, exec_lo
	scratch_store_b64 off, v[4:5], s32 offset:1132 ; 8-byte Folded Spill
	s_wait_xcnt 0x0
	v_cmpx_ne_u32_e32 0x7f, v2
	s_cbranch_execz .LBB214_888
; %bb.885:                              ;   in Loop: Header=BB214_15 Depth=1
	scratch_load_b64 v[4:5], off, s32 offset:192 th:TH_LOAD_LU ; 8-byte Folded Reload
	s_wait_loadcnt 0x0
	v_dual_lshrrev_b32 v1, 3, v2 :: v_dual_bitop2_b32 v4, 7, v0 bitop3:0x40
	s_mov_b32 s17, exec_lo
	s_wait_xcnt 0x0
	v_cmpx_gt_u32_e32 8, v2
; %bb.886:                              ;   in Loop: Header=BB214_15 Depth=1
	s_delay_alu instid0(VALU_DEP_2) | instskip(NEXT) | instid1(VALU_DEP_1)
	v_clz_i32_u32_e32 v1, v4
	v_min_u32_e32 v1, 32, v1
	s_delay_alu instid0(VALU_DEP_1) | instskip(NEXT) | instid1(VALU_DEP_1)
	v_subrev_nc_u32_e32 v2, 28, v1
	v_lshlrev_b64_e32 v[2:3], v2, v[4:5]
	s_delay_alu instid0(VALU_DEP_1)
	v_dual_sub_nc_u32 v1, 29, v1 :: v_dual_bitop2_b32 v4, 7, v2 bitop3:0x40
; %bb.887:                              ;   in Loop: Header=BB214_15 Depth=1
	s_or_b32 exec_lo, exec_lo, s17
	v_lshlrev_b32_e32 v2, 24, v0
	s_delay_alu instid0(VALU_DEP_2) | instskip(NEXT) | instid1(VALU_DEP_3)
	v_lshlrev_b32_e32 v3, 20, v4
	v_lshl_add_u32 v1, v1, 23, 0x3c000000
	s_delay_alu instid0(VALU_DEP_3) | instskip(NEXT) | instid1(VALU_DEP_1)
	v_and_b32_e32 v2, 0x80000000, v2
	v_or3_b32 v4, v3, v2, v1
	v_mov_b32_e32 v1, v5
	s_clause 0x1
	scratch_store_b64 off, v[0:1], s32 offset:192
	scratch_store_b64 off, v[4:5], s32 offset:1132
.LBB214_888:                            ;   in Loop: Header=BB214_15 Depth=1
	s_wait_xcnt 0x0
	s_or_b32 exec_lo, exec_lo, s16
.LBB214_889:                            ;   in Loop: Header=BB214_15 Depth=1
	s_delay_alu instid0(SALU_CYCLE_1)
	s_or_b32 exec_lo, exec_lo, s15
.LBB214_890:                            ;   in Loop: Header=BB214_15 Depth=1
	s_delay_alu instid0(SALU_CYCLE_1) | instskip(SKIP_2) | instid1(VALU_DEP_1)
	s_or_b32 exec_lo, exec_lo, s14
	v_lshrrev_b16 v1, 8, v0
	s_mov_b32 s14, exec_lo
	v_cmpx_ne_u16_e32 0, v1
	s_cbranch_execz .LBB214_898
; %bb.891:                              ;   in Loop: Header=BB214_15 Depth=1
	v_mov_b64_e32 v[2:3], 0x8000000000000000
	s_mov_b32 s15, exec_lo
	scratch_store_b64 off, v[2:3], s32 offset:1124 ; 8-byte Folded Spill
	s_wait_xcnt 0x0
	v_cmpx_ne_u16_e32 0x80, v1
	s_cbranch_execz .LBB214_897
; %bb.892:                              ;   in Loop: Header=BB214_15 Depth=1
	v_and_b32_e32 v1, 0xffff, v1
	v_mov_b64_e32 v[4:5], 0x7f80000100000000
	s_mov_b32 s16, exec_lo
	s_delay_alu instid0(VALU_DEP_2)
	v_and_b32_e32 v2, 0x7f, v1
	scratch_store_b64 off, v[4:5], s32 offset:1124 ; 8-byte Folded Spill
	s_wait_xcnt 0x0
	v_cmpx_ne_u32_e32 0x7f, v2
	s_cbranch_execz .LBB214_896
; %bb.893:                              ;   in Loop: Header=BB214_15 Depth=1
	scratch_load_b64 v[4:5], off, s32 offset:192 th:TH_LOAD_LU ; 8-byte Folded Reload
	s_wait_loadcnt 0x0
	v_dual_lshrrev_b32 v1, 3, v2 :: v_dual_bitop2_b32 v4, 7, v1 bitop3:0x40
	s_mov_b32 s17, exec_lo
	s_wait_xcnt 0x0
	v_cmpx_gt_u32_e32 8, v2
; %bb.894:                              ;   in Loop: Header=BB214_15 Depth=1
	s_delay_alu instid0(VALU_DEP_2) | instskip(NEXT) | instid1(VALU_DEP_1)
	v_clz_i32_u32_e32 v1, v4
	v_min_u32_e32 v1, 32, v1
	s_delay_alu instid0(VALU_DEP_1) | instskip(NEXT) | instid1(VALU_DEP_1)
	v_subrev_nc_u32_e32 v2, 28, v1
	v_lshlrev_b64_e32 v[2:3], v2, v[4:5]
	s_delay_alu instid0(VALU_DEP_1)
	v_dual_sub_nc_u32 v1, 29, v1 :: v_dual_bitop2_b32 v4, 7, v2 bitop3:0x40
; %bb.895:                              ;   in Loop: Header=BB214_15 Depth=1
	s_or_b32 exec_lo, exec_lo, s17
	v_lshlrev_b32_e32 v2, 16, v0
	s_delay_alu instid0(VALU_DEP_2) | instskip(NEXT) | instid1(VALU_DEP_3)
	v_lshlrev_b32_e32 v3, 20, v4
	v_lshl_add_u32 v1, v1, 23, 0x3c000000
	s_delay_alu instid0(VALU_DEP_3) | instskip(NEXT) | instid1(VALU_DEP_1)
	v_and_b32_e32 v2, 0x80000000, v2
	v_or3_b32 v3, v3, v2, v1
	v_dual_mov_b32 v1, v5 :: v_dual_mov_b32 v2, v5
	s_clause 0x1
	scratch_store_b64 off, v[0:1], s32 offset:192
	scratch_store_b64 off, v[2:3], s32 offset:1124
.LBB214_896:                            ;   in Loop: Header=BB214_15 Depth=1
	s_wait_xcnt 0x0
	s_or_b32 exec_lo, exec_lo, s16
.LBB214_897:                            ;   in Loop: Header=BB214_15 Depth=1
	s_delay_alu instid0(SALU_CYCLE_1)
	s_or_b32 exec_lo, exec_lo, s15
.LBB214_898:                            ;   in Loop: Header=BB214_15 Depth=1
	s_delay_alu instid0(SALU_CYCLE_1) | instskip(SKIP_3) | instid1(VALU_DEP_1)
	s_or_b32 exec_lo, exec_lo, s14
	v_mov_b64_e32 v[4:5], 0
	v_lshrrev_b32_e32 v1, 16, v0
	s_mov_b32 s14, exec_lo
	v_and_b32_e32 v2, 0xff, v1
	scratch_store_b64 off, v[4:5], s32 offset:1140 ; 8-byte Folded Spill
	s_wait_xcnt 0x0
	v_mov_b64_e32 v[4:5], 0
	scratch_store_b64 off, v[4:5], s32 offset:1148 ; 8-byte Folded Spill
	s_wait_xcnt 0x0
	v_cmpx_ne_u16_e32 0, v2
	s_cbranch_execz .LBB214_906
; %bb.899:                              ;   in Loop: Header=BB214_15 Depth=1
	v_cmp_ne_u16_e64 s1, 0x80, v2
	v_mov_b64_e32 v[2:3], 0x80000000
	scratch_store_b64 off, v[2:3], s32 offset:1148 ; 8-byte Folded Spill
	s_wait_xcnt 0x0
	s_and_saveexec_b32 s15, s1
	s_cbranch_execz .LBB214_905
; %bb.900:                              ;   in Loop: Header=BB214_15 Depth=1
	v_mov_b64_e32 v[4:5], 0x7f800001
	v_bfe_u32 v3, v0, 16, 7
	s_mov_b32 s16, exec_lo
	scratch_store_b64 off, v[4:5], s32 offset:1148 ; 8-byte Folded Spill
	s_wait_xcnt 0x0
	v_cmpx_ne_u32_e32 0x7f, v3
	s_cbranch_execz .LBB214_904
; %bb.901:                              ;   in Loop: Header=BB214_15 Depth=1
	scratch_load_b64 v[6:7], off, s32 offset:192 th:TH_LOAD_LU ; 8-byte Folded Reload
	s_wait_loadcnt 0x0
	v_dual_lshrrev_b32 v2, 3, v3 :: v_dual_bitop2_b32 v6, 7, v1 bitop3:0x40
	s_mov_b32 s17, exec_lo
	s_wait_xcnt 0x0
	v_cmpx_gt_u32_e32 8, v3
; %bb.902:                              ;   in Loop: Header=BB214_15 Depth=1
	s_delay_alu instid0(VALU_DEP_2) | instskip(NEXT) | instid1(VALU_DEP_1)
	v_clz_i32_u32_e32 v2, v6
	v_min_u32_e32 v2, 32, v2
	s_delay_alu instid0(VALU_DEP_1) | instskip(NEXT) | instid1(VALU_DEP_1)
	v_subrev_nc_u32_e32 v3, 28, v2
	v_lshlrev_b64_e32 v[4:5], v3, v[6:7]
	s_delay_alu instid0(VALU_DEP_1)
	v_dual_sub_nc_u32 v2, 29, v2 :: v_dual_bitop2_b32 v6, 7, v4 bitop3:0x40
; %bb.903:                              ;   in Loop: Header=BB214_15 Depth=1
	s_or_b32 exec_lo, exec_lo, s17
	s_delay_alu instid0(VALU_DEP_1) | instskip(NEXT) | instid1(VALU_DEP_2)
	v_dual_lshlrev_b32 v1, 24, v1 :: v_dual_lshlrev_b32 v3, 20, v6
	v_lshl_add_u32 v2, v2, 23, 0x3c000000
	s_delay_alu instid0(VALU_DEP_2) | instskip(NEXT) | instid1(VALU_DEP_1)
	v_and_b32_e32 v1, 0x80000000, v1
	v_or3_b32 v6, v3, v1, v2
	v_mov_b32_e32 v1, v7
	s_clause 0x1
	scratch_store_b64 off, v[0:1], s32 offset:192
	scratch_store_b64 off, v[6:7], s32 offset:1148
.LBB214_904:                            ;   in Loop: Header=BB214_15 Depth=1
	s_wait_xcnt 0x0
	s_or_b32 exec_lo, exec_lo, s16
.LBB214_905:                            ;   in Loop: Header=BB214_15 Depth=1
	s_delay_alu instid0(SALU_CYCLE_1)
	s_or_b32 exec_lo, exec_lo, s15
.LBB214_906:                            ;   in Loop: Header=BB214_15 Depth=1
	s_delay_alu instid0(SALU_CYCLE_1) | instskip(NEXT) | instid1(SALU_CYCLE_1)
	s_or_b32 exec_lo, exec_lo, s14
	s_mov_b32 s14, exec_lo
	v_cmpx_lt_u32_e32 0xffffff, v0
	s_cbranch_execz .LBB214_914
; %bb.907:                              ;   in Loop: Header=BB214_15 Depth=1
	v_mov_b64_e32 v[2:3], 0x8000000000000000
	v_lshrrev_b32_e32 v1, 24, v0
	s_mov_b32 s15, exec_lo
	scratch_store_b64 off, v[2:3], s32 offset:1140 ; 8-byte Folded Spill
	s_wait_xcnt 0x0
	v_cmpx_ne_u32_e32 0x80, v1
	s_cbranch_execz .LBB214_913
; %bb.908:                              ;   in Loop: Header=BB214_15 Depth=1
	v_mov_b64_e32 v[4:5], 0x7f80000100000000
	v_bfe_u32 v2, v0, 24, 7
	s_mov_b32 s16, exec_lo
	scratch_store_b64 off, v[4:5], s32 offset:1140 ; 8-byte Folded Spill
	s_wait_xcnt 0x0
	v_cmpx_ne_u32_e32 0x7f, v2
	s_cbranch_execz .LBB214_912
; %bb.909:                              ;   in Loop: Header=BB214_15 Depth=1
	scratch_load_b64 v[4:5], off, s32 offset:192 th:TH_LOAD_LU ; 8-byte Folded Reload
	s_wait_loadcnt 0x0
	v_dual_lshrrev_b32 v0, 3, v2 :: v_dual_bitop2_b32 v4, 7, v1 bitop3:0x40
	s_mov_b32 s17, exec_lo
	s_wait_xcnt 0x0
	v_cmpx_gt_u32_e32 8, v2
; %bb.910:                              ;   in Loop: Header=BB214_15 Depth=1
	s_delay_alu instid0(VALU_DEP_2) | instskip(NEXT) | instid1(VALU_DEP_1)
	v_clz_i32_u32_e32 v0, v4
	v_min_u32_e32 v0, 32, v0
	s_delay_alu instid0(VALU_DEP_1) | instskip(NEXT) | instid1(VALU_DEP_1)
	v_subrev_nc_u32_e32 v2, 28, v0
	v_lshlrev_b64_e32 v[2:3], v2, v[4:5]
	s_delay_alu instid0(VALU_DEP_1)
	v_dual_sub_nc_u32 v0, 29, v0 :: v_dual_bitop2_b32 v4, 7, v2 bitop3:0x40
; %bb.911:                              ;   in Loop: Header=BB214_15 Depth=1
	s_or_b32 exec_lo, exec_lo, s17
	s_delay_alu instid0(VALU_DEP_1) | instskip(NEXT) | instid1(VALU_DEP_2)
	v_dual_lshlrev_b32 v1, 24, v1 :: v_dual_lshlrev_b32 v2, 20, v4
	v_lshl_add_u32 v0, v0, 23, 0x3c000000
	s_delay_alu instid0(VALU_DEP_2) | instskip(NEXT) | instid1(VALU_DEP_1)
	v_and_b32_e32 v1, 0x80000000, v1
	v_or3_b32 v3, v2, v1, v0
	v_dual_mov_b32 v1, v5 :: v_dual_mov_b32 v2, v5
	s_clause 0x1
	scratch_store_b64 off, v[0:1], s32 offset:192
	scratch_store_b64 off, v[2:3], s32 offset:1140
.LBB214_912:                            ;   in Loop: Header=BB214_15 Depth=1
	s_wait_xcnt 0x0
	s_or_b32 exec_lo, exec_lo, s16
.LBB214_913:                            ;   in Loop: Header=BB214_15 Depth=1
	s_delay_alu instid0(SALU_CYCLE_1)
	s_or_b32 exec_lo, exec_lo, s15
.LBB214_914:                            ;   in Loop: Header=BB214_15 Depth=1
	s_delay_alu instid0(SALU_CYCLE_1)
	s_or_b32 exec_lo, exec_lo, s14
	flat_load_b32 v0, v[120:121] offset:3584
	v_mov_b64_e32 v[2:3], 0
	s_mov_b32 s14, exec_lo
	scratch_store_b64 off, v[2:3], s32 offset:1156 ; 8-byte Folded Spill
	s_wait_xcnt 0x0
	v_mov_b64_e32 v[2:3], 0
	scratch_store_b64 off, v[2:3], s32 offset:1164 ; 8-byte Folded Spill
	s_wait_loadcnt_dscnt 0x0
	v_and_b32_e32 v1, 0xff, v0
	s_wait_xcnt 0x0
	s_delay_alu instid0(VALU_DEP_1)
	v_cmpx_ne_u16_e32 0, v1
	s_cbranch_execz .LBB214_922
; %bb.915:                              ;   in Loop: Header=BB214_15 Depth=1
	v_mov_b64_e32 v[2:3], 0x80000000
	s_mov_b32 s15, exec_lo
	scratch_store_b64 off, v[2:3], s32 offset:1164 ; 8-byte Folded Spill
	s_wait_xcnt 0x0
	v_cmpx_ne_u16_e32 0x80, v1
	s_cbranch_execz .LBB214_921
; %bb.916:                              ;   in Loop: Header=BB214_15 Depth=1
	v_mov_b64_e32 v[4:5], 0x7f800001
	v_and_b32_e32 v2, 0x7f, v0
	s_mov_b32 s16, exec_lo
	scratch_store_b64 off, v[4:5], s32 offset:1164 ; 8-byte Folded Spill
	s_wait_xcnt 0x0
	v_cmpx_ne_u32_e32 0x7f, v2
	s_cbranch_execz .LBB214_920
; %bb.917:                              ;   in Loop: Header=BB214_15 Depth=1
	scratch_load_b64 v[4:5], off, s32 offset:192 th:TH_LOAD_LU ; 8-byte Folded Reload
	s_wait_loadcnt 0x0
	v_dual_lshrrev_b32 v1, 3, v2 :: v_dual_bitop2_b32 v4, 7, v0 bitop3:0x40
	s_mov_b32 s17, exec_lo
	s_wait_xcnt 0x0
	v_cmpx_gt_u32_e32 8, v2
; %bb.918:                              ;   in Loop: Header=BB214_15 Depth=1
	s_delay_alu instid0(VALU_DEP_2) | instskip(NEXT) | instid1(VALU_DEP_1)
	v_clz_i32_u32_e32 v1, v4
	v_min_u32_e32 v1, 32, v1
	s_delay_alu instid0(VALU_DEP_1) | instskip(NEXT) | instid1(VALU_DEP_1)
	v_subrev_nc_u32_e32 v2, 28, v1
	v_lshlrev_b64_e32 v[2:3], v2, v[4:5]
	s_delay_alu instid0(VALU_DEP_1)
	v_dual_sub_nc_u32 v1, 29, v1 :: v_dual_bitop2_b32 v4, 7, v2 bitop3:0x40
; %bb.919:                              ;   in Loop: Header=BB214_15 Depth=1
	s_or_b32 exec_lo, exec_lo, s17
	v_lshlrev_b32_e32 v2, 24, v0
	s_delay_alu instid0(VALU_DEP_2) | instskip(NEXT) | instid1(VALU_DEP_3)
	v_lshlrev_b32_e32 v3, 20, v4
	v_lshl_add_u32 v1, v1, 23, 0x3c000000
	s_delay_alu instid0(VALU_DEP_3) | instskip(NEXT) | instid1(VALU_DEP_1)
	v_and_b32_e32 v2, 0x80000000, v2
	v_or3_b32 v4, v3, v2, v1
	v_mov_b32_e32 v1, v5
	s_clause 0x1
	scratch_store_b64 off, v[0:1], s32 offset:192
	scratch_store_b64 off, v[4:5], s32 offset:1164
.LBB214_920:                            ;   in Loop: Header=BB214_15 Depth=1
	s_wait_xcnt 0x0
	s_or_b32 exec_lo, exec_lo, s16
.LBB214_921:                            ;   in Loop: Header=BB214_15 Depth=1
	s_delay_alu instid0(SALU_CYCLE_1)
	s_or_b32 exec_lo, exec_lo, s15
.LBB214_922:                            ;   in Loop: Header=BB214_15 Depth=1
	s_delay_alu instid0(SALU_CYCLE_1) | instskip(SKIP_2) | instid1(VALU_DEP_1)
	s_or_b32 exec_lo, exec_lo, s14
	v_lshrrev_b16 v1, 8, v0
	s_mov_b32 s14, exec_lo
	v_cmpx_ne_u16_e32 0, v1
	s_cbranch_execz .LBB214_930
; %bb.923:                              ;   in Loop: Header=BB214_15 Depth=1
	v_mov_b64_e32 v[2:3], 0x8000000000000000
	s_mov_b32 s15, exec_lo
	scratch_store_b64 off, v[2:3], s32 offset:1156 ; 8-byte Folded Spill
	s_wait_xcnt 0x0
	v_cmpx_ne_u16_e32 0x80, v1
	s_cbranch_execz .LBB214_929
; %bb.924:                              ;   in Loop: Header=BB214_15 Depth=1
	v_and_b32_e32 v1, 0xffff, v1
	v_mov_b64_e32 v[4:5], 0x7f80000100000000
	s_mov_b32 s16, exec_lo
	s_delay_alu instid0(VALU_DEP_2)
	v_and_b32_e32 v2, 0x7f, v1
	scratch_store_b64 off, v[4:5], s32 offset:1156 ; 8-byte Folded Spill
	s_wait_xcnt 0x0
	v_cmpx_ne_u32_e32 0x7f, v2
	s_cbranch_execz .LBB214_928
; %bb.925:                              ;   in Loop: Header=BB214_15 Depth=1
	scratch_load_b64 v[4:5], off, s32 offset:192 th:TH_LOAD_LU ; 8-byte Folded Reload
	s_wait_loadcnt 0x0
	v_dual_lshrrev_b32 v1, 3, v2 :: v_dual_bitop2_b32 v4, 7, v1 bitop3:0x40
	s_mov_b32 s17, exec_lo
	s_wait_xcnt 0x0
	v_cmpx_gt_u32_e32 8, v2
; %bb.926:                              ;   in Loop: Header=BB214_15 Depth=1
	s_delay_alu instid0(VALU_DEP_2) | instskip(NEXT) | instid1(VALU_DEP_1)
	v_clz_i32_u32_e32 v1, v4
	v_min_u32_e32 v1, 32, v1
	s_delay_alu instid0(VALU_DEP_1) | instskip(NEXT) | instid1(VALU_DEP_1)
	v_subrev_nc_u32_e32 v2, 28, v1
	v_lshlrev_b64_e32 v[2:3], v2, v[4:5]
	s_delay_alu instid0(VALU_DEP_1)
	v_dual_sub_nc_u32 v1, 29, v1 :: v_dual_bitop2_b32 v4, 7, v2 bitop3:0x40
; %bb.927:                              ;   in Loop: Header=BB214_15 Depth=1
	s_or_b32 exec_lo, exec_lo, s17
	v_lshlrev_b32_e32 v2, 16, v0
	s_delay_alu instid0(VALU_DEP_2) | instskip(NEXT) | instid1(VALU_DEP_3)
	v_lshlrev_b32_e32 v3, 20, v4
	v_lshl_add_u32 v1, v1, 23, 0x3c000000
	s_delay_alu instid0(VALU_DEP_3) | instskip(NEXT) | instid1(VALU_DEP_1)
	v_and_b32_e32 v2, 0x80000000, v2
	v_or3_b32 v3, v3, v2, v1
	v_dual_mov_b32 v1, v5 :: v_dual_mov_b32 v2, v5
	s_clause 0x1
	scratch_store_b64 off, v[0:1], s32 offset:192
	scratch_store_b64 off, v[2:3], s32 offset:1156
.LBB214_928:                            ;   in Loop: Header=BB214_15 Depth=1
	s_wait_xcnt 0x0
	s_or_b32 exec_lo, exec_lo, s16
.LBB214_929:                            ;   in Loop: Header=BB214_15 Depth=1
	s_delay_alu instid0(SALU_CYCLE_1)
	s_or_b32 exec_lo, exec_lo, s15
.LBB214_930:                            ;   in Loop: Header=BB214_15 Depth=1
	s_delay_alu instid0(SALU_CYCLE_1) | instskip(SKIP_3) | instid1(VALU_DEP_1)
	s_or_b32 exec_lo, exec_lo, s14
	v_mov_b64_e32 v[4:5], 0
	v_lshrrev_b32_e32 v1, 16, v0
	s_mov_b32 s14, exec_lo
	v_and_b32_e32 v2, 0xff, v1
	scratch_store_b64 off, v[4:5], s32 offset:1172 ; 8-byte Folded Spill
	s_wait_xcnt 0x0
	v_mov_b64_e32 v[4:5], 0
	scratch_store_b64 off, v[4:5], s32 offset:1180 ; 8-byte Folded Spill
	s_wait_xcnt 0x0
	v_cmpx_ne_u16_e32 0, v2
	s_cbranch_execz .LBB214_938
; %bb.931:                              ;   in Loop: Header=BB214_15 Depth=1
	v_cmp_ne_u16_e64 s1, 0x80, v2
	v_mov_b64_e32 v[2:3], 0x80000000
	scratch_store_b64 off, v[2:3], s32 offset:1180 ; 8-byte Folded Spill
	s_wait_xcnt 0x0
	s_and_saveexec_b32 s15, s1
	s_cbranch_execz .LBB214_937
; %bb.932:                              ;   in Loop: Header=BB214_15 Depth=1
	v_mov_b64_e32 v[4:5], 0x7f800001
	v_bfe_u32 v3, v0, 16, 7
	s_mov_b32 s16, exec_lo
	scratch_store_b64 off, v[4:5], s32 offset:1180 ; 8-byte Folded Spill
	s_wait_xcnt 0x0
	v_cmpx_ne_u32_e32 0x7f, v3
	s_cbranch_execz .LBB214_936
; %bb.933:                              ;   in Loop: Header=BB214_15 Depth=1
	scratch_load_b64 v[6:7], off, s32 offset:192 th:TH_LOAD_LU ; 8-byte Folded Reload
	s_wait_loadcnt 0x0
	v_dual_lshrrev_b32 v2, 3, v3 :: v_dual_bitop2_b32 v6, 7, v1 bitop3:0x40
	s_mov_b32 s17, exec_lo
	s_wait_xcnt 0x0
	v_cmpx_gt_u32_e32 8, v3
; %bb.934:                              ;   in Loop: Header=BB214_15 Depth=1
	s_delay_alu instid0(VALU_DEP_2) | instskip(NEXT) | instid1(VALU_DEP_1)
	v_clz_i32_u32_e32 v2, v6
	v_min_u32_e32 v2, 32, v2
	s_delay_alu instid0(VALU_DEP_1) | instskip(NEXT) | instid1(VALU_DEP_1)
	v_subrev_nc_u32_e32 v3, 28, v2
	v_lshlrev_b64_e32 v[4:5], v3, v[6:7]
	s_delay_alu instid0(VALU_DEP_1)
	v_dual_sub_nc_u32 v2, 29, v2 :: v_dual_bitop2_b32 v6, 7, v4 bitop3:0x40
; %bb.935:                              ;   in Loop: Header=BB214_15 Depth=1
	s_or_b32 exec_lo, exec_lo, s17
	s_delay_alu instid0(VALU_DEP_1) | instskip(NEXT) | instid1(VALU_DEP_2)
	v_dual_lshlrev_b32 v1, 24, v1 :: v_dual_lshlrev_b32 v3, 20, v6
	v_lshl_add_u32 v2, v2, 23, 0x3c000000
	s_delay_alu instid0(VALU_DEP_2) | instskip(NEXT) | instid1(VALU_DEP_1)
	v_and_b32_e32 v1, 0x80000000, v1
	v_or3_b32 v6, v3, v1, v2
	v_mov_b32_e32 v1, v7
	s_clause 0x1
	scratch_store_b64 off, v[0:1], s32 offset:192
	scratch_store_b64 off, v[6:7], s32 offset:1180
.LBB214_936:                            ;   in Loop: Header=BB214_15 Depth=1
	s_wait_xcnt 0x0
	s_or_b32 exec_lo, exec_lo, s16
.LBB214_937:                            ;   in Loop: Header=BB214_15 Depth=1
	s_delay_alu instid0(SALU_CYCLE_1)
	s_or_b32 exec_lo, exec_lo, s15
.LBB214_938:                            ;   in Loop: Header=BB214_15 Depth=1
	s_delay_alu instid0(SALU_CYCLE_1) | instskip(NEXT) | instid1(SALU_CYCLE_1)
	s_or_b32 exec_lo, exec_lo, s14
	s_mov_b32 s14, exec_lo
	v_cmpx_lt_u32_e32 0xffffff, v0
	s_cbranch_execz .LBB214_946
; %bb.939:                              ;   in Loop: Header=BB214_15 Depth=1
	v_mov_b64_e32 v[2:3], 0x8000000000000000
	v_lshrrev_b32_e32 v1, 24, v0
	s_mov_b32 s15, exec_lo
	scratch_store_b64 off, v[2:3], s32 offset:1172 ; 8-byte Folded Spill
	s_wait_xcnt 0x0
	v_cmpx_ne_u32_e32 0x80, v1
	s_cbranch_execz .LBB214_945
; %bb.940:                              ;   in Loop: Header=BB214_15 Depth=1
	v_mov_b64_e32 v[4:5], 0x7f80000100000000
	v_bfe_u32 v2, v0, 24, 7
	s_mov_b32 s16, exec_lo
	scratch_store_b64 off, v[4:5], s32 offset:1172 ; 8-byte Folded Spill
	s_wait_xcnt 0x0
	v_cmpx_ne_u32_e32 0x7f, v2
	s_cbranch_execz .LBB214_944
; %bb.941:                              ;   in Loop: Header=BB214_15 Depth=1
	scratch_load_b64 v[4:5], off, s32 offset:192 th:TH_LOAD_LU ; 8-byte Folded Reload
	s_wait_loadcnt 0x0
	v_dual_lshrrev_b32 v0, 3, v2 :: v_dual_bitop2_b32 v4, 7, v1 bitop3:0x40
	s_mov_b32 s17, exec_lo
	s_wait_xcnt 0x0
	v_cmpx_gt_u32_e32 8, v2
; %bb.942:                              ;   in Loop: Header=BB214_15 Depth=1
	s_delay_alu instid0(VALU_DEP_2) | instskip(NEXT) | instid1(VALU_DEP_1)
	v_clz_i32_u32_e32 v0, v4
	v_min_u32_e32 v0, 32, v0
	s_delay_alu instid0(VALU_DEP_1) | instskip(NEXT) | instid1(VALU_DEP_1)
	v_subrev_nc_u32_e32 v2, 28, v0
	v_lshlrev_b64_e32 v[2:3], v2, v[4:5]
	s_delay_alu instid0(VALU_DEP_1)
	v_dual_sub_nc_u32 v0, 29, v0 :: v_dual_bitop2_b32 v4, 7, v2 bitop3:0x40
; %bb.943:                              ;   in Loop: Header=BB214_15 Depth=1
	s_or_b32 exec_lo, exec_lo, s17
	s_delay_alu instid0(VALU_DEP_1) | instskip(NEXT) | instid1(VALU_DEP_2)
	v_dual_lshlrev_b32 v1, 24, v1 :: v_dual_lshlrev_b32 v2, 20, v4
	v_lshl_add_u32 v0, v0, 23, 0x3c000000
	s_delay_alu instid0(VALU_DEP_2) | instskip(NEXT) | instid1(VALU_DEP_1)
	v_and_b32_e32 v1, 0x80000000, v1
	v_or3_b32 v3, v2, v1, v0
	v_dual_mov_b32 v1, v5 :: v_dual_mov_b32 v2, v5
	s_clause 0x1
	scratch_store_b64 off, v[0:1], s32 offset:192
	scratch_store_b64 off, v[2:3], s32 offset:1172
.LBB214_944:                            ;   in Loop: Header=BB214_15 Depth=1
	s_wait_xcnt 0x0
	s_or_b32 exec_lo, exec_lo, s16
.LBB214_945:                            ;   in Loop: Header=BB214_15 Depth=1
	s_delay_alu instid0(SALU_CYCLE_1)
	s_or_b32 exec_lo, exec_lo, s15
.LBB214_946:                            ;   in Loop: Header=BB214_15 Depth=1
	s_delay_alu instid0(SALU_CYCLE_1)
	s_or_b32 exec_lo, exec_lo, s14
	flat_load_b32 v0, v[120:121] offset:3588
	v_mov_b64_e32 v[2:3], 0
	s_mov_b32 s14, exec_lo
	scratch_store_b64 off, v[2:3], s32 offset:1188 ; 8-byte Folded Spill
	s_wait_xcnt 0x0
	v_mov_b64_e32 v[2:3], 0
	scratch_store_b64 off, v[2:3], s32 offset:1196 ; 8-byte Folded Spill
	s_wait_loadcnt_dscnt 0x0
	v_and_b32_e32 v1, 0xff, v0
	s_wait_xcnt 0x0
	s_delay_alu instid0(VALU_DEP_1)
	v_cmpx_ne_u16_e32 0, v1
	s_cbranch_execz .LBB214_954
; %bb.947:                              ;   in Loop: Header=BB214_15 Depth=1
	v_mov_b64_e32 v[2:3], 0x80000000
	s_mov_b32 s15, exec_lo
	scratch_store_b64 off, v[2:3], s32 offset:1196 ; 8-byte Folded Spill
	s_wait_xcnt 0x0
	v_cmpx_ne_u16_e32 0x80, v1
	s_cbranch_execz .LBB214_953
; %bb.948:                              ;   in Loop: Header=BB214_15 Depth=1
	v_mov_b64_e32 v[4:5], 0x7f800001
	v_and_b32_e32 v2, 0x7f, v0
	s_mov_b32 s16, exec_lo
	scratch_store_b64 off, v[4:5], s32 offset:1196 ; 8-byte Folded Spill
	s_wait_xcnt 0x0
	v_cmpx_ne_u32_e32 0x7f, v2
	s_cbranch_execz .LBB214_952
; %bb.949:                              ;   in Loop: Header=BB214_15 Depth=1
	scratch_load_b64 v[4:5], off, s32 offset:192 th:TH_LOAD_LU ; 8-byte Folded Reload
	s_wait_loadcnt 0x0
	v_dual_lshrrev_b32 v1, 3, v2 :: v_dual_bitop2_b32 v4, 7, v0 bitop3:0x40
	s_mov_b32 s17, exec_lo
	s_wait_xcnt 0x0
	v_cmpx_gt_u32_e32 8, v2
; %bb.950:                              ;   in Loop: Header=BB214_15 Depth=1
	s_delay_alu instid0(VALU_DEP_2) | instskip(NEXT) | instid1(VALU_DEP_1)
	v_clz_i32_u32_e32 v1, v4
	v_min_u32_e32 v1, 32, v1
	s_delay_alu instid0(VALU_DEP_1) | instskip(NEXT) | instid1(VALU_DEP_1)
	v_subrev_nc_u32_e32 v2, 28, v1
	v_lshlrev_b64_e32 v[2:3], v2, v[4:5]
	s_delay_alu instid0(VALU_DEP_1)
	v_dual_sub_nc_u32 v1, 29, v1 :: v_dual_bitop2_b32 v4, 7, v2 bitop3:0x40
; %bb.951:                              ;   in Loop: Header=BB214_15 Depth=1
	s_or_b32 exec_lo, exec_lo, s17
	v_lshlrev_b32_e32 v2, 24, v0
	s_delay_alu instid0(VALU_DEP_2) | instskip(NEXT) | instid1(VALU_DEP_3)
	v_lshlrev_b32_e32 v3, 20, v4
	v_lshl_add_u32 v1, v1, 23, 0x3c000000
	s_delay_alu instid0(VALU_DEP_3) | instskip(NEXT) | instid1(VALU_DEP_1)
	v_and_b32_e32 v2, 0x80000000, v2
	v_or3_b32 v4, v3, v2, v1
	v_mov_b32_e32 v1, v5
	s_clause 0x1
	scratch_store_b64 off, v[0:1], s32 offset:192
	scratch_store_b64 off, v[4:5], s32 offset:1196
.LBB214_952:                            ;   in Loop: Header=BB214_15 Depth=1
	s_wait_xcnt 0x0
	s_or_b32 exec_lo, exec_lo, s16
.LBB214_953:                            ;   in Loop: Header=BB214_15 Depth=1
	s_delay_alu instid0(SALU_CYCLE_1)
	s_or_b32 exec_lo, exec_lo, s15
.LBB214_954:                            ;   in Loop: Header=BB214_15 Depth=1
	s_delay_alu instid0(SALU_CYCLE_1) | instskip(SKIP_2) | instid1(VALU_DEP_1)
	s_or_b32 exec_lo, exec_lo, s14
	v_lshrrev_b16 v1, 8, v0
	s_mov_b32 s14, exec_lo
	v_cmpx_ne_u16_e32 0, v1
	s_cbranch_execz .LBB214_962
; %bb.955:                              ;   in Loop: Header=BB214_15 Depth=1
	v_mov_b64_e32 v[2:3], 0x8000000000000000
	s_mov_b32 s15, exec_lo
	scratch_store_b64 off, v[2:3], s32 offset:1188 ; 8-byte Folded Spill
	s_wait_xcnt 0x0
	v_cmpx_ne_u16_e32 0x80, v1
	s_cbranch_execz .LBB214_961
; %bb.956:                              ;   in Loop: Header=BB214_15 Depth=1
	v_and_b32_e32 v1, 0xffff, v1
	v_mov_b64_e32 v[4:5], 0x7f80000100000000
	s_mov_b32 s16, exec_lo
	s_delay_alu instid0(VALU_DEP_2)
	v_and_b32_e32 v2, 0x7f, v1
	scratch_store_b64 off, v[4:5], s32 offset:1188 ; 8-byte Folded Spill
	s_wait_xcnt 0x0
	v_cmpx_ne_u32_e32 0x7f, v2
	s_cbranch_execz .LBB214_960
; %bb.957:                              ;   in Loop: Header=BB214_15 Depth=1
	scratch_load_b64 v[4:5], off, s32 offset:192 th:TH_LOAD_LU ; 8-byte Folded Reload
	s_wait_loadcnt 0x0
	v_dual_lshrrev_b32 v1, 3, v2 :: v_dual_bitop2_b32 v4, 7, v1 bitop3:0x40
	s_mov_b32 s17, exec_lo
	s_wait_xcnt 0x0
	v_cmpx_gt_u32_e32 8, v2
; %bb.958:                              ;   in Loop: Header=BB214_15 Depth=1
	s_delay_alu instid0(VALU_DEP_2) | instskip(NEXT) | instid1(VALU_DEP_1)
	v_clz_i32_u32_e32 v1, v4
	v_min_u32_e32 v1, 32, v1
	s_delay_alu instid0(VALU_DEP_1) | instskip(NEXT) | instid1(VALU_DEP_1)
	v_subrev_nc_u32_e32 v2, 28, v1
	v_lshlrev_b64_e32 v[2:3], v2, v[4:5]
	s_delay_alu instid0(VALU_DEP_1)
	v_dual_sub_nc_u32 v1, 29, v1 :: v_dual_bitop2_b32 v4, 7, v2 bitop3:0x40
; %bb.959:                              ;   in Loop: Header=BB214_15 Depth=1
	s_or_b32 exec_lo, exec_lo, s17
	v_lshlrev_b32_e32 v2, 16, v0
	s_delay_alu instid0(VALU_DEP_2) | instskip(NEXT) | instid1(VALU_DEP_3)
	v_lshlrev_b32_e32 v3, 20, v4
	v_lshl_add_u32 v1, v1, 23, 0x3c000000
	s_delay_alu instid0(VALU_DEP_3) | instskip(NEXT) | instid1(VALU_DEP_1)
	v_and_b32_e32 v2, 0x80000000, v2
	v_or3_b32 v3, v3, v2, v1
	v_dual_mov_b32 v1, v5 :: v_dual_mov_b32 v2, v5
	s_clause 0x1
	scratch_store_b64 off, v[0:1], s32 offset:192
	scratch_store_b64 off, v[2:3], s32 offset:1188
.LBB214_960:                            ;   in Loop: Header=BB214_15 Depth=1
	s_wait_xcnt 0x0
	s_or_b32 exec_lo, exec_lo, s16
.LBB214_961:                            ;   in Loop: Header=BB214_15 Depth=1
	s_delay_alu instid0(SALU_CYCLE_1)
	s_or_b32 exec_lo, exec_lo, s15
.LBB214_962:                            ;   in Loop: Header=BB214_15 Depth=1
	s_delay_alu instid0(SALU_CYCLE_1) | instskip(SKIP_3) | instid1(VALU_DEP_1)
	s_or_b32 exec_lo, exec_lo, s14
	v_mov_b64_e32 v[4:5], 0
	v_lshrrev_b32_e32 v1, 16, v0
	s_mov_b32 s14, exec_lo
	v_and_b32_e32 v2, 0xff, v1
	scratch_store_b64 off, v[4:5], s32 offset:1204 ; 8-byte Folded Spill
	s_wait_xcnt 0x0
	v_mov_b64_e32 v[4:5], 0
	scratch_store_b64 off, v[4:5], s32 offset:1212 ; 8-byte Folded Spill
	s_wait_xcnt 0x0
	v_cmpx_ne_u16_e32 0, v2
	s_cbranch_execz .LBB214_970
; %bb.963:                              ;   in Loop: Header=BB214_15 Depth=1
	v_cmp_ne_u16_e64 s1, 0x80, v2
	v_mov_b64_e32 v[2:3], 0x80000000
	scratch_store_b64 off, v[2:3], s32 offset:1212 ; 8-byte Folded Spill
	s_wait_xcnt 0x0
	s_and_saveexec_b32 s15, s1
	s_cbranch_execz .LBB214_969
; %bb.964:                              ;   in Loop: Header=BB214_15 Depth=1
	v_mov_b64_e32 v[4:5], 0x7f800001
	v_bfe_u32 v3, v0, 16, 7
	s_mov_b32 s16, exec_lo
	scratch_store_b64 off, v[4:5], s32 offset:1212 ; 8-byte Folded Spill
	s_wait_xcnt 0x0
	v_cmpx_ne_u32_e32 0x7f, v3
	s_cbranch_execz .LBB214_968
; %bb.965:                              ;   in Loop: Header=BB214_15 Depth=1
	scratch_load_b64 v[6:7], off, s32 offset:192 th:TH_LOAD_LU ; 8-byte Folded Reload
	s_wait_loadcnt 0x0
	v_dual_lshrrev_b32 v2, 3, v3 :: v_dual_bitop2_b32 v6, 7, v1 bitop3:0x40
	s_mov_b32 s17, exec_lo
	s_wait_xcnt 0x0
	v_cmpx_gt_u32_e32 8, v3
; %bb.966:                              ;   in Loop: Header=BB214_15 Depth=1
	s_delay_alu instid0(VALU_DEP_2) | instskip(NEXT) | instid1(VALU_DEP_1)
	v_clz_i32_u32_e32 v2, v6
	v_min_u32_e32 v2, 32, v2
	s_delay_alu instid0(VALU_DEP_1) | instskip(NEXT) | instid1(VALU_DEP_1)
	v_subrev_nc_u32_e32 v3, 28, v2
	v_lshlrev_b64_e32 v[4:5], v3, v[6:7]
	s_delay_alu instid0(VALU_DEP_1)
	v_dual_sub_nc_u32 v2, 29, v2 :: v_dual_bitop2_b32 v6, 7, v4 bitop3:0x40
; %bb.967:                              ;   in Loop: Header=BB214_15 Depth=1
	s_or_b32 exec_lo, exec_lo, s17
	s_delay_alu instid0(VALU_DEP_1) | instskip(NEXT) | instid1(VALU_DEP_2)
	v_dual_lshlrev_b32 v1, 24, v1 :: v_dual_lshlrev_b32 v3, 20, v6
	v_lshl_add_u32 v2, v2, 23, 0x3c000000
	s_delay_alu instid0(VALU_DEP_2) | instskip(NEXT) | instid1(VALU_DEP_1)
	v_and_b32_e32 v1, 0x80000000, v1
	v_or3_b32 v6, v3, v1, v2
	v_mov_b32_e32 v1, v7
	s_clause 0x1
	scratch_store_b64 off, v[0:1], s32 offset:192
	scratch_store_b64 off, v[6:7], s32 offset:1212
.LBB214_968:                            ;   in Loop: Header=BB214_15 Depth=1
	s_wait_xcnt 0x0
	s_or_b32 exec_lo, exec_lo, s16
.LBB214_969:                            ;   in Loop: Header=BB214_15 Depth=1
	s_delay_alu instid0(SALU_CYCLE_1)
	s_or_b32 exec_lo, exec_lo, s15
.LBB214_970:                            ;   in Loop: Header=BB214_15 Depth=1
	s_delay_alu instid0(SALU_CYCLE_1) | instskip(NEXT) | instid1(SALU_CYCLE_1)
	s_or_b32 exec_lo, exec_lo, s14
	s_mov_b32 s14, exec_lo
	v_cmpx_lt_u32_e32 0xffffff, v0
	s_cbranch_execz .LBB214_978
; %bb.971:                              ;   in Loop: Header=BB214_15 Depth=1
	v_mov_b64_e32 v[2:3], 0x8000000000000000
	v_lshrrev_b32_e32 v1, 24, v0
	s_mov_b32 s15, exec_lo
	scratch_store_b64 off, v[2:3], s32 offset:1204 ; 8-byte Folded Spill
	s_wait_xcnt 0x0
	v_cmpx_ne_u32_e32 0x80, v1
	s_cbranch_execz .LBB214_977
; %bb.972:                              ;   in Loop: Header=BB214_15 Depth=1
	v_mov_b64_e32 v[4:5], 0x7f80000100000000
	v_bfe_u32 v2, v0, 24, 7
	s_mov_b32 s16, exec_lo
	scratch_store_b64 off, v[4:5], s32 offset:1204 ; 8-byte Folded Spill
	s_wait_xcnt 0x0
	v_cmpx_ne_u32_e32 0x7f, v2
	s_cbranch_execz .LBB214_976
; %bb.973:                              ;   in Loop: Header=BB214_15 Depth=1
	scratch_load_b64 v[4:5], off, s32 offset:192 th:TH_LOAD_LU ; 8-byte Folded Reload
	s_wait_loadcnt 0x0
	v_dual_lshrrev_b32 v0, 3, v2 :: v_dual_bitop2_b32 v4, 7, v1 bitop3:0x40
	s_mov_b32 s17, exec_lo
	s_wait_xcnt 0x0
	v_cmpx_gt_u32_e32 8, v2
; %bb.974:                              ;   in Loop: Header=BB214_15 Depth=1
	s_delay_alu instid0(VALU_DEP_2) | instskip(NEXT) | instid1(VALU_DEP_1)
	v_clz_i32_u32_e32 v0, v4
	v_min_u32_e32 v0, 32, v0
	s_delay_alu instid0(VALU_DEP_1) | instskip(NEXT) | instid1(VALU_DEP_1)
	v_subrev_nc_u32_e32 v2, 28, v0
	v_lshlrev_b64_e32 v[2:3], v2, v[4:5]
	s_delay_alu instid0(VALU_DEP_1)
	v_dual_sub_nc_u32 v0, 29, v0 :: v_dual_bitop2_b32 v4, 7, v2 bitop3:0x40
; %bb.975:                              ;   in Loop: Header=BB214_15 Depth=1
	s_or_b32 exec_lo, exec_lo, s17
	s_delay_alu instid0(VALU_DEP_1) | instskip(NEXT) | instid1(VALU_DEP_2)
	v_dual_lshlrev_b32 v1, 24, v1 :: v_dual_lshlrev_b32 v2, 20, v4
	v_lshl_add_u32 v0, v0, 23, 0x3c000000
	s_delay_alu instid0(VALU_DEP_2) | instskip(NEXT) | instid1(VALU_DEP_1)
	v_and_b32_e32 v1, 0x80000000, v1
	v_or3_b32 v3, v2, v1, v0
	v_dual_mov_b32 v1, v5 :: v_dual_mov_b32 v2, v5
	s_clause 0x1
	scratch_store_b64 off, v[0:1], s32 offset:192
	scratch_store_b64 off, v[2:3], s32 offset:1204
.LBB214_976:                            ;   in Loop: Header=BB214_15 Depth=1
	s_wait_xcnt 0x0
	s_or_b32 exec_lo, exec_lo, s16
.LBB214_977:                            ;   in Loop: Header=BB214_15 Depth=1
	s_delay_alu instid0(SALU_CYCLE_1)
	s_or_b32 exec_lo, exec_lo, s15
.LBB214_978:                            ;   in Loop: Header=BB214_15 Depth=1
	s_delay_alu instid0(SALU_CYCLE_1)
	s_or_b32 exec_lo, exec_lo, s14
	flat_load_b32 v0, v[120:121] offset:3592
	v_mov_b64_e32 v[2:3], 0
	s_mov_b32 s14, exec_lo
	scratch_store_b64 off, v[2:3], s32 offset:1220 ; 8-byte Folded Spill
	s_wait_xcnt 0x0
	v_mov_b64_e32 v[2:3], 0
	scratch_store_b64 off, v[2:3], s32 offset:1228 ; 8-byte Folded Spill
	s_wait_loadcnt_dscnt 0x0
	v_and_b32_e32 v1, 0xff, v0
	s_wait_xcnt 0x0
	s_delay_alu instid0(VALU_DEP_1)
	v_cmpx_ne_u16_e32 0, v1
	s_cbranch_execz .LBB214_986
; %bb.979:                              ;   in Loop: Header=BB214_15 Depth=1
	v_mov_b64_e32 v[2:3], 0x80000000
	s_mov_b32 s15, exec_lo
	scratch_store_b64 off, v[2:3], s32 offset:1228 ; 8-byte Folded Spill
	s_wait_xcnt 0x0
	v_cmpx_ne_u16_e32 0x80, v1
	s_cbranch_execz .LBB214_985
; %bb.980:                              ;   in Loop: Header=BB214_15 Depth=1
	v_mov_b64_e32 v[4:5], 0x7f800001
	v_and_b32_e32 v2, 0x7f, v0
	s_mov_b32 s16, exec_lo
	scratch_store_b64 off, v[4:5], s32 offset:1228 ; 8-byte Folded Spill
	s_wait_xcnt 0x0
	v_cmpx_ne_u32_e32 0x7f, v2
	s_cbranch_execz .LBB214_984
; %bb.981:                              ;   in Loop: Header=BB214_15 Depth=1
	scratch_load_b64 v[4:5], off, s32 offset:192 th:TH_LOAD_LU ; 8-byte Folded Reload
	s_wait_loadcnt 0x0
	v_dual_lshrrev_b32 v1, 3, v2 :: v_dual_bitop2_b32 v4, 7, v0 bitop3:0x40
	s_mov_b32 s17, exec_lo
	s_wait_xcnt 0x0
	v_cmpx_gt_u32_e32 8, v2
; %bb.982:                              ;   in Loop: Header=BB214_15 Depth=1
	s_delay_alu instid0(VALU_DEP_2) | instskip(NEXT) | instid1(VALU_DEP_1)
	v_clz_i32_u32_e32 v1, v4
	v_min_u32_e32 v1, 32, v1
	s_delay_alu instid0(VALU_DEP_1) | instskip(NEXT) | instid1(VALU_DEP_1)
	v_subrev_nc_u32_e32 v2, 28, v1
	v_lshlrev_b64_e32 v[2:3], v2, v[4:5]
	s_delay_alu instid0(VALU_DEP_1)
	v_dual_sub_nc_u32 v1, 29, v1 :: v_dual_bitop2_b32 v4, 7, v2 bitop3:0x40
; %bb.983:                              ;   in Loop: Header=BB214_15 Depth=1
	s_or_b32 exec_lo, exec_lo, s17
	v_lshlrev_b32_e32 v2, 24, v0
	s_delay_alu instid0(VALU_DEP_2) | instskip(NEXT) | instid1(VALU_DEP_3)
	v_lshlrev_b32_e32 v3, 20, v4
	v_lshl_add_u32 v1, v1, 23, 0x3c000000
	s_delay_alu instid0(VALU_DEP_3) | instskip(NEXT) | instid1(VALU_DEP_1)
	v_and_b32_e32 v2, 0x80000000, v2
	v_or3_b32 v4, v3, v2, v1
	v_mov_b32_e32 v1, v5
	s_clause 0x1
	scratch_store_b64 off, v[0:1], s32 offset:192
	scratch_store_b64 off, v[4:5], s32 offset:1228
.LBB214_984:                            ;   in Loop: Header=BB214_15 Depth=1
	s_wait_xcnt 0x0
	s_or_b32 exec_lo, exec_lo, s16
.LBB214_985:                            ;   in Loop: Header=BB214_15 Depth=1
	s_delay_alu instid0(SALU_CYCLE_1)
	s_or_b32 exec_lo, exec_lo, s15
.LBB214_986:                            ;   in Loop: Header=BB214_15 Depth=1
	s_delay_alu instid0(SALU_CYCLE_1) | instskip(SKIP_2) | instid1(VALU_DEP_1)
	s_or_b32 exec_lo, exec_lo, s14
	v_lshrrev_b16 v1, 8, v0
	s_mov_b32 s14, exec_lo
	v_cmpx_ne_u16_e32 0, v1
	s_cbranch_execz .LBB214_994
; %bb.987:                              ;   in Loop: Header=BB214_15 Depth=1
	v_mov_b64_e32 v[2:3], 0x8000000000000000
	s_mov_b32 s15, exec_lo
	scratch_store_b64 off, v[2:3], s32 offset:1220 ; 8-byte Folded Spill
	s_wait_xcnt 0x0
	v_cmpx_ne_u16_e32 0x80, v1
	s_cbranch_execz .LBB214_993
; %bb.988:                              ;   in Loop: Header=BB214_15 Depth=1
	v_and_b32_e32 v1, 0xffff, v1
	v_mov_b64_e32 v[4:5], 0x7f80000100000000
	s_mov_b32 s16, exec_lo
	s_delay_alu instid0(VALU_DEP_2)
	v_and_b32_e32 v2, 0x7f, v1
	scratch_store_b64 off, v[4:5], s32 offset:1220 ; 8-byte Folded Spill
	s_wait_xcnt 0x0
	v_cmpx_ne_u32_e32 0x7f, v2
	s_cbranch_execz .LBB214_992
; %bb.989:                              ;   in Loop: Header=BB214_15 Depth=1
	scratch_load_b64 v[4:5], off, s32 offset:192 th:TH_LOAD_LU ; 8-byte Folded Reload
	s_wait_loadcnt 0x0
	v_dual_lshrrev_b32 v1, 3, v2 :: v_dual_bitop2_b32 v4, 7, v1 bitop3:0x40
	s_mov_b32 s17, exec_lo
	s_wait_xcnt 0x0
	v_cmpx_gt_u32_e32 8, v2
; %bb.990:                              ;   in Loop: Header=BB214_15 Depth=1
	s_delay_alu instid0(VALU_DEP_2) | instskip(NEXT) | instid1(VALU_DEP_1)
	v_clz_i32_u32_e32 v1, v4
	v_min_u32_e32 v1, 32, v1
	s_delay_alu instid0(VALU_DEP_1) | instskip(NEXT) | instid1(VALU_DEP_1)
	v_subrev_nc_u32_e32 v2, 28, v1
	v_lshlrev_b64_e32 v[2:3], v2, v[4:5]
	s_delay_alu instid0(VALU_DEP_1)
	v_dual_sub_nc_u32 v1, 29, v1 :: v_dual_bitop2_b32 v4, 7, v2 bitop3:0x40
; %bb.991:                              ;   in Loop: Header=BB214_15 Depth=1
	s_or_b32 exec_lo, exec_lo, s17
	v_lshlrev_b32_e32 v2, 16, v0
	s_delay_alu instid0(VALU_DEP_2) | instskip(NEXT) | instid1(VALU_DEP_3)
	v_lshlrev_b32_e32 v3, 20, v4
	v_lshl_add_u32 v1, v1, 23, 0x3c000000
	s_delay_alu instid0(VALU_DEP_3) | instskip(NEXT) | instid1(VALU_DEP_1)
	v_and_b32_e32 v2, 0x80000000, v2
	v_or3_b32 v3, v3, v2, v1
	v_dual_mov_b32 v1, v5 :: v_dual_mov_b32 v2, v5
	s_clause 0x1
	scratch_store_b64 off, v[0:1], s32 offset:192
	scratch_store_b64 off, v[2:3], s32 offset:1220
.LBB214_992:                            ;   in Loop: Header=BB214_15 Depth=1
	s_wait_xcnt 0x0
	s_or_b32 exec_lo, exec_lo, s16
.LBB214_993:                            ;   in Loop: Header=BB214_15 Depth=1
	s_delay_alu instid0(SALU_CYCLE_1)
	s_or_b32 exec_lo, exec_lo, s15
.LBB214_994:                            ;   in Loop: Header=BB214_15 Depth=1
	s_delay_alu instid0(SALU_CYCLE_1) | instskip(SKIP_3) | instid1(VALU_DEP_1)
	s_or_b32 exec_lo, exec_lo, s14
	v_mov_b64_e32 v[4:5], 0
	v_lshrrev_b32_e32 v1, 16, v0
	s_mov_b32 s14, exec_lo
	v_and_b32_e32 v2, 0xff, v1
	scratch_store_b64 off, v[4:5], s32 offset:1236 ; 8-byte Folded Spill
	s_wait_xcnt 0x0
	v_mov_b64_e32 v[4:5], 0
	scratch_store_b64 off, v[4:5], s32 offset:1244 ; 8-byte Folded Spill
	s_wait_xcnt 0x0
	v_cmpx_ne_u16_e32 0, v2
	s_cbranch_execz .LBB214_1002
; %bb.995:                              ;   in Loop: Header=BB214_15 Depth=1
	v_cmp_ne_u16_e64 s1, 0x80, v2
	v_mov_b64_e32 v[2:3], 0x80000000
	scratch_store_b64 off, v[2:3], s32 offset:1244 ; 8-byte Folded Spill
	s_wait_xcnt 0x0
	s_and_saveexec_b32 s15, s1
	s_cbranch_execz .LBB214_1001
; %bb.996:                              ;   in Loop: Header=BB214_15 Depth=1
	v_mov_b64_e32 v[4:5], 0x7f800001
	v_bfe_u32 v3, v0, 16, 7
	s_mov_b32 s16, exec_lo
	scratch_store_b64 off, v[4:5], s32 offset:1244 ; 8-byte Folded Spill
	s_wait_xcnt 0x0
	v_cmpx_ne_u32_e32 0x7f, v3
	s_cbranch_execz .LBB214_1000
; %bb.997:                              ;   in Loop: Header=BB214_15 Depth=1
	scratch_load_b64 v[6:7], off, s32 offset:192 th:TH_LOAD_LU ; 8-byte Folded Reload
	s_wait_loadcnt 0x0
	v_dual_lshrrev_b32 v2, 3, v3 :: v_dual_bitop2_b32 v6, 7, v1 bitop3:0x40
	s_mov_b32 s17, exec_lo
	s_wait_xcnt 0x0
	v_cmpx_gt_u32_e32 8, v3
; %bb.998:                              ;   in Loop: Header=BB214_15 Depth=1
	s_delay_alu instid0(VALU_DEP_2) | instskip(NEXT) | instid1(VALU_DEP_1)
	v_clz_i32_u32_e32 v2, v6
	v_min_u32_e32 v2, 32, v2
	s_delay_alu instid0(VALU_DEP_1) | instskip(NEXT) | instid1(VALU_DEP_1)
	v_subrev_nc_u32_e32 v3, 28, v2
	v_lshlrev_b64_e32 v[4:5], v3, v[6:7]
	s_delay_alu instid0(VALU_DEP_1)
	v_dual_sub_nc_u32 v2, 29, v2 :: v_dual_bitop2_b32 v6, 7, v4 bitop3:0x40
; %bb.999:                              ;   in Loop: Header=BB214_15 Depth=1
	s_or_b32 exec_lo, exec_lo, s17
	s_delay_alu instid0(VALU_DEP_1) | instskip(NEXT) | instid1(VALU_DEP_2)
	v_dual_lshlrev_b32 v1, 24, v1 :: v_dual_lshlrev_b32 v3, 20, v6
	v_lshl_add_u32 v2, v2, 23, 0x3c000000
	s_delay_alu instid0(VALU_DEP_2) | instskip(NEXT) | instid1(VALU_DEP_1)
	v_and_b32_e32 v1, 0x80000000, v1
	v_or3_b32 v6, v3, v1, v2
	v_mov_b32_e32 v1, v7
	s_clause 0x1
	scratch_store_b64 off, v[0:1], s32 offset:192
	scratch_store_b64 off, v[6:7], s32 offset:1244
.LBB214_1000:                           ;   in Loop: Header=BB214_15 Depth=1
	s_wait_xcnt 0x0
	s_or_b32 exec_lo, exec_lo, s16
.LBB214_1001:                           ;   in Loop: Header=BB214_15 Depth=1
	s_delay_alu instid0(SALU_CYCLE_1)
	s_or_b32 exec_lo, exec_lo, s15
.LBB214_1002:                           ;   in Loop: Header=BB214_15 Depth=1
	s_delay_alu instid0(SALU_CYCLE_1) | instskip(NEXT) | instid1(SALU_CYCLE_1)
	s_or_b32 exec_lo, exec_lo, s14
	s_mov_b32 s14, exec_lo
	v_cmpx_lt_u32_e32 0xffffff, v0
	s_cbranch_execz .LBB214_1010
; %bb.1003:                             ;   in Loop: Header=BB214_15 Depth=1
	v_mov_b64_e32 v[2:3], 0x8000000000000000
	v_lshrrev_b32_e32 v1, 24, v0
	s_mov_b32 s15, exec_lo
	scratch_store_b64 off, v[2:3], s32 offset:1236 ; 8-byte Folded Spill
	s_wait_xcnt 0x0
	v_cmpx_ne_u32_e32 0x80, v1
	s_cbranch_execz .LBB214_1009
; %bb.1004:                             ;   in Loop: Header=BB214_15 Depth=1
	v_mov_b64_e32 v[4:5], 0x7f80000100000000
	v_bfe_u32 v2, v0, 24, 7
	s_mov_b32 s16, exec_lo
	scratch_store_b64 off, v[4:5], s32 offset:1236 ; 8-byte Folded Spill
	s_wait_xcnt 0x0
	v_cmpx_ne_u32_e32 0x7f, v2
	s_cbranch_execz .LBB214_1008
; %bb.1005:                             ;   in Loop: Header=BB214_15 Depth=1
	scratch_load_b64 v[4:5], off, s32 offset:192 th:TH_LOAD_LU ; 8-byte Folded Reload
	s_wait_loadcnt 0x0
	v_dual_lshrrev_b32 v0, 3, v2 :: v_dual_bitop2_b32 v4, 7, v1 bitop3:0x40
	s_mov_b32 s17, exec_lo
	s_wait_xcnt 0x0
	v_cmpx_gt_u32_e32 8, v2
; %bb.1006:                             ;   in Loop: Header=BB214_15 Depth=1
	s_delay_alu instid0(VALU_DEP_2) | instskip(NEXT) | instid1(VALU_DEP_1)
	v_clz_i32_u32_e32 v0, v4
	v_min_u32_e32 v0, 32, v0
	s_delay_alu instid0(VALU_DEP_1) | instskip(NEXT) | instid1(VALU_DEP_1)
	v_subrev_nc_u32_e32 v2, 28, v0
	v_lshlrev_b64_e32 v[2:3], v2, v[4:5]
	s_delay_alu instid0(VALU_DEP_1)
	v_dual_sub_nc_u32 v0, 29, v0 :: v_dual_bitop2_b32 v4, 7, v2 bitop3:0x40
; %bb.1007:                             ;   in Loop: Header=BB214_15 Depth=1
	s_or_b32 exec_lo, exec_lo, s17
	s_delay_alu instid0(VALU_DEP_1) | instskip(NEXT) | instid1(VALU_DEP_2)
	v_dual_lshlrev_b32 v1, 24, v1 :: v_dual_lshlrev_b32 v2, 20, v4
	v_lshl_add_u32 v0, v0, 23, 0x3c000000
	s_delay_alu instid0(VALU_DEP_2) | instskip(NEXT) | instid1(VALU_DEP_1)
	v_and_b32_e32 v1, 0x80000000, v1
	v_or3_b32 v3, v2, v1, v0
	v_dual_mov_b32 v1, v5 :: v_dual_mov_b32 v2, v5
	s_clause 0x1
	scratch_store_b64 off, v[0:1], s32 offset:192
	scratch_store_b64 off, v[2:3], s32 offset:1236
.LBB214_1008:                           ;   in Loop: Header=BB214_15 Depth=1
	s_wait_xcnt 0x0
	s_or_b32 exec_lo, exec_lo, s16
.LBB214_1009:                           ;   in Loop: Header=BB214_15 Depth=1
	s_delay_alu instid0(SALU_CYCLE_1)
	s_or_b32 exec_lo, exec_lo, s15
.LBB214_1010:                           ;   in Loop: Header=BB214_15 Depth=1
	s_delay_alu instid0(SALU_CYCLE_1)
	s_or_b32 exec_lo, exec_lo, s14
	flat_load_b32 v0, v[120:121] offset:3596
	v_mov_b64_e32 v[2:3], 0
	s_mov_b32 s14, exec_lo
	scratch_store_b64 off, v[2:3], s32 offset:1252 ; 8-byte Folded Spill
	s_wait_xcnt 0x0
	v_mov_b64_e32 v[2:3], 0
	scratch_store_b64 off, v[2:3], s32 offset:1260 ; 8-byte Folded Spill
	s_wait_loadcnt_dscnt 0x0
	v_and_b32_e32 v1, 0xff, v0
	s_wait_xcnt 0x0
	s_delay_alu instid0(VALU_DEP_1)
	v_cmpx_ne_u16_e32 0, v1
	s_cbranch_execz .LBB214_1018
; %bb.1011:                             ;   in Loop: Header=BB214_15 Depth=1
	v_mov_b64_e32 v[2:3], 0x80000000
	s_mov_b32 s15, exec_lo
	scratch_store_b64 off, v[2:3], s32 offset:1260 ; 8-byte Folded Spill
	s_wait_xcnt 0x0
	v_cmpx_ne_u16_e32 0x80, v1
	s_cbranch_execz .LBB214_1017
; %bb.1012:                             ;   in Loop: Header=BB214_15 Depth=1
	v_mov_b64_e32 v[4:5], 0x7f800001
	v_and_b32_e32 v2, 0x7f, v0
	s_mov_b32 s16, exec_lo
	scratch_store_b64 off, v[4:5], s32 offset:1260 ; 8-byte Folded Spill
	s_wait_xcnt 0x0
	v_cmpx_ne_u32_e32 0x7f, v2
	s_cbranch_execz .LBB214_1016
; %bb.1013:                             ;   in Loop: Header=BB214_15 Depth=1
	scratch_load_b64 v[4:5], off, s32 offset:192 th:TH_LOAD_LU ; 8-byte Folded Reload
	s_wait_loadcnt 0x0
	v_dual_lshrrev_b32 v1, 3, v2 :: v_dual_bitop2_b32 v4, 7, v0 bitop3:0x40
	s_mov_b32 s17, exec_lo
	s_wait_xcnt 0x0
	v_cmpx_gt_u32_e32 8, v2
; %bb.1014:                             ;   in Loop: Header=BB214_15 Depth=1
	s_delay_alu instid0(VALU_DEP_2) | instskip(NEXT) | instid1(VALU_DEP_1)
	v_clz_i32_u32_e32 v1, v4
	v_min_u32_e32 v1, 32, v1
	s_delay_alu instid0(VALU_DEP_1) | instskip(NEXT) | instid1(VALU_DEP_1)
	v_subrev_nc_u32_e32 v2, 28, v1
	v_lshlrev_b64_e32 v[2:3], v2, v[4:5]
	s_delay_alu instid0(VALU_DEP_1)
	v_dual_sub_nc_u32 v1, 29, v1 :: v_dual_bitop2_b32 v4, 7, v2 bitop3:0x40
; %bb.1015:                             ;   in Loop: Header=BB214_15 Depth=1
	s_or_b32 exec_lo, exec_lo, s17
	v_lshlrev_b32_e32 v2, 24, v0
	s_delay_alu instid0(VALU_DEP_2) | instskip(NEXT) | instid1(VALU_DEP_3)
	v_lshlrev_b32_e32 v3, 20, v4
	v_lshl_add_u32 v1, v1, 23, 0x3c000000
	s_delay_alu instid0(VALU_DEP_3) | instskip(NEXT) | instid1(VALU_DEP_1)
	v_and_b32_e32 v2, 0x80000000, v2
	v_or3_b32 v4, v3, v2, v1
	v_mov_b32_e32 v1, v5
	s_clause 0x1
	scratch_store_b64 off, v[0:1], s32 offset:192
	scratch_store_b64 off, v[4:5], s32 offset:1260
.LBB214_1016:                           ;   in Loop: Header=BB214_15 Depth=1
	s_wait_xcnt 0x0
	s_or_b32 exec_lo, exec_lo, s16
.LBB214_1017:                           ;   in Loop: Header=BB214_15 Depth=1
	s_delay_alu instid0(SALU_CYCLE_1)
	s_or_b32 exec_lo, exec_lo, s15
.LBB214_1018:                           ;   in Loop: Header=BB214_15 Depth=1
	s_delay_alu instid0(SALU_CYCLE_1) | instskip(SKIP_2) | instid1(VALU_DEP_1)
	s_or_b32 exec_lo, exec_lo, s14
	v_lshrrev_b16 v1, 8, v0
	s_mov_b32 s14, exec_lo
	v_cmpx_ne_u16_e32 0, v1
	s_cbranch_execz .LBB214_1026
; %bb.1019:                             ;   in Loop: Header=BB214_15 Depth=1
	v_mov_b64_e32 v[2:3], 0x8000000000000000
	s_mov_b32 s15, exec_lo
	scratch_store_b64 off, v[2:3], s32 offset:1252 ; 8-byte Folded Spill
	s_wait_xcnt 0x0
	v_cmpx_ne_u16_e32 0x80, v1
	s_cbranch_execz .LBB214_1025
; %bb.1020:                             ;   in Loop: Header=BB214_15 Depth=1
	v_and_b32_e32 v1, 0xffff, v1
	v_mov_b64_e32 v[4:5], 0x7f80000100000000
	s_mov_b32 s16, exec_lo
	s_delay_alu instid0(VALU_DEP_2)
	v_and_b32_e32 v2, 0x7f, v1
	scratch_store_b64 off, v[4:5], s32 offset:1252 ; 8-byte Folded Spill
	s_wait_xcnt 0x0
	v_cmpx_ne_u32_e32 0x7f, v2
	s_cbranch_execz .LBB214_1024
; %bb.1021:                             ;   in Loop: Header=BB214_15 Depth=1
	scratch_load_b64 v[4:5], off, s32 offset:192 th:TH_LOAD_LU ; 8-byte Folded Reload
	s_wait_loadcnt 0x0
	v_dual_lshrrev_b32 v1, 3, v2 :: v_dual_bitop2_b32 v4, 7, v1 bitop3:0x40
	s_mov_b32 s17, exec_lo
	s_wait_xcnt 0x0
	v_cmpx_gt_u32_e32 8, v2
; %bb.1022:                             ;   in Loop: Header=BB214_15 Depth=1
	s_delay_alu instid0(VALU_DEP_2) | instskip(NEXT) | instid1(VALU_DEP_1)
	v_clz_i32_u32_e32 v1, v4
	v_min_u32_e32 v1, 32, v1
	s_delay_alu instid0(VALU_DEP_1) | instskip(NEXT) | instid1(VALU_DEP_1)
	v_subrev_nc_u32_e32 v2, 28, v1
	v_lshlrev_b64_e32 v[2:3], v2, v[4:5]
	s_delay_alu instid0(VALU_DEP_1)
	v_dual_sub_nc_u32 v1, 29, v1 :: v_dual_bitop2_b32 v4, 7, v2 bitop3:0x40
; %bb.1023:                             ;   in Loop: Header=BB214_15 Depth=1
	s_or_b32 exec_lo, exec_lo, s17
	v_lshlrev_b32_e32 v2, 16, v0
	s_delay_alu instid0(VALU_DEP_2) | instskip(NEXT) | instid1(VALU_DEP_3)
	v_lshlrev_b32_e32 v3, 20, v4
	v_lshl_add_u32 v1, v1, 23, 0x3c000000
	s_delay_alu instid0(VALU_DEP_3) | instskip(NEXT) | instid1(VALU_DEP_1)
	v_and_b32_e32 v2, 0x80000000, v2
	v_or3_b32 v3, v3, v2, v1
	v_dual_mov_b32 v1, v5 :: v_dual_mov_b32 v2, v5
	s_clause 0x1
	scratch_store_b64 off, v[0:1], s32 offset:192
	scratch_store_b64 off, v[2:3], s32 offset:1252
.LBB214_1024:                           ;   in Loop: Header=BB214_15 Depth=1
	s_wait_xcnt 0x0
	s_or_b32 exec_lo, exec_lo, s16
.LBB214_1025:                           ;   in Loop: Header=BB214_15 Depth=1
	s_delay_alu instid0(SALU_CYCLE_1)
	s_or_b32 exec_lo, exec_lo, s15
.LBB214_1026:                           ;   in Loop: Header=BB214_15 Depth=1
	s_delay_alu instid0(SALU_CYCLE_1) | instskip(SKIP_3) | instid1(VALU_DEP_1)
	s_or_b32 exec_lo, exec_lo, s14
	v_mov_b64_e32 v[4:5], 0
	v_lshrrev_b32_e32 v1, 16, v0
	s_mov_b32 s14, exec_lo
	v_and_b32_e32 v2, 0xff, v1
	scratch_store_b64 off, v[4:5], s32 offset:1268 ; 8-byte Folded Spill
	s_wait_xcnt 0x0
	v_mov_b64_e32 v[4:5], 0
	scratch_store_b64 off, v[4:5], s32 offset:1276 ; 8-byte Folded Spill
	s_wait_xcnt 0x0
	v_cmpx_ne_u16_e32 0, v2
	s_cbranch_execz .LBB214_1034
; %bb.1027:                             ;   in Loop: Header=BB214_15 Depth=1
	v_cmp_ne_u16_e64 s1, 0x80, v2
	v_mov_b64_e32 v[2:3], 0x80000000
	scratch_store_b64 off, v[2:3], s32 offset:1276 ; 8-byte Folded Spill
	s_wait_xcnt 0x0
	s_and_saveexec_b32 s15, s1
	s_cbranch_execz .LBB214_1033
; %bb.1028:                             ;   in Loop: Header=BB214_15 Depth=1
	v_mov_b64_e32 v[4:5], 0x7f800001
	v_bfe_u32 v3, v0, 16, 7
	s_mov_b32 s16, exec_lo
	scratch_store_b64 off, v[4:5], s32 offset:1276 ; 8-byte Folded Spill
	s_wait_xcnt 0x0
	v_cmpx_ne_u32_e32 0x7f, v3
	s_cbranch_execz .LBB214_1032
; %bb.1029:                             ;   in Loop: Header=BB214_15 Depth=1
	scratch_load_b64 v[6:7], off, s32 offset:192 th:TH_LOAD_LU ; 8-byte Folded Reload
	s_wait_loadcnt 0x0
	v_dual_lshrrev_b32 v2, 3, v3 :: v_dual_bitop2_b32 v6, 7, v1 bitop3:0x40
	s_mov_b32 s17, exec_lo
	s_wait_xcnt 0x0
	v_cmpx_gt_u32_e32 8, v3
; %bb.1030:                             ;   in Loop: Header=BB214_15 Depth=1
	s_delay_alu instid0(VALU_DEP_2) | instskip(NEXT) | instid1(VALU_DEP_1)
	v_clz_i32_u32_e32 v2, v6
	v_min_u32_e32 v2, 32, v2
	s_delay_alu instid0(VALU_DEP_1) | instskip(NEXT) | instid1(VALU_DEP_1)
	v_subrev_nc_u32_e32 v3, 28, v2
	v_lshlrev_b64_e32 v[4:5], v3, v[6:7]
	s_delay_alu instid0(VALU_DEP_1)
	v_dual_sub_nc_u32 v2, 29, v2 :: v_dual_bitop2_b32 v6, 7, v4 bitop3:0x40
; %bb.1031:                             ;   in Loop: Header=BB214_15 Depth=1
	s_or_b32 exec_lo, exec_lo, s17
	s_delay_alu instid0(VALU_DEP_1) | instskip(NEXT) | instid1(VALU_DEP_2)
	v_dual_lshlrev_b32 v1, 24, v1 :: v_dual_lshlrev_b32 v3, 20, v6
	v_lshl_add_u32 v2, v2, 23, 0x3c000000
	s_delay_alu instid0(VALU_DEP_2) | instskip(NEXT) | instid1(VALU_DEP_1)
	v_and_b32_e32 v1, 0x80000000, v1
	v_or3_b32 v6, v3, v1, v2
	v_mov_b32_e32 v1, v7
	s_clause 0x1
	scratch_store_b64 off, v[0:1], s32 offset:192
	scratch_store_b64 off, v[6:7], s32 offset:1276
.LBB214_1032:                           ;   in Loop: Header=BB214_15 Depth=1
	s_wait_xcnt 0x0
	s_or_b32 exec_lo, exec_lo, s16
.LBB214_1033:                           ;   in Loop: Header=BB214_15 Depth=1
	s_delay_alu instid0(SALU_CYCLE_1)
	s_or_b32 exec_lo, exec_lo, s15
.LBB214_1034:                           ;   in Loop: Header=BB214_15 Depth=1
	s_delay_alu instid0(SALU_CYCLE_1) | instskip(NEXT) | instid1(SALU_CYCLE_1)
	s_or_b32 exec_lo, exec_lo, s14
	s_mov_b32 s14, exec_lo
	v_cmpx_lt_u32_e32 0xffffff, v0
	s_cbranch_execz .LBB214_1042
; %bb.1035:                             ;   in Loop: Header=BB214_15 Depth=1
	v_mov_b64_e32 v[2:3], 0x8000000000000000
	v_lshrrev_b32_e32 v1, 24, v0
	s_mov_b32 s15, exec_lo
	scratch_store_b64 off, v[2:3], s32 offset:1268 ; 8-byte Folded Spill
	s_wait_xcnt 0x0
	v_cmpx_ne_u32_e32 0x80, v1
	s_cbranch_execz .LBB214_1041
; %bb.1036:                             ;   in Loop: Header=BB214_15 Depth=1
	v_mov_b64_e32 v[4:5], 0x7f80000100000000
	v_bfe_u32 v2, v0, 24, 7
	s_mov_b32 s16, exec_lo
	scratch_store_b64 off, v[4:5], s32 offset:1268 ; 8-byte Folded Spill
	s_wait_xcnt 0x0
	v_cmpx_ne_u32_e32 0x7f, v2
	s_cbranch_execz .LBB214_1040
; %bb.1037:                             ;   in Loop: Header=BB214_15 Depth=1
	scratch_load_b64 v[4:5], off, s32 offset:192 th:TH_LOAD_LU ; 8-byte Folded Reload
	s_wait_loadcnt 0x0
	v_dual_lshrrev_b32 v0, 3, v2 :: v_dual_bitop2_b32 v4, 7, v1 bitop3:0x40
	s_mov_b32 s17, exec_lo
	s_wait_xcnt 0x0
	v_cmpx_gt_u32_e32 8, v2
; %bb.1038:                             ;   in Loop: Header=BB214_15 Depth=1
	s_delay_alu instid0(VALU_DEP_2) | instskip(NEXT) | instid1(VALU_DEP_1)
	v_clz_i32_u32_e32 v0, v4
	v_min_u32_e32 v0, 32, v0
	s_delay_alu instid0(VALU_DEP_1) | instskip(NEXT) | instid1(VALU_DEP_1)
	v_subrev_nc_u32_e32 v2, 28, v0
	v_lshlrev_b64_e32 v[2:3], v2, v[4:5]
	s_delay_alu instid0(VALU_DEP_1)
	v_dual_sub_nc_u32 v0, 29, v0 :: v_dual_bitop2_b32 v4, 7, v2 bitop3:0x40
; %bb.1039:                             ;   in Loop: Header=BB214_15 Depth=1
	s_or_b32 exec_lo, exec_lo, s17
	s_delay_alu instid0(VALU_DEP_1) | instskip(NEXT) | instid1(VALU_DEP_2)
	v_dual_lshlrev_b32 v1, 24, v1 :: v_dual_lshlrev_b32 v2, 20, v4
	v_lshl_add_u32 v0, v0, 23, 0x3c000000
	s_delay_alu instid0(VALU_DEP_2) | instskip(NEXT) | instid1(VALU_DEP_1)
	v_and_b32_e32 v1, 0x80000000, v1
	v_or3_b32 v3, v2, v1, v0
	v_dual_mov_b32 v1, v5 :: v_dual_mov_b32 v2, v5
	s_clause 0x1
	scratch_store_b64 off, v[0:1], s32 offset:192
	scratch_store_b64 off, v[2:3], s32 offset:1268
.LBB214_1040:                           ;   in Loop: Header=BB214_15 Depth=1
	s_wait_xcnt 0x0
	s_or_b32 exec_lo, exec_lo, s16
.LBB214_1041:                           ;   in Loop: Header=BB214_15 Depth=1
	s_delay_alu instid0(SALU_CYCLE_1)
	s_or_b32 exec_lo, exec_lo, s15
.LBB214_1042:                           ;   in Loop: Header=BB214_15 Depth=1
	s_delay_alu instid0(SALU_CYCLE_1)
	s_or_b32 exec_lo, exec_lo, s14
	flat_load_b32 v0, v[120:121] offset:4096
	v_mov_b64_e32 v[2:3], 0
	s_mov_b32 s14, exec_lo
	scratch_store_b64 off, v[2:3], s32 offset:1284 ; 8-byte Folded Spill
	s_wait_xcnt 0x0
	v_mov_b64_e32 v[2:3], 0
	scratch_store_b64 off, v[2:3], s32 offset:1292 ; 8-byte Folded Spill
	s_wait_loadcnt_dscnt 0x0
	v_and_b32_e32 v1, 0xff, v0
	s_wait_xcnt 0x0
	s_delay_alu instid0(VALU_DEP_1)
	v_cmpx_ne_u16_e32 0, v1
	s_cbranch_execz .LBB214_1050
; %bb.1043:                             ;   in Loop: Header=BB214_15 Depth=1
	v_mov_b64_e32 v[2:3], 0x80000000
	s_mov_b32 s15, exec_lo
	scratch_store_b64 off, v[2:3], s32 offset:1292 ; 8-byte Folded Spill
	s_wait_xcnt 0x0
	v_cmpx_ne_u16_e32 0x80, v1
	s_cbranch_execz .LBB214_1049
; %bb.1044:                             ;   in Loop: Header=BB214_15 Depth=1
	v_mov_b64_e32 v[4:5], 0x7f800001
	v_and_b32_e32 v2, 0x7f, v0
	s_mov_b32 s16, exec_lo
	scratch_store_b64 off, v[4:5], s32 offset:1292 ; 8-byte Folded Spill
	s_wait_xcnt 0x0
	v_cmpx_ne_u32_e32 0x7f, v2
	s_cbranch_execz .LBB214_1048
; %bb.1045:                             ;   in Loop: Header=BB214_15 Depth=1
	scratch_load_b64 v[4:5], off, s32 offset:192 th:TH_LOAD_LU ; 8-byte Folded Reload
	s_wait_loadcnt 0x0
	v_dual_lshrrev_b32 v1, 3, v2 :: v_dual_bitop2_b32 v4, 7, v0 bitop3:0x40
	s_mov_b32 s17, exec_lo
	s_wait_xcnt 0x0
	v_cmpx_gt_u32_e32 8, v2
; %bb.1046:                             ;   in Loop: Header=BB214_15 Depth=1
	s_delay_alu instid0(VALU_DEP_2) | instskip(NEXT) | instid1(VALU_DEP_1)
	v_clz_i32_u32_e32 v1, v4
	v_min_u32_e32 v1, 32, v1
	s_delay_alu instid0(VALU_DEP_1) | instskip(NEXT) | instid1(VALU_DEP_1)
	v_subrev_nc_u32_e32 v2, 28, v1
	v_lshlrev_b64_e32 v[2:3], v2, v[4:5]
	s_delay_alu instid0(VALU_DEP_1)
	v_dual_sub_nc_u32 v1, 29, v1 :: v_dual_bitop2_b32 v4, 7, v2 bitop3:0x40
; %bb.1047:                             ;   in Loop: Header=BB214_15 Depth=1
	s_or_b32 exec_lo, exec_lo, s17
	v_lshlrev_b32_e32 v2, 24, v0
	s_delay_alu instid0(VALU_DEP_2) | instskip(NEXT) | instid1(VALU_DEP_3)
	v_lshlrev_b32_e32 v3, 20, v4
	v_lshl_add_u32 v1, v1, 23, 0x3c000000
	s_delay_alu instid0(VALU_DEP_3) | instskip(NEXT) | instid1(VALU_DEP_1)
	v_and_b32_e32 v2, 0x80000000, v2
	v_or3_b32 v4, v3, v2, v1
	v_mov_b32_e32 v1, v5
	s_clause 0x1
	scratch_store_b64 off, v[0:1], s32 offset:192
	scratch_store_b64 off, v[4:5], s32 offset:1292
.LBB214_1048:                           ;   in Loop: Header=BB214_15 Depth=1
	s_wait_xcnt 0x0
	s_or_b32 exec_lo, exec_lo, s16
.LBB214_1049:                           ;   in Loop: Header=BB214_15 Depth=1
	s_delay_alu instid0(SALU_CYCLE_1)
	s_or_b32 exec_lo, exec_lo, s15
.LBB214_1050:                           ;   in Loop: Header=BB214_15 Depth=1
	s_delay_alu instid0(SALU_CYCLE_1) | instskip(SKIP_2) | instid1(VALU_DEP_1)
	s_or_b32 exec_lo, exec_lo, s14
	v_lshrrev_b16 v1, 8, v0
	s_mov_b32 s14, exec_lo
	v_cmpx_ne_u16_e32 0, v1
	s_cbranch_execz .LBB214_1058
; %bb.1051:                             ;   in Loop: Header=BB214_15 Depth=1
	v_mov_b64_e32 v[2:3], 0x8000000000000000
	s_mov_b32 s15, exec_lo
	scratch_store_b64 off, v[2:3], s32 offset:1284 ; 8-byte Folded Spill
	s_wait_xcnt 0x0
	v_cmpx_ne_u16_e32 0x80, v1
	s_cbranch_execz .LBB214_1057
; %bb.1052:                             ;   in Loop: Header=BB214_15 Depth=1
	v_and_b32_e32 v1, 0xffff, v1
	v_mov_b64_e32 v[4:5], 0x7f80000100000000
	s_mov_b32 s16, exec_lo
	s_delay_alu instid0(VALU_DEP_2)
	v_and_b32_e32 v2, 0x7f, v1
	scratch_store_b64 off, v[4:5], s32 offset:1284 ; 8-byte Folded Spill
	s_wait_xcnt 0x0
	v_cmpx_ne_u32_e32 0x7f, v2
	s_cbranch_execz .LBB214_1056
; %bb.1053:                             ;   in Loop: Header=BB214_15 Depth=1
	scratch_load_b64 v[4:5], off, s32 offset:192 th:TH_LOAD_LU ; 8-byte Folded Reload
	s_wait_loadcnt 0x0
	v_dual_lshrrev_b32 v1, 3, v2 :: v_dual_bitop2_b32 v4, 7, v1 bitop3:0x40
	s_mov_b32 s17, exec_lo
	s_wait_xcnt 0x0
	v_cmpx_gt_u32_e32 8, v2
; %bb.1054:                             ;   in Loop: Header=BB214_15 Depth=1
	s_delay_alu instid0(VALU_DEP_2) | instskip(NEXT) | instid1(VALU_DEP_1)
	v_clz_i32_u32_e32 v1, v4
	v_min_u32_e32 v1, 32, v1
	s_delay_alu instid0(VALU_DEP_1) | instskip(NEXT) | instid1(VALU_DEP_1)
	v_subrev_nc_u32_e32 v2, 28, v1
	v_lshlrev_b64_e32 v[2:3], v2, v[4:5]
	s_delay_alu instid0(VALU_DEP_1)
	v_dual_sub_nc_u32 v1, 29, v1 :: v_dual_bitop2_b32 v4, 7, v2 bitop3:0x40
; %bb.1055:                             ;   in Loop: Header=BB214_15 Depth=1
	s_or_b32 exec_lo, exec_lo, s17
	v_lshlrev_b32_e32 v2, 16, v0
	s_delay_alu instid0(VALU_DEP_2) | instskip(NEXT) | instid1(VALU_DEP_3)
	v_lshlrev_b32_e32 v3, 20, v4
	v_lshl_add_u32 v1, v1, 23, 0x3c000000
	s_delay_alu instid0(VALU_DEP_3) | instskip(NEXT) | instid1(VALU_DEP_1)
	v_and_b32_e32 v2, 0x80000000, v2
	v_or3_b32 v3, v3, v2, v1
	v_dual_mov_b32 v1, v5 :: v_dual_mov_b32 v2, v5
	s_clause 0x1
	scratch_store_b64 off, v[0:1], s32 offset:192
	scratch_store_b64 off, v[2:3], s32 offset:1284
.LBB214_1056:                           ;   in Loop: Header=BB214_15 Depth=1
	s_wait_xcnt 0x0
	s_or_b32 exec_lo, exec_lo, s16
.LBB214_1057:                           ;   in Loop: Header=BB214_15 Depth=1
	s_delay_alu instid0(SALU_CYCLE_1)
	s_or_b32 exec_lo, exec_lo, s15
.LBB214_1058:                           ;   in Loop: Header=BB214_15 Depth=1
	s_delay_alu instid0(SALU_CYCLE_1) | instskip(SKIP_3) | instid1(VALU_DEP_1)
	s_or_b32 exec_lo, exec_lo, s14
	v_mov_b64_e32 v[4:5], 0
	v_lshrrev_b32_e32 v1, 16, v0
	s_mov_b32 s14, exec_lo
	v_and_b32_e32 v2, 0xff, v1
	scratch_store_b64 off, v[4:5], s32 offset:1300 ; 8-byte Folded Spill
	s_wait_xcnt 0x0
	v_mov_b64_e32 v[4:5], 0
	scratch_store_b64 off, v[4:5], s32 offset:1308 ; 8-byte Folded Spill
	s_wait_xcnt 0x0
	v_cmpx_ne_u16_e32 0, v2
	s_cbranch_execz .LBB214_1066
; %bb.1059:                             ;   in Loop: Header=BB214_15 Depth=1
	v_cmp_ne_u16_e64 s1, 0x80, v2
	v_mov_b64_e32 v[2:3], 0x80000000
	scratch_store_b64 off, v[2:3], s32 offset:1308 ; 8-byte Folded Spill
	s_wait_xcnt 0x0
	s_and_saveexec_b32 s15, s1
	s_cbranch_execz .LBB214_1065
; %bb.1060:                             ;   in Loop: Header=BB214_15 Depth=1
	v_mov_b64_e32 v[4:5], 0x7f800001
	v_bfe_u32 v3, v0, 16, 7
	s_mov_b32 s16, exec_lo
	scratch_store_b64 off, v[4:5], s32 offset:1308 ; 8-byte Folded Spill
	s_wait_xcnt 0x0
	v_cmpx_ne_u32_e32 0x7f, v3
	s_cbranch_execz .LBB214_1064
; %bb.1061:                             ;   in Loop: Header=BB214_15 Depth=1
	scratch_load_b64 v[6:7], off, s32 offset:192 th:TH_LOAD_LU ; 8-byte Folded Reload
	s_wait_loadcnt 0x0
	v_dual_lshrrev_b32 v2, 3, v3 :: v_dual_bitop2_b32 v6, 7, v1 bitop3:0x40
	s_mov_b32 s17, exec_lo
	s_wait_xcnt 0x0
	v_cmpx_gt_u32_e32 8, v3
; %bb.1062:                             ;   in Loop: Header=BB214_15 Depth=1
	s_delay_alu instid0(VALU_DEP_2) | instskip(NEXT) | instid1(VALU_DEP_1)
	v_clz_i32_u32_e32 v2, v6
	v_min_u32_e32 v2, 32, v2
	s_delay_alu instid0(VALU_DEP_1) | instskip(NEXT) | instid1(VALU_DEP_1)
	v_subrev_nc_u32_e32 v3, 28, v2
	v_lshlrev_b64_e32 v[4:5], v3, v[6:7]
	s_delay_alu instid0(VALU_DEP_1)
	v_dual_sub_nc_u32 v2, 29, v2 :: v_dual_bitop2_b32 v6, 7, v4 bitop3:0x40
; %bb.1063:                             ;   in Loop: Header=BB214_15 Depth=1
	s_or_b32 exec_lo, exec_lo, s17
	s_delay_alu instid0(VALU_DEP_1) | instskip(NEXT) | instid1(VALU_DEP_2)
	v_dual_lshlrev_b32 v1, 24, v1 :: v_dual_lshlrev_b32 v3, 20, v6
	v_lshl_add_u32 v2, v2, 23, 0x3c000000
	s_delay_alu instid0(VALU_DEP_2) | instskip(NEXT) | instid1(VALU_DEP_1)
	v_and_b32_e32 v1, 0x80000000, v1
	v_or3_b32 v6, v3, v1, v2
	v_mov_b32_e32 v1, v7
	s_clause 0x1
	scratch_store_b64 off, v[0:1], s32 offset:192
	scratch_store_b64 off, v[6:7], s32 offset:1308
.LBB214_1064:                           ;   in Loop: Header=BB214_15 Depth=1
	s_wait_xcnt 0x0
	s_or_b32 exec_lo, exec_lo, s16
.LBB214_1065:                           ;   in Loop: Header=BB214_15 Depth=1
	s_delay_alu instid0(SALU_CYCLE_1)
	s_or_b32 exec_lo, exec_lo, s15
.LBB214_1066:                           ;   in Loop: Header=BB214_15 Depth=1
	s_delay_alu instid0(SALU_CYCLE_1) | instskip(NEXT) | instid1(SALU_CYCLE_1)
	s_or_b32 exec_lo, exec_lo, s14
	s_mov_b32 s14, exec_lo
	v_cmpx_lt_u32_e32 0xffffff, v0
	s_cbranch_execz .LBB214_1074
; %bb.1067:                             ;   in Loop: Header=BB214_15 Depth=1
	v_mov_b64_e32 v[2:3], 0x8000000000000000
	v_lshrrev_b32_e32 v1, 24, v0
	s_mov_b32 s15, exec_lo
	scratch_store_b64 off, v[2:3], s32 offset:1300 ; 8-byte Folded Spill
	s_wait_xcnt 0x0
	v_cmpx_ne_u32_e32 0x80, v1
	s_cbranch_execz .LBB214_1073
; %bb.1068:                             ;   in Loop: Header=BB214_15 Depth=1
	v_mov_b64_e32 v[4:5], 0x7f80000100000000
	v_bfe_u32 v2, v0, 24, 7
	s_mov_b32 s16, exec_lo
	scratch_store_b64 off, v[4:5], s32 offset:1300 ; 8-byte Folded Spill
	s_wait_xcnt 0x0
	v_cmpx_ne_u32_e32 0x7f, v2
	s_cbranch_execz .LBB214_1072
; %bb.1069:                             ;   in Loop: Header=BB214_15 Depth=1
	scratch_load_b64 v[4:5], off, s32 offset:192 th:TH_LOAD_LU ; 8-byte Folded Reload
	s_wait_loadcnt 0x0
	v_dual_lshrrev_b32 v0, 3, v2 :: v_dual_bitop2_b32 v4, 7, v1 bitop3:0x40
	s_mov_b32 s17, exec_lo
	s_wait_xcnt 0x0
	v_cmpx_gt_u32_e32 8, v2
; %bb.1070:                             ;   in Loop: Header=BB214_15 Depth=1
	s_delay_alu instid0(VALU_DEP_2) | instskip(NEXT) | instid1(VALU_DEP_1)
	v_clz_i32_u32_e32 v0, v4
	v_min_u32_e32 v0, 32, v0
	s_delay_alu instid0(VALU_DEP_1) | instskip(NEXT) | instid1(VALU_DEP_1)
	v_subrev_nc_u32_e32 v2, 28, v0
	v_lshlrev_b64_e32 v[2:3], v2, v[4:5]
	s_delay_alu instid0(VALU_DEP_1)
	v_dual_sub_nc_u32 v0, 29, v0 :: v_dual_bitop2_b32 v4, 7, v2 bitop3:0x40
; %bb.1071:                             ;   in Loop: Header=BB214_15 Depth=1
	s_or_b32 exec_lo, exec_lo, s17
	s_delay_alu instid0(VALU_DEP_1) | instskip(NEXT) | instid1(VALU_DEP_2)
	v_dual_lshlrev_b32 v1, 24, v1 :: v_dual_lshlrev_b32 v2, 20, v4
	v_lshl_add_u32 v0, v0, 23, 0x3c000000
	s_delay_alu instid0(VALU_DEP_2) | instskip(NEXT) | instid1(VALU_DEP_1)
	v_and_b32_e32 v1, 0x80000000, v1
	v_or3_b32 v3, v2, v1, v0
	v_dual_mov_b32 v1, v5 :: v_dual_mov_b32 v2, v5
	s_clause 0x1
	scratch_store_b64 off, v[0:1], s32 offset:192
	scratch_store_b64 off, v[2:3], s32 offset:1300
.LBB214_1072:                           ;   in Loop: Header=BB214_15 Depth=1
	s_wait_xcnt 0x0
	s_or_b32 exec_lo, exec_lo, s16
.LBB214_1073:                           ;   in Loop: Header=BB214_15 Depth=1
	s_delay_alu instid0(SALU_CYCLE_1)
	s_or_b32 exec_lo, exec_lo, s15
.LBB214_1074:                           ;   in Loop: Header=BB214_15 Depth=1
	s_delay_alu instid0(SALU_CYCLE_1)
	s_or_b32 exec_lo, exec_lo, s14
	flat_load_b32 v2, v[120:121] offset:4100
	v_mov_b64_e32 v[4:5], 0
	s_mov_b32 s14, exec_lo
	scratch_store_b64 off, v[4:5], s32 offset:1324 ; 8-byte Folded Spill
	s_wait_xcnt 0x0
	v_mov_b64_e32 v[4:5], 0
	scratch_store_b64 off, v[4:5], s32 offset:1316 ; 8-byte Folded Spill
	s_wait_loadcnt_dscnt 0x0
	v_and_b32_e32 v0, 0xff, v2
	s_wait_xcnt 0x0
	s_delay_alu instid0(VALU_DEP_1)
	v_cmpx_ne_u16_e32 0, v0
	s_cbranch_execz .LBB214_1082
; %bb.1075:                             ;   in Loop: Header=BB214_15 Depth=1
	v_cmp_ne_u16_e64 s1, 0x80, v0
	v_mov_b64_e32 v[0:1], 0x80000000
	scratch_store_b64 off, v[0:1], s32 offset:1316 ; 8-byte Folded Spill
	s_wait_xcnt 0x0
	s_and_saveexec_b32 s15, s1
	s_cbranch_execz .LBB214_1081
; %bb.1076:                             ;   in Loop: Header=BB214_15 Depth=1
	v_mov_b64_e32 v[4:5], 0x7f800001
	v_and_b32_e32 v1, 0x7f, v2
	s_mov_b32 s16, exec_lo
	scratch_store_b64 off, v[4:5], s32 offset:1316 ; 8-byte Folded Spill
	s_wait_xcnt 0x0
	v_cmpx_ne_u32_e32 0x7f, v1
	s_cbranch_execz .LBB214_1080
; %bb.1077:                             ;   in Loop: Header=BB214_15 Depth=1
	scratch_load_b64 v[8:9], off, s32 offset:192 th:TH_LOAD_LU ; 8-byte Folded Reload
	s_wait_loadcnt 0x0
	v_dual_lshrrev_b32 v0, 3, v1 :: v_dual_bitop2_b32 v8, 7, v2 bitop3:0x40
	s_mov_b32 s17, exec_lo
	s_wait_xcnt 0x0
	v_cmpx_gt_u32_e32 8, v1
; %bb.1078:                             ;   in Loop: Header=BB214_15 Depth=1
	s_delay_alu instid0(VALU_DEP_2) | instskip(NEXT) | instid1(VALU_DEP_1)
	v_clz_i32_u32_e32 v0, v8
	v_min_u32_e32 v0, 32, v0
	s_delay_alu instid0(VALU_DEP_1) | instskip(SKIP_1) | instid1(VALU_DEP_2)
	v_subrev_nc_u32_e32 v1, 28, v0
	v_sub_nc_u32_e32 v0, 29, v0
	v_lshlrev_b64_e32 v[4:5], v1, v[8:9]
	s_delay_alu instid0(VALU_DEP_1)
	v_and_b32_e32 v8, 7, v4
; %bb.1079:                             ;   in Loop: Header=BB214_15 Depth=1
	s_or_b32 exec_lo, exec_lo, s17
	s_delay_alu instid0(VALU_DEP_1) | instskip(SKIP_1) | instid1(VALU_DEP_2)
	v_dual_lshlrev_b32 v1, 24, v2 :: v_dual_lshlrev_b32 v3, 20, v8
	v_lshl_add_u32 v0, v0, 23, 0x3c000000
	v_and_b32_e32 v1, 0x80000000, v1
	s_delay_alu instid0(VALU_DEP_1)
	v_or3_b32 v8, v3, v1, v0
	v_mov_b32_e32 v1, v9
	s_clause 0x1
	scratch_store_b64 off, v[0:1], s32 offset:192
	scratch_store_b64 off, v[8:9], s32 offset:1316
.LBB214_1080:                           ;   in Loop: Header=BB214_15 Depth=1
	s_wait_xcnt 0x0
	s_or_b32 exec_lo, exec_lo, s16
.LBB214_1081:                           ;   in Loop: Header=BB214_15 Depth=1
	s_delay_alu instid0(SALU_CYCLE_1)
	s_or_b32 exec_lo, exec_lo, s15
.LBB214_1082:                           ;   in Loop: Header=BB214_15 Depth=1
	s_delay_alu instid0(SALU_CYCLE_1) | instskip(SKIP_2) | instid1(VALU_DEP_1)
	s_or_b32 exec_lo, exec_lo, s14
	v_lshrrev_b16 v0, 8, v2
	s_mov_b32 s14, exec_lo
	v_cmpx_ne_u16_e32 0, v0
	s_cbranch_execz .LBB214_1090
; %bb.1083:                             ;   in Loop: Header=BB214_15 Depth=1
	v_mov_b64_e32 v[4:5], 0x8000000000000000
	s_mov_b32 s15, exec_lo
	scratch_store_b64 off, v[4:5], s32 offset:1324 ; 8-byte Folded Spill
	s_wait_xcnt 0x0
	v_cmpx_ne_u16_e32 0x80, v0
	s_cbranch_execz .LBB214_1089
; %bb.1084:                             ;   in Loop: Header=BB214_15 Depth=1
	v_and_b32_e32 v0, 0xffff, v0
	v_mov_b64_e32 v[4:5], 0x7f80000100000000
	s_mov_b32 s16, exec_lo
	s_delay_alu instid0(VALU_DEP_2)
	v_and_b32_e32 v1, 0x7f, v0
	scratch_store_b64 off, v[4:5], s32 offset:1324 ; 8-byte Folded Spill
	s_wait_xcnt 0x0
	v_cmpx_ne_u32_e32 0x7f, v1
	s_cbranch_execz .LBB214_1088
; %bb.1085:                             ;   in Loop: Header=BB214_15 Depth=1
	scratch_load_b64 v[8:9], off, s32 offset:192 th:TH_LOAD_LU ; 8-byte Folded Reload
	s_wait_loadcnt 0x0
	v_dual_lshrrev_b32 v0, 3, v1 :: v_dual_bitop2_b32 v8, 7, v0 bitop3:0x40
	s_mov_b32 s17, exec_lo
	s_wait_xcnt 0x0
	v_cmpx_gt_u32_e32 8, v1
; %bb.1086:                             ;   in Loop: Header=BB214_15 Depth=1
	s_delay_alu instid0(VALU_DEP_2) | instskip(NEXT) | instid1(VALU_DEP_1)
	v_clz_i32_u32_e32 v0, v8
	v_min_u32_e32 v0, 32, v0
	s_delay_alu instid0(VALU_DEP_1) | instskip(SKIP_1) | instid1(VALU_DEP_2)
	v_subrev_nc_u32_e32 v1, 28, v0
	v_sub_nc_u32_e32 v0, 29, v0
	v_lshlrev_b64_e32 v[4:5], v1, v[8:9]
	s_delay_alu instid0(VALU_DEP_1)
	v_and_b32_e32 v8, 7, v4
; %bb.1087:                             ;   in Loop: Header=BB214_15 Depth=1
	s_or_b32 exec_lo, exec_lo, s17
	s_delay_alu instid0(VALU_DEP_1) | instskip(SKIP_2) | instid1(VALU_DEP_3)
	v_dual_lshlrev_b32 v1, 16, v2 :: v_dual_lshlrev_b32 v3, 20, v8
	v_lshl_add_u32 v0, v0, 23, 0x3c000000
	v_mov_b32_e32 v4, v9
	v_and_b32_e32 v1, 0x80000000, v1
	s_delay_alu instid0(VALU_DEP_1)
	v_or3_b32 v5, v3, v1, v0
	v_mov_b32_e32 v1, v9
	s_clause 0x1
	scratch_store_b64 off, v[4:5], s32 offset:1324
	scratch_store_b64 off, v[0:1], s32 offset:192
.LBB214_1088:                           ;   in Loop: Header=BB214_15 Depth=1
	s_wait_xcnt 0x0
	s_or_b32 exec_lo, exec_lo, s16
.LBB214_1089:                           ;   in Loop: Header=BB214_15 Depth=1
	s_delay_alu instid0(SALU_CYCLE_1)
	s_or_b32 exec_lo, exec_lo, s15
.LBB214_1090:                           ;   in Loop: Header=BB214_15 Depth=1
	s_delay_alu instid0(SALU_CYCLE_1) | instskip(SKIP_4) | instid1(VALU_DEP_3)
	s_or_b32 exec_lo, exec_lo, s14
	v_lshrrev_b32_e32 v3, 16, v2
	v_mov_b64_e32 v[126:127], 0
	v_mov_b64_e32 v[0:1], 0
	s_mov_b32 s14, exec_lo
	v_and_b32_e32 v4, 0xff, v3
	scratch_store_b64 off, v[0:1], s32 offset:1332 ; 8-byte Folded Spill
	s_wait_xcnt 0x0
	v_cmpx_ne_u16_e32 0, v4
	s_cbranch_execz .LBB214_1098
; %bb.1091:                             ;   in Loop: Header=BB214_15 Depth=1
	v_mov_b64_e32 v[0:1], 0x80000000
	s_mov_b32 s15, exec_lo
	scratch_store_b64 off, v[0:1], s32 offset:1332 ; 8-byte Folded Spill
	s_wait_xcnt 0x0
	v_cmpx_ne_u16_e32 0x80, v4
	s_cbranch_execz .LBB214_1097
; %bb.1092:                             ;   in Loop: Header=BB214_15 Depth=1
	v_mov_b64_e32 v[0:1], 0x7f800001
	v_bfe_u32 v4, v2, 16, 7
	s_mov_b32 s16, exec_lo
	scratch_store_b64 off, v[0:1], s32 offset:1332 ; 8-byte Folded Spill
	s_wait_xcnt 0x0
	v_cmpx_ne_u32_e32 0x7f, v4
	s_cbranch_execz .LBB214_1096
; %bb.1093:                             ;   in Loop: Header=BB214_15 Depth=1
	scratch_load_b64 v[8:9], off, s32 offset:192 th:TH_LOAD_LU ; 8-byte Folded Reload
	s_wait_loadcnt 0x0
	v_dual_lshrrev_b32 v0, 3, v4 :: v_dual_bitop2_b32 v8, 7, v3 bitop3:0x40
	s_mov_b32 s17, exec_lo
	s_wait_xcnt 0x0
	v_cmpx_gt_u32_e32 8, v4
; %bb.1094:                             ;   in Loop: Header=BB214_15 Depth=1
	s_delay_alu instid0(VALU_DEP_2) | instskip(NEXT) | instid1(VALU_DEP_1)
	v_clz_i32_u32_e32 v0, v8
	v_min_u32_e32 v0, 32, v0
	s_delay_alu instid0(VALU_DEP_1) | instskip(SKIP_1) | instid1(VALU_DEP_2)
	v_subrev_nc_u32_e32 v1, 28, v0
	v_sub_nc_u32_e32 v0, 29, v0
	v_lshlrev_b64_e32 v[4:5], v1, v[8:9]
	s_delay_alu instid0(VALU_DEP_1)
	v_and_b32_e32 v8, 7, v4
; %bb.1095:                             ;   in Loop: Header=BB214_15 Depth=1
	s_or_b32 exec_lo, exec_lo, s17
	s_delay_alu instid0(VALU_DEP_1) | instskip(SKIP_1) | instid1(VALU_DEP_2)
	v_dual_lshlrev_b32 v1, 24, v3 :: v_dual_lshlrev_b32 v3, 20, v8
	v_lshl_add_u32 v0, v0, 23, 0x3c000000
	v_and_b32_e32 v1, 0x80000000, v1
	s_delay_alu instid0(VALU_DEP_1)
	v_or3_b32 v8, v3, v1, v0
	v_mov_b32_e32 v1, v9
	s_clause 0x1
	scratch_store_b64 off, v[0:1], s32 offset:192
	scratch_store_b64 off, v[8:9], s32 offset:1332
.LBB214_1096:                           ;   in Loop: Header=BB214_15 Depth=1
	s_wait_xcnt 0x0
	s_or_b32 exec_lo, exec_lo, s16
.LBB214_1097:                           ;   in Loop: Header=BB214_15 Depth=1
	s_delay_alu instid0(SALU_CYCLE_1)
	s_or_b32 exec_lo, exec_lo, s15
.LBB214_1098:                           ;   in Loop: Header=BB214_15 Depth=1
	s_delay_alu instid0(SALU_CYCLE_1) | instskip(NEXT) | instid1(SALU_CYCLE_1)
	s_or_b32 exec_lo, exec_lo, s14
	s_mov_b32 s14, exec_lo
	v_cmpx_lt_u32_e32 0xffffff, v2
	s_cbranch_execz .LBB214_1106
; %bb.1099:                             ;   in Loop: Header=BB214_15 Depth=1
	v_mov_b64_e32 v[126:127], 0x8000000000000000
	v_lshrrev_b32_e32 v3, 24, v2
	s_mov_b32 s15, exec_lo
	s_delay_alu instid0(VALU_DEP_1)
	v_cmpx_ne_u32_e32 0x80, v3
	s_cbranch_execz .LBB214_1105
; %bb.1100:                             ;   in Loop: Header=BB214_15 Depth=1
	v_mov_b64_e32 v[126:127], 0x7f80000100000000
	v_bfe_u32 v4, v2, 24, 7
	s_mov_b32 s16, exec_lo
	s_delay_alu instid0(VALU_DEP_1)
	v_cmpx_ne_u32_e32 0x7f, v4
	s_cbranch_execz .LBB214_1104
; %bb.1101:                             ;   in Loop: Header=BB214_15 Depth=1
	scratch_load_b64 v[8:9], off, s32 offset:192 th:TH_LOAD_LU ; 8-byte Folded Reload
	s_wait_loadcnt 0x0
	v_dual_lshrrev_b32 v2, 3, v4 :: v_dual_bitop2_b32 v8, 7, v3 bitop3:0x40
	s_mov_b32 s17, exec_lo
	s_wait_xcnt 0x0
	v_cmpx_gt_u32_e32 8, v4
; %bb.1102:                             ;   in Loop: Header=BB214_15 Depth=1
	s_delay_alu instid0(VALU_DEP_2) | instskip(NEXT) | instid1(VALU_DEP_1)
	v_clz_i32_u32_e32 v2, v8
	v_min_u32_e32 v2, 32, v2
	s_delay_alu instid0(VALU_DEP_1) | instskip(NEXT) | instid1(VALU_DEP_1)
	v_subrev_nc_u32_e32 v4, 28, v2
	v_lshlrev_b64_e32 v[4:5], v4, v[8:9]
	s_delay_alu instid0(VALU_DEP_1)
	v_dual_sub_nc_u32 v2, 29, v2 :: v_dual_bitop2_b32 v8, 7, v4 bitop3:0x40
; %bb.1103:                             ;   in Loop: Header=BB214_15 Depth=1
	s_or_b32 exec_lo, exec_lo, s17
	s_delay_alu instid0(VALU_DEP_1) | instskip(NEXT) | instid1(VALU_DEP_2)
	v_dual_lshlrev_b32 v3, 24, v3 :: v_dual_lshlrev_b32 v4, 20, v8
	v_lshl_add_u32 v2, v2, 23, 0x3c000000
	v_mov_b32_e32 v126, v9
	s_delay_alu instid0(VALU_DEP_3) | instskip(NEXT) | instid1(VALU_DEP_1)
	v_and_b32_e32 v3, 0x80000000, v3
	v_or3_b32 v127, v4, v3, v2
	v_mov_b32_e32 v3, v9
	scratch_store_b64 off, v[2:3], s32 offset:192 ; 8-byte Folded Spill
.LBB214_1104:                           ;   in Loop: Header=BB214_15 Depth=1
	s_wait_xcnt 0x0
	s_or_b32 exec_lo, exec_lo, s16
.LBB214_1105:                           ;   in Loop: Header=BB214_15 Depth=1
	s_delay_alu instid0(SALU_CYCLE_1)
	s_or_b32 exec_lo, exec_lo, s15
.LBB214_1106:                           ;   in Loop: Header=BB214_15 Depth=1
	s_delay_alu instid0(SALU_CYCLE_1)
	s_or_b32 exec_lo, exec_lo, s14
	flat_load_b32 v2, v[120:121] offset:4104
	v_mov_b64_e32 v[4:5], 0
	v_mov_b64_e32 v[36:37], 0
	s_mov_b32 s14, exec_lo
	s_wait_loadcnt_dscnt 0x0
	v_and_b32_e32 v3, 0xff, v2
	s_wait_xcnt 0x0
	s_delay_alu instid0(VALU_DEP_1)
	v_cmpx_ne_u16_e32 0, v3
	s_cbranch_execz .LBB214_1114
; %bb.1107:                             ;   in Loop: Header=BB214_15 Depth=1
	v_mov_b64_e32 v[36:37], 0x80000000
	s_mov_b32 s15, exec_lo
	v_cmpx_ne_u16_e32 0x80, v3
	s_cbranch_execz .LBB214_1113
; %bb.1108:                             ;   in Loop: Header=BB214_15 Depth=1
	v_mov_b64_e32 v[36:37], 0x7f800001
	v_and_b32_e32 v8, 0x7f, v2
	s_mov_b32 s16, exec_lo
	s_delay_alu instid0(VALU_DEP_1)
	v_cmpx_ne_u32_e32 0x7f, v8
	s_cbranch_execz .LBB214_1112
; %bb.1109:                             ;   in Loop: Header=BB214_15 Depth=1
	scratch_load_b64 v[36:37], off, s32 offset:192 th:TH_LOAD_LU ; 8-byte Folded Reload
	s_wait_loadcnt 0x0
	v_dual_lshrrev_b32 v3, 3, v8 :: v_dual_bitop2_b32 v36, 7, v2 bitop3:0x40
	s_mov_b32 s17, exec_lo
	s_wait_xcnt 0x0
	v_cmpx_gt_u32_e32 8, v8
; %bb.1110:                             ;   in Loop: Header=BB214_15 Depth=1
	s_delay_alu instid0(VALU_DEP_2) | instskip(NEXT) | instid1(VALU_DEP_1)
	v_clz_i32_u32_e32 v3, v36
	v_min_u32_e32 v3, 32, v3
	s_delay_alu instid0(VALU_DEP_1) | instskip(NEXT) | instid1(VALU_DEP_1)
	v_subrev_nc_u32_e32 v8, 28, v3
	v_lshlrev_b64_e32 v[8:9], v8, v[36:37]
	s_delay_alu instid0(VALU_DEP_1)
	v_dual_sub_nc_u32 v3, 29, v3 :: v_dual_bitop2_b32 v36, 7, v8 bitop3:0x40
; %bb.1111:                             ;   in Loop: Header=BB214_15 Depth=1
	s_or_b32 exec_lo, exec_lo, s17
	s_delay_alu instid0(VALU_DEP_1) | instskip(NEXT) | instid1(VALU_DEP_2)
	v_dual_lshlrev_b32 v8, 24, v2 :: v_dual_lshlrev_b32 v9, 20, v36
	v_lshl_add_u32 v3, v3, 23, 0x3c000000
	s_delay_alu instid0(VALU_DEP_2) | instskip(NEXT) | instid1(VALU_DEP_1)
	v_and_b32_e32 v8, 0x80000000, v8
	v_or3_b32 v36, v9, v8, v3
	v_mov_b32_e32 v3, v37
	scratch_store_b64 off, v[2:3], s32 offset:192 ; 8-byte Folded Spill
.LBB214_1112:                           ;   in Loop: Header=BB214_15 Depth=1
	s_wait_xcnt 0x0
	s_or_b32 exec_lo, exec_lo, s16
.LBB214_1113:                           ;   in Loop: Header=BB214_15 Depth=1
	s_delay_alu instid0(SALU_CYCLE_1)
	s_or_b32 exec_lo, exec_lo, s15
.LBB214_1114:                           ;   in Loop: Header=BB214_15 Depth=1
	s_delay_alu instid0(SALU_CYCLE_1) | instskip(SKIP_2) | instid1(VALU_DEP_1)
	s_or_b32 exec_lo, exec_lo, s14
	v_lshrrev_b16 v3, 8, v2
	s_mov_b32 s14, exec_lo
	v_cmpx_ne_u16_e32 0, v3
	s_cbranch_execz .LBB214_1122
; %bb.1115:                             ;   in Loop: Header=BB214_15 Depth=1
	v_mov_b64_e32 v[4:5], 0x8000000000000000
	s_mov_b32 s15, exec_lo
	v_cmpx_ne_u16_e32 0x80, v3
	s_cbranch_execz .LBB214_1121
; %bb.1116:                             ;   in Loop: Header=BB214_15 Depth=1
	v_and_b32_e32 v3, 0xffff, v3
	v_mov_b64_e32 v[4:5], 0x7f80000100000000
	s_mov_b32 s16, exec_lo
	s_delay_alu instid0(VALU_DEP_2) | instskip(NEXT) | instid1(VALU_DEP_1)
	v_and_b32_e32 v8, 0x7f, v3
	v_cmpx_ne_u32_e32 0x7f, v8
	s_cbranch_execz .LBB214_1120
; %bb.1117:                             ;   in Loop: Header=BB214_15 Depth=1
	scratch_load_b64 v[10:11], off, s32 offset:192 th:TH_LOAD_LU ; 8-byte Folded Reload
	s_wait_loadcnt 0x0
	v_dual_lshrrev_b32 v3, 3, v8 :: v_dual_bitop2_b32 v10, 7, v3 bitop3:0x40
	s_mov_b32 s17, exec_lo
	s_wait_xcnt 0x0
	v_cmpx_gt_u32_e32 8, v8
; %bb.1118:                             ;   in Loop: Header=BB214_15 Depth=1
	s_delay_alu instid0(VALU_DEP_2) | instskip(NEXT) | instid1(VALU_DEP_1)
	v_clz_i32_u32_e32 v3, v10
	v_min_u32_e32 v3, 32, v3
	s_delay_alu instid0(VALU_DEP_1) | instskip(NEXT) | instid1(VALU_DEP_1)
	v_subrev_nc_u32_e32 v4, 28, v3
	v_lshlrev_b64_e32 v[4:5], v4, v[10:11]
	s_delay_alu instid0(VALU_DEP_1)
	v_dual_sub_nc_u32 v3, 29, v3 :: v_dual_bitop2_b32 v10, 7, v4 bitop3:0x40
; %bb.1119:                             ;   in Loop: Header=BB214_15 Depth=1
	s_or_b32 exec_lo, exec_lo, s17
	v_lshlrev_b32_e32 v4, 16, v2
	s_delay_alu instid0(VALU_DEP_2) | instskip(NEXT) | instid1(VALU_DEP_3)
	v_lshlrev_b32_e32 v5, 20, v10
	v_lshl_add_u32 v3, v3, 23, 0x3c000000
	s_delay_alu instid0(VALU_DEP_3) | instskip(NEXT) | instid1(VALU_DEP_1)
	v_and_b32_e32 v4, 0x80000000, v4
	v_or3_b32 v5, v5, v4, v3
	v_dual_mov_b32 v3, v11 :: v_dual_mov_b32 v4, v11
	scratch_store_b64 off, v[2:3], s32 offset:192 ; 8-byte Folded Spill
.LBB214_1120:                           ;   in Loop: Header=BB214_15 Depth=1
	s_wait_xcnt 0x0
	s_or_b32 exec_lo, exec_lo, s16
.LBB214_1121:                           ;   in Loop: Header=BB214_15 Depth=1
	s_delay_alu instid0(SALU_CYCLE_1)
	s_or_b32 exec_lo, exec_lo, s15
.LBB214_1122:                           ;   in Loop: Header=BB214_15 Depth=1
	s_delay_alu instid0(SALU_CYCLE_1) | instskip(SKIP_4) | instid1(VALU_DEP_3)
	s_or_b32 exec_lo, exec_lo, s14
	v_lshrrev_b32_e32 v3, 16, v2
	v_mov_b64_e32 v[0:1], 0
	v_mov_b64_e32 v[48:49], 0
	s_mov_b32 s14, exec_lo
	v_and_b32_e32 v8, 0xff, v3
	s_delay_alu instid0(VALU_DEP_1)
	v_cmpx_ne_u16_e32 0, v8
	s_cbranch_execz .LBB214_1130
; %bb.1123:                             ;   in Loop: Header=BB214_15 Depth=1
	v_mov_b64_e32 v[48:49], 0x80000000
	s_mov_b32 s15, exec_lo
	v_cmpx_ne_u16_e32 0x80, v8
	s_cbranch_execz .LBB214_1129
; %bb.1124:                             ;   in Loop: Header=BB214_15 Depth=1
	v_mov_b64_e32 v[48:49], 0x7f800001
	v_bfe_u32 v9, v2, 16, 7
	s_mov_b32 s16, exec_lo
	s_delay_alu instid0(VALU_DEP_1)
	v_cmpx_ne_u32_e32 0x7f, v9
	s_cbranch_execz .LBB214_1128
; %bb.1125:                             ;   in Loop: Header=BB214_15 Depth=1
	scratch_load_b64 v[48:49], off, s32 offset:192 th:TH_LOAD_LU ; 8-byte Folded Reload
	s_wait_loadcnt 0x0
	v_dual_lshrrev_b32 v8, 3, v9 :: v_dual_bitop2_b32 v48, 7, v3 bitop3:0x40
	s_mov_b32 s17, exec_lo
	s_wait_xcnt 0x0
	v_cmpx_gt_u32_e32 8, v9
; %bb.1126:                             ;   in Loop: Header=BB214_15 Depth=1
	s_delay_alu instid0(VALU_DEP_2) | instskip(NEXT) | instid1(VALU_DEP_1)
	v_clz_i32_u32_e32 v8, v48
	v_min_u32_e32 v8, 32, v8
	s_delay_alu instid0(VALU_DEP_1) | instskip(NEXT) | instid1(VALU_DEP_1)
	v_subrev_nc_u32_e32 v9, 28, v8
	v_lshlrev_b64_e32 v[10:11], v9, v[48:49]
	s_delay_alu instid0(VALU_DEP_1)
	v_dual_sub_nc_u32 v8, 29, v8 :: v_dual_bitop2_b32 v48, 7, v10 bitop3:0x40
; %bb.1127:                             ;   in Loop: Header=BB214_15 Depth=1
	s_or_b32 exec_lo, exec_lo, s17
	s_delay_alu instid0(VALU_DEP_1) | instskip(NEXT) | instid1(VALU_DEP_2)
	v_dual_lshlrev_b32 v3, 24, v3 :: v_dual_lshlrev_b32 v9, 20, v48
	v_lshl_add_u32 v8, v8, 23, 0x3c000000
	s_delay_alu instid0(VALU_DEP_2) | instskip(NEXT) | instid1(VALU_DEP_1)
	v_and_b32_e32 v3, 0x80000000, v3
	v_or3_b32 v48, v9, v3, v8
	v_mov_b32_e32 v3, v49
	scratch_store_b64 off, v[2:3], s32 offset:192 ; 8-byte Folded Spill
.LBB214_1128:                           ;   in Loop: Header=BB214_15 Depth=1
	s_wait_xcnt 0x0
	s_or_b32 exec_lo, exec_lo, s16
.LBB214_1129:                           ;   in Loop: Header=BB214_15 Depth=1
	s_delay_alu instid0(SALU_CYCLE_1)
	s_or_b32 exec_lo, exec_lo, s15
.LBB214_1130:                           ;   in Loop: Header=BB214_15 Depth=1
	s_delay_alu instid0(SALU_CYCLE_1) | instskip(NEXT) | instid1(SALU_CYCLE_1)
	s_or_b32 exec_lo, exec_lo, s14
	s_mov_b32 s14, exec_lo
	v_cmpx_lt_u32_e32 0xffffff, v2
	s_cbranch_execz .LBB214_1138
; %bb.1131:                             ;   in Loop: Header=BB214_15 Depth=1
	v_mov_b64_e32 v[0:1], 0x8000000000000000
	v_lshrrev_b32_e32 v3, 24, v2
	s_mov_b32 s15, exec_lo
	s_delay_alu instid0(VALU_DEP_1)
	v_cmpx_ne_u32_e32 0x80, v3
	s_cbranch_execz .LBB214_1137
; %bb.1132:                             ;   in Loop: Header=BB214_15 Depth=1
	v_mov_b64_e32 v[0:1], 0x7f80000100000000
	v_bfe_u32 v8, v2, 24, 7
	s_mov_b32 s16, exec_lo
	s_delay_alu instid0(VALU_DEP_1)
	v_cmpx_ne_u32_e32 0x7f, v8
	s_cbranch_execz .LBB214_1136
; %bb.1133:                             ;   in Loop: Header=BB214_15 Depth=1
	scratch_load_b64 v[10:11], off, s32 offset:192 th:TH_LOAD_LU ; 8-byte Folded Reload
	s_wait_loadcnt 0x0
	v_dual_lshrrev_b32 v2, 3, v8 :: v_dual_bitop2_b32 v10, 7, v3 bitop3:0x40
	s_mov_b32 s17, exec_lo
	s_wait_xcnt 0x0
	v_cmpx_gt_u32_e32 8, v8
; %bb.1134:                             ;   in Loop: Header=BB214_15 Depth=1
	s_delay_alu instid0(VALU_DEP_2) | instskip(NEXT) | instid1(VALU_DEP_1)
	v_clz_i32_u32_e32 v2, v10
	v_min_u32_e32 v2, 32, v2
	s_delay_alu instid0(VALU_DEP_1) | instskip(NEXT) | instid1(VALU_DEP_1)
	v_subrev_nc_u32_e32 v8, 28, v2
	v_lshlrev_b64_e32 v[8:9], v8, v[10:11]
	s_delay_alu instid0(VALU_DEP_1)
	v_dual_sub_nc_u32 v2, 29, v2 :: v_dual_bitop2_b32 v10, 7, v8 bitop3:0x40
; %bb.1135:                             ;   in Loop: Header=BB214_15 Depth=1
	s_or_b32 exec_lo, exec_lo, s17
	s_delay_alu instid0(VALU_DEP_1) | instskip(NEXT) | instid1(VALU_DEP_2)
	v_dual_lshlrev_b32 v3, 24, v3 :: v_dual_lshlrev_b32 v8, 20, v10
	v_lshl_add_u32 v2, v2, 23, 0x3c000000
	v_mov_b32_e32 v0, v11
	s_delay_alu instid0(VALU_DEP_3) | instskip(NEXT) | instid1(VALU_DEP_1)
	v_and_b32_e32 v3, 0x80000000, v3
	v_or3_b32 v1, v8, v3, v2
	v_mov_b32_e32 v3, v11
	scratch_store_b64 off, v[2:3], s32 offset:192 ; 8-byte Folded Spill
.LBB214_1136:                           ;   in Loop: Header=BB214_15 Depth=1
	s_wait_xcnt 0x0
	s_or_b32 exec_lo, exec_lo, s16
.LBB214_1137:                           ;   in Loop: Header=BB214_15 Depth=1
	s_delay_alu instid0(SALU_CYCLE_1)
	s_or_b32 exec_lo, exec_lo, s15
.LBB214_1138:                           ;   in Loop: Header=BB214_15 Depth=1
	s_delay_alu instid0(SALU_CYCLE_1)
	s_or_b32 exec_lo, exec_lo, s14
	flat_load_b32 v2, v[120:121] offset:4108
	v_mov_b64_e32 v[18:19], 0
	v_mov_b64_e32 v[52:53], 0
	s_mov_b32 s14, exec_lo
	s_wait_loadcnt_dscnt 0x0
	v_and_b32_e32 v3, 0xff, v2
	s_wait_xcnt 0x0
	s_delay_alu instid0(VALU_DEP_1)
	v_cmpx_ne_u16_e32 0, v3
	s_cbranch_execz .LBB214_1146
; %bb.1139:                             ;   in Loop: Header=BB214_15 Depth=1
	v_mov_b64_e32 v[52:53], 0x80000000
	s_mov_b32 s15, exec_lo
	v_cmpx_ne_u16_e32 0x80, v3
	s_cbranch_execz .LBB214_1145
; %bb.1140:                             ;   in Loop: Header=BB214_15 Depth=1
	v_mov_b64_e32 v[52:53], 0x7f800001
	v_and_b32_e32 v8, 0x7f, v2
	s_mov_b32 s16, exec_lo
	s_delay_alu instid0(VALU_DEP_1)
	v_cmpx_ne_u32_e32 0x7f, v8
	s_cbranch_execz .LBB214_1144
; %bb.1141:                             ;   in Loop: Header=BB214_15 Depth=1
	scratch_load_b64 v[52:53], off, s32 offset:192 th:TH_LOAD_LU ; 8-byte Folded Reload
	s_wait_loadcnt 0x0
	v_dual_lshrrev_b32 v3, 3, v8 :: v_dual_bitop2_b32 v52, 7, v2 bitop3:0x40
	s_mov_b32 s17, exec_lo
	s_wait_xcnt 0x0
	v_cmpx_gt_u32_e32 8, v8
; %bb.1142:                             ;   in Loop: Header=BB214_15 Depth=1
	s_delay_alu instid0(VALU_DEP_2) | instskip(NEXT) | instid1(VALU_DEP_1)
	v_clz_i32_u32_e32 v3, v52
	v_min_u32_e32 v3, 32, v3
	s_delay_alu instid0(VALU_DEP_1) | instskip(NEXT) | instid1(VALU_DEP_1)
	v_subrev_nc_u32_e32 v8, 28, v3
	v_lshlrev_b64_e32 v[8:9], v8, v[52:53]
	s_delay_alu instid0(VALU_DEP_1)
	v_dual_sub_nc_u32 v3, 29, v3 :: v_dual_bitop2_b32 v52, 7, v8 bitop3:0x40
; %bb.1143:                             ;   in Loop: Header=BB214_15 Depth=1
	s_or_b32 exec_lo, exec_lo, s17
	s_delay_alu instid0(VALU_DEP_1) | instskip(NEXT) | instid1(VALU_DEP_2)
	v_dual_lshlrev_b32 v8, 24, v2 :: v_dual_lshlrev_b32 v9, 20, v52
	v_lshl_add_u32 v3, v3, 23, 0x3c000000
	s_delay_alu instid0(VALU_DEP_2) | instskip(NEXT) | instid1(VALU_DEP_1)
	v_and_b32_e32 v8, 0x80000000, v8
	v_or3_b32 v52, v9, v8, v3
	v_mov_b32_e32 v3, v53
	scratch_store_b64 off, v[2:3], s32 offset:192 ; 8-byte Folded Spill
.LBB214_1144:                           ;   in Loop: Header=BB214_15 Depth=1
	s_wait_xcnt 0x0
	s_or_b32 exec_lo, exec_lo, s16
.LBB214_1145:                           ;   in Loop: Header=BB214_15 Depth=1
	s_delay_alu instid0(SALU_CYCLE_1)
	s_or_b32 exec_lo, exec_lo, s15
.LBB214_1146:                           ;   in Loop: Header=BB214_15 Depth=1
	s_delay_alu instid0(SALU_CYCLE_1) | instskip(SKIP_2) | instid1(VALU_DEP_1)
	s_or_b32 exec_lo, exec_lo, s14
	v_lshrrev_b16 v3, 8, v2
	s_mov_b32 s14, exec_lo
	v_cmpx_ne_u16_e32 0, v3
	s_cbranch_execz .LBB214_1154
; %bb.1147:                             ;   in Loop: Header=BB214_15 Depth=1
	v_mov_b64_e32 v[18:19], 0x8000000000000000
	s_mov_b32 s15, exec_lo
	v_cmpx_ne_u16_e32 0x80, v3
	s_cbranch_execz .LBB214_1153
; %bb.1148:                             ;   in Loop: Header=BB214_15 Depth=1
	v_and_b32_e32 v3, 0xffff, v3
	v_mov_b64_e32 v[18:19], 0x7f80000100000000
	s_mov_b32 s16, exec_lo
	s_delay_alu instid0(VALU_DEP_2) | instskip(NEXT) | instid1(VALU_DEP_1)
	v_and_b32_e32 v8, 0x7f, v3
	v_cmpx_ne_u32_e32 0x7f, v8
	s_cbranch_execz .LBB214_1152
; %bb.1149:                             ;   in Loop: Header=BB214_15 Depth=1
	scratch_load_b64 v[10:11], off, s32 offset:192 th:TH_LOAD_LU ; 8-byte Folded Reload
	s_wait_loadcnt 0x0
	v_dual_lshrrev_b32 v3, 3, v8 :: v_dual_bitop2_b32 v10, 7, v3 bitop3:0x40
	s_mov_b32 s17, exec_lo
	s_wait_xcnt 0x0
	v_cmpx_gt_u32_e32 8, v8
; %bb.1150:                             ;   in Loop: Header=BB214_15 Depth=1
	s_delay_alu instid0(VALU_DEP_2) | instskip(NEXT) | instid1(VALU_DEP_1)
	v_clz_i32_u32_e32 v3, v10
	v_min_u32_e32 v3, 32, v3
	s_delay_alu instid0(VALU_DEP_1) | instskip(NEXT) | instid1(VALU_DEP_1)
	v_subrev_nc_u32_e32 v8, 28, v3
	v_lshlrev_b64_e32 v[8:9], v8, v[10:11]
	s_delay_alu instid0(VALU_DEP_1)
	v_dual_sub_nc_u32 v3, 29, v3 :: v_dual_bitop2_b32 v10, 7, v8 bitop3:0x40
; %bb.1151:                             ;   in Loop: Header=BB214_15 Depth=1
	s_or_b32 exec_lo, exec_lo, s17
	v_lshlrev_b32_e32 v8, 16, v2
	s_delay_alu instid0(VALU_DEP_2) | instskip(NEXT) | instid1(VALU_DEP_3)
	v_dual_mov_b32 v18, v11 :: v_dual_lshlrev_b32 v9, 20, v10
	v_lshl_add_u32 v3, v3, 23, 0x3c000000
	s_delay_alu instid0(VALU_DEP_3) | instskip(NEXT) | instid1(VALU_DEP_1)
	v_and_b32_e32 v8, 0x80000000, v8
	v_or3_b32 v19, v9, v8, v3
	v_mov_b32_e32 v3, v11
	scratch_store_b64 off, v[2:3], s32 offset:192 ; 8-byte Folded Spill
.LBB214_1152:                           ;   in Loop: Header=BB214_15 Depth=1
	s_wait_xcnt 0x0
	s_or_b32 exec_lo, exec_lo, s16
.LBB214_1153:                           ;   in Loop: Header=BB214_15 Depth=1
	s_delay_alu instid0(SALU_CYCLE_1)
	s_or_b32 exec_lo, exec_lo, s15
.LBB214_1154:                           ;   in Loop: Header=BB214_15 Depth=1
	s_delay_alu instid0(SALU_CYCLE_1) | instskip(SKIP_4) | instid1(VALU_DEP_3)
	s_or_b32 exec_lo, exec_lo, s14
	v_lshrrev_b32_e32 v3, 16, v2
	v_mov_b64_e32 v[22:23], 0
	v_mov_b64_e32 v[64:65], 0
	s_mov_b32 s14, exec_lo
	v_and_b32_e32 v8, 0xff, v3
	s_delay_alu instid0(VALU_DEP_1)
	v_cmpx_ne_u16_e32 0, v8
	s_cbranch_execz .LBB214_1162
; %bb.1155:                             ;   in Loop: Header=BB214_15 Depth=1
	v_mov_b64_e32 v[64:65], 0x80000000
	s_mov_b32 s15, exec_lo
	v_cmpx_ne_u16_e32 0x80, v8
	s_cbranch_execz .LBB214_1161
; %bb.1156:                             ;   in Loop: Header=BB214_15 Depth=1
	v_mov_b64_e32 v[64:65], 0x7f800001
	v_bfe_u32 v9, v2, 16, 7
	s_mov_b32 s16, exec_lo
	s_delay_alu instid0(VALU_DEP_1)
	v_cmpx_ne_u32_e32 0x7f, v9
	s_cbranch_execz .LBB214_1160
; %bb.1157:                             ;   in Loop: Header=BB214_15 Depth=1
	scratch_load_b64 v[64:65], off, s32 offset:192 th:TH_LOAD_LU ; 8-byte Folded Reload
	s_wait_loadcnt 0x0
	v_dual_lshrrev_b32 v8, 3, v9 :: v_dual_bitop2_b32 v64, 7, v3 bitop3:0x40
	s_mov_b32 s17, exec_lo
	s_wait_xcnt 0x0
	v_cmpx_gt_u32_e32 8, v9
; %bb.1158:                             ;   in Loop: Header=BB214_15 Depth=1
	s_delay_alu instid0(VALU_DEP_2) | instskip(NEXT) | instid1(VALU_DEP_1)
	v_clz_i32_u32_e32 v8, v64
	v_min_u32_e32 v8, 32, v8
	s_delay_alu instid0(VALU_DEP_1) | instskip(NEXT) | instid1(VALU_DEP_1)
	v_subrev_nc_u32_e32 v9, 28, v8
	v_lshlrev_b64_e32 v[10:11], v9, v[64:65]
	s_delay_alu instid0(VALU_DEP_1)
	v_dual_sub_nc_u32 v8, 29, v8 :: v_dual_bitop2_b32 v64, 7, v10 bitop3:0x40
; %bb.1159:                             ;   in Loop: Header=BB214_15 Depth=1
	s_or_b32 exec_lo, exec_lo, s17
	s_delay_alu instid0(VALU_DEP_1) | instskip(NEXT) | instid1(VALU_DEP_2)
	v_dual_lshlrev_b32 v3, 24, v3 :: v_dual_lshlrev_b32 v9, 20, v64
	v_lshl_add_u32 v8, v8, 23, 0x3c000000
	s_delay_alu instid0(VALU_DEP_2) | instskip(NEXT) | instid1(VALU_DEP_1)
	v_and_b32_e32 v3, 0x80000000, v3
	v_or3_b32 v64, v9, v3, v8
	v_mov_b32_e32 v3, v65
	scratch_store_b64 off, v[2:3], s32 offset:192 ; 8-byte Folded Spill
.LBB214_1160:                           ;   in Loop: Header=BB214_15 Depth=1
	s_wait_xcnt 0x0
	s_or_b32 exec_lo, exec_lo, s16
.LBB214_1161:                           ;   in Loop: Header=BB214_15 Depth=1
	s_delay_alu instid0(SALU_CYCLE_1)
	s_or_b32 exec_lo, exec_lo, s15
.LBB214_1162:                           ;   in Loop: Header=BB214_15 Depth=1
	s_delay_alu instid0(SALU_CYCLE_1) | instskip(NEXT) | instid1(SALU_CYCLE_1)
	s_or_b32 exec_lo, exec_lo, s14
	s_mov_b32 s14, exec_lo
	v_cmpx_lt_u32_e32 0xffffff, v2
	s_cbranch_execz .LBB214_1170
; %bb.1163:                             ;   in Loop: Header=BB214_15 Depth=1
	v_mov_b64_e32 v[22:23], 0x8000000000000000
	v_lshrrev_b32_e32 v3, 24, v2
	s_mov_b32 s15, exec_lo
	s_delay_alu instid0(VALU_DEP_1)
	v_cmpx_ne_u32_e32 0x80, v3
	s_cbranch_execz .LBB214_1169
; %bb.1164:                             ;   in Loop: Header=BB214_15 Depth=1
	v_mov_b64_e32 v[22:23], 0x7f80000100000000
	v_bfe_u32 v8, v2, 24, 7
	s_mov_b32 s16, exec_lo
	s_delay_alu instid0(VALU_DEP_1)
	v_cmpx_ne_u32_e32 0x7f, v8
	s_cbranch_execz .LBB214_1168
; %bb.1165:                             ;   in Loop: Header=BB214_15 Depth=1
	scratch_load_b64 v[10:11], off, s32 offset:192 th:TH_LOAD_LU ; 8-byte Folded Reload
	s_wait_loadcnt 0x0
	v_dual_lshrrev_b32 v2, 3, v8 :: v_dual_bitop2_b32 v10, 7, v3 bitop3:0x40
	s_mov_b32 s17, exec_lo
	s_wait_xcnt 0x0
	v_cmpx_gt_u32_e32 8, v8
; %bb.1166:                             ;   in Loop: Header=BB214_15 Depth=1
	s_delay_alu instid0(VALU_DEP_2) | instskip(NEXT) | instid1(VALU_DEP_1)
	v_clz_i32_u32_e32 v2, v10
	v_min_u32_e32 v2, 32, v2
	s_delay_alu instid0(VALU_DEP_1) | instskip(NEXT) | instid1(VALU_DEP_1)
	v_subrev_nc_u32_e32 v8, 28, v2
	v_lshlrev_b64_e32 v[8:9], v8, v[10:11]
	s_delay_alu instid0(VALU_DEP_1)
	v_dual_sub_nc_u32 v2, 29, v2 :: v_dual_bitop2_b32 v10, 7, v8 bitop3:0x40
; %bb.1167:                             ;   in Loop: Header=BB214_15 Depth=1
	s_or_b32 exec_lo, exec_lo, s17
	s_delay_alu instid0(VALU_DEP_1) | instskip(NEXT) | instid1(VALU_DEP_2)
	v_dual_lshlrev_b32 v3, 24, v3 :: v_dual_lshlrev_b32 v8, 20, v10
	v_lshl_add_u32 v2, v2, 23, 0x3c000000
	v_mov_b32_e32 v22, v11
	s_delay_alu instid0(VALU_DEP_3) | instskip(NEXT) | instid1(VALU_DEP_1)
	v_and_b32_e32 v3, 0x80000000, v3
	v_or3_b32 v23, v8, v3, v2
	v_mov_b32_e32 v3, v11
	scratch_store_b64 off, v[2:3], s32 offset:192 ; 8-byte Folded Spill
.LBB214_1168:                           ;   in Loop: Header=BB214_15 Depth=1
	s_wait_xcnt 0x0
	s_or_b32 exec_lo, exec_lo, s16
.LBB214_1169:                           ;   in Loop: Header=BB214_15 Depth=1
	s_delay_alu instid0(SALU_CYCLE_1)
	s_or_b32 exec_lo, exec_lo, s15
.LBB214_1170:                           ;   in Loop: Header=BB214_15 Depth=1
	s_delay_alu instid0(SALU_CYCLE_1)
	s_or_b32 exec_lo, exec_lo, s14
	flat_load_b32 v2, v[120:121] offset:4608
	v_mov_b64_e32 v[30:31], 0
	v_mov_b64_e32 v[104:105], 0
	s_mov_b32 s14, exec_lo
	s_wait_loadcnt_dscnt 0x0
	v_and_b32_e32 v3, 0xff, v2
	s_wait_xcnt 0x0
	s_delay_alu instid0(VALU_DEP_1)
	v_cmpx_ne_u16_e32 0, v3
	s_cbranch_execz .LBB214_1178
; %bb.1171:                             ;   in Loop: Header=BB214_15 Depth=1
	v_mov_b64_e32 v[104:105], 0x80000000
	s_mov_b32 s15, exec_lo
	v_cmpx_ne_u16_e32 0x80, v3
	s_cbranch_execz .LBB214_1177
; %bb.1172:                             ;   in Loop: Header=BB214_15 Depth=1
	v_mov_b64_e32 v[104:105], 0x7f800001
	v_and_b32_e32 v8, 0x7f, v2
	s_mov_b32 s16, exec_lo
	s_delay_alu instid0(VALU_DEP_1)
	v_cmpx_ne_u32_e32 0x7f, v8
	s_cbranch_execz .LBB214_1176
; %bb.1173:                             ;   in Loop: Header=BB214_15 Depth=1
	scratch_load_b64 v[104:105], off, s32 offset:192 th:TH_LOAD_LU ; 8-byte Folded Reload
	s_wait_loadcnt 0x0
	v_dual_lshrrev_b32 v3, 3, v8 :: v_dual_bitop2_b32 v104, 7, v2 bitop3:0x40
	s_mov_b32 s17, exec_lo
	s_wait_xcnt 0x0
	v_cmpx_gt_u32_e32 8, v8
; %bb.1174:                             ;   in Loop: Header=BB214_15 Depth=1
	s_delay_alu instid0(VALU_DEP_2) | instskip(NEXT) | instid1(VALU_DEP_1)
	v_clz_i32_u32_e32 v3, v104
	v_min_u32_e32 v3, 32, v3
	s_delay_alu instid0(VALU_DEP_1) | instskip(NEXT) | instid1(VALU_DEP_1)
	v_subrev_nc_u32_e32 v8, 28, v3
	v_lshlrev_b64_e32 v[8:9], v8, v[104:105]
	s_delay_alu instid0(VALU_DEP_1)
	v_dual_sub_nc_u32 v3, 29, v3 :: v_dual_bitop2_b32 v104, 7, v8 bitop3:0x40
; %bb.1175:                             ;   in Loop: Header=BB214_15 Depth=1
	s_or_b32 exec_lo, exec_lo, s17
	s_delay_alu instid0(VALU_DEP_1) | instskip(NEXT) | instid1(VALU_DEP_2)
	v_dual_lshlrev_b32 v8, 24, v2 :: v_dual_lshlrev_b32 v9, 20, v104
	v_lshl_add_u32 v3, v3, 23, 0x3c000000
	s_delay_alu instid0(VALU_DEP_2) | instskip(NEXT) | instid1(VALU_DEP_1)
	v_and_b32_e32 v8, 0x80000000, v8
	v_or3_b32 v104, v9, v8, v3
	v_mov_b32_e32 v3, v105
	scratch_store_b64 off, v[2:3], s32 offset:192 ; 8-byte Folded Spill
.LBB214_1176:                           ;   in Loop: Header=BB214_15 Depth=1
	s_wait_xcnt 0x0
	s_or_b32 exec_lo, exec_lo, s16
.LBB214_1177:                           ;   in Loop: Header=BB214_15 Depth=1
	s_delay_alu instid0(SALU_CYCLE_1)
	s_or_b32 exec_lo, exec_lo, s15
.LBB214_1178:                           ;   in Loop: Header=BB214_15 Depth=1
	s_delay_alu instid0(SALU_CYCLE_1) | instskip(SKIP_2) | instid1(VALU_DEP_1)
	s_or_b32 exec_lo, exec_lo, s14
	v_lshrrev_b16 v3, 8, v2
	s_mov_b32 s14, exec_lo
	v_cmpx_ne_u16_e32 0, v3
	s_cbranch_execz .LBB214_1186
; %bb.1179:                             ;   in Loop: Header=BB214_15 Depth=1
	v_mov_b64_e32 v[30:31], 0x8000000000000000
	s_mov_b32 s15, exec_lo
	v_cmpx_ne_u16_e32 0x80, v3
	s_cbranch_execz .LBB214_1185
; %bb.1180:                             ;   in Loop: Header=BB214_15 Depth=1
	v_and_b32_e32 v3, 0xffff, v3
	v_mov_b64_e32 v[30:31], 0x7f80000100000000
	s_mov_b32 s16, exec_lo
	s_delay_alu instid0(VALU_DEP_2) | instskip(NEXT) | instid1(VALU_DEP_1)
	v_and_b32_e32 v8, 0x7f, v3
	v_cmpx_ne_u32_e32 0x7f, v8
	s_cbranch_execz .LBB214_1184
; %bb.1181:                             ;   in Loop: Header=BB214_15 Depth=1
	scratch_load_b64 v[10:11], off, s32 offset:192 th:TH_LOAD_LU ; 8-byte Folded Reload
	s_wait_loadcnt 0x0
	v_dual_lshrrev_b32 v3, 3, v8 :: v_dual_bitop2_b32 v10, 7, v3 bitop3:0x40
	s_mov_b32 s17, exec_lo
	s_wait_xcnt 0x0
	v_cmpx_gt_u32_e32 8, v8
; %bb.1182:                             ;   in Loop: Header=BB214_15 Depth=1
	s_delay_alu instid0(VALU_DEP_2) | instskip(NEXT) | instid1(VALU_DEP_1)
	v_clz_i32_u32_e32 v3, v10
	v_min_u32_e32 v3, 32, v3
	s_delay_alu instid0(VALU_DEP_1) | instskip(NEXT) | instid1(VALU_DEP_1)
	v_subrev_nc_u32_e32 v8, 28, v3
	v_lshlrev_b64_e32 v[8:9], v8, v[10:11]
	s_delay_alu instid0(VALU_DEP_1)
	v_dual_sub_nc_u32 v3, 29, v3 :: v_dual_bitop2_b32 v10, 7, v8 bitop3:0x40
; %bb.1183:                             ;   in Loop: Header=BB214_15 Depth=1
	s_or_b32 exec_lo, exec_lo, s17
	v_lshlrev_b32_e32 v8, 16, v2
	s_delay_alu instid0(VALU_DEP_2) | instskip(NEXT) | instid1(VALU_DEP_3)
	v_dual_mov_b32 v30, v11 :: v_dual_lshlrev_b32 v9, 20, v10
	v_lshl_add_u32 v3, v3, 23, 0x3c000000
	s_delay_alu instid0(VALU_DEP_3) | instskip(NEXT) | instid1(VALU_DEP_1)
	v_and_b32_e32 v8, 0x80000000, v8
	v_or3_b32 v31, v9, v8, v3
	v_mov_b32_e32 v3, v11
	scratch_store_b64 off, v[2:3], s32 offset:192 ; 8-byte Folded Spill
.LBB214_1184:                           ;   in Loop: Header=BB214_15 Depth=1
	s_wait_xcnt 0x0
	s_or_b32 exec_lo, exec_lo, s16
.LBB214_1185:                           ;   in Loop: Header=BB214_15 Depth=1
	s_delay_alu instid0(SALU_CYCLE_1)
	s_or_b32 exec_lo, exec_lo, s15
.LBB214_1186:                           ;   in Loop: Header=BB214_15 Depth=1
	s_delay_alu instid0(SALU_CYCLE_1) | instskip(SKIP_4) | instid1(VALU_DEP_3)
	s_or_b32 exec_lo, exec_lo, s14
	v_lshrrev_b32_e32 v3, 16, v2
	v_mov_b64_e32 v[12:13], 0
	v_mov_b64_e32 v[80:81], 0
	s_mov_b32 s14, exec_lo
	v_and_b32_e32 v8, 0xff, v3
	s_delay_alu instid0(VALU_DEP_1)
	v_cmpx_ne_u16_e32 0, v8
	s_cbranch_execz .LBB214_1194
; %bb.1187:                             ;   in Loop: Header=BB214_15 Depth=1
	v_mov_b64_e32 v[80:81], 0x80000000
	s_mov_b32 s15, exec_lo
	v_cmpx_ne_u16_e32 0x80, v8
	s_cbranch_execz .LBB214_1193
; %bb.1188:                             ;   in Loop: Header=BB214_15 Depth=1
	v_mov_b64_e32 v[80:81], 0x7f800001
	v_bfe_u32 v9, v2, 16, 7
	s_mov_b32 s16, exec_lo
	s_delay_alu instid0(VALU_DEP_1)
	v_cmpx_ne_u32_e32 0x7f, v9
	s_cbranch_execz .LBB214_1192
; %bb.1189:                             ;   in Loop: Header=BB214_15 Depth=1
	scratch_load_b64 v[80:81], off, s32 offset:192 th:TH_LOAD_LU ; 8-byte Folded Reload
	s_wait_loadcnt 0x0
	v_dual_lshrrev_b32 v8, 3, v9 :: v_dual_bitop2_b32 v80, 7, v3 bitop3:0x40
	s_mov_b32 s17, exec_lo
	s_wait_xcnt 0x0
	v_cmpx_gt_u32_e32 8, v9
; %bb.1190:                             ;   in Loop: Header=BB214_15 Depth=1
	s_delay_alu instid0(VALU_DEP_2) | instskip(NEXT) | instid1(VALU_DEP_1)
	v_clz_i32_u32_e32 v8, v80
	v_min_u32_e32 v8, 32, v8
	s_delay_alu instid0(VALU_DEP_1) | instskip(NEXT) | instid1(VALU_DEP_1)
	v_subrev_nc_u32_e32 v9, 28, v8
	v_lshlrev_b64_e32 v[10:11], v9, v[80:81]
	s_delay_alu instid0(VALU_DEP_1)
	v_dual_sub_nc_u32 v8, 29, v8 :: v_dual_bitop2_b32 v80, 7, v10 bitop3:0x40
; %bb.1191:                             ;   in Loop: Header=BB214_15 Depth=1
	s_or_b32 exec_lo, exec_lo, s17
	s_delay_alu instid0(VALU_DEP_1) | instskip(NEXT) | instid1(VALU_DEP_2)
	v_dual_lshlrev_b32 v3, 24, v3 :: v_dual_lshlrev_b32 v9, 20, v80
	v_lshl_add_u32 v8, v8, 23, 0x3c000000
	s_delay_alu instid0(VALU_DEP_2) | instskip(NEXT) | instid1(VALU_DEP_1)
	v_and_b32_e32 v3, 0x80000000, v3
	v_or3_b32 v80, v9, v3, v8
	v_mov_b32_e32 v3, v81
	scratch_store_b64 off, v[2:3], s32 offset:192 ; 8-byte Folded Spill
.LBB214_1192:                           ;   in Loop: Header=BB214_15 Depth=1
	s_wait_xcnt 0x0
	s_or_b32 exec_lo, exec_lo, s16
.LBB214_1193:                           ;   in Loop: Header=BB214_15 Depth=1
	s_delay_alu instid0(SALU_CYCLE_1)
	s_or_b32 exec_lo, exec_lo, s15
.LBB214_1194:                           ;   in Loop: Header=BB214_15 Depth=1
	s_delay_alu instid0(SALU_CYCLE_1) | instskip(NEXT) | instid1(SALU_CYCLE_1)
	s_or_b32 exec_lo, exec_lo, s14
	s_mov_b32 s14, exec_lo
	v_cmpx_lt_u32_e32 0xffffff, v2
	s_cbranch_execz .LBB214_1202
; %bb.1195:                             ;   in Loop: Header=BB214_15 Depth=1
	v_mov_b64_e32 v[12:13], 0x8000000000000000
	v_lshrrev_b32_e32 v3, 24, v2
	s_mov_b32 s15, exec_lo
	s_delay_alu instid0(VALU_DEP_1)
	v_cmpx_ne_u32_e32 0x80, v3
	s_cbranch_execz .LBB214_1201
; %bb.1196:                             ;   in Loop: Header=BB214_15 Depth=1
	v_mov_b64_e32 v[12:13], 0x7f80000100000000
	v_bfe_u32 v8, v2, 24, 7
	s_mov_b32 s16, exec_lo
	s_delay_alu instid0(VALU_DEP_1)
	v_cmpx_ne_u32_e32 0x7f, v8
	s_cbranch_execz .LBB214_1200
; %bb.1197:                             ;   in Loop: Header=BB214_15 Depth=1
	scratch_load_b64 v[10:11], off, s32 offset:192 th:TH_LOAD_LU ; 8-byte Folded Reload
	s_wait_loadcnt 0x0
	v_dual_lshrrev_b32 v2, 3, v8 :: v_dual_bitop2_b32 v10, 7, v3 bitop3:0x40
	s_mov_b32 s17, exec_lo
	s_wait_xcnt 0x0
	v_cmpx_gt_u32_e32 8, v8
; %bb.1198:                             ;   in Loop: Header=BB214_15 Depth=1
	s_delay_alu instid0(VALU_DEP_2) | instskip(NEXT) | instid1(VALU_DEP_1)
	v_clz_i32_u32_e32 v2, v10
	v_min_u32_e32 v2, 32, v2
	s_delay_alu instid0(VALU_DEP_1) | instskip(NEXT) | instid1(VALU_DEP_1)
	v_subrev_nc_u32_e32 v8, 28, v2
	v_lshlrev_b64_e32 v[8:9], v8, v[10:11]
	s_delay_alu instid0(VALU_DEP_1)
	v_dual_sub_nc_u32 v2, 29, v2 :: v_dual_bitop2_b32 v10, 7, v8 bitop3:0x40
; %bb.1199:                             ;   in Loop: Header=BB214_15 Depth=1
	s_or_b32 exec_lo, exec_lo, s17
	s_delay_alu instid0(VALU_DEP_1) | instskip(NEXT) | instid1(VALU_DEP_2)
	v_dual_lshlrev_b32 v3, 24, v3 :: v_dual_lshlrev_b32 v8, 20, v10
	v_lshl_add_u32 v2, v2, 23, 0x3c000000
	v_mov_b32_e32 v12, v11
	s_delay_alu instid0(VALU_DEP_3) | instskip(NEXT) | instid1(VALU_DEP_1)
	v_and_b32_e32 v3, 0x80000000, v3
	v_or3_b32 v13, v8, v3, v2
	v_mov_b32_e32 v3, v11
	scratch_store_b64 off, v[2:3], s32 offset:192 ; 8-byte Folded Spill
.LBB214_1200:                           ;   in Loop: Header=BB214_15 Depth=1
	s_wait_xcnt 0x0
	s_or_b32 exec_lo, exec_lo, s16
.LBB214_1201:                           ;   in Loop: Header=BB214_15 Depth=1
	s_delay_alu instid0(SALU_CYCLE_1)
	s_or_b32 exec_lo, exec_lo, s15
.LBB214_1202:                           ;   in Loop: Header=BB214_15 Depth=1
	s_delay_alu instid0(SALU_CYCLE_1)
	s_or_b32 exec_lo, exec_lo, s14
	flat_load_b32 v2, v[120:121] offset:4612
	v_mov_b64_e32 v[42:43], 0
	v_mov_b64_e32 v[84:85], 0
	s_mov_b32 s14, exec_lo
	s_wait_loadcnt_dscnt 0x0
	v_and_b32_e32 v3, 0xff, v2
	s_wait_xcnt 0x0
	s_delay_alu instid0(VALU_DEP_1)
	v_cmpx_ne_u16_e32 0, v3
	s_cbranch_execz .LBB214_1210
; %bb.1203:                             ;   in Loop: Header=BB214_15 Depth=1
	v_mov_b64_e32 v[84:85], 0x80000000
	s_mov_b32 s15, exec_lo
	v_cmpx_ne_u16_e32 0x80, v3
	s_cbranch_execz .LBB214_1209
; %bb.1204:                             ;   in Loop: Header=BB214_15 Depth=1
	v_mov_b64_e32 v[84:85], 0x7f800001
	v_and_b32_e32 v8, 0x7f, v2
	s_mov_b32 s16, exec_lo
	s_delay_alu instid0(VALU_DEP_1)
	v_cmpx_ne_u32_e32 0x7f, v8
	s_cbranch_execz .LBB214_1208
; %bb.1205:                             ;   in Loop: Header=BB214_15 Depth=1
	scratch_load_b64 v[84:85], off, s32 offset:192 th:TH_LOAD_LU ; 8-byte Folded Reload
	s_wait_loadcnt 0x0
	v_dual_lshrrev_b32 v3, 3, v8 :: v_dual_bitop2_b32 v84, 7, v2 bitop3:0x40
	s_mov_b32 s17, exec_lo
	s_wait_xcnt 0x0
	v_cmpx_gt_u32_e32 8, v8
; %bb.1206:                             ;   in Loop: Header=BB214_15 Depth=1
	s_delay_alu instid0(VALU_DEP_2) | instskip(NEXT) | instid1(VALU_DEP_1)
	v_clz_i32_u32_e32 v3, v84
	v_min_u32_e32 v3, 32, v3
	s_delay_alu instid0(VALU_DEP_1) | instskip(NEXT) | instid1(VALU_DEP_1)
	v_subrev_nc_u32_e32 v8, 28, v3
	v_lshlrev_b64_e32 v[8:9], v8, v[84:85]
	s_delay_alu instid0(VALU_DEP_1)
	v_dual_sub_nc_u32 v3, 29, v3 :: v_dual_bitop2_b32 v84, 7, v8 bitop3:0x40
; %bb.1207:                             ;   in Loop: Header=BB214_15 Depth=1
	s_or_b32 exec_lo, exec_lo, s17
	s_delay_alu instid0(VALU_DEP_1) | instskip(NEXT) | instid1(VALU_DEP_2)
	v_dual_lshlrev_b32 v8, 24, v2 :: v_dual_lshlrev_b32 v9, 20, v84
	v_lshl_add_u32 v3, v3, 23, 0x3c000000
	s_delay_alu instid0(VALU_DEP_2) | instskip(NEXT) | instid1(VALU_DEP_1)
	v_and_b32_e32 v8, 0x80000000, v8
	v_or3_b32 v84, v9, v8, v3
	v_mov_b32_e32 v3, v85
	scratch_store_b64 off, v[2:3], s32 offset:192 ; 8-byte Folded Spill
.LBB214_1208:                           ;   in Loop: Header=BB214_15 Depth=1
	s_wait_xcnt 0x0
	s_or_b32 exec_lo, exec_lo, s16
.LBB214_1209:                           ;   in Loop: Header=BB214_15 Depth=1
	s_delay_alu instid0(SALU_CYCLE_1)
	s_or_b32 exec_lo, exec_lo, s15
.LBB214_1210:                           ;   in Loop: Header=BB214_15 Depth=1
	s_delay_alu instid0(SALU_CYCLE_1) | instskip(SKIP_2) | instid1(VALU_DEP_1)
	s_or_b32 exec_lo, exec_lo, s14
	v_lshrrev_b16 v3, 8, v2
	s_mov_b32 s14, exec_lo
	v_cmpx_ne_u16_e32 0, v3
	s_cbranch_execz .LBB214_1218
; %bb.1211:                             ;   in Loop: Header=BB214_15 Depth=1
	v_mov_b64_e32 v[42:43], 0x8000000000000000
	s_mov_b32 s15, exec_lo
	v_cmpx_ne_u16_e32 0x80, v3
	s_cbranch_execz .LBB214_1217
; %bb.1212:                             ;   in Loop: Header=BB214_15 Depth=1
	v_and_b32_e32 v3, 0xffff, v3
	v_mov_b64_e32 v[42:43], 0x7f80000100000000
	s_mov_b32 s16, exec_lo
	s_delay_alu instid0(VALU_DEP_2) | instskip(NEXT) | instid1(VALU_DEP_1)
	v_and_b32_e32 v8, 0x7f, v3
	v_cmpx_ne_u32_e32 0x7f, v8
	s_cbranch_execz .LBB214_1216
; %bb.1213:                             ;   in Loop: Header=BB214_15 Depth=1
	scratch_load_b64 v[10:11], off, s32 offset:192 th:TH_LOAD_LU ; 8-byte Folded Reload
	s_wait_loadcnt 0x0
	v_dual_lshrrev_b32 v3, 3, v8 :: v_dual_bitop2_b32 v10, 7, v3 bitop3:0x40
	s_mov_b32 s17, exec_lo
	s_wait_xcnt 0x0
	v_cmpx_gt_u32_e32 8, v8
; %bb.1214:                             ;   in Loop: Header=BB214_15 Depth=1
	s_delay_alu instid0(VALU_DEP_2) | instskip(NEXT) | instid1(VALU_DEP_1)
	v_clz_i32_u32_e32 v3, v10
	v_min_u32_e32 v3, 32, v3
	s_delay_alu instid0(VALU_DEP_1) | instskip(NEXT) | instid1(VALU_DEP_1)
	v_subrev_nc_u32_e32 v8, 28, v3
	v_lshlrev_b64_e32 v[8:9], v8, v[10:11]
	s_delay_alu instid0(VALU_DEP_1)
	v_dual_sub_nc_u32 v3, 29, v3 :: v_dual_bitop2_b32 v10, 7, v8 bitop3:0x40
; %bb.1215:                             ;   in Loop: Header=BB214_15 Depth=1
	s_or_b32 exec_lo, exec_lo, s17
	v_lshlrev_b32_e32 v8, 16, v2
	s_delay_alu instid0(VALU_DEP_2) | instskip(NEXT) | instid1(VALU_DEP_3)
	v_dual_mov_b32 v42, v11 :: v_dual_lshlrev_b32 v9, 20, v10
	v_lshl_add_u32 v3, v3, 23, 0x3c000000
	s_delay_alu instid0(VALU_DEP_3) | instskip(NEXT) | instid1(VALU_DEP_1)
	v_and_b32_e32 v8, 0x80000000, v8
	v_or3_b32 v43, v9, v8, v3
	v_mov_b32_e32 v3, v11
	scratch_store_b64 off, v[2:3], s32 offset:192 ; 8-byte Folded Spill
.LBB214_1216:                           ;   in Loop: Header=BB214_15 Depth=1
	s_wait_xcnt 0x0
	s_or_b32 exec_lo, exec_lo, s16
.LBB214_1217:                           ;   in Loop: Header=BB214_15 Depth=1
	s_delay_alu instid0(SALU_CYCLE_1)
	s_or_b32 exec_lo, exec_lo, s15
.LBB214_1218:                           ;   in Loop: Header=BB214_15 Depth=1
	s_delay_alu instid0(SALU_CYCLE_1) | instskip(SKIP_4) | instid1(VALU_DEP_3)
	s_or_b32 exec_lo, exec_lo, s14
	v_lshrrev_b32_e32 v3, 16, v2
	v_mov_b64_e32 v[44:45], 0
	v_mov_b64_e32 v[54:55], 0
	s_mov_b32 s14, exec_lo
	v_and_b32_e32 v8, 0xff, v3
	s_delay_alu instid0(VALU_DEP_1)
	v_cmpx_ne_u16_e32 0, v8
	s_cbranch_execz .LBB214_1226
; %bb.1219:                             ;   in Loop: Header=BB214_15 Depth=1
	v_mov_b64_e32 v[54:55], 0x80000000
	s_mov_b32 s15, exec_lo
	v_cmpx_ne_u16_e32 0x80, v8
	s_cbranch_execz .LBB214_1225
; %bb.1220:                             ;   in Loop: Header=BB214_15 Depth=1
	v_mov_b64_e32 v[54:55], 0x7f800001
	v_bfe_u32 v9, v2, 16, 7
	s_mov_b32 s16, exec_lo
	s_delay_alu instid0(VALU_DEP_1)
	v_cmpx_ne_u32_e32 0x7f, v9
	s_cbranch_execz .LBB214_1224
; %bb.1221:                             ;   in Loop: Header=BB214_15 Depth=1
	scratch_load_b64 v[54:55], off, s32 offset:192 th:TH_LOAD_LU ; 8-byte Folded Reload
	s_wait_loadcnt 0x0
	v_dual_lshrrev_b32 v8, 3, v9 :: v_dual_bitop2_b32 v54, 7, v3 bitop3:0x40
	s_mov_b32 s17, exec_lo
	s_wait_xcnt 0x0
	v_cmpx_gt_u32_e32 8, v9
; %bb.1222:                             ;   in Loop: Header=BB214_15 Depth=1
	s_delay_alu instid0(VALU_DEP_2) | instskip(NEXT) | instid1(VALU_DEP_1)
	v_clz_i32_u32_e32 v8, v54
	v_min_u32_e32 v8, 32, v8
	s_delay_alu instid0(VALU_DEP_1) | instskip(NEXT) | instid1(VALU_DEP_1)
	v_subrev_nc_u32_e32 v9, 28, v8
	v_lshlrev_b64_e32 v[10:11], v9, v[54:55]
	s_delay_alu instid0(VALU_DEP_1)
	v_dual_sub_nc_u32 v8, 29, v8 :: v_dual_bitop2_b32 v54, 7, v10 bitop3:0x40
; %bb.1223:                             ;   in Loop: Header=BB214_15 Depth=1
	s_or_b32 exec_lo, exec_lo, s17
	s_delay_alu instid0(VALU_DEP_1) | instskip(NEXT) | instid1(VALU_DEP_2)
	v_dual_lshlrev_b32 v3, 24, v3 :: v_dual_lshlrev_b32 v9, 20, v54
	v_lshl_add_u32 v8, v8, 23, 0x3c000000
	s_delay_alu instid0(VALU_DEP_2) | instskip(NEXT) | instid1(VALU_DEP_1)
	v_and_b32_e32 v3, 0x80000000, v3
	v_or3_b32 v54, v9, v3, v8
	v_mov_b32_e32 v3, v55
	scratch_store_b64 off, v[2:3], s32 offset:192 ; 8-byte Folded Spill
.LBB214_1224:                           ;   in Loop: Header=BB214_15 Depth=1
	s_wait_xcnt 0x0
	s_or_b32 exec_lo, exec_lo, s16
.LBB214_1225:                           ;   in Loop: Header=BB214_15 Depth=1
	s_delay_alu instid0(SALU_CYCLE_1)
	s_or_b32 exec_lo, exec_lo, s15
.LBB214_1226:                           ;   in Loop: Header=BB214_15 Depth=1
	s_delay_alu instid0(SALU_CYCLE_1) | instskip(NEXT) | instid1(SALU_CYCLE_1)
	s_or_b32 exec_lo, exec_lo, s14
	s_mov_b32 s14, exec_lo
	v_cmpx_lt_u32_e32 0xffffff, v2
	s_cbranch_execz .LBB214_1234
; %bb.1227:                             ;   in Loop: Header=BB214_15 Depth=1
	v_mov_b64_e32 v[44:45], 0x8000000000000000
	v_lshrrev_b32_e32 v3, 24, v2
	s_mov_b32 s15, exec_lo
	s_delay_alu instid0(VALU_DEP_1)
	v_cmpx_ne_u32_e32 0x80, v3
	s_cbranch_execz .LBB214_1233
; %bb.1228:                             ;   in Loop: Header=BB214_15 Depth=1
	v_mov_b64_e32 v[44:45], 0x7f80000100000000
	v_bfe_u32 v8, v2, 24, 7
	s_mov_b32 s16, exec_lo
	s_delay_alu instid0(VALU_DEP_1)
	v_cmpx_ne_u32_e32 0x7f, v8
	s_cbranch_execz .LBB214_1232
; %bb.1229:                             ;   in Loop: Header=BB214_15 Depth=1
	scratch_load_b64 v[10:11], off, s32 offset:192 th:TH_LOAD_LU ; 8-byte Folded Reload
	s_wait_loadcnt 0x0
	v_dual_lshrrev_b32 v2, 3, v8 :: v_dual_bitop2_b32 v10, 7, v3 bitop3:0x40
	s_mov_b32 s17, exec_lo
	s_wait_xcnt 0x0
	v_cmpx_gt_u32_e32 8, v8
; %bb.1230:                             ;   in Loop: Header=BB214_15 Depth=1
	s_delay_alu instid0(VALU_DEP_2) | instskip(NEXT) | instid1(VALU_DEP_1)
	v_clz_i32_u32_e32 v2, v10
	v_min_u32_e32 v2, 32, v2
	s_delay_alu instid0(VALU_DEP_1) | instskip(NEXT) | instid1(VALU_DEP_1)
	v_subrev_nc_u32_e32 v8, 28, v2
	v_lshlrev_b64_e32 v[8:9], v8, v[10:11]
	s_delay_alu instid0(VALU_DEP_1)
	v_dual_sub_nc_u32 v2, 29, v2 :: v_dual_bitop2_b32 v10, 7, v8 bitop3:0x40
; %bb.1231:                             ;   in Loop: Header=BB214_15 Depth=1
	s_or_b32 exec_lo, exec_lo, s17
	s_delay_alu instid0(VALU_DEP_1) | instskip(NEXT) | instid1(VALU_DEP_2)
	v_dual_lshlrev_b32 v3, 24, v3 :: v_dual_lshlrev_b32 v8, 20, v10
	v_lshl_add_u32 v2, v2, 23, 0x3c000000
	v_mov_b32_e32 v44, v11
	s_delay_alu instid0(VALU_DEP_3) | instskip(NEXT) | instid1(VALU_DEP_1)
	v_and_b32_e32 v3, 0x80000000, v3
	v_or3_b32 v45, v8, v3, v2
	v_mov_b32_e32 v3, v11
	scratch_store_b64 off, v[2:3], s32 offset:192 ; 8-byte Folded Spill
.LBB214_1232:                           ;   in Loop: Header=BB214_15 Depth=1
	s_wait_xcnt 0x0
	s_or_b32 exec_lo, exec_lo, s16
.LBB214_1233:                           ;   in Loop: Header=BB214_15 Depth=1
	s_delay_alu instid0(SALU_CYCLE_1)
	s_or_b32 exec_lo, exec_lo, s15
.LBB214_1234:                           ;   in Loop: Header=BB214_15 Depth=1
	s_delay_alu instid0(SALU_CYCLE_1)
	s_or_b32 exec_lo, exec_lo, s14
	flat_load_b32 v2, v[120:121] offset:4616
	v_mov_b64_e32 v[50:51], 0
	v_mov_b64_e32 v[66:67], 0
	s_mov_b32 s14, exec_lo
	s_wait_loadcnt_dscnt 0x0
	v_and_b32_e32 v3, 0xff, v2
	s_wait_xcnt 0x0
	s_delay_alu instid0(VALU_DEP_1)
	v_cmpx_ne_u16_e32 0, v3
	s_cbranch_execz .LBB214_1242
; %bb.1235:                             ;   in Loop: Header=BB214_15 Depth=1
	v_mov_b64_e32 v[66:67], 0x80000000
	s_mov_b32 s15, exec_lo
	v_cmpx_ne_u16_e32 0x80, v3
	s_cbranch_execz .LBB214_1241
; %bb.1236:                             ;   in Loop: Header=BB214_15 Depth=1
	v_mov_b64_e32 v[66:67], 0x7f800001
	v_and_b32_e32 v8, 0x7f, v2
	s_mov_b32 s16, exec_lo
	s_delay_alu instid0(VALU_DEP_1)
	v_cmpx_ne_u32_e32 0x7f, v8
	s_cbranch_execz .LBB214_1240
; %bb.1237:                             ;   in Loop: Header=BB214_15 Depth=1
	scratch_load_b64 v[66:67], off, s32 offset:192 th:TH_LOAD_LU ; 8-byte Folded Reload
	s_wait_loadcnt 0x0
	v_dual_lshrrev_b32 v3, 3, v8 :: v_dual_bitop2_b32 v66, 7, v2 bitop3:0x40
	s_mov_b32 s17, exec_lo
	s_wait_xcnt 0x0
	v_cmpx_gt_u32_e32 8, v8
; %bb.1238:                             ;   in Loop: Header=BB214_15 Depth=1
	s_delay_alu instid0(VALU_DEP_2) | instskip(NEXT) | instid1(VALU_DEP_1)
	v_clz_i32_u32_e32 v3, v66
	v_min_u32_e32 v3, 32, v3
	s_delay_alu instid0(VALU_DEP_1) | instskip(NEXT) | instid1(VALU_DEP_1)
	v_subrev_nc_u32_e32 v8, 28, v3
	v_lshlrev_b64_e32 v[8:9], v8, v[66:67]
	s_delay_alu instid0(VALU_DEP_1)
	v_dual_sub_nc_u32 v3, 29, v3 :: v_dual_bitop2_b32 v66, 7, v8 bitop3:0x40
; %bb.1239:                             ;   in Loop: Header=BB214_15 Depth=1
	s_or_b32 exec_lo, exec_lo, s17
	v_lshlrev_b32_e32 v8, 24, v2
	s_delay_alu instid0(VALU_DEP_2) | instskip(NEXT) | instid1(VALU_DEP_3)
	v_lshlrev_b32_e32 v9, 20, v66
	v_lshl_add_u32 v3, v3, 23, 0x3c000000
	s_delay_alu instid0(VALU_DEP_3) | instskip(NEXT) | instid1(VALU_DEP_1)
	v_and_b32_e32 v8, 0x80000000, v8
	v_or3_b32 v66, v9, v8, v3
	v_mov_b32_e32 v3, v67
	scratch_store_b64 off, v[2:3], s32 offset:192 ; 8-byte Folded Spill
.LBB214_1240:                           ;   in Loop: Header=BB214_15 Depth=1
	s_wait_xcnt 0x0
	s_or_b32 exec_lo, exec_lo, s16
.LBB214_1241:                           ;   in Loop: Header=BB214_15 Depth=1
	s_delay_alu instid0(SALU_CYCLE_1)
	s_or_b32 exec_lo, exec_lo, s15
.LBB214_1242:                           ;   in Loop: Header=BB214_15 Depth=1
	s_delay_alu instid0(SALU_CYCLE_1) | instskip(SKIP_2) | instid1(VALU_DEP_1)
	s_or_b32 exec_lo, exec_lo, s14
	v_lshrrev_b16 v3, 8, v2
	s_mov_b32 s14, exec_lo
	v_cmpx_ne_u16_e32 0, v3
	s_cbranch_execz .LBB214_1250
; %bb.1243:                             ;   in Loop: Header=BB214_15 Depth=1
	v_mov_b64_e32 v[50:51], 0x8000000000000000
	s_mov_b32 s15, exec_lo
	v_cmpx_ne_u16_e32 0x80, v3
	s_cbranch_execz .LBB214_1249
; %bb.1244:                             ;   in Loop: Header=BB214_15 Depth=1
	v_and_b32_e32 v3, 0xffff, v3
	v_mov_b64_e32 v[50:51], 0x7f80000100000000
	s_mov_b32 s16, exec_lo
	s_delay_alu instid0(VALU_DEP_2) | instskip(NEXT) | instid1(VALU_DEP_1)
	v_and_b32_e32 v8, 0x7f, v3
	v_cmpx_ne_u32_e32 0x7f, v8
	s_cbranch_execz .LBB214_1248
; %bb.1245:                             ;   in Loop: Header=BB214_15 Depth=1
	scratch_load_b64 v[10:11], off, s32 offset:192 th:TH_LOAD_LU ; 8-byte Folded Reload
	s_wait_loadcnt 0x0
	v_dual_lshrrev_b32 v3, 3, v8 :: v_dual_bitop2_b32 v10, 7, v3 bitop3:0x40
	s_mov_b32 s17, exec_lo
	s_wait_xcnt 0x0
	v_cmpx_gt_u32_e32 8, v8
; %bb.1246:                             ;   in Loop: Header=BB214_15 Depth=1
	s_delay_alu instid0(VALU_DEP_2) | instskip(NEXT) | instid1(VALU_DEP_1)
	v_clz_i32_u32_e32 v3, v10
	v_min_u32_e32 v3, 32, v3
	s_delay_alu instid0(VALU_DEP_1) | instskip(NEXT) | instid1(VALU_DEP_1)
	v_subrev_nc_u32_e32 v8, 28, v3
	v_lshlrev_b64_e32 v[8:9], v8, v[10:11]
	s_delay_alu instid0(VALU_DEP_1)
	v_dual_sub_nc_u32 v3, 29, v3 :: v_dual_bitop2_b32 v10, 7, v8 bitop3:0x40
; %bb.1247:                             ;   in Loop: Header=BB214_15 Depth=1
	s_or_b32 exec_lo, exec_lo, s17
	v_lshlrev_b32_e32 v8, 16, v2
	s_delay_alu instid0(VALU_DEP_2) | instskip(NEXT) | instid1(VALU_DEP_3)
	v_dual_mov_b32 v50, v11 :: v_dual_lshlrev_b32 v9, 20, v10
	v_lshl_add_u32 v3, v3, 23, 0x3c000000
	s_delay_alu instid0(VALU_DEP_3) | instskip(NEXT) | instid1(VALU_DEP_1)
	v_and_b32_e32 v8, 0x80000000, v8
	v_or3_b32 v51, v9, v8, v3
	v_mov_b32_e32 v3, v11
	scratch_store_b64 off, v[2:3], s32 offset:192 ; 8-byte Folded Spill
.LBB214_1248:                           ;   in Loop: Header=BB214_15 Depth=1
	s_wait_xcnt 0x0
	s_or_b32 exec_lo, exec_lo, s16
.LBB214_1249:                           ;   in Loop: Header=BB214_15 Depth=1
	s_delay_alu instid0(SALU_CYCLE_1)
	s_or_b32 exec_lo, exec_lo, s15
.LBB214_1250:                           ;   in Loop: Header=BB214_15 Depth=1
	s_delay_alu instid0(SALU_CYCLE_1) | instskip(SKIP_4) | instid1(VALU_DEP_3)
	s_or_b32 exec_lo, exec_lo, s14
	v_lshrrev_b32_e32 v3, 16, v2
	v_mov_b64_e32 v[96:97], 0
	v_mov_b64_e32 v[70:71], 0
	s_mov_b32 s14, exec_lo
	v_and_b32_e32 v8, 0xff, v3
	s_delay_alu instid0(VALU_DEP_1)
	v_cmpx_ne_u16_e32 0, v8
	s_cbranch_execz .LBB214_1258
; %bb.1251:                             ;   in Loop: Header=BB214_15 Depth=1
	v_mov_b64_e32 v[70:71], 0x80000000
	s_mov_b32 s15, exec_lo
	v_cmpx_ne_u16_e32 0x80, v8
	s_cbranch_execz .LBB214_1257
; %bb.1252:                             ;   in Loop: Header=BB214_15 Depth=1
	v_mov_b64_e32 v[70:71], 0x7f800001
	v_bfe_u32 v9, v2, 16, 7
	s_mov_b32 s16, exec_lo
	s_delay_alu instid0(VALU_DEP_1)
	v_cmpx_ne_u32_e32 0x7f, v9
	s_cbranch_execz .LBB214_1256
; %bb.1253:                             ;   in Loop: Header=BB214_15 Depth=1
	scratch_load_b64 v[70:71], off, s32 offset:192 th:TH_LOAD_LU ; 8-byte Folded Reload
	s_wait_loadcnt 0x0
	v_dual_lshrrev_b32 v8, 3, v9 :: v_dual_bitop2_b32 v70, 7, v3 bitop3:0x40
	s_mov_b32 s17, exec_lo
	s_wait_xcnt 0x0
	v_cmpx_gt_u32_e32 8, v9
; %bb.1254:                             ;   in Loop: Header=BB214_15 Depth=1
	s_delay_alu instid0(VALU_DEP_2) | instskip(NEXT) | instid1(VALU_DEP_1)
	v_clz_i32_u32_e32 v8, v70
	v_min_u32_e32 v8, 32, v8
	s_delay_alu instid0(VALU_DEP_1) | instskip(NEXT) | instid1(VALU_DEP_1)
	v_subrev_nc_u32_e32 v9, 28, v8
	v_lshlrev_b64_e32 v[10:11], v9, v[70:71]
	s_delay_alu instid0(VALU_DEP_1)
	v_dual_sub_nc_u32 v8, 29, v8 :: v_dual_bitop2_b32 v70, 7, v10 bitop3:0x40
; %bb.1255:                             ;   in Loop: Header=BB214_15 Depth=1
	s_or_b32 exec_lo, exec_lo, s17
	s_delay_alu instid0(VALU_DEP_1) | instskip(NEXT) | instid1(VALU_DEP_2)
	v_dual_lshlrev_b32 v3, 24, v3 :: v_dual_lshlrev_b32 v9, 20, v70
	v_lshl_add_u32 v8, v8, 23, 0x3c000000
	s_delay_alu instid0(VALU_DEP_2) | instskip(NEXT) | instid1(VALU_DEP_1)
	v_and_b32_e32 v3, 0x80000000, v3
	v_or3_b32 v70, v9, v3, v8
	v_mov_b32_e32 v3, v71
	scratch_store_b64 off, v[2:3], s32 offset:192 ; 8-byte Folded Spill
.LBB214_1256:                           ;   in Loop: Header=BB214_15 Depth=1
	s_wait_xcnt 0x0
	s_or_b32 exec_lo, exec_lo, s16
.LBB214_1257:                           ;   in Loop: Header=BB214_15 Depth=1
	s_delay_alu instid0(SALU_CYCLE_1)
	s_or_b32 exec_lo, exec_lo, s15
.LBB214_1258:                           ;   in Loop: Header=BB214_15 Depth=1
	s_delay_alu instid0(SALU_CYCLE_1) | instskip(NEXT) | instid1(SALU_CYCLE_1)
	s_or_b32 exec_lo, exec_lo, s14
	s_mov_b32 s14, exec_lo
	v_cmpx_lt_u32_e32 0xffffff, v2
	s_cbranch_execz .LBB214_1266
; %bb.1259:                             ;   in Loop: Header=BB214_15 Depth=1
	v_mov_b64_e32 v[96:97], 0x8000000000000000
	v_lshrrev_b32_e32 v3, 24, v2
	s_mov_b32 s15, exec_lo
	s_delay_alu instid0(VALU_DEP_1)
	v_cmpx_ne_u32_e32 0x80, v3
	s_cbranch_execz .LBB214_1265
; %bb.1260:                             ;   in Loop: Header=BB214_15 Depth=1
	v_mov_b64_e32 v[96:97], 0x7f80000100000000
	v_bfe_u32 v8, v2, 24, 7
	s_mov_b32 s16, exec_lo
	s_delay_alu instid0(VALU_DEP_1)
	v_cmpx_ne_u32_e32 0x7f, v8
	s_cbranch_execz .LBB214_1264
; %bb.1261:                             ;   in Loop: Header=BB214_15 Depth=1
	scratch_load_b64 v[10:11], off, s32 offset:192 th:TH_LOAD_LU ; 8-byte Folded Reload
	s_wait_loadcnt 0x0
	v_dual_lshrrev_b32 v2, 3, v8 :: v_dual_bitop2_b32 v10, 7, v3 bitop3:0x40
	s_mov_b32 s17, exec_lo
	s_wait_xcnt 0x0
	v_cmpx_gt_u32_e32 8, v8
; %bb.1262:                             ;   in Loop: Header=BB214_15 Depth=1
	s_delay_alu instid0(VALU_DEP_2) | instskip(NEXT) | instid1(VALU_DEP_1)
	v_clz_i32_u32_e32 v2, v10
	v_min_u32_e32 v2, 32, v2
	s_delay_alu instid0(VALU_DEP_1) | instskip(NEXT) | instid1(VALU_DEP_1)
	v_subrev_nc_u32_e32 v8, 28, v2
	v_lshlrev_b64_e32 v[8:9], v8, v[10:11]
	s_delay_alu instid0(VALU_DEP_1)
	v_dual_sub_nc_u32 v2, 29, v2 :: v_dual_bitop2_b32 v10, 7, v8 bitop3:0x40
; %bb.1263:                             ;   in Loop: Header=BB214_15 Depth=1
	s_or_b32 exec_lo, exec_lo, s17
	s_delay_alu instid0(VALU_DEP_1) | instskip(NEXT) | instid1(VALU_DEP_2)
	v_dual_lshlrev_b32 v3, 24, v3 :: v_dual_lshlrev_b32 v8, 20, v10
	v_lshl_add_u32 v2, v2, 23, 0x3c000000
	v_mov_b32_e32 v96, v11
	s_delay_alu instid0(VALU_DEP_3) | instskip(NEXT) | instid1(VALU_DEP_1)
	v_and_b32_e32 v3, 0x80000000, v3
	v_or3_b32 v97, v8, v3, v2
	v_mov_b32_e32 v3, v11
	scratch_store_b64 off, v[2:3], s32 offset:192 ; 8-byte Folded Spill
.LBB214_1264:                           ;   in Loop: Header=BB214_15 Depth=1
	s_wait_xcnt 0x0
	s_or_b32 exec_lo, exec_lo, s16
.LBB214_1265:                           ;   in Loop: Header=BB214_15 Depth=1
	s_delay_alu instid0(SALU_CYCLE_1)
	s_or_b32 exec_lo, exec_lo, s15
.LBB214_1266:                           ;   in Loop: Header=BB214_15 Depth=1
	s_delay_alu instid0(SALU_CYCLE_1)
	s_or_b32 exec_lo, exec_lo, s14
	flat_load_b32 v2, v[120:121] offset:4620
	v_mov_b64_e32 v[118:119], 0
	v_mov_b64_e32 v[82:83], 0
	s_mov_b32 s14, exec_lo
	s_wait_loadcnt_dscnt 0x0
	v_and_b32_e32 v3, 0xff, v2
	s_wait_xcnt 0x0
	s_delay_alu instid0(VALU_DEP_1)
	v_cmpx_ne_u16_e32 0, v3
	s_cbranch_execz .LBB214_1274
; %bb.1267:                             ;   in Loop: Header=BB214_15 Depth=1
	v_mov_b64_e32 v[82:83], 0x80000000
	s_mov_b32 s15, exec_lo
	v_cmpx_ne_u16_e32 0x80, v3
	s_cbranch_execz .LBB214_1273
; %bb.1268:                             ;   in Loop: Header=BB214_15 Depth=1
	v_mov_b64_e32 v[82:83], 0x7f800001
	v_and_b32_e32 v8, 0x7f, v2
	s_mov_b32 s16, exec_lo
	s_delay_alu instid0(VALU_DEP_1)
	v_cmpx_ne_u32_e32 0x7f, v8
	s_cbranch_execz .LBB214_1272
; %bb.1269:                             ;   in Loop: Header=BB214_15 Depth=1
	scratch_load_b64 v[82:83], off, s32 offset:192 th:TH_LOAD_LU ; 8-byte Folded Reload
	s_wait_loadcnt 0x0
	v_dual_lshrrev_b32 v3, 3, v8 :: v_dual_bitop2_b32 v82, 7, v2 bitop3:0x40
	s_mov_b32 s17, exec_lo
	s_wait_xcnt 0x0
	v_cmpx_gt_u32_e32 8, v8
; %bb.1270:                             ;   in Loop: Header=BB214_15 Depth=1
	s_delay_alu instid0(VALU_DEP_2) | instskip(NEXT) | instid1(VALU_DEP_1)
	v_clz_i32_u32_e32 v3, v82
	v_min_u32_e32 v3, 32, v3
	s_delay_alu instid0(VALU_DEP_1) | instskip(NEXT) | instid1(VALU_DEP_1)
	v_subrev_nc_u32_e32 v8, 28, v3
	v_lshlrev_b64_e32 v[8:9], v8, v[82:83]
	s_delay_alu instid0(VALU_DEP_1)
	v_dual_sub_nc_u32 v3, 29, v3 :: v_dual_bitop2_b32 v82, 7, v8 bitop3:0x40
; %bb.1271:                             ;   in Loop: Header=BB214_15 Depth=1
	s_or_b32 exec_lo, exec_lo, s17
	v_lshlrev_b32_e32 v8, 24, v2
	s_delay_alu instid0(VALU_DEP_2) | instskip(NEXT) | instid1(VALU_DEP_3)
	v_lshlrev_b32_e32 v9, 20, v82
	v_lshl_add_u32 v3, v3, 23, 0x3c000000
	s_delay_alu instid0(VALU_DEP_3) | instskip(NEXT) | instid1(VALU_DEP_1)
	v_and_b32_e32 v8, 0x80000000, v8
	v_or3_b32 v82, v9, v8, v3
	v_mov_b32_e32 v3, v83
	scratch_store_b64 off, v[2:3], s32 offset:192 ; 8-byte Folded Spill
.LBB214_1272:                           ;   in Loop: Header=BB214_15 Depth=1
	s_wait_xcnt 0x0
	s_or_b32 exec_lo, exec_lo, s16
.LBB214_1273:                           ;   in Loop: Header=BB214_15 Depth=1
	s_delay_alu instid0(SALU_CYCLE_1)
	s_or_b32 exec_lo, exec_lo, s15
.LBB214_1274:                           ;   in Loop: Header=BB214_15 Depth=1
	s_delay_alu instid0(SALU_CYCLE_1) | instskip(SKIP_2) | instid1(VALU_DEP_1)
	s_or_b32 exec_lo, exec_lo, s14
	v_lshrrev_b16 v3, 8, v2
	s_mov_b32 s14, exec_lo
	v_cmpx_ne_u16_e32 0, v3
	s_cbranch_execz .LBB214_1282
; %bb.1275:                             ;   in Loop: Header=BB214_15 Depth=1
	v_mov_b64_e32 v[118:119], 0x8000000000000000
	s_mov_b32 s15, exec_lo
	v_cmpx_ne_u16_e32 0x80, v3
	s_cbranch_execz .LBB214_1281
; %bb.1276:                             ;   in Loop: Header=BB214_15 Depth=1
	v_and_b32_e32 v3, 0xffff, v3
	v_mov_b64_e32 v[118:119], 0x7f80000100000000
	s_mov_b32 s16, exec_lo
	s_delay_alu instid0(VALU_DEP_2) | instskip(NEXT) | instid1(VALU_DEP_1)
	v_and_b32_e32 v8, 0x7f, v3
	v_cmpx_ne_u32_e32 0x7f, v8
	s_cbranch_execz .LBB214_1280
; %bb.1277:                             ;   in Loop: Header=BB214_15 Depth=1
	scratch_load_b64 v[10:11], off, s32 offset:192 th:TH_LOAD_LU ; 8-byte Folded Reload
	s_wait_loadcnt 0x0
	v_dual_lshrrev_b32 v3, 3, v8 :: v_dual_bitop2_b32 v10, 7, v3 bitop3:0x40
	s_mov_b32 s17, exec_lo
	s_wait_xcnt 0x0
	v_cmpx_gt_u32_e32 8, v8
; %bb.1278:                             ;   in Loop: Header=BB214_15 Depth=1
	s_delay_alu instid0(VALU_DEP_2) | instskip(NEXT) | instid1(VALU_DEP_1)
	v_clz_i32_u32_e32 v3, v10
	v_min_u32_e32 v3, 32, v3
	s_delay_alu instid0(VALU_DEP_1) | instskip(NEXT) | instid1(VALU_DEP_1)
	v_subrev_nc_u32_e32 v8, 28, v3
	v_lshlrev_b64_e32 v[8:9], v8, v[10:11]
	s_delay_alu instid0(VALU_DEP_1)
	v_dual_sub_nc_u32 v3, 29, v3 :: v_dual_bitop2_b32 v10, 7, v8 bitop3:0x40
; %bb.1279:                             ;   in Loop: Header=BB214_15 Depth=1
	s_or_b32 exec_lo, exec_lo, s17
	v_lshlrev_b32_e32 v8, 16, v2
	s_delay_alu instid0(VALU_DEP_2) | instskip(NEXT) | instid1(VALU_DEP_3)
	v_dual_mov_b32 v118, v11 :: v_dual_lshlrev_b32 v9, 20, v10
	v_lshl_add_u32 v3, v3, 23, 0x3c000000
	s_delay_alu instid0(VALU_DEP_3) | instskip(NEXT) | instid1(VALU_DEP_1)
	v_and_b32_e32 v8, 0x80000000, v8
	v_or3_b32 v119, v9, v8, v3
	v_mov_b32_e32 v3, v11
	scratch_store_b64 off, v[2:3], s32 offset:192 ; 8-byte Folded Spill
.LBB214_1280:                           ;   in Loop: Header=BB214_15 Depth=1
	s_wait_xcnt 0x0
	s_or_b32 exec_lo, exec_lo, s16
.LBB214_1281:                           ;   in Loop: Header=BB214_15 Depth=1
	s_delay_alu instid0(SALU_CYCLE_1)
	s_or_b32 exec_lo, exec_lo, s15
.LBB214_1282:                           ;   in Loop: Header=BB214_15 Depth=1
	s_delay_alu instid0(SALU_CYCLE_1) | instskip(SKIP_4) | instid1(VALU_DEP_3)
	s_or_b32 exec_lo, exec_lo, s14
	v_lshrrev_b32_e32 v3, 16, v2
	v_mov_b64_e32 v[108:109], 0
	v_mov_b64_e32 v[32:33], 0
	s_mov_b32 s14, exec_lo
	v_and_b32_e32 v8, 0xff, v3
	s_delay_alu instid0(VALU_DEP_1)
	v_cmpx_ne_u16_e32 0, v8
	s_cbranch_execz .LBB214_1290
; %bb.1283:                             ;   in Loop: Header=BB214_15 Depth=1
	v_mov_b64_e32 v[32:33], 0x80000000
	s_mov_b32 s15, exec_lo
	v_cmpx_ne_u16_e32 0x80, v8
	s_cbranch_execz .LBB214_1289
; %bb.1284:                             ;   in Loop: Header=BB214_15 Depth=1
	v_mov_b64_e32 v[32:33], 0x7f800001
	v_bfe_u32 v9, v2, 16, 7
	s_mov_b32 s16, exec_lo
	s_delay_alu instid0(VALU_DEP_1)
	v_cmpx_ne_u32_e32 0x7f, v9
	s_cbranch_execz .LBB214_1288
; %bb.1285:                             ;   in Loop: Header=BB214_15 Depth=1
	scratch_load_b64 v[32:33], off, s32 offset:192 th:TH_LOAD_LU ; 8-byte Folded Reload
	s_wait_loadcnt 0x0
	v_dual_lshrrev_b32 v8, 3, v9 :: v_dual_bitop2_b32 v32, 7, v3 bitop3:0x40
	s_mov_b32 s17, exec_lo
	s_wait_xcnt 0x0
	v_cmpx_gt_u32_e32 8, v9
; %bb.1286:                             ;   in Loop: Header=BB214_15 Depth=1
	s_delay_alu instid0(VALU_DEP_2) | instskip(NEXT) | instid1(VALU_DEP_1)
	v_clz_i32_u32_e32 v8, v32
	v_min_u32_e32 v8, 32, v8
	s_delay_alu instid0(VALU_DEP_1) | instskip(NEXT) | instid1(VALU_DEP_1)
	v_subrev_nc_u32_e32 v9, 28, v8
	v_lshlrev_b64_e32 v[10:11], v9, v[32:33]
	s_delay_alu instid0(VALU_DEP_1)
	v_dual_sub_nc_u32 v8, 29, v8 :: v_dual_bitop2_b32 v32, 7, v10 bitop3:0x40
; %bb.1287:                             ;   in Loop: Header=BB214_15 Depth=1
	s_or_b32 exec_lo, exec_lo, s17
	s_delay_alu instid0(VALU_DEP_1) | instskip(NEXT) | instid1(VALU_DEP_2)
	v_dual_lshlrev_b32 v3, 24, v3 :: v_dual_lshlrev_b32 v9, 20, v32
	v_lshl_add_u32 v8, v8, 23, 0x3c000000
	s_delay_alu instid0(VALU_DEP_2) | instskip(NEXT) | instid1(VALU_DEP_1)
	v_and_b32_e32 v3, 0x80000000, v3
	v_or3_b32 v32, v9, v3, v8
	v_mov_b32_e32 v3, v33
	scratch_store_b64 off, v[2:3], s32 offset:192 ; 8-byte Folded Spill
.LBB214_1288:                           ;   in Loop: Header=BB214_15 Depth=1
	s_wait_xcnt 0x0
	s_or_b32 exec_lo, exec_lo, s16
.LBB214_1289:                           ;   in Loop: Header=BB214_15 Depth=1
	s_delay_alu instid0(SALU_CYCLE_1)
	s_or_b32 exec_lo, exec_lo, s15
.LBB214_1290:                           ;   in Loop: Header=BB214_15 Depth=1
	s_delay_alu instid0(SALU_CYCLE_1) | instskip(NEXT) | instid1(SALU_CYCLE_1)
	s_or_b32 exec_lo, exec_lo, s14
	s_mov_b32 s14, exec_lo
	v_cmpx_lt_u32_e32 0xffffff, v2
	s_cbranch_execz .LBB214_1298
; %bb.1291:                             ;   in Loop: Header=BB214_15 Depth=1
	v_mov_b64_e32 v[108:109], 0x8000000000000000
	v_lshrrev_b32_e32 v3, 24, v2
	s_mov_b32 s15, exec_lo
	s_delay_alu instid0(VALU_DEP_1)
	v_cmpx_ne_u32_e32 0x80, v3
	s_cbranch_execz .LBB214_1297
; %bb.1292:                             ;   in Loop: Header=BB214_15 Depth=1
	v_mov_b64_e32 v[108:109], 0x7f80000100000000
	v_bfe_u32 v8, v2, 24, 7
	s_mov_b32 s16, exec_lo
	s_delay_alu instid0(VALU_DEP_1)
	v_cmpx_ne_u32_e32 0x7f, v8
	s_cbranch_execz .LBB214_1296
; %bb.1293:                             ;   in Loop: Header=BB214_15 Depth=1
	scratch_load_b64 v[10:11], off, s32 offset:192 th:TH_LOAD_LU ; 8-byte Folded Reload
	s_wait_loadcnt 0x0
	v_dual_lshrrev_b32 v2, 3, v8 :: v_dual_bitop2_b32 v10, 7, v3 bitop3:0x40
	s_mov_b32 s17, exec_lo
	s_wait_xcnt 0x0
	v_cmpx_gt_u32_e32 8, v8
; %bb.1294:                             ;   in Loop: Header=BB214_15 Depth=1
	s_delay_alu instid0(VALU_DEP_2) | instskip(NEXT) | instid1(VALU_DEP_1)
	v_clz_i32_u32_e32 v2, v10
	v_min_u32_e32 v2, 32, v2
	s_delay_alu instid0(VALU_DEP_1) | instskip(NEXT) | instid1(VALU_DEP_1)
	v_subrev_nc_u32_e32 v8, 28, v2
	v_lshlrev_b64_e32 v[8:9], v8, v[10:11]
	s_delay_alu instid0(VALU_DEP_1)
	v_dual_sub_nc_u32 v2, 29, v2 :: v_dual_bitop2_b32 v10, 7, v8 bitop3:0x40
; %bb.1295:                             ;   in Loop: Header=BB214_15 Depth=1
	s_or_b32 exec_lo, exec_lo, s17
	s_delay_alu instid0(VALU_DEP_1) | instskip(NEXT) | instid1(VALU_DEP_2)
	v_dual_lshlrev_b32 v3, 24, v3 :: v_dual_lshlrev_b32 v8, 20, v10
	v_lshl_add_u32 v2, v2, 23, 0x3c000000
	v_mov_b32_e32 v108, v11
	s_delay_alu instid0(VALU_DEP_3) | instskip(NEXT) | instid1(VALU_DEP_1)
	v_and_b32_e32 v3, 0x80000000, v3
	v_or3_b32 v109, v8, v3, v2
	v_mov_b32_e32 v3, v11
	scratch_store_b64 off, v[2:3], s32 offset:192 ; 8-byte Folded Spill
.LBB214_1296:                           ;   in Loop: Header=BB214_15 Depth=1
	s_wait_xcnt 0x0
	s_or_b32 exec_lo, exec_lo, s16
.LBB214_1297:                           ;   in Loop: Header=BB214_15 Depth=1
	s_delay_alu instid0(SALU_CYCLE_1)
	s_or_b32 exec_lo, exec_lo, s15
.LBB214_1298:                           ;   in Loop: Header=BB214_15 Depth=1
	s_delay_alu instid0(SALU_CYCLE_1)
	s_or_b32 exec_lo, exec_lo, s14
	flat_load_b32 v2, v[120:121] offset:5120
	v_mov_b64_e32 v[58:59], 0
	v_mov_b64_e32 v[46:47], 0
	s_mov_b32 s14, exec_lo
	s_wait_loadcnt_dscnt 0x0
	v_and_b32_e32 v3, 0xff, v2
	s_wait_xcnt 0x0
	s_delay_alu instid0(VALU_DEP_1)
	v_cmpx_ne_u16_e32 0, v3
	s_cbranch_execz .LBB214_1306
; %bb.1299:                             ;   in Loop: Header=BB214_15 Depth=1
	v_mov_b64_e32 v[46:47], 0x80000000
	s_mov_b32 s15, exec_lo
	v_cmpx_ne_u16_e32 0x80, v3
	s_cbranch_execz .LBB214_1305
; %bb.1300:                             ;   in Loop: Header=BB214_15 Depth=1
	v_mov_b64_e32 v[46:47], 0x7f800001
	v_and_b32_e32 v8, 0x7f, v2
	s_mov_b32 s16, exec_lo
	s_delay_alu instid0(VALU_DEP_1)
	v_cmpx_ne_u32_e32 0x7f, v8
	s_cbranch_execz .LBB214_1304
; %bb.1301:                             ;   in Loop: Header=BB214_15 Depth=1
	scratch_load_b64 v[46:47], off, s32 offset:192 th:TH_LOAD_LU ; 8-byte Folded Reload
	s_wait_loadcnt 0x0
	v_dual_lshrrev_b32 v3, 3, v8 :: v_dual_bitop2_b32 v46, 7, v2 bitop3:0x40
	s_mov_b32 s17, exec_lo
	s_wait_xcnt 0x0
	v_cmpx_gt_u32_e32 8, v8
; %bb.1302:                             ;   in Loop: Header=BB214_15 Depth=1
	s_delay_alu instid0(VALU_DEP_2) | instskip(NEXT) | instid1(VALU_DEP_1)
	v_clz_i32_u32_e32 v3, v46
	v_min_u32_e32 v3, 32, v3
	s_delay_alu instid0(VALU_DEP_1) | instskip(NEXT) | instid1(VALU_DEP_1)
	v_subrev_nc_u32_e32 v8, 28, v3
	v_lshlrev_b64_e32 v[8:9], v8, v[46:47]
	s_delay_alu instid0(VALU_DEP_1)
	v_dual_sub_nc_u32 v3, 29, v3 :: v_dual_bitop2_b32 v46, 7, v8 bitop3:0x40
; %bb.1303:                             ;   in Loop: Header=BB214_15 Depth=1
	s_or_b32 exec_lo, exec_lo, s17
	v_lshlrev_b32_e32 v8, 24, v2
	s_delay_alu instid0(VALU_DEP_2) | instskip(NEXT) | instid1(VALU_DEP_3)
	v_lshlrev_b32_e32 v9, 20, v46
	v_lshl_add_u32 v3, v3, 23, 0x3c000000
	s_delay_alu instid0(VALU_DEP_3) | instskip(NEXT) | instid1(VALU_DEP_1)
	v_and_b32_e32 v8, 0x80000000, v8
	v_or3_b32 v46, v9, v8, v3
	v_mov_b32_e32 v3, v47
	scratch_store_b64 off, v[2:3], s32 offset:192 ; 8-byte Folded Spill
.LBB214_1304:                           ;   in Loop: Header=BB214_15 Depth=1
	s_wait_xcnt 0x0
	s_or_b32 exec_lo, exec_lo, s16
.LBB214_1305:                           ;   in Loop: Header=BB214_15 Depth=1
	s_delay_alu instid0(SALU_CYCLE_1)
	s_or_b32 exec_lo, exec_lo, s15
.LBB214_1306:                           ;   in Loop: Header=BB214_15 Depth=1
	s_delay_alu instid0(SALU_CYCLE_1) | instskip(SKIP_2) | instid1(VALU_DEP_1)
	s_or_b32 exec_lo, exec_lo, s14
	v_lshrrev_b16 v3, 8, v2
	s_mov_b32 s14, exec_lo
	v_cmpx_ne_u16_e32 0, v3
	s_cbranch_execz .LBB214_1314
; %bb.1307:                             ;   in Loop: Header=BB214_15 Depth=1
	v_mov_b64_e32 v[58:59], 0x8000000000000000
	s_mov_b32 s15, exec_lo
	v_cmpx_ne_u16_e32 0x80, v3
	s_cbranch_execz .LBB214_1313
; %bb.1308:                             ;   in Loop: Header=BB214_15 Depth=1
	v_and_b32_e32 v3, 0xffff, v3
	v_mov_b64_e32 v[58:59], 0x7f80000100000000
	s_mov_b32 s16, exec_lo
	s_delay_alu instid0(VALU_DEP_2) | instskip(NEXT) | instid1(VALU_DEP_1)
	v_and_b32_e32 v8, 0x7f, v3
	v_cmpx_ne_u32_e32 0x7f, v8
	s_cbranch_execz .LBB214_1312
; %bb.1309:                             ;   in Loop: Header=BB214_15 Depth=1
	scratch_load_b64 v[10:11], off, s32 offset:192 th:TH_LOAD_LU ; 8-byte Folded Reload
	s_wait_loadcnt 0x0
	v_dual_lshrrev_b32 v3, 3, v8 :: v_dual_bitop2_b32 v10, 7, v3 bitop3:0x40
	s_mov_b32 s17, exec_lo
	s_wait_xcnt 0x0
	v_cmpx_gt_u32_e32 8, v8
; %bb.1310:                             ;   in Loop: Header=BB214_15 Depth=1
	s_delay_alu instid0(VALU_DEP_2) | instskip(NEXT) | instid1(VALU_DEP_1)
	v_clz_i32_u32_e32 v3, v10
	v_min_u32_e32 v3, 32, v3
	s_delay_alu instid0(VALU_DEP_1) | instskip(NEXT) | instid1(VALU_DEP_1)
	v_subrev_nc_u32_e32 v8, 28, v3
	v_lshlrev_b64_e32 v[8:9], v8, v[10:11]
	s_delay_alu instid0(VALU_DEP_1)
	v_dual_sub_nc_u32 v3, 29, v3 :: v_dual_bitop2_b32 v10, 7, v8 bitop3:0x40
; %bb.1311:                             ;   in Loop: Header=BB214_15 Depth=1
	s_or_b32 exec_lo, exec_lo, s17
	v_lshlrev_b32_e32 v8, 16, v2
	s_delay_alu instid0(VALU_DEP_2) | instskip(NEXT) | instid1(VALU_DEP_3)
	v_dual_mov_b32 v58, v11 :: v_dual_lshlrev_b32 v9, 20, v10
	v_lshl_add_u32 v3, v3, 23, 0x3c000000
	s_delay_alu instid0(VALU_DEP_3) | instskip(NEXT) | instid1(VALU_DEP_1)
	v_and_b32_e32 v8, 0x80000000, v8
	v_or3_b32 v59, v9, v8, v3
	v_mov_b32_e32 v3, v11
	scratch_store_b64 off, v[2:3], s32 offset:192 ; 8-byte Folded Spill
.LBB214_1312:                           ;   in Loop: Header=BB214_15 Depth=1
	s_wait_xcnt 0x0
	s_or_b32 exec_lo, exec_lo, s16
.LBB214_1313:                           ;   in Loop: Header=BB214_15 Depth=1
	s_delay_alu instid0(SALU_CYCLE_1)
	s_or_b32 exec_lo, exec_lo, s15
.LBB214_1314:                           ;   in Loop: Header=BB214_15 Depth=1
	s_delay_alu instid0(SALU_CYCLE_1) | instskip(SKIP_4) | instid1(VALU_DEP_3)
	s_or_b32 exec_lo, exec_lo, s14
	v_lshrrev_b32_e32 v3, 16, v2
	v_mov_b64_e32 v[100:101], 0
	v_mov_b64_e32 v[86:87], 0
	s_mov_b32 s14, exec_lo
	v_and_b32_e32 v8, 0xff, v3
	s_delay_alu instid0(VALU_DEP_1)
	v_cmpx_ne_u16_e32 0, v8
	s_cbranch_execz .LBB214_1322
; %bb.1315:                             ;   in Loop: Header=BB214_15 Depth=1
	v_mov_b64_e32 v[86:87], 0x80000000
	s_mov_b32 s15, exec_lo
	v_cmpx_ne_u16_e32 0x80, v8
	s_cbranch_execz .LBB214_1321
; %bb.1316:                             ;   in Loop: Header=BB214_15 Depth=1
	v_mov_b64_e32 v[86:87], 0x7f800001
	v_bfe_u32 v9, v2, 16, 7
	s_mov_b32 s16, exec_lo
	s_delay_alu instid0(VALU_DEP_1)
	v_cmpx_ne_u32_e32 0x7f, v9
	s_cbranch_execz .LBB214_1320
; %bb.1317:                             ;   in Loop: Header=BB214_15 Depth=1
	scratch_load_b64 v[86:87], off, s32 offset:192 th:TH_LOAD_LU ; 8-byte Folded Reload
	s_wait_loadcnt 0x0
	v_dual_lshrrev_b32 v8, 3, v9 :: v_dual_bitop2_b32 v86, 7, v3 bitop3:0x40
	s_mov_b32 s17, exec_lo
	s_wait_xcnt 0x0
	v_cmpx_gt_u32_e32 8, v9
; %bb.1318:                             ;   in Loop: Header=BB214_15 Depth=1
	s_delay_alu instid0(VALU_DEP_2) | instskip(NEXT) | instid1(VALU_DEP_1)
	v_clz_i32_u32_e32 v8, v86
	v_min_u32_e32 v8, 32, v8
	s_delay_alu instid0(VALU_DEP_1) | instskip(NEXT) | instid1(VALU_DEP_1)
	v_subrev_nc_u32_e32 v9, 28, v8
	v_lshlrev_b64_e32 v[10:11], v9, v[86:87]
	s_delay_alu instid0(VALU_DEP_1)
	v_dual_sub_nc_u32 v8, 29, v8 :: v_dual_bitop2_b32 v86, 7, v10 bitop3:0x40
; %bb.1319:                             ;   in Loop: Header=BB214_15 Depth=1
	s_or_b32 exec_lo, exec_lo, s17
	s_delay_alu instid0(VALU_DEP_1) | instskip(NEXT) | instid1(VALU_DEP_2)
	v_dual_lshlrev_b32 v3, 24, v3 :: v_dual_lshlrev_b32 v9, 20, v86
	v_lshl_add_u32 v8, v8, 23, 0x3c000000
	s_delay_alu instid0(VALU_DEP_2) | instskip(NEXT) | instid1(VALU_DEP_1)
	v_and_b32_e32 v3, 0x80000000, v3
	v_or3_b32 v86, v9, v3, v8
	v_mov_b32_e32 v3, v87
	scratch_store_b64 off, v[2:3], s32 offset:192 ; 8-byte Folded Spill
.LBB214_1320:                           ;   in Loop: Header=BB214_15 Depth=1
	s_wait_xcnt 0x0
	s_or_b32 exec_lo, exec_lo, s16
.LBB214_1321:                           ;   in Loop: Header=BB214_15 Depth=1
	s_delay_alu instid0(SALU_CYCLE_1)
	s_or_b32 exec_lo, exec_lo, s15
.LBB214_1322:                           ;   in Loop: Header=BB214_15 Depth=1
	s_delay_alu instid0(SALU_CYCLE_1) | instskip(NEXT) | instid1(SALU_CYCLE_1)
	s_or_b32 exec_lo, exec_lo, s14
	s_mov_b32 s14, exec_lo
	v_cmpx_lt_u32_e32 0xffffff, v2
	s_cbranch_execz .LBB214_1330
; %bb.1323:                             ;   in Loop: Header=BB214_15 Depth=1
	v_mov_b64_e32 v[100:101], 0x8000000000000000
	v_lshrrev_b32_e32 v3, 24, v2
	s_mov_b32 s15, exec_lo
	s_delay_alu instid0(VALU_DEP_1)
	v_cmpx_ne_u32_e32 0x80, v3
	s_cbranch_execz .LBB214_1329
; %bb.1324:                             ;   in Loop: Header=BB214_15 Depth=1
	v_mov_b64_e32 v[100:101], 0x7f80000100000000
	v_bfe_u32 v8, v2, 24, 7
	s_mov_b32 s16, exec_lo
	s_delay_alu instid0(VALU_DEP_1)
	v_cmpx_ne_u32_e32 0x7f, v8
	s_cbranch_execz .LBB214_1328
; %bb.1325:                             ;   in Loop: Header=BB214_15 Depth=1
	scratch_load_b64 v[10:11], off, s32 offset:192 th:TH_LOAD_LU ; 8-byte Folded Reload
	s_wait_loadcnt 0x0
	v_dual_lshrrev_b32 v2, 3, v8 :: v_dual_bitop2_b32 v10, 7, v3 bitop3:0x40
	s_mov_b32 s17, exec_lo
	s_wait_xcnt 0x0
	v_cmpx_gt_u32_e32 8, v8
; %bb.1326:                             ;   in Loop: Header=BB214_15 Depth=1
	s_delay_alu instid0(VALU_DEP_2) | instskip(NEXT) | instid1(VALU_DEP_1)
	v_clz_i32_u32_e32 v2, v10
	v_min_u32_e32 v2, 32, v2
	s_delay_alu instid0(VALU_DEP_1) | instskip(NEXT) | instid1(VALU_DEP_1)
	v_subrev_nc_u32_e32 v8, 28, v2
	v_lshlrev_b64_e32 v[8:9], v8, v[10:11]
	s_delay_alu instid0(VALU_DEP_1)
	v_dual_sub_nc_u32 v2, 29, v2 :: v_dual_bitop2_b32 v10, 7, v8 bitop3:0x40
; %bb.1327:                             ;   in Loop: Header=BB214_15 Depth=1
	s_or_b32 exec_lo, exec_lo, s17
	s_delay_alu instid0(VALU_DEP_1) | instskip(NEXT) | instid1(VALU_DEP_2)
	v_dual_lshlrev_b32 v3, 24, v3 :: v_dual_lshlrev_b32 v8, 20, v10
	v_lshl_add_u32 v2, v2, 23, 0x3c000000
	v_mov_b32_e32 v100, v11
	s_delay_alu instid0(VALU_DEP_3) | instskip(NEXT) | instid1(VALU_DEP_1)
	v_and_b32_e32 v3, 0x80000000, v3
	v_or3_b32 v101, v8, v3, v2
	v_mov_b32_e32 v3, v11
	scratch_store_b64 off, v[2:3], s32 offset:192 ; 8-byte Folded Spill
.LBB214_1328:                           ;   in Loop: Header=BB214_15 Depth=1
	s_wait_xcnt 0x0
	s_or_b32 exec_lo, exec_lo, s16
.LBB214_1329:                           ;   in Loop: Header=BB214_15 Depth=1
	s_delay_alu instid0(SALU_CYCLE_1)
	s_or_b32 exec_lo, exec_lo, s15
.LBB214_1330:                           ;   in Loop: Header=BB214_15 Depth=1
	s_delay_alu instid0(SALU_CYCLE_1)
	s_or_b32 exec_lo, exec_lo, s14
	flat_load_b32 v2, v[120:121] offset:5124
	v_mov_b64_e32 v[112:113], 0
	v_mov_b64_e32 v[102:103], 0
	s_mov_b32 s14, exec_lo
	s_wait_loadcnt_dscnt 0x0
	v_and_b32_e32 v3, 0xff, v2
	s_wait_xcnt 0x0
	s_delay_alu instid0(VALU_DEP_1)
	v_cmpx_ne_u16_e32 0, v3
	s_cbranch_execz .LBB214_1338
; %bb.1331:                             ;   in Loop: Header=BB214_15 Depth=1
	v_mov_b64_e32 v[102:103], 0x80000000
	s_mov_b32 s15, exec_lo
	v_cmpx_ne_u16_e32 0x80, v3
	s_cbranch_execz .LBB214_1337
; %bb.1332:                             ;   in Loop: Header=BB214_15 Depth=1
	v_mov_b64_e32 v[102:103], 0x7f800001
	v_and_b32_e32 v8, 0x7f, v2
	s_mov_b32 s16, exec_lo
	s_delay_alu instid0(VALU_DEP_1)
	v_cmpx_ne_u32_e32 0x7f, v8
	s_cbranch_execz .LBB214_1336
; %bb.1333:                             ;   in Loop: Header=BB214_15 Depth=1
	scratch_load_b64 v[102:103], off, s32 offset:192 th:TH_LOAD_LU ; 8-byte Folded Reload
	s_wait_loadcnt 0x0
	v_dual_lshrrev_b32 v3, 3, v8 :: v_dual_bitop2_b32 v102, 7, v2 bitop3:0x40
	s_mov_b32 s17, exec_lo
	s_wait_xcnt 0x0
	v_cmpx_gt_u32_e32 8, v8
; %bb.1334:                             ;   in Loop: Header=BB214_15 Depth=1
	s_delay_alu instid0(VALU_DEP_2) | instskip(NEXT) | instid1(VALU_DEP_1)
	v_clz_i32_u32_e32 v3, v102
	v_min_u32_e32 v3, 32, v3
	s_delay_alu instid0(VALU_DEP_1) | instskip(NEXT) | instid1(VALU_DEP_1)
	v_subrev_nc_u32_e32 v8, 28, v3
	v_lshlrev_b64_e32 v[8:9], v8, v[102:103]
	s_delay_alu instid0(VALU_DEP_1)
	v_dual_sub_nc_u32 v3, 29, v3 :: v_dual_bitop2_b32 v102, 7, v8 bitop3:0x40
; %bb.1335:                             ;   in Loop: Header=BB214_15 Depth=1
	s_or_b32 exec_lo, exec_lo, s17
	v_lshlrev_b32_e32 v8, 24, v2
	s_delay_alu instid0(VALU_DEP_2) | instskip(NEXT) | instid1(VALU_DEP_3)
	v_lshlrev_b32_e32 v9, 20, v102
	v_lshl_add_u32 v3, v3, 23, 0x3c000000
	s_delay_alu instid0(VALU_DEP_3) | instskip(NEXT) | instid1(VALU_DEP_1)
	v_and_b32_e32 v8, 0x80000000, v8
	v_or3_b32 v102, v9, v8, v3
	v_mov_b32_e32 v3, v103
	scratch_store_b64 off, v[2:3], s32 offset:192 ; 8-byte Folded Spill
.LBB214_1336:                           ;   in Loop: Header=BB214_15 Depth=1
	s_wait_xcnt 0x0
	s_or_b32 exec_lo, exec_lo, s16
.LBB214_1337:                           ;   in Loop: Header=BB214_15 Depth=1
	s_delay_alu instid0(SALU_CYCLE_1)
	s_or_b32 exec_lo, exec_lo, s15
.LBB214_1338:                           ;   in Loop: Header=BB214_15 Depth=1
	s_delay_alu instid0(SALU_CYCLE_1) | instskip(SKIP_2) | instid1(VALU_DEP_1)
	s_or_b32 exec_lo, exec_lo, s14
	v_lshrrev_b16 v3, 8, v2
	s_mov_b32 s14, exec_lo
	v_cmpx_ne_u16_e32 0, v3
	s_cbranch_execz .LBB214_1346
; %bb.1339:                             ;   in Loop: Header=BB214_15 Depth=1
	v_mov_b64_e32 v[112:113], 0x8000000000000000
	s_mov_b32 s15, exec_lo
	v_cmpx_ne_u16_e32 0x80, v3
	s_cbranch_execz .LBB214_1345
; %bb.1340:                             ;   in Loop: Header=BB214_15 Depth=1
	v_and_b32_e32 v3, 0xffff, v3
	v_mov_b64_e32 v[112:113], 0x7f80000100000000
	s_mov_b32 s16, exec_lo
	s_delay_alu instid0(VALU_DEP_2) | instskip(NEXT) | instid1(VALU_DEP_1)
	v_and_b32_e32 v8, 0x7f, v3
	v_cmpx_ne_u32_e32 0x7f, v8
	s_cbranch_execz .LBB214_1344
; %bb.1341:                             ;   in Loop: Header=BB214_15 Depth=1
	scratch_load_b64 v[10:11], off, s32 offset:192 th:TH_LOAD_LU ; 8-byte Folded Reload
	s_wait_loadcnt 0x0
	v_dual_lshrrev_b32 v3, 3, v8 :: v_dual_bitop2_b32 v10, 7, v3 bitop3:0x40
	s_mov_b32 s17, exec_lo
	s_wait_xcnt 0x0
	v_cmpx_gt_u32_e32 8, v8
; %bb.1342:                             ;   in Loop: Header=BB214_15 Depth=1
	s_delay_alu instid0(VALU_DEP_2) | instskip(NEXT) | instid1(VALU_DEP_1)
	v_clz_i32_u32_e32 v3, v10
	v_min_u32_e32 v3, 32, v3
	s_delay_alu instid0(VALU_DEP_1) | instskip(NEXT) | instid1(VALU_DEP_1)
	v_subrev_nc_u32_e32 v8, 28, v3
	v_lshlrev_b64_e32 v[8:9], v8, v[10:11]
	s_delay_alu instid0(VALU_DEP_1)
	v_dual_sub_nc_u32 v3, 29, v3 :: v_dual_bitop2_b32 v10, 7, v8 bitop3:0x40
; %bb.1343:                             ;   in Loop: Header=BB214_15 Depth=1
	s_or_b32 exec_lo, exec_lo, s17
	v_lshlrev_b32_e32 v8, 16, v2
	s_delay_alu instid0(VALU_DEP_2) | instskip(NEXT) | instid1(VALU_DEP_3)
	v_dual_mov_b32 v112, v11 :: v_dual_lshlrev_b32 v9, 20, v10
	v_lshl_add_u32 v3, v3, 23, 0x3c000000
	s_delay_alu instid0(VALU_DEP_3) | instskip(NEXT) | instid1(VALU_DEP_1)
	v_and_b32_e32 v8, 0x80000000, v8
	v_or3_b32 v113, v9, v8, v3
	v_mov_b32_e32 v3, v11
	scratch_store_b64 off, v[2:3], s32 offset:192 ; 8-byte Folded Spill
.LBB214_1344:                           ;   in Loop: Header=BB214_15 Depth=1
	s_wait_xcnt 0x0
	s_or_b32 exec_lo, exec_lo, s16
.LBB214_1345:                           ;   in Loop: Header=BB214_15 Depth=1
	s_delay_alu instid0(SALU_CYCLE_1)
	s_or_b32 exec_lo, exec_lo, s15
.LBB214_1346:                           ;   in Loop: Header=BB214_15 Depth=1
	s_delay_alu instid0(SALU_CYCLE_1) | instskip(SKIP_4) | instid1(VALU_DEP_3)
	s_or_b32 exec_lo, exec_lo, s14
	v_lshrrev_b32_e32 v3, 16, v2
	v_mov_b64_e32 v[114:115], 0
	v_mov_b64_e32 v[98:99], 0
	s_mov_b32 s14, exec_lo
	v_and_b32_e32 v8, 0xff, v3
	s_delay_alu instid0(VALU_DEP_1)
	v_cmpx_ne_u16_e32 0, v8
	s_cbranch_execz .LBB214_1354
; %bb.1347:                             ;   in Loop: Header=BB214_15 Depth=1
	v_mov_b64_e32 v[98:99], 0x80000000
	s_mov_b32 s15, exec_lo
	v_cmpx_ne_u16_e32 0x80, v8
	s_cbranch_execz .LBB214_1353
; %bb.1348:                             ;   in Loop: Header=BB214_15 Depth=1
	v_mov_b64_e32 v[98:99], 0x7f800001
	v_bfe_u32 v9, v2, 16, 7
	s_mov_b32 s16, exec_lo
	s_delay_alu instid0(VALU_DEP_1)
	v_cmpx_ne_u32_e32 0x7f, v9
	s_cbranch_execz .LBB214_1352
; %bb.1349:                             ;   in Loop: Header=BB214_15 Depth=1
	scratch_load_b64 v[98:99], off, s32 offset:192 th:TH_LOAD_LU ; 8-byte Folded Reload
	s_wait_loadcnt 0x0
	v_dual_lshrrev_b32 v8, 3, v9 :: v_dual_bitop2_b32 v98, 7, v3 bitop3:0x40
	s_mov_b32 s17, exec_lo
	s_wait_xcnt 0x0
	v_cmpx_gt_u32_e32 8, v9
; %bb.1350:                             ;   in Loop: Header=BB214_15 Depth=1
	s_delay_alu instid0(VALU_DEP_2) | instskip(NEXT) | instid1(VALU_DEP_1)
	v_clz_i32_u32_e32 v8, v98
	v_min_u32_e32 v8, 32, v8
	s_delay_alu instid0(VALU_DEP_1) | instskip(NEXT) | instid1(VALU_DEP_1)
	v_subrev_nc_u32_e32 v9, 28, v8
	v_lshlrev_b64_e32 v[10:11], v9, v[98:99]
	s_delay_alu instid0(VALU_DEP_1)
	v_dual_sub_nc_u32 v8, 29, v8 :: v_dual_bitop2_b32 v98, 7, v10 bitop3:0x40
; %bb.1351:                             ;   in Loop: Header=BB214_15 Depth=1
	s_or_b32 exec_lo, exec_lo, s17
	s_delay_alu instid0(VALU_DEP_1) | instskip(NEXT) | instid1(VALU_DEP_2)
	v_dual_lshlrev_b32 v3, 24, v3 :: v_dual_lshlrev_b32 v9, 20, v98
	v_lshl_add_u32 v8, v8, 23, 0x3c000000
	s_delay_alu instid0(VALU_DEP_2) | instskip(NEXT) | instid1(VALU_DEP_1)
	v_and_b32_e32 v3, 0x80000000, v3
	v_or3_b32 v98, v9, v3, v8
	v_mov_b32_e32 v3, v99
	scratch_store_b64 off, v[2:3], s32 offset:192 ; 8-byte Folded Spill
.LBB214_1352:                           ;   in Loop: Header=BB214_15 Depth=1
	s_wait_xcnt 0x0
	s_or_b32 exec_lo, exec_lo, s16
.LBB214_1353:                           ;   in Loop: Header=BB214_15 Depth=1
	s_delay_alu instid0(SALU_CYCLE_1)
	s_or_b32 exec_lo, exec_lo, s15
.LBB214_1354:                           ;   in Loop: Header=BB214_15 Depth=1
	s_delay_alu instid0(SALU_CYCLE_1) | instskip(NEXT) | instid1(SALU_CYCLE_1)
	s_or_b32 exec_lo, exec_lo, s14
	s_mov_b32 s14, exec_lo
	v_cmpx_lt_u32_e32 0xffffff, v2
	s_cbranch_execz .LBB214_1362
; %bb.1355:                             ;   in Loop: Header=BB214_15 Depth=1
	v_mov_b64_e32 v[114:115], 0x8000000000000000
	v_lshrrev_b32_e32 v3, 24, v2
	s_mov_b32 s15, exec_lo
	s_delay_alu instid0(VALU_DEP_1)
	v_cmpx_ne_u32_e32 0x80, v3
	s_cbranch_execz .LBB214_1361
; %bb.1356:                             ;   in Loop: Header=BB214_15 Depth=1
	v_mov_b64_e32 v[114:115], 0x7f80000100000000
	v_bfe_u32 v8, v2, 24, 7
	s_mov_b32 s16, exec_lo
	s_delay_alu instid0(VALU_DEP_1)
	v_cmpx_ne_u32_e32 0x7f, v8
	s_cbranch_execz .LBB214_1360
; %bb.1357:                             ;   in Loop: Header=BB214_15 Depth=1
	scratch_load_b64 v[10:11], off, s32 offset:192 th:TH_LOAD_LU ; 8-byte Folded Reload
	s_wait_loadcnt 0x0
	v_dual_lshrrev_b32 v2, 3, v8 :: v_dual_bitop2_b32 v10, 7, v3 bitop3:0x40
	s_mov_b32 s17, exec_lo
	s_wait_xcnt 0x0
	v_cmpx_gt_u32_e32 8, v8
; %bb.1358:                             ;   in Loop: Header=BB214_15 Depth=1
	s_delay_alu instid0(VALU_DEP_2) | instskip(NEXT) | instid1(VALU_DEP_1)
	v_clz_i32_u32_e32 v2, v10
	v_min_u32_e32 v2, 32, v2
	s_delay_alu instid0(VALU_DEP_1) | instskip(NEXT) | instid1(VALU_DEP_1)
	v_subrev_nc_u32_e32 v8, 28, v2
	v_lshlrev_b64_e32 v[8:9], v8, v[10:11]
	s_delay_alu instid0(VALU_DEP_1)
	v_dual_sub_nc_u32 v2, 29, v2 :: v_dual_bitop2_b32 v10, 7, v8 bitop3:0x40
; %bb.1359:                             ;   in Loop: Header=BB214_15 Depth=1
	s_or_b32 exec_lo, exec_lo, s17
	s_delay_alu instid0(VALU_DEP_1) | instskip(NEXT) | instid1(VALU_DEP_2)
	v_dual_lshlrev_b32 v3, 24, v3 :: v_dual_lshlrev_b32 v8, 20, v10
	v_lshl_add_u32 v2, v2, 23, 0x3c000000
	v_mov_b32_e32 v114, v11
	s_delay_alu instid0(VALU_DEP_3) | instskip(NEXT) | instid1(VALU_DEP_1)
	v_and_b32_e32 v3, 0x80000000, v3
	v_or3_b32 v115, v8, v3, v2
	v_mov_b32_e32 v3, v11
	scratch_store_b64 off, v[2:3], s32 offset:192 ; 8-byte Folded Spill
.LBB214_1360:                           ;   in Loop: Header=BB214_15 Depth=1
	s_wait_xcnt 0x0
	s_or_b32 exec_lo, exec_lo, s16
.LBB214_1361:                           ;   in Loop: Header=BB214_15 Depth=1
	s_delay_alu instid0(SALU_CYCLE_1)
	s_or_b32 exec_lo, exec_lo, s15
.LBB214_1362:                           ;   in Loop: Header=BB214_15 Depth=1
	s_delay_alu instid0(SALU_CYCLE_1)
	s_or_b32 exec_lo, exec_lo, s14
	flat_load_b32 v8, v[120:121] offset:5128
	v_mov_b64_e32 v[14:15], 0
	v_mov_b64_e32 v[62:63], 0
	s_mov_b32 s14, exec_lo
	s_wait_loadcnt_dscnt 0x0
	v_and_b32_e32 v2, 0xff, v8
	s_wait_xcnt 0x0
	s_delay_alu instid0(VALU_DEP_1)
	v_cmpx_ne_u16_e32 0, v2
	s_cbranch_execz .LBB214_1370
; %bb.1363:                             ;   in Loop: Header=BB214_15 Depth=1
	v_mov_b64_e32 v[62:63], 0x80000000
	s_mov_b32 s15, exec_lo
	v_cmpx_ne_u16_e32 0x80, v2
	s_cbranch_execz .LBB214_1369
; %bb.1364:                             ;   in Loop: Header=BB214_15 Depth=1
	v_mov_b64_e32 v[62:63], 0x7f800001
	v_and_b32_e32 v3, 0x7f, v8
	s_mov_b32 s16, exec_lo
	s_delay_alu instid0(VALU_DEP_1)
	v_cmpx_ne_u32_e32 0x7f, v3
	s_cbranch_execz .LBB214_1368
; %bb.1365:                             ;   in Loop: Header=BB214_15 Depth=1
	scratch_load_b64 v[62:63], off, s32 offset:192 th:TH_LOAD_LU ; 8-byte Folded Reload
	s_wait_loadcnt 0x0
	v_dual_lshrrev_b32 v2, 3, v3 :: v_dual_bitop2_b32 v62, 7, v8 bitop3:0x40
	s_mov_b32 s17, exec_lo
	s_wait_xcnt 0x0
	v_cmpx_gt_u32_e32 8, v3
; %bb.1366:                             ;   in Loop: Header=BB214_15 Depth=1
	s_delay_alu instid0(VALU_DEP_2) | instskip(NEXT) | instid1(VALU_DEP_1)
	v_clz_i32_u32_e32 v2, v62
	v_min_u32_e32 v2, 32, v2
	s_delay_alu instid0(VALU_DEP_1) | instskip(SKIP_1) | instid1(VALU_DEP_2)
	v_subrev_nc_u32_e32 v3, 28, v2
	v_sub_nc_u32_e32 v2, 29, v2
	v_lshlrev_b64_e32 v[10:11], v3, v[62:63]
	s_delay_alu instid0(VALU_DEP_1)
	v_and_b32_e32 v62, 7, v10
; %bb.1367:                             ;   in Loop: Header=BB214_15 Depth=1
	s_or_b32 exec_lo, exec_lo, s17
	s_delay_alu instid0(VALU_DEP_1) | instskip(SKIP_1) | instid1(VALU_DEP_2)
	v_dual_lshlrev_b32 v3, 24, v8 :: v_dual_lshlrev_b32 v9, 20, v62
	v_lshl_add_u32 v2, v2, 23, 0x3c000000
	v_and_b32_e32 v3, 0x80000000, v3
	s_delay_alu instid0(VALU_DEP_1)
	v_or3_b32 v62, v9, v3, v2
	v_mov_b32_e32 v3, v63
	scratch_store_b64 off, v[2:3], s32 offset:192 ; 8-byte Folded Spill
.LBB214_1368:                           ;   in Loop: Header=BB214_15 Depth=1
	s_wait_xcnt 0x0
	s_or_b32 exec_lo, exec_lo, s16
.LBB214_1369:                           ;   in Loop: Header=BB214_15 Depth=1
	s_delay_alu instid0(SALU_CYCLE_1)
	s_or_b32 exec_lo, exec_lo, s15
.LBB214_1370:                           ;   in Loop: Header=BB214_15 Depth=1
	s_delay_alu instid0(SALU_CYCLE_1) | instskip(SKIP_2) | instid1(VALU_DEP_1)
	s_or_b32 exec_lo, exec_lo, s14
	v_lshrrev_b16 v2, 8, v8
	s_mov_b32 s14, exec_lo
	v_cmpx_ne_u16_e32 0, v2
	s_cbranch_execz .LBB214_1378
; %bb.1371:                             ;   in Loop: Header=BB214_15 Depth=1
	v_mov_b64_e32 v[14:15], 0x8000000000000000
	s_mov_b32 s15, exec_lo
	v_cmpx_ne_u16_e32 0x80, v2
	s_cbranch_execz .LBB214_1377
; %bb.1372:                             ;   in Loop: Header=BB214_15 Depth=1
	v_and_b32_e32 v2, 0xffff, v2
	v_mov_b64_e32 v[14:15], 0x7f80000100000000
	s_mov_b32 s16, exec_lo
	s_delay_alu instid0(VALU_DEP_2) | instskip(NEXT) | instid1(VALU_DEP_1)
	v_and_b32_e32 v3, 0x7f, v2
	v_cmpx_ne_u32_e32 0x7f, v3
	s_cbranch_execz .LBB214_1376
; %bb.1373:                             ;   in Loop: Header=BB214_15 Depth=1
	scratch_load_b64 v[16:17], off, s32 offset:192 th:TH_LOAD_LU ; 8-byte Folded Reload
	s_wait_loadcnt 0x0
	v_dual_lshrrev_b32 v2, 3, v3 :: v_dual_bitop2_b32 v16, 7, v2 bitop3:0x40
	s_mov_b32 s17, exec_lo
	s_wait_xcnt 0x0
	v_cmpx_gt_u32_e32 8, v3
; %bb.1374:                             ;   in Loop: Header=BB214_15 Depth=1
	s_delay_alu instid0(VALU_DEP_2) | instskip(NEXT) | instid1(VALU_DEP_1)
	v_clz_i32_u32_e32 v2, v16
	v_min_u32_e32 v2, 32, v2
	s_delay_alu instid0(VALU_DEP_1) | instskip(SKIP_1) | instid1(VALU_DEP_2)
	v_subrev_nc_u32_e32 v3, 28, v2
	v_sub_nc_u32_e32 v2, 29, v2
	v_lshlrev_b64_e32 v[10:11], v3, v[16:17]
	s_delay_alu instid0(VALU_DEP_1)
	v_and_b32_e32 v16, 7, v10
; %bb.1375:                             ;   in Loop: Header=BB214_15 Depth=1
	s_or_b32 exec_lo, exec_lo, s17
	v_dual_mov_b32 v14, v17 :: v_dual_lshlrev_b32 v3, 16, v8
	s_delay_alu instid0(VALU_DEP_2) | instskip(SKIP_1) | instid1(VALU_DEP_3)
	v_lshlrev_b32_e32 v9, 20, v16
	v_lshl_add_u32 v2, v2, 23, 0x3c000000
	v_and_b32_e32 v3, 0x80000000, v3
	s_delay_alu instid0(VALU_DEP_1)
	v_or3_b32 v15, v9, v3, v2
	v_mov_b32_e32 v3, v17
	scratch_store_b64 off, v[2:3], s32 offset:192 ; 8-byte Folded Spill
.LBB214_1376:                           ;   in Loop: Header=BB214_15 Depth=1
	s_wait_xcnt 0x0
	s_or_b32 exec_lo, exec_lo, s16
.LBB214_1377:                           ;   in Loop: Header=BB214_15 Depth=1
	s_delay_alu instid0(SALU_CYCLE_1)
	s_or_b32 exec_lo, exec_lo, s15
.LBB214_1378:                           ;   in Loop: Header=BB214_15 Depth=1
	s_delay_alu instid0(SALU_CYCLE_1) | instskip(SKIP_4) | instid1(VALU_DEP_3)
	s_or_b32 exec_lo, exec_lo, s14
	v_lshrrev_b32_e32 v9, 16, v8
	v_mov_b64_e32 v[78:79], 0
	v_mov_b64_e32 v[56:57], 0
	s_mov_b32 s14, exec_lo
	v_and_b32_e32 v2, 0xff, v9
	s_delay_alu instid0(VALU_DEP_1)
	v_cmpx_ne_u16_e32 0, v2
	s_cbranch_execz .LBB214_1386
; %bb.1379:                             ;   in Loop: Header=BB214_15 Depth=1
	v_mov_b64_e32 v[56:57], 0x80000000
	s_mov_b32 s15, exec_lo
	v_cmpx_ne_u16_e32 0x80, v2
	s_cbranch_execz .LBB214_1385
; %bb.1380:                             ;   in Loop: Header=BB214_15 Depth=1
	v_mov_b64_e32 v[56:57], 0x7f800001
	v_bfe_u32 v2, v8, 16, 7
	s_mov_b32 s16, exec_lo
	s_delay_alu instid0(VALU_DEP_1)
	v_cmpx_ne_u32_e32 0x7f, v2
	s_cbranch_execz .LBB214_1384
; %bb.1381:                             ;   in Loop: Header=BB214_15 Depth=1
	scratch_load_b64 v[56:57], off, s32 offset:192 th:TH_LOAD_LU ; 8-byte Folded Reload
	s_wait_loadcnt 0x0
	v_dual_lshrrev_b32 v10, 3, v2 :: v_dual_bitop2_b32 v56, 7, v9 bitop3:0x40
	v_cmp_gt_u32_e64 s1, 8, v2
	s_delay_alu instid0(VALU_DEP_2)
	v_mov_b64_e32 v[2:3], v[56:57]
	s_wait_xcnt 0x0
	s_and_saveexec_b32 s17, s1
; %bb.1382:                             ;   in Loop: Header=BB214_15 Depth=1
	v_clz_i32_u32_e32 v2, v56
	s_delay_alu instid0(VALU_DEP_1) | instskip(NEXT) | instid1(VALU_DEP_1)
	v_min_u32_e32 v10, 32, v2
	v_subrev_nc_u32_e32 v2, 28, v10
	v_sub_nc_u32_e32 v10, 29, v10
	s_delay_alu instid0(VALU_DEP_2) | instskip(NEXT) | instid1(VALU_DEP_1)
	v_lshlrev_b64_e32 v[2:3], v2, v[56:57]
	v_and_b32_e32 v2, 7, v2
; %bb.1383:                             ;   in Loop: Header=BB214_15 Depth=1
	s_or_b32 exec_lo, exec_lo, s17
	s_delay_alu instid0(VALU_DEP_1) | instskip(SKIP_1) | instid1(VALU_DEP_2)
	v_dual_lshlrev_b32 v3, 24, v9 :: v_dual_lshlrev_b32 v2, 20, v2
	v_lshl_add_u32 v9, v10, 23, 0x3c000000
	v_and_b32_e32 v3, 0x80000000, v3
	s_delay_alu instid0(VALU_DEP_1)
	v_or3_b32 v56, v2, v3, v9
	v_mov_b32_e32 v3, v57
	scratch_store_b64 off, v[2:3], s32 offset:192 ; 8-byte Folded Spill
.LBB214_1384:                           ;   in Loop: Header=BB214_15 Depth=1
	s_wait_xcnt 0x0
	s_or_b32 exec_lo, exec_lo, s16
.LBB214_1385:                           ;   in Loop: Header=BB214_15 Depth=1
	s_delay_alu instid0(SALU_CYCLE_1)
	s_or_b32 exec_lo, exec_lo, s15
.LBB214_1386:                           ;   in Loop: Header=BB214_15 Depth=1
	s_delay_alu instid0(SALU_CYCLE_1) | instskip(NEXT) | instid1(SALU_CYCLE_1)
	s_or_b32 exec_lo, exec_lo, s14
	s_mov_b32 s14, exec_lo
	v_cmpx_lt_u32_e32 0xffffff, v8
	s_cbranch_execz .LBB214_1394
; %bb.1387:                             ;   in Loop: Header=BB214_15 Depth=1
	v_mov_b64_e32 v[78:79], 0x8000000000000000
	v_lshrrev_b32_e32 v9, 24, v8
	s_mov_b32 s15, exec_lo
	s_delay_alu instid0(VALU_DEP_1)
	v_cmpx_ne_u32_e32 0x80, v9
	s_cbranch_execz .LBB214_1393
; %bb.1388:                             ;   in Loop: Header=BB214_15 Depth=1
	v_mov_b64_e32 v[78:79], 0x7f80000100000000
	v_bfe_u32 v2, v8, 24, 7
	s_mov_b32 s16, exec_lo
	s_delay_alu instid0(VALU_DEP_1)
	v_cmpx_ne_u32_e32 0x7f, v2
	s_cbranch_execz .LBB214_1392
; %bb.1389:                             ;   in Loop: Header=BB214_15 Depth=1
	scratch_load_b64 v[10:11], off, s32 offset:192 th:TH_LOAD_LU ; 8-byte Folded Reload
	s_wait_loadcnt 0x0
	v_dual_lshrrev_b32 v8, 3, v2 :: v_dual_bitop2_b32 v10, 7, v9 bitop3:0x40
	v_cmp_gt_u32_e64 s1, 8, v2
	s_delay_alu instid0(VALU_DEP_2)
	v_mov_b64_e32 v[2:3], v[10:11]
	s_wait_xcnt 0x0
	s_and_saveexec_b32 s17, s1
; %bb.1390:                             ;   in Loop: Header=BB214_15 Depth=1
	v_clz_i32_u32_e32 v2, v10
	s_delay_alu instid0(VALU_DEP_1) | instskip(NEXT) | instid1(VALU_DEP_1)
	v_min_u32_e32 v8, 32, v2
	v_subrev_nc_u32_e32 v2, 28, v8
	s_delay_alu instid0(VALU_DEP_1) | instskip(NEXT) | instid1(VALU_DEP_1)
	v_lshlrev_b64_e32 v[2:3], v2, v[10:11]
	v_dual_sub_nc_u32 v8, 29, v8 :: v_dual_bitop2_b32 v2, 7, v2 bitop3:0x40
; %bb.1391:                             ;   in Loop: Header=BB214_15 Depth=1
	s_or_b32 exec_lo, exec_lo, s17
	s_delay_alu instid0(VALU_DEP_1) | instskip(NEXT) | instid1(VALU_DEP_2)
	v_dual_lshlrev_b32 v3, 24, v9 :: v_dual_lshlrev_b32 v2, 20, v2
	v_lshl_add_u32 v8, v8, 23, 0x3c000000
	v_mov_b32_e32 v78, v11
	s_delay_alu instid0(VALU_DEP_3) | instskip(NEXT) | instid1(VALU_DEP_1)
	v_and_b32_e32 v3, 0x80000000, v3
	v_or3_b32 v79, v2, v3, v8
	v_mov_b32_e32 v3, v11
	scratch_store_b64 off, v[2:3], s32 offset:192 ; 8-byte Folded Spill
.LBB214_1392:                           ;   in Loop: Header=BB214_15 Depth=1
	s_wait_xcnt 0x0
	s_or_b32 exec_lo, exec_lo, s16
.LBB214_1393:                           ;   in Loop: Header=BB214_15 Depth=1
	s_delay_alu instid0(SALU_CYCLE_1)
	s_or_b32 exec_lo, exec_lo, s15
.LBB214_1394:                           ;   in Loop: Header=BB214_15 Depth=1
	s_delay_alu instid0(SALU_CYCLE_1)
	s_or_b32 exec_lo, exec_lo, s14
	flat_load_b32 v8, v[120:121] offset:5132
	v_mov_b64_e32 v[94:95], 0
	v_mov_b64_e32 v[24:25], 0
	s_mov_b32 s14, exec_lo
	s_wait_loadcnt_dscnt 0x0
	v_and_b32_e32 v2, 0xff, v8
	s_wait_xcnt 0x0
	s_delay_alu instid0(VALU_DEP_1)
	v_cmpx_ne_u16_e32 0, v2
	s_cbranch_execz .LBB214_1402
; %bb.1395:                             ;   in Loop: Header=BB214_15 Depth=1
	v_mov_b64_e32 v[24:25], 0x80000000
	s_mov_b32 s15, exec_lo
	v_cmpx_ne_u16_e32 0x80, v2
	s_cbranch_execz .LBB214_1401
; %bb.1396:                             ;   in Loop: Header=BB214_15 Depth=1
	v_mov_b64_e32 v[24:25], 0x7f800001
	v_and_b32_e32 v2, 0x7f, v8
	s_mov_b32 s16, exec_lo
	s_delay_alu instid0(VALU_DEP_1)
	v_cmpx_ne_u32_e32 0x7f, v2
	s_cbranch_execz .LBB214_1400
; %bb.1397:                             ;   in Loop: Header=BB214_15 Depth=1
	scratch_load_b64 v[24:25], off, s32 offset:192 th:TH_LOAD_LU ; 8-byte Folded Reload
	s_wait_loadcnt 0x0
	v_dual_lshrrev_b32 v9, 3, v2 :: v_dual_bitop2_b32 v24, 7, v8 bitop3:0x40
	v_cmp_gt_u32_e64 s1, 8, v2
	s_delay_alu instid0(VALU_DEP_2)
	v_mov_b64_e32 v[2:3], v[24:25]
	s_wait_xcnt 0x0
	s_and_saveexec_b32 s17, s1
; %bb.1398:                             ;   in Loop: Header=BB214_15 Depth=1
	v_clz_i32_u32_e32 v2, v24
	s_delay_alu instid0(VALU_DEP_1) | instskip(NEXT) | instid1(VALU_DEP_1)
	v_min_u32_e32 v9, 32, v2
	v_subrev_nc_u32_e32 v2, 28, v9
	s_delay_alu instid0(VALU_DEP_1) | instskip(NEXT) | instid1(VALU_DEP_1)
	v_lshlrev_b64_e32 v[2:3], v2, v[24:25]
	v_dual_sub_nc_u32 v9, 29, v9 :: v_dual_bitop2_b32 v2, 7, v2 bitop3:0x40
; %bb.1399:                             ;   in Loop: Header=BB214_15 Depth=1
	s_or_b32 exec_lo, exec_lo, s17
	s_delay_alu instid0(VALU_DEP_1) | instskip(NEXT) | instid1(VALU_DEP_2)
	v_dual_lshlrev_b32 v3, 24, v8 :: v_dual_lshlrev_b32 v2, 20, v2
	v_lshl_add_u32 v9, v9, 23, 0x3c000000
	s_delay_alu instid0(VALU_DEP_2) | instskip(NEXT) | instid1(VALU_DEP_1)
	v_and_b32_e32 v3, 0x80000000, v3
	v_or3_b32 v24, v2, v3, v9
	v_mov_b32_e32 v3, v25
	scratch_store_b64 off, v[2:3], s32 offset:192 ; 8-byte Folded Spill
.LBB214_1400:                           ;   in Loop: Header=BB214_15 Depth=1
	s_wait_xcnt 0x0
	s_or_b32 exec_lo, exec_lo, s16
.LBB214_1401:                           ;   in Loop: Header=BB214_15 Depth=1
	s_delay_alu instid0(SALU_CYCLE_1)
	s_or_b32 exec_lo, exec_lo, s15
.LBB214_1402:                           ;   in Loop: Header=BB214_15 Depth=1
	s_delay_alu instid0(SALU_CYCLE_1) | instskip(SKIP_2) | instid1(VALU_DEP_1)
	s_or_b32 exec_lo, exec_lo, s14
	v_lshrrev_b16 v2, 8, v8
	s_mov_b32 s14, exec_lo
	v_cmpx_ne_u16_e32 0, v2
	s_cbranch_execz .LBB214_1410
; %bb.1403:                             ;   in Loop: Header=BB214_15 Depth=1
	v_mov_b64_e32 v[94:95], 0x8000000000000000
	s_mov_b32 s15, exec_lo
	v_cmpx_ne_u16_e32 0x80, v2
	s_cbranch_execz .LBB214_1409
; %bb.1404:                             ;   in Loop: Header=BB214_15 Depth=1
	v_and_b32_e32 v3, 0xffff, v2
	v_mov_b64_e32 v[94:95], 0x7f80000100000000
	s_mov_b32 s16, exec_lo
	s_delay_alu instid0(VALU_DEP_2) | instskip(NEXT) | instid1(VALU_DEP_1)
	v_and_b32_e32 v2, 0x7f, v3
	v_cmpx_ne_u32_e32 0x7f, v2
	s_cbranch_execz .LBB214_1408
; %bb.1405:                             ;   in Loop: Header=BB214_15 Depth=1
	scratch_load_b64 v[10:11], off, s32 offset:192 th:TH_LOAD_LU ; 8-byte Folded Reload
	s_wait_loadcnt 0x0
	v_dual_lshrrev_b32 v9, 3, v2 :: v_dual_bitop2_b32 v10, 7, v3 bitop3:0x40
	v_cmp_gt_u32_e64 s1, 8, v2
	s_delay_alu instid0(VALU_DEP_2)
	v_mov_b64_e32 v[2:3], v[10:11]
	s_wait_xcnt 0x0
	s_and_saveexec_b32 s17, s1
; %bb.1406:                             ;   in Loop: Header=BB214_15 Depth=1
	v_clz_i32_u32_e32 v2, v10
	s_delay_alu instid0(VALU_DEP_1) | instskip(NEXT) | instid1(VALU_DEP_1)
	v_min_u32_e32 v9, 32, v2
	v_subrev_nc_u32_e32 v2, 28, v9
	s_delay_alu instid0(VALU_DEP_1) | instskip(NEXT) | instid1(VALU_DEP_1)
	v_lshlrev_b64_e32 v[2:3], v2, v[10:11]
	v_dual_sub_nc_u32 v9, 29, v9 :: v_dual_bitop2_b32 v2, 7, v2 bitop3:0x40
; %bb.1407:                             ;   in Loop: Header=BB214_15 Depth=1
	s_or_b32 exec_lo, exec_lo, s17
	s_delay_alu instid0(VALU_DEP_1) | instskip(NEXT) | instid1(VALU_DEP_2)
	v_dual_lshlrev_b32 v3, 16, v8 :: v_dual_lshlrev_b32 v2, 20, v2
	v_lshl_add_u32 v9, v9, 23, 0x3c000000
	v_mov_b32_e32 v94, v11
	s_delay_alu instid0(VALU_DEP_3) | instskip(NEXT) | instid1(VALU_DEP_1)
	v_and_b32_e32 v3, 0x80000000, v3
	v_or3_b32 v95, v2, v3, v9
	v_mov_b32_e32 v3, v11
	scratch_store_b64 off, v[2:3], s32 offset:192 ; 8-byte Folded Spill
.LBB214_1408:                           ;   in Loop: Header=BB214_15 Depth=1
	s_wait_xcnt 0x0
	s_or_b32 exec_lo, exec_lo, s16
.LBB214_1409:                           ;   in Loop: Header=BB214_15 Depth=1
	s_delay_alu instid0(SALU_CYCLE_1)
	s_or_b32 exec_lo, exec_lo, s15
.LBB214_1410:                           ;   in Loop: Header=BB214_15 Depth=1
	s_delay_alu instid0(SALU_CYCLE_1) | instskip(SKIP_4) | instid1(VALU_DEP_3)
	s_or_b32 exec_lo, exec_lo, s14
	v_lshrrev_b32_e32 v9, 16, v8
	v_mov_b64_e32 v[110:111], 0
	v_mov_b64_e32 v[90:91], 0
	s_mov_b32 s14, exec_lo
	v_and_b32_e32 v2, 0xff, v9
	s_delay_alu instid0(VALU_DEP_1)
	v_cmpx_ne_u16_e32 0, v2
	s_cbranch_execz .LBB214_1418
; %bb.1411:                             ;   in Loop: Header=BB214_15 Depth=1
	v_mov_b64_e32 v[90:91], 0x80000000
	s_mov_b32 s15, exec_lo
	v_cmpx_ne_u16_e32 0x80, v2
	s_cbranch_execz .LBB214_1417
; %bb.1412:                             ;   in Loop: Header=BB214_15 Depth=1
	v_mov_b64_e32 v[90:91], 0x7f800001
	v_bfe_u32 v2, v8, 16, 7
	s_mov_b32 s16, exec_lo
	s_delay_alu instid0(VALU_DEP_1)
	v_cmpx_ne_u32_e32 0x7f, v2
	s_cbranch_execz .LBB214_1416
; %bb.1413:                             ;   in Loop: Header=BB214_15 Depth=1
	scratch_load_b64 v[90:91], off, s32 offset:192 th:TH_LOAD_LU ; 8-byte Folded Reload
	s_wait_loadcnt 0x0
	v_dual_lshrrev_b32 v10, 3, v2 :: v_dual_bitop2_b32 v90, 7, v9 bitop3:0x40
	v_cmp_gt_u32_e64 s1, 8, v2
	s_delay_alu instid0(VALU_DEP_2)
	v_mov_b64_e32 v[2:3], v[90:91]
	s_wait_xcnt 0x0
	s_and_saveexec_b32 s17, s1
; %bb.1414:                             ;   in Loop: Header=BB214_15 Depth=1
	v_clz_i32_u32_e32 v2, v90
	s_delay_alu instid0(VALU_DEP_1) | instskip(NEXT) | instid1(VALU_DEP_1)
	v_min_u32_e32 v10, 32, v2
	v_subrev_nc_u32_e32 v2, 28, v10
	v_sub_nc_u32_e32 v10, 29, v10
	s_delay_alu instid0(VALU_DEP_2) | instskip(NEXT) | instid1(VALU_DEP_1)
	v_lshlrev_b64_e32 v[2:3], v2, v[90:91]
	v_and_b32_e32 v2, 7, v2
; %bb.1415:                             ;   in Loop: Header=BB214_15 Depth=1
	s_or_b32 exec_lo, exec_lo, s17
	s_delay_alu instid0(VALU_DEP_1) | instskip(SKIP_1) | instid1(VALU_DEP_2)
	v_dual_lshlrev_b32 v3, 24, v9 :: v_dual_lshlrev_b32 v2, 20, v2
	v_lshl_add_u32 v9, v10, 23, 0x3c000000
	v_and_b32_e32 v3, 0x80000000, v3
	s_delay_alu instid0(VALU_DEP_1)
	v_or3_b32 v90, v2, v3, v9
	v_mov_b32_e32 v3, v91
	scratch_store_b64 off, v[2:3], s32 offset:192 ; 8-byte Folded Spill
.LBB214_1416:                           ;   in Loop: Header=BB214_15 Depth=1
	s_wait_xcnt 0x0
	s_or_b32 exec_lo, exec_lo, s16
.LBB214_1417:                           ;   in Loop: Header=BB214_15 Depth=1
	s_delay_alu instid0(SALU_CYCLE_1)
	s_or_b32 exec_lo, exec_lo, s15
.LBB214_1418:                           ;   in Loop: Header=BB214_15 Depth=1
	s_delay_alu instid0(SALU_CYCLE_1) | instskip(NEXT) | instid1(SALU_CYCLE_1)
	s_or_b32 exec_lo, exec_lo, s14
	s_mov_b32 s14, exec_lo
	v_cmpx_lt_u32_e32 0xffffff, v8
	s_cbranch_execz .LBB214_1426
; %bb.1419:                             ;   in Loop: Header=BB214_15 Depth=1
	v_mov_b64_e32 v[110:111], 0x8000000000000000
	v_lshrrev_b32_e32 v9, 24, v8
	s_mov_b32 s15, exec_lo
	s_delay_alu instid0(VALU_DEP_1)
	v_cmpx_ne_u32_e32 0x80, v9
	s_cbranch_execz .LBB214_1425
; %bb.1420:                             ;   in Loop: Header=BB214_15 Depth=1
	v_mov_b64_e32 v[110:111], 0x7f80000100000000
	v_bfe_u32 v2, v8, 24, 7
	s_mov_b32 s16, exec_lo
	s_delay_alu instid0(VALU_DEP_1)
	v_cmpx_ne_u32_e32 0x7f, v2
	s_cbranch_execz .LBB214_1424
; %bb.1421:                             ;   in Loop: Header=BB214_15 Depth=1
	scratch_load_b64 v[10:11], off, s32 offset:192 th:TH_LOAD_LU ; 8-byte Folded Reload
	s_wait_loadcnt 0x0
	v_dual_lshrrev_b32 v8, 3, v2 :: v_dual_bitop2_b32 v10, 7, v9 bitop3:0x40
	v_cmp_gt_u32_e64 s1, 8, v2
	s_delay_alu instid0(VALU_DEP_2)
	v_mov_b64_e32 v[2:3], v[10:11]
	s_wait_xcnt 0x0
	s_and_saveexec_b32 s17, s1
; %bb.1422:                             ;   in Loop: Header=BB214_15 Depth=1
	v_clz_i32_u32_e32 v2, v10
	s_delay_alu instid0(VALU_DEP_1) | instskip(NEXT) | instid1(VALU_DEP_1)
	v_min_u32_e32 v8, 32, v2
	v_subrev_nc_u32_e32 v2, 28, v8
	s_delay_alu instid0(VALU_DEP_1) | instskip(NEXT) | instid1(VALU_DEP_1)
	v_lshlrev_b64_e32 v[2:3], v2, v[10:11]
	v_dual_sub_nc_u32 v8, 29, v8 :: v_dual_bitop2_b32 v2, 7, v2 bitop3:0x40
; %bb.1423:                             ;   in Loop: Header=BB214_15 Depth=1
	s_or_b32 exec_lo, exec_lo, s17
	s_delay_alu instid0(VALU_DEP_1) | instskip(NEXT) | instid1(VALU_DEP_2)
	v_dual_lshlrev_b32 v3, 24, v9 :: v_dual_lshlrev_b32 v2, 20, v2
	v_lshl_add_u32 v8, v8, 23, 0x3c000000
	v_mov_b32_e32 v110, v11
	s_delay_alu instid0(VALU_DEP_3) | instskip(NEXT) | instid1(VALU_DEP_1)
	v_and_b32_e32 v3, 0x80000000, v3
	v_or3_b32 v111, v2, v3, v8
	v_mov_b32_e32 v3, v11
	scratch_store_b64 off, v[2:3], s32 offset:192 ; 8-byte Folded Spill
.LBB214_1424:                           ;   in Loop: Header=BB214_15 Depth=1
	s_wait_xcnt 0x0
	s_or_b32 exec_lo, exec_lo, s16
.LBB214_1425:                           ;   in Loop: Header=BB214_15 Depth=1
	s_delay_alu instid0(SALU_CYCLE_1)
	s_or_b32 exec_lo, exec_lo, s15
.LBB214_1426:                           ;   in Loop: Header=BB214_15 Depth=1
	s_delay_alu instid0(SALU_CYCLE_1)
	s_or_b32 exec_lo, exec_lo, s14
	flat_load_b32 v8, v[120:121] offset:5632
	v_mov_b64_e32 v[124:125], 0
	v_mov_b64_e32 v[106:107], 0
	s_mov_b32 s14, exec_lo
	s_wait_loadcnt_dscnt 0x0
	v_and_b32_e32 v2, 0xff, v8
	s_wait_xcnt 0x0
	s_delay_alu instid0(VALU_DEP_1)
	v_cmpx_ne_u16_e32 0, v2
	s_cbranch_execz .LBB214_1434
; %bb.1427:                             ;   in Loop: Header=BB214_15 Depth=1
	v_mov_b64_e32 v[106:107], 0x80000000
	s_mov_b32 s15, exec_lo
	v_cmpx_ne_u16_e32 0x80, v2
	s_cbranch_execz .LBB214_1433
; %bb.1428:                             ;   in Loop: Header=BB214_15 Depth=1
	v_mov_b64_e32 v[106:107], 0x7f800001
	v_and_b32_e32 v2, 0x7f, v8
	s_mov_b32 s16, exec_lo
	s_delay_alu instid0(VALU_DEP_1)
	v_cmpx_ne_u32_e32 0x7f, v2
	s_cbranch_execz .LBB214_1432
; %bb.1429:                             ;   in Loop: Header=BB214_15 Depth=1
	scratch_load_b64 v[106:107], off, s32 offset:192 th:TH_LOAD_LU ; 8-byte Folded Reload
	s_wait_loadcnt 0x0
	v_dual_lshrrev_b32 v9, 3, v2 :: v_dual_bitop2_b32 v106, 7, v8 bitop3:0x40
	v_cmp_gt_u32_e64 s1, 8, v2
	s_delay_alu instid0(VALU_DEP_2)
	v_mov_b64_e32 v[2:3], v[106:107]
	s_wait_xcnt 0x0
	s_and_saveexec_b32 s17, s1
; %bb.1430:                             ;   in Loop: Header=BB214_15 Depth=1
	v_clz_i32_u32_e32 v2, v106
	s_delay_alu instid0(VALU_DEP_1) | instskip(NEXT) | instid1(VALU_DEP_1)
	v_min_u32_e32 v9, 32, v2
	v_subrev_nc_u32_e32 v2, 28, v9
	s_delay_alu instid0(VALU_DEP_1) | instskip(NEXT) | instid1(VALU_DEP_1)
	v_lshlrev_b64_e32 v[2:3], v2, v[106:107]
	v_dual_sub_nc_u32 v9, 29, v9 :: v_dual_bitop2_b32 v2, 7, v2 bitop3:0x40
; %bb.1431:                             ;   in Loop: Header=BB214_15 Depth=1
	s_or_b32 exec_lo, exec_lo, s17
	s_delay_alu instid0(VALU_DEP_1) | instskip(NEXT) | instid1(VALU_DEP_2)
	v_dual_lshlrev_b32 v3, 24, v8 :: v_dual_lshlrev_b32 v2, 20, v2
	v_lshl_add_u32 v9, v9, 23, 0x3c000000
	s_delay_alu instid0(VALU_DEP_2) | instskip(NEXT) | instid1(VALU_DEP_1)
	v_and_b32_e32 v3, 0x80000000, v3
	v_or3_b32 v106, v2, v3, v9
	v_mov_b32_e32 v3, v107
	scratch_store_b64 off, v[2:3], s32 offset:192 ; 8-byte Folded Spill
.LBB214_1432:                           ;   in Loop: Header=BB214_15 Depth=1
	s_wait_xcnt 0x0
	s_or_b32 exec_lo, exec_lo, s16
.LBB214_1433:                           ;   in Loop: Header=BB214_15 Depth=1
	s_delay_alu instid0(SALU_CYCLE_1)
	s_or_b32 exec_lo, exec_lo, s15
.LBB214_1434:                           ;   in Loop: Header=BB214_15 Depth=1
	s_delay_alu instid0(SALU_CYCLE_1) | instskip(SKIP_2) | instid1(VALU_DEP_1)
	s_or_b32 exec_lo, exec_lo, s14
	v_lshrrev_b16 v2, 8, v8
	s_mov_b32 s14, exec_lo
	v_cmpx_ne_u16_e32 0, v2
	s_cbranch_execz .LBB214_1442
; %bb.1435:                             ;   in Loop: Header=BB214_15 Depth=1
	v_mov_b64_e32 v[124:125], 0x8000000000000000
	s_mov_b32 s15, exec_lo
	v_cmpx_ne_u16_e32 0x80, v2
	s_cbranch_execz .LBB214_1441
; %bb.1436:                             ;   in Loop: Header=BB214_15 Depth=1
	v_and_b32_e32 v3, 0xffff, v2
	v_mov_b64_e32 v[124:125], 0x7f80000100000000
	s_mov_b32 s16, exec_lo
	s_delay_alu instid0(VALU_DEP_2) | instskip(NEXT) | instid1(VALU_DEP_1)
	v_and_b32_e32 v2, 0x7f, v3
	v_cmpx_ne_u32_e32 0x7f, v2
	s_cbranch_execz .LBB214_1440
; %bb.1437:                             ;   in Loop: Header=BB214_15 Depth=1
	scratch_load_b64 v[10:11], off, s32 offset:192 th:TH_LOAD_LU ; 8-byte Folded Reload
	s_wait_loadcnt 0x0
	v_dual_lshrrev_b32 v9, 3, v2 :: v_dual_bitop2_b32 v10, 7, v3 bitop3:0x40
	v_cmp_gt_u32_e64 s1, 8, v2
	s_delay_alu instid0(VALU_DEP_2)
	v_mov_b64_e32 v[2:3], v[10:11]
	s_wait_xcnt 0x0
	s_and_saveexec_b32 s17, s1
; %bb.1438:                             ;   in Loop: Header=BB214_15 Depth=1
	v_clz_i32_u32_e32 v2, v10
	s_delay_alu instid0(VALU_DEP_1) | instskip(NEXT) | instid1(VALU_DEP_1)
	v_min_u32_e32 v9, 32, v2
	v_subrev_nc_u32_e32 v2, 28, v9
	s_delay_alu instid0(VALU_DEP_1) | instskip(NEXT) | instid1(VALU_DEP_1)
	v_lshlrev_b64_e32 v[2:3], v2, v[10:11]
	v_dual_sub_nc_u32 v9, 29, v9 :: v_dual_bitop2_b32 v2, 7, v2 bitop3:0x40
; %bb.1439:                             ;   in Loop: Header=BB214_15 Depth=1
	s_or_b32 exec_lo, exec_lo, s17
	s_delay_alu instid0(VALU_DEP_1) | instskip(NEXT) | instid1(VALU_DEP_2)
	v_dual_lshlrev_b32 v3, 16, v8 :: v_dual_lshlrev_b32 v2, 20, v2
	v_lshl_add_u32 v9, v9, 23, 0x3c000000
	v_mov_b32_e32 v124, v11
	s_delay_alu instid0(VALU_DEP_3) | instskip(NEXT) | instid1(VALU_DEP_1)
	v_and_b32_e32 v3, 0x80000000, v3
	v_or3_b32 v125, v2, v3, v9
	v_mov_b32_e32 v3, v11
	scratch_store_b64 off, v[2:3], s32 offset:192 ; 8-byte Folded Spill
.LBB214_1440:                           ;   in Loop: Header=BB214_15 Depth=1
	s_wait_xcnt 0x0
	s_or_b32 exec_lo, exec_lo, s16
.LBB214_1441:                           ;   in Loop: Header=BB214_15 Depth=1
	s_delay_alu instid0(SALU_CYCLE_1)
	s_or_b32 exec_lo, exec_lo, s15
.LBB214_1442:                           ;   in Loop: Header=BB214_15 Depth=1
	s_delay_alu instid0(SALU_CYCLE_1) | instskip(SKIP_4) | instid1(VALU_DEP_3)
	s_or_b32 exec_lo, exec_lo, s14
	v_lshrrev_b32_e32 v9, 16, v8
	v_mov_b64_e32 v[16:17], 0
	v_mov_b64_e32 v[20:21], 0
	s_mov_b32 s14, exec_lo
	v_and_b32_e32 v2, 0xff, v9
	s_delay_alu instid0(VALU_DEP_1)
	v_cmpx_ne_u16_e32 0, v2
	s_cbranch_execz .LBB214_1450
; %bb.1443:                             ;   in Loop: Header=BB214_15 Depth=1
	v_mov_b64_e32 v[20:21], 0x80000000
	s_mov_b32 s15, exec_lo
	v_cmpx_ne_u16_e32 0x80, v2
	s_cbranch_execz .LBB214_1449
; %bb.1444:                             ;   in Loop: Header=BB214_15 Depth=1
	v_mov_b64_e32 v[20:21], 0x7f800001
	v_bfe_u32 v2, v8, 16, 7
	s_mov_b32 s16, exec_lo
	s_delay_alu instid0(VALU_DEP_1)
	v_cmpx_ne_u32_e32 0x7f, v2
	s_cbranch_execz .LBB214_1448
; %bb.1445:                             ;   in Loop: Header=BB214_15 Depth=1
	scratch_load_b64 v[20:21], off, s32 offset:192 th:TH_LOAD_LU ; 8-byte Folded Reload
	s_wait_loadcnt 0x0
	v_dual_lshrrev_b32 v10, 3, v2 :: v_dual_bitop2_b32 v20, 7, v9 bitop3:0x40
	v_cmp_gt_u32_e64 s1, 8, v2
	s_delay_alu instid0(VALU_DEP_2)
	v_mov_b64_e32 v[2:3], v[20:21]
	s_wait_xcnt 0x0
	s_and_saveexec_b32 s17, s1
; %bb.1446:                             ;   in Loop: Header=BB214_15 Depth=1
	v_clz_i32_u32_e32 v2, v20
	s_delay_alu instid0(VALU_DEP_1) | instskip(NEXT) | instid1(VALU_DEP_1)
	v_min_u32_e32 v10, 32, v2
	v_subrev_nc_u32_e32 v2, 28, v10
	v_sub_nc_u32_e32 v10, 29, v10
	s_delay_alu instid0(VALU_DEP_2) | instskip(NEXT) | instid1(VALU_DEP_1)
	v_lshlrev_b64_e32 v[2:3], v2, v[20:21]
	v_and_b32_e32 v2, 7, v2
; %bb.1447:                             ;   in Loop: Header=BB214_15 Depth=1
	s_or_b32 exec_lo, exec_lo, s17
	s_delay_alu instid0(VALU_DEP_1) | instskip(SKIP_1) | instid1(VALU_DEP_2)
	v_dual_lshlrev_b32 v3, 24, v9 :: v_dual_lshlrev_b32 v2, 20, v2
	v_lshl_add_u32 v9, v10, 23, 0x3c000000
	v_and_b32_e32 v3, 0x80000000, v3
	s_delay_alu instid0(VALU_DEP_1)
	v_or3_b32 v20, v2, v3, v9
	v_mov_b32_e32 v3, v21
	scratch_store_b64 off, v[2:3], s32 offset:192 ; 8-byte Folded Spill
.LBB214_1448:                           ;   in Loop: Header=BB214_15 Depth=1
	s_wait_xcnt 0x0
	s_or_b32 exec_lo, exec_lo, s16
.LBB214_1449:                           ;   in Loop: Header=BB214_15 Depth=1
	s_delay_alu instid0(SALU_CYCLE_1)
	s_or_b32 exec_lo, exec_lo, s15
.LBB214_1450:                           ;   in Loop: Header=BB214_15 Depth=1
	s_delay_alu instid0(SALU_CYCLE_1) | instskip(NEXT) | instid1(SALU_CYCLE_1)
	s_or_b32 exec_lo, exec_lo, s14
	s_mov_b32 s14, exec_lo
	v_cmpx_lt_u32_e32 0xffffff, v8
	s_cbranch_execz .LBB214_1458
; %bb.1451:                             ;   in Loop: Header=BB214_15 Depth=1
	v_mov_b64_e32 v[16:17], 0x8000000000000000
	v_lshrrev_b32_e32 v9, 24, v8
	s_mov_b32 s15, exec_lo
	s_delay_alu instid0(VALU_DEP_1)
	v_cmpx_ne_u32_e32 0x80, v9
	s_cbranch_execz .LBB214_1457
; %bb.1452:                             ;   in Loop: Header=BB214_15 Depth=1
	v_mov_b64_e32 v[16:17], 0x7f80000100000000
	v_bfe_u32 v2, v8, 24, 7
	s_mov_b32 s16, exec_lo
	s_delay_alu instid0(VALU_DEP_1)
	v_cmpx_ne_u32_e32 0x7f, v2
	s_cbranch_execz .LBB214_1456
; %bb.1453:                             ;   in Loop: Header=BB214_15 Depth=1
	scratch_load_b64 v[10:11], off, s32 offset:192 th:TH_LOAD_LU ; 8-byte Folded Reload
	s_wait_loadcnt 0x0
	v_dual_lshrrev_b32 v8, 3, v2 :: v_dual_bitop2_b32 v10, 7, v9 bitop3:0x40
	v_cmp_gt_u32_e64 s1, 8, v2
	s_delay_alu instid0(VALU_DEP_2)
	v_mov_b64_e32 v[2:3], v[10:11]
	s_wait_xcnt 0x0
	s_and_saveexec_b32 s17, s1
; %bb.1454:                             ;   in Loop: Header=BB214_15 Depth=1
	v_clz_i32_u32_e32 v2, v10
	s_delay_alu instid0(VALU_DEP_1) | instskip(NEXT) | instid1(VALU_DEP_1)
	v_min_u32_e32 v8, 32, v2
	v_subrev_nc_u32_e32 v2, 28, v8
	s_delay_alu instid0(VALU_DEP_1) | instskip(NEXT) | instid1(VALU_DEP_1)
	v_lshlrev_b64_e32 v[2:3], v2, v[10:11]
	v_dual_sub_nc_u32 v8, 29, v8 :: v_dual_bitop2_b32 v2, 7, v2 bitop3:0x40
; %bb.1455:                             ;   in Loop: Header=BB214_15 Depth=1
	s_or_b32 exec_lo, exec_lo, s17
	s_delay_alu instid0(VALU_DEP_1) | instskip(NEXT) | instid1(VALU_DEP_2)
	v_dual_lshlrev_b32 v3, 24, v9 :: v_dual_lshlrev_b32 v2, 20, v2
	v_lshl_add_u32 v8, v8, 23, 0x3c000000
	v_mov_b32_e32 v16, v11
	s_delay_alu instid0(VALU_DEP_3) | instskip(NEXT) | instid1(VALU_DEP_1)
	v_and_b32_e32 v3, 0x80000000, v3
	v_or3_b32 v17, v2, v3, v8
	v_mov_b32_e32 v3, v11
	scratch_store_b64 off, v[2:3], s32 offset:192 ; 8-byte Folded Spill
.LBB214_1456:                           ;   in Loop: Header=BB214_15 Depth=1
	s_wait_xcnt 0x0
	s_or_b32 exec_lo, exec_lo, s16
.LBB214_1457:                           ;   in Loop: Header=BB214_15 Depth=1
	s_delay_alu instid0(SALU_CYCLE_1)
	s_or_b32 exec_lo, exec_lo, s15
.LBB214_1458:                           ;   in Loop: Header=BB214_15 Depth=1
	s_delay_alu instid0(SALU_CYCLE_1)
	s_or_b32 exec_lo, exec_lo, s14
	flat_load_b32 v116, v[120:121] offset:5636
	v_mov_b64_e32 v[2:3], 0
	v_mov_b64_e32 v[28:29], 0
	s_mov_b32 s14, exec_lo
	s_wait_loadcnt_dscnt 0x0
	v_and_b32_e32 v8, 0xff, v116
	s_wait_xcnt 0x0
	s_delay_alu instid0(VALU_DEP_1)
	v_cmpx_ne_u16_e32 0, v8
	s_cbranch_execz .LBB214_1466
; %bb.1459:                             ;   in Loop: Header=BB214_15 Depth=1
	v_mov_b64_e32 v[28:29], 0x80000000
	s_mov_b32 s15, exec_lo
	v_cmpx_ne_u16_e32 0x80, v8
	s_cbranch_execz .LBB214_1465
; %bb.1460:                             ;   in Loop: Header=BB214_15 Depth=1
	v_mov_b64_e32 v[28:29], 0x7f800001
	v_and_b32_e32 v8, 0x7f, v116
	s_mov_b32 s16, exec_lo
	s_delay_alu instid0(VALU_DEP_1)
	v_cmpx_ne_u32_e32 0x7f, v8
	s_cbranch_execz .LBB214_1464
; %bb.1461:                             ;   in Loop: Header=BB214_15 Depth=1
	scratch_load_b64 v[28:29], off, s32 offset:192 th:TH_LOAD_LU ; 8-byte Folded Reload
	s_wait_loadcnt 0x0
	v_and_b32_e32 v28, 7, v116
	v_lshrrev_b32_e32 v10, 3, v8
	v_cmp_gt_u32_e64 s1, 8, v8
	s_delay_alu instid0(VALU_DEP_3)
	v_mov_b64_e32 v[8:9], v[28:29]
	s_wait_xcnt 0x0
	s_and_saveexec_b32 s17, s1
; %bb.1462:                             ;   in Loop: Header=BB214_15 Depth=1
	v_clz_i32_u32_e32 v8, v28
	s_delay_alu instid0(VALU_DEP_1) | instskip(NEXT) | instid1(VALU_DEP_1)
	v_min_u32_e32 v10, 32, v8
	v_subrev_nc_u32_e32 v8, 28, v10
	s_delay_alu instid0(VALU_DEP_1) | instskip(NEXT) | instid1(VALU_DEP_1)
	v_lshlrev_b64_e32 v[8:9], v8, v[28:29]
	v_dual_sub_nc_u32 v10, 29, v10 :: v_dual_bitop2_b32 v8, 7, v8 bitop3:0x40
; %bb.1463:                             ;   in Loop: Header=BB214_15 Depth=1
	s_or_b32 exec_lo, exec_lo, s17
	v_lshlrev_b32_e32 v9, 24, v116
	s_delay_alu instid0(VALU_DEP_2) | instskip(NEXT) | instid1(VALU_DEP_3)
	v_lshlrev_b32_e32 v8, 20, v8
	v_lshl_add_u32 v10, v10, 23, 0x3c000000
	s_delay_alu instid0(VALU_DEP_3) | instskip(NEXT) | instid1(VALU_DEP_1)
	v_and_b32_e32 v9, 0x80000000, v9
	v_or3_b32 v28, v8, v9, v10
	v_mov_b32_e32 v9, v29
	scratch_store_b64 off, v[8:9], s32 offset:192 ; 8-byte Folded Spill
.LBB214_1464:                           ;   in Loop: Header=BB214_15 Depth=1
	s_wait_xcnt 0x0
	s_or_b32 exec_lo, exec_lo, s16
.LBB214_1465:                           ;   in Loop: Header=BB214_15 Depth=1
	s_delay_alu instid0(SALU_CYCLE_1)
	s_or_b32 exec_lo, exec_lo, s15
.LBB214_1466:                           ;   in Loop: Header=BB214_15 Depth=1
	s_delay_alu instid0(SALU_CYCLE_1) | instskip(SKIP_2) | instid1(VALU_DEP_1)
	s_or_b32 exec_lo, exec_lo, s14
	v_lshrrev_b16 v8, 8, v116
	s_mov_b32 s14, exec_lo
	v_cmpx_ne_u16_e32 0, v8
	s_cbranch_execz .LBB214_1474
; %bb.1467:                             ;   in Loop: Header=BB214_15 Depth=1
	v_mov_b64_e32 v[2:3], 0x8000000000000000
	s_mov_b32 s15, exec_lo
	v_cmpx_ne_u16_e32 0x80, v8
	s_cbranch_execz .LBB214_1473
; %bb.1468:                             ;   in Loop: Header=BB214_15 Depth=1
	v_and_b32_e32 v8, 0xffff, v8
	v_mov_b64_e32 v[2:3], 0x7f80000100000000
	s_mov_b32 s16, exec_lo
	s_delay_alu instid0(VALU_DEP_2) | instskip(NEXT) | instid1(VALU_DEP_1)
	v_and_b32_e32 v9, 0x7f, v8
	v_cmpx_ne_u32_e32 0x7f, v9
	s_cbranch_execz .LBB214_1472
; %bb.1469:                             ;   in Loop: Header=BB214_15 Depth=1
	scratch_load_b64 v[10:11], off, s32 offset:192 th:TH_LOAD_LU ; 8-byte Folded Reload
	s_wait_loadcnt 0x0
	v_dual_lshrrev_b32 v8, 3, v9 :: v_dual_bitop2_b32 v10, 7, v8 bitop3:0x40
	s_mov_b32 s17, exec_lo
	s_delay_alu instid0(VALU_DEP_1)
	v_mov_b64_e32 v[2:3], v[10:11]
	s_wait_xcnt 0x0
	v_cmpx_gt_u32_e32 8, v9
; %bb.1470:                             ;   in Loop: Header=BB214_15 Depth=1
	v_clz_i32_u32_e32 v2, v10
	s_delay_alu instid0(VALU_DEP_1) | instskip(NEXT) | instid1(VALU_DEP_1)
	v_min_u32_e32 v8, 32, v2
	v_subrev_nc_u32_e32 v2, 28, v8
	s_delay_alu instid0(VALU_DEP_1) | instskip(NEXT) | instid1(VALU_DEP_1)
	v_lshlrev_b64_e32 v[2:3], v2, v[10:11]
	v_dual_sub_nc_u32 v8, 29, v8 :: v_dual_bitop2_b32 v2, 7, v2 bitop3:0x40
; %bb.1471:                             ;   in Loop: Header=BB214_15 Depth=1
	s_or_b32 exec_lo, exec_lo, s17
	s_delay_alu instid0(VALU_DEP_1) | instskip(NEXT) | instid1(VALU_DEP_2)
	v_dual_lshlrev_b32 v3, 16, v116 :: v_dual_lshlrev_b32 v2, 20, v2
	v_lshl_add_u32 v8, v8, 23, 0x3c000000
	v_mov_b32_e32 v9, v11
	s_delay_alu instid0(VALU_DEP_3) | instskip(NEXT) | instid1(VALU_DEP_1)
	v_and_b32_e32 v3, 0x80000000, v3
	v_or3_b32 v3, v2, v3, v8
	v_mov_b32_e32 v2, v11
	scratch_store_b64 off, v[8:9], s32 offset:192 ; 8-byte Folded Spill
.LBB214_1472:                           ;   in Loop: Header=BB214_15 Depth=1
	s_wait_xcnt 0x0
	s_or_b32 exec_lo, exec_lo, s16
.LBB214_1473:                           ;   in Loop: Header=BB214_15 Depth=1
	s_delay_alu instid0(SALU_CYCLE_1)
	s_or_b32 exec_lo, exec_lo, s15
.LBB214_1474:                           ;   in Loop: Header=BB214_15 Depth=1
	s_delay_alu instid0(SALU_CYCLE_1) | instskip(SKIP_4) | instid1(VALU_DEP_3)
	s_or_b32 exec_lo, exec_lo, s14
	v_lshrrev_b32_e32 v117, 16, v116
	v_mov_b64_e32 v[8:9], 0
	v_mov_b64_e32 v[92:93], 0
	s_mov_b32 s14, exec_lo
	v_and_b32_e32 v10, 0xff, v117
	s_delay_alu instid0(VALU_DEP_1)
	v_cmpx_ne_u16_e32 0, v10
	s_cbranch_execz .LBB214_1482
; %bb.1475:                             ;   in Loop: Header=BB214_15 Depth=1
	v_mov_b64_e32 v[92:93], 0x80000000
	s_mov_b32 s15, exec_lo
	v_cmpx_ne_u16_e32 0x80, v10
	s_cbranch_execz .LBB214_1481
; %bb.1476:                             ;   in Loop: Header=BB214_15 Depth=1
	v_mov_b64_e32 v[92:93], 0x7f800001
	v_bfe_u32 v10, v116, 16, 7
	s_mov_b32 s16, exec_lo
	s_delay_alu instid0(VALU_DEP_1)
	v_cmpx_ne_u32_e32 0x7f, v10
	s_cbranch_execz .LBB214_1480
; %bb.1477:                             ;   in Loop: Header=BB214_15 Depth=1
	scratch_load_b64 v[92:93], off, s32 offset:192 th:TH_LOAD_LU ; 8-byte Folded Reload
	s_wait_loadcnt 0x0
	v_dual_lshrrev_b32 v60, 3, v10 :: v_dual_bitop2_b32 v92, 7, v117 bitop3:0x40
	v_cmp_gt_u32_e64 s1, 8, v10
	s_delay_alu instid0(VALU_DEP_2)
	v_mov_b64_e32 v[10:11], v[92:93]
	s_wait_xcnt 0x0
	s_and_saveexec_b32 s17, s1
; %bb.1478:                             ;   in Loop: Header=BB214_15 Depth=1
	v_clz_i32_u32_e32 v10, v92
	s_delay_alu instid0(VALU_DEP_1) | instskip(NEXT) | instid1(VALU_DEP_1)
	v_min_u32_e32 v68, 32, v10
	v_subrev_nc_u32_e32 v10, 28, v68
	s_delay_alu instid0(VALU_DEP_1) | instskip(NEXT) | instid1(VALU_DEP_1)
	v_lshlrev_b64_e32 v[10:11], v10, v[92:93]
	v_dual_sub_nc_u32 v60, 29, v68 :: v_dual_bitop2_b32 v10, 7, v10 bitop3:0x40
; %bb.1479:                             ;   in Loop: Header=BB214_15 Depth=1
	s_or_b32 exec_lo, exec_lo, s17
	s_delay_alu instid0(VALU_DEP_1) | instskip(NEXT) | instid1(VALU_DEP_2)
	v_dual_lshlrev_b32 v11, 24, v117 :: v_dual_lshlrev_b32 v10, 20, v10
	v_lshl_add_u32 v38, v60, 23, 0x3c000000
	s_delay_alu instid0(VALU_DEP_2) | instskip(NEXT) | instid1(VALU_DEP_1)
	v_and_b32_e32 v11, 0x80000000, v11
	v_or3_b32 v92, v10, v11, v38
	v_mov_b32_e32 v11, v93
	scratch_store_b64 off, v[10:11], s32 offset:192 ; 8-byte Folded Spill
.LBB214_1480:                           ;   in Loop: Header=BB214_15 Depth=1
	s_wait_xcnt 0x0
	s_or_b32 exec_lo, exec_lo, s16
.LBB214_1481:                           ;   in Loop: Header=BB214_15 Depth=1
	s_delay_alu instid0(SALU_CYCLE_1)
	s_or_b32 exec_lo, exec_lo, s15
.LBB214_1482:                           ;   in Loop: Header=BB214_15 Depth=1
	s_delay_alu instid0(SALU_CYCLE_1) | instskip(NEXT) | instid1(SALU_CYCLE_1)
	s_or_b32 exec_lo, exec_lo, s14
	s_mov_b32 s14, exec_lo
	v_cmpx_lt_u32_e32 0xffffff, v116
	s_cbranch_execz .LBB214_1490
; %bb.1483:                             ;   in Loop: Header=BB214_15 Depth=1
	v_mov_b64_e32 v[8:9], 0x8000000000000000
	v_lshrrev_b32_e32 v10, 24, v116
	s_mov_b32 s15, exec_lo
	s_delay_alu instid0(VALU_DEP_1)
	v_cmpx_ne_u32_e32 0x80, v10
	s_cbranch_execz .LBB214_1489
; %bb.1484:                             ;   in Loop: Header=BB214_15 Depth=1
	v_mov_b64_e32 v[8:9], 0x7f80000100000000
	v_bfe_u32 v116, v116, 24, 7
	s_mov_b32 s16, exec_lo
	s_delay_alu instid0(VALU_DEP_1)
	v_cmpx_ne_u32_e32 0x7f, v116
	s_cbranch_execz .LBB214_1488
; %bb.1485:                             ;   in Loop: Header=BB214_15 Depth=1
	scratch_load_b64 v[34:35], off, s32 offset:192 th:TH_LOAD_LU ; 8-byte Folded Reload
	s_wait_loadcnt 0x0
	v_dual_lshrrev_b32 v11, 3, v116 :: v_dual_bitop2_b32 v34, 7, v10 bitop3:0x40
	s_mov_b32 s17, exec_lo
	s_delay_alu instid0(VALU_DEP_1)
	v_mov_b64_e32 v[8:9], v[34:35]
	s_wait_xcnt 0x0
	v_cmpx_gt_u32_e32 8, v116
; %bb.1486:                             ;   in Loop: Header=BB214_15 Depth=1
	v_clz_i32_u32_e32 v8, v34
	s_delay_alu instid0(VALU_DEP_1) | instskip(NEXT) | instid1(VALU_DEP_1)
	v_min_u32_e32 v11, 32, v8
	v_subrev_nc_u32_e32 v8, 28, v11
	s_delay_alu instid0(VALU_DEP_1) | instskip(NEXT) | instid1(VALU_DEP_1)
	v_lshlrev_b64_e32 v[8:9], v8, v[34:35]
	v_dual_sub_nc_u32 v11, 29, v11 :: v_dual_bitop2_b32 v8, 7, v8 bitop3:0x40
; %bb.1487:                             ;   in Loop: Header=BB214_15 Depth=1
	s_or_b32 exec_lo, exec_lo, s17
	s_delay_alu instid0(VALU_DEP_1) | instskip(NEXT) | instid1(VALU_DEP_2)
	v_dual_lshlrev_b32 v9, 24, v10 :: v_dual_lshlrev_b32 v8, 20, v8
	v_lshl_add_u32 v10, v11, 23, 0x3c000000
	v_mov_b32_e32 v11, v35
	s_delay_alu instid0(VALU_DEP_3) | instskip(NEXT) | instid1(VALU_DEP_1)
	v_and_b32_e32 v9, 0x80000000, v9
	v_or3_b32 v9, v8, v9, v10
	v_mov_b32_e32 v8, v35
	scratch_store_b64 off, v[10:11], s32 offset:192 ; 8-byte Folded Spill
.LBB214_1488:                           ;   in Loop: Header=BB214_15 Depth=1
	s_wait_xcnt 0x0
	s_or_b32 exec_lo, exec_lo, s16
.LBB214_1489:                           ;   in Loop: Header=BB214_15 Depth=1
	s_delay_alu instid0(SALU_CYCLE_1)
	s_or_b32 exec_lo, exec_lo, s15
.LBB214_1490:                           ;   in Loop: Header=BB214_15 Depth=1
	s_delay_alu instid0(SALU_CYCLE_1)
	s_or_b32 exec_lo, exec_lo, s14
	flat_load_b32 v74, v[120:121] offset:5640
	v_mov_b64_e32 v[60:61], 0
	v_mov_b64_e32 v[10:11], 0
	s_mov_b32 s14, exec_lo
	s_wait_loadcnt_dscnt 0x0
	v_and_b32_e32 v68, 0xff, v74
	s_wait_xcnt 0x0
	s_delay_alu instid0(VALU_DEP_1)
	v_cmpx_ne_u16_e32 0, v68
	s_cbranch_execz .LBB214_1498
; %bb.1491:                             ;   in Loop: Header=BB214_15 Depth=1
	v_mov_b64_e32 v[10:11], 0x80000000
	s_mov_b32 s15, exec_lo
	v_cmpx_ne_u16_e32 0x80, v68
	s_cbranch_execz .LBB214_1497
; %bb.1492:                             ;   in Loop: Header=BB214_15 Depth=1
	v_mov_b64_e32 v[10:11], 0x7f800001
	v_and_b32_e32 v117, 0x7f, v74
	s_mov_b32 s16, exec_lo
	s_delay_alu instid0(VALU_DEP_1)
	v_cmpx_ne_u32_e32 0x7f, v117
	s_cbranch_execz .LBB214_1496
; %bb.1493:                             ;   in Loop: Header=BB214_15 Depth=1
	scratch_load_b64 v[34:35], off, s32 offset:192 th:TH_LOAD_LU ; 8-byte Folded Reload
	s_wait_loadcnt 0x0
	v_dual_lshrrev_b32 v116, 3, v117 :: v_dual_bitop2_b32 v34, 7, v74 bitop3:0x40
	s_mov_b32 s17, exec_lo
	s_delay_alu instid0(VALU_DEP_1)
	v_mov_b64_e32 v[10:11], v[34:35]
	s_wait_xcnt 0x0
	v_cmpx_gt_u32_e32 8, v117
; %bb.1494:                             ;   in Loop: Header=BB214_15 Depth=1
	v_clz_i32_u32_e32 v10, v34
	s_delay_alu instid0(VALU_DEP_1) | instskip(NEXT) | instid1(VALU_DEP_1)
	v_min_u32_e32 v68, 32, v10
	v_subrev_nc_u32_e32 v10, 28, v68
	s_delay_alu instid0(VALU_DEP_1) | instskip(NEXT) | instid1(VALU_DEP_1)
	v_lshlrev_b64_e32 v[10:11], v10, v[34:35]
	v_dual_sub_nc_u32 v116, 29, v68 :: v_dual_bitop2_b32 v10, 7, v10 bitop3:0x40
; %bb.1495:                             ;   in Loop: Header=BB214_15 Depth=1
	s_or_b32 exec_lo, exec_lo, s17
	v_lshlrev_b32_e32 v11, 24, v74
	s_delay_alu instid0(VALU_DEP_2) | instskip(NEXT) | instid1(VALU_DEP_3)
	v_lshlrev_b32_e32 v10, 20, v10
	v_lshl_add_u32 v38, v116, 23, 0x3c000000
	s_delay_alu instid0(VALU_DEP_3) | instskip(NEXT) | instid1(VALU_DEP_1)
	v_and_b32_e32 v11, 0x80000000, v11
	v_or3_b32 v34, v10, v11, v38
	v_mov_b32_e32 v11, v35
	scratch_store_b64 off, v[10:11], s32 offset:192 ; 8-byte Folded Spill
	s_wait_xcnt 0x0
	v_mov_b64_e32 v[10:11], v[34:35]
.LBB214_1496:                           ;   in Loop: Header=BB214_15 Depth=1
	s_or_b32 exec_lo, exec_lo, s16
.LBB214_1497:                           ;   in Loop: Header=BB214_15 Depth=1
	s_delay_alu instid0(SALU_CYCLE_1)
	s_or_b32 exec_lo, exec_lo, s15
.LBB214_1498:                           ;   in Loop: Header=BB214_15 Depth=1
	s_delay_alu instid0(SALU_CYCLE_1) | instskip(SKIP_2) | instid1(VALU_DEP_1)
	s_or_b32 exec_lo, exec_lo, s14
	v_lshrrev_b16 v68, 8, v74
	s_mov_b32 s14, exec_lo
	v_cmpx_ne_u16_e32 0, v68
	s_cbranch_execz .LBB214_1506
; %bb.1499:                             ;   in Loop: Header=BB214_15 Depth=1
	v_mov_b64_e32 v[60:61], 0x8000000000000000
	s_mov_b32 s15, exec_lo
	v_cmpx_ne_u16_e32 0x80, v68
	s_cbranch_execz .LBB214_1505
; %bb.1500:                             ;   in Loop: Header=BB214_15 Depth=1
	v_and_b32_e32 v68, 0xffff, v68
	v_mov_b64_e32 v[60:61], 0x7f80000100000000
	s_mov_b32 s16, exec_lo
	s_delay_alu instid0(VALU_DEP_2) | instskip(NEXT) | instid1(VALU_DEP_1)
	v_and_b32_e32 v116, 0x7f, v68
	v_cmpx_ne_u32_e32 0x7f, v116
	s_cbranch_execz .LBB214_1504
; %bb.1501:                             ;   in Loop: Header=BB214_15 Depth=1
	scratch_load_b64 v[34:35], off, s32 offset:192 th:TH_LOAD_LU ; 8-byte Folded Reload
	s_wait_loadcnt 0x0
	v_and_b32_e32 v34, 7, v68
	v_lshrrev_b32_e32 v60, 3, v116
	v_cmp_gt_u32_e64 s1, 8, v116
	s_delay_alu instid0(VALU_DEP_3)
	v_mov_b64_e32 v[116:117], v[34:35]
	s_wait_xcnt 0x0
	s_and_saveexec_b32 s17, s1
; %bb.1502:                             ;   in Loop: Header=BB214_15 Depth=1
	v_clz_i32_u32_e32 v68, v34
	s_delay_alu instid0(VALU_DEP_1) | instskip(NEXT) | instid1(VALU_DEP_1)
	v_min_u32_e32 v68, 32, v68
	v_subrev_nc_u32_e32 v69, 28, v68
	v_sub_nc_u32_e32 v60, 29, v68
	s_delay_alu instid0(VALU_DEP_2) | instskip(NEXT) | instid1(VALU_DEP_1)
	v_lshlrev_b64_e32 v[116:117], v69, v[34:35]
	v_and_b32_e32 v116, 7, v116
; %bb.1503:                             ;   in Loop: Header=BB214_15 Depth=1
	s_or_b32 exec_lo, exec_lo, s17
	s_delay_alu instid0(VALU_DEP_1) | instskip(SKIP_2) | instid1(VALU_DEP_3)
	v_dual_lshlrev_b32 v38, 16, v74 :: v_dual_lshlrev_b32 v68, 20, v116
	v_lshl_add_u32 v69, v60, 23, 0x3c000000
	v_dual_mov_b32 v39, v35 :: v_dual_mov_b32 v60, v35
	v_and_b32_e32 v38, 0x80000000, v38
	s_delay_alu instid0(VALU_DEP_1)
	v_or3_b32 v61, v68, v38, v69
	scratch_store_b64 off, v[38:39], s32 offset:192 ; 8-byte Folded Spill
.LBB214_1504:                           ;   in Loop: Header=BB214_15 Depth=1
	s_wait_xcnt 0x0
	s_or_b32 exec_lo, exec_lo, s16
.LBB214_1505:                           ;   in Loop: Header=BB214_15 Depth=1
	s_delay_alu instid0(SALU_CYCLE_1)
	s_or_b32 exec_lo, exec_lo, s15
.LBB214_1506:                           ;   in Loop: Header=BB214_15 Depth=1
	s_delay_alu instid0(SALU_CYCLE_1) | instskip(SKIP_4) | instid1(VALU_DEP_3)
	s_or_b32 exec_lo, exec_lo, s14
	v_lshrrev_b32_e32 v75, 16, v74
	v_mov_b64_e32 v[122:123], 0
	v_mov_b64_e32 v[72:73], 0
	s_mov_b32 s14, exec_lo
	v_and_b32_e32 v68, 0xff, v75
	s_delay_alu instid0(VALU_DEP_1)
	v_cmpx_ne_u16_e32 0, v68
	s_cbranch_execz .LBB214_1514
; %bb.1507:                             ;   in Loop: Header=BB214_15 Depth=1
	v_mov_b64_e32 v[72:73], 0x80000000
	s_mov_b32 s15, exec_lo
	v_cmpx_ne_u16_e32 0x80, v68
	s_cbranch_execz .LBB214_1513
; %bb.1508:                             ;   in Loop: Header=BB214_15 Depth=1
	v_mov_b64_e32 v[72:73], 0x7f800001
	v_bfe_u32 v116, v74, 16, 7
	s_mov_b32 s16, exec_lo
	s_delay_alu instid0(VALU_DEP_1)
	v_cmpx_ne_u32_e32 0x7f, v116
	s_cbranch_execz .LBB214_1512
; %bb.1509:                             ;   in Loop: Header=BB214_15 Depth=1
	scratch_load_b64 v[34:35], off, s32 offset:192 th:TH_LOAD_LU ; 8-byte Folded Reload
	s_wait_loadcnt 0x0
	v_dual_lshrrev_b32 v72, 3, v116 :: v_dual_bitop2_b32 v34, 7, v75 bitop3:0x40
	v_cmp_gt_u32_e64 s1, 8, v116
	s_delay_alu instid0(VALU_DEP_2)
	v_mov_b64_e32 v[116:117], v[34:35]
	s_wait_xcnt 0x0
	s_and_saveexec_b32 s17, s1
; %bb.1510:                             ;   in Loop: Header=BB214_15 Depth=1
	v_clz_i32_u32_e32 v68, v34
	s_delay_alu instid0(VALU_DEP_1) | instskip(NEXT) | instid1(VALU_DEP_1)
	v_min_u32_e32 v68, 32, v68
	v_subrev_nc_u32_e32 v69, 28, v68
	v_sub_nc_u32_e32 v72, 29, v68
	s_delay_alu instid0(VALU_DEP_2) | instskip(NEXT) | instid1(VALU_DEP_1)
	v_lshlrev_b64_e32 v[116:117], v69, v[34:35]
	v_and_b32_e32 v116, 7, v116
; %bb.1511:                             ;   in Loop: Header=BB214_15 Depth=1
	s_or_b32 exec_lo, exec_lo, s17
	s_delay_alu instid0(VALU_DEP_1) | instskip(SKIP_2) | instid1(VALU_DEP_3)
	v_dual_lshlrev_b32 v38, 24, v75 :: v_dual_lshlrev_b32 v68, 20, v116
	v_lshl_add_u32 v69, v72, 23, 0x3c000000
	v_mov_b32_e32 v39, v35
	v_and_b32_e32 v38, 0x80000000, v38
	s_delay_alu instid0(VALU_DEP_1)
	v_or3_b32 v34, v68, v38, v69
	scratch_store_b64 off, v[38:39], s32 offset:192 ; 8-byte Folded Spill
	v_mov_b64_e32 v[72:73], v[34:35]
.LBB214_1512:                           ;   in Loop: Header=BB214_15 Depth=1
	s_wait_xcnt 0x0
	s_or_b32 exec_lo, exec_lo, s16
.LBB214_1513:                           ;   in Loop: Header=BB214_15 Depth=1
	s_delay_alu instid0(SALU_CYCLE_1)
	s_or_b32 exec_lo, exec_lo, s15
.LBB214_1514:                           ;   in Loop: Header=BB214_15 Depth=1
	s_delay_alu instid0(SALU_CYCLE_1) | instskip(NEXT) | instid1(SALU_CYCLE_1)
	s_or_b32 exec_lo, exec_lo, s14
	s_mov_b32 s14, exec_lo
	v_cmpx_lt_u32_e32 0xffffff, v74
	s_cbranch_execz .LBB214_1522
; %bb.1515:                             ;   in Loop: Header=BB214_15 Depth=1
	v_mov_b64_e32 v[122:123], 0x8000000000000000
	v_lshrrev_b32_e32 v75, 24, v74
	s_mov_b32 s15, exec_lo
	s_delay_alu instid0(VALU_DEP_1)
	v_cmpx_ne_u32_e32 0x80, v75
	s_cbranch_execz .LBB214_1521
; %bb.1516:                             ;   in Loop: Header=BB214_15 Depth=1
	v_mov_b64_e32 v[122:123], 0x7f80000100000000
	v_bfe_u32 v116, v74, 24, 7
	s_mov_b32 s16, exec_lo
	s_delay_alu instid0(VALU_DEP_1)
	v_cmpx_ne_u32_e32 0x7f, v116
	s_cbranch_execz .LBB214_1520
; %bb.1517:                             ;   in Loop: Header=BB214_15 Depth=1
	scratch_load_b64 v[34:35], off, s32 offset:192 th:TH_LOAD_LU ; 8-byte Folded Reload
	s_wait_loadcnt 0x0
	v_dual_lshrrev_b32 v74, 3, v116 :: v_dual_bitop2_b32 v34, 7, v75 bitop3:0x40
	v_cmp_gt_u32_e64 s1, 8, v116
	s_delay_alu instid0(VALU_DEP_2)
	v_mov_b64_e32 v[116:117], v[34:35]
	s_wait_xcnt 0x0
	s_and_saveexec_b32 s17, s1
; %bb.1518:                             ;   in Loop: Header=BB214_15 Depth=1
	v_clz_i32_u32_e32 v68, v34
	s_delay_alu instid0(VALU_DEP_1) | instskip(NEXT) | instid1(VALU_DEP_1)
	v_min_u32_e32 v68, 32, v68
	v_subrev_nc_u32_e32 v69, 28, v68
	v_sub_nc_u32_e32 v74, 29, v68
	s_delay_alu instid0(VALU_DEP_2) | instskip(NEXT) | instid1(VALU_DEP_1)
	v_lshlrev_b64_e32 v[116:117], v69, v[34:35]
	v_and_b32_e32 v116, 7, v116
; %bb.1519:                             ;   in Loop: Header=BB214_15 Depth=1
	s_or_b32 exec_lo, exec_lo, s17
	s_delay_alu instid0(VALU_DEP_1) | instskip(SKIP_2) | instid1(VALU_DEP_3)
	v_dual_lshlrev_b32 v38, 24, v75 :: v_dual_lshlrev_b32 v68, 20, v116
	v_lshl_add_u32 v69, v74, 23, 0x3c000000
	v_dual_mov_b32 v39, v35 :: v_dual_mov_b32 v122, v35
	v_and_b32_e32 v38, 0x80000000, v38
	s_delay_alu instid0(VALU_DEP_1)
	v_or3_b32 v123, v68, v38, v69
	scratch_store_b64 off, v[38:39], s32 offset:192 ; 8-byte Folded Spill
.LBB214_1520:                           ;   in Loop: Header=BB214_15 Depth=1
	s_wait_xcnt 0x0
	s_or_b32 exec_lo, exec_lo, s16
.LBB214_1521:                           ;   in Loop: Header=BB214_15 Depth=1
	s_delay_alu instid0(SALU_CYCLE_1)
	s_or_b32 exec_lo, exec_lo, s15
.LBB214_1522:                           ;   in Loop: Header=BB214_15 Depth=1
	s_delay_alu instid0(SALU_CYCLE_1)
	s_or_b32 exec_lo, exec_lo, s14
	flat_load_b32 v74, v[120:121] offset:5644
	v_mov_b64_e32 v[6:7], 0
	v_mov_b64_e32 v[26:27], 0
	s_mov_b32 s14, exec_lo
	s_wait_loadcnt_dscnt 0x0
	v_and_b32_e32 v68, 0xff, v74
	s_wait_xcnt 0x0
	s_delay_alu instid0(VALU_DEP_1)
	v_cmpx_ne_u16_e32 0, v68
	s_cbranch_execz .LBB214_1530
; %bb.1523:                             ;   in Loop: Header=BB214_15 Depth=1
	v_mov_b64_e32 v[26:27], 0x80000000
	s_mov_b32 s15, exec_lo
	v_cmpx_ne_u16_e32 0x80, v68
	s_cbranch_execz .LBB214_1529
; %bb.1524:                             ;   in Loop: Header=BB214_15 Depth=1
	v_mov_b64_e32 v[26:27], 0x7f800001
	v_and_b32_e32 v116, 0x7f, v74
	s_mov_b32 s16, exec_lo
	s_delay_alu instid0(VALU_DEP_1)
	v_cmpx_ne_u32_e32 0x7f, v116
	s_cbranch_execz .LBB214_1528
; %bb.1525:                             ;   in Loop: Header=BB214_15 Depth=1
	scratch_load_b64 v[26:27], off, s32 offset:192 th:TH_LOAD_LU ; 8-byte Folded Reload
	s_wait_loadcnt 0x0
	v_dual_lshrrev_b32 v75, 3, v116 :: v_dual_bitop2_b32 v26, 7, v74 bitop3:0x40
	v_cmp_gt_u32_e64 s1, 8, v116
	s_delay_alu instid0(VALU_DEP_2)
	v_mov_b64_e32 v[116:117], v[26:27]
	s_wait_xcnt 0x0
	s_and_saveexec_b32 s17, s1
; %bb.1526:                             ;   in Loop: Header=BB214_15 Depth=1
	v_clz_i32_u32_e32 v68, v26
	s_delay_alu instid0(VALU_DEP_1) | instskip(NEXT) | instid1(VALU_DEP_1)
	v_min_u32_e32 v68, 32, v68
	v_subrev_nc_u32_e32 v69, 28, v68
	v_sub_nc_u32_e32 v75, 29, v68
	s_delay_alu instid0(VALU_DEP_2) | instskip(NEXT) | instid1(VALU_DEP_1)
	v_lshlrev_b64_e32 v[116:117], v69, v[26:27]
	v_and_b32_e32 v116, 7, v116
; %bb.1527:                             ;   in Loop: Header=BB214_15 Depth=1
	s_or_b32 exec_lo, exec_lo, s17
	s_delay_alu instid0(VALU_DEP_1) | instskip(SKIP_2) | instid1(VALU_DEP_3)
	v_dual_lshlrev_b32 v38, 24, v74 :: v_dual_lshlrev_b32 v68, 20, v116
	v_lshl_add_u32 v69, v75, 23, 0x3c000000
	v_mov_b32_e32 v39, v27
	v_and_b32_e32 v38, 0x80000000, v38
	s_delay_alu instid0(VALU_DEP_1)
	v_or3_b32 v26, v68, v38, v69
	scratch_store_b64 off, v[38:39], s32 offset:192 ; 8-byte Folded Spill
.LBB214_1528:                           ;   in Loop: Header=BB214_15 Depth=1
	s_wait_xcnt 0x0
	s_or_b32 exec_lo, exec_lo, s16
.LBB214_1529:                           ;   in Loop: Header=BB214_15 Depth=1
	s_delay_alu instid0(SALU_CYCLE_1)
	s_or_b32 exec_lo, exec_lo, s15
.LBB214_1530:                           ;   in Loop: Header=BB214_15 Depth=1
	s_delay_alu instid0(SALU_CYCLE_1) | instskip(SKIP_2) | instid1(VALU_DEP_1)
	s_or_b32 exec_lo, exec_lo, s14
	v_lshrrev_b16 v68, 8, v74
	s_mov_b32 s14, exec_lo
	v_cmpx_ne_u16_e32 0, v68
	s_cbranch_execz .LBB214_1538
; %bb.1531:                             ;   in Loop: Header=BB214_15 Depth=1
	v_mov_b64_e32 v[6:7], 0x8000000000000000
	s_mov_b32 s15, exec_lo
	v_cmpx_ne_u16_e32 0x80, v68
	s_cbranch_execz .LBB214_1537
; %bb.1532:                             ;   in Loop: Header=BB214_15 Depth=1
	v_and_b32_e32 v68, 0xffff, v68
	v_mov_b64_e32 v[6:7], 0x7f80000100000000
	s_mov_b32 s16, exec_lo
	s_delay_alu instid0(VALU_DEP_2) | instskip(NEXT) | instid1(VALU_DEP_1)
	v_and_b32_e32 v116, 0x7f, v68
	v_cmpx_ne_u32_e32 0x7f, v116
	s_cbranch_execz .LBB214_1536
; %bb.1533:                             ;   in Loop: Header=BB214_15 Depth=1
	scratch_load_b64 v[34:35], off, s32 offset:192 th:TH_LOAD_LU ; 8-byte Folded Reload
	s_wait_loadcnt 0x0
	v_and_b32_e32 v34, 7, v68
	v_lshrrev_b32_e32 v75, 3, v116
	v_cmp_gt_u32_e64 s1, 8, v116
	s_delay_alu instid0(VALU_DEP_3)
	v_mov_b64_e32 v[116:117], v[34:35]
	s_wait_xcnt 0x0
	s_and_saveexec_b32 s17, s1
; %bb.1534:                             ;   in Loop: Header=BB214_15 Depth=1
	v_clz_i32_u32_e32 v68, v34
	s_delay_alu instid0(VALU_DEP_1) | instskip(NEXT) | instid1(VALU_DEP_1)
	v_min_u32_e32 v68, 32, v68
	v_subrev_nc_u32_e32 v69, 28, v68
	v_sub_nc_u32_e32 v75, 29, v68
	s_delay_alu instid0(VALU_DEP_2) | instskip(NEXT) | instid1(VALU_DEP_1)
	v_lshlrev_b64_e32 v[116:117], v69, v[34:35]
	v_and_b32_e32 v116, 7, v116
; %bb.1535:                             ;   in Loop: Header=BB214_15 Depth=1
	s_or_b32 exec_lo, exec_lo, s17
	s_delay_alu instid0(VALU_DEP_1) | instskip(SKIP_2) | instid1(VALU_DEP_3)
	v_dual_lshlrev_b32 v38, 16, v74 :: v_dual_lshlrev_b32 v68, 20, v116
	v_lshl_add_u32 v69, v75, 23, 0x3c000000
	v_dual_mov_b32 v39, v35 :: v_dual_mov_b32 v6, v35
	v_and_b32_e32 v38, 0x80000000, v38
	s_delay_alu instid0(VALU_DEP_1)
	v_or3_b32 v7, v68, v38, v69
	scratch_store_b64 off, v[38:39], s32 offset:192 ; 8-byte Folded Spill
.LBB214_1536:                           ;   in Loop: Header=BB214_15 Depth=1
	s_wait_xcnt 0x0
	s_or_b32 exec_lo, exec_lo, s16
.LBB214_1537:                           ;   in Loop: Header=BB214_15 Depth=1
	s_delay_alu instid0(SALU_CYCLE_1)
	s_or_b32 exec_lo, exec_lo, s15
.LBB214_1538:                           ;   in Loop: Header=BB214_15 Depth=1
	s_delay_alu instid0(SALU_CYCLE_1) | instskip(SKIP_4) | instid1(VALU_DEP_3)
	s_or_b32 exec_lo, exec_lo, s14
	v_lshrrev_b32_e32 v75, 16, v74
	v_mov_b64_e32 v[120:121], 0
	v_mov_b64_e32 v[88:89], 0
	s_mov_b32 s14, exec_lo
	v_and_b32_e32 v68, 0xff, v75
	s_delay_alu instid0(VALU_DEP_1)
	v_cmpx_ne_u16_e32 0, v68
	s_cbranch_execz .LBB214_1546
; %bb.1539:                             ;   in Loop: Header=BB214_15 Depth=1
	v_mov_b64_e32 v[88:89], 0x80000000
	s_mov_b32 s15, exec_lo
	v_cmpx_ne_u16_e32 0x80, v68
	s_cbranch_execz .LBB214_1545
; %bb.1540:                             ;   in Loop: Header=BB214_15 Depth=1
	v_mov_b64_e32 v[88:89], 0x7f800001
	v_bfe_u32 v116, v74, 16, 7
	s_mov_b32 s16, exec_lo
	s_delay_alu instid0(VALU_DEP_1)
	v_cmpx_ne_u32_e32 0x7f, v116
	s_cbranch_execz .LBB214_1544
; %bb.1541:                             ;   in Loop: Header=BB214_15 Depth=1
	scratch_load_b64 v[88:89], off, s32 offset:192 th:TH_LOAD_LU ; 8-byte Folded Reload
	s_wait_loadcnt 0x0
	v_dual_lshrrev_b32 v76, 3, v116 :: v_dual_bitop2_b32 v88, 7, v75 bitop3:0x40
	v_cmp_gt_u32_e64 s1, 8, v116
	s_delay_alu instid0(VALU_DEP_2)
	v_mov_b64_e32 v[116:117], v[88:89]
	s_wait_xcnt 0x0
	s_and_saveexec_b32 s17, s1
; %bb.1542:                             ;   in Loop: Header=BB214_15 Depth=1
	v_clz_i32_u32_e32 v68, v88
	s_delay_alu instid0(VALU_DEP_1) | instskip(NEXT) | instid1(VALU_DEP_1)
	v_min_u32_e32 v68, 32, v68
	v_subrev_nc_u32_e32 v69, 28, v68
	v_sub_nc_u32_e32 v76, 29, v68
	s_delay_alu instid0(VALU_DEP_2) | instskip(NEXT) | instid1(VALU_DEP_1)
	v_lshlrev_b64_e32 v[116:117], v69, v[88:89]
	v_and_b32_e32 v116, 7, v116
; %bb.1543:                             ;   in Loop: Header=BB214_15 Depth=1
	s_or_b32 exec_lo, exec_lo, s17
	s_delay_alu instid0(VALU_DEP_1) | instskip(SKIP_2) | instid1(VALU_DEP_3)
	v_dual_lshlrev_b32 v38, 24, v75 :: v_dual_lshlrev_b32 v68, 20, v116
	v_lshl_add_u32 v69, v76, 23, 0x3c000000
	v_mov_b32_e32 v35, v89
	v_and_b32_e32 v38, 0x80000000, v38
	scratch_store_b64 off, v[34:35], s32 offset:192 ; 8-byte Folded Spill
	v_or3_b32 v88, v68, v38, v69
.LBB214_1544:                           ;   in Loop: Header=BB214_15 Depth=1
	s_wait_xcnt 0x0
	s_or_b32 exec_lo, exec_lo, s16
.LBB214_1545:                           ;   in Loop: Header=BB214_15 Depth=1
	s_delay_alu instid0(SALU_CYCLE_1)
	s_or_b32 exec_lo, exec_lo, s15
.LBB214_1546:                           ;   in Loop: Header=BB214_15 Depth=1
	s_delay_alu instid0(SALU_CYCLE_1) | instskip(NEXT) | instid1(SALU_CYCLE_1)
	s_or_b32 exec_lo, exec_lo, s14
	s_mov_b32 s14, exec_lo
	s_clause 0x1
	scratch_store_b32 off, v41, s32 offset:1372
	scratch_store_b32 off, v40, s32 offset:1360
	s_wait_xcnt 0x0
	v_cmpx_lt_u32_e32 0xffffff, v74
	s_cbranch_execz .LBB214_13
; %bb.1547:                             ;   in Loop: Header=BB214_15 Depth=1
	v_mov_b64_e32 v[120:121], 0x8000000000000000
	v_lshrrev_b32_e32 v75, 24, v74
	s_mov_b32 s15, exec_lo
	s_delay_alu instid0(VALU_DEP_1)
	v_cmpx_ne_u32_e32 0x80, v75
	s_cbranch_execz .LBB214_12
; %bb.1548:                             ;   in Loop: Header=BB214_15 Depth=1
	v_mov_b64_e32 v[120:121], 0x7f80000100000000
	v_bfe_u32 v116, v74, 24, 7
	s_mov_b32 s16, exec_lo
	s_delay_alu instid0(VALU_DEP_1)
	v_cmpx_ne_u32_e32 0x7f, v116
	s_cbranch_execz .LBB214_11
; %bb.1549:                             ;   in Loop: Header=BB214_15 Depth=1
	scratch_load_b64 v[34:35], off, s32 offset:192 th:TH_LOAD_LU ; 8-byte Folded Reload
	s_wait_loadcnt 0x0
	v_dual_lshrrev_b32 v74, 3, v116 :: v_dual_bitop2_b32 v34, 7, v75 bitop3:0x40
	v_cmp_gt_u32_e64 s1, 8, v116
	s_delay_alu instid0(VALU_DEP_2)
	v_mov_b64_e32 v[116:117], v[34:35]
	s_wait_xcnt 0x0
	s_and_saveexec_b32 s17, s1
	s_cbranch_execz .LBB214_10
; %bb.1550:                             ;   in Loop: Header=BB214_15 Depth=1
	v_clz_i32_u32_e32 v68, v34
	s_delay_alu instid0(VALU_DEP_1) | instskip(NEXT) | instid1(VALU_DEP_1)
	v_min_u32_e32 v68, 32, v68
	v_subrev_nc_u32_e32 v69, 28, v68
	v_sub_nc_u32_e32 v74, 29, v68
	s_delay_alu instid0(VALU_DEP_2) | instskip(NEXT) | instid1(VALU_DEP_1)
	v_lshlrev_b64_e32 v[116:117], v69, v[34:35]
	v_and_b32_e32 v116, 7, v116
	s_branch .LBB214_10
.LBB214_1551:
	s_or_b32 exec_lo, exec_lo, s9
	s_clause 0x4
	scratch_load_b32 v26, off, s32 offset:2436
	scratch_load_b64 v[34:35], off, s32 offset:2440
	scratch_load_b64 v[30:31], off, s32 offset:2448
	scratch_load_b32 v27, off, s32 offset:2456
	scratch_load_b32 v11, off, s32 offset:2460
.LBB214_1552:
	s_wait_xcnt 0x0
	s_or_b32 exec_lo, exec_lo, s3
	v_mbcnt_lo_u32_b32 v2, -1, 0
	s_delay_alu instid0(VALU_DEP_1) | instskip(SKIP_1) | instid1(VALU_DEP_2)
	v_dual_max_num_f32 v4, v40, v40 :: v_dual_bitop2_b32 v0, 16, v2 bitop3:0x14
	v_xor_b32_e32 v3, 8, v2
	v_cmp_gt_i32_e32 vcc_lo, 32, v0
	v_cndmask_b32_e32 v0, v2, v0, vcc_lo
	s_delay_alu instid0(VALU_DEP_3) | instskip(NEXT) | instid1(VALU_DEP_2)
	v_cmp_gt_i32_e32 vcc_lo, 32, v3
	v_dual_cndmask_b32 v3, v2, v3 :: v_dual_lshlrev_b32 v0, 2, v0
	ds_bpermute_b32 v1, v0, v40
	s_wait_dscnt 0x0
	v_dual_max_num_f32 v5, v1, v1 :: v_dual_lshlrev_b32 v1, 2, v3
	s_delay_alu instid0(VALU_DEP_1) | instskip(SKIP_4) | instid1(VALU_DEP_1)
	v_dual_max_num_f32 v3, v4, v5 :: v_dual_bitop2_b32 v5, 4, v2 bitop3:0x14
	ds_bpermute_b32 v4, v1, v3
	v_cmp_gt_i32_e32 vcc_lo, 32, v5
	s_wait_dscnt 0x0
	v_dual_cndmask_b32 v5, v2, v5 :: v_dual_max_num_f32 v4, v4, v4
	v_dual_lshlrev_b32 v85, 2, v5 :: v_dual_max_num_f32 v3, v3, v4
	ds_bpermute_b32 v4, v85, v3
	s_wait_dscnt 0x0
	v_dual_max_num_f32 v4, v4, v4 :: v_dual_bitop2_b32 v5, 2, v2 bitop3:0x14
	s_delay_alu instid0(VALU_DEP_1) | instskip(NEXT) | instid1(VALU_DEP_2)
	v_cmp_gt_i32_e32 vcc_lo, 32, v5
	v_dual_max_num_f32 v3, v3, v4 :: v_dual_cndmask_b32 v5, v2, v5, vcc_lo
	s_delay_alu instid0(VALU_DEP_1) | instskip(SKIP_4) | instid1(VALU_DEP_1)
	v_dual_lshlrev_b32 v24, 2, v5 :: v_dual_bitop2_b32 v5, 1, v2 bitop3:0x14
	ds_bpermute_b32 v4, v24, v3
	v_cmp_gt_i32_e32 vcc_lo, 32, v5
	v_cndmask_b32_e32 v5, v2, v5, vcc_lo
	s_wait_dscnt 0x0
	v_dual_max_num_f32 v4, v4, v4 :: v_dual_lshlrev_b32 v25, 2, v5
	s_delay_alu instid0(VALU_DEP_1)
	v_max_num_f32_e32 v2, v3, v4
	scratch_load_b32 v3, off, s32 offset:1592 ; 4-byte Folded Reload
	ds_bpermute_b32 v4, v25, v2
	s_wait_loadcnt 0x0
	v_cmp_eq_u32_e32 vcc_lo, 0, v3
	scratch_load_b32 v3, off, s32 offset:2404 ; 4-byte Folded Reload
	s_wait_loadcnt 0x0
	v_lshlrev_b32_e32 v3, 2, v3
	s_wait_xcnt 0x0
	s_and_saveexec_b32 s1, vcc_lo
	s_cbranch_execz .LBB214_1554
; %bb.1553:
	s_wait_dscnt 0x0
	v_dual_max_num_f32 v4, v4, v4 :: v_dual_max_num_f32 v2, v2, v2
	s_delay_alu instid0(VALU_DEP_1)
	v_max_num_f32_e32 v2, v2, v4
	ds_store_b32 v3, v2 offset:768
.LBB214_1554:
	s_or_b32 exec_lo, exec_lo, s1
	scratch_load_b32 v2, off, s32 offset:1592 ; 4-byte Folded Reload
	s_wait_storecnt 0x0
	s_wait_loadcnt_dscnt 0x0
	s_barrier_signal -1
	s_barrier_wait -1
	v_cmp_gt_u32_e64 s1, 4, v2
	v_mov_b32_e32 v2, 0xff7fffff
	s_and_saveexec_b32 s2, s1
; %bb.1555:
	ds_load_b32 v2, v11 offset:768
; %bb.1556:
	s_or_b32 exec_lo, exec_lo, s2
	s_wait_dscnt 0x0
	ds_bpermute_b32 v4, v24, v2
	v_max_num_f32_e32 v2, v2, v2
	scratch_load_b64 v[6:7], off, s32 offset:200 ; 8-byte Folded Reload
	s_wait_dscnt 0x0
	v_max_num_f32_e32 v4, v4, v4
	s_delay_alu instid0(VALU_DEP_1) | instskip(SKIP_3) | instid1(VALU_DEP_1)
	v_max_num_f32_e32 v2, v2, v4
	ds_bpermute_b32 v4, v25, v2
	s_wait_dscnt 0x0
	v_max_num_f32_e32 v4, v4, v4
	v_dual_max_num_f32 v2, v2, v4 :: v_dual_mov_b32 v4, 0
	ds_bpermute_b32 v5, v4, v2
	scratch_load_b32 v2, off, s32 offset:208 ; 4-byte Folded Reload
	s_wait_loadcnt 0x0
	v_lshlrev_b32_e32 v2, 5, v2
	s_delay_alu instid0(VALU_DEP_1)
	v_min_i32_e32 v2, v2, v6
	scratch_load_b32 v6, off, s32 offset:1596 ; 4-byte Folded Reload
	s_wait_loadcnt 0x0
	v_cmp_lt_i32_e64 s2, v6, v2
	s_wait_kmcnt 0x0
	s_and_saveexec_b32 s8, s2
	s_cbranch_execz .LBB214_1560
; %bb.1557:
	scratch_load_b32 v7, off, s32 offset:1596 ; 4-byte Folded Reload
	s_load_b32 s3, s[6:7], 0x0
	v_mov_b32_e32 v4, 0
	s_mov_b32 s9, 0
	s_wait_loadcnt 0x0
	s_wait_kmcnt 0x0
	v_lshl_add_u32 v6, v7, 2, s3
.LBB214_1558:                           ; =>This Inner Loop Header: Depth=1
	ds_load_b32 v8, v6
	v_add_nc_u32_e32 v7, 0x80, v7
	s_delay_alu instid0(VALU_DEP_1) | instskip(SKIP_3) | instid1(VALU_DEP_1)
	v_cmp_ge_i32_e64 s3, v7, v2
	s_or_b32 s9, s3, s9
	s_wait_dscnt 0x0
	v_sub_f32_e32 v8, v8, v5
	v_mul_f32_e32 v8, 0x3fb8aa3b, v8
	s_delay_alu instid0(VALU_DEP_1)
	v_exp_f32_e32 v8, v8
	ds_store_b32 v6, v8
	v_nop
	v_add_f32_e32 v4, v4, v8
	v_add_nc_u32_e32 v6, 0x200, v6
	s_and_not1_b32 exec_lo, exec_lo, s9
	s_cbranch_execnz .LBB214_1558
; %bb.1559:
	s_or_b32 exec_lo, exec_lo, s9
.LBB214_1560:
	s_delay_alu instid0(SALU_CYCLE_1)
	s_or_b32 exec_lo, exec_lo, s8
	ds_bpermute_b32 v0, v0, v4
	s_wait_dscnt 0x0
	v_add_f32_e32 v0, v4, v0
	ds_bpermute_b32 v1, v1, v0
	s_wait_dscnt 0x0
	v_add_f32_e32 v0, v0, v1
	;; [unrolled: 3-line block ×5, first 2 shown]
	s_and_saveexec_b32 s3, vcc_lo
; %bb.1561:
	ds_store_b32 v3, v0 offset:784
; %bb.1562:
	s_or_b32 exec_lo, exec_lo, s3
	s_wait_dscnt 0x0
	s_barrier_signal -1
	s_barrier_wait -1
	s_and_saveexec_b32 s3, s1
; %bb.1563:
	ds_load_b32 v0, v11 offset:784
; %bb.1564:
	s_or_b32 exec_lo, exec_lo, s3
	s_wait_dscnt 0x0
	ds_bpermute_b32 v1, v24, v0
	s_wait_dscnt 0x0
	v_dual_mov_b32 v101, 0 :: v_dual_add_f32 v0, v0, v1
	ds_bpermute_b32 v1, v25, v0
	s_wait_dscnt 0x0
	v_add_f32_e32 v0, v0, v1
	ds_bpermute_b32 v0, v101, v0
	s_and_saveexec_b32 s1, s2
	s_cbranch_execz .LBB214_1577
; %bb.1565:
	s_wait_dscnt 0x0
	v_add_f32_e32 v0, 0x358637bd, v0
	s_mov_b32 s3, -1
	s_mov_b32 s2, exec_lo
	s_delay_alu instid0(VALU_DEP_1) | instskip(SKIP_1) | instid1(VALU_DEP_2)
	v_div_scale_f32 v1, null, v0, v0, 1.0
	v_div_scale_f32 v5, vcc_lo, 1.0, v0, 1.0
	v_rcp_f32_e32 v4, v1
	v_nop
	s_delay_alu instid0(TRANS32_DEP_1) | instskip(NEXT) | instid1(VALU_DEP_1)
	v_fma_f32 v3, -v1, v4, 1.0
	v_fmac_f32_e32 v4, v3, v4
	s_delay_alu instid0(VALU_DEP_1) | instskip(NEXT) | instid1(VALU_DEP_1)
	v_mul_f32_e32 v6, v5, v4
	v_fma_f32 v3, -v1, v6, v5
	s_delay_alu instid0(VALU_DEP_1) | instskip(NEXT) | instid1(VALU_DEP_1)
	v_fmac_f32_e32 v6, v3, v4
	v_fma_f32 v1, -v1, v6, v5
	scratch_load_b32 v5, off, s32 offset:1596 ; 4-byte Folded Reload
	v_div_fmas_f32 v1, v1, v4, v6
	s_delay_alu instid0(VALU_DEP_1) | instskip(SKIP_3) | instid1(VALU_DEP_2)
	v_div_fixup_f32 v0, v1, v0, 1.0
	s_wait_loadcnt 0x0
	v_xad_u32 v3, v5, -1, v2
	v_mov_b32_e32 v1, v5
	v_cmpx_lt_u32_e32 0x7f, v3
	s_cbranch_execz .LBB214_1574
; %bb.1566:
	v_dual_lshrrev_b32 v3, 7, v3 :: v_dual_mov_b32 v1, v0
	s_delay_alu instid0(VALU_DEP_1) | instskip(NEXT) | instid1(VALU_DEP_1)
	v_dual_mov_b32 v7, 0 :: v_dual_add_nc_u32 v4, -1, v3
	v_lshrrev_b32_e32 v5, 1, v4
	v_cmp_lt_u32_e32 vcc_lo, 13, v4
	s_delay_alu instid0(VALU_DEP_2)
	v_add_nc_u32_e32 v4, 1, v5
	s_and_saveexec_b32 s3, vcc_lo
	s_cbranch_execz .LBB214_1570
; %bb.1567:
	scratch_load_b32 v6, off, s32 offset:1596 ; 4-byte Folded Reload
	s_load_b32 s8, s[6:7], 0x0
	v_and_b32_e32 v5, -8, v4
	s_mov_b32 s9, 0
	s_wait_loadcnt 0x0
	s_wait_kmcnt 0x0
	v_lshl_add_u32 v6, v6, 2, s8
	s_mov_b32 s8, 0
.LBB214_1568:                           ; =>This Inner Loop Header: Depth=1
	ds_load_2addr_stride64_b32 v[8:9], v6 offset1:2
	ds_load_2addr_stride64_b32 v[10:11], v6 offset0:4 offset1:6
	ds_load_2addr_stride64_b32 v[12:13], v6 offset0:8 offset1:10
	ds_load_2addr_stride64_b32 v[14:15], v6 offset0:12 offset1:14
	ds_load_2addr_stride64_b32 v[16:17], v6 offset0:16 offset1:18
	ds_load_2addr_stride64_b32 v[18:19], v6 offset0:20 offset1:22
	ds_load_2addr_stride64_b32 v[20:21], v6 offset0:24 offset1:26
	ds_load_2addr_stride64_b32 v[22:23], v6 offset0:28 offset1:30
	s_add_co_i32 s9, s9, 16
	s_delay_alu instid0(SALU_CYCLE_1) | instskip(NEXT) | instid1(VALU_DEP_1)
	v_dual_add_nc_u32 v5, -8, v5 :: v_dual_mov_b32 v7, s9
	v_cmp_eq_u32_e32 vcc_lo, 0, v5
	s_or_b32 s8, vcc_lo, s8
	s_wait_dscnt 0x7
	v_pk_mul_f32 v[8:9], v[0:1], v[8:9]
	s_wait_dscnt 0x6
	v_pk_mul_f32 v[10:11], v[0:1], v[10:11]
	;; [unrolled: 2-line block ×8, first 2 shown]
	ds_store_2addr_stride64_b32 v6, v8, v9 offset1:2
	ds_store_2addr_stride64_b32 v6, v10, v11 offset0:4 offset1:6
	ds_store_2addr_stride64_b32 v6, v12, v13 offset0:8 offset1:10
	;; [unrolled: 1-line block ×7, first 2 shown]
	v_add_nc_u32_e32 v6, 0x2000, v6
	s_and_not1_b32 exec_lo, exec_lo, s8
	s_cbranch_execnz .LBB214_1568
; %bb.1569:
	s_or_b32 exec_lo, exec_lo, s8
.LBB214_1570:
	s_delay_alu instid0(SALU_CYCLE_1) | instskip(NEXT) | instid1(VALU_DEP_1)
	s_or_b32 exec_lo, exec_lo, s3
	v_and_b32_e32 v4, 7, v4
	s_mov_b32 s8, 0
	s_mov_b32 s3, exec_lo
	s_delay_alu instid0(VALU_DEP_1)
	v_cmpx_ne_u32_e32 0, v4
	s_cbranch_execz .LBB214_1573
; %bb.1571:
	scratch_load_b32 v6, off, s32 offset:1596 ; 4-byte Folded Reload
	s_load_b32 s9, s[6:7], 0x0
	s_wait_loadcnt 0x0
	v_dual_lshlrev_b32 v5, 9, v7 :: v_dual_lshlrev_b32 v6, 2, v6
	s_wait_kmcnt 0x0
	s_delay_alu instid0(VALU_DEP_1)
	v_add3_u32 v5, v5, v6, s9
.LBB214_1572:                           ; =>This Inner Loop Header: Depth=1
	ds_load_2addr_stride64_b32 v[6:7], v5 offset1:2
	v_add_nc_u32_e32 v4, -1, v4
	s_delay_alu instid0(VALU_DEP_1)
	v_cmp_eq_u32_e32 vcc_lo, 0, v4
	s_or_b32 s8, vcc_lo, s8
	s_wait_dscnt 0x0
	v_pk_mul_f32 v[6:7], v[0:1], v[6:7]
	ds_store_2addr_stride64_b32 v5, v6, v7 offset1:2
	v_add_nc_u32_e32 v5, 0x400, v5
	s_and_not1_b32 exec_lo, exec_lo, s8
	s_cbranch_execnz .LBB214_1572
.LBB214_1573:
	s_or_b32 exec_lo, exec_lo, s3
	v_add_nc_u32_e32 v1, 1, v3
	s_delay_alu instid0(VALU_DEP_1) | instskip(NEXT) | instid1(VALU_DEP_1)
	v_and_b32_e32 v3, 0x3fffffe, v1
	v_cmp_ne_u32_e32 vcc_lo, v1, v3
	scratch_load_b32 v1, off, s32 offset:1596 ; 4-byte Folded Reload
	s_or_not1_b32 s3, vcc_lo, exec_lo
	s_wait_loadcnt 0x0
	v_lshl_add_u32 v1, v3, 7, v1
.LBB214_1574:
	s_or_b32 exec_lo, exec_lo, s2
	s_delay_alu instid0(SALU_CYCLE_1)
	s_and_b32 exec_lo, exec_lo, s3
	s_cbranch_execz .LBB214_1577
; %bb.1575:
	s_load_b32 s2, s[6:7], 0x0
	s_wait_kmcnt 0x0
	v_lshl_add_u32 v3, v1, 2, s2
	s_mov_b32 s2, 0
.LBB214_1576:                           ; =>This Inner Loop Header: Depth=1
	ds_load_b32 v4, v3
	s_wait_dscnt 0x0
	v_dual_mul_f32 v4, v0, v4 :: v_dual_add_nc_u32 v1, 0x80, v1
	s_delay_alu instid0(VALU_DEP_1) | instskip(SKIP_3) | instid1(SALU_CYCLE_1)
	v_cmp_ge_i32_e32 vcc_lo, v1, v2
	ds_store_b32 v3, v4
	v_add_nc_u32_e32 v3, 0x200, v3
	s_or_b32 s2, vcc_lo, s2
	s_and_not1_b32 exec_lo, exec_lo, s2
	s_cbranch_execnz .LBB214_1576
.LBB214_1577:
	s_or_b32 exec_lo, exec_lo, s1
	s_wait_dscnt 0x0
	scratch_load_b32 v0, off, s32 offset:1596 ; 4-byte Folded Reload
	v_dual_mov_b32 v1, 0 :: v_dual_mov_b32 v13, 0
	v_dual_mov_b32 v12, 0 :: v_dual_mov_b32 v15, 0
	;; [unrolled: 1-line block ×9, first 2 shown]
	s_wait_loadcnt 0x0
	v_and_b32_e32 v0, 7, v0
	scratch_store_b32 off, v0, s32 offset:828 ; 4-byte Folded Spill
	s_wait_xcnt 0x0
	v_mov_b32_e32 v0, 0
	scratch_store_b64 off, v[0:1], s32 offset:588 ; 8-byte Folded Spill
	s_wait_xcnt 0x0
	v_dual_mov_b32 v1, 0 :: v_dual_mov_b32 v0, 0
	scratch_store_b64 off, v[0:1], s32 offset:596 ; 8-byte Folded Spill
	s_wait_xcnt 0x0
	v_dual_mov_b32 v1, 0 :: v_dual_mov_b32 v0, 0
	scratch_store_b64 off, v[0:1], s32 offset:604 ; 8-byte Folded Spill
	s_wait_xcnt 0x0
	v_dual_mov_b32 v1, 0 :: v_dual_mov_b32 v0, 0
	scratch_store_b64 off, v[0:1], s32 offset:612 ; 8-byte Folded Spill
	s_wait_xcnt 0x0
	v_dual_mov_b32 v1, 0 :: v_dual_mov_b32 v0, 0
	scratch_store_b64 off, v[0:1], s32 offset:620 ; 8-byte Folded Spill
	s_wait_xcnt 0x0
	v_dual_mov_b32 v1, 0 :: v_dual_mov_b32 v0, 0
	scratch_store_b64 off, v[0:1], s32 offset:628 ; 8-byte Folded Spill
	s_wait_xcnt 0x0
	v_dual_mov_b32 v1, 0 :: v_dual_mov_b32 v0, 0
	scratch_store_b64 off, v[0:1], s32 offset:636 ; 8-byte Folded Spill
	s_wait_xcnt 0x0
	v_dual_mov_b32 v1, 0 :: v_dual_mov_b32 v0, 0
	scratch_store_b64 off, v[0:1], s32 offset:644 ; 8-byte Folded Spill
	s_wait_xcnt 0x0
	v_dual_mov_b32 v1, 0 :: v_dual_mov_b32 v0, 0
	scratch_store_b64 off, v[0:1], s32 offset:652 ; 8-byte Folded Spill
	s_wait_xcnt 0x0
	v_dual_mov_b32 v1, 0 :: v_dual_mov_b32 v0, 0
	scratch_store_b64 off, v[0:1], s32 offset:660 ; 8-byte Folded Spill
	s_wait_xcnt 0x0
	v_dual_mov_b32 v1, 0 :: v_dual_mov_b32 v0, 0
	scratch_store_b64 off, v[0:1], s32 offset:668 ; 8-byte Folded Spill
	s_wait_xcnt 0x0
	v_dual_mov_b32 v1, 0 :: v_dual_mov_b32 v0, 0
	scratch_store_b64 off, v[0:1], s32 offset:676 ; 8-byte Folded Spill
	s_wait_xcnt 0x0
	v_dual_mov_b32 v1, 0 :: v_dual_mov_b32 v0, 0
	scratch_store_b64 off, v[0:1], s32 offset:684 ; 8-byte Folded Spill
	s_wait_xcnt 0x0
	v_dual_mov_b32 v1, 0 :: v_dual_mov_b32 v0, 0
	scratch_store_b64 off, v[0:1], s32 offset:692 ; 8-byte Folded Spill
	s_wait_xcnt 0x0
	v_dual_mov_b32 v1, 0 :: v_dual_mov_b32 v0, 0
	s_wait_storecnt 0x0
	s_barrier_signal -1
	s_barrier_wait -1
	s_and_saveexec_b32 s1, s0
	s_cbranch_execz .LBB214_3215
; %bb.1578:
	s_clause 0x3
	scratch_store_b32 off, v85, s32 offset:852
	scratch_store_b32 off, v24, s32 offset:844
	;; [unrolled: 1-line block ×3, first 2 shown]
	scratch_load_b32 v0, off, s32 offset:1596
	v_dual_mov_b32 v4, 0 :: v_dual_mov_b32 v5, 0
	v_dual_mov_b32 v8, 0 :: v_dual_max_i32 v26, v26, v27
	v_dual_mov_b32 v9, 0 :: v_dual_mov_b32 v13, 0
	scratch_store_b64 off, v[4:5], s32 offset:748 ; 8-byte Folded Spill
	s_wait_xcnt 0x0
	v_dual_mov_b32 v4, 0 :: v_dual_mov_b32 v5, 0
	v_dual_mov_b32 v15, 0 :: v_dual_mov_b32 v12, 0
	s_mov_b32 s2, 0
	s_clause 0x1
	scratch_load_b32 v6, off, s32 offset:2404
	scratch_store_b64 off, v[4:5], s32 offset:756
	s_wait_xcnt 0x0
	v_dual_mov_b32 v4, 0 :: v_dual_mov_b32 v5, 0
	v_mov_b32_e32 v14, 0
	scratch_store_b64 off, v[4:5], s32 offset:740 ; 8-byte Folded Spill
	s_wait_xcnt 0x0
	v_dual_mov_b32 v4, 0 :: v_dual_mov_b32 v5, 0
	scratch_store_b64 off, v[4:5], s32 offset:732 ; 8-byte Folded Spill
	s_wait_xcnt 0x0
	v_dual_mov_b32 v4, 0 :: v_dual_mov_b32 v5, 0
	scratch_store_b64 off, v[4:5], s32 offset:724 ; 8-byte Folded Spill
	s_wait_loadcnt 0x1
	v_lshlrev_b32_e32 v2, 2, v0
	v_add_nc_u64_e32 v[0:1], v[34:35], v[30:31]
	s_delay_alu instid0(VALU_DEP_2)
	v_or_b32_e32 v10, 0xf80, v2
	s_clause 0x1
	scratch_store_b64 off, v[0:1], s32 offset:788
	scratch_load_b64 v[0:1], off, s32 offset:200
	s_wait_loadcnt 0x1
	v_dual_mov_b32 v25, 0 :: v_dual_mov_b32 v27, v6
	s_wait_loadcnt 0x0
	s_delay_alu instid0(VALU_DEP_1)
	v_dual_mov_b32 v1, v0 :: v_dual_mov_b32 v11, v25
	v_mov_b32_e32 v7, v25
	s_clause 0x1
	scratch_store_b64 off, v[0:1], s32 offset:820
	scratch_load_b32 v1, off, s32 offset:828
	v_cvt_f32_u32_e32 v0, v26
	s_delay_alu instid0(VALU_DEP_1) | instskip(SKIP_2) | instid1(TRANS32_DEP_1)
	v_rcp_iflag_f32_e32 v0, v0
	s_wait_loadcnt 0x0
	v_nop
	v_dual_mul_f32 v0, 0x4f7ffffe, v0 :: v_dual_lshlrev_b32 v3, 4, v1
	scratch_load_b32 v1, off, s32 offset:2424 th:TH_LOAD_LU ; 4-byte Folded Reload
	v_lshl_or_b32 v28, v6, 7, v3
	s_wait_loadcnt 0x0
	v_and_b32_e32 v24, 0x7c, v1
	v_sub_nc_u32_e32 v1, 0, v26
	v_cvt_u32_f32_e32 v4, v0
	s_delay_alu instid0(VALU_DEP_1) | instskip(SKIP_1) | instid1(VALU_DEP_2)
	v_mul_lo_u32 v0, v1, v4
	v_mov_b32_e32 v1, v25
	v_mul_hi_u32 v5, v4, v0
	v_and_b32_e32 v0, 28, v2
	scratch_store_b32 off, v0, s32 offset:796 ; 4-byte Folded Spill
	s_wait_xcnt 0x0
	v_and_b32_e32 v0, 0x7c, v2
	scratch_load_b64 v[2:3], off, s32 offset:2408 th:TH_LOAD_LU ; 8-byte Folded Reload
	v_add_nc_u32_e32 v6, v4, v5
	s_clause 0x1
	scratch_store_b64 off, v[0:1], s32 offset:804
	scratch_load_b64 v[0:1], off, s32 offset:2416 th:TH_LOAD_LU
	s_wait_loadcnt 0x0
	v_lshl_add_u64 v[0:1], v[0:1], 2, v[24:25]
	s_delay_alu instid0(VALU_DEP_1)
	v_add_nc_u64_e32 v[100:101], v[2:3], v[0:1]
	scratch_load_b64 v[2:3], off, s32 offset:212 ; 8-byte Folded Reload
	v_dual_mov_b32 v0, 0 :: v_dual_mov_b32 v1, 0
	s_clause 0x1
	scratch_store_b64 off, v[10:11], s32 offset:812
	scratch_store_b64 off, v[0:1], s32 offset:644
	s_wait_xcnt 0x0
	v_dual_mov_b32 v0, 0 :: v_dual_mov_b32 v1, 0
	s_clause 0x1
	scratch_store_b64 off, v[6:7], s32 offset:764
	scratch_store_b64 off, v[0:1], s32 offset:636
	s_wait_xcnt 0x0
	v_dual_mov_b32 v0, 0 :: v_dual_mov_b32 v1, 0
	scratch_store_b64 off, v[8:9], s32 offset:692 ; 8-byte Folded Spill
	s_wait_xcnt 0x0
	v_dual_mov_b32 v8, 0 :: v_dual_mov_b32 v9, 0
	scratch_store_b64 off, v[0:1], s32 offset:628 ; 8-byte Folded Spill
	;; [unrolled: 3-line block ×13, first 2 shown]
	s_wait_xcnt 0x0
	v_dual_mov_b32 v8, 0 :: v_dual_mov_b32 v9, 0
	s_clause 0x1
	scratch_store_b64 off, v[0:1], s32 offset:700
	scratch_store_b64 off, v[8:9], s32 offset:652
	s_branch .LBB214_1581
.LBB214_1579:                           ;   in Loop: Header=BB214_1581 Depth=1
	s_wait_xcnt 0x0
	s_or_b32 exec_lo, exec_lo, s8
	v_dual_mul_f32 v9, v3, v9 :: v_dual_mul_f32 v23, v3, v23
	v_mul_f32_e32 v13, v3, v13
	v_pk_mul_f32 v[0:1], v[4:5], v[0:1]
	s_delay_alu instid0(VALU_DEP_3) | instskip(NEXT) | instid1(VALU_DEP_4)
	v_dual_mul_f32 v24, v3, v79 :: v_dual_fmac_f32 v9, v2, v8
	v_dual_mul_f32 v8, v3, v99 :: v_dual_fmac_f32 v23, v2, v22
	s_delay_alu instid0(VALU_DEP_4) | instskip(NEXT) | instid1(VALU_DEP_3)
	v_dual_fmac_f32 v13, v2, v12 :: v_dual_mul_f32 v12, v3, v127
	v_fmac_f32_e32 v24, v2, v78
	s_delay_alu instid0(VALU_DEP_3) | instskip(NEXT) | instid1(VALU_DEP_3)
	v_dual_fmac_f32 v8, v2, v98 :: v_dual_fmac_f32 v23, v4, v20
	v_dual_fmac_f32 v13, v4, v10 :: v_dual_mul_f32 v10, v3, v97
	s_delay_alu instid0(VALU_DEP_4) | instskip(NEXT) | instid1(VALU_DEP_3)
	v_fmac_f32_e32 v12, v2, v126
	v_fmac_f32_e32 v8, v4, v14
	s_delay_alu instid0(VALU_DEP_4) | instskip(NEXT) | instid1(VALU_DEP_4)
	v_dual_fmac_f32 v9, v4, v58 :: v_dual_fmac_f32 v23, v5, v21
	v_dual_fmac_f32 v13, v5, v11 :: v_dual_fmac_f32 v10, v2, v96
	s_delay_alu instid0(VALU_DEP_3) | instskip(NEXT) | instid1(VALU_DEP_3)
	v_fmac_f32_e32 v8, v5, v15
	v_dual_fmac_f32 v9, v5, v59 :: v_dual_mul_f32 v11, v3, v85
	v_dual_mul_f32 v14, v3, v123 :: v_dual_fmac_f32 v12, v4, v124
	s_delay_alu instid0(VALU_DEP_4) | instskip(NEXT) | instid1(VALU_DEP_2)
	v_dual_fmac_f32 v10, v4, v86 :: v_dual_mul_f32 v15, v3, v111
	v_dual_fmac_f32 v11, v2, v84 :: v_dual_fmac_f32 v14, v2, v122
	s_delay_alu instid0(VALU_DEP_2) | instskip(NEXT) | instid1(VALU_DEP_3)
	v_dual_fmac_f32 v12, v5, v125 :: v_dual_fmac_f32 v10, v5, v87
	v_fmac_f32_e32 v15, v2, v110
	s_delay_alu instid0(VALU_DEP_3) | instskip(NEXT) | instid1(VALU_DEP_4)
	v_fmac_f32_e32 v11, v4, v80
	v_dual_fmac_f32 v14, v4, v120 :: v_dual_mul_f32 v20, v3, v107
	s_delay_alu instid0(VALU_DEP_3) | instskip(NEXT) | instid1(VALU_DEP_3)
	v_dual_mul_f32 v21, v3, v95 :: v_dual_fmac_f32 v15, v4, v108
	v_fmac_f32_e32 v11, v5, v81
	s_delay_alu instid0(VALU_DEP_3) | instskip(NEXT) | instid1(VALU_DEP_3)
	v_dual_fmac_f32 v14, v5, v121 :: v_dual_fmac_f32 v20, v2, v106
	v_dual_fmac_f32 v21, v2, v94 :: v_dual_fmac_f32 v15, v5, v109
	v_mul_f32_e32 v22, v3, v91
	v_dual_mul_f32 v29, v3, v75 :: v_dual_fmac_f32 v24, v4, v76
	s_delay_alu instid0(VALU_DEP_4) | instskip(NEXT) | instid1(VALU_DEP_3)
	v_fmac_f32_e32 v20, v4, v104
	v_dual_fmac_f32 v21, v4, v92 :: v_dual_fmac_f32 v22, v2, v90
	s_delay_alu instid0(VALU_DEP_3) | instskip(NEXT) | instid1(VALU_DEP_3)
	v_dual_fmac_f32 v29, v2, v74 :: v_dual_fmac_f32 v24, v5, v77
	v_fmac_f32_e32 v20, v5, v105
	s_delay_alu instid0(VALU_DEP_3) | instskip(NEXT) | instid1(VALU_DEP_3)
	v_dual_fmac_f32 v21, v5, v93 :: v_dual_fmac_f32 v22, v4, v88
	v_dual_fmac_f32 v29, v4, v72 :: v_dual_mul_f32 v30, v3, v63
	v_dual_mul_f32 v32, v3, v43 :: v_dual_mul_f32 v34, v3, v113
	s_delay_alu instid0(VALU_DEP_3) | instskip(NEXT) | instid1(VALU_DEP_3)
	v_fmac_f32_e32 v22, v5, v89
	v_dual_fmac_f32 v29, v5, v73 :: v_dual_fmac_f32 v30, v2, v62
	s_delay_alu instid0(VALU_DEP_3) | instskip(NEXT) | instid1(VALU_DEP_4)
	v_dual_mul_f32 v31, v3, v47 :: v_dual_fmac_f32 v32, v2, v42
	v_dual_mul_f32 v33, v3, v119 :: v_dual_fmac_f32 v34, v2, v112
	s_delay_alu instid0(VALU_DEP_2) | instskip(NEXT) | instid1(VALU_DEP_2)
	v_dual_fmac_f32 v30, v4, v60 :: v_dual_fmac_f32 v31, v2, v46
	v_dual_fmac_f32 v32, v4, v40 :: v_dual_fmac_f32 v33, v2, v118
	s_delay_alu instid0(VALU_DEP_3) | instskip(NEXT) | instid1(VALU_DEP_3)
	v_dual_mul_f32 v19, v3, v19 :: v_dual_fmac_f32 v34, v4, v102
	v_dual_fmac_f32 v30, v5, v61 :: v_dual_fmac_f32 v31, v4, v44
	s_delay_alu instid0(VALU_DEP_3) | instskip(NEXT) | instid1(VALU_DEP_3)
	v_dual_fmac_f32 v32, v5, v41 :: v_dual_fmac_f32 v33, v4, v116
	v_dual_fmac_f32 v19, v2, v18 :: v_dual_fmac_f32 v34, v5, v103
	s_delay_alu instid0(VALU_DEP_3) | instskip(SKIP_1) | instid1(VALU_DEP_3)
	v_fmac_f32_e32 v31, v5, v45
	v_mul_f32_e32 v18, v3, v69
	v_dual_fmac_f32 v33, v5, v117 :: v_dual_fmac_f32 v19, v4, v70
	s_delay_alu instid0(VALU_DEP_2) | instskip(NEXT) | instid1(VALU_DEP_2)
	v_dual_mul_f32 v53, v3, v53 :: v_dual_fmac_f32 v18, v2, v68
	v_dual_mul_f32 v35, v3, v65 :: v_dual_fmac_f32 v19, v5, v71
	s_delay_alu instid0(VALU_DEP_2) | instskip(NEXT) | instid1(VALU_DEP_2)
	v_dual_fmac_f32 v53, v2, v52 :: v_dual_mul_f32 v49, v3, v49
	v_dual_fmac_f32 v18, v4, v66 :: v_dual_fmac_f32 v35, v2, v64
	scratch_load_b64 v[64:65], off, s32 offset:588 th:TH_LOAD_LU ; 8-byte Folded Reload
	v_fmac_f32_e32 v53, v4, v50
	v_dual_fmac_f32 v49, v2, v48 :: v_dual_fmac_f32 v18, v5, v67
	v_fmac_f32_e32 v35, v4, v54
	s_delay_alu instid0(VALU_DEP_2) | instskip(NEXT) | instid1(VALU_DEP_2)
	v_dual_fmac_f32 v49, v4, v6 :: v_dual_mul_f32 v6, v3, v39
	v_fmac_f32_e32 v35, v5, v55
	v_fmac_f32_e32 v53, v5, v51
	s_clause 0x1
	scratch_load_b64 v[50:51], off, s32 offset:532 th:TH_LOAD_LU
	scratch_load_b64 v[54:55], off, s32 offset:484 th:TH_LOAD_LU
	v_fmac_f32_e32 v6, v2, v38
	scratch_load_b64 v[38:39], off, s32 offset:580 th:TH_LOAD_LU ; 8-byte Folded Reload
	v_fmac_f32_e32 v6, v4, v36
	s_delay_alu instid0(VALU_DEP_1)
	v_fmac_f32_e32 v6, v5, v37
	scratch_load_b64 v[36:37], off, s32 offset:572 th:TH_LOAD_LU ; 8-byte Folded Reload
	v_fmac_f32_e32 v49, v5, v7
	s_wait_loadcnt 0x4
	v_add_f32_e32 v65, v65, v13
	v_add_f32_e32 v64, v64, v9
	s_clause 0x1
	scratch_store_b64 off, v[64:65], s32 offset:588
	scratch_load_b64 v[64:65], off, s32 offset:596 th:TH_LOAD_LU
	s_wait_loadcnt 0x2
	v_mul_f32_e32 v7, v3, v39
	s_delay_alu instid0(VALU_DEP_1) | instskip(SKIP_3) | instid1(VALU_DEP_1)
	v_fmac_f32_e32 v7, v2, v38
	scratch_load_b64 v[38:39], off, s32 offset:564 th:TH_LOAD_LU ; 8-byte Folded Reload
	s_wait_loadcnt 0x2
	v_fmac_f32_e32 v7, v4, v36
	v_fmac_f32_e32 v7, v5, v37
	s_wait_loadcnt 0x1
	v_add_f32_e32 v65, v65, v8
	scratch_load_b64 v[8:9], off, s32 offset:604 th:TH_LOAD_LU ; 8-byte Folded Reload
	s_wait_loadcnt 0x1
	v_dual_add_f32 v64, v64, v10 :: v_dual_mul_f32 v36, v3, v39
	s_delay_alu instid0(VALU_DEP_1)
	v_fmac_f32_e32 v36, v2, v38
	scratch_load_b64 v[38:39], off, s32 offset:548 th:TH_LOAD_LU ; 8-byte Folded Reload
	s_wait_loadcnt 0x1
	v_dual_add_f32 v9, v9, v11 :: v_dual_add_f32 v8, v8, v12
	s_clause 0x4
	scratch_store_b64 off, v[64:65], s32 offset:596
	scratch_load_b64 v[12:13], off, s32 offset:772 th:TH_LOAD_LU
	scratch_load_b64 v[10:11], off, s32 offset:476 th:TH_LOAD_LU
	scratch_store_b64 off, v[8:9], s32 offset:604
	scratch_load_b64 v[8:9], off, s32 offset:612 th:TH_LOAD_LU
	s_wait_loadcnt 0x3
	v_mul_f32_e32 v37, v3, v39
	s_delay_alu instid0(VALU_DEP_1)
	v_fmac_f32_e32 v37, v2, v38
	scratch_load_b64 v[38:39], off, s32 offset:556 th:TH_LOAD_LU ; 8-byte Folded Reload
	s_wait_loadcnt 0x3
	v_dual_add_f32 v13, v13, v20 :: v_dual_add_f32 v12, v12, v21
	scratch_load_b64 v[20:21], off, s32 offset:404 th:TH_LOAD_LU ; 8-byte Folded Reload
	s_wait_loadcnt 0x2
	v_dual_add_f32 v9, v9, v14 :: v_dual_add_f32 v8, v8, v15
	s_clause 0x2
	scratch_load_b64 v[14:15], off, s32 offset:780 th:TH_LOAD_LU
	scratch_store_b64 off, v[8:9], s32 offset:612
	scratch_load_b64 v[8:9], off, s32 offset:620 th:TH_LOAD_LU
	s_wait_loadcnt 0x3
	v_fmac_f32_e32 v36, v4, v38
	s_delay_alu instid0(VALU_DEP_1)
	v_fmac_f32_e32 v36, v5, v39
	scratch_load_b64 v[38:39], off, s32 offset:540 th:TH_LOAD_LU ; 8-byte Folded Reload
	s_wait_loadcnt 0x2
	v_dual_add_f32 v14, v14, v24 :: v_dual_add_f32 v15, v15, v22
	s_wait_loadcnt 0x1
	v_dual_add_f32 v9, v9, v29 :: v_dual_add_f32 v8, v8, v30
	s_clause 0x1
	scratch_store_b64 off, v[8:9], s32 offset:620
	scratch_load_b64 v[8:9], off, s32 offset:628 th:TH_LOAD_LU
	s_wait_loadcnt 0x1
	v_dual_fmac_f32 v37, v4, v38 :: v_dual_mul_f32 v38, v3, v51
	s_delay_alu instid0(VALU_DEP_1)
	v_dual_fmac_f32 v37, v5, v39 :: v_dual_fmac_f32 v38, v2, v50
	scratch_load_b64 v[50:51], off, s32 offset:516 th:TH_LOAD_LU ; 8-byte Folded Reload
	s_wait_loadcnt 0x1
	v_dual_add_f32 v9, v9, v31 :: v_dual_add_f32 v8, v8, v32
	s_clause 0x2
	scratch_load_b64 v[30:31], off, s32 offset:436 th:TH_LOAD_LU
	scratch_store_b64 off, v[8:9], s32 offset:628
	scratch_load_b64 v[8:9], off, s32 offset:636 th:TH_LOAD_LU
	s_wait_loadcnt 0x2
	v_mul_f32_e32 v39, v3, v51
	s_delay_alu instid0(VALU_DEP_1)
	v_fmac_f32_e32 v39, v2, v50
	scratch_load_b64 v[50:51], off, s32 offset:524 th:TH_LOAD_LU ; 8-byte Folded Reload
	s_wait_loadcnt 0x1
	v_dual_add_f32 v9, v9, v33 :: v_dual_add_f32 v8, v8, v34
	s_clause 0x2
	scratch_load_b64 v[32:33], off, s32 offset:348 th:TH_LOAD_LU
	scratch_store_b64 off, v[8:9], s32 offset:636
	scratch_load_b64 v[8:9], off, s32 offset:644 th:TH_LOAD_LU
	s_wait_loadcnt 0x2
	v_fmac_f32_e32 v38, v4, v50
	s_delay_alu instid0(VALU_DEP_1)
	v_fmac_f32_e32 v38, v5, v51
	scratch_load_b64 v[50:51], off, s32 offset:508 th:TH_LOAD_LU ; 8-byte Folded Reload
	s_wait_loadcnt 0x1
	v_dual_add_f32 v9, v9, v19 :: v_dual_add_f32 v8, v8, v18
	s_clause 0x2
	scratch_load_b64 v[18:19], off, s32 offset:492 th:TH_LOAD_LU
	scratch_store_b64 off, v[8:9], s32 offset:644
	scratch_load_b64 v[8:9], off, s32 offset:652 th:TH_LOAD_LU
	s_wait_loadcnt 0x2
	v_fmac_f32_e32 v39, v4, v50
	s_delay_alu instid0(VALU_DEP_1)
	v_fmac_f32_e32 v39, v5, v51
	scratch_load_b64 v[50:51], off, s32 offset:500 th:TH_LOAD_LU ; 8-byte Folded Reload
	s_wait_loadcnt 0x1
	v_dual_add_f32 v9, v9, v35 :: v_dual_add_f32 v8, v8, v53
	s_clause 0x1
	scratch_store_b64 off, v[8:9], s32 offset:652
	scratch_load_b64 v[8:9], off, s32 offset:660 th:TH_LOAD_LU
	s_wait_loadcnt 0x1
	v_mul_f32_e32 v48, v3, v51
	s_delay_alu instid0(VALU_DEP_1) | instskip(NEXT) | instid1(VALU_DEP_1)
	v_dual_fmac_f32 v48, v2, v50 :: v_dual_mul_f32 v50, v3, v55
	v_fmac_f32_e32 v50, v2, v54
	scratch_load_b64 v[54:55], off, s32 offset:468 th:TH_LOAD_LU ; 8-byte Folded Reload
	s_wait_loadcnt 0x1
	v_dual_add_f32 v9, v9, v49 :: v_dual_add_f32 v8, v8, v6
	s_clause 0x1
	scratch_store_b64 off, v[8:9], s32 offset:660
	scratch_load_b64 v[8:9], off, s32 offset:668 th:TH_LOAD_LU
	s_wait_loadcnt 0x0
	v_dual_add_f32 v9, v9, v7 :: v_dual_add_f32 v8, v8, v36
	s_clause 0x2
	scratch_load_b64 v[6:7], off, s32 offset:708 th:TH_LOAD_LU
	scratch_store_b64 off, v[8:9], s32 offset:668
	scratch_load_b64 v[8:9], off, s32 offset:460 th:TH_LOAD_LU
	v_mul_f32_e32 v51, v3, v55
	s_delay_alu instid0(VALU_DEP_1)
	v_fmac_f32_e32 v51, v2, v54
	scratch_load_b64 v[54:55], off, s32 offset:700 th:TH_LOAD_LU ; 8-byte Folded Reload
	s_wait_loadcnt 0x2
	v_dual_fmac_f32 v48, v4, v18 :: v_dual_add_f32 v7, v7, v37
	s_wait_loadcnt 0x1
	v_dual_add_f32 v6, v6, v38 :: v_dual_fmac_f32 v51, v4, v8
	s_delay_alu instid0(VALU_DEP_2)
	v_dual_fmac_f32 v50, v4, v10 :: v_dual_fmac_f32 v48, v5, v19
	scratch_load_b64 v[18:19], off, s32 offset:388 th:TH_LOAD_LU ; 8-byte Folded Reload
	v_fmac_f32_e32 v51, v5, v9
	scratch_load_b64 v[8:9], off, s32 offset:676 th:TH_LOAD_LU ; 8-byte Folded Reload
	v_fmac_f32_e32 v50, v5, v11
	s_wait_loadcnt 0x2
	v_add_f32_e32 v54, v54, v23
	s_clause 0x1
	scratch_load_b64 v[10:11], off, s32 offset:452 th:TH_LOAD_LU
	scratch_load_b64 v[22:23], off, s32 offset:420 th:TH_LOAD_LU
	s_wait_loadcnt 0x2
	v_dual_add_f32 v9, v9, v50 :: v_dual_add_f32 v8, v8, v51
	s_clause 0x1
	scratch_store_b64 off, v[6:7], s32 offset:708
	scratch_load_b64 v[6:7], off, s32 offset:716 th:TH_LOAD_LU
	s_wait_loadcnt 0x0
	v_dual_add_f32 v7, v7, v39 :: v_dual_add_f32 v6, v6, v48
	scratch_store_b64 off, v[6:7], s32 offset:716 ; 8-byte Folded Spill
	s_wait_xcnt 0x0
	v_mul_f32_e32 v6, v3, v11
	scratch_store_b64 off, v[8:9], s32 offset:676 ; 8-byte Folded Spill
	s_wait_xcnt 0x0
	v_dual_mul_f32 v7, v3, v31 :: v_dual_mul_f32 v9, v3, v21
	v_dual_mul_f32 v8, v3, v23 :: v_dual_fmac_f32 v6, v2, v10
	s_delay_alu instid0(VALU_DEP_2)
	v_dual_fmac_f32 v7, v2, v30 :: v_dual_fmac_f32 v9, v2, v20
	s_clause 0x1
	scratch_load_b64 v[20:21], off, s32 offset:444 th:TH_LOAD_LU
	scratch_load_b64 v[30:31], off, s32 offset:428 th:TH_LOAD_LU
	v_fmac_f32_e32 v8, v2, v22
	scratch_load_b64 v[22:23], off, s32 offset:412 th:TH_LOAD_LU ; 8-byte Folded Reload
	s_wait_loadcnt 0x1
	v_dual_fmac_f32 v6, v4, v20 :: v_dual_fmac_f32 v7, v4, v30
	s_delay_alu instid0(VALU_DEP_1)
	v_dual_fmac_f32 v6, v5, v21 :: v_dual_fmac_f32 v7, v5, v31
	scratch_load_b64 v[20:21], off, s32 offset:380 th:TH_LOAD_LU ; 8-byte Folded Reload
	v_mul_f32_e32 v10, v3, v19
	scratch_load_b64 v[30:31], off, s32 offset:356 th:TH_LOAD_LU ; 8-byte Folded Reload
	v_fmac_f32_e32 v10, v2, v18
	scratch_load_b64 v[18:19], off, s32 offset:396 th:TH_LOAD_LU ; 8-byte Folded Reload
	s_wait_loadcnt 0x0
	v_fmac_f32_e32 v9, v4, v18
	s_delay_alu instid0(VALU_DEP_1)
	v_dual_fmac_f32 v8, v4, v22 :: v_dual_fmac_f32 v9, v5, v19
	scratch_load_b64 v[18:19], off, s32 offset:684 th:TH_LOAD_LU ; 8-byte Folded Reload
	v_fmac_f32_e32 v8, v5, v23
	scratch_load_b64 v[22:23], off, s32 offset:340 th:TH_LOAD_LU ; 8-byte Folded Reload
	s_wait_loadcnt 0x1
	v_dual_add_f32 v19, v19, v6 :: v_dual_add_f32 v18, v18, v7
	s_clause 0x2
	scratch_load_b64 v[6:7], off, s32 offset:692 th:TH_LOAD_LU
	scratch_store_b64 off, v[18:19], s32 offset:684
	scratch_load_b64 v[18:19], off, s32 offset:724 th:TH_LOAD_LU
	s_wait_loadcnt 0x1
	v_dual_add_f32 v7, v7, v8 :: v_dual_add_f32 v6, v6, v9
	s_clause 0x1
	scratch_store_b64 off, v[6:7], s32 offset:692
	scratch_load_b64 v[6:7], off, s32 offset:372 th:TH_LOAD_LU
	v_fmac_f32_e32 v10, v4, v20
	s_delay_alu instid0(VALU_DEP_1) | instskip(SKIP_3) | instid1(VALU_DEP_1)
	v_fmac_f32_e32 v10, v5, v21
	scratch_load_b64 v[20:21], off, s32 offset:324 th:TH_LOAD_LU ; 8-byte Folded Reload
	s_wait_loadcnt 0x0
	v_dual_mul_f32 v9, v3, v31 :: v_dual_mul_f32 v11, v3, v21
	v_dual_add_f32 v19, v19, v10 :: v_dual_fmac_f32 v11, v2, v20
	scratch_load_b64 v[20:21], off, s32 offset:364 th:TH_LOAD_LU ; 8-byte Folded Reload
	v_mul_f32_e32 v8, v3, v7
	s_delay_alu instid0(VALU_DEP_1)
	v_dual_mul_f32 v10, v3, v23 :: v_dual_fmac_f32 v8, v2, v6
	v_fmac_f32_e32 v9, v2, v30
	s_clause 0x1
	scratch_load_b64 v[30:31], off, s32 offset:332 th:TH_LOAD_LU
	scratch_load_b64 v[6:7], off, s32 offset:192 th:TH_LOAD_LU
	v_fmac_f32_e32 v10, v2, v22
	scratch_load_b64 v[22:23], off, s32 offset:316 th:TH_LOAD_LU ; 8-byte Folded Reload
	s_wait_loadcnt 0x3
	v_fmac_f32_e32 v8, v4, v20
	s_delay_alu instid0(VALU_DEP_1) | instskip(SKIP_3) | instid1(VALU_DEP_1)
	v_dual_fmac_f32 v9, v4, v32 :: v_dual_fmac_f32 v8, v5, v21
	scratch_load_b64 v[20:21], off, s32 offset:308 th:TH_LOAD_LU ; 8-byte Folded Reload
	s_wait_loadcnt 0x3
	v_dual_fmac_f32 v9, v5, v33 :: v_dual_fmac_f32 v10, v4, v30
	v_fmac_f32_e32 v10, v5, v31
	scratch_load_b64 v[30:31], off, s32 offset:300 th:TH_LOAD_LU ; 8-byte Folded Reload
	s_wait_loadcnt 0x2
	v_dual_fmac_f32 v11, v4, v22 :: v_dual_add_f32 v18, v18, v8
	s_delay_alu instid0(VALU_DEP_1)
	v_fmac_f32_e32 v11, v5, v23
	s_clause 0x2
	scratch_store_b64 off, v[18:19], s32 offset:724
	scratch_load_b64 v[18:19], off, s32 offset:732 th:TH_LOAD_LU
	scratch_load_b64 v[22:23], off, s32 offset:284 th:TH_LOAD_LU
	v_mul_f32_e32 v7, v3, v7
	s_delay_alu instid0(VALU_DEP_1) | instskip(SKIP_1) | instid1(VALU_DEP_1)
	v_fmac_f32_e32 v7, v2, v6
	s_wait_loadcnt 0x3
	v_fmac_f32_e32 v7, v4, v20
	s_delay_alu instid0(VALU_DEP_1) | instskip(SKIP_3) | instid1(VALU_DEP_1)
	v_fmac_f32_e32 v7, v5, v21
	scratch_load_b64 v[20:21], off, s32 offset:268 th:TH_LOAD_LU ; 8-byte Folded Reload
	s_wait_loadcnt 0x3
	v_mul_f32_e32 v8, v3, v31
	v_fmac_f32_e32 v8, v2, v30
	s_wait_loadcnt 0x2
	v_dual_add_f32 v18, v18, v10 :: v_dual_add_f32 v19, v19, v9
	s_clause 0x1
	scratch_store_b64 off, v[18:19], s32 offset:732
	scratch_load_b64 v[18:19], off, s32 offset:740 th:TH_LOAD_LU
	s_wait_loadcnt 0x0
	v_add_f32_e32 v19, v19, v11
	v_add_f32_e32 v18, v18, v7
	v_pk_mul_f32 v[6:7], v[2:3], v[16:17]
	s_clause 0x2
	scratch_load_b64 v[16:17], off, s32 offset:260 th:TH_LOAD_LU
	scratch_store_b64 off, v[18:19], s32 offset:740
	scratch_load_b64 v[18:19], off, s32 offset:252 th:TH_LOAD_LU
	v_dual_mul_f32 v10, v3, v21 :: v_dual_mul_f32 v9, v3, v23
	s_delay_alu instid0(VALU_DEP_1) | instskip(SKIP_3) | instid1(VALU_DEP_1)
	v_dual_fmac_f32 v10, v2, v20 :: v_dual_fmac_f32 v9, v2, v22
	scratch_load_b64 v[20:21], off, s32 offset:292 th:TH_LOAD_LU ; 8-byte Folded Reload
	s_wait_loadcnt 0x1
	v_mul_f32_e32 v11, v3, v19
	v_fmac_f32_e32 v11, v2, v18
	scratch_load_b64 v[18:19], off, s32 offset:276 th:TH_LOAD_LU ; 8-byte Folded Reload
	v_add_f32_e32 v2, v6, v7
	scratch_load_b64 v[6:7], off, s32 offset:220 th:TH_LOAD_LU ; 8-byte Folded Reload
	s_wait_loadcnt 0x2
	v_fmac_f32_e32 v8, v4, v20
	s_delay_alu instid0(VALU_DEP_1)
	v_dual_fmac_f32 v10, v4, v16 :: v_dual_fmac_f32 v8, v5, v21
	s_wait_loadcnt 0x1
	v_fmac_f32_e32 v9, v4, v18
	v_add_f32_e32 v0, v0, v2
	scratch_load_b64 v[2:3], off, s32 offset:756 th:TH_LOAD_LU ; 8-byte Folded Reload
	s_wait_loadcnt 0x1
	v_dual_fmac_f32 v11, v4, v6 :: v_dual_fmac_f32 v10, v5, v17
	v_fmac_f32_e32 v9, v5, v19
	v_add_f32_e32 v0, v1, v0
	s_wait_loadcnt 0x0
	s_delay_alu instid0(VALU_DEP_3) | instskip(NEXT) | instid1(VALU_DEP_2)
	v_dual_fmac_f32 v11, v5, v7 :: v_dual_add_f32 v3, v3, v8
	v_dual_add_f32 v2, v2, v9 :: v_dual_add_f32 v55, v55, v0
	s_clause 0x2
	scratch_store_b64 off, v[2:3], s32 offset:756
	scratch_load_b64 v[2:3], off, s32 offset:748 th:TH_LOAD_LU
	scratch_store_b64 off, v[54:55], s32 offset:700
	s_wait_loadcnt 0x0
	v_dual_add_f32 v3, v3, v10 :: v_dual_add_f32 v2, v2, v11
	scratch_store_b64 off, v[2:3], s32 offset:748 ; 8-byte Folded Spill
.LBB214_1580:                           ;   in Loop: Header=BB214_1581 Depth=1
	s_wait_xcnt 0x0
	s_or_b32 exec_lo, exec_lo, s3
	s_clause 0x1
	scratch_load_b32 v0, off, s32 offset:208
	scratch_load_b64 v[2:3], off, s32 offset:212 th:TH_LOAD_LU
	v_add_nc_u32_e32 v27, 4, v27
	v_add_nc_u64_e32 v[100:101], 16, v[100:101]
	v_add_nc_u32_e32 v28, 0x200, v28
	s_wait_loadcnt 0x1
	s_delay_alu instid0(VALU_DEP_3)
	v_cmp_ge_i32_e32 vcc_lo, v27, v0
	s_wait_loadcnt 0x0
	v_add_nc_u32_e32 v2, 0x80, v2
	s_or_b32 s2, vcc_lo, s2
	s_wait_xcnt 0x0
	s_and_not1_b32 exec_lo, exec_lo, s2
	s_cbranch_execz .LBB214_3214
.LBB214_1581:                           ; =>This Inner Loop Header: Depth=1
	s_clause 0x1
	scratch_load_b64 v[0:1], off, s32 offset:232
	scratch_load_b32 v4, off, s32 offset:228
	s_wait_loadcnt 0x2
	v_dual_mov_b32 v3, v25 :: v_dual_mov_b32 v6, v2
	scratch_store_b64 off, v[6:7], s32 offset:212 ; 8-byte Folded Spill
	s_wait_loadcnt 0x1
	v_mul_u64_e32 v[0:1], v[2:3], v[0:1]
	s_wait_loadcnt 0x0
	s_delay_alu instid0(VALU_DEP_1) | instskip(NEXT) | instid1(VALU_DEP_1)
	v_mul_lo_u32 v0, v1, v4
	v_dual_sub_nc_u32 v0, v2, v0 :: v_dual_add_nc_u32 v2, 1, v1
	s_delay_alu instid0(VALU_DEP_1) | instskip(NEXT) | instid1(VALU_DEP_2)
	v_cmp_ge_u32_e32 vcc_lo, v0, v4
	v_dual_sub_nc_u32 v3, v0, v4 :: v_dual_cndmask_b32 v1, v1, v2, vcc_lo
	s_delay_alu instid0(VALU_DEP_1) | instskip(NEXT) | instid1(VALU_DEP_1)
	v_dual_cndmask_b32 v0, v0, v3, vcc_lo :: v_dual_add_nc_u32 v2, 1, v1
	v_cmp_ge_u32_e32 vcc_lo, v0, v4
	s_delay_alu instid0(VALU_DEP_2) | instskip(SKIP_3) | instid1(VALU_DEP_1)
	v_cndmask_b32_e32 v0, v1, v2, vcc_lo
	scratch_load_b32 v1, off, s32 offset:240 ; 4-byte Folded Reload
	s_wait_loadcnt 0x0
	v_xor_b32_e32 v0, v0, v1
	v_sub_nc_u32_e32 v2, v0, v1
	scratch_load_b32 v0, off, s32 offset:244 ; 4-byte Folded Reload
	s_wait_loadcnt 0x0
	v_add_nc_u32_e32 v3, v2, v0
	s_delay_alu instid0(VALU_DEP_1) | instskip(NEXT) | instid1(VALU_DEP_1)
	v_sub_nc_u32_e32 v0, 0, v3
	v_max_i32_e32 v24, v3, v0
	scratch_load_b64 v[0:1], off, s32 offset:764 ; 8-byte Folded Reload
	s_wait_loadcnt 0x0
	v_mul_u64_e32 v[0:1], v[24:25], v[0:1]
	s_delay_alu instid0(VALU_DEP_1) | instskip(NEXT) | instid1(VALU_DEP_1)
	v_mul_lo_u32 v0, v1, v26
	v_dual_sub_nc_u32 v0, v24, v0 :: v_dual_ashrrev_i32 v3, 31, v3
	s_delay_alu instid0(VALU_DEP_1) | instskip(SKIP_1) | instid1(VALU_DEP_2)
	v_sub_nc_u32_e32 v1, v0, v26
	v_cmp_ge_u32_e32 vcc_lo, v0, v26
	v_cndmask_b32_e32 v0, v0, v1, vcc_lo
	s_delay_alu instid0(VALU_DEP_1) | instskip(SKIP_1) | instid1(VALU_DEP_2)
	v_sub_nc_u32_e32 v1, v0, v26
	v_cmp_ge_u32_e32 vcc_lo, v0, v26
	v_cndmask_b32_e32 v0, v0, v1, vcc_lo
	s_delay_alu instid0(VALU_DEP_1) | instskip(NEXT) | instid1(VALU_DEP_1)
	v_xor_b32_e32 v0, v0, v3
	v_sub_nc_u32_e32 v0, v0, v3
	s_delay_alu instid0(VALU_DEP_1)
	v_cmp_eq_u32_e32 vcc_lo, 0, v0
	scratch_load_b32 v0, off, s32 offset:248 ; 4-byte Folded Reload
	s_wait_loadcnt 0x0
	v_cmp_gt_i32_e64 s0, v2, v0
	s_or_b32 s0, vcc_lo, s0
	s_wait_xcnt 0x0
	s_and_saveexec_b32 s3, s0
	s_cbranch_execz .LBB214_1580
; %bb.1582:                             ;   in Loop: Header=BB214_1581 Depth=1
	s_clause 0x1
	scratch_store_b64 off, v[14:15], s32 offset:780
	scratch_store_b64 off, v[12:13], s32 offset:772
	flat_load_b32 v0, v[100:101]
	s_clause 0x1
	scratch_load_b64 v[2:3], off, s32 offset:1340
	scratch_load_b64 v[4:5], off, s32 offset:788
	v_mov_b64_e32 v[6:7], 0
	v_mov_b64_e32 v[8:9], 0
	s_wait_loadcnt_dscnt 0x0
	v_mad_nc_i64_i32 v[22:23], v0, v2, v[4:5]
	scratch_load_b64 v[0:1], off, s32 offset:804 ; 8-byte Folded Reload
	s_wait_loadcnt 0x0
	v_add_nc_u64_e32 v[0:1], v[22:23], v[0:1]
	flat_load_b32 v14, v[0:1]
	scratch_load_b64 v[2:3], off, s32 offset:1604 ; 8-byte Folded Reload
	s_load_b32 s0, s[6:7], 0x0
	s_wait_loadcnt_dscnt 0x100
	v_and_b32_e32 v10, 0xff, v14
	s_wait_loadcnt 0x0
	flat_load_b32 v114, v[2:3]
	s_wait_kmcnt 0x0
	v_add_nc_u32_e32 v2, s0, v28
	s_mov_b32 s0, exec_lo
	ds_load_b128 v[2:5], v2
	v_cmpx_ne_u16_e32 0, v10
	s_cbranch_execz .LBB214_1590
; %bb.1583:                             ;   in Loop: Header=BB214_1581 Depth=1
	v_mov_b64_e32 v[8:9], 0x80000000
	s_mov_b32 s8, exec_lo
	v_cmpx_ne_u16_e32 0x80, v10
	s_cbranch_execz .LBB214_1589
; %bb.1584:                             ;   in Loop: Header=BB214_1581 Depth=1
	v_mov_b64_e32 v[8:9], 0x7f800001
	v_and_b32_e32 v10, 0x7f, v14
	s_mov_b32 s9, exec_lo
	s_delay_alu instid0(VALU_DEP_1)
	v_cmpx_ne_u32_e32 0x7f, v10
	s_cbranch_execz .LBB214_1588
; %bb.1585:                             ;   in Loop: Header=BB214_1581 Depth=1
	v_and_b32_e32 v24, 7, v14
	v_lshrrev_b32_e32 v8, 3, v10
	s_mov_b32 s14, exec_lo
	v_cmpx_gt_u32_e32 8, v10
; %bb.1586:                             ;   in Loop: Header=BB214_1581 Depth=1
	s_delay_alu instid0(VALU_DEP_3) | instskip(NEXT) | instid1(VALU_DEP_1)
	v_clz_i32_u32_e32 v8, v24
	v_min_u32_e32 v8, 32, v8
	s_delay_alu instid0(VALU_DEP_1) | instskip(NEXT) | instid1(VALU_DEP_1)
	v_subrev_nc_u32_e32 v9, 28, v8
	v_lshlrev_b64_e32 v[10:11], v9, v[24:25]
	s_delay_alu instid0(VALU_DEP_1)
	v_dual_sub_nc_u32 v8, 29, v8 :: v_dual_bitop2_b32 v24, 7, v10 bitop3:0x40
; %bb.1587:                             ;   in Loop: Header=BB214_1581 Depth=1
	s_or_b32 exec_lo, exec_lo, s14
	s_delay_alu instid0(VALU_DEP_1) | instskip(NEXT) | instid1(VALU_DEP_2)
	v_dual_lshlrev_b32 v9, 24, v14 :: v_dual_lshlrev_b32 v10, 20, v24
	v_lshl_add_u32 v8, v8, 23, 0x3c000000
	s_delay_alu instid0(VALU_DEP_2) | instskip(NEXT) | instid1(VALU_DEP_1)
	v_and_b32_e32 v9, 0x80000000, v9
	v_or3_b32 v24, v10, v9, v8
	s_delay_alu instid0(VALU_DEP_1)
	v_mov_b64_e32 v[8:9], v[24:25]
.LBB214_1588:                           ;   in Loop: Header=BB214_1581 Depth=1
	s_or_b32 exec_lo, exec_lo, s9
.LBB214_1589:                           ;   in Loop: Header=BB214_1581 Depth=1
	s_delay_alu instid0(SALU_CYCLE_1)
	s_or_b32 exec_lo, exec_lo, s8
.LBB214_1590:                           ;   in Loop: Header=BB214_1581 Depth=1
	s_delay_alu instid0(SALU_CYCLE_1) | instskip(SKIP_2) | instid1(VALU_DEP_1)
	s_or_b32 exec_lo, exec_lo, s0
	v_lshrrev_b16 v10, 8, v14
	s_mov_b32 s0, exec_lo
	v_cmpx_ne_u16_e32 0, v10
	s_cbranch_execz .LBB214_1598
; %bb.1591:                             ;   in Loop: Header=BB214_1581 Depth=1
	v_mov_b64_e32 v[6:7], 0x8000000000000000
	s_mov_b32 s8, exec_lo
	v_cmpx_ne_u16_e32 0x80, v10
	s_cbranch_execz .LBB214_1597
; %bb.1592:                             ;   in Loop: Header=BB214_1581 Depth=1
	v_and_b32_e32 v11, 0xffff, v10
	v_mov_b64_e32 v[6:7], 0x7f80000100000000
	s_mov_b32 s9, exec_lo
	s_delay_alu instid0(VALU_DEP_2) | instskip(NEXT) | instid1(VALU_DEP_1)
	v_and_b32_e32 v10, 0x7f, v11
	v_cmpx_ne_u32_e32 0x7f, v10
	s_cbranch_execz .LBB214_1596
; %bb.1593:                             ;   in Loop: Header=BB214_1581 Depth=1
	v_dual_lshrrev_b32 v6, 3, v10 :: v_dual_bitop2_b32 v24, 7, v11 bitop3:0x40
	s_mov_b32 s14, exec_lo
	v_cmpx_gt_u32_e32 8, v10
; %bb.1594:                             ;   in Loop: Header=BB214_1581 Depth=1
	s_delay_alu instid0(VALU_DEP_2) | instskip(NEXT) | instid1(VALU_DEP_1)
	v_clz_i32_u32_e32 v6, v24
	v_min_u32_e32 v6, 32, v6
	s_delay_alu instid0(VALU_DEP_1) | instskip(SKIP_1) | instid1(VALU_DEP_2)
	v_subrev_nc_u32_e32 v7, 28, v6
	v_sub_nc_u32_e32 v6, 29, v6
	v_lshlrev_b64_e32 v[10:11], v7, v[24:25]
	s_delay_alu instid0(VALU_DEP_1)
	v_and_b32_e32 v24, 7, v10
; %bb.1595:                             ;   in Loop: Header=BB214_1581 Depth=1
	s_or_b32 exec_lo, exec_lo, s14
	s_delay_alu instid0(VALU_DEP_1) | instskip(SKIP_1) | instid1(VALU_DEP_2)
	v_dual_lshlrev_b32 v7, 16, v14 :: v_dual_lshlrev_b32 v10, 20, v24
	v_lshl_add_u32 v6, v6, 23, 0x3c000000
	v_and_b32_e32 v7, 0x80000000, v7
	s_delay_alu instid0(VALU_DEP_1)
	v_or3_b32 v7, v10, v7, v6
	v_mov_b32_e32 v6, v25
.LBB214_1596:                           ;   in Loop: Header=BB214_1581 Depth=1
	s_or_b32 exec_lo, exec_lo, s9
.LBB214_1597:                           ;   in Loop: Header=BB214_1581 Depth=1
	s_delay_alu instid0(SALU_CYCLE_1)
	s_or_b32 exec_lo, exec_lo, s8
.LBB214_1598:                           ;   in Loop: Header=BB214_1581 Depth=1
	s_delay_alu instid0(SALU_CYCLE_1) | instskip(SKIP_4) | instid1(VALU_DEP_3)
	s_or_b32 exec_lo, exec_lo, s0
	v_lshrrev_b32_e32 v15, 16, v14
	v_mov_b64_e32 v[10:11], 0
	v_mov_b64_e32 v[12:13], 0
	s_mov_b32 s0, exec_lo
	v_and_b32_e32 v16, 0xff, v15
	s_delay_alu instid0(VALU_DEP_1)
	v_cmpx_ne_u16_e32 0, v16
	s_cbranch_execz .LBB214_1606
; %bb.1599:                             ;   in Loop: Header=BB214_1581 Depth=1
	v_mov_b64_e32 v[12:13], 0x80000000
	s_mov_b32 s8, exec_lo
	v_cmpx_ne_u16_e32 0x80, v16
	s_cbranch_execz .LBB214_1605
; %bb.1600:                             ;   in Loop: Header=BB214_1581 Depth=1
	v_mov_b64_e32 v[12:13], 0x7f800001
	v_bfe_u32 v16, v14, 16, 7
	s_mov_b32 s9, exec_lo
	s_delay_alu instid0(VALU_DEP_1)
	v_cmpx_ne_u32_e32 0x7f, v16
	s_cbranch_execz .LBB214_1604
; %bb.1601:                             ;   in Loop: Header=BB214_1581 Depth=1
	v_dual_lshrrev_b32 v12, 3, v16 :: v_dual_bitop2_b32 v24, 7, v15 bitop3:0x40
	s_mov_b32 s14, exec_lo
	v_cmpx_gt_u32_e32 8, v16
; %bb.1602:                             ;   in Loop: Header=BB214_1581 Depth=1
	s_delay_alu instid0(VALU_DEP_2) | instskip(NEXT) | instid1(VALU_DEP_1)
	v_clz_i32_u32_e32 v12, v24
	v_min_u32_e32 v12, 32, v12
	s_delay_alu instid0(VALU_DEP_1) | instskip(SKIP_1) | instid1(VALU_DEP_2)
	v_subrev_nc_u32_e32 v13, 28, v12
	v_sub_nc_u32_e32 v12, 29, v12
	v_lshlrev_b64_e32 v[16:17], v13, v[24:25]
	s_delay_alu instid0(VALU_DEP_1)
	v_and_b32_e32 v24, 7, v16
; %bb.1603:                             ;   in Loop: Header=BB214_1581 Depth=1
	s_or_b32 exec_lo, exec_lo, s14
	s_delay_alu instid0(VALU_DEP_1) | instskip(SKIP_1) | instid1(VALU_DEP_2)
	v_dual_lshlrev_b32 v13, 24, v15 :: v_dual_lshlrev_b32 v15, 20, v24
	v_lshl_add_u32 v12, v12, 23, 0x3c000000
	v_and_b32_e32 v13, 0x80000000, v13
	s_delay_alu instid0(VALU_DEP_1) | instskip(NEXT) | instid1(VALU_DEP_1)
	v_or3_b32 v24, v15, v13, v12
	v_mov_b64_e32 v[12:13], v[24:25]
.LBB214_1604:                           ;   in Loop: Header=BB214_1581 Depth=1
	s_or_b32 exec_lo, exec_lo, s9
.LBB214_1605:                           ;   in Loop: Header=BB214_1581 Depth=1
	s_delay_alu instid0(SALU_CYCLE_1)
	s_or_b32 exec_lo, exec_lo, s8
.LBB214_1606:                           ;   in Loop: Header=BB214_1581 Depth=1
	s_delay_alu instid0(SALU_CYCLE_1) | instskip(NEXT) | instid1(SALU_CYCLE_1)
	s_or_b32 exec_lo, exec_lo, s0
	s_mov_b32 s0, exec_lo
	v_cmpx_lt_u32_e32 0xffffff, v14
	s_cbranch_execz .LBB214_1614
; %bb.1607:                             ;   in Loop: Header=BB214_1581 Depth=1
	v_mov_b64_e32 v[10:11], 0x8000000000000000
	v_lshrrev_b32_e32 v15, 24, v14
	s_mov_b32 s8, exec_lo
	s_delay_alu instid0(VALU_DEP_1)
	v_cmpx_ne_u32_e32 0x80, v15
	s_cbranch_execz .LBB214_1613
; %bb.1608:                             ;   in Loop: Header=BB214_1581 Depth=1
	v_mov_b64_e32 v[10:11], 0x7f80000100000000
	v_bfe_u32 v14, v14, 24, 7
	s_mov_b32 s9, exec_lo
	s_delay_alu instid0(VALU_DEP_1)
	v_cmpx_ne_u32_e32 0x7f, v14
	s_cbranch_execz .LBB214_1612
; %bb.1609:                             ;   in Loop: Header=BB214_1581 Depth=1
	v_dual_lshrrev_b32 v10, 3, v14 :: v_dual_bitop2_b32 v24, 7, v15 bitop3:0x40
	s_mov_b32 s14, exec_lo
	v_cmpx_gt_u32_e32 8, v14
; %bb.1610:                             ;   in Loop: Header=BB214_1581 Depth=1
	s_delay_alu instid0(VALU_DEP_2) | instskip(NEXT) | instid1(VALU_DEP_1)
	v_clz_i32_u32_e32 v10, v24
	v_min_u32_e32 v10, 32, v10
	s_delay_alu instid0(VALU_DEP_1) | instskip(NEXT) | instid1(VALU_DEP_1)
	v_subrev_nc_u32_e32 v11, 28, v10
	v_lshlrev_b64_e32 v[16:17], v11, v[24:25]
	s_delay_alu instid0(VALU_DEP_1)
	v_dual_sub_nc_u32 v10, 29, v10 :: v_dual_bitop2_b32 v24, 7, v16 bitop3:0x40
; %bb.1611:                             ;   in Loop: Header=BB214_1581 Depth=1
	s_or_b32 exec_lo, exec_lo, s14
	s_delay_alu instid0(VALU_DEP_1) | instskip(NEXT) | instid1(VALU_DEP_2)
	v_dual_lshlrev_b32 v11, 24, v15 :: v_dual_lshlrev_b32 v14, 20, v24
	v_lshl_add_u32 v10, v10, 23, 0x3c000000
	s_delay_alu instid0(VALU_DEP_2) | instskip(NEXT) | instid1(VALU_DEP_1)
	v_and_b32_e32 v11, 0x80000000, v11
	v_or3_b32 v11, v14, v11, v10
	v_mov_b32_e32 v10, v25
.LBB214_1612:                           ;   in Loop: Header=BB214_1581 Depth=1
	s_or_b32 exec_lo, exec_lo, s9
.LBB214_1613:                           ;   in Loop: Header=BB214_1581 Depth=1
	s_delay_alu instid0(SALU_CYCLE_1)
	s_or_b32 exec_lo, exec_lo, s8
.LBB214_1614:                           ;   in Loop: Header=BB214_1581 Depth=1
	s_delay_alu instid0(SALU_CYCLE_1)
	s_or_b32 exec_lo, exec_lo, s0
	v_or_b32_e32 v6, v6, v8
	scratch_load_b32 v8, off, s32 offset:208 ; 4-byte Folded Reload
	v_or_b32_e32 v7, v7, v9
	s_wait_loadcnt 0x0
	v_dual_add_nc_u32 v14, -1, v8 :: v_dual_bitop2_b32 v9, v11, v13 bitop3:0x54
	v_or_b32_e32 v8, v10, v12
	scratch_load_b64 v[10:11], off, s32 offset:212 ; 8-byte Folded Reload
	s_wait_loadcnt 0x0
	scratch_load_b32 v11, off, s32 offset:796 ; 4-byte Folded Reload
	v_cmp_eq_u32_e32 vcc_lo, v14, v27
	s_wait_loadcnt 0x0
	v_add_nc_u32_e32 v29, v11, v10
	s_wait_dscnt 0x1
	v_pk_mul_f32 v[6:7], v[114:115], v[6:7] op_sel_hi:[0,1]
	s_delay_alu instid0(VALU_DEP_2)
	v_add_nc_u32_e32 v30, 1, v29
	scratch_store_b64 off, v[6:7], s32 offset:252 ; 8-byte Folded Spill
	s_wait_xcnt 0x0
	v_pk_mul_f32 v[6:7], v[114:115], v[8:9] op_sel_hi:[0,1]
	v_dual_add_nc_u32 v32, 2, v29 :: v_dual_add_nc_u32 v31, 3, v29
	scratch_store_b64 off, v[6:7], s32 offset:220 ; 8-byte Folded Spill
	s_wait_xcnt 0x0
	s_and_saveexec_b32 s8, vcc_lo
	s_cbranch_execz .LBB214_1616
; %bb.1615:                             ;   in Loop: Header=BB214_1581 Depth=1
	s_clause 0x1
	scratch_load_b64 v[6:7], off, s32 offset:200
	scratch_load_b64 v[8:9], off, s32 offset:252 th:TH_LOAD_LU
	s_wait_loadcnt 0x1
	v_cmp_lt_i32_e64 s0, v29, v6
	s_wait_loadcnt 0x0
	s_delay_alu instid0(VALU_DEP_1) | instskip(SKIP_1) | instid1(VALU_DEP_1)
	v_cndmask_b32_e64 v8, 0, v8, s0
	v_cmp_lt_i32_e64 s0, v30, v6
	v_cndmask_b32_e64 v9, 0, v9, s0
	v_cmp_lt_i32_e64 s0, v32, v6
	s_clause 0x1
	scratch_store_b64 off, v[8:9], s32 offset:252
	scratch_load_b64 v[8:9], off, s32 offset:220 th:TH_LOAD_LU
	s_wait_loadcnt 0x0
	v_cndmask_b32_e64 v8, 0, v8, s0
	v_cmp_lt_i32_e64 s0, v31, v6
	s_delay_alu instid0(VALU_DEP_1)
	v_cndmask_b32_e64 v9, 0, v9, s0
	scratch_store_b64 off, v[8:9], s32 offset:220 ; 8-byte Folded Spill
.LBB214_1616:                           ;   in Loop: Header=BB214_1581 Depth=1
	s_wait_xcnt 0x0
	s_or_b32 exec_lo, exec_lo, s8
	flat_load_b32 v14, v[0:1] offset:128
	v_mov_b64_e32 v[6:7], 0
	v_mov_b64_e32 v[8:9], 0
	s_mov_b32 s8, exec_lo
	s_wait_loadcnt_dscnt 0x0
	v_and_b32_e32 v10, 0xff, v14
	s_wait_xcnt 0x0
	s_delay_alu instid0(VALU_DEP_1)
	v_cmpx_ne_u16_e32 0, v10
	s_cbranch_execz .LBB214_1624
; %bb.1617:                             ;   in Loop: Header=BB214_1581 Depth=1
	v_mov_b64_e32 v[8:9], 0x80000000
	s_mov_b32 s9, exec_lo
	v_cmpx_ne_u16_e32 0x80, v10
	s_cbranch_execz .LBB214_1623
; %bb.1618:                             ;   in Loop: Header=BB214_1581 Depth=1
	v_mov_b64_e32 v[8:9], 0x7f800001
	v_and_b32_e32 v10, 0x7f, v14
	s_mov_b32 s14, exec_lo
	s_delay_alu instid0(VALU_DEP_1)
	v_cmpx_ne_u32_e32 0x7f, v10
	s_cbranch_execz .LBB214_1622
; %bb.1619:                             ;   in Loop: Header=BB214_1581 Depth=1
	v_and_b32_e32 v24, 7, v14
	v_lshrrev_b32_e32 v8, 3, v10
	s_mov_b32 s15, exec_lo
	v_cmpx_gt_u32_e32 8, v10
; %bb.1620:                             ;   in Loop: Header=BB214_1581 Depth=1
	s_delay_alu instid0(VALU_DEP_3) | instskip(NEXT) | instid1(VALU_DEP_1)
	v_clz_i32_u32_e32 v8, v24
	v_min_u32_e32 v8, 32, v8
	s_delay_alu instid0(VALU_DEP_1) | instskip(NEXT) | instid1(VALU_DEP_1)
	v_subrev_nc_u32_e32 v9, 28, v8
	v_lshlrev_b64_e32 v[10:11], v9, v[24:25]
	s_delay_alu instid0(VALU_DEP_1)
	v_dual_sub_nc_u32 v8, 29, v8 :: v_dual_bitop2_b32 v24, 7, v10 bitop3:0x40
; %bb.1621:                             ;   in Loop: Header=BB214_1581 Depth=1
	s_or_b32 exec_lo, exec_lo, s15
	s_delay_alu instid0(VALU_DEP_1) | instskip(NEXT) | instid1(VALU_DEP_2)
	v_dual_lshlrev_b32 v9, 24, v14 :: v_dual_lshlrev_b32 v10, 20, v24
	v_lshl_add_u32 v8, v8, 23, 0x3c000000
	s_delay_alu instid0(VALU_DEP_2) | instskip(NEXT) | instid1(VALU_DEP_1)
	v_and_b32_e32 v9, 0x80000000, v9
	v_or3_b32 v24, v10, v9, v8
	s_delay_alu instid0(VALU_DEP_1)
	v_mov_b64_e32 v[8:9], v[24:25]
.LBB214_1622:                           ;   in Loop: Header=BB214_1581 Depth=1
	s_or_b32 exec_lo, exec_lo, s14
.LBB214_1623:                           ;   in Loop: Header=BB214_1581 Depth=1
	s_delay_alu instid0(SALU_CYCLE_1)
	s_or_b32 exec_lo, exec_lo, s9
.LBB214_1624:                           ;   in Loop: Header=BB214_1581 Depth=1
	s_delay_alu instid0(SALU_CYCLE_1) | instskip(SKIP_2) | instid1(VALU_DEP_1)
	s_or_b32 exec_lo, exec_lo, s8
	v_lshrrev_b16 v10, 8, v14
	s_mov_b32 s8, exec_lo
	v_cmpx_ne_u16_e32 0, v10
	s_cbranch_execz .LBB214_1632
; %bb.1625:                             ;   in Loop: Header=BB214_1581 Depth=1
	v_mov_b64_e32 v[6:7], 0x8000000000000000
	s_mov_b32 s9, exec_lo
	v_cmpx_ne_u16_e32 0x80, v10
	s_cbranch_execz .LBB214_1631
; %bb.1626:                             ;   in Loop: Header=BB214_1581 Depth=1
	v_and_b32_e32 v11, 0xffff, v10
	v_mov_b64_e32 v[6:7], 0x7f80000100000000
	s_mov_b32 s14, exec_lo
	s_delay_alu instid0(VALU_DEP_2) | instskip(NEXT) | instid1(VALU_DEP_1)
	v_and_b32_e32 v10, 0x7f, v11
	v_cmpx_ne_u32_e32 0x7f, v10
	s_cbranch_execz .LBB214_1630
; %bb.1627:                             ;   in Loop: Header=BB214_1581 Depth=1
	v_dual_lshrrev_b32 v6, 3, v10 :: v_dual_bitop2_b32 v24, 7, v11 bitop3:0x40
	s_mov_b32 s15, exec_lo
	v_cmpx_gt_u32_e32 8, v10
; %bb.1628:                             ;   in Loop: Header=BB214_1581 Depth=1
	s_delay_alu instid0(VALU_DEP_2) | instskip(NEXT) | instid1(VALU_DEP_1)
	v_clz_i32_u32_e32 v6, v24
	v_min_u32_e32 v6, 32, v6
	s_delay_alu instid0(VALU_DEP_1) | instskip(SKIP_1) | instid1(VALU_DEP_2)
	v_subrev_nc_u32_e32 v7, 28, v6
	v_sub_nc_u32_e32 v6, 29, v6
	v_lshlrev_b64_e32 v[10:11], v7, v[24:25]
	s_delay_alu instid0(VALU_DEP_1)
	v_and_b32_e32 v24, 7, v10
; %bb.1629:                             ;   in Loop: Header=BB214_1581 Depth=1
	s_or_b32 exec_lo, exec_lo, s15
	s_delay_alu instid0(VALU_DEP_1) | instskip(SKIP_1) | instid1(VALU_DEP_2)
	v_dual_lshlrev_b32 v7, 16, v14 :: v_dual_lshlrev_b32 v10, 20, v24
	v_lshl_add_u32 v6, v6, 23, 0x3c000000
	v_and_b32_e32 v7, 0x80000000, v7
	s_delay_alu instid0(VALU_DEP_1)
	v_or3_b32 v7, v10, v7, v6
	v_mov_b32_e32 v6, v25
.LBB214_1630:                           ;   in Loop: Header=BB214_1581 Depth=1
	s_or_b32 exec_lo, exec_lo, s14
.LBB214_1631:                           ;   in Loop: Header=BB214_1581 Depth=1
	s_delay_alu instid0(SALU_CYCLE_1)
	s_or_b32 exec_lo, exec_lo, s9
.LBB214_1632:                           ;   in Loop: Header=BB214_1581 Depth=1
	s_delay_alu instid0(SALU_CYCLE_1) | instskip(SKIP_4) | instid1(VALU_DEP_3)
	s_or_b32 exec_lo, exec_lo, s8
	v_lshrrev_b32_e32 v15, 16, v14
	v_mov_b64_e32 v[10:11], 0
	v_mov_b64_e32 v[12:13], 0
	s_mov_b32 s8, exec_lo
	v_and_b32_e32 v16, 0xff, v15
	s_delay_alu instid0(VALU_DEP_1)
	v_cmpx_ne_u16_e32 0, v16
	s_cbranch_execz .LBB214_1640
; %bb.1633:                             ;   in Loop: Header=BB214_1581 Depth=1
	v_mov_b64_e32 v[12:13], 0x80000000
	s_mov_b32 s9, exec_lo
	v_cmpx_ne_u16_e32 0x80, v16
	s_cbranch_execz .LBB214_1639
; %bb.1634:                             ;   in Loop: Header=BB214_1581 Depth=1
	v_mov_b64_e32 v[12:13], 0x7f800001
	v_bfe_u32 v16, v14, 16, 7
	s_mov_b32 s14, exec_lo
	s_delay_alu instid0(VALU_DEP_1)
	v_cmpx_ne_u32_e32 0x7f, v16
	s_cbranch_execz .LBB214_1638
; %bb.1635:                             ;   in Loop: Header=BB214_1581 Depth=1
	v_dual_lshrrev_b32 v12, 3, v16 :: v_dual_bitop2_b32 v24, 7, v15 bitop3:0x40
	s_mov_b32 s15, exec_lo
	v_cmpx_gt_u32_e32 8, v16
; %bb.1636:                             ;   in Loop: Header=BB214_1581 Depth=1
	s_delay_alu instid0(VALU_DEP_2) | instskip(NEXT) | instid1(VALU_DEP_1)
	v_clz_i32_u32_e32 v12, v24
	v_min_u32_e32 v12, 32, v12
	s_delay_alu instid0(VALU_DEP_1) | instskip(SKIP_1) | instid1(VALU_DEP_2)
	v_subrev_nc_u32_e32 v13, 28, v12
	v_sub_nc_u32_e32 v12, 29, v12
	v_lshlrev_b64_e32 v[16:17], v13, v[24:25]
	s_delay_alu instid0(VALU_DEP_1)
	v_and_b32_e32 v24, 7, v16
; %bb.1637:                             ;   in Loop: Header=BB214_1581 Depth=1
	s_or_b32 exec_lo, exec_lo, s15
	s_delay_alu instid0(VALU_DEP_1) | instskip(SKIP_1) | instid1(VALU_DEP_2)
	v_dual_lshlrev_b32 v13, 24, v15 :: v_dual_lshlrev_b32 v15, 20, v24
	v_lshl_add_u32 v12, v12, 23, 0x3c000000
	v_and_b32_e32 v13, 0x80000000, v13
	s_delay_alu instid0(VALU_DEP_1) | instskip(NEXT) | instid1(VALU_DEP_1)
	v_or3_b32 v24, v15, v13, v12
	v_mov_b64_e32 v[12:13], v[24:25]
.LBB214_1638:                           ;   in Loop: Header=BB214_1581 Depth=1
	s_or_b32 exec_lo, exec_lo, s14
.LBB214_1639:                           ;   in Loop: Header=BB214_1581 Depth=1
	s_delay_alu instid0(SALU_CYCLE_1)
	s_or_b32 exec_lo, exec_lo, s9
.LBB214_1640:                           ;   in Loop: Header=BB214_1581 Depth=1
	s_delay_alu instid0(SALU_CYCLE_1) | instskip(NEXT) | instid1(SALU_CYCLE_1)
	s_or_b32 exec_lo, exec_lo, s8
	s_mov_b32 s8, exec_lo
	v_cmpx_lt_u32_e32 0xffffff, v14
	s_cbranch_execz .LBB214_1648
; %bb.1641:                             ;   in Loop: Header=BB214_1581 Depth=1
	v_mov_b64_e32 v[10:11], 0x8000000000000000
	v_lshrrev_b32_e32 v15, 24, v14
	s_mov_b32 s9, exec_lo
	s_delay_alu instid0(VALU_DEP_1)
	v_cmpx_ne_u32_e32 0x80, v15
	s_cbranch_execz .LBB214_1647
; %bb.1642:                             ;   in Loop: Header=BB214_1581 Depth=1
	v_mov_b64_e32 v[10:11], 0x7f80000100000000
	v_bfe_u32 v14, v14, 24, 7
	s_mov_b32 s14, exec_lo
	s_delay_alu instid0(VALU_DEP_1)
	v_cmpx_ne_u32_e32 0x7f, v14
	s_cbranch_execz .LBB214_1646
; %bb.1643:                             ;   in Loop: Header=BB214_1581 Depth=1
	v_dual_lshrrev_b32 v10, 3, v14 :: v_dual_bitop2_b32 v24, 7, v15 bitop3:0x40
	s_mov_b32 s15, exec_lo
	v_cmpx_gt_u32_e32 8, v14
; %bb.1644:                             ;   in Loop: Header=BB214_1581 Depth=1
	s_delay_alu instid0(VALU_DEP_2) | instskip(NEXT) | instid1(VALU_DEP_1)
	v_clz_i32_u32_e32 v10, v24
	v_min_u32_e32 v10, 32, v10
	s_delay_alu instid0(VALU_DEP_1) | instskip(NEXT) | instid1(VALU_DEP_1)
	v_subrev_nc_u32_e32 v11, 28, v10
	v_lshlrev_b64_e32 v[16:17], v11, v[24:25]
	s_delay_alu instid0(VALU_DEP_1)
	v_dual_sub_nc_u32 v10, 29, v10 :: v_dual_bitop2_b32 v24, 7, v16 bitop3:0x40
; %bb.1645:                             ;   in Loop: Header=BB214_1581 Depth=1
	s_or_b32 exec_lo, exec_lo, s15
	s_delay_alu instid0(VALU_DEP_1) | instskip(NEXT) | instid1(VALU_DEP_2)
	v_dual_lshlrev_b32 v11, 24, v15 :: v_dual_lshlrev_b32 v14, 20, v24
	v_lshl_add_u32 v10, v10, 23, 0x3c000000
	s_delay_alu instid0(VALU_DEP_2) | instskip(NEXT) | instid1(VALU_DEP_1)
	v_and_b32_e32 v11, 0x80000000, v11
	v_or3_b32 v11, v14, v11, v10
	v_mov_b32_e32 v10, v25
.LBB214_1646:                           ;   in Loop: Header=BB214_1581 Depth=1
	s_or_b32 exec_lo, exec_lo, s14
.LBB214_1647:                           ;   in Loop: Header=BB214_1581 Depth=1
	s_delay_alu instid0(SALU_CYCLE_1)
	s_or_b32 exec_lo, exec_lo, s9
.LBB214_1648:                           ;   in Loop: Header=BB214_1581 Depth=1
	s_delay_alu instid0(SALU_CYCLE_1) | instskip(SKIP_4) | instid1(VALU_DEP_3)
	s_or_b32 exec_lo, exec_lo, s8
	v_dual_mov_b32 v115, v114 :: v_dual_bitop2_b32 v7, v7, v9 bitop3:0x54
	v_or_b32_e32 v6, v6, v8
	v_or_b32_e32 v9, v11, v13
	;; [unrolled: 1-line block ×3, first 2 shown]
	v_pk_mul_f32 v[6:7], v[114:115], v[6:7]
	scratch_store_b64 off, v[6:7], s32 offset:268 ; 8-byte Folded Spill
	s_wait_xcnt 0x0
	v_pk_mul_f32 v[6:7], v[114:115], v[8:9]
	scratch_store_b64 off, v[6:7], s32 offset:260 ; 8-byte Folded Spill
	s_wait_xcnt 0x0
	s_and_saveexec_b32 s8, vcc_lo
	s_cbranch_execz .LBB214_1650
; %bb.1649:                             ;   in Loop: Header=BB214_1581 Depth=1
	s_clause 0x1
	scratch_load_b64 v[6:7], off, s32 offset:200
	scratch_load_b64 v[8:9], off, s32 offset:268 th:TH_LOAD_LU
	s_wait_loadcnt 0x1
	v_cmp_lt_i32_e64 s0, v29, v6
	s_wait_loadcnt 0x0
	s_delay_alu instid0(VALU_DEP_1) | instskip(SKIP_1) | instid1(VALU_DEP_1)
	v_cndmask_b32_e64 v8, 0, v8, s0
	v_cmp_lt_i32_e64 s0, v30, v6
	v_cndmask_b32_e64 v9, 0, v9, s0
	v_cmp_lt_i32_e64 s0, v32, v6
	s_clause 0x1
	scratch_store_b64 off, v[8:9], s32 offset:268
	scratch_load_b64 v[8:9], off, s32 offset:260 th:TH_LOAD_LU
	s_wait_loadcnt 0x0
	v_cndmask_b32_e64 v8, 0, v8, s0
	v_cmp_lt_i32_e64 s0, v31, v6
	s_delay_alu instid0(VALU_DEP_1)
	v_cndmask_b32_e64 v9, 0, v9, s0
	scratch_store_b64 off, v[8:9], s32 offset:260 ; 8-byte Folded Spill
.LBB214_1650:                           ;   in Loop: Header=BB214_1581 Depth=1
	s_wait_xcnt 0x0
	s_or_b32 exec_lo, exec_lo, s8
	flat_load_b32 v14, v[0:1] offset:256
	v_mov_b64_e32 v[6:7], 0
	v_mov_b64_e32 v[8:9], 0
	s_mov_b32 s8, exec_lo
	s_wait_loadcnt_dscnt 0x0
	v_and_b32_e32 v10, 0xff, v14
	s_wait_xcnt 0x0
	s_delay_alu instid0(VALU_DEP_1)
	v_cmpx_ne_u16_e32 0, v10
	s_cbranch_execz .LBB214_1658
; %bb.1651:                             ;   in Loop: Header=BB214_1581 Depth=1
	v_mov_b64_e32 v[8:9], 0x80000000
	s_mov_b32 s9, exec_lo
	v_cmpx_ne_u16_e32 0x80, v10
	s_cbranch_execz .LBB214_1657
; %bb.1652:                             ;   in Loop: Header=BB214_1581 Depth=1
	v_mov_b64_e32 v[8:9], 0x7f800001
	v_and_b32_e32 v10, 0x7f, v14
	s_mov_b32 s14, exec_lo
	s_delay_alu instid0(VALU_DEP_1)
	v_cmpx_ne_u32_e32 0x7f, v10
	s_cbranch_execz .LBB214_1656
; %bb.1653:                             ;   in Loop: Header=BB214_1581 Depth=1
	v_and_b32_e32 v24, 7, v14
	v_lshrrev_b32_e32 v8, 3, v10
	s_mov_b32 s15, exec_lo
	v_cmpx_gt_u32_e32 8, v10
; %bb.1654:                             ;   in Loop: Header=BB214_1581 Depth=1
	s_delay_alu instid0(VALU_DEP_3) | instskip(NEXT) | instid1(VALU_DEP_1)
	v_clz_i32_u32_e32 v8, v24
	v_min_u32_e32 v8, 32, v8
	s_delay_alu instid0(VALU_DEP_1) | instskip(NEXT) | instid1(VALU_DEP_1)
	v_subrev_nc_u32_e32 v9, 28, v8
	v_lshlrev_b64_e32 v[10:11], v9, v[24:25]
	s_delay_alu instid0(VALU_DEP_1)
	v_dual_sub_nc_u32 v8, 29, v8 :: v_dual_bitop2_b32 v24, 7, v10 bitop3:0x40
; %bb.1655:                             ;   in Loop: Header=BB214_1581 Depth=1
	s_or_b32 exec_lo, exec_lo, s15
	s_delay_alu instid0(VALU_DEP_1) | instskip(NEXT) | instid1(VALU_DEP_2)
	v_dual_lshlrev_b32 v9, 24, v14 :: v_dual_lshlrev_b32 v10, 20, v24
	v_lshl_add_u32 v8, v8, 23, 0x3c000000
	s_delay_alu instid0(VALU_DEP_2) | instskip(NEXT) | instid1(VALU_DEP_1)
	v_and_b32_e32 v9, 0x80000000, v9
	v_or3_b32 v24, v10, v9, v8
	s_delay_alu instid0(VALU_DEP_1)
	v_mov_b64_e32 v[8:9], v[24:25]
.LBB214_1656:                           ;   in Loop: Header=BB214_1581 Depth=1
	s_or_b32 exec_lo, exec_lo, s14
.LBB214_1657:                           ;   in Loop: Header=BB214_1581 Depth=1
	s_delay_alu instid0(SALU_CYCLE_1)
	s_or_b32 exec_lo, exec_lo, s9
.LBB214_1658:                           ;   in Loop: Header=BB214_1581 Depth=1
	s_delay_alu instid0(SALU_CYCLE_1) | instskip(SKIP_2) | instid1(VALU_DEP_1)
	s_or_b32 exec_lo, exec_lo, s8
	v_lshrrev_b16 v10, 8, v14
	s_mov_b32 s8, exec_lo
	v_cmpx_ne_u16_e32 0, v10
	s_cbranch_execz .LBB214_1666
; %bb.1659:                             ;   in Loop: Header=BB214_1581 Depth=1
	v_mov_b64_e32 v[6:7], 0x8000000000000000
	s_mov_b32 s9, exec_lo
	v_cmpx_ne_u16_e32 0x80, v10
	s_cbranch_execz .LBB214_1665
; %bb.1660:                             ;   in Loop: Header=BB214_1581 Depth=1
	v_and_b32_e32 v11, 0xffff, v10
	v_mov_b64_e32 v[6:7], 0x7f80000100000000
	s_mov_b32 s14, exec_lo
	s_delay_alu instid0(VALU_DEP_2) | instskip(NEXT) | instid1(VALU_DEP_1)
	v_and_b32_e32 v10, 0x7f, v11
	v_cmpx_ne_u32_e32 0x7f, v10
	s_cbranch_execz .LBB214_1664
; %bb.1661:                             ;   in Loop: Header=BB214_1581 Depth=1
	v_dual_lshrrev_b32 v6, 3, v10 :: v_dual_bitop2_b32 v24, 7, v11 bitop3:0x40
	s_mov_b32 s15, exec_lo
	v_cmpx_gt_u32_e32 8, v10
; %bb.1662:                             ;   in Loop: Header=BB214_1581 Depth=1
	s_delay_alu instid0(VALU_DEP_2) | instskip(NEXT) | instid1(VALU_DEP_1)
	v_clz_i32_u32_e32 v6, v24
	v_min_u32_e32 v6, 32, v6
	s_delay_alu instid0(VALU_DEP_1) | instskip(SKIP_1) | instid1(VALU_DEP_2)
	v_subrev_nc_u32_e32 v7, 28, v6
	v_sub_nc_u32_e32 v6, 29, v6
	v_lshlrev_b64_e32 v[10:11], v7, v[24:25]
	s_delay_alu instid0(VALU_DEP_1)
	v_and_b32_e32 v24, 7, v10
; %bb.1663:                             ;   in Loop: Header=BB214_1581 Depth=1
	s_or_b32 exec_lo, exec_lo, s15
	s_delay_alu instid0(VALU_DEP_1) | instskip(SKIP_1) | instid1(VALU_DEP_2)
	v_dual_lshlrev_b32 v7, 16, v14 :: v_dual_lshlrev_b32 v10, 20, v24
	v_lshl_add_u32 v6, v6, 23, 0x3c000000
	v_and_b32_e32 v7, 0x80000000, v7
	s_delay_alu instid0(VALU_DEP_1)
	v_or3_b32 v7, v10, v7, v6
	v_mov_b32_e32 v6, v25
.LBB214_1664:                           ;   in Loop: Header=BB214_1581 Depth=1
	s_or_b32 exec_lo, exec_lo, s14
.LBB214_1665:                           ;   in Loop: Header=BB214_1581 Depth=1
	s_delay_alu instid0(SALU_CYCLE_1)
	s_or_b32 exec_lo, exec_lo, s9
.LBB214_1666:                           ;   in Loop: Header=BB214_1581 Depth=1
	s_delay_alu instid0(SALU_CYCLE_1) | instskip(SKIP_4) | instid1(VALU_DEP_3)
	s_or_b32 exec_lo, exec_lo, s8
	v_lshrrev_b32_e32 v15, 16, v14
	v_mov_b64_e32 v[10:11], 0
	v_mov_b64_e32 v[12:13], 0
	s_mov_b32 s8, exec_lo
	v_and_b32_e32 v16, 0xff, v15
	s_delay_alu instid0(VALU_DEP_1)
	v_cmpx_ne_u16_e32 0, v16
	s_cbranch_execz .LBB214_1674
; %bb.1667:                             ;   in Loop: Header=BB214_1581 Depth=1
	v_mov_b64_e32 v[12:13], 0x80000000
	s_mov_b32 s9, exec_lo
	v_cmpx_ne_u16_e32 0x80, v16
	s_cbranch_execz .LBB214_1673
; %bb.1668:                             ;   in Loop: Header=BB214_1581 Depth=1
	v_mov_b64_e32 v[12:13], 0x7f800001
	v_bfe_u32 v16, v14, 16, 7
	s_mov_b32 s14, exec_lo
	s_delay_alu instid0(VALU_DEP_1)
	v_cmpx_ne_u32_e32 0x7f, v16
	s_cbranch_execz .LBB214_1672
; %bb.1669:                             ;   in Loop: Header=BB214_1581 Depth=1
	v_dual_lshrrev_b32 v12, 3, v16 :: v_dual_bitop2_b32 v24, 7, v15 bitop3:0x40
	s_mov_b32 s15, exec_lo
	v_cmpx_gt_u32_e32 8, v16
; %bb.1670:                             ;   in Loop: Header=BB214_1581 Depth=1
	s_delay_alu instid0(VALU_DEP_2) | instskip(NEXT) | instid1(VALU_DEP_1)
	v_clz_i32_u32_e32 v12, v24
	v_min_u32_e32 v12, 32, v12
	s_delay_alu instid0(VALU_DEP_1) | instskip(SKIP_1) | instid1(VALU_DEP_2)
	v_subrev_nc_u32_e32 v13, 28, v12
	v_sub_nc_u32_e32 v12, 29, v12
	v_lshlrev_b64_e32 v[16:17], v13, v[24:25]
	s_delay_alu instid0(VALU_DEP_1)
	v_and_b32_e32 v24, 7, v16
; %bb.1671:                             ;   in Loop: Header=BB214_1581 Depth=1
	s_or_b32 exec_lo, exec_lo, s15
	s_delay_alu instid0(VALU_DEP_1) | instskip(SKIP_1) | instid1(VALU_DEP_2)
	v_dual_lshlrev_b32 v13, 24, v15 :: v_dual_lshlrev_b32 v15, 20, v24
	v_lshl_add_u32 v12, v12, 23, 0x3c000000
	v_and_b32_e32 v13, 0x80000000, v13
	s_delay_alu instid0(VALU_DEP_1) | instskip(NEXT) | instid1(VALU_DEP_1)
	v_or3_b32 v24, v15, v13, v12
	v_mov_b64_e32 v[12:13], v[24:25]
.LBB214_1672:                           ;   in Loop: Header=BB214_1581 Depth=1
	s_or_b32 exec_lo, exec_lo, s14
.LBB214_1673:                           ;   in Loop: Header=BB214_1581 Depth=1
	s_delay_alu instid0(SALU_CYCLE_1)
	s_or_b32 exec_lo, exec_lo, s9
.LBB214_1674:                           ;   in Loop: Header=BB214_1581 Depth=1
	s_delay_alu instid0(SALU_CYCLE_1) | instskip(NEXT) | instid1(SALU_CYCLE_1)
	s_or_b32 exec_lo, exec_lo, s8
	s_mov_b32 s8, exec_lo
	v_cmpx_lt_u32_e32 0xffffff, v14
	s_cbranch_execz .LBB214_1682
; %bb.1675:                             ;   in Loop: Header=BB214_1581 Depth=1
	v_mov_b64_e32 v[10:11], 0x8000000000000000
	v_lshrrev_b32_e32 v15, 24, v14
	s_mov_b32 s9, exec_lo
	s_delay_alu instid0(VALU_DEP_1)
	v_cmpx_ne_u32_e32 0x80, v15
	s_cbranch_execz .LBB214_1681
; %bb.1676:                             ;   in Loop: Header=BB214_1581 Depth=1
	v_mov_b64_e32 v[10:11], 0x7f80000100000000
	v_bfe_u32 v14, v14, 24, 7
	s_mov_b32 s14, exec_lo
	s_delay_alu instid0(VALU_DEP_1)
	v_cmpx_ne_u32_e32 0x7f, v14
	s_cbranch_execz .LBB214_1680
; %bb.1677:                             ;   in Loop: Header=BB214_1581 Depth=1
	v_dual_lshrrev_b32 v10, 3, v14 :: v_dual_bitop2_b32 v24, 7, v15 bitop3:0x40
	s_mov_b32 s15, exec_lo
	v_cmpx_gt_u32_e32 8, v14
; %bb.1678:                             ;   in Loop: Header=BB214_1581 Depth=1
	s_delay_alu instid0(VALU_DEP_2) | instskip(NEXT) | instid1(VALU_DEP_1)
	v_clz_i32_u32_e32 v10, v24
	v_min_u32_e32 v10, 32, v10
	s_delay_alu instid0(VALU_DEP_1) | instskip(NEXT) | instid1(VALU_DEP_1)
	v_subrev_nc_u32_e32 v11, 28, v10
	v_lshlrev_b64_e32 v[16:17], v11, v[24:25]
	s_delay_alu instid0(VALU_DEP_1)
	v_dual_sub_nc_u32 v10, 29, v10 :: v_dual_bitop2_b32 v24, 7, v16 bitop3:0x40
; %bb.1679:                             ;   in Loop: Header=BB214_1581 Depth=1
	s_or_b32 exec_lo, exec_lo, s15
	s_delay_alu instid0(VALU_DEP_1) | instskip(NEXT) | instid1(VALU_DEP_2)
	v_dual_lshlrev_b32 v11, 24, v15 :: v_dual_lshlrev_b32 v14, 20, v24
	v_lshl_add_u32 v10, v10, 23, 0x3c000000
	s_delay_alu instid0(VALU_DEP_2) | instskip(NEXT) | instid1(VALU_DEP_1)
	v_and_b32_e32 v11, 0x80000000, v11
	v_or3_b32 v11, v14, v11, v10
	v_mov_b32_e32 v10, v25
.LBB214_1680:                           ;   in Loop: Header=BB214_1581 Depth=1
	s_or_b32 exec_lo, exec_lo, s14
.LBB214_1681:                           ;   in Loop: Header=BB214_1581 Depth=1
	s_delay_alu instid0(SALU_CYCLE_1)
	s_or_b32 exec_lo, exec_lo, s9
.LBB214_1682:                           ;   in Loop: Header=BB214_1581 Depth=1
	s_delay_alu instid0(SALU_CYCLE_1) | instskip(SKIP_4) | instid1(VALU_DEP_3)
	s_or_b32 exec_lo, exec_lo, s8
	v_or_b32_e32 v7, v7, v9
	v_or_b32_e32 v6, v6, v8
	;; [unrolled: 1-line block ×4, first 2 shown]
	v_pk_mul_f32 v[6:7], v[114:115], v[6:7]
	scratch_store_b64 off, v[6:7], s32 offset:284 ; 8-byte Folded Spill
	s_wait_xcnt 0x0
	v_pk_mul_f32 v[6:7], v[114:115], v[8:9]
	scratch_store_b64 off, v[6:7], s32 offset:276 ; 8-byte Folded Spill
	s_wait_xcnt 0x0
	s_and_saveexec_b32 s8, vcc_lo
	s_cbranch_execz .LBB214_1684
; %bb.1683:                             ;   in Loop: Header=BB214_1581 Depth=1
	s_clause 0x1
	scratch_load_b64 v[6:7], off, s32 offset:200
	scratch_load_b64 v[8:9], off, s32 offset:284 th:TH_LOAD_LU
	s_wait_loadcnt 0x1
	v_cmp_lt_i32_e64 s0, v29, v6
	s_wait_loadcnt 0x0
	s_delay_alu instid0(VALU_DEP_1) | instskip(SKIP_1) | instid1(VALU_DEP_1)
	v_cndmask_b32_e64 v8, 0, v8, s0
	v_cmp_lt_i32_e64 s0, v30, v6
	v_cndmask_b32_e64 v9, 0, v9, s0
	v_cmp_lt_i32_e64 s0, v32, v6
	s_clause 0x1
	scratch_store_b64 off, v[8:9], s32 offset:284
	scratch_load_b64 v[8:9], off, s32 offset:276 th:TH_LOAD_LU
	s_wait_loadcnt 0x0
	v_cndmask_b32_e64 v8, 0, v8, s0
	v_cmp_lt_i32_e64 s0, v31, v6
	s_delay_alu instid0(VALU_DEP_1)
	v_cndmask_b32_e64 v9, 0, v9, s0
	scratch_store_b64 off, v[8:9], s32 offset:276 ; 8-byte Folded Spill
.LBB214_1684:                           ;   in Loop: Header=BB214_1581 Depth=1
	s_wait_xcnt 0x0
	s_or_b32 exec_lo, exec_lo, s8
	flat_load_b32 v14, v[0:1] offset:384
	v_mov_b64_e32 v[6:7], 0
	v_mov_b64_e32 v[8:9], 0
	s_mov_b32 s8, exec_lo
	s_wait_loadcnt_dscnt 0x0
	v_and_b32_e32 v10, 0xff, v14
	s_wait_xcnt 0x0
	s_delay_alu instid0(VALU_DEP_1)
	v_cmpx_ne_u16_e32 0, v10
	s_cbranch_execz .LBB214_1692
; %bb.1685:                             ;   in Loop: Header=BB214_1581 Depth=1
	v_mov_b64_e32 v[8:9], 0x80000000
	s_mov_b32 s9, exec_lo
	v_cmpx_ne_u16_e32 0x80, v10
	s_cbranch_execz .LBB214_1691
; %bb.1686:                             ;   in Loop: Header=BB214_1581 Depth=1
	v_mov_b64_e32 v[8:9], 0x7f800001
	v_and_b32_e32 v10, 0x7f, v14
	s_mov_b32 s14, exec_lo
	s_delay_alu instid0(VALU_DEP_1)
	v_cmpx_ne_u32_e32 0x7f, v10
	s_cbranch_execz .LBB214_1690
; %bb.1687:                             ;   in Loop: Header=BB214_1581 Depth=1
	v_and_b32_e32 v24, 7, v14
	v_lshrrev_b32_e32 v8, 3, v10
	s_mov_b32 s15, exec_lo
	v_cmpx_gt_u32_e32 8, v10
; %bb.1688:                             ;   in Loop: Header=BB214_1581 Depth=1
	s_delay_alu instid0(VALU_DEP_3) | instskip(NEXT) | instid1(VALU_DEP_1)
	v_clz_i32_u32_e32 v8, v24
	v_min_u32_e32 v8, 32, v8
	s_delay_alu instid0(VALU_DEP_1) | instskip(NEXT) | instid1(VALU_DEP_1)
	v_subrev_nc_u32_e32 v9, 28, v8
	v_lshlrev_b64_e32 v[10:11], v9, v[24:25]
	s_delay_alu instid0(VALU_DEP_1)
	v_dual_sub_nc_u32 v8, 29, v8 :: v_dual_bitop2_b32 v24, 7, v10 bitop3:0x40
; %bb.1689:                             ;   in Loop: Header=BB214_1581 Depth=1
	s_or_b32 exec_lo, exec_lo, s15
	s_delay_alu instid0(VALU_DEP_1) | instskip(NEXT) | instid1(VALU_DEP_2)
	v_dual_lshlrev_b32 v9, 24, v14 :: v_dual_lshlrev_b32 v10, 20, v24
	v_lshl_add_u32 v8, v8, 23, 0x3c000000
	s_delay_alu instid0(VALU_DEP_2) | instskip(NEXT) | instid1(VALU_DEP_1)
	v_and_b32_e32 v9, 0x80000000, v9
	v_or3_b32 v24, v10, v9, v8
	s_delay_alu instid0(VALU_DEP_1)
	v_mov_b64_e32 v[8:9], v[24:25]
.LBB214_1690:                           ;   in Loop: Header=BB214_1581 Depth=1
	s_or_b32 exec_lo, exec_lo, s14
.LBB214_1691:                           ;   in Loop: Header=BB214_1581 Depth=1
	s_delay_alu instid0(SALU_CYCLE_1)
	s_or_b32 exec_lo, exec_lo, s9
.LBB214_1692:                           ;   in Loop: Header=BB214_1581 Depth=1
	s_delay_alu instid0(SALU_CYCLE_1) | instskip(SKIP_2) | instid1(VALU_DEP_1)
	s_or_b32 exec_lo, exec_lo, s8
	v_lshrrev_b16 v10, 8, v14
	s_mov_b32 s8, exec_lo
	v_cmpx_ne_u16_e32 0, v10
	s_cbranch_execz .LBB214_1700
; %bb.1693:                             ;   in Loop: Header=BB214_1581 Depth=1
	v_mov_b64_e32 v[6:7], 0x8000000000000000
	s_mov_b32 s9, exec_lo
	v_cmpx_ne_u16_e32 0x80, v10
	s_cbranch_execz .LBB214_1699
; %bb.1694:                             ;   in Loop: Header=BB214_1581 Depth=1
	v_and_b32_e32 v11, 0xffff, v10
	v_mov_b64_e32 v[6:7], 0x7f80000100000000
	s_mov_b32 s14, exec_lo
	s_delay_alu instid0(VALU_DEP_2) | instskip(NEXT) | instid1(VALU_DEP_1)
	v_and_b32_e32 v10, 0x7f, v11
	v_cmpx_ne_u32_e32 0x7f, v10
	s_cbranch_execz .LBB214_1698
; %bb.1695:                             ;   in Loop: Header=BB214_1581 Depth=1
	v_dual_lshrrev_b32 v6, 3, v10 :: v_dual_bitop2_b32 v24, 7, v11 bitop3:0x40
	s_mov_b32 s15, exec_lo
	v_cmpx_gt_u32_e32 8, v10
; %bb.1696:                             ;   in Loop: Header=BB214_1581 Depth=1
	s_delay_alu instid0(VALU_DEP_2) | instskip(NEXT) | instid1(VALU_DEP_1)
	v_clz_i32_u32_e32 v6, v24
	v_min_u32_e32 v6, 32, v6
	s_delay_alu instid0(VALU_DEP_1) | instskip(SKIP_1) | instid1(VALU_DEP_2)
	v_subrev_nc_u32_e32 v7, 28, v6
	v_sub_nc_u32_e32 v6, 29, v6
	v_lshlrev_b64_e32 v[10:11], v7, v[24:25]
	s_delay_alu instid0(VALU_DEP_1)
	v_and_b32_e32 v24, 7, v10
; %bb.1697:                             ;   in Loop: Header=BB214_1581 Depth=1
	s_or_b32 exec_lo, exec_lo, s15
	s_delay_alu instid0(VALU_DEP_1) | instskip(SKIP_1) | instid1(VALU_DEP_2)
	v_dual_lshlrev_b32 v7, 16, v14 :: v_dual_lshlrev_b32 v10, 20, v24
	v_lshl_add_u32 v6, v6, 23, 0x3c000000
	v_and_b32_e32 v7, 0x80000000, v7
	s_delay_alu instid0(VALU_DEP_1)
	v_or3_b32 v7, v10, v7, v6
	v_mov_b32_e32 v6, v25
.LBB214_1698:                           ;   in Loop: Header=BB214_1581 Depth=1
	s_or_b32 exec_lo, exec_lo, s14
.LBB214_1699:                           ;   in Loop: Header=BB214_1581 Depth=1
	s_delay_alu instid0(SALU_CYCLE_1)
	s_or_b32 exec_lo, exec_lo, s9
.LBB214_1700:                           ;   in Loop: Header=BB214_1581 Depth=1
	s_delay_alu instid0(SALU_CYCLE_1) | instskip(SKIP_4) | instid1(VALU_DEP_3)
	s_or_b32 exec_lo, exec_lo, s8
	v_lshrrev_b32_e32 v15, 16, v14
	v_mov_b64_e32 v[10:11], 0
	v_mov_b64_e32 v[12:13], 0
	s_mov_b32 s8, exec_lo
	v_and_b32_e32 v16, 0xff, v15
	s_delay_alu instid0(VALU_DEP_1)
	v_cmpx_ne_u16_e32 0, v16
	s_cbranch_execz .LBB214_1708
; %bb.1701:                             ;   in Loop: Header=BB214_1581 Depth=1
	v_mov_b64_e32 v[12:13], 0x80000000
	s_mov_b32 s9, exec_lo
	v_cmpx_ne_u16_e32 0x80, v16
	s_cbranch_execz .LBB214_1707
; %bb.1702:                             ;   in Loop: Header=BB214_1581 Depth=1
	v_mov_b64_e32 v[12:13], 0x7f800001
	v_bfe_u32 v16, v14, 16, 7
	s_mov_b32 s14, exec_lo
	s_delay_alu instid0(VALU_DEP_1)
	v_cmpx_ne_u32_e32 0x7f, v16
	s_cbranch_execz .LBB214_1706
; %bb.1703:                             ;   in Loop: Header=BB214_1581 Depth=1
	v_dual_lshrrev_b32 v12, 3, v16 :: v_dual_bitop2_b32 v24, 7, v15 bitop3:0x40
	s_mov_b32 s15, exec_lo
	v_cmpx_gt_u32_e32 8, v16
; %bb.1704:                             ;   in Loop: Header=BB214_1581 Depth=1
	s_delay_alu instid0(VALU_DEP_2) | instskip(NEXT) | instid1(VALU_DEP_1)
	v_clz_i32_u32_e32 v12, v24
	v_min_u32_e32 v12, 32, v12
	s_delay_alu instid0(VALU_DEP_1) | instskip(SKIP_1) | instid1(VALU_DEP_2)
	v_subrev_nc_u32_e32 v13, 28, v12
	v_sub_nc_u32_e32 v12, 29, v12
	v_lshlrev_b64_e32 v[16:17], v13, v[24:25]
	s_delay_alu instid0(VALU_DEP_1)
	v_and_b32_e32 v24, 7, v16
; %bb.1705:                             ;   in Loop: Header=BB214_1581 Depth=1
	s_or_b32 exec_lo, exec_lo, s15
	s_delay_alu instid0(VALU_DEP_1) | instskip(SKIP_1) | instid1(VALU_DEP_2)
	v_dual_lshlrev_b32 v13, 24, v15 :: v_dual_lshlrev_b32 v15, 20, v24
	v_lshl_add_u32 v12, v12, 23, 0x3c000000
	v_and_b32_e32 v13, 0x80000000, v13
	s_delay_alu instid0(VALU_DEP_1) | instskip(NEXT) | instid1(VALU_DEP_1)
	v_or3_b32 v24, v15, v13, v12
	v_mov_b64_e32 v[12:13], v[24:25]
.LBB214_1706:                           ;   in Loop: Header=BB214_1581 Depth=1
	s_or_b32 exec_lo, exec_lo, s14
.LBB214_1707:                           ;   in Loop: Header=BB214_1581 Depth=1
	s_delay_alu instid0(SALU_CYCLE_1)
	s_or_b32 exec_lo, exec_lo, s9
.LBB214_1708:                           ;   in Loop: Header=BB214_1581 Depth=1
	s_delay_alu instid0(SALU_CYCLE_1) | instskip(NEXT) | instid1(SALU_CYCLE_1)
	s_or_b32 exec_lo, exec_lo, s8
	s_mov_b32 s8, exec_lo
	v_cmpx_lt_u32_e32 0xffffff, v14
	s_cbranch_execz .LBB214_1716
; %bb.1709:                             ;   in Loop: Header=BB214_1581 Depth=1
	v_mov_b64_e32 v[10:11], 0x8000000000000000
	v_lshrrev_b32_e32 v15, 24, v14
	s_mov_b32 s9, exec_lo
	s_delay_alu instid0(VALU_DEP_1)
	v_cmpx_ne_u32_e32 0x80, v15
	s_cbranch_execz .LBB214_1715
; %bb.1710:                             ;   in Loop: Header=BB214_1581 Depth=1
	v_mov_b64_e32 v[10:11], 0x7f80000100000000
	v_bfe_u32 v14, v14, 24, 7
	s_mov_b32 s14, exec_lo
	s_delay_alu instid0(VALU_DEP_1)
	v_cmpx_ne_u32_e32 0x7f, v14
	s_cbranch_execz .LBB214_1714
; %bb.1711:                             ;   in Loop: Header=BB214_1581 Depth=1
	v_dual_lshrrev_b32 v10, 3, v14 :: v_dual_bitop2_b32 v24, 7, v15 bitop3:0x40
	s_mov_b32 s15, exec_lo
	v_cmpx_gt_u32_e32 8, v14
; %bb.1712:                             ;   in Loop: Header=BB214_1581 Depth=1
	s_delay_alu instid0(VALU_DEP_2) | instskip(NEXT) | instid1(VALU_DEP_1)
	v_clz_i32_u32_e32 v10, v24
	v_min_u32_e32 v10, 32, v10
	s_delay_alu instid0(VALU_DEP_1) | instskip(NEXT) | instid1(VALU_DEP_1)
	v_subrev_nc_u32_e32 v11, 28, v10
	v_lshlrev_b64_e32 v[16:17], v11, v[24:25]
	s_delay_alu instid0(VALU_DEP_1)
	v_dual_sub_nc_u32 v10, 29, v10 :: v_dual_bitop2_b32 v24, 7, v16 bitop3:0x40
; %bb.1713:                             ;   in Loop: Header=BB214_1581 Depth=1
	s_or_b32 exec_lo, exec_lo, s15
	s_delay_alu instid0(VALU_DEP_1) | instskip(NEXT) | instid1(VALU_DEP_2)
	v_dual_lshlrev_b32 v11, 24, v15 :: v_dual_lshlrev_b32 v14, 20, v24
	v_lshl_add_u32 v10, v10, 23, 0x3c000000
	s_delay_alu instid0(VALU_DEP_2) | instskip(NEXT) | instid1(VALU_DEP_1)
	v_and_b32_e32 v11, 0x80000000, v11
	v_or3_b32 v11, v14, v11, v10
	v_mov_b32_e32 v10, v25
.LBB214_1714:                           ;   in Loop: Header=BB214_1581 Depth=1
	s_or_b32 exec_lo, exec_lo, s14
.LBB214_1715:                           ;   in Loop: Header=BB214_1581 Depth=1
	s_delay_alu instid0(SALU_CYCLE_1)
	s_or_b32 exec_lo, exec_lo, s9
.LBB214_1716:                           ;   in Loop: Header=BB214_1581 Depth=1
	s_delay_alu instid0(SALU_CYCLE_1) | instskip(SKIP_4) | instid1(VALU_DEP_3)
	s_or_b32 exec_lo, exec_lo, s8
	v_or_b32_e32 v7, v7, v9
	v_or_b32_e32 v6, v6, v8
	;; [unrolled: 1-line block ×4, first 2 shown]
	v_pk_mul_f32 v[6:7], v[114:115], v[6:7]
	scratch_store_b64 off, v[6:7], s32 offset:300 ; 8-byte Folded Spill
	s_wait_xcnt 0x0
	v_pk_mul_f32 v[6:7], v[114:115], v[8:9]
	scratch_store_b64 off, v[6:7], s32 offset:292 ; 8-byte Folded Spill
	s_wait_xcnt 0x0
	s_and_saveexec_b32 s8, vcc_lo
	s_cbranch_execz .LBB214_1718
; %bb.1717:                             ;   in Loop: Header=BB214_1581 Depth=1
	s_clause 0x1
	scratch_load_b64 v[6:7], off, s32 offset:200
	scratch_load_b64 v[8:9], off, s32 offset:300 th:TH_LOAD_LU
	s_wait_loadcnt 0x1
	v_cmp_lt_i32_e64 s0, v29, v6
	s_wait_loadcnt 0x0
	s_delay_alu instid0(VALU_DEP_1) | instskip(SKIP_1) | instid1(VALU_DEP_1)
	v_cndmask_b32_e64 v8, 0, v8, s0
	v_cmp_lt_i32_e64 s0, v30, v6
	v_cndmask_b32_e64 v9, 0, v9, s0
	v_cmp_lt_i32_e64 s0, v32, v6
	s_clause 0x1
	scratch_store_b64 off, v[8:9], s32 offset:300
	scratch_load_b64 v[8:9], off, s32 offset:292 th:TH_LOAD_LU
	s_wait_loadcnt 0x0
	v_cndmask_b32_e64 v8, 0, v8, s0
	v_cmp_lt_i32_e64 s0, v31, v6
	s_delay_alu instid0(VALU_DEP_1)
	v_cndmask_b32_e64 v9, 0, v9, s0
	scratch_store_b64 off, v[8:9], s32 offset:292 ; 8-byte Folded Spill
.LBB214_1718:                           ;   in Loop: Header=BB214_1581 Depth=1
	s_wait_xcnt 0x0
	s_or_b32 exec_lo, exec_lo, s8
	flat_load_b32 v14, v[0:1] offset:512
	v_mov_b64_e32 v[6:7], 0
	v_mov_b64_e32 v[8:9], 0
	s_mov_b32 s8, exec_lo
	s_wait_loadcnt_dscnt 0x0
	v_and_b32_e32 v10, 0xff, v14
	s_wait_xcnt 0x0
	s_delay_alu instid0(VALU_DEP_1)
	v_cmpx_ne_u16_e32 0, v10
	s_cbranch_execz .LBB214_1726
; %bb.1719:                             ;   in Loop: Header=BB214_1581 Depth=1
	v_mov_b64_e32 v[8:9], 0x80000000
	s_mov_b32 s9, exec_lo
	v_cmpx_ne_u16_e32 0x80, v10
	s_cbranch_execz .LBB214_1725
; %bb.1720:                             ;   in Loop: Header=BB214_1581 Depth=1
	v_mov_b64_e32 v[8:9], 0x7f800001
	v_and_b32_e32 v10, 0x7f, v14
	s_mov_b32 s14, exec_lo
	s_delay_alu instid0(VALU_DEP_1)
	v_cmpx_ne_u32_e32 0x7f, v10
	s_cbranch_execz .LBB214_1724
; %bb.1721:                             ;   in Loop: Header=BB214_1581 Depth=1
	v_and_b32_e32 v24, 7, v14
	v_lshrrev_b32_e32 v8, 3, v10
	s_mov_b32 s15, exec_lo
	v_cmpx_gt_u32_e32 8, v10
; %bb.1722:                             ;   in Loop: Header=BB214_1581 Depth=1
	s_delay_alu instid0(VALU_DEP_3) | instskip(NEXT) | instid1(VALU_DEP_1)
	v_clz_i32_u32_e32 v8, v24
	v_min_u32_e32 v8, 32, v8
	s_delay_alu instid0(VALU_DEP_1) | instskip(NEXT) | instid1(VALU_DEP_1)
	v_subrev_nc_u32_e32 v9, 28, v8
	v_lshlrev_b64_e32 v[10:11], v9, v[24:25]
	s_delay_alu instid0(VALU_DEP_1)
	v_dual_sub_nc_u32 v8, 29, v8 :: v_dual_bitop2_b32 v24, 7, v10 bitop3:0x40
; %bb.1723:                             ;   in Loop: Header=BB214_1581 Depth=1
	s_or_b32 exec_lo, exec_lo, s15
	s_delay_alu instid0(VALU_DEP_1) | instskip(NEXT) | instid1(VALU_DEP_2)
	v_dual_lshlrev_b32 v9, 24, v14 :: v_dual_lshlrev_b32 v10, 20, v24
	v_lshl_add_u32 v8, v8, 23, 0x3c000000
	s_delay_alu instid0(VALU_DEP_2) | instskip(NEXT) | instid1(VALU_DEP_1)
	v_and_b32_e32 v9, 0x80000000, v9
	v_or3_b32 v24, v10, v9, v8
	s_delay_alu instid0(VALU_DEP_1)
	v_mov_b64_e32 v[8:9], v[24:25]
.LBB214_1724:                           ;   in Loop: Header=BB214_1581 Depth=1
	s_or_b32 exec_lo, exec_lo, s14
.LBB214_1725:                           ;   in Loop: Header=BB214_1581 Depth=1
	s_delay_alu instid0(SALU_CYCLE_1)
	s_or_b32 exec_lo, exec_lo, s9
.LBB214_1726:                           ;   in Loop: Header=BB214_1581 Depth=1
	s_delay_alu instid0(SALU_CYCLE_1) | instskip(SKIP_2) | instid1(VALU_DEP_1)
	s_or_b32 exec_lo, exec_lo, s8
	v_lshrrev_b16 v10, 8, v14
	s_mov_b32 s8, exec_lo
	v_cmpx_ne_u16_e32 0, v10
	s_cbranch_execz .LBB214_1734
; %bb.1727:                             ;   in Loop: Header=BB214_1581 Depth=1
	v_mov_b64_e32 v[6:7], 0x8000000000000000
	s_mov_b32 s9, exec_lo
	v_cmpx_ne_u16_e32 0x80, v10
	s_cbranch_execz .LBB214_1733
; %bb.1728:                             ;   in Loop: Header=BB214_1581 Depth=1
	v_and_b32_e32 v11, 0xffff, v10
	v_mov_b64_e32 v[6:7], 0x7f80000100000000
	s_mov_b32 s14, exec_lo
	s_delay_alu instid0(VALU_DEP_2) | instskip(NEXT) | instid1(VALU_DEP_1)
	v_and_b32_e32 v10, 0x7f, v11
	v_cmpx_ne_u32_e32 0x7f, v10
	s_cbranch_execz .LBB214_1732
; %bb.1729:                             ;   in Loop: Header=BB214_1581 Depth=1
	v_dual_lshrrev_b32 v6, 3, v10 :: v_dual_bitop2_b32 v24, 7, v11 bitop3:0x40
	s_mov_b32 s15, exec_lo
	v_cmpx_gt_u32_e32 8, v10
; %bb.1730:                             ;   in Loop: Header=BB214_1581 Depth=1
	s_delay_alu instid0(VALU_DEP_2) | instskip(NEXT) | instid1(VALU_DEP_1)
	v_clz_i32_u32_e32 v6, v24
	v_min_u32_e32 v6, 32, v6
	s_delay_alu instid0(VALU_DEP_1) | instskip(SKIP_1) | instid1(VALU_DEP_2)
	v_subrev_nc_u32_e32 v7, 28, v6
	v_sub_nc_u32_e32 v6, 29, v6
	v_lshlrev_b64_e32 v[10:11], v7, v[24:25]
	s_delay_alu instid0(VALU_DEP_1)
	v_and_b32_e32 v24, 7, v10
; %bb.1731:                             ;   in Loop: Header=BB214_1581 Depth=1
	s_or_b32 exec_lo, exec_lo, s15
	s_delay_alu instid0(VALU_DEP_1) | instskip(SKIP_1) | instid1(VALU_DEP_2)
	v_dual_lshlrev_b32 v7, 16, v14 :: v_dual_lshlrev_b32 v10, 20, v24
	v_lshl_add_u32 v6, v6, 23, 0x3c000000
	v_and_b32_e32 v7, 0x80000000, v7
	s_delay_alu instid0(VALU_DEP_1)
	v_or3_b32 v7, v10, v7, v6
	v_mov_b32_e32 v6, v25
.LBB214_1732:                           ;   in Loop: Header=BB214_1581 Depth=1
	s_or_b32 exec_lo, exec_lo, s14
.LBB214_1733:                           ;   in Loop: Header=BB214_1581 Depth=1
	s_delay_alu instid0(SALU_CYCLE_1)
	s_or_b32 exec_lo, exec_lo, s9
.LBB214_1734:                           ;   in Loop: Header=BB214_1581 Depth=1
	s_delay_alu instid0(SALU_CYCLE_1) | instskip(SKIP_4) | instid1(VALU_DEP_3)
	s_or_b32 exec_lo, exec_lo, s8
	v_lshrrev_b32_e32 v15, 16, v14
	v_mov_b64_e32 v[10:11], 0
	v_mov_b64_e32 v[12:13], 0
	s_mov_b32 s8, exec_lo
	v_and_b32_e32 v16, 0xff, v15
	s_delay_alu instid0(VALU_DEP_1)
	v_cmpx_ne_u16_e32 0, v16
	s_cbranch_execz .LBB214_1742
; %bb.1735:                             ;   in Loop: Header=BB214_1581 Depth=1
	v_mov_b64_e32 v[12:13], 0x80000000
	s_mov_b32 s9, exec_lo
	v_cmpx_ne_u16_e32 0x80, v16
	s_cbranch_execz .LBB214_1741
; %bb.1736:                             ;   in Loop: Header=BB214_1581 Depth=1
	v_mov_b64_e32 v[12:13], 0x7f800001
	v_bfe_u32 v16, v14, 16, 7
	s_mov_b32 s14, exec_lo
	s_delay_alu instid0(VALU_DEP_1)
	v_cmpx_ne_u32_e32 0x7f, v16
	s_cbranch_execz .LBB214_1740
; %bb.1737:                             ;   in Loop: Header=BB214_1581 Depth=1
	v_dual_lshrrev_b32 v12, 3, v16 :: v_dual_bitop2_b32 v24, 7, v15 bitop3:0x40
	s_mov_b32 s15, exec_lo
	v_cmpx_gt_u32_e32 8, v16
; %bb.1738:                             ;   in Loop: Header=BB214_1581 Depth=1
	s_delay_alu instid0(VALU_DEP_2) | instskip(NEXT) | instid1(VALU_DEP_1)
	v_clz_i32_u32_e32 v12, v24
	v_min_u32_e32 v12, 32, v12
	s_delay_alu instid0(VALU_DEP_1) | instskip(SKIP_1) | instid1(VALU_DEP_2)
	v_subrev_nc_u32_e32 v13, 28, v12
	v_sub_nc_u32_e32 v12, 29, v12
	v_lshlrev_b64_e32 v[16:17], v13, v[24:25]
	s_delay_alu instid0(VALU_DEP_1)
	v_and_b32_e32 v24, 7, v16
; %bb.1739:                             ;   in Loop: Header=BB214_1581 Depth=1
	s_or_b32 exec_lo, exec_lo, s15
	s_delay_alu instid0(VALU_DEP_1) | instskip(SKIP_1) | instid1(VALU_DEP_2)
	v_dual_lshlrev_b32 v13, 24, v15 :: v_dual_lshlrev_b32 v15, 20, v24
	v_lshl_add_u32 v12, v12, 23, 0x3c000000
	v_and_b32_e32 v13, 0x80000000, v13
	s_delay_alu instid0(VALU_DEP_1) | instskip(NEXT) | instid1(VALU_DEP_1)
	v_or3_b32 v24, v15, v13, v12
	v_mov_b64_e32 v[12:13], v[24:25]
.LBB214_1740:                           ;   in Loop: Header=BB214_1581 Depth=1
	s_or_b32 exec_lo, exec_lo, s14
.LBB214_1741:                           ;   in Loop: Header=BB214_1581 Depth=1
	s_delay_alu instid0(SALU_CYCLE_1)
	s_or_b32 exec_lo, exec_lo, s9
.LBB214_1742:                           ;   in Loop: Header=BB214_1581 Depth=1
	s_delay_alu instid0(SALU_CYCLE_1) | instskip(NEXT) | instid1(SALU_CYCLE_1)
	s_or_b32 exec_lo, exec_lo, s8
	s_mov_b32 s8, exec_lo
	v_cmpx_lt_u32_e32 0xffffff, v14
	s_cbranch_execz .LBB214_1750
; %bb.1743:                             ;   in Loop: Header=BB214_1581 Depth=1
	v_mov_b64_e32 v[10:11], 0x8000000000000000
	v_lshrrev_b32_e32 v15, 24, v14
	s_mov_b32 s9, exec_lo
	s_delay_alu instid0(VALU_DEP_1)
	v_cmpx_ne_u32_e32 0x80, v15
	s_cbranch_execz .LBB214_1749
; %bb.1744:                             ;   in Loop: Header=BB214_1581 Depth=1
	v_mov_b64_e32 v[10:11], 0x7f80000100000000
	v_bfe_u32 v14, v14, 24, 7
	s_mov_b32 s14, exec_lo
	s_delay_alu instid0(VALU_DEP_1)
	v_cmpx_ne_u32_e32 0x7f, v14
	s_cbranch_execz .LBB214_1748
; %bb.1745:                             ;   in Loop: Header=BB214_1581 Depth=1
	v_dual_lshrrev_b32 v10, 3, v14 :: v_dual_bitop2_b32 v24, 7, v15 bitop3:0x40
	s_mov_b32 s15, exec_lo
	v_cmpx_gt_u32_e32 8, v14
; %bb.1746:                             ;   in Loop: Header=BB214_1581 Depth=1
	s_delay_alu instid0(VALU_DEP_2) | instskip(NEXT) | instid1(VALU_DEP_1)
	v_clz_i32_u32_e32 v10, v24
	v_min_u32_e32 v10, 32, v10
	s_delay_alu instid0(VALU_DEP_1) | instskip(NEXT) | instid1(VALU_DEP_1)
	v_subrev_nc_u32_e32 v11, 28, v10
	v_lshlrev_b64_e32 v[16:17], v11, v[24:25]
	s_delay_alu instid0(VALU_DEP_1)
	v_dual_sub_nc_u32 v10, 29, v10 :: v_dual_bitop2_b32 v24, 7, v16 bitop3:0x40
; %bb.1747:                             ;   in Loop: Header=BB214_1581 Depth=1
	s_or_b32 exec_lo, exec_lo, s15
	s_delay_alu instid0(VALU_DEP_1) | instskip(NEXT) | instid1(VALU_DEP_2)
	v_dual_lshlrev_b32 v11, 24, v15 :: v_dual_lshlrev_b32 v14, 20, v24
	v_lshl_add_u32 v10, v10, 23, 0x3c000000
	s_delay_alu instid0(VALU_DEP_2) | instskip(NEXT) | instid1(VALU_DEP_1)
	v_and_b32_e32 v11, 0x80000000, v11
	v_or3_b32 v11, v14, v11, v10
	v_mov_b32_e32 v10, v25
.LBB214_1748:                           ;   in Loop: Header=BB214_1581 Depth=1
	s_or_b32 exec_lo, exec_lo, s14
.LBB214_1749:                           ;   in Loop: Header=BB214_1581 Depth=1
	s_delay_alu instid0(SALU_CYCLE_1)
	s_or_b32 exec_lo, exec_lo, s9
.LBB214_1750:                           ;   in Loop: Header=BB214_1581 Depth=1
	s_delay_alu instid0(SALU_CYCLE_1) | instskip(SKIP_4) | instid1(VALU_DEP_3)
	s_or_b32 exec_lo, exec_lo, s8
	v_or_b32_e32 v7, v7, v9
	v_or_b32_e32 v6, v6, v8
	;; [unrolled: 1-line block ×4, first 2 shown]
	v_pk_mul_f32 v[6:7], v[114:115], v[6:7]
	scratch_store_b64 off, v[6:7], s32 offset:192 ; 8-byte Folded Spill
	s_wait_xcnt 0x0
	v_pk_mul_f32 v[6:7], v[114:115], v[8:9]
	scratch_store_b64 off, v[6:7], s32 offset:308 ; 8-byte Folded Spill
	s_wait_xcnt 0x0
	s_and_saveexec_b32 s8, vcc_lo
	s_cbranch_execz .LBB214_1752
; %bb.1751:                             ;   in Loop: Header=BB214_1581 Depth=1
	scratch_load_b64 v[6:7], off, s32 offset:200 ; 8-byte Folded Reload
	s_wait_loadcnt 0x0
	v_mov_b32_e32 v8, v6
	scratch_load_b64 v[6:7], off, s32 offset:192 th:TH_LOAD_LU ; 8-byte Folded Reload
	v_cmp_lt_i32_e64 s0, v29, v8
	s_wait_loadcnt 0x0
	s_delay_alu instid0(VALU_DEP_1) | instskip(SKIP_1) | instid1(VALU_DEP_1)
	v_cndmask_b32_e64 v6, 0, v6, s0
	v_cmp_lt_i32_e64 s0, v30, v8
	v_cndmask_b32_e64 v7, 0, v7, s0
	v_cmp_lt_i32_e64 s0, v32, v8
	s_clause 0x1
	scratch_store_b64 off, v[6:7], s32 offset:192
	scratch_load_b64 v[6:7], off, s32 offset:308 th:TH_LOAD_LU
	s_wait_loadcnt 0x0
	v_cndmask_b32_e64 v6, 0, v6, s0
	v_cmp_lt_i32_e64 s0, v31, v8
	s_delay_alu instid0(VALU_DEP_1)
	v_cndmask_b32_e64 v7, 0, v7, s0
	scratch_store_b64 off, v[6:7], s32 offset:308 ; 8-byte Folded Spill
.LBB214_1752:                           ;   in Loop: Header=BB214_1581 Depth=1
	s_wait_xcnt 0x0
	s_or_b32 exec_lo, exec_lo, s8
	flat_load_b32 v14, v[0:1] offset:640
	v_mov_b64_e32 v[6:7], 0
	v_mov_b64_e32 v[8:9], 0
	s_mov_b32 s8, exec_lo
	s_wait_loadcnt_dscnt 0x0
	v_and_b32_e32 v10, 0xff, v14
	s_wait_xcnt 0x0
	s_delay_alu instid0(VALU_DEP_1)
	v_cmpx_ne_u16_e32 0, v10
	s_cbranch_execz .LBB214_1760
; %bb.1753:                             ;   in Loop: Header=BB214_1581 Depth=1
	v_mov_b64_e32 v[8:9], 0x80000000
	s_mov_b32 s9, exec_lo
	v_cmpx_ne_u16_e32 0x80, v10
	s_cbranch_execz .LBB214_1759
; %bb.1754:                             ;   in Loop: Header=BB214_1581 Depth=1
	v_mov_b64_e32 v[8:9], 0x7f800001
	v_and_b32_e32 v10, 0x7f, v14
	s_mov_b32 s14, exec_lo
	s_delay_alu instid0(VALU_DEP_1)
	v_cmpx_ne_u32_e32 0x7f, v10
	s_cbranch_execz .LBB214_1758
; %bb.1755:                             ;   in Loop: Header=BB214_1581 Depth=1
	v_and_b32_e32 v24, 7, v14
	v_lshrrev_b32_e32 v8, 3, v10
	s_mov_b32 s15, exec_lo
	v_cmpx_gt_u32_e32 8, v10
; %bb.1756:                             ;   in Loop: Header=BB214_1581 Depth=1
	s_delay_alu instid0(VALU_DEP_3) | instskip(NEXT) | instid1(VALU_DEP_1)
	v_clz_i32_u32_e32 v8, v24
	v_min_u32_e32 v8, 32, v8
	s_delay_alu instid0(VALU_DEP_1) | instskip(NEXT) | instid1(VALU_DEP_1)
	v_subrev_nc_u32_e32 v9, 28, v8
	v_lshlrev_b64_e32 v[10:11], v9, v[24:25]
	s_delay_alu instid0(VALU_DEP_1)
	v_dual_sub_nc_u32 v8, 29, v8 :: v_dual_bitop2_b32 v24, 7, v10 bitop3:0x40
; %bb.1757:                             ;   in Loop: Header=BB214_1581 Depth=1
	s_or_b32 exec_lo, exec_lo, s15
	s_delay_alu instid0(VALU_DEP_1) | instskip(NEXT) | instid1(VALU_DEP_2)
	v_dual_lshlrev_b32 v9, 24, v14 :: v_dual_lshlrev_b32 v10, 20, v24
	v_lshl_add_u32 v8, v8, 23, 0x3c000000
	s_delay_alu instid0(VALU_DEP_2) | instskip(NEXT) | instid1(VALU_DEP_1)
	v_and_b32_e32 v9, 0x80000000, v9
	v_or3_b32 v24, v10, v9, v8
	s_delay_alu instid0(VALU_DEP_1)
	v_mov_b64_e32 v[8:9], v[24:25]
.LBB214_1758:                           ;   in Loop: Header=BB214_1581 Depth=1
	s_or_b32 exec_lo, exec_lo, s14
.LBB214_1759:                           ;   in Loop: Header=BB214_1581 Depth=1
	s_delay_alu instid0(SALU_CYCLE_1)
	s_or_b32 exec_lo, exec_lo, s9
.LBB214_1760:                           ;   in Loop: Header=BB214_1581 Depth=1
	s_delay_alu instid0(SALU_CYCLE_1) | instskip(SKIP_2) | instid1(VALU_DEP_1)
	s_or_b32 exec_lo, exec_lo, s8
	v_lshrrev_b16 v10, 8, v14
	s_mov_b32 s8, exec_lo
	v_cmpx_ne_u16_e32 0, v10
	s_cbranch_execz .LBB214_1768
; %bb.1761:                             ;   in Loop: Header=BB214_1581 Depth=1
	v_mov_b64_e32 v[6:7], 0x8000000000000000
	s_mov_b32 s9, exec_lo
	v_cmpx_ne_u16_e32 0x80, v10
	s_cbranch_execz .LBB214_1767
; %bb.1762:                             ;   in Loop: Header=BB214_1581 Depth=1
	v_and_b32_e32 v11, 0xffff, v10
	v_mov_b64_e32 v[6:7], 0x7f80000100000000
	s_mov_b32 s14, exec_lo
	s_delay_alu instid0(VALU_DEP_2) | instskip(NEXT) | instid1(VALU_DEP_1)
	v_and_b32_e32 v10, 0x7f, v11
	v_cmpx_ne_u32_e32 0x7f, v10
	s_cbranch_execz .LBB214_1766
; %bb.1763:                             ;   in Loop: Header=BB214_1581 Depth=1
	v_dual_lshrrev_b32 v6, 3, v10 :: v_dual_bitop2_b32 v24, 7, v11 bitop3:0x40
	s_mov_b32 s15, exec_lo
	v_cmpx_gt_u32_e32 8, v10
; %bb.1764:                             ;   in Loop: Header=BB214_1581 Depth=1
	s_delay_alu instid0(VALU_DEP_2) | instskip(NEXT) | instid1(VALU_DEP_1)
	v_clz_i32_u32_e32 v6, v24
	v_min_u32_e32 v6, 32, v6
	s_delay_alu instid0(VALU_DEP_1) | instskip(SKIP_1) | instid1(VALU_DEP_2)
	v_subrev_nc_u32_e32 v7, 28, v6
	v_sub_nc_u32_e32 v6, 29, v6
	v_lshlrev_b64_e32 v[10:11], v7, v[24:25]
	s_delay_alu instid0(VALU_DEP_1)
	v_and_b32_e32 v24, 7, v10
; %bb.1765:                             ;   in Loop: Header=BB214_1581 Depth=1
	s_or_b32 exec_lo, exec_lo, s15
	s_delay_alu instid0(VALU_DEP_1) | instskip(SKIP_1) | instid1(VALU_DEP_2)
	v_dual_lshlrev_b32 v7, 16, v14 :: v_dual_lshlrev_b32 v10, 20, v24
	v_lshl_add_u32 v6, v6, 23, 0x3c000000
	v_and_b32_e32 v7, 0x80000000, v7
	s_delay_alu instid0(VALU_DEP_1)
	v_or3_b32 v7, v10, v7, v6
	v_mov_b32_e32 v6, v25
.LBB214_1766:                           ;   in Loop: Header=BB214_1581 Depth=1
	s_or_b32 exec_lo, exec_lo, s14
.LBB214_1767:                           ;   in Loop: Header=BB214_1581 Depth=1
	s_delay_alu instid0(SALU_CYCLE_1)
	s_or_b32 exec_lo, exec_lo, s9
.LBB214_1768:                           ;   in Loop: Header=BB214_1581 Depth=1
	s_delay_alu instid0(SALU_CYCLE_1) | instskip(SKIP_4) | instid1(VALU_DEP_3)
	s_or_b32 exec_lo, exec_lo, s8
	v_lshrrev_b32_e32 v15, 16, v14
	v_mov_b64_e32 v[10:11], 0
	v_mov_b64_e32 v[12:13], 0
	s_mov_b32 s8, exec_lo
	v_and_b32_e32 v16, 0xff, v15
	s_delay_alu instid0(VALU_DEP_1)
	v_cmpx_ne_u16_e32 0, v16
	s_cbranch_execz .LBB214_1776
; %bb.1769:                             ;   in Loop: Header=BB214_1581 Depth=1
	v_mov_b64_e32 v[12:13], 0x80000000
	s_mov_b32 s9, exec_lo
	v_cmpx_ne_u16_e32 0x80, v16
	s_cbranch_execz .LBB214_1775
; %bb.1770:                             ;   in Loop: Header=BB214_1581 Depth=1
	v_mov_b64_e32 v[12:13], 0x7f800001
	v_bfe_u32 v16, v14, 16, 7
	s_mov_b32 s14, exec_lo
	s_delay_alu instid0(VALU_DEP_1)
	v_cmpx_ne_u32_e32 0x7f, v16
	s_cbranch_execz .LBB214_1774
; %bb.1771:                             ;   in Loop: Header=BB214_1581 Depth=1
	v_dual_lshrrev_b32 v12, 3, v16 :: v_dual_bitop2_b32 v24, 7, v15 bitop3:0x40
	s_mov_b32 s15, exec_lo
	v_cmpx_gt_u32_e32 8, v16
; %bb.1772:                             ;   in Loop: Header=BB214_1581 Depth=1
	s_delay_alu instid0(VALU_DEP_2) | instskip(NEXT) | instid1(VALU_DEP_1)
	v_clz_i32_u32_e32 v12, v24
	v_min_u32_e32 v12, 32, v12
	s_delay_alu instid0(VALU_DEP_1) | instskip(SKIP_1) | instid1(VALU_DEP_2)
	v_subrev_nc_u32_e32 v13, 28, v12
	v_sub_nc_u32_e32 v12, 29, v12
	v_lshlrev_b64_e32 v[16:17], v13, v[24:25]
	s_delay_alu instid0(VALU_DEP_1)
	v_and_b32_e32 v24, 7, v16
; %bb.1773:                             ;   in Loop: Header=BB214_1581 Depth=1
	s_or_b32 exec_lo, exec_lo, s15
	s_delay_alu instid0(VALU_DEP_1) | instskip(SKIP_1) | instid1(VALU_DEP_2)
	v_dual_lshlrev_b32 v13, 24, v15 :: v_dual_lshlrev_b32 v15, 20, v24
	v_lshl_add_u32 v12, v12, 23, 0x3c000000
	v_and_b32_e32 v13, 0x80000000, v13
	s_delay_alu instid0(VALU_DEP_1) | instskip(NEXT) | instid1(VALU_DEP_1)
	v_or3_b32 v24, v15, v13, v12
	v_mov_b64_e32 v[12:13], v[24:25]
.LBB214_1774:                           ;   in Loop: Header=BB214_1581 Depth=1
	s_or_b32 exec_lo, exec_lo, s14
.LBB214_1775:                           ;   in Loop: Header=BB214_1581 Depth=1
	s_delay_alu instid0(SALU_CYCLE_1)
	s_or_b32 exec_lo, exec_lo, s9
.LBB214_1776:                           ;   in Loop: Header=BB214_1581 Depth=1
	s_delay_alu instid0(SALU_CYCLE_1) | instskip(NEXT) | instid1(SALU_CYCLE_1)
	s_or_b32 exec_lo, exec_lo, s8
	s_mov_b32 s8, exec_lo
	v_cmpx_lt_u32_e32 0xffffff, v14
	s_cbranch_execz .LBB214_1784
; %bb.1777:                             ;   in Loop: Header=BB214_1581 Depth=1
	v_mov_b64_e32 v[10:11], 0x8000000000000000
	v_lshrrev_b32_e32 v15, 24, v14
	s_mov_b32 s9, exec_lo
	s_delay_alu instid0(VALU_DEP_1)
	v_cmpx_ne_u32_e32 0x80, v15
	s_cbranch_execz .LBB214_1783
; %bb.1778:                             ;   in Loop: Header=BB214_1581 Depth=1
	v_mov_b64_e32 v[10:11], 0x7f80000100000000
	v_bfe_u32 v14, v14, 24, 7
	s_mov_b32 s14, exec_lo
	s_delay_alu instid0(VALU_DEP_1)
	v_cmpx_ne_u32_e32 0x7f, v14
	s_cbranch_execz .LBB214_1782
; %bb.1779:                             ;   in Loop: Header=BB214_1581 Depth=1
	v_dual_lshrrev_b32 v10, 3, v14 :: v_dual_bitop2_b32 v24, 7, v15 bitop3:0x40
	s_mov_b32 s15, exec_lo
	v_cmpx_gt_u32_e32 8, v14
; %bb.1780:                             ;   in Loop: Header=BB214_1581 Depth=1
	s_delay_alu instid0(VALU_DEP_2) | instskip(NEXT) | instid1(VALU_DEP_1)
	v_clz_i32_u32_e32 v10, v24
	v_min_u32_e32 v10, 32, v10
	s_delay_alu instid0(VALU_DEP_1) | instskip(NEXT) | instid1(VALU_DEP_1)
	v_subrev_nc_u32_e32 v11, 28, v10
	v_lshlrev_b64_e32 v[16:17], v11, v[24:25]
	s_delay_alu instid0(VALU_DEP_1)
	v_dual_sub_nc_u32 v10, 29, v10 :: v_dual_bitop2_b32 v24, 7, v16 bitop3:0x40
; %bb.1781:                             ;   in Loop: Header=BB214_1581 Depth=1
	s_or_b32 exec_lo, exec_lo, s15
	s_delay_alu instid0(VALU_DEP_1) | instskip(NEXT) | instid1(VALU_DEP_2)
	v_dual_lshlrev_b32 v11, 24, v15 :: v_dual_lshlrev_b32 v14, 20, v24
	v_lshl_add_u32 v10, v10, 23, 0x3c000000
	s_delay_alu instid0(VALU_DEP_2) | instskip(NEXT) | instid1(VALU_DEP_1)
	v_and_b32_e32 v11, 0x80000000, v11
	v_or3_b32 v11, v14, v11, v10
	v_mov_b32_e32 v10, v25
.LBB214_1782:                           ;   in Loop: Header=BB214_1581 Depth=1
	s_or_b32 exec_lo, exec_lo, s14
.LBB214_1783:                           ;   in Loop: Header=BB214_1581 Depth=1
	s_delay_alu instid0(SALU_CYCLE_1)
	s_or_b32 exec_lo, exec_lo, s9
.LBB214_1784:                           ;   in Loop: Header=BB214_1581 Depth=1
	s_delay_alu instid0(SALU_CYCLE_1) | instskip(SKIP_4) | instid1(VALU_DEP_3)
	s_or_b32 exec_lo, exec_lo, s8
	v_or_b32_e32 v7, v7, v9
	v_or_b32_e32 v6, v6, v8
	v_or_b32_e32 v9, v11, v13
	v_or_b32_e32 v8, v10, v12
	v_pk_mul_f32 v[6:7], v[114:115], v[6:7]
	scratch_store_b64 off, v[6:7], s32 offset:324 ; 8-byte Folded Spill
	s_wait_xcnt 0x0
	v_pk_mul_f32 v[6:7], v[114:115], v[8:9]
	scratch_store_b64 off, v[6:7], s32 offset:316 ; 8-byte Folded Spill
	s_wait_xcnt 0x0
	s_and_saveexec_b32 s8, vcc_lo
	s_cbranch_execz .LBB214_1786
; %bb.1785:                             ;   in Loop: Header=BB214_1581 Depth=1
	s_clause 0x1
	scratch_load_b64 v[6:7], off, s32 offset:200
	scratch_load_b64 v[8:9], off, s32 offset:324 th:TH_LOAD_LU
	s_wait_loadcnt 0x1
	v_cmp_lt_i32_e64 s0, v29, v6
	s_wait_loadcnt 0x0
	s_delay_alu instid0(VALU_DEP_1) | instskip(SKIP_1) | instid1(VALU_DEP_1)
	v_cndmask_b32_e64 v8, 0, v8, s0
	v_cmp_lt_i32_e64 s0, v30, v6
	v_cndmask_b32_e64 v9, 0, v9, s0
	v_cmp_lt_i32_e64 s0, v32, v6
	s_clause 0x1
	scratch_store_b64 off, v[8:9], s32 offset:324
	scratch_load_b64 v[8:9], off, s32 offset:316 th:TH_LOAD_LU
	s_wait_loadcnt 0x0
	v_cndmask_b32_e64 v8, 0, v8, s0
	v_cmp_lt_i32_e64 s0, v31, v6
	s_delay_alu instid0(VALU_DEP_1)
	v_cndmask_b32_e64 v9, 0, v9, s0
	scratch_store_b64 off, v[8:9], s32 offset:316 ; 8-byte Folded Spill
.LBB214_1786:                           ;   in Loop: Header=BB214_1581 Depth=1
	s_wait_xcnt 0x0
	s_or_b32 exec_lo, exec_lo, s8
	flat_load_b32 v14, v[0:1] offset:768
	v_mov_b64_e32 v[6:7], 0
	v_mov_b64_e32 v[8:9], 0
	s_mov_b32 s8, exec_lo
	s_wait_loadcnt_dscnt 0x0
	v_and_b32_e32 v10, 0xff, v14
	s_wait_xcnt 0x0
	s_delay_alu instid0(VALU_DEP_1)
	v_cmpx_ne_u16_e32 0, v10
	s_cbranch_execz .LBB214_1794
; %bb.1787:                             ;   in Loop: Header=BB214_1581 Depth=1
	v_mov_b64_e32 v[8:9], 0x80000000
	s_mov_b32 s9, exec_lo
	v_cmpx_ne_u16_e32 0x80, v10
	s_cbranch_execz .LBB214_1793
; %bb.1788:                             ;   in Loop: Header=BB214_1581 Depth=1
	v_mov_b64_e32 v[8:9], 0x7f800001
	v_and_b32_e32 v10, 0x7f, v14
	s_mov_b32 s14, exec_lo
	s_delay_alu instid0(VALU_DEP_1)
	v_cmpx_ne_u32_e32 0x7f, v10
	s_cbranch_execz .LBB214_1792
; %bb.1789:                             ;   in Loop: Header=BB214_1581 Depth=1
	v_and_b32_e32 v24, 7, v14
	v_lshrrev_b32_e32 v8, 3, v10
	s_mov_b32 s15, exec_lo
	v_cmpx_gt_u32_e32 8, v10
; %bb.1790:                             ;   in Loop: Header=BB214_1581 Depth=1
	s_delay_alu instid0(VALU_DEP_3) | instskip(NEXT) | instid1(VALU_DEP_1)
	v_clz_i32_u32_e32 v8, v24
	v_min_u32_e32 v8, 32, v8
	s_delay_alu instid0(VALU_DEP_1) | instskip(NEXT) | instid1(VALU_DEP_1)
	v_subrev_nc_u32_e32 v9, 28, v8
	v_lshlrev_b64_e32 v[10:11], v9, v[24:25]
	s_delay_alu instid0(VALU_DEP_1)
	v_dual_sub_nc_u32 v8, 29, v8 :: v_dual_bitop2_b32 v24, 7, v10 bitop3:0x40
; %bb.1791:                             ;   in Loop: Header=BB214_1581 Depth=1
	s_or_b32 exec_lo, exec_lo, s15
	s_delay_alu instid0(VALU_DEP_1) | instskip(NEXT) | instid1(VALU_DEP_2)
	v_dual_lshlrev_b32 v9, 24, v14 :: v_dual_lshlrev_b32 v10, 20, v24
	v_lshl_add_u32 v8, v8, 23, 0x3c000000
	s_delay_alu instid0(VALU_DEP_2) | instskip(NEXT) | instid1(VALU_DEP_1)
	v_and_b32_e32 v9, 0x80000000, v9
	v_or3_b32 v24, v10, v9, v8
	s_delay_alu instid0(VALU_DEP_1)
	v_mov_b64_e32 v[8:9], v[24:25]
.LBB214_1792:                           ;   in Loop: Header=BB214_1581 Depth=1
	s_or_b32 exec_lo, exec_lo, s14
.LBB214_1793:                           ;   in Loop: Header=BB214_1581 Depth=1
	s_delay_alu instid0(SALU_CYCLE_1)
	s_or_b32 exec_lo, exec_lo, s9
.LBB214_1794:                           ;   in Loop: Header=BB214_1581 Depth=1
	s_delay_alu instid0(SALU_CYCLE_1) | instskip(SKIP_2) | instid1(VALU_DEP_1)
	s_or_b32 exec_lo, exec_lo, s8
	v_lshrrev_b16 v10, 8, v14
	s_mov_b32 s8, exec_lo
	v_cmpx_ne_u16_e32 0, v10
	s_cbranch_execz .LBB214_1802
; %bb.1795:                             ;   in Loop: Header=BB214_1581 Depth=1
	v_mov_b64_e32 v[6:7], 0x8000000000000000
	s_mov_b32 s9, exec_lo
	v_cmpx_ne_u16_e32 0x80, v10
	s_cbranch_execz .LBB214_1801
; %bb.1796:                             ;   in Loop: Header=BB214_1581 Depth=1
	v_and_b32_e32 v11, 0xffff, v10
	v_mov_b64_e32 v[6:7], 0x7f80000100000000
	s_mov_b32 s14, exec_lo
	s_delay_alu instid0(VALU_DEP_2) | instskip(NEXT) | instid1(VALU_DEP_1)
	v_and_b32_e32 v10, 0x7f, v11
	v_cmpx_ne_u32_e32 0x7f, v10
	s_cbranch_execz .LBB214_1800
; %bb.1797:                             ;   in Loop: Header=BB214_1581 Depth=1
	v_dual_lshrrev_b32 v6, 3, v10 :: v_dual_bitop2_b32 v24, 7, v11 bitop3:0x40
	s_mov_b32 s15, exec_lo
	v_cmpx_gt_u32_e32 8, v10
; %bb.1798:                             ;   in Loop: Header=BB214_1581 Depth=1
	s_delay_alu instid0(VALU_DEP_2) | instskip(NEXT) | instid1(VALU_DEP_1)
	v_clz_i32_u32_e32 v6, v24
	v_min_u32_e32 v6, 32, v6
	s_delay_alu instid0(VALU_DEP_1) | instskip(SKIP_1) | instid1(VALU_DEP_2)
	v_subrev_nc_u32_e32 v7, 28, v6
	v_sub_nc_u32_e32 v6, 29, v6
	v_lshlrev_b64_e32 v[10:11], v7, v[24:25]
	s_delay_alu instid0(VALU_DEP_1)
	v_and_b32_e32 v24, 7, v10
; %bb.1799:                             ;   in Loop: Header=BB214_1581 Depth=1
	s_or_b32 exec_lo, exec_lo, s15
	s_delay_alu instid0(VALU_DEP_1) | instskip(SKIP_1) | instid1(VALU_DEP_2)
	v_dual_lshlrev_b32 v7, 16, v14 :: v_dual_lshlrev_b32 v10, 20, v24
	v_lshl_add_u32 v6, v6, 23, 0x3c000000
	v_and_b32_e32 v7, 0x80000000, v7
	s_delay_alu instid0(VALU_DEP_1)
	v_or3_b32 v7, v10, v7, v6
	v_mov_b32_e32 v6, v25
.LBB214_1800:                           ;   in Loop: Header=BB214_1581 Depth=1
	s_or_b32 exec_lo, exec_lo, s14
.LBB214_1801:                           ;   in Loop: Header=BB214_1581 Depth=1
	s_delay_alu instid0(SALU_CYCLE_1)
	s_or_b32 exec_lo, exec_lo, s9
.LBB214_1802:                           ;   in Loop: Header=BB214_1581 Depth=1
	s_delay_alu instid0(SALU_CYCLE_1) | instskip(SKIP_4) | instid1(VALU_DEP_3)
	s_or_b32 exec_lo, exec_lo, s8
	v_lshrrev_b32_e32 v15, 16, v14
	v_mov_b64_e32 v[10:11], 0
	v_mov_b64_e32 v[12:13], 0
	s_mov_b32 s8, exec_lo
	v_and_b32_e32 v16, 0xff, v15
	s_delay_alu instid0(VALU_DEP_1)
	v_cmpx_ne_u16_e32 0, v16
	s_cbranch_execz .LBB214_1810
; %bb.1803:                             ;   in Loop: Header=BB214_1581 Depth=1
	v_mov_b64_e32 v[12:13], 0x80000000
	s_mov_b32 s9, exec_lo
	v_cmpx_ne_u16_e32 0x80, v16
	s_cbranch_execz .LBB214_1809
; %bb.1804:                             ;   in Loop: Header=BB214_1581 Depth=1
	v_mov_b64_e32 v[12:13], 0x7f800001
	v_bfe_u32 v16, v14, 16, 7
	s_mov_b32 s14, exec_lo
	s_delay_alu instid0(VALU_DEP_1)
	v_cmpx_ne_u32_e32 0x7f, v16
	s_cbranch_execz .LBB214_1808
; %bb.1805:                             ;   in Loop: Header=BB214_1581 Depth=1
	v_dual_lshrrev_b32 v12, 3, v16 :: v_dual_bitop2_b32 v24, 7, v15 bitop3:0x40
	s_mov_b32 s15, exec_lo
	v_cmpx_gt_u32_e32 8, v16
; %bb.1806:                             ;   in Loop: Header=BB214_1581 Depth=1
	s_delay_alu instid0(VALU_DEP_2) | instskip(NEXT) | instid1(VALU_DEP_1)
	v_clz_i32_u32_e32 v12, v24
	v_min_u32_e32 v12, 32, v12
	s_delay_alu instid0(VALU_DEP_1) | instskip(SKIP_1) | instid1(VALU_DEP_2)
	v_subrev_nc_u32_e32 v13, 28, v12
	v_sub_nc_u32_e32 v12, 29, v12
	v_lshlrev_b64_e32 v[16:17], v13, v[24:25]
	s_delay_alu instid0(VALU_DEP_1)
	v_and_b32_e32 v24, 7, v16
; %bb.1807:                             ;   in Loop: Header=BB214_1581 Depth=1
	s_or_b32 exec_lo, exec_lo, s15
	s_delay_alu instid0(VALU_DEP_1) | instskip(SKIP_1) | instid1(VALU_DEP_2)
	v_dual_lshlrev_b32 v13, 24, v15 :: v_dual_lshlrev_b32 v15, 20, v24
	v_lshl_add_u32 v12, v12, 23, 0x3c000000
	v_and_b32_e32 v13, 0x80000000, v13
	s_delay_alu instid0(VALU_DEP_1) | instskip(NEXT) | instid1(VALU_DEP_1)
	v_or3_b32 v24, v15, v13, v12
	v_mov_b64_e32 v[12:13], v[24:25]
.LBB214_1808:                           ;   in Loop: Header=BB214_1581 Depth=1
	s_or_b32 exec_lo, exec_lo, s14
.LBB214_1809:                           ;   in Loop: Header=BB214_1581 Depth=1
	s_delay_alu instid0(SALU_CYCLE_1)
	s_or_b32 exec_lo, exec_lo, s9
.LBB214_1810:                           ;   in Loop: Header=BB214_1581 Depth=1
	s_delay_alu instid0(SALU_CYCLE_1) | instskip(NEXT) | instid1(SALU_CYCLE_1)
	s_or_b32 exec_lo, exec_lo, s8
	s_mov_b32 s8, exec_lo
	v_cmpx_lt_u32_e32 0xffffff, v14
	s_cbranch_execz .LBB214_1818
; %bb.1811:                             ;   in Loop: Header=BB214_1581 Depth=1
	v_mov_b64_e32 v[10:11], 0x8000000000000000
	v_lshrrev_b32_e32 v15, 24, v14
	s_mov_b32 s9, exec_lo
	s_delay_alu instid0(VALU_DEP_1)
	v_cmpx_ne_u32_e32 0x80, v15
	s_cbranch_execz .LBB214_1817
; %bb.1812:                             ;   in Loop: Header=BB214_1581 Depth=1
	v_mov_b64_e32 v[10:11], 0x7f80000100000000
	v_bfe_u32 v14, v14, 24, 7
	s_mov_b32 s14, exec_lo
	s_delay_alu instid0(VALU_DEP_1)
	v_cmpx_ne_u32_e32 0x7f, v14
	s_cbranch_execz .LBB214_1816
; %bb.1813:                             ;   in Loop: Header=BB214_1581 Depth=1
	v_dual_lshrrev_b32 v10, 3, v14 :: v_dual_bitop2_b32 v24, 7, v15 bitop3:0x40
	s_mov_b32 s15, exec_lo
	v_cmpx_gt_u32_e32 8, v14
; %bb.1814:                             ;   in Loop: Header=BB214_1581 Depth=1
	s_delay_alu instid0(VALU_DEP_2) | instskip(NEXT) | instid1(VALU_DEP_1)
	v_clz_i32_u32_e32 v10, v24
	v_min_u32_e32 v10, 32, v10
	s_delay_alu instid0(VALU_DEP_1) | instskip(NEXT) | instid1(VALU_DEP_1)
	v_subrev_nc_u32_e32 v11, 28, v10
	v_lshlrev_b64_e32 v[16:17], v11, v[24:25]
	s_delay_alu instid0(VALU_DEP_1)
	v_dual_sub_nc_u32 v10, 29, v10 :: v_dual_bitop2_b32 v24, 7, v16 bitop3:0x40
; %bb.1815:                             ;   in Loop: Header=BB214_1581 Depth=1
	s_or_b32 exec_lo, exec_lo, s15
	s_delay_alu instid0(VALU_DEP_1) | instskip(NEXT) | instid1(VALU_DEP_2)
	v_dual_lshlrev_b32 v11, 24, v15 :: v_dual_lshlrev_b32 v14, 20, v24
	v_lshl_add_u32 v10, v10, 23, 0x3c000000
	s_delay_alu instid0(VALU_DEP_2) | instskip(NEXT) | instid1(VALU_DEP_1)
	v_and_b32_e32 v11, 0x80000000, v11
	v_or3_b32 v11, v14, v11, v10
	v_mov_b32_e32 v10, v25
.LBB214_1816:                           ;   in Loop: Header=BB214_1581 Depth=1
	s_or_b32 exec_lo, exec_lo, s14
.LBB214_1817:                           ;   in Loop: Header=BB214_1581 Depth=1
	s_delay_alu instid0(SALU_CYCLE_1)
	s_or_b32 exec_lo, exec_lo, s9
.LBB214_1818:                           ;   in Loop: Header=BB214_1581 Depth=1
	s_delay_alu instid0(SALU_CYCLE_1) | instskip(SKIP_4) | instid1(VALU_DEP_3)
	s_or_b32 exec_lo, exec_lo, s8
	v_or_b32_e32 v7, v7, v9
	v_or_b32_e32 v6, v6, v8
	;; [unrolled: 1-line block ×4, first 2 shown]
	v_pk_mul_f32 v[6:7], v[114:115], v[6:7]
	scratch_store_b64 off, v[6:7], s32 offset:340 ; 8-byte Folded Spill
	s_wait_xcnt 0x0
	v_pk_mul_f32 v[6:7], v[114:115], v[8:9]
	scratch_store_b64 off, v[6:7], s32 offset:332 ; 8-byte Folded Spill
	s_wait_xcnt 0x0
	s_and_saveexec_b32 s8, vcc_lo
	s_cbranch_execz .LBB214_1820
; %bb.1819:                             ;   in Loop: Header=BB214_1581 Depth=1
	s_clause 0x1
	scratch_load_b64 v[6:7], off, s32 offset:200
	scratch_load_b64 v[8:9], off, s32 offset:340 th:TH_LOAD_LU
	s_wait_loadcnt 0x1
	v_cmp_lt_i32_e64 s0, v29, v6
	s_wait_loadcnt 0x0
	s_delay_alu instid0(VALU_DEP_1) | instskip(SKIP_1) | instid1(VALU_DEP_1)
	v_cndmask_b32_e64 v8, 0, v8, s0
	v_cmp_lt_i32_e64 s0, v30, v6
	v_cndmask_b32_e64 v9, 0, v9, s0
	v_cmp_lt_i32_e64 s0, v32, v6
	s_clause 0x1
	scratch_store_b64 off, v[8:9], s32 offset:340
	scratch_load_b64 v[8:9], off, s32 offset:332 th:TH_LOAD_LU
	s_wait_loadcnt 0x0
	v_cndmask_b32_e64 v8, 0, v8, s0
	v_cmp_lt_i32_e64 s0, v31, v6
	s_delay_alu instid0(VALU_DEP_1)
	v_cndmask_b32_e64 v9, 0, v9, s0
	scratch_store_b64 off, v[8:9], s32 offset:332 ; 8-byte Folded Spill
.LBB214_1820:                           ;   in Loop: Header=BB214_1581 Depth=1
	s_wait_xcnt 0x0
	s_or_b32 exec_lo, exec_lo, s8
	flat_load_b32 v14, v[0:1] offset:896
	v_mov_b64_e32 v[6:7], 0
	v_mov_b64_e32 v[8:9], 0
	s_mov_b32 s8, exec_lo
	s_wait_loadcnt_dscnt 0x0
	v_and_b32_e32 v10, 0xff, v14
	s_wait_xcnt 0x0
	s_delay_alu instid0(VALU_DEP_1)
	v_cmpx_ne_u16_e32 0, v10
	s_cbranch_execz .LBB214_1828
; %bb.1821:                             ;   in Loop: Header=BB214_1581 Depth=1
	v_mov_b64_e32 v[8:9], 0x80000000
	s_mov_b32 s9, exec_lo
	v_cmpx_ne_u16_e32 0x80, v10
	s_cbranch_execz .LBB214_1827
; %bb.1822:                             ;   in Loop: Header=BB214_1581 Depth=1
	v_mov_b64_e32 v[8:9], 0x7f800001
	v_and_b32_e32 v10, 0x7f, v14
	s_mov_b32 s14, exec_lo
	s_delay_alu instid0(VALU_DEP_1)
	v_cmpx_ne_u32_e32 0x7f, v10
	s_cbranch_execz .LBB214_1826
; %bb.1823:                             ;   in Loop: Header=BB214_1581 Depth=1
	v_and_b32_e32 v24, 7, v14
	v_lshrrev_b32_e32 v8, 3, v10
	s_mov_b32 s15, exec_lo
	v_cmpx_gt_u32_e32 8, v10
; %bb.1824:                             ;   in Loop: Header=BB214_1581 Depth=1
	s_delay_alu instid0(VALU_DEP_3) | instskip(NEXT) | instid1(VALU_DEP_1)
	v_clz_i32_u32_e32 v8, v24
	v_min_u32_e32 v8, 32, v8
	s_delay_alu instid0(VALU_DEP_1) | instskip(NEXT) | instid1(VALU_DEP_1)
	v_subrev_nc_u32_e32 v9, 28, v8
	v_lshlrev_b64_e32 v[10:11], v9, v[24:25]
	s_delay_alu instid0(VALU_DEP_1)
	v_dual_sub_nc_u32 v8, 29, v8 :: v_dual_bitop2_b32 v24, 7, v10 bitop3:0x40
; %bb.1825:                             ;   in Loop: Header=BB214_1581 Depth=1
	s_or_b32 exec_lo, exec_lo, s15
	s_delay_alu instid0(VALU_DEP_1) | instskip(NEXT) | instid1(VALU_DEP_2)
	v_dual_lshlrev_b32 v9, 24, v14 :: v_dual_lshlrev_b32 v10, 20, v24
	v_lshl_add_u32 v8, v8, 23, 0x3c000000
	s_delay_alu instid0(VALU_DEP_2) | instskip(NEXT) | instid1(VALU_DEP_1)
	v_and_b32_e32 v9, 0x80000000, v9
	v_or3_b32 v24, v10, v9, v8
	s_delay_alu instid0(VALU_DEP_1)
	v_mov_b64_e32 v[8:9], v[24:25]
.LBB214_1826:                           ;   in Loop: Header=BB214_1581 Depth=1
	s_or_b32 exec_lo, exec_lo, s14
.LBB214_1827:                           ;   in Loop: Header=BB214_1581 Depth=1
	s_delay_alu instid0(SALU_CYCLE_1)
	s_or_b32 exec_lo, exec_lo, s9
.LBB214_1828:                           ;   in Loop: Header=BB214_1581 Depth=1
	s_delay_alu instid0(SALU_CYCLE_1) | instskip(SKIP_2) | instid1(VALU_DEP_1)
	s_or_b32 exec_lo, exec_lo, s8
	v_lshrrev_b16 v10, 8, v14
	s_mov_b32 s8, exec_lo
	v_cmpx_ne_u16_e32 0, v10
	s_cbranch_execz .LBB214_1836
; %bb.1829:                             ;   in Loop: Header=BB214_1581 Depth=1
	v_mov_b64_e32 v[6:7], 0x8000000000000000
	s_mov_b32 s9, exec_lo
	v_cmpx_ne_u16_e32 0x80, v10
	s_cbranch_execz .LBB214_1835
; %bb.1830:                             ;   in Loop: Header=BB214_1581 Depth=1
	v_and_b32_e32 v11, 0xffff, v10
	v_mov_b64_e32 v[6:7], 0x7f80000100000000
	s_mov_b32 s14, exec_lo
	s_delay_alu instid0(VALU_DEP_2) | instskip(NEXT) | instid1(VALU_DEP_1)
	v_and_b32_e32 v10, 0x7f, v11
	v_cmpx_ne_u32_e32 0x7f, v10
	s_cbranch_execz .LBB214_1834
; %bb.1831:                             ;   in Loop: Header=BB214_1581 Depth=1
	v_dual_lshrrev_b32 v6, 3, v10 :: v_dual_bitop2_b32 v24, 7, v11 bitop3:0x40
	s_mov_b32 s15, exec_lo
	v_cmpx_gt_u32_e32 8, v10
; %bb.1832:                             ;   in Loop: Header=BB214_1581 Depth=1
	s_delay_alu instid0(VALU_DEP_2) | instskip(NEXT) | instid1(VALU_DEP_1)
	v_clz_i32_u32_e32 v6, v24
	v_min_u32_e32 v6, 32, v6
	s_delay_alu instid0(VALU_DEP_1) | instskip(SKIP_1) | instid1(VALU_DEP_2)
	v_subrev_nc_u32_e32 v7, 28, v6
	v_sub_nc_u32_e32 v6, 29, v6
	v_lshlrev_b64_e32 v[10:11], v7, v[24:25]
	s_delay_alu instid0(VALU_DEP_1)
	v_and_b32_e32 v24, 7, v10
; %bb.1833:                             ;   in Loop: Header=BB214_1581 Depth=1
	s_or_b32 exec_lo, exec_lo, s15
	s_delay_alu instid0(VALU_DEP_1) | instskip(SKIP_1) | instid1(VALU_DEP_2)
	v_dual_lshlrev_b32 v7, 16, v14 :: v_dual_lshlrev_b32 v10, 20, v24
	v_lshl_add_u32 v6, v6, 23, 0x3c000000
	v_and_b32_e32 v7, 0x80000000, v7
	s_delay_alu instid0(VALU_DEP_1)
	v_or3_b32 v7, v10, v7, v6
	v_mov_b32_e32 v6, v25
.LBB214_1834:                           ;   in Loop: Header=BB214_1581 Depth=1
	s_or_b32 exec_lo, exec_lo, s14
.LBB214_1835:                           ;   in Loop: Header=BB214_1581 Depth=1
	s_delay_alu instid0(SALU_CYCLE_1)
	s_or_b32 exec_lo, exec_lo, s9
.LBB214_1836:                           ;   in Loop: Header=BB214_1581 Depth=1
	s_delay_alu instid0(SALU_CYCLE_1) | instskip(SKIP_4) | instid1(VALU_DEP_3)
	s_or_b32 exec_lo, exec_lo, s8
	v_lshrrev_b32_e32 v15, 16, v14
	v_mov_b64_e32 v[10:11], 0
	v_mov_b64_e32 v[12:13], 0
	s_mov_b32 s8, exec_lo
	v_and_b32_e32 v16, 0xff, v15
	s_delay_alu instid0(VALU_DEP_1)
	v_cmpx_ne_u16_e32 0, v16
	s_cbranch_execz .LBB214_1844
; %bb.1837:                             ;   in Loop: Header=BB214_1581 Depth=1
	v_mov_b64_e32 v[12:13], 0x80000000
	s_mov_b32 s9, exec_lo
	v_cmpx_ne_u16_e32 0x80, v16
	s_cbranch_execz .LBB214_1843
; %bb.1838:                             ;   in Loop: Header=BB214_1581 Depth=1
	v_mov_b64_e32 v[12:13], 0x7f800001
	v_bfe_u32 v16, v14, 16, 7
	s_mov_b32 s14, exec_lo
	s_delay_alu instid0(VALU_DEP_1)
	v_cmpx_ne_u32_e32 0x7f, v16
	s_cbranch_execz .LBB214_1842
; %bb.1839:                             ;   in Loop: Header=BB214_1581 Depth=1
	v_dual_lshrrev_b32 v12, 3, v16 :: v_dual_bitop2_b32 v24, 7, v15 bitop3:0x40
	s_mov_b32 s15, exec_lo
	v_cmpx_gt_u32_e32 8, v16
; %bb.1840:                             ;   in Loop: Header=BB214_1581 Depth=1
	s_delay_alu instid0(VALU_DEP_2) | instskip(NEXT) | instid1(VALU_DEP_1)
	v_clz_i32_u32_e32 v12, v24
	v_min_u32_e32 v12, 32, v12
	s_delay_alu instid0(VALU_DEP_1) | instskip(SKIP_1) | instid1(VALU_DEP_2)
	v_subrev_nc_u32_e32 v13, 28, v12
	v_sub_nc_u32_e32 v12, 29, v12
	v_lshlrev_b64_e32 v[16:17], v13, v[24:25]
	s_delay_alu instid0(VALU_DEP_1)
	v_and_b32_e32 v24, 7, v16
; %bb.1841:                             ;   in Loop: Header=BB214_1581 Depth=1
	s_or_b32 exec_lo, exec_lo, s15
	s_delay_alu instid0(VALU_DEP_1) | instskip(SKIP_1) | instid1(VALU_DEP_2)
	v_dual_lshlrev_b32 v13, 24, v15 :: v_dual_lshlrev_b32 v15, 20, v24
	v_lshl_add_u32 v12, v12, 23, 0x3c000000
	v_and_b32_e32 v13, 0x80000000, v13
	s_delay_alu instid0(VALU_DEP_1) | instskip(NEXT) | instid1(VALU_DEP_1)
	v_or3_b32 v24, v15, v13, v12
	v_mov_b64_e32 v[12:13], v[24:25]
.LBB214_1842:                           ;   in Loop: Header=BB214_1581 Depth=1
	s_or_b32 exec_lo, exec_lo, s14
.LBB214_1843:                           ;   in Loop: Header=BB214_1581 Depth=1
	s_delay_alu instid0(SALU_CYCLE_1)
	s_or_b32 exec_lo, exec_lo, s9
.LBB214_1844:                           ;   in Loop: Header=BB214_1581 Depth=1
	s_delay_alu instid0(SALU_CYCLE_1) | instskip(NEXT) | instid1(SALU_CYCLE_1)
	s_or_b32 exec_lo, exec_lo, s8
	s_mov_b32 s8, exec_lo
	v_cmpx_lt_u32_e32 0xffffff, v14
	s_cbranch_execz .LBB214_1852
; %bb.1845:                             ;   in Loop: Header=BB214_1581 Depth=1
	v_mov_b64_e32 v[10:11], 0x8000000000000000
	v_lshrrev_b32_e32 v15, 24, v14
	s_mov_b32 s9, exec_lo
	s_delay_alu instid0(VALU_DEP_1)
	v_cmpx_ne_u32_e32 0x80, v15
	s_cbranch_execz .LBB214_1851
; %bb.1846:                             ;   in Loop: Header=BB214_1581 Depth=1
	v_mov_b64_e32 v[10:11], 0x7f80000100000000
	v_bfe_u32 v14, v14, 24, 7
	s_mov_b32 s14, exec_lo
	s_delay_alu instid0(VALU_DEP_1)
	v_cmpx_ne_u32_e32 0x7f, v14
	s_cbranch_execz .LBB214_1850
; %bb.1847:                             ;   in Loop: Header=BB214_1581 Depth=1
	v_dual_lshrrev_b32 v10, 3, v14 :: v_dual_bitop2_b32 v24, 7, v15 bitop3:0x40
	s_mov_b32 s15, exec_lo
	v_cmpx_gt_u32_e32 8, v14
; %bb.1848:                             ;   in Loop: Header=BB214_1581 Depth=1
	s_delay_alu instid0(VALU_DEP_2) | instskip(NEXT) | instid1(VALU_DEP_1)
	v_clz_i32_u32_e32 v10, v24
	v_min_u32_e32 v10, 32, v10
	s_delay_alu instid0(VALU_DEP_1) | instskip(NEXT) | instid1(VALU_DEP_1)
	v_subrev_nc_u32_e32 v11, 28, v10
	v_lshlrev_b64_e32 v[16:17], v11, v[24:25]
	s_delay_alu instid0(VALU_DEP_1)
	v_dual_sub_nc_u32 v10, 29, v10 :: v_dual_bitop2_b32 v24, 7, v16 bitop3:0x40
; %bb.1849:                             ;   in Loop: Header=BB214_1581 Depth=1
	s_or_b32 exec_lo, exec_lo, s15
	s_delay_alu instid0(VALU_DEP_1) | instskip(NEXT) | instid1(VALU_DEP_2)
	v_dual_lshlrev_b32 v11, 24, v15 :: v_dual_lshlrev_b32 v14, 20, v24
	v_lshl_add_u32 v10, v10, 23, 0x3c000000
	s_delay_alu instid0(VALU_DEP_2) | instskip(NEXT) | instid1(VALU_DEP_1)
	v_and_b32_e32 v11, 0x80000000, v11
	v_or3_b32 v11, v14, v11, v10
	v_mov_b32_e32 v10, v25
.LBB214_1850:                           ;   in Loop: Header=BB214_1581 Depth=1
	s_or_b32 exec_lo, exec_lo, s14
.LBB214_1851:                           ;   in Loop: Header=BB214_1581 Depth=1
	s_delay_alu instid0(SALU_CYCLE_1)
	s_or_b32 exec_lo, exec_lo, s9
.LBB214_1852:                           ;   in Loop: Header=BB214_1581 Depth=1
	s_delay_alu instid0(SALU_CYCLE_1) | instskip(SKIP_4) | instid1(VALU_DEP_3)
	s_or_b32 exec_lo, exec_lo, s8
	v_or_b32_e32 v7, v7, v9
	v_or_b32_e32 v6, v6, v8
	;; [unrolled: 1-line block ×4, first 2 shown]
	v_pk_mul_f32 v[6:7], v[114:115], v[6:7]
	scratch_store_b64 off, v[6:7], s32 offset:356 ; 8-byte Folded Spill
	s_wait_xcnt 0x0
	v_pk_mul_f32 v[6:7], v[114:115], v[8:9]
	scratch_store_b64 off, v[6:7], s32 offset:348 ; 8-byte Folded Spill
	s_wait_xcnt 0x0
	s_and_saveexec_b32 s8, vcc_lo
	s_cbranch_execz .LBB214_1854
; %bb.1853:                             ;   in Loop: Header=BB214_1581 Depth=1
	s_clause 0x1
	scratch_load_b64 v[6:7], off, s32 offset:200
	scratch_load_b64 v[8:9], off, s32 offset:356 th:TH_LOAD_LU
	s_wait_loadcnt 0x1
	v_cmp_lt_i32_e64 s0, v29, v6
	s_wait_loadcnt 0x0
	s_delay_alu instid0(VALU_DEP_1) | instskip(SKIP_1) | instid1(VALU_DEP_1)
	v_cndmask_b32_e64 v8, 0, v8, s0
	v_cmp_lt_i32_e64 s0, v30, v6
	v_cndmask_b32_e64 v9, 0, v9, s0
	v_cmp_lt_i32_e64 s0, v32, v6
	s_clause 0x1
	scratch_store_b64 off, v[8:9], s32 offset:356
	scratch_load_b64 v[8:9], off, s32 offset:348 th:TH_LOAD_LU
	s_wait_loadcnt 0x0
	v_cndmask_b32_e64 v8, 0, v8, s0
	v_cmp_lt_i32_e64 s0, v31, v6
	s_delay_alu instid0(VALU_DEP_1)
	v_cndmask_b32_e64 v9, 0, v9, s0
	scratch_store_b64 off, v[8:9], s32 offset:348 ; 8-byte Folded Spill
.LBB214_1854:                           ;   in Loop: Header=BB214_1581 Depth=1
	s_wait_xcnt 0x0
	s_or_b32 exec_lo, exec_lo, s8
	flat_load_b32 v14, v[0:1] offset:1024
	v_mov_b64_e32 v[6:7], 0
	v_mov_b64_e32 v[8:9], 0
	s_mov_b32 s8, exec_lo
	s_wait_loadcnt_dscnt 0x0
	v_and_b32_e32 v10, 0xff, v14
	s_wait_xcnt 0x0
	s_delay_alu instid0(VALU_DEP_1)
	v_cmpx_ne_u16_e32 0, v10
	s_cbranch_execz .LBB214_1862
; %bb.1855:                             ;   in Loop: Header=BB214_1581 Depth=1
	v_mov_b64_e32 v[8:9], 0x80000000
	s_mov_b32 s9, exec_lo
	v_cmpx_ne_u16_e32 0x80, v10
	s_cbranch_execz .LBB214_1861
; %bb.1856:                             ;   in Loop: Header=BB214_1581 Depth=1
	v_mov_b64_e32 v[8:9], 0x7f800001
	v_and_b32_e32 v10, 0x7f, v14
	s_mov_b32 s14, exec_lo
	s_delay_alu instid0(VALU_DEP_1)
	v_cmpx_ne_u32_e32 0x7f, v10
	s_cbranch_execz .LBB214_1860
; %bb.1857:                             ;   in Loop: Header=BB214_1581 Depth=1
	v_and_b32_e32 v24, 7, v14
	v_lshrrev_b32_e32 v8, 3, v10
	s_mov_b32 s15, exec_lo
	v_cmpx_gt_u32_e32 8, v10
; %bb.1858:                             ;   in Loop: Header=BB214_1581 Depth=1
	s_delay_alu instid0(VALU_DEP_3) | instskip(NEXT) | instid1(VALU_DEP_1)
	v_clz_i32_u32_e32 v8, v24
	v_min_u32_e32 v8, 32, v8
	s_delay_alu instid0(VALU_DEP_1) | instskip(NEXT) | instid1(VALU_DEP_1)
	v_subrev_nc_u32_e32 v9, 28, v8
	v_lshlrev_b64_e32 v[10:11], v9, v[24:25]
	s_delay_alu instid0(VALU_DEP_1)
	v_dual_sub_nc_u32 v8, 29, v8 :: v_dual_bitop2_b32 v24, 7, v10 bitop3:0x40
; %bb.1859:                             ;   in Loop: Header=BB214_1581 Depth=1
	s_or_b32 exec_lo, exec_lo, s15
	s_delay_alu instid0(VALU_DEP_1) | instskip(NEXT) | instid1(VALU_DEP_2)
	v_dual_lshlrev_b32 v9, 24, v14 :: v_dual_lshlrev_b32 v10, 20, v24
	v_lshl_add_u32 v8, v8, 23, 0x3c000000
	s_delay_alu instid0(VALU_DEP_2) | instskip(NEXT) | instid1(VALU_DEP_1)
	v_and_b32_e32 v9, 0x80000000, v9
	v_or3_b32 v24, v10, v9, v8
	s_delay_alu instid0(VALU_DEP_1)
	v_mov_b64_e32 v[8:9], v[24:25]
.LBB214_1860:                           ;   in Loop: Header=BB214_1581 Depth=1
	s_or_b32 exec_lo, exec_lo, s14
.LBB214_1861:                           ;   in Loop: Header=BB214_1581 Depth=1
	s_delay_alu instid0(SALU_CYCLE_1)
	s_or_b32 exec_lo, exec_lo, s9
.LBB214_1862:                           ;   in Loop: Header=BB214_1581 Depth=1
	s_delay_alu instid0(SALU_CYCLE_1) | instskip(SKIP_2) | instid1(VALU_DEP_1)
	s_or_b32 exec_lo, exec_lo, s8
	v_lshrrev_b16 v10, 8, v14
	s_mov_b32 s8, exec_lo
	v_cmpx_ne_u16_e32 0, v10
	s_cbranch_execz .LBB214_1870
; %bb.1863:                             ;   in Loop: Header=BB214_1581 Depth=1
	v_mov_b64_e32 v[6:7], 0x8000000000000000
	s_mov_b32 s9, exec_lo
	v_cmpx_ne_u16_e32 0x80, v10
	s_cbranch_execz .LBB214_1869
; %bb.1864:                             ;   in Loop: Header=BB214_1581 Depth=1
	v_and_b32_e32 v11, 0xffff, v10
	v_mov_b64_e32 v[6:7], 0x7f80000100000000
	s_mov_b32 s14, exec_lo
	s_delay_alu instid0(VALU_DEP_2) | instskip(NEXT) | instid1(VALU_DEP_1)
	v_and_b32_e32 v10, 0x7f, v11
	v_cmpx_ne_u32_e32 0x7f, v10
	s_cbranch_execz .LBB214_1868
; %bb.1865:                             ;   in Loop: Header=BB214_1581 Depth=1
	v_dual_lshrrev_b32 v6, 3, v10 :: v_dual_bitop2_b32 v24, 7, v11 bitop3:0x40
	s_mov_b32 s15, exec_lo
	v_cmpx_gt_u32_e32 8, v10
; %bb.1866:                             ;   in Loop: Header=BB214_1581 Depth=1
	s_delay_alu instid0(VALU_DEP_2) | instskip(NEXT) | instid1(VALU_DEP_1)
	v_clz_i32_u32_e32 v6, v24
	v_min_u32_e32 v6, 32, v6
	s_delay_alu instid0(VALU_DEP_1) | instskip(SKIP_1) | instid1(VALU_DEP_2)
	v_subrev_nc_u32_e32 v7, 28, v6
	v_sub_nc_u32_e32 v6, 29, v6
	v_lshlrev_b64_e32 v[10:11], v7, v[24:25]
	s_delay_alu instid0(VALU_DEP_1)
	v_and_b32_e32 v24, 7, v10
; %bb.1867:                             ;   in Loop: Header=BB214_1581 Depth=1
	s_or_b32 exec_lo, exec_lo, s15
	s_delay_alu instid0(VALU_DEP_1) | instskip(SKIP_1) | instid1(VALU_DEP_2)
	v_dual_lshlrev_b32 v7, 16, v14 :: v_dual_lshlrev_b32 v10, 20, v24
	v_lshl_add_u32 v6, v6, 23, 0x3c000000
	v_and_b32_e32 v7, 0x80000000, v7
	s_delay_alu instid0(VALU_DEP_1)
	v_or3_b32 v7, v10, v7, v6
	v_mov_b32_e32 v6, v25
.LBB214_1868:                           ;   in Loop: Header=BB214_1581 Depth=1
	s_or_b32 exec_lo, exec_lo, s14
.LBB214_1869:                           ;   in Loop: Header=BB214_1581 Depth=1
	s_delay_alu instid0(SALU_CYCLE_1)
	s_or_b32 exec_lo, exec_lo, s9
.LBB214_1870:                           ;   in Loop: Header=BB214_1581 Depth=1
	s_delay_alu instid0(SALU_CYCLE_1) | instskip(SKIP_4) | instid1(VALU_DEP_3)
	s_or_b32 exec_lo, exec_lo, s8
	v_lshrrev_b32_e32 v15, 16, v14
	v_mov_b64_e32 v[10:11], 0
	v_mov_b64_e32 v[12:13], 0
	s_mov_b32 s8, exec_lo
	v_and_b32_e32 v16, 0xff, v15
	s_delay_alu instid0(VALU_DEP_1)
	v_cmpx_ne_u16_e32 0, v16
	s_cbranch_execz .LBB214_1878
; %bb.1871:                             ;   in Loop: Header=BB214_1581 Depth=1
	v_mov_b64_e32 v[12:13], 0x80000000
	s_mov_b32 s9, exec_lo
	v_cmpx_ne_u16_e32 0x80, v16
	s_cbranch_execz .LBB214_1877
; %bb.1872:                             ;   in Loop: Header=BB214_1581 Depth=1
	v_mov_b64_e32 v[12:13], 0x7f800001
	v_bfe_u32 v16, v14, 16, 7
	s_mov_b32 s14, exec_lo
	s_delay_alu instid0(VALU_DEP_1)
	v_cmpx_ne_u32_e32 0x7f, v16
	s_cbranch_execz .LBB214_1876
; %bb.1873:                             ;   in Loop: Header=BB214_1581 Depth=1
	v_dual_lshrrev_b32 v12, 3, v16 :: v_dual_bitop2_b32 v24, 7, v15 bitop3:0x40
	s_mov_b32 s15, exec_lo
	v_cmpx_gt_u32_e32 8, v16
; %bb.1874:                             ;   in Loop: Header=BB214_1581 Depth=1
	s_delay_alu instid0(VALU_DEP_2) | instskip(NEXT) | instid1(VALU_DEP_1)
	v_clz_i32_u32_e32 v12, v24
	v_min_u32_e32 v12, 32, v12
	s_delay_alu instid0(VALU_DEP_1) | instskip(SKIP_1) | instid1(VALU_DEP_2)
	v_subrev_nc_u32_e32 v13, 28, v12
	v_sub_nc_u32_e32 v12, 29, v12
	v_lshlrev_b64_e32 v[16:17], v13, v[24:25]
	s_delay_alu instid0(VALU_DEP_1)
	v_and_b32_e32 v24, 7, v16
; %bb.1875:                             ;   in Loop: Header=BB214_1581 Depth=1
	s_or_b32 exec_lo, exec_lo, s15
	s_delay_alu instid0(VALU_DEP_1) | instskip(SKIP_1) | instid1(VALU_DEP_2)
	v_dual_lshlrev_b32 v13, 24, v15 :: v_dual_lshlrev_b32 v15, 20, v24
	v_lshl_add_u32 v12, v12, 23, 0x3c000000
	v_and_b32_e32 v13, 0x80000000, v13
	s_delay_alu instid0(VALU_DEP_1) | instskip(NEXT) | instid1(VALU_DEP_1)
	v_or3_b32 v24, v15, v13, v12
	v_mov_b64_e32 v[12:13], v[24:25]
.LBB214_1876:                           ;   in Loop: Header=BB214_1581 Depth=1
	s_or_b32 exec_lo, exec_lo, s14
.LBB214_1877:                           ;   in Loop: Header=BB214_1581 Depth=1
	s_delay_alu instid0(SALU_CYCLE_1)
	s_or_b32 exec_lo, exec_lo, s9
.LBB214_1878:                           ;   in Loop: Header=BB214_1581 Depth=1
	s_delay_alu instid0(SALU_CYCLE_1) | instskip(NEXT) | instid1(SALU_CYCLE_1)
	s_or_b32 exec_lo, exec_lo, s8
	s_mov_b32 s8, exec_lo
	v_cmpx_lt_u32_e32 0xffffff, v14
	s_cbranch_execz .LBB214_1886
; %bb.1879:                             ;   in Loop: Header=BB214_1581 Depth=1
	v_mov_b64_e32 v[10:11], 0x8000000000000000
	v_lshrrev_b32_e32 v15, 24, v14
	s_mov_b32 s9, exec_lo
	s_delay_alu instid0(VALU_DEP_1)
	v_cmpx_ne_u32_e32 0x80, v15
	s_cbranch_execz .LBB214_1885
; %bb.1880:                             ;   in Loop: Header=BB214_1581 Depth=1
	v_mov_b64_e32 v[10:11], 0x7f80000100000000
	v_bfe_u32 v14, v14, 24, 7
	s_mov_b32 s14, exec_lo
	s_delay_alu instid0(VALU_DEP_1)
	v_cmpx_ne_u32_e32 0x7f, v14
	s_cbranch_execz .LBB214_1884
; %bb.1881:                             ;   in Loop: Header=BB214_1581 Depth=1
	v_dual_lshrrev_b32 v10, 3, v14 :: v_dual_bitop2_b32 v24, 7, v15 bitop3:0x40
	s_mov_b32 s15, exec_lo
	v_cmpx_gt_u32_e32 8, v14
; %bb.1882:                             ;   in Loop: Header=BB214_1581 Depth=1
	s_delay_alu instid0(VALU_DEP_2) | instskip(NEXT) | instid1(VALU_DEP_1)
	v_clz_i32_u32_e32 v10, v24
	v_min_u32_e32 v10, 32, v10
	s_delay_alu instid0(VALU_DEP_1) | instskip(NEXT) | instid1(VALU_DEP_1)
	v_subrev_nc_u32_e32 v11, 28, v10
	v_lshlrev_b64_e32 v[16:17], v11, v[24:25]
	s_delay_alu instid0(VALU_DEP_1)
	v_dual_sub_nc_u32 v10, 29, v10 :: v_dual_bitop2_b32 v24, 7, v16 bitop3:0x40
; %bb.1883:                             ;   in Loop: Header=BB214_1581 Depth=1
	s_or_b32 exec_lo, exec_lo, s15
	s_delay_alu instid0(VALU_DEP_1) | instskip(NEXT) | instid1(VALU_DEP_2)
	v_dual_lshlrev_b32 v11, 24, v15 :: v_dual_lshlrev_b32 v14, 20, v24
	v_lshl_add_u32 v10, v10, 23, 0x3c000000
	s_delay_alu instid0(VALU_DEP_2) | instskip(NEXT) | instid1(VALU_DEP_1)
	v_and_b32_e32 v11, 0x80000000, v11
	v_or3_b32 v11, v14, v11, v10
	v_mov_b32_e32 v10, v25
.LBB214_1884:                           ;   in Loop: Header=BB214_1581 Depth=1
	s_or_b32 exec_lo, exec_lo, s14
.LBB214_1885:                           ;   in Loop: Header=BB214_1581 Depth=1
	s_delay_alu instid0(SALU_CYCLE_1)
	s_or_b32 exec_lo, exec_lo, s9
.LBB214_1886:                           ;   in Loop: Header=BB214_1581 Depth=1
	s_delay_alu instid0(SALU_CYCLE_1) | instskip(SKIP_4) | instid1(VALU_DEP_3)
	s_or_b32 exec_lo, exec_lo, s8
	v_or_b32_e32 v7, v7, v9
	v_or_b32_e32 v6, v6, v8
	;; [unrolled: 1-line block ×4, first 2 shown]
	v_pk_mul_f32 v[6:7], v[114:115], v[6:7]
	scratch_store_b64 off, v[6:7], s32 offset:372 ; 8-byte Folded Spill
	s_wait_xcnt 0x0
	v_pk_mul_f32 v[6:7], v[114:115], v[8:9]
	scratch_store_b64 off, v[6:7], s32 offset:364 ; 8-byte Folded Spill
	s_wait_xcnt 0x0
	s_and_saveexec_b32 s8, vcc_lo
	s_cbranch_execz .LBB214_1888
; %bb.1887:                             ;   in Loop: Header=BB214_1581 Depth=1
	s_clause 0x1
	scratch_load_b64 v[6:7], off, s32 offset:200
	scratch_load_b64 v[8:9], off, s32 offset:372 th:TH_LOAD_LU
	s_wait_loadcnt 0x1
	v_cmp_lt_i32_e64 s0, v29, v6
	s_wait_loadcnt 0x0
	s_delay_alu instid0(VALU_DEP_1) | instskip(SKIP_1) | instid1(VALU_DEP_1)
	v_cndmask_b32_e64 v8, 0, v8, s0
	v_cmp_lt_i32_e64 s0, v30, v6
	v_cndmask_b32_e64 v9, 0, v9, s0
	v_cmp_lt_i32_e64 s0, v32, v6
	s_clause 0x1
	scratch_store_b64 off, v[8:9], s32 offset:372
	scratch_load_b64 v[8:9], off, s32 offset:364 th:TH_LOAD_LU
	s_wait_loadcnt 0x0
	v_cndmask_b32_e64 v8, 0, v8, s0
	v_cmp_lt_i32_e64 s0, v31, v6
	s_delay_alu instid0(VALU_DEP_1)
	v_cndmask_b32_e64 v9, 0, v9, s0
	scratch_store_b64 off, v[8:9], s32 offset:364 ; 8-byte Folded Spill
.LBB214_1888:                           ;   in Loop: Header=BB214_1581 Depth=1
	s_wait_xcnt 0x0
	s_or_b32 exec_lo, exec_lo, s8
	flat_load_b32 v14, v[0:1] offset:1152
	v_mov_b64_e32 v[6:7], 0
	v_mov_b64_e32 v[8:9], 0
	s_mov_b32 s8, exec_lo
	s_wait_loadcnt_dscnt 0x0
	v_and_b32_e32 v10, 0xff, v14
	s_wait_xcnt 0x0
	s_delay_alu instid0(VALU_DEP_1)
	v_cmpx_ne_u16_e32 0, v10
	s_cbranch_execz .LBB214_1896
; %bb.1889:                             ;   in Loop: Header=BB214_1581 Depth=1
	v_mov_b64_e32 v[8:9], 0x80000000
	s_mov_b32 s9, exec_lo
	v_cmpx_ne_u16_e32 0x80, v10
	s_cbranch_execz .LBB214_1895
; %bb.1890:                             ;   in Loop: Header=BB214_1581 Depth=1
	v_mov_b64_e32 v[8:9], 0x7f800001
	v_and_b32_e32 v10, 0x7f, v14
	s_mov_b32 s14, exec_lo
	s_delay_alu instid0(VALU_DEP_1)
	v_cmpx_ne_u32_e32 0x7f, v10
	s_cbranch_execz .LBB214_1894
; %bb.1891:                             ;   in Loop: Header=BB214_1581 Depth=1
	v_and_b32_e32 v24, 7, v14
	v_lshrrev_b32_e32 v8, 3, v10
	s_mov_b32 s15, exec_lo
	v_cmpx_gt_u32_e32 8, v10
; %bb.1892:                             ;   in Loop: Header=BB214_1581 Depth=1
	s_delay_alu instid0(VALU_DEP_3) | instskip(NEXT) | instid1(VALU_DEP_1)
	v_clz_i32_u32_e32 v8, v24
	v_min_u32_e32 v8, 32, v8
	s_delay_alu instid0(VALU_DEP_1) | instskip(NEXT) | instid1(VALU_DEP_1)
	v_subrev_nc_u32_e32 v9, 28, v8
	v_lshlrev_b64_e32 v[10:11], v9, v[24:25]
	s_delay_alu instid0(VALU_DEP_1)
	v_dual_sub_nc_u32 v8, 29, v8 :: v_dual_bitop2_b32 v24, 7, v10 bitop3:0x40
; %bb.1893:                             ;   in Loop: Header=BB214_1581 Depth=1
	s_or_b32 exec_lo, exec_lo, s15
	s_delay_alu instid0(VALU_DEP_1) | instskip(NEXT) | instid1(VALU_DEP_2)
	v_dual_lshlrev_b32 v9, 24, v14 :: v_dual_lshlrev_b32 v10, 20, v24
	v_lshl_add_u32 v8, v8, 23, 0x3c000000
	s_delay_alu instid0(VALU_DEP_2) | instskip(NEXT) | instid1(VALU_DEP_1)
	v_and_b32_e32 v9, 0x80000000, v9
	v_or3_b32 v24, v10, v9, v8
	s_delay_alu instid0(VALU_DEP_1)
	v_mov_b64_e32 v[8:9], v[24:25]
.LBB214_1894:                           ;   in Loop: Header=BB214_1581 Depth=1
	s_or_b32 exec_lo, exec_lo, s14
.LBB214_1895:                           ;   in Loop: Header=BB214_1581 Depth=1
	s_delay_alu instid0(SALU_CYCLE_1)
	s_or_b32 exec_lo, exec_lo, s9
.LBB214_1896:                           ;   in Loop: Header=BB214_1581 Depth=1
	s_delay_alu instid0(SALU_CYCLE_1) | instskip(SKIP_2) | instid1(VALU_DEP_1)
	s_or_b32 exec_lo, exec_lo, s8
	v_lshrrev_b16 v10, 8, v14
	s_mov_b32 s8, exec_lo
	v_cmpx_ne_u16_e32 0, v10
	s_cbranch_execz .LBB214_1904
; %bb.1897:                             ;   in Loop: Header=BB214_1581 Depth=1
	v_mov_b64_e32 v[6:7], 0x8000000000000000
	s_mov_b32 s9, exec_lo
	v_cmpx_ne_u16_e32 0x80, v10
	s_cbranch_execz .LBB214_1903
; %bb.1898:                             ;   in Loop: Header=BB214_1581 Depth=1
	v_and_b32_e32 v11, 0xffff, v10
	v_mov_b64_e32 v[6:7], 0x7f80000100000000
	s_mov_b32 s14, exec_lo
	s_delay_alu instid0(VALU_DEP_2) | instskip(NEXT) | instid1(VALU_DEP_1)
	v_and_b32_e32 v10, 0x7f, v11
	v_cmpx_ne_u32_e32 0x7f, v10
	s_cbranch_execz .LBB214_1902
; %bb.1899:                             ;   in Loop: Header=BB214_1581 Depth=1
	v_dual_lshrrev_b32 v6, 3, v10 :: v_dual_bitop2_b32 v24, 7, v11 bitop3:0x40
	s_mov_b32 s15, exec_lo
	v_cmpx_gt_u32_e32 8, v10
; %bb.1900:                             ;   in Loop: Header=BB214_1581 Depth=1
	s_delay_alu instid0(VALU_DEP_2) | instskip(NEXT) | instid1(VALU_DEP_1)
	v_clz_i32_u32_e32 v6, v24
	v_min_u32_e32 v6, 32, v6
	s_delay_alu instid0(VALU_DEP_1) | instskip(SKIP_1) | instid1(VALU_DEP_2)
	v_subrev_nc_u32_e32 v7, 28, v6
	v_sub_nc_u32_e32 v6, 29, v6
	v_lshlrev_b64_e32 v[10:11], v7, v[24:25]
	s_delay_alu instid0(VALU_DEP_1)
	v_and_b32_e32 v24, 7, v10
; %bb.1901:                             ;   in Loop: Header=BB214_1581 Depth=1
	s_or_b32 exec_lo, exec_lo, s15
	s_delay_alu instid0(VALU_DEP_1) | instskip(SKIP_1) | instid1(VALU_DEP_2)
	v_dual_lshlrev_b32 v7, 16, v14 :: v_dual_lshlrev_b32 v10, 20, v24
	v_lshl_add_u32 v6, v6, 23, 0x3c000000
	v_and_b32_e32 v7, 0x80000000, v7
	s_delay_alu instid0(VALU_DEP_1)
	v_or3_b32 v7, v10, v7, v6
	v_mov_b32_e32 v6, v25
.LBB214_1902:                           ;   in Loop: Header=BB214_1581 Depth=1
	s_or_b32 exec_lo, exec_lo, s14
.LBB214_1903:                           ;   in Loop: Header=BB214_1581 Depth=1
	s_delay_alu instid0(SALU_CYCLE_1)
	s_or_b32 exec_lo, exec_lo, s9
.LBB214_1904:                           ;   in Loop: Header=BB214_1581 Depth=1
	s_delay_alu instid0(SALU_CYCLE_1) | instskip(SKIP_4) | instid1(VALU_DEP_3)
	s_or_b32 exec_lo, exec_lo, s8
	v_lshrrev_b32_e32 v15, 16, v14
	v_mov_b64_e32 v[10:11], 0
	v_mov_b64_e32 v[12:13], 0
	s_mov_b32 s8, exec_lo
	v_and_b32_e32 v16, 0xff, v15
	s_delay_alu instid0(VALU_DEP_1)
	v_cmpx_ne_u16_e32 0, v16
	s_cbranch_execz .LBB214_1912
; %bb.1905:                             ;   in Loop: Header=BB214_1581 Depth=1
	v_mov_b64_e32 v[12:13], 0x80000000
	s_mov_b32 s9, exec_lo
	v_cmpx_ne_u16_e32 0x80, v16
	s_cbranch_execz .LBB214_1911
; %bb.1906:                             ;   in Loop: Header=BB214_1581 Depth=1
	v_mov_b64_e32 v[12:13], 0x7f800001
	v_bfe_u32 v16, v14, 16, 7
	s_mov_b32 s14, exec_lo
	s_delay_alu instid0(VALU_DEP_1)
	v_cmpx_ne_u32_e32 0x7f, v16
	s_cbranch_execz .LBB214_1910
; %bb.1907:                             ;   in Loop: Header=BB214_1581 Depth=1
	v_dual_lshrrev_b32 v12, 3, v16 :: v_dual_bitop2_b32 v24, 7, v15 bitop3:0x40
	s_mov_b32 s15, exec_lo
	v_cmpx_gt_u32_e32 8, v16
; %bb.1908:                             ;   in Loop: Header=BB214_1581 Depth=1
	s_delay_alu instid0(VALU_DEP_2) | instskip(NEXT) | instid1(VALU_DEP_1)
	v_clz_i32_u32_e32 v12, v24
	v_min_u32_e32 v12, 32, v12
	s_delay_alu instid0(VALU_DEP_1) | instskip(SKIP_1) | instid1(VALU_DEP_2)
	v_subrev_nc_u32_e32 v13, 28, v12
	v_sub_nc_u32_e32 v12, 29, v12
	v_lshlrev_b64_e32 v[16:17], v13, v[24:25]
	s_delay_alu instid0(VALU_DEP_1)
	v_and_b32_e32 v24, 7, v16
; %bb.1909:                             ;   in Loop: Header=BB214_1581 Depth=1
	s_or_b32 exec_lo, exec_lo, s15
	s_delay_alu instid0(VALU_DEP_1) | instskip(SKIP_1) | instid1(VALU_DEP_2)
	v_dual_lshlrev_b32 v13, 24, v15 :: v_dual_lshlrev_b32 v15, 20, v24
	v_lshl_add_u32 v12, v12, 23, 0x3c000000
	v_and_b32_e32 v13, 0x80000000, v13
	s_delay_alu instid0(VALU_DEP_1) | instskip(NEXT) | instid1(VALU_DEP_1)
	v_or3_b32 v24, v15, v13, v12
	v_mov_b64_e32 v[12:13], v[24:25]
.LBB214_1910:                           ;   in Loop: Header=BB214_1581 Depth=1
	s_or_b32 exec_lo, exec_lo, s14
.LBB214_1911:                           ;   in Loop: Header=BB214_1581 Depth=1
	s_delay_alu instid0(SALU_CYCLE_1)
	s_or_b32 exec_lo, exec_lo, s9
.LBB214_1912:                           ;   in Loop: Header=BB214_1581 Depth=1
	s_delay_alu instid0(SALU_CYCLE_1) | instskip(NEXT) | instid1(SALU_CYCLE_1)
	s_or_b32 exec_lo, exec_lo, s8
	s_mov_b32 s8, exec_lo
	v_cmpx_lt_u32_e32 0xffffff, v14
	s_cbranch_execz .LBB214_1920
; %bb.1913:                             ;   in Loop: Header=BB214_1581 Depth=1
	v_mov_b64_e32 v[10:11], 0x8000000000000000
	v_lshrrev_b32_e32 v15, 24, v14
	s_mov_b32 s9, exec_lo
	s_delay_alu instid0(VALU_DEP_1)
	v_cmpx_ne_u32_e32 0x80, v15
	s_cbranch_execz .LBB214_1919
; %bb.1914:                             ;   in Loop: Header=BB214_1581 Depth=1
	v_mov_b64_e32 v[10:11], 0x7f80000100000000
	v_bfe_u32 v14, v14, 24, 7
	s_mov_b32 s14, exec_lo
	s_delay_alu instid0(VALU_DEP_1)
	v_cmpx_ne_u32_e32 0x7f, v14
	s_cbranch_execz .LBB214_1918
; %bb.1915:                             ;   in Loop: Header=BB214_1581 Depth=1
	v_dual_lshrrev_b32 v10, 3, v14 :: v_dual_bitop2_b32 v24, 7, v15 bitop3:0x40
	s_mov_b32 s15, exec_lo
	v_cmpx_gt_u32_e32 8, v14
; %bb.1916:                             ;   in Loop: Header=BB214_1581 Depth=1
	s_delay_alu instid0(VALU_DEP_2) | instskip(NEXT) | instid1(VALU_DEP_1)
	v_clz_i32_u32_e32 v10, v24
	v_min_u32_e32 v10, 32, v10
	s_delay_alu instid0(VALU_DEP_1) | instskip(NEXT) | instid1(VALU_DEP_1)
	v_subrev_nc_u32_e32 v11, 28, v10
	v_lshlrev_b64_e32 v[16:17], v11, v[24:25]
	s_delay_alu instid0(VALU_DEP_1)
	v_dual_sub_nc_u32 v10, 29, v10 :: v_dual_bitop2_b32 v24, 7, v16 bitop3:0x40
; %bb.1917:                             ;   in Loop: Header=BB214_1581 Depth=1
	s_or_b32 exec_lo, exec_lo, s15
	s_delay_alu instid0(VALU_DEP_1) | instskip(NEXT) | instid1(VALU_DEP_2)
	v_dual_lshlrev_b32 v11, 24, v15 :: v_dual_lshlrev_b32 v14, 20, v24
	v_lshl_add_u32 v10, v10, 23, 0x3c000000
	s_delay_alu instid0(VALU_DEP_2) | instskip(NEXT) | instid1(VALU_DEP_1)
	v_and_b32_e32 v11, 0x80000000, v11
	v_or3_b32 v11, v14, v11, v10
	v_mov_b32_e32 v10, v25
.LBB214_1918:                           ;   in Loop: Header=BB214_1581 Depth=1
	s_or_b32 exec_lo, exec_lo, s14
.LBB214_1919:                           ;   in Loop: Header=BB214_1581 Depth=1
	s_delay_alu instid0(SALU_CYCLE_1)
	s_or_b32 exec_lo, exec_lo, s9
.LBB214_1920:                           ;   in Loop: Header=BB214_1581 Depth=1
	s_delay_alu instid0(SALU_CYCLE_1) | instskip(SKIP_4) | instid1(VALU_DEP_3)
	s_or_b32 exec_lo, exec_lo, s8
	v_or_b32_e32 v7, v7, v9
	v_or_b32_e32 v6, v6, v8
	;; [unrolled: 1-line block ×4, first 2 shown]
	v_pk_mul_f32 v[6:7], v[114:115], v[6:7]
	scratch_store_b64 off, v[6:7], s32 offset:388 ; 8-byte Folded Spill
	s_wait_xcnt 0x0
	v_pk_mul_f32 v[6:7], v[114:115], v[8:9]
	scratch_store_b64 off, v[6:7], s32 offset:380 ; 8-byte Folded Spill
	s_wait_xcnt 0x0
	s_and_saveexec_b32 s8, vcc_lo
	s_cbranch_execz .LBB214_1922
; %bb.1921:                             ;   in Loop: Header=BB214_1581 Depth=1
	s_clause 0x1
	scratch_load_b64 v[6:7], off, s32 offset:200
	scratch_load_b64 v[8:9], off, s32 offset:388 th:TH_LOAD_LU
	s_wait_loadcnt 0x1
	v_cmp_lt_i32_e64 s0, v29, v6
	s_wait_loadcnt 0x0
	s_delay_alu instid0(VALU_DEP_1) | instskip(SKIP_1) | instid1(VALU_DEP_1)
	v_cndmask_b32_e64 v8, 0, v8, s0
	v_cmp_lt_i32_e64 s0, v30, v6
	v_cndmask_b32_e64 v9, 0, v9, s0
	v_cmp_lt_i32_e64 s0, v32, v6
	s_clause 0x1
	scratch_store_b64 off, v[8:9], s32 offset:388
	scratch_load_b64 v[8:9], off, s32 offset:380 th:TH_LOAD_LU
	s_wait_loadcnt 0x0
	v_cndmask_b32_e64 v8, 0, v8, s0
	v_cmp_lt_i32_e64 s0, v31, v6
	s_delay_alu instid0(VALU_DEP_1)
	v_cndmask_b32_e64 v9, 0, v9, s0
	scratch_store_b64 off, v[8:9], s32 offset:380 ; 8-byte Folded Spill
.LBB214_1922:                           ;   in Loop: Header=BB214_1581 Depth=1
	s_wait_xcnt 0x0
	s_or_b32 exec_lo, exec_lo, s8
	flat_load_b32 v14, v[0:1] offset:1280
	v_mov_b64_e32 v[6:7], 0
	v_mov_b64_e32 v[8:9], 0
	s_mov_b32 s8, exec_lo
	s_wait_loadcnt_dscnt 0x0
	v_and_b32_e32 v10, 0xff, v14
	s_wait_xcnt 0x0
	s_delay_alu instid0(VALU_DEP_1)
	v_cmpx_ne_u16_e32 0, v10
	s_cbranch_execz .LBB214_1930
; %bb.1923:                             ;   in Loop: Header=BB214_1581 Depth=1
	v_mov_b64_e32 v[8:9], 0x80000000
	s_mov_b32 s9, exec_lo
	v_cmpx_ne_u16_e32 0x80, v10
	s_cbranch_execz .LBB214_1929
; %bb.1924:                             ;   in Loop: Header=BB214_1581 Depth=1
	v_mov_b64_e32 v[8:9], 0x7f800001
	v_and_b32_e32 v10, 0x7f, v14
	s_mov_b32 s14, exec_lo
	s_delay_alu instid0(VALU_DEP_1)
	v_cmpx_ne_u32_e32 0x7f, v10
	s_cbranch_execz .LBB214_1928
; %bb.1925:                             ;   in Loop: Header=BB214_1581 Depth=1
	v_and_b32_e32 v24, 7, v14
	v_lshrrev_b32_e32 v8, 3, v10
	s_mov_b32 s15, exec_lo
	v_cmpx_gt_u32_e32 8, v10
; %bb.1926:                             ;   in Loop: Header=BB214_1581 Depth=1
	s_delay_alu instid0(VALU_DEP_3) | instskip(NEXT) | instid1(VALU_DEP_1)
	v_clz_i32_u32_e32 v8, v24
	v_min_u32_e32 v8, 32, v8
	s_delay_alu instid0(VALU_DEP_1) | instskip(NEXT) | instid1(VALU_DEP_1)
	v_subrev_nc_u32_e32 v9, 28, v8
	v_lshlrev_b64_e32 v[10:11], v9, v[24:25]
	s_delay_alu instid0(VALU_DEP_1)
	v_dual_sub_nc_u32 v8, 29, v8 :: v_dual_bitop2_b32 v24, 7, v10 bitop3:0x40
; %bb.1927:                             ;   in Loop: Header=BB214_1581 Depth=1
	s_or_b32 exec_lo, exec_lo, s15
	s_delay_alu instid0(VALU_DEP_1) | instskip(NEXT) | instid1(VALU_DEP_2)
	v_dual_lshlrev_b32 v9, 24, v14 :: v_dual_lshlrev_b32 v10, 20, v24
	v_lshl_add_u32 v8, v8, 23, 0x3c000000
	s_delay_alu instid0(VALU_DEP_2) | instskip(NEXT) | instid1(VALU_DEP_1)
	v_and_b32_e32 v9, 0x80000000, v9
	v_or3_b32 v24, v10, v9, v8
	s_delay_alu instid0(VALU_DEP_1)
	v_mov_b64_e32 v[8:9], v[24:25]
.LBB214_1928:                           ;   in Loop: Header=BB214_1581 Depth=1
	s_or_b32 exec_lo, exec_lo, s14
.LBB214_1929:                           ;   in Loop: Header=BB214_1581 Depth=1
	s_delay_alu instid0(SALU_CYCLE_1)
	s_or_b32 exec_lo, exec_lo, s9
.LBB214_1930:                           ;   in Loop: Header=BB214_1581 Depth=1
	s_delay_alu instid0(SALU_CYCLE_1) | instskip(SKIP_2) | instid1(VALU_DEP_1)
	s_or_b32 exec_lo, exec_lo, s8
	v_lshrrev_b16 v10, 8, v14
	s_mov_b32 s8, exec_lo
	v_cmpx_ne_u16_e32 0, v10
	s_cbranch_execz .LBB214_1938
; %bb.1931:                             ;   in Loop: Header=BB214_1581 Depth=1
	v_mov_b64_e32 v[6:7], 0x8000000000000000
	s_mov_b32 s9, exec_lo
	v_cmpx_ne_u16_e32 0x80, v10
	s_cbranch_execz .LBB214_1937
; %bb.1932:                             ;   in Loop: Header=BB214_1581 Depth=1
	v_and_b32_e32 v11, 0xffff, v10
	v_mov_b64_e32 v[6:7], 0x7f80000100000000
	s_mov_b32 s14, exec_lo
	s_delay_alu instid0(VALU_DEP_2) | instskip(NEXT) | instid1(VALU_DEP_1)
	v_and_b32_e32 v10, 0x7f, v11
	v_cmpx_ne_u32_e32 0x7f, v10
	s_cbranch_execz .LBB214_1936
; %bb.1933:                             ;   in Loop: Header=BB214_1581 Depth=1
	v_dual_lshrrev_b32 v6, 3, v10 :: v_dual_bitop2_b32 v24, 7, v11 bitop3:0x40
	s_mov_b32 s15, exec_lo
	v_cmpx_gt_u32_e32 8, v10
; %bb.1934:                             ;   in Loop: Header=BB214_1581 Depth=1
	s_delay_alu instid0(VALU_DEP_2) | instskip(NEXT) | instid1(VALU_DEP_1)
	v_clz_i32_u32_e32 v6, v24
	v_min_u32_e32 v6, 32, v6
	s_delay_alu instid0(VALU_DEP_1) | instskip(SKIP_1) | instid1(VALU_DEP_2)
	v_subrev_nc_u32_e32 v7, 28, v6
	v_sub_nc_u32_e32 v6, 29, v6
	v_lshlrev_b64_e32 v[10:11], v7, v[24:25]
	s_delay_alu instid0(VALU_DEP_1)
	v_and_b32_e32 v24, 7, v10
; %bb.1935:                             ;   in Loop: Header=BB214_1581 Depth=1
	s_or_b32 exec_lo, exec_lo, s15
	s_delay_alu instid0(VALU_DEP_1) | instskip(SKIP_1) | instid1(VALU_DEP_2)
	v_dual_lshlrev_b32 v7, 16, v14 :: v_dual_lshlrev_b32 v10, 20, v24
	v_lshl_add_u32 v6, v6, 23, 0x3c000000
	v_and_b32_e32 v7, 0x80000000, v7
	s_delay_alu instid0(VALU_DEP_1)
	v_or3_b32 v7, v10, v7, v6
	v_mov_b32_e32 v6, v25
.LBB214_1936:                           ;   in Loop: Header=BB214_1581 Depth=1
	s_or_b32 exec_lo, exec_lo, s14
.LBB214_1937:                           ;   in Loop: Header=BB214_1581 Depth=1
	s_delay_alu instid0(SALU_CYCLE_1)
	s_or_b32 exec_lo, exec_lo, s9
.LBB214_1938:                           ;   in Loop: Header=BB214_1581 Depth=1
	s_delay_alu instid0(SALU_CYCLE_1) | instskip(SKIP_4) | instid1(VALU_DEP_3)
	s_or_b32 exec_lo, exec_lo, s8
	v_lshrrev_b32_e32 v15, 16, v14
	v_mov_b64_e32 v[10:11], 0
	v_mov_b64_e32 v[12:13], 0
	s_mov_b32 s8, exec_lo
	v_and_b32_e32 v16, 0xff, v15
	s_delay_alu instid0(VALU_DEP_1)
	v_cmpx_ne_u16_e32 0, v16
	s_cbranch_execz .LBB214_1946
; %bb.1939:                             ;   in Loop: Header=BB214_1581 Depth=1
	v_mov_b64_e32 v[12:13], 0x80000000
	s_mov_b32 s9, exec_lo
	v_cmpx_ne_u16_e32 0x80, v16
	s_cbranch_execz .LBB214_1945
; %bb.1940:                             ;   in Loop: Header=BB214_1581 Depth=1
	v_mov_b64_e32 v[12:13], 0x7f800001
	v_bfe_u32 v16, v14, 16, 7
	s_mov_b32 s14, exec_lo
	s_delay_alu instid0(VALU_DEP_1)
	v_cmpx_ne_u32_e32 0x7f, v16
	s_cbranch_execz .LBB214_1944
; %bb.1941:                             ;   in Loop: Header=BB214_1581 Depth=1
	v_dual_lshrrev_b32 v12, 3, v16 :: v_dual_bitop2_b32 v24, 7, v15 bitop3:0x40
	s_mov_b32 s15, exec_lo
	v_cmpx_gt_u32_e32 8, v16
; %bb.1942:                             ;   in Loop: Header=BB214_1581 Depth=1
	s_delay_alu instid0(VALU_DEP_2) | instskip(NEXT) | instid1(VALU_DEP_1)
	v_clz_i32_u32_e32 v12, v24
	v_min_u32_e32 v12, 32, v12
	s_delay_alu instid0(VALU_DEP_1) | instskip(SKIP_1) | instid1(VALU_DEP_2)
	v_subrev_nc_u32_e32 v13, 28, v12
	v_sub_nc_u32_e32 v12, 29, v12
	v_lshlrev_b64_e32 v[16:17], v13, v[24:25]
	s_delay_alu instid0(VALU_DEP_1)
	v_and_b32_e32 v24, 7, v16
; %bb.1943:                             ;   in Loop: Header=BB214_1581 Depth=1
	s_or_b32 exec_lo, exec_lo, s15
	s_delay_alu instid0(VALU_DEP_1) | instskip(SKIP_1) | instid1(VALU_DEP_2)
	v_dual_lshlrev_b32 v13, 24, v15 :: v_dual_lshlrev_b32 v15, 20, v24
	v_lshl_add_u32 v12, v12, 23, 0x3c000000
	v_and_b32_e32 v13, 0x80000000, v13
	s_delay_alu instid0(VALU_DEP_1) | instskip(NEXT) | instid1(VALU_DEP_1)
	v_or3_b32 v24, v15, v13, v12
	v_mov_b64_e32 v[12:13], v[24:25]
.LBB214_1944:                           ;   in Loop: Header=BB214_1581 Depth=1
	s_or_b32 exec_lo, exec_lo, s14
.LBB214_1945:                           ;   in Loop: Header=BB214_1581 Depth=1
	s_delay_alu instid0(SALU_CYCLE_1)
	s_or_b32 exec_lo, exec_lo, s9
.LBB214_1946:                           ;   in Loop: Header=BB214_1581 Depth=1
	s_delay_alu instid0(SALU_CYCLE_1) | instskip(NEXT) | instid1(SALU_CYCLE_1)
	s_or_b32 exec_lo, exec_lo, s8
	s_mov_b32 s8, exec_lo
	v_cmpx_lt_u32_e32 0xffffff, v14
	s_cbranch_execz .LBB214_1954
; %bb.1947:                             ;   in Loop: Header=BB214_1581 Depth=1
	v_mov_b64_e32 v[10:11], 0x8000000000000000
	v_lshrrev_b32_e32 v15, 24, v14
	s_mov_b32 s9, exec_lo
	s_delay_alu instid0(VALU_DEP_1)
	v_cmpx_ne_u32_e32 0x80, v15
	s_cbranch_execz .LBB214_1953
; %bb.1948:                             ;   in Loop: Header=BB214_1581 Depth=1
	v_mov_b64_e32 v[10:11], 0x7f80000100000000
	v_bfe_u32 v14, v14, 24, 7
	s_mov_b32 s14, exec_lo
	s_delay_alu instid0(VALU_DEP_1)
	v_cmpx_ne_u32_e32 0x7f, v14
	s_cbranch_execz .LBB214_1952
; %bb.1949:                             ;   in Loop: Header=BB214_1581 Depth=1
	v_dual_lshrrev_b32 v10, 3, v14 :: v_dual_bitop2_b32 v24, 7, v15 bitop3:0x40
	s_mov_b32 s15, exec_lo
	v_cmpx_gt_u32_e32 8, v14
; %bb.1950:                             ;   in Loop: Header=BB214_1581 Depth=1
	s_delay_alu instid0(VALU_DEP_2) | instskip(NEXT) | instid1(VALU_DEP_1)
	v_clz_i32_u32_e32 v10, v24
	v_min_u32_e32 v10, 32, v10
	s_delay_alu instid0(VALU_DEP_1) | instskip(NEXT) | instid1(VALU_DEP_1)
	v_subrev_nc_u32_e32 v11, 28, v10
	v_lshlrev_b64_e32 v[16:17], v11, v[24:25]
	s_delay_alu instid0(VALU_DEP_1)
	v_dual_sub_nc_u32 v10, 29, v10 :: v_dual_bitop2_b32 v24, 7, v16 bitop3:0x40
; %bb.1951:                             ;   in Loop: Header=BB214_1581 Depth=1
	s_or_b32 exec_lo, exec_lo, s15
	s_delay_alu instid0(VALU_DEP_1) | instskip(NEXT) | instid1(VALU_DEP_2)
	v_dual_lshlrev_b32 v11, 24, v15 :: v_dual_lshlrev_b32 v14, 20, v24
	v_lshl_add_u32 v10, v10, 23, 0x3c000000
	s_delay_alu instid0(VALU_DEP_2) | instskip(NEXT) | instid1(VALU_DEP_1)
	v_and_b32_e32 v11, 0x80000000, v11
	v_or3_b32 v11, v14, v11, v10
	v_mov_b32_e32 v10, v25
.LBB214_1952:                           ;   in Loop: Header=BB214_1581 Depth=1
	s_or_b32 exec_lo, exec_lo, s14
.LBB214_1953:                           ;   in Loop: Header=BB214_1581 Depth=1
	s_delay_alu instid0(SALU_CYCLE_1)
	s_or_b32 exec_lo, exec_lo, s9
.LBB214_1954:                           ;   in Loop: Header=BB214_1581 Depth=1
	s_delay_alu instid0(SALU_CYCLE_1) | instskip(SKIP_4) | instid1(VALU_DEP_3)
	s_or_b32 exec_lo, exec_lo, s8
	v_or_b32_e32 v7, v7, v9
	v_or_b32_e32 v6, v6, v8
	;; [unrolled: 1-line block ×4, first 2 shown]
	v_pk_mul_f32 v[6:7], v[114:115], v[6:7]
	scratch_store_b64 off, v[6:7], s32 offset:404 ; 8-byte Folded Spill
	s_wait_xcnt 0x0
	v_pk_mul_f32 v[6:7], v[114:115], v[8:9]
	scratch_store_b64 off, v[6:7], s32 offset:396 ; 8-byte Folded Spill
	s_wait_xcnt 0x0
	s_and_saveexec_b32 s8, vcc_lo
	s_cbranch_execz .LBB214_1956
; %bb.1955:                             ;   in Loop: Header=BB214_1581 Depth=1
	s_clause 0x1
	scratch_load_b64 v[6:7], off, s32 offset:200
	scratch_load_b64 v[8:9], off, s32 offset:404 th:TH_LOAD_LU
	s_wait_loadcnt 0x1
	v_cmp_lt_i32_e64 s0, v29, v6
	s_wait_loadcnt 0x0
	s_delay_alu instid0(VALU_DEP_1) | instskip(SKIP_1) | instid1(VALU_DEP_1)
	v_cndmask_b32_e64 v8, 0, v8, s0
	v_cmp_lt_i32_e64 s0, v30, v6
	v_cndmask_b32_e64 v9, 0, v9, s0
	v_cmp_lt_i32_e64 s0, v32, v6
	s_clause 0x1
	scratch_store_b64 off, v[8:9], s32 offset:404
	scratch_load_b64 v[8:9], off, s32 offset:396 th:TH_LOAD_LU
	s_wait_loadcnt 0x0
	v_cndmask_b32_e64 v8, 0, v8, s0
	v_cmp_lt_i32_e64 s0, v31, v6
	s_delay_alu instid0(VALU_DEP_1)
	v_cndmask_b32_e64 v9, 0, v9, s0
	scratch_store_b64 off, v[8:9], s32 offset:396 ; 8-byte Folded Spill
.LBB214_1956:                           ;   in Loop: Header=BB214_1581 Depth=1
	s_wait_xcnt 0x0
	s_or_b32 exec_lo, exec_lo, s8
	flat_load_b32 v14, v[0:1] offset:1408
	v_mov_b64_e32 v[6:7], 0
	v_mov_b64_e32 v[8:9], 0
	s_mov_b32 s8, exec_lo
	s_wait_loadcnt_dscnt 0x0
	v_and_b32_e32 v10, 0xff, v14
	s_wait_xcnt 0x0
	s_delay_alu instid0(VALU_DEP_1)
	v_cmpx_ne_u16_e32 0, v10
	s_cbranch_execz .LBB214_1964
; %bb.1957:                             ;   in Loop: Header=BB214_1581 Depth=1
	v_mov_b64_e32 v[8:9], 0x80000000
	s_mov_b32 s9, exec_lo
	v_cmpx_ne_u16_e32 0x80, v10
	s_cbranch_execz .LBB214_1963
; %bb.1958:                             ;   in Loop: Header=BB214_1581 Depth=1
	v_mov_b64_e32 v[8:9], 0x7f800001
	v_and_b32_e32 v10, 0x7f, v14
	s_mov_b32 s14, exec_lo
	s_delay_alu instid0(VALU_DEP_1)
	v_cmpx_ne_u32_e32 0x7f, v10
	s_cbranch_execz .LBB214_1962
; %bb.1959:                             ;   in Loop: Header=BB214_1581 Depth=1
	v_and_b32_e32 v24, 7, v14
	v_lshrrev_b32_e32 v8, 3, v10
	s_mov_b32 s15, exec_lo
	v_cmpx_gt_u32_e32 8, v10
; %bb.1960:                             ;   in Loop: Header=BB214_1581 Depth=1
	s_delay_alu instid0(VALU_DEP_3) | instskip(NEXT) | instid1(VALU_DEP_1)
	v_clz_i32_u32_e32 v8, v24
	v_min_u32_e32 v8, 32, v8
	s_delay_alu instid0(VALU_DEP_1) | instskip(NEXT) | instid1(VALU_DEP_1)
	v_subrev_nc_u32_e32 v9, 28, v8
	v_lshlrev_b64_e32 v[10:11], v9, v[24:25]
	s_delay_alu instid0(VALU_DEP_1)
	v_dual_sub_nc_u32 v8, 29, v8 :: v_dual_bitop2_b32 v24, 7, v10 bitop3:0x40
; %bb.1961:                             ;   in Loop: Header=BB214_1581 Depth=1
	s_or_b32 exec_lo, exec_lo, s15
	s_delay_alu instid0(VALU_DEP_1) | instskip(NEXT) | instid1(VALU_DEP_2)
	v_dual_lshlrev_b32 v9, 24, v14 :: v_dual_lshlrev_b32 v10, 20, v24
	v_lshl_add_u32 v8, v8, 23, 0x3c000000
	s_delay_alu instid0(VALU_DEP_2) | instskip(NEXT) | instid1(VALU_DEP_1)
	v_and_b32_e32 v9, 0x80000000, v9
	v_or3_b32 v24, v10, v9, v8
	s_delay_alu instid0(VALU_DEP_1)
	v_mov_b64_e32 v[8:9], v[24:25]
.LBB214_1962:                           ;   in Loop: Header=BB214_1581 Depth=1
	s_or_b32 exec_lo, exec_lo, s14
.LBB214_1963:                           ;   in Loop: Header=BB214_1581 Depth=1
	s_delay_alu instid0(SALU_CYCLE_1)
	s_or_b32 exec_lo, exec_lo, s9
.LBB214_1964:                           ;   in Loop: Header=BB214_1581 Depth=1
	s_delay_alu instid0(SALU_CYCLE_1) | instskip(SKIP_2) | instid1(VALU_DEP_1)
	s_or_b32 exec_lo, exec_lo, s8
	v_lshrrev_b16 v10, 8, v14
	s_mov_b32 s8, exec_lo
	v_cmpx_ne_u16_e32 0, v10
	s_cbranch_execz .LBB214_1972
; %bb.1965:                             ;   in Loop: Header=BB214_1581 Depth=1
	v_mov_b64_e32 v[6:7], 0x8000000000000000
	s_mov_b32 s9, exec_lo
	v_cmpx_ne_u16_e32 0x80, v10
	s_cbranch_execz .LBB214_1971
; %bb.1966:                             ;   in Loop: Header=BB214_1581 Depth=1
	v_and_b32_e32 v11, 0xffff, v10
	v_mov_b64_e32 v[6:7], 0x7f80000100000000
	s_mov_b32 s14, exec_lo
	s_delay_alu instid0(VALU_DEP_2) | instskip(NEXT) | instid1(VALU_DEP_1)
	v_and_b32_e32 v10, 0x7f, v11
	v_cmpx_ne_u32_e32 0x7f, v10
	s_cbranch_execz .LBB214_1970
; %bb.1967:                             ;   in Loop: Header=BB214_1581 Depth=1
	v_dual_lshrrev_b32 v6, 3, v10 :: v_dual_bitop2_b32 v24, 7, v11 bitop3:0x40
	s_mov_b32 s15, exec_lo
	v_cmpx_gt_u32_e32 8, v10
; %bb.1968:                             ;   in Loop: Header=BB214_1581 Depth=1
	s_delay_alu instid0(VALU_DEP_2) | instskip(NEXT) | instid1(VALU_DEP_1)
	v_clz_i32_u32_e32 v6, v24
	v_min_u32_e32 v6, 32, v6
	s_delay_alu instid0(VALU_DEP_1) | instskip(SKIP_1) | instid1(VALU_DEP_2)
	v_subrev_nc_u32_e32 v7, 28, v6
	v_sub_nc_u32_e32 v6, 29, v6
	v_lshlrev_b64_e32 v[10:11], v7, v[24:25]
	s_delay_alu instid0(VALU_DEP_1)
	v_and_b32_e32 v24, 7, v10
; %bb.1969:                             ;   in Loop: Header=BB214_1581 Depth=1
	s_or_b32 exec_lo, exec_lo, s15
	s_delay_alu instid0(VALU_DEP_1) | instskip(SKIP_1) | instid1(VALU_DEP_2)
	v_dual_lshlrev_b32 v7, 16, v14 :: v_dual_lshlrev_b32 v10, 20, v24
	v_lshl_add_u32 v6, v6, 23, 0x3c000000
	v_and_b32_e32 v7, 0x80000000, v7
	s_delay_alu instid0(VALU_DEP_1)
	v_or3_b32 v7, v10, v7, v6
	v_mov_b32_e32 v6, v25
.LBB214_1970:                           ;   in Loop: Header=BB214_1581 Depth=1
	s_or_b32 exec_lo, exec_lo, s14
.LBB214_1971:                           ;   in Loop: Header=BB214_1581 Depth=1
	s_delay_alu instid0(SALU_CYCLE_1)
	s_or_b32 exec_lo, exec_lo, s9
.LBB214_1972:                           ;   in Loop: Header=BB214_1581 Depth=1
	s_delay_alu instid0(SALU_CYCLE_1) | instskip(SKIP_4) | instid1(VALU_DEP_3)
	s_or_b32 exec_lo, exec_lo, s8
	v_lshrrev_b32_e32 v15, 16, v14
	v_mov_b64_e32 v[10:11], 0
	v_mov_b64_e32 v[12:13], 0
	s_mov_b32 s8, exec_lo
	v_and_b32_e32 v16, 0xff, v15
	s_delay_alu instid0(VALU_DEP_1)
	v_cmpx_ne_u16_e32 0, v16
	s_cbranch_execz .LBB214_1980
; %bb.1973:                             ;   in Loop: Header=BB214_1581 Depth=1
	v_mov_b64_e32 v[12:13], 0x80000000
	s_mov_b32 s9, exec_lo
	v_cmpx_ne_u16_e32 0x80, v16
	s_cbranch_execz .LBB214_1979
; %bb.1974:                             ;   in Loop: Header=BB214_1581 Depth=1
	v_mov_b64_e32 v[12:13], 0x7f800001
	v_bfe_u32 v16, v14, 16, 7
	s_mov_b32 s14, exec_lo
	s_delay_alu instid0(VALU_DEP_1)
	v_cmpx_ne_u32_e32 0x7f, v16
	s_cbranch_execz .LBB214_1978
; %bb.1975:                             ;   in Loop: Header=BB214_1581 Depth=1
	v_dual_lshrrev_b32 v12, 3, v16 :: v_dual_bitop2_b32 v24, 7, v15 bitop3:0x40
	s_mov_b32 s15, exec_lo
	v_cmpx_gt_u32_e32 8, v16
; %bb.1976:                             ;   in Loop: Header=BB214_1581 Depth=1
	s_delay_alu instid0(VALU_DEP_2) | instskip(NEXT) | instid1(VALU_DEP_1)
	v_clz_i32_u32_e32 v12, v24
	v_min_u32_e32 v12, 32, v12
	s_delay_alu instid0(VALU_DEP_1) | instskip(SKIP_1) | instid1(VALU_DEP_2)
	v_subrev_nc_u32_e32 v13, 28, v12
	v_sub_nc_u32_e32 v12, 29, v12
	v_lshlrev_b64_e32 v[16:17], v13, v[24:25]
	s_delay_alu instid0(VALU_DEP_1)
	v_and_b32_e32 v24, 7, v16
; %bb.1977:                             ;   in Loop: Header=BB214_1581 Depth=1
	s_or_b32 exec_lo, exec_lo, s15
	s_delay_alu instid0(VALU_DEP_1) | instskip(SKIP_1) | instid1(VALU_DEP_2)
	v_dual_lshlrev_b32 v13, 24, v15 :: v_dual_lshlrev_b32 v15, 20, v24
	v_lshl_add_u32 v12, v12, 23, 0x3c000000
	v_and_b32_e32 v13, 0x80000000, v13
	s_delay_alu instid0(VALU_DEP_1) | instskip(NEXT) | instid1(VALU_DEP_1)
	v_or3_b32 v24, v15, v13, v12
	v_mov_b64_e32 v[12:13], v[24:25]
.LBB214_1978:                           ;   in Loop: Header=BB214_1581 Depth=1
	s_or_b32 exec_lo, exec_lo, s14
.LBB214_1979:                           ;   in Loop: Header=BB214_1581 Depth=1
	s_delay_alu instid0(SALU_CYCLE_1)
	s_or_b32 exec_lo, exec_lo, s9
.LBB214_1980:                           ;   in Loop: Header=BB214_1581 Depth=1
	s_delay_alu instid0(SALU_CYCLE_1) | instskip(NEXT) | instid1(SALU_CYCLE_1)
	s_or_b32 exec_lo, exec_lo, s8
	s_mov_b32 s8, exec_lo
	v_cmpx_lt_u32_e32 0xffffff, v14
	s_cbranch_execz .LBB214_1988
; %bb.1981:                             ;   in Loop: Header=BB214_1581 Depth=1
	v_mov_b64_e32 v[10:11], 0x8000000000000000
	v_lshrrev_b32_e32 v15, 24, v14
	s_mov_b32 s9, exec_lo
	s_delay_alu instid0(VALU_DEP_1)
	v_cmpx_ne_u32_e32 0x80, v15
	s_cbranch_execz .LBB214_1987
; %bb.1982:                             ;   in Loop: Header=BB214_1581 Depth=1
	v_mov_b64_e32 v[10:11], 0x7f80000100000000
	v_bfe_u32 v14, v14, 24, 7
	s_mov_b32 s14, exec_lo
	s_delay_alu instid0(VALU_DEP_1)
	v_cmpx_ne_u32_e32 0x7f, v14
	s_cbranch_execz .LBB214_1986
; %bb.1983:                             ;   in Loop: Header=BB214_1581 Depth=1
	v_dual_lshrrev_b32 v10, 3, v14 :: v_dual_bitop2_b32 v24, 7, v15 bitop3:0x40
	s_mov_b32 s15, exec_lo
	v_cmpx_gt_u32_e32 8, v14
; %bb.1984:                             ;   in Loop: Header=BB214_1581 Depth=1
	s_delay_alu instid0(VALU_DEP_2) | instskip(NEXT) | instid1(VALU_DEP_1)
	v_clz_i32_u32_e32 v10, v24
	v_min_u32_e32 v10, 32, v10
	s_delay_alu instid0(VALU_DEP_1) | instskip(NEXT) | instid1(VALU_DEP_1)
	v_subrev_nc_u32_e32 v11, 28, v10
	v_lshlrev_b64_e32 v[16:17], v11, v[24:25]
	s_delay_alu instid0(VALU_DEP_1)
	v_dual_sub_nc_u32 v10, 29, v10 :: v_dual_bitop2_b32 v24, 7, v16 bitop3:0x40
; %bb.1985:                             ;   in Loop: Header=BB214_1581 Depth=1
	s_or_b32 exec_lo, exec_lo, s15
	s_delay_alu instid0(VALU_DEP_1) | instskip(NEXT) | instid1(VALU_DEP_2)
	v_dual_lshlrev_b32 v11, 24, v15 :: v_dual_lshlrev_b32 v14, 20, v24
	v_lshl_add_u32 v10, v10, 23, 0x3c000000
	s_delay_alu instid0(VALU_DEP_2) | instskip(NEXT) | instid1(VALU_DEP_1)
	v_and_b32_e32 v11, 0x80000000, v11
	v_or3_b32 v11, v14, v11, v10
	v_mov_b32_e32 v10, v25
.LBB214_1986:                           ;   in Loop: Header=BB214_1581 Depth=1
	s_or_b32 exec_lo, exec_lo, s14
.LBB214_1987:                           ;   in Loop: Header=BB214_1581 Depth=1
	s_delay_alu instid0(SALU_CYCLE_1)
	s_or_b32 exec_lo, exec_lo, s9
.LBB214_1988:                           ;   in Loop: Header=BB214_1581 Depth=1
	s_delay_alu instid0(SALU_CYCLE_1) | instskip(SKIP_4) | instid1(VALU_DEP_3)
	s_or_b32 exec_lo, exec_lo, s8
	v_or_b32_e32 v7, v7, v9
	v_or_b32_e32 v6, v6, v8
	;; [unrolled: 1-line block ×4, first 2 shown]
	v_pk_mul_f32 v[6:7], v[114:115], v[6:7]
	scratch_store_b64 off, v[6:7], s32 offset:420 ; 8-byte Folded Spill
	s_wait_xcnt 0x0
	v_pk_mul_f32 v[6:7], v[114:115], v[8:9]
	scratch_store_b64 off, v[6:7], s32 offset:412 ; 8-byte Folded Spill
	s_wait_xcnt 0x0
	s_and_saveexec_b32 s8, vcc_lo
	s_cbranch_execz .LBB214_1990
; %bb.1989:                             ;   in Loop: Header=BB214_1581 Depth=1
	s_clause 0x1
	scratch_load_b64 v[6:7], off, s32 offset:200
	scratch_load_b64 v[8:9], off, s32 offset:420 th:TH_LOAD_LU
	s_wait_loadcnt 0x1
	v_cmp_lt_i32_e64 s0, v29, v6
	s_wait_loadcnt 0x0
	s_delay_alu instid0(VALU_DEP_1) | instskip(SKIP_1) | instid1(VALU_DEP_1)
	v_cndmask_b32_e64 v8, 0, v8, s0
	v_cmp_lt_i32_e64 s0, v30, v6
	v_cndmask_b32_e64 v9, 0, v9, s0
	v_cmp_lt_i32_e64 s0, v32, v6
	s_clause 0x1
	scratch_store_b64 off, v[8:9], s32 offset:420
	scratch_load_b64 v[8:9], off, s32 offset:412 th:TH_LOAD_LU
	s_wait_loadcnt 0x0
	v_cndmask_b32_e64 v8, 0, v8, s0
	v_cmp_lt_i32_e64 s0, v31, v6
	s_delay_alu instid0(VALU_DEP_1)
	v_cndmask_b32_e64 v9, 0, v9, s0
	scratch_store_b64 off, v[8:9], s32 offset:412 ; 8-byte Folded Spill
.LBB214_1990:                           ;   in Loop: Header=BB214_1581 Depth=1
	s_wait_xcnt 0x0
	s_or_b32 exec_lo, exec_lo, s8
	flat_load_b32 v14, v[0:1] offset:1536
	v_mov_b64_e32 v[6:7], 0
	v_mov_b64_e32 v[8:9], 0
	s_mov_b32 s8, exec_lo
	s_wait_loadcnt_dscnt 0x0
	v_and_b32_e32 v10, 0xff, v14
	s_wait_xcnt 0x0
	s_delay_alu instid0(VALU_DEP_1)
	v_cmpx_ne_u16_e32 0, v10
	s_cbranch_execz .LBB214_1998
; %bb.1991:                             ;   in Loop: Header=BB214_1581 Depth=1
	v_mov_b64_e32 v[8:9], 0x80000000
	s_mov_b32 s9, exec_lo
	v_cmpx_ne_u16_e32 0x80, v10
	s_cbranch_execz .LBB214_1997
; %bb.1992:                             ;   in Loop: Header=BB214_1581 Depth=1
	v_mov_b64_e32 v[8:9], 0x7f800001
	v_and_b32_e32 v10, 0x7f, v14
	s_mov_b32 s14, exec_lo
	s_delay_alu instid0(VALU_DEP_1)
	v_cmpx_ne_u32_e32 0x7f, v10
	s_cbranch_execz .LBB214_1996
; %bb.1993:                             ;   in Loop: Header=BB214_1581 Depth=1
	v_and_b32_e32 v24, 7, v14
	v_lshrrev_b32_e32 v8, 3, v10
	s_mov_b32 s15, exec_lo
	v_cmpx_gt_u32_e32 8, v10
; %bb.1994:                             ;   in Loop: Header=BB214_1581 Depth=1
	s_delay_alu instid0(VALU_DEP_3) | instskip(NEXT) | instid1(VALU_DEP_1)
	v_clz_i32_u32_e32 v8, v24
	v_min_u32_e32 v8, 32, v8
	s_delay_alu instid0(VALU_DEP_1) | instskip(NEXT) | instid1(VALU_DEP_1)
	v_subrev_nc_u32_e32 v9, 28, v8
	v_lshlrev_b64_e32 v[10:11], v9, v[24:25]
	s_delay_alu instid0(VALU_DEP_1)
	v_dual_sub_nc_u32 v8, 29, v8 :: v_dual_bitop2_b32 v24, 7, v10 bitop3:0x40
; %bb.1995:                             ;   in Loop: Header=BB214_1581 Depth=1
	s_or_b32 exec_lo, exec_lo, s15
	s_delay_alu instid0(VALU_DEP_1) | instskip(NEXT) | instid1(VALU_DEP_2)
	v_dual_lshlrev_b32 v9, 24, v14 :: v_dual_lshlrev_b32 v10, 20, v24
	v_lshl_add_u32 v8, v8, 23, 0x3c000000
	s_delay_alu instid0(VALU_DEP_2) | instskip(NEXT) | instid1(VALU_DEP_1)
	v_and_b32_e32 v9, 0x80000000, v9
	v_or3_b32 v24, v10, v9, v8
	s_delay_alu instid0(VALU_DEP_1)
	v_mov_b64_e32 v[8:9], v[24:25]
.LBB214_1996:                           ;   in Loop: Header=BB214_1581 Depth=1
	s_or_b32 exec_lo, exec_lo, s14
.LBB214_1997:                           ;   in Loop: Header=BB214_1581 Depth=1
	s_delay_alu instid0(SALU_CYCLE_1)
	s_or_b32 exec_lo, exec_lo, s9
.LBB214_1998:                           ;   in Loop: Header=BB214_1581 Depth=1
	s_delay_alu instid0(SALU_CYCLE_1) | instskip(SKIP_2) | instid1(VALU_DEP_1)
	s_or_b32 exec_lo, exec_lo, s8
	v_lshrrev_b16 v10, 8, v14
	s_mov_b32 s8, exec_lo
	v_cmpx_ne_u16_e32 0, v10
	s_cbranch_execz .LBB214_2006
; %bb.1999:                             ;   in Loop: Header=BB214_1581 Depth=1
	v_mov_b64_e32 v[6:7], 0x8000000000000000
	s_mov_b32 s9, exec_lo
	v_cmpx_ne_u16_e32 0x80, v10
	s_cbranch_execz .LBB214_2005
; %bb.2000:                             ;   in Loop: Header=BB214_1581 Depth=1
	v_and_b32_e32 v11, 0xffff, v10
	v_mov_b64_e32 v[6:7], 0x7f80000100000000
	s_mov_b32 s14, exec_lo
	s_delay_alu instid0(VALU_DEP_2) | instskip(NEXT) | instid1(VALU_DEP_1)
	v_and_b32_e32 v10, 0x7f, v11
	v_cmpx_ne_u32_e32 0x7f, v10
	s_cbranch_execz .LBB214_2004
; %bb.2001:                             ;   in Loop: Header=BB214_1581 Depth=1
	v_dual_lshrrev_b32 v6, 3, v10 :: v_dual_bitop2_b32 v24, 7, v11 bitop3:0x40
	s_mov_b32 s15, exec_lo
	v_cmpx_gt_u32_e32 8, v10
; %bb.2002:                             ;   in Loop: Header=BB214_1581 Depth=1
	s_delay_alu instid0(VALU_DEP_2) | instskip(NEXT) | instid1(VALU_DEP_1)
	v_clz_i32_u32_e32 v6, v24
	v_min_u32_e32 v6, 32, v6
	s_delay_alu instid0(VALU_DEP_1) | instskip(SKIP_1) | instid1(VALU_DEP_2)
	v_subrev_nc_u32_e32 v7, 28, v6
	v_sub_nc_u32_e32 v6, 29, v6
	v_lshlrev_b64_e32 v[10:11], v7, v[24:25]
	s_delay_alu instid0(VALU_DEP_1)
	v_and_b32_e32 v24, 7, v10
; %bb.2003:                             ;   in Loop: Header=BB214_1581 Depth=1
	s_or_b32 exec_lo, exec_lo, s15
	s_delay_alu instid0(VALU_DEP_1) | instskip(SKIP_1) | instid1(VALU_DEP_2)
	v_dual_lshlrev_b32 v7, 16, v14 :: v_dual_lshlrev_b32 v10, 20, v24
	v_lshl_add_u32 v6, v6, 23, 0x3c000000
	v_and_b32_e32 v7, 0x80000000, v7
	s_delay_alu instid0(VALU_DEP_1)
	v_or3_b32 v7, v10, v7, v6
	v_mov_b32_e32 v6, v25
.LBB214_2004:                           ;   in Loop: Header=BB214_1581 Depth=1
	s_or_b32 exec_lo, exec_lo, s14
.LBB214_2005:                           ;   in Loop: Header=BB214_1581 Depth=1
	s_delay_alu instid0(SALU_CYCLE_1)
	s_or_b32 exec_lo, exec_lo, s9
.LBB214_2006:                           ;   in Loop: Header=BB214_1581 Depth=1
	s_delay_alu instid0(SALU_CYCLE_1) | instskip(SKIP_4) | instid1(VALU_DEP_3)
	s_or_b32 exec_lo, exec_lo, s8
	v_lshrrev_b32_e32 v15, 16, v14
	v_mov_b64_e32 v[10:11], 0
	v_mov_b64_e32 v[12:13], 0
	s_mov_b32 s8, exec_lo
	v_and_b32_e32 v16, 0xff, v15
	s_delay_alu instid0(VALU_DEP_1)
	v_cmpx_ne_u16_e32 0, v16
	s_cbranch_execz .LBB214_2014
; %bb.2007:                             ;   in Loop: Header=BB214_1581 Depth=1
	v_mov_b64_e32 v[12:13], 0x80000000
	s_mov_b32 s9, exec_lo
	v_cmpx_ne_u16_e32 0x80, v16
	s_cbranch_execz .LBB214_2013
; %bb.2008:                             ;   in Loop: Header=BB214_1581 Depth=1
	v_mov_b64_e32 v[12:13], 0x7f800001
	v_bfe_u32 v16, v14, 16, 7
	s_mov_b32 s14, exec_lo
	s_delay_alu instid0(VALU_DEP_1)
	v_cmpx_ne_u32_e32 0x7f, v16
	s_cbranch_execz .LBB214_2012
; %bb.2009:                             ;   in Loop: Header=BB214_1581 Depth=1
	v_dual_lshrrev_b32 v12, 3, v16 :: v_dual_bitop2_b32 v24, 7, v15 bitop3:0x40
	s_mov_b32 s15, exec_lo
	v_cmpx_gt_u32_e32 8, v16
; %bb.2010:                             ;   in Loop: Header=BB214_1581 Depth=1
	s_delay_alu instid0(VALU_DEP_2) | instskip(NEXT) | instid1(VALU_DEP_1)
	v_clz_i32_u32_e32 v12, v24
	v_min_u32_e32 v12, 32, v12
	s_delay_alu instid0(VALU_DEP_1) | instskip(SKIP_1) | instid1(VALU_DEP_2)
	v_subrev_nc_u32_e32 v13, 28, v12
	v_sub_nc_u32_e32 v12, 29, v12
	v_lshlrev_b64_e32 v[16:17], v13, v[24:25]
	s_delay_alu instid0(VALU_DEP_1)
	v_and_b32_e32 v24, 7, v16
; %bb.2011:                             ;   in Loop: Header=BB214_1581 Depth=1
	s_or_b32 exec_lo, exec_lo, s15
	s_delay_alu instid0(VALU_DEP_1) | instskip(SKIP_1) | instid1(VALU_DEP_2)
	v_dual_lshlrev_b32 v13, 24, v15 :: v_dual_lshlrev_b32 v15, 20, v24
	v_lshl_add_u32 v12, v12, 23, 0x3c000000
	v_and_b32_e32 v13, 0x80000000, v13
	s_delay_alu instid0(VALU_DEP_1) | instskip(NEXT) | instid1(VALU_DEP_1)
	v_or3_b32 v24, v15, v13, v12
	v_mov_b64_e32 v[12:13], v[24:25]
.LBB214_2012:                           ;   in Loop: Header=BB214_1581 Depth=1
	s_or_b32 exec_lo, exec_lo, s14
.LBB214_2013:                           ;   in Loop: Header=BB214_1581 Depth=1
	s_delay_alu instid0(SALU_CYCLE_1)
	s_or_b32 exec_lo, exec_lo, s9
.LBB214_2014:                           ;   in Loop: Header=BB214_1581 Depth=1
	s_delay_alu instid0(SALU_CYCLE_1) | instskip(NEXT) | instid1(SALU_CYCLE_1)
	s_or_b32 exec_lo, exec_lo, s8
	s_mov_b32 s8, exec_lo
	v_cmpx_lt_u32_e32 0xffffff, v14
	s_cbranch_execz .LBB214_2022
; %bb.2015:                             ;   in Loop: Header=BB214_1581 Depth=1
	v_mov_b64_e32 v[10:11], 0x8000000000000000
	v_lshrrev_b32_e32 v15, 24, v14
	s_mov_b32 s9, exec_lo
	s_delay_alu instid0(VALU_DEP_1)
	v_cmpx_ne_u32_e32 0x80, v15
	s_cbranch_execz .LBB214_2021
; %bb.2016:                             ;   in Loop: Header=BB214_1581 Depth=1
	v_mov_b64_e32 v[10:11], 0x7f80000100000000
	v_bfe_u32 v14, v14, 24, 7
	s_mov_b32 s14, exec_lo
	s_delay_alu instid0(VALU_DEP_1)
	v_cmpx_ne_u32_e32 0x7f, v14
	s_cbranch_execz .LBB214_2020
; %bb.2017:                             ;   in Loop: Header=BB214_1581 Depth=1
	v_dual_lshrrev_b32 v10, 3, v14 :: v_dual_bitop2_b32 v24, 7, v15 bitop3:0x40
	s_mov_b32 s15, exec_lo
	v_cmpx_gt_u32_e32 8, v14
; %bb.2018:                             ;   in Loop: Header=BB214_1581 Depth=1
	s_delay_alu instid0(VALU_DEP_2) | instskip(NEXT) | instid1(VALU_DEP_1)
	v_clz_i32_u32_e32 v10, v24
	v_min_u32_e32 v10, 32, v10
	s_delay_alu instid0(VALU_DEP_1) | instskip(NEXT) | instid1(VALU_DEP_1)
	v_subrev_nc_u32_e32 v11, 28, v10
	v_lshlrev_b64_e32 v[16:17], v11, v[24:25]
	s_delay_alu instid0(VALU_DEP_1)
	v_dual_sub_nc_u32 v10, 29, v10 :: v_dual_bitop2_b32 v24, 7, v16 bitop3:0x40
; %bb.2019:                             ;   in Loop: Header=BB214_1581 Depth=1
	s_or_b32 exec_lo, exec_lo, s15
	s_delay_alu instid0(VALU_DEP_1) | instskip(NEXT) | instid1(VALU_DEP_2)
	v_dual_lshlrev_b32 v11, 24, v15 :: v_dual_lshlrev_b32 v14, 20, v24
	v_lshl_add_u32 v10, v10, 23, 0x3c000000
	s_delay_alu instid0(VALU_DEP_2) | instskip(NEXT) | instid1(VALU_DEP_1)
	v_and_b32_e32 v11, 0x80000000, v11
	v_or3_b32 v11, v14, v11, v10
	v_mov_b32_e32 v10, v25
.LBB214_2020:                           ;   in Loop: Header=BB214_1581 Depth=1
	s_or_b32 exec_lo, exec_lo, s14
.LBB214_2021:                           ;   in Loop: Header=BB214_1581 Depth=1
	s_delay_alu instid0(SALU_CYCLE_1)
	s_or_b32 exec_lo, exec_lo, s9
.LBB214_2022:                           ;   in Loop: Header=BB214_1581 Depth=1
	s_delay_alu instid0(SALU_CYCLE_1) | instskip(SKIP_4) | instid1(VALU_DEP_3)
	s_or_b32 exec_lo, exec_lo, s8
	v_or_b32_e32 v7, v7, v9
	v_or_b32_e32 v6, v6, v8
	;; [unrolled: 1-line block ×4, first 2 shown]
	v_pk_mul_f32 v[6:7], v[114:115], v[6:7]
	scratch_store_b64 off, v[6:7], s32 offset:436 ; 8-byte Folded Spill
	s_wait_xcnt 0x0
	v_pk_mul_f32 v[6:7], v[114:115], v[8:9]
	scratch_store_b64 off, v[6:7], s32 offset:428 ; 8-byte Folded Spill
	s_wait_xcnt 0x0
	s_and_saveexec_b32 s8, vcc_lo
	s_cbranch_execz .LBB214_2024
; %bb.2023:                             ;   in Loop: Header=BB214_1581 Depth=1
	s_clause 0x1
	scratch_load_b64 v[6:7], off, s32 offset:200
	scratch_load_b64 v[8:9], off, s32 offset:436 th:TH_LOAD_LU
	s_wait_loadcnt 0x1
	v_cmp_lt_i32_e64 s0, v29, v6
	s_wait_loadcnt 0x0
	s_delay_alu instid0(VALU_DEP_1) | instskip(SKIP_1) | instid1(VALU_DEP_1)
	v_cndmask_b32_e64 v8, 0, v8, s0
	v_cmp_lt_i32_e64 s0, v30, v6
	v_cndmask_b32_e64 v9, 0, v9, s0
	v_cmp_lt_i32_e64 s0, v32, v6
	s_clause 0x1
	scratch_store_b64 off, v[8:9], s32 offset:436
	scratch_load_b64 v[8:9], off, s32 offset:428 th:TH_LOAD_LU
	s_wait_loadcnt 0x0
	v_cndmask_b32_e64 v8, 0, v8, s0
	v_cmp_lt_i32_e64 s0, v31, v6
	s_delay_alu instid0(VALU_DEP_1)
	v_cndmask_b32_e64 v9, 0, v9, s0
	scratch_store_b64 off, v[8:9], s32 offset:428 ; 8-byte Folded Spill
.LBB214_2024:                           ;   in Loop: Header=BB214_1581 Depth=1
	s_wait_xcnt 0x0
	s_or_b32 exec_lo, exec_lo, s8
	flat_load_b32 v14, v[0:1] offset:1664
	v_mov_b64_e32 v[6:7], 0
	v_mov_b64_e32 v[8:9], 0
	s_mov_b32 s8, exec_lo
	s_wait_loadcnt_dscnt 0x0
	v_and_b32_e32 v10, 0xff, v14
	s_wait_xcnt 0x0
	s_delay_alu instid0(VALU_DEP_1)
	v_cmpx_ne_u16_e32 0, v10
	s_cbranch_execz .LBB214_2032
; %bb.2025:                             ;   in Loop: Header=BB214_1581 Depth=1
	v_mov_b64_e32 v[8:9], 0x80000000
	s_mov_b32 s9, exec_lo
	v_cmpx_ne_u16_e32 0x80, v10
	s_cbranch_execz .LBB214_2031
; %bb.2026:                             ;   in Loop: Header=BB214_1581 Depth=1
	v_mov_b64_e32 v[8:9], 0x7f800001
	v_and_b32_e32 v10, 0x7f, v14
	s_mov_b32 s14, exec_lo
	s_delay_alu instid0(VALU_DEP_1)
	v_cmpx_ne_u32_e32 0x7f, v10
	s_cbranch_execz .LBB214_2030
; %bb.2027:                             ;   in Loop: Header=BB214_1581 Depth=1
	v_and_b32_e32 v24, 7, v14
	v_lshrrev_b32_e32 v8, 3, v10
	s_mov_b32 s15, exec_lo
	v_cmpx_gt_u32_e32 8, v10
; %bb.2028:                             ;   in Loop: Header=BB214_1581 Depth=1
	s_delay_alu instid0(VALU_DEP_3) | instskip(NEXT) | instid1(VALU_DEP_1)
	v_clz_i32_u32_e32 v8, v24
	v_min_u32_e32 v8, 32, v8
	s_delay_alu instid0(VALU_DEP_1) | instskip(NEXT) | instid1(VALU_DEP_1)
	v_subrev_nc_u32_e32 v9, 28, v8
	v_lshlrev_b64_e32 v[10:11], v9, v[24:25]
	s_delay_alu instid0(VALU_DEP_1)
	v_dual_sub_nc_u32 v8, 29, v8 :: v_dual_bitop2_b32 v24, 7, v10 bitop3:0x40
; %bb.2029:                             ;   in Loop: Header=BB214_1581 Depth=1
	s_or_b32 exec_lo, exec_lo, s15
	s_delay_alu instid0(VALU_DEP_1) | instskip(NEXT) | instid1(VALU_DEP_2)
	v_dual_lshlrev_b32 v9, 24, v14 :: v_dual_lshlrev_b32 v10, 20, v24
	v_lshl_add_u32 v8, v8, 23, 0x3c000000
	s_delay_alu instid0(VALU_DEP_2) | instskip(NEXT) | instid1(VALU_DEP_1)
	v_and_b32_e32 v9, 0x80000000, v9
	v_or3_b32 v24, v10, v9, v8
	s_delay_alu instid0(VALU_DEP_1)
	v_mov_b64_e32 v[8:9], v[24:25]
.LBB214_2030:                           ;   in Loop: Header=BB214_1581 Depth=1
	s_or_b32 exec_lo, exec_lo, s14
.LBB214_2031:                           ;   in Loop: Header=BB214_1581 Depth=1
	s_delay_alu instid0(SALU_CYCLE_1)
	s_or_b32 exec_lo, exec_lo, s9
.LBB214_2032:                           ;   in Loop: Header=BB214_1581 Depth=1
	s_delay_alu instid0(SALU_CYCLE_1) | instskip(SKIP_2) | instid1(VALU_DEP_1)
	s_or_b32 exec_lo, exec_lo, s8
	v_lshrrev_b16 v10, 8, v14
	s_mov_b32 s8, exec_lo
	v_cmpx_ne_u16_e32 0, v10
	s_cbranch_execz .LBB214_2040
; %bb.2033:                             ;   in Loop: Header=BB214_1581 Depth=1
	v_mov_b64_e32 v[6:7], 0x8000000000000000
	s_mov_b32 s9, exec_lo
	v_cmpx_ne_u16_e32 0x80, v10
	s_cbranch_execz .LBB214_2039
; %bb.2034:                             ;   in Loop: Header=BB214_1581 Depth=1
	v_and_b32_e32 v11, 0xffff, v10
	v_mov_b64_e32 v[6:7], 0x7f80000100000000
	s_mov_b32 s14, exec_lo
	s_delay_alu instid0(VALU_DEP_2) | instskip(NEXT) | instid1(VALU_DEP_1)
	v_and_b32_e32 v10, 0x7f, v11
	v_cmpx_ne_u32_e32 0x7f, v10
	s_cbranch_execz .LBB214_2038
; %bb.2035:                             ;   in Loop: Header=BB214_1581 Depth=1
	v_dual_lshrrev_b32 v6, 3, v10 :: v_dual_bitop2_b32 v24, 7, v11 bitop3:0x40
	s_mov_b32 s15, exec_lo
	v_cmpx_gt_u32_e32 8, v10
; %bb.2036:                             ;   in Loop: Header=BB214_1581 Depth=1
	s_delay_alu instid0(VALU_DEP_2) | instskip(NEXT) | instid1(VALU_DEP_1)
	v_clz_i32_u32_e32 v6, v24
	v_min_u32_e32 v6, 32, v6
	s_delay_alu instid0(VALU_DEP_1) | instskip(SKIP_1) | instid1(VALU_DEP_2)
	v_subrev_nc_u32_e32 v7, 28, v6
	v_sub_nc_u32_e32 v6, 29, v6
	v_lshlrev_b64_e32 v[10:11], v7, v[24:25]
	s_delay_alu instid0(VALU_DEP_1)
	v_and_b32_e32 v24, 7, v10
; %bb.2037:                             ;   in Loop: Header=BB214_1581 Depth=1
	s_or_b32 exec_lo, exec_lo, s15
	s_delay_alu instid0(VALU_DEP_1) | instskip(SKIP_1) | instid1(VALU_DEP_2)
	v_dual_lshlrev_b32 v7, 16, v14 :: v_dual_lshlrev_b32 v10, 20, v24
	v_lshl_add_u32 v6, v6, 23, 0x3c000000
	v_and_b32_e32 v7, 0x80000000, v7
	s_delay_alu instid0(VALU_DEP_1)
	v_or3_b32 v7, v10, v7, v6
	v_mov_b32_e32 v6, v25
.LBB214_2038:                           ;   in Loop: Header=BB214_1581 Depth=1
	s_or_b32 exec_lo, exec_lo, s14
.LBB214_2039:                           ;   in Loop: Header=BB214_1581 Depth=1
	s_delay_alu instid0(SALU_CYCLE_1)
	s_or_b32 exec_lo, exec_lo, s9
.LBB214_2040:                           ;   in Loop: Header=BB214_1581 Depth=1
	s_delay_alu instid0(SALU_CYCLE_1) | instskip(SKIP_4) | instid1(VALU_DEP_3)
	s_or_b32 exec_lo, exec_lo, s8
	v_lshrrev_b32_e32 v15, 16, v14
	v_mov_b64_e32 v[10:11], 0
	v_mov_b64_e32 v[12:13], 0
	s_mov_b32 s8, exec_lo
	v_and_b32_e32 v16, 0xff, v15
	s_delay_alu instid0(VALU_DEP_1)
	v_cmpx_ne_u16_e32 0, v16
	s_cbranch_execz .LBB214_2048
; %bb.2041:                             ;   in Loop: Header=BB214_1581 Depth=1
	v_mov_b64_e32 v[12:13], 0x80000000
	s_mov_b32 s9, exec_lo
	v_cmpx_ne_u16_e32 0x80, v16
	s_cbranch_execz .LBB214_2047
; %bb.2042:                             ;   in Loop: Header=BB214_1581 Depth=1
	v_mov_b64_e32 v[12:13], 0x7f800001
	v_bfe_u32 v16, v14, 16, 7
	s_mov_b32 s14, exec_lo
	s_delay_alu instid0(VALU_DEP_1)
	v_cmpx_ne_u32_e32 0x7f, v16
	s_cbranch_execz .LBB214_2046
; %bb.2043:                             ;   in Loop: Header=BB214_1581 Depth=1
	v_dual_lshrrev_b32 v12, 3, v16 :: v_dual_bitop2_b32 v24, 7, v15 bitop3:0x40
	s_mov_b32 s15, exec_lo
	v_cmpx_gt_u32_e32 8, v16
; %bb.2044:                             ;   in Loop: Header=BB214_1581 Depth=1
	s_delay_alu instid0(VALU_DEP_2) | instskip(NEXT) | instid1(VALU_DEP_1)
	v_clz_i32_u32_e32 v12, v24
	v_min_u32_e32 v12, 32, v12
	s_delay_alu instid0(VALU_DEP_1) | instskip(SKIP_1) | instid1(VALU_DEP_2)
	v_subrev_nc_u32_e32 v13, 28, v12
	v_sub_nc_u32_e32 v12, 29, v12
	v_lshlrev_b64_e32 v[16:17], v13, v[24:25]
	s_delay_alu instid0(VALU_DEP_1)
	v_and_b32_e32 v24, 7, v16
; %bb.2045:                             ;   in Loop: Header=BB214_1581 Depth=1
	s_or_b32 exec_lo, exec_lo, s15
	s_delay_alu instid0(VALU_DEP_1) | instskip(SKIP_1) | instid1(VALU_DEP_2)
	v_dual_lshlrev_b32 v13, 24, v15 :: v_dual_lshlrev_b32 v15, 20, v24
	v_lshl_add_u32 v12, v12, 23, 0x3c000000
	v_and_b32_e32 v13, 0x80000000, v13
	s_delay_alu instid0(VALU_DEP_1) | instskip(NEXT) | instid1(VALU_DEP_1)
	v_or3_b32 v24, v15, v13, v12
	v_mov_b64_e32 v[12:13], v[24:25]
.LBB214_2046:                           ;   in Loop: Header=BB214_1581 Depth=1
	s_or_b32 exec_lo, exec_lo, s14
.LBB214_2047:                           ;   in Loop: Header=BB214_1581 Depth=1
	s_delay_alu instid0(SALU_CYCLE_1)
	s_or_b32 exec_lo, exec_lo, s9
.LBB214_2048:                           ;   in Loop: Header=BB214_1581 Depth=1
	s_delay_alu instid0(SALU_CYCLE_1) | instskip(NEXT) | instid1(SALU_CYCLE_1)
	s_or_b32 exec_lo, exec_lo, s8
	s_mov_b32 s8, exec_lo
	v_cmpx_lt_u32_e32 0xffffff, v14
	s_cbranch_execz .LBB214_2056
; %bb.2049:                             ;   in Loop: Header=BB214_1581 Depth=1
	v_mov_b64_e32 v[10:11], 0x8000000000000000
	v_lshrrev_b32_e32 v15, 24, v14
	s_mov_b32 s9, exec_lo
	s_delay_alu instid0(VALU_DEP_1)
	v_cmpx_ne_u32_e32 0x80, v15
	s_cbranch_execz .LBB214_2055
; %bb.2050:                             ;   in Loop: Header=BB214_1581 Depth=1
	v_mov_b64_e32 v[10:11], 0x7f80000100000000
	v_bfe_u32 v14, v14, 24, 7
	s_mov_b32 s14, exec_lo
	s_delay_alu instid0(VALU_DEP_1)
	v_cmpx_ne_u32_e32 0x7f, v14
	s_cbranch_execz .LBB214_2054
; %bb.2051:                             ;   in Loop: Header=BB214_1581 Depth=1
	v_dual_lshrrev_b32 v10, 3, v14 :: v_dual_bitop2_b32 v24, 7, v15 bitop3:0x40
	s_mov_b32 s15, exec_lo
	v_cmpx_gt_u32_e32 8, v14
; %bb.2052:                             ;   in Loop: Header=BB214_1581 Depth=1
	s_delay_alu instid0(VALU_DEP_2) | instskip(NEXT) | instid1(VALU_DEP_1)
	v_clz_i32_u32_e32 v10, v24
	v_min_u32_e32 v10, 32, v10
	s_delay_alu instid0(VALU_DEP_1) | instskip(NEXT) | instid1(VALU_DEP_1)
	v_subrev_nc_u32_e32 v11, 28, v10
	v_lshlrev_b64_e32 v[16:17], v11, v[24:25]
	s_delay_alu instid0(VALU_DEP_1)
	v_dual_sub_nc_u32 v10, 29, v10 :: v_dual_bitop2_b32 v24, 7, v16 bitop3:0x40
; %bb.2053:                             ;   in Loop: Header=BB214_1581 Depth=1
	s_or_b32 exec_lo, exec_lo, s15
	s_delay_alu instid0(VALU_DEP_1) | instskip(NEXT) | instid1(VALU_DEP_2)
	v_dual_lshlrev_b32 v11, 24, v15 :: v_dual_lshlrev_b32 v14, 20, v24
	v_lshl_add_u32 v10, v10, 23, 0x3c000000
	s_delay_alu instid0(VALU_DEP_2) | instskip(NEXT) | instid1(VALU_DEP_1)
	v_and_b32_e32 v11, 0x80000000, v11
	v_or3_b32 v11, v14, v11, v10
	v_mov_b32_e32 v10, v25
.LBB214_2054:                           ;   in Loop: Header=BB214_1581 Depth=1
	s_or_b32 exec_lo, exec_lo, s14
.LBB214_2055:                           ;   in Loop: Header=BB214_1581 Depth=1
	s_delay_alu instid0(SALU_CYCLE_1)
	s_or_b32 exec_lo, exec_lo, s9
.LBB214_2056:                           ;   in Loop: Header=BB214_1581 Depth=1
	s_delay_alu instid0(SALU_CYCLE_1) | instskip(SKIP_4) | instid1(VALU_DEP_3)
	s_or_b32 exec_lo, exec_lo, s8
	v_or_b32_e32 v7, v7, v9
	v_or_b32_e32 v6, v6, v8
	;; [unrolled: 1-line block ×4, first 2 shown]
	v_pk_mul_f32 v[6:7], v[114:115], v[6:7]
	scratch_store_b64 off, v[6:7], s32 offset:452 ; 8-byte Folded Spill
	s_wait_xcnt 0x0
	v_pk_mul_f32 v[6:7], v[114:115], v[8:9]
	scratch_store_b64 off, v[6:7], s32 offset:444 ; 8-byte Folded Spill
	s_wait_xcnt 0x0
	s_and_saveexec_b32 s8, vcc_lo
	s_cbranch_execz .LBB214_2058
; %bb.2057:                             ;   in Loop: Header=BB214_1581 Depth=1
	s_clause 0x1
	scratch_load_b64 v[6:7], off, s32 offset:200
	scratch_load_b64 v[8:9], off, s32 offset:452 th:TH_LOAD_LU
	s_wait_loadcnt 0x1
	v_cmp_lt_i32_e64 s0, v29, v6
	s_wait_loadcnt 0x0
	s_delay_alu instid0(VALU_DEP_1) | instskip(SKIP_1) | instid1(VALU_DEP_1)
	v_cndmask_b32_e64 v8, 0, v8, s0
	v_cmp_lt_i32_e64 s0, v30, v6
	v_cndmask_b32_e64 v9, 0, v9, s0
	v_cmp_lt_i32_e64 s0, v32, v6
	s_clause 0x1
	scratch_store_b64 off, v[8:9], s32 offset:452
	scratch_load_b64 v[8:9], off, s32 offset:444 th:TH_LOAD_LU
	s_wait_loadcnt 0x0
	v_cndmask_b32_e64 v8, 0, v8, s0
	v_cmp_lt_i32_e64 s0, v31, v6
	s_delay_alu instid0(VALU_DEP_1)
	v_cndmask_b32_e64 v9, 0, v9, s0
	scratch_store_b64 off, v[8:9], s32 offset:444 ; 8-byte Folded Spill
.LBB214_2058:                           ;   in Loop: Header=BB214_1581 Depth=1
	s_wait_xcnt 0x0
	s_or_b32 exec_lo, exec_lo, s8
	flat_load_b32 v14, v[0:1] offset:1792
	v_mov_b64_e32 v[6:7], 0
	v_mov_b64_e32 v[8:9], 0
	s_mov_b32 s8, exec_lo
	s_wait_loadcnt_dscnt 0x0
	v_and_b32_e32 v10, 0xff, v14
	s_wait_xcnt 0x0
	s_delay_alu instid0(VALU_DEP_1)
	v_cmpx_ne_u16_e32 0, v10
	s_cbranch_execz .LBB214_2066
; %bb.2059:                             ;   in Loop: Header=BB214_1581 Depth=1
	v_mov_b64_e32 v[8:9], 0x80000000
	s_mov_b32 s9, exec_lo
	v_cmpx_ne_u16_e32 0x80, v10
	s_cbranch_execz .LBB214_2065
; %bb.2060:                             ;   in Loop: Header=BB214_1581 Depth=1
	v_mov_b64_e32 v[8:9], 0x7f800001
	v_and_b32_e32 v10, 0x7f, v14
	s_mov_b32 s14, exec_lo
	s_delay_alu instid0(VALU_DEP_1)
	v_cmpx_ne_u32_e32 0x7f, v10
	s_cbranch_execz .LBB214_2064
; %bb.2061:                             ;   in Loop: Header=BB214_1581 Depth=1
	v_and_b32_e32 v24, 7, v14
	v_lshrrev_b32_e32 v8, 3, v10
	s_mov_b32 s15, exec_lo
	v_cmpx_gt_u32_e32 8, v10
; %bb.2062:                             ;   in Loop: Header=BB214_1581 Depth=1
	s_delay_alu instid0(VALU_DEP_3) | instskip(NEXT) | instid1(VALU_DEP_1)
	v_clz_i32_u32_e32 v8, v24
	v_min_u32_e32 v8, 32, v8
	s_delay_alu instid0(VALU_DEP_1) | instskip(NEXT) | instid1(VALU_DEP_1)
	v_subrev_nc_u32_e32 v9, 28, v8
	v_lshlrev_b64_e32 v[10:11], v9, v[24:25]
	s_delay_alu instid0(VALU_DEP_1)
	v_dual_sub_nc_u32 v8, 29, v8 :: v_dual_bitop2_b32 v24, 7, v10 bitop3:0x40
; %bb.2063:                             ;   in Loop: Header=BB214_1581 Depth=1
	s_or_b32 exec_lo, exec_lo, s15
	s_delay_alu instid0(VALU_DEP_1) | instskip(NEXT) | instid1(VALU_DEP_2)
	v_dual_lshlrev_b32 v9, 24, v14 :: v_dual_lshlrev_b32 v10, 20, v24
	v_lshl_add_u32 v8, v8, 23, 0x3c000000
	s_delay_alu instid0(VALU_DEP_2) | instskip(NEXT) | instid1(VALU_DEP_1)
	v_and_b32_e32 v9, 0x80000000, v9
	v_or3_b32 v24, v10, v9, v8
	s_delay_alu instid0(VALU_DEP_1)
	v_mov_b64_e32 v[8:9], v[24:25]
.LBB214_2064:                           ;   in Loop: Header=BB214_1581 Depth=1
	s_or_b32 exec_lo, exec_lo, s14
.LBB214_2065:                           ;   in Loop: Header=BB214_1581 Depth=1
	s_delay_alu instid0(SALU_CYCLE_1)
	s_or_b32 exec_lo, exec_lo, s9
.LBB214_2066:                           ;   in Loop: Header=BB214_1581 Depth=1
	s_delay_alu instid0(SALU_CYCLE_1) | instskip(SKIP_2) | instid1(VALU_DEP_1)
	s_or_b32 exec_lo, exec_lo, s8
	v_lshrrev_b16 v10, 8, v14
	s_mov_b32 s8, exec_lo
	v_cmpx_ne_u16_e32 0, v10
	s_cbranch_execz .LBB214_2074
; %bb.2067:                             ;   in Loop: Header=BB214_1581 Depth=1
	v_mov_b64_e32 v[6:7], 0x8000000000000000
	s_mov_b32 s9, exec_lo
	v_cmpx_ne_u16_e32 0x80, v10
	s_cbranch_execz .LBB214_2073
; %bb.2068:                             ;   in Loop: Header=BB214_1581 Depth=1
	v_and_b32_e32 v11, 0xffff, v10
	v_mov_b64_e32 v[6:7], 0x7f80000100000000
	s_mov_b32 s14, exec_lo
	s_delay_alu instid0(VALU_DEP_2) | instskip(NEXT) | instid1(VALU_DEP_1)
	v_and_b32_e32 v10, 0x7f, v11
	v_cmpx_ne_u32_e32 0x7f, v10
	s_cbranch_execz .LBB214_2072
; %bb.2069:                             ;   in Loop: Header=BB214_1581 Depth=1
	v_dual_lshrrev_b32 v6, 3, v10 :: v_dual_bitop2_b32 v24, 7, v11 bitop3:0x40
	s_mov_b32 s15, exec_lo
	v_cmpx_gt_u32_e32 8, v10
; %bb.2070:                             ;   in Loop: Header=BB214_1581 Depth=1
	s_delay_alu instid0(VALU_DEP_2) | instskip(NEXT) | instid1(VALU_DEP_1)
	v_clz_i32_u32_e32 v6, v24
	v_min_u32_e32 v6, 32, v6
	s_delay_alu instid0(VALU_DEP_1) | instskip(SKIP_1) | instid1(VALU_DEP_2)
	v_subrev_nc_u32_e32 v7, 28, v6
	v_sub_nc_u32_e32 v6, 29, v6
	v_lshlrev_b64_e32 v[10:11], v7, v[24:25]
	s_delay_alu instid0(VALU_DEP_1)
	v_and_b32_e32 v24, 7, v10
; %bb.2071:                             ;   in Loop: Header=BB214_1581 Depth=1
	s_or_b32 exec_lo, exec_lo, s15
	s_delay_alu instid0(VALU_DEP_1) | instskip(SKIP_1) | instid1(VALU_DEP_2)
	v_dual_lshlrev_b32 v7, 16, v14 :: v_dual_lshlrev_b32 v10, 20, v24
	v_lshl_add_u32 v6, v6, 23, 0x3c000000
	v_and_b32_e32 v7, 0x80000000, v7
	s_delay_alu instid0(VALU_DEP_1)
	v_or3_b32 v7, v10, v7, v6
	v_mov_b32_e32 v6, v25
.LBB214_2072:                           ;   in Loop: Header=BB214_1581 Depth=1
	s_or_b32 exec_lo, exec_lo, s14
.LBB214_2073:                           ;   in Loop: Header=BB214_1581 Depth=1
	s_delay_alu instid0(SALU_CYCLE_1)
	s_or_b32 exec_lo, exec_lo, s9
.LBB214_2074:                           ;   in Loop: Header=BB214_1581 Depth=1
	s_delay_alu instid0(SALU_CYCLE_1) | instskip(SKIP_4) | instid1(VALU_DEP_3)
	s_or_b32 exec_lo, exec_lo, s8
	v_lshrrev_b32_e32 v15, 16, v14
	v_mov_b64_e32 v[10:11], 0
	v_mov_b64_e32 v[12:13], 0
	s_mov_b32 s8, exec_lo
	v_and_b32_e32 v16, 0xff, v15
	s_delay_alu instid0(VALU_DEP_1)
	v_cmpx_ne_u16_e32 0, v16
	s_cbranch_execz .LBB214_2082
; %bb.2075:                             ;   in Loop: Header=BB214_1581 Depth=1
	v_mov_b64_e32 v[12:13], 0x80000000
	s_mov_b32 s9, exec_lo
	v_cmpx_ne_u16_e32 0x80, v16
	s_cbranch_execz .LBB214_2081
; %bb.2076:                             ;   in Loop: Header=BB214_1581 Depth=1
	v_mov_b64_e32 v[12:13], 0x7f800001
	v_bfe_u32 v16, v14, 16, 7
	s_mov_b32 s14, exec_lo
	s_delay_alu instid0(VALU_DEP_1)
	v_cmpx_ne_u32_e32 0x7f, v16
	s_cbranch_execz .LBB214_2080
; %bb.2077:                             ;   in Loop: Header=BB214_1581 Depth=1
	v_dual_lshrrev_b32 v12, 3, v16 :: v_dual_bitop2_b32 v24, 7, v15 bitop3:0x40
	s_mov_b32 s15, exec_lo
	v_cmpx_gt_u32_e32 8, v16
; %bb.2078:                             ;   in Loop: Header=BB214_1581 Depth=1
	s_delay_alu instid0(VALU_DEP_2) | instskip(NEXT) | instid1(VALU_DEP_1)
	v_clz_i32_u32_e32 v12, v24
	v_min_u32_e32 v12, 32, v12
	s_delay_alu instid0(VALU_DEP_1) | instskip(SKIP_1) | instid1(VALU_DEP_2)
	v_subrev_nc_u32_e32 v13, 28, v12
	v_sub_nc_u32_e32 v12, 29, v12
	v_lshlrev_b64_e32 v[16:17], v13, v[24:25]
	s_delay_alu instid0(VALU_DEP_1)
	v_and_b32_e32 v24, 7, v16
; %bb.2079:                             ;   in Loop: Header=BB214_1581 Depth=1
	s_or_b32 exec_lo, exec_lo, s15
	s_delay_alu instid0(VALU_DEP_1) | instskip(SKIP_1) | instid1(VALU_DEP_2)
	v_dual_lshlrev_b32 v13, 24, v15 :: v_dual_lshlrev_b32 v15, 20, v24
	v_lshl_add_u32 v12, v12, 23, 0x3c000000
	v_and_b32_e32 v13, 0x80000000, v13
	s_delay_alu instid0(VALU_DEP_1) | instskip(NEXT) | instid1(VALU_DEP_1)
	v_or3_b32 v24, v15, v13, v12
	v_mov_b64_e32 v[12:13], v[24:25]
.LBB214_2080:                           ;   in Loop: Header=BB214_1581 Depth=1
	s_or_b32 exec_lo, exec_lo, s14
.LBB214_2081:                           ;   in Loop: Header=BB214_1581 Depth=1
	s_delay_alu instid0(SALU_CYCLE_1)
	s_or_b32 exec_lo, exec_lo, s9
.LBB214_2082:                           ;   in Loop: Header=BB214_1581 Depth=1
	s_delay_alu instid0(SALU_CYCLE_1) | instskip(NEXT) | instid1(SALU_CYCLE_1)
	s_or_b32 exec_lo, exec_lo, s8
	s_mov_b32 s8, exec_lo
	v_cmpx_lt_u32_e32 0xffffff, v14
	s_cbranch_execz .LBB214_2090
; %bb.2083:                             ;   in Loop: Header=BB214_1581 Depth=1
	v_mov_b64_e32 v[10:11], 0x8000000000000000
	v_lshrrev_b32_e32 v15, 24, v14
	s_mov_b32 s9, exec_lo
	s_delay_alu instid0(VALU_DEP_1)
	v_cmpx_ne_u32_e32 0x80, v15
	s_cbranch_execz .LBB214_2089
; %bb.2084:                             ;   in Loop: Header=BB214_1581 Depth=1
	v_mov_b64_e32 v[10:11], 0x7f80000100000000
	v_bfe_u32 v14, v14, 24, 7
	s_mov_b32 s14, exec_lo
	s_delay_alu instid0(VALU_DEP_1)
	v_cmpx_ne_u32_e32 0x7f, v14
	s_cbranch_execz .LBB214_2088
; %bb.2085:                             ;   in Loop: Header=BB214_1581 Depth=1
	v_dual_lshrrev_b32 v10, 3, v14 :: v_dual_bitop2_b32 v24, 7, v15 bitop3:0x40
	s_mov_b32 s15, exec_lo
	v_cmpx_gt_u32_e32 8, v14
; %bb.2086:                             ;   in Loop: Header=BB214_1581 Depth=1
	s_delay_alu instid0(VALU_DEP_2) | instskip(NEXT) | instid1(VALU_DEP_1)
	v_clz_i32_u32_e32 v10, v24
	v_min_u32_e32 v10, 32, v10
	s_delay_alu instid0(VALU_DEP_1) | instskip(NEXT) | instid1(VALU_DEP_1)
	v_subrev_nc_u32_e32 v11, 28, v10
	v_lshlrev_b64_e32 v[16:17], v11, v[24:25]
	s_delay_alu instid0(VALU_DEP_1)
	v_dual_sub_nc_u32 v10, 29, v10 :: v_dual_bitop2_b32 v24, 7, v16 bitop3:0x40
; %bb.2087:                             ;   in Loop: Header=BB214_1581 Depth=1
	s_or_b32 exec_lo, exec_lo, s15
	s_delay_alu instid0(VALU_DEP_1) | instskip(NEXT) | instid1(VALU_DEP_2)
	v_dual_lshlrev_b32 v11, 24, v15 :: v_dual_lshlrev_b32 v14, 20, v24
	v_lshl_add_u32 v10, v10, 23, 0x3c000000
	s_delay_alu instid0(VALU_DEP_2) | instskip(NEXT) | instid1(VALU_DEP_1)
	v_and_b32_e32 v11, 0x80000000, v11
	v_or3_b32 v11, v14, v11, v10
	v_mov_b32_e32 v10, v25
.LBB214_2088:                           ;   in Loop: Header=BB214_1581 Depth=1
	s_or_b32 exec_lo, exec_lo, s14
.LBB214_2089:                           ;   in Loop: Header=BB214_1581 Depth=1
	s_delay_alu instid0(SALU_CYCLE_1)
	s_or_b32 exec_lo, exec_lo, s9
.LBB214_2090:                           ;   in Loop: Header=BB214_1581 Depth=1
	s_delay_alu instid0(SALU_CYCLE_1) | instskip(SKIP_4) | instid1(VALU_DEP_3)
	s_or_b32 exec_lo, exec_lo, s8
	v_or_b32_e32 v7, v7, v9
	v_or_b32_e32 v6, v6, v8
	;; [unrolled: 1-line block ×4, first 2 shown]
	v_pk_mul_f32 v[6:7], v[114:115], v[6:7]
	scratch_store_b64 off, v[6:7], s32 offset:468 ; 8-byte Folded Spill
	s_wait_xcnt 0x0
	v_pk_mul_f32 v[6:7], v[114:115], v[8:9]
	scratch_store_b64 off, v[6:7], s32 offset:460 ; 8-byte Folded Spill
	s_wait_xcnt 0x0
	s_and_saveexec_b32 s8, vcc_lo
	s_cbranch_execz .LBB214_2092
; %bb.2091:                             ;   in Loop: Header=BB214_1581 Depth=1
	s_clause 0x1
	scratch_load_b64 v[6:7], off, s32 offset:200
	scratch_load_b64 v[8:9], off, s32 offset:468 th:TH_LOAD_LU
	s_wait_loadcnt 0x1
	v_cmp_lt_i32_e64 s0, v29, v6
	s_wait_loadcnt 0x0
	s_delay_alu instid0(VALU_DEP_1) | instskip(SKIP_1) | instid1(VALU_DEP_1)
	v_cndmask_b32_e64 v8, 0, v8, s0
	v_cmp_lt_i32_e64 s0, v30, v6
	v_cndmask_b32_e64 v9, 0, v9, s0
	v_cmp_lt_i32_e64 s0, v32, v6
	s_clause 0x1
	scratch_store_b64 off, v[8:9], s32 offset:468
	scratch_load_b64 v[8:9], off, s32 offset:460 th:TH_LOAD_LU
	s_wait_loadcnt 0x0
	v_cndmask_b32_e64 v8, 0, v8, s0
	v_cmp_lt_i32_e64 s0, v31, v6
	s_delay_alu instid0(VALU_DEP_1)
	v_cndmask_b32_e64 v9, 0, v9, s0
	scratch_store_b64 off, v[8:9], s32 offset:460 ; 8-byte Folded Spill
.LBB214_2092:                           ;   in Loop: Header=BB214_1581 Depth=1
	s_wait_xcnt 0x0
	s_or_b32 exec_lo, exec_lo, s8
	flat_load_b32 v14, v[0:1] offset:1920
	v_mov_b64_e32 v[6:7], 0
	v_mov_b64_e32 v[8:9], 0
	s_mov_b32 s8, exec_lo
	s_wait_loadcnt_dscnt 0x0
	v_and_b32_e32 v10, 0xff, v14
	s_wait_xcnt 0x0
	s_delay_alu instid0(VALU_DEP_1)
	v_cmpx_ne_u16_e32 0, v10
	s_cbranch_execz .LBB214_2100
; %bb.2093:                             ;   in Loop: Header=BB214_1581 Depth=1
	v_mov_b64_e32 v[8:9], 0x80000000
	s_mov_b32 s9, exec_lo
	v_cmpx_ne_u16_e32 0x80, v10
	s_cbranch_execz .LBB214_2099
; %bb.2094:                             ;   in Loop: Header=BB214_1581 Depth=1
	v_mov_b64_e32 v[8:9], 0x7f800001
	v_and_b32_e32 v10, 0x7f, v14
	s_mov_b32 s14, exec_lo
	s_delay_alu instid0(VALU_DEP_1)
	v_cmpx_ne_u32_e32 0x7f, v10
	s_cbranch_execz .LBB214_2098
; %bb.2095:                             ;   in Loop: Header=BB214_1581 Depth=1
	v_and_b32_e32 v24, 7, v14
	v_lshrrev_b32_e32 v8, 3, v10
	s_mov_b32 s15, exec_lo
	v_cmpx_gt_u32_e32 8, v10
; %bb.2096:                             ;   in Loop: Header=BB214_1581 Depth=1
	s_delay_alu instid0(VALU_DEP_3) | instskip(NEXT) | instid1(VALU_DEP_1)
	v_clz_i32_u32_e32 v8, v24
	v_min_u32_e32 v8, 32, v8
	s_delay_alu instid0(VALU_DEP_1) | instskip(NEXT) | instid1(VALU_DEP_1)
	v_subrev_nc_u32_e32 v9, 28, v8
	v_lshlrev_b64_e32 v[10:11], v9, v[24:25]
	s_delay_alu instid0(VALU_DEP_1)
	v_dual_sub_nc_u32 v8, 29, v8 :: v_dual_bitop2_b32 v24, 7, v10 bitop3:0x40
; %bb.2097:                             ;   in Loop: Header=BB214_1581 Depth=1
	s_or_b32 exec_lo, exec_lo, s15
	s_delay_alu instid0(VALU_DEP_1) | instskip(NEXT) | instid1(VALU_DEP_2)
	v_dual_lshlrev_b32 v9, 24, v14 :: v_dual_lshlrev_b32 v10, 20, v24
	v_lshl_add_u32 v8, v8, 23, 0x3c000000
	s_delay_alu instid0(VALU_DEP_2) | instskip(NEXT) | instid1(VALU_DEP_1)
	v_and_b32_e32 v9, 0x80000000, v9
	v_or3_b32 v24, v10, v9, v8
	s_delay_alu instid0(VALU_DEP_1)
	v_mov_b64_e32 v[8:9], v[24:25]
.LBB214_2098:                           ;   in Loop: Header=BB214_1581 Depth=1
	s_or_b32 exec_lo, exec_lo, s14
.LBB214_2099:                           ;   in Loop: Header=BB214_1581 Depth=1
	s_delay_alu instid0(SALU_CYCLE_1)
	s_or_b32 exec_lo, exec_lo, s9
.LBB214_2100:                           ;   in Loop: Header=BB214_1581 Depth=1
	s_delay_alu instid0(SALU_CYCLE_1) | instskip(SKIP_2) | instid1(VALU_DEP_1)
	s_or_b32 exec_lo, exec_lo, s8
	v_lshrrev_b16 v10, 8, v14
	s_mov_b32 s8, exec_lo
	v_cmpx_ne_u16_e32 0, v10
	s_cbranch_execz .LBB214_2108
; %bb.2101:                             ;   in Loop: Header=BB214_1581 Depth=1
	v_mov_b64_e32 v[6:7], 0x8000000000000000
	s_mov_b32 s9, exec_lo
	v_cmpx_ne_u16_e32 0x80, v10
	s_cbranch_execz .LBB214_2107
; %bb.2102:                             ;   in Loop: Header=BB214_1581 Depth=1
	v_and_b32_e32 v11, 0xffff, v10
	v_mov_b64_e32 v[6:7], 0x7f80000100000000
	s_mov_b32 s14, exec_lo
	s_delay_alu instid0(VALU_DEP_2) | instskip(NEXT) | instid1(VALU_DEP_1)
	v_and_b32_e32 v10, 0x7f, v11
	v_cmpx_ne_u32_e32 0x7f, v10
	s_cbranch_execz .LBB214_2106
; %bb.2103:                             ;   in Loop: Header=BB214_1581 Depth=1
	v_dual_lshrrev_b32 v6, 3, v10 :: v_dual_bitop2_b32 v24, 7, v11 bitop3:0x40
	s_mov_b32 s15, exec_lo
	v_cmpx_gt_u32_e32 8, v10
; %bb.2104:                             ;   in Loop: Header=BB214_1581 Depth=1
	s_delay_alu instid0(VALU_DEP_2) | instskip(NEXT) | instid1(VALU_DEP_1)
	v_clz_i32_u32_e32 v6, v24
	v_min_u32_e32 v6, 32, v6
	s_delay_alu instid0(VALU_DEP_1) | instskip(SKIP_1) | instid1(VALU_DEP_2)
	v_subrev_nc_u32_e32 v7, 28, v6
	v_sub_nc_u32_e32 v6, 29, v6
	v_lshlrev_b64_e32 v[10:11], v7, v[24:25]
	s_delay_alu instid0(VALU_DEP_1)
	v_and_b32_e32 v24, 7, v10
; %bb.2105:                             ;   in Loop: Header=BB214_1581 Depth=1
	s_or_b32 exec_lo, exec_lo, s15
	s_delay_alu instid0(VALU_DEP_1) | instskip(SKIP_1) | instid1(VALU_DEP_2)
	v_dual_lshlrev_b32 v7, 16, v14 :: v_dual_lshlrev_b32 v10, 20, v24
	v_lshl_add_u32 v6, v6, 23, 0x3c000000
	v_and_b32_e32 v7, 0x80000000, v7
	s_delay_alu instid0(VALU_DEP_1)
	v_or3_b32 v7, v10, v7, v6
	v_mov_b32_e32 v6, v25
.LBB214_2106:                           ;   in Loop: Header=BB214_1581 Depth=1
	s_or_b32 exec_lo, exec_lo, s14
.LBB214_2107:                           ;   in Loop: Header=BB214_1581 Depth=1
	s_delay_alu instid0(SALU_CYCLE_1)
	s_or_b32 exec_lo, exec_lo, s9
.LBB214_2108:                           ;   in Loop: Header=BB214_1581 Depth=1
	s_delay_alu instid0(SALU_CYCLE_1) | instskip(SKIP_4) | instid1(VALU_DEP_3)
	s_or_b32 exec_lo, exec_lo, s8
	v_lshrrev_b32_e32 v15, 16, v14
	v_mov_b64_e32 v[10:11], 0
	v_mov_b64_e32 v[12:13], 0
	s_mov_b32 s8, exec_lo
	v_and_b32_e32 v16, 0xff, v15
	s_delay_alu instid0(VALU_DEP_1)
	v_cmpx_ne_u16_e32 0, v16
	s_cbranch_execz .LBB214_2116
; %bb.2109:                             ;   in Loop: Header=BB214_1581 Depth=1
	v_mov_b64_e32 v[12:13], 0x80000000
	s_mov_b32 s9, exec_lo
	v_cmpx_ne_u16_e32 0x80, v16
	s_cbranch_execz .LBB214_2115
; %bb.2110:                             ;   in Loop: Header=BB214_1581 Depth=1
	v_mov_b64_e32 v[12:13], 0x7f800001
	v_bfe_u32 v16, v14, 16, 7
	s_mov_b32 s14, exec_lo
	s_delay_alu instid0(VALU_DEP_1)
	v_cmpx_ne_u32_e32 0x7f, v16
	s_cbranch_execz .LBB214_2114
; %bb.2111:                             ;   in Loop: Header=BB214_1581 Depth=1
	v_dual_lshrrev_b32 v12, 3, v16 :: v_dual_bitop2_b32 v24, 7, v15 bitop3:0x40
	s_mov_b32 s15, exec_lo
	v_cmpx_gt_u32_e32 8, v16
; %bb.2112:                             ;   in Loop: Header=BB214_1581 Depth=1
	s_delay_alu instid0(VALU_DEP_2) | instskip(NEXT) | instid1(VALU_DEP_1)
	v_clz_i32_u32_e32 v12, v24
	v_min_u32_e32 v12, 32, v12
	s_delay_alu instid0(VALU_DEP_1) | instskip(SKIP_1) | instid1(VALU_DEP_2)
	v_subrev_nc_u32_e32 v13, 28, v12
	v_sub_nc_u32_e32 v12, 29, v12
	v_lshlrev_b64_e32 v[16:17], v13, v[24:25]
	s_delay_alu instid0(VALU_DEP_1)
	v_and_b32_e32 v24, 7, v16
; %bb.2113:                             ;   in Loop: Header=BB214_1581 Depth=1
	s_or_b32 exec_lo, exec_lo, s15
	s_delay_alu instid0(VALU_DEP_1) | instskip(SKIP_1) | instid1(VALU_DEP_2)
	v_dual_lshlrev_b32 v13, 24, v15 :: v_dual_lshlrev_b32 v15, 20, v24
	v_lshl_add_u32 v12, v12, 23, 0x3c000000
	v_and_b32_e32 v13, 0x80000000, v13
	s_delay_alu instid0(VALU_DEP_1) | instskip(NEXT) | instid1(VALU_DEP_1)
	v_or3_b32 v24, v15, v13, v12
	v_mov_b64_e32 v[12:13], v[24:25]
.LBB214_2114:                           ;   in Loop: Header=BB214_1581 Depth=1
	s_or_b32 exec_lo, exec_lo, s14
.LBB214_2115:                           ;   in Loop: Header=BB214_1581 Depth=1
	s_delay_alu instid0(SALU_CYCLE_1)
	s_or_b32 exec_lo, exec_lo, s9
.LBB214_2116:                           ;   in Loop: Header=BB214_1581 Depth=1
	s_delay_alu instid0(SALU_CYCLE_1) | instskip(NEXT) | instid1(SALU_CYCLE_1)
	s_or_b32 exec_lo, exec_lo, s8
	s_mov_b32 s8, exec_lo
	v_cmpx_lt_u32_e32 0xffffff, v14
	s_cbranch_execz .LBB214_2124
; %bb.2117:                             ;   in Loop: Header=BB214_1581 Depth=1
	v_mov_b64_e32 v[10:11], 0x8000000000000000
	v_lshrrev_b32_e32 v15, 24, v14
	s_mov_b32 s9, exec_lo
	s_delay_alu instid0(VALU_DEP_1)
	v_cmpx_ne_u32_e32 0x80, v15
	s_cbranch_execz .LBB214_2123
; %bb.2118:                             ;   in Loop: Header=BB214_1581 Depth=1
	v_mov_b64_e32 v[10:11], 0x7f80000100000000
	v_bfe_u32 v14, v14, 24, 7
	s_mov_b32 s14, exec_lo
	s_delay_alu instid0(VALU_DEP_1)
	v_cmpx_ne_u32_e32 0x7f, v14
	s_cbranch_execz .LBB214_2122
; %bb.2119:                             ;   in Loop: Header=BB214_1581 Depth=1
	v_dual_lshrrev_b32 v10, 3, v14 :: v_dual_bitop2_b32 v24, 7, v15 bitop3:0x40
	s_mov_b32 s15, exec_lo
	v_cmpx_gt_u32_e32 8, v14
; %bb.2120:                             ;   in Loop: Header=BB214_1581 Depth=1
	s_delay_alu instid0(VALU_DEP_2) | instskip(NEXT) | instid1(VALU_DEP_1)
	v_clz_i32_u32_e32 v10, v24
	v_min_u32_e32 v10, 32, v10
	s_delay_alu instid0(VALU_DEP_1) | instskip(NEXT) | instid1(VALU_DEP_1)
	v_subrev_nc_u32_e32 v11, 28, v10
	v_lshlrev_b64_e32 v[16:17], v11, v[24:25]
	s_delay_alu instid0(VALU_DEP_1)
	v_dual_sub_nc_u32 v10, 29, v10 :: v_dual_bitop2_b32 v24, 7, v16 bitop3:0x40
; %bb.2121:                             ;   in Loop: Header=BB214_1581 Depth=1
	s_or_b32 exec_lo, exec_lo, s15
	s_delay_alu instid0(VALU_DEP_1) | instskip(NEXT) | instid1(VALU_DEP_2)
	v_dual_lshlrev_b32 v11, 24, v15 :: v_dual_lshlrev_b32 v14, 20, v24
	v_lshl_add_u32 v10, v10, 23, 0x3c000000
	s_delay_alu instid0(VALU_DEP_2) | instskip(NEXT) | instid1(VALU_DEP_1)
	v_and_b32_e32 v11, 0x80000000, v11
	v_or3_b32 v11, v14, v11, v10
	v_mov_b32_e32 v10, v25
.LBB214_2122:                           ;   in Loop: Header=BB214_1581 Depth=1
	s_or_b32 exec_lo, exec_lo, s14
.LBB214_2123:                           ;   in Loop: Header=BB214_1581 Depth=1
	s_delay_alu instid0(SALU_CYCLE_1)
	s_or_b32 exec_lo, exec_lo, s9
.LBB214_2124:                           ;   in Loop: Header=BB214_1581 Depth=1
	s_delay_alu instid0(SALU_CYCLE_1) | instskip(SKIP_4) | instid1(VALU_DEP_3)
	s_or_b32 exec_lo, exec_lo, s8
	v_or_b32_e32 v7, v7, v9
	v_or_b32_e32 v6, v6, v8
	;; [unrolled: 1-line block ×4, first 2 shown]
	v_pk_mul_f32 v[6:7], v[114:115], v[6:7]
	scratch_store_b64 off, v[6:7], s32 offset:484 ; 8-byte Folded Spill
	s_wait_xcnt 0x0
	v_pk_mul_f32 v[6:7], v[114:115], v[8:9]
	scratch_store_b64 off, v[6:7], s32 offset:476 ; 8-byte Folded Spill
	s_wait_xcnt 0x0
	s_and_saveexec_b32 s8, vcc_lo
	s_cbranch_execz .LBB214_2126
; %bb.2125:                             ;   in Loop: Header=BB214_1581 Depth=1
	s_clause 0x1
	scratch_load_b64 v[6:7], off, s32 offset:200
	scratch_load_b64 v[8:9], off, s32 offset:484 th:TH_LOAD_LU
	s_wait_loadcnt 0x1
	v_cmp_lt_i32_e64 s0, v29, v6
	s_wait_loadcnt 0x0
	s_delay_alu instid0(VALU_DEP_1) | instskip(SKIP_1) | instid1(VALU_DEP_1)
	v_cndmask_b32_e64 v8, 0, v8, s0
	v_cmp_lt_i32_e64 s0, v30, v6
	v_cndmask_b32_e64 v9, 0, v9, s0
	v_cmp_lt_i32_e64 s0, v32, v6
	s_clause 0x1
	scratch_store_b64 off, v[8:9], s32 offset:484
	scratch_load_b64 v[8:9], off, s32 offset:476 th:TH_LOAD_LU
	s_wait_loadcnt 0x0
	v_cndmask_b32_e64 v8, 0, v8, s0
	v_cmp_lt_i32_e64 s0, v31, v6
	s_delay_alu instid0(VALU_DEP_1)
	v_cndmask_b32_e64 v9, 0, v9, s0
	scratch_store_b64 off, v[8:9], s32 offset:476 ; 8-byte Folded Spill
.LBB214_2126:                           ;   in Loop: Header=BB214_1581 Depth=1
	s_wait_xcnt 0x0
	s_or_b32 exec_lo, exec_lo, s8
	flat_load_b32 v14, v[0:1] offset:2048
	v_mov_b64_e32 v[6:7], 0
	v_mov_b64_e32 v[8:9], 0
	s_mov_b32 s8, exec_lo
	s_wait_loadcnt_dscnt 0x0
	v_and_b32_e32 v10, 0xff, v14
	s_wait_xcnt 0x0
	s_delay_alu instid0(VALU_DEP_1)
	v_cmpx_ne_u16_e32 0, v10
	s_cbranch_execz .LBB214_2134
; %bb.2127:                             ;   in Loop: Header=BB214_1581 Depth=1
	v_mov_b64_e32 v[8:9], 0x80000000
	s_mov_b32 s9, exec_lo
	v_cmpx_ne_u16_e32 0x80, v10
	s_cbranch_execz .LBB214_2133
; %bb.2128:                             ;   in Loop: Header=BB214_1581 Depth=1
	v_mov_b64_e32 v[8:9], 0x7f800001
	v_and_b32_e32 v10, 0x7f, v14
	s_mov_b32 s14, exec_lo
	s_delay_alu instid0(VALU_DEP_1)
	v_cmpx_ne_u32_e32 0x7f, v10
	s_cbranch_execz .LBB214_2132
; %bb.2129:                             ;   in Loop: Header=BB214_1581 Depth=1
	v_and_b32_e32 v24, 7, v14
	v_lshrrev_b32_e32 v8, 3, v10
	s_mov_b32 s15, exec_lo
	v_cmpx_gt_u32_e32 8, v10
; %bb.2130:                             ;   in Loop: Header=BB214_1581 Depth=1
	s_delay_alu instid0(VALU_DEP_3) | instskip(NEXT) | instid1(VALU_DEP_1)
	v_clz_i32_u32_e32 v8, v24
	v_min_u32_e32 v8, 32, v8
	s_delay_alu instid0(VALU_DEP_1) | instskip(NEXT) | instid1(VALU_DEP_1)
	v_subrev_nc_u32_e32 v9, 28, v8
	v_lshlrev_b64_e32 v[10:11], v9, v[24:25]
	s_delay_alu instid0(VALU_DEP_1)
	v_dual_sub_nc_u32 v8, 29, v8 :: v_dual_bitop2_b32 v24, 7, v10 bitop3:0x40
; %bb.2131:                             ;   in Loop: Header=BB214_1581 Depth=1
	s_or_b32 exec_lo, exec_lo, s15
	s_delay_alu instid0(VALU_DEP_1) | instskip(NEXT) | instid1(VALU_DEP_2)
	v_dual_lshlrev_b32 v9, 24, v14 :: v_dual_lshlrev_b32 v10, 20, v24
	v_lshl_add_u32 v8, v8, 23, 0x3c000000
	s_delay_alu instid0(VALU_DEP_2) | instskip(NEXT) | instid1(VALU_DEP_1)
	v_and_b32_e32 v9, 0x80000000, v9
	v_or3_b32 v24, v10, v9, v8
	s_delay_alu instid0(VALU_DEP_1)
	v_mov_b64_e32 v[8:9], v[24:25]
.LBB214_2132:                           ;   in Loop: Header=BB214_1581 Depth=1
	s_or_b32 exec_lo, exec_lo, s14
.LBB214_2133:                           ;   in Loop: Header=BB214_1581 Depth=1
	s_delay_alu instid0(SALU_CYCLE_1)
	s_or_b32 exec_lo, exec_lo, s9
.LBB214_2134:                           ;   in Loop: Header=BB214_1581 Depth=1
	s_delay_alu instid0(SALU_CYCLE_1) | instskip(SKIP_2) | instid1(VALU_DEP_1)
	s_or_b32 exec_lo, exec_lo, s8
	v_lshrrev_b16 v10, 8, v14
	s_mov_b32 s8, exec_lo
	v_cmpx_ne_u16_e32 0, v10
	s_cbranch_execz .LBB214_2142
; %bb.2135:                             ;   in Loop: Header=BB214_1581 Depth=1
	v_mov_b64_e32 v[6:7], 0x8000000000000000
	s_mov_b32 s9, exec_lo
	v_cmpx_ne_u16_e32 0x80, v10
	s_cbranch_execz .LBB214_2141
; %bb.2136:                             ;   in Loop: Header=BB214_1581 Depth=1
	v_and_b32_e32 v11, 0xffff, v10
	v_mov_b64_e32 v[6:7], 0x7f80000100000000
	s_mov_b32 s14, exec_lo
	s_delay_alu instid0(VALU_DEP_2) | instskip(NEXT) | instid1(VALU_DEP_1)
	v_and_b32_e32 v10, 0x7f, v11
	v_cmpx_ne_u32_e32 0x7f, v10
	s_cbranch_execz .LBB214_2140
; %bb.2137:                             ;   in Loop: Header=BB214_1581 Depth=1
	v_dual_lshrrev_b32 v6, 3, v10 :: v_dual_bitop2_b32 v24, 7, v11 bitop3:0x40
	s_mov_b32 s15, exec_lo
	v_cmpx_gt_u32_e32 8, v10
; %bb.2138:                             ;   in Loop: Header=BB214_1581 Depth=1
	s_delay_alu instid0(VALU_DEP_2) | instskip(NEXT) | instid1(VALU_DEP_1)
	v_clz_i32_u32_e32 v6, v24
	v_min_u32_e32 v6, 32, v6
	s_delay_alu instid0(VALU_DEP_1) | instskip(SKIP_1) | instid1(VALU_DEP_2)
	v_subrev_nc_u32_e32 v7, 28, v6
	v_sub_nc_u32_e32 v6, 29, v6
	v_lshlrev_b64_e32 v[10:11], v7, v[24:25]
	s_delay_alu instid0(VALU_DEP_1)
	v_and_b32_e32 v24, 7, v10
; %bb.2139:                             ;   in Loop: Header=BB214_1581 Depth=1
	s_or_b32 exec_lo, exec_lo, s15
	s_delay_alu instid0(VALU_DEP_1) | instskip(SKIP_1) | instid1(VALU_DEP_2)
	v_dual_lshlrev_b32 v7, 16, v14 :: v_dual_lshlrev_b32 v10, 20, v24
	v_lshl_add_u32 v6, v6, 23, 0x3c000000
	v_and_b32_e32 v7, 0x80000000, v7
	s_delay_alu instid0(VALU_DEP_1)
	v_or3_b32 v7, v10, v7, v6
	v_mov_b32_e32 v6, v25
.LBB214_2140:                           ;   in Loop: Header=BB214_1581 Depth=1
	s_or_b32 exec_lo, exec_lo, s14
.LBB214_2141:                           ;   in Loop: Header=BB214_1581 Depth=1
	s_delay_alu instid0(SALU_CYCLE_1)
	s_or_b32 exec_lo, exec_lo, s9
.LBB214_2142:                           ;   in Loop: Header=BB214_1581 Depth=1
	s_delay_alu instid0(SALU_CYCLE_1) | instskip(SKIP_4) | instid1(VALU_DEP_3)
	s_or_b32 exec_lo, exec_lo, s8
	v_lshrrev_b32_e32 v15, 16, v14
	v_mov_b64_e32 v[10:11], 0
	v_mov_b64_e32 v[12:13], 0
	s_mov_b32 s8, exec_lo
	v_and_b32_e32 v16, 0xff, v15
	s_delay_alu instid0(VALU_DEP_1)
	v_cmpx_ne_u16_e32 0, v16
	s_cbranch_execz .LBB214_2150
; %bb.2143:                             ;   in Loop: Header=BB214_1581 Depth=1
	v_mov_b64_e32 v[12:13], 0x80000000
	s_mov_b32 s9, exec_lo
	v_cmpx_ne_u16_e32 0x80, v16
	s_cbranch_execz .LBB214_2149
; %bb.2144:                             ;   in Loop: Header=BB214_1581 Depth=1
	v_mov_b64_e32 v[12:13], 0x7f800001
	v_bfe_u32 v16, v14, 16, 7
	s_mov_b32 s14, exec_lo
	s_delay_alu instid0(VALU_DEP_1)
	v_cmpx_ne_u32_e32 0x7f, v16
	s_cbranch_execz .LBB214_2148
; %bb.2145:                             ;   in Loop: Header=BB214_1581 Depth=1
	v_dual_lshrrev_b32 v12, 3, v16 :: v_dual_bitop2_b32 v24, 7, v15 bitop3:0x40
	s_mov_b32 s15, exec_lo
	v_cmpx_gt_u32_e32 8, v16
; %bb.2146:                             ;   in Loop: Header=BB214_1581 Depth=1
	s_delay_alu instid0(VALU_DEP_2) | instskip(NEXT) | instid1(VALU_DEP_1)
	v_clz_i32_u32_e32 v12, v24
	v_min_u32_e32 v12, 32, v12
	s_delay_alu instid0(VALU_DEP_1) | instskip(SKIP_1) | instid1(VALU_DEP_2)
	v_subrev_nc_u32_e32 v13, 28, v12
	v_sub_nc_u32_e32 v12, 29, v12
	v_lshlrev_b64_e32 v[16:17], v13, v[24:25]
	s_delay_alu instid0(VALU_DEP_1)
	v_and_b32_e32 v24, 7, v16
; %bb.2147:                             ;   in Loop: Header=BB214_1581 Depth=1
	s_or_b32 exec_lo, exec_lo, s15
	s_delay_alu instid0(VALU_DEP_1) | instskip(SKIP_1) | instid1(VALU_DEP_2)
	v_dual_lshlrev_b32 v13, 24, v15 :: v_dual_lshlrev_b32 v15, 20, v24
	v_lshl_add_u32 v12, v12, 23, 0x3c000000
	v_and_b32_e32 v13, 0x80000000, v13
	s_delay_alu instid0(VALU_DEP_1) | instskip(NEXT) | instid1(VALU_DEP_1)
	v_or3_b32 v24, v15, v13, v12
	v_mov_b64_e32 v[12:13], v[24:25]
.LBB214_2148:                           ;   in Loop: Header=BB214_1581 Depth=1
	s_or_b32 exec_lo, exec_lo, s14
.LBB214_2149:                           ;   in Loop: Header=BB214_1581 Depth=1
	s_delay_alu instid0(SALU_CYCLE_1)
	s_or_b32 exec_lo, exec_lo, s9
.LBB214_2150:                           ;   in Loop: Header=BB214_1581 Depth=1
	s_delay_alu instid0(SALU_CYCLE_1) | instskip(NEXT) | instid1(SALU_CYCLE_1)
	s_or_b32 exec_lo, exec_lo, s8
	s_mov_b32 s8, exec_lo
	v_cmpx_lt_u32_e32 0xffffff, v14
	s_cbranch_execz .LBB214_2158
; %bb.2151:                             ;   in Loop: Header=BB214_1581 Depth=1
	v_mov_b64_e32 v[10:11], 0x8000000000000000
	v_lshrrev_b32_e32 v15, 24, v14
	s_mov_b32 s9, exec_lo
	s_delay_alu instid0(VALU_DEP_1)
	v_cmpx_ne_u32_e32 0x80, v15
	s_cbranch_execz .LBB214_2157
; %bb.2152:                             ;   in Loop: Header=BB214_1581 Depth=1
	v_mov_b64_e32 v[10:11], 0x7f80000100000000
	v_bfe_u32 v14, v14, 24, 7
	s_mov_b32 s14, exec_lo
	s_delay_alu instid0(VALU_DEP_1)
	v_cmpx_ne_u32_e32 0x7f, v14
	s_cbranch_execz .LBB214_2156
; %bb.2153:                             ;   in Loop: Header=BB214_1581 Depth=1
	v_dual_lshrrev_b32 v10, 3, v14 :: v_dual_bitop2_b32 v24, 7, v15 bitop3:0x40
	s_mov_b32 s15, exec_lo
	v_cmpx_gt_u32_e32 8, v14
; %bb.2154:                             ;   in Loop: Header=BB214_1581 Depth=1
	s_delay_alu instid0(VALU_DEP_2) | instskip(NEXT) | instid1(VALU_DEP_1)
	v_clz_i32_u32_e32 v10, v24
	v_min_u32_e32 v10, 32, v10
	s_delay_alu instid0(VALU_DEP_1) | instskip(NEXT) | instid1(VALU_DEP_1)
	v_subrev_nc_u32_e32 v11, 28, v10
	v_lshlrev_b64_e32 v[16:17], v11, v[24:25]
	s_delay_alu instid0(VALU_DEP_1)
	v_dual_sub_nc_u32 v10, 29, v10 :: v_dual_bitop2_b32 v24, 7, v16 bitop3:0x40
; %bb.2155:                             ;   in Loop: Header=BB214_1581 Depth=1
	s_or_b32 exec_lo, exec_lo, s15
	s_delay_alu instid0(VALU_DEP_1) | instskip(NEXT) | instid1(VALU_DEP_2)
	v_dual_lshlrev_b32 v11, 24, v15 :: v_dual_lshlrev_b32 v14, 20, v24
	v_lshl_add_u32 v10, v10, 23, 0x3c000000
	s_delay_alu instid0(VALU_DEP_2) | instskip(NEXT) | instid1(VALU_DEP_1)
	v_and_b32_e32 v11, 0x80000000, v11
	v_or3_b32 v11, v14, v11, v10
	v_mov_b32_e32 v10, v25
.LBB214_2156:                           ;   in Loop: Header=BB214_1581 Depth=1
	s_or_b32 exec_lo, exec_lo, s14
.LBB214_2157:                           ;   in Loop: Header=BB214_1581 Depth=1
	s_delay_alu instid0(SALU_CYCLE_1)
	s_or_b32 exec_lo, exec_lo, s9
.LBB214_2158:                           ;   in Loop: Header=BB214_1581 Depth=1
	s_delay_alu instid0(SALU_CYCLE_1) | instskip(SKIP_4) | instid1(VALU_DEP_3)
	s_or_b32 exec_lo, exec_lo, s8
	v_or_b32_e32 v7, v7, v9
	v_or_b32_e32 v6, v6, v8
	;; [unrolled: 1-line block ×4, first 2 shown]
	v_pk_mul_f32 v[6:7], v[114:115], v[6:7]
	scratch_store_b64 off, v[6:7], s32 offset:500 ; 8-byte Folded Spill
	s_wait_xcnt 0x0
	v_pk_mul_f32 v[6:7], v[114:115], v[8:9]
	scratch_store_b64 off, v[6:7], s32 offset:492 ; 8-byte Folded Spill
	s_wait_xcnt 0x0
	s_and_saveexec_b32 s8, vcc_lo
	s_cbranch_execz .LBB214_2160
; %bb.2159:                             ;   in Loop: Header=BB214_1581 Depth=1
	s_clause 0x1
	scratch_load_b64 v[6:7], off, s32 offset:200
	scratch_load_b64 v[8:9], off, s32 offset:500 th:TH_LOAD_LU
	s_wait_loadcnt 0x1
	v_cmp_lt_i32_e64 s0, v29, v6
	s_wait_loadcnt 0x0
	s_delay_alu instid0(VALU_DEP_1) | instskip(SKIP_1) | instid1(VALU_DEP_1)
	v_cndmask_b32_e64 v8, 0, v8, s0
	v_cmp_lt_i32_e64 s0, v30, v6
	v_cndmask_b32_e64 v9, 0, v9, s0
	v_cmp_lt_i32_e64 s0, v32, v6
	s_clause 0x1
	scratch_store_b64 off, v[8:9], s32 offset:500
	scratch_load_b64 v[8:9], off, s32 offset:492 th:TH_LOAD_LU
	s_wait_loadcnt 0x0
	v_cndmask_b32_e64 v8, 0, v8, s0
	v_cmp_lt_i32_e64 s0, v31, v6
	s_delay_alu instid0(VALU_DEP_1)
	v_cndmask_b32_e64 v9, 0, v9, s0
	scratch_store_b64 off, v[8:9], s32 offset:492 ; 8-byte Folded Spill
.LBB214_2160:                           ;   in Loop: Header=BB214_1581 Depth=1
	s_wait_xcnt 0x0
	s_or_b32 exec_lo, exec_lo, s8
	flat_load_b32 v14, v[0:1] offset:2176
	v_mov_b64_e32 v[6:7], 0
	v_mov_b64_e32 v[8:9], 0
	s_mov_b32 s8, exec_lo
	s_wait_loadcnt_dscnt 0x0
	v_and_b32_e32 v10, 0xff, v14
	s_wait_xcnt 0x0
	s_delay_alu instid0(VALU_DEP_1)
	v_cmpx_ne_u16_e32 0, v10
	s_cbranch_execz .LBB214_2168
; %bb.2161:                             ;   in Loop: Header=BB214_1581 Depth=1
	v_mov_b64_e32 v[8:9], 0x80000000
	s_mov_b32 s9, exec_lo
	v_cmpx_ne_u16_e32 0x80, v10
	s_cbranch_execz .LBB214_2167
; %bb.2162:                             ;   in Loop: Header=BB214_1581 Depth=1
	v_mov_b64_e32 v[8:9], 0x7f800001
	v_and_b32_e32 v10, 0x7f, v14
	s_mov_b32 s14, exec_lo
	s_delay_alu instid0(VALU_DEP_1)
	v_cmpx_ne_u32_e32 0x7f, v10
	s_cbranch_execz .LBB214_2166
; %bb.2163:                             ;   in Loop: Header=BB214_1581 Depth=1
	v_and_b32_e32 v24, 7, v14
	v_lshrrev_b32_e32 v8, 3, v10
	s_mov_b32 s15, exec_lo
	v_cmpx_gt_u32_e32 8, v10
; %bb.2164:                             ;   in Loop: Header=BB214_1581 Depth=1
	s_delay_alu instid0(VALU_DEP_3) | instskip(NEXT) | instid1(VALU_DEP_1)
	v_clz_i32_u32_e32 v8, v24
	v_min_u32_e32 v8, 32, v8
	s_delay_alu instid0(VALU_DEP_1) | instskip(NEXT) | instid1(VALU_DEP_1)
	v_subrev_nc_u32_e32 v9, 28, v8
	v_lshlrev_b64_e32 v[10:11], v9, v[24:25]
	s_delay_alu instid0(VALU_DEP_1)
	v_dual_sub_nc_u32 v8, 29, v8 :: v_dual_bitop2_b32 v24, 7, v10 bitop3:0x40
; %bb.2165:                             ;   in Loop: Header=BB214_1581 Depth=1
	s_or_b32 exec_lo, exec_lo, s15
	s_delay_alu instid0(VALU_DEP_1) | instskip(NEXT) | instid1(VALU_DEP_2)
	v_dual_lshlrev_b32 v9, 24, v14 :: v_dual_lshlrev_b32 v10, 20, v24
	v_lshl_add_u32 v8, v8, 23, 0x3c000000
	s_delay_alu instid0(VALU_DEP_2) | instskip(NEXT) | instid1(VALU_DEP_1)
	v_and_b32_e32 v9, 0x80000000, v9
	v_or3_b32 v24, v10, v9, v8
	s_delay_alu instid0(VALU_DEP_1)
	v_mov_b64_e32 v[8:9], v[24:25]
.LBB214_2166:                           ;   in Loop: Header=BB214_1581 Depth=1
	s_or_b32 exec_lo, exec_lo, s14
.LBB214_2167:                           ;   in Loop: Header=BB214_1581 Depth=1
	s_delay_alu instid0(SALU_CYCLE_1)
	s_or_b32 exec_lo, exec_lo, s9
.LBB214_2168:                           ;   in Loop: Header=BB214_1581 Depth=1
	s_delay_alu instid0(SALU_CYCLE_1) | instskip(SKIP_2) | instid1(VALU_DEP_1)
	s_or_b32 exec_lo, exec_lo, s8
	v_lshrrev_b16 v10, 8, v14
	s_mov_b32 s8, exec_lo
	v_cmpx_ne_u16_e32 0, v10
	s_cbranch_execz .LBB214_2176
; %bb.2169:                             ;   in Loop: Header=BB214_1581 Depth=1
	v_mov_b64_e32 v[6:7], 0x8000000000000000
	s_mov_b32 s9, exec_lo
	v_cmpx_ne_u16_e32 0x80, v10
	s_cbranch_execz .LBB214_2175
; %bb.2170:                             ;   in Loop: Header=BB214_1581 Depth=1
	v_and_b32_e32 v11, 0xffff, v10
	v_mov_b64_e32 v[6:7], 0x7f80000100000000
	s_mov_b32 s14, exec_lo
	s_delay_alu instid0(VALU_DEP_2) | instskip(NEXT) | instid1(VALU_DEP_1)
	v_and_b32_e32 v10, 0x7f, v11
	v_cmpx_ne_u32_e32 0x7f, v10
	s_cbranch_execz .LBB214_2174
; %bb.2171:                             ;   in Loop: Header=BB214_1581 Depth=1
	v_dual_lshrrev_b32 v6, 3, v10 :: v_dual_bitop2_b32 v24, 7, v11 bitop3:0x40
	s_mov_b32 s15, exec_lo
	v_cmpx_gt_u32_e32 8, v10
; %bb.2172:                             ;   in Loop: Header=BB214_1581 Depth=1
	s_delay_alu instid0(VALU_DEP_2) | instskip(NEXT) | instid1(VALU_DEP_1)
	v_clz_i32_u32_e32 v6, v24
	v_min_u32_e32 v6, 32, v6
	s_delay_alu instid0(VALU_DEP_1) | instskip(SKIP_1) | instid1(VALU_DEP_2)
	v_subrev_nc_u32_e32 v7, 28, v6
	v_sub_nc_u32_e32 v6, 29, v6
	v_lshlrev_b64_e32 v[10:11], v7, v[24:25]
	s_delay_alu instid0(VALU_DEP_1)
	v_and_b32_e32 v24, 7, v10
; %bb.2173:                             ;   in Loop: Header=BB214_1581 Depth=1
	s_or_b32 exec_lo, exec_lo, s15
	s_delay_alu instid0(VALU_DEP_1) | instskip(SKIP_1) | instid1(VALU_DEP_2)
	v_dual_lshlrev_b32 v7, 16, v14 :: v_dual_lshlrev_b32 v10, 20, v24
	v_lshl_add_u32 v6, v6, 23, 0x3c000000
	v_and_b32_e32 v7, 0x80000000, v7
	s_delay_alu instid0(VALU_DEP_1)
	v_or3_b32 v7, v10, v7, v6
	v_mov_b32_e32 v6, v25
.LBB214_2174:                           ;   in Loop: Header=BB214_1581 Depth=1
	s_or_b32 exec_lo, exec_lo, s14
.LBB214_2175:                           ;   in Loop: Header=BB214_1581 Depth=1
	s_delay_alu instid0(SALU_CYCLE_1)
	s_or_b32 exec_lo, exec_lo, s9
.LBB214_2176:                           ;   in Loop: Header=BB214_1581 Depth=1
	s_delay_alu instid0(SALU_CYCLE_1) | instskip(SKIP_4) | instid1(VALU_DEP_3)
	s_or_b32 exec_lo, exec_lo, s8
	v_lshrrev_b32_e32 v15, 16, v14
	v_mov_b64_e32 v[10:11], 0
	v_mov_b64_e32 v[12:13], 0
	s_mov_b32 s8, exec_lo
	v_and_b32_e32 v16, 0xff, v15
	s_delay_alu instid0(VALU_DEP_1)
	v_cmpx_ne_u16_e32 0, v16
	s_cbranch_execz .LBB214_2184
; %bb.2177:                             ;   in Loop: Header=BB214_1581 Depth=1
	v_mov_b64_e32 v[12:13], 0x80000000
	s_mov_b32 s9, exec_lo
	v_cmpx_ne_u16_e32 0x80, v16
	s_cbranch_execz .LBB214_2183
; %bb.2178:                             ;   in Loop: Header=BB214_1581 Depth=1
	v_mov_b64_e32 v[12:13], 0x7f800001
	v_bfe_u32 v16, v14, 16, 7
	s_mov_b32 s14, exec_lo
	s_delay_alu instid0(VALU_DEP_1)
	v_cmpx_ne_u32_e32 0x7f, v16
	s_cbranch_execz .LBB214_2182
; %bb.2179:                             ;   in Loop: Header=BB214_1581 Depth=1
	v_dual_lshrrev_b32 v12, 3, v16 :: v_dual_bitop2_b32 v24, 7, v15 bitop3:0x40
	s_mov_b32 s15, exec_lo
	v_cmpx_gt_u32_e32 8, v16
; %bb.2180:                             ;   in Loop: Header=BB214_1581 Depth=1
	s_delay_alu instid0(VALU_DEP_2) | instskip(NEXT) | instid1(VALU_DEP_1)
	v_clz_i32_u32_e32 v12, v24
	v_min_u32_e32 v12, 32, v12
	s_delay_alu instid0(VALU_DEP_1) | instskip(SKIP_1) | instid1(VALU_DEP_2)
	v_subrev_nc_u32_e32 v13, 28, v12
	v_sub_nc_u32_e32 v12, 29, v12
	v_lshlrev_b64_e32 v[16:17], v13, v[24:25]
	s_delay_alu instid0(VALU_DEP_1)
	v_and_b32_e32 v24, 7, v16
; %bb.2181:                             ;   in Loop: Header=BB214_1581 Depth=1
	s_or_b32 exec_lo, exec_lo, s15
	s_delay_alu instid0(VALU_DEP_1) | instskip(SKIP_1) | instid1(VALU_DEP_2)
	v_dual_lshlrev_b32 v13, 24, v15 :: v_dual_lshlrev_b32 v15, 20, v24
	v_lshl_add_u32 v12, v12, 23, 0x3c000000
	v_and_b32_e32 v13, 0x80000000, v13
	s_delay_alu instid0(VALU_DEP_1) | instskip(NEXT) | instid1(VALU_DEP_1)
	v_or3_b32 v24, v15, v13, v12
	v_mov_b64_e32 v[12:13], v[24:25]
.LBB214_2182:                           ;   in Loop: Header=BB214_1581 Depth=1
	s_or_b32 exec_lo, exec_lo, s14
.LBB214_2183:                           ;   in Loop: Header=BB214_1581 Depth=1
	s_delay_alu instid0(SALU_CYCLE_1)
	s_or_b32 exec_lo, exec_lo, s9
.LBB214_2184:                           ;   in Loop: Header=BB214_1581 Depth=1
	s_delay_alu instid0(SALU_CYCLE_1) | instskip(NEXT) | instid1(SALU_CYCLE_1)
	s_or_b32 exec_lo, exec_lo, s8
	s_mov_b32 s8, exec_lo
	v_cmpx_lt_u32_e32 0xffffff, v14
	s_cbranch_execz .LBB214_2192
; %bb.2185:                             ;   in Loop: Header=BB214_1581 Depth=1
	v_mov_b64_e32 v[10:11], 0x8000000000000000
	v_lshrrev_b32_e32 v15, 24, v14
	s_mov_b32 s9, exec_lo
	s_delay_alu instid0(VALU_DEP_1)
	v_cmpx_ne_u32_e32 0x80, v15
	s_cbranch_execz .LBB214_2191
; %bb.2186:                             ;   in Loop: Header=BB214_1581 Depth=1
	v_mov_b64_e32 v[10:11], 0x7f80000100000000
	v_bfe_u32 v14, v14, 24, 7
	s_mov_b32 s14, exec_lo
	s_delay_alu instid0(VALU_DEP_1)
	v_cmpx_ne_u32_e32 0x7f, v14
	s_cbranch_execz .LBB214_2190
; %bb.2187:                             ;   in Loop: Header=BB214_1581 Depth=1
	v_dual_lshrrev_b32 v10, 3, v14 :: v_dual_bitop2_b32 v24, 7, v15 bitop3:0x40
	s_mov_b32 s15, exec_lo
	v_cmpx_gt_u32_e32 8, v14
; %bb.2188:                             ;   in Loop: Header=BB214_1581 Depth=1
	s_delay_alu instid0(VALU_DEP_2) | instskip(NEXT) | instid1(VALU_DEP_1)
	v_clz_i32_u32_e32 v10, v24
	v_min_u32_e32 v10, 32, v10
	s_delay_alu instid0(VALU_DEP_1) | instskip(NEXT) | instid1(VALU_DEP_1)
	v_subrev_nc_u32_e32 v11, 28, v10
	v_lshlrev_b64_e32 v[16:17], v11, v[24:25]
	s_delay_alu instid0(VALU_DEP_1)
	v_dual_sub_nc_u32 v10, 29, v10 :: v_dual_bitop2_b32 v24, 7, v16 bitop3:0x40
; %bb.2189:                             ;   in Loop: Header=BB214_1581 Depth=1
	s_or_b32 exec_lo, exec_lo, s15
	s_delay_alu instid0(VALU_DEP_1) | instskip(NEXT) | instid1(VALU_DEP_2)
	v_dual_lshlrev_b32 v11, 24, v15 :: v_dual_lshlrev_b32 v14, 20, v24
	v_lshl_add_u32 v10, v10, 23, 0x3c000000
	s_delay_alu instid0(VALU_DEP_2) | instskip(NEXT) | instid1(VALU_DEP_1)
	v_and_b32_e32 v11, 0x80000000, v11
	v_or3_b32 v11, v14, v11, v10
	v_mov_b32_e32 v10, v25
.LBB214_2190:                           ;   in Loop: Header=BB214_1581 Depth=1
	s_or_b32 exec_lo, exec_lo, s14
.LBB214_2191:                           ;   in Loop: Header=BB214_1581 Depth=1
	s_delay_alu instid0(SALU_CYCLE_1)
	s_or_b32 exec_lo, exec_lo, s9
.LBB214_2192:                           ;   in Loop: Header=BB214_1581 Depth=1
	s_delay_alu instid0(SALU_CYCLE_1) | instskip(SKIP_4) | instid1(VALU_DEP_3)
	s_or_b32 exec_lo, exec_lo, s8
	v_or_b32_e32 v7, v7, v9
	v_or_b32_e32 v6, v6, v8
	;; [unrolled: 1-line block ×4, first 2 shown]
	v_pk_mul_f32 v[6:7], v[114:115], v[6:7]
	scratch_store_b64 off, v[6:7], s32 offset:516 ; 8-byte Folded Spill
	s_wait_xcnt 0x0
	v_pk_mul_f32 v[6:7], v[114:115], v[8:9]
	scratch_store_b64 off, v[6:7], s32 offset:508 ; 8-byte Folded Spill
	s_wait_xcnt 0x0
	s_and_saveexec_b32 s8, vcc_lo
	s_cbranch_execz .LBB214_2194
; %bb.2193:                             ;   in Loop: Header=BB214_1581 Depth=1
	s_clause 0x1
	scratch_load_b64 v[6:7], off, s32 offset:200
	scratch_load_b64 v[8:9], off, s32 offset:516 th:TH_LOAD_LU
	s_wait_loadcnt 0x1
	v_cmp_lt_i32_e64 s0, v29, v6
	s_wait_loadcnt 0x0
	s_delay_alu instid0(VALU_DEP_1) | instskip(SKIP_1) | instid1(VALU_DEP_1)
	v_cndmask_b32_e64 v8, 0, v8, s0
	v_cmp_lt_i32_e64 s0, v30, v6
	v_cndmask_b32_e64 v9, 0, v9, s0
	v_cmp_lt_i32_e64 s0, v32, v6
	s_clause 0x1
	scratch_store_b64 off, v[8:9], s32 offset:516
	scratch_load_b64 v[8:9], off, s32 offset:508 th:TH_LOAD_LU
	s_wait_loadcnt 0x0
	v_cndmask_b32_e64 v8, 0, v8, s0
	v_cmp_lt_i32_e64 s0, v31, v6
	s_delay_alu instid0(VALU_DEP_1)
	v_cndmask_b32_e64 v9, 0, v9, s0
	scratch_store_b64 off, v[8:9], s32 offset:508 ; 8-byte Folded Spill
.LBB214_2194:                           ;   in Loop: Header=BB214_1581 Depth=1
	s_wait_xcnt 0x0
	s_or_b32 exec_lo, exec_lo, s8
	flat_load_b32 v14, v[0:1] offset:2304
	v_mov_b64_e32 v[6:7], 0
	v_mov_b64_e32 v[8:9], 0
	s_mov_b32 s8, exec_lo
	s_wait_loadcnt_dscnt 0x0
	v_and_b32_e32 v10, 0xff, v14
	s_wait_xcnt 0x0
	s_delay_alu instid0(VALU_DEP_1)
	v_cmpx_ne_u16_e32 0, v10
	s_cbranch_execz .LBB214_2202
; %bb.2195:                             ;   in Loop: Header=BB214_1581 Depth=1
	v_mov_b64_e32 v[8:9], 0x80000000
	s_mov_b32 s9, exec_lo
	v_cmpx_ne_u16_e32 0x80, v10
	s_cbranch_execz .LBB214_2201
; %bb.2196:                             ;   in Loop: Header=BB214_1581 Depth=1
	v_mov_b64_e32 v[8:9], 0x7f800001
	v_and_b32_e32 v10, 0x7f, v14
	s_mov_b32 s14, exec_lo
	s_delay_alu instid0(VALU_DEP_1)
	v_cmpx_ne_u32_e32 0x7f, v10
	s_cbranch_execz .LBB214_2200
; %bb.2197:                             ;   in Loop: Header=BB214_1581 Depth=1
	v_and_b32_e32 v24, 7, v14
	v_lshrrev_b32_e32 v8, 3, v10
	s_mov_b32 s15, exec_lo
	v_cmpx_gt_u32_e32 8, v10
; %bb.2198:                             ;   in Loop: Header=BB214_1581 Depth=1
	s_delay_alu instid0(VALU_DEP_3) | instskip(NEXT) | instid1(VALU_DEP_1)
	v_clz_i32_u32_e32 v8, v24
	v_min_u32_e32 v8, 32, v8
	s_delay_alu instid0(VALU_DEP_1) | instskip(NEXT) | instid1(VALU_DEP_1)
	v_subrev_nc_u32_e32 v9, 28, v8
	v_lshlrev_b64_e32 v[10:11], v9, v[24:25]
	s_delay_alu instid0(VALU_DEP_1)
	v_dual_sub_nc_u32 v8, 29, v8 :: v_dual_bitop2_b32 v24, 7, v10 bitop3:0x40
; %bb.2199:                             ;   in Loop: Header=BB214_1581 Depth=1
	s_or_b32 exec_lo, exec_lo, s15
	s_delay_alu instid0(VALU_DEP_1) | instskip(NEXT) | instid1(VALU_DEP_2)
	v_dual_lshlrev_b32 v9, 24, v14 :: v_dual_lshlrev_b32 v10, 20, v24
	v_lshl_add_u32 v8, v8, 23, 0x3c000000
	s_delay_alu instid0(VALU_DEP_2) | instskip(NEXT) | instid1(VALU_DEP_1)
	v_and_b32_e32 v9, 0x80000000, v9
	v_or3_b32 v24, v10, v9, v8
	s_delay_alu instid0(VALU_DEP_1)
	v_mov_b64_e32 v[8:9], v[24:25]
.LBB214_2200:                           ;   in Loop: Header=BB214_1581 Depth=1
	s_or_b32 exec_lo, exec_lo, s14
.LBB214_2201:                           ;   in Loop: Header=BB214_1581 Depth=1
	s_delay_alu instid0(SALU_CYCLE_1)
	s_or_b32 exec_lo, exec_lo, s9
.LBB214_2202:                           ;   in Loop: Header=BB214_1581 Depth=1
	s_delay_alu instid0(SALU_CYCLE_1) | instskip(SKIP_2) | instid1(VALU_DEP_1)
	s_or_b32 exec_lo, exec_lo, s8
	v_lshrrev_b16 v10, 8, v14
	s_mov_b32 s8, exec_lo
	v_cmpx_ne_u16_e32 0, v10
	s_cbranch_execz .LBB214_2210
; %bb.2203:                             ;   in Loop: Header=BB214_1581 Depth=1
	v_mov_b64_e32 v[6:7], 0x8000000000000000
	s_mov_b32 s9, exec_lo
	v_cmpx_ne_u16_e32 0x80, v10
	s_cbranch_execz .LBB214_2209
; %bb.2204:                             ;   in Loop: Header=BB214_1581 Depth=1
	v_and_b32_e32 v11, 0xffff, v10
	v_mov_b64_e32 v[6:7], 0x7f80000100000000
	s_mov_b32 s14, exec_lo
	s_delay_alu instid0(VALU_DEP_2) | instskip(NEXT) | instid1(VALU_DEP_1)
	v_and_b32_e32 v10, 0x7f, v11
	v_cmpx_ne_u32_e32 0x7f, v10
	s_cbranch_execz .LBB214_2208
; %bb.2205:                             ;   in Loop: Header=BB214_1581 Depth=1
	v_dual_lshrrev_b32 v6, 3, v10 :: v_dual_bitop2_b32 v24, 7, v11 bitop3:0x40
	s_mov_b32 s15, exec_lo
	v_cmpx_gt_u32_e32 8, v10
; %bb.2206:                             ;   in Loop: Header=BB214_1581 Depth=1
	s_delay_alu instid0(VALU_DEP_2) | instskip(NEXT) | instid1(VALU_DEP_1)
	v_clz_i32_u32_e32 v6, v24
	v_min_u32_e32 v6, 32, v6
	s_delay_alu instid0(VALU_DEP_1) | instskip(SKIP_1) | instid1(VALU_DEP_2)
	v_subrev_nc_u32_e32 v7, 28, v6
	v_sub_nc_u32_e32 v6, 29, v6
	v_lshlrev_b64_e32 v[10:11], v7, v[24:25]
	s_delay_alu instid0(VALU_DEP_1)
	v_and_b32_e32 v24, 7, v10
; %bb.2207:                             ;   in Loop: Header=BB214_1581 Depth=1
	s_or_b32 exec_lo, exec_lo, s15
	s_delay_alu instid0(VALU_DEP_1) | instskip(SKIP_1) | instid1(VALU_DEP_2)
	v_dual_lshlrev_b32 v7, 16, v14 :: v_dual_lshlrev_b32 v10, 20, v24
	v_lshl_add_u32 v6, v6, 23, 0x3c000000
	v_and_b32_e32 v7, 0x80000000, v7
	s_delay_alu instid0(VALU_DEP_1)
	v_or3_b32 v7, v10, v7, v6
	v_mov_b32_e32 v6, v25
.LBB214_2208:                           ;   in Loop: Header=BB214_1581 Depth=1
	s_or_b32 exec_lo, exec_lo, s14
.LBB214_2209:                           ;   in Loop: Header=BB214_1581 Depth=1
	s_delay_alu instid0(SALU_CYCLE_1)
	s_or_b32 exec_lo, exec_lo, s9
.LBB214_2210:                           ;   in Loop: Header=BB214_1581 Depth=1
	s_delay_alu instid0(SALU_CYCLE_1) | instskip(SKIP_4) | instid1(VALU_DEP_3)
	s_or_b32 exec_lo, exec_lo, s8
	v_lshrrev_b32_e32 v15, 16, v14
	v_mov_b64_e32 v[10:11], 0
	v_mov_b64_e32 v[12:13], 0
	s_mov_b32 s8, exec_lo
	v_and_b32_e32 v16, 0xff, v15
	s_delay_alu instid0(VALU_DEP_1)
	v_cmpx_ne_u16_e32 0, v16
	s_cbranch_execz .LBB214_2218
; %bb.2211:                             ;   in Loop: Header=BB214_1581 Depth=1
	v_mov_b64_e32 v[12:13], 0x80000000
	s_mov_b32 s9, exec_lo
	v_cmpx_ne_u16_e32 0x80, v16
	s_cbranch_execz .LBB214_2217
; %bb.2212:                             ;   in Loop: Header=BB214_1581 Depth=1
	v_mov_b64_e32 v[12:13], 0x7f800001
	v_bfe_u32 v16, v14, 16, 7
	s_mov_b32 s14, exec_lo
	s_delay_alu instid0(VALU_DEP_1)
	v_cmpx_ne_u32_e32 0x7f, v16
	s_cbranch_execz .LBB214_2216
; %bb.2213:                             ;   in Loop: Header=BB214_1581 Depth=1
	v_dual_lshrrev_b32 v12, 3, v16 :: v_dual_bitop2_b32 v24, 7, v15 bitop3:0x40
	s_mov_b32 s15, exec_lo
	v_cmpx_gt_u32_e32 8, v16
; %bb.2214:                             ;   in Loop: Header=BB214_1581 Depth=1
	s_delay_alu instid0(VALU_DEP_2) | instskip(NEXT) | instid1(VALU_DEP_1)
	v_clz_i32_u32_e32 v12, v24
	v_min_u32_e32 v12, 32, v12
	s_delay_alu instid0(VALU_DEP_1) | instskip(SKIP_1) | instid1(VALU_DEP_2)
	v_subrev_nc_u32_e32 v13, 28, v12
	v_sub_nc_u32_e32 v12, 29, v12
	v_lshlrev_b64_e32 v[16:17], v13, v[24:25]
	s_delay_alu instid0(VALU_DEP_1)
	v_and_b32_e32 v24, 7, v16
; %bb.2215:                             ;   in Loop: Header=BB214_1581 Depth=1
	s_or_b32 exec_lo, exec_lo, s15
	s_delay_alu instid0(VALU_DEP_1) | instskip(SKIP_1) | instid1(VALU_DEP_2)
	v_dual_lshlrev_b32 v13, 24, v15 :: v_dual_lshlrev_b32 v15, 20, v24
	v_lshl_add_u32 v12, v12, 23, 0x3c000000
	v_and_b32_e32 v13, 0x80000000, v13
	s_delay_alu instid0(VALU_DEP_1) | instskip(NEXT) | instid1(VALU_DEP_1)
	v_or3_b32 v24, v15, v13, v12
	v_mov_b64_e32 v[12:13], v[24:25]
.LBB214_2216:                           ;   in Loop: Header=BB214_1581 Depth=1
	s_or_b32 exec_lo, exec_lo, s14
.LBB214_2217:                           ;   in Loop: Header=BB214_1581 Depth=1
	s_delay_alu instid0(SALU_CYCLE_1)
	s_or_b32 exec_lo, exec_lo, s9
.LBB214_2218:                           ;   in Loop: Header=BB214_1581 Depth=1
	s_delay_alu instid0(SALU_CYCLE_1) | instskip(NEXT) | instid1(SALU_CYCLE_1)
	s_or_b32 exec_lo, exec_lo, s8
	s_mov_b32 s8, exec_lo
	v_cmpx_lt_u32_e32 0xffffff, v14
	s_cbranch_execz .LBB214_2226
; %bb.2219:                             ;   in Loop: Header=BB214_1581 Depth=1
	v_mov_b64_e32 v[10:11], 0x8000000000000000
	v_lshrrev_b32_e32 v15, 24, v14
	s_mov_b32 s9, exec_lo
	s_delay_alu instid0(VALU_DEP_1)
	v_cmpx_ne_u32_e32 0x80, v15
	s_cbranch_execz .LBB214_2225
; %bb.2220:                             ;   in Loop: Header=BB214_1581 Depth=1
	v_mov_b64_e32 v[10:11], 0x7f80000100000000
	v_bfe_u32 v14, v14, 24, 7
	s_mov_b32 s14, exec_lo
	s_delay_alu instid0(VALU_DEP_1)
	v_cmpx_ne_u32_e32 0x7f, v14
	s_cbranch_execz .LBB214_2224
; %bb.2221:                             ;   in Loop: Header=BB214_1581 Depth=1
	v_dual_lshrrev_b32 v10, 3, v14 :: v_dual_bitop2_b32 v24, 7, v15 bitop3:0x40
	s_mov_b32 s15, exec_lo
	v_cmpx_gt_u32_e32 8, v14
; %bb.2222:                             ;   in Loop: Header=BB214_1581 Depth=1
	s_delay_alu instid0(VALU_DEP_2) | instskip(NEXT) | instid1(VALU_DEP_1)
	v_clz_i32_u32_e32 v10, v24
	v_min_u32_e32 v10, 32, v10
	s_delay_alu instid0(VALU_DEP_1) | instskip(NEXT) | instid1(VALU_DEP_1)
	v_subrev_nc_u32_e32 v11, 28, v10
	v_lshlrev_b64_e32 v[16:17], v11, v[24:25]
	s_delay_alu instid0(VALU_DEP_1)
	v_dual_sub_nc_u32 v10, 29, v10 :: v_dual_bitop2_b32 v24, 7, v16 bitop3:0x40
; %bb.2223:                             ;   in Loop: Header=BB214_1581 Depth=1
	s_or_b32 exec_lo, exec_lo, s15
	s_delay_alu instid0(VALU_DEP_1) | instskip(NEXT) | instid1(VALU_DEP_2)
	v_dual_lshlrev_b32 v11, 24, v15 :: v_dual_lshlrev_b32 v14, 20, v24
	v_lshl_add_u32 v10, v10, 23, 0x3c000000
	s_delay_alu instid0(VALU_DEP_2) | instskip(NEXT) | instid1(VALU_DEP_1)
	v_and_b32_e32 v11, 0x80000000, v11
	v_or3_b32 v11, v14, v11, v10
	v_mov_b32_e32 v10, v25
.LBB214_2224:                           ;   in Loop: Header=BB214_1581 Depth=1
	s_or_b32 exec_lo, exec_lo, s14
.LBB214_2225:                           ;   in Loop: Header=BB214_1581 Depth=1
	s_delay_alu instid0(SALU_CYCLE_1)
	s_or_b32 exec_lo, exec_lo, s9
.LBB214_2226:                           ;   in Loop: Header=BB214_1581 Depth=1
	s_delay_alu instid0(SALU_CYCLE_1) | instskip(SKIP_4) | instid1(VALU_DEP_3)
	s_or_b32 exec_lo, exec_lo, s8
	v_or_b32_e32 v7, v7, v9
	v_or_b32_e32 v6, v6, v8
	;; [unrolled: 1-line block ×4, first 2 shown]
	v_pk_mul_f32 v[6:7], v[114:115], v[6:7]
	scratch_store_b64 off, v[6:7], s32 offset:532 ; 8-byte Folded Spill
	s_wait_xcnt 0x0
	v_pk_mul_f32 v[6:7], v[114:115], v[8:9]
	scratch_store_b64 off, v[6:7], s32 offset:524 ; 8-byte Folded Spill
	s_wait_xcnt 0x0
	s_and_saveexec_b32 s8, vcc_lo
	s_cbranch_execz .LBB214_2228
; %bb.2227:                             ;   in Loop: Header=BB214_1581 Depth=1
	s_clause 0x1
	scratch_load_b64 v[6:7], off, s32 offset:200
	scratch_load_b64 v[8:9], off, s32 offset:532 th:TH_LOAD_LU
	s_wait_loadcnt 0x1
	v_cmp_lt_i32_e64 s0, v29, v6
	s_wait_loadcnt 0x0
	s_delay_alu instid0(VALU_DEP_1) | instskip(SKIP_1) | instid1(VALU_DEP_1)
	v_cndmask_b32_e64 v8, 0, v8, s0
	v_cmp_lt_i32_e64 s0, v30, v6
	v_cndmask_b32_e64 v9, 0, v9, s0
	v_cmp_lt_i32_e64 s0, v32, v6
	s_clause 0x1
	scratch_store_b64 off, v[8:9], s32 offset:532
	scratch_load_b64 v[8:9], off, s32 offset:524 th:TH_LOAD_LU
	s_wait_loadcnt 0x0
	v_cndmask_b32_e64 v8, 0, v8, s0
	v_cmp_lt_i32_e64 s0, v31, v6
	s_delay_alu instid0(VALU_DEP_1)
	v_cndmask_b32_e64 v9, 0, v9, s0
	scratch_store_b64 off, v[8:9], s32 offset:524 ; 8-byte Folded Spill
.LBB214_2228:                           ;   in Loop: Header=BB214_1581 Depth=1
	s_wait_xcnt 0x0
	s_or_b32 exec_lo, exec_lo, s8
	flat_load_b32 v14, v[0:1] offset:2432
	v_mov_b64_e32 v[6:7], 0
	v_mov_b64_e32 v[8:9], 0
	s_mov_b32 s8, exec_lo
	s_wait_loadcnt_dscnt 0x0
	v_and_b32_e32 v10, 0xff, v14
	s_wait_xcnt 0x0
	s_delay_alu instid0(VALU_DEP_1)
	v_cmpx_ne_u16_e32 0, v10
	s_cbranch_execz .LBB214_2236
; %bb.2229:                             ;   in Loop: Header=BB214_1581 Depth=1
	v_mov_b64_e32 v[8:9], 0x80000000
	s_mov_b32 s9, exec_lo
	v_cmpx_ne_u16_e32 0x80, v10
	s_cbranch_execz .LBB214_2235
; %bb.2230:                             ;   in Loop: Header=BB214_1581 Depth=1
	v_mov_b64_e32 v[8:9], 0x7f800001
	v_and_b32_e32 v10, 0x7f, v14
	s_mov_b32 s14, exec_lo
	s_delay_alu instid0(VALU_DEP_1)
	v_cmpx_ne_u32_e32 0x7f, v10
	s_cbranch_execz .LBB214_2234
; %bb.2231:                             ;   in Loop: Header=BB214_1581 Depth=1
	v_and_b32_e32 v24, 7, v14
	v_lshrrev_b32_e32 v8, 3, v10
	s_mov_b32 s15, exec_lo
	v_cmpx_gt_u32_e32 8, v10
; %bb.2232:                             ;   in Loop: Header=BB214_1581 Depth=1
	s_delay_alu instid0(VALU_DEP_3) | instskip(NEXT) | instid1(VALU_DEP_1)
	v_clz_i32_u32_e32 v8, v24
	v_min_u32_e32 v8, 32, v8
	s_delay_alu instid0(VALU_DEP_1) | instskip(NEXT) | instid1(VALU_DEP_1)
	v_subrev_nc_u32_e32 v9, 28, v8
	v_lshlrev_b64_e32 v[10:11], v9, v[24:25]
	s_delay_alu instid0(VALU_DEP_1)
	v_dual_sub_nc_u32 v8, 29, v8 :: v_dual_bitop2_b32 v24, 7, v10 bitop3:0x40
; %bb.2233:                             ;   in Loop: Header=BB214_1581 Depth=1
	s_or_b32 exec_lo, exec_lo, s15
	s_delay_alu instid0(VALU_DEP_1) | instskip(NEXT) | instid1(VALU_DEP_2)
	v_dual_lshlrev_b32 v9, 24, v14 :: v_dual_lshlrev_b32 v10, 20, v24
	v_lshl_add_u32 v8, v8, 23, 0x3c000000
	s_delay_alu instid0(VALU_DEP_2) | instskip(NEXT) | instid1(VALU_DEP_1)
	v_and_b32_e32 v9, 0x80000000, v9
	v_or3_b32 v24, v10, v9, v8
	s_delay_alu instid0(VALU_DEP_1)
	v_mov_b64_e32 v[8:9], v[24:25]
.LBB214_2234:                           ;   in Loop: Header=BB214_1581 Depth=1
	s_or_b32 exec_lo, exec_lo, s14
.LBB214_2235:                           ;   in Loop: Header=BB214_1581 Depth=1
	s_delay_alu instid0(SALU_CYCLE_1)
	s_or_b32 exec_lo, exec_lo, s9
.LBB214_2236:                           ;   in Loop: Header=BB214_1581 Depth=1
	s_delay_alu instid0(SALU_CYCLE_1) | instskip(SKIP_2) | instid1(VALU_DEP_1)
	s_or_b32 exec_lo, exec_lo, s8
	v_lshrrev_b16 v10, 8, v14
	s_mov_b32 s8, exec_lo
	v_cmpx_ne_u16_e32 0, v10
	s_cbranch_execz .LBB214_2244
; %bb.2237:                             ;   in Loop: Header=BB214_1581 Depth=1
	v_mov_b64_e32 v[6:7], 0x8000000000000000
	s_mov_b32 s9, exec_lo
	v_cmpx_ne_u16_e32 0x80, v10
	s_cbranch_execz .LBB214_2243
; %bb.2238:                             ;   in Loop: Header=BB214_1581 Depth=1
	v_and_b32_e32 v11, 0xffff, v10
	v_mov_b64_e32 v[6:7], 0x7f80000100000000
	s_mov_b32 s14, exec_lo
	s_delay_alu instid0(VALU_DEP_2) | instskip(NEXT) | instid1(VALU_DEP_1)
	v_and_b32_e32 v10, 0x7f, v11
	v_cmpx_ne_u32_e32 0x7f, v10
	s_cbranch_execz .LBB214_2242
; %bb.2239:                             ;   in Loop: Header=BB214_1581 Depth=1
	v_dual_lshrrev_b32 v6, 3, v10 :: v_dual_bitop2_b32 v24, 7, v11 bitop3:0x40
	s_mov_b32 s15, exec_lo
	v_cmpx_gt_u32_e32 8, v10
; %bb.2240:                             ;   in Loop: Header=BB214_1581 Depth=1
	s_delay_alu instid0(VALU_DEP_2) | instskip(NEXT) | instid1(VALU_DEP_1)
	v_clz_i32_u32_e32 v6, v24
	v_min_u32_e32 v6, 32, v6
	s_delay_alu instid0(VALU_DEP_1) | instskip(SKIP_1) | instid1(VALU_DEP_2)
	v_subrev_nc_u32_e32 v7, 28, v6
	v_sub_nc_u32_e32 v6, 29, v6
	v_lshlrev_b64_e32 v[10:11], v7, v[24:25]
	s_delay_alu instid0(VALU_DEP_1)
	v_and_b32_e32 v24, 7, v10
; %bb.2241:                             ;   in Loop: Header=BB214_1581 Depth=1
	s_or_b32 exec_lo, exec_lo, s15
	s_delay_alu instid0(VALU_DEP_1) | instskip(SKIP_1) | instid1(VALU_DEP_2)
	v_dual_lshlrev_b32 v7, 16, v14 :: v_dual_lshlrev_b32 v10, 20, v24
	v_lshl_add_u32 v6, v6, 23, 0x3c000000
	v_and_b32_e32 v7, 0x80000000, v7
	s_delay_alu instid0(VALU_DEP_1)
	v_or3_b32 v7, v10, v7, v6
	v_mov_b32_e32 v6, v25
.LBB214_2242:                           ;   in Loop: Header=BB214_1581 Depth=1
	s_or_b32 exec_lo, exec_lo, s14
.LBB214_2243:                           ;   in Loop: Header=BB214_1581 Depth=1
	s_delay_alu instid0(SALU_CYCLE_1)
	s_or_b32 exec_lo, exec_lo, s9
.LBB214_2244:                           ;   in Loop: Header=BB214_1581 Depth=1
	s_delay_alu instid0(SALU_CYCLE_1) | instskip(SKIP_4) | instid1(VALU_DEP_3)
	s_or_b32 exec_lo, exec_lo, s8
	v_lshrrev_b32_e32 v15, 16, v14
	v_mov_b64_e32 v[10:11], 0
	v_mov_b64_e32 v[12:13], 0
	s_mov_b32 s8, exec_lo
	v_and_b32_e32 v16, 0xff, v15
	s_delay_alu instid0(VALU_DEP_1)
	v_cmpx_ne_u16_e32 0, v16
	s_cbranch_execz .LBB214_2252
; %bb.2245:                             ;   in Loop: Header=BB214_1581 Depth=1
	v_mov_b64_e32 v[12:13], 0x80000000
	s_mov_b32 s9, exec_lo
	v_cmpx_ne_u16_e32 0x80, v16
	s_cbranch_execz .LBB214_2251
; %bb.2246:                             ;   in Loop: Header=BB214_1581 Depth=1
	v_mov_b64_e32 v[12:13], 0x7f800001
	v_bfe_u32 v16, v14, 16, 7
	s_mov_b32 s14, exec_lo
	s_delay_alu instid0(VALU_DEP_1)
	v_cmpx_ne_u32_e32 0x7f, v16
	s_cbranch_execz .LBB214_2250
; %bb.2247:                             ;   in Loop: Header=BB214_1581 Depth=1
	v_dual_lshrrev_b32 v12, 3, v16 :: v_dual_bitop2_b32 v24, 7, v15 bitop3:0x40
	s_mov_b32 s15, exec_lo
	v_cmpx_gt_u32_e32 8, v16
; %bb.2248:                             ;   in Loop: Header=BB214_1581 Depth=1
	s_delay_alu instid0(VALU_DEP_2) | instskip(NEXT) | instid1(VALU_DEP_1)
	v_clz_i32_u32_e32 v12, v24
	v_min_u32_e32 v12, 32, v12
	s_delay_alu instid0(VALU_DEP_1) | instskip(SKIP_1) | instid1(VALU_DEP_2)
	v_subrev_nc_u32_e32 v13, 28, v12
	v_sub_nc_u32_e32 v12, 29, v12
	v_lshlrev_b64_e32 v[16:17], v13, v[24:25]
	s_delay_alu instid0(VALU_DEP_1)
	v_and_b32_e32 v24, 7, v16
; %bb.2249:                             ;   in Loop: Header=BB214_1581 Depth=1
	s_or_b32 exec_lo, exec_lo, s15
	s_delay_alu instid0(VALU_DEP_1) | instskip(SKIP_1) | instid1(VALU_DEP_2)
	v_dual_lshlrev_b32 v13, 24, v15 :: v_dual_lshlrev_b32 v15, 20, v24
	v_lshl_add_u32 v12, v12, 23, 0x3c000000
	v_and_b32_e32 v13, 0x80000000, v13
	s_delay_alu instid0(VALU_DEP_1) | instskip(NEXT) | instid1(VALU_DEP_1)
	v_or3_b32 v24, v15, v13, v12
	v_mov_b64_e32 v[12:13], v[24:25]
.LBB214_2250:                           ;   in Loop: Header=BB214_1581 Depth=1
	s_or_b32 exec_lo, exec_lo, s14
.LBB214_2251:                           ;   in Loop: Header=BB214_1581 Depth=1
	s_delay_alu instid0(SALU_CYCLE_1)
	s_or_b32 exec_lo, exec_lo, s9
.LBB214_2252:                           ;   in Loop: Header=BB214_1581 Depth=1
	s_delay_alu instid0(SALU_CYCLE_1) | instskip(NEXT) | instid1(SALU_CYCLE_1)
	s_or_b32 exec_lo, exec_lo, s8
	s_mov_b32 s8, exec_lo
	v_cmpx_lt_u32_e32 0xffffff, v14
	s_cbranch_execz .LBB214_2260
; %bb.2253:                             ;   in Loop: Header=BB214_1581 Depth=1
	v_mov_b64_e32 v[10:11], 0x8000000000000000
	v_lshrrev_b32_e32 v15, 24, v14
	s_mov_b32 s9, exec_lo
	s_delay_alu instid0(VALU_DEP_1)
	v_cmpx_ne_u32_e32 0x80, v15
	s_cbranch_execz .LBB214_2259
; %bb.2254:                             ;   in Loop: Header=BB214_1581 Depth=1
	v_mov_b64_e32 v[10:11], 0x7f80000100000000
	v_bfe_u32 v14, v14, 24, 7
	s_mov_b32 s14, exec_lo
	s_delay_alu instid0(VALU_DEP_1)
	v_cmpx_ne_u32_e32 0x7f, v14
	s_cbranch_execz .LBB214_2258
; %bb.2255:                             ;   in Loop: Header=BB214_1581 Depth=1
	v_dual_lshrrev_b32 v10, 3, v14 :: v_dual_bitop2_b32 v24, 7, v15 bitop3:0x40
	s_mov_b32 s15, exec_lo
	v_cmpx_gt_u32_e32 8, v14
; %bb.2256:                             ;   in Loop: Header=BB214_1581 Depth=1
	s_delay_alu instid0(VALU_DEP_2) | instskip(NEXT) | instid1(VALU_DEP_1)
	v_clz_i32_u32_e32 v10, v24
	v_min_u32_e32 v10, 32, v10
	s_delay_alu instid0(VALU_DEP_1) | instskip(NEXT) | instid1(VALU_DEP_1)
	v_subrev_nc_u32_e32 v11, 28, v10
	v_lshlrev_b64_e32 v[16:17], v11, v[24:25]
	s_delay_alu instid0(VALU_DEP_1)
	v_dual_sub_nc_u32 v10, 29, v10 :: v_dual_bitop2_b32 v24, 7, v16 bitop3:0x40
; %bb.2257:                             ;   in Loop: Header=BB214_1581 Depth=1
	s_or_b32 exec_lo, exec_lo, s15
	s_delay_alu instid0(VALU_DEP_1) | instskip(NEXT) | instid1(VALU_DEP_2)
	v_dual_lshlrev_b32 v11, 24, v15 :: v_dual_lshlrev_b32 v14, 20, v24
	v_lshl_add_u32 v10, v10, 23, 0x3c000000
	s_delay_alu instid0(VALU_DEP_2) | instskip(NEXT) | instid1(VALU_DEP_1)
	v_and_b32_e32 v11, 0x80000000, v11
	v_or3_b32 v11, v14, v11, v10
	v_mov_b32_e32 v10, v25
.LBB214_2258:                           ;   in Loop: Header=BB214_1581 Depth=1
	s_or_b32 exec_lo, exec_lo, s14
.LBB214_2259:                           ;   in Loop: Header=BB214_1581 Depth=1
	s_delay_alu instid0(SALU_CYCLE_1)
	s_or_b32 exec_lo, exec_lo, s9
.LBB214_2260:                           ;   in Loop: Header=BB214_1581 Depth=1
	s_delay_alu instid0(SALU_CYCLE_1) | instskip(SKIP_4) | instid1(VALU_DEP_3)
	s_or_b32 exec_lo, exec_lo, s8
	v_or_b32_e32 v7, v7, v9
	v_or_b32_e32 v6, v6, v8
	;; [unrolled: 1-line block ×4, first 2 shown]
	v_pk_mul_f32 v[6:7], v[114:115], v[6:7]
	scratch_store_b64 off, v[6:7], s32 offset:548 ; 8-byte Folded Spill
	s_wait_xcnt 0x0
	v_pk_mul_f32 v[6:7], v[114:115], v[8:9]
	scratch_store_b64 off, v[6:7], s32 offset:540 ; 8-byte Folded Spill
	s_wait_xcnt 0x0
	s_and_saveexec_b32 s8, vcc_lo
	s_cbranch_execz .LBB214_2262
; %bb.2261:                             ;   in Loop: Header=BB214_1581 Depth=1
	s_clause 0x1
	scratch_load_b64 v[6:7], off, s32 offset:200
	scratch_load_b64 v[8:9], off, s32 offset:548 th:TH_LOAD_LU
	s_wait_loadcnt 0x1
	v_cmp_lt_i32_e64 s0, v29, v6
	s_wait_loadcnt 0x0
	s_delay_alu instid0(VALU_DEP_1) | instskip(SKIP_1) | instid1(VALU_DEP_1)
	v_cndmask_b32_e64 v8, 0, v8, s0
	v_cmp_lt_i32_e64 s0, v30, v6
	v_cndmask_b32_e64 v9, 0, v9, s0
	v_cmp_lt_i32_e64 s0, v32, v6
	s_clause 0x1
	scratch_store_b64 off, v[8:9], s32 offset:548
	scratch_load_b64 v[8:9], off, s32 offset:540 th:TH_LOAD_LU
	s_wait_loadcnt 0x0
	v_cndmask_b32_e64 v8, 0, v8, s0
	v_cmp_lt_i32_e64 s0, v31, v6
	s_delay_alu instid0(VALU_DEP_1)
	v_cndmask_b32_e64 v9, 0, v9, s0
	scratch_store_b64 off, v[8:9], s32 offset:540 ; 8-byte Folded Spill
.LBB214_2262:                           ;   in Loop: Header=BB214_1581 Depth=1
	s_wait_xcnt 0x0
	s_or_b32 exec_lo, exec_lo, s8
	flat_load_b32 v14, v[0:1] offset:2560
	v_mov_b64_e32 v[6:7], 0
	v_mov_b64_e32 v[8:9], 0
	s_mov_b32 s8, exec_lo
	s_wait_loadcnt_dscnt 0x0
	v_and_b32_e32 v10, 0xff, v14
	s_wait_xcnt 0x0
	s_delay_alu instid0(VALU_DEP_1)
	v_cmpx_ne_u16_e32 0, v10
	s_cbranch_execz .LBB214_2270
; %bb.2263:                             ;   in Loop: Header=BB214_1581 Depth=1
	v_mov_b64_e32 v[8:9], 0x80000000
	s_mov_b32 s9, exec_lo
	v_cmpx_ne_u16_e32 0x80, v10
	s_cbranch_execz .LBB214_2269
; %bb.2264:                             ;   in Loop: Header=BB214_1581 Depth=1
	v_mov_b64_e32 v[8:9], 0x7f800001
	v_and_b32_e32 v10, 0x7f, v14
	s_mov_b32 s14, exec_lo
	s_delay_alu instid0(VALU_DEP_1)
	v_cmpx_ne_u32_e32 0x7f, v10
	s_cbranch_execz .LBB214_2268
; %bb.2265:                             ;   in Loop: Header=BB214_1581 Depth=1
	v_and_b32_e32 v24, 7, v14
	v_lshrrev_b32_e32 v8, 3, v10
	s_mov_b32 s15, exec_lo
	v_cmpx_gt_u32_e32 8, v10
; %bb.2266:                             ;   in Loop: Header=BB214_1581 Depth=1
	s_delay_alu instid0(VALU_DEP_3) | instskip(NEXT) | instid1(VALU_DEP_1)
	v_clz_i32_u32_e32 v8, v24
	v_min_u32_e32 v8, 32, v8
	s_delay_alu instid0(VALU_DEP_1) | instskip(NEXT) | instid1(VALU_DEP_1)
	v_subrev_nc_u32_e32 v9, 28, v8
	v_lshlrev_b64_e32 v[10:11], v9, v[24:25]
	s_delay_alu instid0(VALU_DEP_1)
	v_dual_sub_nc_u32 v8, 29, v8 :: v_dual_bitop2_b32 v24, 7, v10 bitop3:0x40
; %bb.2267:                             ;   in Loop: Header=BB214_1581 Depth=1
	s_or_b32 exec_lo, exec_lo, s15
	s_delay_alu instid0(VALU_DEP_1) | instskip(NEXT) | instid1(VALU_DEP_2)
	v_dual_lshlrev_b32 v9, 24, v14 :: v_dual_lshlrev_b32 v10, 20, v24
	v_lshl_add_u32 v8, v8, 23, 0x3c000000
	s_delay_alu instid0(VALU_DEP_2) | instskip(NEXT) | instid1(VALU_DEP_1)
	v_and_b32_e32 v9, 0x80000000, v9
	v_or3_b32 v24, v10, v9, v8
	s_delay_alu instid0(VALU_DEP_1)
	v_mov_b64_e32 v[8:9], v[24:25]
.LBB214_2268:                           ;   in Loop: Header=BB214_1581 Depth=1
	s_or_b32 exec_lo, exec_lo, s14
.LBB214_2269:                           ;   in Loop: Header=BB214_1581 Depth=1
	s_delay_alu instid0(SALU_CYCLE_1)
	s_or_b32 exec_lo, exec_lo, s9
.LBB214_2270:                           ;   in Loop: Header=BB214_1581 Depth=1
	s_delay_alu instid0(SALU_CYCLE_1) | instskip(SKIP_2) | instid1(VALU_DEP_1)
	s_or_b32 exec_lo, exec_lo, s8
	v_lshrrev_b16 v10, 8, v14
	s_mov_b32 s8, exec_lo
	v_cmpx_ne_u16_e32 0, v10
	s_cbranch_execz .LBB214_2278
; %bb.2271:                             ;   in Loop: Header=BB214_1581 Depth=1
	v_mov_b64_e32 v[6:7], 0x8000000000000000
	s_mov_b32 s9, exec_lo
	v_cmpx_ne_u16_e32 0x80, v10
	s_cbranch_execz .LBB214_2277
; %bb.2272:                             ;   in Loop: Header=BB214_1581 Depth=1
	v_and_b32_e32 v11, 0xffff, v10
	v_mov_b64_e32 v[6:7], 0x7f80000100000000
	s_mov_b32 s14, exec_lo
	s_delay_alu instid0(VALU_DEP_2) | instskip(NEXT) | instid1(VALU_DEP_1)
	v_and_b32_e32 v10, 0x7f, v11
	v_cmpx_ne_u32_e32 0x7f, v10
	s_cbranch_execz .LBB214_2276
; %bb.2273:                             ;   in Loop: Header=BB214_1581 Depth=1
	v_dual_lshrrev_b32 v6, 3, v10 :: v_dual_bitop2_b32 v24, 7, v11 bitop3:0x40
	s_mov_b32 s15, exec_lo
	v_cmpx_gt_u32_e32 8, v10
; %bb.2274:                             ;   in Loop: Header=BB214_1581 Depth=1
	s_delay_alu instid0(VALU_DEP_2) | instskip(NEXT) | instid1(VALU_DEP_1)
	v_clz_i32_u32_e32 v6, v24
	v_min_u32_e32 v6, 32, v6
	s_delay_alu instid0(VALU_DEP_1) | instskip(SKIP_1) | instid1(VALU_DEP_2)
	v_subrev_nc_u32_e32 v7, 28, v6
	v_sub_nc_u32_e32 v6, 29, v6
	v_lshlrev_b64_e32 v[10:11], v7, v[24:25]
	s_delay_alu instid0(VALU_DEP_1)
	v_and_b32_e32 v24, 7, v10
; %bb.2275:                             ;   in Loop: Header=BB214_1581 Depth=1
	s_or_b32 exec_lo, exec_lo, s15
	s_delay_alu instid0(VALU_DEP_1) | instskip(SKIP_1) | instid1(VALU_DEP_2)
	v_dual_lshlrev_b32 v7, 16, v14 :: v_dual_lshlrev_b32 v10, 20, v24
	v_lshl_add_u32 v6, v6, 23, 0x3c000000
	v_and_b32_e32 v7, 0x80000000, v7
	s_delay_alu instid0(VALU_DEP_1)
	v_or3_b32 v7, v10, v7, v6
	v_mov_b32_e32 v6, v25
.LBB214_2276:                           ;   in Loop: Header=BB214_1581 Depth=1
	s_or_b32 exec_lo, exec_lo, s14
.LBB214_2277:                           ;   in Loop: Header=BB214_1581 Depth=1
	s_delay_alu instid0(SALU_CYCLE_1)
	s_or_b32 exec_lo, exec_lo, s9
.LBB214_2278:                           ;   in Loop: Header=BB214_1581 Depth=1
	s_delay_alu instid0(SALU_CYCLE_1) | instskip(SKIP_4) | instid1(VALU_DEP_3)
	s_or_b32 exec_lo, exec_lo, s8
	v_lshrrev_b32_e32 v15, 16, v14
	v_mov_b64_e32 v[10:11], 0
	v_mov_b64_e32 v[12:13], 0
	s_mov_b32 s8, exec_lo
	v_and_b32_e32 v16, 0xff, v15
	s_delay_alu instid0(VALU_DEP_1)
	v_cmpx_ne_u16_e32 0, v16
	s_cbranch_execz .LBB214_2286
; %bb.2279:                             ;   in Loop: Header=BB214_1581 Depth=1
	v_mov_b64_e32 v[12:13], 0x80000000
	s_mov_b32 s9, exec_lo
	v_cmpx_ne_u16_e32 0x80, v16
	s_cbranch_execz .LBB214_2285
; %bb.2280:                             ;   in Loop: Header=BB214_1581 Depth=1
	v_mov_b64_e32 v[12:13], 0x7f800001
	v_bfe_u32 v16, v14, 16, 7
	s_mov_b32 s14, exec_lo
	s_delay_alu instid0(VALU_DEP_1)
	v_cmpx_ne_u32_e32 0x7f, v16
	s_cbranch_execz .LBB214_2284
; %bb.2281:                             ;   in Loop: Header=BB214_1581 Depth=1
	v_dual_lshrrev_b32 v12, 3, v16 :: v_dual_bitop2_b32 v24, 7, v15 bitop3:0x40
	s_mov_b32 s15, exec_lo
	v_cmpx_gt_u32_e32 8, v16
; %bb.2282:                             ;   in Loop: Header=BB214_1581 Depth=1
	s_delay_alu instid0(VALU_DEP_2) | instskip(NEXT) | instid1(VALU_DEP_1)
	v_clz_i32_u32_e32 v12, v24
	v_min_u32_e32 v12, 32, v12
	s_delay_alu instid0(VALU_DEP_1) | instskip(SKIP_1) | instid1(VALU_DEP_2)
	v_subrev_nc_u32_e32 v13, 28, v12
	v_sub_nc_u32_e32 v12, 29, v12
	v_lshlrev_b64_e32 v[16:17], v13, v[24:25]
	s_delay_alu instid0(VALU_DEP_1)
	v_and_b32_e32 v24, 7, v16
; %bb.2283:                             ;   in Loop: Header=BB214_1581 Depth=1
	s_or_b32 exec_lo, exec_lo, s15
	s_delay_alu instid0(VALU_DEP_1) | instskip(SKIP_1) | instid1(VALU_DEP_2)
	v_dual_lshlrev_b32 v13, 24, v15 :: v_dual_lshlrev_b32 v15, 20, v24
	v_lshl_add_u32 v12, v12, 23, 0x3c000000
	v_and_b32_e32 v13, 0x80000000, v13
	s_delay_alu instid0(VALU_DEP_1) | instskip(NEXT) | instid1(VALU_DEP_1)
	v_or3_b32 v24, v15, v13, v12
	v_mov_b64_e32 v[12:13], v[24:25]
.LBB214_2284:                           ;   in Loop: Header=BB214_1581 Depth=1
	s_or_b32 exec_lo, exec_lo, s14
.LBB214_2285:                           ;   in Loop: Header=BB214_1581 Depth=1
	s_delay_alu instid0(SALU_CYCLE_1)
	s_or_b32 exec_lo, exec_lo, s9
.LBB214_2286:                           ;   in Loop: Header=BB214_1581 Depth=1
	s_delay_alu instid0(SALU_CYCLE_1) | instskip(NEXT) | instid1(SALU_CYCLE_1)
	s_or_b32 exec_lo, exec_lo, s8
	s_mov_b32 s8, exec_lo
	v_cmpx_lt_u32_e32 0xffffff, v14
	s_cbranch_execz .LBB214_2294
; %bb.2287:                             ;   in Loop: Header=BB214_1581 Depth=1
	v_mov_b64_e32 v[10:11], 0x8000000000000000
	v_lshrrev_b32_e32 v15, 24, v14
	s_mov_b32 s9, exec_lo
	s_delay_alu instid0(VALU_DEP_1)
	v_cmpx_ne_u32_e32 0x80, v15
	s_cbranch_execz .LBB214_2293
; %bb.2288:                             ;   in Loop: Header=BB214_1581 Depth=1
	v_mov_b64_e32 v[10:11], 0x7f80000100000000
	v_bfe_u32 v14, v14, 24, 7
	s_mov_b32 s14, exec_lo
	s_delay_alu instid0(VALU_DEP_1)
	v_cmpx_ne_u32_e32 0x7f, v14
	s_cbranch_execz .LBB214_2292
; %bb.2289:                             ;   in Loop: Header=BB214_1581 Depth=1
	v_dual_lshrrev_b32 v10, 3, v14 :: v_dual_bitop2_b32 v24, 7, v15 bitop3:0x40
	s_mov_b32 s15, exec_lo
	v_cmpx_gt_u32_e32 8, v14
; %bb.2290:                             ;   in Loop: Header=BB214_1581 Depth=1
	s_delay_alu instid0(VALU_DEP_2) | instskip(NEXT) | instid1(VALU_DEP_1)
	v_clz_i32_u32_e32 v10, v24
	v_min_u32_e32 v10, 32, v10
	s_delay_alu instid0(VALU_DEP_1) | instskip(NEXT) | instid1(VALU_DEP_1)
	v_subrev_nc_u32_e32 v11, 28, v10
	v_lshlrev_b64_e32 v[16:17], v11, v[24:25]
	s_delay_alu instid0(VALU_DEP_1)
	v_dual_sub_nc_u32 v10, 29, v10 :: v_dual_bitop2_b32 v24, 7, v16 bitop3:0x40
; %bb.2291:                             ;   in Loop: Header=BB214_1581 Depth=1
	s_or_b32 exec_lo, exec_lo, s15
	s_delay_alu instid0(VALU_DEP_1) | instskip(NEXT) | instid1(VALU_DEP_2)
	v_dual_lshlrev_b32 v11, 24, v15 :: v_dual_lshlrev_b32 v14, 20, v24
	v_lshl_add_u32 v10, v10, 23, 0x3c000000
	s_delay_alu instid0(VALU_DEP_2) | instskip(NEXT) | instid1(VALU_DEP_1)
	v_and_b32_e32 v11, 0x80000000, v11
	v_or3_b32 v11, v14, v11, v10
	v_mov_b32_e32 v10, v25
.LBB214_2292:                           ;   in Loop: Header=BB214_1581 Depth=1
	s_or_b32 exec_lo, exec_lo, s14
.LBB214_2293:                           ;   in Loop: Header=BB214_1581 Depth=1
	s_delay_alu instid0(SALU_CYCLE_1)
	s_or_b32 exec_lo, exec_lo, s9
.LBB214_2294:                           ;   in Loop: Header=BB214_1581 Depth=1
	s_delay_alu instid0(SALU_CYCLE_1) | instskip(SKIP_4) | instid1(VALU_DEP_3)
	s_or_b32 exec_lo, exec_lo, s8
	v_or_b32_e32 v7, v7, v9
	v_or_b32_e32 v6, v6, v8
	;; [unrolled: 1-line block ×4, first 2 shown]
	v_pk_mul_f32 v[6:7], v[114:115], v[6:7]
	scratch_store_b64 off, v[6:7], s32 offset:564 ; 8-byte Folded Spill
	s_wait_xcnt 0x0
	v_pk_mul_f32 v[6:7], v[114:115], v[8:9]
	scratch_store_b64 off, v[6:7], s32 offset:556 ; 8-byte Folded Spill
	s_wait_xcnt 0x0
	s_and_saveexec_b32 s8, vcc_lo
	s_cbranch_execz .LBB214_2296
; %bb.2295:                             ;   in Loop: Header=BB214_1581 Depth=1
	s_clause 0x1
	scratch_load_b64 v[6:7], off, s32 offset:200
	scratch_load_b64 v[8:9], off, s32 offset:564 th:TH_LOAD_LU
	s_wait_loadcnt 0x1
	v_cmp_lt_i32_e64 s0, v29, v6
	s_wait_loadcnt 0x0
	s_delay_alu instid0(VALU_DEP_1) | instskip(SKIP_1) | instid1(VALU_DEP_1)
	v_cndmask_b32_e64 v8, 0, v8, s0
	v_cmp_lt_i32_e64 s0, v30, v6
	v_cndmask_b32_e64 v9, 0, v9, s0
	v_cmp_lt_i32_e64 s0, v32, v6
	s_clause 0x1
	scratch_store_b64 off, v[8:9], s32 offset:564
	scratch_load_b64 v[8:9], off, s32 offset:556 th:TH_LOAD_LU
	s_wait_loadcnt 0x0
	v_cndmask_b32_e64 v8, 0, v8, s0
	v_cmp_lt_i32_e64 s0, v31, v6
	s_delay_alu instid0(VALU_DEP_1)
	v_cndmask_b32_e64 v9, 0, v9, s0
	scratch_store_b64 off, v[8:9], s32 offset:556 ; 8-byte Folded Spill
.LBB214_2296:                           ;   in Loop: Header=BB214_1581 Depth=1
	s_wait_xcnt 0x0
	s_or_b32 exec_lo, exec_lo, s8
	flat_load_b32 v14, v[0:1] offset:2688
	v_mov_b64_e32 v[6:7], 0
	v_mov_b64_e32 v[8:9], 0
	s_mov_b32 s8, exec_lo
	s_wait_loadcnt_dscnt 0x0
	v_and_b32_e32 v10, 0xff, v14
	s_wait_xcnt 0x0
	s_delay_alu instid0(VALU_DEP_1)
	v_cmpx_ne_u16_e32 0, v10
	s_cbranch_execz .LBB214_2304
; %bb.2297:                             ;   in Loop: Header=BB214_1581 Depth=1
	v_mov_b64_e32 v[8:9], 0x80000000
	s_mov_b32 s9, exec_lo
	v_cmpx_ne_u16_e32 0x80, v10
	s_cbranch_execz .LBB214_2303
; %bb.2298:                             ;   in Loop: Header=BB214_1581 Depth=1
	v_mov_b64_e32 v[8:9], 0x7f800001
	v_and_b32_e32 v10, 0x7f, v14
	s_mov_b32 s14, exec_lo
	s_delay_alu instid0(VALU_DEP_1)
	v_cmpx_ne_u32_e32 0x7f, v10
	s_cbranch_execz .LBB214_2302
; %bb.2299:                             ;   in Loop: Header=BB214_1581 Depth=1
	v_and_b32_e32 v24, 7, v14
	v_lshrrev_b32_e32 v8, 3, v10
	s_mov_b32 s15, exec_lo
	v_cmpx_gt_u32_e32 8, v10
; %bb.2300:                             ;   in Loop: Header=BB214_1581 Depth=1
	s_delay_alu instid0(VALU_DEP_3) | instskip(NEXT) | instid1(VALU_DEP_1)
	v_clz_i32_u32_e32 v8, v24
	v_min_u32_e32 v8, 32, v8
	s_delay_alu instid0(VALU_DEP_1) | instskip(NEXT) | instid1(VALU_DEP_1)
	v_subrev_nc_u32_e32 v9, 28, v8
	v_lshlrev_b64_e32 v[10:11], v9, v[24:25]
	s_delay_alu instid0(VALU_DEP_1)
	v_dual_sub_nc_u32 v8, 29, v8 :: v_dual_bitop2_b32 v24, 7, v10 bitop3:0x40
; %bb.2301:                             ;   in Loop: Header=BB214_1581 Depth=1
	s_or_b32 exec_lo, exec_lo, s15
	s_delay_alu instid0(VALU_DEP_1) | instskip(NEXT) | instid1(VALU_DEP_2)
	v_dual_lshlrev_b32 v9, 24, v14 :: v_dual_lshlrev_b32 v10, 20, v24
	v_lshl_add_u32 v8, v8, 23, 0x3c000000
	s_delay_alu instid0(VALU_DEP_2) | instskip(NEXT) | instid1(VALU_DEP_1)
	v_and_b32_e32 v9, 0x80000000, v9
	v_or3_b32 v24, v10, v9, v8
	s_delay_alu instid0(VALU_DEP_1)
	v_mov_b64_e32 v[8:9], v[24:25]
.LBB214_2302:                           ;   in Loop: Header=BB214_1581 Depth=1
	s_or_b32 exec_lo, exec_lo, s14
.LBB214_2303:                           ;   in Loop: Header=BB214_1581 Depth=1
	s_delay_alu instid0(SALU_CYCLE_1)
	s_or_b32 exec_lo, exec_lo, s9
.LBB214_2304:                           ;   in Loop: Header=BB214_1581 Depth=1
	s_delay_alu instid0(SALU_CYCLE_1) | instskip(SKIP_2) | instid1(VALU_DEP_1)
	s_or_b32 exec_lo, exec_lo, s8
	v_lshrrev_b16 v10, 8, v14
	s_mov_b32 s8, exec_lo
	v_cmpx_ne_u16_e32 0, v10
	s_cbranch_execz .LBB214_2312
; %bb.2305:                             ;   in Loop: Header=BB214_1581 Depth=1
	v_mov_b64_e32 v[6:7], 0x8000000000000000
	s_mov_b32 s9, exec_lo
	v_cmpx_ne_u16_e32 0x80, v10
	s_cbranch_execz .LBB214_2311
; %bb.2306:                             ;   in Loop: Header=BB214_1581 Depth=1
	v_and_b32_e32 v11, 0xffff, v10
	v_mov_b64_e32 v[6:7], 0x7f80000100000000
	s_mov_b32 s14, exec_lo
	s_delay_alu instid0(VALU_DEP_2) | instskip(NEXT) | instid1(VALU_DEP_1)
	v_and_b32_e32 v10, 0x7f, v11
	v_cmpx_ne_u32_e32 0x7f, v10
	s_cbranch_execz .LBB214_2310
; %bb.2307:                             ;   in Loop: Header=BB214_1581 Depth=1
	v_dual_lshrrev_b32 v6, 3, v10 :: v_dual_bitop2_b32 v24, 7, v11 bitop3:0x40
	s_mov_b32 s15, exec_lo
	v_cmpx_gt_u32_e32 8, v10
; %bb.2308:                             ;   in Loop: Header=BB214_1581 Depth=1
	s_delay_alu instid0(VALU_DEP_2) | instskip(NEXT) | instid1(VALU_DEP_1)
	v_clz_i32_u32_e32 v6, v24
	v_min_u32_e32 v6, 32, v6
	s_delay_alu instid0(VALU_DEP_1) | instskip(SKIP_1) | instid1(VALU_DEP_2)
	v_subrev_nc_u32_e32 v7, 28, v6
	v_sub_nc_u32_e32 v6, 29, v6
	v_lshlrev_b64_e32 v[10:11], v7, v[24:25]
	s_delay_alu instid0(VALU_DEP_1)
	v_and_b32_e32 v24, 7, v10
; %bb.2309:                             ;   in Loop: Header=BB214_1581 Depth=1
	s_or_b32 exec_lo, exec_lo, s15
	s_delay_alu instid0(VALU_DEP_1) | instskip(SKIP_1) | instid1(VALU_DEP_2)
	v_dual_lshlrev_b32 v7, 16, v14 :: v_dual_lshlrev_b32 v10, 20, v24
	v_lshl_add_u32 v6, v6, 23, 0x3c000000
	v_and_b32_e32 v7, 0x80000000, v7
	s_delay_alu instid0(VALU_DEP_1)
	v_or3_b32 v7, v10, v7, v6
	v_mov_b32_e32 v6, v25
.LBB214_2310:                           ;   in Loop: Header=BB214_1581 Depth=1
	s_or_b32 exec_lo, exec_lo, s14
.LBB214_2311:                           ;   in Loop: Header=BB214_1581 Depth=1
	s_delay_alu instid0(SALU_CYCLE_1)
	s_or_b32 exec_lo, exec_lo, s9
.LBB214_2312:                           ;   in Loop: Header=BB214_1581 Depth=1
	s_delay_alu instid0(SALU_CYCLE_1) | instskip(SKIP_4) | instid1(VALU_DEP_3)
	s_or_b32 exec_lo, exec_lo, s8
	v_lshrrev_b32_e32 v15, 16, v14
	v_mov_b64_e32 v[10:11], 0
	v_mov_b64_e32 v[12:13], 0
	s_mov_b32 s8, exec_lo
	v_and_b32_e32 v16, 0xff, v15
	s_delay_alu instid0(VALU_DEP_1)
	v_cmpx_ne_u16_e32 0, v16
	s_cbranch_execz .LBB214_2320
; %bb.2313:                             ;   in Loop: Header=BB214_1581 Depth=1
	v_mov_b64_e32 v[12:13], 0x80000000
	s_mov_b32 s9, exec_lo
	v_cmpx_ne_u16_e32 0x80, v16
	s_cbranch_execz .LBB214_2319
; %bb.2314:                             ;   in Loop: Header=BB214_1581 Depth=1
	v_mov_b64_e32 v[12:13], 0x7f800001
	v_bfe_u32 v16, v14, 16, 7
	s_mov_b32 s14, exec_lo
	s_delay_alu instid0(VALU_DEP_1)
	v_cmpx_ne_u32_e32 0x7f, v16
	s_cbranch_execz .LBB214_2318
; %bb.2315:                             ;   in Loop: Header=BB214_1581 Depth=1
	v_dual_lshrrev_b32 v12, 3, v16 :: v_dual_bitop2_b32 v24, 7, v15 bitop3:0x40
	s_mov_b32 s15, exec_lo
	v_cmpx_gt_u32_e32 8, v16
; %bb.2316:                             ;   in Loop: Header=BB214_1581 Depth=1
	s_delay_alu instid0(VALU_DEP_2) | instskip(NEXT) | instid1(VALU_DEP_1)
	v_clz_i32_u32_e32 v12, v24
	v_min_u32_e32 v12, 32, v12
	s_delay_alu instid0(VALU_DEP_1) | instskip(SKIP_1) | instid1(VALU_DEP_2)
	v_subrev_nc_u32_e32 v13, 28, v12
	v_sub_nc_u32_e32 v12, 29, v12
	v_lshlrev_b64_e32 v[16:17], v13, v[24:25]
	s_delay_alu instid0(VALU_DEP_1)
	v_and_b32_e32 v24, 7, v16
; %bb.2317:                             ;   in Loop: Header=BB214_1581 Depth=1
	s_or_b32 exec_lo, exec_lo, s15
	s_delay_alu instid0(VALU_DEP_1) | instskip(SKIP_1) | instid1(VALU_DEP_2)
	v_dual_lshlrev_b32 v13, 24, v15 :: v_dual_lshlrev_b32 v15, 20, v24
	v_lshl_add_u32 v12, v12, 23, 0x3c000000
	v_and_b32_e32 v13, 0x80000000, v13
	s_delay_alu instid0(VALU_DEP_1) | instskip(NEXT) | instid1(VALU_DEP_1)
	v_or3_b32 v24, v15, v13, v12
	v_mov_b64_e32 v[12:13], v[24:25]
.LBB214_2318:                           ;   in Loop: Header=BB214_1581 Depth=1
	s_or_b32 exec_lo, exec_lo, s14
.LBB214_2319:                           ;   in Loop: Header=BB214_1581 Depth=1
	s_delay_alu instid0(SALU_CYCLE_1)
	s_or_b32 exec_lo, exec_lo, s9
.LBB214_2320:                           ;   in Loop: Header=BB214_1581 Depth=1
	s_delay_alu instid0(SALU_CYCLE_1) | instskip(NEXT) | instid1(SALU_CYCLE_1)
	s_or_b32 exec_lo, exec_lo, s8
	s_mov_b32 s8, exec_lo
	v_cmpx_lt_u32_e32 0xffffff, v14
	s_cbranch_execz .LBB214_2328
; %bb.2321:                             ;   in Loop: Header=BB214_1581 Depth=1
	v_mov_b64_e32 v[10:11], 0x8000000000000000
	v_lshrrev_b32_e32 v15, 24, v14
	s_mov_b32 s9, exec_lo
	s_delay_alu instid0(VALU_DEP_1)
	v_cmpx_ne_u32_e32 0x80, v15
	s_cbranch_execz .LBB214_2327
; %bb.2322:                             ;   in Loop: Header=BB214_1581 Depth=1
	v_mov_b64_e32 v[10:11], 0x7f80000100000000
	v_bfe_u32 v14, v14, 24, 7
	s_mov_b32 s14, exec_lo
	s_delay_alu instid0(VALU_DEP_1)
	v_cmpx_ne_u32_e32 0x7f, v14
	s_cbranch_execz .LBB214_2326
; %bb.2323:                             ;   in Loop: Header=BB214_1581 Depth=1
	v_dual_lshrrev_b32 v10, 3, v14 :: v_dual_bitop2_b32 v24, 7, v15 bitop3:0x40
	s_mov_b32 s15, exec_lo
	v_cmpx_gt_u32_e32 8, v14
; %bb.2324:                             ;   in Loop: Header=BB214_1581 Depth=1
	s_delay_alu instid0(VALU_DEP_2) | instskip(NEXT) | instid1(VALU_DEP_1)
	v_clz_i32_u32_e32 v10, v24
	v_min_u32_e32 v10, 32, v10
	s_delay_alu instid0(VALU_DEP_1) | instskip(NEXT) | instid1(VALU_DEP_1)
	v_subrev_nc_u32_e32 v11, 28, v10
	v_lshlrev_b64_e32 v[16:17], v11, v[24:25]
	s_delay_alu instid0(VALU_DEP_1)
	v_dual_sub_nc_u32 v10, 29, v10 :: v_dual_bitop2_b32 v24, 7, v16 bitop3:0x40
; %bb.2325:                             ;   in Loop: Header=BB214_1581 Depth=1
	s_or_b32 exec_lo, exec_lo, s15
	s_delay_alu instid0(VALU_DEP_1) | instskip(NEXT) | instid1(VALU_DEP_2)
	v_dual_lshlrev_b32 v11, 24, v15 :: v_dual_lshlrev_b32 v14, 20, v24
	v_lshl_add_u32 v10, v10, 23, 0x3c000000
	s_delay_alu instid0(VALU_DEP_2) | instskip(NEXT) | instid1(VALU_DEP_1)
	v_and_b32_e32 v11, 0x80000000, v11
	v_or3_b32 v11, v14, v11, v10
	v_mov_b32_e32 v10, v25
.LBB214_2326:                           ;   in Loop: Header=BB214_1581 Depth=1
	s_or_b32 exec_lo, exec_lo, s14
.LBB214_2327:                           ;   in Loop: Header=BB214_1581 Depth=1
	s_delay_alu instid0(SALU_CYCLE_1)
	s_or_b32 exec_lo, exec_lo, s9
.LBB214_2328:                           ;   in Loop: Header=BB214_1581 Depth=1
	s_delay_alu instid0(SALU_CYCLE_1) | instskip(SKIP_4) | instid1(VALU_DEP_3)
	s_or_b32 exec_lo, exec_lo, s8
	v_or_b32_e32 v7, v7, v9
	v_or_b32_e32 v6, v6, v8
	;; [unrolled: 1-line block ×4, first 2 shown]
	v_pk_mul_f32 v[6:7], v[114:115], v[6:7]
	scratch_store_b64 off, v[6:7], s32 offset:580 ; 8-byte Folded Spill
	s_wait_xcnt 0x0
	v_pk_mul_f32 v[6:7], v[114:115], v[8:9]
	scratch_store_b64 off, v[6:7], s32 offset:572 ; 8-byte Folded Spill
	s_wait_xcnt 0x0
	s_and_saveexec_b32 s8, vcc_lo
	s_cbranch_execz .LBB214_2330
; %bb.2329:                             ;   in Loop: Header=BB214_1581 Depth=1
	s_clause 0x1
	scratch_load_b64 v[6:7], off, s32 offset:200
	scratch_load_b64 v[8:9], off, s32 offset:580 th:TH_LOAD_LU
	s_wait_loadcnt 0x1
	v_cmp_lt_i32_e64 s0, v29, v6
	s_wait_loadcnt 0x0
	s_delay_alu instid0(VALU_DEP_1) | instskip(SKIP_1) | instid1(VALU_DEP_1)
	v_cndmask_b32_e64 v8, 0, v8, s0
	v_cmp_lt_i32_e64 s0, v30, v6
	v_cndmask_b32_e64 v9, 0, v9, s0
	v_cmp_lt_i32_e64 s0, v32, v6
	s_clause 0x1
	scratch_store_b64 off, v[8:9], s32 offset:580
	scratch_load_b64 v[8:9], off, s32 offset:572 th:TH_LOAD_LU
	s_wait_loadcnt 0x0
	v_cndmask_b32_e64 v8, 0, v8, s0
	v_cmp_lt_i32_e64 s0, v31, v6
	s_delay_alu instid0(VALU_DEP_1)
	v_cndmask_b32_e64 v9, 0, v9, s0
	scratch_store_b64 off, v[8:9], s32 offset:572 ; 8-byte Folded Spill
.LBB214_2330:                           ;   in Loop: Header=BB214_1581 Depth=1
	s_wait_xcnt 0x0
	s_or_b32 exec_lo, exec_lo, s8
	flat_load_b32 v14, v[0:1] offset:2816
	v_mov_b64_e32 v[6:7], 0
	v_mov_b64_e32 v[8:9], 0
	s_mov_b32 s8, exec_lo
	s_wait_loadcnt_dscnt 0x0
	v_and_b32_e32 v10, 0xff, v14
	s_wait_xcnt 0x0
	s_delay_alu instid0(VALU_DEP_1)
	v_cmpx_ne_u16_e32 0, v10
	s_cbranch_execz .LBB214_2338
; %bb.2331:                             ;   in Loop: Header=BB214_1581 Depth=1
	v_mov_b64_e32 v[8:9], 0x80000000
	s_mov_b32 s9, exec_lo
	v_cmpx_ne_u16_e32 0x80, v10
	s_cbranch_execz .LBB214_2337
; %bb.2332:                             ;   in Loop: Header=BB214_1581 Depth=1
	v_mov_b64_e32 v[8:9], 0x7f800001
	v_and_b32_e32 v10, 0x7f, v14
	s_mov_b32 s14, exec_lo
	s_delay_alu instid0(VALU_DEP_1)
	v_cmpx_ne_u32_e32 0x7f, v10
	s_cbranch_execz .LBB214_2336
; %bb.2333:                             ;   in Loop: Header=BB214_1581 Depth=1
	v_and_b32_e32 v24, 7, v14
	v_lshrrev_b32_e32 v8, 3, v10
	s_mov_b32 s15, exec_lo
	v_cmpx_gt_u32_e32 8, v10
; %bb.2334:                             ;   in Loop: Header=BB214_1581 Depth=1
	s_delay_alu instid0(VALU_DEP_3) | instskip(NEXT) | instid1(VALU_DEP_1)
	v_clz_i32_u32_e32 v8, v24
	v_min_u32_e32 v8, 32, v8
	s_delay_alu instid0(VALU_DEP_1) | instskip(NEXT) | instid1(VALU_DEP_1)
	v_subrev_nc_u32_e32 v9, 28, v8
	v_lshlrev_b64_e32 v[10:11], v9, v[24:25]
	s_delay_alu instid0(VALU_DEP_1)
	v_dual_sub_nc_u32 v8, 29, v8 :: v_dual_bitop2_b32 v24, 7, v10 bitop3:0x40
; %bb.2335:                             ;   in Loop: Header=BB214_1581 Depth=1
	s_or_b32 exec_lo, exec_lo, s15
	s_delay_alu instid0(VALU_DEP_1) | instskip(NEXT) | instid1(VALU_DEP_2)
	v_dual_lshlrev_b32 v9, 24, v14 :: v_dual_lshlrev_b32 v10, 20, v24
	v_lshl_add_u32 v8, v8, 23, 0x3c000000
	s_delay_alu instid0(VALU_DEP_2) | instskip(NEXT) | instid1(VALU_DEP_1)
	v_and_b32_e32 v9, 0x80000000, v9
	v_or3_b32 v24, v10, v9, v8
	s_delay_alu instid0(VALU_DEP_1)
	v_mov_b64_e32 v[8:9], v[24:25]
.LBB214_2336:                           ;   in Loop: Header=BB214_1581 Depth=1
	s_or_b32 exec_lo, exec_lo, s14
.LBB214_2337:                           ;   in Loop: Header=BB214_1581 Depth=1
	s_delay_alu instid0(SALU_CYCLE_1)
	s_or_b32 exec_lo, exec_lo, s9
.LBB214_2338:                           ;   in Loop: Header=BB214_1581 Depth=1
	s_delay_alu instid0(SALU_CYCLE_1) | instskip(SKIP_2) | instid1(VALU_DEP_1)
	s_or_b32 exec_lo, exec_lo, s8
	v_lshrrev_b16 v10, 8, v14
	s_mov_b32 s8, exec_lo
	v_cmpx_ne_u16_e32 0, v10
	s_cbranch_execz .LBB214_2346
; %bb.2339:                             ;   in Loop: Header=BB214_1581 Depth=1
	v_mov_b64_e32 v[6:7], 0x8000000000000000
	s_mov_b32 s9, exec_lo
	v_cmpx_ne_u16_e32 0x80, v10
	s_cbranch_execz .LBB214_2345
; %bb.2340:                             ;   in Loop: Header=BB214_1581 Depth=1
	v_and_b32_e32 v11, 0xffff, v10
	v_mov_b64_e32 v[6:7], 0x7f80000100000000
	s_mov_b32 s14, exec_lo
	s_delay_alu instid0(VALU_DEP_2) | instskip(NEXT) | instid1(VALU_DEP_1)
	v_and_b32_e32 v10, 0x7f, v11
	v_cmpx_ne_u32_e32 0x7f, v10
	s_cbranch_execz .LBB214_2344
; %bb.2341:                             ;   in Loop: Header=BB214_1581 Depth=1
	v_dual_lshrrev_b32 v6, 3, v10 :: v_dual_bitop2_b32 v24, 7, v11 bitop3:0x40
	s_mov_b32 s15, exec_lo
	v_cmpx_gt_u32_e32 8, v10
; %bb.2342:                             ;   in Loop: Header=BB214_1581 Depth=1
	s_delay_alu instid0(VALU_DEP_2) | instskip(NEXT) | instid1(VALU_DEP_1)
	v_clz_i32_u32_e32 v6, v24
	v_min_u32_e32 v6, 32, v6
	s_delay_alu instid0(VALU_DEP_1) | instskip(SKIP_1) | instid1(VALU_DEP_2)
	v_subrev_nc_u32_e32 v7, 28, v6
	v_sub_nc_u32_e32 v6, 29, v6
	v_lshlrev_b64_e32 v[10:11], v7, v[24:25]
	s_delay_alu instid0(VALU_DEP_1)
	v_and_b32_e32 v24, 7, v10
; %bb.2343:                             ;   in Loop: Header=BB214_1581 Depth=1
	s_or_b32 exec_lo, exec_lo, s15
	s_delay_alu instid0(VALU_DEP_1) | instskip(SKIP_1) | instid1(VALU_DEP_2)
	v_dual_lshlrev_b32 v7, 16, v14 :: v_dual_lshlrev_b32 v10, 20, v24
	v_lshl_add_u32 v6, v6, 23, 0x3c000000
	v_and_b32_e32 v7, 0x80000000, v7
	s_delay_alu instid0(VALU_DEP_1)
	v_or3_b32 v7, v10, v7, v6
	v_mov_b32_e32 v6, v25
.LBB214_2344:                           ;   in Loop: Header=BB214_1581 Depth=1
	s_or_b32 exec_lo, exec_lo, s14
.LBB214_2345:                           ;   in Loop: Header=BB214_1581 Depth=1
	s_delay_alu instid0(SALU_CYCLE_1)
	s_or_b32 exec_lo, exec_lo, s9
.LBB214_2346:                           ;   in Loop: Header=BB214_1581 Depth=1
	s_delay_alu instid0(SALU_CYCLE_1) | instskip(SKIP_4) | instid1(VALU_DEP_3)
	s_or_b32 exec_lo, exec_lo, s8
	v_lshrrev_b32_e32 v15, 16, v14
	v_mov_b64_e32 v[10:11], 0
	v_mov_b64_e32 v[12:13], 0
	s_mov_b32 s8, exec_lo
	v_and_b32_e32 v16, 0xff, v15
	s_delay_alu instid0(VALU_DEP_1)
	v_cmpx_ne_u16_e32 0, v16
	s_cbranch_execz .LBB214_2354
; %bb.2347:                             ;   in Loop: Header=BB214_1581 Depth=1
	v_mov_b64_e32 v[12:13], 0x80000000
	s_mov_b32 s9, exec_lo
	v_cmpx_ne_u16_e32 0x80, v16
	s_cbranch_execz .LBB214_2353
; %bb.2348:                             ;   in Loop: Header=BB214_1581 Depth=1
	v_mov_b64_e32 v[12:13], 0x7f800001
	v_bfe_u32 v16, v14, 16, 7
	s_mov_b32 s14, exec_lo
	s_delay_alu instid0(VALU_DEP_1)
	v_cmpx_ne_u32_e32 0x7f, v16
	s_cbranch_execz .LBB214_2352
; %bb.2349:                             ;   in Loop: Header=BB214_1581 Depth=1
	v_dual_lshrrev_b32 v12, 3, v16 :: v_dual_bitop2_b32 v24, 7, v15 bitop3:0x40
	s_mov_b32 s15, exec_lo
	v_cmpx_gt_u32_e32 8, v16
; %bb.2350:                             ;   in Loop: Header=BB214_1581 Depth=1
	s_delay_alu instid0(VALU_DEP_2) | instskip(NEXT) | instid1(VALU_DEP_1)
	v_clz_i32_u32_e32 v12, v24
	v_min_u32_e32 v12, 32, v12
	s_delay_alu instid0(VALU_DEP_1) | instskip(SKIP_1) | instid1(VALU_DEP_2)
	v_subrev_nc_u32_e32 v13, 28, v12
	v_sub_nc_u32_e32 v12, 29, v12
	v_lshlrev_b64_e32 v[16:17], v13, v[24:25]
	s_delay_alu instid0(VALU_DEP_1)
	v_and_b32_e32 v24, 7, v16
; %bb.2351:                             ;   in Loop: Header=BB214_1581 Depth=1
	s_or_b32 exec_lo, exec_lo, s15
	s_delay_alu instid0(VALU_DEP_1) | instskip(SKIP_1) | instid1(VALU_DEP_2)
	v_dual_lshlrev_b32 v13, 24, v15 :: v_dual_lshlrev_b32 v15, 20, v24
	v_lshl_add_u32 v12, v12, 23, 0x3c000000
	v_and_b32_e32 v13, 0x80000000, v13
	s_delay_alu instid0(VALU_DEP_1) | instskip(NEXT) | instid1(VALU_DEP_1)
	v_or3_b32 v24, v15, v13, v12
	v_mov_b64_e32 v[12:13], v[24:25]
.LBB214_2352:                           ;   in Loop: Header=BB214_1581 Depth=1
	s_or_b32 exec_lo, exec_lo, s14
.LBB214_2353:                           ;   in Loop: Header=BB214_1581 Depth=1
	s_delay_alu instid0(SALU_CYCLE_1)
	s_or_b32 exec_lo, exec_lo, s9
.LBB214_2354:                           ;   in Loop: Header=BB214_1581 Depth=1
	s_delay_alu instid0(SALU_CYCLE_1) | instskip(NEXT) | instid1(SALU_CYCLE_1)
	s_or_b32 exec_lo, exec_lo, s8
	s_mov_b32 s8, exec_lo
	v_cmpx_lt_u32_e32 0xffffff, v14
	s_cbranch_execz .LBB214_2362
; %bb.2355:                             ;   in Loop: Header=BB214_1581 Depth=1
	v_mov_b64_e32 v[10:11], 0x8000000000000000
	v_lshrrev_b32_e32 v15, 24, v14
	s_mov_b32 s9, exec_lo
	s_delay_alu instid0(VALU_DEP_1)
	v_cmpx_ne_u32_e32 0x80, v15
	s_cbranch_execz .LBB214_2361
; %bb.2356:                             ;   in Loop: Header=BB214_1581 Depth=1
	v_mov_b64_e32 v[10:11], 0x7f80000100000000
	v_bfe_u32 v14, v14, 24, 7
	s_mov_b32 s14, exec_lo
	s_delay_alu instid0(VALU_DEP_1)
	v_cmpx_ne_u32_e32 0x7f, v14
	s_cbranch_execz .LBB214_2360
; %bb.2357:                             ;   in Loop: Header=BB214_1581 Depth=1
	v_dual_lshrrev_b32 v10, 3, v14 :: v_dual_bitop2_b32 v24, 7, v15 bitop3:0x40
	s_mov_b32 s15, exec_lo
	v_cmpx_gt_u32_e32 8, v14
; %bb.2358:                             ;   in Loop: Header=BB214_1581 Depth=1
	s_delay_alu instid0(VALU_DEP_2) | instskip(NEXT) | instid1(VALU_DEP_1)
	v_clz_i32_u32_e32 v10, v24
	v_min_u32_e32 v10, 32, v10
	s_delay_alu instid0(VALU_DEP_1) | instskip(NEXT) | instid1(VALU_DEP_1)
	v_subrev_nc_u32_e32 v11, 28, v10
	v_lshlrev_b64_e32 v[16:17], v11, v[24:25]
	s_delay_alu instid0(VALU_DEP_1)
	v_dual_sub_nc_u32 v10, 29, v10 :: v_dual_bitop2_b32 v24, 7, v16 bitop3:0x40
; %bb.2359:                             ;   in Loop: Header=BB214_1581 Depth=1
	s_or_b32 exec_lo, exec_lo, s15
	s_delay_alu instid0(VALU_DEP_1) | instskip(NEXT) | instid1(VALU_DEP_2)
	v_dual_lshlrev_b32 v11, 24, v15 :: v_dual_lshlrev_b32 v14, 20, v24
	v_lshl_add_u32 v10, v10, 23, 0x3c000000
	s_delay_alu instid0(VALU_DEP_2) | instskip(NEXT) | instid1(VALU_DEP_1)
	v_and_b32_e32 v11, 0x80000000, v11
	v_or3_b32 v11, v14, v11, v10
	v_mov_b32_e32 v10, v25
.LBB214_2360:                           ;   in Loop: Header=BB214_1581 Depth=1
	s_or_b32 exec_lo, exec_lo, s14
.LBB214_2361:                           ;   in Loop: Header=BB214_1581 Depth=1
	s_delay_alu instid0(SALU_CYCLE_1)
	s_or_b32 exec_lo, exec_lo, s9
.LBB214_2362:                           ;   in Loop: Header=BB214_1581 Depth=1
	s_delay_alu instid0(SALU_CYCLE_1) | instskip(SKIP_4) | instid1(VALU_DEP_3)
	s_or_b32 exec_lo, exec_lo, s8
	v_or_b32_e32 v7, v7, v9
	v_or_b32_e32 v6, v6, v8
	;; [unrolled: 1-line block ×4, first 2 shown]
	v_pk_mul_f32 v[38:39], v[114:115], v[6:7]
	s_delay_alu instid0(VALU_DEP_2)
	v_pk_mul_f32 v[36:37], v[114:115], v[8:9]
	s_and_saveexec_b32 s8, vcc_lo
	s_cbranch_execz .LBB214_2364
; %bb.2363:                             ;   in Loop: Header=BB214_1581 Depth=1
	scratch_load_b64 v[6:7], off, s32 offset:200 ; 8-byte Folded Reload
	s_wait_loadcnt 0x0
	v_cmp_lt_i32_e64 s0, v29, v6
	s_delay_alu instid0(VALU_DEP_1) | instskip(SKIP_1) | instid1(VALU_DEP_1)
	v_cndmask_b32_e64 v38, 0, v38, s0
	v_cmp_lt_i32_e64 s0, v30, v6
	v_cndmask_b32_e64 v39, 0, v39, s0
	v_cmp_lt_i32_e64 s0, v32, v6
	s_delay_alu instid0(VALU_DEP_1) | instskip(SKIP_1) | instid1(VALU_DEP_1)
	v_cndmask_b32_e64 v36, 0, v36, s0
	v_cmp_lt_i32_e64 s0, v31, v6
	v_cndmask_b32_e64 v37, 0, v37, s0
.LBB214_2364:                           ;   in Loop: Header=BB214_1581 Depth=1
	s_wait_xcnt 0x0
	s_or_b32 exec_lo, exec_lo, s8
	flat_load_b32 v14, v[0:1] offset:2944
	v_mov_b64_e32 v[6:7], 0
	v_mov_b64_e32 v[8:9], 0
	s_mov_b32 s8, exec_lo
	s_wait_loadcnt_dscnt 0x0
	v_and_b32_e32 v10, 0xff, v14
	s_wait_xcnt 0x0
	s_delay_alu instid0(VALU_DEP_1)
	v_cmpx_ne_u16_e32 0, v10
	s_cbranch_execz .LBB214_2372
; %bb.2365:                             ;   in Loop: Header=BB214_1581 Depth=1
	v_mov_b64_e32 v[8:9], 0x80000000
	s_mov_b32 s9, exec_lo
	v_cmpx_ne_u16_e32 0x80, v10
	s_cbranch_execz .LBB214_2371
; %bb.2366:                             ;   in Loop: Header=BB214_1581 Depth=1
	v_mov_b64_e32 v[8:9], 0x7f800001
	v_and_b32_e32 v10, 0x7f, v14
	s_mov_b32 s14, exec_lo
	s_delay_alu instid0(VALU_DEP_1)
	v_cmpx_ne_u32_e32 0x7f, v10
	s_cbranch_execz .LBB214_2370
; %bb.2367:                             ;   in Loop: Header=BB214_1581 Depth=1
	v_and_b32_e32 v24, 7, v14
	v_lshrrev_b32_e32 v8, 3, v10
	s_mov_b32 s15, exec_lo
	v_cmpx_gt_u32_e32 8, v10
; %bb.2368:                             ;   in Loop: Header=BB214_1581 Depth=1
	s_delay_alu instid0(VALU_DEP_3) | instskip(NEXT) | instid1(VALU_DEP_1)
	v_clz_i32_u32_e32 v8, v24
	v_min_u32_e32 v8, 32, v8
	s_delay_alu instid0(VALU_DEP_1) | instskip(NEXT) | instid1(VALU_DEP_1)
	v_subrev_nc_u32_e32 v9, 28, v8
	v_lshlrev_b64_e32 v[10:11], v9, v[24:25]
	s_delay_alu instid0(VALU_DEP_1)
	v_dual_sub_nc_u32 v8, 29, v8 :: v_dual_bitop2_b32 v24, 7, v10 bitop3:0x40
; %bb.2369:                             ;   in Loop: Header=BB214_1581 Depth=1
	s_or_b32 exec_lo, exec_lo, s15
	s_delay_alu instid0(VALU_DEP_1) | instskip(NEXT) | instid1(VALU_DEP_2)
	v_dual_lshlrev_b32 v9, 24, v14 :: v_dual_lshlrev_b32 v10, 20, v24
	v_lshl_add_u32 v8, v8, 23, 0x3c000000
	s_delay_alu instid0(VALU_DEP_2) | instskip(NEXT) | instid1(VALU_DEP_1)
	v_and_b32_e32 v9, 0x80000000, v9
	v_or3_b32 v24, v10, v9, v8
	s_delay_alu instid0(VALU_DEP_1)
	v_mov_b64_e32 v[8:9], v[24:25]
.LBB214_2370:                           ;   in Loop: Header=BB214_1581 Depth=1
	s_or_b32 exec_lo, exec_lo, s14
.LBB214_2371:                           ;   in Loop: Header=BB214_1581 Depth=1
	s_delay_alu instid0(SALU_CYCLE_1)
	s_or_b32 exec_lo, exec_lo, s9
.LBB214_2372:                           ;   in Loop: Header=BB214_1581 Depth=1
	s_delay_alu instid0(SALU_CYCLE_1) | instskip(SKIP_2) | instid1(VALU_DEP_1)
	s_or_b32 exec_lo, exec_lo, s8
	v_lshrrev_b16 v10, 8, v14
	s_mov_b32 s8, exec_lo
	v_cmpx_ne_u16_e32 0, v10
	s_cbranch_execz .LBB214_2380
; %bb.2373:                             ;   in Loop: Header=BB214_1581 Depth=1
	v_mov_b64_e32 v[6:7], 0x8000000000000000
	s_mov_b32 s9, exec_lo
	v_cmpx_ne_u16_e32 0x80, v10
	s_cbranch_execz .LBB214_2379
; %bb.2374:                             ;   in Loop: Header=BB214_1581 Depth=1
	v_and_b32_e32 v11, 0xffff, v10
	v_mov_b64_e32 v[6:7], 0x7f80000100000000
	s_mov_b32 s14, exec_lo
	s_delay_alu instid0(VALU_DEP_2) | instskip(NEXT) | instid1(VALU_DEP_1)
	v_and_b32_e32 v10, 0x7f, v11
	v_cmpx_ne_u32_e32 0x7f, v10
	s_cbranch_execz .LBB214_2378
; %bb.2375:                             ;   in Loop: Header=BB214_1581 Depth=1
	v_dual_lshrrev_b32 v6, 3, v10 :: v_dual_bitop2_b32 v24, 7, v11 bitop3:0x40
	s_mov_b32 s15, exec_lo
	v_cmpx_gt_u32_e32 8, v10
; %bb.2376:                             ;   in Loop: Header=BB214_1581 Depth=1
	s_delay_alu instid0(VALU_DEP_2) | instskip(NEXT) | instid1(VALU_DEP_1)
	v_clz_i32_u32_e32 v6, v24
	v_min_u32_e32 v6, 32, v6
	s_delay_alu instid0(VALU_DEP_1) | instskip(SKIP_1) | instid1(VALU_DEP_2)
	v_subrev_nc_u32_e32 v7, 28, v6
	v_sub_nc_u32_e32 v6, 29, v6
	v_lshlrev_b64_e32 v[10:11], v7, v[24:25]
	s_delay_alu instid0(VALU_DEP_1)
	v_and_b32_e32 v24, 7, v10
; %bb.2377:                             ;   in Loop: Header=BB214_1581 Depth=1
	s_or_b32 exec_lo, exec_lo, s15
	s_delay_alu instid0(VALU_DEP_1) | instskip(SKIP_1) | instid1(VALU_DEP_2)
	v_dual_lshlrev_b32 v7, 16, v14 :: v_dual_lshlrev_b32 v10, 20, v24
	v_lshl_add_u32 v6, v6, 23, 0x3c000000
	v_and_b32_e32 v7, 0x80000000, v7
	s_delay_alu instid0(VALU_DEP_1)
	v_or3_b32 v7, v10, v7, v6
	v_mov_b32_e32 v6, v25
.LBB214_2378:                           ;   in Loop: Header=BB214_1581 Depth=1
	s_or_b32 exec_lo, exec_lo, s14
.LBB214_2379:                           ;   in Loop: Header=BB214_1581 Depth=1
	s_delay_alu instid0(SALU_CYCLE_1)
	s_or_b32 exec_lo, exec_lo, s9
.LBB214_2380:                           ;   in Loop: Header=BB214_1581 Depth=1
	s_delay_alu instid0(SALU_CYCLE_1) | instskip(SKIP_4) | instid1(VALU_DEP_3)
	s_or_b32 exec_lo, exec_lo, s8
	v_lshrrev_b32_e32 v15, 16, v14
	v_mov_b64_e32 v[10:11], 0
	v_mov_b64_e32 v[12:13], 0
	s_mov_b32 s8, exec_lo
	v_and_b32_e32 v16, 0xff, v15
	s_delay_alu instid0(VALU_DEP_1)
	v_cmpx_ne_u16_e32 0, v16
	s_cbranch_execz .LBB214_2388
; %bb.2381:                             ;   in Loop: Header=BB214_1581 Depth=1
	v_mov_b64_e32 v[12:13], 0x80000000
	s_mov_b32 s9, exec_lo
	v_cmpx_ne_u16_e32 0x80, v16
	s_cbranch_execz .LBB214_2387
; %bb.2382:                             ;   in Loop: Header=BB214_1581 Depth=1
	v_mov_b64_e32 v[12:13], 0x7f800001
	v_bfe_u32 v16, v14, 16, 7
	s_mov_b32 s14, exec_lo
	s_delay_alu instid0(VALU_DEP_1)
	v_cmpx_ne_u32_e32 0x7f, v16
	s_cbranch_execz .LBB214_2386
; %bb.2383:                             ;   in Loop: Header=BB214_1581 Depth=1
	v_dual_lshrrev_b32 v12, 3, v16 :: v_dual_bitop2_b32 v24, 7, v15 bitop3:0x40
	s_mov_b32 s15, exec_lo
	v_cmpx_gt_u32_e32 8, v16
; %bb.2384:                             ;   in Loop: Header=BB214_1581 Depth=1
	s_delay_alu instid0(VALU_DEP_2) | instskip(NEXT) | instid1(VALU_DEP_1)
	v_clz_i32_u32_e32 v12, v24
	v_min_u32_e32 v12, 32, v12
	s_delay_alu instid0(VALU_DEP_1) | instskip(SKIP_1) | instid1(VALU_DEP_2)
	v_subrev_nc_u32_e32 v13, 28, v12
	v_sub_nc_u32_e32 v12, 29, v12
	v_lshlrev_b64_e32 v[16:17], v13, v[24:25]
	s_delay_alu instid0(VALU_DEP_1)
	v_and_b32_e32 v24, 7, v16
; %bb.2385:                             ;   in Loop: Header=BB214_1581 Depth=1
	s_or_b32 exec_lo, exec_lo, s15
	s_delay_alu instid0(VALU_DEP_1) | instskip(SKIP_1) | instid1(VALU_DEP_2)
	v_dual_lshlrev_b32 v13, 24, v15 :: v_dual_lshlrev_b32 v15, 20, v24
	v_lshl_add_u32 v12, v12, 23, 0x3c000000
	v_and_b32_e32 v13, 0x80000000, v13
	s_delay_alu instid0(VALU_DEP_1) | instskip(NEXT) | instid1(VALU_DEP_1)
	v_or3_b32 v24, v15, v13, v12
	v_mov_b64_e32 v[12:13], v[24:25]
.LBB214_2386:                           ;   in Loop: Header=BB214_1581 Depth=1
	s_or_b32 exec_lo, exec_lo, s14
.LBB214_2387:                           ;   in Loop: Header=BB214_1581 Depth=1
	s_delay_alu instid0(SALU_CYCLE_1)
	s_or_b32 exec_lo, exec_lo, s9
.LBB214_2388:                           ;   in Loop: Header=BB214_1581 Depth=1
	s_delay_alu instid0(SALU_CYCLE_1) | instskip(NEXT) | instid1(SALU_CYCLE_1)
	s_or_b32 exec_lo, exec_lo, s8
	s_mov_b32 s8, exec_lo
	v_cmpx_lt_u32_e32 0xffffff, v14
	s_cbranch_execz .LBB214_2396
; %bb.2389:                             ;   in Loop: Header=BB214_1581 Depth=1
	v_mov_b64_e32 v[10:11], 0x8000000000000000
	v_lshrrev_b32_e32 v15, 24, v14
	s_mov_b32 s9, exec_lo
	s_delay_alu instid0(VALU_DEP_1)
	v_cmpx_ne_u32_e32 0x80, v15
	s_cbranch_execz .LBB214_2395
; %bb.2390:                             ;   in Loop: Header=BB214_1581 Depth=1
	v_mov_b64_e32 v[10:11], 0x7f80000100000000
	v_bfe_u32 v14, v14, 24, 7
	s_mov_b32 s14, exec_lo
	s_delay_alu instid0(VALU_DEP_1)
	v_cmpx_ne_u32_e32 0x7f, v14
	s_cbranch_execz .LBB214_2394
; %bb.2391:                             ;   in Loop: Header=BB214_1581 Depth=1
	v_dual_lshrrev_b32 v10, 3, v14 :: v_dual_bitop2_b32 v24, 7, v15 bitop3:0x40
	s_mov_b32 s15, exec_lo
	v_cmpx_gt_u32_e32 8, v14
; %bb.2392:                             ;   in Loop: Header=BB214_1581 Depth=1
	s_delay_alu instid0(VALU_DEP_2) | instskip(NEXT) | instid1(VALU_DEP_1)
	v_clz_i32_u32_e32 v10, v24
	v_min_u32_e32 v10, 32, v10
	s_delay_alu instid0(VALU_DEP_1) | instskip(NEXT) | instid1(VALU_DEP_1)
	v_subrev_nc_u32_e32 v11, 28, v10
	v_lshlrev_b64_e32 v[16:17], v11, v[24:25]
	s_delay_alu instid0(VALU_DEP_1)
	v_dual_sub_nc_u32 v10, 29, v10 :: v_dual_bitop2_b32 v24, 7, v16 bitop3:0x40
; %bb.2393:                             ;   in Loop: Header=BB214_1581 Depth=1
	s_or_b32 exec_lo, exec_lo, s15
	s_delay_alu instid0(VALU_DEP_1) | instskip(NEXT) | instid1(VALU_DEP_2)
	v_dual_lshlrev_b32 v11, 24, v15 :: v_dual_lshlrev_b32 v14, 20, v24
	v_lshl_add_u32 v10, v10, 23, 0x3c000000
	s_delay_alu instid0(VALU_DEP_2) | instskip(NEXT) | instid1(VALU_DEP_1)
	v_and_b32_e32 v11, 0x80000000, v11
	v_or3_b32 v11, v14, v11, v10
	v_mov_b32_e32 v10, v25
.LBB214_2394:                           ;   in Loop: Header=BB214_1581 Depth=1
	s_or_b32 exec_lo, exec_lo, s14
.LBB214_2395:                           ;   in Loop: Header=BB214_1581 Depth=1
	s_delay_alu instid0(SALU_CYCLE_1)
	s_or_b32 exec_lo, exec_lo, s9
.LBB214_2396:                           ;   in Loop: Header=BB214_1581 Depth=1
	s_delay_alu instid0(SALU_CYCLE_1) | instskip(SKIP_4) | instid1(VALU_DEP_3)
	s_or_b32 exec_lo, exec_lo, s8
	v_or_b32_e32 v7, v7, v9
	v_or_b32_e32 v6, v6, v8
	;; [unrolled: 1-line block ×4, first 2 shown]
	v_pk_mul_f32 v[48:49], v[114:115], v[6:7]
	s_delay_alu instid0(VALU_DEP_2)
	v_pk_mul_f32 v[6:7], v[114:115], v[8:9]
	s_and_saveexec_b32 s8, vcc_lo
	s_cbranch_execz .LBB214_2398
; %bb.2397:                             ;   in Loop: Header=BB214_1581 Depth=1
	scratch_load_b64 v[8:9], off, s32 offset:200 ; 8-byte Folded Reload
	s_wait_loadcnt 0x0
	v_cmp_lt_i32_e64 s0, v29, v8
	s_delay_alu instid0(VALU_DEP_1) | instskip(SKIP_1) | instid1(VALU_DEP_1)
	v_cndmask_b32_e64 v48, 0, v48, s0
	v_cmp_lt_i32_e64 s0, v30, v8
	v_cndmask_b32_e64 v49, 0, v49, s0
	v_cmp_lt_i32_e64 s0, v32, v8
	s_delay_alu instid0(VALU_DEP_1) | instskip(SKIP_1) | instid1(VALU_DEP_1)
	v_cndmask_b32_e64 v6, 0, v6, s0
	v_cmp_lt_i32_e64 s0, v31, v8
	v_cndmask_b32_e64 v7, 0, v7, s0
.LBB214_2398:                           ;   in Loop: Header=BB214_1581 Depth=1
	s_wait_xcnt 0x0
	s_or_b32 exec_lo, exec_lo, s8
	flat_load_b32 v16, v[0:1] offset:3072
	v_mov_b64_e32 v[8:9], 0
	v_mov_b64_e32 v[10:11], 0
	s_mov_b32 s8, exec_lo
	s_wait_loadcnt_dscnt 0x0
	v_and_b32_e32 v12, 0xff, v16
	s_wait_xcnt 0x0
	s_delay_alu instid0(VALU_DEP_1)
	v_cmpx_ne_u16_e32 0, v12
	s_cbranch_execz .LBB214_2406
; %bb.2399:                             ;   in Loop: Header=BB214_1581 Depth=1
	v_mov_b64_e32 v[10:11], 0x80000000
	s_mov_b32 s9, exec_lo
	v_cmpx_ne_u16_e32 0x80, v12
	s_cbranch_execz .LBB214_2405
; %bb.2400:                             ;   in Loop: Header=BB214_1581 Depth=1
	v_mov_b64_e32 v[10:11], 0x7f800001
	v_and_b32_e32 v12, 0x7f, v16
	s_mov_b32 s14, exec_lo
	s_delay_alu instid0(VALU_DEP_1)
	v_cmpx_ne_u32_e32 0x7f, v12
	s_cbranch_execz .LBB214_2404
; %bb.2401:                             ;   in Loop: Header=BB214_1581 Depth=1
	v_and_b32_e32 v24, 7, v16
	v_lshrrev_b32_e32 v10, 3, v12
	s_mov_b32 s15, exec_lo
	v_cmpx_gt_u32_e32 8, v12
; %bb.2402:                             ;   in Loop: Header=BB214_1581 Depth=1
	s_delay_alu instid0(VALU_DEP_3) | instskip(NEXT) | instid1(VALU_DEP_1)
	v_clz_i32_u32_e32 v10, v24
	v_min_u32_e32 v10, 32, v10
	s_delay_alu instid0(VALU_DEP_1) | instskip(NEXT) | instid1(VALU_DEP_1)
	v_subrev_nc_u32_e32 v11, 28, v10
	v_lshlrev_b64_e32 v[12:13], v11, v[24:25]
	s_delay_alu instid0(VALU_DEP_1)
	v_dual_sub_nc_u32 v10, 29, v10 :: v_dual_bitop2_b32 v24, 7, v12 bitop3:0x40
; %bb.2403:                             ;   in Loop: Header=BB214_1581 Depth=1
	s_or_b32 exec_lo, exec_lo, s15
	v_lshlrev_b32_e32 v11, 24, v16
	s_delay_alu instid0(VALU_DEP_2) | instskip(NEXT) | instid1(VALU_DEP_3)
	v_lshlrev_b32_e32 v12, 20, v24
	v_lshl_add_u32 v10, v10, 23, 0x3c000000
	s_delay_alu instid0(VALU_DEP_3) | instskip(NEXT) | instid1(VALU_DEP_1)
	v_and_b32_e32 v11, 0x80000000, v11
	v_or3_b32 v24, v12, v11, v10
	s_delay_alu instid0(VALU_DEP_1)
	v_mov_b64_e32 v[10:11], v[24:25]
.LBB214_2404:                           ;   in Loop: Header=BB214_1581 Depth=1
	s_or_b32 exec_lo, exec_lo, s14
.LBB214_2405:                           ;   in Loop: Header=BB214_1581 Depth=1
	s_delay_alu instid0(SALU_CYCLE_1)
	s_or_b32 exec_lo, exec_lo, s9
.LBB214_2406:                           ;   in Loop: Header=BB214_1581 Depth=1
	s_delay_alu instid0(SALU_CYCLE_1) | instskip(SKIP_2) | instid1(VALU_DEP_1)
	s_or_b32 exec_lo, exec_lo, s8
	v_lshrrev_b16 v12, 8, v16
	s_mov_b32 s8, exec_lo
	v_cmpx_ne_u16_e32 0, v12
	s_cbranch_execz .LBB214_2414
; %bb.2407:                             ;   in Loop: Header=BB214_1581 Depth=1
	v_mov_b64_e32 v[8:9], 0x8000000000000000
	s_mov_b32 s9, exec_lo
	v_cmpx_ne_u16_e32 0x80, v12
	s_cbranch_execz .LBB214_2413
; %bb.2408:                             ;   in Loop: Header=BB214_1581 Depth=1
	v_and_b32_e32 v13, 0xffff, v12
	v_mov_b64_e32 v[8:9], 0x7f80000100000000
	s_mov_b32 s14, exec_lo
	s_delay_alu instid0(VALU_DEP_2) | instskip(NEXT) | instid1(VALU_DEP_1)
	v_and_b32_e32 v12, 0x7f, v13
	v_cmpx_ne_u32_e32 0x7f, v12
	s_cbranch_execz .LBB214_2412
; %bb.2409:                             ;   in Loop: Header=BB214_1581 Depth=1
	v_dual_lshrrev_b32 v8, 3, v12 :: v_dual_bitop2_b32 v24, 7, v13 bitop3:0x40
	s_mov_b32 s15, exec_lo
	v_cmpx_gt_u32_e32 8, v12
; %bb.2410:                             ;   in Loop: Header=BB214_1581 Depth=1
	s_delay_alu instid0(VALU_DEP_2) | instskip(NEXT) | instid1(VALU_DEP_1)
	v_clz_i32_u32_e32 v8, v24
	v_min_u32_e32 v8, 32, v8
	s_delay_alu instid0(VALU_DEP_1) | instskip(SKIP_1) | instid1(VALU_DEP_2)
	v_subrev_nc_u32_e32 v9, 28, v8
	v_sub_nc_u32_e32 v8, 29, v8
	v_lshlrev_b64_e32 v[12:13], v9, v[24:25]
	s_delay_alu instid0(VALU_DEP_1)
	v_and_b32_e32 v24, 7, v12
; %bb.2411:                             ;   in Loop: Header=BB214_1581 Depth=1
	s_or_b32 exec_lo, exec_lo, s15
	v_lshlrev_b32_e32 v9, 16, v16
	s_delay_alu instid0(VALU_DEP_2) | instskip(SKIP_1) | instid1(VALU_DEP_3)
	v_lshlrev_b32_e32 v12, 20, v24
	v_lshl_add_u32 v8, v8, 23, 0x3c000000
	v_and_b32_e32 v9, 0x80000000, v9
	s_delay_alu instid0(VALU_DEP_1)
	v_or3_b32 v9, v12, v9, v8
	v_mov_b32_e32 v8, v25
.LBB214_2412:                           ;   in Loop: Header=BB214_1581 Depth=1
	s_or_b32 exec_lo, exec_lo, s14
.LBB214_2413:                           ;   in Loop: Header=BB214_1581 Depth=1
	s_delay_alu instid0(SALU_CYCLE_1)
	s_or_b32 exec_lo, exec_lo, s9
.LBB214_2414:                           ;   in Loop: Header=BB214_1581 Depth=1
	s_delay_alu instid0(SALU_CYCLE_1) | instskip(SKIP_4) | instid1(VALU_DEP_3)
	s_or_b32 exec_lo, exec_lo, s8
	v_lshrrev_b32_e32 v17, 16, v16
	v_mov_b64_e32 v[12:13], 0
	v_mov_b64_e32 v[14:15], 0
	s_mov_b32 s8, exec_lo
	v_and_b32_e32 v18, 0xff, v17
	s_delay_alu instid0(VALU_DEP_1)
	v_cmpx_ne_u16_e32 0, v18
	s_cbranch_execz .LBB214_2422
; %bb.2415:                             ;   in Loop: Header=BB214_1581 Depth=1
	v_mov_b64_e32 v[14:15], 0x80000000
	s_mov_b32 s9, exec_lo
	v_cmpx_ne_u16_e32 0x80, v18
	s_cbranch_execz .LBB214_2421
; %bb.2416:                             ;   in Loop: Header=BB214_1581 Depth=1
	v_mov_b64_e32 v[14:15], 0x7f800001
	v_bfe_u32 v18, v16, 16, 7
	s_mov_b32 s14, exec_lo
	s_delay_alu instid0(VALU_DEP_1)
	v_cmpx_ne_u32_e32 0x7f, v18
	s_cbranch_execz .LBB214_2420
; %bb.2417:                             ;   in Loop: Header=BB214_1581 Depth=1
	v_dual_lshrrev_b32 v14, 3, v18 :: v_dual_bitop2_b32 v24, 7, v17 bitop3:0x40
	s_mov_b32 s15, exec_lo
	v_cmpx_gt_u32_e32 8, v18
; %bb.2418:                             ;   in Loop: Header=BB214_1581 Depth=1
	s_delay_alu instid0(VALU_DEP_2) | instskip(NEXT) | instid1(VALU_DEP_1)
	v_clz_i32_u32_e32 v14, v24
	v_min_u32_e32 v14, 32, v14
	s_delay_alu instid0(VALU_DEP_1) | instskip(SKIP_1) | instid1(VALU_DEP_2)
	v_subrev_nc_u32_e32 v15, 28, v14
	v_sub_nc_u32_e32 v14, 29, v14
	v_lshlrev_b64_e32 v[18:19], v15, v[24:25]
	s_delay_alu instid0(VALU_DEP_1)
	v_and_b32_e32 v24, 7, v18
; %bb.2419:                             ;   in Loop: Header=BB214_1581 Depth=1
	s_or_b32 exec_lo, exec_lo, s15
	s_delay_alu instid0(VALU_DEP_1) | instskip(SKIP_1) | instid1(VALU_DEP_2)
	v_dual_lshlrev_b32 v15, 24, v17 :: v_dual_lshlrev_b32 v17, 20, v24
	v_lshl_add_u32 v14, v14, 23, 0x3c000000
	v_and_b32_e32 v15, 0x80000000, v15
	s_delay_alu instid0(VALU_DEP_1) | instskip(NEXT) | instid1(VALU_DEP_1)
	v_or3_b32 v24, v17, v15, v14
	v_mov_b64_e32 v[14:15], v[24:25]
.LBB214_2420:                           ;   in Loop: Header=BB214_1581 Depth=1
	s_or_b32 exec_lo, exec_lo, s14
.LBB214_2421:                           ;   in Loop: Header=BB214_1581 Depth=1
	s_delay_alu instid0(SALU_CYCLE_1)
	s_or_b32 exec_lo, exec_lo, s9
.LBB214_2422:                           ;   in Loop: Header=BB214_1581 Depth=1
	s_delay_alu instid0(SALU_CYCLE_1) | instskip(NEXT) | instid1(SALU_CYCLE_1)
	s_or_b32 exec_lo, exec_lo, s8
	s_mov_b32 s8, exec_lo
	v_cmpx_lt_u32_e32 0xffffff, v16
	s_cbranch_execz .LBB214_2430
; %bb.2423:                             ;   in Loop: Header=BB214_1581 Depth=1
	v_mov_b64_e32 v[12:13], 0x8000000000000000
	v_lshrrev_b32_e32 v17, 24, v16
	s_mov_b32 s9, exec_lo
	s_delay_alu instid0(VALU_DEP_1)
	v_cmpx_ne_u32_e32 0x80, v17
	s_cbranch_execz .LBB214_2429
; %bb.2424:                             ;   in Loop: Header=BB214_1581 Depth=1
	v_mov_b64_e32 v[12:13], 0x7f80000100000000
	v_bfe_u32 v16, v16, 24, 7
	s_mov_b32 s14, exec_lo
	s_delay_alu instid0(VALU_DEP_1)
	v_cmpx_ne_u32_e32 0x7f, v16
	s_cbranch_execz .LBB214_2428
; %bb.2425:                             ;   in Loop: Header=BB214_1581 Depth=1
	v_dual_lshrrev_b32 v12, 3, v16 :: v_dual_bitop2_b32 v24, 7, v17 bitop3:0x40
	s_mov_b32 s15, exec_lo
	v_cmpx_gt_u32_e32 8, v16
; %bb.2426:                             ;   in Loop: Header=BB214_1581 Depth=1
	s_delay_alu instid0(VALU_DEP_2) | instskip(NEXT) | instid1(VALU_DEP_1)
	v_clz_i32_u32_e32 v12, v24
	v_min_u32_e32 v12, 32, v12
	s_delay_alu instid0(VALU_DEP_1) | instskip(NEXT) | instid1(VALU_DEP_1)
	v_subrev_nc_u32_e32 v13, 28, v12
	v_lshlrev_b64_e32 v[18:19], v13, v[24:25]
	s_delay_alu instid0(VALU_DEP_1)
	v_dual_sub_nc_u32 v12, 29, v12 :: v_dual_bitop2_b32 v24, 7, v18 bitop3:0x40
; %bb.2427:                             ;   in Loop: Header=BB214_1581 Depth=1
	s_or_b32 exec_lo, exec_lo, s15
	s_delay_alu instid0(VALU_DEP_1) | instskip(NEXT) | instid1(VALU_DEP_2)
	v_dual_lshlrev_b32 v13, 24, v17 :: v_dual_lshlrev_b32 v16, 20, v24
	v_lshl_add_u32 v12, v12, 23, 0x3c000000
	s_delay_alu instid0(VALU_DEP_2) | instskip(NEXT) | instid1(VALU_DEP_1)
	v_and_b32_e32 v13, 0x80000000, v13
	v_or3_b32 v13, v16, v13, v12
	v_mov_b32_e32 v12, v25
.LBB214_2428:                           ;   in Loop: Header=BB214_1581 Depth=1
	s_or_b32 exec_lo, exec_lo, s14
.LBB214_2429:                           ;   in Loop: Header=BB214_1581 Depth=1
	s_delay_alu instid0(SALU_CYCLE_1)
	s_or_b32 exec_lo, exec_lo, s9
.LBB214_2430:                           ;   in Loop: Header=BB214_1581 Depth=1
	s_delay_alu instid0(SALU_CYCLE_1) | instskip(SKIP_4) | instid1(VALU_DEP_3)
	s_or_b32 exec_lo, exec_lo, s8
	v_or_b32_e32 v9, v9, v11
	v_or_b32_e32 v8, v8, v10
	;; [unrolled: 1-line block ×4, first 2 shown]
	v_pk_mul_f32 v[52:53], v[114:115], v[8:9]
	s_delay_alu instid0(VALU_DEP_2)
	v_pk_mul_f32 v[50:51], v[114:115], v[10:11]
	s_and_saveexec_b32 s8, vcc_lo
	s_cbranch_execz .LBB214_2432
; %bb.2431:                             ;   in Loop: Header=BB214_1581 Depth=1
	scratch_load_b64 v[8:9], off, s32 offset:200 ; 8-byte Folded Reload
	s_wait_loadcnt 0x0
	v_cmp_lt_i32_e64 s0, v29, v8
	s_delay_alu instid0(VALU_DEP_1) | instskip(SKIP_1) | instid1(VALU_DEP_1)
	v_cndmask_b32_e64 v52, 0, v52, s0
	v_cmp_lt_i32_e64 s0, v30, v8
	v_cndmask_b32_e64 v53, 0, v53, s0
	v_cmp_lt_i32_e64 s0, v32, v8
	s_delay_alu instid0(VALU_DEP_1) | instskip(SKIP_1) | instid1(VALU_DEP_1)
	v_cndmask_b32_e64 v50, 0, v50, s0
	v_cmp_lt_i32_e64 s0, v31, v8
	v_cndmask_b32_e64 v51, 0, v51, s0
.LBB214_2432:                           ;   in Loop: Header=BB214_1581 Depth=1
	s_wait_xcnt 0x0
	s_or_b32 exec_lo, exec_lo, s8
	flat_load_b32 v16, v[0:1] offset:3200
	v_mov_b64_e32 v[8:9], 0
	v_mov_b64_e32 v[10:11], 0
	s_mov_b32 s8, exec_lo
	s_wait_loadcnt_dscnt 0x0
	v_and_b32_e32 v12, 0xff, v16
	s_wait_xcnt 0x0
	s_delay_alu instid0(VALU_DEP_1)
	v_cmpx_ne_u16_e32 0, v12
	s_cbranch_execz .LBB214_2440
; %bb.2433:                             ;   in Loop: Header=BB214_1581 Depth=1
	v_mov_b64_e32 v[10:11], 0x80000000
	s_mov_b32 s9, exec_lo
	v_cmpx_ne_u16_e32 0x80, v12
	s_cbranch_execz .LBB214_2439
; %bb.2434:                             ;   in Loop: Header=BB214_1581 Depth=1
	v_mov_b64_e32 v[10:11], 0x7f800001
	v_and_b32_e32 v12, 0x7f, v16
	s_mov_b32 s14, exec_lo
	s_delay_alu instid0(VALU_DEP_1)
	v_cmpx_ne_u32_e32 0x7f, v12
	s_cbranch_execz .LBB214_2438
; %bb.2435:                             ;   in Loop: Header=BB214_1581 Depth=1
	v_and_b32_e32 v24, 7, v16
	v_lshrrev_b32_e32 v10, 3, v12
	s_mov_b32 s15, exec_lo
	v_cmpx_gt_u32_e32 8, v12
; %bb.2436:                             ;   in Loop: Header=BB214_1581 Depth=1
	s_delay_alu instid0(VALU_DEP_3) | instskip(NEXT) | instid1(VALU_DEP_1)
	v_clz_i32_u32_e32 v10, v24
	v_min_u32_e32 v10, 32, v10
	s_delay_alu instid0(VALU_DEP_1) | instskip(NEXT) | instid1(VALU_DEP_1)
	v_subrev_nc_u32_e32 v11, 28, v10
	v_lshlrev_b64_e32 v[12:13], v11, v[24:25]
	s_delay_alu instid0(VALU_DEP_1)
	v_dual_sub_nc_u32 v10, 29, v10 :: v_dual_bitop2_b32 v24, 7, v12 bitop3:0x40
; %bb.2437:                             ;   in Loop: Header=BB214_1581 Depth=1
	s_or_b32 exec_lo, exec_lo, s15
	v_lshlrev_b32_e32 v11, 24, v16
	s_delay_alu instid0(VALU_DEP_2) | instskip(NEXT) | instid1(VALU_DEP_3)
	v_lshlrev_b32_e32 v12, 20, v24
	v_lshl_add_u32 v10, v10, 23, 0x3c000000
	s_delay_alu instid0(VALU_DEP_3) | instskip(NEXT) | instid1(VALU_DEP_1)
	v_and_b32_e32 v11, 0x80000000, v11
	v_or3_b32 v24, v12, v11, v10
	s_delay_alu instid0(VALU_DEP_1)
	v_mov_b64_e32 v[10:11], v[24:25]
.LBB214_2438:                           ;   in Loop: Header=BB214_1581 Depth=1
	s_or_b32 exec_lo, exec_lo, s14
.LBB214_2439:                           ;   in Loop: Header=BB214_1581 Depth=1
	s_delay_alu instid0(SALU_CYCLE_1)
	s_or_b32 exec_lo, exec_lo, s9
.LBB214_2440:                           ;   in Loop: Header=BB214_1581 Depth=1
	s_delay_alu instid0(SALU_CYCLE_1) | instskip(SKIP_2) | instid1(VALU_DEP_1)
	s_or_b32 exec_lo, exec_lo, s8
	v_lshrrev_b16 v12, 8, v16
	s_mov_b32 s8, exec_lo
	v_cmpx_ne_u16_e32 0, v12
	s_cbranch_execz .LBB214_2448
; %bb.2441:                             ;   in Loop: Header=BB214_1581 Depth=1
	v_mov_b64_e32 v[8:9], 0x8000000000000000
	s_mov_b32 s9, exec_lo
	v_cmpx_ne_u16_e32 0x80, v12
	s_cbranch_execz .LBB214_2447
; %bb.2442:                             ;   in Loop: Header=BB214_1581 Depth=1
	v_and_b32_e32 v13, 0xffff, v12
	v_mov_b64_e32 v[8:9], 0x7f80000100000000
	s_mov_b32 s14, exec_lo
	s_delay_alu instid0(VALU_DEP_2) | instskip(NEXT) | instid1(VALU_DEP_1)
	v_and_b32_e32 v12, 0x7f, v13
	v_cmpx_ne_u32_e32 0x7f, v12
	s_cbranch_execz .LBB214_2446
; %bb.2443:                             ;   in Loop: Header=BB214_1581 Depth=1
	v_dual_lshrrev_b32 v8, 3, v12 :: v_dual_bitop2_b32 v24, 7, v13 bitop3:0x40
	s_mov_b32 s15, exec_lo
	v_cmpx_gt_u32_e32 8, v12
; %bb.2444:                             ;   in Loop: Header=BB214_1581 Depth=1
	s_delay_alu instid0(VALU_DEP_2) | instskip(NEXT) | instid1(VALU_DEP_1)
	v_clz_i32_u32_e32 v8, v24
	v_min_u32_e32 v8, 32, v8
	s_delay_alu instid0(VALU_DEP_1) | instskip(SKIP_1) | instid1(VALU_DEP_2)
	v_subrev_nc_u32_e32 v9, 28, v8
	v_sub_nc_u32_e32 v8, 29, v8
	v_lshlrev_b64_e32 v[12:13], v9, v[24:25]
	s_delay_alu instid0(VALU_DEP_1)
	v_and_b32_e32 v24, 7, v12
; %bb.2445:                             ;   in Loop: Header=BB214_1581 Depth=1
	s_or_b32 exec_lo, exec_lo, s15
	v_lshlrev_b32_e32 v9, 16, v16
	s_delay_alu instid0(VALU_DEP_2) | instskip(SKIP_1) | instid1(VALU_DEP_3)
	v_lshlrev_b32_e32 v12, 20, v24
	v_lshl_add_u32 v8, v8, 23, 0x3c000000
	v_and_b32_e32 v9, 0x80000000, v9
	s_delay_alu instid0(VALU_DEP_1)
	v_or3_b32 v9, v12, v9, v8
	v_mov_b32_e32 v8, v25
.LBB214_2446:                           ;   in Loop: Header=BB214_1581 Depth=1
	s_or_b32 exec_lo, exec_lo, s14
.LBB214_2447:                           ;   in Loop: Header=BB214_1581 Depth=1
	s_delay_alu instid0(SALU_CYCLE_1)
	s_or_b32 exec_lo, exec_lo, s9
.LBB214_2448:                           ;   in Loop: Header=BB214_1581 Depth=1
	s_delay_alu instid0(SALU_CYCLE_1) | instskip(SKIP_4) | instid1(VALU_DEP_3)
	s_or_b32 exec_lo, exec_lo, s8
	v_lshrrev_b32_e32 v17, 16, v16
	v_mov_b64_e32 v[12:13], 0
	v_mov_b64_e32 v[14:15], 0
	s_mov_b32 s8, exec_lo
	v_and_b32_e32 v18, 0xff, v17
	s_delay_alu instid0(VALU_DEP_1)
	v_cmpx_ne_u16_e32 0, v18
	s_cbranch_execz .LBB214_2456
; %bb.2449:                             ;   in Loop: Header=BB214_1581 Depth=1
	v_mov_b64_e32 v[14:15], 0x80000000
	s_mov_b32 s9, exec_lo
	v_cmpx_ne_u16_e32 0x80, v18
	s_cbranch_execz .LBB214_2455
; %bb.2450:                             ;   in Loop: Header=BB214_1581 Depth=1
	v_mov_b64_e32 v[14:15], 0x7f800001
	v_bfe_u32 v18, v16, 16, 7
	s_mov_b32 s14, exec_lo
	s_delay_alu instid0(VALU_DEP_1)
	v_cmpx_ne_u32_e32 0x7f, v18
	s_cbranch_execz .LBB214_2454
; %bb.2451:                             ;   in Loop: Header=BB214_1581 Depth=1
	v_dual_lshrrev_b32 v14, 3, v18 :: v_dual_bitop2_b32 v24, 7, v17 bitop3:0x40
	s_mov_b32 s15, exec_lo
	v_cmpx_gt_u32_e32 8, v18
; %bb.2452:                             ;   in Loop: Header=BB214_1581 Depth=1
	s_delay_alu instid0(VALU_DEP_2) | instskip(NEXT) | instid1(VALU_DEP_1)
	v_clz_i32_u32_e32 v14, v24
	v_min_u32_e32 v14, 32, v14
	s_delay_alu instid0(VALU_DEP_1) | instskip(SKIP_1) | instid1(VALU_DEP_2)
	v_subrev_nc_u32_e32 v15, 28, v14
	v_sub_nc_u32_e32 v14, 29, v14
	v_lshlrev_b64_e32 v[18:19], v15, v[24:25]
	s_delay_alu instid0(VALU_DEP_1)
	v_and_b32_e32 v24, 7, v18
; %bb.2453:                             ;   in Loop: Header=BB214_1581 Depth=1
	s_or_b32 exec_lo, exec_lo, s15
	s_delay_alu instid0(VALU_DEP_1) | instskip(SKIP_1) | instid1(VALU_DEP_2)
	v_dual_lshlrev_b32 v15, 24, v17 :: v_dual_lshlrev_b32 v17, 20, v24
	v_lshl_add_u32 v14, v14, 23, 0x3c000000
	v_and_b32_e32 v15, 0x80000000, v15
	s_delay_alu instid0(VALU_DEP_1) | instskip(NEXT) | instid1(VALU_DEP_1)
	v_or3_b32 v24, v17, v15, v14
	v_mov_b64_e32 v[14:15], v[24:25]
.LBB214_2454:                           ;   in Loop: Header=BB214_1581 Depth=1
	s_or_b32 exec_lo, exec_lo, s14
.LBB214_2455:                           ;   in Loop: Header=BB214_1581 Depth=1
	s_delay_alu instid0(SALU_CYCLE_1)
	s_or_b32 exec_lo, exec_lo, s9
.LBB214_2456:                           ;   in Loop: Header=BB214_1581 Depth=1
	s_delay_alu instid0(SALU_CYCLE_1) | instskip(NEXT) | instid1(SALU_CYCLE_1)
	s_or_b32 exec_lo, exec_lo, s8
	s_mov_b32 s8, exec_lo
	v_cmpx_lt_u32_e32 0xffffff, v16
	s_cbranch_execz .LBB214_2464
; %bb.2457:                             ;   in Loop: Header=BB214_1581 Depth=1
	v_mov_b64_e32 v[12:13], 0x8000000000000000
	v_lshrrev_b32_e32 v17, 24, v16
	s_mov_b32 s9, exec_lo
	s_delay_alu instid0(VALU_DEP_1)
	v_cmpx_ne_u32_e32 0x80, v17
	s_cbranch_execz .LBB214_2463
; %bb.2458:                             ;   in Loop: Header=BB214_1581 Depth=1
	v_mov_b64_e32 v[12:13], 0x7f80000100000000
	v_bfe_u32 v16, v16, 24, 7
	s_mov_b32 s14, exec_lo
	s_delay_alu instid0(VALU_DEP_1)
	v_cmpx_ne_u32_e32 0x7f, v16
	s_cbranch_execz .LBB214_2462
; %bb.2459:                             ;   in Loop: Header=BB214_1581 Depth=1
	v_dual_lshrrev_b32 v12, 3, v16 :: v_dual_bitop2_b32 v24, 7, v17 bitop3:0x40
	s_mov_b32 s15, exec_lo
	v_cmpx_gt_u32_e32 8, v16
; %bb.2460:                             ;   in Loop: Header=BB214_1581 Depth=1
	s_delay_alu instid0(VALU_DEP_2) | instskip(NEXT) | instid1(VALU_DEP_1)
	v_clz_i32_u32_e32 v12, v24
	v_min_u32_e32 v12, 32, v12
	s_delay_alu instid0(VALU_DEP_1) | instskip(NEXT) | instid1(VALU_DEP_1)
	v_subrev_nc_u32_e32 v13, 28, v12
	v_lshlrev_b64_e32 v[18:19], v13, v[24:25]
	s_delay_alu instid0(VALU_DEP_1)
	v_dual_sub_nc_u32 v12, 29, v12 :: v_dual_bitop2_b32 v24, 7, v18 bitop3:0x40
; %bb.2461:                             ;   in Loop: Header=BB214_1581 Depth=1
	s_or_b32 exec_lo, exec_lo, s15
	s_delay_alu instid0(VALU_DEP_1) | instskip(NEXT) | instid1(VALU_DEP_2)
	v_dual_lshlrev_b32 v13, 24, v17 :: v_dual_lshlrev_b32 v16, 20, v24
	v_lshl_add_u32 v12, v12, 23, 0x3c000000
	s_delay_alu instid0(VALU_DEP_2) | instskip(NEXT) | instid1(VALU_DEP_1)
	v_and_b32_e32 v13, 0x80000000, v13
	v_or3_b32 v13, v16, v13, v12
	v_mov_b32_e32 v12, v25
.LBB214_2462:                           ;   in Loop: Header=BB214_1581 Depth=1
	s_or_b32 exec_lo, exec_lo, s14
.LBB214_2463:                           ;   in Loop: Header=BB214_1581 Depth=1
	s_delay_alu instid0(SALU_CYCLE_1)
	s_or_b32 exec_lo, exec_lo, s9
.LBB214_2464:                           ;   in Loop: Header=BB214_1581 Depth=1
	s_delay_alu instid0(SALU_CYCLE_1) | instskip(SKIP_4) | instid1(VALU_DEP_3)
	s_or_b32 exec_lo, exec_lo, s8
	v_or_b32_e32 v9, v9, v11
	v_or_b32_e32 v8, v8, v10
	;; [unrolled: 1-line block ×4, first 2 shown]
	v_pk_mul_f32 v[64:65], v[114:115], v[8:9]
	s_delay_alu instid0(VALU_DEP_2)
	v_pk_mul_f32 v[54:55], v[114:115], v[10:11]
	s_and_saveexec_b32 s8, vcc_lo
	s_cbranch_execz .LBB214_2466
; %bb.2465:                             ;   in Loop: Header=BB214_1581 Depth=1
	scratch_load_b64 v[8:9], off, s32 offset:200 ; 8-byte Folded Reload
	s_wait_loadcnt 0x0
	v_cmp_lt_i32_e64 s0, v29, v8
	s_delay_alu instid0(VALU_DEP_1) | instskip(SKIP_1) | instid1(VALU_DEP_1)
	v_cndmask_b32_e64 v64, 0, v64, s0
	v_cmp_lt_i32_e64 s0, v30, v8
	v_cndmask_b32_e64 v65, 0, v65, s0
	v_cmp_lt_i32_e64 s0, v32, v8
	s_delay_alu instid0(VALU_DEP_1) | instskip(SKIP_1) | instid1(VALU_DEP_1)
	v_cndmask_b32_e64 v54, 0, v54, s0
	v_cmp_lt_i32_e64 s0, v31, v8
	v_cndmask_b32_e64 v55, 0, v55, s0
.LBB214_2466:                           ;   in Loop: Header=BB214_1581 Depth=1
	s_wait_xcnt 0x0
	s_or_b32 exec_lo, exec_lo, s8
	flat_load_b32 v16, v[0:1] offset:3328
	v_mov_b64_e32 v[8:9], 0
	v_mov_b64_e32 v[10:11], 0
	s_mov_b32 s8, exec_lo
	s_wait_loadcnt_dscnt 0x0
	v_and_b32_e32 v12, 0xff, v16
	s_wait_xcnt 0x0
	s_delay_alu instid0(VALU_DEP_1)
	v_cmpx_ne_u16_e32 0, v12
	s_cbranch_execz .LBB214_2474
; %bb.2467:                             ;   in Loop: Header=BB214_1581 Depth=1
	v_mov_b64_e32 v[10:11], 0x80000000
	s_mov_b32 s9, exec_lo
	v_cmpx_ne_u16_e32 0x80, v12
	s_cbranch_execz .LBB214_2473
; %bb.2468:                             ;   in Loop: Header=BB214_1581 Depth=1
	v_mov_b64_e32 v[10:11], 0x7f800001
	v_and_b32_e32 v12, 0x7f, v16
	s_mov_b32 s14, exec_lo
	s_delay_alu instid0(VALU_DEP_1)
	v_cmpx_ne_u32_e32 0x7f, v12
	s_cbranch_execz .LBB214_2472
; %bb.2469:                             ;   in Loop: Header=BB214_1581 Depth=1
	v_and_b32_e32 v24, 7, v16
	v_lshrrev_b32_e32 v10, 3, v12
	s_mov_b32 s15, exec_lo
	v_cmpx_gt_u32_e32 8, v12
; %bb.2470:                             ;   in Loop: Header=BB214_1581 Depth=1
	s_delay_alu instid0(VALU_DEP_3) | instskip(NEXT) | instid1(VALU_DEP_1)
	v_clz_i32_u32_e32 v10, v24
	v_min_u32_e32 v10, 32, v10
	s_delay_alu instid0(VALU_DEP_1) | instskip(NEXT) | instid1(VALU_DEP_1)
	v_subrev_nc_u32_e32 v11, 28, v10
	v_lshlrev_b64_e32 v[12:13], v11, v[24:25]
	s_delay_alu instid0(VALU_DEP_1)
	v_dual_sub_nc_u32 v10, 29, v10 :: v_dual_bitop2_b32 v24, 7, v12 bitop3:0x40
; %bb.2471:                             ;   in Loop: Header=BB214_1581 Depth=1
	s_or_b32 exec_lo, exec_lo, s15
	v_lshlrev_b32_e32 v11, 24, v16
	s_delay_alu instid0(VALU_DEP_2) | instskip(NEXT) | instid1(VALU_DEP_3)
	v_lshlrev_b32_e32 v12, 20, v24
	v_lshl_add_u32 v10, v10, 23, 0x3c000000
	s_delay_alu instid0(VALU_DEP_3) | instskip(NEXT) | instid1(VALU_DEP_1)
	v_and_b32_e32 v11, 0x80000000, v11
	v_or3_b32 v24, v12, v11, v10
	s_delay_alu instid0(VALU_DEP_1)
	v_mov_b64_e32 v[10:11], v[24:25]
.LBB214_2472:                           ;   in Loop: Header=BB214_1581 Depth=1
	s_or_b32 exec_lo, exec_lo, s14
.LBB214_2473:                           ;   in Loop: Header=BB214_1581 Depth=1
	s_delay_alu instid0(SALU_CYCLE_1)
	s_or_b32 exec_lo, exec_lo, s9
.LBB214_2474:                           ;   in Loop: Header=BB214_1581 Depth=1
	s_delay_alu instid0(SALU_CYCLE_1) | instskip(SKIP_2) | instid1(VALU_DEP_1)
	s_or_b32 exec_lo, exec_lo, s8
	v_lshrrev_b16 v12, 8, v16
	s_mov_b32 s8, exec_lo
	v_cmpx_ne_u16_e32 0, v12
	s_cbranch_execz .LBB214_2482
; %bb.2475:                             ;   in Loop: Header=BB214_1581 Depth=1
	v_mov_b64_e32 v[8:9], 0x8000000000000000
	s_mov_b32 s9, exec_lo
	v_cmpx_ne_u16_e32 0x80, v12
	s_cbranch_execz .LBB214_2481
; %bb.2476:                             ;   in Loop: Header=BB214_1581 Depth=1
	v_and_b32_e32 v13, 0xffff, v12
	v_mov_b64_e32 v[8:9], 0x7f80000100000000
	s_mov_b32 s14, exec_lo
	s_delay_alu instid0(VALU_DEP_2) | instskip(NEXT) | instid1(VALU_DEP_1)
	v_and_b32_e32 v12, 0x7f, v13
	v_cmpx_ne_u32_e32 0x7f, v12
	s_cbranch_execz .LBB214_2480
; %bb.2477:                             ;   in Loop: Header=BB214_1581 Depth=1
	v_dual_lshrrev_b32 v8, 3, v12 :: v_dual_bitop2_b32 v24, 7, v13 bitop3:0x40
	s_mov_b32 s15, exec_lo
	v_cmpx_gt_u32_e32 8, v12
; %bb.2478:                             ;   in Loop: Header=BB214_1581 Depth=1
	s_delay_alu instid0(VALU_DEP_2) | instskip(NEXT) | instid1(VALU_DEP_1)
	v_clz_i32_u32_e32 v8, v24
	v_min_u32_e32 v8, 32, v8
	s_delay_alu instid0(VALU_DEP_1) | instskip(SKIP_1) | instid1(VALU_DEP_2)
	v_subrev_nc_u32_e32 v9, 28, v8
	v_sub_nc_u32_e32 v8, 29, v8
	v_lshlrev_b64_e32 v[12:13], v9, v[24:25]
	s_delay_alu instid0(VALU_DEP_1)
	v_and_b32_e32 v24, 7, v12
; %bb.2479:                             ;   in Loop: Header=BB214_1581 Depth=1
	s_or_b32 exec_lo, exec_lo, s15
	v_lshlrev_b32_e32 v9, 16, v16
	s_delay_alu instid0(VALU_DEP_2) | instskip(SKIP_1) | instid1(VALU_DEP_3)
	v_lshlrev_b32_e32 v12, 20, v24
	v_lshl_add_u32 v8, v8, 23, 0x3c000000
	v_and_b32_e32 v9, 0x80000000, v9
	s_delay_alu instid0(VALU_DEP_1)
	v_or3_b32 v9, v12, v9, v8
	v_mov_b32_e32 v8, v25
.LBB214_2480:                           ;   in Loop: Header=BB214_1581 Depth=1
	s_or_b32 exec_lo, exec_lo, s14
.LBB214_2481:                           ;   in Loop: Header=BB214_1581 Depth=1
	s_delay_alu instid0(SALU_CYCLE_1)
	s_or_b32 exec_lo, exec_lo, s9
.LBB214_2482:                           ;   in Loop: Header=BB214_1581 Depth=1
	s_delay_alu instid0(SALU_CYCLE_1) | instskip(SKIP_4) | instid1(VALU_DEP_3)
	s_or_b32 exec_lo, exec_lo, s8
	v_lshrrev_b32_e32 v17, 16, v16
	v_mov_b64_e32 v[12:13], 0
	v_mov_b64_e32 v[14:15], 0
	s_mov_b32 s8, exec_lo
	v_and_b32_e32 v18, 0xff, v17
	s_delay_alu instid0(VALU_DEP_1)
	v_cmpx_ne_u16_e32 0, v18
	s_cbranch_execz .LBB214_2490
; %bb.2483:                             ;   in Loop: Header=BB214_1581 Depth=1
	v_mov_b64_e32 v[14:15], 0x80000000
	s_mov_b32 s9, exec_lo
	v_cmpx_ne_u16_e32 0x80, v18
	s_cbranch_execz .LBB214_2489
; %bb.2484:                             ;   in Loop: Header=BB214_1581 Depth=1
	v_mov_b64_e32 v[14:15], 0x7f800001
	v_bfe_u32 v18, v16, 16, 7
	s_mov_b32 s14, exec_lo
	s_delay_alu instid0(VALU_DEP_1)
	v_cmpx_ne_u32_e32 0x7f, v18
	s_cbranch_execz .LBB214_2488
; %bb.2485:                             ;   in Loop: Header=BB214_1581 Depth=1
	v_dual_lshrrev_b32 v14, 3, v18 :: v_dual_bitop2_b32 v24, 7, v17 bitop3:0x40
	s_mov_b32 s15, exec_lo
	v_cmpx_gt_u32_e32 8, v18
; %bb.2486:                             ;   in Loop: Header=BB214_1581 Depth=1
	s_delay_alu instid0(VALU_DEP_2) | instskip(NEXT) | instid1(VALU_DEP_1)
	v_clz_i32_u32_e32 v14, v24
	v_min_u32_e32 v14, 32, v14
	s_delay_alu instid0(VALU_DEP_1) | instskip(SKIP_1) | instid1(VALU_DEP_2)
	v_subrev_nc_u32_e32 v15, 28, v14
	v_sub_nc_u32_e32 v14, 29, v14
	v_lshlrev_b64_e32 v[18:19], v15, v[24:25]
	s_delay_alu instid0(VALU_DEP_1)
	v_and_b32_e32 v24, 7, v18
; %bb.2487:                             ;   in Loop: Header=BB214_1581 Depth=1
	s_or_b32 exec_lo, exec_lo, s15
	s_delay_alu instid0(VALU_DEP_1) | instskip(SKIP_1) | instid1(VALU_DEP_2)
	v_dual_lshlrev_b32 v15, 24, v17 :: v_dual_lshlrev_b32 v17, 20, v24
	v_lshl_add_u32 v14, v14, 23, 0x3c000000
	v_and_b32_e32 v15, 0x80000000, v15
	s_delay_alu instid0(VALU_DEP_1) | instskip(NEXT) | instid1(VALU_DEP_1)
	v_or3_b32 v24, v17, v15, v14
	v_mov_b64_e32 v[14:15], v[24:25]
.LBB214_2488:                           ;   in Loop: Header=BB214_1581 Depth=1
	s_or_b32 exec_lo, exec_lo, s14
.LBB214_2489:                           ;   in Loop: Header=BB214_1581 Depth=1
	s_delay_alu instid0(SALU_CYCLE_1)
	s_or_b32 exec_lo, exec_lo, s9
.LBB214_2490:                           ;   in Loop: Header=BB214_1581 Depth=1
	s_delay_alu instid0(SALU_CYCLE_1) | instskip(NEXT) | instid1(SALU_CYCLE_1)
	s_or_b32 exec_lo, exec_lo, s8
	s_mov_b32 s8, exec_lo
	v_cmpx_lt_u32_e32 0xffffff, v16
	s_cbranch_execz .LBB214_2498
; %bb.2491:                             ;   in Loop: Header=BB214_1581 Depth=1
	v_mov_b64_e32 v[12:13], 0x8000000000000000
	v_lshrrev_b32_e32 v17, 24, v16
	s_mov_b32 s9, exec_lo
	s_delay_alu instid0(VALU_DEP_1)
	v_cmpx_ne_u32_e32 0x80, v17
	s_cbranch_execz .LBB214_2497
; %bb.2492:                             ;   in Loop: Header=BB214_1581 Depth=1
	v_mov_b64_e32 v[12:13], 0x7f80000100000000
	v_bfe_u32 v16, v16, 24, 7
	s_mov_b32 s14, exec_lo
	s_delay_alu instid0(VALU_DEP_1)
	v_cmpx_ne_u32_e32 0x7f, v16
	s_cbranch_execz .LBB214_2496
; %bb.2493:                             ;   in Loop: Header=BB214_1581 Depth=1
	v_dual_lshrrev_b32 v12, 3, v16 :: v_dual_bitop2_b32 v24, 7, v17 bitop3:0x40
	s_mov_b32 s15, exec_lo
	v_cmpx_gt_u32_e32 8, v16
; %bb.2494:                             ;   in Loop: Header=BB214_1581 Depth=1
	s_delay_alu instid0(VALU_DEP_2) | instskip(NEXT) | instid1(VALU_DEP_1)
	v_clz_i32_u32_e32 v12, v24
	v_min_u32_e32 v12, 32, v12
	s_delay_alu instid0(VALU_DEP_1) | instskip(NEXT) | instid1(VALU_DEP_1)
	v_subrev_nc_u32_e32 v13, 28, v12
	v_lshlrev_b64_e32 v[18:19], v13, v[24:25]
	s_delay_alu instid0(VALU_DEP_1)
	v_dual_sub_nc_u32 v12, 29, v12 :: v_dual_bitop2_b32 v24, 7, v18 bitop3:0x40
; %bb.2495:                             ;   in Loop: Header=BB214_1581 Depth=1
	s_or_b32 exec_lo, exec_lo, s15
	s_delay_alu instid0(VALU_DEP_1) | instskip(NEXT) | instid1(VALU_DEP_2)
	v_dual_lshlrev_b32 v13, 24, v17 :: v_dual_lshlrev_b32 v16, 20, v24
	v_lshl_add_u32 v12, v12, 23, 0x3c000000
	s_delay_alu instid0(VALU_DEP_2) | instskip(NEXT) | instid1(VALU_DEP_1)
	v_and_b32_e32 v13, 0x80000000, v13
	v_or3_b32 v13, v16, v13, v12
	v_mov_b32_e32 v12, v25
.LBB214_2496:                           ;   in Loop: Header=BB214_1581 Depth=1
	s_or_b32 exec_lo, exec_lo, s14
.LBB214_2497:                           ;   in Loop: Header=BB214_1581 Depth=1
	s_delay_alu instid0(SALU_CYCLE_1)
	s_or_b32 exec_lo, exec_lo, s9
.LBB214_2498:                           ;   in Loop: Header=BB214_1581 Depth=1
	s_delay_alu instid0(SALU_CYCLE_1) | instskip(SKIP_4) | instid1(VALU_DEP_3)
	s_or_b32 exec_lo, exec_lo, s8
	v_or_b32_e32 v9, v9, v11
	v_or_b32_e32 v8, v8, v10
	;; [unrolled: 1-line block ×4, first 2 shown]
	v_pk_mul_f32 v[68:69], v[114:115], v[8:9]
	s_delay_alu instid0(VALU_DEP_2)
	v_pk_mul_f32 v[66:67], v[114:115], v[10:11]
	s_and_saveexec_b32 s8, vcc_lo
	s_cbranch_execz .LBB214_2500
; %bb.2499:                             ;   in Loop: Header=BB214_1581 Depth=1
	scratch_load_b64 v[8:9], off, s32 offset:200 ; 8-byte Folded Reload
	s_wait_loadcnt 0x0
	v_cmp_lt_i32_e64 s0, v29, v8
	s_delay_alu instid0(VALU_DEP_1) | instskip(SKIP_1) | instid1(VALU_DEP_1)
	v_cndmask_b32_e64 v68, 0, v68, s0
	v_cmp_lt_i32_e64 s0, v30, v8
	v_cndmask_b32_e64 v69, 0, v69, s0
	v_cmp_lt_i32_e64 s0, v32, v8
	s_delay_alu instid0(VALU_DEP_1) | instskip(SKIP_1) | instid1(VALU_DEP_1)
	v_cndmask_b32_e64 v66, 0, v66, s0
	v_cmp_lt_i32_e64 s0, v31, v8
	v_cndmask_b32_e64 v67, 0, v67, s0
.LBB214_2500:                           ;   in Loop: Header=BB214_1581 Depth=1
	s_wait_xcnt 0x0
	s_or_b32 exec_lo, exec_lo, s8
	flat_load_b32 v16, v[0:1] offset:3456
	v_mov_b64_e32 v[8:9], 0
	v_mov_b64_e32 v[10:11], 0
	s_mov_b32 s8, exec_lo
	s_wait_loadcnt_dscnt 0x0
	v_and_b32_e32 v12, 0xff, v16
	s_wait_xcnt 0x0
	s_delay_alu instid0(VALU_DEP_1)
	v_cmpx_ne_u16_e32 0, v12
	s_cbranch_execz .LBB214_2508
; %bb.2501:                             ;   in Loop: Header=BB214_1581 Depth=1
	v_mov_b64_e32 v[10:11], 0x80000000
	s_mov_b32 s9, exec_lo
	v_cmpx_ne_u16_e32 0x80, v12
	s_cbranch_execz .LBB214_2507
; %bb.2502:                             ;   in Loop: Header=BB214_1581 Depth=1
	v_mov_b64_e32 v[10:11], 0x7f800001
	v_and_b32_e32 v12, 0x7f, v16
	s_mov_b32 s14, exec_lo
	s_delay_alu instid0(VALU_DEP_1)
	v_cmpx_ne_u32_e32 0x7f, v12
	s_cbranch_execz .LBB214_2506
; %bb.2503:                             ;   in Loop: Header=BB214_1581 Depth=1
	v_and_b32_e32 v24, 7, v16
	v_lshrrev_b32_e32 v10, 3, v12
	s_mov_b32 s15, exec_lo
	v_cmpx_gt_u32_e32 8, v12
; %bb.2504:                             ;   in Loop: Header=BB214_1581 Depth=1
	s_delay_alu instid0(VALU_DEP_3) | instskip(NEXT) | instid1(VALU_DEP_1)
	v_clz_i32_u32_e32 v10, v24
	v_min_u32_e32 v10, 32, v10
	s_delay_alu instid0(VALU_DEP_1) | instskip(NEXT) | instid1(VALU_DEP_1)
	v_subrev_nc_u32_e32 v11, 28, v10
	v_lshlrev_b64_e32 v[12:13], v11, v[24:25]
	s_delay_alu instid0(VALU_DEP_1)
	v_dual_sub_nc_u32 v10, 29, v10 :: v_dual_bitop2_b32 v24, 7, v12 bitop3:0x40
; %bb.2505:                             ;   in Loop: Header=BB214_1581 Depth=1
	s_or_b32 exec_lo, exec_lo, s15
	v_lshlrev_b32_e32 v11, 24, v16
	s_delay_alu instid0(VALU_DEP_2) | instskip(NEXT) | instid1(VALU_DEP_3)
	v_lshlrev_b32_e32 v12, 20, v24
	v_lshl_add_u32 v10, v10, 23, 0x3c000000
	s_delay_alu instid0(VALU_DEP_3) | instskip(NEXT) | instid1(VALU_DEP_1)
	v_and_b32_e32 v11, 0x80000000, v11
	v_or3_b32 v24, v12, v11, v10
	s_delay_alu instid0(VALU_DEP_1)
	v_mov_b64_e32 v[10:11], v[24:25]
.LBB214_2506:                           ;   in Loop: Header=BB214_1581 Depth=1
	s_or_b32 exec_lo, exec_lo, s14
.LBB214_2507:                           ;   in Loop: Header=BB214_1581 Depth=1
	s_delay_alu instid0(SALU_CYCLE_1)
	s_or_b32 exec_lo, exec_lo, s9
.LBB214_2508:                           ;   in Loop: Header=BB214_1581 Depth=1
	s_delay_alu instid0(SALU_CYCLE_1) | instskip(SKIP_2) | instid1(VALU_DEP_1)
	s_or_b32 exec_lo, exec_lo, s8
	v_lshrrev_b16 v12, 8, v16
	s_mov_b32 s8, exec_lo
	v_cmpx_ne_u16_e32 0, v12
	s_cbranch_execz .LBB214_2516
; %bb.2509:                             ;   in Loop: Header=BB214_1581 Depth=1
	v_mov_b64_e32 v[8:9], 0x8000000000000000
	s_mov_b32 s9, exec_lo
	v_cmpx_ne_u16_e32 0x80, v12
	s_cbranch_execz .LBB214_2515
; %bb.2510:                             ;   in Loop: Header=BB214_1581 Depth=1
	v_and_b32_e32 v13, 0xffff, v12
	v_mov_b64_e32 v[8:9], 0x7f80000100000000
	s_mov_b32 s14, exec_lo
	s_delay_alu instid0(VALU_DEP_2) | instskip(NEXT) | instid1(VALU_DEP_1)
	v_and_b32_e32 v12, 0x7f, v13
	v_cmpx_ne_u32_e32 0x7f, v12
	s_cbranch_execz .LBB214_2514
; %bb.2511:                             ;   in Loop: Header=BB214_1581 Depth=1
	v_dual_lshrrev_b32 v8, 3, v12 :: v_dual_bitop2_b32 v24, 7, v13 bitop3:0x40
	s_mov_b32 s15, exec_lo
	v_cmpx_gt_u32_e32 8, v12
; %bb.2512:                             ;   in Loop: Header=BB214_1581 Depth=1
	s_delay_alu instid0(VALU_DEP_2) | instskip(NEXT) | instid1(VALU_DEP_1)
	v_clz_i32_u32_e32 v8, v24
	v_min_u32_e32 v8, 32, v8
	s_delay_alu instid0(VALU_DEP_1) | instskip(SKIP_1) | instid1(VALU_DEP_2)
	v_subrev_nc_u32_e32 v9, 28, v8
	v_sub_nc_u32_e32 v8, 29, v8
	v_lshlrev_b64_e32 v[12:13], v9, v[24:25]
	s_delay_alu instid0(VALU_DEP_1)
	v_and_b32_e32 v24, 7, v12
; %bb.2513:                             ;   in Loop: Header=BB214_1581 Depth=1
	s_or_b32 exec_lo, exec_lo, s15
	v_lshlrev_b32_e32 v9, 16, v16
	s_delay_alu instid0(VALU_DEP_2) | instskip(SKIP_1) | instid1(VALU_DEP_3)
	v_lshlrev_b32_e32 v12, 20, v24
	v_lshl_add_u32 v8, v8, 23, 0x3c000000
	v_and_b32_e32 v9, 0x80000000, v9
	s_delay_alu instid0(VALU_DEP_1)
	v_or3_b32 v9, v12, v9, v8
	v_mov_b32_e32 v8, v25
.LBB214_2514:                           ;   in Loop: Header=BB214_1581 Depth=1
	s_or_b32 exec_lo, exec_lo, s14
.LBB214_2515:                           ;   in Loop: Header=BB214_1581 Depth=1
	s_delay_alu instid0(SALU_CYCLE_1)
	s_or_b32 exec_lo, exec_lo, s9
.LBB214_2516:                           ;   in Loop: Header=BB214_1581 Depth=1
	s_delay_alu instid0(SALU_CYCLE_1) | instskip(SKIP_4) | instid1(VALU_DEP_3)
	s_or_b32 exec_lo, exec_lo, s8
	v_lshrrev_b32_e32 v17, 16, v16
	v_mov_b64_e32 v[12:13], 0
	v_mov_b64_e32 v[14:15], 0
	s_mov_b32 s8, exec_lo
	v_and_b32_e32 v18, 0xff, v17
	s_delay_alu instid0(VALU_DEP_1)
	v_cmpx_ne_u16_e32 0, v18
	s_cbranch_execz .LBB214_2524
; %bb.2517:                             ;   in Loop: Header=BB214_1581 Depth=1
	v_mov_b64_e32 v[14:15], 0x80000000
	s_mov_b32 s9, exec_lo
	v_cmpx_ne_u16_e32 0x80, v18
	s_cbranch_execz .LBB214_2523
; %bb.2518:                             ;   in Loop: Header=BB214_1581 Depth=1
	v_mov_b64_e32 v[14:15], 0x7f800001
	v_bfe_u32 v18, v16, 16, 7
	s_mov_b32 s14, exec_lo
	s_delay_alu instid0(VALU_DEP_1)
	v_cmpx_ne_u32_e32 0x7f, v18
	s_cbranch_execz .LBB214_2522
; %bb.2519:                             ;   in Loop: Header=BB214_1581 Depth=1
	v_dual_lshrrev_b32 v14, 3, v18 :: v_dual_bitop2_b32 v24, 7, v17 bitop3:0x40
	s_mov_b32 s15, exec_lo
	v_cmpx_gt_u32_e32 8, v18
; %bb.2520:                             ;   in Loop: Header=BB214_1581 Depth=1
	s_delay_alu instid0(VALU_DEP_2) | instskip(NEXT) | instid1(VALU_DEP_1)
	v_clz_i32_u32_e32 v14, v24
	v_min_u32_e32 v14, 32, v14
	s_delay_alu instid0(VALU_DEP_1) | instskip(SKIP_1) | instid1(VALU_DEP_2)
	v_subrev_nc_u32_e32 v15, 28, v14
	v_sub_nc_u32_e32 v14, 29, v14
	v_lshlrev_b64_e32 v[18:19], v15, v[24:25]
	s_delay_alu instid0(VALU_DEP_1)
	v_and_b32_e32 v24, 7, v18
; %bb.2521:                             ;   in Loop: Header=BB214_1581 Depth=1
	s_or_b32 exec_lo, exec_lo, s15
	s_delay_alu instid0(VALU_DEP_1) | instskip(SKIP_1) | instid1(VALU_DEP_2)
	v_dual_lshlrev_b32 v15, 24, v17 :: v_dual_lshlrev_b32 v17, 20, v24
	v_lshl_add_u32 v14, v14, 23, 0x3c000000
	v_and_b32_e32 v15, 0x80000000, v15
	s_delay_alu instid0(VALU_DEP_1) | instskip(NEXT) | instid1(VALU_DEP_1)
	v_or3_b32 v24, v17, v15, v14
	v_mov_b64_e32 v[14:15], v[24:25]
.LBB214_2522:                           ;   in Loop: Header=BB214_1581 Depth=1
	s_or_b32 exec_lo, exec_lo, s14
.LBB214_2523:                           ;   in Loop: Header=BB214_1581 Depth=1
	s_delay_alu instid0(SALU_CYCLE_1)
	s_or_b32 exec_lo, exec_lo, s9
.LBB214_2524:                           ;   in Loop: Header=BB214_1581 Depth=1
	s_delay_alu instid0(SALU_CYCLE_1) | instskip(NEXT) | instid1(SALU_CYCLE_1)
	s_or_b32 exec_lo, exec_lo, s8
	s_mov_b32 s8, exec_lo
	v_cmpx_lt_u32_e32 0xffffff, v16
	s_cbranch_execz .LBB214_2532
; %bb.2525:                             ;   in Loop: Header=BB214_1581 Depth=1
	v_mov_b64_e32 v[12:13], 0x8000000000000000
	v_lshrrev_b32_e32 v17, 24, v16
	s_mov_b32 s9, exec_lo
	s_delay_alu instid0(VALU_DEP_1)
	v_cmpx_ne_u32_e32 0x80, v17
	s_cbranch_execz .LBB214_2531
; %bb.2526:                             ;   in Loop: Header=BB214_1581 Depth=1
	v_mov_b64_e32 v[12:13], 0x7f80000100000000
	v_bfe_u32 v16, v16, 24, 7
	s_mov_b32 s14, exec_lo
	s_delay_alu instid0(VALU_DEP_1)
	v_cmpx_ne_u32_e32 0x7f, v16
	s_cbranch_execz .LBB214_2530
; %bb.2527:                             ;   in Loop: Header=BB214_1581 Depth=1
	v_dual_lshrrev_b32 v12, 3, v16 :: v_dual_bitop2_b32 v24, 7, v17 bitop3:0x40
	s_mov_b32 s15, exec_lo
	v_cmpx_gt_u32_e32 8, v16
; %bb.2528:                             ;   in Loop: Header=BB214_1581 Depth=1
	s_delay_alu instid0(VALU_DEP_2) | instskip(NEXT) | instid1(VALU_DEP_1)
	v_clz_i32_u32_e32 v12, v24
	v_min_u32_e32 v12, 32, v12
	s_delay_alu instid0(VALU_DEP_1) | instskip(NEXT) | instid1(VALU_DEP_1)
	v_subrev_nc_u32_e32 v13, 28, v12
	v_lshlrev_b64_e32 v[18:19], v13, v[24:25]
	s_delay_alu instid0(VALU_DEP_1)
	v_dual_sub_nc_u32 v12, 29, v12 :: v_dual_bitop2_b32 v24, 7, v18 bitop3:0x40
; %bb.2529:                             ;   in Loop: Header=BB214_1581 Depth=1
	s_or_b32 exec_lo, exec_lo, s15
	s_delay_alu instid0(VALU_DEP_1) | instskip(NEXT) | instid1(VALU_DEP_2)
	v_dual_lshlrev_b32 v13, 24, v17 :: v_dual_lshlrev_b32 v16, 20, v24
	v_lshl_add_u32 v12, v12, 23, 0x3c000000
	s_delay_alu instid0(VALU_DEP_2) | instskip(NEXT) | instid1(VALU_DEP_1)
	v_and_b32_e32 v13, 0x80000000, v13
	v_or3_b32 v13, v16, v13, v12
	v_mov_b32_e32 v12, v25
.LBB214_2530:                           ;   in Loop: Header=BB214_1581 Depth=1
	s_or_b32 exec_lo, exec_lo, s14
.LBB214_2531:                           ;   in Loop: Header=BB214_1581 Depth=1
	s_delay_alu instid0(SALU_CYCLE_1)
	s_or_b32 exec_lo, exec_lo, s9
.LBB214_2532:                           ;   in Loop: Header=BB214_1581 Depth=1
	s_delay_alu instid0(SALU_CYCLE_1) | instskip(SKIP_4) | instid1(VALU_DEP_3)
	s_or_b32 exec_lo, exec_lo, s8
	v_or_b32_e32 v9, v9, v11
	v_or_b32_e32 v8, v8, v10
	;; [unrolled: 1-line block ×4, first 2 shown]
	v_pk_mul_f32 v[18:19], v[114:115], v[8:9]
	s_delay_alu instid0(VALU_DEP_2)
	v_pk_mul_f32 v[70:71], v[114:115], v[10:11]
	s_and_saveexec_b32 s8, vcc_lo
	s_cbranch_execz .LBB214_2534
; %bb.2533:                             ;   in Loop: Header=BB214_1581 Depth=1
	scratch_load_b64 v[8:9], off, s32 offset:200 ; 8-byte Folded Reload
	s_wait_loadcnt 0x0
	v_cmp_lt_i32_e64 s0, v29, v8
	s_delay_alu instid0(VALU_DEP_1) | instskip(SKIP_1) | instid1(VALU_DEP_1)
	v_cndmask_b32_e64 v18, 0, v18, s0
	v_cmp_lt_i32_e64 s0, v30, v8
	v_cndmask_b32_e64 v19, 0, v19, s0
	v_cmp_lt_i32_e64 s0, v32, v8
	s_delay_alu instid0(VALU_DEP_1) | instskip(SKIP_1) | instid1(VALU_DEP_1)
	v_cndmask_b32_e64 v70, 0, v70, s0
	v_cmp_lt_i32_e64 s0, v31, v8
	v_cndmask_b32_e64 v71, 0, v71, s0
.LBB214_2534:                           ;   in Loop: Header=BB214_1581 Depth=1
	s_wait_xcnt 0x0
	s_or_b32 exec_lo, exec_lo, s8
	flat_load_b32 v16, v[0:1] offset:3584
	v_mov_b64_e32 v[8:9], 0
	v_mov_b64_e32 v[10:11], 0
	s_mov_b32 s8, exec_lo
	s_wait_loadcnt_dscnt 0x0
	v_and_b32_e32 v12, 0xff, v16
	s_wait_xcnt 0x0
	s_delay_alu instid0(VALU_DEP_1)
	v_cmpx_ne_u16_e32 0, v12
	s_cbranch_execz .LBB214_2542
; %bb.2535:                             ;   in Loop: Header=BB214_1581 Depth=1
	v_mov_b64_e32 v[10:11], 0x80000000
	s_mov_b32 s9, exec_lo
	v_cmpx_ne_u16_e32 0x80, v12
	s_cbranch_execz .LBB214_2541
; %bb.2536:                             ;   in Loop: Header=BB214_1581 Depth=1
	v_mov_b64_e32 v[10:11], 0x7f800001
	v_and_b32_e32 v12, 0x7f, v16
	s_mov_b32 s14, exec_lo
	s_delay_alu instid0(VALU_DEP_1)
	v_cmpx_ne_u32_e32 0x7f, v12
	s_cbranch_execz .LBB214_2540
; %bb.2537:                             ;   in Loop: Header=BB214_1581 Depth=1
	v_and_b32_e32 v24, 7, v16
	v_lshrrev_b32_e32 v10, 3, v12
	s_mov_b32 s15, exec_lo
	v_cmpx_gt_u32_e32 8, v12
; %bb.2538:                             ;   in Loop: Header=BB214_1581 Depth=1
	s_delay_alu instid0(VALU_DEP_3) | instskip(NEXT) | instid1(VALU_DEP_1)
	v_clz_i32_u32_e32 v10, v24
	v_min_u32_e32 v10, 32, v10
	s_delay_alu instid0(VALU_DEP_1) | instskip(NEXT) | instid1(VALU_DEP_1)
	v_subrev_nc_u32_e32 v11, 28, v10
	v_lshlrev_b64_e32 v[12:13], v11, v[24:25]
	s_delay_alu instid0(VALU_DEP_1)
	v_dual_sub_nc_u32 v10, 29, v10 :: v_dual_bitop2_b32 v24, 7, v12 bitop3:0x40
; %bb.2539:                             ;   in Loop: Header=BB214_1581 Depth=1
	s_or_b32 exec_lo, exec_lo, s15
	v_lshlrev_b32_e32 v11, 24, v16
	s_delay_alu instid0(VALU_DEP_2) | instskip(NEXT) | instid1(VALU_DEP_3)
	v_lshlrev_b32_e32 v12, 20, v24
	v_lshl_add_u32 v10, v10, 23, 0x3c000000
	s_delay_alu instid0(VALU_DEP_3) | instskip(NEXT) | instid1(VALU_DEP_1)
	v_and_b32_e32 v11, 0x80000000, v11
	v_or3_b32 v24, v12, v11, v10
	s_delay_alu instid0(VALU_DEP_1)
	v_mov_b64_e32 v[10:11], v[24:25]
.LBB214_2540:                           ;   in Loop: Header=BB214_1581 Depth=1
	s_or_b32 exec_lo, exec_lo, s14
.LBB214_2541:                           ;   in Loop: Header=BB214_1581 Depth=1
	s_delay_alu instid0(SALU_CYCLE_1)
	s_or_b32 exec_lo, exec_lo, s9
.LBB214_2542:                           ;   in Loop: Header=BB214_1581 Depth=1
	s_delay_alu instid0(SALU_CYCLE_1) | instskip(SKIP_2) | instid1(VALU_DEP_1)
	s_or_b32 exec_lo, exec_lo, s8
	v_lshrrev_b16 v12, 8, v16
	s_mov_b32 s8, exec_lo
	v_cmpx_ne_u16_e32 0, v12
	s_cbranch_execz .LBB214_2550
; %bb.2543:                             ;   in Loop: Header=BB214_1581 Depth=1
	v_mov_b64_e32 v[8:9], 0x8000000000000000
	s_mov_b32 s9, exec_lo
	v_cmpx_ne_u16_e32 0x80, v12
	s_cbranch_execz .LBB214_2549
; %bb.2544:                             ;   in Loop: Header=BB214_1581 Depth=1
	v_and_b32_e32 v13, 0xffff, v12
	v_mov_b64_e32 v[8:9], 0x7f80000100000000
	s_mov_b32 s14, exec_lo
	s_delay_alu instid0(VALU_DEP_2) | instskip(NEXT) | instid1(VALU_DEP_1)
	v_and_b32_e32 v12, 0x7f, v13
	v_cmpx_ne_u32_e32 0x7f, v12
	s_cbranch_execz .LBB214_2548
; %bb.2545:                             ;   in Loop: Header=BB214_1581 Depth=1
	v_dual_lshrrev_b32 v8, 3, v12 :: v_dual_bitop2_b32 v24, 7, v13 bitop3:0x40
	s_mov_b32 s15, exec_lo
	v_cmpx_gt_u32_e32 8, v12
; %bb.2546:                             ;   in Loop: Header=BB214_1581 Depth=1
	s_delay_alu instid0(VALU_DEP_2) | instskip(NEXT) | instid1(VALU_DEP_1)
	v_clz_i32_u32_e32 v8, v24
	v_min_u32_e32 v8, 32, v8
	s_delay_alu instid0(VALU_DEP_1) | instskip(SKIP_1) | instid1(VALU_DEP_2)
	v_subrev_nc_u32_e32 v9, 28, v8
	v_sub_nc_u32_e32 v8, 29, v8
	v_lshlrev_b64_e32 v[12:13], v9, v[24:25]
	s_delay_alu instid0(VALU_DEP_1)
	v_and_b32_e32 v24, 7, v12
; %bb.2547:                             ;   in Loop: Header=BB214_1581 Depth=1
	s_or_b32 exec_lo, exec_lo, s15
	v_lshlrev_b32_e32 v9, 16, v16
	s_delay_alu instid0(VALU_DEP_2) | instskip(SKIP_1) | instid1(VALU_DEP_3)
	v_lshlrev_b32_e32 v12, 20, v24
	v_lshl_add_u32 v8, v8, 23, 0x3c000000
	v_and_b32_e32 v9, 0x80000000, v9
	s_delay_alu instid0(VALU_DEP_1)
	v_or3_b32 v9, v12, v9, v8
	v_mov_b32_e32 v8, v25
.LBB214_2548:                           ;   in Loop: Header=BB214_1581 Depth=1
	s_or_b32 exec_lo, exec_lo, s14
.LBB214_2549:                           ;   in Loop: Header=BB214_1581 Depth=1
	s_delay_alu instid0(SALU_CYCLE_1)
	s_or_b32 exec_lo, exec_lo, s9
.LBB214_2550:                           ;   in Loop: Header=BB214_1581 Depth=1
	s_delay_alu instid0(SALU_CYCLE_1) | instskip(SKIP_4) | instid1(VALU_DEP_3)
	s_or_b32 exec_lo, exec_lo, s8
	v_lshrrev_b32_e32 v17, 16, v16
	v_mov_b64_e32 v[12:13], 0
	v_mov_b64_e32 v[14:15], 0
	s_mov_b32 s8, exec_lo
	v_and_b32_e32 v20, 0xff, v17
	s_delay_alu instid0(VALU_DEP_1)
	v_cmpx_ne_u16_e32 0, v20
	s_cbranch_execz .LBB214_2558
; %bb.2551:                             ;   in Loop: Header=BB214_1581 Depth=1
	v_mov_b64_e32 v[14:15], 0x80000000
	s_mov_b32 s9, exec_lo
	v_cmpx_ne_u16_e32 0x80, v20
	s_cbranch_execz .LBB214_2557
; %bb.2552:                             ;   in Loop: Header=BB214_1581 Depth=1
	v_mov_b64_e32 v[14:15], 0x7f800001
	v_bfe_u32 v20, v16, 16, 7
	s_mov_b32 s14, exec_lo
	s_delay_alu instid0(VALU_DEP_1)
	v_cmpx_ne_u32_e32 0x7f, v20
	s_cbranch_execz .LBB214_2556
; %bb.2553:                             ;   in Loop: Header=BB214_1581 Depth=1
	v_dual_lshrrev_b32 v14, 3, v20 :: v_dual_bitop2_b32 v24, 7, v17 bitop3:0x40
	s_mov_b32 s15, exec_lo
	v_cmpx_gt_u32_e32 8, v20
; %bb.2554:                             ;   in Loop: Header=BB214_1581 Depth=1
	s_delay_alu instid0(VALU_DEP_2) | instskip(NEXT) | instid1(VALU_DEP_1)
	v_clz_i32_u32_e32 v14, v24
	v_min_u32_e32 v14, 32, v14
	s_delay_alu instid0(VALU_DEP_1) | instskip(NEXT) | instid1(VALU_DEP_1)
	v_subrev_nc_u32_e32 v15, 28, v14
	v_lshlrev_b64_e32 v[20:21], v15, v[24:25]
	s_delay_alu instid0(VALU_DEP_1)
	v_dual_sub_nc_u32 v14, 29, v14 :: v_dual_bitop2_b32 v24, 7, v20 bitop3:0x40
; %bb.2555:                             ;   in Loop: Header=BB214_1581 Depth=1
	s_or_b32 exec_lo, exec_lo, s15
	s_delay_alu instid0(VALU_DEP_1) | instskip(NEXT) | instid1(VALU_DEP_2)
	v_dual_lshlrev_b32 v15, 24, v17 :: v_dual_lshlrev_b32 v17, 20, v24
	v_lshl_add_u32 v14, v14, 23, 0x3c000000
	s_delay_alu instid0(VALU_DEP_2) | instskip(NEXT) | instid1(VALU_DEP_1)
	v_and_b32_e32 v15, 0x80000000, v15
	v_or3_b32 v24, v17, v15, v14
	s_delay_alu instid0(VALU_DEP_1)
	v_mov_b64_e32 v[14:15], v[24:25]
.LBB214_2556:                           ;   in Loop: Header=BB214_1581 Depth=1
	s_or_b32 exec_lo, exec_lo, s14
.LBB214_2557:                           ;   in Loop: Header=BB214_1581 Depth=1
	s_delay_alu instid0(SALU_CYCLE_1)
	s_or_b32 exec_lo, exec_lo, s9
.LBB214_2558:                           ;   in Loop: Header=BB214_1581 Depth=1
	s_delay_alu instid0(SALU_CYCLE_1) | instskip(NEXT) | instid1(SALU_CYCLE_1)
	s_or_b32 exec_lo, exec_lo, s8
	s_mov_b32 s8, exec_lo
	v_cmpx_lt_u32_e32 0xffffff, v16
	s_cbranch_execz .LBB214_2566
; %bb.2559:                             ;   in Loop: Header=BB214_1581 Depth=1
	v_mov_b64_e32 v[12:13], 0x8000000000000000
	v_lshrrev_b32_e32 v17, 24, v16
	s_mov_b32 s9, exec_lo
	s_delay_alu instid0(VALU_DEP_1)
	v_cmpx_ne_u32_e32 0x80, v17
	s_cbranch_execz .LBB214_2565
; %bb.2560:                             ;   in Loop: Header=BB214_1581 Depth=1
	v_mov_b64_e32 v[12:13], 0x7f80000100000000
	v_bfe_u32 v16, v16, 24, 7
	s_mov_b32 s14, exec_lo
	s_delay_alu instid0(VALU_DEP_1)
	v_cmpx_ne_u32_e32 0x7f, v16
	s_cbranch_execz .LBB214_2564
; %bb.2561:                             ;   in Loop: Header=BB214_1581 Depth=1
	v_dual_lshrrev_b32 v12, 3, v16 :: v_dual_bitop2_b32 v24, 7, v17 bitop3:0x40
	s_mov_b32 s15, exec_lo
	v_cmpx_gt_u32_e32 8, v16
; %bb.2562:                             ;   in Loop: Header=BB214_1581 Depth=1
	s_delay_alu instid0(VALU_DEP_2) | instskip(NEXT) | instid1(VALU_DEP_1)
	v_clz_i32_u32_e32 v12, v24
	v_min_u32_e32 v12, 32, v12
	s_delay_alu instid0(VALU_DEP_1) | instskip(SKIP_1) | instid1(VALU_DEP_2)
	v_subrev_nc_u32_e32 v13, 28, v12
	v_sub_nc_u32_e32 v12, 29, v12
	v_lshlrev_b64_e32 v[20:21], v13, v[24:25]
	s_delay_alu instid0(VALU_DEP_1)
	v_and_b32_e32 v24, 7, v20
; %bb.2563:                             ;   in Loop: Header=BB214_1581 Depth=1
	s_or_b32 exec_lo, exec_lo, s15
	s_delay_alu instid0(VALU_DEP_1) | instskip(SKIP_1) | instid1(VALU_DEP_2)
	v_dual_lshlrev_b32 v13, 24, v17 :: v_dual_lshlrev_b32 v16, 20, v24
	v_lshl_add_u32 v12, v12, 23, 0x3c000000
	v_and_b32_e32 v13, 0x80000000, v13
	s_delay_alu instid0(VALU_DEP_1)
	v_or3_b32 v13, v16, v13, v12
	v_mov_b32_e32 v12, v25
.LBB214_2564:                           ;   in Loop: Header=BB214_1581 Depth=1
	s_or_b32 exec_lo, exec_lo, s14
.LBB214_2565:                           ;   in Loop: Header=BB214_1581 Depth=1
	s_delay_alu instid0(SALU_CYCLE_1)
	s_or_b32 exec_lo, exec_lo, s9
.LBB214_2566:                           ;   in Loop: Header=BB214_1581 Depth=1
	s_delay_alu instid0(SALU_CYCLE_1) | instskip(SKIP_4) | instid1(VALU_DEP_3)
	s_or_b32 exec_lo, exec_lo, s8
	v_or_b32_e32 v9, v9, v11
	v_or_b32_e32 v8, v8, v10
	;; [unrolled: 1-line block ×4, first 2 shown]
	v_pk_mul_f32 v[112:113], v[114:115], v[8:9]
	s_delay_alu instid0(VALU_DEP_2)
	v_pk_mul_f32 v[102:103], v[114:115], v[10:11]
	s_and_saveexec_b32 s8, vcc_lo
	s_cbranch_execz .LBB214_2568
; %bb.2567:                             ;   in Loop: Header=BB214_1581 Depth=1
	scratch_load_b64 v[8:9], off, s32 offset:200 ; 8-byte Folded Reload
	s_wait_loadcnt 0x0
	v_cmp_lt_i32_e64 s0, v29, v8
	s_delay_alu instid0(VALU_DEP_1) | instskip(SKIP_1) | instid1(VALU_DEP_1)
	v_cndmask_b32_e64 v112, 0, v112, s0
	v_cmp_lt_i32_e64 s0, v30, v8
	v_cndmask_b32_e64 v113, 0, v113, s0
	v_cmp_lt_i32_e64 s0, v32, v8
	s_delay_alu instid0(VALU_DEP_1) | instskip(SKIP_1) | instid1(VALU_DEP_1)
	v_cndmask_b32_e64 v102, 0, v102, s0
	v_cmp_lt_i32_e64 s0, v31, v8
	v_cndmask_b32_e64 v103, 0, v103, s0
.LBB214_2568:                           ;   in Loop: Header=BB214_1581 Depth=1
	s_wait_xcnt 0x0
	s_or_b32 exec_lo, exec_lo, s8
	flat_load_b32 v16, v[0:1] offset:3712
	v_mov_b64_e32 v[8:9], 0
	v_mov_b64_e32 v[10:11], 0
	s_mov_b32 s8, exec_lo
	s_wait_loadcnt_dscnt 0x0
	v_and_b32_e32 v12, 0xff, v16
	s_wait_xcnt 0x0
	s_delay_alu instid0(VALU_DEP_1)
	v_cmpx_ne_u16_e32 0, v12
	s_cbranch_execz .LBB214_2576
; %bb.2569:                             ;   in Loop: Header=BB214_1581 Depth=1
	v_mov_b64_e32 v[10:11], 0x80000000
	s_mov_b32 s9, exec_lo
	v_cmpx_ne_u16_e32 0x80, v12
	s_cbranch_execz .LBB214_2575
; %bb.2570:                             ;   in Loop: Header=BB214_1581 Depth=1
	v_mov_b64_e32 v[10:11], 0x7f800001
	v_and_b32_e32 v12, 0x7f, v16
	s_mov_b32 s14, exec_lo
	s_delay_alu instid0(VALU_DEP_1)
	v_cmpx_ne_u32_e32 0x7f, v12
	s_cbranch_execz .LBB214_2574
; %bb.2571:                             ;   in Loop: Header=BB214_1581 Depth=1
	v_and_b32_e32 v24, 7, v16
	v_lshrrev_b32_e32 v10, 3, v12
	s_mov_b32 s15, exec_lo
	v_cmpx_gt_u32_e32 8, v12
; %bb.2572:                             ;   in Loop: Header=BB214_1581 Depth=1
	s_delay_alu instid0(VALU_DEP_3) | instskip(NEXT) | instid1(VALU_DEP_1)
	v_clz_i32_u32_e32 v10, v24
	v_min_u32_e32 v10, 32, v10
	s_delay_alu instid0(VALU_DEP_1) | instskip(NEXT) | instid1(VALU_DEP_1)
	v_subrev_nc_u32_e32 v11, 28, v10
	v_lshlrev_b64_e32 v[12:13], v11, v[24:25]
	s_delay_alu instid0(VALU_DEP_1)
	v_dual_sub_nc_u32 v10, 29, v10 :: v_dual_bitop2_b32 v24, 7, v12 bitop3:0x40
; %bb.2573:                             ;   in Loop: Header=BB214_1581 Depth=1
	s_or_b32 exec_lo, exec_lo, s15
	v_lshlrev_b32_e32 v11, 24, v16
	s_delay_alu instid0(VALU_DEP_2) | instskip(NEXT) | instid1(VALU_DEP_3)
	v_lshlrev_b32_e32 v12, 20, v24
	v_lshl_add_u32 v10, v10, 23, 0x3c000000
	s_delay_alu instid0(VALU_DEP_3) | instskip(NEXT) | instid1(VALU_DEP_1)
	v_and_b32_e32 v11, 0x80000000, v11
	v_or3_b32 v24, v12, v11, v10
	s_delay_alu instid0(VALU_DEP_1)
	v_mov_b64_e32 v[10:11], v[24:25]
.LBB214_2574:                           ;   in Loop: Header=BB214_1581 Depth=1
	s_or_b32 exec_lo, exec_lo, s14
.LBB214_2575:                           ;   in Loop: Header=BB214_1581 Depth=1
	s_delay_alu instid0(SALU_CYCLE_1)
	s_or_b32 exec_lo, exec_lo, s9
.LBB214_2576:                           ;   in Loop: Header=BB214_1581 Depth=1
	s_delay_alu instid0(SALU_CYCLE_1) | instskip(SKIP_2) | instid1(VALU_DEP_1)
	s_or_b32 exec_lo, exec_lo, s8
	v_lshrrev_b16 v12, 8, v16
	s_mov_b32 s8, exec_lo
	v_cmpx_ne_u16_e32 0, v12
	s_cbranch_execz .LBB214_2584
; %bb.2577:                             ;   in Loop: Header=BB214_1581 Depth=1
	v_mov_b64_e32 v[8:9], 0x8000000000000000
	s_mov_b32 s9, exec_lo
	v_cmpx_ne_u16_e32 0x80, v12
	s_cbranch_execz .LBB214_2583
; %bb.2578:                             ;   in Loop: Header=BB214_1581 Depth=1
	v_and_b32_e32 v13, 0xffff, v12
	v_mov_b64_e32 v[8:9], 0x7f80000100000000
	s_mov_b32 s14, exec_lo
	s_delay_alu instid0(VALU_DEP_2) | instskip(NEXT) | instid1(VALU_DEP_1)
	v_and_b32_e32 v12, 0x7f, v13
	v_cmpx_ne_u32_e32 0x7f, v12
	s_cbranch_execz .LBB214_2582
; %bb.2579:                             ;   in Loop: Header=BB214_1581 Depth=1
	v_dual_lshrrev_b32 v8, 3, v12 :: v_dual_bitop2_b32 v24, 7, v13 bitop3:0x40
	s_mov_b32 s15, exec_lo
	v_cmpx_gt_u32_e32 8, v12
; %bb.2580:                             ;   in Loop: Header=BB214_1581 Depth=1
	s_delay_alu instid0(VALU_DEP_2) | instskip(NEXT) | instid1(VALU_DEP_1)
	v_clz_i32_u32_e32 v8, v24
	v_min_u32_e32 v8, 32, v8
	s_delay_alu instid0(VALU_DEP_1) | instskip(SKIP_1) | instid1(VALU_DEP_2)
	v_subrev_nc_u32_e32 v9, 28, v8
	v_sub_nc_u32_e32 v8, 29, v8
	v_lshlrev_b64_e32 v[12:13], v9, v[24:25]
	s_delay_alu instid0(VALU_DEP_1)
	v_and_b32_e32 v24, 7, v12
; %bb.2581:                             ;   in Loop: Header=BB214_1581 Depth=1
	s_or_b32 exec_lo, exec_lo, s15
	v_lshlrev_b32_e32 v9, 16, v16
	s_delay_alu instid0(VALU_DEP_2) | instskip(SKIP_1) | instid1(VALU_DEP_3)
	v_lshlrev_b32_e32 v12, 20, v24
	v_lshl_add_u32 v8, v8, 23, 0x3c000000
	v_and_b32_e32 v9, 0x80000000, v9
	s_delay_alu instid0(VALU_DEP_1)
	v_or3_b32 v9, v12, v9, v8
	v_mov_b32_e32 v8, v25
.LBB214_2582:                           ;   in Loop: Header=BB214_1581 Depth=1
	s_or_b32 exec_lo, exec_lo, s14
.LBB214_2583:                           ;   in Loop: Header=BB214_1581 Depth=1
	s_delay_alu instid0(SALU_CYCLE_1)
	s_or_b32 exec_lo, exec_lo, s9
.LBB214_2584:                           ;   in Loop: Header=BB214_1581 Depth=1
	s_delay_alu instid0(SALU_CYCLE_1) | instskip(SKIP_4) | instid1(VALU_DEP_3)
	s_or_b32 exec_lo, exec_lo, s8
	v_lshrrev_b32_e32 v17, 16, v16
	v_mov_b64_e32 v[12:13], 0
	v_mov_b64_e32 v[14:15], 0
	s_mov_b32 s8, exec_lo
	v_and_b32_e32 v20, 0xff, v17
	s_delay_alu instid0(VALU_DEP_1)
	v_cmpx_ne_u16_e32 0, v20
	s_cbranch_execz .LBB214_2592
; %bb.2585:                             ;   in Loop: Header=BB214_1581 Depth=1
	v_mov_b64_e32 v[14:15], 0x80000000
	s_mov_b32 s9, exec_lo
	v_cmpx_ne_u16_e32 0x80, v20
	s_cbranch_execz .LBB214_2591
; %bb.2586:                             ;   in Loop: Header=BB214_1581 Depth=1
	v_mov_b64_e32 v[14:15], 0x7f800001
	v_bfe_u32 v20, v16, 16, 7
	s_mov_b32 s14, exec_lo
	s_delay_alu instid0(VALU_DEP_1)
	v_cmpx_ne_u32_e32 0x7f, v20
	s_cbranch_execz .LBB214_2590
; %bb.2587:                             ;   in Loop: Header=BB214_1581 Depth=1
	v_dual_lshrrev_b32 v14, 3, v20 :: v_dual_bitop2_b32 v24, 7, v17 bitop3:0x40
	s_mov_b32 s15, exec_lo
	v_cmpx_gt_u32_e32 8, v20
; %bb.2588:                             ;   in Loop: Header=BB214_1581 Depth=1
	s_delay_alu instid0(VALU_DEP_2) | instskip(NEXT) | instid1(VALU_DEP_1)
	v_clz_i32_u32_e32 v14, v24
	v_min_u32_e32 v14, 32, v14
	s_delay_alu instid0(VALU_DEP_1) | instskip(NEXT) | instid1(VALU_DEP_1)
	v_subrev_nc_u32_e32 v15, 28, v14
	v_lshlrev_b64_e32 v[20:21], v15, v[24:25]
	s_delay_alu instid0(VALU_DEP_1)
	v_dual_sub_nc_u32 v14, 29, v14 :: v_dual_bitop2_b32 v24, 7, v20 bitop3:0x40
; %bb.2589:                             ;   in Loop: Header=BB214_1581 Depth=1
	s_or_b32 exec_lo, exec_lo, s15
	s_delay_alu instid0(VALU_DEP_1) | instskip(NEXT) | instid1(VALU_DEP_2)
	v_dual_lshlrev_b32 v15, 24, v17 :: v_dual_lshlrev_b32 v17, 20, v24
	v_lshl_add_u32 v14, v14, 23, 0x3c000000
	s_delay_alu instid0(VALU_DEP_2) | instskip(NEXT) | instid1(VALU_DEP_1)
	v_and_b32_e32 v15, 0x80000000, v15
	v_or3_b32 v24, v17, v15, v14
	s_delay_alu instid0(VALU_DEP_1)
	v_mov_b64_e32 v[14:15], v[24:25]
.LBB214_2590:                           ;   in Loop: Header=BB214_1581 Depth=1
	s_or_b32 exec_lo, exec_lo, s14
.LBB214_2591:                           ;   in Loop: Header=BB214_1581 Depth=1
	s_delay_alu instid0(SALU_CYCLE_1)
	s_or_b32 exec_lo, exec_lo, s9
.LBB214_2592:                           ;   in Loop: Header=BB214_1581 Depth=1
	s_delay_alu instid0(SALU_CYCLE_1) | instskip(NEXT) | instid1(SALU_CYCLE_1)
	s_or_b32 exec_lo, exec_lo, s8
	s_mov_b32 s8, exec_lo
	v_cmpx_lt_u32_e32 0xffffff, v16
	s_cbranch_execz .LBB214_2600
; %bb.2593:                             ;   in Loop: Header=BB214_1581 Depth=1
	v_mov_b64_e32 v[12:13], 0x8000000000000000
	v_lshrrev_b32_e32 v17, 24, v16
	s_mov_b32 s9, exec_lo
	s_delay_alu instid0(VALU_DEP_1)
	v_cmpx_ne_u32_e32 0x80, v17
	s_cbranch_execz .LBB214_2599
; %bb.2594:                             ;   in Loop: Header=BB214_1581 Depth=1
	v_mov_b64_e32 v[12:13], 0x7f80000100000000
	v_bfe_u32 v16, v16, 24, 7
	s_mov_b32 s14, exec_lo
	s_delay_alu instid0(VALU_DEP_1)
	v_cmpx_ne_u32_e32 0x7f, v16
	s_cbranch_execz .LBB214_2598
; %bb.2595:                             ;   in Loop: Header=BB214_1581 Depth=1
	v_dual_lshrrev_b32 v12, 3, v16 :: v_dual_bitop2_b32 v24, 7, v17 bitop3:0x40
	s_mov_b32 s15, exec_lo
	v_cmpx_gt_u32_e32 8, v16
; %bb.2596:                             ;   in Loop: Header=BB214_1581 Depth=1
	s_delay_alu instid0(VALU_DEP_2) | instskip(NEXT) | instid1(VALU_DEP_1)
	v_clz_i32_u32_e32 v12, v24
	v_min_u32_e32 v12, 32, v12
	s_delay_alu instid0(VALU_DEP_1) | instskip(SKIP_1) | instid1(VALU_DEP_2)
	v_subrev_nc_u32_e32 v13, 28, v12
	v_sub_nc_u32_e32 v12, 29, v12
	v_lshlrev_b64_e32 v[20:21], v13, v[24:25]
	s_delay_alu instid0(VALU_DEP_1)
	v_and_b32_e32 v24, 7, v20
; %bb.2597:                             ;   in Loop: Header=BB214_1581 Depth=1
	s_or_b32 exec_lo, exec_lo, s15
	s_delay_alu instid0(VALU_DEP_1) | instskip(SKIP_1) | instid1(VALU_DEP_2)
	v_dual_lshlrev_b32 v13, 24, v17 :: v_dual_lshlrev_b32 v16, 20, v24
	v_lshl_add_u32 v12, v12, 23, 0x3c000000
	v_and_b32_e32 v13, 0x80000000, v13
	s_delay_alu instid0(VALU_DEP_1)
	v_or3_b32 v13, v16, v13, v12
	v_mov_b32_e32 v12, v25
.LBB214_2598:                           ;   in Loop: Header=BB214_1581 Depth=1
	s_or_b32 exec_lo, exec_lo, s14
.LBB214_2599:                           ;   in Loop: Header=BB214_1581 Depth=1
	s_delay_alu instid0(SALU_CYCLE_1)
	s_or_b32 exec_lo, exec_lo, s9
.LBB214_2600:                           ;   in Loop: Header=BB214_1581 Depth=1
	s_delay_alu instid0(SALU_CYCLE_1) | instskip(SKIP_4) | instid1(VALU_DEP_3)
	s_or_b32 exec_lo, exec_lo, s8
	v_or_b32_e32 v9, v9, v11
	v_or_b32_e32 v8, v8, v10
	;; [unrolled: 1-line block ×4, first 2 shown]
	v_pk_mul_f32 v[118:119], v[114:115], v[8:9]
	s_delay_alu instid0(VALU_DEP_2)
	v_pk_mul_f32 v[116:117], v[114:115], v[10:11]
	s_and_saveexec_b32 s8, vcc_lo
	s_cbranch_execz .LBB214_2602
; %bb.2601:                             ;   in Loop: Header=BB214_1581 Depth=1
	scratch_load_b64 v[8:9], off, s32 offset:200 ; 8-byte Folded Reload
	s_wait_loadcnt 0x0
	v_cmp_lt_i32_e64 s0, v29, v8
	s_delay_alu instid0(VALU_DEP_1) | instskip(SKIP_1) | instid1(VALU_DEP_1)
	v_cndmask_b32_e64 v118, 0, v118, s0
	v_cmp_lt_i32_e64 s0, v30, v8
	v_cndmask_b32_e64 v119, 0, v119, s0
	v_cmp_lt_i32_e64 s0, v32, v8
	s_delay_alu instid0(VALU_DEP_1) | instskip(SKIP_1) | instid1(VALU_DEP_1)
	v_cndmask_b32_e64 v116, 0, v116, s0
	v_cmp_lt_i32_e64 s0, v31, v8
	v_cndmask_b32_e64 v117, 0, v117, s0
.LBB214_2602:                           ;   in Loop: Header=BB214_1581 Depth=1
	s_wait_xcnt 0x0
	s_or_b32 exec_lo, exec_lo, s8
	flat_load_b32 v16, v[0:1] offset:3840
	v_mov_b64_e32 v[8:9], 0
	v_mov_b64_e32 v[10:11], 0
	s_mov_b32 s8, exec_lo
	s_wait_loadcnt_dscnt 0x0
	v_and_b32_e32 v12, 0xff, v16
	s_wait_xcnt 0x0
	s_delay_alu instid0(VALU_DEP_1)
	v_cmpx_ne_u16_e32 0, v12
	s_cbranch_execz .LBB214_2610
; %bb.2603:                             ;   in Loop: Header=BB214_1581 Depth=1
	v_mov_b64_e32 v[10:11], 0x80000000
	s_mov_b32 s9, exec_lo
	v_cmpx_ne_u16_e32 0x80, v12
	s_cbranch_execz .LBB214_2609
; %bb.2604:                             ;   in Loop: Header=BB214_1581 Depth=1
	v_mov_b64_e32 v[10:11], 0x7f800001
	v_and_b32_e32 v12, 0x7f, v16
	s_mov_b32 s14, exec_lo
	s_delay_alu instid0(VALU_DEP_1)
	v_cmpx_ne_u32_e32 0x7f, v12
	s_cbranch_execz .LBB214_2608
; %bb.2605:                             ;   in Loop: Header=BB214_1581 Depth=1
	v_and_b32_e32 v24, 7, v16
	v_lshrrev_b32_e32 v10, 3, v12
	s_mov_b32 s15, exec_lo
	v_cmpx_gt_u32_e32 8, v12
; %bb.2606:                             ;   in Loop: Header=BB214_1581 Depth=1
	s_delay_alu instid0(VALU_DEP_3) | instskip(NEXT) | instid1(VALU_DEP_1)
	v_clz_i32_u32_e32 v10, v24
	v_min_u32_e32 v10, 32, v10
	s_delay_alu instid0(VALU_DEP_1) | instskip(NEXT) | instid1(VALU_DEP_1)
	v_subrev_nc_u32_e32 v11, 28, v10
	v_lshlrev_b64_e32 v[12:13], v11, v[24:25]
	s_delay_alu instid0(VALU_DEP_1)
	v_dual_sub_nc_u32 v10, 29, v10 :: v_dual_bitop2_b32 v24, 7, v12 bitop3:0x40
; %bb.2607:                             ;   in Loop: Header=BB214_1581 Depth=1
	s_or_b32 exec_lo, exec_lo, s15
	v_lshlrev_b32_e32 v11, 24, v16
	s_delay_alu instid0(VALU_DEP_2) | instskip(NEXT) | instid1(VALU_DEP_3)
	v_lshlrev_b32_e32 v12, 20, v24
	v_lshl_add_u32 v10, v10, 23, 0x3c000000
	s_delay_alu instid0(VALU_DEP_3) | instskip(NEXT) | instid1(VALU_DEP_1)
	v_and_b32_e32 v11, 0x80000000, v11
	v_or3_b32 v24, v12, v11, v10
	s_delay_alu instid0(VALU_DEP_1)
	v_mov_b64_e32 v[10:11], v[24:25]
.LBB214_2608:                           ;   in Loop: Header=BB214_1581 Depth=1
	s_or_b32 exec_lo, exec_lo, s14
.LBB214_2609:                           ;   in Loop: Header=BB214_1581 Depth=1
	s_delay_alu instid0(SALU_CYCLE_1)
	s_or_b32 exec_lo, exec_lo, s9
.LBB214_2610:                           ;   in Loop: Header=BB214_1581 Depth=1
	s_delay_alu instid0(SALU_CYCLE_1) | instskip(SKIP_2) | instid1(VALU_DEP_1)
	s_or_b32 exec_lo, exec_lo, s8
	v_lshrrev_b16 v12, 8, v16
	s_mov_b32 s8, exec_lo
	v_cmpx_ne_u16_e32 0, v12
	s_cbranch_execz .LBB214_2618
; %bb.2611:                             ;   in Loop: Header=BB214_1581 Depth=1
	v_mov_b64_e32 v[8:9], 0x8000000000000000
	s_mov_b32 s9, exec_lo
	v_cmpx_ne_u16_e32 0x80, v12
	s_cbranch_execz .LBB214_2617
; %bb.2612:                             ;   in Loop: Header=BB214_1581 Depth=1
	v_and_b32_e32 v13, 0xffff, v12
	v_mov_b64_e32 v[8:9], 0x7f80000100000000
	s_mov_b32 s14, exec_lo
	s_delay_alu instid0(VALU_DEP_2) | instskip(NEXT) | instid1(VALU_DEP_1)
	v_and_b32_e32 v12, 0x7f, v13
	v_cmpx_ne_u32_e32 0x7f, v12
	s_cbranch_execz .LBB214_2616
; %bb.2613:                             ;   in Loop: Header=BB214_1581 Depth=1
	v_dual_lshrrev_b32 v8, 3, v12 :: v_dual_bitop2_b32 v24, 7, v13 bitop3:0x40
	s_mov_b32 s15, exec_lo
	v_cmpx_gt_u32_e32 8, v12
; %bb.2614:                             ;   in Loop: Header=BB214_1581 Depth=1
	s_delay_alu instid0(VALU_DEP_2) | instskip(NEXT) | instid1(VALU_DEP_1)
	v_clz_i32_u32_e32 v8, v24
	v_min_u32_e32 v8, 32, v8
	s_delay_alu instid0(VALU_DEP_1) | instskip(SKIP_1) | instid1(VALU_DEP_2)
	v_subrev_nc_u32_e32 v9, 28, v8
	v_sub_nc_u32_e32 v8, 29, v8
	v_lshlrev_b64_e32 v[12:13], v9, v[24:25]
	s_delay_alu instid0(VALU_DEP_1)
	v_and_b32_e32 v24, 7, v12
; %bb.2615:                             ;   in Loop: Header=BB214_1581 Depth=1
	s_or_b32 exec_lo, exec_lo, s15
	v_lshlrev_b32_e32 v9, 16, v16
	s_delay_alu instid0(VALU_DEP_2) | instskip(SKIP_1) | instid1(VALU_DEP_3)
	v_lshlrev_b32_e32 v12, 20, v24
	v_lshl_add_u32 v8, v8, 23, 0x3c000000
	v_and_b32_e32 v9, 0x80000000, v9
	s_delay_alu instid0(VALU_DEP_1)
	v_or3_b32 v9, v12, v9, v8
	v_mov_b32_e32 v8, v25
.LBB214_2616:                           ;   in Loop: Header=BB214_1581 Depth=1
	s_or_b32 exec_lo, exec_lo, s14
.LBB214_2617:                           ;   in Loop: Header=BB214_1581 Depth=1
	s_delay_alu instid0(SALU_CYCLE_1)
	s_or_b32 exec_lo, exec_lo, s9
.LBB214_2618:                           ;   in Loop: Header=BB214_1581 Depth=1
	s_delay_alu instid0(SALU_CYCLE_1) | instskip(SKIP_4) | instid1(VALU_DEP_3)
	s_or_b32 exec_lo, exec_lo, s8
	v_lshrrev_b32_e32 v17, 16, v16
	v_mov_b64_e32 v[12:13], 0
	v_mov_b64_e32 v[14:15], 0
	s_mov_b32 s8, exec_lo
	v_and_b32_e32 v20, 0xff, v17
	s_delay_alu instid0(VALU_DEP_1)
	v_cmpx_ne_u16_e32 0, v20
	s_cbranch_execz .LBB214_2626
; %bb.2619:                             ;   in Loop: Header=BB214_1581 Depth=1
	v_mov_b64_e32 v[14:15], 0x80000000
	s_mov_b32 s9, exec_lo
	v_cmpx_ne_u16_e32 0x80, v20
	s_cbranch_execz .LBB214_2625
; %bb.2620:                             ;   in Loop: Header=BB214_1581 Depth=1
	v_mov_b64_e32 v[14:15], 0x7f800001
	v_bfe_u32 v20, v16, 16, 7
	s_mov_b32 s14, exec_lo
	s_delay_alu instid0(VALU_DEP_1)
	v_cmpx_ne_u32_e32 0x7f, v20
	s_cbranch_execz .LBB214_2624
; %bb.2621:                             ;   in Loop: Header=BB214_1581 Depth=1
	v_dual_lshrrev_b32 v14, 3, v20 :: v_dual_bitop2_b32 v24, 7, v17 bitop3:0x40
	s_mov_b32 s15, exec_lo
	v_cmpx_gt_u32_e32 8, v20
; %bb.2622:                             ;   in Loop: Header=BB214_1581 Depth=1
	s_delay_alu instid0(VALU_DEP_2) | instskip(NEXT) | instid1(VALU_DEP_1)
	v_clz_i32_u32_e32 v14, v24
	v_min_u32_e32 v14, 32, v14
	s_delay_alu instid0(VALU_DEP_1) | instskip(NEXT) | instid1(VALU_DEP_1)
	v_subrev_nc_u32_e32 v15, 28, v14
	v_lshlrev_b64_e32 v[20:21], v15, v[24:25]
	s_delay_alu instid0(VALU_DEP_1)
	v_dual_sub_nc_u32 v14, 29, v14 :: v_dual_bitop2_b32 v24, 7, v20 bitop3:0x40
; %bb.2623:                             ;   in Loop: Header=BB214_1581 Depth=1
	s_or_b32 exec_lo, exec_lo, s15
	s_delay_alu instid0(VALU_DEP_1) | instskip(NEXT) | instid1(VALU_DEP_2)
	v_dual_lshlrev_b32 v15, 24, v17 :: v_dual_lshlrev_b32 v17, 20, v24
	v_lshl_add_u32 v14, v14, 23, 0x3c000000
	s_delay_alu instid0(VALU_DEP_2) | instskip(NEXT) | instid1(VALU_DEP_1)
	v_and_b32_e32 v15, 0x80000000, v15
	v_or3_b32 v24, v17, v15, v14
	s_delay_alu instid0(VALU_DEP_1)
	v_mov_b64_e32 v[14:15], v[24:25]
.LBB214_2624:                           ;   in Loop: Header=BB214_1581 Depth=1
	s_or_b32 exec_lo, exec_lo, s14
.LBB214_2625:                           ;   in Loop: Header=BB214_1581 Depth=1
	s_delay_alu instid0(SALU_CYCLE_1)
	s_or_b32 exec_lo, exec_lo, s9
.LBB214_2626:                           ;   in Loop: Header=BB214_1581 Depth=1
	s_delay_alu instid0(SALU_CYCLE_1) | instskip(NEXT) | instid1(SALU_CYCLE_1)
	s_or_b32 exec_lo, exec_lo, s8
	s_mov_b32 s8, exec_lo
	v_cmpx_lt_u32_e32 0xffffff, v16
	s_cbranch_execz .LBB214_2634
; %bb.2627:                             ;   in Loop: Header=BB214_1581 Depth=1
	v_mov_b64_e32 v[12:13], 0x8000000000000000
	v_lshrrev_b32_e32 v17, 24, v16
	s_mov_b32 s9, exec_lo
	s_delay_alu instid0(VALU_DEP_1)
	v_cmpx_ne_u32_e32 0x80, v17
	s_cbranch_execz .LBB214_2633
; %bb.2628:                             ;   in Loop: Header=BB214_1581 Depth=1
	v_mov_b64_e32 v[12:13], 0x7f80000100000000
	v_bfe_u32 v16, v16, 24, 7
	s_mov_b32 s14, exec_lo
	s_delay_alu instid0(VALU_DEP_1)
	v_cmpx_ne_u32_e32 0x7f, v16
	s_cbranch_execz .LBB214_2632
; %bb.2629:                             ;   in Loop: Header=BB214_1581 Depth=1
	v_dual_lshrrev_b32 v12, 3, v16 :: v_dual_bitop2_b32 v24, 7, v17 bitop3:0x40
	s_mov_b32 s15, exec_lo
	v_cmpx_gt_u32_e32 8, v16
; %bb.2630:                             ;   in Loop: Header=BB214_1581 Depth=1
	s_delay_alu instid0(VALU_DEP_2) | instskip(NEXT) | instid1(VALU_DEP_1)
	v_clz_i32_u32_e32 v12, v24
	v_min_u32_e32 v12, 32, v12
	s_delay_alu instid0(VALU_DEP_1) | instskip(SKIP_1) | instid1(VALU_DEP_2)
	v_subrev_nc_u32_e32 v13, 28, v12
	v_sub_nc_u32_e32 v12, 29, v12
	v_lshlrev_b64_e32 v[20:21], v13, v[24:25]
	s_delay_alu instid0(VALU_DEP_1)
	v_and_b32_e32 v24, 7, v20
; %bb.2631:                             ;   in Loop: Header=BB214_1581 Depth=1
	s_or_b32 exec_lo, exec_lo, s15
	s_delay_alu instid0(VALU_DEP_1) | instskip(SKIP_1) | instid1(VALU_DEP_2)
	v_dual_lshlrev_b32 v13, 24, v17 :: v_dual_lshlrev_b32 v16, 20, v24
	v_lshl_add_u32 v12, v12, 23, 0x3c000000
	v_and_b32_e32 v13, 0x80000000, v13
	s_delay_alu instid0(VALU_DEP_1)
	v_or3_b32 v13, v16, v13, v12
	v_mov_b32_e32 v12, v25
.LBB214_2632:                           ;   in Loop: Header=BB214_1581 Depth=1
	s_or_b32 exec_lo, exec_lo, s14
.LBB214_2633:                           ;   in Loop: Header=BB214_1581 Depth=1
	s_delay_alu instid0(SALU_CYCLE_1)
	s_or_b32 exec_lo, exec_lo, s9
.LBB214_2634:                           ;   in Loop: Header=BB214_1581 Depth=1
	s_delay_alu instid0(SALU_CYCLE_1) | instskip(SKIP_4) | instid1(VALU_DEP_3)
	s_or_b32 exec_lo, exec_lo, s8
	v_or_b32_e32 v9, v9, v11
	v_or_b32_e32 v8, v8, v10
	;; [unrolled: 1-line block ×4, first 2 shown]
	v_pk_mul_f32 v[42:43], v[114:115], v[8:9]
	s_delay_alu instid0(VALU_DEP_2)
	v_pk_mul_f32 v[40:41], v[114:115], v[10:11]
	s_and_saveexec_b32 s8, vcc_lo
	s_cbranch_execz .LBB214_2636
; %bb.2635:                             ;   in Loop: Header=BB214_1581 Depth=1
	scratch_load_b64 v[8:9], off, s32 offset:200 ; 8-byte Folded Reload
	s_wait_loadcnt 0x0
	v_cmp_lt_i32_e64 s0, v29, v8
	s_delay_alu instid0(VALU_DEP_1) | instskip(SKIP_1) | instid1(VALU_DEP_1)
	v_cndmask_b32_e64 v42, 0, v42, s0
	v_cmp_lt_i32_e64 s0, v30, v8
	v_cndmask_b32_e64 v43, 0, v43, s0
	v_cmp_lt_i32_e64 s0, v32, v8
	s_delay_alu instid0(VALU_DEP_1) | instskip(SKIP_1) | instid1(VALU_DEP_1)
	v_cndmask_b32_e64 v40, 0, v40, s0
	v_cmp_lt_i32_e64 s0, v31, v8
	v_cndmask_b32_e64 v41, 0, v41, s0
.LBB214_2636:                           ;   in Loop: Header=BB214_1581 Depth=1
	s_wait_xcnt 0x0
	s_or_b32 exec_lo, exec_lo, s8
	scratch_load_b64 v[8:9], off, s32 offset:812 ; 8-byte Folded Reload
	v_mov_b64_e32 v[10:11], 0
	s_mov_b32 s8, exec_lo
	s_wait_loadcnt 0x0
	v_add_nc_u64_e32 v[8:9], v[22:23], v[8:9]
	flat_load_b32 v16, v[8:9]
	s_wait_xcnt 0x0
	v_mov_b64_e32 v[8:9], 0
	s_wait_loadcnt_dscnt 0x0
	v_and_b32_e32 v12, 0xff, v16
	s_delay_alu instid0(VALU_DEP_1)
	v_cmpx_ne_u16_e32 0, v12
	s_cbranch_execz .LBB214_2644
; %bb.2637:                             ;   in Loop: Header=BB214_1581 Depth=1
	v_mov_b64_e32 v[10:11], 0x80000000
	s_mov_b32 s9, exec_lo
	v_cmpx_ne_u16_e32 0x80, v12
	s_cbranch_execz .LBB214_2643
; %bb.2638:                             ;   in Loop: Header=BB214_1581 Depth=1
	v_mov_b64_e32 v[10:11], 0x7f800001
	v_and_b32_e32 v12, 0x7f, v16
	s_mov_b32 s14, exec_lo
	s_delay_alu instid0(VALU_DEP_1)
	v_cmpx_ne_u32_e32 0x7f, v12
	s_cbranch_execz .LBB214_2642
; %bb.2639:                             ;   in Loop: Header=BB214_1581 Depth=1
	v_and_b32_e32 v24, 7, v16
	v_lshrrev_b32_e32 v10, 3, v12
	s_mov_b32 s15, exec_lo
	v_cmpx_gt_u32_e32 8, v12
; %bb.2640:                             ;   in Loop: Header=BB214_1581 Depth=1
	s_delay_alu instid0(VALU_DEP_3) | instskip(NEXT) | instid1(VALU_DEP_1)
	v_clz_i32_u32_e32 v10, v24
	v_min_u32_e32 v10, 32, v10
	s_delay_alu instid0(VALU_DEP_1) | instskip(NEXT) | instid1(VALU_DEP_1)
	v_subrev_nc_u32_e32 v11, 28, v10
	v_lshlrev_b64_e32 v[12:13], v11, v[24:25]
	s_delay_alu instid0(VALU_DEP_1)
	v_dual_sub_nc_u32 v10, 29, v10 :: v_dual_bitop2_b32 v24, 7, v12 bitop3:0x40
; %bb.2641:                             ;   in Loop: Header=BB214_1581 Depth=1
	s_or_b32 exec_lo, exec_lo, s15
	v_lshlrev_b32_e32 v11, 24, v16
	s_delay_alu instid0(VALU_DEP_2) | instskip(NEXT) | instid1(VALU_DEP_3)
	v_lshlrev_b32_e32 v12, 20, v24
	v_lshl_add_u32 v10, v10, 23, 0x3c000000
	s_delay_alu instid0(VALU_DEP_3) | instskip(NEXT) | instid1(VALU_DEP_1)
	v_and_b32_e32 v11, 0x80000000, v11
	v_or3_b32 v24, v12, v11, v10
	s_delay_alu instid0(VALU_DEP_1)
	v_mov_b64_e32 v[10:11], v[24:25]
.LBB214_2642:                           ;   in Loop: Header=BB214_1581 Depth=1
	s_or_b32 exec_lo, exec_lo, s14
.LBB214_2643:                           ;   in Loop: Header=BB214_1581 Depth=1
	s_delay_alu instid0(SALU_CYCLE_1)
	s_or_b32 exec_lo, exec_lo, s9
.LBB214_2644:                           ;   in Loop: Header=BB214_1581 Depth=1
	s_delay_alu instid0(SALU_CYCLE_1) | instskip(SKIP_2) | instid1(VALU_DEP_1)
	s_or_b32 exec_lo, exec_lo, s8
	v_lshrrev_b16 v12, 8, v16
	s_mov_b32 s8, exec_lo
	v_cmpx_ne_u16_e32 0, v12
	s_cbranch_execz .LBB214_2652
; %bb.2645:                             ;   in Loop: Header=BB214_1581 Depth=1
	v_mov_b64_e32 v[8:9], 0x8000000000000000
	s_mov_b32 s9, exec_lo
	v_cmpx_ne_u16_e32 0x80, v12
	s_cbranch_execz .LBB214_2651
; %bb.2646:                             ;   in Loop: Header=BB214_1581 Depth=1
	v_and_b32_e32 v13, 0xffff, v12
	v_mov_b64_e32 v[8:9], 0x7f80000100000000
	s_mov_b32 s14, exec_lo
	s_delay_alu instid0(VALU_DEP_2) | instskip(NEXT) | instid1(VALU_DEP_1)
	v_and_b32_e32 v12, 0x7f, v13
	v_cmpx_ne_u32_e32 0x7f, v12
	s_cbranch_execz .LBB214_2650
; %bb.2647:                             ;   in Loop: Header=BB214_1581 Depth=1
	v_dual_lshrrev_b32 v8, 3, v12 :: v_dual_bitop2_b32 v24, 7, v13 bitop3:0x40
	s_mov_b32 s15, exec_lo
	v_cmpx_gt_u32_e32 8, v12
; %bb.2648:                             ;   in Loop: Header=BB214_1581 Depth=1
	s_delay_alu instid0(VALU_DEP_2) | instskip(NEXT) | instid1(VALU_DEP_1)
	v_clz_i32_u32_e32 v8, v24
	v_min_u32_e32 v8, 32, v8
	s_delay_alu instid0(VALU_DEP_1) | instskip(SKIP_1) | instid1(VALU_DEP_2)
	v_subrev_nc_u32_e32 v9, 28, v8
	v_sub_nc_u32_e32 v8, 29, v8
	v_lshlrev_b64_e32 v[12:13], v9, v[24:25]
	s_delay_alu instid0(VALU_DEP_1)
	v_and_b32_e32 v24, 7, v12
; %bb.2649:                             ;   in Loop: Header=BB214_1581 Depth=1
	s_or_b32 exec_lo, exec_lo, s15
	v_lshlrev_b32_e32 v9, 16, v16
	s_delay_alu instid0(VALU_DEP_2) | instskip(SKIP_1) | instid1(VALU_DEP_3)
	v_lshlrev_b32_e32 v12, 20, v24
	v_lshl_add_u32 v8, v8, 23, 0x3c000000
	v_and_b32_e32 v9, 0x80000000, v9
	s_delay_alu instid0(VALU_DEP_1)
	v_or3_b32 v9, v12, v9, v8
	v_mov_b32_e32 v8, v25
.LBB214_2650:                           ;   in Loop: Header=BB214_1581 Depth=1
	s_or_b32 exec_lo, exec_lo, s14
.LBB214_2651:                           ;   in Loop: Header=BB214_1581 Depth=1
	s_delay_alu instid0(SALU_CYCLE_1)
	s_or_b32 exec_lo, exec_lo, s9
.LBB214_2652:                           ;   in Loop: Header=BB214_1581 Depth=1
	s_delay_alu instid0(SALU_CYCLE_1) | instskip(SKIP_4) | instid1(VALU_DEP_3)
	s_or_b32 exec_lo, exec_lo, s8
	v_lshrrev_b32_e32 v17, 16, v16
	v_mov_b64_e32 v[12:13], 0
	v_mov_b64_e32 v[14:15], 0
	s_mov_b32 s8, exec_lo
	v_and_b32_e32 v20, 0xff, v17
	s_delay_alu instid0(VALU_DEP_1)
	v_cmpx_ne_u16_e32 0, v20
	s_cbranch_execz .LBB214_2660
; %bb.2653:                             ;   in Loop: Header=BB214_1581 Depth=1
	v_mov_b64_e32 v[14:15], 0x80000000
	s_mov_b32 s9, exec_lo
	v_cmpx_ne_u16_e32 0x80, v20
	s_cbranch_execz .LBB214_2659
; %bb.2654:                             ;   in Loop: Header=BB214_1581 Depth=1
	v_mov_b64_e32 v[14:15], 0x7f800001
	v_bfe_u32 v20, v16, 16, 7
	s_mov_b32 s14, exec_lo
	s_delay_alu instid0(VALU_DEP_1)
	v_cmpx_ne_u32_e32 0x7f, v20
	s_cbranch_execz .LBB214_2658
; %bb.2655:                             ;   in Loop: Header=BB214_1581 Depth=1
	v_dual_lshrrev_b32 v14, 3, v20 :: v_dual_bitop2_b32 v24, 7, v17 bitop3:0x40
	s_mov_b32 s15, exec_lo
	v_cmpx_gt_u32_e32 8, v20
; %bb.2656:                             ;   in Loop: Header=BB214_1581 Depth=1
	s_delay_alu instid0(VALU_DEP_2) | instskip(NEXT) | instid1(VALU_DEP_1)
	v_clz_i32_u32_e32 v14, v24
	v_min_u32_e32 v14, 32, v14
	s_delay_alu instid0(VALU_DEP_1) | instskip(NEXT) | instid1(VALU_DEP_1)
	v_subrev_nc_u32_e32 v15, 28, v14
	v_lshlrev_b64_e32 v[20:21], v15, v[24:25]
	s_delay_alu instid0(VALU_DEP_1)
	v_dual_sub_nc_u32 v14, 29, v14 :: v_dual_bitop2_b32 v24, 7, v20 bitop3:0x40
; %bb.2657:                             ;   in Loop: Header=BB214_1581 Depth=1
	s_or_b32 exec_lo, exec_lo, s15
	s_delay_alu instid0(VALU_DEP_1) | instskip(NEXT) | instid1(VALU_DEP_2)
	v_dual_lshlrev_b32 v15, 24, v17 :: v_dual_lshlrev_b32 v17, 20, v24
	v_lshl_add_u32 v14, v14, 23, 0x3c000000
	s_delay_alu instid0(VALU_DEP_2) | instskip(NEXT) | instid1(VALU_DEP_1)
	v_and_b32_e32 v15, 0x80000000, v15
	v_or3_b32 v24, v17, v15, v14
	s_delay_alu instid0(VALU_DEP_1)
	v_mov_b64_e32 v[14:15], v[24:25]
.LBB214_2658:                           ;   in Loop: Header=BB214_1581 Depth=1
	s_or_b32 exec_lo, exec_lo, s14
.LBB214_2659:                           ;   in Loop: Header=BB214_1581 Depth=1
	s_delay_alu instid0(SALU_CYCLE_1)
	s_or_b32 exec_lo, exec_lo, s9
.LBB214_2660:                           ;   in Loop: Header=BB214_1581 Depth=1
	s_delay_alu instid0(SALU_CYCLE_1) | instskip(NEXT) | instid1(SALU_CYCLE_1)
	s_or_b32 exec_lo, exec_lo, s8
	s_mov_b32 s8, exec_lo
	v_cmpx_lt_u32_e32 0xffffff, v16
	s_cbranch_execz .LBB214_2668
; %bb.2661:                             ;   in Loop: Header=BB214_1581 Depth=1
	v_mov_b64_e32 v[12:13], 0x8000000000000000
	v_lshrrev_b32_e32 v17, 24, v16
	s_mov_b32 s9, exec_lo
	s_delay_alu instid0(VALU_DEP_1)
	v_cmpx_ne_u32_e32 0x80, v17
	s_cbranch_execz .LBB214_2667
; %bb.2662:                             ;   in Loop: Header=BB214_1581 Depth=1
	v_mov_b64_e32 v[12:13], 0x7f80000100000000
	v_bfe_u32 v16, v16, 24, 7
	s_mov_b32 s14, exec_lo
	s_delay_alu instid0(VALU_DEP_1)
	v_cmpx_ne_u32_e32 0x7f, v16
	s_cbranch_execz .LBB214_2666
; %bb.2663:                             ;   in Loop: Header=BB214_1581 Depth=1
	v_dual_lshrrev_b32 v12, 3, v16 :: v_dual_bitop2_b32 v24, 7, v17 bitop3:0x40
	s_mov_b32 s15, exec_lo
	v_cmpx_gt_u32_e32 8, v16
; %bb.2664:                             ;   in Loop: Header=BB214_1581 Depth=1
	s_delay_alu instid0(VALU_DEP_2) | instskip(NEXT) | instid1(VALU_DEP_1)
	v_clz_i32_u32_e32 v12, v24
	v_min_u32_e32 v12, 32, v12
	s_delay_alu instid0(VALU_DEP_1) | instskip(SKIP_1) | instid1(VALU_DEP_2)
	v_subrev_nc_u32_e32 v13, 28, v12
	v_sub_nc_u32_e32 v12, 29, v12
	v_lshlrev_b64_e32 v[20:21], v13, v[24:25]
	s_delay_alu instid0(VALU_DEP_1)
	v_and_b32_e32 v24, 7, v20
; %bb.2665:                             ;   in Loop: Header=BB214_1581 Depth=1
	s_or_b32 exec_lo, exec_lo, s15
	s_delay_alu instid0(VALU_DEP_1) | instskip(SKIP_1) | instid1(VALU_DEP_2)
	v_dual_lshlrev_b32 v13, 24, v17 :: v_dual_lshlrev_b32 v16, 20, v24
	v_lshl_add_u32 v12, v12, 23, 0x3c000000
	v_and_b32_e32 v13, 0x80000000, v13
	s_delay_alu instid0(VALU_DEP_1)
	v_or3_b32 v13, v16, v13, v12
	v_mov_b32_e32 v12, v25
.LBB214_2666:                           ;   in Loop: Header=BB214_1581 Depth=1
	s_or_b32 exec_lo, exec_lo, s14
.LBB214_2667:                           ;   in Loop: Header=BB214_1581 Depth=1
	s_delay_alu instid0(SALU_CYCLE_1)
	s_or_b32 exec_lo, exec_lo, s9
.LBB214_2668:                           ;   in Loop: Header=BB214_1581 Depth=1
	s_delay_alu instid0(SALU_CYCLE_1) | instskip(SKIP_4) | instid1(VALU_DEP_3)
	s_or_b32 exec_lo, exec_lo, s8
	v_or_b32_e32 v9, v9, v11
	v_or_b32_e32 v8, v8, v10
	;; [unrolled: 1-line block ×4, first 2 shown]
	v_pk_mul_f32 v[46:47], v[114:115], v[8:9]
	s_delay_alu instid0(VALU_DEP_2)
	v_pk_mul_f32 v[44:45], v[114:115], v[10:11]
	s_and_saveexec_b32 s8, vcc_lo
	s_cbranch_execz .LBB214_2670
; %bb.2669:                             ;   in Loop: Header=BB214_1581 Depth=1
	scratch_load_b64 v[8:9], off, s32 offset:200 ; 8-byte Folded Reload
	s_wait_loadcnt 0x0
	v_cmp_lt_i32_e64 s0, v29, v8
	s_delay_alu instid0(VALU_DEP_1) | instskip(SKIP_1) | instid1(VALU_DEP_1)
	v_cndmask_b32_e64 v46, 0, v46, s0
	v_cmp_lt_i32_e64 s0, v30, v8
	v_cndmask_b32_e64 v47, 0, v47, s0
	v_cmp_lt_i32_e64 s0, v32, v8
	s_delay_alu instid0(VALU_DEP_1) | instskip(SKIP_1) | instid1(VALU_DEP_1)
	v_cndmask_b32_e64 v44, 0, v44, s0
	v_cmp_lt_i32_e64 s0, v31, v8
	v_cndmask_b32_e64 v45, 0, v45, s0
.LBB214_2670:                           ;   in Loop: Header=BB214_1581 Depth=1
	s_wait_xcnt 0x0
	s_or_b32 exec_lo, exec_lo, s8
	flat_load_b32 v16, v[0:1] offset:4096
	v_mov_b64_e32 v[8:9], 0
	v_mov_b64_e32 v[10:11], 0
	s_mov_b32 s8, exec_lo
	s_wait_loadcnt_dscnt 0x0
	v_and_b32_e32 v12, 0xff, v16
	s_wait_xcnt 0x0
	s_delay_alu instid0(VALU_DEP_1)
	v_cmpx_ne_u16_e32 0, v12
	s_cbranch_execz .LBB214_2678
; %bb.2671:                             ;   in Loop: Header=BB214_1581 Depth=1
	v_mov_b64_e32 v[10:11], 0x80000000
	s_mov_b32 s9, exec_lo
	v_cmpx_ne_u16_e32 0x80, v12
	s_cbranch_execz .LBB214_2677
; %bb.2672:                             ;   in Loop: Header=BB214_1581 Depth=1
	v_mov_b64_e32 v[10:11], 0x7f800001
	v_and_b32_e32 v12, 0x7f, v16
	s_mov_b32 s14, exec_lo
	s_delay_alu instid0(VALU_DEP_1)
	v_cmpx_ne_u32_e32 0x7f, v12
	s_cbranch_execz .LBB214_2676
; %bb.2673:                             ;   in Loop: Header=BB214_1581 Depth=1
	v_and_b32_e32 v24, 7, v16
	v_lshrrev_b32_e32 v10, 3, v12
	s_mov_b32 s15, exec_lo
	v_cmpx_gt_u32_e32 8, v12
; %bb.2674:                             ;   in Loop: Header=BB214_1581 Depth=1
	s_delay_alu instid0(VALU_DEP_3) | instskip(NEXT) | instid1(VALU_DEP_1)
	v_clz_i32_u32_e32 v10, v24
	v_min_u32_e32 v10, 32, v10
	s_delay_alu instid0(VALU_DEP_1) | instskip(NEXT) | instid1(VALU_DEP_1)
	v_subrev_nc_u32_e32 v11, 28, v10
	v_lshlrev_b64_e32 v[12:13], v11, v[24:25]
	s_delay_alu instid0(VALU_DEP_1)
	v_dual_sub_nc_u32 v10, 29, v10 :: v_dual_bitop2_b32 v24, 7, v12 bitop3:0x40
; %bb.2675:                             ;   in Loop: Header=BB214_1581 Depth=1
	s_or_b32 exec_lo, exec_lo, s15
	v_lshlrev_b32_e32 v11, 24, v16
	s_delay_alu instid0(VALU_DEP_2) | instskip(NEXT) | instid1(VALU_DEP_3)
	v_lshlrev_b32_e32 v12, 20, v24
	v_lshl_add_u32 v10, v10, 23, 0x3c000000
	s_delay_alu instid0(VALU_DEP_3) | instskip(NEXT) | instid1(VALU_DEP_1)
	v_and_b32_e32 v11, 0x80000000, v11
	v_or3_b32 v24, v12, v11, v10
	s_delay_alu instid0(VALU_DEP_1)
	v_mov_b64_e32 v[10:11], v[24:25]
.LBB214_2676:                           ;   in Loop: Header=BB214_1581 Depth=1
	s_or_b32 exec_lo, exec_lo, s14
.LBB214_2677:                           ;   in Loop: Header=BB214_1581 Depth=1
	s_delay_alu instid0(SALU_CYCLE_1)
	s_or_b32 exec_lo, exec_lo, s9
.LBB214_2678:                           ;   in Loop: Header=BB214_1581 Depth=1
	s_delay_alu instid0(SALU_CYCLE_1) | instskip(SKIP_2) | instid1(VALU_DEP_1)
	s_or_b32 exec_lo, exec_lo, s8
	v_lshrrev_b16 v12, 8, v16
	s_mov_b32 s8, exec_lo
	v_cmpx_ne_u16_e32 0, v12
	s_cbranch_execz .LBB214_2686
; %bb.2679:                             ;   in Loop: Header=BB214_1581 Depth=1
	v_mov_b64_e32 v[8:9], 0x8000000000000000
	s_mov_b32 s9, exec_lo
	v_cmpx_ne_u16_e32 0x80, v12
	s_cbranch_execz .LBB214_2685
; %bb.2680:                             ;   in Loop: Header=BB214_1581 Depth=1
	v_and_b32_e32 v13, 0xffff, v12
	v_mov_b64_e32 v[8:9], 0x7f80000100000000
	s_mov_b32 s14, exec_lo
	s_delay_alu instid0(VALU_DEP_2) | instskip(NEXT) | instid1(VALU_DEP_1)
	v_and_b32_e32 v12, 0x7f, v13
	v_cmpx_ne_u32_e32 0x7f, v12
	s_cbranch_execz .LBB214_2684
; %bb.2681:                             ;   in Loop: Header=BB214_1581 Depth=1
	v_dual_lshrrev_b32 v8, 3, v12 :: v_dual_bitop2_b32 v24, 7, v13 bitop3:0x40
	s_mov_b32 s15, exec_lo
	v_cmpx_gt_u32_e32 8, v12
; %bb.2682:                             ;   in Loop: Header=BB214_1581 Depth=1
	s_delay_alu instid0(VALU_DEP_2) | instskip(NEXT) | instid1(VALU_DEP_1)
	v_clz_i32_u32_e32 v8, v24
	v_min_u32_e32 v8, 32, v8
	s_delay_alu instid0(VALU_DEP_1) | instskip(SKIP_1) | instid1(VALU_DEP_2)
	v_subrev_nc_u32_e32 v9, 28, v8
	v_sub_nc_u32_e32 v8, 29, v8
	v_lshlrev_b64_e32 v[12:13], v9, v[24:25]
	s_delay_alu instid0(VALU_DEP_1)
	v_and_b32_e32 v24, 7, v12
; %bb.2683:                             ;   in Loop: Header=BB214_1581 Depth=1
	s_or_b32 exec_lo, exec_lo, s15
	v_lshlrev_b32_e32 v9, 16, v16
	s_delay_alu instid0(VALU_DEP_2) | instskip(SKIP_1) | instid1(VALU_DEP_3)
	v_lshlrev_b32_e32 v12, 20, v24
	v_lshl_add_u32 v8, v8, 23, 0x3c000000
	v_and_b32_e32 v9, 0x80000000, v9
	s_delay_alu instid0(VALU_DEP_1)
	v_or3_b32 v9, v12, v9, v8
	v_mov_b32_e32 v8, v25
.LBB214_2684:                           ;   in Loop: Header=BB214_1581 Depth=1
	s_or_b32 exec_lo, exec_lo, s14
.LBB214_2685:                           ;   in Loop: Header=BB214_1581 Depth=1
	s_delay_alu instid0(SALU_CYCLE_1)
	s_or_b32 exec_lo, exec_lo, s9
.LBB214_2686:                           ;   in Loop: Header=BB214_1581 Depth=1
	s_delay_alu instid0(SALU_CYCLE_1) | instskip(SKIP_4) | instid1(VALU_DEP_3)
	s_or_b32 exec_lo, exec_lo, s8
	v_lshrrev_b32_e32 v17, 16, v16
	v_mov_b64_e32 v[12:13], 0
	v_mov_b64_e32 v[14:15], 0
	s_mov_b32 s8, exec_lo
	v_and_b32_e32 v20, 0xff, v17
	s_delay_alu instid0(VALU_DEP_1)
	v_cmpx_ne_u16_e32 0, v20
	s_cbranch_execz .LBB214_2694
; %bb.2687:                             ;   in Loop: Header=BB214_1581 Depth=1
	v_mov_b64_e32 v[14:15], 0x80000000
	s_mov_b32 s9, exec_lo
	v_cmpx_ne_u16_e32 0x80, v20
	s_cbranch_execz .LBB214_2693
; %bb.2688:                             ;   in Loop: Header=BB214_1581 Depth=1
	v_mov_b64_e32 v[14:15], 0x7f800001
	v_bfe_u32 v20, v16, 16, 7
	s_mov_b32 s14, exec_lo
	s_delay_alu instid0(VALU_DEP_1)
	v_cmpx_ne_u32_e32 0x7f, v20
	s_cbranch_execz .LBB214_2692
; %bb.2689:                             ;   in Loop: Header=BB214_1581 Depth=1
	v_dual_lshrrev_b32 v14, 3, v20 :: v_dual_bitop2_b32 v24, 7, v17 bitop3:0x40
	s_mov_b32 s15, exec_lo
	v_cmpx_gt_u32_e32 8, v20
; %bb.2690:                             ;   in Loop: Header=BB214_1581 Depth=1
	s_delay_alu instid0(VALU_DEP_2) | instskip(NEXT) | instid1(VALU_DEP_1)
	v_clz_i32_u32_e32 v14, v24
	v_min_u32_e32 v14, 32, v14
	s_delay_alu instid0(VALU_DEP_1) | instskip(NEXT) | instid1(VALU_DEP_1)
	v_subrev_nc_u32_e32 v15, 28, v14
	v_lshlrev_b64_e32 v[20:21], v15, v[24:25]
	s_delay_alu instid0(VALU_DEP_1)
	v_dual_sub_nc_u32 v14, 29, v14 :: v_dual_bitop2_b32 v24, 7, v20 bitop3:0x40
; %bb.2691:                             ;   in Loop: Header=BB214_1581 Depth=1
	s_or_b32 exec_lo, exec_lo, s15
	s_delay_alu instid0(VALU_DEP_1) | instskip(NEXT) | instid1(VALU_DEP_2)
	v_dual_lshlrev_b32 v15, 24, v17 :: v_dual_lshlrev_b32 v17, 20, v24
	v_lshl_add_u32 v14, v14, 23, 0x3c000000
	s_delay_alu instid0(VALU_DEP_2) | instskip(NEXT) | instid1(VALU_DEP_1)
	v_and_b32_e32 v15, 0x80000000, v15
	v_or3_b32 v24, v17, v15, v14
	s_delay_alu instid0(VALU_DEP_1)
	v_mov_b64_e32 v[14:15], v[24:25]
.LBB214_2692:                           ;   in Loop: Header=BB214_1581 Depth=1
	s_or_b32 exec_lo, exec_lo, s14
.LBB214_2693:                           ;   in Loop: Header=BB214_1581 Depth=1
	s_delay_alu instid0(SALU_CYCLE_1)
	s_or_b32 exec_lo, exec_lo, s9
.LBB214_2694:                           ;   in Loop: Header=BB214_1581 Depth=1
	s_delay_alu instid0(SALU_CYCLE_1) | instskip(NEXT) | instid1(SALU_CYCLE_1)
	s_or_b32 exec_lo, exec_lo, s8
	s_mov_b32 s8, exec_lo
	v_cmpx_lt_u32_e32 0xffffff, v16
	s_cbranch_execz .LBB214_2702
; %bb.2695:                             ;   in Loop: Header=BB214_1581 Depth=1
	v_mov_b64_e32 v[12:13], 0x8000000000000000
	v_lshrrev_b32_e32 v17, 24, v16
	s_mov_b32 s9, exec_lo
	s_delay_alu instid0(VALU_DEP_1)
	v_cmpx_ne_u32_e32 0x80, v17
	s_cbranch_execz .LBB214_2701
; %bb.2696:                             ;   in Loop: Header=BB214_1581 Depth=1
	v_mov_b64_e32 v[12:13], 0x7f80000100000000
	v_bfe_u32 v16, v16, 24, 7
	s_mov_b32 s14, exec_lo
	s_delay_alu instid0(VALU_DEP_1)
	v_cmpx_ne_u32_e32 0x7f, v16
	s_cbranch_execz .LBB214_2700
; %bb.2697:                             ;   in Loop: Header=BB214_1581 Depth=1
	v_dual_lshrrev_b32 v12, 3, v16 :: v_dual_bitop2_b32 v24, 7, v17 bitop3:0x40
	s_mov_b32 s15, exec_lo
	v_cmpx_gt_u32_e32 8, v16
; %bb.2698:                             ;   in Loop: Header=BB214_1581 Depth=1
	s_delay_alu instid0(VALU_DEP_2) | instskip(NEXT) | instid1(VALU_DEP_1)
	v_clz_i32_u32_e32 v12, v24
	v_min_u32_e32 v12, 32, v12
	s_delay_alu instid0(VALU_DEP_1) | instskip(SKIP_1) | instid1(VALU_DEP_2)
	v_subrev_nc_u32_e32 v13, 28, v12
	v_sub_nc_u32_e32 v12, 29, v12
	v_lshlrev_b64_e32 v[20:21], v13, v[24:25]
	s_delay_alu instid0(VALU_DEP_1)
	v_and_b32_e32 v24, 7, v20
; %bb.2699:                             ;   in Loop: Header=BB214_1581 Depth=1
	s_or_b32 exec_lo, exec_lo, s15
	s_delay_alu instid0(VALU_DEP_1) | instskip(SKIP_1) | instid1(VALU_DEP_2)
	v_dual_lshlrev_b32 v13, 24, v17 :: v_dual_lshlrev_b32 v16, 20, v24
	v_lshl_add_u32 v12, v12, 23, 0x3c000000
	v_and_b32_e32 v13, 0x80000000, v13
	s_delay_alu instid0(VALU_DEP_1)
	v_or3_b32 v13, v16, v13, v12
	v_mov_b32_e32 v12, v25
.LBB214_2700:                           ;   in Loop: Header=BB214_1581 Depth=1
	s_or_b32 exec_lo, exec_lo, s14
.LBB214_2701:                           ;   in Loop: Header=BB214_1581 Depth=1
	s_delay_alu instid0(SALU_CYCLE_1)
	s_or_b32 exec_lo, exec_lo, s9
.LBB214_2702:                           ;   in Loop: Header=BB214_1581 Depth=1
	s_delay_alu instid0(SALU_CYCLE_1) | instskip(SKIP_4) | instid1(VALU_DEP_3)
	s_or_b32 exec_lo, exec_lo, s8
	v_or_b32_e32 v9, v9, v11
	v_or_b32_e32 v8, v8, v10
	;; [unrolled: 1-line block ×4, first 2 shown]
	v_pk_mul_f32 v[62:63], v[114:115], v[8:9]
	s_delay_alu instid0(VALU_DEP_2)
	v_pk_mul_f32 v[60:61], v[114:115], v[10:11]
	s_and_saveexec_b32 s8, vcc_lo
	s_cbranch_execz .LBB214_2704
; %bb.2703:                             ;   in Loop: Header=BB214_1581 Depth=1
	scratch_load_b64 v[8:9], off, s32 offset:200 ; 8-byte Folded Reload
	s_wait_loadcnt 0x0
	v_cmp_lt_i32_e64 s0, v29, v8
	s_delay_alu instid0(VALU_DEP_1) | instskip(SKIP_1) | instid1(VALU_DEP_1)
	v_cndmask_b32_e64 v62, 0, v62, s0
	v_cmp_lt_i32_e64 s0, v30, v8
	v_cndmask_b32_e64 v63, 0, v63, s0
	v_cmp_lt_i32_e64 s0, v32, v8
	s_delay_alu instid0(VALU_DEP_1) | instskip(SKIP_1) | instid1(VALU_DEP_1)
	v_cndmask_b32_e64 v60, 0, v60, s0
	v_cmp_lt_i32_e64 s0, v31, v8
	v_cndmask_b32_e64 v61, 0, v61, s0
.LBB214_2704:                           ;   in Loop: Header=BB214_1581 Depth=1
	s_wait_xcnt 0x0
	s_or_b32 exec_lo, exec_lo, s8
	flat_load_b32 v16, v[0:1] offset:4224
	v_mov_b64_e32 v[8:9], 0
	v_mov_b64_e32 v[10:11], 0
	s_mov_b32 s8, exec_lo
	s_wait_loadcnt_dscnt 0x0
	v_and_b32_e32 v12, 0xff, v16
	s_wait_xcnt 0x0
	s_delay_alu instid0(VALU_DEP_1)
	v_cmpx_ne_u16_e32 0, v12
	s_cbranch_execz .LBB214_2712
; %bb.2705:                             ;   in Loop: Header=BB214_1581 Depth=1
	v_mov_b64_e32 v[10:11], 0x80000000
	s_mov_b32 s9, exec_lo
	v_cmpx_ne_u16_e32 0x80, v12
	s_cbranch_execz .LBB214_2711
; %bb.2706:                             ;   in Loop: Header=BB214_1581 Depth=1
	v_mov_b64_e32 v[10:11], 0x7f800001
	v_and_b32_e32 v12, 0x7f, v16
	s_mov_b32 s14, exec_lo
	s_delay_alu instid0(VALU_DEP_1)
	v_cmpx_ne_u32_e32 0x7f, v12
	s_cbranch_execz .LBB214_2710
; %bb.2707:                             ;   in Loop: Header=BB214_1581 Depth=1
	v_and_b32_e32 v24, 7, v16
	v_lshrrev_b32_e32 v10, 3, v12
	s_mov_b32 s15, exec_lo
	v_cmpx_gt_u32_e32 8, v12
; %bb.2708:                             ;   in Loop: Header=BB214_1581 Depth=1
	s_delay_alu instid0(VALU_DEP_3) | instskip(NEXT) | instid1(VALU_DEP_1)
	v_clz_i32_u32_e32 v10, v24
	v_min_u32_e32 v10, 32, v10
	s_delay_alu instid0(VALU_DEP_1) | instskip(NEXT) | instid1(VALU_DEP_1)
	v_subrev_nc_u32_e32 v11, 28, v10
	v_lshlrev_b64_e32 v[12:13], v11, v[24:25]
	s_delay_alu instid0(VALU_DEP_1)
	v_dual_sub_nc_u32 v10, 29, v10 :: v_dual_bitop2_b32 v24, 7, v12 bitop3:0x40
; %bb.2709:                             ;   in Loop: Header=BB214_1581 Depth=1
	s_or_b32 exec_lo, exec_lo, s15
	v_lshlrev_b32_e32 v11, 24, v16
	s_delay_alu instid0(VALU_DEP_2) | instskip(NEXT) | instid1(VALU_DEP_3)
	v_lshlrev_b32_e32 v12, 20, v24
	v_lshl_add_u32 v10, v10, 23, 0x3c000000
	s_delay_alu instid0(VALU_DEP_3) | instskip(NEXT) | instid1(VALU_DEP_1)
	v_and_b32_e32 v11, 0x80000000, v11
	v_or3_b32 v24, v12, v11, v10
	s_delay_alu instid0(VALU_DEP_1)
	v_mov_b64_e32 v[10:11], v[24:25]
.LBB214_2710:                           ;   in Loop: Header=BB214_1581 Depth=1
	s_or_b32 exec_lo, exec_lo, s14
.LBB214_2711:                           ;   in Loop: Header=BB214_1581 Depth=1
	s_delay_alu instid0(SALU_CYCLE_1)
	s_or_b32 exec_lo, exec_lo, s9
.LBB214_2712:                           ;   in Loop: Header=BB214_1581 Depth=1
	s_delay_alu instid0(SALU_CYCLE_1) | instskip(SKIP_2) | instid1(VALU_DEP_1)
	s_or_b32 exec_lo, exec_lo, s8
	v_lshrrev_b16 v12, 8, v16
	s_mov_b32 s8, exec_lo
	v_cmpx_ne_u16_e32 0, v12
	s_cbranch_execz .LBB214_2720
; %bb.2713:                             ;   in Loop: Header=BB214_1581 Depth=1
	v_mov_b64_e32 v[8:9], 0x8000000000000000
	s_mov_b32 s9, exec_lo
	v_cmpx_ne_u16_e32 0x80, v12
	s_cbranch_execz .LBB214_2719
; %bb.2714:                             ;   in Loop: Header=BB214_1581 Depth=1
	v_and_b32_e32 v13, 0xffff, v12
	v_mov_b64_e32 v[8:9], 0x7f80000100000000
	s_mov_b32 s14, exec_lo
	s_delay_alu instid0(VALU_DEP_2) | instskip(NEXT) | instid1(VALU_DEP_1)
	v_and_b32_e32 v12, 0x7f, v13
	v_cmpx_ne_u32_e32 0x7f, v12
	s_cbranch_execz .LBB214_2718
; %bb.2715:                             ;   in Loop: Header=BB214_1581 Depth=1
	v_dual_lshrrev_b32 v8, 3, v12 :: v_dual_bitop2_b32 v24, 7, v13 bitop3:0x40
	s_mov_b32 s15, exec_lo
	v_cmpx_gt_u32_e32 8, v12
; %bb.2716:                             ;   in Loop: Header=BB214_1581 Depth=1
	s_delay_alu instid0(VALU_DEP_2) | instskip(NEXT) | instid1(VALU_DEP_1)
	v_clz_i32_u32_e32 v8, v24
	v_min_u32_e32 v8, 32, v8
	s_delay_alu instid0(VALU_DEP_1) | instskip(SKIP_1) | instid1(VALU_DEP_2)
	v_subrev_nc_u32_e32 v9, 28, v8
	v_sub_nc_u32_e32 v8, 29, v8
	v_lshlrev_b64_e32 v[12:13], v9, v[24:25]
	s_delay_alu instid0(VALU_DEP_1)
	v_and_b32_e32 v24, 7, v12
; %bb.2717:                             ;   in Loop: Header=BB214_1581 Depth=1
	s_or_b32 exec_lo, exec_lo, s15
	v_lshlrev_b32_e32 v9, 16, v16
	s_delay_alu instid0(VALU_DEP_2) | instskip(SKIP_1) | instid1(VALU_DEP_3)
	v_lshlrev_b32_e32 v12, 20, v24
	v_lshl_add_u32 v8, v8, 23, 0x3c000000
	v_and_b32_e32 v9, 0x80000000, v9
	s_delay_alu instid0(VALU_DEP_1)
	v_or3_b32 v9, v12, v9, v8
	v_mov_b32_e32 v8, v25
.LBB214_2718:                           ;   in Loop: Header=BB214_1581 Depth=1
	s_or_b32 exec_lo, exec_lo, s14
.LBB214_2719:                           ;   in Loop: Header=BB214_1581 Depth=1
	s_delay_alu instid0(SALU_CYCLE_1)
	s_or_b32 exec_lo, exec_lo, s9
.LBB214_2720:                           ;   in Loop: Header=BB214_1581 Depth=1
	s_delay_alu instid0(SALU_CYCLE_1) | instskip(SKIP_4) | instid1(VALU_DEP_3)
	s_or_b32 exec_lo, exec_lo, s8
	v_lshrrev_b32_e32 v17, 16, v16
	v_mov_b64_e32 v[12:13], 0
	v_mov_b64_e32 v[14:15], 0
	s_mov_b32 s8, exec_lo
	v_and_b32_e32 v20, 0xff, v17
	s_delay_alu instid0(VALU_DEP_1)
	v_cmpx_ne_u16_e32 0, v20
	s_cbranch_execz .LBB214_2728
; %bb.2721:                             ;   in Loop: Header=BB214_1581 Depth=1
	v_mov_b64_e32 v[14:15], 0x80000000
	s_mov_b32 s9, exec_lo
	v_cmpx_ne_u16_e32 0x80, v20
	s_cbranch_execz .LBB214_2727
; %bb.2722:                             ;   in Loop: Header=BB214_1581 Depth=1
	v_mov_b64_e32 v[14:15], 0x7f800001
	v_bfe_u32 v20, v16, 16, 7
	s_mov_b32 s14, exec_lo
	s_delay_alu instid0(VALU_DEP_1)
	v_cmpx_ne_u32_e32 0x7f, v20
	s_cbranch_execz .LBB214_2726
; %bb.2723:                             ;   in Loop: Header=BB214_1581 Depth=1
	v_dual_lshrrev_b32 v14, 3, v20 :: v_dual_bitop2_b32 v24, 7, v17 bitop3:0x40
	s_mov_b32 s15, exec_lo
	v_cmpx_gt_u32_e32 8, v20
; %bb.2724:                             ;   in Loop: Header=BB214_1581 Depth=1
	s_delay_alu instid0(VALU_DEP_2) | instskip(NEXT) | instid1(VALU_DEP_1)
	v_clz_i32_u32_e32 v14, v24
	v_min_u32_e32 v14, 32, v14
	s_delay_alu instid0(VALU_DEP_1) | instskip(NEXT) | instid1(VALU_DEP_1)
	v_subrev_nc_u32_e32 v15, 28, v14
	v_lshlrev_b64_e32 v[20:21], v15, v[24:25]
	s_delay_alu instid0(VALU_DEP_1)
	v_dual_sub_nc_u32 v14, 29, v14 :: v_dual_bitop2_b32 v24, 7, v20 bitop3:0x40
; %bb.2725:                             ;   in Loop: Header=BB214_1581 Depth=1
	s_or_b32 exec_lo, exec_lo, s15
	s_delay_alu instid0(VALU_DEP_1) | instskip(NEXT) | instid1(VALU_DEP_2)
	v_dual_lshlrev_b32 v15, 24, v17 :: v_dual_lshlrev_b32 v17, 20, v24
	v_lshl_add_u32 v14, v14, 23, 0x3c000000
	s_delay_alu instid0(VALU_DEP_2) | instskip(NEXT) | instid1(VALU_DEP_1)
	v_and_b32_e32 v15, 0x80000000, v15
	v_or3_b32 v24, v17, v15, v14
	s_delay_alu instid0(VALU_DEP_1)
	v_mov_b64_e32 v[14:15], v[24:25]
.LBB214_2726:                           ;   in Loop: Header=BB214_1581 Depth=1
	s_or_b32 exec_lo, exec_lo, s14
.LBB214_2727:                           ;   in Loop: Header=BB214_1581 Depth=1
	s_delay_alu instid0(SALU_CYCLE_1)
	s_or_b32 exec_lo, exec_lo, s9
.LBB214_2728:                           ;   in Loop: Header=BB214_1581 Depth=1
	s_delay_alu instid0(SALU_CYCLE_1) | instskip(NEXT) | instid1(SALU_CYCLE_1)
	s_or_b32 exec_lo, exec_lo, s8
	s_mov_b32 s8, exec_lo
	v_cmpx_lt_u32_e32 0xffffff, v16
	s_cbranch_execz .LBB214_2736
; %bb.2729:                             ;   in Loop: Header=BB214_1581 Depth=1
	v_mov_b64_e32 v[12:13], 0x8000000000000000
	v_lshrrev_b32_e32 v17, 24, v16
	s_mov_b32 s9, exec_lo
	s_delay_alu instid0(VALU_DEP_1)
	v_cmpx_ne_u32_e32 0x80, v17
	s_cbranch_execz .LBB214_2735
; %bb.2730:                             ;   in Loop: Header=BB214_1581 Depth=1
	v_mov_b64_e32 v[12:13], 0x7f80000100000000
	v_bfe_u32 v16, v16, 24, 7
	s_mov_b32 s14, exec_lo
	s_delay_alu instid0(VALU_DEP_1)
	v_cmpx_ne_u32_e32 0x7f, v16
	s_cbranch_execz .LBB214_2734
; %bb.2731:                             ;   in Loop: Header=BB214_1581 Depth=1
	v_dual_lshrrev_b32 v12, 3, v16 :: v_dual_bitop2_b32 v24, 7, v17 bitop3:0x40
	s_mov_b32 s15, exec_lo
	v_cmpx_gt_u32_e32 8, v16
; %bb.2732:                             ;   in Loop: Header=BB214_1581 Depth=1
	s_delay_alu instid0(VALU_DEP_2) | instskip(NEXT) | instid1(VALU_DEP_1)
	v_clz_i32_u32_e32 v12, v24
	v_min_u32_e32 v12, 32, v12
	s_delay_alu instid0(VALU_DEP_1) | instskip(SKIP_1) | instid1(VALU_DEP_2)
	v_subrev_nc_u32_e32 v13, 28, v12
	v_sub_nc_u32_e32 v12, 29, v12
	v_lshlrev_b64_e32 v[20:21], v13, v[24:25]
	s_delay_alu instid0(VALU_DEP_1)
	v_and_b32_e32 v24, 7, v20
; %bb.2733:                             ;   in Loop: Header=BB214_1581 Depth=1
	s_or_b32 exec_lo, exec_lo, s15
	s_delay_alu instid0(VALU_DEP_1) | instskip(SKIP_1) | instid1(VALU_DEP_2)
	v_dual_lshlrev_b32 v13, 24, v17 :: v_dual_lshlrev_b32 v16, 20, v24
	v_lshl_add_u32 v12, v12, 23, 0x3c000000
	v_and_b32_e32 v13, 0x80000000, v13
	s_delay_alu instid0(VALU_DEP_1)
	v_or3_b32 v13, v16, v13, v12
	v_mov_b32_e32 v12, v25
.LBB214_2734:                           ;   in Loop: Header=BB214_1581 Depth=1
	s_or_b32 exec_lo, exec_lo, s14
.LBB214_2735:                           ;   in Loop: Header=BB214_1581 Depth=1
	s_delay_alu instid0(SALU_CYCLE_1)
	s_or_b32 exec_lo, exec_lo, s9
.LBB214_2736:                           ;   in Loop: Header=BB214_1581 Depth=1
	s_delay_alu instid0(SALU_CYCLE_1) | instskip(SKIP_4) | instid1(VALU_DEP_3)
	s_or_b32 exec_lo, exec_lo, s8
	v_or_b32_e32 v9, v9, v11
	v_or_b32_e32 v8, v8, v10
	;; [unrolled: 1-line block ×4, first 2 shown]
	v_pk_mul_f32 v[74:75], v[114:115], v[8:9]
	s_delay_alu instid0(VALU_DEP_2)
	v_pk_mul_f32 v[72:73], v[114:115], v[10:11]
	s_and_saveexec_b32 s8, vcc_lo
	s_cbranch_execz .LBB214_2738
; %bb.2737:                             ;   in Loop: Header=BB214_1581 Depth=1
	scratch_load_b64 v[8:9], off, s32 offset:200 ; 8-byte Folded Reload
	s_wait_loadcnt 0x0
	v_cmp_lt_i32_e64 s0, v29, v8
	s_delay_alu instid0(VALU_DEP_1) | instskip(SKIP_1) | instid1(VALU_DEP_1)
	v_cndmask_b32_e64 v74, 0, v74, s0
	v_cmp_lt_i32_e64 s0, v30, v8
	v_cndmask_b32_e64 v75, 0, v75, s0
	v_cmp_lt_i32_e64 s0, v32, v8
	s_delay_alu instid0(VALU_DEP_1) | instskip(SKIP_1) | instid1(VALU_DEP_1)
	v_cndmask_b32_e64 v72, 0, v72, s0
	v_cmp_lt_i32_e64 s0, v31, v8
	v_cndmask_b32_e64 v73, 0, v73, s0
.LBB214_2738:                           ;   in Loop: Header=BB214_1581 Depth=1
	s_wait_xcnt 0x0
	s_or_b32 exec_lo, exec_lo, s8
	flat_load_b32 v16, v[0:1] offset:4352
	v_mov_b64_e32 v[8:9], 0
	v_mov_b64_e32 v[10:11], 0
	s_mov_b32 s8, exec_lo
	s_wait_loadcnt_dscnt 0x0
	v_and_b32_e32 v12, 0xff, v16
	s_wait_xcnt 0x0
	s_delay_alu instid0(VALU_DEP_1)
	v_cmpx_ne_u16_e32 0, v12
	s_cbranch_execz .LBB214_2746
; %bb.2739:                             ;   in Loop: Header=BB214_1581 Depth=1
	v_mov_b64_e32 v[10:11], 0x80000000
	s_mov_b32 s9, exec_lo
	v_cmpx_ne_u16_e32 0x80, v12
	s_cbranch_execz .LBB214_2745
; %bb.2740:                             ;   in Loop: Header=BB214_1581 Depth=1
	v_mov_b64_e32 v[10:11], 0x7f800001
	v_and_b32_e32 v12, 0x7f, v16
	s_mov_b32 s14, exec_lo
	s_delay_alu instid0(VALU_DEP_1)
	v_cmpx_ne_u32_e32 0x7f, v12
	s_cbranch_execz .LBB214_2744
; %bb.2741:                             ;   in Loop: Header=BB214_1581 Depth=1
	v_and_b32_e32 v24, 7, v16
	v_lshrrev_b32_e32 v10, 3, v12
	s_mov_b32 s15, exec_lo
	v_cmpx_gt_u32_e32 8, v12
; %bb.2742:                             ;   in Loop: Header=BB214_1581 Depth=1
	s_delay_alu instid0(VALU_DEP_3) | instskip(NEXT) | instid1(VALU_DEP_1)
	v_clz_i32_u32_e32 v10, v24
	v_min_u32_e32 v10, 32, v10
	s_delay_alu instid0(VALU_DEP_1) | instskip(NEXT) | instid1(VALU_DEP_1)
	v_subrev_nc_u32_e32 v11, 28, v10
	v_lshlrev_b64_e32 v[12:13], v11, v[24:25]
	s_delay_alu instid0(VALU_DEP_1)
	v_dual_sub_nc_u32 v10, 29, v10 :: v_dual_bitop2_b32 v24, 7, v12 bitop3:0x40
; %bb.2743:                             ;   in Loop: Header=BB214_1581 Depth=1
	s_or_b32 exec_lo, exec_lo, s15
	v_lshlrev_b32_e32 v11, 24, v16
	s_delay_alu instid0(VALU_DEP_2) | instskip(NEXT) | instid1(VALU_DEP_3)
	v_lshlrev_b32_e32 v12, 20, v24
	v_lshl_add_u32 v10, v10, 23, 0x3c000000
	s_delay_alu instid0(VALU_DEP_3) | instskip(NEXT) | instid1(VALU_DEP_1)
	v_and_b32_e32 v11, 0x80000000, v11
	v_or3_b32 v24, v12, v11, v10
	s_delay_alu instid0(VALU_DEP_1)
	v_mov_b64_e32 v[10:11], v[24:25]
.LBB214_2744:                           ;   in Loop: Header=BB214_1581 Depth=1
	s_or_b32 exec_lo, exec_lo, s14
.LBB214_2745:                           ;   in Loop: Header=BB214_1581 Depth=1
	s_delay_alu instid0(SALU_CYCLE_1)
	s_or_b32 exec_lo, exec_lo, s9
.LBB214_2746:                           ;   in Loop: Header=BB214_1581 Depth=1
	s_delay_alu instid0(SALU_CYCLE_1) | instskip(SKIP_2) | instid1(VALU_DEP_1)
	s_or_b32 exec_lo, exec_lo, s8
	v_lshrrev_b16 v12, 8, v16
	s_mov_b32 s8, exec_lo
	v_cmpx_ne_u16_e32 0, v12
	s_cbranch_execz .LBB214_2754
; %bb.2747:                             ;   in Loop: Header=BB214_1581 Depth=1
	v_mov_b64_e32 v[8:9], 0x8000000000000000
	s_mov_b32 s9, exec_lo
	v_cmpx_ne_u16_e32 0x80, v12
	s_cbranch_execz .LBB214_2753
; %bb.2748:                             ;   in Loop: Header=BB214_1581 Depth=1
	v_and_b32_e32 v13, 0xffff, v12
	v_mov_b64_e32 v[8:9], 0x7f80000100000000
	s_mov_b32 s14, exec_lo
	s_delay_alu instid0(VALU_DEP_2) | instskip(NEXT) | instid1(VALU_DEP_1)
	v_and_b32_e32 v12, 0x7f, v13
	v_cmpx_ne_u32_e32 0x7f, v12
	s_cbranch_execz .LBB214_2752
; %bb.2749:                             ;   in Loop: Header=BB214_1581 Depth=1
	v_dual_lshrrev_b32 v8, 3, v12 :: v_dual_bitop2_b32 v24, 7, v13 bitop3:0x40
	s_mov_b32 s15, exec_lo
	v_cmpx_gt_u32_e32 8, v12
; %bb.2750:                             ;   in Loop: Header=BB214_1581 Depth=1
	s_delay_alu instid0(VALU_DEP_2) | instskip(NEXT) | instid1(VALU_DEP_1)
	v_clz_i32_u32_e32 v8, v24
	v_min_u32_e32 v8, 32, v8
	s_delay_alu instid0(VALU_DEP_1) | instskip(SKIP_1) | instid1(VALU_DEP_2)
	v_subrev_nc_u32_e32 v9, 28, v8
	v_sub_nc_u32_e32 v8, 29, v8
	v_lshlrev_b64_e32 v[12:13], v9, v[24:25]
	s_delay_alu instid0(VALU_DEP_1)
	v_and_b32_e32 v24, 7, v12
; %bb.2751:                             ;   in Loop: Header=BB214_1581 Depth=1
	s_or_b32 exec_lo, exec_lo, s15
	v_lshlrev_b32_e32 v9, 16, v16
	s_delay_alu instid0(VALU_DEP_2) | instskip(SKIP_1) | instid1(VALU_DEP_3)
	v_lshlrev_b32_e32 v12, 20, v24
	v_lshl_add_u32 v8, v8, 23, 0x3c000000
	v_and_b32_e32 v9, 0x80000000, v9
	s_delay_alu instid0(VALU_DEP_1)
	v_or3_b32 v9, v12, v9, v8
	v_mov_b32_e32 v8, v25
.LBB214_2752:                           ;   in Loop: Header=BB214_1581 Depth=1
	s_or_b32 exec_lo, exec_lo, s14
.LBB214_2753:                           ;   in Loop: Header=BB214_1581 Depth=1
	s_delay_alu instid0(SALU_CYCLE_1)
	s_or_b32 exec_lo, exec_lo, s9
.LBB214_2754:                           ;   in Loop: Header=BB214_1581 Depth=1
	s_delay_alu instid0(SALU_CYCLE_1) | instskip(SKIP_4) | instid1(VALU_DEP_3)
	s_or_b32 exec_lo, exec_lo, s8
	v_lshrrev_b32_e32 v17, 16, v16
	v_mov_b64_e32 v[12:13], 0
	v_mov_b64_e32 v[14:15], 0
	s_mov_b32 s8, exec_lo
	v_and_b32_e32 v20, 0xff, v17
	s_delay_alu instid0(VALU_DEP_1)
	v_cmpx_ne_u16_e32 0, v20
	s_cbranch_execz .LBB214_2762
; %bb.2755:                             ;   in Loop: Header=BB214_1581 Depth=1
	v_mov_b64_e32 v[14:15], 0x80000000
	s_mov_b32 s9, exec_lo
	v_cmpx_ne_u16_e32 0x80, v20
	s_cbranch_execz .LBB214_2761
; %bb.2756:                             ;   in Loop: Header=BB214_1581 Depth=1
	v_mov_b64_e32 v[14:15], 0x7f800001
	v_bfe_u32 v20, v16, 16, 7
	s_mov_b32 s14, exec_lo
	s_delay_alu instid0(VALU_DEP_1)
	v_cmpx_ne_u32_e32 0x7f, v20
	s_cbranch_execz .LBB214_2760
; %bb.2757:                             ;   in Loop: Header=BB214_1581 Depth=1
	v_dual_lshrrev_b32 v14, 3, v20 :: v_dual_bitop2_b32 v24, 7, v17 bitop3:0x40
	s_mov_b32 s15, exec_lo
	v_cmpx_gt_u32_e32 8, v20
; %bb.2758:                             ;   in Loop: Header=BB214_1581 Depth=1
	s_delay_alu instid0(VALU_DEP_2) | instskip(NEXT) | instid1(VALU_DEP_1)
	v_clz_i32_u32_e32 v14, v24
	v_min_u32_e32 v14, 32, v14
	s_delay_alu instid0(VALU_DEP_1) | instskip(NEXT) | instid1(VALU_DEP_1)
	v_subrev_nc_u32_e32 v15, 28, v14
	v_lshlrev_b64_e32 v[20:21], v15, v[24:25]
	s_delay_alu instid0(VALU_DEP_1)
	v_dual_sub_nc_u32 v14, 29, v14 :: v_dual_bitop2_b32 v24, 7, v20 bitop3:0x40
; %bb.2759:                             ;   in Loop: Header=BB214_1581 Depth=1
	s_or_b32 exec_lo, exec_lo, s15
	s_delay_alu instid0(VALU_DEP_1) | instskip(NEXT) | instid1(VALU_DEP_2)
	v_dual_lshlrev_b32 v15, 24, v17 :: v_dual_lshlrev_b32 v17, 20, v24
	v_lshl_add_u32 v14, v14, 23, 0x3c000000
	s_delay_alu instid0(VALU_DEP_2) | instskip(NEXT) | instid1(VALU_DEP_1)
	v_and_b32_e32 v15, 0x80000000, v15
	v_or3_b32 v24, v17, v15, v14
	s_delay_alu instid0(VALU_DEP_1)
	v_mov_b64_e32 v[14:15], v[24:25]
.LBB214_2760:                           ;   in Loop: Header=BB214_1581 Depth=1
	s_or_b32 exec_lo, exec_lo, s14
.LBB214_2761:                           ;   in Loop: Header=BB214_1581 Depth=1
	s_delay_alu instid0(SALU_CYCLE_1)
	s_or_b32 exec_lo, exec_lo, s9
.LBB214_2762:                           ;   in Loop: Header=BB214_1581 Depth=1
	s_delay_alu instid0(SALU_CYCLE_1) | instskip(NEXT) | instid1(SALU_CYCLE_1)
	s_or_b32 exec_lo, exec_lo, s8
	s_mov_b32 s8, exec_lo
	v_cmpx_lt_u32_e32 0xffffff, v16
	s_cbranch_execz .LBB214_2770
; %bb.2763:                             ;   in Loop: Header=BB214_1581 Depth=1
	v_mov_b64_e32 v[12:13], 0x8000000000000000
	v_lshrrev_b32_e32 v17, 24, v16
	s_mov_b32 s9, exec_lo
	s_delay_alu instid0(VALU_DEP_1)
	v_cmpx_ne_u32_e32 0x80, v17
	s_cbranch_execz .LBB214_2769
; %bb.2764:                             ;   in Loop: Header=BB214_1581 Depth=1
	v_mov_b64_e32 v[12:13], 0x7f80000100000000
	v_bfe_u32 v16, v16, 24, 7
	s_mov_b32 s14, exec_lo
	s_delay_alu instid0(VALU_DEP_1)
	v_cmpx_ne_u32_e32 0x7f, v16
	s_cbranch_execz .LBB214_2768
; %bb.2765:                             ;   in Loop: Header=BB214_1581 Depth=1
	v_dual_lshrrev_b32 v12, 3, v16 :: v_dual_bitop2_b32 v24, 7, v17 bitop3:0x40
	s_mov_b32 s15, exec_lo
	v_cmpx_gt_u32_e32 8, v16
; %bb.2766:                             ;   in Loop: Header=BB214_1581 Depth=1
	s_delay_alu instid0(VALU_DEP_2) | instskip(NEXT) | instid1(VALU_DEP_1)
	v_clz_i32_u32_e32 v12, v24
	v_min_u32_e32 v12, 32, v12
	s_delay_alu instid0(VALU_DEP_1) | instskip(SKIP_1) | instid1(VALU_DEP_2)
	v_subrev_nc_u32_e32 v13, 28, v12
	v_sub_nc_u32_e32 v12, 29, v12
	v_lshlrev_b64_e32 v[20:21], v13, v[24:25]
	s_delay_alu instid0(VALU_DEP_1)
	v_and_b32_e32 v24, 7, v20
; %bb.2767:                             ;   in Loop: Header=BB214_1581 Depth=1
	s_or_b32 exec_lo, exec_lo, s15
	s_delay_alu instid0(VALU_DEP_1) | instskip(SKIP_1) | instid1(VALU_DEP_2)
	v_dual_lshlrev_b32 v13, 24, v17 :: v_dual_lshlrev_b32 v16, 20, v24
	v_lshl_add_u32 v12, v12, 23, 0x3c000000
	v_and_b32_e32 v13, 0x80000000, v13
	s_delay_alu instid0(VALU_DEP_1)
	v_or3_b32 v13, v16, v13, v12
	v_mov_b32_e32 v12, v25
.LBB214_2768:                           ;   in Loop: Header=BB214_1581 Depth=1
	s_or_b32 exec_lo, exec_lo, s14
.LBB214_2769:                           ;   in Loop: Header=BB214_1581 Depth=1
	s_delay_alu instid0(SALU_CYCLE_1)
	s_or_b32 exec_lo, exec_lo, s9
.LBB214_2770:                           ;   in Loop: Header=BB214_1581 Depth=1
	s_delay_alu instid0(SALU_CYCLE_1) | instskip(SKIP_4) | instid1(VALU_DEP_3)
	s_or_b32 exec_lo, exec_lo, s8
	v_or_b32_e32 v9, v9, v11
	v_or_b32_e32 v8, v8, v10
	;; [unrolled: 1-line block ×4, first 2 shown]
	v_pk_mul_f32 v[78:79], v[114:115], v[8:9]
	s_delay_alu instid0(VALU_DEP_2)
	v_pk_mul_f32 v[76:77], v[114:115], v[10:11]
	s_and_saveexec_b32 s8, vcc_lo
	s_cbranch_execz .LBB214_2772
; %bb.2771:                             ;   in Loop: Header=BB214_1581 Depth=1
	scratch_load_b64 v[8:9], off, s32 offset:200 ; 8-byte Folded Reload
	s_wait_loadcnt 0x0
	v_cmp_lt_i32_e64 s0, v29, v8
	s_delay_alu instid0(VALU_DEP_1) | instskip(SKIP_1) | instid1(VALU_DEP_1)
	v_cndmask_b32_e64 v78, 0, v78, s0
	v_cmp_lt_i32_e64 s0, v30, v8
	v_cndmask_b32_e64 v79, 0, v79, s0
	v_cmp_lt_i32_e64 s0, v32, v8
	s_delay_alu instid0(VALU_DEP_1) | instskip(SKIP_1) | instid1(VALU_DEP_1)
	v_cndmask_b32_e64 v76, 0, v76, s0
	v_cmp_lt_i32_e64 s0, v31, v8
	v_cndmask_b32_e64 v77, 0, v77, s0
.LBB214_2772:                           ;   in Loop: Header=BB214_1581 Depth=1
	s_wait_xcnt 0x0
	s_or_b32 exec_lo, exec_lo, s8
	flat_load_b32 v16, v[0:1] offset:4480
	v_mov_b64_e32 v[8:9], 0
	v_mov_b64_e32 v[10:11], 0
	s_mov_b32 s8, exec_lo
	s_wait_loadcnt_dscnt 0x0
	v_and_b32_e32 v12, 0xff, v16
	s_wait_xcnt 0x0
	s_delay_alu instid0(VALU_DEP_1)
	v_cmpx_ne_u16_e32 0, v12
	s_cbranch_execz .LBB214_2780
; %bb.2773:                             ;   in Loop: Header=BB214_1581 Depth=1
	v_mov_b64_e32 v[10:11], 0x80000000
	s_mov_b32 s9, exec_lo
	v_cmpx_ne_u16_e32 0x80, v12
	s_cbranch_execz .LBB214_2779
; %bb.2774:                             ;   in Loop: Header=BB214_1581 Depth=1
	v_mov_b64_e32 v[10:11], 0x7f800001
	v_and_b32_e32 v12, 0x7f, v16
	s_mov_b32 s14, exec_lo
	s_delay_alu instid0(VALU_DEP_1)
	v_cmpx_ne_u32_e32 0x7f, v12
	s_cbranch_execz .LBB214_2778
; %bb.2775:                             ;   in Loop: Header=BB214_1581 Depth=1
	v_and_b32_e32 v24, 7, v16
	v_lshrrev_b32_e32 v10, 3, v12
	s_mov_b32 s15, exec_lo
	v_cmpx_gt_u32_e32 8, v12
; %bb.2776:                             ;   in Loop: Header=BB214_1581 Depth=1
	s_delay_alu instid0(VALU_DEP_3) | instskip(NEXT) | instid1(VALU_DEP_1)
	v_clz_i32_u32_e32 v10, v24
	v_min_u32_e32 v10, 32, v10
	s_delay_alu instid0(VALU_DEP_1) | instskip(NEXT) | instid1(VALU_DEP_1)
	v_subrev_nc_u32_e32 v11, 28, v10
	v_lshlrev_b64_e32 v[12:13], v11, v[24:25]
	s_delay_alu instid0(VALU_DEP_1)
	v_dual_sub_nc_u32 v10, 29, v10 :: v_dual_bitop2_b32 v24, 7, v12 bitop3:0x40
; %bb.2777:                             ;   in Loop: Header=BB214_1581 Depth=1
	s_or_b32 exec_lo, exec_lo, s15
	v_lshlrev_b32_e32 v11, 24, v16
	s_delay_alu instid0(VALU_DEP_2) | instskip(NEXT) | instid1(VALU_DEP_3)
	v_lshlrev_b32_e32 v12, 20, v24
	v_lshl_add_u32 v10, v10, 23, 0x3c000000
	s_delay_alu instid0(VALU_DEP_3) | instskip(NEXT) | instid1(VALU_DEP_1)
	v_and_b32_e32 v11, 0x80000000, v11
	v_or3_b32 v24, v12, v11, v10
	s_delay_alu instid0(VALU_DEP_1)
	v_mov_b64_e32 v[10:11], v[24:25]
.LBB214_2778:                           ;   in Loop: Header=BB214_1581 Depth=1
	s_or_b32 exec_lo, exec_lo, s14
.LBB214_2779:                           ;   in Loop: Header=BB214_1581 Depth=1
	s_delay_alu instid0(SALU_CYCLE_1)
	s_or_b32 exec_lo, exec_lo, s9
.LBB214_2780:                           ;   in Loop: Header=BB214_1581 Depth=1
	s_delay_alu instid0(SALU_CYCLE_1) | instskip(SKIP_2) | instid1(VALU_DEP_1)
	s_or_b32 exec_lo, exec_lo, s8
	v_lshrrev_b16 v12, 8, v16
	s_mov_b32 s8, exec_lo
	v_cmpx_ne_u16_e32 0, v12
	s_cbranch_execz .LBB214_2788
; %bb.2781:                             ;   in Loop: Header=BB214_1581 Depth=1
	v_mov_b64_e32 v[8:9], 0x8000000000000000
	s_mov_b32 s9, exec_lo
	v_cmpx_ne_u16_e32 0x80, v12
	s_cbranch_execz .LBB214_2787
; %bb.2782:                             ;   in Loop: Header=BB214_1581 Depth=1
	v_and_b32_e32 v13, 0xffff, v12
	v_mov_b64_e32 v[8:9], 0x7f80000100000000
	s_mov_b32 s14, exec_lo
	s_delay_alu instid0(VALU_DEP_2) | instskip(NEXT) | instid1(VALU_DEP_1)
	v_and_b32_e32 v12, 0x7f, v13
	v_cmpx_ne_u32_e32 0x7f, v12
	s_cbranch_execz .LBB214_2786
; %bb.2783:                             ;   in Loop: Header=BB214_1581 Depth=1
	v_dual_lshrrev_b32 v8, 3, v12 :: v_dual_bitop2_b32 v24, 7, v13 bitop3:0x40
	s_mov_b32 s15, exec_lo
	v_cmpx_gt_u32_e32 8, v12
; %bb.2784:                             ;   in Loop: Header=BB214_1581 Depth=1
	s_delay_alu instid0(VALU_DEP_2) | instskip(NEXT) | instid1(VALU_DEP_1)
	v_clz_i32_u32_e32 v8, v24
	v_min_u32_e32 v8, 32, v8
	s_delay_alu instid0(VALU_DEP_1) | instskip(SKIP_1) | instid1(VALU_DEP_2)
	v_subrev_nc_u32_e32 v9, 28, v8
	v_sub_nc_u32_e32 v8, 29, v8
	v_lshlrev_b64_e32 v[12:13], v9, v[24:25]
	s_delay_alu instid0(VALU_DEP_1)
	v_and_b32_e32 v24, 7, v12
; %bb.2785:                             ;   in Loop: Header=BB214_1581 Depth=1
	s_or_b32 exec_lo, exec_lo, s15
	v_lshlrev_b32_e32 v9, 16, v16
	s_delay_alu instid0(VALU_DEP_2) | instskip(SKIP_1) | instid1(VALU_DEP_3)
	v_lshlrev_b32_e32 v12, 20, v24
	v_lshl_add_u32 v8, v8, 23, 0x3c000000
	v_and_b32_e32 v9, 0x80000000, v9
	s_delay_alu instid0(VALU_DEP_1)
	v_or3_b32 v9, v12, v9, v8
	v_mov_b32_e32 v8, v25
.LBB214_2786:                           ;   in Loop: Header=BB214_1581 Depth=1
	s_or_b32 exec_lo, exec_lo, s14
.LBB214_2787:                           ;   in Loop: Header=BB214_1581 Depth=1
	s_delay_alu instid0(SALU_CYCLE_1)
	s_or_b32 exec_lo, exec_lo, s9
.LBB214_2788:                           ;   in Loop: Header=BB214_1581 Depth=1
	s_delay_alu instid0(SALU_CYCLE_1) | instskip(SKIP_4) | instid1(VALU_DEP_3)
	s_or_b32 exec_lo, exec_lo, s8
	v_lshrrev_b32_e32 v17, 16, v16
	v_mov_b64_e32 v[12:13], 0
	v_mov_b64_e32 v[14:15], 0
	s_mov_b32 s8, exec_lo
	v_and_b32_e32 v20, 0xff, v17
	s_delay_alu instid0(VALU_DEP_1)
	v_cmpx_ne_u16_e32 0, v20
	s_cbranch_execz .LBB214_2796
; %bb.2789:                             ;   in Loop: Header=BB214_1581 Depth=1
	v_mov_b64_e32 v[14:15], 0x80000000
	s_mov_b32 s9, exec_lo
	v_cmpx_ne_u16_e32 0x80, v20
	s_cbranch_execz .LBB214_2795
; %bb.2790:                             ;   in Loop: Header=BB214_1581 Depth=1
	v_mov_b64_e32 v[14:15], 0x7f800001
	v_bfe_u32 v20, v16, 16, 7
	s_mov_b32 s14, exec_lo
	s_delay_alu instid0(VALU_DEP_1)
	v_cmpx_ne_u32_e32 0x7f, v20
	s_cbranch_execz .LBB214_2794
; %bb.2791:                             ;   in Loop: Header=BB214_1581 Depth=1
	v_dual_lshrrev_b32 v14, 3, v20 :: v_dual_bitop2_b32 v24, 7, v17 bitop3:0x40
	s_mov_b32 s15, exec_lo
	v_cmpx_gt_u32_e32 8, v20
; %bb.2792:                             ;   in Loop: Header=BB214_1581 Depth=1
	s_delay_alu instid0(VALU_DEP_2) | instskip(NEXT) | instid1(VALU_DEP_1)
	v_clz_i32_u32_e32 v14, v24
	v_min_u32_e32 v14, 32, v14
	s_delay_alu instid0(VALU_DEP_1) | instskip(NEXT) | instid1(VALU_DEP_1)
	v_subrev_nc_u32_e32 v15, 28, v14
	v_lshlrev_b64_e32 v[20:21], v15, v[24:25]
	s_delay_alu instid0(VALU_DEP_1)
	v_dual_sub_nc_u32 v14, 29, v14 :: v_dual_bitop2_b32 v24, 7, v20 bitop3:0x40
; %bb.2793:                             ;   in Loop: Header=BB214_1581 Depth=1
	s_or_b32 exec_lo, exec_lo, s15
	s_delay_alu instid0(VALU_DEP_1) | instskip(NEXT) | instid1(VALU_DEP_2)
	v_dual_lshlrev_b32 v15, 24, v17 :: v_dual_lshlrev_b32 v17, 20, v24
	v_lshl_add_u32 v14, v14, 23, 0x3c000000
	s_delay_alu instid0(VALU_DEP_2) | instskip(NEXT) | instid1(VALU_DEP_1)
	v_and_b32_e32 v15, 0x80000000, v15
	v_or3_b32 v24, v17, v15, v14
	s_delay_alu instid0(VALU_DEP_1)
	v_mov_b64_e32 v[14:15], v[24:25]
.LBB214_2794:                           ;   in Loop: Header=BB214_1581 Depth=1
	s_or_b32 exec_lo, exec_lo, s14
.LBB214_2795:                           ;   in Loop: Header=BB214_1581 Depth=1
	s_delay_alu instid0(SALU_CYCLE_1)
	s_or_b32 exec_lo, exec_lo, s9
.LBB214_2796:                           ;   in Loop: Header=BB214_1581 Depth=1
	s_delay_alu instid0(SALU_CYCLE_1) | instskip(NEXT) | instid1(SALU_CYCLE_1)
	s_or_b32 exec_lo, exec_lo, s8
	s_mov_b32 s8, exec_lo
	v_cmpx_lt_u32_e32 0xffffff, v16
	s_cbranch_execz .LBB214_2804
; %bb.2797:                             ;   in Loop: Header=BB214_1581 Depth=1
	v_mov_b64_e32 v[12:13], 0x8000000000000000
	v_lshrrev_b32_e32 v17, 24, v16
	s_mov_b32 s9, exec_lo
	s_delay_alu instid0(VALU_DEP_1)
	v_cmpx_ne_u32_e32 0x80, v17
	s_cbranch_execz .LBB214_2803
; %bb.2798:                             ;   in Loop: Header=BB214_1581 Depth=1
	v_mov_b64_e32 v[12:13], 0x7f80000100000000
	v_bfe_u32 v16, v16, 24, 7
	s_mov_b32 s14, exec_lo
	s_delay_alu instid0(VALU_DEP_1)
	v_cmpx_ne_u32_e32 0x7f, v16
	s_cbranch_execz .LBB214_2802
; %bb.2799:                             ;   in Loop: Header=BB214_1581 Depth=1
	v_dual_lshrrev_b32 v12, 3, v16 :: v_dual_bitop2_b32 v24, 7, v17 bitop3:0x40
	s_mov_b32 s15, exec_lo
	v_cmpx_gt_u32_e32 8, v16
; %bb.2800:                             ;   in Loop: Header=BB214_1581 Depth=1
	s_delay_alu instid0(VALU_DEP_2) | instskip(NEXT) | instid1(VALU_DEP_1)
	v_clz_i32_u32_e32 v12, v24
	v_min_u32_e32 v12, 32, v12
	s_delay_alu instid0(VALU_DEP_1) | instskip(SKIP_1) | instid1(VALU_DEP_2)
	v_subrev_nc_u32_e32 v13, 28, v12
	v_sub_nc_u32_e32 v12, 29, v12
	v_lshlrev_b64_e32 v[20:21], v13, v[24:25]
	s_delay_alu instid0(VALU_DEP_1)
	v_and_b32_e32 v24, 7, v20
; %bb.2801:                             ;   in Loop: Header=BB214_1581 Depth=1
	s_or_b32 exec_lo, exec_lo, s15
	s_delay_alu instid0(VALU_DEP_1) | instskip(SKIP_1) | instid1(VALU_DEP_2)
	v_dual_lshlrev_b32 v13, 24, v17 :: v_dual_lshlrev_b32 v16, 20, v24
	v_lshl_add_u32 v12, v12, 23, 0x3c000000
	v_and_b32_e32 v13, 0x80000000, v13
	s_delay_alu instid0(VALU_DEP_1)
	v_or3_b32 v13, v16, v13, v12
	v_mov_b32_e32 v12, v25
.LBB214_2802:                           ;   in Loop: Header=BB214_1581 Depth=1
	s_or_b32 exec_lo, exec_lo, s14
.LBB214_2803:                           ;   in Loop: Header=BB214_1581 Depth=1
	s_delay_alu instid0(SALU_CYCLE_1)
	s_or_b32 exec_lo, exec_lo, s9
.LBB214_2804:                           ;   in Loop: Header=BB214_1581 Depth=1
	s_delay_alu instid0(SALU_CYCLE_1) | instskip(SKIP_4) | instid1(VALU_DEP_3)
	s_or_b32 exec_lo, exec_lo, s8
	v_or_b32_e32 v9, v9, v11
	v_or_b32_e32 v8, v8, v10
	;; [unrolled: 1-line block ×4, first 2 shown]
	v_pk_mul_f32 v[90:91], v[114:115], v[8:9]
	s_delay_alu instid0(VALU_DEP_2)
	v_pk_mul_f32 v[88:89], v[114:115], v[10:11]
	s_and_saveexec_b32 s8, vcc_lo
	s_cbranch_execz .LBB214_2806
; %bb.2805:                             ;   in Loop: Header=BB214_1581 Depth=1
	scratch_load_b64 v[8:9], off, s32 offset:200 ; 8-byte Folded Reload
	s_wait_loadcnt 0x0
	v_cmp_lt_i32_e64 s0, v29, v8
	s_delay_alu instid0(VALU_DEP_1) | instskip(SKIP_1) | instid1(VALU_DEP_1)
	v_cndmask_b32_e64 v90, 0, v90, s0
	v_cmp_lt_i32_e64 s0, v30, v8
	v_cndmask_b32_e64 v91, 0, v91, s0
	v_cmp_lt_i32_e64 s0, v32, v8
	s_delay_alu instid0(VALU_DEP_1) | instskip(SKIP_1) | instid1(VALU_DEP_1)
	v_cndmask_b32_e64 v88, 0, v88, s0
	v_cmp_lt_i32_e64 s0, v31, v8
	v_cndmask_b32_e64 v89, 0, v89, s0
.LBB214_2806:                           ;   in Loop: Header=BB214_1581 Depth=1
	s_wait_xcnt 0x0
	s_or_b32 exec_lo, exec_lo, s8
	flat_load_b32 v16, v[0:1] offset:4608
	v_mov_b64_e32 v[8:9], 0
	v_mov_b64_e32 v[10:11], 0
	s_mov_b32 s8, exec_lo
	s_wait_loadcnt_dscnt 0x0
	v_and_b32_e32 v12, 0xff, v16
	s_wait_xcnt 0x0
	s_delay_alu instid0(VALU_DEP_1)
	v_cmpx_ne_u16_e32 0, v12
	s_cbranch_execz .LBB214_2814
; %bb.2807:                             ;   in Loop: Header=BB214_1581 Depth=1
	v_mov_b64_e32 v[10:11], 0x80000000
	s_mov_b32 s9, exec_lo
	v_cmpx_ne_u16_e32 0x80, v12
	s_cbranch_execz .LBB214_2813
; %bb.2808:                             ;   in Loop: Header=BB214_1581 Depth=1
	v_mov_b64_e32 v[10:11], 0x7f800001
	v_and_b32_e32 v12, 0x7f, v16
	s_mov_b32 s14, exec_lo
	s_delay_alu instid0(VALU_DEP_1)
	v_cmpx_ne_u32_e32 0x7f, v12
	s_cbranch_execz .LBB214_2812
; %bb.2809:                             ;   in Loop: Header=BB214_1581 Depth=1
	v_and_b32_e32 v24, 7, v16
	v_lshrrev_b32_e32 v10, 3, v12
	s_mov_b32 s15, exec_lo
	v_cmpx_gt_u32_e32 8, v12
; %bb.2810:                             ;   in Loop: Header=BB214_1581 Depth=1
	s_delay_alu instid0(VALU_DEP_3) | instskip(NEXT) | instid1(VALU_DEP_1)
	v_clz_i32_u32_e32 v10, v24
	v_min_u32_e32 v10, 32, v10
	s_delay_alu instid0(VALU_DEP_1) | instskip(NEXT) | instid1(VALU_DEP_1)
	v_subrev_nc_u32_e32 v11, 28, v10
	v_lshlrev_b64_e32 v[12:13], v11, v[24:25]
	s_delay_alu instid0(VALU_DEP_1)
	v_dual_sub_nc_u32 v10, 29, v10 :: v_dual_bitop2_b32 v24, 7, v12 bitop3:0x40
; %bb.2811:                             ;   in Loop: Header=BB214_1581 Depth=1
	s_or_b32 exec_lo, exec_lo, s15
	v_lshlrev_b32_e32 v11, 24, v16
	s_delay_alu instid0(VALU_DEP_2) | instskip(NEXT) | instid1(VALU_DEP_3)
	v_lshlrev_b32_e32 v12, 20, v24
	v_lshl_add_u32 v10, v10, 23, 0x3c000000
	s_delay_alu instid0(VALU_DEP_3) | instskip(NEXT) | instid1(VALU_DEP_1)
	v_and_b32_e32 v11, 0x80000000, v11
	v_or3_b32 v24, v12, v11, v10
	s_delay_alu instid0(VALU_DEP_1)
	v_mov_b64_e32 v[10:11], v[24:25]
.LBB214_2812:                           ;   in Loop: Header=BB214_1581 Depth=1
	s_or_b32 exec_lo, exec_lo, s14
.LBB214_2813:                           ;   in Loop: Header=BB214_1581 Depth=1
	s_delay_alu instid0(SALU_CYCLE_1)
	s_or_b32 exec_lo, exec_lo, s9
.LBB214_2814:                           ;   in Loop: Header=BB214_1581 Depth=1
	s_delay_alu instid0(SALU_CYCLE_1) | instskip(SKIP_2) | instid1(VALU_DEP_1)
	s_or_b32 exec_lo, exec_lo, s8
	v_lshrrev_b16 v12, 8, v16
	s_mov_b32 s8, exec_lo
	v_cmpx_ne_u16_e32 0, v12
	s_cbranch_execz .LBB214_2822
; %bb.2815:                             ;   in Loop: Header=BB214_1581 Depth=1
	v_mov_b64_e32 v[8:9], 0x8000000000000000
	s_mov_b32 s9, exec_lo
	v_cmpx_ne_u16_e32 0x80, v12
	s_cbranch_execz .LBB214_2821
; %bb.2816:                             ;   in Loop: Header=BB214_1581 Depth=1
	v_and_b32_e32 v13, 0xffff, v12
	v_mov_b64_e32 v[8:9], 0x7f80000100000000
	s_mov_b32 s14, exec_lo
	s_delay_alu instid0(VALU_DEP_2) | instskip(NEXT) | instid1(VALU_DEP_1)
	v_and_b32_e32 v12, 0x7f, v13
	v_cmpx_ne_u32_e32 0x7f, v12
	s_cbranch_execz .LBB214_2820
; %bb.2817:                             ;   in Loop: Header=BB214_1581 Depth=1
	v_dual_lshrrev_b32 v8, 3, v12 :: v_dual_bitop2_b32 v24, 7, v13 bitop3:0x40
	s_mov_b32 s15, exec_lo
	v_cmpx_gt_u32_e32 8, v12
; %bb.2818:                             ;   in Loop: Header=BB214_1581 Depth=1
	s_delay_alu instid0(VALU_DEP_2) | instskip(NEXT) | instid1(VALU_DEP_1)
	v_clz_i32_u32_e32 v8, v24
	v_min_u32_e32 v8, 32, v8
	s_delay_alu instid0(VALU_DEP_1) | instskip(SKIP_1) | instid1(VALU_DEP_2)
	v_subrev_nc_u32_e32 v9, 28, v8
	v_sub_nc_u32_e32 v8, 29, v8
	v_lshlrev_b64_e32 v[12:13], v9, v[24:25]
	s_delay_alu instid0(VALU_DEP_1)
	v_and_b32_e32 v24, 7, v12
; %bb.2819:                             ;   in Loop: Header=BB214_1581 Depth=1
	s_or_b32 exec_lo, exec_lo, s15
	v_lshlrev_b32_e32 v9, 16, v16
	s_delay_alu instid0(VALU_DEP_2) | instskip(SKIP_1) | instid1(VALU_DEP_3)
	v_lshlrev_b32_e32 v12, 20, v24
	v_lshl_add_u32 v8, v8, 23, 0x3c000000
	v_and_b32_e32 v9, 0x80000000, v9
	s_delay_alu instid0(VALU_DEP_1)
	v_or3_b32 v9, v12, v9, v8
	v_mov_b32_e32 v8, v25
.LBB214_2820:                           ;   in Loop: Header=BB214_1581 Depth=1
	s_or_b32 exec_lo, exec_lo, s14
.LBB214_2821:                           ;   in Loop: Header=BB214_1581 Depth=1
	s_delay_alu instid0(SALU_CYCLE_1)
	s_or_b32 exec_lo, exec_lo, s9
.LBB214_2822:                           ;   in Loop: Header=BB214_1581 Depth=1
	s_delay_alu instid0(SALU_CYCLE_1) | instskip(SKIP_4) | instid1(VALU_DEP_3)
	s_or_b32 exec_lo, exec_lo, s8
	v_lshrrev_b32_e32 v17, 16, v16
	v_mov_b64_e32 v[12:13], 0
	v_mov_b64_e32 v[14:15], 0
	s_mov_b32 s8, exec_lo
	v_and_b32_e32 v20, 0xff, v17
	s_delay_alu instid0(VALU_DEP_1)
	v_cmpx_ne_u16_e32 0, v20
	s_cbranch_execz .LBB214_2830
; %bb.2823:                             ;   in Loop: Header=BB214_1581 Depth=1
	v_mov_b64_e32 v[14:15], 0x80000000
	s_mov_b32 s9, exec_lo
	v_cmpx_ne_u16_e32 0x80, v20
	s_cbranch_execz .LBB214_2829
; %bb.2824:                             ;   in Loop: Header=BB214_1581 Depth=1
	v_mov_b64_e32 v[14:15], 0x7f800001
	v_bfe_u32 v20, v16, 16, 7
	s_mov_b32 s14, exec_lo
	s_delay_alu instid0(VALU_DEP_1)
	v_cmpx_ne_u32_e32 0x7f, v20
	s_cbranch_execz .LBB214_2828
; %bb.2825:                             ;   in Loop: Header=BB214_1581 Depth=1
	v_dual_lshrrev_b32 v14, 3, v20 :: v_dual_bitop2_b32 v24, 7, v17 bitop3:0x40
	s_mov_b32 s15, exec_lo
	v_cmpx_gt_u32_e32 8, v20
; %bb.2826:                             ;   in Loop: Header=BB214_1581 Depth=1
	s_delay_alu instid0(VALU_DEP_2) | instskip(NEXT) | instid1(VALU_DEP_1)
	v_clz_i32_u32_e32 v14, v24
	v_min_u32_e32 v14, 32, v14
	s_delay_alu instid0(VALU_DEP_1) | instskip(NEXT) | instid1(VALU_DEP_1)
	v_subrev_nc_u32_e32 v15, 28, v14
	v_lshlrev_b64_e32 v[20:21], v15, v[24:25]
	s_delay_alu instid0(VALU_DEP_1)
	v_dual_sub_nc_u32 v14, 29, v14 :: v_dual_bitop2_b32 v24, 7, v20 bitop3:0x40
; %bb.2827:                             ;   in Loop: Header=BB214_1581 Depth=1
	s_or_b32 exec_lo, exec_lo, s15
	s_delay_alu instid0(VALU_DEP_1) | instskip(NEXT) | instid1(VALU_DEP_2)
	v_dual_lshlrev_b32 v15, 24, v17 :: v_dual_lshlrev_b32 v17, 20, v24
	v_lshl_add_u32 v14, v14, 23, 0x3c000000
	s_delay_alu instid0(VALU_DEP_2) | instskip(NEXT) | instid1(VALU_DEP_1)
	v_and_b32_e32 v15, 0x80000000, v15
	v_or3_b32 v24, v17, v15, v14
	s_delay_alu instid0(VALU_DEP_1)
	v_mov_b64_e32 v[14:15], v[24:25]
.LBB214_2828:                           ;   in Loop: Header=BB214_1581 Depth=1
	s_or_b32 exec_lo, exec_lo, s14
.LBB214_2829:                           ;   in Loop: Header=BB214_1581 Depth=1
	s_delay_alu instid0(SALU_CYCLE_1)
	s_or_b32 exec_lo, exec_lo, s9
.LBB214_2830:                           ;   in Loop: Header=BB214_1581 Depth=1
	s_delay_alu instid0(SALU_CYCLE_1) | instskip(NEXT) | instid1(SALU_CYCLE_1)
	s_or_b32 exec_lo, exec_lo, s8
	s_mov_b32 s8, exec_lo
	v_cmpx_lt_u32_e32 0xffffff, v16
	s_cbranch_execz .LBB214_2838
; %bb.2831:                             ;   in Loop: Header=BB214_1581 Depth=1
	v_mov_b64_e32 v[12:13], 0x8000000000000000
	v_lshrrev_b32_e32 v17, 24, v16
	s_mov_b32 s9, exec_lo
	s_delay_alu instid0(VALU_DEP_1)
	v_cmpx_ne_u32_e32 0x80, v17
	s_cbranch_execz .LBB214_2837
; %bb.2832:                             ;   in Loop: Header=BB214_1581 Depth=1
	v_mov_b64_e32 v[12:13], 0x7f80000100000000
	v_bfe_u32 v16, v16, 24, 7
	s_mov_b32 s14, exec_lo
	s_delay_alu instid0(VALU_DEP_1)
	v_cmpx_ne_u32_e32 0x7f, v16
	s_cbranch_execz .LBB214_2836
; %bb.2833:                             ;   in Loop: Header=BB214_1581 Depth=1
	v_dual_lshrrev_b32 v12, 3, v16 :: v_dual_bitop2_b32 v24, 7, v17 bitop3:0x40
	s_mov_b32 s15, exec_lo
	v_cmpx_gt_u32_e32 8, v16
; %bb.2834:                             ;   in Loop: Header=BB214_1581 Depth=1
	s_delay_alu instid0(VALU_DEP_2) | instskip(NEXT) | instid1(VALU_DEP_1)
	v_clz_i32_u32_e32 v12, v24
	v_min_u32_e32 v12, 32, v12
	s_delay_alu instid0(VALU_DEP_1) | instskip(SKIP_1) | instid1(VALU_DEP_2)
	v_subrev_nc_u32_e32 v13, 28, v12
	v_sub_nc_u32_e32 v12, 29, v12
	v_lshlrev_b64_e32 v[20:21], v13, v[24:25]
	s_delay_alu instid0(VALU_DEP_1)
	v_and_b32_e32 v24, 7, v20
; %bb.2835:                             ;   in Loop: Header=BB214_1581 Depth=1
	s_or_b32 exec_lo, exec_lo, s15
	s_delay_alu instid0(VALU_DEP_1) | instskip(SKIP_1) | instid1(VALU_DEP_2)
	v_dual_lshlrev_b32 v13, 24, v17 :: v_dual_lshlrev_b32 v16, 20, v24
	v_lshl_add_u32 v12, v12, 23, 0x3c000000
	v_and_b32_e32 v13, 0x80000000, v13
	s_delay_alu instid0(VALU_DEP_1)
	v_or3_b32 v13, v16, v13, v12
	v_mov_b32_e32 v12, v25
.LBB214_2836:                           ;   in Loop: Header=BB214_1581 Depth=1
	s_or_b32 exec_lo, exec_lo, s14
.LBB214_2837:                           ;   in Loop: Header=BB214_1581 Depth=1
	s_delay_alu instid0(SALU_CYCLE_1)
	s_or_b32 exec_lo, exec_lo, s9
.LBB214_2838:                           ;   in Loop: Header=BB214_1581 Depth=1
	s_delay_alu instid0(SALU_CYCLE_1) | instskip(SKIP_4) | instid1(VALU_DEP_3)
	s_or_b32 exec_lo, exec_lo, s8
	v_or_b32_e32 v9, v9, v11
	v_or_b32_e32 v8, v8, v10
	;; [unrolled: 1-line block ×4, first 2 shown]
	v_pk_mul_f32 v[94:95], v[114:115], v[8:9]
	s_delay_alu instid0(VALU_DEP_2)
	v_pk_mul_f32 v[92:93], v[114:115], v[10:11]
	s_and_saveexec_b32 s8, vcc_lo
	s_cbranch_execz .LBB214_2840
; %bb.2839:                             ;   in Loop: Header=BB214_1581 Depth=1
	scratch_load_b64 v[8:9], off, s32 offset:200 ; 8-byte Folded Reload
	s_wait_loadcnt 0x0
	v_cmp_lt_i32_e64 s0, v29, v8
	s_delay_alu instid0(VALU_DEP_1) | instskip(SKIP_1) | instid1(VALU_DEP_1)
	v_cndmask_b32_e64 v94, 0, v94, s0
	v_cmp_lt_i32_e64 s0, v30, v8
	v_cndmask_b32_e64 v95, 0, v95, s0
	v_cmp_lt_i32_e64 s0, v32, v8
	s_delay_alu instid0(VALU_DEP_1) | instskip(SKIP_1) | instid1(VALU_DEP_1)
	v_cndmask_b32_e64 v92, 0, v92, s0
	v_cmp_lt_i32_e64 s0, v31, v8
	v_cndmask_b32_e64 v93, 0, v93, s0
.LBB214_2840:                           ;   in Loop: Header=BB214_1581 Depth=1
	s_wait_xcnt 0x0
	s_or_b32 exec_lo, exec_lo, s8
	flat_load_b32 v16, v[0:1] offset:4736
	v_mov_b64_e32 v[8:9], 0
	v_mov_b64_e32 v[10:11], 0
	s_mov_b32 s8, exec_lo
	s_wait_loadcnt_dscnt 0x0
	v_and_b32_e32 v12, 0xff, v16
	s_wait_xcnt 0x0
	s_delay_alu instid0(VALU_DEP_1)
	v_cmpx_ne_u16_e32 0, v12
	s_cbranch_execz .LBB214_2848
; %bb.2841:                             ;   in Loop: Header=BB214_1581 Depth=1
	v_mov_b64_e32 v[10:11], 0x80000000
	s_mov_b32 s9, exec_lo
	v_cmpx_ne_u16_e32 0x80, v12
	s_cbranch_execz .LBB214_2847
; %bb.2842:                             ;   in Loop: Header=BB214_1581 Depth=1
	v_mov_b64_e32 v[10:11], 0x7f800001
	v_and_b32_e32 v12, 0x7f, v16
	s_mov_b32 s14, exec_lo
	s_delay_alu instid0(VALU_DEP_1)
	v_cmpx_ne_u32_e32 0x7f, v12
	s_cbranch_execz .LBB214_2846
; %bb.2843:                             ;   in Loop: Header=BB214_1581 Depth=1
	v_and_b32_e32 v24, 7, v16
	v_lshrrev_b32_e32 v10, 3, v12
	s_mov_b32 s15, exec_lo
	v_cmpx_gt_u32_e32 8, v12
; %bb.2844:                             ;   in Loop: Header=BB214_1581 Depth=1
	s_delay_alu instid0(VALU_DEP_3) | instskip(NEXT) | instid1(VALU_DEP_1)
	v_clz_i32_u32_e32 v10, v24
	v_min_u32_e32 v10, 32, v10
	s_delay_alu instid0(VALU_DEP_1) | instskip(NEXT) | instid1(VALU_DEP_1)
	v_subrev_nc_u32_e32 v11, 28, v10
	v_lshlrev_b64_e32 v[12:13], v11, v[24:25]
	s_delay_alu instid0(VALU_DEP_1)
	v_dual_sub_nc_u32 v10, 29, v10 :: v_dual_bitop2_b32 v24, 7, v12 bitop3:0x40
; %bb.2845:                             ;   in Loop: Header=BB214_1581 Depth=1
	s_or_b32 exec_lo, exec_lo, s15
	v_lshlrev_b32_e32 v11, 24, v16
	s_delay_alu instid0(VALU_DEP_2) | instskip(NEXT) | instid1(VALU_DEP_3)
	v_lshlrev_b32_e32 v12, 20, v24
	v_lshl_add_u32 v10, v10, 23, 0x3c000000
	s_delay_alu instid0(VALU_DEP_3) | instskip(NEXT) | instid1(VALU_DEP_1)
	v_and_b32_e32 v11, 0x80000000, v11
	v_or3_b32 v24, v12, v11, v10
	s_delay_alu instid0(VALU_DEP_1)
	v_mov_b64_e32 v[10:11], v[24:25]
.LBB214_2846:                           ;   in Loop: Header=BB214_1581 Depth=1
	s_or_b32 exec_lo, exec_lo, s14
.LBB214_2847:                           ;   in Loop: Header=BB214_1581 Depth=1
	s_delay_alu instid0(SALU_CYCLE_1)
	s_or_b32 exec_lo, exec_lo, s9
.LBB214_2848:                           ;   in Loop: Header=BB214_1581 Depth=1
	s_delay_alu instid0(SALU_CYCLE_1) | instskip(SKIP_2) | instid1(VALU_DEP_1)
	s_or_b32 exec_lo, exec_lo, s8
	v_lshrrev_b16 v12, 8, v16
	s_mov_b32 s8, exec_lo
	v_cmpx_ne_u16_e32 0, v12
	s_cbranch_execz .LBB214_2856
; %bb.2849:                             ;   in Loop: Header=BB214_1581 Depth=1
	v_mov_b64_e32 v[8:9], 0x8000000000000000
	s_mov_b32 s9, exec_lo
	v_cmpx_ne_u16_e32 0x80, v12
	s_cbranch_execz .LBB214_2855
; %bb.2850:                             ;   in Loop: Header=BB214_1581 Depth=1
	v_and_b32_e32 v13, 0xffff, v12
	v_mov_b64_e32 v[8:9], 0x7f80000100000000
	s_mov_b32 s14, exec_lo
	s_delay_alu instid0(VALU_DEP_2) | instskip(NEXT) | instid1(VALU_DEP_1)
	v_and_b32_e32 v12, 0x7f, v13
	v_cmpx_ne_u32_e32 0x7f, v12
	s_cbranch_execz .LBB214_2854
; %bb.2851:                             ;   in Loop: Header=BB214_1581 Depth=1
	v_dual_lshrrev_b32 v8, 3, v12 :: v_dual_bitop2_b32 v24, 7, v13 bitop3:0x40
	s_mov_b32 s15, exec_lo
	v_cmpx_gt_u32_e32 8, v12
; %bb.2852:                             ;   in Loop: Header=BB214_1581 Depth=1
	s_delay_alu instid0(VALU_DEP_2) | instskip(NEXT) | instid1(VALU_DEP_1)
	v_clz_i32_u32_e32 v8, v24
	v_min_u32_e32 v8, 32, v8
	s_delay_alu instid0(VALU_DEP_1) | instskip(SKIP_1) | instid1(VALU_DEP_2)
	v_subrev_nc_u32_e32 v9, 28, v8
	v_sub_nc_u32_e32 v8, 29, v8
	v_lshlrev_b64_e32 v[12:13], v9, v[24:25]
	s_delay_alu instid0(VALU_DEP_1)
	v_and_b32_e32 v24, 7, v12
; %bb.2853:                             ;   in Loop: Header=BB214_1581 Depth=1
	s_or_b32 exec_lo, exec_lo, s15
	v_lshlrev_b32_e32 v9, 16, v16
	s_delay_alu instid0(VALU_DEP_2) | instskip(SKIP_1) | instid1(VALU_DEP_3)
	v_lshlrev_b32_e32 v12, 20, v24
	v_lshl_add_u32 v8, v8, 23, 0x3c000000
	v_and_b32_e32 v9, 0x80000000, v9
	s_delay_alu instid0(VALU_DEP_1)
	v_or3_b32 v9, v12, v9, v8
	v_mov_b32_e32 v8, v25
.LBB214_2854:                           ;   in Loop: Header=BB214_1581 Depth=1
	s_or_b32 exec_lo, exec_lo, s14
.LBB214_2855:                           ;   in Loop: Header=BB214_1581 Depth=1
	s_delay_alu instid0(SALU_CYCLE_1)
	s_or_b32 exec_lo, exec_lo, s9
.LBB214_2856:                           ;   in Loop: Header=BB214_1581 Depth=1
	s_delay_alu instid0(SALU_CYCLE_1) | instskip(SKIP_4) | instid1(VALU_DEP_3)
	s_or_b32 exec_lo, exec_lo, s8
	v_lshrrev_b32_e32 v17, 16, v16
	v_mov_b64_e32 v[12:13], 0
	v_mov_b64_e32 v[14:15], 0
	s_mov_b32 s8, exec_lo
	v_and_b32_e32 v20, 0xff, v17
	s_delay_alu instid0(VALU_DEP_1)
	v_cmpx_ne_u16_e32 0, v20
	s_cbranch_execz .LBB214_2864
; %bb.2857:                             ;   in Loop: Header=BB214_1581 Depth=1
	v_mov_b64_e32 v[14:15], 0x80000000
	s_mov_b32 s9, exec_lo
	v_cmpx_ne_u16_e32 0x80, v20
	s_cbranch_execz .LBB214_2863
; %bb.2858:                             ;   in Loop: Header=BB214_1581 Depth=1
	v_mov_b64_e32 v[14:15], 0x7f800001
	v_bfe_u32 v20, v16, 16, 7
	s_mov_b32 s14, exec_lo
	s_delay_alu instid0(VALU_DEP_1)
	v_cmpx_ne_u32_e32 0x7f, v20
	s_cbranch_execz .LBB214_2862
; %bb.2859:                             ;   in Loop: Header=BB214_1581 Depth=1
	v_dual_lshrrev_b32 v14, 3, v20 :: v_dual_bitop2_b32 v24, 7, v17 bitop3:0x40
	s_mov_b32 s15, exec_lo
	v_cmpx_gt_u32_e32 8, v20
; %bb.2860:                             ;   in Loop: Header=BB214_1581 Depth=1
	s_delay_alu instid0(VALU_DEP_2) | instskip(NEXT) | instid1(VALU_DEP_1)
	v_clz_i32_u32_e32 v14, v24
	v_min_u32_e32 v14, 32, v14
	s_delay_alu instid0(VALU_DEP_1) | instskip(NEXT) | instid1(VALU_DEP_1)
	v_subrev_nc_u32_e32 v15, 28, v14
	v_lshlrev_b64_e32 v[20:21], v15, v[24:25]
	s_delay_alu instid0(VALU_DEP_1)
	v_dual_sub_nc_u32 v14, 29, v14 :: v_dual_bitop2_b32 v24, 7, v20 bitop3:0x40
; %bb.2861:                             ;   in Loop: Header=BB214_1581 Depth=1
	s_or_b32 exec_lo, exec_lo, s15
	s_delay_alu instid0(VALU_DEP_1) | instskip(NEXT) | instid1(VALU_DEP_2)
	v_dual_lshlrev_b32 v15, 24, v17 :: v_dual_lshlrev_b32 v17, 20, v24
	v_lshl_add_u32 v14, v14, 23, 0x3c000000
	s_delay_alu instid0(VALU_DEP_2) | instskip(NEXT) | instid1(VALU_DEP_1)
	v_and_b32_e32 v15, 0x80000000, v15
	v_or3_b32 v24, v17, v15, v14
	s_delay_alu instid0(VALU_DEP_1)
	v_mov_b64_e32 v[14:15], v[24:25]
.LBB214_2862:                           ;   in Loop: Header=BB214_1581 Depth=1
	s_or_b32 exec_lo, exec_lo, s14
.LBB214_2863:                           ;   in Loop: Header=BB214_1581 Depth=1
	s_delay_alu instid0(SALU_CYCLE_1)
	s_or_b32 exec_lo, exec_lo, s9
.LBB214_2864:                           ;   in Loop: Header=BB214_1581 Depth=1
	s_delay_alu instid0(SALU_CYCLE_1) | instskip(NEXT) | instid1(SALU_CYCLE_1)
	s_or_b32 exec_lo, exec_lo, s8
	s_mov_b32 s8, exec_lo
	v_cmpx_lt_u32_e32 0xffffff, v16
	s_cbranch_execz .LBB214_2872
; %bb.2865:                             ;   in Loop: Header=BB214_1581 Depth=1
	v_mov_b64_e32 v[12:13], 0x8000000000000000
	v_lshrrev_b32_e32 v17, 24, v16
	s_mov_b32 s9, exec_lo
	s_delay_alu instid0(VALU_DEP_1)
	v_cmpx_ne_u32_e32 0x80, v17
	s_cbranch_execz .LBB214_2871
; %bb.2866:                             ;   in Loop: Header=BB214_1581 Depth=1
	v_mov_b64_e32 v[12:13], 0x7f80000100000000
	v_bfe_u32 v16, v16, 24, 7
	s_mov_b32 s14, exec_lo
	s_delay_alu instid0(VALU_DEP_1)
	v_cmpx_ne_u32_e32 0x7f, v16
	s_cbranch_execz .LBB214_2870
; %bb.2867:                             ;   in Loop: Header=BB214_1581 Depth=1
	v_dual_lshrrev_b32 v12, 3, v16 :: v_dual_bitop2_b32 v24, 7, v17 bitop3:0x40
	s_mov_b32 s15, exec_lo
	v_cmpx_gt_u32_e32 8, v16
; %bb.2868:                             ;   in Loop: Header=BB214_1581 Depth=1
	s_delay_alu instid0(VALU_DEP_2) | instskip(NEXT) | instid1(VALU_DEP_1)
	v_clz_i32_u32_e32 v12, v24
	v_min_u32_e32 v12, 32, v12
	s_delay_alu instid0(VALU_DEP_1) | instskip(SKIP_1) | instid1(VALU_DEP_2)
	v_subrev_nc_u32_e32 v13, 28, v12
	v_sub_nc_u32_e32 v12, 29, v12
	v_lshlrev_b64_e32 v[20:21], v13, v[24:25]
	s_delay_alu instid0(VALU_DEP_1)
	v_and_b32_e32 v24, 7, v20
; %bb.2869:                             ;   in Loop: Header=BB214_1581 Depth=1
	s_or_b32 exec_lo, exec_lo, s15
	s_delay_alu instid0(VALU_DEP_1) | instskip(SKIP_1) | instid1(VALU_DEP_2)
	v_dual_lshlrev_b32 v13, 24, v17 :: v_dual_lshlrev_b32 v16, 20, v24
	v_lshl_add_u32 v12, v12, 23, 0x3c000000
	v_and_b32_e32 v13, 0x80000000, v13
	s_delay_alu instid0(VALU_DEP_1)
	v_or3_b32 v13, v16, v13, v12
	v_mov_b32_e32 v12, v25
.LBB214_2870:                           ;   in Loop: Header=BB214_1581 Depth=1
	s_or_b32 exec_lo, exec_lo, s14
.LBB214_2871:                           ;   in Loop: Header=BB214_1581 Depth=1
	s_delay_alu instid0(SALU_CYCLE_1)
	s_or_b32 exec_lo, exec_lo, s9
.LBB214_2872:                           ;   in Loop: Header=BB214_1581 Depth=1
	s_delay_alu instid0(SALU_CYCLE_1) | instskip(SKIP_4) | instid1(VALU_DEP_3)
	s_or_b32 exec_lo, exec_lo, s8
	v_or_b32_e32 v9, v9, v11
	v_or_b32_e32 v8, v8, v10
	v_or_b32_e32 v11, v13, v15
	v_or_b32_e32 v10, v12, v14
	v_pk_mul_f32 v[106:107], v[114:115], v[8:9]
	s_delay_alu instid0(VALU_DEP_2)
	v_pk_mul_f32 v[104:105], v[114:115], v[10:11]
	s_and_saveexec_b32 s8, vcc_lo
	s_cbranch_execz .LBB214_2874
; %bb.2873:                             ;   in Loop: Header=BB214_1581 Depth=1
	scratch_load_b64 v[8:9], off, s32 offset:200 ; 8-byte Folded Reload
	s_wait_loadcnt 0x0
	v_cmp_lt_i32_e64 s0, v29, v8
	s_delay_alu instid0(VALU_DEP_1) | instskip(SKIP_1) | instid1(VALU_DEP_1)
	v_cndmask_b32_e64 v106, 0, v106, s0
	v_cmp_lt_i32_e64 s0, v30, v8
	v_cndmask_b32_e64 v107, 0, v107, s0
	v_cmp_lt_i32_e64 s0, v32, v8
	s_delay_alu instid0(VALU_DEP_1) | instskip(SKIP_1) | instid1(VALU_DEP_1)
	v_cndmask_b32_e64 v104, 0, v104, s0
	v_cmp_lt_i32_e64 s0, v31, v8
	v_cndmask_b32_e64 v105, 0, v105, s0
.LBB214_2874:                           ;   in Loop: Header=BB214_1581 Depth=1
	s_wait_xcnt 0x0
	s_or_b32 exec_lo, exec_lo, s8
	flat_load_b32 v16, v[0:1] offset:4864
	v_mov_b64_e32 v[8:9], 0
	v_mov_b64_e32 v[10:11], 0
	s_mov_b32 s8, exec_lo
	s_wait_loadcnt_dscnt 0x0
	v_and_b32_e32 v12, 0xff, v16
	s_wait_xcnt 0x0
	s_delay_alu instid0(VALU_DEP_1)
	v_cmpx_ne_u16_e32 0, v12
	s_cbranch_execz .LBB214_2882
; %bb.2875:                             ;   in Loop: Header=BB214_1581 Depth=1
	v_mov_b64_e32 v[10:11], 0x80000000
	s_mov_b32 s9, exec_lo
	v_cmpx_ne_u16_e32 0x80, v12
	s_cbranch_execz .LBB214_2881
; %bb.2876:                             ;   in Loop: Header=BB214_1581 Depth=1
	v_mov_b64_e32 v[10:11], 0x7f800001
	v_and_b32_e32 v12, 0x7f, v16
	s_mov_b32 s14, exec_lo
	s_delay_alu instid0(VALU_DEP_1)
	v_cmpx_ne_u32_e32 0x7f, v12
	s_cbranch_execz .LBB214_2880
; %bb.2877:                             ;   in Loop: Header=BB214_1581 Depth=1
	v_and_b32_e32 v24, 7, v16
	v_lshrrev_b32_e32 v10, 3, v12
	s_mov_b32 s15, exec_lo
	v_cmpx_gt_u32_e32 8, v12
; %bb.2878:                             ;   in Loop: Header=BB214_1581 Depth=1
	s_delay_alu instid0(VALU_DEP_3) | instskip(NEXT) | instid1(VALU_DEP_1)
	v_clz_i32_u32_e32 v10, v24
	v_min_u32_e32 v10, 32, v10
	s_delay_alu instid0(VALU_DEP_1) | instskip(NEXT) | instid1(VALU_DEP_1)
	v_subrev_nc_u32_e32 v11, 28, v10
	v_lshlrev_b64_e32 v[12:13], v11, v[24:25]
	s_delay_alu instid0(VALU_DEP_1)
	v_dual_sub_nc_u32 v10, 29, v10 :: v_dual_bitop2_b32 v24, 7, v12 bitop3:0x40
; %bb.2879:                             ;   in Loop: Header=BB214_1581 Depth=1
	s_or_b32 exec_lo, exec_lo, s15
	v_lshlrev_b32_e32 v11, 24, v16
	s_delay_alu instid0(VALU_DEP_2) | instskip(NEXT) | instid1(VALU_DEP_3)
	v_lshlrev_b32_e32 v12, 20, v24
	v_lshl_add_u32 v10, v10, 23, 0x3c000000
	s_delay_alu instid0(VALU_DEP_3) | instskip(NEXT) | instid1(VALU_DEP_1)
	v_and_b32_e32 v11, 0x80000000, v11
	v_or3_b32 v24, v12, v11, v10
	s_delay_alu instid0(VALU_DEP_1)
	v_mov_b64_e32 v[10:11], v[24:25]
.LBB214_2880:                           ;   in Loop: Header=BB214_1581 Depth=1
	s_or_b32 exec_lo, exec_lo, s14
.LBB214_2881:                           ;   in Loop: Header=BB214_1581 Depth=1
	s_delay_alu instid0(SALU_CYCLE_1)
	s_or_b32 exec_lo, exec_lo, s9
.LBB214_2882:                           ;   in Loop: Header=BB214_1581 Depth=1
	s_delay_alu instid0(SALU_CYCLE_1) | instskip(SKIP_2) | instid1(VALU_DEP_1)
	s_or_b32 exec_lo, exec_lo, s8
	v_lshrrev_b16 v12, 8, v16
	s_mov_b32 s8, exec_lo
	v_cmpx_ne_u16_e32 0, v12
	s_cbranch_execz .LBB214_2890
; %bb.2883:                             ;   in Loop: Header=BB214_1581 Depth=1
	v_mov_b64_e32 v[8:9], 0x8000000000000000
	s_mov_b32 s9, exec_lo
	v_cmpx_ne_u16_e32 0x80, v12
	s_cbranch_execz .LBB214_2889
; %bb.2884:                             ;   in Loop: Header=BB214_1581 Depth=1
	v_and_b32_e32 v13, 0xffff, v12
	v_mov_b64_e32 v[8:9], 0x7f80000100000000
	s_mov_b32 s14, exec_lo
	s_delay_alu instid0(VALU_DEP_2) | instskip(NEXT) | instid1(VALU_DEP_1)
	v_and_b32_e32 v12, 0x7f, v13
	v_cmpx_ne_u32_e32 0x7f, v12
	s_cbranch_execz .LBB214_2888
; %bb.2885:                             ;   in Loop: Header=BB214_1581 Depth=1
	v_dual_lshrrev_b32 v8, 3, v12 :: v_dual_bitop2_b32 v24, 7, v13 bitop3:0x40
	s_mov_b32 s15, exec_lo
	v_cmpx_gt_u32_e32 8, v12
; %bb.2886:                             ;   in Loop: Header=BB214_1581 Depth=1
	s_delay_alu instid0(VALU_DEP_2) | instskip(NEXT) | instid1(VALU_DEP_1)
	v_clz_i32_u32_e32 v8, v24
	v_min_u32_e32 v8, 32, v8
	s_delay_alu instid0(VALU_DEP_1) | instskip(SKIP_1) | instid1(VALU_DEP_2)
	v_subrev_nc_u32_e32 v9, 28, v8
	v_sub_nc_u32_e32 v8, 29, v8
	v_lshlrev_b64_e32 v[12:13], v9, v[24:25]
	s_delay_alu instid0(VALU_DEP_1)
	v_and_b32_e32 v24, 7, v12
; %bb.2887:                             ;   in Loop: Header=BB214_1581 Depth=1
	s_or_b32 exec_lo, exec_lo, s15
	v_lshlrev_b32_e32 v9, 16, v16
	s_delay_alu instid0(VALU_DEP_2) | instskip(SKIP_1) | instid1(VALU_DEP_3)
	v_lshlrev_b32_e32 v12, 20, v24
	v_lshl_add_u32 v8, v8, 23, 0x3c000000
	v_and_b32_e32 v9, 0x80000000, v9
	s_delay_alu instid0(VALU_DEP_1)
	v_or3_b32 v9, v12, v9, v8
	v_mov_b32_e32 v8, v25
.LBB214_2888:                           ;   in Loop: Header=BB214_1581 Depth=1
	s_or_b32 exec_lo, exec_lo, s14
.LBB214_2889:                           ;   in Loop: Header=BB214_1581 Depth=1
	s_delay_alu instid0(SALU_CYCLE_1)
	s_or_b32 exec_lo, exec_lo, s9
.LBB214_2890:                           ;   in Loop: Header=BB214_1581 Depth=1
	s_delay_alu instid0(SALU_CYCLE_1) | instskip(SKIP_4) | instid1(VALU_DEP_3)
	s_or_b32 exec_lo, exec_lo, s8
	v_lshrrev_b32_e32 v17, 16, v16
	v_mov_b64_e32 v[12:13], 0
	v_mov_b64_e32 v[14:15], 0
	s_mov_b32 s8, exec_lo
	v_and_b32_e32 v20, 0xff, v17
	s_delay_alu instid0(VALU_DEP_1)
	v_cmpx_ne_u16_e32 0, v20
	s_cbranch_execz .LBB214_2898
; %bb.2891:                             ;   in Loop: Header=BB214_1581 Depth=1
	v_mov_b64_e32 v[14:15], 0x80000000
	s_mov_b32 s9, exec_lo
	v_cmpx_ne_u16_e32 0x80, v20
	s_cbranch_execz .LBB214_2897
; %bb.2892:                             ;   in Loop: Header=BB214_1581 Depth=1
	v_mov_b64_e32 v[14:15], 0x7f800001
	v_bfe_u32 v20, v16, 16, 7
	s_mov_b32 s14, exec_lo
	s_delay_alu instid0(VALU_DEP_1)
	v_cmpx_ne_u32_e32 0x7f, v20
	s_cbranch_execz .LBB214_2896
; %bb.2893:                             ;   in Loop: Header=BB214_1581 Depth=1
	v_dual_lshrrev_b32 v14, 3, v20 :: v_dual_bitop2_b32 v24, 7, v17 bitop3:0x40
	s_mov_b32 s15, exec_lo
	v_cmpx_gt_u32_e32 8, v20
; %bb.2894:                             ;   in Loop: Header=BB214_1581 Depth=1
	s_delay_alu instid0(VALU_DEP_2) | instskip(NEXT) | instid1(VALU_DEP_1)
	v_clz_i32_u32_e32 v14, v24
	v_min_u32_e32 v14, 32, v14
	s_delay_alu instid0(VALU_DEP_1) | instskip(NEXT) | instid1(VALU_DEP_1)
	v_subrev_nc_u32_e32 v15, 28, v14
	v_lshlrev_b64_e32 v[20:21], v15, v[24:25]
	s_delay_alu instid0(VALU_DEP_1)
	v_dual_sub_nc_u32 v14, 29, v14 :: v_dual_bitop2_b32 v24, 7, v20 bitop3:0x40
; %bb.2895:                             ;   in Loop: Header=BB214_1581 Depth=1
	s_or_b32 exec_lo, exec_lo, s15
	s_delay_alu instid0(VALU_DEP_1) | instskip(NEXT) | instid1(VALU_DEP_2)
	v_dual_lshlrev_b32 v15, 24, v17 :: v_dual_lshlrev_b32 v17, 20, v24
	v_lshl_add_u32 v14, v14, 23, 0x3c000000
	s_delay_alu instid0(VALU_DEP_2) | instskip(NEXT) | instid1(VALU_DEP_1)
	v_and_b32_e32 v15, 0x80000000, v15
	v_or3_b32 v24, v17, v15, v14
	s_delay_alu instid0(VALU_DEP_1)
	v_mov_b64_e32 v[14:15], v[24:25]
.LBB214_2896:                           ;   in Loop: Header=BB214_1581 Depth=1
	s_or_b32 exec_lo, exec_lo, s14
.LBB214_2897:                           ;   in Loop: Header=BB214_1581 Depth=1
	s_delay_alu instid0(SALU_CYCLE_1)
	s_or_b32 exec_lo, exec_lo, s9
.LBB214_2898:                           ;   in Loop: Header=BB214_1581 Depth=1
	s_delay_alu instid0(SALU_CYCLE_1) | instskip(NEXT) | instid1(SALU_CYCLE_1)
	s_or_b32 exec_lo, exec_lo, s8
	s_mov_b32 s8, exec_lo
	v_cmpx_lt_u32_e32 0xffffff, v16
	s_cbranch_execz .LBB214_2906
; %bb.2899:                             ;   in Loop: Header=BB214_1581 Depth=1
	v_mov_b64_e32 v[12:13], 0x8000000000000000
	v_lshrrev_b32_e32 v17, 24, v16
	s_mov_b32 s9, exec_lo
	s_delay_alu instid0(VALU_DEP_1)
	v_cmpx_ne_u32_e32 0x80, v17
	s_cbranch_execz .LBB214_2905
; %bb.2900:                             ;   in Loop: Header=BB214_1581 Depth=1
	v_mov_b64_e32 v[12:13], 0x7f80000100000000
	v_bfe_u32 v16, v16, 24, 7
	s_mov_b32 s14, exec_lo
	s_delay_alu instid0(VALU_DEP_1)
	v_cmpx_ne_u32_e32 0x7f, v16
	s_cbranch_execz .LBB214_2904
; %bb.2901:                             ;   in Loop: Header=BB214_1581 Depth=1
	v_dual_lshrrev_b32 v12, 3, v16 :: v_dual_bitop2_b32 v24, 7, v17 bitop3:0x40
	s_mov_b32 s15, exec_lo
	v_cmpx_gt_u32_e32 8, v16
; %bb.2902:                             ;   in Loop: Header=BB214_1581 Depth=1
	s_delay_alu instid0(VALU_DEP_2) | instskip(NEXT) | instid1(VALU_DEP_1)
	v_clz_i32_u32_e32 v12, v24
	v_min_u32_e32 v12, 32, v12
	s_delay_alu instid0(VALU_DEP_1) | instskip(SKIP_1) | instid1(VALU_DEP_2)
	v_subrev_nc_u32_e32 v13, 28, v12
	v_sub_nc_u32_e32 v12, 29, v12
	v_lshlrev_b64_e32 v[20:21], v13, v[24:25]
	s_delay_alu instid0(VALU_DEP_1)
	v_and_b32_e32 v24, 7, v20
; %bb.2903:                             ;   in Loop: Header=BB214_1581 Depth=1
	s_or_b32 exec_lo, exec_lo, s15
	s_delay_alu instid0(VALU_DEP_1) | instskip(SKIP_1) | instid1(VALU_DEP_2)
	v_dual_lshlrev_b32 v13, 24, v17 :: v_dual_lshlrev_b32 v16, 20, v24
	v_lshl_add_u32 v12, v12, 23, 0x3c000000
	v_and_b32_e32 v13, 0x80000000, v13
	s_delay_alu instid0(VALU_DEP_1)
	v_or3_b32 v13, v16, v13, v12
	v_mov_b32_e32 v12, v25
.LBB214_2904:                           ;   in Loop: Header=BB214_1581 Depth=1
	s_or_b32 exec_lo, exec_lo, s14
.LBB214_2905:                           ;   in Loop: Header=BB214_1581 Depth=1
	s_delay_alu instid0(SALU_CYCLE_1)
	s_or_b32 exec_lo, exec_lo, s9
.LBB214_2906:                           ;   in Loop: Header=BB214_1581 Depth=1
	s_delay_alu instid0(SALU_CYCLE_1) | instskip(SKIP_4) | instid1(VALU_DEP_3)
	s_or_b32 exec_lo, exec_lo, s8
	v_or_b32_e32 v9, v9, v11
	v_or_b32_e32 v8, v8, v10
	;; [unrolled: 1-line block ×4, first 2 shown]
	v_pk_mul_f32 v[110:111], v[114:115], v[8:9]
	s_delay_alu instid0(VALU_DEP_2)
	v_pk_mul_f32 v[108:109], v[114:115], v[10:11]
	s_and_saveexec_b32 s8, vcc_lo
	s_cbranch_execz .LBB214_2908
; %bb.2907:                             ;   in Loop: Header=BB214_1581 Depth=1
	scratch_load_b64 v[8:9], off, s32 offset:200 ; 8-byte Folded Reload
	s_wait_loadcnt 0x0
	v_cmp_lt_i32_e64 s0, v29, v8
	s_delay_alu instid0(VALU_DEP_1) | instskip(SKIP_1) | instid1(VALU_DEP_1)
	v_cndmask_b32_e64 v110, 0, v110, s0
	v_cmp_lt_i32_e64 s0, v30, v8
	v_cndmask_b32_e64 v111, 0, v111, s0
	v_cmp_lt_i32_e64 s0, v32, v8
	s_delay_alu instid0(VALU_DEP_1) | instskip(SKIP_1) | instid1(VALU_DEP_1)
	v_cndmask_b32_e64 v108, 0, v108, s0
	v_cmp_lt_i32_e64 s0, v31, v8
	v_cndmask_b32_e64 v109, 0, v109, s0
.LBB214_2908:                           ;   in Loop: Header=BB214_1581 Depth=1
	s_wait_xcnt 0x0
	s_or_b32 exec_lo, exec_lo, s8
	flat_load_b32 v16, v[0:1] offset:4992
	v_mov_b64_e32 v[8:9], 0
	v_mov_b64_e32 v[10:11], 0
	s_mov_b32 s8, exec_lo
	s_wait_loadcnt_dscnt 0x0
	v_and_b32_e32 v12, 0xff, v16
	s_wait_xcnt 0x0
	s_delay_alu instid0(VALU_DEP_1)
	v_cmpx_ne_u16_e32 0, v12
	s_cbranch_execz .LBB214_2916
; %bb.2909:                             ;   in Loop: Header=BB214_1581 Depth=1
	v_mov_b64_e32 v[10:11], 0x80000000
	s_mov_b32 s9, exec_lo
	v_cmpx_ne_u16_e32 0x80, v12
	s_cbranch_execz .LBB214_2915
; %bb.2910:                             ;   in Loop: Header=BB214_1581 Depth=1
	v_mov_b64_e32 v[10:11], 0x7f800001
	v_and_b32_e32 v12, 0x7f, v16
	s_mov_b32 s14, exec_lo
	s_delay_alu instid0(VALU_DEP_1)
	v_cmpx_ne_u32_e32 0x7f, v12
	s_cbranch_execz .LBB214_2914
; %bb.2911:                             ;   in Loop: Header=BB214_1581 Depth=1
	v_and_b32_e32 v24, 7, v16
	v_lshrrev_b32_e32 v10, 3, v12
	s_mov_b32 s15, exec_lo
	v_cmpx_gt_u32_e32 8, v12
; %bb.2912:                             ;   in Loop: Header=BB214_1581 Depth=1
	s_delay_alu instid0(VALU_DEP_3) | instskip(NEXT) | instid1(VALU_DEP_1)
	v_clz_i32_u32_e32 v10, v24
	v_min_u32_e32 v10, 32, v10
	s_delay_alu instid0(VALU_DEP_1) | instskip(NEXT) | instid1(VALU_DEP_1)
	v_subrev_nc_u32_e32 v11, 28, v10
	v_lshlrev_b64_e32 v[12:13], v11, v[24:25]
	s_delay_alu instid0(VALU_DEP_1)
	v_dual_sub_nc_u32 v10, 29, v10 :: v_dual_bitop2_b32 v24, 7, v12 bitop3:0x40
; %bb.2913:                             ;   in Loop: Header=BB214_1581 Depth=1
	s_or_b32 exec_lo, exec_lo, s15
	v_lshlrev_b32_e32 v11, 24, v16
	s_delay_alu instid0(VALU_DEP_2) | instskip(NEXT) | instid1(VALU_DEP_3)
	v_lshlrev_b32_e32 v12, 20, v24
	v_lshl_add_u32 v10, v10, 23, 0x3c000000
	s_delay_alu instid0(VALU_DEP_3) | instskip(NEXT) | instid1(VALU_DEP_1)
	v_and_b32_e32 v11, 0x80000000, v11
	v_or3_b32 v24, v12, v11, v10
	s_delay_alu instid0(VALU_DEP_1)
	v_mov_b64_e32 v[10:11], v[24:25]
.LBB214_2914:                           ;   in Loop: Header=BB214_1581 Depth=1
	s_or_b32 exec_lo, exec_lo, s14
.LBB214_2915:                           ;   in Loop: Header=BB214_1581 Depth=1
	s_delay_alu instid0(SALU_CYCLE_1)
	s_or_b32 exec_lo, exec_lo, s9
.LBB214_2916:                           ;   in Loop: Header=BB214_1581 Depth=1
	s_delay_alu instid0(SALU_CYCLE_1) | instskip(SKIP_2) | instid1(VALU_DEP_1)
	s_or_b32 exec_lo, exec_lo, s8
	v_lshrrev_b16 v12, 8, v16
	s_mov_b32 s8, exec_lo
	v_cmpx_ne_u16_e32 0, v12
	s_cbranch_execz .LBB214_2924
; %bb.2917:                             ;   in Loop: Header=BB214_1581 Depth=1
	v_mov_b64_e32 v[8:9], 0x8000000000000000
	s_mov_b32 s9, exec_lo
	v_cmpx_ne_u16_e32 0x80, v12
	s_cbranch_execz .LBB214_2923
; %bb.2918:                             ;   in Loop: Header=BB214_1581 Depth=1
	v_and_b32_e32 v13, 0xffff, v12
	v_mov_b64_e32 v[8:9], 0x7f80000100000000
	s_mov_b32 s14, exec_lo
	s_delay_alu instid0(VALU_DEP_2) | instskip(NEXT) | instid1(VALU_DEP_1)
	v_and_b32_e32 v12, 0x7f, v13
	v_cmpx_ne_u32_e32 0x7f, v12
	s_cbranch_execz .LBB214_2922
; %bb.2919:                             ;   in Loop: Header=BB214_1581 Depth=1
	v_dual_lshrrev_b32 v8, 3, v12 :: v_dual_bitop2_b32 v24, 7, v13 bitop3:0x40
	s_mov_b32 s15, exec_lo
	v_cmpx_gt_u32_e32 8, v12
; %bb.2920:                             ;   in Loop: Header=BB214_1581 Depth=1
	s_delay_alu instid0(VALU_DEP_2) | instskip(NEXT) | instid1(VALU_DEP_1)
	v_clz_i32_u32_e32 v8, v24
	v_min_u32_e32 v8, 32, v8
	s_delay_alu instid0(VALU_DEP_1) | instskip(SKIP_1) | instid1(VALU_DEP_2)
	v_subrev_nc_u32_e32 v9, 28, v8
	v_sub_nc_u32_e32 v8, 29, v8
	v_lshlrev_b64_e32 v[12:13], v9, v[24:25]
	s_delay_alu instid0(VALU_DEP_1)
	v_and_b32_e32 v24, 7, v12
; %bb.2921:                             ;   in Loop: Header=BB214_1581 Depth=1
	s_or_b32 exec_lo, exec_lo, s15
	v_lshlrev_b32_e32 v9, 16, v16
	s_delay_alu instid0(VALU_DEP_2) | instskip(SKIP_1) | instid1(VALU_DEP_3)
	v_lshlrev_b32_e32 v12, 20, v24
	v_lshl_add_u32 v8, v8, 23, 0x3c000000
	v_and_b32_e32 v9, 0x80000000, v9
	s_delay_alu instid0(VALU_DEP_1)
	v_or3_b32 v9, v12, v9, v8
	v_mov_b32_e32 v8, v25
.LBB214_2922:                           ;   in Loop: Header=BB214_1581 Depth=1
	s_or_b32 exec_lo, exec_lo, s14
.LBB214_2923:                           ;   in Loop: Header=BB214_1581 Depth=1
	s_delay_alu instid0(SALU_CYCLE_1)
	s_or_b32 exec_lo, exec_lo, s9
.LBB214_2924:                           ;   in Loop: Header=BB214_1581 Depth=1
	s_delay_alu instid0(SALU_CYCLE_1) | instskip(SKIP_4) | instid1(VALU_DEP_3)
	s_or_b32 exec_lo, exec_lo, s8
	v_lshrrev_b32_e32 v17, 16, v16
	v_mov_b64_e32 v[12:13], 0
	v_mov_b64_e32 v[14:15], 0
	s_mov_b32 s8, exec_lo
	v_and_b32_e32 v20, 0xff, v17
	s_delay_alu instid0(VALU_DEP_1)
	v_cmpx_ne_u16_e32 0, v20
	s_cbranch_execz .LBB214_2932
; %bb.2925:                             ;   in Loop: Header=BB214_1581 Depth=1
	v_mov_b64_e32 v[14:15], 0x80000000
	s_mov_b32 s9, exec_lo
	v_cmpx_ne_u16_e32 0x80, v20
	s_cbranch_execz .LBB214_2931
; %bb.2926:                             ;   in Loop: Header=BB214_1581 Depth=1
	v_mov_b64_e32 v[14:15], 0x7f800001
	v_bfe_u32 v20, v16, 16, 7
	s_mov_b32 s14, exec_lo
	s_delay_alu instid0(VALU_DEP_1)
	v_cmpx_ne_u32_e32 0x7f, v20
	s_cbranch_execz .LBB214_2930
; %bb.2927:                             ;   in Loop: Header=BB214_1581 Depth=1
	v_dual_lshrrev_b32 v14, 3, v20 :: v_dual_bitop2_b32 v24, 7, v17 bitop3:0x40
	s_mov_b32 s15, exec_lo
	v_cmpx_gt_u32_e32 8, v20
; %bb.2928:                             ;   in Loop: Header=BB214_1581 Depth=1
	s_delay_alu instid0(VALU_DEP_2) | instskip(NEXT) | instid1(VALU_DEP_1)
	v_clz_i32_u32_e32 v14, v24
	v_min_u32_e32 v14, 32, v14
	s_delay_alu instid0(VALU_DEP_1) | instskip(NEXT) | instid1(VALU_DEP_1)
	v_subrev_nc_u32_e32 v15, 28, v14
	v_lshlrev_b64_e32 v[20:21], v15, v[24:25]
	s_delay_alu instid0(VALU_DEP_1)
	v_dual_sub_nc_u32 v14, 29, v14 :: v_dual_bitop2_b32 v24, 7, v20 bitop3:0x40
; %bb.2929:                             ;   in Loop: Header=BB214_1581 Depth=1
	s_or_b32 exec_lo, exec_lo, s15
	s_delay_alu instid0(VALU_DEP_1) | instskip(NEXT) | instid1(VALU_DEP_2)
	v_dual_lshlrev_b32 v15, 24, v17 :: v_dual_lshlrev_b32 v17, 20, v24
	v_lshl_add_u32 v14, v14, 23, 0x3c000000
	s_delay_alu instid0(VALU_DEP_2) | instskip(NEXT) | instid1(VALU_DEP_1)
	v_and_b32_e32 v15, 0x80000000, v15
	v_or3_b32 v24, v17, v15, v14
	s_delay_alu instid0(VALU_DEP_1)
	v_mov_b64_e32 v[14:15], v[24:25]
.LBB214_2930:                           ;   in Loop: Header=BB214_1581 Depth=1
	s_or_b32 exec_lo, exec_lo, s14
.LBB214_2931:                           ;   in Loop: Header=BB214_1581 Depth=1
	s_delay_alu instid0(SALU_CYCLE_1)
	s_or_b32 exec_lo, exec_lo, s9
.LBB214_2932:                           ;   in Loop: Header=BB214_1581 Depth=1
	s_delay_alu instid0(SALU_CYCLE_1) | instskip(NEXT) | instid1(SALU_CYCLE_1)
	s_or_b32 exec_lo, exec_lo, s8
	s_mov_b32 s8, exec_lo
	v_cmpx_lt_u32_e32 0xffffff, v16
	s_cbranch_execz .LBB214_2940
; %bb.2933:                             ;   in Loop: Header=BB214_1581 Depth=1
	v_mov_b64_e32 v[12:13], 0x8000000000000000
	v_lshrrev_b32_e32 v17, 24, v16
	s_mov_b32 s9, exec_lo
	s_delay_alu instid0(VALU_DEP_1)
	v_cmpx_ne_u32_e32 0x80, v17
	s_cbranch_execz .LBB214_2939
; %bb.2934:                             ;   in Loop: Header=BB214_1581 Depth=1
	v_mov_b64_e32 v[12:13], 0x7f80000100000000
	v_bfe_u32 v16, v16, 24, 7
	s_mov_b32 s14, exec_lo
	s_delay_alu instid0(VALU_DEP_1)
	v_cmpx_ne_u32_e32 0x7f, v16
	s_cbranch_execz .LBB214_2938
; %bb.2935:                             ;   in Loop: Header=BB214_1581 Depth=1
	v_dual_lshrrev_b32 v12, 3, v16 :: v_dual_bitop2_b32 v24, 7, v17 bitop3:0x40
	s_mov_b32 s15, exec_lo
	v_cmpx_gt_u32_e32 8, v16
; %bb.2936:                             ;   in Loop: Header=BB214_1581 Depth=1
	s_delay_alu instid0(VALU_DEP_2) | instskip(NEXT) | instid1(VALU_DEP_1)
	v_clz_i32_u32_e32 v12, v24
	v_min_u32_e32 v12, 32, v12
	s_delay_alu instid0(VALU_DEP_1) | instskip(SKIP_1) | instid1(VALU_DEP_2)
	v_subrev_nc_u32_e32 v13, 28, v12
	v_sub_nc_u32_e32 v12, 29, v12
	v_lshlrev_b64_e32 v[20:21], v13, v[24:25]
	s_delay_alu instid0(VALU_DEP_1)
	v_and_b32_e32 v24, 7, v20
; %bb.2937:                             ;   in Loop: Header=BB214_1581 Depth=1
	s_or_b32 exec_lo, exec_lo, s15
	s_delay_alu instid0(VALU_DEP_1) | instskip(SKIP_1) | instid1(VALU_DEP_2)
	v_dual_lshlrev_b32 v13, 24, v17 :: v_dual_lshlrev_b32 v16, 20, v24
	v_lshl_add_u32 v12, v12, 23, 0x3c000000
	v_and_b32_e32 v13, 0x80000000, v13
	s_delay_alu instid0(VALU_DEP_1)
	v_or3_b32 v13, v16, v13, v12
	v_mov_b32_e32 v12, v25
.LBB214_2938:                           ;   in Loop: Header=BB214_1581 Depth=1
	s_or_b32 exec_lo, exec_lo, s14
.LBB214_2939:                           ;   in Loop: Header=BB214_1581 Depth=1
	s_delay_alu instid0(SALU_CYCLE_1)
	s_or_b32 exec_lo, exec_lo, s9
.LBB214_2940:                           ;   in Loop: Header=BB214_1581 Depth=1
	s_delay_alu instid0(SALU_CYCLE_1) | instskip(SKIP_4) | instid1(VALU_DEP_3)
	s_or_b32 exec_lo, exec_lo, s8
	v_or_b32_e32 v9, v9, v11
	v_or_b32_e32 v8, v8, v10
	;; [unrolled: 1-line block ×4, first 2 shown]
	v_pk_mul_f32 v[122:123], v[114:115], v[8:9]
	s_delay_alu instid0(VALU_DEP_2)
	v_pk_mul_f32 v[120:121], v[114:115], v[10:11]
	s_and_saveexec_b32 s8, vcc_lo
	s_cbranch_execz .LBB214_2942
; %bb.2941:                             ;   in Loop: Header=BB214_1581 Depth=1
	scratch_load_b64 v[8:9], off, s32 offset:200 ; 8-byte Folded Reload
	s_wait_loadcnt 0x0
	v_cmp_lt_i32_e64 s0, v29, v8
	s_delay_alu instid0(VALU_DEP_1) | instskip(SKIP_1) | instid1(VALU_DEP_1)
	v_cndmask_b32_e64 v122, 0, v122, s0
	v_cmp_lt_i32_e64 s0, v30, v8
	v_cndmask_b32_e64 v123, 0, v123, s0
	v_cmp_lt_i32_e64 s0, v32, v8
	s_delay_alu instid0(VALU_DEP_1) | instskip(SKIP_1) | instid1(VALU_DEP_1)
	v_cndmask_b32_e64 v120, 0, v120, s0
	v_cmp_lt_i32_e64 s0, v31, v8
	v_cndmask_b32_e64 v121, 0, v121, s0
.LBB214_2942:                           ;   in Loop: Header=BB214_1581 Depth=1
	s_wait_xcnt 0x0
	s_or_b32 exec_lo, exec_lo, s8
	flat_load_b32 v16, v[0:1] offset:5120
	v_mov_b64_e32 v[8:9], 0
	v_mov_b64_e32 v[10:11], 0
	s_mov_b32 s8, exec_lo
	s_wait_loadcnt_dscnt 0x0
	v_and_b32_e32 v12, 0xff, v16
	s_wait_xcnt 0x0
	s_delay_alu instid0(VALU_DEP_1)
	v_cmpx_ne_u16_e32 0, v12
	s_cbranch_execz .LBB214_2950
; %bb.2943:                             ;   in Loop: Header=BB214_1581 Depth=1
	v_mov_b64_e32 v[10:11], 0x80000000
	s_mov_b32 s9, exec_lo
	v_cmpx_ne_u16_e32 0x80, v12
	s_cbranch_execz .LBB214_2949
; %bb.2944:                             ;   in Loop: Header=BB214_1581 Depth=1
	v_mov_b64_e32 v[10:11], 0x7f800001
	v_and_b32_e32 v12, 0x7f, v16
	s_mov_b32 s14, exec_lo
	s_delay_alu instid0(VALU_DEP_1)
	v_cmpx_ne_u32_e32 0x7f, v12
	s_cbranch_execz .LBB214_2948
; %bb.2945:                             ;   in Loop: Header=BB214_1581 Depth=1
	v_and_b32_e32 v24, 7, v16
	v_lshrrev_b32_e32 v10, 3, v12
	s_mov_b32 s15, exec_lo
	v_cmpx_gt_u32_e32 8, v12
; %bb.2946:                             ;   in Loop: Header=BB214_1581 Depth=1
	s_delay_alu instid0(VALU_DEP_3) | instskip(NEXT) | instid1(VALU_DEP_1)
	v_clz_i32_u32_e32 v10, v24
	v_min_u32_e32 v10, 32, v10
	s_delay_alu instid0(VALU_DEP_1) | instskip(NEXT) | instid1(VALU_DEP_1)
	v_subrev_nc_u32_e32 v11, 28, v10
	v_lshlrev_b64_e32 v[12:13], v11, v[24:25]
	s_delay_alu instid0(VALU_DEP_1)
	v_dual_sub_nc_u32 v10, 29, v10 :: v_dual_bitop2_b32 v24, 7, v12 bitop3:0x40
; %bb.2947:                             ;   in Loop: Header=BB214_1581 Depth=1
	s_or_b32 exec_lo, exec_lo, s15
	v_lshlrev_b32_e32 v11, 24, v16
	s_delay_alu instid0(VALU_DEP_2) | instskip(NEXT) | instid1(VALU_DEP_3)
	v_lshlrev_b32_e32 v12, 20, v24
	v_lshl_add_u32 v10, v10, 23, 0x3c000000
	s_delay_alu instid0(VALU_DEP_3) | instskip(NEXT) | instid1(VALU_DEP_1)
	v_and_b32_e32 v11, 0x80000000, v11
	v_or3_b32 v24, v12, v11, v10
	s_delay_alu instid0(VALU_DEP_1)
	v_mov_b64_e32 v[10:11], v[24:25]
.LBB214_2948:                           ;   in Loop: Header=BB214_1581 Depth=1
	s_or_b32 exec_lo, exec_lo, s14
.LBB214_2949:                           ;   in Loop: Header=BB214_1581 Depth=1
	s_delay_alu instid0(SALU_CYCLE_1)
	s_or_b32 exec_lo, exec_lo, s9
.LBB214_2950:                           ;   in Loop: Header=BB214_1581 Depth=1
	s_delay_alu instid0(SALU_CYCLE_1) | instskip(SKIP_2) | instid1(VALU_DEP_1)
	s_or_b32 exec_lo, exec_lo, s8
	v_lshrrev_b16 v12, 8, v16
	s_mov_b32 s8, exec_lo
	v_cmpx_ne_u16_e32 0, v12
	s_cbranch_execz .LBB214_2958
; %bb.2951:                             ;   in Loop: Header=BB214_1581 Depth=1
	v_mov_b64_e32 v[8:9], 0x8000000000000000
	s_mov_b32 s9, exec_lo
	v_cmpx_ne_u16_e32 0x80, v12
	s_cbranch_execz .LBB214_2957
; %bb.2952:                             ;   in Loop: Header=BB214_1581 Depth=1
	v_and_b32_e32 v13, 0xffff, v12
	v_mov_b64_e32 v[8:9], 0x7f80000100000000
	s_mov_b32 s14, exec_lo
	s_delay_alu instid0(VALU_DEP_2) | instskip(NEXT) | instid1(VALU_DEP_1)
	v_and_b32_e32 v12, 0x7f, v13
	v_cmpx_ne_u32_e32 0x7f, v12
	s_cbranch_execz .LBB214_2956
; %bb.2953:                             ;   in Loop: Header=BB214_1581 Depth=1
	v_dual_lshrrev_b32 v8, 3, v12 :: v_dual_bitop2_b32 v24, 7, v13 bitop3:0x40
	s_mov_b32 s15, exec_lo
	v_cmpx_gt_u32_e32 8, v12
; %bb.2954:                             ;   in Loop: Header=BB214_1581 Depth=1
	s_delay_alu instid0(VALU_DEP_2) | instskip(NEXT) | instid1(VALU_DEP_1)
	v_clz_i32_u32_e32 v8, v24
	v_min_u32_e32 v8, 32, v8
	s_delay_alu instid0(VALU_DEP_1) | instskip(SKIP_1) | instid1(VALU_DEP_2)
	v_subrev_nc_u32_e32 v9, 28, v8
	v_sub_nc_u32_e32 v8, 29, v8
	v_lshlrev_b64_e32 v[12:13], v9, v[24:25]
	s_delay_alu instid0(VALU_DEP_1)
	v_and_b32_e32 v24, 7, v12
; %bb.2955:                             ;   in Loop: Header=BB214_1581 Depth=1
	s_or_b32 exec_lo, exec_lo, s15
	v_lshlrev_b32_e32 v9, 16, v16
	s_delay_alu instid0(VALU_DEP_2) | instskip(SKIP_1) | instid1(VALU_DEP_3)
	v_lshlrev_b32_e32 v12, 20, v24
	v_lshl_add_u32 v8, v8, 23, 0x3c000000
	v_and_b32_e32 v9, 0x80000000, v9
	s_delay_alu instid0(VALU_DEP_1)
	v_or3_b32 v9, v12, v9, v8
	v_mov_b32_e32 v8, v25
.LBB214_2956:                           ;   in Loop: Header=BB214_1581 Depth=1
	s_or_b32 exec_lo, exec_lo, s14
.LBB214_2957:                           ;   in Loop: Header=BB214_1581 Depth=1
	s_delay_alu instid0(SALU_CYCLE_1)
	s_or_b32 exec_lo, exec_lo, s9
.LBB214_2958:                           ;   in Loop: Header=BB214_1581 Depth=1
	s_delay_alu instid0(SALU_CYCLE_1) | instskip(SKIP_4) | instid1(VALU_DEP_3)
	s_or_b32 exec_lo, exec_lo, s8
	v_lshrrev_b32_e32 v17, 16, v16
	v_mov_b64_e32 v[12:13], 0
	v_mov_b64_e32 v[14:15], 0
	s_mov_b32 s8, exec_lo
	v_and_b32_e32 v20, 0xff, v17
	s_delay_alu instid0(VALU_DEP_1)
	v_cmpx_ne_u16_e32 0, v20
	s_cbranch_execz .LBB214_2966
; %bb.2959:                             ;   in Loop: Header=BB214_1581 Depth=1
	v_mov_b64_e32 v[14:15], 0x80000000
	s_mov_b32 s9, exec_lo
	v_cmpx_ne_u16_e32 0x80, v20
	s_cbranch_execz .LBB214_2965
; %bb.2960:                             ;   in Loop: Header=BB214_1581 Depth=1
	v_mov_b64_e32 v[14:15], 0x7f800001
	v_bfe_u32 v20, v16, 16, 7
	s_mov_b32 s14, exec_lo
	s_delay_alu instid0(VALU_DEP_1)
	v_cmpx_ne_u32_e32 0x7f, v20
	s_cbranch_execz .LBB214_2964
; %bb.2961:                             ;   in Loop: Header=BB214_1581 Depth=1
	v_dual_lshrrev_b32 v14, 3, v20 :: v_dual_bitop2_b32 v24, 7, v17 bitop3:0x40
	s_mov_b32 s15, exec_lo
	v_cmpx_gt_u32_e32 8, v20
; %bb.2962:                             ;   in Loop: Header=BB214_1581 Depth=1
	s_delay_alu instid0(VALU_DEP_2) | instskip(NEXT) | instid1(VALU_DEP_1)
	v_clz_i32_u32_e32 v14, v24
	v_min_u32_e32 v14, 32, v14
	s_delay_alu instid0(VALU_DEP_1) | instskip(NEXT) | instid1(VALU_DEP_1)
	v_subrev_nc_u32_e32 v15, 28, v14
	v_lshlrev_b64_e32 v[20:21], v15, v[24:25]
	s_delay_alu instid0(VALU_DEP_1)
	v_dual_sub_nc_u32 v14, 29, v14 :: v_dual_bitop2_b32 v24, 7, v20 bitop3:0x40
; %bb.2963:                             ;   in Loop: Header=BB214_1581 Depth=1
	s_or_b32 exec_lo, exec_lo, s15
	s_delay_alu instid0(VALU_DEP_1) | instskip(NEXT) | instid1(VALU_DEP_2)
	v_dual_lshlrev_b32 v15, 24, v17 :: v_dual_lshlrev_b32 v17, 20, v24
	v_lshl_add_u32 v14, v14, 23, 0x3c000000
	s_delay_alu instid0(VALU_DEP_2) | instskip(NEXT) | instid1(VALU_DEP_1)
	v_and_b32_e32 v15, 0x80000000, v15
	v_or3_b32 v24, v17, v15, v14
	s_delay_alu instid0(VALU_DEP_1)
	v_mov_b64_e32 v[14:15], v[24:25]
.LBB214_2964:                           ;   in Loop: Header=BB214_1581 Depth=1
	s_or_b32 exec_lo, exec_lo, s14
.LBB214_2965:                           ;   in Loop: Header=BB214_1581 Depth=1
	s_delay_alu instid0(SALU_CYCLE_1)
	s_or_b32 exec_lo, exec_lo, s9
.LBB214_2966:                           ;   in Loop: Header=BB214_1581 Depth=1
	s_delay_alu instid0(SALU_CYCLE_1) | instskip(NEXT) | instid1(SALU_CYCLE_1)
	s_or_b32 exec_lo, exec_lo, s8
	s_mov_b32 s8, exec_lo
	v_cmpx_lt_u32_e32 0xffffff, v16
	s_cbranch_execz .LBB214_2974
; %bb.2967:                             ;   in Loop: Header=BB214_1581 Depth=1
	v_mov_b64_e32 v[12:13], 0x8000000000000000
	v_lshrrev_b32_e32 v17, 24, v16
	s_mov_b32 s9, exec_lo
	s_delay_alu instid0(VALU_DEP_1)
	v_cmpx_ne_u32_e32 0x80, v17
	s_cbranch_execz .LBB214_2973
; %bb.2968:                             ;   in Loop: Header=BB214_1581 Depth=1
	v_mov_b64_e32 v[12:13], 0x7f80000100000000
	v_bfe_u32 v16, v16, 24, 7
	s_mov_b32 s14, exec_lo
	s_delay_alu instid0(VALU_DEP_1)
	v_cmpx_ne_u32_e32 0x7f, v16
	s_cbranch_execz .LBB214_2972
; %bb.2969:                             ;   in Loop: Header=BB214_1581 Depth=1
	v_dual_lshrrev_b32 v12, 3, v16 :: v_dual_bitop2_b32 v24, 7, v17 bitop3:0x40
	s_mov_b32 s15, exec_lo
	v_cmpx_gt_u32_e32 8, v16
; %bb.2970:                             ;   in Loop: Header=BB214_1581 Depth=1
	s_delay_alu instid0(VALU_DEP_2) | instskip(NEXT) | instid1(VALU_DEP_1)
	v_clz_i32_u32_e32 v12, v24
	v_min_u32_e32 v12, 32, v12
	s_delay_alu instid0(VALU_DEP_1) | instskip(SKIP_1) | instid1(VALU_DEP_2)
	v_subrev_nc_u32_e32 v13, 28, v12
	v_sub_nc_u32_e32 v12, 29, v12
	v_lshlrev_b64_e32 v[20:21], v13, v[24:25]
	s_delay_alu instid0(VALU_DEP_1)
	v_and_b32_e32 v24, 7, v20
; %bb.2971:                             ;   in Loop: Header=BB214_1581 Depth=1
	s_or_b32 exec_lo, exec_lo, s15
	s_delay_alu instid0(VALU_DEP_1) | instskip(SKIP_1) | instid1(VALU_DEP_2)
	v_dual_lshlrev_b32 v13, 24, v17 :: v_dual_lshlrev_b32 v16, 20, v24
	v_lshl_add_u32 v12, v12, 23, 0x3c000000
	v_and_b32_e32 v13, 0x80000000, v13
	s_delay_alu instid0(VALU_DEP_1)
	v_or3_b32 v13, v16, v13, v12
	v_mov_b32_e32 v12, v25
.LBB214_2972:                           ;   in Loop: Header=BB214_1581 Depth=1
	s_or_b32 exec_lo, exec_lo, s14
.LBB214_2973:                           ;   in Loop: Header=BB214_1581 Depth=1
	s_delay_alu instid0(SALU_CYCLE_1)
	s_or_b32 exec_lo, exec_lo, s9
.LBB214_2974:                           ;   in Loop: Header=BB214_1581 Depth=1
	s_delay_alu instid0(SALU_CYCLE_1) | instskip(SKIP_4) | instid1(VALU_DEP_3)
	s_or_b32 exec_lo, exec_lo, s8
	v_or_b32_e32 v9, v9, v11
	v_or_b32_e32 v8, v8, v10
	v_or_b32_e32 v11, v13, v15
	v_or_b32_e32 v10, v12, v14
	v_pk_mul_f32 v[126:127], v[114:115], v[8:9]
	s_delay_alu instid0(VALU_DEP_2)
	v_pk_mul_f32 v[124:125], v[114:115], v[10:11]
	s_and_saveexec_b32 s8, vcc_lo
	s_cbranch_execz .LBB214_2976
; %bb.2975:                             ;   in Loop: Header=BB214_1581 Depth=1
	scratch_load_b64 v[8:9], off, s32 offset:200 ; 8-byte Folded Reload
	s_wait_loadcnt 0x0
	v_cmp_lt_i32_e64 s0, v29, v8
	s_delay_alu instid0(VALU_DEP_1) | instskip(SKIP_1) | instid1(VALU_DEP_1)
	v_cndmask_b32_e64 v126, 0, v126, s0
	v_cmp_lt_i32_e64 s0, v30, v8
	v_cndmask_b32_e64 v127, 0, v127, s0
	v_cmp_lt_i32_e64 s0, v32, v8
	s_delay_alu instid0(VALU_DEP_1) | instskip(SKIP_1) | instid1(VALU_DEP_1)
	v_cndmask_b32_e64 v124, 0, v124, s0
	v_cmp_lt_i32_e64 s0, v31, v8
	v_cndmask_b32_e64 v125, 0, v125, s0
.LBB214_2976:                           ;   in Loop: Header=BB214_1581 Depth=1
	s_wait_xcnt 0x0
	s_or_b32 exec_lo, exec_lo, s8
	flat_load_b32 v16, v[0:1] offset:5248
	v_mov_b64_e32 v[8:9], 0
	v_mov_b64_e32 v[10:11], 0
	s_mov_b32 s8, exec_lo
	s_wait_loadcnt_dscnt 0x0
	v_and_b32_e32 v12, 0xff, v16
	s_wait_xcnt 0x0
	s_delay_alu instid0(VALU_DEP_1)
	v_cmpx_ne_u16_e32 0, v12
	s_cbranch_execz .LBB214_2984
; %bb.2977:                             ;   in Loop: Header=BB214_1581 Depth=1
	v_mov_b64_e32 v[10:11], 0x80000000
	s_mov_b32 s9, exec_lo
	v_cmpx_ne_u16_e32 0x80, v12
	s_cbranch_execz .LBB214_2983
; %bb.2978:                             ;   in Loop: Header=BB214_1581 Depth=1
	v_mov_b64_e32 v[10:11], 0x7f800001
	v_and_b32_e32 v12, 0x7f, v16
	s_mov_b32 s14, exec_lo
	s_delay_alu instid0(VALU_DEP_1)
	v_cmpx_ne_u32_e32 0x7f, v12
	s_cbranch_execz .LBB214_2982
; %bb.2979:                             ;   in Loop: Header=BB214_1581 Depth=1
	v_and_b32_e32 v24, 7, v16
	v_lshrrev_b32_e32 v10, 3, v12
	s_mov_b32 s15, exec_lo
	v_cmpx_gt_u32_e32 8, v12
; %bb.2980:                             ;   in Loop: Header=BB214_1581 Depth=1
	s_delay_alu instid0(VALU_DEP_3) | instskip(NEXT) | instid1(VALU_DEP_1)
	v_clz_i32_u32_e32 v10, v24
	v_min_u32_e32 v10, 32, v10
	s_delay_alu instid0(VALU_DEP_1) | instskip(NEXT) | instid1(VALU_DEP_1)
	v_subrev_nc_u32_e32 v11, 28, v10
	v_lshlrev_b64_e32 v[12:13], v11, v[24:25]
	s_delay_alu instid0(VALU_DEP_1)
	v_dual_sub_nc_u32 v10, 29, v10 :: v_dual_bitop2_b32 v24, 7, v12 bitop3:0x40
; %bb.2981:                             ;   in Loop: Header=BB214_1581 Depth=1
	s_or_b32 exec_lo, exec_lo, s15
	v_lshlrev_b32_e32 v11, 24, v16
	s_delay_alu instid0(VALU_DEP_2) | instskip(NEXT) | instid1(VALU_DEP_3)
	v_lshlrev_b32_e32 v12, 20, v24
	v_lshl_add_u32 v10, v10, 23, 0x3c000000
	s_delay_alu instid0(VALU_DEP_3) | instskip(NEXT) | instid1(VALU_DEP_1)
	v_and_b32_e32 v11, 0x80000000, v11
	v_or3_b32 v24, v12, v11, v10
	s_delay_alu instid0(VALU_DEP_1)
	v_mov_b64_e32 v[10:11], v[24:25]
.LBB214_2982:                           ;   in Loop: Header=BB214_1581 Depth=1
	s_or_b32 exec_lo, exec_lo, s14
.LBB214_2983:                           ;   in Loop: Header=BB214_1581 Depth=1
	s_delay_alu instid0(SALU_CYCLE_1)
	s_or_b32 exec_lo, exec_lo, s9
.LBB214_2984:                           ;   in Loop: Header=BB214_1581 Depth=1
	s_delay_alu instid0(SALU_CYCLE_1) | instskip(SKIP_2) | instid1(VALU_DEP_1)
	s_or_b32 exec_lo, exec_lo, s8
	v_lshrrev_b16 v12, 8, v16
	s_mov_b32 s8, exec_lo
	v_cmpx_ne_u16_e32 0, v12
	s_cbranch_execz .LBB214_2992
; %bb.2985:                             ;   in Loop: Header=BB214_1581 Depth=1
	v_mov_b64_e32 v[8:9], 0x8000000000000000
	s_mov_b32 s9, exec_lo
	v_cmpx_ne_u16_e32 0x80, v12
	s_cbranch_execz .LBB214_2991
; %bb.2986:                             ;   in Loop: Header=BB214_1581 Depth=1
	v_and_b32_e32 v13, 0xffff, v12
	v_mov_b64_e32 v[8:9], 0x7f80000100000000
	s_mov_b32 s14, exec_lo
	s_delay_alu instid0(VALU_DEP_2) | instskip(NEXT) | instid1(VALU_DEP_1)
	v_and_b32_e32 v12, 0x7f, v13
	v_cmpx_ne_u32_e32 0x7f, v12
	s_cbranch_execz .LBB214_2990
; %bb.2987:                             ;   in Loop: Header=BB214_1581 Depth=1
	v_dual_lshrrev_b32 v8, 3, v12 :: v_dual_bitop2_b32 v24, 7, v13 bitop3:0x40
	s_mov_b32 s15, exec_lo
	v_cmpx_gt_u32_e32 8, v12
; %bb.2988:                             ;   in Loop: Header=BB214_1581 Depth=1
	s_delay_alu instid0(VALU_DEP_2) | instskip(NEXT) | instid1(VALU_DEP_1)
	v_clz_i32_u32_e32 v8, v24
	v_min_u32_e32 v8, 32, v8
	s_delay_alu instid0(VALU_DEP_1) | instskip(SKIP_1) | instid1(VALU_DEP_2)
	v_subrev_nc_u32_e32 v9, 28, v8
	v_sub_nc_u32_e32 v8, 29, v8
	v_lshlrev_b64_e32 v[12:13], v9, v[24:25]
	s_delay_alu instid0(VALU_DEP_1)
	v_and_b32_e32 v24, 7, v12
; %bb.2989:                             ;   in Loop: Header=BB214_1581 Depth=1
	s_or_b32 exec_lo, exec_lo, s15
	v_lshlrev_b32_e32 v9, 16, v16
	s_delay_alu instid0(VALU_DEP_2) | instskip(SKIP_1) | instid1(VALU_DEP_3)
	v_lshlrev_b32_e32 v12, 20, v24
	v_lshl_add_u32 v8, v8, 23, 0x3c000000
	v_and_b32_e32 v9, 0x80000000, v9
	s_delay_alu instid0(VALU_DEP_1)
	v_or3_b32 v9, v12, v9, v8
	v_mov_b32_e32 v8, v25
.LBB214_2990:                           ;   in Loop: Header=BB214_1581 Depth=1
	s_or_b32 exec_lo, exec_lo, s14
.LBB214_2991:                           ;   in Loop: Header=BB214_1581 Depth=1
	s_delay_alu instid0(SALU_CYCLE_1)
	s_or_b32 exec_lo, exec_lo, s9
.LBB214_2992:                           ;   in Loop: Header=BB214_1581 Depth=1
	s_delay_alu instid0(SALU_CYCLE_1) | instskip(SKIP_4) | instid1(VALU_DEP_3)
	s_or_b32 exec_lo, exec_lo, s8
	v_lshrrev_b32_e32 v17, 16, v16
	v_mov_b64_e32 v[12:13], 0
	v_mov_b64_e32 v[14:15], 0
	s_mov_b32 s8, exec_lo
	v_and_b32_e32 v20, 0xff, v17
	s_delay_alu instid0(VALU_DEP_1)
	v_cmpx_ne_u16_e32 0, v20
	s_cbranch_execz .LBB214_3000
; %bb.2993:                             ;   in Loop: Header=BB214_1581 Depth=1
	v_mov_b64_e32 v[14:15], 0x80000000
	s_mov_b32 s9, exec_lo
	v_cmpx_ne_u16_e32 0x80, v20
	s_cbranch_execz .LBB214_2999
; %bb.2994:                             ;   in Loop: Header=BB214_1581 Depth=1
	v_mov_b64_e32 v[14:15], 0x7f800001
	v_bfe_u32 v20, v16, 16, 7
	s_mov_b32 s14, exec_lo
	s_delay_alu instid0(VALU_DEP_1)
	v_cmpx_ne_u32_e32 0x7f, v20
	s_cbranch_execz .LBB214_2998
; %bb.2995:                             ;   in Loop: Header=BB214_1581 Depth=1
	v_dual_lshrrev_b32 v14, 3, v20 :: v_dual_bitop2_b32 v24, 7, v17 bitop3:0x40
	s_mov_b32 s15, exec_lo
	v_cmpx_gt_u32_e32 8, v20
; %bb.2996:                             ;   in Loop: Header=BB214_1581 Depth=1
	s_delay_alu instid0(VALU_DEP_2) | instskip(NEXT) | instid1(VALU_DEP_1)
	v_clz_i32_u32_e32 v14, v24
	v_min_u32_e32 v14, 32, v14
	s_delay_alu instid0(VALU_DEP_1) | instskip(NEXT) | instid1(VALU_DEP_1)
	v_subrev_nc_u32_e32 v15, 28, v14
	v_lshlrev_b64_e32 v[20:21], v15, v[24:25]
	s_delay_alu instid0(VALU_DEP_1)
	v_dual_sub_nc_u32 v14, 29, v14 :: v_dual_bitop2_b32 v24, 7, v20 bitop3:0x40
; %bb.2997:                             ;   in Loop: Header=BB214_1581 Depth=1
	s_or_b32 exec_lo, exec_lo, s15
	s_delay_alu instid0(VALU_DEP_1) | instskip(NEXT) | instid1(VALU_DEP_2)
	v_dual_lshlrev_b32 v15, 24, v17 :: v_dual_lshlrev_b32 v17, 20, v24
	v_lshl_add_u32 v14, v14, 23, 0x3c000000
	s_delay_alu instid0(VALU_DEP_2) | instskip(NEXT) | instid1(VALU_DEP_1)
	v_and_b32_e32 v15, 0x80000000, v15
	v_or3_b32 v24, v17, v15, v14
	s_delay_alu instid0(VALU_DEP_1)
	v_mov_b64_e32 v[14:15], v[24:25]
.LBB214_2998:                           ;   in Loop: Header=BB214_1581 Depth=1
	s_or_b32 exec_lo, exec_lo, s14
.LBB214_2999:                           ;   in Loop: Header=BB214_1581 Depth=1
	s_delay_alu instid0(SALU_CYCLE_1)
	s_or_b32 exec_lo, exec_lo, s9
.LBB214_3000:                           ;   in Loop: Header=BB214_1581 Depth=1
	s_delay_alu instid0(SALU_CYCLE_1) | instskip(NEXT) | instid1(SALU_CYCLE_1)
	s_or_b32 exec_lo, exec_lo, s8
	s_mov_b32 s8, exec_lo
	v_cmpx_lt_u32_e32 0xffffff, v16
	s_cbranch_execz .LBB214_3008
; %bb.3001:                             ;   in Loop: Header=BB214_1581 Depth=1
	v_mov_b64_e32 v[12:13], 0x8000000000000000
	v_lshrrev_b32_e32 v17, 24, v16
	s_mov_b32 s9, exec_lo
	s_delay_alu instid0(VALU_DEP_1)
	v_cmpx_ne_u32_e32 0x80, v17
	s_cbranch_execz .LBB214_3007
; %bb.3002:                             ;   in Loop: Header=BB214_1581 Depth=1
	v_mov_b64_e32 v[12:13], 0x7f80000100000000
	v_bfe_u32 v16, v16, 24, 7
	s_mov_b32 s14, exec_lo
	s_delay_alu instid0(VALU_DEP_1)
	v_cmpx_ne_u32_e32 0x7f, v16
	s_cbranch_execz .LBB214_3006
; %bb.3003:                             ;   in Loop: Header=BB214_1581 Depth=1
	v_dual_lshrrev_b32 v12, 3, v16 :: v_dual_bitop2_b32 v24, 7, v17 bitop3:0x40
	s_mov_b32 s15, exec_lo
	v_cmpx_gt_u32_e32 8, v16
; %bb.3004:                             ;   in Loop: Header=BB214_1581 Depth=1
	s_delay_alu instid0(VALU_DEP_2) | instskip(NEXT) | instid1(VALU_DEP_1)
	v_clz_i32_u32_e32 v12, v24
	v_min_u32_e32 v12, 32, v12
	s_delay_alu instid0(VALU_DEP_1) | instskip(SKIP_1) | instid1(VALU_DEP_2)
	v_subrev_nc_u32_e32 v13, 28, v12
	v_sub_nc_u32_e32 v12, 29, v12
	v_lshlrev_b64_e32 v[20:21], v13, v[24:25]
	s_delay_alu instid0(VALU_DEP_1)
	v_and_b32_e32 v24, 7, v20
; %bb.3005:                             ;   in Loop: Header=BB214_1581 Depth=1
	s_or_b32 exec_lo, exec_lo, s15
	s_delay_alu instid0(VALU_DEP_1) | instskip(SKIP_1) | instid1(VALU_DEP_2)
	v_dual_lshlrev_b32 v13, 24, v17 :: v_dual_lshlrev_b32 v16, 20, v24
	v_lshl_add_u32 v12, v12, 23, 0x3c000000
	v_and_b32_e32 v13, 0x80000000, v13
	s_delay_alu instid0(VALU_DEP_1)
	v_or3_b32 v13, v16, v13, v12
	v_mov_b32_e32 v12, v25
.LBB214_3006:                           ;   in Loop: Header=BB214_1581 Depth=1
	s_or_b32 exec_lo, exec_lo, s14
.LBB214_3007:                           ;   in Loop: Header=BB214_1581 Depth=1
	s_delay_alu instid0(SALU_CYCLE_1)
	s_or_b32 exec_lo, exec_lo, s9
.LBB214_3008:                           ;   in Loop: Header=BB214_1581 Depth=1
	s_delay_alu instid0(SALU_CYCLE_1) | instskip(SKIP_4) | instid1(VALU_DEP_3)
	s_or_b32 exec_lo, exec_lo, s8
	v_or_b32_e32 v9, v9, v11
	v_or_b32_e32 v8, v8, v10
	;; [unrolled: 1-line block ×4, first 2 shown]
	v_pk_mul_f32 v[84:85], v[114:115], v[8:9]
	s_delay_alu instid0(VALU_DEP_2)
	v_pk_mul_f32 v[80:81], v[114:115], v[10:11]
	s_and_saveexec_b32 s8, vcc_lo
	s_cbranch_execz .LBB214_3010
; %bb.3009:                             ;   in Loop: Header=BB214_1581 Depth=1
	scratch_load_b64 v[8:9], off, s32 offset:200 ; 8-byte Folded Reload
	s_wait_loadcnt 0x0
	v_cmp_lt_i32_e64 s0, v29, v8
	s_delay_alu instid0(VALU_DEP_1) | instskip(SKIP_1) | instid1(VALU_DEP_1)
	v_cndmask_b32_e64 v84, 0, v84, s0
	v_cmp_lt_i32_e64 s0, v30, v8
	v_cndmask_b32_e64 v85, 0, v85, s0
	v_cmp_lt_i32_e64 s0, v32, v8
	s_delay_alu instid0(VALU_DEP_1) | instskip(SKIP_1) | instid1(VALU_DEP_1)
	v_cndmask_b32_e64 v80, 0, v80, s0
	v_cmp_lt_i32_e64 s0, v31, v8
	v_cndmask_b32_e64 v81, 0, v81, s0
.LBB214_3010:                           ;   in Loop: Header=BB214_1581 Depth=1
	s_wait_xcnt 0x0
	s_or_b32 exec_lo, exec_lo, s8
	flat_load_b32 v16, v[0:1] offset:5376
	v_mov_b64_e32 v[8:9], 0
	v_mov_b64_e32 v[10:11], 0
	s_mov_b32 s8, exec_lo
	s_wait_loadcnt_dscnt 0x0
	v_and_b32_e32 v12, 0xff, v16
	s_wait_xcnt 0x0
	s_delay_alu instid0(VALU_DEP_1)
	v_cmpx_ne_u16_e32 0, v12
	s_cbranch_execz .LBB214_3018
; %bb.3011:                             ;   in Loop: Header=BB214_1581 Depth=1
	v_mov_b64_e32 v[10:11], 0x80000000
	s_mov_b32 s9, exec_lo
	v_cmpx_ne_u16_e32 0x80, v12
	s_cbranch_execz .LBB214_3017
; %bb.3012:                             ;   in Loop: Header=BB214_1581 Depth=1
	v_mov_b64_e32 v[10:11], 0x7f800001
	v_and_b32_e32 v12, 0x7f, v16
	s_mov_b32 s14, exec_lo
	s_delay_alu instid0(VALU_DEP_1)
	v_cmpx_ne_u32_e32 0x7f, v12
	s_cbranch_execz .LBB214_3016
; %bb.3013:                             ;   in Loop: Header=BB214_1581 Depth=1
	v_and_b32_e32 v24, 7, v16
	v_lshrrev_b32_e32 v10, 3, v12
	s_mov_b32 s15, exec_lo
	v_cmpx_gt_u32_e32 8, v12
; %bb.3014:                             ;   in Loop: Header=BB214_1581 Depth=1
	s_delay_alu instid0(VALU_DEP_3) | instskip(NEXT) | instid1(VALU_DEP_1)
	v_clz_i32_u32_e32 v10, v24
	v_min_u32_e32 v10, 32, v10
	s_delay_alu instid0(VALU_DEP_1) | instskip(NEXT) | instid1(VALU_DEP_1)
	v_subrev_nc_u32_e32 v11, 28, v10
	v_lshlrev_b64_e32 v[12:13], v11, v[24:25]
	s_delay_alu instid0(VALU_DEP_1)
	v_dual_sub_nc_u32 v10, 29, v10 :: v_dual_bitop2_b32 v24, 7, v12 bitop3:0x40
; %bb.3015:                             ;   in Loop: Header=BB214_1581 Depth=1
	s_or_b32 exec_lo, exec_lo, s15
	v_lshlrev_b32_e32 v11, 24, v16
	s_delay_alu instid0(VALU_DEP_2) | instskip(NEXT) | instid1(VALU_DEP_3)
	v_lshlrev_b32_e32 v12, 20, v24
	v_lshl_add_u32 v10, v10, 23, 0x3c000000
	s_delay_alu instid0(VALU_DEP_3) | instskip(NEXT) | instid1(VALU_DEP_1)
	v_and_b32_e32 v11, 0x80000000, v11
	v_or3_b32 v24, v12, v11, v10
	s_delay_alu instid0(VALU_DEP_1)
	v_mov_b64_e32 v[10:11], v[24:25]
.LBB214_3016:                           ;   in Loop: Header=BB214_1581 Depth=1
	s_or_b32 exec_lo, exec_lo, s14
.LBB214_3017:                           ;   in Loop: Header=BB214_1581 Depth=1
	s_delay_alu instid0(SALU_CYCLE_1)
	s_or_b32 exec_lo, exec_lo, s9
.LBB214_3018:                           ;   in Loop: Header=BB214_1581 Depth=1
	s_delay_alu instid0(SALU_CYCLE_1) | instskip(SKIP_2) | instid1(VALU_DEP_1)
	s_or_b32 exec_lo, exec_lo, s8
	v_lshrrev_b16 v12, 8, v16
	s_mov_b32 s8, exec_lo
	v_cmpx_ne_u16_e32 0, v12
	s_cbranch_execz .LBB214_3026
; %bb.3019:                             ;   in Loop: Header=BB214_1581 Depth=1
	v_mov_b64_e32 v[8:9], 0x8000000000000000
	s_mov_b32 s9, exec_lo
	v_cmpx_ne_u16_e32 0x80, v12
	s_cbranch_execz .LBB214_3025
; %bb.3020:                             ;   in Loop: Header=BB214_1581 Depth=1
	v_and_b32_e32 v13, 0xffff, v12
	v_mov_b64_e32 v[8:9], 0x7f80000100000000
	s_mov_b32 s14, exec_lo
	s_delay_alu instid0(VALU_DEP_2) | instskip(NEXT) | instid1(VALU_DEP_1)
	v_and_b32_e32 v12, 0x7f, v13
	v_cmpx_ne_u32_e32 0x7f, v12
	s_cbranch_execz .LBB214_3024
; %bb.3021:                             ;   in Loop: Header=BB214_1581 Depth=1
	v_dual_lshrrev_b32 v8, 3, v12 :: v_dual_bitop2_b32 v24, 7, v13 bitop3:0x40
	s_mov_b32 s15, exec_lo
	v_cmpx_gt_u32_e32 8, v12
; %bb.3022:                             ;   in Loop: Header=BB214_1581 Depth=1
	s_delay_alu instid0(VALU_DEP_2) | instskip(NEXT) | instid1(VALU_DEP_1)
	v_clz_i32_u32_e32 v8, v24
	v_min_u32_e32 v8, 32, v8
	s_delay_alu instid0(VALU_DEP_1) | instskip(SKIP_1) | instid1(VALU_DEP_2)
	v_subrev_nc_u32_e32 v9, 28, v8
	v_sub_nc_u32_e32 v8, 29, v8
	v_lshlrev_b64_e32 v[12:13], v9, v[24:25]
	s_delay_alu instid0(VALU_DEP_1)
	v_and_b32_e32 v24, 7, v12
; %bb.3023:                             ;   in Loop: Header=BB214_1581 Depth=1
	s_or_b32 exec_lo, exec_lo, s15
	v_lshlrev_b32_e32 v9, 16, v16
	s_delay_alu instid0(VALU_DEP_2) | instskip(SKIP_1) | instid1(VALU_DEP_3)
	v_lshlrev_b32_e32 v12, 20, v24
	v_lshl_add_u32 v8, v8, 23, 0x3c000000
	v_and_b32_e32 v9, 0x80000000, v9
	s_delay_alu instid0(VALU_DEP_1)
	v_or3_b32 v9, v12, v9, v8
	v_mov_b32_e32 v8, v25
.LBB214_3024:                           ;   in Loop: Header=BB214_1581 Depth=1
	s_or_b32 exec_lo, exec_lo, s14
.LBB214_3025:                           ;   in Loop: Header=BB214_1581 Depth=1
	s_delay_alu instid0(SALU_CYCLE_1)
	s_or_b32 exec_lo, exec_lo, s9
.LBB214_3026:                           ;   in Loop: Header=BB214_1581 Depth=1
	s_delay_alu instid0(SALU_CYCLE_1) | instskip(SKIP_4) | instid1(VALU_DEP_3)
	s_or_b32 exec_lo, exec_lo, s8
	v_lshrrev_b32_e32 v17, 16, v16
	v_mov_b64_e32 v[12:13], 0
	v_mov_b64_e32 v[14:15], 0
	s_mov_b32 s8, exec_lo
	v_and_b32_e32 v20, 0xff, v17
	s_delay_alu instid0(VALU_DEP_1)
	v_cmpx_ne_u16_e32 0, v20
	s_cbranch_execz .LBB214_3034
; %bb.3027:                             ;   in Loop: Header=BB214_1581 Depth=1
	v_mov_b64_e32 v[14:15], 0x80000000
	s_mov_b32 s9, exec_lo
	v_cmpx_ne_u16_e32 0x80, v20
	s_cbranch_execz .LBB214_3033
; %bb.3028:                             ;   in Loop: Header=BB214_1581 Depth=1
	v_mov_b64_e32 v[14:15], 0x7f800001
	v_bfe_u32 v21, v16, 16, 7
	s_mov_b32 s14, exec_lo
	s_delay_alu instid0(VALU_DEP_1)
	v_cmpx_ne_u32_e32 0x7f, v21
	s_cbranch_execz .LBB214_3032
; %bb.3029:                             ;   in Loop: Header=BB214_1581 Depth=1
	v_and_b32_e32 v24, 7, v17
	v_lshrrev_b32_e32 v20, 3, v21
	s_mov_b32 s15, exec_lo
	s_delay_alu instid0(VALU_DEP_2)
	v_mov_b64_e32 v[14:15], v[24:25]
	v_cmpx_gt_u32_e32 8, v21
; %bb.3030:                             ;   in Loop: Header=BB214_1581 Depth=1
	v_clz_i32_u32_e32 v14, v24
	s_delay_alu instid0(VALU_DEP_1) | instskip(NEXT) | instid1(VALU_DEP_1)
	v_min_u32_e32 v20, 32, v14
	v_subrev_nc_u32_e32 v14, 28, v20
	s_delay_alu instid0(VALU_DEP_1) | instskip(NEXT) | instid1(VALU_DEP_1)
	v_lshlrev_b64_e32 v[14:15], v14, v[24:25]
	v_dual_sub_nc_u32 v20, 29, v20 :: v_dual_bitop2_b32 v14, 7, v14 bitop3:0x40
; %bb.3031:                             ;   in Loop: Header=BB214_1581 Depth=1
	s_or_b32 exec_lo, exec_lo, s15
	s_delay_alu instid0(VALU_DEP_1) | instskip(NEXT) | instid1(VALU_DEP_2)
	v_dual_lshlrev_b32 v15, 24, v17 :: v_dual_lshlrev_b32 v14, 20, v14
	v_lshl_add_u32 v17, v20, 23, 0x3c000000
	s_delay_alu instid0(VALU_DEP_2) | instskip(NEXT) | instid1(VALU_DEP_1)
	v_and_b32_e32 v15, 0x80000000, v15
	v_or3_b32 v24, v14, v15, v17
	s_delay_alu instid0(VALU_DEP_1)
	v_mov_b64_e32 v[14:15], v[24:25]
.LBB214_3032:                           ;   in Loop: Header=BB214_1581 Depth=1
	s_or_b32 exec_lo, exec_lo, s14
.LBB214_3033:                           ;   in Loop: Header=BB214_1581 Depth=1
	s_delay_alu instid0(SALU_CYCLE_1)
	s_or_b32 exec_lo, exec_lo, s9
.LBB214_3034:                           ;   in Loop: Header=BB214_1581 Depth=1
	s_delay_alu instid0(SALU_CYCLE_1) | instskip(NEXT) | instid1(SALU_CYCLE_1)
	s_or_b32 exec_lo, exec_lo, s8
	s_mov_b32 s8, exec_lo
	v_cmpx_lt_u32_e32 0xffffff, v16
	s_cbranch_execz .LBB214_3042
; %bb.3035:                             ;   in Loop: Header=BB214_1581 Depth=1
	v_mov_b64_e32 v[12:13], 0x8000000000000000
	v_lshrrev_b32_e32 v17, 24, v16
	s_mov_b32 s9, exec_lo
	s_delay_alu instid0(VALU_DEP_1)
	v_cmpx_ne_u32_e32 0x80, v17
	s_cbranch_execz .LBB214_3041
; %bb.3036:                             ;   in Loop: Header=BB214_1581 Depth=1
	v_mov_b64_e32 v[12:13], 0x7f80000100000000
	v_bfe_u32 v20, v16, 24, 7
	s_mov_b32 s14, exec_lo
	s_delay_alu instid0(VALU_DEP_1)
	v_cmpx_ne_u32_e32 0x7f, v20
	s_cbranch_execz .LBB214_3040
; %bb.3037:                             ;   in Loop: Header=BB214_1581 Depth=1
	v_dual_lshrrev_b32 v16, 3, v20 :: v_dual_bitop2_b32 v24, 7, v17 bitop3:0x40
	s_mov_b32 s15, exec_lo
	s_delay_alu instid0(VALU_DEP_1)
	v_mov_b64_e32 v[12:13], v[24:25]
	v_cmpx_gt_u32_e32 8, v20
; %bb.3038:                             ;   in Loop: Header=BB214_1581 Depth=1
	v_clz_i32_u32_e32 v12, v24
	s_delay_alu instid0(VALU_DEP_1) | instskip(NEXT) | instid1(VALU_DEP_1)
	v_min_u32_e32 v16, 32, v12
	v_subrev_nc_u32_e32 v12, 28, v16
	v_sub_nc_u32_e32 v16, 29, v16
	s_delay_alu instid0(VALU_DEP_2) | instskip(NEXT) | instid1(VALU_DEP_1)
	v_lshlrev_b64_e32 v[12:13], v12, v[24:25]
	v_and_b32_e32 v12, 7, v12
; %bb.3039:                             ;   in Loop: Header=BB214_1581 Depth=1
	s_or_b32 exec_lo, exec_lo, s15
	s_delay_alu instid0(VALU_DEP_1) | instskip(SKIP_1) | instid1(VALU_DEP_2)
	v_dual_lshlrev_b32 v13, 24, v17 :: v_dual_lshlrev_b32 v12, 20, v12
	v_lshl_add_u32 v16, v16, 23, 0x3c000000
	v_and_b32_e32 v13, 0x80000000, v13
	s_delay_alu instid0(VALU_DEP_1)
	v_or3_b32 v13, v12, v13, v16
	v_mov_b32_e32 v12, v25
.LBB214_3040:                           ;   in Loop: Header=BB214_1581 Depth=1
	s_or_b32 exec_lo, exec_lo, s14
.LBB214_3041:                           ;   in Loop: Header=BB214_1581 Depth=1
	s_delay_alu instid0(SALU_CYCLE_1)
	s_or_b32 exec_lo, exec_lo, s9
.LBB214_3042:                           ;   in Loop: Header=BB214_1581 Depth=1
	s_delay_alu instid0(SALU_CYCLE_1) | instskip(SKIP_4) | instid1(VALU_DEP_3)
	s_or_b32 exec_lo, exec_lo, s8
	v_or_b32_e32 v9, v9, v11
	v_or_b32_e32 v8, v8, v10
	;; [unrolled: 1-line block ×4, first 2 shown]
	v_pk_mul_f32 v[96:97], v[114:115], v[8:9]
	s_delay_alu instid0(VALU_DEP_2)
	v_pk_mul_f32 v[86:87], v[114:115], v[10:11]
	s_and_saveexec_b32 s8, vcc_lo
	s_cbranch_execz .LBB214_3044
; %bb.3043:                             ;   in Loop: Header=BB214_1581 Depth=1
	scratch_load_b64 v[8:9], off, s32 offset:200 ; 8-byte Folded Reload
	s_wait_loadcnt 0x0
	v_cmp_lt_i32_e64 s0, v29, v8
	s_delay_alu instid0(VALU_DEP_1) | instskip(SKIP_1) | instid1(VALU_DEP_1)
	v_cndmask_b32_e64 v96, 0, v96, s0
	v_cmp_lt_i32_e64 s0, v30, v8
	v_cndmask_b32_e64 v97, 0, v97, s0
	v_cmp_lt_i32_e64 s0, v32, v8
	s_delay_alu instid0(VALU_DEP_1) | instskip(SKIP_1) | instid1(VALU_DEP_1)
	v_cndmask_b32_e64 v86, 0, v86, s0
	v_cmp_lt_i32_e64 s0, v31, v8
	v_cndmask_b32_e64 v87, 0, v87, s0
.LBB214_3044:                           ;   in Loop: Header=BB214_1581 Depth=1
	s_wait_xcnt 0x0
	s_or_b32 exec_lo, exec_lo, s8
	flat_load_b32 v16, v[0:1] offset:5504
	v_mov_b64_e32 v[8:9], 0
	v_mov_b64_e32 v[10:11], 0
	s_mov_b32 s8, exec_lo
	s_wait_loadcnt_dscnt 0x0
	v_and_b32_e32 v12, 0xff, v16
	s_wait_xcnt 0x0
	s_delay_alu instid0(VALU_DEP_1)
	v_cmpx_ne_u16_e32 0, v12
	s_cbranch_execz .LBB214_3052
; %bb.3045:                             ;   in Loop: Header=BB214_1581 Depth=1
	v_mov_b64_e32 v[10:11], 0x80000000
	s_mov_b32 s9, exec_lo
	v_cmpx_ne_u16_e32 0x80, v12
	s_cbranch_execz .LBB214_3051
; %bb.3046:                             ;   in Loop: Header=BB214_1581 Depth=1
	v_mov_b64_e32 v[10:11], 0x7f800001
	v_and_b32_e32 v13, 0x7f, v16
	s_mov_b32 s14, exec_lo
	s_delay_alu instid0(VALU_DEP_1)
	v_cmpx_ne_u32_e32 0x7f, v13
	s_cbranch_execz .LBB214_3050
; %bb.3047:                             ;   in Loop: Header=BB214_1581 Depth=1
	v_dual_lshrrev_b32 v12, 3, v13 :: v_dual_bitop2_b32 v24, 7, v16 bitop3:0x40
	s_mov_b32 s15, exec_lo
	s_delay_alu instid0(VALU_DEP_1)
	v_mov_b64_e32 v[10:11], v[24:25]
	v_cmpx_gt_u32_e32 8, v13
; %bb.3048:                             ;   in Loop: Header=BB214_1581 Depth=1
	v_clz_i32_u32_e32 v10, v24
	s_delay_alu instid0(VALU_DEP_1) | instskip(NEXT) | instid1(VALU_DEP_1)
	v_min_u32_e32 v12, 32, v10
	v_subrev_nc_u32_e32 v10, 28, v12
	s_delay_alu instid0(VALU_DEP_1) | instskip(NEXT) | instid1(VALU_DEP_1)
	v_lshlrev_b64_e32 v[10:11], v10, v[24:25]
	v_dual_sub_nc_u32 v12, 29, v12 :: v_dual_bitop2_b32 v10, 7, v10 bitop3:0x40
; %bb.3049:                             ;   in Loop: Header=BB214_1581 Depth=1
	s_or_b32 exec_lo, exec_lo, s15
	s_delay_alu instid0(VALU_DEP_1) | instskip(NEXT) | instid1(VALU_DEP_2)
	v_dual_lshlrev_b32 v11, 24, v16 :: v_dual_lshlrev_b32 v10, 20, v10
	v_lshl_add_u32 v12, v12, 23, 0x3c000000
	s_delay_alu instid0(VALU_DEP_2) | instskip(NEXT) | instid1(VALU_DEP_1)
	v_and_b32_e32 v11, 0x80000000, v11
	v_or3_b32 v24, v10, v11, v12
	s_delay_alu instid0(VALU_DEP_1)
	v_mov_b64_e32 v[10:11], v[24:25]
.LBB214_3050:                           ;   in Loop: Header=BB214_1581 Depth=1
	s_or_b32 exec_lo, exec_lo, s14
.LBB214_3051:                           ;   in Loop: Header=BB214_1581 Depth=1
	s_delay_alu instid0(SALU_CYCLE_1)
	s_or_b32 exec_lo, exec_lo, s9
.LBB214_3052:                           ;   in Loop: Header=BB214_1581 Depth=1
	s_delay_alu instid0(SALU_CYCLE_1) | instskip(SKIP_2) | instid1(VALU_DEP_1)
	s_or_b32 exec_lo, exec_lo, s8
	v_lshrrev_b16 v12, 8, v16
	s_mov_b32 s8, exec_lo
	v_cmpx_ne_u16_e32 0, v12
	s_cbranch_execz .LBB214_3060
; %bb.3053:                             ;   in Loop: Header=BB214_1581 Depth=1
	v_mov_b64_e32 v[8:9], 0x8000000000000000
	s_mov_b32 s9, exec_lo
	v_cmpx_ne_u16_e32 0x80, v12
	s_cbranch_execz .LBB214_3059
; %bb.3054:                             ;   in Loop: Header=BB214_1581 Depth=1
	v_and_b32_e32 v12, 0xffff, v12
	v_mov_b64_e32 v[8:9], 0x7f80000100000000
	s_mov_b32 s14, exec_lo
	s_delay_alu instid0(VALU_DEP_2) | instskip(NEXT) | instid1(VALU_DEP_1)
	v_and_b32_e32 v13, 0x7f, v12
	v_cmpx_ne_u32_e32 0x7f, v13
	s_cbranch_execz .LBB214_3058
; %bb.3055:                             ;   in Loop: Header=BB214_1581 Depth=1
	v_dual_lshrrev_b32 v12, 3, v13 :: v_dual_bitop2_b32 v24, 7, v12 bitop3:0x40
	s_mov_b32 s15, exec_lo
	s_delay_alu instid0(VALU_DEP_1)
	v_mov_b64_e32 v[8:9], v[24:25]
	v_cmpx_gt_u32_e32 8, v13
; %bb.3056:                             ;   in Loop: Header=BB214_1581 Depth=1
	v_clz_i32_u32_e32 v8, v24
	s_delay_alu instid0(VALU_DEP_1) | instskip(NEXT) | instid1(VALU_DEP_1)
	v_min_u32_e32 v12, 32, v8
	v_subrev_nc_u32_e32 v8, 28, v12
	v_sub_nc_u32_e32 v12, 29, v12
	s_delay_alu instid0(VALU_DEP_2) | instskip(NEXT) | instid1(VALU_DEP_1)
	v_lshlrev_b64_e32 v[8:9], v8, v[24:25]
	v_and_b32_e32 v8, 7, v8
; %bb.3057:                             ;   in Loop: Header=BB214_1581 Depth=1
	s_or_b32 exec_lo, exec_lo, s15
	v_lshlrev_b32_e32 v9, 16, v16
	s_delay_alu instid0(VALU_DEP_2) | instskip(SKIP_1) | instid1(VALU_DEP_3)
	v_lshlrev_b32_e32 v8, 20, v8
	v_lshl_add_u32 v12, v12, 23, 0x3c000000
	v_and_b32_e32 v9, 0x80000000, v9
	s_delay_alu instid0(VALU_DEP_1)
	v_or3_b32 v9, v8, v9, v12
	v_mov_b32_e32 v8, v25
.LBB214_3058:                           ;   in Loop: Header=BB214_1581 Depth=1
	s_or_b32 exec_lo, exec_lo, s14
.LBB214_3059:                           ;   in Loop: Header=BB214_1581 Depth=1
	s_delay_alu instid0(SALU_CYCLE_1)
	s_or_b32 exec_lo, exec_lo, s9
.LBB214_3060:                           ;   in Loop: Header=BB214_1581 Depth=1
	s_delay_alu instid0(SALU_CYCLE_1) | instskip(SKIP_4) | instid1(VALU_DEP_3)
	s_or_b32 exec_lo, exec_lo, s8
	v_lshrrev_b32_e32 v17, 16, v16
	v_mov_b64_e32 v[12:13], 0
	v_mov_b64_e32 v[14:15], 0
	s_mov_b32 s8, exec_lo
	v_and_b32_e32 v20, 0xff, v17
	s_delay_alu instid0(VALU_DEP_1)
	v_cmpx_ne_u16_e32 0, v20
	s_cbranch_execz .LBB214_3068
; %bb.3061:                             ;   in Loop: Header=BB214_1581 Depth=1
	v_mov_b64_e32 v[14:15], 0x80000000
	s_mov_b32 s9, exec_lo
	v_cmpx_ne_u16_e32 0x80, v20
	s_cbranch_execz .LBB214_3067
; %bb.3062:                             ;   in Loop: Header=BB214_1581 Depth=1
	v_mov_b64_e32 v[14:15], 0x7f800001
	v_bfe_u32 v21, v16, 16, 7
	s_mov_b32 s14, exec_lo
	s_delay_alu instid0(VALU_DEP_1)
	v_cmpx_ne_u32_e32 0x7f, v21
	s_cbranch_execz .LBB214_3066
; %bb.3063:                             ;   in Loop: Header=BB214_1581 Depth=1
	v_and_b32_e32 v24, 7, v17
	v_lshrrev_b32_e32 v20, 3, v21
	s_mov_b32 s15, exec_lo
	s_delay_alu instid0(VALU_DEP_2)
	v_mov_b64_e32 v[14:15], v[24:25]
	v_cmpx_gt_u32_e32 8, v21
; %bb.3064:                             ;   in Loop: Header=BB214_1581 Depth=1
	v_clz_i32_u32_e32 v14, v24
	s_delay_alu instid0(VALU_DEP_1) | instskip(NEXT) | instid1(VALU_DEP_1)
	v_min_u32_e32 v20, 32, v14
	v_subrev_nc_u32_e32 v14, 28, v20
	s_delay_alu instid0(VALU_DEP_1) | instskip(NEXT) | instid1(VALU_DEP_1)
	v_lshlrev_b64_e32 v[14:15], v14, v[24:25]
	v_dual_sub_nc_u32 v20, 29, v20 :: v_dual_bitop2_b32 v14, 7, v14 bitop3:0x40
; %bb.3065:                             ;   in Loop: Header=BB214_1581 Depth=1
	s_or_b32 exec_lo, exec_lo, s15
	s_delay_alu instid0(VALU_DEP_1) | instskip(NEXT) | instid1(VALU_DEP_2)
	v_dual_lshlrev_b32 v15, 24, v17 :: v_dual_lshlrev_b32 v14, 20, v14
	v_lshl_add_u32 v17, v20, 23, 0x3c000000
	s_delay_alu instid0(VALU_DEP_2) | instskip(NEXT) | instid1(VALU_DEP_1)
	v_and_b32_e32 v15, 0x80000000, v15
	v_or3_b32 v24, v14, v15, v17
	s_delay_alu instid0(VALU_DEP_1)
	v_mov_b64_e32 v[14:15], v[24:25]
.LBB214_3066:                           ;   in Loop: Header=BB214_1581 Depth=1
	s_or_b32 exec_lo, exec_lo, s14
.LBB214_3067:                           ;   in Loop: Header=BB214_1581 Depth=1
	s_delay_alu instid0(SALU_CYCLE_1)
	s_or_b32 exec_lo, exec_lo, s9
.LBB214_3068:                           ;   in Loop: Header=BB214_1581 Depth=1
	s_delay_alu instid0(SALU_CYCLE_1) | instskip(NEXT) | instid1(SALU_CYCLE_1)
	s_or_b32 exec_lo, exec_lo, s8
	s_mov_b32 s8, exec_lo
	v_cmpx_lt_u32_e32 0xffffff, v16
	s_cbranch_execz .LBB214_3076
; %bb.3069:                             ;   in Loop: Header=BB214_1581 Depth=1
	v_mov_b64_e32 v[12:13], 0x8000000000000000
	v_lshrrev_b32_e32 v17, 24, v16
	s_mov_b32 s9, exec_lo
	s_delay_alu instid0(VALU_DEP_1)
	v_cmpx_ne_u32_e32 0x80, v17
	s_cbranch_execz .LBB214_3075
; %bb.3070:                             ;   in Loop: Header=BB214_1581 Depth=1
	v_mov_b64_e32 v[12:13], 0x7f80000100000000
	v_bfe_u32 v20, v16, 24, 7
	s_mov_b32 s14, exec_lo
	s_delay_alu instid0(VALU_DEP_1)
	v_cmpx_ne_u32_e32 0x7f, v20
	s_cbranch_execz .LBB214_3074
; %bb.3071:                             ;   in Loop: Header=BB214_1581 Depth=1
	v_dual_lshrrev_b32 v16, 3, v20 :: v_dual_bitop2_b32 v24, 7, v17 bitop3:0x40
	s_mov_b32 s15, exec_lo
	s_delay_alu instid0(VALU_DEP_1)
	v_mov_b64_e32 v[12:13], v[24:25]
	v_cmpx_gt_u32_e32 8, v20
; %bb.3072:                             ;   in Loop: Header=BB214_1581 Depth=1
	v_clz_i32_u32_e32 v12, v24
	s_delay_alu instid0(VALU_DEP_1) | instskip(NEXT) | instid1(VALU_DEP_1)
	v_min_u32_e32 v16, 32, v12
	v_subrev_nc_u32_e32 v12, 28, v16
	v_sub_nc_u32_e32 v16, 29, v16
	s_delay_alu instid0(VALU_DEP_2) | instskip(NEXT) | instid1(VALU_DEP_1)
	v_lshlrev_b64_e32 v[12:13], v12, v[24:25]
	v_and_b32_e32 v12, 7, v12
; %bb.3073:                             ;   in Loop: Header=BB214_1581 Depth=1
	s_or_b32 exec_lo, exec_lo, s15
	s_delay_alu instid0(VALU_DEP_1) | instskip(SKIP_1) | instid1(VALU_DEP_2)
	v_dual_lshlrev_b32 v13, 24, v17 :: v_dual_lshlrev_b32 v12, 20, v12
	v_lshl_add_u32 v16, v16, 23, 0x3c000000
	v_and_b32_e32 v13, 0x80000000, v13
	s_delay_alu instid0(VALU_DEP_1)
	v_or3_b32 v13, v12, v13, v16
	v_mov_b32_e32 v12, v25
.LBB214_3074:                           ;   in Loop: Header=BB214_1581 Depth=1
	s_or_b32 exec_lo, exec_lo, s14
.LBB214_3075:                           ;   in Loop: Header=BB214_1581 Depth=1
	s_delay_alu instid0(SALU_CYCLE_1)
	s_or_b32 exec_lo, exec_lo, s9
.LBB214_3076:                           ;   in Loop: Header=BB214_1581 Depth=1
	s_delay_alu instid0(SALU_CYCLE_1) | instskip(SKIP_4) | instid1(VALU_DEP_3)
	s_or_b32 exec_lo, exec_lo, s8
	v_or_b32_e32 v9, v9, v11
	v_or_b32_e32 v8, v8, v10
	;; [unrolled: 1-line block ×4, first 2 shown]
	v_pk_mul_f32 v[98:99], v[114:115], v[8:9]
	s_delay_alu instid0(VALU_DEP_2)
	v_pk_mul_f32 v[14:15], v[114:115], v[10:11]
	s_and_saveexec_b32 s8, vcc_lo
	s_cbranch_execz .LBB214_3078
; %bb.3077:                             ;   in Loop: Header=BB214_1581 Depth=1
	scratch_load_b64 v[8:9], off, s32 offset:200 ; 8-byte Folded Reload
	s_wait_loadcnt 0x0
	v_cmp_lt_i32_e64 s0, v29, v8
	s_delay_alu instid0(VALU_DEP_1) | instskip(SKIP_1) | instid1(VALU_DEP_1)
	v_cndmask_b32_e64 v98, 0, v98, s0
	v_cmp_lt_i32_e64 s0, v30, v8
	v_cndmask_b32_e64 v99, 0, v99, s0
	v_cmp_lt_i32_e64 s0, v32, v8
	s_delay_alu instid0(VALU_DEP_1) | instskip(SKIP_1) | instid1(VALU_DEP_1)
	v_cndmask_b32_e64 v14, 0, v14, s0
	v_cmp_lt_i32_e64 s0, v31, v8
	v_cndmask_b32_e64 v15, 0, v15, s0
.LBB214_3078:                           ;   in Loop: Header=BB214_1581 Depth=1
	s_wait_xcnt 0x0
	s_or_b32 exec_lo, exec_lo, s8
	flat_load_b32 v20, v[0:1] offset:5632
	v_mov_b64_e32 v[8:9], 0
	v_mov_b64_e32 v[10:11], 0
	s_mov_b32 s8, exec_lo
	s_wait_loadcnt_dscnt 0x0
	v_and_b32_e32 v12, 0xff, v20
	s_wait_xcnt 0x0
	s_delay_alu instid0(VALU_DEP_1)
	v_cmpx_ne_u16_e32 0, v12
	s_cbranch_execz .LBB214_3086
; %bb.3079:                             ;   in Loop: Header=BB214_1581 Depth=1
	v_mov_b64_e32 v[10:11], 0x80000000
	s_mov_b32 s9, exec_lo
	v_cmpx_ne_u16_e32 0x80, v12
	s_cbranch_execz .LBB214_3085
; %bb.3080:                             ;   in Loop: Header=BB214_1581 Depth=1
	v_mov_b64_e32 v[10:11], 0x7f800001
	v_and_b32_e32 v13, 0x7f, v20
	s_mov_b32 s14, exec_lo
	s_delay_alu instid0(VALU_DEP_1)
	v_cmpx_ne_u32_e32 0x7f, v13
	s_cbranch_execz .LBB214_3084
; %bb.3081:                             ;   in Loop: Header=BB214_1581 Depth=1
	v_dual_lshrrev_b32 v12, 3, v13 :: v_dual_bitop2_b32 v24, 7, v20 bitop3:0x40
	s_mov_b32 s15, exec_lo
	s_delay_alu instid0(VALU_DEP_1)
	v_mov_b64_e32 v[10:11], v[24:25]
	v_cmpx_gt_u32_e32 8, v13
; %bb.3082:                             ;   in Loop: Header=BB214_1581 Depth=1
	v_clz_i32_u32_e32 v10, v24
	s_delay_alu instid0(VALU_DEP_1) | instskip(NEXT) | instid1(VALU_DEP_1)
	v_min_u32_e32 v12, 32, v10
	v_subrev_nc_u32_e32 v10, 28, v12
	s_delay_alu instid0(VALU_DEP_1) | instskip(NEXT) | instid1(VALU_DEP_1)
	v_lshlrev_b64_e32 v[10:11], v10, v[24:25]
	v_dual_sub_nc_u32 v12, 29, v12 :: v_dual_bitop2_b32 v10, 7, v10 bitop3:0x40
; %bb.3083:                             ;   in Loop: Header=BB214_1581 Depth=1
	s_or_b32 exec_lo, exec_lo, s15
	s_delay_alu instid0(VALU_DEP_1) | instskip(NEXT) | instid1(VALU_DEP_2)
	v_dual_lshlrev_b32 v11, 24, v20 :: v_dual_lshlrev_b32 v10, 20, v10
	v_lshl_add_u32 v12, v12, 23, 0x3c000000
	s_delay_alu instid0(VALU_DEP_2) | instskip(NEXT) | instid1(VALU_DEP_1)
	v_and_b32_e32 v11, 0x80000000, v11
	v_or3_b32 v24, v10, v11, v12
	s_delay_alu instid0(VALU_DEP_1)
	v_mov_b64_e32 v[10:11], v[24:25]
.LBB214_3084:                           ;   in Loop: Header=BB214_1581 Depth=1
	s_or_b32 exec_lo, exec_lo, s14
.LBB214_3085:                           ;   in Loop: Header=BB214_1581 Depth=1
	s_delay_alu instid0(SALU_CYCLE_1)
	s_or_b32 exec_lo, exec_lo, s9
.LBB214_3086:                           ;   in Loop: Header=BB214_1581 Depth=1
	s_delay_alu instid0(SALU_CYCLE_1) | instskip(SKIP_2) | instid1(VALU_DEP_1)
	s_or_b32 exec_lo, exec_lo, s8
	v_lshrrev_b16 v12, 8, v20
	s_mov_b32 s8, exec_lo
	v_cmpx_ne_u16_e32 0, v12
	s_cbranch_execz .LBB214_3094
; %bb.3087:                             ;   in Loop: Header=BB214_1581 Depth=1
	v_mov_b64_e32 v[8:9], 0x8000000000000000
	s_mov_b32 s9, exec_lo
	v_cmpx_ne_u16_e32 0x80, v12
	s_cbranch_execz .LBB214_3093
; %bb.3088:                             ;   in Loop: Header=BB214_1581 Depth=1
	v_and_b32_e32 v12, 0xffff, v12
	v_mov_b64_e32 v[8:9], 0x7f80000100000000
	s_mov_b32 s14, exec_lo
	s_delay_alu instid0(VALU_DEP_2) | instskip(NEXT) | instid1(VALU_DEP_1)
	v_and_b32_e32 v13, 0x7f, v12
	v_cmpx_ne_u32_e32 0x7f, v13
	s_cbranch_execz .LBB214_3092
; %bb.3089:                             ;   in Loop: Header=BB214_1581 Depth=1
	v_dual_lshrrev_b32 v12, 3, v13 :: v_dual_bitop2_b32 v24, 7, v12 bitop3:0x40
	s_mov_b32 s15, exec_lo
	s_delay_alu instid0(VALU_DEP_1)
	v_mov_b64_e32 v[8:9], v[24:25]
	v_cmpx_gt_u32_e32 8, v13
; %bb.3090:                             ;   in Loop: Header=BB214_1581 Depth=1
	v_clz_i32_u32_e32 v8, v24
	s_delay_alu instid0(VALU_DEP_1) | instskip(NEXT) | instid1(VALU_DEP_1)
	v_min_u32_e32 v12, 32, v8
	v_subrev_nc_u32_e32 v8, 28, v12
	v_sub_nc_u32_e32 v12, 29, v12
	s_delay_alu instid0(VALU_DEP_2) | instskip(NEXT) | instid1(VALU_DEP_1)
	v_lshlrev_b64_e32 v[8:9], v8, v[24:25]
	v_and_b32_e32 v8, 7, v8
; %bb.3091:                             ;   in Loop: Header=BB214_1581 Depth=1
	s_or_b32 exec_lo, exec_lo, s15
	v_lshlrev_b32_e32 v9, 16, v20
	s_delay_alu instid0(VALU_DEP_2) | instskip(SKIP_1) | instid1(VALU_DEP_3)
	v_lshlrev_b32_e32 v8, 20, v8
	v_lshl_add_u32 v12, v12, 23, 0x3c000000
	v_and_b32_e32 v9, 0x80000000, v9
	s_delay_alu instid0(VALU_DEP_1)
	v_or3_b32 v9, v8, v9, v12
	v_mov_b32_e32 v8, v25
.LBB214_3092:                           ;   in Loop: Header=BB214_1581 Depth=1
	s_or_b32 exec_lo, exec_lo, s14
.LBB214_3093:                           ;   in Loop: Header=BB214_1581 Depth=1
	s_delay_alu instid0(SALU_CYCLE_1)
	s_or_b32 exec_lo, exec_lo, s9
.LBB214_3094:                           ;   in Loop: Header=BB214_1581 Depth=1
	s_delay_alu instid0(SALU_CYCLE_1) | instskip(SKIP_4) | instid1(VALU_DEP_3)
	s_or_b32 exec_lo, exec_lo, s8
	v_lshrrev_b32_e32 v21, 16, v20
	v_mov_b64_e32 v[12:13], 0
	v_mov_b64_e32 v[16:17], 0
	s_mov_b32 s8, exec_lo
	v_and_b32_e32 v22, 0xff, v21
	s_delay_alu instid0(VALU_DEP_1)
	v_cmpx_ne_u16_e32 0, v22
	s_cbranch_execz .LBB214_3102
; %bb.3095:                             ;   in Loop: Header=BB214_1581 Depth=1
	v_mov_b64_e32 v[16:17], 0x80000000
	s_mov_b32 s9, exec_lo
	v_cmpx_ne_u16_e32 0x80, v22
	s_cbranch_execz .LBB214_3101
; %bb.3096:                             ;   in Loop: Header=BB214_1581 Depth=1
	v_mov_b64_e32 v[16:17], 0x7f800001
	v_bfe_u32 v23, v20, 16, 7
	s_mov_b32 s14, exec_lo
	s_delay_alu instid0(VALU_DEP_1)
	v_cmpx_ne_u32_e32 0x7f, v23
	s_cbranch_execz .LBB214_3100
; %bb.3097:                             ;   in Loop: Header=BB214_1581 Depth=1
	v_dual_lshrrev_b32 v22, 3, v23 :: v_dual_bitop2_b32 v24, 7, v21 bitop3:0x40
	s_mov_b32 s15, exec_lo
	s_delay_alu instid0(VALU_DEP_1)
	v_mov_b64_e32 v[16:17], v[24:25]
	v_cmpx_gt_u32_e32 8, v23
; %bb.3098:                             ;   in Loop: Header=BB214_1581 Depth=1
	v_clz_i32_u32_e32 v16, v24
	s_delay_alu instid0(VALU_DEP_1) | instskip(NEXT) | instid1(VALU_DEP_1)
	v_min_u32_e32 v22, 32, v16
	v_subrev_nc_u32_e32 v16, 28, v22
	s_delay_alu instid0(VALU_DEP_1) | instskip(NEXT) | instid1(VALU_DEP_1)
	v_lshlrev_b64_e32 v[16:17], v16, v[24:25]
	v_dual_sub_nc_u32 v22, 29, v22 :: v_dual_bitop2_b32 v16, 7, v16 bitop3:0x40
; %bb.3099:                             ;   in Loop: Header=BB214_1581 Depth=1
	s_or_b32 exec_lo, exec_lo, s15
	s_delay_alu instid0(VALU_DEP_1) | instskip(NEXT) | instid1(VALU_DEP_2)
	v_dual_lshlrev_b32 v17, 24, v21 :: v_dual_lshlrev_b32 v16, 20, v16
	v_lshl_add_u32 v21, v22, 23, 0x3c000000
	s_delay_alu instid0(VALU_DEP_2) | instskip(NEXT) | instid1(VALU_DEP_1)
	v_and_b32_e32 v17, 0x80000000, v17
	v_or3_b32 v24, v16, v17, v21
	s_delay_alu instid0(VALU_DEP_1)
	v_mov_b64_e32 v[16:17], v[24:25]
.LBB214_3100:                           ;   in Loop: Header=BB214_1581 Depth=1
	s_or_b32 exec_lo, exec_lo, s14
.LBB214_3101:                           ;   in Loop: Header=BB214_1581 Depth=1
	s_delay_alu instid0(SALU_CYCLE_1)
	s_or_b32 exec_lo, exec_lo, s9
.LBB214_3102:                           ;   in Loop: Header=BB214_1581 Depth=1
	s_delay_alu instid0(SALU_CYCLE_1) | instskip(NEXT) | instid1(SALU_CYCLE_1)
	s_or_b32 exec_lo, exec_lo, s8
	s_mov_b32 s8, exec_lo
	v_cmpx_lt_u32_e32 0xffffff, v20
	s_cbranch_execz .LBB214_3110
; %bb.3103:                             ;   in Loop: Header=BB214_1581 Depth=1
	v_mov_b64_e32 v[12:13], 0x8000000000000000
	v_lshrrev_b32_e32 v21, 24, v20
	s_mov_b32 s9, exec_lo
	s_delay_alu instid0(VALU_DEP_1)
	v_cmpx_ne_u32_e32 0x80, v21
	s_cbranch_execz .LBB214_3109
; %bb.3104:                             ;   in Loop: Header=BB214_1581 Depth=1
	v_mov_b64_e32 v[12:13], 0x7f80000100000000
	v_bfe_u32 v22, v20, 24, 7
	s_mov_b32 s14, exec_lo
	s_delay_alu instid0(VALU_DEP_1)
	v_cmpx_ne_u32_e32 0x7f, v22
	s_cbranch_execz .LBB214_3108
; %bb.3105:                             ;   in Loop: Header=BB214_1581 Depth=1
	v_dual_lshrrev_b32 v20, 3, v22 :: v_dual_bitop2_b32 v24, 7, v21 bitop3:0x40
	s_mov_b32 s15, exec_lo
	s_delay_alu instid0(VALU_DEP_1)
	v_mov_b64_e32 v[12:13], v[24:25]
	v_cmpx_gt_u32_e32 8, v22
; %bb.3106:                             ;   in Loop: Header=BB214_1581 Depth=1
	v_clz_i32_u32_e32 v12, v24
	s_delay_alu instid0(VALU_DEP_1) | instskip(NEXT) | instid1(VALU_DEP_1)
	v_min_u32_e32 v20, 32, v12
	v_subrev_nc_u32_e32 v12, 28, v20
	v_sub_nc_u32_e32 v20, 29, v20
	s_delay_alu instid0(VALU_DEP_2) | instskip(NEXT) | instid1(VALU_DEP_1)
	v_lshlrev_b64_e32 v[12:13], v12, v[24:25]
	v_and_b32_e32 v12, 7, v12
; %bb.3107:                             ;   in Loop: Header=BB214_1581 Depth=1
	s_or_b32 exec_lo, exec_lo, s15
	s_delay_alu instid0(VALU_DEP_1) | instskip(SKIP_1) | instid1(VALU_DEP_2)
	v_dual_lshlrev_b32 v13, 24, v21 :: v_dual_lshlrev_b32 v12, 20, v12
	v_lshl_add_u32 v20, v20, 23, 0x3c000000
	v_and_b32_e32 v13, 0x80000000, v13
	s_delay_alu instid0(VALU_DEP_1)
	v_or3_b32 v13, v12, v13, v20
	v_mov_b32_e32 v12, v25
.LBB214_3108:                           ;   in Loop: Header=BB214_1581 Depth=1
	s_or_b32 exec_lo, exec_lo, s14
.LBB214_3109:                           ;   in Loop: Header=BB214_1581 Depth=1
	s_delay_alu instid0(SALU_CYCLE_1)
	s_or_b32 exec_lo, exec_lo, s9
.LBB214_3110:                           ;   in Loop: Header=BB214_1581 Depth=1
	s_delay_alu instid0(SALU_CYCLE_1) | instskip(SKIP_4) | instid1(VALU_DEP_3)
	s_or_b32 exec_lo, exec_lo, s8
	v_or_b32_e32 v9, v9, v11
	v_or_b32_e32 v8, v8, v10
	;; [unrolled: 1-line block ×4, first 2 shown]
	v_pk_mul_f32 v[8:9], v[114:115], v[8:9]
	s_delay_alu instid0(VALU_DEP_2)
	v_pk_mul_f32 v[58:59], v[114:115], v[10:11]
	s_and_saveexec_b32 s8, vcc_lo
	s_cbranch_execz .LBB214_3112
; %bb.3111:                             ;   in Loop: Header=BB214_1581 Depth=1
	scratch_load_b64 v[10:11], off, s32 offset:200 ; 8-byte Folded Reload
	s_wait_loadcnt 0x0
	v_cmp_lt_i32_e64 s0, v29, v10
	s_delay_alu instid0(VALU_DEP_1) | instskip(SKIP_1) | instid1(VALU_DEP_1)
	v_cndmask_b32_e64 v8, 0, v8, s0
	v_cmp_lt_i32_e64 s0, v30, v10
	v_cndmask_b32_e64 v9, 0, v9, s0
	v_cmp_lt_i32_e64 s0, v32, v10
	s_delay_alu instid0(VALU_DEP_1) | instskip(SKIP_1) | instid1(VALU_DEP_1)
	v_cndmask_b32_e64 v58, 0, v58, s0
	v_cmp_lt_i32_e64 s0, v31, v10
	v_cndmask_b32_e64 v59, 0, v59, s0
.LBB214_3112:                           ;   in Loop: Header=BB214_1581 Depth=1
	s_wait_xcnt 0x0
	s_or_b32 exec_lo, exec_lo, s8
	flat_load_b32 v22, v[0:1] offset:5760
	v_mov_b64_e32 v[10:11], 0
	v_mov_b64_e32 v[12:13], 0
	s_mov_b32 s8, exec_lo
	s_wait_loadcnt_dscnt 0x0
	v_and_b32_e32 v16, 0xff, v22
	s_wait_xcnt 0x0
	s_delay_alu instid0(VALU_DEP_1)
	v_cmpx_ne_u16_e32 0, v16
	s_cbranch_execz .LBB214_3120
; %bb.3113:                             ;   in Loop: Header=BB214_1581 Depth=1
	v_mov_b64_e32 v[12:13], 0x80000000
	s_mov_b32 s9, exec_lo
	v_cmpx_ne_u16_e32 0x80, v16
	s_cbranch_execz .LBB214_3119
; %bb.3114:                             ;   in Loop: Header=BB214_1581 Depth=1
	v_mov_b64_e32 v[12:13], 0x7f800001
	v_and_b32_e32 v17, 0x7f, v22
	s_mov_b32 s14, exec_lo
	s_delay_alu instid0(VALU_DEP_1)
	v_cmpx_ne_u32_e32 0x7f, v17
	s_cbranch_execz .LBB214_3118
; %bb.3115:                             ;   in Loop: Header=BB214_1581 Depth=1
	v_dual_lshrrev_b32 v16, 3, v17 :: v_dual_bitop2_b32 v24, 7, v22 bitop3:0x40
	s_mov_b32 s15, exec_lo
	s_delay_alu instid0(VALU_DEP_1)
	v_mov_b64_e32 v[12:13], v[24:25]
	v_cmpx_gt_u32_e32 8, v17
; %bb.3116:                             ;   in Loop: Header=BB214_1581 Depth=1
	v_clz_i32_u32_e32 v12, v24
	s_delay_alu instid0(VALU_DEP_1) | instskip(NEXT) | instid1(VALU_DEP_1)
	v_min_u32_e32 v16, 32, v12
	v_subrev_nc_u32_e32 v12, 28, v16
	v_sub_nc_u32_e32 v16, 29, v16
	s_delay_alu instid0(VALU_DEP_2) | instskip(NEXT) | instid1(VALU_DEP_1)
	v_lshlrev_b64_e32 v[12:13], v12, v[24:25]
	v_and_b32_e32 v12, 7, v12
; %bb.3117:                             ;   in Loop: Header=BB214_1581 Depth=1
	s_or_b32 exec_lo, exec_lo, s15
	s_delay_alu instid0(VALU_DEP_1) | instskip(SKIP_1) | instid1(VALU_DEP_2)
	v_dual_lshlrev_b32 v13, 24, v22 :: v_dual_lshlrev_b32 v12, 20, v12
	v_lshl_add_u32 v16, v16, 23, 0x3c000000
	v_and_b32_e32 v13, 0x80000000, v13
	s_delay_alu instid0(VALU_DEP_1) | instskip(NEXT) | instid1(VALU_DEP_1)
	v_or3_b32 v24, v12, v13, v16
	v_mov_b64_e32 v[12:13], v[24:25]
.LBB214_3118:                           ;   in Loop: Header=BB214_1581 Depth=1
	s_or_b32 exec_lo, exec_lo, s14
.LBB214_3119:                           ;   in Loop: Header=BB214_1581 Depth=1
	s_delay_alu instid0(SALU_CYCLE_1)
	s_or_b32 exec_lo, exec_lo, s9
.LBB214_3120:                           ;   in Loop: Header=BB214_1581 Depth=1
	s_delay_alu instid0(SALU_CYCLE_1) | instskip(SKIP_2) | instid1(VALU_DEP_1)
	s_or_b32 exec_lo, exec_lo, s8
	v_lshrrev_b16 v16, 8, v22
	s_mov_b32 s8, exec_lo
	v_cmpx_ne_u16_e32 0, v16
	s_cbranch_execz .LBB214_3128
; %bb.3121:                             ;   in Loop: Header=BB214_1581 Depth=1
	v_mov_b64_e32 v[10:11], 0x8000000000000000
	s_mov_b32 s9, exec_lo
	v_cmpx_ne_u16_e32 0x80, v16
	s_cbranch_execz .LBB214_3127
; %bb.3122:                             ;   in Loop: Header=BB214_1581 Depth=1
	v_and_b32_e32 v16, 0xffff, v16
	v_mov_b64_e32 v[10:11], 0x7f80000100000000
	s_mov_b32 s14, exec_lo
	s_delay_alu instid0(VALU_DEP_2) | instskip(NEXT) | instid1(VALU_DEP_1)
	v_and_b32_e32 v17, 0x7f, v16
	v_cmpx_ne_u32_e32 0x7f, v17
	s_cbranch_execz .LBB214_3126
; %bb.3123:                             ;   in Loop: Header=BB214_1581 Depth=1
	v_dual_lshrrev_b32 v16, 3, v17 :: v_dual_bitop2_b32 v24, 7, v16 bitop3:0x40
	s_mov_b32 s15, exec_lo
	s_delay_alu instid0(VALU_DEP_1)
	v_mov_b64_e32 v[10:11], v[24:25]
	v_cmpx_gt_u32_e32 8, v17
; %bb.3124:                             ;   in Loop: Header=BB214_1581 Depth=1
	v_clz_i32_u32_e32 v10, v24
	s_delay_alu instid0(VALU_DEP_1) | instskip(NEXT) | instid1(VALU_DEP_1)
	v_min_u32_e32 v16, 32, v10
	v_subrev_nc_u32_e32 v10, 28, v16
	s_delay_alu instid0(VALU_DEP_1) | instskip(NEXT) | instid1(VALU_DEP_1)
	v_lshlrev_b64_e32 v[10:11], v10, v[24:25]
	v_dual_sub_nc_u32 v16, 29, v16 :: v_dual_bitop2_b32 v10, 7, v10 bitop3:0x40
; %bb.3125:                             ;   in Loop: Header=BB214_1581 Depth=1
	s_or_b32 exec_lo, exec_lo, s15
	v_lshlrev_b32_e32 v11, 16, v22
	s_delay_alu instid0(VALU_DEP_2) | instskip(NEXT) | instid1(VALU_DEP_3)
	v_lshlrev_b32_e32 v10, 20, v10
	v_lshl_add_u32 v16, v16, 23, 0x3c000000
	s_delay_alu instid0(VALU_DEP_3) | instskip(NEXT) | instid1(VALU_DEP_1)
	v_and_b32_e32 v11, 0x80000000, v11
	v_or3_b32 v11, v10, v11, v16
	v_mov_b32_e32 v10, v25
.LBB214_3126:                           ;   in Loop: Header=BB214_1581 Depth=1
	s_or_b32 exec_lo, exec_lo, s14
.LBB214_3127:                           ;   in Loop: Header=BB214_1581 Depth=1
	s_delay_alu instid0(SALU_CYCLE_1)
	s_or_b32 exec_lo, exec_lo, s9
.LBB214_3128:                           ;   in Loop: Header=BB214_1581 Depth=1
	s_delay_alu instid0(SALU_CYCLE_1) | instskip(SKIP_4) | instid1(VALU_DEP_3)
	s_or_b32 exec_lo, exec_lo, s8
	v_lshrrev_b32_e32 v23, 16, v22
	v_mov_b64_e32 v[16:17], 0
	v_mov_b64_e32 v[20:21], 0
	s_mov_b32 s8, exec_lo
	v_and_b32_e32 v24, 0xff, v23
	s_delay_alu instid0(VALU_DEP_1)
	v_cmpx_ne_u16_e32 0, v24
	s_cbranch_execz .LBB214_3136
; %bb.3129:                             ;   in Loop: Header=BB214_1581 Depth=1
	v_mov_b64_e32 v[20:21], 0x80000000
	s_mov_b32 s9, exec_lo
	v_cmpx_ne_u16_e32 0x80, v24
	s_cbranch_execz .LBB214_3135
; %bb.3130:                             ;   in Loop: Header=BB214_1581 Depth=1
	v_mov_b64_e32 v[20:21], 0x7f800001
	v_bfe_u32 v34, v22, 16, 7
	s_mov_b32 s14, exec_lo
	s_delay_alu instid0(VALU_DEP_1)
	v_cmpx_ne_u32_e32 0x7f, v34
	s_cbranch_execz .LBB214_3134
; %bb.3131:                             ;   in Loop: Header=BB214_1581 Depth=1
	v_dual_lshrrev_b32 v33, 3, v34 :: v_dual_bitop2_b32 v24, 7, v23 bitop3:0x40
	s_mov_b32 s15, exec_lo
	s_delay_alu instid0(VALU_DEP_1)
	v_mov_b64_e32 v[20:21], v[24:25]
	v_cmpx_gt_u32_e32 8, v34
; %bb.3132:                             ;   in Loop: Header=BB214_1581 Depth=1
	v_clz_i32_u32_e32 v20, v24
	s_delay_alu instid0(VALU_DEP_1) | instskip(NEXT) | instid1(VALU_DEP_1)
	v_min_u32_e32 v33, 32, v20
	v_subrev_nc_u32_e32 v20, 28, v33
	s_delay_alu instid0(VALU_DEP_1) | instskip(NEXT) | instid1(VALU_DEP_1)
	v_lshlrev_b64_e32 v[20:21], v20, v[24:25]
	v_dual_sub_nc_u32 v33, 29, v33 :: v_dual_bitop2_b32 v20, 7, v20 bitop3:0x40
; %bb.3133:                             ;   in Loop: Header=BB214_1581 Depth=1
	s_or_b32 exec_lo, exec_lo, s15
	s_delay_alu instid0(VALU_DEP_1) | instskip(NEXT) | instid1(VALU_DEP_2)
	v_dual_lshlrev_b32 v21, 24, v23 :: v_dual_lshlrev_b32 v20, 20, v20
	v_lshl_add_u32 v23, v33, 23, 0x3c000000
	s_delay_alu instid0(VALU_DEP_2) | instskip(NEXT) | instid1(VALU_DEP_1)
	v_and_b32_e32 v21, 0x80000000, v21
	v_or3_b32 v24, v20, v21, v23
	s_delay_alu instid0(VALU_DEP_1)
	v_mov_b64_e32 v[20:21], v[24:25]
.LBB214_3134:                           ;   in Loop: Header=BB214_1581 Depth=1
	s_or_b32 exec_lo, exec_lo, s14
.LBB214_3135:                           ;   in Loop: Header=BB214_1581 Depth=1
	s_delay_alu instid0(SALU_CYCLE_1)
	s_or_b32 exec_lo, exec_lo, s9
.LBB214_3136:                           ;   in Loop: Header=BB214_1581 Depth=1
	s_delay_alu instid0(SALU_CYCLE_1) | instskip(NEXT) | instid1(SALU_CYCLE_1)
	s_or_b32 exec_lo, exec_lo, s8
	s_mov_b32 s8, exec_lo
	v_cmpx_lt_u32_e32 0xffffff, v22
	s_cbranch_execz .LBB214_3144
; %bb.3137:                             ;   in Loop: Header=BB214_1581 Depth=1
	v_mov_b64_e32 v[16:17], 0x8000000000000000
	v_lshrrev_b32_e32 v23, 24, v22
	s_mov_b32 s9, exec_lo
	s_delay_alu instid0(VALU_DEP_1)
	v_cmpx_ne_u32_e32 0x80, v23
	s_cbranch_execz .LBB214_3143
; %bb.3138:                             ;   in Loop: Header=BB214_1581 Depth=1
	v_mov_b64_e32 v[16:17], 0x7f80000100000000
	v_bfe_u32 v33, v22, 24, 7
	s_mov_b32 s14, exec_lo
	s_delay_alu instid0(VALU_DEP_1)
	v_cmpx_ne_u32_e32 0x7f, v33
	s_cbranch_execz .LBB214_3142
; %bb.3139:                             ;   in Loop: Header=BB214_1581 Depth=1
	v_dual_lshrrev_b32 v22, 3, v33 :: v_dual_bitop2_b32 v24, 7, v23 bitop3:0x40
	s_mov_b32 s15, exec_lo
	s_delay_alu instid0(VALU_DEP_1)
	v_mov_b64_e32 v[16:17], v[24:25]
	v_cmpx_gt_u32_e32 8, v33
; %bb.3140:                             ;   in Loop: Header=BB214_1581 Depth=1
	v_clz_i32_u32_e32 v16, v24
	s_delay_alu instid0(VALU_DEP_1) | instskip(NEXT) | instid1(VALU_DEP_1)
	v_min_u32_e32 v22, 32, v16
	v_subrev_nc_u32_e32 v16, 28, v22
	s_delay_alu instid0(VALU_DEP_1) | instskip(NEXT) | instid1(VALU_DEP_1)
	v_lshlrev_b64_e32 v[16:17], v16, v[24:25]
	v_dual_sub_nc_u32 v22, 29, v22 :: v_dual_bitop2_b32 v16, 7, v16 bitop3:0x40
; %bb.3141:                             ;   in Loop: Header=BB214_1581 Depth=1
	s_or_b32 exec_lo, exec_lo, s15
	s_delay_alu instid0(VALU_DEP_1) | instskip(NEXT) | instid1(VALU_DEP_2)
	v_dual_lshlrev_b32 v17, 24, v23 :: v_dual_lshlrev_b32 v16, 20, v16
	v_lshl_add_u32 v22, v22, 23, 0x3c000000
	s_delay_alu instid0(VALU_DEP_2) | instskip(NEXT) | instid1(VALU_DEP_1)
	v_and_b32_e32 v17, 0x80000000, v17
	v_or3_b32 v17, v16, v17, v22
	v_mov_b32_e32 v16, v25
.LBB214_3142:                           ;   in Loop: Header=BB214_1581 Depth=1
	s_or_b32 exec_lo, exec_lo, s14
.LBB214_3143:                           ;   in Loop: Header=BB214_1581 Depth=1
	s_delay_alu instid0(SALU_CYCLE_1)
	s_or_b32 exec_lo, exec_lo, s9
.LBB214_3144:                           ;   in Loop: Header=BB214_1581 Depth=1
	s_delay_alu instid0(SALU_CYCLE_1) | instskip(SKIP_4) | instid1(VALU_DEP_3)
	s_or_b32 exec_lo, exec_lo, s8
	v_or_b32_e32 v11, v11, v13
	v_or_b32_e32 v10, v10, v12
	;; [unrolled: 1-line block ×4, first 2 shown]
	v_pk_mul_f32 v[12:13], v[114:115], v[10:11]
	s_delay_alu instid0(VALU_DEP_2)
	v_pk_mul_f32 v[10:11], v[114:115], v[16:17]
	s_and_saveexec_b32 s8, vcc_lo
	s_cbranch_execz .LBB214_3146
; %bb.3145:                             ;   in Loop: Header=BB214_1581 Depth=1
	scratch_load_b64 v[16:17], off, s32 offset:200 ; 8-byte Folded Reload
	s_wait_loadcnt 0x0
	v_cmp_lt_i32_e64 s0, v29, v16
	s_delay_alu instid0(VALU_DEP_1) | instskip(SKIP_1) | instid1(VALU_DEP_1)
	v_cndmask_b32_e64 v12, 0, v12, s0
	v_cmp_lt_i32_e64 s0, v30, v16
	v_cndmask_b32_e64 v13, 0, v13, s0
	v_cmp_lt_i32_e64 s0, v32, v16
	s_delay_alu instid0(VALU_DEP_1) | instskip(SKIP_1) | instid1(VALU_DEP_1)
	v_cndmask_b32_e64 v10, 0, v10, s0
	v_cmp_lt_i32_e64 s0, v31, v16
	v_cndmask_b32_e64 v11, 0, v11, s0
.LBB214_3146:                           ;   in Loop: Header=BB214_1581 Depth=1
	s_wait_xcnt 0x0
	s_or_b32 exec_lo, exec_lo, s8
	flat_load_b32 v33, v[0:1] offset:5888
	v_mov_b64_e32 v[16:17], 0
	v_mov_b64_e32 v[20:21], 0
	s_mov_b32 s8, exec_lo
	s_wait_loadcnt_dscnt 0x0
	v_and_b32_e32 v22, 0xff, v33
	s_wait_xcnt 0x0
	s_delay_alu instid0(VALU_DEP_1)
	v_cmpx_ne_u16_e32 0, v22
	s_cbranch_execz .LBB214_3154
; %bb.3147:                             ;   in Loop: Header=BB214_1581 Depth=1
	v_mov_b64_e32 v[20:21], 0x80000000
	s_mov_b32 s9, exec_lo
	v_cmpx_ne_u16_e32 0x80, v22
	s_cbranch_execz .LBB214_3153
; %bb.3148:                             ;   in Loop: Header=BB214_1581 Depth=1
	v_mov_b64_e32 v[20:21], 0x7f800001
	v_and_b32_e32 v23, 0x7f, v33
	s_mov_b32 s14, exec_lo
	s_delay_alu instid0(VALU_DEP_1)
	v_cmpx_ne_u32_e32 0x7f, v23
	s_cbranch_execz .LBB214_3152
; %bb.3149:                             ;   in Loop: Header=BB214_1581 Depth=1
	v_dual_lshrrev_b32 v22, 3, v23 :: v_dual_bitop2_b32 v24, 7, v33 bitop3:0x40
	s_mov_b32 s15, exec_lo
	s_delay_alu instid0(VALU_DEP_1)
	v_mov_b64_e32 v[20:21], v[24:25]
	v_cmpx_gt_u32_e32 8, v23
; %bb.3150:                             ;   in Loop: Header=BB214_1581 Depth=1
	v_clz_i32_u32_e32 v20, v24
	s_delay_alu instid0(VALU_DEP_1) | instskip(NEXT) | instid1(VALU_DEP_1)
	v_min_u32_e32 v22, 32, v20
	v_subrev_nc_u32_e32 v20, 28, v22
	s_delay_alu instid0(VALU_DEP_1) | instskip(NEXT) | instid1(VALU_DEP_1)
	v_lshlrev_b64_e32 v[20:21], v20, v[24:25]
	v_dual_sub_nc_u32 v22, 29, v22 :: v_dual_bitop2_b32 v20, 7, v20 bitop3:0x40
; %bb.3151:                             ;   in Loop: Header=BB214_1581 Depth=1
	s_or_b32 exec_lo, exec_lo, s15
	s_delay_alu instid0(VALU_DEP_1) | instskip(NEXT) | instid1(VALU_DEP_2)
	v_dual_lshlrev_b32 v21, 24, v33 :: v_dual_lshlrev_b32 v20, 20, v20
	v_lshl_add_u32 v22, v22, 23, 0x3c000000
	s_delay_alu instid0(VALU_DEP_2) | instskip(NEXT) | instid1(VALU_DEP_1)
	v_and_b32_e32 v21, 0x80000000, v21
	v_or3_b32 v24, v20, v21, v22
	s_delay_alu instid0(VALU_DEP_1)
	v_mov_b64_e32 v[20:21], v[24:25]
.LBB214_3152:                           ;   in Loop: Header=BB214_1581 Depth=1
	s_or_b32 exec_lo, exec_lo, s14
.LBB214_3153:                           ;   in Loop: Header=BB214_1581 Depth=1
	s_delay_alu instid0(SALU_CYCLE_1)
	s_or_b32 exec_lo, exec_lo, s9
.LBB214_3154:                           ;   in Loop: Header=BB214_1581 Depth=1
	s_delay_alu instid0(SALU_CYCLE_1) | instskip(SKIP_2) | instid1(VALU_DEP_1)
	s_or_b32 exec_lo, exec_lo, s8
	v_lshrrev_b16 v22, 8, v33
	s_mov_b32 s8, exec_lo
	v_cmpx_ne_u16_e32 0, v22
	s_cbranch_execz .LBB214_3162
; %bb.3155:                             ;   in Loop: Header=BB214_1581 Depth=1
	v_mov_b64_e32 v[16:17], 0x8000000000000000
	s_mov_b32 s9, exec_lo
	v_cmpx_ne_u16_e32 0x80, v22
	s_cbranch_execz .LBB214_3161
; %bb.3156:                             ;   in Loop: Header=BB214_1581 Depth=1
	v_and_b32_e32 v22, 0xffff, v22
	v_mov_b64_e32 v[16:17], 0x7f80000100000000
	s_mov_b32 s14, exec_lo
	s_delay_alu instid0(VALU_DEP_2) | instskip(NEXT) | instid1(VALU_DEP_1)
	v_and_b32_e32 v23, 0x7f, v22
	v_cmpx_ne_u32_e32 0x7f, v23
	s_cbranch_execz .LBB214_3160
; %bb.3157:                             ;   in Loop: Header=BB214_1581 Depth=1
	v_dual_lshrrev_b32 v22, 3, v23 :: v_dual_bitop2_b32 v24, 7, v22 bitop3:0x40
	s_mov_b32 s15, exec_lo
	s_delay_alu instid0(VALU_DEP_1)
	v_mov_b64_e32 v[16:17], v[24:25]
	v_cmpx_gt_u32_e32 8, v23
; %bb.3158:                             ;   in Loop: Header=BB214_1581 Depth=1
	v_clz_i32_u32_e32 v16, v24
	s_delay_alu instid0(VALU_DEP_1) | instskip(NEXT) | instid1(VALU_DEP_1)
	v_min_u32_e32 v22, 32, v16
	v_subrev_nc_u32_e32 v16, 28, v22
	s_delay_alu instid0(VALU_DEP_1) | instskip(NEXT) | instid1(VALU_DEP_1)
	v_lshlrev_b64_e32 v[16:17], v16, v[24:25]
	v_dual_sub_nc_u32 v22, 29, v22 :: v_dual_bitop2_b32 v16, 7, v16 bitop3:0x40
; %bb.3159:                             ;   in Loop: Header=BB214_1581 Depth=1
	s_or_b32 exec_lo, exec_lo, s15
	s_delay_alu instid0(VALU_DEP_1) | instskip(NEXT) | instid1(VALU_DEP_2)
	v_dual_lshlrev_b32 v17, 16, v33 :: v_dual_lshlrev_b32 v16, 20, v16
	v_lshl_add_u32 v22, v22, 23, 0x3c000000
	s_delay_alu instid0(VALU_DEP_2) | instskip(NEXT) | instid1(VALU_DEP_1)
	v_and_b32_e32 v17, 0x80000000, v17
	v_or3_b32 v17, v16, v17, v22
	v_mov_b32_e32 v16, v25
.LBB214_3160:                           ;   in Loop: Header=BB214_1581 Depth=1
	s_or_b32 exec_lo, exec_lo, s14
.LBB214_3161:                           ;   in Loop: Header=BB214_1581 Depth=1
	s_delay_alu instid0(SALU_CYCLE_1)
	s_or_b32 exec_lo, exec_lo, s9
.LBB214_3162:                           ;   in Loop: Header=BB214_1581 Depth=1
	s_delay_alu instid0(SALU_CYCLE_1) | instskip(SKIP_4) | instid1(VALU_DEP_3)
	s_or_b32 exec_lo, exec_lo, s8
	v_lshrrev_b32_e32 v34, 16, v33
	v_mov_b64_e32 v[22:23], 0
	v_mov_b64_e32 v[56:57], 0
	s_mov_b32 s8, exec_lo
	v_and_b32_e32 v24, 0xff, v34
	s_delay_alu instid0(VALU_DEP_1)
	v_cmpx_ne_u16_e32 0, v24
	s_cbranch_execz .LBB214_3170
; %bb.3163:                             ;   in Loop: Header=BB214_1581 Depth=1
	v_mov_b64_e32 v[56:57], 0x80000000
	s_mov_b32 s9, exec_lo
	v_cmpx_ne_u16_e32 0x80, v24
	s_cbranch_execz .LBB214_3169
; %bb.3164:                             ;   in Loop: Header=BB214_1581 Depth=1
	v_mov_b64_e32 v[56:57], 0x7f800001
	v_bfe_u32 v82, v33, 16, 7
	s_mov_b32 s14, exec_lo
	s_delay_alu instid0(VALU_DEP_1)
	v_cmpx_ne_u32_e32 0x7f, v82
	s_cbranch_execz .LBB214_3168
; %bb.3165:                             ;   in Loop: Header=BB214_1581 Depth=1
	v_and_b32_e32 v24, 7, v34
	v_lshrrev_b32_e32 v35, 3, v82
	v_cmp_gt_u32_e64 s0, 8, v82
	s_delay_alu instid0(VALU_DEP_3)
	v_mov_b64_e32 v[82:83], v[24:25]
	s_and_saveexec_b32 s15, s0
; %bb.3166:                             ;   in Loop: Header=BB214_1581 Depth=1
	v_clz_i32_u32_e32 v35, v24
	s_delay_alu instid0(VALU_DEP_1) | instskip(NEXT) | instid1(VALU_DEP_1)
	v_min_u32_e32 v35, 32, v35
	v_subrev_nc_u32_e32 v82, 28, v35
	s_delay_alu instid0(VALU_DEP_1) | instskip(NEXT) | instid1(VALU_DEP_1)
	v_lshlrev_b64_e32 v[82:83], v82, v[24:25]
	v_dual_sub_nc_u32 v35, 29, v35 :: v_dual_bitop2_b32 v82, 7, v82 bitop3:0x40
; %bb.3167:                             ;   in Loop: Header=BB214_1581 Depth=1
	s_or_b32 exec_lo, exec_lo, s15
	v_lshlrev_b32_e32 v24, 24, v34
	s_delay_alu instid0(VALU_DEP_2) | instskip(NEXT) | instid1(VALU_DEP_3)
	v_lshlrev_b32_e32 v34, 20, v82
	v_lshl_add_u32 v35, v35, 23, 0x3c000000
	s_delay_alu instid0(VALU_DEP_3) | instskip(NEXT) | instid1(VALU_DEP_1)
	v_and_b32_e32 v24, 0x80000000, v24
	v_or3_b32 v24, v34, v24, v35
	s_delay_alu instid0(VALU_DEP_1)
	v_mov_b64_e32 v[56:57], v[24:25]
.LBB214_3168:                           ;   in Loop: Header=BB214_1581 Depth=1
	s_or_b32 exec_lo, exec_lo, s14
.LBB214_3169:                           ;   in Loop: Header=BB214_1581 Depth=1
	s_delay_alu instid0(SALU_CYCLE_1)
	s_or_b32 exec_lo, exec_lo, s9
.LBB214_3170:                           ;   in Loop: Header=BB214_1581 Depth=1
	s_delay_alu instid0(SALU_CYCLE_1) | instskip(NEXT) | instid1(SALU_CYCLE_1)
	s_or_b32 exec_lo, exec_lo, s8
	s_mov_b32 s8, exec_lo
	v_cmpx_lt_u32_e32 0xffffff, v33
	s_cbranch_execz .LBB214_3178
; %bb.3171:                             ;   in Loop: Header=BB214_1581 Depth=1
	v_mov_b64_e32 v[22:23], 0x8000000000000000
	v_lshrrev_b32_e32 v34, 24, v33
	s_mov_b32 s9, exec_lo
	s_delay_alu instid0(VALU_DEP_1)
	v_cmpx_ne_u32_e32 0x80, v34
	s_cbranch_execz .LBB214_3177
; %bb.3172:                             ;   in Loop: Header=BB214_1581 Depth=1
	v_mov_b64_e32 v[22:23], 0x7f80000100000000
	v_bfe_u32 v35, v33, 24, 7
	s_mov_b32 s14, exec_lo
	s_delay_alu instid0(VALU_DEP_1)
	v_cmpx_ne_u32_e32 0x7f, v35
	s_cbranch_execz .LBB214_3176
; %bb.3173:                             ;   in Loop: Header=BB214_1581 Depth=1
	v_dual_lshrrev_b32 v33, 3, v35 :: v_dual_bitop2_b32 v24, 7, v34 bitop3:0x40
	s_mov_b32 s15, exec_lo
	s_delay_alu instid0(VALU_DEP_1)
	v_mov_b64_e32 v[22:23], v[24:25]
	v_cmpx_gt_u32_e32 8, v35
; %bb.3174:                             ;   in Loop: Header=BB214_1581 Depth=1
	v_clz_i32_u32_e32 v22, v24
	s_delay_alu instid0(VALU_DEP_1) | instskip(NEXT) | instid1(VALU_DEP_1)
	v_min_u32_e32 v33, 32, v22
	v_subrev_nc_u32_e32 v22, 28, v33
	s_delay_alu instid0(VALU_DEP_1) | instskip(NEXT) | instid1(VALU_DEP_1)
	v_lshlrev_b64_e32 v[22:23], v22, v[24:25]
	v_dual_sub_nc_u32 v33, 29, v33 :: v_dual_bitop2_b32 v22, 7, v22 bitop3:0x40
; %bb.3175:                             ;   in Loop: Header=BB214_1581 Depth=1
	s_or_b32 exec_lo, exec_lo, s15
	v_lshlrev_b32_e32 v23, 24, v34
	s_delay_alu instid0(VALU_DEP_2) | instskip(NEXT) | instid1(VALU_DEP_3)
	v_lshlrev_b32_e32 v22, 20, v22
	v_lshl_add_u32 v24, v33, 23, 0x3c000000
	s_delay_alu instid0(VALU_DEP_3) | instskip(NEXT) | instid1(VALU_DEP_1)
	v_and_b32_e32 v23, 0x80000000, v23
	v_or3_b32 v23, v22, v23, v24
	v_mov_b32_e32 v22, v25
.LBB214_3176:                           ;   in Loop: Header=BB214_1581 Depth=1
	s_or_b32 exec_lo, exec_lo, s14
.LBB214_3177:                           ;   in Loop: Header=BB214_1581 Depth=1
	s_delay_alu instid0(SALU_CYCLE_1)
	s_or_b32 exec_lo, exec_lo, s9
.LBB214_3178:                           ;   in Loop: Header=BB214_1581 Depth=1
	s_delay_alu instid0(SALU_CYCLE_1) | instskip(SKIP_4) | instid1(VALU_DEP_3)
	s_or_b32 exec_lo, exec_lo, s8
	v_or_b32_e32 v17, v17, v21
	v_or_b32_e32 v16, v16, v20
	;; [unrolled: 1-line block ×4, first 2 shown]
	v_pk_mul_f32 v[22:23], v[114:115], v[16:17]
	s_delay_alu instid0(VALU_DEP_2)
	v_pk_mul_f32 v[20:21], v[114:115], v[20:21]
	s_and_saveexec_b32 s8, vcc_lo
	s_cbranch_execz .LBB214_3180
; %bb.3179:                             ;   in Loop: Header=BB214_1581 Depth=1
	scratch_load_b64 v[16:17], off, s32 offset:200 ; 8-byte Folded Reload
	s_wait_loadcnt 0x0
	v_cmp_lt_i32_e64 s0, v29, v16
	s_delay_alu instid0(VALU_DEP_1) | instskip(SKIP_1) | instid1(VALU_DEP_1)
	v_cndmask_b32_e64 v22, 0, v22, s0
	v_cmp_lt_i32_e64 s0, v30, v16
	v_cndmask_b32_e64 v23, 0, v23, s0
	v_cmp_lt_i32_e64 s0, v32, v16
	s_delay_alu instid0(VALU_DEP_1) | instskip(SKIP_1) | instid1(VALU_DEP_1)
	v_cndmask_b32_e64 v20, 0, v20, s0
	v_cmp_lt_i32_e64 s0, v31, v16
	v_cndmask_b32_e64 v21, 0, v21, s0
.LBB214_3180:                           ;   in Loop: Header=BB214_1581 Depth=1
	s_wait_xcnt 0x0
	s_or_b32 exec_lo, exec_lo, s8
	flat_load_b32 v31, v[0:1] offset:6016
	s_wait_xcnt 0x0
	v_mov_b64_e32 v[0:1], 0
	v_mov_b64_e32 v[16:17], 0
	s_mov_b32 s8, exec_lo
	s_wait_loadcnt_dscnt 0x0
	v_and_b32_e32 v24, 0xff, v31
	s_delay_alu instid0(VALU_DEP_1)
	v_cmpx_ne_u16_e32 0, v24
	s_cbranch_execz .LBB214_3188
; %bb.3181:                             ;   in Loop: Header=BB214_1581 Depth=1
	v_mov_b64_e32 v[16:17], 0x80000000
	s_mov_b32 s9, exec_lo
	v_cmpx_ne_u16_e32 0x80, v24
	s_cbranch_execz .LBB214_3187
; %bb.3182:                             ;   in Loop: Header=BB214_1581 Depth=1
	v_mov_b64_e32 v[16:17], 0x7f800001
	v_and_b32_e32 v33, 0x7f, v31
	s_mov_b32 s14, exec_lo
	s_delay_alu instid0(VALU_DEP_1)
	v_cmpx_ne_u32_e32 0x7f, v33
	s_cbranch_execz .LBB214_3186
; %bb.3183:                             ;   in Loop: Header=BB214_1581 Depth=1
	v_dual_lshrrev_b32 v32, 3, v33 :: v_dual_bitop2_b32 v24, 7, v31 bitop3:0x40
	s_mov_b32 s15, exec_lo
	s_delay_alu instid0(VALU_DEP_1)
	v_mov_b64_e32 v[16:17], v[24:25]
	v_cmpx_gt_u32_e32 8, v33
; %bb.3184:                             ;   in Loop: Header=BB214_1581 Depth=1
	v_clz_i32_u32_e32 v16, v24
	s_delay_alu instid0(VALU_DEP_1) | instskip(NEXT) | instid1(VALU_DEP_1)
	v_min_u32_e32 v32, 32, v16
	v_subrev_nc_u32_e32 v16, 28, v32
	v_sub_nc_u32_e32 v32, 29, v32
	s_delay_alu instid0(VALU_DEP_2) | instskip(NEXT) | instid1(VALU_DEP_1)
	v_lshlrev_b64_e32 v[16:17], v16, v[24:25]
	v_and_b32_e32 v16, 7, v16
; %bb.3185:                             ;   in Loop: Header=BB214_1581 Depth=1
	s_or_b32 exec_lo, exec_lo, s15
	s_delay_alu instid0(VALU_DEP_1) | instskip(SKIP_1) | instid1(VALU_DEP_2)
	v_dual_lshlrev_b32 v17, 24, v31 :: v_dual_lshlrev_b32 v16, 20, v16
	v_lshl_add_u32 v24, v32, 23, 0x3c000000
	v_and_b32_e32 v17, 0x80000000, v17
	s_delay_alu instid0(VALU_DEP_1) | instskip(NEXT) | instid1(VALU_DEP_1)
	v_or3_b32 v24, v16, v17, v24
	v_mov_b64_e32 v[16:17], v[24:25]
.LBB214_3186:                           ;   in Loop: Header=BB214_1581 Depth=1
	s_or_b32 exec_lo, exec_lo, s14
.LBB214_3187:                           ;   in Loop: Header=BB214_1581 Depth=1
	s_delay_alu instid0(SALU_CYCLE_1)
	s_or_b32 exec_lo, exec_lo, s9
.LBB214_3188:                           ;   in Loop: Header=BB214_1581 Depth=1
	s_delay_alu instid0(SALU_CYCLE_1) | instskip(SKIP_2) | instid1(VALU_DEP_1)
	s_or_b32 exec_lo, exec_lo, s8
	v_lshrrev_b16 v24, 8, v31
	s_mov_b32 s8, exec_lo
	v_cmpx_ne_u16_e32 0, v24
	s_cbranch_execz .LBB214_3196
; %bb.3189:                             ;   in Loop: Header=BB214_1581 Depth=1
	v_mov_b64_e32 v[0:1], 0x8000000000000000
	s_mov_b32 s9, exec_lo
	v_cmpx_ne_u16_e32 0x80, v24
	s_cbranch_execz .LBB214_3195
; %bb.3190:                             ;   in Loop: Header=BB214_1581 Depth=1
	v_and_b32_e32 v24, 0xffff, v24
	v_mov_b64_e32 v[0:1], 0x7f80000100000000
	s_mov_b32 s14, exec_lo
	s_delay_alu instid0(VALU_DEP_2) | instskip(NEXT) | instid1(VALU_DEP_1)
	v_and_b32_e32 v33, 0x7f, v24
	v_cmpx_ne_u32_e32 0x7f, v33
	s_cbranch_execz .LBB214_3194
; %bb.3191:                             ;   in Loop: Header=BB214_1581 Depth=1
	v_dual_lshrrev_b32 v32, 3, v33 :: v_dual_bitop2_b32 v24, 7, v24 bitop3:0x40
	s_mov_b32 s15, exec_lo
	s_delay_alu instid0(VALU_DEP_1)
	v_mov_b64_e32 v[0:1], v[24:25]
	v_cmpx_gt_u32_e32 8, v33
; %bb.3192:                             ;   in Loop: Header=BB214_1581 Depth=1
	v_clz_i32_u32_e32 v0, v24
	s_delay_alu instid0(VALU_DEP_1) | instskip(NEXT) | instid1(VALU_DEP_1)
	v_min_u32_e32 v32, 32, v0
	v_subrev_nc_u32_e32 v0, 28, v32
	v_sub_nc_u32_e32 v32, 29, v32
	s_delay_alu instid0(VALU_DEP_2) | instskip(NEXT) | instid1(VALU_DEP_1)
	v_lshlrev_b64_e32 v[0:1], v0, v[24:25]
	v_and_b32_e32 v0, 7, v0
; %bb.3193:                             ;   in Loop: Header=BB214_1581 Depth=1
	s_or_b32 exec_lo, exec_lo, s15
	s_delay_alu instid0(VALU_DEP_1) | instskip(SKIP_1) | instid1(VALU_DEP_2)
	v_dual_lshlrev_b32 v1, 16, v31 :: v_dual_lshlrev_b32 v0, 20, v0
	v_lshl_add_u32 v24, v32, 23, 0x3c000000
	v_and_b32_e32 v1, 0x80000000, v1
	s_delay_alu instid0(VALU_DEP_1)
	v_or3_b32 v1, v0, v1, v24
	v_mov_b32_e32 v0, v25
.LBB214_3194:                           ;   in Loop: Header=BB214_1581 Depth=1
	s_or_b32 exec_lo, exec_lo, s14
.LBB214_3195:                           ;   in Loop: Header=BB214_1581 Depth=1
	s_delay_alu instid0(SALU_CYCLE_1)
	s_or_b32 exec_lo, exec_lo, s9
.LBB214_3196:                           ;   in Loop: Header=BB214_1581 Depth=1
	s_delay_alu instid0(SALU_CYCLE_1) | instskip(SKIP_4) | instid1(VALU_DEP_3)
	s_or_b32 exec_lo, exec_lo, s8
	v_lshrrev_b32_e32 v32, 16, v31
	v_mov_b64_e32 v[56:57], 0
	v_mov_b64_e32 v[82:83], 0
	s_mov_b32 s8, exec_lo
	v_and_b32_e32 v24, 0xff, v32
	s_delay_alu instid0(VALU_DEP_1)
	v_cmpx_ne_u16_e32 0, v24
	s_cbranch_execz .LBB214_3204
; %bb.3197:                             ;   in Loop: Header=BB214_1581 Depth=1
	v_mov_b64_e32 v[82:83], 0x80000000
	s_mov_b32 s9, exec_lo
	v_cmpx_ne_u16_e32 0x80, v24
	s_cbranch_execz .LBB214_3203
; %bb.3198:                             ;   in Loop: Header=BB214_1581 Depth=1
	v_mov_b64_e32 v[82:83], 0x7f800001
	v_bfe_u32 v34, v31, 16, 7
	s_mov_b32 s14, exec_lo
	s_delay_alu instid0(VALU_DEP_1)
	v_cmpx_ne_u32_e32 0x7f, v34
	s_cbranch_execz .LBB214_3202
; %bb.3199:                             ;   in Loop: Header=BB214_1581 Depth=1
	v_dual_lshrrev_b32 v33, 3, v34 :: v_dual_bitop2_b32 v24, 7, v32 bitop3:0x40
	s_mov_b32 s15, exec_lo
	s_delay_alu instid0(VALU_DEP_1)
	v_mov_b64_e32 v[82:83], v[24:25]
	v_cmpx_gt_u32_e32 8, v34
; %bb.3200:                             ;   in Loop: Header=BB214_1581 Depth=1
	v_clz_i32_u32_e32 v33, v24
	s_delay_alu instid0(VALU_DEP_1) | instskip(NEXT) | instid1(VALU_DEP_1)
	v_min_u32_e32 v33, 32, v33
	v_subrev_nc_u32_e32 v34, 28, v33
	s_delay_alu instid0(VALU_DEP_1) | instskip(NEXT) | instid1(VALU_DEP_1)
	v_lshlrev_b64_e32 v[34:35], v34, v[24:25]
	v_dual_sub_nc_u32 v33, 29, v33 :: v_dual_bitop2_b32 v82, 7, v34 bitop3:0x40
; %bb.3201:                             ;   in Loop: Header=BB214_1581 Depth=1
	s_or_b32 exec_lo, exec_lo, s15
	s_delay_alu instid0(VALU_DEP_1) | instskip(NEXT) | instid1(VALU_DEP_2)
	v_dual_lshlrev_b32 v24, 24, v32 :: v_dual_lshlrev_b32 v32, 20, v82
	v_lshl_add_u32 v33, v33, 23, 0x3c000000
	s_delay_alu instid0(VALU_DEP_2) | instskip(NEXT) | instid1(VALU_DEP_1)
	v_and_b32_e32 v24, 0x80000000, v24
	v_or3_b32 v24, v32, v24, v33
	s_delay_alu instid0(VALU_DEP_1)
	v_mov_b64_e32 v[82:83], v[24:25]
.LBB214_3202:                           ;   in Loop: Header=BB214_1581 Depth=1
	s_or_b32 exec_lo, exec_lo, s14
.LBB214_3203:                           ;   in Loop: Header=BB214_1581 Depth=1
	s_delay_alu instid0(SALU_CYCLE_1)
	s_or_b32 exec_lo, exec_lo, s9
.LBB214_3204:                           ;   in Loop: Header=BB214_1581 Depth=1
	s_delay_alu instid0(SALU_CYCLE_1) | instskip(NEXT) | instid1(SALU_CYCLE_1)
	s_or_b32 exec_lo, exec_lo, s8
	s_mov_b32 s8, exec_lo
	v_cmpx_lt_u32_e32 0xffffff, v31
	s_cbranch_execz .LBB214_3212
; %bb.3205:                             ;   in Loop: Header=BB214_1581 Depth=1
	v_mov_b64_e32 v[56:57], 0x8000000000000000
	v_lshrrev_b32_e32 v32, 24, v31
	s_mov_b32 s9, exec_lo
	s_delay_alu instid0(VALU_DEP_1)
	v_cmpx_ne_u32_e32 0x80, v32
	s_cbranch_execz .LBB214_3211
; %bb.3206:                             ;   in Loop: Header=BB214_1581 Depth=1
	v_mov_b64_e32 v[56:57], 0x7f80000100000000
	v_bfe_u32 v33, v31, 24, 7
	s_mov_b32 s14, exec_lo
	s_delay_alu instid0(VALU_DEP_1)
	v_cmpx_ne_u32_e32 0x7f, v33
	s_cbranch_execz .LBB214_3210
; %bb.3207:                             ;   in Loop: Header=BB214_1581 Depth=1
	v_dual_lshrrev_b32 v31, 3, v33 :: v_dual_bitop2_b32 v24, 7, v32 bitop3:0x40
	s_mov_b32 s15, exec_lo
	s_delay_alu instid0(VALU_DEP_1)
	v_mov_b64_e32 v[56:57], v[24:25]
	v_cmpx_gt_u32_e32 8, v33
; %bb.3208:                             ;   in Loop: Header=BB214_1581 Depth=1
	v_clz_i32_u32_e32 v31, v24
	s_delay_alu instid0(VALU_DEP_1) | instskip(NEXT) | instid1(VALU_DEP_1)
	v_min_u32_e32 v31, 32, v31
	v_subrev_nc_u32_e32 v33, 28, v31
	s_delay_alu instid0(VALU_DEP_1) | instskip(NEXT) | instid1(VALU_DEP_1)
	v_lshlrev_b64_e32 v[34:35], v33, v[24:25]
	v_dual_sub_nc_u32 v31, 29, v31 :: v_dual_bitop2_b32 v56, 7, v34 bitop3:0x40
; %bb.3209:                             ;   in Loop: Header=BB214_1581 Depth=1
	s_or_b32 exec_lo, exec_lo, s15
	v_lshlrev_b32_e32 v24, 24, v32
	s_delay_alu instid0(VALU_DEP_2) | instskip(NEXT) | instid1(VALU_DEP_3)
	v_lshlrev_b32_e32 v32, 20, v56
	v_lshl_add_u32 v31, v31, 23, 0x3c000000
	v_mov_b32_e32 v56, v25
	s_delay_alu instid0(VALU_DEP_4) | instskip(NEXT) | instid1(VALU_DEP_1)
	v_and_b32_e32 v24, 0x80000000, v24
	v_or3_b32 v57, v32, v24, v31
.LBB214_3210:                           ;   in Loop: Header=BB214_1581 Depth=1
	s_or_b32 exec_lo, exec_lo, s14
.LBB214_3211:                           ;   in Loop: Header=BB214_1581 Depth=1
	s_delay_alu instid0(SALU_CYCLE_1)
	s_or_b32 exec_lo, exec_lo, s9
.LBB214_3212:                           ;   in Loop: Header=BB214_1581 Depth=1
	s_delay_alu instid0(SALU_CYCLE_1) | instskip(SKIP_4) | instid1(VALU_DEP_3)
	s_or_b32 exec_lo, exec_lo, s8
	v_or_b32_e32 v1, v1, v17
	v_or_b32_e32 v0, v0, v16
	v_or_b32_e32 v33, v57, v83
	v_or_b32_e32 v32, v56, v82
	v_pk_mul_f32 v[16:17], v[114:115], v[0:1]
	s_delay_alu instid0(VALU_DEP_2)
	v_pk_mul_f32 v[0:1], v[114:115], v[32:33]
	s_and_saveexec_b32 s8, vcc_lo
	s_cbranch_execz .LBB214_1579
; %bb.3213:                             ;   in Loop: Header=BB214_1581 Depth=1
	s_clause 0x1
	scratch_load_b64 v[32:33], off, s32 offset:200
	scratch_load_b64 v[34:35], off, s32 offset:820
	v_or_b32_e32 v24, 3, v29
	s_wait_loadcnt 0x1
	v_cmp_lt_i32_e32 vcc_lo, v29, v32
	s_wait_loadcnt 0x0
	v_dual_mov_b32 v31, v35 :: v_dual_bitop2_b32 v29, 2, v29 bitop3:0x54
	v_cndmask_b32_e32 v16, 0, v16, vcc_lo
	s_delay_alu instid0(VALU_DEP_2) | instskip(NEXT) | instid1(VALU_DEP_3)
	v_cmp_lt_i32_e64 s0, v30, v31
	v_cmp_lt_i32_e32 vcc_lo, v29, v32
	s_delay_alu instid0(VALU_DEP_2) | instskip(SKIP_1) | instid1(VALU_DEP_1)
	v_cndmask_b32_e64 v17, 0, v17, s0
	v_cmp_lt_i32_e64 s0, v24, v31
	v_dual_cndmask_b32 v0, 0, v0, vcc_lo :: v_dual_cndmask_b32 v1, 0, v1, s0
	s_branch .LBB214_1579
.LBB214_3214:
	s_or_b32 exec_lo, exec_lo, s2
	s_clause 0xa
	scratch_load_b32 v25, off, s32 offset:836
	scratch_load_b32 v24, off, s32 offset:844
	;; [unrolled: 1-line block ×3, first 2 shown]
	scratch_load_b64 v[100:101], off, s32 offset:700
	scratch_load_b64 v[50:51], off, s32 offset:708
	;; [unrolled: 1-line block ×8, first 2 shown]
.LBB214_3215:
	s_wait_xcnt 0x0
	s_or_b32 exec_lo, exec_lo, s1
	s_wait_loadcnt 0x3
	v_mov_b64_e32 v[38:39], v[6:7]
	s_clause 0x3
	scratch_load_b64 v[32:33], off, s32 offset:676 th:TH_LOAD_LU
	scratch_load_b64 v[48:49], off, s32 offset:660 th:TH_LOAD_LU
	;; [unrolled: 1-line block ×4, first 2 shown]
	ds_bpermute_b32 v22, v85, v28
	ds_bpermute_b32 v23, v85, v29
	ds_bpermute_b32 v6, v85, v38
	ds_bpermute_b32 v7, v85, v39
	v_mov_b64_e32 v[52:53], v[28:29]
	s_clause 0x2
	scratch_load_b64 v[70:71], off, s32 offset:644 th:TH_LOAD_LU
	scratch_load_b64 v[64:65], off, s32 offset:636 th:TH_LOAD_LU
	;; [unrolled: 1-line block ×3, first 2 shown]
	s_wait_loadcnt 0x8
	v_mov_b64_e32 v[18:19], v[0:1]
	s_wait_loadcnt 0x7
	v_mov_b64_e32 v[20:21], v[2:3]
	v_mov_b64_e32 v[16:17], v[4:5]
	v_dual_mov_b32 v97, v24 :: v_dual_mov_b32 v57, v25
	v_mov_b64_e32 v[66:67], v[14:15]
	v_mov_b64_e32 v[68:69], v[12:13]
	ds_bpermute_b32 v0, v85, v18
	ds_bpermute_b32 v1, v85, v19
	;; [unrolled: 1-line block ×6, first 2 shown]
	s_wait_dscnt 0x8
	v_pk_add_f32 v[22:23], v[52:53], v[22:23]
	scratch_load_b64 v[52:53], off, s32 offset:652 th:TH_LOAD_LU ; 8-byte Folded Reload
	s_wait_dscnt 0x6
	v_pk_add_f32 v[6:7], v[38:39], v[6:7]
	s_clause 0x4
	scratch_load_b64 v[38:39], off, s32 offset:668 th:TH_LOAD_LU
	scratch_load_b64 v[114:115], off, s32 offset:612 th:TH_LOAD_LU
	;; [unrolled: 1-line block ×5, first 2 shown]
	ds_bpermute_b32 v26, v97, v6
	ds_bpermute_b32 v27, v97, v7
	v_mov_b64_e32 v[30:31], v[8:9]
	v_mov_b64_e32 v[98:99], v[66:67]
	;; [unrolled: 1-line block ×3, first 2 shown]
	ds_bpermute_b32 v84, v85, v100
	s_mov_b32 s2, exec_lo
	s_wait_dscnt 0x7
	v_pk_add_f32 v[0:1], v[18:19], v[0:1]
	s_wait_dscnt 0x5
	v_pk_add_f32 v[2:3], v[20:21], v[2:3]
	ds_bpermute_b32 v8, v85, v30
	s_wait_dscnt 0x4
	v_pk_add_f32 v[4:5], v[16:17], v[4:5]
	ds_bpermute_b32 v16, v24, v0
	ds_bpermute_b32 v17, v24, v1
	;; [unrolled: 1-line block ×9, first 2 shown]
	s_wait_dscnt 0xb
	v_pk_add_f32 v[6:7], v[6:7], v[26:27]
	ds_bpermute_b32 v67, v85, v99
	ds_bpermute_b32 v68, v85, v118
	;; [unrolled: 1-line block ×3, first 2 shown]
	s_wait_dscnt 0xa
	v_pk_add_f32 v[0:1], v[0:1], v[16:17]
	s_wait_dscnt 0x8
	v_pk_add_f32 v[2:3], v[2:3], v[18:19]
	;; [unrolled: 2-line block ×3, first 2 shown]
	ds_bpermute_b32 v4, v25, v0
	ds_bpermute_b32 v5, v25, v1
	;; [unrolled: 1-line block ×4, first 2 shown]
	s_wait_dscnt 0x9
	v_pk_add_f32 v[8:9], v[30:31], v[8:9]
	s_wait_dscnt 0x6
	v_pk_add_f32 v[66:67], v[98:99], v[66:67]
	ds_bpermute_b32 v28, v97, v8
	ds_bpermute_b32 v29, v97, v9
	s_wait_dscnt 0x4
	v_pk_add_f32 v[4:5], v[0:1], v[4:5]
	s_wait_dscnt 0x2
	v_pk_add_f32 v[2:3], v[2:3], v[20:21]
	;; [unrolled: 2-line block ×3, first 2 shown]
	ds_bpermute_b32 v28, v57, v6
	ds_bpermute_b32 v29, v57, v7
	s_wait_dscnt 0x0
	v_pk_add_f32 v[6:7], v[6:7], v[28:29]
	s_wait_loadcnt 0xc
	ds_bpermute_b32 v14, v85, v32
	ds_bpermute_b32 v15, v85, v33
	s_wait_loadcnt 0xa
	ds_bpermute_b32 v10, v85, v36
	ds_bpermute_b32 v11, v85, v37
	;; [unrolled: 3-line block ×3, first 2 shown]
	s_wait_dscnt 0x4
	v_pk_add_f32 v[14:15], v[32:33], v[14:15]
	s_wait_dscnt 0x2
	v_pk_add_f32 v[10:11], v[36:37], v[10:11]
	ds_bpermute_b32 v36, v85, v48
	s_wait_dscnt 0x1
	v_pk_add_f32 v[12:13], v[34:35], v[12:13]
	ds_bpermute_b32 v16, v97, v14
	ds_bpermute_b32 v34, v25, v18
	s_wait_loadcnt 0x4
	ds_bpermute_b32 v26, v85, v38
	ds_bpermute_b32 v27, v85, v39
	ds_bpermute_b32 v35, v25, v19
	ds_bpermute_b32 v17, v97, v15
	ds_bpermute_b32 v37, v85, v49
	ds_bpermute_b32 v30, v97, v10
	ds_bpermute_b32 v31, v97, v11
	ds_bpermute_b32 v32, v97, v12
	ds_bpermute_b32 v33, v97, v13
	ds_bpermute_b32 v25, v85, v51
	s_wait_loadcnt 0x0
	ds_bpermute_b32 v82, v85, v112
	ds_bpermute_b32 v83, v85, v113
	s_wait_dscnt 0xa
	v_pk_add_f32 v[26:27], v[38:39], v[26:27]
	s_wait_dscnt 0x9
	v_pk_add_f32 v[0:1], v[18:19], v[34:35]
	;; [unrolled: 2-line block ×3, first 2 shown]
	ds_bpermute_b32 v16, v85, v52
	ds_bpermute_b32 v17, v85, v53
	;; [unrolled: 1-line block ×5, first 2 shown]
	s_wait_dscnt 0xc
	v_pk_add_f32 v[36:37], v[48:49], v[36:37]
	ds_bpermute_b32 v39, v97, v27
	ds_bpermute_b32 v48, v85, v70
	;; [unrolled: 1-line block ×3, first 2 shown]
	s_wait_dscnt 0xd
	v_pk_add_f32 v[10:11], v[10:11], v[30:31]
	s_wait_dscnt 0xb
	v_pk_add_f32 v[12:13], v[12:13], v[32:33]
	ds_bpermute_b32 v30, v57, v8
	ds_bpermute_b32 v31, v57, v9
	s_wait_dscnt 0xc
	v_pk_add_f32 v[14:15], v[50:51], v[24:25]
	ds_bpermute_b32 v32, v57, v10
	ds_bpermute_b32 v33, v57, v11
	;; [unrolled: 1-line block ×7, first 2 shown]
	s_wait_dscnt 0xf
	v_pk_add_f32 v[52:53], v[52:53], v[16:17]
	ds_bpermute_b32 v29, v57, v13
	s_wait_dscnt 0xe
	v_pk_add_f32 v[16:17], v[22:23], v[18:19]
	ds_bpermute_b32 v34, v57, v20
	ds_bpermute_b32 v35, v57, v21
	s_wait_dscnt 0xe
	v_pk_add_f32 v[22:23], v[26:27], v[38:39]
	v_pk_add_f32 v[82:83], v[112:113], v[82:83]
	s_wait_dscnt 0xc
	v_pk_add_f32 v[38:39], v[70:71], v[48:49]
	scratch_load_b64 v[70:71], off, s32 offset:620 th:TH_LOAD_LU ; 8-byte Folded Reload
	ds_bpermute_b32 v54, v85, v80
	ds_bpermute_b32 v55, v85, v81
	s_wait_dscnt 0xc
	v_pk_add_f32 v[8:9], v[8:9], v[30:31]
	ds_bpermute_b32 v30, v97, v36
	ds_bpermute_b32 v31, v97, v37
	s_wait_dscnt 0xc
	v_pk_add_f32 v[10:11], v[10:11], v[32:33]
	;; [unrolled: 4-line block ×3, first 2 shown]
	s_wait_dscnt 0xa
	v_pk_add_f32 v[18:19], v[14:15], v[24:25]
	s_wait_storecnt 0x0
	s_wait_loadcnt_dscnt 0x0
	s_barrier_signal -1
	v_pk_add_f32 v[14:15], v[12:13], v[28:29]
	ds_bpermute_b32 v64, v97, v50
	ds_bpermute_b32 v65, v97, v51
	;; [unrolled: 1-line block ×4, first 2 shown]
	v_pk_add_f32 v[12:13], v[20:21], v[34:35]
	ds_bpermute_b32 v28, v57, v22
	ds_bpermute_b32 v29, v57, v23
	s_barrier_wait -1
	s_wait_dscnt 0x0
	ds_bpermute_b32 v20, v57, v16
	ds_bpermute_b32 v21, v57, v17
	v_pk_add_f32 v[26:27], v[36:37], v[30:31]
	ds_bpermute_b32 v36, v97, v38
	ds_bpermute_b32 v37, v97, v39
	v_pk_add_f32 v[30:31], v[52:53], v[32:33]
	v_pk_add_f32 v[52:53], v[80:81], v[54:55]
	ds_bpermute_b32 v80, v85, v102
	ds_bpermute_b32 v81, v85, v103
	;; [unrolled: 1-line block ×6, first 2 shown]
	v_pk_add_f32 v[64:65], v[50:51], v[64:65]
	ds_bpermute_b32 v50, v85, v116
	ds_bpermute_b32 v51, v85, v117
	;; [unrolled: 1-line block ×5, first 2 shown]
	s_load_b32 s1, s[6:7], 0x0
	s_wait_dscnt 0xb
	v_pk_add_f32 v[36:37], v[38:39], v[36:37]
	ds_bpermute_b32 v86, v57, v36
	ds_bpermute_b32 v87, v57, v37
	s_wait_dscnt 0x7
	v_pk_add_f32 v[98:99], v[52:53], v[54:55]
	ds_bpermute_b32 v54, v97, v66
	ds_bpermute_b32 v55, v97, v67
	v_pk_add_f32 v[52:53], v[118:119], v[68:69]
	s_wait_dscnt 0x7
	v_pk_add_f32 v[50:51], v[116:117], v[50:51]
	ds_bpermute_b32 v116, v57, v98
	ds_bpermute_b32 v117, v57, v99
	s_wait_dscnt 0x4
	v_pk_add_f32 v[36:37], v[36:37], v[86:87]
	s_wait_dscnt 0x2
	v_pk_add_f32 v[66:67], v[66:67], v[54:55]
	v_pk_add_f32 v[54:55], v[16:17], v[20:21]
	ds_bpermute_b32 v40, v57, v66
	ds_bpermute_b32 v41, v57, v67
	;; [unrolled: 1-line block ×4, first 2 shown]
	s_wait_dscnt 0x0
	v_pk_add_f32 v[48:49], v[70:71], v[48:49]
	ds_bpermute_b32 v70, v85, v114
	ds_bpermute_b32 v71, v85, v115
	;; [unrolled: 1-line block ×5, first 2 shown]
	s_wait_dscnt 0x3
	v_pk_add_f32 v[68:69], v[114:115], v[70:71]
	v_mov_b64_e32 v[114:115], v[100:101]
	v_pk_add_f32 v[70:71], v[102:103], v[80:81]
	ds_bpermute_b32 v80, v97, v52
	ds_bpermute_b32 v81, v97, v53
	s_wait_dscnt 0x2
	v_pk_add_f32 v[112:113], v[48:49], v[38:39]
	ds_bpermute_b32 v100, v97, v68
	ds_bpermute_b32 v101, v97, v69
	v_pk_add_f32 v[38:39], v[114:115], v[84:85]
	ds_bpermute_b32 v102, v97, v70
	ds_bpermute_b32 v103, v97, v71
	;; [unrolled: 1-line block ×11, first 2 shown]
	s_wait_dscnt 0xd
	v_pk_add_f32 v[80:81], v[52:53], v[80:81]
	v_pk_add_f32 v[52:53], v[18:19], v[24:25]
	s_clause 0x1
	scratch_load_b32 v18, off, s32 offset:1592 th:TH_LOAD_LU
	scratch_load_b32 v24, off, s32 offset:1596
	s_wait_dscnt 0xb
	v_pk_add_f32 v[68:69], v[68:69], v[100:101]
	ds_bpermute_b32 v100, v57, v80
	s_wait_dscnt 0xa
	v_pk_add_f32 v[70:71], v[70:71], v[102:103]
	ds_bpermute_b32 v101, v57, v81
	s_wait_dscnt 0x9
	v_pk_add_f32 v[42:43], v[50:51], v[48:49]
	v_pk_add_f32 v[50:51], v[22:23], v[28:29]
	s_wait_dscnt 0x7
	v_pk_add_f32 v[82:83], v[82:83], v[84:85]
	v_pk_add_f32 v[28:29], v[66:67], v[40:41]
	;; [unrolled: 3-line block ×3, first 2 shown]
	s_wait_dscnt 0x4
	v_pk_add_f32 v[34:35], v[64:65], v[96:97]
	s_clause 0x1
	scratch_load_b32 v66, off, s32 offset:2404 th:TH_LOAD_LU
	scratch_load_b32 v65, off, s32 offset:828 th:TH_LOAD_LU
	ds_bpermute_b32 v102, v57, v68
	ds_bpermute_b32 v103, v57, v69
	ds_bpermute_b32 v44, v57, v70
	ds_bpermute_b32 v45, v57, v71
	ds_bpermute_b32 v114, v57, v42
	ds_bpermute_b32 v115, v57, v43
	ds_bpermute_b32 v46, v57, v82
	ds_bpermute_b32 v47, v57, v83
	ds_bpermute_b32 v56, v57, v84
	ds_bpermute_b32 v57, v57, v85
	v_pk_add_f32 v[48:49], v[26:27], v[32:33]
	v_pk_add_f32 v[32:33], v[98:99], v[116:117]
	s_wait_dscnt 0xc
	v_pk_add_f32 v[30:31], v[112:113], v[118:119]
	s_wait_dscnt 0xa
	;; [unrolled: 2-line block ×5, first 2 shown]
	v_pk_add_f32 v[16:17], v[42:43], v[114:115]
	s_wait_loadcnt 0x3
	v_lshrrev_b32_e32 v64, 3, v18
	s_wait_dscnt 0x2
	v_pk_add_f32 v[18:19], v[82:83], v[46:47]
	s_wait_loadcnt 0x2
	v_and_b32_e32 v67, 0x3c0, v24
	s_wait_dscnt 0x0
	v_pk_add_f32 v[24:25], v[84:85], v[56:57]
	s_wait_loadcnt 0x1
	v_mul_u32_u24_e32 v66, 0x300, v66
	s_wait_loadcnt 0x0
	v_cmp_eq_u32_e32 vcc_lo, 0, v65
	s_wait_kmcnt 0x0
	v_lshl_add_u32 v65, v64, 2, s1
	v_cmpx_eq_u32_e32 64, v67
	s_cbranch_execz .LBB214_3218
; %bb.3216:
	s_and_b32 exec_lo, exec_lo, vcc_lo
	s_cbranch_execz .LBB214_3218
; %bb.3217:
	v_add_nc_u32_e32 v67, v65, v66
	s_delay_alu instid0(VALU_DEP_1)
	v_add_nc_u32_e32 v68, 0xfffffa00, v67
	v_add_nc_u32_e32 v69, 0xfffffa10, v67
	v_add_nc_u32_e32 v70, 0xfffffa20, v67
	v_add_nc_u32_e32 v71, 0xfffffa30, v67
	v_add_nc_u32_e32 v80, 0xfffffa40, v67
	v_add_nc_u32_e32 v81, 0xfffffa50, v67
	v_add_nc_u32_e32 v82, 0xfffffa60, v67
	v_add_nc_u32_e32 v83, 0xfffffa70, v67
	ds_store_b32 v68, v4
	ds_store_b32 v69, v5
	ds_store_b32 v70, v2
	ds_store_b32 v71, v3
	ds_store_b32 v80, v0
	ds_store_b32 v81, v1
	ds_store_b32 v82, v6
	ds_store_b32 v83, v7
	v_add_nc_u32_e32 v68, 0xfffffa80, v67
	v_add_nc_u32_e32 v69, 0xfffffa90, v67
	v_add_nc_u32_e32 v70, 0xfffffaa0, v67
	v_add_nc_u32_e32 v71, 0xfffffab0, v67
	v_add_nc_u32_e32 v80, 0xfffffac0, v67
	v_add_nc_u32_e32 v81, 0xfffffad0, v67
	v_add_nc_u32_e32 v82, 0xfffffae0, v67
	v_add_nc_u32_e32 v83, 0xfffffaf0, v67
	ds_store_b32 v68, v8
	ds_store_b32 v69, v9
	ds_store_b32 v70, v10
	ds_store_b32 v71, v11
	ds_store_b32 v80, v14
	ds_store_b32 v81, v15
	ds_store_b32 v82, v12
	ds_store_b32 v83, v13
	;; [unrolled: 16-line block ×6, first 2 shown]
.LBB214_3218:
	s_or_b32 exec_lo, exec_lo, s2
	v_lshlrev_b32_e32 v64, 2, v64
	s_delay_alu instid0(VALU_DEP_1)
	v_add3_u32 v64, s1, v66, v64
	scratch_load_b32 v66, off, s32 offset:1596 ; 4-byte Folded Reload
	s_mov_b32 s1, exec_lo
	s_wait_loadcnt_dscnt 0x0
	s_barrier_signal -1
	s_barrier_wait -1
	v_cmpx_gt_u32_e32 64, v66
	s_cbranch_execz .LBB214_3269
; %bb.3219:
	s_and_saveexec_b32 s0, vcc_lo
	s_cbranch_execnz .LBB214_3326
; %bb.3220:
	s_or_b32 exec_lo, exec_lo, s0
	s_and_saveexec_b32 s0, vcc_lo
	s_cbranch_execnz .LBB214_3327
.LBB214_3221:
	s_or_b32 exec_lo, exec_lo, s0
	s_and_saveexec_b32 s0, vcc_lo
	s_cbranch_execnz .LBB214_3328
.LBB214_3222:
	s_or_b32 exec_lo, exec_lo, s0
	s_and_saveexec_b32 s0, vcc_lo
	s_cbranch_execnz .LBB214_3329
.LBB214_3223:
	s_or_b32 exec_lo, exec_lo, s0
	s_and_saveexec_b32 s0, vcc_lo
	s_cbranch_execnz .LBB214_3330
.LBB214_3224:
	s_or_b32 exec_lo, exec_lo, s0
	s_and_saveexec_b32 s0, vcc_lo
	s_cbranch_execnz .LBB214_3331
.LBB214_3225:
	s_or_b32 exec_lo, exec_lo, s0
	s_and_saveexec_b32 s0, vcc_lo
	s_cbranch_execnz .LBB214_3332
.LBB214_3226:
	s_or_b32 exec_lo, exec_lo, s0
	s_and_saveexec_b32 s0, vcc_lo
	s_cbranch_execnz .LBB214_3333
.LBB214_3227:
	s_or_b32 exec_lo, exec_lo, s0
	s_and_saveexec_b32 s0, vcc_lo
	s_cbranch_execnz .LBB214_3334
.LBB214_3228:
	s_or_b32 exec_lo, exec_lo, s0
	s_and_saveexec_b32 s0, vcc_lo
	s_cbranch_execnz .LBB214_3335
.LBB214_3229:
	s_or_b32 exec_lo, exec_lo, s0
	s_and_saveexec_b32 s0, vcc_lo
	s_cbranch_execnz .LBB214_3336
.LBB214_3230:
	s_or_b32 exec_lo, exec_lo, s0
	s_and_saveexec_b32 s0, vcc_lo
	s_cbranch_execnz .LBB214_3337
.LBB214_3231:
	s_or_b32 exec_lo, exec_lo, s0
	s_and_saveexec_b32 s0, vcc_lo
	s_cbranch_execnz .LBB214_3338
.LBB214_3232:
	s_or_b32 exec_lo, exec_lo, s0
	s_and_saveexec_b32 s0, vcc_lo
	s_cbranch_execnz .LBB214_3339
.LBB214_3233:
	s_or_b32 exec_lo, exec_lo, s0
	s_and_saveexec_b32 s0, vcc_lo
	s_cbranch_execnz .LBB214_3340
.LBB214_3234:
	s_or_b32 exec_lo, exec_lo, s0
	s_and_saveexec_b32 s0, vcc_lo
	s_cbranch_execnz .LBB214_3341
.LBB214_3235:
	s_or_b32 exec_lo, exec_lo, s0
	s_and_saveexec_b32 s0, vcc_lo
	s_cbranch_execnz .LBB214_3342
.LBB214_3236:
	s_or_b32 exec_lo, exec_lo, s0
	s_and_saveexec_b32 s0, vcc_lo
	s_cbranch_execnz .LBB214_3343
.LBB214_3237:
	s_or_b32 exec_lo, exec_lo, s0
	s_and_saveexec_b32 s0, vcc_lo
	s_cbranch_execnz .LBB214_3344
.LBB214_3238:
	s_or_b32 exec_lo, exec_lo, s0
	s_and_saveexec_b32 s0, vcc_lo
	s_cbranch_execnz .LBB214_3345
.LBB214_3239:
	s_or_b32 exec_lo, exec_lo, s0
	s_and_saveexec_b32 s0, vcc_lo
	s_cbranch_execnz .LBB214_3346
.LBB214_3240:
	s_or_b32 exec_lo, exec_lo, s0
	s_and_saveexec_b32 s0, vcc_lo
	s_cbranch_execnz .LBB214_3347
.LBB214_3241:
	s_or_b32 exec_lo, exec_lo, s0
	s_and_saveexec_b32 s0, vcc_lo
	s_cbranch_execnz .LBB214_3348
.LBB214_3242:
	s_or_b32 exec_lo, exec_lo, s0
	s_and_saveexec_b32 s0, vcc_lo
	s_cbranch_execnz .LBB214_3349
.LBB214_3243:
	s_or_b32 exec_lo, exec_lo, s0
	s_and_saveexec_b32 s0, vcc_lo
	s_cbranch_execnz .LBB214_3350
.LBB214_3244:
	s_or_b32 exec_lo, exec_lo, s0
	s_and_saveexec_b32 s0, vcc_lo
	s_cbranch_execnz .LBB214_3351
.LBB214_3245:
	s_or_b32 exec_lo, exec_lo, s0
	s_and_saveexec_b32 s0, vcc_lo
	s_cbranch_execnz .LBB214_3352
.LBB214_3246:
	s_or_b32 exec_lo, exec_lo, s0
	s_and_saveexec_b32 s0, vcc_lo
	s_cbranch_execnz .LBB214_3353
.LBB214_3247:
	s_or_b32 exec_lo, exec_lo, s0
	s_and_saveexec_b32 s0, vcc_lo
	s_cbranch_execnz .LBB214_3354
.LBB214_3248:
	s_or_b32 exec_lo, exec_lo, s0
	s_and_saveexec_b32 s0, vcc_lo
	s_cbranch_execnz .LBB214_3355
.LBB214_3249:
	s_or_b32 exec_lo, exec_lo, s0
	s_and_saveexec_b32 s0, vcc_lo
	s_cbranch_execnz .LBB214_3356
.LBB214_3250:
	s_or_b32 exec_lo, exec_lo, s0
	s_and_saveexec_b32 s0, vcc_lo
	s_cbranch_execnz .LBB214_3357
.LBB214_3251:
	s_or_b32 exec_lo, exec_lo, s0
	s_and_saveexec_b32 s0, vcc_lo
	s_cbranch_execnz .LBB214_3358
.LBB214_3252:
	s_or_b32 exec_lo, exec_lo, s0
	s_and_saveexec_b32 s0, vcc_lo
	s_cbranch_execnz .LBB214_3359
.LBB214_3253:
	s_or_b32 exec_lo, exec_lo, s0
	s_and_saveexec_b32 s0, vcc_lo
	s_cbranch_execnz .LBB214_3360
.LBB214_3254:
	s_or_b32 exec_lo, exec_lo, s0
	s_and_saveexec_b32 s0, vcc_lo
	s_cbranch_execnz .LBB214_3361
.LBB214_3255:
	s_or_b32 exec_lo, exec_lo, s0
	s_and_saveexec_b32 s0, vcc_lo
	s_cbranch_execnz .LBB214_3362
.LBB214_3256:
	s_or_b32 exec_lo, exec_lo, s0
	s_and_saveexec_b32 s0, vcc_lo
	s_cbranch_execnz .LBB214_3363
.LBB214_3257:
	s_or_b32 exec_lo, exec_lo, s0
	s_and_saveexec_b32 s0, vcc_lo
	s_cbranch_execnz .LBB214_3364
.LBB214_3258:
	s_or_b32 exec_lo, exec_lo, s0
	s_and_saveexec_b32 s0, vcc_lo
	s_cbranch_execnz .LBB214_3365
.LBB214_3259:
	s_or_b32 exec_lo, exec_lo, s0
	s_and_saveexec_b32 s0, vcc_lo
	s_cbranch_execnz .LBB214_3366
.LBB214_3260:
	s_or_b32 exec_lo, exec_lo, s0
	s_and_saveexec_b32 s0, vcc_lo
	s_cbranch_execnz .LBB214_3367
.LBB214_3261:
	s_or_b32 exec_lo, exec_lo, s0
	s_and_saveexec_b32 s0, vcc_lo
	s_cbranch_execnz .LBB214_3368
.LBB214_3262:
	s_or_b32 exec_lo, exec_lo, s0
	s_and_saveexec_b32 s0, vcc_lo
	s_cbranch_execnz .LBB214_3369
.LBB214_3263:
	s_or_b32 exec_lo, exec_lo, s0
	s_and_saveexec_b32 s0, vcc_lo
	s_cbranch_execnz .LBB214_3370
.LBB214_3264:
	s_or_b32 exec_lo, exec_lo, s0
	s_and_saveexec_b32 s0, vcc_lo
	s_cbranch_execnz .LBB214_3371
.LBB214_3265:
	s_or_b32 exec_lo, exec_lo, s0
	s_and_saveexec_b32 s0, vcc_lo
	s_cbranch_execnz .LBB214_3372
.LBB214_3266:
	s_or_b32 exec_lo, exec_lo, s0
	s_and_saveexec_b32 s0, vcc_lo
	s_cbranch_execz .LBB214_3268
.LBB214_3267:
	ds_load_b32 v66, v64 offset:752
	s_wait_dscnt 0x0
	v_add_f32_e32 v25, v66, v25
.LBB214_3268:
	s_or_b32 exec_lo, exec_lo, s0
.LBB214_3269:
	s_delay_alu instid0(SALU_CYCLE_1)
	s_or_b32 exec_lo, exec_lo, s1
	scratch_load_b32 v66, off, s32 offset:1596 ; 4-byte Folded Reload
	s_mov_b32 s1, exec_lo
	s_wait_loadcnt 0x0
	s_barrier_signal -1
	s_barrier_wait -1
	v_and_b32_e32 v66, 0x3e7, v66
	s_wait_xcnt 0x0
	s_delay_alu instid0(VALU_DEP_1)
	v_cmpx_eq_u32_e32 32, v66
	s_cbranch_execz .LBB214_3271
; %bb.3270:
	ds_store_2addr_b32 v65, v4, v5 offset1:4
	ds_store_2addr_b32 v65, v2, v3 offset0:8 offset1:12
	ds_store_2addr_b32 v65, v0, v1 offset0:16 offset1:20
	;; [unrolled: 1-line block ×23, first 2 shown]
.LBB214_3271:
	s_or_b32 exec_lo, exec_lo, s1
	scratch_load_b32 v65, off, s32 offset:1596 ; 4-byte Folded Reload
	s_wait_loadcnt_dscnt 0x0
	s_barrier_signal -1
	s_barrier_wait -1
	v_cmp_gt_u32_e64 s0, 32, v65
	s_and_saveexec_b32 s1, s0
	s_cbranch_execz .LBB214_3322
; %bb.3272:
	s_and_saveexec_b32 s2, vcc_lo
	s_cbranch_execnz .LBB214_3373
; %bb.3273:
	s_or_b32 exec_lo, exec_lo, s2
	s_and_saveexec_b32 s2, vcc_lo
	s_cbranch_execnz .LBB214_3374
.LBB214_3274:
	s_or_b32 exec_lo, exec_lo, s2
	s_and_saveexec_b32 s2, vcc_lo
	s_cbranch_execnz .LBB214_3375
.LBB214_3275:
	s_or_b32 exec_lo, exec_lo, s2
	s_and_saveexec_b32 s2, vcc_lo
	s_cbranch_execnz .LBB214_3376
.LBB214_3276:
	s_or_b32 exec_lo, exec_lo, s2
	s_and_saveexec_b32 s2, vcc_lo
	s_cbranch_execnz .LBB214_3377
.LBB214_3277:
	s_or_b32 exec_lo, exec_lo, s2
	s_and_saveexec_b32 s2, vcc_lo
	s_cbranch_execnz .LBB214_3378
.LBB214_3278:
	s_or_b32 exec_lo, exec_lo, s2
	s_and_saveexec_b32 s2, vcc_lo
	s_cbranch_execnz .LBB214_3379
.LBB214_3279:
	s_or_b32 exec_lo, exec_lo, s2
	s_and_saveexec_b32 s2, vcc_lo
	s_cbranch_execnz .LBB214_3380
.LBB214_3280:
	s_or_b32 exec_lo, exec_lo, s2
	s_and_saveexec_b32 s2, vcc_lo
	s_cbranch_execnz .LBB214_3381
.LBB214_3281:
	s_or_b32 exec_lo, exec_lo, s2
	s_and_saveexec_b32 s2, vcc_lo
	s_cbranch_execnz .LBB214_3382
.LBB214_3282:
	s_or_b32 exec_lo, exec_lo, s2
	s_and_saveexec_b32 s2, vcc_lo
	s_cbranch_execnz .LBB214_3383
.LBB214_3283:
	s_or_b32 exec_lo, exec_lo, s2
	s_and_saveexec_b32 s2, vcc_lo
	s_cbranch_execnz .LBB214_3384
.LBB214_3284:
	s_or_b32 exec_lo, exec_lo, s2
	s_and_saveexec_b32 s2, vcc_lo
	s_cbranch_execnz .LBB214_3385
.LBB214_3285:
	s_or_b32 exec_lo, exec_lo, s2
	s_and_saveexec_b32 s2, vcc_lo
	s_cbranch_execnz .LBB214_3386
.LBB214_3286:
	s_or_b32 exec_lo, exec_lo, s2
	s_and_saveexec_b32 s2, vcc_lo
	s_cbranch_execnz .LBB214_3387
.LBB214_3287:
	s_or_b32 exec_lo, exec_lo, s2
	s_and_saveexec_b32 s2, vcc_lo
	s_cbranch_execnz .LBB214_3388
.LBB214_3288:
	s_or_b32 exec_lo, exec_lo, s2
	s_and_saveexec_b32 s2, vcc_lo
	s_cbranch_execnz .LBB214_3389
.LBB214_3289:
	s_or_b32 exec_lo, exec_lo, s2
	s_and_saveexec_b32 s2, vcc_lo
	s_cbranch_execnz .LBB214_3390
.LBB214_3290:
	s_or_b32 exec_lo, exec_lo, s2
	s_and_saveexec_b32 s2, vcc_lo
	s_cbranch_execnz .LBB214_3391
.LBB214_3291:
	s_or_b32 exec_lo, exec_lo, s2
	s_and_saveexec_b32 s2, vcc_lo
	s_cbranch_execnz .LBB214_3392
.LBB214_3292:
	s_or_b32 exec_lo, exec_lo, s2
	s_and_saveexec_b32 s2, vcc_lo
	s_cbranch_execnz .LBB214_3393
.LBB214_3293:
	s_or_b32 exec_lo, exec_lo, s2
	s_and_saveexec_b32 s2, vcc_lo
	s_cbranch_execnz .LBB214_3394
.LBB214_3294:
	s_or_b32 exec_lo, exec_lo, s2
	s_and_saveexec_b32 s2, vcc_lo
	s_cbranch_execnz .LBB214_3395
.LBB214_3295:
	s_or_b32 exec_lo, exec_lo, s2
	s_and_saveexec_b32 s2, vcc_lo
	s_cbranch_execnz .LBB214_3396
.LBB214_3296:
	s_or_b32 exec_lo, exec_lo, s2
	s_and_saveexec_b32 s2, vcc_lo
	s_cbranch_execnz .LBB214_3397
.LBB214_3297:
	s_or_b32 exec_lo, exec_lo, s2
	s_and_saveexec_b32 s2, vcc_lo
	s_cbranch_execnz .LBB214_3398
.LBB214_3298:
	s_or_b32 exec_lo, exec_lo, s2
	s_and_saveexec_b32 s2, vcc_lo
	s_cbranch_execnz .LBB214_3399
.LBB214_3299:
	s_or_b32 exec_lo, exec_lo, s2
	s_and_saveexec_b32 s2, vcc_lo
	s_cbranch_execnz .LBB214_3400
.LBB214_3300:
	s_or_b32 exec_lo, exec_lo, s2
	s_and_saveexec_b32 s2, vcc_lo
	s_cbranch_execnz .LBB214_3401
.LBB214_3301:
	s_or_b32 exec_lo, exec_lo, s2
	s_and_saveexec_b32 s2, vcc_lo
	s_cbranch_execnz .LBB214_3402
.LBB214_3302:
	s_or_b32 exec_lo, exec_lo, s2
	s_and_saveexec_b32 s2, vcc_lo
	s_cbranch_execnz .LBB214_3403
.LBB214_3303:
	s_or_b32 exec_lo, exec_lo, s2
	s_and_saveexec_b32 s2, vcc_lo
	s_cbranch_execnz .LBB214_3404
.LBB214_3304:
	s_or_b32 exec_lo, exec_lo, s2
	s_and_saveexec_b32 s2, vcc_lo
	s_cbranch_execnz .LBB214_3405
.LBB214_3305:
	s_or_b32 exec_lo, exec_lo, s2
	s_and_saveexec_b32 s2, vcc_lo
	s_cbranch_execnz .LBB214_3406
.LBB214_3306:
	s_or_b32 exec_lo, exec_lo, s2
	s_and_saveexec_b32 s2, vcc_lo
	s_cbranch_execnz .LBB214_3407
.LBB214_3307:
	s_or_b32 exec_lo, exec_lo, s2
	s_and_saveexec_b32 s2, vcc_lo
	s_cbranch_execnz .LBB214_3408
.LBB214_3308:
	s_or_b32 exec_lo, exec_lo, s2
	s_and_saveexec_b32 s2, vcc_lo
	s_cbranch_execnz .LBB214_3409
.LBB214_3309:
	s_or_b32 exec_lo, exec_lo, s2
	s_and_saveexec_b32 s2, vcc_lo
	s_cbranch_execnz .LBB214_3410
.LBB214_3310:
	s_or_b32 exec_lo, exec_lo, s2
	s_and_saveexec_b32 s2, vcc_lo
	s_cbranch_execnz .LBB214_3411
.LBB214_3311:
	s_or_b32 exec_lo, exec_lo, s2
	s_and_saveexec_b32 s2, vcc_lo
	s_cbranch_execnz .LBB214_3412
.LBB214_3312:
	s_or_b32 exec_lo, exec_lo, s2
	s_and_saveexec_b32 s2, vcc_lo
	s_cbranch_execnz .LBB214_3413
.LBB214_3313:
	s_or_b32 exec_lo, exec_lo, s2
	s_and_saveexec_b32 s2, vcc_lo
	s_cbranch_execnz .LBB214_3414
.LBB214_3314:
	s_or_b32 exec_lo, exec_lo, s2
	s_and_saveexec_b32 s2, vcc_lo
	s_cbranch_execnz .LBB214_3415
.LBB214_3315:
	s_or_b32 exec_lo, exec_lo, s2
	s_and_saveexec_b32 s2, vcc_lo
	s_cbranch_execnz .LBB214_3416
.LBB214_3316:
	s_or_b32 exec_lo, exec_lo, s2
	s_and_saveexec_b32 s2, vcc_lo
	s_cbranch_execnz .LBB214_3417
.LBB214_3317:
	s_or_b32 exec_lo, exec_lo, s2
	s_and_saveexec_b32 s2, vcc_lo
	s_cbranch_execnz .LBB214_3418
.LBB214_3318:
	s_or_b32 exec_lo, exec_lo, s2
	s_and_saveexec_b32 s2, vcc_lo
	s_cbranch_execnz .LBB214_3419
.LBB214_3319:
	s_or_b32 exec_lo, exec_lo, s2
	s_and_saveexec_b32 s2, vcc_lo
	s_cbranch_execz .LBB214_3321
.LBB214_3320:
	ds_load_b32 v64, v64 offset:752
	s_wait_dscnt 0x0
	v_add_f32_e32 v25, v64, v25
.LBB214_3321:
	s_or_b32 exec_lo, exec_lo, s2
.LBB214_3322:
	s_delay_alu instid0(SALU_CYCLE_1)
	s_or_b32 exec_lo, exec_lo, s1
	s_barrier_signal -1
	s_barrier_wait -1
	s_and_saveexec_b32 s1, s0
	s_cbranch_execz .LBB214_3325
; %bb.3323:
	s_and_b32 exec_lo, exec_lo, vcc_lo
	s_cbranch_execz .LBB214_3325
; %bb.3324:
	s_clause 0x1
	scratch_load_b64 v[64:65], off, s32 offset:2428 th:TH_LOAD_LU
	scratch_load_b32 v66, off, s32 offset:1596 th:TH_LOAD_LU
	s_and_b32 s0, 0xffff, s13
	s_mov_b32 s3, 0
	s_cmp_lg_u32 s0, 0
	v_mov_b32_e32 v67, 0
	s_cselect_b32 s0, -1, 0
	s_delay_alu instid0(SALU_CYCLE_1)
	s_cmp_lg_u32 s0, 0
	s_add_co_ci_u32 s0, s5, 0
	s_bfe_u32 s8, ttmp6, 0x40014
	s_mul_i32 s5, s0, s11
	s_lshr_b32 s2, ttmp7, 16
	s_mul_i32 s5, s5, s12
	s_add_co_i32 s8, s8, 1
	s_mul_i32 s6, s5, 0xc0
	s_bfe_u32 s9, ttmp6, 0x40008
	s_ashr_i32 s7, s6, 31
	s_mul_i32 s4, s4, s0
	s_mul_i32 s0, s2, s8
	s_ashr_i32 s5, s4, 31
	s_add_co_i32 s9, s9, s0
	s_cmp_eq_u32 s10, 0
	s_cselect_b32 s0, s2, s9
	s_delay_alu instid0(SALU_CYCLE_1) | instskip(SKIP_4) | instid1(VALU_DEP_2)
	s_mul_i32 s2, s0, 0x300
	s_wait_loadcnt 0x1
	v_lshl_add_u64 v[64:65], s[6:7], 2, v[64:65]
	s_wait_loadcnt 0x0
	v_lshrrev_b32_e32 v66, 1, v66
	v_lshl_add_u64 v[64:65], s[4:5], 2, v[64:65]
	s_delay_alu instid0(VALU_DEP_2) | instskip(NEXT) | instid1(VALU_DEP_2)
	v_and_b32_e32 v66, 0x1fc, v66
	v_add_nc_u64_e32 v[64:65], s[2:3], v[64:65]
	s_delay_alu instid0(VALU_DEP_1)
	v_add_nc_u64_e32 v[64:65], v[64:65], v[66:67]
	s_clause 0x2f
	flat_store_b32 v[64:65], v4
	flat_store_b32 v[64:65], v5 offset:16
	flat_store_b32 v[64:65], v2 offset:32
	;; [unrolled: 1-line block ×47, first 2 shown]
.LBB214_3325:
	s_wait_xcnt 0x0
	s_or_b32 exec_lo, exec_lo, s1
	s_clause 0x2f
	scratch_load_b32 v127, off, s32
	scratch_load_b32 v126, off, s32 offset:4
	scratch_load_b32 v125, off, s32 offset:8
	;; [unrolled: 1-line block ×47, first 2 shown]
	s_wait_loadcnt_dscnt 0x0
	s_set_pc_i64 s[30:31]
.LBB214_3326:
	ds_load_b32 v66, v64
	s_wait_dscnt 0x0
	v_add_f32_e32 v4, v66, v4
	s_or_b32 exec_lo, exec_lo, s0
	s_and_saveexec_b32 s0, vcc_lo
	s_cbranch_execz .LBB214_3221
.LBB214_3327:
	ds_load_b32 v66, v64 offset:16
	s_wait_dscnt 0x0
	v_add_f32_e32 v5, v66, v5
	s_or_b32 exec_lo, exec_lo, s0
	s_and_saveexec_b32 s0, vcc_lo
	s_cbranch_execz .LBB214_3222
.LBB214_3328:
	ds_load_b32 v66, v64 offset:32
	s_wait_dscnt 0x0
	v_add_f32_e32 v2, v66, v2
	s_or_b32 exec_lo, exec_lo, s0
	s_and_saveexec_b32 s0, vcc_lo
	s_cbranch_execz .LBB214_3223
.LBB214_3329:
	ds_load_b32 v66, v64 offset:48
	s_wait_dscnt 0x0
	v_add_f32_e32 v3, v66, v3
	s_or_b32 exec_lo, exec_lo, s0
	s_and_saveexec_b32 s0, vcc_lo
	s_cbranch_execz .LBB214_3224
.LBB214_3330:
	ds_load_b32 v66, v64 offset:64
	s_wait_dscnt 0x0
	v_add_f32_e32 v0, v66, v0
	s_or_b32 exec_lo, exec_lo, s0
	s_and_saveexec_b32 s0, vcc_lo
	s_cbranch_execz .LBB214_3225
.LBB214_3331:
	ds_load_b32 v66, v64 offset:80
	s_wait_dscnt 0x0
	v_add_f32_e32 v1, v66, v1
	s_or_b32 exec_lo, exec_lo, s0
	s_and_saveexec_b32 s0, vcc_lo
	s_cbranch_execz .LBB214_3226
.LBB214_3332:
	ds_load_b32 v66, v64 offset:96
	s_wait_dscnt 0x0
	v_add_f32_e32 v6, v66, v6
	s_or_b32 exec_lo, exec_lo, s0
	s_and_saveexec_b32 s0, vcc_lo
	s_cbranch_execz .LBB214_3227
.LBB214_3333:
	ds_load_b32 v66, v64 offset:112
	s_wait_dscnt 0x0
	v_add_f32_e32 v7, v66, v7
	s_or_b32 exec_lo, exec_lo, s0
	s_and_saveexec_b32 s0, vcc_lo
	s_cbranch_execz .LBB214_3228
.LBB214_3334:
	ds_load_b32 v66, v64 offset:128
	s_wait_dscnt 0x0
	v_add_f32_e32 v8, v66, v8
	s_or_b32 exec_lo, exec_lo, s0
	s_and_saveexec_b32 s0, vcc_lo
	s_cbranch_execz .LBB214_3229
.LBB214_3335:
	ds_load_b32 v66, v64 offset:144
	s_wait_dscnt 0x0
	v_add_f32_e32 v9, v66, v9
	s_or_b32 exec_lo, exec_lo, s0
	s_and_saveexec_b32 s0, vcc_lo
	s_cbranch_execz .LBB214_3230
.LBB214_3336:
	ds_load_b32 v66, v64 offset:160
	s_wait_dscnt 0x0
	v_add_f32_e32 v10, v66, v10
	s_or_b32 exec_lo, exec_lo, s0
	s_and_saveexec_b32 s0, vcc_lo
	s_cbranch_execz .LBB214_3231
.LBB214_3337:
	ds_load_b32 v66, v64 offset:176
	s_wait_dscnt 0x0
	v_add_f32_e32 v11, v66, v11
	s_or_b32 exec_lo, exec_lo, s0
	s_and_saveexec_b32 s0, vcc_lo
	s_cbranch_execz .LBB214_3232
.LBB214_3338:
	ds_load_b32 v66, v64 offset:192
	s_wait_dscnt 0x0
	v_add_f32_e32 v14, v66, v14
	s_or_b32 exec_lo, exec_lo, s0
	s_and_saveexec_b32 s0, vcc_lo
	s_cbranch_execz .LBB214_3233
.LBB214_3339:
	ds_load_b32 v66, v64 offset:208
	s_wait_dscnt 0x0
	v_add_f32_e32 v15, v66, v15
	s_or_b32 exec_lo, exec_lo, s0
	s_and_saveexec_b32 s0, vcc_lo
	s_cbranch_execz .LBB214_3234
.LBB214_3340:
	ds_load_b32 v66, v64 offset:224
	s_wait_dscnt 0x0
	v_add_f32_e32 v12, v66, v12
	s_or_b32 exec_lo, exec_lo, s0
	s_and_saveexec_b32 s0, vcc_lo
	s_cbranch_execz .LBB214_3235
.LBB214_3341:
	ds_load_b32 v66, v64 offset:240
	s_wait_dscnt 0x0
	v_add_f32_e32 v13, v66, v13
	s_or_b32 exec_lo, exec_lo, s0
	s_and_saveexec_b32 s0, vcc_lo
	s_cbranch_execz .LBB214_3236
.LBB214_3342:
	ds_load_b32 v66, v64 offset:256
	s_wait_dscnt 0x0
	v_add_f32_e32 v54, v66, v54
	s_or_b32 exec_lo, exec_lo, s0
	s_and_saveexec_b32 s0, vcc_lo
	s_cbranch_execz .LBB214_3237
.LBB214_3343:
	ds_load_b32 v66, v64 offset:272
	s_wait_dscnt 0x0
	v_add_f32_e32 v55, v66, v55
	s_or_b32 exec_lo, exec_lo, s0
	s_and_saveexec_b32 s0, vcc_lo
	s_cbranch_execz .LBB214_3238
.LBB214_3344:
	ds_load_b32 v66, v64 offset:288
	s_wait_dscnt 0x0
	v_add_f32_e32 v52, v66, v52
	s_or_b32 exec_lo, exec_lo, s0
	s_and_saveexec_b32 s0, vcc_lo
	s_cbranch_execz .LBB214_3239
.LBB214_3345:
	ds_load_b32 v66, v64 offset:304
	s_wait_dscnt 0x0
	v_add_f32_e32 v53, v66, v53
	s_or_b32 exec_lo, exec_lo, s0
	s_and_saveexec_b32 s0, vcc_lo
	s_cbranch_execz .LBB214_3240
.LBB214_3346:
	ds_load_b32 v66, v64 offset:320
	s_wait_dscnt 0x0
	v_add_f32_e32 v50, v66, v50
	s_or_b32 exec_lo, exec_lo, s0
	s_and_saveexec_b32 s0, vcc_lo
	s_cbranch_execz .LBB214_3241
.LBB214_3347:
	ds_load_b32 v66, v64 offset:336
	s_wait_dscnt 0x0
	v_add_f32_e32 v51, v66, v51
	s_or_b32 exec_lo, exec_lo, s0
	s_and_saveexec_b32 s0, vcc_lo
	s_cbranch_execz .LBB214_3242
.LBB214_3348:
	ds_load_b32 v66, v64 offset:352
	s_wait_dscnt 0x0
	v_add_f32_e32 v48, v66, v48
	s_or_b32 exec_lo, exec_lo, s0
	s_and_saveexec_b32 s0, vcc_lo
	s_cbranch_execz .LBB214_3243
.LBB214_3349:
	ds_load_b32 v66, v64 offset:368
	s_wait_dscnt 0x0
	v_add_f32_e32 v49, v66, v49
	s_or_b32 exec_lo, exec_lo, s0
	s_and_saveexec_b32 s0, vcc_lo
	s_cbranch_execz .LBB214_3244
.LBB214_3350:
	ds_load_b32 v66, v64 offset:384
	s_wait_dscnt 0x0
	v_add_f32_e32 v38, v66, v38
	s_or_b32 exec_lo, exec_lo, s0
	s_and_saveexec_b32 s0, vcc_lo
	s_cbranch_execz .LBB214_3245
.LBB214_3351:
	ds_load_b32 v66, v64 offset:400
	s_wait_dscnt 0x0
	v_add_f32_e32 v39, v66, v39
	s_or_b32 exec_lo, exec_lo, s0
	s_and_saveexec_b32 s0, vcc_lo
	s_cbranch_execz .LBB214_3246
.LBB214_3352:
	ds_load_b32 v66, v64 offset:416
	s_wait_dscnt 0x0
	v_add_f32_e32 v36, v66, v36
	s_or_b32 exec_lo, exec_lo, s0
	s_and_saveexec_b32 s0, vcc_lo
	s_cbranch_execz .LBB214_3247
.LBB214_3353:
	ds_load_b32 v66, v64 offset:432
	s_wait_dscnt 0x0
	v_add_f32_e32 v37, v66, v37
	s_or_b32 exec_lo, exec_lo, s0
	s_and_saveexec_b32 s0, vcc_lo
	s_cbranch_execz .LBB214_3248
.LBB214_3354:
	ds_load_b32 v66, v64 offset:448
	s_wait_dscnt 0x0
	v_add_f32_e32 v34, v66, v34
	s_or_b32 exec_lo, exec_lo, s0
	s_and_saveexec_b32 s0, vcc_lo
	s_cbranch_execz .LBB214_3249
.LBB214_3355:
	ds_load_b32 v66, v64 offset:464
	s_wait_dscnt 0x0
	v_add_f32_e32 v35, v66, v35
	s_or_b32 exec_lo, exec_lo, s0
	s_and_saveexec_b32 s0, vcc_lo
	s_cbranch_execz .LBB214_3250
.LBB214_3356:
	ds_load_b32 v66, v64 offset:480
	s_wait_dscnt 0x0
	v_add_f32_e32 v32, v66, v32
	s_or_b32 exec_lo, exec_lo, s0
	s_and_saveexec_b32 s0, vcc_lo
	s_cbranch_execz .LBB214_3251
.LBB214_3357:
	ds_load_b32 v66, v64 offset:496
	s_wait_dscnt 0x0
	v_add_f32_e32 v33, v66, v33
	s_or_b32 exec_lo, exec_lo, s0
	s_and_saveexec_b32 s0, vcc_lo
	s_cbranch_execz .LBB214_3252
.LBB214_3358:
	ds_load_b32 v66, v64 offset:512
	s_wait_dscnt 0x0
	v_add_f32_e32 v30, v66, v30
	s_or_b32 exec_lo, exec_lo, s0
	s_and_saveexec_b32 s0, vcc_lo
	s_cbranch_execz .LBB214_3253
.LBB214_3359:
	ds_load_b32 v66, v64 offset:528
	s_wait_dscnt 0x0
	v_add_f32_e32 v31, v66, v31
	s_or_b32 exec_lo, exec_lo, s0
	s_and_saveexec_b32 s0, vcc_lo
	s_cbranch_execz .LBB214_3254
.LBB214_3360:
	ds_load_b32 v66, v64 offset:544
	s_wait_dscnt 0x0
	v_add_f32_e32 v28, v66, v28
	s_or_b32 exec_lo, exec_lo, s0
	s_and_saveexec_b32 s0, vcc_lo
	s_cbranch_execz .LBB214_3255
.LBB214_3361:
	ds_load_b32 v66, v64 offset:560
	s_wait_dscnt 0x0
	v_add_f32_e32 v29, v66, v29
	s_or_b32 exec_lo, exec_lo, s0
	s_and_saveexec_b32 s0, vcc_lo
	s_cbranch_execz .LBB214_3256
.LBB214_3362:
	ds_load_b32 v66, v64 offset:576
	s_wait_dscnt 0x0
	v_add_f32_e32 v26, v66, v26
	s_or_b32 exec_lo, exec_lo, s0
	s_and_saveexec_b32 s0, vcc_lo
	s_cbranch_execz .LBB214_3257
.LBB214_3363:
	ds_load_b32 v66, v64 offset:592
	s_wait_dscnt 0x0
	v_add_f32_e32 v27, v66, v27
	s_or_b32 exec_lo, exec_lo, s0
	s_and_saveexec_b32 s0, vcc_lo
	s_cbranch_execz .LBB214_3258
.LBB214_3364:
	ds_load_b32 v66, v64 offset:608
	s_wait_dscnt 0x0
	v_add_f32_e32 v22, v66, v22
	s_or_b32 exec_lo, exec_lo, s0
	s_and_saveexec_b32 s0, vcc_lo
	s_cbranch_execz .LBB214_3259
.LBB214_3365:
	ds_load_b32 v66, v64 offset:624
	s_wait_dscnt 0x0
	v_add_f32_e32 v23, v66, v23
	s_or_b32 exec_lo, exec_lo, s0
	s_and_saveexec_b32 s0, vcc_lo
	s_cbranch_execz .LBB214_3260
.LBB214_3366:
	ds_load_b32 v66, v64 offset:640
	s_wait_dscnt 0x0
	v_add_f32_e32 v20, v66, v20
	s_or_b32 exec_lo, exec_lo, s0
	s_and_saveexec_b32 s0, vcc_lo
	s_cbranch_execz .LBB214_3261
.LBB214_3367:
	ds_load_b32 v66, v64 offset:656
	s_wait_dscnt 0x0
	v_add_f32_e32 v21, v66, v21
	s_or_b32 exec_lo, exec_lo, s0
	s_and_saveexec_b32 s0, vcc_lo
	s_cbranch_execz .LBB214_3262
.LBB214_3368:
	ds_load_b32 v66, v64 offset:672
	s_wait_dscnt 0x0
	v_add_f32_e32 v16, v66, v16
	s_or_b32 exec_lo, exec_lo, s0
	s_and_saveexec_b32 s0, vcc_lo
	s_cbranch_execz .LBB214_3263
.LBB214_3369:
	ds_load_b32 v66, v64 offset:688
	s_wait_dscnt 0x0
	v_add_f32_e32 v17, v66, v17
	s_or_b32 exec_lo, exec_lo, s0
	s_and_saveexec_b32 s0, vcc_lo
	s_cbranch_execz .LBB214_3264
.LBB214_3370:
	ds_load_b32 v66, v64 offset:704
	s_wait_dscnt 0x0
	v_add_f32_e32 v18, v66, v18
	s_or_b32 exec_lo, exec_lo, s0
	s_and_saveexec_b32 s0, vcc_lo
	s_cbranch_execz .LBB214_3265
.LBB214_3371:
	ds_load_b32 v66, v64 offset:720
	s_wait_dscnt 0x0
	v_add_f32_e32 v19, v66, v19
	s_or_b32 exec_lo, exec_lo, s0
	s_and_saveexec_b32 s0, vcc_lo
	s_cbranch_execz .LBB214_3266
.LBB214_3372:
	ds_load_b32 v66, v64 offset:736
	s_wait_dscnt 0x0
	v_add_f32_e32 v24, v66, v24
	s_or_b32 exec_lo, exec_lo, s0
	s_and_saveexec_b32 s0, vcc_lo
	s_cbranch_execnz .LBB214_3267
	s_branch .LBB214_3268
.LBB214_3373:
	ds_load_b32 v65, v64
	s_wait_dscnt 0x0
	v_add_f32_e32 v4, v65, v4
	s_or_b32 exec_lo, exec_lo, s2
	s_and_saveexec_b32 s2, vcc_lo
	s_cbranch_execz .LBB214_3274
.LBB214_3374:
	ds_load_b32 v65, v64 offset:16
	s_wait_dscnt 0x0
	v_add_f32_e32 v5, v65, v5
	s_or_b32 exec_lo, exec_lo, s2
	s_and_saveexec_b32 s2, vcc_lo
	s_cbranch_execz .LBB214_3275
.LBB214_3375:
	ds_load_b32 v65, v64 offset:32
	s_wait_dscnt 0x0
	v_add_f32_e32 v2, v65, v2
	s_or_b32 exec_lo, exec_lo, s2
	s_and_saveexec_b32 s2, vcc_lo
	s_cbranch_execz .LBB214_3276
.LBB214_3376:
	ds_load_b32 v65, v64 offset:48
	s_wait_dscnt 0x0
	v_add_f32_e32 v3, v65, v3
	s_or_b32 exec_lo, exec_lo, s2
	s_and_saveexec_b32 s2, vcc_lo
	s_cbranch_execz .LBB214_3277
.LBB214_3377:
	ds_load_b32 v65, v64 offset:64
	s_wait_dscnt 0x0
	v_add_f32_e32 v0, v65, v0
	s_or_b32 exec_lo, exec_lo, s2
	s_and_saveexec_b32 s2, vcc_lo
	s_cbranch_execz .LBB214_3278
.LBB214_3378:
	ds_load_b32 v65, v64 offset:80
	s_wait_dscnt 0x0
	v_add_f32_e32 v1, v65, v1
	s_or_b32 exec_lo, exec_lo, s2
	s_and_saveexec_b32 s2, vcc_lo
	s_cbranch_execz .LBB214_3279
.LBB214_3379:
	ds_load_b32 v65, v64 offset:96
	s_wait_dscnt 0x0
	v_add_f32_e32 v6, v65, v6
	s_or_b32 exec_lo, exec_lo, s2
	s_and_saveexec_b32 s2, vcc_lo
	s_cbranch_execz .LBB214_3280
.LBB214_3380:
	ds_load_b32 v65, v64 offset:112
	s_wait_dscnt 0x0
	v_add_f32_e32 v7, v65, v7
	s_or_b32 exec_lo, exec_lo, s2
	s_and_saveexec_b32 s2, vcc_lo
	s_cbranch_execz .LBB214_3281
.LBB214_3381:
	ds_load_b32 v65, v64 offset:128
	s_wait_dscnt 0x0
	v_add_f32_e32 v8, v65, v8
	s_or_b32 exec_lo, exec_lo, s2
	s_and_saveexec_b32 s2, vcc_lo
	s_cbranch_execz .LBB214_3282
.LBB214_3382:
	ds_load_b32 v65, v64 offset:144
	s_wait_dscnt 0x0
	v_add_f32_e32 v9, v65, v9
	s_or_b32 exec_lo, exec_lo, s2
	s_and_saveexec_b32 s2, vcc_lo
	s_cbranch_execz .LBB214_3283
.LBB214_3383:
	ds_load_b32 v65, v64 offset:160
	s_wait_dscnt 0x0
	v_add_f32_e32 v10, v65, v10
	s_or_b32 exec_lo, exec_lo, s2
	s_and_saveexec_b32 s2, vcc_lo
	s_cbranch_execz .LBB214_3284
.LBB214_3384:
	ds_load_b32 v65, v64 offset:176
	s_wait_dscnt 0x0
	v_add_f32_e32 v11, v65, v11
	s_or_b32 exec_lo, exec_lo, s2
	s_and_saveexec_b32 s2, vcc_lo
	s_cbranch_execz .LBB214_3285
.LBB214_3385:
	ds_load_b32 v65, v64 offset:192
	s_wait_dscnt 0x0
	v_add_f32_e32 v14, v65, v14
	s_or_b32 exec_lo, exec_lo, s2
	s_and_saveexec_b32 s2, vcc_lo
	s_cbranch_execz .LBB214_3286
.LBB214_3386:
	ds_load_b32 v65, v64 offset:208
	s_wait_dscnt 0x0
	v_add_f32_e32 v15, v65, v15
	s_or_b32 exec_lo, exec_lo, s2
	s_and_saveexec_b32 s2, vcc_lo
	s_cbranch_execz .LBB214_3287
.LBB214_3387:
	ds_load_b32 v65, v64 offset:224
	s_wait_dscnt 0x0
	v_add_f32_e32 v12, v65, v12
	s_or_b32 exec_lo, exec_lo, s2
	s_and_saveexec_b32 s2, vcc_lo
	s_cbranch_execz .LBB214_3288
.LBB214_3388:
	ds_load_b32 v65, v64 offset:240
	s_wait_dscnt 0x0
	v_add_f32_e32 v13, v65, v13
	s_or_b32 exec_lo, exec_lo, s2
	s_and_saveexec_b32 s2, vcc_lo
	s_cbranch_execz .LBB214_3289
.LBB214_3389:
	ds_load_b32 v65, v64 offset:256
	s_wait_dscnt 0x0
	v_add_f32_e32 v54, v65, v54
	s_or_b32 exec_lo, exec_lo, s2
	s_and_saveexec_b32 s2, vcc_lo
	s_cbranch_execz .LBB214_3290
.LBB214_3390:
	ds_load_b32 v65, v64 offset:272
	s_wait_dscnt 0x0
	v_add_f32_e32 v55, v65, v55
	s_or_b32 exec_lo, exec_lo, s2
	s_and_saveexec_b32 s2, vcc_lo
	s_cbranch_execz .LBB214_3291
.LBB214_3391:
	ds_load_b32 v65, v64 offset:288
	s_wait_dscnt 0x0
	v_add_f32_e32 v52, v65, v52
	s_or_b32 exec_lo, exec_lo, s2
	s_and_saveexec_b32 s2, vcc_lo
	s_cbranch_execz .LBB214_3292
.LBB214_3392:
	ds_load_b32 v65, v64 offset:304
	s_wait_dscnt 0x0
	v_add_f32_e32 v53, v65, v53
	s_or_b32 exec_lo, exec_lo, s2
	s_and_saveexec_b32 s2, vcc_lo
	s_cbranch_execz .LBB214_3293
.LBB214_3393:
	ds_load_b32 v65, v64 offset:320
	s_wait_dscnt 0x0
	v_add_f32_e32 v50, v65, v50
	s_or_b32 exec_lo, exec_lo, s2
	s_and_saveexec_b32 s2, vcc_lo
	s_cbranch_execz .LBB214_3294
.LBB214_3394:
	ds_load_b32 v65, v64 offset:336
	s_wait_dscnt 0x0
	v_add_f32_e32 v51, v65, v51
	s_or_b32 exec_lo, exec_lo, s2
	s_and_saveexec_b32 s2, vcc_lo
	s_cbranch_execz .LBB214_3295
.LBB214_3395:
	ds_load_b32 v65, v64 offset:352
	s_wait_dscnt 0x0
	v_add_f32_e32 v48, v65, v48
	s_or_b32 exec_lo, exec_lo, s2
	s_and_saveexec_b32 s2, vcc_lo
	s_cbranch_execz .LBB214_3296
.LBB214_3396:
	ds_load_b32 v65, v64 offset:368
	s_wait_dscnt 0x0
	v_add_f32_e32 v49, v65, v49
	s_or_b32 exec_lo, exec_lo, s2
	s_and_saveexec_b32 s2, vcc_lo
	s_cbranch_execz .LBB214_3297
.LBB214_3397:
	ds_load_b32 v65, v64 offset:384
	s_wait_dscnt 0x0
	v_add_f32_e32 v38, v65, v38
	s_or_b32 exec_lo, exec_lo, s2
	s_and_saveexec_b32 s2, vcc_lo
	s_cbranch_execz .LBB214_3298
.LBB214_3398:
	ds_load_b32 v65, v64 offset:400
	s_wait_dscnt 0x0
	v_add_f32_e32 v39, v65, v39
	s_or_b32 exec_lo, exec_lo, s2
	s_and_saveexec_b32 s2, vcc_lo
	s_cbranch_execz .LBB214_3299
.LBB214_3399:
	ds_load_b32 v65, v64 offset:416
	s_wait_dscnt 0x0
	v_add_f32_e32 v36, v65, v36
	s_or_b32 exec_lo, exec_lo, s2
	s_and_saveexec_b32 s2, vcc_lo
	s_cbranch_execz .LBB214_3300
.LBB214_3400:
	ds_load_b32 v65, v64 offset:432
	s_wait_dscnt 0x0
	v_add_f32_e32 v37, v65, v37
	s_or_b32 exec_lo, exec_lo, s2
	s_and_saveexec_b32 s2, vcc_lo
	s_cbranch_execz .LBB214_3301
.LBB214_3401:
	ds_load_b32 v65, v64 offset:448
	s_wait_dscnt 0x0
	v_add_f32_e32 v34, v65, v34
	s_or_b32 exec_lo, exec_lo, s2
	s_and_saveexec_b32 s2, vcc_lo
	s_cbranch_execz .LBB214_3302
.LBB214_3402:
	ds_load_b32 v65, v64 offset:464
	s_wait_dscnt 0x0
	v_add_f32_e32 v35, v65, v35
	s_or_b32 exec_lo, exec_lo, s2
	s_and_saveexec_b32 s2, vcc_lo
	s_cbranch_execz .LBB214_3303
.LBB214_3403:
	ds_load_b32 v65, v64 offset:480
	s_wait_dscnt 0x0
	v_add_f32_e32 v32, v65, v32
	s_or_b32 exec_lo, exec_lo, s2
	s_and_saveexec_b32 s2, vcc_lo
	s_cbranch_execz .LBB214_3304
.LBB214_3404:
	ds_load_b32 v65, v64 offset:496
	s_wait_dscnt 0x0
	v_add_f32_e32 v33, v65, v33
	s_or_b32 exec_lo, exec_lo, s2
	s_and_saveexec_b32 s2, vcc_lo
	s_cbranch_execz .LBB214_3305
.LBB214_3405:
	ds_load_b32 v65, v64 offset:512
	s_wait_dscnt 0x0
	v_add_f32_e32 v30, v65, v30
	s_or_b32 exec_lo, exec_lo, s2
	s_and_saveexec_b32 s2, vcc_lo
	s_cbranch_execz .LBB214_3306
.LBB214_3406:
	ds_load_b32 v65, v64 offset:528
	s_wait_dscnt 0x0
	v_add_f32_e32 v31, v65, v31
	s_or_b32 exec_lo, exec_lo, s2
	s_and_saveexec_b32 s2, vcc_lo
	s_cbranch_execz .LBB214_3307
.LBB214_3407:
	ds_load_b32 v65, v64 offset:544
	s_wait_dscnt 0x0
	v_add_f32_e32 v28, v65, v28
	s_or_b32 exec_lo, exec_lo, s2
	s_and_saveexec_b32 s2, vcc_lo
	s_cbranch_execz .LBB214_3308
.LBB214_3408:
	ds_load_b32 v65, v64 offset:560
	s_wait_dscnt 0x0
	v_add_f32_e32 v29, v65, v29
	s_or_b32 exec_lo, exec_lo, s2
	s_and_saveexec_b32 s2, vcc_lo
	s_cbranch_execz .LBB214_3309
.LBB214_3409:
	ds_load_b32 v65, v64 offset:576
	s_wait_dscnt 0x0
	v_add_f32_e32 v26, v65, v26
	s_or_b32 exec_lo, exec_lo, s2
	s_and_saveexec_b32 s2, vcc_lo
	s_cbranch_execz .LBB214_3310
.LBB214_3410:
	ds_load_b32 v65, v64 offset:592
	s_wait_dscnt 0x0
	v_add_f32_e32 v27, v65, v27
	s_or_b32 exec_lo, exec_lo, s2
	s_and_saveexec_b32 s2, vcc_lo
	s_cbranch_execz .LBB214_3311
.LBB214_3411:
	ds_load_b32 v65, v64 offset:608
	s_wait_dscnt 0x0
	v_add_f32_e32 v22, v65, v22
	s_or_b32 exec_lo, exec_lo, s2
	s_and_saveexec_b32 s2, vcc_lo
	s_cbranch_execz .LBB214_3312
.LBB214_3412:
	ds_load_b32 v65, v64 offset:624
	s_wait_dscnt 0x0
	v_add_f32_e32 v23, v65, v23
	s_or_b32 exec_lo, exec_lo, s2
	s_and_saveexec_b32 s2, vcc_lo
	s_cbranch_execz .LBB214_3313
.LBB214_3413:
	ds_load_b32 v65, v64 offset:640
	s_wait_dscnt 0x0
	v_add_f32_e32 v20, v65, v20
	s_or_b32 exec_lo, exec_lo, s2
	s_and_saveexec_b32 s2, vcc_lo
	s_cbranch_execz .LBB214_3314
.LBB214_3414:
	ds_load_b32 v65, v64 offset:656
	s_wait_dscnt 0x0
	v_add_f32_e32 v21, v65, v21
	s_or_b32 exec_lo, exec_lo, s2
	s_and_saveexec_b32 s2, vcc_lo
	s_cbranch_execz .LBB214_3315
.LBB214_3415:
	ds_load_b32 v65, v64 offset:672
	s_wait_dscnt 0x0
	v_add_f32_e32 v16, v65, v16
	s_or_b32 exec_lo, exec_lo, s2
	s_and_saveexec_b32 s2, vcc_lo
	s_cbranch_execz .LBB214_3316
.LBB214_3416:
	ds_load_b32 v65, v64 offset:688
	s_wait_dscnt 0x0
	v_add_f32_e32 v17, v65, v17
	s_or_b32 exec_lo, exec_lo, s2
	s_and_saveexec_b32 s2, vcc_lo
	s_cbranch_execz .LBB214_3317
.LBB214_3417:
	ds_load_b32 v65, v64 offset:704
	s_wait_dscnt 0x0
	v_add_f32_e32 v18, v65, v18
	s_or_b32 exec_lo, exec_lo, s2
	s_and_saveexec_b32 s2, vcc_lo
	s_cbranch_execz .LBB214_3318
.LBB214_3418:
	ds_load_b32 v65, v64 offset:720
	s_wait_dscnt 0x0
	v_add_f32_e32 v19, v65, v19
	s_or_b32 exec_lo, exec_lo, s2
	s_and_saveexec_b32 s2, vcc_lo
	s_cbranch_execz .LBB214_3319
.LBB214_3419:
	ds_load_b32 v65, v64 offset:736
	s_wait_dscnt 0x0
	v_add_f32_e32 v24, v65, v24
	s_or_b32 exec_lo, exec_lo, s2
	s_and_saveexec_b32 s2, vcc_lo
	s_cbranch_execnz .LBB214_3320
	s_branch .LBB214_3321
.Lfunc_end214:
	.size	_ZN4vllm22paged_attention_kernelIfhLi192ELi32ELi128ELNS_18Fp8KVCacheDataTypeE1ELb1ELi0EEEvPfS2_PT_PKS3_PKT0_S9_ifPKiSB_iPKfiiiSD_SD_iiiii, .Lfunc_end214-_ZN4vllm22paged_attention_kernelIfhLi192ELi32ELi128ELNS_18Fp8KVCacheDataTypeE1ELb1ELi0EEEvPfS2_PT_PKS3_PKT0_S9_ifPKiSB_iPKfiiiSD_SD_iiiii
                                        ; -- End function
	.set .L_ZN4vllm22paged_attention_kernelIfhLi192ELi32ELi128ELNS_18Fp8KVCacheDataTypeE1ELb1ELi0EEEvPfS2_PT_PKS3_PKT0_S9_ifPKiSB_iPKfiiiSD_SD_iiiii.num_vgpr, 128
	.set .L_ZN4vllm22paged_attention_kernelIfhLi192ELi32ELi128ELNS_18Fp8KVCacheDataTypeE1ELb1ELi0EEEvPfS2_PT_PKS3_PKT0_S9_ifPKiSB_iPKfiiiSD_SD_iiiii.num_agpr, 0
	.set .L_ZN4vllm22paged_attention_kernelIfhLi192ELi32ELi128ELNS_18Fp8KVCacheDataTypeE1ELb1ELi0EEEvPfS2_PT_PKS3_PKT0_S9_ifPKiSB_iPKfiiiSD_SD_iiiii.numbered_sgpr, 33
	.set .L_ZN4vllm22paged_attention_kernelIfhLi192ELi32ELi128ELNS_18Fp8KVCacheDataTypeE1ELb1ELi0EEEvPfS2_PT_PKS3_PKT0_S9_ifPKiSB_iPKfiiiSD_SD_iiiii.num_named_barrier, 0
	.set .L_ZN4vllm22paged_attention_kernelIfhLi192ELi32ELi128ELNS_18Fp8KVCacheDataTypeE1ELb1ELi0EEEvPfS2_PT_PKS3_PKT0_S9_ifPKiSB_iPKfiiiSD_SD_iiiii.private_seg_size, 2468
	.set .L_ZN4vllm22paged_attention_kernelIfhLi192ELi32ELi128ELNS_18Fp8KVCacheDataTypeE1ELb1ELi0EEEvPfS2_PT_PKS3_PKT0_S9_ifPKiSB_iPKfiiiSD_SD_iiiii.uses_vcc, 1
	.set .L_ZN4vllm22paged_attention_kernelIfhLi192ELi32ELi128ELNS_18Fp8KVCacheDataTypeE1ELb1ELi0EEEvPfS2_PT_PKS3_PKT0_S9_ifPKiSB_iPKfiiiSD_SD_iiiii.uses_flat_scratch, 1
	.set .L_ZN4vllm22paged_attention_kernelIfhLi192ELi32ELi128ELNS_18Fp8KVCacheDataTypeE1ELb1ELi0EEEvPfS2_PT_PKS3_PKT0_S9_ifPKiSB_iPKfiiiSD_SD_iiiii.has_dyn_sized_stack, 0
	.set .L_ZN4vllm22paged_attention_kernelIfhLi192ELi32ELi128ELNS_18Fp8KVCacheDataTypeE1ELb1ELi0EEEvPfS2_PT_PKS3_PKT0_S9_ifPKiSB_iPKfiiiSD_SD_iiiii.has_recursion, 0
	.set .L_ZN4vllm22paged_attention_kernelIfhLi192ELi32ELi128ELNS_18Fp8KVCacheDataTypeE1ELb1ELi0EEEvPfS2_PT_PKS3_PKT0_S9_ifPKiSB_iPKfiiiSD_SD_iiiii.has_indirect_call, 0
	.section	.AMDGPU.csdata,"",@progbits
; Function info:
; codeLenInByte = 140608
; TotalNumSgprs: 35
; NumVgprs: 128
; ScratchSize: 2468
; MemoryBound: 0
	.section	.text._ZN4vllm25paged_attention_v1_kernelIfhLi192ELi32ELi128ELNS_18Fp8KVCacheDataTypeE1ELb1EEEvPT_PKS2_PKT0_S8_ifPKiSA_iPKfiiiSC_SC_iiiii,"axG",@progbits,_ZN4vllm25paged_attention_v1_kernelIfhLi192ELi32ELi128ELNS_18Fp8KVCacheDataTypeE1ELb1EEEvPT_PKS2_PKT0_S8_ifPKiSA_iPKfiiiSC_SC_iiiii,comdat
	.protected	_ZN4vllm25paged_attention_v1_kernelIfhLi192ELi32ELi128ELNS_18Fp8KVCacheDataTypeE1ELb1EEEvPT_PKS2_PKT0_S8_ifPKiSA_iPKfiiiSC_SC_iiiii ; -- Begin function _ZN4vllm25paged_attention_v1_kernelIfhLi192ELi32ELi128ELNS_18Fp8KVCacheDataTypeE1ELb1EEEvPT_PKS2_PKT0_S8_ifPKiSA_iPKfiiiSC_SC_iiiii
	.globl	_ZN4vllm25paged_attention_v1_kernelIfhLi192ELi32ELi128ELNS_18Fp8KVCacheDataTypeE1ELb1EEEvPT_PKS2_PKT0_S8_ifPKiSA_iPKfiiiSC_SC_iiiii
	.p2align	8
	.type	_ZN4vllm25paged_attention_v1_kernelIfhLi192ELi32ELi128ELNS_18Fp8KVCacheDataTypeE1ELb1EEEvPT_PKS2_PKT0_S8_ifPKiSA_iPKfiiiSC_SC_iiiii,@function
_ZN4vllm25paged_attention_v1_kernelIfhLi192ELi32ELi128ELNS_18Fp8KVCacheDataTypeE1ELb1EEEvPT_PKS2_PKT0_S8_ifPKiSA_iPKfiiiSC_SC_iiiii: ; @_ZN4vllm25paged_attention_v1_kernelIfhLi192ELi32ELi128ELNS_18Fp8KVCacheDataTypeE1ELb1EEEvPT_PKS2_PKT0_S8_ifPKiSA_iPKfiiiSC_SC_iiiii
; %bb.0:
	s_clause 0x6
	s_load_b256 s[12:19], s[0:1], 0x0
	s_load_b128 s[4:7], s[0:1], 0x20
	s_load_b96 s[28:30], s[0:1], 0x30
	s_load_b64 s[10:11], s[0:1], 0x40
	s_load_b96 s[36:38], s[0:1], 0x48
	s_load_b256 s[20:27], s[0:1], 0x58
	s_load_b32 s31, s[0:1], 0x78
	v_mov_b32_e32 v31, v0
	s_get_pc_i64 s[2:3]
	s_add_nc_u64 s[2:3], s[2:3], _ZN4vllm22paged_attention_kernelIfhLi192ELi32ELi128ELNS_18Fp8KVCacheDataTypeE1ELb1ELi0EEEvPfS2_PT_PKS3_PKT0_S9_ifPKiSB_iPKfiiiSD_SD_iiiii@rel64+4
	s_add_nc_u64 s[8:9], s[0:1], 0x80
	s_mov_b32 s32, 0
	s_wait_kmcnt 0x0
	v_dual_mov_b32 v15, s10 :: v_dual_mov_b32 v16, s11
	v_dual_mov_b32 v0, s12 :: v_dual_mov_b32 v1, s13
	;; [unrolled: 1-line block ×14, first 2 shown]
	v_mov_b32_e32 v28, s31
	s_mov_b32 s15, 25
	s_swap_pc_i64 s[30:31], s[2:3]
	s_endpgm
	.section	.rodata,"a",@progbits
	.p2align	6, 0x0
	.amdhsa_kernel _ZN4vllm25paged_attention_v1_kernelIfhLi192ELi32ELi128ELNS_18Fp8KVCacheDataTypeE1ELb1EEEvPT_PKS2_PKT0_S8_ifPKiSA_iPKfiiiSC_SC_iiiii
		.amdhsa_group_segment_fixed_size 800
		.amdhsa_private_segment_fixed_size 2468
		.amdhsa_kernarg_size 384
		.amdhsa_user_sgpr_count 2
		.amdhsa_user_sgpr_dispatch_ptr 0
		.amdhsa_user_sgpr_queue_ptr 0
		.amdhsa_user_sgpr_kernarg_segment_ptr 1
		.amdhsa_user_sgpr_dispatch_id 0
		.amdhsa_user_sgpr_kernarg_preload_length 0
		.amdhsa_user_sgpr_kernarg_preload_offset 0
		.amdhsa_user_sgpr_private_segment_size 0
		.amdhsa_wavefront_size32 1
		.amdhsa_uses_dynamic_stack 0
		.amdhsa_enable_private_segment 1
		.amdhsa_system_sgpr_workgroup_id_x 1
		.amdhsa_system_sgpr_workgroup_id_y 1
		.amdhsa_system_sgpr_workgroup_id_z 1
		.amdhsa_system_sgpr_workgroup_info 0
		.amdhsa_system_vgpr_workitem_id 0
		.amdhsa_next_free_vgpr 128
		.amdhsa_next_free_sgpr 39
		.amdhsa_named_barrier_count 0
		.amdhsa_reserve_vcc 1
		.amdhsa_float_round_mode_32 0
		.amdhsa_float_round_mode_16_64 0
		.amdhsa_float_denorm_mode_32 3
		.amdhsa_float_denorm_mode_16_64 3
		.amdhsa_fp16_overflow 0
		.amdhsa_memory_ordered 1
		.amdhsa_forward_progress 1
		.amdhsa_inst_pref_size 2
		.amdhsa_round_robin_scheduling 0
		.amdhsa_exception_fp_ieee_invalid_op 0
		.amdhsa_exception_fp_denorm_src 0
		.amdhsa_exception_fp_ieee_div_zero 0
		.amdhsa_exception_fp_ieee_overflow 0
		.amdhsa_exception_fp_ieee_underflow 0
		.amdhsa_exception_fp_ieee_inexact 0
		.amdhsa_exception_int_div_zero 0
	.end_amdhsa_kernel
	.section	.text._ZN4vllm25paged_attention_v1_kernelIfhLi192ELi32ELi128ELNS_18Fp8KVCacheDataTypeE1ELb1EEEvPT_PKS2_PKT0_S8_ifPKiSA_iPKfiiiSC_SC_iiiii,"axG",@progbits,_ZN4vllm25paged_attention_v1_kernelIfhLi192ELi32ELi128ELNS_18Fp8KVCacheDataTypeE1ELb1EEEvPT_PKS2_PKT0_S8_ifPKiSA_iPKfiiiSC_SC_iiiii,comdat
.Lfunc_end215:
	.size	_ZN4vllm25paged_attention_v1_kernelIfhLi192ELi32ELi128ELNS_18Fp8KVCacheDataTypeE1ELb1EEEvPT_PKS2_PKT0_S8_ifPKiSA_iPKfiiiSC_SC_iiiii, .Lfunc_end215-_ZN4vllm25paged_attention_v1_kernelIfhLi192ELi32ELi128ELNS_18Fp8KVCacheDataTypeE1ELb1EEEvPT_PKS2_PKT0_S8_ifPKiSA_iPKfiiiSC_SC_iiiii
                                        ; -- End function
	.set _ZN4vllm25paged_attention_v1_kernelIfhLi192ELi32ELi128ELNS_18Fp8KVCacheDataTypeE1ELb1EEEvPT_PKS2_PKT0_S8_ifPKiSA_iPKfiiiSC_SC_iiiii.num_vgpr, max(32, .L_ZN4vllm22paged_attention_kernelIfhLi192ELi32ELi128ELNS_18Fp8KVCacheDataTypeE1ELb1ELi0EEEvPfS2_PT_PKS3_PKT0_S9_ifPKiSB_iPKfiiiSD_SD_iiiii.num_vgpr)
	.set _ZN4vllm25paged_attention_v1_kernelIfhLi192ELi32ELi128ELNS_18Fp8KVCacheDataTypeE1ELb1EEEvPT_PKS2_PKT0_S8_ifPKiSA_iPKfiiiSC_SC_iiiii.num_agpr, max(0, .L_ZN4vllm22paged_attention_kernelIfhLi192ELi32ELi128ELNS_18Fp8KVCacheDataTypeE1ELb1ELi0EEEvPfS2_PT_PKS3_PKT0_S9_ifPKiSB_iPKfiiiSD_SD_iiiii.num_agpr)
	.set _ZN4vllm25paged_attention_v1_kernelIfhLi192ELi32ELi128ELNS_18Fp8KVCacheDataTypeE1ELb1EEEvPT_PKS2_PKT0_S8_ifPKiSA_iPKfiiiSC_SC_iiiii.numbered_sgpr, max(39, .L_ZN4vllm22paged_attention_kernelIfhLi192ELi32ELi128ELNS_18Fp8KVCacheDataTypeE1ELb1ELi0EEEvPfS2_PT_PKS3_PKT0_S9_ifPKiSB_iPKfiiiSD_SD_iiiii.numbered_sgpr)
	.set _ZN4vllm25paged_attention_v1_kernelIfhLi192ELi32ELi128ELNS_18Fp8KVCacheDataTypeE1ELb1EEEvPT_PKS2_PKT0_S8_ifPKiSA_iPKfiiiSC_SC_iiiii.num_named_barrier, max(0, .L_ZN4vllm22paged_attention_kernelIfhLi192ELi32ELi128ELNS_18Fp8KVCacheDataTypeE1ELb1ELi0EEEvPfS2_PT_PKS3_PKT0_S9_ifPKiSB_iPKfiiiSD_SD_iiiii.num_named_barrier)
	.set _ZN4vllm25paged_attention_v1_kernelIfhLi192ELi32ELi128ELNS_18Fp8KVCacheDataTypeE1ELb1EEEvPT_PKS2_PKT0_S8_ifPKiSA_iPKfiiiSC_SC_iiiii.private_seg_size, 0+max(.L_ZN4vllm22paged_attention_kernelIfhLi192ELi32ELi128ELNS_18Fp8KVCacheDataTypeE1ELb1ELi0EEEvPfS2_PT_PKS3_PKT0_S9_ifPKiSB_iPKfiiiSD_SD_iiiii.private_seg_size)
	.set _ZN4vllm25paged_attention_v1_kernelIfhLi192ELi32ELi128ELNS_18Fp8KVCacheDataTypeE1ELb1EEEvPT_PKS2_PKT0_S8_ifPKiSA_iPKfiiiSC_SC_iiiii.uses_vcc, or(1, .L_ZN4vllm22paged_attention_kernelIfhLi192ELi32ELi128ELNS_18Fp8KVCacheDataTypeE1ELb1ELi0EEEvPfS2_PT_PKS3_PKT0_S9_ifPKiSB_iPKfiiiSD_SD_iiiii.uses_vcc)
	.set _ZN4vllm25paged_attention_v1_kernelIfhLi192ELi32ELi128ELNS_18Fp8KVCacheDataTypeE1ELb1EEEvPT_PKS2_PKT0_S8_ifPKiSA_iPKfiiiSC_SC_iiiii.uses_flat_scratch, or(0, .L_ZN4vllm22paged_attention_kernelIfhLi192ELi32ELi128ELNS_18Fp8KVCacheDataTypeE1ELb1ELi0EEEvPfS2_PT_PKS3_PKT0_S9_ifPKiSB_iPKfiiiSD_SD_iiiii.uses_flat_scratch)
	.set _ZN4vllm25paged_attention_v1_kernelIfhLi192ELi32ELi128ELNS_18Fp8KVCacheDataTypeE1ELb1EEEvPT_PKS2_PKT0_S8_ifPKiSA_iPKfiiiSC_SC_iiiii.has_dyn_sized_stack, or(0, .L_ZN4vllm22paged_attention_kernelIfhLi192ELi32ELi128ELNS_18Fp8KVCacheDataTypeE1ELb1ELi0EEEvPfS2_PT_PKS3_PKT0_S9_ifPKiSB_iPKfiiiSD_SD_iiiii.has_dyn_sized_stack)
	.set _ZN4vllm25paged_attention_v1_kernelIfhLi192ELi32ELi128ELNS_18Fp8KVCacheDataTypeE1ELb1EEEvPT_PKS2_PKT0_S8_ifPKiSA_iPKfiiiSC_SC_iiiii.has_recursion, or(0, .L_ZN4vllm22paged_attention_kernelIfhLi192ELi32ELi128ELNS_18Fp8KVCacheDataTypeE1ELb1ELi0EEEvPfS2_PT_PKS3_PKT0_S9_ifPKiSB_iPKfiiiSD_SD_iiiii.has_recursion)
	.set _ZN4vllm25paged_attention_v1_kernelIfhLi192ELi32ELi128ELNS_18Fp8KVCacheDataTypeE1ELb1EEEvPT_PKS2_PKT0_S8_ifPKiSA_iPKfiiiSC_SC_iiiii.has_indirect_call, or(0, .L_ZN4vllm22paged_attention_kernelIfhLi192ELi32ELi128ELNS_18Fp8KVCacheDataTypeE1ELb1ELi0EEEvPfS2_PT_PKS3_PKT0_S9_ifPKiSB_iPKfiiiSD_SD_iiiii.has_indirect_call)
	.section	.AMDGPU.csdata,"",@progbits
; Kernel info:
; codeLenInByte = 224
; TotalNumSgprs: 41
; NumVgprs: 128
; ScratchSize: 2468
; MemoryBound: 0
; FloatMode: 240
; IeeeMode: 1
; LDSByteSize: 800 bytes/workgroup (compile time only)
; SGPRBlocks: 0
; VGPRBlocks: 7
; NumSGPRsForWavesPerEU: 41
; NumVGPRsForWavesPerEU: 128
; NamedBarCnt: 0
; Occupancy: 8
; WaveLimiterHint : 1
; COMPUTE_PGM_RSRC2:SCRATCH_EN: 1
; COMPUTE_PGM_RSRC2:USER_SGPR: 2
; COMPUTE_PGM_RSRC2:TRAP_HANDLER: 0
; COMPUTE_PGM_RSRC2:TGID_X_EN: 1
; COMPUTE_PGM_RSRC2:TGID_Y_EN: 1
; COMPUTE_PGM_RSRC2:TGID_Z_EN: 1
; COMPUTE_PGM_RSRC2:TIDIG_COMP_CNT: 0
	.text
	.p2align	2                               ; -- Begin function _ZN4vllm22paged_attention_kernelIfhLi256ELi32ELi128ELNS_18Fp8KVCacheDataTypeE1ELb1ELi0EEEvPfS2_PT_PKS3_PKT0_S9_ifPKiSB_iPKfiiiSD_SD_iiiii
	.type	_ZN4vllm22paged_attention_kernelIfhLi256ELi32ELi128ELNS_18Fp8KVCacheDataTypeE1ELb1ELi0EEEvPfS2_PT_PKS3_PKT0_S9_ifPKiSB_iPKfiiiSD_SD_iiiii,@function
_ZN4vllm22paged_attention_kernelIfhLi256ELi32ELi128ELNS_18Fp8KVCacheDataTypeE1ELb1ELi0EEEvPfS2_PT_PKS3_PKT0_S9_ifPKiSB_iPKfiiiSD_SD_iiiii: ; @_ZN4vllm22paged_attention_kernelIfhLi256ELi32ELi128ELNS_18Fp8KVCacheDataTypeE1ELb1ELi0EEEvPfS2_PT_PKS3_PKT0_S9_ifPKiSB_iPKfiiiSD_SD_iiiii
; %bb.0:
	s_wait_loadcnt_dscnt 0x0
	s_wait_kmcnt 0x0
	s_clause 0x2f
	scratch_store_b32 off, v40, s32 offset:188
	; meta instruction
	scratch_store_b32 off, v41, s32 offset:184
	; meta instruction
	;; [unrolled: 2-line block ×47, first 2 shown]
	scratch_store_b32 off, v127, s32
	s_bfe_u32 s0, ttmp6, 0x4000c
	s_bfe_u32 s3, ttmp6, 0x40010
	s_add_co_i32 s0, s0, 1
	s_and_b32 s1, ttmp6, 15
	s_mul_i32 s0, ttmp9, s0
	s_and_b32 s4, ttmp7, 0xffff
	s_add_co_i32 s3, s3, 1
	s_add_co_i32 s1, s1, s0
	s_mul_i32 s0, s4, s3
	s_bfe_u32 s3, ttmp6, 0x40004
	s_getreg_b32 s10, hwreg(HW_REG_IB_STS2, 6, 4)
	s_add_co_i32 s3, s3, s0
	s_cmp_eq_u32 s10, 0
	s_mov_b32 s7, 0
	s_cselect_b32 s11, s4, s3
	s_cselect_b32 s0, ttmp9, s1
	s_lshl_b32 s6, s11, 2
	v_dual_mov_b32 v35, v7 :: v_dual_mov_b32 v34, v6
	v_add_nc_u64_e32 v[6:7], s[6:7], v[12:13]
	s_clause 0x4
	scratch_store_b64 off, v[22:23], s32 offset:2324
	scratch_store_b64 off, v[20:21], s32 offset:2108
	;; [unrolled: 1-line block ×4, first 2 shown]
	scratch_store_b32 off, v9, s32 offset:2124
	s_clause 0x1
	s_load_u16 s1, s[8:9], 0x12
	s_load_b32 s3, s[8:9], 0x0
	v_dual_mov_b32 v33, v16 :: v_dual_mov_b32 v32, v15
	s_mov_b32 s2, s15
	flat_load_b32 v6, v[6:7]
	scratch_store_b64 off, v[0:1], s32 offset:3212 ; 8-byte Folded Spill
	s_wait_xcnt 0x0
	v_mov_b32_e32 v1, 0
	s_wait_kmcnt 0x0
	s_cmp_lg_u32 s1, 0
	s_cselect_b32 s1, -1, 0
	s_delay_alu instid0(SALU_CYCLE_1)
	s_cmp_lg_u32 s1, 0
	s_add_co_ci_u32 s12, s3, 0
	s_abs_i32 s6, s0
	s_mov_b32 s3, exec_lo
	s_abs_i32 s1, s12
	s_wait_loadcnt_dscnt 0x0
	scratch_store_b64 off, v[6:7], s32 offset:1820 ; 8-byte Folded Spill
	s_wait_xcnt 0x0
	v_sub_nc_u32_e32 v6, 0, v8
	global_load_u16 v0, v1, s[8:9] offset:22
	v_max_i32_e32 v6, v8, v6
	s_delay_alu instid0(VALU_DEP_1) | instskip(NEXT) | instid1(VALU_DEP_1)
	v_cvt_f32_u32_e32 v7, v6
	v_rcp_iflag_f32_e32 v7, v7
	v_nop
	s_delay_alu instid0(TRANS32_DEP_1) | instskip(SKIP_1) | instid1(VALU_DEP_2)
	v_mul_f32_e32 v7, 0x4f7ffffe, v7
	v_sub_nc_u32_e32 v9, 0, v6
	v_cvt_u32_f32_e32 v7, v7
	s_delay_alu instid0(VALU_DEP_1) | instskip(NEXT) | instid1(VALU_DEP_1)
	v_mul_lo_u32 v9, v9, v7
	v_mul_hi_u32 v9, v7, v9
	s_delay_alu instid0(VALU_DEP_1) | instskip(NEXT) | instid1(VALU_DEP_1)
	v_add_nc_u32_e32 v7, v7, v9
	v_mul_hi_u32 v7, s1, v7
	s_delay_alu instid0(VALU_DEP_1) | instskip(NEXT) | instid1(VALU_DEP_1)
	v_mul_lo_u32 v9, v7, v6
	v_dual_add_nc_u32 v10, 1, v7 :: v_dual_sub_nc_u32 v9, s1, v9
	s_delay_alu instid0(VALU_DEP_1) | instskip(SKIP_1) | instid1(VALU_DEP_3)
	v_sub_nc_u32_e32 v11, v9, v6
	v_cmp_ge_u32_e32 vcc_lo, v9, v6
	v_dual_cndmask_b32 v7, v7, v10, vcc_lo :: v_dual_bitop2_b32 v10, s12, v8 bitop3:0x14
	s_delay_alu instid0(VALU_DEP_3) | instskip(NEXT) | instid1(VALU_DEP_2)
	v_cndmask_b32_e32 v9, v9, v11, vcc_lo
	v_dual_add_nc_u32 v11, 1, v7 :: v_dual_ashrrev_i32 v10, 31, v10
	s_delay_alu instid0(VALU_DEP_2) | instskip(NEXT) | instid1(VALU_DEP_2)
	v_cmp_ge_u32_e32 vcc_lo, v9, v6
	v_cndmask_b32_e32 v6, v7, v11, vcc_lo
	s_delay_alu instid0(VALU_DEP_1) | instskip(NEXT) | instid1(VALU_DEP_1)
	v_xor_b32_e32 v6, v6, v10
	v_sub_nc_u32_e32 v7, v6, v10
	s_delay_alu instid0(VALU_DEP_1) | instskip(NEXT) | instid1(VALU_DEP_1)
	v_sub_nc_u32_e32 v6, 0, v7
	v_max_i32_e32 v6, v7, v6
	s_delay_alu instid0(VALU_DEP_1) | instskip(SKIP_1) | instid1(VALU_DEP_2)
	v_cvt_f32_u32_e32 v9, v6
	v_sub_nc_u32_e32 v10, 0, v6
	v_rcp_iflag_f32_e32 v9, v9
	v_nop
	s_delay_alu instid0(TRANS32_DEP_1) | instskip(NEXT) | instid1(VALU_DEP_1)
	v_mul_f32_e32 v9, 0x4f7ffffe, v9
	v_cvt_u32_f32_e32 v9, v9
	s_delay_alu instid0(VALU_DEP_1) | instskip(NEXT) | instid1(VALU_DEP_1)
	v_mul_lo_u32 v10, v10, v9
	v_mul_hi_u32 v10, v9, v10
	s_wait_loadcnt 0x0
	v_readfirstlane_b32 s13, v0
	s_delay_alu instid0(VALU_DEP_2)
	v_add_nc_u32_e32 v0, v9, v10
	v_mov_b32_e32 v9, v1
	scratch_store_b32 off, v9, s32 offset:2100 ; 4-byte Folded Spill
	s_wait_xcnt 0x0
	v_cmpx_ne_u64_e32 0, v[32:33]
	s_cbranch_execz .LBB216_2
; %bb.1:
	s_ashr_i32 s1, s0, 31
	s_delay_alu instid0(SALU_CYCLE_1)
	v_lshl_add_u64 v[10:11], s[0:1], 2, v[32:33]
	flat_load_b32 v9, v[10:11]
	s_wait_loadcnt_dscnt 0x0
	scratch_store_b32 off, v9, s32 offset:2100 ; 4-byte Folded Spill
.LBB216_2:
	s_wait_xcnt 0x0
	s_or_b32 exec_lo, exec_lo, s3
	v_mul_u64_e32 v[0:1], s[6:7], v[0:1]
	v_and_b32_e32 v9, 0x3ff, v31
	v_ashrrev_i32_e32 v0, 31, v7
	s_ashr_i32 s1, s0, 31
	s_lshl_b32 s4, s0, 8
	s_mov_b32 s3, exec_lo
	scratch_store_b32 off, v9, s32 offset:2320 ; 4-byte Folded Spill
	s_wait_xcnt 0x0
	v_cmpx_gt_u32_e32 64, v9
	s_cbranch_execz .LBB216_4
; %bb.3:
	scratch_load_b32 v7, off, s32 offset:2320 ; 4-byte Folded Reload
	v_mul_lo_u32 v10, v17, s11
	s_ashr_i32 s5, s4, 31
	s_delay_alu instid0(VALU_DEP_1) | instskip(SKIP_2) | instid1(VALU_DEP_2)
	v_dual_mov_b32 v17, 0 :: v_dual_ashrrev_i32 v11, 31, v10
	s_wait_loadcnt 0x0
	v_lshlrev_b32_e32 v16, 4, v7
	v_lshl_add_u64 v[2:3], v[10:11], 2, v[2:3]
	s_delay_alu instid0(VALU_DEP_1) | instskip(NEXT) | instid1(VALU_DEP_1)
	v_lshl_add_u64 v[2:3], s[4:5], 2, v[2:3]
	v_add_nc_u64_e32 v[2:3], v[2:3], v[16:17]
	flat_load_b128 v[10:13], v[2:3]
	s_wait_loadcnt_dscnt 0x0
	ds_store_b128 v16, v[10:13]
.LBB216_4:
	s_wait_xcnt 0x0
	s_or_b32 exec_lo, exec_lo, s3
	scratch_load_b64 v[12:13], off, s32 offset:1820 ; 8-byte Folded Reload
	v_dual_sub_nc_u32 v2, 0, v27 :: v_dual_add_nc_u32 v9, 1, v1
	v_mul_lo_u32 v3, v1, v6
	v_xor_b32_e32 v11, s1, v0
	s_mov_b32 s1, exec_lo
	s_delay_alu instid0(VALU_DEP_3) | instskip(NEXT) | instid1(VALU_DEP_1)
	v_max_i32_e32 v7, v27, v2
	v_cvt_f32_u32_e32 v2, v7
	s_delay_alu instid0(VALU_DEP_4) | instskip(NEXT) | instid1(VALU_DEP_2)
	v_sub_nc_u32_e32 v3, s6, v3
	v_rcp_iflag_f32_e32 v2, v2
	s_delay_alu instid0(VALU_DEP_1) | instskip(NEXT) | instid1(TRANS32_DEP_1)
	v_cmp_ge_u32_e32 vcc_lo, v3, v6
	v_mul_f32_e32 v2, 0x4f7ffffe, v2
	scratch_store_b32 off, v7, s32 offset:220 ; 4-byte Folded Spill
	s_wait_xcnt 0x0
	v_dual_sub_nc_u32 v7, 0, v7 :: v_dual_cndmask_b32 v1, v1, v9, vcc_lo
	v_cvt_u32_f32_e32 v2, v2
	s_delay_alu instid0(VALU_DEP_2) | instskip(NEXT) | instid1(VALU_DEP_2)
	v_add_nc_u32_e32 v9, 1, v1
	v_mul_lo_u32 v10, v7, v2
	v_sub_nc_u32_e32 v7, v3, v6
	s_delay_alu instid0(VALU_DEP_1) | instskip(NEXT) | instid1(VALU_DEP_3)
	v_cndmask_b32_e32 v3, v3, v7, vcc_lo
	v_mul_hi_u32 v10, v2, v10
	s_wait_loadcnt 0x0
	v_add_nc_u32_e32 v7, -1, v12
	s_delay_alu instid0(VALU_DEP_3) | instskip(NEXT) | instid1(VALU_DEP_3)
	v_cmp_ge_u32_e32 vcc_lo, v3, v6
	v_add_nc_u32_e32 v12, v2, v10
                                        ; implicit-def: $vgpr2
                                        ; kill: killed $vgpr2
	v_dual_cndmask_b32 v0, v1, v9 :: v_dual_mov_b32 v1, 0
	s_delay_alu instid0(VALU_DEP_4) | instskip(NEXT) | instid1(VALU_DEP_2)
	v_sub_nc_u32_e32 v3, 0, v7
	v_dual_mov_b32 v13, v1 :: v_dual_bitop2_b32 v6, v0, v11 bitop3:0x14
	s_delay_alu instid0(VALU_DEP_2) | instskip(NEXT) | instid1(VALU_DEP_2)
	v_max_i32_e32 v0, v7, v3
	v_sub_nc_u32_e32 v6, v6, v11
	scratch_store_b64 off, v[12:13], s32 offset:224 ; 8-byte Folded Spill
	s_wait_storecnt_dscnt 0x0
	s_barrier_signal -1
	s_barrier_wait -1
	s_wait_xcnt 0x0
	v_cmpx_gt_i32_e32 0, v28
	s_xor_b32 s1, exec_lo, s1
	s_cbranch_execz .LBB216_6
; %bb.5:
	v_mad_u32 v2, v24, v8, v6
                                        ; implicit-def: $vgpr24
	s_delay_alu instid0(VALU_DEP_1) | instskip(NEXT) | instid1(VALU_DEP_1)
	v_mul_lo_u32 v2, v2, v28
                                        ; implicit-def: $vgpr28
	v_sub_nc_u32_e32 v2, 1, v2
	scratch_store_b32 off, v2, s32 offset:236 ; 4-byte Folded Spill
.LBB216_6:
	s_wait_xcnt 0x0
	s_or_saveexec_b32 s1, s1
	scratch_load_b64 v[2:3], off, s32 offset:224 ; 8-byte Folded Reload
	s_wait_loadcnt 0x0
	v_mul_u64_e32 v[2:3], v[0:1], v[2:3]
	v_ashrrev_i32_e32 v1, 31, v7
	v_ashrrev_i32_e32 v2, 31, v27
	scratch_store_b32 off, v2, s32 offset:232 ; 4-byte Folded Spill
	s_wait_xcnt 0x0
	s_xor_b32 exec_lo, exec_lo, s1
	s_cbranch_execz .LBB216_8
; %bb.7:
	v_mad_u32 v2, s12, v24, s0
	s_delay_alu instid0(VALU_DEP_1)
	v_mad_u32 v2, v2, v28, 1
	scratch_store_b32 off, v2, s32 offset:236 ; 4-byte Folded Spill
.LBB216_8:
	s_wait_xcnt 0x0
	s_or_b32 exec_lo, exec_lo, s1
	s_clause 0x1
	scratch_load_b32 v12, off, s32 offset:220
	scratch_load_b64 v[8:9], off, s32 offset:1820
	v_mul_lo_u32 v14, v14, s11
	s_load_b32 s5, s[8:9], 0x8
	v_mul_lo_u32 v28, v6, v19
	s_ashr_i32 s3, s2, 31
	s_get_pc_i64 s[6:7]
	s_add_nc_u64 s[6:7], s[6:7], llvm.amdgcn.dynlds.offset.table@rel64+4
	s_lshl_b64 s[2:3], s[2:3], 2
	s_wait_loadcnt 0x0
	scratch_load_b32 v9, off, s32 offset:2320 ; 4-byte Folded Reload
	s_add_nc_u64 s[6:7], s[6:7], s[2:3]
	v_dual_sub_nc_u32 v27, 0, v26 :: v_dual_ashrrev_i32 v29, 31, v28
	v_mul_lo_u32 v2, v3, v12
	s_wait_loadcnt 0x0
	s_delay_alu instid0(VALU_DEP_1) | instskip(NEXT) | instid1(VALU_DEP_1)
	v_dual_lshrrev_b32 v10, 5, v9 :: v_dual_sub_nc_u32 v0, v0, v2
	v_dual_add_nc_u32 v2, 1, v3 :: v_dual_lshlrev_b32 v6, 5, v10
	s_delay_alu instid0(VALU_DEP_2) | instskip(NEXT) | instid1(VALU_DEP_2)
	v_cmp_ge_u32_e32 vcc_lo, v0, v12
	v_dual_cndmask_b32 v2, v3, v2 :: v_dual_add_nc_u32 v7, 31, v8
	scratch_load_b32 v3, off, s32 offset:232 ; 4-byte Folded Reload
	s_wait_loadcnt 0x0
	v_dual_sub_nc_u32 v8, v0, v12 :: v_dual_bitop2_b32 v1, v1, v3 bitop3:0x14
	s_delay_alu instid0(VALU_DEP_1) | instskip(SKIP_1) | instid1(VALU_DEP_2)
	v_dual_cndmask_b32 v0, v0, v8 :: v_dual_ashrrev_i32 v3, 31, v7
	v_dual_add_nc_u32 v8, 1, v2 :: v_dual_bitop2_b32 v11, 31, v9 bitop3:0x40
	v_lshrrev_b32_e32 v3, 27, v3
	s_delay_alu instid0(VALU_DEP_3) | instskip(NEXT) | instid1(VALU_DEP_2)
	v_cmp_ge_u32_e32 vcc_lo, v0, v12
	v_dual_cndmask_b32 v0, v2, v8, vcc_lo :: v_dual_add_nc_u32 v2, v7, v3
	v_mov_b32_e32 v7, 0xff7fffff
	s_delay_alu instid0(VALU_DEP_2) | instskip(SKIP_3) | instid1(VALU_DEP_2)
	v_dual_ashrrev_i32 v2, 5, v2 :: v_dual_bitop2_b32 v0, v0, v1 bitop3:0x14
	scratch_store_b64 off, v[6:7], s32 offset:244 ; 8-byte Folded Spill
	v_dual_sub_nc_u32 v0, v0, v1 :: v_dual_ashrrev_i32 v15, 31, v14
	v_cmp_lt_i32_e64 s0, v10, v2
	v_sub_nc_u32_e32 v0, v0, v25
	s_clause 0x1
	scratch_store_b32 off, v11, s32 offset:2316
	scratch_store_b64 off, v[14:15], s32 offset:3200
	s_wait_xcnt 0x1
	v_lshlrev_b32_e32 v11, 2, v11
	s_clause 0x2
	scratch_store_b32 off, v10, s32 offset:3188
	scratch_store_b32 off, v2, s32 offset:200
	;; [unrolled: 1-line block ×3, first 2 shown]
	s_wait_xcnt 0x0
	v_lshrrev_b32_e32 v0, 3, v9
	scratch_store_b32 off, v0, s32 offset:3208 ; 4-byte Folded Spill
	s_wait_xcnt 0x0
	s_and_saveexec_b32 s3, s0
	s_cbranch_execz .LBB216_2064
; %bb.9:
	s_clause 0x2
	scratch_store_b64 off, v[34:35], s32 offset:3224
	scratch_store_b32 off, v26, s32 offset:3220
	scratch_store_b32 off, v27, s32 offset:3240
	v_add_nc_u64_e32 v[0:1], v[4:5], v[28:29]
	s_clause 0x2
	scratch_load_b32 v3, off, s32 offset:2316
	scratch_load_b32 v4, off, s32 offset:2100
	scratch_load_b64 v[6:7], off, s32 offset:1820
	v_dual_mov_b32 v17, 0 :: v_dual_max_i32 v8, v26, v27
	s_load_b32 s8, s[6:7], 0x0
	s_mov_b32 s9, 0
	s_delay_alu instid0(VALU_DEP_1)
	v_cvt_f32_u32_e32 v2, v8
	ds_load_b128 v[12:15], v17
	ds_load_b128 v[18:21], v17 offset:96
	v_rcp_iflag_f32_e32 v2, v2
	s_wait_loadcnt 0x1
	v_cmp_neq_f32_e32 vcc_lo, 0, v4
	scratch_load_b32 v4, off, s32 offset:3188 ; 4-byte Folded Reload
	v_lshlrev_b32_e32 v16, 4, v3
	s_delay_alu instid0(VALU_DEP_1)
	v_add_nc_u64_e32 v[0:1], v[0:1], v[16:17]
	s_wait_dscnt 0x0
	scratch_store_b128 off, v[18:21], s32 offset:2236 ; 16-byte Folded Spill
	s_wait_xcnt 0x0
	ds_load_b128 v[18:21], v17 offset:112
	s_clause 0x1
	scratch_store_b64 off, v[0:1], s32 offset:2380
	scratch_load_b32 v0, off, s32 offset:3208
	s_wait_dscnt 0x0
	scratch_store_b128 off, v[18:21], s32 offset:2252 ; 16-byte Folded Spill
	s_wait_xcnt 0x0
	ds_load_b128 v[18:21], v17 offset:128
	s_wait_dscnt 0x0
	scratch_store_b128 off, v[18:21], s32 offset:2268 ; 16-byte Folded Spill
	s_wait_xcnt 0x0
	ds_load_b128 v[18:21], v17 offset:144
	;; [unrolled: 4-line block ×4, first 2 shown]
	v_mul_f32_e32 v2, 0x4f7ffffe, v2
	s_wait_dscnt 0x0
	scratch_store_b128 off, v[18:21], s32 offset:2332 ; 16-byte Folded Spill
	s_wait_xcnt 0x0
	ds_load_b128 v[18:21], v17 offset:192
	s_wait_loadcnt 0x0
	v_and_b32_e32 v16, 0x7c, v0
	scratch_load_b64 v[0:1], off, s32 offset:3200 ; 8-byte Folded Reload
	v_dual_mov_b32 v6, v4 :: v_dual_sub_nc_u32 v3, v3, v6
	v_lshlrev_b32_e32 v10, 5, v4
	v_lshl_or_b32 v9, v4, 7, v11
	v_dual_mov_b32 v7, 0xff7fffff :: v_dual_sub_nc_u32 v4, 0, v8
	s_delay_alu instid0(VALU_DEP_4)
	v_add_nc_u32_e32 v3, 1, v3
	scratch_store_b128 off, v[12:15], s32 offset:2132 ; 16-byte Folded Spill
	s_wait_xcnt 0x0
	ds_load_b128 v[12:15], v17 offset:16
	scratch_store_b32 off, v3, s32 offset:2228 ; 4-byte Folded Spill
	s_wait_dscnt 0x0
	scratch_store_b128 off, v[12:15], s32 offset:2148 ; 16-byte Folded Spill
	s_wait_xcnt 0x0
	ds_load_b128 v[12:15], v17 offset:32
	s_wait_dscnt 0x0
	scratch_store_b128 off, v[12:15], s32 offset:2164 ; 16-byte Folded Spill
	s_wait_xcnt 0x0
	ds_load_b128 v[12:15], v17 offset:48
	;; [unrolled: 4-line block ×4, first 2 shown]
	s_wait_dscnt 0x0
	scratch_store_b128 off, v[12:15], s32 offset:2212 ; 16-byte Folded Spill
	s_wait_xcnt 0x0
	v_mov_b32_e32 v13, v17
	v_cvt_u32_f32_e32 v2, v2
	s_delay_alu instid0(VALU_DEP_1) | instskip(SKIP_2) | instid1(VALU_DEP_1)
	v_mul_lo_u32 v3, v4, v2
	scratch_load_b64 v[4:5], off, s32 offset:3192 ; 8-byte Folded Reload
	v_mul_hi_u32 v3, v2, v3
	v_add_nc_u32_e32 v12, v2, v3
	scratch_store_b64 off, v[12:13], s32 offset:1836 ; 8-byte Folded Spill
	s_wait_loadcnt 0x1
	v_lshl_add_u64 v[0:1], v[0:1], 2, v[16:17]
	s_wait_loadcnt 0x0
	s_delay_alu instid0(VALU_DEP_1)
	v_add_nc_u64_e32 v[0:1], v[4:5], v[0:1]
	ds_load_b128 v[2:5], v17 offset:352
	scratch_store_b128 off, v[18:21], s32 offset:2348 ; 16-byte Folded Spill
	s_wait_xcnt 0x0
	ds_load_b128 v[18:21], v17 offset:208
	s_clause 0x1
	scratch_store_b32 off, v8, s32 offset:1828
	scratch_store_b64 off, v[0:1], s32 offset:204
	s_wait_xcnt 0x0
	v_mov_b32_e32 v1, v17
	s_wait_dscnt 0x1
	scratch_store_b128 off, v[2:5], s32 offset:2516 ; 16-byte Folded Spill
	s_wait_xcnt 0x0
	ds_load_b128 v[2:5], v17 offset:368
	s_wait_dscnt 0x1
	scratch_store_b128 off, v[18:21], s32 offset:2364 ; 16-byte Folded Spill
	s_wait_xcnt 0x0
	ds_load_b128 v[18:21], v17 offset:224
	;; [unrolled: 4-line block ×17, first 2 shown]
	s_wait_dscnt 0x1
	scratch_store_b128 off, v[18:21], s32 offset:2500 ; 16-byte Folded Spill
	s_wait_dscnt 0x0
	scratch_store_b128 off, v[2:5], s32 offset:2660 ; 16-byte Folded Spill
	s_wait_xcnt 0x0
	ds_load_b128 v[2:5], v17 offset:512
	scratch_store_b64 off, v[28:29], s32 offset:3232 ; 8-byte Folded Spill
	s_wait_dscnt 0x0
	scratch_store_b128 off, v[2:5], s32 offset:2676 ; 16-byte Folded Spill
	s_wait_xcnt 0x0
	ds_load_b128 v[2:5], v17 offset:528
	scratch_store_b32 off, v11, s32 offset:3244 ; 4-byte Folded Spill
	s_wait_dscnt 0x0
	scratch_store_b128 off, v[2:5], s32 offset:2692 ; 16-byte Folded Spill
	s_wait_xcnt 0x0
	ds_load_b128 v[2:5], v17 offset:544
	s_wait_dscnt 0x0
	scratch_store_b128 off, v[2:5], s32 offset:2708 ; 16-byte Folded Spill
	s_wait_xcnt 0x0
	ds_load_b128 v[2:5], v17 offset:560
	;; [unrolled: 4-line block ×30, first 2 shown]
	s_wait_dscnt 0x0
	scratch_store_b128 off, v[2:5], s32 offset:3172 ; 16-byte Folded Spill
	s_branch .LBB216_15
.LBB216_10:                             ;   in Loop: Header=BB216_15 Depth=1
	s_or_b32 exec_lo, exec_lo, s17
	s_delay_alu instid0(VALU_DEP_1) | instskip(SKIP_2) | instid1(VALU_DEP_3)
	v_dual_lshlrev_b32 v85, 24, v89 :: v_dual_lshlrev_b32 v84, 20, v84
	v_lshl_add_u32 v98, v88, 23, 0x3c000000
	v_mov_b32_e32 v100, v99
	v_and_b32_e32 v85, 0x80000000, v85
	s_delay_alu instid0(VALU_DEP_1)
	v_or3_b32 v101, v84, v85, v98
	v_mov_b32_e32 v85, v99
	scratch_store_b64 off, v[84:85], s32 offset:192 ; 8-byte Folded Spill
.LBB216_11:                             ;   in Loop: Header=BB216_15 Depth=1
	s_wait_xcnt 0x0
	s_or_b32 exec_lo, exec_lo, s16
.LBB216_12:                             ;   in Loop: Header=BB216_15 Depth=1
	s_delay_alu instid0(SALU_CYCLE_1)
	s_or_b32 exec_lo, exec_lo, s15
.LBB216_13:                             ;   in Loop: Header=BB216_15 Depth=1
	s_delay_alu instid0(SALU_CYCLE_1)
	s_or_b32 exec_lo, exec_lo, s14
	v_or_b32_e32 v9, v123, v9
	v_or_b32_e32 v8, v122, v8
	;; [unrolled: 1-line block ×10, first 2 shown]
	scratch_store_b64 off, v[4:5], s32 offset:2020 ; 8-byte Folded Spill
	s_wait_xcnt 0x0
	v_or_b32_e32 v5, v15, v39
	v_or_b32_e32 v4, v14, v38
	s_clause 0x3
	scratch_store_b64 off, v[8:9], s32 offset:1956
	scratch_store_b64 off, v[6:7], s32 offset:2004
	;; [unrolled: 1-line block ×3, first 2 shown]
	scratch_load_b64 v[0:1], off, s32 offset:1812 th:TH_LOAD_LU
	v_or_b32_e32 v23, v23, v41
	v_or_b32_e32 v22, v22, v40
	;; [unrolled: 1-line block ×12, first 2 shown]
	scratch_store_b64 off, v[4:5], s32 offset:1996 ; 8-byte Folded Spill
	s_wait_xcnt 0x0
	v_mov_b64_e32 v[4:5], v[100:101]
	s_clause 0x2
	scratch_store_b64 off, v[12:13], s32 offset:1916
	scratch_store_b64 off, v[8:9], s32 offset:1932
	;; [unrolled: 1-line block ×3, first 2 shown]
	s_wait_xcnt 0x1
	v_or_b32_e32 v9, v107, v35
	v_or_b32_e32 v8, v106, v34
	scratch_store_b64 off, v[16:17], s32 offset:1900 ; 8-byte Folded Spill
	s_wait_xcnt 0x0
	v_or_b32_e32 v17, v67, v27
	v_or_b32_e32 v16, v66, v26
	s_clause 0x1
	scratch_store_b64 off, v[2:3], s32 offset:2036
	scratch_store_b64 off, v[8:9], s32 offset:1972
	s_wait_xcnt 0x0
	v_or_b32_e32 v9, v111, v37
	v_or_b32_e32 v8, v110, v36
	;; [unrolled: 1-line block ×4, first 2 shown]
	scratch_store_b64 off, v[8:9], s32 offset:1948 ; 8-byte Folded Spill
	s_wait_xcnt 0x0
	v_or_b32_e32 v9, v53, v69
	v_or_b32_e32 v8, v52, v68
	;; [unrolled: 1-line block ×6, first 2 shown]
	scratch_store_b64 off, v[8:9], s32 offset:1988 ; 8-byte Folded Spill
	s_wait_xcnt 0x0
	v_or_b32_e32 v9, v91, v79
	v_or_b32_e32 v8, v90, v78
	s_clause 0x1
	scratch_store_b64 off, v[16:17], s32 offset:1940
	scratch_store_b64 off, v[2:3], s32 offset:2012
	s_wait_xcnt 0x0
	v_or_b32_e32 v3, v109, v47
	v_or_b32_e32 v2, v108, v46
	s_clause 0x1
	scratch_store_b64 off, v[8:9], s32 offset:1964
	scratch_store_b64 off, v[2:3], s32 offset:2044
	s_wait_xcnt 0x0
	v_or_b32_e32 v3, v121, v59
	v_or_b32_e32 v2, v120, v58
	scratch_store_b64 off, v[2:3], s32 offset:2028 ; 8-byte Folded Spill
	s_wait_xcnt 0x0
	v_or_b32_e32 v3, v45, v87
	v_or_b32_e32 v2, v44, v86
	scratch_store_b64 off, v[2:3], s32 offset:2076 ; 8-byte Folded Spill
	;; [unrolled: 4-line block ×4, first 2 shown]
	s_wait_loadcnt 0x0
	v_or_b32_e32 v1, v115, v1
	v_or_b32_e32 v0, v114, v0
	scratch_store_b64 off, v[0:1], s32 offset:2092 ; 8-byte Folded Spill
	s_wait_xcnt 0x0
	v_or_b32_e32 v1, v119, v83
	v_or_b32_e32 v0, v118, v82
	s_clause 0x1
	scratch_store_b64 off, v[30:31], s32 offset:1892
	scratch_store_b64 off, v[22:23], s32 offset:1876
	s_wait_xcnt 0x0
	v_or_b32_e32 v23, v127, v113
	v_or_b32_e32 v22, v126, v112
	s_clause 0x1
	scratch_store_b64 off, v[0:1], s32 offset:1812
	scratch_store_b64 off, v[22:23], s32 offset:1908
	s_wait_xcnt 0x0
	v_or_b32_e32 v23, v77, v65
	v_or_b32_e32 v22, v76, v64
	scratch_store_b64 off, v[22:23], s32 offset:1884 ; 8-byte Folded Spill
	s_wait_xcnt 0x0
	v_or_b32_e32 v23, v81, v97
	v_or_b32_e32 v22, v80, v96
	s_clause 0x2
	scratch_store_b64 off, v[22:23], s32 offset:1924
	scratch_load_b64 v[2:3], off, s32 offset:1788 th:TH_LOAD_LU
	scratch_load_b64 v[0:1], off, s32 offset:1804 th:TH_LOAD_LU
	s_wait_loadcnt 0x0
	v_or_b32_e32 v1, v1, v3
	v_or_b32_e32 v0, v0, v2
	s_clause 0x1
	scratch_store_b64 off, v[0:1], s32 offset:1804
	scratch_load_b64 v[0:1], off, s32 offset:1796 th:TH_LOAD_LU
	s_wait_loadcnt 0x0
	v_or_b32_e32 v1, v117, v1
	v_or_b32_e32 v0, v116, v0
	s_clause 0x2
	scratch_store_b64 off, v[0:1], s32 offset:1788
	scratch_load_b64 v[0:1], off, s32 offset:1756 th:TH_LOAD_LU
	scratch_load_b64 v[2:3], off, s32 offset:1764 th:TH_LOAD_LU
	s_wait_loadcnt 0x0
	v_or_b32_e32 v1, v1, v3
	v_or_b32_e32 v0, v0, v2
	s_clause 0x2
	scratch_store_b64 off, v[0:1], s32 offset:1764
	scratch_load_b64 v[0:1], off, s32 offset:1772 th:TH_LOAD_LU
	;; [unrolled: 7-line block ×43, first 2 shown]
	scratch_load_b64 v[2:3], off, s32 offset:1092 th:TH_LOAD_LU
	s_wait_loadcnt 0x0
	v_or_b32_e32 v87, v1, v3
	v_or_b32_e32 v86, v0, v2
	s_clause 0x1
	scratch_load_b64 v[0:1], off, s32 offset:1100 th:TH_LOAD_LU
	scratch_load_b64 v[2:3], off, s32 offset:1108 th:TH_LOAD_LU
	s_wait_loadcnt 0x0
	v_or_b32_e32 v1, v1, v3
	v_or_b32_e32 v0, v0, v2
	s_clause 0x2
	scratch_store_b64 off, v[0:1], s32 offset:1084
	scratch_load_b64 v[0:1], off, s32 offset:1052 th:TH_LOAD_LU
	scratch_load_b64 v[2:3], off, s32 offset:1060 th:TH_LOAD_LU
	s_wait_loadcnt 0x0
	v_or_b32_e32 v1, v1, v3
	v_or_b32_e32 v0, v0, v2
	s_clause 0x2
	scratch_store_b64 off, v[0:1], s32 offset:1060
	;; [unrolled: 7-line block ×3, first 2 shown]
	scratch_load_b64 v[0:1], off, s32 offset:1020 th:TH_LOAD_LU
	scratch_load_b64 v[2:3], off, s32 offset:1028 th:TH_LOAD_LU
	s_wait_loadcnt 0x0
	v_or_b32_e32 v85, v1, v3
	v_or_b32_e32 v84, v0, v2
	s_clause 0x1
	scratch_load_b64 v[0:1], off, s32 offset:1036 th:TH_LOAD_LU
	scratch_load_b64 v[2:3], off, s32 offset:1044 th:TH_LOAD_LU
	s_wait_loadcnt 0x0
	v_or_b32_e32 v1, v1, v3
	v_or_b32_e32 v0, v0, v2
	s_clause 0x2
	scratch_store_b64 off, v[0:1], s32 offset:1020
	scratch_load_b64 v[0:1], off, s32 offset:988 th:TH_LOAD_LU
	scratch_load_b64 v[2:3], off, s32 offset:996 th:TH_LOAD_LU
	s_wait_loadcnt 0x0
	v_or_b32_e32 v1, v1, v3
	v_or_b32_e32 v0, v0, v2
	s_clause 0x2
	scratch_store_b64 off, v[0:1], s32 offset:996
	;; [unrolled: 7-line block ×3, first 2 shown]
	scratch_load_b64 v[0:1], off, s32 offset:956 th:TH_LOAD_LU
	scratch_load_b64 v[2:3], off, s32 offset:964 th:TH_LOAD_LU
	s_wait_loadcnt 0x0
	v_or_b32_e32 v55, v1, v3
	v_or_b32_e32 v54, v0, v2
	s_clause 0x1
	scratch_load_b64 v[0:1], off, s32 offset:972 th:TH_LOAD_LU
	scratch_load_b64 v[2:3], off, s32 offset:980 th:TH_LOAD_LU
	s_wait_loadcnt 0x0
	v_or_b32_e32 v1, v1, v3
	v_or_b32_e32 v0, v0, v2
	s_clause 0x2
	scratch_store_b64 off, v[0:1], s32 offset:956
	scratch_load_b64 v[0:1], off, s32 offset:924 th:TH_LOAD_LU
	scratch_load_b64 v[2:3], off, s32 offset:932 th:TH_LOAD_LU
	s_wait_loadcnt 0x0
	v_or_b32_e32 v1, v1, v3
	v_or_b32_e32 v0, v0, v2
	s_clause 0x2
	scratch_store_b64 off, v[0:1], s32 offset:924
	scratch_load_b64 v[0:1], off, s32 offset:940 th:TH_LOAD_LU
	scratch_load_b64 v[2:3], off, s32 offset:948 th:TH_LOAD_LU
	s_wait_loadcnt 0x0
	v_or_b32_e32 v81, v1, v3
	v_or_b32_e32 v80, v0, v2
	s_clause 0x1
	scratch_load_b64 v[0:1], off, s32 offset:892 th:TH_LOAD_LU
	scratch_load_b64 v[2:3], off, s32 offset:900 th:TH_LOAD_LU
	s_wait_loadcnt 0x0
	v_or_b32_e32 v101, v1, v3
	v_or_b32_e32 v100, v0, v2
	s_clause 0x1
	;; [unrolled: 6-line block ×42, first 2 shown]
	scratch_load_b64 v[0:1], off, s32 offset:268 th:TH_LOAD_LU
	scratch_load_b64 v[2:3], off, s32 offset:276 th:TH_LOAD_LU
	;; [unrolled: 1-line block ×3, first 2 shown]
	scratch_load_b128 v[28:31], off, s32 offset:2148
	scratch_load_b128 v[4:7], off, s32 offset:2164
	;; [unrolled: 1-line block ×6, first 2 shown]
	s_wait_loadcnt 0x7
	v_or_b32_e32 v117, v1, v3
	v_or_b32_e32 v116, v0, v2
	scratch_load_b128 v[0:3], off, s32 offset:2132 ; 16-byte Folded Reload
	s_wait_loadcnt 0x7
	v_pk_mul_f32 v[118:119], v[94:95], v[118:119] op_sel_hi:[0,1]
	v_pk_mul_f32 v[102:103], v[94:95], v[102:103] op_sel_hi:[0,1]
	;; [unrolled: 1-line block ×5, first 2 shown]
	s_wait_loadcnt 0x6
	v_pk_mul_f32 v[118:119], v[28:29], v[118:119]
	v_pk_mul_f32 v[96:97], v[94:95], v[96:97] op_sel_hi:[0,1]
	v_pk_mul_f32 v[114:115], v[30:31], v[114:115]
	v_pk_mul_f32 v[30:31], v[94:95], v[32:33] op_sel_hi:[0,1]
	s_wait_loadcnt 0x0
	v_pk_fma_f32 v[102:103], v[0:1], v[102:103], v[118:119]
	v_pk_mul_f32 v[118:119], v[94:95], v[44:45] op_sel_hi:[0,1]
	v_pk_fma_f32 v[114:115], v[2:3], v[116:117], v[114:115]
	scratch_load_b128 v[0:3], off, s32 offset:2268 ; 16-byte Folded Reload
	v_pk_mul_f32 v[116:117], v[94:95], v[42:43] op_sel_hi:[0,1]
	scratch_load_b128 v[42:45], off, s32 offset:2420 ; 16-byte Folded Reload
	v_pk_fma_f32 v[102:103], v[4:5], v[118:119], v[102:103]
	v_pk_mul_f32 v[118:119], v[94:95], v[126:127] op_sel_hi:[0,1]
	v_pk_fma_f32 v[114:115], v[6:7], v[116:117], v[114:115]
	v_pk_mul_f32 v[116:117], v[94:95], v[76:77] op_sel_hi:[0,1]
	scratch_load_b128 v[4:7], off, s32 offset:2284 ; 16-byte Folded Reload
	v_pk_fma_f32 v[102:103], v[8:9], v[118:119], v[102:103]
	v_pk_mul_f32 v[118:119], v[94:95], v[122:123] op_sel_hi:[0,1]
	v_pk_fma_f32 v[114:115], v[10:11], v[116:117], v[114:115]
	;; [unrolled: 5-line block ×4, first 2 shown]
	v_pk_mul_f32 v[116:117], v[94:95], v[108:109] op_sel_hi:[0,1]
	scratch_load_b128 v[16:19], off, s32 offset:2348 ; 16-byte Folded Reload
	v_pk_fma_f32 v[102:103], v[20:21], v[118:119], v[102:103]
	v_pk_mul_f32 v[118:119], v[94:95], v[24:25] op_sel_hi:[0,1]
	scratch_load_b128 v[24:27], off, s32 offset:2252 ; 16-byte Folded Reload
	v_pk_fma_f32 v[114:115], v[22:23], v[116:117], v[114:115]
	v_pk_mul_f32 v[116:117], v[94:95], v[90:91] op_sel_hi:[0,1]
	scratch_load_b128 v[20:23], off, s32 offset:2364 ; 16-byte Folded Reload
	s_wait_loadcnt 0x1
	v_pk_fma_f32 v[102:103], v[24:25], v[118:119], v[102:103]
	v_pk_fma_f32 v[114:115], v[26:27], v[116:117], v[114:115]
	scratch_load_b128 v[116:119], off, s32 offset:2388 ; 16-byte Folded Reload
	v_pk_mul_f32 v[26:27], v[94:95], v[36:37] op_sel_hi:[0,1]
	v_pk_mul_f32 v[36:37], v[94:95], v[38:39] op_sel_hi:[0,1]
	v_pk_fma_f32 v[52:53], v[0:1], v[52:53], v[102:103]
	v_pk_mul_f32 v[102:103], v[94:95], v[40:41] op_sel_hi:[0,1]
	scratch_load_b128 v[38:41], off, s32 offset:2404 ; 16-byte Folded Reload
	v_pk_fma_f32 v[30:31], v[2:3], v[30:31], v[114:115]
	scratch_load_b64 v[2:3], off, s32 offset:924 th:TH_LOAD_LU ; 8-byte Folded Reload
	v_pk_mul_f32 v[0:1], v[94:95], v[98:99] op_sel_hi:[0,1]
	v_pk_fma_f32 v[52:53], v[4:5], v[102:103], v[52:53]
	v_pk_mul_f32 v[102:103], v[94:95], v[112:113] op_sel_hi:[0,1]
	s_delay_alu instid0(VALU_DEP_1) | instskip(NEXT) | instid1(VALU_DEP_1)
	v_pk_fma_f32 v[52:53], v[8:9], v[102:103], v[52:53]
	v_pk_fma_f32 v[52:53], v[12:13], v[96:97], v[52:53]
	v_pk_mul_f32 v[12:13], v[94:95], v[50:51] op_sel_hi:[0,1]
	s_delay_alu instid0(VALU_DEP_2)
	v_pk_fma_f32 v[26:27], v[16:17], v[26:27], v[52:53]
	v_pk_mul_f32 v[16:17], v[94:95], v[34:35] op_sel_hi:[0,1]
	scratch_load_b128 v[50:53], off, s32 offset:2612 ; 16-byte Folded Reload
	s_wait_loadcnt 0x4
	v_pk_fma_f32 v[26:27], v[20:21], v[36:37], v[26:27]
	v_pk_mul_f32 v[36:37], v[94:95], v[78:79] op_sel_hi:[0,1]
	scratch_load_b128 v[76:79], off, s32 offset:2436 ; 16-byte Folded Reload
	v_pk_fma_f32 v[16:17], v[6:7], v[16:17], v[30:31]
	s_clause 0x1
	scratch_load_b128 v[30:33], off, s32 offset:2532
	scratch_load_b128 v[6:9], off, s32 offset:2468
	v_pk_fma_f32 v[12:13], v[10:11], v[12:13], v[16:17]
	v_pk_mul_f32 v[16:17], v[94:95], v[64:65] op_sel_hi:[0,1]
	v_pk_mul_f32 v[10:11], v[94:95], v[84:85] op_sel_hi:[0,1]
	s_delay_alu instid0(VALU_DEP_2)
	v_pk_fma_f32 v[12:13], v[14:15], v[16:17], v[12:13]
	v_pk_mul_f32 v[16:17], v[94:95], v[66:67] op_sel_hi:[0,1]
	scratch_load_b128 v[64:67], off, s32 offset:2628 ; 16-byte Folded Reload
	v_pk_fma_f32 v[12:13], v[18:19], v[16:17], v[12:13]
	scratch_load_b128 v[18:21], off, s32 offset:2484 ; 16-byte Folded Reload
	v_pk_mul_f32 v[16:17], v[94:95], v[74:75] op_sel_hi:[0,1]
	s_delay_alu instid0(VALU_DEP_1)
	v_pk_fma_f32 v[12:13], v[22:23], v[16:17], v[12:13]
	v_pk_mul_f32 v[16:17], v[94:95], v[58:59] op_sel_hi:[0,1]
	scratch_load_b128 v[22:25], off, s32 offset:2500 ; 16-byte Folded Reload
	s_wait_loadcnt 0x9
	v_pk_fma_f32 v[26:27], v[116:117], v[36:37], v[26:27]
	v_pk_mul_f32 v[36:37], v[94:95], v[62:63] op_sel_hi:[0,1]
	v_pk_fma_f32 v[12:13], v[118:119], v[16:17], v[12:13]
	v_pk_mul_f32 v[16:17], v[94:95], v[104:105] op_sel_hi:[0,1]
	s_wait_loadcnt 0x8
	s_delay_alu instid0(VALU_DEP_3) | instskip(SKIP_1) | instid1(VALU_DEP_3)
	v_pk_fma_f32 v[26:27], v[38:39], v[36:37], v[26:27]
	v_pk_mul_f32 v[36:37], v[94:95], v[46:47] op_sel_hi:[0,1]
	v_pk_fma_f32 v[12:13], v[40:41], v[16:17], v[12:13]
	v_pk_mul_f32 v[16:17], v[94:95], v[88:89] op_sel_hi:[0,1]
	s_delay_alu instid0(VALU_DEP_3)
	v_pk_fma_f32 v[26:27], v[42:43], v[36:37], v[26:27]
	v_pk_mul_f32 v[36:37], v[94:95], v[92:93] op_sel_hi:[0,1]
	scratch_load_b128 v[90:93], off, s32 offset:2452 ; 16-byte Folded Reload
	v_pk_fma_f32 v[12:13], v[44:45], v[16:17], v[12:13]
	v_pk_mul_f32 v[16:17], v[94:95], v[100:101] op_sel_hi:[0,1]
	s_wait_loadcnt 0x6
	v_pk_fma_f32 v[26:27], v[76:77], v[36:37], v[26:27]
	v_pk_mul_f32 v[36:37], v[94:95], v[72:73] op_sel_hi:[0,1]
	v_pk_fma_f32 v[0:1], v[78:79], v[0:1], v[12:13]
	v_pk_mul_f32 v[12:13], v[94:95], v[82:83] op_sel_hi:[0,1]
	s_wait_loadcnt 0x0
	s_delay_alu instid0(VALU_DEP_3) | instskip(NEXT) | instid1(VALU_DEP_2)
	v_pk_fma_f32 v[26:27], v[90:91], v[36:37], v[26:27]
	v_pk_fma_f32 v[0:1], v[92:93], v[12:13], v[0:1]
	v_pk_mul_f32 v[12:13], v[94:95], v[70:71] op_sel_hi:[0,1]
	scratch_load_b128 v[34:37], off, s32 offset:2596 ; 16-byte Folded Reload
	v_pk_fma_f32 v[12:13], v[6:7], v[12:13], v[26:27]
	scratch_load_b128 v[26:29], off, s32 offset:2516 ; 16-byte Folded Reload
	v_pk_mul_f32 v[6:7], v[94:95], v[86:87] op_sel_hi:[0,1]
	v_pk_fma_f32 v[12:13], v[18:19], v[16:17], v[12:13]
	v_pk_mul_f32 v[16:17], v[94:95], v[2:3] op_sel_hi:[0,1]
	scratch_load_b64 v[2:3], off, s32 offset:996 th:TH_LOAD_LU ; 8-byte Folded Reload
	v_pk_fma_f32 v[12:13], v[22:23], v[16:17], v[12:13]
	v_pk_mul_f32 v[16:17], v[94:95], v[54:55] op_sel_hi:[0,1]
	s_wait_loadcnt 0x1
	s_delay_alu instid0(VALU_DEP_1)
	v_pk_fma_f32 v[12:13], v[26:27], v[16:17], v[12:13]
	s_wait_loadcnt 0x0
	v_pk_mul_f32 v[16:17], v[94:95], v[2:3] op_sel_hi:[0,1]
	scratch_load_b64 v[2:3], off, s32 offset:1060 th:TH_LOAD_LU ; 8-byte Folded Reload
	v_pk_fma_f32 v[12:13], v[30:31], v[16:17], v[12:13]
	scratch_load_b128 v[14:17], off, s32 offset:2548 ; 16-byte Folded Reload
	s_wait_loadcnt 0x1
	v_pk_mul_f32 v[4:5], v[94:95], v[2:3] op_sel_hi:[0,1]
	scratch_load_b64 v[2:3], off, s32 offset:1124 th:TH_LOAD_LU ; 8-byte Folded Reload
	s_wait_loadcnt 0x1
	v_pk_fma_f32 v[10:11], v[14:15], v[10:11], v[12:13]
	scratch_load_b128 v[12:15], off, s32 offset:2564 ; 16-byte Folded Reload
	s_wait_loadcnt 0x0
	v_pk_fma_f32 v[4:5], v[12:13], v[4:5], v[10:11]
	scratch_load_b128 v[10:13], off, s32 offset:2580 ; 16-byte Folded Reload
	s_wait_loadcnt 0x0
	v_pk_fma_f32 v[4:5], v[10:11], v[6:7], v[4:5]
	v_pk_mul_f32 v[6:7], v[94:95], v[2:3] op_sel_hi:[0,1]
	scratch_load_b64 v[2:3], off, s32 offset:1156 th:TH_LOAD_LU ; 8-byte Folded Reload
	v_pk_fma_f32 v[4:5], v[34:35], v[6:7], v[4:5]
	s_wait_loadcnt 0x0
	v_pk_mul_f32 v[6:7], v[94:95], v[2:3] op_sel_hi:[0,1]
	scratch_load_b64 v[2:3], off, s32 offset:1188 th:TH_LOAD_LU ; 8-byte Folded Reload
	v_pk_fma_f32 v[4:5], v[50:51], v[6:7], v[4:5]
	s_wait_loadcnt 0x0
	v_pk_mul_f32 v[6:7], v[94:95], v[2:3] op_sel_hi:[0,1]
	scratch_load_b64 v[2:3], off, s32 offset:956 th:TH_LOAD_LU ; 8-byte Folded Reload
	v_pk_fma_f32 v[4:5], v[64:65], v[6:7], v[4:5]
	v_pk_mul_f32 v[6:7], v[94:95], v[56:57] op_sel_hi:[0,1]
	s_delay_alu instid0(VALU_DEP_1)
	v_pk_fma_f32 v[0:1], v[8:9], v[6:7], v[0:1]
	v_pk_mul_f32 v[6:7], v[94:95], v[48:49] op_sel_hi:[0,1]
	s_clause 0x1
	scratch_load_b128 v[8:11], off, s32 offset:2644
	scratch_load_b128 v[48:51], off, s32 offset:2772
	v_pk_fma_f32 v[0:1], v[20:21], v[6:7], v[0:1]
	v_pk_mul_f32 v[6:7], v[94:95], v[80:81] op_sel_hi:[0,1]
	scratch_load_b128 v[20:23], off, s32 offset:2692 ; 16-byte Folded Reload
	v_pk_fma_f32 v[0:1], v[24:25], v[6:7], v[0:1]
	scratch_load_b128 v[24:27], off, s32 offset:2708 ; 16-byte Folded Reload
	s_wait_loadcnt 0x4
	v_pk_mul_f32 v[6:7], v[94:95], v[2:3] op_sel_hi:[0,1]
	scratch_load_b64 v[2:3], off, s32 offset:988 th:TH_LOAD_LU ; 8-byte Folded Reload
	v_pk_fma_f32 v[0:1], v[28:29], v[6:7], v[0:1]
	scratch_load_b128 v[28:31], off, s32 offset:2724 ; 16-byte Folded Reload
	s_wait_loadcnt 0x1
	v_pk_mul_f32 v[6:7], v[94:95], v[2:3] op_sel_hi:[0,1]
	scratch_load_b64 v[2:3], off, s32 offset:1020 th:TH_LOAD_LU ; 8-byte Folded Reload
	v_pk_fma_f32 v[0:1], v[32:33], v[6:7], v[0:1]
	scratch_load_b128 v[32:35], off, s32 offset:2740 ; 16-byte Folded Reload
	s_wait_loadcnt 0x1
	v_pk_mul_f32 v[6:7], v[94:95], v[2:3] op_sel_hi:[0,1]
	scratch_load_b64 v[2:3], off, s32 offset:1052 th:TH_LOAD_LU ; 8-byte Folded Reload
	v_pk_fma_f32 v[0:1], v[16:17], v[6:7], v[0:1]
	scratch_load_b128 v[16:19], off, s32 offset:2676 ; 16-byte Folded Reload
	s_wait_loadcnt 0x1
	v_pk_mul_f32 v[6:7], v[94:95], v[2:3] op_sel_hi:[0,1]
	scratch_load_b64 v[2:3], off, s32 offset:1084 th:TH_LOAD_LU ; 8-byte Folded Reload
	v_pk_fma_f32 v[0:1], v[14:15], v[6:7], v[0:1]
	s_wait_loadcnt 0x0
	v_pk_mul_f32 v[6:7], v[94:95], v[2:3] op_sel_hi:[0,1]
	scratch_load_b64 v[2:3], off, s32 offset:1116 th:TH_LOAD_LU ; 8-byte Folded Reload
	v_pk_fma_f32 v[0:1], v[12:13], v[6:7], v[0:1]
	scratch_load_b128 v[12:15], off, s32 offset:2660 ; 16-byte Folded Reload
	s_wait_loadcnt 0x1
	v_pk_mul_f32 v[6:7], v[94:95], v[2:3] op_sel_hi:[0,1]
	scratch_load_b64 v[2:3], off, s32 offset:1148 th:TH_LOAD_LU ; 8-byte Folded Reload
	v_pk_fma_f32 v[0:1], v[36:37], v[6:7], v[0:1]
	scratch_load_b128 v[36:39], off, s32 offset:2756 ; 16-byte Folded Reload
	;; [unrolled: 5-line block ×4, first 2 shown]
	s_wait_loadcnt 0x1
	v_pk_mul_f32 v[6:7], v[94:95], v[2:3] op_sel_hi:[0,1]
	scratch_load_b64 v[2:3], off, s32 offset:1252 th:TH_LOAD_LU ; 8-byte Folded Reload
	v_pk_fma_f32 v[4:5], v[8:9], v[6:7], v[4:5]
	s_wait_loadcnt 0x0
	v_pk_mul_f32 v[6:7], v[94:95], v[2:3] op_sel_hi:[0,1]
	scratch_load_b64 v[2:3], off, s32 offset:1284 th:TH_LOAD_LU ; 8-byte Folded Reload
	v_pk_fma_f32 v[4:5], v[12:13], v[6:7], v[4:5]
	;; [unrolled: 4-line block ×12, first 2 shown]
	scratch_load_b128 v[8:11], off, s32 offset:2820 ; 16-byte Folded Reload
	s_wait_loadcnt 0x1
	v_pk_mul_f32 v[6:7], v[94:95], v[2:3] op_sel_hi:[0,1]
	scratch_load_b64 v[2:3], off, s32 offset:1276 th:TH_LOAD_LU ; 8-byte Folded Reload
	v_pk_fma_f32 v[0:1], v[14:15], v[6:7], v[0:1]
	scratch_load_b128 v[12:15], off, s32 offset:2836 ; 16-byte Folded Reload
	s_wait_loadcnt 0x1
	v_pk_mul_f32 v[6:7], v[94:95], v[2:3] op_sel_hi:[0,1]
	scratch_load_b64 v[2:3], off, s32 offset:1308 th:TH_LOAD_LU ; 8-byte Folded Reload
	v_pk_fma_f32 v[0:1], v[18:19], v[6:7], v[0:1]
	;; [unrolled: 5-line block ×11, first 2 shown]
	s_wait_loadcnt 0x0
	v_pk_mul_f32 v[6:7], v[94:95], v[2:3] op_sel_hi:[0,1]
	scratch_load_b64 v[2:3], off, s32 offset:1636 th:TH_LOAD_LU ; 8-byte Folded Reload
	v_pk_fma_f32 v[4:5], v[12:13], v[6:7], v[4:5]
	s_wait_loadcnt 0x0
	v_pk_mul_f32 v[6:7], v[94:95], v[2:3] op_sel_hi:[0,1]
	scratch_load_b64 v[2:3], off, s32 offset:1668 th:TH_LOAD_LU ; 8-byte Folded Reload
	v_pk_fma_f32 v[4:5], v[16:17], v[6:7], v[4:5]
	;; [unrolled: 4-line block ×11, first 2 shown]
	scratch_load_b128 v[8:11], off, s32 offset:2996 ; 16-byte Folded Reload
	s_wait_loadcnt 0x1
	v_pk_mul_f32 v[6:7], v[94:95], v[2:3] op_sel_hi:[0,1]
	scratch_load_b64 v[2:3], off, s32 offset:1628 th:TH_LOAD_LU ; 8-byte Folded Reload
	v_pk_fma_f32 v[0:1], v[14:15], v[6:7], v[0:1]
	scratch_load_b128 v[12:15], off, s32 offset:3012 ; 16-byte Folded Reload
	s_wait_loadcnt 0x1
	v_pk_mul_f32 v[6:7], v[94:95], v[2:3] op_sel_hi:[0,1]
	scratch_load_b64 v[2:3], off, s32 offset:1660 th:TH_LOAD_LU ; 8-byte Folded Reload
	v_pk_fma_f32 v[0:1], v[18:19], v[6:7], v[0:1]
	;; [unrolled: 5-line block ×11, first 2 shown]
	v_pk_mul_f32 v[8:9], v[94:95], v[60:61] op_sel_hi:[0,1]
	s_wait_loadcnt 0x0
	v_pk_mul_f32 v[6:7], v[94:95], v[2:3] op_sel_hi:[0,1]
	scratch_load_b64 v[2:3], off, s32 offset:2020 th:TH_LOAD_LU ; 8-byte Folded Reload
	v_pk_fma_f32 v[4:5], v[12:13], v[6:7], v[4:5]
	s_wait_loadcnt 0x0
	v_pk_mul_f32 v[6:7], v[94:95], v[2:3] op_sel_hi:[0,1]
	scratch_load_b64 v[2:3], off, s32 offset:2004 th:TH_LOAD_LU ; 8-byte Folded Reload
	v_pk_fma_f32 v[4:5], v[16:17], v[6:7], v[4:5]
	;; [unrolled: 4-line block ×11, first 2 shown]
	scratch_load_b128 v[10:13], off, s32 offset:3172 ; 16-byte Folded Reload
	s_wait_loadcnt 0x1
	v_pk_mul_f32 v[6:7], v[94:95], v[2:3] op_sel_hi:[0,1]
	scratch_load_b64 v[2:3], off, s32 offset:1996 th:TH_LOAD_LU ; 8-byte Folded Reload
	v_pk_fma_f32 v[0:1], v[14:15], v[6:7], v[0:1]
	s_wait_loadcnt 0x0
	v_pk_mul_f32 v[6:7], v[94:95], v[2:3] op_sel_hi:[0,1]
	scratch_load_b64 v[2:3], off, s32 offset:1980 th:TH_LOAD_LU ; 8-byte Folded Reload
	v_pk_fma_f32 v[0:1], v[18:19], v[6:7], v[0:1]
	;; [unrolled: 4-line block ×9, first 2 shown]
	s_wait_loadcnt 0x0
	v_pk_mul_f32 v[6:7], v[94:95], v[2:3] op_sel_hi:[0,1]
	v_pk_mul_f32 v[2:3], v[94:95], v[68:69] op_sel_hi:[0,1]
	s_delay_alu instid0(VALU_DEP_2) | instskip(NEXT) | instid1(VALU_DEP_2)
	v_pk_fma_f32 v[0:1], v[66:67], v[6:7], v[0:1]
	v_pk_fma_f32 v[2:3], v[10:11], v[2:3], v[4:5]
	s_delay_alu instid0(VALU_DEP_2) | instskip(NEXT) | instid1(VALU_DEP_2)
	v_pk_fma_f32 v[0:1], v[12:13], v[8:9], v[0:1]
	v_add_f32_e32 v2, v2, v3
	s_delay_alu instid0(VALU_DEP_1) | instskip(NEXT) | instid1(VALU_DEP_1)
	v_add_f32_e32 v0, v0, v2
	v_add_f32_e32 v0, v1, v0
	s_clause 0x4
	scratch_load_b64 v[10:11], off, s32 offset:1852
	scratch_load_b32 v1, off, s32 offset:2228
	scratch_load_b32 v2, off, s32 offset:2100
	;; [unrolled: 1-line block ×3, first 2 shown]
	scratch_load_b32 v7, off, s32 offset:1844 th:TH_LOAD_LU
	s_load_b32 s14, s[6:7], 0x0
	s_wait_loadcnt 0x3
	v_add_nc_u32_e32 v1, v1, v10
	s_delay_alu instid0(VALU_DEP_1) | instskip(SKIP_1) | instid1(VALU_DEP_1)
	v_cvt_f32_i32_e32 v1, v1
	s_wait_loadcnt 0x2
	v_mul_f32_e32 v1, v2, v1
	scratch_load_b32 v2, off, s32 offset:2124 ; 4-byte Folded Reload
	v_cndmask_b32_e32 v1, 0, v1, vcc_lo
	s_wait_loadcnt 0x0
	s_delay_alu instid0(VALU_DEP_1)
	v_fmac_f32_e32 v1, v2, v0
	s_clause 0x1
	scratch_load_b32 v0, off, s32 offset:2316
	scratch_load_b64 v[2:3], off, s32 offset:1820
	s_wait_loadcnt 0x1
	v_add_nc_u32_e32 v0, v0, v10
	s_wait_loadcnt 0x0
	s_delay_alu instid0(VALU_DEP_1) | instskip(SKIP_2) | instid1(VALU_DEP_2)
	v_cmp_lt_i32_e64 s1, v0, v2
	s_wait_kmcnt 0x0
	v_add_nc_u32_e32 v0, s14, v9
	v_cndmask_b32_e64 v2, 0, v1, s1
	ds_store_b32 v0, v2
	v_max_num_f32_e32 v0, v7, v7
	s_delay_alu instid0(VALU_DEP_1) | instskip(NEXT) | instid1(VALU_DEP_1)
	v_max_num_f32_e32 v0, v0, v1
	v_cndmask_b32_e64 v7, v7, v0, s1
.LBB216_14:                             ;   in Loop: Header=BB216_15 Depth=1
	s_wait_xcnt 0x0
	s_or_b32 exec_lo, exec_lo, s2
	s_clause 0x1
	scratch_load_b32 v6, off, s32 offset:212
	scratch_load_b32 v0, off, s32 offset:200
	v_add_nc_u32_e32 v10, 0x80, v10
	v_add_nc_u32_e32 v9, 0x200, v9
	s_wait_loadcnt 0x1
	v_add_nc_u32_e32 v6, 4, v6
	s_wait_loadcnt 0x0
	s_delay_alu instid0(VALU_DEP_1)
	v_cmp_ge_i32_e64 s1, v6, v0
	scratch_load_b64 v[0:1], off, s32 offset:204 ; 8-byte Folded Reload
	s_or_b32 s9, s1, s9
	s_wait_loadcnt 0x0
	v_add_nc_u64_e32 v[0:1], 16, v[0:1]
	s_clause 0x1
	scratch_store_b64 off, v[0:1], s32 offset:204
	scratch_load_b64 v[0:1], off, s32 offset:192
	s_wait_xcnt 0x0
	s_and_not1_b32 exec_lo, exec_lo, s9
	s_cbranch_execz .LBB216_2063
.LBB216_15:                             ; =>This Inner Loop Header: Depth=1
	s_wait_loadcnt 0x0
	v_dual_mov_b32 v11, v1 :: v_dual_mov_b32 v13, v1
	s_clause 0x1
	scratch_load_b64 v[0:1], off, s32 offset:224
	scratch_load_b32 v4, off, s32 offset:220
	s_wait_loadcnt 0x1
	v_mul_u64_e32 v[0:1], v[10:11], v[0:1]
	s_wait_loadcnt 0x0
	s_delay_alu instid0(VALU_DEP_1) | instskip(NEXT) | instid1(VALU_DEP_1)
	v_mul_lo_u32 v0, v1, v4
	v_dual_add_nc_u32 v2, 1, v1 :: v_dual_sub_nc_u32 v0, v10, v0
	s_delay_alu instid0(VALU_DEP_1) | instskip(NEXT) | instid1(VALU_DEP_1)
	v_cmp_ge_u32_e64 s1, v0, v4
	v_dual_sub_nc_u32 v3, v0, v4 :: v_dual_cndmask_b32 v1, v1, v2, s1
	s_delay_alu instid0(VALU_DEP_1) | instskip(NEXT) | instid1(VALU_DEP_1)
	v_dual_cndmask_b32 v0, v0, v3, s1 :: v_dual_add_nc_u32 v2, 1, v1
	v_cmp_ge_u32_e64 s1, v0, v4
	scratch_load_b32 v4, off, s32 offset:1828 ; 4-byte Folded Reload
	v_cndmask_b32_e64 v0, v1, v2, s1
	scratch_load_b32 v1, off, s32 offset:232 ; 4-byte Folded Reload
	s_wait_loadcnt 0x0
	v_xor_b32_e32 v0, v0, v1
	s_delay_alu instid0(VALU_DEP_1) | instskip(SKIP_3) | instid1(VALU_DEP_1)
	v_sub_nc_u32_e32 v2, v0, v1
	scratch_load_b32 v0, off, s32 offset:236 ; 4-byte Folded Reload
	s_wait_loadcnt 0x0
	v_add_nc_u32_e32 v3, v2, v0
	v_sub_nc_u32_e32 v0, 0, v3
	s_delay_alu instid0(VALU_DEP_1) | instskip(SKIP_3) | instid1(VALU_DEP_1)
	v_max_i32_e32 v12, v3, v0
	scratch_load_b64 v[0:1], off, s32 offset:1836 ; 8-byte Folded Reload
	s_wait_loadcnt 0x0
	v_mul_u64_e32 v[0:1], v[12:13], v[0:1]
	v_mul_lo_u32 v0, v1, v4
	v_mov_b32_e32 v1, v13
	s_clause 0x1
	scratch_store_b32 off, v6, s32 offset:212
	scratch_store_b64 off, v[0:1], s32 offset:192
	s_wait_xcnt 0x0
	v_dual_sub_nc_u32 v0, v12, v0 :: v_dual_ashrrev_i32 v3, 31, v3
	s_delay_alu instid0(VALU_DEP_1) | instskip(SKIP_1) | instid1(VALU_DEP_1)
	v_sub_nc_u32_e32 v1, v0, v4
	v_cmp_ge_u32_e64 s1, v0, v4
	v_cndmask_b32_e64 v0, v0, v1, s1
	s_delay_alu instid0(VALU_DEP_1) | instskip(SKIP_1) | instid1(VALU_DEP_1)
	v_sub_nc_u32_e32 v1, v0, v4
	v_cmp_ge_u32_e64 s1, v0, v4
	v_cndmask_b32_e64 v0, v0, v1, s1
	s_delay_alu instid0(VALU_DEP_1) | instskip(NEXT) | instid1(VALU_DEP_1)
	v_xor_b32_e32 v0, v0, v3
	v_sub_nc_u32_e32 v0, v0, v3
	s_delay_alu instid0(VALU_DEP_1)
	v_cmp_ne_u32_e64 s1, 0, v0
	scratch_load_b32 v0, off, s32 offset:240 ; 4-byte Folded Reload
	s_wait_loadcnt 0x0
	v_cmp_le_i32_e64 s2, v2, v0
	s_and_b32 s1, s1, s2
	s_wait_xcnt 0x0
	s_and_saveexec_b32 s2, s1
	s_delay_alu instid0(SALU_CYCLE_1)
	s_xor_b32 s1, exec_lo, s2
	s_cbranch_execz .LBB216_17
; %bb.16:                               ;   in Loop: Header=BB216_15 Depth=1
	s_wait_kmcnt 0x0
	v_dual_mov_b32 v1, 0xff7fffff :: v_dual_add_nc_u32 v0, s8, v9
	ds_store_b32 v0, v1
.LBB216_17:                             ;   in Loop: Header=BB216_15 Depth=1
	s_and_not1_saveexec_b32 s2, s1
	s_cbranch_execz .LBB216_14
; %bb.18:                               ;   in Loop: Header=BB216_15 Depth=1
	s_clause 0x3
	scratch_store_b32 off, v9, s32 offset:1860
	scratch_store_b64 off, v[10:11], s32 offset:1852
	scratch_store_b32 off, v7, s32 offset:1844
	scratch_load_b64 v[0:1], off, s32 offset:204
	s_mov_b32 s14, exec_lo
	s_wait_loadcnt 0x0
	flat_load_b32 v0, v[0:1]
	s_clause 0x1
	scratch_load_b64 v[2:3], off, s32 offset:2060
	scratch_load_b64 v[4:5], off, s32 offset:2380
	s_wait_loadcnt_dscnt 0x0
	v_mad_nc_i64_i32 v[84:85], v0, v2, v[4:5]
	flat_load_b32 v0, v[84:85]
	scratch_load_b64 v[2:3], off, s32 offset:2108 ; 8-byte Folded Reload
	s_wait_loadcnt_dscnt 0x100
	v_and_b32_e32 v1, 0xff, v0
	s_wait_loadcnt 0x0
	flat_load_b32 v2, v[2:3]
	s_wait_loadcnt_dscnt 0x0
	scratch_store_b64 off, v[2:3], s32 offset:1868 ; 8-byte Folded Spill
	s_wait_xcnt 0x0
	v_mov_b64_e32 v[2:3], 0
	scratch_store_b64 off, v[2:3], s32 offset:252 ; 8-byte Folded Spill
	s_wait_xcnt 0x0
	v_mov_b64_e32 v[2:3], 0
	scratch_store_b64 off, v[2:3], s32 offset:260 ; 8-byte Folded Spill
	s_wait_xcnt 0x0
	v_cmpx_ne_u16_e32 0, v1
	s_cbranch_execz .LBB216_26
; %bb.19:                               ;   in Loop: Header=BB216_15 Depth=1
	v_mov_b64_e32 v[2:3], 0x80000000
	s_mov_b32 s15, exec_lo
	scratch_store_b64 off, v[2:3], s32 offset:260 ; 8-byte Folded Spill
	s_wait_xcnt 0x0
	v_cmpx_ne_u16_e32 0x80, v1
	s_cbranch_execz .LBB216_25
; %bb.20:                               ;   in Loop: Header=BB216_15 Depth=1
	v_mov_b64_e32 v[4:5], 0x7f800001
	v_and_b32_e32 v2, 0x7f, v0
	s_mov_b32 s16, exec_lo
	scratch_store_b64 off, v[4:5], s32 offset:260 ; 8-byte Folded Spill
	s_wait_xcnt 0x0
	v_cmpx_ne_u32_e32 0x7f, v2
	s_cbranch_execz .LBB216_24
; %bb.21:                               ;   in Loop: Header=BB216_15 Depth=1
	scratch_load_b64 v[4:5], off, s32 offset:192 th:TH_LOAD_LU ; 8-byte Folded Reload
	s_wait_loadcnt 0x0
	v_dual_lshrrev_b32 v1, 3, v2 :: v_dual_bitop2_b32 v4, 7, v0 bitop3:0x40
	s_mov_b32 s17, exec_lo
	s_wait_xcnt 0x0
	v_cmpx_gt_u32_e32 8, v2
; %bb.22:                               ;   in Loop: Header=BB216_15 Depth=1
	s_delay_alu instid0(VALU_DEP_2) | instskip(NEXT) | instid1(VALU_DEP_1)
	v_clz_i32_u32_e32 v1, v4
	v_min_u32_e32 v1, 32, v1
	s_delay_alu instid0(VALU_DEP_1) | instskip(NEXT) | instid1(VALU_DEP_1)
	v_subrev_nc_u32_e32 v2, 28, v1
	v_lshlrev_b64_e32 v[2:3], v2, v[4:5]
	s_delay_alu instid0(VALU_DEP_1)
	v_dual_sub_nc_u32 v1, 29, v1 :: v_dual_bitop2_b32 v4, 7, v2 bitop3:0x40
; %bb.23:                               ;   in Loop: Header=BB216_15 Depth=1
	s_or_b32 exec_lo, exec_lo, s17
	v_lshlrev_b32_e32 v2, 24, v0
	s_delay_alu instid0(VALU_DEP_2) | instskip(NEXT) | instid1(VALU_DEP_3)
	v_lshlrev_b32_e32 v3, 20, v4
	v_lshl_add_u32 v1, v1, 23, 0x3c000000
	s_delay_alu instid0(VALU_DEP_3) | instskip(NEXT) | instid1(VALU_DEP_1)
	v_and_b32_e32 v2, 0x80000000, v2
	v_or3_b32 v4, v3, v2, v1
	v_mov_b32_e32 v1, v5
	s_clause 0x1
	scratch_store_b64 off, v[0:1], s32 offset:192
	scratch_store_b64 off, v[4:5], s32 offset:260
.LBB216_24:                             ;   in Loop: Header=BB216_15 Depth=1
	s_wait_xcnt 0x0
	s_or_b32 exec_lo, exec_lo, s16
.LBB216_25:                             ;   in Loop: Header=BB216_15 Depth=1
	s_delay_alu instid0(SALU_CYCLE_1)
	s_or_b32 exec_lo, exec_lo, s15
.LBB216_26:                             ;   in Loop: Header=BB216_15 Depth=1
	s_delay_alu instid0(SALU_CYCLE_1) | instskip(SKIP_2) | instid1(VALU_DEP_1)
	s_or_b32 exec_lo, exec_lo, s14
	v_lshrrev_b16 v1, 8, v0
	s_mov_b32 s14, exec_lo
	v_cmpx_ne_u16_e32 0, v1
	s_cbranch_execz .LBB216_34
; %bb.27:                               ;   in Loop: Header=BB216_15 Depth=1
	v_mov_b64_e32 v[2:3], 0x8000000000000000
	s_mov_b32 s15, exec_lo
	scratch_store_b64 off, v[2:3], s32 offset:252 ; 8-byte Folded Spill
	s_wait_xcnt 0x0
	v_cmpx_ne_u16_e32 0x80, v1
	s_cbranch_execz .LBB216_33
; %bb.28:                               ;   in Loop: Header=BB216_15 Depth=1
	v_and_b32_e32 v1, 0xffff, v1
	v_mov_b64_e32 v[4:5], 0x7f80000100000000
	s_mov_b32 s16, exec_lo
	s_delay_alu instid0(VALU_DEP_2)
	v_and_b32_e32 v2, 0x7f, v1
	scratch_store_b64 off, v[4:5], s32 offset:252 ; 8-byte Folded Spill
	s_wait_xcnt 0x0
	v_cmpx_ne_u32_e32 0x7f, v2
	s_cbranch_execz .LBB216_32
; %bb.29:                               ;   in Loop: Header=BB216_15 Depth=1
	scratch_load_b64 v[4:5], off, s32 offset:192 th:TH_LOAD_LU ; 8-byte Folded Reload
	s_wait_loadcnt 0x0
	v_dual_lshrrev_b32 v1, 3, v2 :: v_dual_bitop2_b32 v4, 7, v1 bitop3:0x40
	s_mov_b32 s17, exec_lo
	s_wait_xcnt 0x0
	v_cmpx_gt_u32_e32 8, v2
; %bb.30:                               ;   in Loop: Header=BB216_15 Depth=1
	s_delay_alu instid0(VALU_DEP_2) | instskip(NEXT) | instid1(VALU_DEP_1)
	v_clz_i32_u32_e32 v1, v4
	v_min_u32_e32 v1, 32, v1
	s_delay_alu instid0(VALU_DEP_1) | instskip(NEXT) | instid1(VALU_DEP_1)
	v_subrev_nc_u32_e32 v2, 28, v1
	v_lshlrev_b64_e32 v[2:3], v2, v[4:5]
	s_delay_alu instid0(VALU_DEP_1)
	v_dual_sub_nc_u32 v1, 29, v1 :: v_dual_bitop2_b32 v4, 7, v2 bitop3:0x40
; %bb.31:                               ;   in Loop: Header=BB216_15 Depth=1
	s_or_b32 exec_lo, exec_lo, s17
	v_lshlrev_b32_e32 v2, 16, v0
	s_delay_alu instid0(VALU_DEP_2) | instskip(NEXT) | instid1(VALU_DEP_3)
	v_lshlrev_b32_e32 v3, 20, v4
	v_lshl_add_u32 v1, v1, 23, 0x3c000000
	s_delay_alu instid0(VALU_DEP_3) | instskip(NEXT) | instid1(VALU_DEP_1)
	v_and_b32_e32 v2, 0x80000000, v2
	v_or3_b32 v3, v3, v2, v1
	v_dual_mov_b32 v1, v5 :: v_dual_mov_b32 v2, v5
	s_clause 0x1
	scratch_store_b64 off, v[0:1], s32 offset:192
	scratch_store_b64 off, v[2:3], s32 offset:252
.LBB216_32:                             ;   in Loop: Header=BB216_15 Depth=1
	s_wait_xcnt 0x0
	s_or_b32 exec_lo, exec_lo, s16
.LBB216_33:                             ;   in Loop: Header=BB216_15 Depth=1
	s_delay_alu instid0(SALU_CYCLE_1)
	s_or_b32 exec_lo, exec_lo, s15
.LBB216_34:                             ;   in Loop: Header=BB216_15 Depth=1
	s_delay_alu instid0(SALU_CYCLE_1) | instskip(SKIP_3) | instid1(VALU_DEP_1)
	s_or_b32 exec_lo, exec_lo, s14
	v_mov_b64_e32 v[4:5], 0
	v_lshrrev_b32_e32 v1, 16, v0
	s_mov_b32 s14, exec_lo
	v_and_b32_e32 v2, 0xff, v1
	scratch_store_b64 off, v[4:5], s32 offset:268 ; 8-byte Folded Spill
	s_wait_xcnt 0x0
	v_mov_b64_e32 v[4:5], 0
	scratch_store_b64 off, v[4:5], s32 offset:276 ; 8-byte Folded Spill
	s_wait_xcnt 0x0
	v_cmpx_ne_u16_e32 0, v2
	s_cbranch_execz .LBB216_42
; %bb.35:                               ;   in Loop: Header=BB216_15 Depth=1
	v_cmp_ne_u16_e64 s1, 0x80, v2
	v_mov_b64_e32 v[2:3], 0x80000000
	scratch_store_b64 off, v[2:3], s32 offset:276 ; 8-byte Folded Spill
	s_wait_xcnt 0x0
	s_and_saveexec_b32 s15, s1
	s_cbranch_execz .LBB216_41
; %bb.36:                               ;   in Loop: Header=BB216_15 Depth=1
	v_mov_b64_e32 v[4:5], 0x7f800001
	v_bfe_u32 v3, v0, 16, 7
	s_mov_b32 s16, exec_lo
	scratch_store_b64 off, v[4:5], s32 offset:276 ; 8-byte Folded Spill
	s_wait_xcnt 0x0
	v_cmpx_ne_u32_e32 0x7f, v3
	s_cbranch_execz .LBB216_40
; %bb.37:                               ;   in Loop: Header=BB216_15 Depth=1
	scratch_load_b64 v[6:7], off, s32 offset:192 th:TH_LOAD_LU ; 8-byte Folded Reload
	s_wait_loadcnt 0x0
	v_dual_lshrrev_b32 v2, 3, v3 :: v_dual_bitop2_b32 v6, 7, v1 bitop3:0x40
	s_mov_b32 s17, exec_lo
	s_wait_xcnt 0x0
	v_cmpx_gt_u32_e32 8, v3
; %bb.38:                               ;   in Loop: Header=BB216_15 Depth=1
	s_delay_alu instid0(VALU_DEP_2) | instskip(NEXT) | instid1(VALU_DEP_1)
	v_clz_i32_u32_e32 v2, v6
	v_min_u32_e32 v2, 32, v2
	s_delay_alu instid0(VALU_DEP_1) | instskip(NEXT) | instid1(VALU_DEP_1)
	v_subrev_nc_u32_e32 v3, 28, v2
	v_lshlrev_b64_e32 v[4:5], v3, v[6:7]
	s_delay_alu instid0(VALU_DEP_1)
	v_dual_sub_nc_u32 v2, 29, v2 :: v_dual_bitop2_b32 v6, 7, v4 bitop3:0x40
; %bb.39:                               ;   in Loop: Header=BB216_15 Depth=1
	s_or_b32 exec_lo, exec_lo, s17
	s_delay_alu instid0(VALU_DEP_1) | instskip(NEXT) | instid1(VALU_DEP_2)
	v_dual_lshlrev_b32 v1, 24, v1 :: v_dual_lshlrev_b32 v3, 20, v6
	v_lshl_add_u32 v2, v2, 23, 0x3c000000
	s_delay_alu instid0(VALU_DEP_2) | instskip(NEXT) | instid1(VALU_DEP_1)
	v_and_b32_e32 v1, 0x80000000, v1
	v_or3_b32 v6, v3, v1, v2
	v_mov_b32_e32 v1, v7
	s_clause 0x1
	scratch_store_b64 off, v[0:1], s32 offset:192
	scratch_store_b64 off, v[6:7], s32 offset:276
.LBB216_40:                             ;   in Loop: Header=BB216_15 Depth=1
	s_wait_xcnt 0x0
	s_or_b32 exec_lo, exec_lo, s16
.LBB216_41:                             ;   in Loop: Header=BB216_15 Depth=1
	s_delay_alu instid0(SALU_CYCLE_1)
	s_or_b32 exec_lo, exec_lo, s15
.LBB216_42:                             ;   in Loop: Header=BB216_15 Depth=1
	s_delay_alu instid0(SALU_CYCLE_1) | instskip(NEXT) | instid1(SALU_CYCLE_1)
	s_or_b32 exec_lo, exec_lo, s14
	s_mov_b32 s14, exec_lo
	v_cmpx_lt_u32_e32 0xffffff, v0
	s_cbranch_execz .LBB216_50
; %bb.43:                               ;   in Loop: Header=BB216_15 Depth=1
	v_mov_b64_e32 v[2:3], 0x8000000000000000
	v_lshrrev_b32_e32 v1, 24, v0
	s_mov_b32 s15, exec_lo
	scratch_store_b64 off, v[2:3], s32 offset:268 ; 8-byte Folded Spill
	s_wait_xcnt 0x0
	v_cmpx_ne_u32_e32 0x80, v1
	s_cbranch_execz .LBB216_49
; %bb.44:                               ;   in Loop: Header=BB216_15 Depth=1
	v_mov_b64_e32 v[4:5], 0x7f80000100000000
	v_bfe_u32 v2, v0, 24, 7
	s_mov_b32 s16, exec_lo
	scratch_store_b64 off, v[4:5], s32 offset:268 ; 8-byte Folded Spill
	s_wait_xcnt 0x0
	v_cmpx_ne_u32_e32 0x7f, v2
	s_cbranch_execz .LBB216_48
; %bb.45:                               ;   in Loop: Header=BB216_15 Depth=1
	scratch_load_b64 v[4:5], off, s32 offset:192 th:TH_LOAD_LU ; 8-byte Folded Reload
	s_wait_loadcnt 0x0
	v_dual_lshrrev_b32 v0, 3, v2 :: v_dual_bitop2_b32 v4, 7, v1 bitop3:0x40
	s_mov_b32 s17, exec_lo
	s_wait_xcnt 0x0
	v_cmpx_gt_u32_e32 8, v2
; %bb.46:                               ;   in Loop: Header=BB216_15 Depth=1
	s_delay_alu instid0(VALU_DEP_2) | instskip(NEXT) | instid1(VALU_DEP_1)
	v_clz_i32_u32_e32 v0, v4
	v_min_u32_e32 v0, 32, v0
	s_delay_alu instid0(VALU_DEP_1) | instskip(NEXT) | instid1(VALU_DEP_1)
	v_subrev_nc_u32_e32 v2, 28, v0
	v_lshlrev_b64_e32 v[2:3], v2, v[4:5]
	s_delay_alu instid0(VALU_DEP_1)
	v_dual_sub_nc_u32 v0, 29, v0 :: v_dual_bitop2_b32 v4, 7, v2 bitop3:0x40
; %bb.47:                               ;   in Loop: Header=BB216_15 Depth=1
	s_or_b32 exec_lo, exec_lo, s17
	s_delay_alu instid0(VALU_DEP_1) | instskip(NEXT) | instid1(VALU_DEP_2)
	v_dual_lshlrev_b32 v1, 24, v1 :: v_dual_lshlrev_b32 v2, 20, v4
	v_lshl_add_u32 v0, v0, 23, 0x3c000000
	s_delay_alu instid0(VALU_DEP_2) | instskip(NEXT) | instid1(VALU_DEP_1)
	v_and_b32_e32 v1, 0x80000000, v1
	v_or3_b32 v3, v2, v1, v0
	v_dual_mov_b32 v1, v5 :: v_dual_mov_b32 v2, v5
	s_clause 0x1
	scratch_store_b64 off, v[0:1], s32 offset:192
	scratch_store_b64 off, v[2:3], s32 offset:268
.LBB216_48:                             ;   in Loop: Header=BB216_15 Depth=1
	s_wait_xcnt 0x0
	s_or_b32 exec_lo, exec_lo, s16
.LBB216_49:                             ;   in Loop: Header=BB216_15 Depth=1
	s_delay_alu instid0(SALU_CYCLE_1)
	s_or_b32 exec_lo, exec_lo, s15
.LBB216_50:                             ;   in Loop: Header=BB216_15 Depth=1
	s_delay_alu instid0(SALU_CYCLE_1)
	s_or_b32 exec_lo, exec_lo, s14
	flat_load_b32 v0, v[84:85] offset:4
	v_mov_b64_e32 v[2:3], 0
	s_mov_b32 s14, exec_lo
	scratch_store_b64 off, v[2:3], s32 offset:284 ; 8-byte Folded Spill
	s_wait_xcnt 0x0
	v_mov_b64_e32 v[2:3], 0
	scratch_store_b64 off, v[2:3], s32 offset:292 ; 8-byte Folded Spill
	s_wait_loadcnt_dscnt 0x0
	v_and_b32_e32 v1, 0xff, v0
	s_wait_xcnt 0x0
	s_delay_alu instid0(VALU_DEP_1)
	v_cmpx_ne_u16_e32 0, v1
	s_cbranch_execz .LBB216_58
; %bb.51:                               ;   in Loop: Header=BB216_15 Depth=1
	v_mov_b64_e32 v[2:3], 0x80000000
	s_mov_b32 s15, exec_lo
	scratch_store_b64 off, v[2:3], s32 offset:292 ; 8-byte Folded Spill
	s_wait_xcnt 0x0
	v_cmpx_ne_u16_e32 0x80, v1
	s_cbranch_execz .LBB216_57
; %bb.52:                               ;   in Loop: Header=BB216_15 Depth=1
	v_mov_b64_e32 v[4:5], 0x7f800001
	v_and_b32_e32 v2, 0x7f, v0
	s_mov_b32 s16, exec_lo
	scratch_store_b64 off, v[4:5], s32 offset:292 ; 8-byte Folded Spill
	s_wait_xcnt 0x0
	v_cmpx_ne_u32_e32 0x7f, v2
	s_cbranch_execz .LBB216_56
; %bb.53:                               ;   in Loop: Header=BB216_15 Depth=1
	scratch_load_b64 v[4:5], off, s32 offset:192 th:TH_LOAD_LU ; 8-byte Folded Reload
	s_wait_loadcnt 0x0
	v_dual_lshrrev_b32 v1, 3, v2 :: v_dual_bitop2_b32 v4, 7, v0 bitop3:0x40
	s_mov_b32 s17, exec_lo
	s_wait_xcnt 0x0
	v_cmpx_gt_u32_e32 8, v2
; %bb.54:                               ;   in Loop: Header=BB216_15 Depth=1
	s_delay_alu instid0(VALU_DEP_2) | instskip(NEXT) | instid1(VALU_DEP_1)
	v_clz_i32_u32_e32 v1, v4
	v_min_u32_e32 v1, 32, v1
	s_delay_alu instid0(VALU_DEP_1) | instskip(NEXT) | instid1(VALU_DEP_1)
	v_subrev_nc_u32_e32 v2, 28, v1
	v_lshlrev_b64_e32 v[2:3], v2, v[4:5]
	s_delay_alu instid0(VALU_DEP_1)
	v_dual_sub_nc_u32 v1, 29, v1 :: v_dual_bitop2_b32 v4, 7, v2 bitop3:0x40
; %bb.55:                               ;   in Loop: Header=BB216_15 Depth=1
	s_or_b32 exec_lo, exec_lo, s17
	v_lshlrev_b32_e32 v2, 24, v0
	s_delay_alu instid0(VALU_DEP_2) | instskip(NEXT) | instid1(VALU_DEP_3)
	v_lshlrev_b32_e32 v3, 20, v4
	v_lshl_add_u32 v1, v1, 23, 0x3c000000
	s_delay_alu instid0(VALU_DEP_3) | instskip(NEXT) | instid1(VALU_DEP_1)
	v_and_b32_e32 v2, 0x80000000, v2
	v_or3_b32 v4, v3, v2, v1
	v_mov_b32_e32 v1, v5
	s_clause 0x1
	scratch_store_b64 off, v[0:1], s32 offset:192
	scratch_store_b64 off, v[4:5], s32 offset:292
.LBB216_56:                             ;   in Loop: Header=BB216_15 Depth=1
	s_wait_xcnt 0x0
	s_or_b32 exec_lo, exec_lo, s16
.LBB216_57:                             ;   in Loop: Header=BB216_15 Depth=1
	s_delay_alu instid0(SALU_CYCLE_1)
	s_or_b32 exec_lo, exec_lo, s15
.LBB216_58:                             ;   in Loop: Header=BB216_15 Depth=1
	s_delay_alu instid0(SALU_CYCLE_1) | instskip(SKIP_2) | instid1(VALU_DEP_1)
	s_or_b32 exec_lo, exec_lo, s14
	v_lshrrev_b16 v1, 8, v0
	s_mov_b32 s14, exec_lo
	v_cmpx_ne_u16_e32 0, v1
	s_cbranch_execz .LBB216_66
; %bb.59:                               ;   in Loop: Header=BB216_15 Depth=1
	v_mov_b64_e32 v[2:3], 0x8000000000000000
	s_mov_b32 s15, exec_lo
	scratch_store_b64 off, v[2:3], s32 offset:284 ; 8-byte Folded Spill
	s_wait_xcnt 0x0
	v_cmpx_ne_u16_e32 0x80, v1
	s_cbranch_execz .LBB216_65
; %bb.60:                               ;   in Loop: Header=BB216_15 Depth=1
	v_and_b32_e32 v1, 0xffff, v1
	v_mov_b64_e32 v[4:5], 0x7f80000100000000
	s_mov_b32 s16, exec_lo
	s_delay_alu instid0(VALU_DEP_2)
	v_and_b32_e32 v2, 0x7f, v1
	scratch_store_b64 off, v[4:5], s32 offset:284 ; 8-byte Folded Spill
	s_wait_xcnt 0x0
	v_cmpx_ne_u32_e32 0x7f, v2
	s_cbranch_execz .LBB216_64
; %bb.61:                               ;   in Loop: Header=BB216_15 Depth=1
	scratch_load_b64 v[4:5], off, s32 offset:192 th:TH_LOAD_LU ; 8-byte Folded Reload
	s_wait_loadcnt 0x0
	v_dual_lshrrev_b32 v1, 3, v2 :: v_dual_bitop2_b32 v4, 7, v1 bitop3:0x40
	s_mov_b32 s17, exec_lo
	s_wait_xcnt 0x0
	v_cmpx_gt_u32_e32 8, v2
; %bb.62:                               ;   in Loop: Header=BB216_15 Depth=1
	s_delay_alu instid0(VALU_DEP_2) | instskip(NEXT) | instid1(VALU_DEP_1)
	v_clz_i32_u32_e32 v1, v4
	v_min_u32_e32 v1, 32, v1
	s_delay_alu instid0(VALU_DEP_1) | instskip(NEXT) | instid1(VALU_DEP_1)
	v_subrev_nc_u32_e32 v2, 28, v1
	v_lshlrev_b64_e32 v[2:3], v2, v[4:5]
	s_delay_alu instid0(VALU_DEP_1)
	v_dual_sub_nc_u32 v1, 29, v1 :: v_dual_bitop2_b32 v4, 7, v2 bitop3:0x40
; %bb.63:                               ;   in Loop: Header=BB216_15 Depth=1
	s_or_b32 exec_lo, exec_lo, s17
	v_lshlrev_b32_e32 v2, 16, v0
	s_delay_alu instid0(VALU_DEP_2) | instskip(NEXT) | instid1(VALU_DEP_3)
	v_lshlrev_b32_e32 v3, 20, v4
	v_lshl_add_u32 v1, v1, 23, 0x3c000000
	s_delay_alu instid0(VALU_DEP_3) | instskip(NEXT) | instid1(VALU_DEP_1)
	v_and_b32_e32 v2, 0x80000000, v2
	v_or3_b32 v3, v3, v2, v1
	v_dual_mov_b32 v1, v5 :: v_dual_mov_b32 v2, v5
	s_clause 0x1
	scratch_store_b64 off, v[0:1], s32 offset:192
	scratch_store_b64 off, v[2:3], s32 offset:284
.LBB216_64:                             ;   in Loop: Header=BB216_15 Depth=1
	s_wait_xcnt 0x0
	s_or_b32 exec_lo, exec_lo, s16
.LBB216_65:                             ;   in Loop: Header=BB216_15 Depth=1
	s_delay_alu instid0(SALU_CYCLE_1)
	s_or_b32 exec_lo, exec_lo, s15
.LBB216_66:                             ;   in Loop: Header=BB216_15 Depth=1
	s_delay_alu instid0(SALU_CYCLE_1) | instskip(SKIP_3) | instid1(VALU_DEP_1)
	s_or_b32 exec_lo, exec_lo, s14
	v_mov_b64_e32 v[4:5], 0
	v_lshrrev_b32_e32 v1, 16, v0
	s_mov_b32 s14, exec_lo
	v_and_b32_e32 v2, 0xff, v1
	scratch_store_b64 off, v[4:5], s32 offset:300 ; 8-byte Folded Spill
	s_wait_xcnt 0x0
	v_mov_b64_e32 v[4:5], 0
	scratch_store_b64 off, v[4:5], s32 offset:308 ; 8-byte Folded Spill
	s_wait_xcnt 0x0
	v_cmpx_ne_u16_e32 0, v2
	s_cbranch_execz .LBB216_74
; %bb.67:                               ;   in Loop: Header=BB216_15 Depth=1
	v_cmp_ne_u16_e64 s1, 0x80, v2
	v_mov_b64_e32 v[2:3], 0x80000000
	scratch_store_b64 off, v[2:3], s32 offset:308 ; 8-byte Folded Spill
	s_wait_xcnt 0x0
	s_and_saveexec_b32 s15, s1
	s_cbranch_execz .LBB216_73
; %bb.68:                               ;   in Loop: Header=BB216_15 Depth=1
	v_mov_b64_e32 v[4:5], 0x7f800001
	v_bfe_u32 v3, v0, 16, 7
	s_mov_b32 s16, exec_lo
	scratch_store_b64 off, v[4:5], s32 offset:308 ; 8-byte Folded Spill
	s_wait_xcnt 0x0
	v_cmpx_ne_u32_e32 0x7f, v3
	s_cbranch_execz .LBB216_72
; %bb.69:                               ;   in Loop: Header=BB216_15 Depth=1
	scratch_load_b64 v[6:7], off, s32 offset:192 th:TH_LOAD_LU ; 8-byte Folded Reload
	s_wait_loadcnt 0x0
	v_dual_lshrrev_b32 v2, 3, v3 :: v_dual_bitop2_b32 v6, 7, v1 bitop3:0x40
	s_mov_b32 s17, exec_lo
	s_wait_xcnt 0x0
	v_cmpx_gt_u32_e32 8, v3
; %bb.70:                               ;   in Loop: Header=BB216_15 Depth=1
	s_delay_alu instid0(VALU_DEP_2) | instskip(NEXT) | instid1(VALU_DEP_1)
	v_clz_i32_u32_e32 v2, v6
	v_min_u32_e32 v2, 32, v2
	s_delay_alu instid0(VALU_DEP_1) | instskip(NEXT) | instid1(VALU_DEP_1)
	v_subrev_nc_u32_e32 v3, 28, v2
	v_lshlrev_b64_e32 v[4:5], v3, v[6:7]
	s_delay_alu instid0(VALU_DEP_1)
	v_dual_sub_nc_u32 v2, 29, v2 :: v_dual_bitop2_b32 v6, 7, v4 bitop3:0x40
; %bb.71:                               ;   in Loop: Header=BB216_15 Depth=1
	s_or_b32 exec_lo, exec_lo, s17
	s_delay_alu instid0(VALU_DEP_1) | instskip(NEXT) | instid1(VALU_DEP_2)
	v_dual_lshlrev_b32 v1, 24, v1 :: v_dual_lshlrev_b32 v3, 20, v6
	v_lshl_add_u32 v2, v2, 23, 0x3c000000
	s_delay_alu instid0(VALU_DEP_2) | instskip(NEXT) | instid1(VALU_DEP_1)
	v_and_b32_e32 v1, 0x80000000, v1
	v_or3_b32 v6, v3, v1, v2
	v_mov_b32_e32 v1, v7
	s_clause 0x1
	scratch_store_b64 off, v[0:1], s32 offset:192
	scratch_store_b64 off, v[6:7], s32 offset:308
.LBB216_72:                             ;   in Loop: Header=BB216_15 Depth=1
	s_wait_xcnt 0x0
	s_or_b32 exec_lo, exec_lo, s16
.LBB216_73:                             ;   in Loop: Header=BB216_15 Depth=1
	s_delay_alu instid0(SALU_CYCLE_1)
	s_or_b32 exec_lo, exec_lo, s15
.LBB216_74:                             ;   in Loop: Header=BB216_15 Depth=1
	s_delay_alu instid0(SALU_CYCLE_1) | instskip(NEXT) | instid1(SALU_CYCLE_1)
	s_or_b32 exec_lo, exec_lo, s14
	s_mov_b32 s14, exec_lo
	v_cmpx_lt_u32_e32 0xffffff, v0
	s_cbranch_execz .LBB216_82
; %bb.75:                               ;   in Loop: Header=BB216_15 Depth=1
	v_mov_b64_e32 v[2:3], 0x8000000000000000
	v_lshrrev_b32_e32 v1, 24, v0
	s_mov_b32 s15, exec_lo
	scratch_store_b64 off, v[2:3], s32 offset:300 ; 8-byte Folded Spill
	s_wait_xcnt 0x0
	v_cmpx_ne_u32_e32 0x80, v1
	s_cbranch_execz .LBB216_81
; %bb.76:                               ;   in Loop: Header=BB216_15 Depth=1
	v_mov_b64_e32 v[4:5], 0x7f80000100000000
	v_bfe_u32 v2, v0, 24, 7
	s_mov_b32 s16, exec_lo
	scratch_store_b64 off, v[4:5], s32 offset:300 ; 8-byte Folded Spill
	s_wait_xcnt 0x0
	v_cmpx_ne_u32_e32 0x7f, v2
	s_cbranch_execz .LBB216_80
; %bb.77:                               ;   in Loop: Header=BB216_15 Depth=1
	scratch_load_b64 v[4:5], off, s32 offset:192 th:TH_LOAD_LU ; 8-byte Folded Reload
	s_wait_loadcnt 0x0
	v_dual_lshrrev_b32 v0, 3, v2 :: v_dual_bitop2_b32 v4, 7, v1 bitop3:0x40
	s_mov_b32 s17, exec_lo
	s_wait_xcnt 0x0
	v_cmpx_gt_u32_e32 8, v2
; %bb.78:                               ;   in Loop: Header=BB216_15 Depth=1
	s_delay_alu instid0(VALU_DEP_2) | instskip(NEXT) | instid1(VALU_DEP_1)
	v_clz_i32_u32_e32 v0, v4
	v_min_u32_e32 v0, 32, v0
	s_delay_alu instid0(VALU_DEP_1) | instskip(NEXT) | instid1(VALU_DEP_1)
	v_subrev_nc_u32_e32 v2, 28, v0
	v_lshlrev_b64_e32 v[2:3], v2, v[4:5]
	s_delay_alu instid0(VALU_DEP_1)
	v_dual_sub_nc_u32 v0, 29, v0 :: v_dual_bitop2_b32 v4, 7, v2 bitop3:0x40
; %bb.79:                               ;   in Loop: Header=BB216_15 Depth=1
	s_or_b32 exec_lo, exec_lo, s17
	s_delay_alu instid0(VALU_DEP_1) | instskip(NEXT) | instid1(VALU_DEP_2)
	v_dual_lshlrev_b32 v1, 24, v1 :: v_dual_lshlrev_b32 v2, 20, v4
	v_lshl_add_u32 v0, v0, 23, 0x3c000000
	s_delay_alu instid0(VALU_DEP_2) | instskip(NEXT) | instid1(VALU_DEP_1)
	v_and_b32_e32 v1, 0x80000000, v1
	v_or3_b32 v3, v2, v1, v0
	v_dual_mov_b32 v1, v5 :: v_dual_mov_b32 v2, v5
	s_clause 0x1
	scratch_store_b64 off, v[0:1], s32 offset:192
	scratch_store_b64 off, v[2:3], s32 offset:300
.LBB216_80:                             ;   in Loop: Header=BB216_15 Depth=1
	s_wait_xcnt 0x0
	s_or_b32 exec_lo, exec_lo, s16
.LBB216_81:                             ;   in Loop: Header=BB216_15 Depth=1
	s_delay_alu instid0(SALU_CYCLE_1)
	s_or_b32 exec_lo, exec_lo, s15
.LBB216_82:                             ;   in Loop: Header=BB216_15 Depth=1
	s_delay_alu instid0(SALU_CYCLE_1)
	s_or_b32 exec_lo, exec_lo, s14
	flat_load_b32 v0, v[84:85] offset:8
	v_mov_b64_e32 v[2:3], 0
	s_mov_b32 s14, exec_lo
	scratch_store_b64 off, v[2:3], s32 offset:316 ; 8-byte Folded Spill
	s_wait_xcnt 0x0
	v_mov_b64_e32 v[2:3], 0
	scratch_store_b64 off, v[2:3], s32 offset:324 ; 8-byte Folded Spill
	s_wait_loadcnt_dscnt 0x0
	v_and_b32_e32 v1, 0xff, v0
	s_wait_xcnt 0x0
	s_delay_alu instid0(VALU_DEP_1)
	v_cmpx_ne_u16_e32 0, v1
	s_cbranch_execz .LBB216_90
; %bb.83:                               ;   in Loop: Header=BB216_15 Depth=1
	v_mov_b64_e32 v[2:3], 0x80000000
	s_mov_b32 s15, exec_lo
	scratch_store_b64 off, v[2:3], s32 offset:324 ; 8-byte Folded Spill
	s_wait_xcnt 0x0
	v_cmpx_ne_u16_e32 0x80, v1
	s_cbranch_execz .LBB216_89
; %bb.84:                               ;   in Loop: Header=BB216_15 Depth=1
	v_mov_b64_e32 v[4:5], 0x7f800001
	v_and_b32_e32 v2, 0x7f, v0
	s_mov_b32 s16, exec_lo
	scratch_store_b64 off, v[4:5], s32 offset:324 ; 8-byte Folded Spill
	s_wait_xcnt 0x0
	v_cmpx_ne_u32_e32 0x7f, v2
	s_cbranch_execz .LBB216_88
; %bb.85:                               ;   in Loop: Header=BB216_15 Depth=1
	scratch_load_b64 v[4:5], off, s32 offset:192 th:TH_LOAD_LU ; 8-byte Folded Reload
	s_wait_loadcnt 0x0
	v_dual_lshrrev_b32 v1, 3, v2 :: v_dual_bitop2_b32 v4, 7, v0 bitop3:0x40
	s_mov_b32 s17, exec_lo
	s_wait_xcnt 0x0
	v_cmpx_gt_u32_e32 8, v2
; %bb.86:                               ;   in Loop: Header=BB216_15 Depth=1
	s_delay_alu instid0(VALU_DEP_2) | instskip(NEXT) | instid1(VALU_DEP_1)
	v_clz_i32_u32_e32 v1, v4
	v_min_u32_e32 v1, 32, v1
	s_delay_alu instid0(VALU_DEP_1) | instskip(NEXT) | instid1(VALU_DEP_1)
	v_subrev_nc_u32_e32 v2, 28, v1
	v_lshlrev_b64_e32 v[2:3], v2, v[4:5]
	s_delay_alu instid0(VALU_DEP_1)
	v_dual_sub_nc_u32 v1, 29, v1 :: v_dual_bitop2_b32 v4, 7, v2 bitop3:0x40
; %bb.87:                               ;   in Loop: Header=BB216_15 Depth=1
	s_or_b32 exec_lo, exec_lo, s17
	v_lshlrev_b32_e32 v2, 24, v0
	s_delay_alu instid0(VALU_DEP_2) | instskip(NEXT) | instid1(VALU_DEP_3)
	v_lshlrev_b32_e32 v3, 20, v4
	v_lshl_add_u32 v1, v1, 23, 0x3c000000
	s_delay_alu instid0(VALU_DEP_3) | instskip(NEXT) | instid1(VALU_DEP_1)
	v_and_b32_e32 v2, 0x80000000, v2
	v_or3_b32 v4, v3, v2, v1
	v_mov_b32_e32 v1, v5
	s_clause 0x1
	scratch_store_b64 off, v[0:1], s32 offset:192
	scratch_store_b64 off, v[4:5], s32 offset:324
.LBB216_88:                             ;   in Loop: Header=BB216_15 Depth=1
	s_wait_xcnt 0x0
	s_or_b32 exec_lo, exec_lo, s16
.LBB216_89:                             ;   in Loop: Header=BB216_15 Depth=1
	s_delay_alu instid0(SALU_CYCLE_1)
	s_or_b32 exec_lo, exec_lo, s15
.LBB216_90:                             ;   in Loop: Header=BB216_15 Depth=1
	s_delay_alu instid0(SALU_CYCLE_1) | instskip(SKIP_2) | instid1(VALU_DEP_1)
	s_or_b32 exec_lo, exec_lo, s14
	v_lshrrev_b16 v1, 8, v0
	s_mov_b32 s14, exec_lo
	v_cmpx_ne_u16_e32 0, v1
	s_cbranch_execz .LBB216_98
; %bb.91:                               ;   in Loop: Header=BB216_15 Depth=1
	v_mov_b64_e32 v[2:3], 0x8000000000000000
	s_mov_b32 s15, exec_lo
	scratch_store_b64 off, v[2:3], s32 offset:316 ; 8-byte Folded Spill
	s_wait_xcnt 0x0
	v_cmpx_ne_u16_e32 0x80, v1
	s_cbranch_execz .LBB216_97
; %bb.92:                               ;   in Loop: Header=BB216_15 Depth=1
	v_and_b32_e32 v1, 0xffff, v1
	v_mov_b64_e32 v[4:5], 0x7f80000100000000
	s_mov_b32 s16, exec_lo
	s_delay_alu instid0(VALU_DEP_2)
	v_and_b32_e32 v2, 0x7f, v1
	scratch_store_b64 off, v[4:5], s32 offset:316 ; 8-byte Folded Spill
	s_wait_xcnt 0x0
	v_cmpx_ne_u32_e32 0x7f, v2
	s_cbranch_execz .LBB216_96
; %bb.93:                               ;   in Loop: Header=BB216_15 Depth=1
	scratch_load_b64 v[4:5], off, s32 offset:192 th:TH_LOAD_LU ; 8-byte Folded Reload
	s_wait_loadcnt 0x0
	v_dual_lshrrev_b32 v1, 3, v2 :: v_dual_bitop2_b32 v4, 7, v1 bitop3:0x40
	s_mov_b32 s17, exec_lo
	s_wait_xcnt 0x0
	v_cmpx_gt_u32_e32 8, v2
; %bb.94:                               ;   in Loop: Header=BB216_15 Depth=1
	s_delay_alu instid0(VALU_DEP_2) | instskip(NEXT) | instid1(VALU_DEP_1)
	v_clz_i32_u32_e32 v1, v4
	v_min_u32_e32 v1, 32, v1
	s_delay_alu instid0(VALU_DEP_1) | instskip(NEXT) | instid1(VALU_DEP_1)
	v_subrev_nc_u32_e32 v2, 28, v1
	v_lshlrev_b64_e32 v[2:3], v2, v[4:5]
	s_delay_alu instid0(VALU_DEP_1)
	v_dual_sub_nc_u32 v1, 29, v1 :: v_dual_bitop2_b32 v4, 7, v2 bitop3:0x40
; %bb.95:                               ;   in Loop: Header=BB216_15 Depth=1
	s_or_b32 exec_lo, exec_lo, s17
	v_lshlrev_b32_e32 v2, 16, v0
	s_delay_alu instid0(VALU_DEP_2) | instskip(NEXT) | instid1(VALU_DEP_3)
	v_lshlrev_b32_e32 v3, 20, v4
	v_lshl_add_u32 v1, v1, 23, 0x3c000000
	s_delay_alu instid0(VALU_DEP_3) | instskip(NEXT) | instid1(VALU_DEP_1)
	v_and_b32_e32 v2, 0x80000000, v2
	v_or3_b32 v3, v3, v2, v1
	v_dual_mov_b32 v1, v5 :: v_dual_mov_b32 v2, v5
	s_clause 0x1
	scratch_store_b64 off, v[0:1], s32 offset:192
	scratch_store_b64 off, v[2:3], s32 offset:316
.LBB216_96:                             ;   in Loop: Header=BB216_15 Depth=1
	s_wait_xcnt 0x0
	s_or_b32 exec_lo, exec_lo, s16
.LBB216_97:                             ;   in Loop: Header=BB216_15 Depth=1
	s_delay_alu instid0(SALU_CYCLE_1)
	s_or_b32 exec_lo, exec_lo, s15
.LBB216_98:                             ;   in Loop: Header=BB216_15 Depth=1
	s_delay_alu instid0(SALU_CYCLE_1) | instskip(SKIP_3) | instid1(VALU_DEP_1)
	s_or_b32 exec_lo, exec_lo, s14
	v_mov_b64_e32 v[4:5], 0
	v_lshrrev_b32_e32 v1, 16, v0
	s_mov_b32 s14, exec_lo
	v_and_b32_e32 v2, 0xff, v1
	scratch_store_b64 off, v[4:5], s32 offset:332 ; 8-byte Folded Spill
	s_wait_xcnt 0x0
	v_mov_b64_e32 v[4:5], 0
	scratch_store_b64 off, v[4:5], s32 offset:340 ; 8-byte Folded Spill
	s_wait_xcnt 0x0
	v_cmpx_ne_u16_e32 0, v2
	s_cbranch_execz .LBB216_106
; %bb.99:                               ;   in Loop: Header=BB216_15 Depth=1
	v_cmp_ne_u16_e64 s1, 0x80, v2
	v_mov_b64_e32 v[2:3], 0x80000000
	scratch_store_b64 off, v[2:3], s32 offset:340 ; 8-byte Folded Spill
	s_wait_xcnt 0x0
	s_and_saveexec_b32 s15, s1
	s_cbranch_execz .LBB216_105
; %bb.100:                              ;   in Loop: Header=BB216_15 Depth=1
	v_mov_b64_e32 v[4:5], 0x7f800001
	v_bfe_u32 v3, v0, 16, 7
	s_mov_b32 s16, exec_lo
	scratch_store_b64 off, v[4:5], s32 offset:340 ; 8-byte Folded Spill
	s_wait_xcnt 0x0
	v_cmpx_ne_u32_e32 0x7f, v3
	s_cbranch_execz .LBB216_104
; %bb.101:                              ;   in Loop: Header=BB216_15 Depth=1
	scratch_load_b64 v[6:7], off, s32 offset:192 th:TH_LOAD_LU ; 8-byte Folded Reload
	s_wait_loadcnt 0x0
	v_dual_lshrrev_b32 v2, 3, v3 :: v_dual_bitop2_b32 v6, 7, v1 bitop3:0x40
	s_mov_b32 s17, exec_lo
	s_wait_xcnt 0x0
	v_cmpx_gt_u32_e32 8, v3
; %bb.102:                              ;   in Loop: Header=BB216_15 Depth=1
	s_delay_alu instid0(VALU_DEP_2) | instskip(NEXT) | instid1(VALU_DEP_1)
	v_clz_i32_u32_e32 v2, v6
	v_min_u32_e32 v2, 32, v2
	s_delay_alu instid0(VALU_DEP_1) | instskip(NEXT) | instid1(VALU_DEP_1)
	v_subrev_nc_u32_e32 v3, 28, v2
	v_lshlrev_b64_e32 v[4:5], v3, v[6:7]
	s_delay_alu instid0(VALU_DEP_1)
	v_dual_sub_nc_u32 v2, 29, v2 :: v_dual_bitop2_b32 v6, 7, v4 bitop3:0x40
; %bb.103:                              ;   in Loop: Header=BB216_15 Depth=1
	s_or_b32 exec_lo, exec_lo, s17
	s_delay_alu instid0(VALU_DEP_1) | instskip(NEXT) | instid1(VALU_DEP_2)
	v_dual_lshlrev_b32 v1, 24, v1 :: v_dual_lshlrev_b32 v3, 20, v6
	v_lshl_add_u32 v2, v2, 23, 0x3c000000
	s_delay_alu instid0(VALU_DEP_2) | instskip(NEXT) | instid1(VALU_DEP_1)
	v_and_b32_e32 v1, 0x80000000, v1
	v_or3_b32 v6, v3, v1, v2
	v_mov_b32_e32 v1, v7
	s_clause 0x1
	scratch_store_b64 off, v[0:1], s32 offset:192
	scratch_store_b64 off, v[6:7], s32 offset:340
.LBB216_104:                            ;   in Loop: Header=BB216_15 Depth=1
	s_wait_xcnt 0x0
	s_or_b32 exec_lo, exec_lo, s16
.LBB216_105:                            ;   in Loop: Header=BB216_15 Depth=1
	s_delay_alu instid0(SALU_CYCLE_1)
	s_or_b32 exec_lo, exec_lo, s15
.LBB216_106:                            ;   in Loop: Header=BB216_15 Depth=1
	s_delay_alu instid0(SALU_CYCLE_1) | instskip(NEXT) | instid1(SALU_CYCLE_1)
	s_or_b32 exec_lo, exec_lo, s14
	s_mov_b32 s14, exec_lo
	v_cmpx_lt_u32_e32 0xffffff, v0
	s_cbranch_execz .LBB216_114
; %bb.107:                              ;   in Loop: Header=BB216_15 Depth=1
	v_mov_b64_e32 v[2:3], 0x8000000000000000
	v_lshrrev_b32_e32 v1, 24, v0
	s_mov_b32 s15, exec_lo
	scratch_store_b64 off, v[2:3], s32 offset:332 ; 8-byte Folded Spill
	s_wait_xcnt 0x0
	v_cmpx_ne_u32_e32 0x80, v1
	s_cbranch_execz .LBB216_113
; %bb.108:                              ;   in Loop: Header=BB216_15 Depth=1
	v_mov_b64_e32 v[4:5], 0x7f80000100000000
	v_bfe_u32 v2, v0, 24, 7
	s_mov_b32 s16, exec_lo
	scratch_store_b64 off, v[4:5], s32 offset:332 ; 8-byte Folded Spill
	s_wait_xcnt 0x0
	v_cmpx_ne_u32_e32 0x7f, v2
	s_cbranch_execz .LBB216_112
; %bb.109:                              ;   in Loop: Header=BB216_15 Depth=1
	scratch_load_b64 v[4:5], off, s32 offset:192 th:TH_LOAD_LU ; 8-byte Folded Reload
	s_wait_loadcnt 0x0
	v_dual_lshrrev_b32 v0, 3, v2 :: v_dual_bitop2_b32 v4, 7, v1 bitop3:0x40
	s_mov_b32 s17, exec_lo
	s_wait_xcnt 0x0
	v_cmpx_gt_u32_e32 8, v2
; %bb.110:                              ;   in Loop: Header=BB216_15 Depth=1
	s_delay_alu instid0(VALU_DEP_2) | instskip(NEXT) | instid1(VALU_DEP_1)
	v_clz_i32_u32_e32 v0, v4
	v_min_u32_e32 v0, 32, v0
	s_delay_alu instid0(VALU_DEP_1) | instskip(NEXT) | instid1(VALU_DEP_1)
	v_subrev_nc_u32_e32 v2, 28, v0
	v_lshlrev_b64_e32 v[2:3], v2, v[4:5]
	s_delay_alu instid0(VALU_DEP_1)
	v_dual_sub_nc_u32 v0, 29, v0 :: v_dual_bitop2_b32 v4, 7, v2 bitop3:0x40
; %bb.111:                              ;   in Loop: Header=BB216_15 Depth=1
	s_or_b32 exec_lo, exec_lo, s17
	s_delay_alu instid0(VALU_DEP_1) | instskip(NEXT) | instid1(VALU_DEP_2)
	v_dual_lshlrev_b32 v1, 24, v1 :: v_dual_lshlrev_b32 v2, 20, v4
	v_lshl_add_u32 v0, v0, 23, 0x3c000000
	s_delay_alu instid0(VALU_DEP_2) | instskip(NEXT) | instid1(VALU_DEP_1)
	v_and_b32_e32 v1, 0x80000000, v1
	v_or3_b32 v3, v2, v1, v0
	v_dual_mov_b32 v1, v5 :: v_dual_mov_b32 v2, v5
	s_clause 0x1
	scratch_store_b64 off, v[0:1], s32 offset:192
	scratch_store_b64 off, v[2:3], s32 offset:332
.LBB216_112:                            ;   in Loop: Header=BB216_15 Depth=1
	s_wait_xcnt 0x0
	s_or_b32 exec_lo, exec_lo, s16
.LBB216_113:                            ;   in Loop: Header=BB216_15 Depth=1
	s_delay_alu instid0(SALU_CYCLE_1)
	s_or_b32 exec_lo, exec_lo, s15
.LBB216_114:                            ;   in Loop: Header=BB216_15 Depth=1
	s_delay_alu instid0(SALU_CYCLE_1)
	s_or_b32 exec_lo, exec_lo, s14
	flat_load_b32 v0, v[84:85] offset:12
	v_mov_b64_e32 v[2:3], 0
	s_mov_b32 s14, exec_lo
	scratch_store_b64 off, v[2:3], s32 offset:348 ; 8-byte Folded Spill
	s_wait_xcnt 0x0
	v_mov_b64_e32 v[2:3], 0
	scratch_store_b64 off, v[2:3], s32 offset:356 ; 8-byte Folded Spill
	s_wait_loadcnt_dscnt 0x0
	v_and_b32_e32 v1, 0xff, v0
	s_wait_xcnt 0x0
	s_delay_alu instid0(VALU_DEP_1)
	v_cmpx_ne_u16_e32 0, v1
	s_cbranch_execz .LBB216_122
; %bb.115:                              ;   in Loop: Header=BB216_15 Depth=1
	v_mov_b64_e32 v[2:3], 0x80000000
	s_mov_b32 s15, exec_lo
	scratch_store_b64 off, v[2:3], s32 offset:356 ; 8-byte Folded Spill
	s_wait_xcnt 0x0
	v_cmpx_ne_u16_e32 0x80, v1
	s_cbranch_execz .LBB216_121
; %bb.116:                              ;   in Loop: Header=BB216_15 Depth=1
	v_mov_b64_e32 v[4:5], 0x7f800001
	v_and_b32_e32 v2, 0x7f, v0
	s_mov_b32 s16, exec_lo
	scratch_store_b64 off, v[4:5], s32 offset:356 ; 8-byte Folded Spill
	s_wait_xcnt 0x0
	v_cmpx_ne_u32_e32 0x7f, v2
	s_cbranch_execz .LBB216_120
; %bb.117:                              ;   in Loop: Header=BB216_15 Depth=1
	scratch_load_b64 v[4:5], off, s32 offset:192 th:TH_LOAD_LU ; 8-byte Folded Reload
	s_wait_loadcnt 0x0
	v_dual_lshrrev_b32 v1, 3, v2 :: v_dual_bitop2_b32 v4, 7, v0 bitop3:0x40
	s_mov_b32 s17, exec_lo
	s_wait_xcnt 0x0
	v_cmpx_gt_u32_e32 8, v2
; %bb.118:                              ;   in Loop: Header=BB216_15 Depth=1
	s_delay_alu instid0(VALU_DEP_2) | instskip(NEXT) | instid1(VALU_DEP_1)
	v_clz_i32_u32_e32 v1, v4
	v_min_u32_e32 v1, 32, v1
	s_delay_alu instid0(VALU_DEP_1) | instskip(NEXT) | instid1(VALU_DEP_1)
	v_subrev_nc_u32_e32 v2, 28, v1
	v_lshlrev_b64_e32 v[2:3], v2, v[4:5]
	s_delay_alu instid0(VALU_DEP_1)
	v_dual_sub_nc_u32 v1, 29, v1 :: v_dual_bitop2_b32 v4, 7, v2 bitop3:0x40
; %bb.119:                              ;   in Loop: Header=BB216_15 Depth=1
	s_or_b32 exec_lo, exec_lo, s17
	v_lshlrev_b32_e32 v2, 24, v0
	s_delay_alu instid0(VALU_DEP_2) | instskip(NEXT) | instid1(VALU_DEP_3)
	v_lshlrev_b32_e32 v3, 20, v4
	v_lshl_add_u32 v1, v1, 23, 0x3c000000
	s_delay_alu instid0(VALU_DEP_3) | instskip(NEXT) | instid1(VALU_DEP_1)
	v_and_b32_e32 v2, 0x80000000, v2
	v_or3_b32 v4, v3, v2, v1
	v_mov_b32_e32 v1, v5
	s_clause 0x1
	scratch_store_b64 off, v[0:1], s32 offset:192
	scratch_store_b64 off, v[4:5], s32 offset:356
.LBB216_120:                            ;   in Loop: Header=BB216_15 Depth=1
	s_wait_xcnt 0x0
	s_or_b32 exec_lo, exec_lo, s16
.LBB216_121:                            ;   in Loop: Header=BB216_15 Depth=1
	s_delay_alu instid0(SALU_CYCLE_1)
	s_or_b32 exec_lo, exec_lo, s15
.LBB216_122:                            ;   in Loop: Header=BB216_15 Depth=1
	s_delay_alu instid0(SALU_CYCLE_1) | instskip(SKIP_2) | instid1(VALU_DEP_1)
	s_or_b32 exec_lo, exec_lo, s14
	v_lshrrev_b16 v1, 8, v0
	s_mov_b32 s14, exec_lo
	v_cmpx_ne_u16_e32 0, v1
	s_cbranch_execz .LBB216_130
; %bb.123:                              ;   in Loop: Header=BB216_15 Depth=1
	v_mov_b64_e32 v[2:3], 0x8000000000000000
	s_mov_b32 s15, exec_lo
	scratch_store_b64 off, v[2:3], s32 offset:348 ; 8-byte Folded Spill
	s_wait_xcnt 0x0
	v_cmpx_ne_u16_e32 0x80, v1
	s_cbranch_execz .LBB216_129
; %bb.124:                              ;   in Loop: Header=BB216_15 Depth=1
	v_and_b32_e32 v1, 0xffff, v1
	v_mov_b64_e32 v[4:5], 0x7f80000100000000
	s_mov_b32 s16, exec_lo
	s_delay_alu instid0(VALU_DEP_2)
	v_and_b32_e32 v2, 0x7f, v1
	scratch_store_b64 off, v[4:5], s32 offset:348 ; 8-byte Folded Spill
	s_wait_xcnt 0x0
	v_cmpx_ne_u32_e32 0x7f, v2
	s_cbranch_execz .LBB216_128
; %bb.125:                              ;   in Loop: Header=BB216_15 Depth=1
	scratch_load_b64 v[4:5], off, s32 offset:192 th:TH_LOAD_LU ; 8-byte Folded Reload
	s_wait_loadcnt 0x0
	v_dual_lshrrev_b32 v1, 3, v2 :: v_dual_bitop2_b32 v4, 7, v1 bitop3:0x40
	s_mov_b32 s17, exec_lo
	s_wait_xcnt 0x0
	v_cmpx_gt_u32_e32 8, v2
; %bb.126:                              ;   in Loop: Header=BB216_15 Depth=1
	s_delay_alu instid0(VALU_DEP_2) | instskip(NEXT) | instid1(VALU_DEP_1)
	v_clz_i32_u32_e32 v1, v4
	v_min_u32_e32 v1, 32, v1
	s_delay_alu instid0(VALU_DEP_1) | instskip(NEXT) | instid1(VALU_DEP_1)
	v_subrev_nc_u32_e32 v2, 28, v1
	v_lshlrev_b64_e32 v[2:3], v2, v[4:5]
	s_delay_alu instid0(VALU_DEP_1)
	v_dual_sub_nc_u32 v1, 29, v1 :: v_dual_bitop2_b32 v4, 7, v2 bitop3:0x40
; %bb.127:                              ;   in Loop: Header=BB216_15 Depth=1
	s_or_b32 exec_lo, exec_lo, s17
	v_lshlrev_b32_e32 v2, 16, v0
	s_delay_alu instid0(VALU_DEP_2) | instskip(NEXT) | instid1(VALU_DEP_3)
	v_lshlrev_b32_e32 v3, 20, v4
	v_lshl_add_u32 v1, v1, 23, 0x3c000000
	s_delay_alu instid0(VALU_DEP_3) | instskip(NEXT) | instid1(VALU_DEP_1)
	v_and_b32_e32 v2, 0x80000000, v2
	v_or3_b32 v3, v3, v2, v1
	v_dual_mov_b32 v1, v5 :: v_dual_mov_b32 v2, v5
	s_clause 0x1
	scratch_store_b64 off, v[0:1], s32 offset:192
	scratch_store_b64 off, v[2:3], s32 offset:348
.LBB216_128:                            ;   in Loop: Header=BB216_15 Depth=1
	s_wait_xcnt 0x0
	s_or_b32 exec_lo, exec_lo, s16
.LBB216_129:                            ;   in Loop: Header=BB216_15 Depth=1
	s_delay_alu instid0(SALU_CYCLE_1)
	s_or_b32 exec_lo, exec_lo, s15
.LBB216_130:                            ;   in Loop: Header=BB216_15 Depth=1
	s_delay_alu instid0(SALU_CYCLE_1) | instskip(SKIP_3) | instid1(VALU_DEP_1)
	s_or_b32 exec_lo, exec_lo, s14
	v_mov_b64_e32 v[4:5], 0
	v_lshrrev_b32_e32 v1, 16, v0
	s_mov_b32 s14, exec_lo
	v_and_b32_e32 v2, 0xff, v1
	scratch_store_b64 off, v[4:5], s32 offset:364 ; 8-byte Folded Spill
	s_wait_xcnt 0x0
	v_mov_b64_e32 v[4:5], 0
	scratch_store_b64 off, v[4:5], s32 offset:372 ; 8-byte Folded Spill
	s_wait_xcnt 0x0
	v_cmpx_ne_u16_e32 0, v2
	s_cbranch_execz .LBB216_138
; %bb.131:                              ;   in Loop: Header=BB216_15 Depth=1
	v_cmp_ne_u16_e64 s1, 0x80, v2
	v_mov_b64_e32 v[2:3], 0x80000000
	scratch_store_b64 off, v[2:3], s32 offset:372 ; 8-byte Folded Spill
	s_wait_xcnt 0x0
	s_and_saveexec_b32 s15, s1
	s_cbranch_execz .LBB216_137
; %bb.132:                              ;   in Loop: Header=BB216_15 Depth=1
	v_mov_b64_e32 v[4:5], 0x7f800001
	v_bfe_u32 v3, v0, 16, 7
	s_mov_b32 s16, exec_lo
	scratch_store_b64 off, v[4:5], s32 offset:372 ; 8-byte Folded Spill
	s_wait_xcnt 0x0
	v_cmpx_ne_u32_e32 0x7f, v3
	s_cbranch_execz .LBB216_136
; %bb.133:                              ;   in Loop: Header=BB216_15 Depth=1
	scratch_load_b64 v[6:7], off, s32 offset:192 th:TH_LOAD_LU ; 8-byte Folded Reload
	s_wait_loadcnt 0x0
	v_dual_lshrrev_b32 v2, 3, v3 :: v_dual_bitop2_b32 v6, 7, v1 bitop3:0x40
	s_mov_b32 s17, exec_lo
	s_wait_xcnt 0x0
	v_cmpx_gt_u32_e32 8, v3
; %bb.134:                              ;   in Loop: Header=BB216_15 Depth=1
	s_delay_alu instid0(VALU_DEP_2) | instskip(NEXT) | instid1(VALU_DEP_1)
	v_clz_i32_u32_e32 v2, v6
	v_min_u32_e32 v2, 32, v2
	s_delay_alu instid0(VALU_DEP_1) | instskip(NEXT) | instid1(VALU_DEP_1)
	v_subrev_nc_u32_e32 v3, 28, v2
	v_lshlrev_b64_e32 v[4:5], v3, v[6:7]
	s_delay_alu instid0(VALU_DEP_1)
	v_dual_sub_nc_u32 v2, 29, v2 :: v_dual_bitop2_b32 v6, 7, v4 bitop3:0x40
; %bb.135:                              ;   in Loop: Header=BB216_15 Depth=1
	s_or_b32 exec_lo, exec_lo, s17
	s_delay_alu instid0(VALU_DEP_1) | instskip(NEXT) | instid1(VALU_DEP_2)
	v_dual_lshlrev_b32 v1, 24, v1 :: v_dual_lshlrev_b32 v3, 20, v6
	v_lshl_add_u32 v2, v2, 23, 0x3c000000
	s_delay_alu instid0(VALU_DEP_2) | instskip(NEXT) | instid1(VALU_DEP_1)
	v_and_b32_e32 v1, 0x80000000, v1
	v_or3_b32 v6, v3, v1, v2
	v_mov_b32_e32 v1, v7
	s_clause 0x1
	scratch_store_b64 off, v[0:1], s32 offset:192
	scratch_store_b64 off, v[6:7], s32 offset:372
.LBB216_136:                            ;   in Loop: Header=BB216_15 Depth=1
	s_wait_xcnt 0x0
	s_or_b32 exec_lo, exec_lo, s16
.LBB216_137:                            ;   in Loop: Header=BB216_15 Depth=1
	s_delay_alu instid0(SALU_CYCLE_1)
	s_or_b32 exec_lo, exec_lo, s15
.LBB216_138:                            ;   in Loop: Header=BB216_15 Depth=1
	s_delay_alu instid0(SALU_CYCLE_1) | instskip(NEXT) | instid1(SALU_CYCLE_1)
	s_or_b32 exec_lo, exec_lo, s14
	s_mov_b32 s14, exec_lo
	v_cmpx_lt_u32_e32 0xffffff, v0
	s_cbranch_execz .LBB216_146
; %bb.139:                              ;   in Loop: Header=BB216_15 Depth=1
	v_mov_b64_e32 v[2:3], 0x8000000000000000
	v_lshrrev_b32_e32 v1, 24, v0
	s_mov_b32 s15, exec_lo
	scratch_store_b64 off, v[2:3], s32 offset:364 ; 8-byte Folded Spill
	s_wait_xcnt 0x0
	v_cmpx_ne_u32_e32 0x80, v1
	s_cbranch_execz .LBB216_145
; %bb.140:                              ;   in Loop: Header=BB216_15 Depth=1
	v_mov_b64_e32 v[4:5], 0x7f80000100000000
	v_bfe_u32 v2, v0, 24, 7
	s_mov_b32 s16, exec_lo
	scratch_store_b64 off, v[4:5], s32 offset:364 ; 8-byte Folded Spill
	s_wait_xcnt 0x0
	v_cmpx_ne_u32_e32 0x7f, v2
	s_cbranch_execz .LBB216_144
; %bb.141:                              ;   in Loop: Header=BB216_15 Depth=1
	scratch_load_b64 v[4:5], off, s32 offset:192 th:TH_LOAD_LU ; 8-byte Folded Reload
	s_wait_loadcnt 0x0
	v_dual_lshrrev_b32 v0, 3, v2 :: v_dual_bitop2_b32 v4, 7, v1 bitop3:0x40
	s_mov_b32 s17, exec_lo
	s_wait_xcnt 0x0
	v_cmpx_gt_u32_e32 8, v2
; %bb.142:                              ;   in Loop: Header=BB216_15 Depth=1
	s_delay_alu instid0(VALU_DEP_2) | instskip(NEXT) | instid1(VALU_DEP_1)
	v_clz_i32_u32_e32 v0, v4
	v_min_u32_e32 v0, 32, v0
	s_delay_alu instid0(VALU_DEP_1) | instskip(NEXT) | instid1(VALU_DEP_1)
	v_subrev_nc_u32_e32 v2, 28, v0
	v_lshlrev_b64_e32 v[2:3], v2, v[4:5]
	s_delay_alu instid0(VALU_DEP_1)
	v_dual_sub_nc_u32 v0, 29, v0 :: v_dual_bitop2_b32 v4, 7, v2 bitop3:0x40
; %bb.143:                              ;   in Loop: Header=BB216_15 Depth=1
	s_or_b32 exec_lo, exec_lo, s17
	s_delay_alu instid0(VALU_DEP_1) | instskip(NEXT) | instid1(VALU_DEP_2)
	v_dual_lshlrev_b32 v1, 24, v1 :: v_dual_lshlrev_b32 v2, 20, v4
	v_lshl_add_u32 v0, v0, 23, 0x3c000000
	s_delay_alu instid0(VALU_DEP_2) | instskip(NEXT) | instid1(VALU_DEP_1)
	v_and_b32_e32 v1, 0x80000000, v1
	v_or3_b32 v3, v2, v1, v0
	v_dual_mov_b32 v1, v5 :: v_dual_mov_b32 v2, v5
	s_clause 0x1
	scratch_store_b64 off, v[0:1], s32 offset:192
	scratch_store_b64 off, v[2:3], s32 offset:364
.LBB216_144:                            ;   in Loop: Header=BB216_15 Depth=1
	s_wait_xcnt 0x0
	s_or_b32 exec_lo, exec_lo, s16
.LBB216_145:                            ;   in Loop: Header=BB216_15 Depth=1
	s_delay_alu instid0(SALU_CYCLE_1)
	s_or_b32 exec_lo, exec_lo, s15
.LBB216_146:                            ;   in Loop: Header=BB216_15 Depth=1
	s_delay_alu instid0(SALU_CYCLE_1)
	s_or_b32 exec_lo, exec_lo, s14
	flat_load_b32 v0, v[84:85] offset:512
	v_mov_b64_e32 v[2:3], 0
	s_mov_b32 s14, exec_lo
	scratch_store_b64 off, v[2:3], s32 offset:380 ; 8-byte Folded Spill
	s_wait_xcnt 0x0
	v_mov_b64_e32 v[2:3], 0
	scratch_store_b64 off, v[2:3], s32 offset:388 ; 8-byte Folded Spill
	s_wait_loadcnt_dscnt 0x0
	v_and_b32_e32 v1, 0xff, v0
	s_wait_xcnt 0x0
	s_delay_alu instid0(VALU_DEP_1)
	v_cmpx_ne_u16_e32 0, v1
	s_cbranch_execz .LBB216_154
; %bb.147:                              ;   in Loop: Header=BB216_15 Depth=1
	v_mov_b64_e32 v[2:3], 0x80000000
	s_mov_b32 s15, exec_lo
	scratch_store_b64 off, v[2:3], s32 offset:388 ; 8-byte Folded Spill
	s_wait_xcnt 0x0
	v_cmpx_ne_u16_e32 0x80, v1
	s_cbranch_execz .LBB216_153
; %bb.148:                              ;   in Loop: Header=BB216_15 Depth=1
	v_mov_b64_e32 v[4:5], 0x7f800001
	v_and_b32_e32 v2, 0x7f, v0
	s_mov_b32 s16, exec_lo
	scratch_store_b64 off, v[4:5], s32 offset:388 ; 8-byte Folded Spill
	s_wait_xcnt 0x0
	v_cmpx_ne_u32_e32 0x7f, v2
	s_cbranch_execz .LBB216_152
; %bb.149:                              ;   in Loop: Header=BB216_15 Depth=1
	scratch_load_b64 v[4:5], off, s32 offset:192 th:TH_LOAD_LU ; 8-byte Folded Reload
	s_wait_loadcnt 0x0
	v_dual_lshrrev_b32 v1, 3, v2 :: v_dual_bitop2_b32 v4, 7, v0 bitop3:0x40
	s_mov_b32 s17, exec_lo
	s_wait_xcnt 0x0
	v_cmpx_gt_u32_e32 8, v2
; %bb.150:                              ;   in Loop: Header=BB216_15 Depth=1
	s_delay_alu instid0(VALU_DEP_2) | instskip(NEXT) | instid1(VALU_DEP_1)
	v_clz_i32_u32_e32 v1, v4
	v_min_u32_e32 v1, 32, v1
	s_delay_alu instid0(VALU_DEP_1) | instskip(NEXT) | instid1(VALU_DEP_1)
	v_subrev_nc_u32_e32 v2, 28, v1
	v_lshlrev_b64_e32 v[2:3], v2, v[4:5]
	s_delay_alu instid0(VALU_DEP_1)
	v_dual_sub_nc_u32 v1, 29, v1 :: v_dual_bitop2_b32 v4, 7, v2 bitop3:0x40
; %bb.151:                              ;   in Loop: Header=BB216_15 Depth=1
	s_or_b32 exec_lo, exec_lo, s17
	v_lshlrev_b32_e32 v2, 24, v0
	s_delay_alu instid0(VALU_DEP_2) | instskip(NEXT) | instid1(VALU_DEP_3)
	v_lshlrev_b32_e32 v3, 20, v4
	v_lshl_add_u32 v1, v1, 23, 0x3c000000
	s_delay_alu instid0(VALU_DEP_3) | instskip(NEXT) | instid1(VALU_DEP_1)
	v_and_b32_e32 v2, 0x80000000, v2
	v_or3_b32 v4, v3, v2, v1
	v_mov_b32_e32 v1, v5
	s_clause 0x1
	scratch_store_b64 off, v[0:1], s32 offset:192
	scratch_store_b64 off, v[4:5], s32 offset:388
.LBB216_152:                            ;   in Loop: Header=BB216_15 Depth=1
	s_wait_xcnt 0x0
	s_or_b32 exec_lo, exec_lo, s16
.LBB216_153:                            ;   in Loop: Header=BB216_15 Depth=1
	s_delay_alu instid0(SALU_CYCLE_1)
	s_or_b32 exec_lo, exec_lo, s15
.LBB216_154:                            ;   in Loop: Header=BB216_15 Depth=1
	s_delay_alu instid0(SALU_CYCLE_1) | instskip(SKIP_2) | instid1(VALU_DEP_1)
	s_or_b32 exec_lo, exec_lo, s14
	v_lshrrev_b16 v1, 8, v0
	s_mov_b32 s14, exec_lo
	v_cmpx_ne_u16_e32 0, v1
	s_cbranch_execz .LBB216_162
; %bb.155:                              ;   in Loop: Header=BB216_15 Depth=1
	v_mov_b64_e32 v[2:3], 0x8000000000000000
	s_mov_b32 s15, exec_lo
	scratch_store_b64 off, v[2:3], s32 offset:380 ; 8-byte Folded Spill
	s_wait_xcnt 0x0
	v_cmpx_ne_u16_e32 0x80, v1
	s_cbranch_execz .LBB216_161
; %bb.156:                              ;   in Loop: Header=BB216_15 Depth=1
	v_and_b32_e32 v1, 0xffff, v1
	v_mov_b64_e32 v[4:5], 0x7f80000100000000
	s_mov_b32 s16, exec_lo
	s_delay_alu instid0(VALU_DEP_2)
	v_and_b32_e32 v2, 0x7f, v1
	scratch_store_b64 off, v[4:5], s32 offset:380 ; 8-byte Folded Spill
	s_wait_xcnt 0x0
	v_cmpx_ne_u32_e32 0x7f, v2
	s_cbranch_execz .LBB216_160
; %bb.157:                              ;   in Loop: Header=BB216_15 Depth=1
	scratch_load_b64 v[4:5], off, s32 offset:192 th:TH_LOAD_LU ; 8-byte Folded Reload
	s_wait_loadcnt 0x0
	v_dual_lshrrev_b32 v1, 3, v2 :: v_dual_bitop2_b32 v4, 7, v1 bitop3:0x40
	s_mov_b32 s17, exec_lo
	s_wait_xcnt 0x0
	v_cmpx_gt_u32_e32 8, v2
; %bb.158:                              ;   in Loop: Header=BB216_15 Depth=1
	s_delay_alu instid0(VALU_DEP_2) | instskip(NEXT) | instid1(VALU_DEP_1)
	v_clz_i32_u32_e32 v1, v4
	v_min_u32_e32 v1, 32, v1
	s_delay_alu instid0(VALU_DEP_1) | instskip(NEXT) | instid1(VALU_DEP_1)
	v_subrev_nc_u32_e32 v2, 28, v1
	v_lshlrev_b64_e32 v[2:3], v2, v[4:5]
	s_delay_alu instid0(VALU_DEP_1)
	v_dual_sub_nc_u32 v1, 29, v1 :: v_dual_bitop2_b32 v4, 7, v2 bitop3:0x40
; %bb.159:                              ;   in Loop: Header=BB216_15 Depth=1
	s_or_b32 exec_lo, exec_lo, s17
	v_lshlrev_b32_e32 v2, 16, v0
	s_delay_alu instid0(VALU_DEP_2) | instskip(NEXT) | instid1(VALU_DEP_3)
	v_lshlrev_b32_e32 v3, 20, v4
	v_lshl_add_u32 v1, v1, 23, 0x3c000000
	s_delay_alu instid0(VALU_DEP_3) | instskip(NEXT) | instid1(VALU_DEP_1)
	v_and_b32_e32 v2, 0x80000000, v2
	v_or3_b32 v3, v3, v2, v1
	v_dual_mov_b32 v1, v5 :: v_dual_mov_b32 v2, v5
	s_clause 0x1
	scratch_store_b64 off, v[0:1], s32 offset:192
	scratch_store_b64 off, v[2:3], s32 offset:380
.LBB216_160:                            ;   in Loop: Header=BB216_15 Depth=1
	s_wait_xcnt 0x0
	s_or_b32 exec_lo, exec_lo, s16
.LBB216_161:                            ;   in Loop: Header=BB216_15 Depth=1
	s_delay_alu instid0(SALU_CYCLE_1)
	s_or_b32 exec_lo, exec_lo, s15
.LBB216_162:                            ;   in Loop: Header=BB216_15 Depth=1
	s_delay_alu instid0(SALU_CYCLE_1) | instskip(SKIP_3) | instid1(VALU_DEP_1)
	s_or_b32 exec_lo, exec_lo, s14
	v_mov_b64_e32 v[4:5], 0
	v_lshrrev_b32_e32 v1, 16, v0
	s_mov_b32 s14, exec_lo
	v_and_b32_e32 v2, 0xff, v1
	scratch_store_b64 off, v[4:5], s32 offset:396 ; 8-byte Folded Spill
	s_wait_xcnt 0x0
	v_mov_b64_e32 v[4:5], 0
	scratch_store_b64 off, v[4:5], s32 offset:404 ; 8-byte Folded Spill
	s_wait_xcnt 0x0
	v_cmpx_ne_u16_e32 0, v2
	s_cbranch_execz .LBB216_170
; %bb.163:                              ;   in Loop: Header=BB216_15 Depth=1
	v_cmp_ne_u16_e64 s1, 0x80, v2
	v_mov_b64_e32 v[2:3], 0x80000000
	scratch_store_b64 off, v[2:3], s32 offset:404 ; 8-byte Folded Spill
	s_wait_xcnt 0x0
	s_and_saveexec_b32 s15, s1
	s_cbranch_execz .LBB216_169
; %bb.164:                              ;   in Loop: Header=BB216_15 Depth=1
	v_mov_b64_e32 v[4:5], 0x7f800001
	v_bfe_u32 v3, v0, 16, 7
	s_mov_b32 s16, exec_lo
	scratch_store_b64 off, v[4:5], s32 offset:404 ; 8-byte Folded Spill
	s_wait_xcnt 0x0
	v_cmpx_ne_u32_e32 0x7f, v3
	s_cbranch_execz .LBB216_168
; %bb.165:                              ;   in Loop: Header=BB216_15 Depth=1
	scratch_load_b64 v[6:7], off, s32 offset:192 th:TH_LOAD_LU ; 8-byte Folded Reload
	s_wait_loadcnt 0x0
	v_dual_lshrrev_b32 v2, 3, v3 :: v_dual_bitop2_b32 v6, 7, v1 bitop3:0x40
	s_mov_b32 s17, exec_lo
	s_wait_xcnt 0x0
	v_cmpx_gt_u32_e32 8, v3
; %bb.166:                              ;   in Loop: Header=BB216_15 Depth=1
	s_delay_alu instid0(VALU_DEP_2) | instskip(NEXT) | instid1(VALU_DEP_1)
	v_clz_i32_u32_e32 v2, v6
	v_min_u32_e32 v2, 32, v2
	s_delay_alu instid0(VALU_DEP_1) | instskip(NEXT) | instid1(VALU_DEP_1)
	v_subrev_nc_u32_e32 v3, 28, v2
	v_lshlrev_b64_e32 v[4:5], v3, v[6:7]
	s_delay_alu instid0(VALU_DEP_1)
	v_dual_sub_nc_u32 v2, 29, v2 :: v_dual_bitop2_b32 v6, 7, v4 bitop3:0x40
; %bb.167:                              ;   in Loop: Header=BB216_15 Depth=1
	s_or_b32 exec_lo, exec_lo, s17
	s_delay_alu instid0(VALU_DEP_1) | instskip(NEXT) | instid1(VALU_DEP_2)
	v_dual_lshlrev_b32 v1, 24, v1 :: v_dual_lshlrev_b32 v3, 20, v6
	v_lshl_add_u32 v2, v2, 23, 0x3c000000
	s_delay_alu instid0(VALU_DEP_2) | instskip(NEXT) | instid1(VALU_DEP_1)
	v_and_b32_e32 v1, 0x80000000, v1
	v_or3_b32 v6, v3, v1, v2
	v_mov_b32_e32 v1, v7
	s_clause 0x1
	scratch_store_b64 off, v[0:1], s32 offset:192
	scratch_store_b64 off, v[6:7], s32 offset:404
.LBB216_168:                            ;   in Loop: Header=BB216_15 Depth=1
	s_wait_xcnt 0x0
	s_or_b32 exec_lo, exec_lo, s16
.LBB216_169:                            ;   in Loop: Header=BB216_15 Depth=1
	s_delay_alu instid0(SALU_CYCLE_1)
	s_or_b32 exec_lo, exec_lo, s15
.LBB216_170:                            ;   in Loop: Header=BB216_15 Depth=1
	s_delay_alu instid0(SALU_CYCLE_1) | instskip(NEXT) | instid1(SALU_CYCLE_1)
	s_or_b32 exec_lo, exec_lo, s14
	s_mov_b32 s14, exec_lo
	v_cmpx_lt_u32_e32 0xffffff, v0
	s_cbranch_execz .LBB216_178
; %bb.171:                              ;   in Loop: Header=BB216_15 Depth=1
	v_mov_b64_e32 v[2:3], 0x8000000000000000
	v_lshrrev_b32_e32 v1, 24, v0
	s_mov_b32 s15, exec_lo
	scratch_store_b64 off, v[2:3], s32 offset:396 ; 8-byte Folded Spill
	s_wait_xcnt 0x0
	v_cmpx_ne_u32_e32 0x80, v1
	s_cbranch_execz .LBB216_177
; %bb.172:                              ;   in Loop: Header=BB216_15 Depth=1
	v_mov_b64_e32 v[4:5], 0x7f80000100000000
	v_bfe_u32 v2, v0, 24, 7
	s_mov_b32 s16, exec_lo
	scratch_store_b64 off, v[4:5], s32 offset:396 ; 8-byte Folded Spill
	s_wait_xcnt 0x0
	v_cmpx_ne_u32_e32 0x7f, v2
	s_cbranch_execz .LBB216_176
; %bb.173:                              ;   in Loop: Header=BB216_15 Depth=1
	scratch_load_b64 v[4:5], off, s32 offset:192 th:TH_LOAD_LU ; 8-byte Folded Reload
	s_wait_loadcnt 0x0
	v_dual_lshrrev_b32 v0, 3, v2 :: v_dual_bitop2_b32 v4, 7, v1 bitop3:0x40
	s_mov_b32 s17, exec_lo
	s_wait_xcnt 0x0
	v_cmpx_gt_u32_e32 8, v2
; %bb.174:                              ;   in Loop: Header=BB216_15 Depth=1
	s_delay_alu instid0(VALU_DEP_2) | instskip(NEXT) | instid1(VALU_DEP_1)
	v_clz_i32_u32_e32 v0, v4
	v_min_u32_e32 v0, 32, v0
	s_delay_alu instid0(VALU_DEP_1) | instskip(NEXT) | instid1(VALU_DEP_1)
	v_subrev_nc_u32_e32 v2, 28, v0
	v_lshlrev_b64_e32 v[2:3], v2, v[4:5]
	s_delay_alu instid0(VALU_DEP_1)
	v_dual_sub_nc_u32 v0, 29, v0 :: v_dual_bitop2_b32 v4, 7, v2 bitop3:0x40
; %bb.175:                              ;   in Loop: Header=BB216_15 Depth=1
	s_or_b32 exec_lo, exec_lo, s17
	s_delay_alu instid0(VALU_DEP_1) | instskip(NEXT) | instid1(VALU_DEP_2)
	v_dual_lshlrev_b32 v1, 24, v1 :: v_dual_lshlrev_b32 v2, 20, v4
	v_lshl_add_u32 v0, v0, 23, 0x3c000000
	s_delay_alu instid0(VALU_DEP_2) | instskip(NEXT) | instid1(VALU_DEP_1)
	v_and_b32_e32 v1, 0x80000000, v1
	v_or3_b32 v3, v2, v1, v0
	v_dual_mov_b32 v1, v5 :: v_dual_mov_b32 v2, v5
	s_clause 0x1
	scratch_store_b64 off, v[0:1], s32 offset:192
	scratch_store_b64 off, v[2:3], s32 offset:396
.LBB216_176:                            ;   in Loop: Header=BB216_15 Depth=1
	s_wait_xcnt 0x0
	s_or_b32 exec_lo, exec_lo, s16
.LBB216_177:                            ;   in Loop: Header=BB216_15 Depth=1
	s_delay_alu instid0(SALU_CYCLE_1)
	s_or_b32 exec_lo, exec_lo, s15
.LBB216_178:                            ;   in Loop: Header=BB216_15 Depth=1
	s_delay_alu instid0(SALU_CYCLE_1)
	s_or_b32 exec_lo, exec_lo, s14
	flat_load_b32 v0, v[84:85] offset:516
	v_mov_b64_e32 v[2:3], 0
	s_mov_b32 s14, exec_lo
	scratch_store_b64 off, v[2:3], s32 offset:412 ; 8-byte Folded Spill
	s_wait_xcnt 0x0
	v_mov_b64_e32 v[2:3], 0
	scratch_store_b64 off, v[2:3], s32 offset:420 ; 8-byte Folded Spill
	s_wait_loadcnt_dscnt 0x0
	v_and_b32_e32 v1, 0xff, v0
	s_wait_xcnt 0x0
	s_delay_alu instid0(VALU_DEP_1)
	v_cmpx_ne_u16_e32 0, v1
	s_cbranch_execz .LBB216_186
; %bb.179:                              ;   in Loop: Header=BB216_15 Depth=1
	v_mov_b64_e32 v[2:3], 0x80000000
	s_mov_b32 s15, exec_lo
	scratch_store_b64 off, v[2:3], s32 offset:420 ; 8-byte Folded Spill
	s_wait_xcnt 0x0
	v_cmpx_ne_u16_e32 0x80, v1
	s_cbranch_execz .LBB216_185
; %bb.180:                              ;   in Loop: Header=BB216_15 Depth=1
	v_mov_b64_e32 v[4:5], 0x7f800001
	v_and_b32_e32 v2, 0x7f, v0
	s_mov_b32 s16, exec_lo
	scratch_store_b64 off, v[4:5], s32 offset:420 ; 8-byte Folded Spill
	s_wait_xcnt 0x0
	v_cmpx_ne_u32_e32 0x7f, v2
	s_cbranch_execz .LBB216_184
; %bb.181:                              ;   in Loop: Header=BB216_15 Depth=1
	scratch_load_b64 v[4:5], off, s32 offset:192 th:TH_LOAD_LU ; 8-byte Folded Reload
	s_wait_loadcnt 0x0
	v_dual_lshrrev_b32 v1, 3, v2 :: v_dual_bitop2_b32 v4, 7, v0 bitop3:0x40
	s_mov_b32 s17, exec_lo
	s_wait_xcnt 0x0
	v_cmpx_gt_u32_e32 8, v2
; %bb.182:                              ;   in Loop: Header=BB216_15 Depth=1
	s_delay_alu instid0(VALU_DEP_2) | instskip(NEXT) | instid1(VALU_DEP_1)
	v_clz_i32_u32_e32 v1, v4
	v_min_u32_e32 v1, 32, v1
	s_delay_alu instid0(VALU_DEP_1) | instskip(NEXT) | instid1(VALU_DEP_1)
	v_subrev_nc_u32_e32 v2, 28, v1
	v_lshlrev_b64_e32 v[2:3], v2, v[4:5]
	s_delay_alu instid0(VALU_DEP_1)
	v_dual_sub_nc_u32 v1, 29, v1 :: v_dual_bitop2_b32 v4, 7, v2 bitop3:0x40
; %bb.183:                              ;   in Loop: Header=BB216_15 Depth=1
	s_or_b32 exec_lo, exec_lo, s17
	v_lshlrev_b32_e32 v2, 24, v0
	s_delay_alu instid0(VALU_DEP_2) | instskip(NEXT) | instid1(VALU_DEP_3)
	v_lshlrev_b32_e32 v3, 20, v4
	v_lshl_add_u32 v1, v1, 23, 0x3c000000
	s_delay_alu instid0(VALU_DEP_3) | instskip(NEXT) | instid1(VALU_DEP_1)
	v_and_b32_e32 v2, 0x80000000, v2
	v_or3_b32 v4, v3, v2, v1
	v_mov_b32_e32 v1, v5
	s_clause 0x1
	scratch_store_b64 off, v[0:1], s32 offset:192
	scratch_store_b64 off, v[4:5], s32 offset:420
.LBB216_184:                            ;   in Loop: Header=BB216_15 Depth=1
	s_wait_xcnt 0x0
	s_or_b32 exec_lo, exec_lo, s16
.LBB216_185:                            ;   in Loop: Header=BB216_15 Depth=1
	s_delay_alu instid0(SALU_CYCLE_1)
	s_or_b32 exec_lo, exec_lo, s15
.LBB216_186:                            ;   in Loop: Header=BB216_15 Depth=1
	s_delay_alu instid0(SALU_CYCLE_1) | instskip(SKIP_2) | instid1(VALU_DEP_1)
	s_or_b32 exec_lo, exec_lo, s14
	v_lshrrev_b16 v1, 8, v0
	s_mov_b32 s14, exec_lo
	v_cmpx_ne_u16_e32 0, v1
	s_cbranch_execz .LBB216_194
; %bb.187:                              ;   in Loop: Header=BB216_15 Depth=1
	v_mov_b64_e32 v[2:3], 0x8000000000000000
	s_mov_b32 s15, exec_lo
	scratch_store_b64 off, v[2:3], s32 offset:412 ; 8-byte Folded Spill
	s_wait_xcnt 0x0
	v_cmpx_ne_u16_e32 0x80, v1
	s_cbranch_execz .LBB216_193
; %bb.188:                              ;   in Loop: Header=BB216_15 Depth=1
	v_and_b32_e32 v1, 0xffff, v1
	v_mov_b64_e32 v[4:5], 0x7f80000100000000
	s_mov_b32 s16, exec_lo
	s_delay_alu instid0(VALU_DEP_2)
	v_and_b32_e32 v2, 0x7f, v1
	scratch_store_b64 off, v[4:5], s32 offset:412 ; 8-byte Folded Spill
	s_wait_xcnt 0x0
	v_cmpx_ne_u32_e32 0x7f, v2
	s_cbranch_execz .LBB216_192
; %bb.189:                              ;   in Loop: Header=BB216_15 Depth=1
	scratch_load_b64 v[4:5], off, s32 offset:192 th:TH_LOAD_LU ; 8-byte Folded Reload
	s_wait_loadcnt 0x0
	v_dual_lshrrev_b32 v1, 3, v2 :: v_dual_bitop2_b32 v4, 7, v1 bitop3:0x40
	s_mov_b32 s17, exec_lo
	s_wait_xcnt 0x0
	v_cmpx_gt_u32_e32 8, v2
; %bb.190:                              ;   in Loop: Header=BB216_15 Depth=1
	s_delay_alu instid0(VALU_DEP_2) | instskip(NEXT) | instid1(VALU_DEP_1)
	v_clz_i32_u32_e32 v1, v4
	v_min_u32_e32 v1, 32, v1
	s_delay_alu instid0(VALU_DEP_1) | instskip(NEXT) | instid1(VALU_DEP_1)
	v_subrev_nc_u32_e32 v2, 28, v1
	v_lshlrev_b64_e32 v[2:3], v2, v[4:5]
	s_delay_alu instid0(VALU_DEP_1)
	v_dual_sub_nc_u32 v1, 29, v1 :: v_dual_bitop2_b32 v4, 7, v2 bitop3:0x40
; %bb.191:                              ;   in Loop: Header=BB216_15 Depth=1
	s_or_b32 exec_lo, exec_lo, s17
	v_lshlrev_b32_e32 v2, 16, v0
	s_delay_alu instid0(VALU_DEP_2) | instskip(NEXT) | instid1(VALU_DEP_3)
	v_lshlrev_b32_e32 v3, 20, v4
	v_lshl_add_u32 v1, v1, 23, 0x3c000000
	s_delay_alu instid0(VALU_DEP_3) | instskip(NEXT) | instid1(VALU_DEP_1)
	v_and_b32_e32 v2, 0x80000000, v2
	v_or3_b32 v3, v3, v2, v1
	v_dual_mov_b32 v1, v5 :: v_dual_mov_b32 v2, v5
	s_clause 0x1
	scratch_store_b64 off, v[0:1], s32 offset:192
	scratch_store_b64 off, v[2:3], s32 offset:412
.LBB216_192:                            ;   in Loop: Header=BB216_15 Depth=1
	s_wait_xcnt 0x0
	s_or_b32 exec_lo, exec_lo, s16
.LBB216_193:                            ;   in Loop: Header=BB216_15 Depth=1
	s_delay_alu instid0(SALU_CYCLE_1)
	s_or_b32 exec_lo, exec_lo, s15
.LBB216_194:                            ;   in Loop: Header=BB216_15 Depth=1
	s_delay_alu instid0(SALU_CYCLE_1) | instskip(SKIP_3) | instid1(VALU_DEP_1)
	s_or_b32 exec_lo, exec_lo, s14
	v_mov_b64_e32 v[4:5], 0
	v_lshrrev_b32_e32 v1, 16, v0
	s_mov_b32 s14, exec_lo
	v_and_b32_e32 v2, 0xff, v1
	scratch_store_b64 off, v[4:5], s32 offset:428 ; 8-byte Folded Spill
	s_wait_xcnt 0x0
	v_mov_b64_e32 v[4:5], 0
	scratch_store_b64 off, v[4:5], s32 offset:436 ; 8-byte Folded Spill
	s_wait_xcnt 0x0
	v_cmpx_ne_u16_e32 0, v2
	s_cbranch_execz .LBB216_202
; %bb.195:                              ;   in Loop: Header=BB216_15 Depth=1
	v_cmp_ne_u16_e64 s1, 0x80, v2
	v_mov_b64_e32 v[2:3], 0x80000000
	scratch_store_b64 off, v[2:3], s32 offset:436 ; 8-byte Folded Spill
	s_wait_xcnt 0x0
	s_and_saveexec_b32 s15, s1
	s_cbranch_execz .LBB216_201
; %bb.196:                              ;   in Loop: Header=BB216_15 Depth=1
	v_mov_b64_e32 v[4:5], 0x7f800001
	v_bfe_u32 v3, v0, 16, 7
	s_mov_b32 s16, exec_lo
	scratch_store_b64 off, v[4:5], s32 offset:436 ; 8-byte Folded Spill
	s_wait_xcnt 0x0
	v_cmpx_ne_u32_e32 0x7f, v3
	s_cbranch_execz .LBB216_200
; %bb.197:                              ;   in Loop: Header=BB216_15 Depth=1
	scratch_load_b64 v[6:7], off, s32 offset:192 th:TH_LOAD_LU ; 8-byte Folded Reload
	s_wait_loadcnt 0x0
	v_dual_lshrrev_b32 v2, 3, v3 :: v_dual_bitop2_b32 v6, 7, v1 bitop3:0x40
	s_mov_b32 s17, exec_lo
	s_wait_xcnt 0x0
	v_cmpx_gt_u32_e32 8, v3
; %bb.198:                              ;   in Loop: Header=BB216_15 Depth=1
	s_delay_alu instid0(VALU_DEP_2) | instskip(NEXT) | instid1(VALU_DEP_1)
	v_clz_i32_u32_e32 v2, v6
	v_min_u32_e32 v2, 32, v2
	s_delay_alu instid0(VALU_DEP_1) | instskip(NEXT) | instid1(VALU_DEP_1)
	v_subrev_nc_u32_e32 v3, 28, v2
	v_lshlrev_b64_e32 v[4:5], v3, v[6:7]
	s_delay_alu instid0(VALU_DEP_1)
	v_dual_sub_nc_u32 v2, 29, v2 :: v_dual_bitop2_b32 v6, 7, v4 bitop3:0x40
; %bb.199:                              ;   in Loop: Header=BB216_15 Depth=1
	s_or_b32 exec_lo, exec_lo, s17
	s_delay_alu instid0(VALU_DEP_1) | instskip(NEXT) | instid1(VALU_DEP_2)
	v_dual_lshlrev_b32 v1, 24, v1 :: v_dual_lshlrev_b32 v3, 20, v6
	v_lshl_add_u32 v2, v2, 23, 0x3c000000
	s_delay_alu instid0(VALU_DEP_2) | instskip(NEXT) | instid1(VALU_DEP_1)
	v_and_b32_e32 v1, 0x80000000, v1
	v_or3_b32 v6, v3, v1, v2
	v_mov_b32_e32 v1, v7
	s_clause 0x1
	scratch_store_b64 off, v[0:1], s32 offset:192
	scratch_store_b64 off, v[6:7], s32 offset:436
.LBB216_200:                            ;   in Loop: Header=BB216_15 Depth=1
	s_wait_xcnt 0x0
	s_or_b32 exec_lo, exec_lo, s16
.LBB216_201:                            ;   in Loop: Header=BB216_15 Depth=1
	s_delay_alu instid0(SALU_CYCLE_1)
	s_or_b32 exec_lo, exec_lo, s15
.LBB216_202:                            ;   in Loop: Header=BB216_15 Depth=1
	s_delay_alu instid0(SALU_CYCLE_1) | instskip(NEXT) | instid1(SALU_CYCLE_1)
	s_or_b32 exec_lo, exec_lo, s14
	s_mov_b32 s14, exec_lo
	v_cmpx_lt_u32_e32 0xffffff, v0
	s_cbranch_execz .LBB216_210
; %bb.203:                              ;   in Loop: Header=BB216_15 Depth=1
	v_mov_b64_e32 v[2:3], 0x8000000000000000
	v_lshrrev_b32_e32 v1, 24, v0
	s_mov_b32 s15, exec_lo
	scratch_store_b64 off, v[2:3], s32 offset:428 ; 8-byte Folded Spill
	s_wait_xcnt 0x0
	v_cmpx_ne_u32_e32 0x80, v1
	s_cbranch_execz .LBB216_209
; %bb.204:                              ;   in Loop: Header=BB216_15 Depth=1
	v_mov_b64_e32 v[4:5], 0x7f80000100000000
	v_bfe_u32 v2, v0, 24, 7
	s_mov_b32 s16, exec_lo
	scratch_store_b64 off, v[4:5], s32 offset:428 ; 8-byte Folded Spill
	s_wait_xcnt 0x0
	v_cmpx_ne_u32_e32 0x7f, v2
	s_cbranch_execz .LBB216_208
; %bb.205:                              ;   in Loop: Header=BB216_15 Depth=1
	scratch_load_b64 v[4:5], off, s32 offset:192 th:TH_LOAD_LU ; 8-byte Folded Reload
	s_wait_loadcnt 0x0
	v_dual_lshrrev_b32 v0, 3, v2 :: v_dual_bitop2_b32 v4, 7, v1 bitop3:0x40
	s_mov_b32 s17, exec_lo
	s_wait_xcnt 0x0
	v_cmpx_gt_u32_e32 8, v2
; %bb.206:                              ;   in Loop: Header=BB216_15 Depth=1
	s_delay_alu instid0(VALU_DEP_2) | instskip(NEXT) | instid1(VALU_DEP_1)
	v_clz_i32_u32_e32 v0, v4
	v_min_u32_e32 v0, 32, v0
	s_delay_alu instid0(VALU_DEP_1) | instskip(NEXT) | instid1(VALU_DEP_1)
	v_subrev_nc_u32_e32 v2, 28, v0
	v_lshlrev_b64_e32 v[2:3], v2, v[4:5]
	s_delay_alu instid0(VALU_DEP_1)
	v_dual_sub_nc_u32 v0, 29, v0 :: v_dual_bitop2_b32 v4, 7, v2 bitop3:0x40
; %bb.207:                              ;   in Loop: Header=BB216_15 Depth=1
	s_or_b32 exec_lo, exec_lo, s17
	s_delay_alu instid0(VALU_DEP_1) | instskip(NEXT) | instid1(VALU_DEP_2)
	v_dual_lshlrev_b32 v1, 24, v1 :: v_dual_lshlrev_b32 v2, 20, v4
	v_lshl_add_u32 v0, v0, 23, 0x3c000000
	s_delay_alu instid0(VALU_DEP_2) | instskip(NEXT) | instid1(VALU_DEP_1)
	v_and_b32_e32 v1, 0x80000000, v1
	v_or3_b32 v3, v2, v1, v0
	v_dual_mov_b32 v1, v5 :: v_dual_mov_b32 v2, v5
	s_clause 0x1
	scratch_store_b64 off, v[0:1], s32 offset:192
	scratch_store_b64 off, v[2:3], s32 offset:428
.LBB216_208:                            ;   in Loop: Header=BB216_15 Depth=1
	s_wait_xcnt 0x0
	s_or_b32 exec_lo, exec_lo, s16
.LBB216_209:                            ;   in Loop: Header=BB216_15 Depth=1
	s_delay_alu instid0(SALU_CYCLE_1)
	s_or_b32 exec_lo, exec_lo, s15
.LBB216_210:                            ;   in Loop: Header=BB216_15 Depth=1
	s_delay_alu instid0(SALU_CYCLE_1)
	s_or_b32 exec_lo, exec_lo, s14
	flat_load_b32 v0, v[84:85] offset:520
	v_mov_b64_e32 v[2:3], 0
	s_mov_b32 s14, exec_lo
	scratch_store_b64 off, v[2:3], s32 offset:444 ; 8-byte Folded Spill
	s_wait_xcnt 0x0
	v_mov_b64_e32 v[2:3], 0
	scratch_store_b64 off, v[2:3], s32 offset:452 ; 8-byte Folded Spill
	s_wait_loadcnt_dscnt 0x0
	v_and_b32_e32 v1, 0xff, v0
	s_wait_xcnt 0x0
	s_delay_alu instid0(VALU_DEP_1)
	v_cmpx_ne_u16_e32 0, v1
	s_cbranch_execz .LBB216_218
; %bb.211:                              ;   in Loop: Header=BB216_15 Depth=1
	v_mov_b64_e32 v[2:3], 0x80000000
	s_mov_b32 s15, exec_lo
	scratch_store_b64 off, v[2:3], s32 offset:452 ; 8-byte Folded Spill
	s_wait_xcnt 0x0
	v_cmpx_ne_u16_e32 0x80, v1
	s_cbranch_execz .LBB216_217
; %bb.212:                              ;   in Loop: Header=BB216_15 Depth=1
	v_mov_b64_e32 v[4:5], 0x7f800001
	v_and_b32_e32 v2, 0x7f, v0
	s_mov_b32 s16, exec_lo
	scratch_store_b64 off, v[4:5], s32 offset:452 ; 8-byte Folded Spill
	s_wait_xcnt 0x0
	v_cmpx_ne_u32_e32 0x7f, v2
	s_cbranch_execz .LBB216_216
; %bb.213:                              ;   in Loop: Header=BB216_15 Depth=1
	scratch_load_b64 v[4:5], off, s32 offset:192 th:TH_LOAD_LU ; 8-byte Folded Reload
	s_wait_loadcnt 0x0
	v_dual_lshrrev_b32 v1, 3, v2 :: v_dual_bitop2_b32 v4, 7, v0 bitop3:0x40
	s_mov_b32 s17, exec_lo
	s_wait_xcnt 0x0
	v_cmpx_gt_u32_e32 8, v2
; %bb.214:                              ;   in Loop: Header=BB216_15 Depth=1
	s_delay_alu instid0(VALU_DEP_2) | instskip(NEXT) | instid1(VALU_DEP_1)
	v_clz_i32_u32_e32 v1, v4
	v_min_u32_e32 v1, 32, v1
	s_delay_alu instid0(VALU_DEP_1) | instskip(NEXT) | instid1(VALU_DEP_1)
	v_subrev_nc_u32_e32 v2, 28, v1
	v_lshlrev_b64_e32 v[2:3], v2, v[4:5]
	s_delay_alu instid0(VALU_DEP_1)
	v_dual_sub_nc_u32 v1, 29, v1 :: v_dual_bitop2_b32 v4, 7, v2 bitop3:0x40
; %bb.215:                              ;   in Loop: Header=BB216_15 Depth=1
	s_or_b32 exec_lo, exec_lo, s17
	v_lshlrev_b32_e32 v2, 24, v0
	s_delay_alu instid0(VALU_DEP_2) | instskip(NEXT) | instid1(VALU_DEP_3)
	v_lshlrev_b32_e32 v3, 20, v4
	v_lshl_add_u32 v1, v1, 23, 0x3c000000
	s_delay_alu instid0(VALU_DEP_3) | instskip(NEXT) | instid1(VALU_DEP_1)
	v_and_b32_e32 v2, 0x80000000, v2
	v_or3_b32 v4, v3, v2, v1
	v_mov_b32_e32 v1, v5
	s_clause 0x1
	scratch_store_b64 off, v[0:1], s32 offset:192
	scratch_store_b64 off, v[4:5], s32 offset:452
.LBB216_216:                            ;   in Loop: Header=BB216_15 Depth=1
	s_wait_xcnt 0x0
	s_or_b32 exec_lo, exec_lo, s16
.LBB216_217:                            ;   in Loop: Header=BB216_15 Depth=1
	s_delay_alu instid0(SALU_CYCLE_1)
	s_or_b32 exec_lo, exec_lo, s15
.LBB216_218:                            ;   in Loop: Header=BB216_15 Depth=1
	s_delay_alu instid0(SALU_CYCLE_1) | instskip(SKIP_2) | instid1(VALU_DEP_1)
	s_or_b32 exec_lo, exec_lo, s14
	v_lshrrev_b16 v1, 8, v0
	s_mov_b32 s14, exec_lo
	v_cmpx_ne_u16_e32 0, v1
	s_cbranch_execz .LBB216_226
; %bb.219:                              ;   in Loop: Header=BB216_15 Depth=1
	v_mov_b64_e32 v[2:3], 0x8000000000000000
	s_mov_b32 s15, exec_lo
	scratch_store_b64 off, v[2:3], s32 offset:444 ; 8-byte Folded Spill
	s_wait_xcnt 0x0
	v_cmpx_ne_u16_e32 0x80, v1
	s_cbranch_execz .LBB216_225
; %bb.220:                              ;   in Loop: Header=BB216_15 Depth=1
	v_and_b32_e32 v1, 0xffff, v1
	v_mov_b64_e32 v[4:5], 0x7f80000100000000
	s_mov_b32 s16, exec_lo
	s_delay_alu instid0(VALU_DEP_2)
	v_and_b32_e32 v2, 0x7f, v1
	scratch_store_b64 off, v[4:5], s32 offset:444 ; 8-byte Folded Spill
	s_wait_xcnt 0x0
	v_cmpx_ne_u32_e32 0x7f, v2
	s_cbranch_execz .LBB216_224
; %bb.221:                              ;   in Loop: Header=BB216_15 Depth=1
	scratch_load_b64 v[4:5], off, s32 offset:192 th:TH_LOAD_LU ; 8-byte Folded Reload
	s_wait_loadcnt 0x0
	v_dual_lshrrev_b32 v1, 3, v2 :: v_dual_bitop2_b32 v4, 7, v1 bitop3:0x40
	s_mov_b32 s17, exec_lo
	s_wait_xcnt 0x0
	v_cmpx_gt_u32_e32 8, v2
; %bb.222:                              ;   in Loop: Header=BB216_15 Depth=1
	s_delay_alu instid0(VALU_DEP_2) | instskip(NEXT) | instid1(VALU_DEP_1)
	v_clz_i32_u32_e32 v1, v4
	v_min_u32_e32 v1, 32, v1
	s_delay_alu instid0(VALU_DEP_1) | instskip(NEXT) | instid1(VALU_DEP_1)
	v_subrev_nc_u32_e32 v2, 28, v1
	v_lshlrev_b64_e32 v[2:3], v2, v[4:5]
	s_delay_alu instid0(VALU_DEP_1)
	v_dual_sub_nc_u32 v1, 29, v1 :: v_dual_bitop2_b32 v4, 7, v2 bitop3:0x40
; %bb.223:                              ;   in Loop: Header=BB216_15 Depth=1
	s_or_b32 exec_lo, exec_lo, s17
	v_lshlrev_b32_e32 v2, 16, v0
	s_delay_alu instid0(VALU_DEP_2) | instskip(NEXT) | instid1(VALU_DEP_3)
	v_lshlrev_b32_e32 v3, 20, v4
	v_lshl_add_u32 v1, v1, 23, 0x3c000000
	s_delay_alu instid0(VALU_DEP_3) | instskip(NEXT) | instid1(VALU_DEP_1)
	v_and_b32_e32 v2, 0x80000000, v2
	v_or3_b32 v3, v3, v2, v1
	v_dual_mov_b32 v1, v5 :: v_dual_mov_b32 v2, v5
	s_clause 0x1
	scratch_store_b64 off, v[0:1], s32 offset:192
	scratch_store_b64 off, v[2:3], s32 offset:444
.LBB216_224:                            ;   in Loop: Header=BB216_15 Depth=1
	s_wait_xcnt 0x0
	s_or_b32 exec_lo, exec_lo, s16
.LBB216_225:                            ;   in Loop: Header=BB216_15 Depth=1
	s_delay_alu instid0(SALU_CYCLE_1)
	s_or_b32 exec_lo, exec_lo, s15
.LBB216_226:                            ;   in Loop: Header=BB216_15 Depth=1
	s_delay_alu instid0(SALU_CYCLE_1) | instskip(SKIP_3) | instid1(VALU_DEP_1)
	s_or_b32 exec_lo, exec_lo, s14
	v_mov_b64_e32 v[4:5], 0
	v_lshrrev_b32_e32 v1, 16, v0
	s_mov_b32 s14, exec_lo
	v_and_b32_e32 v2, 0xff, v1
	scratch_store_b64 off, v[4:5], s32 offset:460 ; 8-byte Folded Spill
	s_wait_xcnt 0x0
	v_mov_b64_e32 v[4:5], 0
	scratch_store_b64 off, v[4:5], s32 offset:468 ; 8-byte Folded Spill
	s_wait_xcnt 0x0
	v_cmpx_ne_u16_e32 0, v2
	s_cbranch_execz .LBB216_234
; %bb.227:                              ;   in Loop: Header=BB216_15 Depth=1
	v_cmp_ne_u16_e64 s1, 0x80, v2
	v_mov_b64_e32 v[2:3], 0x80000000
	scratch_store_b64 off, v[2:3], s32 offset:468 ; 8-byte Folded Spill
	s_wait_xcnt 0x0
	s_and_saveexec_b32 s15, s1
	s_cbranch_execz .LBB216_233
; %bb.228:                              ;   in Loop: Header=BB216_15 Depth=1
	v_mov_b64_e32 v[4:5], 0x7f800001
	v_bfe_u32 v3, v0, 16, 7
	s_mov_b32 s16, exec_lo
	scratch_store_b64 off, v[4:5], s32 offset:468 ; 8-byte Folded Spill
	s_wait_xcnt 0x0
	v_cmpx_ne_u32_e32 0x7f, v3
	s_cbranch_execz .LBB216_232
; %bb.229:                              ;   in Loop: Header=BB216_15 Depth=1
	scratch_load_b64 v[6:7], off, s32 offset:192 th:TH_LOAD_LU ; 8-byte Folded Reload
	s_wait_loadcnt 0x0
	v_dual_lshrrev_b32 v2, 3, v3 :: v_dual_bitop2_b32 v6, 7, v1 bitop3:0x40
	s_mov_b32 s17, exec_lo
	s_wait_xcnt 0x0
	v_cmpx_gt_u32_e32 8, v3
; %bb.230:                              ;   in Loop: Header=BB216_15 Depth=1
	s_delay_alu instid0(VALU_DEP_2) | instskip(NEXT) | instid1(VALU_DEP_1)
	v_clz_i32_u32_e32 v2, v6
	v_min_u32_e32 v2, 32, v2
	s_delay_alu instid0(VALU_DEP_1) | instskip(NEXT) | instid1(VALU_DEP_1)
	v_subrev_nc_u32_e32 v3, 28, v2
	v_lshlrev_b64_e32 v[4:5], v3, v[6:7]
	s_delay_alu instid0(VALU_DEP_1)
	v_dual_sub_nc_u32 v2, 29, v2 :: v_dual_bitop2_b32 v6, 7, v4 bitop3:0x40
; %bb.231:                              ;   in Loop: Header=BB216_15 Depth=1
	s_or_b32 exec_lo, exec_lo, s17
	s_delay_alu instid0(VALU_DEP_1) | instskip(NEXT) | instid1(VALU_DEP_2)
	v_dual_lshlrev_b32 v1, 24, v1 :: v_dual_lshlrev_b32 v3, 20, v6
	v_lshl_add_u32 v2, v2, 23, 0x3c000000
	s_delay_alu instid0(VALU_DEP_2) | instskip(NEXT) | instid1(VALU_DEP_1)
	v_and_b32_e32 v1, 0x80000000, v1
	v_or3_b32 v6, v3, v1, v2
	v_mov_b32_e32 v1, v7
	s_clause 0x1
	scratch_store_b64 off, v[0:1], s32 offset:192
	scratch_store_b64 off, v[6:7], s32 offset:468
.LBB216_232:                            ;   in Loop: Header=BB216_15 Depth=1
	s_wait_xcnt 0x0
	s_or_b32 exec_lo, exec_lo, s16
.LBB216_233:                            ;   in Loop: Header=BB216_15 Depth=1
	s_delay_alu instid0(SALU_CYCLE_1)
	s_or_b32 exec_lo, exec_lo, s15
.LBB216_234:                            ;   in Loop: Header=BB216_15 Depth=1
	s_delay_alu instid0(SALU_CYCLE_1) | instskip(NEXT) | instid1(SALU_CYCLE_1)
	s_or_b32 exec_lo, exec_lo, s14
	s_mov_b32 s14, exec_lo
	v_cmpx_lt_u32_e32 0xffffff, v0
	s_cbranch_execz .LBB216_242
; %bb.235:                              ;   in Loop: Header=BB216_15 Depth=1
	v_mov_b64_e32 v[2:3], 0x8000000000000000
	v_lshrrev_b32_e32 v1, 24, v0
	s_mov_b32 s15, exec_lo
	scratch_store_b64 off, v[2:3], s32 offset:460 ; 8-byte Folded Spill
	s_wait_xcnt 0x0
	v_cmpx_ne_u32_e32 0x80, v1
	s_cbranch_execz .LBB216_241
; %bb.236:                              ;   in Loop: Header=BB216_15 Depth=1
	v_mov_b64_e32 v[4:5], 0x7f80000100000000
	v_bfe_u32 v2, v0, 24, 7
	s_mov_b32 s16, exec_lo
	scratch_store_b64 off, v[4:5], s32 offset:460 ; 8-byte Folded Spill
	s_wait_xcnt 0x0
	v_cmpx_ne_u32_e32 0x7f, v2
	s_cbranch_execz .LBB216_240
; %bb.237:                              ;   in Loop: Header=BB216_15 Depth=1
	scratch_load_b64 v[4:5], off, s32 offset:192 th:TH_LOAD_LU ; 8-byte Folded Reload
	s_wait_loadcnt 0x0
	v_dual_lshrrev_b32 v0, 3, v2 :: v_dual_bitop2_b32 v4, 7, v1 bitop3:0x40
	s_mov_b32 s17, exec_lo
	s_wait_xcnt 0x0
	v_cmpx_gt_u32_e32 8, v2
; %bb.238:                              ;   in Loop: Header=BB216_15 Depth=1
	s_delay_alu instid0(VALU_DEP_2) | instskip(NEXT) | instid1(VALU_DEP_1)
	v_clz_i32_u32_e32 v0, v4
	v_min_u32_e32 v0, 32, v0
	s_delay_alu instid0(VALU_DEP_1) | instskip(NEXT) | instid1(VALU_DEP_1)
	v_subrev_nc_u32_e32 v2, 28, v0
	v_lshlrev_b64_e32 v[2:3], v2, v[4:5]
	s_delay_alu instid0(VALU_DEP_1)
	v_dual_sub_nc_u32 v0, 29, v0 :: v_dual_bitop2_b32 v4, 7, v2 bitop3:0x40
; %bb.239:                              ;   in Loop: Header=BB216_15 Depth=1
	s_or_b32 exec_lo, exec_lo, s17
	s_delay_alu instid0(VALU_DEP_1) | instskip(NEXT) | instid1(VALU_DEP_2)
	v_dual_lshlrev_b32 v1, 24, v1 :: v_dual_lshlrev_b32 v2, 20, v4
	v_lshl_add_u32 v0, v0, 23, 0x3c000000
	s_delay_alu instid0(VALU_DEP_2) | instskip(NEXT) | instid1(VALU_DEP_1)
	v_and_b32_e32 v1, 0x80000000, v1
	v_or3_b32 v3, v2, v1, v0
	v_dual_mov_b32 v1, v5 :: v_dual_mov_b32 v2, v5
	s_clause 0x1
	scratch_store_b64 off, v[0:1], s32 offset:192
	scratch_store_b64 off, v[2:3], s32 offset:460
.LBB216_240:                            ;   in Loop: Header=BB216_15 Depth=1
	s_wait_xcnt 0x0
	s_or_b32 exec_lo, exec_lo, s16
.LBB216_241:                            ;   in Loop: Header=BB216_15 Depth=1
	s_delay_alu instid0(SALU_CYCLE_1)
	s_or_b32 exec_lo, exec_lo, s15
.LBB216_242:                            ;   in Loop: Header=BB216_15 Depth=1
	s_delay_alu instid0(SALU_CYCLE_1)
	s_or_b32 exec_lo, exec_lo, s14
	flat_load_b32 v0, v[84:85] offset:524
	v_mov_b64_e32 v[2:3], 0
	s_mov_b32 s14, exec_lo
	scratch_store_b64 off, v[2:3], s32 offset:476 ; 8-byte Folded Spill
	s_wait_xcnt 0x0
	v_mov_b64_e32 v[2:3], 0
	scratch_store_b64 off, v[2:3], s32 offset:484 ; 8-byte Folded Spill
	s_wait_loadcnt_dscnt 0x0
	v_and_b32_e32 v1, 0xff, v0
	s_wait_xcnt 0x0
	s_delay_alu instid0(VALU_DEP_1)
	v_cmpx_ne_u16_e32 0, v1
	s_cbranch_execz .LBB216_250
; %bb.243:                              ;   in Loop: Header=BB216_15 Depth=1
	v_mov_b64_e32 v[2:3], 0x80000000
	s_mov_b32 s15, exec_lo
	scratch_store_b64 off, v[2:3], s32 offset:484 ; 8-byte Folded Spill
	s_wait_xcnt 0x0
	v_cmpx_ne_u16_e32 0x80, v1
	s_cbranch_execz .LBB216_249
; %bb.244:                              ;   in Loop: Header=BB216_15 Depth=1
	v_mov_b64_e32 v[4:5], 0x7f800001
	v_and_b32_e32 v2, 0x7f, v0
	s_mov_b32 s16, exec_lo
	scratch_store_b64 off, v[4:5], s32 offset:484 ; 8-byte Folded Spill
	s_wait_xcnt 0x0
	v_cmpx_ne_u32_e32 0x7f, v2
	s_cbranch_execz .LBB216_248
; %bb.245:                              ;   in Loop: Header=BB216_15 Depth=1
	scratch_load_b64 v[4:5], off, s32 offset:192 th:TH_LOAD_LU ; 8-byte Folded Reload
	s_wait_loadcnt 0x0
	v_dual_lshrrev_b32 v1, 3, v2 :: v_dual_bitop2_b32 v4, 7, v0 bitop3:0x40
	s_mov_b32 s17, exec_lo
	s_wait_xcnt 0x0
	v_cmpx_gt_u32_e32 8, v2
; %bb.246:                              ;   in Loop: Header=BB216_15 Depth=1
	s_delay_alu instid0(VALU_DEP_2) | instskip(NEXT) | instid1(VALU_DEP_1)
	v_clz_i32_u32_e32 v1, v4
	v_min_u32_e32 v1, 32, v1
	s_delay_alu instid0(VALU_DEP_1) | instskip(NEXT) | instid1(VALU_DEP_1)
	v_subrev_nc_u32_e32 v2, 28, v1
	v_lshlrev_b64_e32 v[2:3], v2, v[4:5]
	s_delay_alu instid0(VALU_DEP_1)
	v_dual_sub_nc_u32 v1, 29, v1 :: v_dual_bitop2_b32 v4, 7, v2 bitop3:0x40
; %bb.247:                              ;   in Loop: Header=BB216_15 Depth=1
	s_or_b32 exec_lo, exec_lo, s17
	v_lshlrev_b32_e32 v2, 24, v0
	s_delay_alu instid0(VALU_DEP_2) | instskip(NEXT) | instid1(VALU_DEP_3)
	v_lshlrev_b32_e32 v3, 20, v4
	v_lshl_add_u32 v1, v1, 23, 0x3c000000
	s_delay_alu instid0(VALU_DEP_3) | instskip(NEXT) | instid1(VALU_DEP_1)
	v_and_b32_e32 v2, 0x80000000, v2
	v_or3_b32 v4, v3, v2, v1
	v_mov_b32_e32 v1, v5
	s_clause 0x1
	scratch_store_b64 off, v[0:1], s32 offset:192
	scratch_store_b64 off, v[4:5], s32 offset:484
.LBB216_248:                            ;   in Loop: Header=BB216_15 Depth=1
	s_wait_xcnt 0x0
	s_or_b32 exec_lo, exec_lo, s16
.LBB216_249:                            ;   in Loop: Header=BB216_15 Depth=1
	s_delay_alu instid0(SALU_CYCLE_1)
	s_or_b32 exec_lo, exec_lo, s15
.LBB216_250:                            ;   in Loop: Header=BB216_15 Depth=1
	s_delay_alu instid0(SALU_CYCLE_1) | instskip(SKIP_2) | instid1(VALU_DEP_1)
	s_or_b32 exec_lo, exec_lo, s14
	v_lshrrev_b16 v1, 8, v0
	s_mov_b32 s14, exec_lo
	v_cmpx_ne_u16_e32 0, v1
	s_cbranch_execz .LBB216_258
; %bb.251:                              ;   in Loop: Header=BB216_15 Depth=1
	v_mov_b64_e32 v[2:3], 0x8000000000000000
	s_mov_b32 s15, exec_lo
	scratch_store_b64 off, v[2:3], s32 offset:476 ; 8-byte Folded Spill
	s_wait_xcnt 0x0
	v_cmpx_ne_u16_e32 0x80, v1
	s_cbranch_execz .LBB216_257
; %bb.252:                              ;   in Loop: Header=BB216_15 Depth=1
	v_and_b32_e32 v1, 0xffff, v1
	v_mov_b64_e32 v[4:5], 0x7f80000100000000
	s_mov_b32 s16, exec_lo
	s_delay_alu instid0(VALU_DEP_2)
	v_and_b32_e32 v2, 0x7f, v1
	scratch_store_b64 off, v[4:5], s32 offset:476 ; 8-byte Folded Spill
	s_wait_xcnt 0x0
	v_cmpx_ne_u32_e32 0x7f, v2
	s_cbranch_execz .LBB216_256
; %bb.253:                              ;   in Loop: Header=BB216_15 Depth=1
	scratch_load_b64 v[4:5], off, s32 offset:192 th:TH_LOAD_LU ; 8-byte Folded Reload
	s_wait_loadcnt 0x0
	v_dual_lshrrev_b32 v1, 3, v2 :: v_dual_bitop2_b32 v4, 7, v1 bitop3:0x40
	s_mov_b32 s17, exec_lo
	s_wait_xcnt 0x0
	v_cmpx_gt_u32_e32 8, v2
; %bb.254:                              ;   in Loop: Header=BB216_15 Depth=1
	s_delay_alu instid0(VALU_DEP_2) | instskip(NEXT) | instid1(VALU_DEP_1)
	v_clz_i32_u32_e32 v1, v4
	v_min_u32_e32 v1, 32, v1
	s_delay_alu instid0(VALU_DEP_1) | instskip(NEXT) | instid1(VALU_DEP_1)
	v_subrev_nc_u32_e32 v2, 28, v1
	v_lshlrev_b64_e32 v[2:3], v2, v[4:5]
	s_delay_alu instid0(VALU_DEP_1)
	v_dual_sub_nc_u32 v1, 29, v1 :: v_dual_bitop2_b32 v4, 7, v2 bitop3:0x40
; %bb.255:                              ;   in Loop: Header=BB216_15 Depth=1
	s_or_b32 exec_lo, exec_lo, s17
	v_lshlrev_b32_e32 v2, 16, v0
	s_delay_alu instid0(VALU_DEP_2) | instskip(NEXT) | instid1(VALU_DEP_3)
	v_lshlrev_b32_e32 v3, 20, v4
	v_lshl_add_u32 v1, v1, 23, 0x3c000000
	s_delay_alu instid0(VALU_DEP_3) | instskip(NEXT) | instid1(VALU_DEP_1)
	v_and_b32_e32 v2, 0x80000000, v2
	v_or3_b32 v3, v3, v2, v1
	v_dual_mov_b32 v1, v5 :: v_dual_mov_b32 v2, v5
	s_clause 0x1
	scratch_store_b64 off, v[0:1], s32 offset:192
	scratch_store_b64 off, v[2:3], s32 offset:476
.LBB216_256:                            ;   in Loop: Header=BB216_15 Depth=1
	s_wait_xcnt 0x0
	s_or_b32 exec_lo, exec_lo, s16
.LBB216_257:                            ;   in Loop: Header=BB216_15 Depth=1
	s_delay_alu instid0(SALU_CYCLE_1)
	s_or_b32 exec_lo, exec_lo, s15
.LBB216_258:                            ;   in Loop: Header=BB216_15 Depth=1
	s_delay_alu instid0(SALU_CYCLE_1) | instskip(SKIP_3) | instid1(VALU_DEP_1)
	s_or_b32 exec_lo, exec_lo, s14
	v_mov_b64_e32 v[4:5], 0
	v_lshrrev_b32_e32 v1, 16, v0
	s_mov_b32 s14, exec_lo
	v_and_b32_e32 v2, 0xff, v1
	scratch_store_b64 off, v[4:5], s32 offset:492 ; 8-byte Folded Spill
	s_wait_xcnt 0x0
	v_mov_b64_e32 v[4:5], 0
	scratch_store_b64 off, v[4:5], s32 offset:500 ; 8-byte Folded Spill
	s_wait_xcnt 0x0
	v_cmpx_ne_u16_e32 0, v2
	s_cbranch_execz .LBB216_266
; %bb.259:                              ;   in Loop: Header=BB216_15 Depth=1
	v_cmp_ne_u16_e64 s1, 0x80, v2
	v_mov_b64_e32 v[2:3], 0x80000000
	scratch_store_b64 off, v[2:3], s32 offset:500 ; 8-byte Folded Spill
	s_wait_xcnt 0x0
	s_and_saveexec_b32 s15, s1
	s_cbranch_execz .LBB216_265
; %bb.260:                              ;   in Loop: Header=BB216_15 Depth=1
	v_mov_b64_e32 v[4:5], 0x7f800001
	v_bfe_u32 v3, v0, 16, 7
	s_mov_b32 s16, exec_lo
	scratch_store_b64 off, v[4:5], s32 offset:500 ; 8-byte Folded Spill
	s_wait_xcnt 0x0
	v_cmpx_ne_u32_e32 0x7f, v3
	s_cbranch_execz .LBB216_264
; %bb.261:                              ;   in Loop: Header=BB216_15 Depth=1
	scratch_load_b64 v[6:7], off, s32 offset:192 th:TH_LOAD_LU ; 8-byte Folded Reload
	s_wait_loadcnt 0x0
	v_dual_lshrrev_b32 v2, 3, v3 :: v_dual_bitop2_b32 v6, 7, v1 bitop3:0x40
	s_mov_b32 s17, exec_lo
	s_wait_xcnt 0x0
	v_cmpx_gt_u32_e32 8, v3
; %bb.262:                              ;   in Loop: Header=BB216_15 Depth=1
	s_delay_alu instid0(VALU_DEP_2) | instskip(NEXT) | instid1(VALU_DEP_1)
	v_clz_i32_u32_e32 v2, v6
	v_min_u32_e32 v2, 32, v2
	s_delay_alu instid0(VALU_DEP_1) | instskip(NEXT) | instid1(VALU_DEP_1)
	v_subrev_nc_u32_e32 v3, 28, v2
	v_lshlrev_b64_e32 v[4:5], v3, v[6:7]
	s_delay_alu instid0(VALU_DEP_1)
	v_dual_sub_nc_u32 v2, 29, v2 :: v_dual_bitop2_b32 v6, 7, v4 bitop3:0x40
; %bb.263:                              ;   in Loop: Header=BB216_15 Depth=1
	s_or_b32 exec_lo, exec_lo, s17
	s_delay_alu instid0(VALU_DEP_1) | instskip(NEXT) | instid1(VALU_DEP_2)
	v_dual_lshlrev_b32 v1, 24, v1 :: v_dual_lshlrev_b32 v3, 20, v6
	v_lshl_add_u32 v2, v2, 23, 0x3c000000
	s_delay_alu instid0(VALU_DEP_2) | instskip(NEXT) | instid1(VALU_DEP_1)
	v_and_b32_e32 v1, 0x80000000, v1
	v_or3_b32 v6, v3, v1, v2
	v_mov_b32_e32 v1, v7
	s_clause 0x1
	scratch_store_b64 off, v[0:1], s32 offset:192
	scratch_store_b64 off, v[6:7], s32 offset:500
.LBB216_264:                            ;   in Loop: Header=BB216_15 Depth=1
	s_wait_xcnt 0x0
	s_or_b32 exec_lo, exec_lo, s16
.LBB216_265:                            ;   in Loop: Header=BB216_15 Depth=1
	s_delay_alu instid0(SALU_CYCLE_1)
	s_or_b32 exec_lo, exec_lo, s15
.LBB216_266:                            ;   in Loop: Header=BB216_15 Depth=1
	s_delay_alu instid0(SALU_CYCLE_1) | instskip(NEXT) | instid1(SALU_CYCLE_1)
	s_or_b32 exec_lo, exec_lo, s14
	s_mov_b32 s14, exec_lo
	v_cmpx_lt_u32_e32 0xffffff, v0
	s_cbranch_execz .LBB216_274
; %bb.267:                              ;   in Loop: Header=BB216_15 Depth=1
	v_mov_b64_e32 v[2:3], 0x8000000000000000
	v_lshrrev_b32_e32 v1, 24, v0
	s_mov_b32 s15, exec_lo
	scratch_store_b64 off, v[2:3], s32 offset:492 ; 8-byte Folded Spill
	s_wait_xcnt 0x0
	v_cmpx_ne_u32_e32 0x80, v1
	s_cbranch_execz .LBB216_273
; %bb.268:                              ;   in Loop: Header=BB216_15 Depth=1
	v_mov_b64_e32 v[4:5], 0x7f80000100000000
	v_bfe_u32 v2, v0, 24, 7
	s_mov_b32 s16, exec_lo
	scratch_store_b64 off, v[4:5], s32 offset:492 ; 8-byte Folded Spill
	s_wait_xcnt 0x0
	v_cmpx_ne_u32_e32 0x7f, v2
	s_cbranch_execz .LBB216_272
; %bb.269:                              ;   in Loop: Header=BB216_15 Depth=1
	scratch_load_b64 v[4:5], off, s32 offset:192 th:TH_LOAD_LU ; 8-byte Folded Reload
	s_wait_loadcnt 0x0
	v_dual_lshrrev_b32 v0, 3, v2 :: v_dual_bitop2_b32 v4, 7, v1 bitop3:0x40
	s_mov_b32 s17, exec_lo
	s_wait_xcnt 0x0
	v_cmpx_gt_u32_e32 8, v2
; %bb.270:                              ;   in Loop: Header=BB216_15 Depth=1
	s_delay_alu instid0(VALU_DEP_2) | instskip(NEXT) | instid1(VALU_DEP_1)
	v_clz_i32_u32_e32 v0, v4
	v_min_u32_e32 v0, 32, v0
	s_delay_alu instid0(VALU_DEP_1) | instskip(NEXT) | instid1(VALU_DEP_1)
	v_subrev_nc_u32_e32 v2, 28, v0
	v_lshlrev_b64_e32 v[2:3], v2, v[4:5]
	s_delay_alu instid0(VALU_DEP_1)
	v_dual_sub_nc_u32 v0, 29, v0 :: v_dual_bitop2_b32 v4, 7, v2 bitop3:0x40
; %bb.271:                              ;   in Loop: Header=BB216_15 Depth=1
	s_or_b32 exec_lo, exec_lo, s17
	s_delay_alu instid0(VALU_DEP_1) | instskip(NEXT) | instid1(VALU_DEP_2)
	v_dual_lshlrev_b32 v1, 24, v1 :: v_dual_lshlrev_b32 v2, 20, v4
	v_lshl_add_u32 v0, v0, 23, 0x3c000000
	s_delay_alu instid0(VALU_DEP_2) | instskip(NEXT) | instid1(VALU_DEP_1)
	v_and_b32_e32 v1, 0x80000000, v1
	v_or3_b32 v3, v2, v1, v0
	v_dual_mov_b32 v1, v5 :: v_dual_mov_b32 v2, v5
	s_clause 0x1
	scratch_store_b64 off, v[0:1], s32 offset:192
	scratch_store_b64 off, v[2:3], s32 offset:492
.LBB216_272:                            ;   in Loop: Header=BB216_15 Depth=1
	s_wait_xcnt 0x0
	s_or_b32 exec_lo, exec_lo, s16
.LBB216_273:                            ;   in Loop: Header=BB216_15 Depth=1
	s_delay_alu instid0(SALU_CYCLE_1)
	s_or_b32 exec_lo, exec_lo, s15
.LBB216_274:                            ;   in Loop: Header=BB216_15 Depth=1
	s_delay_alu instid0(SALU_CYCLE_1)
	s_or_b32 exec_lo, exec_lo, s14
	flat_load_b32 v0, v[84:85] offset:1024
	v_mov_b64_e32 v[2:3], 0
	s_mov_b32 s14, exec_lo
	scratch_store_b64 off, v[2:3], s32 offset:508 ; 8-byte Folded Spill
	s_wait_xcnt 0x0
	v_mov_b64_e32 v[2:3], 0
	scratch_store_b64 off, v[2:3], s32 offset:516 ; 8-byte Folded Spill
	s_wait_loadcnt_dscnt 0x0
	v_and_b32_e32 v1, 0xff, v0
	s_wait_xcnt 0x0
	s_delay_alu instid0(VALU_DEP_1)
	v_cmpx_ne_u16_e32 0, v1
	s_cbranch_execz .LBB216_282
; %bb.275:                              ;   in Loop: Header=BB216_15 Depth=1
	v_mov_b64_e32 v[2:3], 0x80000000
	s_mov_b32 s15, exec_lo
	scratch_store_b64 off, v[2:3], s32 offset:516 ; 8-byte Folded Spill
	s_wait_xcnt 0x0
	v_cmpx_ne_u16_e32 0x80, v1
	s_cbranch_execz .LBB216_281
; %bb.276:                              ;   in Loop: Header=BB216_15 Depth=1
	v_mov_b64_e32 v[4:5], 0x7f800001
	v_and_b32_e32 v2, 0x7f, v0
	s_mov_b32 s16, exec_lo
	scratch_store_b64 off, v[4:5], s32 offset:516 ; 8-byte Folded Spill
	s_wait_xcnt 0x0
	v_cmpx_ne_u32_e32 0x7f, v2
	s_cbranch_execz .LBB216_280
; %bb.277:                              ;   in Loop: Header=BB216_15 Depth=1
	scratch_load_b64 v[4:5], off, s32 offset:192 th:TH_LOAD_LU ; 8-byte Folded Reload
	s_wait_loadcnt 0x0
	v_dual_lshrrev_b32 v1, 3, v2 :: v_dual_bitop2_b32 v4, 7, v0 bitop3:0x40
	s_mov_b32 s17, exec_lo
	s_wait_xcnt 0x0
	v_cmpx_gt_u32_e32 8, v2
; %bb.278:                              ;   in Loop: Header=BB216_15 Depth=1
	s_delay_alu instid0(VALU_DEP_2) | instskip(NEXT) | instid1(VALU_DEP_1)
	v_clz_i32_u32_e32 v1, v4
	v_min_u32_e32 v1, 32, v1
	s_delay_alu instid0(VALU_DEP_1) | instskip(NEXT) | instid1(VALU_DEP_1)
	v_subrev_nc_u32_e32 v2, 28, v1
	v_lshlrev_b64_e32 v[2:3], v2, v[4:5]
	s_delay_alu instid0(VALU_DEP_1)
	v_dual_sub_nc_u32 v1, 29, v1 :: v_dual_bitop2_b32 v4, 7, v2 bitop3:0x40
; %bb.279:                              ;   in Loop: Header=BB216_15 Depth=1
	s_or_b32 exec_lo, exec_lo, s17
	v_lshlrev_b32_e32 v2, 24, v0
	s_delay_alu instid0(VALU_DEP_2) | instskip(NEXT) | instid1(VALU_DEP_3)
	v_lshlrev_b32_e32 v3, 20, v4
	v_lshl_add_u32 v1, v1, 23, 0x3c000000
	s_delay_alu instid0(VALU_DEP_3) | instskip(NEXT) | instid1(VALU_DEP_1)
	v_and_b32_e32 v2, 0x80000000, v2
	v_or3_b32 v4, v3, v2, v1
	v_mov_b32_e32 v1, v5
	s_clause 0x1
	scratch_store_b64 off, v[0:1], s32 offset:192
	scratch_store_b64 off, v[4:5], s32 offset:516
.LBB216_280:                            ;   in Loop: Header=BB216_15 Depth=1
	s_wait_xcnt 0x0
	s_or_b32 exec_lo, exec_lo, s16
.LBB216_281:                            ;   in Loop: Header=BB216_15 Depth=1
	s_delay_alu instid0(SALU_CYCLE_1)
	s_or_b32 exec_lo, exec_lo, s15
.LBB216_282:                            ;   in Loop: Header=BB216_15 Depth=1
	s_delay_alu instid0(SALU_CYCLE_1) | instskip(SKIP_2) | instid1(VALU_DEP_1)
	s_or_b32 exec_lo, exec_lo, s14
	v_lshrrev_b16 v1, 8, v0
	s_mov_b32 s14, exec_lo
	v_cmpx_ne_u16_e32 0, v1
	s_cbranch_execz .LBB216_290
; %bb.283:                              ;   in Loop: Header=BB216_15 Depth=1
	v_mov_b64_e32 v[2:3], 0x8000000000000000
	s_mov_b32 s15, exec_lo
	scratch_store_b64 off, v[2:3], s32 offset:508 ; 8-byte Folded Spill
	s_wait_xcnt 0x0
	v_cmpx_ne_u16_e32 0x80, v1
	s_cbranch_execz .LBB216_289
; %bb.284:                              ;   in Loop: Header=BB216_15 Depth=1
	v_and_b32_e32 v1, 0xffff, v1
	v_mov_b64_e32 v[4:5], 0x7f80000100000000
	s_mov_b32 s16, exec_lo
	s_delay_alu instid0(VALU_DEP_2)
	v_and_b32_e32 v2, 0x7f, v1
	scratch_store_b64 off, v[4:5], s32 offset:508 ; 8-byte Folded Spill
	s_wait_xcnt 0x0
	v_cmpx_ne_u32_e32 0x7f, v2
	s_cbranch_execz .LBB216_288
; %bb.285:                              ;   in Loop: Header=BB216_15 Depth=1
	scratch_load_b64 v[4:5], off, s32 offset:192 th:TH_LOAD_LU ; 8-byte Folded Reload
	s_wait_loadcnt 0x0
	v_dual_lshrrev_b32 v1, 3, v2 :: v_dual_bitop2_b32 v4, 7, v1 bitop3:0x40
	s_mov_b32 s17, exec_lo
	s_wait_xcnt 0x0
	v_cmpx_gt_u32_e32 8, v2
; %bb.286:                              ;   in Loop: Header=BB216_15 Depth=1
	s_delay_alu instid0(VALU_DEP_2) | instskip(NEXT) | instid1(VALU_DEP_1)
	v_clz_i32_u32_e32 v1, v4
	v_min_u32_e32 v1, 32, v1
	s_delay_alu instid0(VALU_DEP_1) | instskip(NEXT) | instid1(VALU_DEP_1)
	v_subrev_nc_u32_e32 v2, 28, v1
	v_lshlrev_b64_e32 v[2:3], v2, v[4:5]
	s_delay_alu instid0(VALU_DEP_1)
	v_dual_sub_nc_u32 v1, 29, v1 :: v_dual_bitop2_b32 v4, 7, v2 bitop3:0x40
; %bb.287:                              ;   in Loop: Header=BB216_15 Depth=1
	s_or_b32 exec_lo, exec_lo, s17
	v_lshlrev_b32_e32 v2, 16, v0
	s_delay_alu instid0(VALU_DEP_2) | instskip(NEXT) | instid1(VALU_DEP_3)
	v_lshlrev_b32_e32 v3, 20, v4
	v_lshl_add_u32 v1, v1, 23, 0x3c000000
	s_delay_alu instid0(VALU_DEP_3) | instskip(NEXT) | instid1(VALU_DEP_1)
	v_and_b32_e32 v2, 0x80000000, v2
	v_or3_b32 v3, v3, v2, v1
	v_dual_mov_b32 v1, v5 :: v_dual_mov_b32 v2, v5
	s_clause 0x1
	scratch_store_b64 off, v[0:1], s32 offset:192
	scratch_store_b64 off, v[2:3], s32 offset:508
.LBB216_288:                            ;   in Loop: Header=BB216_15 Depth=1
	s_wait_xcnt 0x0
	s_or_b32 exec_lo, exec_lo, s16
.LBB216_289:                            ;   in Loop: Header=BB216_15 Depth=1
	s_delay_alu instid0(SALU_CYCLE_1)
	s_or_b32 exec_lo, exec_lo, s15
.LBB216_290:                            ;   in Loop: Header=BB216_15 Depth=1
	s_delay_alu instid0(SALU_CYCLE_1) | instskip(SKIP_3) | instid1(VALU_DEP_1)
	s_or_b32 exec_lo, exec_lo, s14
	v_mov_b64_e32 v[4:5], 0
	v_lshrrev_b32_e32 v1, 16, v0
	s_mov_b32 s14, exec_lo
	v_and_b32_e32 v2, 0xff, v1
	scratch_store_b64 off, v[4:5], s32 offset:524 ; 8-byte Folded Spill
	s_wait_xcnt 0x0
	v_mov_b64_e32 v[4:5], 0
	scratch_store_b64 off, v[4:5], s32 offset:532 ; 8-byte Folded Spill
	s_wait_xcnt 0x0
	v_cmpx_ne_u16_e32 0, v2
	s_cbranch_execz .LBB216_298
; %bb.291:                              ;   in Loop: Header=BB216_15 Depth=1
	v_cmp_ne_u16_e64 s1, 0x80, v2
	v_mov_b64_e32 v[2:3], 0x80000000
	scratch_store_b64 off, v[2:3], s32 offset:532 ; 8-byte Folded Spill
	s_wait_xcnt 0x0
	s_and_saveexec_b32 s15, s1
	s_cbranch_execz .LBB216_297
; %bb.292:                              ;   in Loop: Header=BB216_15 Depth=1
	v_mov_b64_e32 v[4:5], 0x7f800001
	v_bfe_u32 v3, v0, 16, 7
	s_mov_b32 s16, exec_lo
	scratch_store_b64 off, v[4:5], s32 offset:532 ; 8-byte Folded Spill
	s_wait_xcnt 0x0
	v_cmpx_ne_u32_e32 0x7f, v3
	s_cbranch_execz .LBB216_296
; %bb.293:                              ;   in Loop: Header=BB216_15 Depth=1
	scratch_load_b64 v[6:7], off, s32 offset:192 th:TH_LOAD_LU ; 8-byte Folded Reload
	s_wait_loadcnt 0x0
	v_dual_lshrrev_b32 v2, 3, v3 :: v_dual_bitop2_b32 v6, 7, v1 bitop3:0x40
	s_mov_b32 s17, exec_lo
	s_wait_xcnt 0x0
	v_cmpx_gt_u32_e32 8, v3
; %bb.294:                              ;   in Loop: Header=BB216_15 Depth=1
	s_delay_alu instid0(VALU_DEP_2) | instskip(NEXT) | instid1(VALU_DEP_1)
	v_clz_i32_u32_e32 v2, v6
	v_min_u32_e32 v2, 32, v2
	s_delay_alu instid0(VALU_DEP_1) | instskip(NEXT) | instid1(VALU_DEP_1)
	v_subrev_nc_u32_e32 v3, 28, v2
	v_lshlrev_b64_e32 v[4:5], v3, v[6:7]
	s_delay_alu instid0(VALU_DEP_1)
	v_dual_sub_nc_u32 v2, 29, v2 :: v_dual_bitop2_b32 v6, 7, v4 bitop3:0x40
; %bb.295:                              ;   in Loop: Header=BB216_15 Depth=1
	s_or_b32 exec_lo, exec_lo, s17
	s_delay_alu instid0(VALU_DEP_1) | instskip(NEXT) | instid1(VALU_DEP_2)
	v_dual_lshlrev_b32 v1, 24, v1 :: v_dual_lshlrev_b32 v3, 20, v6
	v_lshl_add_u32 v2, v2, 23, 0x3c000000
	s_delay_alu instid0(VALU_DEP_2) | instskip(NEXT) | instid1(VALU_DEP_1)
	v_and_b32_e32 v1, 0x80000000, v1
	v_or3_b32 v6, v3, v1, v2
	v_mov_b32_e32 v1, v7
	s_clause 0x1
	scratch_store_b64 off, v[0:1], s32 offset:192
	scratch_store_b64 off, v[6:7], s32 offset:532
.LBB216_296:                            ;   in Loop: Header=BB216_15 Depth=1
	s_wait_xcnt 0x0
	s_or_b32 exec_lo, exec_lo, s16
.LBB216_297:                            ;   in Loop: Header=BB216_15 Depth=1
	s_delay_alu instid0(SALU_CYCLE_1)
	s_or_b32 exec_lo, exec_lo, s15
.LBB216_298:                            ;   in Loop: Header=BB216_15 Depth=1
	s_delay_alu instid0(SALU_CYCLE_1) | instskip(NEXT) | instid1(SALU_CYCLE_1)
	s_or_b32 exec_lo, exec_lo, s14
	s_mov_b32 s14, exec_lo
	v_cmpx_lt_u32_e32 0xffffff, v0
	s_cbranch_execz .LBB216_306
; %bb.299:                              ;   in Loop: Header=BB216_15 Depth=1
	v_mov_b64_e32 v[2:3], 0x8000000000000000
	v_lshrrev_b32_e32 v1, 24, v0
	s_mov_b32 s15, exec_lo
	scratch_store_b64 off, v[2:3], s32 offset:524 ; 8-byte Folded Spill
	s_wait_xcnt 0x0
	v_cmpx_ne_u32_e32 0x80, v1
	s_cbranch_execz .LBB216_305
; %bb.300:                              ;   in Loop: Header=BB216_15 Depth=1
	v_mov_b64_e32 v[4:5], 0x7f80000100000000
	v_bfe_u32 v2, v0, 24, 7
	s_mov_b32 s16, exec_lo
	scratch_store_b64 off, v[4:5], s32 offset:524 ; 8-byte Folded Spill
	s_wait_xcnt 0x0
	v_cmpx_ne_u32_e32 0x7f, v2
	s_cbranch_execz .LBB216_304
; %bb.301:                              ;   in Loop: Header=BB216_15 Depth=1
	scratch_load_b64 v[4:5], off, s32 offset:192 th:TH_LOAD_LU ; 8-byte Folded Reload
	s_wait_loadcnt 0x0
	v_dual_lshrrev_b32 v0, 3, v2 :: v_dual_bitop2_b32 v4, 7, v1 bitop3:0x40
	s_mov_b32 s17, exec_lo
	s_wait_xcnt 0x0
	v_cmpx_gt_u32_e32 8, v2
; %bb.302:                              ;   in Loop: Header=BB216_15 Depth=1
	s_delay_alu instid0(VALU_DEP_2) | instskip(NEXT) | instid1(VALU_DEP_1)
	v_clz_i32_u32_e32 v0, v4
	v_min_u32_e32 v0, 32, v0
	s_delay_alu instid0(VALU_DEP_1) | instskip(NEXT) | instid1(VALU_DEP_1)
	v_subrev_nc_u32_e32 v2, 28, v0
	v_lshlrev_b64_e32 v[2:3], v2, v[4:5]
	s_delay_alu instid0(VALU_DEP_1)
	v_dual_sub_nc_u32 v0, 29, v0 :: v_dual_bitop2_b32 v4, 7, v2 bitop3:0x40
; %bb.303:                              ;   in Loop: Header=BB216_15 Depth=1
	s_or_b32 exec_lo, exec_lo, s17
	s_delay_alu instid0(VALU_DEP_1) | instskip(NEXT) | instid1(VALU_DEP_2)
	v_dual_lshlrev_b32 v1, 24, v1 :: v_dual_lshlrev_b32 v2, 20, v4
	v_lshl_add_u32 v0, v0, 23, 0x3c000000
	s_delay_alu instid0(VALU_DEP_2) | instskip(NEXT) | instid1(VALU_DEP_1)
	v_and_b32_e32 v1, 0x80000000, v1
	v_or3_b32 v3, v2, v1, v0
	v_dual_mov_b32 v1, v5 :: v_dual_mov_b32 v2, v5
	s_clause 0x1
	scratch_store_b64 off, v[0:1], s32 offset:192
	scratch_store_b64 off, v[2:3], s32 offset:524
.LBB216_304:                            ;   in Loop: Header=BB216_15 Depth=1
	s_wait_xcnt 0x0
	s_or_b32 exec_lo, exec_lo, s16
.LBB216_305:                            ;   in Loop: Header=BB216_15 Depth=1
	s_delay_alu instid0(SALU_CYCLE_1)
	s_or_b32 exec_lo, exec_lo, s15
.LBB216_306:                            ;   in Loop: Header=BB216_15 Depth=1
	s_delay_alu instid0(SALU_CYCLE_1)
	s_or_b32 exec_lo, exec_lo, s14
	flat_load_b32 v0, v[84:85] offset:1028
	v_mov_b64_e32 v[2:3], 0
	s_mov_b32 s14, exec_lo
	scratch_store_b64 off, v[2:3], s32 offset:540 ; 8-byte Folded Spill
	s_wait_xcnt 0x0
	v_mov_b64_e32 v[2:3], 0
	scratch_store_b64 off, v[2:3], s32 offset:548 ; 8-byte Folded Spill
	s_wait_loadcnt_dscnt 0x0
	v_and_b32_e32 v1, 0xff, v0
	s_wait_xcnt 0x0
	s_delay_alu instid0(VALU_DEP_1)
	v_cmpx_ne_u16_e32 0, v1
	s_cbranch_execz .LBB216_314
; %bb.307:                              ;   in Loop: Header=BB216_15 Depth=1
	v_mov_b64_e32 v[2:3], 0x80000000
	s_mov_b32 s15, exec_lo
	scratch_store_b64 off, v[2:3], s32 offset:548 ; 8-byte Folded Spill
	s_wait_xcnt 0x0
	v_cmpx_ne_u16_e32 0x80, v1
	s_cbranch_execz .LBB216_313
; %bb.308:                              ;   in Loop: Header=BB216_15 Depth=1
	v_mov_b64_e32 v[4:5], 0x7f800001
	v_and_b32_e32 v2, 0x7f, v0
	s_mov_b32 s16, exec_lo
	scratch_store_b64 off, v[4:5], s32 offset:548 ; 8-byte Folded Spill
	s_wait_xcnt 0x0
	v_cmpx_ne_u32_e32 0x7f, v2
	s_cbranch_execz .LBB216_312
; %bb.309:                              ;   in Loop: Header=BB216_15 Depth=1
	scratch_load_b64 v[4:5], off, s32 offset:192 th:TH_LOAD_LU ; 8-byte Folded Reload
	s_wait_loadcnt 0x0
	v_dual_lshrrev_b32 v1, 3, v2 :: v_dual_bitop2_b32 v4, 7, v0 bitop3:0x40
	s_mov_b32 s17, exec_lo
	s_wait_xcnt 0x0
	v_cmpx_gt_u32_e32 8, v2
; %bb.310:                              ;   in Loop: Header=BB216_15 Depth=1
	s_delay_alu instid0(VALU_DEP_2) | instskip(NEXT) | instid1(VALU_DEP_1)
	v_clz_i32_u32_e32 v1, v4
	v_min_u32_e32 v1, 32, v1
	s_delay_alu instid0(VALU_DEP_1) | instskip(NEXT) | instid1(VALU_DEP_1)
	v_subrev_nc_u32_e32 v2, 28, v1
	v_lshlrev_b64_e32 v[2:3], v2, v[4:5]
	s_delay_alu instid0(VALU_DEP_1)
	v_dual_sub_nc_u32 v1, 29, v1 :: v_dual_bitop2_b32 v4, 7, v2 bitop3:0x40
; %bb.311:                              ;   in Loop: Header=BB216_15 Depth=1
	s_or_b32 exec_lo, exec_lo, s17
	v_lshlrev_b32_e32 v2, 24, v0
	s_delay_alu instid0(VALU_DEP_2) | instskip(NEXT) | instid1(VALU_DEP_3)
	v_lshlrev_b32_e32 v3, 20, v4
	v_lshl_add_u32 v1, v1, 23, 0x3c000000
	s_delay_alu instid0(VALU_DEP_3) | instskip(NEXT) | instid1(VALU_DEP_1)
	v_and_b32_e32 v2, 0x80000000, v2
	v_or3_b32 v4, v3, v2, v1
	v_mov_b32_e32 v1, v5
	s_clause 0x1
	scratch_store_b64 off, v[0:1], s32 offset:192
	scratch_store_b64 off, v[4:5], s32 offset:548
.LBB216_312:                            ;   in Loop: Header=BB216_15 Depth=1
	s_wait_xcnt 0x0
	s_or_b32 exec_lo, exec_lo, s16
.LBB216_313:                            ;   in Loop: Header=BB216_15 Depth=1
	s_delay_alu instid0(SALU_CYCLE_1)
	s_or_b32 exec_lo, exec_lo, s15
.LBB216_314:                            ;   in Loop: Header=BB216_15 Depth=1
	s_delay_alu instid0(SALU_CYCLE_1) | instskip(SKIP_2) | instid1(VALU_DEP_1)
	s_or_b32 exec_lo, exec_lo, s14
	v_lshrrev_b16 v1, 8, v0
	s_mov_b32 s14, exec_lo
	v_cmpx_ne_u16_e32 0, v1
	s_cbranch_execz .LBB216_322
; %bb.315:                              ;   in Loop: Header=BB216_15 Depth=1
	v_mov_b64_e32 v[2:3], 0x8000000000000000
	s_mov_b32 s15, exec_lo
	scratch_store_b64 off, v[2:3], s32 offset:540 ; 8-byte Folded Spill
	s_wait_xcnt 0x0
	v_cmpx_ne_u16_e32 0x80, v1
	s_cbranch_execz .LBB216_321
; %bb.316:                              ;   in Loop: Header=BB216_15 Depth=1
	v_and_b32_e32 v1, 0xffff, v1
	v_mov_b64_e32 v[4:5], 0x7f80000100000000
	s_mov_b32 s16, exec_lo
	s_delay_alu instid0(VALU_DEP_2)
	v_and_b32_e32 v2, 0x7f, v1
	scratch_store_b64 off, v[4:5], s32 offset:540 ; 8-byte Folded Spill
	s_wait_xcnt 0x0
	v_cmpx_ne_u32_e32 0x7f, v2
	s_cbranch_execz .LBB216_320
; %bb.317:                              ;   in Loop: Header=BB216_15 Depth=1
	scratch_load_b64 v[4:5], off, s32 offset:192 th:TH_LOAD_LU ; 8-byte Folded Reload
	s_wait_loadcnt 0x0
	v_dual_lshrrev_b32 v1, 3, v2 :: v_dual_bitop2_b32 v4, 7, v1 bitop3:0x40
	s_mov_b32 s17, exec_lo
	s_wait_xcnt 0x0
	v_cmpx_gt_u32_e32 8, v2
; %bb.318:                              ;   in Loop: Header=BB216_15 Depth=1
	s_delay_alu instid0(VALU_DEP_2) | instskip(NEXT) | instid1(VALU_DEP_1)
	v_clz_i32_u32_e32 v1, v4
	v_min_u32_e32 v1, 32, v1
	s_delay_alu instid0(VALU_DEP_1) | instskip(NEXT) | instid1(VALU_DEP_1)
	v_subrev_nc_u32_e32 v2, 28, v1
	v_lshlrev_b64_e32 v[2:3], v2, v[4:5]
	s_delay_alu instid0(VALU_DEP_1)
	v_dual_sub_nc_u32 v1, 29, v1 :: v_dual_bitop2_b32 v4, 7, v2 bitop3:0x40
; %bb.319:                              ;   in Loop: Header=BB216_15 Depth=1
	s_or_b32 exec_lo, exec_lo, s17
	v_lshlrev_b32_e32 v2, 16, v0
	s_delay_alu instid0(VALU_DEP_2) | instskip(NEXT) | instid1(VALU_DEP_3)
	v_lshlrev_b32_e32 v3, 20, v4
	v_lshl_add_u32 v1, v1, 23, 0x3c000000
	s_delay_alu instid0(VALU_DEP_3) | instskip(NEXT) | instid1(VALU_DEP_1)
	v_and_b32_e32 v2, 0x80000000, v2
	v_or3_b32 v3, v3, v2, v1
	v_dual_mov_b32 v1, v5 :: v_dual_mov_b32 v2, v5
	s_clause 0x1
	scratch_store_b64 off, v[0:1], s32 offset:192
	scratch_store_b64 off, v[2:3], s32 offset:540
.LBB216_320:                            ;   in Loop: Header=BB216_15 Depth=1
	s_wait_xcnt 0x0
	s_or_b32 exec_lo, exec_lo, s16
.LBB216_321:                            ;   in Loop: Header=BB216_15 Depth=1
	s_delay_alu instid0(SALU_CYCLE_1)
	s_or_b32 exec_lo, exec_lo, s15
.LBB216_322:                            ;   in Loop: Header=BB216_15 Depth=1
	s_delay_alu instid0(SALU_CYCLE_1) | instskip(SKIP_3) | instid1(VALU_DEP_1)
	s_or_b32 exec_lo, exec_lo, s14
	v_mov_b64_e32 v[4:5], 0
	v_lshrrev_b32_e32 v1, 16, v0
	s_mov_b32 s14, exec_lo
	v_and_b32_e32 v2, 0xff, v1
	scratch_store_b64 off, v[4:5], s32 offset:556 ; 8-byte Folded Spill
	s_wait_xcnt 0x0
	v_mov_b64_e32 v[4:5], 0
	scratch_store_b64 off, v[4:5], s32 offset:564 ; 8-byte Folded Spill
	s_wait_xcnt 0x0
	v_cmpx_ne_u16_e32 0, v2
	s_cbranch_execz .LBB216_330
; %bb.323:                              ;   in Loop: Header=BB216_15 Depth=1
	v_cmp_ne_u16_e64 s1, 0x80, v2
	v_mov_b64_e32 v[2:3], 0x80000000
	scratch_store_b64 off, v[2:3], s32 offset:564 ; 8-byte Folded Spill
	s_wait_xcnt 0x0
	s_and_saveexec_b32 s15, s1
	s_cbranch_execz .LBB216_329
; %bb.324:                              ;   in Loop: Header=BB216_15 Depth=1
	v_mov_b64_e32 v[4:5], 0x7f800001
	v_bfe_u32 v3, v0, 16, 7
	s_mov_b32 s16, exec_lo
	scratch_store_b64 off, v[4:5], s32 offset:564 ; 8-byte Folded Spill
	s_wait_xcnt 0x0
	v_cmpx_ne_u32_e32 0x7f, v3
	s_cbranch_execz .LBB216_328
; %bb.325:                              ;   in Loop: Header=BB216_15 Depth=1
	scratch_load_b64 v[6:7], off, s32 offset:192 th:TH_LOAD_LU ; 8-byte Folded Reload
	s_wait_loadcnt 0x0
	v_dual_lshrrev_b32 v2, 3, v3 :: v_dual_bitop2_b32 v6, 7, v1 bitop3:0x40
	s_mov_b32 s17, exec_lo
	s_wait_xcnt 0x0
	v_cmpx_gt_u32_e32 8, v3
; %bb.326:                              ;   in Loop: Header=BB216_15 Depth=1
	s_delay_alu instid0(VALU_DEP_2) | instskip(NEXT) | instid1(VALU_DEP_1)
	v_clz_i32_u32_e32 v2, v6
	v_min_u32_e32 v2, 32, v2
	s_delay_alu instid0(VALU_DEP_1) | instskip(NEXT) | instid1(VALU_DEP_1)
	v_subrev_nc_u32_e32 v3, 28, v2
	v_lshlrev_b64_e32 v[4:5], v3, v[6:7]
	s_delay_alu instid0(VALU_DEP_1)
	v_dual_sub_nc_u32 v2, 29, v2 :: v_dual_bitop2_b32 v6, 7, v4 bitop3:0x40
; %bb.327:                              ;   in Loop: Header=BB216_15 Depth=1
	s_or_b32 exec_lo, exec_lo, s17
	s_delay_alu instid0(VALU_DEP_1) | instskip(NEXT) | instid1(VALU_DEP_2)
	v_dual_lshlrev_b32 v1, 24, v1 :: v_dual_lshlrev_b32 v3, 20, v6
	v_lshl_add_u32 v2, v2, 23, 0x3c000000
	s_delay_alu instid0(VALU_DEP_2) | instskip(NEXT) | instid1(VALU_DEP_1)
	v_and_b32_e32 v1, 0x80000000, v1
	v_or3_b32 v6, v3, v1, v2
	v_mov_b32_e32 v1, v7
	s_clause 0x1
	scratch_store_b64 off, v[0:1], s32 offset:192
	scratch_store_b64 off, v[6:7], s32 offset:564
.LBB216_328:                            ;   in Loop: Header=BB216_15 Depth=1
	s_wait_xcnt 0x0
	s_or_b32 exec_lo, exec_lo, s16
.LBB216_329:                            ;   in Loop: Header=BB216_15 Depth=1
	s_delay_alu instid0(SALU_CYCLE_1)
	s_or_b32 exec_lo, exec_lo, s15
.LBB216_330:                            ;   in Loop: Header=BB216_15 Depth=1
	s_delay_alu instid0(SALU_CYCLE_1) | instskip(NEXT) | instid1(SALU_CYCLE_1)
	s_or_b32 exec_lo, exec_lo, s14
	s_mov_b32 s14, exec_lo
	v_cmpx_lt_u32_e32 0xffffff, v0
	s_cbranch_execz .LBB216_338
; %bb.331:                              ;   in Loop: Header=BB216_15 Depth=1
	v_mov_b64_e32 v[2:3], 0x8000000000000000
	v_lshrrev_b32_e32 v1, 24, v0
	s_mov_b32 s15, exec_lo
	scratch_store_b64 off, v[2:3], s32 offset:556 ; 8-byte Folded Spill
	s_wait_xcnt 0x0
	v_cmpx_ne_u32_e32 0x80, v1
	s_cbranch_execz .LBB216_337
; %bb.332:                              ;   in Loop: Header=BB216_15 Depth=1
	v_mov_b64_e32 v[4:5], 0x7f80000100000000
	v_bfe_u32 v2, v0, 24, 7
	s_mov_b32 s16, exec_lo
	scratch_store_b64 off, v[4:5], s32 offset:556 ; 8-byte Folded Spill
	s_wait_xcnt 0x0
	v_cmpx_ne_u32_e32 0x7f, v2
	s_cbranch_execz .LBB216_336
; %bb.333:                              ;   in Loop: Header=BB216_15 Depth=1
	scratch_load_b64 v[4:5], off, s32 offset:192 th:TH_LOAD_LU ; 8-byte Folded Reload
	s_wait_loadcnt 0x0
	v_dual_lshrrev_b32 v0, 3, v2 :: v_dual_bitop2_b32 v4, 7, v1 bitop3:0x40
	s_mov_b32 s17, exec_lo
	s_wait_xcnt 0x0
	v_cmpx_gt_u32_e32 8, v2
; %bb.334:                              ;   in Loop: Header=BB216_15 Depth=1
	s_delay_alu instid0(VALU_DEP_2) | instskip(NEXT) | instid1(VALU_DEP_1)
	v_clz_i32_u32_e32 v0, v4
	v_min_u32_e32 v0, 32, v0
	s_delay_alu instid0(VALU_DEP_1) | instskip(NEXT) | instid1(VALU_DEP_1)
	v_subrev_nc_u32_e32 v2, 28, v0
	v_lshlrev_b64_e32 v[2:3], v2, v[4:5]
	s_delay_alu instid0(VALU_DEP_1)
	v_dual_sub_nc_u32 v0, 29, v0 :: v_dual_bitop2_b32 v4, 7, v2 bitop3:0x40
; %bb.335:                              ;   in Loop: Header=BB216_15 Depth=1
	s_or_b32 exec_lo, exec_lo, s17
	s_delay_alu instid0(VALU_DEP_1) | instskip(NEXT) | instid1(VALU_DEP_2)
	v_dual_lshlrev_b32 v1, 24, v1 :: v_dual_lshlrev_b32 v2, 20, v4
	v_lshl_add_u32 v0, v0, 23, 0x3c000000
	s_delay_alu instid0(VALU_DEP_2) | instskip(NEXT) | instid1(VALU_DEP_1)
	v_and_b32_e32 v1, 0x80000000, v1
	v_or3_b32 v3, v2, v1, v0
	v_dual_mov_b32 v1, v5 :: v_dual_mov_b32 v2, v5
	s_clause 0x1
	scratch_store_b64 off, v[0:1], s32 offset:192
	scratch_store_b64 off, v[2:3], s32 offset:556
.LBB216_336:                            ;   in Loop: Header=BB216_15 Depth=1
	s_wait_xcnt 0x0
	s_or_b32 exec_lo, exec_lo, s16
.LBB216_337:                            ;   in Loop: Header=BB216_15 Depth=1
	s_delay_alu instid0(SALU_CYCLE_1)
	s_or_b32 exec_lo, exec_lo, s15
.LBB216_338:                            ;   in Loop: Header=BB216_15 Depth=1
	s_delay_alu instid0(SALU_CYCLE_1)
	s_or_b32 exec_lo, exec_lo, s14
	flat_load_b32 v0, v[84:85] offset:1032
	v_mov_b64_e32 v[2:3], 0
	s_mov_b32 s14, exec_lo
	scratch_store_b64 off, v[2:3], s32 offset:572 ; 8-byte Folded Spill
	s_wait_xcnt 0x0
	v_mov_b64_e32 v[2:3], 0
	scratch_store_b64 off, v[2:3], s32 offset:580 ; 8-byte Folded Spill
	s_wait_loadcnt_dscnt 0x0
	v_and_b32_e32 v1, 0xff, v0
	s_wait_xcnt 0x0
	s_delay_alu instid0(VALU_DEP_1)
	v_cmpx_ne_u16_e32 0, v1
	s_cbranch_execz .LBB216_346
; %bb.339:                              ;   in Loop: Header=BB216_15 Depth=1
	v_mov_b64_e32 v[2:3], 0x80000000
	s_mov_b32 s15, exec_lo
	scratch_store_b64 off, v[2:3], s32 offset:580 ; 8-byte Folded Spill
	s_wait_xcnt 0x0
	v_cmpx_ne_u16_e32 0x80, v1
	s_cbranch_execz .LBB216_345
; %bb.340:                              ;   in Loop: Header=BB216_15 Depth=1
	v_mov_b64_e32 v[4:5], 0x7f800001
	v_and_b32_e32 v2, 0x7f, v0
	s_mov_b32 s16, exec_lo
	scratch_store_b64 off, v[4:5], s32 offset:580 ; 8-byte Folded Spill
	s_wait_xcnt 0x0
	v_cmpx_ne_u32_e32 0x7f, v2
	s_cbranch_execz .LBB216_344
; %bb.341:                              ;   in Loop: Header=BB216_15 Depth=1
	scratch_load_b64 v[4:5], off, s32 offset:192 th:TH_LOAD_LU ; 8-byte Folded Reload
	s_wait_loadcnt 0x0
	v_dual_lshrrev_b32 v1, 3, v2 :: v_dual_bitop2_b32 v4, 7, v0 bitop3:0x40
	s_mov_b32 s17, exec_lo
	s_wait_xcnt 0x0
	v_cmpx_gt_u32_e32 8, v2
; %bb.342:                              ;   in Loop: Header=BB216_15 Depth=1
	s_delay_alu instid0(VALU_DEP_2) | instskip(NEXT) | instid1(VALU_DEP_1)
	v_clz_i32_u32_e32 v1, v4
	v_min_u32_e32 v1, 32, v1
	s_delay_alu instid0(VALU_DEP_1) | instskip(NEXT) | instid1(VALU_DEP_1)
	v_subrev_nc_u32_e32 v2, 28, v1
	v_lshlrev_b64_e32 v[2:3], v2, v[4:5]
	s_delay_alu instid0(VALU_DEP_1)
	v_dual_sub_nc_u32 v1, 29, v1 :: v_dual_bitop2_b32 v4, 7, v2 bitop3:0x40
; %bb.343:                              ;   in Loop: Header=BB216_15 Depth=1
	s_or_b32 exec_lo, exec_lo, s17
	v_lshlrev_b32_e32 v2, 24, v0
	s_delay_alu instid0(VALU_DEP_2) | instskip(NEXT) | instid1(VALU_DEP_3)
	v_lshlrev_b32_e32 v3, 20, v4
	v_lshl_add_u32 v1, v1, 23, 0x3c000000
	s_delay_alu instid0(VALU_DEP_3) | instskip(NEXT) | instid1(VALU_DEP_1)
	v_and_b32_e32 v2, 0x80000000, v2
	v_or3_b32 v4, v3, v2, v1
	v_mov_b32_e32 v1, v5
	s_clause 0x1
	scratch_store_b64 off, v[0:1], s32 offset:192
	scratch_store_b64 off, v[4:5], s32 offset:580
.LBB216_344:                            ;   in Loop: Header=BB216_15 Depth=1
	s_wait_xcnt 0x0
	s_or_b32 exec_lo, exec_lo, s16
.LBB216_345:                            ;   in Loop: Header=BB216_15 Depth=1
	s_delay_alu instid0(SALU_CYCLE_1)
	s_or_b32 exec_lo, exec_lo, s15
.LBB216_346:                            ;   in Loop: Header=BB216_15 Depth=1
	s_delay_alu instid0(SALU_CYCLE_1) | instskip(SKIP_2) | instid1(VALU_DEP_1)
	s_or_b32 exec_lo, exec_lo, s14
	v_lshrrev_b16 v1, 8, v0
	s_mov_b32 s14, exec_lo
	v_cmpx_ne_u16_e32 0, v1
	s_cbranch_execz .LBB216_354
; %bb.347:                              ;   in Loop: Header=BB216_15 Depth=1
	v_mov_b64_e32 v[2:3], 0x8000000000000000
	s_mov_b32 s15, exec_lo
	scratch_store_b64 off, v[2:3], s32 offset:572 ; 8-byte Folded Spill
	s_wait_xcnt 0x0
	v_cmpx_ne_u16_e32 0x80, v1
	s_cbranch_execz .LBB216_353
; %bb.348:                              ;   in Loop: Header=BB216_15 Depth=1
	v_and_b32_e32 v1, 0xffff, v1
	v_mov_b64_e32 v[4:5], 0x7f80000100000000
	s_mov_b32 s16, exec_lo
	s_delay_alu instid0(VALU_DEP_2)
	v_and_b32_e32 v2, 0x7f, v1
	scratch_store_b64 off, v[4:5], s32 offset:572 ; 8-byte Folded Spill
	s_wait_xcnt 0x0
	v_cmpx_ne_u32_e32 0x7f, v2
	s_cbranch_execz .LBB216_352
; %bb.349:                              ;   in Loop: Header=BB216_15 Depth=1
	scratch_load_b64 v[4:5], off, s32 offset:192 th:TH_LOAD_LU ; 8-byte Folded Reload
	s_wait_loadcnt 0x0
	v_dual_lshrrev_b32 v1, 3, v2 :: v_dual_bitop2_b32 v4, 7, v1 bitop3:0x40
	s_mov_b32 s17, exec_lo
	s_wait_xcnt 0x0
	v_cmpx_gt_u32_e32 8, v2
; %bb.350:                              ;   in Loop: Header=BB216_15 Depth=1
	s_delay_alu instid0(VALU_DEP_2) | instskip(NEXT) | instid1(VALU_DEP_1)
	v_clz_i32_u32_e32 v1, v4
	v_min_u32_e32 v1, 32, v1
	s_delay_alu instid0(VALU_DEP_1) | instskip(NEXT) | instid1(VALU_DEP_1)
	v_subrev_nc_u32_e32 v2, 28, v1
	v_lshlrev_b64_e32 v[2:3], v2, v[4:5]
	s_delay_alu instid0(VALU_DEP_1)
	v_dual_sub_nc_u32 v1, 29, v1 :: v_dual_bitop2_b32 v4, 7, v2 bitop3:0x40
; %bb.351:                              ;   in Loop: Header=BB216_15 Depth=1
	s_or_b32 exec_lo, exec_lo, s17
	v_lshlrev_b32_e32 v2, 16, v0
	s_delay_alu instid0(VALU_DEP_2) | instskip(NEXT) | instid1(VALU_DEP_3)
	v_lshlrev_b32_e32 v3, 20, v4
	v_lshl_add_u32 v1, v1, 23, 0x3c000000
	s_delay_alu instid0(VALU_DEP_3) | instskip(NEXT) | instid1(VALU_DEP_1)
	v_and_b32_e32 v2, 0x80000000, v2
	v_or3_b32 v3, v3, v2, v1
	v_dual_mov_b32 v1, v5 :: v_dual_mov_b32 v2, v5
	s_clause 0x1
	scratch_store_b64 off, v[0:1], s32 offset:192
	scratch_store_b64 off, v[2:3], s32 offset:572
.LBB216_352:                            ;   in Loop: Header=BB216_15 Depth=1
	s_wait_xcnt 0x0
	s_or_b32 exec_lo, exec_lo, s16
.LBB216_353:                            ;   in Loop: Header=BB216_15 Depth=1
	s_delay_alu instid0(SALU_CYCLE_1)
	s_or_b32 exec_lo, exec_lo, s15
.LBB216_354:                            ;   in Loop: Header=BB216_15 Depth=1
	s_delay_alu instid0(SALU_CYCLE_1) | instskip(SKIP_3) | instid1(VALU_DEP_1)
	s_or_b32 exec_lo, exec_lo, s14
	v_mov_b64_e32 v[4:5], 0
	v_lshrrev_b32_e32 v1, 16, v0
	s_mov_b32 s14, exec_lo
	v_and_b32_e32 v2, 0xff, v1
	scratch_store_b64 off, v[4:5], s32 offset:588 ; 8-byte Folded Spill
	s_wait_xcnt 0x0
	v_mov_b64_e32 v[4:5], 0
	scratch_store_b64 off, v[4:5], s32 offset:596 ; 8-byte Folded Spill
	s_wait_xcnt 0x0
	v_cmpx_ne_u16_e32 0, v2
	s_cbranch_execz .LBB216_362
; %bb.355:                              ;   in Loop: Header=BB216_15 Depth=1
	v_cmp_ne_u16_e64 s1, 0x80, v2
	v_mov_b64_e32 v[2:3], 0x80000000
	scratch_store_b64 off, v[2:3], s32 offset:596 ; 8-byte Folded Spill
	s_wait_xcnt 0x0
	s_and_saveexec_b32 s15, s1
	s_cbranch_execz .LBB216_361
; %bb.356:                              ;   in Loop: Header=BB216_15 Depth=1
	v_mov_b64_e32 v[4:5], 0x7f800001
	v_bfe_u32 v3, v0, 16, 7
	s_mov_b32 s16, exec_lo
	scratch_store_b64 off, v[4:5], s32 offset:596 ; 8-byte Folded Spill
	s_wait_xcnt 0x0
	v_cmpx_ne_u32_e32 0x7f, v3
	s_cbranch_execz .LBB216_360
; %bb.357:                              ;   in Loop: Header=BB216_15 Depth=1
	scratch_load_b64 v[6:7], off, s32 offset:192 th:TH_LOAD_LU ; 8-byte Folded Reload
	s_wait_loadcnt 0x0
	v_dual_lshrrev_b32 v2, 3, v3 :: v_dual_bitop2_b32 v6, 7, v1 bitop3:0x40
	s_mov_b32 s17, exec_lo
	s_wait_xcnt 0x0
	v_cmpx_gt_u32_e32 8, v3
; %bb.358:                              ;   in Loop: Header=BB216_15 Depth=1
	s_delay_alu instid0(VALU_DEP_2) | instskip(NEXT) | instid1(VALU_DEP_1)
	v_clz_i32_u32_e32 v2, v6
	v_min_u32_e32 v2, 32, v2
	s_delay_alu instid0(VALU_DEP_1) | instskip(NEXT) | instid1(VALU_DEP_1)
	v_subrev_nc_u32_e32 v3, 28, v2
	v_lshlrev_b64_e32 v[4:5], v3, v[6:7]
	s_delay_alu instid0(VALU_DEP_1)
	v_dual_sub_nc_u32 v2, 29, v2 :: v_dual_bitop2_b32 v6, 7, v4 bitop3:0x40
; %bb.359:                              ;   in Loop: Header=BB216_15 Depth=1
	s_or_b32 exec_lo, exec_lo, s17
	s_delay_alu instid0(VALU_DEP_1) | instskip(NEXT) | instid1(VALU_DEP_2)
	v_dual_lshlrev_b32 v1, 24, v1 :: v_dual_lshlrev_b32 v3, 20, v6
	v_lshl_add_u32 v2, v2, 23, 0x3c000000
	s_delay_alu instid0(VALU_DEP_2) | instskip(NEXT) | instid1(VALU_DEP_1)
	v_and_b32_e32 v1, 0x80000000, v1
	v_or3_b32 v6, v3, v1, v2
	v_mov_b32_e32 v1, v7
	s_clause 0x1
	scratch_store_b64 off, v[0:1], s32 offset:192
	scratch_store_b64 off, v[6:7], s32 offset:596
.LBB216_360:                            ;   in Loop: Header=BB216_15 Depth=1
	s_wait_xcnt 0x0
	s_or_b32 exec_lo, exec_lo, s16
.LBB216_361:                            ;   in Loop: Header=BB216_15 Depth=1
	s_delay_alu instid0(SALU_CYCLE_1)
	s_or_b32 exec_lo, exec_lo, s15
.LBB216_362:                            ;   in Loop: Header=BB216_15 Depth=1
	s_delay_alu instid0(SALU_CYCLE_1) | instskip(NEXT) | instid1(SALU_CYCLE_1)
	s_or_b32 exec_lo, exec_lo, s14
	s_mov_b32 s14, exec_lo
	v_cmpx_lt_u32_e32 0xffffff, v0
	s_cbranch_execz .LBB216_370
; %bb.363:                              ;   in Loop: Header=BB216_15 Depth=1
	v_mov_b64_e32 v[2:3], 0x8000000000000000
	v_lshrrev_b32_e32 v1, 24, v0
	s_mov_b32 s15, exec_lo
	scratch_store_b64 off, v[2:3], s32 offset:588 ; 8-byte Folded Spill
	s_wait_xcnt 0x0
	v_cmpx_ne_u32_e32 0x80, v1
	s_cbranch_execz .LBB216_369
; %bb.364:                              ;   in Loop: Header=BB216_15 Depth=1
	v_mov_b64_e32 v[4:5], 0x7f80000100000000
	v_bfe_u32 v2, v0, 24, 7
	s_mov_b32 s16, exec_lo
	scratch_store_b64 off, v[4:5], s32 offset:588 ; 8-byte Folded Spill
	s_wait_xcnt 0x0
	v_cmpx_ne_u32_e32 0x7f, v2
	s_cbranch_execz .LBB216_368
; %bb.365:                              ;   in Loop: Header=BB216_15 Depth=1
	scratch_load_b64 v[4:5], off, s32 offset:192 th:TH_LOAD_LU ; 8-byte Folded Reload
	s_wait_loadcnt 0x0
	v_dual_lshrrev_b32 v0, 3, v2 :: v_dual_bitop2_b32 v4, 7, v1 bitop3:0x40
	s_mov_b32 s17, exec_lo
	s_wait_xcnt 0x0
	v_cmpx_gt_u32_e32 8, v2
; %bb.366:                              ;   in Loop: Header=BB216_15 Depth=1
	s_delay_alu instid0(VALU_DEP_2) | instskip(NEXT) | instid1(VALU_DEP_1)
	v_clz_i32_u32_e32 v0, v4
	v_min_u32_e32 v0, 32, v0
	s_delay_alu instid0(VALU_DEP_1) | instskip(NEXT) | instid1(VALU_DEP_1)
	v_subrev_nc_u32_e32 v2, 28, v0
	v_lshlrev_b64_e32 v[2:3], v2, v[4:5]
	s_delay_alu instid0(VALU_DEP_1)
	v_dual_sub_nc_u32 v0, 29, v0 :: v_dual_bitop2_b32 v4, 7, v2 bitop3:0x40
; %bb.367:                              ;   in Loop: Header=BB216_15 Depth=1
	s_or_b32 exec_lo, exec_lo, s17
	s_delay_alu instid0(VALU_DEP_1) | instskip(NEXT) | instid1(VALU_DEP_2)
	v_dual_lshlrev_b32 v1, 24, v1 :: v_dual_lshlrev_b32 v2, 20, v4
	v_lshl_add_u32 v0, v0, 23, 0x3c000000
	s_delay_alu instid0(VALU_DEP_2) | instskip(NEXT) | instid1(VALU_DEP_1)
	v_and_b32_e32 v1, 0x80000000, v1
	v_or3_b32 v3, v2, v1, v0
	v_dual_mov_b32 v1, v5 :: v_dual_mov_b32 v2, v5
	s_clause 0x1
	scratch_store_b64 off, v[0:1], s32 offset:192
	scratch_store_b64 off, v[2:3], s32 offset:588
.LBB216_368:                            ;   in Loop: Header=BB216_15 Depth=1
	s_wait_xcnt 0x0
	s_or_b32 exec_lo, exec_lo, s16
.LBB216_369:                            ;   in Loop: Header=BB216_15 Depth=1
	s_delay_alu instid0(SALU_CYCLE_1)
	s_or_b32 exec_lo, exec_lo, s15
.LBB216_370:                            ;   in Loop: Header=BB216_15 Depth=1
	s_delay_alu instid0(SALU_CYCLE_1)
	s_or_b32 exec_lo, exec_lo, s14
	flat_load_b32 v0, v[84:85] offset:1036
	v_mov_b64_e32 v[2:3], 0
	s_mov_b32 s14, exec_lo
	scratch_store_b64 off, v[2:3], s32 offset:604 ; 8-byte Folded Spill
	s_wait_xcnt 0x0
	v_mov_b64_e32 v[2:3], 0
	scratch_store_b64 off, v[2:3], s32 offset:612 ; 8-byte Folded Spill
	s_wait_loadcnt_dscnt 0x0
	v_and_b32_e32 v1, 0xff, v0
	s_wait_xcnt 0x0
	s_delay_alu instid0(VALU_DEP_1)
	v_cmpx_ne_u16_e32 0, v1
	s_cbranch_execz .LBB216_378
; %bb.371:                              ;   in Loop: Header=BB216_15 Depth=1
	v_mov_b64_e32 v[2:3], 0x80000000
	s_mov_b32 s15, exec_lo
	scratch_store_b64 off, v[2:3], s32 offset:612 ; 8-byte Folded Spill
	s_wait_xcnt 0x0
	v_cmpx_ne_u16_e32 0x80, v1
	s_cbranch_execz .LBB216_377
; %bb.372:                              ;   in Loop: Header=BB216_15 Depth=1
	v_mov_b64_e32 v[4:5], 0x7f800001
	v_and_b32_e32 v2, 0x7f, v0
	s_mov_b32 s16, exec_lo
	scratch_store_b64 off, v[4:5], s32 offset:612 ; 8-byte Folded Spill
	s_wait_xcnt 0x0
	v_cmpx_ne_u32_e32 0x7f, v2
	s_cbranch_execz .LBB216_376
; %bb.373:                              ;   in Loop: Header=BB216_15 Depth=1
	scratch_load_b64 v[4:5], off, s32 offset:192 th:TH_LOAD_LU ; 8-byte Folded Reload
	s_wait_loadcnt 0x0
	v_dual_lshrrev_b32 v1, 3, v2 :: v_dual_bitop2_b32 v4, 7, v0 bitop3:0x40
	s_mov_b32 s17, exec_lo
	s_wait_xcnt 0x0
	v_cmpx_gt_u32_e32 8, v2
; %bb.374:                              ;   in Loop: Header=BB216_15 Depth=1
	s_delay_alu instid0(VALU_DEP_2) | instskip(NEXT) | instid1(VALU_DEP_1)
	v_clz_i32_u32_e32 v1, v4
	v_min_u32_e32 v1, 32, v1
	s_delay_alu instid0(VALU_DEP_1) | instskip(NEXT) | instid1(VALU_DEP_1)
	v_subrev_nc_u32_e32 v2, 28, v1
	v_lshlrev_b64_e32 v[2:3], v2, v[4:5]
	s_delay_alu instid0(VALU_DEP_1)
	v_dual_sub_nc_u32 v1, 29, v1 :: v_dual_bitop2_b32 v4, 7, v2 bitop3:0x40
; %bb.375:                              ;   in Loop: Header=BB216_15 Depth=1
	s_or_b32 exec_lo, exec_lo, s17
	v_lshlrev_b32_e32 v2, 24, v0
	s_delay_alu instid0(VALU_DEP_2) | instskip(NEXT) | instid1(VALU_DEP_3)
	v_lshlrev_b32_e32 v3, 20, v4
	v_lshl_add_u32 v1, v1, 23, 0x3c000000
	s_delay_alu instid0(VALU_DEP_3) | instskip(NEXT) | instid1(VALU_DEP_1)
	v_and_b32_e32 v2, 0x80000000, v2
	v_or3_b32 v4, v3, v2, v1
	v_mov_b32_e32 v1, v5
	s_clause 0x1
	scratch_store_b64 off, v[0:1], s32 offset:192
	scratch_store_b64 off, v[4:5], s32 offset:612
.LBB216_376:                            ;   in Loop: Header=BB216_15 Depth=1
	s_wait_xcnt 0x0
	s_or_b32 exec_lo, exec_lo, s16
.LBB216_377:                            ;   in Loop: Header=BB216_15 Depth=1
	s_delay_alu instid0(SALU_CYCLE_1)
	s_or_b32 exec_lo, exec_lo, s15
.LBB216_378:                            ;   in Loop: Header=BB216_15 Depth=1
	s_delay_alu instid0(SALU_CYCLE_1) | instskip(SKIP_2) | instid1(VALU_DEP_1)
	s_or_b32 exec_lo, exec_lo, s14
	v_lshrrev_b16 v1, 8, v0
	s_mov_b32 s14, exec_lo
	v_cmpx_ne_u16_e32 0, v1
	s_cbranch_execz .LBB216_386
; %bb.379:                              ;   in Loop: Header=BB216_15 Depth=1
	v_mov_b64_e32 v[2:3], 0x8000000000000000
	s_mov_b32 s15, exec_lo
	scratch_store_b64 off, v[2:3], s32 offset:604 ; 8-byte Folded Spill
	s_wait_xcnt 0x0
	v_cmpx_ne_u16_e32 0x80, v1
	s_cbranch_execz .LBB216_385
; %bb.380:                              ;   in Loop: Header=BB216_15 Depth=1
	v_and_b32_e32 v1, 0xffff, v1
	v_mov_b64_e32 v[4:5], 0x7f80000100000000
	s_mov_b32 s16, exec_lo
	s_delay_alu instid0(VALU_DEP_2)
	v_and_b32_e32 v2, 0x7f, v1
	scratch_store_b64 off, v[4:5], s32 offset:604 ; 8-byte Folded Spill
	s_wait_xcnt 0x0
	v_cmpx_ne_u32_e32 0x7f, v2
	s_cbranch_execz .LBB216_384
; %bb.381:                              ;   in Loop: Header=BB216_15 Depth=1
	scratch_load_b64 v[4:5], off, s32 offset:192 th:TH_LOAD_LU ; 8-byte Folded Reload
	s_wait_loadcnt 0x0
	v_dual_lshrrev_b32 v1, 3, v2 :: v_dual_bitop2_b32 v4, 7, v1 bitop3:0x40
	s_mov_b32 s17, exec_lo
	s_wait_xcnt 0x0
	v_cmpx_gt_u32_e32 8, v2
; %bb.382:                              ;   in Loop: Header=BB216_15 Depth=1
	s_delay_alu instid0(VALU_DEP_2) | instskip(NEXT) | instid1(VALU_DEP_1)
	v_clz_i32_u32_e32 v1, v4
	v_min_u32_e32 v1, 32, v1
	s_delay_alu instid0(VALU_DEP_1) | instskip(NEXT) | instid1(VALU_DEP_1)
	v_subrev_nc_u32_e32 v2, 28, v1
	v_lshlrev_b64_e32 v[2:3], v2, v[4:5]
	s_delay_alu instid0(VALU_DEP_1)
	v_dual_sub_nc_u32 v1, 29, v1 :: v_dual_bitop2_b32 v4, 7, v2 bitop3:0x40
; %bb.383:                              ;   in Loop: Header=BB216_15 Depth=1
	s_or_b32 exec_lo, exec_lo, s17
	v_lshlrev_b32_e32 v2, 16, v0
	s_delay_alu instid0(VALU_DEP_2) | instskip(NEXT) | instid1(VALU_DEP_3)
	v_lshlrev_b32_e32 v3, 20, v4
	v_lshl_add_u32 v1, v1, 23, 0x3c000000
	s_delay_alu instid0(VALU_DEP_3) | instskip(NEXT) | instid1(VALU_DEP_1)
	v_and_b32_e32 v2, 0x80000000, v2
	v_or3_b32 v3, v3, v2, v1
	v_dual_mov_b32 v1, v5 :: v_dual_mov_b32 v2, v5
	s_clause 0x1
	scratch_store_b64 off, v[0:1], s32 offset:192
	scratch_store_b64 off, v[2:3], s32 offset:604
.LBB216_384:                            ;   in Loop: Header=BB216_15 Depth=1
	s_wait_xcnt 0x0
	s_or_b32 exec_lo, exec_lo, s16
.LBB216_385:                            ;   in Loop: Header=BB216_15 Depth=1
	s_delay_alu instid0(SALU_CYCLE_1)
	s_or_b32 exec_lo, exec_lo, s15
.LBB216_386:                            ;   in Loop: Header=BB216_15 Depth=1
	s_delay_alu instid0(SALU_CYCLE_1) | instskip(SKIP_3) | instid1(VALU_DEP_1)
	s_or_b32 exec_lo, exec_lo, s14
	v_mov_b64_e32 v[4:5], 0
	v_lshrrev_b32_e32 v1, 16, v0
	s_mov_b32 s14, exec_lo
	v_and_b32_e32 v2, 0xff, v1
	scratch_store_b64 off, v[4:5], s32 offset:620 ; 8-byte Folded Spill
	s_wait_xcnt 0x0
	v_mov_b64_e32 v[4:5], 0
	scratch_store_b64 off, v[4:5], s32 offset:628 ; 8-byte Folded Spill
	s_wait_xcnt 0x0
	v_cmpx_ne_u16_e32 0, v2
	s_cbranch_execz .LBB216_394
; %bb.387:                              ;   in Loop: Header=BB216_15 Depth=1
	v_cmp_ne_u16_e64 s1, 0x80, v2
	v_mov_b64_e32 v[2:3], 0x80000000
	scratch_store_b64 off, v[2:3], s32 offset:628 ; 8-byte Folded Spill
	s_wait_xcnt 0x0
	s_and_saveexec_b32 s15, s1
	s_cbranch_execz .LBB216_393
; %bb.388:                              ;   in Loop: Header=BB216_15 Depth=1
	v_mov_b64_e32 v[4:5], 0x7f800001
	v_bfe_u32 v3, v0, 16, 7
	s_mov_b32 s16, exec_lo
	scratch_store_b64 off, v[4:5], s32 offset:628 ; 8-byte Folded Spill
	s_wait_xcnt 0x0
	v_cmpx_ne_u32_e32 0x7f, v3
	s_cbranch_execz .LBB216_392
; %bb.389:                              ;   in Loop: Header=BB216_15 Depth=1
	scratch_load_b64 v[6:7], off, s32 offset:192 th:TH_LOAD_LU ; 8-byte Folded Reload
	s_wait_loadcnt 0x0
	v_dual_lshrrev_b32 v2, 3, v3 :: v_dual_bitop2_b32 v6, 7, v1 bitop3:0x40
	s_mov_b32 s17, exec_lo
	s_wait_xcnt 0x0
	v_cmpx_gt_u32_e32 8, v3
; %bb.390:                              ;   in Loop: Header=BB216_15 Depth=1
	s_delay_alu instid0(VALU_DEP_2) | instskip(NEXT) | instid1(VALU_DEP_1)
	v_clz_i32_u32_e32 v2, v6
	v_min_u32_e32 v2, 32, v2
	s_delay_alu instid0(VALU_DEP_1) | instskip(NEXT) | instid1(VALU_DEP_1)
	v_subrev_nc_u32_e32 v3, 28, v2
	v_lshlrev_b64_e32 v[4:5], v3, v[6:7]
	s_delay_alu instid0(VALU_DEP_1)
	v_dual_sub_nc_u32 v2, 29, v2 :: v_dual_bitop2_b32 v6, 7, v4 bitop3:0x40
; %bb.391:                              ;   in Loop: Header=BB216_15 Depth=1
	s_or_b32 exec_lo, exec_lo, s17
	s_delay_alu instid0(VALU_DEP_1) | instskip(NEXT) | instid1(VALU_DEP_2)
	v_dual_lshlrev_b32 v1, 24, v1 :: v_dual_lshlrev_b32 v3, 20, v6
	v_lshl_add_u32 v2, v2, 23, 0x3c000000
	s_delay_alu instid0(VALU_DEP_2) | instskip(NEXT) | instid1(VALU_DEP_1)
	v_and_b32_e32 v1, 0x80000000, v1
	v_or3_b32 v6, v3, v1, v2
	v_mov_b32_e32 v1, v7
	s_clause 0x1
	scratch_store_b64 off, v[0:1], s32 offset:192
	scratch_store_b64 off, v[6:7], s32 offset:628
.LBB216_392:                            ;   in Loop: Header=BB216_15 Depth=1
	s_wait_xcnt 0x0
	s_or_b32 exec_lo, exec_lo, s16
.LBB216_393:                            ;   in Loop: Header=BB216_15 Depth=1
	s_delay_alu instid0(SALU_CYCLE_1)
	s_or_b32 exec_lo, exec_lo, s15
.LBB216_394:                            ;   in Loop: Header=BB216_15 Depth=1
	s_delay_alu instid0(SALU_CYCLE_1) | instskip(NEXT) | instid1(SALU_CYCLE_1)
	s_or_b32 exec_lo, exec_lo, s14
	s_mov_b32 s14, exec_lo
	v_cmpx_lt_u32_e32 0xffffff, v0
	s_cbranch_execz .LBB216_402
; %bb.395:                              ;   in Loop: Header=BB216_15 Depth=1
	v_mov_b64_e32 v[2:3], 0x8000000000000000
	v_lshrrev_b32_e32 v1, 24, v0
	s_mov_b32 s15, exec_lo
	scratch_store_b64 off, v[2:3], s32 offset:620 ; 8-byte Folded Spill
	s_wait_xcnt 0x0
	v_cmpx_ne_u32_e32 0x80, v1
	s_cbranch_execz .LBB216_401
; %bb.396:                              ;   in Loop: Header=BB216_15 Depth=1
	v_mov_b64_e32 v[4:5], 0x7f80000100000000
	v_bfe_u32 v2, v0, 24, 7
	s_mov_b32 s16, exec_lo
	scratch_store_b64 off, v[4:5], s32 offset:620 ; 8-byte Folded Spill
	s_wait_xcnt 0x0
	v_cmpx_ne_u32_e32 0x7f, v2
	s_cbranch_execz .LBB216_400
; %bb.397:                              ;   in Loop: Header=BB216_15 Depth=1
	scratch_load_b64 v[4:5], off, s32 offset:192 th:TH_LOAD_LU ; 8-byte Folded Reload
	s_wait_loadcnt 0x0
	v_dual_lshrrev_b32 v0, 3, v2 :: v_dual_bitop2_b32 v4, 7, v1 bitop3:0x40
	s_mov_b32 s17, exec_lo
	s_wait_xcnt 0x0
	v_cmpx_gt_u32_e32 8, v2
; %bb.398:                              ;   in Loop: Header=BB216_15 Depth=1
	s_delay_alu instid0(VALU_DEP_2) | instskip(NEXT) | instid1(VALU_DEP_1)
	v_clz_i32_u32_e32 v0, v4
	v_min_u32_e32 v0, 32, v0
	s_delay_alu instid0(VALU_DEP_1) | instskip(NEXT) | instid1(VALU_DEP_1)
	v_subrev_nc_u32_e32 v2, 28, v0
	v_lshlrev_b64_e32 v[2:3], v2, v[4:5]
	s_delay_alu instid0(VALU_DEP_1)
	v_dual_sub_nc_u32 v0, 29, v0 :: v_dual_bitop2_b32 v4, 7, v2 bitop3:0x40
; %bb.399:                              ;   in Loop: Header=BB216_15 Depth=1
	s_or_b32 exec_lo, exec_lo, s17
	s_delay_alu instid0(VALU_DEP_1) | instskip(NEXT) | instid1(VALU_DEP_2)
	v_dual_lshlrev_b32 v1, 24, v1 :: v_dual_lshlrev_b32 v2, 20, v4
	v_lshl_add_u32 v0, v0, 23, 0x3c000000
	s_delay_alu instid0(VALU_DEP_2) | instskip(NEXT) | instid1(VALU_DEP_1)
	v_and_b32_e32 v1, 0x80000000, v1
	v_or3_b32 v3, v2, v1, v0
	v_dual_mov_b32 v1, v5 :: v_dual_mov_b32 v2, v5
	s_clause 0x1
	scratch_store_b64 off, v[0:1], s32 offset:192
	scratch_store_b64 off, v[2:3], s32 offset:620
.LBB216_400:                            ;   in Loop: Header=BB216_15 Depth=1
	s_wait_xcnt 0x0
	s_or_b32 exec_lo, exec_lo, s16
.LBB216_401:                            ;   in Loop: Header=BB216_15 Depth=1
	s_delay_alu instid0(SALU_CYCLE_1)
	s_or_b32 exec_lo, exec_lo, s15
.LBB216_402:                            ;   in Loop: Header=BB216_15 Depth=1
	s_delay_alu instid0(SALU_CYCLE_1)
	s_or_b32 exec_lo, exec_lo, s14
	flat_load_b32 v0, v[84:85] offset:1536
	v_mov_b64_e32 v[2:3], 0
	s_mov_b32 s14, exec_lo
	scratch_store_b64 off, v[2:3], s32 offset:636 ; 8-byte Folded Spill
	s_wait_xcnt 0x0
	v_mov_b64_e32 v[2:3], 0
	scratch_store_b64 off, v[2:3], s32 offset:644 ; 8-byte Folded Spill
	s_wait_loadcnt_dscnt 0x0
	v_and_b32_e32 v1, 0xff, v0
	s_wait_xcnt 0x0
	s_delay_alu instid0(VALU_DEP_1)
	v_cmpx_ne_u16_e32 0, v1
	s_cbranch_execz .LBB216_410
; %bb.403:                              ;   in Loop: Header=BB216_15 Depth=1
	v_mov_b64_e32 v[2:3], 0x80000000
	s_mov_b32 s15, exec_lo
	scratch_store_b64 off, v[2:3], s32 offset:644 ; 8-byte Folded Spill
	s_wait_xcnt 0x0
	v_cmpx_ne_u16_e32 0x80, v1
	s_cbranch_execz .LBB216_409
; %bb.404:                              ;   in Loop: Header=BB216_15 Depth=1
	v_mov_b64_e32 v[4:5], 0x7f800001
	v_and_b32_e32 v2, 0x7f, v0
	s_mov_b32 s16, exec_lo
	scratch_store_b64 off, v[4:5], s32 offset:644 ; 8-byte Folded Spill
	s_wait_xcnt 0x0
	v_cmpx_ne_u32_e32 0x7f, v2
	s_cbranch_execz .LBB216_408
; %bb.405:                              ;   in Loop: Header=BB216_15 Depth=1
	scratch_load_b64 v[4:5], off, s32 offset:192 th:TH_LOAD_LU ; 8-byte Folded Reload
	s_wait_loadcnt 0x0
	v_dual_lshrrev_b32 v1, 3, v2 :: v_dual_bitop2_b32 v4, 7, v0 bitop3:0x40
	s_mov_b32 s17, exec_lo
	s_wait_xcnt 0x0
	v_cmpx_gt_u32_e32 8, v2
; %bb.406:                              ;   in Loop: Header=BB216_15 Depth=1
	s_delay_alu instid0(VALU_DEP_2) | instskip(NEXT) | instid1(VALU_DEP_1)
	v_clz_i32_u32_e32 v1, v4
	v_min_u32_e32 v1, 32, v1
	s_delay_alu instid0(VALU_DEP_1) | instskip(NEXT) | instid1(VALU_DEP_1)
	v_subrev_nc_u32_e32 v2, 28, v1
	v_lshlrev_b64_e32 v[2:3], v2, v[4:5]
	s_delay_alu instid0(VALU_DEP_1)
	v_dual_sub_nc_u32 v1, 29, v1 :: v_dual_bitop2_b32 v4, 7, v2 bitop3:0x40
; %bb.407:                              ;   in Loop: Header=BB216_15 Depth=1
	s_or_b32 exec_lo, exec_lo, s17
	v_lshlrev_b32_e32 v2, 24, v0
	s_delay_alu instid0(VALU_DEP_2) | instskip(NEXT) | instid1(VALU_DEP_3)
	v_lshlrev_b32_e32 v3, 20, v4
	v_lshl_add_u32 v1, v1, 23, 0x3c000000
	s_delay_alu instid0(VALU_DEP_3) | instskip(NEXT) | instid1(VALU_DEP_1)
	v_and_b32_e32 v2, 0x80000000, v2
	v_or3_b32 v4, v3, v2, v1
	v_mov_b32_e32 v1, v5
	s_clause 0x1
	scratch_store_b64 off, v[0:1], s32 offset:192
	scratch_store_b64 off, v[4:5], s32 offset:644
.LBB216_408:                            ;   in Loop: Header=BB216_15 Depth=1
	s_wait_xcnt 0x0
	s_or_b32 exec_lo, exec_lo, s16
.LBB216_409:                            ;   in Loop: Header=BB216_15 Depth=1
	s_delay_alu instid0(SALU_CYCLE_1)
	s_or_b32 exec_lo, exec_lo, s15
.LBB216_410:                            ;   in Loop: Header=BB216_15 Depth=1
	s_delay_alu instid0(SALU_CYCLE_1) | instskip(SKIP_2) | instid1(VALU_DEP_1)
	s_or_b32 exec_lo, exec_lo, s14
	v_lshrrev_b16 v1, 8, v0
	s_mov_b32 s14, exec_lo
	v_cmpx_ne_u16_e32 0, v1
	s_cbranch_execz .LBB216_418
; %bb.411:                              ;   in Loop: Header=BB216_15 Depth=1
	v_mov_b64_e32 v[2:3], 0x8000000000000000
	s_mov_b32 s15, exec_lo
	scratch_store_b64 off, v[2:3], s32 offset:636 ; 8-byte Folded Spill
	s_wait_xcnt 0x0
	v_cmpx_ne_u16_e32 0x80, v1
	s_cbranch_execz .LBB216_417
; %bb.412:                              ;   in Loop: Header=BB216_15 Depth=1
	v_and_b32_e32 v1, 0xffff, v1
	v_mov_b64_e32 v[4:5], 0x7f80000100000000
	s_mov_b32 s16, exec_lo
	s_delay_alu instid0(VALU_DEP_2)
	v_and_b32_e32 v2, 0x7f, v1
	scratch_store_b64 off, v[4:5], s32 offset:636 ; 8-byte Folded Spill
	s_wait_xcnt 0x0
	v_cmpx_ne_u32_e32 0x7f, v2
	s_cbranch_execz .LBB216_416
; %bb.413:                              ;   in Loop: Header=BB216_15 Depth=1
	scratch_load_b64 v[4:5], off, s32 offset:192 th:TH_LOAD_LU ; 8-byte Folded Reload
	s_wait_loadcnt 0x0
	v_dual_lshrrev_b32 v1, 3, v2 :: v_dual_bitop2_b32 v4, 7, v1 bitop3:0x40
	s_mov_b32 s17, exec_lo
	s_wait_xcnt 0x0
	v_cmpx_gt_u32_e32 8, v2
; %bb.414:                              ;   in Loop: Header=BB216_15 Depth=1
	s_delay_alu instid0(VALU_DEP_2) | instskip(NEXT) | instid1(VALU_DEP_1)
	v_clz_i32_u32_e32 v1, v4
	v_min_u32_e32 v1, 32, v1
	s_delay_alu instid0(VALU_DEP_1) | instskip(NEXT) | instid1(VALU_DEP_1)
	v_subrev_nc_u32_e32 v2, 28, v1
	v_lshlrev_b64_e32 v[2:3], v2, v[4:5]
	s_delay_alu instid0(VALU_DEP_1)
	v_dual_sub_nc_u32 v1, 29, v1 :: v_dual_bitop2_b32 v4, 7, v2 bitop3:0x40
; %bb.415:                              ;   in Loop: Header=BB216_15 Depth=1
	s_or_b32 exec_lo, exec_lo, s17
	v_lshlrev_b32_e32 v2, 16, v0
	s_delay_alu instid0(VALU_DEP_2) | instskip(NEXT) | instid1(VALU_DEP_3)
	v_lshlrev_b32_e32 v3, 20, v4
	v_lshl_add_u32 v1, v1, 23, 0x3c000000
	s_delay_alu instid0(VALU_DEP_3) | instskip(NEXT) | instid1(VALU_DEP_1)
	v_and_b32_e32 v2, 0x80000000, v2
	v_or3_b32 v3, v3, v2, v1
	v_dual_mov_b32 v1, v5 :: v_dual_mov_b32 v2, v5
	s_clause 0x1
	scratch_store_b64 off, v[0:1], s32 offset:192
	scratch_store_b64 off, v[2:3], s32 offset:636
.LBB216_416:                            ;   in Loop: Header=BB216_15 Depth=1
	s_wait_xcnt 0x0
	s_or_b32 exec_lo, exec_lo, s16
.LBB216_417:                            ;   in Loop: Header=BB216_15 Depth=1
	s_delay_alu instid0(SALU_CYCLE_1)
	s_or_b32 exec_lo, exec_lo, s15
.LBB216_418:                            ;   in Loop: Header=BB216_15 Depth=1
	s_delay_alu instid0(SALU_CYCLE_1) | instskip(SKIP_3) | instid1(VALU_DEP_1)
	s_or_b32 exec_lo, exec_lo, s14
	v_mov_b64_e32 v[4:5], 0
	v_lshrrev_b32_e32 v1, 16, v0
	s_mov_b32 s14, exec_lo
	v_and_b32_e32 v2, 0xff, v1
	scratch_store_b64 off, v[4:5], s32 offset:652 ; 8-byte Folded Spill
	s_wait_xcnt 0x0
	v_mov_b64_e32 v[4:5], 0
	scratch_store_b64 off, v[4:5], s32 offset:660 ; 8-byte Folded Spill
	s_wait_xcnt 0x0
	v_cmpx_ne_u16_e32 0, v2
	s_cbranch_execz .LBB216_426
; %bb.419:                              ;   in Loop: Header=BB216_15 Depth=1
	v_cmp_ne_u16_e64 s1, 0x80, v2
	v_mov_b64_e32 v[2:3], 0x80000000
	scratch_store_b64 off, v[2:3], s32 offset:660 ; 8-byte Folded Spill
	s_wait_xcnt 0x0
	s_and_saveexec_b32 s15, s1
	s_cbranch_execz .LBB216_425
; %bb.420:                              ;   in Loop: Header=BB216_15 Depth=1
	v_mov_b64_e32 v[4:5], 0x7f800001
	v_bfe_u32 v3, v0, 16, 7
	s_mov_b32 s16, exec_lo
	scratch_store_b64 off, v[4:5], s32 offset:660 ; 8-byte Folded Spill
	s_wait_xcnt 0x0
	v_cmpx_ne_u32_e32 0x7f, v3
	s_cbranch_execz .LBB216_424
; %bb.421:                              ;   in Loop: Header=BB216_15 Depth=1
	scratch_load_b64 v[6:7], off, s32 offset:192 th:TH_LOAD_LU ; 8-byte Folded Reload
	s_wait_loadcnt 0x0
	v_dual_lshrrev_b32 v2, 3, v3 :: v_dual_bitop2_b32 v6, 7, v1 bitop3:0x40
	s_mov_b32 s17, exec_lo
	s_wait_xcnt 0x0
	v_cmpx_gt_u32_e32 8, v3
; %bb.422:                              ;   in Loop: Header=BB216_15 Depth=1
	s_delay_alu instid0(VALU_DEP_2) | instskip(NEXT) | instid1(VALU_DEP_1)
	v_clz_i32_u32_e32 v2, v6
	v_min_u32_e32 v2, 32, v2
	s_delay_alu instid0(VALU_DEP_1) | instskip(NEXT) | instid1(VALU_DEP_1)
	v_subrev_nc_u32_e32 v3, 28, v2
	v_lshlrev_b64_e32 v[4:5], v3, v[6:7]
	s_delay_alu instid0(VALU_DEP_1)
	v_dual_sub_nc_u32 v2, 29, v2 :: v_dual_bitop2_b32 v6, 7, v4 bitop3:0x40
; %bb.423:                              ;   in Loop: Header=BB216_15 Depth=1
	s_or_b32 exec_lo, exec_lo, s17
	s_delay_alu instid0(VALU_DEP_1) | instskip(NEXT) | instid1(VALU_DEP_2)
	v_dual_lshlrev_b32 v1, 24, v1 :: v_dual_lshlrev_b32 v3, 20, v6
	v_lshl_add_u32 v2, v2, 23, 0x3c000000
	s_delay_alu instid0(VALU_DEP_2) | instskip(NEXT) | instid1(VALU_DEP_1)
	v_and_b32_e32 v1, 0x80000000, v1
	v_or3_b32 v6, v3, v1, v2
	v_mov_b32_e32 v1, v7
	s_clause 0x1
	scratch_store_b64 off, v[0:1], s32 offset:192
	scratch_store_b64 off, v[6:7], s32 offset:660
.LBB216_424:                            ;   in Loop: Header=BB216_15 Depth=1
	s_wait_xcnt 0x0
	s_or_b32 exec_lo, exec_lo, s16
.LBB216_425:                            ;   in Loop: Header=BB216_15 Depth=1
	s_delay_alu instid0(SALU_CYCLE_1)
	s_or_b32 exec_lo, exec_lo, s15
.LBB216_426:                            ;   in Loop: Header=BB216_15 Depth=1
	s_delay_alu instid0(SALU_CYCLE_1) | instskip(NEXT) | instid1(SALU_CYCLE_1)
	s_or_b32 exec_lo, exec_lo, s14
	s_mov_b32 s14, exec_lo
	v_cmpx_lt_u32_e32 0xffffff, v0
	s_cbranch_execz .LBB216_434
; %bb.427:                              ;   in Loop: Header=BB216_15 Depth=1
	v_mov_b64_e32 v[2:3], 0x8000000000000000
	v_lshrrev_b32_e32 v1, 24, v0
	s_mov_b32 s15, exec_lo
	scratch_store_b64 off, v[2:3], s32 offset:652 ; 8-byte Folded Spill
	s_wait_xcnt 0x0
	v_cmpx_ne_u32_e32 0x80, v1
	s_cbranch_execz .LBB216_433
; %bb.428:                              ;   in Loop: Header=BB216_15 Depth=1
	v_mov_b64_e32 v[4:5], 0x7f80000100000000
	v_bfe_u32 v2, v0, 24, 7
	s_mov_b32 s16, exec_lo
	scratch_store_b64 off, v[4:5], s32 offset:652 ; 8-byte Folded Spill
	s_wait_xcnt 0x0
	v_cmpx_ne_u32_e32 0x7f, v2
	s_cbranch_execz .LBB216_432
; %bb.429:                              ;   in Loop: Header=BB216_15 Depth=1
	scratch_load_b64 v[4:5], off, s32 offset:192 th:TH_LOAD_LU ; 8-byte Folded Reload
	s_wait_loadcnt 0x0
	v_dual_lshrrev_b32 v0, 3, v2 :: v_dual_bitop2_b32 v4, 7, v1 bitop3:0x40
	s_mov_b32 s17, exec_lo
	s_wait_xcnt 0x0
	v_cmpx_gt_u32_e32 8, v2
; %bb.430:                              ;   in Loop: Header=BB216_15 Depth=1
	s_delay_alu instid0(VALU_DEP_2) | instskip(NEXT) | instid1(VALU_DEP_1)
	v_clz_i32_u32_e32 v0, v4
	v_min_u32_e32 v0, 32, v0
	s_delay_alu instid0(VALU_DEP_1) | instskip(NEXT) | instid1(VALU_DEP_1)
	v_subrev_nc_u32_e32 v2, 28, v0
	v_lshlrev_b64_e32 v[2:3], v2, v[4:5]
	s_delay_alu instid0(VALU_DEP_1)
	v_dual_sub_nc_u32 v0, 29, v0 :: v_dual_bitop2_b32 v4, 7, v2 bitop3:0x40
; %bb.431:                              ;   in Loop: Header=BB216_15 Depth=1
	s_or_b32 exec_lo, exec_lo, s17
	s_delay_alu instid0(VALU_DEP_1) | instskip(NEXT) | instid1(VALU_DEP_2)
	v_dual_lshlrev_b32 v1, 24, v1 :: v_dual_lshlrev_b32 v2, 20, v4
	v_lshl_add_u32 v0, v0, 23, 0x3c000000
	s_delay_alu instid0(VALU_DEP_2) | instskip(NEXT) | instid1(VALU_DEP_1)
	v_and_b32_e32 v1, 0x80000000, v1
	v_or3_b32 v3, v2, v1, v0
	v_dual_mov_b32 v1, v5 :: v_dual_mov_b32 v2, v5
	s_clause 0x1
	scratch_store_b64 off, v[0:1], s32 offset:192
	scratch_store_b64 off, v[2:3], s32 offset:652
.LBB216_432:                            ;   in Loop: Header=BB216_15 Depth=1
	s_wait_xcnt 0x0
	s_or_b32 exec_lo, exec_lo, s16
.LBB216_433:                            ;   in Loop: Header=BB216_15 Depth=1
	s_delay_alu instid0(SALU_CYCLE_1)
	s_or_b32 exec_lo, exec_lo, s15
.LBB216_434:                            ;   in Loop: Header=BB216_15 Depth=1
	s_delay_alu instid0(SALU_CYCLE_1)
	s_or_b32 exec_lo, exec_lo, s14
	flat_load_b32 v0, v[84:85] offset:1540
	v_mov_b64_e32 v[2:3], 0
	s_mov_b32 s14, exec_lo
	scratch_store_b64 off, v[2:3], s32 offset:668 ; 8-byte Folded Spill
	s_wait_xcnt 0x0
	v_mov_b64_e32 v[2:3], 0
	scratch_store_b64 off, v[2:3], s32 offset:676 ; 8-byte Folded Spill
	s_wait_loadcnt_dscnt 0x0
	v_and_b32_e32 v1, 0xff, v0
	s_wait_xcnt 0x0
	s_delay_alu instid0(VALU_DEP_1)
	v_cmpx_ne_u16_e32 0, v1
	s_cbranch_execz .LBB216_442
; %bb.435:                              ;   in Loop: Header=BB216_15 Depth=1
	v_mov_b64_e32 v[2:3], 0x80000000
	s_mov_b32 s15, exec_lo
	scratch_store_b64 off, v[2:3], s32 offset:676 ; 8-byte Folded Spill
	s_wait_xcnt 0x0
	v_cmpx_ne_u16_e32 0x80, v1
	s_cbranch_execz .LBB216_441
; %bb.436:                              ;   in Loop: Header=BB216_15 Depth=1
	v_mov_b64_e32 v[4:5], 0x7f800001
	v_and_b32_e32 v2, 0x7f, v0
	s_mov_b32 s16, exec_lo
	scratch_store_b64 off, v[4:5], s32 offset:676 ; 8-byte Folded Spill
	s_wait_xcnt 0x0
	v_cmpx_ne_u32_e32 0x7f, v2
	s_cbranch_execz .LBB216_440
; %bb.437:                              ;   in Loop: Header=BB216_15 Depth=1
	scratch_load_b64 v[4:5], off, s32 offset:192 th:TH_LOAD_LU ; 8-byte Folded Reload
	s_wait_loadcnt 0x0
	v_dual_lshrrev_b32 v1, 3, v2 :: v_dual_bitop2_b32 v4, 7, v0 bitop3:0x40
	s_mov_b32 s17, exec_lo
	s_wait_xcnt 0x0
	v_cmpx_gt_u32_e32 8, v2
; %bb.438:                              ;   in Loop: Header=BB216_15 Depth=1
	s_delay_alu instid0(VALU_DEP_2) | instskip(NEXT) | instid1(VALU_DEP_1)
	v_clz_i32_u32_e32 v1, v4
	v_min_u32_e32 v1, 32, v1
	s_delay_alu instid0(VALU_DEP_1) | instskip(NEXT) | instid1(VALU_DEP_1)
	v_subrev_nc_u32_e32 v2, 28, v1
	v_lshlrev_b64_e32 v[2:3], v2, v[4:5]
	s_delay_alu instid0(VALU_DEP_1)
	v_dual_sub_nc_u32 v1, 29, v1 :: v_dual_bitop2_b32 v4, 7, v2 bitop3:0x40
; %bb.439:                              ;   in Loop: Header=BB216_15 Depth=1
	s_or_b32 exec_lo, exec_lo, s17
	v_lshlrev_b32_e32 v2, 24, v0
	s_delay_alu instid0(VALU_DEP_2) | instskip(NEXT) | instid1(VALU_DEP_3)
	v_lshlrev_b32_e32 v3, 20, v4
	v_lshl_add_u32 v1, v1, 23, 0x3c000000
	s_delay_alu instid0(VALU_DEP_3) | instskip(NEXT) | instid1(VALU_DEP_1)
	v_and_b32_e32 v2, 0x80000000, v2
	v_or3_b32 v4, v3, v2, v1
	v_mov_b32_e32 v1, v5
	s_clause 0x1
	scratch_store_b64 off, v[0:1], s32 offset:192
	scratch_store_b64 off, v[4:5], s32 offset:676
.LBB216_440:                            ;   in Loop: Header=BB216_15 Depth=1
	s_wait_xcnt 0x0
	s_or_b32 exec_lo, exec_lo, s16
.LBB216_441:                            ;   in Loop: Header=BB216_15 Depth=1
	s_delay_alu instid0(SALU_CYCLE_1)
	s_or_b32 exec_lo, exec_lo, s15
.LBB216_442:                            ;   in Loop: Header=BB216_15 Depth=1
	s_delay_alu instid0(SALU_CYCLE_1) | instskip(SKIP_2) | instid1(VALU_DEP_1)
	s_or_b32 exec_lo, exec_lo, s14
	v_lshrrev_b16 v1, 8, v0
	s_mov_b32 s14, exec_lo
	v_cmpx_ne_u16_e32 0, v1
	s_cbranch_execz .LBB216_450
; %bb.443:                              ;   in Loop: Header=BB216_15 Depth=1
	v_mov_b64_e32 v[2:3], 0x8000000000000000
	s_mov_b32 s15, exec_lo
	scratch_store_b64 off, v[2:3], s32 offset:668 ; 8-byte Folded Spill
	s_wait_xcnt 0x0
	v_cmpx_ne_u16_e32 0x80, v1
	s_cbranch_execz .LBB216_449
; %bb.444:                              ;   in Loop: Header=BB216_15 Depth=1
	v_and_b32_e32 v1, 0xffff, v1
	v_mov_b64_e32 v[4:5], 0x7f80000100000000
	s_mov_b32 s16, exec_lo
	s_delay_alu instid0(VALU_DEP_2)
	v_and_b32_e32 v2, 0x7f, v1
	scratch_store_b64 off, v[4:5], s32 offset:668 ; 8-byte Folded Spill
	s_wait_xcnt 0x0
	v_cmpx_ne_u32_e32 0x7f, v2
	s_cbranch_execz .LBB216_448
; %bb.445:                              ;   in Loop: Header=BB216_15 Depth=1
	scratch_load_b64 v[4:5], off, s32 offset:192 th:TH_LOAD_LU ; 8-byte Folded Reload
	s_wait_loadcnt 0x0
	v_dual_lshrrev_b32 v1, 3, v2 :: v_dual_bitop2_b32 v4, 7, v1 bitop3:0x40
	s_mov_b32 s17, exec_lo
	s_wait_xcnt 0x0
	v_cmpx_gt_u32_e32 8, v2
; %bb.446:                              ;   in Loop: Header=BB216_15 Depth=1
	s_delay_alu instid0(VALU_DEP_2) | instskip(NEXT) | instid1(VALU_DEP_1)
	v_clz_i32_u32_e32 v1, v4
	v_min_u32_e32 v1, 32, v1
	s_delay_alu instid0(VALU_DEP_1) | instskip(NEXT) | instid1(VALU_DEP_1)
	v_subrev_nc_u32_e32 v2, 28, v1
	v_lshlrev_b64_e32 v[2:3], v2, v[4:5]
	s_delay_alu instid0(VALU_DEP_1)
	v_dual_sub_nc_u32 v1, 29, v1 :: v_dual_bitop2_b32 v4, 7, v2 bitop3:0x40
; %bb.447:                              ;   in Loop: Header=BB216_15 Depth=1
	s_or_b32 exec_lo, exec_lo, s17
	v_lshlrev_b32_e32 v2, 16, v0
	s_delay_alu instid0(VALU_DEP_2) | instskip(NEXT) | instid1(VALU_DEP_3)
	v_lshlrev_b32_e32 v3, 20, v4
	v_lshl_add_u32 v1, v1, 23, 0x3c000000
	s_delay_alu instid0(VALU_DEP_3) | instskip(NEXT) | instid1(VALU_DEP_1)
	v_and_b32_e32 v2, 0x80000000, v2
	v_or3_b32 v3, v3, v2, v1
	v_dual_mov_b32 v1, v5 :: v_dual_mov_b32 v2, v5
	s_clause 0x1
	scratch_store_b64 off, v[0:1], s32 offset:192
	scratch_store_b64 off, v[2:3], s32 offset:668
.LBB216_448:                            ;   in Loop: Header=BB216_15 Depth=1
	s_wait_xcnt 0x0
	s_or_b32 exec_lo, exec_lo, s16
.LBB216_449:                            ;   in Loop: Header=BB216_15 Depth=1
	s_delay_alu instid0(SALU_CYCLE_1)
	s_or_b32 exec_lo, exec_lo, s15
.LBB216_450:                            ;   in Loop: Header=BB216_15 Depth=1
	s_delay_alu instid0(SALU_CYCLE_1) | instskip(SKIP_3) | instid1(VALU_DEP_1)
	s_or_b32 exec_lo, exec_lo, s14
	v_mov_b64_e32 v[4:5], 0
	v_lshrrev_b32_e32 v1, 16, v0
	s_mov_b32 s14, exec_lo
	v_and_b32_e32 v2, 0xff, v1
	scratch_store_b64 off, v[4:5], s32 offset:684 ; 8-byte Folded Spill
	s_wait_xcnt 0x0
	v_mov_b64_e32 v[4:5], 0
	scratch_store_b64 off, v[4:5], s32 offset:692 ; 8-byte Folded Spill
	s_wait_xcnt 0x0
	v_cmpx_ne_u16_e32 0, v2
	s_cbranch_execz .LBB216_458
; %bb.451:                              ;   in Loop: Header=BB216_15 Depth=1
	v_cmp_ne_u16_e64 s1, 0x80, v2
	v_mov_b64_e32 v[2:3], 0x80000000
	scratch_store_b64 off, v[2:3], s32 offset:692 ; 8-byte Folded Spill
	s_wait_xcnt 0x0
	s_and_saveexec_b32 s15, s1
	s_cbranch_execz .LBB216_457
; %bb.452:                              ;   in Loop: Header=BB216_15 Depth=1
	v_mov_b64_e32 v[4:5], 0x7f800001
	v_bfe_u32 v3, v0, 16, 7
	s_mov_b32 s16, exec_lo
	scratch_store_b64 off, v[4:5], s32 offset:692 ; 8-byte Folded Spill
	s_wait_xcnt 0x0
	v_cmpx_ne_u32_e32 0x7f, v3
	s_cbranch_execz .LBB216_456
; %bb.453:                              ;   in Loop: Header=BB216_15 Depth=1
	scratch_load_b64 v[6:7], off, s32 offset:192 th:TH_LOAD_LU ; 8-byte Folded Reload
	s_wait_loadcnt 0x0
	v_dual_lshrrev_b32 v2, 3, v3 :: v_dual_bitop2_b32 v6, 7, v1 bitop3:0x40
	s_mov_b32 s17, exec_lo
	s_wait_xcnt 0x0
	v_cmpx_gt_u32_e32 8, v3
; %bb.454:                              ;   in Loop: Header=BB216_15 Depth=1
	s_delay_alu instid0(VALU_DEP_2) | instskip(NEXT) | instid1(VALU_DEP_1)
	v_clz_i32_u32_e32 v2, v6
	v_min_u32_e32 v2, 32, v2
	s_delay_alu instid0(VALU_DEP_1) | instskip(NEXT) | instid1(VALU_DEP_1)
	v_subrev_nc_u32_e32 v3, 28, v2
	v_lshlrev_b64_e32 v[4:5], v3, v[6:7]
	s_delay_alu instid0(VALU_DEP_1)
	v_dual_sub_nc_u32 v2, 29, v2 :: v_dual_bitop2_b32 v6, 7, v4 bitop3:0x40
; %bb.455:                              ;   in Loop: Header=BB216_15 Depth=1
	s_or_b32 exec_lo, exec_lo, s17
	s_delay_alu instid0(VALU_DEP_1) | instskip(NEXT) | instid1(VALU_DEP_2)
	v_dual_lshlrev_b32 v1, 24, v1 :: v_dual_lshlrev_b32 v3, 20, v6
	v_lshl_add_u32 v2, v2, 23, 0x3c000000
	s_delay_alu instid0(VALU_DEP_2) | instskip(NEXT) | instid1(VALU_DEP_1)
	v_and_b32_e32 v1, 0x80000000, v1
	v_or3_b32 v6, v3, v1, v2
	v_mov_b32_e32 v1, v7
	s_clause 0x1
	scratch_store_b64 off, v[0:1], s32 offset:192
	scratch_store_b64 off, v[6:7], s32 offset:692
.LBB216_456:                            ;   in Loop: Header=BB216_15 Depth=1
	s_wait_xcnt 0x0
	s_or_b32 exec_lo, exec_lo, s16
.LBB216_457:                            ;   in Loop: Header=BB216_15 Depth=1
	s_delay_alu instid0(SALU_CYCLE_1)
	s_or_b32 exec_lo, exec_lo, s15
.LBB216_458:                            ;   in Loop: Header=BB216_15 Depth=1
	s_delay_alu instid0(SALU_CYCLE_1) | instskip(NEXT) | instid1(SALU_CYCLE_1)
	s_or_b32 exec_lo, exec_lo, s14
	s_mov_b32 s14, exec_lo
	v_cmpx_lt_u32_e32 0xffffff, v0
	s_cbranch_execz .LBB216_466
; %bb.459:                              ;   in Loop: Header=BB216_15 Depth=1
	v_mov_b64_e32 v[2:3], 0x8000000000000000
	v_lshrrev_b32_e32 v1, 24, v0
	s_mov_b32 s15, exec_lo
	scratch_store_b64 off, v[2:3], s32 offset:684 ; 8-byte Folded Spill
	s_wait_xcnt 0x0
	v_cmpx_ne_u32_e32 0x80, v1
	s_cbranch_execz .LBB216_465
; %bb.460:                              ;   in Loop: Header=BB216_15 Depth=1
	v_mov_b64_e32 v[4:5], 0x7f80000100000000
	v_bfe_u32 v2, v0, 24, 7
	s_mov_b32 s16, exec_lo
	scratch_store_b64 off, v[4:5], s32 offset:684 ; 8-byte Folded Spill
	s_wait_xcnt 0x0
	v_cmpx_ne_u32_e32 0x7f, v2
	s_cbranch_execz .LBB216_464
; %bb.461:                              ;   in Loop: Header=BB216_15 Depth=1
	scratch_load_b64 v[4:5], off, s32 offset:192 th:TH_LOAD_LU ; 8-byte Folded Reload
	s_wait_loadcnt 0x0
	v_dual_lshrrev_b32 v0, 3, v2 :: v_dual_bitop2_b32 v4, 7, v1 bitop3:0x40
	s_mov_b32 s17, exec_lo
	s_wait_xcnt 0x0
	v_cmpx_gt_u32_e32 8, v2
; %bb.462:                              ;   in Loop: Header=BB216_15 Depth=1
	s_delay_alu instid0(VALU_DEP_2) | instskip(NEXT) | instid1(VALU_DEP_1)
	v_clz_i32_u32_e32 v0, v4
	v_min_u32_e32 v0, 32, v0
	s_delay_alu instid0(VALU_DEP_1) | instskip(NEXT) | instid1(VALU_DEP_1)
	v_subrev_nc_u32_e32 v2, 28, v0
	v_lshlrev_b64_e32 v[2:3], v2, v[4:5]
	s_delay_alu instid0(VALU_DEP_1)
	v_dual_sub_nc_u32 v0, 29, v0 :: v_dual_bitop2_b32 v4, 7, v2 bitop3:0x40
; %bb.463:                              ;   in Loop: Header=BB216_15 Depth=1
	s_or_b32 exec_lo, exec_lo, s17
	s_delay_alu instid0(VALU_DEP_1) | instskip(NEXT) | instid1(VALU_DEP_2)
	v_dual_lshlrev_b32 v1, 24, v1 :: v_dual_lshlrev_b32 v2, 20, v4
	v_lshl_add_u32 v0, v0, 23, 0x3c000000
	s_delay_alu instid0(VALU_DEP_2) | instskip(NEXT) | instid1(VALU_DEP_1)
	v_and_b32_e32 v1, 0x80000000, v1
	v_or3_b32 v3, v2, v1, v0
	v_dual_mov_b32 v1, v5 :: v_dual_mov_b32 v2, v5
	s_clause 0x1
	scratch_store_b64 off, v[0:1], s32 offset:192
	scratch_store_b64 off, v[2:3], s32 offset:684
.LBB216_464:                            ;   in Loop: Header=BB216_15 Depth=1
	s_wait_xcnt 0x0
	s_or_b32 exec_lo, exec_lo, s16
.LBB216_465:                            ;   in Loop: Header=BB216_15 Depth=1
	s_delay_alu instid0(SALU_CYCLE_1)
	s_or_b32 exec_lo, exec_lo, s15
.LBB216_466:                            ;   in Loop: Header=BB216_15 Depth=1
	s_delay_alu instid0(SALU_CYCLE_1)
	s_or_b32 exec_lo, exec_lo, s14
	flat_load_b32 v0, v[84:85] offset:1544
	v_mov_b64_e32 v[2:3], 0
	s_mov_b32 s14, exec_lo
	scratch_store_b64 off, v[2:3], s32 offset:700 ; 8-byte Folded Spill
	s_wait_xcnt 0x0
	v_mov_b64_e32 v[2:3], 0
	scratch_store_b64 off, v[2:3], s32 offset:708 ; 8-byte Folded Spill
	s_wait_loadcnt_dscnt 0x0
	v_and_b32_e32 v1, 0xff, v0
	s_wait_xcnt 0x0
	s_delay_alu instid0(VALU_DEP_1)
	v_cmpx_ne_u16_e32 0, v1
	s_cbranch_execz .LBB216_474
; %bb.467:                              ;   in Loop: Header=BB216_15 Depth=1
	v_mov_b64_e32 v[2:3], 0x80000000
	s_mov_b32 s15, exec_lo
	scratch_store_b64 off, v[2:3], s32 offset:708 ; 8-byte Folded Spill
	s_wait_xcnt 0x0
	v_cmpx_ne_u16_e32 0x80, v1
	s_cbranch_execz .LBB216_473
; %bb.468:                              ;   in Loop: Header=BB216_15 Depth=1
	v_mov_b64_e32 v[4:5], 0x7f800001
	v_and_b32_e32 v2, 0x7f, v0
	s_mov_b32 s16, exec_lo
	scratch_store_b64 off, v[4:5], s32 offset:708 ; 8-byte Folded Spill
	s_wait_xcnt 0x0
	v_cmpx_ne_u32_e32 0x7f, v2
	s_cbranch_execz .LBB216_472
; %bb.469:                              ;   in Loop: Header=BB216_15 Depth=1
	scratch_load_b64 v[4:5], off, s32 offset:192 th:TH_LOAD_LU ; 8-byte Folded Reload
	s_wait_loadcnt 0x0
	v_dual_lshrrev_b32 v1, 3, v2 :: v_dual_bitop2_b32 v4, 7, v0 bitop3:0x40
	s_mov_b32 s17, exec_lo
	s_wait_xcnt 0x0
	v_cmpx_gt_u32_e32 8, v2
; %bb.470:                              ;   in Loop: Header=BB216_15 Depth=1
	s_delay_alu instid0(VALU_DEP_2) | instskip(NEXT) | instid1(VALU_DEP_1)
	v_clz_i32_u32_e32 v1, v4
	v_min_u32_e32 v1, 32, v1
	s_delay_alu instid0(VALU_DEP_1) | instskip(NEXT) | instid1(VALU_DEP_1)
	v_subrev_nc_u32_e32 v2, 28, v1
	v_lshlrev_b64_e32 v[2:3], v2, v[4:5]
	s_delay_alu instid0(VALU_DEP_1)
	v_dual_sub_nc_u32 v1, 29, v1 :: v_dual_bitop2_b32 v4, 7, v2 bitop3:0x40
; %bb.471:                              ;   in Loop: Header=BB216_15 Depth=1
	s_or_b32 exec_lo, exec_lo, s17
	v_lshlrev_b32_e32 v2, 24, v0
	s_delay_alu instid0(VALU_DEP_2) | instskip(NEXT) | instid1(VALU_DEP_3)
	v_lshlrev_b32_e32 v3, 20, v4
	v_lshl_add_u32 v1, v1, 23, 0x3c000000
	s_delay_alu instid0(VALU_DEP_3) | instskip(NEXT) | instid1(VALU_DEP_1)
	v_and_b32_e32 v2, 0x80000000, v2
	v_or3_b32 v4, v3, v2, v1
	v_mov_b32_e32 v1, v5
	s_clause 0x1
	scratch_store_b64 off, v[0:1], s32 offset:192
	scratch_store_b64 off, v[4:5], s32 offset:708
.LBB216_472:                            ;   in Loop: Header=BB216_15 Depth=1
	s_wait_xcnt 0x0
	s_or_b32 exec_lo, exec_lo, s16
.LBB216_473:                            ;   in Loop: Header=BB216_15 Depth=1
	s_delay_alu instid0(SALU_CYCLE_1)
	s_or_b32 exec_lo, exec_lo, s15
.LBB216_474:                            ;   in Loop: Header=BB216_15 Depth=1
	s_delay_alu instid0(SALU_CYCLE_1) | instskip(SKIP_2) | instid1(VALU_DEP_1)
	s_or_b32 exec_lo, exec_lo, s14
	v_lshrrev_b16 v1, 8, v0
	s_mov_b32 s14, exec_lo
	v_cmpx_ne_u16_e32 0, v1
	s_cbranch_execz .LBB216_482
; %bb.475:                              ;   in Loop: Header=BB216_15 Depth=1
	v_mov_b64_e32 v[2:3], 0x8000000000000000
	s_mov_b32 s15, exec_lo
	scratch_store_b64 off, v[2:3], s32 offset:700 ; 8-byte Folded Spill
	s_wait_xcnt 0x0
	v_cmpx_ne_u16_e32 0x80, v1
	s_cbranch_execz .LBB216_481
; %bb.476:                              ;   in Loop: Header=BB216_15 Depth=1
	v_and_b32_e32 v1, 0xffff, v1
	v_mov_b64_e32 v[4:5], 0x7f80000100000000
	s_mov_b32 s16, exec_lo
	s_delay_alu instid0(VALU_DEP_2)
	v_and_b32_e32 v2, 0x7f, v1
	scratch_store_b64 off, v[4:5], s32 offset:700 ; 8-byte Folded Spill
	s_wait_xcnt 0x0
	v_cmpx_ne_u32_e32 0x7f, v2
	s_cbranch_execz .LBB216_480
; %bb.477:                              ;   in Loop: Header=BB216_15 Depth=1
	scratch_load_b64 v[4:5], off, s32 offset:192 th:TH_LOAD_LU ; 8-byte Folded Reload
	s_wait_loadcnt 0x0
	v_dual_lshrrev_b32 v1, 3, v2 :: v_dual_bitop2_b32 v4, 7, v1 bitop3:0x40
	s_mov_b32 s17, exec_lo
	s_wait_xcnt 0x0
	v_cmpx_gt_u32_e32 8, v2
; %bb.478:                              ;   in Loop: Header=BB216_15 Depth=1
	s_delay_alu instid0(VALU_DEP_2) | instskip(NEXT) | instid1(VALU_DEP_1)
	v_clz_i32_u32_e32 v1, v4
	v_min_u32_e32 v1, 32, v1
	s_delay_alu instid0(VALU_DEP_1) | instskip(NEXT) | instid1(VALU_DEP_1)
	v_subrev_nc_u32_e32 v2, 28, v1
	v_lshlrev_b64_e32 v[2:3], v2, v[4:5]
	s_delay_alu instid0(VALU_DEP_1)
	v_dual_sub_nc_u32 v1, 29, v1 :: v_dual_bitop2_b32 v4, 7, v2 bitop3:0x40
; %bb.479:                              ;   in Loop: Header=BB216_15 Depth=1
	s_or_b32 exec_lo, exec_lo, s17
	v_lshlrev_b32_e32 v2, 16, v0
	s_delay_alu instid0(VALU_DEP_2) | instskip(NEXT) | instid1(VALU_DEP_3)
	v_lshlrev_b32_e32 v3, 20, v4
	v_lshl_add_u32 v1, v1, 23, 0x3c000000
	s_delay_alu instid0(VALU_DEP_3) | instskip(NEXT) | instid1(VALU_DEP_1)
	v_and_b32_e32 v2, 0x80000000, v2
	v_or3_b32 v3, v3, v2, v1
	v_dual_mov_b32 v1, v5 :: v_dual_mov_b32 v2, v5
	s_clause 0x1
	scratch_store_b64 off, v[0:1], s32 offset:192
	scratch_store_b64 off, v[2:3], s32 offset:700
.LBB216_480:                            ;   in Loop: Header=BB216_15 Depth=1
	s_wait_xcnt 0x0
	s_or_b32 exec_lo, exec_lo, s16
.LBB216_481:                            ;   in Loop: Header=BB216_15 Depth=1
	s_delay_alu instid0(SALU_CYCLE_1)
	s_or_b32 exec_lo, exec_lo, s15
.LBB216_482:                            ;   in Loop: Header=BB216_15 Depth=1
	s_delay_alu instid0(SALU_CYCLE_1) | instskip(SKIP_3) | instid1(VALU_DEP_1)
	s_or_b32 exec_lo, exec_lo, s14
	v_mov_b64_e32 v[4:5], 0
	v_lshrrev_b32_e32 v1, 16, v0
	s_mov_b32 s14, exec_lo
	v_and_b32_e32 v2, 0xff, v1
	scratch_store_b64 off, v[4:5], s32 offset:716 ; 8-byte Folded Spill
	s_wait_xcnt 0x0
	v_mov_b64_e32 v[4:5], 0
	scratch_store_b64 off, v[4:5], s32 offset:724 ; 8-byte Folded Spill
	s_wait_xcnt 0x0
	v_cmpx_ne_u16_e32 0, v2
	s_cbranch_execz .LBB216_490
; %bb.483:                              ;   in Loop: Header=BB216_15 Depth=1
	v_cmp_ne_u16_e64 s1, 0x80, v2
	v_mov_b64_e32 v[2:3], 0x80000000
	scratch_store_b64 off, v[2:3], s32 offset:724 ; 8-byte Folded Spill
	s_wait_xcnt 0x0
	s_and_saveexec_b32 s15, s1
	s_cbranch_execz .LBB216_489
; %bb.484:                              ;   in Loop: Header=BB216_15 Depth=1
	v_mov_b64_e32 v[4:5], 0x7f800001
	v_bfe_u32 v3, v0, 16, 7
	s_mov_b32 s16, exec_lo
	scratch_store_b64 off, v[4:5], s32 offset:724 ; 8-byte Folded Spill
	s_wait_xcnt 0x0
	v_cmpx_ne_u32_e32 0x7f, v3
	s_cbranch_execz .LBB216_488
; %bb.485:                              ;   in Loop: Header=BB216_15 Depth=1
	scratch_load_b64 v[6:7], off, s32 offset:192 th:TH_LOAD_LU ; 8-byte Folded Reload
	s_wait_loadcnt 0x0
	v_dual_lshrrev_b32 v2, 3, v3 :: v_dual_bitop2_b32 v6, 7, v1 bitop3:0x40
	s_mov_b32 s17, exec_lo
	s_wait_xcnt 0x0
	v_cmpx_gt_u32_e32 8, v3
; %bb.486:                              ;   in Loop: Header=BB216_15 Depth=1
	s_delay_alu instid0(VALU_DEP_2) | instskip(NEXT) | instid1(VALU_DEP_1)
	v_clz_i32_u32_e32 v2, v6
	v_min_u32_e32 v2, 32, v2
	s_delay_alu instid0(VALU_DEP_1) | instskip(NEXT) | instid1(VALU_DEP_1)
	v_subrev_nc_u32_e32 v3, 28, v2
	v_lshlrev_b64_e32 v[4:5], v3, v[6:7]
	s_delay_alu instid0(VALU_DEP_1)
	v_dual_sub_nc_u32 v2, 29, v2 :: v_dual_bitop2_b32 v6, 7, v4 bitop3:0x40
; %bb.487:                              ;   in Loop: Header=BB216_15 Depth=1
	s_or_b32 exec_lo, exec_lo, s17
	s_delay_alu instid0(VALU_DEP_1) | instskip(NEXT) | instid1(VALU_DEP_2)
	v_dual_lshlrev_b32 v1, 24, v1 :: v_dual_lshlrev_b32 v3, 20, v6
	v_lshl_add_u32 v2, v2, 23, 0x3c000000
	s_delay_alu instid0(VALU_DEP_2) | instskip(NEXT) | instid1(VALU_DEP_1)
	v_and_b32_e32 v1, 0x80000000, v1
	v_or3_b32 v6, v3, v1, v2
	v_mov_b32_e32 v1, v7
	s_clause 0x1
	scratch_store_b64 off, v[0:1], s32 offset:192
	scratch_store_b64 off, v[6:7], s32 offset:724
.LBB216_488:                            ;   in Loop: Header=BB216_15 Depth=1
	s_wait_xcnt 0x0
	s_or_b32 exec_lo, exec_lo, s16
.LBB216_489:                            ;   in Loop: Header=BB216_15 Depth=1
	s_delay_alu instid0(SALU_CYCLE_1)
	s_or_b32 exec_lo, exec_lo, s15
.LBB216_490:                            ;   in Loop: Header=BB216_15 Depth=1
	s_delay_alu instid0(SALU_CYCLE_1) | instskip(NEXT) | instid1(SALU_CYCLE_1)
	s_or_b32 exec_lo, exec_lo, s14
	s_mov_b32 s14, exec_lo
	v_cmpx_lt_u32_e32 0xffffff, v0
	s_cbranch_execz .LBB216_498
; %bb.491:                              ;   in Loop: Header=BB216_15 Depth=1
	v_mov_b64_e32 v[2:3], 0x8000000000000000
	v_lshrrev_b32_e32 v1, 24, v0
	s_mov_b32 s15, exec_lo
	scratch_store_b64 off, v[2:3], s32 offset:716 ; 8-byte Folded Spill
	s_wait_xcnt 0x0
	v_cmpx_ne_u32_e32 0x80, v1
	s_cbranch_execz .LBB216_497
; %bb.492:                              ;   in Loop: Header=BB216_15 Depth=1
	v_mov_b64_e32 v[4:5], 0x7f80000100000000
	v_bfe_u32 v2, v0, 24, 7
	s_mov_b32 s16, exec_lo
	scratch_store_b64 off, v[4:5], s32 offset:716 ; 8-byte Folded Spill
	s_wait_xcnt 0x0
	v_cmpx_ne_u32_e32 0x7f, v2
	s_cbranch_execz .LBB216_496
; %bb.493:                              ;   in Loop: Header=BB216_15 Depth=1
	scratch_load_b64 v[4:5], off, s32 offset:192 th:TH_LOAD_LU ; 8-byte Folded Reload
	s_wait_loadcnt 0x0
	v_dual_lshrrev_b32 v0, 3, v2 :: v_dual_bitop2_b32 v4, 7, v1 bitop3:0x40
	s_mov_b32 s17, exec_lo
	s_wait_xcnt 0x0
	v_cmpx_gt_u32_e32 8, v2
; %bb.494:                              ;   in Loop: Header=BB216_15 Depth=1
	s_delay_alu instid0(VALU_DEP_2) | instskip(NEXT) | instid1(VALU_DEP_1)
	v_clz_i32_u32_e32 v0, v4
	v_min_u32_e32 v0, 32, v0
	s_delay_alu instid0(VALU_DEP_1) | instskip(NEXT) | instid1(VALU_DEP_1)
	v_subrev_nc_u32_e32 v2, 28, v0
	v_lshlrev_b64_e32 v[2:3], v2, v[4:5]
	s_delay_alu instid0(VALU_DEP_1)
	v_dual_sub_nc_u32 v0, 29, v0 :: v_dual_bitop2_b32 v4, 7, v2 bitop3:0x40
; %bb.495:                              ;   in Loop: Header=BB216_15 Depth=1
	s_or_b32 exec_lo, exec_lo, s17
	s_delay_alu instid0(VALU_DEP_1) | instskip(NEXT) | instid1(VALU_DEP_2)
	v_dual_lshlrev_b32 v1, 24, v1 :: v_dual_lshlrev_b32 v2, 20, v4
	v_lshl_add_u32 v0, v0, 23, 0x3c000000
	s_delay_alu instid0(VALU_DEP_2) | instskip(NEXT) | instid1(VALU_DEP_1)
	v_and_b32_e32 v1, 0x80000000, v1
	v_or3_b32 v3, v2, v1, v0
	v_dual_mov_b32 v1, v5 :: v_dual_mov_b32 v2, v5
	s_clause 0x1
	scratch_store_b64 off, v[0:1], s32 offset:192
	scratch_store_b64 off, v[2:3], s32 offset:716
.LBB216_496:                            ;   in Loop: Header=BB216_15 Depth=1
	s_wait_xcnt 0x0
	s_or_b32 exec_lo, exec_lo, s16
.LBB216_497:                            ;   in Loop: Header=BB216_15 Depth=1
	s_delay_alu instid0(SALU_CYCLE_1)
	s_or_b32 exec_lo, exec_lo, s15
.LBB216_498:                            ;   in Loop: Header=BB216_15 Depth=1
	s_delay_alu instid0(SALU_CYCLE_1)
	s_or_b32 exec_lo, exec_lo, s14
	flat_load_b32 v0, v[84:85] offset:1548
	v_mov_b64_e32 v[2:3], 0
	s_mov_b32 s14, exec_lo
	scratch_store_b64 off, v[2:3], s32 offset:732 ; 8-byte Folded Spill
	s_wait_xcnt 0x0
	v_mov_b64_e32 v[2:3], 0
	scratch_store_b64 off, v[2:3], s32 offset:740 ; 8-byte Folded Spill
	s_wait_loadcnt_dscnt 0x0
	v_and_b32_e32 v1, 0xff, v0
	s_wait_xcnt 0x0
	s_delay_alu instid0(VALU_DEP_1)
	v_cmpx_ne_u16_e32 0, v1
	s_cbranch_execz .LBB216_506
; %bb.499:                              ;   in Loop: Header=BB216_15 Depth=1
	v_mov_b64_e32 v[2:3], 0x80000000
	s_mov_b32 s15, exec_lo
	scratch_store_b64 off, v[2:3], s32 offset:740 ; 8-byte Folded Spill
	s_wait_xcnt 0x0
	v_cmpx_ne_u16_e32 0x80, v1
	s_cbranch_execz .LBB216_505
; %bb.500:                              ;   in Loop: Header=BB216_15 Depth=1
	v_mov_b64_e32 v[4:5], 0x7f800001
	v_and_b32_e32 v2, 0x7f, v0
	s_mov_b32 s16, exec_lo
	scratch_store_b64 off, v[4:5], s32 offset:740 ; 8-byte Folded Spill
	s_wait_xcnt 0x0
	v_cmpx_ne_u32_e32 0x7f, v2
	s_cbranch_execz .LBB216_504
; %bb.501:                              ;   in Loop: Header=BB216_15 Depth=1
	scratch_load_b64 v[4:5], off, s32 offset:192 th:TH_LOAD_LU ; 8-byte Folded Reload
	s_wait_loadcnt 0x0
	v_dual_lshrrev_b32 v1, 3, v2 :: v_dual_bitop2_b32 v4, 7, v0 bitop3:0x40
	s_mov_b32 s17, exec_lo
	s_wait_xcnt 0x0
	v_cmpx_gt_u32_e32 8, v2
; %bb.502:                              ;   in Loop: Header=BB216_15 Depth=1
	s_delay_alu instid0(VALU_DEP_2) | instskip(NEXT) | instid1(VALU_DEP_1)
	v_clz_i32_u32_e32 v1, v4
	v_min_u32_e32 v1, 32, v1
	s_delay_alu instid0(VALU_DEP_1) | instskip(NEXT) | instid1(VALU_DEP_1)
	v_subrev_nc_u32_e32 v2, 28, v1
	v_lshlrev_b64_e32 v[2:3], v2, v[4:5]
	s_delay_alu instid0(VALU_DEP_1)
	v_dual_sub_nc_u32 v1, 29, v1 :: v_dual_bitop2_b32 v4, 7, v2 bitop3:0x40
; %bb.503:                              ;   in Loop: Header=BB216_15 Depth=1
	s_or_b32 exec_lo, exec_lo, s17
	v_lshlrev_b32_e32 v2, 24, v0
	s_delay_alu instid0(VALU_DEP_2) | instskip(NEXT) | instid1(VALU_DEP_3)
	v_lshlrev_b32_e32 v3, 20, v4
	v_lshl_add_u32 v1, v1, 23, 0x3c000000
	s_delay_alu instid0(VALU_DEP_3) | instskip(NEXT) | instid1(VALU_DEP_1)
	v_and_b32_e32 v2, 0x80000000, v2
	v_or3_b32 v4, v3, v2, v1
	v_mov_b32_e32 v1, v5
	s_clause 0x1
	scratch_store_b64 off, v[0:1], s32 offset:192
	scratch_store_b64 off, v[4:5], s32 offset:740
.LBB216_504:                            ;   in Loop: Header=BB216_15 Depth=1
	s_wait_xcnt 0x0
	s_or_b32 exec_lo, exec_lo, s16
.LBB216_505:                            ;   in Loop: Header=BB216_15 Depth=1
	s_delay_alu instid0(SALU_CYCLE_1)
	s_or_b32 exec_lo, exec_lo, s15
.LBB216_506:                            ;   in Loop: Header=BB216_15 Depth=1
	s_delay_alu instid0(SALU_CYCLE_1) | instskip(SKIP_2) | instid1(VALU_DEP_1)
	s_or_b32 exec_lo, exec_lo, s14
	v_lshrrev_b16 v1, 8, v0
	s_mov_b32 s14, exec_lo
	v_cmpx_ne_u16_e32 0, v1
	s_cbranch_execz .LBB216_514
; %bb.507:                              ;   in Loop: Header=BB216_15 Depth=1
	v_mov_b64_e32 v[2:3], 0x8000000000000000
	s_mov_b32 s15, exec_lo
	scratch_store_b64 off, v[2:3], s32 offset:732 ; 8-byte Folded Spill
	s_wait_xcnt 0x0
	v_cmpx_ne_u16_e32 0x80, v1
	s_cbranch_execz .LBB216_513
; %bb.508:                              ;   in Loop: Header=BB216_15 Depth=1
	v_and_b32_e32 v1, 0xffff, v1
	v_mov_b64_e32 v[4:5], 0x7f80000100000000
	s_mov_b32 s16, exec_lo
	s_delay_alu instid0(VALU_DEP_2)
	v_and_b32_e32 v2, 0x7f, v1
	scratch_store_b64 off, v[4:5], s32 offset:732 ; 8-byte Folded Spill
	s_wait_xcnt 0x0
	v_cmpx_ne_u32_e32 0x7f, v2
	s_cbranch_execz .LBB216_512
; %bb.509:                              ;   in Loop: Header=BB216_15 Depth=1
	scratch_load_b64 v[4:5], off, s32 offset:192 th:TH_LOAD_LU ; 8-byte Folded Reload
	s_wait_loadcnt 0x0
	v_dual_lshrrev_b32 v1, 3, v2 :: v_dual_bitop2_b32 v4, 7, v1 bitop3:0x40
	s_mov_b32 s17, exec_lo
	s_wait_xcnt 0x0
	v_cmpx_gt_u32_e32 8, v2
; %bb.510:                              ;   in Loop: Header=BB216_15 Depth=1
	s_delay_alu instid0(VALU_DEP_2) | instskip(NEXT) | instid1(VALU_DEP_1)
	v_clz_i32_u32_e32 v1, v4
	v_min_u32_e32 v1, 32, v1
	s_delay_alu instid0(VALU_DEP_1) | instskip(NEXT) | instid1(VALU_DEP_1)
	v_subrev_nc_u32_e32 v2, 28, v1
	v_lshlrev_b64_e32 v[2:3], v2, v[4:5]
	s_delay_alu instid0(VALU_DEP_1)
	v_dual_sub_nc_u32 v1, 29, v1 :: v_dual_bitop2_b32 v4, 7, v2 bitop3:0x40
; %bb.511:                              ;   in Loop: Header=BB216_15 Depth=1
	s_or_b32 exec_lo, exec_lo, s17
	v_lshlrev_b32_e32 v2, 16, v0
	s_delay_alu instid0(VALU_DEP_2) | instskip(NEXT) | instid1(VALU_DEP_3)
	v_lshlrev_b32_e32 v3, 20, v4
	v_lshl_add_u32 v1, v1, 23, 0x3c000000
	s_delay_alu instid0(VALU_DEP_3) | instskip(NEXT) | instid1(VALU_DEP_1)
	v_and_b32_e32 v2, 0x80000000, v2
	v_or3_b32 v3, v3, v2, v1
	v_dual_mov_b32 v1, v5 :: v_dual_mov_b32 v2, v5
	s_clause 0x1
	scratch_store_b64 off, v[0:1], s32 offset:192
	scratch_store_b64 off, v[2:3], s32 offset:732
.LBB216_512:                            ;   in Loop: Header=BB216_15 Depth=1
	s_wait_xcnt 0x0
	s_or_b32 exec_lo, exec_lo, s16
.LBB216_513:                            ;   in Loop: Header=BB216_15 Depth=1
	s_delay_alu instid0(SALU_CYCLE_1)
	s_or_b32 exec_lo, exec_lo, s15
.LBB216_514:                            ;   in Loop: Header=BB216_15 Depth=1
	s_delay_alu instid0(SALU_CYCLE_1) | instskip(SKIP_3) | instid1(VALU_DEP_1)
	s_or_b32 exec_lo, exec_lo, s14
	v_mov_b64_e32 v[4:5], 0
	v_lshrrev_b32_e32 v1, 16, v0
	s_mov_b32 s14, exec_lo
	v_and_b32_e32 v2, 0xff, v1
	scratch_store_b64 off, v[4:5], s32 offset:748 ; 8-byte Folded Spill
	s_wait_xcnt 0x0
	v_mov_b64_e32 v[4:5], 0
	scratch_store_b64 off, v[4:5], s32 offset:756 ; 8-byte Folded Spill
	s_wait_xcnt 0x0
	v_cmpx_ne_u16_e32 0, v2
	s_cbranch_execz .LBB216_522
; %bb.515:                              ;   in Loop: Header=BB216_15 Depth=1
	v_cmp_ne_u16_e64 s1, 0x80, v2
	v_mov_b64_e32 v[2:3], 0x80000000
	scratch_store_b64 off, v[2:3], s32 offset:756 ; 8-byte Folded Spill
	s_wait_xcnt 0x0
	s_and_saveexec_b32 s15, s1
	s_cbranch_execz .LBB216_521
; %bb.516:                              ;   in Loop: Header=BB216_15 Depth=1
	v_mov_b64_e32 v[4:5], 0x7f800001
	v_bfe_u32 v3, v0, 16, 7
	s_mov_b32 s16, exec_lo
	scratch_store_b64 off, v[4:5], s32 offset:756 ; 8-byte Folded Spill
	s_wait_xcnt 0x0
	v_cmpx_ne_u32_e32 0x7f, v3
	s_cbranch_execz .LBB216_520
; %bb.517:                              ;   in Loop: Header=BB216_15 Depth=1
	scratch_load_b64 v[6:7], off, s32 offset:192 th:TH_LOAD_LU ; 8-byte Folded Reload
	s_wait_loadcnt 0x0
	v_dual_lshrrev_b32 v2, 3, v3 :: v_dual_bitop2_b32 v6, 7, v1 bitop3:0x40
	s_mov_b32 s17, exec_lo
	s_wait_xcnt 0x0
	v_cmpx_gt_u32_e32 8, v3
; %bb.518:                              ;   in Loop: Header=BB216_15 Depth=1
	s_delay_alu instid0(VALU_DEP_2) | instskip(NEXT) | instid1(VALU_DEP_1)
	v_clz_i32_u32_e32 v2, v6
	v_min_u32_e32 v2, 32, v2
	s_delay_alu instid0(VALU_DEP_1) | instskip(NEXT) | instid1(VALU_DEP_1)
	v_subrev_nc_u32_e32 v3, 28, v2
	v_lshlrev_b64_e32 v[4:5], v3, v[6:7]
	s_delay_alu instid0(VALU_DEP_1)
	v_dual_sub_nc_u32 v2, 29, v2 :: v_dual_bitop2_b32 v6, 7, v4 bitop3:0x40
; %bb.519:                              ;   in Loop: Header=BB216_15 Depth=1
	s_or_b32 exec_lo, exec_lo, s17
	s_delay_alu instid0(VALU_DEP_1) | instskip(NEXT) | instid1(VALU_DEP_2)
	v_dual_lshlrev_b32 v1, 24, v1 :: v_dual_lshlrev_b32 v3, 20, v6
	v_lshl_add_u32 v2, v2, 23, 0x3c000000
	s_delay_alu instid0(VALU_DEP_2) | instskip(NEXT) | instid1(VALU_DEP_1)
	v_and_b32_e32 v1, 0x80000000, v1
	v_or3_b32 v6, v3, v1, v2
	v_mov_b32_e32 v1, v7
	s_clause 0x1
	scratch_store_b64 off, v[0:1], s32 offset:192
	scratch_store_b64 off, v[6:7], s32 offset:756
.LBB216_520:                            ;   in Loop: Header=BB216_15 Depth=1
	s_wait_xcnt 0x0
	s_or_b32 exec_lo, exec_lo, s16
.LBB216_521:                            ;   in Loop: Header=BB216_15 Depth=1
	s_delay_alu instid0(SALU_CYCLE_1)
	s_or_b32 exec_lo, exec_lo, s15
.LBB216_522:                            ;   in Loop: Header=BB216_15 Depth=1
	s_delay_alu instid0(SALU_CYCLE_1) | instskip(NEXT) | instid1(SALU_CYCLE_1)
	s_or_b32 exec_lo, exec_lo, s14
	s_mov_b32 s14, exec_lo
	v_cmpx_lt_u32_e32 0xffffff, v0
	s_cbranch_execz .LBB216_530
; %bb.523:                              ;   in Loop: Header=BB216_15 Depth=1
	v_mov_b64_e32 v[2:3], 0x8000000000000000
	v_lshrrev_b32_e32 v1, 24, v0
	s_mov_b32 s15, exec_lo
	scratch_store_b64 off, v[2:3], s32 offset:748 ; 8-byte Folded Spill
	s_wait_xcnt 0x0
	v_cmpx_ne_u32_e32 0x80, v1
	s_cbranch_execz .LBB216_529
; %bb.524:                              ;   in Loop: Header=BB216_15 Depth=1
	v_mov_b64_e32 v[4:5], 0x7f80000100000000
	v_bfe_u32 v2, v0, 24, 7
	s_mov_b32 s16, exec_lo
	scratch_store_b64 off, v[4:5], s32 offset:748 ; 8-byte Folded Spill
	s_wait_xcnt 0x0
	v_cmpx_ne_u32_e32 0x7f, v2
	s_cbranch_execz .LBB216_528
; %bb.525:                              ;   in Loop: Header=BB216_15 Depth=1
	scratch_load_b64 v[4:5], off, s32 offset:192 th:TH_LOAD_LU ; 8-byte Folded Reload
	s_wait_loadcnt 0x0
	v_dual_lshrrev_b32 v0, 3, v2 :: v_dual_bitop2_b32 v4, 7, v1 bitop3:0x40
	s_mov_b32 s17, exec_lo
	s_wait_xcnt 0x0
	v_cmpx_gt_u32_e32 8, v2
; %bb.526:                              ;   in Loop: Header=BB216_15 Depth=1
	s_delay_alu instid0(VALU_DEP_2) | instskip(NEXT) | instid1(VALU_DEP_1)
	v_clz_i32_u32_e32 v0, v4
	v_min_u32_e32 v0, 32, v0
	s_delay_alu instid0(VALU_DEP_1) | instskip(NEXT) | instid1(VALU_DEP_1)
	v_subrev_nc_u32_e32 v2, 28, v0
	v_lshlrev_b64_e32 v[2:3], v2, v[4:5]
	s_delay_alu instid0(VALU_DEP_1)
	v_dual_sub_nc_u32 v0, 29, v0 :: v_dual_bitop2_b32 v4, 7, v2 bitop3:0x40
; %bb.527:                              ;   in Loop: Header=BB216_15 Depth=1
	s_or_b32 exec_lo, exec_lo, s17
	s_delay_alu instid0(VALU_DEP_1) | instskip(NEXT) | instid1(VALU_DEP_2)
	v_dual_lshlrev_b32 v1, 24, v1 :: v_dual_lshlrev_b32 v2, 20, v4
	v_lshl_add_u32 v0, v0, 23, 0x3c000000
	s_delay_alu instid0(VALU_DEP_2) | instskip(NEXT) | instid1(VALU_DEP_1)
	v_and_b32_e32 v1, 0x80000000, v1
	v_or3_b32 v3, v2, v1, v0
	v_dual_mov_b32 v1, v5 :: v_dual_mov_b32 v2, v5
	s_clause 0x1
	scratch_store_b64 off, v[0:1], s32 offset:192
	scratch_store_b64 off, v[2:3], s32 offset:748
.LBB216_528:                            ;   in Loop: Header=BB216_15 Depth=1
	s_wait_xcnt 0x0
	s_or_b32 exec_lo, exec_lo, s16
.LBB216_529:                            ;   in Loop: Header=BB216_15 Depth=1
	s_delay_alu instid0(SALU_CYCLE_1)
	s_or_b32 exec_lo, exec_lo, s15
.LBB216_530:                            ;   in Loop: Header=BB216_15 Depth=1
	s_delay_alu instid0(SALU_CYCLE_1)
	s_or_b32 exec_lo, exec_lo, s14
	flat_load_b32 v0, v[84:85] offset:2048
	v_mov_b64_e32 v[2:3], 0
	s_mov_b32 s14, exec_lo
	scratch_store_b64 off, v[2:3], s32 offset:764 ; 8-byte Folded Spill
	s_wait_xcnt 0x0
	v_mov_b64_e32 v[2:3], 0
	scratch_store_b64 off, v[2:3], s32 offset:772 ; 8-byte Folded Spill
	s_wait_loadcnt_dscnt 0x0
	v_and_b32_e32 v1, 0xff, v0
	s_wait_xcnt 0x0
	s_delay_alu instid0(VALU_DEP_1)
	v_cmpx_ne_u16_e32 0, v1
	s_cbranch_execz .LBB216_538
; %bb.531:                              ;   in Loop: Header=BB216_15 Depth=1
	v_mov_b64_e32 v[2:3], 0x80000000
	s_mov_b32 s15, exec_lo
	scratch_store_b64 off, v[2:3], s32 offset:772 ; 8-byte Folded Spill
	s_wait_xcnt 0x0
	v_cmpx_ne_u16_e32 0x80, v1
	s_cbranch_execz .LBB216_537
; %bb.532:                              ;   in Loop: Header=BB216_15 Depth=1
	v_mov_b64_e32 v[4:5], 0x7f800001
	v_and_b32_e32 v2, 0x7f, v0
	s_mov_b32 s16, exec_lo
	scratch_store_b64 off, v[4:5], s32 offset:772 ; 8-byte Folded Spill
	s_wait_xcnt 0x0
	v_cmpx_ne_u32_e32 0x7f, v2
	s_cbranch_execz .LBB216_536
; %bb.533:                              ;   in Loop: Header=BB216_15 Depth=1
	scratch_load_b64 v[4:5], off, s32 offset:192 th:TH_LOAD_LU ; 8-byte Folded Reload
	s_wait_loadcnt 0x0
	v_dual_lshrrev_b32 v1, 3, v2 :: v_dual_bitop2_b32 v4, 7, v0 bitop3:0x40
	s_mov_b32 s17, exec_lo
	s_wait_xcnt 0x0
	v_cmpx_gt_u32_e32 8, v2
; %bb.534:                              ;   in Loop: Header=BB216_15 Depth=1
	s_delay_alu instid0(VALU_DEP_2) | instskip(NEXT) | instid1(VALU_DEP_1)
	v_clz_i32_u32_e32 v1, v4
	v_min_u32_e32 v1, 32, v1
	s_delay_alu instid0(VALU_DEP_1) | instskip(NEXT) | instid1(VALU_DEP_1)
	v_subrev_nc_u32_e32 v2, 28, v1
	v_lshlrev_b64_e32 v[2:3], v2, v[4:5]
	s_delay_alu instid0(VALU_DEP_1)
	v_dual_sub_nc_u32 v1, 29, v1 :: v_dual_bitop2_b32 v4, 7, v2 bitop3:0x40
; %bb.535:                              ;   in Loop: Header=BB216_15 Depth=1
	s_or_b32 exec_lo, exec_lo, s17
	v_lshlrev_b32_e32 v2, 24, v0
	s_delay_alu instid0(VALU_DEP_2) | instskip(NEXT) | instid1(VALU_DEP_3)
	v_lshlrev_b32_e32 v3, 20, v4
	v_lshl_add_u32 v1, v1, 23, 0x3c000000
	s_delay_alu instid0(VALU_DEP_3) | instskip(NEXT) | instid1(VALU_DEP_1)
	v_and_b32_e32 v2, 0x80000000, v2
	v_or3_b32 v4, v3, v2, v1
	v_mov_b32_e32 v1, v5
	s_clause 0x1
	scratch_store_b64 off, v[0:1], s32 offset:192
	scratch_store_b64 off, v[4:5], s32 offset:772
.LBB216_536:                            ;   in Loop: Header=BB216_15 Depth=1
	s_wait_xcnt 0x0
	s_or_b32 exec_lo, exec_lo, s16
.LBB216_537:                            ;   in Loop: Header=BB216_15 Depth=1
	s_delay_alu instid0(SALU_CYCLE_1)
	s_or_b32 exec_lo, exec_lo, s15
.LBB216_538:                            ;   in Loop: Header=BB216_15 Depth=1
	s_delay_alu instid0(SALU_CYCLE_1) | instskip(SKIP_2) | instid1(VALU_DEP_1)
	s_or_b32 exec_lo, exec_lo, s14
	v_lshrrev_b16 v1, 8, v0
	s_mov_b32 s14, exec_lo
	v_cmpx_ne_u16_e32 0, v1
	s_cbranch_execz .LBB216_546
; %bb.539:                              ;   in Loop: Header=BB216_15 Depth=1
	v_mov_b64_e32 v[2:3], 0x8000000000000000
	s_mov_b32 s15, exec_lo
	scratch_store_b64 off, v[2:3], s32 offset:764 ; 8-byte Folded Spill
	s_wait_xcnt 0x0
	v_cmpx_ne_u16_e32 0x80, v1
	s_cbranch_execz .LBB216_545
; %bb.540:                              ;   in Loop: Header=BB216_15 Depth=1
	v_and_b32_e32 v1, 0xffff, v1
	v_mov_b64_e32 v[4:5], 0x7f80000100000000
	s_mov_b32 s16, exec_lo
	s_delay_alu instid0(VALU_DEP_2)
	v_and_b32_e32 v2, 0x7f, v1
	scratch_store_b64 off, v[4:5], s32 offset:764 ; 8-byte Folded Spill
	s_wait_xcnt 0x0
	v_cmpx_ne_u32_e32 0x7f, v2
	s_cbranch_execz .LBB216_544
; %bb.541:                              ;   in Loop: Header=BB216_15 Depth=1
	scratch_load_b64 v[4:5], off, s32 offset:192 th:TH_LOAD_LU ; 8-byte Folded Reload
	s_wait_loadcnt 0x0
	v_dual_lshrrev_b32 v1, 3, v2 :: v_dual_bitop2_b32 v4, 7, v1 bitop3:0x40
	s_mov_b32 s17, exec_lo
	s_wait_xcnt 0x0
	v_cmpx_gt_u32_e32 8, v2
; %bb.542:                              ;   in Loop: Header=BB216_15 Depth=1
	s_delay_alu instid0(VALU_DEP_2) | instskip(NEXT) | instid1(VALU_DEP_1)
	v_clz_i32_u32_e32 v1, v4
	v_min_u32_e32 v1, 32, v1
	s_delay_alu instid0(VALU_DEP_1) | instskip(NEXT) | instid1(VALU_DEP_1)
	v_subrev_nc_u32_e32 v2, 28, v1
	v_lshlrev_b64_e32 v[2:3], v2, v[4:5]
	s_delay_alu instid0(VALU_DEP_1)
	v_dual_sub_nc_u32 v1, 29, v1 :: v_dual_bitop2_b32 v4, 7, v2 bitop3:0x40
; %bb.543:                              ;   in Loop: Header=BB216_15 Depth=1
	s_or_b32 exec_lo, exec_lo, s17
	v_lshlrev_b32_e32 v2, 16, v0
	s_delay_alu instid0(VALU_DEP_2) | instskip(NEXT) | instid1(VALU_DEP_3)
	v_lshlrev_b32_e32 v3, 20, v4
	v_lshl_add_u32 v1, v1, 23, 0x3c000000
	s_delay_alu instid0(VALU_DEP_3) | instskip(NEXT) | instid1(VALU_DEP_1)
	v_and_b32_e32 v2, 0x80000000, v2
	v_or3_b32 v3, v3, v2, v1
	v_dual_mov_b32 v1, v5 :: v_dual_mov_b32 v2, v5
	s_clause 0x1
	scratch_store_b64 off, v[0:1], s32 offset:192
	scratch_store_b64 off, v[2:3], s32 offset:764
.LBB216_544:                            ;   in Loop: Header=BB216_15 Depth=1
	s_wait_xcnt 0x0
	s_or_b32 exec_lo, exec_lo, s16
.LBB216_545:                            ;   in Loop: Header=BB216_15 Depth=1
	s_delay_alu instid0(SALU_CYCLE_1)
	s_or_b32 exec_lo, exec_lo, s15
.LBB216_546:                            ;   in Loop: Header=BB216_15 Depth=1
	s_delay_alu instid0(SALU_CYCLE_1) | instskip(SKIP_3) | instid1(VALU_DEP_1)
	s_or_b32 exec_lo, exec_lo, s14
	v_mov_b64_e32 v[4:5], 0
	v_lshrrev_b32_e32 v1, 16, v0
	s_mov_b32 s14, exec_lo
	v_and_b32_e32 v2, 0xff, v1
	scratch_store_b64 off, v[4:5], s32 offset:780 ; 8-byte Folded Spill
	s_wait_xcnt 0x0
	v_mov_b64_e32 v[4:5], 0
	scratch_store_b64 off, v[4:5], s32 offset:788 ; 8-byte Folded Spill
	s_wait_xcnt 0x0
	v_cmpx_ne_u16_e32 0, v2
	s_cbranch_execz .LBB216_554
; %bb.547:                              ;   in Loop: Header=BB216_15 Depth=1
	v_cmp_ne_u16_e64 s1, 0x80, v2
	v_mov_b64_e32 v[2:3], 0x80000000
	scratch_store_b64 off, v[2:3], s32 offset:788 ; 8-byte Folded Spill
	s_wait_xcnt 0x0
	s_and_saveexec_b32 s15, s1
	s_cbranch_execz .LBB216_553
; %bb.548:                              ;   in Loop: Header=BB216_15 Depth=1
	v_mov_b64_e32 v[4:5], 0x7f800001
	v_bfe_u32 v3, v0, 16, 7
	s_mov_b32 s16, exec_lo
	scratch_store_b64 off, v[4:5], s32 offset:788 ; 8-byte Folded Spill
	s_wait_xcnt 0x0
	v_cmpx_ne_u32_e32 0x7f, v3
	s_cbranch_execz .LBB216_552
; %bb.549:                              ;   in Loop: Header=BB216_15 Depth=1
	scratch_load_b64 v[6:7], off, s32 offset:192 th:TH_LOAD_LU ; 8-byte Folded Reload
	s_wait_loadcnt 0x0
	v_dual_lshrrev_b32 v2, 3, v3 :: v_dual_bitop2_b32 v6, 7, v1 bitop3:0x40
	s_mov_b32 s17, exec_lo
	s_wait_xcnt 0x0
	v_cmpx_gt_u32_e32 8, v3
; %bb.550:                              ;   in Loop: Header=BB216_15 Depth=1
	s_delay_alu instid0(VALU_DEP_2) | instskip(NEXT) | instid1(VALU_DEP_1)
	v_clz_i32_u32_e32 v2, v6
	v_min_u32_e32 v2, 32, v2
	s_delay_alu instid0(VALU_DEP_1) | instskip(NEXT) | instid1(VALU_DEP_1)
	v_subrev_nc_u32_e32 v3, 28, v2
	v_lshlrev_b64_e32 v[4:5], v3, v[6:7]
	s_delay_alu instid0(VALU_DEP_1)
	v_dual_sub_nc_u32 v2, 29, v2 :: v_dual_bitop2_b32 v6, 7, v4 bitop3:0x40
; %bb.551:                              ;   in Loop: Header=BB216_15 Depth=1
	s_or_b32 exec_lo, exec_lo, s17
	s_delay_alu instid0(VALU_DEP_1) | instskip(NEXT) | instid1(VALU_DEP_2)
	v_dual_lshlrev_b32 v1, 24, v1 :: v_dual_lshlrev_b32 v3, 20, v6
	v_lshl_add_u32 v2, v2, 23, 0x3c000000
	s_delay_alu instid0(VALU_DEP_2) | instskip(NEXT) | instid1(VALU_DEP_1)
	v_and_b32_e32 v1, 0x80000000, v1
	v_or3_b32 v6, v3, v1, v2
	v_mov_b32_e32 v1, v7
	s_clause 0x1
	scratch_store_b64 off, v[0:1], s32 offset:192
	scratch_store_b64 off, v[6:7], s32 offset:788
.LBB216_552:                            ;   in Loop: Header=BB216_15 Depth=1
	s_wait_xcnt 0x0
	s_or_b32 exec_lo, exec_lo, s16
.LBB216_553:                            ;   in Loop: Header=BB216_15 Depth=1
	s_delay_alu instid0(SALU_CYCLE_1)
	s_or_b32 exec_lo, exec_lo, s15
.LBB216_554:                            ;   in Loop: Header=BB216_15 Depth=1
	s_delay_alu instid0(SALU_CYCLE_1) | instskip(NEXT) | instid1(SALU_CYCLE_1)
	s_or_b32 exec_lo, exec_lo, s14
	s_mov_b32 s14, exec_lo
	v_cmpx_lt_u32_e32 0xffffff, v0
	s_cbranch_execz .LBB216_562
; %bb.555:                              ;   in Loop: Header=BB216_15 Depth=1
	v_mov_b64_e32 v[2:3], 0x8000000000000000
	v_lshrrev_b32_e32 v1, 24, v0
	s_mov_b32 s15, exec_lo
	scratch_store_b64 off, v[2:3], s32 offset:780 ; 8-byte Folded Spill
	s_wait_xcnt 0x0
	v_cmpx_ne_u32_e32 0x80, v1
	s_cbranch_execz .LBB216_561
; %bb.556:                              ;   in Loop: Header=BB216_15 Depth=1
	v_mov_b64_e32 v[4:5], 0x7f80000100000000
	v_bfe_u32 v2, v0, 24, 7
	s_mov_b32 s16, exec_lo
	scratch_store_b64 off, v[4:5], s32 offset:780 ; 8-byte Folded Spill
	s_wait_xcnt 0x0
	v_cmpx_ne_u32_e32 0x7f, v2
	s_cbranch_execz .LBB216_560
; %bb.557:                              ;   in Loop: Header=BB216_15 Depth=1
	scratch_load_b64 v[4:5], off, s32 offset:192 th:TH_LOAD_LU ; 8-byte Folded Reload
	s_wait_loadcnt 0x0
	v_dual_lshrrev_b32 v0, 3, v2 :: v_dual_bitop2_b32 v4, 7, v1 bitop3:0x40
	s_mov_b32 s17, exec_lo
	s_wait_xcnt 0x0
	v_cmpx_gt_u32_e32 8, v2
; %bb.558:                              ;   in Loop: Header=BB216_15 Depth=1
	s_delay_alu instid0(VALU_DEP_2) | instskip(NEXT) | instid1(VALU_DEP_1)
	v_clz_i32_u32_e32 v0, v4
	v_min_u32_e32 v0, 32, v0
	s_delay_alu instid0(VALU_DEP_1) | instskip(NEXT) | instid1(VALU_DEP_1)
	v_subrev_nc_u32_e32 v2, 28, v0
	v_lshlrev_b64_e32 v[2:3], v2, v[4:5]
	s_delay_alu instid0(VALU_DEP_1)
	v_dual_sub_nc_u32 v0, 29, v0 :: v_dual_bitop2_b32 v4, 7, v2 bitop3:0x40
; %bb.559:                              ;   in Loop: Header=BB216_15 Depth=1
	s_or_b32 exec_lo, exec_lo, s17
	s_delay_alu instid0(VALU_DEP_1) | instskip(NEXT) | instid1(VALU_DEP_2)
	v_dual_lshlrev_b32 v1, 24, v1 :: v_dual_lshlrev_b32 v2, 20, v4
	v_lshl_add_u32 v0, v0, 23, 0x3c000000
	s_delay_alu instid0(VALU_DEP_2) | instskip(NEXT) | instid1(VALU_DEP_1)
	v_and_b32_e32 v1, 0x80000000, v1
	v_or3_b32 v3, v2, v1, v0
	v_dual_mov_b32 v1, v5 :: v_dual_mov_b32 v2, v5
	s_clause 0x1
	scratch_store_b64 off, v[0:1], s32 offset:192
	scratch_store_b64 off, v[2:3], s32 offset:780
.LBB216_560:                            ;   in Loop: Header=BB216_15 Depth=1
	s_wait_xcnt 0x0
	s_or_b32 exec_lo, exec_lo, s16
.LBB216_561:                            ;   in Loop: Header=BB216_15 Depth=1
	s_delay_alu instid0(SALU_CYCLE_1)
	s_or_b32 exec_lo, exec_lo, s15
.LBB216_562:                            ;   in Loop: Header=BB216_15 Depth=1
	s_delay_alu instid0(SALU_CYCLE_1)
	s_or_b32 exec_lo, exec_lo, s14
	flat_load_b32 v0, v[84:85] offset:2052
	v_mov_b64_e32 v[2:3], 0
	s_mov_b32 s14, exec_lo
	scratch_store_b64 off, v[2:3], s32 offset:796 ; 8-byte Folded Spill
	s_wait_xcnt 0x0
	v_mov_b64_e32 v[2:3], 0
	scratch_store_b64 off, v[2:3], s32 offset:804 ; 8-byte Folded Spill
	s_wait_loadcnt_dscnt 0x0
	v_and_b32_e32 v1, 0xff, v0
	s_wait_xcnt 0x0
	s_delay_alu instid0(VALU_DEP_1)
	v_cmpx_ne_u16_e32 0, v1
	s_cbranch_execz .LBB216_570
; %bb.563:                              ;   in Loop: Header=BB216_15 Depth=1
	v_mov_b64_e32 v[2:3], 0x80000000
	s_mov_b32 s15, exec_lo
	scratch_store_b64 off, v[2:3], s32 offset:804 ; 8-byte Folded Spill
	s_wait_xcnt 0x0
	v_cmpx_ne_u16_e32 0x80, v1
	s_cbranch_execz .LBB216_569
; %bb.564:                              ;   in Loop: Header=BB216_15 Depth=1
	v_mov_b64_e32 v[4:5], 0x7f800001
	v_and_b32_e32 v2, 0x7f, v0
	s_mov_b32 s16, exec_lo
	scratch_store_b64 off, v[4:5], s32 offset:804 ; 8-byte Folded Spill
	s_wait_xcnt 0x0
	v_cmpx_ne_u32_e32 0x7f, v2
	s_cbranch_execz .LBB216_568
; %bb.565:                              ;   in Loop: Header=BB216_15 Depth=1
	scratch_load_b64 v[4:5], off, s32 offset:192 th:TH_LOAD_LU ; 8-byte Folded Reload
	s_wait_loadcnt 0x0
	v_dual_lshrrev_b32 v1, 3, v2 :: v_dual_bitop2_b32 v4, 7, v0 bitop3:0x40
	s_mov_b32 s17, exec_lo
	s_wait_xcnt 0x0
	v_cmpx_gt_u32_e32 8, v2
; %bb.566:                              ;   in Loop: Header=BB216_15 Depth=1
	s_delay_alu instid0(VALU_DEP_2) | instskip(NEXT) | instid1(VALU_DEP_1)
	v_clz_i32_u32_e32 v1, v4
	v_min_u32_e32 v1, 32, v1
	s_delay_alu instid0(VALU_DEP_1) | instskip(NEXT) | instid1(VALU_DEP_1)
	v_subrev_nc_u32_e32 v2, 28, v1
	v_lshlrev_b64_e32 v[2:3], v2, v[4:5]
	s_delay_alu instid0(VALU_DEP_1)
	v_dual_sub_nc_u32 v1, 29, v1 :: v_dual_bitop2_b32 v4, 7, v2 bitop3:0x40
; %bb.567:                              ;   in Loop: Header=BB216_15 Depth=1
	s_or_b32 exec_lo, exec_lo, s17
	v_lshlrev_b32_e32 v2, 24, v0
	s_delay_alu instid0(VALU_DEP_2) | instskip(NEXT) | instid1(VALU_DEP_3)
	v_lshlrev_b32_e32 v3, 20, v4
	v_lshl_add_u32 v1, v1, 23, 0x3c000000
	s_delay_alu instid0(VALU_DEP_3) | instskip(NEXT) | instid1(VALU_DEP_1)
	v_and_b32_e32 v2, 0x80000000, v2
	v_or3_b32 v4, v3, v2, v1
	v_mov_b32_e32 v1, v5
	s_clause 0x1
	scratch_store_b64 off, v[0:1], s32 offset:192
	scratch_store_b64 off, v[4:5], s32 offset:804
.LBB216_568:                            ;   in Loop: Header=BB216_15 Depth=1
	s_wait_xcnt 0x0
	s_or_b32 exec_lo, exec_lo, s16
.LBB216_569:                            ;   in Loop: Header=BB216_15 Depth=1
	s_delay_alu instid0(SALU_CYCLE_1)
	s_or_b32 exec_lo, exec_lo, s15
.LBB216_570:                            ;   in Loop: Header=BB216_15 Depth=1
	s_delay_alu instid0(SALU_CYCLE_1) | instskip(SKIP_2) | instid1(VALU_DEP_1)
	s_or_b32 exec_lo, exec_lo, s14
	v_lshrrev_b16 v1, 8, v0
	s_mov_b32 s14, exec_lo
	v_cmpx_ne_u16_e32 0, v1
	s_cbranch_execz .LBB216_578
; %bb.571:                              ;   in Loop: Header=BB216_15 Depth=1
	v_mov_b64_e32 v[2:3], 0x8000000000000000
	s_mov_b32 s15, exec_lo
	scratch_store_b64 off, v[2:3], s32 offset:796 ; 8-byte Folded Spill
	s_wait_xcnt 0x0
	v_cmpx_ne_u16_e32 0x80, v1
	s_cbranch_execz .LBB216_577
; %bb.572:                              ;   in Loop: Header=BB216_15 Depth=1
	v_and_b32_e32 v1, 0xffff, v1
	v_mov_b64_e32 v[4:5], 0x7f80000100000000
	s_mov_b32 s16, exec_lo
	s_delay_alu instid0(VALU_DEP_2)
	v_and_b32_e32 v2, 0x7f, v1
	scratch_store_b64 off, v[4:5], s32 offset:796 ; 8-byte Folded Spill
	s_wait_xcnt 0x0
	v_cmpx_ne_u32_e32 0x7f, v2
	s_cbranch_execz .LBB216_576
; %bb.573:                              ;   in Loop: Header=BB216_15 Depth=1
	scratch_load_b64 v[4:5], off, s32 offset:192 th:TH_LOAD_LU ; 8-byte Folded Reload
	s_wait_loadcnt 0x0
	v_dual_lshrrev_b32 v1, 3, v2 :: v_dual_bitop2_b32 v4, 7, v1 bitop3:0x40
	s_mov_b32 s17, exec_lo
	s_wait_xcnt 0x0
	v_cmpx_gt_u32_e32 8, v2
; %bb.574:                              ;   in Loop: Header=BB216_15 Depth=1
	s_delay_alu instid0(VALU_DEP_2) | instskip(NEXT) | instid1(VALU_DEP_1)
	v_clz_i32_u32_e32 v1, v4
	v_min_u32_e32 v1, 32, v1
	s_delay_alu instid0(VALU_DEP_1) | instskip(NEXT) | instid1(VALU_DEP_1)
	v_subrev_nc_u32_e32 v2, 28, v1
	v_lshlrev_b64_e32 v[2:3], v2, v[4:5]
	s_delay_alu instid0(VALU_DEP_1)
	v_dual_sub_nc_u32 v1, 29, v1 :: v_dual_bitop2_b32 v4, 7, v2 bitop3:0x40
; %bb.575:                              ;   in Loop: Header=BB216_15 Depth=1
	s_or_b32 exec_lo, exec_lo, s17
	v_lshlrev_b32_e32 v2, 16, v0
	s_delay_alu instid0(VALU_DEP_2) | instskip(NEXT) | instid1(VALU_DEP_3)
	v_lshlrev_b32_e32 v3, 20, v4
	v_lshl_add_u32 v1, v1, 23, 0x3c000000
	s_delay_alu instid0(VALU_DEP_3) | instskip(NEXT) | instid1(VALU_DEP_1)
	v_and_b32_e32 v2, 0x80000000, v2
	v_or3_b32 v3, v3, v2, v1
	v_dual_mov_b32 v1, v5 :: v_dual_mov_b32 v2, v5
	s_clause 0x1
	scratch_store_b64 off, v[0:1], s32 offset:192
	scratch_store_b64 off, v[2:3], s32 offset:796
.LBB216_576:                            ;   in Loop: Header=BB216_15 Depth=1
	s_wait_xcnt 0x0
	s_or_b32 exec_lo, exec_lo, s16
.LBB216_577:                            ;   in Loop: Header=BB216_15 Depth=1
	s_delay_alu instid0(SALU_CYCLE_1)
	s_or_b32 exec_lo, exec_lo, s15
.LBB216_578:                            ;   in Loop: Header=BB216_15 Depth=1
	s_delay_alu instid0(SALU_CYCLE_1) | instskip(SKIP_3) | instid1(VALU_DEP_1)
	s_or_b32 exec_lo, exec_lo, s14
	v_mov_b64_e32 v[4:5], 0
	v_lshrrev_b32_e32 v1, 16, v0
	s_mov_b32 s14, exec_lo
	v_and_b32_e32 v2, 0xff, v1
	scratch_store_b64 off, v[4:5], s32 offset:812 ; 8-byte Folded Spill
	s_wait_xcnt 0x0
	v_mov_b64_e32 v[4:5], 0
	scratch_store_b64 off, v[4:5], s32 offset:820 ; 8-byte Folded Spill
	s_wait_xcnt 0x0
	v_cmpx_ne_u16_e32 0, v2
	s_cbranch_execz .LBB216_586
; %bb.579:                              ;   in Loop: Header=BB216_15 Depth=1
	v_cmp_ne_u16_e64 s1, 0x80, v2
	v_mov_b64_e32 v[2:3], 0x80000000
	scratch_store_b64 off, v[2:3], s32 offset:820 ; 8-byte Folded Spill
	s_wait_xcnt 0x0
	s_and_saveexec_b32 s15, s1
	s_cbranch_execz .LBB216_585
; %bb.580:                              ;   in Loop: Header=BB216_15 Depth=1
	v_mov_b64_e32 v[4:5], 0x7f800001
	v_bfe_u32 v3, v0, 16, 7
	s_mov_b32 s16, exec_lo
	scratch_store_b64 off, v[4:5], s32 offset:820 ; 8-byte Folded Spill
	s_wait_xcnt 0x0
	v_cmpx_ne_u32_e32 0x7f, v3
	s_cbranch_execz .LBB216_584
; %bb.581:                              ;   in Loop: Header=BB216_15 Depth=1
	scratch_load_b64 v[6:7], off, s32 offset:192 th:TH_LOAD_LU ; 8-byte Folded Reload
	s_wait_loadcnt 0x0
	v_dual_lshrrev_b32 v2, 3, v3 :: v_dual_bitop2_b32 v6, 7, v1 bitop3:0x40
	s_mov_b32 s17, exec_lo
	s_wait_xcnt 0x0
	v_cmpx_gt_u32_e32 8, v3
; %bb.582:                              ;   in Loop: Header=BB216_15 Depth=1
	s_delay_alu instid0(VALU_DEP_2) | instskip(NEXT) | instid1(VALU_DEP_1)
	v_clz_i32_u32_e32 v2, v6
	v_min_u32_e32 v2, 32, v2
	s_delay_alu instid0(VALU_DEP_1) | instskip(NEXT) | instid1(VALU_DEP_1)
	v_subrev_nc_u32_e32 v3, 28, v2
	v_lshlrev_b64_e32 v[4:5], v3, v[6:7]
	s_delay_alu instid0(VALU_DEP_1)
	v_dual_sub_nc_u32 v2, 29, v2 :: v_dual_bitop2_b32 v6, 7, v4 bitop3:0x40
; %bb.583:                              ;   in Loop: Header=BB216_15 Depth=1
	s_or_b32 exec_lo, exec_lo, s17
	s_delay_alu instid0(VALU_DEP_1) | instskip(NEXT) | instid1(VALU_DEP_2)
	v_dual_lshlrev_b32 v1, 24, v1 :: v_dual_lshlrev_b32 v3, 20, v6
	v_lshl_add_u32 v2, v2, 23, 0x3c000000
	s_delay_alu instid0(VALU_DEP_2) | instskip(NEXT) | instid1(VALU_DEP_1)
	v_and_b32_e32 v1, 0x80000000, v1
	v_or3_b32 v6, v3, v1, v2
	v_mov_b32_e32 v1, v7
	s_clause 0x1
	scratch_store_b64 off, v[0:1], s32 offset:192
	scratch_store_b64 off, v[6:7], s32 offset:820
.LBB216_584:                            ;   in Loop: Header=BB216_15 Depth=1
	s_wait_xcnt 0x0
	s_or_b32 exec_lo, exec_lo, s16
.LBB216_585:                            ;   in Loop: Header=BB216_15 Depth=1
	s_delay_alu instid0(SALU_CYCLE_1)
	s_or_b32 exec_lo, exec_lo, s15
.LBB216_586:                            ;   in Loop: Header=BB216_15 Depth=1
	s_delay_alu instid0(SALU_CYCLE_1) | instskip(NEXT) | instid1(SALU_CYCLE_1)
	s_or_b32 exec_lo, exec_lo, s14
	s_mov_b32 s14, exec_lo
	v_cmpx_lt_u32_e32 0xffffff, v0
	s_cbranch_execz .LBB216_594
; %bb.587:                              ;   in Loop: Header=BB216_15 Depth=1
	v_mov_b64_e32 v[2:3], 0x8000000000000000
	v_lshrrev_b32_e32 v1, 24, v0
	s_mov_b32 s15, exec_lo
	scratch_store_b64 off, v[2:3], s32 offset:812 ; 8-byte Folded Spill
	s_wait_xcnt 0x0
	v_cmpx_ne_u32_e32 0x80, v1
	s_cbranch_execz .LBB216_593
; %bb.588:                              ;   in Loop: Header=BB216_15 Depth=1
	v_mov_b64_e32 v[4:5], 0x7f80000100000000
	v_bfe_u32 v2, v0, 24, 7
	s_mov_b32 s16, exec_lo
	scratch_store_b64 off, v[4:5], s32 offset:812 ; 8-byte Folded Spill
	s_wait_xcnt 0x0
	v_cmpx_ne_u32_e32 0x7f, v2
	s_cbranch_execz .LBB216_592
; %bb.589:                              ;   in Loop: Header=BB216_15 Depth=1
	scratch_load_b64 v[4:5], off, s32 offset:192 th:TH_LOAD_LU ; 8-byte Folded Reload
	s_wait_loadcnt 0x0
	v_dual_lshrrev_b32 v0, 3, v2 :: v_dual_bitop2_b32 v4, 7, v1 bitop3:0x40
	s_mov_b32 s17, exec_lo
	s_wait_xcnt 0x0
	v_cmpx_gt_u32_e32 8, v2
; %bb.590:                              ;   in Loop: Header=BB216_15 Depth=1
	s_delay_alu instid0(VALU_DEP_2) | instskip(NEXT) | instid1(VALU_DEP_1)
	v_clz_i32_u32_e32 v0, v4
	v_min_u32_e32 v0, 32, v0
	s_delay_alu instid0(VALU_DEP_1) | instskip(NEXT) | instid1(VALU_DEP_1)
	v_subrev_nc_u32_e32 v2, 28, v0
	v_lshlrev_b64_e32 v[2:3], v2, v[4:5]
	s_delay_alu instid0(VALU_DEP_1)
	v_dual_sub_nc_u32 v0, 29, v0 :: v_dual_bitop2_b32 v4, 7, v2 bitop3:0x40
; %bb.591:                              ;   in Loop: Header=BB216_15 Depth=1
	s_or_b32 exec_lo, exec_lo, s17
	s_delay_alu instid0(VALU_DEP_1) | instskip(NEXT) | instid1(VALU_DEP_2)
	v_dual_lshlrev_b32 v1, 24, v1 :: v_dual_lshlrev_b32 v2, 20, v4
	v_lshl_add_u32 v0, v0, 23, 0x3c000000
	s_delay_alu instid0(VALU_DEP_2) | instskip(NEXT) | instid1(VALU_DEP_1)
	v_and_b32_e32 v1, 0x80000000, v1
	v_or3_b32 v3, v2, v1, v0
	v_dual_mov_b32 v1, v5 :: v_dual_mov_b32 v2, v5
	s_clause 0x1
	scratch_store_b64 off, v[0:1], s32 offset:192
	scratch_store_b64 off, v[2:3], s32 offset:812
.LBB216_592:                            ;   in Loop: Header=BB216_15 Depth=1
	s_wait_xcnt 0x0
	s_or_b32 exec_lo, exec_lo, s16
.LBB216_593:                            ;   in Loop: Header=BB216_15 Depth=1
	s_delay_alu instid0(SALU_CYCLE_1)
	s_or_b32 exec_lo, exec_lo, s15
.LBB216_594:                            ;   in Loop: Header=BB216_15 Depth=1
	s_delay_alu instid0(SALU_CYCLE_1)
	s_or_b32 exec_lo, exec_lo, s14
	flat_load_b32 v0, v[84:85] offset:2056
	v_mov_b64_e32 v[2:3], 0
	s_mov_b32 s14, exec_lo
	scratch_store_b64 off, v[2:3], s32 offset:828 ; 8-byte Folded Spill
	s_wait_xcnt 0x0
	v_mov_b64_e32 v[2:3], 0
	scratch_store_b64 off, v[2:3], s32 offset:836 ; 8-byte Folded Spill
	s_wait_loadcnt_dscnt 0x0
	v_and_b32_e32 v1, 0xff, v0
	s_wait_xcnt 0x0
	s_delay_alu instid0(VALU_DEP_1)
	v_cmpx_ne_u16_e32 0, v1
	s_cbranch_execz .LBB216_602
; %bb.595:                              ;   in Loop: Header=BB216_15 Depth=1
	v_mov_b64_e32 v[2:3], 0x80000000
	s_mov_b32 s15, exec_lo
	scratch_store_b64 off, v[2:3], s32 offset:836 ; 8-byte Folded Spill
	s_wait_xcnt 0x0
	v_cmpx_ne_u16_e32 0x80, v1
	s_cbranch_execz .LBB216_601
; %bb.596:                              ;   in Loop: Header=BB216_15 Depth=1
	v_mov_b64_e32 v[4:5], 0x7f800001
	v_and_b32_e32 v2, 0x7f, v0
	s_mov_b32 s16, exec_lo
	scratch_store_b64 off, v[4:5], s32 offset:836 ; 8-byte Folded Spill
	s_wait_xcnt 0x0
	v_cmpx_ne_u32_e32 0x7f, v2
	s_cbranch_execz .LBB216_600
; %bb.597:                              ;   in Loop: Header=BB216_15 Depth=1
	scratch_load_b64 v[4:5], off, s32 offset:192 th:TH_LOAD_LU ; 8-byte Folded Reload
	s_wait_loadcnt 0x0
	v_dual_lshrrev_b32 v1, 3, v2 :: v_dual_bitop2_b32 v4, 7, v0 bitop3:0x40
	s_mov_b32 s17, exec_lo
	s_wait_xcnt 0x0
	v_cmpx_gt_u32_e32 8, v2
; %bb.598:                              ;   in Loop: Header=BB216_15 Depth=1
	s_delay_alu instid0(VALU_DEP_2) | instskip(NEXT) | instid1(VALU_DEP_1)
	v_clz_i32_u32_e32 v1, v4
	v_min_u32_e32 v1, 32, v1
	s_delay_alu instid0(VALU_DEP_1) | instskip(NEXT) | instid1(VALU_DEP_1)
	v_subrev_nc_u32_e32 v2, 28, v1
	v_lshlrev_b64_e32 v[2:3], v2, v[4:5]
	s_delay_alu instid0(VALU_DEP_1)
	v_dual_sub_nc_u32 v1, 29, v1 :: v_dual_bitop2_b32 v4, 7, v2 bitop3:0x40
; %bb.599:                              ;   in Loop: Header=BB216_15 Depth=1
	s_or_b32 exec_lo, exec_lo, s17
	v_lshlrev_b32_e32 v2, 24, v0
	s_delay_alu instid0(VALU_DEP_2) | instskip(NEXT) | instid1(VALU_DEP_3)
	v_lshlrev_b32_e32 v3, 20, v4
	v_lshl_add_u32 v1, v1, 23, 0x3c000000
	s_delay_alu instid0(VALU_DEP_3) | instskip(NEXT) | instid1(VALU_DEP_1)
	v_and_b32_e32 v2, 0x80000000, v2
	v_or3_b32 v4, v3, v2, v1
	v_mov_b32_e32 v1, v5
	s_clause 0x1
	scratch_store_b64 off, v[0:1], s32 offset:192
	scratch_store_b64 off, v[4:5], s32 offset:836
.LBB216_600:                            ;   in Loop: Header=BB216_15 Depth=1
	s_wait_xcnt 0x0
	s_or_b32 exec_lo, exec_lo, s16
.LBB216_601:                            ;   in Loop: Header=BB216_15 Depth=1
	s_delay_alu instid0(SALU_CYCLE_1)
	s_or_b32 exec_lo, exec_lo, s15
.LBB216_602:                            ;   in Loop: Header=BB216_15 Depth=1
	s_delay_alu instid0(SALU_CYCLE_1) | instskip(SKIP_2) | instid1(VALU_DEP_1)
	s_or_b32 exec_lo, exec_lo, s14
	v_lshrrev_b16 v1, 8, v0
	s_mov_b32 s14, exec_lo
	v_cmpx_ne_u16_e32 0, v1
	s_cbranch_execz .LBB216_610
; %bb.603:                              ;   in Loop: Header=BB216_15 Depth=1
	v_mov_b64_e32 v[2:3], 0x8000000000000000
	s_mov_b32 s15, exec_lo
	scratch_store_b64 off, v[2:3], s32 offset:828 ; 8-byte Folded Spill
	s_wait_xcnt 0x0
	v_cmpx_ne_u16_e32 0x80, v1
	s_cbranch_execz .LBB216_609
; %bb.604:                              ;   in Loop: Header=BB216_15 Depth=1
	v_and_b32_e32 v1, 0xffff, v1
	v_mov_b64_e32 v[4:5], 0x7f80000100000000
	s_mov_b32 s16, exec_lo
	s_delay_alu instid0(VALU_DEP_2)
	v_and_b32_e32 v2, 0x7f, v1
	scratch_store_b64 off, v[4:5], s32 offset:828 ; 8-byte Folded Spill
	s_wait_xcnt 0x0
	v_cmpx_ne_u32_e32 0x7f, v2
	s_cbranch_execz .LBB216_608
; %bb.605:                              ;   in Loop: Header=BB216_15 Depth=1
	scratch_load_b64 v[4:5], off, s32 offset:192 th:TH_LOAD_LU ; 8-byte Folded Reload
	s_wait_loadcnt 0x0
	v_dual_lshrrev_b32 v1, 3, v2 :: v_dual_bitop2_b32 v4, 7, v1 bitop3:0x40
	s_mov_b32 s17, exec_lo
	s_wait_xcnt 0x0
	v_cmpx_gt_u32_e32 8, v2
; %bb.606:                              ;   in Loop: Header=BB216_15 Depth=1
	s_delay_alu instid0(VALU_DEP_2) | instskip(NEXT) | instid1(VALU_DEP_1)
	v_clz_i32_u32_e32 v1, v4
	v_min_u32_e32 v1, 32, v1
	s_delay_alu instid0(VALU_DEP_1) | instskip(NEXT) | instid1(VALU_DEP_1)
	v_subrev_nc_u32_e32 v2, 28, v1
	v_lshlrev_b64_e32 v[2:3], v2, v[4:5]
	s_delay_alu instid0(VALU_DEP_1)
	v_dual_sub_nc_u32 v1, 29, v1 :: v_dual_bitop2_b32 v4, 7, v2 bitop3:0x40
; %bb.607:                              ;   in Loop: Header=BB216_15 Depth=1
	s_or_b32 exec_lo, exec_lo, s17
	v_lshlrev_b32_e32 v2, 16, v0
	s_delay_alu instid0(VALU_DEP_2) | instskip(NEXT) | instid1(VALU_DEP_3)
	v_lshlrev_b32_e32 v3, 20, v4
	v_lshl_add_u32 v1, v1, 23, 0x3c000000
	s_delay_alu instid0(VALU_DEP_3) | instskip(NEXT) | instid1(VALU_DEP_1)
	v_and_b32_e32 v2, 0x80000000, v2
	v_or3_b32 v3, v3, v2, v1
	v_dual_mov_b32 v1, v5 :: v_dual_mov_b32 v2, v5
	s_clause 0x1
	scratch_store_b64 off, v[0:1], s32 offset:192
	scratch_store_b64 off, v[2:3], s32 offset:828
.LBB216_608:                            ;   in Loop: Header=BB216_15 Depth=1
	s_wait_xcnt 0x0
	s_or_b32 exec_lo, exec_lo, s16
.LBB216_609:                            ;   in Loop: Header=BB216_15 Depth=1
	s_delay_alu instid0(SALU_CYCLE_1)
	s_or_b32 exec_lo, exec_lo, s15
.LBB216_610:                            ;   in Loop: Header=BB216_15 Depth=1
	s_delay_alu instid0(SALU_CYCLE_1) | instskip(SKIP_3) | instid1(VALU_DEP_1)
	s_or_b32 exec_lo, exec_lo, s14
	v_mov_b64_e32 v[4:5], 0
	v_lshrrev_b32_e32 v1, 16, v0
	s_mov_b32 s14, exec_lo
	v_and_b32_e32 v2, 0xff, v1
	scratch_store_b64 off, v[4:5], s32 offset:844 ; 8-byte Folded Spill
	s_wait_xcnt 0x0
	v_mov_b64_e32 v[4:5], 0
	scratch_store_b64 off, v[4:5], s32 offset:852 ; 8-byte Folded Spill
	s_wait_xcnt 0x0
	v_cmpx_ne_u16_e32 0, v2
	s_cbranch_execz .LBB216_618
; %bb.611:                              ;   in Loop: Header=BB216_15 Depth=1
	v_cmp_ne_u16_e64 s1, 0x80, v2
	v_mov_b64_e32 v[2:3], 0x80000000
	scratch_store_b64 off, v[2:3], s32 offset:852 ; 8-byte Folded Spill
	s_wait_xcnt 0x0
	s_and_saveexec_b32 s15, s1
	s_cbranch_execz .LBB216_617
; %bb.612:                              ;   in Loop: Header=BB216_15 Depth=1
	v_mov_b64_e32 v[4:5], 0x7f800001
	v_bfe_u32 v3, v0, 16, 7
	s_mov_b32 s16, exec_lo
	scratch_store_b64 off, v[4:5], s32 offset:852 ; 8-byte Folded Spill
	s_wait_xcnt 0x0
	v_cmpx_ne_u32_e32 0x7f, v3
	s_cbranch_execz .LBB216_616
; %bb.613:                              ;   in Loop: Header=BB216_15 Depth=1
	scratch_load_b64 v[6:7], off, s32 offset:192 th:TH_LOAD_LU ; 8-byte Folded Reload
	s_wait_loadcnt 0x0
	v_dual_lshrrev_b32 v2, 3, v3 :: v_dual_bitop2_b32 v6, 7, v1 bitop3:0x40
	s_mov_b32 s17, exec_lo
	s_wait_xcnt 0x0
	v_cmpx_gt_u32_e32 8, v3
; %bb.614:                              ;   in Loop: Header=BB216_15 Depth=1
	s_delay_alu instid0(VALU_DEP_2) | instskip(NEXT) | instid1(VALU_DEP_1)
	v_clz_i32_u32_e32 v2, v6
	v_min_u32_e32 v2, 32, v2
	s_delay_alu instid0(VALU_DEP_1) | instskip(NEXT) | instid1(VALU_DEP_1)
	v_subrev_nc_u32_e32 v3, 28, v2
	v_lshlrev_b64_e32 v[4:5], v3, v[6:7]
	s_delay_alu instid0(VALU_DEP_1)
	v_dual_sub_nc_u32 v2, 29, v2 :: v_dual_bitop2_b32 v6, 7, v4 bitop3:0x40
; %bb.615:                              ;   in Loop: Header=BB216_15 Depth=1
	s_or_b32 exec_lo, exec_lo, s17
	s_delay_alu instid0(VALU_DEP_1) | instskip(NEXT) | instid1(VALU_DEP_2)
	v_dual_lshlrev_b32 v1, 24, v1 :: v_dual_lshlrev_b32 v3, 20, v6
	v_lshl_add_u32 v2, v2, 23, 0x3c000000
	s_delay_alu instid0(VALU_DEP_2) | instskip(NEXT) | instid1(VALU_DEP_1)
	v_and_b32_e32 v1, 0x80000000, v1
	v_or3_b32 v6, v3, v1, v2
	v_mov_b32_e32 v1, v7
	s_clause 0x1
	scratch_store_b64 off, v[0:1], s32 offset:192
	scratch_store_b64 off, v[6:7], s32 offset:852
.LBB216_616:                            ;   in Loop: Header=BB216_15 Depth=1
	s_wait_xcnt 0x0
	s_or_b32 exec_lo, exec_lo, s16
.LBB216_617:                            ;   in Loop: Header=BB216_15 Depth=1
	s_delay_alu instid0(SALU_CYCLE_1)
	s_or_b32 exec_lo, exec_lo, s15
.LBB216_618:                            ;   in Loop: Header=BB216_15 Depth=1
	s_delay_alu instid0(SALU_CYCLE_1) | instskip(NEXT) | instid1(SALU_CYCLE_1)
	s_or_b32 exec_lo, exec_lo, s14
	s_mov_b32 s14, exec_lo
	v_cmpx_lt_u32_e32 0xffffff, v0
	s_cbranch_execz .LBB216_626
; %bb.619:                              ;   in Loop: Header=BB216_15 Depth=1
	v_mov_b64_e32 v[2:3], 0x8000000000000000
	v_lshrrev_b32_e32 v1, 24, v0
	s_mov_b32 s15, exec_lo
	scratch_store_b64 off, v[2:3], s32 offset:844 ; 8-byte Folded Spill
	s_wait_xcnt 0x0
	v_cmpx_ne_u32_e32 0x80, v1
	s_cbranch_execz .LBB216_625
; %bb.620:                              ;   in Loop: Header=BB216_15 Depth=1
	v_mov_b64_e32 v[4:5], 0x7f80000100000000
	v_bfe_u32 v2, v0, 24, 7
	s_mov_b32 s16, exec_lo
	scratch_store_b64 off, v[4:5], s32 offset:844 ; 8-byte Folded Spill
	s_wait_xcnt 0x0
	v_cmpx_ne_u32_e32 0x7f, v2
	s_cbranch_execz .LBB216_624
; %bb.621:                              ;   in Loop: Header=BB216_15 Depth=1
	scratch_load_b64 v[4:5], off, s32 offset:192 th:TH_LOAD_LU ; 8-byte Folded Reload
	s_wait_loadcnt 0x0
	v_dual_lshrrev_b32 v0, 3, v2 :: v_dual_bitop2_b32 v4, 7, v1 bitop3:0x40
	s_mov_b32 s17, exec_lo
	s_wait_xcnt 0x0
	v_cmpx_gt_u32_e32 8, v2
; %bb.622:                              ;   in Loop: Header=BB216_15 Depth=1
	s_delay_alu instid0(VALU_DEP_2) | instskip(NEXT) | instid1(VALU_DEP_1)
	v_clz_i32_u32_e32 v0, v4
	v_min_u32_e32 v0, 32, v0
	s_delay_alu instid0(VALU_DEP_1) | instskip(NEXT) | instid1(VALU_DEP_1)
	v_subrev_nc_u32_e32 v2, 28, v0
	v_lshlrev_b64_e32 v[2:3], v2, v[4:5]
	s_delay_alu instid0(VALU_DEP_1)
	v_dual_sub_nc_u32 v0, 29, v0 :: v_dual_bitop2_b32 v4, 7, v2 bitop3:0x40
; %bb.623:                              ;   in Loop: Header=BB216_15 Depth=1
	s_or_b32 exec_lo, exec_lo, s17
	s_delay_alu instid0(VALU_DEP_1) | instskip(NEXT) | instid1(VALU_DEP_2)
	v_dual_lshlrev_b32 v1, 24, v1 :: v_dual_lshlrev_b32 v2, 20, v4
	v_lshl_add_u32 v0, v0, 23, 0x3c000000
	s_delay_alu instid0(VALU_DEP_2) | instskip(NEXT) | instid1(VALU_DEP_1)
	v_and_b32_e32 v1, 0x80000000, v1
	v_or3_b32 v3, v2, v1, v0
	v_dual_mov_b32 v1, v5 :: v_dual_mov_b32 v2, v5
	s_clause 0x1
	scratch_store_b64 off, v[0:1], s32 offset:192
	scratch_store_b64 off, v[2:3], s32 offset:844
.LBB216_624:                            ;   in Loop: Header=BB216_15 Depth=1
	s_wait_xcnt 0x0
	s_or_b32 exec_lo, exec_lo, s16
.LBB216_625:                            ;   in Loop: Header=BB216_15 Depth=1
	s_delay_alu instid0(SALU_CYCLE_1)
	s_or_b32 exec_lo, exec_lo, s15
.LBB216_626:                            ;   in Loop: Header=BB216_15 Depth=1
	s_delay_alu instid0(SALU_CYCLE_1)
	s_or_b32 exec_lo, exec_lo, s14
	flat_load_b32 v0, v[84:85] offset:2060
	v_mov_b64_e32 v[2:3], 0
	s_mov_b32 s14, exec_lo
	scratch_store_b64 off, v[2:3], s32 offset:860 ; 8-byte Folded Spill
	s_wait_xcnt 0x0
	v_mov_b64_e32 v[2:3], 0
	scratch_store_b64 off, v[2:3], s32 offset:868 ; 8-byte Folded Spill
	s_wait_loadcnt_dscnt 0x0
	v_and_b32_e32 v1, 0xff, v0
	s_wait_xcnt 0x0
	s_delay_alu instid0(VALU_DEP_1)
	v_cmpx_ne_u16_e32 0, v1
	s_cbranch_execz .LBB216_634
; %bb.627:                              ;   in Loop: Header=BB216_15 Depth=1
	v_mov_b64_e32 v[2:3], 0x80000000
	s_mov_b32 s15, exec_lo
	scratch_store_b64 off, v[2:3], s32 offset:868 ; 8-byte Folded Spill
	s_wait_xcnt 0x0
	v_cmpx_ne_u16_e32 0x80, v1
	s_cbranch_execz .LBB216_633
; %bb.628:                              ;   in Loop: Header=BB216_15 Depth=1
	v_mov_b64_e32 v[4:5], 0x7f800001
	v_and_b32_e32 v2, 0x7f, v0
	s_mov_b32 s16, exec_lo
	scratch_store_b64 off, v[4:5], s32 offset:868 ; 8-byte Folded Spill
	s_wait_xcnt 0x0
	v_cmpx_ne_u32_e32 0x7f, v2
	s_cbranch_execz .LBB216_632
; %bb.629:                              ;   in Loop: Header=BB216_15 Depth=1
	scratch_load_b64 v[4:5], off, s32 offset:192 th:TH_LOAD_LU ; 8-byte Folded Reload
	s_wait_loadcnt 0x0
	v_dual_lshrrev_b32 v1, 3, v2 :: v_dual_bitop2_b32 v4, 7, v0 bitop3:0x40
	s_mov_b32 s17, exec_lo
	s_wait_xcnt 0x0
	v_cmpx_gt_u32_e32 8, v2
; %bb.630:                              ;   in Loop: Header=BB216_15 Depth=1
	s_delay_alu instid0(VALU_DEP_2) | instskip(NEXT) | instid1(VALU_DEP_1)
	v_clz_i32_u32_e32 v1, v4
	v_min_u32_e32 v1, 32, v1
	s_delay_alu instid0(VALU_DEP_1) | instskip(NEXT) | instid1(VALU_DEP_1)
	v_subrev_nc_u32_e32 v2, 28, v1
	v_lshlrev_b64_e32 v[2:3], v2, v[4:5]
	s_delay_alu instid0(VALU_DEP_1)
	v_dual_sub_nc_u32 v1, 29, v1 :: v_dual_bitop2_b32 v4, 7, v2 bitop3:0x40
; %bb.631:                              ;   in Loop: Header=BB216_15 Depth=1
	s_or_b32 exec_lo, exec_lo, s17
	v_lshlrev_b32_e32 v2, 24, v0
	s_delay_alu instid0(VALU_DEP_2) | instskip(NEXT) | instid1(VALU_DEP_3)
	v_lshlrev_b32_e32 v3, 20, v4
	v_lshl_add_u32 v1, v1, 23, 0x3c000000
	s_delay_alu instid0(VALU_DEP_3) | instskip(NEXT) | instid1(VALU_DEP_1)
	v_and_b32_e32 v2, 0x80000000, v2
	v_or3_b32 v4, v3, v2, v1
	v_mov_b32_e32 v1, v5
	s_clause 0x1
	scratch_store_b64 off, v[0:1], s32 offset:192
	scratch_store_b64 off, v[4:5], s32 offset:868
.LBB216_632:                            ;   in Loop: Header=BB216_15 Depth=1
	s_wait_xcnt 0x0
	s_or_b32 exec_lo, exec_lo, s16
.LBB216_633:                            ;   in Loop: Header=BB216_15 Depth=1
	s_delay_alu instid0(SALU_CYCLE_1)
	s_or_b32 exec_lo, exec_lo, s15
.LBB216_634:                            ;   in Loop: Header=BB216_15 Depth=1
	s_delay_alu instid0(SALU_CYCLE_1) | instskip(SKIP_2) | instid1(VALU_DEP_1)
	s_or_b32 exec_lo, exec_lo, s14
	v_lshrrev_b16 v1, 8, v0
	s_mov_b32 s14, exec_lo
	v_cmpx_ne_u16_e32 0, v1
	s_cbranch_execz .LBB216_642
; %bb.635:                              ;   in Loop: Header=BB216_15 Depth=1
	v_mov_b64_e32 v[2:3], 0x8000000000000000
	s_mov_b32 s15, exec_lo
	scratch_store_b64 off, v[2:3], s32 offset:860 ; 8-byte Folded Spill
	s_wait_xcnt 0x0
	v_cmpx_ne_u16_e32 0x80, v1
	s_cbranch_execz .LBB216_641
; %bb.636:                              ;   in Loop: Header=BB216_15 Depth=1
	v_and_b32_e32 v1, 0xffff, v1
	v_mov_b64_e32 v[4:5], 0x7f80000100000000
	s_mov_b32 s16, exec_lo
	s_delay_alu instid0(VALU_DEP_2)
	v_and_b32_e32 v2, 0x7f, v1
	scratch_store_b64 off, v[4:5], s32 offset:860 ; 8-byte Folded Spill
	s_wait_xcnt 0x0
	v_cmpx_ne_u32_e32 0x7f, v2
	s_cbranch_execz .LBB216_640
; %bb.637:                              ;   in Loop: Header=BB216_15 Depth=1
	scratch_load_b64 v[4:5], off, s32 offset:192 th:TH_LOAD_LU ; 8-byte Folded Reload
	s_wait_loadcnt 0x0
	v_dual_lshrrev_b32 v1, 3, v2 :: v_dual_bitop2_b32 v4, 7, v1 bitop3:0x40
	s_mov_b32 s17, exec_lo
	s_wait_xcnt 0x0
	v_cmpx_gt_u32_e32 8, v2
; %bb.638:                              ;   in Loop: Header=BB216_15 Depth=1
	s_delay_alu instid0(VALU_DEP_2) | instskip(NEXT) | instid1(VALU_DEP_1)
	v_clz_i32_u32_e32 v1, v4
	v_min_u32_e32 v1, 32, v1
	s_delay_alu instid0(VALU_DEP_1) | instskip(NEXT) | instid1(VALU_DEP_1)
	v_subrev_nc_u32_e32 v2, 28, v1
	v_lshlrev_b64_e32 v[2:3], v2, v[4:5]
	s_delay_alu instid0(VALU_DEP_1)
	v_dual_sub_nc_u32 v1, 29, v1 :: v_dual_bitop2_b32 v4, 7, v2 bitop3:0x40
; %bb.639:                              ;   in Loop: Header=BB216_15 Depth=1
	s_or_b32 exec_lo, exec_lo, s17
	v_lshlrev_b32_e32 v2, 16, v0
	s_delay_alu instid0(VALU_DEP_2) | instskip(NEXT) | instid1(VALU_DEP_3)
	v_lshlrev_b32_e32 v3, 20, v4
	v_lshl_add_u32 v1, v1, 23, 0x3c000000
	s_delay_alu instid0(VALU_DEP_3) | instskip(NEXT) | instid1(VALU_DEP_1)
	v_and_b32_e32 v2, 0x80000000, v2
	v_or3_b32 v3, v3, v2, v1
	v_dual_mov_b32 v1, v5 :: v_dual_mov_b32 v2, v5
	s_clause 0x1
	scratch_store_b64 off, v[0:1], s32 offset:192
	scratch_store_b64 off, v[2:3], s32 offset:860
.LBB216_640:                            ;   in Loop: Header=BB216_15 Depth=1
	s_wait_xcnt 0x0
	s_or_b32 exec_lo, exec_lo, s16
.LBB216_641:                            ;   in Loop: Header=BB216_15 Depth=1
	s_delay_alu instid0(SALU_CYCLE_1)
	s_or_b32 exec_lo, exec_lo, s15
.LBB216_642:                            ;   in Loop: Header=BB216_15 Depth=1
	s_delay_alu instid0(SALU_CYCLE_1) | instskip(SKIP_3) | instid1(VALU_DEP_1)
	s_or_b32 exec_lo, exec_lo, s14
	v_mov_b64_e32 v[4:5], 0
	v_lshrrev_b32_e32 v1, 16, v0
	s_mov_b32 s14, exec_lo
	v_and_b32_e32 v2, 0xff, v1
	scratch_store_b64 off, v[4:5], s32 offset:876 ; 8-byte Folded Spill
	s_wait_xcnt 0x0
	v_mov_b64_e32 v[4:5], 0
	scratch_store_b64 off, v[4:5], s32 offset:884 ; 8-byte Folded Spill
	s_wait_xcnt 0x0
	v_cmpx_ne_u16_e32 0, v2
	s_cbranch_execz .LBB216_650
; %bb.643:                              ;   in Loop: Header=BB216_15 Depth=1
	v_cmp_ne_u16_e64 s1, 0x80, v2
	v_mov_b64_e32 v[2:3], 0x80000000
	scratch_store_b64 off, v[2:3], s32 offset:884 ; 8-byte Folded Spill
	s_wait_xcnt 0x0
	s_and_saveexec_b32 s15, s1
	s_cbranch_execz .LBB216_649
; %bb.644:                              ;   in Loop: Header=BB216_15 Depth=1
	v_mov_b64_e32 v[4:5], 0x7f800001
	v_bfe_u32 v3, v0, 16, 7
	s_mov_b32 s16, exec_lo
	scratch_store_b64 off, v[4:5], s32 offset:884 ; 8-byte Folded Spill
	s_wait_xcnt 0x0
	v_cmpx_ne_u32_e32 0x7f, v3
	s_cbranch_execz .LBB216_648
; %bb.645:                              ;   in Loop: Header=BB216_15 Depth=1
	scratch_load_b64 v[6:7], off, s32 offset:192 th:TH_LOAD_LU ; 8-byte Folded Reload
	s_wait_loadcnt 0x0
	v_dual_lshrrev_b32 v2, 3, v3 :: v_dual_bitop2_b32 v6, 7, v1 bitop3:0x40
	s_mov_b32 s17, exec_lo
	s_wait_xcnt 0x0
	v_cmpx_gt_u32_e32 8, v3
; %bb.646:                              ;   in Loop: Header=BB216_15 Depth=1
	s_delay_alu instid0(VALU_DEP_2) | instskip(NEXT) | instid1(VALU_DEP_1)
	v_clz_i32_u32_e32 v2, v6
	v_min_u32_e32 v2, 32, v2
	s_delay_alu instid0(VALU_DEP_1) | instskip(NEXT) | instid1(VALU_DEP_1)
	v_subrev_nc_u32_e32 v3, 28, v2
	v_lshlrev_b64_e32 v[4:5], v3, v[6:7]
	s_delay_alu instid0(VALU_DEP_1)
	v_dual_sub_nc_u32 v2, 29, v2 :: v_dual_bitop2_b32 v6, 7, v4 bitop3:0x40
; %bb.647:                              ;   in Loop: Header=BB216_15 Depth=1
	s_or_b32 exec_lo, exec_lo, s17
	s_delay_alu instid0(VALU_DEP_1) | instskip(NEXT) | instid1(VALU_DEP_2)
	v_dual_lshlrev_b32 v1, 24, v1 :: v_dual_lshlrev_b32 v3, 20, v6
	v_lshl_add_u32 v2, v2, 23, 0x3c000000
	s_delay_alu instid0(VALU_DEP_2) | instskip(NEXT) | instid1(VALU_DEP_1)
	v_and_b32_e32 v1, 0x80000000, v1
	v_or3_b32 v6, v3, v1, v2
	v_mov_b32_e32 v1, v7
	s_clause 0x1
	scratch_store_b64 off, v[0:1], s32 offset:192
	scratch_store_b64 off, v[6:7], s32 offset:884
.LBB216_648:                            ;   in Loop: Header=BB216_15 Depth=1
	s_wait_xcnt 0x0
	s_or_b32 exec_lo, exec_lo, s16
.LBB216_649:                            ;   in Loop: Header=BB216_15 Depth=1
	s_delay_alu instid0(SALU_CYCLE_1)
	s_or_b32 exec_lo, exec_lo, s15
.LBB216_650:                            ;   in Loop: Header=BB216_15 Depth=1
	s_delay_alu instid0(SALU_CYCLE_1) | instskip(NEXT) | instid1(SALU_CYCLE_1)
	s_or_b32 exec_lo, exec_lo, s14
	s_mov_b32 s14, exec_lo
	v_cmpx_lt_u32_e32 0xffffff, v0
	s_cbranch_execz .LBB216_658
; %bb.651:                              ;   in Loop: Header=BB216_15 Depth=1
	v_mov_b64_e32 v[2:3], 0x8000000000000000
	v_lshrrev_b32_e32 v1, 24, v0
	s_mov_b32 s15, exec_lo
	scratch_store_b64 off, v[2:3], s32 offset:876 ; 8-byte Folded Spill
	s_wait_xcnt 0x0
	v_cmpx_ne_u32_e32 0x80, v1
	s_cbranch_execz .LBB216_657
; %bb.652:                              ;   in Loop: Header=BB216_15 Depth=1
	v_mov_b64_e32 v[4:5], 0x7f80000100000000
	v_bfe_u32 v2, v0, 24, 7
	s_mov_b32 s16, exec_lo
	scratch_store_b64 off, v[4:5], s32 offset:876 ; 8-byte Folded Spill
	s_wait_xcnt 0x0
	v_cmpx_ne_u32_e32 0x7f, v2
	s_cbranch_execz .LBB216_656
; %bb.653:                              ;   in Loop: Header=BB216_15 Depth=1
	scratch_load_b64 v[4:5], off, s32 offset:192 th:TH_LOAD_LU ; 8-byte Folded Reload
	s_wait_loadcnt 0x0
	v_dual_lshrrev_b32 v0, 3, v2 :: v_dual_bitop2_b32 v4, 7, v1 bitop3:0x40
	s_mov_b32 s17, exec_lo
	s_wait_xcnt 0x0
	v_cmpx_gt_u32_e32 8, v2
; %bb.654:                              ;   in Loop: Header=BB216_15 Depth=1
	s_delay_alu instid0(VALU_DEP_2) | instskip(NEXT) | instid1(VALU_DEP_1)
	v_clz_i32_u32_e32 v0, v4
	v_min_u32_e32 v0, 32, v0
	s_delay_alu instid0(VALU_DEP_1) | instskip(NEXT) | instid1(VALU_DEP_1)
	v_subrev_nc_u32_e32 v2, 28, v0
	v_lshlrev_b64_e32 v[2:3], v2, v[4:5]
	s_delay_alu instid0(VALU_DEP_1)
	v_dual_sub_nc_u32 v0, 29, v0 :: v_dual_bitop2_b32 v4, 7, v2 bitop3:0x40
; %bb.655:                              ;   in Loop: Header=BB216_15 Depth=1
	s_or_b32 exec_lo, exec_lo, s17
	s_delay_alu instid0(VALU_DEP_1) | instskip(NEXT) | instid1(VALU_DEP_2)
	v_dual_lshlrev_b32 v1, 24, v1 :: v_dual_lshlrev_b32 v2, 20, v4
	v_lshl_add_u32 v0, v0, 23, 0x3c000000
	s_delay_alu instid0(VALU_DEP_2) | instskip(NEXT) | instid1(VALU_DEP_1)
	v_and_b32_e32 v1, 0x80000000, v1
	v_or3_b32 v3, v2, v1, v0
	v_dual_mov_b32 v1, v5 :: v_dual_mov_b32 v2, v5
	s_clause 0x1
	scratch_store_b64 off, v[0:1], s32 offset:192
	scratch_store_b64 off, v[2:3], s32 offset:876
.LBB216_656:                            ;   in Loop: Header=BB216_15 Depth=1
	s_wait_xcnt 0x0
	s_or_b32 exec_lo, exec_lo, s16
.LBB216_657:                            ;   in Loop: Header=BB216_15 Depth=1
	s_delay_alu instid0(SALU_CYCLE_1)
	s_or_b32 exec_lo, exec_lo, s15
.LBB216_658:                            ;   in Loop: Header=BB216_15 Depth=1
	s_delay_alu instid0(SALU_CYCLE_1)
	s_or_b32 exec_lo, exec_lo, s14
	flat_load_b32 v0, v[84:85] offset:2560
	v_mov_b64_e32 v[2:3], 0
	s_mov_b32 s14, exec_lo
	scratch_store_b64 off, v[2:3], s32 offset:892 ; 8-byte Folded Spill
	s_wait_xcnt 0x0
	v_mov_b64_e32 v[2:3], 0
	scratch_store_b64 off, v[2:3], s32 offset:900 ; 8-byte Folded Spill
	s_wait_loadcnt_dscnt 0x0
	v_and_b32_e32 v1, 0xff, v0
	s_wait_xcnt 0x0
	s_delay_alu instid0(VALU_DEP_1)
	v_cmpx_ne_u16_e32 0, v1
	s_cbranch_execz .LBB216_666
; %bb.659:                              ;   in Loop: Header=BB216_15 Depth=1
	v_mov_b64_e32 v[2:3], 0x80000000
	s_mov_b32 s15, exec_lo
	scratch_store_b64 off, v[2:3], s32 offset:900 ; 8-byte Folded Spill
	s_wait_xcnt 0x0
	v_cmpx_ne_u16_e32 0x80, v1
	s_cbranch_execz .LBB216_665
; %bb.660:                              ;   in Loop: Header=BB216_15 Depth=1
	v_mov_b64_e32 v[4:5], 0x7f800001
	v_and_b32_e32 v2, 0x7f, v0
	s_mov_b32 s16, exec_lo
	scratch_store_b64 off, v[4:5], s32 offset:900 ; 8-byte Folded Spill
	s_wait_xcnt 0x0
	v_cmpx_ne_u32_e32 0x7f, v2
	s_cbranch_execz .LBB216_664
; %bb.661:                              ;   in Loop: Header=BB216_15 Depth=1
	scratch_load_b64 v[4:5], off, s32 offset:192 th:TH_LOAD_LU ; 8-byte Folded Reload
	s_wait_loadcnt 0x0
	v_dual_lshrrev_b32 v1, 3, v2 :: v_dual_bitop2_b32 v4, 7, v0 bitop3:0x40
	s_mov_b32 s17, exec_lo
	s_wait_xcnt 0x0
	v_cmpx_gt_u32_e32 8, v2
; %bb.662:                              ;   in Loop: Header=BB216_15 Depth=1
	s_delay_alu instid0(VALU_DEP_2) | instskip(NEXT) | instid1(VALU_DEP_1)
	v_clz_i32_u32_e32 v1, v4
	v_min_u32_e32 v1, 32, v1
	s_delay_alu instid0(VALU_DEP_1) | instskip(NEXT) | instid1(VALU_DEP_1)
	v_subrev_nc_u32_e32 v2, 28, v1
	v_lshlrev_b64_e32 v[2:3], v2, v[4:5]
	s_delay_alu instid0(VALU_DEP_1)
	v_dual_sub_nc_u32 v1, 29, v1 :: v_dual_bitop2_b32 v4, 7, v2 bitop3:0x40
; %bb.663:                              ;   in Loop: Header=BB216_15 Depth=1
	s_or_b32 exec_lo, exec_lo, s17
	v_lshlrev_b32_e32 v2, 24, v0
	s_delay_alu instid0(VALU_DEP_2) | instskip(NEXT) | instid1(VALU_DEP_3)
	v_lshlrev_b32_e32 v3, 20, v4
	v_lshl_add_u32 v1, v1, 23, 0x3c000000
	s_delay_alu instid0(VALU_DEP_3) | instskip(NEXT) | instid1(VALU_DEP_1)
	v_and_b32_e32 v2, 0x80000000, v2
	v_or3_b32 v4, v3, v2, v1
	v_mov_b32_e32 v1, v5
	s_clause 0x1
	scratch_store_b64 off, v[0:1], s32 offset:192
	scratch_store_b64 off, v[4:5], s32 offset:900
.LBB216_664:                            ;   in Loop: Header=BB216_15 Depth=1
	s_wait_xcnt 0x0
	s_or_b32 exec_lo, exec_lo, s16
.LBB216_665:                            ;   in Loop: Header=BB216_15 Depth=1
	s_delay_alu instid0(SALU_CYCLE_1)
	s_or_b32 exec_lo, exec_lo, s15
.LBB216_666:                            ;   in Loop: Header=BB216_15 Depth=1
	s_delay_alu instid0(SALU_CYCLE_1) | instskip(SKIP_2) | instid1(VALU_DEP_1)
	s_or_b32 exec_lo, exec_lo, s14
	v_lshrrev_b16 v1, 8, v0
	s_mov_b32 s14, exec_lo
	v_cmpx_ne_u16_e32 0, v1
	s_cbranch_execz .LBB216_674
; %bb.667:                              ;   in Loop: Header=BB216_15 Depth=1
	v_mov_b64_e32 v[2:3], 0x8000000000000000
	s_mov_b32 s15, exec_lo
	scratch_store_b64 off, v[2:3], s32 offset:892 ; 8-byte Folded Spill
	s_wait_xcnt 0x0
	v_cmpx_ne_u16_e32 0x80, v1
	s_cbranch_execz .LBB216_673
; %bb.668:                              ;   in Loop: Header=BB216_15 Depth=1
	v_and_b32_e32 v1, 0xffff, v1
	v_mov_b64_e32 v[4:5], 0x7f80000100000000
	s_mov_b32 s16, exec_lo
	s_delay_alu instid0(VALU_DEP_2)
	v_and_b32_e32 v2, 0x7f, v1
	scratch_store_b64 off, v[4:5], s32 offset:892 ; 8-byte Folded Spill
	s_wait_xcnt 0x0
	v_cmpx_ne_u32_e32 0x7f, v2
	s_cbranch_execz .LBB216_672
; %bb.669:                              ;   in Loop: Header=BB216_15 Depth=1
	scratch_load_b64 v[4:5], off, s32 offset:192 th:TH_LOAD_LU ; 8-byte Folded Reload
	s_wait_loadcnt 0x0
	v_dual_lshrrev_b32 v1, 3, v2 :: v_dual_bitop2_b32 v4, 7, v1 bitop3:0x40
	s_mov_b32 s17, exec_lo
	s_wait_xcnt 0x0
	v_cmpx_gt_u32_e32 8, v2
; %bb.670:                              ;   in Loop: Header=BB216_15 Depth=1
	s_delay_alu instid0(VALU_DEP_2) | instskip(NEXT) | instid1(VALU_DEP_1)
	v_clz_i32_u32_e32 v1, v4
	v_min_u32_e32 v1, 32, v1
	s_delay_alu instid0(VALU_DEP_1) | instskip(NEXT) | instid1(VALU_DEP_1)
	v_subrev_nc_u32_e32 v2, 28, v1
	v_lshlrev_b64_e32 v[2:3], v2, v[4:5]
	s_delay_alu instid0(VALU_DEP_1)
	v_dual_sub_nc_u32 v1, 29, v1 :: v_dual_bitop2_b32 v4, 7, v2 bitop3:0x40
; %bb.671:                              ;   in Loop: Header=BB216_15 Depth=1
	s_or_b32 exec_lo, exec_lo, s17
	v_lshlrev_b32_e32 v2, 16, v0
	s_delay_alu instid0(VALU_DEP_2) | instskip(NEXT) | instid1(VALU_DEP_3)
	v_lshlrev_b32_e32 v3, 20, v4
	v_lshl_add_u32 v1, v1, 23, 0x3c000000
	s_delay_alu instid0(VALU_DEP_3) | instskip(NEXT) | instid1(VALU_DEP_1)
	v_and_b32_e32 v2, 0x80000000, v2
	v_or3_b32 v3, v3, v2, v1
	v_dual_mov_b32 v1, v5 :: v_dual_mov_b32 v2, v5
	s_clause 0x1
	scratch_store_b64 off, v[0:1], s32 offset:192
	scratch_store_b64 off, v[2:3], s32 offset:892
.LBB216_672:                            ;   in Loop: Header=BB216_15 Depth=1
	s_wait_xcnt 0x0
	s_or_b32 exec_lo, exec_lo, s16
.LBB216_673:                            ;   in Loop: Header=BB216_15 Depth=1
	s_delay_alu instid0(SALU_CYCLE_1)
	s_or_b32 exec_lo, exec_lo, s15
.LBB216_674:                            ;   in Loop: Header=BB216_15 Depth=1
	s_delay_alu instid0(SALU_CYCLE_1) | instskip(SKIP_3) | instid1(VALU_DEP_1)
	s_or_b32 exec_lo, exec_lo, s14
	v_mov_b64_e32 v[4:5], 0
	v_lshrrev_b32_e32 v1, 16, v0
	s_mov_b32 s14, exec_lo
	v_and_b32_e32 v2, 0xff, v1
	scratch_store_b64 off, v[4:5], s32 offset:908 ; 8-byte Folded Spill
	s_wait_xcnt 0x0
	v_mov_b64_e32 v[4:5], 0
	scratch_store_b64 off, v[4:5], s32 offset:916 ; 8-byte Folded Spill
	s_wait_xcnt 0x0
	v_cmpx_ne_u16_e32 0, v2
	s_cbranch_execz .LBB216_682
; %bb.675:                              ;   in Loop: Header=BB216_15 Depth=1
	v_cmp_ne_u16_e64 s1, 0x80, v2
	v_mov_b64_e32 v[2:3], 0x80000000
	scratch_store_b64 off, v[2:3], s32 offset:916 ; 8-byte Folded Spill
	s_wait_xcnt 0x0
	s_and_saveexec_b32 s15, s1
	s_cbranch_execz .LBB216_681
; %bb.676:                              ;   in Loop: Header=BB216_15 Depth=1
	v_mov_b64_e32 v[4:5], 0x7f800001
	v_bfe_u32 v3, v0, 16, 7
	s_mov_b32 s16, exec_lo
	scratch_store_b64 off, v[4:5], s32 offset:916 ; 8-byte Folded Spill
	s_wait_xcnt 0x0
	v_cmpx_ne_u32_e32 0x7f, v3
	s_cbranch_execz .LBB216_680
; %bb.677:                              ;   in Loop: Header=BB216_15 Depth=1
	scratch_load_b64 v[6:7], off, s32 offset:192 th:TH_LOAD_LU ; 8-byte Folded Reload
	s_wait_loadcnt 0x0
	v_dual_lshrrev_b32 v2, 3, v3 :: v_dual_bitop2_b32 v6, 7, v1 bitop3:0x40
	s_mov_b32 s17, exec_lo
	s_wait_xcnt 0x0
	v_cmpx_gt_u32_e32 8, v3
; %bb.678:                              ;   in Loop: Header=BB216_15 Depth=1
	s_delay_alu instid0(VALU_DEP_2) | instskip(NEXT) | instid1(VALU_DEP_1)
	v_clz_i32_u32_e32 v2, v6
	v_min_u32_e32 v2, 32, v2
	s_delay_alu instid0(VALU_DEP_1) | instskip(NEXT) | instid1(VALU_DEP_1)
	v_subrev_nc_u32_e32 v3, 28, v2
	v_lshlrev_b64_e32 v[4:5], v3, v[6:7]
	s_delay_alu instid0(VALU_DEP_1)
	v_dual_sub_nc_u32 v2, 29, v2 :: v_dual_bitop2_b32 v6, 7, v4 bitop3:0x40
; %bb.679:                              ;   in Loop: Header=BB216_15 Depth=1
	s_or_b32 exec_lo, exec_lo, s17
	s_delay_alu instid0(VALU_DEP_1) | instskip(NEXT) | instid1(VALU_DEP_2)
	v_dual_lshlrev_b32 v1, 24, v1 :: v_dual_lshlrev_b32 v3, 20, v6
	v_lshl_add_u32 v2, v2, 23, 0x3c000000
	s_delay_alu instid0(VALU_DEP_2) | instskip(NEXT) | instid1(VALU_DEP_1)
	v_and_b32_e32 v1, 0x80000000, v1
	v_or3_b32 v6, v3, v1, v2
	v_mov_b32_e32 v1, v7
	s_clause 0x1
	scratch_store_b64 off, v[0:1], s32 offset:192
	scratch_store_b64 off, v[6:7], s32 offset:916
.LBB216_680:                            ;   in Loop: Header=BB216_15 Depth=1
	s_wait_xcnt 0x0
	s_or_b32 exec_lo, exec_lo, s16
.LBB216_681:                            ;   in Loop: Header=BB216_15 Depth=1
	s_delay_alu instid0(SALU_CYCLE_1)
	s_or_b32 exec_lo, exec_lo, s15
.LBB216_682:                            ;   in Loop: Header=BB216_15 Depth=1
	s_delay_alu instid0(SALU_CYCLE_1) | instskip(NEXT) | instid1(SALU_CYCLE_1)
	s_or_b32 exec_lo, exec_lo, s14
	s_mov_b32 s14, exec_lo
	v_cmpx_lt_u32_e32 0xffffff, v0
	s_cbranch_execz .LBB216_690
; %bb.683:                              ;   in Loop: Header=BB216_15 Depth=1
	v_mov_b64_e32 v[2:3], 0x8000000000000000
	v_lshrrev_b32_e32 v1, 24, v0
	s_mov_b32 s15, exec_lo
	scratch_store_b64 off, v[2:3], s32 offset:908 ; 8-byte Folded Spill
	s_wait_xcnt 0x0
	v_cmpx_ne_u32_e32 0x80, v1
	s_cbranch_execz .LBB216_689
; %bb.684:                              ;   in Loop: Header=BB216_15 Depth=1
	v_mov_b64_e32 v[4:5], 0x7f80000100000000
	v_bfe_u32 v2, v0, 24, 7
	s_mov_b32 s16, exec_lo
	scratch_store_b64 off, v[4:5], s32 offset:908 ; 8-byte Folded Spill
	s_wait_xcnt 0x0
	v_cmpx_ne_u32_e32 0x7f, v2
	s_cbranch_execz .LBB216_688
; %bb.685:                              ;   in Loop: Header=BB216_15 Depth=1
	scratch_load_b64 v[4:5], off, s32 offset:192 th:TH_LOAD_LU ; 8-byte Folded Reload
	s_wait_loadcnt 0x0
	v_dual_lshrrev_b32 v0, 3, v2 :: v_dual_bitop2_b32 v4, 7, v1 bitop3:0x40
	s_mov_b32 s17, exec_lo
	s_wait_xcnt 0x0
	v_cmpx_gt_u32_e32 8, v2
; %bb.686:                              ;   in Loop: Header=BB216_15 Depth=1
	s_delay_alu instid0(VALU_DEP_2) | instskip(NEXT) | instid1(VALU_DEP_1)
	v_clz_i32_u32_e32 v0, v4
	v_min_u32_e32 v0, 32, v0
	s_delay_alu instid0(VALU_DEP_1) | instskip(NEXT) | instid1(VALU_DEP_1)
	v_subrev_nc_u32_e32 v2, 28, v0
	v_lshlrev_b64_e32 v[2:3], v2, v[4:5]
	s_delay_alu instid0(VALU_DEP_1)
	v_dual_sub_nc_u32 v0, 29, v0 :: v_dual_bitop2_b32 v4, 7, v2 bitop3:0x40
; %bb.687:                              ;   in Loop: Header=BB216_15 Depth=1
	s_or_b32 exec_lo, exec_lo, s17
	s_delay_alu instid0(VALU_DEP_1) | instskip(NEXT) | instid1(VALU_DEP_2)
	v_dual_lshlrev_b32 v1, 24, v1 :: v_dual_lshlrev_b32 v2, 20, v4
	v_lshl_add_u32 v0, v0, 23, 0x3c000000
	s_delay_alu instid0(VALU_DEP_2) | instskip(NEXT) | instid1(VALU_DEP_1)
	v_and_b32_e32 v1, 0x80000000, v1
	v_or3_b32 v3, v2, v1, v0
	v_dual_mov_b32 v1, v5 :: v_dual_mov_b32 v2, v5
	s_clause 0x1
	scratch_store_b64 off, v[0:1], s32 offset:192
	scratch_store_b64 off, v[2:3], s32 offset:908
.LBB216_688:                            ;   in Loop: Header=BB216_15 Depth=1
	s_wait_xcnt 0x0
	s_or_b32 exec_lo, exec_lo, s16
.LBB216_689:                            ;   in Loop: Header=BB216_15 Depth=1
	s_delay_alu instid0(SALU_CYCLE_1)
	s_or_b32 exec_lo, exec_lo, s15
.LBB216_690:                            ;   in Loop: Header=BB216_15 Depth=1
	s_delay_alu instid0(SALU_CYCLE_1)
	s_or_b32 exec_lo, exec_lo, s14
	flat_load_b32 v0, v[84:85] offset:2564
	v_mov_b64_e32 v[2:3], 0
	s_mov_b32 s14, exec_lo
	scratch_store_b64 off, v[2:3], s32 offset:924 ; 8-byte Folded Spill
	s_wait_xcnt 0x0
	v_mov_b64_e32 v[2:3], 0
	scratch_store_b64 off, v[2:3], s32 offset:932 ; 8-byte Folded Spill
	s_wait_loadcnt_dscnt 0x0
	v_and_b32_e32 v1, 0xff, v0
	s_wait_xcnt 0x0
	s_delay_alu instid0(VALU_DEP_1)
	v_cmpx_ne_u16_e32 0, v1
	s_cbranch_execz .LBB216_698
; %bb.691:                              ;   in Loop: Header=BB216_15 Depth=1
	v_mov_b64_e32 v[2:3], 0x80000000
	s_mov_b32 s15, exec_lo
	scratch_store_b64 off, v[2:3], s32 offset:932 ; 8-byte Folded Spill
	s_wait_xcnt 0x0
	v_cmpx_ne_u16_e32 0x80, v1
	s_cbranch_execz .LBB216_697
; %bb.692:                              ;   in Loop: Header=BB216_15 Depth=1
	v_mov_b64_e32 v[4:5], 0x7f800001
	v_and_b32_e32 v2, 0x7f, v0
	s_mov_b32 s16, exec_lo
	scratch_store_b64 off, v[4:5], s32 offset:932 ; 8-byte Folded Spill
	s_wait_xcnt 0x0
	v_cmpx_ne_u32_e32 0x7f, v2
	s_cbranch_execz .LBB216_696
; %bb.693:                              ;   in Loop: Header=BB216_15 Depth=1
	scratch_load_b64 v[4:5], off, s32 offset:192 th:TH_LOAD_LU ; 8-byte Folded Reload
	s_wait_loadcnt 0x0
	v_dual_lshrrev_b32 v1, 3, v2 :: v_dual_bitop2_b32 v4, 7, v0 bitop3:0x40
	s_mov_b32 s17, exec_lo
	s_wait_xcnt 0x0
	v_cmpx_gt_u32_e32 8, v2
; %bb.694:                              ;   in Loop: Header=BB216_15 Depth=1
	s_delay_alu instid0(VALU_DEP_2) | instskip(NEXT) | instid1(VALU_DEP_1)
	v_clz_i32_u32_e32 v1, v4
	v_min_u32_e32 v1, 32, v1
	s_delay_alu instid0(VALU_DEP_1) | instskip(NEXT) | instid1(VALU_DEP_1)
	v_subrev_nc_u32_e32 v2, 28, v1
	v_lshlrev_b64_e32 v[2:3], v2, v[4:5]
	s_delay_alu instid0(VALU_DEP_1)
	v_dual_sub_nc_u32 v1, 29, v1 :: v_dual_bitop2_b32 v4, 7, v2 bitop3:0x40
; %bb.695:                              ;   in Loop: Header=BB216_15 Depth=1
	s_or_b32 exec_lo, exec_lo, s17
	v_lshlrev_b32_e32 v2, 24, v0
	s_delay_alu instid0(VALU_DEP_2) | instskip(NEXT) | instid1(VALU_DEP_3)
	v_lshlrev_b32_e32 v3, 20, v4
	v_lshl_add_u32 v1, v1, 23, 0x3c000000
	s_delay_alu instid0(VALU_DEP_3) | instskip(NEXT) | instid1(VALU_DEP_1)
	v_and_b32_e32 v2, 0x80000000, v2
	v_or3_b32 v4, v3, v2, v1
	v_mov_b32_e32 v1, v5
	s_clause 0x1
	scratch_store_b64 off, v[0:1], s32 offset:192
	scratch_store_b64 off, v[4:5], s32 offset:932
.LBB216_696:                            ;   in Loop: Header=BB216_15 Depth=1
	s_wait_xcnt 0x0
	s_or_b32 exec_lo, exec_lo, s16
.LBB216_697:                            ;   in Loop: Header=BB216_15 Depth=1
	s_delay_alu instid0(SALU_CYCLE_1)
	s_or_b32 exec_lo, exec_lo, s15
.LBB216_698:                            ;   in Loop: Header=BB216_15 Depth=1
	s_delay_alu instid0(SALU_CYCLE_1) | instskip(SKIP_2) | instid1(VALU_DEP_1)
	s_or_b32 exec_lo, exec_lo, s14
	v_lshrrev_b16 v1, 8, v0
	s_mov_b32 s14, exec_lo
	v_cmpx_ne_u16_e32 0, v1
	s_cbranch_execz .LBB216_706
; %bb.699:                              ;   in Loop: Header=BB216_15 Depth=1
	v_mov_b64_e32 v[2:3], 0x8000000000000000
	s_mov_b32 s15, exec_lo
	scratch_store_b64 off, v[2:3], s32 offset:924 ; 8-byte Folded Spill
	s_wait_xcnt 0x0
	v_cmpx_ne_u16_e32 0x80, v1
	s_cbranch_execz .LBB216_705
; %bb.700:                              ;   in Loop: Header=BB216_15 Depth=1
	v_and_b32_e32 v1, 0xffff, v1
	v_mov_b64_e32 v[4:5], 0x7f80000100000000
	s_mov_b32 s16, exec_lo
	s_delay_alu instid0(VALU_DEP_2)
	v_and_b32_e32 v2, 0x7f, v1
	scratch_store_b64 off, v[4:5], s32 offset:924 ; 8-byte Folded Spill
	s_wait_xcnt 0x0
	v_cmpx_ne_u32_e32 0x7f, v2
	s_cbranch_execz .LBB216_704
; %bb.701:                              ;   in Loop: Header=BB216_15 Depth=1
	scratch_load_b64 v[4:5], off, s32 offset:192 th:TH_LOAD_LU ; 8-byte Folded Reload
	s_wait_loadcnt 0x0
	v_dual_lshrrev_b32 v1, 3, v2 :: v_dual_bitop2_b32 v4, 7, v1 bitop3:0x40
	s_mov_b32 s17, exec_lo
	s_wait_xcnt 0x0
	v_cmpx_gt_u32_e32 8, v2
; %bb.702:                              ;   in Loop: Header=BB216_15 Depth=1
	s_delay_alu instid0(VALU_DEP_2) | instskip(NEXT) | instid1(VALU_DEP_1)
	v_clz_i32_u32_e32 v1, v4
	v_min_u32_e32 v1, 32, v1
	s_delay_alu instid0(VALU_DEP_1) | instskip(NEXT) | instid1(VALU_DEP_1)
	v_subrev_nc_u32_e32 v2, 28, v1
	v_lshlrev_b64_e32 v[2:3], v2, v[4:5]
	s_delay_alu instid0(VALU_DEP_1)
	v_dual_sub_nc_u32 v1, 29, v1 :: v_dual_bitop2_b32 v4, 7, v2 bitop3:0x40
; %bb.703:                              ;   in Loop: Header=BB216_15 Depth=1
	s_or_b32 exec_lo, exec_lo, s17
	v_lshlrev_b32_e32 v2, 16, v0
	s_delay_alu instid0(VALU_DEP_2) | instskip(NEXT) | instid1(VALU_DEP_3)
	v_lshlrev_b32_e32 v3, 20, v4
	v_lshl_add_u32 v1, v1, 23, 0x3c000000
	s_delay_alu instid0(VALU_DEP_3) | instskip(NEXT) | instid1(VALU_DEP_1)
	v_and_b32_e32 v2, 0x80000000, v2
	v_or3_b32 v3, v3, v2, v1
	v_dual_mov_b32 v1, v5 :: v_dual_mov_b32 v2, v5
	s_clause 0x1
	scratch_store_b64 off, v[0:1], s32 offset:192
	scratch_store_b64 off, v[2:3], s32 offset:924
.LBB216_704:                            ;   in Loop: Header=BB216_15 Depth=1
	s_wait_xcnt 0x0
	s_or_b32 exec_lo, exec_lo, s16
.LBB216_705:                            ;   in Loop: Header=BB216_15 Depth=1
	s_delay_alu instid0(SALU_CYCLE_1)
	s_or_b32 exec_lo, exec_lo, s15
.LBB216_706:                            ;   in Loop: Header=BB216_15 Depth=1
	s_delay_alu instid0(SALU_CYCLE_1) | instskip(SKIP_3) | instid1(VALU_DEP_1)
	s_or_b32 exec_lo, exec_lo, s14
	v_mov_b64_e32 v[4:5], 0
	v_lshrrev_b32_e32 v1, 16, v0
	s_mov_b32 s14, exec_lo
	v_and_b32_e32 v2, 0xff, v1
	scratch_store_b64 off, v[4:5], s32 offset:940 ; 8-byte Folded Spill
	s_wait_xcnt 0x0
	v_mov_b64_e32 v[4:5], 0
	scratch_store_b64 off, v[4:5], s32 offset:948 ; 8-byte Folded Spill
	s_wait_xcnt 0x0
	v_cmpx_ne_u16_e32 0, v2
	s_cbranch_execz .LBB216_714
; %bb.707:                              ;   in Loop: Header=BB216_15 Depth=1
	v_cmp_ne_u16_e64 s1, 0x80, v2
	v_mov_b64_e32 v[2:3], 0x80000000
	scratch_store_b64 off, v[2:3], s32 offset:948 ; 8-byte Folded Spill
	s_wait_xcnt 0x0
	s_and_saveexec_b32 s15, s1
	s_cbranch_execz .LBB216_713
; %bb.708:                              ;   in Loop: Header=BB216_15 Depth=1
	v_mov_b64_e32 v[4:5], 0x7f800001
	v_bfe_u32 v3, v0, 16, 7
	s_mov_b32 s16, exec_lo
	scratch_store_b64 off, v[4:5], s32 offset:948 ; 8-byte Folded Spill
	s_wait_xcnt 0x0
	v_cmpx_ne_u32_e32 0x7f, v3
	s_cbranch_execz .LBB216_712
; %bb.709:                              ;   in Loop: Header=BB216_15 Depth=1
	scratch_load_b64 v[6:7], off, s32 offset:192 th:TH_LOAD_LU ; 8-byte Folded Reload
	s_wait_loadcnt 0x0
	v_dual_lshrrev_b32 v2, 3, v3 :: v_dual_bitop2_b32 v6, 7, v1 bitop3:0x40
	s_mov_b32 s17, exec_lo
	s_wait_xcnt 0x0
	v_cmpx_gt_u32_e32 8, v3
; %bb.710:                              ;   in Loop: Header=BB216_15 Depth=1
	s_delay_alu instid0(VALU_DEP_2) | instskip(NEXT) | instid1(VALU_DEP_1)
	v_clz_i32_u32_e32 v2, v6
	v_min_u32_e32 v2, 32, v2
	s_delay_alu instid0(VALU_DEP_1) | instskip(NEXT) | instid1(VALU_DEP_1)
	v_subrev_nc_u32_e32 v3, 28, v2
	v_lshlrev_b64_e32 v[4:5], v3, v[6:7]
	s_delay_alu instid0(VALU_DEP_1)
	v_dual_sub_nc_u32 v2, 29, v2 :: v_dual_bitop2_b32 v6, 7, v4 bitop3:0x40
; %bb.711:                              ;   in Loop: Header=BB216_15 Depth=1
	s_or_b32 exec_lo, exec_lo, s17
	s_delay_alu instid0(VALU_DEP_1) | instskip(NEXT) | instid1(VALU_DEP_2)
	v_dual_lshlrev_b32 v1, 24, v1 :: v_dual_lshlrev_b32 v3, 20, v6
	v_lshl_add_u32 v2, v2, 23, 0x3c000000
	s_delay_alu instid0(VALU_DEP_2) | instskip(NEXT) | instid1(VALU_DEP_1)
	v_and_b32_e32 v1, 0x80000000, v1
	v_or3_b32 v6, v3, v1, v2
	v_mov_b32_e32 v1, v7
	s_clause 0x1
	scratch_store_b64 off, v[0:1], s32 offset:192
	scratch_store_b64 off, v[6:7], s32 offset:948
.LBB216_712:                            ;   in Loop: Header=BB216_15 Depth=1
	s_wait_xcnt 0x0
	s_or_b32 exec_lo, exec_lo, s16
.LBB216_713:                            ;   in Loop: Header=BB216_15 Depth=1
	s_delay_alu instid0(SALU_CYCLE_1)
	s_or_b32 exec_lo, exec_lo, s15
.LBB216_714:                            ;   in Loop: Header=BB216_15 Depth=1
	s_delay_alu instid0(SALU_CYCLE_1) | instskip(NEXT) | instid1(SALU_CYCLE_1)
	s_or_b32 exec_lo, exec_lo, s14
	s_mov_b32 s14, exec_lo
	v_cmpx_lt_u32_e32 0xffffff, v0
	s_cbranch_execz .LBB216_722
; %bb.715:                              ;   in Loop: Header=BB216_15 Depth=1
	v_mov_b64_e32 v[2:3], 0x8000000000000000
	v_lshrrev_b32_e32 v1, 24, v0
	s_mov_b32 s15, exec_lo
	scratch_store_b64 off, v[2:3], s32 offset:940 ; 8-byte Folded Spill
	s_wait_xcnt 0x0
	v_cmpx_ne_u32_e32 0x80, v1
	s_cbranch_execz .LBB216_721
; %bb.716:                              ;   in Loop: Header=BB216_15 Depth=1
	v_mov_b64_e32 v[4:5], 0x7f80000100000000
	v_bfe_u32 v2, v0, 24, 7
	s_mov_b32 s16, exec_lo
	scratch_store_b64 off, v[4:5], s32 offset:940 ; 8-byte Folded Spill
	s_wait_xcnt 0x0
	v_cmpx_ne_u32_e32 0x7f, v2
	s_cbranch_execz .LBB216_720
; %bb.717:                              ;   in Loop: Header=BB216_15 Depth=1
	scratch_load_b64 v[4:5], off, s32 offset:192 th:TH_LOAD_LU ; 8-byte Folded Reload
	s_wait_loadcnt 0x0
	v_dual_lshrrev_b32 v0, 3, v2 :: v_dual_bitop2_b32 v4, 7, v1 bitop3:0x40
	s_mov_b32 s17, exec_lo
	s_wait_xcnt 0x0
	v_cmpx_gt_u32_e32 8, v2
; %bb.718:                              ;   in Loop: Header=BB216_15 Depth=1
	s_delay_alu instid0(VALU_DEP_2) | instskip(NEXT) | instid1(VALU_DEP_1)
	v_clz_i32_u32_e32 v0, v4
	v_min_u32_e32 v0, 32, v0
	s_delay_alu instid0(VALU_DEP_1) | instskip(NEXT) | instid1(VALU_DEP_1)
	v_subrev_nc_u32_e32 v2, 28, v0
	v_lshlrev_b64_e32 v[2:3], v2, v[4:5]
	s_delay_alu instid0(VALU_DEP_1)
	v_dual_sub_nc_u32 v0, 29, v0 :: v_dual_bitop2_b32 v4, 7, v2 bitop3:0x40
; %bb.719:                              ;   in Loop: Header=BB216_15 Depth=1
	s_or_b32 exec_lo, exec_lo, s17
	s_delay_alu instid0(VALU_DEP_1) | instskip(NEXT) | instid1(VALU_DEP_2)
	v_dual_lshlrev_b32 v1, 24, v1 :: v_dual_lshlrev_b32 v2, 20, v4
	v_lshl_add_u32 v0, v0, 23, 0x3c000000
	s_delay_alu instid0(VALU_DEP_2) | instskip(NEXT) | instid1(VALU_DEP_1)
	v_and_b32_e32 v1, 0x80000000, v1
	v_or3_b32 v3, v2, v1, v0
	v_dual_mov_b32 v1, v5 :: v_dual_mov_b32 v2, v5
	s_clause 0x1
	scratch_store_b64 off, v[0:1], s32 offset:192
	scratch_store_b64 off, v[2:3], s32 offset:940
.LBB216_720:                            ;   in Loop: Header=BB216_15 Depth=1
	s_wait_xcnt 0x0
	s_or_b32 exec_lo, exec_lo, s16
.LBB216_721:                            ;   in Loop: Header=BB216_15 Depth=1
	s_delay_alu instid0(SALU_CYCLE_1)
	s_or_b32 exec_lo, exec_lo, s15
.LBB216_722:                            ;   in Loop: Header=BB216_15 Depth=1
	s_delay_alu instid0(SALU_CYCLE_1)
	s_or_b32 exec_lo, exec_lo, s14
	flat_load_b32 v0, v[84:85] offset:2568
	v_mov_b64_e32 v[2:3], 0
	s_mov_b32 s14, exec_lo
	scratch_store_b64 off, v[2:3], s32 offset:956 ; 8-byte Folded Spill
	s_wait_xcnt 0x0
	v_mov_b64_e32 v[2:3], 0
	scratch_store_b64 off, v[2:3], s32 offset:964 ; 8-byte Folded Spill
	s_wait_loadcnt_dscnt 0x0
	v_and_b32_e32 v1, 0xff, v0
	s_wait_xcnt 0x0
	s_delay_alu instid0(VALU_DEP_1)
	v_cmpx_ne_u16_e32 0, v1
	s_cbranch_execz .LBB216_730
; %bb.723:                              ;   in Loop: Header=BB216_15 Depth=1
	v_mov_b64_e32 v[2:3], 0x80000000
	s_mov_b32 s15, exec_lo
	scratch_store_b64 off, v[2:3], s32 offset:964 ; 8-byte Folded Spill
	s_wait_xcnt 0x0
	v_cmpx_ne_u16_e32 0x80, v1
	s_cbranch_execz .LBB216_729
; %bb.724:                              ;   in Loop: Header=BB216_15 Depth=1
	v_mov_b64_e32 v[4:5], 0x7f800001
	v_and_b32_e32 v2, 0x7f, v0
	s_mov_b32 s16, exec_lo
	scratch_store_b64 off, v[4:5], s32 offset:964 ; 8-byte Folded Spill
	s_wait_xcnt 0x0
	v_cmpx_ne_u32_e32 0x7f, v2
	s_cbranch_execz .LBB216_728
; %bb.725:                              ;   in Loop: Header=BB216_15 Depth=1
	scratch_load_b64 v[4:5], off, s32 offset:192 th:TH_LOAD_LU ; 8-byte Folded Reload
	s_wait_loadcnt 0x0
	v_dual_lshrrev_b32 v1, 3, v2 :: v_dual_bitop2_b32 v4, 7, v0 bitop3:0x40
	s_mov_b32 s17, exec_lo
	s_wait_xcnt 0x0
	v_cmpx_gt_u32_e32 8, v2
; %bb.726:                              ;   in Loop: Header=BB216_15 Depth=1
	s_delay_alu instid0(VALU_DEP_2) | instskip(NEXT) | instid1(VALU_DEP_1)
	v_clz_i32_u32_e32 v1, v4
	v_min_u32_e32 v1, 32, v1
	s_delay_alu instid0(VALU_DEP_1) | instskip(NEXT) | instid1(VALU_DEP_1)
	v_subrev_nc_u32_e32 v2, 28, v1
	v_lshlrev_b64_e32 v[2:3], v2, v[4:5]
	s_delay_alu instid0(VALU_DEP_1)
	v_dual_sub_nc_u32 v1, 29, v1 :: v_dual_bitop2_b32 v4, 7, v2 bitop3:0x40
; %bb.727:                              ;   in Loop: Header=BB216_15 Depth=1
	s_or_b32 exec_lo, exec_lo, s17
	v_lshlrev_b32_e32 v2, 24, v0
	s_delay_alu instid0(VALU_DEP_2) | instskip(NEXT) | instid1(VALU_DEP_3)
	v_lshlrev_b32_e32 v3, 20, v4
	v_lshl_add_u32 v1, v1, 23, 0x3c000000
	s_delay_alu instid0(VALU_DEP_3) | instskip(NEXT) | instid1(VALU_DEP_1)
	v_and_b32_e32 v2, 0x80000000, v2
	v_or3_b32 v4, v3, v2, v1
	v_mov_b32_e32 v1, v5
	s_clause 0x1
	scratch_store_b64 off, v[0:1], s32 offset:192
	scratch_store_b64 off, v[4:5], s32 offset:964
.LBB216_728:                            ;   in Loop: Header=BB216_15 Depth=1
	s_wait_xcnt 0x0
	s_or_b32 exec_lo, exec_lo, s16
.LBB216_729:                            ;   in Loop: Header=BB216_15 Depth=1
	s_delay_alu instid0(SALU_CYCLE_1)
	s_or_b32 exec_lo, exec_lo, s15
.LBB216_730:                            ;   in Loop: Header=BB216_15 Depth=1
	s_delay_alu instid0(SALU_CYCLE_1) | instskip(SKIP_2) | instid1(VALU_DEP_1)
	s_or_b32 exec_lo, exec_lo, s14
	v_lshrrev_b16 v1, 8, v0
	s_mov_b32 s14, exec_lo
	v_cmpx_ne_u16_e32 0, v1
	s_cbranch_execz .LBB216_738
; %bb.731:                              ;   in Loop: Header=BB216_15 Depth=1
	v_mov_b64_e32 v[2:3], 0x8000000000000000
	s_mov_b32 s15, exec_lo
	scratch_store_b64 off, v[2:3], s32 offset:956 ; 8-byte Folded Spill
	s_wait_xcnt 0x0
	v_cmpx_ne_u16_e32 0x80, v1
	s_cbranch_execz .LBB216_737
; %bb.732:                              ;   in Loop: Header=BB216_15 Depth=1
	v_and_b32_e32 v1, 0xffff, v1
	v_mov_b64_e32 v[4:5], 0x7f80000100000000
	s_mov_b32 s16, exec_lo
	s_delay_alu instid0(VALU_DEP_2)
	v_and_b32_e32 v2, 0x7f, v1
	scratch_store_b64 off, v[4:5], s32 offset:956 ; 8-byte Folded Spill
	s_wait_xcnt 0x0
	v_cmpx_ne_u32_e32 0x7f, v2
	s_cbranch_execz .LBB216_736
; %bb.733:                              ;   in Loop: Header=BB216_15 Depth=1
	scratch_load_b64 v[4:5], off, s32 offset:192 th:TH_LOAD_LU ; 8-byte Folded Reload
	s_wait_loadcnt 0x0
	v_dual_lshrrev_b32 v1, 3, v2 :: v_dual_bitop2_b32 v4, 7, v1 bitop3:0x40
	s_mov_b32 s17, exec_lo
	s_wait_xcnt 0x0
	v_cmpx_gt_u32_e32 8, v2
; %bb.734:                              ;   in Loop: Header=BB216_15 Depth=1
	s_delay_alu instid0(VALU_DEP_2) | instskip(NEXT) | instid1(VALU_DEP_1)
	v_clz_i32_u32_e32 v1, v4
	v_min_u32_e32 v1, 32, v1
	s_delay_alu instid0(VALU_DEP_1) | instskip(NEXT) | instid1(VALU_DEP_1)
	v_subrev_nc_u32_e32 v2, 28, v1
	v_lshlrev_b64_e32 v[2:3], v2, v[4:5]
	s_delay_alu instid0(VALU_DEP_1)
	v_dual_sub_nc_u32 v1, 29, v1 :: v_dual_bitop2_b32 v4, 7, v2 bitop3:0x40
; %bb.735:                              ;   in Loop: Header=BB216_15 Depth=1
	s_or_b32 exec_lo, exec_lo, s17
	v_lshlrev_b32_e32 v2, 16, v0
	s_delay_alu instid0(VALU_DEP_2) | instskip(NEXT) | instid1(VALU_DEP_3)
	v_lshlrev_b32_e32 v3, 20, v4
	v_lshl_add_u32 v1, v1, 23, 0x3c000000
	s_delay_alu instid0(VALU_DEP_3) | instskip(NEXT) | instid1(VALU_DEP_1)
	v_and_b32_e32 v2, 0x80000000, v2
	v_or3_b32 v3, v3, v2, v1
	v_dual_mov_b32 v1, v5 :: v_dual_mov_b32 v2, v5
	s_clause 0x1
	scratch_store_b64 off, v[0:1], s32 offset:192
	scratch_store_b64 off, v[2:3], s32 offset:956
.LBB216_736:                            ;   in Loop: Header=BB216_15 Depth=1
	s_wait_xcnt 0x0
	s_or_b32 exec_lo, exec_lo, s16
.LBB216_737:                            ;   in Loop: Header=BB216_15 Depth=1
	s_delay_alu instid0(SALU_CYCLE_1)
	s_or_b32 exec_lo, exec_lo, s15
.LBB216_738:                            ;   in Loop: Header=BB216_15 Depth=1
	s_delay_alu instid0(SALU_CYCLE_1) | instskip(SKIP_3) | instid1(VALU_DEP_1)
	s_or_b32 exec_lo, exec_lo, s14
	v_mov_b64_e32 v[4:5], 0
	v_lshrrev_b32_e32 v1, 16, v0
	s_mov_b32 s14, exec_lo
	v_and_b32_e32 v2, 0xff, v1
	scratch_store_b64 off, v[4:5], s32 offset:972 ; 8-byte Folded Spill
	s_wait_xcnt 0x0
	v_mov_b64_e32 v[4:5], 0
	scratch_store_b64 off, v[4:5], s32 offset:980 ; 8-byte Folded Spill
	s_wait_xcnt 0x0
	v_cmpx_ne_u16_e32 0, v2
	s_cbranch_execz .LBB216_746
; %bb.739:                              ;   in Loop: Header=BB216_15 Depth=1
	v_cmp_ne_u16_e64 s1, 0x80, v2
	v_mov_b64_e32 v[2:3], 0x80000000
	scratch_store_b64 off, v[2:3], s32 offset:980 ; 8-byte Folded Spill
	s_wait_xcnt 0x0
	s_and_saveexec_b32 s15, s1
	s_cbranch_execz .LBB216_745
; %bb.740:                              ;   in Loop: Header=BB216_15 Depth=1
	v_mov_b64_e32 v[4:5], 0x7f800001
	v_bfe_u32 v3, v0, 16, 7
	s_mov_b32 s16, exec_lo
	scratch_store_b64 off, v[4:5], s32 offset:980 ; 8-byte Folded Spill
	s_wait_xcnt 0x0
	v_cmpx_ne_u32_e32 0x7f, v3
	s_cbranch_execz .LBB216_744
; %bb.741:                              ;   in Loop: Header=BB216_15 Depth=1
	scratch_load_b64 v[6:7], off, s32 offset:192 th:TH_LOAD_LU ; 8-byte Folded Reload
	s_wait_loadcnt 0x0
	v_dual_lshrrev_b32 v2, 3, v3 :: v_dual_bitop2_b32 v6, 7, v1 bitop3:0x40
	s_mov_b32 s17, exec_lo
	s_wait_xcnt 0x0
	v_cmpx_gt_u32_e32 8, v3
; %bb.742:                              ;   in Loop: Header=BB216_15 Depth=1
	s_delay_alu instid0(VALU_DEP_2) | instskip(NEXT) | instid1(VALU_DEP_1)
	v_clz_i32_u32_e32 v2, v6
	v_min_u32_e32 v2, 32, v2
	s_delay_alu instid0(VALU_DEP_1) | instskip(NEXT) | instid1(VALU_DEP_1)
	v_subrev_nc_u32_e32 v3, 28, v2
	v_lshlrev_b64_e32 v[4:5], v3, v[6:7]
	s_delay_alu instid0(VALU_DEP_1)
	v_dual_sub_nc_u32 v2, 29, v2 :: v_dual_bitop2_b32 v6, 7, v4 bitop3:0x40
; %bb.743:                              ;   in Loop: Header=BB216_15 Depth=1
	s_or_b32 exec_lo, exec_lo, s17
	s_delay_alu instid0(VALU_DEP_1) | instskip(NEXT) | instid1(VALU_DEP_2)
	v_dual_lshlrev_b32 v1, 24, v1 :: v_dual_lshlrev_b32 v3, 20, v6
	v_lshl_add_u32 v2, v2, 23, 0x3c000000
	s_delay_alu instid0(VALU_DEP_2) | instskip(NEXT) | instid1(VALU_DEP_1)
	v_and_b32_e32 v1, 0x80000000, v1
	v_or3_b32 v6, v3, v1, v2
	v_mov_b32_e32 v1, v7
	s_clause 0x1
	scratch_store_b64 off, v[0:1], s32 offset:192
	scratch_store_b64 off, v[6:7], s32 offset:980
.LBB216_744:                            ;   in Loop: Header=BB216_15 Depth=1
	s_wait_xcnt 0x0
	s_or_b32 exec_lo, exec_lo, s16
.LBB216_745:                            ;   in Loop: Header=BB216_15 Depth=1
	s_delay_alu instid0(SALU_CYCLE_1)
	s_or_b32 exec_lo, exec_lo, s15
.LBB216_746:                            ;   in Loop: Header=BB216_15 Depth=1
	s_delay_alu instid0(SALU_CYCLE_1) | instskip(NEXT) | instid1(SALU_CYCLE_1)
	s_or_b32 exec_lo, exec_lo, s14
	s_mov_b32 s14, exec_lo
	v_cmpx_lt_u32_e32 0xffffff, v0
	s_cbranch_execz .LBB216_754
; %bb.747:                              ;   in Loop: Header=BB216_15 Depth=1
	v_mov_b64_e32 v[2:3], 0x8000000000000000
	v_lshrrev_b32_e32 v1, 24, v0
	s_mov_b32 s15, exec_lo
	scratch_store_b64 off, v[2:3], s32 offset:972 ; 8-byte Folded Spill
	s_wait_xcnt 0x0
	v_cmpx_ne_u32_e32 0x80, v1
	s_cbranch_execz .LBB216_753
; %bb.748:                              ;   in Loop: Header=BB216_15 Depth=1
	v_mov_b64_e32 v[4:5], 0x7f80000100000000
	v_bfe_u32 v2, v0, 24, 7
	s_mov_b32 s16, exec_lo
	scratch_store_b64 off, v[4:5], s32 offset:972 ; 8-byte Folded Spill
	s_wait_xcnt 0x0
	v_cmpx_ne_u32_e32 0x7f, v2
	s_cbranch_execz .LBB216_752
; %bb.749:                              ;   in Loop: Header=BB216_15 Depth=1
	scratch_load_b64 v[4:5], off, s32 offset:192 th:TH_LOAD_LU ; 8-byte Folded Reload
	s_wait_loadcnt 0x0
	v_dual_lshrrev_b32 v0, 3, v2 :: v_dual_bitop2_b32 v4, 7, v1 bitop3:0x40
	s_mov_b32 s17, exec_lo
	s_wait_xcnt 0x0
	v_cmpx_gt_u32_e32 8, v2
; %bb.750:                              ;   in Loop: Header=BB216_15 Depth=1
	s_delay_alu instid0(VALU_DEP_2) | instskip(NEXT) | instid1(VALU_DEP_1)
	v_clz_i32_u32_e32 v0, v4
	v_min_u32_e32 v0, 32, v0
	s_delay_alu instid0(VALU_DEP_1) | instskip(NEXT) | instid1(VALU_DEP_1)
	v_subrev_nc_u32_e32 v2, 28, v0
	v_lshlrev_b64_e32 v[2:3], v2, v[4:5]
	s_delay_alu instid0(VALU_DEP_1)
	v_dual_sub_nc_u32 v0, 29, v0 :: v_dual_bitop2_b32 v4, 7, v2 bitop3:0x40
; %bb.751:                              ;   in Loop: Header=BB216_15 Depth=1
	s_or_b32 exec_lo, exec_lo, s17
	s_delay_alu instid0(VALU_DEP_1) | instskip(NEXT) | instid1(VALU_DEP_2)
	v_dual_lshlrev_b32 v1, 24, v1 :: v_dual_lshlrev_b32 v2, 20, v4
	v_lshl_add_u32 v0, v0, 23, 0x3c000000
	s_delay_alu instid0(VALU_DEP_2) | instskip(NEXT) | instid1(VALU_DEP_1)
	v_and_b32_e32 v1, 0x80000000, v1
	v_or3_b32 v3, v2, v1, v0
	v_dual_mov_b32 v1, v5 :: v_dual_mov_b32 v2, v5
	s_clause 0x1
	scratch_store_b64 off, v[0:1], s32 offset:192
	scratch_store_b64 off, v[2:3], s32 offset:972
.LBB216_752:                            ;   in Loop: Header=BB216_15 Depth=1
	s_wait_xcnt 0x0
	s_or_b32 exec_lo, exec_lo, s16
.LBB216_753:                            ;   in Loop: Header=BB216_15 Depth=1
	s_delay_alu instid0(SALU_CYCLE_1)
	s_or_b32 exec_lo, exec_lo, s15
.LBB216_754:                            ;   in Loop: Header=BB216_15 Depth=1
	s_delay_alu instid0(SALU_CYCLE_1)
	s_or_b32 exec_lo, exec_lo, s14
	flat_load_b32 v0, v[84:85] offset:2572
	v_mov_b64_e32 v[2:3], 0
	s_mov_b32 s14, exec_lo
	scratch_store_b64 off, v[2:3], s32 offset:988 ; 8-byte Folded Spill
	s_wait_xcnt 0x0
	v_mov_b64_e32 v[2:3], 0
	scratch_store_b64 off, v[2:3], s32 offset:996 ; 8-byte Folded Spill
	s_wait_loadcnt_dscnt 0x0
	v_and_b32_e32 v1, 0xff, v0
	s_wait_xcnt 0x0
	s_delay_alu instid0(VALU_DEP_1)
	v_cmpx_ne_u16_e32 0, v1
	s_cbranch_execz .LBB216_762
; %bb.755:                              ;   in Loop: Header=BB216_15 Depth=1
	v_mov_b64_e32 v[2:3], 0x80000000
	s_mov_b32 s15, exec_lo
	scratch_store_b64 off, v[2:3], s32 offset:996 ; 8-byte Folded Spill
	s_wait_xcnt 0x0
	v_cmpx_ne_u16_e32 0x80, v1
	s_cbranch_execz .LBB216_761
; %bb.756:                              ;   in Loop: Header=BB216_15 Depth=1
	v_mov_b64_e32 v[4:5], 0x7f800001
	v_and_b32_e32 v2, 0x7f, v0
	s_mov_b32 s16, exec_lo
	scratch_store_b64 off, v[4:5], s32 offset:996 ; 8-byte Folded Spill
	s_wait_xcnt 0x0
	v_cmpx_ne_u32_e32 0x7f, v2
	s_cbranch_execz .LBB216_760
; %bb.757:                              ;   in Loop: Header=BB216_15 Depth=1
	scratch_load_b64 v[4:5], off, s32 offset:192 th:TH_LOAD_LU ; 8-byte Folded Reload
	s_wait_loadcnt 0x0
	v_dual_lshrrev_b32 v1, 3, v2 :: v_dual_bitop2_b32 v4, 7, v0 bitop3:0x40
	s_mov_b32 s17, exec_lo
	s_wait_xcnt 0x0
	v_cmpx_gt_u32_e32 8, v2
; %bb.758:                              ;   in Loop: Header=BB216_15 Depth=1
	s_delay_alu instid0(VALU_DEP_2) | instskip(NEXT) | instid1(VALU_DEP_1)
	v_clz_i32_u32_e32 v1, v4
	v_min_u32_e32 v1, 32, v1
	s_delay_alu instid0(VALU_DEP_1) | instskip(NEXT) | instid1(VALU_DEP_1)
	v_subrev_nc_u32_e32 v2, 28, v1
	v_lshlrev_b64_e32 v[2:3], v2, v[4:5]
	s_delay_alu instid0(VALU_DEP_1)
	v_dual_sub_nc_u32 v1, 29, v1 :: v_dual_bitop2_b32 v4, 7, v2 bitop3:0x40
; %bb.759:                              ;   in Loop: Header=BB216_15 Depth=1
	s_or_b32 exec_lo, exec_lo, s17
	v_lshlrev_b32_e32 v2, 24, v0
	s_delay_alu instid0(VALU_DEP_2) | instskip(NEXT) | instid1(VALU_DEP_3)
	v_lshlrev_b32_e32 v3, 20, v4
	v_lshl_add_u32 v1, v1, 23, 0x3c000000
	s_delay_alu instid0(VALU_DEP_3) | instskip(NEXT) | instid1(VALU_DEP_1)
	v_and_b32_e32 v2, 0x80000000, v2
	v_or3_b32 v4, v3, v2, v1
	v_mov_b32_e32 v1, v5
	s_clause 0x1
	scratch_store_b64 off, v[0:1], s32 offset:192
	scratch_store_b64 off, v[4:5], s32 offset:996
.LBB216_760:                            ;   in Loop: Header=BB216_15 Depth=1
	s_wait_xcnt 0x0
	s_or_b32 exec_lo, exec_lo, s16
.LBB216_761:                            ;   in Loop: Header=BB216_15 Depth=1
	s_delay_alu instid0(SALU_CYCLE_1)
	s_or_b32 exec_lo, exec_lo, s15
.LBB216_762:                            ;   in Loop: Header=BB216_15 Depth=1
	s_delay_alu instid0(SALU_CYCLE_1) | instskip(SKIP_2) | instid1(VALU_DEP_1)
	s_or_b32 exec_lo, exec_lo, s14
	v_lshrrev_b16 v1, 8, v0
	s_mov_b32 s14, exec_lo
	v_cmpx_ne_u16_e32 0, v1
	s_cbranch_execz .LBB216_770
; %bb.763:                              ;   in Loop: Header=BB216_15 Depth=1
	v_mov_b64_e32 v[2:3], 0x8000000000000000
	s_mov_b32 s15, exec_lo
	scratch_store_b64 off, v[2:3], s32 offset:988 ; 8-byte Folded Spill
	s_wait_xcnt 0x0
	v_cmpx_ne_u16_e32 0x80, v1
	s_cbranch_execz .LBB216_769
; %bb.764:                              ;   in Loop: Header=BB216_15 Depth=1
	v_and_b32_e32 v1, 0xffff, v1
	v_mov_b64_e32 v[4:5], 0x7f80000100000000
	s_mov_b32 s16, exec_lo
	s_delay_alu instid0(VALU_DEP_2)
	v_and_b32_e32 v2, 0x7f, v1
	scratch_store_b64 off, v[4:5], s32 offset:988 ; 8-byte Folded Spill
	s_wait_xcnt 0x0
	v_cmpx_ne_u32_e32 0x7f, v2
	s_cbranch_execz .LBB216_768
; %bb.765:                              ;   in Loop: Header=BB216_15 Depth=1
	scratch_load_b64 v[4:5], off, s32 offset:192 th:TH_LOAD_LU ; 8-byte Folded Reload
	s_wait_loadcnt 0x0
	v_dual_lshrrev_b32 v1, 3, v2 :: v_dual_bitop2_b32 v4, 7, v1 bitop3:0x40
	s_mov_b32 s17, exec_lo
	s_wait_xcnt 0x0
	v_cmpx_gt_u32_e32 8, v2
; %bb.766:                              ;   in Loop: Header=BB216_15 Depth=1
	s_delay_alu instid0(VALU_DEP_2) | instskip(NEXT) | instid1(VALU_DEP_1)
	v_clz_i32_u32_e32 v1, v4
	v_min_u32_e32 v1, 32, v1
	s_delay_alu instid0(VALU_DEP_1) | instskip(NEXT) | instid1(VALU_DEP_1)
	v_subrev_nc_u32_e32 v2, 28, v1
	v_lshlrev_b64_e32 v[2:3], v2, v[4:5]
	s_delay_alu instid0(VALU_DEP_1)
	v_dual_sub_nc_u32 v1, 29, v1 :: v_dual_bitop2_b32 v4, 7, v2 bitop3:0x40
; %bb.767:                              ;   in Loop: Header=BB216_15 Depth=1
	s_or_b32 exec_lo, exec_lo, s17
	v_lshlrev_b32_e32 v2, 16, v0
	s_delay_alu instid0(VALU_DEP_2) | instskip(NEXT) | instid1(VALU_DEP_3)
	v_lshlrev_b32_e32 v3, 20, v4
	v_lshl_add_u32 v1, v1, 23, 0x3c000000
	s_delay_alu instid0(VALU_DEP_3) | instskip(NEXT) | instid1(VALU_DEP_1)
	v_and_b32_e32 v2, 0x80000000, v2
	v_or3_b32 v3, v3, v2, v1
	v_dual_mov_b32 v1, v5 :: v_dual_mov_b32 v2, v5
	s_clause 0x1
	scratch_store_b64 off, v[0:1], s32 offset:192
	scratch_store_b64 off, v[2:3], s32 offset:988
.LBB216_768:                            ;   in Loop: Header=BB216_15 Depth=1
	s_wait_xcnt 0x0
	s_or_b32 exec_lo, exec_lo, s16
.LBB216_769:                            ;   in Loop: Header=BB216_15 Depth=1
	s_delay_alu instid0(SALU_CYCLE_1)
	s_or_b32 exec_lo, exec_lo, s15
.LBB216_770:                            ;   in Loop: Header=BB216_15 Depth=1
	s_delay_alu instid0(SALU_CYCLE_1) | instskip(SKIP_3) | instid1(VALU_DEP_1)
	s_or_b32 exec_lo, exec_lo, s14
	v_mov_b64_e32 v[4:5], 0
	v_lshrrev_b32_e32 v1, 16, v0
	s_mov_b32 s14, exec_lo
	v_and_b32_e32 v2, 0xff, v1
	scratch_store_b64 off, v[4:5], s32 offset:1004 ; 8-byte Folded Spill
	s_wait_xcnt 0x0
	v_mov_b64_e32 v[4:5], 0
	scratch_store_b64 off, v[4:5], s32 offset:1012 ; 8-byte Folded Spill
	s_wait_xcnt 0x0
	v_cmpx_ne_u16_e32 0, v2
	s_cbranch_execz .LBB216_778
; %bb.771:                              ;   in Loop: Header=BB216_15 Depth=1
	v_cmp_ne_u16_e64 s1, 0x80, v2
	v_mov_b64_e32 v[2:3], 0x80000000
	scratch_store_b64 off, v[2:3], s32 offset:1012 ; 8-byte Folded Spill
	s_wait_xcnt 0x0
	s_and_saveexec_b32 s15, s1
	s_cbranch_execz .LBB216_777
; %bb.772:                              ;   in Loop: Header=BB216_15 Depth=1
	v_mov_b64_e32 v[4:5], 0x7f800001
	v_bfe_u32 v3, v0, 16, 7
	s_mov_b32 s16, exec_lo
	scratch_store_b64 off, v[4:5], s32 offset:1012 ; 8-byte Folded Spill
	s_wait_xcnt 0x0
	v_cmpx_ne_u32_e32 0x7f, v3
	s_cbranch_execz .LBB216_776
; %bb.773:                              ;   in Loop: Header=BB216_15 Depth=1
	scratch_load_b64 v[6:7], off, s32 offset:192 th:TH_LOAD_LU ; 8-byte Folded Reload
	s_wait_loadcnt 0x0
	v_dual_lshrrev_b32 v2, 3, v3 :: v_dual_bitop2_b32 v6, 7, v1 bitop3:0x40
	s_mov_b32 s17, exec_lo
	s_wait_xcnt 0x0
	v_cmpx_gt_u32_e32 8, v3
; %bb.774:                              ;   in Loop: Header=BB216_15 Depth=1
	s_delay_alu instid0(VALU_DEP_2) | instskip(NEXT) | instid1(VALU_DEP_1)
	v_clz_i32_u32_e32 v2, v6
	v_min_u32_e32 v2, 32, v2
	s_delay_alu instid0(VALU_DEP_1) | instskip(NEXT) | instid1(VALU_DEP_1)
	v_subrev_nc_u32_e32 v3, 28, v2
	v_lshlrev_b64_e32 v[4:5], v3, v[6:7]
	s_delay_alu instid0(VALU_DEP_1)
	v_dual_sub_nc_u32 v2, 29, v2 :: v_dual_bitop2_b32 v6, 7, v4 bitop3:0x40
; %bb.775:                              ;   in Loop: Header=BB216_15 Depth=1
	s_or_b32 exec_lo, exec_lo, s17
	s_delay_alu instid0(VALU_DEP_1) | instskip(NEXT) | instid1(VALU_DEP_2)
	v_dual_lshlrev_b32 v1, 24, v1 :: v_dual_lshlrev_b32 v3, 20, v6
	v_lshl_add_u32 v2, v2, 23, 0x3c000000
	s_delay_alu instid0(VALU_DEP_2) | instskip(NEXT) | instid1(VALU_DEP_1)
	v_and_b32_e32 v1, 0x80000000, v1
	v_or3_b32 v6, v3, v1, v2
	v_mov_b32_e32 v1, v7
	s_clause 0x1
	scratch_store_b64 off, v[0:1], s32 offset:192
	scratch_store_b64 off, v[6:7], s32 offset:1012
.LBB216_776:                            ;   in Loop: Header=BB216_15 Depth=1
	s_wait_xcnt 0x0
	s_or_b32 exec_lo, exec_lo, s16
.LBB216_777:                            ;   in Loop: Header=BB216_15 Depth=1
	s_delay_alu instid0(SALU_CYCLE_1)
	s_or_b32 exec_lo, exec_lo, s15
.LBB216_778:                            ;   in Loop: Header=BB216_15 Depth=1
	s_delay_alu instid0(SALU_CYCLE_1) | instskip(NEXT) | instid1(SALU_CYCLE_1)
	s_or_b32 exec_lo, exec_lo, s14
	s_mov_b32 s14, exec_lo
	v_cmpx_lt_u32_e32 0xffffff, v0
	s_cbranch_execz .LBB216_786
; %bb.779:                              ;   in Loop: Header=BB216_15 Depth=1
	v_mov_b64_e32 v[2:3], 0x8000000000000000
	v_lshrrev_b32_e32 v1, 24, v0
	s_mov_b32 s15, exec_lo
	scratch_store_b64 off, v[2:3], s32 offset:1004 ; 8-byte Folded Spill
	s_wait_xcnt 0x0
	v_cmpx_ne_u32_e32 0x80, v1
	s_cbranch_execz .LBB216_785
; %bb.780:                              ;   in Loop: Header=BB216_15 Depth=1
	v_mov_b64_e32 v[4:5], 0x7f80000100000000
	v_bfe_u32 v2, v0, 24, 7
	s_mov_b32 s16, exec_lo
	scratch_store_b64 off, v[4:5], s32 offset:1004 ; 8-byte Folded Spill
	s_wait_xcnt 0x0
	v_cmpx_ne_u32_e32 0x7f, v2
	s_cbranch_execz .LBB216_784
; %bb.781:                              ;   in Loop: Header=BB216_15 Depth=1
	scratch_load_b64 v[4:5], off, s32 offset:192 th:TH_LOAD_LU ; 8-byte Folded Reload
	s_wait_loadcnt 0x0
	v_dual_lshrrev_b32 v0, 3, v2 :: v_dual_bitop2_b32 v4, 7, v1 bitop3:0x40
	s_mov_b32 s17, exec_lo
	s_wait_xcnt 0x0
	v_cmpx_gt_u32_e32 8, v2
; %bb.782:                              ;   in Loop: Header=BB216_15 Depth=1
	s_delay_alu instid0(VALU_DEP_2) | instskip(NEXT) | instid1(VALU_DEP_1)
	v_clz_i32_u32_e32 v0, v4
	v_min_u32_e32 v0, 32, v0
	s_delay_alu instid0(VALU_DEP_1) | instskip(NEXT) | instid1(VALU_DEP_1)
	v_subrev_nc_u32_e32 v2, 28, v0
	v_lshlrev_b64_e32 v[2:3], v2, v[4:5]
	s_delay_alu instid0(VALU_DEP_1)
	v_dual_sub_nc_u32 v0, 29, v0 :: v_dual_bitop2_b32 v4, 7, v2 bitop3:0x40
; %bb.783:                              ;   in Loop: Header=BB216_15 Depth=1
	s_or_b32 exec_lo, exec_lo, s17
	s_delay_alu instid0(VALU_DEP_1) | instskip(NEXT) | instid1(VALU_DEP_2)
	v_dual_lshlrev_b32 v1, 24, v1 :: v_dual_lshlrev_b32 v2, 20, v4
	v_lshl_add_u32 v0, v0, 23, 0x3c000000
	s_delay_alu instid0(VALU_DEP_2) | instskip(NEXT) | instid1(VALU_DEP_1)
	v_and_b32_e32 v1, 0x80000000, v1
	v_or3_b32 v3, v2, v1, v0
	v_dual_mov_b32 v1, v5 :: v_dual_mov_b32 v2, v5
	s_clause 0x1
	scratch_store_b64 off, v[0:1], s32 offset:192
	scratch_store_b64 off, v[2:3], s32 offset:1004
.LBB216_784:                            ;   in Loop: Header=BB216_15 Depth=1
	s_wait_xcnt 0x0
	s_or_b32 exec_lo, exec_lo, s16
.LBB216_785:                            ;   in Loop: Header=BB216_15 Depth=1
	s_delay_alu instid0(SALU_CYCLE_1)
	s_or_b32 exec_lo, exec_lo, s15
.LBB216_786:                            ;   in Loop: Header=BB216_15 Depth=1
	s_delay_alu instid0(SALU_CYCLE_1)
	s_or_b32 exec_lo, exec_lo, s14
	flat_load_b32 v0, v[84:85] offset:3072
	v_mov_b64_e32 v[2:3], 0
	s_mov_b32 s14, exec_lo
	scratch_store_b64 off, v[2:3], s32 offset:1020 ; 8-byte Folded Spill
	s_wait_xcnt 0x0
	v_mov_b64_e32 v[2:3], 0
	scratch_store_b64 off, v[2:3], s32 offset:1028 ; 8-byte Folded Spill
	s_wait_loadcnt_dscnt 0x0
	v_and_b32_e32 v1, 0xff, v0
	s_wait_xcnt 0x0
	s_delay_alu instid0(VALU_DEP_1)
	v_cmpx_ne_u16_e32 0, v1
	s_cbranch_execz .LBB216_794
; %bb.787:                              ;   in Loop: Header=BB216_15 Depth=1
	v_mov_b64_e32 v[2:3], 0x80000000
	s_mov_b32 s15, exec_lo
	scratch_store_b64 off, v[2:3], s32 offset:1028 ; 8-byte Folded Spill
	s_wait_xcnt 0x0
	v_cmpx_ne_u16_e32 0x80, v1
	s_cbranch_execz .LBB216_793
; %bb.788:                              ;   in Loop: Header=BB216_15 Depth=1
	v_mov_b64_e32 v[4:5], 0x7f800001
	v_and_b32_e32 v2, 0x7f, v0
	s_mov_b32 s16, exec_lo
	scratch_store_b64 off, v[4:5], s32 offset:1028 ; 8-byte Folded Spill
	s_wait_xcnt 0x0
	v_cmpx_ne_u32_e32 0x7f, v2
	s_cbranch_execz .LBB216_792
; %bb.789:                              ;   in Loop: Header=BB216_15 Depth=1
	scratch_load_b64 v[4:5], off, s32 offset:192 th:TH_LOAD_LU ; 8-byte Folded Reload
	s_wait_loadcnt 0x0
	v_dual_lshrrev_b32 v1, 3, v2 :: v_dual_bitop2_b32 v4, 7, v0 bitop3:0x40
	s_mov_b32 s17, exec_lo
	s_wait_xcnt 0x0
	v_cmpx_gt_u32_e32 8, v2
; %bb.790:                              ;   in Loop: Header=BB216_15 Depth=1
	s_delay_alu instid0(VALU_DEP_2) | instskip(NEXT) | instid1(VALU_DEP_1)
	v_clz_i32_u32_e32 v1, v4
	v_min_u32_e32 v1, 32, v1
	s_delay_alu instid0(VALU_DEP_1) | instskip(NEXT) | instid1(VALU_DEP_1)
	v_subrev_nc_u32_e32 v2, 28, v1
	v_lshlrev_b64_e32 v[2:3], v2, v[4:5]
	s_delay_alu instid0(VALU_DEP_1)
	v_dual_sub_nc_u32 v1, 29, v1 :: v_dual_bitop2_b32 v4, 7, v2 bitop3:0x40
; %bb.791:                              ;   in Loop: Header=BB216_15 Depth=1
	s_or_b32 exec_lo, exec_lo, s17
	v_lshlrev_b32_e32 v2, 24, v0
	s_delay_alu instid0(VALU_DEP_2) | instskip(NEXT) | instid1(VALU_DEP_3)
	v_lshlrev_b32_e32 v3, 20, v4
	v_lshl_add_u32 v1, v1, 23, 0x3c000000
	s_delay_alu instid0(VALU_DEP_3) | instskip(NEXT) | instid1(VALU_DEP_1)
	v_and_b32_e32 v2, 0x80000000, v2
	v_or3_b32 v4, v3, v2, v1
	v_mov_b32_e32 v1, v5
	s_clause 0x1
	scratch_store_b64 off, v[0:1], s32 offset:192
	scratch_store_b64 off, v[4:5], s32 offset:1028
.LBB216_792:                            ;   in Loop: Header=BB216_15 Depth=1
	s_wait_xcnt 0x0
	s_or_b32 exec_lo, exec_lo, s16
.LBB216_793:                            ;   in Loop: Header=BB216_15 Depth=1
	s_delay_alu instid0(SALU_CYCLE_1)
	s_or_b32 exec_lo, exec_lo, s15
.LBB216_794:                            ;   in Loop: Header=BB216_15 Depth=1
	s_delay_alu instid0(SALU_CYCLE_1) | instskip(SKIP_2) | instid1(VALU_DEP_1)
	s_or_b32 exec_lo, exec_lo, s14
	v_lshrrev_b16 v1, 8, v0
	s_mov_b32 s14, exec_lo
	v_cmpx_ne_u16_e32 0, v1
	s_cbranch_execz .LBB216_802
; %bb.795:                              ;   in Loop: Header=BB216_15 Depth=1
	v_mov_b64_e32 v[2:3], 0x8000000000000000
	s_mov_b32 s15, exec_lo
	scratch_store_b64 off, v[2:3], s32 offset:1020 ; 8-byte Folded Spill
	s_wait_xcnt 0x0
	v_cmpx_ne_u16_e32 0x80, v1
	s_cbranch_execz .LBB216_801
; %bb.796:                              ;   in Loop: Header=BB216_15 Depth=1
	v_and_b32_e32 v1, 0xffff, v1
	v_mov_b64_e32 v[4:5], 0x7f80000100000000
	s_mov_b32 s16, exec_lo
	s_delay_alu instid0(VALU_DEP_2)
	v_and_b32_e32 v2, 0x7f, v1
	scratch_store_b64 off, v[4:5], s32 offset:1020 ; 8-byte Folded Spill
	s_wait_xcnt 0x0
	v_cmpx_ne_u32_e32 0x7f, v2
	s_cbranch_execz .LBB216_800
; %bb.797:                              ;   in Loop: Header=BB216_15 Depth=1
	scratch_load_b64 v[4:5], off, s32 offset:192 th:TH_LOAD_LU ; 8-byte Folded Reload
	s_wait_loadcnt 0x0
	v_dual_lshrrev_b32 v1, 3, v2 :: v_dual_bitop2_b32 v4, 7, v1 bitop3:0x40
	s_mov_b32 s17, exec_lo
	s_wait_xcnt 0x0
	v_cmpx_gt_u32_e32 8, v2
; %bb.798:                              ;   in Loop: Header=BB216_15 Depth=1
	s_delay_alu instid0(VALU_DEP_2) | instskip(NEXT) | instid1(VALU_DEP_1)
	v_clz_i32_u32_e32 v1, v4
	v_min_u32_e32 v1, 32, v1
	s_delay_alu instid0(VALU_DEP_1) | instskip(NEXT) | instid1(VALU_DEP_1)
	v_subrev_nc_u32_e32 v2, 28, v1
	v_lshlrev_b64_e32 v[2:3], v2, v[4:5]
	s_delay_alu instid0(VALU_DEP_1)
	v_dual_sub_nc_u32 v1, 29, v1 :: v_dual_bitop2_b32 v4, 7, v2 bitop3:0x40
; %bb.799:                              ;   in Loop: Header=BB216_15 Depth=1
	s_or_b32 exec_lo, exec_lo, s17
	v_lshlrev_b32_e32 v2, 16, v0
	s_delay_alu instid0(VALU_DEP_2) | instskip(NEXT) | instid1(VALU_DEP_3)
	v_lshlrev_b32_e32 v3, 20, v4
	v_lshl_add_u32 v1, v1, 23, 0x3c000000
	s_delay_alu instid0(VALU_DEP_3) | instskip(NEXT) | instid1(VALU_DEP_1)
	v_and_b32_e32 v2, 0x80000000, v2
	v_or3_b32 v3, v3, v2, v1
	v_dual_mov_b32 v1, v5 :: v_dual_mov_b32 v2, v5
	s_clause 0x1
	scratch_store_b64 off, v[0:1], s32 offset:192
	scratch_store_b64 off, v[2:3], s32 offset:1020
.LBB216_800:                            ;   in Loop: Header=BB216_15 Depth=1
	s_wait_xcnt 0x0
	s_or_b32 exec_lo, exec_lo, s16
.LBB216_801:                            ;   in Loop: Header=BB216_15 Depth=1
	s_delay_alu instid0(SALU_CYCLE_1)
	s_or_b32 exec_lo, exec_lo, s15
.LBB216_802:                            ;   in Loop: Header=BB216_15 Depth=1
	s_delay_alu instid0(SALU_CYCLE_1) | instskip(SKIP_3) | instid1(VALU_DEP_1)
	s_or_b32 exec_lo, exec_lo, s14
	v_mov_b64_e32 v[4:5], 0
	v_lshrrev_b32_e32 v1, 16, v0
	s_mov_b32 s14, exec_lo
	v_and_b32_e32 v2, 0xff, v1
	scratch_store_b64 off, v[4:5], s32 offset:1036 ; 8-byte Folded Spill
	s_wait_xcnt 0x0
	v_mov_b64_e32 v[4:5], 0
	scratch_store_b64 off, v[4:5], s32 offset:1044 ; 8-byte Folded Spill
	s_wait_xcnt 0x0
	v_cmpx_ne_u16_e32 0, v2
	s_cbranch_execz .LBB216_810
; %bb.803:                              ;   in Loop: Header=BB216_15 Depth=1
	v_cmp_ne_u16_e64 s1, 0x80, v2
	v_mov_b64_e32 v[2:3], 0x80000000
	scratch_store_b64 off, v[2:3], s32 offset:1044 ; 8-byte Folded Spill
	s_wait_xcnt 0x0
	s_and_saveexec_b32 s15, s1
	s_cbranch_execz .LBB216_809
; %bb.804:                              ;   in Loop: Header=BB216_15 Depth=1
	v_mov_b64_e32 v[4:5], 0x7f800001
	v_bfe_u32 v3, v0, 16, 7
	s_mov_b32 s16, exec_lo
	scratch_store_b64 off, v[4:5], s32 offset:1044 ; 8-byte Folded Spill
	s_wait_xcnt 0x0
	v_cmpx_ne_u32_e32 0x7f, v3
	s_cbranch_execz .LBB216_808
; %bb.805:                              ;   in Loop: Header=BB216_15 Depth=1
	scratch_load_b64 v[6:7], off, s32 offset:192 th:TH_LOAD_LU ; 8-byte Folded Reload
	s_wait_loadcnt 0x0
	v_dual_lshrrev_b32 v2, 3, v3 :: v_dual_bitop2_b32 v6, 7, v1 bitop3:0x40
	s_mov_b32 s17, exec_lo
	s_wait_xcnt 0x0
	v_cmpx_gt_u32_e32 8, v3
; %bb.806:                              ;   in Loop: Header=BB216_15 Depth=1
	s_delay_alu instid0(VALU_DEP_2) | instskip(NEXT) | instid1(VALU_DEP_1)
	v_clz_i32_u32_e32 v2, v6
	v_min_u32_e32 v2, 32, v2
	s_delay_alu instid0(VALU_DEP_1) | instskip(NEXT) | instid1(VALU_DEP_1)
	v_subrev_nc_u32_e32 v3, 28, v2
	v_lshlrev_b64_e32 v[4:5], v3, v[6:7]
	s_delay_alu instid0(VALU_DEP_1)
	v_dual_sub_nc_u32 v2, 29, v2 :: v_dual_bitop2_b32 v6, 7, v4 bitop3:0x40
; %bb.807:                              ;   in Loop: Header=BB216_15 Depth=1
	s_or_b32 exec_lo, exec_lo, s17
	s_delay_alu instid0(VALU_DEP_1) | instskip(NEXT) | instid1(VALU_DEP_2)
	v_dual_lshlrev_b32 v1, 24, v1 :: v_dual_lshlrev_b32 v3, 20, v6
	v_lshl_add_u32 v2, v2, 23, 0x3c000000
	s_delay_alu instid0(VALU_DEP_2) | instskip(NEXT) | instid1(VALU_DEP_1)
	v_and_b32_e32 v1, 0x80000000, v1
	v_or3_b32 v6, v3, v1, v2
	v_mov_b32_e32 v1, v7
	s_clause 0x1
	scratch_store_b64 off, v[0:1], s32 offset:192
	scratch_store_b64 off, v[6:7], s32 offset:1044
.LBB216_808:                            ;   in Loop: Header=BB216_15 Depth=1
	s_wait_xcnt 0x0
	s_or_b32 exec_lo, exec_lo, s16
.LBB216_809:                            ;   in Loop: Header=BB216_15 Depth=1
	s_delay_alu instid0(SALU_CYCLE_1)
	s_or_b32 exec_lo, exec_lo, s15
.LBB216_810:                            ;   in Loop: Header=BB216_15 Depth=1
	s_delay_alu instid0(SALU_CYCLE_1) | instskip(NEXT) | instid1(SALU_CYCLE_1)
	s_or_b32 exec_lo, exec_lo, s14
	s_mov_b32 s14, exec_lo
	v_cmpx_lt_u32_e32 0xffffff, v0
	s_cbranch_execz .LBB216_818
; %bb.811:                              ;   in Loop: Header=BB216_15 Depth=1
	v_mov_b64_e32 v[2:3], 0x8000000000000000
	v_lshrrev_b32_e32 v1, 24, v0
	s_mov_b32 s15, exec_lo
	scratch_store_b64 off, v[2:3], s32 offset:1036 ; 8-byte Folded Spill
	s_wait_xcnt 0x0
	v_cmpx_ne_u32_e32 0x80, v1
	s_cbranch_execz .LBB216_817
; %bb.812:                              ;   in Loop: Header=BB216_15 Depth=1
	v_mov_b64_e32 v[4:5], 0x7f80000100000000
	v_bfe_u32 v2, v0, 24, 7
	s_mov_b32 s16, exec_lo
	scratch_store_b64 off, v[4:5], s32 offset:1036 ; 8-byte Folded Spill
	s_wait_xcnt 0x0
	v_cmpx_ne_u32_e32 0x7f, v2
	s_cbranch_execz .LBB216_816
; %bb.813:                              ;   in Loop: Header=BB216_15 Depth=1
	scratch_load_b64 v[4:5], off, s32 offset:192 th:TH_LOAD_LU ; 8-byte Folded Reload
	s_wait_loadcnt 0x0
	v_dual_lshrrev_b32 v0, 3, v2 :: v_dual_bitop2_b32 v4, 7, v1 bitop3:0x40
	s_mov_b32 s17, exec_lo
	s_wait_xcnt 0x0
	v_cmpx_gt_u32_e32 8, v2
; %bb.814:                              ;   in Loop: Header=BB216_15 Depth=1
	s_delay_alu instid0(VALU_DEP_2) | instskip(NEXT) | instid1(VALU_DEP_1)
	v_clz_i32_u32_e32 v0, v4
	v_min_u32_e32 v0, 32, v0
	s_delay_alu instid0(VALU_DEP_1) | instskip(NEXT) | instid1(VALU_DEP_1)
	v_subrev_nc_u32_e32 v2, 28, v0
	v_lshlrev_b64_e32 v[2:3], v2, v[4:5]
	s_delay_alu instid0(VALU_DEP_1)
	v_dual_sub_nc_u32 v0, 29, v0 :: v_dual_bitop2_b32 v4, 7, v2 bitop3:0x40
; %bb.815:                              ;   in Loop: Header=BB216_15 Depth=1
	s_or_b32 exec_lo, exec_lo, s17
	s_delay_alu instid0(VALU_DEP_1) | instskip(NEXT) | instid1(VALU_DEP_2)
	v_dual_lshlrev_b32 v1, 24, v1 :: v_dual_lshlrev_b32 v2, 20, v4
	v_lshl_add_u32 v0, v0, 23, 0x3c000000
	s_delay_alu instid0(VALU_DEP_2) | instskip(NEXT) | instid1(VALU_DEP_1)
	v_and_b32_e32 v1, 0x80000000, v1
	v_or3_b32 v3, v2, v1, v0
	v_dual_mov_b32 v1, v5 :: v_dual_mov_b32 v2, v5
	s_clause 0x1
	scratch_store_b64 off, v[0:1], s32 offset:192
	scratch_store_b64 off, v[2:3], s32 offset:1036
.LBB216_816:                            ;   in Loop: Header=BB216_15 Depth=1
	s_wait_xcnt 0x0
	s_or_b32 exec_lo, exec_lo, s16
.LBB216_817:                            ;   in Loop: Header=BB216_15 Depth=1
	s_delay_alu instid0(SALU_CYCLE_1)
	s_or_b32 exec_lo, exec_lo, s15
.LBB216_818:                            ;   in Loop: Header=BB216_15 Depth=1
	s_delay_alu instid0(SALU_CYCLE_1)
	s_or_b32 exec_lo, exec_lo, s14
	flat_load_b32 v0, v[84:85] offset:3076
	v_mov_b64_e32 v[2:3], 0
	s_mov_b32 s14, exec_lo
	scratch_store_b64 off, v[2:3], s32 offset:1052 ; 8-byte Folded Spill
	s_wait_xcnt 0x0
	v_mov_b64_e32 v[2:3], 0
	scratch_store_b64 off, v[2:3], s32 offset:1060 ; 8-byte Folded Spill
	s_wait_loadcnt_dscnt 0x0
	v_and_b32_e32 v1, 0xff, v0
	s_wait_xcnt 0x0
	s_delay_alu instid0(VALU_DEP_1)
	v_cmpx_ne_u16_e32 0, v1
	s_cbranch_execz .LBB216_826
; %bb.819:                              ;   in Loop: Header=BB216_15 Depth=1
	v_mov_b64_e32 v[2:3], 0x80000000
	s_mov_b32 s15, exec_lo
	scratch_store_b64 off, v[2:3], s32 offset:1060 ; 8-byte Folded Spill
	s_wait_xcnt 0x0
	v_cmpx_ne_u16_e32 0x80, v1
	s_cbranch_execz .LBB216_825
; %bb.820:                              ;   in Loop: Header=BB216_15 Depth=1
	v_mov_b64_e32 v[4:5], 0x7f800001
	v_and_b32_e32 v2, 0x7f, v0
	s_mov_b32 s16, exec_lo
	scratch_store_b64 off, v[4:5], s32 offset:1060 ; 8-byte Folded Spill
	s_wait_xcnt 0x0
	v_cmpx_ne_u32_e32 0x7f, v2
	s_cbranch_execz .LBB216_824
; %bb.821:                              ;   in Loop: Header=BB216_15 Depth=1
	scratch_load_b64 v[4:5], off, s32 offset:192 th:TH_LOAD_LU ; 8-byte Folded Reload
	s_wait_loadcnt 0x0
	v_dual_lshrrev_b32 v1, 3, v2 :: v_dual_bitop2_b32 v4, 7, v0 bitop3:0x40
	s_mov_b32 s17, exec_lo
	s_wait_xcnt 0x0
	v_cmpx_gt_u32_e32 8, v2
; %bb.822:                              ;   in Loop: Header=BB216_15 Depth=1
	s_delay_alu instid0(VALU_DEP_2) | instskip(NEXT) | instid1(VALU_DEP_1)
	v_clz_i32_u32_e32 v1, v4
	v_min_u32_e32 v1, 32, v1
	s_delay_alu instid0(VALU_DEP_1) | instskip(NEXT) | instid1(VALU_DEP_1)
	v_subrev_nc_u32_e32 v2, 28, v1
	v_lshlrev_b64_e32 v[2:3], v2, v[4:5]
	s_delay_alu instid0(VALU_DEP_1)
	v_dual_sub_nc_u32 v1, 29, v1 :: v_dual_bitop2_b32 v4, 7, v2 bitop3:0x40
; %bb.823:                              ;   in Loop: Header=BB216_15 Depth=1
	s_or_b32 exec_lo, exec_lo, s17
	v_lshlrev_b32_e32 v2, 24, v0
	s_delay_alu instid0(VALU_DEP_2) | instskip(NEXT) | instid1(VALU_DEP_3)
	v_lshlrev_b32_e32 v3, 20, v4
	v_lshl_add_u32 v1, v1, 23, 0x3c000000
	s_delay_alu instid0(VALU_DEP_3) | instskip(NEXT) | instid1(VALU_DEP_1)
	v_and_b32_e32 v2, 0x80000000, v2
	v_or3_b32 v4, v3, v2, v1
	v_mov_b32_e32 v1, v5
	s_clause 0x1
	scratch_store_b64 off, v[0:1], s32 offset:192
	scratch_store_b64 off, v[4:5], s32 offset:1060
.LBB216_824:                            ;   in Loop: Header=BB216_15 Depth=1
	s_wait_xcnt 0x0
	s_or_b32 exec_lo, exec_lo, s16
.LBB216_825:                            ;   in Loop: Header=BB216_15 Depth=1
	s_delay_alu instid0(SALU_CYCLE_1)
	s_or_b32 exec_lo, exec_lo, s15
.LBB216_826:                            ;   in Loop: Header=BB216_15 Depth=1
	s_delay_alu instid0(SALU_CYCLE_1) | instskip(SKIP_2) | instid1(VALU_DEP_1)
	s_or_b32 exec_lo, exec_lo, s14
	v_lshrrev_b16 v1, 8, v0
	s_mov_b32 s14, exec_lo
	v_cmpx_ne_u16_e32 0, v1
	s_cbranch_execz .LBB216_834
; %bb.827:                              ;   in Loop: Header=BB216_15 Depth=1
	v_mov_b64_e32 v[2:3], 0x8000000000000000
	s_mov_b32 s15, exec_lo
	scratch_store_b64 off, v[2:3], s32 offset:1052 ; 8-byte Folded Spill
	s_wait_xcnt 0x0
	v_cmpx_ne_u16_e32 0x80, v1
	s_cbranch_execz .LBB216_833
; %bb.828:                              ;   in Loop: Header=BB216_15 Depth=1
	v_and_b32_e32 v1, 0xffff, v1
	v_mov_b64_e32 v[4:5], 0x7f80000100000000
	s_mov_b32 s16, exec_lo
	s_delay_alu instid0(VALU_DEP_2)
	v_and_b32_e32 v2, 0x7f, v1
	scratch_store_b64 off, v[4:5], s32 offset:1052 ; 8-byte Folded Spill
	s_wait_xcnt 0x0
	v_cmpx_ne_u32_e32 0x7f, v2
	s_cbranch_execz .LBB216_832
; %bb.829:                              ;   in Loop: Header=BB216_15 Depth=1
	scratch_load_b64 v[4:5], off, s32 offset:192 th:TH_LOAD_LU ; 8-byte Folded Reload
	s_wait_loadcnt 0x0
	v_dual_lshrrev_b32 v1, 3, v2 :: v_dual_bitop2_b32 v4, 7, v1 bitop3:0x40
	s_mov_b32 s17, exec_lo
	s_wait_xcnt 0x0
	v_cmpx_gt_u32_e32 8, v2
; %bb.830:                              ;   in Loop: Header=BB216_15 Depth=1
	s_delay_alu instid0(VALU_DEP_2) | instskip(NEXT) | instid1(VALU_DEP_1)
	v_clz_i32_u32_e32 v1, v4
	v_min_u32_e32 v1, 32, v1
	s_delay_alu instid0(VALU_DEP_1) | instskip(NEXT) | instid1(VALU_DEP_1)
	v_subrev_nc_u32_e32 v2, 28, v1
	v_lshlrev_b64_e32 v[2:3], v2, v[4:5]
	s_delay_alu instid0(VALU_DEP_1)
	v_dual_sub_nc_u32 v1, 29, v1 :: v_dual_bitop2_b32 v4, 7, v2 bitop3:0x40
; %bb.831:                              ;   in Loop: Header=BB216_15 Depth=1
	s_or_b32 exec_lo, exec_lo, s17
	v_lshlrev_b32_e32 v2, 16, v0
	s_delay_alu instid0(VALU_DEP_2) | instskip(NEXT) | instid1(VALU_DEP_3)
	v_lshlrev_b32_e32 v3, 20, v4
	v_lshl_add_u32 v1, v1, 23, 0x3c000000
	s_delay_alu instid0(VALU_DEP_3) | instskip(NEXT) | instid1(VALU_DEP_1)
	v_and_b32_e32 v2, 0x80000000, v2
	v_or3_b32 v3, v3, v2, v1
	v_dual_mov_b32 v1, v5 :: v_dual_mov_b32 v2, v5
	s_clause 0x1
	scratch_store_b64 off, v[0:1], s32 offset:192
	scratch_store_b64 off, v[2:3], s32 offset:1052
.LBB216_832:                            ;   in Loop: Header=BB216_15 Depth=1
	s_wait_xcnt 0x0
	s_or_b32 exec_lo, exec_lo, s16
.LBB216_833:                            ;   in Loop: Header=BB216_15 Depth=1
	s_delay_alu instid0(SALU_CYCLE_1)
	s_or_b32 exec_lo, exec_lo, s15
.LBB216_834:                            ;   in Loop: Header=BB216_15 Depth=1
	s_delay_alu instid0(SALU_CYCLE_1) | instskip(SKIP_3) | instid1(VALU_DEP_1)
	s_or_b32 exec_lo, exec_lo, s14
	v_mov_b64_e32 v[4:5], 0
	v_lshrrev_b32_e32 v1, 16, v0
	s_mov_b32 s14, exec_lo
	v_and_b32_e32 v2, 0xff, v1
	scratch_store_b64 off, v[4:5], s32 offset:1068 ; 8-byte Folded Spill
	s_wait_xcnt 0x0
	v_mov_b64_e32 v[4:5], 0
	scratch_store_b64 off, v[4:5], s32 offset:1076 ; 8-byte Folded Spill
	s_wait_xcnt 0x0
	v_cmpx_ne_u16_e32 0, v2
	s_cbranch_execz .LBB216_842
; %bb.835:                              ;   in Loop: Header=BB216_15 Depth=1
	v_cmp_ne_u16_e64 s1, 0x80, v2
	v_mov_b64_e32 v[2:3], 0x80000000
	scratch_store_b64 off, v[2:3], s32 offset:1076 ; 8-byte Folded Spill
	s_wait_xcnt 0x0
	s_and_saveexec_b32 s15, s1
	s_cbranch_execz .LBB216_841
; %bb.836:                              ;   in Loop: Header=BB216_15 Depth=1
	v_mov_b64_e32 v[4:5], 0x7f800001
	v_bfe_u32 v3, v0, 16, 7
	s_mov_b32 s16, exec_lo
	scratch_store_b64 off, v[4:5], s32 offset:1076 ; 8-byte Folded Spill
	s_wait_xcnt 0x0
	v_cmpx_ne_u32_e32 0x7f, v3
	s_cbranch_execz .LBB216_840
; %bb.837:                              ;   in Loop: Header=BB216_15 Depth=1
	scratch_load_b64 v[6:7], off, s32 offset:192 th:TH_LOAD_LU ; 8-byte Folded Reload
	s_wait_loadcnt 0x0
	v_dual_lshrrev_b32 v2, 3, v3 :: v_dual_bitop2_b32 v6, 7, v1 bitop3:0x40
	s_mov_b32 s17, exec_lo
	s_wait_xcnt 0x0
	v_cmpx_gt_u32_e32 8, v3
; %bb.838:                              ;   in Loop: Header=BB216_15 Depth=1
	s_delay_alu instid0(VALU_DEP_2) | instskip(NEXT) | instid1(VALU_DEP_1)
	v_clz_i32_u32_e32 v2, v6
	v_min_u32_e32 v2, 32, v2
	s_delay_alu instid0(VALU_DEP_1) | instskip(NEXT) | instid1(VALU_DEP_1)
	v_subrev_nc_u32_e32 v3, 28, v2
	v_lshlrev_b64_e32 v[4:5], v3, v[6:7]
	s_delay_alu instid0(VALU_DEP_1)
	v_dual_sub_nc_u32 v2, 29, v2 :: v_dual_bitop2_b32 v6, 7, v4 bitop3:0x40
; %bb.839:                              ;   in Loop: Header=BB216_15 Depth=1
	s_or_b32 exec_lo, exec_lo, s17
	s_delay_alu instid0(VALU_DEP_1) | instskip(NEXT) | instid1(VALU_DEP_2)
	v_dual_lshlrev_b32 v1, 24, v1 :: v_dual_lshlrev_b32 v3, 20, v6
	v_lshl_add_u32 v2, v2, 23, 0x3c000000
	s_delay_alu instid0(VALU_DEP_2) | instskip(NEXT) | instid1(VALU_DEP_1)
	v_and_b32_e32 v1, 0x80000000, v1
	v_or3_b32 v6, v3, v1, v2
	v_mov_b32_e32 v1, v7
	s_clause 0x1
	scratch_store_b64 off, v[0:1], s32 offset:192
	scratch_store_b64 off, v[6:7], s32 offset:1076
.LBB216_840:                            ;   in Loop: Header=BB216_15 Depth=1
	s_wait_xcnt 0x0
	s_or_b32 exec_lo, exec_lo, s16
.LBB216_841:                            ;   in Loop: Header=BB216_15 Depth=1
	s_delay_alu instid0(SALU_CYCLE_1)
	s_or_b32 exec_lo, exec_lo, s15
.LBB216_842:                            ;   in Loop: Header=BB216_15 Depth=1
	s_delay_alu instid0(SALU_CYCLE_1) | instskip(NEXT) | instid1(SALU_CYCLE_1)
	s_or_b32 exec_lo, exec_lo, s14
	s_mov_b32 s14, exec_lo
	v_cmpx_lt_u32_e32 0xffffff, v0
	s_cbranch_execz .LBB216_850
; %bb.843:                              ;   in Loop: Header=BB216_15 Depth=1
	v_mov_b64_e32 v[2:3], 0x8000000000000000
	v_lshrrev_b32_e32 v1, 24, v0
	s_mov_b32 s15, exec_lo
	scratch_store_b64 off, v[2:3], s32 offset:1068 ; 8-byte Folded Spill
	s_wait_xcnt 0x0
	v_cmpx_ne_u32_e32 0x80, v1
	s_cbranch_execz .LBB216_849
; %bb.844:                              ;   in Loop: Header=BB216_15 Depth=1
	v_mov_b64_e32 v[4:5], 0x7f80000100000000
	v_bfe_u32 v2, v0, 24, 7
	s_mov_b32 s16, exec_lo
	scratch_store_b64 off, v[4:5], s32 offset:1068 ; 8-byte Folded Spill
	s_wait_xcnt 0x0
	v_cmpx_ne_u32_e32 0x7f, v2
	s_cbranch_execz .LBB216_848
; %bb.845:                              ;   in Loop: Header=BB216_15 Depth=1
	scratch_load_b64 v[4:5], off, s32 offset:192 th:TH_LOAD_LU ; 8-byte Folded Reload
	s_wait_loadcnt 0x0
	v_dual_lshrrev_b32 v0, 3, v2 :: v_dual_bitop2_b32 v4, 7, v1 bitop3:0x40
	s_mov_b32 s17, exec_lo
	s_wait_xcnt 0x0
	v_cmpx_gt_u32_e32 8, v2
; %bb.846:                              ;   in Loop: Header=BB216_15 Depth=1
	s_delay_alu instid0(VALU_DEP_2) | instskip(NEXT) | instid1(VALU_DEP_1)
	v_clz_i32_u32_e32 v0, v4
	v_min_u32_e32 v0, 32, v0
	s_delay_alu instid0(VALU_DEP_1) | instskip(NEXT) | instid1(VALU_DEP_1)
	v_subrev_nc_u32_e32 v2, 28, v0
	v_lshlrev_b64_e32 v[2:3], v2, v[4:5]
	s_delay_alu instid0(VALU_DEP_1)
	v_dual_sub_nc_u32 v0, 29, v0 :: v_dual_bitop2_b32 v4, 7, v2 bitop3:0x40
; %bb.847:                              ;   in Loop: Header=BB216_15 Depth=1
	s_or_b32 exec_lo, exec_lo, s17
	s_delay_alu instid0(VALU_DEP_1) | instskip(NEXT) | instid1(VALU_DEP_2)
	v_dual_lshlrev_b32 v1, 24, v1 :: v_dual_lshlrev_b32 v2, 20, v4
	v_lshl_add_u32 v0, v0, 23, 0x3c000000
	s_delay_alu instid0(VALU_DEP_2) | instskip(NEXT) | instid1(VALU_DEP_1)
	v_and_b32_e32 v1, 0x80000000, v1
	v_or3_b32 v3, v2, v1, v0
	v_dual_mov_b32 v1, v5 :: v_dual_mov_b32 v2, v5
	s_clause 0x1
	scratch_store_b64 off, v[0:1], s32 offset:192
	scratch_store_b64 off, v[2:3], s32 offset:1068
.LBB216_848:                            ;   in Loop: Header=BB216_15 Depth=1
	s_wait_xcnt 0x0
	s_or_b32 exec_lo, exec_lo, s16
.LBB216_849:                            ;   in Loop: Header=BB216_15 Depth=1
	s_delay_alu instid0(SALU_CYCLE_1)
	s_or_b32 exec_lo, exec_lo, s15
.LBB216_850:                            ;   in Loop: Header=BB216_15 Depth=1
	s_delay_alu instid0(SALU_CYCLE_1)
	s_or_b32 exec_lo, exec_lo, s14
	flat_load_b32 v0, v[84:85] offset:3080
	v_mov_b64_e32 v[2:3], 0
	s_mov_b32 s14, exec_lo
	scratch_store_b64 off, v[2:3], s32 offset:1084 ; 8-byte Folded Spill
	s_wait_xcnt 0x0
	v_mov_b64_e32 v[2:3], 0
	scratch_store_b64 off, v[2:3], s32 offset:1092 ; 8-byte Folded Spill
	s_wait_loadcnt_dscnt 0x0
	v_and_b32_e32 v1, 0xff, v0
	s_wait_xcnt 0x0
	s_delay_alu instid0(VALU_DEP_1)
	v_cmpx_ne_u16_e32 0, v1
	s_cbranch_execz .LBB216_858
; %bb.851:                              ;   in Loop: Header=BB216_15 Depth=1
	v_mov_b64_e32 v[2:3], 0x80000000
	s_mov_b32 s15, exec_lo
	scratch_store_b64 off, v[2:3], s32 offset:1092 ; 8-byte Folded Spill
	s_wait_xcnt 0x0
	v_cmpx_ne_u16_e32 0x80, v1
	s_cbranch_execz .LBB216_857
; %bb.852:                              ;   in Loop: Header=BB216_15 Depth=1
	v_mov_b64_e32 v[4:5], 0x7f800001
	v_and_b32_e32 v2, 0x7f, v0
	s_mov_b32 s16, exec_lo
	scratch_store_b64 off, v[4:5], s32 offset:1092 ; 8-byte Folded Spill
	s_wait_xcnt 0x0
	v_cmpx_ne_u32_e32 0x7f, v2
	s_cbranch_execz .LBB216_856
; %bb.853:                              ;   in Loop: Header=BB216_15 Depth=1
	scratch_load_b64 v[4:5], off, s32 offset:192 th:TH_LOAD_LU ; 8-byte Folded Reload
	s_wait_loadcnt 0x0
	v_dual_lshrrev_b32 v1, 3, v2 :: v_dual_bitop2_b32 v4, 7, v0 bitop3:0x40
	s_mov_b32 s17, exec_lo
	s_wait_xcnt 0x0
	v_cmpx_gt_u32_e32 8, v2
; %bb.854:                              ;   in Loop: Header=BB216_15 Depth=1
	s_delay_alu instid0(VALU_DEP_2) | instskip(NEXT) | instid1(VALU_DEP_1)
	v_clz_i32_u32_e32 v1, v4
	v_min_u32_e32 v1, 32, v1
	s_delay_alu instid0(VALU_DEP_1) | instskip(NEXT) | instid1(VALU_DEP_1)
	v_subrev_nc_u32_e32 v2, 28, v1
	v_lshlrev_b64_e32 v[2:3], v2, v[4:5]
	s_delay_alu instid0(VALU_DEP_1)
	v_dual_sub_nc_u32 v1, 29, v1 :: v_dual_bitop2_b32 v4, 7, v2 bitop3:0x40
; %bb.855:                              ;   in Loop: Header=BB216_15 Depth=1
	s_or_b32 exec_lo, exec_lo, s17
	v_lshlrev_b32_e32 v2, 24, v0
	s_delay_alu instid0(VALU_DEP_2) | instskip(NEXT) | instid1(VALU_DEP_3)
	v_lshlrev_b32_e32 v3, 20, v4
	v_lshl_add_u32 v1, v1, 23, 0x3c000000
	s_delay_alu instid0(VALU_DEP_3) | instskip(NEXT) | instid1(VALU_DEP_1)
	v_and_b32_e32 v2, 0x80000000, v2
	v_or3_b32 v4, v3, v2, v1
	v_mov_b32_e32 v1, v5
	s_clause 0x1
	scratch_store_b64 off, v[0:1], s32 offset:192
	scratch_store_b64 off, v[4:5], s32 offset:1092
.LBB216_856:                            ;   in Loop: Header=BB216_15 Depth=1
	s_wait_xcnt 0x0
	s_or_b32 exec_lo, exec_lo, s16
.LBB216_857:                            ;   in Loop: Header=BB216_15 Depth=1
	s_delay_alu instid0(SALU_CYCLE_1)
	s_or_b32 exec_lo, exec_lo, s15
.LBB216_858:                            ;   in Loop: Header=BB216_15 Depth=1
	s_delay_alu instid0(SALU_CYCLE_1) | instskip(SKIP_2) | instid1(VALU_DEP_1)
	s_or_b32 exec_lo, exec_lo, s14
	v_lshrrev_b16 v1, 8, v0
	s_mov_b32 s14, exec_lo
	v_cmpx_ne_u16_e32 0, v1
	s_cbranch_execz .LBB216_866
; %bb.859:                              ;   in Loop: Header=BB216_15 Depth=1
	v_mov_b64_e32 v[2:3], 0x8000000000000000
	s_mov_b32 s15, exec_lo
	scratch_store_b64 off, v[2:3], s32 offset:1084 ; 8-byte Folded Spill
	s_wait_xcnt 0x0
	v_cmpx_ne_u16_e32 0x80, v1
	s_cbranch_execz .LBB216_865
; %bb.860:                              ;   in Loop: Header=BB216_15 Depth=1
	v_and_b32_e32 v1, 0xffff, v1
	v_mov_b64_e32 v[4:5], 0x7f80000100000000
	s_mov_b32 s16, exec_lo
	s_delay_alu instid0(VALU_DEP_2)
	v_and_b32_e32 v2, 0x7f, v1
	scratch_store_b64 off, v[4:5], s32 offset:1084 ; 8-byte Folded Spill
	s_wait_xcnt 0x0
	v_cmpx_ne_u32_e32 0x7f, v2
	s_cbranch_execz .LBB216_864
; %bb.861:                              ;   in Loop: Header=BB216_15 Depth=1
	scratch_load_b64 v[4:5], off, s32 offset:192 th:TH_LOAD_LU ; 8-byte Folded Reload
	s_wait_loadcnt 0x0
	v_dual_lshrrev_b32 v1, 3, v2 :: v_dual_bitop2_b32 v4, 7, v1 bitop3:0x40
	s_mov_b32 s17, exec_lo
	s_wait_xcnt 0x0
	v_cmpx_gt_u32_e32 8, v2
; %bb.862:                              ;   in Loop: Header=BB216_15 Depth=1
	s_delay_alu instid0(VALU_DEP_2) | instskip(NEXT) | instid1(VALU_DEP_1)
	v_clz_i32_u32_e32 v1, v4
	v_min_u32_e32 v1, 32, v1
	s_delay_alu instid0(VALU_DEP_1) | instskip(NEXT) | instid1(VALU_DEP_1)
	v_subrev_nc_u32_e32 v2, 28, v1
	v_lshlrev_b64_e32 v[2:3], v2, v[4:5]
	s_delay_alu instid0(VALU_DEP_1)
	v_dual_sub_nc_u32 v1, 29, v1 :: v_dual_bitop2_b32 v4, 7, v2 bitop3:0x40
; %bb.863:                              ;   in Loop: Header=BB216_15 Depth=1
	s_or_b32 exec_lo, exec_lo, s17
	v_lshlrev_b32_e32 v2, 16, v0
	s_delay_alu instid0(VALU_DEP_2) | instskip(NEXT) | instid1(VALU_DEP_3)
	v_lshlrev_b32_e32 v3, 20, v4
	v_lshl_add_u32 v1, v1, 23, 0x3c000000
	s_delay_alu instid0(VALU_DEP_3) | instskip(NEXT) | instid1(VALU_DEP_1)
	v_and_b32_e32 v2, 0x80000000, v2
	v_or3_b32 v3, v3, v2, v1
	v_dual_mov_b32 v1, v5 :: v_dual_mov_b32 v2, v5
	s_clause 0x1
	scratch_store_b64 off, v[0:1], s32 offset:192
	scratch_store_b64 off, v[2:3], s32 offset:1084
.LBB216_864:                            ;   in Loop: Header=BB216_15 Depth=1
	s_wait_xcnt 0x0
	s_or_b32 exec_lo, exec_lo, s16
.LBB216_865:                            ;   in Loop: Header=BB216_15 Depth=1
	s_delay_alu instid0(SALU_CYCLE_1)
	s_or_b32 exec_lo, exec_lo, s15
.LBB216_866:                            ;   in Loop: Header=BB216_15 Depth=1
	s_delay_alu instid0(SALU_CYCLE_1) | instskip(SKIP_3) | instid1(VALU_DEP_1)
	s_or_b32 exec_lo, exec_lo, s14
	v_mov_b64_e32 v[4:5], 0
	v_lshrrev_b32_e32 v1, 16, v0
	s_mov_b32 s14, exec_lo
	v_and_b32_e32 v2, 0xff, v1
	scratch_store_b64 off, v[4:5], s32 offset:1100 ; 8-byte Folded Spill
	s_wait_xcnt 0x0
	v_mov_b64_e32 v[4:5], 0
	scratch_store_b64 off, v[4:5], s32 offset:1108 ; 8-byte Folded Spill
	s_wait_xcnt 0x0
	v_cmpx_ne_u16_e32 0, v2
	s_cbranch_execz .LBB216_874
; %bb.867:                              ;   in Loop: Header=BB216_15 Depth=1
	v_cmp_ne_u16_e64 s1, 0x80, v2
	v_mov_b64_e32 v[2:3], 0x80000000
	scratch_store_b64 off, v[2:3], s32 offset:1108 ; 8-byte Folded Spill
	s_wait_xcnt 0x0
	s_and_saveexec_b32 s15, s1
	s_cbranch_execz .LBB216_873
; %bb.868:                              ;   in Loop: Header=BB216_15 Depth=1
	v_mov_b64_e32 v[4:5], 0x7f800001
	v_bfe_u32 v3, v0, 16, 7
	s_mov_b32 s16, exec_lo
	scratch_store_b64 off, v[4:5], s32 offset:1108 ; 8-byte Folded Spill
	s_wait_xcnt 0x0
	v_cmpx_ne_u32_e32 0x7f, v3
	s_cbranch_execz .LBB216_872
; %bb.869:                              ;   in Loop: Header=BB216_15 Depth=1
	scratch_load_b64 v[6:7], off, s32 offset:192 th:TH_LOAD_LU ; 8-byte Folded Reload
	s_wait_loadcnt 0x0
	v_dual_lshrrev_b32 v2, 3, v3 :: v_dual_bitop2_b32 v6, 7, v1 bitop3:0x40
	s_mov_b32 s17, exec_lo
	s_wait_xcnt 0x0
	v_cmpx_gt_u32_e32 8, v3
; %bb.870:                              ;   in Loop: Header=BB216_15 Depth=1
	s_delay_alu instid0(VALU_DEP_2) | instskip(NEXT) | instid1(VALU_DEP_1)
	v_clz_i32_u32_e32 v2, v6
	v_min_u32_e32 v2, 32, v2
	s_delay_alu instid0(VALU_DEP_1) | instskip(NEXT) | instid1(VALU_DEP_1)
	v_subrev_nc_u32_e32 v3, 28, v2
	v_lshlrev_b64_e32 v[4:5], v3, v[6:7]
	s_delay_alu instid0(VALU_DEP_1)
	v_dual_sub_nc_u32 v2, 29, v2 :: v_dual_bitop2_b32 v6, 7, v4 bitop3:0x40
; %bb.871:                              ;   in Loop: Header=BB216_15 Depth=1
	s_or_b32 exec_lo, exec_lo, s17
	s_delay_alu instid0(VALU_DEP_1) | instskip(NEXT) | instid1(VALU_DEP_2)
	v_dual_lshlrev_b32 v1, 24, v1 :: v_dual_lshlrev_b32 v3, 20, v6
	v_lshl_add_u32 v2, v2, 23, 0x3c000000
	s_delay_alu instid0(VALU_DEP_2) | instskip(NEXT) | instid1(VALU_DEP_1)
	v_and_b32_e32 v1, 0x80000000, v1
	v_or3_b32 v6, v3, v1, v2
	v_mov_b32_e32 v1, v7
	s_clause 0x1
	scratch_store_b64 off, v[0:1], s32 offset:192
	scratch_store_b64 off, v[6:7], s32 offset:1108
.LBB216_872:                            ;   in Loop: Header=BB216_15 Depth=1
	s_wait_xcnt 0x0
	s_or_b32 exec_lo, exec_lo, s16
.LBB216_873:                            ;   in Loop: Header=BB216_15 Depth=1
	s_delay_alu instid0(SALU_CYCLE_1)
	s_or_b32 exec_lo, exec_lo, s15
.LBB216_874:                            ;   in Loop: Header=BB216_15 Depth=1
	s_delay_alu instid0(SALU_CYCLE_1) | instskip(NEXT) | instid1(SALU_CYCLE_1)
	s_or_b32 exec_lo, exec_lo, s14
	s_mov_b32 s14, exec_lo
	v_cmpx_lt_u32_e32 0xffffff, v0
	s_cbranch_execz .LBB216_882
; %bb.875:                              ;   in Loop: Header=BB216_15 Depth=1
	v_mov_b64_e32 v[2:3], 0x8000000000000000
	v_lshrrev_b32_e32 v1, 24, v0
	s_mov_b32 s15, exec_lo
	scratch_store_b64 off, v[2:3], s32 offset:1100 ; 8-byte Folded Spill
	s_wait_xcnt 0x0
	v_cmpx_ne_u32_e32 0x80, v1
	s_cbranch_execz .LBB216_881
; %bb.876:                              ;   in Loop: Header=BB216_15 Depth=1
	v_mov_b64_e32 v[4:5], 0x7f80000100000000
	v_bfe_u32 v2, v0, 24, 7
	s_mov_b32 s16, exec_lo
	scratch_store_b64 off, v[4:5], s32 offset:1100 ; 8-byte Folded Spill
	s_wait_xcnt 0x0
	v_cmpx_ne_u32_e32 0x7f, v2
	s_cbranch_execz .LBB216_880
; %bb.877:                              ;   in Loop: Header=BB216_15 Depth=1
	scratch_load_b64 v[4:5], off, s32 offset:192 th:TH_LOAD_LU ; 8-byte Folded Reload
	s_wait_loadcnt 0x0
	v_dual_lshrrev_b32 v0, 3, v2 :: v_dual_bitop2_b32 v4, 7, v1 bitop3:0x40
	s_mov_b32 s17, exec_lo
	s_wait_xcnt 0x0
	v_cmpx_gt_u32_e32 8, v2
; %bb.878:                              ;   in Loop: Header=BB216_15 Depth=1
	s_delay_alu instid0(VALU_DEP_2) | instskip(NEXT) | instid1(VALU_DEP_1)
	v_clz_i32_u32_e32 v0, v4
	v_min_u32_e32 v0, 32, v0
	s_delay_alu instid0(VALU_DEP_1) | instskip(NEXT) | instid1(VALU_DEP_1)
	v_subrev_nc_u32_e32 v2, 28, v0
	v_lshlrev_b64_e32 v[2:3], v2, v[4:5]
	s_delay_alu instid0(VALU_DEP_1)
	v_dual_sub_nc_u32 v0, 29, v0 :: v_dual_bitop2_b32 v4, 7, v2 bitop3:0x40
; %bb.879:                              ;   in Loop: Header=BB216_15 Depth=1
	s_or_b32 exec_lo, exec_lo, s17
	s_delay_alu instid0(VALU_DEP_1) | instskip(NEXT) | instid1(VALU_DEP_2)
	v_dual_lshlrev_b32 v1, 24, v1 :: v_dual_lshlrev_b32 v2, 20, v4
	v_lshl_add_u32 v0, v0, 23, 0x3c000000
	s_delay_alu instid0(VALU_DEP_2) | instskip(NEXT) | instid1(VALU_DEP_1)
	v_and_b32_e32 v1, 0x80000000, v1
	v_or3_b32 v3, v2, v1, v0
	v_dual_mov_b32 v1, v5 :: v_dual_mov_b32 v2, v5
	s_clause 0x1
	scratch_store_b64 off, v[0:1], s32 offset:192
	scratch_store_b64 off, v[2:3], s32 offset:1100
.LBB216_880:                            ;   in Loop: Header=BB216_15 Depth=1
	s_wait_xcnt 0x0
	s_or_b32 exec_lo, exec_lo, s16
.LBB216_881:                            ;   in Loop: Header=BB216_15 Depth=1
	s_delay_alu instid0(SALU_CYCLE_1)
	s_or_b32 exec_lo, exec_lo, s15
.LBB216_882:                            ;   in Loop: Header=BB216_15 Depth=1
	s_delay_alu instid0(SALU_CYCLE_1)
	s_or_b32 exec_lo, exec_lo, s14
	flat_load_b32 v0, v[84:85] offset:3084
	v_mov_b64_e32 v[2:3], 0
	s_mov_b32 s14, exec_lo
	scratch_store_b64 off, v[2:3], s32 offset:1116 ; 8-byte Folded Spill
	s_wait_xcnt 0x0
	v_mov_b64_e32 v[2:3], 0
	scratch_store_b64 off, v[2:3], s32 offset:1124 ; 8-byte Folded Spill
	s_wait_loadcnt_dscnt 0x0
	v_and_b32_e32 v1, 0xff, v0
	s_wait_xcnt 0x0
	s_delay_alu instid0(VALU_DEP_1)
	v_cmpx_ne_u16_e32 0, v1
	s_cbranch_execz .LBB216_890
; %bb.883:                              ;   in Loop: Header=BB216_15 Depth=1
	v_mov_b64_e32 v[2:3], 0x80000000
	s_mov_b32 s15, exec_lo
	scratch_store_b64 off, v[2:3], s32 offset:1124 ; 8-byte Folded Spill
	s_wait_xcnt 0x0
	v_cmpx_ne_u16_e32 0x80, v1
	s_cbranch_execz .LBB216_889
; %bb.884:                              ;   in Loop: Header=BB216_15 Depth=1
	v_mov_b64_e32 v[4:5], 0x7f800001
	v_and_b32_e32 v2, 0x7f, v0
	s_mov_b32 s16, exec_lo
	scratch_store_b64 off, v[4:5], s32 offset:1124 ; 8-byte Folded Spill
	s_wait_xcnt 0x0
	v_cmpx_ne_u32_e32 0x7f, v2
	s_cbranch_execz .LBB216_888
; %bb.885:                              ;   in Loop: Header=BB216_15 Depth=1
	scratch_load_b64 v[4:5], off, s32 offset:192 th:TH_LOAD_LU ; 8-byte Folded Reload
	s_wait_loadcnt 0x0
	v_dual_lshrrev_b32 v1, 3, v2 :: v_dual_bitop2_b32 v4, 7, v0 bitop3:0x40
	s_mov_b32 s17, exec_lo
	s_wait_xcnt 0x0
	v_cmpx_gt_u32_e32 8, v2
; %bb.886:                              ;   in Loop: Header=BB216_15 Depth=1
	s_delay_alu instid0(VALU_DEP_2) | instskip(NEXT) | instid1(VALU_DEP_1)
	v_clz_i32_u32_e32 v1, v4
	v_min_u32_e32 v1, 32, v1
	s_delay_alu instid0(VALU_DEP_1) | instskip(NEXT) | instid1(VALU_DEP_1)
	v_subrev_nc_u32_e32 v2, 28, v1
	v_lshlrev_b64_e32 v[2:3], v2, v[4:5]
	s_delay_alu instid0(VALU_DEP_1)
	v_dual_sub_nc_u32 v1, 29, v1 :: v_dual_bitop2_b32 v4, 7, v2 bitop3:0x40
; %bb.887:                              ;   in Loop: Header=BB216_15 Depth=1
	s_or_b32 exec_lo, exec_lo, s17
	v_lshlrev_b32_e32 v2, 24, v0
	s_delay_alu instid0(VALU_DEP_2) | instskip(NEXT) | instid1(VALU_DEP_3)
	v_lshlrev_b32_e32 v3, 20, v4
	v_lshl_add_u32 v1, v1, 23, 0x3c000000
	s_delay_alu instid0(VALU_DEP_3) | instskip(NEXT) | instid1(VALU_DEP_1)
	v_and_b32_e32 v2, 0x80000000, v2
	v_or3_b32 v4, v3, v2, v1
	v_mov_b32_e32 v1, v5
	s_clause 0x1
	scratch_store_b64 off, v[0:1], s32 offset:192
	scratch_store_b64 off, v[4:5], s32 offset:1124
.LBB216_888:                            ;   in Loop: Header=BB216_15 Depth=1
	s_wait_xcnt 0x0
	s_or_b32 exec_lo, exec_lo, s16
.LBB216_889:                            ;   in Loop: Header=BB216_15 Depth=1
	s_delay_alu instid0(SALU_CYCLE_1)
	s_or_b32 exec_lo, exec_lo, s15
.LBB216_890:                            ;   in Loop: Header=BB216_15 Depth=1
	s_delay_alu instid0(SALU_CYCLE_1) | instskip(SKIP_2) | instid1(VALU_DEP_1)
	s_or_b32 exec_lo, exec_lo, s14
	v_lshrrev_b16 v1, 8, v0
	s_mov_b32 s14, exec_lo
	v_cmpx_ne_u16_e32 0, v1
	s_cbranch_execz .LBB216_898
; %bb.891:                              ;   in Loop: Header=BB216_15 Depth=1
	v_mov_b64_e32 v[2:3], 0x8000000000000000
	s_mov_b32 s15, exec_lo
	scratch_store_b64 off, v[2:3], s32 offset:1116 ; 8-byte Folded Spill
	s_wait_xcnt 0x0
	v_cmpx_ne_u16_e32 0x80, v1
	s_cbranch_execz .LBB216_897
; %bb.892:                              ;   in Loop: Header=BB216_15 Depth=1
	v_and_b32_e32 v1, 0xffff, v1
	v_mov_b64_e32 v[4:5], 0x7f80000100000000
	s_mov_b32 s16, exec_lo
	s_delay_alu instid0(VALU_DEP_2)
	v_and_b32_e32 v2, 0x7f, v1
	scratch_store_b64 off, v[4:5], s32 offset:1116 ; 8-byte Folded Spill
	s_wait_xcnt 0x0
	v_cmpx_ne_u32_e32 0x7f, v2
	s_cbranch_execz .LBB216_896
; %bb.893:                              ;   in Loop: Header=BB216_15 Depth=1
	scratch_load_b64 v[4:5], off, s32 offset:192 th:TH_LOAD_LU ; 8-byte Folded Reload
	s_wait_loadcnt 0x0
	v_dual_lshrrev_b32 v1, 3, v2 :: v_dual_bitop2_b32 v4, 7, v1 bitop3:0x40
	s_mov_b32 s17, exec_lo
	s_wait_xcnt 0x0
	v_cmpx_gt_u32_e32 8, v2
; %bb.894:                              ;   in Loop: Header=BB216_15 Depth=1
	s_delay_alu instid0(VALU_DEP_2) | instskip(NEXT) | instid1(VALU_DEP_1)
	v_clz_i32_u32_e32 v1, v4
	v_min_u32_e32 v1, 32, v1
	s_delay_alu instid0(VALU_DEP_1) | instskip(NEXT) | instid1(VALU_DEP_1)
	v_subrev_nc_u32_e32 v2, 28, v1
	v_lshlrev_b64_e32 v[2:3], v2, v[4:5]
	s_delay_alu instid0(VALU_DEP_1)
	v_dual_sub_nc_u32 v1, 29, v1 :: v_dual_bitop2_b32 v4, 7, v2 bitop3:0x40
; %bb.895:                              ;   in Loop: Header=BB216_15 Depth=1
	s_or_b32 exec_lo, exec_lo, s17
	v_lshlrev_b32_e32 v2, 16, v0
	s_delay_alu instid0(VALU_DEP_2) | instskip(NEXT) | instid1(VALU_DEP_3)
	v_lshlrev_b32_e32 v3, 20, v4
	v_lshl_add_u32 v1, v1, 23, 0x3c000000
	s_delay_alu instid0(VALU_DEP_3) | instskip(NEXT) | instid1(VALU_DEP_1)
	v_and_b32_e32 v2, 0x80000000, v2
	v_or3_b32 v3, v3, v2, v1
	v_dual_mov_b32 v1, v5 :: v_dual_mov_b32 v2, v5
	s_clause 0x1
	scratch_store_b64 off, v[0:1], s32 offset:192
	scratch_store_b64 off, v[2:3], s32 offset:1116
.LBB216_896:                            ;   in Loop: Header=BB216_15 Depth=1
	s_wait_xcnt 0x0
	s_or_b32 exec_lo, exec_lo, s16
.LBB216_897:                            ;   in Loop: Header=BB216_15 Depth=1
	s_delay_alu instid0(SALU_CYCLE_1)
	s_or_b32 exec_lo, exec_lo, s15
.LBB216_898:                            ;   in Loop: Header=BB216_15 Depth=1
	s_delay_alu instid0(SALU_CYCLE_1) | instskip(SKIP_3) | instid1(VALU_DEP_1)
	s_or_b32 exec_lo, exec_lo, s14
	v_mov_b64_e32 v[4:5], 0
	v_lshrrev_b32_e32 v1, 16, v0
	s_mov_b32 s14, exec_lo
	v_and_b32_e32 v2, 0xff, v1
	scratch_store_b64 off, v[4:5], s32 offset:1132 ; 8-byte Folded Spill
	s_wait_xcnt 0x0
	v_mov_b64_e32 v[4:5], 0
	scratch_store_b64 off, v[4:5], s32 offset:1140 ; 8-byte Folded Spill
	s_wait_xcnt 0x0
	v_cmpx_ne_u16_e32 0, v2
	s_cbranch_execz .LBB216_906
; %bb.899:                              ;   in Loop: Header=BB216_15 Depth=1
	v_cmp_ne_u16_e64 s1, 0x80, v2
	v_mov_b64_e32 v[2:3], 0x80000000
	scratch_store_b64 off, v[2:3], s32 offset:1140 ; 8-byte Folded Spill
	s_wait_xcnt 0x0
	s_and_saveexec_b32 s15, s1
	s_cbranch_execz .LBB216_905
; %bb.900:                              ;   in Loop: Header=BB216_15 Depth=1
	v_mov_b64_e32 v[4:5], 0x7f800001
	v_bfe_u32 v3, v0, 16, 7
	s_mov_b32 s16, exec_lo
	scratch_store_b64 off, v[4:5], s32 offset:1140 ; 8-byte Folded Spill
	s_wait_xcnt 0x0
	v_cmpx_ne_u32_e32 0x7f, v3
	s_cbranch_execz .LBB216_904
; %bb.901:                              ;   in Loop: Header=BB216_15 Depth=1
	scratch_load_b64 v[6:7], off, s32 offset:192 th:TH_LOAD_LU ; 8-byte Folded Reload
	s_wait_loadcnt 0x0
	v_dual_lshrrev_b32 v2, 3, v3 :: v_dual_bitop2_b32 v6, 7, v1 bitop3:0x40
	s_mov_b32 s17, exec_lo
	s_wait_xcnt 0x0
	v_cmpx_gt_u32_e32 8, v3
; %bb.902:                              ;   in Loop: Header=BB216_15 Depth=1
	s_delay_alu instid0(VALU_DEP_2) | instskip(NEXT) | instid1(VALU_DEP_1)
	v_clz_i32_u32_e32 v2, v6
	v_min_u32_e32 v2, 32, v2
	s_delay_alu instid0(VALU_DEP_1) | instskip(NEXT) | instid1(VALU_DEP_1)
	v_subrev_nc_u32_e32 v3, 28, v2
	v_lshlrev_b64_e32 v[4:5], v3, v[6:7]
	s_delay_alu instid0(VALU_DEP_1)
	v_dual_sub_nc_u32 v2, 29, v2 :: v_dual_bitop2_b32 v6, 7, v4 bitop3:0x40
; %bb.903:                              ;   in Loop: Header=BB216_15 Depth=1
	s_or_b32 exec_lo, exec_lo, s17
	s_delay_alu instid0(VALU_DEP_1) | instskip(NEXT) | instid1(VALU_DEP_2)
	v_dual_lshlrev_b32 v1, 24, v1 :: v_dual_lshlrev_b32 v3, 20, v6
	v_lshl_add_u32 v2, v2, 23, 0x3c000000
	s_delay_alu instid0(VALU_DEP_2) | instskip(NEXT) | instid1(VALU_DEP_1)
	v_and_b32_e32 v1, 0x80000000, v1
	v_or3_b32 v6, v3, v1, v2
	v_mov_b32_e32 v1, v7
	s_clause 0x1
	scratch_store_b64 off, v[0:1], s32 offset:192
	scratch_store_b64 off, v[6:7], s32 offset:1140
.LBB216_904:                            ;   in Loop: Header=BB216_15 Depth=1
	s_wait_xcnt 0x0
	s_or_b32 exec_lo, exec_lo, s16
.LBB216_905:                            ;   in Loop: Header=BB216_15 Depth=1
	s_delay_alu instid0(SALU_CYCLE_1)
	s_or_b32 exec_lo, exec_lo, s15
.LBB216_906:                            ;   in Loop: Header=BB216_15 Depth=1
	s_delay_alu instid0(SALU_CYCLE_1) | instskip(NEXT) | instid1(SALU_CYCLE_1)
	s_or_b32 exec_lo, exec_lo, s14
	s_mov_b32 s14, exec_lo
	v_cmpx_lt_u32_e32 0xffffff, v0
	s_cbranch_execz .LBB216_914
; %bb.907:                              ;   in Loop: Header=BB216_15 Depth=1
	v_mov_b64_e32 v[2:3], 0x8000000000000000
	v_lshrrev_b32_e32 v1, 24, v0
	s_mov_b32 s15, exec_lo
	scratch_store_b64 off, v[2:3], s32 offset:1132 ; 8-byte Folded Spill
	s_wait_xcnt 0x0
	v_cmpx_ne_u32_e32 0x80, v1
	s_cbranch_execz .LBB216_913
; %bb.908:                              ;   in Loop: Header=BB216_15 Depth=1
	v_mov_b64_e32 v[4:5], 0x7f80000100000000
	v_bfe_u32 v2, v0, 24, 7
	s_mov_b32 s16, exec_lo
	scratch_store_b64 off, v[4:5], s32 offset:1132 ; 8-byte Folded Spill
	s_wait_xcnt 0x0
	v_cmpx_ne_u32_e32 0x7f, v2
	s_cbranch_execz .LBB216_912
; %bb.909:                              ;   in Loop: Header=BB216_15 Depth=1
	scratch_load_b64 v[4:5], off, s32 offset:192 th:TH_LOAD_LU ; 8-byte Folded Reload
	s_wait_loadcnt 0x0
	v_dual_lshrrev_b32 v0, 3, v2 :: v_dual_bitop2_b32 v4, 7, v1 bitop3:0x40
	s_mov_b32 s17, exec_lo
	s_wait_xcnt 0x0
	v_cmpx_gt_u32_e32 8, v2
; %bb.910:                              ;   in Loop: Header=BB216_15 Depth=1
	s_delay_alu instid0(VALU_DEP_2) | instskip(NEXT) | instid1(VALU_DEP_1)
	v_clz_i32_u32_e32 v0, v4
	v_min_u32_e32 v0, 32, v0
	s_delay_alu instid0(VALU_DEP_1) | instskip(NEXT) | instid1(VALU_DEP_1)
	v_subrev_nc_u32_e32 v2, 28, v0
	v_lshlrev_b64_e32 v[2:3], v2, v[4:5]
	s_delay_alu instid0(VALU_DEP_1)
	v_dual_sub_nc_u32 v0, 29, v0 :: v_dual_bitop2_b32 v4, 7, v2 bitop3:0x40
; %bb.911:                              ;   in Loop: Header=BB216_15 Depth=1
	s_or_b32 exec_lo, exec_lo, s17
	s_delay_alu instid0(VALU_DEP_1) | instskip(NEXT) | instid1(VALU_DEP_2)
	v_dual_lshlrev_b32 v1, 24, v1 :: v_dual_lshlrev_b32 v2, 20, v4
	v_lshl_add_u32 v0, v0, 23, 0x3c000000
	s_delay_alu instid0(VALU_DEP_2) | instskip(NEXT) | instid1(VALU_DEP_1)
	v_and_b32_e32 v1, 0x80000000, v1
	v_or3_b32 v3, v2, v1, v0
	v_dual_mov_b32 v1, v5 :: v_dual_mov_b32 v2, v5
	s_clause 0x1
	scratch_store_b64 off, v[0:1], s32 offset:192
	scratch_store_b64 off, v[2:3], s32 offset:1132
.LBB216_912:                            ;   in Loop: Header=BB216_15 Depth=1
	s_wait_xcnt 0x0
	s_or_b32 exec_lo, exec_lo, s16
.LBB216_913:                            ;   in Loop: Header=BB216_15 Depth=1
	s_delay_alu instid0(SALU_CYCLE_1)
	s_or_b32 exec_lo, exec_lo, s15
.LBB216_914:                            ;   in Loop: Header=BB216_15 Depth=1
	s_delay_alu instid0(SALU_CYCLE_1)
	s_or_b32 exec_lo, exec_lo, s14
	flat_load_b32 v0, v[84:85] offset:3584
	v_mov_b64_e32 v[2:3], 0
	s_mov_b32 s14, exec_lo
	scratch_store_b64 off, v[2:3], s32 offset:1148 ; 8-byte Folded Spill
	s_wait_xcnt 0x0
	v_mov_b64_e32 v[2:3], 0
	scratch_store_b64 off, v[2:3], s32 offset:1156 ; 8-byte Folded Spill
	s_wait_loadcnt_dscnt 0x0
	v_and_b32_e32 v1, 0xff, v0
	s_wait_xcnt 0x0
	s_delay_alu instid0(VALU_DEP_1)
	v_cmpx_ne_u16_e32 0, v1
	s_cbranch_execz .LBB216_922
; %bb.915:                              ;   in Loop: Header=BB216_15 Depth=1
	v_mov_b64_e32 v[2:3], 0x80000000
	s_mov_b32 s15, exec_lo
	scratch_store_b64 off, v[2:3], s32 offset:1156 ; 8-byte Folded Spill
	s_wait_xcnt 0x0
	v_cmpx_ne_u16_e32 0x80, v1
	s_cbranch_execz .LBB216_921
; %bb.916:                              ;   in Loop: Header=BB216_15 Depth=1
	v_mov_b64_e32 v[4:5], 0x7f800001
	v_and_b32_e32 v2, 0x7f, v0
	s_mov_b32 s16, exec_lo
	scratch_store_b64 off, v[4:5], s32 offset:1156 ; 8-byte Folded Spill
	s_wait_xcnt 0x0
	v_cmpx_ne_u32_e32 0x7f, v2
	s_cbranch_execz .LBB216_920
; %bb.917:                              ;   in Loop: Header=BB216_15 Depth=1
	scratch_load_b64 v[4:5], off, s32 offset:192 th:TH_LOAD_LU ; 8-byte Folded Reload
	s_wait_loadcnt 0x0
	v_dual_lshrrev_b32 v1, 3, v2 :: v_dual_bitop2_b32 v4, 7, v0 bitop3:0x40
	s_mov_b32 s17, exec_lo
	s_wait_xcnt 0x0
	v_cmpx_gt_u32_e32 8, v2
; %bb.918:                              ;   in Loop: Header=BB216_15 Depth=1
	s_delay_alu instid0(VALU_DEP_2) | instskip(NEXT) | instid1(VALU_DEP_1)
	v_clz_i32_u32_e32 v1, v4
	v_min_u32_e32 v1, 32, v1
	s_delay_alu instid0(VALU_DEP_1) | instskip(NEXT) | instid1(VALU_DEP_1)
	v_subrev_nc_u32_e32 v2, 28, v1
	v_lshlrev_b64_e32 v[2:3], v2, v[4:5]
	s_delay_alu instid0(VALU_DEP_1)
	v_dual_sub_nc_u32 v1, 29, v1 :: v_dual_bitop2_b32 v4, 7, v2 bitop3:0x40
; %bb.919:                              ;   in Loop: Header=BB216_15 Depth=1
	s_or_b32 exec_lo, exec_lo, s17
	v_lshlrev_b32_e32 v2, 24, v0
	s_delay_alu instid0(VALU_DEP_2) | instskip(NEXT) | instid1(VALU_DEP_3)
	v_lshlrev_b32_e32 v3, 20, v4
	v_lshl_add_u32 v1, v1, 23, 0x3c000000
	s_delay_alu instid0(VALU_DEP_3) | instskip(NEXT) | instid1(VALU_DEP_1)
	v_and_b32_e32 v2, 0x80000000, v2
	v_or3_b32 v4, v3, v2, v1
	v_mov_b32_e32 v1, v5
	s_clause 0x1
	scratch_store_b64 off, v[0:1], s32 offset:192
	scratch_store_b64 off, v[4:5], s32 offset:1156
.LBB216_920:                            ;   in Loop: Header=BB216_15 Depth=1
	s_wait_xcnt 0x0
	s_or_b32 exec_lo, exec_lo, s16
.LBB216_921:                            ;   in Loop: Header=BB216_15 Depth=1
	s_delay_alu instid0(SALU_CYCLE_1)
	s_or_b32 exec_lo, exec_lo, s15
.LBB216_922:                            ;   in Loop: Header=BB216_15 Depth=1
	s_delay_alu instid0(SALU_CYCLE_1) | instskip(SKIP_2) | instid1(VALU_DEP_1)
	s_or_b32 exec_lo, exec_lo, s14
	v_lshrrev_b16 v1, 8, v0
	s_mov_b32 s14, exec_lo
	v_cmpx_ne_u16_e32 0, v1
	s_cbranch_execz .LBB216_930
; %bb.923:                              ;   in Loop: Header=BB216_15 Depth=1
	v_mov_b64_e32 v[2:3], 0x8000000000000000
	s_mov_b32 s15, exec_lo
	scratch_store_b64 off, v[2:3], s32 offset:1148 ; 8-byte Folded Spill
	s_wait_xcnt 0x0
	v_cmpx_ne_u16_e32 0x80, v1
	s_cbranch_execz .LBB216_929
; %bb.924:                              ;   in Loop: Header=BB216_15 Depth=1
	v_and_b32_e32 v1, 0xffff, v1
	v_mov_b64_e32 v[4:5], 0x7f80000100000000
	s_mov_b32 s16, exec_lo
	s_delay_alu instid0(VALU_DEP_2)
	v_and_b32_e32 v2, 0x7f, v1
	scratch_store_b64 off, v[4:5], s32 offset:1148 ; 8-byte Folded Spill
	s_wait_xcnt 0x0
	v_cmpx_ne_u32_e32 0x7f, v2
	s_cbranch_execz .LBB216_928
; %bb.925:                              ;   in Loop: Header=BB216_15 Depth=1
	scratch_load_b64 v[4:5], off, s32 offset:192 th:TH_LOAD_LU ; 8-byte Folded Reload
	s_wait_loadcnt 0x0
	v_dual_lshrrev_b32 v1, 3, v2 :: v_dual_bitop2_b32 v4, 7, v1 bitop3:0x40
	s_mov_b32 s17, exec_lo
	s_wait_xcnt 0x0
	v_cmpx_gt_u32_e32 8, v2
; %bb.926:                              ;   in Loop: Header=BB216_15 Depth=1
	s_delay_alu instid0(VALU_DEP_2) | instskip(NEXT) | instid1(VALU_DEP_1)
	v_clz_i32_u32_e32 v1, v4
	v_min_u32_e32 v1, 32, v1
	s_delay_alu instid0(VALU_DEP_1) | instskip(NEXT) | instid1(VALU_DEP_1)
	v_subrev_nc_u32_e32 v2, 28, v1
	v_lshlrev_b64_e32 v[2:3], v2, v[4:5]
	s_delay_alu instid0(VALU_DEP_1)
	v_dual_sub_nc_u32 v1, 29, v1 :: v_dual_bitop2_b32 v4, 7, v2 bitop3:0x40
; %bb.927:                              ;   in Loop: Header=BB216_15 Depth=1
	s_or_b32 exec_lo, exec_lo, s17
	v_lshlrev_b32_e32 v2, 16, v0
	s_delay_alu instid0(VALU_DEP_2) | instskip(NEXT) | instid1(VALU_DEP_3)
	v_lshlrev_b32_e32 v3, 20, v4
	v_lshl_add_u32 v1, v1, 23, 0x3c000000
	s_delay_alu instid0(VALU_DEP_3) | instskip(NEXT) | instid1(VALU_DEP_1)
	v_and_b32_e32 v2, 0x80000000, v2
	v_or3_b32 v3, v3, v2, v1
	v_dual_mov_b32 v1, v5 :: v_dual_mov_b32 v2, v5
	s_clause 0x1
	scratch_store_b64 off, v[0:1], s32 offset:192
	scratch_store_b64 off, v[2:3], s32 offset:1148
.LBB216_928:                            ;   in Loop: Header=BB216_15 Depth=1
	s_wait_xcnt 0x0
	s_or_b32 exec_lo, exec_lo, s16
.LBB216_929:                            ;   in Loop: Header=BB216_15 Depth=1
	s_delay_alu instid0(SALU_CYCLE_1)
	s_or_b32 exec_lo, exec_lo, s15
.LBB216_930:                            ;   in Loop: Header=BB216_15 Depth=1
	s_delay_alu instid0(SALU_CYCLE_1) | instskip(SKIP_3) | instid1(VALU_DEP_1)
	s_or_b32 exec_lo, exec_lo, s14
	v_mov_b64_e32 v[4:5], 0
	v_lshrrev_b32_e32 v1, 16, v0
	s_mov_b32 s14, exec_lo
	v_and_b32_e32 v2, 0xff, v1
	scratch_store_b64 off, v[4:5], s32 offset:1164 ; 8-byte Folded Spill
	s_wait_xcnt 0x0
	v_mov_b64_e32 v[4:5], 0
	scratch_store_b64 off, v[4:5], s32 offset:1172 ; 8-byte Folded Spill
	s_wait_xcnt 0x0
	v_cmpx_ne_u16_e32 0, v2
	s_cbranch_execz .LBB216_938
; %bb.931:                              ;   in Loop: Header=BB216_15 Depth=1
	v_cmp_ne_u16_e64 s1, 0x80, v2
	v_mov_b64_e32 v[2:3], 0x80000000
	scratch_store_b64 off, v[2:3], s32 offset:1172 ; 8-byte Folded Spill
	s_wait_xcnt 0x0
	s_and_saveexec_b32 s15, s1
	s_cbranch_execz .LBB216_937
; %bb.932:                              ;   in Loop: Header=BB216_15 Depth=1
	v_mov_b64_e32 v[4:5], 0x7f800001
	v_bfe_u32 v3, v0, 16, 7
	s_mov_b32 s16, exec_lo
	scratch_store_b64 off, v[4:5], s32 offset:1172 ; 8-byte Folded Spill
	s_wait_xcnt 0x0
	v_cmpx_ne_u32_e32 0x7f, v3
	s_cbranch_execz .LBB216_936
; %bb.933:                              ;   in Loop: Header=BB216_15 Depth=1
	scratch_load_b64 v[6:7], off, s32 offset:192 th:TH_LOAD_LU ; 8-byte Folded Reload
	s_wait_loadcnt 0x0
	v_dual_lshrrev_b32 v2, 3, v3 :: v_dual_bitop2_b32 v6, 7, v1 bitop3:0x40
	s_mov_b32 s17, exec_lo
	s_wait_xcnt 0x0
	v_cmpx_gt_u32_e32 8, v3
; %bb.934:                              ;   in Loop: Header=BB216_15 Depth=1
	s_delay_alu instid0(VALU_DEP_2) | instskip(NEXT) | instid1(VALU_DEP_1)
	v_clz_i32_u32_e32 v2, v6
	v_min_u32_e32 v2, 32, v2
	s_delay_alu instid0(VALU_DEP_1) | instskip(NEXT) | instid1(VALU_DEP_1)
	v_subrev_nc_u32_e32 v3, 28, v2
	v_lshlrev_b64_e32 v[4:5], v3, v[6:7]
	s_delay_alu instid0(VALU_DEP_1)
	v_dual_sub_nc_u32 v2, 29, v2 :: v_dual_bitop2_b32 v6, 7, v4 bitop3:0x40
; %bb.935:                              ;   in Loop: Header=BB216_15 Depth=1
	s_or_b32 exec_lo, exec_lo, s17
	s_delay_alu instid0(VALU_DEP_1) | instskip(NEXT) | instid1(VALU_DEP_2)
	v_dual_lshlrev_b32 v1, 24, v1 :: v_dual_lshlrev_b32 v3, 20, v6
	v_lshl_add_u32 v2, v2, 23, 0x3c000000
	s_delay_alu instid0(VALU_DEP_2) | instskip(NEXT) | instid1(VALU_DEP_1)
	v_and_b32_e32 v1, 0x80000000, v1
	v_or3_b32 v6, v3, v1, v2
	v_mov_b32_e32 v1, v7
	s_clause 0x1
	scratch_store_b64 off, v[0:1], s32 offset:192
	scratch_store_b64 off, v[6:7], s32 offset:1172
.LBB216_936:                            ;   in Loop: Header=BB216_15 Depth=1
	s_wait_xcnt 0x0
	s_or_b32 exec_lo, exec_lo, s16
.LBB216_937:                            ;   in Loop: Header=BB216_15 Depth=1
	s_delay_alu instid0(SALU_CYCLE_1)
	s_or_b32 exec_lo, exec_lo, s15
.LBB216_938:                            ;   in Loop: Header=BB216_15 Depth=1
	s_delay_alu instid0(SALU_CYCLE_1) | instskip(NEXT) | instid1(SALU_CYCLE_1)
	s_or_b32 exec_lo, exec_lo, s14
	s_mov_b32 s14, exec_lo
	v_cmpx_lt_u32_e32 0xffffff, v0
	s_cbranch_execz .LBB216_946
; %bb.939:                              ;   in Loop: Header=BB216_15 Depth=1
	v_mov_b64_e32 v[2:3], 0x8000000000000000
	v_lshrrev_b32_e32 v1, 24, v0
	s_mov_b32 s15, exec_lo
	scratch_store_b64 off, v[2:3], s32 offset:1164 ; 8-byte Folded Spill
	s_wait_xcnt 0x0
	v_cmpx_ne_u32_e32 0x80, v1
	s_cbranch_execz .LBB216_945
; %bb.940:                              ;   in Loop: Header=BB216_15 Depth=1
	v_mov_b64_e32 v[4:5], 0x7f80000100000000
	v_bfe_u32 v2, v0, 24, 7
	s_mov_b32 s16, exec_lo
	scratch_store_b64 off, v[4:5], s32 offset:1164 ; 8-byte Folded Spill
	s_wait_xcnt 0x0
	v_cmpx_ne_u32_e32 0x7f, v2
	s_cbranch_execz .LBB216_944
; %bb.941:                              ;   in Loop: Header=BB216_15 Depth=1
	scratch_load_b64 v[4:5], off, s32 offset:192 th:TH_LOAD_LU ; 8-byte Folded Reload
	s_wait_loadcnt 0x0
	v_dual_lshrrev_b32 v0, 3, v2 :: v_dual_bitop2_b32 v4, 7, v1 bitop3:0x40
	s_mov_b32 s17, exec_lo
	s_wait_xcnt 0x0
	v_cmpx_gt_u32_e32 8, v2
; %bb.942:                              ;   in Loop: Header=BB216_15 Depth=1
	s_delay_alu instid0(VALU_DEP_2) | instskip(NEXT) | instid1(VALU_DEP_1)
	v_clz_i32_u32_e32 v0, v4
	v_min_u32_e32 v0, 32, v0
	s_delay_alu instid0(VALU_DEP_1) | instskip(NEXT) | instid1(VALU_DEP_1)
	v_subrev_nc_u32_e32 v2, 28, v0
	v_lshlrev_b64_e32 v[2:3], v2, v[4:5]
	s_delay_alu instid0(VALU_DEP_1)
	v_dual_sub_nc_u32 v0, 29, v0 :: v_dual_bitop2_b32 v4, 7, v2 bitop3:0x40
; %bb.943:                              ;   in Loop: Header=BB216_15 Depth=1
	s_or_b32 exec_lo, exec_lo, s17
	s_delay_alu instid0(VALU_DEP_1) | instskip(NEXT) | instid1(VALU_DEP_2)
	v_dual_lshlrev_b32 v1, 24, v1 :: v_dual_lshlrev_b32 v2, 20, v4
	v_lshl_add_u32 v0, v0, 23, 0x3c000000
	s_delay_alu instid0(VALU_DEP_2) | instskip(NEXT) | instid1(VALU_DEP_1)
	v_and_b32_e32 v1, 0x80000000, v1
	v_or3_b32 v3, v2, v1, v0
	v_dual_mov_b32 v1, v5 :: v_dual_mov_b32 v2, v5
	s_clause 0x1
	scratch_store_b64 off, v[0:1], s32 offset:192
	scratch_store_b64 off, v[2:3], s32 offset:1164
.LBB216_944:                            ;   in Loop: Header=BB216_15 Depth=1
	s_wait_xcnt 0x0
	s_or_b32 exec_lo, exec_lo, s16
.LBB216_945:                            ;   in Loop: Header=BB216_15 Depth=1
	s_delay_alu instid0(SALU_CYCLE_1)
	s_or_b32 exec_lo, exec_lo, s15
.LBB216_946:                            ;   in Loop: Header=BB216_15 Depth=1
	s_delay_alu instid0(SALU_CYCLE_1)
	s_or_b32 exec_lo, exec_lo, s14
	flat_load_b32 v0, v[84:85] offset:3588
	v_mov_b64_e32 v[2:3], 0
	s_mov_b32 s14, exec_lo
	scratch_store_b64 off, v[2:3], s32 offset:1180 ; 8-byte Folded Spill
	s_wait_xcnt 0x0
	v_mov_b64_e32 v[2:3], 0
	scratch_store_b64 off, v[2:3], s32 offset:1188 ; 8-byte Folded Spill
	s_wait_loadcnt_dscnt 0x0
	v_and_b32_e32 v1, 0xff, v0
	s_wait_xcnt 0x0
	s_delay_alu instid0(VALU_DEP_1)
	v_cmpx_ne_u16_e32 0, v1
	s_cbranch_execz .LBB216_954
; %bb.947:                              ;   in Loop: Header=BB216_15 Depth=1
	v_mov_b64_e32 v[2:3], 0x80000000
	s_mov_b32 s15, exec_lo
	scratch_store_b64 off, v[2:3], s32 offset:1188 ; 8-byte Folded Spill
	s_wait_xcnt 0x0
	v_cmpx_ne_u16_e32 0x80, v1
	s_cbranch_execz .LBB216_953
; %bb.948:                              ;   in Loop: Header=BB216_15 Depth=1
	v_mov_b64_e32 v[4:5], 0x7f800001
	v_and_b32_e32 v2, 0x7f, v0
	s_mov_b32 s16, exec_lo
	scratch_store_b64 off, v[4:5], s32 offset:1188 ; 8-byte Folded Spill
	s_wait_xcnt 0x0
	v_cmpx_ne_u32_e32 0x7f, v2
	s_cbranch_execz .LBB216_952
; %bb.949:                              ;   in Loop: Header=BB216_15 Depth=1
	scratch_load_b64 v[4:5], off, s32 offset:192 th:TH_LOAD_LU ; 8-byte Folded Reload
	s_wait_loadcnt 0x0
	v_dual_lshrrev_b32 v1, 3, v2 :: v_dual_bitop2_b32 v4, 7, v0 bitop3:0x40
	s_mov_b32 s17, exec_lo
	s_wait_xcnt 0x0
	v_cmpx_gt_u32_e32 8, v2
; %bb.950:                              ;   in Loop: Header=BB216_15 Depth=1
	s_delay_alu instid0(VALU_DEP_2) | instskip(NEXT) | instid1(VALU_DEP_1)
	v_clz_i32_u32_e32 v1, v4
	v_min_u32_e32 v1, 32, v1
	s_delay_alu instid0(VALU_DEP_1) | instskip(NEXT) | instid1(VALU_DEP_1)
	v_subrev_nc_u32_e32 v2, 28, v1
	v_lshlrev_b64_e32 v[2:3], v2, v[4:5]
	s_delay_alu instid0(VALU_DEP_1)
	v_dual_sub_nc_u32 v1, 29, v1 :: v_dual_bitop2_b32 v4, 7, v2 bitop3:0x40
; %bb.951:                              ;   in Loop: Header=BB216_15 Depth=1
	s_or_b32 exec_lo, exec_lo, s17
	v_lshlrev_b32_e32 v2, 24, v0
	s_delay_alu instid0(VALU_DEP_2) | instskip(NEXT) | instid1(VALU_DEP_3)
	v_lshlrev_b32_e32 v3, 20, v4
	v_lshl_add_u32 v1, v1, 23, 0x3c000000
	s_delay_alu instid0(VALU_DEP_3) | instskip(NEXT) | instid1(VALU_DEP_1)
	v_and_b32_e32 v2, 0x80000000, v2
	v_or3_b32 v4, v3, v2, v1
	v_mov_b32_e32 v1, v5
	s_clause 0x1
	scratch_store_b64 off, v[0:1], s32 offset:192
	scratch_store_b64 off, v[4:5], s32 offset:1188
.LBB216_952:                            ;   in Loop: Header=BB216_15 Depth=1
	s_wait_xcnt 0x0
	s_or_b32 exec_lo, exec_lo, s16
.LBB216_953:                            ;   in Loop: Header=BB216_15 Depth=1
	s_delay_alu instid0(SALU_CYCLE_1)
	s_or_b32 exec_lo, exec_lo, s15
.LBB216_954:                            ;   in Loop: Header=BB216_15 Depth=1
	s_delay_alu instid0(SALU_CYCLE_1) | instskip(SKIP_2) | instid1(VALU_DEP_1)
	s_or_b32 exec_lo, exec_lo, s14
	v_lshrrev_b16 v1, 8, v0
	s_mov_b32 s14, exec_lo
	v_cmpx_ne_u16_e32 0, v1
	s_cbranch_execz .LBB216_962
; %bb.955:                              ;   in Loop: Header=BB216_15 Depth=1
	v_mov_b64_e32 v[2:3], 0x8000000000000000
	s_mov_b32 s15, exec_lo
	scratch_store_b64 off, v[2:3], s32 offset:1180 ; 8-byte Folded Spill
	s_wait_xcnt 0x0
	v_cmpx_ne_u16_e32 0x80, v1
	s_cbranch_execz .LBB216_961
; %bb.956:                              ;   in Loop: Header=BB216_15 Depth=1
	v_and_b32_e32 v1, 0xffff, v1
	v_mov_b64_e32 v[4:5], 0x7f80000100000000
	s_mov_b32 s16, exec_lo
	s_delay_alu instid0(VALU_DEP_2)
	v_and_b32_e32 v2, 0x7f, v1
	scratch_store_b64 off, v[4:5], s32 offset:1180 ; 8-byte Folded Spill
	s_wait_xcnt 0x0
	v_cmpx_ne_u32_e32 0x7f, v2
	s_cbranch_execz .LBB216_960
; %bb.957:                              ;   in Loop: Header=BB216_15 Depth=1
	scratch_load_b64 v[4:5], off, s32 offset:192 th:TH_LOAD_LU ; 8-byte Folded Reload
	s_wait_loadcnt 0x0
	v_dual_lshrrev_b32 v1, 3, v2 :: v_dual_bitop2_b32 v4, 7, v1 bitop3:0x40
	s_mov_b32 s17, exec_lo
	s_wait_xcnt 0x0
	v_cmpx_gt_u32_e32 8, v2
; %bb.958:                              ;   in Loop: Header=BB216_15 Depth=1
	s_delay_alu instid0(VALU_DEP_2) | instskip(NEXT) | instid1(VALU_DEP_1)
	v_clz_i32_u32_e32 v1, v4
	v_min_u32_e32 v1, 32, v1
	s_delay_alu instid0(VALU_DEP_1) | instskip(NEXT) | instid1(VALU_DEP_1)
	v_subrev_nc_u32_e32 v2, 28, v1
	v_lshlrev_b64_e32 v[2:3], v2, v[4:5]
	s_delay_alu instid0(VALU_DEP_1)
	v_dual_sub_nc_u32 v1, 29, v1 :: v_dual_bitop2_b32 v4, 7, v2 bitop3:0x40
; %bb.959:                              ;   in Loop: Header=BB216_15 Depth=1
	s_or_b32 exec_lo, exec_lo, s17
	v_lshlrev_b32_e32 v2, 16, v0
	s_delay_alu instid0(VALU_DEP_2) | instskip(NEXT) | instid1(VALU_DEP_3)
	v_lshlrev_b32_e32 v3, 20, v4
	v_lshl_add_u32 v1, v1, 23, 0x3c000000
	s_delay_alu instid0(VALU_DEP_3) | instskip(NEXT) | instid1(VALU_DEP_1)
	v_and_b32_e32 v2, 0x80000000, v2
	v_or3_b32 v3, v3, v2, v1
	v_dual_mov_b32 v1, v5 :: v_dual_mov_b32 v2, v5
	s_clause 0x1
	scratch_store_b64 off, v[0:1], s32 offset:192
	scratch_store_b64 off, v[2:3], s32 offset:1180
.LBB216_960:                            ;   in Loop: Header=BB216_15 Depth=1
	s_wait_xcnt 0x0
	s_or_b32 exec_lo, exec_lo, s16
.LBB216_961:                            ;   in Loop: Header=BB216_15 Depth=1
	s_delay_alu instid0(SALU_CYCLE_1)
	s_or_b32 exec_lo, exec_lo, s15
.LBB216_962:                            ;   in Loop: Header=BB216_15 Depth=1
	s_delay_alu instid0(SALU_CYCLE_1) | instskip(SKIP_3) | instid1(VALU_DEP_1)
	s_or_b32 exec_lo, exec_lo, s14
	v_mov_b64_e32 v[4:5], 0
	v_lshrrev_b32_e32 v1, 16, v0
	s_mov_b32 s14, exec_lo
	v_and_b32_e32 v2, 0xff, v1
	scratch_store_b64 off, v[4:5], s32 offset:1196 ; 8-byte Folded Spill
	s_wait_xcnt 0x0
	v_mov_b64_e32 v[4:5], 0
	scratch_store_b64 off, v[4:5], s32 offset:1204 ; 8-byte Folded Spill
	s_wait_xcnt 0x0
	v_cmpx_ne_u16_e32 0, v2
	s_cbranch_execz .LBB216_970
; %bb.963:                              ;   in Loop: Header=BB216_15 Depth=1
	v_cmp_ne_u16_e64 s1, 0x80, v2
	v_mov_b64_e32 v[2:3], 0x80000000
	scratch_store_b64 off, v[2:3], s32 offset:1204 ; 8-byte Folded Spill
	s_wait_xcnt 0x0
	s_and_saveexec_b32 s15, s1
	s_cbranch_execz .LBB216_969
; %bb.964:                              ;   in Loop: Header=BB216_15 Depth=1
	v_mov_b64_e32 v[4:5], 0x7f800001
	v_bfe_u32 v3, v0, 16, 7
	s_mov_b32 s16, exec_lo
	scratch_store_b64 off, v[4:5], s32 offset:1204 ; 8-byte Folded Spill
	s_wait_xcnt 0x0
	v_cmpx_ne_u32_e32 0x7f, v3
	s_cbranch_execz .LBB216_968
; %bb.965:                              ;   in Loop: Header=BB216_15 Depth=1
	scratch_load_b64 v[6:7], off, s32 offset:192 th:TH_LOAD_LU ; 8-byte Folded Reload
	s_wait_loadcnt 0x0
	v_dual_lshrrev_b32 v2, 3, v3 :: v_dual_bitop2_b32 v6, 7, v1 bitop3:0x40
	s_mov_b32 s17, exec_lo
	s_wait_xcnt 0x0
	v_cmpx_gt_u32_e32 8, v3
; %bb.966:                              ;   in Loop: Header=BB216_15 Depth=1
	s_delay_alu instid0(VALU_DEP_2) | instskip(NEXT) | instid1(VALU_DEP_1)
	v_clz_i32_u32_e32 v2, v6
	v_min_u32_e32 v2, 32, v2
	s_delay_alu instid0(VALU_DEP_1) | instskip(NEXT) | instid1(VALU_DEP_1)
	v_subrev_nc_u32_e32 v3, 28, v2
	v_lshlrev_b64_e32 v[4:5], v3, v[6:7]
	s_delay_alu instid0(VALU_DEP_1)
	v_dual_sub_nc_u32 v2, 29, v2 :: v_dual_bitop2_b32 v6, 7, v4 bitop3:0x40
; %bb.967:                              ;   in Loop: Header=BB216_15 Depth=1
	s_or_b32 exec_lo, exec_lo, s17
	s_delay_alu instid0(VALU_DEP_1) | instskip(NEXT) | instid1(VALU_DEP_2)
	v_dual_lshlrev_b32 v1, 24, v1 :: v_dual_lshlrev_b32 v3, 20, v6
	v_lshl_add_u32 v2, v2, 23, 0x3c000000
	s_delay_alu instid0(VALU_DEP_2) | instskip(NEXT) | instid1(VALU_DEP_1)
	v_and_b32_e32 v1, 0x80000000, v1
	v_or3_b32 v6, v3, v1, v2
	v_mov_b32_e32 v1, v7
	s_clause 0x1
	scratch_store_b64 off, v[0:1], s32 offset:192
	scratch_store_b64 off, v[6:7], s32 offset:1204
.LBB216_968:                            ;   in Loop: Header=BB216_15 Depth=1
	s_wait_xcnt 0x0
	s_or_b32 exec_lo, exec_lo, s16
.LBB216_969:                            ;   in Loop: Header=BB216_15 Depth=1
	s_delay_alu instid0(SALU_CYCLE_1)
	s_or_b32 exec_lo, exec_lo, s15
.LBB216_970:                            ;   in Loop: Header=BB216_15 Depth=1
	s_delay_alu instid0(SALU_CYCLE_1) | instskip(NEXT) | instid1(SALU_CYCLE_1)
	s_or_b32 exec_lo, exec_lo, s14
	s_mov_b32 s14, exec_lo
	v_cmpx_lt_u32_e32 0xffffff, v0
	s_cbranch_execz .LBB216_978
; %bb.971:                              ;   in Loop: Header=BB216_15 Depth=1
	v_mov_b64_e32 v[2:3], 0x8000000000000000
	v_lshrrev_b32_e32 v1, 24, v0
	s_mov_b32 s15, exec_lo
	scratch_store_b64 off, v[2:3], s32 offset:1196 ; 8-byte Folded Spill
	s_wait_xcnt 0x0
	v_cmpx_ne_u32_e32 0x80, v1
	s_cbranch_execz .LBB216_977
; %bb.972:                              ;   in Loop: Header=BB216_15 Depth=1
	v_mov_b64_e32 v[4:5], 0x7f80000100000000
	v_bfe_u32 v2, v0, 24, 7
	s_mov_b32 s16, exec_lo
	scratch_store_b64 off, v[4:5], s32 offset:1196 ; 8-byte Folded Spill
	s_wait_xcnt 0x0
	v_cmpx_ne_u32_e32 0x7f, v2
	s_cbranch_execz .LBB216_976
; %bb.973:                              ;   in Loop: Header=BB216_15 Depth=1
	scratch_load_b64 v[4:5], off, s32 offset:192 th:TH_LOAD_LU ; 8-byte Folded Reload
	s_wait_loadcnt 0x0
	v_dual_lshrrev_b32 v0, 3, v2 :: v_dual_bitop2_b32 v4, 7, v1 bitop3:0x40
	s_mov_b32 s17, exec_lo
	s_wait_xcnt 0x0
	v_cmpx_gt_u32_e32 8, v2
; %bb.974:                              ;   in Loop: Header=BB216_15 Depth=1
	s_delay_alu instid0(VALU_DEP_2) | instskip(NEXT) | instid1(VALU_DEP_1)
	v_clz_i32_u32_e32 v0, v4
	v_min_u32_e32 v0, 32, v0
	s_delay_alu instid0(VALU_DEP_1) | instskip(NEXT) | instid1(VALU_DEP_1)
	v_subrev_nc_u32_e32 v2, 28, v0
	v_lshlrev_b64_e32 v[2:3], v2, v[4:5]
	s_delay_alu instid0(VALU_DEP_1)
	v_dual_sub_nc_u32 v0, 29, v0 :: v_dual_bitop2_b32 v4, 7, v2 bitop3:0x40
; %bb.975:                              ;   in Loop: Header=BB216_15 Depth=1
	s_or_b32 exec_lo, exec_lo, s17
	s_delay_alu instid0(VALU_DEP_1) | instskip(NEXT) | instid1(VALU_DEP_2)
	v_dual_lshlrev_b32 v1, 24, v1 :: v_dual_lshlrev_b32 v2, 20, v4
	v_lshl_add_u32 v0, v0, 23, 0x3c000000
	s_delay_alu instid0(VALU_DEP_2) | instskip(NEXT) | instid1(VALU_DEP_1)
	v_and_b32_e32 v1, 0x80000000, v1
	v_or3_b32 v3, v2, v1, v0
	v_dual_mov_b32 v1, v5 :: v_dual_mov_b32 v2, v5
	s_clause 0x1
	scratch_store_b64 off, v[0:1], s32 offset:192
	scratch_store_b64 off, v[2:3], s32 offset:1196
.LBB216_976:                            ;   in Loop: Header=BB216_15 Depth=1
	s_wait_xcnt 0x0
	s_or_b32 exec_lo, exec_lo, s16
.LBB216_977:                            ;   in Loop: Header=BB216_15 Depth=1
	s_delay_alu instid0(SALU_CYCLE_1)
	s_or_b32 exec_lo, exec_lo, s15
.LBB216_978:                            ;   in Loop: Header=BB216_15 Depth=1
	s_delay_alu instid0(SALU_CYCLE_1)
	s_or_b32 exec_lo, exec_lo, s14
	flat_load_b32 v0, v[84:85] offset:3592
	v_mov_b64_e32 v[2:3], 0
	s_mov_b32 s14, exec_lo
	scratch_store_b64 off, v[2:3], s32 offset:1212 ; 8-byte Folded Spill
	s_wait_xcnt 0x0
	v_mov_b64_e32 v[2:3], 0
	scratch_store_b64 off, v[2:3], s32 offset:1220 ; 8-byte Folded Spill
	s_wait_loadcnt_dscnt 0x0
	v_and_b32_e32 v1, 0xff, v0
	s_wait_xcnt 0x0
	s_delay_alu instid0(VALU_DEP_1)
	v_cmpx_ne_u16_e32 0, v1
	s_cbranch_execz .LBB216_986
; %bb.979:                              ;   in Loop: Header=BB216_15 Depth=1
	v_mov_b64_e32 v[2:3], 0x80000000
	s_mov_b32 s15, exec_lo
	scratch_store_b64 off, v[2:3], s32 offset:1220 ; 8-byte Folded Spill
	s_wait_xcnt 0x0
	v_cmpx_ne_u16_e32 0x80, v1
	s_cbranch_execz .LBB216_985
; %bb.980:                              ;   in Loop: Header=BB216_15 Depth=1
	v_mov_b64_e32 v[4:5], 0x7f800001
	v_and_b32_e32 v2, 0x7f, v0
	s_mov_b32 s16, exec_lo
	scratch_store_b64 off, v[4:5], s32 offset:1220 ; 8-byte Folded Spill
	s_wait_xcnt 0x0
	v_cmpx_ne_u32_e32 0x7f, v2
	s_cbranch_execz .LBB216_984
; %bb.981:                              ;   in Loop: Header=BB216_15 Depth=1
	scratch_load_b64 v[4:5], off, s32 offset:192 th:TH_LOAD_LU ; 8-byte Folded Reload
	s_wait_loadcnt 0x0
	v_dual_lshrrev_b32 v1, 3, v2 :: v_dual_bitop2_b32 v4, 7, v0 bitop3:0x40
	s_mov_b32 s17, exec_lo
	s_wait_xcnt 0x0
	v_cmpx_gt_u32_e32 8, v2
; %bb.982:                              ;   in Loop: Header=BB216_15 Depth=1
	s_delay_alu instid0(VALU_DEP_2) | instskip(NEXT) | instid1(VALU_DEP_1)
	v_clz_i32_u32_e32 v1, v4
	v_min_u32_e32 v1, 32, v1
	s_delay_alu instid0(VALU_DEP_1) | instskip(NEXT) | instid1(VALU_DEP_1)
	v_subrev_nc_u32_e32 v2, 28, v1
	v_lshlrev_b64_e32 v[2:3], v2, v[4:5]
	s_delay_alu instid0(VALU_DEP_1)
	v_dual_sub_nc_u32 v1, 29, v1 :: v_dual_bitop2_b32 v4, 7, v2 bitop3:0x40
; %bb.983:                              ;   in Loop: Header=BB216_15 Depth=1
	s_or_b32 exec_lo, exec_lo, s17
	v_lshlrev_b32_e32 v2, 24, v0
	s_delay_alu instid0(VALU_DEP_2) | instskip(NEXT) | instid1(VALU_DEP_3)
	v_lshlrev_b32_e32 v3, 20, v4
	v_lshl_add_u32 v1, v1, 23, 0x3c000000
	s_delay_alu instid0(VALU_DEP_3) | instskip(NEXT) | instid1(VALU_DEP_1)
	v_and_b32_e32 v2, 0x80000000, v2
	v_or3_b32 v4, v3, v2, v1
	v_mov_b32_e32 v1, v5
	s_clause 0x1
	scratch_store_b64 off, v[0:1], s32 offset:192
	scratch_store_b64 off, v[4:5], s32 offset:1220
.LBB216_984:                            ;   in Loop: Header=BB216_15 Depth=1
	s_wait_xcnt 0x0
	s_or_b32 exec_lo, exec_lo, s16
.LBB216_985:                            ;   in Loop: Header=BB216_15 Depth=1
	s_delay_alu instid0(SALU_CYCLE_1)
	s_or_b32 exec_lo, exec_lo, s15
.LBB216_986:                            ;   in Loop: Header=BB216_15 Depth=1
	s_delay_alu instid0(SALU_CYCLE_1) | instskip(SKIP_2) | instid1(VALU_DEP_1)
	s_or_b32 exec_lo, exec_lo, s14
	v_lshrrev_b16 v1, 8, v0
	s_mov_b32 s14, exec_lo
	v_cmpx_ne_u16_e32 0, v1
	s_cbranch_execz .LBB216_994
; %bb.987:                              ;   in Loop: Header=BB216_15 Depth=1
	v_mov_b64_e32 v[2:3], 0x8000000000000000
	s_mov_b32 s15, exec_lo
	scratch_store_b64 off, v[2:3], s32 offset:1212 ; 8-byte Folded Spill
	s_wait_xcnt 0x0
	v_cmpx_ne_u16_e32 0x80, v1
	s_cbranch_execz .LBB216_993
; %bb.988:                              ;   in Loop: Header=BB216_15 Depth=1
	v_and_b32_e32 v1, 0xffff, v1
	v_mov_b64_e32 v[4:5], 0x7f80000100000000
	s_mov_b32 s16, exec_lo
	s_delay_alu instid0(VALU_DEP_2)
	v_and_b32_e32 v2, 0x7f, v1
	scratch_store_b64 off, v[4:5], s32 offset:1212 ; 8-byte Folded Spill
	s_wait_xcnt 0x0
	v_cmpx_ne_u32_e32 0x7f, v2
	s_cbranch_execz .LBB216_992
; %bb.989:                              ;   in Loop: Header=BB216_15 Depth=1
	scratch_load_b64 v[4:5], off, s32 offset:192 th:TH_LOAD_LU ; 8-byte Folded Reload
	s_wait_loadcnt 0x0
	v_dual_lshrrev_b32 v1, 3, v2 :: v_dual_bitop2_b32 v4, 7, v1 bitop3:0x40
	s_mov_b32 s17, exec_lo
	s_wait_xcnt 0x0
	v_cmpx_gt_u32_e32 8, v2
; %bb.990:                              ;   in Loop: Header=BB216_15 Depth=1
	s_delay_alu instid0(VALU_DEP_2) | instskip(NEXT) | instid1(VALU_DEP_1)
	v_clz_i32_u32_e32 v1, v4
	v_min_u32_e32 v1, 32, v1
	s_delay_alu instid0(VALU_DEP_1) | instskip(NEXT) | instid1(VALU_DEP_1)
	v_subrev_nc_u32_e32 v2, 28, v1
	v_lshlrev_b64_e32 v[2:3], v2, v[4:5]
	s_delay_alu instid0(VALU_DEP_1)
	v_dual_sub_nc_u32 v1, 29, v1 :: v_dual_bitop2_b32 v4, 7, v2 bitop3:0x40
; %bb.991:                              ;   in Loop: Header=BB216_15 Depth=1
	s_or_b32 exec_lo, exec_lo, s17
	v_lshlrev_b32_e32 v2, 16, v0
	s_delay_alu instid0(VALU_DEP_2) | instskip(NEXT) | instid1(VALU_DEP_3)
	v_lshlrev_b32_e32 v3, 20, v4
	v_lshl_add_u32 v1, v1, 23, 0x3c000000
	s_delay_alu instid0(VALU_DEP_3) | instskip(NEXT) | instid1(VALU_DEP_1)
	v_and_b32_e32 v2, 0x80000000, v2
	v_or3_b32 v3, v3, v2, v1
	v_dual_mov_b32 v1, v5 :: v_dual_mov_b32 v2, v5
	s_clause 0x1
	scratch_store_b64 off, v[0:1], s32 offset:192
	scratch_store_b64 off, v[2:3], s32 offset:1212
.LBB216_992:                            ;   in Loop: Header=BB216_15 Depth=1
	s_wait_xcnt 0x0
	s_or_b32 exec_lo, exec_lo, s16
.LBB216_993:                            ;   in Loop: Header=BB216_15 Depth=1
	s_delay_alu instid0(SALU_CYCLE_1)
	s_or_b32 exec_lo, exec_lo, s15
.LBB216_994:                            ;   in Loop: Header=BB216_15 Depth=1
	s_delay_alu instid0(SALU_CYCLE_1) | instskip(SKIP_3) | instid1(VALU_DEP_1)
	s_or_b32 exec_lo, exec_lo, s14
	v_mov_b64_e32 v[4:5], 0
	v_lshrrev_b32_e32 v1, 16, v0
	s_mov_b32 s14, exec_lo
	v_and_b32_e32 v2, 0xff, v1
	scratch_store_b64 off, v[4:5], s32 offset:1228 ; 8-byte Folded Spill
	s_wait_xcnt 0x0
	v_mov_b64_e32 v[4:5], 0
	scratch_store_b64 off, v[4:5], s32 offset:1236 ; 8-byte Folded Spill
	s_wait_xcnt 0x0
	v_cmpx_ne_u16_e32 0, v2
	s_cbranch_execz .LBB216_1002
; %bb.995:                              ;   in Loop: Header=BB216_15 Depth=1
	v_cmp_ne_u16_e64 s1, 0x80, v2
	v_mov_b64_e32 v[2:3], 0x80000000
	scratch_store_b64 off, v[2:3], s32 offset:1236 ; 8-byte Folded Spill
	s_wait_xcnt 0x0
	s_and_saveexec_b32 s15, s1
	s_cbranch_execz .LBB216_1001
; %bb.996:                              ;   in Loop: Header=BB216_15 Depth=1
	v_mov_b64_e32 v[4:5], 0x7f800001
	v_bfe_u32 v3, v0, 16, 7
	s_mov_b32 s16, exec_lo
	scratch_store_b64 off, v[4:5], s32 offset:1236 ; 8-byte Folded Spill
	s_wait_xcnt 0x0
	v_cmpx_ne_u32_e32 0x7f, v3
	s_cbranch_execz .LBB216_1000
; %bb.997:                              ;   in Loop: Header=BB216_15 Depth=1
	scratch_load_b64 v[6:7], off, s32 offset:192 th:TH_LOAD_LU ; 8-byte Folded Reload
	s_wait_loadcnt 0x0
	v_dual_lshrrev_b32 v2, 3, v3 :: v_dual_bitop2_b32 v6, 7, v1 bitop3:0x40
	s_mov_b32 s17, exec_lo
	s_wait_xcnt 0x0
	v_cmpx_gt_u32_e32 8, v3
; %bb.998:                              ;   in Loop: Header=BB216_15 Depth=1
	s_delay_alu instid0(VALU_DEP_2) | instskip(NEXT) | instid1(VALU_DEP_1)
	v_clz_i32_u32_e32 v2, v6
	v_min_u32_e32 v2, 32, v2
	s_delay_alu instid0(VALU_DEP_1) | instskip(NEXT) | instid1(VALU_DEP_1)
	v_subrev_nc_u32_e32 v3, 28, v2
	v_lshlrev_b64_e32 v[4:5], v3, v[6:7]
	s_delay_alu instid0(VALU_DEP_1)
	v_dual_sub_nc_u32 v2, 29, v2 :: v_dual_bitop2_b32 v6, 7, v4 bitop3:0x40
; %bb.999:                              ;   in Loop: Header=BB216_15 Depth=1
	s_or_b32 exec_lo, exec_lo, s17
	s_delay_alu instid0(VALU_DEP_1) | instskip(NEXT) | instid1(VALU_DEP_2)
	v_dual_lshlrev_b32 v1, 24, v1 :: v_dual_lshlrev_b32 v3, 20, v6
	v_lshl_add_u32 v2, v2, 23, 0x3c000000
	s_delay_alu instid0(VALU_DEP_2) | instskip(NEXT) | instid1(VALU_DEP_1)
	v_and_b32_e32 v1, 0x80000000, v1
	v_or3_b32 v6, v3, v1, v2
	v_mov_b32_e32 v1, v7
	s_clause 0x1
	scratch_store_b64 off, v[0:1], s32 offset:192
	scratch_store_b64 off, v[6:7], s32 offset:1236
.LBB216_1000:                           ;   in Loop: Header=BB216_15 Depth=1
	s_wait_xcnt 0x0
	s_or_b32 exec_lo, exec_lo, s16
.LBB216_1001:                           ;   in Loop: Header=BB216_15 Depth=1
	s_delay_alu instid0(SALU_CYCLE_1)
	s_or_b32 exec_lo, exec_lo, s15
.LBB216_1002:                           ;   in Loop: Header=BB216_15 Depth=1
	s_delay_alu instid0(SALU_CYCLE_1) | instskip(NEXT) | instid1(SALU_CYCLE_1)
	s_or_b32 exec_lo, exec_lo, s14
	s_mov_b32 s14, exec_lo
	v_cmpx_lt_u32_e32 0xffffff, v0
	s_cbranch_execz .LBB216_1010
; %bb.1003:                             ;   in Loop: Header=BB216_15 Depth=1
	v_mov_b64_e32 v[2:3], 0x8000000000000000
	v_lshrrev_b32_e32 v1, 24, v0
	s_mov_b32 s15, exec_lo
	scratch_store_b64 off, v[2:3], s32 offset:1228 ; 8-byte Folded Spill
	s_wait_xcnt 0x0
	v_cmpx_ne_u32_e32 0x80, v1
	s_cbranch_execz .LBB216_1009
; %bb.1004:                             ;   in Loop: Header=BB216_15 Depth=1
	v_mov_b64_e32 v[4:5], 0x7f80000100000000
	v_bfe_u32 v2, v0, 24, 7
	s_mov_b32 s16, exec_lo
	scratch_store_b64 off, v[4:5], s32 offset:1228 ; 8-byte Folded Spill
	s_wait_xcnt 0x0
	v_cmpx_ne_u32_e32 0x7f, v2
	s_cbranch_execz .LBB216_1008
; %bb.1005:                             ;   in Loop: Header=BB216_15 Depth=1
	scratch_load_b64 v[4:5], off, s32 offset:192 th:TH_LOAD_LU ; 8-byte Folded Reload
	s_wait_loadcnt 0x0
	v_dual_lshrrev_b32 v0, 3, v2 :: v_dual_bitop2_b32 v4, 7, v1 bitop3:0x40
	s_mov_b32 s17, exec_lo
	s_wait_xcnt 0x0
	v_cmpx_gt_u32_e32 8, v2
; %bb.1006:                             ;   in Loop: Header=BB216_15 Depth=1
	s_delay_alu instid0(VALU_DEP_2) | instskip(NEXT) | instid1(VALU_DEP_1)
	v_clz_i32_u32_e32 v0, v4
	v_min_u32_e32 v0, 32, v0
	s_delay_alu instid0(VALU_DEP_1) | instskip(NEXT) | instid1(VALU_DEP_1)
	v_subrev_nc_u32_e32 v2, 28, v0
	v_lshlrev_b64_e32 v[2:3], v2, v[4:5]
	s_delay_alu instid0(VALU_DEP_1)
	v_dual_sub_nc_u32 v0, 29, v0 :: v_dual_bitop2_b32 v4, 7, v2 bitop3:0x40
; %bb.1007:                             ;   in Loop: Header=BB216_15 Depth=1
	s_or_b32 exec_lo, exec_lo, s17
	s_delay_alu instid0(VALU_DEP_1) | instskip(NEXT) | instid1(VALU_DEP_2)
	v_dual_lshlrev_b32 v1, 24, v1 :: v_dual_lshlrev_b32 v2, 20, v4
	v_lshl_add_u32 v0, v0, 23, 0x3c000000
	s_delay_alu instid0(VALU_DEP_2) | instskip(NEXT) | instid1(VALU_DEP_1)
	v_and_b32_e32 v1, 0x80000000, v1
	v_or3_b32 v3, v2, v1, v0
	v_dual_mov_b32 v1, v5 :: v_dual_mov_b32 v2, v5
	s_clause 0x1
	scratch_store_b64 off, v[0:1], s32 offset:192
	scratch_store_b64 off, v[2:3], s32 offset:1228
.LBB216_1008:                           ;   in Loop: Header=BB216_15 Depth=1
	s_wait_xcnt 0x0
	s_or_b32 exec_lo, exec_lo, s16
.LBB216_1009:                           ;   in Loop: Header=BB216_15 Depth=1
	s_delay_alu instid0(SALU_CYCLE_1)
	s_or_b32 exec_lo, exec_lo, s15
.LBB216_1010:                           ;   in Loop: Header=BB216_15 Depth=1
	s_delay_alu instid0(SALU_CYCLE_1)
	s_or_b32 exec_lo, exec_lo, s14
	flat_load_b32 v0, v[84:85] offset:3596
	v_mov_b64_e32 v[2:3], 0
	s_mov_b32 s14, exec_lo
	scratch_store_b64 off, v[2:3], s32 offset:1244 ; 8-byte Folded Spill
	s_wait_xcnt 0x0
	v_mov_b64_e32 v[2:3], 0
	scratch_store_b64 off, v[2:3], s32 offset:1252 ; 8-byte Folded Spill
	s_wait_loadcnt_dscnt 0x0
	v_and_b32_e32 v1, 0xff, v0
	s_wait_xcnt 0x0
	s_delay_alu instid0(VALU_DEP_1)
	v_cmpx_ne_u16_e32 0, v1
	s_cbranch_execz .LBB216_1018
; %bb.1011:                             ;   in Loop: Header=BB216_15 Depth=1
	v_mov_b64_e32 v[2:3], 0x80000000
	s_mov_b32 s15, exec_lo
	scratch_store_b64 off, v[2:3], s32 offset:1252 ; 8-byte Folded Spill
	s_wait_xcnt 0x0
	v_cmpx_ne_u16_e32 0x80, v1
	s_cbranch_execz .LBB216_1017
; %bb.1012:                             ;   in Loop: Header=BB216_15 Depth=1
	v_mov_b64_e32 v[4:5], 0x7f800001
	v_and_b32_e32 v2, 0x7f, v0
	s_mov_b32 s16, exec_lo
	scratch_store_b64 off, v[4:5], s32 offset:1252 ; 8-byte Folded Spill
	s_wait_xcnt 0x0
	v_cmpx_ne_u32_e32 0x7f, v2
	s_cbranch_execz .LBB216_1016
; %bb.1013:                             ;   in Loop: Header=BB216_15 Depth=1
	scratch_load_b64 v[4:5], off, s32 offset:192 th:TH_LOAD_LU ; 8-byte Folded Reload
	s_wait_loadcnt 0x0
	v_dual_lshrrev_b32 v1, 3, v2 :: v_dual_bitop2_b32 v4, 7, v0 bitop3:0x40
	s_mov_b32 s17, exec_lo
	s_wait_xcnt 0x0
	v_cmpx_gt_u32_e32 8, v2
; %bb.1014:                             ;   in Loop: Header=BB216_15 Depth=1
	s_delay_alu instid0(VALU_DEP_2) | instskip(NEXT) | instid1(VALU_DEP_1)
	v_clz_i32_u32_e32 v1, v4
	v_min_u32_e32 v1, 32, v1
	s_delay_alu instid0(VALU_DEP_1) | instskip(NEXT) | instid1(VALU_DEP_1)
	v_subrev_nc_u32_e32 v2, 28, v1
	v_lshlrev_b64_e32 v[2:3], v2, v[4:5]
	s_delay_alu instid0(VALU_DEP_1)
	v_dual_sub_nc_u32 v1, 29, v1 :: v_dual_bitop2_b32 v4, 7, v2 bitop3:0x40
; %bb.1015:                             ;   in Loop: Header=BB216_15 Depth=1
	s_or_b32 exec_lo, exec_lo, s17
	v_lshlrev_b32_e32 v2, 24, v0
	s_delay_alu instid0(VALU_DEP_2) | instskip(NEXT) | instid1(VALU_DEP_3)
	v_lshlrev_b32_e32 v3, 20, v4
	v_lshl_add_u32 v1, v1, 23, 0x3c000000
	s_delay_alu instid0(VALU_DEP_3) | instskip(NEXT) | instid1(VALU_DEP_1)
	v_and_b32_e32 v2, 0x80000000, v2
	v_or3_b32 v4, v3, v2, v1
	v_mov_b32_e32 v1, v5
	s_clause 0x1
	scratch_store_b64 off, v[0:1], s32 offset:192
	scratch_store_b64 off, v[4:5], s32 offset:1252
.LBB216_1016:                           ;   in Loop: Header=BB216_15 Depth=1
	s_wait_xcnt 0x0
	s_or_b32 exec_lo, exec_lo, s16
.LBB216_1017:                           ;   in Loop: Header=BB216_15 Depth=1
	s_delay_alu instid0(SALU_CYCLE_1)
	s_or_b32 exec_lo, exec_lo, s15
.LBB216_1018:                           ;   in Loop: Header=BB216_15 Depth=1
	s_delay_alu instid0(SALU_CYCLE_1) | instskip(SKIP_2) | instid1(VALU_DEP_1)
	s_or_b32 exec_lo, exec_lo, s14
	v_lshrrev_b16 v1, 8, v0
	s_mov_b32 s14, exec_lo
	v_cmpx_ne_u16_e32 0, v1
	s_cbranch_execz .LBB216_1026
; %bb.1019:                             ;   in Loop: Header=BB216_15 Depth=1
	v_mov_b64_e32 v[2:3], 0x8000000000000000
	s_mov_b32 s15, exec_lo
	scratch_store_b64 off, v[2:3], s32 offset:1244 ; 8-byte Folded Spill
	s_wait_xcnt 0x0
	v_cmpx_ne_u16_e32 0x80, v1
	s_cbranch_execz .LBB216_1025
; %bb.1020:                             ;   in Loop: Header=BB216_15 Depth=1
	v_and_b32_e32 v1, 0xffff, v1
	v_mov_b64_e32 v[4:5], 0x7f80000100000000
	s_mov_b32 s16, exec_lo
	s_delay_alu instid0(VALU_DEP_2)
	v_and_b32_e32 v2, 0x7f, v1
	scratch_store_b64 off, v[4:5], s32 offset:1244 ; 8-byte Folded Spill
	s_wait_xcnt 0x0
	v_cmpx_ne_u32_e32 0x7f, v2
	s_cbranch_execz .LBB216_1024
; %bb.1021:                             ;   in Loop: Header=BB216_15 Depth=1
	scratch_load_b64 v[4:5], off, s32 offset:192 th:TH_LOAD_LU ; 8-byte Folded Reload
	s_wait_loadcnt 0x0
	v_dual_lshrrev_b32 v1, 3, v2 :: v_dual_bitop2_b32 v4, 7, v1 bitop3:0x40
	s_mov_b32 s17, exec_lo
	s_wait_xcnt 0x0
	v_cmpx_gt_u32_e32 8, v2
; %bb.1022:                             ;   in Loop: Header=BB216_15 Depth=1
	s_delay_alu instid0(VALU_DEP_2) | instskip(NEXT) | instid1(VALU_DEP_1)
	v_clz_i32_u32_e32 v1, v4
	v_min_u32_e32 v1, 32, v1
	s_delay_alu instid0(VALU_DEP_1) | instskip(NEXT) | instid1(VALU_DEP_1)
	v_subrev_nc_u32_e32 v2, 28, v1
	v_lshlrev_b64_e32 v[2:3], v2, v[4:5]
	s_delay_alu instid0(VALU_DEP_1)
	v_dual_sub_nc_u32 v1, 29, v1 :: v_dual_bitop2_b32 v4, 7, v2 bitop3:0x40
; %bb.1023:                             ;   in Loop: Header=BB216_15 Depth=1
	s_or_b32 exec_lo, exec_lo, s17
	v_lshlrev_b32_e32 v2, 16, v0
	s_delay_alu instid0(VALU_DEP_2) | instskip(NEXT) | instid1(VALU_DEP_3)
	v_lshlrev_b32_e32 v3, 20, v4
	v_lshl_add_u32 v1, v1, 23, 0x3c000000
	s_delay_alu instid0(VALU_DEP_3) | instskip(NEXT) | instid1(VALU_DEP_1)
	v_and_b32_e32 v2, 0x80000000, v2
	v_or3_b32 v3, v3, v2, v1
	v_dual_mov_b32 v1, v5 :: v_dual_mov_b32 v2, v5
	s_clause 0x1
	scratch_store_b64 off, v[0:1], s32 offset:192
	scratch_store_b64 off, v[2:3], s32 offset:1244
.LBB216_1024:                           ;   in Loop: Header=BB216_15 Depth=1
	s_wait_xcnt 0x0
	s_or_b32 exec_lo, exec_lo, s16
.LBB216_1025:                           ;   in Loop: Header=BB216_15 Depth=1
	s_delay_alu instid0(SALU_CYCLE_1)
	s_or_b32 exec_lo, exec_lo, s15
.LBB216_1026:                           ;   in Loop: Header=BB216_15 Depth=1
	s_delay_alu instid0(SALU_CYCLE_1) | instskip(SKIP_3) | instid1(VALU_DEP_1)
	s_or_b32 exec_lo, exec_lo, s14
	v_mov_b64_e32 v[4:5], 0
	v_lshrrev_b32_e32 v1, 16, v0
	s_mov_b32 s14, exec_lo
	v_and_b32_e32 v2, 0xff, v1
	scratch_store_b64 off, v[4:5], s32 offset:1260 ; 8-byte Folded Spill
	s_wait_xcnt 0x0
	v_mov_b64_e32 v[4:5], 0
	scratch_store_b64 off, v[4:5], s32 offset:1268 ; 8-byte Folded Spill
	s_wait_xcnt 0x0
	v_cmpx_ne_u16_e32 0, v2
	s_cbranch_execz .LBB216_1034
; %bb.1027:                             ;   in Loop: Header=BB216_15 Depth=1
	v_cmp_ne_u16_e64 s1, 0x80, v2
	v_mov_b64_e32 v[2:3], 0x80000000
	scratch_store_b64 off, v[2:3], s32 offset:1268 ; 8-byte Folded Spill
	s_wait_xcnt 0x0
	s_and_saveexec_b32 s15, s1
	s_cbranch_execz .LBB216_1033
; %bb.1028:                             ;   in Loop: Header=BB216_15 Depth=1
	v_mov_b64_e32 v[4:5], 0x7f800001
	v_bfe_u32 v3, v0, 16, 7
	s_mov_b32 s16, exec_lo
	scratch_store_b64 off, v[4:5], s32 offset:1268 ; 8-byte Folded Spill
	s_wait_xcnt 0x0
	v_cmpx_ne_u32_e32 0x7f, v3
	s_cbranch_execz .LBB216_1032
; %bb.1029:                             ;   in Loop: Header=BB216_15 Depth=1
	scratch_load_b64 v[6:7], off, s32 offset:192 th:TH_LOAD_LU ; 8-byte Folded Reload
	s_wait_loadcnt 0x0
	v_dual_lshrrev_b32 v2, 3, v3 :: v_dual_bitop2_b32 v6, 7, v1 bitop3:0x40
	s_mov_b32 s17, exec_lo
	s_wait_xcnt 0x0
	v_cmpx_gt_u32_e32 8, v3
; %bb.1030:                             ;   in Loop: Header=BB216_15 Depth=1
	s_delay_alu instid0(VALU_DEP_2) | instskip(NEXT) | instid1(VALU_DEP_1)
	v_clz_i32_u32_e32 v2, v6
	v_min_u32_e32 v2, 32, v2
	s_delay_alu instid0(VALU_DEP_1) | instskip(NEXT) | instid1(VALU_DEP_1)
	v_subrev_nc_u32_e32 v3, 28, v2
	v_lshlrev_b64_e32 v[4:5], v3, v[6:7]
	s_delay_alu instid0(VALU_DEP_1)
	v_dual_sub_nc_u32 v2, 29, v2 :: v_dual_bitop2_b32 v6, 7, v4 bitop3:0x40
; %bb.1031:                             ;   in Loop: Header=BB216_15 Depth=1
	s_or_b32 exec_lo, exec_lo, s17
	s_delay_alu instid0(VALU_DEP_1) | instskip(NEXT) | instid1(VALU_DEP_2)
	v_dual_lshlrev_b32 v1, 24, v1 :: v_dual_lshlrev_b32 v3, 20, v6
	v_lshl_add_u32 v2, v2, 23, 0x3c000000
	s_delay_alu instid0(VALU_DEP_2) | instskip(NEXT) | instid1(VALU_DEP_1)
	v_and_b32_e32 v1, 0x80000000, v1
	v_or3_b32 v6, v3, v1, v2
	v_mov_b32_e32 v1, v7
	s_clause 0x1
	scratch_store_b64 off, v[0:1], s32 offset:192
	scratch_store_b64 off, v[6:7], s32 offset:1268
.LBB216_1032:                           ;   in Loop: Header=BB216_15 Depth=1
	s_wait_xcnt 0x0
	s_or_b32 exec_lo, exec_lo, s16
.LBB216_1033:                           ;   in Loop: Header=BB216_15 Depth=1
	s_delay_alu instid0(SALU_CYCLE_1)
	s_or_b32 exec_lo, exec_lo, s15
.LBB216_1034:                           ;   in Loop: Header=BB216_15 Depth=1
	s_delay_alu instid0(SALU_CYCLE_1) | instskip(NEXT) | instid1(SALU_CYCLE_1)
	s_or_b32 exec_lo, exec_lo, s14
	s_mov_b32 s14, exec_lo
	v_cmpx_lt_u32_e32 0xffffff, v0
	s_cbranch_execz .LBB216_1042
; %bb.1035:                             ;   in Loop: Header=BB216_15 Depth=1
	v_mov_b64_e32 v[2:3], 0x8000000000000000
	v_lshrrev_b32_e32 v1, 24, v0
	s_mov_b32 s15, exec_lo
	scratch_store_b64 off, v[2:3], s32 offset:1260 ; 8-byte Folded Spill
	s_wait_xcnt 0x0
	v_cmpx_ne_u32_e32 0x80, v1
	s_cbranch_execz .LBB216_1041
; %bb.1036:                             ;   in Loop: Header=BB216_15 Depth=1
	v_mov_b64_e32 v[4:5], 0x7f80000100000000
	v_bfe_u32 v2, v0, 24, 7
	s_mov_b32 s16, exec_lo
	scratch_store_b64 off, v[4:5], s32 offset:1260 ; 8-byte Folded Spill
	s_wait_xcnt 0x0
	v_cmpx_ne_u32_e32 0x7f, v2
	s_cbranch_execz .LBB216_1040
; %bb.1037:                             ;   in Loop: Header=BB216_15 Depth=1
	scratch_load_b64 v[4:5], off, s32 offset:192 th:TH_LOAD_LU ; 8-byte Folded Reload
	s_wait_loadcnt 0x0
	v_dual_lshrrev_b32 v0, 3, v2 :: v_dual_bitop2_b32 v4, 7, v1 bitop3:0x40
	s_mov_b32 s17, exec_lo
	s_wait_xcnt 0x0
	v_cmpx_gt_u32_e32 8, v2
; %bb.1038:                             ;   in Loop: Header=BB216_15 Depth=1
	s_delay_alu instid0(VALU_DEP_2) | instskip(NEXT) | instid1(VALU_DEP_1)
	v_clz_i32_u32_e32 v0, v4
	v_min_u32_e32 v0, 32, v0
	s_delay_alu instid0(VALU_DEP_1) | instskip(NEXT) | instid1(VALU_DEP_1)
	v_subrev_nc_u32_e32 v2, 28, v0
	v_lshlrev_b64_e32 v[2:3], v2, v[4:5]
	s_delay_alu instid0(VALU_DEP_1)
	v_dual_sub_nc_u32 v0, 29, v0 :: v_dual_bitop2_b32 v4, 7, v2 bitop3:0x40
; %bb.1039:                             ;   in Loop: Header=BB216_15 Depth=1
	s_or_b32 exec_lo, exec_lo, s17
	s_delay_alu instid0(VALU_DEP_1) | instskip(NEXT) | instid1(VALU_DEP_2)
	v_dual_lshlrev_b32 v1, 24, v1 :: v_dual_lshlrev_b32 v2, 20, v4
	v_lshl_add_u32 v0, v0, 23, 0x3c000000
	s_delay_alu instid0(VALU_DEP_2) | instskip(NEXT) | instid1(VALU_DEP_1)
	v_and_b32_e32 v1, 0x80000000, v1
	v_or3_b32 v3, v2, v1, v0
	v_dual_mov_b32 v1, v5 :: v_dual_mov_b32 v2, v5
	s_clause 0x1
	scratch_store_b64 off, v[0:1], s32 offset:192
	scratch_store_b64 off, v[2:3], s32 offset:1260
.LBB216_1040:                           ;   in Loop: Header=BB216_15 Depth=1
	s_wait_xcnt 0x0
	s_or_b32 exec_lo, exec_lo, s16
.LBB216_1041:                           ;   in Loop: Header=BB216_15 Depth=1
	s_delay_alu instid0(SALU_CYCLE_1)
	s_or_b32 exec_lo, exec_lo, s15
.LBB216_1042:                           ;   in Loop: Header=BB216_15 Depth=1
	s_delay_alu instid0(SALU_CYCLE_1)
	s_or_b32 exec_lo, exec_lo, s14
	flat_load_b32 v0, v[84:85] offset:4096
	v_mov_b64_e32 v[2:3], 0
	s_mov_b32 s14, exec_lo
	scratch_store_b64 off, v[2:3], s32 offset:1276 ; 8-byte Folded Spill
	s_wait_xcnt 0x0
	v_mov_b64_e32 v[2:3], 0
	scratch_store_b64 off, v[2:3], s32 offset:1284 ; 8-byte Folded Spill
	s_wait_loadcnt_dscnt 0x0
	v_and_b32_e32 v1, 0xff, v0
	s_wait_xcnt 0x0
	s_delay_alu instid0(VALU_DEP_1)
	v_cmpx_ne_u16_e32 0, v1
	s_cbranch_execz .LBB216_1050
; %bb.1043:                             ;   in Loop: Header=BB216_15 Depth=1
	v_mov_b64_e32 v[2:3], 0x80000000
	s_mov_b32 s15, exec_lo
	scratch_store_b64 off, v[2:3], s32 offset:1284 ; 8-byte Folded Spill
	s_wait_xcnt 0x0
	v_cmpx_ne_u16_e32 0x80, v1
	s_cbranch_execz .LBB216_1049
; %bb.1044:                             ;   in Loop: Header=BB216_15 Depth=1
	v_mov_b64_e32 v[4:5], 0x7f800001
	v_and_b32_e32 v2, 0x7f, v0
	s_mov_b32 s16, exec_lo
	scratch_store_b64 off, v[4:5], s32 offset:1284 ; 8-byte Folded Spill
	s_wait_xcnt 0x0
	v_cmpx_ne_u32_e32 0x7f, v2
	s_cbranch_execz .LBB216_1048
; %bb.1045:                             ;   in Loop: Header=BB216_15 Depth=1
	scratch_load_b64 v[4:5], off, s32 offset:192 th:TH_LOAD_LU ; 8-byte Folded Reload
	s_wait_loadcnt 0x0
	v_dual_lshrrev_b32 v1, 3, v2 :: v_dual_bitop2_b32 v4, 7, v0 bitop3:0x40
	s_mov_b32 s17, exec_lo
	s_wait_xcnt 0x0
	v_cmpx_gt_u32_e32 8, v2
; %bb.1046:                             ;   in Loop: Header=BB216_15 Depth=1
	s_delay_alu instid0(VALU_DEP_2) | instskip(NEXT) | instid1(VALU_DEP_1)
	v_clz_i32_u32_e32 v1, v4
	v_min_u32_e32 v1, 32, v1
	s_delay_alu instid0(VALU_DEP_1) | instskip(NEXT) | instid1(VALU_DEP_1)
	v_subrev_nc_u32_e32 v2, 28, v1
	v_lshlrev_b64_e32 v[2:3], v2, v[4:5]
	s_delay_alu instid0(VALU_DEP_1)
	v_dual_sub_nc_u32 v1, 29, v1 :: v_dual_bitop2_b32 v4, 7, v2 bitop3:0x40
; %bb.1047:                             ;   in Loop: Header=BB216_15 Depth=1
	s_or_b32 exec_lo, exec_lo, s17
	v_lshlrev_b32_e32 v2, 24, v0
	s_delay_alu instid0(VALU_DEP_2) | instskip(NEXT) | instid1(VALU_DEP_3)
	v_lshlrev_b32_e32 v3, 20, v4
	v_lshl_add_u32 v1, v1, 23, 0x3c000000
	s_delay_alu instid0(VALU_DEP_3) | instskip(NEXT) | instid1(VALU_DEP_1)
	v_and_b32_e32 v2, 0x80000000, v2
	v_or3_b32 v4, v3, v2, v1
	v_mov_b32_e32 v1, v5
	s_clause 0x1
	scratch_store_b64 off, v[0:1], s32 offset:192
	scratch_store_b64 off, v[4:5], s32 offset:1284
.LBB216_1048:                           ;   in Loop: Header=BB216_15 Depth=1
	s_wait_xcnt 0x0
	s_or_b32 exec_lo, exec_lo, s16
.LBB216_1049:                           ;   in Loop: Header=BB216_15 Depth=1
	s_delay_alu instid0(SALU_CYCLE_1)
	s_or_b32 exec_lo, exec_lo, s15
.LBB216_1050:                           ;   in Loop: Header=BB216_15 Depth=1
	s_delay_alu instid0(SALU_CYCLE_1) | instskip(SKIP_2) | instid1(VALU_DEP_1)
	s_or_b32 exec_lo, exec_lo, s14
	v_lshrrev_b16 v1, 8, v0
	s_mov_b32 s14, exec_lo
	v_cmpx_ne_u16_e32 0, v1
	s_cbranch_execz .LBB216_1058
; %bb.1051:                             ;   in Loop: Header=BB216_15 Depth=1
	v_mov_b64_e32 v[2:3], 0x8000000000000000
	s_mov_b32 s15, exec_lo
	scratch_store_b64 off, v[2:3], s32 offset:1276 ; 8-byte Folded Spill
	s_wait_xcnt 0x0
	v_cmpx_ne_u16_e32 0x80, v1
	s_cbranch_execz .LBB216_1057
; %bb.1052:                             ;   in Loop: Header=BB216_15 Depth=1
	v_and_b32_e32 v1, 0xffff, v1
	v_mov_b64_e32 v[4:5], 0x7f80000100000000
	s_mov_b32 s16, exec_lo
	s_delay_alu instid0(VALU_DEP_2)
	v_and_b32_e32 v2, 0x7f, v1
	scratch_store_b64 off, v[4:5], s32 offset:1276 ; 8-byte Folded Spill
	s_wait_xcnt 0x0
	v_cmpx_ne_u32_e32 0x7f, v2
	s_cbranch_execz .LBB216_1056
; %bb.1053:                             ;   in Loop: Header=BB216_15 Depth=1
	scratch_load_b64 v[4:5], off, s32 offset:192 th:TH_LOAD_LU ; 8-byte Folded Reload
	s_wait_loadcnt 0x0
	v_dual_lshrrev_b32 v1, 3, v2 :: v_dual_bitop2_b32 v4, 7, v1 bitop3:0x40
	s_mov_b32 s17, exec_lo
	s_wait_xcnt 0x0
	v_cmpx_gt_u32_e32 8, v2
; %bb.1054:                             ;   in Loop: Header=BB216_15 Depth=1
	s_delay_alu instid0(VALU_DEP_2) | instskip(NEXT) | instid1(VALU_DEP_1)
	v_clz_i32_u32_e32 v1, v4
	v_min_u32_e32 v1, 32, v1
	s_delay_alu instid0(VALU_DEP_1) | instskip(NEXT) | instid1(VALU_DEP_1)
	v_subrev_nc_u32_e32 v2, 28, v1
	v_lshlrev_b64_e32 v[2:3], v2, v[4:5]
	s_delay_alu instid0(VALU_DEP_1)
	v_dual_sub_nc_u32 v1, 29, v1 :: v_dual_bitop2_b32 v4, 7, v2 bitop3:0x40
; %bb.1055:                             ;   in Loop: Header=BB216_15 Depth=1
	s_or_b32 exec_lo, exec_lo, s17
	v_lshlrev_b32_e32 v2, 16, v0
	s_delay_alu instid0(VALU_DEP_2) | instskip(NEXT) | instid1(VALU_DEP_3)
	v_lshlrev_b32_e32 v3, 20, v4
	v_lshl_add_u32 v1, v1, 23, 0x3c000000
	s_delay_alu instid0(VALU_DEP_3) | instskip(NEXT) | instid1(VALU_DEP_1)
	v_and_b32_e32 v2, 0x80000000, v2
	v_or3_b32 v3, v3, v2, v1
	v_dual_mov_b32 v1, v5 :: v_dual_mov_b32 v2, v5
	s_clause 0x1
	scratch_store_b64 off, v[0:1], s32 offset:192
	scratch_store_b64 off, v[2:3], s32 offset:1276
.LBB216_1056:                           ;   in Loop: Header=BB216_15 Depth=1
	s_wait_xcnt 0x0
	s_or_b32 exec_lo, exec_lo, s16
.LBB216_1057:                           ;   in Loop: Header=BB216_15 Depth=1
	s_delay_alu instid0(SALU_CYCLE_1)
	s_or_b32 exec_lo, exec_lo, s15
.LBB216_1058:                           ;   in Loop: Header=BB216_15 Depth=1
	s_delay_alu instid0(SALU_CYCLE_1) | instskip(SKIP_3) | instid1(VALU_DEP_1)
	s_or_b32 exec_lo, exec_lo, s14
	v_mov_b64_e32 v[4:5], 0
	v_lshrrev_b32_e32 v1, 16, v0
	s_mov_b32 s14, exec_lo
	v_and_b32_e32 v2, 0xff, v1
	scratch_store_b64 off, v[4:5], s32 offset:1292 ; 8-byte Folded Spill
	s_wait_xcnt 0x0
	v_mov_b64_e32 v[4:5], 0
	scratch_store_b64 off, v[4:5], s32 offset:1300 ; 8-byte Folded Spill
	s_wait_xcnt 0x0
	v_cmpx_ne_u16_e32 0, v2
	s_cbranch_execz .LBB216_1066
; %bb.1059:                             ;   in Loop: Header=BB216_15 Depth=1
	v_cmp_ne_u16_e64 s1, 0x80, v2
	v_mov_b64_e32 v[2:3], 0x80000000
	scratch_store_b64 off, v[2:3], s32 offset:1300 ; 8-byte Folded Spill
	s_wait_xcnt 0x0
	s_and_saveexec_b32 s15, s1
	s_cbranch_execz .LBB216_1065
; %bb.1060:                             ;   in Loop: Header=BB216_15 Depth=1
	v_mov_b64_e32 v[4:5], 0x7f800001
	v_bfe_u32 v3, v0, 16, 7
	s_mov_b32 s16, exec_lo
	scratch_store_b64 off, v[4:5], s32 offset:1300 ; 8-byte Folded Spill
	s_wait_xcnt 0x0
	v_cmpx_ne_u32_e32 0x7f, v3
	s_cbranch_execz .LBB216_1064
; %bb.1061:                             ;   in Loop: Header=BB216_15 Depth=1
	scratch_load_b64 v[6:7], off, s32 offset:192 th:TH_LOAD_LU ; 8-byte Folded Reload
	s_wait_loadcnt 0x0
	v_dual_lshrrev_b32 v2, 3, v3 :: v_dual_bitop2_b32 v6, 7, v1 bitop3:0x40
	s_mov_b32 s17, exec_lo
	s_wait_xcnt 0x0
	v_cmpx_gt_u32_e32 8, v3
; %bb.1062:                             ;   in Loop: Header=BB216_15 Depth=1
	s_delay_alu instid0(VALU_DEP_2) | instskip(NEXT) | instid1(VALU_DEP_1)
	v_clz_i32_u32_e32 v2, v6
	v_min_u32_e32 v2, 32, v2
	s_delay_alu instid0(VALU_DEP_1) | instskip(NEXT) | instid1(VALU_DEP_1)
	v_subrev_nc_u32_e32 v3, 28, v2
	v_lshlrev_b64_e32 v[4:5], v3, v[6:7]
	s_delay_alu instid0(VALU_DEP_1)
	v_dual_sub_nc_u32 v2, 29, v2 :: v_dual_bitop2_b32 v6, 7, v4 bitop3:0x40
; %bb.1063:                             ;   in Loop: Header=BB216_15 Depth=1
	s_or_b32 exec_lo, exec_lo, s17
	s_delay_alu instid0(VALU_DEP_1) | instskip(NEXT) | instid1(VALU_DEP_2)
	v_dual_lshlrev_b32 v1, 24, v1 :: v_dual_lshlrev_b32 v3, 20, v6
	v_lshl_add_u32 v2, v2, 23, 0x3c000000
	s_delay_alu instid0(VALU_DEP_2) | instskip(NEXT) | instid1(VALU_DEP_1)
	v_and_b32_e32 v1, 0x80000000, v1
	v_or3_b32 v6, v3, v1, v2
	v_mov_b32_e32 v1, v7
	s_clause 0x1
	scratch_store_b64 off, v[0:1], s32 offset:192
	scratch_store_b64 off, v[6:7], s32 offset:1300
.LBB216_1064:                           ;   in Loop: Header=BB216_15 Depth=1
	s_wait_xcnt 0x0
	s_or_b32 exec_lo, exec_lo, s16
.LBB216_1065:                           ;   in Loop: Header=BB216_15 Depth=1
	s_delay_alu instid0(SALU_CYCLE_1)
	s_or_b32 exec_lo, exec_lo, s15
.LBB216_1066:                           ;   in Loop: Header=BB216_15 Depth=1
	s_delay_alu instid0(SALU_CYCLE_1) | instskip(NEXT) | instid1(SALU_CYCLE_1)
	s_or_b32 exec_lo, exec_lo, s14
	s_mov_b32 s14, exec_lo
	v_cmpx_lt_u32_e32 0xffffff, v0
	s_cbranch_execz .LBB216_1074
; %bb.1067:                             ;   in Loop: Header=BB216_15 Depth=1
	v_mov_b64_e32 v[2:3], 0x8000000000000000
	v_lshrrev_b32_e32 v1, 24, v0
	s_mov_b32 s15, exec_lo
	scratch_store_b64 off, v[2:3], s32 offset:1292 ; 8-byte Folded Spill
	s_wait_xcnt 0x0
	v_cmpx_ne_u32_e32 0x80, v1
	s_cbranch_execz .LBB216_1073
; %bb.1068:                             ;   in Loop: Header=BB216_15 Depth=1
	v_mov_b64_e32 v[4:5], 0x7f80000100000000
	v_bfe_u32 v2, v0, 24, 7
	s_mov_b32 s16, exec_lo
	scratch_store_b64 off, v[4:5], s32 offset:1292 ; 8-byte Folded Spill
	s_wait_xcnt 0x0
	v_cmpx_ne_u32_e32 0x7f, v2
	s_cbranch_execz .LBB216_1072
; %bb.1069:                             ;   in Loop: Header=BB216_15 Depth=1
	scratch_load_b64 v[4:5], off, s32 offset:192 th:TH_LOAD_LU ; 8-byte Folded Reload
	s_wait_loadcnt 0x0
	v_dual_lshrrev_b32 v0, 3, v2 :: v_dual_bitop2_b32 v4, 7, v1 bitop3:0x40
	s_mov_b32 s17, exec_lo
	s_wait_xcnt 0x0
	v_cmpx_gt_u32_e32 8, v2
; %bb.1070:                             ;   in Loop: Header=BB216_15 Depth=1
	s_delay_alu instid0(VALU_DEP_2) | instskip(NEXT) | instid1(VALU_DEP_1)
	v_clz_i32_u32_e32 v0, v4
	v_min_u32_e32 v0, 32, v0
	s_delay_alu instid0(VALU_DEP_1) | instskip(NEXT) | instid1(VALU_DEP_1)
	v_subrev_nc_u32_e32 v2, 28, v0
	v_lshlrev_b64_e32 v[2:3], v2, v[4:5]
	s_delay_alu instid0(VALU_DEP_1)
	v_dual_sub_nc_u32 v0, 29, v0 :: v_dual_bitop2_b32 v4, 7, v2 bitop3:0x40
; %bb.1071:                             ;   in Loop: Header=BB216_15 Depth=1
	s_or_b32 exec_lo, exec_lo, s17
	s_delay_alu instid0(VALU_DEP_1) | instskip(NEXT) | instid1(VALU_DEP_2)
	v_dual_lshlrev_b32 v1, 24, v1 :: v_dual_lshlrev_b32 v2, 20, v4
	v_lshl_add_u32 v0, v0, 23, 0x3c000000
	s_delay_alu instid0(VALU_DEP_2) | instskip(NEXT) | instid1(VALU_DEP_1)
	v_and_b32_e32 v1, 0x80000000, v1
	v_or3_b32 v3, v2, v1, v0
	v_dual_mov_b32 v1, v5 :: v_dual_mov_b32 v2, v5
	s_clause 0x1
	scratch_store_b64 off, v[0:1], s32 offset:192
	scratch_store_b64 off, v[2:3], s32 offset:1292
.LBB216_1072:                           ;   in Loop: Header=BB216_15 Depth=1
	s_wait_xcnt 0x0
	s_or_b32 exec_lo, exec_lo, s16
.LBB216_1073:                           ;   in Loop: Header=BB216_15 Depth=1
	s_delay_alu instid0(SALU_CYCLE_1)
	s_or_b32 exec_lo, exec_lo, s15
.LBB216_1074:                           ;   in Loop: Header=BB216_15 Depth=1
	s_delay_alu instid0(SALU_CYCLE_1)
	s_or_b32 exec_lo, exec_lo, s14
	flat_load_b32 v0, v[84:85] offset:4100
	v_mov_b64_e32 v[2:3], 0
	s_mov_b32 s14, exec_lo
	scratch_store_b64 off, v[2:3], s32 offset:1308 ; 8-byte Folded Spill
	s_wait_xcnt 0x0
	v_mov_b64_e32 v[2:3], 0
	scratch_store_b64 off, v[2:3], s32 offset:1316 ; 8-byte Folded Spill
	s_wait_loadcnt_dscnt 0x0
	v_and_b32_e32 v1, 0xff, v0
	s_wait_xcnt 0x0
	s_delay_alu instid0(VALU_DEP_1)
	v_cmpx_ne_u16_e32 0, v1
	s_cbranch_execz .LBB216_1082
; %bb.1075:                             ;   in Loop: Header=BB216_15 Depth=1
	v_mov_b64_e32 v[2:3], 0x80000000
	s_mov_b32 s15, exec_lo
	scratch_store_b64 off, v[2:3], s32 offset:1316 ; 8-byte Folded Spill
	s_wait_xcnt 0x0
	v_cmpx_ne_u16_e32 0x80, v1
	s_cbranch_execz .LBB216_1081
; %bb.1076:                             ;   in Loop: Header=BB216_15 Depth=1
	v_mov_b64_e32 v[4:5], 0x7f800001
	v_and_b32_e32 v2, 0x7f, v0
	s_mov_b32 s16, exec_lo
	scratch_store_b64 off, v[4:5], s32 offset:1316 ; 8-byte Folded Spill
	s_wait_xcnt 0x0
	v_cmpx_ne_u32_e32 0x7f, v2
	s_cbranch_execz .LBB216_1080
; %bb.1077:                             ;   in Loop: Header=BB216_15 Depth=1
	scratch_load_b64 v[4:5], off, s32 offset:192 th:TH_LOAD_LU ; 8-byte Folded Reload
	s_wait_loadcnt 0x0
	v_dual_lshrrev_b32 v1, 3, v2 :: v_dual_bitop2_b32 v4, 7, v0 bitop3:0x40
	s_mov_b32 s17, exec_lo
	s_wait_xcnt 0x0
	v_cmpx_gt_u32_e32 8, v2
; %bb.1078:                             ;   in Loop: Header=BB216_15 Depth=1
	s_delay_alu instid0(VALU_DEP_2) | instskip(NEXT) | instid1(VALU_DEP_1)
	v_clz_i32_u32_e32 v1, v4
	v_min_u32_e32 v1, 32, v1
	s_delay_alu instid0(VALU_DEP_1) | instskip(NEXT) | instid1(VALU_DEP_1)
	v_subrev_nc_u32_e32 v2, 28, v1
	v_lshlrev_b64_e32 v[2:3], v2, v[4:5]
	s_delay_alu instid0(VALU_DEP_1)
	v_dual_sub_nc_u32 v1, 29, v1 :: v_dual_bitop2_b32 v4, 7, v2 bitop3:0x40
; %bb.1079:                             ;   in Loop: Header=BB216_15 Depth=1
	s_or_b32 exec_lo, exec_lo, s17
	v_lshlrev_b32_e32 v2, 24, v0
	s_delay_alu instid0(VALU_DEP_2) | instskip(NEXT) | instid1(VALU_DEP_3)
	v_lshlrev_b32_e32 v3, 20, v4
	v_lshl_add_u32 v1, v1, 23, 0x3c000000
	s_delay_alu instid0(VALU_DEP_3) | instskip(NEXT) | instid1(VALU_DEP_1)
	v_and_b32_e32 v2, 0x80000000, v2
	v_or3_b32 v4, v3, v2, v1
	v_mov_b32_e32 v1, v5
	s_clause 0x1
	scratch_store_b64 off, v[0:1], s32 offset:192
	scratch_store_b64 off, v[4:5], s32 offset:1316
.LBB216_1080:                           ;   in Loop: Header=BB216_15 Depth=1
	s_wait_xcnt 0x0
	s_or_b32 exec_lo, exec_lo, s16
.LBB216_1081:                           ;   in Loop: Header=BB216_15 Depth=1
	s_delay_alu instid0(SALU_CYCLE_1)
	s_or_b32 exec_lo, exec_lo, s15
.LBB216_1082:                           ;   in Loop: Header=BB216_15 Depth=1
	s_delay_alu instid0(SALU_CYCLE_1) | instskip(SKIP_2) | instid1(VALU_DEP_1)
	s_or_b32 exec_lo, exec_lo, s14
	v_lshrrev_b16 v1, 8, v0
	s_mov_b32 s14, exec_lo
	v_cmpx_ne_u16_e32 0, v1
	s_cbranch_execz .LBB216_1090
; %bb.1083:                             ;   in Loop: Header=BB216_15 Depth=1
	v_mov_b64_e32 v[2:3], 0x8000000000000000
	s_mov_b32 s15, exec_lo
	scratch_store_b64 off, v[2:3], s32 offset:1308 ; 8-byte Folded Spill
	s_wait_xcnt 0x0
	v_cmpx_ne_u16_e32 0x80, v1
	s_cbranch_execz .LBB216_1089
; %bb.1084:                             ;   in Loop: Header=BB216_15 Depth=1
	v_and_b32_e32 v1, 0xffff, v1
	v_mov_b64_e32 v[4:5], 0x7f80000100000000
	s_mov_b32 s16, exec_lo
	s_delay_alu instid0(VALU_DEP_2)
	v_and_b32_e32 v2, 0x7f, v1
	scratch_store_b64 off, v[4:5], s32 offset:1308 ; 8-byte Folded Spill
	s_wait_xcnt 0x0
	v_cmpx_ne_u32_e32 0x7f, v2
	s_cbranch_execz .LBB216_1088
; %bb.1085:                             ;   in Loop: Header=BB216_15 Depth=1
	scratch_load_b64 v[4:5], off, s32 offset:192 th:TH_LOAD_LU ; 8-byte Folded Reload
	s_wait_loadcnt 0x0
	v_dual_lshrrev_b32 v1, 3, v2 :: v_dual_bitop2_b32 v4, 7, v1 bitop3:0x40
	s_mov_b32 s17, exec_lo
	s_wait_xcnt 0x0
	v_cmpx_gt_u32_e32 8, v2
; %bb.1086:                             ;   in Loop: Header=BB216_15 Depth=1
	s_delay_alu instid0(VALU_DEP_2) | instskip(NEXT) | instid1(VALU_DEP_1)
	v_clz_i32_u32_e32 v1, v4
	v_min_u32_e32 v1, 32, v1
	s_delay_alu instid0(VALU_DEP_1) | instskip(NEXT) | instid1(VALU_DEP_1)
	v_subrev_nc_u32_e32 v2, 28, v1
	v_lshlrev_b64_e32 v[2:3], v2, v[4:5]
	s_delay_alu instid0(VALU_DEP_1)
	v_dual_sub_nc_u32 v1, 29, v1 :: v_dual_bitop2_b32 v4, 7, v2 bitop3:0x40
; %bb.1087:                             ;   in Loop: Header=BB216_15 Depth=1
	s_or_b32 exec_lo, exec_lo, s17
	v_lshlrev_b32_e32 v2, 16, v0
	s_delay_alu instid0(VALU_DEP_2) | instskip(NEXT) | instid1(VALU_DEP_3)
	v_lshlrev_b32_e32 v3, 20, v4
	v_lshl_add_u32 v1, v1, 23, 0x3c000000
	s_delay_alu instid0(VALU_DEP_3) | instskip(NEXT) | instid1(VALU_DEP_1)
	v_and_b32_e32 v2, 0x80000000, v2
	v_or3_b32 v3, v3, v2, v1
	v_dual_mov_b32 v1, v5 :: v_dual_mov_b32 v2, v5
	s_clause 0x1
	scratch_store_b64 off, v[0:1], s32 offset:192
	scratch_store_b64 off, v[2:3], s32 offset:1308
.LBB216_1088:                           ;   in Loop: Header=BB216_15 Depth=1
	s_wait_xcnt 0x0
	s_or_b32 exec_lo, exec_lo, s16
.LBB216_1089:                           ;   in Loop: Header=BB216_15 Depth=1
	s_delay_alu instid0(SALU_CYCLE_1)
	s_or_b32 exec_lo, exec_lo, s15
.LBB216_1090:                           ;   in Loop: Header=BB216_15 Depth=1
	s_delay_alu instid0(SALU_CYCLE_1) | instskip(SKIP_3) | instid1(VALU_DEP_1)
	s_or_b32 exec_lo, exec_lo, s14
	v_mov_b64_e32 v[4:5], 0
	v_lshrrev_b32_e32 v1, 16, v0
	s_mov_b32 s14, exec_lo
	v_and_b32_e32 v2, 0xff, v1
	scratch_store_b64 off, v[4:5], s32 offset:1324 ; 8-byte Folded Spill
	s_wait_xcnt 0x0
	v_mov_b64_e32 v[4:5], 0
	scratch_store_b64 off, v[4:5], s32 offset:1332 ; 8-byte Folded Spill
	s_wait_xcnt 0x0
	v_cmpx_ne_u16_e32 0, v2
	s_cbranch_execz .LBB216_1098
; %bb.1091:                             ;   in Loop: Header=BB216_15 Depth=1
	v_cmp_ne_u16_e64 s1, 0x80, v2
	v_mov_b64_e32 v[2:3], 0x80000000
	scratch_store_b64 off, v[2:3], s32 offset:1332 ; 8-byte Folded Spill
	s_wait_xcnt 0x0
	s_and_saveexec_b32 s15, s1
	s_cbranch_execz .LBB216_1097
; %bb.1092:                             ;   in Loop: Header=BB216_15 Depth=1
	v_mov_b64_e32 v[4:5], 0x7f800001
	v_bfe_u32 v3, v0, 16, 7
	s_mov_b32 s16, exec_lo
	scratch_store_b64 off, v[4:5], s32 offset:1332 ; 8-byte Folded Spill
	s_wait_xcnt 0x0
	v_cmpx_ne_u32_e32 0x7f, v3
	s_cbranch_execz .LBB216_1096
; %bb.1093:                             ;   in Loop: Header=BB216_15 Depth=1
	scratch_load_b64 v[6:7], off, s32 offset:192 th:TH_LOAD_LU ; 8-byte Folded Reload
	s_wait_loadcnt 0x0
	v_dual_lshrrev_b32 v2, 3, v3 :: v_dual_bitop2_b32 v6, 7, v1 bitop3:0x40
	s_mov_b32 s17, exec_lo
	s_wait_xcnt 0x0
	v_cmpx_gt_u32_e32 8, v3
; %bb.1094:                             ;   in Loop: Header=BB216_15 Depth=1
	s_delay_alu instid0(VALU_DEP_2) | instskip(NEXT) | instid1(VALU_DEP_1)
	v_clz_i32_u32_e32 v2, v6
	v_min_u32_e32 v2, 32, v2
	s_delay_alu instid0(VALU_DEP_1) | instskip(NEXT) | instid1(VALU_DEP_1)
	v_subrev_nc_u32_e32 v3, 28, v2
	v_lshlrev_b64_e32 v[4:5], v3, v[6:7]
	s_delay_alu instid0(VALU_DEP_1)
	v_dual_sub_nc_u32 v2, 29, v2 :: v_dual_bitop2_b32 v6, 7, v4 bitop3:0x40
; %bb.1095:                             ;   in Loop: Header=BB216_15 Depth=1
	s_or_b32 exec_lo, exec_lo, s17
	s_delay_alu instid0(VALU_DEP_1) | instskip(NEXT) | instid1(VALU_DEP_2)
	v_dual_lshlrev_b32 v1, 24, v1 :: v_dual_lshlrev_b32 v3, 20, v6
	v_lshl_add_u32 v2, v2, 23, 0x3c000000
	s_delay_alu instid0(VALU_DEP_2) | instskip(NEXT) | instid1(VALU_DEP_1)
	v_and_b32_e32 v1, 0x80000000, v1
	v_or3_b32 v6, v3, v1, v2
	v_mov_b32_e32 v1, v7
	s_clause 0x1
	scratch_store_b64 off, v[0:1], s32 offset:192
	scratch_store_b64 off, v[6:7], s32 offset:1332
.LBB216_1096:                           ;   in Loop: Header=BB216_15 Depth=1
	s_wait_xcnt 0x0
	s_or_b32 exec_lo, exec_lo, s16
.LBB216_1097:                           ;   in Loop: Header=BB216_15 Depth=1
	s_delay_alu instid0(SALU_CYCLE_1)
	s_or_b32 exec_lo, exec_lo, s15
.LBB216_1098:                           ;   in Loop: Header=BB216_15 Depth=1
	s_delay_alu instid0(SALU_CYCLE_1) | instskip(NEXT) | instid1(SALU_CYCLE_1)
	s_or_b32 exec_lo, exec_lo, s14
	s_mov_b32 s14, exec_lo
	v_cmpx_lt_u32_e32 0xffffff, v0
	s_cbranch_execz .LBB216_1106
; %bb.1099:                             ;   in Loop: Header=BB216_15 Depth=1
	v_mov_b64_e32 v[2:3], 0x8000000000000000
	v_lshrrev_b32_e32 v1, 24, v0
	s_mov_b32 s15, exec_lo
	scratch_store_b64 off, v[2:3], s32 offset:1324 ; 8-byte Folded Spill
	s_wait_xcnt 0x0
	v_cmpx_ne_u32_e32 0x80, v1
	s_cbranch_execz .LBB216_1105
; %bb.1100:                             ;   in Loop: Header=BB216_15 Depth=1
	v_mov_b64_e32 v[4:5], 0x7f80000100000000
	v_bfe_u32 v2, v0, 24, 7
	s_mov_b32 s16, exec_lo
	scratch_store_b64 off, v[4:5], s32 offset:1324 ; 8-byte Folded Spill
	s_wait_xcnt 0x0
	v_cmpx_ne_u32_e32 0x7f, v2
	s_cbranch_execz .LBB216_1104
; %bb.1101:                             ;   in Loop: Header=BB216_15 Depth=1
	scratch_load_b64 v[4:5], off, s32 offset:192 th:TH_LOAD_LU ; 8-byte Folded Reload
	s_wait_loadcnt 0x0
	v_dual_lshrrev_b32 v0, 3, v2 :: v_dual_bitop2_b32 v4, 7, v1 bitop3:0x40
	s_mov_b32 s17, exec_lo
	s_wait_xcnt 0x0
	v_cmpx_gt_u32_e32 8, v2
; %bb.1102:                             ;   in Loop: Header=BB216_15 Depth=1
	s_delay_alu instid0(VALU_DEP_2) | instskip(NEXT) | instid1(VALU_DEP_1)
	v_clz_i32_u32_e32 v0, v4
	v_min_u32_e32 v0, 32, v0
	s_delay_alu instid0(VALU_DEP_1) | instskip(NEXT) | instid1(VALU_DEP_1)
	v_subrev_nc_u32_e32 v2, 28, v0
	v_lshlrev_b64_e32 v[2:3], v2, v[4:5]
	s_delay_alu instid0(VALU_DEP_1)
	v_dual_sub_nc_u32 v0, 29, v0 :: v_dual_bitop2_b32 v4, 7, v2 bitop3:0x40
; %bb.1103:                             ;   in Loop: Header=BB216_15 Depth=1
	s_or_b32 exec_lo, exec_lo, s17
	s_delay_alu instid0(VALU_DEP_1) | instskip(NEXT) | instid1(VALU_DEP_2)
	v_dual_lshlrev_b32 v1, 24, v1 :: v_dual_lshlrev_b32 v2, 20, v4
	v_lshl_add_u32 v0, v0, 23, 0x3c000000
	s_delay_alu instid0(VALU_DEP_2) | instskip(NEXT) | instid1(VALU_DEP_1)
	v_and_b32_e32 v1, 0x80000000, v1
	v_or3_b32 v3, v2, v1, v0
	v_dual_mov_b32 v1, v5 :: v_dual_mov_b32 v2, v5
	s_clause 0x1
	scratch_store_b64 off, v[0:1], s32 offset:192
	scratch_store_b64 off, v[2:3], s32 offset:1324
.LBB216_1104:                           ;   in Loop: Header=BB216_15 Depth=1
	s_wait_xcnt 0x0
	s_or_b32 exec_lo, exec_lo, s16
.LBB216_1105:                           ;   in Loop: Header=BB216_15 Depth=1
	s_delay_alu instid0(SALU_CYCLE_1)
	s_or_b32 exec_lo, exec_lo, s15
.LBB216_1106:                           ;   in Loop: Header=BB216_15 Depth=1
	s_delay_alu instid0(SALU_CYCLE_1)
	s_or_b32 exec_lo, exec_lo, s14
	flat_load_b32 v0, v[84:85] offset:4104
	v_mov_b64_e32 v[2:3], 0
	s_mov_b32 s14, exec_lo
	scratch_store_b64 off, v[2:3], s32 offset:1340 ; 8-byte Folded Spill
	s_wait_xcnt 0x0
	v_mov_b64_e32 v[2:3], 0
	scratch_store_b64 off, v[2:3], s32 offset:1348 ; 8-byte Folded Spill
	s_wait_loadcnt_dscnt 0x0
	v_and_b32_e32 v1, 0xff, v0
	s_wait_xcnt 0x0
	s_delay_alu instid0(VALU_DEP_1)
	v_cmpx_ne_u16_e32 0, v1
	s_cbranch_execz .LBB216_1114
; %bb.1107:                             ;   in Loop: Header=BB216_15 Depth=1
	v_mov_b64_e32 v[2:3], 0x80000000
	s_mov_b32 s15, exec_lo
	scratch_store_b64 off, v[2:3], s32 offset:1348 ; 8-byte Folded Spill
	s_wait_xcnt 0x0
	v_cmpx_ne_u16_e32 0x80, v1
	s_cbranch_execz .LBB216_1113
; %bb.1108:                             ;   in Loop: Header=BB216_15 Depth=1
	v_mov_b64_e32 v[4:5], 0x7f800001
	v_and_b32_e32 v2, 0x7f, v0
	s_mov_b32 s16, exec_lo
	scratch_store_b64 off, v[4:5], s32 offset:1348 ; 8-byte Folded Spill
	s_wait_xcnt 0x0
	v_cmpx_ne_u32_e32 0x7f, v2
	s_cbranch_execz .LBB216_1112
; %bb.1109:                             ;   in Loop: Header=BB216_15 Depth=1
	scratch_load_b64 v[4:5], off, s32 offset:192 th:TH_LOAD_LU ; 8-byte Folded Reload
	s_wait_loadcnt 0x0
	v_dual_lshrrev_b32 v1, 3, v2 :: v_dual_bitop2_b32 v4, 7, v0 bitop3:0x40
	s_mov_b32 s17, exec_lo
	s_wait_xcnt 0x0
	v_cmpx_gt_u32_e32 8, v2
; %bb.1110:                             ;   in Loop: Header=BB216_15 Depth=1
	s_delay_alu instid0(VALU_DEP_2) | instskip(NEXT) | instid1(VALU_DEP_1)
	v_clz_i32_u32_e32 v1, v4
	v_min_u32_e32 v1, 32, v1
	s_delay_alu instid0(VALU_DEP_1) | instskip(NEXT) | instid1(VALU_DEP_1)
	v_subrev_nc_u32_e32 v2, 28, v1
	v_lshlrev_b64_e32 v[2:3], v2, v[4:5]
	s_delay_alu instid0(VALU_DEP_1)
	v_dual_sub_nc_u32 v1, 29, v1 :: v_dual_bitop2_b32 v4, 7, v2 bitop3:0x40
; %bb.1111:                             ;   in Loop: Header=BB216_15 Depth=1
	s_or_b32 exec_lo, exec_lo, s17
	v_lshlrev_b32_e32 v2, 24, v0
	s_delay_alu instid0(VALU_DEP_2) | instskip(NEXT) | instid1(VALU_DEP_3)
	v_lshlrev_b32_e32 v3, 20, v4
	v_lshl_add_u32 v1, v1, 23, 0x3c000000
	s_delay_alu instid0(VALU_DEP_3) | instskip(NEXT) | instid1(VALU_DEP_1)
	v_and_b32_e32 v2, 0x80000000, v2
	v_or3_b32 v4, v3, v2, v1
	v_mov_b32_e32 v1, v5
	s_clause 0x1
	scratch_store_b64 off, v[0:1], s32 offset:192
	scratch_store_b64 off, v[4:5], s32 offset:1348
.LBB216_1112:                           ;   in Loop: Header=BB216_15 Depth=1
	s_wait_xcnt 0x0
	s_or_b32 exec_lo, exec_lo, s16
.LBB216_1113:                           ;   in Loop: Header=BB216_15 Depth=1
	s_delay_alu instid0(SALU_CYCLE_1)
	s_or_b32 exec_lo, exec_lo, s15
.LBB216_1114:                           ;   in Loop: Header=BB216_15 Depth=1
	s_delay_alu instid0(SALU_CYCLE_1) | instskip(SKIP_2) | instid1(VALU_DEP_1)
	s_or_b32 exec_lo, exec_lo, s14
	v_lshrrev_b16 v1, 8, v0
	s_mov_b32 s14, exec_lo
	v_cmpx_ne_u16_e32 0, v1
	s_cbranch_execz .LBB216_1122
; %bb.1115:                             ;   in Loop: Header=BB216_15 Depth=1
	v_mov_b64_e32 v[2:3], 0x8000000000000000
	s_mov_b32 s15, exec_lo
	scratch_store_b64 off, v[2:3], s32 offset:1340 ; 8-byte Folded Spill
	s_wait_xcnt 0x0
	v_cmpx_ne_u16_e32 0x80, v1
	s_cbranch_execz .LBB216_1121
; %bb.1116:                             ;   in Loop: Header=BB216_15 Depth=1
	v_and_b32_e32 v1, 0xffff, v1
	v_mov_b64_e32 v[4:5], 0x7f80000100000000
	s_mov_b32 s16, exec_lo
	s_delay_alu instid0(VALU_DEP_2)
	v_and_b32_e32 v2, 0x7f, v1
	scratch_store_b64 off, v[4:5], s32 offset:1340 ; 8-byte Folded Spill
	s_wait_xcnt 0x0
	v_cmpx_ne_u32_e32 0x7f, v2
	s_cbranch_execz .LBB216_1120
; %bb.1117:                             ;   in Loop: Header=BB216_15 Depth=1
	scratch_load_b64 v[4:5], off, s32 offset:192 th:TH_LOAD_LU ; 8-byte Folded Reload
	s_wait_loadcnt 0x0
	v_dual_lshrrev_b32 v1, 3, v2 :: v_dual_bitop2_b32 v4, 7, v1 bitop3:0x40
	s_mov_b32 s17, exec_lo
	s_wait_xcnt 0x0
	v_cmpx_gt_u32_e32 8, v2
; %bb.1118:                             ;   in Loop: Header=BB216_15 Depth=1
	s_delay_alu instid0(VALU_DEP_2) | instskip(NEXT) | instid1(VALU_DEP_1)
	v_clz_i32_u32_e32 v1, v4
	v_min_u32_e32 v1, 32, v1
	s_delay_alu instid0(VALU_DEP_1) | instskip(NEXT) | instid1(VALU_DEP_1)
	v_subrev_nc_u32_e32 v2, 28, v1
	v_lshlrev_b64_e32 v[2:3], v2, v[4:5]
	s_delay_alu instid0(VALU_DEP_1)
	v_dual_sub_nc_u32 v1, 29, v1 :: v_dual_bitop2_b32 v4, 7, v2 bitop3:0x40
; %bb.1119:                             ;   in Loop: Header=BB216_15 Depth=1
	s_or_b32 exec_lo, exec_lo, s17
	v_lshlrev_b32_e32 v2, 16, v0
	s_delay_alu instid0(VALU_DEP_2) | instskip(NEXT) | instid1(VALU_DEP_3)
	v_lshlrev_b32_e32 v3, 20, v4
	v_lshl_add_u32 v1, v1, 23, 0x3c000000
	s_delay_alu instid0(VALU_DEP_3) | instskip(NEXT) | instid1(VALU_DEP_1)
	v_and_b32_e32 v2, 0x80000000, v2
	v_or3_b32 v3, v3, v2, v1
	v_dual_mov_b32 v1, v5 :: v_dual_mov_b32 v2, v5
	s_clause 0x1
	scratch_store_b64 off, v[0:1], s32 offset:192
	scratch_store_b64 off, v[2:3], s32 offset:1340
.LBB216_1120:                           ;   in Loop: Header=BB216_15 Depth=1
	s_wait_xcnt 0x0
	s_or_b32 exec_lo, exec_lo, s16
.LBB216_1121:                           ;   in Loop: Header=BB216_15 Depth=1
	s_delay_alu instid0(SALU_CYCLE_1)
	s_or_b32 exec_lo, exec_lo, s15
.LBB216_1122:                           ;   in Loop: Header=BB216_15 Depth=1
	s_delay_alu instid0(SALU_CYCLE_1) | instskip(SKIP_3) | instid1(VALU_DEP_1)
	s_or_b32 exec_lo, exec_lo, s14
	v_mov_b64_e32 v[4:5], 0
	v_lshrrev_b32_e32 v1, 16, v0
	s_mov_b32 s14, exec_lo
	v_and_b32_e32 v2, 0xff, v1
	scratch_store_b64 off, v[4:5], s32 offset:1356 ; 8-byte Folded Spill
	s_wait_xcnt 0x0
	v_mov_b64_e32 v[4:5], 0
	scratch_store_b64 off, v[4:5], s32 offset:1364 ; 8-byte Folded Spill
	s_wait_xcnt 0x0
	v_cmpx_ne_u16_e32 0, v2
	s_cbranch_execz .LBB216_1130
; %bb.1123:                             ;   in Loop: Header=BB216_15 Depth=1
	v_cmp_ne_u16_e64 s1, 0x80, v2
	v_mov_b64_e32 v[2:3], 0x80000000
	scratch_store_b64 off, v[2:3], s32 offset:1364 ; 8-byte Folded Spill
	s_wait_xcnt 0x0
	s_and_saveexec_b32 s15, s1
	s_cbranch_execz .LBB216_1129
; %bb.1124:                             ;   in Loop: Header=BB216_15 Depth=1
	v_mov_b64_e32 v[4:5], 0x7f800001
	v_bfe_u32 v3, v0, 16, 7
	s_mov_b32 s16, exec_lo
	scratch_store_b64 off, v[4:5], s32 offset:1364 ; 8-byte Folded Spill
	s_wait_xcnt 0x0
	v_cmpx_ne_u32_e32 0x7f, v3
	s_cbranch_execz .LBB216_1128
; %bb.1125:                             ;   in Loop: Header=BB216_15 Depth=1
	scratch_load_b64 v[6:7], off, s32 offset:192 th:TH_LOAD_LU ; 8-byte Folded Reload
	s_wait_loadcnt 0x0
	v_dual_lshrrev_b32 v2, 3, v3 :: v_dual_bitop2_b32 v6, 7, v1 bitop3:0x40
	s_mov_b32 s17, exec_lo
	s_wait_xcnt 0x0
	v_cmpx_gt_u32_e32 8, v3
; %bb.1126:                             ;   in Loop: Header=BB216_15 Depth=1
	s_delay_alu instid0(VALU_DEP_2) | instskip(NEXT) | instid1(VALU_DEP_1)
	v_clz_i32_u32_e32 v2, v6
	v_min_u32_e32 v2, 32, v2
	s_delay_alu instid0(VALU_DEP_1) | instskip(NEXT) | instid1(VALU_DEP_1)
	v_subrev_nc_u32_e32 v3, 28, v2
	v_lshlrev_b64_e32 v[4:5], v3, v[6:7]
	s_delay_alu instid0(VALU_DEP_1)
	v_dual_sub_nc_u32 v2, 29, v2 :: v_dual_bitop2_b32 v6, 7, v4 bitop3:0x40
; %bb.1127:                             ;   in Loop: Header=BB216_15 Depth=1
	s_or_b32 exec_lo, exec_lo, s17
	s_delay_alu instid0(VALU_DEP_1) | instskip(NEXT) | instid1(VALU_DEP_2)
	v_dual_lshlrev_b32 v1, 24, v1 :: v_dual_lshlrev_b32 v3, 20, v6
	v_lshl_add_u32 v2, v2, 23, 0x3c000000
	s_delay_alu instid0(VALU_DEP_2) | instskip(NEXT) | instid1(VALU_DEP_1)
	v_and_b32_e32 v1, 0x80000000, v1
	v_or3_b32 v6, v3, v1, v2
	v_mov_b32_e32 v1, v7
	s_clause 0x1
	scratch_store_b64 off, v[0:1], s32 offset:192
	scratch_store_b64 off, v[6:7], s32 offset:1364
.LBB216_1128:                           ;   in Loop: Header=BB216_15 Depth=1
	s_wait_xcnt 0x0
	s_or_b32 exec_lo, exec_lo, s16
.LBB216_1129:                           ;   in Loop: Header=BB216_15 Depth=1
	s_delay_alu instid0(SALU_CYCLE_1)
	s_or_b32 exec_lo, exec_lo, s15
.LBB216_1130:                           ;   in Loop: Header=BB216_15 Depth=1
	s_delay_alu instid0(SALU_CYCLE_1) | instskip(NEXT) | instid1(SALU_CYCLE_1)
	s_or_b32 exec_lo, exec_lo, s14
	s_mov_b32 s14, exec_lo
	v_cmpx_lt_u32_e32 0xffffff, v0
	s_cbranch_execz .LBB216_1138
; %bb.1131:                             ;   in Loop: Header=BB216_15 Depth=1
	v_mov_b64_e32 v[2:3], 0x8000000000000000
	v_lshrrev_b32_e32 v1, 24, v0
	s_mov_b32 s15, exec_lo
	scratch_store_b64 off, v[2:3], s32 offset:1356 ; 8-byte Folded Spill
	s_wait_xcnt 0x0
	v_cmpx_ne_u32_e32 0x80, v1
	s_cbranch_execz .LBB216_1137
; %bb.1132:                             ;   in Loop: Header=BB216_15 Depth=1
	v_mov_b64_e32 v[4:5], 0x7f80000100000000
	v_bfe_u32 v2, v0, 24, 7
	s_mov_b32 s16, exec_lo
	scratch_store_b64 off, v[4:5], s32 offset:1356 ; 8-byte Folded Spill
	s_wait_xcnt 0x0
	v_cmpx_ne_u32_e32 0x7f, v2
	s_cbranch_execz .LBB216_1136
; %bb.1133:                             ;   in Loop: Header=BB216_15 Depth=1
	scratch_load_b64 v[4:5], off, s32 offset:192 th:TH_LOAD_LU ; 8-byte Folded Reload
	s_wait_loadcnt 0x0
	v_dual_lshrrev_b32 v0, 3, v2 :: v_dual_bitop2_b32 v4, 7, v1 bitop3:0x40
	s_mov_b32 s17, exec_lo
	s_wait_xcnt 0x0
	v_cmpx_gt_u32_e32 8, v2
; %bb.1134:                             ;   in Loop: Header=BB216_15 Depth=1
	s_delay_alu instid0(VALU_DEP_2) | instskip(NEXT) | instid1(VALU_DEP_1)
	v_clz_i32_u32_e32 v0, v4
	v_min_u32_e32 v0, 32, v0
	s_delay_alu instid0(VALU_DEP_1) | instskip(NEXT) | instid1(VALU_DEP_1)
	v_subrev_nc_u32_e32 v2, 28, v0
	v_lshlrev_b64_e32 v[2:3], v2, v[4:5]
	s_delay_alu instid0(VALU_DEP_1)
	v_dual_sub_nc_u32 v0, 29, v0 :: v_dual_bitop2_b32 v4, 7, v2 bitop3:0x40
; %bb.1135:                             ;   in Loop: Header=BB216_15 Depth=1
	s_or_b32 exec_lo, exec_lo, s17
	s_delay_alu instid0(VALU_DEP_1) | instskip(NEXT) | instid1(VALU_DEP_2)
	v_dual_lshlrev_b32 v1, 24, v1 :: v_dual_lshlrev_b32 v2, 20, v4
	v_lshl_add_u32 v0, v0, 23, 0x3c000000
	s_delay_alu instid0(VALU_DEP_2) | instskip(NEXT) | instid1(VALU_DEP_1)
	v_and_b32_e32 v1, 0x80000000, v1
	v_or3_b32 v3, v2, v1, v0
	v_dual_mov_b32 v1, v5 :: v_dual_mov_b32 v2, v5
	s_clause 0x1
	scratch_store_b64 off, v[0:1], s32 offset:192
	scratch_store_b64 off, v[2:3], s32 offset:1356
.LBB216_1136:                           ;   in Loop: Header=BB216_15 Depth=1
	s_wait_xcnt 0x0
	s_or_b32 exec_lo, exec_lo, s16
.LBB216_1137:                           ;   in Loop: Header=BB216_15 Depth=1
	s_delay_alu instid0(SALU_CYCLE_1)
	s_or_b32 exec_lo, exec_lo, s15
.LBB216_1138:                           ;   in Loop: Header=BB216_15 Depth=1
	s_delay_alu instid0(SALU_CYCLE_1)
	s_or_b32 exec_lo, exec_lo, s14
	flat_load_b32 v0, v[84:85] offset:4108
	v_mov_b64_e32 v[2:3], 0
	s_mov_b32 s14, exec_lo
	scratch_store_b64 off, v[2:3], s32 offset:1372 ; 8-byte Folded Spill
	s_wait_xcnt 0x0
	v_mov_b64_e32 v[2:3], 0
	scratch_store_b64 off, v[2:3], s32 offset:1380 ; 8-byte Folded Spill
	s_wait_loadcnt_dscnt 0x0
	v_and_b32_e32 v1, 0xff, v0
	s_wait_xcnt 0x0
	s_delay_alu instid0(VALU_DEP_1)
	v_cmpx_ne_u16_e32 0, v1
	s_cbranch_execz .LBB216_1146
; %bb.1139:                             ;   in Loop: Header=BB216_15 Depth=1
	v_mov_b64_e32 v[2:3], 0x80000000
	s_mov_b32 s15, exec_lo
	scratch_store_b64 off, v[2:3], s32 offset:1380 ; 8-byte Folded Spill
	s_wait_xcnt 0x0
	v_cmpx_ne_u16_e32 0x80, v1
	s_cbranch_execz .LBB216_1145
; %bb.1140:                             ;   in Loop: Header=BB216_15 Depth=1
	v_mov_b64_e32 v[4:5], 0x7f800001
	v_and_b32_e32 v2, 0x7f, v0
	s_mov_b32 s16, exec_lo
	scratch_store_b64 off, v[4:5], s32 offset:1380 ; 8-byte Folded Spill
	s_wait_xcnt 0x0
	v_cmpx_ne_u32_e32 0x7f, v2
	s_cbranch_execz .LBB216_1144
; %bb.1141:                             ;   in Loop: Header=BB216_15 Depth=1
	scratch_load_b64 v[4:5], off, s32 offset:192 th:TH_LOAD_LU ; 8-byte Folded Reload
	s_wait_loadcnt 0x0
	v_dual_lshrrev_b32 v1, 3, v2 :: v_dual_bitop2_b32 v4, 7, v0 bitop3:0x40
	s_mov_b32 s17, exec_lo
	s_wait_xcnt 0x0
	v_cmpx_gt_u32_e32 8, v2
; %bb.1142:                             ;   in Loop: Header=BB216_15 Depth=1
	s_delay_alu instid0(VALU_DEP_2) | instskip(NEXT) | instid1(VALU_DEP_1)
	v_clz_i32_u32_e32 v1, v4
	v_min_u32_e32 v1, 32, v1
	s_delay_alu instid0(VALU_DEP_1) | instskip(NEXT) | instid1(VALU_DEP_1)
	v_subrev_nc_u32_e32 v2, 28, v1
	v_lshlrev_b64_e32 v[2:3], v2, v[4:5]
	s_delay_alu instid0(VALU_DEP_1)
	v_dual_sub_nc_u32 v1, 29, v1 :: v_dual_bitop2_b32 v4, 7, v2 bitop3:0x40
; %bb.1143:                             ;   in Loop: Header=BB216_15 Depth=1
	s_or_b32 exec_lo, exec_lo, s17
	v_lshlrev_b32_e32 v2, 24, v0
	s_delay_alu instid0(VALU_DEP_2) | instskip(NEXT) | instid1(VALU_DEP_3)
	v_lshlrev_b32_e32 v3, 20, v4
	v_lshl_add_u32 v1, v1, 23, 0x3c000000
	s_delay_alu instid0(VALU_DEP_3) | instskip(NEXT) | instid1(VALU_DEP_1)
	v_and_b32_e32 v2, 0x80000000, v2
	v_or3_b32 v4, v3, v2, v1
	v_mov_b32_e32 v1, v5
	s_clause 0x1
	scratch_store_b64 off, v[0:1], s32 offset:192
	scratch_store_b64 off, v[4:5], s32 offset:1380
.LBB216_1144:                           ;   in Loop: Header=BB216_15 Depth=1
	s_wait_xcnt 0x0
	s_or_b32 exec_lo, exec_lo, s16
.LBB216_1145:                           ;   in Loop: Header=BB216_15 Depth=1
	s_delay_alu instid0(SALU_CYCLE_1)
	s_or_b32 exec_lo, exec_lo, s15
.LBB216_1146:                           ;   in Loop: Header=BB216_15 Depth=1
	s_delay_alu instid0(SALU_CYCLE_1) | instskip(SKIP_2) | instid1(VALU_DEP_1)
	s_or_b32 exec_lo, exec_lo, s14
	v_lshrrev_b16 v1, 8, v0
	s_mov_b32 s14, exec_lo
	v_cmpx_ne_u16_e32 0, v1
	s_cbranch_execz .LBB216_1154
; %bb.1147:                             ;   in Loop: Header=BB216_15 Depth=1
	v_mov_b64_e32 v[2:3], 0x8000000000000000
	s_mov_b32 s15, exec_lo
	scratch_store_b64 off, v[2:3], s32 offset:1372 ; 8-byte Folded Spill
	s_wait_xcnt 0x0
	v_cmpx_ne_u16_e32 0x80, v1
	s_cbranch_execz .LBB216_1153
; %bb.1148:                             ;   in Loop: Header=BB216_15 Depth=1
	v_and_b32_e32 v1, 0xffff, v1
	v_mov_b64_e32 v[4:5], 0x7f80000100000000
	s_mov_b32 s16, exec_lo
	s_delay_alu instid0(VALU_DEP_2)
	v_and_b32_e32 v2, 0x7f, v1
	scratch_store_b64 off, v[4:5], s32 offset:1372 ; 8-byte Folded Spill
	s_wait_xcnt 0x0
	v_cmpx_ne_u32_e32 0x7f, v2
	s_cbranch_execz .LBB216_1152
; %bb.1149:                             ;   in Loop: Header=BB216_15 Depth=1
	scratch_load_b64 v[4:5], off, s32 offset:192 th:TH_LOAD_LU ; 8-byte Folded Reload
	s_wait_loadcnt 0x0
	v_dual_lshrrev_b32 v1, 3, v2 :: v_dual_bitop2_b32 v4, 7, v1 bitop3:0x40
	s_mov_b32 s17, exec_lo
	s_wait_xcnt 0x0
	v_cmpx_gt_u32_e32 8, v2
; %bb.1150:                             ;   in Loop: Header=BB216_15 Depth=1
	s_delay_alu instid0(VALU_DEP_2) | instskip(NEXT) | instid1(VALU_DEP_1)
	v_clz_i32_u32_e32 v1, v4
	v_min_u32_e32 v1, 32, v1
	s_delay_alu instid0(VALU_DEP_1) | instskip(NEXT) | instid1(VALU_DEP_1)
	v_subrev_nc_u32_e32 v2, 28, v1
	v_lshlrev_b64_e32 v[2:3], v2, v[4:5]
	s_delay_alu instid0(VALU_DEP_1)
	v_dual_sub_nc_u32 v1, 29, v1 :: v_dual_bitop2_b32 v4, 7, v2 bitop3:0x40
; %bb.1151:                             ;   in Loop: Header=BB216_15 Depth=1
	s_or_b32 exec_lo, exec_lo, s17
	v_lshlrev_b32_e32 v2, 16, v0
	s_delay_alu instid0(VALU_DEP_2) | instskip(NEXT) | instid1(VALU_DEP_3)
	v_lshlrev_b32_e32 v3, 20, v4
	v_lshl_add_u32 v1, v1, 23, 0x3c000000
	s_delay_alu instid0(VALU_DEP_3) | instskip(NEXT) | instid1(VALU_DEP_1)
	v_and_b32_e32 v2, 0x80000000, v2
	v_or3_b32 v3, v3, v2, v1
	v_dual_mov_b32 v1, v5 :: v_dual_mov_b32 v2, v5
	s_clause 0x1
	scratch_store_b64 off, v[0:1], s32 offset:192
	scratch_store_b64 off, v[2:3], s32 offset:1372
.LBB216_1152:                           ;   in Loop: Header=BB216_15 Depth=1
	s_wait_xcnt 0x0
	s_or_b32 exec_lo, exec_lo, s16
.LBB216_1153:                           ;   in Loop: Header=BB216_15 Depth=1
	s_delay_alu instid0(SALU_CYCLE_1)
	s_or_b32 exec_lo, exec_lo, s15
.LBB216_1154:                           ;   in Loop: Header=BB216_15 Depth=1
	s_delay_alu instid0(SALU_CYCLE_1) | instskip(SKIP_3) | instid1(VALU_DEP_1)
	s_or_b32 exec_lo, exec_lo, s14
	v_mov_b64_e32 v[4:5], 0
	v_lshrrev_b32_e32 v1, 16, v0
	s_mov_b32 s14, exec_lo
	v_and_b32_e32 v2, 0xff, v1
	scratch_store_b64 off, v[4:5], s32 offset:1388 ; 8-byte Folded Spill
	s_wait_xcnt 0x0
	v_mov_b64_e32 v[4:5], 0
	scratch_store_b64 off, v[4:5], s32 offset:1396 ; 8-byte Folded Spill
	s_wait_xcnt 0x0
	v_cmpx_ne_u16_e32 0, v2
	s_cbranch_execz .LBB216_1162
; %bb.1155:                             ;   in Loop: Header=BB216_15 Depth=1
	v_cmp_ne_u16_e64 s1, 0x80, v2
	v_mov_b64_e32 v[2:3], 0x80000000
	scratch_store_b64 off, v[2:3], s32 offset:1396 ; 8-byte Folded Spill
	s_wait_xcnt 0x0
	s_and_saveexec_b32 s15, s1
	s_cbranch_execz .LBB216_1161
; %bb.1156:                             ;   in Loop: Header=BB216_15 Depth=1
	v_mov_b64_e32 v[4:5], 0x7f800001
	v_bfe_u32 v3, v0, 16, 7
	s_mov_b32 s16, exec_lo
	scratch_store_b64 off, v[4:5], s32 offset:1396 ; 8-byte Folded Spill
	s_wait_xcnt 0x0
	v_cmpx_ne_u32_e32 0x7f, v3
	s_cbranch_execz .LBB216_1160
; %bb.1157:                             ;   in Loop: Header=BB216_15 Depth=1
	scratch_load_b64 v[6:7], off, s32 offset:192 th:TH_LOAD_LU ; 8-byte Folded Reload
	s_wait_loadcnt 0x0
	v_dual_lshrrev_b32 v2, 3, v3 :: v_dual_bitop2_b32 v6, 7, v1 bitop3:0x40
	s_mov_b32 s17, exec_lo
	s_wait_xcnt 0x0
	v_cmpx_gt_u32_e32 8, v3
; %bb.1158:                             ;   in Loop: Header=BB216_15 Depth=1
	s_delay_alu instid0(VALU_DEP_2) | instskip(NEXT) | instid1(VALU_DEP_1)
	v_clz_i32_u32_e32 v2, v6
	v_min_u32_e32 v2, 32, v2
	s_delay_alu instid0(VALU_DEP_1) | instskip(NEXT) | instid1(VALU_DEP_1)
	v_subrev_nc_u32_e32 v3, 28, v2
	v_lshlrev_b64_e32 v[4:5], v3, v[6:7]
	s_delay_alu instid0(VALU_DEP_1)
	v_dual_sub_nc_u32 v2, 29, v2 :: v_dual_bitop2_b32 v6, 7, v4 bitop3:0x40
; %bb.1159:                             ;   in Loop: Header=BB216_15 Depth=1
	s_or_b32 exec_lo, exec_lo, s17
	s_delay_alu instid0(VALU_DEP_1) | instskip(NEXT) | instid1(VALU_DEP_2)
	v_dual_lshlrev_b32 v1, 24, v1 :: v_dual_lshlrev_b32 v3, 20, v6
	v_lshl_add_u32 v2, v2, 23, 0x3c000000
	s_delay_alu instid0(VALU_DEP_2) | instskip(NEXT) | instid1(VALU_DEP_1)
	v_and_b32_e32 v1, 0x80000000, v1
	v_or3_b32 v6, v3, v1, v2
	v_mov_b32_e32 v1, v7
	s_clause 0x1
	scratch_store_b64 off, v[0:1], s32 offset:192
	scratch_store_b64 off, v[6:7], s32 offset:1396
.LBB216_1160:                           ;   in Loop: Header=BB216_15 Depth=1
	s_wait_xcnt 0x0
	s_or_b32 exec_lo, exec_lo, s16
.LBB216_1161:                           ;   in Loop: Header=BB216_15 Depth=1
	s_delay_alu instid0(SALU_CYCLE_1)
	s_or_b32 exec_lo, exec_lo, s15
.LBB216_1162:                           ;   in Loop: Header=BB216_15 Depth=1
	s_delay_alu instid0(SALU_CYCLE_1) | instskip(NEXT) | instid1(SALU_CYCLE_1)
	s_or_b32 exec_lo, exec_lo, s14
	s_mov_b32 s14, exec_lo
	v_cmpx_lt_u32_e32 0xffffff, v0
	s_cbranch_execz .LBB216_1170
; %bb.1163:                             ;   in Loop: Header=BB216_15 Depth=1
	v_mov_b64_e32 v[2:3], 0x8000000000000000
	v_lshrrev_b32_e32 v1, 24, v0
	s_mov_b32 s15, exec_lo
	scratch_store_b64 off, v[2:3], s32 offset:1388 ; 8-byte Folded Spill
	s_wait_xcnt 0x0
	v_cmpx_ne_u32_e32 0x80, v1
	s_cbranch_execz .LBB216_1169
; %bb.1164:                             ;   in Loop: Header=BB216_15 Depth=1
	v_mov_b64_e32 v[4:5], 0x7f80000100000000
	v_bfe_u32 v2, v0, 24, 7
	s_mov_b32 s16, exec_lo
	scratch_store_b64 off, v[4:5], s32 offset:1388 ; 8-byte Folded Spill
	s_wait_xcnt 0x0
	v_cmpx_ne_u32_e32 0x7f, v2
	s_cbranch_execz .LBB216_1168
; %bb.1165:                             ;   in Loop: Header=BB216_15 Depth=1
	scratch_load_b64 v[4:5], off, s32 offset:192 th:TH_LOAD_LU ; 8-byte Folded Reload
	s_wait_loadcnt 0x0
	v_dual_lshrrev_b32 v0, 3, v2 :: v_dual_bitop2_b32 v4, 7, v1 bitop3:0x40
	s_mov_b32 s17, exec_lo
	s_wait_xcnt 0x0
	v_cmpx_gt_u32_e32 8, v2
; %bb.1166:                             ;   in Loop: Header=BB216_15 Depth=1
	s_delay_alu instid0(VALU_DEP_2) | instskip(NEXT) | instid1(VALU_DEP_1)
	v_clz_i32_u32_e32 v0, v4
	v_min_u32_e32 v0, 32, v0
	s_delay_alu instid0(VALU_DEP_1) | instskip(NEXT) | instid1(VALU_DEP_1)
	v_subrev_nc_u32_e32 v2, 28, v0
	v_lshlrev_b64_e32 v[2:3], v2, v[4:5]
	s_delay_alu instid0(VALU_DEP_1)
	v_dual_sub_nc_u32 v0, 29, v0 :: v_dual_bitop2_b32 v4, 7, v2 bitop3:0x40
; %bb.1167:                             ;   in Loop: Header=BB216_15 Depth=1
	s_or_b32 exec_lo, exec_lo, s17
	s_delay_alu instid0(VALU_DEP_1) | instskip(NEXT) | instid1(VALU_DEP_2)
	v_dual_lshlrev_b32 v1, 24, v1 :: v_dual_lshlrev_b32 v2, 20, v4
	v_lshl_add_u32 v0, v0, 23, 0x3c000000
	s_delay_alu instid0(VALU_DEP_2) | instskip(NEXT) | instid1(VALU_DEP_1)
	v_and_b32_e32 v1, 0x80000000, v1
	v_or3_b32 v3, v2, v1, v0
	v_dual_mov_b32 v1, v5 :: v_dual_mov_b32 v2, v5
	s_clause 0x1
	scratch_store_b64 off, v[0:1], s32 offset:192
	scratch_store_b64 off, v[2:3], s32 offset:1388
.LBB216_1168:                           ;   in Loop: Header=BB216_15 Depth=1
	s_wait_xcnt 0x0
	s_or_b32 exec_lo, exec_lo, s16
.LBB216_1169:                           ;   in Loop: Header=BB216_15 Depth=1
	s_delay_alu instid0(SALU_CYCLE_1)
	s_or_b32 exec_lo, exec_lo, s15
.LBB216_1170:                           ;   in Loop: Header=BB216_15 Depth=1
	s_delay_alu instid0(SALU_CYCLE_1)
	s_or_b32 exec_lo, exec_lo, s14
	flat_load_b32 v0, v[84:85] offset:4608
	v_mov_b64_e32 v[2:3], 0
	s_mov_b32 s14, exec_lo
	scratch_store_b64 off, v[2:3], s32 offset:1404 ; 8-byte Folded Spill
	s_wait_xcnt 0x0
	v_mov_b64_e32 v[2:3], 0
	scratch_store_b64 off, v[2:3], s32 offset:1412 ; 8-byte Folded Spill
	s_wait_loadcnt_dscnt 0x0
	v_and_b32_e32 v1, 0xff, v0
	s_wait_xcnt 0x0
	s_delay_alu instid0(VALU_DEP_1)
	v_cmpx_ne_u16_e32 0, v1
	s_cbranch_execz .LBB216_1178
; %bb.1171:                             ;   in Loop: Header=BB216_15 Depth=1
	v_mov_b64_e32 v[2:3], 0x80000000
	s_mov_b32 s15, exec_lo
	scratch_store_b64 off, v[2:3], s32 offset:1412 ; 8-byte Folded Spill
	s_wait_xcnt 0x0
	v_cmpx_ne_u16_e32 0x80, v1
	s_cbranch_execz .LBB216_1177
; %bb.1172:                             ;   in Loop: Header=BB216_15 Depth=1
	v_mov_b64_e32 v[4:5], 0x7f800001
	v_and_b32_e32 v2, 0x7f, v0
	s_mov_b32 s16, exec_lo
	scratch_store_b64 off, v[4:5], s32 offset:1412 ; 8-byte Folded Spill
	s_wait_xcnt 0x0
	v_cmpx_ne_u32_e32 0x7f, v2
	s_cbranch_execz .LBB216_1176
; %bb.1173:                             ;   in Loop: Header=BB216_15 Depth=1
	scratch_load_b64 v[4:5], off, s32 offset:192 th:TH_LOAD_LU ; 8-byte Folded Reload
	s_wait_loadcnt 0x0
	v_dual_lshrrev_b32 v1, 3, v2 :: v_dual_bitop2_b32 v4, 7, v0 bitop3:0x40
	s_mov_b32 s17, exec_lo
	s_wait_xcnt 0x0
	v_cmpx_gt_u32_e32 8, v2
; %bb.1174:                             ;   in Loop: Header=BB216_15 Depth=1
	s_delay_alu instid0(VALU_DEP_2) | instskip(NEXT) | instid1(VALU_DEP_1)
	v_clz_i32_u32_e32 v1, v4
	v_min_u32_e32 v1, 32, v1
	s_delay_alu instid0(VALU_DEP_1) | instskip(NEXT) | instid1(VALU_DEP_1)
	v_subrev_nc_u32_e32 v2, 28, v1
	v_lshlrev_b64_e32 v[2:3], v2, v[4:5]
	s_delay_alu instid0(VALU_DEP_1)
	v_dual_sub_nc_u32 v1, 29, v1 :: v_dual_bitop2_b32 v4, 7, v2 bitop3:0x40
; %bb.1175:                             ;   in Loop: Header=BB216_15 Depth=1
	s_or_b32 exec_lo, exec_lo, s17
	v_lshlrev_b32_e32 v2, 24, v0
	s_delay_alu instid0(VALU_DEP_2) | instskip(NEXT) | instid1(VALU_DEP_3)
	v_lshlrev_b32_e32 v3, 20, v4
	v_lshl_add_u32 v1, v1, 23, 0x3c000000
	s_delay_alu instid0(VALU_DEP_3) | instskip(NEXT) | instid1(VALU_DEP_1)
	v_and_b32_e32 v2, 0x80000000, v2
	v_or3_b32 v4, v3, v2, v1
	v_mov_b32_e32 v1, v5
	s_clause 0x1
	scratch_store_b64 off, v[0:1], s32 offset:192
	scratch_store_b64 off, v[4:5], s32 offset:1412
.LBB216_1176:                           ;   in Loop: Header=BB216_15 Depth=1
	s_wait_xcnt 0x0
	s_or_b32 exec_lo, exec_lo, s16
.LBB216_1177:                           ;   in Loop: Header=BB216_15 Depth=1
	s_delay_alu instid0(SALU_CYCLE_1)
	s_or_b32 exec_lo, exec_lo, s15
.LBB216_1178:                           ;   in Loop: Header=BB216_15 Depth=1
	s_delay_alu instid0(SALU_CYCLE_1) | instskip(SKIP_2) | instid1(VALU_DEP_1)
	s_or_b32 exec_lo, exec_lo, s14
	v_lshrrev_b16 v1, 8, v0
	s_mov_b32 s14, exec_lo
	v_cmpx_ne_u16_e32 0, v1
	s_cbranch_execz .LBB216_1186
; %bb.1179:                             ;   in Loop: Header=BB216_15 Depth=1
	v_mov_b64_e32 v[2:3], 0x8000000000000000
	s_mov_b32 s15, exec_lo
	scratch_store_b64 off, v[2:3], s32 offset:1404 ; 8-byte Folded Spill
	s_wait_xcnt 0x0
	v_cmpx_ne_u16_e32 0x80, v1
	s_cbranch_execz .LBB216_1185
; %bb.1180:                             ;   in Loop: Header=BB216_15 Depth=1
	v_and_b32_e32 v1, 0xffff, v1
	v_mov_b64_e32 v[4:5], 0x7f80000100000000
	s_mov_b32 s16, exec_lo
	s_delay_alu instid0(VALU_DEP_2)
	v_and_b32_e32 v2, 0x7f, v1
	scratch_store_b64 off, v[4:5], s32 offset:1404 ; 8-byte Folded Spill
	s_wait_xcnt 0x0
	v_cmpx_ne_u32_e32 0x7f, v2
	s_cbranch_execz .LBB216_1184
; %bb.1181:                             ;   in Loop: Header=BB216_15 Depth=1
	scratch_load_b64 v[4:5], off, s32 offset:192 th:TH_LOAD_LU ; 8-byte Folded Reload
	s_wait_loadcnt 0x0
	v_dual_lshrrev_b32 v1, 3, v2 :: v_dual_bitop2_b32 v4, 7, v1 bitop3:0x40
	s_mov_b32 s17, exec_lo
	s_wait_xcnt 0x0
	v_cmpx_gt_u32_e32 8, v2
; %bb.1182:                             ;   in Loop: Header=BB216_15 Depth=1
	s_delay_alu instid0(VALU_DEP_2) | instskip(NEXT) | instid1(VALU_DEP_1)
	v_clz_i32_u32_e32 v1, v4
	v_min_u32_e32 v1, 32, v1
	s_delay_alu instid0(VALU_DEP_1) | instskip(NEXT) | instid1(VALU_DEP_1)
	v_subrev_nc_u32_e32 v2, 28, v1
	v_lshlrev_b64_e32 v[2:3], v2, v[4:5]
	s_delay_alu instid0(VALU_DEP_1)
	v_dual_sub_nc_u32 v1, 29, v1 :: v_dual_bitop2_b32 v4, 7, v2 bitop3:0x40
; %bb.1183:                             ;   in Loop: Header=BB216_15 Depth=1
	s_or_b32 exec_lo, exec_lo, s17
	v_lshlrev_b32_e32 v2, 16, v0
	s_delay_alu instid0(VALU_DEP_2) | instskip(NEXT) | instid1(VALU_DEP_3)
	v_lshlrev_b32_e32 v3, 20, v4
	v_lshl_add_u32 v1, v1, 23, 0x3c000000
	s_delay_alu instid0(VALU_DEP_3) | instskip(NEXT) | instid1(VALU_DEP_1)
	v_and_b32_e32 v2, 0x80000000, v2
	v_or3_b32 v3, v3, v2, v1
	v_dual_mov_b32 v1, v5 :: v_dual_mov_b32 v2, v5
	s_clause 0x1
	scratch_store_b64 off, v[0:1], s32 offset:192
	scratch_store_b64 off, v[2:3], s32 offset:1404
.LBB216_1184:                           ;   in Loop: Header=BB216_15 Depth=1
	s_wait_xcnt 0x0
	s_or_b32 exec_lo, exec_lo, s16
.LBB216_1185:                           ;   in Loop: Header=BB216_15 Depth=1
	s_delay_alu instid0(SALU_CYCLE_1)
	s_or_b32 exec_lo, exec_lo, s15
.LBB216_1186:                           ;   in Loop: Header=BB216_15 Depth=1
	s_delay_alu instid0(SALU_CYCLE_1) | instskip(SKIP_3) | instid1(VALU_DEP_1)
	s_or_b32 exec_lo, exec_lo, s14
	v_mov_b64_e32 v[4:5], 0
	v_lshrrev_b32_e32 v1, 16, v0
	s_mov_b32 s14, exec_lo
	v_and_b32_e32 v2, 0xff, v1
	scratch_store_b64 off, v[4:5], s32 offset:1420 ; 8-byte Folded Spill
	s_wait_xcnt 0x0
	v_mov_b64_e32 v[4:5], 0
	scratch_store_b64 off, v[4:5], s32 offset:1428 ; 8-byte Folded Spill
	s_wait_xcnt 0x0
	v_cmpx_ne_u16_e32 0, v2
	s_cbranch_execz .LBB216_1194
; %bb.1187:                             ;   in Loop: Header=BB216_15 Depth=1
	v_cmp_ne_u16_e64 s1, 0x80, v2
	v_mov_b64_e32 v[2:3], 0x80000000
	scratch_store_b64 off, v[2:3], s32 offset:1428 ; 8-byte Folded Spill
	s_wait_xcnt 0x0
	s_and_saveexec_b32 s15, s1
	s_cbranch_execz .LBB216_1193
; %bb.1188:                             ;   in Loop: Header=BB216_15 Depth=1
	v_mov_b64_e32 v[4:5], 0x7f800001
	v_bfe_u32 v3, v0, 16, 7
	s_mov_b32 s16, exec_lo
	scratch_store_b64 off, v[4:5], s32 offset:1428 ; 8-byte Folded Spill
	s_wait_xcnt 0x0
	v_cmpx_ne_u32_e32 0x7f, v3
	s_cbranch_execz .LBB216_1192
; %bb.1189:                             ;   in Loop: Header=BB216_15 Depth=1
	scratch_load_b64 v[6:7], off, s32 offset:192 th:TH_LOAD_LU ; 8-byte Folded Reload
	s_wait_loadcnt 0x0
	v_dual_lshrrev_b32 v2, 3, v3 :: v_dual_bitop2_b32 v6, 7, v1 bitop3:0x40
	s_mov_b32 s17, exec_lo
	s_wait_xcnt 0x0
	v_cmpx_gt_u32_e32 8, v3
; %bb.1190:                             ;   in Loop: Header=BB216_15 Depth=1
	s_delay_alu instid0(VALU_DEP_2) | instskip(NEXT) | instid1(VALU_DEP_1)
	v_clz_i32_u32_e32 v2, v6
	v_min_u32_e32 v2, 32, v2
	s_delay_alu instid0(VALU_DEP_1) | instskip(NEXT) | instid1(VALU_DEP_1)
	v_subrev_nc_u32_e32 v3, 28, v2
	v_lshlrev_b64_e32 v[4:5], v3, v[6:7]
	s_delay_alu instid0(VALU_DEP_1)
	v_dual_sub_nc_u32 v2, 29, v2 :: v_dual_bitop2_b32 v6, 7, v4 bitop3:0x40
; %bb.1191:                             ;   in Loop: Header=BB216_15 Depth=1
	s_or_b32 exec_lo, exec_lo, s17
	s_delay_alu instid0(VALU_DEP_1) | instskip(NEXT) | instid1(VALU_DEP_2)
	v_dual_lshlrev_b32 v1, 24, v1 :: v_dual_lshlrev_b32 v3, 20, v6
	v_lshl_add_u32 v2, v2, 23, 0x3c000000
	s_delay_alu instid0(VALU_DEP_2) | instskip(NEXT) | instid1(VALU_DEP_1)
	v_and_b32_e32 v1, 0x80000000, v1
	v_or3_b32 v6, v3, v1, v2
	v_mov_b32_e32 v1, v7
	s_clause 0x1
	scratch_store_b64 off, v[0:1], s32 offset:192
	scratch_store_b64 off, v[6:7], s32 offset:1428
.LBB216_1192:                           ;   in Loop: Header=BB216_15 Depth=1
	s_wait_xcnt 0x0
	s_or_b32 exec_lo, exec_lo, s16
.LBB216_1193:                           ;   in Loop: Header=BB216_15 Depth=1
	s_delay_alu instid0(SALU_CYCLE_1)
	s_or_b32 exec_lo, exec_lo, s15
.LBB216_1194:                           ;   in Loop: Header=BB216_15 Depth=1
	s_delay_alu instid0(SALU_CYCLE_1) | instskip(NEXT) | instid1(SALU_CYCLE_1)
	s_or_b32 exec_lo, exec_lo, s14
	s_mov_b32 s14, exec_lo
	v_cmpx_lt_u32_e32 0xffffff, v0
	s_cbranch_execz .LBB216_1202
; %bb.1195:                             ;   in Loop: Header=BB216_15 Depth=1
	v_mov_b64_e32 v[2:3], 0x8000000000000000
	v_lshrrev_b32_e32 v1, 24, v0
	s_mov_b32 s15, exec_lo
	scratch_store_b64 off, v[2:3], s32 offset:1420 ; 8-byte Folded Spill
	s_wait_xcnt 0x0
	v_cmpx_ne_u32_e32 0x80, v1
	s_cbranch_execz .LBB216_1201
; %bb.1196:                             ;   in Loop: Header=BB216_15 Depth=1
	v_mov_b64_e32 v[4:5], 0x7f80000100000000
	v_bfe_u32 v2, v0, 24, 7
	s_mov_b32 s16, exec_lo
	scratch_store_b64 off, v[4:5], s32 offset:1420 ; 8-byte Folded Spill
	s_wait_xcnt 0x0
	v_cmpx_ne_u32_e32 0x7f, v2
	s_cbranch_execz .LBB216_1200
; %bb.1197:                             ;   in Loop: Header=BB216_15 Depth=1
	scratch_load_b64 v[4:5], off, s32 offset:192 th:TH_LOAD_LU ; 8-byte Folded Reload
	s_wait_loadcnt 0x0
	v_dual_lshrrev_b32 v0, 3, v2 :: v_dual_bitop2_b32 v4, 7, v1 bitop3:0x40
	s_mov_b32 s17, exec_lo
	s_wait_xcnt 0x0
	v_cmpx_gt_u32_e32 8, v2
; %bb.1198:                             ;   in Loop: Header=BB216_15 Depth=1
	s_delay_alu instid0(VALU_DEP_2) | instskip(NEXT) | instid1(VALU_DEP_1)
	v_clz_i32_u32_e32 v0, v4
	v_min_u32_e32 v0, 32, v0
	s_delay_alu instid0(VALU_DEP_1) | instskip(NEXT) | instid1(VALU_DEP_1)
	v_subrev_nc_u32_e32 v2, 28, v0
	v_lshlrev_b64_e32 v[2:3], v2, v[4:5]
	s_delay_alu instid0(VALU_DEP_1)
	v_dual_sub_nc_u32 v0, 29, v0 :: v_dual_bitop2_b32 v4, 7, v2 bitop3:0x40
; %bb.1199:                             ;   in Loop: Header=BB216_15 Depth=1
	s_or_b32 exec_lo, exec_lo, s17
	s_delay_alu instid0(VALU_DEP_1) | instskip(NEXT) | instid1(VALU_DEP_2)
	v_dual_lshlrev_b32 v1, 24, v1 :: v_dual_lshlrev_b32 v2, 20, v4
	v_lshl_add_u32 v0, v0, 23, 0x3c000000
	s_delay_alu instid0(VALU_DEP_2) | instskip(NEXT) | instid1(VALU_DEP_1)
	v_and_b32_e32 v1, 0x80000000, v1
	v_or3_b32 v3, v2, v1, v0
	v_dual_mov_b32 v1, v5 :: v_dual_mov_b32 v2, v5
	s_clause 0x1
	scratch_store_b64 off, v[0:1], s32 offset:192
	scratch_store_b64 off, v[2:3], s32 offset:1420
.LBB216_1200:                           ;   in Loop: Header=BB216_15 Depth=1
	s_wait_xcnt 0x0
	s_or_b32 exec_lo, exec_lo, s16
.LBB216_1201:                           ;   in Loop: Header=BB216_15 Depth=1
	s_delay_alu instid0(SALU_CYCLE_1)
	s_or_b32 exec_lo, exec_lo, s15
.LBB216_1202:                           ;   in Loop: Header=BB216_15 Depth=1
	s_delay_alu instid0(SALU_CYCLE_1)
	s_or_b32 exec_lo, exec_lo, s14
	flat_load_b32 v0, v[84:85] offset:4612
	v_mov_b64_e32 v[2:3], 0
	s_mov_b32 s14, exec_lo
	scratch_store_b64 off, v[2:3], s32 offset:1436 ; 8-byte Folded Spill
	s_wait_xcnt 0x0
	v_mov_b64_e32 v[2:3], 0
	scratch_store_b64 off, v[2:3], s32 offset:1444 ; 8-byte Folded Spill
	s_wait_loadcnt_dscnt 0x0
	v_and_b32_e32 v1, 0xff, v0
	s_wait_xcnt 0x0
	s_delay_alu instid0(VALU_DEP_1)
	v_cmpx_ne_u16_e32 0, v1
	s_cbranch_execz .LBB216_1210
; %bb.1203:                             ;   in Loop: Header=BB216_15 Depth=1
	v_mov_b64_e32 v[2:3], 0x80000000
	s_mov_b32 s15, exec_lo
	scratch_store_b64 off, v[2:3], s32 offset:1444 ; 8-byte Folded Spill
	s_wait_xcnt 0x0
	v_cmpx_ne_u16_e32 0x80, v1
	s_cbranch_execz .LBB216_1209
; %bb.1204:                             ;   in Loop: Header=BB216_15 Depth=1
	v_mov_b64_e32 v[4:5], 0x7f800001
	v_and_b32_e32 v2, 0x7f, v0
	s_mov_b32 s16, exec_lo
	scratch_store_b64 off, v[4:5], s32 offset:1444 ; 8-byte Folded Spill
	s_wait_xcnt 0x0
	v_cmpx_ne_u32_e32 0x7f, v2
	s_cbranch_execz .LBB216_1208
; %bb.1205:                             ;   in Loop: Header=BB216_15 Depth=1
	scratch_load_b64 v[4:5], off, s32 offset:192 th:TH_LOAD_LU ; 8-byte Folded Reload
	s_wait_loadcnt 0x0
	v_dual_lshrrev_b32 v1, 3, v2 :: v_dual_bitop2_b32 v4, 7, v0 bitop3:0x40
	s_mov_b32 s17, exec_lo
	s_wait_xcnt 0x0
	v_cmpx_gt_u32_e32 8, v2
; %bb.1206:                             ;   in Loop: Header=BB216_15 Depth=1
	s_delay_alu instid0(VALU_DEP_2) | instskip(NEXT) | instid1(VALU_DEP_1)
	v_clz_i32_u32_e32 v1, v4
	v_min_u32_e32 v1, 32, v1
	s_delay_alu instid0(VALU_DEP_1) | instskip(NEXT) | instid1(VALU_DEP_1)
	v_subrev_nc_u32_e32 v2, 28, v1
	v_lshlrev_b64_e32 v[2:3], v2, v[4:5]
	s_delay_alu instid0(VALU_DEP_1)
	v_dual_sub_nc_u32 v1, 29, v1 :: v_dual_bitop2_b32 v4, 7, v2 bitop3:0x40
; %bb.1207:                             ;   in Loop: Header=BB216_15 Depth=1
	s_or_b32 exec_lo, exec_lo, s17
	v_lshlrev_b32_e32 v2, 24, v0
	s_delay_alu instid0(VALU_DEP_2) | instskip(NEXT) | instid1(VALU_DEP_3)
	v_lshlrev_b32_e32 v3, 20, v4
	v_lshl_add_u32 v1, v1, 23, 0x3c000000
	s_delay_alu instid0(VALU_DEP_3) | instskip(NEXT) | instid1(VALU_DEP_1)
	v_and_b32_e32 v2, 0x80000000, v2
	v_or3_b32 v4, v3, v2, v1
	v_mov_b32_e32 v1, v5
	s_clause 0x1
	scratch_store_b64 off, v[0:1], s32 offset:192
	scratch_store_b64 off, v[4:5], s32 offset:1444
.LBB216_1208:                           ;   in Loop: Header=BB216_15 Depth=1
	s_wait_xcnt 0x0
	s_or_b32 exec_lo, exec_lo, s16
.LBB216_1209:                           ;   in Loop: Header=BB216_15 Depth=1
	s_delay_alu instid0(SALU_CYCLE_1)
	s_or_b32 exec_lo, exec_lo, s15
.LBB216_1210:                           ;   in Loop: Header=BB216_15 Depth=1
	s_delay_alu instid0(SALU_CYCLE_1) | instskip(SKIP_2) | instid1(VALU_DEP_1)
	s_or_b32 exec_lo, exec_lo, s14
	v_lshrrev_b16 v1, 8, v0
	s_mov_b32 s14, exec_lo
	v_cmpx_ne_u16_e32 0, v1
	s_cbranch_execz .LBB216_1218
; %bb.1211:                             ;   in Loop: Header=BB216_15 Depth=1
	v_mov_b64_e32 v[2:3], 0x8000000000000000
	s_mov_b32 s15, exec_lo
	scratch_store_b64 off, v[2:3], s32 offset:1436 ; 8-byte Folded Spill
	s_wait_xcnt 0x0
	v_cmpx_ne_u16_e32 0x80, v1
	s_cbranch_execz .LBB216_1217
; %bb.1212:                             ;   in Loop: Header=BB216_15 Depth=1
	v_and_b32_e32 v1, 0xffff, v1
	v_mov_b64_e32 v[4:5], 0x7f80000100000000
	s_mov_b32 s16, exec_lo
	s_delay_alu instid0(VALU_DEP_2)
	v_and_b32_e32 v2, 0x7f, v1
	scratch_store_b64 off, v[4:5], s32 offset:1436 ; 8-byte Folded Spill
	s_wait_xcnt 0x0
	v_cmpx_ne_u32_e32 0x7f, v2
	s_cbranch_execz .LBB216_1216
; %bb.1213:                             ;   in Loop: Header=BB216_15 Depth=1
	scratch_load_b64 v[4:5], off, s32 offset:192 th:TH_LOAD_LU ; 8-byte Folded Reload
	s_wait_loadcnt 0x0
	v_dual_lshrrev_b32 v1, 3, v2 :: v_dual_bitop2_b32 v4, 7, v1 bitop3:0x40
	s_mov_b32 s17, exec_lo
	s_wait_xcnt 0x0
	v_cmpx_gt_u32_e32 8, v2
; %bb.1214:                             ;   in Loop: Header=BB216_15 Depth=1
	s_delay_alu instid0(VALU_DEP_2) | instskip(NEXT) | instid1(VALU_DEP_1)
	v_clz_i32_u32_e32 v1, v4
	v_min_u32_e32 v1, 32, v1
	s_delay_alu instid0(VALU_DEP_1) | instskip(NEXT) | instid1(VALU_DEP_1)
	v_subrev_nc_u32_e32 v2, 28, v1
	v_lshlrev_b64_e32 v[2:3], v2, v[4:5]
	s_delay_alu instid0(VALU_DEP_1)
	v_dual_sub_nc_u32 v1, 29, v1 :: v_dual_bitop2_b32 v4, 7, v2 bitop3:0x40
; %bb.1215:                             ;   in Loop: Header=BB216_15 Depth=1
	s_or_b32 exec_lo, exec_lo, s17
	v_lshlrev_b32_e32 v2, 16, v0
	s_delay_alu instid0(VALU_DEP_2) | instskip(NEXT) | instid1(VALU_DEP_3)
	v_lshlrev_b32_e32 v3, 20, v4
	v_lshl_add_u32 v1, v1, 23, 0x3c000000
	s_delay_alu instid0(VALU_DEP_3) | instskip(NEXT) | instid1(VALU_DEP_1)
	v_and_b32_e32 v2, 0x80000000, v2
	v_or3_b32 v3, v3, v2, v1
	v_dual_mov_b32 v1, v5 :: v_dual_mov_b32 v2, v5
	s_clause 0x1
	scratch_store_b64 off, v[0:1], s32 offset:192
	scratch_store_b64 off, v[2:3], s32 offset:1436
.LBB216_1216:                           ;   in Loop: Header=BB216_15 Depth=1
	s_wait_xcnt 0x0
	s_or_b32 exec_lo, exec_lo, s16
.LBB216_1217:                           ;   in Loop: Header=BB216_15 Depth=1
	s_delay_alu instid0(SALU_CYCLE_1)
	s_or_b32 exec_lo, exec_lo, s15
.LBB216_1218:                           ;   in Loop: Header=BB216_15 Depth=1
	s_delay_alu instid0(SALU_CYCLE_1) | instskip(SKIP_3) | instid1(VALU_DEP_1)
	s_or_b32 exec_lo, exec_lo, s14
	v_mov_b64_e32 v[4:5], 0
	v_lshrrev_b32_e32 v1, 16, v0
	s_mov_b32 s14, exec_lo
	v_and_b32_e32 v2, 0xff, v1
	scratch_store_b64 off, v[4:5], s32 offset:1452 ; 8-byte Folded Spill
	s_wait_xcnt 0x0
	v_mov_b64_e32 v[4:5], 0
	scratch_store_b64 off, v[4:5], s32 offset:1460 ; 8-byte Folded Spill
	s_wait_xcnt 0x0
	v_cmpx_ne_u16_e32 0, v2
	s_cbranch_execz .LBB216_1226
; %bb.1219:                             ;   in Loop: Header=BB216_15 Depth=1
	v_cmp_ne_u16_e64 s1, 0x80, v2
	v_mov_b64_e32 v[2:3], 0x80000000
	scratch_store_b64 off, v[2:3], s32 offset:1460 ; 8-byte Folded Spill
	s_wait_xcnt 0x0
	s_and_saveexec_b32 s15, s1
	s_cbranch_execz .LBB216_1225
; %bb.1220:                             ;   in Loop: Header=BB216_15 Depth=1
	v_mov_b64_e32 v[4:5], 0x7f800001
	v_bfe_u32 v3, v0, 16, 7
	s_mov_b32 s16, exec_lo
	scratch_store_b64 off, v[4:5], s32 offset:1460 ; 8-byte Folded Spill
	s_wait_xcnt 0x0
	v_cmpx_ne_u32_e32 0x7f, v3
	s_cbranch_execz .LBB216_1224
; %bb.1221:                             ;   in Loop: Header=BB216_15 Depth=1
	scratch_load_b64 v[6:7], off, s32 offset:192 th:TH_LOAD_LU ; 8-byte Folded Reload
	s_wait_loadcnt 0x0
	v_dual_lshrrev_b32 v2, 3, v3 :: v_dual_bitop2_b32 v6, 7, v1 bitop3:0x40
	s_mov_b32 s17, exec_lo
	s_wait_xcnt 0x0
	v_cmpx_gt_u32_e32 8, v3
; %bb.1222:                             ;   in Loop: Header=BB216_15 Depth=1
	s_delay_alu instid0(VALU_DEP_2) | instskip(NEXT) | instid1(VALU_DEP_1)
	v_clz_i32_u32_e32 v2, v6
	v_min_u32_e32 v2, 32, v2
	s_delay_alu instid0(VALU_DEP_1) | instskip(NEXT) | instid1(VALU_DEP_1)
	v_subrev_nc_u32_e32 v3, 28, v2
	v_lshlrev_b64_e32 v[4:5], v3, v[6:7]
	s_delay_alu instid0(VALU_DEP_1)
	v_dual_sub_nc_u32 v2, 29, v2 :: v_dual_bitop2_b32 v6, 7, v4 bitop3:0x40
; %bb.1223:                             ;   in Loop: Header=BB216_15 Depth=1
	s_or_b32 exec_lo, exec_lo, s17
	s_delay_alu instid0(VALU_DEP_1) | instskip(NEXT) | instid1(VALU_DEP_2)
	v_dual_lshlrev_b32 v1, 24, v1 :: v_dual_lshlrev_b32 v3, 20, v6
	v_lshl_add_u32 v2, v2, 23, 0x3c000000
	s_delay_alu instid0(VALU_DEP_2) | instskip(NEXT) | instid1(VALU_DEP_1)
	v_and_b32_e32 v1, 0x80000000, v1
	v_or3_b32 v6, v3, v1, v2
	v_mov_b32_e32 v1, v7
	s_clause 0x1
	scratch_store_b64 off, v[0:1], s32 offset:192
	scratch_store_b64 off, v[6:7], s32 offset:1460
.LBB216_1224:                           ;   in Loop: Header=BB216_15 Depth=1
	s_wait_xcnt 0x0
	s_or_b32 exec_lo, exec_lo, s16
.LBB216_1225:                           ;   in Loop: Header=BB216_15 Depth=1
	s_delay_alu instid0(SALU_CYCLE_1)
	s_or_b32 exec_lo, exec_lo, s15
.LBB216_1226:                           ;   in Loop: Header=BB216_15 Depth=1
	s_delay_alu instid0(SALU_CYCLE_1) | instskip(NEXT) | instid1(SALU_CYCLE_1)
	s_or_b32 exec_lo, exec_lo, s14
	s_mov_b32 s14, exec_lo
	v_cmpx_lt_u32_e32 0xffffff, v0
	s_cbranch_execz .LBB216_1234
; %bb.1227:                             ;   in Loop: Header=BB216_15 Depth=1
	v_mov_b64_e32 v[2:3], 0x8000000000000000
	v_lshrrev_b32_e32 v1, 24, v0
	s_mov_b32 s15, exec_lo
	scratch_store_b64 off, v[2:3], s32 offset:1452 ; 8-byte Folded Spill
	s_wait_xcnt 0x0
	v_cmpx_ne_u32_e32 0x80, v1
	s_cbranch_execz .LBB216_1233
; %bb.1228:                             ;   in Loop: Header=BB216_15 Depth=1
	v_mov_b64_e32 v[4:5], 0x7f80000100000000
	v_bfe_u32 v2, v0, 24, 7
	s_mov_b32 s16, exec_lo
	scratch_store_b64 off, v[4:5], s32 offset:1452 ; 8-byte Folded Spill
	s_wait_xcnt 0x0
	v_cmpx_ne_u32_e32 0x7f, v2
	s_cbranch_execz .LBB216_1232
; %bb.1229:                             ;   in Loop: Header=BB216_15 Depth=1
	scratch_load_b64 v[4:5], off, s32 offset:192 th:TH_LOAD_LU ; 8-byte Folded Reload
	s_wait_loadcnt 0x0
	v_dual_lshrrev_b32 v0, 3, v2 :: v_dual_bitop2_b32 v4, 7, v1 bitop3:0x40
	s_mov_b32 s17, exec_lo
	s_wait_xcnt 0x0
	v_cmpx_gt_u32_e32 8, v2
; %bb.1230:                             ;   in Loop: Header=BB216_15 Depth=1
	s_delay_alu instid0(VALU_DEP_2) | instskip(NEXT) | instid1(VALU_DEP_1)
	v_clz_i32_u32_e32 v0, v4
	v_min_u32_e32 v0, 32, v0
	s_delay_alu instid0(VALU_DEP_1) | instskip(NEXT) | instid1(VALU_DEP_1)
	v_subrev_nc_u32_e32 v2, 28, v0
	v_lshlrev_b64_e32 v[2:3], v2, v[4:5]
	s_delay_alu instid0(VALU_DEP_1)
	v_dual_sub_nc_u32 v0, 29, v0 :: v_dual_bitop2_b32 v4, 7, v2 bitop3:0x40
; %bb.1231:                             ;   in Loop: Header=BB216_15 Depth=1
	s_or_b32 exec_lo, exec_lo, s17
	s_delay_alu instid0(VALU_DEP_1) | instskip(NEXT) | instid1(VALU_DEP_2)
	v_dual_lshlrev_b32 v1, 24, v1 :: v_dual_lshlrev_b32 v2, 20, v4
	v_lshl_add_u32 v0, v0, 23, 0x3c000000
	s_delay_alu instid0(VALU_DEP_2) | instskip(NEXT) | instid1(VALU_DEP_1)
	v_and_b32_e32 v1, 0x80000000, v1
	v_or3_b32 v3, v2, v1, v0
	v_dual_mov_b32 v1, v5 :: v_dual_mov_b32 v2, v5
	s_clause 0x1
	scratch_store_b64 off, v[0:1], s32 offset:192
	scratch_store_b64 off, v[2:3], s32 offset:1452
.LBB216_1232:                           ;   in Loop: Header=BB216_15 Depth=1
	s_wait_xcnt 0x0
	s_or_b32 exec_lo, exec_lo, s16
.LBB216_1233:                           ;   in Loop: Header=BB216_15 Depth=1
	s_delay_alu instid0(SALU_CYCLE_1)
	s_or_b32 exec_lo, exec_lo, s15
.LBB216_1234:                           ;   in Loop: Header=BB216_15 Depth=1
	s_delay_alu instid0(SALU_CYCLE_1)
	s_or_b32 exec_lo, exec_lo, s14
	flat_load_b32 v0, v[84:85] offset:4616
	v_mov_b64_e32 v[2:3], 0
	s_mov_b32 s14, exec_lo
	scratch_store_b64 off, v[2:3], s32 offset:1468 ; 8-byte Folded Spill
	s_wait_xcnt 0x0
	v_mov_b64_e32 v[2:3], 0
	scratch_store_b64 off, v[2:3], s32 offset:1476 ; 8-byte Folded Spill
	s_wait_loadcnt_dscnt 0x0
	v_and_b32_e32 v1, 0xff, v0
	s_wait_xcnt 0x0
	s_delay_alu instid0(VALU_DEP_1)
	v_cmpx_ne_u16_e32 0, v1
	s_cbranch_execz .LBB216_1242
; %bb.1235:                             ;   in Loop: Header=BB216_15 Depth=1
	v_mov_b64_e32 v[2:3], 0x80000000
	s_mov_b32 s15, exec_lo
	scratch_store_b64 off, v[2:3], s32 offset:1476 ; 8-byte Folded Spill
	s_wait_xcnt 0x0
	v_cmpx_ne_u16_e32 0x80, v1
	s_cbranch_execz .LBB216_1241
; %bb.1236:                             ;   in Loop: Header=BB216_15 Depth=1
	v_mov_b64_e32 v[4:5], 0x7f800001
	v_and_b32_e32 v2, 0x7f, v0
	s_mov_b32 s16, exec_lo
	scratch_store_b64 off, v[4:5], s32 offset:1476 ; 8-byte Folded Spill
	s_wait_xcnt 0x0
	v_cmpx_ne_u32_e32 0x7f, v2
	s_cbranch_execz .LBB216_1240
; %bb.1237:                             ;   in Loop: Header=BB216_15 Depth=1
	scratch_load_b64 v[4:5], off, s32 offset:192 th:TH_LOAD_LU ; 8-byte Folded Reload
	s_wait_loadcnt 0x0
	v_dual_lshrrev_b32 v1, 3, v2 :: v_dual_bitop2_b32 v4, 7, v0 bitop3:0x40
	s_mov_b32 s17, exec_lo
	s_wait_xcnt 0x0
	v_cmpx_gt_u32_e32 8, v2
; %bb.1238:                             ;   in Loop: Header=BB216_15 Depth=1
	s_delay_alu instid0(VALU_DEP_2) | instskip(NEXT) | instid1(VALU_DEP_1)
	v_clz_i32_u32_e32 v1, v4
	v_min_u32_e32 v1, 32, v1
	s_delay_alu instid0(VALU_DEP_1) | instskip(NEXT) | instid1(VALU_DEP_1)
	v_subrev_nc_u32_e32 v2, 28, v1
	v_lshlrev_b64_e32 v[2:3], v2, v[4:5]
	s_delay_alu instid0(VALU_DEP_1)
	v_dual_sub_nc_u32 v1, 29, v1 :: v_dual_bitop2_b32 v4, 7, v2 bitop3:0x40
; %bb.1239:                             ;   in Loop: Header=BB216_15 Depth=1
	s_or_b32 exec_lo, exec_lo, s17
	v_lshlrev_b32_e32 v2, 24, v0
	s_delay_alu instid0(VALU_DEP_2) | instskip(NEXT) | instid1(VALU_DEP_3)
	v_lshlrev_b32_e32 v3, 20, v4
	v_lshl_add_u32 v1, v1, 23, 0x3c000000
	s_delay_alu instid0(VALU_DEP_3) | instskip(NEXT) | instid1(VALU_DEP_1)
	v_and_b32_e32 v2, 0x80000000, v2
	v_or3_b32 v4, v3, v2, v1
	v_mov_b32_e32 v1, v5
	s_clause 0x1
	scratch_store_b64 off, v[0:1], s32 offset:192
	scratch_store_b64 off, v[4:5], s32 offset:1476
.LBB216_1240:                           ;   in Loop: Header=BB216_15 Depth=1
	s_wait_xcnt 0x0
	s_or_b32 exec_lo, exec_lo, s16
.LBB216_1241:                           ;   in Loop: Header=BB216_15 Depth=1
	s_delay_alu instid0(SALU_CYCLE_1)
	s_or_b32 exec_lo, exec_lo, s15
.LBB216_1242:                           ;   in Loop: Header=BB216_15 Depth=1
	s_delay_alu instid0(SALU_CYCLE_1) | instskip(SKIP_2) | instid1(VALU_DEP_1)
	s_or_b32 exec_lo, exec_lo, s14
	v_lshrrev_b16 v1, 8, v0
	s_mov_b32 s14, exec_lo
	v_cmpx_ne_u16_e32 0, v1
	s_cbranch_execz .LBB216_1250
; %bb.1243:                             ;   in Loop: Header=BB216_15 Depth=1
	v_mov_b64_e32 v[2:3], 0x8000000000000000
	s_mov_b32 s15, exec_lo
	scratch_store_b64 off, v[2:3], s32 offset:1468 ; 8-byte Folded Spill
	s_wait_xcnt 0x0
	v_cmpx_ne_u16_e32 0x80, v1
	s_cbranch_execz .LBB216_1249
; %bb.1244:                             ;   in Loop: Header=BB216_15 Depth=1
	v_and_b32_e32 v1, 0xffff, v1
	v_mov_b64_e32 v[4:5], 0x7f80000100000000
	s_mov_b32 s16, exec_lo
	s_delay_alu instid0(VALU_DEP_2)
	v_and_b32_e32 v2, 0x7f, v1
	scratch_store_b64 off, v[4:5], s32 offset:1468 ; 8-byte Folded Spill
	s_wait_xcnt 0x0
	v_cmpx_ne_u32_e32 0x7f, v2
	s_cbranch_execz .LBB216_1248
; %bb.1245:                             ;   in Loop: Header=BB216_15 Depth=1
	scratch_load_b64 v[4:5], off, s32 offset:192 th:TH_LOAD_LU ; 8-byte Folded Reload
	s_wait_loadcnt 0x0
	v_dual_lshrrev_b32 v1, 3, v2 :: v_dual_bitop2_b32 v4, 7, v1 bitop3:0x40
	s_mov_b32 s17, exec_lo
	s_wait_xcnt 0x0
	v_cmpx_gt_u32_e32 8, v2
; %bb.1246:                             ;   in Loop: Header=BB216_15 Depth=1
	s_delay_alu instid0(VALU_DEP_2) | instskip(NEXT) | instid1(VALU_DEP_1)
	v_clz_i32_u32_e32 v1, v4
	v_min_u32_e32 v1, 32, v1
	s_delay_alu instid0(VALU_DEP_1) | instskip(NEXT) | instid1(VALU_DEP_1)
	v_subrev_nc_u32_e32 v2, 28, v1
	v_lshlrev_b64_e32 v[2:3], v2, v[4:5]
	s_delay_alu instid0(VALU_DEP_1)
	v_dual_sub_nc_u32 v1, 29, v1 :: v_dual_bitop2_b32 v4, 7, v2 bitop3:0x40
; %bb.1247:                             ;   in Loop: Header=BB216_15 Depth=1
	s_or_b32 exec_lo, exec_lo, s17
	v_lshlrev_b32_e32 v2, 16, v0
	s_delay_alu instid0(VALU_DEP_2) | instskip(NEXT) | instid1(VALU_DEP_3)
	v_lshlrev_b32_e32 v3, 20, v4
	v_lshl_add_u32 v1, v1, 23, 0x3c000000
	s_delay_alu instid0(VALU_DEP_3) | instskip(NEXT) | instid1(VALU_DEP_1)
	v_and_b32_e32 v2, 0x80000000, v2
	v_or3_b32 v3, v3, v2, v1
	v_dual_mov_b32 v1, v5 :: v_dual_mov_b32 v2, v5
	s_clause 0x1
	scratch_store_b64 off, v[0:1], s32 offset:192
	scratch_store_b64 off, v[2:3], s32 offset:1468
.LBB216_1248:                           ;   in Loop: Header=BB216_15 Depth=1
	s_wait_xcnt 0x0
	s_or_b32 exec_lo, exec_lo, s16
.LBB216_1249:                           ;   in Loop: Header=BB216_15 Depth=1
	s_delay_alu instid0(SALU_CYCLE_1)
	s_or_b32 exec_lo, exec_lo, s15
.LBB216_1250:                           ;   in Loop: Header=BB216_15 Depth=1
	s_delay_alu instid0(SALU_CYCLE_1) | instskip(SKIP_3) | instid1(VALU_DEP_1)
	s_or_b32 exec_lo, exec_lo, s14
	v_mov_b64_e32 v[4:5], 0
	v_lshrrev_b32_e32 v1, 16, v0
	s_mov_b32 s14, exec_lo
	v_and_b32_e32 v2, 0xff, v1
	scratch_store_b64 off, v[4:5], s32 offset:1484 ; 8-byte Folded Spill
	s_wait_xcnt 0x0
	v_mov_b64_e32 v[4:5], 0
	scratch_store_b64 off, v[4:5], s32 offset:1492 ; 8-byte Folded Spill
	s_wait_xcnt 0x0
	v_cmpx_ne_u16_e32 0, v2
	s_cbranch_execz .LBB216_1258
; %bb.1251:                             ;   in Loop: Header=BB216_15 Depth=1
	v_cmp_ne_u16_e64 s1, 0x80, v2
	v_mov_b64_e32 v[2:3], 0x80000000
	scratch_store_b64 off, v[2:3], s32 offset:1492 ; 8-byte Folded Spill
	s_wait_xcnt 0x0
	s_and_saveexec_b32 s15, s1
	s_cbranch_execz .LBB216_1257
; %bb.1252:                             ;   in Loop: Header=BB216_15 Depth=1
	v_mov_b64_e32 v[4:5], 0x7f800001
	v_bfe_u32 v3, v0, 16, 7
	s_mov_b32 s16, exec_lo
	scratch_store_b64 off, v[4:5], s32 offset:1492 ; 8-byte Folded Spill
	s_wait_xcnt 0x0
	v_cmpx_ne_u32_e32 0x7f, v3
	s_cbranch_execz .LBB216_1256
; %bb.1253:                             ;   in Loop: Header=BB216_15 Depth=1
	scratch_load_b64 v[6:7], off, s32 offset:192 th:TH_LOAD_LU ; 8-byte Folded Reload
	s_wait_loadcnt 0x0
	v_dual_lshrrev_b32 v2, 3, v3 :: v_dual_bitop2_b32 v6, 7, v1 bitop3:0x40
	s_mov_b32 s17, exec_lo
	s_wait_xcnt 0x0
	v_cmpx_gt_u32_e32 8, v3
; %bb.1254:                             ;   in Loop: Header=BB216_15 Depth=1
	s_delay_alu instid0(VALU_DEP_2) | instskip(NEXT) | instid1(VALU_DEP_1)
	v_clz_i32_u32_e32 v2, v6
	v_min_u32_e32 v2, 32, v2
	s_delay_alu instid0(VALU_DEP_1) | instskip(NEXT) | instid1(VALU_DEP_1)
	v_subrev_nc_u32_e32 v3, 28, v2
	v_lshlrev_b64_e32 v[4:5], v3, v[6:7]
	s_delay_alu instid0(VALU_DEP_1)
	v_dual_sub_nc_u32 v2, 29, v2 :: v_dual_bitop2_b32 v6, 7, v4 bitop3:0x40
; %bb.1255:                             ;   in Loop: Header=BB216_15 Depth=1
	s_or_b32 exec_lo, exec_lo, s17
	s_delay_alu instid0(VALU_DEP_1) | instskip(NEXT) | instid1(VALU_DEP_2)
	v_dual_lshlrev_b32 v1, 24, v1 :: v_dual_lshlrev_b32 v3, 20, v6
	v_lshl_add_u32 v2, v2, 23, 0x3c000000
	s_delay_alu instid0(VALU_DEP_2) | instskip(NEXT) | instid1(VALU_DEP_1)
	v_and_b32_e32 v1, 0x80000000, v1
	v_or3_b32 v6, v3, v1, v2
	v_mov_b32_e32 v1, v7
	s_clause 0x1
	scratch_store_b64 off, v[0:1], s32 offset:192
	scratch_store_b64 off, v[6:7], s32 offset:1492
.LBB216_1256:                           ;   in Loop: Header=BB216_15 Depth=1
	s_wait_xcnt 0x0
	s_or_b32 exec_lo, exec_lo, s16
.LBB216_1257:                           ;   in Loop: Header=BB216_15 Depth=1
	s_delay_alu instid0(SALU_CYCLE_1)
	s_or_b32 exec_lo, exec_lo, s15
.LBB216_1258:                           ;   in Loop: Header=BB216_15 Depth=1
	s_delay_alu instid0(SALU_CYCLE_1) | instskip(NEXT) | instid1(SALU_CYCLE_1)
	s_or_b32 exec_lo, exec_lo, s14
	s_mov_b32 s14, exec_lo
	v_cmpx_lt_u32_e32 0xffffff, v0
	s_cbranch_execz .LBB216_1266
; %bb.1259:                             ;   in Loop: Header=BB216_15 Depth=1
	v_mov_b64_e32 v[2:3], 0x8000000000000000
	v_lshrrev_b32_e32 v1, 24, v0
	s_mov_b32 s15, exec_lo
	scratch_store_b64 off, v[2:3], s32 offset:1484 ; 8-byte Folded Spill
	s_wait_xcnt 0x0
	v_cmpx_ne_u32_e32 0x80, v1
	s_cbranch_execz .LBB216_1265
; %bb.1260:                             ;   in Loop: Header=BB216_15 Depth=1
	v_mov_b64_e32 v[4:5], 0x7f80000100000000
	v_bfe_u32 v2, v0, 24, 7
	s_mov_b32 s16, exec_lo
	scratch_store_b64 off, v[4:5], s32 offset:1484 ; 8-byte Folded Spill
	s_wait_xcnt 0x0
	v_cmpx_ne_u32_e32 0x7f, v2
	s_cbranch_execz .LBB216_1264
; %bb.1261:                             ;   in Loop: Header=BB216_15 Depth=1
	scratch_load_b64 v[4:5], off, s32 offset:192 th:TH_LOAD_LU ; 8-byte Folded Reload
	s_wait_loadcnt 0x0
	v_dual_lshrrev_b32 v0, 3, v2 :: v_dual_bitop2_b32 v4, 7, v1 bitop3:0x40
	s_mov_b32 s17, exec_lo
	s_wait_xcnt 0x0
	v_cmpx_gt_u32_e32 8, v2
; %bb.1262:                             ;   in Loop: Header=BB216_15 Depth=1
	s_delay_alu instid0(VALU_DEP_2) | instskip(NEXT) | instid1(VALU_DEP_1)
	v_clz_i32_u32_e32 v0, v4
	v_min_u32_e32 v0, 32, v0
	s_delay_alu instid0(VALU_DEP_1) | instskip(NEXT) | instid1(VALU_DEP_1)
	v_subrev_nc_u32_e32 v2, 28, v0
	v_lshlrev_b64_e32 v[2:3], v2, v[4:5]
	s_delay_alu instid0(VALU_DEP_1)
	v_dual_sub_nc_u32 v0, 29, v0 :: v_dual_bitop2_b32 v4, 7, v2 bitop3:0x40
; %bb.1263:                             ;   in Loop: Header=BB216_15 Depth=1
	s_or_b32 exec_lo, exec_lo, s17
	s_delay_alu instid0(VALU_DEP_1) | instskip(NEXT) | instid1(VALU_DEP_2)
	v_dual_lshlrev_b32 v1, 24, v1 :: v_dual_lshlrev_b32 v2, 20, v4
	v_lshl_add_u32 v0, v0, 23, 0x3c000000
	s_delay_alu instid0(VALU_DEP_2) | instskip(NEXT) | instid1(VALU_DEP_1)
	v_and_b32_e32 v1, 0x80000000, v1
	v_or3_b32 v3, v2, v1, v0
	v_dual_mov_b32 v1, v5 :: v_dual_mov_b32 v2, v5
	s_clause 0x1
	scratch_store_b64 off, v[0:1], s32 offset:192
	scratch_store_b64 off, v[2:3], s32 offset:1484
.LBB216_1264:                           ;   in Loop: Header=BB216_15 Depth=1
	s_wait_xcnt 0x0
	s_or_b32 exec_lo, exec_lo, s16
.LBB216_1265:                           ;   in Loop: Header=BB216_15 Depth=1
	s_delay_alu instid0(SALU_CYCLE_1)
	s_or_b32 exec_lo, exec_lo, s15
.LBB216_1266:                           ;   in Loop: Header=BB216_15 Depth=1
	s_delay_alu instid0(SALU_CYCLE_1)
	s_or_b32 exec_lo, exec_lo, s14
	flat_load_b32 v0, v[84:85] offset:4620
	v_mov_b64_e32 v[2:3], 0
	s_mov_b32 s14, exec_lo
	scratch_store_b64 off, v[2:3], s32 offset:1500 ; 8-byte Folded Spill
	s_wait_xcnt 0x0
	v_mov_b64_e32 v[2:3], 0
	scratch_store_b64 off, v[2:3], s32 offset:1508 ; 8-byte Folded Spill
	s_wait_loadcnt_dscnt 0x0
	v_and_b32_e32 v1, 0xff, v0
	s_wait_xcnt 0x0
	s_delay_alu instid0(VALU_DEP_1)
	v_cmpx_ne_u16_e32 0, v1
	s_cbranch_execz .LBB216_1274
; %bb.1267:                             ;   in Loop: Header=BB216_15 Depth=1
	v_mov_b64_e32 v[2:3], 0x80000000
	s_mov_b32 s15, exec_lo
	scratch_store_b64 off, v[2:3], s32 offset:1508 ; 8-byte Folded Spill
	s_wait_xcnt 0x0
	v_cmpx_ne_u16_e32 0x80, v1
	s_cbranch_execz .LBB216_1273
; %bb.1268:                             ;   in Loop: Header=BB216_15 Depth=1
	v_mov_b64_e32 v[4:5], 0x7f800001
	v_and_b32_e32 v2, 0x7f, v0
	s_mov_b32 s16, exec_lo
	scratch_store_b64 off, v[4:5], s32 offset:1508 ; 8-byte Folded Spill
	s_wait_xcnt 0x0
	v_cmpx_ne_u32_e32 0x7f, v2
	s_cbranch_execz .LBB216_1272
; %bb.1269:                             ;   in Loop: Header=BB216_15 Depth=1
	scratch_load_b64 v[4:5], off, s32 offset:192 th:TH_LOAD_LU ; 8-byte Folded Reload
	s_wait_loadcnt 0x0
	v_dual_lshrrev_b32 v1, 3, v2 :: v_dual_bitop2_b32 v4, 7, v0 bitop3:0x40
	s_mov_b32 s17, exec_lo
	s_wait_xcnt 0x0
	v_cmpx_gt_u32_e32 8, v2
; %bb.1270:                             ;   in Loop: Header=BB216_15 Depth=1
	s_delay_alu instid0(VALU_DEP_2) | instskip(NEXT) | instid1(VALU_DEP_1)
	v_clz_i32_u32_e32 v1, v4
	v_min_u32_e32 v1, 32, v1
	s_delay_alu instid0(VALU_DEP_1) | instskip(NEXT) | instid1(VALU_DEP_1)
	v_subrev_nc_u32_e32 v2, 28, v1
	v_lshlrev_b64_e32 v[2:3], v2, v[4:5]
	s_delay_alu instid0(VALU_DEP_1)
	v_dual_sub_nc_u32 v1, 29, v1 :: v_dual_bitop2_b32 v4, 7, v2 bitop3:0x40
; %bb.1271:                             ;   in Loop: Header=BB216_15 Depth=1
	s_or_b32 exec_lo, exec_lo, s17
	v_lshlrev_b32_e32 v2, 24, v0
	s_delay_alu instid0(VALU_DEP_2) | instskip(NEXT) | instid1(VALU_DEP_3)
	v_lshlrev_b32_e32 v3, 20, v4
	v_lshl_add_u32 v1, v1, 23, 0x3c000000
	s_delay_alu instid0(VALU_DEP_3) | instskip(NEXT) | instid1(VALU_DEP_1)
	v_and_b32_e32 v2, 0x80000000, v2
	v_or3_b32 v4, v3, v2, v1
	v_mov_b32_e32 v1, v5
	s_clause 0x1
	scratch_store_b64 off, v[0:1], s32 offset:192
	scratch_store_b64 off, v[4:5], s32 offset:1508
.LBB216_1272:                           ;   in Loop: Header=BB216_15 Depth=1
	s_wait_xcnt 0x0
	s_or_b32 exec_lo, exec_lo, s16
.LBB216_1273:                           ;   in Loop: Header=BB216_15 Depth=1
	s_delay_alu instid0(SALU_CYCLE_1)
	s_or_b32 exec_lo, exec_lo, s15
.LBB216_1274:                           ;   in Loop: Header=BB216_15 Depth=1
	s_delay_alu instid0(SALU_CYCLE_1) | instskip(SKIP_2) | instid1(VALU_DEP_1)
	s_or_b32 exec_lo, exec_lo, s14
	v_lshrrev_b16 v1, 8, v0
	s_mov_b32 s14, exec_lo
	v_cmpx_ne_u16_e32 0, v1
	s_cbranch_execz .LBB216_1282
; %bb.1275:                             ;   in Loop: Header=BB216_15 Depth=1
	v_mov_b64_e32 v[2:3], 0x8000000000000000
	s_mov_b32 s15, exec_lo
	scratch_store_b64 off, v[2:3], s32 offset:1500 ; 8-byte Folded Spill
	s_wait_xcnt 0x0
	v_cmpx_ne_u16_e32 0x80, v1
	s_cbranch_execz .LBB216_1281
; %bb.1276:                             ;   in Loop: Header=BB216_15 Depth=1
	v_and_b32_e32 v1, 0xffff, v1
	v_mov_b64_e32 v[4:5], 0x7f80000100000000
	s_mov_b32 s16, exec_lo
	s_delay_alu instid0(VALU_DEP_2)
	v_and_b32_e32 v2, 0x7f, v1
	scratch_store_b64 off, v[4:5], s32 offset:1500 ; 8-byte Folded Spill
	s_wait_xcnt 0x0
	v_cmpx_ne_u32_e32 0x7f, v2
	s_cbranch_execz .LBB216_1280
; %bb.1277:                             ;   in Loop: Header=BB216_15 Depth=1
	scratch_load_b64 v[4:5], off, s32 offset:192 th:TH_LOAD_LU ; 8-byte Folded Reload
	s_wait_loadcnt 0x0
	v_dual_lshrrev_b32 v1, 3, v2 :: v_dual_bitop2_b32 v4, 7, v1 bitop3:0x40
	s_mov_b32 s17, exec_lo
	s_wait_xcnt 0x0
	v_cmpx_gt_u32_e32 8, v2
; %bb.1278:                             ;   in Loop: Header=BB216_15 Depth=1
	s_delay_alu instid0(VALU_DEP_2) | instskip(NEXT) | instid1(VALU_DEP_1)
	v_clz_i32_u32_e32 v1, v4
	v_min_u32_e32 v1, 32, v1
	s_delay_alu instid0(VALU_DEP_1) | instskip(NEXT) | instid1(VALU_DEP_1)
	v_subrev_nc_u32_e32 v2, 28, v1
	v_lshlrev_b64_e32 v[2:3], v2, v[4:5]
	s_delay_alu instid0(VALU_DEP_1)
	v_dual_sub_nc_u32 v1, 29, v1 :: v_dual_bitop2_b32 v4, 7, v2 bitop3:0x40
; %bb.1279:                             ;   in Loop: Header=BB216_15 Depth=1
	s_or_b32 exec_lo, exec_lo, s17
	v_lshlrev_b32_e32 v2, 16, v0
	s_delay_alu instid0(VALU_DEP_2) | instskip(NEXT) | instid1(VALU_DEP_3)
	v_lshlrev_b32_e32 v3, 20, v4
	v_lshl_add_u32 v1, v1, 23, 0x3c000000
	s_delay_alu instid0(VALU_DEP_3) | instskip(NEXT) | instid1(VALU_DEP_1)
	v_and_b32_e32 v2, 0x80000000, v2
	v_or3_b32 v3, v3, v2, v1
	v_dual_mov_b32 v1, v5 :: v_dual_mov_b32 v2, v5
	s_clause 0x1
	scratch_store_b64 off, v[0:1], s32 offset:192
	scratch_store_b64 off, v[2:3], s32 offset:1500
.LBB216_1280:                           ;   in Loop: Header=BB216_15 Depth=1
	s_wait_xcnt 0x0
	s_or_b32 exec_lo, exec_lo, s16
.LBB216_1281:                           ;   in Loop: Header=BB216_15 Depth=1
	s_delay_alu instid0(SALU_CYCLE_1)
	s_or_b32 exec_lo, exec_lo, s15
.LBB216_1282:                           ;   in Loop: Header=BB216_15 Depth=1
	s_delay_alu instid0(SALU_CYCLE_1) | instskip(SKIP_3) | instid1(VALU_DEP_1)
	s_or_b32 exec_lo, exec_lo, s14
	v_mov_b64_e32 v[4:5], 0
	v_lshrrev_b32_e32 v1, 16, v0
	s_mov_b32 s14, exec_lo
	v_and_b32_e32 v2, 0xff, v1
	scratch_store_b64 off, v[4:5], s32 offset:1516 ; 8-byte Folded Spill
	s_wait_xcnt 0x0
	v_mov_b64_e32 v[4:5], 0
	scratch_store_b64 off, v[4:5], s32 offset:1524 ; 8-byte Folded Spill
	s_wait_xcnt 0x0
	v_cmpx_ne_u16_e32 0, v2
	s_cbranch_execz .LBB216_1290
; %bb.1283:                             ;   in Loop: Header=BB216_15 Depth=1
	v_cmp_ne_u16_e64 s1, 0x80, v2
	v_mov_b64_e32 v[2:3], 0x80000000
	scratch_store_b64 off, v[2:3], s32 offset:1524 ; 8-byte Folded Spill
	s_wait_xcnt 0x0
	s_and_saveexec_b32 s15, s1
	s_cbranch_execz .LBB216_1289
; %bb.1284:                             ;   in Loop: Header=BB216_15 Depth=1
	v_mov_b64_e32 v[4:5], 0x7f800001
	v_bfe_u32 v3, v0, 16, 7
	s_mov_b32 s16, exec_lo
	scratch_store_b64 off, v[4:5], s32 offset:1524 ; 8-byte Folded Spill
	s_wait_xcnt 0x0
	v_cmpx_ne_u32_e32 0x7f, v3
	s_cbranch_execz .LBB216_1288
; %bb.1285:                             ;   in Loop: Header=BB216_15 Depth=1
	scratch_load_b64 v[6:7], off, s32 offset:192 th:TH_LOAD_LU ; 8-byte Folded Reload
	s_wait_loadcnt 0x0
	v_dual_lshrrev_b32 v2, 3, v3 :: v_dual_bitop2_b32 v6, 7, v1 bitop3:0x40
	s_mov_b32 s17, exec_lo
	s_wait_xcnt 0x0
	v_cmpx_gt_u32_e32 8, v3
; %bb.1286:                             ;   in Loop: Header=BB216_15 Depth=1
	s_delay_alu instid0(VALU_DEP_2) | instskip(NEXT) | instid1(VALU_DEP_1)
	v_clz_i32_u32_e32 v2, v6
	v_min_u32_e32 v2, 32, v2
	s_delay_alu instid0(VALU_DEP_1) | instskip(NEXT) | instid1(VALU_DEP_1)
	v_subrev_nc_u32_e32 v3, 28, v2
	v_lshlrev_b64_e32 v[4:5], v3, v[6:7]
	s_delay_alu instid0(VALU_DEP_1)
	v_dual_sub_nc_u32 v2, 29, v2 :: v_dual_bitop2_b32 v6, 7, v4 bitop3:0x40
; %bb.1287:                             ;   in Loop: Header=BB216_15 Depth=1
	s_or_b32 exec_lo, exec_lo, s17
	s_delay_alu instid0(VALU_DEP_1) | instskip(NEXT) | instid1(VALU_DEP_2)
	v_dual_lshlrev_b32 v1, 24, v1 :: v_dual_lshlrev_b32 v3, 20, v6
	v_lshl_add_u32 v2, v2, 23, 0x3c000000
	s_delay_alu instid0(VALU_DEP_2) | instskip(NEXT) | instid1(VALU_DEP_1)
	v_and_b32_e32 v1, 0x80000000, v1
	v_or3_b32 v6, v3, v1, v2
	v_mov_b32_e32 v1, v7
	s_clause 0x1
	scratch_store_b64 off, v[0:1], s32 offset:192
	scratch_store_b64 off, v[6:7], s32 offset:1524
.LBB216_1288:                           ;   in Loop: Header=BB216_15 Depth=1
	s_wait_xcnt 0x0
	s_or_b32 exec_lo, exec_lo, s16
.LBB216_1289:                           ;   in Loop: Header=BB216_15 Depth=1
	s_delay_alu instid0(SALU_CYCLE_1)
	s_or_b32 exec_lo, exec_lo, s15
.LBB216_1290:                           ;   in Loop: Header=BB216_15 Depth=1
	s_delay_alu instid0(SALU_CYCLE_1) | instskip(NEXT) | instid1(SALU_CYCLE_1)
	s_or_b32 exec_lo, exec_lo, s14
	s_mov_b32 s14, exec_lo
	v_cmpx_lt_u32_e32 0xffffff, v0
	s_cbranch_execz .LBB216_1298
; %bb.1291:                             ;   in Loop: Header=BB216_15 Depth=1
	v_mov_b64_e32 v[2:3], 0x8000000000000000
	v_lshrrev_b32_e32 v1, 24, v0
	s_mov_b32 s15, exec_lo
	scratch_store_b64 off, v[2:3], s32 offset:1516 ; 8-byte Folded Spill
	s_wait_xcnt 0x0
	v_cmpx_ne_u32_e32 0x80, v1
	s_cbranch_execz .LBB216_1297
; %bb.1292:                             ;   in Loop: Header=BB216_15 Depth=1
	v_mov_b64_e32 v[4:5], 0x7f80000100000000
	v_bfe_u32 v2, v0, 24, 7
	s_mov_b32 s16, exec_lo
	scratch_store_b64 off, v[4:5], s32 offset:1516 ; 8-byte Folded Spill
	s_wait_xcnt 0x0
	v_cmpx_ne_u32_e32 0x7f, v2
	s_cbranch_execz .LBB216_1296
; %bb.1293:                             ;   in Loop: Header=BB216_15 Depth=1
	scratch_load_b64 v[4:5], off, s32 offset:192 th:TH_LOAD_LU ; 8-byte Folded Reload
	s_wait_loadcnt 0x0
	v_dual_lshrrev_b32 v0, 3, v2 :: v_dual_bitop2_b32 v4, 7, v1 bitop3:0x40
	s_mov_b32 s17, exec_lo
	s_wait_xcnt 0x0
	v_cmpx_gt_u32_e32 8, v2
; %bb.1294:                             ;   in Loop: Header=BB216_15 Depth=1
	s_delay_alu instid0(VALU_DEP_2) | instskip(NEXT) | instid1(VALU_DEP_1)
	v_clz_i32_u32_e32 v0, v4
	v_min_u32_e32 v0, 32, v0
	s_delay_alu instid0(VALU_DEP_1) | instskip(NEXT) | instid1(VALU_DEP_1)
	v_subrev_nc_u32_e32 v2, 28, v0
	v_lshlrev_b64_e32 v[2:3], v2, v[4:5]
	s_delay_alu instid0(VALU_DEP_1)
	v_dual_sub_nc_u32 v0, 29, v0 :: v_dual_bitop2_b32 v4, 7, v2 bitop3:0x40
; %bb.1295:                             ;   in Loop: Header=BB216_15 Depth=1
	s_or_b32 exec_lo, exec_lo, s17
	s_delay_alu instid0(VALU_DEP_1) | instskip(NEXT) | instid1(VALU_DEP_2)
	v_dual_lshlrev_b32 v1, 24, v1 :: v_dual_lshlrev_b32 v2, 20, v4
	v_lshl_add_u32 v0, v0, 23, 0x3c000000
	s_delay_alu instid0(VALU_DEP_2) | instskip(NEXT) | instid1(VALU_DEP_1)
	v_and_b32_e32 v1, 0x80000000, v1
	v_or3_b32 v3, v2, v1, v0
	v_dual_mov_b32 v1, v5 :: v_dual_mov_b32 v2, v5
	s_clause 0x1
	scratch_store_b64 off, v[0:1], s32 offset:192
	scratch_store_b64 off, v[2:3], s32 offset:1516
.LBB216_1296:                           ;   in Loop: Header=BB216_15 Depth=1
	s_wait_xcnt 0x0
	s_or_b32 exec_lo, exec_lo, s16
.LBB216_1297:                           ;   in Loop: Header=BB216_15 Depth=1
	s_delay_alu instid0(SALU_CYCLE_1)
	s_or_b32 exec_lo, exec_lo, s15
.LBB216_1298:                           ;   in Loop: Header=BB216_15 Depth=1
	s_delay_alu instid0(SALU_CYCLE_1)
	s_or_b32 exec_lo, exec_lo, s14
	flat_load_b32 v0, v[84:85] offset:5120
	v_mov_b64_e32 v[2:3], 0
	s_mov_b32 s14, exec_lo
	scratch_store_b64 off, v[2:3], s32 offset:1532 ; 8-byte Folded Spill
	s_wait_xcnt 0x0
	v_mov_b64_e32 v[2:3], 0
	scratch_store_b64 off, v[2:3], s32 offset:1540 ; 8-byte Folded Spill
	s_wait_loadcnt_dscnt 0x0
	v_and_b32_e32 v1, 0xff, v0
	s_wait_xcnt 0x0
	s_delay_alu instid0(VALU_DEP_1)
	v_cmpx_ne_u16_e32 0, v1
	s_cbranch_execz .LBB216_1306
; %bb.1299:                             ;   in Loop: Header=BB216_15 Depth=1
	v_mov_b64_e32 v[2:3], 0x80000000
	s_mov_b32 s15, exec_lo
	scratch_store_b64 off, v[2:3], s32 offset:1540 ; 8-byte Folded Spill
	s_wait_xcnt 0x0
	v_cmpx_ne_u16_e32 0x80, v1
	s_cbranch_execz .LBB216_1305
; %bb.1300:                             ;   in Loop: Header=BB216_15 Depth=1
	v_mov_b64_e32 v[4:5], 0x7f800001
	v_and_b32_e32 v2, 0x7f, v0
	s_mov_b32 s16, exec_lo
	scratch_store_b64 off, v[4:5], s32 offset:1540 ; 8-byte Folded Spill
	s_wait_xcnt 0x0
	v_cmpx_ne_u32_e32 0x7f, v2
	s_cbranch_execz .LBB216_1304
; %bb.1301:                             ;   in Loop: Header=BB216_15 Depth=1
	scratch_load_b64 v[4:5], off, s32 offset:192 th:TH_LOAD_LU ; 8-byte Folded Reload
	s_wait_loadcnt 0x0
	v_dual_lshrrev_b32 v1, 3, v2 :: v_dual_bitop2_b32 v4, 7, v0 bitop3:0x40
	s_mov_b32 s17, exec_lo
	s_wait_xcnt 0x0
	v_cmpx_gt_u32_e32 8, v2
; %bb.1302:                             ;   in Loop: Header=BB216_15 Depth=1
	s_delay_alu instid0(VALU_DEP_2) | instskip(NEXT) | instid1(VALU_DEP_1)
	v_clz_i32_u32_e32 v1, v4
	v_min_u32_e32 v1, 32, v1
	s_delay_alu instid0(VALU_DEP_1) | instskip(NEXT) | instid1(VALU_DEP_1)
	v_subrev_nc_u32_e32 v2, 28, v1
	v_lshlrev_b64_e32 v[2:3], v2, v[4:5]
	s_delay_alu instid0(VALU_DEP_1)
	v_dual_sub_nc_u32 v1, 29, v1 :: v_dual_bitop2_b32 v4, 7, v2 bitop3:0x40
; %bb.1303:                             ;   in Loop: Header=BB216_15 Depth=1
	s_or_b32 exec_lo, exec_lo, s17
	v_lshlrev_b32_e32 v2, 24, v0
	s_delay_alu instid0(VALU_DEP_2) | instskip(NEXT) | instid1(VALU_DEP_3)
	v_lshlrev_b32_e32 v3, 20, v4
	v_lshl_add_u32 v1, v1, 23, 0x3c000000
	s_delay_alu instid0(VALU_DEP_3) | instskip(NEXT) | instid1(VALU_DEP_1)
	v_and_b32_e32 v2, 0x80000000, v2
	v_or3_b32 v4, v3, v2, v1
	v_mov_b32_e32 v1, v5
	s_clause 0x1
	scratch_store_b64 off, v[0:1], s32 offset:192
	scratch_store_b64 off, v[4:5], s32 offset:1540
.LBB216_1304:                           ;   in Loop: Header=BB216_15 Depth=1
	s_wait_xcnt 0x0
	s_or_b32 exec_lo, exec_lo, s16
.LBB216_1305:                           ;   in Loop: Header=BB216_15 Depth=1
	s_delay_alu instid0(SALU_CYCLE_1)
	s_or_b32 exec_lo, exec_lo, s15
.LBB216_1306:                           ;   in Loop: Header=BB216_15 Depth=1
	s_delay_alu instid0(SALU_CYCLE_1) | instskip(SKIP_2) | instid1(VALU_DEP_1)
	s_or_b32 exec_lo, exec_lo, s14
	v_lshrrev_b16 v1, 8, v0
	s_mov_b32 s14, exec_lo
	v_cmpx_ne_u16_e32 0, v1
	s_cbranch_execz .LBB216_1314
; %bb.1307:                             ;   in Loop: Header=BB216_15 Depth=1
	v_mov_b64_e32 v[2:3], 0x8000000000000000
	s_mov_b32 s15, exec_lo
	scratch_store_b64 off, v[2:3], s32 offset:1532 ; 8-byte Folded Spill
	s_wait_xcnt 0x0
	v_cmpx_ne_u16_e32 0x80, v1
	s_cbranch_execz .LBB216_1313
; %bb.1308:                             ;   in Loop: Header=BB216_15 Depth=1
	v_and_b32_e32 v1, 0xffff, v1
	v_mov_b64_e32 v[4:5], 0x7f80000100000000
	s_mov_b32 s16, exec_lo
	s_delay_alu instid0(VALU_DEP_2)
	v_and_b32_e32 v2, 0x7f, v1
	scratch_store_b64 off, v[4:5], s32 offset:1532 ; 8-byte Folded Spill
	s_wait_xcnt 0x0
	v_cmpx_ne_u32_e32 0x7f, v2
	s_cbranch_execz .LBB216_1312
; %bb.1309:                             ;   in Loop: Header=BB216_15 Depth=1
	scratch_load_b64 v[4:5], off, s32 offset:192 th:TH_LOAD_LU ; 8-byte Folded Reload
	s_wait_loadcnt 0x0
	v_dual_lshrrev_b32 v1, 3, v2 :: v_dual_bitop2_b32 v4, 7, v1 bitop3:0x40
	s_mov_b32 s17, exec_lo
	s_wait_xcnt 0x0
	v_cmpx_gt_u32_e32 8, v2
; %bb.1310:                             ;   in Loop: Header=BB216_15 Depth=1
	s_delay_alu instid0(VALU_DEP_2) | instskip(NEXT) | instid1(VALU_DEP_1)
	v_clz_i32_u32_e32 v1, v4
	v_min_u32_e32 v1, 32, v1
	s_delay_alu instid0(VALU_DEP_1) | instskip(NEXT) | instid1(VALU_DEP_1)
	v_subrev_nc_u32_e32 v2, 28, v1
	v_lshlrev_b64_e32 v[2:3], v2, v[4:5]
	s_delay_alu instid0(VALU_DEP_1)
	v_dual_sub_nc_u32 v1, 29, v1 :: v_dual_bitop2_b32 v4, 7, v2 bitop3:0x40
; %bb.1311:                             ;   in Loop: Header=BB216_15 Depth=1
	s_or_b32 exec_lo, exec_lo, s17
	v_lshlrev_b32_e32 v2, 16, v0
	s_delay_alu instid0(VALU_DEP_2) | instskip(NEXT) | instid1(VALU_DEP_3)
	v_lshlrev_b32_e32 v3, 20, v4
	v_lshl_add_u32 v1, v1, 23, 0x3c000000
	s_delay_alu instid0(VALU_DEP_3) | instskip(NEXT) | instid1(VALU_DEP_1)
	v_and_b32_e32 v2, 0x80000000, v2
	v_or3_b32 v3, v3, v2, v1
	v_dual_mov_b32 v1, v5 :: v_dual_mov_b32 v2, v5
	s_clause 0x1
	scratch_store_b64 off, v[0:1], s32 offset:192
	scratch_store_b64 off, v[2:3], s32 offset:1532
.LBB216_1312:                           ;   in Loop: Header=BB216_15 Depth=1
	s_wait_xcnt 0x0
	s_or_b32 exec_lo, exec_lo, s16
.LBB216_1313:                           ;   in Loop: Header=BB216_15 Depth=1
	s_delay_alu instid0(SALU_CYCLE_1)
	s_or_b32 exec_lo, exec_lo, s15
.LBB216_1314:                           ;   in Loop: Header=BB216_15 Depth=1
	s_delay_alu instid0(SALU_CYCLE_1) | instskip(SKIP_3) | instid1(VALU_DEP_1)
	s_or_b32 exec_lo, exec_lo, s14
	v_mov_b64_e32 v[4:5], 0
	v_lshrrev_b32_e32 v1, 16, v0
	s_mov_b32 s14, exec_lo
	v_and_b32_e32 v2, 0xff, v1
	scratch_store_b64 off, v[4:5], s32 offset:1548 ; 8-byte Folded Spill
	s_wait_xcnt 0x0
	v_mov_b64_e32 v[4:5], 0
	scratch_store_b64 off, v[4:5], s32 offset:1556 ; 8-byte Folded Spill
	s_wait_xcnt 0x0
	v_cmpx_ne_u16_e32 0, v2
	s_cbranch_execz .LBB216_1322
; %bb.1315:                             ;   in Loop: Header=BB216_15 Depth=1
	v_cmp_ne_u16_e64 s1, 0x80, v2
	v_mov_b64_e32 v[2:3], 0x80000000
	scratch_store_b64 off, v[2:3], s32 offset:1556 ; 8-byte Folded Spill
	s_wait_xcnt 0x0
	s_and_saveexec_b32 s15, s1
	s_cbranch_execz .LBB216_1321
; %bb.1316:                             ;   in Loop: Header=BB216_15 Depth=1
	v_mov_b64_e32 v[4:5], 0x7f800001
	v_bfe_u32 v3, v0, 16, 7
	s_mov_b32 s16, exec_lo
	scratch_store_b64 off, v[4:5], s32 offset:1556 ; 8-byte Folded Spill
	s_wait_xcnt 0x0
	v_cmpx_ne_u32_e32 0x7f, v3
	s_cbranch_execz .LBB216_1320
; %bb.1317:                             ;   in Loop: Header=BB216_15 Depth=1
	scratch_load_b64 v[6:7], off, s32 offset:192 th:TH_LOAD_LU ; 8-byte Folded Reload
	s_wait_loadcnt 0x0
	v_dual_lshrrev_b32 v2, 3, v3 :: v_dual_bitop2_b32 v6, 7, v1 bitop3:0x40
	s_mov_b32 s17, exec_lo
	s_wait_xcnt 0x0
	v_cmpx_gt_u32_e32 8, v3
; %bb.1318:                             ;   in Loop: Header=BB216_15 Depth=1
	s_delay_alu instid0(VALU_DEP_2) | instskip(NEXT) | instid1(VALU_DEP_1)
	v_clz_i32_u32_e32 v2, v6
	v_min_u32_e32 v2, 32, v2
	s_delay_alu instid0(VALU_DEP_1) | instskip(NEXT) | instid1(VALU_DEP_1)
	v_subrev_nc_u32_e32 v3, 28, v2
	v_lshlrev_b64_e32 v[4:5], v3, v[6:7]
	s_delay_alu instid0(VALU_DEP_1)
	v_dual_sub_nc_u32 v2, 29, v2 :: v_dual_bitop2_b32 v6, 7, v4 bitop3:0x40
; %bb.1319:                             ;   in Loop: Header=BB216_15 Depth=1
	s_or_b32 exec_lo, exec_lo, s17
	s_delay_alu instid0(VALU_DEP_1) | instskip(NEXT) | instid1(VALU_DEP_2)
	v_dual_lshlrev_b32 v1, 24, v1 :: v_dual_lshlrev_b32 v3, 20, v6
	v_lshl_add_u32 v2, v2, 23, 0x3c000000
	s_delay_alu instid0(VALU_DEP_2) | instskip(NEXT) | instid1(VALU_DEP_1)
	v_and_b32_e32 v1, 0x80000000, v1
	v_or3_b32 v6, v3, v1, v2
	v_mov_b32_e32 v1, v7
	s_clause 0x1
	scratch_store_b64 off, v[0:1], s32 offset:192
	scratch_store_b64 off, v[6:7], s32 offset:1556
.LBB216_1320:                           ;   in Loop: Header=BB216_15 Depth=1
	s_wait_xcnt 0x0
	s_or_b32 exec_lo, exec_lo, s16
.LBB216_1321:                           ;   in Loop: Header=BB216_15 Depth=1
	s_delay_alu instid0(SALU_CYCLE_1)
	s_or_b32 exec_lo, exec_lo, s15
.LBB216_1322:                           ;   in Loop: Header=BB216_15 Depth=1
	s_delay_alu instid0(SALU_CYCLE_1) | instskip(NEXT) | instid1(SALU_CYCLE_1)
	s_or_b32 exec_lo, exec_lo, s14
	s_mov_b32 s14, exec_lo
	v_cmpx_lt_u32_e32 0xffffff, v0
	s_cbranch_execz .LBB216_1330
; %bb.1323:                             ;   in Loop: Header=BB216_15 Depth=1
	v_mov_b64_e32 v[2:3], 0x8000000000000000
	v_lshrrev_b32_e32 v1, 24, v0
	s_mov_b32 s15, exec_lo
	scratch_store_b64 off, v[2:3], s32 offset:1548 ; 8-byte Folded Spill
	s_wait_xcnt 0x0
	v_cmpx_ne_u32_e32 0x80, v1
	s_cbranch_execz .LBB216_1329
; %bb.1324:                             ;   in Loop: Header=BB216_15 Depth=1
	v_mov_b64_e32 v[4:5], 0x7f80000100000000
	v_bfe_u32 v2, v0, 24, 7
	s_mov_b32 s16, exec_lo
	scratch_store_b64 off, v[4:5], s32 offset:1548 ; 8-byte Folded Spill
	s_wait_xcnt 0x0
	v_cmpx_ne_u32_e32 0x7f, v2
	s_cbranch_execz .LBB216_1328
; %bb.1325:                             ;   in Loop: Header=BB216_15 Depth=1
	scratch_load_b64 v[4:5], off, s32 offset:192 th:TH_LOAD_LU ; 8-byte Folded Reload
	s_wait_loadcnt 0x0
	v_dual_lshrrev_b32 v0, 3, v2 :: v_dual_bitop2_b32 v4, 7, v1 bitop3:0x40
	s_mov_b32 s17, exec_lo
	s_wait_xcnt 0x0
	v_cmpx_gt_u32_e32 8, v2
; %bb.1326:                             ;   in Loop: Header=BB216_15 Depth=1
	s_delay_alu instid0(VALU_DEP_2) | instskip(NEXT) | instid1(VALU_DEP_1)
	v_clz_i32_u32_e32 v0, v4
	v_min_u32_e32 v0, 32, v0
	s_delay_alu instid0(VALU_DEP_1) | instskip(NEXT) | instid1(VALU_DEP_1)
	v_subrev_nc_u32_e32 v2, 28, v0
	v_lshlrev_b64_e32 v[2:3], v2, v[4:5]
	s_delay_alu instid0(VALU_DEP_1)
	v_dual_sub_nc_u32 v0, 29, v0 :: v_dual_bitop2_b32 v4, 7, v2 bitop3:0x40
; %bb.1327:                             ;   in Loop: Header=BB216_15 Depth=1
	s_or_b32 exec_lo, exec_lo, s17
	s_delay_alu instid0(VALU_DEP_1) | instskip(NEXT) | instid1(VALU_DEP_2)
	v_dual_lshlrev_b32 v1, 24, v1 :: v_dual_lshlrev_b32 v2, 20, v4
	v_lshl_add_u32 v0, v0, 23, 0x3c000000
	s_delay_alu instid0(VALU_DEP_2) | instskip(NEXT) | instid1(VALU_DEP_1)
	v_and_b32_e32 v1, 0x80000000, v1
	v_or3_b32 v3, v2, v1, v0
	v_dual_mov_b32 v1, v5 :: v_dual_mov_b32 v2, v5
	s_clause 0x1
	scratch_store_b64 off, v[0:1], s32 offset:192
	scratch_store_b64 off, v[2:3], s32 offset:1548
.LBB216_1328:                           ;   in Loop: Header=BB216_15 Depth=1
	s_wait_xcnt 0x0
	s_or_b32 exec_lo, exec_lo, s16
.LBB216_1329:                           ;   in Loop: Header=BB216_15 Depth=1
	s_delay_alu instid0(SALU_CYCLE_1)
	s_or_b32 exec_lo, exec_lo, s15
.LBB216_1330:                           ;   in Loop: Header=BB216_15 Depth=1
	s_delay_alu instid0(SALU_CYCLE_1)
	s_or_b32 exec_lo, exec_lo, s14
	flat_load_b32 v0, v[84:85] offset:5124
	v_mov_b64_e32 v[2:3], 0
	s_mov_b32 s14, exec_lo
	scratch_store_b64 off, v[2:3], s32 offset:1564 ; 8-byte Folded Spill
	s_wait_xcnt 0x0
	v_mov_b64_e32 v[2:3], 0
	scratch_store_b64 off, v[2:3], s32 offset:1572 ; 8-byte Folded Spill
	s_wait_loadcnt_dscnt 0x0
	v_and_b32_e32 v1, 0xff, v0
	s_wait_xcnt 0x0
	s_delay_alu instid0(VALU_DEP_1)
	v_cmpx_ne_u16_e32 0, v1
	s_cbranch_execz .LBB216_1338
; %bb.1331:                             ;   in Loop: Header=BB216_15 Depth=1
	v_mov_b64_e32 v[2:3], 0x80000000
	s_mov_b32 s15, exec_lo
	scratch_store_b64 off, v[2:3], s32 offset:1572 ; 8-byte Folded Spill
	s_wait_xcnt 0x0
	v_cmpx_ne_u16_e32 0x80, v1
	s_cbranch_execz .LBB216_1337
; %bb.1332:                             ;   in Loop: Header=BB216_15 Depth=1
	v_mov_b64_e32 v[4:5], 0x7f800001
	v_and_b32_e32 v2, 0x7f, v0
	s_mov_b32 s16, exec_lo
	scratch_store_b64 off, v[4:5], s32 offset:1572 ; 8-byte Folded Spill
	s_wait_xcnt 0x0
	v_cmpx_ne_u32_e32 0x7f, v2
	s_cbranch_execz .LBB216_1336
; %bb.1333:                             ;   in Loop: Header=BB216_15 Depth=1
	scratch_load_b64 v[4:5], off, s32 offset:192 th:TH_LOAD_LU ; 8-byte Folded Reload
	s_wait_loadcnt 0x0
	v_dual_lshrrev_b32 v1, 3, v2 :: v_dual_bitop2_b32 v4, 7, v0 bitop3:0x40
	s_mov_b32 s17, exec_lo
	s_wait_xcnt 0x0
	v_cmpx_gt_u32_e32 8, v2
; %bb.1334:                             ;   in Loop: Header=BB216_15 Depth=1
	s_delay_alu instid0(VALU_DEP_2) | instskip(NEXT) | instid1(VALU_DEP_1)
	v_clz_i32_u32_e32 v1, v4
	v_min_u32_e32 v1, 32, v1
	s_delay_alu instid0(VALU_DEP_1) | instskip(NEXT) | instid1(VALU_DEP_1)
	v_subrev_nc_u32_e32 v2, 28, v1
	v_lshlrev_b64_e32 v[2:3], v2, v[4:5]
	s_delay_alu instid0(VALU_DEP_1)
	v_dual_sub_nc_u32 v1, 29, v1 :: v_dual_bitop2_b32 v4, 7, v2 bitop3:0x40
; %bb.1335:                             ;   in Loop: Header=BB216_15 Depth=1
	s_or_b32 exec_lo, exec_lo, s17
	v_lshlrev_b32_e32 v2, 24, v0
	s_delay_alu instid0(VALU_DEP_2) | instskip(NEXT) | instid1(VALU_DEP_3)
	v_lshlrev_b32_e32 v3, 20, v4
	v_lshl_add_u32 v1, v1, 23, 0x3c000000
	s_delay_alu instid0(VALU_DEP_3) | instskip(NEXT) | instid1(VALU_DEP_1)
	v_and_b32_e32 v2, 0x80000000, v2
	v_or3_b32 v4, v3, v2, v1
	v_mov_b32_e32 v1, v5
	s_clause 0x1
	scratch_store_b64 off, v[0:1], s32 offset:192
	scratch_store_b64 off, v[4:5], s32 offset:1572
.LBB216_1336:                           ;   in Loop: Header=BB216_15 Depth=1
	s_wait_xcnt 0x0
	s_or_b32 exec_lo, exec_lo, s16
.LBB216_1337:                           ;   in Loop: Header=BB216_15 Depth=1
	s_delay_alu instid0(SALU_CYCLE_1)
	s_or_b32 exec_lo, exec_lo, s15
.LBB216_1338:                           ;   in Loop: Header=BB216_15 Depth=1
	s_delay_alu instid0(SALU_CYCLE_1) | instskip(SKIP_2) | instid1(VALU_DEP_1)
	s_or_b32 exec_lo, exec_lo, s14
	v_lshrrev_b16 v1, 8, v0
	s_mov_b32 s14, exec_lo
	v_cmpx_ne_u16_e32 0, v1
	s_cbranch_execz .LBB216_1346
; %bb.1339:                             ;   in Loop: Header=BB216_15 Depth=1
	v_mov_b64_e32 v[2:3], 0x8000000000000000
	s_mov_b32 s15, exec_lo
	scratch_store_b64 off, v[2:3], s32 offset:1564 ; 8-byte Folded Spill
	s_wait_xcnt 0x0
	v_cmpx_ne_u16_e32 0x80, v1
	s_cbranch_execz .LBB216_1345
; %bb.1340:                             ;   in Loop: Header=BB216_15 Depth=1
	v_and_b32_e32 v1, 0xffff, v1
	v_mov_b64_e32 v[4:5], 0x7f80000100000000
	s_mov_b32 s16, exec_lo
	s_delay_alu instid0(VALU_DEP_2)
	v_and_b32_e32 v2, 0x7f, v1
	scratch_store_b64 off, v[4:5], s32 offset:1564 ; 8-byte Folded Spill
	s_wait_xcnt 0x0
	v_cmpx_ne_u32_e32 0x7f, v2
	s_cbranch_execz .LBB216_1344
; %bb.1341:                             ;   in Loop: Header=BB216_15 Depth=1
	scratch_load_b64 v[4:5], off, s32 offset:192 th:TH_LOAD_LU ; 8-byte Folded Reload
	s_wait_loadcnt 0x0
	v_dual_lshrrev_b32 v1, 3, v2 :: v_dual_bitop2_b32 v4, 7, v1 bitop3:0x40
	s_mov_b32 s17, exec_lo
	s_wait_xcnt 0x0
	v_cmpx_gt_u32_e32 8, v2
; %bb.1342:                             ;   in Loop: Header=BB216_15 Depth=1
	s_delay_alu instid0(VALU_DEP_2) | instskip(NEXT) | instid1(VALU_DEP_1)
	v_clz_i32_u32_e32 v1, v4
	v_min_u32_e32 v1, 32, v1
	s_delay_alu instid0(VALU_DEP_1) | instskip(NEXT) | instid1(VALU_DEP_1)
	v_subrev_nc_u32_e32 v2, 28, v1
	v_lshlrev_b64_e32 v[2:3], v2, v[4:5]
	s_delay_alu instid0(VALU_DEP_1)
	v_dual_sub_nc_u32 v1, 29, v1 :: v_dual_bitop2_b32 v4, 7, v2 bitop3:0x40
; %bb.1343:                             ;   in Loop: Header=BB216_15 Depth=1
	s_or_b32 exec_lo, exec_lo, s17
	v_lshlrev_b32_e32 v2, 16, v0
	s_delay_alu instid0(VALU_DEP_2) | instskip(NEXT) | instid1(VALU_DEP_3)
	v_lshlrev_b32_e32 v3, 20, v4
	v_lshl_add_u32 v1, v1, 23, 0x3c000000
	s_delay_alu instid0(VALU_DEP_3) | instskip(NEXT) | instid1(VALU_DEP_1)
	v_and_b32_e32 v2, 0x80000000, v2
	v_or3_b32 v3, v3, v2, v1
	v_dual_mov_b32 v1, v5 :: v_dual_mov_b32 v2, v5
	s_clause 0x1
	scratch_store_b64 off, v[0:1], s32 offset:192
	scratch_store_b64 off, v[2:3], s32 offset:1564
.LBB216_1344:                           ;   in Loop: Header=BB216_15 Depth=1
	s_wait_xcnt 0x0
	s_or_b32 exec_lo, exec_lo, s16
.LBB216_1345:                           ;   in Loop: Header=BB216_15 Depth=1
	s_delay_alu instid0(SALU_CYCLE_1)
	s_or_b32 exec_lo, exec_lo, s15
.LBB216_1346:                           ;   in Loop: Header=BB216_15 Depth=1
	s_delay_alu instid0(SALU_CYCLE_1) | instskip(SKIP_3) | instid1(VALU_DEP_1)
	s_or_b32 exec_lo, exec_lo, s14
	v_mov_b64_e32 v[4:5], 0
	v_lshrrev_b32_e32 v1, 16, v0
	s_mov_b32 s14, exec_lo
	v_and_b32_e32 v2, 0xff, v1
	scratch_store_b64 off, v[4:5], s32 offset:1580 ; 8-byte Folded Spill
	s_wait_xcnt 0x0
	v_mov_b64_e32 v[4:5], 0
	scratch_store_b64 off, v[4:5], s32 offset:1588 ; 8-byte Folded Spill
	s_wait_xcnt 0x0
	v_cmpx_ne_u16_e32 0, v2
	s_cbranch_execz .LBB216_1354
; %bb.1347:                             ;   in Loop: Header=BB216_15 Depth=1
	v_cmp_ne_u16_e64 s1, 0x80, v2
	v_mov_b64_e32 v[2:3], 0x80000000
	scratch_store_b64 off, v[2:3], s32 offset:1588 ; 8-byte Folded Spill
	s_wait_xcnt 0x0
	s_and_saveexec_b32 s15, s1
	s_cbranch_execz .LBB216_1353
; %bb.1348:                             ;   in Loop: Header=BB216_15 Depth=1
	v_mov_b64_e32 v[4:5], 0x7f800001
	v_bfe_u32 v3, v0, 16, 7
	s_mov_b32 s16, exec_lo
	scratch_store_b64 off, v[4:5], s32 offset:1588 ; 8-byte Folded Spill
	s_wait_xcnt 0x0
	v_cmpx_ne_u32_e32 0x7f, v3
	s_cbranch_execz .LBB216_1352
; %bb.1349:                             ;   in Loop: Header=BB216_15 Depth=1
	scratch_load_b64 v[6:7], off, s32 offset:192 th:TH_LOAD_LU ; 8-byte Folded Reload
	s_wait_loadcnt 0x0
	v_dual_lshrrev_b32 v2, 3, v3 :: v_dual_bitop2_b32 v6, 7, v1 bitop3:0x40
	s_mov_b32 s17, exec_lo
	s_wait_xcnt 0x0
	v_cmpx_gt_u32_e32 8, v3
; %bb.1350:                             ;   in Loop: Header=BB216_15 Depth=1
	s_delay_alu instid0(VALU_DEP_2) | instskip(NEXT) | instid1(VALU_DEP_1)
	v_clz_i32_u32_e32 v2, v6
	v_min_u32_e32 v2, 32, v2
	s_delay_alu instid0(VALU_DEP_1) | instskip(NEXT) | instid1(VALU_DEP_1)
	v_subrev_nc_u32_e32 v3, 28, v2
	v_lshlrev_b64_e32 v[4:5], v3, v[6:7]
	s_delay_alu instid0(VALU_DEP_1)
	v_dual_sub_nc_u32 v2, 29, v2 :: v_dual_bitop2_b32 v6, 7, v4 bitop3:0x40
; %bb.1351:                             ;   in Loop: Header=BB216_15 Depth=1
	s_or_b32 exec_lo, exec_lo, s17
	s_delay_alu instid0(VALU_DEP_1) | instskip(NEXT) | instid1(VALU_DEP_2)
	v_dual_lshlrev_b32 v1, 24, v1 :: v_dual_lshlrev_b32 v3, 20, v6
	v_lshl_add_u32 v2, v2, 23, 0x3c000000
	s_delay_alu instid0(VALU_DEP_2) | instskip(NEXT) | instid1(VALU_DEP_1)
	v_and_b32_e32 v1, 0x80000000, v1
	v_or3_b32 v6, v3, v1, v2
	v_mov_b32_e32 v1, v7
	s_clause 0x1
	scratch_store_b64 off, v[0:1], s32 offset:192
	scratch_store_b64 off, v[6:7], s32 offset:1588
.LBB216_1352:                           ;   in Loop: Header=BB216_15 Depth=1
	s_wait_xcnt 0x0
	s_or_b32 exec_lo, exec_lo, s16
.LBB216_1353:                           ;   in Loop: Header=BB216_15 Depth=1
	s_delay_alu instid0(SALU_CYCLE_1)
	s_or_b32 exec_lo, exec_lo, s15
.LBB216_1354:                           ;   in Loop: Header=BB216_15 Depth=1
	s_delay_alu instid0(SALU_CYCLE_1) | instskip(NEXT) | instid1(SALU_CYCLE_1)
	s_or_b32 exec_lo, exec_lo, s14
	s_mov_b32 s14, exec_lo
	v_cmpx_lt_u32_e32 0xffffff, v0
	s_cbranch_execz .LBB216_1362
; %bb.1355:                             ;   in Loop: Header=BB216_15 Depth=1
	v_mov_b64_e32 v[2:3], 0x8000000000000000
	v_lshrrev_b32_e32 v1, 24, v0
	s_mov_b32 s15, exec_lo
	scratch_store_b64 off, v[2:3], s32 offset:1580 ; 8-byte Folded Spill
	s_wait_xcnt 0x0
	v_cmpx_ne_u32_e32 0x80, v1
	s_cbranch_execz .LBB216_1361
; %bb.1356:                             ;   in Loop: Header=BB216_15 Depth=1
	v_mov_b64_e32 v[4:5], 0x7f80000100000000
	v_bfe_u32 v2, v0, 24, 7
	s_mov_b32 s16, exec_lo
	scratch_store_b64 off, v[4:5], s32 offset:1580 ; 8-byte Folded Spill
	s_wait_xcnt 0x0
	v_cmpx_ne_u32_e32 0x7f, v2
	s_cbranch_execz .LBB216_1360
; %bb.1357:                             ;   in Loop: Header=BB216_15 Depth=1
	scratch_load_b64 v[4:5], off, s32 offset:192 th:TH_LOAD_LU ; 8-byte Folded Reload
	s_wait_loadcnt 0x0
	v_dual_lshrrev_b32 v0, 3, v2 :: v_dual_bitop2_b32 v4, 7, v1 bitop3:0x40
	s_mov_b32 s17, exec_lo
	s_wait_xcnt 0x0
	v_cmpx_gt_u32_e32 8, v2
; %bb.1358:                             ;   in Loop: Header=BB216_15 Depth=1
	s_delay_alu instid0(VALU_DEP_2) | instskip(NEXT) | instid1(VALU_DEP_1)
	v_clz_i32_u32_e32 v0, v4
	v_min_u32_e32 v0, 32, v0
	s_delay_alu instid0(VALU_DEP_1) | instskip(NEXT) | instid1(VALU_DEP_1)
	v_subrev_nc_u32_e32 v2, 28, v0
	v_lshlrev_b64_e32 v[2:3], v2, v[4:5]
	s_delay_alu instid0(VALU_DEP_1)
	v_dual_sub_nc_u32 v0, 29, v0 :: v_dual_bitop2_b32 v4, 7, v2 bitop3:0x40
; %bb.1359:                             ;   in Loop: Header=BB216_15 Depth=1
	s_or_b32 exec_lo, exec_lo, s17
	s_delay_alu instid0(VALU_DEP_1) | instskip(NEXT) | instid1(VALU_DEP_2)
	v_dual_lshlrev_b32 v1, 24, v1 :: v_dual_lshlrev_b32 v2, 20, v4
	v_lshl_add_u32 v0, v0, 23, 0x3c000000
	s_delay_alu instid0(VALU_DEP_2) | instskip(NEXT) | instid1(VALU_DEP_1)
	v_and_b32_e32 v1, 0x80000000, v1
	v_or3_b32 v3, v2, v1, v0
	v_dual_mov_b32 v1, v5 :: v_dual_mov_b32 v2, v5
	s_clause 0x1
	scratch_store_b64 off, v[0:1], s32 offset:192
	scratch_store_b64 off, v[2:3], s32 offset:1580
.LBB216_1360:                           ;   in Loop: Header=BB216_15 Depth=1
	s_wait_xcnt 0x0
	s_or_b32 exec_lo, exec_lo, s16
.LBB216_1361:                           ;   in Loop: Header=BB216_15 Depth=1
	s_delay_alu instid0(SALU_CYCLE_1)
	s_or_b32 exec_lo, exec_lo, s15
.LBB216_1362:                           ;   in Loop: Header=BB216_15 Depth=1
	s_delay_alu instid0(SALU_CYCLE_1)
	s_or_b32 exec_lo, exec_lo, s14
	flat_load_b32 v2, v[84:85] offset:5128
	v_mov_b64_e32 v[4:5], 0
	s_mov_b32 s14, exec_lo
	scratch_store_b64 off, v[4:5], s32 offset:1596 ; 8-byte Folded Spill
	s_wait_xcnt 0x0
	v_mov_b64_e32 v[4:5], 0
	scratch_store_b64 off, v[4:5], s32 offset:1604 ; 8-byte Folded Spill
	s_wait_loadcnt_dscnt 0x0
	v_and_b32_e32 v0, 0xff, v2
	s_wait_xcnt 0x0
	s_delay_alu instid0(VALU_DEP_1)
	v_cmpx_ne_u16_e32 0, v0
	s_cbranch_execz .LBB216_1370
; %bb.1363:                             ;   in Loop: Header=BB216_15 Depth=1
	v_cmp_ne_u16_e64 s1, 0x80, v0
	v_mov_b64_e32 v[0:1], 0x80000000
	scratch_store_b64 off, v[0:1], s32 offset:1604 ; 8-byte Folded Spill
	s_wait_xcnt 0x0
	s_and_saveexec_b32 s15, s1
	s_cbranch_execz .LBB216_1369
; %bb.1364:                             ;   in Loop: Header=BB216_15 Depth=1
	v_mov_b64_e32 v[4:5], 0x7f800001
	v_and_b32_e32 v1, 0x7f, v2
	s_mov_b32 s16, exec_lo
	scratch_store_b64 off, v[4:5], s32 offset:1604 ; 8-byte Folded Spill
	s_wait_xcnt 0x0
	v_cmpx_ne_u32_e32 0x7f, v1
	s_cbranch_execz .LBB216_1368
; %bb.1365:                             ;   in Loop: Header=BB216_15 Depth=1
	scratch_load_b64 v[6:7], off, s32 offset:192 th:TH_LOAD_LU ; 8-byte Folded Reload
	s_wait_loadcnt 0x0
	v_dual_lshrrev_b32 v0, 3, v1 :: v_dual_bitop2_b32 v6, 7, v2 bitop3:0x40
	s_mov_b32 s17, exec_lo
	s_wait_xcnt 0x0
	v_cmpx_gt_u32_e32 8, v1
; %bb.1366:                             ;   in Loop: Header=BB216_15 Depth=1
	s_delay_alu instid0(VALU_DEP_2) | instskip(NEXT) | instid1(VALU_DEP_1)
	v_clz_i32_u32_e32 v0, v6
	v_min_u32_e32 v0, 32, v0
	s_delay_alu instid0(VALU_DEP_1) | instskip(SKIP_1) | instid1(VALU_DEP_2)
	v_subrev_nc_u32_e32 v1, 28, v0
	v_sub_nc_u32_e32 v0, 29, v0
	v_lshlrev_b64_e32 v[4:5], v1, v[6:7]
	s_delay_alu instid0(VALU_DEP_1)
	v_and_b32_e32 v6, 7, v4
; %bb.1367:                             ;   in Loop: Header=BB216_15 Depth=1
	s_or_b32 exec_lo, exec_lo, s17
	v_lshlrev_b32_e32 v1, 24, v2
	s_delay_alu instid0(VALU_DEP_2) | instskip(SKIP_1) | instid1(VALU_DEP_3)
	v_lshlrev_b32_e32 v3, 20, v6
	v_lshl_add_u32 v0, v0, 23, 0x3c000000
	v_and_b32_e32 v1, 0x80000000, v1
	s_delay_alu instid0(VALU_DEP_1)
	v_or3_b32 v6, v3, v1, v0
	v_mov_b32_e32 v1, v7
	s_clause 0x1
	scratch_store_b64 off, v[0:1], s32 offset:192
	scratch_store_b64 off, v[6:7], s32 offset:1604
.LBB216_1368:                           ;   in Loop: Header=BB216_15 Depth=1
	s_wait_xcnt 0x0
	s_or_b32 exec_lo, exec_lo, s16
.LBB216_1369:                           ;   in Loop: Header=BB216_15 Depth=1
	s_delay_alu instid0(SALU_CYCLE_1)
	s_or_b32 exec_lo, exec_lo, s15
.LBB216_1370:                           ;   in Loop: Header=BB216_15 Depth=1
	s_delay_alu instid0(SALU_CYCLE_1) | instskip(SKIP_2) | instid1(VALU_DEP_1)
	s_or_b32 exec_lo, exec_lo, s14
	v_lshrrev_b16 v0, 8, v2
	s_mov_b32 s14, exec_lo
	v_cmpx_ne_u16_e32 0, v0
	s_cbranch_execz .LBB216_1378
; %bb.1371:                             ;   in Loop: Header=BB216_15 Depth=1
	v_mov_b64_e32 v[4:5], 0x8000000000000000
	s_mov_b32 s15, exec_lo
	scratch_store_b64 off, v[4:5], s32 offset:1596 ; 8-byte Folded Spill
	s_wait_xcnt 0x0
	v_cmpx_ne_u16_e32 0x80, v0
	s_cbranch_execz .LBB216_1377
; %bb.1372:                             ;   in Loop: Header=BB216_15 Depth=1
	v_and_b32_e32 v0, 0xffff, v0
	v_mov_b64_e32 v[4:5], 0x7f80000100000000
	s_mov_b32 s16, exec_lo
	s_delay_alu instid0(VALU_DEP_2)
	v_and_b32_e32 v1, 0x7f, v0
	scratch_store_b64 off, v[4:5], s32 offset:1596 ; 8-byte Folded Spill
	s_wait_xcnt 0x0
	v_cmpx_ne_u32_e32 0x7f, v1
	s_cbranch_execz .LBB216_1376
; %bb.1373:                             ;   in Loop: Header=BB216_15 Depth=1
	scratch_load_b64 v[6:7], off, s32 offset:192 th:TH_LOAD_LU ; 8-byte Folded Reload
	s_wait_loadcnt 0x0
	v_dual_lshrrev_b32 v0, 3, v1 :: v_dual_bitop2_b32 v6, 7, v0 bitop3:0x40
	s_mov_b32 s17, exec_lo
	s_wait_xcnt 0x0
	v_cmpx_gt_u32_e32 8, v1
; %bb.1374:                             ;   in Loop: Header=BB216_15 Depth=1
	s_delay_alu instid0(VALU_DEP_2) | instskip(NEXT) | instid1(VALU_DEP_1)
	v_clz_i32_u32_e32 v0, v6
	v_min_u32_e32 v0, 32, v0
	s_delay_alu instid0(VALU_DEP_1) | instskip(SKIP_1) | instid1(VALU_DEP_2)
	v_subrev_nc_u32_e32 v1, 28, v0
	v_sub_nc_u32_e32 v0, 29, v0
	v_lshlrev_b64_e32 v[4:5], v1, v[6:7]
	s_delay_alu instid0(VALU_DEP_1)
	v_and_b32_e32 v6, 7, v4
; %bb.1375:                             ;   in Loop: Header=BB216_15 Depth=1
	s_or_b32 exec_lo, exec_lo, s17
	v_dual_mov_b32 v4, v7 :: v_dual_lshlrev_b32 v1, 16, v2
	s_delay_alu instid0(VALU_DEP_2) | instskip(SKIP_1) | instid1(VALU_DEP_3)
	v_lshlrev_b32_e32 v3, 20, v6
	v_lshl_add_u32 v0, v0, 23, 0x3c000000
	v_and_b32_e32 v1, 0x80000000, v1
	s_delay_alu instid0(VALU_DEP_1)
	v_or3_b32 v5, v3, v1, v0
	v_mov_b32_e32 v1, v7
	s_clause 0x1
	scratch_store_b64 off, v[4:5], s32 offset:1596
	scratch_store_b64 off, v[0:1], s32 offset:192
.LBB216_1376:                           ;   in Loop: Header=BB216_15 Depth=1
	s_wait_xcnt 0x0
	s_or_b32 exec_lo, exec_lo, s16
.LBB216_1377:                           ;   in Loop: Header=BB216_15 Depth=1
	s_delay_alu instid0(SALU_CYCLE_1)
	s_or_b32 exec_lo, exec_lo, s15
.LBB216_1378:                           ;   in Loop: Header=BB216_15 Depth=1
	s_delay_alu instid0(SALU_CYCLE_1) | instskip(SKIP_3) | instid1(VALU_DEP_1)
	s_or_b32 exec_lo, exec_lo, s14
	v_mov_b64_e32 v[4:5], 0
	v_lshrrev_b32_e32 v3, 16, v2
	s_mov_b32 s14, exec_lo
	v_and_b32_e32 v0, 0xff, v3
	scratch_store_b64 off, v[4:5], s32 offset:1612 ; 8-byte Folded Spill
	s_wait_xcnt 0x0
	v_mov_b64_e32 v[4:5], 0
	scratch_store_b64 off, v[4:5], s32 offset:1620 ; 8-byte Folded Spill
	s_wait_xcnt 0x0
	v_cmpx_ne_u16_e32 0, v0
	s_cbranch_execz .LBB216_1386
; %bb.1379:                             ;   in Loop: Header=BB216_15 Depth=1
	v_cmp_ne_u16_e64 s1, 0x80, v0
	v_mov_b64_e32 v[0:1], 0x80000000
	scratch_store_b64 off, v[0:1], s32 offset:1620 ; 8-byte Folded Spill
	s_wait_xcnt 0x0
	s_and_saveexec_b32 s15, s1
	s_cbranch_execz .LBB216_1385
; %bb.1380:                             ;   in Loop: Header=BB216_15 Depth=1
	v_mov_b64_e32 v[4:5], 0x7f800001
	v_bfe_u32 v0, v2, 16, 7
	s_mov_b32 s16, exec_lo
	scratch_store_b64 off, v[4:5], s32 offset:1620 ; 8-byte Folded Spill
	s_wait_xcnt 0x0
	v_cmpx_ne_u32_e32 0x7f, v0
	s_cbranch_execz .LBB216_1384
; %bb.1381:                             ;   in Loop: Header=BB216_15 Depth=1
	scratch_load_b64 v[6:7], off, s32 offset:192 th:TH_LOAD_LU ; 8-byte Folded Reload
	s_wait_loadcnt 0x0
	v_dual_lshrrev_b32 v4, 3, v0 :: v_dual_bitop2_b32 v6, 7, v3 bitop3:0x40
	v_cmp_gt_u32_e64 s1, 8, v0
	s_delay_alu instid0(VALU_DEP_2)
	v_mov_b64_e32 v[0:1], v[6:7]
	s_wait_xcnt 0x0
	s_and_saveexec_b32 s17, s1
; %bb.1382:                             ;   in Loop: Header=BB216_15 Depth=1
	v_clz_i32_u32_e32 v0, v6
	s_delay_alu instid0(VALU_DEP_1) | instskip(NEXT) | instid1(VALU_DEP_1)
	v_min_u32_e32 v4, 32, v0
	v_subrev_nc_u32_e32 v0, 28, v4
	v_sub_nc_u32_e32 v4, 29, v4
	s_delay_alu instid0(VALU_DEP_2) | instskip(NEXT) | instid1(VALU_DEP_1)
	v_lshlrev_b64_e32 v[0:1], v0, v[6:7]
	v_and_b32_e32 v0, 7, v0
; %bb.1383:                             ;   in Loop: Header=BB216_15 Depth=1
	s_or_b32 exec_lo, exec_lo, s17
	s_delay_alu instid0(VALU_DEP_1) | instskip(SKIP_1) | instid1(VALU_DEP_2)
	v_dual_lshlrev_b32 v1, 24, v3 :: v_dual_lshlrev_b32 v0, 20, v0
	v_lshl_add_u32 v3, v4, 23, 0x3c000000
	v_and_b32_e32 v1, 0x80000000, v1
	s_delay_alu instid0(VALU_DEP_1)
	v_or3_b32 v6, v0, v1, v3
	v_mov_b32_e32 v1, v7
	s_clause 0x1
	scratch_store_b64 off, v[0:1], s32 offset:192
	scratch_store_b64 off, v[6:7], s32 offset:1620
.LBB216_1384:                           ;   in Loop: Header=BB216_15 Depth=1
	s_wait_xcnt 0x0
	s_or_b32 exec_lo, exec_lo, s16
.LBB216_1385:                           ;   in Loop: Header=BB216_15 Depth=1
	s_delay_alu instid0(SALU_CYCLE_1)
	s_or_b32 exec_lo, exec_lo, s15
.LBB216_1386:                           ;   in Loop: Header=BB216_15 Depth=1
	s_delay_alu instid0(SALU_CYCLE_1) | instskip(NEXT) | instid1(SALU_CYCLE_1)
	s_or_b32 exec_lo, exec_lo, s14
	s_mov_b32 s14, exec_lo
	v_cmpx_lt_u32_e32 0xffffff, v2
	s_cbranch_execz .LBB216_1394
; %bb.1387:                             ;   in Loop: Header=BB216_15 Depth=1
	v_mov_b64_e32 v[0:1], 0x8000000000000000
	v_lshrrev_b32_e32 v3, 24, v2
	s_mov_b32 s15, exec_lo
	scratch_store_b64 off, v[0:1], s32 offset:1612 ; 8-byte Folded Spill
	s_wait_xcnt 0x0
	v_cmpx_ne_u32_e32 0x80, v3
	s_cbranch_execz .LBB216_1393
; %bb.1388:                             ;   in Loop: Header=BB216_15 Depth=1
	v_mov_b64_e32 v[4:5], 0x7f80000100000000
	v_bfe_u32 v0, v2, 24, 7
	s_mov_b32 s16, exec_lo
	scratch_store_b64 off, v[4:5], s32 offset:1612 ; 8-byte Folded Spill
	s_wait_xcnt 0x0
	v_cmpx_ne_u32_e32 0x7f, v0
	s_cbranch_execz .LBB216_1392
; %bb.1389:                             ;   in Loop: Header=BB216_15 Depth=1
	scratch_load_b64 v[4:5], off, s32 offset:192 th:TH_LOAD_LU ; 8-byte Folded Reload
	s_wait_loadcnt 0x0
	v_dual_lshrrev_b32 v2, 3, v0 :: v_dual_bitop2_b32 v4, 7, v3 bitop3:0x40
	v_cmp_gt_u32_e64 s1, 8, v0
	s_delay_alu instid0(VALU_DEP_2)
	v_mov_b64_e32 v[0:1], v[4:5]
	s_wait_xcnt 0x0
	s_and_saveexec_b32 s17, s1
; %bb.1390:                             ;   in Loop: Header=BB216_15 Depth=1
	v_clz_i32_u32_e32 v0, v4
	s_delay_alu instid0(VALU_DEP_1) | instskip(NEXT) | instid1(VALU_DEP_1)
	v_min_u32_e32 v2, 32, v0
	v_subrev_nc_u32_e32 v0, 28, v2
	s_delay_alu instid0(VALU_DEP_1) | instskip(NEXT) | instid1(VALU_DEP_1)
	v_lshlrev_b64_e32 v[0:1], v0, v[4:5]
	v_dual_sub_nc_u32 v2, 29, v2 :: v_dual_bitop2_b32 v0, 7, v0 bitop3:0x40
; %bb.1391:                             ;   in Loop: Header=BB216_15 Depth=1
	s_or_b32 exec_lo, exec_lo, s17
	s_delay_alu instid0(VALU_DEP_1) | instskip(NEXT) | instid1(VALU_DEP_2)
	v_dual_lshlrev_b32 v1, 24, v3 :: v_dual_lshlrev_b32 v0, 20, v0
	v_lshl_add_u32 v2, v2, 23, 0x3c000000
	s_delay_alu instid0(VALU_DEP_2) | instskip(NEXT) | instid1(VALU_DEP_1)
	v_and_b32_e32 v1, 0x80000000, v1
	v_or3_b32 v3, v0, v1, v2
	v_dual_mov_b32 v1, v5 :: v_dual_mov_b32 v2, v5
	s_clause 0x1
	scratch_store_b64 off, v[0:1], s32 offset:192
	scratch_store_b64 off, v[2:3], s32 offset:1612
.LBB216_1392:                           ;   in Loop: Header=BB216_15 Depth=1
	s_wait_xcnt 0x0
	s_or_b32 exec_lo, exec_lo, s16
.LBB216_1393:                           ;   in Loop: Header=BB216_15 Depth=1
	s_delay_alu instid0(SALU_CYCLE_1)
	s_or_b32 exec_lo, exec_lo, s15
.LBB216_1394:                           ;   in Loop: Header=BB216_15 Depth=1
	s_delay_alu instid0(SALU_CYCLE_1)
	s_or_b32 exec_lo, exec_lo, s14
	flat_load_b32 v2, v[84:85] offset:5132
	v_mov_b64_e32 v[4:5], 0
	s_mov_b32 s14, exec_lo
	scratch_store_b64 off, v[4:5], s32 offset:1628 ; 8-byte Folded Spill
	s_wait_xcnt 0x0
	v_mov_b64_e32 v[4:5], 0
	scratch_store_b64 off, v[4:5], s32 offset:1636 ; 8-byte Folded Spill
	s_wait_loadcnt_dscnt 0x0
	v_and_b32_e32 v0, 0xff, v2
	s_wait_xcnt 0x0
	s_delay_alu instid0(VALU_DEP_1)
	v_cmpx_ne_u16_e32 0, v0
	s_cbranch_execz .LBB216_1402
; %bb.1395:                             ;   in Loop: Header=BB216_15 Depth=1
	v_cmp_ne_u16_e64 s1, 0x80, v0
	v_mov_b64_e32 v[0:1], 0x80000000
	scratch_store_b64 off, v[0:1], s32 offset:1636 ; 8-byte Folded Spill
	s_wait_xcnt 0x0
	s_and_saveexec_b32 s15, s1
	s_cbranch_execz .LBB216_1401
; %bb.1396:                             ;   in Loop: Header=BB216_15 Depth=1
	v_mov_b64_e32 v[4:5], 0x7f800001
	v_and_b32_e32 v0, 0x7f, v2
	s_mov_b32 s16, exec_lo
	scratch_store_b64 off, v[4:5], s32 offset:1636 ; 8-byte Folded Spill
	s_wait_xcnt 0x0
	v_cmpx_ne_u32_e32 0x7f, v0
	s_cbranch_execz .LBB216_1400
; %bb.1397:                             ;   in Loop: Header=BB216_15 Depth=1
	scratch_load_b64 v[4:5], off, s32 offset:192 th:TH_LOAD_LU ; 8-byte Folded Reload
	s_wait_loadcnt 0x0
	v_dual_lshrrev_b32 v3, 3, v0 :: v_dual_bitop2_b32 v4, 7, v2 bitop3:0x40
	v_cmp_gt_u32_e64 s1, 8, v0
	s_delay_alu instid0(VALU_DEP_2)
	v_mov_b64_e32 v[0:1], v[4:5]
	s_wait_xcnt 0x0
	s_and_saveexec_b32 s17, s1
; %bb.1398:                             ;   in Loop: Header=BB216_15 Depth=1
	v_clz_i32_u32_e32 v0, v4
	s_delay_alu instid0(VALU_DEP_1) | instskip(NEXT) | instid1(VALU_DEP_1)
	v_min_u32_e32 v3, 32, v0
	v_subrev_nc_u32_e32 v0, 28, v3
	s_delay_alu instid0(VALU_DEP_1) | instskip(NEXT) | instid1(VALU_DEP_1)
	v_lshlrev_b64_e32 v[0:1], v0, v[4:5]
	v_dual_sub_nc_u32 v3, 29, v3 :: v_dual_bitop2_b32 v0, 7, v0 bitop3:0x40
; %bb.1399:                             ;   in Loop: Header=BB216_15 Depth=1
	s_or_b32 exec_lo, exec_lo, s17
	s_delay_alu instid0(VALU_DEP_1) | instskip(NEXT) | instid1(VALU_DEP_2)
	v_dual_lshlrev_b32 v1, 24, v2 :: v_dual_lshlrev_b32 v0, 20, v0
	v_lshl_add_u32 v3, v3, 23, 0x3c000000
	s_delay_alu instid0(VALU_DEP_2) | instskip(NEXT) | instid1(VALU_DEP_1)
	v_and_b32_e32 v1, 0x80000000, v1
	v_or3_b32 v4, v0, v1, v3
	v_mov_b32_e32 v1, v5
	s_clause 0x1
	scratch_store_b64 off, v[0:1], s32 offset:192
	scratch_store_b64 off, v[4:5], s32 offset:1636
.LBB216_1400:                           ;   in Loop: Header=BB216_15 Depth=1
	s_wait_xcnt 0x0
	s_or_b32 exec_lo, exec_lo, s16
.LBB216_1401:                           ;   in Loop: Header=BB216_15 Depth=1
	s_delay_alu instid0(SALU_CYCLE_1)
	s_or_b32 exec_lo, exec_lo, s15
.LBB216_1402:                           ;   in Loop: Header=BB216_15 Depth=1
	s_delay_alu instid0(SALU_CYCLE_1) | instskip(SKIP_2) | instid1(VALU_DEP_1)
	s_or_b32 exec_lo, exec_lo, s14
	v_lshrrev_b16 v0, 8, v2
	s_mov_b32 s14, exec_lo
	v_cmpx_ne_u16_e32 0, v0
	s_cbranch_execz .LBB216_1410
; %bb.1403:                             ;   in Loop: Header=BB216_15 Depth=1
	v_mov_b64_e32 v[4:5], 0x8000000000000000
	s_mov_b32 s15, exec_lo
	scratch_store_b64 off, v[4:5], s32 offset:1628 ; 8-byte Folded Spill
	s_wait_xcnt 0x0
	v_cmpx_ne_u16_e32 0x80, v0
	s_cbranch_execz .LBB216_1409
; %bb.1404:                             ;   in Loop: Header=BB216_15 Depth=1
	v_and_b32_e32 v1, 0xffff, v0
	v_mov_b64_e32 v[4:5], 0x7f80000100000000
	s_mov_b32 s16, exec_lo
	s_delay_alu instid0(VALU_DEP_2)
	v_and_b32_e32 v0, 0x7f, v1
	scratch_store_b64 off, v[4:5], s32 offset:1628 ; 8-byte Folded Spill
	s_wait_xcnt 0x0
	v_cmpx_ne_u32_e32 0x7f, v0
	s_cbranch_execz .LBB216_1408
; %bb.1405:                             ;   in Loop: Header=BB216_15 Depth=1
	scratch_load_b64 v[4:5], off, s32 offset:192 th:TH_LOAD_LU ; 8-byte Folded Reload
	s_wait_loadcnt 0x0
	v_dual_lshrrev_b32 v3, 3, v0 :: v_dual_bitop2_b32 v4, 7, v1 bitop3:0x40
	v_cmp_gt_u32_e64 s1, 8, v0
	s_delay_alu instid0(VALU_DEP_2)
	v_mov_b64_e32 v[0:1], v[4:5]
	s_wait_xcnt 0x0
	s_and_saveexec_b32 s17, s1
; %bb.1406:                             ;   in Loop: Header=BB216_15 Depth=1
	v_clz_i32_u32_e32 v0, v4
	s_delay_alu instid0(VALU_DEP_1) | instskip(NEXT) | instid1(VALU_DEP_1)
	v_min_u32_e32 v3, 32, v0
	v_subrev_nc_u32_e32 v0, 28, v3
	s_delay_alu instid0(VALU_DEP_1) | instskip(NEXT) | instid1(VALU_DEP_1)
	v_lshlrev_b64_e32 v[0:1], v0, v[4:5]
	v_dual_sub_nc_u32 v3, 29, v3 :: v_dual_bitop2_b32 v0, 7, v0 bitop3:0x40
; %bb.1407:                             ;   in Loop: Header=BB216_15 Depth=1
	s_or_b32 exec_lo, exec_lo, s17
	s_delay_alu instid0(VALU_DEP_1) | instskip(NEXT) | instid1(VALU_DEP_2)
	v_dual_lshlrev_b32 v1, 16, v2 :: v_dual_lshlrev_b32 v0, 20, v0
	v_lshl_add_u32 v3, v3, 23, 0x3c000000
	v_mov_b32_e32 v6, v5
	s_delay_alu instid0(VALU_DEP_3) | instskip(NEXT) | instid1(VALU_DEP_1)
	v_and_b32_e32 v1, 0x80000000, v1
	v_or3_b32 v7, v0, v1, v3
	v_mov_b32_e32 v1, v5
	s_clause 0x1
	scratch_store_b64 off, v[6:7], s32 offset:1628
	scratch_store_b64 off, v[0:1], s32 offset:192
.LBB216_1408:                           ;   in Loop: Header=BB216_15 Depth=1
	s_wait_xcnt 0x0
	s_or_b32 exec_lo, exec_lo, s16
.LBB216_1409:                           ;   in Loop: Header=BB216_15 Depth=1
	s_delay_alu instid0(SALU_CYCLE_1)
	s_or_b32 exec_lo, exec_lo, s15
.LBB216_1410:                           ;   in Loop: Header=BB216_15 Depth=1
	s_delay_alu instid0(SALU_CYCLE_1) | instskip(SKIP_3) | instid1(VALU_DEP_1)
	s_or_b32 exec_lo, exec_lo, s14
	v_mov_b64_e32 v[4:5], 0
	v_lshrrev_b32_e32 v3, 16, v2
	s_mov_b32 s14, exec_lo
	v_and_b32_e32 v0, 0xff, v3
	scratch_store_b64 off, v[4:5], s32 offset:1644 ; 8-byte Folded Spill
	s_wait_xcnt 0x0
	v_mov_b64_e32 v[4:5], 0
	scratch_store_b64 off, v[4:5], s32 offset:1652 ; 8-byte Folded Spill
	s_wait_xcnt 0x0
	v_cmpx_ne_u16_e32 0, v0
	s_cbranch_execz .LBB216_1418
; %bb.1411:                             ;   in Loop: Header=BB216_15 Depth=1
	v_cmp_ne_u16_e64 s1, 0x80, v0
	v_mov_b64_e32 v[0:1], 0x80000000
	scratch_store_b64 off, v[0:1], s32 offset:1652 ; 8-byte Folded Spill
	s_wait_xcnt 0x0
	s_and_saveexec_b32 s15, s1
	s_cbranch_execz .LBB216_1417
; %bb.1412:                             ;   in Loop: Header=BB216_15 Depth=1
	v_mov_b64_e32 v[4:5], 0x7f800001
	v_bfe_u32 v0, v2, 16, 7
	s_mov_b32 s16, exec_lo
	scratch_store_b64 off, v[4:5], s32 offset:1652 ; 8-byte Folded Spill
	s_wait_xcnt 0x0
	v_cmpx_ne_u32_e32 0x7f, v0
	s_cbranch_execz .LBB216_1416
; %bb.1413:                             ;   in Loop: Header=BB216_15 Depth=1
	scratch_load_b64 v[6:7], off, s32 offset:192 th:TH_LOAD_LU ; 8-byte Folded Reload
	s_wait_loadcnt 0x0
	v_dual_lshrrev_b32 v4, 3, v0 :: v_dual_bitop2_b32 v6, 7, v3 bitop3:0x40
	v_cmp_gt_u32_e64 s1, 8, v0
	s_delay_alu instid0(VALU_DEP_2)
	v_mov_b64_e32 v[0:1], v[6:7]
	s_wait_xcnt 0x0
	s_and_saveexec_b32 s17, s1
; %bb.1414:                             ;   in Loop: Header=BB216_15 Depth=1
	v_clz_i32_u32_e32 v0, v6
	s_delay_alu instid0(VALU_DEP_1) | instskip(NEXT) | instid1(VALU_DEP_1)
	v_min_u32_e32 v4, 32, v0
	v_subrev_nc_u32_e32 v0, 28, v4
	v_sub_nc_u32_e32 v4, 29, v4
	s_delay_alu instid0(VALU_DEP_2) | instskip(NEXT) | instid1(VALU_DEP_1)
	v_lshlrev_b64_e32 v[0:1], v0, v[6:7]
	v_and_b32_e32 v0, 7, v0
; %bb.1415:                             ;   in Loop: Header=BB216_15 Depth=1
	s_or_b32 exec_lo, exec_lo, s17
	s_delay_alu instid0(VALU_DEP_1) | instskip(SKIP_1) | instid1(VALU_DEP_2)
	v_dual_lshlrev_b32 v1, 24, v3 :: v_dual_lshlrev_b32 v0, 20, v0
	v_lshl_add_u32 v3, v4, 23, 0x3c000000
	v_and_b32_e32 v1, 0x80000000, v1
	s_delay_alu instid0(VALU_DEP_1)
	v_or3_b32 v6, v0, v1, v3
	v_mov_b32_e32 v1, v7
	s_clause 0x1
	scratch_store_b64 off, v[0:1], s32 offset:192
	scratch_store_b64 off, v[6:7], s32 offset:1652
.LBB216_1416:                           ;   in Loop: Header=BB216_15 Depth=1
	s_wait_xcnt 0x0
	s_or_b32 exec_lo, exec_lo, s16
.LBB216_1417:                           ;   in Loop: Header=BB216_15 Depth=1
	s_delay_alu instid0(SALU_CYCLE_1)
	s_or_b32 exec_lo, exec_lo, s15
.LBB216_1418:                           ;   in Loop: Header=BB216_15 Depth=1
	s_delay_alu instid0(SALU_CYCLE_1) | instskip(NEXT) | instid1(SALU_CYCLE_1)
	s_or_b32 exec_lo, exec_lo, s14
	s_mov_b32 s14, exec_lo
	v_cmpx_lt_u32_e32 0xffffff, v2
	s_cbranch_execz .LBB216_1426
; %bb.1419:                             ;   in Loop: Header=BB216_15 Depth=1
	v_mov_b64_e32 v[0:1], 0x8000000000000000
	v_lshrrev_b32_e32 v3, 24, v2
	s_mov_b32 s15, exec_lo
	scratch_store_b64 off, v[0:1], s32 offset:1644 ; 8-byte Folded Spill
	s_wait_xcnt 0x0
	v_cmpx_ne_u32_e32 0x80, v3
	s_cbranch_execz .LBB216_1425
; %bb.1420:                             ;   in Loop: Header=BB216_15 Depth=1
	v_mov_b64_e32 v[4:5], 0x7f80000100000000
	v_bfe_u32 v0, v2, 24, 7
	s_mov_b32 s16, exec_lo
	scratch_store_b64 off, v[4:5], s32 offset:1644 ; 8-byte Folded Spill
	s_wait_xcnt 0x0
	v_cmpx_ne_u32_e32 0x7f, v0
	s_cbranch_execz .LBB216_1424
; %bb.1421:                             ;   in Loop: Header=BB216_15 Depth=1
	scratch_load_b64 v[4:5], off, s32 offset:192 th:TH_LOAD_LU ; 8-byte Folded Reload
	s_wait_loadcnt 0x0
	v_dual_lshrrev_b32 v2, 3, v0 :: v_dual_bitop2_b32 v4, 7, v3 bitop3:0x40
	v_cmp_gt_u32_e64 s1, 8, v0
	s_delay_alu instid0(VALU_DEP_2)
	v_mov_b64_e32 v[0:1], v[4:5]
	s_wait_xcnt 0x0
	s_and_saveexec_b32 s17, s1
; %bb.1422:                             ;   in Loop: Header=BB216_15 Depth=1
	v_clz_i32_u32_e32 v0, v4
	s_delay_alu instid0(VALU_DEP_1) | instskip(NEXT) | instid1(VALU_DEP_1)
	v_min_u32_e32 v2, 32, v0
	v_subrev_nc_u32_e32 v0, 28, v2
	s_delay_alu instid0(VALU_DEP_1) | instskip(NEXT) | instid1(VALU_DEP_1)
	v_lshlrev_b64_e32 v[0:1], v0, v[4:5]
	v_dual_sub_nc_u32 v2, 29, v2 :: v_dual_bitop2_b32 v0, 7, v0 bitop3:0x40
; %bb.1423:                             ;   in Loop: Header=BB216_15 Depth=1
	s_or_b32 exec_lo, exec_lo, s17
	s_delay_alu instid0(VALU_DEP_1) | instskip(NEXT) | instid1(VALU_DEP_2)
	v_dual_lshlrev_b32 v1, 24, v3 :: v_dual_lshlrev_b32 v0, 20, v0
	v_lshl_add_u32 v2, v2, 23, 0x3c000000
	s_delay_alu instid0(VALU_DEP_2) | instskip(NEXT) | instid1(VALU_DEP_1)
	v_and_b32_e32 v1, 0x80000000, v1
	v_or3_b32 v3, v0, v1, v2
	v_dual_mov_b32 v1, v5 :: v_dual_mov_b32 v2, v5
	s_clause 0x1
	scratch_store_b64 off, v[0:1], s32 offset:192
	scratch_store_b64 off, v[2:3], s32 offset:1644
.LBB216_1424:                           ;   in Loop: Header=BB216_15 Depth=1
	s_wait_xcnt 0x0
	s_or_b32 exec_lo, exec_lo, s16
.LBB216_1425:                           ;   in Loop: Header=BB216_15 Depth=1
	s_delay_alu instid0(SALU_CYCLE_1)
	s_or_b32 exec_lo, exec_lo, s15
.LBB216_1426:                           ;   in Loop: Header=BB216_15 Depth=1
	s_delay_alu instid0(SALU_CYCLE_1)
	s_or_b32 exec_lo, exec_lo, s14
	flat_load_b32 v2, v[84:85] offset:5632
	v_mov_b64_e32 v[4:5], 0
	s_mov_b32 s14, exec_lo
	scratch_store_b64 off, v[4:5], s32 offset:1660 ; 8-byte Folded Spill
	s_wait_xcnt 0x0
	v_mov_b64_e32 v[4:5], 0
	scratch_store_b64 off, v[4:5], s32 offset:1668 ; 8-byte Folded Spill
	s_wait_loadcnt_dscnt 0x0
	v_and_b32_e32 v0, 0xff, v2
	s_wait_xcnt 0x0
	s_delay_alu instid0(VALU_DEP_1)
	v_cmpx_ne_u16_e32 0, v0
	s_cbranch_execz .LBB216_1434
; %bb.1427:                             ;   in Loop: Header=BB216_15 Depth=1
	v_cmp_ne_u16_e64 s1, 0x80, v0
	v_mov_b64_e32 v[0:1], 0x80000000
	scratch_store_b64 off, v[0:1], s32 offset:1668 ; 8-byte Folded Spill
	s_wait_xcnt 0x0
	s_and_saveexec_b32 s15, s1
	s_cbranch_execz .LBB216_1433
; %bb.1428:                             ;   in Loop: Header=BB216_15 Depth=1
	v_mov_b64_e32 v[4:5], 0x7f800001
	v_and_b32_e32 v0, 0x7f, v2
	s_mov_b32 s16, exec_lo
	scratch_store_b64 off, v[4:5], s32 offset:1668 ; 8-byte Folded Spill
	s_wait_xcnt 0x0
	v_cmpx_ne_u32_e32 0x7f, v0
	s_cbranch_execz .LBB216_1432
; %bb.1429:                             ;   in Loop: Header=BB216_15 Depth=1
	scratch_load_b64 v[4:5], off, s32 offset:192 th:TH_LOAD_LU ; 8-byte Folded Reload
	s_wait_loadcnt 0x0
	v_dual_lshrrev_b32 v3, 3, v0 :: v_dual_bitop2_b32 v4, 7, v2 bitop3:0x40
	v_cmp_gt_u32_e64 s1, 8, v0
	s_delay_alu instid0(VALU_DEP_2)
	v_mov_b64_e32 v[0:1], v[4:5]
	s_wait_xcnt 0x0
	s_and_saveexec_b32 s17, s1
; %bb.1430:                             ;   in Loop: Header=BB216_15 Depth=1
	v_clz_i32_u32_e32 v0, v4
	s_delay_alu instid0(VALU_DEP_1) | instskip(NEXT) | instid1(VALU_DEP_1)
	v_min_u32_e32 v3, 32, v0
	v_subrev_nc_u32_e32 v0, 28, v3
	s_delay_alu instid0(VALU_DEP_1) | instskip(NEXT) | instid1(VALU_DEP_1)
	v_lshlrev_b64_e32 v[0:1], v0, v[4:5]
	v_dual_sub_nc_u32 v3, 29, v3 :: v_dual_bitop2_b32 v0, 7, v0 bitop3:0x40
; %bb.1431:                             ;   in Loop: Header=BB216_15 Depth=1
	s_or_b32 exec_lo, exec_lo, s17
	s_delay_alu instid0(VALU_DEP_1) | instskip(NEXT) | instid1(VALU_DEP_2)
	v_dual_lshlrev_b32 v1, 24, v2 :: v_dual_lshlrev_b32 v0, 20, v0
	v_lshl_add_u32 v3, v3, 23, 0x3c000000
	s_delay_alu instid0(VALU_DEP_2) | instskip(NEXT) | instid1(VALU_DEP_1)
	v_and_b32_e32 v1, 0x80000000, v1
	v_or3_b32 v4, v0, v1, v3
	v_mov_b32_e32 v1, v5
	s_clause 0x1
	scratch_store_b64 off, v[0:1], s32 offset:192
	scratch_store_b64 off, v[4:5], s32 offset:1668
.LBB216_1432:                           ;   in Loop: Header=BB216_15 Depth=1
	s_wait_xcnt 0x0
	s_or_b32 exec_lo, exec_lo, s16
.LBB216_1433:                           ;   in Loop: Header=BB216_15 Depth=1
	s_delay_alu instid0(SALU_CYCLE_1)
	s_or_b32 exec_lo, exec_lo, s15
.LBB216_1434:                           ;   in Loop: Header=BB216_15 Depth=1
	s_delay_alu instid0(SALU_CYCLE_1) | instskip(SKIP_2) | instid1(VALU_DEP_1)
	s_or_b32 exec_lo, exec_lo, s14
	v_lshrrev_b16 v0, 8, v2
	s_mov_b32 s14, exec_lo
	v_cmpx_ne_u16_e32 0, v0
	s_cbranch_execz .LBB216_1442
; %bb.1435:                             ;   in Loop: Header=BB216_15 Depth=1
	v_mov_b64_e32 v[4:5], 0x8000000000000000
	s_mov_b32 s15, exec_lo
	scratch_store_b64 off, v[4:5], s32 offset:1660 ; 8-byte Folded Spill
	s_wait_xcnt 0x0
	v_cmpx_ne_u16_e32 0x80, v0
	s_cbranch_execz .LBB216_1441
; %bb.1436:                             ;   in Loop: Header=BB216_15 Depth=1
	v_and_b32_e32 v1, 0xffff, v0
	v_mov_b64_e32 v[4:5], 0x7f80000100000000
	s_mov_b32 s16, exec_lo
	s_delay_alu instid0(VALU_DEP_2)
	v_and_b32_e32 v0, 0x7f, v1
	scratch_store_b64 off, v[4:5], s32 offset:1660 ; 8-byte Folded Spill
	s_wait_xcnt 0x0
	v_cmpx_ne_u32_e32 0x7f, v0
	s_cbranch_execz .LBB216_1440
; %bb.1437:                             ;   in Loop: Header=BB216_15 Depth=1
	scratch_load_b64 v[4:5], off, s32 offset:192 th:TH_LOAD_LU ; 8-byte Folded Reload
	s_wait_loadcnt 0x0
	v_dual_lshrrev_b32 v3, 3, v0 :: v_dual_bitop2_b32 v4, 7, v1 bitop3:0x40
	v_cmp_gt_u32_e64 s1, 8, v0
	s_delay_alu instid0(VALU_DEP_2)
	v_mov_b64_e32 v[0:1], v[4:5]
	s_wait_xcnt 0x0
	s_and_saveexec_b32 s17, s1
; %bb.1438:                             ;   in Loop: Header=BB216_15 Depth=1
	v_clz_i32_u32_e32 v0, v4
	s_delay_alu instid0(VALU_DEP_1) | instskip(NEXT) | instid1(VALU_DEP_1)
	v_min_u32_e32 v3, 32, v0
	v_subrev_nc_u32_e32 v0, 28, v3
	s_delay_alu instid0(VALU_DEP_1) | instskip(NEXT) | instid1(VALU_DEP_1)
	v_lshlrev_b64_e32 v[0:1], v0, v[4:5]
	v_dual_sub_nc_u32 v3, 29, v3 :: v_dual_bitop2_b32 v0, 7, v0 bitop3:0x40
; %bb.1439:                             ;   in Loop: Header=BB216_15 Depth=1
	s_or_b32 exec_lo, exec_lo, s17
	s_delay_alu instid0(VALU_DEP_1) | instskip(NEXT) | instid1(VALU_DEP_2)
	v_dual_lshlrev_b32 v1, 16, v2 :: v_dual_lshlrev_b32 v0, 20, v0
	v_lshl_add_u32 v3, v3, 23, 0x3c000000
	v_mov_b32_e32 v6, v5
	s_delay_alu instid0(VALU_DEP_3) | instskip(NEXT) | instid1(VALU_DEP_1)
	v_and_b32_e32 v1, 0x80000000, v1
	v_or3_b32 v7, v0, v1, v3
	v_mov_b32_e32 v1, v5
	s_clause 0x1
	scratch_store_b64 off, v[6:7], s32 offset:1660
	scratch_store_b64 off, v[0:1], s32 offset:192
.LBB216_1440:                           ;   in Loop: Header=BB216_15 Depth=1
	s_wait_xcnt 0x0
	s_or_b32 exec_lo, exec_lo, s16
.LBB216_1441:                           ;   in Loop: Header=BB216_15 Depth=1
	s_delay_alu instid0(SALU_CYCLE_1)
	s_or_b32 exec_lo, exec_lo, s15
.LBB216_1442:                           ;   in Loop: Header=BB216_15 Depth=1
	s_delay_alu instid0(SALU_CYCLE_1) | instskip(SKIP_3) | instid1(VALU_DEP_1)
	s_or_b32 exec_lo, exec_lo, s14
	v_mov_b64_e32 v[4:5], 0
	v_lshrrev_b32_e32 v3, 16, v2
	s_mov_b32 s14, exec_lo
	v_and_b32_e32 v0, 0xff, v3
	scratch_store_b64 off, v[4:5], s32 offset:1676 ; 8-byte Folded Spill
	s_wait_xcnt 0x0
	v_mov_b64_e32 v[4:5], 0
	scratch_store_b64 off, v[4:5], s32 offset:1684 ; 8-byte Folded Spill
	s_wait_xcnt 0x0
	v_cmpx_ne_u16_e32 0, v0
	s_cbranch_execz .LBB216_1450
; %bb.1443:                             ;   in Loop: Header=BB216_15 Depth=1
	v_cmp_ne_u16_e64 s1, 0x80, v0
	v_mov_b64_e32 v[0:1], 0x80000000
	scratch_store_b64 off, v[0:1], s32 offset:1684 ; 8-byte Folded Spill
	s_wait_xcnt 0x0
	s_and_saveexec_b32 s15, s1
	s_cbranch_execz .LBB216_1449
; %bb.1444:                             ;   in Loop: Header=BB216_15 Depth=1
	v_mov_b64_e32 v[4:5], 0x7f800001
	v_bfe_u32 v0, v2, 16, 7
	s_mov_b32 s16, exec_lo
	scratch_store_b64 off, v[4:5], s32 offset:1684 ; 8-byte Folded Spill
	s_wait_xcnt 0x0
	v_cmpx_ne_u32_e32 0x7f, v0
	s_cbranch_execz .LBB216_1448
; %bb.1445:                             ;   in Loop: Header=BB216_15 Depth=1
	scratch_load_b64 v[6:7], off, s32 offset:192 th:TH_LOAD_LU ; 8-byte Folded Reload
	s_wait_loadcnt 0x0
	v_dual_lshrrev_b32 v4, 3, v0 :: v_dual_bitop2_b32 v6, 7, v3 bitop3:0x40
	v_cmp_gt_u32_e64 s1, 8, v0
	s_delay_alu instid0(VALU_DEP_2)
	v_mov_b64_e32 v[0:1], v[6:7]
	s_wait_xcnt 0x0
	s_and_saveexec_b32 s17, s1
; %bb.1446:                             ;   in Loop: Header=BB216_15 Depth=1
	v_clz_i32_u32_e32 v0, v6
	s_delay_alu instid0(VALU_DEP_1) | instskip(NEXT) | instid1(VALU_DEP_1)
	v_min_u32_e32 v4, 32, v0
	v_subrev_nc_u32_e32 v0, 28, v4
	v_sub_nc_u32_e32 v4, 29, v4
	s_delay_alu instid0(VALU_DEP_2) | instskip(NEXT) | instid1(VALU_DEP_1)
	v_lshlrev_b64_e32 v[0:1], v0, v[6:7]
	v_and_b32_e32 v0, 7, v0
; %bb.1447:                             ;   in Loop: Header=BB216_15 Depth=1
	s_or_b32 exec_lo, exec_lo, s17
	s_delay_alu instid0(VALU_DEP_1) | instskip(SKIP_1) | instid1(VALU_DEP_2)
	v_dual_lshlrev_b32 v1, 24, v3 :: v_dual_lshlrev_b32 v0, 20, v0
	v_lshl_add_u32 v3, v4, 23, 0x3c000000
	v_and_b32_e32 v1, 0x80000000, v1
	s_delay_alu instid0(VALU_DEP_1)
	v_or3_b32 v6, v0, v1, v3
	v_mov_b32_e32 v1, v7
	s_clause 0x1
	scratch_store_b64 off, v[0:1], s32 offset:192
	scratch_store_b64 off, v[6:7], s32 offset:1684
.LBB216_1448:                           ;   in Loop: Header=BB216_15 Depth=1
	s_wait_xcnt 0x0
	s_or_b32 exec_lo, exec_lo, s16
.LBB216_1449:                           ;   in Loop: Header=BB216_15 Depth=1
	s_delay_alu instid0(SALU_CYCLE_1)
	s_or_b32 exec_lo, exec_lo, s15
.LBB216_1450:                           ;   in Loop: Header=BB216_15 Depth=1
	s_delay_alu instid0(SALU_CYCLE_1) | instskip(NEXT) | instid1(SALU_CYCLE_1)
	s_or_b32 exec_lo, exec_lo, s14
	s_mov_b32 s14, exec_lo
	v_cmpx_lt_u32_e32 0xffffff, v2
	s_cbranch_execz .LBB216_1458
; %bb.1451:                             ;   in Loop: Header=BB216_15 Depth=1
	v_mov_b64_e32 v[0:1], 0x8000000000000000
	v_lshrrev_b32_e32 v3, 24, v2
	s_mov_b32 s15, exec_lo
	scratch_store_b64 off, v[0:1], s32 offset:1676 ; 8-byte Folded Spill
	s_wait_xcnt 0x0
	v_cmpx_ne_u32_e32 0x80, v3
	s_cbranch_execz .LBB216_1457
; %bb.1452:                             ;   in Loop: Header=BB216_15 Depth=1
	v_mov_b64_e32 v[4:5], 0x7f80000100000000
	v_bfe_u32 v0, v2, 24, 7
	s_mov_b32 s16, exec_lo
	scratch_store_b64 off, v[4:5], s32 offset:1676 ; 8-byte Folded Spill
	s_wait_xcnt 0x0
	v_cmpx_ne_u32_e32 0x7f, v0
	s_cbranch_execz .LBB216_1456
; %bb.1453:                             ;   in Loop: Header=BB216_15 Depth=1
	scratch_load_b64 v[4:5], off, s32 offset:192 th:TH_LOAD_LU ; 8-byte Folded Reload
	s_wait_loadcnt 0x0
	v_dual_lshrrev_b32 v2, 3, v0 :: v_dual_bitop2_b32 v4, 7, v3 bitop3:0x40
	v_cmp_gt_u32_e64 s1, 8, v0
	s_delay_alu instid0(VALU_DEP_2)
	v_mov_b64_e32 v[0:1], v[4:5]
	s_wait_xcnt 0x0
	s_and_saveexec_b32 s17, s1
; %bb.1454:                             ;   in Loop: Header=BB216_15 Depth=1
	v_clz_i32_u32_e32 v0, v4
	s_delay_alu instid0(VALU_DEP_1) | instskip(NEXT) | instid1(VALU_DEP_1)
	v_min_u32_e32 v2, 32, v0
	v_subrev_nc_u32_e32 v0, 28, v2
	s_delay_alu instid0(VALU_DEP_1) | instskip(NEXT) | instid1(VALU_DEP_1)
	v_lshlrev_b64_e32 v[0:1], v0, v[4:5]
	v_dual_sub_nc_u32 v2, 29, v2 :: v_dual_bitop2_b32 v0, 7, v0 bitop3:0x40
; %bb.1455:                             ;   in Loop: Header=BB216_15 Depth=1
	s_or_b32 exec_lo, exec_lo, s17
	s_delay_alu instid0(VALU_DEP_1) | instskip(NEXT) | instid1(VALU_DEP_2)
	v_dual_lshlrev_b32 v1, 24, v3 :: v_dual_lshlrev_b32 v0, 20, v0
	v_lshl_add_u32 v2, v2, 23, 0x3c000000
	s_delay_alu instid0(VALU_DEP_2) | instskip(NEXT) | instid1(VALU_DEP_1)
	v_and_b32_e32 v1, 0x80000000, v1
	v_or3_b32 v3, v0, v1, v2
	v_dual_mov_b32 v1, v5 :: v_dual_mov_b32 v2, v5
	s_clause 0x1
	scratch_store_b64 off, v[0:1], s32 offset:192
	scratch_store_b64 off, v[2:3], s32 offset:1676
.LBB216_1456:                           ;   in Loop: Header=BB216_15 Depth=1
	s_wait_xcnt 0x0
	s_or_b32 exec_lo, exec_lo, s16
.LBB216_1457:                           ;   in Loop: Header=BB216_15 Depth=1
	s_delay_alu instid0(SALU_CYCLE_1)
	s_or_b32 exec_lo, exec_lo, s15
.LBB216_1458:                           ;   in Loop: Header=BB216_15 Depth=1
	s_delay_alu instid0(SALU_CYCLE_1)
	s_or_b32 exec_lo, exec_lo, s14
	flat_load_b32 v2, v[84:85] offset:5636
	v_mov_b64_e32 v[4:5], 0
	s_mov_b32 s14, exec_lo
	scratch_store_b64 off, v[4:5], s32 offset:1692 ; 8-byte Folded Spill
	s_wait_xcnt 0x0
	v_mov_b64_e32 v[4:5], 0
	scratch_store_b64 off, v[4:5], s32 offset:1700 ; 8-byte Folded Spill
	s_wait_loadcnt_dscnt 0x0
	v_and_b32_e32 v0, 0xff, v2
	s_wait_xcnt 0x0
	s_delay_alu instid0(VALU_DEP_1)
	v_cmpx_ne_u16_e32 0, v0
	s_cbranch_execz .LBB216_1466
; %bb.1459:                             ;   in Loop: Header=BB216_15 Depth=1
	v_cmp_ne_u16_e64 s1, 0x80, v0
	v_mov_b64_e32 v[0:1], 0x80000000
	scratch_store_b64 off, v[0:1], s32 offset:1700 ; 8-byte Folded Spill
	s_wait_xcnt 0x0
	s_and_saveexec_b32 s15, s1
	s_cbranch_execz .LBB216_1465
; %bb.1460:                             ;   in Loop: Header=BB216_15 Depth=1
	v_mov_b64_e32 v[4:5], 0x7f800001
	v_and_b32_e32 v0, 0x7f, v2
	s_mov_b32 s16, exec_lo
	scratch_store_b64 off, v[4:5], s32 offset:1700 ; 8-byte Folded Spill
	s_wait_xcnt 0x0
	v_cmpx_ne_u32_e32 0x7f, v0
	s_cbranch_execz .LBB216_1464
; %bb.1461:                             ;   in Loop: Header=BB216_15 Depth=1
	scratch_load_b64 v[4:5], off, s32 offset:192 th:TH_LOAD_LU ; 8-byte Folded Reload
	s_wait_loadcnt 0x0
	v_dual_lshrrev_b32 v3, 3, v0 :: v_dual_bitop2_b32 v4, 7, v2 bitop3:0x40
	v_cmp_gt_u32_e64 s1, 8, v0
	s_delay_alu instid0(VALU_DEP_2)
	v_mov_b64_e32 v[0:1], v[4:5]
	s_wait_xcnt 0x0
	s_and_saveexec_b32 s17, s1
; %bb.1462:                             ;   in Loop: Header=BB216_15 Depth=1
	v_clz_i32_u32_e32 v0, v4
	s_delay_alu instid0(VALU_DEP_1) | instskip(NEXT) | instid1(VALU_DEP_1)
	v_min_u32_e32 v3, 32, v0
	v_subrev_nc_u32_e32 v0, 28, v3
	s_delay_alu instid0(VALU_DEP_1) | instskip(NEXT) | instid1(VALU_DEP_1)
	v_lshlrev_b64_e32 v[0:1], v0, v[4:5]
	v_dual_sub_nc_u32 v3, 29, v3 :: v_dual_bitop2_b32 v0, 7, v0 bitop3:0x40
; %bb.1463:                             ;   in Loop: Header=BB216_15 Depth=1
	s_or_b32 exec_lo, exec_lo, s17
	s_delay_alu instid0(VALU_DEP_1) | instskip(NEXT) | instid1(VALU_DEP_2)
	v_dual_lshlrev_b32 v1, 24, v2 :: v_dual_lshlrev_b32 v0, 20, v0
	v_lshl_add_u32 v3, v3, 23, 0x3c000000
	s_delay_alu instid0(VALU_DEP_2) | instskip(NEXT) | instid1(VALU_DEP_1)
	v_and_b32_e32 v1, 0x80000000, v1
	v_or3_b32 v4, v0, v1, v3
	v_mov_b32_e32 v1, v5
	s_clause 0x1
	scratch_store_b64 off, v[0:1], s32 offset:192
	scratch_store_b64 off, v[4:5], s32 offset:1700
.LBB216_1464:                           ;   in Loop: Header=BB216_15 Depth=1
	s_wait_xcnt 0x0
	s_or_b32 exec_lo, exec_lo, s16
.LBB216_1465:                           ;   in Loop: Header=BB216_15 Depth=1
	s_delay_alu instid0(SALU_CYCLE_1)
	s_or_b32 exec_lo, exec_lo, s15
.LBB216_1466:                           ;   in Loop: Header=BB216_15 Depth=1
	s_delay_alu instid0(SALU_CYCLE_1) | instskip(SKIP_2) | instid1(VALU_DEP_1)
	s_or_b32 exec_lo, exec_lo, s14
	v_lshrrev_b16 v0, 8, v2
	s_mov_b32 s14, exec_lo
	v_cmpx_ne_u16_e32 0, v0
	s_cbranch_execz .LBB216_1474
; %bb.1467:                             ;   in Loop: Header=BB216_15 Depth=1
	v_mov_b64_e32 v[4:5], 0x8000000000000000
	s_mov_b32 s15, exec_lo
	scratch_store_b64 off, v[4:5], s32 offset:1692 ; 8-byte Folded Spill
	s_wait_xcnt 0x0
	v_cmpx_ne_u16_e32 0x80, v0
	s_cbranch_execz .LBB216_1473
; %bb.1468:                             ;   in Loop: Header=BB216_15 Depth=1
	v_and_b32_e32 v1, 0xffff, v0
	v_mov_b64_e32 v[4:5], 0x7f80000100000000
	s_mov_b32 s16, exec_lo
	s_delay_alu instid0(VALU_DEP_2)
	v_and_b32_e32 v0, 0x7f, v1
	scratch_store_b64 off, v[4:5], s32 offset:1692 ; 8-byte Folded Spill
	s_wait_xcnt 0x0
	v_cmpx_ne_u32_e32 0x7f, v0
	s_cbranch_execz .LBB216_1472
; %bb.1469:                             ;   in Loop: Header=BB216_15 Depth=1
	scratch_load_b64 v[4:5], off, s32 offset:192 th:TH_LOAD_LU ; 8-byte Folded Reload
	s_wait_loadcnt 0x0
	v_dual_lshrrev_b32 v3, 3, v0 :: v_dual_bitop2_b32 v4, 7, v1 bitop3:0x40
	v_cmp_gt_u32_e64 s1, 8, v0
	s_delay_alu instid0(VALU_DEP_2)
	v_mov_b64_e32 v[0:1], v[4:5]
	s_wait_xcnt 0x0
	s_and_saveexec_b32 s17, s1
; %bb.1470:                             ;   in Loop: Header=BB216_15 Depth=1
	v_clz_i32_u32_e32 v0, v4
	s_delay_alu instid0(VALU_DEP_1) | instskip(NEXT) | instid1(VALU_DEP_1)
	v_min_u32_e32 v3, 32, v0
	v_subrev_nc_u32_e32 v0, 28, v3
	s_delay_alu instid0(VALU_DEP_1) | instskip(NEXT) | instid1(VALU_DEP_1)
	v_lshlrev_b64_e32 v[0:1], v0, v[4:5]
	v_dual_sub_nc_u32 v3, 29, v3 :: v_dual_bitop2_b32 v0, 7, v0 bitop3:0x40
; %bb.1471:                             ;   in Loop: Header=BB216_15 Depth=1
	s_or_b32 exec_lo, exec_lo, s17
	s_delay_alu instid0(VALU_DEP_1) | instskip(NEXT) | instid1(VALU_DEP_2)
	v_dual_lshlrev_b32 v1, 16, v2 :: v_dual_lshlrev_b32 v0, 20, v0
	v_lshl_add_u32 v3, v3, 23, 0x3c000000
	v_mov_b32_e32 v6, v5
	s_delay_alu instid0(VALU_DEP_3) | instskip(NEXT) | instid1(VALU_DEP_1)
	v_and_b32_e32 v1, 0x80000000, v1
	v_or3_b32 v7, v0, v1, v3
	v_mov_b32_e32 v1, v5
	s_clause 0x1
	scratch_store_b64 off, v[6:7], s32 offset:1692
	scratch_store_b64 off, v[0:1], s32 offset:192
.LBB216_1472:                           ;   in Loop: Header=BB216_15 Depth=1
	s_wait_xcnt 0x0
	s_or_b32 exec_lo, exec_lo, s16
.LBB216_1473:                           ;   in Loop: Header=BB216_15 Depth=1
	s_delay_alu instid0(SALU_CYCLE_1)
	s_or_b32 exec_lo, exec_lo, s15
.LBB216_1474:                           ;   in Loop: Header=BB216_15 Depth=1
	s_delay_alu instid0(SALU_CYCLE_1) | instskip(SKIP_3) | instid1(VALU_DEP_1)
	s_or_b32 exec_lo, exec_lo, s14
	v_mov_b64_e32 v[4:5], 0
	v_lshrrev_b32_e32 v3, 16, v2
	s_mov_b32 s14, exec_lo
	v_and_b32_e32 v0, 0xff, v3
	scratch_store_b64 off, v[4:5], s32 offset:1708 ; 8-byte Folded Spill
	s_wait_xcnt 0x0
	v_mov_b64_e32 v[4:5], 0
	scratch_store_b64 off, v[4:5], s32 offset:1716 ; 8-byte Folded Spill
	s_wait_xcnt 0x0
	v_cmpx_ne_u16_e32 0, v0
	s_cbranch_execz .LBB216_1482
; %bb.1475:                             ;   in Loop: Header=BB216_15 Depth=1
	v_cmp_ne_u16_e64 s1, 0x80, v0
	v_mov_b64_e32 v[0:1], 0x80000000
	scratch_store_b64 off, v[0:1], s32 offset:1716 ; 8-byte Folded Spill
	s_wait_xcnt 0x0
	s_and_saveexec_b32 s15, s1
	s_cbranch_execz .LBB216_1481
; %bb.1476:                             ;   in Loop: Header=BB216_15 Depth=1
	v_mov_b64_e32 v[4:5], 0x7f800001
	v_bfe_u32 v0, v2, 16, 7
	s_mov_b32 s16, exec_lo
	scratch_store_b64 off, v[4:5], s32 offset:1716 ; 8-byte Folded Spill
	s_wait_xcnt 0x0
	v_cmpx_ne_u32_e32 0x7f, v0
	s_cbranch_execz .LBB216_1480
; %bb.1477:                             ;   in Loop: Header=BB216_15 Depth=1
	scratch_load_b64 v[6:7], off, s32 offset:192 th:TH_LOAD_LU ; 8-byte Folded Reload
	s_wait_loadcnt 0x0
	v_dual_lshrrev_b32 v4, 3, v0 :: v_dual_bitop2_b32 v6, 7, v3 bitop3:0x40
	v_cmp_gt_u32_e64 s1, 8, v0
	s_delay_alu instid0(VALU_DEP_2)
	v_mov_b64_e32 v[0:1], v[6:7]
	s_wait_xcnt 0x0
	s_and_saveexec_b32 s17, s1
; %bb.1478:                             ;   in Loop: Header=BB216_15 Depth=1
	v_clz_i32_u32_e32 v0, v6
	s_delay_alu instid0(VALU_DEP_1) | instskip(NEXT) | instid1(VALU_DEP_1)
	v_min_u32_e32 v4, 32, v0
	v_subrev_nc_u32_e32 v0, 28, v4
	v_sub_nc_u32_e32 v4, 29, v4
	s_delay_alu instid0(VALU_DEP_2) | instskip(NEXT) | instid1(VALU_DEP_1)
	v_lshlrev_b64_e32 v[0:1], v0, v[6:7]
	v_and_b32_e32 v0, 7, v0
; %bb.1479:                             ;   in Loop: Header=BB216_15 Depth=1
	s_or_b32 exec_lo, exec_lo, s17
	s_delay_alu instid0(VALU_DEP_1) | instskip(SKIP_1) | instid1(VALU_DEP_2)
	v_dual_lshlrev_b32 v1, 24, v3 :: v_dual_lshlrev_b32 v0, 20, v0
	v_lshl_add_u32 v3, v4, 23, 0x3c000000
	v_and_b32_e32 v1, 0x80000000, v1
	s_delay_alu instid0(VALU_DEP_1)
	v_or3_b32 v6, v0, v1, v3
	v_mov_b32_e32 v1, v7
	s_clause 0x1
	scratch_store_b64 off, v[0:1], s32 offset:192
	scratch_store_b64 off, v[6:7], s32 offset:1716
.LBB216_1480:                           ;   in Loop: Header=BB216_15 Depth=1
	s_wait_xcnt 0x0
	s_or_b32 exec_lo, exec_lo, s16
.LBB216_1481:                           ;   in Loop: Header=BB216_15 Depth=1
	s_delay_alu instid0(SALU_CYCLE_1)
	s_or_b32 exec_lo, exec_lo, s15
.LBB216_1482:                           ;   in Loop: Header=BB216_15 Depth=1
	s_delay_alu instid0(SALU_CYCLE_1) | instskip(NEXT) | instid1(SALU_CYCLE_1)
	s_or_b32 exec_lo, exec_lo, s14
	s_mov_b32 s14, exec_lo
	v_cmpx_lt_u32_e32 0xffffff, v2
	s_cbranch_execz .LBB216_1490
; %bb.1483:                             ;   in Loop: Header=BB216_15 Depth=1
	v_mov_b64_e32 v[0:1], 0x8000000000000000
	v_lshrrev_b32_e32 v3, 24, v2
	s_mov_b32 s15, exec_lo
	scratch_store_b64 off, v[0:1], s32 offset:1708 ; 8-byte Folded Spill
	s_wait_xcnt 0x0
	v_cmpx_ne_u32_e32 0x80, v3
	s_cbranch_execz .LBB216_1489
; %bb.1484:                             ;   in Loop: Header=BB216_15 Depth=1
	v_mov_b64_e32 v[4:5], 0x7f80000100000000
	v_bfe_u32 v0, v2, 24, 7
	s_mov_b32 s16, exec_lo
	scratch_store_b64 off, v[4:5], s32 offset:1708 ; 8-byte Folded Spill
	s_wait_xcnt 0x0
	v_cmpx_ne_u32_e32 0x7f, v0
	s_cbranch_execz .LBB216_1488
; %bb.1485:                             ;   in Loop: Header=BB216_15 Depth=1
	scratch_load_b64 v[4:5], off, s32 offset:192 th:TH_LOAD_LU ; 8-byte Folded Reload
	s_wait_loadcnt 0x0
	v_dual_lshrrev_b32 v2, 3, v0 :: v_dual_bitop2_b32 v4, 7, v3 bitop3:0x40
	v_cmp_gt_u32_e64 s1, 8, v0
	s_delay_alu instid0(VALU_DEP_2)
	v_mov_b64_e32 v[0:1], v[4:5]
	s_wait_xcnt 0x0
	s_and_saveexec_b32 s17, s1
; %bb.1486:                             ;   in Loop: Header=BB216_15 Depth=1
	v_clz_i32_u32_e32 v0, v4
	s_delay_alu instid0(VALU_DEP_1) | instskip(NEXT) | instid1(VALU_DEP_1)
	v_min_u32_e32 v2, 32, v0
	v_subrev_nc_u32_e32 v0, 28, v2
	s_delay_alu instid0(VALU_DEP_1) | instskip(NEXT) | instid1(VALU_DEP_1)
	v_lshlrev_b64_e32 v[0:1], v0, v[4:5]
	v_dual_sub_nc_u32 v2, 29, v2 :: v_dual_bitop2_b32 v0, 7, v0 bitop3:0x40
; %bb.1487:                             ;   in Loop: Header=BB216_15 Depth=1
	s_or_b32 exec_lo, exec_lo, s17
	s_delay_alu instid0(VALU_DEP_1) | instskip(NEXT) | instid1(VALU_DEP_2)
	v_dual_lshlrev_b32 v1, 24, v3 :: v_dual_lshlrev_b32 v0, 20, v0
	v_lshl_add_u32 v2, v2, 23, 0x3c000000
	s_delay_alu instid0(VALU_DEP_2) | instskip(NEXT) | instid1(VALU_DEP_1)
	v_and_b32_e32 v1, 0x80000000, v1
	v_or3_b32 v3, v0, v1, v2
	v_dual_mov_b32 v1, v5 :: v_dual_mov_b32 v2, v5
	s_clause 0x1
	scratch_store_b64 off, v[0:1], s32 offset:192
	scratch_store_b64 off, v[2:3], s32 offset:1708
.LBB216_1488:                           ;   in Loop: Header=BB216_15 Depth=1
	s_wait_xcnt 0x0
	s_or_b32 exec_lo, exec_lo, s16
.LBB216_1489:                           ;   in Loop: Header=BB216_15 Depth=1
	s_delay_alu instid0(SALU_CYCLE_1)
	s_or_b32 exec_lo, exec_lo, s15
.LBB216_1490:                           ;   in Loop: Header=BB216_15 Depth=1
	s_delay_alu instid0(SALU_CYCLE_1)
	s_or_b32 exec_lo, exec_lo, s14
	flat_load_b32 v2, v[84:85] offset:5640
	v_mov_b64_e32 v[4:5], 0
	s_mov_b32 s14, exec_lo
	scratch_store_b64 off, v[4:5], s32 offset:1724 ; 8-byte Folded Spill
	s_wait_xcnt 0x0
	v_mov_b64_e32 v[4:5], 0
	scratch_store_b64 off, v[4:5], s32 offset:1732 ; 8-byte Folded Spill
	s_wait_loadcnt_dscnt 0x0
	v_and_b32_e32 v0, 0xff, v2
	s_wait_xcnt 0x0
	s_delay_alu instid0(VALU_DEP_1)
	v_cmpx_ne_u16_e32 0, v0
	s_cbranch_execz .LBB216_1498
; %bb.1491:                             ;   in Loop: Header=BB216_15 Depth=1
	v_cmp_ne_u16_e64 s1, 0x80, v0
	v_mov_b64_e32 v[0:1], 0x80000000
	scratch_store_b64 off, v[0:1], s32 offset:1732 ; 8-byte Folded Spill
	s_wait_xcnt 0x0
	s_and_saveexec_b32 s15, s1
	s_cbranch_execz .LBB216_1497
; %bb.1492:                             ;   in Loop: Header=BB216_15 Depth=1
	v_mov_b64_e32 v[4:5], 0x7f800001
	v_and_b32_e32 v0, 0x7f, v2
	s_mov_b32 s16, exec_lo
	scratch_store_b64 off, v[4:5], s32 offset:1732 ; 8-byte Folded Spill
	s_wait_xcnt 0x0
	v_cmpx_ne_u32_e32 0x7f, v0
	s_cbranch_execz .LBB216_1496
; %bb.1493:                             ;   in Loop: Header=BB216_15 Depth=1
	scratch_load_b64 v[4:5], off, s32 offset:192 th:TH_LOAD_LU ; 8-byte Folded Reload
	s_wait_loadcnt 0x0
	v_dual_lshrrev_b32 v3, 3, v0 :: v_dual_bitop2_b32 v4, 7, v2 bitop3:0x40
	v_cmp_gt_u32_e64 s1, 8, v0
	s_delay_alu instid0(VALU_DEP_2)
	v_mov_b64_e32 v[0:1], v[4:5]
	s_wait_xcnt 0x0
	s_and_saveexec_b32 s17, s1
; %bb.1494:                             ;   in Loop: Header=BB216_15 Depth=1
	v_clz_i32_u32_e32 v0, v4
	s_delay_alu instid0(VALU_DEP_1) | instskip(NEXT) | instid1(VALU_DEP_1)
	v_min_u32_e32 v3, 32, v0
	v_subrev_nc_u32_e32 v0, 28, v3
	s_delay_alu instid0(VALU_DEP_1) | instskip(NEXT) | instid1(VALU_DEP_1)
	v_lshlrev_b64_e32 v[0:1], v0, v[4:5]
	v_dual_sub_nc_u32 v3, 29, v3 :: v_dual_bitop2_b32 v0, 7, v0 bitop3:0x40
; %bb.1495:                             ;   in Loop: Header=BB216_15 Depth=1
	s_or_b32 exec_lo, exec_lo, s17
	s_delay_alu instid0(VALU_DEP_1) | instskip(NEXT) | instid1(VALU_DEP_2)
	v_dual_lshlrev_b32 v1, 24, v2 :: v_dual_lshlrev_b32 v0, 20, v0
	v_lshl_add_u32 v3, v3, 23, 0x3c000000
	s_delay_alu instid0(VALU_DEP_2) | instskip(NEXT) | instid1(VALU_DEP_1)
	v_and_b32_e32 v1, 0x80000000, v1
	v_or3_b32 v4, v0, v1, v3
	v_mov_b32_e32 v1, v5
	s_clause 0x1
	scratch_store_b64 off, v[0:1], s32 offset:192
	scratch_store_b64 off, v[4:5], s32 offset:1732
.LBB216_1496:                           ;   in Loop: Header=BB216_15 Depth=1
	s_wait_xcnt 0x0
	s_or_b32 exec_lo, exec_lo, s16
.LBB216_1497:                           ;   in Loop: Header=BB216_15 Depth=1
	s_delay_alu instid0(SALU_CYCLE_1)
	s_or_b32 exec_lo, exec_lo, s15
.LBB216_1498:                           ;   in Loop: Header=BB216_15 Depth=1
	s_delay_alu instid0(SALU_CYCLE_1) | instskip(SKIP_2) | instid1(VALU_DEP_1)
	s_or_b32 exec_lo, exec_lo, s14
	v_lshrrev_b16 v0, 8, v2
	s_mov_b32 s14, exec_lo
	v_cmpx_ne_u16_e32 0, v0
	s_cbranch_execz .LBB216_1506
; %bb.1499:                             ;   in Loop: Header=BB216_15 Depth=1
	v_mov_b64_e32 v[4:5], 0x8000000000000000
	s_mov_b32 s15, exec_lo
	scratch_store_b64 off, v[4:5], s32 offset:1724 ; 8-byte Folded Spill
	s_wait_xcnt 0x0
	v_cmpx_ne_u16_e32 0x80, v0
	s_cbranch_execz .LBB216_1505
; %bb.1500:                             ;   in Loop: Header=BB216_15 Depth=1
	v_and_b32_e32 v1, 0xffff, v0
	v_mov_b64_e32 v[4:5], 0x7f80000100000000
	s_mov_b32 s16, exec_lo
	s_delay_alu instid0(VALU_DEP_2)
	v_and_b32_e32 v0, 0x7f, v1
	scratch_store_b64 off, v[4:5], s32 offset:1724 ; 8-byte Folded Spill
	s_wait_xcnt 0x0
	v_cmpx_ne_u32_e32 0x7f, v0
	s_cbranch_execz .LBB216_1504
; %bb.1501:                             ;   in Loop: Header=BB216_15 Depth=1
	scratch_load_b64 v[4:5], off, s32 offset:192 th:TH_LOAD_LU ; 8-byte Folded Reload
	s_wait_loadcnt 0x0
	v_dual_lshrrev_b32 v3, 3, v0 :: v_dual_bitop2_b32 v4, 7, v1 bitop3:0x40
	v_cmp_gt_u32_e64 s1, 8, v0
	s_delay_alu instid0(VALU_DEP_2)
	v_mov_b64_e32 v[0:1], v[4:5]
	s_wait_xcnt 0x0
	s_and_saveexec_b32 s17, s1
; %bb.1502:                             ;   in Loop: Header=BB216_15 Depth=1
	v_clz_i32_u32_e32 v0, v4
	s_delay_alu instid0(VALU_DEP_1) | instskip(NEXT) | instid1(VALU_DEP_1)
	v_min_u32_e32 v3, 32, v0
	v_subrev_nc_u32_e32 v0, 28, v3
	s_delay_alu instid0(VALU_DEP_1) | instskip(NEXT) | instid1(VALU_DEP_1)
	v_lshlrev_b64_e32 v[0:1], v0, v[4:5]
	v_dual_sub_nc_u32 v3, 29, v3 :: v_dual_bitop2_b32 v0, 7, v0 bitop3:0x40
; %bb.1503:                             ;   in Loop: Header=BB216_15 Depth=1
	s_or_b32 exec_lo, exec_lo, s17
	s_delay_alu instid0(VALU_DEP_1) | instskip(NEXT) | instid1(VALU_DEP_2)
	v_dual_lshlrev_b32 v1, 16, v2 :: v_dual_lshlrev_b32 v0, 20, v0
	v_lshl_add_u32 v3, v3, 23, 0x3c000000
	v_mov_b32_e32 v6, v5
	s_delay_alu instid0(VALU_DEP_3) | instskip(NEXT) | instid1(VALU_DEP_1)
	v_and_b32_e32 v1, 0x80000000, v1
	v_or3_b32 v7, v0, v1, v3
	v_mov_b32_e32 v1, v5
	s_clause 0x1
	scratch_store_b64 off, v[6:7], s32 offset:1724
	scratch_store_b64 off, v[0:1], s32 offset:192
.LBB216_1504:                           ;   in Loop: Header=BB216_15 Depth=1
	s_wait_xcnt 0x0
	s_or_b32 exec_lo, exec_lo, s16
.LBB216_1505:                           ;   in Loop: Header=BB216_15 Depth=1
	s_delay_alu instid0(SALU_CYCLE_1)
	s_or_b32 exec_lo, exec_lo, s15
.LBB216_1506:                           ;   in Loop: Header=BB216_15 Depth=1
	s_delay_alu instid0(SALU_CYCLE_1) | instskip(SKIP_3) | instid1(VALU_DEP_1)
	s_or_b32 exec_lo, exec_lo, s14
	v_mov_b64_e32 v[4:5], 0
	v_lshrrev_b32_e32 v3, 16, v2
	s_mov_b32 s14, exec_lo
	v_and_b32_e32 v0, 0xff, v3
	scratch_store_b64 off, v[4:5], s32 offset:1740 ; 8-byte Folded Spill
	s_wait_xcnt 0x0
	v_mov_b64_e32 v[4:5], 0
	scratch_store_b64 off, v[4:5], s32 offset:1748 ; 8-byte Folded Spill
	s_wait_xcnt 0x0
	v_cmpx_ne_u16_e32 0, v0
	s_cbranch_execz .LBB216_1514
; %bb.1507:                             ;   in Loop: Header=BB216_15 Depth=1
	v_cmp_ne_u16_e64 s1, 0x80, v0
	v_mov_b64_e32 v[0:1], 0x80000000
	scratch_store_b64 off, v[0:1], s32 offset:1748 ; 8-byte Folded Spill
	s_wait_xcnt 0x0
	s_and_saveexec_b32 s15, s1
	s_cbranch_execz .LBB216_1513
; %bb.1508:                             ;   in Loop: Header=BB216_15 Depth=1
	v_mov_b64_e32 v[4:5], 0x7f800001
	v_bfe_u32 v0, v2, 16, 7
	s_mov_b32 s16, exec_lo
	scratch_store_b64 off, v[4:5], s32 offset:1748 ; 8-byte Folded Spill
	s_wait_xcnt 0x0
	v_cmpx_ne_u32_e32 0x7f, v0
	s_cbranch_execz .LBB216_1512
; %bb.1509:                             ;   in Loop: Header=BB216_15 Depth=1
	scratch_load_b64 v[6:7], off, s32 offset:192 th:TH_LOAD_LU ; 8-byte Folded Reload
	s_wait_loadcnt 0x0
	v_dual_lshrrev_b32 v4, 3, v0 :: v_dual_bitop2_b32 v6, 7, v3 bitop3:0x40
	v_cmp_gt_u32_e64 s1, 8, v0
	s_delay_alu instid0(VALU_DEP_2)
	v_mov_b64_e32 v[0:1], v[6:7]
	s_wait_xcnt 0x0
	s_and_saveexec_b32 s17, s1
; %bb.1510:                             ;   in Loop: Header=BB216_15 Depth=1
	v_clz_i32_u32_e32 v0, v6
	s_delay_alu instid0(VALU_DEP_1) | instskip(NEXT) | instid1(VALU_DEP_1)
	v_min_u32_e32 v4, 32, v0
	v_subrev_nc_u32_e32 v0, 28, v4
	v_sub_nc_u32_e32 v4, 29, v4
	s_delay_alu instid0(VALU_DEP_2) | instskip(NEXT) | instid1(VALU_DEP_1)
	v_lshlrev_b64_e32 v[0:1], v0, v[6:7]
	v_and_b32_e32 v0, 7, v0
; %bb.1511:                             ;   in Loop: Header=BB216_15 Depth=1
	s_or_b32 exec_lo, exec_lo, s17
	s_delay_alu instid0(VALU_DEP_1) | instskip(SKIP_1) | instid1(VALU_DEP_2)
	v_dual_lshlrev_b32 v1, 24, v3 :: v_dual_lshlrev_b32 v0, 20, v0
	v_lshl_add_u32 v3, v4, 23, 0x3c000000
	v_and_b32_e32 v1, 0x80000000, v1
	s_delay_alu instid0(VALU_DEP_1)
	v_or3_b32 v6, v0, v1, v3
	v_mov_b32_e32 v1, v7
	s_clause 0x1
	scratch_store_b64 off, v[0:1], s32 offset:192
	scratch_store_b64 off, v[6:7], s32 offset:1748
.LBB216_1512:                           ;   in Loop: Header=BB216_15 Depth=1
	s_wait_xcnt 0x0
	s_or_b32 exec_lo, exec_lo, s16
.LBB216_1513:                           ;   in Loop: Header=BB216_15 Depth=1
	s_delay_alu instid0(SALU_CYCLE_1)
	s_or_b32 exec_lo, exec_lo, s15
.LBB216_1514:                           ;   in Loop: Header=BB216_15 Depth=1
	s_delay_alu instid0(SALU_CYCLE_1) | instskip(NEXT) | instid1(SALU_CYCLE_1)
	s_or_b32 exec_lo, exec_lo, s14
	s_mov_b32 s14, exec_lo
	v_cmpx_lt_u32_e32 0xffffff, v2
	s_cbranch_execz .LBB216_1522
; %bb.1515:                             ;   in Loop: Header=BB216_15 Depth=1
	v_mov_b64_e32 v[0:1], 0x8000000000000000
	v_lshrrev_b32_e32 v3, 24, v2
	s_mov_b32 s15, exec_lo
	scratch_store_b64 off, v[0:1], s32 offset:1740 ; 8-byte Folded Spill
	s_wait_xcnt 0x0
	v_cmpx_ne_u32_e32 0x80, v3
	s_cbranch_execz .LBB216_1521
; %bb.1516:                             ;   in Loop: Header=BB216_15 Depth=1
	v_mov_b64_e32 v[4:5], 0x7f80000100000000
	v_bfe_u32 v0, v2, 24, 7
	s_mov_b32 s16, exec_lo
	scratch_store_b64 off, v[4:5], s32 offset:1740 ; 8-byte Folded Spill
	s_wait_xcnt 0x0
	v_cmpx_ne_u32_e32 0x7f, v0
	s_cbranch_execz .LBB216_1520
; %bb.1517:                             ;   in Loop: Header=BB216_15 Depth=1
	scratch_load_b64 v[4:5], off, s32 offset:192 th:TH_LOAD_LU ; 8-byte Folded Reload
	s_wait_loadcnt 0x0
	v_dual_lshrrev_b32 v2, 3, v0 :: v_dual_bitop2_b32 v4, 7, v3 bitop3:0x40
	v_cmp_gt_u32_e64 s1, 8, v0
	s_delay_alu instid0(VALU_DEP_2)
	v_mov_b64_e32 v[0:1], v[4:5]
	s_wait_xcnt 0x0
	s_and_saveexec_b32 s17, s1
; %bb.1518:                             ;   in Loop: Header=BB216_15 Depth=1
	v_clz_i32_u32_e32 v0, v4
	s_delay_alu instid0(VALU_DEP_1) | instskip(NEXT) | instid1(VALU_DEP_1)
	v_min_u32_e32 v2, 32, v0
	v_subrev_nc_u32_e32 v0, 28, v2
	s_delay_alu instid0(VALU_DEP_1) | instskip(NEXT) | instid1(VALU_DEP_1)
	v_lshlrev_b64_e32 v[0:1], v0, v[4:5]
	v_dual_sub_nc_u32 v2, 29, v2 :: v_dual_bitop2_b32 v0, 7, v0 bitop3:0x40
; %bb.1519:                             ;   in Loop: Header=BB216_15 Depth=1
	s_or_b32 exec_lo, exec_lo, s17
	s_delay_alu instid0(VALU_DEP_1) | instskip(NEXT) | instid1(VALU_DEP_2)
	v_dual_lshlrev_b32 v1, 24, v3 :: v_dual_lshlrev_b32 v0, 20, v0
	v_lshl_add_u32 v2, v2, 23, 0x3c000000
	s_delay_alu instid0(VALU_DEP_2) | instskip(NEXT) | instid1(VALU_DEP_1)
	v_and_b32_e32 v1, 0x80000000, v1
	v_or3_b32 v3, v0, v1, v2
	v_dual_mov_b32 v1, v5 :: v_dual_mov_b32 v2, v5
	s_clause 0x1
	scratch_store_b64 off, v[0:1], s32 offset:192
	scratch_store_b64 off, v[2:3], s32 offset:1740
.LBB216_1520:                           ;   in Loop: Header=BB216_15 Depth=1
	s_wait_xcnt 0x0
	s_or_b32 exec_lo, exec_lo, s16
.LBB216_1521:                           ;   in Loop: Header=BB216_15 Depth=1
	s_delay_alu instid0(SALU_CYCLE_1)
	s_or_b32 exec_lo, exec_lo, s15
.LBB216_1522:                           ;   in Loop: Header=BB216_15 Depth=1
	s_delay_alu instid0(SALU_CYCLE_1)
	s_or_b32 exec_lo, exec_lo, s14
	flat_load_b32 v2, v[84:85] offset:5644
	v_mov_b64_e32 v[4:5], 0
	s_mov_b32 s14, exec_lo
	scratch_store_b64 off, v[4:5], s32 offset:1756 ; 8-byte Folded Spill
	s_wait_xcnt 0x0
	v_mov_b64_e32 v[4:5], 0
	scratch_store_b64 off, v[4:5], s32 offset:1764 ; 8-byte Folded Spill
	s_wait_loadcnt_dscnt 0x0
	v_and_b32_e32 v0, 0xff, v2
	s_wait_xcnt 0x0
	s_delay_alu instid0(VALU_DEP_1)
	v_cmpx_ne_u16_e32 0, v0
	s_cbranch_execz .LBB216_1530
; %bb.1523:                             ;   in Loop: Header=BB216_15 Depth=1
	v_cmp_ne_u16_e64 s1, 0x80, v0
	v_mov_b64_e32 v[0:1], 0x80000000
	scratch_store_b64 off, v[0:1], s32 offset:1764 ; 8-byte Folded Spill
	s_wait_xcnt 0x0
	s_and_saveexec_b32 s15, s1
	s_cbranch_execz .LBB216_1529
; %bb.1524:                             ;   in Loop: Header=BB216_15 Depth=1
	v_mov_b64_e32 v[4:5], 0x7f800001
	v_and_b32_e32 v0, 0x7f, v2
	s_mov_b32 s16, exec_lo
	scratch_store_b64 off, v[4:5], s32 offset:1764 ; 8-byte Folded Spill
	s_wait_xcnt 0x0
	v_cmpx_ne_u32_e32 0x7f, v0
	s_cbranch_execz .LBB216_1528
; %bb.1525:                             ;   in Loop: Header=BB216_15 Depth=1
	scratch_load_b64 v[4:5], off, s32 offset:192 th:TH_LOAD_LU ; 8-byte Folded Reload
	s_wait_loadcnt 0x0
	v_dual_lshrrev_b32 v3, 3, v0 :: v_dual_bitop2_b32 v4, 7, v2 bitop3:0x40
	v_cmp_gt_u32_e64 s1, 8, v0
	s_delay_alu instid0(VALU_DEP_2)
	v_mov_b64_e32 v[0:1], v[4:5]
	s_wait_xcnt 0x0
	s_and_saveexec_b32 s17, s1
; %bb.1526:                             ;   in Loop: Header=BB216_15 Depth=1
	v_clz_i32_u32_e32 v0, v4
	s_delay_alu instid0(VALU_DEP_1) | instskip(NEXT) | instid1(VALU_DEP_1)
	v_min_u32_e32 v3, 32, v0
	v_subrev_nc_u32_e32 v0, 28, v3
	s_delay_alu instid0(VALU_DEP_1) | instskip(NEXT) | instid1(VALU_DEP_1)
	v_lshlrev_b64_e32 v[0:1], v0, v[4:5]
	v_dual_sub_nc_u32 v3, 29, v3 :: v_dual_bitop2_b32 v0, 7, v0 bitop3:0x40
; %bb.1527:                             ;   in Loop: Header=BB216_15 Depth=1
	s_or_b32 exec_lo, exec_lo, s17
	s_delay_alu instid0(VALU_DEP_1) | instskip(NEXT) | instid1(VALU_DEP_2)
	v_dual_lshlrev_b32 v1, 24, v2 :: v_dual_lshlrev_b32 v0, 20, v0
	v_lshl_add_u32 v3, v3, 23, 0x3c000000
	s_delay_alu instid0(VALU_DEP_2) | instskip(NEXT) | instid1(VALU_DEP_1)
	v_and_b32_e32 v1, 0x80000000, v1
	v_or3_b32 v4, v0, v1, v3
	v_mov_b32_e32 v1, v5
	s_clause 0x1
	scratch_store_b64 off, v[0:1], s32 offset:192
	scratch_store_b64 off, v[4:5], s32 offset:1764
.LBB216_1528:                           ;   in Loop: Header=BB216_15 Depth=1
	s_wait_xcnt 0x0
	s_or_b32 exec_lo, exec_lo, s16
.LBB216_1529:                           ;   in Loop: Header=BB216_15 Depth=1
	s_delay_alu instid0(SALU_CYCLE_1)
	s_or_b32 exec_lo, exec_lo, s15
.LBB216_1530:                           ;   in Loop: Header=BB216_15 Depth=1
	s_delay_alu instid0(SALU_CYCLE_1) | instskip(SKIP_2) | instid1(VALU_DEP_1)
	s_or_b32 exec_lo, exec_lo, s14
	v_lshrrev_b16 v0, 8, v2
	s_mov_b32 s14, exec_lo
	v_cmpx_ne_u16_e32 0, v0
	s_cbranch_execz .LBB216_1538
; %bb.1531:                             ;   in Loop: Header=BB216_15 Depth=1
	v_mov_b64_e32 v[4:5], 0x8000000000000000
	s_mov_b32 s15, exec_lo
	scratch_store_b64 off, v[4:5], s32 offset:1756 ; 8-byte Folded Spill
	s_wait_xcnt 0x0
	v_cmpx_ne_u16_e32 0x80, v0
	s_cbranch_execz .LBB216_1537
; %bb.1532:                             ;   in Loop: Header=BB216_15 Depth=1
	v_and_b32_e32 v1, 0xffff, v0
	v_mov_b64_e32 v[4:5], 0x7f80000100000000
	s_mov_b32 s16, exec_lo
	s_delay_alu instid0(VALU_DEP_2)
	v_and_b32_e32 v0, 0x7f, v1
	scratch_store_b64 off, v[4:5], s32 offset:1756 ; 8-byte Folded Spill
	s_wait_xcnt 0x0
	v_cmpx_ne_u32_e32 0x7f, v0
	s_cbranch_execz .LBB216_1536
; %bb.1533:                             ;   in Loop: Header=BB216_15 Depth=1
	scratch_load_b64 v[4:5], off, s32 offset:192 th:TH_LOAD_LU ; 8-byte Folded Reload
	s_wait_loadcnt 0x0
	v_dual_lshrrev_b32 v3, 3, v0 :: v_dual_bitop2_b32 v4, 7, v1 bitop3:0x40
	v_cmp_gt_u32_e64 s1, 8, v0
	s_delay_alu instid0(VALU_DEP_2)
	v_mov_b64_e32 v[0:1], v[4:5]
	s_wait_xcnt 0x0
	s_and_saveexec_b32 s17, s1
; %bb.1534:                             ;   in Loop: Header=BB216_15 Depth=1
	v_clz_i32_u32_e32 v0, v4
	s_delay_alu instid0(VALU_DEP_1) | instskip(NEXT) | instid1(VALU_DEP_1)
	v_min_u32_e32 v3, 32, v0
	v_subrev_nc_u32_e32 v0, 28, v3
	s_delay_alu instid0(VALU_DEP_1) | instskip(NEXT) | instid1(VALU_DEP_1)
	v_lshlrev_b64_e32 v[0:1], v0, v[4:5]
	v_dual_sub_nc_u32 v3, 29, v3 :: v_dual_bitop2_b32 v0, 7, v0 bitop3:0x40
; %bb.1535:                             ;   in Loop: Header=BB216_15 Depth=1
	s_or_b32 exec_lo, exec_lo, s17
	s_delay_alu instid0(VALU_DEP_1) | instskip(NEXT) | instid1(VALU_DEP_2)
	v_dual_lshlrev_b32 v1, 16, v2 :: v_dual_lshlrev_b32 v0, 20, v0
	v_lshl_add_u32 v3, v3, 23, 0x3c000000
	v_mov_b32_e32 v6, v5
	s_delay_alu instid0(VALU_DEP_3) | instskip(NEXT) | instid1(VALU_DEP_1)
	v_and_b32_e32 v1, 0x80000000, v1
	v_or3_b32 v7, v0, v1, v3
	v_mov_b32_e32 v1, v5
	s_clause 0x1
	scratch_store_b64 off, v[6:7], s32 offset:1756
	scratch_store_b64 off, v[0:1], s32 offset:192
.LBB216_1536:                           ;   in Loop: Header=BB216_15 Depth=1
	s_wait_xcnt 0x0
	s_or_b32 exec_lo, exec_lo, s16
.LBB216_1537:                           ;   in Loop: Header=BB216_15 Depth=1
	s_delay_alu instid0(SALU_CYCLE_1)
	s_or_b32 exec_lo, exec_lo, s15
.LBB216_1538:                           ;   in Loop: Header=BB216_15 Depth=1
	s_delay_alu instid0(SALU_CYCLE_1) | instskip(SKIP_3) | instid1(VALU_DEP_1)
	s_or_b32 exec_lo, exec_lo, s14
	v_mov_b64_e32 v[4:5], 0
	v_lshrrev_b32_e32 v3, 16, v2
	s_mov_b32 s14, exec_lo
	v_and_b32_e32 v0, 0xff, v3
	scratch_store_b64 off, v[4:5], s32 offset:1772 ; 8-byte Folded Spill
	s_wait_xcnt 0x0
	v_mov_b64_e32 v[4:5], 0
	scratch_store_b64 off, v[4:5], s32 offset:1780 ; 8-byte Folded Spill
	s_wait_xcnt 0x0
	v_cmpx_ne_u16_e32 0, v0
	s_cbranch_execz .LBB216_1546
; %bb.1539:                             ;   in Loop: Header=BB216_15 Depth=1
	v_cmp_ne_u16_e64 s1, 0x80, v0
	v_mov_b64_e32 v[0:1], 0x80000000
	scratch_store_b64 off, v[0:1], s32 offset:1780 ; 8-byte Folded Spill
	s_wait_xcnt 0x0
	s_and_saveexec_b32 s15, s1
	s_cbranch_execz .LBB216_1545
; %bb.1540:                             ;   in Loop: Header=BB216_15 Depth=1
	v_mov_b64_e32 v[4:5], 0x7f800001
	v_bfe_u32 v0, v2, 16, 7
	s_mov_b32 s16, exec_lo
	scratch_store_b64 off, v[4:5], s32 offset:1780 ; 8-byte Folded Spill
	s_wait_xcnt 0x0
	v_cmpx_ne_u32_e32 0x7f, v0
	s_cbranch_execz .LBB216_1544
; %bb.1541:                             ;   in Loop: Header=BB216_15 Depth=1
	scratch_load_b64 v[6:7], off, s32 offset:192 th:TH_LOAD_LU ; 8-byte Folded Reload
	s_wait_loadcnt 0x0
	v_dual_lshrrev_b32 v4, 3, v0 :: v_dual_bitop2_b32 v6, 7, v3 bitop3:0x40
	v_cmp_gt_u32_e64 s1, 8, v0
	s_delay_alu instid0(VALU_DEP_2)
	v_mov_b64_e32 v[0:1], v[6:7]
	s_wait_xcnt 0x0
	s_and_saveexec_b32 s17, s1
; %bb.1542:                             ;   in Loop: Header=BB216_15 Depth=1
	v_clz_i32_u32_e32 v0, v6
	s_delay_alu instid0(VALU_DEP_1) | instskip(NEXT) | instid1(VALU_DEP_1)
	v_min_u32_e32 v4, 32, v0
	v_subrev_nc_u32_e32 v0, 28, v4
	v_sub_nc_u32_e32 v4, 29, v4
	s_delay_alu instid0(VALU_DEP_2) | instskip(NEXT) | instid1(VALU_DEP_1)
	v_lshlrev_b64_e32 v[0:1], v0, v[6:7]
	v_and_b32_e32 v0, 7, v0
; %bb.1543:                             ;   in Loop: Header=BB216_15 Depth=1
	s_or_b32 exec_lo, exec_lo, s17
	s_delay_alu instid0(VALU_DEP_1) | instskip(SKIP_1) | instid1(VALU_DEP_2)
	v_dual_lshlrev_b32 v1, 24, v3 :: v_dual_lshlrev_b32 v0, 20, v0
	v_lshl_add_u32 v3, v4, 23, 0x3c000000
	v_and_b32_e32 v1, 0x80000000, v1
	s_delay_alu instid0(VALU_DEP_1)
	v_or3_b32 v6, v0, v1, v3
	v_mov_b32_e32 v1, v7
	s_clause 0x1
	scratch_store_b64 off, v[0:1], s32 offset:192
	scratch_store_b64 off, v[6:7], s32 offset:1780
.LBB216_1544:                           ;   in Loop: Header=BB216_15 Depth=1
	s_wait_xcnt 0x0
	s_or_b32 exec_lo, exec_lo, s16
.LBB216_1545:                           ;   in Loop: Header=BB216_15 Depth=1
	s_delay_alu instid0(SALU_CYCLE_1)
	s_or_b32 exec_lo, exec_lo, s15
.LBB216_1546:                           ;   in Loop: Header=BB216_15 Depth=1
	s_delay_alu instid0(SALU_CYCLE_1) | instskip(NEXT) | instid1(SALU_CYCLE_1)
	s_or_b32 exec_lo, exec_lo, s14
	s_mov_b32 s14, exec_lo
	v_cmpx_lt_u32_e32 0xffffff, v2
	s_cbranch_execz .LBB216_1554
; %bb.1547:                             ;   in Loop: Header=BB216_15 Depth=1
	v_mov_b64_e32 v[0:1], 0x8000000000000000
	v_lshrrev_b32_e32 v3, 24, v2
	s_mov_b32 s15, exec_lo
	scratch_store_b64 off, v[0:1], s32 offset:1772 ; 8-byte Folded Spill
	s_wait_xcnt 0x0
	v_cmpx_ne_u32_e32 0x80, v3
	s_cbranch_execz .LBB216_1553
; %bb.1548:                             ;   in Loop: Header=BB216_15 Depth=1
	v_mov_b64_e32 v[4:5], 0x7f80000100000000
	v_bfe_u32 v0, v2, 24, 7
	s_mov_b32 s16, exec_lo
	scratch_store_b64 off, v[4:5], s32 offset:1772 ; 8-byte Folded Spill
	s_wait_xcnt 0x0
	v_cmpx_ne_u32_e32 0x7f, v0
	s_cbranch_execz .LBB216_1552
; %bb.1549:                             ;   in Loop: Header=BB216_15 Depth=1
	scratch_load_b64 v[4:5], off, s32 offset:192 th:TH_LOAD_LU ; 8-byte Folded Reload
	s_wait_loadcnt 0x0
	v_dual_lshrrev_b32 v2, 3, v0 :: v_dual_bitop2_b32 v4, 7, v3 bitop3:0x40
	v_cmp_gt_u32_e64 s1, 8, v0
	s_delay_alu instid0(VALU_DEP_2)
	v_mov_b64_e32 v[0:1], v[4:5]
	s_wait_xcnt 0x0
	s_and_saveexec_b32 s17, s1
; %bb.1550:                             ;   in Loop: Header=BB216_15 Depth=1
	v_clz_i32_u32_e32 v0, v4
	s_delay_alu instid0(VALU_DEP_1) | instskip(NEXT) | instid1(VALU_DEP_1)
	v_min_u32_e32 v2, 32, v0
	v_subrev_nc_u32_e32 v0, 28, v2
	s_delay_alu instid0(VALU_DEP_1) | instskip(NEXT) | instid1(VALU_DEP_1)
	v_lshlrev_b64_e32 v[0:1], v0, v[4:5]
	v_dual_sub_nc_u32 v2, 29, v2 :: v_dual_bitop2_b32 v0, 7, v0 bitop3:0x40
; %bb.1551:                             ;   in Loop: Header=BB216_15 Depth=1
	s_or_b32 exec_lo, exec_lo, s17
	s_delay_alu instid0(VALU_DEP_1) | instskip(NEXT) | instid1(VALU_DEP_2)
	v_dual_lshlrev_b32 v1, 24, v3 :: v_dual_lshlrev_b32 v0, 20, v0
	v_lshl_add_u32 v2, v2, 23, 0x3c000000
	s_delay_alu instid0(VALU_DEP_2) | instskip(NEXT) | instid1(VALU_DEP_1)
	v_and_b32_e32 v1, 0x80000000, v1
	v_or3_b32 v3, v0, v1, v2
	v_dual_mov_b32 v1, v5 :: v_dual_mov_b32 v2, v5
	s_clause 0x1
	scratch_store_b64 off, v[0:1], s32 offset:192
	scratch_store_b64 off, v[2:3], s32 offset:1772
.LBB216_1552:                           ;   in Loop: Header=BB216_15 Depth=1
	s_wait_xcnt 0x0
	s_or_b32 exec_lo, exec_lo, s16
.LBB216_1553:                           ;   in Loop: Header=BB216_15 Depth=1
	s_delay_alu instid0(SALU_CYCLE_1)
	s_or_b32 exec_lo, exec_lo, s15
.LBB216_1554:                           ;   in Loop: Header=BB216_15 Depth=1
	s_delay_alu instid0(SALU_CYCLE_1)
	s_or_b32 exec_lo, exec_lo, s14
	flat_load_b32 v2, v[84:85] offset:6144
	v_mov_b64_e32 v[4:5], 0
	s_mov_b32 s14, exec_lo
	scratch_store_b64 off, v[4:5], s32 offset:1804 ; 8-byte Folded Spill
	s_wait_xcnt 0x0
	v_mov_b64_e32 v[4:5], 0
	scratch_store_b64 off, v[4:5], s32 offset:1788 ; 8-byte Folded Spill
	s_wait_loadcnt_dscnt 0x0
	v_and_b32_e32 v0, 0xff, v2
	s_wait_xcnt 0x0
	s_delay_alu instid0(VALU_DEP_1)
	v_cmpx_ne_u16_e32 0, v0
	s_cbranch_execz .LBB216_1562
; %bb.1555:                             ;   in Loop: Header=BB216_15 Depth=1
	v_cmp_ne_u16_e64 s1, 0x80, v0
	v_mov_b64_e32 v[0:1], 0x80000000
	scratch_store_b64 off, v[0:1], s32 offset:1788 ; 8-byte Folded Spill
	s_wait_xcnt 0x0
	s_and_saveexec_b32 s15, s1
	s_cbranch_execz .LBB216_1561
; %bb.1556:                             ;   in Loop: Header=BB216_15 Depth=1
	v_mov_b64_e32 v[4:5], 0x7f800001
	v_and_b32_e32 v0, 0x7f, v2
	s_mov_b32 s16, exec_lo
	scratch_store_b64 off, v[4:5], s32 offset:1788 ; 8-byte Folded Spill
	s_wait_xcnt 0x0
	v_cmpx_ne_u32_e32 0x7f, v0
	s_cbranch_execz .LBB216_1560
; %bb.1557:                             ;   in Loop: Header=BB216_15 Depth=1
	scratch_load_b64 v[4:5], off, s32 offset:192 th:TH_LOAD_LU ; 8-byte Folded Reload
	s_wait_loadcnt 0x0
	v_dual_lshrrev_b32 v3, 3, v0 :: v_dual_bitop2_b32 v4, 7, v2 bitop3:0x40
	v_cmp_gt_u32_e64 s1, 8, v0
	s_delay_alu instid0(VALU_DEP_2)
	v_mov_b64_e32 v[0:1], v[4:5]
	s_wait_xcnt 0x0
	s_and_saveexec_b32 s17, s1
; %bb.1558:                             ;   in Loop: Header=BB216_15 Depth=1
	v_clz_i32_u32_e32 v0, v4
	s_delay_alu instid0(VALU_DEP_1) | instskip(NEXT) | instid1(VALU_DEP_1)
	v_min_u32_e32 v3, 32, v0
	v_subrev_nc_u32_e32 v0, 28, v3
	s_delay_alu instid0(VALU_DEP_1) | instskip(NEXT) | instid1(VALU_DEP_1)
	v_lshlrev_b64_e32 v[0:1], v0, v[4:5]
	v_dual_sub_nc_u32 v3, 29, v3 :: v_dual_bitop2_b32 v0, 7, v0 bitop3:0x40
; %bb.1559:                             ;   in Loop: Header=BB216_15 Depth=1
	s_or_b32 exec_lo, exec_lo, s17
	s_delay_alu instid0(VALU_DEP_1) | instskip(NEXT) | instid1(VALU_DEP_2)
	v_dual_lshlrev_b32 v1, 24, v2 :: v_dual_lshlrev_b32 v0, 20, v0
	v_lshl_add_u32 v3, v3, 23, 0x3c000000
	s_delay_alu instid0(VALU_DEP_2) | instskip(NEXT) | instid1(VALU_DEP_1)
	v_and_b32_e32 v1, 0x80000000, v1
	v_or3_b32 v4, v0, v1, v3
	v_mov_b32_e32 v1, v5
	s_clause 0x1
	scratch_store_b64 off, v[0:1], s32 offset:192
	scratch_store_b64 off, v[4:5], s32 offset:1788
.LBB216_1560:                           ;   in Loop: Header=BB216_15 Depth=1
	s_wait_xcnt 0x0
	s_or_b32 exec_lo, exec_lo, s16
.LBB216_1561:                           ;   in Loop: Header=BB216_15 Depth=1
	s_delay_alu instid0(SALU_CYCLE_1)
	s_or_b32 exec_lo, exec_lo, s15
.LBB216_1562:                           ;   in Loop: Header=BB216_15 Depth=1
	s_delay_alu instid0(SALU_CYCLE_1) | instskip(SKIP_2) | instid1(VALU_DEP_1)
	s_or_b32 exec_lo, exec_lo, s14
	v_lshrrev_b16 v0, 8, v2
	s_mov_b32 s14, exec_lo
	v_cmpx_ne_u16_e32 0, v0
	s_cbranch_execz .LBB216_1570
; %bb.1563:                             ;   in Loop: Header=BB216_15 Depth=1
	v_mov_b64_e32 v[4:5], 0x8000000000000000
	s_mov_b32 s15, exec_lo
	scratch_store_b64 off, v[4:5], s32 offset:1804 ; 8-byte Folded Spill
	s_wait_xcnt 0x0
	v_cmpx_ne_u16_e32 0x80, v0
	s_cbranch_execz .LBB216_1569
; %bb.1564:                             ;   in Loop: Header=BB216_15 Depth=1
	v_and_b32_e32 v1, 0xffff, v0
	v_mov_b64_e32 v[4:5], 0x7f80000100000000
	s_mov_b32 s16, exec_lo
	s_delay_alu instid0(VALU_DEP_2)
	v_and_b32_e32 v0, 0x7f, v1
	scratch_store_b64 off, v[4:5], s32 offset:1804 ; 8-byte Folded Spill
	s_wait_xcnt 0x0
	v_cmpx_ne_u32_e32 0x7f, v0
	s_cbranch_execz .LBB216_1568
; %bb.1565:                             ;   in Loop: Header=BB216_15 Depth=1
	scratch_load_b64 v[4:5], off, s32 offset:192 th:TH_LOAD_LU ; 8-byte Folded Reload
	s_wait_loadcnt 0x0
	v_dual_lshrrev_b32 v3, 3, v0 :: v_dual_bitop2_b32 v4, 7, v1 bitop3:0x40
	v_cmp_gt_u32_e64 s1, 8, v0
	s_delay_alu instid0(VALU_DEP_2)
	v_mov_b64_e32 v[0:1], v[4:5]
	s_wait_xcnt 0x0
	s_and_saveexec_b32 s17, s1
; %bb.1566:                             ;   in Loop: Header=BB216_15 Depth=1
	v_clz_i32_u32_e32 v0, v4
	s_delay_alu instid0(VALU_DEP_1) | instskip(NEXT) | instid1(VALU_DEP_1)
	v_min_u32_e32 v3, 32, v0
	v_subrev_nc_u32_e32 v0, 28, v3
	s_delay_alu instid0(VALU_DEP_1) | instskip(NEXT) | instid1(VALU_DEP_1)
	v_lshlrev_b64_e32 v[0:1], v0, v[4:5]
	v_dual_sub_nc_u32 v3, 29, v3 :: v_dual_bitop2_b32 v0, 7, v0 bitop3:0x40
; %bb.1567:                             ;   in Loop: Header=BB216_15 Depth=1
	s_or_b32 exec_lo, exec_lo, s17
	s_delay_alu instid0(VALU_DEP_1) | instskip(NEXT) | instid1(VALU_DEP_2)
	v_dual_lshlrev_b32 v1, 16, v2 :: v_dual_lshlrev_b32 v0, 20, v0
	v_lshl_add_u32 v3, v3, 23, 0x3c000000
	v_mov_b32_e32 v6, v5
	s_delay_alu instid0(VALU_DEP_3) | instskip(NEXT) | instid1(VALU_DEP_1)
	v_and_b32_e32 v1, 0x80000000, v1
	v_or3_b32 v7, v0, v1, v3
	v_mov_b32_e32 v1, v5
	s_clause 0x1
	scratch_store_b64 off, v[6:7], s32 offset:1804
	scratch_store_b64 off, v[0:1], s32 offset:192
.LBB216_1568:                           ;   in Loop: Header=BB216_15 Depth=1
	s_wait_xcnt 0x0
	s_or_b32 exec_lo, exec_lo, s16
.LBB216_1569:                           ;   in Loop: Header=BB216_15 Depth=1
	s_delay_alu instid0(SALU_CYCLE_1)
	s_or_b32 exec_lo, exec_lo, s15
.LBB216_1570:                           ;   in Loop: Header=BB216_15 Depth=1
	s_delay_alu instid0(SALU_CYCLE_1) | instskip(SKIP_4) | instid1(VALU_DEP_3)
	s_or_b32 exec_lo, exec_lo, s14
	v_lshrrev_b32_e32 v3, 16, v2
	v_mov_b64_e32 v[116:117], 0
	v_mov_b64_e32 v[0:1], 0
	s_mov_b32 s14, exec_lo
	v_and_b32_e32 v4, 0xff, v3
	scratch_store_b64 off, v[0:1], s32 offset:1796 ; 8-byte Folded Spill
	s_wait_xcnt 0x0
	v_cmpx_ne_u16_e32 0, v4
	s_cbranch_execz .LBB216_1578
; %bb.1571:                             ;   in Loop: Header=BB216_15 Depth=1
	v_mov_b64_e32 v[0:1], 0x80000000
	s_mov_b32 s15, exec_lo
	scratch_store_b64 off, v[0:1], s32 offset:1796 ; 8-byte Folded Spill
	s_wait_xcnt 0x0
	v_cmpx_ne_u16_e32 0x80, v4
	s_cbranch_execz .LBB216_1577
; %bb.1572:                             ;   in Loop: Header=BB216_15 Depth=1
	v_mov_b64_e32 v[0:1], 0x7f800001
	v_bfe_u32 v5, v2, 16, 7
	s_mov_b32 s16, exec_lo
	scratch_store_b64 off, v[0:1], s32 offset:1796 ; 8-byte Folded Spill
	s_wait_xcnt 0x0
	v_cmpx_ne_u32_e32 0x7f, v5
	s_cbranch_execz .LBB216_1576
; %bb.1573:                             ;   in Loop: Header=BB216_15 Depth=1
	scratch_load_b64 v[6:7], off, s32 offset:192 th:TH_LOAD_LU ; 8-byte Folded Reload
	s_wait_loadcnt 0x0
	v_dual_lshrrev_b32 v4, 3, v5 :: v_dual_bitop2_b32 v6, 7, v3 bitop3:0x40
	s_mov_b32 s17, exec_lo
	s_delay_alu instid0(VALU_DEP_1)
	v_mov_b64_e32 v[0:1], v[6:7]
	s_wait_xcnt 0x0
	v_cmpx_gt_u32_e32 8, v5
; %bb.1574:                             ;   in Loop: Header=BB216_15 Depth=1
	v_clz_i32_u32_e32 v0, v6
	s_delay_alu instid0(VALU_DEP_1) | instskip(NEXT) | instid1(VALU_DEP_1)
	v_min_u32_e32 v4, 32, v0
	v_subrev_nc_u32_e32 v0, 28, v4
	v_sub_nc_u32_e32 v4, 29, v4
	s_delay_alu instid0(VALU_DEP_2) | instskip(NEXT) | instid1(VALU_DEP_1)
	v_lshlrev_b64_e32 v[0:1], v0, v[6:7]
	v_and_b32_e32 v0, 7, v0
; %bb.1575:                             ;   in Loop: Header=BB216_15 Depth=1
	s_or_b32 exec_lo, exec_lo, s17
	s_delay_alu instid0(VALU_DEP_1) | instskip(SKIP_1) | instid1(VALU_DEP_2)
	v_dual_lshlrev_b32 v1, 24, v3 :: v_dual_lshlrev_b32 v0, 20, v0
	v_lshl_add_u32 v3, v4, 23, 0x3c000000
	v_and_b32_e32 v1, 0x80000000, v1
	s_delay_alu instid0(VALU_DEP_1)
	v_or3_b32 v6, v0, v1, v3
	v_mov_b32_e32 v1, v7
	s_clause 0x1
	scratch_store_b64 off, v[0:1], s32 offset:192
	scratch_store_b64 off, v[6:7], s32 offset:1796
.LBB216_1576:                           ;   in Loop: Header=BB216_15 Depth=1
	s_wait_xcnt 0x0
	s_or_b32 exec_lo, exec_lo, s16
.LBB216_1577:                           ;   in Loop: Header=BB216_15 Depth=1
	s_delay_alu instid0(SALU_CYCLE_1)
	s_or_b32 exec_lo, exec_lo, s15
.LBB216_1578:                           ;   in Loop: Header=BB216_15 Depth=1
	s_delay_alu instid0(SALU_CYCLE_1) | instskip(NEXT) | instid1(SALU_CYCLE_1)
	s_or_b32 exec_lo, exec_lo, s14
	s_mov_b32 s14, exec_lo
	v_cmpx_lt_u32_e32 0xffffff, v2
	s_cbranch_execz .LBB216_1586
; %bb.1579:                             ;   in Loop: Header=BB216_15 Depth=1
	v_mov_b64_e32 v[116:117], 0x8000000000000000
	v_lshrrev_b32_e32 v4, 24, v2
	s_mov_b32 s15, exec_lo
	s_delay_alu instid0(VALU_DEP_1)
	v_cmpx_ne_u32_e32 0x80, v4
	s_cbranch_execz .LBB216_1585
; %bb.1580:                             ;   in Loop: Header=BB216_15 Depth=1
	v_mov_b64_e32 v[116:117], 0x7f80000100000000
	v_bfe_u32 v2, v2, 24, 7
	s_mov_b32 s16, exec_lo
	s_delay_alu instid0(VALU_DEP_1)
	v_cmpx_ne_u32_e32 0x7f, v2
	s_cbranch_execz .LBB216_1584
; %bb.1581:                             ;   in Loop: Header=BB216_15 Depth=1
	scratch_load_b64 v[6:7], off, s32 offset:192 th:TH_LOAD_LU ; 8-byte Folded Reload
	s_wait_loadcnt 0x0
	v_dual_lshrrev_b32 v5, 3, v2 :: v_dual_bitop2_b32 v6, 7, v4 bitop3:0x40
	v_cmp_gt_u32_e64 s1, 8, v2
	s_delay_alu instid0(VALU_DEP_2)
	v_mov_b64_e32 v[2:3], v[6:7]
	s_wait_xcnt 0x0
	s_and_saveexec_b32 s17, s1
; %bb.1582:                             ;   in Loop: Header=BB216_15 Depth=1
	v_clz_i32_u32_e32 v2, v6
	s_delay_alu instid0(VALU_DEP_1) | instskip(NEXT) | instid1(VALU_DEP_1)
	v_min_u32_e32 v5, 32, v2
	v_subrev_nc_u32_e32 v2, 28, v5
	s_delay_alu instid0(VALU_DEP_1) | instskip(NEXT) | instid1(VALU_DEP_1)
	v_lshlrev_b64_e32 v[2:3], v2, v[6:7]
	v_dual_sub_nc_u32 v5, 29, v5 :: v_dual_bitop2_b32 v2, 7, v2 bitop3:0x40
; %bb.1583:                             ;   in Loop: Header=BB216_15 Depth=1
	s_or_b32 exec_lo, exec_lo, s17
	s_delay_alu instid0(VALU_DEP_1) | instskip(NEXT) | instid1(VALU_DEP_2)
	v_dual_lshlrev_b32 v3, 24, v4 :: v_dual_lshlrev_b32 v2, 20, v2
	v_lshl_add_u32 v4, v5, 23, 0x3c000000
	v_mov_b32_e32 v116, v7
	s_delay_alu instid0(VALU_DEP_3) | instskip(NEXT) | instid1(VALU_DEP_1)
	v_and_b32_e32 v3, 0x80000000, v3
	v_or3_b32 v117, v2, v3, v4
	v_mov_b32_e32 v3, v7
	scratch_store_b64 off, v[2:3], s32 offset:192 ; 8-byte Folded Spill
.LBB216_1584:                           ;   in Loop: Header=BB216_15 Depth=1
	s_wait_xcnt 0x0
	s_or_b32 exec_lo, exec_lo, s16
.LBB216_1585:                           ;   in Loop: Header=BB216_15 Depth=1
	s_delay_alu instid0(SALU_CYCLE_1)
	s_or_b32 exec_lo, exec_lo, s15
.LBB216_1586:                           ;   in Loop: Header=BB216_15 Depth=1
	s_delay_alu instid0(SALU_CYCLE_1)
	s_or_b32 exec_lo, exec_lo, s14
	flat_load_b32 v4, v[84:85] offset:6148
	v_mov_b64_e32 v[114:115], 0
	v_mov_b64_e32 v[0:1], 0
	s_mov_b32 s14, exec_lo
	scratch_store_b64 off, v[0:1], s32 offset:1812 ; 8-byte Folded Spill
	s_wait_loadcnt_dscnt 0x0
	v_and_b32_e32 v2, 0xff, v4
	s_wait_xcnt 0x0
	s_delay_alu instid0(VALU_DEP_1)
	v_cmpx_ne_u16_e32 0, v2
	s_cbranch_execz .LBB216_1594
; %bb.1587:                             ;   in Loop: Header=BB216_15 Depth=1
	v_mov_b64_e32 v[0:1], 0x80000000
	s_mov_b32 s15, exec_lo
	scratch_store_b64 off, v[0:1], s32 offset:1812 ; 8-byte Folded Spill
	s_wait_xcnt 0x0
	v_cmpx_ne_u16_e32 0x80, v2
	s_cbranch_execz .LBB216_1593
; %bb.1588:                             ;   in Loop: Header=BB216_15 Depth=1
	v_mov_b64_e32 v[0:1], 0x7f800001
	v_and_b32_e32 v2, 0x7f, v4
	s_mov_b32 s16, exec_lo
	scratch_store_b64 off, v[0:1], s32 offset:1812 ; 8-byte Folded Spill
	s_wait_xcnt 0x0
	v_cmpx_ne_u32_e32 0x7f, v2
	s_cbranch_execz .LBB216_1592
; %bb.1589:                             ;   in Loop: Header=BB216_15 Depth=1
	scratch_load_b64 v[70:71], off, s32 offset:192 th:TH_LOAD_LU ; 8-byte Folded Reload
	s_wait_loadcnt 0x0
	v_dual_lshrrev_b32 v5, 3, v2 :: v_dual_bitop2_b32 v70, 7, v4 bitop3:0x40
	v_cmp_gt_u32_e64 s1, 8, v2
	s_delay_alu instid0(VALU_DEP_2)
	v_mov_b64_e32 v[2:3], v[70:71]
	s_wait_xcnt 0x0
	s_and_saveexec_b32 s17, s1
; %bb.1590:                             ;   in Loop: Header=BB216_15 Depth=1
	v_clz_i32_u32_e32 v2, v70
	s_delay_alu instid0(VALU_DEP_1) | instskip(NEXT) | instid1(VALU_DEP_1)
	v_min_u32_e32 v5, 32, v2
	v_subrev_nc_u32_e32 v2, 28, v5
	s_delay_alu instid0(VALU_DEP_1) | instskip(NEXT) | instid1(VALU_DEP_1)
	v_lshlrev_b64_e32 v[2:3], v2, v[70:71]
	v_dual_sub_nc_u32 v5, 29, v5 :: v_dual_bitop2_b32 v2, 7, v2 bitop3:0x40
; %bb.1591:                             ;   in Loop: Header=BB216_15 Depth=1
	s_or_b32 exec_lo, exec_lo, s17
	s_delay_alu instid0(VALU_DEP_1) | instskip(NEXT) | instid1(VALU_DEP_2)
	v_dual_lshlrev_b32 v3, 24, v4 :: v_dual_lshlrev_b32 v2, 20, v2
	v_lshl_add_u32 v5, v5, 23, 0x3c000000
	s_delay_alu instid0(VALU_DEP_2) | instskip(NEXT) | instid1(VALU_DEP_1)
	v_and_b32_e32 v3, 0x80000000, v3
	v_or3_b32 v70, v2, v3, v5
	v_mov_b32_e32 v3, v71
	s_clause 0x1
	scratch_store_b64 off, v[2:3], s32 offset:192
	scratch_store_b64 off, v[70:71], s32 offset:1812
.LBB216_1592:                           ;   in Loop: Header=BB216_15 Depth=1
	s_wait_xcnt 0x0
	s_or_b32 exec_lo, exec_lo, s16
.LBB216_1593:                           ;   in Loop: Header=BB216_15 Depth=1
	s_delay_alu instid0(SALU_CYCLE_1)
	s_or_b32 exec_lo, exec_lo, s15
.LBB216_1594:                           ;   in Loop: Header=BB216_15 Depth=1
	s_delay_alu instid0(SALU_CYCLE_1) | instskip(SKIP_2) | instid1(VALU_DEP_1)
	s_or_b32 exec_lo, exec_lo, s14
	v_lshrrev_b16 v2, 8, v4
	s_mov_b32 s14, exec_lo
	v_cmpx_ne_u16_e32 0, v2
	s_cbranch_execz .LBB216_1602
; %bb.1595:                             ;   in Loop: Header=BB216_15 Depth=1
	v_mov_b64_e32 v[114:115], 0x8000000000000000
	s_mov_b32 s15, exec_lo
	v_cmpx_ne_u16_e32 0x80, v2
	s_cbranch_execz .LBB216_1601
; %bb.1596:                             ;   in Loop: Header=BB216_15 Depth=1
	v_and_b32_e32 v3, 0xffff, v2
	v_mov_b64_e32 v[114:115], 0x7f80000100000000
	s_mov_b32 s16, exec_lo
	s_delay_alu instid0(VALU_DEP_2) | instskip(NEXT) | instid1(VALU_DEP_1)
	v_and_b32_e32 v2, 0x7f, v3
	v_cmpx_ne_u32_e32 0x7f, v2
	s_cbranch_execz .LBB216_1600
; %bb.1597:                             ;   in Loop: Header=BB216_15 Depth=1
	scratch_load_b64 v[6:7], off, s32 offset:192 th:TH_LOAD_LU ; 8-byte Folded Reload
	s_wait_loadcnt 0x0
	v_dual_lshrrev_b32 v5, 3, v2 :: v_dual_bitop2_b32 v6, 7, v3 bitop3:0x40
	v_cmp_gt_u32_e64 s1, 8, v2
	s_delay_alu instid0(VALU_DEP_2)
	v_mov_b64_e32 v[2:3], v[6:7]
	s_wait_xcnt 0x0
	s_and_saveexec_b32 s17, s1
; %bb.1598:                             ;   in Loop: Header=BB216_15 Depth=1
	v_clz_i32_u32_e32 v2, v6
	s_delay_alu instid0(VALU_DEP_1) | instskip(NEXT) | instid1(VALU_DEP_1)
	v_min_u32_e32 v5, 32, v2
	v_subrev_nc_u32_e32 v2, 28, v5
	s_delay_alu instid0(VALU_DEP_1) | instskip(NEXT) | instid1(VALU_DEP_1)
	v_lshlrev_b64_e32 v[2:3], v2, v[6:7]
	v_dual_sub_nc_u32 v5, 29, v5 :: v_dual_bitop2_b32 v2, 7, v2 bitop3:0x40
; %bb.1599:                             ;   in Loop: Header=BB216_15 Depth=1
	s_or_b32 exec_lo, exec_lo, s17
	s_delay_alu instid0(VALU_DEP_1) | instskip(NEXT) | instid1(VALU_DEP_2)
	v_dual_lshlrev_b32 v3, 16, v4 :: v_dual_lshlrev_b32 v2, 20, v2
	v_lshl_add_u32 v5, v5, 23, 0x3c000000
	v_mov_b32_e32 v114, v7
	s_delay_alu instid0(VALU_DEP_3) | instskip(NEXT) | instid1(VALU_DEP_1)
	v_and_b32_e32 v3, 0x80000000, v3
	v_or3_b32 v115, v2, v3, v5
	v_mov_b32_e32 v3, v7
	scratch_store_b64 off, v[2:3], s32 offset:192 ; 8-byte Folded Spill
.LBB216_1600:                           ;   in Loop: Header=BB216_15 Depth=1
	s_wait_xcnt 0x0
	s_or_b32 exec_lo, exec_lo, s16
.LBB216_1601:                           ;   in Loop: Header=BB216_15 Depth=1
	s_delay_alu instid0(SALU_CYCLE_1)
	s_or_b32 exec_lo, exec_lo, s15
.LBB216_1602:                           ;   in Loop: Header=BB216_15 Depth=1
	s_delay_alu instid0(SALU_CYCLE_1) | instskip(SKIP_4) | instid1(VALU_DEP_3)
	s_or_b32 exec_lo, exec_lo, s14
	v_lshrrev_b32_e32 v5, 16, v4
	v_mov_b64_e32 v[118:119], 0
	v_mov_b64_e32 v[82:83], 0
	s_mov_b32 s14, exec_lo
	v_and_b32_e32 v2, 0xff, v5
	s_delay_alu instid0(VALU_DEP_1)
	v_cmpx_ne_u16_e32 0, v2
	s_cbranch_execz .LBB216_1610
; %bb.1603:                             ;   in Loop: Header=BB216_15 Depth=1
	v_mov_b64_e32 v[82:83], 0x80000000
	s_mov_b32 s15, exec_lo
	v_cmpx_ne_u16_e32 0x80, v2
	s_cbranch_execz .LBB216_1609
; %bb.1604:                             ;   in Loop: Header=BB216_15 Depth=1
	v_mov_b64_e32 v[82:83], 0x7f800001
	v_bfe_u32 v2, v4, 16, 7
	s_mov_b32 s16, exec_lo
	s_delay_alu instid0(VALU_DEP_1)
	v_cmpx_ne_u32_e32 0x7f, v2
	s_cbranch_execz .LBB216_1608
; %bb.1605:                             ;   in Loop: Header=BB216_15 Depth=1
	scratch_load_b64 v[82:83], off, s32 offset:192 th:TH_LOAD_LU ; 8-byte Folded Reload
	s_wait_loadcnt 0x0
	v_dual_lshrrev_b32 v6, 3, v2 :: v_dual_bitop2_b32 v82, 7, v5 bitop3:0x40
	v_cmp_gt_u32_e64 s1, 8, v2
	s_delay_alu instid0(VALU_DEP_2)
	v_mov_b64_e32 v[2:3], v[82:83]
	s_wait_xcnt 0x0
	s_and_saveexec_b32 s17, s1
; %bb.1606:                             ;   in Loop: Header=BB216_15 Depth=1
	v_clz_i32_u32_e32 v2, v82
	s_delay_alu instid0(VALU_DEP_1) | instskip(NEXT) | instid1(VALU_DEP_1)
	v_min_u32_e32 v6, 32, v2
	v_subrev_nc_u32_e32 v2, 28, v6
	v_sub_nc_u32_e32 v6, 29, v6
	s_delay_alu instid0(VALU_DEP_2) | instskip(NEXT) | instid1(VALU_DEP_1)
	v_lshlrev_b64_e32 v[2:3], v2, v[82:83]
	v_and_b32_e32 v2, 7, v2
; %bb.1607:                             ;   in Loop: Header=BB216_15 Depth=1
	s_or_b32 exec_lo, exec_lo, s17
	s_delay_alu instid0(VALU_DEP_1) | instskip(SKIP_1) | instid1(VALU_DEP_2)
	v_dual_lshlrev_b32 v3, 24, v5 :: v_dual_lshlrev_b32 v2, 20, v2
	v_lshl_add_u32 v5, v6, 23, 0x3c000000
	v_and_b32_e32 v3, 0x80000000, v3
	s_delay_alu instid0(VALU_DEP_1)
	v_or3_b32 v82, v2, v3, v5
	v_mov_b32_e32 v3, v83
	scratch_store_b64 off, v[2:3], s32 offset:192 ; 8-byte Folded Spill
.LBB216_1608:                           ;   in Loop: Header=BB216_15 Depth=1
	s_wait_xcnt 0x0
	s_or_b32 exec_lo, exec_lo, s16
.LBB216_1609:                           ;   in Loop: Header=BB216_15 Depth=1
	s_delay_alu instid0(SALU_CYCLE_1)
	s_or_b32 exec_lo, exec_lo, s15
.LBB216_1610:                           ;   in Loop: Header=BB216_15 Depth=1
	s_delay_alu instid0(SALU_CYCLE_1) | instskip(NEXT) | instid1(SALU_CYCLE_1)
	s_or_b32 exec_lo, exec_lo, s14
	s_mov_b32 s14, exec_lo
	v_cmpx_lt_u32_e32 0xffffff, v4
	s_cbranch_execz .LBB216_1618
; %bb.1611:                             ;   in Loop: Header=BB216_15 Depth=1
	v_mov_b64_e32 v[118:119], 0x8000000000000000
	v_lshrrev_b32_e32 v5, 24, v4
	s_mov_b32 s15, exec_lo
	s_delay_alu instid0(VALU_DEP_1)
	v_cmpx_ne_u32_e32 0x80, v5
	s_cbranch_execz .LBB216_1617
; %bb.1612:                             ;   in Loop: Header=BB216_15 Depth=1
	v_mov_b64_e32 v[118:119], 0x7f80000100000000
	v_bfe_u32 v2, v4, 24, 7
	s_mov_b32 s16, exec_lo
	s_delay_alu instid0(VALU_DEP_1)
	v_cmpx_ne_u32_e32 0x7f, v2
	s_cbranch_execz .LBB216_1616
; %bb.1613:                             ;   in Loop: Header=BB216_15 Depth=1
	scratch_load_b64 v[6:7], off, s32 offset:192 th:TH_LOAD_LU ; 8-byte Folded Reload
	s_wait_loadcnt 0x0
	v_dual_lshrrev_b32 v4, 3, v2 :: v_dual_bitop2_b32 v6, 7, v5 bitop3:0x40
	v_cmp_gt_u32_e64 s1, 8, v2
	s_delay_alu instid0(VALU_DEP_2)
	v_mov_b64_e32 v[2:3], v[6:7]
	s_wait_xcnt 0x0
	s_and_saveexec_b32 s17, s1
; %bb.1614:                             ;   in Loop: Header=BB216_15 Depth=1
	v_clz_i32_u32_e32 v2, v6
	s_delay_alu instid0(VALU_DEP_1) | instskip(NEXT) | instid1(VALU_DEP_1)
	v_min_u32_e32 v4, 32, v2
	v_subrev_nc_u32_e32 v2, 28, v4
	s_delay_alu instid0(VALU_DEP_1) | instskip(NEXT) | instid1(VALU_DEP_1)
	v_lshlrev_b64_e32 v[2:3], v2, v[6:7]
	v_dual_sub_nc_u32 v4, 29, v4 :: v_dual_bitop2_b32 v2, 7, v2 bitop3:0x40
; %bb.1615:                             ;   in Loop: Header=BB216_15 Depth=1
	s_or_b32 exec_lo, exec_lo, s17
	s_delay_alu instid0(VALU_DEP_1) | instskip(NEXT) | instid1(VALU_DEP_2)
	v_dual_lshlrev_b32 v3, 24, v5 :: v_dual_lshlrev_b32 v2, 20, v2
	v_lshl_add_u32 v4, v4, 23, 0x3c000000
	v_mov_b32_e32 v118, v7
	s_delay_alu instid0(VALU_DEP_3) | instskip(NEXT) | instid1(VALU_DEP_1)
	v_and_b32_e32 v3, 0x80000000, v3
	v_or3_b32 v119, v2, v3, v4
	v_mov_b32_e32 v3, v7
	scratch_store_b64 off, v[2:3], s32 offset:192 ; 8-byte Folded Spill
.LBB216_1616:                           ;   in Loop: Header=BB216_15 Depth=1
	s_wait_xcnt 0x0
	s_or_b32 exec_lo, exec_lo, s16
.LBB216_1617:                           ;   in Loop: Header=BB216_15 Depth=1
	s_delay_alu instid0(SALU_CYCLE_1)
	s_or_b32 exec_lo, exec_lo, s15
.LBB216_1618:                           ;   in Loop: Header=BB216_15 Depth=1
	s_delay_alu instid0(SALU_CYCLE_1)
	s_or_b32 exec_lo, exec_lo, s14
	flat_load_b32 v4, v[84:85] offset:6152
	v_mov_b64_e32 v[124:125], 0
	v_mov_b64_e32 v[56:57], 0
	s_mov_b32 s14, exec_lo
	s_wait_loadcnt_dscnt 0x0
	v_and_b32_e32 v2, 0xff, v4
	s_wait_xcnt 0x0
	s_delay_alu instid0(VALU_DEP_1)
	v_cmpx_ne_u16_e32 0, v2
	s_cbranch_execz .LBB216_1626
; %bb.1619:                             ;   in Loop: Header=BB216_15 Depth=1
	v_mov_b64_e32 v[56:57], 0x80000000
	s_mov_b32 s15, exec_lo
	v_cmpx_ne_u16_e32 0x80, v2
	s_cbranch_execz .LBB216_1625
; %bb.1620:                             ;   in Loop: Header=BB216_15 Depth=1
	v_mov_b64_e32 v[56:57], 0x7f800001
	v_and_b32_e32 v2, 0x7f, v4
	s_mov_b32 s16, exec_lo
	s_delay_alu instid0(VALU_DEP_1)
	v_cmpx_ne_u32_e32 0x7f, v2
	s_cbranch_execz .LBB216_1624
; %bb.1621:                             ;   in Loop: Header=BB216_15 Depth=1
	scratch_load_b64 v[56:57], off, s32 offset:192 th:TH_LOAD_LU ; 8-byte Folded Reload
	s_wait_loadcnt 0x0
	v_dual_lshrrev_b32 v5, 3, v2 :: v_dual_bitop2_b32 v56, 7, v4 bitop3:0x40
	v_cmp_gt_u32_e64 s1, 8, v2
	s_delay_alu instid0(VALU_DEP_2)
	v_mov_b64_e32 v[2:3], v[56:57]
	s_wait_xcnt 0x0
	s_and_saveexec_b32 s17, s1
; %bb.1622:                             ;   in Loop: Header=BB216_15 Depth=1
	v_clz_i32_u32_e32 v2, v56
	s_delay_alu instid0(VALU_DEP_1) | instskip(NEXT) | instid1(VALU_DEP_1)
	v_min_u32_e32 v5, 32, v2
	v_subrev_nc_u32_e32 v2, 28, v5
	s_delay_alu instid0(VALU_DEP_1) | instskip(NEXT) | instid1(VALU_DEP_1)
	v_lshlrev_b64_e32 v[2:3], v2, v[56:57]
	v_dual_sub_nc_u32 v5, 29, v5 :: v_dual_bitop2_b32 v2, 7, v2 bitop3:0x40
; %bb.1623:                             ;   in Loop: Header=BB216_15 Depth=1
	s_or_b32 exec_lo, exec_lo, s17
	s_delay_alu instid0(VALU_DEP_1) | instskip(NEXT) | instid1(VALU_DEP_2)
	v_dual_lshlrev_b32 v3, 24, v4 :: v_dual_lshlrev_b32 v2, 20, v2
	v_lshl_add_u32 v5, v5, 23, 0x3c000000
	s_delay_alu instid0(VALU_DEP_2) | instskip(NEXT) | instid1(VALU_DEP_1)
	v_and_b32_e32 v3, 0x80000000, v3
	v_or3_b32 v56, v2, v3, v5
	v_mov_b32_e32 v3, v57
	scratch_store_b64 off, v[2:3], s32 offset:192 ; 8-byte Folded Spill
.LBB216_1624:                           ;   in Loop: Header=BB216_15 Depth=1
	s_wait_xcnt 0x0
	s_or_b32 exec_lo, exec_lo, s16
.LBB216_1625:                           ;   in Loop: Header=BB216_15 Depth=1
	s_delay_alu instid0(SALU_CYCLE_1)
	s_or_b32 exec_lo, exec_lo, s15
.LBB216_1626:                           ;   in Loop: Header=BB216_15 Depth=1
	s_delay_alu instid0(SALU_CYCLE_1) | instskip(SKIP_2) | instid1(VALU_DEP_1)
	s_or_b32 exec_lo, exec_lo, s14
	v_lshrrev_b16 v2, 8, v4
	s_mov_b32 s14, exec_lo
	v_cmpx_ne_u16_e32 0, v2
	s_cbranch_execz .LBB216_1634
; %bb.1627:                             ;   in Loop: Header=BB216_15 Depth=1
	v_mov_b64_e32 v[124:125], 0x8000000000000000
	s_mov_b32 s15, exec_lo
	v_cmpx_ne_u16_e32 0x80, v2
	s_cbranch_execz .LBB216_1633
; %bb.1628:                             ;   in Loop: Header=BB216_15 Depth=1
	v_and_b32_e32 v3, 0xffff, v2
	v_mov_b64_e32 v[124:125], 0x7f80000100000000
	s_mov_b32 s16, exec_lo
	s_delay_alu instid0(VALU_DEP_2) | instskip(NEXT) | instid1(VALU_DEP_1)
	v_and_b32_e32 v2, 0x7f, v3
	v_cmpx_ne_u32_e32 0x7f, v2
	s_cbranch_execz .LBB216_1632
; %bb.1629:                             ;   in Loop: Header=BB216_15 Depth=1
	scratch_load_b64 v[6:7], off, s32 offset:192 th:TH_LOAD_LU ; 8-byte Folded Reload
	s_wait_loadcnt 0x0
	v_dual_lshrrev_b32 v5, 3, v2 :: v_dual_bitop2_b32 v6, 7, v3 bitop3:0x40
	v_cmp_gt_u32_e64 s1, 8, v2
	s_delay_alu instid0(VALU_DEP_2)
	v_mov_b64_e32 v[2:3], v[6:7]
	s_wait_xcnt 0x0
	s_and_saveexec_b32 s17, s1
; %bb.1630:                             ;   in Loop: Header=BB216_15 Depth=1
	v_clz_i32_u32_e32 v2, v6
	s_delay_alu instid0(VALU_DEP_1) | instskip(NEXT) | instid1(VALU_DEP_1)
	v_min_u32_e32 v5, 32, v2
	v_subrev_nc_u32_e32 v2, 28, v5
	s_delay_alu instid0(VALU_DEP_1) | instskip(NEXT) | instid1(VALU_DEP_1)
	v_lshlrev_b64_e32 v[2:3], v2, v[6:7]
	v_dual_sub_nc_u32 v5, 29, v5 :: v_dual_bitop2_b32 v2, 7, v2 bitop3:0x40
; %bb.1631:                             ;   in Loop: Header=BB216_15 Depth=1
	s_or_b32 exec_lo, exec_lo, s17
	s_delay_alu instid0(VALU_DEP_1) | instskip(NEXT) | instid1(VALU_DEP_2)
	v_dual_lshlrev_b32 v3, 16, v4 :: v_dual_lshlrev_b32 v2, 20, v2
	v_lshl_add_u32 v5, v5, 23, 0x3c000000
	v_mov_b32_e32 v124, v7
	s_delay_alu instid0(VALU_DEP_3) | instskip(NEXT) | instid1(VALU_DEP_1)
	v_and_b32_e32 v3, 0x80000000, v3
	v_or3_b32 v125, v2, v3, v5
	v_mov_b32_e32 v3, v7
	scratch_store_b64 off, v[2:3], s32 offset:192 ; 8-byte Folded Spill
.LBB216_1632:                           ;   in Loop: Header=BB216_15 Depth=1
	s_wait_xcnt 0x0
	s_or_b32 exec_lo, exec_lo, s16
.LBB216_1633:                           ;   in Loop: Header=BB216_15 Depth=1
	s_delay_alu instid0(SALU_CYCLE_1)
	s_or_b32 exec_lo, exec_lo, s15
.LBB216_1634:                           ;   in Loop: Header=BB216_15 Depth=1
	s_delay_alu instid0(SALU_CYCLE_1) | instskip(SKIP_4) | instid1(VALU_DEP_3)
	s_or_b32 exec_lo, exec_lo, s14
	v_lshrrev_b32_e32 v5, 16, v4
	v_mov_b64_e32 v[42:43], 0
	v_mov_b64_e32 v[0:1], 0
	s_mov_b32 s14, exec_lo
	v_and_b32_e32 v2, 0xff, v5
	s_delay_alu instid0(VALU_DEP_1)
	v_cmpx_ne_u16_e32 0, v2
	s_cbranch_execz .LBB216_1642
; %bb.1635:                             ;   in Loop: Header=BB216_15 Depth=1
	v_mov_b64_e32 v[0:1], 0x80000000
	s_mov_b32 s15, exec_lo
	v_cmpx_ne_u16_e32 0x80, v2
	s_cbranch_execz .LBB216_1641
; %bb.1636:                             ;   in Loop: Header=BB216_15 Depth=1
	v_mov_b64_e32 v[0:1], 0x7f800001
	v_bfe_u32 v2, v4, 16, 7
	s_mov_b32 s16, exec_lo
	s_delay_alu instid0(VALU_DEP_1)
	v_cmpx_ne_u32_e32 0x7f, v2
	s_cbranch_execz .LBB216_1640
; %bb.1637:                             ;   in Loop: Header=BB216_15 Depth=1
	scratch_load_b64 v[0:1], off, s32 offset:192 th:TH_LOAD_LU ; 8-byte Folded Reload
	s_wait_loadcnt 0x0
	v_dual_lshrrev_b32 v6, 3, v2 :: v_dual_bitop2_b32 v0, 7, v5 bitop3:0x40
	v_cmp_gt_u32_e64 s1, 8, v2
	s_delay_alu instid0(VALU_DEP_2)
	v_mov_b64_e32 v[2:3], v[0:1]
	s_wait_xcnt 0x0
	s_and_saveexec_b32 s17, s1
; %bb.1638:                             ;   in Loop: Header=BB216_15 Depth=1
	v_clz_i32_u32_e32 v2, v0
	s_delay_alu instid0(VALU_DEP_1) | instskip(NEXT) | instid1(VALU_DEP_1)
	v_min_u32_e32 v6, 32, v2
	v_subrev_nc_u32_e32 v2, 28, v6
	v_sub_nc_u32_e32 v6, 29, v6
	s_delay_alu instid0(VALU_DEP_2) | instskip(NEXT) | instid1(VALU_DEP_1)
	v_lshlrev_b64_e32 v[2:3], v2, v[0:1]
	v_and_b32_e32 v2, 7, v2
; %bb.1639:                             ;   in Loop: Header=BB216_15 Depth=1
	s_or_b32 exec_lo, exec_lo, s17
	s_delay_alu instid0(VALU_DEP_1) | instskip(SKIP_1) | instid1(VALU_DEP_2)
	v_dual_lshlrev_b32 v3, 24, v5 :: v_dual_lshlrev_b32 v2, 20, v2
	v_lshl_add_u32 v5, v6, 23, 0x3c000000
	v_and_b32_e32 v3, 0x80000000, v3
	s_delay_alu instid0(VALU_DEP_1)
	v_or3_b32 v0, v2, v3, v5
	v_mov_b32_e32 v3, v1
	scratch_store_b64 off, v[2:3], s32 offset:192 ; 8-byte Folded Spill
.LBB216_1640:                           ;   in Loop: Header=BB216_15 Depth=1
	s_wait_xcnt 0x0
	s_or_b32 exec_lo, exec_lo, s16
.LBB216_1641:                           ;   in Loop: Header=BB216_15 Depth=1
	s_delay_alu instid0(SALU_CYCLE_1)
	s_or_b32 exec_lo, exec_lo, s15
.LBB216_1642:                           ;   in Loop: Header=BB216_15 Depth=1
	s_delay_alu instid0(SALU_CYCLE_1) | instskip(NEXT) | instid1(SALU_CYCLE_1)
	s_or_b32 exec_lo, exec_lo, s14
	s_mov_b32 s14, exec_lo
	v_cmpx_lt_u32_e32 0xffffff, v4
	s_cbranch_execz .LBB216_1650
; %bb.1643:                             ;   in Loop: Header=BB216_15 Depth=1
	v_mov_b64_e32 v[42:43], 0x8000000000000000
	v_lshrrev_b32_e32 v5, 24, v4
	s_mov_b32 s15, exec_lo
	s_delay_alu instid0(VALU_DEP_1)
	v_cmpx_ne_u32_e32 0x80, v5
	s_cbranch_execz .LBB216_1649
; %bb.1644:                             ;   in Loop: Header=BB216_15 Depth=1
	v_mov_b64_e32 v[42:43], 0x7f80000100000000
	v_bfe_u32 v2, v4, 24, 7
	s_mov_b32 s16, exec_lo
	s_delay_alu instid0(VALU_DEP_1)
	v_cmpx_ne_u32_e32 0x7f, v2
	s_cbranch_execz .LBB216_1648
; %bb.1645:                             ;   in Loop: Header=BB216_15 Depth=1
	scratch_load_b64 v[6:7], off, s32 offset:192 th:TH_LOAD_LU ; 8-byte Folded Reload
	s_wait_loadcnt 0x0
	v_dual_lshrrev_b32 v4, 3, v2 :: v_dual_bitop2_b32 v6, 7, v5 bitop3:0x40
	v_cmp_gt_u32_e64 s1, 8, v2
	s_delay_alu instid0(VALU_DEP_2)
	v_mov_b64_e32 v[2:3], v[6:7]
	s_wait_xcnt 0x0
	s_and_saveexec_b32 s17, s1
; %bb.1646:                             ;   in Loop: Header=BB216_15 Depth=1
	v_clz_i32_u32_e32 v2, v6
	s_delay_alu instid0(VALU_DEP_1) | instskip(NEXT) | instid1(VALU_DEP_1)
	v_min_u32_e32 v4, 32, v2
	v_subrev_nc_u32_e32 v2, 28, v4
	s_delay_alu instid0(VALU_DEP_1) | instskip(NEXT) | instid1(VALU_DEP_1)
	v_lshlrev_b64_e32 v[2:3], v2, v[6:7]
	v_dual_sub_nc_u32 v4, 29, v4 :: v_dual_bitop2_b32 v2, 7, v2 bitop3:0x40
; %bb.1647:                             ;   in Loop: Header=BB216_15 Depth=1
	s_or_b32 exec_lo, exec_lo, s17
	s_delay_alu instid0(VALU_DEP_1) | instskip(NEXT) | instid1(VALU_DEP_2)
	v_dual_lshlrev_b32 v3, 24, v5 :: v_dual_lshlrev_b32 v2, 20, v2
	v_lshl_add_u32 v4, v4, 23, 0x3c000000
	v_mov_b32_e32 v42, v7
	s_delay_alu instid0(VALU_DEP_3) | instskip(NEXT) | instid1(VALU_DEP_1)
	v_and_b32_e32 v3, 0x80000000, v3
	v_or3_b32 v43, v2, v3, v4
	v_mov_b32_e32 v3, v7
	scratch_store_b64 off, v[2:3], s32 offset:192 ; 8-byte Folded Spill
.LBB216_1648:                           ;   in Loop: Header=BB216_15 Depth=1
	s_wait_xcnt 0x0
	s_or_b32 exec_lo, exec_lo, s16
.LBB216_1649:                           ;   in Loop: Header=BB216_15 Depth=1
	s_delay_alu instid0(SALU_CYCLE_1)
	s_or_b32 exec_lo, exec_lo, s15
.LBB216_1650:                           ;   in Loop: Header=BB216_15 Depth=1
	s_delay_alu instid0(SALU_CYCLE_1)
	s_or_b32 exec_lo, exec_lo, s14
	flat_load_b32 v4, v[84:85] offset:6156
	v_mov_b64_e32 v[44:45], 0
	v_mov_b64_e32 v[86:87], 0
	s_mov_b32 s14, exec_lo
	s_wait_loadcnt_dscnt 0x0
	v_and_b32_e32 v2, 0xff, v4
	s_wait_xcnt 0x0
	s_delay_alu instid0(VALU_DEP_1)
	v_cmpx_ne_u16_e32 0, v2
	s_cbranch_execz .LBB216_1658
; %bb.1651:                             ;   in Loop: Header=BB216_15 Depth=1
	v_mov_b64_e32 v[86:87], 0x80000000
	s_mov_b32 s15, exec_lo
	v_cmpx_ne_u16_e32 0x80, v2
	s_cbranch_execz .LBB216_1657
; %bb.1652:                             ;   in Loop: Header=BB216_15 Depth=1
	v_mov_b64_e32 v[86:87], 0x7f800001
	v_and_b32_e32 v2, 0x7f, v4
	s_mov_b32 s16, exec_lo
	s_delay_alu instid0(VALU_DEP_1)
	v_cmpx_ne_u32_e32 0x7f, v2
	s_cbranch_execz .LBB216_1656
; %bb.1653:                             ;   in Loop: Header=BB216_15 Depth=1
	scratch_load_b64 v[86:87], off, s32 offset:192 th:TH_LOAD_LU ; 8-byte Folded Reload
	s_wait_loadcnt 0x0
	v_dual_lshrrev_b32 v5, 3, v2 :: v_dual_bitop2_b32 v86, 7, v4 bitop3:0x40
	v_cmp_gt_u32_e64 s1, 8, v2
	s_delay_alu instid0(VALU_DEP_2)
	v_mov_b64_e32 v[2:3], v[86:87]
	s_wait_xcnt 0x0
	s_and_saveexec_b32 s17, s1
; %bb.1654:                             ;   in Loop: Header=BB216_15 Depth=1
	v_clz_i32_u32_e32 v2, v86
	s_delay_alu instid0(VALU_DEP_1) | instskip(NEXT) | instid1(VALU_DEP_1)
	v_min_u32_e32 v5, 32, v2
	v_subrev_nc_u32_e32 v2, 28, v5
	s_delay_alu instid0(VALU_DEP_1) | instskip(NEXT) | instid1(VALU_DEP_1)
	v_lshlrev_b64_e32 v[2:3], v2, v[86:87]
	v_dual_sub_nc_u32 v5, 29, v5 :: v_dual_bitop2_b32 v2, 7, v2 bitop3:0x40
; %bb.1655:                             ;   in Loop: Header=BB216_15 Depth=1
	s_or_b32 exec_lo, exec_lo, s17
	s_delay_alu instid0(VALU_DEP_1) | instskip(NEXT) | instid1(VALU_DEP_2)
	v_dual_lshlrev_b32 v3, 24, v4 :: v_dual_lshlrev_b32 v2, 20, v2
	v_lshl_add_u32 v5, v5, 23, 0x3c000000
	s_delay_alu instid0(VALU_DEP_2) | instskip(NEXT) | instid1(VALU_DEP_1)
	v_and_b32_e32 v3, 0x80000000, v3
	v_or3_b32 v86, v2, v3, v5
	v_mov_b32_e32 v3, v87
	scratch_store_b64 off, v[2:3], s32 offset:192 ; 8-byte Folded Spill
.LBB216_1656:                           ;   in Loop: Header=BB216_15 Depth=1
	s_wait_xcnt 0x0
	s_or_b32 exec_lo, exec_lo, s16
.LBB216_1657:                           ;   in Loop: Header=BB216_15 Depth=1
	s_delay_alu instid0(SALU_CYCLE_1)
	s_or_b32 exec_lo, exec_lo, s15
.LBB216_1658:                           ;   in Loop: Header=BB216_15 Depth=1
	s_delay_alu instid0(SALU_CYCLE_1) | instskip(SKIP_2) | instid1(VALU_DEP_1)
	s_or_b32 exec_lo, exec_lo, s14
	v_lshrrev_b16 v2, 8, v4
	s_mov_b32 s14, exec_lo
	v_cmpx_ne_u16_e32 0, v2
	s_cbranch_execz .LBB216_1666
; %bb.1659:                             ;   in Loop: Header=BB216_15 Depth=1
	v_mov_b64_e32 v[44:45], 0x8000000000000000
	s_mov_b32 s15, exec_lo
	v_cmpx_ne_u16_e32 0x80, v2
	s_cbranch_execz .LBB216_1665
; %bb.1660:                             ;   in Loop: Header=BB216_15 Depth=1
	v_and_b32_e32 v3, 0xffff, v2
	v_mov_b64_e32 v[44:45], 0x7f80000100000000
	s_mov_b32 s16, exec_lo
	s_delay_alu instid0(VALU_DEP_2) | instskip(NEXT) | instid1(VALU_DEP_1)
	v_and_b32_e32 v2, 0x7f, v3
	v_cmpx_ne_u32_e32 0x7f, v2
	s_cbranch_execz .LBB216_1664
; %bb.1661:                             ;   in Loop: Header=BB216_15 Depth=1
	scratch_load_b64 v[6:7], off, s32 offset:192 th:TH_LOAD_LU ; 8-byte Folded Reload
	s_wait_loadcnt 0x0
	v_dual_lshrrev_b32 v5, 3, v2 :: v_dual_bitop2_b32 v6, 7, v3 bitop3:0x40
	v_cmp_gt_u32_e64 s1, 8, v2
	s_delay_alu instid0(VALU_DEP_2)
	v_mov_b64_e32 v[2:3], v[6:7]
	s_wait_xcnt 0x0
	s_and_saveexec_b32 s17, s1
; %bb.1662:                             ;   in Loop: Header=BB216_15 Depth=1
	v_clz_i32_u32_e32 v2, v6
	s_delay_alu instid0(VALU_DEP_1) | instskip(NEXT) | instid1(VALU_DEP_1)
	v_min_u32_e32 v5, 32, v2
	v_subrev_nc_u32_e32 v2, 28, v5
	s_delay_alu instid0(VALU_DEP_1) | instskip(NEXT) | instid1(VALU_DEP_1)
	v_lshlrev_b64_e32 v[2:3], v2, v[6:7]
	v_dual_sub_nc_u32 v5, 29, v5 :: v_dual_bitop2_b32 v2, 7, v2 bitop3:0x40
; %bb.1663:                             ;   in Loop: Header=BB216_15 Depth=1
	s_or_b32 exec_lo, exec_lo, s17
	s_delay_alu instid0(VALU_DEP_1) | instskip(NEXT) | instid1(VALU_DEP_2)
	v_dual_lshlrev_b32 v3, 16, v4 :: v_dual_lshlrev_b32 v2, 20, v2
	v_lshl_add_u32 v5, v5, 23, 0x3c000000
	v_mov_b32_e32 v44, v7
	s_delay_alu instid0(VALU_DEP_3) | instskip(NEXT) | instid1(VALU_DEP_1)
	v_and_b32_e32 v3, 0x80000000, v3
	v_or3_b32 v45, v2, v3, v5
	v_mov_b32_e32 v3, v7
	scratch_store_b64 off, v[2:3], s32 offset:192 ; 8-byte Folded Spill
.LBB216_1664:                           ;   in Loop: Header=BB216_15 Depth=1
	s_wait_xcnt 0x0
	s_or_b32 exec_lo, exec_lo, s16
.LBB216_1665:                           ;   in Loop: Header=BB216_15 Depth=1
	s_delay_alu instid0(SALU_CYCLE_1)
	s_or_b32 exec_lo, exec_lo, s15
.LBB216_1666:                           ;   in Loop: Header=BB216_15 Depth=1
	s_delay_alu instid0(SALU_CYCLE_1) | instskip(SKIP_4) | instid1(VALU_DEP_3)
	s_or_b32 exec_lo, exec_lo, s14
	v_lshrrev_b32_e32 v5, 16, v4
	v_mov_b64_e32 v[104:105], 0
	v_mov_b64_e32 v[72:73], 0
	s_mov_b32 s14, exec_lo
	v_and_b32_e32 v2, 0xff, v5
	s_delay_alu instid0(VALU_DEP_1)
	v_cmpx_ne_u16_e32 0, v2
	s_cbranch_execz .LBB216_1674
; %bb.1667:                             ;   in Loop: Header=BB216_15 Depth=1
	v_mov_b64_e32 v[72:73], 0x80000000
	s_mov_b32 s15, exec_lo
	v_cmpx_ne_u16_e32 0x80, v2
	s_cbranch_execz .LBB216_1673
; %bb.1668:                             ;   in Loop: Header=BB216_15 Depth=1
	v_mov_b64_e32 v[72:73], 0x7f800001
	v_bfe_u32 v2, v4, 16, 7
	s_mov_b32 s16, exec_lo
	s_delay_alu instid0(VALU_DEP_1)
	v_cmpx_ne_u32_e32 0x7f, v2
	s_cbranch_execz .LBB216_1672
; %bb.1669:                             ;   in Loop: Header=BB216_15 Depth=1
	scratch_load_b64 v[72:73], off, s32 offset:192 th:TH_LOAD_LU ; 8-byte Folded Reload
	s_wait_loadcnt 0x0
	v_dual_lshrrev_b32 v6, 3, v2 :: v_dual_bitop2_b32 v72, 7, v5 bitop3:0x40
	v_cmp_gt_u32_e64 s1, 8, v2
	s_delay_alu instid0(VALU_DEP_2)
	v_mov_b64_e32 v[2:3], v[72:73]
	s_wait_xcnt 0x0
	s_and_saveexec_b32 s17, s1
; %bb.1670:                             ;   in Loop: Header=BB216_15 Depth=1
	v_clz_i32_u32_e32 v2, v72
	s_delay_alu instid0(VALU_DEP_1) | instskip(NEXT) | instid1(VALU_DEP_1)
	v_min_u32_e32 v6, 32, v2
	v_subrev_nc_u32_e32 v2, 28, v6
	v_sub_nc_u32_e32 v6, 29, v6
	s_delay_alu instid0(VALU_DEP_2) | instskip(NEXT) | instid1(VALU_DEP_1)
	v_lshlrev_b64_e32 v[2:3], v2, v[72:73]
	v_and_b32_e32 v2, 7, v2
; %bb.1671:                             ;   in Loop: Header=BB216_15 Depth=1
	s_or_b32 exec_lo, exec_lo, s17
	s_delay_alu instid0(VALU_DEP_1) | instskip(SKIP_1) | instid1(VALU_DEP_2)
	v_dual_lshlrev_b32 v3, 24, v5 :: v_dual_lshlrev_b32 v2, 20, v2
	v_lshl_add_u32 v5, v6, 23, 0x3c000000
	v_and_b32_e32 v3, 0x80000000, v3
	s_delay_alu instid0(VALU_DEP_1)
	v_or3_b32 v72, v2, v3, v5
	v_mov_b32_e32 v3, v73
	scratch_store_b64 off, v[2:3], s32 offset:192 ; 8-byte Folded Spill
.LBB216_1672:                           ;   in Loop: Header=BB216_15 Depth=1
	s_wait_xcnt 0x0
	s_or_b32 exec_lo, exec_lo, s16
.LBB216_1673:                           ;   in Loop: Header=BB216_15 Depth=1
	s_delay_alu instid0(SALU_CYCLE_1)
	s_or_b32 exec_lo, exec_lo, s15
.LBB216_1674:                           ;   in Loop: Header=BB216_15 Depth=1
	s_delay_alu instid0(SALU_CYCLE_1) | instskip(NEXT) | instid1(SALU_CYCLE_1)
	s_or_b32 exec_lo, exec_lo, s14
	s_mov_b32 s14, exec_lo
	v_cmpx_lt_u32_e32 0xffffff, v4
	s_cbranch_execz .LBB216_1682
; %bb.1675:                             ;   in Loop: Header=BB216_15 Depth=1
	v_mov_b64_e32 v[104:105], 0x8000000000000000
	v_lshrrev_b32_e32 v5, 24, v4
	s_mov_b32 s15, exec_lo
	s_delay_alu instid0(VALU_DEP_1)
	v_cmpx_ne_u32_e32 0x80, v5
	s_cbranch_execz .LBB216_1681
; %bb.1676:                             ;   in Loop: Header=BB216_15 Depth=1
	v_mov_b64_e32 v[104:105], 0x7f80000100000000
	v_bfe_u32 v2, v4, 24, 7
	s_mov_b32 s16, exec_lo
	s_delay_alu instid0(VALU_DEP_1)
	v_cmpx_ne_u32_e32 0x7f, v2
	s_cbranch_execz .LBB216_1680
; %bb.1677:                             ;   in Loop: Header=BB216_15 Depth=1
	scratch_load_b64 v[6:7], off, s32 offset:192 th:TH_LOAD_LU ; 8-byte Folded Reload
	s_wait_loadcnt 0x0
	v_dual_lshrrev_b32 v4, 3, v2 :: v_dual_bitop2_b32 v6, 7, v5 bitop3:0x40
	v_cmp_gt_u32_e64 s1, 8, v2
	s_delay_alu instid0(VALU_DEP_2)
	v_mov_b64_e32 v[2:3], v[6:7]
	s_wait_xcnt 0x0
	s_and_saveexec_b32 s17, s1
; %bb.1678:                             ;   in Loop: Header=BB216_15 Depth=1
	v_clz_i32_u32_e32 v2, v6
	s_delay_alu instid0(VALU_DEP_1) | instskip(NEXT) | instid1(VALU_DEP_1)
	v_min_u32_e32 v4, 32, v2
	v_subrev_nc_u32_e32 v2, 28, v4
	s_delay_alu instid0(VALU_DEP_1) | instskip(NEXT) | instid1(VALU_DEP_1)
	v_lshlrev_b64_e32 v[2:3], v2, v[6:7]
	v_dual_sub_nc_u32 v4, 29, v4 :: v_dual_bitop2_b32 v2, 7, v2 bitop3:0x40
; %bb.1679:                             ;   in Loop: Header=BB216_15 Depth=1
	s_or_b32 exec_lo, exec_lo, s17
	s_delay_alu instid0(VALU_DEP_1) | instskip(NEXT) | instid1(VALU_DEP_2)
	v_dual_lshlrev_b32 v3, 24, v5 :: v_dual_lshlrev_b32 v2, 20, v2
	v_lshl_add_u32 v4, v4, 23, 0x3c000000
	v_mov_b32_e32 v104, v7
	s_delay_alu instid0(VALU_DEP_3) | instskip(NEXT) | instid1(VALU_DEP_1)
	v_and_b32_e32 v3, 0x80000000, v3
	v_or3_b32 v105, v2, v3, v4
	v_mov_b32_e32 v3, v7
	scratch_store_b64 off, v[2:3], s32 offset:192 ; 8-byte Folded Spill
.LBB216_1680:                           ;   in Loop: Header=BB216_15 Depth=1
	s_wait_xcnt 0x0
	s_or_b32 exec_lo, exec_lo, s16
.LBB216_1681:                           ;   in Loop: Header=BB216_15 Depth=1
	s_delay_alu instid0(SALU_CYCLE_1)
	s_or_b32 exec_lo, exec_lo, s15
.LBB216_1682:                           ;   in Loop: Header=BB216_15 Depth=1
	s_delay_alu instid0(SALU_CYCLE_1)
	s_or_b32 exec_lo, exec_lo, s14
	flat_load_b32 v4, v[84:85] offset:6656
	v_mov_b64_e32 v[108:109], 0
	v_mov_b64_e32 v[46:47], 0
	s_mov_b32 s14, exec_lo
	s_wait_loadcnt_dscnt 0x0
	v_and_b32_e32 v2, 0xff, v4
	s_wait_xcnt 0x0
	s_delay_alu instid0(VALU_DEP_1)
	v_cmpx_ne_u16_e32 0, v2
	s_cbranch_execz .LBB216_1690
; %bb.1683:                             ;   in Loop: Header=BB216_15 Depth=1
	v_mov_b64_e32 v[46:47], 0x80000000
	s_mov_b32 s15, exec_lo
	v_cmpx_ne_u16_e32 0x80, v2
	s_cbranch_execz .LBB216_1689
; %bb.1684:                             ;   in Loop: Header=BB216_15 Depth=1
	v_mov_b64_e32 v[46:47], 0x7f800001
	v_and_b32_e32 v2, 0x7f, v4
	s_mov_b32 s16, exec_lo
	s_delay_alu instid0(VALU_DEP_1)
	v_cmpx_ne_u32_e32 0x7f, v2
	s_cbranch_execz .LBB216_1688
; %bb.1685:                             ;   in Loop: Header=BB216_15 Depth=1
	scratch_load_b64 v[46:47], off, s32 offset:192 th:TH_LOAD_LU ; 8-byte Folded Reload
	s_wait_loadcnt 0x0
	v_dual_lshrrev_b32 v5, 3, v2 :: v_dual_bitop2_b32 v46, 7, v4 bitop3:0x40
	v_cmp_gt_u32_e64 s1, 8, v2
	s_delay_alu instid0(VALU_DEP_2)
	v_mov_b64_e32 v[2:3], v[46:47]
	s_wait_xcnt 0x0
	s_and_saveexec_b32 s17, s1
; %bb.1686:                             ;   in Loop: Header=BB216_15 Depth=1
	v_clz_i32_u32_e32 v2, v46
	s_delay_alu instid0(VALU_DEP_1) | instskip(NEXT) | instid1(VALU_DEP_1)
	v_min_u32_e32 v5, 32, v2
	v_subrev_nc_u32_e32 v2, 28, v5
	s_delay_alu instid0(VALU_DEP_1) | instskip(NEXT) | instid1(VALU_DEP_1)
	v_lshlrev_b64_e32 v[2:3], v2, v[46:47]
	v_dual_sub_nc_u32 v5, 29, v5 :: v_dual_bitop2_b32 v2, 7, v2 bitop3:0x40
; %bb.1687:                             ;   in Loop: Header=BB216_15 Depth=1
	s_or_b32 exec_lo, exec_lo, s17
	s_delay_alu instid0(VALU_DEP_1) | instskip(NEXT) | instid1(VALU_DEP_2)
	v_dual_lshlrev_b32 v3, 24, v4 :: v_dual_lshlrev_b32 v2, 20, v2
	v_lshl_add_u32 v5, v5, 23, 0x3c000000
	s_delay_alu instid0(VALU_DEP_2) | instskip(NEXT) | instid1(VALU_DEP_1)
	v_and_b32_e32 v3, 0x80000000, v3
	v_or3_b32 v46, v2, v3, v5
	v_mov_b32_e32 v3, v47
	scratch_store_b64 off, v[2:3], s32 offset:192 ; 8-byte Folded Spill
.LBB216_1688:                           ;   in Loop: Header=BB216_15 Depth=1
	s_wait_xcnt 0x0
	s_or_b32 exec_lo, exec_lo, s16
.LBB216_1689:                           ;   in Loop: Header=BB216_15 Depth=1
	s_delay_alu instid0(SALU_CYCLE_1)
	s_or_b32 exec_lo, exec_lo, s15
.LBB216_1690:                           ;   in Loop: Header=BB216_15 Depth=1
	s_delay_alu instid0(SALU_CYCLE_1) | instskip(SKIP_2) | instid1(VALU_DEP_1)
	s_or_b32 exec_lo, exec_lo, s14
	v_lshrrev_b16 v2, 8, v4
	s_mov_b32 s14, exec_lo
	v_cmpx_ne_u16_e32 0, v2
	s_cbranch_execz .LBB216_1698
; %bb.1691:                             ;   in Loop: Header=BB216_15 Depth=1
	v_mov_b64_e32 v[108:109], 0x8000000000000000
	s_mov_b32 s15, exec_lo
	v_cmpx_ne_u16_e32 0x80, v2
	s_cbranch_execz .LBB216_1697
; %bb.1692:                             ;   in Loop: Header=BB216_15 Depth=1
	v_and_b32_e32 v3, 0xffff, v2
	v_mov_b64_e32 v[108:109], 0x7f80000100000000
	s_mov_b32 s16, exec_lo
	s_delay_alu instid0(VALU_DEP_2) | instskip(NEXT) | instid1(VALU_DEP_1)
	v_and_b32_e32 v2, 0x7f, v3
	v_cmpx_ne_u32_e32 0x7f, v2
	s_cbranch_execz .LBB216_1696
; %bb.1693:                             ;   in Loop: Header=BB216_15 Depth=1
	scratch_load_b64 v[6:7], off, s32 offset:192 th:TH_LOAD_LU ; 8-byte Folded Reload
	s_wait_loadcnt 0x0
	v_dual_lshrrev_b32 v5, 3, v2 :: v_dual_bitop2_b32 v6, 7, v3 bitop3:0x40
	v_cmp_gt_u32_e64 s1, 8, v2
	s_delay_alu instid0(VALU_DEP_2)
	v_mov_b64_e32 v[2:3], v[6:7]
	s_wait_xcnt 0x0
	s_and_saveexec_b32 s17, s1
; %bb.1694:                             ;   in Loop: Header=BB216_15 Depth=1
	v_clz_i32_u32_e32 v2, v6
	s_delay_alu instid0(VALU_DEP_1) | instskip(NEXT) | instid1(VALU_DEP_1)
	v_min_u32_e32 v5, 32, v2
	v_subrev_nc_u32_e32 v2, 28, v5
	s_delay_alu instid0(VALU_DEP_1) | instskip(NEXT) | instid1(VALU_DEP_1)
	v_lshlrev_b64_e32 v[2:3], v2, v[6:7]
	v_dual_sub_nc_u32 v5, 29, v5 :: v_dual_bitop2_b32 v2, 7, v2 bitop3:0x40
; %bb.1695:                             ;   in Loop: Header=BB216_15 Depth=1
	s_or_b32 exec_lo, exec_lo, s17
	s_delay_alu instid0(VALU_DEP_1) | instskip(NEXT) | instid1(VALU_DEP_2)
	v_dual_lshlrev_b32 v3, 16, v4 :: v_dual_lshlrev_b32 v2, 20, v2
	v_lshl_add_u32 v5, v5, 23, 0x3c000000
	v_mov_b32_e32 v108, v7
	s_delay_alu instid0(VALU_DEP_3) | instskip(NEXT) | instid1(VALU_DEP_1)
	v_and_b32_e32 v3, 0x80000000, v3
	v_or3_b32 v109, v2, v3, v5
	v_mov_b32_e32 v3, v7
	scratch_store_b64 off, v[2:3], s32 offset:192 ; 8-byte Folded Spill
.LBB216_1696:                           ;   in Loop: Header=BB216_15 Depth=1
	s_wait_xcnt 0x0
	s_or_b32 exec_lo, exec_lo, s16
.LBB216_1697:                           ;   in Loop: Header=BB216_15 Depth=1
	s_delay_alu instid0(SALU_CYCLE_1)
	s_or_b32 exec_lo, exec_lo, s15
.LBB216_1698:                           ;   in Loop: Header=BB216_15 Depth=1
	s_delay_alu instid0(SALU_CYCLE_1) | instskip(SKIP_4) | instid1(VALU_DEP_3)
	s_or_b32 exec_lo, exec_lo, s14
	v_lshrrev_b32_e32 v5, 16, v4
	v_mov_b64_e32 v[120:121], 0
	v_mov_b64_e32 v[58:59], 0
	s_mov_b32 s14, exec_lo
	v_and_b32_e32 v2, 0xff, v5
	s_delay_alu instid0(VALU_DEP_1)
	v_cmpx_ne_u16_e32 0, v2
	s_cbranch_execz .LBB216_1706
; %bb.1699:                             ;   in Loop: Header=BB216_15 Depth=1
	v_mov_b64_e32 v[58:59], 0x80000000
	s_mov_b32 s15, exec_lo
	v_cmpx_ne_u16_e32 0x80, v2
	s_cbranch_execz .LBB216_1705
; %bb.1700:                             ;   in Loop: Header=BB216_15 Depth=1
	v_mov_b64_e32 v[58:59], 0x7f800001
	v_bfe_u32 v2, v4, 16, 7
	s_mov_b32 s16, exec_lo
	s_delay_alu instid0(VALU_DEP_1)
	v_cmpx_ne_u32_e32 0x7f, v2
	s_cbranch_execz .LBB216_1704
; %bb.1701:                             ;   in Loop: Header=BB216_15 Depth=1
	scratch_load_b64 v[58:59], off, s32 offset:192 th:TH_LOAD_LU ; 8-byte Folded Reload
	s_wait_loadcnt 0x0
	v_dual_lshrrev_b32 v6, 3, v2 :: v_dual_bitop2_b32 v58, 7, v5 bitop3:0x40
	v_cmp_gt_u32_e64 s1, 8, v2
	s_delay_alu instid0(VALU_DEP_2)
	v_mov_b64_e32 v[2:3], v[58:59]
	s_wait_xcnt 0x0
	s_and_saveexec_b32 s17, s1
; %bb.1702:                             ;   in Loop: Header=BB216_15 Depth=1
	v_clz_i32_u32_e32 v2, v58
	s_delay_alu instid0(VALU_DEP_1) | instskip(NEXT) | instid1(VALU_DEP_1)
	v_min_u32_e32 v6, 32, v2
	v_subrev_nc_u32_e32 v2, 28, v6
	v_sub_nc_u32_e32 v6, 29, v6
	s_delay_alu instid0(VALU_DEP_2) | instskip(NEXT) | instid1(VALU_DEP_1)
	v_lshlrev_b64_e32 v[2:3], v2, v[58:59]
	v_and_b32_e32 v2, 7, v2
; %bb.1703:                             ;   in Loop: Header=BB216_15 Depth=1
	s_or_b32 exec_lo, exec_lo, s17
	s_delay_alu instid0(VALU_DEP_1) | instskip(SKIP_1) | instid1(VALU_DEP_2)
	v_dual_lshlrev_b32 v3, 24, v5 :: v_dual_lshlrev_b32 v2, 20, v2
	v_lshl_add_u32 v5, v6, 23, 0x3c000000
	v_and_b32_e32 v3, 0x80000000, v3
	s_delay_alu instid0(VALU_DEP_1)
	v_or3_b32 v58, v2, v3, v5
	v_mov_b32_e32 v3, v59
	scratch_store_b64 off, v[2:3], s32 offset:192 ; 8-byte Folded Spill
.LBB216_1704:                           ;   in Loop: Header=BB216_15 Depth=1
	s_wait_xcnt 0x0
	s_or_b32 exec_lo, exec_lo, s16
.LBB216_1705:                           ;   in Loop: Header=BB216_15 Depth=1
	s_delay_alu instid0(SALU_CYCLE_1)
	s_or_b32 exec_lo, exec_lo, s15
.LBB216_1706:                           ;   in Loop: Header=BB216_15 Depth=1
	s_delay_alu instid0(SALU_CYCLE_1) | instskip(NEXT) | instid1(SALU_CYCLE_1)
	s_or_b32 exec_lo, exec_lo, s14
	s_mov_b32 s14, exec_lo
	v_cmpx_lt_u32_e32 0xffffff, v4
	s_cbranch_execz .LBB216_1714
; %bb.1707:                             ;   in Loop: Header=BB216_15 Depth=1
	v_mov_b64_e32 v[120:121], 0x8000000000000000
	v_lshrrev_b32_e32 v5, 24, v4
	s_mov_b32 s15, exec_lo
	s_delay_alu instid0(VALU_DEP_1)
	v_cmpx_ne_u32_e32 0x80, v5
	s_cbranch_execz .LBB216_1713
; %bb.1708:                             ;   in Loop: Header=BB216_15 Depth=1
	v_mov_b64_e32 v[120:121], 0x7f80000100000000
	v_bfe_u32 v2, v4, 24, 7
	s_mov_b32 s16, exec_lo
	s_delay_alu instid0(VALU_DEP_1)
	v_cmpx_ne_u32_e32 0x7f, v2
	s_cbranch_execz .LBB216_1712
; %bb.1709:                             ;   in Loop: Header=BB216_15 Depth=1
	scratch_load_b64 v[6:7], off, s32 offset:192 th:TH_LOAD_LU ; 8-byte Folded Reload
	s_wait_loadcnt 0x0
	v_dual_lshrrev_b32 v4, 3, v2 :: v_dual_bitop2_b32 v6, 7, v5 bitop3:0x40
	v_cmp_gt_u32_e64 s1, 8, v2
	s_delay_alu instid0(VALU_DEP_2)
	v_mov_b64_e32 v[2:3], v[6:7]
	s_wait_xcnt 0x0
	s_and_saveexec_b32 s17, s1
; %bb.1710:                             ;   in Loop: Header=BB216_15 Depth=1
	v_clz_i32_u32_e32 v2, v6
	s_delay_alu instid0(VALU_DEP_1) | instskip(NEXT) | instid1(VALU_DEP_1)
	v_min_u32_e32 v4, 32, v2
	v_subrev_nc_u32_e32 v2, 28, v4
	s_delay_alu instid0(VALU_DEP_1) | instskip(NEXT) | instid1(VALU_DEP_1)
	v_lshlrev_b64_e32 v[2:3], v2, v[6:7]
	v_dual_sub_nc_u32 v4, 29, v4 :: v_dual_bitop2_b32 v2, 7, v2 bitop3:0x40
; %bb.1711:                             ;   in Loop: Header=BB216_15 Depth=1
	s_or_b32 exec_lo, exec_lo, s17
	s_delay_alu instid0(VALU_DEP_1) | instskip(NEXT) | instid1(VALU_DEP_2)
	v_dual_lshlrev_b32 v3, 24, v5 :: v_dual_lshlrev_b32 v2, 20, v2
	v_lshl_add_u32 v4, v4, 23, 0x3c000000
	v_mov_b32_e32 v120, v7
	s_delay_alu instid0(VALU_DEP_3) | instskip(NEXT) | instid1(VALU_DEP_1)
	v_and_b32_e32 v3, 0x80000000, v3
	v_or3_b32 v121, v2, v3, v4
	v_mov_b32_e32 v3, v7
	scratch_store_b64 off, v[2:3], s32 offset:192 ; 8-byte Folded Spill
.LBB216_1712:                           ;   in Loop: Header=BB216_15 Depth=1
	s_wait_xcnt 0x0
	s_or_b32 exec_lo, exec_lo, s16
.LBB216_1713:                           ;   in Loop: Header=BB216_15 Depth=1
	s_delay_alu instid0(SALU_CYCLE_1)
	s_or_b32 exec_lo, exec_lo, s15
.LBB216_1714:                           ;   in Loop: Header=BB216_15 Depth=1
	s_delay_alu instid0(SALU_CYCLE_1)
	s_or_b32 exec_lo, exec_lo, s14
	flat_load_b32 v6, v[84:85] offset:6660
	v_mov_b64_e32 v[2:3], 0
	v_mov_b64_e32 v[62:63], 0
	s_mov_b32 s14, exec_lo
	s_wait_loadcnt_dscnt 0x0
	v_and_b32_e32 v4, 0xff, v6
	s_wait_xcnt 0x0
	s_delay_alu instid0(VALU_DEP_1)
	v_cmpx_ne_u16_e32 0, v4
	s_cbranch_execz .LBB216_1722
; %bb.1715:                             ;   in Loop: Header=BB216_15 Depth=1
	v_mov_b64_e32 v[62:63], 0x80000000
	s_mov_b32 s15, exec_lo
	v_cmpx_ne_u16_e32 0x80, v4
	s_cbranch_execz .LBB216_1721
; %bb.1716:                             ;   in Loop: Header=BB216_15 Depth=1
	v_mov_b64_e32 v[62:63], 0x7f800001
	v_and_b32_e32 v4, 0x7f, v6
	s_mov_b32 s16, exec_lo
	s_delay_alu instid0(VALU_DEP_1)
	v_cmpx_ne_u32_e32 0x7f, v4
	s_cbranch_execz .LBB216_1720
; %bb.1717:                             ;   in Loop: Header=BB216_15 Depth=1
	scratch_load_b64 v[62:63], off, s32 offset:192 th:TH_LOAD_LU ; 8-byte Folded Reload
	s_wait_loadcnt 0x0
	v_dual_lshrrev_b32 v7, 3, v4 :: v_dual_bitop2_b32 v62, 7, v6 bitop3:0x40
	v_cmp_gt_u32_e64 s1, 8, v4
	s_delay_alu instid0(VALU_DEP_2)
	v_mov_b64_e32 v[4:5], v[62:63]
	s_wait_xcnt 0x0
	s_and_saveexec_b32 s17, s1
; %bb.1718:                             ;   in Loop: Header=BB216_15 Depth=1
	v_clz_i32_u32_e32 v4, v62
	s_delay_alu instid0(VALU_DEP_1) | instskip(NEXT) | instid1(VALU_DEP_1)
	v_min_u32_e32 v7, 32, v4
	v_subrev_nc_u32_e32 v4, 28, v7
	s_delay_alu instid0(VALU_DEP_1) | instskip(NEXT) | instid1(VALU_DEP_1)
	v_lshlrev_b64_e32 v[4:5], v4, v[62:63]
	v_dual_sub_nc_u32 v7, 29, v7 :: v_dual_bitop2_b32 v4, 7, v4 bitop3:0x40
; %bb.1719:                             ;   in Loop: Header=BB216_15 Depth=1
	s_or_b32 exec_lo, exec_lo, s17
	s_delay_alu instid0(VALU_DEP_1) | instskip(NEXT) | instid1(VALU_DEP_2)
	v_dual_lshlrev_b32 v5, 24, v6 :: v_dual_lshlrev_b32 v4, 20, v4
	v_lshl_add_u32 v7, v7, 23, 0x3c000000
	s_delay_alu instid0(VALU_DEP_2) | instskip(NEXT) | instid1(VALU_DEP_1)
	v_and_b32_e32 v5, 0x80000000, v5
	v_or3_b32 v62, v4, v5, v7
	v_mov_b32_e32 v5, v63
	scratch_store_b64 off, v[4:5], s32 offset:192 ; 8-byte Folded Spill
.LBB216_1720:                           ;   in Loop: Header=BB216_15 Depth=1
	s_wait_xcnt 0x0
	s_or_b32 exec_lo, exec_lo, s16
.LBB216_1721:                           ;   in Loop: Header=BB216_15 Depth=1
	s_delay_alu instid0(SALU_CYCLE_1)
	s_or_b32 exec_lo, exec_lo, s15
.LBB216_1722:                           ;   in Loop: Header=BB216_15 Depth=1
	s_delay_alu instid0(SALU_CYCLE_1) | instskip(SKIP_2) | instid1(VALU_DEP_1)
	s_or_b32 exec_lo, exec_lo, s14
	v_lshrrev_b16 v4, 8, v6
	s_mov_b32 s14, exec_lo
	v_cmpx_ne_u16_e32 0, v4
	s_cbranch_execz .LBB216_1730
; %bb.1723:                             ;   in Loop: Header=BB216_15 Depth=1
	v_mov_b64_e32 v[2:3], 0x8000000000000000
	s_mov_b32 s15, exec_lo
	v_cmpx_ne_u16_e32 0x80, v4
	s_cbranch_execz .LBB216_1729
; %bb.1724:                             ;   in Loop: Header=BB216_15 Depth=1
	v_and_b32_e32 v4, 0xffff, v4
	v_mov_b64_e32 v[2:3], 0x7f80000100000000
	s_mov_b32 s16, exec_lo
	s_delay_alu instid0(VALU_DEP_2) | instskip(NEXT) | instid1(VALU_DEP_1)
	v_and_b32_e32 v5, 0x7f, v4
	v_cmpx_ne_u32_e32 0x7f, v5
	s_cbranch_execz .LBB216_1728
; %bb.1725:                             ;   in Loop: Header=BB216_15 Depth=1
	scratch_load_b64 v[8:9], off, s32 offset:192 th:TH_LOAD_LU ; 8-byte Folded Reload
	s_wait_loadcnt 0x0
	v_dual_lshrrev_b32 v4, 3, v5 :: v_dual_bitop2_b32 v8, 7, v4 bitop3:0x40
	s_mov_b32 s17, exec_lo
	s_delay_alu instid0(VALU_DEP_1)
	v_mov_b64_e32 v[2:3], v[8:9]
	s_wait_xcnt 0x0
	v_cmpx_gt_u32_e32 8, v5
; %bb.1726:                             ;   in Loop: Header=BB216_15 Depth=1
	v_clz_i32_u32_e32 v2, v8
	s_delay_alu instid0(VALU_DEP_1) | instskip(NEXT) | instid1(VALU_DEP_1)
	v_min_u32_e32 v4, 32, v2
	v_subrev_nc_u32_e32 v2, 28, v4
	s_delay_alu instid0(VALU_DEP_1) | instskip(NEXT) | instid1(VALU_DEP_1)
	v_lshlrev_b64_e32 v[2:3], v2, v[8:9]
	v_dual_sub_nc_u32 v4, 29, v4 :: v_dual_bitop2_b32 v2, 7, v2 bitop3:0x40
; %bb.1727:                             ;   in Loop: Header=BB216_15 Depth=1
	s_or_b32 exec_lo, exec_lo, s17
	v_dual_lshlrev_b32 v3, 16, v6 :: v_dual_mov_b32 v5, v9
	s_delay_alu instid0(VALU_DEP_2) | instskip(NEXT) | instid1(VALU_DEP_3)
	v_lshlrev_b32_e32 v2, 20, v2
	v_lshl_add_u32 v4, v4, 23, 0x3c000000
	s_delay_alu instid0(VALU_DEP_3)
	v_and_b32_e32 v3, 0x80000000, v3
	scratch_store_b64 off, v[4:5], s32 offset:192 ; 8-byte Folded Spill
	v_or3_b32 v3, v2, v3, v4
	v_mov_b32_e32 v2, v9
.LBB216_1728:                           ;   in Loop: Header=BB216_15 Depth=1
	s_wait_xcnt 0x0
	s_or_b32 exec_lo, exec_lo, s16
.LBB216_1729:                           ;   in Loop: Header=BB216_15 Depth=1
	s_delay_alu instid0(SALU_CYCLE_1)
	s_or_b32 exec_lo, exec_lo, s15
.LBB216_1730:                           ;   in Loop: Header=BB216_15 Depth=1
	s_delay_alu instid0(SALU_CYCLE_1) | instskip(SKIP_4) | instid1(VALU_DEP_3)
	s_or_b32 exec_lo, exec_lo, s14
	v_lshrrev_b32_e32 v7, 16, v6
	v_mov_b64_e32 v[70:71], 0
	v_mov_b64_e32 v[74:75], 0
	s_mov_b32 s14, exec_lo
	v_and_b32_e32 v4, 0xff, v7
	s_delay_alu instid0(VALU_DEP_1)
	v_cmpx_ne_u16_e32 0, v4
	s_cbranch_execz .LBB216_1738
; %bb.1731:                             ;   in Loop: Header=BB216_15 Depth=1
	v_mov_b64_e32 v[74:75], 0x80000000
	s_mov_b32 s15, exec_lo
	v_cmpx_ne_u16_e32 0x80, v4
	s_cbranch_execz .LBB216_1737
; %bb.1732:                             ;   in Loop: Header=BB216_15 Depth=1
	v_mov_b64_e32 v[74:75], 0x7f800001
	v_bfe_u32 v4, v6, 16, 7
	s_mov_b32 s16, exec_lo
	s_delay_alu instid0(VALU_DEP_1)
	v_cmpx_ne_u32_e32 0x7f, v4
	s_cbranch_execz .LBB216_1736
; %bb.1733:                             ;   in Loop: Header=BB216_15 Depth=1
	scratch_load_b64 v[74:75], off, s32 offset:192 th:TH_LOAD_LU ; 8-byte Folded Reload
	s_wait_loadcnt 0x0
	v_dual_lshrrev_b32 v8, 3, v4 :: v_dual_bitop2_b32 v74, 7, v7 bitop3:0x40
	v_cmp_gt_u32_e64 s1, 8, v4
	s_delay_alu instid0(VALU_DEP_2)
	v_mov_b64_e32 v[4:5], v[74:75]
	s_wait_xcnt 0x0
	s_and_saveexec_b32 s17, s1
; %bb.1734:                             ;   in Loop: Header=BB216_15 Depth=1
	v_clz_i32_u32_e32 v4, v74
	s_delay_alu instid0(VALU_DEP_1) | instskip(NEXT) | instid1(VALU_DEP_1)
	v_min_u32_e32 v8, 32, v4
	v_subrev_nc_u32_e32 v4, 28, v8
	v_sub_nc_u32_e32 v8, 29, v8
	s_delay_alu instid0(VALU_DEP_2) | instskip(NEXT) | instid1(VALU_DEP_1)
	v_lshlrev_b64_e32 v[4:5], v4, v[74:75]
	v_and_b32_e32 v4, 7, v4
; %bb.1735:                             ;   in Loop: Header=BB216_15 Depth=1
	s_or_b32 exec_lo, exec_lo, s17
	s_delay_alu instid0(VALU_DEP_1) | instskip(SKIP_1) | instid1(VALU_DEP_2)
	v_dual_lshlrev_b32 v5, 24, v7 :: v_dual_lshlrev_b32 v4, 20, v4
	v_lshl_add_u32 v7, v8, 23, 0x3c000000
	v_and_b32_e32 v5, 0x80000000, v5
	s_delay_alu instid0(VALU_DEP_1)
	v_or3_b32 v74, v4, v5, v7
	v_mov_b32_e32 v5, v75
	scratch_store_b64 off, v[4:5], s32 offset:192 ; 8-byte Folded Spill
.LBB216_1736:                           ;   in Loop: Header=BB216_15 Depth=1
	s_wait_xcnt 0x0
	s_or_b32 exec_lo, exec_lo, s16
.LBB216_1737:                           ;   in Loop: Header=BB216_15 Depth=1
	s_delay_alu instid0(SALU_CYCLE_1)
	s_or_b32 exec_lo, exec_lo, s15
.LBB216_1738:                           ;   in Loop: Header=BB216_15 Depth=1
	s_delay_alu instid0(SALU_CYCLE_1) | instskip(NEXT) | instid1(SALU_CYCLE_1)
	s_or_b32 exec_lo, exec_lo, s14
	s_mov_b32 s14, exec_lo
	v_cmpx_lt_u32_e32 0xffffff, v6
	s_cbranch_execz .LBB216_1746
; %bb.1739:                             ;   in Loop: Header=BB216_15 Depth=1
	v_mov_b64_e32 v[70:71], 0x8000000000000000
	v_lshrrev_b32_e32 v7, 24, v6
	s_mov_b32 s15, exec_lo
	s_delay_alu instid0(VALU_DEP_1)
	v_cmpx_ne_u32_e32 0x80, v7
	s_cbranch_execz .LBB216_1745
; %bb.1740:                             ;   in Loop: Header=BB216_15 Depth=1
	v_mov_b64_e32 v[70:71], 0x7f80000100000000
	v_bfe_u32 v4, v6, 24, 7
	s_mov_b32 s16, exec_lo
	s_delay_alu instid0(VALU_DEP_1)
	v_cmpx_ne_u32_e32 0x7f, v4
	s_cbranch_execz .LBB216_1744
; %bb.1741:                             ;   in Loop: Header=BB216_15 Depth=1
	scratch_load_b64 v[8:9], off, s32 offset:192 th:TH_LOAD_LU ; 8-byte Folded Reload
	s_wait_loadcnt 0x0
	v_dual_lshrrev_b32 v6, 3, v4 :: v_dual_bitop2_b32 v8, 7, v7 bitop3:0x40
	v_cmp_gt_u32_e64 s1, 8, v4
	s_delay_alu instid0(VALU_DEP_2)
	v_mov_b64_e32 v[4:5], v[8:9]
	s_wait_xcnt 0x0
	s_and_saveexec_b32 s17, s1
; %bb.1742:                             ;   in Loop: Header=BB216_15 Depth=1
	v_clz_i32_u32_e32 v4, v8
	s_delay_alu instid0(VALU_DEP_1) | instskip(NEXT) | instid1(VALU_DEP_1)
	v_min_u32_e32 v6, 32, v4
	v_subrev_nc_u32_e32 v4, 28, v6
	s_delay_alu instid0(VALU_DEP_1) | instskip(NEXT) | instid1(VALU_DEP_1)
	v_lshlrev_b64_e32 v[4:5], v4, v[8:9]
	v_dual_sub_nc_u32 v6, 29, v6 :: v_dual_bitop2_b32 v4, 7, v4 bitop3:0x40
; %bb.1743:                             ;   in Loop: Header=BB216_15 Depth=1
	s_or_b32 exec_lo, exec_lo, s17
	s_delay_alu instid0(VALU_DEP_1) | instskip(NEXT) | instid1(VALU_DEP_2)
	v_dual_lshlrev_b32 v5, 24, v7 :: v_dual_lshlrev_b32 v4, 20, v4
	v_lshl_add_u32 v6, v6, 23, 0x3c000000
	v_mov_b32_e32 v70, v9
	s_delay_alu instid0(VALU_DEP_3) | instskip(NEXT) | instid1(VALU_DEP_1)
	v_and_b32_e32 v5, 0x80000000, v5
	v_or3_b32 v71, v4, v5, v6
	v_mov_b32_e32 v5, v9
	scratch_store_b64 off, v[4:5], s32 offset:192 ; 8-byte Folded Spill
.LBB216_1744:                           ;   in Loop: Header=BB216_15 Depth=1
	s_wait_xcnt 0x0
	s_or_b32 exec_lo, exec_lo, s16
.LBB216_1745:                           ;   in Loop: Header=BB216_15 Depth=1
	s_delay_alu instid0(SALU_CYCLE_1)
	s_or_b32 exec_lo, exec_lo, s15
.LBB216_1746:                           ;   in Loop: Header=BB216_15 Depth=1
	s_delay_alu instid0(SALU_CYCLE_1)
	s_or_b32 exec_lo, exec_lo, s14
	flat_load_b32 v8, v[84:85] offset:6664
	v_mov_b64_e32 v[10:11], 0
	v_mov_b64_e32 v[4:5], 0
	s_mov_b32 s14, exec_lo
	s_wait_loadcnt_dscnt 0x0
	v_and_b32_e32 v6, 0xff, v8
	s_wait_xcnt 0x0
	s_delay_alu instid0(VALU_DEP_1)
	v_cmpx_ne_u16_e32 0, v6
	s_cbranch_execz .LBB216_1754
; %bb.1747:                             ;   in Loop: Header=BB216_15 Depth=1
	v_mov_b64_e32 v[4:5], 0x80000000
	s_mov_b32 s15, exec_lo
	v_cmpx_ne_u16_e32 0x80, v6
	s_cbranch_execz .LBB216_1753
; %bb.1748:                             ;   in Loop: Header=BB216_15 Depth=1
	v_mov_b64_e32 v[4:5], 0x7f800001
	v_and_b32_e32 v7, 0x7f, v8
	s_mov_b32 s16, exec_lo
	s_delay_alu instid0(VALU_DEP_1)
	v_cmpx_ne_u32_e32 0x7f, v7
	s_cbranch_execz .LBB216_1752
; %bb.1749:                             ;   in Loop: Header=BB216_15 Depth=1
	scratch_load_b64 v[12:13], off, s32 offset:192 th:TH_LOAD_LU ; 8-byte Folded Reload
	s_wait_loadcnt 0x0
	v_dual_lshrrev_b32 v6, 3, v7 :: v_dual_bitop2_b32 v12, 7, v8 bitop3:0x40
	s_mov_b32 s17, exec_lo
	s_delay_alu instid0(VALU_DEP_1)
	v_mov_b64_e32 v[4:5], v[12:13]
	s_wait_xcnt 0x0
	v_cmpx_gt_u32_e32 8, v7
; %bb.1750:                             ;   in Loop: Header=BB216_15 Depth=1
	v_clz_i32_u32_e32 v4, v12
	s_delay_alu instid0(VALU_DEP_1) | instskip(NEXT) | instid1(VALU_DEP_1)
	v_min_u32_e32 v6, 32, v4
	v_subrev_nc_u32_e32 v4, 28, v6
	s_delay_alu instid0(VALU_DEP_1) | instskip(NEXT) | instid1(VALU_DEP_1)
	v_lshlrev_b64_e32 v[4:5], v4, v[12:13]
	v_dual_sub_nc_u32 v6, 29, v6 :: v_dual_bitop2_b32 v4, 7, v4 bitop3:0x40
; %bb.1751:                             ;   in Loop: Header=BB216_15 Depth=1
	s_or_b32 exec_lo, exec_lo, s17
	v_lshlrev_b32_e32 v5, 24, v8
	s_delay_alu instid0(VALU_DEP_2) | instskip(NEXT) | instid1(VALU_DEP_3)
	v_lshlrev_b32_e32 v4, 20, v4
	v_lshl_add_u32 v6, v6, 23, 0x3c000000
	s_delay_alu instid0(VALU_DEP_3) | instskip(NEXT) | instid1(VALU_DEP_1)
	v_and_b32_e32 v5, 0x80000000, v5
	v_or3_b32 v12, v4, v5, v6
	v_mov_b32_e32 v5, v13
	scratch_store_b64 off, v[4:5], s32 offset:192 ; 8-byte Folded Spill
	s_wait_xcnt 0x0
	v_mov_b64_e32 v[4:5], v[12:13]
.LBB216_1752:                           ;   in Loop: Header=BB216_15 Depth=1
	s_or_b32 exec_lo, exec_lo, s16
.LBB216_1753:                           ;   in Loop: Header=BB216_15 Depth=1
	s_delay_alu instid0(SALU_CYCLE_1)
	s_or_b32 exec_lo, exec_lo, s15
.LBB216_1754:                           ;   in Loop: Header=BB216_15 Depth=1
	s_delay_alu instid0(SALU_CYCLE_1) | instskip(SKIP_2) | instid1(VALU_DEP_1)
	s_or_b32 exec_lo, exec_lo, s14
	v_lshrrev_b16 v6, 8, v8
	s_mov_b32 s14, exec_lo
	v_cmpx_ne_u16_e32 0, v6
	s_cbranch_execz .LBB216_1762
; %bb.1755:                             ;   in Loop: Header=BB216_15 Depth=1
	v_mov_b64_e32 v[10:11], 0x8000000000000000
	s_mov_b32 s15, exec_lo
	v_cmpx_ne_u16_e32 0x80, v6
	s_cbranch_execz .LBB216_1761
; %bb.1756:                             ;   in Loop: Header=BB216_15 Depth=1
	v_and_b32_e32 v7, 0xffff, v6
	v_mov_b64_e32 v[10:11], 0x7f80000100000000
	s_mov_b32 s16, exec_lo
	s_delay_alu instid0(VALU_DEP_2) | instskip(NEXT) | instid1(VALU_DEP_1)
	v_and_b32_e32 v6, 0x7f, v7
	v_cmpx_ne_u32_e32 0x7f, v6
	s_cbranch_execz .LBB216_1760
; %bb.1757:                             ;   in Loop: Header=BB216_15 Depth=1
	scratch_load_b64 v[12:13], off, s32 offset:192 th:TH_LOAD_LU ; 8-byte Folded Reload
	s_wait_loadcnt 0x0
	v_dual_lshrrev_b32 v9, 3, v6 :: v_dual_bitop2_b32 v12, 7, v7 bitop3:0x40
	v_cmp_gt_u32_e64 s1, 8, v6
	s_delay_alu instid0(VALU_DEP_2)
	v_mov_b64_e32 v[6:7], v[12:13]
	s_wait_xcnt 0x0
	s_and_saveexec_b32 s17, s1
; %bb.1758:                             ;   in Loop: Header=BB216_15 Depth=1
	v_clz_i32_u32_e32 v6, v12
	s_delay_alu instid0(VALU_DEP_1) | instskip(NEXT) | instid1(VALU_DEP_1)
	v_min_u32_e32 v9, 32, v6
	v_subrev_nc_u32_e32 v6, 28, v9
	s_delay_alu instid0(VALU_DEP_1) | instskip(NEXT) | instid1(VALU_DEP_1)
	v_lshlrev_b64_e32 v[6:7], v6, v[12:13]
	v_dual_sub_nc_u32 v9, 29, v9 :: v_dual_bitop2_b32 v6, 7, v6 bitop3:0x40
; %bb.1759:                             ;   in Loop: Header=BB216_15 Depth=1
	s_or_b32 exec_lo, exec_lo, s17
	s_delay_alu instid0(VALU_DEP_1) | instskip(NEXT) | instid1(VALU_DEP_2)
	v_dual_lshlrev_b32 v7, 16, v8 :: v_dual_lshlrev_b32 v6, 20, v6
	v_lshl_add_u32 v9, v9, 23, 0x3c000000
	v_mov_b32_e32 v10, v13
	s_delay_alu instid0(VALU_DEP_3) | instskip(NEXT) | instid1(VALU_DEP_1)
	v_and_b32_e32 v7, 0x80000000, v7
	v_or3_b32 v11, v6, v7, v9
	v_mov_b32_e32 v7, v13
	scratch_store_b64 off, v[6:7], s32 offset:192 ; 8-byte Folded Spill
.LBB216_1760:                           ;   in Loop: Header=BB216_15 Depth=1
	s_wait_xcnt 0x0
	s_or_b32 exec_lo, exec_lo, s16
.LBB216_1761:                           ;   in Loop: Header=BB216_15 Depth=1
	s_delay_alu instid0(SALU_CYCLE_1)
	s_or_b32 exec_lo, exec_lo, s15
.LBB216_1762:                           ;   in Loop: Header=BB216_15 Depth=1
	s_delay_alu instid0(SALU_CYCLE_1) | instskip(SKIP_4) | instid1(VALU_DEP_3)
	s_or_b32 exec_lo, exec_lo, s14
	v_lshrrev_b32_e32 v9, 16, v8
	v_mov_b64_e32 v[14:15], 0
	v_mov_b64_e32 v[38:39], 0
	s_mov_b32 s14, exec_lo
	v_and_b32_e32 v6, 0xff, v9
	s_delay_alu instid0(VALU_DEP_1)
	v_cmpx_ne_u16_e32 0, v6
	s_cbranch_execz .LBB216_1770
; %bb.1763:                             ;   in Loop: Header=BB216_15 Depth=1
	v_mov_b64_e32 v[38:39], 0x80000000
	s_mov_b32 s15, exec_lo
	v_cmpx_ne_u16_e32 0x80, v6
	s_cbranch_execz .LBB216_1769
; %bb.1764:                             ;   in Loop: Header=BB216_15 Depth=1
	v_mov_b64_e32 v[38:39], 0x7f800001
	v_bfe_u32 v6, v8, 16, 7
	s_mov_b32 s16, exec_lo
	s_delay_alu instid0(VALU_DEP_1)
	v_cmpx_ne_u32_e32 0x7f, v6
	s_cbranch_execz .LBB216_1768
; %bb.1765:                             ;   in Loop: Header=BB216_15 Depth=1
	scratch_load_b64 v[38:39], off, s32 offset:192 th:TH_LOAD_LU ; 8-byte Folded Reload
	s_wait_loadcnt 0x0
	v_dual_lshrrev_b32 v12, 3, v6 :: v_dual_bitop2_b32 v38, 7, v9 bitop3:0x40
	v_cmp_gt_u32_e64 s1, 8, v6
	s_delay_alu instid0(VALU_DEP_2)
	v_mov_b64_e32 v[6:7], v[38:39]
	s_wait_xcnt 0x0
	s_and_saveexec_b32 s17, s1
; %bb.1766:                             ;   in Loop: Header=BB216_15 Depth=1
	v_clz_i32_u32_e32 v6, v38
	s_delay_alu instid0(VALU_DEP_1) | instskip(NEXT) | instid1(VALU_DEP_1)
	v_min_u32_e32 v12, 32, v6
	v_subrev_nc_u32_e32 v6, 28, v12
	s_delay_alu instid0(VALU_DEP_1) | instskip(NEXT) | instid1(VALU_DEP_1)
	v_lshlrev_b64_e32 v[6:7], v6, v[38:39]
	v_dual_sub_nc_u32 v12, 29, v12 :: v_dual_bitop2_b32 v6, 7, v6 bitop3:0x40
; %bb.1767:                             ;   in Loop: Header=BB216_15 Depth=1
	s_or_b32 exec_lo, exec_lo, s17
	s_delay_alu instid0(VALU_DEP_1) | instskip(NEXT) | instid1(VALU_DEP_2)
	v_dual_lshlrev_b32 v7, 24, v9 :: v_dual_lshlrev_b32 v6, 20, v6
	v_lshl_add_u32 v9, v12, 23, 0x3c000000
	s_delay_alu instid0(VALU_DEP_2) | instskip(NEXT) | instid1(VALU_DEP_1)
	v_and_b32_e32 v7, 0x80000000, v7
	v_or3_b32 v38, v6, v7, v9
	v_mov_b32_e32 v7, v39
	scratch_store_b64 off, v[6:7], s32 offset:192 ; 8-byte Folded Spill
.LBB216_1768:                           ;   in Loop: Header=BB216_15 Depth=1
	s_wait_xcnt 0x0
	s_or_b32 exec_lo, exec_lo, s16
.LBB216_1769:                           ;   in Loop: Header=BB216_15 Depth=1
	s_delay_alu instid0(SALU_CYCLE_1)
	s_or_b32 exec_lo, exec_lo, s15
.LBB216_1770:                           ;   in Loop: Header=BB216_15 Depth=1
	s_delay_alu instid0(SALU_CYCLE_1) | instskip(NEXT) | instid1(SALU_CYCLE_1)
	s_or_b32 exec_lo, exec_lo, s14
	s_mov_b32 s14, exec_lo
	v_cmpx_lt_u32_e32 0xffffff, v8
	s_cbranch_execz .LBB216_1778
; %bb.1771:                             ;   in Loop: Header=BB216_15 Depth=1
	v_mov_b64_e32 v[14:15], 0x8000000000000000
	v_lshrrev_b32_e32 v9, 24, v8
	s_mov_b32 s15, exec_lo
	s_delay_alu instid0(VALU_DEP_1)
	v_cmpx_ne_u32_e32 0x80, v9
	s_cbranch_execz .LBB216_1777
; %bb.1772:                             ;   in Loop: Header=BB216_15 Depth=1
	v_mov_b64_e32 v[14:15], 0x7f80000100000000
	v_bfe_u32 v6, v8, 24, 7
	s_mov_b32 s16, exec_lo
	s_delay_alu instid0(VALU_DEP_1)
	v_cmpx_ne_u32_e32 0x7f, v6
	s_cbranch_execz .LBB216_1776
; %bb.1773:                             ;   in Loop: Header=BB216_15 Depth=1
	scratch_load_b64 v[12:13], off, s32 offset:192 th:TH_LOAD_LU ; 8-byte Folded Reload
	s_wait_loadcnt 0x0
	v_dual_lshrrev_b32 v8, 3, v6 :: v_dual_bitop2_b32 v12, 7, v9 bitop3:0x40
	v_cmp_gt_u32_e64 s1, 8, v6
	s_delay_alu instid0(VALU_DEP_2)
	v_mov_b64_e32 v[6:7], v[12:13]
	s_wait_xcnt 0x0
	s_and_saveexec_b32 s17, s1
; %bb.1774:                             ;   in Loop: Header=BB216_15 Depth=1
	v_clz_i32_u32_e32 v6, v12
	s_delay_alu instid0(VALU_DEP_1) | instskip(NEXT) | instid1(VALU_DEP_1)
	v_min_u32_e32 v8, 32, v6
	v_subrev_nc_u32_e32 v6, 28, v8
	s_delay_alu instid0(VALU_DEP_1) | instskip(NEXT) | instid1(VALU_DEP_1)
	v_lshlrev_b64_e32 v[6:7], v6, v[12:13]
	v_dual_sub_nc_u32 v8, 29, v8 :: v_dual_bitop2_b32 v6, 7, v6 bitop3:0x40
; %bb.1775:                             ;   in Loop: Header=BB216_15 Depth=1
	s_or_b32 exec_lo, exec_lo, s17
	s_delay_alu instid0(VALU_DEP_1) | instskip(NEXT) | instid1(VALU_DEP_2)
	v_dual_lshlrev_b32 v7, 24, v9 :: v_dual_lshlrev_b32 v6, 20, v6
	v_lshl_add_u32 v8, v8, 23, 0x3c000000
	v_mov_b32_e32 v14, v13
	s_delay_alu instid0(VALU_DEP_3) | instskip(NEXT) | instid1(VALU_DEP_1)
	v_and_b32_e32 v7, 0x80000000, v7
	v_or3_b32 v15, v6, v7, v8
	v_mov_b32_e32 v7, v13
	scratch_store_b64 off, v[6:7], s32 offset:192 ; 8-byte Folded Spill
.LBB216_1776:                           ;   in Loop: Header=BB216_15 Depth=1
	s_wait_xcnt 0x0
	s_or_b32 exec_lo, exec_lo, s16
.LBB216_1777:                           ;   in Loop: Header=BB216_15 Depth=1
	s_delay_alu instid0(SALU_CYCLE_1)
	s_or_b32 exec_lo, exec_lo, s15
.LBB216_1778:                           ;   in Loop: Header=BB216_15 Depth=1
	s_delay_alu instid0(SALU_CYCLE_1)
	s_or_b32 exec_lo, exec_lo, s14
	flat_load_b32 v12, v[84:85] offset:6668
	v_mov_b64_e32 v[48:49], 0
	v_mov_b64_e32 v[6:7], 0
	s_mov_b32 s14, exec_lo
	s_wait_loadcnt_dscnt 0x0
	v_and_b32_e32 v8, 0xff, v12
	s_wait_xcnt 0x0
	s_delay_alu instid0(VALU_DEP_1)
	v_cmpx_ne_u16_e32 0, v8
	s_cbranch_execz .LBB216_1786
; %bb.1779:                             ;   in Loop: Header=BB216_15 Depth=1
	v_mov_b64_e32 v[6:7], 0x80000000
	s_mov_b32 s15, exec_lo
	v_cmpx_ne_u16_e32 0x80, v8
	s_cbranch_execz .LBB216_1785
; %bb.1780:                             ;   in Loop: Header=BB216_15 Depth=1
	v_mov_b64_e32 v[6:7], 0x7f800001
	v_and_b32_e32 v9, 0x7f, v12
	s_mov_b32 s16, exec_lo
	s_delay_alu instid0(VALU_DEP_1)
	v_cmpx_ne_u32_e32 0x7f, v9
	s_cbranch_execz .LBB216_1784
; %bb.1781:                             ;   in Loop: Header=BB216_15 Depth=1
	scratch_load_b64 v[16:17], off, s32 offset:192 th:TH_LOAD_LU ; 8-byte Folded Reload
	s_wait_loadcnt 0x0
	v_dual_lshrrev_b32 v8, 3, v9 :: v_dual_bitop2_b32 v16, 7, v12 bitop3:0x40
	s_mov_b32 s17, exec_lo
	s_delay_alu instid0(VALU_DEP_1)
	v_mov_b64_e32 v[6:7], v[16:17]
	s_wait_xcnt 0x0
	v_cmpx_gt_u32_e32 8, v9
; %bb.1782:                             ;   in Loop: Header=BB216_15 Depth=1
	v_clz_i32_u32_e32 v6, v16
	s_delay_alu instid0(VALU_DEP_1) | instskip(NEXT) | instid1(VALU_DEP_1)
	v_min_u32_e32 v8, 32, v6
	v_subrev_nc_u32_e32 v6, 28, v8
	s_delay_alu instid0(VALU_DEP_1) | instskip(NEXT) | instid1(VALU_DEP_1)
	v_lshlrev_b64_e32 v[6:7], v6, v[16:17]
	v_dual_sub_nc_u32 v8, 29, v8 :: v_dual_bitop2_b32 v6, 7, v6 bitop3:0x40
; %bb.1783:                             ;   in Loop: Header=BB216_15 Depth=1
	s_or_b32 exec_lo, exec_lo, s17
	s_delay_alu instid0(VALU_DEP_1) | instskip(NEXT) | instid1(VALU_DEP_2)
	v_dual_lshlrev_b32 v7, 24, v12 :: v_dual_lshlrev_b32 v6, 20, v6
	v_lshl_add_u32 v8, v8, 23, 0x3c000000
	s_delay_alu instid0(VALU_DEP_2) | instskip(NEXT) | instid1(VALU_DEP_1)
	v_and_b32_e32 v7, 0x80000000, v7
	v_or3_b32 v16, v6, v7, v8
	v_mov_b32_e32 v7, v17
	scratch_store_b64 off, v[6:7], s32 offset:192 ; 8-byte Folded Spill
	s_wait_xcnt 0x0
	v_mov_b64_e32 v[6:7], v[16:17]
.LBB216_1784:                           ;   in Loop: Header=BB216_15 Depth=1
	s_or_b32 exec_lo, exec_lo, s16
.LBB216_1785:                           ;   in Loop: Header=BB216_15 Depth=1
	s_delay_alu instid0(SALU_CYCLE_1)
	s_or_b32 exec_lo, exec_lo, s15
.LBB216_1786:                           ;   in Loop: Header=BB216_15 Depth=1
	s_delay_alu instid0(SALU_CYCLE_1) | instskip(SKIP_2) | instid1(VALU_DEP_1)
	s_or_b32 exec_lo, exec_lo, s14
	v_lshrrev_b16 v8, 8, v12
	s_mov_b32 s14, exec_lo
	v_cmpx_ne_u16_e32 0, v8
	s_cbranch_execz .LBB216_1794
; %bb.1787:                             ;   in Loop: Header=BB216_15 Depth=1
	v_mov_b64_e32 v[48:49], 0x8000000000000000
	s_mov_b32 s15, exec_lo
	v_cmpx_ne_u16_e32 0x80, v8
	s_cbranch_execz .LBB216_1793
; %bb.1788:                             ;   in Loop: Header=BB216_15 Depth=1
	v_and_b32_e32 v9, 0xffff, v8
	v_mov_b64_e32 v[48:49], 0x7f80000100000000
	s_mov_b32 s16, exec_lo
	s_delay_alu instid0(VALU_DEP_2) | instskip(NEXT) | instid1(VALU_DEP_1)
	v_and_b32_e32 v8, 0x7f, v9
	v_cmpx_ne_u32_e32 0x7f, v8
	s_cbranch_execz .LBB216_1792
; %bb.1789:                             ;   in Loop: Header=BB216_15 Depth=1
	scratch_load_b64 v[16:17], off, s32 offset:192 th:TH_LOAD_LU ; 8-byte Folded Reload
	s_wait_loadcnt 0x0
	v_dual_lshrrev_b32 v13, 3, v8 :: v_dual_bitop2_b32 v16, 7, v9 bitop3:0x40
	v_cmp_gt_u32_e64 s1, 8, v8
	s_delay_alu instid0(VALU_DEP_2)
	v_mov_b64_e32 v[8:9], v[16:17]
	s_wait_xcnt 0x0
	s_and_saveexec_b32 s17, s1
; %bb.1790:                             ;   in Loop: Header=BB216_15 Depth=1
	v_clz_i32_u32_e32 v8, v16
	s_delay_alu instid0(VALU_DEP_1) | instskip(NEXT) | instid1(VALU_DEP_1)
	v_min_u32_e32 v13, 32, v8
	v_subrev_nc_u32_e32 v8, 28, v13
	s_delay_alu instid0(VALU_DEP_1) | instskip(NEXT) | instid1(VALU_DEP_1)
	v_lshlrev_b64_e32 v[8:9], v8, v[16:17]
	v_dual_sub_nc_u32 v13, 29, v13 :: v_dual_bitop2_b32 v8, 7, v8 bitop3:0x40
; %bb.1791:                             ;   in Loop: Header=BB216_15 Depth=1
	s_or_b32 exec_lo, exec_lo, s17
	v_dual_mov_b32 v48, v17 :: v_dual_lshlrev_b32 v9, 16, v12
	s_delay_alu instid0(VALU_DEP_2) | instskip(NEXT) | instid1(VALU_DEP_3)
	v_lshlrev_b32_e32 v8, 20, v8
	v_lshl_add_u32 v13, v13, 23, 0x3c000000
	s_delay_alu instid0(VALU_DEP_3) | instskip(NEXT) | instid1(VALU_DEP_1)
	v_and_b32_e32 v9, 0x80000000, v9
	v_or3_b32 v49, v8, v9, v13
	v_mov_b32_e32 v9, v17
	scratch_store_b64 off, v[8:9], s32 offset:192 ; 8-byte Folded Spill
.LBB216_1792:                           ;   in Loop: Header=BB216_15 Depth=1
	s_wait_xcnt 0x0
	s_or_b32 exec_lo, exec_lo, s16
.LBB216_1793:                           ;   in Loop: Header=BB216_15 Depth=1
	s_delay_alu instid0(SALU_CYCLE_1)
	s_or_b32 exec_lo, exec_lo, s15
.LBB216_1794:                           ;   in Loop: Header=BB216_15 Depth=1
	s_delay_alu instid0(SALU_CYCLE_1) | instskip(SKIP_4) | instid1(VALU_DEP_3)
	s_or_b32 exec_lo, exec_lo, s14
	v_lshrrev_b32_e32 v13, 16, v12
	v_mov_b64_e32 v[94:95], 0
	v_mov_b64_e32 v[24:25], 0
	s_mov_b32 s14, exec_lo
	v_and_b32_e32 v8, 0xff, v13
	s_delay_alu instid0(VALU_DEP_1)
	v_cmpx_ne_u16_e32 0, v8
	s_cbranch_execz .LBB216_1802
; %bb.1795:                             ;   in Loop: Header=BB216_15 Depth=1
	v_mov_b64_e32 v[24:25], 0x80000000
	s_mov_b32 s15, exec_lo
	v_cmpx_ne_u16_e32 0x80, v8
	s_cbranch_execz .LBB216_1801
; %bb.1796:                             ;   in Loop: Header=BB216_15 Depth=1
	v_mov_b64_e32 v[24:25], 0x7f800001
	v_bfe_u32 v8, v12, 16, 7
	s_mov_b32 s16, exec_lo
	s_delay_alu instid0(VALU_DEP_1)
	v_cmpx_ne_u32_e32 0x7f, v8
	s_cbranch_execz .LBB216_1800
; %bb.1797:                             ;   in Loop: Header=BB216_15 Depth=1
	scratch_load_b64 v[24:25], off, s32 offset:192 th:TH_LOAD_LU ; 8-byte Folded Reload
	s_wait_loadcnt 0x0
	v_dual_lshrrev_b32 v16, 3, v8 :: v_dual_bitop2_b32 v24, 7, v13 bitop3:0x40
	v_cmp_gt_u32_e64 s1, 8, v8
	s_delay_alu instid0(VALU_DEP_2)
	v_mov_b64_e32 v[8:9], v[24:25]
	s_wait_xcnt 0x0
	s_and_saveexec_b32 s17, s1
; %bb.1798:                             ;   in Loop: Header=BB216_15 Depth=1
	v_clz_i32_u32_e32 v8, v24
	s_delay_alu instid0(VALU_DEP_1) | instskip(NEXT) | instid1(VALU_DEP_1)
	v_min_u32_e32 v16, 32, v8
	v_subrev_nc_u32_e32 v8, 28, v16
	v_sub_nc_u32_e32 v16, 29, v16
	s_delay_alu instid0(VALU_DEP_2) | instskip(NEXT) | instid1(VALU_DEP_1)
	v_lshlrev_b64_e32 v[8:9], v8, v[24:25]
	v_and_b32_e32 v8, 7, v8
; %bb.1799:                             ;   in Loop: Header=BB216_15 Depth=1
	s_or_b32 exec_lo, exec_lo, s17
	s_delay_alu instid0(VALU_DEP_1) | instskip(SKIP_1) | instid1(VALU_DEP_2)
	v_dual_lshlrev_b32 v9, 24, v13 :: v_dual_lshlrev_b32 v8, 20, v8
	v_lshl_add_u32 v13, v16, 23, 0x3c000000
	v_and_b32_e32 v9, 0x80000000, v9
	s_delay_alu instid0(VALU_DEP_1)
	v_or3_b32 v24, v8, v9, v13
	v_mov_b32_e32 v9, v25
	scratch_store_b64 off, v[8:9], s32 offset:192 ; 8-byte Folded Spill
.LBB216_1800:                           ;   in Loop: Header=BB216_15 Depth=1
	s_wait_xcnt 0x0
	s_or_b32 exec_lo, exec_lo, s16
.LBB216_1801:                           ;   in Loop: Header=BB216_15 Depth=1
	s_delay_alu instid0(SALU_CYCLE_1)
	s_or_b32 exec_lo, exec_lo, s15
.LBB216_1802:                           ;   in Loop: Header=BB216_15 Depth=1
	s_delay_alu instid0(SALU_CYCLE_1) | instskip(NEXT) | instid1(SALU_CYCLE_1)
	s_or_b32 exec_lo, exec_lo, s14
	s_mov_b32 s14, exec_lo
	v_cmpx_lt_u32_e32 0xffffff, v12
	s_cbranch_execz .LBB216_1810
; %bb.1803:                             ;   in Loop: Header=BB216_15 Depth=1
	v_mov_b64_e32 v[94:95], 0x8000000000000000
	v_lshrrev_b32_e32 v13, 24, v12
	s_mov_b32 s15, exec_lo
	s_delay_alu instid0(VALU_DEP_1)
	v_cmpx_ne_u32_e32 0x80, v13
	s_cbranch_execz .LBB216_1809
; %bb.1804:                             ;   in Loop: Header=BB216_15 Depth=1
	v_mov_b64_e32 v[94:95], 0x7f80000100000000
	v_bfe_u32 v8, v12, 24, 7
	s_mov_b32 s16, exec_lo
	s_delay_alu instid0(VALU_DEP_1)
	v_cmpx_ne_u32_e32 0x7f, v8
	s_cbranch_execz .LBB216_1808
; %bb.1805:                             ;   in Loop: Header=BB216_15 Depth=1
	scratch_load_b64 v[16:17], off, s32 offset:192 th:TH_LOAD_LU ; 8-byte Folded Reload
	s_wait_loadcnt 0x0
	v_dual_lshrrev_b32 v12, 3, v8 :: v_dual_bitop2_b32 v16, 7, v13 bitop3:0x40
	v_cmp_gt_u32_e64 s1, 8, v8
	s_delay_alu instid0(VALU_DEP_2)
	v_mov_b64_e32 v[8:9], v[16:17]
	s_wait_xcnt 0x0
	s_and_saveexec_b32 s17, s1
; %bb.1806:                             ;   in Loop: Header=BB216_15 Depth=1
	v_clz_i32_u32_e32 v8, v16
	s_delay_alu instid0(VALU_DEP_1) | instskip(NEXT) | instid1(VALU_DEP_1)
	v_min_u32_e32 v12, 32, v8
	v_subrev_nc_u32_e32 v8, 28, v12
	v_sub_nc_u32_e32 v12, 29, v12
	s_delay_alu instid0(VALU_DEP_2) | instskip(NEXT) | instid1(VALU_DEP_1)
	v_lshlrev_b64_e32 v[8:9], v8, v[16:17]
	v_and_b32_e32 v8, 7, v8
; %bb.1807:                             ;   in Loop: Header=BB216_15 Depth=1
	s_or_b32 exec_lo, exec_lo, s17
	s_delay_alu instid0(VALU_DEP_1) | instskip(SKIP_2) | instid1(VALU_DEP_3)
	v_dual_lshlrev_b32 v9, 24, v13 :: v_dual_lshlrev_b32 v8, 20, v8
	v_lshl_add_u32 v12, v12, 23, 0x3c000000
	v_mov_b32_e32 v94, v17
	v_and_b32_e32 v9, 0x80000000, v9
	s_delay_alu instid0(VALU_DEP_1)
	v_or3_b32 v95, v8, v9, v12
	v_mov_b32_e32 v9, v17
	scratch_store_b64 off, v[8:9], s32 offset:192 ; 8-byte Folded Spill
.LBB216_1808:                           ;   in Loop: Header=BB216_15 Depth=1
	s_wait_xcnt 0x0
	s_or_b32 exec_lo, exec_lo, s16
.LBB216_1809:                           ;   in Loop: Header=BB216_15 Depth=1
	s_delay_alu instid0(SALU_CYCLE_1)
	s_or_b32 exec_lo, exec_lo, s15
.LBB216_1810:                           ;   in Loop: Header=BB216_15 Depth=1
	s_delay_alu instid0(SALU_CYCLE_1)
	s_or_b32 exec_lo, exec_lo, s14
	flat_load_b32 v12, v[84:85] offset:7168
	v_mov_b64_e32 v[52:53], 0
	v_mov_b64_e32 v[68:69], 0
	s_mov_b32 s14, exec_lo
	s_wait_loadcnt_dscnt 0x0
	v_and_b32_e32 v8, 0xff, v12
	s_wait_xcnt 0x0
	s_delay_alu instid0(VALU_DEP_1)
	v_cmpx_ne_u16_e32 0, v8
	s_cbranch_execz .LBB216_1818
; %bb.1811:                             ;   in Loop: Header=BB216_15 Depth=1
	v_mov_b64_e32 v[68:69], 0x80000000
	s_mov_b32 s15, exec_lo
	v_cmpx_ne_u16_e32 0x80, v8
	s_cbranch_execz .LBB216_1817
; %bb.1812:                             ;   in Loop: Header=BB216_15 Depth=1
	v_mov_b64_e32 v[68:69], 0x7f800001
	v_and_b32_e32 v8, 0x7f, v12
	s_mov_b32 s16, exec_lo
	s_delay_alu instid0(VALU_DEP_1)
	v_cmpx_ne_u32_e32 0x7f, v8
	s_cbranch_execz .LBB216_1816
; %bb.1813:                             ;   in Loop: Header=BB216_15 Depth=1
	scratch_load_b64 v[68:69], off, s32 offset:192 th:TH_LOAD_LU ; 8-byte Folded Reload
	s_wait_loadcnt 0x0
	v_and_b32_e32 v68, 7, v12
	v_lshrrev_b32_e32 v13, 3, v8
	v_cmp_gt_u32_e64 s1, 8, v8
	s_delay_alu instid0(VALU_DEP_3)
	v_mov_b64_e32 v[8:9], v[68:69]
	s_wait_xcnt 0x0
	s_and_saveexec_b32 s17, s1
; %bb.1814:                             ;   in Loop: Header=BB216_15 Depth=1
	v_clz_i32_u32_e32 v8, v68
	s_delay_alu instid0(VALU_DEP_1) | instskip(NEXT) | instid1(VALU_DEP_1)
	v_min_u32_e32 v13, 32, v8
	v_subrev_nc_u32_e32 v8, 28, v13
	s_delay_alu instid0(VALU_DEP_1) | instskip(NEXT) | instid1(VALU_DEP_1)
	v_lshlrev_b64_e32 v[8:9], v8, v[68:69]
	v_dual_sub_nc_u32 v13, 29, v13 :: v_dual_bitop2_b32 v8, 7, v8 bitop3:0x40
; %bb.1815:                             ;   in Loop: Header=BB216_15 Depth=1
	s_or_b32 exec_lo, exec_lo, s17
	v_lshlrev_b32_e32 v9, 24, v12
	s_delay_alu instid0(VALU_DEP_2) | instskip(NEXT) | instid1(VALU_DEP_3)
	v_lshlrev_b32_e32 v8, 20, v8
	v_lshl_add_u32 v13, v13, 23, 0x3c000000
	s_delay_alu instid0(VALU_DEP_3) | instskip(NEXT) | instid1(VALU_DEP_1)
	v_and_b32_e32 v9, 0x80000000, v9
	v_or3_b32 v68, v8, v9, v13
	v_mov_b32_e32 v9, v69
	scratch_store_b64 off, v[8:9], s32 offset:192 ; 8-byte Folded Spill
.LBB216_1816:                           ;   in Loop: Header=BB216_15 Depth=1
	s_wait_xcnt 0x0
	s_or_b32 exec_lo, exec_lo, s16
.LBB216_1817:                           ;   in Loop: Header=BB216_15 Depth=1
	s_delay_alu instid0(SALU_CYCLE_1)
	s_or_b32 exec_lo, exec_lo, s15
.LBB216_1818:                           ;   in Loop: Header=BB216_15 Depth=1
	s_delay_alu instid0(SALU_CYCLE_1) | instskip(SKIP_2) | instid1(VALU_DEP_1)
	s_or_b32 exec_lo, exec_lo, s14
	v_lshrrev_b16 v8, 8, v12
	s_mov_b32 s14, exec_lo
	v_cmpx_ne_u16_e32 0, v8
	s_cbranch_execz .LBB216_1826
; %bb.1819:                             ;   in Loop: Header=BB216_15 Depth=1
	v_mov_b64_e32 v[52:53], 0x8000000000000000
	s_mov_b32 s15, exec_lo
	v_cmpx_ne_u16_e32 0x80, v8
	s_cbranch_execz .LBB216_1825
; %bb.1820:                             ;   in Loop: Header=BB216_15 Depth=1
	v_and_b32_e32 v9, 0xffff, v8
	v_mov_b64_e32 v[52:53], 0x7f80000100000000
	s_mov_b32 s16, exec_lo
	s_delay_alu instid0(VALU_DEP_2) | instskip(NEXT) | instid1(VALU_DEP_1)
	v_and_b32_e32 v8, 0x7f, v9
	v_cmpx_ne_u32_e32 0x7f, v8
	s_cbranch_execz .LBB216_1824
; %bb.1821:                             ;   in Loop: Header=BB216_15 Depth=1
	scratch_load_b64 v[16:17], off, s32 offset:192 th:TH_LOAD_LU ; 8-byte Folded Reload
	s_wait_loadcnt 0x0
	v_dual_lshrrev_b32 v13, 3, v8 :: v_dual_bitop2_b32 v16, 7, v9 bitop3:0x40
	v_cmp_gt_u32_e64 s1, 8, v8
	s_delay_alu instid0(VALU_DEP_2)
	v_mov_b64_e32 v[8:9], v[16:17]
	s_wait_xcnt 0x0
	s_and_saveexec_b32 s17, s1
; %bb.1822:                             ;   in Loop: Header=BB216_15 Depth=1
	v_clz_i32_u32_e32 v8, v16
	s_delay_alu instid0(VALU_DEP_1) | instskip(NEXT) | instid1(VALU_DEP_1)
	v_min_u32_e32 v13, 32, v8
	v_subrev_nc_u32_e32 v8, 28, v13
	s_delay_alu instid0(VALU_DEP_1) | instskip(NEXT) | instid1(VALU_DEP_1)
	v_lshlrev_b64_e32 v[8:9], v8, v[16:17]
	v_dual_sub_nc_u32 v13, 29, v13 :: v_dual_bitop2_b32 v8, 7, v8 bitop3:0x40
; %bb.1823:                             ;   in Loop: Header=BB216_15 Depth=1
	s_or_b32 exec_lo, exec_lo, s17
	v_dual_mov_b32 v52, v17 :: v_dual_lshlrev_b32 v9, 16, v12
	s_delay_alu instid0(VALU_DEP_2) | instskip(NEXT) | instid1(VALU_DEP_3)
	v_lshlrev_b32_e32 v8, 20, v8
	v_lshl_add_u32 v13, v13, 23, 0x3c000000
	s_delay_alu instid0(VALU_DEP_3) | instskip(NEXT) | instid1(VALU_DEP_1)
	v_and_b32_e32 v9, 0x80000000, v9
	v_or3_b32 v53, v8, v9, v13
	v_mov_b32_e32 v9, v17
	scratch_store_b64 off, v[8:9], s32 offset:192 ; 8-byte Folded Spill
.LBB216_1824:                           ;   in Loop: Header=BB216_15 Depth=1
	s_wait_xcnt 0x0
	s_or_b32 exec_lo, exec_lo, s16
.LBB216_1825:                           ;   in Loop: Header=BB216_15 Depth=1
	s_delay_alu instid0(SALU_CYCLE_1)
	s_or_b32 exec_lo, exec_lo, s15
.LBB216_1826:                           ;   in Loop: Header=BB216_15 Depth=1
	s_delay_alu instid0(SALU_CYCLE_1) | instskip(SKIP_4) | instid1(VALU_DEP_3)
	s_or_b32 exec_lo, exec_lo, s14
	v_lshrrev_b32_e32 v13, 16, v12
	v_mov_b64_e32 v[90:91], 0
	v_mov_b64_e32 v[78:79], 0
	s_mov_b32 s14, exec_lo
	v_and_b32_e32 v8, 0xff, v13
	s_delay_alu instid0(VALU_DEP_1)
	v_cmpx_ne_u16_e32 0, v8
	s_cbranch_execz .LBB216_1834
; %bb.1827:                             ;   in Loop: Header=BB216_15 Depth=1
	v_mov_b64_e32 v[78:79], 0x80000000
	s_mov_b32 s15, exec_lo
	v_cmpx_ne_u16_e32 0x80, v8
	s_cbranch_execz .LBB216_1833
; %bb.1828:                             ;   in Loop: Header=BB216_15 Depth=1
	v_mov_b64_e32 v[78:79], 0x7f800001
	v_bfe_u32 v8, v12, 16, 7
	s_mov_b32 s16, exec_lo
	s_delay_alu instid0(VALU_DEP_1)
	v_cmpx_ne_u32_e32 0x7f, v8
	s_cbranch_execz .LBB216_1832
; %bb.1829:                             ;   in Loop: Header=BB216_15 Depth=1
	scratch_load_b64 v[78:79], off, s32 offset:192 th:TH_LOAD_LU ; 8-byte Folded Reload
	s_wait_loadcnt 0x0
	v_dual_lshrrev_b32 v16, 3, v8 :: v_dual_bitop2_b32 v78, 7, v13 bitop3:0x40
	v_cmp_gt_u32_e64 s1, 8, v8
	s_delay_alu instid0(VALU_DEP_2)
	v_mov_b64_e32 v[8:9], v[78:79]
	s_wait_xcnt 0x0
	s_and_saveexec_b32 s17, s1
; %bb.1830:                             ;   in Loop: Header=BB216_15 Depth=1
	v_clz_i32_u32_e32 v8, v78
	s_delay_alu instid0(VALU_DEP_1) | instskip(NEXT) | instid1(VALU_DEP_1)
	v_min_u32_e32 v16, 32, v8
	v_subrev_nc_u32_e32 v8, 28, v16
	v_sub_nc_u32_e32 v16, 29, v16
	s_delay_alu instid0(VALU_DEP_2) | instskip(NEXT) | instid1(VALU_DEP_1)
	v_lshlrev_b64_e32 v[8:9], v8, v[78:79]
	v_and_b32_e32 v8, 7, v8
; %bb.1831:                             ;   in Loop: Header=BB216_15 Depth=1
	s_or_b32 exec_lo, exec_lo, s17
	s_delay_alu instid0(VALU_DEP_1) | instskip(SKIP_1) | instid1(VALU_DEP_2)
	v_dual_lshlrev_b32 v9, 24, v13 :: v_dual_lshlrev_b32 v8, 20, v8
	v_lshl_add_u32 v13, v16, 23, 0x3c000000
	v_and_b32_e32 v9, 0x80000000, v9
	s_delay_alu instid0(VALU_DEP_1)
	v_or3_b32 v78, v8, v9, v13
	v_mov_b32_e32 v9, v79
	scratch_store_b64 off, v[8:9], s32 offset:192 ; 8-byte Folded Spill
.LBB216_1832:                           ;   in Loop: Header=BB216_15 Depth=1
	s_wait_xcnt 0x0
	s_or_b32 exec_lo, exec_lo, s16
.LBB216_1833:                           ;   in Loop: Header=BB216_15 Depth=1
	s_delay_alu instid0(SALU_CYCLE_1)
	s_or_b32 exec_lo, exec_lo, s15
.LBB216_1834:                           ;   in Loop: Header=BB216_15 Depth=1
	s_delay_alu instid0(SALU_CYCLE_1) | instskip(NEXT) | instid1(SALU_CYCLE_1)
	s_or_b32 exec_lo, exec_lo, s14
	s_mov_b32 s14, exec_lo
	v_cmpx_lt_u32_e32 0xffffff, v12
	s_cbranch_execz .LBB216_1842
; %bb.1835:                             ;   in Loop: Header=BB216_15 Depth=1
	v_mov_b64_e32 v[90:91], 0x8000000000000000
	v_lshrrev_b32_e32 v13, 24, v12
	s_mov_b32 s15, exec_lo
	s_delay_alu instid0(VALU_DEP_1)
	v_cmpx_ne_u32_e32 0x80, v13
	s_cbranch_execz .LBB216_1841
; %bb.1836:                             ;   in Loop: Header=BB216_15 Depth=1
	v_mov_b64_e32 v[90:91], 0x7f80000100000000
	v_bfe_u32 v8, v12, 24, 7
	s_mov_b32 s16, exec_lo
	s_delay_alu instid0(VALU_DEP_1)
	v_cmpx_ne_u32_e32 0x7f, v8
	s_cbranch_execz .LBB216_1840
; %bb.1837:                             ;   in Loop: Header=BB216_15 Depth=1
	scratch_load_b64 v[16:17], off, s32 offset:192 th:TH_LOAD_LU ; 8-byte Folded Reload
	s_wait_loadcnt 0x0
	v_dual_lshrrev_b32 v12, 3, v8 :: v_dual_bitop2_b32 v16, 7, v13 bitop3:0x40
	v_cmp_gt_u32_e64 s1, 8, v8
	s_delay_alu instid0(VALU_DEP_2)
	v_mov_b64_e32 v[8:9], v[16:17]
	s_wait_xcnt 0x0
	s_and_saveexec_b32 s17, s1
; %bb.1838:                             ;   in Loop: Header=BB216_15 Depth=1
	v_clz_i32_u32_e32 v8, v16
	s_delay_alu instid0(VALU_DEP_1) | instskip(NEXT) | instid1(VALU_DEP_1)
	v_min_u32_e32 v12, 32, v8
	v_subrev_nc_u32_e32 v8, 28, v12
	v_sub_nc_u32_e32 v12, 29, v12
	s_delay_alu instid0(VALU_DEP_2) | instskip(NEXT) | instid1(VALU_DEP_1)
	v_lshlrev_b64_e32 v[8:9], v8, v[16:17]
	v_and_b32_e32 v8, 7, v8
; %bb.1839:                             ;   in Loop: Header=BB216_15 Depth=1
	s_or_b32 exec_lo, exec_lo, s17
	s_delay_alu instid0(VALU_DEP_1) | instskip(SKIP_2) | instid1(VALU_DEP_3)
	v_dual_lshlrev_b32 v9, 24, v13 :: v_dual_lshlrev_b32 v8, 20, v8
	v_lshl_add_u32 v12, v12, 23, 0x3c000000
	v_mov_b32_e32 v90, v17
	v_and_b32_e32 v9, 0x80000000, v9
	s_delay_alu instid0(VALU_DEP_1)
	v_or3_b32 v91, v8, v9, v12
	v_mov_b32_e32 v9, v17
	scratch_store_b64 off, v[8:9], s32 offset:192 ; 8-byte Folded Spill
.LBB216_1840:                           ;   in Loop: Header=BB216_15 Depth=1
	s_wait_xcnt 0x0
	s_or_b32 exec_lo, exec_lo, s16
.LBB216_1841:                           ;   in Loop: Header=BB216_15 Depth=1
	s_delay_alu instid0(SALU_CYCLE_1)
	s_or_b32 exec_lo, exec_lo, s15
.LBB216_1842:                           ;   in Loop: Header=BB216_15 Depth=1
	s_delay_alu instid0(SALU_CYCLE_1)
	s_or_b32 exec_lo, exec_lo, s14
	flat_load_b32 v12, v[84:85] offset:7172
	v_mov_b64_e32 v[106:107], 0
	v_mov_b64_e32 v[34:35], 0
	s_mov_b32 s14, exec_lo
	s_wait_loadcnt_dscnt 0x0
	v_and_b32_e32 v8, 0xff, v12
	s_wait_xcnt 0x0
	s_delay_alu instid0(VALU_DEP_1)
	v_cmpx_ne_u16_e32 0, v8
	s_cbranch_execz .LBB216_1850
; %bb.1843:                             ;   in Loop: Header=BB216_15 Depth=1
	v_mov_b64_e32 v[34:35], 0x80000000
	s_mov_b32 s15, exec_lo
	v_cmpx_ne_u16_e32 0x80, v8
	s_cbranch_execz .LBB216_1849
; %bb.1844:                             ;   in Loop: Header=BB216_15 Depth=1
	v_mov_b64_e32 v[34:35], 0x7f800001
	v_and_b32_e32 v8, 0x7f, v12
	s_mov_b32 s16, exec_lo
	s_delay_alu instid0(VALU_DEP_1)
	v_cmpx_ne_u32_e32 0x7f, v8
	s_cbranch_execz .LBB216_1848
; %bb.1845:                             ;   in Loop: Header=BB216_15 Depth=1
	scratch_load_b64 v[34:35], off, s32 offset:192 th:TH_LOAD_LU ; 8-byte Folded Reload
	s_wait_loadcnt 0x0
	v_and_b32_e32 v34, 7, v12
	v_lshrrev_b32_e32 v13, 3, v8
	v_cmp_gt_u32_e64 s1, 8, v8
	s_delay_alu instid0(VALU_DEP_3)
	v_mov_b64_e32 v[8:9], v[34:35]
	s_wait_xcnt 0x0
	s_and_saveexec_b32 s17, s1
; %bb.1846:                             ;   in Loop: Header=BB216_15 Depth=1
	v_clz_i32_u32_e32 v8, v34
	s_delay_alu instid0(VALU_DEP_1) | instskip(NEXT) | instid1(VALU_DEP_1)
	v_min_u32_e32 v13, 32, v8
	v_subrev_nc_u32_e32 v8, 28, v13
	s_delay_alu instid0(VALU_DEP_1) | instskip(NEXT) | instid1(VALU_DEP_1)
	v_lshlrev_b64_e32 v[8:9], v8, v[34:35]
	v_dual_sub_nc_u32 v13, 29, v13 :: v_dual_bitop2_b32 v8, 7, v8 bitop3:0x40
; %bb.1847:                             ;   in Loop: Header=BB216_15 Depth=1
	s_or_b32 exec_lo, exec_lo, s17
	v_lshlrev_b32_e32 v9, 24, v12
	s_delay_alu instid0(VALU_DEP_2) | instskip(NEXT) | instid1(VALU_DEP_3)
	v_lshlrev_b32_e32 v8, 20, v8
	v_lshl_add_u32 v13, v13, 23, 0x3c000000
	s_delay_alu instid0(VALU_DEP_3) | instskip(NEXT) | instid1(VALU_DEP_1)
	v_and_b32_e32 v9, 0x80000000, v9
	v_or3_b32 v34, v8, v9, v13
	v_mov_b32_e32 v9, v35
	scratch_store_b64 off, v[8:9], s32 offset:192 ; 8-byte Folded Spill
.LBB216_1848:                           ;   in Loop: Header=BB216_15 Depth=1
	s_wait_xcnt 0x0
	s_or_b32 exec_lo, exec_lo, s16
.LBB216_1849:                           ;   in Loop: Header=BB216_15 Depth=1
	s_delay_alu instid0(SALU_CYCLE_1)
	s_or_b32 exec_lo, exec_lo, s15
.LBB216_1850:                           ;   in Loop: Header=BB216_15 Depth=1
	s_delay_alu instid0(SALU_CYCLE_1) | instskip(SKIP_2) | instid1(VALU_DEP_1)
	s_or_b32 exec_lo, exec_lo, s14
	v_lshrrev_b16 v8, 8, v12
	s_mov_b32 s14, exec_lo
	v_cmpx_ne_u16_e32 0, v8
	s_cbranch_execz .LBB216_1858
; %bb.1851:                             ;   in Loop: Header=BB216_15 Depth=1
	v_mov_b64_e32 v[106:107], 0x8000000000000000
	s_mov_b32 s15, exec_lo
	v_cmpx_ne_u16_e32 0x80, v8
	s_cbranch_execz .LBB216_1857
; %bb.1852:                             ;   in Loop: Header=BB216_15 Depth=1
	v_and_b32_e32 v9, 0xffff, v8
	v_mov_b64_e32 v[106:107], 0x7f80000100000000
	s_mov_b32 s16, exec_lo
	s_delay_alu instid0(VALU_DEP_2) | instskip(NEXT) | instid1(VALU_DEP_1)
	v_and_b32_e32 v8, 0x7f, v9
	v_cmpx_ne_u32_e32 0x7f, v8
	s_cbranch_execz .LBB216_1856
; %bb.1853:                             ;   in Loop: Header=BB216_15 Depth=1
	scratch_load_b64 v[16:17], off, s32 offset:192 th:TH_LOAD_LU ; 8-byte Folded Reload
	s_wait_loadcnt 0x0
	v_dual_lshrrev_b32 v13, 3, v8 :: v_dual_bitop2_b32 v16, 7, v9 bitop3:0x40
	v_cmp_gt_u32_e64 s1, 8, v8
	s_delay_alu instid0(VALU_DEP_2)
	v_mov_b64_e32 v[8:9], v[16:17]
	s_wait_xcnt 0x0
	s_and_saveexec_b32 s17, s1
; %bb.1854:                             ;   in Loop: Header=BB216_15 Depth=1
	v_clz_i32_u32_e32 v8, v16
	s_delay_alu instid0(VALU_DEP_1) | instskip(NEXT) | instid1(VALU_DEP_1)
	v_min_u32_e32 v13, 32, v8
	v_subrev_nc_u32_e32 v8, 28, v13
	s_delay_alu instid0(VALU_DEP_1) | instskip(NEXT) | instid1(VALU_DEP_1)
	v_lshlrev_b64_e32 v[8:9], v8, v[16:17]
	v_dual_sub_nc_u32 v13, 29, v13 :: v_dual_bitop2_b32 v8, 7, v8 bitop3:0x40
; %bb.1855:                             ;   in Loop: Header=BB216_15 Depth=1
	s_or_b32 exec_lo, exec_lo, s17
	v_dual_mov_b32 v106, v17 :: v_dual_lshlrev_b32 v9, 16, v12
	s_delay_alu instid0(VALU_DEP_2) | instskip(NEXT) | instid1(VALU_DEP_3)
	v_lshlrev_b32_e32 v8, 20, v8
	v_lshl_add_u32 v13, v13, 23, 0x3c000000
	s_delay_alu instid0(VALU_DEP_3) | instskip(NEXT) | instid1(VALU_DEP_1)
	v_and_b32_e32 v9, 0x80000000, v9
	v_or3_b32 v107, v8, v9, v13
	v_mov_b32_e32 v9, v17
	scratch_store_b64 off, v[8:9], s32 offset:192 ; 8-byte Folded Spill
.LBB216_1856:                           ;   in Loop: Header=BB216_15 Depth=1
	s_wait_xcnt 0x0
	s_or_b32 exec_lo, exec_lo, s16
.LBB216_1857:                           ;   in Loop: Header=BB216_15 Depth=1
	s_delay_alu instid0(SALU_CYCLE_1)
	s_or_b32 exec_lo, exec_lo, s15
.LBB216_1858:                           ;   in Loop: Header=BB216_15 Depth=1
	s_delay_alu instid0(SALU_CYCLE_1) | instskip(SKIP_4) | instid1(VALU_DEP_3)
	s_or_b32 exec_lo, exec_lo, s14
	v_lshrrev_b32_e32 v13, 16, v12
	v_mov_b64_e32 v[110:111], 0
	v_mov_b64_e32 v[36:37], 0
	s_mov_b32 s14, exec_lo
	v_and_b32_e32 v8, 0xff, v13
	s_delay_alu instid0(VALU_DEP_1)
	v_cmpx_ne_u16_e32 0, v8
	s_cbranch_execz .LBB216_1866
; %bb.1859:                             ;   in Loop: Header=BB216_15 Depth=1
	v_mov_b64_e32 v[36:37], 0x80000000
	s_mov_b32 s15, exec_lo
	v_cmpx_ne_u16_e32 0x80, v8
	s_cbranch_execz .LBB216_1865
; %bb.1860:                             ;   in Loop: Header=BB216_15 Depth=1
	v_mov_b64_e32 v[36:37], 0x7f800001
	v_bfe_u32 v8, v12, 16, 7
	s_mov_b32 s16, exec_lo
	s_delay_alu instid0(VALU_DEP_1)
	v_cmpx_ne_u32_e32 0x7f, v8
	s_cbranch_execz .LBB216_1864
; %bb.1861:                             ;   in Loop: Header=BB216_15 Depth=1
	scratch_load_b64 v[36:37], off, s32 offset:192 th:TH_LOAD_LU ; 8-byte Folded Reload
	s_wait_loadcnt 0x0
	v_dual_lshrrev_b32 v16, 3, v8 :: v_dual_bitop2_b32 v36, 7, v13 bitop3:0x40
	v_cmp_gt_u32_e64 s1, 8, v8
	s_delay_alu instid0(VALU_DEP_2)
	v_mov_b64_e32 v[8:9], v[36:37]
	s_wait_xcnt 0x0
	s_and_saveexec_b32 s17, s1
; %bb.1862:                             ;   in Loop: Header=BB216_15 Depth=1
	v_clz_i32_u32_e32 v8, v36
	s_delay_alu instid0(VALU_DEP_1) | instskip(NEXT) | instid1(VALU_DEP_1)
	v_min_u32_e32 v16, 32, v8
	v_subrev_nc_u32_e32 v8, 28, v16
	v_sub_nc_u32_e32 v16, 29, v16
	s_delay_alu instid0(VALU_DEP_2) | instskip(NEXT) | instid1(VALU_DEP_1)
	v_lshlrev_b64_e32 v[8:9], v8, v[36:37]
	v_and_b32_e32 v8, 7, v8
; %bb.1863:                             ;   in Loop: Header=BB216_15 Depth=1
	s_or_b32 exec_lo, exec_lo, s17
	s_delay_alu instid0(VALU_DEP_1) | instskip(SKIP_1) | instid1(VALU_DEP_2)
	v_dual_lshlrev_b32 v9, 24, v13 :: v_dual_lshlrev_b32 v8, 20, v8
	v_lshl_add_u32 v13, v16, 23, 0x3c000000
	v_and_b32_e32 v9, 0x80000000, v9
	s_delay_alu instid0(VALU_DEP_1)
	v_or3_b32 v36, v8, v9, v13
	v_mov_b32_e32 v9, v37
	scratch_store_b64 off, v[8:9], s32 offset:192 ; 8-byte Folded Spill
.LBB216_1864:                           ;   in Loop: Header=BB216_15 Depth=1
	s_wait_xcnt 0x0
	s_or_b32 exec_lo, exec_lo, s16
.LBB216_1865:                           ;   in Loop: Header=BB216_15 Depth=1
	s_delay_alu instid0(SALU_CYCLE_1)
	s_or_b32 exec_lo, exec_lo, s15
.LBB216_1866:                           ;   in Loop: Header=BB216_15 Depth=1
	s_delay_alu instid0(SALU_CYCLE_1) | instskip(NEXT) | instid1(SALU_CYCLE_1)
	s_or_b32 exec_lo, exec_lo, s14
	s_mov_b32 s14, exec_lo
	v_cmpx_lt_u32_e32 0xffffff, v12
	s_cbranch_execz .LBB216_1874
; %bb.1867:                             ;   in Loop: Header=BB216_15 Depth=1
	v_mov_b64_e32 v[110:111], 0x8000000000000000
	v_lshrrev_b32_e32 v13, 24, v12
	s_mov_b32 s15, exec_lo
	s_delay_alu instid0(VALU_DEP_1)
	v_cmpx_ne_u32_e32 0x80, v13
	s_cbranch_execz .LBB216_1873
; %bb.1868:                             ;   in Loop: Header=BB216_15 Depth=1
	v_mov_b64_e32 v[110:111], 0x7f80000100000000
	v_bfe_u32 v8, v12, 24, 7
	s_mov_b32 s16, exec_lo
	s_delay_alu instid0(VALU_DEP_1)
	v_cmpx_ne_u32_e32 0x7f, v8
	s_cbranch_execz .LBB216_1872
; %bb.1869:                             ;   in Loop: Header=BB216_15 Depth=1
	scratch_load_b64 v[16:17], off, s32 offset:192 th:TH_LOAD_LU ; 8-byte Folded Reload
	s_wait_loadcnt 0x0
	v_dual_lshrrev_b32 v12, 3, v8 :: v_dual_bitop2_b32 v16, 7, v13 bitop3:0x40
	v_cmp_gt_u32_e64 s1, 8, v8
	s_delay_alu instid0(VALU_DEP_2)
	v_mov_b64_e32 v[8:9], v[16:17]
	s_wait_xcnt 0x0
	s_and_saveexec_b32 s17, s1
; %bb.1870:                             ;   in Loop: Header=BB216_15 Depth=1
	v_clz_i32_u32_e32 v8, v16
	s_delay_alu instid0(VALU_DEP_1) | instskip(NEXT) | instid1(VALU_DEP_1)
	v_min_u32_e32 v12, 32, v8
	v_subrev_nc_u32_e32 v8, 28, v12
	v_sub_nc_u32_e32 v12, 29, v12
	s_delay_alu instid0(VALU_DEP_2) | instskip(NEXT) | instid1(VALU_DEP_1)
	v_lshlrev_b64_e32 v[8:9], v8, v[16:17]
	v_and_b32_e32 v8, 7, v8
; %bb.1871:                             ;   in Loop: Header=BB216_15 Depth=1
	s_or_b32 exec_lo, exec_lo, s17
	s_delay_alu instid0(VALU_DEP_1) | instskip(SKIP_2) | instid1(VALU_DEP_3)
	v_dual_lshlrev_b32 v9, 24, v13 :: v_dual_lshlrev_b32 v8, 20, v8
	v_lshl_add_u32 v12, v12, 23, 0x3c000000
	v_mov_b32_e32 v110, v17
	v_and_b32_e32 v9, 0x80000000, v9
	s_delay_alu instid0(VALU_DEP_1)
	v_or3_b32 v111, v8, v9, v12
	v_mov_b32_e32 v9, v17
	scratch_store_b64 off, v[8:9], s32 offset:192 ; 8-byte Folded Spill
.LBB216_1872:                           ;   in Loop: Header=BB216_15 Depth=1
	s_wait_xcnt 0x0
	s_or_b32 exec_lo, exec_lo, s16
.LBB216_1873:                           ;   in Loop: Header=BB216_15 Depth=1
	s_delay_alu instid0(SALU_CYCLE_1)
	s_or_b32 exec_lo, exec_lo, s15
.LBB216_1874:                           ;   in Loop: Header=BB216_15 Depth=1
	s_delay_alu instid0(SALU_CYCLE_1)
	s_or_b32 exec_lo, exec_lo, s14
	flat_load_b32 v16, v[84:85] offset:7176
	v_mov_b64_e32 v[122:123], 0
	v_mov_b64_e32 v[8:9], 0
	s_mov_b32 s14, exec_lo
	s_wait_loadcnt_dscnt 0x0
	v_and_b32_e32 v12, 0xff, v16
	s_wait_xcnt 0x0
	s_delay_alu instid0(VALU_DEP_1)
	v_cmpx_ne_u16_e32 0, v12
	s_cbranch_execz .LBB216_1882
; %bb.1875:                             ;   in Loop: Header=BB216_15 Depth=1
	v_mov_b64_e32 v[8:9], 0x80000000
	s_mov_b32 s15, exec_lo
	v_cmpx_ne_u16_e32 0x80, v12
	s_cbranch_execz .LBB216_1881
; %bb.1876:                             ;   in Loop: Header=BB216_15 Depth=1
	v_mov_b64_e32 v[8:9], 0x7f800001
	v_and_b32_e32 v13, 0x7f, v16
	s_mov_b32 s16, exec_lo
	s_delay_alu instid0(VALU_DEP_1)
	v_cmpx_ne_u32_e32 0x7f, v13
	s_cbranch_execz .LBB216_1880
; %bb.1877:                             ;   in Loop: Header=BB216_15 Depth=1
	scratch_load_b64 v[18:19], off, s32 offset:192 th:TH_LOAD_LU ; 8-byte Folded Reload
	s_wait_loadcnt 0x0
	v_dual_lshrrev_b32 v12, 3, v13 :: v_dual_bitop2_b32 v18, 7, v16 bitop3:0x40
	s_mov_b32 s17, exec_lo
	s_delay_alu instid0(VALU_DEP_1)
	v_mov_b64_e32 v[8:9], v[18:19]
	s_wait_xcnt 0x0
	v_cmpx_gt_u32_e32 8, v13
; %bb.1878:                             ;   in Loop: Header=BB216_15 Depth=1
	v_clz_i32_u32_e32 v8, v18
	s_delay_alu instid0(VALU_DEP_1) | instskip(NEXT) | instid1(VALU_DEP_1)
	v_min_u32_e32 v12, 32, v8
	v_subrev_nc_u32_e32 v8, 28, v12
	v_sub_nc_u32_e32 v12, 29, v12
	s_delay_alu instid0(VALU_DEP_2) | instskip(NEXT) | instid1(VALU_DEP_1)
	v_lshlrev_b64_e32 v[8:9], v8, v[18:19]
	v_and_b32_e32 v8, 7, v8
; %bb.1879:                             ;   in Loop: Header=BB216_15 Depth=1
	s_or_b32 exec_lo, exec_lo, s17
	v_lshlrev_b32_e32 v9, 24, v16
	s_delay_alu instid0(VALU_DEP_2) | instskip(SKIP_1) | instid1(VALU_DEP_3)
	v_lshlrev_b32_e32 v8, 20, v8
	v_lshl_add_u32 v12, v12, 23, 0x3c000000
	v_and_b32_e32 v9, 0x80000000, v9
	s_delay_alu instid0(VALU_DEP_1)
	v_or3_b32 v18, v8, v9, v12
	v_mov_b32_e32 v9, v19
	scratch_store_b64 off, v[8:9], s32 offset:192 ; 8-byte Folded Spill
	s_wait_xcnt 0x0
	v_mov_b64_e32 v[8:9], v[18:19]
.LBB216_1880:                           ;   in Loop: Header=BB216_15 Depth=1
	s_or_b32 exec_lo, exec_lo, s16
.LBB216_1881:                           ;   in Loop: Header=BB216_15 Depth=1
	s_delay_alu instid0(SALU_CYCLE_1)
	s_or_b32 exec_lo, exec_lo, s15
.LBB216_1882:                           ;   in Loop: Header=BB216_15 Depth=1
	s_delay_alu instid0(SALU_CYCLE_1) | instskip(SKIP_2) | instid1(VALU_DEP_1)
	s_or_b32 exec_lo, exec_lo, s14
	v_lshrrev_b16 v12, 8, v16
	s_mov_b32 s14, exec_lo
	v_cmpx_ne_u16_e32 0, v12
	s_cbranch_execz .LBB216_1890
; %bb.1883:                             ;   in Loop: Header=BB216_15 Depth=1
	v_mov_b64_e32 v[122:123], 0x8000000000000000
	s_mov_b32 s15, exec_lo
	v_cmpx_ne_u16_e32 0x80, v12
	s_cbranch_execz .LBB216_1889
; %bb.1884:                             ;   in Loop: Header=BB216_15 Depth=1
	v_and_b32_e32 v13, 0xffff, v12
	v_mov_b64_e32 v[122:123], 0x7f80000100000000
	s_mov_b32 s16, exec_lo
	s_delay_alu instid0(VALU_DEP_2) | instskip(NEXT) | instid1(VALU_DEP_1)
	v_and_b32_e32 v12, 0x7f, v13
	v_cmpx_ne_u32_e32 0x7f, v12
	s_cbranch_execz .LBB216_1888
; %bb.1885:                             ;   in Loop: Header=BB216_15 Depth=1
	scratch_load_b64 v[18:19], off, s32 offset:192 th:TH_LOAD_LU ; 8-byte Folded Reload
	s_wait_loadcnt 0x0
	v_dual_lshrrev_b32 v17, 3, v12 :: v_dual_bitop2_b32 v18, 7, v13 bitop3:0x40
	v_cmp_gt_u32_e64 s1, 8, v12
	s_delay_alu instid0(VALU_DEP_2)
	v_mov_b64_e32 v[12:13], v[18:19]
	s_wait_xcnt 0x0
	s_and_saveexec_b32 s17, s1
; %bb.1886:                             ;   in Loop: Header=BB216_15 Depth=1
	v_clz_i32_u32_e32 v12, v18
	s_delay_alu instid0(VALU_DEP_1) | instskip(NEXT) | instid1(VALU_DEP_1)
	v_min_u32_e32 v17, 32, v12
	v_subrev_nc_u32_e32 v12, 28, v17
	s_delay_alu instid0(VALU_DEP_1) | instskip(NEXT) | instid1(VALU_DEP_1)
	v_lshlrev_b64_e32 v[12:13], v12, v[18:19]
	v_dual_sub_nc_u32 v17, 29, v17 :: v_dual_bitop2_b32 v12, 7, v12 bitop3:0x40
; %bb.1887:                             ;   in Loop: Header=BB216_15 Depth=1
	s_or_b32 exec_lo, exec_lo, s17
	v_dual_mov_b32 v122, v19 :: v_dual_lshlrev_b32 v13, 16, v16
	s_delay_alu instid0(VALU_DEP_2) | instskip(NEXT) | instid1(VALU_DEP_3)
	v_lshlrev_b32_e32 v12, 20, v12
	v_lshl_add_u32 v17, v17, 23, 0x3c000000
	s_delay_alu instid0(VALU_DEP_3) | instskip(NEXT) | instid1(VALU_DEP_1)
	v_and_b32_e32 v13, 0x80000000, v13
	v_or3_b32 v123, v12, v13, v17
	v_mov_b32_e32 v13, v19
	scratch_store_b64 off, v[12:13], s32 offset:192 ; 8-byte Folded Spill
.LBB216_1888:                           ;   in Loop: Header=BB216_15 Depth=1
	s_wait_xcnt 0x0
	s_or_b32 exec_lo, exec_lo, s16
.LBB216_1889:                           ;   in Loop: Header=BB216_15 Depth=1
	s_delay_alu instid0(SALU_CYCLE_1)
	s_or_b32 exec_lo, exec_lo, s15
.LBB216_1890:                           ;   in Loop: Header=BB216_15 Depth=1
	s_delay_alu instid0(SALU_CYCLE_1) | instskip(SKIP_4) | instid1(VALU_DEP_3)
	s_or_b32 exec_lo, exec_lo, s14
	v_lshrrev_b32_e32 v17, 16, v16
	v_mov_b64_e32 v[50:51], 0
	v_mov_b64_e32 v[32:33], 0
	s_mov_b32 s14, exec_lo
	v_and_b32_e32 v12, 0xff, v17
	s_delay_alu instid0(VALU_DEP_1)
	v_cmpx_ne_u16_e32 0, v12
	s_cbranch_execz .LBB216_1898
; %bb.1891:                             ;   in Loop: Header=BB216_15 Depth=1
	v_mov_b64_e32 v[32:33], 0x80000000
	s_mov_b32 s15, exec_lo
	v_cmpx_ne_u16_e32 0x80, v12
	s_cbranch_execz .LBB216_1897
; %bb.1892:                             ;   in Loop: Header=BB216_15 Depth=1
	v_mov_b64_e32 v[32:33], 0x7f800001
	v_bfe_u32 v12, v16, 16, 7
	s_mov_b32 s16, exec_lo
	s_delay_alu instid0(VALU_DEP_1)
	v_cmpx_ne_u32_e32 0x7f, v12
	s_cbranch_execz .LBB216_1896
; %bb.1893:                             ;   in Loop: Header=BB216_15 Depth=1
	scratch_load_b64 v[32:33], off, s32 offset:192 th:TH_LOAD_LU ; 8-byte Folded Reload
	s_wait_loadcnt 0x0
	v_dual_lshrrev_b32 v18, 3, v12 :: v_dual_bitop2_b32 v32, 7, v17 bitop3:0x40
	v_cmp_gt_u32_e64 s1, 8, v12
	s_delay_alu instid0(VALU_DEP_2)
	v_mov_b64_e32 v[12:13], v[32:33]
	s_wait_xcnt 0x0
	s_and_saveexec_b32 s17, s1
; %bb.1894:                             ;   in Loop: Header=BB216_15 Depth=1
	v_clz_i32_u32_e32 v12, v32
	s_delay_alu instid0(VALU_DEP_1) | instskip(NEXT) | instid1(VALU_DEP_1)
	v_min_u32_e32 v18, 32, v12
	v_subrev_nc_u32_e32 v12, 28, v18
	s_delay_alu instid0(VALU_DEP_1) | instskip(NEXT) | instid1(VALU_DEP_1)
	v_lshlrev_b64_e32 v[12:13], v12, v[32:33]
	v_dual_sub_nc_u32 v18, 29, v18 :: v_dual_bitop2_b32 v12, 7, v12 bitop3:0x40
; %bb.1895:                             ;   in Loop: Header=BB216_15 Depth=1
	s_or_b32 exec_lo, exec_lo, s17
	s_delay_alu instid0(VALU_DEP_1) | instskip(NEXT) | instid1(VALU_DEP_2)
	v_dual_lshlrev_b32 v13, 24, v17 :: v_dual_lshlrev_b32 v12, 20, v12
	v_lshl_add_u32 v17, v18, 23, 0x3c000000
	s_delay_alu instid0(VALU_DEP_2) | instskip(NEXT) | instid1(VALU_DEP_1)
	v_and_b32_e32 v13, 0x80000000, v13
	v_or3_b32 v32, v12, v13, v17
	v_mov_b32_e32 v13, v33
	scratch_store_b64 off, v[12:13], s32 offset:192 ; 8-byte Folded Spill
.LBB216_1896:                           ;   in Loop: Header=BB216_15 Depth=1
	s_wait_xcnt 0x0
	s_or_b32 exec_lo, exec_lo, s16
.LBB216_1897:                           ;   in Loop: Header=BB216_15 Depth=1
	s_delay_alu instid0(SALU_CYCLE_1)
	s_or_b32 exec_lo, exec_lo, s15
.LBB216_1898:                           ;   in Loop: Header=BB216_15 Depth=1
	s_delay_alu instid0(SALU_CYCLE_1) | instskip(NEXT) | instid1(SALU_CYCLE_1)
	s_or_b32 exec_lo, exec_lo, s14
	s_mov_b32 s14, exec_lo
	v_cmpx_lt_u32_e32 0xffffff, v16
	s_cbranch_execz .LBB216_1906
; %bb.1899:                             ;   in Loop: Header=BB216_15 Depth=1
	v_mov_b64_e32 v[50:51], 0x8000000000000000
	v_lshrrev_b32_e32 v17, 24, v16
	s_mov_b32 s15, exec_lo
	s_delay_alu instid0(VALU_DEP_1)
	v_cmpx_ne_u32_e32 0x80, v17
	s_cbranch_execz .LBB216_1905
; %bb.1900:                             ;   in Loop: Header=BB216_15 Depth=1
	v_mov_b64_e32 v[50:51], 0x7f80000100000000
	v_bfe_u32 v12, v16, 24, 7
	s_mov_b32 s16, exec_lo
	s_delay_alu instid0(VALU_DEP_1)
	v_cmpx_ne_u32_e32 0x7f, v12
	s_cbranch_execz .LBB216_1904
; %bb.1901:                             ;   in Loop: Header=BB216_15 Depth=1
	scratch_load_b64 v[18:19], off, s32 offset:192 th:TH_LOAD_LU ; 8-byte Folded Reload
	s_wait_loadcnt 0x0
	v_dual_lshrrev_b32 v16, 3, v12 :: v_dual_bitop2_b32 v18, 7, v17 bitop3:0x40
	v_cmp_gt_u32_e64 s1, 8, v12
	s_delay_alu instid0(VALU_DEP_2)
	v_mov_b64_e32 v[12:13], v[18:19]
	s_wait_xcnt 0x0
	s_and_saveexec_b32 s17, s1
; %bb.1902:                             ;   in Loop: Header=BB216_15 Depth=1
	v_clz_i32_u32_e32 v12, v18
	s_delay_alu instid0(VALU_DEP_1) | instskip(NEXT) | instid1(VALU_DEP_1)
	v_min_u32_e32 v16, 32, v12
	v_subrev_nc_u32_e32 v12, 28, v16
	v_sub_nc_u32_e32 v16, 29, v16
	s_delay_alu instid0(VALU_DEP_2) | instskip(NEXT) | instid1(VALU_DEP_1)
	v_lshlrev_b64_e32 v[12:13], v12, v[18:19]
	v_and_b32_e32 v12, 7, v12
; %bb.1903:                             ;   in Loop: Header=BB216_15 Depth=1
	s_or_b32 exec_lo, exec_lo, s17
	s_delay_alu instid0(VALU_DEP_1) | instskip(SKIP_2) | instid1(VALU_DEP_3)
	v_dual_lshlrev_b32 v13, 24, v17 :: v_dual_lshlrev_b32 v12, 20, v12
	v_lshl_add_u32 v16, v16, 23, 0x3c000000
	v_mov_b32_e32 v50, v19
	v_and_b32_e32 v13, 0x80000000, v13
	s_delay_alu instid0(VALU_DEP_1)
	v_or3_b32 v51, v12, v13, v16
	v_mov_b32_e32 v13, v19
	scratch_store_b64 off, v[12:13], s32 offset:192 ; 8-byte Folded Spill
.LBB216_1904:                           ;   in Loop: Header=BB216_15 Depth=1
	s_wait_xcnt 0x0
	s_or_b32 exec_lo, exec_lo, s16
.LBB216_1905:                           ;   in Loop: Header=BB216_15 Depth=1
	s_delay_alu instid0(SALU_CYCLE_1)
	s_or_b32 exec_lo, exec_lo, s15
.LBB216_1906:                           ;   in Loop: Header=BB216_15 Depth=1
	s_delay_alu instid0(SALU_CYCLE_1)
	s_or_b32 exec_lo, exec_lo, s14
	flat_load_b32 v16, v[84:85] offset:7180
	v_mov_b64_e32 v[66:67], 0
	v_mov_b64_e32 v[26:27], 0
	s_mov_b32 s14, exec_lo
	s_wait_loadcnt_dscnt 0x0
	v_and_b32_e32 v12, 0xff, v16
	s_wait_xcnt 0x0
	s_delay_alu instid0(VALU_DEP_1)
	v_cmpx_ne_u16_e32 0, v12
	s_cbranch_execz .LBB216_1914
; %bb.1907:                             ;   in Loop: Header=BB216_15 Depth=1
	v_mov_b64_e32 v[26:27], 0x80000000
	s_mov_b32 s15, exec_lo
	v_cmpx_ne_u16_e32 0x80, v12
	s_cbranch_execz .LBB216_1913
; %bb.1908:                             ;   in Loop: Header=BB216_15 Depth=1
	v_mov_b64_e32 v[26:27], 0x7f800001
	v_and_b32_e32 v12, 0x7f, v16
	s_mov_b32 s16, exec_lo
	s_delay_alu instid0(VALU_DEP_1)
	v_cmpx_ne_u32_e32 0x7f, v12
	s_cbranch_execz .LBB216_1912
; %bb.1909:                             ;   in Loop: Header=BB216_15 Depth=1
	scratch_load_b64 v[26:27], off, s32 offset:192 th:TH_LOAD_LU ; 8-byte Folded Reload
	s_wait_loadcnt 0x0
	v_and_b32_e32 v26, 7, v16
	v_lshrrev_b32_e32 v17, 3, v12
	v_cmp_gt_u32_e64 s1, 8, v12
	s_delay_alu instid0(VALU_DEP_3)
	v_mov_b64_e32 v[12:13], v[26:27]
	s_wait_xcnt 0x0
	s_and_saveexec_b32 s17, s1
; %bb.1910:                             ;   in Loop: Header=BB216_15 Depth=1
	v_clz_i32_u32_e32 v12, v26
	s_delay_alu instid0(VALU_DEP_1) | instskip(NEXT) | instid1(VALU_DEP_1)
	v_min_u32_e32 v17, 32, v12
	v_subrev_nc_u32_e32 v12, 28, v17
	s_delay_alu instid0(VALU_DEP_1) | instskip(NEXT) | instid1(VALU_DEP_1)
	v_lshlrev_b64_e32 v[12:13], v12, v[26:27]
	v_dual_sub_nc_u32 v17, 29, v17 :: v_dual_bitop2_b32 v12, 7, v12 bitop3:0x40
; %bb.1911:                             ;   in Loop: Header=BB216_15 Depth=1
	s_or_b32 exec_lo, exec_lo, s17
	v_lshlrev_b32_e32 v13, 24, v16
	s_delay_alu instid0(VALU_DEP_2) | instskip(NEXT) | instid1(VALU_DEP_3)
	v_lshlrev_b32_e32 v12, 20, v12
	v_lshl_add_u32 v17, v17, 23, 0x3c000000
	s_delay_alu instid0(VALU_DEP_3) | instskip(NEXT) | instid1(VALU_DEP_1)
	v_and_b32_e32 v13, 0x80000000, v13
	v_or3_b32 v26, v12, v13, v17
	v_mov_b32_e32 v13, v27
	scratch_store_b64 off, v[12:13], s32 offset:192 ; 8-byte Folded Spill
.LBB216_1912:                           ;   in Loop: Header=BB216_15 Depth=1
	s_wait_xcnt 0x0
	s_or_b32 exec_lo, exec_lo, s16
.LBB216_1913:                           ;   in Loop: Header=BB216_15 Depth=1
	s_delay_alu instid0(SALU_CYCLE_1)
	s_or_b32 exec_lo, exec_lo, s15
.LBB216_1914:                           ;   in Loop: Header=BB216_15 Depth=1
	s_delay_alu instid0(SALU_CYCLE_1) | instskip(SKIP_2) | instid1(VALU_DEP_1)
	s_or_b32 exec_lo, exec_lo, s14
	v_lshrrev_b16 v12, 8, v16
	s_mov_b32 s14, exec_lo
	v_cmpx_ne_u16_e32 0, v12
	s_cbranch_execz .LBB216_1922
; %bb.1915:                             ;   in Loop: Header=BB216_15 Depth=1
	v_mov_b64_e32 v[66:67], 0x8000000000000000
	s_mov_b32 s15, exec_lo
	v_cmpx_ne_u16_e32 0x80, v12
	s_cbranch_execz .LBB216_1921
; %bb.1916:                             ;   in Loop: Header=BB216_15 Depth=1
	v_and_b32_e32 v13, 0xffff, v12
	v_mov_b64_e32 v[66:67], 0x7f80000100000000
	s_mov_b32 s16, exec_lo
	s_delay_alu instid0(VALU_DEP_2) | instskip(NEXT) | instid1(VALU_DEP_1)
	v_and_b32_e32 v12, 0x7f, v13
	v_cmpx_ne_u32_e32 0x7f, v12
	s_cbranch_execz .LBB216_1920
; %bb.1917:                             ;   in Loop: Header=BB216_15 Depth=1
	scratch_load_b64 v[18:19], off, s32 offset:192 th:TH_LOAD_LU ; 8-byte Folded Reload
	s_wait_loadcnt 0x0
	v_dual_lshrrev_b32 v17, 3, v12 :: v_dual_bitop2_b32 v18, 7, v13 bitop3:0x40
	v_cmp_gt_u32_e64 s1, 8, v12
	s_delay_alu instid0(VALU_DEP_2)
	v_mov_b64_e32 v[12:13], v[18:19]
	s_wait_xcnt 0x0
	s_and_saveexec_b32 s17, s1
; %bb.1918:                             ;   in Loop: Header=BB216_15 Depth=1
	v_clz_i32_u32_e32 v12, v18
	s_delay_alu instid0(VALU_DEP_1) | instskip(NEXT) | instid1(VALU_DEP_1)
	v_min_u32_e32 v17, 32, v12
	v_subrev_nc_u32_e32 v12, 28, v17
	s_delay_alu instid0(VALU_DEP_1) | instskip(NEXT) | instid1(VALU_DEP_1)
	v_lshlrev_b64_e32 v[12:13], v12, v[18:19]
	v_dual_sub_nc_u32 v17, 29, v17 :: v_dual_bitop2_b32 v12, 7, v12 bitop3:0x40
; %bb.1919:                             ;   in Loop: Header=BB216_15 Depth=1
	s_or_b32 exec_lo, exec_lo, s17
	v_dual_mov_b32 v66, v19 :: v_dual_lshlrev_b32 v13, 16, v16
	s_delay_alu instid0(VALU_DEP_2) | instskip(NEXT) | instid1(VALU_DEP_3)
	v_lshlrev_b32_e32 v12, 20, v12
	v_lshl_add_u32 v17, v17, 23, 0x3c000000
	s_delay_alu instid0(VALU_DEP_3) | instskip(NEXT) | instid1(VALU_DEP_1)
	v_and_b32_e32 v13, 0x80000000, v13
	v_or3_b32 v67, v12, v13, v17
	v_mov_b32_e32 v13, v19
	scratch_store_b64 off, v[12:13], s32 offset:192 ; 8-byte Folded Spill
.LBB216_1920:                           ;   in Loop: Header=BB216_15 Depth=1
	s_wait_xcnt 0x0
	s_or_b32 exec_lo, exec_lo, s16
.LBB216_1921:                           ;   in Loop: Header=BB216_15 Depth=1
	s_delay_alu instid0(SALU_CYCLE_1)
	s_or_b32 exec_lo, exec_lo, s15
.LBB216_1922:                           ;   in Loop: Header=BB216_15 Depth=1
	s_delay_alu instid0(SALU_CYCLE_1) | instskip(SKIP_4) | instid1(VALU_DEP_3)
	s_or_b32 exec_lo, exec_lo, s14
	v_lshrrev_b32_e32 v17, 16, v16
	v_mov_b64_e32 v[102:103], 0
	v_mov_b64_e32 v[12:13], 0
	s_mov_b32 s14, exec_lo
	v_and_b32_e32 v18, 0xff, v17
	s_delay_alu instid0(VALU_DEP_1)
	v_cmpx_ne_u16_e32 0, v18
	s_cbranch_execz .LBB216_1930
; %bb.1923:                             ;   in Loop: Header=BB216_15 Depth=1
	v_mov_b64_e32 v[12:13], 0x80000000
	s_mov_b32 s15, exec_lo
	v_cmpx_ne_u16_e32 0x80, v18
	s_cbranch_execz .LBB216_1929
; %bb.1924:                             ;   in Loop: Header=BB216_15 Depth=1
	v_mov_b64_e32 v[12:13], 0x7f800001
	v_bfe_u32 v19, v16, 16, 7
	s_mov_b32 s16, exec_lo
	s_delay_alu instid0(VALU_DEP_1)
	v_cmpx_ne_u32_e32 0x7f, v19
	s_cbranch_execz .LBB216_1928
; %bb.1925:                             ;   in Loop: Header=BB216_15 Depth=1
	scratch_load_b64 v[22:23], off, s32 offset:192 th:TH_LOAD_LU ; 8-byte Folded Reload
	s_wait_loadcnt 0x0
	v_dual_lshrrev_b32 v18, 3, v19 :: v_dual_bitop2_b32 v22, 7, v17 bitop3:0x40
	s_mov_b32 s17, exec_lo
	s_delay_alu instid0(VALU_DEP_1)
	v_mov_b64_e32 v[12:13], v[22:23]
	s_wait_xcnt 0x0
	v_cmpx_gt_u32_e32 8, v19
; %bb.1926:                             ;   in Loop: Header=BB216_15 Depth=1
	v_clz_i32_u32_e32 v12, v22
	s_delay_alu instid0(VALU_DEP_1) | instskip(NEXT) | instid1(VALU_DEP_1)
	v_min_u32_e32 v18, 32, v12
	v_subrev_nc_u32_e32 v12, 28, v18
	s_delay_alu instid0(VALU_DEP_1) | instskip(NEXT) | instid1(VALU_DEP_1)
	v_lshlrev_b64_e32 v[12:13], v12, v[22:23]
	v_dual_sub_nc_u32 v18, 29, v18 :: v_dual_bitop2_b32 v12, 7, v12 bitop3:0x40
; %bb.1927:                             ;   in Loop: Header=BB216_15 Depth=1
	s_or_b32 exec_lo, exec_lo, s17
	s_delay_alu instid0(VALU_DEP_1) | instskip(NEXT) | instid1(VALU_DEP_2)
	v_dual_lshlrev_b32 v13, 24, v17 :: v_dual_lshlrev_b32 v12, 20, v12
	v_lshl_add_u32 v17, v18, 23, 0x3c000000
	s_delay_alu instid0(VALU_DEP_2) | instskip(NEXT) | instid1(VALU_DEP_1)
	v_and_b32_e32 v13, 0x80000000, v13
	v_or3_b32 v22, v12, v13, v17
	v_mov_b32_e32 v13, v23
	scratch_store_b64 off, v[12:13], s32 offset:192 ; 8-byte Folded Spill
	s_wait_xcnt 0x0
	v_mov_b64_e32 v[12:13], v[22:23]
.LBB216_1928:                           ;   in Loop: Header=BB216_15 Depth=1
	s_or_b32 exec_lo, exec_lo, s16
.LBB216_1929:                           ;   in Loop: Header=BB216_15 Depth=1
	s_delay_alu instid0(SALU_CYCLE_1)
	s_or_b32 exec_lo, exec_lo, s15
.LBB216_1930:                           ;   in Loop: Header=BB216_15 Depth=1
	s_delay_alu instid0(SALU_CYCLE_1) | instskip(NEXT) | instid1(SALU_CYCLE_1)
	s_or_b32 exec_lo, exec_lo, s14
	s_mov_b32 s14, exec_lo
	v_cmpx_lt_u32_e32 0xffffff, v16
	s_cbranch_execz .LBB216_1938
; %bb.1931:                             ;   in Loop: Header=BB216_15 Depth=1
	v_mov_b64_e32 v[102:103], 0x8000000000000000
	v_lshrrev_b32_e32 v18, 24, v16
	s_mov_b32 s15, exec_lo
	s_delay_alu instid0(VALU_DEP_1)
	v_cmpx_ne_u32_e32 0x80, v18
	s_cbranch_execz .LBB216_1937
; %bb.1932:                             ;   in Loop: Header=BB216_15 Depth=1
	v_mov_b64_e32 v[102:103], 0x7f80000100000000
	v_bfe_u32 v16, v16, 24, 7
	s_mov_b32 s16, exec_lo
	s_delay_alu instid0(VALU_DEP_1)
	v_cmpx_ne_u32_e32 0x7f, v16
	s_cbranch_execz .LBB216_1936
; %bb.1933:                             ;   in Loop: Header=BB216_15 Depth=1
	scratch_load_b64 v[22:23], off, s32 offset:192 th:TH_LOAD_LU ; 8-byte Folded Reload
	s_wait_loadcnt 0x0
	v_dual_lshrrev_b32 v19, 3, v16 :: v_dual_bitop2_b32 v22, 7, v18 bitop3:0x40
	v_cmp_gt_u32_e64 s1, 8, v16
	s_delay_alu instid0(VALU_DEP_2)
	v_mov_b64_e32 v[16:17], v[22:23]
	s_wait_xcnt 0x0
	s_and_saveexec_b32 s17, s1
; %bb.1934:                             ;   in Loop: Header=BB216_15 Depth=1
	v_clz_i32_u32_e32 v16, v22
	s_delay_alu instid0(VALU_DEP_1) | instskip(NEXT) | instid1(VALU_DEP_1)
	v_min_u32_e32 v19, 32, v16
	v_subrev_nc_u32_e32 v16, 28, v19
	s_delay_alu instid0(VALU_DEP_1) | instskip(NEXT) | instid1(VALU_DEP_1)
	v_lshlrev_b64_e32 v[16:17], v16, v[22:23]
	v_dual_sub_nc_u32 v19, 29, v19 :: v_dual_bitop2_b32 v16, 7, v16 bitop3:0x40
; %bb.1935:                             ;   in Loop: Header=BB216_15 Depth=1
	s_or_b32 exec_lo, exec_lo, s17
	s_delay_alu instid0(VALU_DEP_1) | instskip(NEXT) | instid1(VALU_DEP_2)
	v_dual_lshlrev_b32 v17, 24, v18 :: v_dual_lshlrev_b32 v16, 20, v16
	v_lshl_add_u32 v18, v19, 23, 0x3c000000
	v_mov_b32_e32 v102, v23
	s_delay_alu instid0(VALU_DEP_3) | instskip(NEXT) | instid1(VALU_DEP_1)
	v_and_b32_e32 v17, 0x80000000, v17
	v_or3_b32 v103, v16, v17, v18
	v_mov_b32_e32 v17, v23
	scratch_store_b64 off, v[16:17], s32 offset:192 ; 8-byte Folded Spill
.LBB216_1936:                           ;   in Loop: Header=BB216_15 Depth=1
	s_wait_xcnt 0x0
	s_or_b32 exec_lo, exec_lo, s16
.LBB216_1937:                           ;   in Loop: Header=BB216_15 Depth=1
	s_delay_alu instid0(SALU_CYCLE_1)
	s_or_b32 exec_lo, exec_lo, s15
.LBB216_1938:                           ;   in Loop: Header=BB216_15 Depth=1
	s_delay_alu instid0(SALU_CYCLE_1)
	s_or_b32 exec_lo, exec_lo, s14
	flat_load_b32 v22, v[84:85] offset:7680
	v_mov_b64_e32 v[80:81], 0
	v_mov_b64_e32 v[96:97], 0
	s_mov_b32 s14, exec_lo
	s_wait_loadcnt_dscnt 0x0
	v_and_b32_e32 v16, 0xff, v22
	s_wait_xcnt 0x0
	s_delay_alu instid0(VALU_DEP_1)
	v_cmpx_ne_u16_e32 0, v16
	s_cbranch_execz .LBB216_1946
; %bb.1939:                             ;   in Loop: Header=BB216_15 Depth=1
	v_mov_b64_e32 v[96:97], 0x80000000
	s_mov_b32 s15, exec_lo
	v_cmpx_ne_u16_e32 0x80, v16
	s_cbranch_execz .LBB216_1945
; %bb.1940:                             ;   in Loop: Header=BB216_15 Depth=1
	v_mov_b64_e32 v[96:97], 0x7f800001
	v_and_b32_e32 v16, 0x7f, v22
	s_mov_b32 s16, exec_lo
	s_delay_alu instid0(VALU_DEP_1)
	v_cmpx_ne_u32_e32 0x7f, v16
	s_cbranch_execz .LBB216_1944
; %bb.1941:                             ;   in Loop: Header=BB216_15 Depth=1
	scratch_load_b64 v[96:97], off, s32 offset:192 th:TH_LOAD_LU ; 8-byte Folded Reload
	s_wait_loadcnt 0x0
	v_dual_lshrrev_b32 v18, 3, v16 :: v_dual_bitop2_b32 v96, 7, v22 bitop3:0x40
	v_cmp_gt_u32_e64 s1, 8, v16
	s_delay_alu instid0(VALU_DEP_2)
	v_mov_b64_e32 v[16:17], v[96:97]
	s_wait_xcnt 0x0
	s_and_saveexec_b32 s17, s1
; %bb.1942:                             ;   in Loop: Header=BB216_15 Depth=1
	v_clz_i32_u32_e32 v16, v96
	s_delay_alu instid0(VALU_DEP_1) | instskip(NEXT) | instid1(VALU_DEP_1)
	v_min_u32_e32 v18, 32, v16
	v_subrev_nc_u32_e32 v16, 28, v18
	s_delay_alu instid0(VALU_DEP_1) | instskip(NEXT) | instid1(VALU_DEP_1)
	v_lshlrev_b64_e32 v[16:17], v16, v[96:97]
	v_dual_sub_nc_u32 v18, 29, v18 :: v_dual_bitop2_b32 v16, 7, v16 bitop3:0x40
; %bb.1943:                             ;   in Loop: Header=BB216_15 Depth=1
	s_or_b32 exec_lo, exec_lo, s17
	s_delay_alu instid0(VALU_DEP_1) | instskip(NEXT) | instid1(VALU_DEP_2)
	v_dual_lshlrev_b32 v17, 24, v22 :: v_dual_lshlrev_b32 v16, 20, v16
	v_lshl_add_u32 v18, v18, 23, 0x3c000000
	s_delay_alu instid0(VALU_DEP_2) | instskip(NEXT) | instid1(VALU_DEP_1)
	v_and_b32_e32 v17, 0x80000000, v17
	v_or3_b32 v96, v16, v17, v18
	v_mov_b32_e32 v17, v97
	scratch_store_b64 off, v[16:17], s32 offset:192 ; 8-byte Folded Spill
.LBB216_1944:                           ;   in Loop: Header=BB216_15 Depth=1
	s_wait_xcnt 0x0
	s_or_b32 exec_lo, exec_lo, s16
.LBB216_1945:                           ;   in Loop: Header=BB216_15 Depth=1
	s_delay_alu instid0(SALU_CYCLE_1)
	s_or_b32 exec_lo, exec_lo, s15
.LBB216_1946:                           ;   in Loop: Header=BB216_15 Depth=1
	s_delay_alu instid0(SALU_CYCLE_1) | instskip(SKIP_2) | instid1(VALU_DEP_1)
	s_or_b32 exec_lo, exec_lo, s14
	v_lshrrev_b16 v16, 8, v22
	s_mov_b32 s14, exec_lo
	v_cmpx_ne_u16_e32 0, v16
	s_cbranch_execz .LBB216_1954
; %bb.1947:                             ;   in Loop: Header=BB216_15 Depth=1
	v_mov_b64_e32 v[80:81], 0x8000000000000000
	s_mov_b32 s15, exec_lo
	v_cmpx_ne_u16_e32 0x80, v16
	s_cbranch_execz .LBB216_1953
; %bb.1948:                             ;   in Loop: Header=BB216_15 Depth=1
	v_and_b32_e32 v17, 0xffff, v16
	v_mov_b64_e32 v[80:81], 0x7f80000100000000
	s_mov_b32 s16, exec_lo
	s_delay_alu instid0(VALU_DEP_2) | instskip(NEXT) | instid1(VALU_DEP_1)
	v_and_b32_e32 v16, 0x7f, v17
	v_cmpx_ne_u32_e32 0x7f, v16
	s_cbranch_execz .LBB216_1952
; %bb.1949:                             ;   in Loop: Header=BB216_15 Depth=1
	scratch_load_b64 v[30:31], off, s32 offset:192 th:TH_LOAD_LU ; 8-byte Folded Reload
	s_wait_loadcnt 0x0
	v_dual_lshrrev_b32 v18, 3, v16 :: v_dual_bitop2_b32 v30, 7, v17 bitop3:0x40
	v_cmp_gt_u32_e64 s1, 8, v16
	s_delay_alu instid0(VALU_DEP_2)
	v_mov_b64_e32 v[16:17], v[30:31]
	s_wait_xcnt 0x0
	s_and_saveexec_b32 s17, s1
; %bb.1950:                             ;   in Loop: Header=BB216_15 Depth=1
	v_clz_i32_u32_e32 v16, v30
	s_delay_alu instid0(VALU_DEP_1) | instskip(NEXT) | instid1(VALU_DEP_1)
	v_min_u32_e32 v18, 32, v16
	v_subrev_nc_u32_e32 v16, 28, v18
	s_delay_alu instid0(VALU_DEP_1) | instskip(NEXT) | instid1(VALU_DEP_1)
	v_lshlrev_b64_e32 v[16:17], v16, v[30:31]
	v_dual_sub_nc_u32 v18, 29, v18 :: v_dual_bitop2_b32 v16, 7, v16 bitop3:0x40
; %bb.1951:                             ;   in Loop: Header=BB216_15 Depth=1
	s_or_b32 exec_lo, exec_lo, s17
	s_delay_alu instid0(VALU_DEP_1) | instskip(NEXT) | instid1(VALU_DEP_2)
	v_dual_lshlrev_b32 v17, 16, v22 :: v_dual_lshlrev_b32 v16, 20, v16
	v_lshl_add_u32 v18, v18, 23, 0x3c000000
	v_mov_b32_e32 v80, v31
	s_delay_alu instid0(VALU_DEP_3) | instskip(NEXT) | instid1(VALU_DEP_1)
	v_and_b32_e32 v17, 0x80000000, v17
	v_or3_b32 v81, v16, v17, v18
	v_mov_b32_e32 v17, v31
	scratch_store_b64 off, v[16:17], s32 offset:192 ; 8-byte Folded Spill
.LBB216_1952:                           ;   in Loop: Header=BB216_15 Depth=1
	s_wait_xcnt 0x0
	s_or_b32 exec_lo, exec_lo, s16
.LBB216_1953:                           ;   in Loop: Header=BB216_15 Depth=1
	s_delay_alu instid0(SALU_CYCLE_1)
	s_or_b32 exec_lo, exec_lo, s15
.LBB216_1954:                           ;   in Loop: Header=BB216_15 Depth=1
	s_delay_alu instid0(SALU_CYCLE_1) | instskip(SKIP_4) | instid1(VALU_DEP_3)
	s_or_b32 exec_lo, exec_lo, s14
	v_lshrrev_b32_e32 v23, 16, v22
	v_mov_b64_e32 v[18:19], 0
	v_mov_b64_e32 v[16:17], 0
	s_mov_b32 s14, exec_lo
	v_and_b32_e32 v30, 0xff, v23
	s_delay_alu instid0(VALU_DEP_1)
	v_cmpx_ne_u16_e32 0, v30
	s_cbranch_execz .LBB216_1962
; %bb.1955:                             ;   in Loop: Header=BB216_15 Depth=1
	v_mov_b64_e32 v[16:17], 0x80000000
	s_mov_b32 s15, exec_lo
	v_cmpx_ne_u16_e32 0x80, v30
	s_cbranch_execz .LBB216_1961
; %bb.1956:                             ;   in Loop: Header=BB216_15 Depth=1
	v_mov_b64_e32 v[16:17], 0x7f800001
	v_bfe_u32 v31, v22, 16, 7
	s_mov_b32 s16, exec_lo
	s_delay_alu instid0(VALU_DEP_1)
	v_cmpx_ne_u32_e32 0x7f, v31
	s_cbranch_execz .LBB216_1960
; %bb.1957:                             ;   in Loop: Header=BB216_15 Depth=1
	scratch_load_b64 v[54:55], off, s32 offset:192 th:TH_LOAD_LU ; 8-byte Folded Reload
	s_wait_loadcnt 0x0
	v_and_b32_e32 v54, 7, v23
	v_lshrrev_b32_e32 v30, 3, v31
	s_mov_b32 s17, exec_lo
	s_delay_alu instid0(VALU_DEP_2)
	v_mov_b64_e32 v[16:17], v[54:55]
	s_wait_xcnt 0x0
	v_cmpx_gt_u32_e32 8, v31
; %bb.1958:                             ;   in Loop: Header=BB216_15 Depth=1
	v_clz_i32_u32_e32 v16, v54
	s_delay_alu instid0(VALU_DEP_1) | instskip(NEXT) | instid1(VALU_DEP_1)
	v_min_u32_e32 v30, 32, v16
	v_subrev_nc_u32_e32 v16, 28, v30
	s_delay_alu instid0(VALU_DEP_1) | instskip(NEXT) | instid1(VALU_DEP_1)
	v_lshlrev_b64_e32 v[16:17], v16, v[54:55]
	v_dual_sub_nc_u32 v30, 29, v30 :: v_dual_bitop2_b32 v16, 7, v16 bitop3:0x40
; %bb.1959:                             ;   in Loop: Header=BB216_15 Depth=1
	s_or_b32 exec_lo, exec_lo, s17
	s_delay_alu instid0(VALU_DEP_1) | instskip(NEXT) | instid1(VALU_DEP_2)
	v_dual_lshlrev_b32 v17, 24, v23 :: v_dual_lshlrev_b32 v16, 20, v16
	v_lshl_add_u32 v23, v30, 23, 0x3c000000
	s_delay_alu instid0(VALU_DEP_2) | instskip(NEXT) | instid1(VALU_DEP_1)
	v_and_b32_e32 v17, 0x80000000, v17
	v_or3_b32 v54, v16, v17, v23
	v_mov_b32_e32 v17, v55
	scratch_store_b64 off, v[16:17], s32 offset:192 ; 8-byte Folded Spill
	s_wait_xcnt 0x0
	v_mov_b64_e32 v[16:17], v[54:55]
.LBB216_1960:                           ;   in Loop: Header=BB216_15 Depth=1
	s_or_b32 exec_lo, exec_lo, s16
.LBB216_1961:                           ;   in Loop: Header=BB216_15 Depth=1
	s_delay_alu instid0(SALU_CYCLE_1)
	s_or_b32 exec_lo, exec_lo, s15
.LBB216_1962:                           ;   in Loop: Header=BB216_15 Depth=1
	s_delay_alu instid0(SALU_CYCLE_1) | instskip(NEXT) | instid1(SALU_CYCLE_1)
	s_or_b32 exec_lo, exec_lo, s14
	s_mov_b32 s14, exec_lo
	v_cmpx_lt_u32_e32 0xffffff, v22
	s_cbranch_execz .LBB216_1970
; %bb.1963:                             ;   in Loop: Header=BB216_15 Depth=1
	v_mov_b64_e32 v[18:19], 0x8000000000000000
	v_lshrrev_b32_e32 v23, 24, v22
	s_mov_b32 s15, exec_lo
	s_delay_alu instid0(VALU_DEP_1)
	v_cmpx_ne_u32_e32 0x80, v23
	s_cbranch_execz .LBB216_1969
; %bb.1964:                             ;   in Loop: Header=BB216_15 Depth=1
	v_mov_b64_e32 v[18:19], 0x7f80000100000000
	v_bfe_u32 v30, v22, 24, 7
	s_mov_b32 s16, exec_lo
	s_delay_alu instid0(VALU_DEP_1)
	v_cmpx_ne_u32_e32 0x7f, v30
	s_cbranch_execz .LBB216_1968
; %bb.1965:                             ;   in Loop: Header=BB216_15 Depth=1
	scratch_load_b64 v[54:55], off, s32 offset:192 th:TH_LOAD_LU ; 8-byte Folded Reload
	s_wait_loadcnt 0x0
	v_dual_lshrrev_b32 v22, 3, v30 :: v_dual_bitop2_b32 v54, 7, v23 bitop3:0x40
	s_mov_b32 s17, exec_lo
	s_delay_alu instid0(VALU_DEP_1)
	v_mov_b64_e32 v[18:19], v[54:55]
	s_wait_xcnt 0x0
	v_cmpx_gt_u32_e32 8, v30
; %bb.1966:                             ;   in Loop: Header=BB216_15 Depth=1
	v_clz_i32_u32_e32 v18, v54
	s_delay_alu instid0(VALU_DEP_1) | instskip(NEXT) | instid1(VALU_DEP_1)
	v_min_u32_e32 v22, 32, v18
	v_subrev_nc_u32_e32 v18, 28, v22
	v_sub_nc_u32_e32 v22, 29, v22
	s_delay_alu instid0(VALU_DEP_2) | instskip(NEXT) | instid1(VALU_DEP_1)
	v_lshlrev_b64_e32 v[18:19], v18, v[54:55]
	v_and_b32_e32 v18, 7, v18
; %bb.1967:                             ;   in Loop: Header=BB216_15 Depth=1
	s_or_b32 exec_lo, exec_lo, s17
	s_delay_alu instid0(VALU_DEP_1) | instskip(SKIP_2) | instid1(VALU_DEP_3)
	v_dual_lshlrev_b32 v19, 24, v23 :: v_dual_lshlrev_b32 v18, 20, v18
	v_lshl_add_u32 v22, v22, 23, 0x3c000000
	v_mov_b32_e32 v23, v55
	v_and_b32_e32 v19, 0x80000000, v19
	s_delay_alu instid0(VALU_DEP_1)
	v_or3_b32 v19, v18, v19, v22
	v_mov_b32_e32 v18, v55
	scratch_store_b64 off, v[22:23], s32 offset:192 ; 8-byte Folded Spill
.LBB216_1968:                           ;   in Loop: Header=BB216_15 Depth=1
	s_wait_xcnt 0x0
	s_or_b32 exec_lo, exec_lo, s16
.LBB216_1969:                           ;   in Loop: Header=BB216_15 Depth=1
	s_delay_alu instid0(SALU_CYCLE_1)
	s_or_b32 exec_lo, exec_lo, s15
.LBB216_1970:                           ;   in Loop: Header=BB216_15 Depth=1
	s_delay_alu instid0(SALU_CYCLE_1)
	s_or_b32 exec_lo, exec_lo, s14
	flat_load_b32 v30, v[84:85] offset:7684
	v_mov_b64_e32 v[126:127], 0
	v_mov_b64_e32 v[112:113], 0
	s_mov_b32 s14, exec_lo
	s_wait_loadcnt_dscnt 0x0
	v_and_b32_e32 v22, 0xff, v30
	s_wait_xcnt 0x0
	s_delay_alu instid0(VALU_DEP_1)
	v_cmpx_ne_u16_e32 0, v22
	s_cbranch_execz .LBB216_1978
; %bb.1971:                             ;   in Loop: Header=BB216_15 Depth=1
	v_mov_b64_e32 v[112:113], 0x80000000
	s_mov_b32 s15, exec_lo
	v_cmpx_ne_u16_e32 0x80, v22
	s_cbranch_execz .LBB216_1977
; %bb.1972:                             ;   in Loop: Header=BB216_15 Depth=1
	v_mov_b64_e32 v[112:113], 0x7f800001
	v_and_b32_e32 v22, 0x7f, v30
	s_mov_b32 s16, exec_lo
	s_delay_alu instid0(VALU_DEP_1)
	v_cmpx_ne_u32_e32 0x7f, v22
	s_cbranch_execz .LBB216_1976
; %bb.1973:                             ;   in Loop: Header=BB216_15 Depth=1
	scratch_load_b64 v[112:113], off, s32 offset:192 th:TH_LOAD_LU ; 8-byte Folded Reload
	s_wait_loadcnt 0x0
	v_and_b32_e32 v112, 7, v30
	v_lshrrev_b32_e32 v31, 3, v22
	v_cmp_gt_u32_e64 s1, 8, v22
	s_delay_alu instid0(VALU_DEP_3)
	v_mov_b64_e32 v[22:23], v[112:113]
	s_wait_xcnt 0x0
	s_and_saveexec_b32 s17, s1
; %bb.1974:                             ;   in Loop: Header=BB216_15 Depth=1
	v_clz_i32_u32_e32 v22, v112
	s_delay_alu instid0(VALU_DEP_1) | instskip(NEXT) | instid1(VALU_DEP_1)
	v_min_u32_e32 v31, 32, v22
	v_subrev_nc_u32_e32 v22, 28, v31
	s_delay_alu instid0(VALU_DEP_1) | instskip(NEXT) | instid1(VALU_DEP_1)
	v_lshlrev_b64_e32 v[22:23], v22, v[112:113]
	v_dual_sub_nc_u32 v31, 29, v31 :: v_dual_bitop2_b32 v22, 7, v22 bitop3:0x40
; %bb.1975:                             ;   in Loop: Header=BB216_15 Depth=1
	s_or_b32 exec_lo, exec_lo, s17
	v_lshlrev_b32_e32 v23, 24, v30
	s_delay_alu instid0(VALU_DEP_2) | instskip(NEXT) | instid1(VALU_DEP_3)
	v_lshlrev_b32_e32 v22, 20, v22
	v_lshl_add_u32 v31, v31, 23, 0x3c000000
	s_delay_alu instid0(VALU_DEP_3) | instskip(NEXT) | instid1(VALU_DEP_1)
	v_and_b32_e32 v23, 0x80000000, v23
	v_or3_b32 v112, v22, v23, v31
	v_mov_b32_e32 v23, v113
	scratch_store_b64 off, v[22:23], s32 offset:192 ; 8-byte Folded Spill
.LBB216_1976:                           ;   in Loop: Header=BB216_15 Depth=1
	s_wait_xcnt 0x0
	s_or_b32 exec_lo, exec_lo, s16
.LBB216_1977:                           ;   in Loop: Header=BB216_15 Depth=1
	s_delay_alu instid0(SALU_CYCLE_1)
	s_or_b32 exec_lo, exec_lo, s15
.LBB216_1978:                           ;   in Loop: Header=BB216_15 Depth=1
	s_delay_alu instid0(SALU_CYCLE_1) | instskip(SKIP_2) | instid1(VALU_DEP_1)
	s_or_b32 exec_lo, exec_lo, s14
	v_lshrrev_b16 v22, 8, v30
	s_mov_b32 s14, exec_lo
	v_cmpx_ne_u16_e32 0, v22
	s_cbranch_execz .LBB216_1986
; %bb.1979:                             ;   in Loop: Header=BB216_15 Depth=1
	v_mov_b64_e32 v[126:127], 0x8000000000000000
	s_mov_b32 s15, exec_lo
	v_cmpx_ne_u16_e32 0x80, v22
	s_cbranch_execz .LBB216_1985
; %bb.1980:                             ;   in Loop: Header=BB216_15 Depth=1
	v_and_b32_e32 v23, 0xffff, v22
	v_mov_b64_e32 v[126:127], 0x7f80000100000000
	s_mov_b32 s16, exec_lo
	s_delay_alu instid0(VALU_DEP_2) | instskip(NEXT) | instid1(VALU_DEP_1)
	v_and_b32_e32 v22, 0x7f, v23
	v_cmpx_ne_u32_e32 0x7f, v22
	s_cbranch_execz .LBB216_1984
; %bb.1981:                             ;   in Loop: Header=BB216_15 Depth=1
	scratch_load_b64 v[54:55], off, s32 offset:192 th:TH_LOAD_LU ; 8-byte Folded Reload
	s_wait_loadcnt 0x0
	v_dual_lshrrev_b32 v31, 3, v22 :: v_dual_bitop2_b32 v54, 7, v23 bitop3:0x40
	v_cmp_gt_u32_e64 s1, 8, v22
	s_delay_alu instid0(VALU_DEP_2)
	v_mov_b64_e32 v[22:23], v[54:55]
	s_wait_xcnt 0x0
	s_and_saveexec_b32 s17, s1
; %bb.1982:                             ;   in Loop: Header=BB216_15 Depth=1
	v_clz_i32_u32_e32 v22, v54
	s_delay_alu instid0(VALU_DEP_1) | instskip(NEXT) | instid1(VALU_DEP_1)
	v_min_u32_e32 v31, 32, v22
	v_subrev_nc_u32_e32 v22, 28, v31
	s_delay_alu instid0(VALU_DEP_1) | instskip(NEXT) | instid1(VALU_DEP_1)
	v_lshlrev_b64_e32 v[22:23], v22, v[54:55]
	v_dual_sub_nc_u32 v31, 29, v31 :: v_dual_bitop2_b32 v22, 7, v22 bitop3:0x40
; %bb.1983:                             ;   in Loop: Header=BB216_15 Depth=1
	s_or_b32 exec_lo, exec_lo, s17
	v_dual_mov_b32 v126, v55 :: v_dual_lshlrev_b32 v23, 16, v30
	s_delay_alu instid0(VALU_DEP_2) | instskip(NEXT) | instid1(VALU_DEP_3)
	v_lshlrev_b32_e32 v22, 20, v22
	v_lshl_add_u32 v31, v31, 23, 0x3c000000
	s_delay_alu instid0(VALU_DEP_3) | instskip(NEXT) | instid1(VALU_DEP_1)
	v_and_b32_e32 v23, 0x80000000, v23
	v_or3_b32 v127, v22, v23, v31
	v_mov_b32_e32 v23, v55
	scratch_store_b64 off, v[22:23], s32 offset:192 ; 8-byte Folded Spill
.LBB216_1984:                           ;   in Loop: Header=BB216_15 Depth=1
	s_wait_xcnt 0x0
	s_or_b32 exec_lo, exec_lo, s16
.LBB216_1985:                           ;   in Loop: Header=BB216_15 Depth=1
	s_delay_alu instid0(SALU_CYCLE_1)
	s_or_b32 exec_lo, exec_lo, s15
.LBB216_1986:                           ;   in Loop: Header=BB216_15 Depth=1
	s_delay_alu instid0(SALU_CYCLE_1) | instskip(SKIP_4) | instid1(VALU_DEP_3)
	s_or_b32 exec_lo, exec_lo, s14
	v_lshrrev_b32_e32 v31, 16, v30
	v_mov_b64_e32 v[76:77], 0
	v_mov_b64_e32 v[64:65], 0
	s_mov_b32 s14, exec_lo
	v_and_b32_e32 v22, 0xff, v31
	s_delay_alu instid0(VALU_DEP_1)
	v_cmpx_ne_u16_e32 0, v22
	s_cbranch_execz .LBB216_1994
; %bb.1987:                             ;   in Loop: Header=BB216_15 Depth=1
	v_mov_b64_e32 v[64:65], 0x80000000
	s_mov_b32 s15, exec_lo
	v_cmpx_ne_u16_e32 0x80, v22
	s_cbranch_execz .LBB216_1993
; %bb.1988:                             ;   in Loop: Header=BB216_15 Depth=1
	v_mov_b64_e32 v[64:65], 0x7f800001
	v_bfe_u32 v22, v30, 16, 7
	s_mov_b32 s16, exec_lo
	s_delay_alu instid0(VALU_DEP_1)
	v_cmpx_ne_u32_e32 0x7f, v22
	s_cbranch_execz .LBB216_1992
; %bb.1989:                             ;   in Loop: Header=BB216_15 Depth=1
	scratch_load_b64 v[64:65], off, s32 offset:192 th:TH_LOAD_LU ; 8-byte Folded Reload
	s_wait_loadcnt 0x0
	v_dual_lshrrev_b32 v54, 3, v22 :: v_dual_bitop2_b32 v64, 7, v31 bitop3:0x40
	v_cmp_gt_u32_e64 s1, 8, v22
	s_delay_alu instid0(VALU_DEP_2)
	v_mov_b64_e32 v[22:23], v[64:65]
	s_wait_xcnt 0x0
	s_and_saveexec_b32 s17, s1
; %bb.1990:                             ;   in Loop: Header=BB216_15 Depth=1
	v_clz_i32_u32_e32 v22, v64
	s_delay_alu instid0(VALU_DEP_1) | instskip(NEXT) | instid1(VALU_DEP_1)
	v_min_u32_e32 v54, 32, v22
	v_subrev_nc_u32_e32 v22, 28, v54
	v_sub_nc_u32_e32 v54, 29, v54
	s_delay_alu instid0(VALU_DEP_2) | instskip(NEXT) | instid1(VALU_DEP_1)
	v_lshlrev_b64_e32 v[22:23], v22, v[64:65]
	v_and_b32_e32 v22, 7, v22
; %bb.1991:                             ;   in Loop: Header=BB216_15 Depth=1
	s_or_b32 exec_lo, exec_lo, s17
	s_delay_alu instid0(VALU_DEP_1) | instskip(SKIP_1) | instid1(VALU_DEP_2)
	v_dual_lshlrev_b32 v23, 24, v31 :: v_dual_lshlrev_b32 v22, 20, v22
	v_lshl_add_u32 v31, v54, 23, 0x3c000000
	v_and_b32_e32 v23, 0x80000000, v23
	s_delay_alu instid0(VALU_DEP_1)
	v_or3_b32 v64, v22, v23, v31
	v_mov_b32_e32 v23, v65
	scratch_store_b64 off, v[22:23], s32 offset:192 ; 8-byte Folded Spill
.LBB216_1992:                           ;   in Loop: Header=BB216_15 Depth=1
	s_wait_xcnt 0x0
	s_or_b32 exec_lo, exec_lo, s16
.LBB216_1993:                           ;   in Loop: Header=BB216_15 Depth=1
	s_delay_alu instid0(SALU_CYCLE_1)
	s_or_b32 exec_lo, exec_lo, s15
.LBB216_1994:                           ;   in Loop: Header=BB216_15 Depth=1
	s_delay_alu instid0(SALU_CYCLE_1) | instskip(NEXT) | instid1(SALU_CYCLE_1)
	s_or_b32 exec_lo, exec_lo, s14
	s_mov_b32 s14, exec_lo
	v_cmpx_lt_u32_e32 0xffffff, v30
	s_cbranch_execz .LBB216_2002
; %bb.1995:                             ;   in Loop: Header=BB216_15 Depth=1
	v_mov_b64_e32 v[76:77], 0x8000000000000000
	v_lshrrev_b32_e32 v31, 24, v30
	s_mov_b32 s15, exec_lo
	s_delay_alu instid0(VALU_DEP_1)
	v_cmpx_ne_u32_e32 0x80, v31
	s_cbranch_execz .LBB216_2001
; %bb.1996:                             ;   in Loop: Header=BB216_15 Depth=1
	v_mov_b64_e32 v[76:77], 0x7f80000100000000
	v_bfe_u32 v22, v30, 24, 7
	s_mov_b32 s16, exec_lo
	s_delay_alu instid0(VALU_DEP_1)
	v_cmpx_ne_u32_e32 0x7f, v22
	s_cbranch_execz .LBB216_2000
; %bb.1997:                             ;   in Loop: Header=BB216_15 Depth=1
	scratch_load_b64 v[54:55], off, s32 offset:192 th:TH_LOAD_LU ; 8-byte Folded Reload
	s_wait_loadcnt 0x0
	v_dual_lshrrev_b32 v30, 3, v22 :: v_dual_bitop2_b32 v54, 7, v31 bitop3:0x40
	v_cmp_gt_u32_e64 s1, 8, v22
	s_delay_alu instid0(VALU_DEP_2)
	v_mov_b64_e32 v[22:23], v[54:55]
	s_wait_xcnt 0x0
	s_and_saveexec_b32 s17, s1
; %bb.1998:                             ;   in Loop: Header=BB216_15 Depth=1
	v_clz_i32_u32_e32 v22, v54
	s_delay_alu instid0(VALU_DEP_1) | instskip(NEXT) | instid1(VALU_DEP_1)
	v_min_u32_e32 v30, 32, v22
	v_subrev_nc_u32_e32 v22, 28, v30
	v_sub_nc_u32_e32 v30, 29, v30
	s_delay_alu instid0(VALU_DEP_2) | instskip(NEXT) | instid1(VALU_DEP_1)
	v_lshlrev_b64_e32 v[22:23], v22, v[54:55]
	v_and_b32_e32 v22, 7, v22
; %bb.1999:                             ;   in Loop: Header=BB216_15 Depth=1
	s_or_b32 exec_lo, exec_lo, s17
	s_delay_alu instid0(VALU_DEP_1) | instskip(SKIP_2) | instid1(VALU_DEP_3)
	v_dual_lshlrev_b32 v23, 24, v31 :: v_dual_lshlrev_b32 v22, 20, v22
	v_lshl_add_u32 v30, v30, 23, 0x3c000000
	v_mov_b32_e32 v76, v55
	v_and_b32_e32 v23, 0x80000000, v23
	s_delay_alu instid0(VALU_DEP_1)
	v_or3_b32 v77, v22, v23, v30
	v_mov_b32_e32 v23, v55
	scratch_store_b64 off, v[22:23], s32 offset:192 ; 8-byte Folded Spill
.LBB216_2000:                           ;   in Loop: Header=BB216_15 Depth=1
	s_wait_xcnt 0x0
	s_or_b32 exec_lo, exec_lo, s16
.LBB216_2001:                           ;   in Loop: Header=BB216_15 Depth=1
	s_delay_alu instid0(SALU_CYCLE_1)
	s_or_b32 exec_lo, exec_lo, s15
.LBB216_2002:                           ;   in Loop: Header=BB216_15 Depth=1
	s_delay_alu instid0(SALU_CYCLE_1)
	s_or_b32 exec_lo, exec_lo, s14
	flat_load_b32 v88, v[84:85] offset:7688
	v_mov_b64_e32 v[54:55], 0
	v_mov_b64_e32 v[30:31], 0
	s_mov_b32 s14, exec_lo
	s_wait_loadcnt_dscnt 0x0
	v_and_b32_e32 v22, 0xff, v88
	s_wait_xcnt 0x0
	s_delay_alu instid0(VALU_DEP_1)
	v_cmpx_ne_u16_e32 0, v22
	s_cbranch_execz .LBB216_2010
; %bb.2003:                             ;   in Loop: Header=BB216_15 Depth=1
	v_mov_b64_e32 v[30:31], 0x80000000
	s_mov_b32 s15, exec_lo
	v_cmpx_ne_u16_e32 0x80, v22
	s_cbranch_execz .LBB216_2009
; %bb.2004:                             ;   in Loop: Header=BB216_15 Depth=1
	v_mov_b64_e32 v[30:31], 0x7f800001
	v_and_b32_e32 v22, 0x7f, v88
	s_mov_b32 s16, exec_lo
	s_delay_alu instid0(VALU_DEP_1)
	v_cmpx_ne_u32_e32 0x7f, v22
	s_cbranch_execz .LBB216_2008
; %bb.2005:                             ;   in Loop: Header=BB216_15 Depth=1
	scratch_load_b64 v[98:99], off, s32 offset:192 th:TH_LOAD_LU ; 8-byte Folded Reload
	s_wait_loadcnt 0x0
	v_dual_lshrrev_b32 v30, 3, v22 :: v_dual_bitop2_b32 v98, 7, v88 bitop3:0x40
	v_cmp_gt_u32_e64 s1, 8, v22
	s_delay_alu instid0(VALU_DEP_2)
	v_mov_b64_e32 v[22:23], v[98:99]
	s_wait_xcnt 0x0
	s_and_saveexec_b32 s17, s1
; %bb.2006:                             ;   in Loop: Header=BB216_15 Depth=1
	v_clz_i32_u32_e32 v22, v98
	s_delay_alu instid0(VALU_DEP_1) | instskip(NEXT) | instid1(VALU_DEP_1)
	v_min_u32_e32 v30, 32, v22
	v_subrev_nc_u32_e32 v22, 28, v30
	v_sub_nc_u32_e32 v30, 29, v30
	s_delay_alu instid0(VALU_DEP_2) | instskip(NEXT) | instid1(VALU_DEP_1)
	v_lshlrev_b64_e32 v[22:23], v22, v[98:99]
	v_and_b32_e32 v22, 7, v22
; %bb.2007:                             ;   in Loop: Header=BB216_15 Depth=1
	s_or_b32 exec_lo, exec_lo, s17
	s_delay_alu instid0(VALU_DEP_1) | instskip(SKIP_1) | instid1(VALU_DEP_2)
	v_dual_lshlrev_b32 v23, 24, v88 :: v_dual_lshlrev_b32 v22, 20, v22
	v_lshl_add_u32 v30, v30, 23, 0x3c000000
	v_and_b32_e32 v23, 0x80000000, v23
	s_delay_alu instid0(VALU_DEP_1) | instskip(SKIP_1) | instid1(VALU_DEP_2)
	v_or3_b32 v98, v22, v23, v30
	v_mov_b32_e32 v23, v99
	v_mov_b64_e32 v[30:31], v[98:99]
	scratch_store_b64 off, v[22:23], s32 offset:192 ; 8-byte Folded Spill
.LBB216_2008:                           ;   in Loop: Header=BB216_15 Depth=1
	s_wait_xcnt 0x0
	s_or_b32 exec_lo, exec_lo, s16
.LBB216_2009:                           ;   in Loop: Header=BB216_15 Depth=1
	s_delay_alu instid0(SALU_CYCLE_1)
	s_or_b32 exec_lo, exec_lo, s15
.LBB216_2010:                           ;   in Loop: Header=BB216_15 Depth=1
	s_delay_alu instid0(SALU_CYCLE_1) | instskip(SKIP_2) | instid1(VALU_DEP_1)
	s_or_b32 exec_lo, exec_lo, s14
	v_lshrrev_b16 v22, 8, v88
	s_mov_b32 s14, exec_lo
	v_cmpx_ne_u16_e32 0, v22
	s_cbranch_execz .LBB216_2018
; %bb.2011:                             ;   in Loop: Header=BB216_15 Depth=1
	v_mov_b64_e32 v[54:55], 0x8000000000000000
	s_mov_b32 s15, exec_lo
	v_cmpx_ne_u16_e32 0x80, v22
	s_cbranch_execz .LBB216_2017
; %bb.2012:                             ;   in Loop: Header=BB216_15 Depth=1
	v_and_b32_e32 v23, 0xffff, v22
	v_mov_b64_e32 v[54:55], 0x7f80000100000000
	s_mov_b32 s16, exec_lo
	s_delay_alu instid0(VALU_DEP_2) | instskip(NEXT) | instid1(VALU_DEP_1)
	v_and_b32_e32 v22, 0x7f, v23
	v_cmpx_ne_u32_e32 0x7f, v22
	s_cbranch_execz .LBB216_2016
; %bb.2013:                             ;   in Loop: Header=BB216_15 Depth=1
	scratch_load_b64 v[98:99], off, s32 offset:192 th:TH_LOAD_LU ; 8-byte Folded Reload
	s_wait_loadcnt 0x0
	v_dual_lshrrev_b32 v54, 3, v22 :: v_dual_bitop2_b32 v98, 7, v23 bitop3:0x40
	v_cmp_gt_u32_e64 s1, 8, v22
	s_delay_alu instid0(VALU_DEP_2)
	v_mov_b64_e32 v[22:23], v[98:99]
	s_wait_xcnt 0x0
	s_and_saveexec_b32 s17, s1
; %bb.2014:                             ;   in Loop: Header=BB216_15 Depth=1
	v_clz_i32_u32_e32 v22, v98
	s_delay_alu instid0(VALU_DEP_1) | instskip(NEXT) | instid1(VALU_DEP_1)
	v_min_u32_e32 v54, 32, v22
	v_subrev_nc_u32_e32 v22, 28, v54
	v_sub_nc_u32_e32 v54, 29, v54
	s_delay_alu instid0(VALU_DEP_2) | instskip(NEXT) | instid1(VALU_DEP_1)
	v_lshlrev_b64_e32 v[22:23], v22, v[98:99]
	v_and_b32_e32 v22, 7, v22
; %bb.2015:                             ;   in Loop: Header=BB216_15 Depth=1
	s_or_b32 exec_lo, exec_lo, s17
	s_delay_alu instid0(VALU_DEP_1) | instskip(SKIP_1) | instid1(VALU_DEP_2)
	v_dual_lshlrev_b32 v23, 16, v88 :: v_dual_lshlrev_b32 v22, 20, v22
	v_lshl_add_u32 v54, v54, 23, 0x3c000000
	v_and_b32_e32 v23, 0x80000000, v23
	s_delay_alu instid0(VALU_DEP_1)
	v_or3_b32 v55, v22, v23, v54
	v_dual_mov_b32 v23, v99 :: v_dual_mov_b32 v54, v99
	scratch_store_b64 off, v[22:23], s32 offset:192 ; 8-byte Folded Spill
.LBB216_2016:                           ;   in Loop: Header=BB216_15 Depth=1
	s_wait_xcnt 0x0
	s_or_b32 exec_lo, exec_lo, s16
.LBB216_2017:                           ;   in Loop: Header=BB216_15 Depth=1
	s_delay_alu instid0(SALU_CYCLE_1)
	s_or_b32 exec_lo, exec_lo, s15
.LBB216_2018:                           ;   in Loop: Header=BB216_15 Depth=1
	s_delay_alu instid0(SALU_CYCLE_1) | instskip(SKIP_4) | instid1(VALU_DEP_3)
	s_or_b32 exec_lo, exec_lo, s14
	v_lshrrev_b32_e32 v89, 16, v88
	v_mov_b64_e32 v[22:23], 0
	v_mov_b64_e32 v[40:41], 0
	s_mov_b32 s14, exec_lo
	v_and_b32_e32 v92, 0xff, v89
	s_delay_alu instid0(VALU_DEP_1)
	v_cmpx_ne_u16_e32 0, v92
	s_cbranch_execz .LBB216_2026
; %bb.2019:                             ;   in Loop: Header=BB216_15 Depth=1
	v_mov_b64_e32 v[40:41], 0x80000000
	s_mov_b32 s15, exec_lo
	v_cmpx_ne_u16_e32 0x80, v92
	s_cbranch_execz .LBB216_2025
; %bb.2020:                             ;   in Loop: Header=BB216_15 Depth=1
	v_mov_b64_e32 v[40:41], 0x7f800001
	v_bfe_u32 v93, v88, 16, 7
	s_mov_b32 s16, exec_lo
	s_delay_alu instid0(VALU_DEP_1)
	v_cmpx_ne_u32_e32 0x7f, v93
	s_cbranch_execz .LBB216_2024
; %bb.2021:                             ;   in Loop: Header=BB216_15 Depth=1
	scratch_load_b64 v[98:99], off, s32 offset:192 th:TH_LOAD_LU ; 8-byte Folded Reload
	s_wait_loadcnt 0x0
	v_and_b32_e32 v98, 7, v89
	v_lshrrev_b32_e32 v92, 3, v93
	s_mov_b32 s17, exec_lo
	s_delay_alu instid0(VALU_DEP_2)
	v_mov_b64_e32 v[40:41], v[98:99]
	s_wait_xcnt 0x0
	v_cmpx_gt_u32_e32 8, v93
; %bb.2022:                             ;   in Loop: Header=BB216_15 Depth=1
	v_clz_i32_u32_e32 v40, v98
	s_delay_alu instid0(VALU_DEP_1) | instskip(NEXT) | instid1(VALU_DEP_1)
	v_min_u32_e32 v92, 32, v40
	v_subrev_nc_u32_e32 v40, 28, v92
	v_sub_nc_u32_e32 v92, 29, v92
	s_delay_alu instid0(VALU_DEP_2) | instskip(NEXT) | instid1(VALU_DEP_1)
	v_lshlrev_b64_e32 v[40:41], v40, v[98:99]
	v_and_b32_e32 v40, 7, v40
; %bb.2023:                             ;   in Loop: Header=BB216_15 Depth=1
	s_or_b32 exec_lo, exec_lo, s17
	s_delay_alu instid0(VALU_DEP_1) | instskip(SKIP_2) | instid1(VALU_DEP_3)
	v_dual_lshlrev_b32 v98, 24, v89 :: v_dual_lshlrev_b32 v40, 20, v40
	v_lshl_add_u32 v41, v92, 23, 0x3c000000
	v_mov_b32_e32 v101, v99
	v_and_b32_e32 v98, 0x80000000, v98
	scratch_store_b64 off, v[100:101], s32 offset:192 ; 8-byte Folded Spill
	v_or3_b32 v98, v40, v98, v41
	s_delay_alu instid0(VALU_DEP_1)
	v_mov_b64_e32 v[40:41], v[98:99]
.LBB216_2024:                           ;   in Loop: Header=BB216_15 Depth=1
	s_wait_xcnt 0x0
	s_or_b32 exec_lo, exec_lo, s16
.LBB216_2025:                           ;   in Loop: Header=BB216_15 Depth=1
	s_delay_alu instid0(SALU_CYCLE_1)
	s_or_b32 exec_lo, exec_lo, s15
.LBB216_2026:                           ;   in Loop: Header=BB216_15 Depth=1
	s_delay_alu instid0(SALU_CYCLE_1) | instskip(NEXT) | instid1(SALU_CYCLE_1)
	s_or_b32 exec_lo, exec_lo, s14
	s_mov_b32 s14, exec_lo
	v_cmpx_lt_u32_e32 0xffffff, v88
	s_cbranch_execz .LBB216_2034
; %bb.2027:                             ;   in Loop: Header=BB216_15 Depth=1
	v_mov_b64_e32 v[22:23], 0x8000000000000000
	v_lshrrev_b32_e32 v89, 24, v88
	s_mov_b32 s15, exec_lo
	s_delay_alu instid0(VALU_DEP_1)
	v_cmpx_ne_u32_e32 0x80, v89
	s_cbranch_execz .LBB216_2033
; %bb.2028:                             ;   in Loop: Header=BB216_15 Depth=1
	v_mov_b64_e32 v[22:23], 0x7f80000100000000
	v_bfe_u32 v92, v88, 24, 7
	s_mov_b32 s16, exec_lo
	s_delay_alu instid0(VALU_DEP_1)
	v_cmpx_ne_u32_e32 0x7f, v92
	s_cbranch_execz .LBB216_2032
; %bb.2029:                             ;   in Loop: Header=BB216_15 Depth=1
	scratch_load_b64 v[98:99], off, s32 offset:192 th:TH_LOAD_LU ; 8-byte Folded Reload
	s_wait_loadcnt 0x0
	v_dual_lshrrev_b32 v88, 3, v92 :: v_dual_bitop2_b32 v98, 7, v89 bitop3:0x40
	s_mov_b32 s17, exec_lo
	s_delay_alu instid0(VALU_DEP_1)
	v_mov_b64_e32 v[22:23], v[98:99]
	s_wait_xcnt 0x0
	v_cmpx_gt_u32_e32 8, v92
; %bb.2030:                             ;   in Loop: Header=BB216_15 Depth=1
	v_clz_i32_u32_e32 v22, v98
	s_delay_alu instid0(VALU_DEP_1) | instskip(NEXT) | instid1(VALU_DEP_1)
	v_min_u32_e32 v88, 32, v22
	v_subrev_nc_u32_e32 v22, 28, v88
	s_delay_alu instid0(VALU_DEP_1) | instskip(NEXT) | instid1(VALU_DEP_1)
	v_lshlrev_b64_e32 v[22:23], v22, v[98:99]
	v_dual_sub_nc_u32 v88, 29, v88 :: v_dual_bitop2_b32 v22, 7, v22 bitop3:0x40
; %bb.2031:                             ;   in Loop: Header=BB216_15 Depth=1
	s_or_b32 exec_lo, exec_lo, s17
	s_delay_alu instid0(VALU_DEP_1) | instskip(NEXT) | instid1(VALU_DEP_2)
	v_dual_lshlrev_b32 v23, 24, v89 :: v_dual_lshlrev_b32 v22, 20, v22
	v_lshl_add_u32 v98, v88, 23, 0x3c000000
	v_mov_b32_e32 v101, v99
	s_delay_alu instid0(VALU_DEP_3) | instskip(NEXT) | instid1(VALU_DEP_1)
	v_and_b32_e32 v23, 0x80000000, v23
	v_or3_b32 v23, v22, v23, v98
	v_mov_b32_e32 v22, v99
	scratch_store_b64 off, v[100:101], s32 offset:192 ; 8-byte Folded Spill
.LBB216_2032:                           ;   in Loop: Header=BB216_15 Depth=1
	s_wait_xcnt 0x0
	s_or_b32 exec_lo, exec_lo, s16
.LBB216_2033:                           ;   in Loop: Header=BB216_15 Depth=1
	s_delay_alu instid0(SALU_CYCLE_1)
	s_or_b32 exec_lo, exec_lo, s15
.LBB216_2034:                           ;   in Loop: Header=BB216_15 Depth=1
	s_delay_alu instid0(SALU_CYCLE_1)
	s_or_b32 exec_lo, exec_lo, s14
	flat_load_b32 v88, v[84:85] offset:7692
	v_mov_b64_e32 v[60:61], 0
	v_mov_b64_e32 v[20:21], 0
	s_mov_b32 s14, exec_lo
	s_wait_loadcnt_dscnt 0x0
	v_and_b32_e32 v84, 0xff, v88
	s_delay_alu instid0(VALU_DEP_1)
	v_cmpx_ne_u16_e32 0, v84
	s_cbranch_execz .LBB216_2042
; %bb.2035:                             ;   in Loop: Header=BB216_15 Depth=1
	v_mov_b64_e32 v[20:21], 0x80000000
	s_mov_b32 s15, exec_lo
	v_cmpx_ne_u16_e32 0x80, v84
	s_cbranch_execz .LBB216_2041
; %bb.2036:                             ;   in Loop: Header=BB216_15 Depth=1
	v_mov_b64_e32 v[20:21], 0x7f800001
	v_and_b32_e32 v84, 0x7f, v88
	s_mov_b32 s16, exec_lo
	s_delay_alu instid0(VALU_DEP_1)
	v_cmpx_ne_u32_e32 0x7f, v84
	s_cbranch_execz .LBB216_2040
; %bb.2037:                             ;   in Loop: Header=BB216_15 Depth=1
	scratch_load_b64 v[20:21], off, s32 offset:192 th:TH_LOAD_LU ; 8-byte Folded Reload
	s_wait_loadcnt 0x0
	v_and_b32_e32 v20, 7, v88
	v_lshrrev_b32_e32 v89, 3, v84
	v_cmp_gt_u32_e64 s1, 8, v84
	s_delay_alu instid0(VALU_DEP_3)
	v_mov_b64_e32 v[84:85], v[20:21]
	s_wait_xcnt 0x0
	s_and_saveexec_b32 s17, s1
; %bb.2038:                             ;   in Loop: Header=BB216_15 Depth=1
	v_clz_i32_u32_e32 v84, v20
	s_delay_alu instid0(VALU_DEP_1) | instskip(NEXT) | instid1(VALU_DEP_1)
	v_min_u32_e32 v89, 32, v84
	v_subrev_nc_u32_e32 v84, 28, v89
	s_delay_alu instid0(VALU_DEP_1) | instskip(NEXT) | instid1(VALU_DEP_1)
	v_lshlrev_b64_e32 v[84:85], v84, v[20:21]
	v_dual_sub_nc_u32 v89, 29, v89 :: v_dual_bitop2_b32 v84, 7, v84 bitop3:0x40
; %bb.2039:                             ;   in Loop: Header=BB216_15 Depth=1
	s_or_b32 exec_lo, exec_lo, s17
	v_lshlrev_b32_e32 v85, 24, v88
	s_delay_alu instid0(VALU_DEP_2) | instskip(NEXT) | instid1(VALU_DEP_3)
	v_lshlrev_b32_e32 v84, 20, v84
	v_lshl_add_u32 v98, v89, 23, 0x3c000000
	s_delay_alu instid0(VALU_DEP_3) | instskip(NEXT) | instid1(VALU_DEP_1)
	v_and_b32_e32 v85, 0x80000000, v85
	v_or3_b32 v20, v84, v85, v98
	v_mov_b32_e32 v85, v21
	scratch_store_b64 off, v[84:85], s32 offset:192 ; 8-byte Folded Spill
.LBB216_2040:                           ;   in Loop: Header=BB216_15 Depth=1
	s_wait_xcnt 0x0
	s_or_b32 exec_lo, exec_lo, s16
.LBB216_2041:                           ;   in Loop: Header=BB216_15 Depth=1
	s_delay_alu instid0(SALU_CYCLE_1)
	s_or_b32 exec_lo, exec_lo, s15
.LBB216_2042:                           ;   in Loop: Header=BB216_15 Depth=1
	s_delay_alu instid0(SALU_CYCLE_1) | instskip(SKIP_2) | instid1(VALU_DEP_1)
	s_or_b32 exec_lo, exec_lo, s14
	v_lshrrev_b16 v84, 8, v88
	s_mov_b32 s14, exec_lo
	v_cmpx_ne_u16_e32 0, v84
	s_cbranch_execz .LBB216_2050
; %bb.2043:                             ;   in Loop: Header=BB216_15 Depth=1
	v_mov_b64_e32 v[60:61], 0x8000000000000000
	s_mov_b32 s15, exec_lo
	v_cmpx_ne_u16_e32 0x80, v84
	s_cbranch_execz .LBB216_2049
; %bb.2044:                             ;   in Loop: Header=BB216_15 Depth=1
	v_and_b32_e32 v85, 0xffff, v84
	v_mov_b64_e32 v[60:61], 0x7f80000100000000
	s_mov_b32 s16, exec_lo
	s_delay_alu instid0(VALU_DEP_2) | instskip(NEXT) | instid1(VALU_DEP_1)
	v_and_b32_e32 v84, 0x7f, v85
	v_cmpx_ne_u32_e32 0x7f, v84
	s_cbranch_execz .LBB216_2048
; %bb.2045:                             ;   in Loop: Header=BB216_15 Depth=1
	scratch_load_b64 v[98:99], off, s32 offset:192 th:TH_LOAD_LU ; 8-byte Folded Reload
	s_wait_loadcnt 0x0
	v_dual_lshrrev_b32 v89, 3, v84 :: v_dual_bitop2_b32 v98, 7, v85 bitop3:0x40
	v_cmp_gt_u32_e64 s1, 8, v84
	s_delay_alu instid0(VALU_DEP_2)
	v_mov_b64_e32 v[84:85], v[98:99]
	s_wait_xcnt 0x0
	s_and_saveexec_b32 s17, s1
; %bb.2046:                             ;   in Loop: Header=BB216_15 Depth=1
	v_clz_i32_u32_e32 v84, v98
	s_delay_alu instid0(VALU_DEP_1) | instskip(NEXT) | instid1(VALU_DEP_1)
	v_min_u32_e32 v89, 32, v84
	v_subrev_nc_u32_e32 v84, 28, v89
	s_delay_alu instid0(VALU_DEP_1) | instskip(NEXT) | instid1(VALU_DEP_1)
	v_lshlrev_b64_e32 v[84:85], v84, v[98:99]
	v_dual_sub_nc_u32 v89, 29, v89 :: v_dual_bitop2_b32 v84, 7, v84 bitop3:0x40
; %bb.2047:                             ;   in Loop: Header=BB216_15 Depth=1
	s_or_b32 exec_lo, exec_lo, s17
	v_dual_mov_b32 v60, v99 :: v_dual_lshlrev_b32 v85, 16, v88
	s_delay_alu instid0(VALU_DEP_2) | instskip(NEXT) | instid1(VALU_DEP_3)
	v_lshlrev_b32_e32 v84, 20, v84
	v_lshl_add_u32 v98, v89, 23, 0x3c000000
	s_delay_alu instid0(VALU_DEP_3) | instskip(NEXT) | instid1(VALU_DEP_1)
	v_and_b32_e32 v85, 0x80000000, v85
	v_or3_b32 v61, v84, v85, v98
	v_mov_b32_e32 v85, v99
	scratch_store_b64 off, v[84:85], s32 offset:192 ; 8-byte Folded Spill
.LBB216_2048:                           ;   in Loop: Header=BB216_15 Depth=1
	s_wait_xcnt 0x0
	s_or_b32 exec_lo, exec_lo, s16
.LBB216_2049:                           ;   in Loop: Header=BB216_15 Depth=1
	s_delay_alu instid0(SALU_CYCLE_1)
	s_or_b32 exec_lo, exec_lo, s15
.LBB216_2050:                           ;   in Loop: Header=BB216_15 Depth=1
	s_delay_alu instid0(SALU_CYCLE_1) | instskip(SKIP_4) | instid1(VALU_DEP_3)
	s_or_b32 exec_lo, exec_lo, s14
	v_lshrrev_b32_e32 v89, 16, v88
	v_mov_b64_e32 v[100:101], 0
	v_mov_b64_e32 v[28:29], 0
	s_mov_b32 s14, exec_lo
	v_and_b32_e32 v84, 0xff, v89
	s_delay_alu instid0(VALU_DEP_1)
	v_cmpx_ne_u16_e32 0, v84
	s_cbranch_execz .LBB216_2058
; %bb.2051:                             ;   in Loop: Header=BB216_15 Depth=1
	v_mov_b64_e32 v[28:29], 0x80000000
	s_mov_b32 s15, exec_lo
	v_cmpx_ne_u16_e32 0x80, v84
	s_cbranch_execz .LBB216_2057
; %bb.2052:                             ;   in Loop: Header=BB216_15 Depth=1
	v_mov_b64_e32 v[28:29], 0x7f800001
	v_bfe_u32 v84, v88, 16, 7
	s_mov_b32 s16, exec_lo
	s_delay_alu instid0(VALU_DEP_1)
	v_cmpx_ne_u32_e32 0x7f, v84
	s_cbranch_execz .LBB216_2056
; %bb.2053:                             ;   in Loop: Header=BB216_15 Depth=1
	scratch_load_b64 v[28:29], off, s32 offset:192 th:TH_LOAD_LU ; 8-byte Folded Reload
	s_wait_loadcnt 0x0
	v_dual_lshrrev_b32 v92, 3, v84 :: v_dual_bitop2_b32 v28, 7, v89 bitop3:0x40
	v_cmp_gt_u32_e64 s1, 8, v84
	s_delay_alu instid0(VALU_DEP_2)
	v_mov_b64_e32 v[84:85], v[28:29]
	s_wait_xcnt 0x0
	s_and_saveexec_b32 s17, s1
; %bb.2054:                             ;   in Loop: Header=BB216_15 Depth=1
	v_clz_i32_u32_e32 v84, v28
	s_delay_alu instid0(VALU_DEP_1) | instskip(NEXT) | instid1(VALU_DEP_1)
	v_min_u32_e32 v92, 32, v84
	v_subrev_nc_u32_e32 v84, 28, v92
	v_sub_nc_u32_e32 v92, 29, v92
	s_delay_alu instid0(VALU_DEP_2) | instskip(NEXT) | instid1(VALU_DEP_1)
	v_lshlrev_b64_e32 v[84:85], v84, v[28:29]
	v_and_b32_e32 v84, 7, v84
; %bb.2055:                             ;   in Loop: Header=BB216_15 Depth=1
	s_or_b32 exec_lo, exec_lo, s17
	s_delay_alu instid0(VALU_DEP_1) | instskip(SKIP_1) | instid1(VALU_DEP_2)
	v_dual_lshlrev_b32 v85, 24, v89 :: v_dual_lshlrev_b32 v84, 20, v84
	v_lshl_add_u32 v98, v92, 23, 0x3c000000
	v_and_b32_e32 v85, 0x80000000, v85
	s_delay_alu instid0(VALU_DEP_1)
	v_or3_b32 v28, v84, v85, v98
	v_mov_b32_e32 v85, v29
	scratch_store_b64 off, v[84:85], s32 offset:192 ; 8-byte Folded Spill
.LBB216_2056:                           ;   in Loop: Header=BB216_15 Depth=1
	s_wait_xcnt 0x0
	s_or_b32 exec_lo, exec_lo, s16
.LBB216_2057:                           ;   in Loop: Header=BB216_15 Depth=1
	s_delay_alu instid0(SALU_CYCLE_1)
	s_or_b32 exec_lo, exec_lo, s15
.LBB216_2058:                           ;   in Loop: Header=BB216_15 Depth=1
	s_delay_alu instid0(SALU_CYCLE_1) | instskip(NEXT) | instid1(SALU_CYCLE_1)
	s_or_b32 exec_lo, exec_lo, s14
	s_mov_b32 s14, exec_lo
	v_cmpx_lt_u32_e32 0xffffff, v88
	s_cbranch_execz .LBB216_13
; %bb.2059:                             ;   in Loop: Header=BB216_15 Depth=1
	v_mov_b64_e32 v[100:101], 0x8000000000000000
	v_lshrrev_b32_e32 v89, 24, v88
	s_mov_b32 s15, exec_lo
	s_delay_alu instid0(VALU_DEP_1)
	v_cmpx_ne_u32_e32 0x80, v89
	s_cbranch_execz .LBB216_12
; %bb.2060:                             ;   in Loop: Header=BB216_15 Depth=1
	v_mov_b64_e32 v[100:101], 0x7f80000100000000
	v_bfe_u32 v84, v88, 24, 7
	s_mov_b32 s16, exec_lo
	s_delay_alu instid0(VALU_DEP_1)
	v_cmpx_ne_u32_e32 0x7f, v84
	s_cbranch_execz .LBB216_11
; %bb.2061:                             ;   in Loop: Header=BB216_15 Depth=1
	scratch_load_b64 v[98:99], off, s32 offset:192 th:TH_LOAD_LU ; 8-byte Folded Reload
	s_wait_loadcnt 0x0
	v_dual_lshrrev_b32 v88, 3, v84 :: v_dual_bitop2_b32 v98, 7, v89 bitop3:0x40
	v_cmp_gt_u32_e64 s1, 8, v84
	s_delay_alu instid0(VALU_DEP_2)
	v_mov_b64_e32 v[84:85], v[98:99]
	s_wait_xcnt 0x0
	s_and_saveexec_b32 s17, s1
	s_cbranch_execz .LBB216_10
; %bb.2062:                             ;   in Loop: Header=BB216_15 Depth=1
	v_clz_i32_u32_e32 v84, v98
	s_delay_alu instid0(VALU_DEP_1) | instskip(NEXT) | instid1(VALU_DEP_1)
	v_min_u32_e32 v88, 32, v84
	v_subrev_nc_u32_e32 v84, 28, v88
	v_sub_nc_u32_e32 v88, 29, v88
	s_delay_alu instid0(VALU_DEP_2) | instskip(NEXT) | instid1(VALU_DEP_1)
	v_lshlrev_b64_e32 v[84:85], v84, v[98:99]
	v_and_b32_e32 v84, 7, v84
	s_branch .LBB216_10
.LBB216_2063:
	s_or_b32 exec_lo, exec_lo, s9
	s_clause 0x4
	scratch_load_b32 v26, off, s32 offset:3220
	scratch_load_b64 v[34:35], off, s32 offset:3224
	scratch_load_b64 v[28:29], off, s32 offset:3232
	scratch_load_b32 v27, off, s32 offset:3240
	scratch_load_b32 v11, off, s32 offset:3244
.LBB216_2064:
	s_wait_xcnt 0x0
	s_or_b32 exec_lo, exec_lo, s3
	v_mbcnt_lo_u32_b32 v2, -1, 0
	s_wait_loadcnt 0x5
	s_delay_alu instid0(VALU_DEP_1) | instskip(SKIP_1) | instid1(VALU_DEP_2)
	v_dual_max_num_f32 v4, v7, v7 :: v_dual_bitop2_b32 v0, 16, v2 bitop3:0x14
	v_xor_b32_e32 v3, 8, v2
	v_cmp_gt_i32_e32 vcc_lo, 32, v0
	v_cndmask_b32_e32 v0, v2, v0, vcc_lo
	s_delay_alu instid0(VALU_DEP_3) | instskip(NEXT) | instid1(VALU_DEP_2)
	v_cmp_gt_i32_e32 vcc_lo, 32, v3
	v_dual_cndmask_b32 v3, v2, v3 :: v_dual_lshlrev_b32 v0, 2, v0
	ds_bpermute_b32 v1, v0, v7
	s_wait_dscnt 0x0
	v_dual_max_num_f32 v5, v1, v1 :: v_dual_lshlrev_b32 v1, 2, v3
	s_delay_alu instid0(VALU_DEP_1) | instskip(SKIP_4) | instid1(VALU_DEP_1)
	v_dual_max_num_f32 v3, v4, v5 :: v_dual_bitop2_b32 v5, 4, v2 bitop3:0x14
	ds_bpermute_b32 v4, v1, v3
	v_cmp_gt_i32_e32 vcc_lo, 32, v5
	s_wait_dscnt 0x0
	v_dual_cndmask_b32 v5, v2, v5 :: v_dual_max_num_f32 v4, v4, v4
	v_dual_lshlrev_b32 v5, 2, v5 :: v_dual_max_num_f32 v3, v3, v4
	scratch_store_b32 off, v5, s32 offset:2420 ; 4-byte Folded Spill
	ds_bpermute_b32 v4, v5, v3
	s_wait_dscnt 0x0
	s_wait_xcnt 0x0
	v_dual_max_num_f32 v4, v4, v4 :: v_dual_bitop2_b32 v5, 2, v2 bitop3:0x14
	s_delay_alu instid0(VALU_DEP_1) | instskip(NEXT) | instid1(VALU_DEP_2)
	v_cmp_gt_i32_e32 vcc_lo, 32, v5
	v_dual_max_num_f32 v3, v3, v4 :: v_dual_cndmask_b32 v5, v2, v5, vcc_lo
	s_delay_alu instid0(VALU_DEP_1)
	v_lshlrev_b32_e32 v5, 2, v5
	ds_bpermute_b32 v4, v5, v3
	s_wait_dscnt 0x0
	v_max_num_f32_e32 v4, v4, v4
	scratch_store_b32 off, v5, s32 offset:2452 ; 4-byte Folded Spill
	s_wait_xcnt 0x0
	v_xor_b32_e32 v5, 1, v2
	s_delay_alu instid0(VALU_DEP_1) | instskip(SKIP_1) | instid1(VALU_DEP_1)
	v_cmp_gt_i32_e32 vcc_lo, 32, v5
	v_dual_cndmask_b32 v5, v2, v5 :: v_dual_max_num_f32 v2, v3, v4
	v_lshlrev_b32_e32 v3, 2, v5
	scratch_store_b32 off, v3, s32 offset:2436 ; 4-byte Folded Spill
	ds_bpermute_b32 v4, v3, v2
	scratch_load_b32 v3, off, s32 offset:2316 ; 4-byte Folded Reload
	s_wait_loadcnt 0x0
	v_cmp_eq_u32_e32 vcc_lo, 0, v3
	scratch_load_b32 v3, off, s32 offset:3188 ; 4-byte Folded Reload
	s_wait_loadcnt 0x0
	v_lshlrev_b32_e32 v3, 2, v3
	s_wait_xcnt 0x0
	s_mov_b32 s1, exec_lo
	scratch_load_b64 v[126:127], off, s32 offset:244 ; 8-byte Folded Reload
	s_and_b32 s2, s1, vcc_lo
	s_wait_xcnt 0x0
	s_mov_b32 exec_lo, s2
	s_cbranch_execz .LBB216_2066
; %bb.2065:
	s_wait_dscnt 0x0
	v_dual_max_num_f32 v4, v4, v4 :: v_dual_max_num_f32 v2, v2, v2
	s_delay_alu instid0(VALU_DEP_1)
	v_max_num_f32_e32 v2, v2, v4
	ds_store_b32 v3, v2 offset:1024
.LBB216_2066:
	s_or_b32 exec_lo, exec_lo, s1
	scratch_load_b32 v2, off, s32 offset:2316 ; 4-byte Folded Reload
	s_wait_storecnt 0x0
	s_wait_loadcnt_dscnt 0x0
	s_barrier_signal -1
	s_barrier_wait -1
	v_cmp_gt_u32_e64 s1, 4, v2
	v_mov_b32_e32 v2, 0xff7fffff
	s_and_saveexec_b32 s2, s1
; %bb.2067:
	ds_load_b32 v2, v11 offset:1024
; %bb.2068:
	s_or_b32 exec_lo, exec_lo, s2
	s_clause 0x2
	scratch_load_b32 v41, off, s32 offset:2452
	scratch_load_b32 v89, off, s32 offset:2436
	scratch_load_b64 v[6:7], off, s32 offset:1820
	s_wait_loadcnt_dscnt 0x200
	ds_bpermute_b32 v4, v41, v2
	s_wait_dscnt 0x0
	v_dual_max_num_f32 v2, v2, v2 :: v_dual_max_num_f32 v4, v4, v4
	s_delay_alu instid0(VALU_DEP_1) | instskip(SKIP_4) | instid1(VALU_DEP_1)
	v_max_num_f32_e32 v2, v2, v4
	s_wait_loadcnt 0x1
	ds_bpermute_b32 v4, v89, v2
	s_wait_dscnt 0x0
	v_max_num_f32_e32 v4, v4, v4
	v_dual_max_num_f32 v2, v2, v4 :: v_dual_mov_b32 v4, 0
	ds_bpermute_b32 v5, v4, v2
	scratch_load_b32 v2, off, s32 offset:200 ; 4-byte Folded Reload
	s_wait_loadcnt 0x0
	v_lshlrev_b32_e32 v2, 5, v2
	s_delay_alu instid0(VALU_DEP_1)
	v_min_i32_e32 v2, v2, v6
	scratch_load_b32 v6, off, s32 offset:2320 ; 4-byte Folded Reload
	s_wait_loadcnt 0x0
	v_cmp_lt_i32_e64 s2, v6, v2
	s_wait_kmcnt 0x0
	s_and_saveexec_b32 s8, s2
	s_cbranch_execz .LBB216_2072
; %bb.2069:
	scratch_load_b32 v7, off, s32 offset:2320 ; 4-byte Folded Reload
	s_load_b32 s3, s[6:7], 0x0
	v_mov_b32_e32 v4, 0
	s_mov_b32 s9, 0
	s_wait_loadcnt 0x0
	s_wait_kmcnt 0x0
	v_lshl_add_u32 v6, v7, 2, s3
.LBB216_2070:                           ; =>This Inner Loop Header: Depth=1
	ds_load_b32 v8, v6
	v_add_nc_u32_e32 v7, 0x80, v7
	s_delay_alu instid0(VALU_DEP_1) | instskip(SKIP_3) | instid1(VALU_DEP_1)
	v_cmp_ge_i32_e64 s3, v7, v2
	s_or_b32 s9, s3, s9
	s_wait_dscnt 0x0
	v_sub_f32_e32 v8, v8, v5
	v_mul_f32_e32 v8, 0x3fb8aa3b, v8
	s_delay_alu instid0(VALU_DEP_1)
	v_exp_f32_e32 v8, v8
	ds_store_b32 v6, v8
	v_nop
	v_add_f32_e32 v4, v4, v8
	v_add_nc_u32_e32 v6, 0x200, v6
	s_and_not1_b32 exec_lo, exec_lo, s9
	s_cbranch_execnz .LBB216_2070
; %bb.2071:
	s_or_b32 exec_lo, exec_lo, s9
.LBB216_2072:
	s_delay_alu instid0(SALU_CYCLE_1)
	s_or_b32 exec_lo, exec_lo, s8
	ds_bpermute_b32 v0, v0, v4
	s_wait_dscnt 0x0
	v_add_f32_e32 v0, v4, v0
	ds_bpermute_b32 v1, v1, v0
	s_wait_dscnt 0x0
	v_add_f32_e32 v0, v0, v1
	scratch_load_b32 v1, off, s32 offset:2420 ; 4-byte Folded Reload
	s_wait_loadcnt 0x0
	ds_bpermute_b32 v1, v1, v0
	s_wait_dscnt 0x0
	v_add_f32_e32 v0, v0, v1
	ds_bpermute_b32 v1, v41, v0
	s_wait_dscnt 0x0
	v_add_f32_e32 v0, v0, v1
	;; [unrolled: 3-line block ×3, first 2 shown]
	s_and_saveexec_b32 s3, vcc_lo
; %bb.2073:
	ds_store_b32 v3, v0 offset:1040
; %bb.2074:
	s_or_b32 exec_lo, exec_lo, s3
	s_wait_dscnt 0x0
	s_barrier_signal -1
	s_barrier_wait -1
	s_and_saveexec_b32 s3, s1
; %bb.2075:
	ds_load_b32 v0, v11 offset:1040
; %bb.2076:
	s_or_b32 exec_lo, exec_lo, s3
	s_wait_dscnt 0x0
	ds_bpermute_b32 v1, v41, v0
	s_wait_dscnt 0x0
	v_dual_mov_b32 v25, 0 :: v_dual_add_f32 v0, v0, v1
	ds_bpermute_b32 v1, v89, v0
	s_wait_dscnt 0x0
	v_add_f32_e32 v0, v0, v1
	ds_bpermute_b32 v0, v25, v0
	s_and_saveexec_b32 s1, s2
	s_cbranch_execz .LBB216_2089
; %bb.2077:
	s_wait_dscnt 0x0
	v_add_f32_e32 v0, 0x358637bd, v0
	s_mov_b32 s3, -1
	s_mov_b32 s2, exec_lo
	s_delay_alu instid0(VALU_DEP_1) | instskip(SKIP_1) | instid1(VALU_DEP_2)
	v_div_scale_f32 v1, null, v0, v0, 1.0
	v_div_scale_f32 v5, vcc_lo, 1.0, v0, 1.0
	v_rcp_f32_e32 v4, v1
	v_nop
	s_delay_alu instid0(TRANS32_DEP_1) | instskip(NEXT) | instid1(VALU_DEP_1)
	v_fma_f32 v3, -v1, v4, 1.0
	v_fmac_f32_e32 v4, v3, v4
	s_delay_alu instid0(VALU_DEP_1) | instskip(NEXT) | instid1(VALU_DEP_1)
	v_mul_f32_e32 v6, v5, v4
	v_fma_f32 v3, -v1, v6, v5
	s_delay_alu instid0(VALU_DEP_1) | instskip(NEXT) | instid1(VALU_DEP_1)
	v_fmac_f32_e32 v6, v3, v4
	v_fma_f32 v1, -v1, v6, v5
	scratch_load_b32 v5, off, s32 offset:2320 ; 4-byte Folded Reload
	v_div_fmas_f32 v1, v1, v4, v6
	s_delay_alu instid0(VALU_DEP_1) | instskip(SKIP_3) | instid1(VALU_DEP_2)
	v_div_fixup_f32 v0, v1, v0, 1.0
	s_wait_loadcnt 0x0
	v_xad_u32 v3, v5, -1, v2
	v_mov_b32_e32 v1, v5
	v_cmpx_lt_u32_e32 0x7f, v3
	s_cbranch_execz .LBB216_2086
; %bb.2078:
	v_dual_lshrrev_b32 v3, 7, v3 :: v_dual_mov_b32 v1, v0
	s_delay_alu instid0(VALU_DEP_1) | instskip(NEXT) | instid1(VALU_DEP_1)
	v_dual_mov_b32 v7, 0 :: v_dual_add_nc_u32 v4, -1, v3
	v_lshrrev_b32_e32 v5, 1, v4
	v_cmp_lt_u32_e32 vcc_lo, 13, v4
	s_delay_alu instid0(VALU_DEP_2)
	v_add_nc_u32_e32 v4, 1, v5
	s_and_saveexec_b32 s3, vcc_lo
	s_cbranch_execz .LBB216_2082
; %bb.2079:
	scratch_load_b32 v6, off, s32 offset:2320 ; 4-byte Folded Reload
	s_load_b32 s8, s[6:7], 0x0
	v_and_b32_e32 v5, -8, v4
	s_mov_b32 s9, 0
	s_wait_loadcnt 0x0
	s_wait_kmcnt 0x0
	v_lshl_add_u32 v6, v6, 2, s8
	s_mov_b32 s8, 0
.LBB216_2080:                           ; =>This Inner Loop Header: Depth=1
	ds_load_2addr_stride64_b32 v[8:9], v6 offset1:2
	ds_load_2addr_stride64_b32 v[10:11], v6 offset0:4 offset1:6
	ds_load_2addr_stride64_b32 v[12:13], v6 offset0:8 offset1:10
	;; [unrolled: 1-line block ×7, first 2 shown]
	s_add_co_i32 s9, s9, 16
	s_delay_alu instid0(SALU_CYCLE_1) | instskip(NEXT) | instid1(VALU_DEP_1)
	v_dual_add_nc_u32 v5, -8, v5 :: v_dual_mov_b32 v7, s9
	v_cmp_eq_u32_e32 vcc_lo, 0, v5
	s_or_b32 s8, vcc_lo, s8
	s_wait_dscnt 0x7
	v_pk_mul_f32 v[8:9], v[0:1], v[8:9]
	s_wait_dscnt 0x6
	v_pk_mul_f32 v[10:11], v[0:1], v[10:11]
	;; [unrolled: 2-line block ×8, first 2 shown]
	ds_store_2addr_stride64_b32 v6, v8, v9 offset1:2
	ds_store_2addr_stride64_b32 v6, v10, v11 offset0:4 offset1:6
	ds_store_2addr_stride64_b32 v6, v12, v13 offset0:8 offset1:10
	;; [unrolled: 1-line block ×7, first 2 shown]
	v_add_nc_u32_e32 v6, 0x2000, v6
	s_and_not1_b32 exec_lo, exec_lo, s8
	s_cbranch_execnz .LBB216_2080
; %bb.2081:
	s_or_b32 exec_lo, exec_lo, s8
.LBB216_2082:
	s_delay_alu instid0(SALU_CYCLE_1) | instskip(NEXT) | instid1(VALU_DEP_1)
	s_or_b32 exec_lo, exec_lo, s3
	v_and_b32_e32 v4, 7, v4
	s_mov_b32 s8, 0
	s_mov_b32 s3, exec_lo
	s_delay_alu instid0(VALU_DEP_1)
	v_cmpx_ne_u32_e32 0, v4
	s_cbranch_execz .LBB216_2085
; %bb.2083:
	scratch_load_b32 v6, off, s32 offset:2320 ; 4-byte Folded Reload
	s_load_b32 s9, s[6:7], 0x0
	s_wait_loadcnt 0x0
	v_dual_lshlrev_b32 v5, 9, v7 :: v_dual_lshlrev_b32 v6, 2, v6
	s_wait_kmcnt 0x0
	s_delay_alu instid0(VALU_DEP_1)
	v_add3_u32 v5, v5, v6, s9
.LBB216_2084:                           ; =>This Inner Loop Header: Depth=1
	ds_load_2addr_stride64_b32 v[6:7], v5 offset1:2
	v_add_nc_u32_e32 v4, -1, v4
	s_delay_alu instid0(VALU_DEP_1)
	v_cmp_eq_u32_e32 vcc_lo, 0, v4
	s_or_b32 s8, vcc_lo, s8
	s_wait_dscnt 0x0
	v_pk_mul_f32 v[6:7], v[0:1], v[6:7]
	ds_store_2addr_stride64_b32 v5, v6, v7 offset1:2
	v_add_nc_u32_e32 v5, 0x400, v5
	s_and_not1_b32 exec_lo, exec_lo, s8
	s_cbranch_execnz .LBB216_2084
.LBB216_2085:
	s_or_b32 exec_lo, exec_lo, s3
	v_add_nc_u32_e32 v1, 1, v3
	s_delay_alu instid0(VALU_DEP_1) | instskip(NEXT) | instid1(VALU_DEP_1)
	v_and_b32_e32 v3, 0x3fffffe, v1
	v_cmp_ne_u32_e32 vcc_lo, v1, v3
	scratch_load_b32 v1, off, s32 offset:2320 ; 4-byte Folded Reload
	s_or_not1_b32 s3, vcc_lo, exec_lo
	s_wait_loadcnt 0x0
	v_lshl_add_u32 v1, v3, 7, v1
.LBB216_2086:
	s_or_b32 exec_lo, exec_lo, s2
	s_delay_alu instid0(SALU_CYCLE_1)
	s_and_b32 exec_lo, exec_lo, s3
	s_cbranch_execz .LBB216_2089
; %bb.2087:
	s_load_b32 s2, s[6:7], 0x0
	s_wait_kmcnt 0x0
	v_lshl_add_u32 v3, v1, 2, s2
	s_mov_b32 s2, 0
.LBB216_2088:                           ; =>This Inner Loop Header: Depth=1
	ds_load_b32 v4, v3
	s_wait_dscnt 0x0
	v_dual_mul_f32 v4, v0, v4 :: v_dual_add_nc_u32 v1, 0x80, v1
	s_delay_alu instid0(VALU_DEP_1) | instskip(SKIP_3) | instid1(SALU_CYCLE_1)
	v_cmp_ge_i32_e32 vcc_lo, v1, v2
	ds_store_b32 v3, v4
	v_add_nc_u32_e32 v3, 0x200, v3
	s_or_b32 s2, vcc_lo, s2
	s_and_not1_b32 exec_lo, exec_lo, s2
	s_cbranch_execnz .LBB216_2088
.LBB216_2089:
	s_or_b32 exec_lo, exec_lo, s1
	s_wait_dscnt 0x0
	scratch_load_b32 v0, off, s32 offset:2320 ; 4-byte Folded Reload
	v_dual_mov_b32 v1, 0 :: v_dual_mov_b32 v3, 0
	v_dual_mov_b32 v2, 0 :: v_dual_mov_b32 v5, 0
	;; [unrolled: 1-line block ×3, first 2 shown]
	s_wait_loadcnt 0x0
	v_dual_mov_b32 v0, 0 :: v_dual_bitop2_b32 v90, 7, v0 bitop3:0x40
	scratch_store_b64 off, v[0:1], s32 offset:2052 ; 8-byte Folded Spill
	s_wait_xcnt 0x0
	v_dual_mov_b32 v1, 0 :: v_dual_mov_b32 v0, 0
	scratch_store_b64 off, v[0:1], s32 offset:2044 ; 8-byte Folded Spill
	s_wait_xcnt 0x0
	v_dual_mov_b32 v1, 0 :: v_dual_mov_b32 v0, 0
	;; [unrolled: 3-line block ×28, first 2 shown]
	scratch_store_b64 off, v[0:1], s32 offset:1828 ; 8-byte Folded Spill
	s_wait_storecnt 0x0
	s_barrier_signal -1
	s_barrier_wait -1
	s_wait_xcnt 0x0
	s_and_saveexec_b32 s8, s0
	s_cbranch_execz .LBB216_4143
; %bb.2090:
	scratch_load_b32 v0, off, s32 offset:2320 ; 4-byte Folded Reload
	v_dual_mov_b32 v4, 0 :: v_dual_max_i32 v7, v26, v27
	v_dual_mov_b32 v5, 0 :: v_dual_mov_b32 v8, 0
	v_dual_mov_b32 v9, 0 :: v_dual_mov_b32 v25, 0
	s_mov_b32 s9, 0
	s_clause 0x1
	scratch_load_b32 v6, off, s32 offset:3188
	scratch_store_b64 off, v[4:5], s32 offset:1828
	s_wait_xcnt 0x0
	v_dual_mov_b32 v4, 0 :: v_dual_mov_b32 v5, 0
	v_dual_lshlrev_b32 v3, 4, v90 :: v_dual_mov_b32 v11, 0
	v_mov_b32_e32 v24, 0
	scratch_store_b64 off, v[4:5], s32 offset:1836 ; 8-byte Folded Spill
	s_wait_xcnt 0x0
	v_dual_mov_b32 v4, 0 :: v_dual_mov_b32 v5, 0
	scratch_store_b32 off, v90, s32 offset:2468 ; 4-byte Folded Spill
	v_mov_b32_e32 v15, v11
	scratch_store_b64 off, v[4:5], s32 offset:1844 ; 8-byte Folded Spill
	s_wait_xcnt 0x0
	v_dual_mov_b32 v4, 0 :: v_dual_mov_b32 v5, 0
	scratch_store_b64 off, v[4:5], s32 offset:1852 ; 8-byte Folded Spill
	s_wait_loadcnt 0x1
	s_wait_xcnt 0x0
	v_dual_mov_b32 v5, 0 :: v_dual_lshlrev_b32 v2, 2, v0
	v_add_nc_u64_e32 v[0:1], v[34:35], v[28:29]
	v_mov_b32_e32 v4, 0
	s_delay_alu instid0(VALU_DEP_3)
	v_or_b32_e32 v14, 0x1f80, v2
	s_clause 0x1
	scratch_store_b64 off, v[0:1], s32 offset:2332
	scratch_load_b64 v[0:1], off, s32 offset:1820
	s_wait_loadcnt 0x0
	v_dual_mov_b32 v12, v6 :: v_dual_mov_b32 v1, v0
	s_clause 0x1
	scratch_store_b64 off, v[0:1], s32 offset:2348
	scratch_load_b32 v1, off, s32 offset:3208 th:TH_LOAD_LU
	v_cvt_f32_u32_e32 v0, v7
	s_delay_alu instid0(VALU_DEP_1) | instskip(SKIP_1) | instid1(TRANS32_DEP_1)
	v_rcp_iflag_f32_e32 v0, v0
	v_nop
	v_mul_f32_e32 v0, 0x4f7ffffe, v0
	s_wait_loadcnt 0x0
	v_and_b32_e32 v10, 0x7c, v1
	v_sub_nc_u32_e32 v1, 0, v7
	s_clause 0x1
	scratch_store_b64 off, v[4:5], s32 offset:1860
	scratch_store_b32 off, v7, s32 offset:2084
	s_wait_xcnt 0x1
	v_cvt_u32_f32_e32 v4, v0
	s_wait_xcnt 0x0
	v_mov_b32_e32 v7, v11
	s_delay_alu instid0(VALU_DEP_2)
	v_mul_lo_u32 v0, v1, v4
	v_and_b32_e32 v1, 28, v2
	scratch_store_b32 off, v1, s32 offset:2364 ; 4-byte Folded Spill
	s_wait_xcnt 0x0
	v_mov_b32_e32 v1, v11
	v_mul_hi_u32 v5, v4, v0
	v_and_b32_e32 v0, 0x7c, v2
	scratch_store_b64 off, v[0:1], s32 offset:2380 ; 8-byte Folded Spill
	s_wait_xcnt 0x0
	v_or_b32_e32 v0, 0xf80, v2
	v_lshl_or_b32 v2, v6, 7, v3
	s_clause 0x1
	scratch_store_b64 off, v[6:7], s32 offset:192
	scratch_store_b64 off, v[8:9], s32 offset:1868
	s_wait_xcnt 0x0
	v_dual_mov_b32 v8, 0 :: v_dual_mov_b32 v9, 0
	s_clause 0x3
	scratch_store_b64 off, v[0:1], s32 offset:2388
	scratch_store_b32 off, v2, s32 offset:204
	scratch_load_b64 v[0:1], off, s32 offset:3200 th:TH_LOAD_LU
	scratch_load_b64 v[2:3], off, s32 offset:3192 th:TH_LOAD_LU
	s_wait_loadcnt 0x1
	v_lshl_add_u64 v[0:1], v[0:1], 2, v[10:11]
	v_add_nc_u32_e32 v10, v4, v5
	s_wait_loadcnt 0x0
	s_delay_alu instid0(VALU_DEP_2)
	v_add_nc_u64_e32 v[0:1], v[2:3], v[0:1]
	scratch_store_b64 off, v[8:9], s32 offset:1876 ; 8-byte Folded Spill
	s_wait_xcnt 0x0
	v_dual_mov_b32 v8, 0 :: v_dual_mov_b32 v9, 0
	scratch_store_b64 off, v[0:1], s32 offset:212 ; 8-byte Folded Spill
	s_wait_xcnt 0x0
	v_dual_mov_b32 v0, 0 :: v_dual_mov_b32 v1, 0
	s_clause 0x1
	scratch_store_b64 off, v[8:9], s32 offset:1884
	scratch_store_b64 off, v[14:15], s32 offset:2404
	s_wait_xcnt 0x1
	v_dual_mov_b32 v8, 0 :: v_dual_mov_b32 v9, 0
	scratch_store_b64 off, v[0:1], s32 offset:1924 ; 8-byte Folded Spill
	s_wait_xcnt 0x0
	v_dual_mov_b32 v0, 0 :: v_dual_mov_b32 v1, 0
	s_clause 0x1
	scratch_store_b64 off, v[10:11], s32 offset:2092
	scratch_store_b64 off, v[8:9], s32 offset:1892
	s_wait_xcnt 0x0
	v_dual_mov_b32 v8, 0 :: v_dual_mov_b32 v9, 0
	scratch_store_b64 off, v[0:1], s32 offset:1932 ; 8-byte Folded Spill
	s_wait_xcnt 0x0
	v_dual_mov_b32 v0, 0 :: v_dual_mov_b32 v1, 0
	scratch_store_b64 off, v[8:9], s32 offset:1900 ; 8-byte Folded Spill
	;; [unrolled: 3-line block ×5, first 2 shown]
	s_wait_xcnt 0x0
	v_dual_mov_b32 v0, 0 :: v_dual_mov_b32 v1, 0
	s_clause 0x1
	scratch_store_b64 off, v[8:9], s32 offset:1916
	scratch_store_b64 off, v[0:1], s32 offset:1956
	s_wait_xcnt 0x0
	v_dual_mov_b32 v0, 0 :: v_dual_mov_b32 v1, 0
	scratch_store_b64 off, v[0:1], s32 offset:1964 ; 8-byte Folded Spill
	s_wait_xcnt 0x0
	v_dual_mov_b32 v0, 0 :: v_dual_mov_b32 v1, 0
	scratch_store_b64 off, v[0:1], s32 offset:1972 ; 8-byte Folded Spill
	;; [unrolled: 3-line block ×14, first 2 shown]
	s_branch .LBB216_2096
.LBB216_2091:                           ;   in Loop: Header=BB216_2096 Depth=1
	s_or_b32 exec_lo, exec_lo, s3
	s_delay_alu instid0(VALU_DEP_1) | instskip(SKIP_1) | instid1(VALU_DEP_2)
	v_dual_lshlrev_b32 v3, 24, v123 :: v_dual_lshlrev_b32 v2, 20, v2
	v_lshl_add_u32 v122, v122, 23, 0x3c000000
	v_and_b32_e32 v3, 0x80000000, v3
	s_delay_alu instid0(VALU_DEP_1)
	v_or3_b32 v123, v2, v3, v122
	v_dual_mov_b32 v3, v79 :: v_dual_mov_b32 v122, v79
	s_clause 0x1
	scratch_store_b64 off, v[2:3], s32 offset:192
	scratch_store_b64 off, v[122:123], s32 offset:1812
.LBB216_2092:                           ;   in Loop: Header=BB216_2096 Depth=1
	s_wait_xcnt 0x0
	s_or_b32 exec_lo, exec_lo, s2
.LBB216_2093:                           ;   in Loop: Header=BB216_2096 Depth=1
	s_delay_alu instid0(SALU_CYCLE_1)
	s_or_b32 exec_lo, exec_lo, s1
.LBB216_2094:                           ;   in Loop: Header=BB216_2096 Depth=1
	s_delay_alu instid0(SALU_CYCLE_1)
	s_or_b32 exec_lo, exec_lo, s0
	v_or_b32_e32 v1, v1, v115
	v_or_b32_e32 v0, v0, v114
	v_or_b32_e32 v3, v43, v25
	v_or_b32_e32 v2, v42, v24
	v_or_b32_e32 v55, v99, v55
	v_or_b32_e32 v54, v98, v54
	scratch_store_b64 off, v[0:1], s32 offset:2164 ; 8-byte Folded Spill
	s_wait_xcnt 0x0
	v_or_b32_e32 v1, v27, v11
	v_or_b32_e32 v0, v26, v10
	v_or_b32_e32 v65, v117, v65
	v_or_b32_e32 v64, v116, v64
	v_or_b32_e32 v21, v53, v21
	v_or_b32_e32 v20, v52, v20
	scratch_store_b64 off, v[0:1], s32 offset:2180 ; 8-byte Folded Spill
	s_wait_xcnt 0x0
	;; [unrolled: 8-line block ×9, first 2 shown]
	v_or_b32_e32 v1, v101, v13
	v_or_b32_e32 v0, v100, v12
	;; [unrolled: 1-line block ×4, first 2 shown]
	s_clause 0x1
	scratch_store_b64 off, v[0:1], s32 offset:2268
	scratch_load_b64 v[0:1], off, s32 offset:1796 th:TH_LOAD_LU
	s_wait_loadcnt 0x0
	v_or_b32_e32 v1, v93, v1
	v_or_b32_e32 v0, v92, v0
	s_clause 0x3
	scratch_store_b64 off, v[2:3], s32 offset:2148
	scratch_store_b64 off, v[0:1], s32 offset:1796
	scratch_load_b64 v[0:1], off, s32 offset:1772 th:TH_LOAD_LU
	scratch_load_b64 v[2:3], off, s32 offset:1780 th:TH_LOAD_LU
	s_wait_loadcnt 0x0
	v_or_b32_e32 v1, v1, v3
	v_or_b32_e32 v0, v0, v2
	s_clause 0x1
	scratch_store_b64 off, v[0:1], s32 offset:1772
	scratch_load_b64 v[0:1], off, s32 offset:1788 th:TH_LOAD_LU
	s_wait_loadcnt 0x0
	v_or_b32_e32 v99, v127, v1
	v_or_b32_e32 v98, v126, v0
	s_clause 0x1
	scratch_load_b64 v[0:1], off, s32 offset:1740 th:TH_LOAD_LU
	scratch_load_b64 v[2:3], off, s32 offset:1748 th:TH_LOAD_LU
	s_wait_loadcnt 0x0
	v_or_b32_e32 v1, v1, v3
	v_or_b32_e32 v0, v0, v2
	s_clause 0x2
	scratch_store_b64 off, v[0:1], s32 offset:1740
	scratch_load_b64 v[0:1], off, s32 offset:1756 th:TH_LOAD_LU
	scratch_load_b64 v[2:3], off, s32 offset:1764 th:TH_LOAD_LU
	s_wait_loadcnt 0x0
	v_or_b32_e32 v113, v1, v3
	v_or_b32_e32 v112, v0, v2
	s_clause 0x1
	scratch_load_b64 v[0:1], off, s32 offset:1708 th:TH_LOAD_LU
	scratch_load_b64 v[2:3], off, s32 offset:1716 th:TH_LOAD_LU
	s_wait_loadcnt 0x0
	v_or_b32_e32 v117, v1, v3
	v_or_b32_e32 v116, v0, v2
	s_clause 0x1
	scratch_load_b64 v[0:1], off, s32 offset:1724 th:TH_LOAD_LU
	scratch_load_b64 v[2:3], off, s32 offset:1732 th:TH_LOAD_LU
	s_wait_loadcnt 0x0
	v_or_b32_e32 v41, v1, v3
	v_or_b32_e32 v40, v0, v2
	s_clause 0x1
	scratch_load_b64 v[0:1], off, s32 offset:1676 th:TH_LOAD_LU
	scratch_load_b64 v[2:3], off, s32 offset:1684 th:TH_LOAD_LU
	s_wait_loadcnt 0x0
	v_or_b32_e32 v45, v1, v3
	v_or_b32_e32 v44, v0, v2
	s_clause 0x1
	scratch_load_b64 v[0:1], off, s32 offset:1692 th:TH_LOAD_LU
	scratch_load_b64 v[2:3], off, s32 offset:1700 th:TH_LOAD_LU
	s_wait_loadcnt 0x0
	v_or_b32_e32 v47, v1, v3
	v_or_b32_e32 v46, v0, v2
	s_clause 0x1
	scratch_load_b64 v[0:1], off, s32 offset:1644 th:TH_LOAD_LU
	scratch_load_b64 v[2:3], off, s32 offset:1652 th:TH_LOAD_LU
	s_wait_loadcnt 0x0
	v_or_b32_e32 v1, v1, v3
	v_or_b32_e32 v0, v0, v2
	s_clause 0x2
	scratch_store_b64 off, v[0:1], s32 offset:1644
	scratch_load_b64 v[0:1], off, s32 offset:1660 th:TH_LOAD_LU
	scratch_load_b64 v[2:3], off, s32 offset:1668 th:TH_LOAD_LU
	s_wait_loadcnt 0x0
	v_or_b32_e32 v59, v1, v3
	v_or_b32_e32 v58, v0, v2
	s_clause 0x1
	scratch_load_b64 v[0:1], off, s32 offset:1612 th:TH_LOAD_LU
	scratch_load_b64 v[2:3], off, s32 offset:1620 th:TH_LOAD_LU
	s_wait_loadcnt 0x0
	v_or_b32_e32 v61, v1, v3
	v_or_b32_e32 v60, v0, v2
	s_clause 0x1
	scratch_load_b64 v[0:1], off, s32 offset:1628 th:TH_LOAD_LU
	scratch_load_b64 v[2:3], off, s32 offset:1636 th:TH_LOAD_LU
	s_wait_loadcnt 0x0
	v_or_b32_e32 v63, v1, v3
	v_or_b32_e32 v62, v0, v2
	s_clause 0x1
	scratch_load_b64 v[0:1], off, s32 offset:1580 th:TH_LOAD_LU
	scratch_load_b64 v[2:3], off, s32 offset:1588 th:TH_LOAD_LU
	s_wait_loadcnt 0x0
	v_or_b32_e32 v73, v1, v3
	v_or_b32_e32 v72, v0, v2
	s_clause 0x1
	scratch_load_b64 v[0:1], off, s32 offset:1596 th:TH_LOAD_LU
	scratch_load_b64 v[2:3], off, s32 offset:1604 th:TH_LOAD_LU
	s_wait_loadcnt 0x0
	v_or_b32_e32 v75, v1, v3
	v_or_b32_e32 v74, v0, v2
	s_clause 0x1
	scratch_load_b64 v[0:1], off, s32 offset:1548 th:TH_LOAD_LU
	scratch_load_b64 v[2:3], off, s32 offset:1556 th:TH_LOAD_LU
	s_wait_loadcnt 0x0
	v_or_b32_e32 v77, v1, v3
	v_or_b32_e32 v76, v0, v2
	s_clause 0x1
	scratch_load_b64 v[0:1], off, s32 offset:1564 th:TH_LOAD_LU
	scratch_load_b64 v[2:3], off, s32 offset:1572 th:TH_LOAD_LU
	s_wait_loadcnt 0x0
	v_or_b32_e32 v79, v1, v3
	v_or_b32_e32 v78, v0, v2
	s_clause 0x1
	scratch_load_b64 v[0:1], off, s32 offset:1516 th:TH_LOAD_LU
	scratch_load_b64 v[2:3], off, s32 offset:1524 th:TH_LOAD_LU
	s_wait_loadcnt 0x0
	v_or_b32_e32 v89, v1, v3
	v_or_b32_e32 v88, v0, v2
	s_clause 0x1
	scratch_load_b64 v[0:1], off, s32 offset:1532 th:TH_LOAD_LU
	scratch_load_b64 v[2:3], off, s32 offset:1540 th:TH_LOAD_LU
	s_wait_loadcnt 0x0
	v_or_b32_e32 v91, v1, v3
	v_or_b32_e32 v90, v0, v2
	s_clause 0x1
	scratch_load_b64 v[0:1], off, s32 offset:1484 th:TH_LOAD_LU
	scratch_load_b64 v[2:3], off, s32 offset:1492 th:TH_LOAD_LU
	s_wait_loadcnt 0x0
	v_or_b32_e32 v93, v1, v3
	v_or_b32_e32 v92, v0, v2
	s_clause 0x1
	scratch_load_b64 v[0:1], off, s32 offset:1500 th:TH_LOAD_LU
	scratch_load_b64 v[2:3], off, s32 offset:1508 th:TH_LOAD_LU
	s_wait_loadcnt 0x0
	v_or_b32_e32 v95, v1, v3
	v_or_b32_e32 v94, v0, v2
	s_clause 0x1
	scratch_load_b64 v[0:1], off, s32 offset:1452 th:TH_LOAD_LU
	scratch_load_b64 v[2:3], off, s32 offset:1460 th:TH_LOAD_LU
	s_wait_loadcnt 0x0
	v_or_b32_e32 v105, v1, v3
	v_or_b32_e32 v104, v0, v2
	s_clause 0x1
	scratch_load_b64 v[0:1], off, s32 offset:1468 th:TH_LOAD_LU
	scratch_load_b64 v[2:3], off, s32 offset:1476 th:TH_LOAD_LU
	s_wait_loadcnt 0x0
	v_or_b32_e32 v107, v1, v3
	v_or_b32_e32 v106, v0, v2
	s_clause 0x1
	scratch_load_b64 v[0:1], off, s32 offset:1420 th:TH_LOAD_LU
	scratch_load_b64 v[2:3], off, s32 offset:1428 th:TH_LOAD_LU
	s_wait_loadcnt 0x0
	v_or_b32_e32 v1, v1, v3
	v_or_b32_e32 v0, v0, v2
	s_clause 0x2
	scratch_store_b64 off, v[0:1], s32 offset:1420
	scratch_load_b64 v[0:1], off, s32 offset:1436 th:TH_LOAD_LU
	scratch_load_b64 v[2:3], off, s32 offset:1444 th:TH_LOAD_LU
	s_wait_loadcnt 0x0
	v_or_b32_e32 v111, v1, v3
	v_or_b32_e32 v110, v0, v2
	s_clause 0x1
	scratch_load_b64 v[0:1], off, s32 offset:1388 th:TH_LOAD_LU
	scratch_load_b64 v[2:3], off, s32 offset:1396 th:TH_LOAD_LU
	s_wait_loadcnt 0x0
	v_or_b32_e32 v121, v1, v3
	v_or_b32_e32 v120, v0, v2
	s_clause 0x1
	scratch_load_b64 v[0:1], off, s32 offset:1404 th:TH_LOAD_LU
	scratch_load_b64 v[2:3], off, s32 offset:1412 th:TH_LOAD_LU
	s_wait_loadcnt 0x0
	v_or_b32_e32 v123, v1, v3
	v_or_b32_e32 v122, v0, v2
	s_clause 0x1
	scratch_load_b64 v[0:1], off, s32 offset:1356 th:TH_LOAD_LU
	scratch_load_b64 v[2:3], off, s32 offset:1364 th:TH_LOAD_LU
	s_wait_loadcnt 0x0
	v_or_b32_e32 v125, v1, v3
	v_or_b32_e32 v124, v0, v2
	s_clause 0x1
	scratch_load_b64 v[0:1], off, s32 offset:1372 th:TH_LOAD_LU
	scratch_load_b64 v[2:3], off, s32 offset:1380 th:TH_LOAD_LU
	s_wait_loadcnt 0x0
	v_or_b32_e32 v127, v1, v3
	v_or_b32_e32 v126, v0, v2
	s_clause 0x1
	scratch_load_b64 v[0:1], off, s32 offset:1324 th:TH_LOAD_LU
	scratch_load_b64 v[2:3], off, s32 offset:1332 th:TH_LOAD_LU
	s_wait_loadcnt 0x0
	v_or_b32_e32 v1, v1, v3
	v_or_b32_e32 v0, v0, v2
	s_clause 0x2
	scratch_store_b64 off, v[0:1], s32 offset:1324
	scratch_load_b64 v[0:1], off, s32 offset:1340 th:TH_LOAD_LU
	scratch_load_b64 v[2:3], off, s32 offset:1348 th:TH_LOAD_LU
	s_wait_loadcnt 0x0
	v_or_b32_e32 v1, v1, v3
	v_or_b32_e32 v0, v0, v2
	s_clause 0x2
	scratch_store_b64 off, v[0:1], s32 offset:1332
	scratch_load_b64 v[0:1], off, s32 offset:1292 th:TH_LOAD_LU
	scratch_load_b64 v[2:3], off, s32 offset:1300 th:TH_LOAD_LU
	s_wait_loadcnt 0x0
	v_or_b32_e32 v1, v1, v3
	v_or_b32_e32 v0, v0, v2
	s_clause 0x2
	;; [unrolled: 7-line block ×39, first 2 shown]
	scratch_load_b64 v[0:1], off, s32 offset:684 th:TH_LOAD_LU
	scratch_load_b64 v[2:3], off, s32 offset:692 th:TH_LOAD_LU
	s_wait_loadcnt 0x0
	v_or_b32_e32 v1, v1, v3
	v_or_b32_e32 v0, v0, v2
	s_clause 0x2
	scratch_store_b64 off, v[0:1], s32 offset:684
	scratch_load_b64 v[0:1], off, s32 offset:700 th:TH_LOAD_LU
	scratch_load_b64 v[2:3], off, s32 offset:708 th:TH_LOAD_LU
	s_wait_loadcnt 0x0
	v_or_b32_e32 v23, v1, v3
	v_or_b32_e32 v22, v0, v2
	s_clause 0x1
	scratch_load_b64 v[0:1], off, s32 offset:652 th:TH_LOAD_LU
	scratch_load_b64 v[2:3], off, s32 offset:660 th:TH_LOAD_LU
	s_wait_loadcnt 0x0
	v_or_b32_e32 v1, v1, v3
	v_or_b32_e32 v0, v0, v2
	s_clause 0x2
	scratch_store_b64 off, v[0:1], s32 offset:652
	scratch_load_b64 v[0:1], off, s32 offset:668 th:TH_LOAD_LU
	scratch_load_b64 v[2:3], off, s32 offset:676 th:TH_LOAD_LU
	s_wait_loadcnt 0x0
	v_or_b32_e32 v1, v1, v3
	v_or_b32_e32 v0, v0, v2
	s_clause 0x2
	scratch_store_b64 off, v[0:1], s32 offset:660
	;; [unrolled: 7-line block ×3, first 2 shown]
	scratch_load_b64 v[0:1], off, s32 offset:636 th:TH_LOAD_LU
	scratch_load_b64 v[2:3], off, s32 offset:644 th:TH_LOAD_LU
	s_wait_loadcnt 0x0
	v_or_b32_e32 v35, v1, v3
	v_or_b32_e32 v34, v0, v2
	s_clause 0x1
	scratch_load_b64 v[0:1], off, s32 offset:588 th:TH_LOAD_LU
	scratch_load_b64 v[2:3], off, s32 offset:596 th:TH_LOAD_LU
	s_wait_loadcnt 0x0
	v_or_b32_e32 v1, v1, v3
	v_or_b32_e32 v0, v0, v2
	s_clause 0x2
	scratch_store_b64 off, v[0:1], s32 offset:588
	scratch_load_b64 v[0:1], off, s32 offset:604 th:TH_LOAD_LU
	scratch_load_b64 v[2:3], off, s32 offset:612 th:TH_LOAD_LU
	s_wait_loadcnt 0x0
	v_or_b32_e32 v11, v1, v3
	v_or_b32_e32 v10, v0, v2
	s_clause 0x1
	scratch_load_b64 v[0:1], off, s32 offset:556 th:TH_LOAD_LU
	scratch_load_b64 v[2:3], off, s32 offset:564 th:TH_LOAD_LU
	s_wait_loadcnt 0x0
	v_or_b32_e32 v1, v1, v3
	v_or_b32_e32 v0, v0, v2
	s_clause 0x2
	scratch_store_b64 off, v[0:1], s32 offset:556
	scratch_load_b64 v[0:1], off, s32 offset:572 th:TH_LOAD_LU
	scratch_load_b64 v[2:3], off, s32 offset:580 th:TH_LOAD_LU
	s_wait_loadcnt 0x0
	v_or_b32_e32 v1, v1, v3
	v_or_b32_e32 v0, v0, v2
	s_clause 0x2
	scratch_store_b64 off, v[0:1], s32 offset:564
	scratch_load_b64 v[0:1], off, s32 offset:524 th:TH_LOAD_LU
	scratch_load_b64 v[2:3], off, s32 offset:532 th:TH_LOAD_LU
	s_wait_loadcnt 0x0
	v_or_b32_e32 v27, v1, v3
	v_or_b32_e32 v26, v0, v2
	s_clause 0x1
	scratch_load_b64 v[0:1], off, s32 offset:540 th:TH_LOAD_LU
	scratch_load_b64 v[2:3], off, s32 offset:548 th:TH_LOAD_LU
	s_wait_loadcnt 0x0
	v_or_b32_e32 v13, v1, v3
	v_or_b32_e32 v12, v0, v2
	s_clause 0x1
	;; [unrolled: 6-line block ×7, first 2 shown]
	scratch_store_b64 off, v[0:1], s32 offset:428
	scratch_load_b64 v[0:1], off, s32 offset:444 th:TH_LOAD_LU
	scratch_load_b64 v[2:3], off, s32 offset:452 th:TH_LOAD_LU
	s_wait_loadcnt 0x0
	v_or_b32_e32 v83, v1, v3
	v_or_b32_e32 v82, v0, v2
	s_clause 0x1
	scratch_load_b64 v[0:1], off, s32 offset:396 th:TH_LOAD_LU
	scratch_load_b64 v[2:3], off, s32 offset:404 th:TH_LOAD_LU
	s_wait_loadcnt 0x0
	v_or_b32_e32 v51, v1, v3
	v_or_b32_e32 v50, v0, v2
	s_clause 0x1
	;; [unrolled: 6-line block ×4, first 2 shown]
	scratch_store_b64 off, v[0:1], s32 offset:364
	scratch_load_b64 v[0:1], off, s32 offset:380 th:TH_LOAD_LU
	scratch_load_b64 v[2:3], off, s32 offset:388 th:TH_LOAD_LU
	;; [unrolled: 1-line block ×3, first 2 shown]
	scratch_load_b32 v7, off, s32 offset:252
	s_wait_loadcnt 0x2
	v_or_b32_e32 v1, v1, v3
	v_or_b32_e32 v0, v0, v2
	s_clause 0x1
	scratch_load_b64 v[2:3], off, s32 offset:244
	scratch_store_b64 off, v[0:1], s32 offset:372
	s_wait_loadcnt 0x0
	v_mov_b32_e32 v4, v2
	scratch_load_b32 v2, off, s32 offset:2364 ; 4-byte Folded Reload
	s_wait_loadcnt 0x0
	v_add_nc_u32_e32 v2, v2, v4
	scratch_load_b64 v[4:5], off, s32 offset:1820 ; 8-byte Folded Reload
	s_wait_xcnt 0x2
	v_pk_mul_f32 v[0:1], v[16:17], v[42:43] op_sel_hi:[0,1]
	s_wait_loadcnt 0x0
	v_dual_mov_b32 v6, v4 :: v_dual_bitop2_b32 v3, 2, v2 bitop3:0x54
	scratch_load_b64 v[4:5], off, s32 offset:2348 ; 8-byte Folded Reload
	s_wait_loadcnt 0x0
	scratch_load_b32 v4, off, s32 offset:200 ; 4-byte Folded Reload
	v_cmp_lt_i32_e64 s0, v3, v6
	v_cmp_lt_i32_e64 s2, v2, v6
	s_wait_loadcnt 0x0
	v_add_nc_u32_e32 v4, -1, v4
	s_delay_alu instid0(VALU_DEP_1) | instskip(SKIP_2) | instid1(VALU_DEP_2)
	v_cmp_eq_u32_e32 vcc_lo, v4, v7
	v_dual_cndmask_b32 v4, 0, v0, s0 :: v_dual_bitop2_b32 v3, 3, v2 bitop3:0x54
	v_add_nc_u32_e32 v2, 1, v2
	v_cmp_lt_i32_e64 s1, v3, v5
	s_delay_alu instid0(VALU_DEP_3) | instskip(NEXT) | instid1(VALU_DEP_3)
	v_cndmask_b32_e32 v0, v0, v4, vcc_lo
	v_cmp_lt_i32_e64 s3, v2, v5
	s_delay_alu instid0(VALU_DEP_3) | instskip(NEXT) | instid1(VALU_DEP_1)
	v_cndmask_b32_e64 v3, 0, v1, s1
	v_cndmask_b32_e32 v1, v1, v3, vcc_lo
	s_clause 0x1
	scratch_store_b64 off, v[0:1], s32 offset:380
	scratch_load_b64 v[0:1], off, s32 offset:2148 th:TH_LOAD_LU
	s_wait_loadcnt 0x0
	v_pk_mul_f32 v[0:1], v[16:17], v[0:1] op_sel_hi:[0,1]
	s_delay_alu instid0(VALU_DEP_1) | instskip(NEXT) | instid1(VALU_DEP_1)
	v_dual_cndmask_b32 v2, 0, v1, s3 :: v_dual_cndmask_b32 v3, 0, v0, s2
	v_dual_cndmask_b32 v57, v1, v2 :: v_dual_cndmask_b32 v56, v0, v3
	scratch_load_b64 v[0:1], off, s32 offset:2180 th:TH_LOAD_LU ; 8-byte Folded Reload
	s_wait_loadcnt 0x0
	v_pk_mul_f32 v[0:1], v[16:17], v[0:1] op_sel_hi:[0,1]
	s_delay_alu instid0(VALU_DEP_1) | instskip(NEXT) | instid1(VALU_DEP_1)
	v_dual_cndmask_b32 v2, 0, v1, s1 :: v_dual_cndmask_b32 v3, 0, v0, s0
	v_dual_cndmask_b32 v1, v1, v2 :: v_dual_cndmask_b32 v0, v0, v3
	s_clause 0x1
	scratch_store_b64 off, v[0:1], s32 offset:388
	scratch_load_b64 v[0:1], off, s32 offset:2164 th:TH_LOAD_LU
	s_wait_loadcnt 0x0
	v_pk_mul_f32 v[0:1], v[16:17], v[0:1] op_sel_hi:[0,1]
	s_delay_alu instid0(VALU_DEP_1) | instskip(NEXT) | instid1(VALU_DEP_1)
	v_dual_cndmask_b32 v2, 0, v1, s3 :: v_dual_cndmask_b32 v3, 0, v0, s2
	v_dual_cndmask_b32 v119, v1, v2 :: v_dual_cndmask_b32 v118, v0, v3
	v_pk_mul_f32 v[0:1], v[16:17], v[102:103] op_sel_hi:[0,1]
	s_delay_alu instid0(VALU_DEP_1) | instskip(NEXT) | instid1(VALU_DEP_1)
	v_dual_cndmask_b32 v2, 0, v1, s1 :: v_dual_cndmask_b32 v3, 0, v0, s0
	v_dual_cndmask_b32 v1, v1, v2 :: v_dual_cndmask_b32 v0, v0, v3
	s_clause 0x1
	scratch_store_b64 off, v[0:1], s32 offset:396
	scratch_load_b64 v[0:1], off, s32 offset:2212 th:TH_LOAD_LU
	s_wait_loadcnt 0x0
	v_pk_mul_f32 v[0:1], v[16:17], v[0:1] op_sel_hi:[0,1]
	s_delay_alu instid0(VALU_DEP_1) | instskip(NEXT) | instid1(VALU_DEP_1)
	v_dual_cndmask_b32 v2, 0, v1, s3 :: v_dual_cndmask_b32 v3, 0, v0, s2
	v_dual_cndmask_b32 v1, v1, v2 :: v_dual_cndmask_b32 v0, v0, v3
	s_clause 0x1
	scratch_store_b64 off, v[0:1], s32 offset:412
	scratch_load_b64 v[0:1], off, s32 offset:2228 th:TH_LOAD_LU
	s_wait_loadcnt 0x0
	v_pk_mul_f32 v[0:1], v[16:17], v[0:1] op_sel_hi:[0,1]
	s_delay_alu instid0(VALU_DEP_1) | instskip(NEXT) | instid1(VALU_DEP_1)
	v_dual_cndmask_b32 v2, 0, v1, s1 :: v_dual_cndmask_b32 v3, 0, v0, s0
	v_dual_cndmask_b32 v1, v1, v2 :: v_dual_cndmask_b32 v0, v0, v3
	scratch_store_b64 off, v[0:1], s32 offset:404 ; 8-byte Folded Spill
	s_wait_xcnt 0x0
	v_pk_mul_f32 v[0:1], v[16:17], v[68:69] op_sel_hi:[0,1]
	s_delay_alu instid0(VALU_DEP_1) | instskip(NEXT) | instid1(VALU_DEP_1)
	v_dual_cndmask_b32 v2, 0, v1, s3 :: v_dual_cndmask_b32 v3, 0, v0, s2
	v_dual_cndmask_b32 v1, v1, v2 :: v_dual_cndmask_b32 v0, v0, v3
	scratch_store_b64 off, v[0:1], s32 offset:436 ; 8-byte Folded Spill
	s_wait_xcnt 0x0
	v_pk_mul_f32 v[0:1], v[16:17], v[70:71] op_sel_hi:[0,1]
	s_delay_alu instid0(VALU_DEP_1) | instskip(NEXT) | instid1(VALU_DEP_1)
	v_dual_cndmask_b32 v2, 0, v1, s1 :: v_dual_cndmask_b32 v3, 0, v0, s0
	v_dual_cndmask_b32 v1, v1, v2 :: v_dual_cndmask_b32 v0, v0, v3
	s_clause 0x1
	scratch_store_b64 off, v[0:1], s32 offset:420
	scratch_load_b64 v[0:1], off, s32 offset:2196 th:TH_LOAD_LU
	s_wait_loadcnt 0x0
	v_pk_mul_f32 v[0:1], v[16:17], v[0:1] op_sel_hi:[0,1]
	s_delay_alu instid0(VALU_DEP_1) | instskip(NEXT) | instid1(VALU_DEP_1)
	v_dual_cndmask_b32 v2, 0, v1, s3 :: v_dual_cndmask_b32 v3, 0, v0, s2
	v_dual_cndmask_b32 v1, v1, v2 :: v_dual_cndmask_b32 v0, v0, v3
	s_clause 0x1
	scratch_store_b64 off, v[0:1], s32 offset:452
	scratch_load_b64 v[0:1], off, s32 offset:2252 th:TH_LOAD_LU
	s_wait_loadcnt 0x0
	;; [unrolled: 8-line block ×3, first 2 shown]
	v_pk_mul_f32 v[0:1], v[16:17], v[0:1] op_sel_hi:[0,1]
	s_delay_alu instid0(VALU_DEP_1) | instskip(NEXT) | instid1(VALU_DEP_1)
	v_dual_cndmask_b32 v2, 0, v1, s3 :: v_dual_cndmask_b32 v3, 0, v0, s2
	v_dual_cndmask_b32 v1, v1, v2 :: v_dual_cndmask_b32 v0, v0, v3
	scratch_store_b64 off, v[0:1], s32 offset:468 ; 8-byte Folded Spill
	s_wait_xcnt 0x0
	v_pk_mul_f32 v[0:1], v[16:17], v[80:81] op_sel_hi:[0,1]
	s_delay_alu instid0(VALU_DEP_1) | instskip(NEXT) | instid1(VALU_DEP_1)
	v_dual_cndmask_b32 v2, 0, v1, s1 :: v_dual_cndmask_b32 v3, 0, v0, s0
	v_dual_cndmask_b32 v1, v1, v2 :: v_dual_cndmask_b32 v0, v0, v3
	scratch_store_b64 off, v[0:1], s32 offset:460 ; 8-byte Folded Spill
	s_wait_xcnt 0x0
	;; [unrolled: 6-line block ×3, first 2 shown]
	v_pk_mul_f32 v[0:1], v[16:17], v[64:65] op_sel_hi:[0,1]
	s_delay_alu instid0(VALU_DEP_1) | instskip(NEXT) | instid1(VALU_DEP_1)
	v_dual_cndmask_b32 v2, 0, v1, s1 :: v_dual_cndmask_b32 v3, 0, v0, s0
	v_dual_cndmask_b32 v1, v1, v2 :: v_dual_cndmask_b32 v0, v0, v3
	s_clause 0x1
	scratch_store_b64 off, v[0:1], s32 offset:476
	scratch_load_b64 v[0:1], off, s32 offset:2300 th:TH_LOAD_LU
	s_wait_loadcnt 0x0
	v_pk_mul_f32 v[0:1], v[16:17], v[0:1] op_sel_hi:[0,1]
	s_delay_alu instid0(VALU_DEP_1) | instskip(NEXT) | instid1(VALU_DEP_1)
	v_dual_cndmask_b32 v2, 0, v1, s3 :: v_dual_cndmask_b32 v3, 0, v0, s2
	v_dual_cndmask_b32 v1, v1, v2 :: v_dual_cndmask_b32 v0, v0, v3
	scratch_store_b64 off, v[0:1], s32 offset:500 ; 8-byte Folded Spill
	s_wait_xcnt 0x0
	v_pk_mul_f32 v[0:1], v[16:17], v[30:31] op_sel_hi:[0,1]
	s_delay_alu instid0(VALU_DEP_1) | instskip(NEXT) | instid1(VALU_DEP_1)
	v_dual_cndmask_b32 v2, 0, v1, s1 :: v_dual_cndmask_b32 v3, 0, v0, s0
	v_dual_cndmask_b32 v1, v1, v2 :: v_dual_cndmask_b32 v0, v0, v3
	scratch_store_b64 off, v[0:1], s32 offset:492 ; 8-byte Folded Spill
	s_wait_xcnt 0x0
	;; [unrolled: 6-line block ×3, first 2 shown]
	v_pk_mul_f32 v[0:1], v[16:17], v[32:33] op_sel_hi:[0,1]
	s_delay_alu instid0(VALU_DEP_1) | instskip(NEXT) | instid1(VALU_DEP_1)
	v_dual_cndmask_b32 v2, 0, v1, s1 :: v_dual_cndmask_b32 v3, 0, v0, s0
	v_dual_cndmask_b32 v1, v1, v2 :: v_dual_cndmask_b32 v0, v0, v3
	s_clause 0x1
	scratch_store_b64 off, v[0:1], s32 offset:508
	scratch_load_b64 v[0:1], off, s32 offset:2284 th:TH_LOAD_LU
	s_wait_loadcnt 0x0
	v_pk_mul_f32 v[0:1], v[16:17], v[0:1] op_sel_hi:[0,1]
	s_delay_alu instid0(VALU_DEP_1) | instskip(NEXT) | instid1(VALU_DEP_1)
	v_dual_cndmask_b32 v2, 0, v1, s3 :: v_dual_cndmask_b32 v3, 0, v0, s2
	v_dual_cndmask_b32 v1, v1, v2 :: v_dual_cndmask_b32 v0, v0, v3
	scratch_store_b64 off, v[0:1], s32 offset:532 ; 8-byte Folded Spill
	s_wait_xcnt 0x0
	v_pk_mul_f32 v[0:1], v[16:17], v[20:21] op_sel_hi:[0,1]
	s_delay_alu instid0(VALU_DEP_1) | instskip(NEXT) | instid1(VALU_DEP_1)
	v_dual_cndmask_b32 v2, 0, v1, s1 :: v_dual_cndmask_b32 v3, 0, v0, s0
	v_dual_cndmask_b32 v1, v1, v2 :: v_dual_cndmask_b32 v0, v0, v3
	s_clause 0x1
	scratch_store_b64 off, v[0:1], s32 offset:524
	scratch_load_b64 v[0:1], off, s32 offset:2268 th:TH_LOAD_LU
	s_wait_loadcnt 0x0
	v_pk_mul_f32 v[0:1], v[16:17], v[0:1] op_sel_hi:[0,1]
	s_delay_alu instid0(VALU_DEP_1) | instskip(NEXT) | instid1(VALU_DEP_1)
	v_dual_cndmask_b32 v2, 0, v1, s3 :: v_dual_cndmask_b32 v3, 0, v0, s2
	v_dual_cndmask_b32 v1, v1, v2 :: v_dual_cndmask_b32 v0, v0, v3
	scratch_store_b64 off, v[0:1], s32 offset:548 ; 8-byte Folded Spill
	s_wait_xcnt 0x0
	v_pk_mul_f32 v[0:1], v[16:17], v[18:19] op_sel_hi:[0,1]
	s_delay_alu instid0(VALU_DEP_1) | instskip(NEXT) | instid1(VALU_DEP_1)
	v_dual_cndmask_b32 v2, 0, v1, s1 :: v_dual_cndmask_b32 v3, 0, v0, s0
	v_dual_cndmask_b32 v1, v1, v2 :: v_dual_cndmask_b32 v0, v0, v3
	scratch_store_b64 off, v[0:1], s32 offset:540 ; 8-byte Folded Spill
	s_wait_xcnt 0x0
	v_pk_mul_f32 v[0:1], v[16:17], v[36:37] op_sel_hi:[0,1]
	s_delay_alu instid0(VALU_DEP_1) | instskip(NEXT) | instid1(VALU_DEP_1)
	v_dual_cndmask_b32 v2, 0, v1, s3 :: v_dual_cndmask_b32 v3, 0, v0, s2
	v_dual_cndmask_b32 v1, v1, v2 :: v_dual_cndmask_b32 v0, v0, v3
	scratch_store_b64 off, v[0:1], s32 offset:580 ; 8-byte Folded Spill
	s_wait_xcnt 0x0
	v_pk_mul_f32 v[0:1], v[16:17], v[52:53] op_sel_hi:[0,1]
	s_delay_alu instid0(VALU_DEP_1) | instskip(NEXT) | instid1(VALU_DEP_1)
	v_dual_cndmask_b32 v2, 0, v1, s1 :: v_dual_cndmask_b32 v3, 0, v0, s0
	v_dual_cndmask_b32 v1, v1, v2 :: v_dual_cndmask_b32 v0, v0, v3
	scratch_store_b64 off, v[0:1], s32 offset:572 ; 8-byte Folded Spill
	s_wait_xcnt 0x0
	v_pk_mul_f32 v[0:1], v[16:17], v[48:49] op_sel_hi:[0,1]
	s_delay_alu instid0(VALU_DEP_1) | instskip(NEXT) | instid1(VALU_DEP_1)
	v_dual_cndmask_b32 v2, 0, v1, s3 :: v_dual_cndmask_b32 v3, 0, v0, s2
	v_dual_cndmask_b32 v1, v1, v2 :: v_dual_cndmask_b32 v0, v0, v3
	scratch_store_b64 off, v[0:1], s32 offset:604 ; 8-byte Folded Spill
	s_wait_xcnt 0x0
	v_pk_mul_f32 v[0:1], v[16:17], v[54:55] op_sel_hi:[0,1]
	s_delay_alu instid0(VALU_DEP_1) | instskip(NEXT) | instid1(VALU_DEP_1)
	v_dual_cndmask_b32 v2, 0, v1, s1 :: v_dual_cndmask_b32 v3, 0, v0, s0
	v_dual_cndmask_b32 v1, v1, v2 :: v_dual_cndmask_b32 v0, v0, v3
	scratch_store_b64 off, v[0:1], s32 offset:596 ; 8-byte Folded Spill
	s_wait_xcnt 0x0
	v_pk_mul_f32 v[0:1], v[16:17], v[14:15] op_sel_hi:[0,1]
	s_delay_alu instid0(VALU_DEP_1) | instskip(NEXT) | instid1(VALU_DEP_1)
	v_dual_cndmask_b32 v2, 0, v1, s3 :: v_dual_cndmask_b32 v3, 0, v0, s2
	v_dual_cndmask_b32 v1, v1, v2 :: v_dual_cndmask_b32 v0, v0, v3
	scratch_store_b64 off, v[0:1], s32 offset:628 ; 8-byte Folded Spill
	s_wait_xcnt 0x0
	v_pk_mul_f32 v[0:1], v[16:17], v[86:87] op_sel_hi:[0,1]
	s_delay_alu instid0(VALU_DEP_1) | instskip(NEXT) | instid1(VALU_DEP_1)
	v_dual_cndmask_b32 v2, 0, v1, s1 :: v_dual_cndmask_b32 v3, 0, v0, s0
	v_dual_cndmask_b32 v1, v1, v2 :: v_dual_cndmask_b32 v0, v0, v3
	s_clause 0x1
	scratch_store_b64 off, v[0:1], s32 offset:612
	scratch_load_b64 v[0:1], off, s32 offset:1796 th:TH_LOAD_LU
	s_wait_loadcnt 0x0
	v_pk_mul_f32 v[0:1], v[16:17], v[0:1] op_sel_hi:[0,1]
	s_delay_alu instid0(VALU_DEP_1) | instskip(NEXT) | instid1(VALU_DEP_1)
	v_dual_cndmask_b32 v2, 0, v1, s3 :: v_dual_cndmask_b32 v3, 0, v0, s2
	v_dual_cndmask_b32 v1, v1, v2 :: v_dual_cndmask_b32 v0, v0, v3
	scratch_store_b64 off, v[0:1], s32 offset:644 ; 8-byte Folded Spill
	s_wait_xcnt 0x0
	v_pk_mul_f32 v[0:1], v[16:17], v[98:99] op_sel_hi:[0,1]
	s_delay_alu instid0(VALU_DEP_1) | instskip(NEXT) | instid1(VALU_DEP_1)
	v_dual_cndmask_b32 v2, 0, v1, s1 :: v_dual_cndmask_b32 v3, 0, v0, s0
	v_dual_cndmask_b32 v1, v1, v2 :: v_dual_cndmask_b32 v0, v0, v3
	s_clause 0x1
	scratch_store_b64 off, v[0:1], s32 offset:636
	scratch_load_b64 v[0:1], off, s32 offset:1772 th:TH_LOAD_LU
	s_wait_loadcnt 0x0
	v_pk_mul_f32 v[0:1], v[16:17], v[0:1] op_sel_hi:[0,1]
	s_delay_alu instid0(VALU_DEP_1) | instskip(NEXT) | instid1(VALU_DEP_1)
	v_dual_cndmask_b32 v2, 0, v1, s3 :: v_dual_cndmask_b32 v3, 0, v0, s2
	v_dual_cndmask_b32 v1, v1, v2 :: v_dual_cndmask_b32 v0, v0, v3
	scratch_store_b64 off, v[0:1], s32 offset:676 ; 8-byte Folded Spill
	s_wait_xcnt 0x0
	;; [unrolled: 14-line block ×3, first 2 shown]
	v_pk_mul_f32 v[0:1], v[16:17], v[40:41] op_sel_hi:[0,1]
	s_delay_alu instid0(VALU_DEP_1) | instskip(NEXT) | instid1(VALU_DEP_1)
	v_dual_cndmask_b32 v2, 0, v1, s1 :: v_dual_cndmask_b32 v3, 0, v0, s0
	v_dual_cndmask_b32 v1, v1, v2 :: v_dual_cndmask_b32 v0, v0, v3
	scratch_store_b64 off, v[0:1], s32 offset:692 ; 8-byte Folded Spill
	s_wait_xcnt 0x0
	v_pk_mul_f32 v[0:1], v[16:17], v[116:117] op_sel_hi:[0,1]
	s_delay_alu instid0(VALU_DEP_1) | instskip(NEXT) | instid1(VALU_DEP_1)
	v_dual_cndmask_b32 v2, 0, v1, s3 :: v_dual_cndmask_b32 v3, 0, v0, s2
	v_dual_cndmask_b32 v1, v1, v2 :: v_dual_cndmask_b32 v0, v0, v3
	scratch_store_b64 off, v[0:1], s32 offset:724 ; 8-byte Folded Spill
	s_wait_xcnt 0x0
	;; [unrolled: 6-line block ×3, first 2 shown]
	v_pk_mul_f32 v[0:1], v[16:17], v[44:45] op_sel_hi:[0,1]
	s_delay_alu instid0(VALU_DEP_1) | instskip(NEXT) | instid1(VALU_DEP_1)
	v_dual_cndmask_b32 v2, 0, v1, s3 :: v_dual_cndmask_b32 v3, 0, v0, s2
	v_dual_cndmask_b32 v109, v1, v2 :: v_dual_cndmask_b32 v108, v0, v3
	v_pk_mul_f32 v[0:1], v[16:17], v[58:59] op_sel_hi:[0,1]
	s_delay_alu instid0(VALU_DEP_1) | instskip(NEXT) | instid1(VALU_DEP_1)
	v_dual_cndmask_b32 v2, 0, v1, s1 :: v_dual_cndmask_b32 v3, 0, v0, s0
	v_dual_cndmask_b32 v1, v1, v2 :: v_dual_cndmask_b32 v0, v0, v3
	s_clause 0x1
	scratch_store_b64 off, v[0:1], s32 offset:732
	scratch_load_b64 v[0:1], off, s32 offset:1644 th:TH_LOAD_LU
	s_wait_loadcnt 0x0
	v_pk_mul_f32 v[0:1], v[16:17], v[0:1] op_sel_hi:[0,1]
	s_delay_alu instid0(VALU_DEP_1) | instskip(NEXT) | instid1(VALU_DEP_1)
	v_dual_cndmask_b32 v2, 0, v1, s3 :: v_dual_cndmask_b32 v3, 0, v0, s2
	v_dual_cndmask_b32 v1, v1, v2 :: v_dual_cndmask_b32 v0, v0, v3
	scratch_store_b64 off, v[0:1], s32 offset:740 ; 8-byte Folded Spill
	s_wait_xcnt 0x0
	v_pk_mul_f32 v[0:1], v[16:17], v[62:63] op_sel_hi:[0,1]
	s_delay_alu instid0(VALU_DEP_1) | instskip(NEXT) | instid1(VALU_DEP_1)
	v_dual_cndmask_b32 v2, 0, v1, s1 :: v_dual_cndmask_b32 v3, 0, v0, s0
	v_dual_cndmask_b32 v1, v1, v2 :: v_dual_cndmask_b32 v0, v0, v3
	scratch_store_b64 off, v[0:1], s32 offset:764 ; 8-byte Folded Spill
	s_wait_xcnt 0x0
	;; [unrolled: 6-line block ×10, first 2 shown]
	v_pk_mul_f32 v[0:1], v[16:17], v[92:93] op_sel_hi:[0,1]
	s_delay_alu instid0(VALU_DEP_1) | instskip(NEXT) | instid1(VALU_DEP_1)
	v_dual_cndmask_b32 v2, 0, v1, s3 :: v_dual_cndmask_b32 v3, 0, v0, s2
	v_dual_cndmask_b32 v115, v1, v2 :: v_dual_cndmask_b32 v114, v0, v3
	v_pk_mul_f32 v[0:1], v[16:17], v[106:107] op_sel_hi:[0,1]
	s_delay_alu instid0(VALU_DEP_1) | instskip(NEXT) | instid1(VALU_DEP_1)
	v_dual_cndmask_b32 v2, 0, v1, s1 :: v_dual_cndmask_b32 v3, 0, v0, s0
	v_dual_cndmask_b32 v1, v1, v2 :: v_dual_cndmask_b32 v0, v0, v3
	scratch_store_b64 off, v[0:1], s32 offset:892 ; 8-byte Folded Spill
	s_wait_xcnt 0x0
	v_pk_mul_f32 v[0:1], v[16:17], v[104:105] op_sel_hi:[0,1]
	s_delay_alu instid0(VALU_DEP_1) | instskip(NEXT) | instid1(VALU_DEP_1)
	v_dual_cndmask_b32 v2, 0, v1, s3 :: v_dual_cndmask_b32 v3, 0, v0, s2
	v_dual_cndmask_b32 v1, v1, v2 :: v_dual_cndmask_b32 v0, v0, v3
	scratch_store_b64 off, v[0:1], s32 offset:932 ; 8-byte Folded Spill
	s_wait_xcnt 0x0
	v_pk_mul_f32 v[0:1], v[16:17], v[110:111] op_sel_hi:[0,1]
	s_delay_alu instid0(VALU_DEP_1) | instskip(NEXT) | instid1(VALU_DEP_1)
	v_dual_cndmask_b32 v2, 0, v1, s1 :: v_dual_cndmask_b32 v3, 0, v0, s0
	v_dual_cndmask_b32 v1, v1, v2 :: v_dual_cndmask_b32 v0, v0, v3
	s_clause 0x1
	scratch_store_b64 off, v[0:1], s32 offset:924
	scratch_load_b64 v[0:1], off, s32 offset:1420 th:TH_LOAD_LU
	s_wait_loadcnt 0x0
	v_pk_mul_f32 v[0:1], v[16:17], v[0:1] op_sel_hi:[0,1]
	s_delay_alu instid0(VALU_DEP_1) | instskip(NEXT) | instid1(VALU_DEP_1)
	v_dual_cndmask_b32 v2, 0, v1, s3 :: v_dual_cndmask_b32 v3, 0, v0, s2
	v_dual_cndmask_b32 v1, v1, v2 :: v_dual_cndmask_b32 v0, v0, v3
	scratch_store_b64 off, v[0:1], s32 offset:964 ; 8-byte Folded Spill
	s_wait_xcnt 0x0
	v_pk_mul_f32 v[0:1], v[16:17], v[122:123] op_sel_hi:[0,1]
	s_delay_alu instid0(VALU_DEP_1) | instskip(NEXT) | instid1(VALU_DEP_1)
	v_dual_cndmask_b32 v2, 0, v1, s1 :: v_dual_cndmask_b32 v3, 0, v0, s0
	v_dual_cndmask_b32 v1, v1, v2 :: v_dual_cndmask_b32 v0, v0, v3
	scratch_store_b64 off, v[0:1], s32 offset:956 ; 8-byte Folded Spill
	s_wait_xcnt 0x0
	v_pk_mul_f32 v[0:1], v[16:17], v[120:121] op_sel_hi:[0,1]
	s_delay_alu instid0(VALU_DEP_1) | instskip(NEXT) | instid1(VALU_DEP_1)
	v_dual_cndmask_b32 v2, 0, v1, s3 :: v_dual_cndmask_b32 v3, 0, v0, s2
	v_dual_cndmask_b32 v77, v1, v2 :: v_dual_cndmask_b32 v76, v0, v3
	v_pk_mul_f32 v[0:1], v[16:17], v[126:127] op_sel_hi:[0,1]
	s_delay_alu instid0(VALU_DEP_1) | instskip(NEXT) | instid1(VALU_DEP_1)
	v_dual_cndmask_b32 v2, 0, v1, s1 :: v_dual_cndmask_b32 v3, 0, v0, s0
	v_dual_cndmask_b32 v1, v1, v2 :: v_dual_cndmask_b32 v0, v0, v3
	scratch_store_b64 off, v[0:1], s32 offset:988 ; 8-byte Folded Spill
	s_wait_xcnt 0x0
	v_pk_mul_f32 v[0:1], v[16:17], v[124:125] op_sel_hi:[0,1]
	s_delay_alu instid0(VALU_DEP_1) | instskip(NEXT) | instid1(VALU_DEP_1)
	v_dual_cndmask_b32 v2, 0, v1, s3 :: v_dual_cndmask_b32 v3, 0, v0, s2
	v_dual_cndmask_b32 v45, v1, v2 :: v_dual_cndmask_b32 v44, v0, v3
	scratch_load_b64 v[0:1], off, s32 offset:1332 th:TH_LOAD_LU ; 8-byte Folded Reload
	s_wait_loadcnt 0x0
	v_pk_mul_f32 v[0:1], v[16:17], v[0:1] op_sel_hi:[0,1]
	s_delay_alu instid0(VALU_DEP_1) | instskip(NEXT) | instid1(VALU_DEP_1)
	v_dual_cndmask_b32 v2, 0, v1, s1 :: v_dual_cndmask_b32 v3, 0, v0, s0
	v_dual_cndmask_b32 v1, v1, v2 :: v_dual_cndmask_b32 v0, v0, v3
	s_clause 0x1
	scratch_store_b64 off, v[0:1], s32 offset:996
	scratch_load_b64 v[0:1], off, s32 offset:1324 th:TH_LOAD_LU
	s_wait_loadcnt 0x0
	v_pk_mul_f32 v[0:1], v[16:17], v[0:1] op_sel_hi:[0,1]
	s_delay_alu instid0(VALU_DEP_1) | instskip(NEXT) | instid1(VALU_DEP_1)
	v_dual_cndmask_b32 v2, 0, v1, s3 :: v_dual_cndmask_b32 v3, 0, v0, s2
	v_dual_cndmask_b32 v55, v1, v2 :: v_dual_cndmask_b32 v54, v0, v3
	scratch_load_b64 v[0:1], off, s32 offset:1300 th:TH_LOAD_LU ; 8-byte Folded Reload
	s_wait_loadcnt 0x0
	v_pk_mul_f32 v[0:1], v[16:17], v[0:1] op_sel_hi:[0,1]
	s_delay_alu instid0(VALU_DEP_1) | instskip(NEXT) | instid1(VALU_DEP_1)
	v_dual_cndmask_b32 v2, 0, v1, s1 :: v_dual_cndmask_b32 v3, 0, v0, s0
	v_dual_cndmask_b32 v1, v1, v2 :: v_dual_cndmask_b32 v0, v0, v3
	s_clause 0x1
	scratch_store_b64 off, v[0:1], s32 offset:1020
	scratch_load_b64 v[0:1], off, s32 offset:1292 th:TH_LOAD_LU
	s_wait_loadcnt 0x0
	;; [unrolled: 14-line block ×3, first 2 shown]
	v_pk_mul_f32 v[0:1], v[16:17], v[0:1] op_sel_hi:[0,1]
	s_delay_alu instid0(VALU_DEP_1) | instskip(NEXT) | instid1(VALU_DEP_1)
	v_dual_cndmask_b32 v2, 0, v1, s3 :: v_dual_cndmask_b32 v3, 0, v0, s2
	v_dual_cndmask_b32 v1, v1, v2 :: v_dual_cndmask_b32 v0, v0, v3
	s_clause 0x1
	scratch_store_b64 off, v[0:1], s32 offset:1060
	scratch_load_b64 v[0:1], off, s32 offset:1236 th:TH_LOAD_LU
	s_wait_loadcnt 0x0
	v_pk_mul_f32 v[0:1], v[16:17], v[0:1] op_sel_hi:[0,1]
	s_delay_alu instid0(VALU_DEP_1) | instskip(NEXT) | instid1(VALU_DEP_1)
	v_dual_cndmask_b32 v2, 0, v1, s1 :: v_dual_cndmask_b32 v3, 0, v0, s0
	v_dual_cndmask_b32 v1, v1, v2 :: v_dual_cndmask_b32 v0, v0, v3
	s_clause 0x1
	scratch_store_b64 off, v[0:1], s32 offset:1052
	scratch_load_b64 v[0:1], off, s32 offset:1228 th:TH_LOAD_LU
	s_wait_loadcnt 0x0
	v_pk_mul_f32 v[0:1], v[16:17], v[0:1] op_sel_hi:[0,1]
	s_delay_alu instid0(VALU_DEP_1) | instskip(NEXT) | instid1(VALU_DEP_1)
	v_dual_cndmask_b32 v2, 0, v1, s3 :: v_dual_cndmask_b32 v3, 0, v0, s2
	v_dual_cndmask_b32 v61, v1, v2 :: v_dual_cndmask_b32 v60, v0, v3
	scratch_load_b64 v[0:1], off, s32 offset:1204 th:TH_LOAD_LU ; 8-byte Folded Reload
	s_wait_loadcnt 0x0
	v_pk_mul_f32 v[0:1], v[16:17], v[0:1] op_sel_hi:[0,1]
	s_delay_alu instid0(VALU_DEP_1) | instskip(NEXT) | instid1(VALU_DEP_1)
	v_dual_cndmask_b32 v2, 0, v1, s1 :: v_dual_cndmask_b32 v3, 0, v0, s0
	v_dual_cndmask_b32 v1, v1, v2 :: v_dual_cndmask_b32 v0, v0, v3
	s_clause 0x1
	scratch_store_b64 off, v[0:1], s32 offset:1084
	scratch_load_b64 v[0:1], off, s32 offset:1196 th:TH_LOAD_LU
	s_wait_loadcnt 0x0
	v_pk_mul_f32 v[0:1], v[16:17], v[0:1] op_sel_hi:[0,1]
	s_delay_alu instid0(VALU_DEP_1) | instskip(NEXT) | instid1(VALU_DEP_1)
	v_dual_cndmask_b32 v2, 0, v1, s3 :: v_dual_cndmask_b32 v3, 0, v0, s2
	v_dual_cndmask_b32 v39, v1, v2 :: v_dual_cndmask_b32 v38, v0, v3
	scratch_load_b64 v[0:1], off, s32 offset:1172 th:TH_LOAD_LU ; 8-byte Folded Reload
	s_wait_loadcnt 0x0
	v_pk_mul_f32 v[0:1], v[16:17], v[0:1] op_sel_hi:[0,1]
	s_delay_alu instid0(VALU_DEP_1) | instskip(NEXT) | instid1(VALU_DEP_1)
	v_dual_cndmask_b32 v2, 0, v1, s1 :: v_dual_cndmask_b32 v3, 0, v0, s0
	v_dual_cndmask_b32 v1, v1, v2 :: v_dual_cndmask_b32 v0, v0, v3
	s_clause 0x1
	scratch_store_b64 off, v[0:1], s32 offset:1092
	scratch_load_b64 v[0:1], off, s32 offset:1164 th:TH_LOAD_LU
	s_wait_loadcnt 0x0
	v_pk_mul_f32 v[0:1], v[16:17], v[0:1] op_sel_hi:[0,1]
	s_delay_alu instid0(VALU_DEP_1) | instskip(NEXT) | instid1(VALU_DEP_1)
	v_dual_cndmask_b32 v2, 0, v1, s3 :: v_dual_cndmask_b32 v3, 0, v0, s2
	v_dual_cndmask_b32 v87, v1, v2 :: v_dual_cndmask_b32 v86, v0, v3
	scratch_load_b64 v[0:1], off, s32 offset:1140 th:TH_LOAD_LU ; 8-byte Folded Reload
	s_wait_loadcnt 0x0
	v_pk_mul_f32 v[0:1], v[16:17], v[0:1] op_sel_hi:[0,1]
	s_delay_alu instid0(VALU_DEP_1) | instskip(NEXT) | instid1(VALU_DEP_1)
	v_dual_cndmask_b32 v2, 0, v1, s1 :: v_dual_cndmask_b32 v3, 0, v0, s0
	v_dual_cndmask_b32 v63, v1, v2 :: v_dual_cndmask_b32 v62, v0, v3
	scratch_load_b64 v[0:1], off, s32 offset:1132 th:TH_LOAD_LU ; 8-byte Folded Reload
	s_wait_loadcnt 0x0
	v_pk_mul_f32 v[0:1], v[16:17], v[0:1] op_sel_hi:[0,1]
	s_delay_alu instid0(VALU_DEP_1) | instskip(NEXT) | instid1(VALU_DEP_1)
	v_dual_cndmask_b32 v2, 0, v1, s3 :: v_dual_cndmask_b32 v3, 0, v0, s2
	v_dual_cndmask_b32 v41, v1, v2 :: v_dual_cndmask_b32 v40, v0, v3
	scratch_load_b64 v[0:1], off, s32 offset:1108 th:TH_LOAD_LU ; 8-byte Folded Reload
	;; [unrolled: 6-line block ×25, first 2 shown]
	s_wait_loadcnt 0x0
	v_pk_mul_f32 v[0:1], v[16:17], v[0:1] op_sel_hi:[0,1]
	s_delay_alu instid0(VALU_DEP_1) | instskip(NEXT) | instid1(VALU_DEP_1)
	v_dual_cndmask_b32 v2, 0, v1, s3 :: v_dual_cndmask_b32 v3, 0, v0, s2
	v_dual_cndmask_b32 v31, v1, v2 :: v_dual_cndmask_b32 v30, v0, v3
	v_pk_mul_f32 v[0:1], v[16:17], v[24:25] op_sel_hi:[0,1]
	s_delay_alu instid0(VALU_DEP_1) | instskip(NEXT) | instid1(VALU_DEP_1)
	v_dual_cndmask_b32 v2, 0, v1, s1 :: v_dual_cndmask_b32 v3, 0, v0, s0
	v_dual_cndmask_b32 v53, v1, v2 :: v_dual_cndmask_b32 v52, v0, v3
	scratch_load_b64 v[0:1], off, s32 offset:716 th:TH_LOAD_LU ; 8-byte Folded Reload
	s_wait_loadcnt 0x0
	v_pk_mul_f32 v[0:1], v[16:17], v[0:1] op_sel_hi:[0,1]
	s_delay_alu instid0(VALU_DEP_1) | instskip(NEXT) | instid1(VALU_DEP_1)
	v_dual_cndmask_b32 v2, 0, v1, s3 :: v_dual_cndmask_b32 v3, 0, v0, s2
	v_dual_cndmask_b32 v25, v1, v2 :: v_dual_cndmask_b32 v24, v0, v3
	v_pk_mul_f32 v[0:1], v[16:17], v[22:23] op_sel_hi:[0,1]
	s_delay_alu instid0(VALU_DEP_1) | instskip(NEXT) | instid1(VALU_DEP_1)
	v_dual_cndmask_b32 v2, 0, v1, s1 :: v_dual_cndmask_b32 v3, 0, v0, s0
	v_dual_cndmask_b32 v71, v1, v2 :: v_dual_cndmask_b32 v70, v0, v3
	scratch_load_b64 v[0:1], off, s32 offset:684 th:TH_LOAD_LU ; 8-byte Folded Reload
	s_wait_loadcnt 0x0
	v_pk_mul_f32 v[0:1], v[16:17], v[0:1] op_sel_hi:[0,1]
	s_delay_alu instid0(VALU_DEP_1) | instskip(NEXT) | instid1(VALU_DEP_1)
	v_dual_cndmask_b32 v2, 0, v1, s3 :: v_dual_cndmask_b32 v3, 0, v0, s2
	v_dual_cndmask_b32 v23, v1, v2 :: v_dual_cndmask_b32 v22, v0, v3
	scratch_load_b64 v[0:1], off, s32 offset:660 th:TH_LOAD_LU ; 8-byte Folded Reload
	s_wait_loadcnt 0x0
	;; [unrolled: 6-line block ×3, first 2 shown]
	v_pk_mul_f32 v[0:1], v[16:17], v[0:1] op_sel_hi:[0,1]
	s_delay_alu instid0(VALU_DEP_1) | instskip(NEXT) | instid1(VALU_DEP_1)
	v_dual_cndmask_b32 v2, 0, v1, s3 :: v_dual_cndmask_b32 v3, 0, v0, s2
	v_dual_cndmask_b32 v19, v1, v2 :: v_dual_cndmask_b32 v18, v0, v3
	v_pk_mul_f32 v[0:1], v[16:17], v[34:35] op_sel_hi:[0,1]
	s_delay_alu instid0(VALU_DEP_1) | instskip(NEXT) | instid1(VALU_DEP_1)
	v_dual_cndmask_b32 v2, 0, v1, s1 :: v_dual_cndmask_b32 v3, 0, v0, s0
	v_dual_cndmask_b32 v35, v1, v2 :: v_dual_cndmask_b32 v34, v0, v3
	scratch_load_b64 v[0:1], off, s32 offset:620 th:TH_LOAD_LU ; 8-byte Folded Reload
	s_wait_loadcnt 0x0
	v_pk_mul_f32 v[0:1], v[16:17], v[0:1] op_sel_hi:[0,1]
	s_delay_alu instid0(VALU_DEP_1) | instskip(NEXT) | instid1(VALU_DEP_1)
	v_dual_cndmask_b32 v2, 0, v1, s3 :: v_dual_cndmask_b32 v3, 0, v0, s2
	v_dual_cndmask_b32 v15, v1, v2 :: v_dual_cndmask_b32 v14, v0, v3
	v_pk_mul_f32 v[0:1], v[16:17], v[10:11] op_sel_hi:[0,1]
	s_delay_alu instid0(VALU_DEP_1) | instskip(NEXT) | instid1(VALU_DEP_1)
	v_dual_cndmask_b32 v2, 0, v1, s1 :: v_dual_cndmask_b32 v3, 0, v0, s0
	v_dual_cndmask_b32 v21, v1, v2 :: v_dual_cndmask_b32 v20, v0, v3
	scratch_load_b64 v[0:1], off, s32 offset:588 th:TH_LOAD_LU ; 8-byte Folded Reload
	s_wait_loadcnt 0x0
	v_pk_mul_f32 v[0:1], v[16:17], v[0:1] op_sel_hi:[0,1]
	s_delay_alu instid0(VALU_DEP_1) | instskip(NEXT) | instid1(VALU_DEP_1)
	v_dual_cndmask_b32 v2, 0, v1, s3 :: v_dual_cndmask_b32 v3, 0, v0, s2
	v_dual_cndmask_b32 v11, v1, v2 :: v_dual_cndmask_b32 v10, v0, v3
	scratch_load_b64 v[0:1], off, s32 offset:564 th:TH_LOAD_LU ; 8-byte Folded Reload
	s_wait_loadcnt 0x0
	;; [unrolled: 6-line block ×3, first 2 shown]
	v_pk_mul_f32 v[0:1], v[16:17], v[0:1] op_sel_hi:[0,1]
	s_delay_alu instid0(VALU_DEP_1) | instskip(NEXT) | instid1(VALU_DEP_1)
	v_dual_cndmask_b32 v2, 0, v1, s3 :: v_dual_cndmask_b32 v3, 0, v0, s2
	v_dual_cndmask_b32 v7, v1, v2 :: v_dual_cndmask_b32 v6, v0, v3
	v_pk_mul_f32 v[0:1], v[16:17], v[12:13] op_sel_hi:[0,1]
	s_delay_alu instid0(VALU_DEP_1) | instskip(NEXT) | instid1(VALU_DEP_1)
	v_dual_cndmask_b32 v2, 0, v1, s1 :: v_dual_cndmask_b32 v3, 0, v0, s0
	v_dual_cndmask_b32 v13, v1, v2 :: v_dual_cndmask_b32 v12, v0, v3
	;; [unrolled: 4-line block ×5, first 2 shown]
	scratch_load_b64 v[0:1], off, s32 offset:428 th:TH_LOAD_LU ; 8-byte Folded Reload
	v_pk_mul_f32 v[26:27], v[16:17], v[66:67] op_sel_hi:[0,1]
	s_delay_alu instid0(VALU_DEP_1) | instskip(NEXT) | instid1(VALU_DEP_1)
	v_dual_cndmask_b32 v66, 0, v27, s1 :: v_dual_cndmask_b32 v67, 0, v26, s0
	v_dual_cndmask_b32 v73, v27, v66 :: v_dual_cndmask_b32 v72, v26, v67
	v_pk_mul_f32 v[26:27], v[16:17], v[96:97] op_sel_hi:[0,1]
	s_delay_alu instid0(VALU_DEP_1) | instskip(NEXT) | instid1(VALU_DEP_1)
	v_dual_cndmask_b32 v66, 0, v27, s3 :: v_dual_cndmask_b32 v67, 0, v26, s2
	v_dual_cndmask_b32 v97, v27, v66 :: v_dual_cndmask_b32 v96, v26, v67
	;; [unrolled: 4-line block ×3, first 2 shown]
	s_wait_loadcnt 0x0
	v_pk_mul_f32 v[26:27], v[16:17], v[0:1] op_sel_hi:[0,1]
	s_delay_alu instid0(VALU_DEP_1) | instskip(NEXT) | instid1(VALU_DEP_1)
	v_dual_cndmask_b32 v66, 0, v27, s3 :: v_dual_cndmask_b32 v67, 0, v26, s2
	v_dual_cndmask_b32 v83, v27, v66 :: v_dual_cndmask_b32 v82, v26, v67
	v_pk_mul_f32 v[26:27], v[16:17], v[28:29] op_sel_hi:[0,1]
	s_delay_alu instid0(VALU_DEP_1) | instskip(NEXT) | instid1(VALU_DEP_1)
	v_dual_cndmask_b32 v66, 0, v27, s1 :: v_dual_cndmask_b32 v90, 0, v26, s0
	v_cndmask_b32_e32 v67, v27, v66, vcc_lo
	s_delay_alu instid0(VALU_DEP_2) | instskip(SKIP_1) | instid1(VALU_DEP_1)
	v_cndmask_b32_e32 v66, v26, v90, vcc_lo
	v_pk_mul_f32 v[26:27], v[16:17], v[50:51] op_sel_hi:[0,1]
	v_dual_cndmask_b32 v90, 0, v27, s3 :: v_dual_cndmask_b32 v91, 0, v26, s2
	s_delay_alu instid0(VALU_DEP_1)
	v_dual_cndmask_b32 v51, v27, v90 :: v_dual_cndmask_b32 v50, v26, v91
	scratch_load_b128 v[26:29], off, s32 offset:2108 th:TH_LOAD_LU ; 16-byte Folded Reload
	s_wait_loadcnt 0x0
	v_pk_mul_f32 v[90:91], v[26:27], v[56:57]
	scratch_load_b64 v[56:57], off, s32 offset:380 th:TH_LOAD_LU ; 8-byte Folded Reload
	v_pk_mul_f32 v[76:77], v[26:27], v[76:77]
	v_pk_mul_f32 v[44:45], v[26:27], v[44:45]
	;; [unrolled: 1-line block ×3, first 2 shown]
	v_add_f32_e32 v0, v90, v91
	v_pk_mul_f32 v[48:49], v[26:27], v[48:49]
	v_pk_mul_f32 v[36:37], v[26:27], v[36:37]
	;; [unrolled: 1-line block ×11, first 2 shown]
	s_wait_loadcnt 0x0
	v_pk_mul_f32 v[90:91], v[28:29], v[56:57]
	s_delay_alu instid0(VALU_DEP_1) | instskip(NEXT) | instid1(VALU_DEP_1)
	v_add_f32_e32 v0, v90, v0
	v_add_f32_e32 v0, v91, v0
	v_pk_mul_f32 v[90:91], v[26:27], v[118:119]
	s_clause 0x1
	scratch_load_b64 v[118:119], off, s32 offset:388 th:TH_LOAD_LU
	scratch_store_b32 off, v0, s32 offset:380
	s_wait_xcnt 0x0
	v_add_f32_e32 v0, v90, v91
	s_wait_loadcnt 0x0
	v_pk_mul_f32 v[90:91], v[28:29], v[118:119]
	scratch_load_b64 v[118:119], off, s32 offset:396 th:TH_LOAD_LU ; 8-byte Folded Reload
	v_add_f32_e32 v0, v90, v0
	s_delay_alu instid0(VALU_DEP_1)
	v_add_f32_e32 v0, v91, v0
	s_clause 0x1
	scratch_store_b32 off, v0, s32 offset:388
	scratch_load_b64 v[0:1], off, s32 offset:412 th:TH_LOAD_LU
	s_wait_loadcnt 0x0
	v_pk_mul_f32 v[90:91], v[26:27], v[0:1]
	s_delay_alu instid0(VALU_DEP_1) | instskip(SKIP_3) | instid1(VALU_DEP_1)
	v_add_f32_e32 v0, v90, v91
	v_pk_mul_f32 v[90:91], v[28:29], v[118:119]
	scratch_load_b64 v[118:119], off, s32 offset:404 th:TH_LOAD_LU ; 8-byte Folded Reload
	v_add_f32_e32 v0, v90, v0
	v_add_f32_e32 v0, v91, v0
	s_clause 0x1
	scratch_store_b32 off, v0, s32 offset:396
	scratch_load_b64 v[0:1], off, s32 offset:436 th:TH_LOAD_LU
	s_wait_loadcnt 0x0
	v_pk_mul_f32 v[90:91], v[26:27], v[0:1]
	s_delay_alu instid0(VALU_DEP_1) | instskip(SKIP_3) | instid1(VALU_DEP_1)
	v_add_f32_e32 v0, v90, v91
	v_pk_mul_f32 v[90:91], v[28:29], v[118:119]
	scratch_load_b64 v[118:119], off, s32 offset:420 th:TH_LOAD_LU ; 8-byte Folded Reload
	v_add_f32_e32 v0, v90, v0
	;; [unrolled: 11-line block ×16, first 2 shown]
	v_add_f32_e32 v0, v91, v0
	v_pk_mul_f32 v[90:91], v[26:27], v[108:109]
	scratch_store_b32 off, v0, s32 offset:516 ; 4-byte Folded Spill
	s_wait_xcnt 0x0
	v_add_f32_e32 v0, v90, v91
	s_wait_loadcnt 0x0
	v_pk_mul_f32 v[90:91], v[28:29], v[118:119]
	scratch_load_b64 v[118:119], off, s32 offset:732 th:TH_LOAD_LU ; 8-byte Folded Reload
	v_add_f32_e32 v0, v90, v0
	s_delay_alu instid0(VALU_DEP_1) | instskip(SKIP_3) | instid1(VALU_DEP_1)
	v_add_f32_e32 v108, v91, v0
	scratch_load_b64 v[0:1], off, s32 offset:740 th:TH_LOAD_LU ; 8-byte Folded Reload
	s_wait_loadcnt 0x0
	v_pk_mul_f32 v[90:91], v[26:27], v[0:1]
	v_add_f32_e32 v0, v90, v91
	v_pk_mul_f32 v[90:91], v[28:29], v[118:119]
	scratch_load_b64 v[118:119], off, s32 offset:764 th:TH_LOAD_LU ; 8-byte Folded Reload
	v_add_f32_e32 v0, v90, v0
	s_delay_alu instid0(VALU_DEP_1) | instskip(SKIP_3) | instid1(VALU_DEP_1)
	v_add_f32_e32 v17, v91, v0
	scratch_load_b64 v[0:1], off, s32 offset:772 th:TH_LOAD_LU ; 8-byte Folded Reload
	s_wait_loadcnt 0x0
	v_pk_mul_f32 v[90:91], v[26:27], v[0:1]
	v_add_f32_e32 v0, v90, v91
	;; [unrolled: 9-line block ×3, first 2 shown]
	v_pk_mul_f32 v[90:91], v[28:29], v[118:119]
	s_delay_alu instid0(VALU_DEP_1) | instskip(NEXT) | instid1(VALU_DEP_1)
	v_add_f32_e32 v0, v90, v0
	v_add_f32_e32 v118, v91, v0
	scratch_load_b64 v[0:1], off, s32 offset:836 th:TH_LOAD_LU ; 8-byte Folded Reload
	s_wait_loadcnt 0x0
	v_pk_mul_f32 v[90:91], v[26:27], v[0:1]
	s_delay_alu instid0(VALU_DEP_1) | instskip(SKIP_3) | instid1(VALU_DEP_1)
	v_add_f32_e32 v0, v90, v91
	scratch_load_b64 v[90:91], off, s32 offset:828 th:TH_LOAD_LU ; 8-byte Folded Reload
	s_wait_loadcnt 0x0
	v_pk_mul_f32 v[90:91], v[28:29], v[90:91]
	v_add_f32_e32 v0, v90, v0
	s_delay_alu instid0(VALU_DEP_1) | instskip(SKIP_3) | instid1(VALU_DEP_1)
	v_add_f32_e32 v109, v91, v0
	scratch_load_b64 v[0:1], off, s32 offset:868 th:TH_LOAD_LU ; 8-byte Folded Reload
	s_wait_loadcnt 0x0
	v_pk_mul_f32 v[90:91], v[26:27], v[0:1]
	v_add_f32_e32 v0, v90, v91
	scratch_load_b64 v[90:91], off, s32 offset:860 th:TH_LOAD_LU ; 8-byte Folded Reload
	s_wait_loadcnt 0x0
	v_pk_mul_f32 v[90:91], v[28:29], v[90:91]
	s_delay_alu instid0(VALU_DEP_1) | instskip(NEXT) | instid1(VALU_DEP_1)
	v_add_f32_e32 v0, v90, v0
	v_add_f32_e32 v57, v91, v0
	v_pk_mul_f32 v[90:91], v[26:27], v[114:115]
	scratch_load_b64 v[114:115], off, s32 offset:900 th:TH_LOAD_LU ; 8-byte Folded Reload
	v_add_f32_e32 v0, v90, v91
	s_wait_loadcnt 0x0
	v_pk_mul_f32 v[90:91], v[28:29], v[114:115]
	s_delay_alu instid0(VALU_DEP_1) | instskip(NEXT) | instid1(VALU_DEP_1)
	v_add_f32_e32 v0, v90, v0
	v_add_f32_e32 v114, v91, v0
	scratch_load_b64 v[0:1], off, s32 offset:932 th:TH_LOAD_LU ; 8-byte Folded Reload
	s_wait_loadcnt 0x0
	v_pk_mul_f32 v[90:91], v[26:27], v[0:1]
	s_delay_alu instid0(VALU_DEP_1) | instskip(SKIP_3) | instid1(VALU_DEP_1)
	v_add_f32_e32 v0, v90, v91
	scratch_load_b64 v[90:91], off, s32 offset:892 th:TH_LOAD_LU ; 8-byte Folded Reload
	s_wait_loadcnt 0x0
	v_pk_mul_f32 v[90:91], v[28:29], v[90:91]
	v_add_f32_e32 v0, v90, v0
	s_delay_alu instid0(VALU_DEP_1) | instskip(SKIP_3) | instid1(VALU_DEP_1)
	v_add_f32_e32 v115, v91, v0
	scratch_load_b64 v[0:1], off, s32 offset:964 th:TH_LOAD_LU ; 8-byte Folded Reload
	s_wait_loadcnt 0x0
	v_pk_mul_f32 v[90:91], v[26:27], v[0:1]
	v_add_f32_e32 v0, v90, v91
	scratch_load_b64 v[90:91], off, s32 offset:924 th:TH_LOAD_LU ; 8-byte Folded Reload
	s_wait_loadcnt 0x0
	v_pk_mul_f32 v[90:91], v[28:29], v[90:91]
	s_delay_alu instid0(VALU_DEP_1) | instskip(NEXT) | instid1(VALU_DEP_1)
	v_add_f32_e32 v0, v90, v0
	v_dual_add_f32 v90, v91, v0 :: v_dual_add_f32 v0, v76, v77
	scratch_load_b64 v[76:77], off, s32 offset:956 th:TH_LOAD_LU ; 8-byte Folded Reload
	s_wait_loadcnt 0x0
	v_pk_mul_f32 v[76:77], v[28:29], v[76:77]
	s_delay_alu instid0(VALU_DEP_1) | instskip(NEXT) | instid1(VALU_DEP_1)
	v_add_f32_e32 v0, v76, v0
	v_dual_add_f32 v76, v77, v0 :: v_dual_add_f32 v0, v44, v45
	;; [unrolled: 6-line block ×4, first 2 shown]
	scratch_load_b64 v[48:49], off, s32 offset:1020 th:TH_LOAD_LU ; 8-byte Folded Reload
	s_wait_loadcnt 0x0
	v_pk_mul_f32 v[48:49], v[28:29], v[48:49]
	s_delay_alu instid0(VALU_DEP_1) | instskip(NEXT) | instid1(VALU_DEP_1)
	v_add_f32_e32 v0, v48, v0
	v_add_f32_e32 v55, v49, v0
	scratch_load_b64 v[0:1], off, s32 offset:1060 th:TH_LOAD_LU ; 8-byte Folded Reload
	s_wait_loadcnt 0x0
	v_pk_mul_f32 v[48:49], v[26:27], v[0:1]
	s_delay_alu instid0(VALU_DEP_1) | instskip(SKIP_3) | instid1(VALU_DEP_1)
	v_add_f32_e32 v0, v48, v49
	scratch_load_b64 v[48:49], off, s32 offset:1028 th:TH_LOAD_LU ; 8-byte Folded Reload
	s_wait_loadcnt 0x0
	v_pk_mul_f32 v[48:49], v[28:29], v[48:49]
	v_add_f32_e32 v0, v48, v0
	s_delay_alu instid0(VALU_DEP_1) | instskip(SKIP_1) | instid1(VALU_DEP_1)
	v_add_f32_e32 v45, v49, v0
	v_pk_mul_f32 v[48:49], v[26:27], v[60:61]
	v_add_f32_e32 v0, v48, v49
	scratch_load_b64 v[48:49], off, s32 offset:1052 th:TH_LOAD_LU ; 8-byte Folded Reload
	s_wait_loadcnt 0x0
	v_pk_mul_f32 v[48:49], v[28:29], v[48:49]
	s_delay_alu instid0(VALU_DEP_1) | instskip(NEXT) | instid1(VALU_DEP_1)
	v_add_f32_e32 v0, v48, v0
	v_add_f32_e32 v60, v49, v0
	v_pk_mul_f32 v[48:49], v[26:27], v[38:39]
	scratch_load_b64 v[38:39], off, s32 offset:1084 th:TH_LOAD_LU ; 8-byte Folded Reload
	v_add_f32_e32 v0, v48, v49
	s_wait_loadcnt 0x0
	v_pk_mul_f32 v[38:39], v[28:29], v[38:39]
	s_delay_alu instid0(VALU_DEP_1) | instskip(NEXT) | instid1(VALU_DEP_1)
	v_add_f32_e32 v0, v38, v0
	v_add_f32_e32 v48, v39, v0
	v_pk_mul_f32 v[38:39], v[26:27], v[86:87]
	s_delay_alu instid0(VALU_DEP_1) | instskip(SKIP_3) | instid1(VALU_DEP_1)
	v_add_f32_e32 v0, v38, v39
	scratch_load_b64 v[38:39], off, s32 offset:1092 th:TH_LOAD_LU ; 8-byte Folded Reload
	s_wait_loadcnt 0x0
	v_pk_mul_f32 v[38:39], v[28:29], v[38:39]
	v_add_f32_e32 v0, v38, v0
	s_delay_alu instid0(VALU_DEP_1) | instskip(SKIP_1) | instid1(VALU_DEP_1)
	v_add_f32_e32 v49, v39, v0
	v_pk_mul_f32 v[38:39], v[26:27], v[40:41]
	v_add_f32_e32 v0, v38, v39
	v_pk_mul_f32 v[38:39], v[28:29], v[62:63]
	s_delay_alu instid0(VALU_DEP_1) | instskip(NEXT) | instid1(VALU_DEP_1)
	v_add_f32_e32 v0, v38, v0
	v_add_f32_e32 v86, v39, v0
	v_pk_mul_f32 v[38:39], v[26:27], v[74:75]
	s_delay_alu instid0(VALU_DEP_1) | instskip(SKIP_1) | instid1(VALU_DEP_1)
	v_add_f32_e32 v0, v38, v39
	v_pk_mul_f32 v[38:39], v[28:29], v[88:89]
	v_add_f32_e32 v0, v38, v0
	s_delay_alu instid0(VALU_DEP_1) | instskip(SKIP_1) | instid1(VALU_DEP_1)
	v_dual_add_f32 v38, v39, v0 :: v_dual_add_f32 v0, v36, v37
	v_pk_mul_f32 v[36:37], v[28:29], v[102:103]
	v_add_f32_e32 v0, v36, v0
	s_delay_alu instid0(VALU_DEP_1) | instskip(SKIP_1) | instid1(VALU_DEP_1)
	v_add_f32_e32 v39, v37, v0
	v_pk_mul_f32 v[36:37], v[26:27], v[122:123]
	v_add_f32_e32 v0, v36, v37
	v_pk_mul_f32 v[36:37], v[28:29], v[68:69]
	s_delay_alu instid0(VALU_DEP_1) | instskip(NEXT) | instid1(VALU_DEP_1)
	v_add_f32_e32 v0, v36, v0
	v_add_f32_e32 v68, v37, v0
	v_pk_mul_f32 v[36:37], v[26:27], v[126:127]
	s_delay_alu instid0(VALU_DEP_1) | instskip(NEXT) | instid1(VALU_DEP_1)
	v_add_f32_e32 v0, v36, v37
	v_add_f32_e32 v0, v32, v0
	s_delay_alu instid0(VALU_DEP_1) | instskip(SKIP_1) | instid1(VALU_DEP_1)
	v_add_f32_e32 v36, v33, v0
	v_pk_mul_f32 v[32:33], v[26:27], v[120:121]
	v_add_f32_e32 v0, v32, v33
	v_pk_mul_f32 v[32:33], v[28:29], v[110:111]
	s_delay_alu instid0(VALU_DEP_1) | instskip(NEXT) | instid1(VALU_DEP_1)
	v_add_f32_e32 v0, v32, v0
	v_add_f32_e32 v37, v33, v0
	v_pk_mul_f32 v[32:33], v[26:27], v[94:95]
	s_delay_alu instid0(VALU_DEP_1) | instskip(SKIP_1) | instid1(VALU_DEP_1)
	v_add_f32_e32 v0, v32, v33
	v_pk_mul_f32 v[32:33], v[28:29], v[124:125]
	v_add_f32_e32 v0, v32, v0
	s_delay_alu instid0(VALU_DEP_1) | instskip(SKIP_1) | instid1(VALU_DEP_1)
	v_add_f32_e32 v69, v33, v0
	v_pk_mul_f32 v[32:33], v[26:27], v[78:79]
	v_add_f32_e32 v0, v32, v33
	v_pk_mul_f32 v[32:33], v[28:29], v[106:107]
	s_delay_alu instid0(VALU_DEP_1) | instskip(NEXT) | instid1(VALU_DEP_1)
	v_add_f32_e32 v0, v32, v0
	v_add_f32_e32 v87, v33, v0
	v_pk_mul_f32 v[32:33], v[26:27], v[46:47]
	s_delay_alu instid0(VALU_DEP_1) | instskip(SKIP_1) | instid1(VALU_DEP_1)
	v_add_f32_e32 v0, v32, v33
	v_pk_mul_f32 v[32:33], v[28:29], v[92:93]
	;; [unrolled: 13-line block ×3, first 2 shown]
	v_add_f32_e32 v0, v32, v0
	s_delay_alu instid0(VALU_DEP_1) | instskip(SKIP_1) | instid1(VALU_DEP_1)
	v_add_f32_e32 v84, v33, v0
	v_pk_mul_f32 v[32:33], v[26:27], v[64:65]
	v_add_f32_e32 v0, v32, v33
	v_pk_mul_f32 v[32:33], v[28:29], v[98:99]
	s_delay_alu instid0(VALU_DEP_1) | instskip(NEXT) | instid1(VALU_DEP_1)
	v_add_f32_e32 v0, v32, v0
	v_dual_add_f32 v32, v33, v0 :: v_dual_add_f32 v0, v30, v31
	v_pk_mul_f32 v[30:31], v[28:29], v[80:81]
	s_delay_alu instid0(VALU_DEP_1) | instskip(NEXT) | instid1(VALU_DEP_1)
	v_add_f32_e32 v0, v30, v0
	v_dual_add_f32 v30, v31, v0 :: v_dual_add_f32 v0, v24, v25
	;; [unrolled: 4-line block ×8, first 2 shown]
	v_pk_mul_f32 v[2:3], v[28:29], v[12:13]
	s_delay_alu instid0(VALU_DEP_1) | instskip(NEXT) | instid1(VALU_DEP_1)
	v_add_f32_e32 v0, v2, v0
	v_add_f32_e32 v2, v3, v0
	v_pk_mul_f32 v[0:1], v[26:27], v[4:5]
	s_delay_alu instid0(VALU_DEP_1) | instskip(SKIP_1) | instid1(VALU_DEP_1)
	v_add_f32_e32 v3, v0, v1
	v_pk_mul_f32 v[0:1], v[28:29], v[8:9]
	v_add_f32_e32 v0, v0, v3
	s_delay_alu instid0(VALU_DEP_1)
	v_add_f32_e32 v0, v1, v0
	s_clause 0x1
	scratch_load_b64 v[34:35], off, s32 offset:1828 th:TH_LOAD_LU
	scratch_load_b32 v1, off, s32 offset:380 th:TH_LOAD_LU
	s_wait_loadcnt 0x0
	v_add_f32_e32 v34, v34, v1
	s_clause 0x1
	scratch_load_b64 v[4:5], off, s32 offset:1836 th:TH_LOAD_LU
	scratch_load_b32 v1, off, s32 offset:388 th:TH_LOAD_LU
	s_wait_loadcnt 0x0
	v_add_f32_e32 v5, v5, v1
	scratch_load_b32 v1, off, s32 offset:396 th:TH_LOAD_LU ; 4-byte Folded Reload
	s_wait_loadcnt 0x0
	v_add_f32_e32 v4, v4, v1
	s_clause 0x2
	scratch_store_b64 off, v[4:5], s32 offset:1836
	scratch_load_b64 v[4:5], off, s32 offset:1844 th:TH_LOAD_LU
	scratch_load_b32 v1, off, s32 offset:404 th:TH_LOAD_LU
	s_wait_loadcnt 0x0
	v_add_f32_e32 v5, v5, v1
	scratch_load_b32 v1, off, s32 offset:412 th:TH_LOAD_LU ; 4-byte Folded Reload
	s_wait_loadcnt 0x0
	v_add_f32_e32 v4, v4, v1
	s_clause 0x2
	scratch_store_b64 off, v[4:5], s32 offset:1844
	;; [unrolled: 9-line block ×8, first 2 shown]
	scratch_load_b64 v[4:5], off, s32 offset:1900 th:TH_LOAD_LU
	scratch_load_b32 v1, off, s32 offset:516 th:TH_LOAD_LU
	s_wait_loadcnt 0x0
	v_dual_add_f32 v4, v4, v108 :: v_dual_add_f32 v5, v5, v1
	s_clause 0x1
	scratch_store_b64 off, v[4:5], s32 offset:1900
	scratch_load_b64 v[4:5], off, s32 offset:1908 th:TH_LOAD_LU
	s_wait_loadcnt 0x0
	v_dual_add_f32 v5, v5, v17 :: v_dual_add_f32 v4, v4, v56
	s_clause 0x1
	scratch_store_b64 off, v[4:5], s32 offset:1908
	scratch_load_b64 v[4:5], off, s32 offset:1916 th:TH_LOAD_LU
	;; [unrolled: 5-line block ×5, first 2 shown]
	s_wait_loadcnt 0x0
	v_add_f32_e32 v5, v5, v76
	v_add_f32_e32 v4, v4, v44
	s_clause 0x1
	scratch_store_b64 off, v[4:5], s32 offset:1940
	scratch_load_b64 v[4:5], off, s32 offset:1948 th:TH_LOAD_LU
	s_wait_loadcnt 0x0
	v_dual_add_f32 v5, v5, v54 :: v_dual_add_f32 v4, v4, v55
	s_clause 0x1
	scratch_store_b64 off, v[4:5], s32 offset:1948
	scratch_load_b64 v[4:5], off, s32 offset:1956 th:TH_LOAD_LU
	s_wait_loadcnt 0x0
	v_dual_add_f32 v5, v5, v45 :: v_dual_add_f32 v4, v4, v60
	;; [unrolled: 5-line block ×3, first 2 shown]
	s_clause 0x1
	scratch_store_b64 off, v[4:5], s32 offset:1964
	scratch_load_b64 v[4:5], off, s32 offset:1972 th:TH_LOAD_LU
	s_wait_loadcnt 0x0
	v_add_f32_e32 v5, v5, v86
	v_add_f32_e32 v4, v4, v38
	s_clause 0x1
	scratch_store_b64 off, v[4:5], s32 offset:1972
	scratch_load_b64 v[4:5], off, s32 offset:1980 th:TH_LOAD_LU
	s_wait_loadcnt 0x0
	v_dual_add_f32 v5, v5, v39 :: v_dual_add_f32 v4, v4, v68
	s_clause 0x1
	scratch_store_b64 off, v[4:5], s32 offset:1980
	scratch_load_b64 v[4:5], off, s32 offset:1988 th:TH_LOAD_LU
	s_wait_loadcnt 0x0
	v_dual_add_f32 v5, v5, v36 :: v_dual_add_f32 v4, v4, v37
	;; [unrolled: 5-line block ×4, first 2 shown]
	s_clause 0x1
	scratch_store_b64 off, v[4:5], s32 offset:2004
	scratch_load_b64 v[4:5], off, s32 offset:2012 th:TH_LOAD_LU
	s_wait_loadcnt 0x0
	v_add_f32_e32 v5, v5, v84
	v_add_f32_e32 v4, v4, v32
	s_clause 0x1
	scratch_store_b64 off, v[4:5], s32 offset:2012
	scratch_load_b64 v[4:5], off, s32 offset:2020 th:TH_LOAD_LU
	s_wait_loadcnt 0x0
	v_dual_add_f32 v5, v5, v30 :: v_dual_add_f32 v4, v4, v24
	s_clause 0x4
	scratch_store_b64 off, v[4:5], s32 offset:2020
	scratch_load_b64 v[126:127], off, s32 offset:244
	scratch_load_b64 v[4:5], off, s32 offset:2028 th:TH_LOAD_LU
	scratch_load_b64 v[12:13], off, s32 offset:2068 th:TH_LOAD_LU
	;; [unrolled: 1-line block ×3, first 2 shown]
	s_wait_loadcnt 0x2
	v_add_f32_e32 v5, v5, v22
	v_add_f32_e32 v4, v4, v18
	s_wait_loadcnt 0x0
	v_pk_mul_f32 v[8:9], v[16:17], v[8:9] op_sel_hi:[0,1]
	s_clause 0x1
	scratch_store_b64 off, v[4:5], s32 offset:2028
	scratch_load_b64 v[4:5], off, s32 offset:2036 th:TH_LOAD_LU
	s_wait_loadcnt 0x0
	v_add_f32_e32 v5, v5, v14
	v_add_f32_e32 v4, v4, v10
	s_clause 0x2
	scratch_load_b64 v[10:11], off, s32 offset:2052 th:TH_LOAD_LU
	scratch_store_b64 off, v[4:5], s32 offset:2036
	scratch_load_b64 v[4:5], off, s32 offset:2044 th:TH_LOAD_LU
	s_wait_loadcnt 0x1
	v_add_f32_e32 v11, v11, v0
	v_pk_mul_f32 v[0:1], v[26:27], v[96:97]
	s_wait_loadcnt 0x0
	v_add_f32_e32 v5, v5, v6
	v_add_f32_e32 v4, v4, v2
	v_pk_mul_f32 v[2:3], v[28:29], v[100:101]
	scratch_store_b64 off, v[4:5], s32 offset:2044 ; 8-byte Folded Spill
	s_wait_xcnt 0x0
	v_add_f32_e32 v4, v0, v1
	v_pk_mul_f32 v[0:1], v[26:27], v[82:83]
	s_delay_alu instid0(VALU_DEP_1) | instskip(SKIP_1) | instid1(VALU_DEP_1)
	v_add_f32_e32 v5, v0, v1
	v_pk_mul_f32 v[0:1], v[26:27], v[50:51]
	v_add_f32_e32 v6, v0, v1
	v_pk_mul_f32 v[0:1], v[28:29], v[72:73]
	s_delay_alu instid0(VALU_DEP_1) | instskip(SKIP_1) | instid1(VALU_DEP_2)
	v_dual_add_f32 v2, v2, v5 :: v_dual_add_f32 v0, v0, v4
	v_pk_mul_f32 v[4:5], v[28:29], v[66:67]
	v_dual_add_f32 v2, v3, v2 :: v_dual_add_f32 v7, v1, v0
	scratch_load_b64 v[0:1], off, s32 offset:372 th:TH_LOAD_LU ; 8-byte Folded Reload
	v_add_f32_e32 v3, v4, v6
	v_dual_add_f32 v13, v13, v2 :: v_dual_cndmask_b32 v6, 0, v9, s3
	s_delay_alu instid0(VALU_DEP_2) | instskip(NEXT) | instid1(VALU_DEP_2)
	v_add_f32_e32 v2, v5, v3
	v_cndmask_b32_e32 v9, v9, v6, vcc_lo
	s_delay_alu instid0(VALU_DEP_2) | instskip(SKIP_2) | instid1(VALU_DEP_1)
	v_add_f32_e32 v12, v12, v2
	s_wait_loadcnt 0x0
	v_pk_mul_f32 v[0:1], v[16:17], v[0:1] op_sel_hi:[0,1]
	v_dual_cndmask_b32 v3, 0, v0, s0 :: v_dual_add_f32 v10, v10, v7
	s_delay_alu instid0(VALU_DEP_2)
	v_cndmask_b32_e64 v4, 0, v1, s1
	scratch_store_b64 off, v[10:11], s32 offset:2052 ; 8-byte Folded Spill
	v_cndmask_b32_e32 v1, v1, v4, vcc_lo
	s_clause 0x1
	scratch_load_b64 v[4:5], off, s32 offset:332 th:TH_LOAD_LU
	scratch_load_b64 v[6:7], off, s32 offset:340 th:TH_LOAD_LU
	s_wait_xcnt 0x2
	v_cndmask_b32_e64 v10, 0, v8, s2
	s_wait_loadcnt 0x0
	s_delay_alu instid0(VALU_DEP_1)
	v_dual_cndmask_b32 v8, v8, v10, vcc_lo :: v_dual_bitop2_b32 v5, v5, v7 bitop3:0x54
	v_or_b32_e32 v4, v4, v6
	s_clause 0x2
	scratch_load_b64 v[6:7], off, s32 offset:348 th:TH_LOAD_LU
	scratch_load_b64 v[14:15], off, s32 offset:356 th:TH_LOAD_LU
	scratch_store_b64 off, v[12:13], s32 offset:2068
	v_pk_mul_f32 v[4:5], v[16:17], v[4:5] op_sel_hi:[0,1]
	s_wait_xcnt 0x0
	s_delay_alu instid0(VALU_DEP_1) | instskip(NEXT) | instid1(VALU_DEP_2)
	v_dual_cndmask_b32 v0, v0, v3, vcc_lo :: v_dual_cndmask_b32 v12, 0, v4, s2
	v_cndmask_b32_e64 v13, 0, v5, s3
	s_delay_alu instid0(VALU_DEP_2) | instskip(SKIP_1) | instid1(VALU_DEP_2)
	v_pk_mul_f32 v[0:1], v[28:29], v[0:1]
	s_wait_loadcnt 0x0
	v_dual_cndmask_b32 v5, v5, v13, vcc_lo :: v_dual_bitop2_b32 v7, v7, v15 bitop3:0x54
	v_or_b32_e32 v6, v6, v14
	s_delay_alu instid0(VALU_DEP_1)
	v_pk_mul_f32 v[2:3], v[16:17], v[6:7] op_sel_hi:[0,1]
	v_pk_mul_f32 v[6:7], v[26:27], v[8:9]
	s_clause 0x3
	scratch_load_b64 v[8:9], off, s32 offset:300 th:TH_LOAD_LU
	scratch_load_b64 v[18:19], off, s32 offset:308 th:TH_LOAD_LU
	;; [unrolled: 1-line block ×4, first 2 shown]
	v_dual_cndmask_b32 v14, 0, v2, s0 :: v_dual_cndmask_b32 v15, 0, v3, s1
	s_delay_alu instid0(VALU_DEP_1) | instskip(NEXT) | instid1(VALU_DEP_1)
	v_dual_cndmask_b32 v2, v2, v14 :: v_dual_cndmask_b32 v3, v3, v15
	v_pk_mul_f32 v[2:3], v[28:29], v[2:3]
	s_wait_loadcnt 0x2
	v_or_b32_e32 v9, v9, v19
	v_or_b32_e32 v8, v8, v18
	s_wait_loadcnt 0x0
	v_or_b32_e32 v11, v11, v21
	v_or_b32_e32 v10, v10, v20
	s_delay_alu instid0(VALU_DEP_3) | instskip(SKIP_1) | instid1(VALU_DEP_3)
	v_pk_mul_f32 v[8:9], v[16:17], v[8:9] op_sel_hi:[0,1]
	v_cndmask_b32_e32 v4, v4, v12, vcc_lo
	v_pk_mul_f32 v[10:11], v[16:17], v[10:11] op_sel_hi:[0,1]
	s_delay_alu instid0(VALU_DEP_3) | instskip(NEXT) | instid1(VALU_DEP_2)
	v_dual_add_f32 v17, v6, v7 :: v_dual_cndmask_b32 v12, 0, v9, s3
	v_dual_cndmask_b32 v14, 0, v8, s2 :: v_dual_cndmask_b32 v6, 0, v11, s1
	s_delay_alu instid0(VALU_DEP_2)
	v_dual_cndmask_b32 v18, 0, v10, s0 :: v_dual_cndmask_b32 v9, v9, v12, vcc_lo
	s_clause 0x1
	scratch_load_b64 v[12:13], off, s32 offset:268 th:TH_LOAD_LU
	scratch_load_b64 v[20:21], off, s32 offset:276 th:TH_LOAD_LU
	v_cndmask_b32_e32 v8, v8, v14, vcc_lo
	v_pk_mul_f32 v[4:5], v[26:27], v[4:5]
	v_cndmask_b32_e32 v7, v11, v6, vcc_lo
	s_delay_alu instid0(VALU_DEP_2) | instskip(NEXT) | instid1(VALU_DEP_4)
	v_dual_cndmask_b32 v6, v10, v18 :: v_dual_add_f32 v23, v4, v5
	v_pk_mul_f32 v[4:5], v[26:27], v[8:9]
	s_delay_alu instid0(VALU_DEP_2) | instskip(NEXT) | instid1(VALU_DEP_3)
	v_pk_mul_f32 v[6:7], v[28:29], v[6:7]
	v_dual_add_f32 v0, v0, v17 :: v_dual_add_f32 v2, v2, v23
	s_delay_alu instid0(VALU_DEP_1)
	v_add_f32_e32 v0, v1, v0
	s_wait_loadcnt 0x0
	v_or_b32_e32 v13, v13, v21
	v_or_b32_e32 v12, v12, v20
	s_clause 0x1
	scratch_load_b64 v[14:15], off, s32 offset:284 th:TH_LOAD_LU
	scratch_load_b64 v[20:21], off, s32 offset:292 th:TH_LOAD_LU
	v_pk_mul_f32 v[10:11], v[16:17], v[12:13] op_sel_hi:[0,1]
	s_delay_alu instid0(VALU_DEP_1) | instskip(SKIP_1) | instid1(VALU_DEP_1)
	v_cndmask_b32_e64 v18, 0, v10, s2
	s_wait_loadcnt 0x0
	v_dual_cndmask_b32 v10, v10, v18, vcc_lo :: v_dual_bitop2_b32 v15, v15, v21 bitop3:0x54
	v_or_b32_e32 v14, v14, v20
	s_delay_alu instid0(VALU_DEP_1) | instskip(SKIP_4) | instid1(VALU_DEP_1)
	v_pk_mul_f32 v[8:9], v[16:17], v[14:15] op_sel_hi:[0,1]
	s_clause 0x1
	scratch_load_b64 v[12:13], off, s32 offset:260 th:TH_LOAD_LU
	scratch_load_b64 v[14:15], off, s32 offset:1804 th:TH_LOAD_LU
	v_cndmask_b32_e64 v19, 0, v9, s1
	v_cndmask_b32_e32 v9, v9, v19, vcc_lo
	s_wait_loadcnt 0x0
	v_or_b32_e32 v13, v13, v15
	v_or_b32_e32 v12, v12, v14
	s_clause 0x2
	scratch_load_b64 v[14:15], off, s32 offset:1812 th:TH_LOAD_LU
	scratch_load_b64 v[20:21], off, s32 offset:2132 th:TH_LOAD_LU
	scratch_load_b64 v[24:25], off, s32 offset:2100 th:TH_LOAD_LU
	v_pk_mul_f32 v[12:13], v[16:17], v[12:13] op_sel_hi:[0,1]
	s_delay_alu instid0(VALU_DEP_1) | instskip(SKIP_4) | instid1(VALU_DEP_2)
	v_cndmask_b32_e64 v19, 0, v13, s3
	s_wait_loadcnt 0x1
	v_or_b32_e32 v15, v15, v21
	v_dual_cndmask_b32 v20, 0, v11, s3 :: v_dual_bitop2_b32 v14, v14, v20 bitop3:0x54
	v_cndmask_b32_e64 v21, 0, v8, s0
	v_cndmask_b32_e32 v11, v11, v20, vcc_lo
	s_delay_alu instid0(VALU_DEP_3) | instskip(SKIP_1) | instid1(VALU_DEP_3)
	v_pk_mul_f32 v[14:15], v[16:17], v[14:15] op_sel_hi:[0,1]
	v_dual_cndmask_b32 v20, 0, v12, s2 :: v_dual_cndmask_b32 v13, v13, v19, vcc_lo
	v_pk_mul_f32 v[10:11], v[26:27], v[10:11]
	s_delay_alu instid0(VALU_DEP_3) | instskip(NEXT) | instid1(VALU_DEP_3)
	v_dual_cndmask_b32 v18, 0, v14, s0 :: v_dual_cndmask_b32 v22, 0, v15, s1
	v_cndmask_b32_e32 v12, v12, v20, vcc_lo
	s_delay_alu instid0(VALU_DEP_2) | instskip(NEXT) | instid1(VALU_DEP_3)
	v_dual_cndmask_b32 v8, v8, v21, vcc_lo :: v_dual_cndmask_b32 v14, v14, v18, vcc_lo
	v_dual_add_f32 v18, v4, v5 :: v_dual_cndmask_b32 v15, v15, v22
	s_delay_alu instid0(VALU_DEP_3) | instskip(NEXT) | instid1(VALU_DEP_3)
	v_pk_mul_f32 v[12:13], v[26:27], v[12:13]
	v_pk_mul_f32 v[4:5], v[28:29], v[8:9]
	v_add_f32_e32 v10, v10, v11
	s_delay_alu instid0(VALU_DEP_4) | instskip(NEXT) | instid1(VALU_DEP_4)
	v_pk_mul_f32 v[8:9], v[28:29], v[14:15]
	v_dual_add_f32 v11, v12, v13 :: v_dual_add_f32 v6, v6, v18
	s_delay_alu instid0(VALU_DEP_3)
	v_add_f32_e32 v4, v4, v10
	v_add_f32_e32 v1, v3, v2
	scratch_load_b32 v12, off, s32 offset:252 ; 4-byte Folded Reload
	v_dual_add_f32 v8, v8, v11 :: v_dual_add_f32 v2, v7, v6
	scratch_load_b64 v[6:7], off, s32 offset:2076 th:TH_LOAD_LU ; 8-byte Folded Reload
	v_add_f32_e32 v3, v5, v4
	v_add_f32_e32 v4, v9, v8
	s_wait_loadcnt 0x2
	s_delay_alu instid0(VALU_DEP_2) | instskip(NEXT) | instid1(VALU_DEP_2)
	v_dual_add_f32 v25, v25, v2 :: v_dual_add_f32 v24, v24, v3
	v_add_f32_e32 v35, v35, v4
	scratch_store_b64 off, v[34:35], s32 offset:1828 ; 8-byte Folded Spill
	s_wait_loadcnt 0x0
	v_dual_add_f32 v7, v7, v0 :: v_dual_add_f32 v6, v6, v1
	scratch_store_b64 off, v[6:7], s32 offset:2076 ; 8-byte Folded Spill
.LBB216_2095:                           ;   in Loop: Header=BB216_2096 Depth=1
	s_wait_xcnt 0x0
	s_or_b32 exec_lo, exec_lo, s14
	scratch_load_b32 v0, off, s32 offset:200 ; 4-byte Folded Reload
	v_add_nc_u32_e32 v12, 4, v12
	v_add_nc_u32_e32 v126, 0x80, v126
	s_wait_loadcnt 0x0
	s_delay_alu instid0(VALU_DEP_2)
	v_cmp_ge_i32_e32 vcc_lo, v12, v0
	scratch_load_b64 v[0:1], off, s32 offset:212 ; 8-byte Folded Reload
	s_or_b32 s9, vcc_lo, s9
	s_wait_loadcnt 0x0
	v_add_nc_u64_e32 v[0:1], 16, v[0:1]
	s_clause 0x1
	scratch_store_b64 off, v[0:1], s32 offset:212
	scratch_load_b32 v0, off, s32 offset:204
	s_wait_loadcnt 0x0
	v_add_nc_u32_e32 v0, 0x200, v0
	scratch_store_b32 off, v0, s32 offset:204 ; 4-byte Folded Spill
	s_wait_xcnt 0x0
	s_and_not1_b32 exec_lo, exec_lo, s9
	s_cbranch_execz .LBB216_4142
.LBB216_2096:                           ; =>This Inner Loop Header: Depth=1
	s_clause 0x1
	scratch_load_b64 v[0:1], off, s32 offset:192 th:TH_LOAD_LU
	scratch_load_b32 v4, off, s32 offset:220
	s_wait_loadcnt 0x1
	v_dual_mov_b32 v7, v1 :: v_dual_mov_b32 v127, v1
	scratch_load_b64 v[0:1], off, s32 offset:224 ; 8-byte Folded Reload
	s_wait_loadcnt 0x0
	v_mul_u64_e32 v[0:1], v[126:127], v[0:1]
	s_delay_alu instid0(VALU_DEP_1) | instskip(NEXT) | instid1(VALU_DEP_1)
	v_mul_lo_u32 v0, v1, v4
	v_dual_add_nc_u32 v2, 1, v1 :: v_dual_sub_nc_u32 v0, v126, v0
	s_delay_alu instid0(VALU_DEP_1) | instskip(NEXT) | instid1(VALU_DEP_2)
	v_cmp_ge_u32_e32 vcc_lo, v0, v4
	v_dual_sub_nc_u32 v3, v0, v4 :: v_dual_cndmask_b32 v1, v1, v2, vcc_lo
	s_delay_alu instid0(VALU_DEP_1) | instskip(NEXT) | instid1(VALU_DEP_1)
	v_dual_cndmask_b32 v0, v0, v3, vcc_lo :: v_dual_add_nc_u32 v2, 1, v1
	v_cmp_ge_u32_e32 vcc_lo, v0, v4
	scratch_load_b32 v4, off, s32 offset:2084 ; 4-byte Folded Reload
	v_cndmask_b32_e32 v0, v1, v2, vcc_lo
	scratch_load_b32 v1, off, s32 offset:232 ; 4-byte Folded Reload
	s_wait_loadcnt 0x0
	v_xor_b32_e32 v0, v0, v1
	s_delay_alu instid0(VALU_DEP_1) | instskip(SKIP_3) | instid1(VALU_DEP_1)
	v_sub_nc_u32_e32 v2, v0, v1
	scratch_load_b32 v0, off, s32 offset:236 ; 4-byte Folded Reload
	s_wait_loadcnt 0x0
	v_add_nc_u32_e32 v3, v2, v0
	v_sub_nc_u32_e32 v0, 0, v3
	s_delay_alu instid0(VALU_DEP_1) | instskip(SKIP_3) | instid1(VALU_DEP_1)
	v_max_i32_e32 v6, v3, v0
	scratch_load_b64 v[0:1], off, s32 offset:2092 ; 8-byte Folded Reload
	s_wait_loadcnt 0x0
	v_mul_u64_e32 v[0:1], v[6:7], v[0:1]
	v_mul_lo_u32 v0, v1, v4
	v_mov_b32_e32 v1, v7
	scratch_store_b64 off, v[0:1], s32 offset:192 ; 8-byte Folded Spill
	s_wait_xcnt 0x0
	v_sub_nc_u32_e32 v0, v6, v0
	s_delay_alu instid0(VALU_DEP_1) | instskip(SKIP_1) | instid1(VALU_DEP_2)
	v_sub_nc_u32_e32 v1, v0, v4
	v_cmp_ge_u32_e32 vcc_lo, v0, v4
	v_dual_cndmask_b32 v0, v0, v1 :: v_dual_ashrrev_i32 v3, 31, v3
	s_delay_alu instid0(VALU_DEP_1) | instskip(SKIP_1) | instid1(VALU_DEP_2)
	v_sub_nc_u32_e32 v1, v0, v4
	v_cmp_ge_u32_e32 vcc_lo, v0, v4
	v_cndmask_b32_e32 v0, v0, v1, vcc_lo
	s_delay_alu instid0(VALU_DEP_1) | instskip(NEXT) | instid1(VALU_DEP_1)
	v_xor_b32_e32 v0, v0, v3
	v_sub_nc_u32_e32 v0, v0, v3
	s_delay_alu instid0(VALU_DEP_1)
	v_cmp_eq_u32_e32 vcc_lo, 0, v0
	scratch_load_b32 v0, off, s32 offset:240 ; 4-byte Folded Reload
	s_wait_loadcnt 0x0
	v_cmp_gt_i32_e64 s0, v2, v0
	s_or_b32 s0, vcc_lo, s0
	s_wait_xcnt 0x0
	s_and_saveexec_b32 s14, s0
	s_cbranch_execz .LBB216_2095
; %bb.2097:                             ;   in Loop: Header=BB216_2096 Depth=1
	s_clause 0x3
	scratch_store_b32 off, v12, s32 offset:252
	scratch_store_b64 off, v[24:25], s32 offset:2100
	scratch_store_b64 off, v[126:127], s32 offset:244
	scratch_load_b64 v[0:1], off, s32 offset:212
	s_wait_loadcnt 0x0
	flat_load_b32 v0, v[0:1]
	s_clause 0x1
	scratch_load_b64 v[2:3], off, s32 offset:2060
	scratch_load_b64 v[4:5], off, s32 offset:2332
	s_wait_loadcnt_dscnt 0x0
	v_mad_nc_i64_i32 v[2:3], v0, v2, v[4:5]
	s_clause 0x1
	scratch_load_b64 v[0:1], off, s32 offset:2380
	scratch_store_b64 off, v[2:3], s32 offset:260
	s_wait_loadcnt 0x0
	v_add_nc_u64_e32 v[24:25], v[2:3], v[0:1]
	flat_load_b32 v0, v[24:25]
	s_clause 0x1
	scratch_load_b64 v[2:3], off, s32 offset:2324
	scratch_load_b32 v1, off, s32 offset:204
	s_load_b32 s0, s[6:7], 0x0
	s_wait_loadcnt 0x1
	flat_load_b32 v2, v[2:3]
	s_wait_loadcnt 0x1
	s_wait_kmcnt 0x0
	v_add_nc_u32_e32 v1, s0, v1
	s_mov_b32 s0, exec_lo
	s_wait_loadcnt_dscnt 0x0
	scratch_store_b64 off, v[2:3], s32 offset:2124 ; 8-byte Folded Spill
	s_wait_xcnt 0x0
	ds_load_b128 v[2:5], v1
	v_and_b32_e32 v1, 0xff, v0
	s_wait_dscnt 0x0
	scratch_store_b128 off, v[2:5], s32 offset:2108 ; 16-byte Folded Spill
	s_wait_xcnt 0x0
	v_mov_b64_e32 v[2:3], 0
	scratch_store_b64 off, v[2:3], s32 offset:268 ; 8-byte Folded Spill
	s_wait_xcnt 0x0
	v_mov_b64_e32 v[2:3], 0
	scratch_store_b64 off, v[2:3], s32 offset:276 ; 8-byte Folded Spill
	s_wait_xcnt 0x0
	v_cmpx_ne_u16_e32 0, v1
	s_cbranch_execz .LBB216_2105
; %bb.2098:                             ;   in Loop: Header=BB216_2096 Depth=1
	v_mov_b64_e32 v[2:3], 0x80000000
	s_mov_b32 s1, exec_lo
	scratch_store_b64 off, v[2:3], s32 offset:276 ; 8-byte Folded Spill
	s_wait_xcnt 0x0
	v_cmpx_ne_u16_e32 0x80, v1
	s_cbranch_execz .LBB216_2104
; %bb.2099:                             ;   in Loop: Header=BB216_2096 Depth=1
	v_mov_b64_e32 v[4:5], 0x7f800001
	v_and_b32_e32 v2, 0x7f, v0
	s_mov_b32 s2, exec_lo
	scratch_store_b64 off, v[4:5], s32 offset:276 ; 8-byte Folded Spill
	s_wait_xcnt 0x0
	v_cmpx_ne_u32_e32 0x7f, v2
	s_cbranch_execz .LBB216_2103
; %bb.2100:                             ;   in Loop: Header=BB216_2096 Depth=1
	scratch_load_b64 v[4:5], off, s32 offset:192 th:TH_LOAD_LU ; 8-byte Folded Reload
	s_wait_loadcnt 0x0
	v_dual_lshrrev_b32 v1, 3, v2 :: v_dual_bitop2_b32 v4, 7, v0 bitop3:0x40
	s_mov_b32 s3, exec_lo
	s_wait_xcnt 0x0
	v_cmpx_gt_u32_e32 8, v2
; %bb.2101:                             ;   in Loop: Header=BB216_2096 Depth=1
	s_delay_alu instid0(VALU_DEP_2) | instskip(NEXT) | instid1(VALU_DEP_1)
	v_clz_i32_u32_e32 v1, v4
	v_min_u32_e32 v1, 32, v1
	s_delay_alu instid0(VALU_DEP_1) | instskip(NEXT) | instid1(VALU_DEP_1)
	v_subrev_nc_u32_e32 v2, 28, v1
	v_lshlrev_b64_e32 v[2:3], v2, v[4:5]
	s_delay_alu instid0(VALU_DEP_1)
	v_dual_sub_nc_u32 v1, 29, v1 :: v_dual_bitop2_b32 v4, 7, v2 bitop3:0x40
; %bb.2102:                             ;   in Loop: Header=BB216_2096 Depth=1
	s_or_b32 exec_lo, exec_lo, s3
	v_lshlrev_b32_e32 v2, 24, v0
	s_delay_alu instid0(VALU_DEP_2) | instskip(NEXT) | instid1(VALU_DEP_3)
	v_lshlrev_b32_e32 v3, 20, v4
	v_lshl_add_u32 v1, v1, 23, 0x3c000000
	s_delay_alu instid0(VALU_DEP_3) | instskip(NEXT) | instid1(VALU_DEP_1)
	v_and_b32_e32 v2, 0x80000000, v2
	v_or3_b32 v4, v3, v2, v1
	v_mov_b32_e32 v1, v5
	s_clause 0x1
	scratch_store_b64 off, v[0:1], s32 offset:192
	scratch_store_b64 off, v[4:5], s32 offset:276
.LBB216_2103:                           ;   in Loop: Header=BB216_2096 Depth=1
	s_wait_xcnt 0x0
	s_or_b32 exec_lo, exec_lo, s2
.LBB216_2104:                           ;   in Loop: Header=BB216_2096 Depth=1
	s_delay_alu instid0(SALU_CYCLE_1)
	s_or_b32 exec_lo, exec_lo, s1
.LBB216_2105:                           ;   in Loop: Header=BB216_2096 Depth=1
	s_delay_alu instid0(SALU_CYCLE_1) | instskip(SKIP_2) | instid1(VALU_DEP_1)
	s_or_b32 exec_lo, exec_lo, s0
	v_lshrrev_b16 v1, 8, v0
	s_mov_b32 s0, exec_lo
	v_cmpx_ne_u16_e32 0, v1
	s_cbranch_execz .LBB216_2113
; %bb.2106:                             ;   in Loop: Header=BB216_2096 Depth=1
	v_mov_b64_e32 v[2:3], 0x8000000000000000
	s_mov_b32 s1, exec_lo
	scratch_store_b64 off, v[2:3], s32 offset:268 ; 8-byte Folded Spill
	s_wait_xcnt 0x0
	v_cmpx_ne_u16_e32 0x80, v1
	s_cbranch_execz .LBB216_2112
; %bb.2107:                             ;   in Loop: Header=BB216_2096 Depth=1
	v_and_b32_e32 v1, 0xffff, v1
	v_mov_b64_e32 v[4:5], 0x7f80000100000000
	s_mov_b32 s2, exec_lo
	s_delay_alu instid0(VALU_DEP_2)
	v_and_b32_e32 v2, 0x7f, v1
	scratch_store_b64 off, v[4:5], s32 offset:268 ; 8-byte Folded Spill
	s_wait_xcnt 0x0
	v_cmpx_ne_u32_e32 0x7f, v2
	s_cbranch_execz .LBB216_2111
; %bb.2108:                             ;   in Loop: Header=BB216_2096 Depth=1
	scratch_load_b64 v[4:5], off, s32 offset:192 th:TH_LOAD_LU ; 8-byte Folded Reload
	s_wait_loadcnt 0x0
	v_dual_lshrrev_b32 v1, 3, v2 :: v_dual_bitop2_b32 v4, 7, v1 bitop3:0x40
	s_mov_b32 s3, exec_lo
	s_wait_xcnt 0x0
	v_cmpx_gt_u32_e32 8, v2
; %bb.2109:                             ;   in Loop: Header=BB216_2096 Depth=1
	s_delay_alu instid0(VALU_DEP_2) | instskip(NEXT) | instid1(VALU_DEP_1)
	v_clz_i32_u32_e32 v1, v4
	v_min_u32_e32 v1, 32, v1
	s_delay_alu instid0(VALU_DEP_1) | instskip(NEXT) | instid1(VALU_DEP_1)
	v_subrev_nc_u32_e32 v2, 28, v1
	v_lshlrev_b64_e32 v[2:3], v2, v[4:5]
	s_delay_alu instid0(VALU_DEP_1)
	v_dual_sub_nc_u32 v1, 29, v1 :: v_dual_bitop2_b32 v4, 7, v2 bitop3:0x40
; %bb.2110:                             ;   in Loop: Header=BB216_2096 Depth=1
	s_or_b32 exec_lo, exec_lo, s3
	v_lshlrev_b32_e32 v2, 16, v0
	s_delay_alu instid0(VALU_DEP_2) | instskip(NEXT) | instid1(VALU_DEP_3)
	v_lshlrev_b32_e32 v3, 20, v4
	v_lshl_add_u32 v1, v1, 23, 0x3c000000
	s_delay_alu instid0(VALU_DEP_3) | instskip(NEXT) | instid1(VALU_DEP_1)
	v_and_b32_e32 v2, 0x80000000, v2
	v_or3_b32 v3, v3, v2, v1
	v_dual_mov_b32 v1, v5 :: v_dual_mov_b32 v2, v5
	s_clause 0x1
	scratch_store_b64 off, v[0:1], s32 offset:192
	scratch_store_b64 off, v[2:3], s32 offset:268
.LBB216_2111:                           ;   in Loop: Header=BB216_2096 Depth=1
	s_wait_xcnt 0x0
	s_or_b32 exec_lo, exec_lo, s2
.LBB216_2112:                           ;   in Loop: Header=BB216_2096 Depth=1
	s_delay_alu instid0(SALU_CYCLE_1)
	s_or_b32 exec_lo, exec_lo, s1
.LBB216_2113:                           ;   in Loop: Header=BB216_2096 Depth=1
	s_delay_alu instid0(SALU_CYCLE_1) | instskip(SKIP_3) | instid1(VALU_DEP_1)
	s_or_b32 exec_lo, exec_lo, s0
	v_mov_b64_e32 v[4:5], 0
	v_lshrrev_b32_e32 v1, 16, v0
	s_mov_b32 s0, exec_lo
	v_and_b32_e32 v2, 0xff, v1
	scratch_store_b64 off, v[4:5], s32 offset:284 ; 8-byte Folded Spill
	s_wait_xcnt 0x0
	v_mov_b64_e32 v[4:5], 0
	scratch_store_b64 off, v[4:5], s32 offset:292 ; 8-byte Folded Spill
	s_wait_xcnt 0x0
	v_cmpx_ne_u16_e32 0, v2
	s_cbranch_execz .LBB216_2121
; %bb.2114:                             ;   in Loop: Header=BB216_2096 Depth=1
	v_mov_b64_e32 v[4:5], 0x80000000
	s_mov_b32 s1, exec_lo
	scratch_store_b64 off, v[4:5], s32 offset:292 ; 8-byte Folded Spill
	s_wait_xcnt 0x0
	v_cmpx_ne_u16_e32 0x80, v2
	s_cbranch_execz .LBB216_2120
; %bb.2115:                             ;   in Loop: Header=BB216_2096 Depth=1
	v_mov_b64_e32 v[4:5], 0x7f800001
	v_bfe_u32 v3, v0, 16, 7
	s_mov_b32 s2, exec_lo
	scratch_store_b64 off, v[4:5], s32 offset:292 ; 8-byte Folded Spill
	s_wait_xcnt 0x0
	v_cmpx_ne_u32_e32 0x7f, v3
	s_cbranch_execz .LBB216_2119
; %bb.2116:                             ;   in Loop: Header=BB216_2096 Depth=1
	scratch_load_b64 v[6:7], off, s32 offset:192 th:TH_LOAD_LU ; 8-byte Folded Reload
	s_wait_loadcnt 0x0
	v_dual_lshrrev_b32 v2, 3, v3 :: v_dual_bitop2_b32 v6, 7, v1 bitop3:0x40
	s_mov_b32 s3, exec_lo
	s_wait_xcnt 0x0
	v_cmpx_gt_u32_e32 8, v3
; %bb.2117:                             ;   in Loop: Header=BB216_2096 Depth=1
	s_delay_alu instid0(VALU_DEP_2) | instskip(NEXT) | instid1(VALU_DEP_1)
	v_clz_i32_u32_e32 v2, v6
	v_min_u32_e32 v2, 32, v2
	s_delay_alu instid0(VALU_DEP_1) | instskip(NEXT) | instid1(VALU_DEP_1)
	v_subrev_nc_u32_e32 v3, 28, v2
	v_lshlrev_b64_e32 v[4:5], v3, v[6:7]
	s_delay_alu instid0(VALU_DEP_1)
	v_dual_sub_nc_u32 v2, 29, v2 :: v_dual_bitop2_b32 v6, 7, v4 bitop3:0x40
; %bb.2118:                             ;   in Loop: Header=BB216_2096 Depth=1
	s_or_b32 exec_lo, exec_lo, s3
	s_delay_alu instid0(VALU_DEP_1) | instskip(NEXT) | instid1(VALU_DEP_2)
	v_dual_lshlrev_b32 v1, 24, v1 :: v_dual_lshlrev_b32 v3, 20, v6
	v_lshl_add_u32 v2, v2, 23, 0x3c000000
	s_delay_alu instid0(VALU_DEP_2) | instskip(NEXT) | instid1(VALU_DEP_1)
	v_and_b32_e32 v1, 0x80000000, v1
	v_or3_b32 v6, v3, v1, v2
	v_mov_b32_e32 v1, v7
	s_clause 0x1
	scratch_store_b64 off, v[0:1], s32 offset:192
	scratch_store_b64 off, v[6:7], s32 offset:292
.LBB216_2119:                           ;   in Loop: Header=BB216_2096 Depth=1
	s_wait_xcnt 0x0
	s_or_b32 exec_lo, exec_lo, s2
.LBB216_2120:                           ;   in Loop: Header=BB216_2096 Depth=1
	s_delay_alu instid0(SALU_CYCLE_1)
	s_or_b32 exec_lo, exec_lo, s1
.LBB216_2121:                           ;   in Loop: Header=BB216_2096 Depth=1
	s_delay_alu instid0(SALU_CYCLE_1) | instskip(NEXT) | instid1(SALU_CYCLE_1)
	s_or_b32 exec_lo, exec_lo, s0
	s_mov_b32 s0, exec_lo
	v_cmpx_lt_u32_e32 0xffffff, v0
	s_cbranch_execz .LBB216_2129
; %bb.2122:                             ;   in Loop: Header=BB216_2096 Depth=1
	v_mov_b64_e32 v[2:3], 0x8000000000000000
	v_lshrrev_b32_e32 v1, 24, v0
	s_mov_b32 s1, exec_lo
	scratch_store_b64 off, v[2:3], s32 offset:284 ; 8-byte Folded Spill
	s_wait_xcnt 0x0
	v_cmpx_ne_u32_e32 0x80, v1
	s_cbranch_execz .LBB216_2128
; %bb.2123:                             ;   in Loop: Header=BB216_2096 Depth=1
	v_mov_b64_e32 v[4:5], 0x7f80000100000000
	v_bfe_u32 v2, v0, 24, 7
	s_mov_b32 s2, exec_lo
	scratch_store_b64 off, v[4:5], s32 offset:284 ; 8-byte Folded Spill
	s_wait_xcnt 0x0
	v_cmpx_ne_u32_e32 0x7f, v2
	s_cbranch_execz .LBB216_2127
; %bb.2124:                             ;   in Loop: Header=BB216_2096 Depth=1
	scratch_load_b64 v[4:5], off, s32 offset:192 th:TH_LOAD_LU ; 8-byte Folded Reload
	s_wait_loadcnt 0x0
	v_dual_lshrrev_b32 v0, 3, v2 :: v_dual_bitop2_b32 v4, 7, v1 bitop3:0x40
	s_mov_b32 s3, exec_lo
	s_wait_xcnt 0x0
	v_cmpx_gt_u32_e32 8, v2
; %bb.2125:                             ;   in Loop: Header=BB216_2096 Depth=1
	s_delay_alu instid0(VALU_DEP_2) | instskip(NEXT) | instid1(VALU_DEP_1)
	v_clz_i32_u32_e32 v0, v4
	v_min_u32_e32 v0, 32, v0
	s_delay_alu instid0(VALU_DEP_1) | instskip(NEXT) | instid1(VALU_DEP_1)
	v_subrev_nc_u32_e32 v2, 28, v0
	v_lshlrev_b64_e32 v[2:3], v2, v[4:5]
	s_delay_alu instid0(VALU_DEP_1)
	v_dual_sub_nc_u32 v0, 29, v0 :: v_dual_bitop2_b32 v4, 7, v2 bitop3:0x40
; %bb.2126:                             ;   in Loop: Header=BB216_2096 Depth=1
	s_or_b32 exec_lo, exec_lo, s3
	s_delay_alu instid0(VALU_DEP_1) | instskip(NEXT) | instid1(VALU_DEP_2)
	v_dual_lshlrev_b32 v1, 24, v1 :: v_dual_lshlrev_b32 v2, 20, v4
	v_lshl_add_u32 v0, v0, 23, 0x3c000000
	s_delay_alu instid0(VALU_DEP_2) | instskip(NEXT) | instid1(VALU_DEP_1)
	v_and_b32_e32 v1, 0x80000000, v1
	v_or3_b32 v3, v2, v1, v0
	v_dual_mov_b32 v1, v5 :: v_dual_mov_b32 v2, v5
	s_clause 0x1
	scratch_store_b64 off, v[0:1], s32 offset:192
	scratch_store_b64 off, v[2:3], s32 offset:284
.LBB216_2127:                           ;   in Loop: Header=BB216_2096 Depth=1
	s_wait_xcnt 0x0
	s_or_b32 exec_lo, exec_lo, s2
.LBB216_2128:                           ;   in Loop: Header=BB216_2096 Depth=1
	s_delay_alu instid0(SALU_CYCLE_1)
	s_or_b32 exec_lo, exec_lo, s1
.LBB216_2129:                           ;   in Loop: Header=BB216_2096 Depth=1
	s_delay_alu instid0(SALU_CYCLE_1)
	s_or_b32 exec_lo, exec_lo, s0
	flat_load_b32 v0, v[24:25] offset:128
	v_mov_b64_e32 v[2:3], 0
	s_mov_b32 s0, exec_lo
	scratch_store_b64 off, v[2:3], s32 offset:300 ; 8-byte Folded Spill
	s_wait_xcnt 0x0
	v_mov_b64_e32 v[2:3], 0
	scratch_store_b64 off, v[2:3], s32 offset:308 ; 8-byte Folded Spill
	s_wait_loadcnt_dscnt 0x0
	v_and_b32_e32 v1, 0xff, v0
	s_wait_xcnt 0x0
	s_delay_alu instid0(VALU_DEP_1)
	v_cmpx_ne_u16_e32 0, v1
	s_cbranch_execz .LBB216_2137
; %bb.2130:                             ;   in Loop: Header=BB216_2096 Depth=1
	v_mov_b64_e32 v[2:3], 0x80000000
	s_mov_b32 s1, exec_lo
	scratch_store_b64 off, v[2:3], s32 offset:308 ; 8-byte Folded Spill
	s_wait_xcnt 0x0
	v_cmpx_ne_u16_e32 0x80, v1
	s_cbranch_execz .LBB216_2136
; %bb.2131:                             ;   in Loop: Header=BB216_2096 Depth=1
	v_mov_b64_e32 v[4:5], 0x7f800001
	v_and_b32_e32 v2, 0x7f, v0
	s_mov_b32 s2, exec_lo
	scratch_store_b64 off, v[4:5], s32 offset:308 ; 8-byte Folded Spill
	s_wait_xcnt 0x0
	v_cmpx_ne_u32_e32 0x7f, v2
	s_cbranch_execz .LBB216_2135
; %bb.2132:                             ;   in Loop: Header=BB216_2096 Depth=1
	scratch_load_b64 v[4:5], off, s32 offset:192 th:TH_LOAD_LU ; 8-byte Folded Reload
	s_wait_loadcnt 0x0
	v_dual_lshrrev_b32 v1, 3, v2 :: v_dual_bitop2_b32 v4, 7, v0 bitop3:0x40
	s_mov_b32 s3, exec_lo
	s_wait_xcnt 0x0
	v_cmpx_gt_u32_e32 8, v2
; %bb.2133:                             ;   in Loop: Header=BB216_2096 Depth=1
	s_delay_alu instid0(VALU_DEP_2) | instskip(NEXT) | instid1(VALU_DEP_1)
	v_clz_i32_u32_e32 v1, v4
	v_min_u32_e32 v1, 32, v1
	s_delay_alu instid0(VALU_DEP_1) | instskip(NEXT) | instid1(VALU_DEP_1)
	v_subrev_nc_u32_e32 v2, 28, v1
	v_lshlrev_b64_e32 v[2:3], v2, v[4:5]
	s_delay_alu instid0(VALU_DEP_1)
	v_dual_sub_nc_u32 v1, 29, v1 :: v_dual_bitop2_b32 v4, 7, v2 bitop3:0x40
; %bb.2134:                             ;   in Loop: Header=BB216_2096 Depth=1
	s_or_b32 exec_lo, exec_lo, s3
	v_lshlrev_b32_e32 v2, 24, v0
	s_delay_alu instid0(VALU_DEP_2) | instskip(NEXT) | instid1(VALU_DEP_3)
	v_lshlrev_b32_e32 v3, 20, v4
	v_lshl_add_u32 v1, v1, 23, 0x3c000000
	s_delay_alu instid0(VALU_DEP_3) | instskip(NEXT) | instid1(VALU_DEP_1)
	v_and_b32_e32 v2, 0x80000000, v2
	v_or3_b32 v4, v3, v2, v1
	v_mov_b32_e32 v1, v5
	s_clause 0x1
	scratch_store_b64 off, v[0:1], s32 offset:192
	scratch_store_b64 off, v[4:5], s32 offset:308
.LBB216_2135:                           ;   in Loop: Header=BB216_2096 Depth=1
	s_wait_xcnt 0x0
	s_or_b32 exec_lo, exec_lo, s2
.LBB216_2136:                           ;   in Loop: Header=BB216_2096 Depth=1
	s_delay_alu instid0(SALU_CYCLE_1)
	s_or_b32 exec_lo, exec_lo, s1
.LBB216_2137:                           ;   in Loop: Header=BB216_2096 Depth=1
	s_delay_alu instid0(SALU_CYCLE_1) | instskip(SKIP_2) | instid1(VALU_DEP_1)
	s_or_b32 exec_lo, exec_lo, s0
	v_lshrrev_b16 v1, 8, v0
	s_mov_b32 s0, exec_lo
	v_cmpx_ne_u16_e32 0, v1
	s_cbranch_execz .LBB216_2145
; %bb.2138:                             ;   in Loop: Header=BB216_2096 Depth=1
	v_mov_b64_e32 v[2:3], 0x8000000000000000
	s_mov_b32 s1, exec_lo
	scratch_store_b64 off, v[2:3], s32 offset:300 ; 8-byte Folded Spill
	s_wait_xcnt 0x0
	v_cmpx_ne_u16_e32 0x80, v1
	s_cbranch_execz .LBB216_2144
; %bb.2139:                             ;   in Loop: Header=BB216_2096 Depth=1
	v_and_b32_e32 v1, 0xffff, v1
	v_mov_b64_e32 v[4:5], 0x7f80000100000000
	s_mov_b32 s2, exec_lo
	s_delay_alu instid0(VALU_DEP_2)
	v_and_b32_e32 v2, 0x7f, v1
	scratch_store_b64 off, v[4:5], s32 offset:300 ; 8-byte Folded Spill
	s_wait_xcnt 0x0
	v_cmpx_ne_u32_e32 0x7f, v2
	s_cbranch_execz .LBB216_2143
; %bb.2140:                             ;   in Loop: Header=BB216_2096 Depth=1
	scratch_load_b64 v[4:5], off, s32 offset:192 th:TH_LOAD_LU ; 8-byte Folded Reload
	s_wait_loadcnt 0x0
	v_dual_lshrrev_b32 v1, 3, v2 :: v_dual_bitop2_b32 v4, 7, v1 bitop3:0x40
	s_mov_b32 s3, exec_lo
	s_wait_xcnt 0x0
	v_cmpx_gt_u32_e32 8, v2
; %bb.2141:                             ;   in Loop: Header=BB216_2096 Depth=1
	s_delay_alu instid0(VALU_DEP_2) | instskip(NEXT) | instid1(VALU_DEP_1)
	v_clz_i32_u32_e32 v1, v4
	v_min_u32_e32 v1, 32, v1
	s_delay_alu instid0(VALU_DEP_1) | instskip(NEXT) | instid1(VALU_DEP_1)
	v_subrev_nc_u32_e32 v2, 28, v1
	v_lshlrev_b64_e32 v[2:3], v2, v[4:5]
	s_delay_alu instid0(VALU_DEP_1)
	v_dual_sub_nc_u32 v1, 29, v1 :: v_dual_bitop2_b32 v4, 7, v2 bitop3:0x40
; %bb.2142:                             ;   in Loop: Header=BB216_2096 Depth=1
	s_or_b32 exec_lo, exec_lo, s3
	v_lshlrev_b32_e32 v2, 16, v0
	s_delay_alu instid0(VALU_DEP_2) | instskip(NEXT) | instid1(VALU_DEP_3)
	v_lshlrev_b32_e32 v3, 20, v4
	v_lshl_add_u32 v1, v1, 23, 0x3c000000
	s_delay_alu instid0(VALU_DEP_3) | instskip(NEXT) | instid1(VALU_DEP_1)
	v_and_b32_e32 v2, 0x80000000, v2
	v_or3_b32 v3, v3, v2, v1
	v_dual_mov_b32 v1, v5 :: v_dual_mov_b32 v2, v5
	s_clause 0x1
	scratch_store_b64 off, v[0:1], s32 offset:192
	scratch_store_b64 off, v[2:3], s32 offset:300
.LBB216_2143:                           ;   in Loop: Header=BB216_2096 Depth=1
	s_wait_xcnt 0x0
	s_or_b32 exec_lo, exec_lo, s2
.LBB216_2144:                           ;   in Loop: Header=BB216_2096 Depth=1
	s_delay_alu instid0(SALU_CYCLE_1)
	s_or_b32 exec_lo, exec_lo, s1
.LBB216_2145:                           ;   in Loop: Header=BB216_2096 Depth=1
	s_delay_alu instid0(SALU_CYCLE_1) | instskip(SKIP_3) | instid1(VALU_DEP_1)
	s_or_b32 exec_lo, exec_lo, s0
	v_mov_b64_e32 v[4:5], 0
	v_lshrrev_b32_e32 v1, 16, v0
	s_mov_b32 s0, exec_lo
	v_and_b32_e32 v2, 0xff, v1
	scratch_store_b64 off, v[4:5], s32 offset:316 ; 8-byte Folded Spill
	s_wait_xcnt 0x0
	v_mov_b64_e32 v[4:5], 0
	scratch_store_b64 off, v[4:5], s32 offset:324 ; 8-byte Folded Spill
	s_wait_xcnt 0x0
	v_cmpx_ne_u16_e32 0, v2
	s_cbranch_execz .LBB216_2153
; %bb.2146:                             ;   in Loop: Header=BB216_2096 Depth=1
	v_cmp_ne_u16_e32 vcc_lo, 0x80, v2
	v_mov_b64_e32 v[2:3], 0x80000000
	scratch_store_b64 off, v[2:3], s32 offset:324 ; 8-byte Folded Spill
	s_wait_xcnt 0x0
	s_and_saveexec_b32 s1, vcc_lo
	s_cbranch_execz .LBB216_2152
; %bb.2147:                             ;   in Loop: Header=BB216_2096 Depth=1
	v_mov_b64_e32 v[4:5], 0x7f800001
	v_bfe_u32 v3, v0, 16, 7
	s_mov_b32 s2, exec_lo
	scratch_store_b64 off, v[4:5], s32 offset:324 ; 8-byte Folded Spill
	s_wait_xcnt 0x0
	v_cmpx_ne_u32_e32 0x7f, v3
	s_cbranch_execz .LBB216_2151
; %bb.2148:                             ;   in Loop: Header=BB216_2096 Depth=1
	scratch_load_b64 v[6:7], off, s32 offset:192 th:TH_LOAD_LU ; 8-byte Folded Reload
	s_wait_loadcnt 0x0
	v_dual_lshrrev_b32 v2, 3, v3 :: v_dual_bitop2_b32 v6, 7, v1 bitop3:0x40
	s_mov_b32 s3, exec_lo
	s_wait_xcnt 0x0
	v_cmpx_gt_u32_e32 8, v3
; %bb.2149:                             ;   in Loop: Header=BB216_2096 Depth=1
	s_delay_alu instid0(VALU_DEP_2) | instskip(NEXT) | instid1(VALU_DEP_1)
	v_clz_i32_u32_e32 v2, v6
	v_min_u32_e32 v2, 32, v2
	s_delay_alu instid0(VALU_DEP_1) | instskip(NEXT) | instid1(VALU_DEP_1)
	v_subrev_nc_u32_e32 v3, 28, v2
	v_lshlrev_b64_e32 v[4:5], v3, v[6:7]
	s_delay_alu instid0(VALU_DEP_1)
	v_dual_sub_nc_u32 v2, 29, v2 :: v_dual_bitop2_b32 v6, 7, v4 bitop3:0x40
; %bb.2150:                             ;   in Loop: Header=BB216_2096 Depth=1
	s_or_b32 exec_lo, exec_lo, s3
	s_delay_alu instid0(VALU_DEP_1) | instskip(NEXT) | instid1(VALU_DEP_2)
	v_dual_lshlrev_b32 v1, 24, v1 :: v_dual_lshlrev_b32 v3, 20, v6
	v_lshl_add_u32 v2, v2, 23, 0x3c000000
	s_delay_alu instid0(VALU_DEP_2) | instskip(NEXT) | instid1(VALU_DEP_1)
	v_and_b32_e32 v1, 0x80000000, v1
	v_or3_b32 v6, v3, v1, v2
	v_mov_b32_e32 v1, v7
	s_clause 0x1
	scratch_store_b64 off, v[0:1], s32 offset:192
	scratch_store_b64 off, v[6:7], s32 offset:324
.LBB216_2151:                           ;   in Loop: Header=BB216_2096 Depth=1
	s_wait_xcnt 0x0
	s_or_b32 exec_lo, exec_lo, s2
.LBB216_2152:                           ;   in Loop: Header=BB216_2096 Depth=1
	s_delay_alu instid0(SALU_CYCLE_1)
	s_or_b32 exec_lo, exec_lo, s1
.LBB216_2153:                           ;   in Loop: Header=BB216_2096 Depth=1
	s_delay_alu instid0(SALU_CYCLE_1) | instskip(NEXT) | instid1(SALU_CYCLE_1)
	s_or_b32 exec_lo, exec_lo, s0
	s_mov_b32 s0, exec_lo
	v_cmpx_lt_u32_e32 0xffffff, v0
	s_cbranch_execz .LBB216_2161
; %bb.2154:                             ;   in Loop: Header=BB216_2096 Depth=1
	v_mov_b64_e32 v[2:3], 0x8000000000000000
	v_lshrrev_b32_e32 v1, 24, v0
	s_mov_b32 s1, exec_lo
	scratch_store_b64 off, v[2:3], s32 offset:316 ; 8-byte Folded Spill
	s_wait_xcnt 0x0
	v_cmpx_ne_u32_e32 0x80, v1
	s_cbranch_execz .LBB216_2160
; %bb.2155:                             ;   in Loop: Header=BB216_2096 Depth=1
	v_mov_b64_e32 v[4:5], 0x7f80000100000000
	v_bfe_u32 v2, v0, 24, 7
	s_mov_b32 s2, exec_lo
	scratch_store_b64 off, v[4:5], s32 offset:316 ; 8-byte Folded Spill
	s_wait_xcnt 0x0
	v_cmpx_ne_u32_e32 0x7f, v2
	s_cbranch_execz .LBB216_2159
; %bb.2156:                             ;   in Loop: Header=BB216_2096 Depth=1
	scratch_load_b64 v[4:5], off, s32 offset:192 th:TH_LOAD_LU ; 8-byte Folded Reload
	s_wait_loadcnt 0x0
	v_dual_lshrrev_b32 v0, 3, v2 :: v_dual_bitop2_b32 v4, 7, v1 bitop3:0x40
	s_mov_b32 s3, exec_lo
	s_wait_xcnt 0x0
	v_cmpx_gt_u32_e32 8, v2
; %bb.2157:                             ;   in Loop: Header=BB216_2096 Depth=1
	s_delay_alu instid0(VALU_DEP_2) | instskip(NEXT) | instid1(VALU_DEP_1)
	v_clz_i32_u32_e32 v0, v4
	v_min_u32_e32 v0, 32, v0
	s_delay_alu instid0(VALU_DEP_1) | instskip(NEXT) | instid1(VALU_DEP_1)
	v_subrev_nc_u32_e32 v2, 28, v0
	v_lshlrev_b64_e32 v[2:3], v2, v[4:5]
	s_delay_alu instid0(VALU_DEP_1)
	v_dual_sub_nc_u32 v0, 29, v0 :: v_dual_bitop2_b32 v4, 7, v2 bitop3:0x40
; %bb.2158:                             ;   in Loop: Header=BB216_2096 Depth=1
	s_or_b32 exec_lo, exec_lo, s3
	s_delay_alu instid0(VALU_DEP_1) | instskip(NEXT) | instid1(VALU_DEP_2)
	v_dual_lshlrev_b32 v1, 24, v1 :: v_dual_lshlrev_b32 v2, 20, v4
	v_lshl_add_u32 v0, v0, 23, 0x3c000000
	s_delay_alu instid0(VALU_DEP_2) | instskip(NEXT) | instid1(VALU_DEP_1)
	v_and_b32_e32 v1, 0x80000000, v1
	v_or3_b32 v3, v2, v1, v0
	v_dual_mov_b32 v1, v5 :: v_dual_mov_b32 v2, v5
	s_clause 0x1
	scratch_store_b64 off, v[0:1], s32 offset:192
	scratch_store_b64 off, v[2:3], s32 offset:316
.LBB216_2159:                           ;   in Loop: Header=BB216_2096 Depth=1
	s_wait_xcnt 0x0
	s_or_b32 exec_lo, exec_lo, s2
.LBB216_2160:                           ;   in Loop: Header=BB216_2096 Depth=1
	s_delay_alu instid0(SALU_CYCLE_1)
	s_or_b32 exec_lo, exec_lo, s1
.LBB216_2161:                           ;   in Loop: Header=BB216_2096 Depth=1
	s_delay_alu instid0(SALU_CYCLE_1)
	s_or_b32 exec_lo, exec_lo, s0
	flat_load_b32 v0, v[24:25] offset:256
	v_mov_b64_e32 v[2:3], 0
	s_mov_b32 s0, exec_lo
	scratch_store_b64 off, v[2:3], s32 offset:332 ; 8-byte Folded Spill
	s_wait_xcnt 0x0
	v_mov_b64_e32 v[2:3], 0
	scratch_store_b64 off, v[2:3], s32 offset:340 ; 8-byte Folded Spill
	s_wait_loadcnt_dscnt 0x0
	v_and_b32_e32 v1, 0xff, v0
	s_wait_xcnt 0x0
	s_delay_alu instid0(VALU_DEP_1)
	v_cmpx_ne_u16_e32 0, v1
	s_cbranch_execz .LBB216_2169
; %bb.2162:                             ;   in Loop: Header=BB216_2096 Depth=1
	v_mov_b64_e32 v[2:3], 0x80000000
	s_mov_b32 s1, exec_lo
	scratch_store_b64 off, v[2:3], s32 offset:340 ; 8-byte Folded Spill
	s_wait_xcnt 0x0
	v_cmpx_ne_u16_e32 0x80, v1
	s_cbranch_execz .LBB216_2168
; %bb.2163:                             ;   in Loop: Header=BB216_2096 Depth=1
	v_mov_b64_e32 v[4:5], 0x7f800001
	v_and_b32_e32 v2, 0x7f, v0
	s_mov_b32 s2, exec_lo
	scratch_store_b64 off, v[4:5], s32 offset:340 ; 8-byte Folded Spill
	s_wait_xcnt 0x0
	v_cmpx_ne_u32_e32 0x7f, v2
	s_cbranch_execz .LBB216_2167
; %bb.2164:                             ;   in Loop: Header=BB216_2096 Depth=1
	scratch_load_b64 v[4:5], off, s32 offset:192 th:TH_LOAD_LU ; 8-byte Folded Reload
	s_wait_loadcnt 0x0
	v_dual_lshrrev_b32 v1, 3, v2 :: v_dual_bitop2_b32 v4, 7, v0 bitop3:0x40
	s_mov_b32 s3, exec_lo
	s_wait_xcnt 0x0
	v_cmpx_gt_u32_e32 8, v2
; %bb.2165:                             ;   in Loop: Header=BB216_2096 Depth=1
	s_delay_alu instid0(VALU_DEP_2) | instskip(NEXT) | instid1(VALU_DEP_1)
	v_clz_i32_u32_e32 v1, v4
	v_min_u32_e32 v1, 32, v1
	s_delay_alu instid0(VALU_DEP_1) | instskip(NEXT) | instid1(VALU_DEP_1)
	v_subrev_nc_u32_e32 v2, 28, v1
	v_lshlrev_b64_e32 v[2:3], v2, v[4:5]
	s_delay_alu instid0(VALU_DEP_1)
	v_dual_sub_nc_u32 v1, 29, v1 :: v_dual_bitop2_b32 v4, 7, v2 bitop3:0x40
; %bb.2166:                             ;   in Loop: Header=BB216_2096 Depth=1
	s_or_b32 exec_lo, exec_lo, s3
	v_lshlrev_b32_e32 v2, 24, v0
	s_delay_alu instid0(VALU_DEP_2) | instskip(NEXT) | instid1(VALU_DEP_3)
	v_lshlrev_b32_e32 v3, 20, v4
	v_lshl_add_u32 v1, v1, 23, 0x3c000000
	s_delay_alu instid0(VALU_DEP_3) | instskip(NEXT) | instid1(VALU_DEP_1)
	v_and_b32_e32 v2, 0x80000000, v2
	v_or3_b32 v4, v3, v2, v1
	v_mov_b32_e32 v1, v5
	s_clause 0x1
	scratch_store_b64 off, v[0:1], s32 offset:192
	scratch_store_b64 off, v[4:5], s32 offset:340
.LBB216_2167:                           ;   in Loop: Header=BB216_2096 Depth=1
	s_wait_xcnt 0x0
	s_or_b32 exec_lo, exec_lo, s2
.LBB216_2168:                           ;   in Loop: Header=BB216_2096 Depth=1
	s_delay_alu instid0(SALU_CYCLE_1)
	s_or_b32 exec_lo, exec_lo, s1
.LBB216_2169:                           ;   in Loop: Header=BB216_2096 Depth=1
	s_delay_alu instid0(SALU_CYCLE_1) | instskip(SKIP_2) | instid1(VALU_DEP_1)
	s_or_b32 exec_lo, exec_lo, s0
	v_lshrrev_b16 v1, 8, v0
	s_mov_b32 s0, exec_lo
	v_cmpx_ne_u16_e32 0, v1
	s_cbranch_execz .LBB216_2177
; %bb.2170:                             ;   in Loop: Header=BB216_2096 Depth=1
	v_mov_b64_e32 v[2:3], 0x8000000000000000
	s_mov_b32 s1, exec_lo
	scratch_store_b64 off, v[2:3], s32 offset:332 ; 8-byte Folded Spill
	s_wait_xcnt 0x0
	v_cmpx_ne_u16_e32 0x80, v1
	s_cbranch_execz .LBB216_2176
; %bb.2171:                             ;   in Loop: Header=BB216_2096 Depth=1
	v_and_b32_e32 v1, 0xffff, v1
	v_mov_b64_e32 v[4:5], 0x7f80000100000000
	s_mov_b32 s2, exec_lo
	s_delay_alu instid0(VALU_DEP_2)
	v_and_b32_e32 v2, 0x7f, v1
	scratch_store_b64 off, v[4:5], s32 offset:332 ; 8-byte Folded Spill
	s_wait_xcnt 0x0
	v_cmpx_ne_u32_e32 0x7f, v2
	s_cbranch_execz .LBB216_2175
; %bb.2172:                             ;   in Loop: Header=BB216_2096 Depth=1
	scratch_load_b64 v[4:5], off, s32 offset:192 th:TH_LOAD_LU ; 8-byte Folded Reload
	s_wait_loadcnt 0x0
	v_dual_lshrrev_b32 v1, 3, v2 :: v_dual_bitop2_b32 v4, 7, v1 bitop3:0x40
	s_mov_b32 s3, exec_lo
	s_wait_xcnt 0x0
	v_cmpx_gt_u32_e32 8, v2
; %bb.2173:                             ;   in Loop: Header=BB216_2096 Depth=1
	s_delay_alu instid0(VALU_DEP_2) | instskip(NEXT) | instid1(VALU_DEP_1)
	v_clz_i32_u32_e32 v1, v4
	v_min_u32_e32 v1, 32, v1
	s_delay_alu instid0(VALU_DEP_1) | instskip(NEXT) | instid1(VALU_DEP_1)
	v_subrev_nc_u32_e32 v2, 28, v1
	v_lshlrev_b64_e32 v[2:3], v2, v[4:5]
	s_delay_alu instid0(VALU_DEP_1)
	v_dual_sub_nc_u32 v1, 29, v1 :: v_dual_bitop2_b32 v4, 7, v2 bitop3:0x40
; %bb.2174:                             ;   in Loop: Header=BB216_2096 Depth=1
	s_or_b32 exec_lo, exec_lo, s3
	v_lshlrev_b32_e32 v2, 16, v0
	s_delay_alu instid0(VALU_DEP_2) | instskip(NEXT) | instid1(VALU_DEP_3)
	v_lshlrev_b32_e32 v3, 20, v4
	v_lshl_add_u32 v1, v1, 23, 0x3c000000
	s_delay_alu instid0(VALU_DEP_3) | instskip(NEXT) | instid1(VALU_DEP_1)
	v_and_b32_e32 v2, 0x80000000, v2
	v_or3_b32 v3, v3, v2, v1
	v_dual_mov_b32 v1, v5 :: v_dual_mov_b32 v2, v5
	s_clause 0x1
	scratch_store_b64 off, v[0:1], s32 offset:192
	scratch_store_b64 off, v[2:3], s32 offset:332
.LBB216_2175:                           ;   in Loop: Header=BB216_2096 Depth=1
	s_wait_xcnt 0x0
	s_or_b32 exec_lo, exec_lo, s2
.LBB216_2176:                           ;   in Loop: Header=BB216_2096 Depth=1
	s_delay_alu instid0(SALU_CYCLE_1)
	s_or_b32 exec_lo, exec_lo, s1
.LBB216_2177:                           ;   in Loop: Header=BB216_2096 Depth=1
	s_delay_alu instid0(SALU_CYCLE_1) | instskip(SKIP_3) | instid1(VALU_DEP_1)
	s_or_b32 exec_lo, exec_lo, s0
	v_mov_b64_e32 v[4:5], 0
	v_lshrrev_b32_e32 v1, 16, v0
	s_mov_b32 s0, exec_lo
	v_and_b32_e32 v2, 0xff, v1
	scratch_store_b64 off, v[4:5], s32 offset:348 ; 8-byte Folded Spill
	s_wait_xcnt 0x0
	v_mov_b64_e32 v[4:5], 0
	scratch_store_b64 off, v[4:5], s32 offset:356 ; 8-byte Folded Spill
	s_wait_xcnt 0x0
	v_cmpx_ne_u16_e32 0, v2
	s_cbranch_execz .LBB216_2185
; %bb.2178:                             ;   in Loop: Header=BB216_2096 Depth=1
	v_cmp_ne_u16_e32 vcc_lo, 0x80, v2
	v_mov_b64_e32 v[2:3], 0x80000000
	scratch_store_b64 off, v[2:3], s32 offset:356 ; 8-byte Folded Spill
	s_wait_xcnt 0x0
	s_and_saveexec_b32 s1, vcc_lo
	s_cbranch_execz .LBB216_2184
; %bb.2179:                             ;   in Loop: Header=BB216_2096 Depth=1
	v_mov_b64_e32 v[4:5], 0x7f800001
	v_bfe_u32 v3, v0, 16, 7
	s_mov_b32 s2, exec_lo
	scratch_store_b64 off, v[4:5], s32 offset:356 ; 8-byte Folded Spill
	s_wait_xcnt 0x0
	v_cmpx_ne_u32_e32 0x7f, v3
	s_cbranch_execz .LBB216_2183
; %bb.2180:                             ;   in Loop: Header=BB216_2096 Depth=1
	scratch_load_b64 v[6:7], off, s32 offset:192 th:TH_LOAD_LU ; 8-byte Folded Reload
	s_wait_loadcnt 0x0
	v_dual_lshrrev_b32 v2, 3, v3 :: v_dual_bitop2_b32 v6, 7, v1 bitop3:0x40
	s_mov_b32 s3, exec_lo
	s_wait_xcnt 0x0
	v_cmpx_gt_u32_e32 8, v3
; %bb.2181:                             ;   in Loop: Header=BB216_2096 Depth=1
	s_delay_alu instid0(VALU_DEP_2) | instskip(NEXT) | instid1(VALU_DEP_1)
	v_clz_i32_u32_e32 v2, v6
	v_min_u32_e32 v2, 32, v2
	s_delay_alu instid0(VALU_DEP_1) | instskip(NEXT) | instid1(VALU_DEP_1)
	v_subrev_nc_u32_e32 v3, 28, v2
	v_lshlrev_b64_e32 v[4:5], v3, v[6:7]
	s_delay_alu instid0(VALU_DEP_1)
	v_dual_sub_nc_u32 v2, 29, v2 :: v_dual_bitop2_b32 v6, 7, v4 bitop3:0x40
; %bb.2182:                             ;   in Loop: Header=BB216_2096 Depth=1
	s_or_b32 exec_lo, exec_lo, s3
	s_delay_alu instid0(VALU_DEP_1) | instskip(NEXT) | instid1(VALU_DEP_2)
	v_dual_lshlrev_b32 v1, 24, v1 :: v_dual_lshlrev_b32 v3, 20, v6
	v_lshl_add_u32 v2, v2, 23, 0x3c000000
	s_delay_alu instid0(VALU_DEP_2) | instskip(NEXT) | instid1(VALU_DEP_1)
	v_and_b32_e32 v1, 0x80000000, v1
	v_or3_b32 v6, v3, v1, v2
	v_mov_b32_e32 v1, v7
	s_clause 0x1
	scratch_store_b64 off, v[0:1], s32 offset:192
	scratch_store_b64 off, v[6:7], s32 offset:356
.LBB216_2183:                           ;   in Loop: Header=BB216_2096 Depth=1
	s_wait_xcnt 0x0
	s_or_b32 exec_lo, exec_lo, s2
.LBB216_2184:                           ;   in Loop: Header=BB216_2096 Depth=1
	s_delay_alu instid0(SALU_CYCLE_1)
	s_or_b32 exec_lo, exec_lo, s1
.LBB216_2185:                           ;   in Loop: Header=BB216_2096 Depth=1
	s_delay_alu instid0(SALU_CYCLE_1) | instskip(NEXT) | instid1(SALU_CYCLE_1)
	s_or_b32 exec_lo, exec_lo, s0
	s_mov_b32 s0, exec_lo
	v_cmpx_lt_u32_e32 0xffffff, v0
	s_cbranch_execz .LBB216_2193
; %bb.2186:                             ;   in Loop: Header=BB216_2096 Depth=1
	v_mov_b64_e32 v[2:3], 0x8000000000000000
	v_lshrrev_b32_e32 v1, 24, v0
	s_mov_b32 s1, exec_lo
	scratch_store_b64 off, v[2:3], s32 offset:348 ; 8-byte Folded Spill
	s_wait_xcnt 0x0
	v_cmpx_ne_u32_e32 0x80, v1
	s_cbranch_execz .LBB216_2192
; %bb.2187:                             ;   in Loop: Header=BB216_2096 Depth=1
	v_mov_b64_e32 v[4:5], 0x7f80000100000000
	v_bfe_u32 v2, v0, 24, 7
	s_mov_b32 s2, exec_lo
	scratch_store_b64 off, v[4:5], s32 offset:348 ; 8-byte Folded Spill
	s_wait_xcnt 0x0
	v_cmpx_ne_u32_e32 0x7f, v2
	s_cbranch_execz .LBB216_2191
; %bb.2188:                             ;   in Loop: Header=BB216_2096 Depth=1
	scratch_load_b64 v[4:5], off, s32 offset:192 th:TH_LOAD_LU ; 8-byte Folded Reload
	s_wait_loadcnt 0x0
	v_dual_lshrrev_b32 v0, 3, v2 :: v_dual_bitop2_b32 v4, 7, v1 bitop3:0x40
	s_mov_b32 s3, exec_lo
	s_wait_xcnt 0x0
	v_cmpx_gt_u32_e32 8, v2
; %bb.2189:                             ;   in Loop: Header=BB216_2096 Depth=1
	s_delay_alu instid0(VALU_DEP_2) | instskip(NEXT) | instid1(VALU_DEP_1)
	v_clz_i32_u32_e32 v0, v4
	v_min_u32_e32 v0, 32, v0
	s_delay_alu instid0(VALU_DEP_1) | instskip(NEXT) | instid1(VALU_DEP_1)
	v_subrev_nc_u32_e32 v2, 28, v0
	v_lshlrev_b64_e32 v[2:3], v2, v[4:5]
	s_delay_alu instid0(VALU_DEP_1)
	v_dual_sub_nc_u32 v0, 29, v0 :: v_dual_bitop2_b32 v4, 7, v2 bitop3:0x40
; %bb.2190:                             ;   in Loop: Header=BB216_2096 Depth=1
	s_or_b32 exec_lo, exec_lo, s3
	s_delay_alu instid0(VALU_DEP_1) | instskip(NEXT) | instid1(VALU_DEP_2)
	v_dual_lshlrev_b32 v1, 24, v1 :: v_dual_lshlrev_b32 v2, 20, v4
	v_lshl_add_u32 v0, v0, 23, 0x3c000000
	s_delay_alu instid0(VALU_DEP_2) | instskip(NEXT) | instid1(VALU_DEP_1)
	v_and_b32_e32 v1, 0x80000000, v1
	v_or3_b32 v3, v2, v1, v0
	v_dual_mov_b32 v1, v5 :: v_dual_mov_b32 v2, v5
	s_clause 0x1
	scratch_store_b64 off, v[0:1], s32 offset:192
	scratch_store_b64 off, v[2:3], s32 offset:348
.LBB216_2191:                           ;   in Loop: Header=BB216_2096 Depth=1
	s_wait_xcnt 0x0
	s_or_b32 exec_lo, exec_lo, s2
.LBB216_2192:                           ;   in Loop: Header=BB216_2096 Depth=1
	s_delay_alu instid0(SALU_CYCLE_1)
	s_or_b32 exec_lo, exec_lo, s1
.LBB216_2193:                           ;   in Loop: Header=BB216_2096 Depth=1
	s_delay_alu instid0(SALU_CYCLE_1)
	s_or_b32 exec_lo, exec_lo, s0
	flat_load_b32 v0, v[24:25] offset:384
	v_mov_b64_e32 v[2:3], 0
	s_mov_b32 s0, exec_lo
	scratch_store_b64 off, v[2:3], s32 offset:364 ; 8-byte Folded Spill
	s_wait_xcnt 0x0
	v_mov_b64_e32 v[2:3], 0
	scratch_store_b64 off, v[2:3], s32 offset:372 ; 8-byte Folded Spill
	s_wait_loadcnt_dscnt 0x0
	v_and_b32_e32 v1, 0xff, v0
	s_wait_xcnt 0x0
	s_delay_alu instid0(VALU_DEP_1)
	v_cmpx_ne_u16_e32 0, v1
	s_cbranch_execz .LBB216_2201
; %bb.2194:                             ;   in Loop: Header=BB216_2096 Depth=1
	v_mov_b64_e32 v[2:3], 0x80000000
	s_mov_b32 s1, exec_lo
	scratch_store_b64 off, v[2:3], s32 offset:372 ; 8-byte Folded Spill
	s_wait_xcnt 0x0
	v_cmpx_ne_u16_e32 0x80, v1
	s_cbranch_execz .LBB216_2200
; %bb.2195:                             ;   in Loop: Header=BB216_2096 Depth=1
	v_mov_b64_e32 v[4:5], 0x7f800001
	v_and_b32_e32 v2, 0x7f, v0
	s_mov_b32 s2, exec_lo
	scratch_store_b64 off, v[4:5], s32 offset:372 ; 8-byte Folded Spill
	s_wait_xcnt 0x0
	v_cmpx_ne_u32_e32 0x7f, v2
	s_cbranch_execz .LBB216_2199
; %bb.2196:                             ;   in Loop: Header=BB216_2096 Depth=1
	scratch_load_b64 v[4:5], off, s32 offset:192 th:TH_LOAD_LU ; 8-byte Folded Reload
	s_wait_loadcnt 0x0
	v_dual_lshrrev_b32 v1, 3, v2 :: v_dual_bitop2_b32 v4, 7, v0 bitop3:0x40
	s_mov_b32 s3, exec_lo
	s_wait_xcnt 0x0
	v_cmpx_gt_u32_e32 8, v2
; %bb.2197:                             ;   in Loop: Header=BB216_2096 Depth=1
	s_delay_alu instid0(VALU_DEP_2) | instskip(NEXT) | instid1(VALU_DEP_1)
	v_clz_i32_u32_e32 v1, v4
	v_min_u32_e32 v1, 32, v1
	s_delay_alu instid0(VALU_DEP_1) | instskip(NEXT) | instid1(VALU_DEP_1)
	v_subrev_nc_u32_e32 v2, 28, v1
	v_lshlrev_b64_e32 v[2:3], v2, v[4:5]
	s_delay_alu instid0(VALU_DEP_1)
	v_dual_sub_nc_u32 v1, 29, v1 :: v_dual_bitop2_b32 v4, 7, v2 bitop3:0x40
; %bb.2198:                             ;   in Loop: Header=BB216_2096 Depth=1
	s_or_b32 exec_lo, exec_lo, s3
	v_lshlrev_b32_e32 v2, 24, v0
	s_delay_alu instid0(VALU_DEP_2) | instskip(NEXT) | instid1(VALU_DEP_3)
	v_lshlrev_b32_e32 v3, 20, v4
	v_lshl_add_u32 v1, v1, 23, 0x3c000000
	s_delay_alu instid0(VALU_DEP_3) | instskip(NEXT) | instid1(VALU_DEP_1)
	v_and_b32_e32 v2, 0x80000000, v2
	v_or3_b32 v4, v3, v2, v1
	v_mov_b32_e32 v1, v5
	s_clause 0x1
	scratch_store_b64 off, v[0:1], s32 offset:192
	scratch_store_b64 off, v[4:5], s32 offset:372
.LBB216_2199:                           ;   in Loop: Header=BB216_2096 Depth=1
	s_wait_xcnt 0x0
	s_or_b32 exec_lo, exec_lo, s2
.LBB216_2200:                           ;   in Loop: Header=BB216_2096 Depth=1
	s_delay_alu instid0(SALU_CYCLE_1)
	s_or_b32 exec_lo, exec_lo, s1
.LBB216_2201:                           ;   in Loop: Header=BB216_2096 Depth=1
	s_delay_alu instid0(SALU_CYCLE_1) | instskip(SKIP_2) | instid1(VALU_DEP_1)
	s_or_b32 exec_lo, exec_lo, s0
	v_lshrrev_b16 v1, 8, v0
	s_mov_b32 s0, exec_lo
	v_cmpx_ne_u16_e32 0, v1
	s_cbranch_execz .LBB216_2209
; %bb.2202:                             ;   in Loop: Header=BB216_2096 Depth=1
	v_mov_b64_e32 v[2:3], 0x8000000000000000
	s_mov_b32 s1, exec_lo
	scratch_store_b64 off, v[2:3], s32 offset:364 ; 8-byte Folded Spill
	s_wait_xcnt 0x0
	v_cmpx_ne_u16_e32 0x80, v1
	s_cbranch_execz .LBB216_2208
; %bb.2203:                             ;   in Loop: Header=BB216_2096 Depth=1
	v_and_b32_e32 v1, 0xffff, v1
	v_mov_b64_e32 v[4:5], 0x7f80000100000000
	s_mov_b32 s2, exec_lo
	s_delay_alu instid0(VALU_DEP_2)
	v_and_b32_e32 v2, 0x7f, v1
	scratch_store_b64 off, v[4:5], s32 offset:364 ; 8-byte Folded Spill
	s_wait_xcnt 0x0
	v_cmpx_ne_u32_e32 0x7f, v2
	s_cbranch_execz .LBB216_2207
; %bb.2204:                             ;   in Loop: Header=BB216_2096 Depth=1
	scratch_load_b64 v[4:5], off, s32 offset:192 th:TH_LOAD_LU ; 8-byte Folded Reload
	s_wait_loadcnt 0x0
	v_dual_lshrrev_b32 v1, 3, v2 :: v_dual_bitop2_b32 v4, 7, v1 bitop3:0x40
	s_mov_b32 s3, exec_lo
	s_wait_xcnt 0x0
	v_cmpx_gt_u32_e32 8, v2
; %bb.2205:                             ;   in Loop: Header=BB216_2096 Depth=1
	s_delay_alu instid0(VALU_DEP_2) | instskip(NEXT) | instid1(VALU_DEP_1)
	v_clz_i32_u32_e32 v1, v4
	v_min_u32_e32 v1, 32, v1
	s_delay_alu instid0(VALU_DEP_1) | instskip(NEXT) | instid1(VALU_DEP_1)
	v_subrev_nc_u32_e32 v2, 28, v1
	v_lshlrev_b64_e32 v[2:3], v2, v[4:5]
	s_delay_alu instid0(VALU_DEP_1)
	v_dual_sub_nc_u32 v1, 29, v1 :: v_dual_bitop2_b32 v4, 7, v2 bitop3:0x40
; %bb.2206:                             ;   in Loop: Header=BB216_2096 Depth=1
	s_or_b32 exec_lo, exec_lo, s3
	v_lshlrev_b32_e32 v2, 16, v0
	s_delay_alu instid0(VALU_DEP_2) | instskip(NEXT) | instid1(VALU_DEP_3)
	v_lshlrev_b32_e32 v3, 20, v4
	v_lshl_add_u32 v1, v1, 23, 0x3c000000
	s_delay_alu instid0(VALU_DEP_3) | instskip(NEXT) | instid1(VALU_DEP_1)
	v_and_b32_e32 v2, 0x80000000, v2
	v_or3_b32 v3, v3, v2, v1
	v_dual_mov_b32 v1, v5 :: v_dual_mov_b32 v2, v5
	s_clause 0x1
	scratch_store_b64 off, v[0:1], s32 offset:192
	scratch_store_b64 off, v[2:3], s32 offset:364
.LBB216_2207:                           ;   in Loop: Header=BB216_2096 Depth=1
	s_wait_xcnt 0x0
	s_or_b32 exec_lo, exec_lo, s2
.LBB216_2208:                           ;   in Loop: Header=BB216_2096 Depth=1
	s_delay_alu instid0(SALU_CYCLE_1)
	s_or_b32 exec_lo, exec_lo, s1
.LBB216_2209:                           ;   in Loop: Header=BB216_2096 Depth=1
	s_delay_alu instid0(SALU_CYCLE_1) | instskip(SKIP_3) | instid1(VALU_DEP_1)
	s_or_b32 exec_lo, exec_lo, s0
	v_mov_b64_e32 v[4:5], 0
	v_lshrrev_b32_e32 v1, 16, v0
	s_mov_b32 s0, exec_lo
	v_and_b32_e32 v2, 0xff, v1
	scratch_store_b64 off, v[4:5], s32 offset:380 ; 8-byte Folded Spill
	s_wait_xcnt 0x0
	v_mov_b64_e32 v[4:5], 0
	scratch_store_b64 off, v[4:5], s32 offset:388 ; 8-byte Folded Spill
	s_wait_xcnt 0x0
	v_cmpx_ne_u16_e32 0, v2
	s_cbranch_execz .LBB216_2217
; %bb.2210:                             ;   in Loop: Header=BB216_2096 Depth=1
	v_cmp_ne_u16_e32 vcc_lo, 0x80, v2
	v_mov_b64_e32 v[2:3], 0x80000000
	scratch_store_b64 off, v[2:3], s32 offset:388 ; 8-byte Folded Spill
	s_wait_xcnt 0x0
	s_and_saveexec_b32 s1, vcc_lo
	s_cbranch_execz .LBB216_2216
; %bb.2211:                             ;   in Loop: Header=BB216_2096 Depth=1
	v_mov_b64_e32 v[4:5], 0x7f800001
	v_bfe_u32 v3, v0, 16, 7
	s_mov_b32 s2, exec_lo
	scratch_store_b64 off, v[4:5], s32 offset:388 ; 8-byte Folded Spill
	s_wait_xcnt 0x0
	v_cmpx_ne_u32_e32 0x7f, v3
	s_cbranch_execz .LBB216_2215
; %bb.2212:                             ;   in Loop: Header=BB216_2096 Depth=1
	scratch_load_b64 v[6:7], off, s32 offset:192 th:TH_LOAD_LU ; 8-byte Folded Reload
	s_wait_loadcnt 0x0
	v_dual_lshrrev_b32 v2, 3, v3 :: v_dual_bitop2_b32 v6, 7, v1 bitop3:0x40
	s_mov_b32 s3, exec_lo
	s_wait_xcnt 0x0
	v_cmpx_gt_u32_e32 8, v3
; %bb.2213:                             ;   in Loop: Header=BB216_2096 Depth=1
	s_delay_alu instid0(VALU_DEP_2) | instskip(NEXT) | instid1(VALU_DEP_1)
	v_clz_i32_u32_e32 v2, v6
	v_min_u32_e32 v2, 32, v2
	s_delay_alu instid0(VALU_DEP_1) | instskip(NEXT) | instid1(VALU_DEP_1)
	v_subrev_nc_u32_e32 v3, 28, v2
	v_lshlrev_b64_e32 v[4:5], v3, v[6:7]
	s_delay_alu instid0(VALU_DEP_1)
	v_dual_sub_nc_u32 v2, 29, v2 :: v_dual_bitop2_b32 v6, 7, v4 bitop3:0x40
; %bb.2214:                             ;   in Loop: Header=BB216_2096 Depth=1
	s_or_b32 exec_lo, exec_lo, s3
	s_delay_alu instid0(VALU_DEP_1) | instskip(NEXT) | instid1(VALU_DEP_2)
	v_dual_lshlrev_b32 v1, 24, v1 :: v_dual_lshlrev_b32 v3, 20, v6
	v_lshl_add_u32 v2, v2, 23, 0x3c000000
	s_delay_alu instid0(VALU_DEP_2) | instskip(NEXT) | instid1(VALU_DEP_1)
	v_and_b32_e32 v1, 0x80000000, v1
	v_or3_b32 v6, v3, v1, v2
	v_mov_b32_e32 v1, v7
	s_clause 0x1
	scratch_store_b64 off, v[0:1], s32 offset:192
	scratch_store_b64 off, v[6:7], s32 offset:388
.LBB216_2215:                           ;   in Loop: Header=BB216_2096 Depth=1
	s_wait_xcnt 0x0
	s_or_b32 exec_lo, exec_lo, s2
.LBB216_2216:                           ;   in Loop: Header=BB216_2096 Depth=1
	s_delay_alu instid0(SALU_CYCLE_1)
	s_or_b32 exec_lo, exec_lo, s1
.LBB216_2217:                           ;   in Loop: Header=BB216_2096 Depth=1
	s_delay_alu instid0(SALU_CYCLE_1) | instskip(NEXT) | instid1(SALU_CYCLE_1)
	s_or_b32 exec_lo, exec_lo, s0
	s_mov_b32 s0, exec_lo
	v_cmpx_lt_u32_e32 0xffffff, v0
	s_cbranch_execz .LBB216_2225
; %bb.2218:                             ;   in Loop: Header=BB216_2096 Depth=1
	v_mov_b64_e32 v[2:3], 0x8000000000000000
	v_lshrrev_b32_e32 v1, 24, v0
	s_mov_b32 s1, exec_lo
	scratch_store_b64 off, v[2:3], s32 offset:380 ; 8-byte Folded Spill
	s_wait_xcnt 0x0
	v_cmpx_ne_u32_e32 0x80, v1
	s_cbranch_execz .LBB216_2224
; %bb.2219:                             ;   in Loop: Header=BB216_2096 Depth=1
	v_mov_b64_e32 v[4:5], 0x7f80000100000000
	v_bfe_u32 v2, v0, 24, 7
	s_mov_b32 s2, exec_lo
	scratch_store_b64 off, v[4:5], s32 offset:380 ; 8-byte Folded Spill
	s_wait_xcnt 0x0
	v_cmpx_ne_u32_e32 0x7f, v2
	s_cbranch_execz .LBB216_2223
; %bb.2220:                             ;   in Loop: Header=BB216_2096 Depth=1
	scratch_load_b64 v[4:5], off, s32 offset:192 th:TH_LOAD_LU ; 8-byte Folded Reload
	s_wait_loadcnt 0x0
	v_dual_lshrrev_b32 v0, 3, v2 :: v_dual_bitop2_b32 v4, 7, v1 bitop3:0x40
	s_mov_b32 s3, exec_lo
	s_wait_xcnt 0x0
	v_cmpx_gt_u32_e32 8, v2
; %bb.2221:                             ;   in Loop: Header=BB216_2096 Depth=1
	s_delay_alu instid0(VALU_DEP_2) | instskip(NEXT) | instid1(VALU_DEP_1)
	v_clz_i32_u32_e32 v0, v4
	v_min_u32_e32 v0, 32, v0
	s_delay_alu instid0(VALU_DEP_1) | instskip(NEXT) | instid1(VALU_DEP_1)
	v_subrev_nc_u32_e32 v2, 28, v0
	v_lshlrev_b64_e32 v[2:3], v2, v[4:5]
	s_delay_alu instid0(VALU_DEP_1)
	v_dual_sub_nc_u32 v0, 29, v0 :: v_dual_bitop2_b32 v4, 7, v2 bitop3:0x40
; %bb.2222:                             ;   in Loop: Header=BB216_2096 Depth=1
	s_or_b32 exec_lo, exec_lo, s3
	s_delay_alu instid0(VALU_DEP_1) | instskip(NEXT) | instid1(VALU_DEP_2)
	v_dual_lshlrev_b32 v1, 24, v1 :: v_dual_lshlrev_b32 v2, 20, v4
	v_lshl_add_u32 v0, v0, 23, 0x3c000000
	s_delay_alu instid0(VALU_DEP_2) | instskip(NEXT) | instid1(VALU_DEP_1)
	v_and_b32_e32 v1, 0x80000000, v1
	v_or3_b32 v3, v2, v1, v0
	v_dual_mov_b32 v1, v5 :: v_dual_mov_b32 v2, v5
	s_clause 0x1
	scratch_store_b64 off, v[0:1], s32 offset:192
	scratch_store_b64 off, v[2:3], s32 offset:380
.LBB216_2223:                           ;   in Loop: Header=BB216_2096 Depth=1
	s_wait_xcnt 0x0
	s_or_b32 exec_lo, exec_lo, s2
.LBB216_2224:                           ;   in Loop: Header=BB216_2096 Depth=1
	s_delay_alu instid0(SALU_CYCLE_1)
	s_or_b32 exec_lo, exec_lo, s1
.LBB216_2225:                           ;   in Loop: Header=BB216_2096 Depth=1
	s_delay_alu instid0(SALU_CYCLE_1)
	s_or_b32 exec_lo, exec_lo, s0
	flat_load_b32 v0, v[24:25] offset:512
	v_mov_b64_e32 v[2:3], 0
	s_mov_b32 s0, exec_lo
	scratch_store_b64 off, v[2:3], s32 offset:396 ; 8-byte Folded Spill
	s_wait_xcnt 0x0
	v_mov_b64_e32 v[2:3], 0
	scratch_store_b64 off, v[2:3], s32 offset:404 ; 8-byte Folded Spill
	s_wait_loadcnt_dscnt 0x0
	v_and_b32_e32 v1, 0xff, v0
	s_wait_xcnt 0x0
	s_delay_alu instid0(VALU_DEP_1)
	v_cmpx_ne_u16_e32 0, v1
	s_cbranch_execz .LBB216_2233
; %bb.2226:                             ;   in Loop: Header=BB216_2096 Depth=1
	v_mov_b64_e32 v[2:3], 0x80000000
	s_mov_b32 s1, exec_lo
	scratch_store_b64 off, v[2:3], s32 offset:404 ; 8-byte Folded Spill
	s_wait_xcnt 0x0
	v_cmpx_ne_u16_e32 0x80, v1
	s_cbranch_execz .LBB216_2232
; %bb.2227:                             ;   in Loop: Header=BB216_2096 Depth=1
	v_mov_b64_e32 v[4:5], 0x7f800001
	v_and_b32_e32 v2, 0x7f, v0
	s_mov_b32 s2, exec_lo
	scratch_store_b64 off, v[4:5], s32 offset:404 ; 8-byte Folded Spill
	s_wait_xcnt 0x0
	v_cmpx_ne_u32_e32 0x7f, v2
	s_cbranch_execz .LBB216_2231
; %bb.2228:                             ;   in Loop: Header=BB216_2096 Depth=1
	scratch_load_b64 v[4:5], off, s32 offset:192 th:TH_LOAD_LU ; 8-byte Folded Reload
	s_wait_loadcnt 0x0
	v_dual_lshrrev_b32 v1, 3, v2 :: v_dual_bitop2_b32 v4, 7, v0 bitop3:0x40
	s_mov_b32 s3, exec_lo
	s_wait_xcnt 0x0
	v_cmpx_gt_u32_e32 8, v2
; %bb.2229:                             ;   in Loop: Header=BB216_2096 Depth=1
	s_delay_alu instid0(VALU_DEP_2) | instskip(NEXT) | instid1(VALU_DEP_1)
	v_clz_i32_u32_e32 v1, v4
	v_min_u32_e32 v1, 32, v1
	s_delay_alu instid0(VALU_DEP_1) | instskip(NEXT) | instid1(VALU_DEP_1)
	v_subrev_nc_u32_e32 v2, 28, v1
	v_lshlrev_b64_e32 v[2:3], v2, v[4:5]
	s_delay_alu instid0(VALU_DEP_1)
	v_dual_sub_nc_u32 v1, 29, v1 :: v_dual_bitop2_b32 v4, 7, v2 bitop3:0x40
; %bb.2230:                             ;   in Loop: Header=BB216_2096 Depth=1
	s_or_b32 exec_lo, exec_lo, s3
	v_lshlrev_b32_e32 v2, 24, v0
	s_delay_alu instid0(VALU_DEP_2) | instskip(NEXT) | instid1(VALU_DEP_3)
	v_lshlrev_b32_e32 v3, 20, v4
	v_lshl_add_u32 v1, v1, 23, 0x3c000000
	s_delay_alu instid0(VALU_DEP_3) | instskip(NEXT) | instid1(VALU_DEP_1)
	v_and_b32_e32 v2, 0x80000000, v2
	v_or3_b32 v4, v3, v2, v1
	v_mov_b32_e32 v1, v5
	s_clause 0x1
	scratch_store_b64 off, v[0:1], s32 offset:192
	scratch_store_b64 off, v[4:5], s32 offset:404
.LBB216_2231:                           ;   in Loop: Header=BB216_2096 Depth=1
	s_wait_xcnt 0x0
	s_or_b32 exec_lo, exec_lo, s2
.LBB216_2232:                           ;   in Loop: Header=BB216_2096 Depth=1
	s_delay_alu instid0(SALU_CYCLE_1)
	s_or_b32 exec_lo, exec_lo, s1
.LBB216_2233:                           ;   in Loop: Header=BB216_2096 Depth=1
	s_delay_alu instid0(SALU_CYCLE_1) | instskip(SKIP_2) | instid1(VALU_DEP_1)
	s_or_b32 exec_lo, exec_lo, s0
	v_lshrrev_b16 v1, 8, v0
	s_mov_b32 s0, exec_lo
	v_cmpx_ne_u16_e32 0, v1
	s_cbranch_execz .LBB216_2241
; %bb.2234:                             ;   in Loop: Header=BB216_2096 Depth=1
	v_mov_b64_e32 v[2:3], 0x8000000000000000
	s_mov_b32 s1, exec_lo
	scratch_store_b64 off, v[2:3], s32 offset:396 ; 8-byte Folded Spill
	s_wait_xcnt 0x0
	v_cmpx_ne_u16_e32 0x80, v1
	s_cbranch_execz .LBB216_2240
; %bb.2235:                             ;   in Loop: Header=BB216_2096 Depth=1
	v_and_b32_e32 v1, 0xffff, v1
	v_mov_b64_e32 v[4:5], 0x7f80000100000000
	s_mov_b32 s2, exec_lo
	s_delay_alu instid0(VALU_DEP_2)
	v_and_b32_e32 v2, 0x7f, v1
	scratch_store_b64 off, v[4:5], s32 offset:396 ; 8-byte Folded Spill
	s_wait_xcnt 0x0
	v_cmpx_ne_u32_e32 0x7f, v2
	s_cbranch_execz .LBB216_2239
; %bb.2236:                             ;   in Loop: Header=BB216_2096 Depth=1
	scratch_load_b64 v[4:5], off, s32 offset:192 th:TH_LOAD_LU ; 8-byte Folded Reload
	s_wait_loadcnt 0x0
	v_dual_lshrrev_b32 v1, 3, v2 :: v_dual_bitop2_b32 v4, 7, v1 bitop3:0x40
	s_mov_b32 s3, exec_lo
	s_wait_xcnt 0x0
	v_cmpx_gt_u32_e32 8, v2
; %bb.2237:                             ;   in Loop: Header=BB216_2096 Depth=1
	s_delay_alu instid0(VALU_DEP_2) | instskip(NEXT) | instid1(VALU_DEP_1)
	v_clz_i32_u32_e32 v1, v4
	v_min_u32_e32 v1, 32, v1
	s_delay_alu instid0(VALU_DEP_1) | instskip(NEXT) | instid1(VALU_DEP_1)
	v_subrev_nc_u32_e32 v2, 28, v1
	v_lshlrev_b64_e32 v[2:3], v2, v[4:5]
	s_delay_alu instid0(VALU_DEP_1)
	v_dual_sub_nc_u32 v1, 29, v1 :: v_dual_bitop2_b32 v4, 7, v2 bitop3:0x40
; %bb.2238:                             ;   in Loop: Header=BB216_2096 Depth=1
	s_or_b32 exec_lo, exec_lo, s3
	v_lshlrev_b32_e32 v2, 16, v0
	s_delay_alu instid0(VALU_DEP_2) | instskip(NEXT) | instid1(VALU_DEP_3)
	v_lshlrev_b32_e32 v3, 20, v4
	v_lshl_add_u32 v1, v1, 23, 0x3c000000
	s_delay_alu instid0(VALU_DEP_3) | instskip(NEXT) | instid1(VALU_DEP_1)
	v_and_b32_e32 v2, 0x80000000, v2
	v_or3_b32 v3, v3, v2, v1
	v_dual_mov_b32 v1, v5 :: v_dual_mov_b32 v2, v5
	s_clause 0x1
	scratch_store_b64 off, v[0:1], s32 offset:192
	scratch_store_b64 off, v[2:3], s32 offset:396
.LBB216_2239:                           ;   in Loop: Header=BB216_2096 Depth=1
	s_wait_xcnt 0x0
	s_or_b32 exec_lo, exec_lo, s2
.LBB216_2240:                           ;   in Loop: Header=BB216_2096 Depth=1
	s_delay_alu instid0(SALU_CYCLE_1)
	s_or_b32 exec_lo, exec_lo, s1
.LBB216_2241:                           ;   in Loop: Header=BB216_2096 Depth=1
	s_delay_alu instid0(SALU_CYCLE_1) | instskip(SKIP_3) | instid1(VALU_DEP_1)
	s_or_b32 exec_lo, exec_lo, s0
	v_mov_b64_e32 v[4:5], 0
	v_lshrrev_b32_e32 v1, 16, v0
	s_mov_b32 s0, exec_lo
	v_and_b32_e32 v2, 0xff, v1
	scratch_store_b64 off, v[4:5], s32 offset:412 ; 8-byte Folded Spill
	s_wait_xcnt 0x0
	v_mov_b64_e32 v[4:5], 0
	scratch_store_b64 off, v[4:5], s32 offset:420 ; 8-byte Folded Spill
	s_wait_xcnt 0x0
	v_cmpx_ne_u16_e32 0, v2
	s_cbranch_execz .LBB216_2249
; %bb.2242:                             ;   in Loop: Header=BB216_2096 Depth=1
	v_cmp_ne_u16_e32 vcc_lo, 0x80, v2
	v_mov_b64_e32 v[2:3], 0x80000000
	scratch_store_b64 off, v[2:3], s32 offset:420 ; 8-byte Folded Spill
	s_wait_xcnt 0x0
	s_and_saveexec_b32 s1, vcc_lo
	s_cbranch_execz .LBB216_2248
; %bb.2243:                             ;   in Loop: Header=BB216_2096 Depth=1
	v_mov_b64_e32 v[4:5], 0x7f800001
	v_bfe_u32 v3, v0, 16, 7
	s_mov_b32 s2, exec_lo
	scratch_store_b64 off, v[4:5], s32 offset:420 ; 8-byte Folded Spill
	s_wait_xcnt 0x0
	v_cmpx_ne_u32_e32 0x7f, v3
	s_cbranch_execz .LBB216_2247
; %bb.2244:                             ;   in Loop: Header=BB216_2096 Depth=1
	scratch_load_b64 v[6:7], off, s32 offset:192 th:TH_LOAD_LU ; 8-byte Folded Reload
	s_wait_loadcnt 0x0
	v_dual_lshrrev_b32 v2, 3, v3 :: v_dual_bitop2_b32 v6, 7, v1 bitop3:0x40
	s_mov_b32 s3, exec_lo
	s_wait_xcnt 0x0
	v_cmpx_gt_u32_e32 8, v3
; %bb.2245:                             ;   in Loop: Header=BB216_2096 Depth=1
	s_delay_alu instid0(VALU_DEP_2) | instskip(NEXT) | instid1(VALU_DEP_1)
	v_clz_i32_u32_e32 v2, v6
	v_min_u32_e32 v2, 32, v2
	s_delay_alu instid0(VALU_DEP_1) | instskip(NEXT) | instid1(VALU_DEP_1)
	v_subrev_nc_u32_e32 v3, 28, v2
	v_lshlrev_b64_e32 v[4:5], v3, v[6:7]
	s_delay_alu instid0(VALU_DEP_1)
	v_dual_sub_nc_u32 v2, 29, v2 :: v_dual_bitop2_b32 v6, 7, v4 bitop3:0x40
; %bb.2246:                             ;   in Loop: Header=BB216_2096 Depth=1
	s_or_b32 exec_lo, exec_lo, s3
	s_delay_alu instid0(VALU_DEP_1) | instskip(NEXT) | instid1(VALU_DEP_2)
	v_dual_lshlrev_b32 v1, 24, v1 :: v_dual_lshlrev_b32 v3, 20, v6
	v_lshl_add_u32 v2, v2, 23, 0x3c000000
	s_delay_alu instid0(VALU_DEP_2) | instskip(NEXT) | instid1(VALU_DEP_1)
	v_and_b32_e32 v1, 0x80000000, v1
	v_or3_b32 v6, v3, v1, v2
	v_mov_b32_e32 v1, v7
	s_clause 0x1
	scratch_store_b64 off, v[0:1], s32 offset:192
	scratch_store_b64 off, v[6:7], s32 offset:420
.LBB216_2247:                           ;   in Loop: Header=BB216_2096 Depth=1
	s_wait_xcnt 0x0
	s_or_b32 exec_lo, exec_lo, s2
.LBB216_2248:                           ;   in Loop: Header=BB216_2096 Depth=1
	s_delay_alu instid0(SALU_CYCLE_1)
	s_or_b32 exec_lo, exec_lo, s1
.LBB216_2249:                           ;   in Loop: Header=BB216_2096 Depth=1
	s_delay_alu instid0(SALU_CYCLE_1) | instskip(NEXT) | instid1(SALU_CYCLE_1)
	s_or_b32 exec_lo, exec_lo, s0
	s_mov_b32 s0, exec_lo
	v_cmpx_lt_u32_e32 0xffffff, v0
	s_cbranch_execz .LBB216_2257
; %bb.2250:                             ;   in Loop: Header=BB216_2096 Depth=1
	v_mov_b64_e32 v[2:3], 0x8000000000000000
	v_lshrrev_b32_e32 v1, 24, v0
	s_mov_b32 s1, exec_lo
	scratch_store_b64 off, v[2:3], s32 offset:412 ; 8-byte Folded Spill
	s_wait_xcnt 0x0
	v_cmpx_ne_u32_e32 0x80, v1
	s_cbranch_execz .LBB216_2256
; %bb.2251:                             ;   in Loop: Header=BB216_2096 Depth=1
	v_mov_b64_e32 v[4:5], 0x7f80000100000000
	v_bfe_u32 v2, v0, 24, 7
	s_mov_b32 s2, exec_lo
	scratch_store_b64 off, v[4:5], s32 offset:412 ; 8-byte Folded Spill
	s_wait_xcnt 0x0
	v_cmpx_ne_u32_e32 0x7f, v2
	s_cbranch_execz .LBB216_2255
; %bb.2252:                             ;   in Loop: Header=BB216_2096 Depth=1
	scratch_load_b64 v[4:5], off, s32 offset:192 th:TH_LOAD_LU ; 8-byte Folded Reload
	s_wait_loadcnt 0x0
	v_dual_lshrrev_b32 v0, 3, v2 :: v_dual_bitop2_b32 v4, 7, v1 bitop3:0x40
	s_mov_b32 s3, exec_lo
	s_wait_xcnt 0x0
	v_cmpx_gt_u32_e32 8, v2
; %bb.2253:                             ;   in Loop: Header=BB216_2096 Depth=1
	s_delay_alu instid0(VALU_DEP_2) | instskip(NEXT) | instid1(VALU_DEP_1)
	v_clz_i32_u32_e32 v0, v4
	v_min_u32_e32 v0, 32, v0
	s_delay_alu instid0(VALU_DEP_1) | instskip(NEXT) | instid1(VALU_DEP_1)
	v_subrev_nc_u32_e32 v2, 28, v0
	v_lshlrev_b64_e32 v[2:3], v2, v[4:5]
	s_delay_alu instid0(VALU_DEP_1)
	v_dual_sub_nc_u32 v0, 29, v0 :: v_dual_bitop2_b32 v4, 7, v2 bitop3:0x40
; %bb.2254:                             ;   in Loop: Header=BB216_2096 Depth=1
	s_or_b32 exec_lo, exec_lo, s3
	s_delay_alu instid0(VALU_DEP_1) | instskip(NEXT) | instid1(VALU_DEP_2)
	v_dual_lshlrev_b32 v1, 24, v1 :: v_dual_lshlrev_b32 v2, 20, v4
	v_lshl_add_u32 v0, v0, 23, 0x3c000000
	s_delay_alu instid0(VALU_DEP_2) | instskip(NEXT) | instid1(VALU_DEP_1)
	v_and_b32_e32 v1, 0x80000000, v1
	v_or3_b32 v3, v2, v1, v0
	v_dual_mov_b32 v1, v5 :: v_dual_mov_b32 v2, v5
	s_clause 0x1
	scratch_store_b64 off, v[0:1], s32 offset:192
	scratch_store_b64 off, v[2:3], s32 offset:412
.LBB216_2255:                           ;   in Loop: Header=BB216_2096 Depth=1
	s_wait_xcnt 0x0
	s_or_b32 exec_lo, exec_lo, s2
.LBB216_2256:                           ;   in Loop: Header=BB216_2096 Depth=1
	s_delay_alu instid0(SALU_CYCLE_1)
	s_or_b32 exec_lo, exec_lo, s1
.LBB216_2257:                           ;   in Loop: Header=BB216_2096 Depth=1
	s_delay_alu instid0(SALU_CYCLE_1)
	s_or_b32 exec_lo, exec_lo, s0
	flat_load_b32 v0, v[24:25] offset:640
	v_mov_b64_e32 v[2:3], 0
	s_mov_b32 s0, exec_lo
	scratch_store_b64 off, v[2:3], s32 offset:428 ; 8-byte Folded Spill
	s_wait_xcnt 0x0
	v_mov_b64_e32 v[2:3], 0
	scratch_store_b64 off, v[2:3], s32 offset:436 ; 8-byte Folded Spill
	s_wait_loadcnt_dscnt 0x0
	v_and_b32_e32 v1, 0xff, v0
	s_wait_xcnt 0x0
	s_delay_alu instid0(VALU_DEP_1)
	v_cmpx_ne_u16_e32 0, v1
	s_cbranch_execz .LBB216_2265
; %bb.2258:                             ;   in Loop: Header=BB216_2096 Depth=1
	v_mov_b64_e32 v[2:3], 0x80000000
	s_mov_b32 s1, exec_lo
	scratch_store_b64 off, v[2:3], s32 offset:436 ; 8-byte Folded Spill
	s_wait_xcnt 0x0
	v_cmpx_ne_u16_e32 0x80, v1
	s_cbranch_execz .LBB216_2264
; %bb.2259:                             ;   in Loop: Header=BB216_2096 Depth=1
	v_mov_b64_e32 v[4:5], 0x7f800001
	v_and_b32_e32 v2, 0x7f, v0
	s_mov_b32 s2, exec_lo
	scratch_store_b64 off, v[4:5], s32 offset:436 ; 8-byte Folded Spill
	s_wait_xcnt 0x0
	v_cmpx_ne_u32_e32 0x7f, v2
	s_cbranch_execz .LBB216_2263
; %bb.2260:                             ;   in Loop: Header=BB216_2096 Depth=1
	scratch_load_b64 v[4:5], off, s32 offset:192 th:TH_LOAD_LU ; 8-byte Folded Reload
	s_wait_loadcnt 0x0
	v_dual_lshrrev_b32 v1, 3, v2 :: v_dual_bitop2_b32 v4, 7, v0 bitop3:0x40
	s_mov_b32 s3, exec_lo
	s_wait_xcnt 0x0
	v_cmpx_gt_u32_e32 8, v2
; %bb.2261:                             ;   in Loop: Header=BB216_2096 Depth=1
	s_delay_alu instid0(VALU_DEP_2) | instskip(NEXT) | instid1(VALU_DEP_1)
	v_clz_i32_u32_e32 v1, v4
	v_min_u32_e32 v1, 32, v1
	s_delay_alu instid0(VALU_DEP_1) | instskip(NEXT) | instid1(VALU_DEP_1)
	v_subrev_nc_u32_e32 v2, 28, v1
	v_lshlrev_b64_e32 v[2:3], v2, v[4:5]
	s_delay_alu instid0(VALU_DEP_1)
	v_dual_sub_nc_u32 v1, 29, v1 :: v_dual_bitop2_b32 v4, 7, v2 bitop3:0x40
; %bb.2262:                             ;   in Loop: Header=BB216_2096 Depth=1
	s_or_b32 exec_lo, exec_lo, s3
	v_lshlrev_b32_e32 v2, 24, v0
	s_delay_alu instid0(VALU_DEP_2) | instskip(NEXT) | instid1(VALU_DEP_3)
	v_lshlrev_b32_e32 v3, 20, v4
	v_lshl_add_u32 v1, v1, 23, 0x3c000000
	s_delay_alu instid0(VALU_DEP_3) | instskip(NEXT) | instid1(VALU_DEP_1)
	v_and_b32_e32 v2, 0x80000000, v2
	v_or3_b32 v4, v3, v2, v1
	v_mov_b32_e32 v1, v5
	s_clause 0x1
	scratch_store_b64 off, v[0:1], s32 offset:192
	scratch_store_b64 off, v[4:5], s32 offset:436
.LBB216_2263:                           ;   in Loop: Header=BB216_2096 Depth=1
	s_wait_xcnt 0x0
	s_or_b32 exec_lo, exec_lo, s2
.LBB216_2264:                           ;   in Loop: Header=BB216_2096 Depth=1
	s_delay_alu instid0(SALU_CYCLE_1)
	s_or_b32 exec_lo, exec_lo, s1
.LBB216_2265:                           ;   in Loop: Header=BB216_2096 Depth=1
	s_delay_alu instid0(SALU_CYCLE_1) | instskip(SKIP_2) | instid1(VALU_DEP_1)
	s_or_b32 exec_lo, exec_lo, s0
	v_lshrrev_b16 v1, 8, v0
	s_mov_b32 s0, exec_lo
	v_cmpx_ne_u16_e32 0, v1
	s_cbranch_execz .LBB216_2273
; %bb.2266:                             ;   in Loop: Header=BB216_2096 Depth=1
	v_mov_b64_e32 v[2:3], 0x8000000000000000
	s_mov_b32 s1, exec_lo
	scratch_store_b64 off, v[2:3], s32 offset:428 ; 8-byte Folded Spill
	s_wait_xcnt 0x0
	v_cmpx_ne_u16_e32 0x80, v1
	s_cbranch_execz .LBB216_2272
; %bb.2267:                             ;   in Loop: Header=BB216_2096 Depth=1
	v_and_b32_e32 v1, 0xffff, v1
	v_mov_b64_e32 v[4:5], 0x7f80000100000000
	s_mov_b32 s2, exec_lo
	s_delay_alu instid0(VALU_DEP_2)
	v_and_b32_e32 v2, 0x7f, v1
	scratch_store_b64 off, v[4:5], s32 offset:428 ; 8-byte Folded Spill
	s_wait_xcnt 0x0
	v_cmpx_ne_u32_e32 0x7f, v2
	s_cbranch_execz .LBB216_2271
; %bb.2268:                             ;   in Loop: Header=BB216_2096 Depth=1
	scratch_load_b64 v[4:5], off, s32 offset:192 th:TH_LOAD_LU ; 8-byte Folded Reload
	s_wait_loadcnt 0x0
	v_dual_lshrrev_b32 v1, 3, v2 :: v_dual_bitop2_b32 v4, 7, v1 bitop3:0x40
	s_mov_b32 s3, exec_lo
	s_wait_xcnt 0x0
	v_cmpx_gt_u32_e32 8, v2
; %bb.2269:                             ;   in Loop: Header=BB216_2096 Depth=1
	s_delay_alu instid0(VALU_DEP_2) | instskip(NEXT) | instid1(VALU_DEP_1)
	v_clz_i32_u32_e32 v1, v4
	v_min_u32_e32 v1, 32, v1
	s_delay_alu instid0(VALU_DEP_1) | instskip(NEXT) | instid1(VALU_DEP_1)
	v_subrev_nc_u32_e32 v2, 28, v1
	v_lshlrev_b64_e32 v[2:3], v2, v[4:5]
	s_delay_alu instid0(VALU_DEP_1)
	v_dual_sub_nc_u32 v1, 29, v1 :: v_dual_bitop2_b32 v4, 7, v2 bitop3:0x40
; %bb.2270:                             ;   in Loop: Header=BB216_2096 Depth=1
	s_or_b32 exec_lo, exec_lo, s3
	v_lshlrev_b32_e32 v2, 16, v0
	s_delay_alu instid0(VALU_DEP_2) | instskip(NEXT) | instid1(VALU_DEP_3)
	v_lshlrev_b32_e32 v3, 20, v4
	v_lshl_add_u32 v1, v1, 23, 0x3c000000
	s_delay_alu instid0(VALU_DEP_3) | instskip(NEXT) | instid1(VALU_DEP_1)
	v_and_b32_e32 v2, 0x80000000, v2
	v_or3_b32 v3, v3, v2, v1
	v_dual_mov_b32 v1, v5 :: v_dual_mov_b32 v2, v5
	s_clause 0x1
	scratch_store_b64 off, v[0:1], s32 offset:192
	scratch_store_b64 off, v[2:3], s32 offset:428
.LBB216_2271:                           ;   in Loop: Header=BB216_2096 Depth=1
	s_wait_xcnt 0x0
	s_or_b32 exec_lo, exec_lo, s2
.LBB216_2272:                           ;   in Loop: Header=BB216_2096 Depth=1
	s_delay_alu instid0(SALU_CYCLE_1)
	s_or_b32 exec_lo, exec_lo, s1
.LBB216_2273:                           ;   in Loop: Header=BB216_2096 Depth=1
	s_delay_alu instid0(SALU_CYCLE_1) | instskip(SKIP_3) | instid1(VALU_DEP_1)
	s_or_b32 exec_lo, exec_lo, s0
	v_mov_b64_e32 v[4:5], 0
	v_lshrrev_b32_e32 v1, 16, v0
	s_mov_b32 s0, exec_lo
	v_and_b32_e32 v2, 0xff, v1
	scratch_store_b64 off, v[4:5], s32 offset:444 ; 8-byte Folded Spill
	s_wait_xcnt 0x0
	v_mov_b64_e32 v[4:5], 0
	scratch_store_b64 off, v[4:5], s32 offset:452 ; 8-byte Folded Spill
	s_wait_xcnt 0x0
	v_cmpx_ne_u16_e32 0, v2
	s_cbranch_execz .LBB216_2281
; %bb.2274:                             ;   in Loop: Header=BB216_2096 Depth=1
	v_cmp_ne_u16_e32 vcc_lo, 0x80, v2
	v_mov_b64_e32 v[2:3], 0x80000000
	scratch_store_b64 off, v[2:3], s32 offset:452 ; 8-byte Folded Spill
	s_wait_xcnt 0x0
	s_and_saveexec_b32 s1, vcc_lo
	s_cbranch_execz .LBB216_2280
; %bb.2275:                             ;   in Loop: Header=BB216_2096 Depth=1
	v_mov_b64_e32 v[4:5], 0x7f800001
	v_bfe_u32 v3, v0, 16, 7
	s_mov_b32 s2, exec_lo
	scratch_store_b64 off, v[4:5], s32 offset:452 ; 8-byte Folded Spill
	s_wait_xcnt 0x0
	v_cmpx_ne_u32_e32 0x7f, v3
	s_cbranch_execz .LBB216_2279
; %bb.2276:                             ;   in Loop: Header=BB216_2096 Depth=1
	scratch_load_b64 v[6:7], off, s32 offset:192 th:TH_LOAD_LU ; 8-byte Folded Reload
	s_wait_loadcnt 0x0
	v_dual_lshrrev_b32 v2, 3, v3 :: v_dual_bitop2_b32 v6, 7, v1 bitop3:0x40
	s_mov_b32 s3, exec_lo
	s_wait_xcnt 0x0
	v_cmpx_gt_u32_e32 8, v3
; %bb.2277:                             ;   in Loop: Header=BB216_2096 Depth=1
	s_delay_alu instid0(VALU_DEP_2) | instskip(NEXT) | instid1(VALU_DEP_1)
	v_clz_i32_u32_e32 v2, v6
	v_min_u32_e32 v2, 32, v2
	s_delay_alu instid0(VALU_DEP_1) | instskip(NEXT) | instid1(VALU_DEP_1)
	v_subrev_nc_u32_e32 v3, 28, v2
	v_lshlrev_b64_e32 v[4:5], v3, v[6:7]
	s_delay_alu instid0(VALU_DEP_1)
	v_dual_sub_nc_u32 v2, 29, v2 :: v_dual_bitop2_b32 v6, 7, v4 bitop3:0x40
; %bb.2278:                             ;   in Loop: Header=BB216_2096 Depth=1
	s_or_b32 exec_lo, exec_lo, s3
	s_delay_alu instid0(VALU_DEP_1) | instskip(NEXT) | instid1(VALU_DEP_2)
	v_dual_lshlrev_b32 v1, 24, v1 :: v_dual_lshlrev_b32 v3, 20, v6
	v_lshl_add_u32 v2, v2, 23, 0x3c000000
	s_delay_alu instid0(VALU_DEP_2) | instskip(NEXT) | instid1(VALU_DEP_1)
	v_and_b32_e32 v1, 0x80000000, v1
	v_or3_b32 v6, v3, v1, v2
	v_mov_b32_e32 v1, v7
	s_clause 0x1
	scratch_store_b64 off, v[0:1], s32 offset:192
	scratch_store_b64 off, v[6:7], s32 offset:452
.LBB216_2279:                           ;   in Loop: Header=BB216_2096 Depth=1
	s_wait_xcnt 0x0
	s_or_b32 exec_lo, exec_lo, s2
.LBB216_2280:                           ;   in Loop: Header=BB216_2096 Depth=1
	s_delay_alu instid0(SALU_CYCLE_1)
	s_or_b32 exec_lo, exec_lo, s1
.LBB216_2281:                           ;   in Loop: Header=BB216_2096 Depth=1
	s_delay_alu instid0(SALU_CYCLE_1) | instskip(NEXT) | instid1(SALU_CYCLE_1)
	s_or_b32 exec_lo, exec_lo, s0
	s_mov_b32 s0, exec_lo
	v_cmpx_lt_u32_e32 0xffffff, v0
	s_cbranch_execz .LBB216_2289
; %bb.2282:                             ;   in Loop: Header=BB216_2096 Depth=1
	v_mov_b64_e32 v[2:3], 0x8000000000000000
	v_lshrrev_b32_e32 v1, 24, v0
	s_mov_b32 s1, exec_lo
	scratch_store_b64 off, v[2:3], s32 offset:444 ; 8-byte Folded Spill
	s_wait_xcnt 0x0
	v_cmpx_ne_u32_e32 0x80, v1
	s_cbranch_execz .LBB216_2288
; %bb.2283:                             ;   in Loop: Header=BB216_2096 Depth=1
	v_mov_b64_e32 v[4:5], 0x7f80000100000000
	v_bfe_u32 v2, v0, 24, 7
	s_mov_b32 s2, exec_lo
	scratch_store_b64 off, v[4:5], s32 offset:444 ; 8-byte Folded Spill
	s_wait_xcnt 0x0
	v_cmpx_ne_u32_e32 0x7f, v2
	s_cbranch_execz .LBB216_2287
; %bb.2284:                             ;   in Loop: Header=BB216_2096 Depth=1
	scratch_load_b64 v[4:5], off, s32 offset:192 th:TH_LOAD_LU ; 8-byte Folded Reload
	s_wait_loadcnt 0x0
	v_dual_lshrrev_b32 v0, 3, v2 :: v_dual_bitop2_b32 v4, 7, v1 bitop3:0x40
	s_mov_b32 s3, exec_lo
	s_wait_xcnt 0x0
	v_cmpx_gt_u32_e32 8, v2
; %bb.2285:                             ;   in Loop: Header=BB216_2096 Depth=1
	s_delay_alu instid0(VALU_DEP_2) | instskip(NEXT) | instid1(VALU_DEP_1)
	v_clz_i32_u32_e32 v0, v4
	v_min_u32_e32 v0, 32, v0
	s_delay_alu instid0(VALU_DEP_1) | instskip(NEXT) | instid1(VALU_DEP_1)
	v_subrev_nc_u32_e32 v2, 28, v0
	v_lshlrev_b64_e32 v[2:3], v2, v[4:5]
	s_delay_alu instid0(VALU_DEP_1)
	v_dual_sub_nc_u32 v0, 29, v0 :: v_dual_bitop2_b32 v4, 7, v2 bitop3:0x40
; %bb.2286:                             ;   in Loop: Header=BB216_2096 Depth=1
	s_or_b32 exec_lo, exec_lo, s3
	s_delay_alu instid0(VALU_DEP_1) | instskip(NEXT) | instid1(VALU_DEP_2)
	v_dual_lshlrev_b32 v1, 24, v1 :: v_dual_lshlrev_b32 v2, 20, v4
	v_lshl_add_u32 v0, v0, 23, 0x3c000000
	s_delay_alu instid0(VALU_DEP_2) | instskip(NEXT) | instid1(VALU_DEP_1)
	v_and_b32_e32 v1, 0x80000000, v1
	v_or3_b32 v3, v2, v1, v0
	v_dual_mov_b32 v1, v5 :: v_dual_mov_b32 v2, v5
	s_clause 0x1
	scratch_store_b64 off, v[0:1], s32 offset:192
	scratch_store_b64 off, v[2:3], s32 offset:444
.LBB216_2287:                           ;   in Loop: Header=BB216_2096 Depth=1
	s_wait_xcnt 0x0
	s_or_b32 exec_lo, exec_lo, s2
.LBB216_2288:                           ;   in Loop: Header=BB216_2096 Depth=1
	s_delay_alu instid0(SALU_CYCLE_1)
	s_or_b32 exec_lo, exec_lo, s1
.LBB216_2289:                           ;   in Loop: Header=BB216_2096 Depth=1
	s_delay_alu instid0(SALU_CYCLE_1)
	s_or_b32 exec_lo, exec_lo, s0
	flat_load_b32 v0, v[24:25] offset:768
	v_mov_b64_e32 v[2:3], 0
	s_mov_b32 s0, exec_lo
	scratch_store_b64 off, v[2:3], s32 offset:460 ; 8-byte Folded Spill
	s_wait_xcnt 0x0
	v_mov_b64_e32 v[2:3], 0
	scratch_store_b64 off, v[2:3], s32 offset:468 ; 8-byte Folded Spill
	s_wait_loadcnt_dscnt 0x0
	v_and_b32_e32 v1, 0xff, v0
	s_wait_xcnt 0x0
	s_delay_alu instid0(VALU_DEP_1)
	v_cmpx_ne_u16_e32 0, v1
	s_cbranch_execz .LBB216_2297
; %bb.2290:                             ;   in Loop: Header=BB216_2096 Depth=1
	v_mov_b64_e32 v[2:3], 0x80000000
	s_mov_b32 s1, exec_lo
	scratch_store_b64 off, v[2:3], s32 offset:468 ; 8-byte Folded Spill
	s_wait_xcnt 0x0
	v_cmpx_ne_u16_e32 0x80, v1
	s_cbranch_execz .LBB216_2296
; %bb.2291:                             ;   in Loop: Header=BB216_2096 Depth=1
	v_mov_b64_e32 v[4:5], 0x7f800001
	v_and_b32_e32 v2, 0x7f, v0
	s_mov_b32 s2, exec_lo
	scratch_store_b64 off, v[4:5], s32 offset:468 ; 8-byte Folded Spill
	s_wait_xcnt 0x0
	v_cmpx_ne_u32_e32 0x7f, v2
	s_cbranch_execz .LBB216_2295
; %bb.2292:                             ;   in Loop: Header=BB216_2096 Depth=1
	scratch_load_b64 v[4:5], off, s32 offset:192 th:TH_LOAD_LU ; 8-byte Folded Reload
	s_wait_loadcnt 0x0
	v_dual_lshrrev_b32 v1, 3, v2 :: v_dual_bitop2_b32 v4, 7, v0 bitop3:0x40
	s_mov_b32 s3, exec_lo
	s_wait_xcnt 0x0
	v_cmpx_gt_u32_e32 8, v2
; %bb.2293:                             ;   in Loop: Header=BB216_2096 Depth=1
	s_delay_alu instid0(VALU_DEP_2) | instskip(NEXT) | instid1(VALU_DEP_1)
	v_clz_i32_u32_e32 v1, v4
	v_min_u32_e32 v1, 32, v1
	s_delay_alu instid0(VALU_DEP_1) | instskip(NEXT) | instid1(VALU_DEP_1)
	v_subrev_nc_u32_e32 v2, 28, v1
	v_lshlrev_b64_e32 v[2:3], v2, v[4:5]
	s_delay_alu instid0(VALU_DEP_1)
	v_dual_sub_nc_u32 v1, 29, v1 :: v_dual_bitop2_b32 v4, 7, v2 bitop3:0x40
; %bb.2294:                             ;   in Loop: Header=BB216_2096 Depth=1
	s_or_b32 exec_lo, exec_lo, s3
	v_lshlrev_b32_e32 v2, 24, v0
	s_delay_alu instid0(VALU_DEP_2) | instskip(NEXT) | instid1(VALU_DEP_3)
	v_lshlrev_b32_e32 v3, 20, v4
	v_lshl_add_u32 v1, v1, 23, 0x3c000000
	s_delay_alu instid0(VALU_DEP_3) | instskip(NEXT) | instid1(VALU_DEP_1)
	v_and_b32_e32 v2, 0x80000000, v2
	v_or3_b32 v4, v3, v2, v1
	v_mov_b32_e32 v1, v5
	s_clause 0x1
	scratch_store_b64 off, v[0:1], s32 offset:192
	scratch_store_b64 off, v[4:5], s32 offset:468
.LBB216_2295:                           ;   in Loop: Header=BB216_2096 Depth=1
	s_wait_xcnt 0x0
	s_or_b32 exec_lo, exec_lo, s2
.LBB216_2296:                           ;   in Loop: Header=BB216_2096 Depth=1
	s_delay_alu instid0(SALU_CYCLE_1)
	s_or_b32 exec_lo, exec_lo, s1
.LBB216_2297:                           ;   in Loop: Header=BB216_2096 Depth=1
	s_delay_alu instid0(SALU_CYCLE_1) | instskip(SKIP_2) | instid1(VALU_DEP_1)
	s_or_b32 exec_lo, exec_lo, s0
	v_lshrrev_b16 v1, 8, v0
	s_mov_b32 s0, exec_lo
	v_cmpx_ne_u16_e32 0, v1
	s_cbranch_execz .LBB216_2305
; %bb.2298:                             ;   in Loop: Header=BB216_2096 Depth=1
	v_mov_b64_e32 v[2:3], 0x8000000000000000
	s_mov_b32 s1, exec_lo
	scratch_store_b64 off, v[2:3], s32 offset:460 ; 8-byte Folded Spill
	s_wait_xcnt 0x0
	v_cmpx_ne_u16_e32 0x80, v1
	s_cbranch_execz .LBB216_2304
; %bb.2299:                             ;   in Loop: Header=BB216_2096 Depth=1
	v_and_b32_e32 v1, 0xffff, v1
	v_mov_b64_e32 v[4:5], 0x7f80000100000000
	s_mov_b32 s2, exec_lo
	s_delay_alu instid0(VALU_DEP_2)
	v_and_b32_e32 v2, 0x7f, v1
	scratch_store_b64 off, v[4:5], s32 offset:460 ; 8-byte Folded Spill
	s_wait_xcnt 0x0
	v_cmpx_ne_u32_e32 0x7f, v2
	s_cbranch_execz .LBB216_2303
; %bb.2300:                             ;   in Loop: Header=BB216_2096 Depth=1
	scratch_load_b64 v[4:5], off, s32 offset:192 th:TH_LOAD_LU ; 8-byte Folded Reload
	s_wait_loadcnt 0x0
	v_dual_lshrrev_b32 v1, 3, v2 :: v_dual_bitop2_b32 v4, 7, v1 bitop3:0x40
	s_mov_b32 s3, exec_lo
	s_wait_xcnt 0x0
	v_cmpx_gt_u32_e32 8, v2
; %bb.2301:                             ;   in Loop: Header=BB216_2096 Depth=1
	s_delay_alu instid0(VALU_DEP_2) | instskip(NEXT) | instid1(VALU_DEP_1)
	v_clz_i32_u32_e32 v1, v4
	v_min_u32_e32 v1, 32, v1
	s_delay_alu instid0(VALU_DEP_1) | instskip(NEXT) | instid1(VALU_DEP_1)
	v_subrev_nc_u32_e32 v2, 28, v1
	v_lshlrev_b64_e32 v[2:3], v2, v[4:5]
	s_delay_alu instid0(VALU_DEP_1)
	v_dual_sub_nc_u32 v1, 29, v1 :: v_dual_bitop2_b32 v4, 7, v2 bitop3:0x40
; %bb.2302:                             ;   in Loop: Header=BB216_2096 Depth=1
	s_or_b32 exec_lo, exec_lo, s3
	v_lshlrev_b32_e32 v2, 16, v0
	s_delay_alu instid0(VALU_DEP_2) | instskip(NEXT) | instid1(VALU_DEP_3)
	v_lshlrev_b32_e32 v3, 20, v4
	v_lshl_add_u32 v1, v1, 23, 0x3c000000
	s_delay_alu instid0(VALU_DEP_3) | instskip(NEXT) | instid1(VALU_DEP_1)
	v_and_b32_e32 v2, 0x80000000, v2
	v_or3_b32 v3, v3, v2, v1
	v_dual_mov_b32 v1, v5 :: v_dual_mov_b32 v2, v5
	s_clause 0x1
	scratch_store_b64 off, v[0:1], s32 offset:192
	scratch_store_b64 off, v[2:3], s32 offset:460
.LBB216_2303:                           ;   in Loop: Header=BB216_2096 Depth=1
	s_wait_xcnt 0x0
	s_or_b32 exec_lo, exec_lo, s2
.LBB216_2304:                           ;   in Loop: Header=BB216_2096 Depth=1
	s_delay_alu instid0(SALU_CYCLE_1)
	s_or_b32 exec_lo, exec_lo, s1
.LBB216_2305:                           ;   in Loop: Header=BB216_2096 Depth=1
	s_delay_alu instid0(SALU_CYCLE_1) | instskip(SKIP_3) | instid1(VALU_DEP_1)
	s_or_b32 exec_lo, exec_lo, s0
	v_mov_b64_e32 v[4:5], 0
	v_lshrrev_b32_e32 v1, 16, v0
	s_mov_b32 s0, exec_lo
	v_and_b32_e32 v2, 0xff, v1
	scratch_store_b64 off, v[4:5], s32 offset:476 ; 8-byte Folded Spill
	s_wait_xcnt 0x0
	v_mov_b64_e32 v[4:5], 0
	scratch_store_b64 off, v[4:5], s32 offset:484 ; 8-byte Folded Spill
	s_wait_xcnt 0x0
	v_cmpx_ne_u16_e32 0, v2
	s_cbranch_execz .LBB216_2313
; %bb.2306:                             ;   in Loop: Header=BB216_2096 Depth=1
	v_cmp_ne_u16_e32 vcc_lo, 0x80, v2
	v_mov_b64_e32 v[2:3], 0x80000000
	scratch_store_b64 off, v[2:3], s32 offset:484 ; 8-byte Folded Spill
	s_wait_xcnt 0x0
	s_and_saveexec_b32 s1, vcc_lo
	s_cbranch_execz .LBB216_2312
; %bb.2307:                             ;   in Loop: Header=BB216_2096 Depth=1
	v_mov_b64_e32 v[4:5], 0x7f800001
	v_bfe_u32 v3, v0, 16, 7
	s_mov_b32 s2, exec_lo
	scratch_store_b64 off, v[4:5], s32 offset:484 ; 8-byte Folded Spill
	s_wait_xcnt 0x0
	v_cmpx_ne_u32_e32 0x7f, v3
	s_cbranch_execz .LBB216_2311
; %bb.2308:                             ;   in Loop: Header=BB216_2096 Depth=1
	scratch_load_b64 v[6:7], off, s32 offset:192 th:TH_LOAD_LU ; 8-byte Folded Reload
	s_wait_loadcnt 0x0
	v_dual_lshrrev_b32 v2, 3, v3 :: v_dual_bitop2_b32 v6, 7, v1 bitop3:0x40
	s_mov_b32 s3, exec_lo
	s_wait_xcnt 0x0
	v_cmpx_gt_u32_e32 8, v3
; %bb.2309:                             ;   in Loop: Header=BB216_2096 Depth=1
	s_delay_alu instid0(VALU_DEP_2) | instskip(NEXT) | instid1(VALU_DEP_1)
	v_clz_i32_u32_e32 v2, v6
	v_min_u32_e32 v2, 32, v2
	s_delay_alu instid0(VALU_DEP_1) | instskip(NEXT) | instid1(VALU_DEP_1)
	v_subrev_nc_u32_e32 v3, 28, v2
	v_lshlrev_b64_e32 v[4:5], v3, v[6:7]
	s_delay_alu instid0(VALU_DEP_1)
	v_dual_sub_nc_u32 v2, 29, v2 :: v_dual_bitop2_b32 v6, 7, v4 bitop3:0x40
; %bb.2310:                             ;   in Loop: Header=BB216_2096 Depth=1
	s_or_b32 exec_lo, exec_lo, s3
	s_delay_alu instid0(VALU_DEP_1) | instskip(NEXT) | instid1(VALU_DEP_2)
	v_dual_lshlrev_b32 v1, 24, v1 :: v_dual_lshlrev_b32 v3, 20, v6
	v_lshl_add_u32 v2, v2, 23, 0x3c000000
	s_delay_alu instid0(VALU_DEP_2) | instskip(NEXT) | instid1(VALU_DEP_1)
	v_and_b32_e32 v1, 0x80000000, v1
	v_or3_b32 v6, v3, v1, v2
	v_mov_b32_e32 v1, v7
	s_clause 0x1
	scratch_store_b64 off, v[0:1], s32 offset:192
	scratch_store_b64 off, v[6:7], s32 offset:484
.LBB216_2311:                           ;   in Loop: Header=BB216_2096 Depth=1
	s_wait_xcnt 0x0
	s_or_b32 exec_lo, exec_lo, s2
.LBB216_2312:                           ;   in Loop: Header=BB216_2096 Depth=1
	s_delay_alu instid0(SALU_CYCLE_1)
	s_or_b32 exec_lo, exec_lo, s1
.LBB216_2313:                           ;   in Loop: Header=BB216_2096 Depth=1
	s_delay_alu instid0(SALU_CYCLE_1) | instskip(NEXT) | instid1(SALU_CYCLE_1)
	s_or_b32 exec_lo, exec_lo, s0
	s_mov_b32 s0, exec_lo
	v_cmpx_lt_u32_e32 0xffffff, v0
	s_cbranch_execz .LBB216_2321
; %bb.2314:                             ;   in Loop: Header=BB216_2096 Depth=1
	v_mov_b64_e32 v[2:3], 0x8000000000000000
	v_lshrrev_b32_e32 v1, 24, v0
	s_mov_b32 s1, exec_lo
	scratch_store_b64 off, v[2:3], s32 offset:476 ; 8-byte Folded Spill
	s_wait_xcnt 0x0
	v_cmpx_ne_u32_e32 0x80, v1
	s_cbranch_execz .LBB216_2320
; %bb.2315:                             ;   in Loop: Header=BB216_2096 Depth=1
	v_mov_b64_e32 v[4:5], 0x7f80000100000000
	v_bfe_u32 v2, v0, 24, 7
	s_mov_b32 s2, exec_lo
	scratch_store_b64 off, v[4:5], s32 offset:476 ; 8-byte Folded Spill
	s_wait_xcnt 0x0
	v_cmpx_ne_u32_e32 0x7f, v2
	s_cbranch_execz .LBB216_2319
; %bb.2316:                             ;   in Loop: Header=BB216_2096 Depth=1
	scratch_load_b64 v[4:5], off, s32 offset:192 th:TH_LOAD_LU ; 8-byte Folded Reload
	s_wait_loadcnt 0x0
	v_dual_lshrrev_b32 v0, 3, v2 :: v_dual_bitop2_b32 v4, 7, v1 bitop3:0x40
	s_mov_b32 s3, exec_lo
	s_wait_xcnt 0x0
	v_cmpx_gt_u32_e32 8, v2
; %bb.2317:                             ;   in Loop: Header=BB216_2096 Depth=1
	s_delay_alu instid0(VALU_DEP_2) | instskip(NEXT) | instid1(VALU_DEP_1)
	v_clz_i32_u32_e32 v0, v4
	v_min_u32_e32 v0, 32, v0
	s_delay_alu instid0(VALU_DEP_1) | instskip(NEXT) | instid1(VALU_DEP_1)
	v_subrev_nc_u32_e32 v2, 28, v0
	v_lshlrev_b64_e32 v[2:3], v2, v[4:5]
	s_delay_alu instid0(VALU_DEP_1)
	v_dual_sub_nc_u32 v0, 29, v0 :: v_dual_bitop2_b32 v4, 7, v2 bitop3:0x40
; %bb.2318:                             ;   in Loop: Header=BB216_2096 Depth=1
	s_or_b32 exec_lo, exec_lo, s3
	s_delay_alu instid0(VALU_DEP_1) | instskip(NEXT) | instid1(VALU_DEP_2)
	v_dual_lshlrev_b32 v1, 24, v1 :: v_dual_lshlrev_b32 v2, 20, v4
	v_lshl_add_u32 v0, v0, 23, 0x3c000000
	s_delay_alu instid0(VALU_DEP_2) | instskip(NEXT) | instid1(VALU_DEP_1)
	v_and_b32_e32 v1, 0x80000000, v1
	v_or3_b32 v3, v2, v1, v0
	v_dual_mov_b32 v1, v5 :: v_dual_mov_b32 v2, v5
	s_clause 0x1
	scratch_store_b64 off, v[0:1], s32 offset:192
	scratch_store_b64 off, v[2:3], s32 offset:476
.LBB216_2319:                           ;   in Loop: Header=BB216_2096 Depth=1
	s_wait_xcnt 0x0
	s_or_b32 exec_lo, exec_lo, s2
.LBB216_2320:                           ;   in Loop: Header=BB216_2096 Depth=1
	s_delay_alu instid0(SALU_CYCLE_1)
	s_or_b32 exec_lo, exec_lo, s1
.LBB216_2321:                           ;   in Loop: Header=BB216_2096 Depth=1
	s_delay_alu instid0(SALU_CYCLE_1)
	s_or_b32 exec_lo, exec_lo, s0
	flat_load_b32 v0, v[24:25] offset:896
	v_mov_b64_e32 v[2:3], 0
	s_mov_b32 s0, exec_lo
	scratch_store_b64 off, v[2:3], s32 offset:492 ; 8-byte Folded Spill
	s_wait_xcnt 0x0
	v_mov_b64_e32 v[2:3], 0
	scratch_store_b64 off, v[2:3], s32 offset:500 ; 8-byte Folded Spill
	s_wait_loadcnt_dscnt 0x0
	v_and_b32_e32 v1, 0xff, v0
	s_wait_xcnt 0x0
	s_delay_alu instid0(VALU_DEP_1)
	v_cmpx_ne_u16_e32 0, v1
	s_cbranch_execz .LBB216_2329
; %bb.2322:                             ;   in Loop: Header=BB216_2096 Depth=1
	v_mov_b64_e32 v[2:3], 0x80000000
	s_mov_b32 s1, exec_lo
	scratch_store_b64 off, v[2:3], s32 offset:500 ; 8-byte Folded Spill
	s_wait_xcnt 0x0
	v_cmpx_ne_u16_e32 0x80, v1
	s_cbranch_execz .LBB216_2328
; %bb.2323:                             ;   in Loop: Header=BB216_2096 Depth=1
	v_mov_b64_e32 v[4:5], 0x7f800001
	v_and_b32_e32 v2, 0x7f, v0
	s_mov_b32 s2, exec_lo
	scratch_store_b64 off, v[4:5], s32 offset:500 ; 8-byte Folded Spill
	s_wait_xcnt 0x0
	v_cmpx_ne_u32_e32 0x7f, v2
	s_cbranch_execz .LBB216_2327
; %bb.2324:                             ;   in Loop: Header=BB216_2096 Depth=1
	scratch_load_b64 v[4:5], off, s32 offset:192 th:TH_LOAD_LU ; 8-byte Folded Reload
	s_wait_loadcnt 0x0
	v_dual_lshrrev_b32 v1, 3, v2 :: v_dual_bitop2_b32 v4, 7, v0 bitop3:0x40
	s_mov_b32 s3, exec_lo
	s_wait_xcnt 0x0
	v_cmpx_gt_u32_e32 8, v2
; %bb.2325:                             ;   in Loop: Header=BB216_2096 Depth=1
	s_delay_alu instid0(VALU_DEP_2) | instskip(NEXT) | instid1(VALU_DEP_1)
	v_clz_i32_u32_e32 v1, v4
	v_min_u32_e32 v1, 32, v1
	s_delay_alu instid0(VALU_DEP_1) | instskip(NEXT) | instid1(VALU_DEP_1)
	v_subrev_nc_u32_e32 v2, 28, v1
	v_lshlrev_b64_e32 v[2:3], v2, v[4:5]
	s_delay_alu instid0(VALU_DEP_1)
	v_dual_sub_nc_u32 v1, 29, v1 :: v_dual_bitop2_b32 v4, 7, v2 bitop3:0x40
; %bb.2326:                             ;   in Loop: Header=BB216_2096 Depth=1
	s_or_b32 exec_lo, exec_lo, s3
	v_lshlrev_b32_e32 v2, 24, v0
	s_delay_alu instid0(VALU_DEP_2) | instskip(NEXT) | instid1(VALU_DEP_3)
	v_lshlrev_b32_e32 v3, 20, v4
	v_lshl_add_u32 v1, v1, 23, 0x3c000000
	s_delay_alu instid0(VALU_DEP_3) | instskip(NEXT) | instid1(VALU_DEP_1)
	v_and_b32_e32 v2, 0x80000000, v2
	v_or3_b32 v4, v3, v2, v1
	v_mov_b32_e32 v1, v5
	s_clause 0x1
	scratch_store_b64 off, v[0:1], s32 offset:192
	scratch_store_b64 off, v[4:5], s32 offset:500
.LBB216_2327:                           ;   in Loop: Header=BB216_2096 Depth=1
	s_wait_xcnt 0x0
	s_or_b32 exec_lo, exec_lo, s2
.LBB216_2328:                           ;   in Loop: Header=BB216_2096 Depth=1
	s_delay_alu instid0(SALU_CYCLE_1)
	s_or_b32 exec_lo, exec_lo, s1
.LBB216_2329:                           ;   in Loop: Header=BB216_2096 Depth=1
	s_delay_alu instid0(SALU_CYCLE_1) | instskip(SKIP_2) | instid1(VALU_DEP_1)
	s_or_b32 exec_lo, exec_lo, s0
	v_lshrrev_b16 v1, 8, v0
	s_mov_b32 s0, exec_lo
	v_cmpx_ne_u16_e32 0, v1
	s_cbranch_execz .LBB216_2337
; %bb.2330:                             ;   in Loop: Header=BB216_2096 Depth=1
	v_mov_b64_e32 v[2:3], 0x8000000000000000
	s_mov_b32 s1, exec_lo
	scratch_store_b64 off, v[2:3], s32 offset:492 ; 8-byte Folded Spill
	s_wait_xcnt 0x0
	v_cmpx_ne_u16_e32 0x80, v1
	s_cbranch_execz .LBB216_2336
; %bb.2331:                             ;   in Loop: Header=BB216_2096 Depth=1
	v_and_b32_e32 v1, 0xffff, v1
	v_mov_b64_e32 v[4:5], 0x7f80000100000000
	s_mov_b32 s2, exec_lo
	s_delay_alu instid0(VALU_DEP_2)
	v_and_b32_e32 v2, 0x7f, v1
	scratch_store_b64 off, v[4:5], s32 offset:492 ; 8-byte Folded Spill
	s_wait_xcnt 0x0
	v_cmpx_ne_u32_e32 0x7f, v2
	s_cbranch_execz .LBB216_2335
; %bb.2332:                             ;   in Loop: Header=BB216_2096 Depth=1
	scratch_load_b64 v[4:5], off, s32 offset:192 th:TH_LOAD_LU ; 8-byte Folded Reload
	s_wait_loadcnt 0x0
	v_dual_lshrrev_b32 v1, 3, v2 :: v_dual_bitop2_b32 v4, 7, v1 bitop3:0x40
	s_mov_b32 s3, exec_lo
	s_wait_xcnt 0x0
	v_cmpx_gt_u32_e32 8, v2
; %bb.2333:                             ;   in Loop: Header=BB216_2096 Depth=1
	s_delay_alu instid0(VALU_DEP_2) | instskip(NEXT) | instid1(VALU_DEP_1)
	v_clz_i32_u32_e32 v1, v4
	v_min_u32_e32 v1, 32, v1
	s_delay_alu instid0(VALU_DEP_1) | instskip(NEXT) | instid1(VALU_DEP_1)
	v_subrev_nc_u32_e32 v2, 28, v1
	v_lshlrev_b64_e32 v[2:3], v2, v[4:5]
	s_delay_alu instid0(VALU_DEP_1)
	v_dual_sub_nc_u32 v1, 29, v1 :: v_dual_bitop2_b32 v4, 7, v2 bitop3:0x40
; %bb.2334:                             ;   in Loop: Header=BB216_2096 Depth=1
	s_or_b32 exec_lo, exec_lo, s3
	v_lshlrev_b32_e32 v2, 16, v0
	s_delay_alu instid0(VALU_DEP_2) | instskip(NEXT) | instid1(VALU_DEP_3)
	v_lshlrev_b32_e32 v3, 20, v4
	v_lshl_add_u32 v1, v1, 23, 0x3c000000
	s_delay_alu instid0(VALU_DEP_3) | instskip(NEXT) | instid1(VALU_DEP_1)
	v_and_b32_e32 v2, 0x80000000, v2
	v_or3_b32 v3, v3, v2, v1
	v_dual_mov_b32 v1, v5 :: v_dual_mov_b32 v2, v5
	s_clause 0x1
	scratch_store_b64 off, v[0:1], s32 offset:192
	scratch_store_b64 off, v[2:3], s32 offset:492
.LBB216_2335:                           ;   in Loop: Header=BB216_2096 Depth=1
	s_wait_xcnt 0x0
	s_or_b32 exec_lo, exec_lo, s2
.LBB216_2336:                           ;   in Loop: Header=BB216_2096 Depth=1
	s_delay_alu instid0(SALU_CYCLE_1)
	s_or_b32 exec_lo, exec_lo, s1
.LBB216_2337:                           ;   in Loop: Header=BB216_2096 Depth=1
	s_delay_alu instid0(SALU_CYCLE_1) | instskip(SKIP_3) | instid1(VALU_DEP_1)
	s_or_b32 exec_lo, exec_lo, s0
	v_mov_b64_e32 v[4:5], 0
	v_lshrrev_b32_e32 v1, 16, v0
	s_mov_b32 s0, exec_lo
	v_and_b32_e32 v2, 0xff, v1
	scratch_store_b64 off, v[4:5], s32 offset:508 ; 8-byte Folded Spill
	s_wait_xcnt 0x0
	v_mov_b64_e32 v[4:5], 0
	scratch_store_b64 off, v[4:5], s32 offset:516 ; 8-byte Folded Spill
	s_wait_xcnt 0x0
	v_cmpx_ne_u16_e32 0, v2
	s_cbranch_execz .LBB216_2345
; %bb.2338:                             ;   in Loop: Header=BB216_2096 Depth=1
	v_cmp_ne_u16_e32 vcc_lo, 0x80, v2
	v_mov_b64_e32 v[2:3], 0x80000000
	scratch_store_b64 off, v[2:3], s32 offset:516 ; 8-byte Folded Spill
	s_wait_xcnt 0x0
	s_and_saveexec_b32 s1, vcc_lo
	s_cbranch_execz .LBB216_2344
; %bb.2339:                             ;   in Loop: Header=BB216_2096 Depth=1
	v_mov_b64_e32 v[4:5], 0x7f800001
	v_bfe_u32 v3, v0, 16, 7
	s_mov_b32 s2, exec_lo
	scratch_store_b64 off, v[4:5], s32 offset:516 ; 8-byte Folded Spill
	s_wait_xcnt 0x0
	v_cmpx_ne_u32_e32 0x7f, v3
	s_cbranch_execz .LBB216_2343
; %bb.2340:                             ;   in Loop: Header=BB216_2096 Depth=1
	scratch_load_b64 v[6:7], off, s32 offset:192 th:TH_LOAD_LU ; 8-byte Folded Reload
	s_wait_loadcnt 0x0
	v_dual_lshrrev_b32 v2, 3, v3 :: v_dual_bitop2_b32 v6, 7, v1 bitop3:0x40
	s_mov_b32 s3, exec_lo
	s_wait_xcnt 0x0
	v_cmpx_gt_u32_e32 8, v3
; %bb.2341:                             ;   in Loop: Header=BB216_2096 Depth=1
	s_delay_alu instid0(VALU_DEP_2) | instskip(NEXT) | instid1(VALU_DEP_1)
	v_clz_i32_u32_e32 v2, v6
	v_min_u32_e32 v2, 32, v2
	s_delay_alu instid0(VALU_DEP_1) | instskip(NEXT) | instid1(VALU_DEP_1)
	v_subrev_nc_u32_e32 v3, 28, v2
	v_lshlrev_b64_e32 v[4:5], v3, v[6:7]
	s_delay_alu instid0(VALU_DEP_1)
	v_dual_sub_nc_u32 v2, 29, v2 :: v_dual_bitop2_b32 v6, 7, v4 bitop3:0x40
; %bb.2342:                             ;   in Loop: Header=BB216_2096 Depth=1
	s_or_b32 exec_lo, exec_lo, s3
	s_delay_alu instid0(VALU_DEP_1) | instskip(NEXT) | instid1(VALU_DEP_2)
	v_dual_lshlrev_b32 v1, 24, v1 :: v_dual_lshlrev_b32 v3, 20, v6
	v_lshl_add_u32 v2, v2, 23, 0x3c000000
	s_delay_alu instid0(VALU_DEP_2) | instskip(NEXT) | instid1(VALU_DEP_1)
	v_and_b32_e32 v1, 0x80000000, v1
	v_or3_b32 v6, v3, v1, v2
	v_mov_b32_e32 v1, v7
	s_clause 0x1
	scratch_store_b64 off, v[0:1], s32 offset:192
	scratch_store_b64 off, v[6:7], s32 offset:516
.LBB216_2343:                           ;   in Loop: Header=BB216_2096 Depth=1
	s_wait_xcnt 0x0
	s_or_b32 exec_lo, exec_lo, s2
.LBB216_2344:                           ;   in Loop: Header=BB216_2096 Depth=1
	s_delay_alu instid0(SALU_CYCLE_1)
	s_or_b32 exec_lo, exec_lo, s1
.LBB216_2345:                           ;   in Loop: Header=BB216_2096 Depth=1
	s_delay_alu instid0(SALU_CYCLE_1) | instskip(NEXT) | instid1(SALU_CYCLE_1)
	s_or_b32 exec_lo, exec_lo, s0
	s_mov_b32 s0, exec_lo
	v_cmpx_lt_u32_e32 0xffffff, v0
	s_cbranch_execz .LBB216_2353
; %bb.2346:                             ;   in Loop: Header=BB216_2096 Depth=1
	v_mov_b64_e32 v[2:3], 0x8000000000000000
	v_lshrrev_b32_e32 v1, 24, v0
	s_mov_b32 s1, exec_lo
	scratch_store_b64 off, v[2:3], s32 offset:508 ; 8-byte Folded Spill
	s_wait_xcnt 0x0
	v_cmpx_ne_u32_e32 0x80, v1
	s_cbranch_execz .LBB216_2352
; %bb.2347:                             ;   in Loop: Header=BB216_2096 Depth=1
	v_mov_b64_e32 v[4:5], 0x7f80000100000000
	v_bfe_u32 v2, v0, 24, 7
	s_mov_b32 s2, exec_lo
	scratch_store_b64 off, v[4:5], s32 offset:508 ; 8-byte Folded Spill
	s_wait_xcnt 0x0
	v_cmpx_ne_u32_e32 0x7f, v2
	s_cbranch_execz .LBB216_2351
; %bb.2348:                             ;   in Loop: Header=BB216_2096 Depth=1
	scratch_load_b64 v[4:5], off, s32 offset:192 th:TH_LOAD_LU ; 8-byte Folded Reload
	s_wait_loadcnt 0x0
	v_dual_lshrrev_b32 v0, 3, v2 :: v_dual_bitop2_b32 v4, 7, v1 bitop3:0x40
	s_mov_b32 s3, exec_lo
	s_wait_xcnt 0x0
	v_cmpx_gt_u32_e32 8, v2
; %bb.2349:                             ;   in Loop: Header=BB216_2096 Depth=1
	s_delay_alu instid0(VALU_DEP_2) | instskip(NEXT) | instid1(VALU_DEP_1)
	v_clz_i32_u32_e32 v0, v4
	v_min_u32_e32 v0, 32, v0
	s_delay_alu instid0(VALU_DEP_1) | instskip(NEXT) | instid1(VALU_DEP_1)
	v_subrev_nc_u32_e32 v2, 28, v0
	v_lshlrev_b64_e32 v[2:3], v2, v[4:5]
	s_delay_alu instid0(VALU_DEP_1)
	v_dual_sub_nc_u32 v0, 29, v0 :: v_dual_bitop2_b32 v4, 7, v2 bitop3:0x40
; %bb.2350:                             ;   in Loop: Header=BB216_2096 Depth=1
	s_or_b32 exec_lo, exec_lo, s3
	s_delay_alu instid0(VALU_DEP_1) | instskip(NEXT) | instid1(VALU_DEP_2)
	v_dual_lshlrev_b32 v1, 24, v1 :: v_dual_lshlrev_b32 v2, 20, v4
	v_lshl_add_u32 v0, v0, 23, 0x3c000000
	s_delay_alu instid0(VALU_DEP_2) | instskip(NEXT) | instid1(VALU_DEP_1)
	v_and_b32_e32 v1, 0x80000000, v1
	v_or3_b32 v3, v2, v1, v0
	v_dual_mov_b32 v1, v5 :: v_dual_mov_b32 v2, v5
	s_clause 0x1
	scratch_store_b64 off, v[0:1], s32 offset:192
	scratch_store_b64 off, v[2:3], s32 offset:508
.LBB216_2351:                           ;   in Loop: Header=BB216_2096 Depth=1
	s_wait_xcnt 0x0
	s_or_b32 exec_lo, exec_lo, s2
.LBB216_2352:                           ;   in Loop: Header=BB216_2096 Depth=1
	s_delay_alu instid0(SALU_CYCLE_1)
	s_or_b32 exec_lo, exec_lo, s1
.LBB216_2353:                           ;   in Loop: Header=BB216_2096 Depth=1
	s_delay_alu instid0(SALU_CYCLE_1)
	s_or_b32 exec_lo, exec_lo, s0
	flat_load_b32 v0, v[24:25] offset:1024
	v_mov_b64_e32 v[2:3], 0
	s_mov_b32 s0, exec_lo
	scratch_store_b64 off, v[2:3], s32 offset:524 ; 8-byte Folded Spill
	s_wait_xcnt 0x0
	v_mov_b64_e32 v[2:3], 0
	scratch_store_b64 off, v[2:3], s32 offset:532 ; 8-byte Folded Spill
	s_wait_loadcnt_dscnt 0x0
	v_and_b32_e32 v1, 0xff, v0
	s_wait_xcnt 0x0
	s_delay_alu instid0(VALU_DEP_1)
	v_cmpx_ne_u16_e32 0, v1
	s_cbranch_execz .LBB216_2361
; %bb.2354:                             ;   in Loop: Header=BB216_2096 Depth=1
	v_mov_b64_e32 v[2:3], 0x80000000
	s_mov_b32 s1, exec_lo
	scratch_store_b64 off, v[2:3], s32 offset:532 ; 8-byte Folded Spill
	s_wait_xcnt 0x0
	v_cmpx_ne_u16_e32 0x80, v1
	s_cbranch_execz .LBB216_2360
; %bb.2355:                             ;   in Loop: Header=BB216_2096 Depth=1
	v_mov_b64_e32 v[4:5], 0x7f800001
	v_and_b32_e32 v2, 0x7f, v0
	s_mov_b32 s2, exec_lo
	scratch_store_b64 off, v[4:5], s32 offset:532 ; 8-byte Folded Spill
	s_wait_xcnt 0x0
	v_cmpx_ne_u32_e32 0x7f, v2
	s_cbranch_execz .LBB216_2359
; %bb.2356:                             ;   in Loop: Header=BB216_2096 Depth=1
	scratch_load_b64 v[4:5], off, s32 offset:192 th:TH_LOAD_LU ; 8-byte Folded Reload
	s_wait_loadcnt 0x0
	v_dual_lshrrev_b32 v1, 3, v2 :: v_dual_bitop2_b32 v4, 7, v0 bitop3:0x40
	s_mov_b32 s3, exec_lo
	s_wait_xcnt 0x0
	v_cmpx_gt_u32_e32 8, v2
; %bb.2357:                             ;   in Loop: Header=BB216_2096 Depth=1
	s_delay_alu instid0(VALU_DEP_2) | instskip(NEXT) | instid1(VALU_DEP_1)
	v_clz_i32_u32_e32 v1, v4
	v_min_u32_e32 v1, 32, v1
	s_delay_alu instid0(VALU_DEP_1) | instskip(NEXT) | instid1(VALU_DEP_1)
	v_subrev_nc_u32_e32 v2, 28, v1
	v_lshlrev_b64_e32 v[2:3], v2, v[4:5]
	s_delay_alu instid0(VALU_DEP_1)
	v_dual_sub_nc_u32 v1, 29, v1 :: v_dual_bitop2_b32 v4, 7, v2 bitop3:0x40
; %bb.2358:                             ;   in Loop: Header=BB216_2096 Depth=1
	s_or_b32 exec_lo, exec_lo, s3
	v_lshlrev_b32_e32 v2, 24, v0
	s_delay_alu instid0(VALU_DEP_2) | instskip(NEXT) | instid1(VALU_DEP_3)
	v_lshlrev_b32_e32 v3, 20, v4
	v_lshl_add_u32 v1, v1, 23, 0x3c000000
	s_delay_alu instid0(VALU_DEP_3) | instskip(NEXT) | instid1(VALU_DEP_1)
	v_and_b32_e32 v2, 0x80000000, v2
	v_or3_b32 v4, v3, v2, v1
	v_mov_b32_e32 v1, v5
	s_clause 0x1
	scratch_store_b64 off, v[0:1], s32 offset:192
	scratch_store_b64 off, v[4:5], s32 offset:532
.LBB216_2359:                           ;   in Loop: Header=BB216_2096 Depth=1
	s_wait_xcnt 0x0
	s_or_b32 exec_lo, exec_lo, s2
.LBB216_2360:                           ;   in Loop: Header=BB216_2096 Depth=1
	s_delay_alu instid0(SALU_CYCLE_1)
	s_or_b32 exec_lo, exec_lo, s1
.LBB216_2361:                           ;   in Loop: Header=BB216_2096 Depth=1
	s_delay_alu instid0(SALU_CYCLE_1) | instskip(SKIP_2) | instid1(VALU_DEP_1)
	s_or_b32 exec_lo, exec_lo, s0
	v_lshrrev_b16 v1, 8, v0
	s_mov_b32 s0, exec_lo
	v_cmpx_ne_u16_e32 0, v1
	s_cbranch_execz .LBB216_2369
; %bb.2362:                             ;   in Loop: Header=BB216_2096 Depth=1
	v_mov_b64_e32 v[2:3], 0x8000000000000000
	s_mov_b32 s1, exec_lo
	scratch_store_b64 off, v[2:3], s32 offset:524 ; 8-byte Folded Spill
	s_wait_xcnt 0x0
	v_cmpx_ne_u16_e32 0x80, v1
	s_cbranch_execz .LBB216_2368
; %bb.2363:                             ;   in Loop: Header=BB216_2096 Depth=1
	v_and_b32_e32 v1, 0xffff, v1
	v_mov_b64_e32 v[4:5], 0x7f80000100000000
	s_mov_b32 s2, exec_lo
	s_delay_alu instid0(VALU_DEP_2)
	v_and_b32_e32 v2, 0x7f, v1
	scratch_store_b64 off, v[4:5], s32 offset:524 ; 8-byte Folded Spill
	s_wait_xcnt 0x0
	v_cmpx_ne_u32_e32 0x7f, v2
	s_cbranch_execz .LBB216_2367
; %bb.2364:                             ;   in Loop: Header=BB216_2096 Depth=1
	scratch_load_b64 v[4:5], off, s32 offset:192 th:TH_LOAD_LU ; 8-byte Folded Reload
	s_wait_loadcnt 0x0
	v_dual_lshrrev_b32 v1, 3, v2 :: v_dual_bitop2_b32 v4, 7, v1 bitop3:0x40
	s_mov_b32 s3, exec_lo
	s_wait_xcnt 0x0
	v_cmpx_gt_u32_e32 8, v2
; %bb.2365:                             ;   in Loop: Header=BB216_2096 Depth=1
	s_delay_alu instid0(VALU_DEP_2) | instskip(NEXT) | instid1(VALU_DEP_1)
	v_clz_i32_u32_e32 v1, v4
	v_min_u32_e32 v1, 32, v1
	s_delay_alu instid0(VALU_DEP_1) | instskip(NEXT) | instid1(VALU_DEP_1)
	v_subrev_nc_u32_e32 v2, 28, v1
	v_lshlrev_b64_e32 v[2:3], v2, v[4:5]
	s_delay_alu instid0(VALU_DEP_1)
	v_dual_sub_nc_u32 v1, 29, v1 :: v_dual_bitop2_b32 v4, 7, v2 bitop3:0x40
; %bb.2366:                             ;   in Loop: Header=BB216_2096 Depth=1
	s_or_b32 exec_lo, exec_lo, s3
	v_lshlrev_b32_e32 v2, 16, v0
	s_delay_alu instid0(VALU_DEP_2) | instskip(NEXT) | instid1(VALU_DEP_3)
	v_lshlrev_b32_e32 v3, 20, v4
	v_lshl_add_u32 v1, v1, 23, 0x3c000000
	s_delay_alu instid0(VALU_DEP_3) | instskip(NEXT) | instid1(VALU_DEP_1)
	v_and_b32_e32 v2, 0x80000000, v2
	v_or3_b32 v3, v3, v2, v1
	v_dual_mov_b32 v1, v5 :: v_dual_mov_b32 v2, v5
	s_clause 0x1
	scratch_store_b64 off, v[0:1], s32 offset:192
	scratch_store_b64 off, v[2:3], s32 offset:524
.LBB216_2367:                           ;   in Loop: Header=BB216_2096 Depth=1
	s_wait_xcnt 0x0
	s_or_b32 exec_lo, exec_lo, s2
.LBB216_2368:                           ;   in Loop: Header=BB216_2096 Depth=1
	s_delay_alu instid0(SALU_CYCLE_1)
	s_or_b32 exec_lo, exec_lo, s1
.LBB216_2369:                           ;   in Loop: Header=BB216_2096 Depth=1
	s_delay_alu instid0(SALU_CYCLE_1) | instskip(SKIP_3) | instid1(VALU_DEP_1)
	s_or_b32 exec_lo, exec_lo, s0
	v_mov_b64_e32 v[4:5], 0
	v_lshrrev_b32_e32 v1, 16, v0
	s_mov_b32 s0, exec_lo
	v_and_b32_e32 v2, 0xff, v1
	scratch_store_b64 off, v[4:5], s32 offset:540 ; 8-byte Folded Spill
	s_wait_xcnt 0x0
	v_mov_b64_e32 v[4:5], 0
	scratch_store_b64 off, v[4:5], s32 offset:548 ; 8-byte Folded Spill
	s_wait_xcnt 0x0
	v_cmpx_ne_u16_e32 0, v2
	s_cbranch_execz .LBB216_2377
; %bb.2370:                             ;   in Loop: Header=BB216_2096 Depth=1
	v_cmp_ne_u16_e32 vcc_lo, 0x80, v2
	v_mov_b64_e32 v[2:3], 0x80000000
	scratch_store_b64 off, v[2:3], s32 offset:548 ; 8-byte Folded Spill
	s_wait_xcnt 0x0
	s_and_saveexec_b32 s1, vcc_lo
	s_cbranch_execz .LBB216_2376
; %bb.2371:                             ;   in Loop: Header=BB216_2096 Depth=1
	v_mov_b64_e32 v[4:5], 0x7f800001
	v_bfe_u32 v3, v0, 16, 7
	s_mov_b32 s2, exec_lo
	scratch_store_b64 off, v[4:5], s32 offset:548 ; 8-byte Folded Spill
	s_wait_xcnt 0x0
	v_cmpx_ne_u32_e32 0x7f, v3
	s_cbranch_execz .LBB216_2375
; %bb.2372:                             ;   in Loop: Header=BB216_2096 Depth=1
	scratch_load_b64 v[6:7], off, s32 offset:192 th:TH_LOAD_LU ; 8-byte Folded Reload
	s_wait_loadcnt 0x0
	v_dual_lshrrev_b32 v2, 3, v3 :: v_dual_bitop2_b32 v6, 7, v1 bitop3:0x40
	s_mov_b32 s3, exec_lo
	s_wait_xcnt 0x0
	v_cmpx_gt_u32_e32 8, v3
; %bb.2373:                             ;   in Loop: Header=BB216_2096 Depth=1
	s_delay_alu instid0(VALU_DEP_2) | instskip(NEXT) | instid1(VALU_DEP_1)
	v_clz_i32_u32_e32 v2, v6
	v_min_u32_e32 v2, 32, v2
	s_delay_alu instid0(VALU_DEP_1) | instskip(NEXT) | instid1(VALU_DEP_1)
	v_subrev_nc_u32_e32 v3, 28, v2
	v_lshlrev_b64_e32 v[4:5], v3, v[6:7]
	s_delay_alu instid0(VALU_DEP_1)
	v_dual_sub_nc_u32 v2, 29, v2 :: v_dual_bitop2_b32 v6, 7, v4 bitop3:0x40
; %bb.2374:                             ;   in Loop: Header=BB216_2096 Depth=1
	s_or_b32 exec_lo, exec_lo, s3
	s_delay_alu instid0(VALU_DEP_1) | instskip(NEXT) | instid1(VALU_DEP_2)
	v_dual_lshlrev_b32 v1, 24, v1 :: v_dual_lshlrev_b32 v3, 20, v6
	v_lshl_add_u32 v2, v2, 23, 0x3c000000
	s_delay_alu instid0(VALU_DEP_2) | instskip(NEXT) | instid1(VALU_DEP_1)
	v_and_b32_e32 v1, 0x80000000, v1
	v_or3_b32 v6, v3, v1, v2
	v_mov_b32_e32 v1, v7
	s_clause 0x1
	scratch_store_b64 off, v[0:1], s32 offset:192
	scratch_store_b64 off, v[6:7], s32 offset:548
.LBB216_2375:                           ;   in Loop: Header=BB216_2096 Depth=1
	s_wait_xcnt 0x0
	s_or_b32 exec_lo, exec_lo, s2
.LBB216_2376:                           ;   in Loop: Header=BB216_2096 Depth=1
	s_delay_alu instid0(SALU_CYCLE_1)
	s_or_b32 exec_lo, exec_lo, s1
.LBB216_2377:                           ;   in Loop: Header=BB216_2096 Depth=1
	s_delay_alu instid0(SALU_CYCLE_1) | instskip(NEXT) | instid1(SALU_CYCLE_1)
	s_or_b32 exec_lo, exec_lo, s0
	s_mov_b32 s0, exec_lo
	v_cmpx_lt_u32_e32 0xffffff, v0
	s_cbranch_execz .LBB216_2385
; %bb.2378:                             ;   in Loop: Header=BB216_2096 Depth=1
	v_mov_b64_e32 v[2:3], 0x8000000000000000
	v_lshrrev_b32_e32 v1, 24, v0
	s_mov_b32 s1, exec_lo
	scratch_store_b64 off, v[2:3], s32 offset:540 ; 8-byte Folded Spill
	s_wait_xcnt 0x0
	v_cmpx_ne_u32_e32 0x80, v1
	s_cbranch_execz .LBB216_2384
; %bb.2379:                             ;   in Loop: Header=BB216_2096 Depth=1
	v_mov_b64_e32 v[4:5], 0x7f80000100000000
	v_bfe_u32 v2, v0, 24, 7
	s_mov_b32 s2, exec_lo
	scratch_store_b64 off, v[4:5], s32 offset:540 ; 8-byte Folded Spill
	s_wait_xcnt 0x0
	v_cmpx_ne_u32_e32 0x7f, v2
	s_cbranch_execz .LBB216_2383
; %bb.2380:                             ;   in Loop: Header=BB216_2096 Depth=1
	scratch_load_b64 v[4:5], off, s32 offset:192 th:TH_LOAD_LU ; 8-byte Folded Reload
	s_wait_loadcnt 0x0
	v_dual_lshrrev_b32 v0, 3, v2 :: v_dual_bitop2_b32 v4, 7, v1 bitop3:0x40
	s_mov_b32 s3, exec_lo
	s_wait_xcnt 0x0
	v_cmpx_gt_u32_e32 8, v2
; %bb.2381:                             ;   in Loop: Header=BB216_2096 Depth=1
	s_delay_alu instid0(VALU_DEP_2) | instskip(NEXT) | instid1(VALU_DEP_1)
	v_clz_i32_u32_e32 v0, v4
	v_min_u32_e32 v0, 32, v0
	s_delay_alu instid0(VALU_DEP_1) | instskip(NEXT) | instid1(VALU_DEP_1)
	v_subrev_nc_u32_e32 v2, 28, v0
	v_lshlrev_b64_e32 v[2:3], v2, v[4:5]
	s_delay_alu instid0(VALU_DEP_1)
	v_dual_sub_nc_u32 v0, 29, v0 :: v_dual_bitop2_b32 v4, 7, v2 bitop3:0x40
; %bb.2382:                             ;   in Loop: Header=BB216_2096 Depth=1
	s_or_b32 exec_lo, exec_lo, s3
	s_delay_alu instid0(VALU_DEP_1) | instskip(NEXT) | instid1(VALU_DEP_2)
	v_dual_lshlrev_b32 v1, 24, v1 :: v_dual_lshlrev_b32 v2, 20, v4
	v_lshl_add_u32 v0, v0, 23, 0x3c000000
	s_delay_alu instid0(VALU_DEP_2) | instskip(NEXT) | instid1(VALU_DEP_1)
	v_and_b32_e32 v1, 0x80000000, v1
	v_or3_b32 v3, v2, v1, v0
	v_dual_mov_b32 v1, v5 :: v_dual_mov_b32 v2, v5
	s_clause 0x1
	scratch_store_b64 off, v[0:1], s32 offset:192
	scratch_store_b64 off, v[2:3], s32 offset:540
.LBB216_2383:                           ;   in Loop: Header=BB216_2096 Depth=1
	s_wait_xcnt 0x0
	s_or_b32 exec_lo, exec_lo, s2
.LBB216_2384:                           ;   in Loop: Header=BB216_2096 Depth=1
	s_delay_alu instid0(SALU_CYCLE_1)
	s_or_b32 exec_lo, exec_lo, s1
.LBB216_2385:                           ;   in Loop: Header=BB216_2096 Depth=1
	s_delay_alu instid0(SALU_CYCLE_1)
	s_or_b32 exec_lo, exec_lo, s0
	flat_load_b32 v0, v[24:25] offset:1152
	v_mov_b64_e32 v[2:3], 0
	s_mov_b32 s0, exec_lo
	scratch_store_b64 off, v[2:3], s32 offset:556 ; 8-byte Folded Spill
	s_wait_xcnt 0x0
	v_mov_b64_e32 v[2:3], 0
	scratch_store_b64 off, v[2:3], s32 offset:564 ; 8-byte Folded Spill
	s_wait_loadcnt_dscnt 0x0
	v_and_b32_e32 v1, 0xff, v0
	s_wait_xcnt 0x0
	s_delay_alu instid0(VALU_DEP_1)
	v_cmpx_ne_u16_e32 0, v1
	s_cbranch_execz .LBB216_2393
; %bb.2386:                             ;   in Loop: Header=BB216_2096 Depth=1
	v_mov_b64_e32 v[2:3], 0x80000000
	s_mov_b32 s1, exec_lo
	scratch_store_b64 off, v[2:3], s32 offset:564 ; 8-byte Folded Spill
	s_wait_xcnt 0x0
	v_cmpx_ne_u16_e32 0x80, v1
	s_cbranch_execz .LBB216_2392
; %bb.2387:                             ;   in Loop: Header=BB216_2096 Depth=1
	v_mov_b64_e32 v[4:5], 0x7f800001
	v_and_b32_e32 v2, 0x7f, v0
	s_mov_b32 s2, exec_lo
	scratch_store_b64 off, v[4:5], s32 offset:564 ; 8-byte Folded Spill
	s_wait_xcnt 0x0
	v_cmpx_ne_u32_e32 0x7f, v2
	s_cbranch_execz .LBB216_2391
; %bb.2388:                             ;   in Loop: Header=BB216_2096 Depth=1
	scratch_load_b64 v[4:5], off, s32 offset:192 th:TH_LOAD_LU ; 8-byte Folded Reload
	s_wait_loadcnt 0x0
	v_dual_lshrrev_b32 v1, 3, v2 :: v_dual_bitop2_b32 v4, 7, v0 bitop3:0x40
	s_mov_b32 s3, exec_lo
	s_wait_xcnt 0x0
	v_cmpx_gt_u32_e32 8, v2
; %bb.2389:                             ;   in Loop: Header=BB216_2096 Depth=1
	s_delay_alu instid0(VALU_DEP_2) | instskip(NEXT) | instid1(VALU_DEP_1)
	v_clz_i32_u32_e32 v1, v4
	v_min_u32_e32 v1, 32, v1
	s_delay_alu instid0(VALU_DEP_1) | instskip(NEXT) | instid1(VALU_DEP_1)
	v_subrev_nc_u32_e32 v2, 28, v1
	v_lshlrev_b64_e32 v[2:3], v2, v[4:5]
	s_delay_alu instid0(VALU_DEP_1)
	v_dual_sub_nc_u32 v1, 29, v1 :: v_dual_bitop2_b32 v4, 7, v2 bitop3:0x40
; %bb.2390:                             ;   in Loop: Header=BB216_2096 Depth=1
	s_or_b32 exec_lo, exec_lo, s3
	v_lshlrev_b32_e32 v2, 24, v0
	s_delay_alu instid0(VALU_DEP_2) | instskip(NEXT) | instid1(VALU_DEP_3)
	v_lshlrev_b32_e32 v3, 20, v4
	v_lshl_add_u32 v1, v1, 23, 0x3c000000
	s_delay_alu instid0(VALU_DEP_3) | instskip(NEXT) | instid1(VALU_DEP_1)
	v_and_b32_e32 v2, 0x80000000, v2
	v_or3_b32 v4, v3, v2, v1
	v_mov_b32_e32 v1, v5
	s_clause 0x1
	scratch_store_b64 off, v[0:1], s32 offset:192
	scratch_store_b64 off, v[4:5], s32 offset:564
.LBB216_2391:                           ;   in Loop: Header=BB216_2096 Depth=1
	s_wait_xcnt 0x0
	s_or_b32 exec_lo, exec_lo, s2
.LBB216_2392:                           ;   in Loop: Header=BB216_2096 Depth=1
	s_delay_alu instid0(SALU_CYCLE_1)
	s_or_b32 exec_lo, exec_lo, s1
.LBB216_2393:                           ;   in Loop: Header=BB216_2096 Depth=1
	s_delay_alu instid0(SALU_CYCLE_1) | instskip(SKIP_2) | instid1(VALU_DEP_1)
	s_or_b32 exec_lo, exec_lo, s0
	v_lshrrev_b16 v1, 8, v0
	s_mov_b32 s0, exec_lo
	v_cmpx_ne_u16_e32 0, v1
	s_cbranch_execz .LBB216_2401
; %bb.2394:                             ;   in Loop: Header=BB216_2096 Depth=1
	v_mov_b64_e32 v[2:3], 0x8000000000000000
	s_mov_b32 s1, exec_lo
	scratch_store_b64 off, v[2:3], s32 offset:556 ; 8-byte Folded Spill
	s_wait_xcnt 0x0
	v_cmpx_ne_u16_e32 0x80, v1
	s_cbranch_execz .LBB216_2400
; %bb.2395:                             ;   in Loop: Header=BB216_2096 Depth=1
	v_and_b32_e32 v1, 0xffff, v1
	v_mov_b64_e32 v[4:5], 0x7f80000100000000
	s_mov_b32 s2, exec_lo
	s_delay_alu instid0(VALU_DEP_2)
	v_and_b32_e32 v2, 0x7f, v1
	scratch_store_b64 off, v[4:5], s32 offset:556 ; 8-byte Folded Spill
	s_wait_xcnt 0x0
	v_cmpx_ne_u32_e32 0x7f, v2
	s_cbranch_execz .LBB216_2399
; %bb.2396:                             ;   in Loop: Header=BB216_2096 Depth=1
	scratch_load_b64 v[4:5], off, s32 offset:192 th:TH_LOAD_LU ; 8-byte Folded Reload
	s_wait_loadcnt 0x0
	v_dual_lshrrev_b32 v1, 3, v2 :: v_dual_bitop2_b32 v4, 7, v1 bitop3:0x40
	s_mov_b32 s3, exec_lo
	s_wait_xcnt 0x0
	v_cmpx_gt_u32_e32 8, v2
; %bb.2397:                             ;   in Loop: Header=BB216_2096 Depth=1
	s_delay_alu instid0(VALU_DEP_2) | instskip(NEXT) | instid1(VALU_DEP_1)
	v_clz_i32_u32_e32 v1, v4
	v_min_u32_e32 v1, 32, v1
	s_delay_alu instid0(VALU_DEP_1) | instskip(NEXT) | instid1(VALU_DEP_1)
	v_subrev_nc_u32_e32 v2, 28, v1
	v_lshlrev_b64_e32 v[2:3], v2, v[4:5]
	s_delay_alu instid0(VALU_DEP_1)
	v_dual_sub_nc_u32 v1, 29, v1 :: v_dual_bitop2_b32 v4, 7, v2 bitop3:0x40
; %bb.2398:                             ;   in Loop: Header=BB216_2096 Depth=1
	s_or_b32 exec_lo, exec_lo, s3
	v_lshlrev_b32_e32 v2, 16, v0
	s_delay_alu instid0(VALU_DEP_2) | instskip(NEXT) | instid1(VALU_DEP_3)
	v_lshlrev_b32_e32 v3, 20, v4
	v_lshl_add_u32 v1, v1, 23, 0x3c000000
	s_delay_alu instid0(VALU_DEP_3) | instskip(NEXT) | instid1(VALU_DEP_1)
	v_and_b32_e32 v2, 0x80000000, v2
	v_or3_b32 v3, v3, v2, v1
	v_dual_mov_b32 v1, v5 :: v_dual_mov_b32 v2, v5
	s_clause 0x1
	scratch_store_b64 off, v[0:1], s32 offset:192
	scratch_store_b64 off, v[2:3], s32 offset:556
.LBB216_2399:                           ;   in Loop: Header=BB216_2096 Depth=1
	s_wait_xcnt 0x0
	s_or_b32 exec_lo, exec_lo, s2
.LBB216_2400:                           ;   in Loop: Header=BB216_2096 Depth=1
	s_delay_alu instid0(SALU_CYCLE_1)
	s_or_b32 exec_lo, exec_lo, s1
.LBB216_2401:                           ;   in Loop: Header=BB216_2096 Depth=1
	s_delay_alu instid0(SALU_CYCLE_1) | instskip(SKIP_3) | instid1(VALU_DEP_1)
	s_or_b32 exec_lo, exec_lo, s0
	v_mov_b64_e32 v[4:5], 0
	v_lshrrev_b32_e32 v1, 16, v0
	s_mov_b32 s0, exec_lo
	v_and_b32_e32 v2, 0xff, v1
	scratch_store_b64 off, v[4:5], s32 offset:572 ; 8-byte Folded Spill
	s_wait_xcnt 0x0
	v_mov_b64_e32 v[4:5], 0
	scratch_store_b64 off, v[4:5], s32 offset:580 ; 8-byte Folded Spill
	s_wait_xcnt 0x0
	v_cmpx_ne_u16_e32 0, v2
	s_cbranch_execz .LBB216_2409
; %bb.2402:                             ;   in Loop: Header=BB216_2096 Depth=1
	v_cmp_ne_u16_e32 vcc_lo, 0x80, v2
	v_mov_b64_e32 v[2:3], 0x80000000
	scratch_store_b64 off, v[2:3], s32 offset:580 ; 8-byte Folded Spill
	s_wait_xcnt 0x0
	s_and_saveexec_b32 s1, vcc_lo
	s_cbranch_execz .LBB216_2408
; %bb.2403:                             ;   in Loop: Header=BB216_2096 Depth=1
	v_mov_b64_e32 v[4:5], 0x7f800001
	v_bfe_u32 v3, v0, 16, 7
	s_mov_b32 s2, exec_lo
	scratch_store_b64 off, v[4:5], s32 offset:580 ; 8-byte Folded Spill
	s_wait_xcnt 0x0
	v_cmpx_ne_u32_e32 0x7f, v3
	s_cbranch_execz .LBB216_2407
; %bb.2404:                             ;   in Loop: Header=BB216_2096 Depth=1
	scratch_load_b64 v[6:7], off, s32 offset:192 th:TH_LOAD_LU ; 8-byte Folded Reload
	s_wait_loadcnt 0x0
	v_dual_lshrrev_b32 v2, 3, v3 :: v_dual_bitop2_b32 v6, 7, v1 bitop3:0x40
	s_mov_b32 s3, exec_lo
	s_wait_xcnt 0x0
	v_cmpx_gt_u32_e32 8, v3
; %bb.2405:                             ;   in Loop: Header=BB216_2096 Depth=1
	s_delay_alu instid0(VALU_DEP_2) | instskip(NEXT) | instid1(VALU_DEP_1)
	v_clz_i32_u32_e32 v2, v6
	v_min_u32_e32 v2, 32, v2
	s_delay_alu instid0(VALU_DEP_1) | instskip(NEXT) | instid1(VALU_DEP_1)
	v_subrev_nc_u32_e32 v3, 28, v2
	v_lshlrev_b64_e32 v[4:5], v3, v[6:7]
	s_delay_alu instid0(VALU_DEP_1)
	v_dual_sub_nc_u32 v2, 29, v2 :: v_dual_bitop2_b32 v6, 7, v4 bitop3:0x40
; %bb.2406:                             ;   in Loop: Header=BB216_2096 Depth=1
	s_or_b32 exec_lo, exec_lo, s3
	s_delay_alu instid0(VALU_DEP_1) | instskip(NEXT) | instid1(VALU_DEP_2)
	v_dual_lshlrev_b32 v1, 24, v1 :: v_dual_lshlrev_b32 v3, 20, v6
	v_lshl_add_u32 v2, v2, 23, 0x3c000000
	s_delay_alu instid0(VALU_DEP_2) | instskip(NEXT) | instid1(VALU_DEP_1)
	v_and_b32_e32 v1, 0x80000000, v1
	v_or3_b32 v6, v3, v1, v2
	v_mov_b32_e32 v1, v7
	s_clause 0x1
	scratch_store_b64 off, v[0:1], s32 offset:192
	scratch_store_b64 off, v[6:7], s32 offset:580
.LBB216_2407:                           ;   in Loop: Header=BB216_2096 Depth=1
	s_wait_xcnt 0x0
	s_or_b32 exec_lo, exec_lo, s2
.LBB216_2408:                           ;   in Loop: Header=BB216_2096 Depth=1
	s_delay_alu instid0(SALU_CYCLE_1)
	s_or_b32 exec_lo, exec_lo, s1
.LBB216_2409:                           ;   in Loop: Header=BB216_2096 Depth=1
	s_delay_alu instid0(SALU_CYCLE_1) | instskip(NEXT) | instid1(SALU_CYCLE_1)
	s_or_b32 exec_lo, exec_lo, s0
	s_mov_b32 s0, exec_lo
	v_cmpx_lt_u32_e32 0xffffff, v0
	s_cbranch_execz .LBB216_2417
; %bb.2410:                             ;   in Loop: Header=BB216_2096 Depth=1
	v_mov_b64_e32 v[2:3], 0x8000000000000000
	v_lshrrev_b32_e32 v1, 24, v0
	s_mov_b32 s1, exec_lo
	scratch_store_b64 off, v[2:3], s32 offset:572 ; 8-byte Folded Spill
	s_wait_xcnt 0x0
	v_cmpx_ne_u32_e32 0x80, v1
	s_cbranch_execz .LBB216_2416
; %bb.2411:                             ;   in Loop: Header=BB216_2096 Depth=1
	v_mov_b64_e32 v[4:5], 0x7f80000100000000
	v_bfe_u32 v2, v0, 24, 7
	s_mov_b32 s2, exec_lo
	scratch_store_b64 off, v[4:5], s32 offset:572 ; 8-byte Folded Spill
	s_wait_xcnt 0x0
	v_cmpx_ne_u32_e32 0x7f, v2
	s_cbranch_execz .LBB216_2415
; %bb.2412:                             ;   in Loop: Header=BB216_2096 Depth=1
	scratch_load_b64 v[4:5], off, s32 offset:192 th:TH_LOAD_LU ; 8-byte Folded Reload
	s_wait_loadcnt 0x0
	v_dual_lshrrev_b32 v0, 3, v2 :: v_dual_bitop2_b32 v4, 7, v1 bitop3:0x40
	s_mov_b32 s3, exec_lo
	s_wait_xcnt 0x0
	v_cmpx_gt_u32_e32 8, v2
; %bb.2413:                             ;   in Loop: Header=BB216_2096 Depth=1
	s_delay_alu instid0(VALU_DEP_2) | instskip(NEXT) | instid1(VALU_DEP_1)
	v_clz_i32_u32_e32 v0, v4
	v_min_u32_e32 v0, 32, v0
	s_delay_alu instid0(VALU_DEP_1) | instskip(NEXT) | instid1(VALU_DEP_1)
	v_subrev_nc_u32_e32 v2, 28, v0
	v_lshlrev_b64_e32 v[2:3], v2, v[4:5]
	s_delay_alu instid0(VALU_DEP_1)
	v_dual_sub_nc_u32 v0, 29, v0 :: v_dual_bitop2_b32 v4, 7, v2 bitop3:0x40
; %bb.2414:                             ;   in Loop: Header=BB216_2096 Depth=1
	s_or_b32 exec_lo, exec_lo, s3
	s_delay_alu instid0(VALU_DEP_1) | instskip(NEXT) | instid1(VALU_DEP_2)
	v_dual_lshlrev_b32 v1, 24, v1 :: v_dual_lshlrev_b32 v2, 20, v4
	v_lshl_add_u32 v0, v0, 23, 0x3c000000
	s_delay_alu instid0(VALU_DEP_2) | instskip(NEXT) | instid1(VALU_DEP_1)
	v_and_b32_e32 v1, 0x80000000, v1
	v_or3_b32 v3, v2, v1, v0
	v_dual_mov_b32 v1, v5 :: v_dual_mov_b32 v2, v5
	s_clause 0x1
	scratch_store_b64 off, v[0:1], s32 offset:192
	scratch_store_b64 off, v[2:3], s32 offset:572
.LBB216_2415:                           ;   in Loop: Header=BB216_2096 Depth=1
	s_wait_xcnt 0x0
	s_or_b32 exec_lo, exec_lo, s2
.LBB216_2416:                           ;   in Loop: Header=BB216_2096 Depth=1
	s_delay_alu instid0(SALU_CYCLE_1)
	s_or_b32 exec_lo, exec_lo, s1
.LBB216_2417:                           ;   in Loop: Header=BB216_2096 Depth=1
	s_delay_alu instid0(SALU_CYCLE_1)
	s_or_b32 exec_lo, exec_lo, s0
	flat_load_b32 v0, v[24:25] offset:1280
	v_mov_b64_e32 v[2:3], 0
	s_mov_b32 s0, exec_lo
	scratch_store_b64 off, v[2:3], s32 offset:588 ; 8-byte Folded Spill
	s_wait_xcnt 0x0
	v_mov_b64_e32 v[2:3], 0
	scratch_store_b64 off, v[2:3], s32 offset:596 ; 8-byte Folded Spill
	s_wait_loadcnt_dscnt 0x0
	v_and_b32_e32 v1, 0xff, v0
	s_wait_xcnt 0x0
	s_delay_alu instid0(VALU_DEP_1)
	v_cmpx_ne_u16_e32 0, v1
	s_cbranch_execz .LBB216_2425
; %bb.2418:                             ;   in Loop: Header=BB216_2096 Depth=1
	v_mov_b64_e32 v[2:3], 0x80000000
	s_mov_b32 s1, exec_lo
	scratch_store_b64 off, v[2:3], s32 offset:596 ; 8-byte Folded Spill
	s_wait_xcnt 0x0
	v_cmpx_ne_u16_e32 0x80, v1
	s_cbranch_execz .LBB216_2424
; %bb.2419:                             ;   in Loop: Header=BB216_2096 Depth=1
	v_mov_b64_e32 v[4:5], 0x7f800001
	v_and_b32_e32 v2, 0x7f, v0
	s_mov_b32 s2, exec_lo
	scratch_store_b64 off, v[4:5], s32 offset:596 ; 8-byte Folded Spill
	s_wait_xcnt 0x0
	v_cmpx_ne_u32_e32 0x7f, v2
	s_cbranch_execz .LBB216_2423
; %bb.2420:                             ;   in Loop: Header=BB216_2096 Depth=1
	scratch_load_b64 v[4:5], off, s32 offset:192 th:TH_LOAD_LU ; 8-byte Folded Reload
	s_wait_loadcnt 0x0
	v_dual_lshrrev_b32 v1, 3, v2 :: v_dual_bitop2_b32 v4, 7, v0 bitop3:0x40
	s_mov_b32 s3, exec_lo
	s_wait_xcnt 0x0
	v_cmpx_gt_u32_e32 8, v2
; %bb.2421:                             ;   in Loop: Header=BB216_2096 Depth=1
	s_delay_alu instid0(VALU_DEP_2) | instskip(NEXT) | instid1(VALU_DEP_1)
	v_clz_i32_u32_e32 v1, v4
	v_min_u32_e32 v1, 32, v1
	s_delay_alu instid0(VALU_DEP_1) | instskip(NEXT) | instid1(VALU_DEP_1)
	v_subrev_nc_u32_e32 v2, 28, v1
	v_lshlrev_b64_e32 v[2:3], v2, v[4:5]
	s_delay_alu instid0(VALU_DEP_1)
	v_dual_sub_nc_u32 v1, 29, v1 :: v_dual_bitop2_b32 v4, 7, v2 bitop3:0x40
; %bb.2422:                             ;   in Loop: Header=BB216_2096 Depth=1
	s_or_b32 exec_lo, exec_lo, s3
	v_lshlrev_b32_e32 v2, 24, v0
	s_delay_alu instid0(VALU_DEP_2) | instskip(NEXT) | instid1(VALU_DEP_3)
	v_lshlrev_b32_e32 v3, 20, v4
	v_lshl_add_u32 v1, v1, 23, 0x3c000000
	s_delay_alu instid0(VALU_DEP_3) | instskip(NEXT) | instid1(VALU_DEP_1)
	v_and_b32_e32 v2, 0x80000000, v2
	v_or3_b32 v4, v3, v2, v1
	v_mov_b32_e32 v1, v5
	s_clause 0x1
	scratch_store_b64 off, v[0:1], s32 offset:192
	scratch_store_b64 off, v[4:5], s32 offset:596
.LBB216_2423:                           ;   in Loop: Header=BB216_2096 Depth=1
	s_wait_xcnt 0x0
	s_or_b32 exec_lo, exec_lo, s2
.LBB216_2424:                           ;   in Loop: Header=BB216_2096 Depth=1
	s_delay_alu instid0(SALU_CYCLE_1)
	s_or_b32 exec_lo, exec_lo, s1
.LBB216_2425:                           ;   in Loop: Header=BB216_2096 Depth=1
	s_delay_alu instid0(SALU_CYCLE_1) | instskip(SKIP_2) | instid1(VALU_DEP_1)
	s_or_b32 exec_lo, exec_lo, s0
	v_lshrrev_b16 v1, 8, v0
	s_mov_b32 s0, exec_lo
	v_cmpx_ne_u16_e32 0, v1
	s_cbranch_execz .LBB216_2433
; %bb.2426:                             ;   in Loop: Header=BB216_2096 Depth=1
	v_mov_b64_e32 v[2:3], 0x8000000000000000
	s_mov_b32 s1, exec_lo
	scratch_store_b64 off, v[2:3], s32 offset:588 ; 8-byte Folded Spill
	s_wait_xcnt 0x0
	v_cmpx_ne_u16_e32 0x80, v1
	s_cbranch_execz .LBB216_2432
; %bb.2427:                             ;   in Loop: Header=BB216_2096 Depth=1
	v_and_b32_e32 v1, 0xffff, v1
	v_mov_b64_e32 v[4:5], 0x7f80000100000000
	s_mov_b32 s2, exec_lo
	s_delay_alu instid0(VALU_DEP_2)
	v_and_b32_e32 v2, 0x7f, v1
	scratch_store_b64 off, v[4:5], s32 offset:588 ; 8-byte Folded Spill
	s_wait_xcnt 0x0
	v_cmpx_ne_u32_e32 0x7f, v2
	s_cbranch_execz .LBB216_2431
; %bb.2428:                             ;   in Loop: Header=BB216_2096 Depth=1
	scratch_load_b64 v[4:5], off, s32 offset:192 th:TH_LOAD_LU ; 8-byte Folded Reload
	s_wait_loadcnt 0x0
	v_dual_lshrrev_b32 v1, 3, v2 :: v_dual_bitop2_b32 v4, 7, v1 bitop3:0x40
	s_mov_b32 s3, exec_lo
	s_wait_xcnt 0x0
	v_cmpx_gt_u32_e32 8, v2
; %bb.2429:                             ;   in Loop: Header=BB216_2096 Depth=1
	s_delay_alu instid0(VALU_DEP_2) | instskip(NEXT) | instid1(VALU_DEP_1)
	v_clz_i32_u32_e32 v1, v4
	v_min_u32_e32 v1, 32, v1
	s_delay_alu instid0(VALU_DEP_1) | instskip(NEXT) | instid1(VALU_DEP_1)
	v_subrev_nc_u32_e32 v2, 28, v1
	v_lshlrev_b64_e32 v[2:3], v2, v[4:5]
	s_delay_alu instid0(VALU_DEP_1)
	v_dual_sub_nc_u32 v1, 29, v1 :: v_dual_bitop2_b32 v4, 7, v2 bitop3:0x40
; %bb.2430:                             ;   in Loop: Header=BB216_2096 Depth=1
	s_or_b32 exec_lo, exec_lo, s3
	v_lshlrev_b32_e32 v2, 16, v0
	s_delay_alu instid0(VALU_DEP_2) | instskip(NEXT) | instid1(VALU_DEP_3)
	v_lshlrev_b32_e32 v3, 20, v4
	v_lshl_add_u32 v1, v1, 23, 0x3c000000
	s_delay_alu instid0(VALU_DEP_3) | instskip(NEXT) | instid1(VALU_DEP_1)
	v_and_b32_e32 v2, 0x80000000, v2
	v_or3_b32 v3, v3, v2, v1
	v_dual_mov_b32 v1, v5 :: v_dual_mov_b32 v2, v5
	s_clause 0x1
	scratch_store_b64 off, v[0:1], s32 offset:192
	scratch_store_b64 off, v[2:3], s32 offset:588
.LBB216_2431:                           ;   in Loop: Header=BB216_2096 Depth=1
	s_wait_xcnt 0x0
	s_or_b32 exec_lo, exec_lo, s2
.LBB216_2432:                           ;   in Loop: Header=BB216_2096 Depth=1
	s_delay_alu instid0(SALU_CYCLE_1)
	s_or_b32 exec_lo, exec_lo, s1
.LBB216_2433:                           ;   in Loop: Header=BB216_2096 Depth=1
	s_delay_alu instid0(SALU_CYCLE_1) | instskip(SKIP_3) | instid1(VALU_DEP_1)
	s_or_b32 exec_lo, exec_lo, s0
	v_mov_b64_e32 v[4:5], 0
	v_lshrrev_b32_e32 v1, 16, v0
	s_mov_b32 s0, exec_lo
	v_and_b32_e32 v2, 0xff, v1
	scratch_store_b64 off, v[4:5], s32 offset:604 ; 8-byte Folded Spill
	s_wait_xcnt 0x0
	v_mov_b64_e32 v[4:5], 0
	scratch_store_b64 off, v[4:5], s32 offset:612 ; 8-byte Folded Spill
	s_wait_xcnt 0x0
	v_cmpx_ne_u16_e32 0, v2
	s_cbranch_execz .LBB216_2441
; %bb.2434:                             ;   in Loop: Header=BB216_2096 Depth=1
	v_cmp_ne_u16_e32 vcc_lo, 0x80, v2
	v_mov_b64_e32 v[2:3], 0x80000000
	scratch_store_b64 off, v[2:3], s32 offset:612 ; 8-byte Folded Spill
	s_wait_xcnt 0x0
	s_and_saveexec_b32 s1, vcc_lo
	s_cbranch_execz .LBB216_2440
; %bb.2435:                             ;   in Loop: Header=BB216_2096 Depth=1
	v_mov_b64_e32 v[4:5], 0x7f800001
	v_bfe_u32 v3, v0, 16, 7
	s_mov_b32 s2, exec_lo
	scratch_store_b64 off, v[4:5], s32 offset:612 ; 8-byte Folded Spill
	s_wait_xcnt 0x0
	v_cmpx_ne_u32_e32 0x7f, v3
	s_cbranch_execz .LBB216_2439
; %bb.2436:                             ;   in Loop: Header=BB216_2096 Depth=1
	scratch_load_b64 v[6:7], off, s32 offset:192 th:TH_LOAD_LU ; 8-byte Folded Reload
	s_wait_loadcnt 0x0
	v_dual_lshrrev_b32 v2, 3, v3 :: v_dual_bitop2_b32 v6, 7, v1 bitop3:0x40
	s_mov_b32 s3, exec_lo
	s_wait_xcnt 0x0
	v_cmpx_gt_u32_e32 8, v3
; %bb.2437:                             ;   in Loop: Header=BB216_2096 Depth=1
	s_delay_alu instid0(VALU_DEP_2) | instskip(NEXT) | instid1(VALU_DEP_1)
	v_clz_i32_u32_e32 v2, v6
	v_min_u32_e32 v2, 32, v2
	s_delay_alu instid0(VALU_DEP_1) | instskip(NEXT) | instid1(VALU_DEP_1)
	v_subrev_nc_u32_e32 v3, 28, v2
	v_lshlrev_b64_e32 v[4:5], v3, v[6:7]
	s_delay_alu instid0(VALU_DEP_1)
	v_dual_sub_nc_u32 v2, 29, v2 :: v_dual_bitop2_b32 v6, 7, v4 bitop3:0x40
; %bb.2438:                             ;   in Loop: Header=BB216_2096 Depth=1
	s_or_b32 exec_lo, exec_lo, s3
	s_delay_alu instid0(VALU_DEP_1) | instskip(NEXT) | instid1(VALU_DEP_2)
	v_dual_lshlrev_b32 v1, 24, v1 :: v_dual_lshlrev_b32 v3, 20, v6
	v_lshl_add_u32 v2, v2, 23, 0x3c000000
	s_delay_alu instid0(VALU_DEP_2) | instskip(NEXT) | instid1(VALU_DEP_1)
	v_and_b32_e32 v1, 0x80000000, v1
	v_or3_b32 v6, v3, v1, v2
	v_mov_b32_e32 v1, v7
	s_clause 0x1
	scratch_store_b64 off, v[0:1], s32 offset:192
	scratch_store_b64 off, v[6:7], s32 offset:612
.LBB216_2439:                           ;   in Loop: Header=BB216_2096 Depth=1
	s_wait_xcnt 0x0
	s_or_b32 exec_lo, exec_lo, s2
.LBB216_2440:                           ;   in Loop: Header=BB216_2096 Depth=1
	s_delay_alu instid0(SALU_CYCLE_1)
	s_or_b32 exec_lo, exec_lo, s1
.LBB216_2441:                           ;   in Loop: Header=BB216_2096 Depth=1
	s_delay_alu instid0(SALU_CYCLE_1) | instskip(NEXT) | instid1(SALU_CYCLE_1)
	s_or_b32 exec_lo, exec_lo, s0
	s_mov_b32 s0, exec_lo
	v_cmpx_lt_u32_e32 0xffffff, v0
	s_cbranch_execz .LBB216_2449
; %bb.2442:                             ;   in Loop: Header=BB216_2096 Depth=1
	v_mov_b64_e32 v[2:3], 0x8000000000000000
	v_lshrrev_b32_e32 v1, 24, v0
	s_mov_b32 s1, exec_lo
	scratch_store_b64 off, v[2:3], s32 offset:604 ; 8-byte Folded Spill
	s_wait_xcnt 0x0
	v_cmpx_ne_u32_e32 0x80, v1
	s_cbranch_execz .LBB216_2448
; %bb.2443:                             ;   in Loop: Header=BB216_2096 Depth=1
	v_mov_b64_e32 v[4:5], 0x7f80000100000000
	v_bfe_u32 v2, v0, 24, 7
	s_mov_b32 s2, exec_lo
	scratch_store_b64 off, v[4:5], s32 offset:604 ; 8-byte Folded Spill
	s_wait_xcnt 0x0
	v_cmpx_ne_u32_e32 0x7f, v2
	s_cbranch_execz .LBB216_2447
; %bb.2444:                             ;   in Loop: Header=BB216_2096 Depth=1
	scratch_load_b64 v[4:5], off, s32 offset:192 th:TH_LOAD_LU ; 8-byte Folded Reload
	s_wait_loadcnt 0x0
	v_dual_lshrrev_b32 v0, 3, v2 :: v_dual_bitop2_b32 v4, 7, v1 bitop3:0x40
	s_mov_b32 s3, exec_lo
	s_wait_xcnt 0x0
	v_cmpx_gt_u32_e32 8, v2
; %bb.2445:                             ;   in Loop: Header=BB216_2096 Depth=1
	s_delay_alu instid0(VALU_DEP_2) | instskip(NEXT) | instid1(VALU_DEP_1)
	v_clz_i32_u32_e32 v0, v4
	v_min_u32_e32 v0, 32, v0
	s_delay_alu instid0(VALU_DEP_1) | instskip(NEXT) | instid1(VALU_DEP_1)
	v_subrev_nc_u32_e32 v2, 28, v0
	v_lshlrev_b64_e32 v[2:3], v2, v[4:5]
	s_delay_alu instid0(VALU_DEP_1)
	v_dual_sub_nc_u32 v0, 29, v0 :: v_dual_bitop2_b32 v4, 7, v2 bitop3:0x40
; %bb.2446:                             ;   in Loop: Header=BB216_2096 Depth=1
	s_or_b32 exec_lo, exec_lo, s3
	s_delay_alu instid0(VALU_DEP_1) | instskip(NEXT) | instid1(VALU_DEP_2)
	v_dual_lshlrev_b32 v1, 24, v1 :: v_dual_lshlrev_b32 v2, 20, v4
	v_lshl_add_u32 v0, v0, 23, 0x3c000000
	s_delay_alu instid0(VALU_DEP_2) | instskip(NEXT) | instid1(VALU_DEP_1)
	v_and_b32_e32 v1, 0x80000000, v1
	v_or3_b32 v3, v2, v1, v0
	v_dual_mov_b32 v1, v5 :: v_dual_mov_b32 v2, v5
	s_clause 0x1
	scratch_store_b64 off, v[0:1], s32 offset:192
	scratch_store_b64 off, v[2:3], s32 offset:604
.LBB216_2447:                           ;   in Loop: Header=BB216_2096 Depth=1
	s_wait_xcnt 0x0
	s_or_b32 exec_lo, exec_lo, s2
.LBB216_2448:                           ;   in Loop: Header=BB216_2096 Depth=1
	s_delay_alu instid0(SALU_CYCLE_1)
	s_or_b32 exec_lo, exec_lo, s1
.LBB216_2449:                           ;   in Loop: Header=BB216_2096 Depth=1
	s_delay_alu instid0(SALU_CYCLE_1)
	s_or_b32 exec_lo, exec_lo, s0
	flat_load_b32 v0, v[24:25] offset:1408
	v_mov_b64_e32 v[2:3], 0
	s_mov_b32 s0, exec_lo
	scratch_store_b64 off, v[2:3], s32 offset:620 ; 8-byte Folded Spill
	s_wait_xcnt 0x0
	v_mov_b64_e32 v[2:3], 0
	scratch_store_b64 off, v[2:3], s32 offset:628 ; 8-byte Folded Spill
	s_wait_loadcnt_dscnt 0x0
	v_and_b32_e32 v1, 0xff, v0
	s_wait_xcnt 0x0
	s_delay_alu instid0(VALU_DEP_1)
	v_cmpx_ne_u16_e32 0, v1
	s_cbranch_execz .LBB216_2457
; %bb.2450:                             ;   in Loop: Header=BB216_2096 Depth=1
	v_mov_b64_e32 v[2:3], 0x80000000
	s_mov_b32 s1, exec_lo
	scratch_store_b64 off, v[2:3], s32 offset:628 ; 8-byte Folded Spill
	s_wait_xcnt 0x0
	v_cmpx_ne_u16_e32 0x80, v1
	s_cbranch_execz .LBB216_2456
; %bb.2451:                             ;   in Loop: Header=BB216_2096 Depth=1
	v_mov_b64_e32 v[4:5], 0x7f800001
	v_and_b32_e32 v2, 0x7f, v0
	s_mov_b32 s2, exec_lo
	scratch_store_b64 off, v[4:5], s32 offset:628 ; 8-byte Folded Spill
	s_wait_xcnt 0x0
	v_cmpx_ne_u32_e32 0x7f, v2
	s_cbranch_execz .LBB216_2455
; %bb.2452:                             ;   in Loop: Header=BB216_2096 Depth=1
	scratch_load_b64 v[4:5], off, s32 offset:192 th:TH_LOAD_LU ; 8-byte Folded Reload
	s_wait_loadcnt 0x0
	v_dual_lshrrev_b32 v1, 3, v2 :: v_dual_bitop2_b32 v4, 7, v0 bitop3:0x40
	s_mov_b32 s3, exec_lo
	s_wait_xcnt 0x0
	v_cmpx_gt_u32_e32 8, v2
; %bb.2453:                             ;   in Loop: Header=BB216_2096 Depth=1
	s_delay_alu instid0(VALU_DEP_2) | instskip(NEXT) | instid1(VALU_DEP_1)
	v_clz_i32_u32_e32 v1, v4
	v_min_u32_e32 v1, 32, v1
	s_delay_alu instid0(VALU_DEP_1) | instskip(NEXT) | instid1(VALU_DEP_1)
	v_subrev_nc_u32_e32 v2, 28, v1
	v_lshlrev_b64_e32 v[2:3], v2, v[4:5]
	s_delay_alu instid0(VALU_DEP_1)
	v_dual_sub_nc_u32 v1, 29, v1 :: v_dual_bitop2_b32 v4, 7, v2 bitop3:0x40
; %bb.2454:                             ;   in Loop: Header=BB216_2096 Depth=1
	s_or_b32 exec_lo, exec_lo, s3
	v_lshlrev_b32_e32 v2, 24, v0
	s_delay_alu instid0(VALU_DEP_2) | instskip(NEXT) | instid1(VALU_DEP_3)
	v_lshlrev_b32_e32 v3, 20, v4
	v_lshl_add_u32 v1, v1, 23, 0x3c000000
	s_delay_alu instid0(VALU_DEP_3) | instskip(NEXT) | instid1(VALU_DEP_1)
	v_and_b32_e32 v2, 0x80000000, v2
	v_or3_b32 v4, v3, v2, v1
	v_mov_b32_e32 v1, v5
	s_clause 0x1
	scratch_store_b64 off, v[0:1], s32 offset:192
	scratch_store_b64 off, v[4:5], s32 offset:628
.LBB216_2455:                           ;   in Loop: Header=BB216_2096 Depth=1
	s_wait_xcnt 0x0
	s_or_b32 exec_lo, exec_lo, s2
.LBB216_2456:                           ;   in Loop: Header=BB216_2096 Depth=1
	s_delay_alu instid0(SALU_CYCLE_1)
	s_or_b32 exec_lo, exec_lo, s1
.LBB216_2457:                           ;   in Loop: Header=BB216_2096 Depth=1
	s_delay_alu instid0(SALU_CYCLE_1) | instskip(SKIP_2) | instid1(VALU_DEP_1)
	s_or_b32 exec_lo, exec_lo, s0
	v_lshrrev_b16 v1, 8, v0
	s_mov_b32 s0, exec_lo
	v_cmpx_ne_u16_e32 0, v1
	s_cbranch_execz .LBB216_2465
; %bb.2458:                             ;   in Loop: Header=BB216_2096 Depth=1
	v_mov_b64_e32 v[2:3], 0x8000000000000000
	s_mov_b32 s1, exec_lo
	scratch_store_b64 off, v[2:3], s32 offset:620 ; 8-byte Folded Spill
	s_wait_xcnt 0x0
	v_cmpx_ne_u16_e32 0x80, v1
	s_cbranch_execz .LBB216_2464
; %bb.2459:                             ;   in Loop: Header=BB216_2096 Depth=1
	v_and_b32_e32 v1, 0xffff, v1
	v_mov_b64_e32 v[4:5], 0x7f80000100000000
	s_mov_b32 s2, exec_lo
	s_delay_alu instid0(VALU_DEP_2)
	v_and_b32_e32 v2, 0x7f, v1
	scratch_store_b64 off, v[4:5], s32 offset:620 ; 8-byte Folded Spill
	s_wait_xcnt 0x0
	v_cmpx_ne_u32_e32 0x7f, v2
	s_cbranch_execz .LBB216_2463
; %bb.2460:                             ;   in Loop: Header=BB216_2096 Depth=1
	scratch_load_b64 v[4:5], off, s32 offset:192 th:TH_LOAD_LU ; 8-byte Folded Reload
	s_wait_loadcnt 0x0
	v_dual_lshrrev_b32 v1, 3, v2 :: v_dual_bitop2_b32 v4, 7, v1 bitop3:0x40
	s_mov_b32 s3, exec_lo
	s_wait_xcnt 0x0
	v_cmpx_gt_u32_e32 8, v2
; %bb.2461:                             ;   in Loop: Header=BB216_2096 Depth=1
	s_delay_alu instid0(VALU_DEP_2) | instskip(NEXT) | instid1(VALU_DEP_1)
	v_clz_i32_u32_e32 v1, v4
	v_min_u32_e32 v1, 32, v1
	s_delay_alu instid0(VALU_DEP_1) | instskip(NEXT) | instid1(VALU_DEP_1)
	v_subrev_nc_u32_e32 v2, 28, v1
	v_lshlrev_b64_e32 v[2:3], v2, v[4:5]
	s_delay_alu instid0(VALU_DEP_1)
	v_dual_sub_nc_u32 v1, 29, v1 :: v_dual_bitop2_b32 v4, 7, v2 bitop3:0x40
; %bb.2462:                             ;   in Loop: Header=BB216_2096 Depth=1
	s_or_b32 exec_lo, exec_lo, s3
	v_lshlrev_b32_e32 v2, 16, v0
	s_delay_alu instid0(VALU_DEP_2) | instskip(NEXT) | instid1(VALU_DEP_3)
	v_lshlrev_b32_e32 v3, 20, v4
	v_lshl_add_u32 v1, v1, 23, 0x3c000000
	s_delay_alu instid0(VALU_DEP_3) | instskip(NEXT) | instid1(VALU_DEP_1)
	v_and_b32_e32 v2, 0x80000000, v2
	v_or3_b32 v3, v3, v2, v1
	v_dual_mov_b32 v1, v5 :: v_dual_mov_b32 v2, v5
	s_clause 0x1
	scratch_store_b64 off, v[0:1], s32 offset:192
	scratch_store_b64 off, v[2:3], s32 offset:620
.LBB216_2463:                           ;   in Loop: Header=BB216_2096 Depth=1
	s_wait_xcnt 0x0
	s_or_b32 exec_lo, exec_lo, s2
.LBB216_2464:                           ;   in Loop: Header=BB216_2096 Depth=1
	s_delay_alu instid0(SALU_CYCLE_1)
	s_or_b32 exec_lo, exec_lo, s1
.LBB216_2465:                           ;   in Loop: Header=BB216_2096 Depth=1
	s_delay_alu instid0(SALU_CYCLE_1) | instskip(SKIP_3) | instid1(VALU_DEP_1)
	s_or_b32 exec_lo, exec_lo, s0
	v_mov_b64_e32 v[4:5], 0
	v_lshrrev_b32_e32 v1, 16, v0
	s_mov_b32 s0, exec_lo
	v_and_b32_e32 v2, 0xff, v1
	scratch_store_b64 off, v[4:5], s32 offset:636 ; 8-byte Folded Spill
	s_wait_xcnt 0x0
	v_mov_b64_e32 v[4:5], 0
	scratch_store_b64 off, v[4:5], s32 offset:644 ; 8-byte Folded Spill
	s_wait_xcnt 0x0
	v_cmpx_ne_u16_e32 0, v2
	s_cbranch_execz .LBB216_2473
; %bb.2466:                             ;   in Loop: Header=BB216_2096 Depth=1
	v_cmp_ne_u16_e32 vcc_lo, 0x80, v2
	v_mov_b64_e32 v[2:3], 0x80000000
	scratch_store_b64 off, v[2:3], s32 offset:644 ; 8-byte Folded Spill
	s_wait_xcnt 0x0
	s_and_saveexec_b32 s1, vcc_lo
	s_cbranch_execz .LBB216_2472
; %bb.2467:                             ;   in Loop: Header=BB216_2096 Depth=1
	v_mov_b64_e32 v[4:5], 0x7f800001
	v_bfe_u32 v3, v0, 16, 7
	s_mov_b32 s2, exec_lo
	scratch_store_b64 off, v[4:5], s32 offset:644 ; 8-byte Folded Spill
	s_wait_xcnt 0x0
	v_cmpx_ne_u32_e32 0x7f, v3
	s_cbranch_execz .LBB216_2471
; %bb.2468:                             ;   in Loop: Header=BB216_2096 Depth=1
	scratch_load_b64 v[6:7], off, s32 offset:192 th:TH_LOAD_LU ; 8-byte Folded Reload
	s_wait_loadcnt 0x0
	v_dual_lshrrev_b32 v2, 3, v3 :: v_dual_bitop2_b32 v6, 7, v1 bitop3:0x40
	s_mov_b32 s3, exec_lo
	s_wait_xcnt 0x0
	v_cmpx_gt_u32_e32 8, v3
; %bb.2469:                             ;   in Loop: Header=BB216_2096 Depth=1
	s_delay_alu instid0(VALU_DEP_2) | instskip(NEXT) | instid1(VALU_DEP_1)
	v_clz_i32_u32_e32 v2, v6
	v_min_u32_e32 v2, 32, v2
	s_delay_alu instid0(VALU_DEP_1) | instskip(NEXT) | instid1(VALU_DEP_1)
	v_subrev_nc_u32_e32 v3, 28, v2
	v_lshlrev_b64_e32 v[4:5], v3, v[6:7]
	s_delay_alu instid0(VALU_DEP_1)
	v_dual_sub_nc_u32 v2, 29, v2 :: v_dual_bitop2_b32 v6, 7, v4 bitop3:0x40
; %bb.2470:                             ;   in Loop: Header=BB216_2096 Depth=1
	s_or_b32 exec_lo, exec_lo, s3
	s_delay_alu instid0(VALU_DEP_1) | instskip(NEXT) | instid1(VALU_DEP_2)
	v_dual_lshlrev_b32 v1, 24, v1 :: v_dual_lshlrev_b32 v3, 20, v6
	v_lshl_add_u32 v2, v2, 23, 0x3c000000
	s_delay_alu instid0(VALU_DEP_2) | instskip(NEXT) | instid1(VALU_DEP_1)
	v_and_b32_e32 v1, 0x80000000, v1
	v_or3_b32 v6, v3, v1, v2
	v_mov_b32_e32 v1, v7
	s_clause 0x1
	scratch_store_b64 off, v[0:1], s32 offset:192
	scratch_store_b64 off, v[6:7], s32 offset:644
.LBB216_2471:                           ;   in Loop: Header=BB216_2096 Depth=1
	s_wait_xcnt 0x0
	s_or_b32 exec_lo, exec_lo, s2
.LBB216_2472:                           ;   in Loop: Header=BB216_2096 Depth=1
	s_delay_alu instid0(SALU_CYCLE_1)
	s_or_b32 exec_lo, exec_lo, s1
.LBB216_2473:                           ;   in Loop: Header=BB216_2096 Depth=1
	s_delay_alu instid0(SALU_CYCLE_1) | instskip(NEXT) | instid1(SALU_CYCLE_1)
	s_or_b32 exec_lo, exec_lo, s0
	s_mov_b32 s0, exec_lo
	v_cmpx_lt_u32_e32 0xffffff, v0
	s_cbranch_execz .LBB216_2481
; %bb.2474:                             ;   in Loop: Header=BB216_2096 Depth=1
	v_mov_b64_e32 v[2:3], 0x8000000000000000
	v_lshrrev_b32_e32 v1, 24, v0
	s_mov_b32 s1, exec_lo
	scratch_store_b64 off, v[2:3], s32 offset:636 ; 8-byte Folded Spill
	s_wait_xcnt 0x0
	v_cmpx_ne_u32_e32 0x80, v1
	s_cbranch_execz .LBB216_2480
; %bb.2475:                             ;   in Loop: Header=BB216_2096 Depth=1
	v_mov_b64_e32 v[4:5], 0x7f80000100000000
	v_bfe_u32 v2, v0, 24, 7
	s_mov_b32 s2, exec_lo
	scratch_store_b64 off, v[4:5], s32 offset:636 ; 8-byte Folded Spill
	s_wait_xcnt 0x0
	v_cmpx_ne_u32_e32 0x7f, v2
	s_cbranch_execz .LBB216_2479
; %bb.2476:                             ;   in Loop: Header=BB216_2096 Depth=1
	scratch_load_b64 v[4:5], off, s32 offset:192 th:TH_LOAD_LU ; 8-byte Folded Reload
	s_wait_loadcnt 0x0
	v_dual_lshrrev_b32 v0, 3, v2 :: v_dual_bitop2_b32 v4, 7, v1 bitop3:0x40
	s_mov_b32 s3, exec_lo
	s_wait_xcnt 0x0
	v_cmpx_gt_u32_e32 8, v2
; %bb.2477:                             ;   in Loop: Header=BB216_2096 Depth=1
	s_delay_alu instid0(VALU_DEP_2) | instskip(NEXT) | instid1(VALU_DEP_1)
	v_clz_i32_u32_e32 v0, v4
	v_min_u32_e32 v0, 32, v0
	s_delay_alu instid0(VALU_DEP_1) | instskip(NEXT) | instid1(VALU_DEP_1)
	v_subrev_nc_u32_e32 v2, 28, v0
	v_lshlrev_b64_e32 v[2:3], v2, v[4:5]
	s_delay_alu instid0(VALU_DEP_1)
	v_dual_sub_nc_u32 v0, 29, v0 :: v_dual_bitop2_b32 v4, 7, v2 bitop3:0x40
; %bb.2478:                             ;   in Loop: Header=BB216_2096 Depth=1
	s_or_b32 exec_lo, exec_lo, s3
	s_delay_alu instid0(VALU_DEP_1) | instskip(NEXT) | instid1(VALU_DEP_2)
	v_dual_lshlrev_b32 v1, 24, v1 :: v_dual_lshlrev_b32 v2, 20, v4
	v_lshl_add_u32 v0, v0, 23, 0x3c000000
	s_delay_alu instid0(VALU_DEP_2) | instskip(NEXT) | instid1(VALU_DEP_1)
	v_and_b32_e32 v1, 0x80000000, v1
	v_or3_b32 v3, v2, v1, v0
	v_dual_mov_b32 v1, v5 :: v_dual_mov_b32 v2, v5
	s_clause 0x1
	scratch_store_b64 off, v[0:1], s32 offset:192
	scratch_store_b64 off, v[2:3], s32 offset:636
.LBB216_2479:                           ;   in Loop: Header=BB216_2096 Depth=1
	s_wait_xcnt 0x0
	s_or_b32 exec_lo, exec_lo, s2
.LBB216_2480:                           ;   in Loop: Header=BB216_2096 Depth=1
	s_delay_alu instid0(SALU_CYCLE_1)
	s_or_b32 exec_lo, exec_lo, s1
.LBB216_2481:                           ;   in Loop: Header=BB216_2096 Depth=1
	s_delay_alu instid0(SALU_CYCLE_1)
	s_or_b32 exec_lo, exec_lo, s0
	flat_load_b32 v0, v[24:25] offset:1536
	v_mov_b64_e32 v[2:3], 0
	s_mov_b32 s0, exec_lo
	scratch_store_b64 off, v[2:3], s32 offset:652 ; 8-byte Folded Spill
	s_wait_xcnt 0x0
	v_mov_b64_e32 v[2:3], 0
	scratch_store_b64 off, v[2:3], s32 offset:660 ; 8-byte Folded Spill
	s_wait_loadcnt_dscnt 0x0
	v_and_b32_e32 v1, 0xff, v0
	s_wait_xcnt 0x0
	s_delay_alu instid0(VALU_DEP_1)
	v_cmpx_ne_u16_e32 0, v1
	s_cbranch_execz .LBB216_2489
; %bb.2482:                             ;   in Loop: Header=BB216_2096 Depth=1
	v_mov_b64_e32 v[2:3], 0x80000000
	s_mov_b32 s1, exec_lo
	scratch_store_b64 off, v[2:3], s32 offset:660 ; 8-byte Folded Spill
	s_wait_xcnt 0x0
	v_cmpx_ne_u16_e32 0x80, v1
	s_cbranch_execz .LBB216_2488
; %bb.2483:                             ;   in Loop: Header=BB216_2096 Depth=1
	v_mov_b64_e32 v[4:5], 0x7f800001
	v_and_b32_e32 v2, 0x7f, v0
	s_mov_b32 s2, exec_lo
	scratch_store_b64 off, v[4:5], s32 offset:660 ; 8-byte Folded Spill
	s_wait_xcnt 0x0
	v_cmpx_ne_u32_e32 0x7f, v2
	s_cbranch_execz .LBB216_2487
; %bb.2484:                             ;   in Loop: Header=BB216_2096 Depth=1
	scratch_load_b64 v[4:5], off, s32 offset:192 th:TH_LOAD_LU ; 8-byte Folded Reload
	s_wait_loadcnt 0x0
	v_dual_lshrrev_b32 v1, 3, v2 :: v_dual_bitop2_b32 v4, 7, v0 bitop3:0x40
	s_mov_b32 s3, exec_lo
	s_wait_xcnt 0x0
	v_cmpx_gt_u32_e32 8, v2
; %bb.2485:                             ;   in Loop: Header=BB216_2096 Depth=1
	s_delay_alu instid0(VALU_DEP_2) | instskip(NEXT) | instid1(VALU_DEP_1)
	v_clz_i32_u32_e32 v1, v4
	v_min_u32_e32 v1, 32, v1
	s_delay_alu instid0(VALU_DEP_1) | instskip(NEXT) | instid1(VALU_DEP_1)
	v_subrev_nc_u32_e32 v2, 28, v1
	v_lshlrev_b64_e32 v[2:3], v2, v[4:5]
	s_delay_alu instid0(VALU_DEP_1)
	v_dual_sub_nc_u32 v1, 29, v1 :: v_dual_bitop2_b32 v4, 7, v2 bitop3:0x40
; %bb.2486:                             ;   in Loop: Header=BB216_2096 Depth=1
	s_or_b32 exec_lo, exec_lo, s3
	v_lshlrev_b32_e32 v2, 24, v0
	s_delay_alu instid0(VALU_DEP_2) | instskip(NEXT) | instid1(VALU_DEP_3)
	v_lshlrev_b32_e32 v3, 20, v4
	v_lshl_add_u32 v1, v1, 23, 0x3c000000
	s_delay_alu instid0(VALU_DEP_3) | instskip(NEXT) | instid1(VALU_DEP_1)
	v_and_b32_e32 v2, 0x80000000, v2
	v_or3_b32 v4, v3, v2, v1
	v_mov_b32_e32 v1, v5
	s_clause 0x1
	scratch_store_b64 off, v[0:1], s32 offset:192
	scratch_store_b64 off, v[4:5], s32 offset:660
.LBB216_2487:                           ;   in Loop: Header=BB216_2096 Depth=1
	s_wait_xcnt 0x0
	s_or_b32 exec_lo, exec_lo, s2
.LBB216_2488:                           ;   in Loop: Header=BB216_2096 Depth=1
	s_delay_alu instid0(SALU_CYCLE_1)
	s_or_b32 exec_lo, exec_lo, s1
.LBB216_2489:                           ;   in Loop: Header=BB216_2096 Depth=1
	s_delay_alu instid0(SALU_CYCLE_1) | instskip(SKIP_2) | instid1(VALU_DEP_1)
	s_or_b32 exec_lo, exec_lo, s0
	v_lshrrev_b16 v1, 8, v0
	s_mov_b32 s0, exec_lo
	v_cmpx_ne_u16_e32 0, v1
	s_cbranch_execz .LBB216_2497
; %bb.2490:                             ;   in Loop: Header=BB216_2096 Depth=1
	v_mov_b64_e32 v[2:3], 0x8000000000000000
	s_mov_b32 s1, exec_lo
	scratch_store_b64 off, v[2:3], s32 offset:652 ; 8-byte Folded Spill
	s_wait_xcnt 0x0
	v_cmpx_ne_u16_e32 0x80, v1
	s_cbranch_execz .LBB216_2496
; %bb.2491:                             ;   in Loop: Header=BB216_2096 Depth=1
	v_and_b32_e32 v1, 0xffff, v1
	v_mov_b64_e32 v[4:5], 0x7f80000100000000
	s_mov_b32 s2, exec_lo
	s_delay_alu instid0(VALU_DEP_2)
	v_and_b32_e32 v2, 0x7f, v1
	scratch_store_b64 off, v[4:5], s32 offset:652 ; 8-byte Folded Spill
	s_wait_xcnt 0x0
	v_cmpx_ne_u32_e32 0x7f, v2
	s_cbranch_execz .LBB216_2495
; %bb.2492:                             ;   in Loop: Header=BB216_2096 Depth=1
	scratch_load_b64 v[4:5], off, s32 offset:192 th:TH_LOAD_LU ; 8-byte Folded Reload
	s_wait_loadcnt 0x0
	v_dual_lshrrev_b32 v1, 3, v2 :: v_dual_bitop2_b32 v4, 7, v1 bitop3:0x40
	s_mov_b32 s3, exec_lo
	s_wait_xcnt 0x0
	v_cmpx_gt_u32_e32 8, v2
; %bb.2493:                             ;   in Loop: Header=BB216_2096 Depth=1
	s_delay_alu instid0(VALU_DEP_2) | instskip(NEXT) | instid1(VALU_DEP_1)
	v_clz_i32_u32_e32 v1, v4
	v_min_u32_e32 v1, 32, v1
	s_delay_alu instid0(VALU_DEP_1) | instskip(NEXT) | instid1(VALU_DEP_1)
	v_subrev_nc_u32_e32 v2, 28, v1
	v_lshlrev_b64_e32 v[2:3], v2, v[4:5]
	s_delay_alu instid0(VALU_DEP_1)
	v_dual_sub_nc_u32 v1, 29, v1 :: v_dual_bitop2_b32 v4, 7, v2 bitop3:0x40
; %bb.2494:                             ;   in Loop: Header=BB216_2096 Depth=1
	s_or_b32 exec_lo, exec_lo, s3
	v_lshlrev_b32_e32 v2, 16, v0
	s_delay_alu instid0(VALU_DEP_2) | instskip(NEXT) | instid1(VALU_DEP_3)
	v_lshlrev_b32_e32 v3, 20, v4
	v_lshl_add_u32 v1, v1, 23, 0x3c000000
	s_delay_alu instid0(VALU_DEP_3) | instskip(NEXT) | instid1(VALU_DEP_1)
	v_and_b32_e32 v2, 0x80000000, v2
	v_or3_b32 v3, v3, v2, v1
	v_dual_mov_b32 v1, v5 :: v_dual_mov_b32 v2, v5
	s_clause 0x1
	scratch_store_b64 off, v[0:1], s32 offset:192
	scratch_store_b64 off, v[2:3], s32 offset:652
.LBB216_2495:                           ;   in Loop: Header=BB216_2096 Depth=1
	s_wait_xcnt 0x0
	s_or_b32 exec_lo, exec_lo, s2
.LBB216_2496:                           ;   in Loop: Header=BB216_2096 Depth=1
	s_delay_alu instid0(SALU_CYCLE_1)
	s_or_b32 exec_lo, exec_lo, s1
.LBB216_2497:                           ;   in Loop: Header=BB216_2096 Depth=1
	s_delay_alu instid0(SALU_CYCLE_1) | instskip(SKIP_3) | instid1(VALU_DEP_1)
	s_or_b32 exec_lo, exec_lo, s0
	v_mov_b64_e32 v[4:5], 0
	v_lshrrev_b32_e32 v1, 16, v0
	s_mov_b32 s0, exec_lo
	v_and_b32_e32 v2, 0xff, v1
	scratch_store_b64 off, v[4:5], s32 offset:668 ; 8-byte Folded Spill
	s_wait_xcnt 0x0
	v_mov_b64_e32 v[4:5], 0
	scratch_store_b64 off, v[4:5], s32 offset:676 ; 8-byte Folded Spill
	s_wait_xcnt 0x0
	v_cmpx_ne_u16_e32 0, v2
	s_cbranch_execz .LBB216_2505
; %bb.2498:                             ;   in Loop: Header=BB216_2096 Depth=1
	v_cmp_ne_u16_e32 vcc_lo, 0x80, v2
	v_mov_b64_e32 v[2:3], 0x80000000
	scratch_store_b64 off, v[2:3], s32 offset:676 ; 8-byte Folded Spill
	s_wait_xcnt 0x0
	s_and_saveexec_b32 s1, vcc_lo
	s_cbranch_execz .LBB216_2504
; %bb.2499:                             ;   in Loop: Header=BB216_2096 Depth=1
	v_mov_b64_e32 v[4:5], 0x7f800001
	v_bfe_u32 v3, v0, 16, 7
	s_mov_b32 s2, exec_lo
	scratch_store_b64 off, v[4:5], s32 offset:676 ; 8-byte Folded Spill
	s_wait_xcnt 0x0
	v_cmpx_ne_u32_e32 0x7f, v3
	s_cbranch_execz .LBB216_2503
; %bb.2500:                             ;   in Loop: Header=BB216_2096 Depth=1
	scratch_load_b64 v[6:7], off, s32 offset:192 th:TH_LOAD_LU ; 8-byte Folded Reload
	s_wait_loadcnt 0x0
	v_dual_lshrrev_b32 v2, 3, v3 :: v_dual_bitop2_b32 v6, 7, v1 bitop3:0x40
	s_mov_b32 s3, exec_lo
	s_wait_xcnt 0x0
	v_cmpx_gt_u32_e32 8, v3
; %bb.2501:                             ;   in Loop: Header=BB216_2096 Depth=1
	s_delay_alu instid0(VALU_DEP_2) | instskip(NEXT) | instid1(VALU_DEP_1)
	v_clz_i32_u32_e32 v2, v6
	v_min_u32_e32 v2, 32, v2
	s_delay_alu instid0(VALU_DEP_1) | instskip(NEXT) | instid1(VALU_DEP_1)
	v_subrev_nc_u32_e32 v3, 28, v2
	v_lshlrev_b64_e32 v[4:5], v3, v[6:7]
	s_delay_alu instid0(VALU_DEP_1)
	v_dual_sub_nc_u32 v2, 29, v2 :: v_dual_bitop2_b32 v6, 7, v4 bitop3:0x40
; %bb.2502:                             ;   in Loop: Header=BB216_2096 Depth=1
	s_or_b32 exec_lo, exec_lo, s3
	s_delay_alu instid0(VALU_DEP_1) | instskip(NEXT) | instid1(VALU_DEP_2)
	v_dual_lshlrev_b32 v1, 24, v1 :: v_dual_lshlrev_b32 v3, 20, v6
	v_lshl_add_u32 v2, v2, 23, 0x3c000000
	s_delay_alu instid0(VALU_DEP_2) | instskip(NEXT) | instid1(VALU_DEP_1)
	v_and_b32_e32 v1, 0x80000000, v1
	v_or3_b32 v6, v3, v1, v2
	v_mov_b32_e32 v1, v7
	s_clause 0x1
	scratch_store_b64 off, v[0:1], s32 offset:192
	scratch_store_b64 off, v[6:7], s32 offset:676
.LBB216_2503:                           ;   in Loop: Header=BB216_2096 Depth=1
	s_wait_xcnt 0x0
	s_or_b32 exec_lo, exec_lo, s2
.LBB216_2504:                           ;   in Loop: Header=BB216_2096 Depth=1
	s_delay_alu instid0(SALU_CYCLE_1)
	s_or_b32 exec_lo, exec_lo, s1
.LBB216_2505:                           ;   in Loop: Header=BB216_2096 Depth=1
	s_delay_alu instid0(SALU_CYCLE_1) | instskip(NEXT) | instid1(SALU_CYCLE_1)
	s_or_b32 exec_lo, exec_lo, s0
	s_mov_b32 s0, exec_lo
	v_cmpx_lt_u32_e32 0xffffff, v0
	s_cbranch_execz .LBB216_2513
; %bb.2506:                             ;   in Loop: Header=BB216_2096 Depth=1
	v_mov_b64_e32 v[2:3], 0x8000000000000000
	v_lshrrev_b32_e32 v1, 24, v0
	s_mov_b32 s1, exec_lo
	scratch_store_b64 off, v[2:3], s32 offset:668 ; 8-byte Folded Spill
	s_wait_xcnt 0x0
	v_cmpx_ne_u32_e32 0x80, v1
	s_cbranch_execz .LBB216_2512
; %bb.2507:                             ;   in Loop: Header=BB216_2096 Depth=1
	v_mov_b64_e32 v[4:5], 0x7f80000100000000
	v_bfe_u32 v2, v0, 24, 7
	s_mov_b32 s2, exec_lo
	scratch_store_b64 off, v[4:5], s32 offset:668 ; 8-byte Folded Spill
	s_wait_xcnt 0x0
	v_cmpx_ne_u32_e32 0x7f, v2
	s_cbranch_execz .LBB216_2511
; %bb.2508:                             ;   in Loop: Header=BB216_2096 Depth=1
	scratch_load_b64 v[4:5], off, s32 offset:192 th:TH_LOAD_LU ; 8-byte Folded Reload
	s_wait_loadcnt 0x0
	v_dual_lshrrev_b32 v0, 3, v2 :: v_dual_bitop2_b32 v4, 7, v1 bitop3:0x40
	s_mov_b32 s3, exec_lo
	s_wait_xcnt 0x0
	v_cmpx_gt_u32_e32 8, v2
; %bb.2509:                             ;   in Loop: Header=BB216_2096 Depth=1
	s_delay_alu instid0(VALU_DEP_2) | instskip(NEXT) | instid1(VALU_DEP_1)
	v_clz_i32_u32_e32 v0, v4
	v_min_u32_e32 v0, 32, v0
	s_delay_alu instid0(VALU_DEP_1) | instskip(NEXT) | instid1(VALU_DEP_1)
	v_subrev_nc_u32_e32 v2, 28, v0
	v_lshlrev_b64_e32 v[2:3], v2, v[4:5]
	s_delay_alu instid0(VALU_DEP_1)
	v_dual_sub_nc_u32 v0, 29, v0 :: v_dual_bitop2_b32 v4, 7, v2 bitop3:0x40
; %bb.2510:                             ;   in Loop: Header=BB216_2096 Depth=1
	s_or_b32 exec_lo, exec_lo, s3
	s_delay_alu instid0(VALU_DEP_1) | instskip(NEXT) | instid1(VALU_DEP_2)
	v_dual_lshlrev_b32 v1, 24, v1 :: v_dual_lshlrev_b32 v2, 20, v4
	v_lshl_add_u32 v0, v0, 23, 0x3c000000
	s_delay_alu instid0(VALU_DEP_2) | instskip(NEXT) | instid1(VALU_DEP_1)
	v_and_b32_e32 v1, 0x80000000, v1
	v_or3_b32 v3, v2, v1, v0
	v_dual_mov_b32 v1, v5 :: v_dual_mov_b32 v2, v5
	s_clause 0x1
	scratch_store_b64 off, v[0:1], s32 offset:192
	scratch_store_b64 off, v[2:3], s32 offset:668
.LBB216_2511:                           ;   in Loop: Header=BB216_2096 Depth=1
	s_wait_xcnt 0x0
	s_or_b32 exec_lo, exec_lo, s2
.LBB216_2512:                           ;   in Loop: Header=BB216_2096 Depth=1
	s_delay_alu instid0(SALU_CYCLE_1)
	s_or_b32 exec_lo, exec_lo, s1
.LBB216_2513:                           ;   in Loop: Header=BB216_2096 Depth=1
	s_delay_alu instid0(SALU_CYCLE_1)
	s_or_b32 exec_lo, exec_lo, s0
	flat_load_b32 v0, v[24:25] offset:1664
	v_mov_b64_e32 v[2:3], 0
	s_mov_b32 s0, exec_lo
	scratch_store_b64 off, v[2:3], s32 offset:684 ; 8-byte Folded Spill
	s_wait_xcnt 0x0
	v_mov_b64_e32 v[2:3], 0
	scratch_store_b64 off, v[2:3], s32 offset:692 ; 8-byte Folded Spill
	s_wait_loadcnt_dscnt 0x0
	v_and_b32_e32 v1, 0xff, v0
	s_wait_xcnt 0x0
	s_delay_alu instid0(VALU_DEP_1)
	v_cmpx_ne_u16_e32 0, v1
	s_cbranch_execz .LBB216_2521
; %bb.2514:                             ;   in Loop: Header=BB216_2096 Depth=1
	v_mov_b64_e32 v[2:3], 0x80000000
	s_mov_b32 s1, exec_lo
	scratch_store_b64 off, v[2:3], s32 offset:692 ; 8-byte Folded Spill
	s_wait_xcnt 0x0
	v_cmpx_ne_u16_e32 0x80, v1
	s_cbranch_execz .LBB216_2520
; %bb.2515:                             ;   in Loop: Header=BB216_2096 Depth=1
	v_mov_b64_e32 v[4:5], 0x7f800001
	v_and_b32_e32 v2, 0x7f, v0
	s_mov_b32 s2, exec_lo
	scratch_store_b64 off, v[4:5], s32 offset:692 ; 8-byte Folded Spill
	s_wait_xcnt 0x0
	v_cmpx_ne_u32_e32 0x7f, v2
	s_cbranch_execz .LBB216_2519
; %bb.2516:                             ;   in Loop: Header=BB216_2096 Depth=1
	scratch_load_b64 v[4:5], off, s32 offset:192 th:TH_LOAD_LU ; 8-byte Folded Reload
	s_wait_loadcnt 0x0
	v_dual_lshrrev_b32 v1, 3, v2 :: v_dual_bitop2_b32 v4, 7, v0 bitop3:0x40
	s_mov_b32 s3, exec_lo
	s_wait_xcnt 0x0
	v_cmpx_gt_u32_e32 8, v2
; %bb.2517:                             ;   in Loop: Header=BB216_2096 Depth=1
	s_delay_alu instid0(VALU_DEP_2) | instskip(NEXT) | instid1(VALU_DEP_1)
	v_clz_i32_u32_e32 v1, v4
	v_min_u32_e32 v1, 32, v1
	s_delay_alu instid0(VALU_DEP_1) | instskip(NEXT) | instid1(VALU_DEP_1)
	v_subrev_nc_u32_e32 v2, 28, v1
	v_lshlrev_b64_e32 v[2:3], v2, v[4:5]
	s_delay_alu instid0(VALU_DEP_1)
	v_dual_sub_nc_u32 v1, 29, v1 :: v_dual_bitop2_b32 v4, 7, v2 bitop3:0x40
; %bb.2518:                             ;   in Loop: Header=BB216_2096 Depth=1
	s_or_b32 exec_lo, exec_lo, s3
	v_lshlrev_b32_e32 v2, 24, v0
	s_delay_alu instid0(VALU_DEP_2) | instskip(NEXT) | instid1(VALU_DEP_3)
	v_lshlrev_b32_e32 v3, 20, v4
	v_lshl_add_u32 v1, v1, 23, 0x3c000000
	s_delay_alu instid0(VALU_DEP_3) | instskip(NEXT) | instid1(VALU_DEP_1)
	v_and_b32_e32 v2, 0x80000000, v2
	v_or3_b32 v4, v3, v2, v1
	v_mov_b32_e32 v1, v5
	s_clause 0x1
	scratch_store_b64 off, v[0:1], s32 offset:192
	scratch_store_b64 off, v[4:5], s32 offset:692
.LBB216_2519:                           ;   in Loop: Header=BB216_2096 Depth=1
	s_wait_xcnt 0x0
	s_or_b32 exec_lo, exec_lo, s2
.LBB216_2520:                           ;   in Loop: Header=BB216_2096 Depth=1
	s_delay_alu instid0(SALU_CYCLE_1)
	s_or_b32 exec_lo, exec_lo, s1
.LBB216_2521:                           ;   in Loop: Header=BB216_2096 Depth=1
	s_delay_alu instid0(SALU_CYCLE_1) | instskip(SKIP_2) | instid1(VALU_DEP_1)
	s_or_b32 exec_lo, exec_lo, s0
	v_lshrrev_b16 v1, 8, v0
	s_mov_b32 s0, exec_lo
	v_cmpx_ne_u16_e32 0, v1
	s_cbranch_execz .LBB216_2529
; %bb.2522:                             ;   in Loop: Header=BB216_2096 Depth=1
	v_mov_b64_e32 v[2:3], 0x8000000000000000
	s_mov_b32 s1, exec_lo
	scratch_store_b64 off, v[2:3], s32 offset:684 ; 8-byte Folded Spill
	s_wait_xcnt 0x0
	v_cmpx_ne_u16_e32 0x80, v1
	s_cbranch_execz .LBB216_2528
; %bb.2523:                             ;   in Loop: Header=BB216_2096 Depth=1
	v_and_b32_e32 v1, 0xffff, v1
	v_mov_b64_e32 v[4:5], 0x7f80000100000000
	s_mov_b32 s2, exec_lo
	s_delay_alu instid0(VALU_DEP_2)
	v_and_b32_e32 v2, 0x7f, v1
	scratch_store_b64 off, v[4:5], s32 offset:684 ; 8-byte Folded Spill
	s_wait_xcnt 0x0
	v_cmpx_ne_u32_e32 0x7f, v2
	s_cbranch_execz .LBB216_2527
; %bb.2524:                             ;   in Loop: Header=BB216_2096 Depth=1
	scratch_load_b64 v[4:5], off, s32 offset:192 th:TH_LOAD_LU ; 8-byte Folded Reload
	s_wait_loadcnt 0x0
	v_dual_lshrrev_b32 v1, 3, v2 :: v_dual_bitop2_b32 v4, 7, v1 bitop3:0x40
	s_mov_b32 s3, exec_lo
	s_wait_xcnt 0x0
	v_cmpx_gt_u32_e32 8, v2
; %bb.2525:                             ;   in Loop: Header=BB216_2096 Depth=1
	s_delay_alu instid0(VALU_DEP_2) | instskip(NEXT) | instid1(VALU_DEP_1)
	v_clz_i32_u32_e32 v1, v4
	v_min_u32_e32 v1, 32, v1
	s_delay_alu instid0(VALU_DEP_1) | instskip(NEXT) | instid1(VALU_DEP_1)
	v_subrev_nc_u32_e32 v2, 28, v1
	v_lshlrev_b64_e32 v[2:3], v2, v[4:5]
	s_delay_alu instid0(VALU_DEP_1)
	v_dual_sub_nc_u32 v1, 29, v1 :: v_dual_bitop2_b32 v4, 7, v2 bitop3:0x40
; %bb.2526:                             ;   in Loop: Header=BB216_2096 Depth=1
	s_or_b32 exec_lo, exec_lo, s3
	v_lshlrev_b32_e32 v2, 16, v0
	s_delay_alu instid0(VALU_DEP_2) | instskip(NEXT) | instid1(VALU_DEP_3)
	v_lshlrev_b32_e32 v3, 20, v4
	v_lshl_add_u32 v1, v1, 23, 0x3c000000
	s_delay_alu instid0(VALU_DEP_3) | instskip(NEXT) | instid1(VALU_DEP_1)
	v_and_b32_e32 v2, 0x80000000, v2
	v_or3_b32 v3, v3, v2, v1
	v_dual_mov_b32 v1, v5 :: v_dual_mov_b32 v2, v5
	s_clause 0x1
	scratch_store_b64 off, v[0:1], s32 offset:192
	scratch_store_b64 off, v[2:3], s32 offset:684
.LBB216_2527:                           ;   in Loop: Header=BB216_2096 Depth=1
	s_wait_xcnt 0x0
	s_or_b32 exec_lo, exec_lo, s2
.LBB216_2528:                           ;   in Loop: Header=BB216_2096 Depth=1
	s_delay_alu instid0(SALU_CYCLE_1)
	s_or_b32 exec_lo, exec_lo, s1
.LBB216_2529:                           ;   in Loop: Header=BB216_2096 Depth=1
	s_delay_alu instid0(SALU_CYCLE_1) | instskip(SKIP_3) | instid1(VALU_DEP_1)
	s_or_b32 exec_lo, exec_lo, s0
	v_mov_b64_e32 v[4:5], 0
	v_lshrrev_b32_e32 v1, 16, v0
	s_mov_b32 s0, exec_lo
	v_and_b32_e32 v2, 0xff, v1
	scratch_store_b64 off, v[4:5], s32 offset:700 ; 8-byte Folded Spill
	s_wait_xcnt 0x0
	v_mov_b64_e32 v[4:5], 0
	scratch_store_b64 off, v[4:5], s32 offset:708 ; 8-byte Folded Spill
	s_wait_xcnt 0x0
	v_cmpx_ne_u16_e32 0, v2
	s_cbranch_execz .LBB216_2537
; %bb.2530:                             ;   in Loop: Header=BB216_2096 Depth=1
	v_cmp_ne_u16_e32 vcc_lo, 0x80, v2
	v_mov_b64_e32 v[2:3], 0x80000000
	scratch_store_b64 off, v[2:3], s32 offset:708 ; 8-byte Folded Spill
	s_wait_xcnt 0x0
	s_and_saveexec_b32 s1, vcc_lo
	s_cbranch_execz .LBB216_2536
; %bb.2531:                             ;   in Loop: Header=BB216_2096 Depth=1
	v_mov_b64_e32 v[4:5], 0x7f800001
	v_bfe_u32 v3, v0, 16, 7
	s_mov_b32 s2, exec_lo
	scratch_store_b64 off, v[4:5], s32 offset:708 ; 8-byte Folded Spill
	s_wait_xcnt 0x0
	v_cmpx_ne_u32_e32 0x7f, v3
	s_cbranch_execz .LBB216_2535
; %bb.2532:                             ;   in Loop: Header=BB216_2096 Depth=1
	scratch_load_b64 v[6:7], off, s32 offset:192 th:TH_LOAD_LU ; 8-byte Folded Reload
	s_wait_loadcnt 0x0
	v_dual_lshrrev_b32 v2, 3, v3 :: v_dual_bitop2_b32 v6, 7, v1 bitop3:0x40
	s_mov_b32 s3, exec_lo
	s_wait_xcnt 0x0
	v_cmpx_gt_u32_e32 8, v3
; %bb.2533:                             ;   in Loop: Header=BB216_2096 Depth=1
	s_delay_alu instid0(VALU_DEP_2) | instskip(NEXT) | instid1(VALU_DEP_1)
	v_clz_i32_u32_e32 v2, v6
	v_min_u32_e32 v2, 32, v2
	s_delay_alu instid0(VALU_DEP_1) | instskip(NEXT) | instid1(VALU_DEP_1)
	v_subrev_nc_u32_e32 v3, 28, v2
	v_lshlrev_b64_e32 v[4:5], v3, v[6:7]
	s_delay_alu instid0(VALU_DEP_1)
	v_dual_sub_nc_u32 v2, 29, v2 :: v_dual_bitop2_b32 v6, 7, v4 bitop3:0x40
; %bb.2534:                             ;   in Loop: Header=BB216_2096 Depth=1
	s_or_b32 exec_lo, exec_lo, s3
	s_delay_alu instid0(VALU_DEP_1) | instskip(NEXT) | instid1(VALU_DEP_2)
	v_dual_lshlrev_b32 v1, 24, v1 :: v_dual_lshlrev_b32 v3, 20, v6
	v_lshl_add_u32 v2, v2, 23, 0x3c000000
	s_delay_alu instid0(VALU_DEP_2) | instskip(NEXT) | instid1(VALU_DEP_1)
	v_and_b32_e32 v1, 0x80000000, v1
	v_or3_b32 v6, v3, v1, v2
	v_mov_b32_e32 v1, v7
	s_clause 0x1
	scratch_store_b64 off, v[0:1], s32 offset:192
	scratch_store_b64 off, v[6:7], s32 offset:708
.LBB216_2535:                           ;   in Loop: Header=BB216_2096 Depth=1
	s_wait_xcnt 0x0
	s_or_b32 exec_lo, exec_lo, s2
.LBB216_2536:                           ;   in Loop: Header=BB216_2096 Depth=1
	s_delay_alu instid0(SALU_CYCLE_1)
	s_or_b32 exec_lo, exec_lo, s1
.LBB216_2537:                           ;   in Loop: Header=BB216_2096 Depth=1
	s_delay_alu instid0(SALU_CYCLE_1) | instskip(NEXT) | instid1(SALU_CYCLE_1)
	s_or_b32 exec_lo, exec_lo, s0
	s_mov_b32 s0, exec_lo
	v_cmpx_lt_u32_e32 0xffffff, v0
	s_cbranch_execz .LBB216_2545
; %bb.2538:                             ;   in Loop: Header=BB216_2096 Depth=1
	v_mov_b64_e32 v[2:3], 0x8000000000000000
	v_lshrrev_b32_e32 v1, 24, v0
	s_mov_b32 s1, exec_lo
	scratch_store_b64 off, v[2:3], s32 offset:700 ; 8-byte Folded Spill
	s_wait_xcnt 0x0
	v_cmpx_ne_u32_e32 0x80, v1
	s_cbranch_execz .LBB216_2544
; %bb.2539:                             ;   in Loop: Header=BB216_2096 Depth=1
	v_mov_b64_e32 v[4:5], 0x7f80000100000000
	v_bfe_u32 v2, v0, 24, 7
	s_mov_b32 s2, exec_lo
	scratch_store_b64 off, v[4:5], s32 offset:700 ; 8-byte Folded Spill
	s_wait_xcnt 0x0
	v_cmpx_ne_u32_e32 0x7f, v2
	s_cbranch_execz .LBB216_2543
; %bb.2540:                             ;   in Loop: Header=BB216_2096 Depth=1
	scratch_load_b64 v[4:5], off, s32 offset:192 th:TH_LOAD_LU ; 8-byte Folded Reload
	s_wait_loadcnt 0x0
	v_dual_lshrrev_b32 v0, 3, v2 :: v_dual_bitop2_b32 v4, 7, v1 bitop3:0x40
	s_mov_b32 s3, exec_lo
	s_wait_xcnt 0x0
	v_cmpx_gt_u32_e32 8, v2
; %bb.2541:                             ;   in Loop: Header=BB216_2096 Depth=1
	s_delay_alu instid0(VALU_DEP_2) | instskip(NEXT) | instid1(VALU_DEP_1)
	v_clz_i32_u32_e32 v0, v4
	v_min_u32_e32 v0, 32, v0
	s_delay_alu instid0(VALU_DEP_1) | instskip(NEXT) | instid1(VALU_DEP_1)
	v_subrev_nc_u32_e32 v2, 28, v0
	v_lshlrev_b64_e32 v[2:3], v2, v[4:5]
	s_delay_alu instid0(VALU_DEP_1)
	v_dual_sub_nc_u32 v0, 29, v0 :: v_dual_bitop2_b32 v4, 7, v2 bitop3:0x40
; %bb.2542:                             ;   in Loop: Header=BB216_2096 Depth=1
	s_or_b32 exec_lo, exec_lo, s3
	s_delay_alu instid0(VALU_DEP_1) | instskip(NEXT) | instid1(VALU_DEP_2)
	v_dual_lshlrev_b32 v1, 24, v1 :: v_dual_lshlrev_b32 v2, 20, v4
	v_lshl_add_u32 v0, v0, 23, 0x3c000000
	s_delay_alu instid0(VALU_DEP_2) | instskip(NEXT) | instid1(VALU_DEP_1)
	v_and_b32_e32 v1, 0x80000000, v1
	v_or3_b32 v3, v2, v1, v0
	v_dual_mov_b32 v1, v5 :: v_dual_mov_b32 v2, v5
	s_clause 0x1
	scratch_store_b64 off, v[0:1], s32 offset:192
	scratch_store_b64 off, v[2:3], s32 offset:700
.LBB216_2543:                           ;   in Loop: Header=BB216_2096 Depth=1
	s_wait_xcnt 0x0
	s_or_b32 exec_lo, exec_lo, s2
.LBB216_2544:                           ;   in Loop: Header=BB216_2096 Depth=1
	s_delay_alu instid0(SALU_CYCLE_1)
	s_or_b32 exec_lo, exec_lo, s1
.LBB216_2545:                           ;   in Loop: Header=BB216_2096 Depth=1
	s_delay_alu instid0(SALU_CYCLE_1)
	s_or_b32 exec_lo, exec_lo, s0
	flat_load_b32 v0, v[24:25] offset:1792
	v_mov_b64_e32 v[2:3], 0
	s_mov_b32 s0, exec_lo
	scratch_store_b64 off, v[2:3], s32 offset:716 ; 8-byte Folded Spill
	s_wait_xcnt 0x0
	v_mov_b64_e32 v[2:3], 0
	scratch_store_b64 off, v[2:3], s32 offset:724 ; 8-byte Folded Spill
	s_wait_loadcnt_dscnt 0x0
	v_and_b32_e32 v1, 0xff, v0
	s_wait_xcnt 0x0
	s_delay_alu instid0(VALU_DEP_1)
	v_cmpx_ne_u16_e32 0, v1
	s_cbranch_execz .LBB216_2553
; %bb.2546:                             ;   in Loop: Header=BB216_2096 Depth=1
	v_mov_b64_e32 v[2:3], 0x80000000
	s_mov_b32 s1, exec_lo
	scratch_store_b64 off, v[2:3], s32 offset:724 ; 8-byte Folded Spill
	s_wait_xcnt 0x0
	v_cmpx_ne_u16_e32 0x80, v1
	s_cbranch_execz .LBB216_2552
; %bb.2547:                             ;   in Loop: Header=BB216_2096 Depth=1
	v_mov_b64_e32 v[4:5], 0x7f800001
	v_and_b32_e32 v2, 0x7f, v0
	s_mov_b32 s2, exec_lo
	scratch_store_b64 off, v[4:5], s32 offset:724 ; 8-byte Folded Spill
	s_wait_xcnt 0x0
	v_cmpx_ne_u32_e32 0x7f, v2
	s_cbranch_execz .LBB216_2551
; %bb.2548:                             ;   in Loop: Header=BB216_2096 Depth=1
	scratch_load_b64 v[4:5], off, s32 offset:192 th:TH_LOAD_LU ; 8-byte Folded Reload
	s_wait_loadcnt 0x0
	v_dual_lshrrev_b32 v1, 3, v2 :: v_dual_bitop2_b32 v4, 7, v0 bitop3:0x40
	s_mov_b32 s3, exec_lo
	s_wait_xcnt 0x0
	v_cmpx_gt_u32_e32 8, v2
; %bb.2549:                             ;   in Loop: Header=BB216_2096 Depth=1
	s_delay_alu instid0(VALU_DEP_2) | instskip(NEXT) | instid1(VALU_DEP_1)
	v_clz_i32_u32_e32 v1, v4
	v_min_u32_e32 v1, 32, v1
	s_delay_alu instid0(VALU_DEP_1) | instskip(NEXT) | instid1(VALU_DEP_1)
	v_subrev_nc_u32_e32 v2, 28, v1
	v_lshlrev_b64_e32 v[2:3], v2, v[4:5]
	s_delay_alu instid0(VALU_DEP_1)
	v_dual_sub_nc_u32 v1, 29, v1 :: v_dual_bitop2_b32 v4, 7, v2 bitop3:0x40
; %bb.2550:                             ;   in Loop: Header=BB216_2096 Depth=1
	s_or_b32 exec_lo, exec_lo, s3
	v_lshlrev_b32_e32 v2, 24, v0
	s_delay_alu instid0(VALU_DEP_2) | instskip(NEXT) | instid1(VALU_DEP_3)
	v_lshlrev_b32_e32 v3, 20, v4
	v_lshl_add_u32 v1, v1, 23, 0x3c000000
	s_delay_alu instid0(VALU_DEP_3) | instskip(NEXT) | instid1(VALU_DEP_1)
	v_and_b32_e32 v2, 0x80000000, v2
	v_or3_b32 v4, v3, v2, v1
	v_mov_b32_e32 v1, v5
	s_clause 0x1
	scratch_store_b64 off, v[0:1], s32 offset:192
	scratch_store_b64 off, v[4:5], s32 offset:724
.LBB216_2551:                           ;   in Loop: Header=BB216_2096 Depth=1
	s_wait_xcnt 0x0
	s_or_b32 exec_lo, exec_lo, s2
.LBB216_2552:                           ;   in Loop: Header=BB216_2096 Depth=1
	s_delay_alu instid0(SALU_CYCLE_1)
	s_or_b32 exec_lo, exec_lo, s1
.LBB216_2553:                           ;   in Loop: Header=BB216_2096 Depth=1
	s_delay_alu instid0(SALU_CYCLE_1) | instskip(SKIP_2) | instid1(VALU_DEP_1)
	s_or_b32 exec_lo, exec_lo, s0
	v_lshrrev_b16 v1, 8, v0
	s_mov_b32 s0, exec_lo
	v_cmpx_ne_u16_e32 0, v1
	s_cbranch_execz .LBB216_2561
; %bb.2554:                             ;   in Loop: Header=BB216_2096 Depth=1
	v_mov_b64_e32 v[2:3], 0x8000000000000000
	s_mov_b32 s1, exec_lo
	scratch_store_b64 off, v[2:3], s32 offset:716 ; 8-byte Folded Spill
	s_wait_xcnt 0x0
	v_cmpx_ne_u16_e32 0x80, v1
	s_cbranch_execz .LBB216_2560
; %bb.2555:                             ;   in Loop: Header=BB216_2096 Depth=1
	v_and_b32_e32 v1, 0xffff, v1
	v_mov_b64_e32 v[4:5], 0x7f80000100000000
	s_mov_b32 s2, exec_lo
	s_delay_alu instid0(VALU_DEP_2)
	v_and_b32_e32 v2, 0x7f, v1
	scratch_store_b64 off, v[4:5], s32 offset:716 ; 8-byte Folded Spill
	s_wait_xcnt 0x0
	v_cmpx_ne_u32_e32 0x7f, v2
	s_cbranch_execz .LBB216_2559
; %bb.2556:                             ;   in Loop: Header=BB216_2096 Depth=1
	scratch_load_b64 v[4:5], off, s32 offset:192 th:TH_LOAD_LU ; 8-byte Folded Reload
	s_wait_loadcnt 0x0
	v_dual_lshrrev_b32 v1, 3, v2 :: v_dual_bitop2_b32 v4, 7, v1 bitop3:0x40
	s_mov_b32 s3, exec_lo
	s_wait_xcnt 0x0
	v_cmpx_gt_u32_e32 8, v2
; %bb.2557:                             ;   in Loop: Header=BB216_2096 Depth=1
	s_delay_alu instid0(VALU_DEP_2) | instskip(NEXT) | instid1(VALU_DEP_1)
	v_clz_i32_u32_e32 v1, v4
	v_min_u32_e32 v1, 32, v1
	s_delay_alu instid0(VALU_DEP_1) | instskip(NEXT) | instid1(VALU_DEP_1)
	v_subrev_nc_u32_e32 v2, 28, v1
	v_lshlrev_b64_e32 v[2:3], v2, v[4:5]
	s_delay_alu instid0(VALU_DEP_1)
	v_dual_sub_nc_u32 v1, 29, v1 :: v_dual_bitop2_b32 v4, 7, v2 bitop3:0x40
; %bb.2558:                             ;   in Loop: Header=BB216_2096 Depth=1
	s_or_b32 exec_lo, exec_lo, s3
	v_lshlrev_b32_e32 v2, 16, v0
	s_delay_alu instid0(VALU_DEP_2) | instskip(NEXT) | instid1(VALU_DEP_3)
	v_lshlrev_b32_e32 v3, 20, v4
	v_lshl_add_u32 v1, v1, 23, 0x3c000000
	s_delay_alu instid0(VALU_DEP_3) | instskip(NEXT) | instid1(VALU_DEP_1)
	v_and_b32_e32 v2, 0x80000000, v2
	v_or3_b32 v3, v3, v2, v1
	v_dual_mov_b32 v1, v5 :: v_dual_mov_b32 v2, v5
	s_clause 0x1
	scratch_store_b64 off, v[0:1], s32 offset:192
	scratch_store_b64 off, v[2:3], s32 offset:716
.LBB216_2559:                           ;   in Loop: Header=BB216_2096 Depth=1
	s_wait_xcnt 0x0
	s_or_b32 exec_lo, exec_lo, s2
.LBB216_2560:                           ;   in Loop: Header=BB216_2096 Depth=1
	s_delay_alu instid0(SALU_CYCLE_1)
	s_or_b32 exec_lo, exec_lo, s1
.LBB216_2561:                           ;   in Loop: Header=BB216_2096 Depth=1
	s_delay_alu instid0(SALU_CYCLE_1) | instskip(SKIP_3) | instid1(VALU_DEP_1)
	s_or_b32 exec_lo, exec_lo, s0
	v_mov_b64_e32 v[4:5], 0
	v_lshrrev_b32_e32 v1, 16, v0
	s_mov_b32 s0, exec_lo
	v_and_b32_e32 v2, 0xff, v1
	scratch_store_b64 off, v[4:5], s32 offset:732 ; 8-byte Folded Spill
	s_wait_xcnt 0x0
	v_mov_b64_e32 v[4:5], 0
	scratch_store_b64 off, v[4:5], s32 offset:740 ; 8-byte Folded Spill
	s_wait_xcnt 0x0
	v_cmpx_ne_u16_e32 0, v2
	s_cbranch_execz .LBB216_2569
; %bb.2562:                             ;   in Loop: Header=BB216_2096 Depth=1
	v_cmp_ne_u16_e32 vcc_lo, 0x80, v2
	v_mov_b64_e32 v[2:3], 0x80000000
	scratch_store_b64 off, v[2:3], s32 offset:740 ; 8-byte Folded Spill
	s_wait_xcnt 0x0
	s_and_saveexec_b32 s1, vcc_lo
	s_cbranch_execz .LBB216_2568
; %bb.2563:                             ;   in Loop: Header=BB216_2096 Depth=1
	v_mov_b64_e32 v[4:5], 0x7f800001
	v_bfe_u32 v3, v0, 16, 7
	s_mov_b32 s2, exec_lo
	scratch_store_b64 off, v[4:5], s32 offset:740 ; 8-byte Folded Spill
	s_wait_xcnt 0x0
	v_cmpx_ne_u32_e32 0x7f, v3
	s_cbranch_execz .LBB216_2567
; %bb.2564:                             ;   in Loop: Header=BB216_2096 Depth=1
	scratch_load_b64 v[6:7], off, s32 offset:192 th:TH_LOAD_LU ; 8-byte Folded Reload
	s_wait_loadcnt 0x0
	v_dual_lshrrev_b32 v2, 3, v3 :: v_dual_bitop2_b32 v6, 7, v1 bitop3:0x40
	s_mov_b32 s3, exec_lo
	s_wait_xcnt 0x0
	v_cmpx_gt_u32_e32 8, v3
; %bb.2565:                             ;   in Loop: Header=BB216_2096 Depth=1
	s_delay_alu instid0(VALU_DEP_2) | instskip(NEXT) | instid1(VALU_DEP_1)
	v_clz_i32_u32_e32 v2, v6
	v_min_u32_e32 v2, 32, v2
	s_delay_alu instid0(VALU_DEP_1) | instskip(NEXT) | instid1(VALU_DEP_1)
	v_subrev_nc_u32_e32 v3, 28, v2
	v_lshlrev_b64_e32 v[4:5], v3, v[6:7]
	s_delay_alu instid0(VALU_DEP_1)
	v_dual_sub_nc_u32 v2, 29, v2 :: v_dual_bitop2_b32 v6, 7, v4 bitop3:0x40
; %bb.2566:                             ;   in Loop: Header=BB216_2096 Depth=1
	s_or_b32 exec_lo, exec_lo, s3
	s_delay_alu instid0(VALU_DEP_1) | instskip(NEXT) | instid1(VALU_DEP_2)
	v_dual_lshlrev_b32 v1, 24, v1 :: v_dual_lshlrev_b32 v3, 20, v6
	v_lshl_add_u32 v2, v2, 23, 0x3c000000
	s_delay_alu instid0(VALU_DEP_2) | instskip(NEXT) | instid1(VALU_DEP_1)
	v_and_b32_e32 v1, 0x80000000, v1
	v_or3_b32 v6, v3, v1, v2
	v_mov_b32_e32 v1, v7
	s_clause 0x1
	scratch_store_b64 off, v[0:1], s32 offset:192
	scratch_store_b64 off, v[6:7], s32 offset:740
.LBB216_2567:                           ;   in Loop: Header=BB216_2096 Depth=1
	s_wait_xcnt 0x0
	s_or_b32 exec_lo, exec_lo, s2
.LBB216_2568:                           ;   in Loop: Header=BB216_2096 Depth=1
	s_delay_alu instid0(SALU_CYCLE_1)
	s_or_b32 exec_lo, exec_lo, s1
.LBB216_2569:                           ;   in Loop: Header=BB216_2096 Depth=1
	s_delay_alu instid0(SALU_CYCLE_1) | instskip(NEXT) | instid1(SALU_CYCLE_1)
	s_or_b32 exec_lo, exec_lo, s0
	s_mov_b32 s0, exec_lo
	v_cmpx_lt_u32_e32 0xffffff, v0
	s_cbranch_execz .LBB216_2577
; %bb.2570:                             ;   in Loop: Header=BB216_2096 Depth=1
	v_mov_b64_e32 v[2:3], 0x8000000000000000
	v_lshrrev_b32_e32 v1, 24, v0
	s_mov_b32 s1, exec_lo
	scratch_store_b64 off, v[2:3], s32 offset:732 ; 8-byte Folded Spill
	s_wait_xcnt 0x0
	v_cmpx_ne_u32_e32 0x80, v1
	s_cbranch_execz .LBB216_2576
; %bb.2571:                             ;   in Loop: Header=BB216_2096 Depth=1
	v_mov_b64_e32 v[4:5], 0x7f80000100000000
	v_bfe_u32 v2, v0, 24, 7
	s_mov_b32 s2, exec_lo
	scratch_store_b64 off, v[4:5], s32 offset:732 ; 8-byte Folded Spill
	s_wait_xcnt 0x0
	v_cmpx_ne_u32_e32 0x7f, v2
	s_cbranch_execz .LBB216_2575
; %bb.2572:                             ;   in Loop: Header=BB216_2096 Depth=1
	scratch_load_b64 v[4:5], off, s32 offset:192 th:TH_LOAD_LU ; 8-byte Folded Reload
	s_wait_loadcnt 0x0
	v_dual_lshrrev_b32 v0, 3, v2 :: v_dual_bitop2_b32 v4, 7, v1 bitop3:0x40
	s_mov_b32 s3, exec_lo
	s_wait_xcnt 0x0
	v_cmpx_gt_u32_e32 8, v2
; %bb.2573:                             ;   in Loop: Header=BB216_2096 Depth=1
	s_delay_alu instid0(VALU_DEP_2) | instskip(NEXT) | instid1(VALU_DEP_1)
	v_clz_i32_u32_e32 v0, v4
	v_min_u32_e32 v0, 32, v0
	s_delay_alu instid0(VALU_DEP_1) | instskip(NEXT) | instid1(VALU_DEP_1)
	v_subrev_nc_u32_e32 v2, 28, v0
	v_lshlrev_b64_e32 v[2:3], v2, v[4:5]
	s_delay_alu instid0(VALU_DEP_1)
	v_dual_sub_nc_u32 v0, 29, v0 :: v_dual_bitop2_b32 v4, 7, v2 bitop3:0x40
; %bb.2574:                             ;   in Loop: Header=BB216_2096 Depth=1
	s_or_b32 exec_lo, exec_lo, s3
	s_delay_alu instid0(VALU_DEP_1) | instskip(NEXT) | instid1(VALU_DEP_2)
	v_dual_lshlrev_b32 v1, 24, v1 :: v_dual_lshlrev_b32 v2, 20, v4
	v_lshl_add_u32 v0, v0, 23, 0x3c000000
	s_delay_alu instid0(VALU_DEP_2) | instskip(NEXT) | instid1(VALU_DEP_1)
	v_and_b32_e32 v1, 0x80000000, v1
	v_or3_b32 v3, v2, v1, v0
	v_dual_mov_b32 v1, v5 :: v_dual_mov_b32 v2, v5
	s_clause 0x1
	scratch_store_b64 off, v[0:1], s32 offset:192
	scratch_store_b64 off, v[2:3], s32 offset:732
.LBB216_2575:                           ;   in Loop: Header=BB216_2096 Depth=1
	s_wait_xcnt 0x0
	s_or_b32 exec_lo, exec_lo, s2
.LBB216_2576:                           ;   in Loop: Header=BB216_2096 Depth=1
	s_delay_alu instid0(SALU_CYCLE_1)
	s_or_b32 exec_lo, exec_lo, s1
.LBB216_2577:                           ;   in Loop: Header=BB216_2096 Depth=1
	s_delay_alu instid0(SALU_CYCLE_1)
	s_or_b32 exec_lo, exec_lo, s0
	flat_load_b32 v0, v[24:25] offset:1920
	v_mov_b64_e32 v[2:3], 0
	s_mov_b32 s0, exec_lo
	scratch_store_b64 off, v[2:3], s32 offset:748 ; 8-byte Folded Spill
	s_wait_xcnt 0x0
	v_mov_b64_e32 v[2:3], 0
	scratch_store_b64 off, v[2:3], s32 offset:756 ; 8-byte Folded Spill
	s_wait_loadcnt_dscnt 0x0
	v_and_b32_e32 v1, 0xff, v0
	s_wait_xcnt 0x0
	s_delay_alu instid0(VALU_DEP_1)
	v_cmpx_ne_u16_e32 0, v1
	s_cbranch_execz .LBB216_2585
; %bb.2578:                             ;   in Loop: Header=BB216_2096 Depth=1
	v_mov_b64_e32 v[2:3], 0x80000000
	s_mov_b32 s1, exec_lo
	scratch_store_b64 off, v[2:3], s32 offset:756 ; 8-byte Folded Spill
	s_wait_xcnt 0x0
	v_cmpx_ne_u16_e32 0x80, v1
	s_cbranch_execz .LBB216_2584
; %bb.2579:                             ;   in Loop: Header=BB216_2096 Depth=1
	v_mov_b64_e32 v[4:5], 0x7f800001
	v_and_b32_e32 v2, 0x7f, v0
	s_mov_b32 s2, exec_lo
	scratch_store_b64 off, v[4:5], s32 offset:756 ; 8-byte Folded Spill
	s_wait_xcnt 0x0
	v_cmpx_ne_u32_e32 0x7f, v2
	s_cbranch_execz .LBB216_2583
; %bb.2580:                             ;   in Loop: Header=BB216_2096 Depth=1
	scratch_load_b64 v[4:5], off, s32 offset:192 th:TH_LOAD_LU ; 8-byte Folded Reload
	s_wait_loadcnt 0x0
	v_dual_lshrrev_b32 v1, 3, v2 :: v_dual_bitop2_b32 v4, 7, v0 bitop3:0x40
	s_mov_b32 s3, exec_lo
	s_wait_xcnt 0x0
	v_cmpx_gt_u32_e32 8, v2
; %bb.2581:                             ;   in Loop: Header=BB216_2096 Depth=1
	s_delay_alu instid0(VALU_DEP_2) | instskip(NEXT) | instid1(VALU_DEP_1)
	v_clz_i32_u32_e32 v1, v4
	v_min_u32_e32 v1, 32, v1
	s_delay_alu instid0(VALU_DEP_1) | instskip(NEXT) | instid1(VALU_DEP_1)
	v_subrev_nc_u32_e32 v2, 28, v1
	v_lshlrev_b64_e32 v[2:3], v2, v[4:5]
	s_delay_alu instid0(VALU_DEP_1)
	v_dual_sub_nc_u32 v1, 29, v1 :: v_dual_bitop2_b32 v4, 7, v2 bitop3:0x40
; %bb.2582:                             ;   in Loop: Header=BB216_2096 Depth=1
	s_or_b32 exec_lo, exec_lo, s3
	v_lshlrev_b32_e32 v2, 24, v0
	s_delay_alu instid0(VALU_DEP_2) | instskip(NEXT) | instid1(VALU_DEP_3)
	v_lshlrev_b32_e32 v3, 20, v4
	v_lshl_add_u32 v1, v1, 23, 0x3c000000
	s_delay_alu instid0(VALU_DEP_3) | instskip(NEXT) | instid1(VALU_DEP_1)
	v_and_b32_e32 v2, 0x80000000, v2
	v_or3_b32 v4, v3, v2, v1
	v_mov_b32_e32 v1, v5
	s_clause 0x1
	scratch_store_b64 off, v[0:1], s32 offset:192
	scratch_store_b64 off, v[4:5], s32 offset:756
.LBB216_2583:                           ;   in Loop: Header=BB216_2096 Depth=1
	s_wait_xcnt 0x0
	s_or_b32 exec_lo, exec_lo, s2
.LBB216_2584:                           ;   in Loop: Header=BB216_2096 Depth=1
	s_delay_alu instid0(SALU_CYCLE_1)
	s_or_b32 exec_lo, exec_lo, s1
.LBB216_2585:                           ;   in Loop: Header=BB216_2096 Depth=1
	s_delay_alu instid0(SALU_CYCLE_1) | instskip(SKIP_2) | instid1(VALU_DEP_1)
	s_or_b32 exec_lo, exec_lo, s0
	v_lshrrev_b16 v1, 8, v0
	s_mov_b32 s0, exec_lo
	v_cmpx_ne_u16_e32 0, v1
	s_cbranch_execz .LBB216_2593
; %bb.2586:                             ;   in Loop: Header=BB216_2096 Depth=1
	v_mov_b64_e32 v[2:3], 0x8000000000000000
	s_mov_b32 s1, exec_lo
	scratch_store_b64 off, v[2:3], s32 offset:748 ; 8-byte Folded Spill
	s_wait_xcnt 0x0
	v_cmpx_ne_u16_e32 0x80, v1
	s_cbranch_execz .LBB216_2592
; %bb.2587:                             ;   in Loop: Header=BB216_2096 Depth=1
	v_and_b32_e32 v1, 0xffff, v1
	v_mov_b64_e32 v[4:5], 0x7f80000100000000
	s_mov_b32 s2, exec_lo
	s_delay_alu instid0(VALU_DEP_2)
	v_and_b32_e32 v2, 0x7f, v1
	scratch_store_b64 off, v[4:5], s32 offset:748 ; 8-byte Folded Spill
	s_wait_xcnt 0x0
	v_cmpx_ne_u32_e32 0x7f, v2
	s_cbranch_execz .LBB216_2591
; %bb.2588:                             ;   in Loop: Header=BB216_2096 Depth=1
	scratch_load_b64 v[4:5], off, s32 offset:192 th:TH_LOAD_LU ; 8-byte Folded Reload
	s_wait_loadcnt 0x0
	v_dual_lshrrev_b32 v1, 3, v2 :: v_dual_bitop2_b32 v4, 7, v1 bitop3:0x40
	s_mov_b32 s3, exec_lo
	s_wait_xcnt 0x0
	v_cmpx_gt_u32_e32 8, v2
; %bb.2589:                             ;   in Loop: Header=BB216_2096 Depth=1
	s_delay_alu instid0(VALU_DEP_2) | instskip(NEXT) | instid1(VALU_DEP_1)
	v_clz_i32_u32_e32 v1, v4
	v_min_u32_e32 v1, 32, v1
	s_delay_alu instid0(VALU_DEP_1) | instskip(NEXT) | instid1(VALU_DEP_1)
	v_subrev_nc_u32_e32 v2, 28, v1
	v_lshlrev_b64_e32 v[2:3], v2, v[4:5]
	s_delay_alu instid0(VALU_DEP_1)
	v_dual_sub_nc_u32 v1, 29, v1 :: v_dual_bitop2_b32 v4, 7, v2 bitop3:0x40
; %bb.2590:                             ;   in Loop: Header=BB216_2096 Depth=1
	s_or_b32 exec_lo, exec_lo, s3
	v_lshlrev_b32_e32 v2, 16, v0
	s_delay_alu instid0(VALU_DEP_2) | instskip(NEXT) | instid1(VALU_DEP_3)
	v_lshlrev_b32_e32 v3, 20, v4
	v_lshl_add_u32 v1, v1, 23, 0x3c000000
	s_delay_alu instid0(VALU_DEP_3) | instskip(NEXT) | instid1(VALU_DEP_1)
	v_and_b32_e32 v2, 0x80000000, v2
	v_or3_b32 v3, v3, v2, v1
	v_dual_mov_b32 v1, v5 :: v_dual_mov_b32 v2, v5
	s_clause 0x1
	scratch_store_b64 off, v[0:1], s32 offset:192
	scratch_store_b64 off, v[2:3], s32 offset:748
.LBB216_2591:                           ;   in Loop: Header=BB216_2096 Depth=1
	s_wait_xcnt 0x0
	s_or_b32 exec_lo, exec_lo, s2
.LBB216_2592:                           ;   in Loop: Header=BB216_2096 Depth=1
	s_delay_alu instid0(SALU_CYCLE_1)
	s_or_b32 exec_lo, exec_lo, s1
.LBB216_2593:                           ;   in Loop: Header=BB216_2096 Depth=1
	s_delay_alu instid0(SALU_CYCLE_1) | instskip(SKIP_3) | instid1(VALU_DEP_1)
	s_or_b32 exec_lo, exec_lo, s0
	v_mov_b64_e32 v[4:5], 0
	v_lshrrev_b32_e32 v1, 16, v0
	s_mov_b32 s0, exec_lo
	v_and_b32_e32 v2, 0xff, v1
	scratch_store_b64 off, v[4:5], s32 offset:764 ; 8-byte Folded Spill
	s_wait_xcnt 0x0
	v_mov_b64_e32 v[4:5], 0
	scratch_store_b64 off, v[4:5], s32 offset:772 ; 8-byte Folded Spill
	s_wait_xcnt 0x0
	v_cmpx_ne_u16_e32 0, v2
	s_cbranch_execz .LBB216_2601
; %bb.2594:                             ;   in Loop: Header=BB216_2096 Depth=1
	v_cmp_ne_u16_e32 vcc_lo, 0x80, v2
	v_mov_b64_e32 v[2:3], 0x80000000
	scratch_store_b64 off, v[2:3], s32 offset:772 ; 8-byte Folded Spill
	s_wait_xcnt 0x0
	s_and_saveexec_b32 s1, vcc_lo
	s_cbranch_execz .LBB216_2600
; %bb.2595:                             ;   in Loop: Header=BB216_2096 Depth=1
	v_mov_b64_e32 v[4:5], 0x7f800001
	v_bfe_u32 v3, v0, 16, 7
	s_mov_b32 s2, exec_lo
	scratch_store_b64 off, v[4:5], s32 offset:772 ; 8-byte Folded Spill
	s_wait_xcnt 0x0
	v_cmpx_ne_u32_e32 0x7f, v3
	s_cbranch_execz .LBB216_2599
; %bb.2596:                             ;   in Loop: Header=BB216_2096 Depth=1
	scratch_load_b64 v[6:7], off, s32 offset:192 th:TH_LOAD_LU ; 8-byte Folded Reload
	s_wait_loadcnt 0x0
	v_dual_lshrrev_b32 v2, 3, v3 :: v_dual_bitop2_b32 v6, 7, v1 bitop3:0x40
	s_mov_b32 s3, exec_lo
	s_wait_xcnt 0x0
	v_cmpx_gt_u32_e32 8, v3
; %bb.2597:                             ;   in Loop: Header=BB216_2096 Depth=1
	s_delay_alu instid0(VALU_DEP_2) | instskip(NEXT) | instid1(VALU_DEP_1)
	v_clz_i32_u32_e32 v2, v6
	v_min_u32_e32 v2, 32, v2
	s_delay_alu instid0(VALU_DEP_1) | instskip(NEXT) | instid1(VALU_DEP_1)
	v_subrev_nc_u32_e32 v3, 28, v2
	v_lshlrev_b64_e32 v[4:5], v3, v[6:7]
	s_delay_alu instid0(VALU_DEP_1)
	v_dual_sub_nc_u32 v2, 29, v2 :: v_dual_bitop2_b32 v6, 7, v4 bitop3:0x40
; %bb.2598:                             ;   in Loop: Header=BB216_2096 Depth=1
	s_or_b32 exec_lo, exec_lo, s3
	s_delay_alu instid0(VALU_DEP_1) | instskip(NEXT) | instid1(VALU_DEP_2)
	v_dual_lshlrev_b32 v1, 24, v1 :: v_dual_lshlrev_b32 v3, 20, v6
	v_lshl_add_u32 v2, v2, 23, 0x3c000000
	s_delay_alu instid0(VALU_DEP_2) | instskip(NEXT) | instid1(VALU_DEP_1)
	v_and_b32_e32 v1, 0x80000000, v1
	v_or3_b32 v6, v3, v1, v2
	v_mov_b32_e32 v1, v7
	s_clause 0x1
	scratch_store_b64 off, v[0:1], s32 offset:192
	scratch_store_b64 off, v[6:7], s32 offset:772
.LBB216_2599:                           ;   in Loop: Header=BB216_2096 Depth=1
	s_wait_xcnt 0x0
	s_or_b32 exec_lo, exec_lo, s2
.LBB216_2600:                           ;   in Loop: Header=BB216_2096 Depth=1
	s_delay_alu instid0(SALU_CYCLE_1)
	s_or_b32 exec_lo, exec_lo, s1
.LBB216_2601:                           ;   in Loop: Header=BB216_2096 Depth=1
	s_delay_alu instid0(SALU_CYCLE_1) | instskip(NEXT) | instid1(SALU_CYCLE_1)
	s_or_b32 exec_lo, exec_lo, s0
	s_mov_b32 s0, exec_lo
	v_cmpx_lt_u32_e32 0xffffff, v0
	s_cbranch_execz .LBB216_2609
; %bb.2602:                             ;   in Loop: Header=BB216_2096 Depth=1
	v_mov_b64_e32 v[2:3], 0x8000000000000000
	v_lshrrev_b32_e32 v1, 24, v0
	s_mov_b32 s1, exec_lo
	scratch_store_b64 off, v[2:3], s32 offset:764 ; 8-byte Folded Spill
	s_wait_xcnt 0x0
	v_cmpx_ne_u32_e32 0x80, v1
	s_cbranch_execz .LBB216_2608
; %bb.2603:                             ;   in Loop: Header=BB216_2096 Depth=1
	v_mov_b64_e32 v[4:5], 0x7f80000100000000
	v_bfe_u32 v2, v0, 24, 7
	s_mov_b32 s2, exec_lo
	scratch_store_b64 off, v[4:5], s32 offset:764 ; 8-byte Folded Spill
	s_wait_xcnt 0x0
	v_cmpx_ne_u32_e32 0x7f, v2
	s_cbranch_execz .LBB216_2607
; %bb.2604:                             ;   in Loop: Header=BB216_2096 Depth=1
	scratch_load_b64 v[4:5], off, s32 offset:192 th:TH_LOAD_LU ; 8-byte Folded Reload
	s_wait_loadcnt 0x0
	v_dual_lshrrev_b32 v0, 3, v2 :: v_dual_bitop2_b32 v4, 7, v1 bitop3:0x40
	s_mov_b32 s3, exec_lo
	s_wait_xcnt 0x0
	v_cmpx_gt_u32_e32 8, v2
; %bb.2605:                             ;   in Loop: Header=BB216_2096 Depth=1
	s_delay_alu instid0(VALU_DEP_2) | instskip(NEXT) | instid1(VALU_DEP_1)
	v_clz_i32_u32_e32 v0, v4
	v_min_u32_e32 v0, 32, v0
	s_delay_alu instid0(VALU_DEP_1) | instskip(NEXT) | instid1(VALU_DEP_1)
	v_subrev_nc_u32_e32 v2, 28, v0
	v_lshlrev_b64_e32 v[2:3], v2, v[4:5]
	s_delay_alu instid0(VALU_DEP_1)
	v_dual_sub_nc_u32 v0, 29, v0 :: v_dual_bitop2_b32 v4, 7, v2 bitop3:0x40
; %bb.2606:                             ;   in Loop: Header=BB216_2096 Depth=1
	s_or_b32 exec_lo, exec_lo, s3
	s_delay_alu instid0(VALU_DEP_1) | instskip(NEXT) | instid1(VALU_DEP_2)
	v_dual_lshlrev_b32 v1, 24, v1 :: v_dual_lshlrev_b32 v2, 20, v4
	v_lshl_add_u32 v0, v0, 23, 0x3c000000
	s_delay_alu instid0(VALU_DEP_2) | instskip(NEXT) | instid1(VALU_DEP_1)
	v_and_b32_e32 v1, 0x80000000, v1
	v_or3_b32 v3, v2, v1, v0
	v_dual_mov_b32 v1, v5 :: v_dual_mov_b32 v2, v5
	s_clause 0x1
	scratch_store_b64 off, v[0:1], s32 offset:192
	scratch_store_b64 off, v[2:3], s32 offset:764
.LBB216_2607:                           ;   in Loop: Header=BB216_2096 Depth=1
	s_wait_xcnt 0x0
	s_or_b32 exec_lo, exec_lo, s2
.LBB216_2608:                           ;   in Loop: Header=BB216_2096 Depth=1
	s_delay_alu instid0(SALU_CYCLE_1)
	s_or_b32 exec_lo, exec_lo, s1
.LBB216_2609:                           ;   in Loop: Header=BB216_2096 Depth=1
	s_delay_alu instid0(SALU_CYCLE_1)
	s_or_b32 exec_lo, exec_lo, s0
	flat_load_b32 v0, v[24:25] offset:2048
	v_mov_b64_e32 v[2:3], 0
	s_mov_b32 s0, exec_lo
	scratch_store_b64 off, v[2:3], s32 offset:780 ; 8-byte Folded Spill
	s_wait_xcnt 0x0
	v_mov_b64_e32 v[2:3], 0
	scratch_store_b64 off, v[2:3], s32 offset:788 ; 8-byte Folded Spill
	s_wait_loadcnt_dscnt 0x0
	v_and_b32_e32 v1, 0xff, v0
	s_wait_xcnt 0x0
	s_delay_alu instid0(VALU_DEP_1)
	v_cmpx_ne_u16_e32 0, v1
	s_cbranch_execz .LBB216_2617
; %bb.2610:                             ;   in Loop: Header=BB216_2096 Depth=1
	v_mov_b64_e32 v[2:3], 0x80000000
	s_mov_b32 s1, exec_lo
	scratch_store_b64 off, v[2:3], s32 offset:788 ; 8-byte Folded Spill
	s_wait_xcnt 0x0
	v_cmpx_ne_u16_e32 0x80, v1
	s_cbranch_execz .LBB216_2616
; %bb.2611:                             ;   in Loop: Header=BB216_2096 Depth=1
	v_mov_b64_e32 v[4:5], 0x7f800001
	v_and_b32_e32 v2, 0x7f, v0
	s_mov_b32 s2, exec_lo
	scratch_store_b64 off, v[4:5], s32 offset:788 ; 8-byte Folded Spill
	s_wait_xcnt 0x0
	v_cmpx_ne_u32_e32 0x7f, v2
	s_cbranch_execz .LBB216_2615
; %bb.2612:                             ;   in Loop: Header=BB216_2096 Depth=1
	scratch_load_b64 v[4:5], off, s32 offset:192 th:TH_LOAD_LU ; 8-byte Folded Reload
	s_wait_loadcnt 0x0
	v_dual_lshrrev_b32 v1, 3, v2 :: v_dual_bitop2_b32 v4, 7, v0 bitop3:0x40
	s_mov_b32 s3, exec_lo
	s_wait_xcnt 0x0
	v_cmpx_gt_u32_e32 8, v2
; %bb.2613:                             ;   in Loop: Header=BB216_2096 Depth=1
	s_delay_alu instid0(VALU_DEP_2) | instskip(NEXT) | instid1(VALU_DEP_1)
	v_clz_i32_u32_e32 v1, v4
	v_min_u32_e32 v1, 32, v1
	s_delay_alu instid0(VALU_DEP_1) | instskip(NEXT) | instid1(VALU_DEP_1)
	v_subrev_nc_u32_e32 v2, 28, v1
	v_lshlrev_b64_e32 v[2:3], v2, v[4:5]
	s_delay_alu instid0(VALU_DEP_1)
	v_dual_sub_nc_u32 v1, 29, v1 :: v_dual_bitop2_b32 v4, 7, v2 bitop3:0x40
; %bb.2614:                             ;   in Loop: Header=BB216_2096 Depth=1
	s_or_b32 exec_lo, exec_lo, s3
	v_lshlrev_b32_e32 v2, 24, v0
	s_delay_alu instid0(VALU_DEP_2) | instskip(NEXT) | instid1(VALU_DEP_3)
	v_lshlrev_b32_e32 v3, 20, v4
	v_lshl_add_u32 v1, v1, 23, 0x3c000000
	s_delay_alu instid0(VALU_DEP_3) | instskip(NEXT) | instid1(VALU_DEP_1)
	v_and_b32_e32 v2, 0x80000000, v2
	v_or3_b32 v4, v3, v2, v1
	v_mov_b32_e32 v1, v5
	s_clause 0x1
	scratch_store_b64 off, v[0:1], s32 offset:192
	scratch_store_b64 off, v[4:5], s32 offset:788
.LBB216_2615:                           ;   in Loop: Header=BB216_2096 Depth=1
	s_wait_xcnt 0x0
	s_or_b32 exec_lo, exec_lo, s2
.LBB216_2616:                           ;   in Loop: Header=BB216_2096 Depth=1
	s_delay_alu instid0(SALU_CYCLE_1)
	s_or_b32 exec_lo, exec_lo, s1
.LBB216_2617:                           ;   in Loop: Header=BB216_2096 Depth=1
	s_delay_alu instid0(SALU_CYCLE_1) | instskip(SKIP_2) | instid1(VALU_DEP_1)
	s_or_b32 exec_lo, exec_lo, s0
	v_lshrrev_b16 v1, 8, v0
	s_mov_b32 s0, exec_lo
	v_cmpx_ne_u16_e32 0, v1
	s_cbranch_execz .LBB216_2625
; %bb.2618:                             ;   in Loop: Header=BB216_2096 Depth=1
	v_mov_b64_e32 v[2:3], 0x8000000000000000
	s_mov_b32 s1, exec_lo
	scratch_store_b64 off, v[2:3], s32 offset:780 ; 8-byte Folded Spill
	s_wait_xcnt 0x0
	v_cmpx_ne_u16_e32 0x80, v1
	s_cbranch_execz .LBB216_2624
; %bb.2619:                             ;   in Loop: Header=BB216_2096 Depth=1
	v_and_b32_e32 v1, 0xffff, v1
	v_mov_b64_e32 v[4:5], 0x7f80000100000000
	s_mov_b32 s2, exec_lo
	s_delay_alu instid0(VALU_DEP_2)
	v_and_b32_e32 v2, 0x7f, v1
	scratch_store_b64 off, v[4:5], s32 offset:780 ; 8-byte Folded Spill
	s_wait_xcnt 0x0
	v_cmpx_ne_u32_e32 0x7f, v2
	s_cbranch_execz .LBB216_2623
; %bb.2620:                             ;   in Loop: Header=BB216_2096 Depth=1
	scratch_load_b64 v[4:5], off, s32 offset:192 th:TH_LOAD_LU ; 8-byte Folded Reload
	s_wait_loadcnt 0x0
	v_dual_lshrrev_b32 v1, 3, v2 :: v_dual_bitop2_b32 v4, 7, v1 bitop3:0x40
	s_mov_b32 s3, exec_lo
	s_wait_xcnt 0x0
	v_cmpx_gt_u32_e32 8, v2
; %bb.2621:                             ;   in Loop: Header=BB216_2096 Depth=1
	s_delay_alu instid0(VALU_DEP_2) | instskip(NEXT) | instid1(VALU_DEP_1)
	v_clz_i32_u32_e32 v1, v4
	v_min_u32_e32 v1, 32, v1
	s_delay_alu instid0(VALU_DEP_1) | instskip(NEXT) | instid1(VALU_DEP_1)
	v_subrev_nc_u32_e32 v2, 28, v1
	v_lshlrev_b64_e32 v[2:3], v2, v[4:5]
	s_delay_alu instid0(VALU_DEP_1)
	v_dual_sub_nc_u32 v1, 29, v1 :: v_dual_bitop2_b32 v4, 7, v2 bitop3:0x40
; %bb.2622:                             ;   in Loop: Header=BB216_2096 Depth=1
	s_or_b32 exec_lo, exec_lo, s3
	v_lshlrev_b32_e32 v2, 16, v0
	s_delay_alu instid0(VALU_DEP_2) | instskip(NEXT) | instid1(VALU_DEP_3)
	v_lshlrev_b32_e32 v3, 20, v4
	v_lshl_add_u32 v1, v1, 23, 0x3c000000
	s_delay_alu instid0(VALU_DEP_3) | instskip(NEXT) | instid1(VALU_DEP_1)
	v_and_b32_e32 v2, 0x80000000, v2
	v_or3_b32 v3, v3, v2, v1
	v_dual_mov_b32 v1, v5 :: v_dual_mov_b32 v2, v5
	s_clause 0x1
	scratch_store_b64 off, v[0:1], s32 offset:192
	scratch_store_b64 off, v[2:3], s32 offset:780
.LBB216_2623:                           ;   in Loop: Header=BB216_2096 Depth=1
	s_wait_xcnt 0x0
	s_or_b32 exec_lo, exec_lo, s2
.LBB216_2624:                           ;   in Loop: Header=BB216_2096 Depth=1
	s_delay_alu instid0(SALU_CYCLE_1)
	s_or_b32 exec_lo, exec_lo, s1
.LBB216_2625:                           ;   in Loop: Header=BB216_2096 Depth=1
	s_delay_alu instid0(SALU_CYCLE_1) | instskip(SKIP_3) | instid1(VALU_DEP_1)
	s_or_b32 exec_lo, exec_lo, s0
	v_mov_b64_e32 v[4:5], 0
	v_lshrrev_b32_e32 v1, 16, v0
	s_mov_b32 s0, exec_lo
	v_and_b32_e32 v2, 0xff, v1
	scratch_store_b64 off, v[4:5], s32 offset:796 ; 8-byte Folded Spill
	s_wait_xcnt 0x0
	v_mov_b64_e32 v[4:5], 0
	scratch_store_b64 off, v[4:5], s32 offset:804 ; 8-byte Folded Spill
	s_wait_xcnt 0x0
	v_cmpx_ne_u16_e32 0, v2
	s_cbranch_execz .LBB216_2633
; %bb.2626:                             ;   in Loop: Header=BB216_2096 Depth=1
	v_cmp_ne_u16_e32 vcc_lo, 0x80, v2
	v_mov_b64_e32 v[2:3], 0x80000000
	scratch_store_b64 off, v[2:3], s32 offset:804 ; 8-byte Folded Spill
	s_wait_xcnt 0x0
	s_and_saveexec_b32 s1, vcc_lo
	s_cbranch_execz .LBB216_2632
; %bb.2627:                             ;   in Loop: Header=BB216_2096 Depth=1
	v_mov_b64_e32 v[4:5], 0x7f800001
	v_bfe_u32 v3, v0, 16, 7
	s_mov_b32 s2, exec_lo
	scratch_store_b64 off, v[4:5], s32 offset:804 ; 8-byte Folded Spill
	s_wait_xcnt 0x0
	v_cmpx_ne_u32_e32 0x7f, v3
	s_cbranch_execz .LBB216_2631
; %bb.2628:                             ;   in Loop: Header=BB216_2096 Depth=1
	scratch_load_b64 v[6:7], off, s32 offset:192 th:TH_LOAD_LU ; 8-byte Folded Reload
	s_wait_loadcnt 0x0
	v_dual_lshrrev_b32 v2, 3, v3 :: v_dual_bitop2_b32 v6, 7, v1 bitop3:0x40
	s_mov_b32 s3, exec_lo
	s_wait_xcnt 0x0
	v_cmpx_gt_u32_e32 8, v3
; %bb.2629:                             ;   in Loop: Header=BB216_2096 Depth=1
	s_delay_alu instid0(VALU_DEP_2) | instskip(NEXT) | instid1(VALU_DEP_1)
	v_clz_i32_u32_e32 v2, v6
	v_min_u32_e32 v2, 32, v2
	s_delay_alu instid0(VALU_DEP_1) | instskip(NEXT) | instid1(VALU_DEP_1)
	v_subrev_nc_u32_e32 v3, 28, v2
	v_lshlrev_b64_e32 v[4:5], v3, v[6:7]
	s_delay_alu instid0(VALU_DEP_1)
	v_dual_sub_nc_u32 v2, 29, v2 :: v_dual_bitop2_b32 v6, 7, v4 bitop3:0x40
; %bb.2630:                             ;   in Loop: Header=BB216_2096 Depth=1
	s_or_b32 exec_lo, exec_lo, s3
	s_delay_alu instid0(VALU_DEP_1) | instskip(NEXT) | instid1(VALU_DEP_2)
	v_dual_lshlrev_b32 v1, 24, v1 :: v_dual_lshlrev_b32 v3, 20, v6
	v_lshl_add_u32 v2, v2, 23, 0x3c000000
	s_delay_alu instid0(VALU_DEP_2) | instskip(NEXT) | instid1(VALU_DEP_1)
	v_and_b32_e32 v1, 0x80000000, v1
	v_or3_b32 v6, v3, v1, v2
	v_mov_b32_e32 v1, v7
	s_clause 0x1
	scratch_store_b64 off, v[0:1], s32 offset:192
	scratch_store_b64 off, v[6:7], s32 offset:804
.LBB216_2631:                           ;   in Loop: Header=BB216_2096 Depth=1
	s_wait_xcnt 0x0
	s_or_b32 exec_lo, exec_lo, s2
.LBB216_2632:                           ;   in Loop: Header=BB216_2096 Depth=1
	s_delay_alu instid0(SALU_CYCLE_1)
	s_or_b32 exec_lo, exec_lo, s1
.LBB216_2633:                           ;   in Loop: Header=BB216_2096 Depth=1
	s_delay_alu instid0(SALU_CYCLE_1) | instskip(NEXT) | instid1(SALU_CYCLE_1)
	s_or_b32 exec_lo, exec_lo, s0
	s_mov_b32 s0, exec_lo
	v_cmpx_lt_u32_e32 0xffffff, v0
	s_cbranch_execz .LBB216_2641
; %bb.2634:                             ;   in Loop: Header=BB216_2096 Depth=1
	v_mov_b64_e32 v[2:3], 0x8000000000000000
	v_lshrrev_b32_e32 v1, 24, v0
	s_mov_b32 s1, exec_lo
	scratch_store_b64 off, v[2:3], s32 offset:796 ; 8-byte Folded Spill
	s_wait_xcnt 0x0
	v_cmpx_ne_u32_e32 0x80, v1
	s_cbranch_execz .LBB216_2640
; %bb.2635:                             ;   in Loop: Header=BB216_2096 Depth=1
	v_mov_b64_e32 v[4:5], 0x7f80000100000000
	v_bfe_u32 v2, v0, 24, 7
	s_mov_b32 s2, exec_lo
	scratch_store_b64 off, v[4:5], s32 offset:796 ; 8-byte Folded Spill
	s_wait_xcnt 0x0
	v_cmpx_ne_u32_e32 0x7f, v2
	s_cbranch_execz .LBB216_2639
; %bb.2636:                             ;   in Loop: Header=BB216_2096 Depth=1
	scratch_load_b64 v[4:5], off, s32 offset:192 th:TH_LOAD_LU ; 8-byte Folded Reload
	s_wait_loadcnt 0x0
	v_dual_lshrrev_b32 v0, 3, v2 :: v_dual_bitop2_b32 v4, 7, v1 bitop3:0x40
	s_mov_b32 s3, exec_lo
	s_wait_xcnt 0x0
	v_cmpx_gt_u32_e32 8, v2
; %bb.2637:                             ;   in Loop: Header=BB216_2096 Depth=1
	s_delay_alu instid0(VALU_DEP_2) | instskip(NEXT) | instid1(VALU_DEP_1)
	v_clz_i32_u32_e32 v0, v4
	v_min_u32_e32 v0, 32, v0
	s_delay_alu instid0(VALU_DEP_1) | instskip(NEXT) | instid1(VALU_DEP_1)
	v_subrev_nc_u32_e32 v2, 28, v0
	v_lshlrev_b64_e32 v[2:3], v2, v[4:5]
	s_delay_alu instid0(VALU_DEP_1)
	v_dual_sub_nc_u32 v0, 29, v0 :: v_dual_bitop2_b32 v4, 7, v2 bitop3:0x40
; %bb.2638:                             ;   in Loop: Header=BB216_2096 Depth=1
	s_or_b32 exec_lo, exec_lo, s3
	s_delay_alu instid0(VALU_DEP_1) | instskip(NEXT) | instid1(VALU_DEP_2)
	v_dual_lshlrev_b32 v1, 24, v1 :: v_dual_lshlrev_b32 v2, 20, v4
	v_lshl_add_u32 v0, v0, 23, 0x3c000000
	s_delay_alu instid0(VALU_DEP_2) | instskip(NEXT) | instid1(VALU_DEP_1)
	v_and_b32_e32 v1, 0x80000000, v1
	v_or3_b32 v3, v2, v1, v0
	v_dual_mov_b32 v1, v5 :: v_dual_mov_b32 v2, v5
	s_clause 0x1
	scratch_store_b64 off, v[0:1], s32 offset:192
	scratch_store_b64 off, v[2:3], s32 offset:796
.LBB216_2639:                           ;   in Loop: Header=BB216_2096 Depth=1
	s_wait_xcnt 0x0
	s_or_b32 exec_lo, exec_lo, s2
.LBB216_2640:                           ;   in Loop: Header=BB216_2096 Depth=1
	s_delay_alu instid0(SALU_CYCLE_1)
	s_or_b32 exec_lo, exec_lo, s1
.LBB216_2641:                           ;   in Loop: Header=BB216_2096 Depth=1
	s_delay_alu instid0(SALU_CYCLE_1)
	s_or_b32 exec_lo, exec_lo, s0
	flat_load_b32 v0, v[24:25] offset:2176
	v_mov_b64_e32 v[2:3], 0
	s_mov_b32 s0, exec_lo
	scratch_store_b64 off, v[2:3], s32 offset:812 ; 8-byte Folded Spill
	s_wait_xcnt 0x0
	v_mov_b64_e32 v[2:3], 0
	scratch_store_b64 off, v[2:3], s32 offset:820 ; 8-byte Folded Spill
	s_wait_loadcnt_dscnt 0x0
	v_and_b32_e32 v1, 0xff, v0
	s_wait_xcnt 0x0
	s_delay_alu instid0(VALU_DEP_1)
	v_cmpx_ne_u16_e32 0, v1
	s_cbranch_execz .LBB216_2649
; %bb.2642:                             ;   in Loop: Header=BB216_2096 Depth=1
	v_mov_b64_e32 v[2:3], 0x80000000
	s_mov_b32 s1, exec_lo
	scratch_store_b64 off, v[2:3], s32 offset:820 ; 8-byte Folded Spill
	s_wait_xcnt 0x0
	v_cmpx_ne_u16_e32 0x80, v1
	s_cbranch_execz .LBB216_2648
; %bb.2643:                             ;   in Loop: Header=BB216_2096 Depth=1
	v_mov_b64_e32 v[4:5], 0x7f800001
	v_and_b32_e32 v2, 0x7f, v0
	s_mov_b32 s2, exec_lo
	scratch_store_b64 off, v[4:5], s32 offset:820 ; 8-byte Folded Spill
	s_wait_xcnt 0x0
	v_cmpx_ne_u32_e32 0x7f, v2
	s_cbranch_execz .LBB216_2647
; %bb.2644:                             ;   in Loop: Header=BB216_2096 Depth=1
	scratch_load_b64 v[4:5], off, s32 offset:192 th:TH_LOAD_LU ; 8-byte Folded Reload
	s_wait_loadcnt 0x0
	v_dual_lshrrev_b32 v1, 3, v2 :: v_dual_bitop2_b32 v4, 7, v0 bitop3:0x40
	s_mov_b32 s3, exec_lo
	s_wait_xcnt 0x0
	v_cmpx_gt_u32_e32 8, v2
; %bb.2645:                             ;   in Loop: Header=BB216_2096 Depth=1
	s_delay_alu instid0(VALU_DEP_2) | instskip(NEXT) | instid1(VALU_DEP_1)
	v_clz_i32_u32_e32 v1, v4
	v_min_u32_e32 v1, 32, v1
	s_delay_alu instid0(VALU_DEP_1) | instskip(NEXT) | instid1(VALU_DEP_1)
	v_subrev_nc_u32_e32 v2, 28, v1
	v_lshlrev_b64_e32 v[2:3], v2, v[4:5]
	s_delay_alu instid0(VALU_DEP_1)
	v_dual_sub_nc_u32 v1, 29, v1 :: v_dual_bitop2_b32 v4, 7, v2 bitop3:0x40
; %bb.2646:                             ;   in Loop: Header=BB216_2096 Depth=1
	s_or_b32 exec_lo, exec_lo, s3
	v_lshlrev_b32_e32 v2, 24, v0
	s_delay_alu instid0(VALU_DEP_2) | instskip(NEXT) | instid1(VALU_DEP_3)
	v_lshlrev_b32_e32 v3, 20, v4
	v_lshl_add_u32 v1, v1, 23, 0x3c000000
	s_delay_alu instid0(VALU_DEP_3) | instskip(NEXT) | instid1(VALU_DEP_1)
	v_and_b32_e32 v2, 0x80000000, v2
	v_or3_b32 v4, v3, v2, v1
	v_mov_b32_e32 v1, v5
	s_clause 0x1
	scratch_store_b64 off, v[0:1], s32 offset:192
	scratch_store_b64 off, v[4:5], s32 offset:820
.LBB216_2647:                           ;   in Loop: Header=BB216_2096 Depth=1
	s_wait_xcnt 0x0
	s_or_b32 exec_lo, exec_lo, s2
.LBB216_2648:                           ;   in Loop: Header=BB216_2096 Depth=1
	s_delay_alu instid0(SALU_CYCLE_1)
	s_or_b32 exec_lo, exec_lo, s1
.LBB216_2649:                           ;   in Loop: Header=BB216_2096 Depth=1
	s_delay_alu instid0(SALU_CYCLE_1) | instskip(SKIP_2) | instid1(VALU_DEP_1)
	s_or_b32 exec_lo, exec_lo, s0
	v_lshrrev_b16 v1, 8, v0
	s_mov_b32 s0, exec_lo
	v_cmpx_ne_u16_e32 0, v1
	s_cbranch_execz .LBB216_2657
; %bb.2650:                             ;   in Loop: Header=BB216_2096 Depth=1
	v_mov_b64_e32 v[2:3], 0x8000000000000000
	s_mov_b32 s1, exec_lo
	scratch_store_b64 off, v[2:3], s32 offset:812 ; 8-byte Folded Spill
	s_wait_xcnt 0x0
	v_cmpx_ne_u16_e32 0x80, v1
	s_cbranch_execz .LBB216_2656
; %bb.2651:                             ;   in Loop: Header=BB216_2096 Depth=1
	v_and_b32_e32 v1, 0xffff, v1
	v_mov_b64_e32 v[4:5], 0x7f80000100000000
	s_mov_b32 s2, exec_lo
	s_delay_alu instid0(VALU_DEP_2)
	v_and_b32_e32 v2, 0x7f, v1
	scratch_store_b64 off, v[4:5], s32 offset:812 ; 8-byte Folded Spill
	s_wait_xcnt 0x0
	v_cmpx_ne_u32_e32 0x7f, v2
	s_cbranch_execz .LBB216_2655
; %bb.2652:                             ;   in Loop: Header=BB216_2096 Depth=1
	scratch_load_b64 v[4:5], off, s32 offset:192 th:TH_LOAD_LU ; 8-byte Folded Reload
	s_wait_loadcnt 0x0
	v_dual_lshrrev_b32 v1, 3, v2 :: v_dual_bitop2_b32 v4, 7, v1 bitop3:0x40
	s_mov_b32 s3, exec_lo
	s_wait_xcnt 0x0
	v_cmpx_gt_u32_e32 8, v2
; %bb.2653:                             ;   in Loop: Header=BB216_2096 Depth=1
	s_delay_alu instid0(VALU_DEP_2) | instskip(NEXT) | instid1(VALU_DEP_1)
	v_clz_i32_u32_e32 v1, v4
	v_min_u32_e32 v1, 32, v1
	s_delay_alu instid0(VALU_DEP_1) | instskip(NEXT) | instid1(VALU_DEP_1)
	v_subrev_nc_u32_e32 v2, 28, v1
	v_lshlrev_b64_e32 v[2:3], v2, v[4:5]
	s_delay_alu instid0(VALU_DEP_1)
	v_dual_sub_nc_u32 v1, 29, v1 :: v_dual_bitop2_b32 v4, 7, v2 bitop3:0x40
; %bb.2654:                             ;   in Loop: Header=BB216_2096 Depth=1
	s_or_b32 exec_lo, exec_lo, s3
	v_lshlrev_b32_e32 v2, 16, v0
	s_delay_alu instid0(VALU_DEP_2) | instskip(NEXT) | instid1(VALU_DEP_3)
	v_lshlrev_b32_e32 v3, 20, v4
	v_lshl_add_u32 v1, v1, 23, 0x3c000000
	s_delay_alu instid0(VALU_DEP_3) | instskip(NEXT) | instid1(VALU_DEP_1)
	v_and_b32_e32 v2, 0x80000000, v2
	v_or3_b32 v3, v3, v2, v1
	v_dual_mov_b32 v1, v5 :: v_dual_mov_b32 v2, v5
	s_clause 0x1
	scratch_store_b64 off, v[0:1], s32 offset:192
	scratch_store_b64 off, v[2:3], s32 offset:812
.LBB216_2655:                           ;   in Loop: Header=BB216_2096 Depth=1
	s_wait_xcnt 0x0
	s_or_b32 exec_lo, exec_lo, s2
.LBB216_2656:                           ;   in Loop: Header=BB216_2096 Depth=1
	s_delay_alu instid0(SALU_CYCLE_1)
	s_or_b32 exec_lo, exec_lo, s1
.LBB216_2657:                           ;   in Loop: Header=BB216_2096 Depth=1
	s_delay_alu instid0(SALU_CYCLE_1) | instskip(SKIP_3) | instid1(VALU_DEP_1)
	s_or_b32 exec_lo, exec_lo, s0
	v_mov_b64_e32 v[4:5], 0
	v_lshrrev_b32_e32 v1, 16, v0
	s_mov_b32 s0, exec_lo
	v_and_b32_e32 v2, 0xff, v1
	scratch_store_b64 off, v[4:5], s32 offset:828 ; 8-byte Folded Spill
	s_wait_xcnt 0x0
	v_mov_b64_e32 v[4:5], 0
	scratch_store_b64 off, v[4:5], s32 offset:836 ; 8-byte Folded Spill
	s_wait_xcnt 0x0
	v_cmpx_ne_u16_e32 0, v2
	s_cbranch_execz .LBB216_2665
; %bb.2658:                             ;   in Loop: Header=BB216_2096 Depth=1
	v_cmp_ne_u16_e32 vcc_lo, 0x80, v2
	v_mov_b64_e32 v[2:3], 0x80000000
	scratch_store_b64 off, v[2:3], s32 offset:836 ; 8-byte Folded Spill
	s_wait_xcnt 0x0
	s_and_saveexec_b32 s1, vcc_lo
	s_cbranch_execz .LBB216_2664
; %bb.2659:                             ;   in Loop: Header=BB216_2096 Depth=1
	v_mov_b64_e32 v[4:5], 0x7f800001
	v_bfe_u32 v3, v0, 16, 7
	s_mov_b32 s2, exec_lo
	scratch_store_b64 off, v[4:5], s32 offset:836 ; 8-byte Folded Spill
	s_wait_xcnt 0x0
	v_cmpx_ne_u32_e32 0x7f, v3
	s_cbranch_execz .LBB216_2663
; %bb.2660:                             ;   in Loop: Header=BB216_2096 Depth=1
	scratch_load_b64 v[6:7], off, s32 offset:192 th:TH_LOAD_LU ; 8-byte Folded Reload
	s_wait_loadcnt 0x0
	v_dual_lshrrev_b32 v2, 3, v3 :: v_dual_bitop2_b32 v6, 7, v1 bitop3:0x40
	s_mov_b32 s3, exec_lo
	s_wait_xcnt 0x0
	v_cmpx_gt_u32_e32 8, v3
; %bb.2661:                             ;   in Loop: Header=BB216_2096 Depth=1
	s_delay_alu instid0(VALU_DEP_2) | instskip(NEXT) | instid1(VALU_DEP_1)
	v_clz_i32_u32_e32 v2, v6
	v_min_u32_e32 v2, 32, v2
	s_delay_alu instid0(VALU_DEP_1) | instskip(NEXT) | instid1(VALU_DEP_1)
	v_subrev_nc_u32_e32 v3, 28, v2
	v_lshlrev_b64_e32 v[4:5], v3, v[6:7]
	s_delay_alu instid0(VALU_DEP_1)
	v_dual_sub_nc_u32 v2, 29, v2 :: v_dual_bitop2_b32 v6, 7, v4 bitop3:0x40
; %bb.2662:                             ;   in Loop: Header=BB216_2096 Depth=1
	s_or_b32 exec_lo, exec_lo, s3
	s_delay_alu instid0(VALU_DEP_1) | instskip(NEXT) | instid1(VALU_DEP_2)
	v_dual_lshlrev_b32 v1, 24, v1 :: v_dual_lshlrev_b32 v3, 20, v6
	v_lshl_add_u32 v2, v2, 23, 0x3c000000
	s_delay_alu instid0(VALU_DEP_2) | instskip(NEXT) | instid1(VALU_DEP_1)
	v_and_b32_e32 v1, 0x80000000, v1
	v_or3_b32 v6, v3, v1, v2
	v_mov_b32_e32 v1, v7
	s_clause 0x1
	scratch_store_b64 off, v[0:1], s32 offset:192
	scratch_store_b64 off, v[6:7], s32 offset:836
.LBB216_2663:                           ;   in Loop: Header=BB216_2096 Depth=1
	s_wait_xcnt 0x0
	s_or_b32 exec_lo, exec_lo, s2
.LBB216_2664:                           ;   in Loop: Header=BB216_2096 Depth=1
	s_delay_alu instid0(SALU_CYCLE_1)
	s_or_b32 exec_lo, exec_lo, s1
.LBB216_2665:                           ;   in Loop: Header=BB216_2096 Depth=1
	s_delay_alu instid0(SALU_CYCLE_1) | instskip(NEXT) | instid1(SALU_CYCLE_1)
	s_or_b32 exec_lo, exec_lo, s0
	s_mov_b32 s0, exec_lo
	v_cmpx_lt_u32_e32 0xffffff, v0
	s_cbranch_execz .LBB216_2673
; %bb.2666:                             ;   in Loop: Header=BB216_2096 Depth=1
	v_mov_b64_e32 v[2:3], 0x8000000000000000
	v_lshrrev_b32_e32 v1, 24, v0
	s_mov_b32 s1, exec_lo
	scratch_store_b64 off, v[2:3], s32 offset:828 ; 8-byte Folded Spill
	s_wait_xcnt 0x0
	v_cmpx_ne_u32_e32 0x80, v1
	s_cbranch_execz .LBB216_2672
; %bb.2667:                             ;   in Loop: Header=BB216_2096 Depth=1
	v_mov_b64_e32 v[4:5], 0x7f80000100000000
	v_bfe_u32 v2, v0, 24, 7
	s_mov_b32 s2, exec_lo
	scratch_store_b64 off, v[4:5], s32 offset:828 ; 8-byte Folded Spill
	s_wait_xcnt 0x0
	v_cmpx_ne_u32_e32 0x7f, v2
	s_cbranch_execz .LBB216_2671
; %bb.2668:                             ;   in Loop: Header=BB216_2096 Depth=1
	scratch_load_b64 v[4:5], off, s32 offset:192 th:TH_LOAD_LU ; 8-byte Folded Reload
	s_wait_loadcnt 0x0
	v_dual_lshrrev_b32 v0, 3, v2 :: v_dual_bitop2_b32 v4, 7, v1 bitop3:0x40
	s_mov_b32 s3, exec_lo
	s_wait_xcnt 0x0
	v_cmpx_gt_u32_e32 8, v2
; %bb.2669:                             ;   in Loop: Header=BB216_2096 Depth=1
	s_delay_alu instid0(VALU_DEP_2) | instskip(NEXT) | instid1(VALU_DEP_1)
	v_clz_i32_u32_e32 v0, v4
	v_min_u32_e32 v0, 32, v0
	s_delay_alu instid0(VALU_DEP_1) | instskip(NEXT) | instid1(VALU_DEP_1)
	v_subrev_nc_u32_e32 v2, 28, v0
	v_lshlrev_b64_e32 v[2:3], v2, v[4:5]
	s_delay_alu instid0(VALU_DEP_1)
	v_dual_sub_nc_u32 v0, 29, v0 :: v_dual_bitop2_b32 v4, 7, v2 bitop3:0x40
; %bb.2670:                             ;   in Loop: Header=BB216_2096 Depth=1
	s_or_b32 exec_lo, exec_lo, s3
	s_delay_alu instid0(VALU_DEP_1) | instskip(NEXT) | instid1(VALU_DEP_2)
	v_dual_lshlrev_b32 v1, 24, v1 :: v_dual_lshlrev_b32 v2, 20, v4
	v_lshl_add_u32 v0, v0, 23, 0x3c000000
	s_delay_alu instid0(VALU_DEP_2) | instskip(NEXT) | instid1(VALU_DEP_1)
	v_and_b32_e32 v1, 0x80000000, v1
	v_or3_b32 v3, v2, v1, v0
	v_dual_mov_b32 v1, v5 :: v_dual_mov_b32 v2, v5
	s_clause 0x1
	scratch_store_b64 off, v[0:1], s32 offset:192
	scratch_store_b64 off, v[2:3], s32 offset:828
.LBB216_2671:                           ;   in Loop: Header=BB216_2096 Depth=1
	s_wait_xcnt 0x0
	s_or_b32 exec_lo, exec_lo, s2
.LBB216_2672:                           ;   in Loop: Header=BB216_2096 Depth=1
	s_delay_alu instid0(SALU_CYCLE_1)
	s_or_b32 exec_lo, exec_lo, s1
.LBB216_2673:                           ;   in Loop: Header=BB216_2096 Depth=1
	s_delay_alu instid0(SALU_CYCLE_1)
	s_or_b32 exec_lo, exec_lo, s0
	flat_load_b32 v0, v[24:25] offset:2304
	v_mov_b64_e32 v[2:3], 0
	s_mov_b32 s0, exec_lo
	scratch_store_b64 off, v[2:3], s32 offset:844 ; 8-byte Folded Spill
	s_wait_xcnt 0x0
	v_mov_b64_e32 v[2:3], 0
	scratch_store_b64 off, v[2:3], s32 offset:852 ; 8-byte Folded Spill
	s_wait_loadcnt_dscnt 0x0
	v_and_b32_e32 v1, 0xff, v0
	s_wait_xcnt 0x0
	s_delay_alu instid0(VALU_DEP_1)
	v_cmpx_ne_u16_e32 0, v1
	s_cbranch_execz .LBB216_2681
; %bb.2674:                             ;   in Loop: Header=BB216_2096 Depth=1
	v_mov_b64_e32 v[2:3], 0x80000000
	s_mov_b32 s1, exec_lo
	scratch_store_b64 off, v[2:3], s32 offset:852 ; 8-byte Folded Spill
	s_wait_xcnt 0x0
	v_cmpx_ne_u16_e32 0x80, v1
	s_cbranch_execz .LBB216_2680
; %bb.2675:                             ;   in Loop: Header=BB216_2096 Depth=1
	v_mov_b64_e32 v[4:5], 0x7f800001
	v_and_b32_e32 v2, 0x7f, v0
	s_mov_b32 s2, exec_lo
	scratch_store_b64 off, v[4:5], s32 offset:852 ; 8-byte Folded Spill
	s_wait_xcnt 0x0
	v_cmpx_ne_u32_e32 0x7f, v2
	s_cbranch_execz .LBB216_2679
; %bb.2676:                             ;   in Loop: Header=BB216_2096 Depth=1
	scratch_load_b64 v[4:5], off, s32 offset:192 th:TH_LOAD_LU ; 8-byte Folded Reload
	s_wait_loadcnt 0x0
	v_dual_lshrrev_b32 v1, 3, v2 :: v_dual_bitop2_b32 v4, 7, v0 bitop3:0x40
	s_mov_b32 s3, exec_lo
	s_wait_xcnt 0x0
	v_cmpx_gt_u32_e32 8, v2
; %bb.2677:                             ;   in Loop: Header=BB216_2096 Depth=1
	s_delay_alu instid0(VALU_DEP_2) | instskip(NEXT) | instid1(VALU_DEP_1)
	v_clz_i32_u32_e32 v1, v4
	v_min_u32_e32 v1, 32, v1
	s_delay_alu instid0(VALU_DEP_1) | instskip(NEXT) | instid1(VALU_DEP_1)
	v_subrev_nc_u32_e32 v2, 28, v1
	v_lshlrev_b64_e32 v[2:3], v2, v[4:5]
	s_delay_alu instid0(VALU_DEP_1)
	v_dual_sub_nc_u32 v1, 29, v1 :: v_dual_bitop2_b32 v4, 7, v2 bitop3:0x40
; %bb.2678:                             ;   in Loop: Header=BB216_2096 Depth=1
	s_or_b32 exec_lo, exec_lo, s3
	v_lshlrev_b32_e32 v2, 24, v0
	s_delay_alu instid0(VALU_DEP_2) | instskip(NEXT) | instid1(VALU_DEP_3)
	v_lshlrev_b32_e32 v3, 20, v4
	v_lshl_add_u32 v1, v1, 23, 0x3c000000
	s_delay_alu instid0(VALU_DEP_3) | instskip(NEXT) | instid1(VALU_DEP_1)
	v_and_b32_e32 v2, 0x80000000, v2
	v_or3_b32 v4, v3, v2, v1
	v_mov_b32_e32 v1, v5
	s_clause 0x1
	scratch_store_b64 off, v[0:1], s32 offset:192
	scratch_store_b64 off, v[4:5], s32 offset:852
.LBB216_2679:                           ;   in Loop: Header=BB216_2096 Depth=1
	s_wait_xcnt 0x0
	s_or_b32 exec_lo, exec_lo, s2
.LBB216_2680:                           ;   in Loop: Header=BB216_2096 Depth=1
	s_delay_alu instid0(SALU_CYCLE_1)
	s_or_b32 exec_lo, exec_lo, s1
.LBB216_2681:                           ;   in Loop: Header=BB216_2096 Depth=1
	s_delay_alu instid0(SALU_CYCLE_1) | instskip(SKIP_2) | instid1(VALU_DEP_1)
	s_or_b32 exec_lo, exec_lo, s0
	v_lshrrev_b16 v1, 8, v0
	s_mov_b32 s0, exec_lo
	v_cmpx_ne_u16_e32 0, v1
	s_cbranch_execz .LBB216_2689
; %bb.2682:                             ;   in Loop: Header=BB216_2096 Depth=1
	v_mov_b64_e32 v[2:3], 0x8000000000000000
	s_mov_b32 s1, exec_lo
	scratch_store_b64 off, v[2:3], s32 offset:844 ; 8-byte Folded Spill
	s_wait_xcnt 0x0
	v_cmpx_ne_u16_e32 0x80, v1
	s_cbranch_execz .LBB216_2688
; %bb.2683:                             ;   in Loop: Header=BB216_2096 Depth=1
	v_and_b32_e32 v1, 0xffff, v1
	v_mov_b64_e32 v[4:5], 0x7f80000100000000
	s_mov_b32 s2, exec_lo
	s_delay_alu instid0(VALU_DEP_2)
	v_and_b32_e32 v2, 0x7f, v1
	scratch_store_b64 off, v[4:5], s32 offset:844 ; 8-byte Folded Spill
	s_wait_xcnt 0x0
	v_cmpx_ne_u32_e32 0x7f, v2
	s_cbranch_execz .LBB216_2687
; %bb.2684:                             ;   in Loop: Header=BB216_2096 Depth=1
	scratch_load_b64 v[4:5], off, s32 offset:192 th:TH_LOAD_LU ; 8-byte Folded Reload
	s_wait_loadcnt 0x0
	v_dual_lshrrev_b32 v1, 3, v2 :: v_dual_bitop2_b32 v4, 7, v1 bitop3:0x40
	s_mov_b32 s3, exec_lo
	s_wait_xcnt 0x0
	v_cmpx_gt_u32_e32 8, v2
; %bb.2685:                             ;   in Loop: Header=BB216_2096 Depth=1
	s_delay_alu instid0(VALU_DEP_2) | instskip(NEXT) | instid1(VALU_DEP_1)
	v_clz_i32_u32_e32 v1, v4
	v_min_u32_e32 v1, 32, v1
	s_delay_alu instid0(VALU_DEP_1) | instskip(NEXT) | instid1(VALU_DEP_1)
	v_subrev_nc_u32_e32 v2, 28, v1
	v_lshlrev_b64_e32 v[2:3], v2, v[4:5]
	s_delay_alu instid0(VALU_DEP_1)
	v_dual_sub_nc_u32 v1, 29, v1 :: v_dual_bitop2_b32 v4, 7, v2 bitop3:0x40
; %bb.2686:                             ;   in Loop: Header=BB216_2096 Depth=1
	s_or_b32 exec_lo, exec_lo, s3
	v_lshlrev_b32_e32 v2, 16, v0
	s_delay_alu instid0(VALU_DEP_2) | instskip(NEXT) | instid1(VALU_DEP_3)
	v_lshlrev_b32_e32 v3, 20, v4
	v_lshl_add_u32 v1, v1, 23, 0x3c000000
	s_delay_alu instid0(VALU_DEP_3) | instskip(NEXT) | instid1(VALU_DEP_1)
	v_and_b32_e32 v2, 0x80000000, v2
	v_or3_b32 v3, v3, v2, v1
	v_dual_mov_b32 v1, v5 :: v_dual_mov_b32 v2, v5
	s_clause 0x1
	scratch_store_b64 off, v[0:1], s32 offset:192
	scratch_store_b64 off, v[2:3], s32 offset:844
.LBB216_2687:                           ;   in Loop: Header=BB216_2096 Depth=1
	s_wait_xcnt 0x0
	s_or_b32 exec_lo, exec_lo, s2
.LBB216_2688:                           ;   in Loop: Header=BB216_2096 Depth=1
	s_delay_alu instid0(SALU_CYCLE_1)
	s_or_b32 exec_lo, exec_lo, s1
.LBB216_2689:                           ;   in Loop: Header=BB216_2096 Depth=1
	s_delay_alu instid0(SALU_CYCLE_1) | instskip(SKIP_3) | instid1(VALU_DEP_1)
	s_or_b32 exec_lo, exec_lo, s0
	v_mov_b64_e32 v[4:5], 0
	v_lshrrev_b32_e32 v1, 16, v0
	s_mov_b32 s0, exec_lo
	v_and_b32_e32 v2, 0xff, v1
	scratch_store_b64 off, v[4:5], s32 offset:860 ; 8-byte Folded Spill
	s_wait_xcnt 0x0
	v_mov_b64_e32 v[4:5], 0
	scratch_store_b64 off, v[4:5], s32 offset:868 ; 8-byte Folded Spill
	s_wait_xcnt 0x0
	v_cmpx_ne_u16_e32 0, v2
	s_cbranch_execz .LBB216_2697
; %bb.2690:                             ;   in Loop: Header=BB216_2096 Depth=1
	v_cmp_ne_u16_e32 vcc_lo, 0x80, v2
	v_mov_b64_e32 v[2:3], 0x80000000
	scratch_store_b64 off, v[2:3], s32 offset:868 ; 8-byte Folded Spill
	s_wait_xcnt 0x0
	s_and_saveexec_b32 s1, vcc_lo
	s_cbranch_execz .LBB216_2696
; %bb.2691:                             ;   in Loop: Header=BB216_2096 Depth=1
	v_mov_b64_e32 v[4:5], 0x7f800001
	v_bfe_u32 v3, v0, 16, 7
	s_mov_b32 s2, exec_lo
	scratch_store_b64 off, v[4:5], s32 offset:868 ; 8-byte Folded Spill
	s_wait_xcnt 0x0
	v_cmpx_ne_u32_e32 0x7f, v3
	s_cbranch_execz .LBB216_2695
; %bb.2692:                             ;   in Loop: Header=BB216_2096 Depth=1
	scratch_load_b64 v[6:7], off, s32 offset:192 th:TH_LOAD_LU ; 8-byte Folded Reload
	s_wait_loadcnt 0x0
	v_dual_lshrrev_b32 v2, 3, v3 :: v_dual_bitop2_b32 v6, 7, v1 bitop3:0x40
	s_mov_b32 s3, exec_lo
	s_wait_xcnt 0x0
	v_cmpx_gt_u32_e32 8, v3
; %bb.2693:                             ;   in Loop: Header=BB216_2096 Depth=1
	s_delay_alu instid0(VALU_DEP_2) | instskip(NEXT) | instid1(VALU_DEP_1)
	v_clz_i32_u32_e32 v2, v6
	v_min_u32_e32 v2, 32, v2
	s_delay_alu instid0(VALU_DEP_1) | instskip(NEXT) | instid1(VALU_DEP_1)
	v_subrev_nc_u32_e32 v3, 28, v2
	v_lshlrev_b64_e32 v[4:5], v3, v[6:7]
	s_delay_alu instid0(VALU_DEP_1)
	v_dual_sub_nc_u32 v2, 29, v2 :: v_dual_bitop2_b32 v6, 7, v4 bitop3:0x40
; %bb.2694:                             ;   in Loop: Header=BB216_2096 Depth=1
	s_or_b32 exec_lo, exec_lo, s3
	s_delay_alu instid0(VALU_DEP_1) | instskip(NEXT) | instid1(VALU_DEP_2)
	v_dual_lshlrev_b32 v1, 24, v1 :: v_dual_lshlrev_b32 v3, 20, v6
	v_lshl_add_u32 v2, v2, 23, 0x3c000000
	s_delay_alu instid0(VALU_DEP_2) | instskip(NEXT) | instid1(VALU_DEP_1)
	v_and_b32_e32 v1, 0x80000000, v1
	v_or3_b32 v6, v3, v1, v2
	v_mov_b32_e32 v1, v7
	s_clause 0x1
	scratch_store_b64 off, v[0:1], s32 offset:192
	scratch_store_b64 off, v[6:7], s32 offset:868
.LBB216_2695:                           ;   in Loop: Header=BB216_2096 Depth=1
	s_wait_xcnt 0x0
	s_or_b32 exec_lo, exec_lo, s2
.LBB216_2696:                           ;   in Loop: Header=BB216_2096 Depth=1
	s_delay_alu instid0(SALU_CYCLE_1)
	s_or_b32 exec_lo, exec_lo, s1
.LBB216_2697:                           ;   in Loop: Header=BB216_2096 Depth=1
	s_delay_alu instid0(SALU_CYCLE_1) | instskip(NEXT) | instid1(SALU_CYCLE_1)
	s_or_b32 exec_lo, exec_lo, s0
	s_mov_b32 s0, exec_lo
	v_cmpx_lt_u32_e32 0xffffff, v0
	s_cbranch_execz .LBB216_2705
; %bb.2698:                             ;   in Loop: Header=BB216_2096 Depth=1
	v_mov_b64_e32 v[2:3], 0x8000000000000000
	v_lshrrev_b32_e32 v1, 24, v0
	s_mov_b32 s1, exec_lo
	scratch_store_b64 off, v[2:3], s32 offset:860 ; 8-byte Folded Spill
	s_wait_xcnt 0x0
	v_cmpx_ne_u32_e32 0x80, v1
	s_cbranch_execz .LBB216_2704
; %bb.2699:                             ;   in Loop: Header=BB216_2096 Depth=1
	v_mov_b64_e32 v[4:5], 0x7f80000100000000
	v_bfe_u32 v2, v0, 24, 7
	s_mov_b32 s2, exec_lo
	scratch_store_b64 off, v[4:5], s32 offset:860 ; 8-byte Folded Spill
	s_wait_xcnt 0x0
	v_cmpx_ne_u32_e32 0x7f, v2
	s_cbranch_execz .LBB216_2703
; %bb.2700:                             ;   in Loop: Header=BB216_2096 Depth=1
	scratch_load_b64 v[4:5], off, s32 offset:192 th:TH_LOAD_LU ; 8-byte Folded Reload
	s_wait_loadcnt 0x0
	v_dual_lshrrev_b32 v0, 3, v2 :: v_dual_bitop2_b32 v4, 7, v1 bitop3:0x40
	s_mov_b32 s3, exec_lo
	s_wait_xcnt 0x0
	v_cmpx_gt_u32_e32 8, v2
; %bb.2701:                             ;   in Loop: Header=BB216_2096 Depth=1
	s_delay_alu instid0(VALU_DEP_2) | instskip(NEXT) | instid1(VALU_DEP_1)
	v_clz_i32_u32_e32 v0, v4
	v_min_u32_e32 v0, 32, v0
	s_delay_alu instid0(VALU_DEP_1) | instskip(NEXT) | instid1(VALU_DEP_1)
	v_subrev_nc_u32_e32 v2, 28, v0
	v_lshlrev_b64_e32 v[2:3], v2, v[4:5]
	s_delay_alu instid0(VALU_DEP_1)
	v_dual_sub_nc_u32 v0, 29, v0 :: v_dual_bitop2_b32 v4, 7, v2 bitop3:0x40
; %bb.2702:                             ;   in Loop: Header=BB216_2096 Depth=1
	s_or_b32 exec_lo, exec_lo, s3
	s_delay_alu instid0(VALU_DEP_1) | instskip(NEXT) | instid1(VALU_DEP_2)
	v_dual_lshlrev_b32 v1, 24, v1 :: v_dual_lshlrev_b32 v2, 20, v4
	v_lshl_add_u32 v0, v0, 23, 0x3c000000
	s_delay_alu instid0(VALU_DEP_2) | instskip(NEXT) | instid1(VALU_DEP_1)
	v_and_b32_e32 v1, 0x80000000, v1
	v_or3_b32 v3, v2, v1, v0
	v_dual_mov_b32 v1, v5 :: v_dual_mov_b32 v2, v5
	s_clause 0x1
	scratch_store_b64 off, v[0:1], s32 offset:192
	scratch_store_b64 off, v[2:3], s32 offset:860
.LBB216_2703:                           ;   in Loop: Header=BB216_2096 Depth=1
	s_wait_xcnt 0x0
	s_or_b32 exec_lo, exec_lo, s2
.LBB216_2704:                           ;   in Loop: Header=BB216_2096 Depth=1
	s_delay_alu instid0(SALU_CYCLE_1)
	s_or_b32 exec_lo, exec_lo, s1
.LBB216_2705:                           ;   in Loop: Header=BB216_2096 Depth=1
	s_delay_alu instid0(SALU_CYCLE_1)
	s_or_b32 exec_lo, exec_lo, s0
	flat_load_b32 v0, v[24:25] offset:2432
	v_mov_b64_e32 v[2:3], 0
	s_mov_b32 s0, exec_lo
	scratch_store_b64 off, v[2:3], s32 offset:876 ; 8-byte Folded Spill
	s_wait_xcnt 0x0
	v_mov_b64_e32 v[2:3], 0
	scratch_store_b64 off, v[2:3], s32 offset:884 ; 8-byte Folded Spill
	s_wait_loadcnt_dscnt 0x0
	v_and_b32_e32 v1, 0xff, v0
	s_wait_xcnt 0x0
	s_delay_alu instid0(VALU_DEP_1)
	v_cmpx_ne_u16_e32 0, v1
	s_cbranch_execz .LBB216_2713
; %bb.2706:                             ;   in Loop: Header=BB216_2096 Depth=1
	v_mov_b64_e32 v[2:3], 0x80000000
	s_mov_b32 s1, exec_lo
	scratch_store_b64 off, v[2:3], s32 offset:884 ; 8-byte Folded Spill
	s_wait_xcnt 0x0
	v_cmpx_ne_u16_e32 0x80, v1
	s_cbranch_execz .LBB216_2712
; %bb.2707:                             ;   in Loop: Header=BB216_2096 Depth=1
	v_mov_b64_e32 v[4:5], 0x7f800001
	v_and_b32_e32 v2, 0x7f, v0
	s_mov_b32 s2, exec_lo
	scratch_store_b64 off, v[4:5], s32 offset:884 ; 8-byte Folded Spill
	s_wait_xcnt 0x0
	v_cmpx_ne_u32_e32 0x7f, v2
	s_cbranch_execz .LBB216_2711
; %bb.2708:                             ;   in Loop: Header=BB216_2096 Depth=1
	scratch_load_b64 v[4:5], off, s32 offset:192 th:TH_LOAD_LU ; 8-byte Folded Reload
	s_wait_loadcnt 0x0
	v_dual_lshrrev_b32 v1, 3, v2 :: v_dual_bitop2_b32 v4, 7, v0 bitop3:0x40
	s_mov_b32 s3, exec_lo
	s_wait_xcnt 0x0
	v_cmpx_gt_u32_e32 8, v2
; %bb.2709:                             ;   in Loop: Header=BB216_2096 Depth=1
	s_delay_alu instid0(VALU_DEP_2) | instskip(NEXT) | instid1(VALU_DEP_1)
	v_clz_i32_u32_e32 v1, v4
	v_min_u32_e32 v1, 32, v1
	s_delay_alu instid0(VALU_DEP_1) | instskip(NEXT) | instid1(VALU_DEP_1)
	v_subrev_nc_u32_e32 v2, 28, v1
	v_lshlrev_b64_e32 v[2:3], v2, v[4:5]
	s_delay_alu instid0(VALU_DEP_1)
	v_dual_sub_nc_u32 v1, 29, v1 :: v_dual_bitop2_b32 v4, 7, v2 bitop3:0x40
; %bb.2710:                             ;   in Loop: Header=BB216_2096 Depth=1
	s_or_b32 exec_lo, exec_lo, s3
	v_lshlrev_b32_e32 v2, 24, v0
	s_delay_alu instid0(VALU_DEP_2) | instskip(NEXT) | instid1(VALU_DEP_3)
	v_lshlrev_b32_e32 v3, 20, v4
	v_lshl_add_u32 v1, v1, 23, 0x3c000000
	s_delay_alu instid0(VALU_DEP_3) | instskip(NEXT) | instid1(VALU_DEP_1)
	v_and_b32_e32 v2, 0x80000000, v2
	v_or3_b32 v4, v3, v2, v1
	v_mov_b32_e32 v1, v5
	s_clause 0x1
	scratch_store_b64 off, v[0:1], s32 offset:192
	scratch_store_b64 off, v[4:5], s32 offset:884
.LBB216_2711:                           ;   in Loop: Header=BB216_2096 Depth=1
	s_wait_xcnt 0x0
	s_or_b32 exec_lo, exec_lo, s2
.LBB216_2712:                           ;   in Loop: Header=BB216_2096 Depth=1
	s_delay_alu instid0(SALU_CYCLE_1)
	s_or_b32 exec_lo, exec_lo, s1
.LBB216_2713:                           ;   in Loop: Header=BB216_2096 Depth=1
	s_delay_alu instid0(SALU_CYCLE_1) | instskip(SKIP_2) | instid1(VALU_DEP_1)
	s_or_b32 exec_lo, exec_lo, s0
	v_lshrrev_b16 v1, 8, v0
	s_mov_b32 s0, exec_lo
	v_cmpx_ne_u16_e32 0, v1
	s_cbranch_execz .LBB216_2721
; %bb.2714:                             ;   in Loop: Header=BB216_2096 Depth=1
	v_mov_b64_e32 v[2:3], 0x8000000000000000
	s_mov_b32 s1, exec_lo
	scratch_store_b64 off, v[2:3], s32 offset:876 ; 8-byte Folded Spill
	s_wait_xcnt 0x0
	v_cmpx_ne_u16_e32 0x80, v1
	s_cbranch_execz .LBB216_2720
; %bb.2715:                             ;   in Loop: Header=BB216_2096 Depth=1
	v_and_b32_e32 v1, 0xffff, v1
	v_mov_b64_e32 v[4:5], 0x7f80000100000000
	s_mov_b32 s2, exec_lo
	s_delay_alu instid0(VALU_DEP_2)
	v_and_b32_e32 v2, 0x7f, v1
	scratch_store_b64 off, v[4:5], s32 offset:876 ; 8-byte Folded Spill
	s_wait_xcnt 0x0
	v_cmpx_ne_u32_e32 0x7f, v2
	s_cbranch_execz .LBB216_2719
; %bb.2716:                             ;   in Loop: Header=BB216_2096 Depth=1
	scratch_load_b64 v[4:5], off, s32 offset:192 th:TH_LOAD_LU ; 8-byte Folded Reload
	s_wait_loadcnt 0x0
	v_dual_lshrrev_b32 v1, 3, v2 :: v_dual_bitop2_b32 v4, 7, v1 bitop3:0x40
	s_mov_b32 s3, exec_lo
	s_wait_xcnt 0x0
	v_cmpx_gt_u32_e32 8, v2
; %bb.2717:                             ;   in Loop: Header=BB216_2096 Depth=1
	s_delay_alu instid0(VALU_DEP_2) | instskip(NEXT) | instid1(VALU_DEP_1)
	v_clz_i32_u32_e32 v1, v4
	v_min_u32_e32 v1, 32, v1
	s_delay_alu instid0(VALU_DEP_1) | instskip(NEXT) | instid1(VALU_DEP_1)
	v_subrev_nc_u32_e32 v2, 28, v1
	v_lshlrev_b64_e32 v[2:3], v2, v[4:5]
	s_delay_alu instid0(VALU_DEP_1)
	v_dual_sub_nc_u32 v1, 29, v1 :: v_dual_bitop2_b32 v4, 7, v2 bitop3:0x40
; %bb.2718:                             ;   in Loop: Header=BB216_2096 Depth=1
	s_or_b32 exec_lo, exec_lo, s3
	v_lshlrev_b32_e32 v2, 16, v0
	s_delay_alu instid0(VALU_DEP_2) | instskip(NEXT) | instid1(VALU_DEP_3)
	v_lshlrev_b32_e32 v3, 20, v4
	v_lshl_add_u32 v1, v1, 23, 0x3c000000
	s_delay_alu instid0(VALU_DEP_3) | instskip(NEXT) | instid1(VALU_DEP_1)
	v_and_b32_e32 v2, 0x80000000, v2
	v_or3_b32 v3, v3, v2, v1
	v_dual_mov_b32 v1, v5 :: v_dual_mov_b32 v2, v5
	s_clause 0x1
	scratch_store_b64 off, v[0:1], s32 offset:192
	scratch_store_b64 off, v[2:3], s32 offset:876
.LBB216_2719:                           ;   in Loop: Header=BB216_2096 Depth=1
	s_wait_xcnt 0x0
	s_or_b32 exec_lo, exec_lo, s2
.LBB216_2720:                           ;   in Loop: Header=BB216_2096 Depth=1
	s_delay_alu instid0(SALU_CYCLE_1)
	s_or_b32 exec_lo, exec_lo, s1
.LBB216_2721:                           ;   in Loop: Header=BB216_2096 Depth=1
	s_delay_alu instid0(SALU_CYCLE_1) | instskip(SKIP_3) | instid1(VALU_DEP_1)
	s_or_b32 exec_lo, exec_lo, s0
	v_mov_b64_e32 v[4:5], 0
	v_lshrrev_b32_e32 v1, 16, v0
	s_mov_b32 s0, exec_lo
	v_and_b32_e32 v2, 0xff, v1
	scratch_store_b64 off, v[4:5], s32 offset:892 ; 8-byte Folded Spill
	s_wait_xcnt 0x0
	v_mov_b64_e32 v[4:5], 0
	scratch_store_b64 off, v[4:5], s32 offset:900 ; 8-byte Folded Spill
	s_wait_xcnt 0x0
	v_cmpx_ne_u16_e32 0, v2
	s_cbranch_execz .LBB216_2729
; %bb.2722:                             ;   in Loop: Header=BB216_2096 Depth=1
	v_cmp_ne_u16_e32 vcc_lo, 0x80, v2
	v_mov_b64_e32 v[2:3], 0x80000000
	scratch_store_b64 off, v[2:3], s32 offset:900 ; 8-byte Folded Spill
	s_wait_xcnt 0x0
	s_and_saveexec_b32 s1, vcc_lo
	s_cbranch_execz .LBB216_2728
; %bb.2723:                             ;   in Loop: Header=BB216_2096 Depth=1
	v_mov_b64_e32 v[4:5], 0x7f800001
	v_bfe_u32 v3, v0, 16, 7
	s_mov_b32 s2, exec_lo
	scratch_store_b64 off, v[4:5], s32 offset:900 ; 8-byte Folded Spill
	s_wait_xcnt 0x0
	v_cmpx_ne_u32_e32 0x7f, v3
	s_cbranch_execz .LBB216_2727
; %bb.2724:                             ;   in Loop: Header=BB216_2096 Depth=1
	scratch_load_b64 v[6:7], off, s32 offset:192 th:TH_LOAD_LU ; 8-byte Folded Reload
	s_wait_loadcnt 0x0
	v_dual_lshrrev_b32 v2, 3, v3 :: v_dual_bitop2_b32 v6, 7, v1 bitop3:0x40
	s_mov_b32 s3, exec_lo
	s_wait_xcnt 0x0
	v_cmpx_gt_u32_e32 8, v3
; %bb.2725:                             ;   in Loop: Header=BB216_2096 Depth=1
	s_delay_alu instid0(VALU_DEP_2) | instskip(NEXT) | instid1(VALU_DEP_1)
	v_clz_i32_u32_e32 v2, v6
	v_min_u32_e32 v2, 32, v2
	s_delay_alu instid0(VALU_DEP_1) | instskip(NEXT) | instid1(VALU_DEP_1)
	v_subrev_nc_u32_e32 v3, 28, v2
	v_lshlrev_b64_e32 v[4:5], v3, v[6:7]
	s_delay_alu instid0(VALU_DEP_1)
	v_dual_sub_nc_u32 v2, 29, v2 :: v_dual_bitop2_b32 v6, 7, v4 bitop3:0x40
; %bb.2726:                             ;   in Loop: Header=BB216_2096 Depth=1
	s_or_b32 exec_lo, exec_lo, s3
	s_delay_alu instid0(VALU_DEP_1) | instskip(NEXT) | instid1(VALU_DEP_2)
	v_dual_lshlrev_b32 v1, 24, v1 :: v_dual_lshlrev_b32 v3, 20, v6
	v_lshl_add_u32 v2, v2, 23, 0x3c000000
	s_delay_alu instid0(VALU_DEP_2) | instskip(NEXT) | instid1(VALU_DEP_1)
	v_and_b32_e32 v1, 0x80000000, v1
	v_or3_b32 v6, v3, v1, v2
	v_mov_b32_e32 v1, v7
	s_clause 0x1
	scratch_store_b64 off, v[0:1], s32 offset:192
	scratch_store_b64 off, v[6:7], s32 offset:900
.LBB216_2727:                           ;   in Loop: Header=BB216_2096 Depth=1
	s_wait_xcnt 0x0
	s_or_b32 exec_lo, exec_lo, s2
.LBB216_2728:                           ;   in Loop: Header=BB216_2096 Depth=1
	s_delay_alu instid0(SALU_CYCLE_1)
	s_or_b32 exec_lo, exec_lo, s1
.LBB216_2729:                           ;   in Loop: Header=BB216_2096 Depth=1
	s_delay_alu instid0(SALU_CYCLE_1) | instskip(NEXT) | instid1(SALU_CYCLE_1)
	s_or_b32 exec_lo, exec_lo, s0
	s_mov_b32 s0, exec_lo
	v_cmpx_lt_u32_e32 0xffffff, v0
	s_cbranch_execz .LBB216_2737
; %bb.2730:                             ;   in Loop: Header=BB216_2096 Depth=1
	v_mov_b64_e32 v[2:3], 0x8000000000000000
	v_lshrrev_b32_e32 v1, 24, v0
	s_mov_b32 s1, exec_lo
	scratch_store_b64 off, v[2:3], s32 offset:892 ; 8-byte Folded Spill
	s_wait_xcnt 0x0
	v_cmpx_ne_u32_e32 0x80, v1
	s_cbranch_execz .LBB216_2736
; %bb.2731:                             ;   in Loop: Header=BB216_2096 Depth=1
	v_mov_b64_e32 v[4:5], 0x7f80000100000000
	v_bfe_u32 v2, v0, 24, 7
	s_mov_b32 s2, exec_lo
	scratch_store_b64 off, v[4:5], s32 offset:892 ; 8-byte Folded Spill
	s_wait_xcnt 0x0
	v_cmpx_ne_u32_e32 0x7f, v2
	s_cbranch_execz .LBB216_2735
; %bb.2732:                             ;   in Loop: Header=BB216_2096 Depth=1
	scratch_load_b64 v[4:5], off, s32 offset:192 th:TH_LOAD_LU ; 8-byte Folded Reload
	s_wait_loadcnt 0x0
	v_dual_lshrrev_b32 v0, 3, v2 :: v_dual_bitop2_b32 v4, 7, v1 bitop3:0x40
	s_mov_b32 s3, exec_lo
	s_wait_xcnt 0x0
	v_cmpx_gt_u32_e32 8, v2
; %bb.2733:                             ;   in Loop: Header=BB216_2096 Depth=1
	s_delay_alu instid0(VALU_DEP_2) | instskip(NEXT) | instid1(VALU_DEP_1)
	v_clz_i32_u32_e32 v0, v4
	v_min_u32_e32 v0, 32, v0
	s_delay_alu instid0(VALU_DEP_1) | instskip(NEXT) | instid1(VALU_DEP_1)
	v_subrev_nc_u32_e32 v2, 28, v0
	v_lshlrev_b64_e32 v[2:3], v2, v[4:5]
	s_delay_alu instid0(VALU_DEP_1)
	v_dual_sub_nc_u32 v0, 29, v0 :: v_dual_bitop2_b32 v4, 7, v2 bitop3:0x40
; %bb.2734:                             ;   in Loop: Header=BB216_2096 Depth=1
	s_or_b32 exec_lo, exec_lo, s3
	s_delay_alu instid0(VALU_DEP_1) | instskip(NEXT) | instid1(VALU_DEP_2)
	v_dual_lshlrev_b32 v1, 24, v1 :: v_dual_lshlrev_b32 v2, 20, v4
	v_lshl_add_u32 v0, v0, 23, 0x3c000000
	s_delay_alu instid0(VALU_DEP_2) | instskip(NEXT) | instid1(VALU_DEP_1)
	v_and_b32_e32 v1, 0x80000000, v1
	v_or3_b32 v3, v2, v1, v0
	v_dual_mov_b32 v1, v5 :: v_dual_mov_b32 v2, v5
	s_clause 0x1
	scratch_store_b64 off, v[0:1], s32 offset:192
	scratch_store_b64 off, v[2:3], s32 offset:892
.LBB216_2735:                           ;   in Loop: Header=BB216_2096 Depth=1
	s_wait_xcnt 0x0
	s_or_b32 exec_lo, exec_lo, s2
.LBB216_2736:                           ;   in Loop: Header=BB216_2096 Depth=1
	s_delay_alu instid0(SALU_CYCLE_1)
	s_or_b32 exec_lo, exec_lo, s1
.LBB216_2737:                           ;   in Loop: Header=BB216_2096 Depth=1
	s_delay_alu instid0(SALU_CYCLE_1)
	s_or_b32 exec_lo, exec_lo, s0
	flat_load_b32 v0, v[24:25] offset:2560
	v_mov_b64_e32 v[2:3], 0
	s_mov_b32 s0, exec_lo
	scratch_store_b64 off, v[2:3], s32 offset:908 ; 8-byte Folded Spill
	s_wait_xcnt 0x0
	v_mov_b64_e32 v[2:3], 0
	scratch_store_b64 off, v[2:3], s32 offset:916 ; 8-byte Folded Spill
	s_wait_loadcnt_dscnt 0x0
	v_and_b32_e32 v1, 0xff, v0
	s_wait_xcnt 0x0
	s_delay_alu instid0(VALU_DEP_1)
	v_cmpx_ne_u16_e32 0, v1
	s_cbranch_execz .LBB216_2745
; %bb.2738:                             ;   in Loop: Header=BB216_2096 Depth=1
	v_mov_b64_e32 v[2:3], 0x80000000
	s_mov_b32 s1, exec_lo
	scratch_store_b64 off, v[2:3], s32 offset:916 ; 8-byte Folded Spill
	s_wait_xcnt 0x0
	v_cmpx_ne_u16_e32 0x80, v1
	s_cbranch_execz .LBB216_2744
; %bb.2739:                             ;   in Loop: Header=BB216_2096 Depth=1
	v_mov_b64_e32 v[4:5], 0x7f800001
	v_and_b32_e32 v2, 0x7f, v0
	s_mov_b32 s2, exec_lo
	scratch_store_b64 off, v[4:5], s32 offset:916 ; 8-byte Folded Spill
	s_wait_xcnt 0x0
	v_cmpx_ne_u32_e32 0x7f, v2
	s_cbranch_execz .LBB216_2743
; %bb.2740:                             ;   in Loop: Header=BB216_2096 Depth=1
	scratch_load_b64 v[4:5], off, s32 offset:192 th:TH_LOAD_LU ; 8-byte Folded Reload
	s_wait_loadcnt 0x0
	v_dual_lshrrev_b32 v1, 3, v2 :: v_dual_bitop2_b32 v4, 7, v0 bitop3:0x40
	s_mov_b32 s3, exec_lo
	s_wait_xcnt 0x0
	v_cmpx_gt_u32_e32 8, v2
; %bb.2741:                             ;   in Loop: Header=BB216_2096 Depth=1
	s_delay_alu instid0(VALU_DEP_2) | instskip(NEXT) | instid1(VALU_DEP_1)
	v_clz_i32_u32_e32 v1, v4
	v_min_u32_e32 v1, 32, v1
	s_delay_alu instid0(VALU_DEP_1) | instskip(NEXT) | instid1(VALU_DEP_1)
	v_subrev_nc_u32_e32 v2, 28, v1
	v_lshlrev_b64_e32 v[2:3], v2, v[4:5]
	s_delay_alu instid0(VALU_DEP_1)
	v_dual_sub_nc_u32 v1, 29, v1 :: v_dual_bitop2_b32 v4, 7, v2 bitop3:0x40
; %bb.2742:                             ;   in Loop: Header=BB216_2096 Depth=1
	s_or_b32 exec_lo, exec_lo, s3
	v_lshlrev_b32_e32 v2, 24, v0
	s_delay_alu instid0(VALU_DEP_2) | instskip(NEXT) | instid1(VALU_DEP_3)
	v_lshlrev_b32_e32 v3, 20, v4
	v_lshl_add_u32 v1, v1, 23, 0x3c000000
	s_delay_alu instid0(VALU_DEP_3) | instskip(NEXT) | instid1(VALU_DEP_1)
	v_and_b32_e32 v2, 0x80000000, v2
	v_or3_b32 v4, v3, v2, v1
	v_mov_b32_e32 v1, v5
	s_clause 0x1
	scratch_store_b64 off, v[0:1], s32 offset:192
	scratch_store_b64 off, v[4:5], s32 offset:916
.LBB216_2743:                           ;   in Loop: Header=BB216_2096 Depth=1
	s_wait_xcnt 0x0
	s_or_b32 exec_lo, exec_lo, s2
.LBB216_2744:                           ;   in Loop: Header=BB216_2096 Depth=1
	s_delay_alu instid0(SALU_CYCLE_1)
	s_or_b32 exec_lo, exec_lo, s1
.LBB216_2745:                           ;   in Loop: Header=BB216_2096 Depth=1
	s_delay_alu instid0(SALU_CYCLE_1) | instskip(SKIP_2) | instid1(VALU_DEP_1)
	s_or_b32 exec_lo, exec_lo, s0
	v_lshrrev_b16 v1, 8, v0
	s_mov_b32 s0, exec_lo
	v_cmpx_ne_u16_e32 0, v1
	s_cbranch_execz .LBB216_2753
; %bb.2746:                             ;   in Loop: Header=BB216_2096 Depth=1
	v_mov_b64_e32 v[2:3], 0x8000000000000000
	s_mov_b32 s1, exec_lo
	scratch_store_b64 off, v[2:3], s32 offset:908 ; 8-byte Folded Spill
	s_wait_xcnt 0x0
	v_cmpx_ne_u16_e32 0x80, v1
	s_cbranch_execz .LBB216_2752
; %bb.2747:                             ;   in Loop: Header=BB216_2096 Depth=1
	v_and_b32_e32 v1, 0xffff, v1
	v_mov_b64_e32 v[4:5], 0x7f80000100000000
	s_mov_b32 s2, exec_lo
	s_delay_alu instid0(VALU_DEP_2)
	v_and_b32_e32 v2, 0x7f, v1
	scratch_store_b64 off, v[4:5], s32 offset:908 ; 8-byte Folded Spill
	s_wait_xcnt 0x0
	v_cmpx_ne_u32_e32 0x7f, v2
	s_cbranch_execz .LBB216_2751
; %bb.2748:                             ;   in Loop: Header=BB216_2096 Depth=1
	scratch_load_b64 v[4:5], off, s32 offset:192 th:TH_LOAD_LU ; 8-byte Folded Reload
	s_wait_loadcnt 0x0
	v_dual_lshrrev_b32 v1, 3, v2 :: v_dual_bitop2_b32 v4, 7, v1 bitop3:0x40
	s_mov_b32 s3, exec_lo
	s_wait_xcnt 0x0
	v_cmpx_gt_u32_e32 8, v2
; %bb.2749:                             ;   in Loop: Header=BB216_2096 Depth=1
	s_delay_alu instid0(VALU_DEP_2) | instskip(NEXT) | instid1(VALU_DEP_1)
	v_clz_i32_u32_e32 v1, v4
	v_min_u32_e32 v1, 32, v1
	s_delay_alu instid0(VALU_DEP_1) | instskip(NEXT) | instid1(VALU_DEP_1)
	v_subrev_nc_u32_e32 v2, 28, v1
	v_lshlrev_b64_e32 v[2:3], v2, v[4:5]
	s_delay_alu instid0(VALU_DEP_1)
	v_dual_sub_nc_u32 v1, 29, v1 :: v_dual_bitop2_b32 v4, 7, v2 bitop3:0x40
; %bb.2750:                             ;   in Loop: Header=BB216_2096 Depth=1
	s_or_b32 exec_lo, exec_lo, s3
	v_lshlrev_b32_e32 v2, 16, v0
	s_delay_alu instid0(VALU_DEP_2) | instskip(NEXT) | instid1(VALU_DEP_3)
	v_lshlrev_b32_e32 v3, 20, v4
	v_lshl_add_u32 v1, v1, 23, 0x3c000000
	s_delay_alu instid0(VALU_DEP_3) | instskip(NEXT) | instid1(VALU_DEP_1)
	v_and_b32_e32 v2, 0x80000000, v2
	v_or3_b32 v3, v3, v2, v1
	v_dual_mov_b32 v1, v5 :: v_dual_mov_b32 v2, v5
	s_clause 0x1
	scratch_store_b64 off, v[0:1], s32 offset:192
	scratch_store_b64 off, v[2:3], s32 offset:908
.LBB216_2751:                           ;   in Loop: Header=BB216_2096 Depth=1
	s_wait_xcnt 0x0
	s_or_b32 exec_lo, exec_lo, s2
.LBB216_2752:                           ;   in Loop: Header=BB216_2096 Depth=1
	s_delay_alu instid0(SALU_CYCLE_1)
	s_or_b32 exec_lo, exec_lo, s1
.LBB216_2753:                           ;   in Loop: Header=BB216_2096 Depth=1
	s_delay_alu instid0(SALU_CYCLE_1) | instskip(SKIP_3) | instid1(VALU_DEP_1)
	s_or_b32 exec_lo, exec_lo, s0
	v_mov_b64_e32 v[4:5], 0
	v_lshrrev_b32_e32 v1, 16, v0
	s_mov_b32 s0, exec_lo
	v_and_b32_e32 v2, 0xff, v1
	scratch_store_b64 off, v[4:5], s32 offset:924 ; 8-byte Folded Spill
	s_wait_xcnt 0x0
	v_mov_b64_e32 v[4:5], 0
	scratch_store_b64 off, v[4:5], s32 offset:932 ; 8-byte Folded Spill
	s_wait_xcnt 0x0
	v_cmpx_ne_u16_e32 0, v2
	s_cbranch_execz .LBB216_2761
; %bb.2754:                             ;   in Loop: Header=BB216_2096 Depth=1
	v_cmp_ne_u16_e32 vcc_lo, 0x80, v2
	v_mov_b64_e32 v[2:3], 0x80000000
	scratch_store_b64 off, v[2:3], s32 offset:932 ; 8-byte Folded Spill
	s_wait_xcnt 0x0
	s_and_saveexec_b32 s1, vcc_lo
	s_cbranch_execz .LBB216_2760
; %bb.2755:                             ;   in Loop: Header=BB216_2096 Depth=1
	v_mov_b64_e32 v[4:5], 0x7f800001
	v_bfe_u32 v3, v0, 16, 7
	s_mov_b32 s2, exec_lo
	scratch_store_b64 off, v[4:5], s32 offset:932 ; 8-byte Folded Spill
	s_wait_xcnt 0x0
	v_cmpx_ne_u32_e32 0x7f, v3
	s_cbranch_execz .LBB216_2759
; %bb.2756:                             ;   in Loop: Header=BB216_2096 Depth=1
	scratch_load_b64 v[6:7], off, s32 offset:192 th:TH_LOAD_LU ; 8-byte Folded Reload
	s_wait_loadcnt 0x0
	v_dual_lshrrev_b32 v2, 3, v3 :: v_dual_bitop2_b32 v6, 7, v1 bitop3:0x40
	s_mov_b32 s3, exec_lo
	s_wait_xcnt 0x0
	v_cmpx_gt_u32_e32 8, v3
; %bb.2757:                             ;   in Loop: Header=BB216_2096 Depth=1
	s_delay_alu instid0(VALU_DEP_2) | instskip(NEXT) | instid1(VALU_DEP_1)
	v_clz_i32_u32_e32 v2, v6
	v_min_u32_e32 v2, 32, v2
	s_delay_alu instid0(VALU_DEP_1) | instskip(NEXT) | instid1(VALU_DEP_1)
	v_subrev_nc_u32_e32 v3, 28, v2
	v_lshlrev_b64_e32 v[4:5], v3, v[6:7]
	s_delay_alu instid0(VALU_DEP_1)
	v_dual_sub_nc_u32 v2, 29, v2 :: v_dual_bitop2_b32 v6, 7, v4 bitop3:0x40
; %bb.2758:                             ;   in Loop: Header=BB216_2096 Depth=1
	s_or_b32 exec_lo, exec_lo, s3
	s_delay_alu instid0(VALU_DEP_1) | instskip(NEXT) | instid1(VALU_DEP_2)
	v_dual_lshlrev_b32 v1, 24, v1 :: v_dual_lshlrev_b32 v3, 20, v6
	v_lshl_add_u32 v2, v2, 23, 0x3c000000
	s_delay_alu instid0(VALU_DEP_2) | instskip(NEXT) | instid1(VALU_DEP_1)
	v_and_b32_e32 v1, 0x80000000, v1
	v_or3_b32 v6, v3, v1, v2
	v_mov_b32_e32 v1, v7
	s_clause 0x1
	scratch_store_b64 off, v[0:1], s32 offset:192
	scratch_store_b64 off, v[6:7], s32 offset:932
.LBB216_2759:                           ;   in Loop: Header=BB216_2096 Depth=1
	s_wait_xcnt 0x0
	s_or_b32 exec_lo, exec_lo, s2
.LBB216_2760:                           ;   in Loop: Header=BB216_2096 Depth=1
	s_delay_alu instid0(SALU_CYCLE_1)
	s_or_b32 exec_lo, exec_lo, s1
.LBB216_2761:                           ;   in Loop: Header=BB216_2096 Depth=1
	s_delay_alu instid0(SALU_CYCLE_1) | instskip(NEXT) | instid1(SALU_CYCLE_1)
	s_or_b32 exec_lo, exec_lo, s0
	s_mov_b32 s0, exec_lo
	v_cmpx_lt_u32_e32 0xffffff, v0
	s_cbranch_execz .LBB216_2769
; %bb.2762:                             ;   in Loop: Header=BB216_2096 Depth=1
	v_mov_b64_e32 v[2:3], 0x8000000000000000
	v_lshrrev_b32_e32 v1, 24, v0
	s_mov_b32 s1, exec_lo
	scratch_store_b64 off, v[2:3], s32 offset:924 ; 8-byte Folded Spill
	s_wait_xcnt 0x0
	v_cmpx_ne_u32_e32 0x80, v1
	s_cbranch_execz .LBB216_2768
; %bb.2763:                             ;   in Loop: Header=BB216_2096 Depth=1
	v_mov_b64_e32 v[4:5], 0x7f80000100000000
	v_bfe_u32 v2, v0, 24, 7
	s_mov_b32 s2, exec_lo
	scratch_store_b64 off, v[4:5], s32 offset:924 ; 8-byte Folded Spill
	s_wait_xcnt 0x0
	v_cmpx_ne_u32_e32 0x7f, v2
	s_cbranch_execz .LBB216_2767
; %bb.2764:                             ;   in Loop: Header=BB216_2096 Depth=1
	scratch_load_b64 v[4:5], off, s32 offset:192 th:TH_LOAD_LU ; 8-byte Folded Reload
	s_wait_loadcnt 0x0
	v_dual_lshrrev_b32 v0, 3, v2 :: v_dual_bitop2_b32 v4, 7, v1 bitop3:0x40
	s_mov_b32 s3, exec_lo
	s_wait_xcnt 0x0
	v_cmpx_gt_u32_e32 8, v2
; %bb.2765:                             ;   in Loop: Header=BB216_2096 Depth=1
	s_delay_alu instid0(VALU_DEP_2) | instskip(NEXT) | instid1(VALU_DEP_1)
	v_clz_i32_u32_e32 v0, v4
	v_min_u32_e32 v0, 32, v0
	s_delay_alu instid0(VALU_DEP_1) | instskip(NEXT) | instid1(VALU_DEP_1)
	v_subrev_nc_u32_e32 v2, 28, v0
	v_lshlrev_b64_e32 v[2:3], v2, v[4:5]
	s_delay_alu instid0(VALU_DEP_1)
	v_dual_sub_nc_u32 v0, 29, v0 :: v_dual_bitop2_b32 v4, 7, v2 bitop3:0x40
; %bb.2766:                             ;   in Loop: Header=BB216_2096 Depth=1
	s_or_b32 exec_lo, exec_lo, s3
	s_delay_alu instid0(VALU_DEP_1) | instskip(NEXT) | instid1(VALU_DEP_2)
	v_dual_lshlrev_b32 v1, 24, v1 :: v_dual_lshlrev_b32 v2, 20, v4
	v_lshl_add_u32 v0, v0, 23, 0x3c000000
	s_delay_alu instid0(VALU_DEP_2) | instskip(NEXT) | instid1(VALU_DEP_1)
	v_and_b32_e32 v1, 0x80000000, v1
	v_or3_b32 v3, v2, v1, v0
	v_dual_mov_b32 v1, v5 :: v_dual_mov_b32 v2, v5
	s_clause 0x1
	scratch_store_b64 off, v[0:1], s32 offset:192
	scratch_store_b64 off, v[2:3], s32 offset:924
.LBB216_2767:                           ;   in Loop: Header=BB216_2096 Depth=1
	s_wait_xcnt 0x0
	s_or_b32 exec_lo, exec_lo, s2
.LBB216_2768:                           ;   in Loop: Header=BB216_2096 Depth=1
	s_delay_alu instid0(SALU_CYCLE_1)
	s_or_b32 exec_lo, exec_lo, s1
.LBB216_2769:                           ;   in Loop: Header=BB216_2096 Depth=1
	s_delay_alu instid0(SALU_CYCLE_1)
	s_or_b32 exec_lo, exec_lo, s0
	flat_load_b32 v0, v[24:25] offset:2688
	v_mov_b64_e32 v[2:3], 0
	s_mov_b32 s0, exec_lo
	scratch_store_b64 off, v[2:3], s32 offset:940 ; 8-byte Folded Spill
	s_wait_xcnt 0x0
	v_mov_b64_e32 v[2:3], 0
	scratch_store_b64 off, v[2:3], s32 offset:948 ; 8-byte Folded Spill
	s_wait_loadcnt_dscnt 0x0
	v_and_b32_e32 v1, 0xff, v0
	s_wait_xcnt 0x0
	s_delay_alu instid0(VALU_DEP_1)
	v_cmpx_ne_u16_e32 0, v1
	s_cbranch_execz .LBB216_2777
; %bb.2770:                             ;   in Loop: Header=BB216_2096 Depth=1
	v_mov_b64_e32 v[2:3], 0x80000000
	s_mov_b32 s1, exec_lo
	scratch_store_b64 off, v[2:3], s32 offset:948 ; 8-byte Folded Spill
	s_wait_xcnt 0x0
	v_cmpx_ne_u16_e32 0x80, v1
	s_cbranch_execz .LBB216_2776
; %bb.2771:                             ;   in Loop: Header=BB216_2096 Depth=1
	v_mov_b64_e32 v[4:5], 0x7f800001
	v_and_b32_e32 v2, 0x7f, v0
	s_mov_b32 s2, exec_lo
	scratch_store_b64 off, v[4:5], s32 offset:948 ; 8-byte Folded Spill
	s_wait_xcnt 0x0
	v_cmpx_ne_u32_e32 0x7f, v2
	s_cbranch_execz .LBB216_2775
; %bb.2772:                             ;   in Loop: Header=BB216_2096 Depth=1
	scratch_load_b64 v[4:5], off, s32 offset:192 th:TH_LOAD_LU ; 8-byte Folded Reload
	s_wait_loadcnt 0x0
	v_dual_lshrrev_b32 v1, 3, v2 :: v_dual_bitop2_b32 v4, 7, v0 bitop3:0x40
	s_mov_b32 s3, exec_lo
	s_wait_xcnt 0x0
	v_cmpx_gt_u32_e32 8, v2
; %bb.2773:                             ;   in Loop: Header=BB216_2096 Depth=1
	s_delay_alu instid0(VALU_DEP_2) | instskip(NEXT) | instid1(VALU_DEP_1)
	v_clz_i32_u32_e32 v1, v4
	v_min_u32_e32 v1, 32, v1
	s_delay_alu instid0(VALU_DEP_1) | instskip(NEXT) | instid1(VALU_DEP_1)
	v_subrev_nc_u32_e32 v2, 28, v1
	v_lshlrev_b64_e32 v[2:3], v2, v[4:5]
	s_delay_alu instid0(VALU_DEP_1)
	v_dual_sub_nc_u32 v1, 29, v1 :: v_dual_bitop2_b32 v4, 7, v2 bitop3:0x40
; %bb.2774:                             ;   in Loop: Header=BB216_2096 Depth=1
	s_or_b32 exec_lo, exec_lo, s3
	v_lshlrev_b32_e32 v2, 24, v0
	s_delay_alu instid0(VALU_DEP_2) | instskip(NEXT) | instid1(VALU_DEP_3)
	v_lshlrev_b32_e32 v3, 20, v4
	v_lshl_add_u32 v1, v1, 23, 0x3c000000
	s_delay_alu instid0(VALU_DEP_3) | instskip(NEXT) | instid1(VALU_DEP_1)
	v_and_b32_e32 v2, 0x80000000, v2
	v_or3_b32 v4, v3, v2, v1
	v_mov_b32_e32 v1, v5
	s_clause 0x1
	scratch_store_b64 off, v[0:1], s32 offset:192
	scratch_store_b64 off, v[4:5], s32 offset:948
.LBB216_2775:                           ;   in Loop: Header=BB216_2096 Depth=1
	s_wait_xcnt 0x0
	s_or_b32 exec_lo, exec_lo, s2
.LBB216_2776:                           ;   in Loop: Header=BB216_2096 Depth=1
	s_delay_alu instid0(SALU_CYCLE_1)
	s_or_b32 exec_lo, exec_lo, s1
.LBB216_2777:                           ;   in Loop: Header=BB216_2096 Depth=1
	s_delay_alu instid0(SALU_CYCLE_1) | instskip(SKIP_2) | instid1(VALU_DEP_1)
	s_or_b32 exec_lo, exec_lo, s0
	v_lshrrev_b16 v1, 8, v0
	s_mov_b32 s0, exec_lo
	v_cmpx_ne_u16_e32 0, v1
	s_cbranch_execz .LBB216_2785
; %bb.2778:                             ;   in Loop: Header=BB216_2096 Depth=1
	v_mov_b64_e32 v[2:3], 0x8000000000000000
	s_mov_b32 s1, exec_lo
	scratch_store_b64 off, v[2:3], s32 offset:940 ; 8-byte Folded Spill
	s_wait_xcnt 0x0
	v_cmpx_ne_u16_e32 0x80, v1
	s_cbranch_execz .LBB216_2784
; %bb.2779:                             ;   in Loop: Header=BB216_2096 Depth=1
	v_and_b32_e32 v1, 0xffff, v1
	v_mov_b64_e32 v[4:5], 0x7f80000100000000
	s_mov_b32 s2, exec_lo
	s_delay_alu instid0(VALU_DEP_2)
	v_and_b32_e32 v2, 0x7f, v1
	scratch_store_b64 off, v[4:5], s32 offset:940 ; 8-byte Folded Spill
	s_wait_xcnt 0x0
	v_cmpx_ne_u32_e32 0x7f, v2
	s_cbranch_execz .LBB216_2783
; %bb.2780:                             ;   in Loop: Header=BB216_2096 Depth=1
	scratch_load_b64 v[4:5], off, s32 offset:192 th:TH_LOAD_LU ; 8-byte Folded Reload
	s_wait_loadcnt 0x0
	v_dual_lshrrev_b32 v1, 3, v2 :: v_dual_bitop2_b32 v4, 7, v1 bitop3:0x40
	s_mov_b32 s3, exec_lo
	s_wait_xcnt 0x0
	v_cmpx_gt_u32_e32 8, v2
; %bb.2781:                             ;   in Loop: Header=BB216_2096 Depth=1
	s_delay_alu instid0(VALU_DEP_2) | instskip(NEXT) | instid1(VALU_DEP_1)
	v_clz_i32_u32_e32 v1, v4
	v_min_u32_e32 v1, 32, v1
	s_delay_alu instid0(VALU_DEP_1) | instskip(NEXT) | instid1(VALU_DEP_1)
	v_subrev_nc_u32_e32 v2, 28, v1
	v_lshlrev_b64_e32 v[2:3], v2, v[4:5]
	s_delay_alu instid0(VALU_DEP_1)
	v_dual_sub_nc_u32 v1, 29, v1 :: v_dual_bitop2_b32 v4, 7, v2 bitop3:0x40
; %bb.2782:                             ;   in Loop: Header=BB216_2096 Depth=1
	s_or_b32 exec_lo, exec_lo, s3
	v_lshlrev_b32_e32 v2, 16, v0
	s_delay_alu instid0(VALU_DEP_2) | instskip(NEXT) | instid1(VALU_DEP_3)
	v_lshlrev_b32_e32 v3, 20, v4
	v_lshl_add_u32 v1, v1, 23, 0x3c000000
	s_delay_alu instid0(VALU_DEP_3) | instskip(NEXT) | instid1(VALU_DEP_1)
	v_and_b32_e32 v2, 0x80000000, v2
	v_or3_b32 v3, v3, v2, v1
	v_dual_mov_b32 v1, v5 :: v_dual_mov_b32 v2, v5
	s_clause 0x1
	scratch_store_b64 off, v[0:1], s32 offset:192
	scratch_store_b64 off, v[2:3], s32 offset:940
.LBB216_2783:                           ;   in Loop: Header=BB216_2096 Depth=1
	s_wait_xcnt 0x0
	s_or_b32 exec_lo, exec_lo, s2
.LBB216_2784:                           ;   in Loop: Header=BB216_2096 Depth=1
	s_delay_alu instid0(SALU_CYCLE_1)
	s_or_b32 exec_lo, exec_lo, s1
.LBB216_2785:                           ;   in Loop: Header=BB216_2096 Depth=1
	s_delay_alu instid0(SALU_CYCLE_1) | instskip(SKIP_3) | instid1(VALU_DEP_1)
	s_or_b32 exec_lo, exec_lo, s0
	v_mov_b64_e32 v[4:5], 0
	v_lshrrev_b32_e32 v1, 16, v0
	s_mov_b32 s0, exec_lo
	v_and_b32_e32 v2, 0xff, v1
	scratch_store_b64 off, v[4:5], s32 offset:956 ; 8-byte Folded Spill
	s_wait_xcnt 0x0
	v_mov_b64_e32 v[4:5], 0
	scratch_store_b64 off, v[4:5], s32 offset:964 ; 8-byte Folded Spill
	s_wait_xcnt 0x0
	v_cmpx_ne_u16_e32 0, v2
	s_cbranch_execz .LBB216_2793
; %bb.2786:                             ;   in Loop: Header=BB216_2096 Depth=1
	v_cmp_ne_u16_e32 vcc_lo, 0x80, v2
	v_mov_b64_e32 v[2:3], 0x80000000
	scratch_store_b64 off, v[2:3], s32 offset:964 ; 8-byte Folded Spill
	s_wait_xcnt 0x0
	s_and_saveexec_b32 s1, vcc_lo
	s_cbranch_execz .LBB216_2792
; %bb.2787:                             ;   in Loop: Header=BB216_2096 Depth=1
	v_mov_b64_e32 v[4:5], 0x7f800001
	v_bfe_u32 v3, v0, 16, 7
	s_mov_b32 s2, exec_lo
	scratch_store_b64 off, v[4:5], s32 offset:964 ; 8-byte Folded Spill
	s_wait_xcnt 0x0
	v_cmpx_ne_u32_e32 0x7f, v3
	s_cbranch_execz .LBB216_2791
; %bb.2788:                             ;   in Loop: Header=BB216_2096 Depth=1
	scratch_load_b64 v[6:7], off, s32 offset:192 th:TH_LOAD_LU ; 8-byte Folded Reload
	s_wait_loadcnt 0x0
	v_dual_lshrrev_b32 v2, 3, v3 :: v_dual_bitop2_b32 v6, 7, v1 bitop3:0x40
	s_mov_b32 s3, exec_lo
	s_wait_xcnt 0x0
	v_cmpx_gt_u32_e32 8, v3
; %bb.2789:                             ;   in Loop: Header=BB216_2096 Depth=1
	s_delay_alu instid0(VALU_DEP_2) | instskip(NEXT) | instid1(VALU_DEP_1)
	v_clz_i32_u32_e32 v2, v6
	v_min_u32_e32 v2, 32, v2
	s_delay_alu instid0(VALU_DEP_1) | instskip(NEXT) | instid1(VALU_DEP_1)
	v_subrev_nc_u32_e32 v3, 28, v2
	v_lshlrev_b64_e32 v[4:5], v3, v[6:7]
	s_delay_alu instid0(VALU_DEP_1)
	v_dual_sub_nc_u32 v2, 29, v2 :: v_dual_bitop2_b32 v6, 7, v4 bitop3:0x40
; %bb.2790:                             ;   in Loop: Header=BB216_2096 Depth=1
	s_or_b32 exec_lo, exec_lo, s3
	s_delay_alu instid0(VALU_DEP_1) | instskip(NEXT) | instid1(VALU_DEP_2)
	v_dual_lshlrev_b32 v1, 24, v1 :: v_dual_lshlrev_b32 v3, 20, v6
	v_lshl_add_u32 v2, v2, 23, 0x3c000000
	s_delay_alu instid0(VALU_DEP_2) | instskip(NEXT) | instid1(VALU_DEP_1)
	v_and_b32_e32 v1, 0x80000000, v1
	v_or3_b32 v6, v3, v1, v2
	v_mov_b32_e32 v1, v7
	s_clause 0x1
	scratch_store_b64 off, v[0:1], s32 offset:192
	scratch_store_b64 off, v[6:7], s32 offset:964
.LBB216_2791:                           ;   in Loop: Header=BB216_2096 Depth=1
	s_wait_xcnt 0x0
	s_or_b32 exec_lo, exec_lo, s2
.LBB216_2792:                           ;   in Loop: Header=BB216_2096 Depth=1
	s_delay_alu instid0(SALU_CYCLE_1)
	s_or_b32 exec_lo, exec_lo, s1
.LBB216_2793:                           ;   in Loop: Header=BB216_2096 Depth=1
	s_delay_alu instid0(SALU_CYCLE_1) | instskip(NEXT) | instid1(SALU_CYCLE_1)
	s_or_b32 exec_lo, exec_lo, s0
	s_mov_b32 s0, exec_lo
	v_cmpx_lt_u32_e32 0xffffff, v0
	s_cbranch_execz .LBB216_2801
; %bb.2794:                             ;   in Loop: Header=BB216_2096 Depth=1
	v_mov_b64_e32 v[2:3], 0x8000000000000000
	v_lshrrev_b32_e32 v1, 24, v0
	s_mov_b32 s1, exec_lo
	scratch_store_b64 off, v[2:3], s32 offset:956 ; 8-byte Folded Spill
	s_wait_xcnt 0x0
	v_cmpx_ne_u32_e32 0x80, v1
	s_cbranch_execz .LBB216_2800
; %bb.2795:                             ;   in Loop: Header=BB216_2096 Depth=1
	v_mov_b64_e32 v[4:5], 0x7f80000100000000
	v_bfe_u32 v2, v0, 24, 7
	s_mov_b32 s2, exec_lo
	scratch_store_b64 off, v[4:5], s32 offset:956 ; 8-byte Folded Spill
	s_wait_xcnt 0x0
	v_cmpx_ne_u32_e32 0x7f, v2
	s_cbranch_execz .LBB216_2799
; %bb.2796:                             ;   in Loop: Header=BB216_2096 Depth=1
	scratch_load_b64 v[4:5], off, s32 offset:192 th:TH_LOAD_LU ; 8-byte Folded Reload
	s_wait_loadcnt 0x0
	v_dual_lshrrev_b32 v0, 3, v2 :: v_dual_bitop2_b32 v4, 7, v1 bitop3:0x40
	s_mov_b32 s3, exec_lo
	s_wait_xcnt 0x0
	v_cmpx_gt_u32_e32 8, v2
; %bb.2797:                             ;   in Loop: Header=BB216_2096 Depth=1
	s_delay_alu instid0(VALU_DEP_2) | instskip(NEXT) | instid1(VALU_DEP_1)
	v_clz_i32_u32_e32 v0, v4
	v_min_u32_e32 v0, 32, v0
	s_delay_alu instid0(VALU_DEP_1) | instskip(NEXT) | instid1(VALU_DEP_1)
	v_subrev_nc_u32_e32 v2, 28, v0
	v_lshlrev_b64_e32 v[2:3], v2, v[4:5]
	s_delay_alu instid0(VALU_DEP_1)
	v_dual_sub_nc_u32 v0, 29, v0 :: v_dual_bitop2_b32 v4, 7, v2 bitop3:0x40
; %bb.2798:                             ;   in Loop: Header=BB216_2096 Depth=1
	s_or_b32 exec_lo, exec_lo, s3
	s_delay_alu instid0(VALU_DEP_1) | instskip(NEXT) | instid1(VALU_DEP_2)
	v_dual_lshlrev_b32 v1, 24, v1 :: v_dual_lshlrev_b32 v2, 20, v4
	v_lshl_add_u32 v0, v0, 23, 0x3c000000
	s_delay_alu instid0(VALU_DEP_2) | instskip(NEXT) | instid1(VALU_DEP_1)
	v_and_b32_e32 v1, 0x80000000, v1
	v_or3_b32 v3, v2, v1, v0
	v_dual_mov_b32 v1, v5 :: v_dual_mov_b32 v2, v5
	s_clause 0x1
	scratch_store_b64 off, v[0:1], s32 offset:192
	scratch_store_b64 off, v[2:3], s32 offset:956
.LBB216_2799:                           ;   in Loop: Header=BB216_2096 Depth=1
	s_wait_xcnt 0x0
	s_or_b32 exec_lo, exec_lo, s2
.LBB216_2800:                           ;   in Loop: Header=BB216_2096 Depth=1
	s_delay_alu instid0(SALU_CYCLE_1)
	s_or_b32 exec_lo, exec_lo, s1
.LBB216_2801:                           ;   in Loop: Header=BB216_2096 Depth=1
	s_delay_alu instid0(SALU_CYCLE_1)
	s_or_b32 exec_lo, exec_lo, s0
	flat_load_b32 v0, v[24:25] offset:2816
	v_mov_b64_e32 v[2:3], 0
	s_mov_b32 s0, exec_lo
	scratch_store_b64 off, v[2:3], s32 offset:972 ; 8-byte Folded Spill
	s_wait_xcnt 0x0
	v_mov_b64_e32 v[2:3], 0
	scratch_store_b64 off, v[2:3], s32 offset:980 ; 8-byte Folded Spill
	s_wait_loadcnt_dscnt 0x0
	v_and_b32_e32 v1, 0xff, v0
	s_wait_xcnt 0x0
	s_delay_alu instid0(VALU_DEP_1)
	v_cmpx_ne_u16_e32 0, v1
	s_cbranch_execz .LBB216_2809
; %bb.2802:                             ;   in Loop: Header=BB216_2096 Depth=1
	v_mov_b64_e32 v[2:3], 0x80000000
	s_mov_b32 s1, exec_lo
	scratch_store_b64 off, v[2:3], s32 offset:980 ; 8-byte Folded Spill
	s_wait_xcnt 0x0
	v_cmpx_ne_u16_e32 0x80, v1
	s_cbranch_execz .LBB216_2808
; %bb.2803:                             ;   in Loop: Header=BB216_2096 Depth=1
	v_mov_b64_e32 v[4:5], 0x7f800001
	v_and_b32_e32 v2, 0x7f, v0
	s_mov_b32 s2, exec_lo
	scratch_store_b64 off, v[4:5], s32 offset:980 ; 8-byte Folded Spill
	s_wait_xcnt 0x0
	v_cmpx_ne_u32_e32 0x7f, v2
	s_cbranch_execz .LBB216_2807
; %bb.2804:                             ;   in Loop: Header=BB216_2096 Depth=1
	scratch_load_b64 v[4:5], off, s32 offset:192 th:TH_LOAD_LU ; 8-byte Folded Reload
	s_wait_loadcnt 0x0
	v_dual_lshrrev_b32 v1, 3, v2 :: v_dual_bitop2_b32 v4, 7, v0 bitop3:0x40
	s_mov_b32 s3, exec_lo
	s_wait_xcnt 0x0
	v_cmpx_gt_u32_e32 8, v2
; %bb.2805:                             ;   in Loop: Header=BB216_2096 Depth=1
	s_delay_alu instid0(VALU_DEP_2) | instskip(NEXT) | instid1(VALU_DEP_1)
	v_clz_i32_u32_e32 v1, v4
	v_min_u32_e32 v1, 32, v1
	s_delay_alu instid0(VALU_DEP_1) | instskip(NEXT) | instid1(VALU_DEP_1)
	v_subrev_nc_u32_e32 v2, 28, v1
	v_lshlrev_b64_e32 v[2:3], v2, v[4:5]
	s_delay_alu instid0(VALU_DEP_1)
	v_dual_sub_nc_u32 v1, 29, v1 :: v_dual_bitop2_b32 v4, 7, v2 bitop3:0x40
; %bb.2806:                             ;   in Loop: Header=BB216_2096 Depth=1
	s_or_b32 exec_lo, exec_lo, s3
	v_lshlrev_b32_e32 v2, 24, v0
	s_delay_alu instid0(VALU_DEP_2) | instskip(NEXT) | instid1(VALU_DEP_3)
	v_lshlrev_b32_e32 v3, 20, v4
	v_lshl_add_u32 v1, v1, 23, 0x3c000000
	s_delay_alu instid0(VALU_DEP_3) | instskip(NEXT) | instid1(VALU_DEP_1)
	v_and_b32_e32 v2, 0x80000000, v2
	v_or3_b32 v4, v3, v2, v1
	v_mov_b32_e32 v1, v5
	s_clause 0x1
	scratch_store_b64 off, v[0:1], s32 offset:192
	scratch_store_b64 off, v[4:5], s32 offset:980
.LBB216_2807:                           ;   in Loop: Header=BB216_2096 Depth=1
	s_wait_xcnt 0x0
	s_or_b32 exec_lo, exec_lo, s2
.LBB216_2808:                           ;   in Loop: Header=BB216_2096 Depth=1
	s_delay_alu instid0(SALU_CYCLE_1)
	s_or_b32 exec_lo, exec_lo, s1
.LBB216_2809:                           ;   in Loop: Header=BB216_2096 Depth=1
	s_delay_alu instid0(SALU_CYCLE_1) | instskip(SKIP_2) | instid1(VALU_DEP_1)
	s_or_b32 exec_lo, exec_lo, s0
	v_lshrrev_b16 v1, 8, v0
	s_mov_b32 s0, exec_lo
	v_cmpx_ne_u16_e32 0, v1
	s_cbranch_execz .LBB216_2817
; %bb.2810:                             ;   in Loop: Header=BB216_2096 Depth=1
	v_mov_b64_e32 v[2:3], 0x8000000000000000
	s_mov_b32 s1, exec_lo
	scratch_store_b64 off, v[2:3], s32 offset:972 ; 8-byte Folded Spill
	s_wait_xcnt 0x0
	v_cmpx_ne_u16_e32 0x80, v1
	s_cbranch_execz .LBB216_2816
; %bb.2811:                             ;   in Loop: Header=BB216_2096 Depth=1
	v_and_b32_e32 v1, 0xffff, v1
	v_mov_b64_e32 v[4:5], 0x7f80000100000000
	s_mov_b32 s2, exec_lo
	s_delay_alu instid0(VALU_DEP_2)
	v_and_b32_e32 v2, 0x7f, v1
	scratch_store_b64 off, v[4:5], s32 offset:972 ; 8-byte Folded Spill
	s_wait_xcnt 0x0
	v_cmpx_ne_u32_e32 0x7f, v2
	s_cbranch_execz .LBB216_2815
; %bb.2812:                             ;   in Loop: Header=BB216_2096 Depth=1
	scratch_load_b64 v[4:5], off, s32 offset:192 th:TH_LOAD_LU ; 8-byte Folded Reload
	s_wait_loadcnt 0x0
	v_dual_lshrrev_b32 v1, 3, v2 :: v_dual_bitop2_b32 v4, 7, v1 bitop3:0x40
	s_mov_b32 s3, exec_lo
	s_wait_xcnt 0x0
	v_cmpx_gt_u32_e32 8, v2
; %bb.2813:                             ;   in Loop: Header=BB216_2096 Depth=1
	s_delay_alu instid0(VALU_DEP_2) | instskip(NEXT) | instid1(VALU_DEP_1)
	v_clz_i32_u32_e32 v1, v4
	v_min_u32_e32 v1, 32, v1
	s_delay_alu instid0(VALU_DEP_1) | instskip(NEXT) | instid1(VALU_DEP_1)
	v_subrev_nc_u32_e32 v2, 28, v1
	v_lshlrev_b64_e32 v[2:3], v2, v[4:5]
	s_delay_alu instid0(VALU_DEP_1)
	v_dual_sub_nc_u32 v1, 29, v1 :: v_dual_bitop2_b32 v4, 7, v2 bitop3:0x40
; %bb.2814:                             ;   in Loop: Header=BB216_2096 Depth=1
	s_or_b32 exec_lo, exec_lo, s3
	v_lshlrev_b32_e32 v2, 16, v0
	s_delay_alu instid0(VALU_DEP_2) | instskip(NEXT) | instid1(VALU_DEP_3)
	v_lshlrev_b32_e32 v3, 20, v4
	v_lshl_add_u32 v1, v1, 23, 0x3c000000
	s_delay_alu instid0(VALU_DEP_3) | instskip(NEXT) | instid1(VALU_DEP_1)
	v_and_b32_e32 v2, 0x80000000, v2
	v_or3_b32 v3, v3, v2, v1
	v_dual_mov_b32 v1, v5 :: v_dual_mov_b32 v2, v5
	s_clause 0x1
	scratch_store_b64 off, v[0:1], s32 offset:192
	scratch_store_b64 off, v[2:3], s32 offset:972
.LBB216_2815:                           ;   in Loop: Header=BB216_2096 Depth=1
	s_wait_xcnt 0x0
	s_or_b32 exec_lo, exec_lo, s2
.LBB216_2816:                           ;   in Loop: Header=BB216_2096 Depth=1
	s_delay_alu instid0(SALU_CYCLE_1)
	s_or_b32 exec_lo, exec_lo, s1
.LBB216_2817:                           ;   in Loop: Header=BB216_2096 Depth=1
	s_delay_alu instid0(SALU_CYCLE_1) | instskip(SKIP_3) | instid1(VALU_DEP_1)
	s_or_b32 exec_lo, exec_lo, s0
	v_mov_b64_e32 v[4:5], 0
	v_lshrrev_b32_e32 v1, 16, v0
	s_mov_b32 s0, exec_lo
	v_and_b32_e32 v2, 0xff, v1
	scratch_store_b64 off, v[4:5], s32 offset:988 ; 8-byte Folded Spill
	s_wait_xcnt 0x0
	v_mov_b64_e32 v[4:5], 0
	scratch_store_b64 off, v[4:5], s32 offset:996 ; 8-byte Folded Spill
	s_wait_xcnt 0x0
	v_cmpx_ne_u16_e32 0, v2
	s_cbranch_execz .LBB216_2825
; %bb.2818:                             ;   in Loop: Header=BB216_2096 Depth=1
	v_cmp_ne_u16_e32 vcc_lo, 0x80, v2
	v_mov_b64_e32 v[2:3], 0x80000000
	scratch_store_b64 off, v[2:3], s32 offset:996 ; 8-byte Folded Spill
	s_wait_xcnt 0x0
	s_and_saveexec_b32 s1, vcc_lo
	s_cbranch_execz .LBB216_2824
; %bb.2819:                             ;   in Loop: Header=BB216_2096 Depth=1
	v_mov_b64_e32 v[4:5], 0x7f800001
	v_bfe_u32 v3, v0, 16, 7
	s_mov_b32 s2, exec_lo
	scratch_store_b64 off, v[4:5], s32 offset:996 ; 8-byte Folded Spill
	s_wait_xcnt 0x0
	v_cmpx_ne_u32_e32 0x7f, v3
	s_cbranch_execz .LBB216_2823
; %bb.2820:                             ;   in Loop: Header=BB216_2096 Depth=1
	scratch_load_b64 v[6:7], off, s32 offset:192 th:TH_LOAD_LU ; 8-byte Folded Reload
	s_wait_loadcnt 0x0
	v_dual_lshrrev_b32 v2, 3, v3 :: v_dual_bitop2_b32 v6, 7, v1 bitop3:0x40
	s_mov_b32 s3, exec_lo
	s_wait_xcnt 0x0
	v_cmpx_gt_u32_e32 8, v3
; %bb.2821:                             ;   in Loop: Header=BB216_2096 Depth=1
	s_delay_alu instid0(VALU_DEP_2) | instskip(NEXT) | instid1(VALU_DEP_1)
	v_clz_i32_u32_e32 v2, v6
	v_min_u32_e32 v2, 32, v2
	s_delay_alu instid0(VALU_DEP_1) | instskip(NEXT) | instid1(VALU_DEP_1)
	v_subrev_nc_u32_e32 v3, 28, v2
	v_lshlrev_b64_e32 v[4:5], v3, v[6:7]
	s_delay_alu instid0(VALU_DEP_1)
	v_dual_sub_nc_u32 v2, 29, v2 :: v_dual_bitop2_b32 v6, 7, v4 bitop3:0x40
; %bb.2822:                             ;   in Loop: Header=BB216_2096 Depth=1
	s_or_b32 exec_lo, exec_lo, s3
	s_delay_alu instid0(VALU_DEP_1) | instskip(NEXT) | instid1(VALU_DEP_2)
	v_dual_lshlrev_b32 v1, 24, v1 :: v_dual_lshlrev_b32 v3, 20, v6
	v_lshl_add_u32 v2, v2, 23, 0x3c000000
	s_delay_alu instid0(VALU_DEP_2) | instskip(NEXT) | instid1(VALU_DEP_1)
	v_and_b32_e32 v1, 0x80000000, v1
	v_or3_b32 v6, v3, v1, v2
	v_mov_b32_e32 v1, v7
	s_clause 0x1
	scratch_store_b64 off, v[0:1], s32 offset:192
	scratch_store_b64 off, v[6:7], s32 offset:996
.LBB216_2823:                           ;   in Loop: Header=BB216_2096 Depth=1
	s_wait_xcnt 0x0
	s_or_b32 exec_lo, exec_lo, s2
.LBB216_2824:                           ;   in Loop: Header=BB216_2096 Depth=1
	s_delay_alu instid0(SALU_CYCLE_1)
	s_or_b32 exec_lo, exec_lo, s1
.LBB216_2825:                           ;   in Loop: Header=BB216_2096 Depth=1
	s_delay_alu instid0(SALU_CYCLE_1) | instskip(NEXT) | instid1(SALU_CYCLE_1)
	s_or_b32 exec_lo, exec_lo, s0
	s_mov_b32 s0, exec_lo
	v_cmpx_lt_u32_e32 0xffffff, v0
	s_cbranch_execz .LBB216_2833
; %bb.2826:                             ;   in Loop: Header=BB216_2096 Depth=1
	v_mov_b64_e32 v[2:3], 0x8000000000000000
	v_lshrrev_b32_e32 v1, 24, v0
	s_mov_b32 s1, exec_lo
	scratch_store_b64 off, v[2:3], s32 offset:988 ; 8-byte Folded Spill
	s_wait_xcnt 0x0
	v_cmpx_ne_u32_e32 0x80, v1
	s_cbranch_execz .LBB216_2832
; %bb.2827:                             ;   in Loop: Header=BB216_2096 Depth=1
	v_mov_b64_e32 v[4:5], 0x7f80000100000000
	v_bfe_u32 v2, v0, 24, 7
	s_mov_b32 s2, exec_lo
	scratch_store_b64 off, v[4:5], s32 offset:988 ; 8-byte Folded Spill
	s_wait_xcnt 0x0
	v_cmpx_ne_u32_e32 0x7f, v2
	s_cbranch_execz .LBB216_2831
; %bb.2828:                             ;   in Loop: Header=BB216_2096 Depth=1
	scratch_load_b64 v[4:5], off, s32 offset:192 th:TH_LOAD_LU ; 8-byte Folded Reload
	s_wait_loadcnt 0x0
	v_dual_lshrrev_b32 v0, 3, v2 :: v_dual_bitop2_b32 v4, 7, v1 bitop3:0x40
	s_mov_b32 s3, exec_lo
	s_wait_xcnt 0x0
	v_cmpx_gt_u32_e32 8, v2
; %bb.2829:                             ;   in Loop: Header=BB216_2096 Depth=1
	s_delay_alu instid0(VALU_DEP_2) | instskip(NEXT) | instid1(VALU_DEP_1)
	v_clz_i32_u32_e32 v0, v4
	v_min_u32_e32 v0, 32, v0
	s_delay_alu instid0(VALU_DEP_1) | instskip(NEXT) | instid1(VALU_DEP_1)
	v_subrev_nc_u32_e32 v2, 28, v0
	v_lshlrev_b64_e32 v[2:3], v2, v[4:5]
	s_delay_alu instid0(VALU_DEP_1)
	v_dual_sub_nc_u32 v0, 29, v0 :: v_dual_bitop2_b32 v4, 7, v2 bitop3:0x40
; %bb.2830:                             ;   in Loop: Header=BB216_2096 Depth=1
	s_or_b32 exec_lo, exec_lo, s3
	s_delay_alu instid0(VALU_DEP_1) | instskip(NEXT) | instid1(VALU_DEP_2)
	v_dual_lshlrev_b32 v1, 24, v1 :: v_dual_lshlrev_b32 v2, 20, v4
	v_lshl_add_u32 v0, v0, 23, 0x3c000000
	s_delay_alu instid0(VALU_DEP_2) | instskip(NEXT) | instid1(VALU_DEP_1)
	v_and_b32_e32 v1, 0x80000000, v1
	v_or3_b32 v3, v2, v1, v0
	v_dual_mov_b32 v1, v5 :: v_dual_mov_b32 v2, v5
	s_clause 0x1
	scratch_store_b64 off, v[0:1], s32 offset:192
	scratch_store_b64 off, v[2:3], s32 offset:988
.LBB216_2831:                           ;   in Loop: Header=BB216_2096 Depth=1
	s_wait_xcnt 0x0
	s_or_b32 exec_lo, exec_lo, s2
.LBB216_2832:                           ;   in Loop: Header=BB216_2096 Depth=1
	s_delay_alu instid0(SALU_CYCLE_1)
	s_or_b32 exec_lo, exec_lo, s1
.LBB216_2833:                           ;   in Loop: Header=BB216_2096 Depth=1
	s_delay_alu instid0(SALU_CYCLE_1)
	s_or_b32 exec_lo, exec_lo, s0
	flat_load_b32 v0, v[24:25] offset:2944
	v_mov_b64_e32 v[2:3], 0
	s_mov_b32 s0, exec_lo
	scratch_store_b64 off, v[2:3], s32 offset:1004 ; 8-byte Folded Spill
	s_wait_xcnt 0x0
	v_mov_b64_e32 v[2:3], 0
	scratch_store_b64 off, v[2:3], s32 offset:1012 ; 8-byte Folded Spill
	s_wait_loadcnt_dscnt 0x0
	v_and_b32_e32 v1, 0xff, v0
	s_wait_xcnt 0x0
	s_delay_alu instid0(VALU_DEP_1)
	v_cmpx_ne_u16_e32 0, v1
	s_cbranch_execz .LBB216_2841
; %bb.2834:                             ;   in Loop: Header=BB216_2096 Depth=1
	v_mov_b64_e32 v[2:3], 0x80000000
	s_mov_b32 s1, exec_lo
	scratch_store_b64 off, v[2:3], s32 offset:1012 ; 8-byte Folded Spill
	s_wait_xcnt 0x0
	v_cmpx_ne_u16_e32 0x80, v1
	s_cbranch_execz .LBB216_2840
; %bb.2835:                             ;   in Loop: Header=BB216_2096 Depth=1
	v_mov_b64_e32 v[4:5], 0x7f800001
	v_and_b32_e32 v2, 0x7f, v0
	s_mov_b32 s2, exec_lo
	scratch_store_b64 off, v[4:5], s32 offset:1012 ; 8-byte Folded Spill
	s_wait_xcnt 0x0
	v_cmpx_ne_u32_e32 0x7f, v2
	s_cbranch_execz .LBB216_2839
; %bb.2836:                             ;   in Loop: Header=BB216_2096 Depth=1
	scratch_load_b64 v[4:5], off, s32 offset:192 th:TH_LOAD_LU ; 8-byte Folded Reload
	s_wait_loadcnt 0x0
	v_dual_lshrrev_b32 v1, 3, v2 :: v_dual_bitop2_b32 v4, 7, v0 bitop3:0x40
	s_mov_b32 s3, exec_lo
	s_wait_xcnt 0x0
	v_cmpx_gt_u32_e32 8, v2
; %bb.2837:                             ;   in Loop: Header=BB216_2096 Depth=1
	s_delay_alu instid0(VALU_DEP_2) | instskip(NEXT) | instid1(VALU_DEP_1)
	v_clz_i32_u32_e32 v1, v4
	v_min_u32_e32 v1, 32, v1
	s_delay_alu instid0(VALU_DEP_1) | instskip(NEXT) | instid1(VALU_DEP_1)
	v_subrev_nc_u32_e32 v2, 28, v1
	v_lshlrev_b64_e32 v[2:3], v2, v[4:5]
	s_delay_alu instid0(VALU_DEP_1)
	v_dual_sub_nc_u32 v1, 29, v1 :: v_dual_bitop2_b32 v4, 7, v2 bitop3:0x40
; %bb.2838:                             ;   in Loop: Header=BB216_2096 Depth=1
	s_or_b32 exec_lo, exec_lo, s3
	v_lshlrev_b32_e32 v2, 24, v0
	s_delay_alu instid0(VALU_DEP_2) | instskip(NEXT) | instid1(VALU_DEP_3)
	v_lshlrev_b32_e32 v3, 20, v4
	v_lshl_add_u32 v1, v1, 23, 0x3c000000
	s_delay_alu instid0(VALU_DEP_3) | instskip(NEXT) | instid1(VALU_DEP_1)
	v_and_b32_e32 v2, 0x80000000, v2
	v_or3_b32 v4, v3, v2, v1
	v_mov_b32_e32 v1, v5
	s_clause 0x1
	scratch_store_b64 off, v[0:1], s32 offset:192
	scratch_store_b64 off, v[4:5], s32 offset:1012
.LBB216_2839:                           ;   in Loop: Header=BB216_2096 Depth=1
	s_wait_xcnt 0x0
	s_or_b32 exec_lo, exec_lo, s2
.LBB216_2840:                           ;   in Loop: Header=BB216_2096 Depth=1
	s_delay_alu instid0(SALU_CYCLE_1)
	s_or_b32 exec_lo, exec_lo, s1
.LBB216_2841:                           ;   in Loop: Header=BB216_2096 Depth=1
	s_delay_alu instid0(SALU_CYCLE_1) | instskip(SKIP_2) | instid1(VALU_DEP_1)
	s_or_b32 exec_lo, exec_lo, s0
	v_lshrrev_b16 v1, 8, v0
	s_mov_b32 s0, exec_lo
	v_cmpx_ne_u16_e32 0, v1
	s_cbranch_execz .LBB216_2849
; %bb.2842:                             ;   in Loop: Header=BB216_2096 Depth=1
	v_mov_b64_e32 v[2:3], 0x8000000000000000
	s_mov_b32 s1, exec_lo
	scratch_store_b64 off, v[2:3], s32 offset:1004 ; 8-byte Folded Spill
	s_wait_xcnt 0x0
	v_cmpx_ne_u16_e32 0x80, v1
	s_cbranch_execz .LBB216_2848
; %bb.2843:                             ;   in Loop: Header=BB216_2096 Depth=1
	v_and_b32_e32 v1, 0xffff, v1
	v_mov_b64_e32 v[4:5], 0x7f80000100000000
	s_mov_b32 s2, exec_lo
	s_delay_alu instid0(VALU_DEP_2)
	v_and_b32_e32 v2, 0x7f, v1
	scratch_store_b64 off, v[4:5], s32 offset:1004 ; 8-byte Folded Spill
	s_wait_xcnt 0x0
	v_cmpx_ne_u32_e32 0x7f, v2
	s_cbranch_execz .LBB216_2847
; %bb.2844:                             ;   in Loop: Header=BB216_2096 Depth=1
	scratch_load_b64 v[4:5], off, s32 offset:192 th:TH_LOAD_LU ; 8-byte Folded Reload
	s_wait_loadcnt 0x0
	v_dual_lshrrev_b32 v1, 3, v2 :: v_dual_bitop2_b32 v4, 7, v1 bitop3:0x40
	s_mov_b32 s3, exec_lo
	s_wait_xcnt 0x0
	v_cmpx_gt_u32_e32 8, v2
; %bb.2845:                             ;   in Loop: Header=BB216_2096 Depth=1
	s_delay_alu instid0(VALU_DEP_2) | instskip(NEXT) | instid1(VALU_DEP_1)
	v_clz_i32_u32_e32 v1, v4
	v_min_u32_e32 v1, 32, v1
	s_delay_alu instid0(VALU_DEP_1) | instskip(NEXT) | instid1(VALU_DEP_1)
	v_subrev_nc_u32_e32 v2, 28, v1
	v_lshlrev_b64_e32 v[2:3], v2, v[4:5]
	s_delay_alu instid0(VALU_DEP_1)
	v_dual_sub_nc_u32 v1, 29, v1 :: v_dual_bitop2_b32 v4, 7, v2 bitop3:0x40
; %bb.2846:                             ;   in Loop: Header=BB216_2096 Depth=1
	s_or_b32 exec_lo, exec_lo, s3
	v_lshlrev_b32_e32 v2, 16, v0
	s_delay_alu instid0(VALU_DEP_2) | instskip(NEXT) | instid1(VALU_DEP_3)
	v_lshlrev_b32_e32 v3, 20, v4
	v_lshl_add_u32 v1, v1, 23, 0x3c000000
	s_delay_alu instid0(VALU_DEP_3) | instskip(NEXT) | instid1(VALU_DEP_1)
	v_and_b32_e32 v2, 0x80000000, v2
	v_or3_b32 v3, v3, v2, v1
	v_dual_mov_b32 v1, v5 :: v_dual_mov_b32 v2, v5
	s_clause 0x1
	scratch_store_b64 off, v[0:1], s32 offset:192
	scratch_store_b64 off, v[2:3], s32 offset:1004
.LBB216_2847:                           ;   in Loop: Header=BB216_2096 Depth=1
	s_wait_xcnt 0x0
	s_or_b32 exec_lo, exec_lo, s2
.LBB216_2848:                           ;   in Loop: Header=BB216_2096 Depth=1
	s_delay_alu instid0(SALU_CYCLE_1)
	s_or_b32 exec_lo, exec_lo, s1
.LBB216_2849:                           ;   in Loop: Header=BB216_2096 Depth=1
	s_delay_alu instid0(SALU_CYCLE_1) | instskip(SKIP_3) | instid1(VALU_DEP_1)
	s_or_b32 exec_lo, exec_lo, s0
	v_mov_b64_e32 v[4:5], 0
	v_lshrrev_b32_e32 v1, 16, v0
	s_mov_b32 s0, exec_lo
	v_and_b32_e32 v2, 0xff, v1
	scratch_store_b64 off, v[4:5], s32 offset:1020 ; 8-byte Folded Spill
	s_wait_xcnt 0x0
	v_mov_b64_e32 v[4:5], 0
	scratch_store_b64 off, v[4:5], s32 offset:1028 ; 8-byte Folded Spill
	s_wait_xcnt 0x0
	v_cmpx_ne_u16_e32 0, v2
	s_cbranch_execz .LBB216_2857
; %bb.2850:                             ;   in Loop: Header=BB216_2096 Depth=1
	v_cmp_ne_u16_e32 vcc_lo, 0x80, v2
	v_mov_b64_e32 v[2:3], 0x80000000
	scratch_store_b64 off, v[2:3], s32 offset:1028 ; 8-byte Folded Spill
	s_wait_xcnt 0x0
	s_and_saveexec_b32 s1, vcc_lo
	s_cbranch_execz .LBB216_2856
; %bb.2851:                             ;   in Loop: Header=BB216_2096 Depth=1
	v_mov_b64_e32 v[4:5], 0x7f800001
	v_bfe_u32 v3, v0, 16, 7
	s_mov_b32 s2, exec_lo
	scratch_store_b64 off, v[4:5], s32 offset:1028 ; 8-byte Folded Spill
	s_wait_xcnt 0x0
	v_cmpx_ne_u32_e32 0x7f, v3
	s_cbranch_execz .LBB216_2855
; %bb.2852:                             ;   in Loop: Header=BB216_2096 Depth=1
	scratch_load_b64 v[6:7], off, s32 offset:192 th:TH_LOAD_LU ; 8-byte Folded Reload
	s_wait_loadcnt 0x0
	v_dual_lshrrev_b32 v2, 3, v3 :: v_dual_bitop2_b32 v6, 7, v1 bitop3:0x40
	s_mov_b32 s3, exec_lo
	s_wait_xcnt 0x0
	v_cmpx_gt_u32_e32 8, v3
; %bb.2853:                             ;   in Loop: Header=BB216_2096 Depth=1
	s_delay_alu instid0(VALU_DEP_2) | instskip(NEXT) | instid1(VALU_DEP_1)
	v_clz_i32_u32_e32 v2, v6
	v_min_u32_e32 v2, 32, v2
	s_delay_alu instid0(VALU_DEP_1) | instskip(NEXT) | instid1(VALU_DEP_1)
	v_subrev_nc_u32_e32 v3, 28, v2
	v_lshlrev_b64_e32 v[4:5], v3, v[6:7]
	s_delay_alu instid0(VALU_DEP_1)
	v_dual_sub_nc_u32 v2, 29, v2 :: v_dual_bitop2_b32 v6, 7, v4 bitop3:0x40
; %bb.2854:                             ;   in Loop: Header=BB216_2096 Depth=1
	s_or_b32 exec_lo, exec_lo, s3
	s_delay_alu instid0(VALU_DEP_1) | instskip(NEXT) | instid1(VALU_DEP_2)
	v_dual_lshlrev_b32 v1, 24, v1 :: v_dual_lshlrev_b32 v3, 20, v6
	v_lshl_add_u32 v2, v2, 23, 0x3c000000
	s_delay_alu instid0(VALU_DEP_2) | instskip(NEXT) | instid1(VALU_DEP_1)
	v_and_b32_e32 v1, 0x80000000, v1
	v_or3_b32 v6, v3, v1, v2
	v_mov_b32_e32 v1, v7
	s_clause 0x1
	scratch_store_b64 off, v[0:1], s32 offset:192
	scratch_store_b64 off, v[6:7], s32 offset:1028
.LBB216_2855:                           ;   in Loop: Header=BB216_2096 Depth=1
	s_wait_xcnt 0x0
	s_or_b32 exec_lo, exec_lo, s2
.LBB216_2856:                           ;   in Loop: Header=BB216_2096 Depth=1
	s_delay_alu instid0(SALU_CYCLE_1)
	s_or_b32 exec_lo, exec_lo, s1
.LBB216_2857:                           ;   in Loop: Header=BB216_2096 Depth=1
	s_delay_alu instid0(SALU_CYCLE_1) | instskip(NEXT) | instid1(SALU_CYCLE_1)
	s_or_b32 exec_lo, exec_lo, s0
	s_mov_b32 s0, exec_lo
	v_cmpx_lt_u32_e32 0xffffff, v0
	s_cbranch_execz .LBB216_2865
; %bb.2858:                             ;   in Loop: Header=BB216_2096 Depth=1
	v_mov_b64_e32 v[2:3], 0x8000000000000000
	v_lshrrev_b32_e32 v1, 24, v0
	s_mov_b32 s1, exec_lo
	scratch_store_b64 off, v[2:3], s32 offset:1020 ; 8-byte Folded Spill
	s_wait_xcnt 0x0
	v_cmpx_ne_u32_e32 0x80, v1
	s_cbranch_execz .LBB216_2864
; %bb.2859:                             ;   in Loop: Header=BB216_2096 Depth=1
	v_mov_b64_e32 v[4:5], 0x7f80000100000000
	v_bfe_u32 v2, v0, 24, 7
	s_mov_b32 s2, exec_lo
	scratch_store_b64 off, v[4:5], s32 offset:1020 ; 8-byte Folded Spill
	s_wait_xcnt 0x0
	v_cmpx_ne_u32_e32 0x7f, v2
	s_cbranch_execz .LBB216_2863
; %bb.2860:                             ;   in Loop: Header=BB216_2096 Depth=1
	scratch_load_b64 v[4:5], off, s32 offset:192 th:TH_LOAD_LU ; 8-byte Folded Reload
	s_wait_loadcnt 0x0
	v_dual_lshrrev_b32 v0, 3, v2 :: v_dual_bitop2_b32 v4, 7, v1 bitop3:0x40
	s_mov_b32 s3, exec_lo
	s_wait_xcnt 0x0
	v_cmpx_gt_u32_e32 8, v2
; %bb.2861:                             ;   in Loop: Header=BB216_2096 Depth=1
	s_delay_alu instid0(VALU_DEP_2) | instskip(NEXT) | instid1(VALU_DEP_1)
	v_clz_i32_u32_e32 v0, v4
	v_min_u32_e32 v0, 32, v0
	s_delay_alu instid0(VALU_DEP_1) | instskip(NEXT) | instid1(VALU_DEP_1)
	v_subrev_nc_u32_e32 v2, 28, v0
	v_lshlrev_b64_e32 v[2:3], v2, v[4:5]
	s_delay_alu instid0(VALU_DEP_1)
	v_dual_sub_nc_u32 v0, 29, v0 :: v_dual_bitop2_b32 v4, 7, v2 bitop3:0x40
; %bb.2862:                             ;   in Loop: Header=BB216_2096 Depth=1
	s_or_b32 exec_lo, exec_lo, s3
	s_delay_alu instid0(VALU_DEP_1) | instskip(NEXT) | instid1(VALU_DEP_2)
	v_dual_lshlrev_b32 v1, 24, v1 :: v_dual_lshlrev_b32 v2, 20, v4
	v_lshl_add_u32 v0, v0, 23, 0x3c000000
	s_delay_alu instid0(VALU_DEP_2) | instskip(NEXT) | instid1(VALU_DEP_1)
	v_and_b32_e32 v1, 0x80000000, v1
	v_or3_b32 v3, v2, v1, v0
	v_dual_mov_b32 v1, v5 :: v_dual_mov_b32 v2, v5
	s_clause 0x1
	scratch_store_b64 off, v[0:1], s32 offset:192
	scratch_store_b64 off, v[2:3], s32 offset:1020
.LBB216_2863:                           ;   in Loop: Header=BB216_2096 Depth=1
	s_wait_xcnt 0x0
	s_or_b32 exec_lo, exec_lo, s2
.LBB216_2864:                           ;   in Loop: Header=BB216_2096 Depth=1
	s_delay_alu instid0(SALU_CYCLE_1)
	s_or_b32 exec_lo, exec_lo, s1
.LBB216_2865:                           ;   in Loop: Header=BB216_2096 Depth=1
	s_delay_alu instid0(SALU_CYCLE_1)
	s_or_b32 exec_lo, exec_lo, s0
	flat_load_b32 v0, v[24:25] offset:3072
	v_mov_b64_e32 v[2:3], 0
	s_mov_b32 s0, exec_lo
	scratch_store_b64 off, v[2:3], s32 offset:1036 ; 8-byte Folded Spill
	s_wait_xcnt 0x0
	v_mov_b64_e32 v[2:3], 0
	scratch_store_b64 off, v[2:3], s32 offset:1044 ; 8-byte Folded Spill
	s_wait_loadcnt_dscnt 0x0
	v_and_b32_e32 v1, 0xff, v0
	s_wait_xcnt 0x0
	s_delay_alu instid0(VALU_DEP_1)
	v_cmpx_ne_u16_e32 0, v1
	s_cbranch_execz .LBB216_2873
; %bb.2866:                             ;   in Loop: Header=BB216_2096 Depth=1
	v_mov_b64_e32 v[2:3], 0x80000000
	s_mov_b32 s1, exec_lo
	scratch_store_b64 off, v[2:3], s32 offset:1044 ; 8-byte Folded Spill
	s_wait_xcnt 0x0
	v_cmpx_ne_u16_e32 0x80, v1
	s_cbranch_execz .LBB216_2872
; %bb.2867:                             ;   in Loop: Header=BB216_2096 Depth=1
	v_mov_b64_e32 v[4:5], 0x7f800001
	v_and_b32_e32 v2, 0x7f, v0
	s_mov_b32 s2, exec_lo
	scratch_store_b64 off, v[4:5], s32 offset:1044 ; 8-byte Folded Spill
	s_wait_xcnt 0x0
	v_cmpx_ne_u32_e32 0x7f, v2
	s_cbranch_execz .LBB216_2871
; %bb.2868:                             ;   in Loop: Header=BB216_2096 Depth=1
	scratch_load_b64 v[4:5], off, s32 offset:192 th:TH_LOAD_LU ; 8-byte Folded Reload
	s_wait_loadcnt 0x0
	v_dual_lshrrev_b32 v1, 3, v2 :: v_dual_bitop2_b32 v4, 7, v0 bitop3:0x40
	s_mov_b32 s3, exec_lo
	s_wait_xcnt 0x0
	v_cmpx_gt_u32_e32 8, v2
; %bb.2869:                             ;   in Loop: Header=BB216_2096 Depth=1
	s_delay_alu instid0(VALU_DEP_2) | instskip(NEXT) | instid1(VALU_DEP_1)
	v_clz_i32_u32_e32 v1, v4
	v_min_u32_e32 v1, 32, v1
	s_delay_alu instid0(VALU_DEP_1) | instskip(NEXT) | instid1(VALU_DEP_1)
	v_subrev_nc_u32_e32 v2, 28, v1
	v_lshlrev_b64_e32 v[2:3], v2, v[4:5]
	s_delay_alu instid0(VALU_DEP_1)
	v_dual_sub_nc_u32 v1, 29, v1 :: v_dual_bitop2_b32 v4, 7, v2 bitop3:0x40
; %bb.2870:                             ;   in Loop: Header=BB216_2096 Depth=1
	s_or_b32 exec_lo, exec_lo, s3
	v_lshlrev_b32_e32 v2, 24, v0
	s_delay_alu instid0(VALU_DEP_2) | instskip(NEXT) | instid1(VALU_DEP_3)
	v_lshlrev_b32_e32 v3, 20, v4
	v_lshl_add_u32 v1, v1, 23, 0x3c000000
	s_delay_alu instid0(VALU_DEP_3) | instskip(NEXT) | instid1(VALU_DEP_1)
	v_and_b32_e32 v2, 0x80000000, v2
	v_or3_b32 v4, v3, v2, v1
	v_mov_b32_e32 v1, v5
	s_clause 0x1
	scratch_store_b64 off, v[0:1], s32 offset:192
	scratch_store_b64 off, v[4:5], s32 offset:1044
.LBB216_2871:                           ;   in Loop: Header=BB216_2096 Depth=1
	s_wait_xcnt 0x0
	s_or_b32 exec_lo, exec_lo, s2
.LBB216_2872:                           ;   in Loop: Header=BB216_2096 Depth=1
	s_delay_alu instid0(SALU_CYCLE_1)
	s_or_b32 exec_lo, exec_lo, s1
.LBB216_2873:                           ;   in Loop: Header=BB216_2096 Depth=1
	s_delay_alu instid0(SALU_CYCLE_1) | instskip(SKIP_2) | instid1(VALU_DEP_1)
	s_or_b32 exec_lo, exec_lo, s0
	v_lshrrev_b16 v1, 8, v0
	s_mov_b32 s0, exec_lo
	v_cmpx_ne_u16_e32 0, v1
	s_cbranch_execz .LBB216_2881
; %bb.2874:                             ;   in Loop: Header=BB216_2096 Depth=1
	v_mov_b64_e32 v[2:3], 0x8000000000000000
	s_mov_b32 s1, exec_lo
	scratch_store_b64 off, v[2:3], s32 offset:1036 ; 8-byte Folded Spill
	s_wait_xcnt 0x0
	v_cmpx_ne_u16_e32 0x80, v1
	s_cbranch_execz .LBB216_2880
; %bb.2875:                             ;   in Loop: Header=BB216_2096 Depth=1
	v_and_b32_e32 v1, 0xffff, v1
	v_mov_b64_e32 v[4:5], 0x7f80000100000000
	s_mov_b32 s2, exec_lo
	s_delay_alu instid0(VALU_DEP_2)
	v_and_b32_e32 v2, 0x7f, v1
	scratch_store_b64 off, v[4:5], s32 offset:1036 ; 8-byte Folded Spill
	s_wait_xcnt 0x0
	v_cmpx_ne_u32_e32 0x7f, v2
	s_cbranch_execz .LBB216_2879
; %bb.2876:                             ;   in Loop: Header=BB216_2096 Depth=1
	scratch_load_b64 v[4:5], off, s32 offset:192 th:TH_LOAD_LU ; 8-byte Folded Reload
	s_wait_loadcnt 0x0
	v_dual_lshrrev_b32 v1, 3, v2 :: v_dual_bitop2_b32 v4, 7, v1 bitop3:0x40
	s_mov_b32 s3, exec_lo
	s_wait_xcnt 0x0
	v_cmpx_gt_u32_e32 8, v2
; %bb.2877:                             ;   in Loop: Header=BB216_2096 Depth=1
	s_delay_alu instid0(VALU_DEP_2) | instskip(NEXT) | instid1(VALU_DEP_1)
	v_clz_i32_u32_e32 v1, v4
	v_min_u32_e32 v1, 32, v1
	s_delay_alu instid0(VALU_DEP_1) | instskip(NEXT) | instid1(VALU_DEP_1)
	v_subrev_nc_u32_e32 v2, 28, v1
	v_lshlrev_b64_e32 v[2:3], v2, v[4:5]
	s_delay_alu instid0(VALU_DEP_1)
	v_dual_sub_nc_u32 v1, 29, v1 :: v_dual_bitop2_b32 v4, 7, v2 bitop3:0x40
; %bb.2878:                             ;   in Loop: Header=BB216_2096 Depth=1
	s_or_b32 exec_lo, exec_lo, s3
	v_lshlrev_b32_e32 v2, 16, v0
	s_delay_alu instid0(VALU_DEP_2) | instskip(NEXT) | instid1(VALU_DEP_3)
	v_lshlrev_b32_e32 v3, 20, v4
	v_lshl_add_u32 v1, v1, 23, 0x3c000000
	s_delay_alu instid0(VALU_DEP_3) | instskip(NEXT) | instid1(VALU_DEP_1)
	v_and_b32_e32 v2, 0x80000000, v2
	v_or3_b32 v3, v3, v2, v1
	v_dual_mov_b32 v1, v5 :: v_dual_mov_b32 v2, v5
	s_clause 0x1
	scratch_store_b64 off, v[0:1], s32 offset:192
	scratch_store_b64 off, v[2:3], s32 offset:1036
.LBB216_2879:                           ;   in Loop: Header=BB216_2096 Depth=1
	s_wait_xcnt 0x0
	s_or_b32 exec_lo, exec_lo, s2
.LBB216_2880:                           ;   in Loop: Header=BB216_2096 Depth=1
	s_delay_alu instid0(SALU_CYCLE_1)
	s_or_b32 exec_lo, exec_lo, s1
.LBB216_2881:                           ;   in Loop: Header=BB216_2096 Depth=1
	s_delay_alu instid0(SALU_CYCLE_1) | instskip(SKIP_3) | instid1(VALU_DEP_1)
	s_or_b32 exec_lo, exec_lo, s0
	v_mov_b64_e32 v[4:5], 0
	v_lshrrev_b32_e32 v1, 16, v0
	s_mov_b32 s0, exec_lo
	v_and_b32_e32 v2, 0xff, v1
	scratch_store_b64 off, v[4:5], s32 offset:1052 ; 8-byte Folded Spill
	s_wait_xcnt 0x0
	v_mov_b64_e32 v[4:5], 0
	scratch_store_b64 off, v[4:5], s32 offset:1060 ; 8-byte Folded Spill
	s_wait_xcnt 0x0
	v_cmpx_ne_u16_e32 0, v2
	s_cbranch_execz .LBB216_2889
; %bb.2882:                             ;   in Loop: Header=BB216_2096 Depth=1
	v_cmp_ne_u16_e32 vcc_lo, 0x80, v2
	v_mov_b64_e32 v[2:3], 0x80000000
	scratch_store_b64 off, v[2:3], s32 offset:1060 ; 8-byte Folded Spill
	s_wait_xcnt 0x0
	s_and_saveexec_b32 s1, vcc_lo
	s_cbranch_execz .LBB216_2888
; %bb.2883:                             ;   in Loop: Header=BB216_2096 Depth=1
	v_mov_b64_e32 v[4:5], 0x7f800001
	v_bfe_u32 v3, v0, 16, 7
	s_mov_b32 s2, exec_lo
	scratch_store_b64 off, v[4:5], s32 offset:1060 ; 8-byte Folded Spill
	s_wait_xcnt 0x0
	v_cmpx_ne_u32_e32 0x7f, v3
	s_cbranch_execz .LBB216_2887
; %bb.2884:                             ;   in Loop: Header=BB216_2096 Depth=1
	scratch_load_b64 v[6:7], off, s32 offset:192 th:TH_LOAD_LU ; 8-byte Folded Reload
	s_wait_loadcnt 0x0
	v_dual_lshrrev_b32 v2, 3, v3 :: v_dual_bitop2_b32 v6, 7, v1 bitop3:0x40
	s_mov_b32 s3, exec_lo
	s_wait_xcnt 0x0
	v_cmpx_gt_u32_e32 8, v3
; %bb.2885:                             ;   in Loop: Header=BB216_2096 Depth=1
	s_delay_alu instid0(VALU_DEP_2) | instskip(NEXT) | instid1(VALU_DEP_1)
	v_clz_i32_u32_e32 v2, v6
	v_min_u32_e32 v2, 32, v2
	s_delay_alu instid0(VALU_DEP_1) | instskip(NEXT) | instid1(VALU_DEP_1)
	v_subrev_nc_u32_e32 v3, 28, v2
	v_lshlrev_b64_e32 v[4:5], v3, v[6:7]
	s_delay_alu instid0(VALU_DEP_1)
	v_dual_sub_nc_u32 v2, 29, v2 :: v_dual_bitop2_b32 v6, 7, v4 bitop3:0x40
; %bb.2886:                             ;   in Loop: Header=BB216_2096 Depth=1
	s_or_b32 exec_lo, exec_lo, s3
	s_delay_alu instid0(VALU_DEP_1) | instskip(NEXT) | instid1(VALU_DEP_2)
	v_dual_lshlrev_b32 v1, 24, v1 :: v_dual_lshlrev_b32 v3, 20, v6
	v_lshl_add_u32 v2, v2, 23, 0x3c000000
	s_delay_alu instid0(VALU_DEP_2) | instskip(NEXT) | instid1(VALU_DEP_1)
	v_and_b32_e32 v1, 0x80000000, v1
	v_or3_b32 v6, v3, v1, v2
	v_mov_b32_e32 v1, v7
	s_clause 0x1
	scratch_store_b64 off, v[0:1], s32 offset:192
	scratch_store_b64 off, v[6:7], s32 offset:1060
.LBB216_2887:                           ;   in Loop: Header=BB216_2096 Depth=1
	s_wait_xcnt 0x0
	s_or_b32 exec_lo, exec_lo, s2
.LBB216_2888:                           ;   in Loop: Header=BB216_2096 Depth=1
	s_delay_alu instid0(SALU_CYCLE_1)
	s_or_b32 exec_lo, exec_lo, s1
.LBB216_2889:                           ;   in Loop: Header=BB216_2096 Depth=1
	s_delay_alu instid0(SALU_CYCLE_1) | instskip(NEXT) | instid1(SALU_CYCLE_1)
	s_or_b32 exec_lo, exec_lo, s0
	s_mov_b32 s0, exec_lo
	v_cmpx_lt_u32_e32 0xffffff, v0
	s_cbranch_execz .LBB216_2897
; %bb.2890:                             ;   in Loop: Header=BB216_2096 Depth=1
	v_mov_b64_e32 v[2:3], 0x8000000000000000
	v_lshrrev_b32_e32 v1, 24, v0
	s_mov_b32 s1, exec_lo
	scratch_store_b64 off, v[2:3], s32 offset:1052 ; 8-byte Folded Spill
	s_wait_xcnt 0x0
	v_cmpx_ne_u32_e32 0x80, v1
	s_cbranch_execz .LBB216_2896
; %bb.2891:                             ;   in Loop: Header=BB216_2096 Depth=1
	v_mov_b64_e32 v[4:5], 0x7f80000100000000
	v_bfe_u32 v2, v0, 24, 7
	s_mov_b32 s2, exec_lo
	scratch_store_b64 off, v[4:5], s32 offset:1052 ; 8-byte Folded Spill
	s_wait_xcnt 0x0
	v_cmpx_ne_u32_e32 0x7f, v2
	s_cbranch_execz .LBB216_2895
; %bb.2892:                             ;   in Loop: Header=BB216_2096 Depth=1
	scratch_load_b64 v[4:5], off, s32 offset:192 th:TH_LOAD_LU ; 8-byte Folded Reload
	s_wait_loadcnt 0x0
	v_dual_lshrrev_b32 v0, 3, v2 :: v_dual_bitop2_b32 v4, 7, v1 bitop3:0x40
	s_mov_b32 s3, exec_lo
	s_wait_xcnt 0x0
	v_cmpx_gt_u32_e32 8, v2
; %bb.2893:                             ;   in Loop: Header=BB216_2096 Depth=1
	s_delay_alu instid0(VALU_DEP_2) | instskip(NEXT) | instid1(VALU_DEP_1)
	v_clz_i32_u32_e32 v0, v4
	v_min_u32_e32 v0, 32, v0
	s_delay_alu instid0(VALU_DEP_1) | instskip(NEXT) | instid1(VALU_DEP_1)
	v_subrev_nc_u32_e32 v2, 28, v0
	v_lshlrev_b64_e32 v[2:3], v2, v[4:5]
	s_delay_alu instid0(VALU_DEP_1)
	v_dual_sub_nc_u32 v0, 29, v0 :: v_dual_bitop2_b32 v4, 7, v2 bitop3:0x40
; %bb.2894:                             ;   in Loop: Header=BB216_2096 Depth=1
	s_or_b32 exec_lo, exec_lo, s3
	s_delay_alu instid0(VALU_DEP_1) | instskip(NEXT) | instid1(VALU_DEP_2)
	v_dual_lshlrev_b32 v1, 24, v1 :: v_dual_lshlrev_b32 v2, 20, v4
	v_lshl_add_u32 v0, v0, 23, 0x3c000000
	s_delay_alu instid0(VALU_DEP_2) | instskip(NEXT) | instid1(VALU_DEP_1)
	v_and_b32_e32 v1, 0x80000000, v1
	v_or3_b32 v3, v2, v1, v0
	v_dual_mov_b32 v1, v5 :: v_dual_mov_b32 v2, v5
	s_clause 0x1
	scratch_store_b64 off, v[0:1], s32 offset:192
	scratch_store_b64 off, v[2:3], s32 offset:1052
.LBB216_2895:                           ;   in Loop: Header=BB216_2096 Depth=1
	s_wait_xcnt 0x0
	s_or_b32 exec_lo, exec_lo, s2
.LBB216_2896:                           ;   in Loop: Header=BB216_2096 Depth=1
	s_delay_alu instid0(SALU_CYCLE_1)
	s_or_b32 exec_lo, exec_lo, s1
.LBB216_2897:                           ;   in Loop: Header=BB216_2096 Depth=1
	s_delay_alu instid0(SALU_CYCLE_1)
	s_or_b32 exec_lo, exec_lo, s0
	flat_load_b32 v0, v[24:25] offset:3200
	v_mov_b64_e32 v[2:3], 0
	s_mov_b32 s0, exec_lo
	scratch_store_b64 off, v[2:3], s32 offset:1068 ; 8-byte Folded Spill
	s_wait_xcnt 0x0
	v_mov_b64_e32 v[2:3], 0
	scratch_store_b64 off, v[2:3], s32 offset:1076 ; 8-byte Folded Spill
	s_wait_loadcnt_dscnt 0x0
	v_and_b32_e32 v1, 0xff, v0
	s_wait_xcnt 0x0
	s_delay_alu instid0(VALU_DEP_1)
	v_cmpx_ne_u16_e32 0, v1
	s_cbranch_execz .LBB216_2905
; %bb.2898:                             ;   in Loop: Header=BB216_2096 Depth=1
	v_mov_b64_e32 v[2:3], 0x80000000
	s_mov_b32 s1, exec_lo
	scratch_store_b64 off, v[2:3], s32 offset:1076 ; 8-byte Folded Spill
	s_wait_xcnt 0x0
	v_cmpx_ne_u16_e32 0x80, v1
	s_cbranch_execz .LBB216_2904
; %bb.2899:                             ;   in Loop: Header=BB216_2096 Depth=1
	v_mov_b64_e32 v[4:5], 0x7f800001
	v_and_b32_e32 v2, 0x7f, v0
	s_mov_b32 s2, exec_lo
	scratch_store_b64 off, v[4:5], s32 offset:1076 ; 8-byte Folded Spill
	s_wait_xcnt 0x0
	v_cmpx_ne_u32_e32 0x7f, v2
	s_cbranch_execz .LBB216_2903
; %bb.2900:                             ;   in Loop: Header=BB216_2096 Depth=1
	scratch_load_b64 v[4:5], off, s32 offset:192 th:TH_LOAD_LU ; 8-byte Folded Reload
	s_wait_loadcnt 0x0
	v_dual_lshrrev_b32 v1, 3, v2 :: v_dual_bitop2_b32 v4, 7, v0 bitop3:0x40
	s_mov_b32 s3, exec_lo
	s_wait_xcnt 0x0
	v_cmpx_gt_u32_e32 8, v2
; %bb.2901:                             ;   in Loop: Header=BB216_2096 Depth=1
	s_delay_alu instid0(VALU_DEP_2) | instskip(NEXT) | instid1(VALU_DEP_1)
	v_clz_i32_u32_e32 v1, v4
	v_min_u32_e32 v1, 32, v1
	s_delay_alu instid0(VALU_DEP_1) | instskip(NEXT) | instid1(VALU_DEP_1)
	v_subrev_nc_u32_e32 v2, 28, v1
	v_lshlrev_b64_e32 v[2:3], v2, v[4:5]
	s_delay_alu instid0(VALU_DEP_1)
	v_dual_sub_nc_u32 v1, 29, v1 :: v_dual_bitop2_b32 v4, 7, v2 bitop3:0x40
; %bb.2902:                             ;   in Loop: Header=BB216_2096 Depth=1
	s_or_b32 exec_lo, exec_lo, s3
	v_lshlrev_b32_e32 v2, 24, v0
	s_delay_alu instid0(VALU_DEP_2) | instskip(NEXT) | instid1(VALU_DEP_3)
	v_lshlrev_b32_e32 v3, 20, v4
	v_lshl_add_u32 v1, v1, 23, 0x3c000000
	s_delay_alu instid0(VALU_DEP_3) | instskip(NEXT) | instid1(VALU_DEP_1)
	v_and_b32_e32 v2, 0x80000000, v2
	v_or3_b32 v4, v3, v2, v1
	v_mov_b32_e32 v1, v5
	s_clause 0x1
	scratch_store_b64 off, v[0:1], s32 offset:192
	scratch_store_b64 off, v[4:5], s32 offset:1076
.LBB216_2903:                           ;   in Loop: Header=BB216_2096 Depth=1
	s_wait_xcnt 0x0
	s_or_b32 exec_lo, exec_lo, s2
.LBB216_2904:                           ;   in Loop: Header=BB216_2096 Depth=1
	s_delay_alu instid0(SALU_CYCLE_1)
	s_or_b32 exec_lo, exec_lo, s1
.LBB216_2905:                           ;   in Loop: Header=BB216_2096 Depth=1
	s_delay_alu instid0(SALU_CYCLE_1) | instskip(SKIP_2) | instid1(VALU_DEP_1)
	s_or_b32 exec_lo, exec_lo, s0
	v_lshrrev_b16 v1, 8, v0
	s_mov_b32 s0, exec_lo
	v_cmpx_ne_u16_e32 0, v1
	s_cbranch_execz .LBB216_2913
; %bb.2906:                             ;   in Loop: Header=BB216_2096 Depth=1
	v_mov_b64_e32 v[2:3], 0x8000000000000000
	s_mov_b32 s1, exec_lo
	scratch_store_b64 off, v[2:3], s32 offset:1068 ; 8-byte Folded Spill
	s_wait_xcnt 0x0
	v_cmpx_ne_u16_e32 0x80, v1
	s_cbranch_execz .LBB216_2912
; %bb.2907:                             ;   in Loop: Header=BB216_2096 Depth=1
	v_and_b32_e32 v1, 0xffff, v1
	v_mov_b64_e32 v[4:5], 0x7f80000100000000
	s_mov_b32 s2, exec_lo
	s_delay_alu instid0(VALU_DEP_2)
	v_and_b32_e32 v2, 0x7f, v1
	scratch_store_b64 off, v[4:5], s32 offset:1068 ; 8-byte Folded Spill
	s_wait_xcnt 0x0
	v_cmpx_ne_u32_e32 0x7f, v2
	s_cbranch_execz .LBB216_2911
; %bb.2908:                             ;   in Loop: Header=BB216_2096 Depth=1
	scratch_load_b64 v[4:5], off, s32 offset:192 th:TH_LOAD_LU ; 8-byte Folded Reload
	s_wait_loadcnt 0x0
	v_dual_lshrrev_b32 v1, 3, v2 :: v_dual_bitop2_b32 v4, 7, v1 bitop3:0x40
	s_mov_b32 s3, exec_lo
	s_wait_xcnt 0x0
	v_cmpx_gt_u32_e32 8, v2
; %bb.2909:                             ;   in Loop: Header=BB216_2096 Depth=1
	s_delay_alu instid0(VALU_DEP_2) | instskip(NEXT) | instid1(VALU_DEP_1)
	v_clz_i32_u32_e32 v1, v4
	v_min_u32_e32 v1, 32, v1
	s_delay_alu instid0(VALU_DEP_1) | instskip(NEXT) | instid1(VALU_DEP_1)
	v_subrev_nc_u32_e32 v2, 28, v1
	v_lshlrev_b64_e32 v[2:3], v2, v[4:5]
	s_delay_alu instid0(VALU_DEP_1)
	v_dual_sub_nc_u32 v1, 29, v1 :: v_dual_bitop2_b32 v4, 7, v2 bitop3:0x40
; %bb.2910:                             ;   in Loop: Header=BB216_2096 Depth=1
	s_or_b32 exec_lo, exec_lo, s3
	v_lshlrev_b32_e32 v2, 16, v0
	s_delay_alu instid0(VALU_DEP_2) | instskip(NEXT) | instid1(VALU_DEP_3)
	v_lshlrev_b32_e32 v3, 20, v4
	v_lshl_add_u32 v1, v1, 23, 0x3c000000
	s_delay_alu instid0(VALU_DEP_3) | instskip(NEXT) | instid1(VALU_DEP_1)
	v_and_b32_e32 v2, 0x80000000, v2
	v_or3_b32 v3, v3, v2, v1
	v_dual_mov_b32 v1, v5 :: v_dual_mov_b32 v2, v5
	s_clause 0x1
	scratch_store_b64 off, v[0:1], s32 offset:192
	scratch_store_b64 off, v[2:3], s32 offset:1068
.LBB216_2911:                           ;   in Loop: Header=BB216_2096 Depth=1
	s_wait_xcnt 0x0
	s_or_b32 exec_lo, exec_lo, s2
.LBB216_2912:                           ;   in Loop: Header=BB216_2096 Depth=1
	s_delay_alu instid0(SALU_CYCLE_1)
	s_or_b32 exec_lo, exec_lo, s1
.LBB216_2913:                           ;   in Loop: Header=BB216_2096 Depth=1
	s_delay_alu instid0(SALU_CYCLE_1) | instskip(SKIP_3) | instid1(VALU_DEP_1)
	s_or_b32 exec_lo, exec_lo, s0
	v_mov_b64_e32 v[4:5], 0
	v_lshrrev_b32_e32 v1, 16, v0
	s_mov_b32 s0, exec_lo
	v_and_b32_e32 v2, 0xff, v1
	scratch_store_b64 off, v[4:5], s32 offset:1084 ; 8-byte Folded Spill
	s_wait_xcnt 0x0
	v_mov_b64_e32 v[4:5], 0
	scratch_store_b64 off, v[4:5], s32 offset:1092 ; 8-byte Folded Spill
	s_wait_xcnt 0x0
	v_cmpx_ne_u16_e32 0, v2
	s_cbranch_execz .LBB216_2921
; %bb.2914:                             ;   in Loop: Header=BB216_2096 Depth=1
	v_cmp_ne_u16_e32 vcc_lo, 0x80, v2
	v_mov_b64_e32 v[2:3], 0x80000000
	scratch_store_b64 off, v[2:3], s32 offset:1092 ; 8-byte Folded Spill
	s_wait_xcnt 0x0
	s_and_saveexec_b32 s1, vcc_lo
	s_cbranch_execz .LBB216_2920
; %bb.2915:                             ;   in Loop: Header=BB216_2096 Depth=1
	v_mov_b64_e32 v[4:5], 0x7f800001
	v_bfe_u32 v3, v0, 16, 7
	s_mov_b32 s2, exec_lo
	scratch_store_b64 off, v[4:5], s32 offset:1092 ; 8-byte Folded Spill
	s_wait_xcnt 0x0
	v_cmpx_ne_u32_e32 0x7f, v3
	s_cbranch_execz .LBB216_2919
; %bb.2916:                             ;   in Loop: Header=BB216_2096 Depth=1
	scratch_load_b64 v[6:7], off, s32 offset:192 th:TH_LOAD_LU ; 8-byte Folded Reload
	s_wait_loadcnt 0x0
	v_dual_lshrrev_b32 v2, 3, v3 :: v_dual_bitop2_b32 v6, 7, v1 bitop3:0x40
	s_mov_b32 s3, exec_lo
	s_wait_xcnt 0x0
	v_cmpx_gt_u32_e32 8, v3
; %bb.2917:                             ;   in Loop: Header=BB216_2096 Depth=1
	s_delay_alu instid0(VALU_DEP_2) | instskip(NEXT) | instid1(VALU_DEP_1)
	v_clz_i32_u32_e32 v2, v6
	v_min_u32_e32 v2, 32, v2
	s_delay_alu instid0(VALU_DEP_1) | instskip(NEXT) | instid1(VALU_DEP_1)
	v_subrev_nc_u32_e32 v3, 28, v2
	v_lshlrev_b64_e32 v[4:5], v3, v[6:7]
	s_delay_alu instid0(VALU_DEP_1)
	v_dual_sub_nc_u32 v2, 29, v2 :: v_dual_bitop2_b32 v6, 7, v4 bitop3:0x40
; %bb.2918:                             ;   in Loop: Header=BB216_2096 Depth=1
	s_or_b32 exec_lo, exec_lo, s3
	s_delay_alu instid0(VALU_DEP_1) | instskip(NEXT) | instid1(VALU_DEP_2)
	v_dual_lshlrev_b32 v1, 24, v1 :: v_dual_lshlrev_b32 v3, 20, v6
	v_lshl_add_u32 v2, v2, 23, 0x3c000000
	s_delay_alu instid0(VALU_DEP_2) | instskip(NEXT) | instid1(VALU_DEP_1)
	v_and_b32_e32 v1, 0x80000000, v1
	v_or3_b32 v6, v3, v1, v2
	v_mov_b32_e32 v1, v7
	s_clause 0x1
	scratch_store_b64 off, v[0:1], s32 offset:192
	scratch_store_b64 off, v[6:7], s32 offset:1092
.LBB216_2919:                           ;   in Loop: Header=BB216_2096 Depth=1
	s_wait_xcnt 0x0
	s_or_b32 exec_lo, exec_lo, s2
.LBB216_2920:                           ;   in Loop: Header=BB216_2096 Depth=1
	s_delay_alu instid0(SALU_CYCLE_1)
	s_or_b32 exec_lo, exec_lo, s1
.LBB216_2921:                           ;   in Loop: Header=BB216_2096 Depth=1
	s_delay_alu instid0(SALU_CYCLE_1) | instskip(NEXT) | instid1(SALU_CYCLE_1)
	s_or_b32 exec_lo, exec_lo, s0
	s_mov_b32 s0, exec_lo
	v_cmpx_lt_u32_e32 0xffffff, v0
	s_cbranch_execz .LBB216_2929
; %bb.2922:                             ;   in Loop: Header=BB216_2096 Depth=1
	v_mov_b64_e32 v[2:3], 0x8000000000000000
	v_lshrrev_b32_e32 v1, 24, v0
	s_mov_b32 s1, exec_lo
	scratch_store_b64 off, v[2:3], s32 offset:1084 ; 8-byte Folded Spill
	s_wait_xcnt 0x0
	v_cmpx_ne_u32_e32 0x80, v1
	s_cbranch_execz .LBB216_2928
; %bb.2923:                             ;   in Loop: Header=BB216_2096 Depth=1
	v_mov_b64_e32 v[4:5], 0x7f80000100000000
	v_bfe_u32 v2, v0, 24, 7
	s_mov_b32 s2, exec_lo
	scratch_store_b64 off, v[4:5], s32 offset:1084 ; 8-byte Folded Spill
	s_wait_xcnt 0x0
	v_cmpx_ne_u32_e32 0x7f, v2
	s_cbranch_execz .LBB216_2927
; %bb.2924:                             ;   in Loop: Header=BB216_2096 Depth=1
	scratch_load_b64 v[4:5], off, s32 offset:192 th:TH_LOAD_LU ; 8-byte Folded Reload
	s_wait_loadcnt 0x0
	v_dual_lshrrev_b32 v0, 3, v2 :: v_dual_bitop2_b32 v4, 7, v1 bitop3:0x40
	s_mov_b32 s3, exec_lo
	s_wait_xcnt 0x0
	v_cmpx_gt_u32_e32 8, v2
; %bb.2925:                             ;   in Loop: Header=BB216_2096 Depth=1
	s_delay_alu instid0(VALU_DEP_2) | instskip(NEXT) | instid1(VALU_DEP_1)
	v_clz_i32_u32_e32 v0, v4
	v_min_u32_e32 v0, 32, v0
	s_delay_alu instid0(VALU_DEP_1) | instskip(NEXT) | instid1(VALU_DEP_1)
	v_subrev_nc_u32_e32 v2, 28, v0
	v_lshlrev_b64_e32 v[2:3], v2, v[4:5]
	s_delay_alu instid0(VALU_DEP_1)
	v_dual_sub_nc_u32 v0, 29, v0 :: v_dual_bitop2_b32 v4, 7, v2 bitop3:0x40
; %bb.2926:                             ;   in Loop: Header=BB216_2096 Depth=1
	s_or_b32 exec_lo, exec_lo, s3
	s_delay_alu instid0(VALU_DEP_1) | instskip(NEXT) | instid1(VALU_DEP_2)
	v_dual_lshlrev_b32 v1, 24, v1 :: v_dual_lshlrev_b32 v2, 20, v4
	v_lshl_add_u32 v0, v0, 23, 0x3c000000
	s_delay_alu instid0(VALU_DEP_2) | instskip(NEXT) | instid1(VALU_DEP_1)
	v_and_b32_e32 v1, 0x80000000, v1
	v_or3_b32 v3, v2, v1, v0
	v_dual_mov_b32 v1, v5 :: v_dual_mov_b32 v2, v5
	s_clause 0x1
	scratch_store_b64 off, v[0:1], s32 offset:192
	scratch_store_b64 off, v[2:3], s32 offset:1084
.LBB216_2927:                           ;   in Loop: Header=BB216_2096 Depth=1
	s_wait_xcnt 0x0
	s_or_b32 exec_lo, exec_lo, s2
.LBB216_2928:                           ;   in Loop: Header=BB216_2096 Depth=1
	s_delay_alu instid0(SALU_CYCLE_1)
	s_or_b32 exec_lo, exec_lo, s1
.LBB216_2929:                           ;   in Loop: Header=BB216_2096 Depth=1
	s_delay_alu instid0(SALU_CYCLE_1)
	s_or_b32 exec_lo, exec_lo, s0
	flat_load_b32 v0, v[24:25] offset:3328
	v_mov_b64_e32 v[2:3], 0
	s_mov_b32 s0, exec_lo
	scratch_store_b64 off, v[2:3], s32 offset:1100 ; 8-byte Folded Spill
	s_wait_xcnt 0x0
	v_mov_b64_e32 v[2:3], 0
	scratch_store_b64 off, v[2:3], s32 offset:1108 ; 8-byte Folded Spill
	s_wait_loadcnt_dscnt 0x0
	v_and_b32_e32 v1, 0xff, v0
	s_wait_xcnt 0x0
	s_delay_alu instid0(VALU_DEP_1)
	v_cmpx_ne_u16_e32 0, v1
	s_cbranch_execz .LBB216_2937
; %bb.2930:                             ;   in Loop: Header=BB216_2096 Depth=1
	v_mov_b64_e32 v[2:3], 0x80000000
	s_mov_b32 s1, exec_lo
	scratch_store_b64 off, v[2:3], s32 offset:1108 ; 8-byte Folded Spill
	s_wait_xcnt 0x0
	v_cmpx_ne_u16_e32 0x80, v1
	s_cbranch_execz .LBB216_2936
; %bb.2931:                             ;   in Loop: Header=BB216_2096 Depth=1
	v_mov_b64_e32 v[4:5], 0x7f800001
	v_and_b32_e32 v2, 0x7f, v0
	s_mov_b32 s2, exec_lo
	scratch_store_b64 off, v[4:5], s32 offset:1108 ; 8-byte Folded Spill
	s_wait_xcnt 0x0
	v_cmpx_ne_u32_e32 0x7f, v2
	s_cbranch_execz .LBB216_2935
; %bb.2932:                             ;   in Loop: Header=BB216_2096 Depth=1
	scratch_load_b64 v[4:5], off, s32 offset:192 th:TH_LOAD_LU ; 8-byte Folded Reload
	s_wait_loadcnt 0x0
	v_dual_lshrrev_b32 v1, 3, v2 :: v_dual_bitop2_b32 v4, 7, v0 bitop3:0x40
	s_mov_b32 s3, exec_lo
	s_wait_xcnt 0x0
	v_cmpx_gt_u32_e32 8, v2
; %bb.2933:                             ;   in Loop: Header=BB216_2096 Depth=1
	s_delay_alu instid0(VALU_DEP_2) | instskip(NEXT) | instid1(VALU_DEP_1)
	v_clz_i32_u32_e32 v1, v4
	v_min_u32_e32 v1, 32, v1
	s_delay_alu instid0(VALU_DEP_1) | instskip(NEXT) | instid1(VALU_DEP_1)
	v_subrev_nc_u32_e32 v2, 28, v1
	v_lshlrev_b64_e32 v[2:3], v2, v[4:5]
	s_delay_alu instid0(VALU_DEP_1)
	v_dual_sub_nc_u32 v1, 29, v1 :: v_dual_bitop2_b32 v4, 7, v2 bitop3:0x40
; %bb.2934:                             ;   in Loop: Header=BB216_2096 Depth=1
	s_or_b32 exec_lo, exec_lo, s3
	v_lshlrev_b32_e32 v2, 24, v0
	s_delay_alu instid0(VALU_DEP_2) | instskip(NEXT) | instid1(VALU_DEP_3)
	v_lshlrev_b32_e32 v3, 20, v4
	v_lshl_add_u32 v1, v1, 23, 0x3c000000
	s_delay_alu instid0(VALU_DEP_3) | instskip(NEXT) | instid1(VALU_DEP_1)
	v_and_b32_e32 v2, 0x80000000, v2
	v_or3_b32 v4, v3, v2, v1
	v_mov_b32_e32 v1, v5
	s_clause 0x1
	scratch_store_b64 off, v[0:1], s32 offset:192
	scratch_store_b64 off, v[4:5], s32 offset:1108
.LBB216_2935:                           ;   in Loop: Header=BB216_2096 Depth=1
	s_wait_xcnt 0x0
	s_or_b32 exec_lo, exec_lo, s2
.LBB216_2936:                           ;   in Loop: Header=BB216_2096 Depth=1
	s_delay_alu instid0(SALU_CYCLE_1)
	s_or_b32 exec_lo, exec_lo, s1
.LBB216_2937:                           ;   in Loop: Header=BB216_2096 Depth=1
	s_delay_alu instid0(SALU_CYCLE_1) | instskip(SKIP_2) | instid1(VALU_DEP_1)
	s_or_b32 exec_lo, exec_lo, s0
	v_lshrrev_b16 v1, 8, v0
	s_mov_b32 s0, exec_lo
	v_cmpx_ne_u16_e32 0, v1
	s_cbranch_execz .LBB216_2945
; %bb.2938:                             ;   in Loop: Header=BB216_2096 Depth=1
	v_mov_b64_e32 v[2:3], 0x8000000000000000
	s_mov_b32 s1, exec_lo
	scratch_store_b64 off, v[2:3], s32 offset:1100 ; 8-byte Folded Spill
	s_wait_xcnt 0x0
	v_cmpx_ne_u16_e32 0x80, v1
	s_cbranch_execz .LBB216_2944
; %bb.2939:                             ;   in Loop: Header=BB216_2096 Depth=1
	v_and_b32_e32 v1, 0xffff, v1
	v_mov_b64_e32 v[4:5], 0x7f80000100000000
	s_mov_b32 s2, exec_lo
	s_delay_alu instid0(VALU_DEP_2)
	v_and_b32_e32 v2, 0x7f, v1
	scratch_store_b64 off, v[4:5], s32 offset:1100 ; 8-byte Folded Spill
	s_wait_xcnt 0x0
	v_cmpx_ne_u32_e32 0x7f, v2
	s_cbranch_execz .LBB216_2943
; %bb.2940:                             ;   in Loop: Header=BB216_2096 Depth=1
	scratch_load_b64 v[4:5], off, s32 offset:192 th:TH_LOAD_LU ; 8-byte Folded Reload
	s_wait_loadcnt 0x0
	v_dual_lshrrev_b32 v1, 3, v2 :: v_dual_bitop2_b32 v4, 7, v1 bitop3:0x40
	s_mov_b32 s3, exec_lo
	s_wait_xcnt 0x0
	v_cmpx_gt_u32_e32 8, v2
; %bb.2941:                             ;   in Loop: Header=BB216_2096 Depth=1
	s_delay_alu instid0(VALU_DEP_2) | instskip(NEXT) | instid1(VALU_DEP_1)
	v_clz_i32_u32_e32 v1, v4
	v_min_u32_e32 v1, 32, v1
	s_delay_alu instid0(VALU_DEP_1) | instskip(NEXT) | instid1(VALU_DEP_1)
	v_subrev_nc_u32_e32 v2, 28, v1
	v_lshlrev_b64_e32 v[2:3], v2, v[4:5]
	s_delay_alu instid0(VALU_DEP_1)
	v_dual_sub_nc_u32 v1, 29, v1 :: v_dual_bitop2_b32 v4, 7, v2 bitop3:0x40
; %bb.2942:                             ;   in Loop: Header=BB216_2096 Depth=1
	s_or_b32 exec_lo, exec_lo, s3
	v_lshlrev_b32_e32 v2, 16, v0
	s_delay_alu instid0(VALU_DEP_2) | instskip(NEXT) | instid1(VALU_DEP_3)
	v_lshlrev_b32_e32 v3, 20, v4
	v_lshl_add_u32 v1, v1, 23, 0x3c000000
	s_delay_alu instid0(VALU_DEP_3) | instskip(NEXT) | instid1(VALU_DEP_1)
	v_and_b32_e32 v2, 0x80000000, v2
	v_or3_b32 v3, v3, v2, v1
	v_dual_mov_b32 v1, v5 :: v_dual_mov_b32 v2, v5
	s_clause 0x1
	scratch_store_b64 off, v[0:1], s32 offset:192
	scratch_store_b64 off, v[2:3], s32 offset:1100
.LBB216_2943:                           ;   in Loop: Header=BB216_2096 Depth=1
	s_wait_xcnt 0x0
	s_or_b32 exec_lo, exec_lo, s2
.LBB216_2944:                           ;   in Loop: Header=BB216_2096 Depth=1
	s_delay_alu instid0(SALU_CYCLE_1)
	s_or_b32 exec_lo, exec_lo, s1
.LBB216_2945:                           ;   in Loop: Header=BB216_2096 Depth=1
	s_delay_alu instid0(SALU_CYCLE_1) | instskip(SKIP_3) | instid1(VALU_DEP_1)
	s_or_b32 exec_lo, exec_lo, s0
	v_mov_b64_e32 v[4:5], 0
	v_lshrrev_b32_e32 v1, 16, v0
	s_mov_b32 s0, exec_lo
	v_and_b32_e32 v2, 0xff, v1
	scratch_store_b64 off, v[4:5], s32 offset:1116 ; 8-byte Folded Spill
	s_wait_xcnt 0x0
	v_mov_b64_e32 v[4:5], 0
	scratch_store_b64 off, v[4:5], s32 offset:1124 ; 8-byte Folded Spill
	s_wait_xcnt 0x0
	v_cmpx_ne_u16_e32 0, v2
	s_cbranch_execz .LBB216_2953
; %bb.2946:                             ;   in Loop: Header=BB216_2096 Depth=1
	v_cmp_ne_u16_e32 vcc_lo, 0x80, v2
	v_mov_b64_e32 v[2:3], 0x80000000
	scratch_store_b64 off, v[2:3], s32 offset:1124 ; 8-byte Folded Spill
	s_wait_xcnt 0x0
	s_and_saveexec_b32 s1, vcc_lo
	s_cbranch_execz .LBB216_2952
; %bb.2947:                             ;   in Loop: Header=BB216_2096 Depth=1
	v_mov_b64_e32 v[4:5], 0x7f800001
	v_bfe_u32 v3, v0, 16, 7
	s_mov_b32 s2, exec_lo
	scratch_store_b64 off, v[4:5], s32 offset:1124 ; 8-byte Folded Spill
	s_wait_xcnt 0x0
	v_cmpx_ne_u32_e32 0x7f, v3
	s_cbranch_execz .LBB216_2951
; %bb.2948:                             ;   in Loop: Header=BB216_2096 Depth=1
	scratch_load_b64 v[6:7], off, s32 offset:192 th:TH_LOAD_LU ; 8-byte Folded Reload
	s_wait_loadcnt 0x0
	v_dual_lshrrev_b32 v2, 3, v3 :: v_dual_bitop2_b32 v6, 7, v1 bitop3:0x40
	s_mov_b32 s3, exec_lo
	s_wait_xcnt 0x0
	v_cmpx_gt_u32_e32 8, v3
; %bb.2949:                             ;   in Loop: Header=BB216_2096 Depth=1
	s_delay_alu instid0(VALU_DEP_2) | instskip(NEXT) | instid1(VALU_DEP_1)
	v_clz_i32_u32_e32 v2, v6
	v_min_u32_e32 v2, 32, v2
	s_delay_alu instid0(VALU_DEP_1) | instskip(NEXT) | instid1(VALU_DEP_1)
	v_subrev_nc_u32_e32 v3, 28, v2
	v_lshlrev_b64_e32 v[4:5], v3, v[6:7]
	s_delay_alu instid0(VALU_DEP_1)
	v_dual_sub_nc_u32 v2, 29, v2 :: v_dual_bitop2_b32 v6, 7, v4 bitop3:0x40
; %bb.2950:                             ;   in Loop: Header=BB216_2096 Depth=1
	s_or_b32 exec_lo, exec_lo, s3
	s_delay_alu instid0(VALU_DEP_1) | instskip(NEXT) | instid1(VALU_DEP_2)
	v_dual_lshlrev_b32 v1, 24, v1 :: v_dual_lshlrev_b32 v3, 20, v6
	v_lshl_add_u32 v2, v2, 23, 0x3c000000
	s_delay_alu instid0(VALU_DEP_2) | instskip(NEXT) | instid1(VALU_DEP_1)
	v_and_b32_e32 v1, 0x80000000, v1
	v_or3_b32 v6, v3, v1, v2
	v_mov_b32_e32 v1, v7
	s_clause 0x1
	scratch_store_b64 off, v[0:1], s32 offset:192
	scratch_store_b64 off, v[6:7], s32 offset:1124
.LBB216_2951:                           ;   in Loop: Header=BB216_2096 Depth=1
	s_wait_xcnt 0x0
	s_or_b32 exec_lo, exec_lo, s2
.LBB216_2952:                           ;   in Loop: Header=BB216_2096 Depth=1
	s_delay_alu instid0(SALU_CYCLE_1)
	s_or_b32 exec_lo, exec_lo, s1
.LBB216_2953:                           ;   in Loop: Header=BB216_2096 Depth=1
	s_delay_alu instid0(SALU_CYCLE_1) | instskip(NEXT) | instid1(SALU_CYCLE_1)
	s_or_b32 exec_lo, exec_lo, s0
	s_mov_b32 s0, exec_lo
	v_cmpx_lt_u32_e32 0xffffff, v0
	s_cbranch_execz .LBB216_2961
; %bb.2954:                             ;   in Loop: Header=BB216_2096 Depth=1
	v_mov_b64_e32 v[2:3], 0x8000000000000000
	v_lshrrev_b32_e32 v1, 24, v0
	s_mov_b32 s1, exec_lo
	scratch_store_b64 off, v[2:3], s32 offset:1116 ; 8-byte Folded Spill
	s_wait_xcnt 0x0
	v_cmpx_ne_u32_e32 0x80, v1
	s_cbranch_execz .LBB216_2960
; %bb.2955:                             ;   in Loop: Header=BB216_2096 Depth=1
	v_mov_b64_e32 v[4:5], 0x7f80000100000000
	v_bfe_u32 v2, v0, 24, 7
	s_mov_b32 s2, exec_lo
	scratch_store_b64 off, v[4:5], s32 offset:1116 ; 8-byte Folded Spill
	s_wait_xcnt 0x0
	v_cmpx_ne_u32_e32 0x7f, v2
	s_cbranch_execz .LBB216_2959
; %bb.2956:                             ;   in Loop: Header=BB216_2096 Depth=1
	scratch_load_b64 v[4:5], off, s32 offset:192 th:TH_LOAD_LU ; 8-byte Folded Reload
	s_wait_loadcnt 0x0
	v_dual_lshrrev_b32 v0, 3, v2 :: v_dual_bitop2_b32 v4, 7, v1 bitop3:0x40
	s_mov_b32 s3, exec_lo
	s_wait_xcnt 0x0
	v_cmpx_gt_u32_e32 8, v2
; %bb.2957:                             ;   in Loop: Header=BB216_2096 Depth=1
	s_delay_alu instid0(VALU_DEP_2) | instskip(NEXT) | instid1(VALU_DEP_1)
	v_clz_i32_u32_e32 v0, v4
	v_min_u32_e32 v0, 32, v0
	s_delay_alu instid0(VALU_DEP_1) | instskip(NEXT) | instid1(VALU_DEP_1)
	v_subrev_nc_u32_e32 v2, 28, v0
	v_lshlrev_b64_e32 v[2:3], v2, v[4:5]
	s_delay_alu instid0(VALU_DEP_1)
	v_dual_sub_nc_u32 v0, 29, v0 :: v_dual_bitop2_b32 v4, 7, v2 bitop3:0x40
; %bb.2958:                             ;   in Loop: Header=BB216_2096 Depth=1
	s_or_b32 exec_lo, exec_lo, s3
	s_delay_alu instid0(VALU_DEP_1) | instskip(NEXT) | instid1(VALU_DEP_2)
	v_dual_lshlrev_b32 v1, 24, v1 :: v_dual_lshlrev_b32 v2, 20, v4
	v_lshl_add_u32 v0, v0, 23, 0x3c000000
	s_delay_alu instid0(VALU_DEP_2) | instskip(NEXT) | instid1(VALU_DEP_1)
	v_and_b32_e32 v1, 0x80000000, v1
	v_or3_b32 v3, v2, v1, v0
	v_dual_mov_b32 v1, v5 :: v_dual_mov_b32 v2, v5
	s_clause 0x1
	scratch_store_b64 off, v[0:1], s32 offset:192
	scratch_store_b64 off, v[2:3], s32 offset:1116
.LBB216_2959:                           ;   in Loop: Header=BB216_2096 Depth=1
	s_wait_xcnt 0x0
	s_or_b32 exec_lo, exec_lo, s2
.LBB216_2960:                           ;   in Loop: Header=BB216_2096 Depth=1
	s_delay_alu instid0(SALU_CYCLE_1)
	s_or_b32 exec_lo, exec_lo, s1
.LBB216_2961:                           ;   in Loop: Header=BB216_2096 Depth=1
	s_delay_alu instid0(SALU_CYCLE_1)
	s_or_b32 exec_lo, exec_lo, s0
	flat_load_b32 v0, v[24:25] offset:3456
	v_mov_b64_e32 v[2:3], 0
	s_mov_b32 s0, exec_lo
	scratch_store_b64 off, v[2:3], s32 offset:1132 ; 8-byte Folded Spill
	s_wait_xcnt 0x0
	v_mov_b64_e32 v[2:3], 0
	scratch_store_b64 off, v[2:3], s32 offset:1140 ; 8-byte Folded Spill
	s_wait_loadcnt_dscnt 0x0
	v_and_b32_e32 v1, 0xff, v0
	s_wait_xcnt 0x0
	s_delay_alu instid0(VALU_DEP_1)
	v_cmpx_ne_u16_e32 0, v1
	s_cbranch_execz .LBB216_2969
; %bb.2962:                             ;   in Loop: Header=BB216_2096 Depth=1
	v_mov_b64_e32 v[2:3], 0x80000000
	s_mov_b32 s1, exec_lo
	scratch_store_b64 off, v[2:3], s32 offset:1140 ; 8-byte Folded Spill
	s_wait_xcnt 0x0
	v_cmpx_ne_u16_e32 0x80, v1
	s_cbranch_execz .LBB216_2968
; %bb.2963:                             ;   in Loop: Header=BB216_2096 Depth=1
	v_mov_b64_e32 v[4:5], 0x7f800001
	v_and_b32_e32 v2, 0x7f, v0
	s_mov_b32 s2, exec_lo
	scratch_store_b64 off, v[4:5], s32 offset:1140 ; 8-byte Folded Spill
	s_wait_xcnt 0x0
	v_cmpx_ne_u32_e32 0x7f, v2
	s_cbranch_execz .LBB216_2967
; %bb.2964:                             ;   in Loop: Header=BB216_2096 Depth=1
	scratch_load_b64 v[4:5], off, s32 offset:192 th:TH_LOAD_LU ; 8-byte Folded Reload
	s_wait_loadcnt 0x0
	v_dual_lshrrev_b32 v1, 3, v2 :: v_dual_bitop2_b32 v4, 7, v0 bitop3:0x40
	s_mov_b32 s3, exec_lo
	s_wait_xcnt 0x0
	v_cmpx_gt_u32_e32 8, v2
; %bb.2965:                             ;   in Loop: Header=BB216_2096 Depth=1
	s_delay_alu instid0(VALU_DEP_2) | instskip(NEXT) | instid1(VALU_DEP_1)
	v_clz_i32_u32_e32 v1, v4
	v_min_u32_e32 v1, 32, v1
	s_delay_alu instid0(VALU_DEP_1) | instskip(NEXT) | instid1(VALU_DEP_1)
	v_subrev_nc_u32_e32 v2, 28, v1
	v_lshlrev_b64_e32 v[2:3], v2, v[4:5]
	s_delay_alu instid0(VALU_DEP_1)
	v_dual_sub_nc_u32 v1, 29, v1 :: v_dual_bitop2_b32 v4, 7, v2 bitop3:0x40
; %bb.2966:                             ;   in Loop: Header=BB216_2096 Depth=1
	s_or_b32 exec_lo, exec_lo, s3
	v_lshlrev_b32_e32 v2, 24, v0
	s_delay_alu instid0(VALU_DEP_2) | instskip(NEXT) | instid1(VALU_DEP_3)
	v_lshlrev_b32_e32 v3, 20, v4
	v_lshl_add_u32 v1, v1, 23, 0x3c000000
	s_delay_alu instid0(VALU_DEP_3) | instskip(NEXT) | instid1(VALU_DEP_1)
	v_and_b32_e32 v2, 0x80000000, v2
	v_or3_b32 v4, v3, v2, v1
	v_mov_b32_e32 v1, v5
	s_clause 0x1
	scratch_store_b64 off, v[0:1], s32 offset:192
	scratch_store_b64 off, v[4:5], s32 offset:1140
.LBB216_2967:                           ;   in Loop: Header=BB216_2096 Depth=1
	s_wait_xcnt 0x0
	s_or_b32 exec_lo, exec_lo, s2
.LBB216_2968:                           ;   in Loop: Header=BB216_2096 Depth=1
	s_delay_alu instid0(SALU_CYCLE_1)
	s_or_b32 exec_lo, exec_lo, s1
.LBB216_2969:                           ;   in Loop: Header=BB216_2096 Depth=1
	s_delay_alu instid0(SALU_CYCLE_1) | instskip(SKIP_2) | instid1(VALU_DEP_1)
	s_or_b32 exec_lo, exec_lo, s0
	v_lshrrev_b16 v1, 8, v0
	s_mov_b32 s0, exec_lo
	v_cmpx_ne_u16_e32 0, v1
	s_cbranch_execz .LBB216_2977
; %bb.2970:                             ;   in Loop: Header=BB216_2096 Depth=1
	v_mov_b64_e32 v[2:3], 0x8000000000000000
	s_mov_b32 s1, exec_lo
	scratch_store_b64 off, v[2:3], s32 offset:1132 ; 8-byte Folded Spill
	s_wait_xcnt 0x0
	v_cmpx_ne_u16_e32 0x80, v1
	s_cbranch_execz .LBB216_2976
; %bb.2971:                             ;   in Loop: Header=BB216_2096 Depth=1
	v_and_b32_e32 v1, 0xffff, v1
	v_mov_b64_e32 v[4:5], 0x7f80000100000000
	s_mov_b32 s2, exec_lo
	s_delay_alu instid0(VALU_DEP_2)
	v_and_b32_e32 v2, 0x7f, v1
	scratch_store_b64 off, v[4:5], s32 offset:1132 ; 8-byte Folded Spill
	s_wait_xcnt 0x0
	v_cmpx_ne_u32_e32 0x7f, v2
	s_cbranch_execz .LBB216_2975
; %bb.2972:                             ;   in Loop: Header=BB216_2096 Depth=1
	scratch_load_b64 v[4:5], off, s32 offset:192 th:TH_LOAD_LU ; 8-byte Folded Reload
	s_wait_loadcnt 0x0
	v_dual_lshrrev_b32 v1, 3, v2 :: v_dual_bitop2_b32 v4, 7, v1 bitop3:0x40
	s_mov_b32 s3, exec_lo
	s_wait_xcnt 0x0
	v_cmpx_gt_u32_e32 8, v2
; %bb.2973:                             ;   in Loop: Header=BB216_2096 Depth=1
	s_delay_alu instid0(VALU_DEP_2) | instskip(NEXT) | instid1(VALU_DEP_1)
	v_clz_i32_u32_e32 v1, v4
	v_min_u32_e32 v1, 32, v1
	s_delay_alu instid0(VALU_DEP_1) | instskip(NEXT) | instid1(VALU_DEP_1)
	v_subrev_nc_u32_e32 v2, 28, v1
	v_lshlrev_b64_e32 v[2:3], v2, v[4:5]
	s_delay_alu instid0(VALU_DEP_1)
	v_dual_sub_nc_u32 v1, 29, v1 :: v_dual_bitop2_b32 v4, 7, v2 bitop3:0x40
; %bb.2974:                             ;   in Loop: Header=BB216_2096 Depth=1
	s_or_b32 exec_lo, exec_lo, s3
	v_lshlrev_b32_e32 v2, 16, v0
	s_delay_alu instid0(VALU_DEP_2) | instskip(NEXT) | instid1(VALU_DEP_3)
	v_lshlrev_b32_e32 v3, 20, v4
	v_lshl_add_u32 v1, v1, 23, 0x3c000000
	s_delay_alu instid0(VALU_DEP_3) | instskip(NEXT) | instid1(VALU_DEP_1)
	v_and_b32_e32 v2, 0x80000000, v2
	v_or3_b32 v3, v3, v2, v1
	v_dual_mov_b32 v1, v5 :: v_dual_mov_b32 v2, v5
	s_clause 0x1
	scratch_store_b64 off, v[0:1], s32 offset:192
	scratch_store_b64 off, v[2:3], s32 offset:1132
.LBB216_2975:                           ;   in Loop: Header=BB216_2096 Depth=1
	s_wait_xcnt 0x0
	s_or_b32 exec_lo, exec_lo, s2
.LBB216_2976:                           ;   in Loop: Header=BB216_2096 Depth=1
	s_delay_alu instid0(SALU_CYCLE_1)
	s_or_b32 exec_lo, exec_lo, s1
.LBB216_2977:                           ;   in Loop: Header=BB216_2096 Depth=1
	s_delay_alu instid0(SALU_CYCLE_1) | instskip(SKIP_3) | instid1(VALU_DEP_1)
	s_or_b32 exec_lo, exec_lo, s0
	v_mov_b64_e32 v[4:5], 0
	v_lshrrev_b32_e32 v1, 16, v0
	s_mov_b32 s0, exec_lo
	v_and_b32_e32 v2, 0xff, v1
	scratch_store_b64 off, v[4:5], s32 offset:1148 ; 8-byte Folded Spill
	s_wait_xcnt 0x0
	v_mov_b64_e32 v[4:5], 0
	scratch_store_b64 off, v[4:5], s32 offset:1156 ; 8-byte Folded Spill
	s_wait_xcnt 0x0
	v_cmpx_ne_u16_e32 0, v2
	s_cbranch_execz .LBB216_2985
; %bb.2978:                             ;   in Loop: Header=BB216_2096 Depth=1
	v_cmp_ne_u16_e32 vcc_lo, 0x80, v2
	v_mov_b64_e32 v[2:3], 0x80000000
	scratch_store_b64 off, v[2:3], s32 offset:1156 ; 8-byte Folded Spill
	s_wait_xcnt 0x0
	s_and_saveexec_b32 s1, vcc_lo
	s_cbranch_execz .LBB216_2984
; %bb.2979:                             ;   in Loop: Header=BB216_2096 Depth=1
	v_mov_b64_e32 v[4:5], 0x7f800001
	v_bfe_u32 v3, v0, 16, 7
	s_mov_b32 s2, exec_lo
	scratch_store_b64 off, v[4:5], s32 offset:1156 ; 8-byte Folded Spill
	s_wait_xcnt 0x0
	v_cmpx_ne_u32_e32 0x7f, v3
	s_cbranch_execz .LBB216_2983
; %bb.2980:                             ;   in Loop: Header=BB216_2096 Depth=1
	scratch_load_b64 v[6:7], off, s32 offset:192 th:TH_LOAD_LU ; 8-byte Folded Reload
	s_wait_loadcnt 0x0
	v_dual_lshrrev_b32 v2, 3, v3 :: v_dual_bitop2_b32 v6, 7, v1 bitop3:0x40
	s_mov_b32 s3, exec_lo
	s_wait_xcnt 0x0
	v_cmpx_gt_u32_e32 8, v3
; %bb.2981:                             ;   in Loop: Header=BB216_2096 Depth=1
	s_delay_alu instid0(VALU_DEP_2) | instskip(NEXT) | instid1(VALU_DEP_1)
	v_clz_i32_u32_e32 v2, v6
	v_min_u32_e32 v2, 32, v2
	s_delay_alu instid0(VALU_DEP_1) | instskip(NEXT) | instid1(VALU_DEP_1)
	v_subrev_nc_u32_e32 v3, 28, v2
	v_lshlrev_b64_e32 v[4:5], v3, v[6:7]
	s_delay_alu instid0(VALU_DEP_1)
	v_dual_sub_nc_u32 v2, 29, v2 :: v_dual_bitop2_b32 v6, 7, v4 bitop3:0x40
; %bb.2982:                             ;   in Loop: Header=BB216_2096 Depth=1
	s_or_b32 exec_lo, exec_lo, s3
	s_delay_alu instid0(VALU_DEP_1) | instskip(NEXT) | instid1(VALU_DEP_2)
	v_dual_lshlrev_b32 v1, 24, v1 :: v_dual_lshlrev_b32 v3, 20, v6
	v_lshl_add_u32 v2, v2, 23, 0x3c000000
	s_delay_alu instid0(VALU_DEP_2) | instskip(NEXT) | instid1(VALU_DEP_1)
	v_and_b32_e32 v1, 0x80000000, v1
	v_or3_b32 v6, v3, v1, v2
	v_mov_b32_e32 v1, v7
	s_clause 0x1
	scratch_store_b64 off, v[0:1], s32 offset:192
	scratch_store_b64 off, v[6:7], s32 offset:1156
.LBB216_2983:                           ;   in Loop: Header=BB216_2096 Depth=1
	s_wait_xcnt 0x0
	s_or_b32 exec_lo, exec_lo, s2
.LBB216_2984:                           ;   in Loop: Header=BB216_2096 Depth=1
	s_delay_alu instid0(SALU_CYCLE_1)
	s_or_b32 exec_lo, exec_lo, s1
.LBB216_2985:                           ;   in Loop: Header=BB216_2096 Depth=1
	s_delay_alu instid0(SALU_CYCLE_1) | instskip(NEXT) | instid1(SALU_CYCLE_1)
	s_or_b32 exec_lo, exec_lo, s0
	s_mov_b32 s0, exec_lo
	v_cmpx_lt_u32_e32 0xffffff, v0
	s_cbranch_execz .LBB216_2993
; %bb.2986:                             ;   in Loop: Header=BB216_2096 Depth=1
	v_mov_b64_e32 v[2:3], 0x8000000000000000
	v_lshrrev_b32_e32 v1, 24, v0
	s_mov_b32 s1, exec_lo
	scratch_store_b64 off, v[2:3], s32 offset:1148 ; 8-byte Folded Spill
	s_wait_xcnt 0x0
	v_cmpx_ne_u32_e32 0x80, v1
	s_cbranch_execz .LBB216_2992
; %bb.2987:                             ;   in Loop: Header=BB216_2096 Depth=1
	v_mov_b64_e32 v[4:5], 0x7f80000100000000
	v_bfe_u32 v2, v0, 24, 7
	s_mov_b32 s2, exec_lo
	scratch_store_b64 off, v[4:5], s32 offset:1148 ; 8-byte Folded Spill
	s_wait_xcnt 0x0
	v_cmpx_ne_u32_e32 0x7f, v2
	s_cbranch_execz .LBB216_2991
; %bb.2988:                             ;   in Loop: Header=BB216_2096 Depth=1
	scratch_load_b64 v[4:5], off, s32 offset:192 th:TH_LOAD_LU ; 8-byte Folded Reload
	s_wait_loadcnt 0x0
	v_dual_lshrrev_b32 v0, 3, v2 :: v_dual_bitop2_b32 v4, 7, v1 bitop3:0x40
	s_mov_b32 s3, exec_lo
	s_wait_xcnt 0x0
	v_cmpx_gt_u32_e32 8, v2
; %bb.2989:                             ;   in Loop: Header=BB216_2096 Depth=1
	s_delay_alu instid0(VALU_DEP_2) | instskip(NEXT) | instid1(VALU_DEP_1)
	v_clz_i32_u32_e32 v0, v4
	v_min_u32_e32 v0, 32, v0
	s_delay_alu instid0(VALU_DEP_1) | instskip(NEXT) | instid1(VALU_DEP_1)
	v_subrev_nc_u32_e32 v2, 28, v0
	v_lshlrev_b64_e32 v[2:3], v2, v[4:5]
	s_delay_alu instid0(VALU_DEP_1)
	v_dual_sub_nc_u32 v0, 29, v0 :: v_dual_bitop2_b32 v4, 7, v2 bitop3:0x40
; %bb.2990:                             ;   in Loop: Header=BB216_2096 Depth=1
	s_or_b32 exec_lo, exec_lo, s3
	s_delay_alu instid0(VALU_DEP_1) | instskip(NEXT) | instid1(VALU_DEP_2)
	v_dual_lshlrev_b32 v1, 24, v1 :: v_dual_lshlrev_b32 v2, 20, v4
	v_lshl_add_u32 v0, v0, 23, 0x3c000000
	s_delay_alu instid0(VALU_DEP_2) | instskip(NEXT) | instid1(VALU_DEP_1)
	v_and_b32_e32 v1, 0x80000000, v1
	v_or3_b32 v3, v2, v1, v0
	v_dual_mov_b32 v1, v5 :: v_dual_mov_b32 v2, v5
	s_clause 0x1
	scratch_store_b64 off, v[0:1], s32 offset:192
	scratch_store_b64 off, v[2:3], s32 offset:1148
.LBB216_2991:                           ;   in Loop: Header=BB216_2096 Depth=1
	s_wait_xcnt 0x0
	s_or_b32 exec_lo, exec_lo, s2
.LBB216_2992:                           ;   in Loop: Header=BB216_2096 Depth=1
	s_delay_alu instid0(SALU_CYCLE_1)
	s_or_b32 exec_lo, exec_lo, s1
.LBB216_2993:                           ;   in Loop: Header=BB216_2096 Depth=1
	s_delay_alu instid0(SALU_CYCLE_1)
	s_or_b32 exec_lo, exec_lo, s0
	flat_load_b32 v0, v[24:25] offset:3584
	v_mov_b64_e32 v[2:3], 0
	s_mov_b32 s0, exec_lo
	scratch_store_b64 off, v[2:3], s32 offset:1164 ; 8-byte Folded Spill
	s_wait_xcnt 0x0
	v_mov_b64_e32 v[2:3], 0
	scratch_store_b64 off, v[2:3], s32 offset:1172 ; 8-byte Folded Spill
	s_wait_loadcnt_dscnt 0x0
	v_and_b32_e32 v1, 0xff, v0
	s_wait_xcnt 0x0
	s_delay_alu instid0(VALU_DEP_1)
	v_cmpx_ne_u16_e32 0, v1
	s_cbranch_execz .LBB216_3001
; %bb.2994:                             ;   in Loop: Header=BB216_2096 Depth=1
	v_mov_b64_e32 v[2:3], 0x80000000
	s_mov_b32 s1, exec_lo
	scratch_store_b64 off, v[2:3], s32 offset:1172 ; 8-byte Folded Spill
	s_wait_xcnt 0x0
	v_cmpx_ne_u16_e32 0x80, v1
	s_cbranch_execz .LBB216_3000
; %bb.2995:                             ;   in Loop: Header=BB216_2096 Depth=1
	v_mov_b64_e32 v[4:5], 0x7f800001
	v_and_b32_e32 v2, 0x7f, v0
	s_mov_b32 s2, exec_lo
	scratch_store_b64 off, v[4:5], s32 offset:1172 ; 8-byte Folded Spill
	s_wait_xcnt 0x0
	v_cmpx_ne_u32_e32 0x7f, v2
	s_cbranch_execz .LBB216_2999
; %bb.2996:                             ;   in Loop: Header=BB216_2096 Depth=1
	scratch_load_b64 v[4:5], off, s32 offset:192 th:TH_LOAD_LU ; 8-byte Folded Reload
	s_wait_loadcnt 0x0
	v_dual_lshrrev_b32 v1, 3, v2 :: v_dual_bitop2_b32 v4, 7, v0 bitop3:0x40
	s_mov_b32 s3, exec_lo
	s_wait_xcnt 0x0
	v_cmpx_gt_u32_e32 8, v2
; %bb.2997:                             ;   in Loop: Header=BB216_2096 Depth=1
	s_delay_alu instid0(VALU_DEP_2) | instskip(NEXT) | instid1(VALU_DEP_1)
	v_clz_i32_u32_e32 v1, v4
	v_min_u32_e32 v1, 32, v1
	s_delay_alu instid0(VALU_DEP_1) | instskip(NEXT) | instid1(VALU_DEP_1)
	v_subrev_nc_u32_e32 v2, 28, v1
	v_lshlrev_b64_e32 v[2:3], v2, v[4:5]
	s_delay_alu instid0(VALU_DEP_1)
	v_dual_sub_nc_u32 v1, 29, v1 :: v_dual_bitop2_b32 v4, 7, v2 bitop3:0x40
; %bb.2998:                             ;   in Loop: Header=BB216_2096 Depth=1
	s_or_b32 exec_lo, exec_lo, s3
	v_lshlrev_b32_e32 v2, 24, v0
	s_delay_alu instid0(VALU_DEP_2) | instskip(NEXT) | instid1(VALU_DEP_3)
	v_lshlrev_b32_e32 v3, 20, v4
	v_lshl_add_u32 v1, v1, 23, 0x3c000000
	s_delay_alu instid0(VALU_DEP_3) | instskip(NEXT) | instid1(VALU_DEP_1)
	v_and_b32_e32 v2, 0x80000000, v2
	v_or3_b32 v4, v3, v2, v1
	v_mov_b32_e32 v1, v5
	s_clause 0x1
	scratch_store_b64 off, v[0:1], s32 offset:192
	scratch_store_b64 off, v[4:5], s32 offset:1172
.LBB216_2999:                           ;   in Loop: Header=BB216_2096 Depth=1
	s_wait_xcnt 0x0
	s_or_b32 exec_lo, exec_lo, s2
.LBB216_3000:                           ;   in Loop: Header=BB216_2096 Depth=1
	s_delay_alu instid0(SALU_CYCLE_1)
	s_or_b32 exec_lo, exec_lo, s1
.LBB216_3001:                           ;   in Loop: Header=BB216_2096 Depth=1
	s_delay_alu instid0(SALU_CYCLE_1) | instskip(SKIP_2) | instid1(VALU_DEP_1)
	s_or_b32 exec_lo, exec_lo, s0
	v_lshrrev_b16 v1, 8, v0
	s_mov_b32 s0, exec_lo
	v_cmpx_ne_u16_e32 0, v1
	s_cbranch_execz .LBB216_3009
; %bb.3002:                             ;   in Loop: Header=BB216_2096 Depth=1
	v_mov_b64_e32 v[2:3], 0x8000000000000000
	s_mov_b32 s1, exec_lo
	scratch_store_b64 off, v[2:3], s32 offset:1164 ; 8-byte Folded Spill
	s_wait_xcnt 0x0
	v_cmpx_ne_u16_e32 0x80, v1
	s_cbranch_execz .LBB216_3008
; %bb.3003:                             ;   in Loop: Header=BB216_2096 Depth=1
	v_and_b32_e32 v1, 0xffff, v1
	v_mov_b64_e32 v[4:5], 0x7f80000100000000
	s_mov_b32 s2, exec_lo
	s_delay_alu instid0(VALU_DEP_2)
	v_and_b32_e32 v2, 0x7f, v1
	scratch_store_b64 off, v[4:5], s32 offset:1164 ; 8-byte Folded Spill
	s_wait_xcnt 0x0
	v_cmpx_ne_u32_e32 0x7f, v2
	s_cbranch_execz .LBB216_3007
; %bb.3004:                             ;   in Loop: Header=BB216_2096 Depth=1
	scratch_load_b64 v[4:5], off, s32 offset:192 th:TH_LOAD_LU ; 8-byte Folded Reload
	s_wait_loadcnt 0x0
	v_dual_lshrrev_b32 v1, 3, v2 :: v_dual_bitop2_b32 v4, 7, v1 bitop3:0x40
	s_mov_b32 s3, exec_lo
	s_wait_xcnt 0x0
	v_cmpx_gt_u32_e32 8, v2
; %bb.3005:                             ;   in Loop: Header=BB216_2096 Depth=1
	s_delay_alu instid0(VALU_DEP_2) | instskip(NEXT) | instid1(VALU_DEP_1)
	v_clz_i32_u32_e32 v1, v4
	v_min_u32_e32 v1, 32, v1
	s_delay_alu instid0(VALU_DEP_1) | instskip(NEXT) | instid1(VALU_DEP_1)
	v_subrev_nc_u32_e32 v2, 28, v1
	v_lshlrev_b64_e32 v[2:3], v2, v[4:5]
	s_delay_alu instid0(VALU_DEP_1)
	v_dual_sub_nc_u32 v1, 29, v1 :: v_dual_bitop2_b32 v4, 7, v2 bitop3:0x40
; %bb.3006:                             ;   in Loop: Header=BB216_2096 Depth=1
	s_or_b32 exec_lo, exec_lo, s3
	v_lshlrev_b32_e32 v2, 16, v0
	s_delay_alu instid0(VALU_DEP_2) | instskip(NEXT) | instid1(VALU_DEP_3)
	v_lshlrev_b32_e32 v3, 20, v4
	v_lshl_add_u32 v1, v1, 23, 0x3c000000
	s_delay_alu instid0(VALU_DEP_3) | instskip(NEXT) | instid1(VALU_DEP_1)
	v_and_b32_e32 v2, 0x80000000, v2
	v_or3_b32 v3, v3, v2, v1
	v_dual_mov_b32 v1, v5 :: v_dual_mov_b32 v2, v5
	s_clause 0x1
	scratch_store_b64 off, v[0:1], s32 offset:192
	scratch_store_b64 off, v[2:3], s32 offset:1164
.LBB216_3007:                           ;   in Loop: Header=BB216_2096 Depth=1
	s_wait_xcnt 0x0
	s_or_b32 exec_lo, exec_lo, s2
.LBB216_3008:                           ;   in Loop: Header=BB216_2096 Depth=1
	s_delay_alu instid0(SALU_CYCLE_1)
	s_or_b32 exec_lo, exec_lo, s1
.LBB216_3009:                           ;   in Loop: Header=BB216_2096 Depth=1
	s_delay_alu instid0(SALU_CYCLE_1) | instskip(SKIP_3) | instid1(VALU_DEP_1)
	s_or_b32 exec_lo, exec_lo, s0
	v_mov_b64_e32 v[4:5], 0
	v_lshrrev_b32_e32 v1, 16, v0
	s_mov_b32 s0, exec_lo
	v_and_b32_e32 v2, 0xff, v1
	scratch_store_b64 off, v[4:5], s32 offset:1180 ; 8-byte Folded Spill
	s_wait_xcnt 0x0
	v_mov_b64_e32 v[4:5], 0
	scratch_store_b64 off, v[4:5], s32 offset:1188 ; 8-byte Folded Spill
	s_wait_xcnt 0x0
	v_cmpx_ne_u16_e32 0, v2
	s_cbranch_execz .LBB216_3017
; %bb.3010:                             ;   in Loop: Header=BB216_2096 Depth=1
	v_cmp_ne_u16_e32 vcc_lo, 0x80, v2
	v_mov_b64_e32 v[2:3], 0x80000000
	scratch_store_b64 off, v[2:3], s32 offset:1188 ; 8-byte Folded Spill
	s_wait_xcnt 0x0
	s_and_saveexec_b32 s1, vcc_lo
	s_cbranch_execz .LBB216_3016
; %bb.3011:                             ;   in Loop: Header=BB216_2096 Depth=1
	v_mov_b64_e32 v[4:5], 0x7f800001
	v_bfe_u32 v3, v0, 16, 7
	s_mov_b32 s2, exec_lo
	scratch_store_b64 off, v[4:5], s32 offset:1188 ; 8-byte Folded Spill
	s_wait_xcnt 0x0
	v_cmpx_ne_u32_e32 0x7f, v3
	s_cbranch_execz .LBB216_3015
; %bb.3012:                             ;   in Loop: Header=BB216_2096 Depth=1
	scratch_load_b64 v[6:7], off, s32 offset:192 th:TH_LOAD_LU ; 8-byte Folded Reload
	s_wait_loadcnt 0x0
	v_dual_lshrrev_b32 v2, 3, v3 :: v_dual_bitop2_b32 v6, 7, v1 bitop3:0x40
	s_mov_b32 s3, exec_lo
	s_wait_xcnt 0x0
	v_cmpx_gt_u32_e32 8, v3
; %bb.3013:                             ;   in Loop: Header=BB216_2096 Depth=1
	s_delay_alu instid0(VALU_DEP_2) | instskip(NEXT) | instid1(VALU_DEP_1)
	v_clz_i32_u32_e32 v2, v6
	v_min_u32_e32 v2, 32, v2
	s_delay_alu instid0(VALU_DEP_1) | instskip(NEXT) | instid1(VALU_DEP_1)
	v_subrev_nc_u32_e32 v3, 28, v2
	v_lshlrev_b64_e32 v[4:5], v3, v[6:7]
	s_delay_alu instid0(VALU_DEP_1)
	v_dual_sub_nc_u32 v2, 29, v2 :: v_dual_bitop2_b32 v6, 7, v4 bitop3:0x40
; %bb.3014:                             ;   in Loop: Header=BB216_2096 Depth=1
	s_or_b32 exec_lo, exec_lo, s3
	s_delay_alu instid0(VALU_DEP_1) | instskip(NEXT) | instid1(VALU_DEP_2)
	v_dual_lshlrev_b32 v1, 24, v1 :: v_dual_lshlrev_b32 v3, 20, v6
	v_lshl_add_u32 v2, v2, 23, 0x3c000000
	s_delay_alu instid0(VALU_DEP_2) | instskip(NEXT) | instid1(VALU_DEP_1)
	v_and_b32_e32 v1, 0x80000000, v1
	v_or3_b32 v6, v3, v1, v2
	v_mov_b32_e32 v1, v7
	s_clause 0x1
	scratch_store_b64 off, v[0:1], s32 offset:192
	scratch_store_b64 off, v[6:7], s32 offset:1188
.LBB216_3015:                           ;   in Loop: Header=BB216_2096 Depth=1
	s_wait_xcnt 0x0
	s_or_b32 exec_lo, exec_lo, s2
.LBB216_3016:                           ;   in Loop: Header=BB216_2096 Depth=1
	s_delay_alu instid0(SALU_CYCLE_1)
	s_or_b32 exec_lo, exec_lo, s1
.LBB216_3017:                           ;   in Loop: Header=BB216_2096 Depth=1
	s_delay_alu instid0(SALU_CYCLE_1) | instskip(NEXT) | instid1(SALU_CYCLE_1)
	s_or_b32 exec_lo, exec_lo, s0
	s_mov_b32 s0, exec_lo
	v_cmpx_lt_u32_e32 0xffffff, v0
	s_cbranch_execz .LBB216_3025
; %bb.3018:                             ;   in Loop: Header=BB216_2096 Depth=1
	v_mov_b64_e32 v[2:3], 0x8000000000000000
	v_lshrrev_b32_e32 v1, 24, v0
	s_mov_b32 s1, exec_lo
	scratch_store_b64 off, v[2:3], s32 offset:1180 ; 8-byte Folded Spill
	s_wait_xcnt 0x0
	v_cmpx_ne_u32_e32 0x80, v1
	s_cbranch_execz .LBB216_3024
; %bb.3019:                             ;   in Loop: Header=BB216_2096 Depth=1
	v_mov_b64_e32 v[4:5], 0x7f80000100000000
	v_bfe_u32 v2, v0, 24, 7
	s_mov_b32 s2, exec_lo
	scratch_store_b64 off, v[4:5], s32 offset:1180 ; 8-byte Folded Spill
	s_wait_xcnt 0x0
	v_cmpx_ne_u32_e32 0x7f, v2
	s_cbranch_execz .LBB216_3023
; %bb.3020:                             ;   in Loop: Header=BB216_2096 Depth=1
	scratch_load_b64 v[4:5], off, s32 offset:192 th:TH_LOAD_LU ; 8-byte Folded Reload
	s_wait_loadcnt 0x0
	v_dual_lshrrev_b32 v0, 3, v2 :: v_dual_bitop2_b32 v4, 7, v1 bitop3:0x40
	s_mov_b32 s3, exec_lo
	s_wait_xcnt 0x0
	v_cmpx_gt_u32_e32 8, v2
; %bb.3021:                             ;   in Loop: Header=BB216_2096 Depth=1
	s_delay_alu instid0(VALU_DEP_2) | instskip(NEXT) | instid1(VALU_DEP_1)
	v_clz_i32_u32_e32 v0, v4
	v_min_u32_e32 v0, 32, v0
	s_delay_alu instid0(VALU_DEP_1) | instskip(NEXT) | instid1(VALU_DEP_1)
	v_subrev_nc_u32_e32 v2, 28, v0
	v_lshlrev_b64_e32 v[2:3], v2, v[4:5]
	s_delay_alu instid0(VALU_DEP_1)
	v_dual_sub_nc_u32 v0, 29, v0 :: v_dual_bitop2_b32 v4, 7, v2 bitop3:0x40
; %bb.3022:                             ;   in Loop: Header=BB216_2096 Depth=1
	s_or_b32 exec_lo, exec_lo, s3
	s_delay_alu instid0(VALU_DEP_1) | instskip(NEXT) | instid1(VALU_DEP_2)
	v_dual_lshlrev_b32 v1, 24, v1 :: v_dual_lshlrev_b32 v2, 20, v4
	v_lshl_add_u32 v0, v0, 23, 0x3c000000
	s_delay_alu instid0(VALU_DEP_2) | instskip(NEXT) | instid1(VALU_DEP_1)
	v_and_b32_e32 v1, 0x80000000, v1
	v_or3_b32 v3, v2, v1, v0
	v_dual_mov_b32 v1, v5 :: v_dual_mov_b32 v2, v5
	s_clause 0x1
	scratch_store_b64 off, v[0:1], s32 offset:192
	scratch_store_b64 off, v[2:3], s32 offset:1180
.LBB216_3023:                           ;   in Loop: Header=BB216_2096 Depth=1
	s_wait_xcnt 0x0
	s_or_b32 exec_lo, exec_lo, s2
.LBB216_3024:                           ;   in Loop: Header=BB216_2096 Depth=1
	s_delay_alu instid0(SALU_CYCLE_1)
	s_or_b32 exec_lo, exec_lo, s1
.LBB216_3025:                           ;   in Loop: Header=BB216_2096 Depth=1
	s_delay_alu instid0(SALU_CYCLE_1)
	s_or_b32 exec_lo, exec_lo, s0
	flat_load_b32 v0, v[24:25] offset:3712
	v_mov_b64_e32 v[2:3], 0
	s_mov_b32 s0, exec_lo
	scratch_store_b64 off, v[2:3], s32 offset:1196 ; 8-byte Folded Spill
	s_wait_xcnt 0x0
	v_mov_b64_e32 v[2:3], 0
	scratch_store_b64 off, v[2:3], s32 offset:1204 ; 8-byte Folded Spill
	s_wait_loadcnt_dscnt 0x0
	v_and_b32_e32 v1, 0xff, v0
	s_wait_xcnt 0x0
	s_delay_alu instid0(VALU_DEP_1)
	v_cmpx_ne_u16_e32 0, v1
	s_cbranch_execz .LBB216_3033
; %bb.3026:                             ;   in Loop: Header=BB216_2096 Depth=1
	v_mov_b64_e32 v[2:3], 0x80000000
	s_mov_b32 s1, exec_lo
	scratch_store_b64 off, v[2:3], s32 offset:1204 ; 8-byte Folded Spill
	s_wait_xcnt 0x0
	v_cmpx_ne_u16_e32 0x80, v1
	s_cbranch_execz .LBB216_3032
; %bb.3027:                             ;   in Loop: Header=BB216_2096 Depth=1
	v_mov_b64_e32 v[4:5], 0x7f800001
	v_and_b32_e32 v2, 0x7f, v0
	s_mov_b32 s2, exec_lo
	scratch_store_b64 off, v[4:5], s32 offset:1204 ; 8-byte Folded Spill
	s_wait_xcnt 0x0
	v_cmpx_ne_u32_e32 0x7f, v2
	s_cbranch_execz .LBB216_3031
; %bb.3028:                             ;   in Loop: Header=BB216_2096 Depth=1
	scratch_load_b64 v[4:5], off, s32 offset:192 th:TH_LOAD_LU ; 8-byte Folded Reload
	s_wait_loadcnt 0x0
	v_dual_lshrrev_b32 v1, 3, v2 :: v_dual_bitop2_b32 v4, 7, v0 bitop3:0x40
	s_mov_b32 s3, exec_lo
	s_wait_xcnt 0x0
	v_cmpx_gt_u32_e32 8, v2
; %bb.3029:                             ;   in Loop: Header=BB216_2096 Depth=1
	s_delay_alu instid0(VALU_DEP_2) | instskip(NEXT) | instid1(VALU_DEP_1)
	v_clz_i32_u32_e32 v1, v4
	v_min_u32_e32 v1, 32, v1
	s_delay_alu instid0(VALU_DEP_1) | instskip(NEXT) | instid1(VALU_DEP_1)
	v_subrev_nc_u32_e32 v2, 28, v1
	v_lshlrev_b64_e32 v[2:3], v2, v[4:5]
	s_delay_alu instid0(VALU_DEP_1)
	v_dual_sub_nc_u32 v1, 29, v1 :: v_dual_bitop2_b32 v4, 7, v2 bitop3:0x40
; %bb.3030:                             ;   in Loop: Header=BB216_2096 Depth=1
	s_or_b32 exec_lo, exec_lo, s3
	v_lshlrev_b32_e32 v2, 24, v0
	s_delay_alu instid0(VALU_DEP_2) | instskip(NEXT) | instid1(VALU_DEP_3)
	v_lshlrev_b32_e32 v3, 20, v4
	v_lshl_add_u32 v1, v1, 23, 0x3c000000
	s_delay_alu instid0(VALU_DEP_3) | instskip(NEXT) | instid1(VALU_DEP_1)
	v_and_b32_e32 v2, 0x80000000, v2
	v_or3_b32 v4, v3, v2, v1
	v_mov_b32_e32 v1, v5
	s_clause 0x1
	scratch_store_b64 off, v[0:1], s32 offset:192
	scratch_store_b64 off, v[4:5], s32 offset:1204
.LBB216_3031:                           ;   in Loop: Header=BB216_2096 Depth=1
	s_wait_xcnt 0x0
	s_or_b32 exec_lo, exec_lo, s2
.LBB216_3032:                           ;   in Loop: Header=BB216_2096 Depth=1
	s_delay_alu instid0(SALU_CYCLE_1)
	s_or_b32 exec_lo, exec_lo, s1
.LBB216_3033:                           ;   in Loop: Header=BB216_2096 Depth=1
	s_delay_alu instid0(SALU_CYCLE_1) | instskip(SKIP_2) | instid1(VALU_DEP_1)
	s_or_b32 exec_lo, exec_lo, s0
	v_lshrrev_b16 v1, 8, v0
	s_mov_b32 s0, exec_lo
	v_cmpx_ne_u16_e32 0, v1
	s_cbranch_execz .LBB216_3041
; %bb.3034:                             ;   in Loop: Header=BB216_2096 Depth=1
	v_mov_b64_e32 v[2:3], 0x8000000000000000
	s_mov_b32 s1, exec_lo
	scratch_store_b64 off, v[2:3], s32 offset:1196 ; 8-byte Folded Spill
	s_wait_xcnt 0x0
	v_cmpx_ne_u16_e32 0x80, v1
	s_cbranch_execz .LBB216_3040
; %bb.3035:                             ;   in Loop: Header=BB216_2096 Depth=1
	v_and_b32_e32 v1, 0xffff, v1
	v_mov_b64_e32 v[4:5], 0x7f80000100000000
	s_mov_b32 s2, exec_lo
	s_delay_alu instid0(VALU_DEP_2)
	v_and_b32_e32 v2, 0x7f, v1
	scratch_store_b64 off, v[4:5], s32 offset:1196 ; 8-byte Folded Spill
	s_wait_xcnt 0x0
	v_cmpx_ne_u32_e32 0x7f, v2
	s_cbranch_execz .LBB216_3039
; %bb.3036:                             ;   in Loop: Header=BB216_2096 Depth=1
	scratch_load_b64 v[4:5], off, s32 offset:192 th:TH_LOAD_LU ; 8-byte Folded Reload
	s_wait_loadcnt 0x0
	v_dual_lshrrev_b32 v1, 3, v2 :: v_dual_bitop2_b32 v4, 7, v1 bitop3:0x40
	s_mov_b32 s3, exec_lo
	s_wait_xcnt 0x0
	v_cmpx_gt_u32_e32 8, v2
; %bb.3037:                             ;   in Loop: Header=BB216_2096 Depth=1
	s_delay_alu instid0(VALU_DEP_2) | instskip(NEXT) | instid1(VALU_DEP_1)
	v_clz_i32_u32_e32 v1, v4
	v_min_u32_e32 v1, 32, v1
	s_delay_alu instid0(VALU_DEP_1) | instskip(NEXT) | instid1(VALU_DEP_1)
	v_subrev_nc_u32_e32 v2, 28, v1
	v_lshlrev_b64_e32 v[2:3], v2, v[4:5]
	s_delay_alu instid0(VALU_DEP_1)
	v_dual_sub_nc_u32 v1, 29, v1 :: v_dual_bitop2_b32 v4, 7, v2 bitop3:0x40
; %bb.3038:                             ;   in Loop: Header=BB216_2096 Depth=1
	s_or_b32 exec_lo, exec_lo, s3
	v_lshlrev_b32_e32 v2, 16, v0
	s_delay_alu instid0(VALU_DEP_2) | instskip(NEXT) | instid1(VALU_DEP_3)
	v_lshlrev_b32_e32 v3, 20, v4
	v_lshl_add_u32 v1, v1, 23, 0x3c000000
	s_delay_alu instid0(VALU_DEP_3) | instskip(NEXT) | instid1(VALU_DEP_1)
	v_and_b32_e32 v2, 0x80000000, v2
	v_or3_b32 v3, v3, v2, v1
	v_dual_mov_b32 v1, v5 :: v_dual_mov_b32 v2, v5
	s_clause 0x1
	scratch_store_b64 off, v[0:1], s32 offset:192
	scratch_store_b64 off, v[2:3], s32 offset:1196
.LBB216_3039:                           ;   in Loop: Header=BB216_2096 Depth=1
	s_wait_xcnt 0x0
	s_or_b32 exec_lo, exec_lo, s2
.LBB216_3040:                           ;   in Loop: Header=BB216_2096 Depth=1
	s_delay_alu instid0(SALU_CYCLE_1)
	s_or_b32 exec_lo, exec_lo, s1
.LBB216_3041:                           ;   in Loop: Header=BB216_2096 Depth=1
	s_delay_alu instid0(SALU_CYCLE_1) | instskip(SKIP_3) | instid1(VALU_DEP_1)
	s_or_b32 exec_lo, exec_lo, s0
	v_mov_b64_e32 v[4:5], 0
	v_lshrrev_b32_e32 v1, 16, v0
	s_mov_b32 s0, exec_lo
	v_and_b32_e32 v2, 0xff, v1
	scratch_store_b64 off, v[4:5], s32 offset:1212 ; 8-byte Folded Spill
	s_wait_xcnt 0x0
	v_mov_b64_e32 v[4:5], 0
	scratch_store_b64 off, v[4:5], s32 offset:1220 ; 8-byte Folded Spill
	s_wait_xcnt 0x0
	v_cmpx_ne_u16_e32 0, v2
	s_cbranch_execz .LBB216_3049
; %bb.3042:                             ;   in Loop: Header=BB216_2096 Depth=1
	v_cmp_ne_u16_e32 vcc_lo, 0x80, v2
	v_mov_b64_e32 v[2:3], 0x80000000
	scratch_store_b64 off, v[2:3], s32 offset:1220 ; 8-byte Folded Spill
	s_wait_xcnt 0x0
	s_and_saveexec_b32 s1, vcc_lo
	s_cbranch_execz .LBB216_3048
; %bb.3043:                             ;   in Loop: Header=BB216_2096 Depth=1
	v_mov_b64_e32 v[4:5], 0x7f800001
	v_bfe_u32 v3, v0, 16, 7
	s_mov_b32 s2, exec_lo
	scratch_store_b64 off, v[4:5], s32 offset:1220 ; 8-byte Folded Spill
	s_wait_xcnt 0x0
	v_cmpx_ne_u32_e32 0x7f, v3
	s_cbranch_execz .LBB216_3047
; %bb.3044:                             ;   in Loop: Header=BB216_2096 Depth=1
	scratch_load_b64 v[6:7], off, s32 offset:192 th:TH_LOAD_LU ; 8-byte Folded Reload
	s_wait_loadcnt 0x0
	v_dual_lshrrev_b32 v2, 3, v3 :: v_dual_bitop2_b32 v6, 7, v1 bitop3:0x40
	s_mov_b32 s3, exec_lo
	s_wait_xcnt 0x0
	v_cmpx_gt_u32_e32 8, v3
; %bb.3045:                             ;   in Loop: Header=BB216_2096 Depth=1
	s_delay_alu instid0(VALU_DEP_2) | instskip(NEXT) | instid1(VALU_DEP_1)
	v_clz_i32_u32_e32 v2, v6
	v_min_u32_e32 v2, 32, v2
	s_delay_alu instid0(VALU_DEP_1) | instskip(NEXT) | instid1(VALU_DEP_1)
	v_subrev_nc_u32_e32 v3, 28, v2
	v_lshlrev_b64_e32 v[4:5], v3, v[6:7]
	s_delay_alu instid0(VALU_DEP_1)
	v_dual_sub_nc_u32 v2, 29, v2 :: v_dual_bitop2_b32 v6, 7, v4 bitop3:0x40
; %bb.3046:                             ;   in Loop: Header=BB216_2096 Depth=1
	s_or_b32 exec_lo, exec_lo, s3
	s_delay_alu instid0(VALU_DEP_1) | instskip(NEXT) | instid1(VALU_DEP_2)
	v_dual_lshlrev_b32 v1, 24, v1 :: v_dual_lshlrev_b32 v3, 20, v6
	v_lshl_add_u32 v2, v2, 23, 0x3c000000
	s_delay_alu instid0(VALU_DEP_2) | instskip(NEXT) | instid1(VALU_DEP_1)
	v_and_b32_e32 v1, 0x80000000, v1
	v_or3_b32 v6, v3, v1, v2
	v_mov_b32_e32 v1, v7
	s_clause 0x1
	scratch_store_b64 off, v[0:1], s32 offset:192
	scratch_store_b64 off, v[6:7], s32 offset:1220
.LBB216_3047:                           ;   in Loop: Header=BB216_2096 Depth=1
	s_wait_xcnt 0x0
	s_or_b32 exec_lo, exec_lo, s2
.LBB216_3048:                           ;   in Loop: Header=BB216_2096 Depth=1
	s_delay_alu instid0(SALU_CYCLE_1)
	s_or_b32 exec_lo, exec_lo, s1
.LBB216_3049:                           ;   in Loop: Header=BB216_2096 Depth=1
	s_delay_alu instid0(SALU_CYCLE_1) | instskip(NEXT) | instid1(SALU_CYCLE_1)
	s_or_b32 exec_lo, exec_lo, s0
	s_mov_b32 s0, exec_lo
	v_cmpx_lt_u32_e32 0xffffff, v0
	s_cbranch_execz .LBB216_3057
; %bb.3050:                             ;   in Loop: Header=BB216_2096 Depth=1
	v_mov_b64_e32 v[2:3], 0x8000000000000000
	v_lshrrev_b32_e32 v1, 24, v0
	s_mov_b32 s1, exec_lo
	scratch_store_b64 off, v[2:3], s32 offset:1212 ; 8-byte Folded Spill
	s_wait_xcnt 0x0
	v_cmpx_ne_u32_e32 0x80, v1
	s_cbranch_execz .LBB216_3056
; %bb.3051:                             ;   in Loop: Header=BB216_2096 Depth=1
	v_mov_b64_e32 v[4:5], 0x7f80000100000000
	v_bfe_u32 v2, v0, 24, 7
	s_mov_b32 s2, exec_lo
	scratch_store_b64 off, v[4:5], s32 offset:1212 ; 8-byte Folded Spill
	s_wait_xcnt 0x0
	v_cmpx_ne_u32_e32 0x7f, v2
	s_cbranch_execz .LBB216_3055
; %bb.3052:                             ;   in Loop: Header=BB216_2096 Depth=1
	scratch_load_b64 v[4:5], off, s32 offset:192 th:TH_LOAD_LU ; 8-byte Folded Reload
	s_wait_loadcnt 0x0
	v_dual_lshrrev_b32 v0, 3, v2 :: v_dual_bitop2_b32 v4, 7, v1 bitop3:0x40
	s_mov_b32 s3, exec_lo
	s_wait_xcnt 0x0
	v_cmpx_gt_u32_e32 8, v2
; %bb.3053:                             ;   in Loop: Header=BB216_2096 Depth=1
	s_delay_alu instid0(VALU_DEP_2) | instskip(NEXT) | instid1(VALU_DEP_1)
	v_clz_i32_u32_e32 v0, v4
	v_min_u32_e32 v0, 32, v0
	s_delay_alu instid0(VALU_DEP_1) | instskip(NEXT) | instid1(VALU_DEP_1)
	v_subrev_nc_u32_e32 v2, 28, v0
	v_lshlrev_b64_e32 v[2:3], v2, v[4:5]
	s_delay_alu instid0(VALU_DEP_1)
	v_dual_sub_nc_u32 v0, 29, v0 :: v_dual_bitop2_b32 v4, 7, v2 bitop3:0x40
; %bb.3054:                             ;   in Loop: Header=BB216_2096 Depth=1
	s_or_b32 exec_lo, exec_lo, s3
	s_delay_alu instid0(VALU_DEP_1) | instskip(NEXT) | instid1(VALU_DEP_2)
	v_dual_lshlrev_b32 v1, 24, v1 :: v_dual_lshlrev_b32 v2, 20, v4
	v_lshl_add_u32 v0, v0, 23, 0x3c000000
	s_delay_alu instid0(VALU_DEP_2) | instskip(NEXT) | instid1(VALU_DEP_1)
	v_and_b32_e32 v1, 0x80000000, v1
	v_or3_b32 v3, v2, v1, v0
	v_dual_mov_b32 v1, v5 :: v_dual_mov_b32 v2, v5
	s_clause 0x1
	scratch_store_b64 off, v[0:1], s32 offset:192
	scratch_store_b64 off, v[2:3], s32 offset:1212
.LBB216_3055:                           ;   in Loop: Header=BB216_2096 Depth=1
	s_wait_xcnt 0x0
	s_or_b32 exec_lo, exec_lo, s2
.LBB216_3056:                           ;   in Loop: Header=BB216_2096 Depth=1
	s_delay_alu instid0(SALU_CYCLE_1)
	s_or_b32 exec_lo, exec_lo, s1
.LBB216_3057:                           ;   in Loop: Header=BB216_2096 Depth=1
	s_delay_alu instid0(SALU_CYCLE_1)
	s_or_b32 exec_lo, exec_lo, s0
	flat_load_b32 v0, v[24:25] offset:3840
	v_mov_b64_e32 v[2:3], 0
	s_mov_b32 s0, exec_lo
	scratch_store_b64 off, v[2:3], s32 offset:1228 ; 8-byte Folded Spill
	s_wait_xcnt 0x0
	v_mov_b64_e32 v[2:3], 0
	scratch_store_b64 off, v[2:3], s32 offset:1236 ; 8-byte Folded Spill
	s_wait_loadcnt_dscnt 0x0
	v_and_b32_e32 v1, 0xff, v0
	s_wait_xcnt 0x0
	s_delay_alu instid0(VALU_DEP_1)
	v_cmpx_ne_u16_e32 0, v1
	s_cbranch_execz .LBB216_3065
; %bb.3058:                             ;   in Loop: Header=BB216_2096 Depth=1
	v_mov_b64_e32 v[2:3], 0x80000000
	s_mov_b32 s1, exec_lo
	scratch_store_b64 off, v[2:3], s32 offset:1236 ; 8-byte Folded Spill
	s_wait_xcnt 0x0
	v_cmpx_ne_u16_e32 0x80, v1
	s_cbranch_execz .LBB216_3064
; %bb.3059:                             ;   in Loop: Header=BB216_2096 Depth=1
	v_mov_b64_e32 v[4:5], 0x7f800001
	v_and_b32_e32 v2, 0x7f, v0
	s_mov_b32 s2, exec_lo
	scratch_store_b64 off, v[4:5], s32 offset:1236 ; 8-byte Folded Spill
	s_wait_xcnt 0x0
	v_cmpx_ne_u32_e32 0x7f, v2
	s_cbranch_execz .LBB216_3063
; %bb.3060:                             ;   in Loop: Header=BB216_2096 Depth=1
	scratch_load_b64 v[4:5], off, s32 offset:192 th:TH_LOAD_LU ; 8-byte Folded Reload
	s_wait_loadcnt 0x0
	v_dual_lshrrev_b32 v1, 3, v2 :: v_dual_bitop2_b32 v4, 7, v0 bitop3:0x40
	s_mov_b32 s3, exec_lo
	s_wait_xcnt 0x0
	v_cmpx_gt_u32_e32 8, v2
; %bb.3061:                             ;   in Loop: Header=BB216_2096 Depth=1
	s_delay_alu instid0(VALU_DEP_2) | instskip(NEXT) | instid1(VALU_DEP_1)
	v_clz_i32_u32_e32 v1, v4
	v_min_u32_e32 v1, 32, v1
	s_delay_alu instid0(VALU_DEP_1) | instskip(NEXT) | instid1(VALU_DEP_1)
	v_subrev_nc_u32_e32 v2, 28, v1
	v_lshlrev_b64_e32 v[2:3], v2, v[4:5]
	s_delay_alu instid0(VALU_DEP_1)
	v_dual_sub_nc_u32 v1, 29, v1 :: v_dual_bitop2_b32 v4, 7, v2 bitop3:0x40
; %bb.3062:                             ;   in Loop: Header=BB216_2096 Depth=1
	s_or_b32 exec_lo, exec_lo, s3
	v_lshlrev_b32_e32 v2, 24, v0
	s_delay_alu instid0(VALU_DEP_2) | instskip(NEXT) | instid1(VALU_DEP_3)
	v_lshlrev_b32_e32 v3, 20, v4
	v_lshl_add_u32 v1, v1, 23, 0x3c000000
	s_delay_alu instid0(VALU_DEP_3) | instskip(NEXT) | instid1(VALU_DEP_1)
	v_and_b32_e32 v2, 0x80000000, v2
	v_or3_b32 v4, v3, v2, v1
	v_mov_b32_e32 v1, v5
	s_clause 0x1
	scratch_store_b64 off, v[0:1], s32 offset:192
	scratch_store_b64 off, v[4:5], s32 offset:1236
.LBB216_3063:                           ;   in Loop: Header=BB216_2096 Depth=1
	s_wait_xcnt 0x0
	s_or_b32 exec_lo, exec_lo, s2
.LBB216_3064:                           ;   in Loop: Header=BB216_2096 Depth=1
	s_delay_alu instid0(SALU_CYCLE_1)
	s_or_b32 exec_lo, exec_lo, s1
.LBB216_3065:                           ;   in Loop: Header=BB216_2096 Depth=1
	s_delay_alu instid0(SALU_CYCLE_1) | instskip(SKIP_2) | instid1(VALU_DEP_1)
	s_or_b32 exec_lo, exec_lo, s0
	v_lshrrev_b16 v1, 8, v0
	s_mov_b32 s0, exec_lo
	v_cmpx_ne_u16_e32 0, v1
	s_cbranch_execz .LBB216_3073
; %bb.3066:                             ;   in Loop: Header=BB216_2096 Depth=1
	v_mov_b64_e32 v[2:3], 0x8000000000000000
	s_mov_b32 s1, exec_lo
	scratch_store_b64 off, v[2:3], s32 offset:1228 ; 8-byte Folded Spill
	s_wait_xcnt 0x0
	v_cmpx_ne_u16_e32 0x80, v1
	s_cbranch_execz .LBB216_3072
; %bb.3067:                             ;   in Loop: Header=BB216_2096 Depth=1
	v_and_b32_e32 v1, 0xffff, v1
	v_mov_b64_e32 v[4:5], 0x7f80000100000000
	s_mov_b32 s2, exec_lo
	s_delay_alu instid0(VALU_DEP_2)
	v_and_b32_e32 v2, 0x7f, v1
	scratch_store_b64 off, v[4:5], s32 offset:1228 ; 8-byte Folded Spill
	s_wait_xcnt 0x0
	v_cmpx_ne_u32_e32 0x7f, v2
	s_cbranch_execz .LBB216_3071
; %bb.3068:                             ;   in Loop: Header=BB216_2096 Depth=1
	scratch_load_b64 v[4:5], off, s32 offset:192 th:TH_LOAD_LU ; 8-byte Folded Reload
	s_wait_loadcnt 0x0
	v_dual_lshrrev_b32 v1, 3, v2 :: v_dual_bitop2_b32 v4, 7, v1 bitop3:0x40
	s_mov_b32 s3, exec_lo
	s_wait_xcnt 0x0
	v_cmpx_gt_u32_e32 8, v2
; %bb.3069:                             ;   in Loop: Header=BB216_2096 Depth=1
	s_delay_alu instid0(VALU_DEP_2) | instskip(NEXT) | instid1(VALU_DEP_1)
	v_clz_i32_u32_e32 v1, v4
	v_min_u32_e32 v1, 32, v1
	s_delay_alu instid0(VALU_DEP_1) | instskip(NEXT) | instid1(VALU_DEP_1)
	v_subrev_nc_u32_e32 v2, 28, v1
	v_lshlrev_b64_e32 v[2:3], v2, v[4:5]
	s_delay_alu instid0(VALU_DEP_1)
	v_dual_sub_nc_u32 v1, 29, v1 :: v_dual_bitop2_b32 v4, 7, v2 bitop3:0x40
; %bb.3070:                             ;   in Loop: Header=BB216_2096 Depth=1
	s_or_b32 exec_lo, exec_lo, s3
	v_lshlrev_b32_e32 v2, 16, v0
	s_delay_alu instid0(VALU_DEP_2) | instskip(NEXT) | instid1(VALU_DEP_3)
	v_lshlrev_b32_e32 v3, 20, v4
	v_lshl_add_u32 v1, v1, 23, 0x3c000000
	s_delay_alu instid0(VALU_DEP_3) | instskip(NEXT) | instid1(VALU_DEP_1)
	v_and_b32_e32 v2, 0x80000000, v2
	v_or3_b32 v3, v3, v2, v1
	v_dual_mov_b32 v1, v5 :: v_dual_mov_b32 v2, v5
	s_clause 0x1
	scratch_store_b64 off, v[0:1], s32 offset:192
	scratch_store_b64 off, v[2:3], s32 offset:1228
.LBB216_3071:                           ;   in Loop: Header=BB216_2096 Depth=1
	s_wait_xcnt 0x0
	s_or_b32 exec_lo, exec_lo, s2
.LBB216_3072:                           ;   in Loop: Header=BB216_2096 Depth=1
	s_delay_alu instid0(SALU_CYCLE_1)
	s_or_b32 exec_lo, exec_lo, s1
.LBB216_3073:                           ;   in Loop: Header=BB216_2096 Depth=1
	s_delay_alu instid0(SALU_CYCLE_1) | instskip(SKIP_3) | instid1(VALU_DEP_1)
	s_or_b32 exec_lo, exec_lo, s0
	v_mov_b64_e32 v[4:5], 0
	v_lshrrev_b32_e32 v1, 16, v0
	s_mov_b32 s0, exec_lo
	v_and_b32_e32 v2, 0xff, v1
	scratch_store_b64 off, v[4:5], s32 offset:1244 ; 8-byte Folded Spill
	s_wait_xcnt 0x0
	v_mov_b64_e32 v[4:5], 0
	scratch_store_b64 off, v[4:5], s32 offset:1252 ; 8-byte Folded Spill
	s_wait_xcnt 0x0
	v_cmpx_ne_u16_e32 0, v2
	s_cbranch_execz .LBB216_3081
; %bb.3074:                             ;   in Loop: Header=BB216_2096 Depth=1
	v_cmp_ne_u16_e32 vcc_lo, 0x80, v2
	v_mov_b64_e32 v[2:3], 0x80000000
	scratch_store_b64 off, v[2:3], s32 offset:1252 ; 8-byte Folded Spill
	s_wait_xcnt 0x0
	s_and_saveexec_b32 s1, vcc_lo
	s_cbranch_execz .LBB216_3080
; %bb.3075:                             ;   in Loop: Header=BB216_2096 Depth=1
	v_mov_b64_e32 v[4:5], 0x7f800001
	v_bfe_u32 v3, v0, 16, 7
	s_mov_b32 s2, exec_lo
	scratch_store_b64 off, v[4:5], s32 offset:1252 ; 8-byte Folded Spill
	s_wait_xcnt 0x0
	v_cmpx_ne_u32_e32 0x7f, v3
	s_cbranch_execz .LBB216_3079
; %bb.3076:                             ;   in Loop: Header=BB216_2096 Depth=1
	scratch_load_b64 v[6:7], off, s32 offset:192 th:TH_LOAD_LU ; 8-byte Folded Reload
	s_wait_loadcnt 0x0
	v_dual_lshrrev_b32 v2, 3, v3 :: v_dual_bitop2_b32 v6, 7, v1 bitop3:0x40
	s_mov_b32 s3, exec_lo
	s_wait_xcnt 0x0
	v_cmpx_gt_u32_e32 8, v3
; %bb.3077:                             ;   in Loop: Header=BB216_2096 Depth=1
	s_delay_alu instid0(VALU_DEP_2) | instskip(NEXT) | instid1(VALU_DEP_1)
	v_clz_i32_u32_e32 v2, v6
	v_min_u32_e32 v2, 32, v2
	s_delay_alu instid0(VALU_DEP_1) | instskip(NEXT) | instid1(VALU_DEP_1)
	v_subrev_nc_u32_e32 v3, 28, v2
	v_lshlrev_b64_e32 v[4:5], v3, v[6:7]
	s_delay_alu instid0(VALU_DEP_1)
	v_dual_sub_nc_u32 v2, 29, v2 :: v_dual_bitop2_b32 v6, 7, v4 bitop3:0x40
; %bb.3078:                             ;   in Loop: Header=BB216_2096 Depth=1
	s_or_b32 exec_lo, exec_lo, s3
	s_delay_alu instid0(VALU_DEP_1) | instskip(NEXT) | instid1(VALU_DEP_2)
	v_dual_lshlrev_b32 v1, 24, v1 :: v_dual_lshlrev_b32 v3, 20, v6
	v_lshl_add_u32 v2, v2, 23, 0x3c000000
	s_delay_alu instid0(VALU_DEP_2) | instskip(NEXT) | instid1(VALU_DEP_1)
	v_and_b32_e32 v1, 0x80000000, v1
	v_or3_b32 v6, v3, v1, v2
	v_mov_b32_e32 v1, v7
	s_clause 0x1
	scratch_store_b64 off, v[0:1], s32 offset:192
	scratch_store_b64 off, v[6:7], s32 offset:1252
.LBB216_3079:                           ;   in Loop: Header=BB216_2096 Depth=1
	s_wait_xcnt 0x0
	s_or_b32 exec_lo, exec_lo, s2
.LBB216_3080:                           ;   in Loop: Header=BB216_2096 Depth=1
	s_delay_alu instid0(SALU_CYCLE_1)
	s_or_b32 exec_lo, exec_lo, s1
.LBB216_3081:                           ;   in Loop: Header=BB216_2096 Depth=1
	s_delay_alu instid0(SALU_CYCLE_1) | instskip(NEXT) | instid1(SALU_CYCLE_1)
	s_or_b32 exec_lo, exec_lo, s0
	s_mov_b32 s0, exec_lo
	v_cmpx_lt_u32_e32 0xffffff, v0
	s_cbranch_execz .LBB216_3089
; %bb.3082:                             ;   in Loop: Header=BB216_2096 Depth=1
	v_mov_b64_e32 v[2:3], 0x8000000000000000
	v_lshrrev_b32_e32 v1, 24, v0
	s_mov_b32 s1, exec_lo
	scratch_store_b64 off, v[2:3], s32 offset:1244 ; 8-byte Folded Spill
	s_wait_xcnt 0x0
	v_cmpx_ne_u32_e32 0x80, v1
	s_cbranch_execz .LBB216_3088
; %bb.3083:                             ;   in Loop: Header=BB216_2096 Depth=1
	v_mov_b64_e32 v[4:5], 0x7f80000100000000
	v_bfe_u32 v2, v0, 24, 7
	s_mov_b32 s2, exec_lo
	scratch_store_b64 off, v[4:5], s32 offset:1244 ; 8-byte Folded Spill
	s_wait_xcnt 0x0
	v_cmpx_ne_u32_e32 0x7f, v2
	s_cbranch_execz .LBB216_3087
; %bb.3084:                             ;   in Loop: Header=BB216_2096 Depth=1
	scratch_load_b64 v[4:5], off, s32 offset:192 th:TH_LOAD_LU ; 8-byte Folded Reload
	s_wait_loadcnt 0x0
	v_dual_lshrrev_b32 v0, 3, v2 :: v_dual_bitop2_b32 v4, 7, v1 bitop3:0x40
	s_mov_b32 s3, exec_lo
	s_wait_xcnt 0x0
	v_cmpx_gt_u32_e32 8, v2
; %bb.3085:                             ;   in Loop: Header=BB216_2096 Depth=1
	s_delay_alu instid0(VALU_DEP_2) | instskip(NEXT) | instid1(VALU_DEP_1)
	v_clz_i32_u32_e32 v0, v4
	v_min_u32_e32 v0, 32, v0
	s_delay_alu instid0(VALU_DEP_1) | instskip(NEXT) | instid1(VALU_DEP_1)
	v_subrev_nc_u32_e32 v2, 28, v0
	v_lshlrev_b64_e32 v[2:3], v2, v[4:5]
	s_delay_alu instid0(VALU_DEP_1)
	v_dual_sub_nc_u32 v0, 29, v0 :: v_dual_bitop2_b32 v4, 7, v2 bitop3:0x40
; %bb.3086:                             ;   in Loop: Header=BB216_2096 Depth=1
	s_or_b32 exec_lo, exec_lo, s3
	s_delay_alu instid0(VALU_DEP_1) | instskip(NEXT) | instid1(VALU_DEP_2)
	v_dual_lshlrev_b32 v1, 24, v1 :: v_dual_lshlrev_b32 v2, 20, v4
	v_lshl_add_u32 v0, v0, 23, 0x3c000000
	s_delay_alu instid0(VALU_DEP_2) | instskip(NEXT) | instid1(VALU_DEP_1)
	v_and_b32_e32 v1, 0x80000000, v1
	v_or3_b32 v3, v2, v1, v0
	v_dual_mov_b32 v1, v5 :: v_dual_mov_b32 v2, v5
	s_clause 0x1
	scratch_store_b64 off, v[0:1], s32 offset:192
	scratch_store_b64 off, v[2:3], s32 offset:1244
.LBB216_3087:                           ;   in Loop: Header=BB216_2096 Depth=1
	s_wait_xcnt 0x0
	s_or_b32 exec_lo, exec_lo, s2
.LBB216_3088:                           ;   in Loop: Header=BB216_2096 Depth=1
	s_delay_alu instid0(SALU_CYCLE_1)
	s_or_b32 exec_lo, exec_lo, s1
.LBB216_3089:                           ;   in Loop: Header=BB216_2096 Depth=1
	s_delay_alu instid0(SALU_CYCLE_1)
	s_or_b32 exec_lo, exec_lo, s0
	s_clause 0x1
	scratch_load_b64 v[0:1], off, s32 offset:2388
	scratch_load_b64 v[2:3], off, s32 offset:260
	s_mov_b32 s0, exec_lo
	s_wait_loadcnt 0x0
	v_add_nc_u64_e32 v[0:1], v[2:3], v[0:1]
	v_mov_b64_e32 v[2:3], 0
	flat_load_b32 v0, v[0:1]
	scratch_store_b64 off, v[2:3], s32 offset:1260 ; 8-byte Folded Spill
	s_wait_xcnt 0x0
	v_mov_b64_e32 v[2:3], 0
	scratch_store_b64 off, v[2:3], s32 offset:1268 ; 8-byte Folded Spill
	s_wait_loadcnt_dscnt 0x0
	v_and_b32_e32 v1, 0xff, v0
	s_wait_xcnt 0x0
	s_delay_alu instid0(VALU_DEP_1)
	v_cmpx_ne_u16_e32 0, v1
	s_cbranch_execz .LBB216_3097
; %bb.3090:                             ;   in Loop: Header=BB216_2096 Depth=1
	v_mov_b64_e32 v[2:3], 0x80000000
	s_mov_b32 s1, exec_lo
	scratch_store_b64 off, v[2:3], s32 offset:1268 ; 8-byte Folded Spill
	s_wait_xcnt 0x0
	v_cmpx_ne_u16_e32 0x80, v1
	s_cbranch_execz .LBB216_3096
; %bb.3091:                             ;   in Loop: Header=BB216_2096 Depth=1
	v_mov_b64_e32 v[4:5], 0x7f800001
	v_and_b32_e32 v2, 0x7f, v0
	s_mov_b32 s2, exec_lo
	scratch_store_b64 off, v[4:5], s32 offset:1268 ; 8-byte Folded Spill
	s_wait_xcnt 0x0
	v_cmpx_ne_u32_e32 0x7f, v2
	s_cbranch_execz .LBB216_3095
; %bb.3092:                             ;   in Loop: Header=BB216_2096 Depth=1
	scratch_load_b64 v[4:5], off, s32 offset:192 th:TH_LOAD_LU ; 8-byte Folded Reload
	s_wait_loadcnt 0x0
	v_dual_lshrrev_b32 v1, 3, v2 :: v_dual_bitop2_b32 v4, 7, v0 bitop3:0x40
	s_mov_b32 s3, exec_lo
	s_wait_xcnt 0x0
	v_cmpx_gt_u32_e32 8, v2
; %bb.3093:                             ;   in Loop: Header=BB216_2096 Depth=1
	s_delay_alu instid0(VALU_DEP_2) | instskip(NEXT) | instid1(VALU_DEP_1)
	v_clz_i32_u32_e32 v1, v4
	v_min_u32_e32 v1, 32, v1
	s_delay_alu instid0(VALU_DEP_1) | instskip(NEXT) | instid1(VALU_DEP_1)
	v_subrev_nc_u32_e32 v2, 28, v1
	v_lshlrev_b64_e32 v[2:3], v2, v[4:5]
	s_delay_alu instid0(VALU_DEP_1)
	v_dual_sub_nc_u32 v1, 29, v1 :: v_dual_bitop2_b32 v4, 7, v2 bitop3:0x40
; %bb.3094:                             ;   in Loop: Header=BB216_2096 Depth=1
	s_or_b32 exec_lo, exec_lo, s3
	v_lshlrev_b32_e32 v2, 24, v0
	s_delay_alu instid0(VALU_DEP_2) | instskip(NEXT) | instid1(VALU_DEP_3)
	v_lshlrev_b32_e32 v3, 20, v4
	v_lshl_add_u32 v1, v1, 23, 0x3c000000
	s_delay_alu instid0(VALU_DEP_3) | instskip(NEXT) | instid1(VALU_DEP_1)
	v_and_b32_e32 v2, 0x80000000, v2
	v_or3_b32 v4, v3, v2, v1
	v_mov_b32_e32 v1, v5
	s_clause 0x1
	scratch_store_b64 off, v[0:1], s32 offset:192
	scratch_store_b64 off, v[4:5], s32 offset:1268
.LBB216_3095:                           ;   in Loop: Header=BB216_2096 Depth=1
	s_wait_xcnt 0x0
	s_or_b32 exec_lo, exec_lo, s2
.LBB216_3096:                           ;   in Loop: Header=BB216_2096 Depth=1
	s_delay_alu instid0(SALU_CYCLE_1)
	s_or_b32 exec_lo, exec_lo, s1
.LBB216_3097:                           ;   in Loop: Header=BB216_2096 Depth=1
	s_delay_alu instid0(SALU_CYCLE_1) | instskip(SKIP_2) | instid1(VALU_DEP_1)
	s_or_b32 exec_lo, exec_lo, s0
	v_lshrrev_b16 v1, 8, v0
	s_mov_b32 s0, exec_lo
	v_cmpx_ne_u16_e32 0, v1
	s_cbranch_execz .LBB216_3105
; %bb.3098:                             ;   in Loop: Header=BB216_2096 Depth=1
	v_mov_b64_e32 v[2:3], 0x8000000000000000
	s_mov_b32 s1, exec_lo
	scratch_store_b64 off, v[2:3], s32 offset:1260 ; 8-byte Folded Spill
	s_wait_xcnt 0x0
	v_cmpx_ne_u16_e32 0x80, v1
	s_cbranch_execz .LBB216_3104
; %bb.3099:                             ;   in Loop: Header=BB216_2096 Depth=1
	v_and_b32_e32 v1, 0xffff, v1
	v_mov_b64_e32 v[4:5], 0x7f80000100000000
	s_mov_b32 s2, exec_lo
	s_delay_alu instid0(VALU_DEP_2)
	v_and_b32_e32 v2, 0x7f, v1
	scratch_store_b64 off, v[4:5], s32 offset:1260 ; 8-byte Folded Spill
	s_wait_xcnt 0x0
	v_cmpx_ne_u32_e32 0x7f, v2
	s_cbranch_execz .LBB216_3103
; %bb.3100:                             ;   in Loop: Header=BB216_2096 Depth=1
	scratch_load_b64 v[4:5], off, s32 offset:192 th:TH_LOAD_LU ; 8-byte Folded Reload
	s_wait_loadcnt 0x0
	v_dual_lshrrev_b32 v1, 3, v2 :: v_dual_bitop2_b32 v4, 7, v1 bitop3:0x40
	s_mov_b32 s3, exec_lo
	s_wait_xcnt 0x0
	v_cmpx_gt_u32_e32 8, v2
; %bb.3101:                             ;   in Loop: Header=BB216_2096 Depth=1
	s_delay_alu instid0(VALU_DEP_2) | instskip(NEXT) | instid1(VALU_DEP_1)
	v_clz_i32_u32_e32 v1, v4
	v_min_u32_e32 v1, 32, v1
	s_delay_alu instid0(VALU_DEP_1) | instskip(NEXT) | instid1(VALU_DEP_1)
	v_subrev_nc_u32_e32 v2, 28, v1
	v_lshlrev_b64_e32 v[2:3], v2, v[4:5]
	s_delay_alu instid0(VALU_DEP_1)
	v_dual_sub_nc_u32 v1, 29, v1 :: v_dual_bitop2_b32 v4, 7, v2 bitop3:0x40
; %bb.3102:                             ;   in Loop: Header=BB216_2096 Depth=1
	s_or_b32 exec_lo, exec_lo, s3
	v_lshlrev_b32_e32 v2, 16, v0
	s_delay_alu instid0(VALU_DEP_2) | instskip(NEXT) | instid1(VALU_DEP_3)
	v_lshlrev_b32_e32 v3, 20, v4
	v_lshl_add_u32 v1, v1, 23, 0x3c000000
	s_delay_alu instid0(VALU_DEP_3) | instskip(NEXT) | instid1(VALU_DEP_1)
	v_and_b32_e32 v2, 0x80000000, v2
	v_or3_b32 v3, v3, v2, v1
	v_dual_mov_b32 v1, v5 :: v_dual_mov_b32 v2, v5
	s_clause 0x1
	scratch_store_b64 off, v[0:1], s32 offset:192
	scratch_store_b64 off, v[2:3], s32 offset:1260
.LBB216_3103:                           ;   in Loop: Header=BB216_2096 Depth=1
	s_wait_xcnt 0x0
	s_or_b32 exec_lo, exec_lo, s2
.LBB216_3104:                           ;   in Loop: Header=BB216_2096 Depth=1
	s_delay_alu instid0(SALU_CYCLE_1)
	s_or_b32 exec_lo, exec_lo, s1
.LBB216_3105:                           ;   in Loop: Header=BB216_2096 Depth=1
	s_delay_alu instid0(SALU_CYCLE_1) | instskip(SKIP_3) | instid1(VALU_DEP_1)
	s_or_b32 exec_lo, exec_lo, s0
	v_mov_b64_e32 v[4:5], 0
	v_lshrrev_b32_e32 v1, 16, v0
	s_mov_b32 s0, exec_lo
	v_and_b32_e32 v2, 0xff, v1
	scratch_store_b64 off, v[4:5], s32 offset:1276 ; 8-byte Folded Spill
	s_wait_xcnt 0x0
	v_mov_b64_e32 v[4:5], 0
	scratch_store_b64 off, v[4:5], s32 offset:1284 ; 8-byte Folded Spill
	s_wait_xcnt 0x0
	v_cmpx_ne_u16_e32 0, v2
	s_cbranch_execz .LBB216_3113
; %bb.3106:                             ;   in Loop: Header=BB216_2096 Depth=1
	v_cmp_ne_u16_e32 vcc_lo, 0x80, v2
	v_mov_b64_e32 v[2:3], 0x80000000
	scratch_store_b64 off, v[2:3], s32 offset:1284 ; 8-byte Folded Spill
	s_wait_xcnt 0x0
	s_and_saveexec_b32 s1, vcc_lo
	s_cbranch_execz .LBB216_3112
; %bb.3107:                             ;   in Loop: Header=BB216_2096 Depth=1
	v_mov_b64_e32 v[4:5], 0x7f800001
	v_bfe_u32 v3, v0, 16, 7
	s_mov_b32 s2, exec_lo
	scratch_store_b64 off, v[4:5], s32 offset:1284 ; 8-byte Folded Spill
	s_wait_xcnt 0x0
	v_cmpx_ne_u32_e32 0x7f, v3
	s_cbranch_execz .LBB216_3111
; %bb.3108:                             ;   in Loop: Header=BB216_2096 Depth=1
	scratch_load_b64 v[6:7], off, s32 offset:192 th:TH_LOAD_LU ; 8-byte Folded Reload
	s_wait_loadcnt 0x0
	v_dual_lshrrev_b32 v2, 3, v3 :: v_dual_bitop2_b32 v6, 7, v1 bitop3:0x40
	s_mov_b32 s3, exec_lo
	s_wait_xcnt 0x0
	v_cmpx_gt_u32_e32 8, v3
; %bb.3109:                             ;   in Loop: Header=BB216_2096 Depth=1
	s_delay_alu instid0(VALU_DEP_2) | instskip(NEXT) | instid1(VALU_DEP_1)
	v_clz_i32_u32_e32 v2, v6
	v_min_u32_e32 v2, 32, v2
	s_delay_alu instid0(VALU_DEP_1) | instskip(NEXT) | instid1(VALU_DEP_1)
	v_subrev_nc_u32_e32 v3, 28, v2
	v_lshlrev_b64_e32 v[4:5], v3, v[6:7]
	s_delay_alu instid0(VALU_DEP_1)
	v_dual_sub_nc_u32 v2, 29, v2 :: v_dual_bitop2_b32 v6, 7, v4 bitop3:0x40
; %bb.3110:                             ;   in Loop: Header=BB216_2096 Depth=1
	s_or_b32 exec_lo, exec_lo, s3
	s_delay_alu instid0(VALU_DEP_1) | instskip(NEXT) | instid1(VALU_DEP_2)
	v_dual_lshlrev_b32 v1, 24, v1 :: v_dual_lshlrev_b32 v3, 20, v6
	v_lshl_add_u32 v2, v2, 23, 0x3c000000
	s_delay_alu instid0(VALU_DEP_2) | instskip(NEXT) | instid1(VALU_DEP_1)
	v_and_b32_e32 v1, 0x80000000, v1
	v_or3_b32 v6, v3, v1, v2
	v_mov_b32_e32 v1, v7
	s_clause 0x1
	scratch_store_b64 off, v[0:1], s32 offset:192
	scratch_store_b64 off, v[6:7], s32 offset:1284
.LBB216_3111:                           ;   in Loop: Header=BB216_2096 Depth=1
	s_wait_xcnt 0x0
	s_or_b32 exec_lo, exec_lo, s2
.LBB216_3112:                           ;   in Loop: Header=BB216_2096 Depth=1
	s_delay_alu instid0(SALU_CYCLE_1)
	s_or_b32 exec_lo, exec_lo, s1
.LBB216_3113:                           ;   in Loop: Header=BB216_2096 Depth=1
	s_delay_alu instid0(SALU_CYCLE_1) | instskip(NEXT) | instid1(SALU_CYCLE_1)
	s_or_b32 exec_lo, exec_lo, s0
	s_mov_b32 s0, exec_lo
	v_cmpx_lt_u32_e32 0xffffff, v0
	s_cbranch_execz .LBB216_3121
; %bb.3114:                             ;   in Loop: Header=BB216_2096 Depth=1
	v_mov_b64_e32 v[2:3], 0x8000000000000000
	v_lshrrev_b32_e32 v1, 24, v0
	s_mov_b32 s1, exec_lo
	scratch_store_b64 off, v[2:3], s32 offset:1276 ; 8-byte Folded Spill
	s_wait_xcnt 0x0
	v_cmpx_ne_u32_e32 0x80, v1
	s_cbranch_execz .LBB216_3120
; %bb.3115:                             ;   in Loop: Header=BB216_2096 Depth=1
	v_mov_b64_e32 v[4:5], 0x7f80000100000000
	v_bfe_u32 v2, v0, 24, 7
	s_mov_b32 s2, exec_lo
	scratch_store_b64 off, v[4:5], s32 offset:1276 ; 8-byte Folded Spill
	s_wait_xcnt 0x0
	v_cmpx_ne_u32_e32 0x7f, v2
	s_cbranch_execz .LBB216_3119
; %bb.3116:                             ;   in Loop: Header=BB216_2096 Depth=1
	scratch_load_b64 v[4:5], off, s32 offset:192 th:TH_LOAD_LU ; 8-byte Folded Reload
	s_wait_loadcnt 0x0
	v_dual_lshrrev_b32 v0, 3, v2 :: v_dual_bitop2_b32 v4, 7, v1 bitop3:0x40
	s_mov_b32 s3, exec_lo
	s_wait_xcnt 0x0
	v_cmpx_gt_u32_e32 8, v2
; %bb.3117:                             ;   in Loop: Header=BB216_2096 Depth=1
	s_delay_alu instid0(VALU_DEP_2) | instskip(NEXT) | instid1(VALU_DEP_1)
	v_clz_i32_u32_e32 v0, v4
	v_min_u32_e32 v0, 32, v0
	s_delay_alu instid0(VALU_DEP_1) | instskip(NEXT) | instid1(VALU_DEP_1)
	v_subrev_nc_u32_e32 v2, 28, v0
	v_lshlrev_b64_e32 v[2:3], v2, v[4:5]
	s_delay_alu instid0(VALU_DEP_1)
	v_dual_sub_nc_u32 v0, 29, v0 :: v_dual_bitop2_b32 v4, 7, v2 bitop3:0x40
; %bb.3118:                             ;   in Loop: Header=BB216_2096 Depth=1
	s_or_b32 exec_lo, exec_lo, s3
	s_delay_alu instid0(VALU_DEP_1) | instskip(NEXT) | instid1(VALU_DEP_2)
	v_dual_lshlrev_b32 v1, 24, v1 :: v_dual_lshlrev_b32 v2, 20, v4
	v_lshl_add_u32 v0, v0, 23, 0x3c000000
	s_delay_alu instid0(VALU_DEP_2) | instskip(NEXT) | instid1(VALU_DEP_1)
	v_and_b32_e32 v1, 0x80000000, v1
	v_or3_b32 v3, v2, v1, v0
	v_dual_mov_b32 v1, v5 :: v_dual_mov_b32 v2, v5
	s_clause 0x1
	scratch_store_b64 off, v[0:1], s32 offset:192
	scratch_store_b64 off, v[2:3], s32 offset:1276
.LBB216_3119:                           ;   in Loop: Header=BB216_2096 Depth=1
	s_wait_xcnt 0x0
	s_or_b32 exec_lo, exec_lo, s2
.LBB216_3120:                           ;   in Loop: Header=BB216_2096 Depth=1
	s_delay_alu instid0(SALU_CYCLE_1)
	s_or_b32 exec_lo, exec_lo, s1
.LBB216_3121:                           ;   in Loop: Header=BB216_2096 Depth=1
	s_delay_alu instid0(SALU_CYCLE_1)
	s_or_b32 exec_lo, exec_lo, s0
	flat_load_b32 v0, v[24:25] offset:4096
	v_mov_b64_e32 v[2:3], 0
	s_mov_b32 s0, exec_lo
	scratch_store_b64 off, v[2:3], s32 offset:1292 ; 8-byte Folded Spill
	s_wait_xcnt 0x0
	v_mov_b64_e32 v[2:3], 0
	scratch_store_b64 off, v[2:3], s32 offset:1300 ; 8-byte Folded Spill
	s_wait_loadcnt_dscnt 0x0
	v_and_b32_e32 v1, 0xff, v0
	s_wait_xcnt 0x0
	s_delay_alu instid0(VALU_DEP_1)
	v_cmpx_ne_u16_e32 0, v1
	s_cbranch_execz .LBB216_3129
; %bb.3122:                             ;   in Loop: Header=BB216_2096 Depth=1
	v_mov_b64_e32 v[2:3], 0x80000000
	s_mov_b32 s1, exec_lo
	scratch_store_b64 off, v[2:3], s32 offset:1300 ; 8-byte Folded Spill
	s_wait_xcnt 0x0
	v_cmpx_ne_u16_e32 0x80, v1
	s_cbranch_execz .LBB216_3128
; %bb.3123:                             ;   in Loop: Header=BB216_2096 Depth=1
	v_mov_b64_e32 v[4:5], 0x7f800001
	v_and_b32_e32 v2, 0x7f, v0
	s_mov_b32 s2, exec_lo
	scratch_store_b64 off, v[4:5], s32 offset:1300 ; 8-byte Folded Spill
	s_wait_xcnt 0x0
	v_cmpx_ne_u32_e32 0x7f, v2
	s_cbranch_execz .LBB216_3127
; %bb.3124:                             ;   in Loop: Header=BB216_2096 Depth=1
	scratch_load_b64 v[4:5], off, s32 offset:192 th:TH_LOAD_LU ; 8-byte Folded Reload
	s_wait_loadcnt 0x0
	v_dual_lshrrev_b32 v1, 3, v2 :: v_dual_bitop2_b32 v4, 7, v0 bitop3:0x40
	s_mov_b32 s3, exec_lo
	s_wait_xcnt 0x0
	v_cmpx_gt_u32_e32 8, v2
; %bb.3125:                             ;   in Loop: Header=BB216_2096 Depth=1
	s_delay_alu instid0(VALU_DEP_2) | instskip(NEXT) | instid1(VALU_DEP_1)
	v_clz_i32_u32_e32 v1, v4
	v_min_u32_e32 v1, 32, v1
	s_delay_alu instid0(VALU_DEP_1) | instskip(NEXT) | instid1(VALU_DEP_1)
	v_subrev_nc_u32_e32 v2, 28, v1
	v_lshlrev_b64_e32 v[2:3], v2, v[4:5]
	s_delay_alu instid0(VALU_DEP_1)
	v_dual_sub_nc_u32 v1, 29, v1 :: v_dual_bitop2_b32 v4, 7, v2 bitop3:0x40
; %bb.3126:                             ;   in Loop: Header=BB216_2096 Depth=1
	s_or_b32 exec_lo, exec_lo, s3
	v_lshlrev_b32_e32 v2, 24, v0
	s_delay_alu instid0(VALU_DEP_2) | instskip(NEXT) | instid1(VALU_DEP_3)
	v_lshlrev_b32_e32 v3, 20, v4
	v_lshl_add_u32 v1, v1, 23, 0x3c000000
	s_delay_alu instid0(VALU_DEP_3) | instskip(NEXT) | instid1(VALU_DEP_1)
	v_and_b32_e32 v2, 0x80000000, v2
	v_or3_b32 v4, v3, v2, v1
	v_mov_b32_e32 v1, v5
	s_clause 0x1
	scratch_store_b64 off, v[0:1], s32 offset:192
	scratch_store_b64 off, v[4:5], s32 offset:1300
.LBB216_3127:                           ;   in Loop: Header=BB216_2096 Depth=1
	s_wait_xcnt 0x0
	s_or_b32 exec_lo, exec_lo, s2
.LBB216_3128:                           ;   in Loop: Header=BB216_2096 Depth=1
	s_delay_alu instid0(SALU_CYCLE_1)
	s_or_b32 exec_lo, exec_lo, s1
.LBB216_3129:                           ;   in Loop: Header=BB216_2096 Depth=1
	s_delay_alu instid0(SALU_CYCLE_1) | instskip(SKIP_2) | instid1(VALU_DEP_1)
	s_or_b32 exec_lo, exec_lo, s0
	v_lshrrev_b16 v1, 8, v0
	s_mov_b32 s0, exec_lo
	v_cmpx_ne_u16_e32 0, v1
	s_cbranch_execz .LBB216_3137
; %bb.3130:                             ;   in Loop: Header=BB216_2096 Depth=1
	v_mov_b64_e32 v[2:3], 0x8000000000000000
	s_mov_b32 s1, exec_lo
	scratch_store_b64 off, v[2:3], s32 offset:1292 ; 8-byte Folded Spill
	s_wait_xcnt 0x0
	v_cmpx_ne_u16_e32 0x80, v1
	s_cbranch_execz .LBB216_3136
; %bb.3131:                             ;   in Loop: Header=BB216_2096 Depth=1
	v_and_b32_e32 v1, 0xffff, v1
	v_mov_b64_e32 v[4:5], 0x7f80000100000000
	s_mov_b32 s2, exec_lo
	s_delay_alu instid0(VALU_DEP_2)
	v_and_b32_e32 v2, 0x7f, v1
	scratch_store_b64 off, v[4:5], s32 offset:1292 ; 8-byte Folded Spill
	s_wait_xcnt 0x0
	v_cmpx_ne_u32_e32 0x7f, v2
	s_cbranch_execz .LBB216_3135
; %bb.3132:                             ;   in Loop: Header=BB216_2096 Depth=1
	scratch_load_b64 v[4:5], off, s32 offset:192 th:TH_LOAD_LU ; 8-byte Folded Reload
	s_wait_loadcnt 0x0
	v_dual_lshrrev_b32 v1, 3, v2 :: v_dual_bitop2_b32 v4, 7, v1 bitop3:0x40
	s_mov_b32 s3, exec_lo
	s_wait_xcnt 0x0
	v_cmpx_gt_u32_e32 8, v2
; %bb.3133:                             ;   in Loop: Header=BB216_2096 Depth=1
	s_delay_alu instid0(VALU_DEP_2) | instskip(NEXT) | instid1(VALU_DEP_1)
	v_clz_i32_u32_e32 v1, v4
	v_min_u32_e32 v1, 32, v1
	s_delay_alu instid0(VALU_DEP_1) | instskip(NEXT) | instid1(VALU_DEP_1)
	v_subrev_nc_u32_e32 v2, 28, v1
	v_lshlrev_b64_e32 v[2:3], v2, v[4:5]
	s_delay_alu instid0(VALU_DEP_1)
	v_dual_sub_nc_u32 v1, 29, v1 :: v_dual_bitop2_b32 v4, 7, v2 bitop3:0x40
; %bb.3134:                             ;   in Loop: Header=BB216_2096 Depth=1
	s_or_b32 exec_lo, exec_lo, s3
	v_lshlrev_b32_e32 v2, 16, v0
	s_delay_alu instid0(VALU_DEP_2) | instskip(NEXT) | instid1(VALU_DEP_3)
	v_lshlrev_b32_e32 v3, 20, v4
	v_lshl_add_u32 v1, v1, 23, 0x3c000000
	s_delay_alu instid0(VALU_DEP_3) | instskip(NEXT) | instid1(VALU_DEP_1)
	v_and_b32_e32 v2, 0x80000000, v2
	v_or3_b32 v3, v3, v2, v1
	v_dual_mov_b32 v1, v5 :: v_dual_mov_b32 v2, v5
	s_clause 0x1
	scratch_store_b64 off, v[0:1], s32 offset:192
	scratch_store_b64 off, v[2:3], s32 offset:1292
.LBB216_3135:                           ;   in Loop: Header=BB216_2096 Depth=1
	s_wait_xcnt 0x0
	s_or_b32 exec_lo, exec_lo, s2
.LBB216_3136:                           ;   in Loop: Header=BB216_2096 Depth=1
	s_delay_alu instid0(SALU_CYCLE_1)
	s_or_b32 exec_lo, exec_lo, s1
.LBB216_3137:                           ;   in Loop: Header=BB216_2096 Depth=1
	s_delay_alu instid0(SALU_CYCLE_1) | instskip(SKIP_3) | instid1(VALU_DEP_1)
	s_or_b32 exec_lo, exec_lo, s0
	v_mov_b64_e32 v[4:5], 0
	v_lshrrev_b32_e32 v1, 16, v0
	s_mov_b32 s0, exec_lo
	v_and_b32_e32 v2, 0xff, v1
	scratch_store_b64 off, v[4:5], s32 offset:1308 ; 8-byte Folded Spill
	s_wait_xcnt 0x0
	v_mov_b64_e32 v[4:5], 0
	scratch_store_b64 off, v[4:5], s32 offset:1316 ; 8-byte Folded Spill
	s_wait_xcnt 0x0
	v_cmpx_ne_u16_e32 0, v2
	s_cbranch_execz .LBB216_3145
; %bb.3138:                             ;   in Loop: Header=BB216_2096 Depth=1
	v_cmp_ne_u16_e32 vcc_lo, 0x80, v2
	v_mov_b64_e32 v[2:3], 0x80000000
	scratch_store_b64 off, v[2:3], s32 offset:1316 ; 8-byte Folded Spill
	s_wait_xcnt 0x0
	s_and_saveexec_b32 s1, vcc_lo
	s_cbranch_execz .LBB216_3144
; %bb.3139:                             ;   in Loop: Header=BB216_2096 Depth=1
	v_mov_b64_e32 v[4:5], 0x7f800001
	v_bfe_u32 v3, v0, 16, 7
	s_mov_b32 s2, exec_lo
	scratch_store_b64 off, v[4:5], s32 offset:1316 ; 8-byte Folded Spill
	s_wait_xcnt 0x0
	v_cmpx_ne_u32_e32 0x7f, v3
	s_cbranch_execz .LBB216_3143
; %bb.3140:                             ;   in Loop: Header=BB216_2096 Depth=1
	scratch_load_b64 v[6:7], off, s32 offset:192 th:TH_LOAD_LU ; 8-byte Folded Reload
	s_wait_loadcnt 0x0
	v_dual_lshrrev_b32 v2, 3, v3 :: v_dual_bitop2_b32 v6, 7, v1 bitop3:0x40
	s_mov_b32 s3, exec_lo
	s_wait_xcnt 0x0
	v_cmpx_gt_u32_e32 8, v3
; %bb.3141:                             ;   in Loop: Header=BB216_2096 Depth=1
	s_delay_alu instid0(VALU_DEP_2) | instskip(NEXT) | instid1(VALU_DEP_1)
	v_clz_i32_u32_e32 v2, v6
	v_min_u32_e32 v2, 32, v2
	s_delay_alu instid0(VALU_DEP_1) | instskip(NEXT) | instid1(VALU_DEP_1)
	v_subrev_nc_u32_e32 v3, 28, v2
	v_lshlrev_b64_e32 v[4:5], v3, v[6:7]
	s_delay_alu instid0(VALU_DEP_1)
	v_dual_sub_nc_u32 v2, 29, v2 :: v_dual_bitop2_b32 v6, 7, v4 bitop3:0x40
; %bb.3142:                             ;   in Loop: Header=BB216_2096 Depth=1
	s_or_b32 exec_lo, exec_lo, s3
	s_delay_alu instid0(VALU_DEP_1) | instskip(NEXT) | instid1(VALU_DEP_2)
	v_dual_lshlrev_b32 v1, 24, v1 :: v_dual_lshlrev_b32 v3, 20, v6
	v_lshl_add_u32 v2, v2, 23, 0x3c000000
	s_delay_alu instid0(VALU_DEP_2) | instskip(NEXT) | instid1(VALU_DEP_1)
	v_and_b32_e32 v1, 0x80000000, v1
	v_or3_b32 v6, v3, v1, v2
	v_mov_b32_e32 v1, v7
	s_clause 0x1
	scratch_store_b64 off, v[0:1], s32 offset:192
	scratch_store_b64 off, v[6:7], s32 offset:1316
.LBB216_3143:                           ;   in Loop: Header=BB216_2096 Depth=1
	s_wait_xcnt 0x0
	s_or_b32 exec_lo, exec_lo, s2
.LBB216_3144:                           ;   in Loop: Header=BB216_2096 Depth=1
	s_delay_alu instid0(SALU_CYCLE_1)
	s_or_b32 exec_lo, exec_lo, s1
.LBB216_3145:                           ;   in Loop: Header=BB216_2096 Depth=1
	s_delay_alu instid0(SALU_CYCLE_1) | instskip(NEXT) | instid1(SALU_CYCLE_1)
	s_or_b32 exec_lo, exec_lo, s0
	s_mov_b32 s0, exec_lo
	v_cmpx_lt_u32_e32 0xffffff, v0
	s_cbranch_execz .LBB216_3153
; %bb.3146:                             ;   in Loop: Header=BB216_2096 Depth=1
	v_mov_b64_e32 v[2:3], 0x8000000000000000
	v_lshrrev_b32_e32 v1, 24, v0
	s_mov_b32 s1, exec_lo
	scratch_store_b64 off, v[2:3], s32 offset:1308 ; 8-byte Folded Spill
	s_wait_xcnt 0x0
	v_cmpx_ne_u32_e32 0x80, v1
	s_cbranch_execz .LBB216_3152
; %bb.3147:                             ;   in Loop: Header=BB216_2096 Depth=1
	v_mov_b64_e32 v[4:5], 0x7f80000100000000
	v_bfe_u32 v2, v0, 24, 7
	s_mov_b32 s2, exec_lo
	scratch_store_b64 off, v[4:5], s32 offset:1308 ; 8-byte Folded Spill
	s_wait_xcnt 0x0
	v_cmpx_ne_u32_e32 0x7f, v2
	s_cbranch_execz .LBB216_3151
; %bb.3148:                             ;   in Loop: Header=BB216_2096 Depth=1
	scratch_load_b64 v[4:5], off, s32 offset:192 th:TH_LOAD_LU ; 8-byte Folded Reload
	s_wait_loadcnt 0x0
	v_dual_lshrrev_b32 v0, 3, v2 :: v_dual_bitop2_b32 v4, 7, v1 bitop3:0x40
	s_mov_b32 s3, exec_lo
	s_wait_xcnt 0x0
	v_cmpx_gt_u32_e32 8, v2
; %bb.3149:                             ;   in Loop: Header=BB216_2096 Depth=1
	s_delay_alu instid0(VALU_DEP_2) | instskip(NEXT) | instid1(VALU_DEP_1)
	v_clz_i32_u32_e32 v0, v4
	v_min_u32_e32 v0, 32, v0
	s_delay_alu instid0(VALU_DEP_1) | instskip(NEXT) | instid1(VALU_DEP_1)
	v_subrev_nc_u32_e32 v2, 28, v0
	v_lshlrev_b64_e32 v[2:3], v2, v[4:5]
	s_delay_alu instid0(VALU_DEP_1)
	v_dual_sub_nc_u32 v0, 29, v0 :: v_dual_bitop2_b32 v4, 7, v2 bitop3:0x40
; %bb.3150:                             ;   in Loop: Header=BB216_2096 Depth=1
	s_or_b32 exec_lo, exec_lo, s3
	s_delay_alu instid0(VALU_DEP_1) | instskip(NEXT) | instid1(VALU_DEP_2)
	v_dual_lshlrev_b32 v1, 24, v1 :: v_dual_lshlrev_b32 v2, 20, v4
	v_lshl_add_u32 v0, v0, 23, 0x3c000000
	s_delay_alu instid0(VALU_DEP_2) | instskip(NEXT) | instid1(VALU_DEP_1)
	v_and_b32_e32 v1, 0x80000000, v1
	v_or3_b32 v3, v2, v1, v0
	v_dual_mov_b32 v1, v5 :: v_dual_mov_b32 v2, v5
	s_clause 0x1
	scratch_store_b64 off, v[0:1], s32 offset:192
	scratch_store_b64 off, v[2:3], s32 offset:1308
.LBB216_3151:                           ;   in Loop: Header=BB216_2096 Depth=1
	s_wait_xcnt 0x0
	s_or_b32 exec_lo, exec_lo, s2
.LBB216_3152:                           ;   in Loop: Header=BB216_2096 Depth=1
	s_delay_alu instid0(SALU_CYCLE_1)
	s_or_b32 exec_lo, exec_lo, s1
.LBB216_3153:                           ;   in Loop: Header=BB216_2096 Depth=1
	s_delay_alu instid0(SALU_CYCLE_1)
	s_or_b32 exec_lo, exec_lo, s0
	flat_load_b32 v0, v[24:25] offset:4224
	v_mov_b64_e32 v[2:3], 0
	s_mov_b32 s0, exec_lo
	scratch_store_b64 off, v[2:3], s32 offset:1324 ; 8-byte Folded Spill
	s_wait_xcnt 0x0
	v_mov_b64_e32 v[2:3], 0
	scratch_store_b64 off, v[2:3], s32 offset:1332 ; 8-byte Folded Spill
	s_wait_loadcnt_dscnt 0x0
	v_and_b32_e32 v1, 0xff, v0
	s_wait_xcnt 0x0
	s_delay_alu instid0(VALU_DEP_1)
	v_cmpx_ne_u16_e32 0, v1
	s_cbranch_execz .LBB216_3161
; %bb.3154:                             ;   in Loop: Header=BB216_2096 Depth=1
	v_mov_b64_e32 v[2:3], 0x80000000
	s_mov_b32 s1, exec_lo
	scratch_store_b64 off, v[2:3], s32 offset:1332 ; 8-byte Folded Spill
	s_wait_xcnt 0x0
	v_cmpx_ne_u16_e32 0x80, v1
	s_cbranch_execz .LBB216_3160
; %bb.3155:                             ;   in Loop: Header=BB216_2096 Depth=1
	v_mov_b64_e32 v[4:5], 0x7f800001
	v_and_b32_e32 v2, 0x7f, v0
	s_mov_b32 s2, exec_lo
	scratch_store_b64 off, v[4:5], s32 offset:1332 ; 8-byte Folded Spill
	s_wait_xcnt 0x0
	v_cmpx_ne_u32_e32 0x7f, v2
	s_cbranch_execz .LBB216_3159
; %bb.3156:                             ;   in Loop: Header=BB216_2096 Depth=1
	scratch_load_b64 v[4:5], off, s32 offset:192 th:TH_LOAD_LU ; 8-byte Folded Reload
	s_wait_loadcnt 0x0
	v_dual_lshrrev_b32 v1, 3, v2 :: v_dual_bitop2_b32 v4, 7, v0 bitop3:0x40
	s_mov_b32 s3, exec_lo
	s_wait_xcnt 0x0
	v_cmpx_gt_u32_e32 8, v2
; %bb.3157:                             ;   in Loop: Header=BB216_2096 Depth=1
	s_delay_alu instid0(VALU_DEP_2) | instskip(NEXT) | instid1(VALU_DEP_1)
	v_clz_i32_u32_e32 v1, v4
	v_min_u32_e32 v1, 32, v1
	s_delay_alu instid0(VALU_DEP_1) | instskip(NEXT) | instid1(VALU_DEP_1)
	v_subrev_nc_u32_e32 v2, 28, v1
	v_lshlrev_b64_e32 v[2:3], v2, v[4:5]
	s_delay_alu instid0(VALU_DEP_1)
	v_dual_sub_nc_u32 v1, 29, v1 :: v_dual_bitop2_b32 v4, 7, v2 bitop3:0x40
; %bb.3158:                             ;   in Loop: Header=BB216_2096 Depth=1
	s_or_b32 exec_lo, exec_lo, s3
	v_lshlrev_b32_e32 v2, 24, v0
	s_delay_alu instid0(VALU_DEP_2) | instskip(NEXT) | instid1(VALU_DEP_3)
	v_lshlrev_b32_e32 v3, 20, v4
	v_lshl_add_u32 v1, v1, 23, 0x3c000000
	s_delay_alu instid0(VALU_DEP_3) | instskip(NEXT) | instid1(VALU_DEP_1)
	v_and_b32_e32 v2, 0x80000000, v2
	v_or3_b32 v4, v3, v2, v1
	v_mov_b32_e32 v1, v5
	s_clause 0x1
	scratch_store_b64 off, v[0:1], s32 offset:192
	scratch_store_b64 off, v[4:5], s32 offset:1332
.LBB216_3159:                           ;   in Loop: Header=BB216_2096 Depth=1
	s_wait_xcnt 0x0
	s_or_b32 exec_lo, exec_lo, s2
.LBB216_3160:                           ;   in Loop: Header=BB216_2096 Depth=1
	s_delay_alu instid0(SALU_CYCLE_1)
	s_or_b32 exec_lo, exec_lo, s1
.LBB216_3161:                           ;   in Loop: Header=BB216_2096 Depth=1
	s_delay_alu instid0(SALU_CYCLE_1) | instskip(SKIP_2) | instid1(VALU_DEP_1)
	s_or_b32 exec_lo, exec_lo, s0
	v_lshrrev_b16 v1, 8, v0
	s_mov_b32 s0, exec_lo
	v_cmpx_ne_u16_e32 0, v1
	s_cbranch_execz .LBB216_3169
; %bb.3162:                             ;   in Loop: Header=BB216_2096 Depth=1
	v_mov_b64_e32 v[2:3], 0x8000000000000000
	s_mov_b32 s1, exec_lo
	scratch_store_b64 off, v[2:3], s32 offset:1324 ; 8-byte Folded Spill
	s_wait_xcnt 0x0
	v_cmpx_ne_u16_e32 0x80, v1
	s_cbranch_execz .LBB216_3168
; %bb.3163:                             ;   in Loop: Header=BB216_2096 Depth=1
	v_and_b32_e32 v1, 0xffff, v1
	v_mov_b64_e32 v[4:5], 0x7f80000100000000
	s_mov_b32 s2, exec_lo
	s_delay_alu instid0(VALU_DEP_2)
	v_and_b32_e32 v2, 0x7f, v1
	scratch_store_b64 off, v[4:5], s32 offset:1324 ; 8-byte Folded Spill
	s_wait_xcnt 0x0
	v_cmpx_ne_u32_e32 0x7f, v2
	s_cbranch_execz .LBB216_3167
; %bb.3164:                             ;   in Loop: Header=BB216_2096 Depth=1
	scratch_load_b64 v[4:5], off, s32 offset:192 th:TH_LOAD_LU ; 8-byte Folded Reload
	s_wait_loadcnt 0x0
	v_dual_lshrrev_b32 v1, 3, v2 :: v_dual_bitop2_b32 v4, 7, v1 bitop3:0x40
	s_mov_b32 s3, exec_lo
	s_wait_xcnt 0x0
	v_cmpx_gt_u32_e32 8, v2
; %bb.3165:                             ;   in Loop: Header=BB216_2096 Depth=1
	s_delay_alu instid0(VALU_DEP_2) | instskip(NEXT) | instid1(VALU_DEP_1)
	v_clz_i32_u32_e32 v1, v4
	v_min_u32_e32 v1, 32, v1
	s_delay_alu instid0(VALU_DEP_1) | instskip(NEXT) | instid1(VALU_DEP_1)
	v_subrev_nc_u32_e32 v2, 28, v1
	v_lshlrev_b64_e32 v[2:3], v2, v[4:5]
	s_delay_alu instid0(VALU_DEP_1)
	v_dual_sub_nc_u32 v1, 29, v1 :: v_dual_bitop2_b32 v4, 7, v2 bitop3:0x40
; %bb.3166:                             ;   in Loop: Header=BB216_2096 Depth=1
	s_or_b32 exec_lo, exec_lo, s3
	v_lshlrev_b32_e32 v2, 16, v0
	s_delay_alu instid0(VALU_DEP_2) | instskip(NEXT) | instid1(VALU_DEP_3)
	v_lshlrev_b32_e32 v3, 20, v4
	v_lshl_add_u32 v1, v1, 23, 0x3c000000
	s_delay_alu instid0(VALU_DEP_3) | instskip(NEXT) | instid1(VALU_DEP_1)
	v_and_b32_e32 v2, 0x80000000, v2
	v_or3_b32 v3, v3, v2, v1
	v_dual_mov_b32 v1, v5 :: v_dual_mov_b32 v2, v5
	s_clause 0x1
	scratch_store_b64 off, v[0:1], s32 offset:192
	scratch_store_b64 off, v[2:3], s32 offset:1324
.LBB216_3167:                           ;   in Loop: Header=BB216_2096 Depth=1
	s_wait_xcnt 0x0
	s_or_b32 exec_lo, exec_lo, s2
.LBB216_3168:                           ;   in Loop: Header=BB216_2096 Depth=1
	s_delay_alu instid0(SALU_CYCLE_1)
	s_or_b32 exec_lo, exec_lo, s1
.LBB216_3169:                           ;   in Loop: Header=BB216_2096 Depth=1
	s_delay_alu instid0(SALU_CYCLE_1) | instskip(SKIP_3) | instid1(VALU_DEP_1)
	s_or_b32 exec_lo, exec_lo, s0
	v_mov_b64_e32 v[4:5], 0
	v_lshrrev_b32_e32 v1, 16, v0
	s_mov_b32 s0, exec_lo
	v_and_b32_e32 v2, 0xff, v1
	scratch_store_b64 off, v[4:5], s32 offset:1340 ; 8-byte Folded Spill
	s_wait_xcnt 0x0
	v_mov_b64_e32 v[4:5], 0
	scratch_store_b64 off, v[4:5], s32 offset:1348 ; 8-byte Folded Spill
	s_wait_xcnt 0x0
	v_cmpx_ne_u16_e32 0, v2
	s_cbranch_execz .LBB216_3177
; %bb.3170:                             ;   in Loop: Header=BB216_2096 Depth=1
	v_cmp_ne_u16_e32 vcc_lo, 0x80, v2
	v_mov_b64_e32 v[2:3], 0x80000000
	scratch_store_b64 off, v[2:3], s32 offset:1348 ; 8-byte Folded Spill
	s_wait_xcnt 0x0
	s_and_saveexec_b32 s1, vcc_lo
	s_cbranch_execz .LBB216_3176
; %bb.3171:                             ;   in Loop: Header=BB216_2096 Depth=1
	v_mov_b64_e32 v[4:5], 0x7f800001
	v_bfe_u32 v3, v0, 16, 7
	s_mov_b32 s2, exec_lo
	scratch_store_b64 off, v[4:5], s32 offset:1348 ; 8-byte Folded Spill
	s_wait_xcnt 0x0
	v_cmpx_ne_u32_e32 0x7f, v3
	s_cbranch_execz .LBB216_3175
; %bb.3172:                             ;   in Loop: Header=BB216_2096 Depth=1
	scratch_load_b64 v[6:7], off, s32 offset:192 th:TH_LOAD_LU ; 8-byte Folded Reload
	s_wait_loadcnt 0x0
	v_dual_lshrrev_b32 v2, 3, v3 :: v_dual_bitop2_b32 v6, 7, v1 bitop3:0x40
	s_mov_b32 s3, exec_lo
	s_wait_xcnt 0x0
	v_cmpx_gt_u32_e32 8, v3
; %bb.3173:                             ;   in Loop: Header=BB216_2096 Depth=1
	s_delay_alu instid0(VALU_DEP_2) | instskip(NEXT) | instid1(VALU_DEP_1)
	v_clz_i32_u32_e32 v2, v6
	v_min_u32_e32 v2, 32, v2
	s_delay_alu instid0(VALU_DEP_1) | instskip(NEXT) | instid1(VALU_DEP_1)
	v_subrev_nc_u32_e32 v3, 28, v2
	v_lshlrev_b64_e32 v[4:5], v3, v[6:7]
	s_delay_alu instid0(VALU_DEP_1)
	v_dual_sub_nc_u32 v2, 29, v2 :: v_dual_bitop2_b32 v6, 7, v4 bitop3:0x40
; %bb.3174:                             ;   in Loop: Header=BB216_2096 Depth=1
	s_or_b32 exec_lo, exec_lo, s3
	s_delay_alu instid0(VALU_DEP_1) | instskip(NEXT) | instid1(VALU_DEP_2)
	v_dual_lshlrev_b32 v1, 24, v1 :: v_dual_lshlrev_b32 v3, 20, v6
	v_lshl_add_u32 v2, v2, 23, 0x3c000000
	s_delay_alu instid0(VALU_DEP_2) | instskip(NEXT) | instid1(VALU_DEP_1)
	v_and_b32_e32 v1, 0x80000000, v1
	v_or3_b32 v6, v3, v1, v2
	v_mov_b32_e32 v1, v7
	s_clause 0x1
	scratch_store_b64 off, v[0:1], s32 offset:192
	scratch_store_b64 off, v[6:7], s32 offset:1348
.LBB216_3175:                           ;   in Loop: Header=BB216_2096 Depth=1
	s_wait_xcnt 0x0
	s_or_b32 exec_lo, exec_lo, s2
.LBB216_3176:                           ;   in Loop: Header=BB216_2096 Depth=1
	s_delay_alu instid0(SALU_CYCLE_1)
	s_or_b32 exec_lo, exec_lo, s1
.LBB216_3177:                           ;   in Loop: Header=BB216_2096 Depth=1
	s_delay_alu instid0(SALU_CYCLE_1) | instskip(NEXT) | instid1(SALU_CYCLE_1)
	s_or_b32 exec_lo, exec_lo, s0
	s_mov_b32 s0, exec_lo
	v_cmpx_lt_u32_e32 0xffffff, v0
	s_cbranch_execz .LBB216_3185
; %bb.3178:                             ;   in Loop: Header=BB216_2096 Depth=1
	v_mov_b64_e32 v[2:3], 0x8000000000000000
	v_lshrrev_b32_e32 v1, 24, v0
	s_mov_b32 s1, exec_lo
	scratch_store_b64 off, v[2:3], s32 offset:1340 ; 8-byte Folded Spill
	s_wait_xcnt 0x0
	v_cmpx_ne_u32_e32 0x80, v1
	s_cbranch_execz .LBB216_3184
; %bb.3179:                             ;   in Loop: Header=BB216_2096 Depth=1
	v_mov_b64_e32 v[4:5], 0x7f80000100000000
	v_bfe_u32 v2, v0, 24, 7
	s_mov_b32 s2, exec_lo
	scratch_store_b64 off, v[4:5], s32 offset:1340 ; 8-byte Folded Spill
	s_wait_xcnt 0x0
	v_cmpx_ne_u32_e32 0x7f, v2
	s_cbranch_execz .LBB216_3183
; %bb.3180:                             ;   in Loop: Header=BB216_2096 Depth=1
	scratch_load_b64 v[4:5], off, s32 offset:192 th:TH_LOAD_LU ; 8-byte Folded Reload
	s_wait_loadcnt 0x0
	v_dual_lshrrev_b32 v0, 3, v2 :: v_dual_bitop2_b32 v4, 7, v1 bitop3:0x40
	s_mov_b32 s3, exec_lo
	s_wait_xcnt 0x0
	v_cmpx_gt_u32_e32 8, v2
; %bb.3181:                             ;   in Loop: Header=BB216_2096 Depth=1
	s_delay_alu instid0(VALU_DEP_2) | instskip(NEXT) | instid1(VALU_DEP_1)
	v_clz_i32_u32_e32 v0, v4
	v_min_u32_e32 v0, 32, v0
	s_delay_alu instid0(VALU_DEP_1) | instskip(NEXT) | instid1(VALU_DEP_1)
	v_subrev_nc_u32_e32 v2, 28, v0
	v_lshlrev_b64_e32 v[2:3], v2, v[4:5]
	s_delay_alu instid0(VALU_DEP_1)
	v_dual_sub_nc_u32 v0, 29, v0 :: v_dual_bitop2_b32 v4, 7, v2 bitop3:0x40
; %bb.3182:                             ;   in Loop: Header=BB216_2096 Depth=1
	s_or_b32 exec_lo, exec_lo, s3
	s_delay_alu instid0(VALU_DEP_1) | instskip(NEXT) | instid1(VALU_DEP_2)
	v_dual_lshlrev_b32 v1, 24, v1 :: v_dual_lshlrev_b32 v2, 20, v4
	v_lshl_add_u32 v0, v0, 23, 0x3c000000
	s_delay_alu instid0(VALU_DEP_2) | instskip(NEXT) | instid1(VALU_DEP_1)
	v_and_b32_e32 v1, 0x80000000, v1
	v_or3_b32 v3, v2, v1, v0
	v_dual_mov_b32 v1, v5 :: v_dual_mov_b32 v2, v5
	s_clause 0x1
	scratch_store_b64 off, v[0:1], s32 offset:192
	scratch_store_b64 off, v[2:3], s32 offset:1340
.LBB216_3183:                           ;   in Loop: Header=BB216_2096 Depth=1
	s_wait_xcnt 0x0
	s_or_b32 exec_lo, exec_lo, s2
.LBB216_3184:                           ;   in Loop: Header=BB216_2096 Depth=1
	s_delay_alu instid0(SALU_CYCLE_1)
	s_or_b32 exec_lo, exec_lo, s1
.LBB216_3185:                           ;   in Loop: Header=BB216_2096 Depth=1
	s_delay_alu instid0(SALU_CYCLE_1)
	s_or_b32 exec_lo, exec_lo, s0
	flat_load_b32 v0, v[24:25] offset:4352
	v_mov_b64_e32 v[2:3], 0
	s_mov_b32 s0, exec_lo
	scratch_store_b64 off, v[2:3], s32 offset:1356 ; 8-byte Folded Spill
	s_wait_xcnt 0x0
	v_mov_b64_e32 v[2:3], 0
	scratch_store_b64 off, v[2:3], s32 offset:1364 ; 8-byte Folded Spill
	s_wait_loadcnt_dscnt 0x0
	v_and_b32_e32 v1, 0xff, v0
	s_wait_xcnt 0x0
	s_delay_alu instid0(VALU_DEP_1)
	v_cmpx_ne_u16_e32 0, v1
	s_cbranch_execz .LBB216_3193
; %bb.3186:                             ;   in Loop: Header=BB216_2096 Depth=1
	v_mov_b64_e32 v[2:3], 0x80000000
	s_mov_b32 s1, exec_lo
	scratch_store_b64 off, v[2:3], s32 offset:1364 ; 8-byte Folded Spill
	s_wait_xcnt 0x0
	v_cmpx_ne_u16_e32 0x80, v1
	s_cbranch_execz .LBB216_3192
; %bb.3187:                             ;   in Loop: Header=BB216_2096 Depth=1
	v_mov_b64_e32 v[4:5], 0x7f800001
	v_and_b32_e32 v2, 0x7f, v0
	s_mov_b32 s2, exec_lo
	scratch_store_b64 off, v[4:5], s32 offset:1364 ; 8-byte Folded Spill
	s_wait_xcnt 0x0
	v_cmpx_ne_u32_e32 0x7f, v2
	s_cbranch_execz .LBB216_3191
; %bb.3188:                             ;   in Loop: Header=BB216_2096 Depth=1
	scratch_load_b64 v[4:5], off, s32 offset:192 th:TH_LOAD_LU ; 8-byte Folded Reload
	s_wait_loadcnt 0x0
	v_dual_lshrrev_b32 v1, 3, v2 :: v_dual_bitop2_b32 v4, 7, v0 bitop3:0x40
	s_mov_b32 s3, exec_lo
	s_wait_xcnt 0x0
	v_cmpx_gt_u32_e32 8, v2
; %bb.3189:                             ;   in Loop: Header=BB216_2096 Depth=1
	s_delay_alu instid0(VALU_DEP_2) | instskip(NEXT) | instid1(VALU_DEP_1)
	v_clz_i32_u32_e32 v1, v4
	v_min_u32_e32 v1, 32, v1
	s_delay_alu instid0(VALU_DEP_1) | instskip(NEXT) | instid1(VALU_DEP_1)
	v_subrev_nc_u32_e32 v2, 28, v1
	v_lshlrev_b64_e32 v[2:3], v2, v[4:5]
	s_delay_alu instid0(VALU_DEP_1)
	v_dual_sub_nc_u32 v1, 29, v1 :: v_dual_bitop2_b32 v4, 7, v2 bitop3:0x40
; %bb.3190:                             ;   in Loop: Header=BB216_2096 Depth=1
	s_or_b32 exec_lo, exec_lo, s3
	v_lshlrev_b32_e32 v2, 24, v0
	s_delay_alu instid0(VALU_DEP_2) | instskip(NEXT) | instid1(VALU_DEP_3)
	v_lshlrev_b32_e32 v3, 20, v4
	v_lshl_add_u32 v1, v1, 23, 0x3c000000
	s_delay_alu instid0(VALU_DEP_3) | instskip(NEXT) | instid1(VALU_DEP_1)
	v_and_b32_e32 v2, 0x80000000, v2
	v_or3_b32 v4, v3, v2, v1
	v_mov_b32_e32 v1, v5
	s_clause 0x1
	scratch_store_b64 off, v[0:1], s32 offset:192
	scratch_store_b64 off, v[4:5], s32 offset:1364
.LBB216_3191:                           ;   in Loop: Header=BB216_2096 Depth=1
	s_wait_xcnt 0x0
	s_or_b32 exec_lo, exec_lo, s2
.LBB216_3192:                           ;   in Loop: Header=BB216_2096 Depth=1
	s_delay_alu instid0(SALU_CYCLE_1)
	s_or_b32 exec_lo, exec_lo, s1
.LBB216_3193:                           ;   in Loop: Header=BB216_2096 Depth=1
	s_delay_alu instid0(SALU_CYCLE_1) | instskip(SKIP_2) | instid1(VALU_DEP_1)
	s_or_b32 exec_lo, exec_lo, s0
	v_lshrrev_b16 v1, 8, v0
	s_mov_b32 s0, exec_lo
	v_cmpx_ne_u16_e32 0, v1
	s_cbranch_execz .LBB216_3201
; %bb.3194:                             ;   in Loop: Header=BB216_2096 Depth=1
	v_mov_b64_e32 v[2:3], 0x8000000000000000
	s_mov_b32 s1, exec_lo
	scratch_store_b64 off, v[2:3], s32 offset:1356 ; 8-byte Folded Spill
	s_wait_xcnt 0x0
	v_cmpx_ne_u16_e32 0x80, v1
	s_cbranch_execz .LBB216_3200
; %bb.3195:                             ;   in Loop: Header=BB216_2096 Depth=1
	v_and_b32_e32 v1, 0xffff, v1
	v_mov_b64_e32 v[4:5], 0x7f80000100000000
	s_mov_b32 s2, exec_lo
	s_delay_alu instid0(VALU_DEP_2)
	v_and_b32_e32 v2, 0x7f, v1
	scratch_store_b64 off, v[4:5], s32 offset:1356 ; 8-byte Folded Spill
	s_wait_xcnt 0x0
	v_cmpx_ne_u32_e32 0x7f, v2
	s_cbranch_execz .LBB216_3199
; %bb.3196:                             ;   in Loop: Header=BB216_2096 Depth=1
	scratch_load_b64 v[4:5], off, s32 offset:192 th:TH_LOAD_LU ; 8-byte Folded Reload
	s_wait_loadcnt 0x0
	v_dual_lshrrev_b32 v1, 3, v2 :: v_dual_bitop2_b32 v4, 7, v1 bitop3:0x40
	s_mov_b32 s3, exec_lo
	s_wait_xcnt 0x0
	v_cmpx_gt_u32_e32 8, v2
; %bb.3197:                             ;   in Loop: Header=BB216_2096 Depth=1
	s_delay_alu instid0(VALU_DEP_2) | instskip(NEXT) | instid1(VALU_DEP_1)
	v_clz_i32_u32_e32 v1, v4
	v_min_u32_e32 v1, 32, v1
	s_delay_alu instid0(VALU_DEP_1) | instskip(NEXT) | instid1(VALU_DEP_1)
	v_subrev_nc_u32_e32 v2, 28, v1
	v_lshlrev_b64_e32 v[2:3], v2, v[4:5]
	s_delay_alu instid0(VALU_DEP_1)
	v_dual_sub_nc_u32 v1, 29, v1 :: v_dual_bitop2_b32 v4, 7, v2 bitop3:0x40
; %bb.3198:                             ;   in Loop: Header=BB216_2096 Depth=1
	s_or_b32 exec_lo, exec_lo, s3
	v_lshlrev_b32_e32 v2, 16, v0
	s_delay_alu instid0(VALU_DEP_2) | instskip(NEXT) | instid1(VALU_DEP_3)
	v_lshlrev_b32_e32 v3, 20, v4
	v_lshl_add_u32 v1, v1, 23, 0x3c000000
	s_delay_alu instid0(VALU_DEP_3) | instskip(NEXT) | instid1(VALU_DEP_1)
	v_and_b32_e32 v2, 0x80000000, v2
	v_or3_b32 v3, v3, v2, v1
	v_dual_mov_b32 v1, v5 :: v_dual_mov_b32 v2, v5
	s_clause 0x1
	scratch_store_b64 off, v[0:1], s32 offset:192
	scratch_store_b64 off, v[2:3], s32 offset:1356
.LBB216_3199:                           ;   in Loop: Header=BB216_2096 Depth=1
	s_wait_xcnt 0x0
	s_or_b32 exec_lo, exec_lo, s2
.LBB216_3200:                           ;   in Loop: Header=BB216_2096 Depth=1
	s_delay_alu instid0(SALU_CYCLE_1)
	s_or_b32 exec_lo, exec_lo, s1
.LBB216_3201:                           ;   in Loop: Header=BB216_2096 Depth=1
	s_delay_alu instid0(SALU_CYCLE_1) | instskip(SKIP_3) | instid1(VALU_DEP_1)
	s_or_b32 exec_lo, exec_lo, s0
	v_mov_b64_e32 v[4:5], 0
	v_lshrrev_b32_e32 v1, 16, v0
	s_mov_b32 s0, exec_lo
	v_and_b32_e32 v2, 0xff, v1
	scratch_store_b64 off, v[4:5], s32 offset:1372 ; 8-byte Folded Spill
	s_wait_xcnt 0x0
	v_mov_b64_e32 v[4:5], 0
	scratch_store_b64 off, v[4:5], s32 offset:1380 ; 8-byte Folded Spill
	s_wait_xcnt 0x0
	v_cmpx_ne_u16_e32 0, v2
	s_cbranch_execz .LBB216_3209
; %bb.3202:                             ;   in Loop: Header=BB216_2096 Depth=1
	v_cmp_ne_u16_e32 vcc_lo, 0x80, v2
	v_mov_b64_e32 v[2:3], 0x80000000
	scratch_store_b64 off, v[2:3], s32 offset:1380 ; 8-byte Folded Spill
	s_wait_xcnt 0x0
	s_and_saveexec_b32 s1, vcc_lo
	s_cbranch_execz .LBB216_3208
; %bb.3203:                             ;   in Loop: Header=BB216_2096 Depth=1
	v_mov_b64_e32 v[4:5], 0x7f800001
	v_bfe_u32 v3, v0, 16, 7
	s_mov_b32 s2, exec_lo
	scratch_store_b64 off, v[4:5], s32 offset:1380 ; 8-byte Folded Spill
	s_wait_xcnt 0x0
	v_cmpx_ne_u32_e32 0x7f, v3
	s_cbranch_execz .LBB216_3207
; %bb.3204:                             ;   in Loop: Header=BB216_2096 Depth=1
	scratch_load_b64 v[6:7], off, s32 offset:192 th:TH_LOAD_LU ; 8-byte Folded Reload
	s_wait_loadcnt 0x0
	v_dual_lshrrev_b32 v2, 3, v3 :: v_dual_bitop2_b32 v6, 7, v1 bitop3:0x40
	s_mov_b32 s3, exec_lo
	s_wait_xcnt 0x0
	v_cmpx_gt_u32_e32 8, v3
; %bb.3205:                             ;   in Loop: Header=BB216_2096 Depth=1
	s_delay_alu instid0(VALU_DEP_2) | instskip(NEXT) | instid1(VALU_DEP_1)
	v_clz_i32_u32_e32 v2, v6
	v_min_u32_e32 v2, 32, v2
	s_delay_alu instid0(VALU_DEP_1) | instskip(NEXT) | instid1(VALU_DEP_1)
	v_subrev_nc_u32_e32 v3, 28, v2
	v_lshlrev_b64_e32 v[4:5], v3, v[6:7]
	s_delay_alu instid0(VALU_DEP_1)
	v_dual_sub_nc_u32 v2, 29, v2 :: v_dual_bitop2_b32 v6, 7, v4 bitop3:0x40
; %bb.3206:                             ;   in Loop: Header=BB216_2096 Depth=1
	s_or_b32 exec_lo, exec_lo, s3
	s_delay_alu instid0(VALU_DEP_1) | instskip(NEXT) | instid1(VALU_DEP_2)
	v_dual_lshlrev_b32 v1, 24, v1 :: v_dual_lshlrev_b32 v3, 20, v6
	v_lshl_add_u32 v2, v2, 23, 0x3c000000
	s_delay_alu instid0(VALU_DEP_2) | instskip(NEXT) | instid1(VALU_DEP_1)
	v_and_b32_e32 v1, 0x80000000, v1
	v_or3_b32 v6, v3, v1, v2
	v_mov_b32_e32 v1, v7
	s_clause 0x1
	scratch_store_b64 off, v[0:1], s32 offset:192
	scratch_store_b64 off, v[6:7], s32 offset:1380
.LBB216_3207:                           ;   in Loop: Header=BB216_2096 Depth=1
	s_wait_xcnt 0x0
	s_or_b32 exec_lo, exec_lo, s2
.LBB216_3208:                           ;   in Loop: Header=BB216_2096 Depth=1
	s_delay_alu instid0(SALU_CYCLE_1)
	s_or_b32 exec_lo, exec_lo, s1
.LBB216_3209:                           ;   in Loop: Header=BB216_2096 Depth=1
	s_delay_alu instid0(SALU_CYCLE_1) | instskip(NEXT) | instid1(SALU_CYCLE_1)
	s_or_b32 exec_lo, exec_lo, s0
	s_mov_b32 s0, exec_lo
	v_cmpx_lt_u32_e32 0xffffff, v0
	s_cbranch_execz .LBB216_3217
; %bb.3210:                             ;   in Loop: Header=BB216_2096 Depth=1
	v_mov_b64_e32 v[2:3], 0x8000000000000000
	v_lshrrev_b32_e32 v1, 24, v0
	s_mov_b32 s1, exec_lo
	scratch_store_b64 off, v[2:3], s32 offset:1372 ; 8-byte Folded Spill
	s_wait_xcnt 0x0
	v_cmpx_ne_u32_e32 0x80, v1
	s_cbranch_execz .LBB216_3216
; %bb.3211:                             ;   in Loop: Header=BB216_2096 Depth=1
	v_mov_b64_e32 v[4:5], 0x7f80000100000000
	v_bfe_u32 v2, v0, 24, 7
	s_mov_b32 s2, exec_lo
	scratch_store_b64 off, v[4:5], s32 offset:1372 ; 8-byte Folded Spill
	s_wait_xcnt 0x0
	v_cmpx_ne_u32_e32 0x7f, v2
	s_cbranch_execz .LBB216_3215
; %bb.3212:                             ;   in Loop: Header=BB216_2096 Depth=1
	scratch_load_b64 v[4:5], off, s32 offset:192 th:TH_LOAD_LU ; 8-byte Folded Reload
	s_wait_loadcnt 0x0
	v_dual_lshrrev_b32 v0, 3, v2 :: v_dual_bitop2_b32 v4, 7, v1 bitop3:0x40
	s_mov_b32 s3, exec_lo
	s_wait_xcnt 0x0
	v_cmpx_gt_u32_e32 8, v2
; %bb.3213:                             ;   in Loop: Header=BB216_2096 Depth=1
	s_delay_alu instid0(VALU_DEP_2) | instskip(NEXT) | instid1(VALU_DEP_1)
	v_clz_i32_u32_e32 v0, v4
	v_min_u32_e32 v0, 32, v0
	s_delay_alu instid0(VALU_DEP_1) | instskip(NEXT) | instid1(VALU_DEP_1)
	v_subrev_nc_u32_e32 v2, 28, v0
	v_lshlrev_b64_e32 v[2:3], v2, v[4:5]
	s_delay_alu instid0(VALU_DEP_1)
	v_dual_sub_nc_u32 v0, 29, v0 :: v_dual_bitop2_b32 v4, 7, v2 bitop3:0x40
; %bb.3214:                             ;   in Loop: Header=BB216_2096 Depth=1
	s_or_b32 exec_lo, exec_lo, s3
	s_delay_alu instid0(VALU_DEP_1) | instskip(NEXT) | instid1(VALU_DEP_2)
	v_dual_lshlrev_b32 v1, 24, v1 :: v_dual_lshlrev_b32 v2, 20, v4
	v_lshl_add_u32 v0, v0, 23, 0x3c000000
	s_delay_alu instid0(VALU_DEP_2) | instskip(NEXT) | instid1(VALU_DEP_1)
	v_and_b32_e32 v1, 0x80000000, v1
	v_or3_b32 v3, v2, v1, v0
	v_dual_mov_b32 v1, v5 :: v_dual_mov_b32 v2, v5
	s_clause 0x1
	scratch_store_b64 off, v[0:1], s32 offset:192
	scratch_store_b64 off, v[2:3], s32 offset:1372
.LBB216_3215:                           ;   in Loop: Header=BB216_2096 Depth=1
	s_wait_xcnt 0x0
	s_or_b32 exec_lo, exec_lo, s2
.LBB216_3216:                           ;   in Loop: Header=BB216_2096 Depth=1
	s_delay_alu instid0(SALU_CYCLE_1)
	s_or_b32 exec_lo, exec_lo, s1
.LBB216_3217:                           ;   in Loop: Header=BB216_2096 Depth=1
	s_delay_alu instid0(SALU_CYCLE_1)
	s_or_b32 exec_lo, exec_lo, s0
	flat_load_b32 v0, v[24:25] offset:4480
	v_mov_b64_e32 v[2:3], 0
	s_mov_b32 s0, exec_lo
	scratch_store_b64 off, v[2:3], s32 offset:1388 ; 8-byte Folded Spill
	s_wait_xcnt 0x0
	v_mov_b64_e32 v[2:3], 0
	scratch_store_b64 off, v[2:3], s32 offset:1396 ; 8-byte Folded Spill
	s_wait_loadcnt_dscnt 0x0
	v_and_b32_e32 v1, 0xff, v0
	s_wait_xcnt 0x0
	s_delay_alu instid0(VALU_DEP_1)
	v_cmpx_ne_u16_e32 0, v1
	s_cbranch_execz .LBB216_3225
; %bb.3218:                             ;   in Loop: Header=BB216_2096 Depth=1
	v_mov_b64_e32 v[2:3], 0x80000000
	s_mov_b32 s1, exec_lo
	scratch_store_b64 off, v[2:3], s32 offset:1396 ; 8-byte Folded Spill
	s_wait_xcnt 0x0
	v_cmpx_ne_u16_e32 0x80, v1
	s_cbranch_execz .LBB216_3224
; %bb.3219:                             ;   in Loop: Header=BB216_2096 Depth=1
	v_mov_b64_e32 v[4:5], 0x7f800001
	v_and_b32_e32 v2, 0x7f, v0
	s_mov_b32 s2, exec_lo
	scratch_store_b64 off, v[4:5], s32 offset:1396 ; 8-byte Folded Spill
	s_wait_xcnt 0x0
	v_cmpx_ne_u32_e32 0x7f, v2
	s_cbranch_execz .LBB216_3223
; %bb.3220:                             ;   in Loop: Header=BB216_2096 Depth=1
	scratch_load_b64 v[4:5], off, s32 offset:192 th:TH_LOAD_LU ; 8-byte Folded Reload
	s_wait_loadcnt 0x0
	v_dual_lshrrev_b32 v1, 3, v2 :: v_dual_bitop2_b32 v4, 7, v0 bitop3:0x40
	s_mov_b32 s3, exec_lo
	s_wait_xcnt 0x0
	v_cmpx_gt_u32_e32 8, v2
; %bb.3221:                             ;   in Loop: Header=BB216_2096 Depth=1
	s_delay_alu instid0(VALU_DEP_2) | instskip(NEXT) | instid1(VALU_DEP_1)
	v_clz_i32_u32_e32 v1, v4
	v_min_u32_e32 v1, 32, v1
	s_delay_alu instid0(VALU_DEP_1) | instskip(NEXT) | instid1(VALU_DEP_1)
	v_subrev_nc_u32_e32 v2, 28, v1
	v_lshlrev_b64_e32 v[2:3], v2, v[4:5]
	s_delay_alu instid0(VALU_DEP_1)
	v_dual_sub_nc_u32 v1, 29, v1 :: v_dual_bitop2_b32 v4, 7, v2 bitop3:0x40
; %bb.3222:                             ;   in Loop: Header=BB216_2096 Depth=1
	s_or_b32 exec_lo, exec_lo, s3
	v_lshlrev_b32_e32 v2, 24, v0
	s_delay_alu instid0(VALU_DEP_2) | instskip(NEXT) | instid1(VALU_DEP_3)
	v_lshlrev_b32_e32 v3, 20, v4
	v_lshl_add_u32 v1, v1, 23, 0x3c000000
	s_delay_alu instid0(VALU_DEP_3) | instskip(NEXT) | instid1(VALU_DEP_1)
	v_and_b32_e32 v2, 0x80000000, v2
	v_or3_b32 v4, v3, v2, v1
	v_mov_b32_e32 v1, v5
	s_clause 0x1
	scratch_store_b64 off, v[0:1], s32 offset:192
	scratch_store_b64 off, v[4:5], s32 offset:1396
.LBB216_3223:                           ;   in Loop: Header=BB216_2096 Depth=1
	s_wait_xcnt 0x0
	s_or_b32 exec_lo, exec_lo, s2
.LBB216_3224:                           ;   in Loop: Header=BB216_2096 Depth=1
	s_delay_alu instid0(SALU_CYCLE_1)
	s_or_b32 exec_lo, exec_lo, s1
.LBB216_3225:                           ;   in Loop: Header=BB216_2096 Depth=1
	s_delay_alu instid0(SALU_CYCLE_1) | instskip(SKIP_2) | instid1(VALU_DEP_1)
	s_or_b32 exec_lo, exec_lo, s0
	v_lshrrev_b16 v1, 8, v0
	s_mov_b32 s0, exec_lo
	v_cmpx_ne_u16_e32 0, v1
	s_cbranch_execz .LBB216_3233
; %bb.3226:                             ;   in Loop: Header=BB216_2096 Depth=1
	v_mov_b64_e32 v[2:3], 0x8000000000000000
	s_mov_b32 s1, exec_lo
	scratch_store_b64 off, v[2:3], s32 offset:1388 ; 8-byte Folded Spill
	s_wait_xcnt 0x0
	v_cmpx_ne_u16_e32 0x80, v1
	s_cbranch_execz .LBB216_3232
; %bb.3227:                             ;   in Loop: Header=BB216_2096 Depth=1
	v_and_b32_e32 v1, 0xffff, v1
	v_mov_b64_e32 v[4:5], 0x7f80000100000000
	s_mov_b32 s2, exec_lo
	s_delay_alu instid0(VALU_DEP_2)
	v_and_b32_e32 v2, 0x7f, v1
	scratch_store_b64 off, v[4:5], s32 offset:1388 ; 8-byte Folded Spill
	s_wait_xcnt 0x0
	v_cmpx_ne_u32_e32 0x7f, v2
	s_cbranch_execz .LBB216_3231
; %bb.3228:                             ;   in Loop: Header=BB216_2096 Depth=1
	scratch_load_b64 v[4:5], off, s32 offset:192 th:TH_LOAD_LU ; 8-byte Folded Reload
	s_wait_loadcnt 0x0
	v_dual_lshrrev_b32 v1, 3, v2 :: v_dual_bitop2_b32 v4, 7, v1 bitop3:0x40
	s_mov_b32 s3, exec_lo
	s_wait_xcnt 0x0
	v_cmpx_gt_u32_e32 8, v2
; %bb.3229:                             ;   in Loop: Header=BB216_2096 Depth=1
	s_delay_alu instid0(VALU_DEP_2) | instskip(NEXT) | instid1(VALU_DEP_1)
	v_clz_i32_u32_e32 v1, v4
	v_min_u32_e32 v1, 32, v1
	s_delay_alu instid0(VALU_DEP_1) | instskip(NEXT) | instid1(VALU_DEP_1)
	v_subrev_nc_u32_e32 v2, 28, v1
	v_lshlrev_b64_e32 v[2:3], v2, v[4:5]
	s_delay_alu instid0(VALU_DEP_1)
	v_dual_sub_nc_u32 v1, 29, v1 :: v_dual_bitop2_b32 v4, 7, v2 bitop3:0x40
; %bb.3230:                             ;   in Loop: Header=BB216_2096 Depth=1
	s_or_b32 exec_lo, exec_lo, s3
	v_lshlrev_b32_e32 v2, 16, v0
	s_delay_alu instid0(VALU_DEP_2) | instskip(NEXT) | instid1(VALU_DEP_3)
	v_lshlrev_b32_e32 v3, 20, v4
	v_lshl_add_u32 v1, v1, 23, 0x3c000000
	s_delay_alu instid0(VALU_DEP_3) | instskip(NEXT) | instid1(VALU_DEP_1)
	v_and_b32_e32 v2, 0x80000000, v2
	v_or3_b32 v3, v3, v2, v1
	v_dual_mov_b32 v1, v5 :: v_dual_mov_b32 v2, v5
	s_clause 0x1
	scratch_store_b64 off, v[0:1], s32 offset:192
	scratch_store_b64 off, v[2:3], s32 offset:1388
.LBB216_3231:                           ;   in Loop: Header=BB216_2096 Depth=1
	s_wait_xcnt 0x0
	s_or_b32 exec_lo, exec_lo, s2
.LBB216_3232:                           ;   in Loop: Header=BB216_2096 Depth=1
	s_delay_alu instid0(SALU_CYCLE_1)
	s_or_b32 exec_lo, exec_lo, s1
.LBB216_3233:                           ;   in Loop: Header=BB216_2096 Depth=1
	s_delay_alu instid0(SALU_CYCLE_1) | instskip(SKIP_3) | instid1(VALU_DEP_1)
	s_or_b32 exec_lo, exec_lo, s0
	v_mov_b64_e32 v[4:5], 0
	v_lshrrev_b32_e32 v1, 16, v0
	s_mov_b32 s0, exec_lo
	v_and_b32_e32 v2, 0xff, v1
	scratch_store_b64 off, v[4:5], s32 offset:1404 ; 8-byte Folded Spill
	s_wait_xcnt 0x0
	v_mov_b64_e32 v[4:5], 0
	scratch_store_b64 off, v[4:5], s32 offset:1412 ; 8-byte Folded Spill
	s_wait_xcnt 0x0
	v_cmpx_ne_u16_e32 0, v2
	s_cbranch_execz .LBB216_3241
; %bb.3234:                             ;   in Loop: Header=BB216_2096 Depth=1
	v_cmp_ne_u16_e32 vcc_lo, 0x80, v2
	v_mov_b64_e32 v[2:3], 0x80000000
	scratch_store_b64 off, v[2:3], s32 offset:1412 ; 8-byte Folded Spill
	s_wait_xcnt 0x0
	s_and_saveexec_b32 s1, vcc_lo
	s_cbranch_execz .LBB216_3240
; %bb.3235:                             ;   in Loop: Header=BB216_2096 Depth=1
	v_mov_b64_e32 v[4:5], 0x7f800001
	v_bfe_u32 v3, v0, 16, 7
	s_mov_b32 s2, exec_lo
	scratch_store_b64 off, v[4:5], s32 offset:1412 ; 8-byte Folded Spill
	s_wait_xcnt 0x0
	v_cmpx_ne_u32_e32 0x7f, v3
	s_cbranch_execz .LBB216_3239
; %bb.3236:                             ;   in Loop: Header=BB216_2096 Depth=1
	scratch_load_b64 v[6:7], off, s32 offset:192 th:TH_LOAD_LU ; 8-byte Folded Reload
	s_wait_loadcnt 0x0
	v_dual_lshrrev_b32 v2, 3, v3 :: v_dual_bitop2_b32 v6, 7, v1 bitop3:0x40
	s_mov_b32 s3, exec_lo
	s_wait_xcnt 0x0
	v_cmpx_gt_u32_e32 8, v3
; %bb.3237:                             ;   in Loop: Header=BB216_2096 Depth=1
	s_delay_alu instid0(VALU_DEP_2) | instskip(NEXT) | instid1(VALU_DEP_1)
	v_clz_i32_u32_e32 v2, v6
	v_min_u32_e32 v2, 32, v2
	s_delay_alu instid0(VALU_DEP_1) | instskip(NEXT) | instid1(VALU_DEP_1)
	v_subrev_nc_u32_e32 v3, 28, v2
	v_lshlrev_b64_e32 v[4:5], v3, v[6:7]
	s_delay_alu instid0(VALU_DEP_1)
	v_dual_sub_nc_u32 v2, 29, v2 :: v_dual_bitop2_b32 v6, 7, v4 bitop3:0x40
; %bb.3238:                             ;   in Loop: Header=BB216_2096 Depth=1
	s_or_b32 exec_lo, exec_lo, s3
	s_delay_alu instid0(VALU_DEP_1) | instskip(NEXT) | instid1(VALU_DEP_2)
	v_dual_lshlrev_b32 v1, 24, v1 :: v_dual_lshlrev_b32 v3, 20, v6
	v_lshl_add_u32 v2, v2, 23, 0x3c000000
	s_delay_alu instid0(VALU_DEP_2) | instskip(NEXT) | instid1(VALU_DEP_1)
	v_and_b32_e32 v1, 0x80000000, v1
	v_or3_b32 v6, v3, v1, v2
	v_mov_b32_e32 v1, v7
	s_clause 0x1
	scratch_store_b64 off, v[0:1], s32 offset:192
	scratch_store_b64 off, v[6:7], s32 offset:1412
.LBB216_3239:                           ;   in Loop: Header=BB216_2096 Depth=1
	s_wait_xcnt 0x0
	s_or_b32 exec_lo, exec_lo, s2
.LBB216_3240:                           ;   in Loop: Header=BB216_2096 Depth=1
	s_delay_alu instid0(SALU_CYCLE_1)
	s_or_b32 exec_lo, exec_lo, s1
.LBB216_3241:                           ;   in Loop: Header=BB216_2096 Depth=1
	s_delay_alu instid0(SALU_CYCLE_1) | instskip(NEXT) | instid1(SALU_CYCLE_1)
	s_or_b32 exec_lo, exec_lo, s0
	s_mov_b32 s0, exec_lo
	v_cmpx_lt_u32_e32 0xffffff, v0
	s_cbranch_execz .LBB216_3249
; %bb.3242:                             ;   in Loop: Header=BB216_2096 Depth=1
	v_mov_b64_e32 v[2:3], 0x8000000000000000
	v_lshrrev_b32_e32 v1, 24, v0
	s_mov_b32 s1, exec_lo
	scratch_store_b64 off, v[2:3], s32 offset:1404 ; 8-byte Folded Spill
	s_wait_xcnt 0x0
	v_cmpx_ne_u32_e32 0x80, v1
	s_cbranch_execz .LBB216_3248
; %bb.3243:                             ;   in Loop: Header=BB216_2096 Depth=1
	v_mov_b64_e32 v[4:5], 0x7f80000100000000
	v_bfe_u32 v2, v0, 24, 7
	s_mov_b32 s2, exec_lo
	scratch_store_b64 off, v[4:5], s32 offset:1404 ; 8-byte Folded Spill
	s_wait_xcnt 0x0
	v_cmpx_ne_u32_e32 0x7f, v2
	s_cbranch_execz .LBB216_3247
; %bb.3244:                             ;   in Loop: Header=BB216_2096 Depth=1
	scratch_load_b64 v[4:5], off, s32 offset:192 th:TH_LOAD_LU ; 8-byte Folded Reload
	s_wait_loadcnt 0x0
	v_dual_lshrrev_b32 v0, 3, v2 :: v_dual_bitop2_b32 v4, 7, v1 bitop3:0x40
	s_mov_b32 s3, exec_lo
	s_wait_xcnt 0x0
	v_cmpx_gt_u32_e32 8, v2
; %bb.3245:                             ;   in Loop: Header=BB216_2096 Depth=1
	s_delay_alu instid0(VALU_DEP_2) | instskip(NEXT) | instid1(VALU_DEP_1)
	v_clz_i32_u32_e32 v0, v4
	v_min_u32_e32 v0, 32, v0
	s_delay_alu instid0(VALU_DEP_1) | instskip(NEXT) | instid1(VALU_DEP_1)
	v_subrev_nc_u32_e32 v2, 28, v0
	v_lshlrev_b64_e32 v[2:3], v2, v[4:5]
	s_delay_alu instid0(VALU_DEP_1)
	v_dual_sub_nc_u32 v0, 29, v0 :: v_dual_bitop2_b32 v4, 7, v2 bitop3:0x40
; %bb.3246:                             ;   in Loop: Header=BB216_2096 Depth=1
	s_or_b32 exec_lo, exec_lo, s3
	s_delay_alu instid0(VALU_DEP_1) | instskip(NEXT) | instid1(VALU_DEP_2)
	v_dual_lshlrev_b32 v1, 24, v1 :: v_dual_lshlrev_b32 v2, 20, v4
	v_lshl_add_u32 v0, v0, 23, 0x3c000000
	s_delay_alu instid0(VALU_DEP_2) | instskip(NEXT) | instid1(VALU_DEP_1)
	v_and_b32_e32 v1, 0x80000000, v1
	v_or3_b32 v3, v2, v1, v0
	v_dual_mov_b32 v1, v5 :: v_dual_mov_b32 v2, v5
	s_clause 0x1
	scratch_store_b64 off, v[0:1], s32 offset:192
	scratch_store_b64 off, v[2:3], s32 offset:1404
.LBB216_3247:                           ;   in Loop: Header=BB216_2096 Depth=1
	s_wait_xcnt 0x0
	s_or_b32 exec_lo, exec_lo, s2
.LBB216_3248:                           ;   in Loop: Header=BB216_2096 Depth=1
	s_delay_alu instid0(SALU_CYCLE_1)
	s_or_b32 exec_lo, exec_lo, s1
.LBB216_3249:                           ;   in Loop: Header=BB216_2096 Depth=1
	s_delay_alu instid0(SALU_CYCLE_1)
	s_or_b32 exec_lo, exec_lo, s0
	flat_load_b32 v0, v[24:25] offset:4608
	v_mov_b64_e32 v[2:3], 0
	s_mov_b32 s0, exec_lo
	scratch_store_b64 off, v[2:3], s32 offset:1420 ; 8-byte Folded Spill
	s_wait_xcnt 0x0
	v_mov_b64_e32 v[2:3], 0
	scratch_store_b64 off, v[2:3], s32 offset:1428 ; 8-byte Folded Spill
	s_wait_loadcnt_dscnt 0x0
	v_and_b32_e32 v1, 0xff, v0
	s_wait_xcnt 0x0
	s_delay_alu instid0(VALU_DEP_1)
	v_cmpx_ne_u16_e32 0, v1
	s_cbranch_execz .LBB216_3257
; %bb.3250:                             ;   in Loop: Header=BB216_2096 Depth=1
	v_mov_b64_e32 v[2:3], 0x80000000
	s_mov_b32 s1, exec_lo
	scratch_store_b64 off, v[2:3], s32 offset:1428 ; 8-byte Folded Spill
	s_wait_xcnt 0x0
	v_cmpx_ne_u16_e32 0x80, v1
	s_cbranch_execz .LBB216_3256
; %bb.3251:                             ;   in Loop: Header=BB216_2096 Depth=1
	v_mov_b64_e32 v[4:5], 0x7f800001
	v_and_b32_e32 v2, 0x7f, v0
	s_mov_b32 s2, exec_lo
	scratch_store_b64 off, v[4:5], s32 offset:1428 ; 8-byte Folded Spill
	s_wait_xcnt 0x0
	v_cmpx_ne_u32_e32 0x7f, v2
	s_cbranch_execz .LBB216_3255
; %bb.3252:                             ;   in Loop: Header=BB216_2096 Depth=1
	scratch_load_b64 v[4:5], off, s32 offset:192 th:TH_LOAD_LU ; 8-byte Folded Reload
	s_wait_loadcnt 0x0
	v_dual_lshrrev_b32 v1, 3, v2 :: v_dual_bitop2_b32 v4, 7, v0 bitop3:0x40
	s_mov_b32 s3, exec_lo
	s_wait_xcnt 0x0
	v_cmpx_gt_u32_e32 8, v2
; %bb.3253:                             ;   in Loop: Header=BB216_2096 Depth=1
	s_delay_alu instid0(VALU_DEP_2) | instskip(NEXT) | instid1(VALU_DEP_1)
	v_clz_i32_u32_e32 v1, v4
	v_min_u32_e32 v1, 32, v1
	s_delay_alu instid0(VALU_DEP_1) | instskip(NEXT) | instid1(VALU_DEP_1)
	v_subrev_nc_u32_e32 v2, 28, v1
	v_lshlrev_b64_e32 v[2:3], v2, v[4:5]
	s_delay_alu instid0(VALU_DEP_1)
	v_dual_sub_nc_u32 v1, 29, v1 :: v_dual_bitop2_b32 v4, 7, v2 bitop3:0x40
; %bb.3254:                             ;   in Loop: Header=BB216_2096 Depth=1
	s_or_b32 exec_lo, exec_lo, s3
	v_lshlrev_b32_e32 v2, 24, v0
	s_delay_alu instid0(VALU_DEP_2) | instskip(NEXT) | instid1(VALU_DEP_3)
	v_lshlrev_b32_e32 v3, 20, v4
	v_lshl_add_u32 v1, v1, 23, 0x3c000000
	s_delay_alu instid0(VALU_DEP_3) | instskip(NEXT) | instid1(VALU_DEP_1)
	v_and_b32_e32 v2, 0x80000000, v2
	v_or3_b32 v4, v3, v2, v1
	v_mov_b32_e32 v1, v5
	s_clause 0x1
	scratch_store_b64 off, v[0:1], s32 offset:192
	scratch_store_b64 off, v[4:5], s32 offset:1428
.LBB216_3255:                           ;   in Loop: Header=BB216_2096 Depth=1
	s_wait_xcnt 0x0
	s_or_b32 exec_lo, exec_lo, s2
.LBB216_3256:                           ;   in Loop: Header=BB216_2096 Depth=1
	s_delay_alu instid0(SALU_CYCLE_1)
	s_or_b32 exec_lo, exec_lo, s1
.LBB216_3257:                           ;   in Loop: Header=BB216_2096 Depth=1
	s_delay_alu instid0(SALU_CYCLE_1) | instskip(SKIP_2) | instid1(VALU_DEP_1)
	s_or_b32 exec_lo, exec_lo, s0
	v_lshrrev_b16 v1, 8, v0
	s_mov_b32 s0, exec_lo
	v_cmpx_ne_u16_e32 0, v1
	s_cbranch_execz .LBB216_3265
; %bb.3258:                             ;   in Loop: Header=BB216_2096 Depth=1
	v_mov_b64_e32 v[2:3], 0x8000000000000000
	s_mov_b32 s1, exec_lo
	scratch_store_b64 off, v[2:3], s32 offset:1420 ; 8-byte Folded Spill
	s_wait_xcnt 0x0
	v_cmpx_ne_u16_e32 0x80, v1
	s_cbranch_execz .LBB216_3264
; %bb.3259:                             ;   in Loop: Header=BB216_2096 Depth=1
	v_and_b32_e32 v1, 0xffff, v1
	v_mov_b64_e32 v[4:5], 0x7f80000100000000
	s_mov_b32 s2, exec_lo
	s_delay_alu instid0(VALU_DEP_2)
	v_and_b32_e32 v2, 0x7f, v1
	scratch_store_b64 off, v[4:5], s32 offset:1420 ; 8-byte Folded Spill
	s_wait_xcnt 0x0
	v_cmpx_ne_u32_e32 0x7f, v2
	s_cbranch_execz .LBB216_3263
; %bb.3260:                             ;   in Loop: Header=BB216_2096 Depth=1
	scratch_load_b64 v[4:5], off, s32 offset:192 th:TH_LOAD_LU ; 8-byte Folded Reload
	s_wait_loadcnt 0x0
	v_dual_lshrrev_b32 v1, 3, v2 :: v_dual_bitop2_b32 v4, 7, v1 bitop3:0x40
	s_mov_b32 s3, exec_lo
	s_wait_xcnt 0x0
	v_cmpx_gt_u32_e32 8, v2
; %bb.3261:                             ;   in Loop: Header=BB216_2096 Depth=1
	s_delay_alu instid0(VALU_DEP_2) | instskip(NEXT) | instid1(VALU_DEP_1)
	v_clz_i32_u32_e32 v1, v4
	v_min_u32_e32 v1, 32, v1
	s_delay_alu instid0(VALU_DEP_1) | instskip(NEXT) | instid1(VALU_DEP_1)
	v_subrev_nc_u32_e32 v2, 28, v1
	v_lshlrev_b64_e32 v[2:3], v2, v[4:5]
	s_delay_alu instid0(VALU_DEP_1)
	v_dual_sub_nc_u32 v1, 29, v1 :: v_dual_bitop2_b32 v4, 7, v2 bitop3:0x40
; %bb.3262:                             ;   in Loop: Header=BB216_2096 Depth=1
	s_or_b32 exec_lo, exec_lo, s3
	v_lshlrev_b32_e32 v2, 16, v0
	s_delay_alu instid0(VALU_DEP_2) | instskip(NEXT) | instid1(VALU_DEP_3)
	v_lshlrev_b32_e32 v3, 20, v4
	v_lshl_add_u32 v1, v1, 23, 0x3c000000
	s_delay_alu instid0(VALU_DEP_3) | instskip(NEXT) | instid1(VALU_DEP_1)
	v_and_b32_e32 v2, 0x80000000, v2
	v_or3_b32 v3, v3, v2, v1
	v_dual_mov_b32 v1, v5 :: v_dual_mov_b32 v2, v5
	s_clause 0x1
	scratch_store_b64 off, v[0:1], s32 offset:192
	scratch_store_b64 off, v[2:3], s32 offset:1420
.LBB216_3263:                           ;   in Loop: Header=BB216_2096 Depth=1
	s_wait_xcnt 0x0
	s_or_b32 exec_lo, exec_lo, s2
.LBB216_3264:                           ;   in Loop: Header=BB216_2096 Depth=1
	s_delay_alu instid0(SALU_CYCLE_1)
	s_or_b32 exec_lo, exec_lo, s1
.LBB216_3265:                           ;   in Loop: Header=BB216_2096 Depth=1
	s_delay_alu instid0(SALU_CYCLE_1) | instskip(SKIP_3) | instid1(VALU_DEP_1)
	s_or_b32 exec_lo, exec_lo, s0
	v_mov_b64_e32 v[4:5], 0
	v_lshrrev_b32_e32 v1, 16, v0
	s_mov_b32 s0, exec_lo
	v_and_b32_e32 v2, 0xff, v1
	scratch_store_b64 off, v[4:5], s32 offset:1436 ; 8-byte Folded Spill
	s_wait_xcnt 0x0
	v_mov_b64_e32 v[4:5], 0
	scratch_store_b64 off, v[4:5], s32 offset:1444 ; 8-byte Folded Spill
	s_wait_xcnt 0x0
	v_cmpx_ne_u16_e32 0, v2
	s_cbranch_execz .LBB216_3273
; %bb.3266:                             ;   in Loop: Header=BB216_2096 Depth=1
	v_cmp_ne_u16_e32 vcc_lo, 0x80, v2
	v_mov_b64_e32 v[2:3], 0x80000000
	scratch_store_b64 off, v[2:3], s32 offset:1444 ; 8-byte Folded Spill
	s_wait_xcnt 0x0
	s_and_saveexec_b32 s1, vcc_lo
	s_cbranch_execz .LBB216_3272
; %bb.3267:                             ;   in Loop: Header=BB216_2096 Depth=1
	v_mov_b64_e32 v[4:5], 0x7f800001
	v_bfe_u32 v3, v0, 16, 7
	s_mov_b32 s2, exec_lo
	scratch_store_b64 off, v[4:5], s32 offset:1444 ; 8-byte Folded Spill
	s_wait_xcnt 0x0
	v_cmpx_ne_u32_e32 0x7f, v3
	s_cbranch_execz .LBB216_3271
; %bb.3268:                             ;   in Loop: Header=BB216_2096 Depth=1
	scratch_load_b64 v[6:7], off, s32 offset:192 th:TH_LOAD_LU ; 8-byte Folded Reload
	s_wait_loadcnt 0x0
	v_dual_lshrrev_b32 v2, 3, v3 :: v_dual_bitop2_b32 v6, 7, v1 bitop3:0x40
	s_mov_b32 s3, exec_lo
	s_wait_xcnt 0x0
	v_cmpx_gt_u32_e32 8, v3
; %bb.3269:                             ;   in Loop: Header=BB216_2096 Depth=1
	s_delay_alu instid0(VALU_DEP_2) | instskip(NEXT) | instid1(VALU_DEP_1)
	v_clz_i32_u32_e32 v2, v6
	v_min_u32_e32 v2, 32, v2
	s_delay_alu instid0(VALU_DEP_1) | instskip(NEXT) | instid1(VALU_DEP_1)
	v_subrev_nc_u32_e32 v3, 28, v2
	v_lshlrev_b64_e32 v[4:5], v3, v[6:7]
	s_delay_alu instid0(VALU_DEP_1)
	v_dual_sub_nc_u32 v2, 29, v2 :: v_dual_bitop2_b32 v6, 7, v4 bitop3:0x40
; %bb.3270:                             ;   in Loop: Header=BB216_2096 Depth=1
	s_or_b32 exec_lo, exec_lo, s3
	s_delay_alu instid0(VALU_DEP_1) | instskip(NEXT) | instid1(VALU_DEP_2)
	v_dual_lshlrev_b32 v1, 24, v1 :: v_dual_lshlrev_b32 v3, 20, v6
	v_lshl_add_u32 v2, v2, 23, 0x3c000000
	s_delay_alu instid0(VALU_DEP_2) | instskip(NEXT) | instid1(VALU_DEP_1)
	v_and_b32_e32 v1, 0x80000000, v1
	v_or3_b32 v6, v3, v1, v2
	v_mov_b32_e32 v1, v7
	s_clause 0x1
	scratch_store_b64 off, v[0:1], s32 offset:192
	scratch_store_b64 off, v[6:7], s32 offset:1444
.LBB216_3271:                           ;   in Loop: Header=BB216_2096 Depth=1
	s_wait_xcnt 0x0
	s_or_b32 exec_lo, exec_lo, s2
.LBB216_3272:                           ;   in Loop: Header=BB216_2096 Depth=1
	s_delay_alu instid0(SALU_CYCLE_1)
	s_or_b32 exec_lo, exec_lo, s1
.LBB216_3273:                           ;   in Loop: Header=BB216_2096 Depth=1
	s_delay_alu instid0(SALU_CYCLE_1) | instskip(NEXT) | instid1(SALU_CYCLE_1)
	s_or_b32 exec_lo, exec_lo, s0
	s_mov_b32 s0, exec_lo
	v_cmpx_lt_u32_e32 0xffffff, v0
	s_cbranch_execz .LBB216_3281
; %bb.3274:                             ;   in Loop: Header=BB216_2096 Depth=1
	v_mov_b64_e32 v[2:3], 0x8000000000000000
	v_lshrrev_b32_e32 v1, 24, v0
	s_mov_b32 s1, exec_lo
	scratch_store_b64 off, v[2:3], s32 offset:1436 ; 8-byte Folded Spill
	s_wait_xcnt 0x0
	v_cmpx_ne_u32_e32 0x80, v1
	s_cbranch_execz .LBB216_3280
; %bb.3275:                             ;   in Loop: Header=BB216_2096 Depth=1
	v_mov_b64_e32 v[4:5], 0x7f80000100000000
	v_bfe_u32 v2, v0, 24, 7
	s_mov_b32 s2, exec_lo
	scratch_store_b64 off, v[4:5], s32 offset:1436 ; 8-byte Folded Spill
	s_wait_xcnt 0x0
	v_cmpx_ne_u32_e32 0x7f, v2
	s_cbranch_execz .LBB216_3279
; %bb.3276:                             ;   in Loop: Header=BB216_2096 Depth=1
	scratch_load_b64 v[4:5], off, s32 offset:192 th:TH_LOAD_LU ; 8-byte Folded Reload
	s_wait_loadcnt 0x0
	v_dual_lshrrev_b32 v0, 3, v2 :: v_dual_bitop2_b32 v4, 7, v1 bitop3:0x40
	s_mov_b32 s3, exec_lo
	s_wait_xcnt 0x0
	v_cmpx_gt_u32_e32 8, v2
; %bb.3277:                             ;   in Loop: Header=BB216_2096 Depth=1
	s_delay_alu instid0(VALU_DEP_2) | instskip(NEXT) | instid1(VALU_DEP_1)
	v_clz_i32_u32_e32 v0, v4
	v_min_u32_e32 v0, 32, v0
	s_delay_alu instid0(VALU_DEP_1) | instskip(NEXT) | instid1(VALU_DEP_1)
	v_subrev_nc_u32_e32 v2, 28, v0
	v_lshlrev_b64_e32 v[2:3], v2, v[4:5]
	s_delay_alu instid0(VALU_DEP_1)
	v_dual_sub_nc_u32 v0, 29, v0 :: v_dual_bitop2_b32 v4, 7, v2 bitop3:0x40
; %bb.3278:                             ;   in Loop: Header=BB216_2096 Depth=1
	s_or_b32 exec_lo, exec_lo, s3
	s_delay_alu instid0(VALU_DEP_1) | instskip(NEXT) | instid1(VALU_DEP_2)
	v_dual_lshlrev_b32 v1, 24, v1 :: v_dual_lshlrev_b32 v2, 20, v4
	v_lshl_add_u32 v0, v0, 23, 0x3c000000
	s_delay_alu instid0(VALU_DEP_2) | instskip(NEXT) | instid1(VALU_DEP_1)
	v_and_b32_e32 v1, 0x80000000, v1
	v_or3_b32 v3, v2, v1, v0
	v_dual_mov_b32 v1, v5 :: v_dual_mov_b32 v2, v5
	s_clause 0x1
	scratch_store_b64 off, v[0:1], s32 offset:192
	scratch_store_b64 off, v[2:3], s32 offset:1436
.LBB216_3279:                           ;   in Loop: Header=BB216_2096 Depth=1
	s_wait_xcnt 0x0
	s_or_b32 exec_lo, exec_lo, s2
.LBB216_3280:                           ;   in Loop: Header=BB216_2096 Depth=1
	s_delay_alu instid0(SALU_CYCLE_1)
	s_or_b32 exec_lo, exec_lo, s1
.LBB216_3281:                           ;   in Loop: Header=BB216_2096 Depth=1
	s_delay_alu instid0(SALU_CYCLE_1)
	s_or_b32 exec_lo, exec_lo, s0
	flat_load_b32 v0, v[24:25] offset:4736
	v_mov_b64_e32 v[2:3], 0
	s_mov_b32 s0, exec_lo
	scratch_store_b64 off, v[2:3], s32 offset:1452 ; 8-byte Folded Spill
	s_wait_xcnt 0x0
	v_mov_b64_e32 v[2:3], 0
	scratch_store_b64 off, v[2:3], s32 offset:1460 ; 8-byte Folded Spill
	s_wait_loadcnt_dscnt 0x0
	v_and_b32_e32 v1, 0xff, v0
	s_wait_xcnt 0x0
	s_delay_alu instid0(VALU_DEP_1)
	v_cmpx_ne_u16_e32 0, v1
	s_cbranch_execz .LBB216_3289
; %bb.3282:                             ;   in Loop: Header=BB216_2096 Depth=1
	v_mov_b64_e32 v[2:3], 0x80000000
	s_mov_b32 s1, exec_lo
	scratch_store_b64 off, v[2:3], s32 offset:1460 ; 8-byte Folded Spill
	s_wait_xcnt 0x0
	v_cmpx_ne_u16_e32 0x80, v1
	s_cbranch_execz .LBB216_3288
; %bb.3283:                             ;   in Loop: Header=BB216_2096 Depth=1
	v_mov_b64_e32 v[4:5], 0x7f800001
	v_and_b32_e32 v2, 0x7f, v0
	s_mov_b32 s2, exec_lo
	scratch_store_b64 off, v[4:5], s32 offset:1460 ; 8-byte Folded Spill
	s_wait_xcnt 0x0
	v_cmpx_ne_u32_e32 0x7f, v2
	s_cbranch_execz .LBB216_3287
; %bb.3284:                             ;   in Loop: Header=BB216_2096 Depth=1
	scratch_load_b64 v[4:5], off, s32 offset:192 th:TH_LOAD_LU ; 8-byte Folded Reload
	s_wait_loadcnt 0x0
	v_dual_lshrrev_b32 v1, 3, v2 :: v_dual_bitop2_b32 v4, 7, v0 bitop3:0x40
	s_mov_b32 s3, exec_lo
	s_wait_xcnt 0x0
	v_cmpx_gt_u32_e32 8, v2
; %bb.3285:                             ;   in Loop: Header=BB216_2096 Depth=1
	s_delay_alu instid0(VALU_DEP_2) | instskip(NEXT) | instid1(VALU_DEP_1)
	v_clz_i32_u32_e32 v1, v4
	v_min_u32_e32 v1, 32, v1
	s_delay_alu instid0(VALU_DEP_1) | instskip(NEXT) | instid1(VALU_DEP_1)
	v_subrev_nc_u32_e32 v2, 28, v1
	v_lshlrev_b64_e32 v[2:3], v2, v[4:5]
	s_delay_alu instid0(VALU_DEP_1)
	v_dual_sub_nc_u32 v1, 29, v1 :: v_dual_bitop2_b32 v4, 7, v2 bitop3:0x40
; %bb.3286:                             ;   in Loop: Header=BB216_2096 Depth=1
	s_or_b32 exec_lo, exec_lo, s3
	v_lshlrev_b32_e32 v2, 24, v0
	s_delay_alu instid0(VALU_DEP_2) | instskip(NEXT) | instid1(VALU_DEP_3)
	v_lshlrev_b32_e32 v3, 20, v4
	v_lshl_add_u32 v1, v1, 23, 0x3c000000
	s_delay_alu instid0(VALU_DEP_3) | instskip(NEXT) | instid1(VALU_DEP_1)
	v_and_b32_e32 v2, 0x80000000, v2
	v_or3_b32 v4, v3, v2, v1
	v_mov_b32_e32 v1, v5
	s_clause 0x1
	scratch_store_b64 off, v[0:1], s32 offset:192
	scratch_store_b64 off, v[4:5], s32 offset:1460
.LBB216_3287:                           ;   in Loop: Header=BB216_2096 Depth=1
	s_wait_xcnt 0x0
	s_or_b32 exec_lo, exec_lo, s2
.LBB216_3288:                           ;   in Loop: Header=BB216_2096 Depth=1
	s_delay_alu instid0(SALU_CYCLE_1)
	s_or_b32 exec_lo, exec_lo, s1
.LBB216_3289:                           ;   in Loop: Header=BB216_2096 Depth=1
	s_delay_alu instid0(SALU_CYCLE_1) | instskip(SKIP_2) | instid1(VALU_DEP_1)
	s_or_b32 exec_lo, exec_lo, s0
	v_lshrrev_b16 v1, 8, v0
	s_mov_b32 s0, exec_lo
	v_cmpx_ne_u16_e32 0, v1
	s_cbranch_execz .LBB216_3297
; %bb.3290:                             ;   in Loop: Header=BB216_2096 Depth=1
	v_mov_b64_e32 v[2:3], 0x8000000000000000
	s_mov_b32 s1, exec_lo
	scratch_store_b64 off, v[2:3], s32 offset:1452 ; 8-byte Folded Spill
	s_wait_xcnt 0x0
	v_cmpx_ne_u16_e32 0x80, v1
	s_cbranch_execz .LBB216_3296
; %bb.3291:                             ;   in Loop: Header=BB216_2096 Depth=1
	v_and_b32_e32 v1, 0xffff, v1
	v_mov_b64_e32 v[4:5], 0x7f80000100000000
	s_mov_b32 s2, exec_lo
	s_delay_alu instid0(VALU_DEP_2)
	v_and_b32_e32 v2, 0x7f, v1
	scratch_store_b64 off, v[4:5], s32 offset:1452 ; 8-byte Folded Spill
	s_wait_xcnt 0x0
	v_cmpx_ne_u32_e32 0x7f, v2
	s_cbranch_execz .LBB216_3295
; %bb.3292:                             ;   in Loop: Header=BB216_2096 Depth=1
	scratch_load_b64 v[4:5], off, s32 offset:192 th:TH_LOAD_LU ; 8-byte Folded Reload
	s_wait_loadcnt 0x0
	v_dual_lshrrev_b32 v1, 3, v2 :: v_dual_bitop2_b32 v4, 7, v1 bitop3:0x40
	s_mov_b32 s3, exec_lo
	s_wait_xcnt 0x0
	v_cmpx_gt_u32_e32 8, v2
; %bb.3293:                             ;   in Loop: Header=BB216_2096 Depth=1
	s_delay_alu instid0(VALU_DEP_2) | instskip(NEXT) | instid1(VALU_DEP_1)
	v_clz_i32_u32_e32 v1, v4
	v_min_u32_e32 v1, 32, v1
	s_delay_alu instid0(VALU_DEP_1) | instskip(NEXT) | instid1(VALU_DEP_1)
	v_subrev_nc_u32_e32 v2, 28, v1
	v_lshlrev_b64_e32 v[2:3], v2, v[4:5]
	s_delay_alu instid0(VALU_DEP_1)
	v_dual_sub_nc_u32 v1, 29, v1 :: v_dual_bitop2_b32 v4, 7, v2 bitop3:0x40
; %bb.3294:                             ;   in Loop: Header=BB216_2096 Depth=1
	s_or_b32 exec_lo, exec_lo, s3
	v_lshlrev_b32_e32 v2, 16, v0
	s_delay_alu instid0(VALU_DEP_2) | instskip(NEXT) | instid1(VALU_DEP_3)
	v_lshlrev_b32_e32 v3, 20, v4
	v_lshl_add_u32 v1, v1, 23, 0x3c000000
	s_delay_alu instid0(VALU_DEP_3) | instskip(NEXT) | instid1(VALU_DEP_1)
	v_and_b32_e32 v2, 0x80000000, v2
	v_or3_b32 v3, v3, v2, v1
	v_dual_mov_b32 v1, v5 :: v_dual_mov_b32 v2, v5
	s_clause 0x1
	scratch_store_b64 off, v[0:1], s32 offset:192
	scratch_store_b64 off, v[2:3], s32 offset:1452
.LBB216_3295:                           ;   in Loop: Header=BB216_2096 Depth=1
	s_wait_xcnt 0x0
	s_or_b32 exec_lo, exec_lo, s2
.LBB216_3296:                           ;   in Loop: Header=BB216_2096 Depth=1
	s_delay_alu instid0(SALU_CYCLE_1)
	s_or_b32 exec_lo, exec_lo, s1
.LBB216_3297:                           ;   in Loop: Header=BB216_2096 Depth=1
	s_delay_alu instid0(SALU_CYCLE_1) | instskip(SKIP_3) | instid1(VALU_DEP_1)
	s_or_b32 exec_lo, exec_lo, s0
	v_mov_b64_e32 v[4:5], 0
	v_lshrrev_b32_e32 v1, 16, v0
	s_mov_b32 s0, exec_lo
	v_and_b32_e32 v2, 0xff, v1
	scratch_store_b64 off, v[4:5], s32 offset:1468 ; 8-byte Folded Spill
	s_wait_xcnt 0x0
	v_mov_b64_e32 v[4:5], 0
	scratch_store_b64 off, v[4:5], s32 offset:1476 ; 8-byte Folded Spill
	s_wait_xcnt 0x0
	v_cmpx_ne_u16_e32 0, v2
	s_cbranch_execz .LBB216_3305
; %bb.3298:                             ;   in Loop: Header=BB216_2096 Depth=1
	v_cmp_ne_u16_e32 vcc_lo, 0x80, v2
	v_mov_b64_e32 v[2:3], 0x80000000
	scratch_store_b64 off, v[2:3], s32 offset:1476 ; 8-byte Folded Spill
	s_wait_xcnt 0x0
	s_and_saveexec_b32 s1, vcc_lo
	s_cbranch_execz .LBB216_3304
; %bb.3299:                             ;   in Loop: Header=BB216_2096 Depth=1
	v_mov_b64_e32 v[4:5], 0x7f800001
	v_bfe_u32 v3, v0, 16, 7
	s_mov_b32 s2, exec_lo
	scratch_store_b64 off, v[4:5], s32 offset:1476 ; 8-byte Folded Spill
	s_wait_xcnt 0x0
	v_cmpx_ne_u32_e32 0x7f, v3
	s_cbranch_execz .LBB216_3303
; %bb.3300:                             ;   in Loop: Header=BB216_2096 Depth=1
	scratch_load_b64 v[6:7], off, s32 offset:192 th:TH_LOAD_LU ; 8-byte Folded Reload
	s_wait_loadcnt 0x0
	v_dual_lshrrev_b32 v2, 3, v3 :: v_dual_bitop2_b32 v6, 7, v1 bitop3:0x40
	s_mov_b32 s3, exec_lo
	s_wait_xcnt 0x0
	v_cmpx_gt_u32_e32 8, v3
; %bb.3301:                             ;   in Loop: Header=BB216_2096 Depth=1
	s_delay_alu instid0(VALU_DEP_2) | instskip(NEXT) | instid1(VALU_DEP_1)
	v_clz_i32_u32_e32 v2, v6
	v_min_u32_e32 v2, 32, v2
	s_delay_alu instid0(VALU_DEP_1) | instskip(NEXT) | instid1(VALU_DEP_1)
	v_subrev_nc_u32_e32 v3, 28, v2
	v_lshlrev_b64_e32 v[4:5], v3, v[6:7]
	s_delay_alu instid0(VALU_DEP_1)
	v_dual_sub_nc_u32 v2, 29, v2 :: v_dual_bitop2_b32 v6, 7, v4 bitop3:0x40
; %bb.3302:                             ;   in Loop: Header=BB216_2096 Depth=1
	s_or_b32 exec_lo, exec_lo, s3
	s_delay_alu instid0(VALU_DEP_1) | instskip(NEXT) | instid1(VALU_DEP_2)
	v_dual_lshlrev_b32 v1, 24, v1 :: v_dual_lshlrev_b32 v3, 20, v6
	v_lshl_add_u32 v2, v2, 23, 0x3c000000
	s_delay_alu instid0(VALU_DEP_2) | instskip(NEXT) | instid1(VALU_DEP_1)
	v_and_b32_e32 v1, 0x80000000, v1
	v_or3_b32 v6, v3, v1, v2
	v_mov_b32_e32 v1, v7
	s_clause 0x1
	scratch_store_b64 off, v[0:1], s32 offset:192
	scratch_store_b64 off, v[6:7], s32 offset:1476
.LBB216_3303:                           ;   in Loop: Header=BB216_2096 Depth=1
	s_wait_xcnt 0x0
	s_or_b32 exec_lo, exec_lo, s2
.LBB216_3304:                           ;   in Loop: Header=BB216_2096 Depth=1
	s_delay_alu instid0(SALU_CYCLE_1)
	s_or_b32 exec_lo, exec_lo, s1
.LBB216_3305:                           ;   in Loop: Header=BB216_2096 Depth=1
	s_delay_alu instid0(SALU_CYCLE_1) | instskip(NEXT) | instid1(SALU_CYCLE_1)
	s_or_b32 exec_lo, exec_lo, s0
	s_mov_b32 s0, exec_lo
	v_cmpx_lt_u32_e32 0xffffff, v0
	s_cbranch_execz .LBB216_3313
; %bb.3306:                             ;   in Loop: Header=BB216_2096 Depth=1
	v_mov_b64_e32 v[2:3], 0x8000000000000000
	v_lshrrev_b32_e32 v1, 24, v0
	s_mov_b32 s1, exec_lo
	scratch_store_b64 off, v[2:3], s32 offset:1468 ; 8-byte Folded Spill
	s_wait_xcnt 0x0
	v_cmpx_ne_u32_e32 0x80, v1
	s_cbranch_execz .LBB216_3312
; %bb.3307:                             ;   in Loop: Header=BB216_2096 Depth=1
	v_mov_b64_e32 v[4:5], 0x7f80000100000000
	v_bfe_u32 v2, v0, 24, 7
	s_mov_b32 s2, exec_lo
	scratch_store_b64 off, v[4:5], s32 offset:1468 ; 8-byte Folded Spill
	s_wait_xcnt 0x0
	v_cmpx_ne_u32_e32 0x7f, v2
	s_cbranch_execz .LBB216_3311
; %bb.3308:                             ;   in Loop: Header=BB216_2096 Depth=1
	scratch_load_b64 v[4:5], off, s32 offset:192 th:TH_LOAD_LU ; 8-byte Folded Reload
	s_wait_loadcnt 0x0
	v_dual_lshrrev_b32 v0, 3, v2 :: v_dual_bitop2_b32 v4, 7, v1 bitop3:0x40
	s_mov_b32 s3, exec_lo
	s_wait_xcnt 0x0
	v_cmpx_gt_u32_e32 8, v2
; %bb.3309:                             ;   in Loop: Header=BB216_2096 Depth=1
	s_delay_alu instid0(VALU_DEP_2) | instskip(NEXT) | instid1(VALU_DEP_1)
	v_clz_i32_u32_e32 v0, v4
	v_min_u32_e32 v0, 32, v0
	s_delay_alu instid0(VALU_DEP_1) | instskip(NEXT) | instid1(VALU_DEP_1)
	v_subrev_nc_u32_e32 v2, 28, v0
	v_lshlrev_b64_e32 v[2:3], v2, v[4:5]
	s_delay_alu instid0(VALU_DEP_1)
	v_dual_sub_nc_u32 v0, 29, v0 :: v_dual_bitop2_b32 v4, 7, v2 bitop3:0x40
; %bb.3310:                             ;   in Loop: Header=BB216_2096 Depth=1
	s_or_b32 exec_lo, exec_lo, s3
	s_delay_alu instid0(VALU_DEP_1) | instskip(NEXT) | instid1(VALU_DEP_2)
	v_dual_lshlrev_b32 v1, 24, v1 :: v_dual_lshlrev_b32 v2, 20, v4
	v_lshl_add_u32 v0, v0, 23, 0x3c000000
	s_delay_alu instid0(VALU_DEP_2) | instskip(NEXT) | instid1(VALU_DEP_1)
	v_and_b32_e32 v1, 0x80000000, v1
	v_or3_b32 v3, v2, v1, v0
	v_dual_mov_b32 v1, v5 :: v_dual_mov_b32 v2, v5
	s_clause 0x1
	scratch_store_b64 off, v[0:1], s32 offset:192
	scratch_store_b64 off, v[2:3], s32 offset:1468
.LBB216_3311:                           ;   in Loop: Header=BB216_2096 Depth=1
	s_wait_xcnt 0x0
	s_or_b32 exec_lo, exec_lo, s2
.LBB216_3312:                           ;   in Loop: Header=BB216_2096 Depth=1
	s_delay_alu instid0(SALU_CYCLE_1)
	s_or_b32 exec_lo, exec_lo, s1
.LBB216_3313:                           ;   in Loop: Header=BB216_2096 Depth=1
	s_delay_alu instid0(SALU_CYCLE_1)
	s_or_b32 exec_lo, exec_lo, s0
	flat_load_b32 v0, v[24:25] offset:4864
	v_mov_b64_e32 v[2:3], 0
	s_mov_b32 s0, exec_lo
	scratch_store_b64 off, v[2:3], s32 offset:1484 ; 8-byte Folded Spill
	s_wait_xcnt 0x0
	v_mov_b64_e32 v[2:3], 0
	scratch_store_b64 off, v[2:3], s32 offset:1492 ; 8-byte Folded Spill
	s_wait_loadcnt_dscnt 0x0
	v_and_b32_e32 v1, 0xff, v0
	s_wait_xcnt 0x0
	s_delay_alu instid0(VALU_DEP_1)
	v_cmpx_ne_u16_e32 0, v1
	s_cbranch_execz .LBB216_3321
; %bb.3314:                             ;   in Loop: Header=BB216_2096 Depth=1
	v_mov_b64_e32 v[2:3], 0x80000000
	s_mov_b32 s1, exec_lo
	scratch_store_b64 off, v[2:3], s32 offset:1492 ; 8-byte Folded Spill
	s_wait_xcnt 0x0
	v_cmpx_ne_u16_e32 0x80, v1
	s_cbranch_execz .LBB216_3320
; %bb.3315:                             ;   in Loop: Header=BB216_2096 Depth=1
	v_mov_b64_e32 v[4:5], 0x7f800001
	v_and_b32_e32 v2, 0x7f, v0
	s_mov_b32 s2, exec_lo
	scratch_store_b64 off, v[4:5], s32 offset:1492 ; 8-byte Folded Spill
	s_wait_xcnt 0x0
	v_cmpx_ne_u32_e32 0x7f, v2
	s_cbranch_execz .LBB216_3319
; %bb.3316:                             ;   in Loop: Header=BB216_2096 Depth=1
	scratch_load_b64 v[4:5], off, s32 offset:192 th:TH_LOAD_LU ; 8-byte Folded Reload
	s_wait_loadcnt 0x0
	v_dual_lshrrev_b32 v1, 3, v2 :: v_dual_bitop2_b32 v4, 7, v0 bitop3:0x40
	s_mov_b32 s3, exec_lo
	s_wait_xcnt 0x0
	v_cmpx_gt_u32_e32 8, v2
; %bb.3317:                             ;   in Loop: Header=BB216_2096 Depth=1
	s_delay_alu instid0(VALU_DEP_2) | instskip(NEXT) | instid1(VALU_DEP_1)
	v_clz_i32_u32_e32 v1, v4
	v_min_u32_e32 v1, 32, v1
	s_delay_alu instid0(VALU_DEP_1) | instskip(NEXT) | instid1(VALU_DEP_1)
	v_subrev_nc_u32_e32 v2, 28, v1
	v_lshlrev_b64_e32 v[2:3], v2, v[4:5]
	s_delay_alu instid0(VALU_DEP_1)
	v_dual_sub_nc_u32 v1, 29, v1 :: v_dual_bitop2_b32 v4, 7, v2 bitop3:0x40
; %bb.3318:                             ;   in Loop: Header=BB216_2096 Depth=1
	s_or_b32 exec_lo, exec_lo, s3
	v_lshlrev_b32_e32 v2, 24, v0
	s_delay_alu instid0(VALU_DEP_2) | instskip(NEXT) | instid1(VALU_DEP_3)
	v_lshlrev_b32_e32 v3, 20, v4
	v_lshl_add_u32 v1, v1, 23, 0x3c000000
	s_delay_alu instid0(VALU_DEP_3) | instskip(NEXT) | instid1(VALU_DEP_1)
	v_and_b32_e32 v2, 0x80000000, v2
	v_or3_b32 v4, v3, v2, v1
	v_mov_b32_e32 v1, v5
	s_clause 0x1
	scratch_store_b64 off, v[0:1], s32 offset:192
	scratch_store_b64 off, v[4:5], s32 offset:1492
.LBB216_3319:                           ;   in Loop: Header=BB216_2096 Depth=1
	s_wait_xcnt 0x0
	s_or_b32 exec_lo, exec_lo, s2
.LBB216_3320:                           ;   in Loop: Header=BB216_2096 Depth=1
	s_delay_alu instid0(SALU_CYCLE_1)
	s_or_b32 exec_lo, exec_lo, s1
.LBB216_3321:                           ;   in Loop: Header=BB216_2096 Depth=1
	s_delay_alu instid0(SALU_CYCLE_1) | instskip(SKIP_2) | instid1(VALU_DEP_1)
	s_or_b32 exec_lo, exec_lo, s0
	v_lshrrev_b16 v1, 8, v0
	s_mov_b32 s0, exec_lo
	v_cmpx_ne_u16_e32 0, v1
	s_cbranch_execz .LBB216_3329
; %bb.3322:                             ;   in Loop: Header=BB216_2096 Depth=1
	v_mov_b64_e32 v[2:3], 0x8000000000000000
	s_mov_b32 s1, exec_lo
	scratch_store_b64 off, v[2:3], s32 offset:1484 ; 8-byte Folded Spill
	s_wait_xcnt 0x0
	v_cmpx_ne_u16_e32 0x80, v1
	s_cbranch_execz .LBB216_3328
; %bb.3323:                             ;   in Loop: Header=BB216_2096 Depth=1
	v_and_b32_e32 v1, 0xffff, v1
	v_mov_b64_e32 v[4:5], 0x7f80000100000000
	s_mov_b32 s2, exec_lo
	s_delay_alu instid0(VALU_DEP_2)
	v_and_b32_e32 v2, 0x7f, v1
	scratch_store_b64 off, v[4:5], s32 offset:1484 ; 8-byte Folded Spill
	s_wait_xcnt 0x0
	v_cmpx_ne_u32_e32 0x7f, v2
	s_cbranch_execz .LBB216_3327
; %bb.3324:                             ;   in Loop: Header=BB216_2096 Depth=1
	scratch_load_b64 v[4:5], off, s32 offset:192 th:TH_LOAD_LU ; 8-byte Folded Reload
	s_wait_loadcnt 0x0
	v_dual_lshrrev_b32 v1, 3, v2 :: v_dual_bitop2_b32 v4, 7, v1 bitop3:0x40
	s_mov_b32 s3, exec_lo
	s_wait_xcnt 0x0
	v_cmpx_gt_u32_e32 8, v2
; %bb.3325:                             ;   in Loop: Header=BB216_2096 Depth=1
	s_delay_alu instid0(VALU_DEP_2) | instskip(NEXT) | instid1(VALU_DEP_1)
	v_clz_i32_u32_e32 v1, v4
	v_min_u32_e32 v1, 32, v1
	s_delay_alu instid0(VALU_DEP_1) | instskip(NEXT) | instid1(VALU_DEP_1)
	v_subrev_nc_u32_e32 v2, 28, v1
	v_lshlrev_b64_e32 v[2:3], v2, v[4:5]
	s_delay_alu instid0(VALU_DEP_1)
	v_dual_sub_nc_u32 v1, 29, v1 :: v_dual_bitop2_b32 v4, 7, v2 bitop3:0x40
; %bb.3326:                             ;   in Loop: Header=BB216_2096 Depth=1
	s_or_b32 exec_lo, exec_lo, s3
	v_lshlrev_b32_e32 v2, 16, v0
	s_delay_alu instid0(VALU_DEP_2) | instskip(NEXT) | instid1(VALU_DEP_3)
	v_lshlrev_b32_e32 v3, 20, v4
	v_lshl_add_u32 v1, v1, 23, 0x3c000000
	s_delay_alu instid0(VALU_DEP_3) | instskip(NEXT) | instid1(VALU_DEP_1)
	v_and_b32_e32 v2, 0x80000000, v2
	v_or3_b32 v3, v3, v2, v1
	v_dual_mov_b32 v1, v5 :: v_dual_mov_b32 v2, v5
	s_clause 0x1
	scratch_store_b64 off, v[0:1], s32 offset:192
	scratch_store_b64 off, v[2:3], s32 offset:1484
.LBB216_3327:                           ;   in Loop: Header=BB216_2096 Depth=1
	s_wait_xcnt 0x0
	s_or_b32 exec_lo, exec_lo, s2
.LBB216_3328:                           ;   in Loop: Header=BB216_2096 Depth=1
	s_delay_alu instid0(SALU_CYCLE_1)
	s_or_b32 exec_lo, exec_lo, s1
.LBB216_3329:                           ;   in Loop: Header=BB216_2096 Depth=1
	s_delay_alu instid0(SALU_CYCLE_1) | instskip(SKIP_3) | instid1(VALU_DEP_1)
	s_or_b32 exec_lo, exec_lo, s0
	v_mov_b64_e32 v[4:5], 0
	v_lshrrev_b32_e32 v1, 16, v0
	s_mov_b32 s0, exec_lo
	v_and_b32_e32 v2, 0xff, v1
	scratch_store_b64 off, v[4:5], s32 offset:1500 ; 8-byte Folded Spill
	s_wait_xcnt 0x0
	v_mov_b64_e32 v[4:5], 0
	scratch_store_b64 off, v[4:5], s32 offset:1508 ; 8-byte Folded Spill
	s_wait_xcnt 0x0
	v_cmpx_ne_u16_e32 0, v2
	s_cbranch_execz .LBB216_3337
; %bb.3330:                             ;   in Loop: Header=BB216_2096 Depth=1
	v_cmp_ne_u16_e32 vcc_lo, 0x80, v2
	v_mov_b64_e32 v[2:3], 0x80000000
	scratch_store_b64 off, v[2:3], s32 offset:1508 ; 8-byte Folded Spill
	s_wait_xcnt 0x0
	s_and_saveexec_b32 s1, vcc_lo
	s_cbranch_execz .LBB216_3336
; %bb.3331:                             ;   in Loop: Header=BB216_2096 Depth=1
	v_mov_b64_e32 v[4:5], 0x7f800001
	v_bfe_u32 v3, v0, 16, 7
	s_mov_b32 s2, exec_lo
	scratch_store_b64 off, v[4:5], s32 offset:1508 ; 8-byte Folded Spill
	s_wait_xcnt 0x0
	v_cmpx_ne_u32_e32 0x7f, v3
	s_cbranch_execz .LBB216_3335
; %bb.3332:                             ;   in Loop: Header=BB216_2096 Depth=1
	scratch_load_b64 v[6:7], off, s32 offset:192 th:TH_LOAD_LU ; 8-byte Folded Reload
	s_wait_loadcnt 0x0
	v_dual_lshrrev_b32 v2, 3, v3 :: v_dual_bitop2_b32 v6, 7, v1 bitop3:0x40
	s_mov_b32 s3, exec_lo
	s_wait_xcnt 0x0
	v_cmpx_gt_u32_e32 8, v3
; %bb.3333:                             ;   in Loop: Header=BB216_2096 Depth=1
	s_delay_alu instid0(VALU_DEP_2) | instskip(NEXT) | instid1(VALU_DEP_1)
	v_clz_i32_u32_e32 v2, v6
	v_min_u32_e32 v2, 32, v2
	s_delay_alu instid0(VALU_DEP_1) | instskip(NEXT) | instid1(VALU_DEP_1)
	v_subrev_nc_u32_e32 v3, 28, v2
	v_lshlrev_b64_e32 v[4:5], v3, v[6:7]
	s_delay_alu instid0(VALU_DEP_1)
	v_dual_sub_nc_u32 v2, 29, v2 :: v_dual_bitop2_b32 v6, 7, v4 bitop3:0x40
; %bb.3334:                             ;   in Loop: Header=BB216_2096 Depth=1
	s_or_b32 exec_lo, exec_lo, s3
	s_delay_alu instid0(VALU_DEP_1) | instskip(NEXT) | instid1(VALU_DEP_2)
	v_dual_lshlrev_b32 v1, 24, v1 :: v_dual_lshlrev_b32 v3, 20, v6
	v_lshl_add_u32 v2, v2, 23, 0x3c000000
	s_delay_alu instid0(VALU_DEP_2) | instskip(NEXT) | instid1(VALU_DEP_1)
	v_and_b32_e32 v1, 0x80000000, v1
	v_or3_b32 v6, v3, v1, v2
	v_mov_b32_e32 v1, v7
	s_clause 0x1
	scratch_store_b64 off, v[0:1], s32 offset:192
	scratch_store_b64 off, v[6:7], s32 offset:1508
.LBB216_3335:                           ;   in Loop: Header=BB216_2096 Depth=1
	s_wait_xcnt 0x0
	s_or_b32 exec_lo, exec_lo, s2
.LBB216_3336:                           ;   in Loop: Header=BB216_2096 Depth=1
	s_delay_alu instid0(SALU_CYCLE_1)
	s_or_b32 exec_lo, exec_lo, s1
.LBB216_3337:                           ;   in Loop: Header=BB216_2096 Depth=1
	s_delay_alu instid0(SALU_CYCLE_1) | instskip(NEXT) | instid1(SALU_CYCLE_1)
	s_or_b32 exec_lo, exec_lo, s0
	s_mov_b32 s0, exec_lo
	v_cmpx_lt_u32_e32 0xffffff, v0
	s_cbranch_execz .LBB216_3345
; %bb.3338:                             ;   in Loop: Header=BB216_2096 Depth=1
	v_mov_b64_e32 v[2:3], 0x8000000000000000
	v_lshrrev_b32_e32 v1, 24, v0
	s_mov_b32 s1, exec_lo
	scratch_store_b64 off, v[2:3], s32 offset:1500 ; 8-byte Folded Spill
	s_wait_xcnt 0x0
	v_cmpx_ne_u32_e32 0x80, v1
	s_cbranch_execz .LBB216_3344
; %bb.3339:                             ;   in Loop: Header=BB216_2096 Depth=1
	v_mov_b64_e32 v[4:5], 0x7f80000100000000
	v_bfe_u32 v2, v0, 24, 7
	s_mov_b32 s2, exec_lo
	scratch_store_b64 off, v[4:5], s32 offset:1500 ; 8-byte Folded Spill
	s_wait_xcnt 0x0
	v_cmpx_ne_u32_e32 0x7f, v2
	s_cbranch_execz .LBB216_3343
; %bb.3340:                             ;   in Loop: Header=BB216_2096 Depth=1
	scratch_load_b64 v[4:5], off, s32 offset:192 th:TH_LOAD_LU ; 8-byte Folded Reload
	s_wait_loadcnt 0x0
	v_dual_lshrrev_b32 v0, 3, v2 :: v_dual_bitop2_b32 v4, 7, v1 bitop3:0x40
	s_mov_b32 s3, exec_lo
	s_wait_xcnt 0x0
	v_cmpx_gt_u32_e32 8, v2
; %bb.3341:                             ;   in Loop: Header=BB216_2096 Depth=1
	s_delay_alu instid0(VALU_DEP_2) | instskip(NEXT) | instid1(VALU_DEP_1)
	v_clz_i32_u32_e32 v0, v4
	v_min_u32_e32 v0, 32, v0
	s_delay_alu instid0(VALU_DEP_1) | instskip(NEXT) | instid1(VALU_DEP_1)
	v_subrev_nc_u32_e32 v2, 28, v0
	v_lshlrev_b64_e32 v[2:3], v2, v[4:5]
	s_delay_alu instid0(VALU_DEP_1)
	v_dual_sub_nc_u32 v0, 29, v0 :: v_dual_bitop2_b32 v4, 7, v2 bitop3:0x40
; %bb.3342:                             ;   in Loop: Header=BB216_2096 Depth=1
	s_or_b32 exec_lo, exec_lo, s3
	s_delay_alu instid0(VALU_DEP_1) | instskip(NEXT) | instid1(VALU_DEP_2)
	v_dual_lshlrev_b32 v1, 24, v1 :: v_dual_lshlrev_b32 v2, 20, v4
	v_lshl_add_u32 v0, v0, 23, 0x3c000000
	s_delay_alu instid0(VALU_DEP_2) | instskip(NEXT) | instid1(VALU_DEP_1)
	v_and_b32_e32 v1, 0x80000000, v1
	v_or3_b32 v3, v2, v1, v0
	v_dual_mov_b32 v1, v5 :: v_dual_mov_b32 v2, v5
	s_clause 0x1
	scratch_store_b64 off, v[0:1], s32 offset:192
	scratch_store_b64 off, v[2:3], s32 offset:1500
.LBB216_3343:                           ;   in Loop: Header=BB216_2096 Depth=1
	s_wait_xcnt 0x0
	s_or_b32 exec_lo, exec_lo, s2
.LBB216_3344:                           ;   in Loop: Header=BB216_2096 Depth=1
	s_delay_alu instid0(SALU_CYCLE_1)
	s_or_b32 exec_lo, exec_lo, s1
.LBB216_3345:                           ;   in Loop: Header=BB216_2096 Depth=1
	s_delay_alu instid0(SALU_CYCLE_1)
	s_or_b32 exec_lo, exec_lo, s0
	flat_load_b32 v0, v[24:25] offset:4992
	v_mov_b64_e32 v[2:3], 0
	s_mov_b32 s0, exec_lo
	scratch_store_b64 off, v[2:3], s32 offset:1516 ; 8-byte Folded Spill
	s_wait_xcnt 0x0
	v_mov_b64_e32 v[2:3], 0
	scratch_store_b64 off, v[2:3], s32 offset:1524 ; 8-byte Folded Spill
	s_wait_loadcnt_dscnt 0x0
	v_and_b32_e32 v1, 0xff, v0
	s_wait_xcnt 0x0
	s_delay_alu instid0(VALU_DEP_1)
	v_cmpx_ne_u16_e32 0, v1
	s_cbranch_execz .LBB216_3353
; %bb.3346:                             ;   in Loop: Header=BB216_2096 Depth=1
	v_mov_b64_e32 v[2:3], 0x80000000
	s_mov_b32 s1, exec_lo
	scratch_store_b64 off, v[2:3], s32 offset:1524 ; 8-byte Folded Spill
	s_wait_xcnt 0x0
	v_cmpx_ne_u16_e32 0x80, v1
	s_cbranch_execz .LBB216_3352
; %bb.3347:                             ;   in Loop: Header=BB216_2096 Depth=1
	v_mov_b64_e32 v[4:5], 0x7f800001
	v_and_b32_e32 v2, 0x7f, v0
	s_mov_b32 s2, exec_lo
	scratch_store_b64 off, v[4:5], s32 offset:1524 ; 8-byte Folded Spill
	s_wait_xcnt 0x0
	v_cmpx_ne_u32_e32 0x7f, v2
	s_cbranch_execz .LBB216_3351
; %bb.3348:                             ;   in Loop: Header=BB216_2096 Depth=1
	scratch_load_b64 v[4:5], off, s32 offset:192 th:TH_LOAD_LU ; 8-byte Folded Reload
	s_wait_loadcnt 0x0
	v_dual_lshrrev_b32 v1, 3, v2 :: v_dual_bitop2_b32 v4, 7, v0 bitop3:0x40
	s_mov_b32 s3, exec_lo
	s_wait_xcnt 0x0
	v_cmpx_gt_u32_e32 8, v2
; %bb.3349:                             ;   in Loop: Header=BB216_2096 Depth=1
	s_delay_alu instid0(VALU_DEP_2) | instskip(NEXT) | instid1(VALU_DEP_1)
	v_clz_i32_u32_e32 v1, v4
	v_min_u32_e32 v1, 32, v1
	s_delay_alu instid0(VALU_DEP_1) | instskip(NEXT) | instid1(VALU_DEP_1)
	v_subrev_nc_u32_e32 v2, 28, v1
	v_lshlrev_b64_e32 v[2:3], v2, v[4:5]
	s_delay_alu instid0(VALU_DEP_1)
	v_dual_sub_nc_u32 v1, 29, v1 :: v_dual_bitop2_b32 v4, 7, v2 bitop3:0x40
; %bb.3350:                             ;   in Loop: Header=BB216_2096 Depth=1
	s_or_b32 exec_lo, exec_lo, s3
	v_lshlrev_b32_e32 v2, 24, v0
	s_delay_alu instid0(VALU_DEP_2) | instskip(NEXT) | instid1(VALU_DEP_3)
	v_lshlrev_b32_e32 v3, 20, v4
	v_lshl_add_u32 v1, v1, 23, 0x3c000000
	s_delay_alu instid0(VALU_DEP_3) | instskip(NEXT) | instid1(VALU_DEP_1)
	v_and_b32_e32 v2, 0x80000000, v2
	v_or3_b32 v4, v3, v2, v1
	v_mov_b32_e32 v1, v5
	s_clause 0x1
	scratch_store_b64 off, v[0:1], s32 offset:192
	scratch_store_b64 off, v[4:5], s32 offset:1524
.LBB216_3351:                           ;   in Loop: Header=BB216_2096 Depth=1
	s_wait_xcnt 0x0
	s_or_b32 exec_lo, exec_lo, s2
.LBB216_3352:                           ;   in Loop: Header=BB216_2096 Depth=1
	s_delay_alu instid0(SALU_CYCLE_1)
	s_or_b32 exec_lo, exec_lo, s1
.LBB216_3353:                           ;   in Loop: Header=BB216_2096 Depth=1
	s_delay_alu instid0(SALU_CYCLE_1) | instskip(SKIP_2) | instid1(VALU_DEP_1)
	s_or_b32 exec_lo, exec_lo, s0
	v_lshrrev_b16 v1, 8, v0
	s_mov_b32 s0, exec_lo
	v_cmpx_ne_u16_e32 0, v1
	s_cbranch_execz .LBB216_3361
; %bb.3354:                             ;   in Loop: Header=BB216_2096 Depth=1
	v_mov_b64_e32 v[2:3], 0x8000000000000000
	s_mov_b32 s1, exec_lo
	scratch_store_b64 off, v[2:3], s32 offset:1516 ; 8-byte Folded Spill
	s_wait_xcnt 0x0
	v_cmpx_ne_u16_e32 0x80, v1
	s_cbranch_execz .LBB216_3360
; %bb.3355:                             ;   in Loop: Header=BB216_2096 Depth=1
	v_and_b32_e32 v1, 0xffff, v1
	v_mov_b64_e32 v[4:5], 0x7f80000100000000
	s_mov_b32 s2, exec_lo
	s_delay_alu instid0(VALU_DEP_2)
	v_and_b32_e32 v2, 0x7f, v1
	scratch_store_b64 off, v[4:5], s32 offset:1516 ; 8-byte Folded Spill
	s_wait_xcnt 0x0
	v_cmpx_ne_u32_e32 0x7f, v2
	s_cbranch_execz .LBB216_3359
; %bb.3356:                             ;   in Loop: Header=BB216_2096 Depth=1
	scratch_load_b64 v[4:5], off, s32 offset:192 th:TH_LOAD_LU ; 8-byte Folded Reload
	s_wait_loadcnt 0x0
	v_dual_lshrrev_b32 v1, 3, v2 :: v_dual_bitop2_b32 v4, 7, v1 bitop3:0x40
	s_mov_b32 s3, exec_lo
	s_wait_xcnt 0x0
	v_cmpx_gt_u32_e32 8, v2
; %bb.3357:                             ;   in Loop: Header=BB216_2096 Depth=1
	s_delay_alu instid0(VALU_DEP_2) | instskip(NEXT) | instid1(VALU_DEP_1)
	v_clz_i32_u32_e32 v1, v4
	v_min_u32_e32 v1, 32, v1
	s_delay_alu instid0(VALU_DEP_1) | instskip(NEXT) | instid1(VALU_DEP_1)
	v_subrev_nc_u32_e32 v2, 28, v1
	v_lshlrev_b64_e32 v[2:3], v2, v[4:5]
	s_delay_alu instid0(VALU_DEP_1)
	v_dual_sub_nc_u32 v1, 29, v1 :: v_dual_bitop2_b32 v4, 7, v2 bitop3:0x40
; %bb.3358:                             ;   in Loop: Header=BB216_2096 Depth=1
	s_or_b32 exec_lo, exec_lo, s3
	v_lshlrev_b32_e32 v2, 16, v0
	s_delay_alu instid0(VALU_DEP_2) | instskip(NEXT) | instid1(VALU_DEP_3)
	v_lshlrev_b32_e32 v3, 20, v4
	v_lshl_add_u32 v1, v1, 23, 0x3c000000
	s_delay_alu instid0(VALU_DEP_3) | instskip(NEXT) | instid1(VALU_DEP_1)
	v_and_b32_e32 v2, 0x80000000, v2
	v_or3_b32 v3, v3, v2, v1
	v_dual_mov_b32 v1, v5 :: v_dual_mov_b32 v2, v5
	s_clause 0x1
	scratch_store_b64 off, v[0:1], s32 offset:192
	scratch_store_b64 off, v[2:3], s32 offset:1516
.LBB216_3359:                           ;   in Loop: Header=BB216_2096 Depth=1
	s_wait_xcnt 0x0
	s_or_b32 exec_lo, exec_lo, s2
.LBB216_3360:                           ;   in Loop: Header=BB216_2096 Depth=1
	s_delay_alu instid0(SALU_CYCLE_1)
	s_or_b32 exec_lo, exec_lo, s1
.LBB216_3361:                           ;   in Loop: Header=BB216_2096 Depth=1
	s_delay_alu instid0(SALU_CYCLE_1) | instskip(SKIP_3) | instid1(VALU_DEP_1)
	s_or_b32 exec_lo, exec_lo, s0
	v_mov_b64_e32 v[4:5], 0
	v_lshrrev_b32_e32 v1, 16, v0
	s_mov_b32 s0, exec_lo
	v_and_b32_e32 v2, 0xff, v1
	scratch_store_b64 off, v[4:5], s32 offset:1532 ; 8-byte Folded Spill
	s_wait_xcnt 0x0
	v_mov_b64_e32 v[4:5], 0
	scratch_store_b64 off, v[4:5], s32 offset:1540 ; 8-byte Folded Spill
	s_wait_xcnt 0x0
	v_cmpx_ne_u16_e32 0, v2
	s_cbranch_execz .LBB216_3369
; %bb.3362:                             ;   in Loop: Header=BB216_2096 Depth=1
	v_cmp_ne_u16_e32 vcc_lo, 0x80, v2
	v_mov_b64_e32 v[2:3], 0x80000000
	scratch_store_b64 off, v[2:3], s32 offset:1540 ; 8-byte Folded Spill
	s_wait_xcnt 0x0
	s_and_saveexec_b32 s1, vcc_lo
	s_cbranch_execz .LBB216_3368
; %bb.3363:                             ;   in Loop: Header=BB216_2096 Depth=1
	v_mov_b64_e32 v[4:5], 0x7f800001
	v_bfe_u32 v3, v0, 16, 7
	s_mov_b32 s2, exec_lo
	scratch_store_b64 off, v[4:5], s32 offset:1540 ; 8-byte Folded Spill
	s_wait_xcnt 0x0
	v_cmpx_ne_u32_e32 0x7f, v3
	s_cbranch_execz .LBB216_3367
; %bb.3364:                             ;   in Loop: Header=BB216_2096 Depth=1
	scratch_load_b64 v[6:7], off, s32 offset:192 th:TH_LOAD_LU ; 8-byte Folded Reload
	s_wait_loadcnt 0x0
	v_dual_lshrrev_b32 v2, 3, v3 :: v_dual_bitop2_b32 v6, 7, v1 bitop3:0x40
	s_mov_b32 s3, exec_lo
	s_wait_xcnt 0x0
	v_cmpx_gt_u32_e32 8, v3
; %bb.3365:                             ;   in Loop: Header=BB216_2096 Depth=1
	s_delay_alu instid0(VALU_DEP_2) | instskip(NEXT) | instid1(VALU_DEP_1)
	v_clz_i32_u32_e32 v2, v6
	v_min_u32_e32 v2, 32, v2
	s_delay_alu instid0(VALU_DEP_1) | instskip(NEXT) | instid1(VALU_DEP_1)
	v_subrev_nc_u32_e32 v3, 28, v2
	v_lshlrev_b64_e32 v[4:5], v3, v[6:7]
	s_delay_alu instid0(VALU_DEP_1)
	v_dual_sub_nc_u32 v2, 29, v2 :: v_dual_bitop2_b32 v6, 7, v4 bitop3:0x40
; %bb.3366:                             ;   in Loop: Header=BB216_2096 Depth=1
	s_or_b32 exec_lo, exec_lo, s3
	s_delay_alu instid0(VALU_DEP_1) | instskip(NEXT) | instid1(VALU_DEP_2)
	v_dual_lshlrev_b32 v1, 24, v1 :: v_dual_lshlrev_b32 v3, 20, v6
	v_lshl_add_u32 v2, v2, 23, 0x3c000000
	s_delay_alu instid0(VALU_DEP_2) | instskip(NEXT) | instid1(VALU_DEP_1)
	v_and_b32_e32 v1, 0x80000000, v1
	v_or3_b32 v6, v3, v1, v2
	v_mov_b32_e32 v1, v7
	s_clause 0x1
	scratch_store_b64 off, v[0:1], s32 offset:192
	scratch_store_b64 off, v[6:7], s32 offset:1540
.LBB216_3367:                           ;   in Loop: Header=BB216_2096 Depth=1
	s_wait_xcnt 0x0
	s_or_b32 exec_lo, exec_lo, s2
.LBB216_3368:                           ;   in Loop: Header=BB216_2096 Depth=1
	s_delay_alu instid0(SALU_CYCLE_1)
	s_or_b32 exec_lo, exec_lo, s1
.LBB216_3369:                           ;   in Loop: Header=BB216_2096 Depth=1
	s_delay_alu instid0(SALU_CYCLE_1) | instskip(NEXT) | instid1(SALU_CYCLE_1)
	s_or_b32 exec_lo, exec_lo, s0
	s_mov_b32 s0, exec_lo
	v_cmpx_lt_u32_e32 0xffffff, v0
	s_cbranch_execz .LBB216_3377
; %bb.3370:                             ;   in Loop: Header=BB216_2096 Depth=1
	v_mov_b64_e32 v[2:3], 0x8000000000000000
	v_lshrrev_b32_e32 v1, 24, v0
	s_mov_b32 s1, exec_lo
	scratch_store_b64 off, v[2:3], s32 offset:1532 ; 8-byte Folded Spill
	s_wait_xcnt 0x0
	v_cmpx_ne_u32_e32 0x80, v1
	s_cbranch_execz .LBB216_3376
; %bb.3371:                             ;   in Loop: Header=BB216_2096 Depth=1
	v_mov_b64_e32 v[4:5], 0x7f80000100000000
	v_bfe_u32 v2, v0, 24, 7
	s_mov_b32 s2, exec_lo
	scratch_store_b64 off, v[4:5], s32 offset:1532 ; 8-byte Folded Spill
	s_wait_xcnt 0x0
	v_cmpx_ne_u32_e32 0x7f, v2
	s_cbranch_execz .LBB216_3375
; %bb.3372:                             ;   in Loop: Header=BB216_2096 Depth=1
	scratch_load_b64 v[4:5], off, s32 offset:192 th:TH_LOAD_LU ; 8-byte Folded Reload
	s_wait_loadcnt 0x0
	v_dual_lshrrev_b32 v0, 3, v2 :: v_dual_bitop2_b32 v4, 7, v1 bitop3:0x40
	s_mov_b32 s3, exec_lo
	s_wait_xcnt 0x0
	v_cmpx_gt_u32_e32 8, v2
; %bb.3373:                             ;   in Loop: Header=BB216_2096 Depth=1
	s_delay_alu instid0(VALU_DEP_2) | instskip(NEXT) | instid1(VALU_DEP_1)
	v_clz_i32_u32_e32 v0, v4
	v_min_u32_e32 v0, 32, v0
	s_delay_alu instid0(VALU_DEP_1) | instskip(NEXT) | instid1(VALU_DEP_1)
	v_subrev_nc_u32_e32 v2, 28, v0
	v_lshlrev_b64_e32 v[2:3], v2, v[4:5]
	s_delay_alu instid0(VALU_DEP_1)
	v_dual_sub_nc_u32 v0, 29, v0 :: v_dual_bitop2_b32 v4, 7, v2 bitop3:0x40
; %bb.3374:                             ;   in Loop: Header=BB216_2096 Depth=1
	s_or_b32 exec_lo, exec_lo, s3
	s_delay_alu instid0(VALU_DEP_1) | instskip(NEXT) | instid1(VALU_DEP_2)
	v_dual_lshlrev_b32 v1, 24, v1 :: v_dual_lshlrev_b32 v2, 20, v4
	v_lshl_add_u32 v0, v0, 23, 0x3c000000
	s_delay_alu instid0(VALU_DEP_2) | instskip(NEXT) | instid1(VALU_DEP_1)
	v_and_b32_e32 v1, 0x80000000, v1
	v_or3_b32 v3, v2, v1, v0
	v_dual_mov_b32 v1, v5 :: v_dual_mov_b32 v2, v5
	s_clause 0x1
	scratch_store_b64 off, v[0:1], s32 offset:192
	scratch_store_b64 off, v[2:3], s32 offset:1532
.LBB216_3375:                           ;   in Loop: Header=BB216_2096 Depth=1
	s_wait_xcnt 0x0
	s_or_b32 exec_lo, exec_lo, s2
.LBB216_3376:                           ;   in Loop: Header=BB216_2096 Depth=1
	s_delay_alu instid0(SALU_CYCLE_1)
	s_or_b32 exec_lo, exec_lo, s1
.LBB216_3377:                           ;   in Loop: Header=BB216_2096 Depth=1
	s_delay_alu instid0(SALU_CYCLE_1)
	s_or_b32 exec_lo, exec_lo, s0
	flat_load_b32 v0, v[24:25] offset:5120
	v_mov_b64_e32 v[2:3], 0
	s_mov_b32 s0, exec_lo
	scratch_store_b64 off, v[2:3], s32 offset:1548 ; 8-byte Folded Spill
	s_wait_xcnt 0x0
	v_mov_b64_e32 v[2:3], 0
	scratch_store_b64 off, v[2:3], s32 offset:1556 ; 8-byte Folded Spill
	s_wait_loadcnt_dscnt 0x0
	v_and_b32_e32 v1, 0xff, v0
	s_wait_xcnt 0x0
	s_delay_alu instid0(VALU_DEP_1)
	v_cmpx_ne_u16_e32 0, v1
	s_cbranch_execz .LBB216_3385
; %bb.3378:                             ;   in Loop: Header=BB216_2096 Depth=1
	v_mov_b64_e32 v[2:3], 0x80000000
	s_mov_b32 s1, exec_lo
	scratch_store_b64 off, v[2:3], s32 offset:1556 ; 8-byte Folded Spill
	s_wait_xcnt 0x0
	v_cmpx_ne_u16_e32 0x80, v1
	s_cbranch_execz .LBB216_3384
; %bb.3379:                             ;   in Loop: Header=BB216_2096 Depth=1
	v_mov_b64_e32 v[4:5], 0x7f800001
	v_and_b32_e32 v2, 0x7f, v0
	s_mov_b32 s2, exec_lo
	scratch_store_b64 off, v[4:5], s32 offset:1556 ; 8-byte Folded Spill
	s_wait_xcnt 0x0
	v_cmpx_ne_u32_e32 0x7f, v2
	s_cbranch_execz .LBB216_3383
; %bb.3380:                             ;   in Loop: Header=BB216_2096 Depth=1
	scratch_load_b64 v[4:5], off, s32 offset:192 th:TH_LOAD_LU ; 8-byte Folded Reload
	s_wait_loadcnt 0x0
	v_dual_lshrrev_b32 v1, 3, v2 :: v_dual_bitop2_b32 v4, 7, v0 bitop3:0x40
	s_mov_b32 s3, exec_lo
	s_wait_xcnt 0x0
	v_cmpx_gt_u32_e32 8, v2
; %bb.3381:                             ;   in Loop: Header=BB216_2096 Depth=1
	s_delay_alu instid0(VALU_DEP_2) | instskip(NEXT) | instid1(VALU_DEP_1)
	v_clz_i32_u32_e32 v1, v4
	v_min_u32_e32 v1, 32, v1
	s_delay_alu instid0(VALU_DEP_1) | instskip(NEXT) | instid1(VALU_DEP_1)
	v_subrev_nc_u32_e32 v2, 28, v1
	v_lshlrev_b64_e32 v[2:3], v2, v[4:5]
	s_delay_alu instid0(VALU_DEP_1)
	v_dual_sub_nc_u32 v1, 29, v1 :: v_dual_bitop2_b32 v4, 7, v2 bitop3:0x40
; %bb.3382:                             ;   in Loop: Header=BB216_2096 Depth=1
	s_or_b32 exec_lo, exec_lo, s3
	v_lshlrev_b32_e32 v2, 24, v0
	s_delay_alu instid0(VALU_DEP_2) | instskip(NEXT) | instid1(VALU_DEP_3)
	v_lshlrev_b32_e32 v3, 20, v4
	v_lshl_add_u32 v1, v1, 23, 0x3c000000
	s_delay_alu instid0(VALU_DEP_3) | instskip(NEXT) | instid1(VALU_DEP_1)
	v_and_b32_e32 v2, 0x80000000, v2
	v_or3_b32 v4, v3, v2, v1
	v_mov_b32_e32 v1, v5
	s_clause 0x1
	scratch_store_b64 off, v[0:1], s32 offset:192
	scratch_store_b64 off, v[4:5], s32 offset:1556
.LBB216_3383:                           ;   in Loop: Header=BB216_2096 Depth=1
	s_wait_xcnt 0x0
	s_or_b32 exec_lo, exec_lo, s2
.LBB216_3384:                           ;   in Loop: Header=BB216_2096 Depth=1
	s_delay_alu instid0(SALU_CYCLE_1)
	s_or_b32 exec_lo, exec_lo, s1
.LBB216_3385:                           ;   in Loop: Header=BB216_2096 Depth=1
	s_delay_alu instid0(SALU_CYCLE_1) | instskip(SKIP_2) | instid1(VALU_DEP_1)
	s_or_b32 exec_lo, exec_lo, s0
	v_lshrrev_b16 v1, 8, v0
	s_mov_b32 s0, exec_lo
	v_cmpx_ne_u16_e32 0, v1
	s_cbranch_execz .LBB216_3393
; %bb.3386:                             ;   in Loop: Header=BB216_2096 Depth=1
	v_mov_b64_e32 v[2:3], 0x8000000000000000
	s_mov_b32 s1, exec_lo
	scratch_store_b64 off, v[2:3], s32 offset:1548 ; 8-byte Folded Spill
	s_wait_xcnt 0x0
	v_cmpx_ne_u16_e32 0x80, v1
	s_cbranch_execz .LBB216_3392
; %bb.3387:                             ;   in Loop: Header=BB216_2096 Depth=1
	v_and_b32_e32 v1, 0xffff, v1
	v_mov_b64_e32 v[4:5], 0x7f80000100000000
	s_mov_b32 s2, exec_lo
	s_delay_alu instid0(VALU_DEP_2)
	v_and_b32_e32 v2, 0x7f, v1
	scratch_store_b64 off, v[4:5], s32 offset:1548 ; 8-byte Folded Spill
	s_wait_xcnt 0x0
	v_cmpx_ne_u32_e32 0x7f, v2
	s_cbranch_execz .LBB216_3391
; %bb.3388:                             ;   in Loop: Header=BB216_2096 Depth=1
	scratch_load_b64 v[4:5], off, s32 offset:192 th:TH_LOAD_LU ; 8-byte Folded Reload
	s_wait_loadcnt 0x0
	v_dual_lshrrev_b32 v1, 3, v2 :: v_dual_bitop2_b32 v4, 7, v1 bitop3:0x40
	s_mov_b32 s3, exec_lo
	s_wait_xcnt 0x0
	v_cmpx_gt_u32_e32 8, v2
; %bb.3389:                             ;   in Loop: Header=BB216_2096 Depth=1
	s_delay_alu instid0(VALU_DEP_2) | instskip(NEXT) | instid1(VALU_DEP_1)
	v_clz_i32_u32_e32 v1, v4
	v_min_u32_e32 v1, 32, v1
	s_delay_alu instid0(VALU_DEP_1) | instskip(NEXT) | instid1(VALU_DEP_1)
	v_subrev_nc_u32_e32 v2, 28, v1
	v_lshlrev_b64_e32 v[2:3], v2, v[4:5]
	s_delay_alu instid0(VALU_DEP_1)
	v_dual_sub_nc_u32 v1, 29, v1 :: v_dual_bitop2_b32 v4, 7, v2 bitop3:0x40
; %bb.3390:                             ;   in Loop: Header=BB216_2096 Depth=1
	s_or_b32 exec_lo, exec_lo, s3
	v_lshlrev_b32_e32 v2, 16, v0
	s_delay_alu instid0(VALU_DEP_2) | instskip(NEXT) | instid1(VALU_DEP_3)
	v_lshlrev_b32_e32 v3, 20, v4
	v_lshl_add_u32 v1, v1, 23, 0x3c000000
	s_delay_alu instid0(VALU_DEP_3) | instskip(NEXT) | instid1(VALU_DEP_1)
	v_and_b32_e32 v2, 0x80000000, v2
	v_or3_b32 v3, v3, v2, v1
	v_dual_mov_b32 v1, v5 :: v_dual_mov_b32 v2, v5
	s_clause 0x1
	scratch_store_b64 off, v[0:1], s32 offset:192
	scratch_store_b64 off, v[2:3], s32 offset:1548
.LBB216_3391:                           ;   in Loop: Header=BB216_2096 Depth=1
	s_wait_xcnt 0x0
	s_or_b32 exec_lo, exec_lo, s2
.LBB216_3392:                           ;   in Loop: Header=BB216_2096 Depth=1
	s_delay_alu instid0(SALU_CYCLE_1)
	s_or_b32 exec_lo, exec_lo, s1
.LBB216_3393:                           ;   in Loop: Header=BB216_2096 Depth=1
	s_delay_alu instid0(SALU_CYCLE_1) | instskip(SKIP_3) | instid1(VALU_DEP_1)
	s_or_b32 exec_lo, exec_lo, s0
	v_mov_b64_e32 v[4:5], 0
	v_lshrrev_b32_e32 v1, 16, v0
	s_mov_b32 s0, exec_lo
	v_and_b32_e32 v2, 0xff, v1
	scratch_store_b64 off, v[4:5], s32 offset:1564 ; 8-byte Folded Spill
	s_wait_xcnt 0x0
	v_mov_b64_e32 v[4:5], 0
	scratch_store_b64 off, v[4:5], s32 offset:1572 ; 8-byte Folded Spill
	s_wait_xcnt 0x0
	v_cmpx_ne_u16_e32 0, v2
	s_cbranch_execz .LBB216_3401
; %bb.3394:                             ;   in Loop: Header=BB216_2096 Depth=1
	v_cmp_ne_u16_e32 vcc_lo, 0x80, v2
	v_mov_b64_e32 v[2:3], 0x80000000
	scratch_store_b64 off, v[2:3], s32 offset:1572 ; 8-byte Folded Spill
	s_wait_xcnt 0x0
	s_and_saveexec_b32 s1, vcc_lo
	s_cbranch_execz .LBB216_3400
; %bb.3395:                             ;   in Loop: Header=BB216_2096 Depth=1
	v_mov_b64_e32 v[4:5], 0x7f800001
	v_bfe_u32 v3, v0, 16, 7
	s_mov_b32 s2, exec_lo
	scratch_store_b64 off, v[4:5], s32 offset:1572 ; 8-byte Folded Spill
	s_wait_xcnt 0x0
	v_cmpx_ne_u32_e32 0x7f, v3
	s_cbranch_execz .LBB216_3399
; %bb.3396:                             ;   in Loop: Header=BB216_2096 Depth=1
	scratch_load_b64 v[6:7], off, s32 offset:192 th:TH_LOAD_LU ; 8-byte Folded Reload
	s_wait_loadcnt 0x0
	v_dual_lshrrev_b32 v2, 3, v3 :: v_dual_bitop2_b32 v6, 7, v1 bitop3:0x40
	s_mov_b32 s3, exec_lo
	s_wait_xcnt 0x0
	v_cmpx_gt_u32_e32 8, v3
; %bb.3397:                             ;   in Loop: Header=BB216_2096 Depth=1
	s_delay_alu instid0(VALU_DEP_2) | instskip(NEXT) | instid1(VALU_DEP_1)
	v_clz_i32_u32_e32 v2, v6
	v_min_u32_e32 v2, 32, v2
	s_delay_alu instid0(VALU_DEP_1) | instskip(NEXT) | instid1(VALU_DEP_1)
	v_subrev_nc_u32_e32 v3, 28, v2
	v_lshlrev_b64_e32 v[4:5], v3, v[6:7]
	s_delay_alu instid0(VALU_DEP_1)
	v_dual_sub_nc_u32 v2, 29, v2 :: v_dual_bitop2_b32 v6, 7, v4 bitop3:0x40
; %bb.3398:                             ;   in Loop: Header=BB216_2096 Depth=1
	s_or_b32 exec_lo, exec_lo, s3
	s_delay_alu instid0(VALU_DEP_1) | instskip(NEXT) | instid1(VALU_DEP_2)
	v_dual_lshlrev_b32 v1, 24, v1 :: v_dual_lshlrev_b32 v3, 20, v6
	v_lshl_add_u32 v2, v2, 23, 0x3c000000
	s_delay_alu instid0(VALU_DEP_2) | instskip(NEXT) | instid1(VALU_DEP_1)
	v_and_b32_e32 v1, 0x80000000, v1
	v_or3_b32 v6, v3, v1, v2
	v_mov_b32_e32 v1, v7
	s_clause 0x1
	scratch_store_b64 off, v[0:1], s32 offset:192
	scratch_store_b64 off, v[6:7], s32 offset:1572
.LBB216_3399:                           ;   in Loop: Header=BB216_2096 Depth=1
	s_wait_xcnt 0x0
	s_or_b32 exec_lo, exec_lo, s2
.LBB216_3400:                           ;   in Loop: Header=BB216_2096 Depth=1
	s_delay_alu instid0(SALU_CYCLE_1)
	s_or_b32 exec_lo, exec_lo, s1
.LBB216_3401:                           ;   in Loop: Header=BB216_2096 Depth=1
	s_delay_alu instid0(SALU_CYCLE_1) | instskip(NEXT) | instid1(SALU_CYCLE_1)
	s_or_b32 exec_lo, exec_lo, s0
	s_mov_b32 s0, exec_lo
	v_cmpx_lt_u32_e32 0xffffff, v0
	s_cbranch_execz .LBB216_3409
; %bb.3402:                             ;   in Loop: Header=BB216_2096 Depth=1
	v_mov_b64_e32 v[2:3], 0x8000000000000000
	v_lshrrev_b32_e32 v1, 24, v0
	s_mov_b32 s1, exec_lo
	scratch_store_b64 off, v[2:3], s32 offset:1564 ; 8-byte Folded Spill
	s_wait_xcnt 0x0
	v_cmpx_ne_u32_e32 0x80, v1
	s_cbranch_execz .LBB216_3408
; %bb.3403:                             ;   in Loop: Header=BB216_2096 Depth=1
	v_mov_b64_e32 v[4:5], 0x7f80000100000000
	v_bfe_u32 v2, v0, 24, 7
	s_mov_b32 s2, exec_lo
	scratch_store_b64 off, v[4:5], s32 offset:1564 ; 8-byte Folded Spill
	s_wait_xcnt 0x0
	v_cmpx_ne_u32_e32 0x7f, v2
	s_cbranch_execz .LBB216_3407
; %bb.3404:                             ;   in Loop: Header=BB216_2096 Depth=1
	scratch_load_b64 v[4:5], off, s32 offset:192 th:TH_LOAD_LU ; 8-byte Folded Reload
	s_wait_loadcnt 0x0
	v_dual_lshrrev_b32 v0, 3, v2 :: v_dual_bitop2_b32 v4, 7, v1 bitop3:0x40
	s_mov_b32 s3, exec_lo
	s_wait_xcnt 0x0
	v_cmpx_gt_u32_e32 8, v2
; %bb.3405:                             ;   in Loop: Header=BB216_2096 Depth=1
	s_delay_alu instid0(VALU_DEP_2) | instskip(NEXT) | instid1(VALU_DEP_1)
	v_clz_i32_u32_e32 v0, v4
	v_min_u32_e32 v0, 32, v0
	s_delay_alu instid0(VALU_DEP_1) | instskip(NEXT) | instid1(VALU_DEP_1)
	v_subrev_nc_u32_e32 v2, 28, v0
	v_lshlrev_b64_e32 v[2:3], v2, v[4:5]
	s_delay_alu instid0(VALU_DEP_1)
	v_dual_sub_nc_u32 v0, 29, v0 :: v_dual_bitop2_b32 v4, 7, v2 bitop3:0x40
; %bb.3406:                             ;   in Loop: Header=BB216_2096 Depth=1
	s_or_b32 exec_lo, exec_lo, s3
	s_delay_alu instid0(VALU_DEP_1) | instskip(NEXT) | instid1(VALU_DEP_2)
	v_dual_lshlrev_b32 v1, 24, v1 :: v_dual_lshlrev_b32 v2, 20, v4
	v_lshl_add_u32 v0, v0, 23, 0x3c000000
	s_delay_alu instid0(VALU_DEP_2) | instskip(NEXT) | instid1(VALU_DEP_1)
	v_and_b32_e32 v1, 0x80000000, v1
	v_or3_b32 v3, v2, v1, v0
	v_dual_mov_b32 v1, v5 :: v_dual_mov_b32 v2, v5
	s_clause 0x1
	scratch_store_b64 off, v[0:1], s32 offset:192
	scratch_store_b64 off, v[2:3], s32 offset:1564
.LBB216_3407:                           ;   in Loop: Header=BB216_2096 Depth=1
	s_wait_xcnt 0x0
	s_or_b32 exec_lo, exec_lo, s2
.LBB216_3408:                           ;   in Loop: Header=BB216_2096 Depth=1
	s_delay_alu instid0(SALU_CYCLE_1)
	s_or_b32 exec_lo, exec_lo, s1
.LBB216_3409:                           ;   in Loop: Header=BB216_2096 Depth=1
	s_delay_alu instid0(SALU_CYCLE_1)
	s_or_b32 exec_lo, exec_lo, s0
	flat_load_b32 v0, v[24:25] offset:5248
	v_mov_b64_e32 v[2:3], 0
	s_mov_b32 s0, exec_lo
	scratch_store_b64 off, v[2:3], s32 offset:1580 ; 8-byte Folded Spill
	s_wait_xcnt 0x0
	v_mov_b64_e32 v[2:3], 0
	scratch_store_b64 off, v[2:3], s32 offset:1588 ; 8-byte Folded Spill
	s_wait_loadcnt_dscnt 0x0
	v_and_b32_e32 v1, 0xff, v0
	s_wait_xcnt 0x0
	s_delay_alu instid0(VALU_DEP_1)
	v_cmpx_ne_u16_e32 0, v1
	s_cbranch_execz .LBB216_3417
; %bb.3410:                             ;   in Loop: Header=BB216_2096 Depth=1
	v_mov_b64_e32 v[2:3], 0x80000000
	s_mov_b32 s1, exec_lo
	scratch_store_b64 off, v[2:3], s32 offset:1588 ; 8-byte Folded Spill
	s_wait_xcnt 0x0
	v_cmpx_ne_u16_e32 0x80, v1
	s_cbranch_execz .LBB216_3416
; %bb.3411:                             ;   in Loop: Header=BB216_2096 Depth=1
	v_mov_b64_e32 v[4:5], 0x7f800001
	v_and_b32_e32 v2, 0x7f, v0
	s_mov_b32 s2, exec_lo
	scratch_store_b64 off, v[4:5], s32 offset:1588 ; 8-byte Folded Spill
	s_wait_xcnt 0x0
	v_cmpx_ne_u32_e32 0x7f, v2
	s_cbranch_execz .LBB216_3415
; %bb.3412:                             ;   in Loop: Header=BB216_2096 Depth=1
	scratch_load_b64 v[4:5], off, s32 offset:192 th:TH_LOAD_LU ; 8-byte Folded Reload
	s_wait_loadcnt 0x0
	v_dual_lshrrev_b32 v1, 3, v2 :: v_dual_bitop2_b32 v4, 7, v0 bitop3:0x40
	s_mov_b32 s3, exec_lo
	s_wait_xcnt 0x0
	v_cmpx_gt_u32_e32 8, v2
; %bb.3413:                             ;   in Loop: Header=BB216_2096 Depth=1
	s_delay_alu instid0(VALU_DEP_2) | instskip(NEXT) | instid1(VALU_DEP_1)
	v_clz_i32_u32_e32 v1, v4
	v_min_u32_e32 v1, 32, v1
	s_delay_alu instid0(VALU_DEP_1) | instskip(NEXT) | instid1(VALU_DEP_1)
	v_subrev_nc_u32_e32 v2, 28, v1
	v_lshlrev_b64_e32 v[2:3], v2, v[4:5]
	s_delay_alu instid0(VALU_DEP_1)
	v_dual_sub_nc_u32 v1, 29, v1 :: v_dual_bitop2_b32 v4, 7, v2 bitop3:0x40
; %bb.3414:                             ;   in Loop: Header=BB216_2096 Depth=1
	s_or_b32 exec_lo, exec_lo, s3
	v_lshlrev_b32_e32 v2, 24, v0
	s_delay_alu instid0(VALU_DEP_2) | instskip(NEXT) | instid1(VALU_DEP_3)
	v_lshlrev_b32_e32 v3, 20, v4
	v_lshl_add_u32 v1, v1, 23, 0x3c000000
	s_delay_alu instid0(VALU_DEP_3) | instskip(NEXT) | instid1(VALU_DEP_1)
	v_and_b32_e32 v2, 0x80000000, v2
	v_or3_b32 v4, v3, v2, v1
	v_mov_b32_e32 v1, v5
	s_clause 0x1
	scratch_store_b64 off, v[0:1], s32 offset:192
	scratch_store_b64 off, v[4:5], s32 offset:1588
.LBB216_3415:                           ;   in Loop: Header=BB216_2096 Depth=1
	s_wait_xcnt 0x0
	s_or_b32 exec_lo, exec_lo, s2
.LBB216_3416:                           ;   in Loop: Header=BB216_2096 Depth=1
	s_delay_alu instid0(SALU_CYCLE_1)
	s_or_b32 exec_lo, exec_lo, s1
.LBB216_3417:                           ;   in Loop: Header=BB216_2096 Depth=1
	s_delay_alu instid0(SALU_CYCLE_1) | instskip(SKIP_2) | instid1(VALU_DEP_1)
	s_or_b32 exec_lo, exec_lo, s0
	v_lshrrev_b16 v1, 8, v0
	s_mov_b32 s0, exec_lo
	v_cmpx_ne_u16_e32 0, v1
	s_cbranch_execz .LBB216_3425
; %bb.3418:                             ;   in Loop: Header=BB216_2096 Depth=1
	v_mov_b64_e32 v[2:3], 0x8000000000000000
	s_mov_b32 s1, exec_lo
	scratch_store_b64 off, v[2:3], s32 offset:1580 ; 8-byte Folded Spill
	s_wait_xcnt 0x0
	v_cmpx_ne_u16_e32 0x80, v1
	s_cbranch_execz .LBB216_3424
; %bb.3419:                             ;   in Loop: Header=BB216_2096 Depth=1
	v_and_b32_e32 v1, 0xffff, v1
	v_mov_b64_e32 v[4:5], 0x7f80000100000000
	s_mov_b32 s2, exec_lo
	s_delay_alu instid0(VALU_DEP_2)
	v_and_b32_e32 v2, 0x7f, v1
	scratch_store_b64 off, v[4:5], s32 offset:1580 ; 8-byte Folded Spill
	s_wait_xcnt 0x0
	v_cmpx_ne_u32_e32 0x7f, v2
	s_cbranch_execz .LBB216_3423
; %bb.3420:                             ;   in Loop: Header=BB216_2096 Depth=1
	scratch_load_b64 v[4:5], off, s32 offset:192 th:TH_LOAD_LU ; 8-byte Folded Reload
	s_wait_loadcnt 0x0
	v_dual_lshrrev_b32 v1, 3, v2 :: v_dual_bitop2_b32 v4, 7, v1 bitop3:0x40
	s_mov_b32 s3, exec_lo
	s_wait_xcnt 0x0
	v_cmpx_gt_u32_e32 8, v2
; %bb.3421:                             ;   in Loop: Header=BB216_2096 Depth=1
	s_delay_alu instid0(VALU_DEP_2) | instskip(NEXT) | instid1(VALU_DEP_1)
	v_clz_i32_u32_e32 v1, v4
	v_min_u32_e32 v1, 32, v1
	s_delay_alu instid0(VALU_DEP_1) | instskip(NEXT) | instid1(VALU_DEP_1)
	v_subrev_nc_u32_e32 v2, 28, v1
	v_lshlrev_b64_e32 v[2:3], v2, v[4:5]
	s_delay_alu instid0(VALU_DEP_1)
	v_dual_sub_nc_u32 v1, 29, v1 :: v_dual_bitop2_b32 v4, 7, v2 bitop3:0x40
; %bb.3422:                             ;   in Loop: Header=BB216_2096 Depth=1
	s_or_b32 exec_lo, exec_lo, s3
	v_lshlrev_b32_e32 v2, 16, v0
	s_delay_alu instid0(VALU_DEP_2) | instskip(NEXT) | instid1(VALU_DEP_3)
	v_lshlrev_b32_e32 v3, 20, v4
	v_lshl_add_u32 v1, v1, 23, 0x3c000000
	s_delay_alu instid0(VALU_DEP_3) | instskip(NEXT) | instid1(VALU_DEP_1)
	v_and_b32_e32 v2, 0x80000000, v2
	v_or3_b32 v3, v3, v2, v1
	v_dual_mov_b32 v1, v5 :: v_dual_mov_b32 v2, v5
	s_clause 0x1
	scratch_store_b64 off, v[0:1], s32 offset:192
	scratch_store_b64 off, v[2:3], s32 offset:1580
.LBB216_3423:                           ;   in Loop: Header=BB216_2096 Depth=1
	s_wait_xcnt 0x0
	s_or_b32 exec_lo, exec_lo, s2
.LBB216_3424:                           ;   in Loop: Header=BB216_2096 Depth=1
	s_delay_alu instid0(SALU_CYCLE_1)
	s_or_b32 exec_lo, exec_lo, s1
.LBB216_3425:                           ;   in Loop: Header=BB216_2096 Depth=1
	s_delay_alu instid0(SALU_CYCLE_1) | instskip(SKIP_3) | instid1(VALU_DEP_1)
	s_or_b32 exec_lo, exec_lo, s0
	v_mov_b64_e32 v[4:5], 0
	v_lshrrev_b32_e32 v1, 16, v0
	s_mov_b32 s0, exec_lo
	v_and_b32_e32 v2, 0xff, v1
	scratch_store_b64 off, v[4:5], s32 offset:1596 ; 8-byte Folded Spill
	s_wait_xcnt 0x0
	v_mov_b64_e32 v[4:5], 0
	scratch_store_b64 off, v[4:5], s32 offset:1604 ; 8-byte Folded Spill
	s_wait_xcnt 0x0
	v_cmpx_ne_u16_e32 0, v2
	s_cbranch_execz .LBB216_3433
; %bb.3426:                             ;   in Loop: Header=BB216_2096 Depth=1
	v_cmp_ne_u16_e32 vcc_lo, 0x80, v2
	v_mov_b64_e32 v[2:3], 0x80000000
	scratch_store_b64 off, v[2:3], s32 offset:1604 ; 8-byte Folded Spill
	s_wait_xcnt 0x0
	s_and_saveexec_b32 s1, vcc_lo
	s_cbranch_execz .LBB216_3432
; %bb.3427:                             ;   in Loop: Header=BB216_2096 Depth=1
	v_mov_b64_e32 v[4:5], 0x7f800001
	v_bfe_u32 v3, v0, 16, 7
	s_mov_b32 s2, exec_lo
	scratch_store_b64 off, v[4:5], s32 offset:1604 ; 8-byte Folded Spill
	s_wait_xcnt 0x0
	v_cmpx_ne_u32_e32 0x7f, v3
	s_cbranch_execz .LBB216_3431
; %bb.3428:                             ;   in Loop: Header=BB216_2096 Depth=1
	scratch_load_b64 v[6:7], off, s32 offset:192 th:TH_LOAD_LU ; 8-byte Folded Reload
	s_wait_loadcnt 0x0
	v_dual_lshrrev_b32 v2, 3, v3 :: v_dual_bitop2_b32 v6, 7, v1 bitop3:0x40
	s_mov_b32 s3, exec_lo
	s_wait_xcnt 0x0
	v_cmpx_gt_u32_e32 8, v3
; %bb.3429:                             ;   in Loop: Header=BB216_2096 Depth=1
	s_delay_alu instid0(VALU_DEP_2) | instskip(NEXT) | instid1(VALU_DEP_1)
	v_clz_i32_u32_e32 v2, v6
	v_min_u32_e32 v2, 32, v2
	s_delay_alu instid0(VALU_DEP_1) | instskip(NEXT) | instid1(VALU_DEP_1)
	v_subrev_nc_u32_e32 v3, 28, v2
	v_lshlrev_b64_e32 v[4:5], v3, v[6:7]
	s_delay_alu instid0(VALU_DEP_1)
	v_dual_sub_nc_u32 v2, 29, v2 :: v_dual_bitop2_b32 v6, 7, v4 bitop3:0x40
; %bb.3430:                             ;   in Loop: Header=BB216_2096 Depth=1
	s_or_b32 exec_lo, exec_lo, s3
	s_delay_alu instid0(VALU_DEP_1) | instskip(NEXT) | instid1(VALU_DEP_2)
	v_dual_lshlrev_b32 v1, 24, v1 :: v_dual_lshlrev_b32 v3, 20, v6
	v_lshl_add_u32 v2, v2, 23, 0x3c000000
	s_delay_alu instid0(VALU_DEP_2) | instskip(NEXT) | instid1(VALU_DEP_1)
	v_and_b32_e32 v1, 0x80000000, v1
	v_or3_b32 v6, v3, v1, v2
	v_mov_b32_e32 v1, v7
	s_clause 0x1
	scratch_store_b64 off, v[0:1], s32 offset:192
	scratch_store_b64 off, v[6:7], s32 offset:1604
.LBB216_3431:                           ;   in Loop: Header=BB216_2096 Depth=1
	s_wait_xcnt 0x0
	s_or_b32 exec_lo, exec_lo, s2
.LBB216_3432:                           ;   in Loop: Header=BB216_2096 Depth=1
	s_delay_alu instid0(SALU_CYCLE_1)
	s_or_b32 exec_lo, exec_lo, s1
.LBB216_3433:                           ;   in Loop: Header=BB216_2096 Depth=1
	s_delay_alu instid0(SALU_CYCLE_1) | instskip(NEXT) | instid1(SALU_CYCLE_1)
	s_or_b32 exec_lo, exec_lo, s0
	s_mov_b32 s0, exec_lo
	v_cmpx_lt_u32_e32 0xffffff, v0
	s_cbranch_execz .LBB216_3441
; %bb.3434:                             ;   in Loop: Header=BB216_2096 Depth=1
	v_mov_b64_e32 v[2:3], 0x8000000000000000
	v_lshrrev_b32_e32 v1, 24, v0
	s_mov_b32 s1, exec_lo
	scratch_store_b64 off, v[2:3], s32 offset:1596 ; 8-byte Folded Spill
	s_wait_xcnt 0x0
	v_cmpx_ne_u32_e32 0x80, v1
	s_cbranch_execz .LBB216_3440
; %bb.3435:                             ;   in Loop: Header=BB216_2096 Depth=1
	v_mov_b64_e32 v[4:5], 0x7f80000100000000
	v_bfe_u32 v2, v0, 24, 7
	s_mov_b32 s2, exec_lo
	scratch_store_b64 off, v[4:5], s32 offset:1596 ; 8-byte Folded Spill
	s_wait_xcnt 0x0
	v_cmpx_ne_u32_e32 0x7f, v2
	s_cbranch_execz .LBB216_3439
; %bb.3436:                             ;   in Loop: Header=BB216_2096 Depth=1
	scratch_load_b64 v[4:5], off, s32 offset:192 th:TH_LOAD_LU ; 8-byte Folded Reload
	s_wait_loadcnt 0x0
	v_dual_lshrrev_b32 v0, 3, v2 :: v_dual_bitop2_b32 v4, 7, v1 bitop3:0x40
	s_mov_b32 s3, exec_lo
	s_wait_xcnt 0x0
	v_cmpx_gt_u32_e32 8, v2
; %bb.3437:                             ;   in Loop: Header=BB216_2096 Depth=1
	s_delay_alu instid0(VALU_DEP_2) | instskip(NEXT) | instid1(VALU_DEP_1)
	v_clz_i32_u32_e32 v0, v4
	v_min_u32_e32 v0, 32, v0
	s_delay_alu instid0(VALU_DEP_1) | instskip(NEXT) | instid1(VALU_DEP_1)
	v_subrev_nc_u32_e32 v2, 28, v0
	v_lshlrev_b64_e32 v[2:3], v2, v[4:5]
	s_delay_alu instid0(VALU_DEP_1)
	v_dual_sub_nc_u32 v0, 29, v0 :: v_dual_bitop2_b32 v4, 7, v2 bitop3:0x40
; %bb.3438:                             ;   in Loop: Header=BB216_2096 Depth=1
	s_or_b32 exec_lo, exec_lo, s3
	s_delay_alu instid0(VALU_DEP_1) | instskip(NEXT) | instid1(VALU_DEP_2)
	v_dual_lshlrev_b32 v1, 24, v1 :: v_dual_lshlrev_b32 v2, 20, v4
	v_lshl_add_u32 v0, v0, 23, 0x3c000000
	s_delay_alu instid0(VALU_DEP_2) | instskip(NEXT) | instid1(VALU_DEP_1)
	v_and_b32_e32 v1, 0x80000000, v1
	v_or3_b32 v3, v2, v1, v0
	v_dual_mov_b32 v1, v5 :: v_dual_mov_b32 v2, v5
	s_clause 0x1
	scratch_store_b64 off, v[0:1], s32 offset:192
	scratch_store_b64 off, v[2:3], s32 offset:1596
.LBB216_3439:                           ;   in Loop: Header=BB216_2096 Depth=1
	s_wait_xcnt 0x0
	s_or_b32 exec_lo, exec_lo, s2
.LBB216_3440:                           ;   in Loop: Header=BB216_2096 Depth=1
	s_delay_alu instid0(SALU_CYCLE_1)
	s_or_b32 exec_lo, exec_lo, s1
.LBB216_3441:                           ;   in Loop: Header=BB216_2096 Depth=1
	s_delay_alu instid0(SALU_CYCLE_1)
	s_or_b32 exec_lo, exec_lo, s0
	flat_load_b32 v2, v[24:25] offset:5376
	v_mov_b64_e32 v[4:5], 0
	s_mov_b32 s0, exec_lo
	scratch_store_b64 off, v[4:5], s32 offset:1612 ; 8-byte Folded Spill
	s_wait_xcnt 0x0
	v_mov_b64_e32 v[4:5], 0
	scratch_store_b64 off, v[4:5], s32 offset:1620 ; 8-byte Folded Spill
	s_wait_loadcnt_dscnt 0x0
	v_and_b32_e32 v0, 0xff, v2
	s_wait_xcnt 0x0
	s_delay_alu instid0(VALU_DEP_1)
	v_cmpx_ne_u16_e32 0, v0
	s_cbranch_execz .LBB216_3449
; %bb.3442:                             ;   in Loop: Header=BB216_2096 Depth=1
	v_cmp_ne_u16_e32 vcc_lo, 0x80, v0
	v_mov_b64_e32 v[0:1], 0x80000000
	scratch_store_b64 off, v[0:1], s32 offset:1620 ; 8-byte Folded Spill
	s_wait_xcnt 0x0
	s_and_saveexec_b32 s1, vcc_lo
	s_cbranch_execz .LBB216_3448
; %bb.3443:                             ;   in Loop: Header=BB216_2096 Depth=1
	v_mov_b64_e32 v[4:5], 0x7f800001
	v_and_b32_e32 v1, 0x7f, v2
	s_mov_b32 s2, exec_lo
	scratch_store_b64 off, v[4:5], s32 offset:1620 ; 8-byte Folded Spill
	s_wait_xcnt 0x0
	v_cmpx_ne_u32_e32 0x7f, v1
	s_cbranch_execz .LBB216_3447
; %bb.3444:                             ;   in Loop: Header=BB216_2096 Depth=1
	scratch_load_b64 v[6:7], off, s32 offset:192 th:TH_LOAD_LU ; 8-byte Folded Reload
	s_wait_loadcnt 0x0
	v_dual_lshrrev_b32 v0, 3, v1 :: v_dual_bitop2_b32 v6, 7, v2 bitop3:0x40
	s_mov_b32 s3, exec_lo
	s_wait_xcnt 0x0
	v_cmpx_gt_u32_e32 8, v1
; %bb.3445:                             ;   in Loop: Header=BB216_2096 Depth=1
	s_delay_alu instid0(VALU_DEP_2) | instskip(NEXT) | instid1(VALU_DEP_1)
	v_clz_i32_u32_e32 v0, v6
	v_min_u32_e32 v0, 32, v0
	s_delay_alu instid0(VALU_DEP_1) | instskip(SKIP_1) | instid1(VALU_DEP_2)
	v_subrev_nc_u32_e32 v1, 28, v0
	v_sub_nc_u32_e32 v0, 29, v0
	v_lshlrev_b64_e32 v[4:5], v1, v[6:7]
	s_delay_alu instid0(VALU_DEP_1)
	v_and_b32_e32 v6, 7, v4
; %bb.3446:                             ;   in Loop: Header=BB216_2096 Depth=1
	s_or_b32 exec_lo, exec_lo, s3
	v_lshlrev_b32_e32 v1, 24, v2
	s_delay_alu instid0(VALU_DEP_2) | instskip(SKIP_1) | instid1(VALU_DEP_3)
	v_lshlrev_b32_e32 v3, 20, v6
	v_lshl_add_u32 v0, v0, 23, 0x3c000000
	v_and_b32_e32 v1, 0x80000000, v1
	s_delay_alu instid0(VALU_DEP_1)
	v_or3_b32 v6, v3, v1, v0
	v_mov_b32_e32 v1, v7
	s_clause 0x1
	scratch_store_b64 off, v[0:1], s32 offset:192
	scratch_store_b64 off, v[6:7], s32 offset:1620
.LBB216_3447:                           ;   in Loop: Header=BB216_2096 Depth=1
	s_wait_xcnt 0x0
	s_or_b32 exec_lo, exec_lo, s2
.LBB216_3448:                           ;   in Loop: Header=BB216_2096 Depth=1
	s_delay_alu instid0(SALU_CYCLE_1)
	s_or_b32 exec_lo, exec_lo, s1
.LBB216_3449:                           ;   in Loop: Header=BB216_2096 Depth=1
	s_delay_alu instid0(SALU_CYCLE_1) | instskip(SKIP_2) | instid1(VALU_DEP_1)
	s_or_b32 exec_lo, exec_lo, s0
	v_lshrrev_b16 v0, 8, v2
	s_mov_b32 s0, exec_lo
	v_cmpx_ne_u16_e32 0, v0
	s_cbranch_execz .LBB216_3457
; %bb.3450:                             ;   in Loop: Header=BB216_2096 Depth=1
	v_mov_b64_e32 v[4:5], 0x8000000000000000
	s_mov_b32 s1, exec_lo
	scratch_store_b64 off, v[4:5], s32 offset:1612 ; 8-byte Folded Spill
	s_wait_xcnt 0x0
	v_cmpx_ne_u16_e32 0x80, v0
	s_cbranch_execz .LBB216_3456
; %bb.3451:                             ;   in Loop: Header=BB216_2096 Depth=1
	v_and_b32_e32 v0, 0xffff, v0
	v_mov_b64_e32 v[4:5], 0x7f80000100000000
	s_mov_b32 s2, exec_lo
	s_delay_alu instid0(VALU_DEP_2)
	v_and_b32_e32 v1, 0x7f, v0
	scratch_store_b64 off, v[4:5], s32 offset:1612 ; 8-byte Folded Spill
	s_wait_xcnt 0x0
	v_cmpx_ne_u32_e32 0x7f, v1
	s_cbranch_execz .LBB216_3455
; %bb.3452:                             ;   in Loop: Header=BB216_2096 Depth=1
	scratch_load_b64 v[6:7], off, s32 offset:192 th:TH_LOAD_LU ; 8-byte Folded Reload
	s_wait_loadcnt 0x0
	v_dual_lshrrev_b32 v0, 3, v1 :: v_dual_bitop2_b32 v6, 7, v0 bitop3:0x40
	s_mov_b32 s3, exec_lo
	s_wait_xcnt 0x0
	v_cmpx_gt_u32_e32 8, v1
; %bb.3453:                             ;   in Loop: Header=BB216_2096 Depth=1
	s_delay_alu instid0(VALU_DEP_2) | instskip(NEXT) | instid1(VALU_DEP_1)
	v_clz_i32_u32_e32 v0, v6
	v_min_u32_e32 v0, 32, v0
	s_delay_alu instid0(VALU_DEP_1) | instskip(SKIP_1) | instid1(VALU_DEP_2)
	v_subrev_nc_u32_e32 v1, 28, v0
	v_sub_nc_u32_e32 v0, 29, v0
	v_lshlrev_b64_e32 v[4:5], v1, v[6:7]
	s_delay_alu instid0(VALU_DEP_1)
	v_and_b32_e32 v6, 7, v4
; %bb.3454:                             ;   in Loop: Header=BB216_2096 Depth=1
	s_or_b32 exec_lo, exec_lo, s3
	v_dual_mov_b32 v4, v7 :: v_dual_lshlrev_b32 v1, 16, v2
	s_delay_alu instid0(VALU_DEP_2) | instskip(SKIP_1) | instid1(VALU_DEP_3)
	v_lshlrev_b32_e32 v3, 20, v6
	v_lshl_add_u32 v0, v0, 23, 0x3c000000
	v_and_b32_e32 v1, 0x80000000, v1
	s_delay_alu instid0(VALU_DEP_1)
	v_or3_b32 v5, v3, v1, v0
	v_mov_b32_e32 v1, v7
	s_clause 0x1
	scratch_store_b64 off, v[4:5], s32 offset:1612
	scratch_store_b64 off, v[0:1], s32 offset:192
.LBB216_3455:                           ;   in Loop: Header=BB216_2096 Depth=1
	s_wait_xcnt 0x0
	s_or_b32 exec_lo, exec_lo, s2
.LBB216_3456:                           ;   in Loop: Header=BB216_2096 Depth=1
	s_delay_alu instid0(SALU_CYCLE_1)
	s_or_b32 exec_lo, exec_lo, s1
.LBB216_3457:                           ;   in Loop: Header=BB216_2096 Depth=1
	s_delay_alu instid0(SALU_CYCLE_1) | instskip(SKIP_3) | instid1(VALU_DEP_1)
	s_or_b32 exec_lo, exec_lo, s0
	v_mov_b64_e32 v[4:5], 0
	v_lshrrev_b32_e32 v3, 16, v2
	s_mov_b32 s0, exec_lo
	v_and_b32_e32 v0, 0xff, v3
	scratch_store_b64 off, v[4:5], s32 offset:1628 ; 8-byte Folded Spill
	s_wait_xcnt 0x0
	v_mov_b64_e32 v[4:5], 0
	scratch_store_b64 off, v[4:5], s32 offset:1636 ; 8-byte Folded Spill
	s_wait_xcnt 0x0
	v_cmpx_ne_u16_e32 0, v0
	s_cbranch_execz .LBB216_3465
; %bb.3458:                             ;   in Loop: Header=BB216_2096 Depth=1
	v_cmp_ne_u16_e32 vcc_lo, 0x80, v0
	v_mov_b64_e32 v[0:1], 0x80000000
	scratch_store_b64 off, v[0:1], s32 offset:1636 ; 8-byte Folded Spill
	s_wait_xcnt 0x0
	s_and_saveexec_b32 s1, vcc_lo
	s_cbranch_execz .LBB216_3464
; %bb.3459:                             ;   in Loop: Header=BB216_2096 Depth=1
	v_mov_b64_e32 v[4:5], 0x7f800001
	v_bfe_u32 v0, v2, 16, 7
	s_mov_b32 s2, exec_lo
	scratch_store_b64 off, v[4:5], s32 offset:1636 ; 8-byte Folded Spill
	s_wait_xcnt 0x0
	v_cmpx_ne_u32_e32 0x7f, v0
	s_cbranch_execz .LBB216_3463
; %bb.3460:                             ;   in Loop: Header=BB216_2096 Depth=1
	scratch_load_b64 v[6:7], off, s32 offset:192 th:TH_LOAD_LU ; 8-byte Folded Reload
	s_wait_loadcnt 0x0
	v_dual_lshrrev_b32 v4, 3, v0 :: v_dual_bitop2_b32 v6, 7, v3 bitop3:0x40
	v_cmp_gt_u32_e32 vcc_lo, 8, v0
	s_delay_alu instid0(VALU_DEP_2)
	v_mov_b64_e32 v[0:1], v[6:7]
	s_wait_xcnt 0x0
	s_and_saveexec_b32 s3, vcc_lo
; %bb.3461:                             ;   in Loop: Header=BB216_2096 Depth=1
	v_clz_i32_u32_e32 v0, v6
	s_delay_alu instid0(VALU_DEP_1) | instskip(NEXT) | instid1(VALU_DEP_1)
	v_min_u32_e32 v4, 32, v0
	v_subrev_nc_u32_e32 v0, 28, v4
	v_sub_nc_u32_e32 v4, 29, v4
	s_delay_alu instid0(VALU_DEP_2) | instskip(NEXT) | instid1(VALU_DEP_1)
	v_lshlrev_b64_e32 v[0:1], v0, v[6:7]
	v_and_b32_e32 v0, 7, v0
; %bb.3462:                             ;   in Loop: Header=BB216_2096 Depth=1
	s_or_b32 exec_lo, exec_lo, s3
	s_delay_alu instid0(VALU_DEP_1) | instskip(SKIP_1) | instid1(VALU_DEP_2)
	v_dual_lshlrev_b32 v1, 24, v3 :: v_dual_lshlrev_b32 v0, 20, v0
	v_lshl_add_u32 v3, v4, 23, 0x3c000000
	v_and_b32_e32 v1, 0x80000000, v1
	s_delay_alu instid0(VALU_DEP_1)
	v_or3_b32 v6, v0, v1, v3
	v_mov_b32_e32 v1, v7
	s_clause 0x1
	scratch_store_b64 off, v[0:1], s32 offset:192
	scratch_store_b64 off, v[6:7], s32 offset:1636
.LBB216_3463:                           ;   in Loop: Header=BB216_2096 Depth=1
	s_wait_xcnt 0x0
	s_or_b32 exec_lo, exec_lo, s2
.LBB216_3464:                           ;   in Loop: Header=BB216_2096 Depth=1
	s_delay_alu instid0(SALU_CYCLE_1)
	s_or_b32 exec_lo, exec_lo, s1
.LBB216_3465:                           ;   in Loop: Header=BB216_2096 Depth=1
	s_delay_alu instid0(SALU_CYCLE_1) | instskip(NEXT) | instid1(SALU_CYCLE_1)
	s_or_b32 exec_lo, exec_lo, s0
	s_mov_b32 s0, exec_lo
	v_cmpx_lt_u32_e32 0xffffff, v2
	s_cbranch_execz .LBB216_3473
; %bb.3466:                             ;   in Loop: Header=BB216_2096 Depth=1
	v_mov_b64_e32 v[0:1], 0x8000000000000000
	v_lshrrev_b32_e32 v3, 24, v2
	s_mov_b32 s1, exec_lo
	scratch_store_b64 off, v[0:1], s32 offset:1628 ; 8-byte Folded Spill
	s_wait_xcnt 0x0
	v_cmpx_ne_u32_e32 0x80, v3
	s_cbranch_execz .LBB216_3472
; %bb.3467:                             ;   in Loop: Header=BB216_2096 Depth=1
	v_mov_b64_e32 v[4:5], 0x7f80000100000000
	v_bfe_u32 v0, v2, 24, 7
	s_mov_b32 s2, exec_lo
	scratch_store_b64 off, v[4:5], s32 offset:1628 ; 8-byte Folded Spill
	s_wait_xcnt 0x0
	v_cmpx_ne_u32_e32 0x7f, v0
	s_cbranch_execz .LBB216_3471
; %bb.3468:                             ;   in Loop: Header=BB216_2096 Depth=1
	scratch_load_b64 v[4:5], off, s32 offset:192 th:TH_LOAD_LU ; 8-byte Folded Reload
	s_wait_loadcnt 0x0
	v_dual_lshrrev_b32 v2, 3, v0 :: v_dual_bitop2_b32 v4, 7, v3 bitop3:0x40
	v_cmp_gt_u32_e32 vcc_lo, 8, v0
	s_delay_alu instid0(VALU_DEP_2)
	v_mov_b64_e32 v[0:1], v[4:5]
	s_wait_xcnt 0x0
	s_and_saveexec_b32 s3, vcc_lo
; %bb.3469:                             ;   in Loop: Header=BB216_2096 Depth=1
	v_clz_i32_u32_e32 v0, v4
	s_delay_alu instid0(VALU_DEP_1) | instskip(NEXT) | instid1(VALU_DEP_1)
	v_min_u32_e32 v2, 32, v0
	v_subrev_nc_u32_e32 v0, 28, v2
	s_delay_alu instid0(VALU_DEP_1) | instskip(NEXT) | instid1(VALU_DEP_1)
	v_lshlrev_b64_e32 v[0:1], v0, v[4:5]
	v_dual_sub_nc_u32 v2, 29, v2 :: v_dual_bitop2_b32 v0, 7, v0 bitop3:0x40
; %bb.3470:                             ;   in Loop: Header=BB216_2096 Depth=1
	s_or_b32 exec_lo, exec_lo, s3
	s_delay_alu instid0(VALU_DEP_1) | instskip(NEXT) | instid1(VALU_DEP_2)
	v_dual_lshlrev_b32 v1, 24, v3 :: v_dual_lshlrev_b32 v0, 20, v0
	v_lshl_add_u32 v2, v2, 23, 0x3c000000
	s_delay_alu instid0(VALU_DEP_2) | instskip(NEXT) | instid1(VALU_DEP_1)
	v_and_b32_e32 v1, 0x80000000, v1
	v_or3_b32 v3, v0, v1, v2
	v_dual_mov_b32 v1, v5 :: v_dual_mov_b32 v2, v5
	s_clause 0x1
	scratch_store_b64 off, v[0:1], s32 offset:192
	scratch_store_b64 off, v[2:3], s32 offset:1628
.LBB216_3471:                           ;   in Loop: Header=BB216_2096 Depth=1
	s_wait_xcnt 0x0
	s_or_b32 exec_lo, exec_lo, s2
.LBB216_3472:                           ;   in Loop: Header=BB216_2096 Depth=1
	s_delay_alu instid0(SALU_CYCLE_1)
	s_or_b32 exec_lo, exec_lo, s1
.LBB216_3473:                           ;   in Loop: Header=BB216_2096 Depth=1
	s_delay_alu instid0(SALU_CYCLE_1)
	s_or_b32 exec_lo, exec_lo, s0
	flat_load_b32 v2, v[24:25] offset:5504
	v_mov_b64_e32 v[4:5], 0
	s_mov_b32 s0, exec_lo
	scratch_store_b64 off, v[4:5], s32 offset:1644 ; 8-byte Folded Spill
	s_wait_xcnt 0x0
	v_mov_b64_e32 v[4:5], 0
	scratch_store_b64 off, v[4:5], s32 offset:1652 ; 8-byte Folded Spill
	s_wait_loadcnt_dscnt 0x0
	v_and_b32_e32 v0, 0xff, v2
	s_wait_xcnt 0x0
	s_delay_alu instid0(VALU_DEP_1)
	v_cmpx_ne_u16_e32 0, v0
	s_cbranch_execz .LBB216_3481
; %bb.3474:                             ;   in Loop: Header=BB216_2096 Depth=1
	v_cmp_ne_u16_e32 vcc_lo, 0x80, v0
	v_mov_b64_e32 v[0:1], 0x80000000
	scratch_store_b64 off, v[0:1], s32 offset:1652 ; 8-byte Folded Spill
	s_wait_xcnt 0x0
	s_and_saveexec_b32 s1, vcc_lo
	s_cbranch_execz .LBB216_3480
; %bb.3475:                             ;   in Loop: Header=BB216_2096 Depth=1
	v_mov_b64_e32 v[4:5], 0x7f800001
	v_and_b32_e32 v0, 0x7f, v2
	s_mov_b32 s2, exec_lo
	scratch_store_b64 off, v[4:5], s32 offset:1652 ; 8-byte Folded Spill
	s_wait_xcnt 0x0
	v_cmpx_ne_u32_e32 0x7f, v0
	s_cbranch_execz .LBB216_3479
; %bb.3476:                             ;   in Loop: Header=BB216_2096 Depth=1
	scratch_load_b64 v[4:5], off, s32 offset:192 th:TH_LOAD_LU ; 8-byte Folded Reload
	s_wait_loadcnt 0x0
	v_dual_lshrrev_b32 v3, 3, v0 :: v_dual_bitop2_b32 v4, 7, v2 bitop3:0x40
	v_cmp_gt_u32_e32 vcc_lo, 8, v0
	s_delay_alu instid0(VALU_DEP_2)
	v_mov_b64_e32 v[0:1], v[4:5]
	s_wait_xcnt 0x0
	s_and_saveexec_b32 s3, vcc_lo
; %bb.3477:                             ;   in Loop: Header=BB216_2096 Depth=1
	v_clz_i32_u32_e32 v0, v4
	s_delay_alu instid0(VALU_DEP_1) | instskip(NEXT) | instid1(VALU_DEP_1)
	v_min_u32_e32 v3, 32, v0
	v_subrev_nc_u32_e32 v0, 28, v3
	s_delay_alu instid0(VALU_DEP_1) | instskip(NEXT) | instid1(VALU_DEP_1)
	v_lshlrev_b64_e32 v[0:1], v0, v[4:5]
	v_dual_sub_nc_u32 v3, 29, v3 :: v_dual_bitop2_b32 v0, 7, v0 bitop3:0x40
; %bb.3478:                             ;   in Loop: Header=BB216_2096 Depth=1
	s_or_b32 exec_lo, exec_lo, s3
	s_delay_alu instid0(VALU_DEP_1) | instskip(NEXT) | instid1(VALU_DEP_2)
	v_dual_lshlrev_b32 v1, 24, v2 :: v_dual_lshlrev_b32 v0, 20, v0
	v_lshl_add_u32 v3, v3, 23, 0x3c000000
	s_delay_alu instid0(VALU_DEP_2) | instskip(NEXT) | instid1(VALU_DEP_1)
	v_and_b32_e32 v1, 0x80000000, v1
	v_or3_b32 v4, v0, v1, v3
	v_mov_b32_e32 v1, v5
	s_clause 0x1
	scratch_store_b64 off, v[0:1], s32 offset:192
	scratch_store_b64 off, v[4:5], s32 offset:1652
.LBB216_3479:                           ;   in Loop: Header=BB216_2096 Depth=1
	s_wait_xcnt 0x0
	s_or_b32 exec_lo, exec_lo, s2
.LBB216_3480:                           ;   in Loop: Header=BB216_2096 Depth=1
	s_delay_alu instid0(SALU_CYCLE_1)
	s_or_b32 exec_lo, exec_lo, s1
.LBB216_3481:                           ;   in Loop: Header=BB216_2096 Depth=1
	s_delay_alu instid0(SALU_CYCLE_1) | instskip(SKIP_2) | instid1(VALU_DEP_1)
	s_or_b32 exec_lo, exec_lo, s0
	v_lshrrev_b16 v0, 8, v2
	s_mov_b32 s0, exec_lo
	v_cmpx_ne_u16_e32 0, v0
	s_cbranch_execz .LBB216_3489
; %bb.3482:                             ;   in Loop: Header=BB216_2096 Depth=1
	v_mov_b64_e32 v[4:5], 0x8000000000000000
	s_mov_b32 s1, exec_lo
	scratch_store_b64 off, v[4:5], s32 offset:1644 ; 8-byte Folded Spill
	s_wait_xcnt 0x0
	v_cmpx_ne_u16_e32 0x80, v0
	s_cbranch_execz .LBB216_3488
; %bb.3483:                             ;   in Loop: Header=BB216_2096 Depth=1
	v_and_b32_e32 v1, 0xffff, v0
	v_mov_b64_e32 v[4:5], 0x7f80000100000000
	s_mov_b32 s2, exec_lo
	s_delay_alu instid0(VALU_DEP_2)
	v_and_b32_e32 v0, 0x7f, v1
	scratch_store_b64 off, v[4:5], s32 offset:1644 ; 8-byte Folded Spill
	s_wait_xcnt 0x0
	v_cmpx_ne_u32_e32 0x7f, v0
	s_cbranch_execz .LBB216_3487
; %bb.3484:                             ;   in Loop: Header=BB216_2096 Depth=1
	scratch_load_b64 v[4:5], off, s32 offset:192 th:TH_LOAD_LU ; 8-byte Folded Reload
	s_wait_loadcnt 0x0
	v_dual_lshrrev_b32 v3, 3, v0 :: v_dual_bitop2_b32 v4, 7, v1 bitop3:0x40
	v_cmp_gt_u32_e32 vcc_lo, 8, v0
	s_delay_alu instid0(VALU_DEP_2)
	v_mov_b64_e32 v[0:1], v[4:5]
	s_wait_xcnt 0x0
	s_and_saveexec_b32 s3, vcc_lo
; %bb.3485:                             ;   in Loop: Header=BB216_2096 Depth=1
	v_clz_i32_u32_e32 v0, v4
	s_delay_alu instid0(VALU_DEP_1) | instskip(NEXT) | instid1(VALU_DEP_1)
	v_min_u32_e32 v3, 32, v0
	v_subrev_nc_u32_e32 v0, 28, v3
	s_delay_alu instid0(VALU_DEP_1) | instskip(NEXT) | instid1(VALU_DEP_1)
	v_lshlrev_b64_e32 v[0:1], v0, v[4:5]
	v_dual_sub_nc_u32 v3, 29, v3 :: v_dual_bitop2_b32 v0, 7, v0 bitop3:0x40
; %bb.3486:                             ;   in Loop: Header=BB216_2096 Depth=1
	s_or_b32 exec_lo, exec_lo, s3
	s_delay_alu instid0(VALU_DEP_1) | instskip(NEXT) | instid1(VALU_DEP_2)
	v_dual_lshlrev_b32 v1, 16, v2 :: v_dual_lshlrev_b32 v0, 20, v0
	v_lshl_add_u32 v3, v3, 23, 0x3c000000
	v_mov_b32_e32 v6, v5
	s_delay_alu instid0(VALU_DEP_3) | instskip(NEXT) | instid1(VALU_DEP_1)
	v_and_b32_e32 v1, 0x80000000, v1
	v_or3_b32 v7, v0, v1, v3
	v_mov_b32_e32 v1, v5
	s_clause 0x1
	scratch_store_b64 off, v[6:7], s32 offset:1644
	scratch_store_b64 off, v[0:1], s32 offset:192
.LBB216_3487:                           ;   in Loop: Header=BB216_2096 Depth=1
	s_wait_xcnt 0x0
	s_or_b32 exec_lo, exec_lo, s2
.LBB216_3488:                           ;   in Loop: Header=BB216_2096 Depth=1
	s_delay_alu instid0(SALU_CYCLE_1)
	s_or_b32 exec_lo, exec_lo, s1
.LBB216_3489:                           ;   in Loop: Header=BB216_2096 Depth=1
	s_delay_alu instid0(SALU_CYCLE_1) | instskip(SKIP_3) | instid1(VALU_DEP_1)
	s_or_b32 exec_lo, exec_lo, s0
	v_mov_b64_e32 v[4:5], 0
	v_lshrrev_b32_e32 v3, 16, v2
	s_mov_b32 s0, exec_lo
	v_and_b32_e32 v0, 0xff, v3
	scratch_store_b64 off, v[4:5], s32 offset:1660 ; 8-byte Folded Spill
	s_wait_xcnt 0x0
	v_mov_b64_e32 v[4:5], 0
	scratch_store_b64 off, v[4:5], s32 offset:1668 ; 8-byte Folded Spill
	s_wait_xcnt 0x0
	v_cmpx_ne_u16_e32 0, v0
	s_cbranch_execz .LBB216_3497
; %bb.3490:                             ;   in Loop: Header=BB216_2096 Depth=1
	v_cmp_ne_u16_e32 vcc_lo, 0x80, v0
	v_mov_b64_e32 v[0:1], 0x80000000
	scratch_store_b64 off, v[0:1], s32 offset:1668 ; 8-byte Folded Spill
	s_wait_xcnt 0x0
	s_and_saveexec_b32 s1, vcc_lo
	s_cbranch_execz .LBB216_3496
; %bb.3491:                             ;   in Loop: Header=BB216_2096 Depth=1
	v_mov_b64_e32 v[4:5], 0x7f800001
	v_bfe_u32 v0, v2, 16, 7
	s_mov_b32 s2, exec_lo
	scratch_store_b64 off, v[4:5], s32 offset:1668 ; 8-byte Folded Spill
	s_wait_xcnt 0x0
	v_cmpx_ne_u32_e32 0x7f, v0
	s_cbranch_execz .LBB216_3495
; %bb.3492:                             ;   in Loop: Header=BB216_2096 Depth=1
	scratch_load_b64 v[6:7], off, s32 offset:192 th:TH_LOAD_LU ; 8-byte Folded Reload
	s_wait_loadcnt 0x0
	v_dual_lshrrev_b32 v4, 3, v0 :: v_dual_bitop2_b32 v6, 7, v3 bitop3:0x40
	v_cmp_gt_u32_e32 vcc_lo, 8, v0
	s_delay_alu instid0(VALU_DEP_2)
	v_mov_b64_e32 v[0:1], v[6:7]
	s_wait_xcnt 0x0
	s_and_saveexec_b32 s3, vcc_lo
; %bb.3493:                             ;   in Loop: Header=BB216_2096 Depth=1
	v_clz_i32_u32_e32 v0, v6
	s_delay_alu instid0(VALU_DEP_1) | instskip(NEXT) | instid1(VALU_DEP_1)
	v_min_u32_e32 v4, 32, v0
	v_subrev_nc_u32_e32 v0, 28, v4
	v_sub_nc_u32_e32 v4, 29, v4
	s_delay_alu instid0(VALU_DEP_2) | instskip(NEXT) | instid1(VALU_DEP_1)
	v_lshlrev_b64_e32 v[0:1], v0, v[6:7]
	v_and_b32_e32 v0, 7, v0
; %bb.3494:                             ;   in Loop: Header=BB216_2096 Depth=1
	s_or_b32 exec_lo, exec_lo, s3
	s_delay_alu instid0(VALU_DEP_1) | instskip(SKIP_1) | instid1(VALU_DEP_2)
	v_dual_lshlrev_b32 v1, 24, v3 :: v_dual_lshlrev_b32 v0, 20, v0
	v_lshl_add_u32 v3, v4, 23, 0x3c000000
	v_and_b32_e32 v1, 0x80000000, v1
	s_delay_alu instid0(VALU_DEP_1)
	v_or3_b32 v6, v0, v1, v3
	v_mov_b32_e32 v1, v7
	s_clause 0x1
	scratch_store_b64 off, v[0:1], s32 offset:192
	scratch_store_b64 off, v[6:7], s32 offset:1668
.LBB216_3495:                           ;   in Loop: Header=BB216_2096 Depth=1
	s_wait_xcnt 0x0
	s_or_b32 exec_lo, exec_lo, s2
.LBB216_3496:                           ;   in Loop: Header=BB216_2096 Depth=1
	s_delay_alu instid0(SALU_CYCLE_1)
	s_or_b32 exec_lo, exec_lo, s1
.LBB216_3497:                           ;   in Loop: Header=BB216_2096 Depth=1
	s_delay_alu instid0(SALU_CYCLE_1) | instskip(NEXT) | instid1(SALU_CYCLE_1)
	s_or_b32 exec_lo, exec_lo, s0
	s_mov_b32 s0, exec_lo
	v_cmpx_lt_u32_e32 0xffffff, v2
	s_cbranch_execz .LBB216_3505
; %bb.3498:                             ;   in Loop: Header=BB216_2096 Depth=1
	v_mov_b64_e32 v[0:1], 0x8000000000000000
	v_lshrrev_b32_e32 v3, 24, v2
	s_mov_b32 s1, exec_lo
	scratch_store_b64 off, v[0:1], s32 offset:1660 ; 8-byte Folded Spill
	s_wait_xcnt 0x0
	v_cmpx_ne_u32_e32 0x80, v3
	s_cbranch_execz .LBB216_3504
; %bb.3499:                             ;   in Loop: Header=BB216_2096 Depth=1
	v_mov_b64_e32 v[4:5], 0x7f80000100000000
	v_bfe_u32 v0, v2, 24, 7
	s_mov_b32 s2, exec_lo
	scratch_store_b64 off, v[4:5], s32 offset:1660 ; 8-byte Folded Spill
	s_wait_xcnt 0x0
	v_cmpx_ne_u32_e32 0x7f, v0
	s_cbranch_execz .LBB216_3503
; %bb.3500:                             ;   in Loop: Header=BB216_2096 Depth=1
	scratch_load_b64 v[4:5], off, s32 offset:192 th:TH_LOAD_LU ; 8-byte Folded Reload
	s_wait_loadcnt 0x0
	v_dual_lshrrev_b32 v2, 3, v0 :: v_dual_bitop2_b32 v4, 7, v3 bitop3:0x40
	v_cmp_gt_u32_e32 vcc_lo, 8, v0
	s_delay_alu instid0(VALU_DEP_2)
	v_mov_b64_e32 v[0:1], v[4:5]
	s_wait_xcnt 0x0
	s_and_saveexec_b32 s3, vcc_lo
; %bb.3501:                             ;   in Loop: Header=BB216_2096 Depth=1
	v_clz_i32_u32_e32 v0, v4
	s_delay_alu instid0(VALU_DEP_1) | instskip(NEXT) | instid1(VALU_DEP_1)
	v_min_u32_e32 v2, 32, v0
	v_subrev_nc_u32_e32 v0, 28, v2
	s_delay_alu instid0(VALU_DEP_1) | instskip(NEXT) | instid1(VALU_DEP_1)
	v_lshlrev_b64_e32 v[0:1], v0, v[4:5]
	v_dual_sub_nc_u32 v2, 29, v2 :: v_dual_bitop2_b32 v0, 7, v0 bitop3:0x40
; %bb.3502:                             ;   in Loop: Header=BB216_2096 Depth=1
	s_or_b32 exec_lo, exec_lo, s3
	s_delay_alu instid0(VALU_DEP_1) | instskip(NEXT) | instid1(VALU_DEP_2)
	v_dual_lshlrev_b32 v1, 24, v3 :: v_dual_lshlrev_b32 v0, 20, v0
	v_lshl_add_u32 v2, v2, 23, 0x3c000000
	s_delay_alu instid0(VALU_DEP_2) | instskip(NEXT) | instid1(VALU_DEP_1)
	v_and_b32_e32 v1, 0x80000000, v1
	v_or3_b32 v3, v0, v1, v2
	v_dual_mov_b32 v1, v5 :: v_dual_mov_b32 v2, v5
	s_clause 0x1
	scratch_store_b64 off, v[0:1], s32 offset:192
	scratch_store_b64 off, v[2:3], s32 offset:1660
.LBB216_3503:                           ;   in Loop: Header=BB216_2096 Depth=1
	s_wait_xcnt 0x0
	s_or_b32 exec_lo, exec_lo, s2
.LBB216_3504:                           ;   in Loop: Header=BB216_2096 Depth=1
	s_delay_alu instid0(SALU_CYCLE_1)
	s_or_b32 exec_lo, exec_lo, s1
.LBB216_3505:                           ;   in Loop: Header=BB216_2096 Depth=1
	s_delay_alu instid0(SALU_CYCLE_1)
	s_or_b32 exec_lo, exec_lo, s0
	flat_load_b32 v2, v[24:25] offset:5632
	v_mov_b64_e32 v[4:5], 0
	s_mov_b32 s0, exec_lo
	scratch_store_b64 off, v[4:5], s32 offset:1676 ; 8-byte Folded Spill
	s_wait_xcnt 0x0
	v_mov_b64_e32 v[4:5], 0
	scratch_store_b64 off, v[4:5], s32 offset:1684 ; 8-byte Folded Spill
	s_wait_loadcnt_dscnt 0x0
	v_and_b32_e32 v0, 0xff, v2
	s_wait_xcnt 0x0
	s_delay_alu instid0(VALU_DEP_1)
	v_cmpx_ne_u16_e32 0, v0
	s_cbranch_execz .LBB216_3513
; %bb.3506:                             ;   in Loop: Header=BB216_2096 Depth=1
	v_cmp_ne_u16_e32 vcc_lo, 0x80, v0
	v_mov_b64_e32 v[0:1], 0x80000000
	scratch_store_b64 off, v[0:1], s32 offset:1684 ; 8-byte Folded Spill
	s_wait_xcnt 0x0
	s_and_saveexec_b32 s1, vcc_lo
	s_cbranch_execz .LBB216_3512
; %bb.3507:                             ;   in Loop: Header=BB216_2096 Depth=1
	v_mov_b64_e32 v[4:5], 0x7f800001
	v_and_b32_e32 v0, 0x7f, v2
	s_mov_b32 s2, exec_lo
	scratch_store_b64 off, v[4:5], s32 offset:1684 ; 8-byte Folded Spill
	s_wait_xcnt 0x0
	v_cmpx_ne_u32_e32 0x7f, v0
	s_cbranch_execz .LBB216_3511
; %bb.3508:                             ;   in Loop: Header=BB216_2096 Depth=1
	scratch_load_b64 v[4:5], off, s32 offset:192 th:TH_LOAD_LU ; 8-byte Folded Reload
	s_wait_loadcnt 0x0
	v_dual_lshrrev_b32 v3, 3, v0 :: v_dual_bitop2_b32 v4, 7, v2 bitop3:0x40
	v_cmp_gt_u32_e32 vcc_lo, 8, v0
	s_delay_alu instid0(VALU_DEP_2)
	v_mov_b64_e32 v[0:1], v[4:5]
	s_wait_xcnt 0x0
	s_and_saveexec_b32 s3, vcc_lo
; %bb.3509:                             ;   in Loop: Header=BB216_2096 Depth=1
	v_clz_i32_u32_e32 v0, v4
	s_delay_alu instid0(VALU_DEP_1) | instskip(NEXT) | instid1(VALU_DEP_1)
	v_min_u32_e32 v3, 32, v0
	v_subrev_nc_u32_e32 v0, 28, v3
	s_delay_alu instid0(VALU_DEP_1) | instskip(NEXT) | instid1(VALU_DEP_1)
	v_lshlrev_b64_e32 v[0:1], v0, v[4:5]
	v_dual_sub_nc_u32 v3, 29, v3 :: v_dual_bitop2_b32 v0, 7, v0 bitop3:0x40
; %bb.3510:                             ;   in Loop: Header=BB216_2096 Depth=1
	s_or_b32 exec_lo, exec_lo, s3
	s_delay_alu instid0(VALU_DEP_1) | instskip(NEXT) | instid1(VALU_DEP_2)
	v_dual_lshlrev_b32 v1, 24, v2 :: v_dual_lshlrev_b32 v0, 20, v0
	v_lshl_add_u32 v3, v3, 23, 0x3c000000
	s_delay_alu instid0(VALU_DEP_2) | instskip(NEXT) | instid1(VALU_DEP_1)
	v_and_b32_e32 v1, 0x80000000, v1
	v_or3_b32 v4, v0, v1, v3
	v_mov_b32_e32 v1, v5
	s_clause 0x1
	scratch_store_b64 off, v[0:1], s32 offset:192
	scratch_store_b64 off, v[4:5], s32 offset:1684
.LBB216_3511:                           ;   in Loop: Header=BB216_2096 Depth=1
	s_wait_xcnt 0x0
	s_or_b32 exec_lo, exec_lo, s2
.LBB216_3512:                           ;   in Loop: Header=BB216_2096 Depth=1
	s_delay_alu instid0(SALU_CYCLE_1)
	s_or_b32 exec_lo, exec_lo, s1
.LBB216_3513:                           ;   in Loop: Header=BB216_2096 Depth=1
	s_delay_alu instid0(SALU_CYCLE_1) | instskip(SKIP_2) | instid1(VALU_DEP_1)
	s_or_b32 exec_lo, exec_lo, s0
	v_lshrrev_b16 v0, 8, v2
	s_mov_b32 s0, exec_lo
	v_cmpx_ne_u16_e32 0, v0
	s_cbranch_execz .LBB216_3521
; %bb.3514:                             ;   in Loop: Header=BB216_2096 Depth=1
	v_mov_b64_e32 v[4:5], 0x8000000000000000
	s_mov_b32 s1, exec_lo
	scratch_store_b64 off, v[4:5], s32 offset:1676 ; 8-byte Folded Spill
	s_wait_xcnt 0x0
	v_cmpx_ne_u16_e32 0x80, v0
	s_cbranch_execz .LBB216_3520
; %bb.3515:                             ;   in Loop: Header=BB216_2096 Depth=1
	v_and_b32_e32 v1, 0xffff, v0
	v_mov_b64_e32 v[4:5], 0x7f80000100000000
	s_mov_b32 s2, exec_lo
	s_delay_alu instid0(VALU_DEP_2)
	v_and_b32_e32 v0, 0x7f, v1
	scratch_store_b64 off, v[4:5], s32 offset:1676 ; 8-byte Folded Spill
	s_wait_xcnt 0x0
	v_cmpx_ne_u32_e32 0x7f, v0
	s_cbranch_execz .LBB216_3519
; %bb.3516:                             ;   in Loop: Header=BB216_2096 Depth=1
	scratch_load_b64 v[4:5], off, s32 offset:192 th:TH_LOAD_LU ; 8-byte Folded Reload
	s_wait_loadcnt 0x0
	v_dual_lshrrev_b32 v3, 3, v0 :: v_dual_bitop2_b32 v4, 7, v1 bitop3:0x40
	v_cmp_gt_u32_e32 vcc_lo, 8, v0
	s_delay_alu instid0(VALU_DEP_2)
	v_mov_b64_e32 v[0:1], v[4:5]
	s_wait_xcnt 0x0
	s_and_saveexec_b32 s3, vcc_lo
; %bb.3517:                             ;   in Loop: Header=BB216_2096 Depth=1
	v_clz_i32_u32_e32 v0, v4
	s_delay_alu instid0(VALU_DEP_1) | instskip(NEXT) | instid1(VALU_DEP_1)
	v_min_u32_e32 v3, 32, v0
	v_subrev_nc_u32_e32 v0, 28, v3
	s_delay_alu instid0(VALU_DEP_1) | instskip(NEXT) | instid1(VALU_DEP_1)
	v_lshlrev_b64_e32 v[0:1], v0, v[4:5]
	v_dual_sub_nc_u32 v3, 29, v3 :: v_dual_bitop2_b32 v0, 7, v0 bitop3:0x40
; %bb.3518:                             ;   in Loop: Header=BB216_2096 Depth=1
	s_or_b32 exec_lo, exec_lo, s3
	s_delay_alu instid0(VALU_DEP_1) | instskip(NEXT) | instid1(VALU_DEP_2)
	v_dual_lshlrev_b32 v1, 16, v2 :: v_dual_lshlrev_b32 v0, 20, v0
	v_lshl_add_u32 v3, v3, 23, 0x3c000000
	v_mov_b32_e32 v6, v5
	s_delay_alu instid0(VALU_DEP_3) | instskip(NEXT) | instid1(VALU_DEP_1)
	v_and_b32_e32 v1, 0x80000000, v1
	v_or3_b32 v7, v0, v1, v3
	v_mov_b32_e32 v1, v5
	s_clause 0x1
	scratch_store_b64 off, v[6:7], s32 offset:1676
	scratch_store_b64 off, v[0:1], s32 offset:192
.LBB216_3519:                           ;   in Loop: Header=BB216_2096 Depth=1
	s_wait_xcnt 0x0
	s_or_b32 exec_lo, exec_lo, s2
.LBB216_3520:                           ;   in Loop: Header=BB216_2096 Depth=1
	s_delay_alu instid0(SALU_CYCLE_1)
	s_or_b32 exec_lo, exec_lo, s1
.LBB216_3521:                           ;   in Loop: Header=BB216_2096 Depth=1
	s_delay_alu instid0(SALU_CYCLE_1) | instskip(SKIP_3) | instid1(VALU_DEP_1)
	s_or_b32 exec_lo, exec_lo, s0
	v_mov_b64_e32 v[4:5], 0
	v_lshrrev_b32_e32 v3, 16, v2
	s_mov_b32 s0, exec_lo
	v_and_b32_e32 v0, 0xff, v3
	scratch_store_b64 off, v[4:5], s32 offset:1692 ; 8-byte Folded Spill
	s_wait_xcnt 0x0
	v_mov_b64_e32 v[4:5], 0
	scratch_store_b64 off, v[4:5], s32 offset:1700 ; 8-byte Folded Spill
	s_wait_xcnt 0x0
	v_cmpx_ne_u16_e32 0, v0
	s_cbranch_execz .LBB216_3529
; %bb.3522:                             ;   in Loop: Header=BB216_2096 Depth=1
	v_cmp_ne_u16_e32 vcc_lo, 0x80, v0
	v_mov_b64_e32 v[0:1], 0x80000000
	scratch_store_b64 off, v[0:1], s32 offset:1700 ; 8-byte Folded Spill
	s_wait_xcnt 0x0
	s_and_saveexec_b32 s1, vcc_lo
	s_cbranch_execz .LBB216_3528
; %bb.3523:                             ;   in Loop: Header=BB216_2096 Depth=1
	v_mov_b64_e32 v[4:5], 0x7f800001
	v_bfe_u32 v0, v2, 16, 7
	s_mov_b32 s2, exec_lo
	scratch_store_b64 off, v[4:5], s32 offset:1700 ; 8-byte Folded Spill
	s_wait_xcnt 0x0
	v_cmpx_ne_u32_e32 0x7f, v0
	s_cbranch_execz .LBB216_3527
; %bb.3524:                             ;   in Loop: Header=BB216_2096 Depth=1
	scratch_load_b64 v[6:7], off, s32 offset:192 th:TH_LOAD_LU ; 8-byte Folded Reload
	s_wait_loadcnt 0x0
	v_dual_lshrrev_b32 v4, 3, v0 :: v_dual_bitop2_b32 v6, 7, v3 bitop3:0x40
	v_cmp_gt_u32_e32 vcc_lo, 8, v0
	s_delay_alu instid0(VALU_DEP_2)
	v_mov_b64_e32 v[0:1], v[6:7]
	s_wait_xcnt 0x0
	s_and_saveexec_b32 s3, vcc_lo
; %bb.3525:                             ;   in Loop: Header=BB216_2096 Depth=1
	v_clz_i32_u32_e32 v0, v6
	s_delay_alu instid0(VALU_DEP_1) | instskip(NEXT) | instid1(VALU_DEP_1)
	v_min_u32_e32 v4, 32, v0
	v_subrev_nc_u32_e32 v0, 28, v4
	v_sub_nc_u32_e32 v4, 29, v4
	s_delay_alu instid0(VALU_DEP_2) | instskip(NEXT) | instid1(VALU_DEP_1)
	v_lshlrev_b64_e32 v[0:1], v0, v[6:7]
	v_and_b32_e32 v0, 7, v0
; %bb.3526:                             ;   in Loop: Header=BB216_2096 Depth=1
	s_or_b32 exec_lo, exec_lo, s3
	s_delay_alu instid0(VALU_DEP_1) | instskip(SKIP_1) | instid1(VALU_DEP_2)
	v_dual_lshlrev_b32 v1, 24, v3 :: v_dual_lshlrev_b32 v0, 20, v0
	v_lshl_add_u32 v3, v4, 23, 0x3c000000
	v_and_b32_e32 v1, 0x80000000, v1
	s_delay_alu instid0(VALU_DEP_1)
	v_or3_b32 v6, v0, v1, v3
	v_mov_b32_e32 v1, v7
	s_clause 0x1
	scratch_store_b64 off, v[0:1], s32 offset:192
	scratch_store_b64 off, v[6:7], s32 offset:1700
.LBB216_3527:                           ;   in Loop: Header=BB216_2096 Depth=1
	s_wait_xcnt 0x0
	s_or_b32 exec_lo, exec_lo, s2
.LBB216_3528:                           ;   in Loop: Header=BB216_2096 Depth=1
	s_delay_alu instid0(SALU_CYCLE_1)
	s_or_b32 exec_lo, exec_lo, s1
.LBB216_3529:                           ;   in Loop: Header=BB216_2096 Depth=1
	s_delay_alu instid0(SALU_CYCLE_1) | instskip(NEXT) | instid1(SALU_CYCLE_1)
	s_or_b32 exec_lo, exec_lo, s0
	s_mov_b32 s0, exec_lo
	v_cmpx_lt_u32_e32 0xffffff, v2
	s_cbranch_execz .LBB216_3537
; %bb.3530:                             ;   in Loop: Header=BB216_2096 Depth=1
	v_mov_b64_e32 v[0:1], 0x8000000000000000
	v_lshrrev_b32_e32 v3, 24, v2
	s_mov_b32 s1, exec_lo
	scratch_store_b64 off, v[0:1], s32 offset:1692 ; 8-byte Folded Spill
	s_wait_xcnt 0x0
	v_cmpx_ne_u32_e32 0x80, v3
	s_cbranch_execz .LBB216_3536
; %bb.3531:                             ;   in Loop: Header=BB216_2096 Depth=1
	v_mov_b64_e32 v[4:5], 0x7f80000100000000
	v_bfe_u32 v0, v2, 24, 7
	s_mov_b32 s2, exec_lo
	scratch_store_b64 off, v[4:5], s32 offset:1692 ; 8-byte Folded Spill
	s_wait_xcnt 0x0
	v_cmpx_ne_u32_e32 0x7f, v0
	s_cbranch_execz .LBB216_3535
; %bb.3532:                             ;   in Loop: Header=BB216_2096 Depth=1
	scratch_load_b64 v[4:5], off, s32 offset:192 th:TH_LOAD_LU ; 8-byte Folded Reload
	s_wait_loadcnt 0x0
	v_dual_lshrrev_b32 v2, 3, v0 :: v_dual_bitop2_b32 v4, 7, v3 bitop3:0x40
	v_cmp_gt_u32_e32 vcc_lo, 8, v0
	s_delay_alu instid0(VALU_DEP_2)
	v_mov_b64_e32 v[0:1], v[4:5]
	s_wait_xcnt 0x0
	s_and_saveexec_b32 s3, vcc_lo
; %bb.3533:                             ;   in Loop: Header=BB216_2096 Depth=1
	v_clz_i32_u32_e32 v0, v4
	s_delay_alu instid0(VALU_DEP_1) | instskip(NEXT) | instid1(VALU_DEP_1)
	v_min_u32_e32 v2, 32, v0
	v_subrev_nc_u32_e32 v0, 28, v2
	s_delay_alu instid0(VALU_DEP_1) | instskip(NEXT) | instid1(VALU_DEP_1)
	v_lshlrev_b64_e32 v[0:1], v0, v[4:5]
	v_dual_sub_nc_u32 v2, 29, v2 :: v_dual_bitop2_b32 v0, 7, v0 bitop3:0x40
; %bb.3534:                             ;   in Loop: Header=BB216_2096 Depth=1
	s_or_b32 exec_lo, exec_lo, s3
	s_delay_alu instid0(VALU_DEP_1) | instskip(NEXT) | instid1(VALU_DEP_2)
	v_dual_lshlrev_b32 v1, 24, v3 :: v_dual_lshlrev_b32 v0, 20, v0
	v_lshl_add_u32 v2, v2, 23, 0x3c000000
	s_delay_alu instid0(VALU_DEP_2) | instskip(NEXT) | instid1(VALU_DEP_1)
	v_and_b32_e32 v1, 0x80000000, v1
	v_or3_b32 v3, v0, v1, v2
	v_dual_mov_b32 v1, v5 :: v_dual_mov_b32 v2, v5
	s_clause 0x1
	scratch_store_b64 off, v[0:1], s32 offset:192
	scratch_store_b64 off, v[2:3], s32 offset:1692
.LBB216_3535:                           ;   in Loop: Header=BB216_2096 Depth=1
	s_wait_xcnt 0x0
	s_or_b32 exec_lo, exec_lo, s2
.LBB216_3536:                           ;   in Loop: Header=BB216_2096 Depth=1
	s_delay_alu instid0(SALU_CYCLE_1)
	s_or_b32 exec_lo, exec_lo, s1
.LBB216_3537:                           ;   in Loop: Header=BB216_2096 Depth=1
	s_delay_alu instid0(SALU_CYCLE_1)
	s_or_b32 exec_lo, exec_lo, s0
	flat_load_b32 v2, v[24:25] offset:5760
	v_mov_b64_e32 v[4:5], 0
	s_mov_b32 s0, exec_lo
	scratch_store_b64 off, v[4:5], s32 offset:1708 ; 8-byte Folded Spill
	s_wait_xcnt 0x0
	v_mov_b64_e32 v[4:5], 0
	scratch_store_b64 off, v[4:5], s32 offset:1716 ; 8-byte Folded Spill
	s_wait_loadcnt_dscnt 0x0
	v_and_b32_e32 v0, 0xff, v2
	s_wait_xcnt 0x0
	s_delay_alu instid0(VALU_DEP_1)
	v_cmpx_ne_u16_e32 0, v0
	s_cbranch_execz .LBB216_3545
; %bb.3538:                             ;   in Loop: Header=BB216_2096 Depth=1
	v_cmp_ne_u16_e32 vcc_lo, 0x80, v0
	v_mov_b64_e32 v[0:1], 0x80000000
	scratch_store_b64 off, v[0:1], s32 offset:1716 ; 8-byte Folded Spill
	s_wait_xcnt 0x0
	s_and_saveexec_b32 s1, vcc_lo
	s_cbranch_execz .LBB216_3544
; %bb.3539:                             ;   in Loop: Header=BB216_2096 Depth=1
	v_mov_b64_e32 v[4:5], 0x7f800001
	v_and_b32_e32 v0, 0x7f, v2
	s_mov_b32 s2, exec_lo
	scratch_store_b64 off, v[4:5], s32 offset:1716 ; 8-byte Folded Spill
	s_wait_xcnt 0x0
	v_cmpx_ne_u32_e32 0x7f, v0
	s_cbranch_execz .LBB216_3543
; %bb.3540:                             ;   in Loop: Header=BB216_2096 Depth=1
	scratch_load_b64 v[4:5], off, s32 offset:192 th:TH_LOAD_LU ; 8-byte Folded Reload
	s_wait_loadcnt 0x0
	v_dual_lshrrev_b32 v3, 3, v0 :: v_dual_bitop2_b32 v4, 7, v2 bitop3:0x40
	v_cmp_gt_u32_e32 vcc_lo, 8, v0
	s_delay_alu instid0(VALU_DEP_2)
	v_mov_b64_e32 v[0:1], v[4:5]
	s_wait_xcnt 0x0
	s_and_saveexec_b32 s3, vcc_lo
; %bb.3541:                             ;   in Loop: Header=BB216_2096 Depth=1
	v_clz_i32_u32_e32 v0, v4
	s_delay_alu instid0(VALU_DEP_1) | instskip(NEXT) | instid1(VALU_DEP_1)
	v_min_u32_e32 v3, 32, v0
	v_subrev_nc_u32_e32 v0, 28, v3
	s_delay_alu instid0(VALU_DEP_1) | instskip(NEXT) | instid1(VALU_DEP_1)
	v_lshlrev_b64_e32 v[0:1], v0, v[4:5]
	v_dual_sub_nc_u32 v3, 29, v3 :: v_dual_bitop2_b32 v0, 7, v0 bitop3:0x40
; %bb.3542:                             ;   in Loop: Header=BB216_2096 Depth=1
	s_or_b32 exec_lo, exec_lo, s3
	s_delay_alu instid0(VALU_DEP_1) | instskip(NEXT) | instid1(VALU_DEP_2)
	v_dual_lshlrev_b32 v1, 24, v2 :: v_dual_lshlrev_b32 v0, 20, v0
	v_lshl_add_u32 v3, v3, 23, 0x3c000000
	s_delay_alu instid0(VALU_DEP_2) | instskip(NEXT) | instid1(VALU_DEP_1)
	v_and_b32_e32 v1, 0x80000000, v1
	v_or3_b32 v4, v0, v1, v3
	v_mov_b32_e32 v1, v5
	s_clause 0x1
	scratch_store_b64 off, v[0:1], s32 offset:192
	scratch_store_b64 off, v[4:5], s32 offset:1716
.LBB216_3543:                           ;   in Loop: Header=BB216_2096 Depth=1
	s_wait_xcnt 0x0
	s_or_b32 exec_lo, exec_lo, s2
.LBB216_3544:                           ;   in Loop: Header=BB216_2096 Depth=1
	s_delay_alu instid0(SALU_CYCLE_1)
	s_or_b32 exec_lo, exec_lo, s1
.LBB216_3545:                           ;   in Loop: Header=BB216_2096 Depth=1
	s_delay_alu instid0(SALU_CYCLE_1) | instskip(SKIP_2) | instid1(VALU_DEP_1)
	s_or_b32 exec_lo, exec_lo, s0
	v_lshrrev_b16 v0, 8, v2
	s_mov_b32 s0, exec_lo
	v_cmpx_ne_u16_e32 0, v0
	s_cbranch_execz .LBB216_3553
; %bb.3546:                             ;   in Loop: Header=BB216_2096 Depth=1
	v_mov_b64_e32 v[4:5], 0x8000000000000000
	s_mov_b32 s1, exec_lo
	scratch_store_b64 off, v[4:5], s32 offset:1708 ; 8-byte Folded Spill
	s_wait_xcnt 0x0
	v_cmpx_ne_u16_e32 0x80, v0
	s_cbranch_execz .LBB216_3552
; %bb.3547:                             ;   in Loop: Header=BB216_2096 Depth=1
	v_and_b32_e32 v1, 0xffff, v0
	v_mov_b64_e32 v[4:5], 0x7f80000100000000
	s_mov_b32 s2, exec_lo
	s_delay_alu instid0(VALU_DEP_2)
	v_and_b32_e32 v0, 0x7f, v1
	scratch_store_b64 off, v[4:5], s32 offset:1708 ; 8-byte Folded Spill
	s_wait_xcnt 0x0
	v_cmpx_ne_u32_e32 0x7f, v0
	s_cbranch_execz .LBB216_3551
; %bb.3548:                             ;   in Loop: Header=BB216_2096 Depth=1
	scratch_load_b64 v[4:5], off, s32 offset:192 th:TH_LOAD_LU ; 8-byte Folded Reload
	s_wait_loadcnt 0x0
	v_dual_lshrrev_b32 v3, 3, v0 :: v_dual_bitop2_b32 v4, 7, v1 bitop3:0x40
	v_cmp_gt_u32_e32 vcc_lo, 8, v0
	s_delay_alu instid0(VALU_DEP_2)
	v_mov_b64_e32 v[0:1], v[4:5]
	s_wait_xcnt 0x0
	s_and_saveexec_b32 s3, vcc_lo
; %bb.3549:                             ;   in Loop: Header=BB216_2096 Depth=1
	v_clz_i32_u32_e32 v0, v4
	s_delay_alu instid0(VALU_DEP_1) | instskip(NEXT) | instid1(VALU_DEP_1)
	v_min_u32_e32 v3, 32, v0
	v_subrev_nc_u32_e32 v0, 28, v3
	s_delay_alu instid0(VALU_DEP_1) | instskip(NEXT) | instid1(VALU_DEP_1)
	v_lshlrev_b64_e32 v[0:1], v0, v[4:5]
	v_dual_sub_nc_u32 v3, 29, v3 :: v_dual_bitop2_b32 v0, 7, v0 bitop3:0x40
; %bb.3550:                             ;   in Loop: Header=BB216_2096 Depth=1
	s_or_b32 exec_lo, exec_lo, s3
	s_delay_alu instid0(VALU_DEP_1) | instskip(NEXT) | instid1(VALU_DEP_2)
	v_dual_lshlrev_b32 v1, 16, v2 :: v_dual_lshlrev_b32 v0, 20, v0
	v_lshl_add_u32 v3, v3, 23, 0x3c000000
	v_mov_b32_e32 v6, v5
	s_delay_alu instid0(VALU_DEP_3) | instskip(NEXT) | instid1(VALU_DEP_1)
	v_and_b32_e32 v1, 0x80000000, v1
	v_or3_b32 v7, v0, v1, v3
	v_mov_b32_e32 v1, v5
	s_clause 0x1
	scratch_store_b64 off, v[6:7], s32 offset:1708
	scratch_store_b64 off, v[0:1], s32 offset:192
.LBB216_3551:                           ;   in Loop: Header=BB216_2096 Depth=1
	s_wait_xcnt 0x0
	s_or_b32 exec_lo, exec_lo, s2
.LBB216_3552:                           ;   in Loop: Header=BB216_2096 Depth=1
	s_delay_alu instid0(SALU_CYCLE_1)
	s_or_b32 exec_lo, exec_lo, s1
.LBB216_3553:                           ;   in Loop: Header=BB216_2096 Depth=1
	s_delay_alu instid0(SALU_CYCLE_1) | instskip(SKIP_3) | instid1(VALU_DEP_1)
	s_or_b32 exec_lo, exec_lo, s0
	v_mov_b64_e32 v[4:5], 0
	v_lshrrev_b32_e32 v3, 16, v2
	s_mov_b32 s0, exec_lo
	v_and_b32_e32 v0, 0xff, v3
	scratch_store_b64 off, v[4:5], s32 offset:1724 ; 8-byte Folded Spill
	s_wait_xcnt 0x0
	v_mov_b64_e32 v[4:5], 0
	scratch_store_b64 off, v[4:5], s32 offset:1732 ; 8-byte Folded Spill
	s_wait_xcnt 0x0
	v_cmpx_ne_u16_e32 0, v0
	s_cbranch_execz .LBB216_3561
; %bb.3554:                             ;   in Loop: Header=BB216_2096 Depth=1
	v_cmp_ne_u16_e32 vcc_lo, 0x80, v0
	v_mov_b64_e32 v[0:1], 0x80000000
	scratch_store_b64 off, v[0:1], s32 offset:1732 ; 8-byte Folded Spill
	s_wait_xcnt 0x0
	s_and_saveexec_b32 s1, vcc_lo
	s_cbranch_execz .LBB216_3560
; %bb.3555:                             ;   in Loop: Header=BB216_2096 Depth=1
	v_mov_b64_e32 v[4:5], 0x7f800001
	v_bfe_u32 v0, v2, 16, 7
	s_mov_b32 s2, exec_lo
	scratch_store_b64 off, v[4:5], s32 offset:1732 ; 8-byte Folded Spill
	s_wait_xcnt 0x0
	v_cmpx_ne_u32_e32 0x7f, v0
	s_cbranch_execz .LBB216_3559
; %bb.3556:                             ;   in Loop: Header=BB216_2096 Depth=1
	scratch_load_b64 v[6:7], off, s32 offset:192 th:TH_LOAD_LU ; 8-byte Folded Reload
	s_wait_loadcnt 0x0
	v_dual_lshrrev_b32 v4, 3, v0 :: v_dual_bitop2_b32 v6, 7, v3 bitop3:0x40
	v_cmp_gt_u32_e32 vcc_lo, 8, v0
	s_delay_alu instid0(VALU_DEP_2)
	v_mov_b64_e32 v[0:1], v[6:7]
	s_wait_xcnt 0x0
	s_and_saveexec_b32 s3, vcc_lo
; %bb.3557:                             ;   in Loop: Header=BB216_2096 Depth=1
	v_clz_i32_u32_e32 v0, v6
	s_delay_alu instid0(VALU_DEP_1) | instskip(NEXT) | instid1(VALU_DEP_1)
	v_min_u32_e32 v4, 32, v0
	v_subrev_nc_u32_e32 v0, 28, v4
	v_sub_nc_u32_e32 v4, 29, v4
	s_delay_alu instid0(VALU_DEP_2) | instskip(NEXT) | instid1(VALU_DEP_1)
	v_lshlrev_b64_e32 v[0:1], v0, v[6:7]
	v_and_b32_e32 v0, 7, v0
; %bb.3558:                             ;   in Loop: Header=BB216_2096 Depth=1
	s_or_b32 exec_lo, exec_lo, s3
	s_delay_alu instid0(VALU_DEP_1) | instskip(SKIP_1) | instid1(VALU_DEP_2)
	v_dual_lshlrev_b32 v1, 24, v3 :: v_dual_lshlrev_b32 v0, 20, v0
	v_lshl_add_u32 v3, v4, 23, 0x3c000000
	v_and_b32_e32 v1, 0x80000000, v1
	s_delay_alu instid0(VALU_DEP_1)
	v_or3_b32 v6, v0, v1, v3
	v_mov_b32_e32 v1, v7
	s_clause 0x1
	scratch_store_b64 off, v[0:1], s32 offset:192
	scratch_store_b64 off, v[6:7], s32 offset:1732
.LBB216_3559:                           ;   in Loop: Header=BB216_2096 Depth=1
	s_wait_xcnt 0x0
	s_or_b32 exec_lo, exec_lo, s2
.LBB216_3560:                           ;   in Loop: Header=BB216_2096 Depth=1
	s_delay_alu instid0(SALU_CYCLE_1)
	s_or_b32 exec_lo, exec_lo, s1
.LBB216_3561:                           ;   in Loop: Header=BB216_2096 Depth=1
	s_delay_alu instid0(SALU_CYCLE_1) | instskip(NEXT) | instid1(SALU_CYCLE_1)
	s_or_b32 exec_lo, exec_lo, s0
	s_mov_b32 s0, exec_lo
	v_cmpx_lt_u32_e32 0xffffff, v2
	s_cbranch_execz .LBB216_3569
; %bb.3562:                             ;   in Loop: Header=BB216_2096 Depth=1
	v_mov_b64_e32 v[0:1], 0x8000000000000000
	v_lshrrev_b32_e32 v3, 24, v2
	s_mov_b32 s1, exec_lo
	scratch_store_b64 off, v[0:1], s32 offset:1724 ; 8-byte Folded Spill
	s_wait_xcnt 0x0
	v_cmpx_ne_u32_e32 0x80, v3
	s_cbranch_execz .LBB216_3568
; %bb.3563:                             ;   in Loop: Header=BB216_2096 Depth=1
	v_mov_b64_e32 v[4:5], 0x7f80000100000000
	v_bfe_u32 v0, v2, 24, 7
	s_mov_b32 s2, exec_lo
	scratch_store_b64 off, v[4:5], s32 offset:1724 ; 8-byte Folded Spill
	s_wait_xcnt 0x0
	v_cmpx_ne_u32_e32 0x7f, v0
	s_cbranch_execz .LBB216_3567
; %bb.3564:                             ;   in Loop: Header=BB216_2096 Depth=1
	scratch_load_b64 v[4:5], off, s32 offset:192 th:TH_LOAD_LU ; 8-byte Folded Reload
	s_wait_loadcnt 0x0
	v_dual_lshrrev_b32 v2, 3, v0 :: v_dual_bitop2_b32 v4, 7, v3 bitop3:0x40
	v_cmp_gt_u32_e32 vcc_lo, 8, v0
	s_delay_alu instid0(VALU_DEP_2)
	v_mov_b64_e32 v[0:1], v[4:5]
	s_wait_xcnt 0x0
	s_and_saveexec_b32 s3, vcc_lo
; %bb.3565:                             ;   in Loop: Header=BB216_2096 Depth=1
	v_clz_i32_u32_e32 v0, v4
	s_delay_alu instid0(VALU_DEP_1) | instskip(NEXT) | instid1(VALU_DEP_1)
	v_min_u32_e32 v2, 32, v0
	v_subrev_nc_u32_e32 v0, 28, v2
	s_delay_alu instid0(VALU_DEP_1) | instskip(NEXT) | instid1(VALU_DEP_1)
	v_lshlrev_b64_e32 v[0:1], v0, v[4:5]
	v_dual_sub_nc_u32 v2, 29, v2 :: v_dual_bitop2_b32 v0, 7, v0 bitop3:0x40
; %bb.3566:                             ;   in Loop: Header=BB216_2096 Depth=1
	s_or_b32 exec_lo, exec_lo, s3
	s_delay_alu instid0(VALU_DEP_1) | instskip(NEXT) | instid1(VALU_DEP_2)
	v_dual_lshlrev_b32 v1, 24, v3 :: v_dual_lshlrev_b32 v0, 20, v0
	v_lshl_add_u32 v2, v2, 23, 0x3c000000
	s_delay_alu instid0(VALU_DEP_2) | instskip(NEXT) | instid1(VALU_DEP_1)
	v_and_b32_e32 v1, 0x80000000, v1
	v_or3_b32 v3, v0, v1, v2
	v_dual_mov_b32 v1, v5 :: v_dual_mov_b32 v2, v5
	s_clause 0x1
	scratch_store_b64 off, v[0:1], s32 offset:192
	scratch_store_b64 off, v[2:3], s32 offset:1724
.LBB216_3567:                           ;   in Loop: Header=BB216_2096 Depth=1
	s_wait_xcnt 0x0
	s_or_b32 exec_lo, exec_lo, s2
.LBB216_3568:                           ;   in Loop: Header=BB216_2096 Depth=1
	s_delay_alu instid0(SALU_CYCLE_1)
	s_or_b32 exec_lo, exec_lo, s1
.LBB216_3569:                           ;   in Loop: Header=BB216_2096 Depth=1
	s_delay_alu instid0(SALU_CYCLE_1)
	s_or_b32 exec_lo, exec_lo, s0
	flat_load_b32 v2, v[24:25] offset:5888
	v_mov_b64_e32 v[4:5], 0
	s_mov_b32 s0, exec_lo
	scratch_store_b64 off, v[4:5], s32 offset:1740 ; 8-byte Folded Spill
	s_wait_xcnt 0x0
	v_mov_b64_e32 v[4:5], 0
	scratch_store_b64 off, v[4:5], s32 offset:1748 ; 8-byte Folded Spill
	s_wait_loadcnt_dscnt 0x0
	v_and_b32_e32 v0, 0xff, v2
	s_wait_xcnt 0x0
	s_delay_alu instid0(VALU_DEP_1)
	v_cmpx_ne_u16_e32 0, v0
	s_cbranch_execz .LBB216_3577
; %bb.3570:                             ;   in Loop: Header=BB216_2096 Depth=1
	v_cmp_ne_u16_e32 vcc_lo, 0x80, v0
	v_mov_b64_e32 v[0:1], 0x80000000
	scratch_store_b64 off, v[0:1], s32 offset:1748 ; 8-byte Folded Spill
	s_wait_xcnt 0x0
	s_and_saveexec_b32 s1, vcc_lo
	s_cbranch_execz .LBB216_3576
; %bb.3571:                             ;   in Loop: Header=BB216_2096 Depth=1
	v_mov_b64_e32 v[4:5], 0x7f800001
	v_and_b32_e32 v0, 0x7f, v2
	s_mov_b32 s2, exec_lo
	scratch_store_b64 off, v[4:5], s32 offset:1748 ; 8-byte Folded Spill
	s_wait_xcnt 0x0
	v_cmpx_ne_u32_e32 0x7f, v0
	s_cbranch_execz .LBB216_3575
; %bb.3572:                             ;   in Loop: Header=BB216_2096 Depth=1
	scratch_load_b64 v[4:5], off, s32 offset:192 th:TH_LOAD_LU ; 8-byte Folded Reload
	s_wait_loadcnt 0x0
	v_dual_lshrrev_b32 v3, 3, v0 :: v_dual_bitop2_b32 v4, 7, v2 bitop3:0x40
	v_cmp_gt_u32_e32 vcc_lo, 8, v0
	s_delay_alu instid0(VALU_DEP_2)
	v_mov_b64_e32 v[0:1], v[4:5]
	s_wait_xcnt 0x0
	s_and_saveexec_b32 s3, vcc_lo
; %bb.3573:                             ;   in Loop: Header=BB216_2096 Depth=1
	v_clz_i32_u32_e32 v0, v4
	s_delay_alu instid0(VALU_DEP_1) | instskip(NEXT) | instid1(VALU_DEP_1)
	v_min_u32_e32 v3, 32, v0
	v_subrev_nc_u32_e32 v0, 28, v3
	s_delay_alu instid0(VALU_DEP_1) | instskip(NEXT) | instid1(VALU_DEP_1)
	v_lshlrev_b64_e32 v[0:1], v0, v[4:5]
	v_dual_sub_nc_u32 v3, 29, v3 :: v_dual_bitop2_b32 v0, 7, v0 bitop3:0x40
; %bb.3574:                             ;   in Loop: Header=BB216_2096 Depth=1
	s_or_b32 exec_lo, exec_lo, s3
	s_delay_alu instid0(VALU_DEP_1) | instskip(NEXT) | instid1(VALU_DEP_2)
	v_dual_lshlrev_b32 v1, 24, v2 :: v_dual_lshlrev_b32 v0, 20, v0
	v_lshl_add_u32 v3, v3, 23, 0x3c000000
	s_delay_alu instid0(VALU_DEP_2) | instskip(NEXT) | instid1(VALU_DEP_1)
	v_and_b32_e32 v1, 0x80000000, v1
	v_or3_b32 v4, v0, v1, v3
	v_mov_b32_e32 v1, v5
	s_clause 0x1
	scratch_store_b64 off, v[0:1], s32 offset:192
	scratch_store_b64 off, v[4:5], s32 offset:1748
.LBB216_3575:                           ;   in Loop: Header=BB216_2096 Depth=1
	s_wait_xcnt 0x0
	s_or_b32 exec_lo, exec_lo, s2
.LBB216_3576:                           ;   in Loop: Header=BB216_2096 Depth=1
	s_delay_alu instid0(SALU_CYCLE_1)
	s_or_b32 exec_lo, exec_lo, s1
.LBB216_3577:                           ;   in Loop: Header=BB216_2096 Depth=1
	s_delay_alu instid0(SALU_CYCLE_1) | instskip(SKIP_2) | instid1(VALU_DEP_1)
	s_or_b32 exec_lo, exec_lo, s0
	v_lshrrev_b16 v0, 8, v2
	s_mov_b32 s0, exec_lo
	v_cmpx_ne_u16_e32 0, v0
	s_cbranch_execz .LBB216_3585
; %bb.3578:                             ;   in Loop: Header=BB216_2096 Depth=1
	v_mov_b64_e32 v[4:5], 0x8000000000000000
	s_mov_b32 s1, exec_lo
	scratch_store_b64 off, v[4:5], s32 offset:1740 ; 8-byte Folded Spill
	s_wait_xcnt 0x0
	v_cmpx_ne_u16_e32 0x80, v0
	s_cbranch_execz .LBB216_3584
; %bb.3579:                             ;   in Loop: Header=BB216_2096 Depth=1
	v_and_b32_e32 v1, 0xffff, v0
	v_mov_b64_e32 v[4:5], 0x7f80000100000000
	s_mov_b32 s2, exec_lo
	s_delay_alu instid0(VALU_DEP_2)
	v_and_b32_e32 v0, 0x7f, v1
	scratch_store_b64 off, v[4:5], s32 offset:1740 ; 8-byte Folded Spill
	s_wait_xcnt 0x0
	v_cmpx_ne_u32_e32 0x7f, v0
	s_cbranch_execz .LBB216_3583
; %bb.3580:                             ;   in Loop: Header=BB216_2096 Depth=1
	scratch_load_b64 v[4:5], off, s32 offset:192 th:TH_LOAD_LU ; 8-byte Folded Reload
	s_wait_loadcnt 0x0
	v_dual_lshrrev_b32 v3, 3, v0 :: v_dual_bitop2_b32 v4, 7, v1 bitop3:0x40
	v_cmp_gt_u32_e32 vcc_lo, 8, v0
	s_delay_alu instid0(VALU_DEP_2)
	v_mov_b64_e32 v[0:1], v[4:5]
	s_wait_xcnt 0x0
	s_and_saveexec_b32 s3, vcc_lo
; %bb.3581:                             ;   in Loop: Header=BB216_2096 Depth=1
	v_clz_i32_u32_e32 v0, v4
	s_delay_alu instid0(VALU_DEP_1) | instskip(NEXT) | instid1(VALU_DEP_1)
	v_min_u32_e32 v3, 32, v0
	v_subrev_nc_u32_e32 v0, 28, v3
	s_delay_alu instid0(VALU_DEP_1) | instskip(NEXT) | instid1(VALU_DEP_1)
	v_lshlrev_b64_e32 v[0:1], v0, v[4:5]
	v_dual_sub_nc_u32 v3, 29, v3 :: v_dual_bitop2_b32 v0, 7, v0 bitop3:0x40
; %bb.3582:                             ;   in Loop: Header=BB216_2096 Depth=1
	s_or_b32 exec_lo, exec_lo, s3
	s_delay_alu instid0(VALU_DEP_1) | instskip(NEXT) | instid1(VALU_DEP_2)
	v_dual_lshlrev_b32 v1, 16, v2 :: v_dual_lshlrev_b32 v0, 20, v0
	v_lshl_add_u32 v3, v3, 23, 0x3c000000
	v_mov_b32_e32 v6, v5
	s_delay_alu instid0(VALU_DEP_3) | instskip(NEXT) | instid1(VALU_DEP_1)
	v_and_b32_e32 v1, 0x80000000, v1
	v_or3_b32 v7, v0, v1, v3
	v_mov_b32_e32 v1, v5
	s_clause 0x1
	scratch_store_b64 off, v[6:7], s32 offset:1740
	scratch_store_b64 off, v[0:1], s32 offset:192
.LBB216_3583:                           ;   in Loop: Header=BB216_2096 Depth=1
	s_wait_xcnt 0x0
	s_or_b32 exec_lo, exec_lo, s2
.LBB216_3584:                           ;   in Loop: Header=BB216_2096 Depth=1
	s_delay_alu instid0(SALU_CYCLE_1)
	s_or_b32 exec_lo, exec_lo, s1
.LBB216_3585:                           ;   in Loop: Header=BB216_2096 Depth=1
	s_delay_alu instid0(SALU_CYCLE_1) | instskip(SKIP_3) | instid1(VALU_DEP_1)
	s_or_b32 exec_lo, exec_lo, s0
	v_mov_b64_e32 v[4:5], 0
	v_lshrrev_b32_e32 v3, 16, v2
	s_mov_b32 s0, exec_lo
	v_and_b32_e32 v0, 0xff, v3
	scratch_store_b64 off, v[4:5], s32 offset:1756 ; 8-byte Folded Spill
	s_wait_xcnt 0x0
	v_mov_b64_e32 v[4:5], 0
	scratch_store_b64 off, v[4:5], s32 offset:1764 ; 8-byte Folded Spill
	s_wait_xcnt 0x0
	v_cmpx_ne_u16_e32 0, v0
	s_cbranch_execz .LBB216_3593
; %bb.3586:                             ;   in Loop: Header=BB216_2096 Depth=1
	v_cmp_ne_u16_e32 vcc_lo, 0x80, v0
	v_mov_b64_e32 v[0:1], 0x80000000
	scratch_store_b64 off, v[0:1], s32 offset:1764 ; 8-byte Folded Spill
	s_wait_xcnt 0x0
	s_and_saveexec_b32 s1, vcc_lo
	s_cbranch_execz .LBB216_3592
; %bb.3587:                             ;   in Loop: Header=BB216_2096 Depth=1
	v_mov_b64_e32 v[4:5], 0x7f800001
	v_bfe_u32 v0, v2, 16, 7
	s_mov_b32 s2, exec_lo
	scratch_store_b64 off, v[4:5], s32 offset:1764 ; 8-byte Folded Spill
	s_wait_xcnt 0x0
	v_cmpx_ne_u32_e32 0x7f, v0
	s_cbranch_execz .LBB216_3591
; %bb.3588:                             ;   in Loop: Header=BB216_2096 Depth=1
	scratch_load_b64 v[6:7], off, s32 offset:192 th:TH_LOAD_LU ; 8-byte Folded Reload
	s_wait_loadcnt 0x0
	v_dual_lshrrev_b32 v4, 3, v0 :: v_dual_bitop2_b32 v6, 7, v3 bitop3:0x40
	v_cmp_gt_u32_e32 vcc_lo, 8, v0
	s_delay_alu instid0(VALU_DEP_2)
	v_mov_b64_e32 v[0:1], v[6:7]
	s_wait_xcnt 0x0
	s_and_saveexec_b32 s3, vcc_lo
; %bb.3589:                             ;   in Loop: Header=BB216_2096 Depth=1
	v_clz_i32_u32_e32 v0, v6
	s_delay_alu instid0(VALU_DEP_1) | instskip(NEXT) | instid1(VALU_DEP_1)
	v_min_u32_e32 v4, 32, v0
	v_subrev_nc_u32_e32 v0, 28, v4
	v_sub_nc_u32_e32 v4, 29, v4
	s_delay_alu instid0(VALU_DEP_2) | instskip(NEXT) | instid1(VALU_DEP_1)
	v_lshlrev_b64_e32 v[0:1], v0, v[6:7]
	v_and_b32_e32 v0, 7, v0
; %bb.3590:                             ;   in Loop: Header=BB216_2096 Depth=1
	s_or_b32 exec_lo, exec_lo, s3
	s_delay_alu instid0(VALU_DEP_1) | instskip(SKIP_1) | instid1(VALU_DEP_2)
	v_dual_lshlrev_b32 v1, 24, v3 :: v_dual_lshlrev_b32 v0, 20, v0
	v_lshl_add_u32 v3, v4, 23, 0x3c000000
	v_and_b32_e32 v1, 0x80000000, v1
	s_delay_alu instid0(VALU_DEP_1)
	v_or3_b32 v6, v0, v1, v3
	v_mov_b32_e32 v1, v7
	s_clause 0x1
	scratch_store_b64 off, v[0:1], s32 offset:192
	scratch_store_b64 off, v[6:7], s32 offset:1764
.LBB216_3591:                           ;   in Loop: Header=BB216_2096 Depth=1
	s_wait_xcnt 0x0
	s_or_b32 exec_lo, exec_lo, s2
.LBB216_3592:                           ;   in Loop: Header=BB216_2096 Depth=1
	s_delay_alu instid0(SALU_CYCLE_1)
	s_or_b32 exec_lo, exec_lo, s1
.LBB216_3593:                           ;   in Loop: Header=BB216_2096 Depth=1
	s_delay_alu instid0(SALU_CYCLE_1) | instskip(NEXT) | instid1(SALU_CYCLE_1)
	s_or_b32 exec_lo, exec_lo, s0
	s_mov_b32 s0, exec_lo
	v_cmpx_lt_u32_e32 0xffffff, v2
	s_cbranch_execz .LBB216_3601
; %bb.3594:                             ;   in Loop: Header=BB216_2096 Depth=1
	v_mov_b64_e32 v[0:1], 0x8000000000000000
	v_lshrrev_b32_e32 v3, 24, v2
	s_mov_b32 s1, exec_lo
	scratch_store_b64 off, v[0:1], s32 offset:1756 ; 8-byte Folded Spill
	s_wait_xcnt 0x0
	v_cmpx_ne_u32_e32 0x80, v3
	s_cbranch_execz .LBB216_3600
; %bb.3595:                             ;   in Loop: Header=BB216_2096 Depth=1
	v_mov_b64_e32 v[4:5], 0x7f80000100000000
	v_bfe_u32 v0, v2, 24, 7
	s_mov_b32 s2, exec_lo
	scratch_store_b64 off, v[4:5], s32 offset:1756 ; 8-byte Folded Spill
	s_wait_xcnt 0x0
	v_cmpx_ne_u32_e32 0x7f, v0
	s_cbranch_execz .LBB216_3599
; %bb.3596:                             ;   in Loop: Header=BB216_2096 Depth=1
	scratch_load_b64 v[4:5], off, s32 offset:192 th:TH_LOAD_LU ; 8-byte Folded Reload
	s_wait_loadcnt 0x0
	v_dual_lshrrev_b32 v2, 3, v0 :: v_dual_bitop2_b32 v4, 7, v3 bitop3:0x40
	v_cmp_gt_u32_e32 vcc_lo, 8, v0
	s_delay_alu instid0(VALU_DEP_2)
	v_mov_b64_e32 v[0:1], v[4:5]
	s_wait_xcnt 0x0
	s_and_saveexec_b32 s3, vcc_lo
; %bb.3597:                             ;   in Loop: Header=BB216_2096 Depth=1
	v_clz_i32_u32_e32 v0, v4
	s_delay_alu instid0(VALU_DEP_1) | instskip(NEXT) | instid1(VALU_DEP_1)
	v_min_u32_e32 v2, 32, v0
	v_subrev_nc_u32_e32 v0, 28, v2
	s_delay_alu instid0(VALU_DEP_1) | instskip(NEXT) | instid1(VALU_DEP_1)
	v_lshlrev_b64_e32 v[0:1], v0, v[4:5]
	v_dual_sub_nc_u32 v2, 29, v2 :: v_dual_bitop2_b32 v0, 7, v0 bitop3:0x40
; %bb.3598:                             ;   in Loop: Header=BB216_2096 Depth=1
	s_or_b32 exec_lo, exec_lo, s3
	s_delay_alu instid0(VALU_DEP_1) | instskip(NEXT) | instid1(VALU_DEP_2)
	v_dual_lshlrev_b32 v1, 24, v3 :: v_dual_lshlrev_b32 v0, 20, v0
	v_lshl_add_u32 v2, v2, 23, 0x3c000000
	s_delay_alu instid0(VALU_DEP_2) | instskip(NEXT) | instid1(VALU_DEP_1)
	v_and_b32_e32 v1, 0x80000000, v1
	v_or3_b32 v3, v0, v1, v2
	v_dual_mov_b32 v1, v5 :: v_dual_mov_b32 v2, v5
	s_clause 0x1
	scratch_store_b64 off, v[0:1], s32 offset:192
	scratch_store_b64 off, v[2:3], s32 offset:1756
.LBB216_3599:                           ;   in Loop: Header=BB216_2096 Depth=1
	s_wait_xcnt 0x0
	s_or_b32 exec_lo, exec_lo, s2
.LBB216_3600:                           ;   in Loop: Header=BB216_2096 Depth=1
	s_delay_alu instid0(SALU_CYCLE_1)
	s_or_b32 exec_lo, exec_lo, s1
.LBB216_3601:                           ;   in Loop: Header=BB216_2096 Depth=1
	s_delay_alu instid0(SALU_CYCLE_1)
	s_or_b32 exec_lo, exec_lo, s0
	flat_load_b32 v2, v[24:25] offset:6016
	v_mov_b64_e32 v[4:5], 0
	s_mov_b32 s0, exec_lo
	scratch_store_b64 off, v[4:5], s32 offset:1772 ; 8-byte Folded Spill
	s_wait_xcnt 0x0
	v_mov_b64_e32 v[4:5], 0
	scratch_store_b64 off, v[4:5], s32 offset:1780 ; 8-byte Folded Spill
	s_wait_loadcnt_dscnt 0x0
	v_and_b32_e32 v0, 0xff, v2
	s_wait_xcnt 0x0
	s_delay_alu instid0(VALU_DEP_1)
	v_cmpx_ne_u16_e32 0, v0
	s_cbranch_execz .LBB216_3609
; %bb.3602:                             ;   in Loop: Header=BB216_2096 Depth=1
	v_cmp_ne_u16_e32 vcc_lo, 0x80, v0
	v_mov_b64_e32 v[0:1], 0x80000000
	scratch_store_b64 off, v[0:1], s32 offset:1780 ; 8-byte Folded Spill
	s_wait_xcnt 0x0
	s_and_saveexec_b32 s1, vcc_lo
	s_cbranch_execz .LBB216_3608
; %bb.3603:                             ;   in Loop: Header=BB216_2096 Depth=1
	v_mov_b64_e32 v[4:5], 0x7f800001
	v_and_b32_e32 v0, 0x7f, v2
	s_mov_b32 s2, exec_lo
	scratch_store_b64 off, v[4:5], s32 offset:1780 ; 8-byte Folded Spill
	s_wait_xcnt 0x0
	v_cmpx_ne_u32_e32 0x7f, v0
	s_cbranch_execz .LBB216_3607
; %bb.3604:                             ;   in Loop: Header=BB216_2096 Depth=1
	scratch_load_b64 v[4:5], off, s32 offset:192 th:TH_LOAD_LU ; 8-byte Folded Reload
	s_wait_loadcnt 0x0
	v_dual_lshrrev_b32 v3, 3, v0 :: v_dual_bitop2_b32 v4, 7, v2 bitop3:0x40
	v_cmp_gt_u32_e32 vcc_lo, 8, v0
	s_delay_alu instid0(VALU_DEP_2)
	v_mov_b64_e32 v[0:1], v[4:5]
	s_wait_xcnt 0x0
	s_and_saveexec_b32 s3, vcc_lo
; %bb.3605:                             ;   in Loop: Header=BB216_2096 Depth=1
	v_clz_i32_u32_e32 v0, v4
	s_delay_alu instid0(VALU_DEP_1) | instskip(NEXT) | instid1(VALU_DEP_1)
	v_min_u32_e32 v3, 32, v0
	v_subrev_nc_u32_e32 v0, 28, v3
	s_delay_alu instid0(VALU_DEP_1) | instskip(NEXT) | instid1(VALU_DEP_1)
	v_lshlrev_b64_e32 v[0:1], v0, v[4:5]
	v_dual_sub_nc_u32 v3, 29, v3 :: v_dual_bitop2_b32 v0, 7, v0 bitop3:0x40
; %bb.3606:                             ;   in Loop: Header=BB216_2096 Depth=1
	s_or_b32 exec_lo, exec_lo, s3
	s_delay_alu instid0(VALU_DEP_1) | instskip(NEXT) | instid1(VALU_DEP_2)
	v_dual_lshlrev_b32 v1, 24, v2 :: v_dual_lshlrev_b32 v0, 20, v0
	v_lshl_add_u32 v3, v3, 23, 0x3c000000
	s_delay_alu instid0(VALU_DEP_2) | instskip(NEXT) | instid1(VALU_DEP_1)
	v_and_b32_e32 v1, 0x80000000, v1
	v_or3_b32 v4, v0, v1, v3
	v_mov_b32_e32 v1, v5
	s_clause 0x1
	scratch_store_b64 off, v[0:1], s32 offset:192
	scratch_store_b64 off, v[4:5], s32 offset:1780
.LBB216_3607:                           ;   in Loop: Header=BB216_2096 Depth=1
	s_wait_xcnt 0x0
	s_or_b32 exec_lo, exec_lo, s2
.LBB216_3608:                           ;   in Loop: Header=BB216_2096 Depth=1
	s_delay_alu instid0(SALU_CYCLE_1)
	s_or_b32 exec_lo, exec_lo, s1
.LBB216_3609:                           ;   in Loop: Header=BB216_2096 Depth=1
	s_delay_alu instid0(SALU_CYCLE_1) | instskip(SKIP_2) | instid1(VALU_DEP_1)
	s_or_b32 exec_lo, exec_lo, s0
	v_lshrrev_b16 v0, 8, v2
	s_mov_b32 s0, exec_lo
	v_cmpx_ne_u16_e32 0, v0
	s_cbranch_execz .LBB216_3617
; %bb.3610:                             ;   in Loop: Header=BB216_2096 Depth=1
	v_mov_b64_e32 v[4:5], 0x8000000000000000
	s_mov_b32 s1, exec_lo
	scratch_store_b64 off, v[4:5], s32 offset:1772 ; 8-byte Folded Spill
	s_wait_xcnt 0x0
	v_cmpx_ne_u16_e32 0x80, v0
	s_cbranch_execz .LBB216_3616
; %bb.3611:                             ;   in Loop: Header=BB216_2096 Depth=1
	v_and_b32_e32 v1, 0xffff, v0
	v_mov_b64_e32 v[4:5], 0x7f80000100000000
	s_mov_b32 s2, exec_lo
	s_delay_alu instid0(VALU_DEP_2)
	v_and_b32_e32 v0, 0x7f, v1
	scratch_store_b64 off, v[4:5], s32 offset:1772 ; 8-byte Folded Spill
	s_wait_xcnt 0x0
	v_cmpx_ne_u32_e32 0x7f, v0
	s_cbranch_execz .LBB216_3615
; %bb.3612:                             ;   in Loop: Header=BB216_2096 Depth=1
	scratch_load_b64 v[4:5], off, s32 offset:192 th:TH_LOAD_LU ; 8-byte Folded Reload
	s_wait_loadcnt 0x0
	v_dual_lshrrev_b32 v3, 3, v0 :: v_dual_bitop2_b32 v4, 7, v1 bitop3:0x40
	v_cmp_gt_u32_e32 vcc_lo, 8, v0
	s_delay_alu instid0(VALU_DEP_2)
	v_mov_b64_e32 v[0:1], v[4:5]
	s_wait_xcnt 0x0
	s_and_saveexec_b32 s3, vcc_lo
; %bb.3613:                             ;   in Loop: Header=BB216_2096 Depth=1
	v_clz_i32_u32_e32 v0, v4
	s_delay_alu instid0(VALU_DEP_1) | instskip(NEXT) | instid1(VALU_DEP_1)
	v_min_u32_e32 v3, 32, v0
	v_subrev_nc_u32_e32 v0, 28, v3
	s_delay_alu instid0(VALU_DEP_1) | instskip(NEXT) | instid1(VALU_DEP_1)
	v_lshlrev_b64_e32 v[0:1], v0, v[4:5]
	v_dual_sub_nc_u32 v3, 29, v3 :: v_dual_bitop2_b32 v0, 7, v0 bitop3:0x40
; %bb.3614:                             ;   in Loop: Header=BB216_2096 Depth=1
	s_or_b32 exec_lo, exec_lo, s3
	s_delay_alu instid0(VALU_DEP_1) | instskip(NEXT) | instid1(VALU_DEP_2)
	v_dual_lshlrev_b32 v1, 16, v2 :: v_dual_lshlrev_b32 v0, 20, v0
	v_lshl_add_u32 v3, v3, 23, 0x3c000000
	v_mov_b32_e32 v6, v5
	s_delay_alu instid0(VALU_DEP_3) | instskip(NEXT) | instid1(VALU_DEP_1)
	v_and_b32_e32 v1, 0x80000000, v1
	v_or3_b32 v7, v0, v1, v3
	v_mov_b32_e32 v1, v5
	s_clause 0x1
	scratch_store_b64 off, v[6:7], s32 offset:1772
	scratch_store_b64 off, v[0:1], s32 offset:192
.LBB216_3615:                           ;   in Loop: Header=BB216_2096 Depth=1
	s_wait_xcnt 0x0
	s_or_b32 exec_lo, exec_lo, s2
.LBB216_3616:                           ;   in Loop: Header=BB216_2096 Depth=1
	s_delay_alu instid0(SALU_CYCLE_1)
	s_or_b32 exec_lo, exec_lo, s1
.LBB216_3617:                           ;   in Loop: Header=BB216_2096 Depth=1
	s_delay_alu instid0(SALU_CYCLE_1) | instskip(SKIP_4) | instid1(VALU_DEP_3)
	s_or_b32 exec_lo, exec_lo, s0
	v_lshrrev_b32_e32 v3, 16, v2
	v_mov_b64_e32 v[126:127], 0
	v_mov_b64_e32 v[4:5], 0
	s_mov_b32 s0, exec_lo
	v_and_b32_e32 v0, 0xff, v3
	scratch_store_b64 off, v[4:5], s32 offset:1788 ; 8-byte Folded Spill
	s_wait_xcnt 0x0
	v_cmpx_ne_u16_e32 0, v0
	s_cbranch_execz .LBB216_3625
; %bb.3618:                             ;   in Loop: Header=BB216_2096 Depth=1
	v_cmp_ne_u16_e32 vcc_lo, 0x80, v0
	v_mov_b64_e32 v[0:1], 0x80000000
	scratch_store_b64 off, v[0:1], s32 offset:1788 ; 8-byte Folded Spill
	s_wait_xcnt 0x0
	s_and_saveexec_b32 s1, vcc_lo
	s_cbranch_execz .LBB216_3624
; %bb.3619:                             ;   in Loop: Header=BB216_2096 Depth=1
	v_mov_b64_e32 v[4:5], 0x7f800001
	v_bfe_u32 v0, v2, 16, 7
	s_mov_b32 s2, exec_lo
	scratch_store_b64 off, v[4:5], s32 offset:1788 ; 8-byte Folded Spill
	s_wait_xcnt 0x0
	v_cmpx_ne_u32_e32 0x7f, v0
	s_cbranch_execz .LBB216_3623
; %bb.3620:                             ;   in Loop: Header=BB216_2096 Depth=1
	scratch_load_b64 v[6:7], off, s32 offset:192 th:TH_LOAD_LU ; 8-byte Folded Reload
	s_wait_loadcnt 0x0
	v_dual_lshrrev_b32 v4, 3, v0 :: v_dual_bitop2_b32 v6, 7, v3 bitop3:0x40
	v_cmp_gt_u32_e32 vcc_lo, 8, v0
	s_delay_alu instid0(VALU_DEP_2)
	v_mov_b64_e32 v[0:1], v[6:7]
	s_wait_xcnt 0x0
	s_and_saveexec_b32 s3, vcc_lo
; %bb.3621:                             ;   in Loop: Header=BB216_2096 Depth=1
	v_clz_i32_u32_e32 v0, v6
	s_delay_alu instid0(VALU_DEP_1) | instskip(NEXT) | instid1(VALU_DEP_1)
	v_min_u32_e32 v4, 32, v0
	v_subrev_nc_u32_e32 v0, 28, v4
	v_sub_nc_u32_e32 v4, 29, v4
	s_delay_alu instid0(VALU_DEP_2) | instskip(NEXT) | instid1(VALU_DEP_1)
	v_lshlrev_b64_e32 v[0:1], v0, v[6:7]
	v_and_b32_e32 v0, 7, v0
; %bb.3622:                             ;   in Loop: Header=BB216_2096 Depth=1
	s_or_b32 exec_lo, exec_lo, s3
	s_delay_alu instid0(VALU_DEP_1) | instskip(SKIP_1) | instid1(VALU_DEP_2)
	v_dual_lshlrev_b32 v1, 24, v3 :: v_dual_lshlrev_b32 v0, 20, v0
	v_lshl_add_u32 v3, v4, 23, 0x3c000000
	v_and_b32_e32 v1, 0x80000000, v1
	s_delay_alu instid0(VALU_DEP_1)
	v_or3_b32 v6, v0, v1, v3
	v_mov_b32_e32 v1, v7
	s_clause 0x1
	scratch_store_b64 off, v[0:1], s32 offset:192
	scratch_store_b64 off, v[6:7], s32 offset:1788
.LBB216_3623:                           ;   in Loop: Header=BB216_2096 Depth=1
	s_wait_xcnt 0x0
	s_or_b32 exec_lo, exec_lo, s2
.LBB216_3624:                           ;   in Loop: Header=BB216_2096 Depth=1
	s_delay_alu instid0(SALU_CYCLE_1)
	s_or_b32 exec_lo, exec_lo, s1
.LBB216_3625:                           ;   in Loop: Header=BB216_2096 Depth=1
	s_delay_alu instid0(SALU_CYCLE_1) | instskip(NEXT) | instid1(SALU_CYCLE_1)
	s_or_b32 exec_lo, exec_lo, s0
	s_mov_b32 s0, exec_lo
	v_cmpx_lt_u32_e32 0xffffff, v2
	s_cbranch_execz .LBB216_3633
; %bb.3626:                             ;   in Loop: Header=BB216_2096 Depth=1
	v_mov_b64_e32 v[126:127], 0x8000000000000000
	v_lshrrev_b32_e32 v3, 24, v2
	s_mov_b32 s1, exec_lo
	s_delay_alu instid0(VALU_DEP_1)
	v_cmpx_ne_u32_e32 0x80, v3
	s_cbranch_execz .LBB216_3632
; %bb.3627:                             ;   in Loop: Header=BB216_2096 Depth=1
	v_mov_b64_e32 v[126:127], 0x7f80000100000000
	v_bfe_u32 v0, v2, 24, 7
	s_mov_b32 s2, exec_lo
	s_delay_alu instid0(VALU_DEP_1)
	v_cmpx_ne_u32_e32 0x7f, v0
	s_cbranch_execz .LBB216_3631
; %bb.3628:                             ;   in Loop: Header=BB216_2096 Depth=1
	scratch_load_b64 v[4:5], off, s32 offset:192 th:TH_LOAD_LU ; 8-byte Folded Reload
	s_wait_loadcnt 0x0
	v_dual_lshrrev_b32 v2, 3, v0 :: v_dual_bitop2_b32 v4, 7, v3 bitop3:0x40
	v_cmp_gt_u32_e32 vcc_lo, 8, v0
	s_delay_alu instid0(VALU_DEP_2)
	v_mov_b64_e32 v[0:1], v[4:5]
	s_wait_xcnt 0x0
	s_and_saveexec_b32 s3, vcc_lo
; %bb.3629:                             ;   in Loop: Header=BB216_2096 Depth=1
	v_clz_i32_u32_e32 v0, v4
	s_delay_alu instid0(VALU_DEP_1) | instskip(NEXT) | instid1(VALU_DEP_1)
	v_min_u32_e32 v2, 32, v0
	v_subrev_nc_u32_e32 v0, 28, v2
	s_delay_alu instid0(VALU_DEP_1) | instskip(NEXT) | instid1(VALU_DEP_1)
	v_lshlrev_b64_e32 v[0:1], v0, v[4:5]
	v_dual_sub_nc_u32 v2, 29, v2 :: v_dual_bitop2_b32 v0, 7, v0 bitop3:0x40
; %bb.3630:                             ;   in Loop: Header=BB216_2096 Depth=1
	s_or_b32 exec_lo, exec_lo, s3
	s_delay_alu instid0(VALU_DEP_1) | instskip(NEXT) | instid1(VALU_DEP_2)
	v_dual_lshlrev_b32 v1, 24, v3 :: v_dual_lshlrev_b32 v0, 20, v0
	v_lshl_add_u32 v2, v2, 23, 0x3c000000
	v_mov_b32_e32 v126, v5
	s_delay_alu instid0(VALU_DEP_3) | instskip(NEXT) | instid1(VALU_DEP_1)
	v_and_b32_e32 v1, 0x80000000, v1
	v_or3_b32 v127, v0, v1, v2
	v_mov_b32_e32 v1, v5
	scratch_store_b64 off, v[0:1], s32 offset:192 ; 8-byte Folded Spill
.LBB216_3631:                           ;   in Loop: Header=BB216_2096 Depth=1
	s_wait_xcnt 0x0
	s_or_b32 exec_lo, exec_lo, s2
.LBB216_3632:                           ;   in Loop: Header=BB216_2096 Depth=1
	s_delay_alu instid0(SALU_CYCLE_1)
	s_or_b32 exec_lo, exec_lo, s1
.LBB216_3633:                           ;   in Loop: Header=BB216_2096 Depth=1
	s_delay_alu instid0(SALU_CYCLE_1)
	s_or_b32 exec_lo, exec_lo, s0
	flat_load_b32 v2, v[24:25] offset:6144
	v_mov_b64_e32 v[92:93], 0
	v_mov_b64_e32 v[4:5], 0
	s_mov_b32 s0, exec_lo
	scratch_store_b64 off, v[4:5], s32 offset:1796 ; 8-byte Folded Spill
	s_wait_loadcnt_dscnt 0x0
	v_and_b32_e32 v0, 0xff, v2
	s_wait_xcnt 0x0
	s_delay_alu instid0(VALU_DEP_1)
	v_cmpx_ne_u16_e32 0, v0
	s_cbranch_execz .LBB216_3641
; %bb.3634:                             ;   in Loop: Header=BB216_2096 Depth=1
	v_cmp_ne_u16_e32 vcc_lo, 0x80, v0
	v_mov_b64_e32 v[0:1], 0x80000000
	scratch_store_b64 off, v[0:1], s32 offset:1796 ; 8-byte Folded Spill
	s_wait_xcnt 0x0
	s_and_saveexec_b32 s1, vcc_lo
	s_cbranch_execz .LBB216_3640
; %bb.3635:                             ;   in Loop: Header=BB216_2096 Depth=1
	v_mov_b64_e32 v[4:5], 0x7f800001
	v_and_b32_e32 v0, 0x7f, v2
	s_mov_b32 s2, exec_lo
	scratch_store_b64 off, v[4:5], s32 offset:1796 ; 8-byte Folded Spill
	s_wait_xcnt 0x0
	v_cmpx_ne_u32_e32 0x7f, v0
	s_cbranch_execz .LBB216_3639
; %bb.3636:                             ;   in Loop: Header=BB216_2096 Depth=1
	scratch_load_b64 v[4:5], off, s32 offset:192 th:TH_LOAD_LU ; 8-byte Folded Reload
	s_wait_loadcnt 0x0
	v_dual_lshrrev_b32 v3, 3, v0 :: v_dual_bitop2_b32 v4, 7, v2 bitop3:0x40
	v_cmp_gt_u32_e32 vcc_lo, 8, v0
	s_delay_alu instid0(VALU_DEP_2)
	v_mov_b64_e32 v[0:1], v[4:5]
	s_wait_xcnt 0x0
	s_and_saveexec_b32 s3, vcc_lo
; %bb.3637:                             ;   in Loop: Header=BB216_2096 Depth=1
	v_clz_i32_u32_e32 v0, v4
	s_delay_alu instid0(VALU_DEP_1) | instskip(NEXT) | instid1(VALU_DEP_1)
	v_min_u32_e32 v3, 32, v0
	v_subrev_nc_u32_e32 v0, 28, v3
	s_delay_alu instid0(VALU_DEP_1) | instskip(NEXT) | instid1(VALU_DEP_1)
	v_lshlrev_b64_e32 v[0:1], v0, v[4:5]
	v_dual_sub_nc_u32 v3, 29, v3 :: v_dual_bitop2_b32 v0, 7, v0 bitop3:0x40
; %bb.3638:                             ;   in Loop: Header=BB216_2096 Depth=1
	s_or_b32 exec_lo, exec_lo, s3
	s_delay_alu instid0(VALU_DEP_1) | instskip(NEXT) | instid1(VALU_DEP_2)
	v_dual_lshlrev_b32 v1, 24, v2 :: v_dual_lshlrev_b32 v0, 20, v0
	v_lshl_add_u32 v3, v3, 23, 0x3c000000
	s_delay_alu instid0(VALU_DEP_2) | instskip(NEXT) | instid1(VALU_DEP_1)
	v_and_b32_e32 v1, 0x80000000, v1
	v_or3_b32 v4, v0, v1, v3
	v_mov_b32_e32 v1, v5
	s_clause 0x1
	scratch_store_b64 off, v[0:1], s32 offset:192
	scratch_store_b64 off, v[4:5], s32 offset:1796
.LBB216_3639:                           ;   in Loop: Header=BB216_2096 Depth=1
	s_wait_xcnt 0x0
	s_or_b32 exec_lo, exec_lo, s2
.LBB216_3640:                           ;   in Loop: Header=BB216_2096 Depth=1
	s_delay_alu instid0(SALU_CYCLE_1)
	s_or_b32 exec_lo, exec_lo, s1
.LBB216_3641:                           ;   in Loop: Header=BB216_2096 Depth=1
	s_delay_alu instid0(SALU_CYCLE_1) | instskip(SKIP_2) | instid1(VALU_DEP_1)
	s_or_b32 exec_lo, exec_lo, s0
	v_lshrrev_b16 v0, 8, v2
	s_mov_b32 s0, exec_lo
	v_cmpx_ne_u16_e32 0, v0
	s_cbranch_execz .LBB216_3649
; %bb.3642:                             ;   in Loop: Header=BB216_2096 Depth=1
	v_mov_b64_e32 v[92:93], 0x8000000000000000
	s_mov_b32 s1, exec_lo
	v_cmpx_ne_u16_e32 0x80, v0
	s_cbranch_execz .LBB216_3648
; %bb.3643:                             ;   in Loop: Header=BB216_2096 Depth=1
	v_and_b32_e32 v1, 0xffff, v0
	v_mov_b64_e32 v[92:93], 0x7f80000100000000
	s_mov_b32 s2, exec_lo
	s_delay_alu instid0(VALU_DEP_2) | instskip(NEXT) | instid1(VALU_DEP_1)
	v_and_b32_e32 v0, 0x7f, v1
	v_cmpx_ne_u32_e32 0x7f, v0
	s_cbranch_execz .LBB216_3647
; %bb.3644:                             ;   in Loop: Header=BB216_2096 Depth=1
	scratch_load_b64 v[4:5], off, s32 offset:192 th:TH_LOAD_LU ; 8-byte Folded Reload
	s_wait_loadcnt 0x0
	v_dual_lshrrev_b32 v3, 3, v0 :: v_dual_bitop2_b32 v4, 7, v1 bitop3:0x40
	v_cmp_gt_u32_e32 vcc_lo, 8, v0
	s_delay_alu instid0(VALU_DEP_2)
	v_mov_b64_e32 v[0:1], v[4:5]
	s_wait_xcnt 0x0
	s_and_saveexec_b32 s3, vcc_lo
; %bb.3645:                             ;   in Loop: Header=BB216_2096 Depth=1
	v_clz_i32_u32_e32 v0, v4
	s_delay_alu instid0(VALU_DEP_1) | instskip(NEXT) | instid1(VALU_DEP_1)
	v_min_u32_e32 v3, 32, v0
	v_subrev_nc_u32_e32 v0, 28, v3
	s_delay_alu instid0(VALU_DEP_1) | instskip(NEXT) | instid1(VALU_DEP_1)
	v_lshlrev_b64_e32 v[0:1], v0, v[4:5]
	v_dual_sub_nc_u32 v3, 29, v3 :: v_dual_bitop2_b32 v0, 7, v0 bitop3:0x40
; %bb.3646:                             ;   in Loop: Header=BB216_2096 Depth=1
	s_or_b32 exec_lo, exec_lo, s3
	s_delay_alu instid0(VALU_DEP_1) | instskip(NEXT) | instid1(VALU_DEP_2)
	v_dual_lshlrev_b32 v1, 16, v2 :: v_dual_lshlrev_b32 v0, 20, v0
	v_lshl_add_u32 v3, v3, 23, 0x3c000000
	v_mov_b32_e32 v92, v5
	s_delay_alu instid0(VALU_DEP_3) | instskip(NEXT) | instid1(VALU_DEP_1)
	v_and_b32_e32 v1, 0x80000000, v1
	v_or3_b32 v93, v0, v1, v3
	v_mov_b32_e32 v1, v5
	scratch_store_b64 off, v[0:1], s32 offset:192 ; 8-byte Folded Spill
.LBB216_3647:                           ;   in Loop: Header=BB216_2096 Depth=1
	s_wait_xcnt 0x0
	s_or_b32 exec_lo, exec_lo, s2
.LBB216_3648:                           ;   in Loop: Header=BB216_2096 Depth=1
	s_delay_alu instid0(SALU_CYCLE_1)
	s_or_b32 exec_lo, exec_lo, s1
.LBB216_3649:                           ;   in Loop: Header=BB216_2096 Depth=1
	s_delay_alu instid0(SALU_CYCLE_1) | instskip(SKIP_4) | instid1(VALU_DEP_3)
	s_or_b32 exec_lo, exec_lo, s0
	v_lshrrev_b32_e32 v3, 16, v2
	v_mov_b64_e32 v[96:97], 0
	v_mov_b64_e32 v[118:119], 0
	s_mov_b32 s0, exec_lo
	v_and_b32_e32 v0, 0xff, v3
	s_delay_alu instid0(VALU_DEP_1)
	v_cmpx_ne_u16_e32 0, v0
	s_cbranch_execz .LBB216_3657
; %bb.3650:                             ;   in Loop: Header=BB216_2096 Depth=1
	v_mov_b64_e32 v[118:119], 0x80000000
	s_mov_b32 s1, exec_lo
	v_cmpx_ne_u16_e32 0x80, v0
	s_cbranch_execz .LBB216_3656
; %bb.3651:                             ;   in Loop: Header=BB216_2096 Depth=1
	v_mov_b64_e32 v[118:119], 0x7f800001
	v_bfe_u32 v0, v2, 16, 7
	s_mov_b32 s2, exec_lo
	s_delay_alu instid0(VALU_DEP_1)
	v_cmpx_ne_u32_e32 0x7f, v0
	s_cbranch_execz .LBB216_3655
; %bb.3652:                             ;   in Loop: Header=BB216_2096 Depth=1
	scratch_load_b64 v[118:119], off, s32 offset:192 th:TH_LOAD_LU ; 8-byte Folded Reload
	s_wait_loadcnt 0x0
	v_dual_lshrrev_b32 v4, 3, v0 :: v_dual_bitop2_b32 v118, 7, v3 bitop3:0x40
	v_cmp_gt_u32_e32 vcc_lo, 8, v0
	s_delay_alu instid0(VALU_DEP_2)
	v_mov_b64_e32 v[0:1], v[118:119]
	s_wait_xcnt 0x0
	s_and_saveexec_b32 s3, vcc_lo
; %bb.3653:                             ;   in Loop: Header=BB216_2096 Depth=1
	v_clz_i32_u32_e32 v0, v118
	s_delay_alu instid0(VALU_DEP_1) | instskip(NEXT) | instid1(VALU_DEP_1)
	v_min_u32_e32 v4, 32, v0
	v_subrev_nc_u32_e32 v0, 28, v4
	v_sub_nc_u32_e32 v4, 29, v4
	s_delay_alu instid0(VALU_DEP_2) | instskip(NEXT) | instid1(VALU_DEP_1)
	v_lshlrev_b64_e32 v[0:1], v0, v[118:119]
	v_and_b32_e32 v0, 7, v0
; %bb.3654:                             ;   in Loop: Header=BB216_2096 Depth=1
	s_or_b32 exec_lo, exec_lo, s3
	s_delay_alu instid0(VALU_DEP_1) | instskip(SKIP_1) | instid1(VALU_DEP_2)
	v_dual_lshlrev_b32 v1, 24, v3 :: v_dual_lshlrev_b32 v0, 20, v0
	v_lshl_add_u32 v3, v4, 23, 0x3c000000
	v_and_b32_e32 v1, 0x80000000, v1
	s_delay_alu instid0(VALU_DEP_1)
	v_or3_b32 v118, v0, v1, v3
	v_mov_b32_e32 v1, v119
	scratch_store_b64 off, v[0:1], s32 offset:192 ; 8-byte Folded Spill
.LBB216_3655:                           ;   in Loop: Header=BB216_2096 Depth=1
	s_wait_xcnt 0x0
	s_or_b32 exec_lo, exec_lo, s2
.LBB216_3656:                           ;   in Loop: Header=BB216_2096 Depth=1
	s_delay_alu instid0(SALU_CYCLE_1)
	s_or_b32 exec_lo, exec_lo, s1
.LBB216_3657:                           ;   in Loop: Header=BB216_2096 Depth=1
	s_delay_alu instid0(SALU_CYCLE_1) | instskip(NEXT) | instid1(SALU_CYCLE_1)
	s_or_b32 exec_lo, exec_lo, s0
	s_mov_b32 s0, exec_lo
	v_cmpx_lt_u32_e32 0xffffff, v2
	s_cbranch_execz .LBB216_3665
; %bb.3658:                             ;   in Loop: Header=BB216_2096 Depth=1
	v_mov_b64_e32 v[96:97], 0x8000000000000000
	v_lshrrev_b32_e32 v3, 24, v2
	s_mov_b32 s1, exec_lo
	s_delay_alu instid0(VALU_DEP_1)
	v_cmpx_ne_u32_e32 0x80, v3
	s_cbranch_execz .LBB216_3664
; %bb.3659:                             ;   in Loop: Header=BB216_2096 Depth=1
	v_mov_b64_e32 v[96:97], 0x7f80000100000000
	v_bfe_u32 v0, v2, 24, 7
	s_mov_b32 s2, exec_lo
	s_delay_alu instid0(VALU_DEP_1)
	v_cmpx_ne_u32_e32 0x7f, v0
	s_cbranch_execz .LBB216_3663
; %bb.3660:                             ;   in Loop: Header=BB216_2096 Depth=1
	scratch_load_b64 v[4:5], off, s32 offset:192 th:TH_LOAD_LU ; 8-byte Folded Reload
	s_wait_loadcnt 0x0
	v_dual_lshrrev_b32 v2, 3, v0 :: v_dual_bitop2_b32 v4, 7, v3 bitop3:0x40
	v_cmp_gt_u32_e32 vcc_lo, 8, v0
	s_delay_alu instid0(VALU_DEP_2)
	v_mov_b64_e32 v[0:1], v[4:5]
	s_wait_xcnt 0x0
	s_and_saveexec_b32 s3, vcc_lo
; %bb.3661:                             ;   in Loop: Header=BB216_2096 Depth=1
	v_clz_i32_u32_e32 v0, v4
	s_delay_alu instid0(VALU_DEP_1) | instskip(NEXT) | instid1(VALU_DEP_1)
	v_min_u32_e32 v2, 32, v0
	v_subrev_nc_u32_e32 v0, 28, v2
	s_delay_alu instid0(VALU_DEP_1) | instskip(NEXT) | instid1(VALU_DEP_1)
	v_lshlrev_b64_e32 v[0:1], v0, v[4:5]
	v_dual_sub_nc_u32 v2, 29, v2 :: v_dual_bitop2_b32 v0, 7, v0 bitop3:0x40
; %bb.3662:                             ;   in Loop: Header=BB216_2096 Depth=1
	s_or_b32 exec_lo, exec_lo, s3
	s_delay_alu instid0(VALU_DEP_1) | instskip(NEXT) | instid1(VALU_DEP_2)
	v_dual_lshlrev_b32 v1, 24, v3 :: v_dual_lshlrev_b32 v0, 20, v0
	v_lshl_add_u32 v2, v2, 23, 0x3c000000
	v_mov_b32_e32 v96, v5
	s_delay_alu instid0(VALU_DEP_3) | instskip(NEXT) | instid1(VALU_DEP_1)
	v_and_b32_e32 v1, 0x80000000, v1
	v_or3_b32 v97, v0, v1, v2
	v_mov_b32_e32 v1, v5
	scratch_store_b64 off, v[0:1], s32 offset:192 ; 8-byte Folded Spill
.LBB216_3663:                           ;   in Loop: Header=BB216_2096 Depth=1
	s_wait_xcnt 0x0
	s_or_b32 exec_lo, exec_lo, s2
.LBB216_3664:                           ;   in Loop: Header=BB216_2096 Depth=1
	s_delay_alu instid0(SALU_CYCLE_1)
	s_or_b32 exec_lo, exec_lo, s1
.LBB216_3665:                           ;   in Loop: Header=BB216_2096 Depth=1
	s_delay_alu instid0(SALU_CYCLE_1)
	s_or_b32 exec_lo, exec_lo, s0
	flat_load_b32 v2, v[24:25] offset:6272
	v_mov_b64_e32 v[4:5], 0
	v_mov_b64_e32 v[14:15], 0
	s_mov_b32 s0, exec_lo
	s_wait_loadcnt_dscnt 0x0
	v_and_b32_e32 v0, 0xff, v2
	s_wait_xcnt 0x0
	s_delay_alu instid0(VALU_DEP_1)
	v_cmpx_ne_u16_e32 0, v0
	s_cbranch_execz .LBB216_3673
; %bb.3666:                             ;   in Loop: Header=BB216_2096 Depth=1
	v_mov_b64_e32 v[14:15], 0x80000000
	s_mov_b32 s1, exec_lo
	v_cmpx_ne_u16_e32 0x80, v0
	s_cbranch_execz .LBB216_3672
; %bb.3667:                             ;   in Loop: Header=BB216_2096 Depth=1
	v_mov_b64_e32 v[14:15], 0x7f800001
	v_and_b32_e32 v0, 0x7f, v2
	s_mov_b32 s2, exec_lo
	s_delay_alu instid0(VALU_DEP_1)
	v_cmpx_ne_u32_e32 0x7f, v0
	s_cbranch_execz .LBB216_3671
; %bb.3668:                             ;   in Loop: Header=BB216_2096 Depth=1
	scratch_load_b64 v[14:15], off, s32 offset:192 th:TH_LOAD_LU ; 8-byte Folded Reload
	s_wait_loadcnt 0x0
	v_dual_lshrrev_b32 v3, 3, v0 :: v_dual_bitop2_b32 v14, 7, v2 bitop3:0x40
	v_cmp_gt_u32_e32 vcc_lo, 8, v0
	s_delay_alu instid0(VALU_DEP_2)
	v_mov_b64_e32 v[0:1], v[14:15]
	s_wait_xcnt 0x0
	s_and_saveexec_b32 s3, vcc_lo
; %bb.3669:                             ;   in Loop: Header=BB216_2096 Depth=1
	v_clz_i32_u32_e32 v0, v14
	s_delay_alu instid0(VALU_DEP_1) | instskip(NEXT) | instid1(VALU_DEP_1)
	v_min_u32_e32 v3, 32, v0
	v_subrev_nc_u32_e32 v0, 28, v3
	s_delay_alu instid0(VALU_DEP_1) | instskip(NEXT) | instid1(VALU_DEP_1)
	v_lshlrev_b64_e32 v[0:1], v0, v[14:15]
	v_dual_sub_nc_u32 v3, 29, v3 :: v_dual_bitop2_b32 v0, 7, v0 bitop3:0x40
; %bb.3670:                             ;   in Loop: Header=BB216_2096 Depth=1
	s_or_b32 exec_lo, exec_lo, s3
	s_delay_alu instid0(VALU_DEP_1) | instskip(NEXT) | instid1(VALU_DEP_2)
	v_dual_lshlrev_b32 v1, 24, v2 :: v_dual_lshlrev_b32 v0, 20, v0
	v_lshl_add_u32 v3, v3, 23, 0x3c000000
	s_delay_alu instid0(VALU_DEP_2) | instskip(NEXT) | instid1(VALU_DEP_1)
	v_and_b32_e32 v1, 0x80000000, v1
	v_or3_b32 v14, v0, v1, v3
	v_mov_b32_e32 v1, v15
	scratch_store_b64 off, v[0:1], s32 offset:192 ; 8-byte Folded Spill
.LBB216_3671:                           ;   in Loop: Header=BB216_2096 Depth=1
	s_wait_xcnt 0x0
	s_or_b32 exec_lo, exec_lo, s2
.LBB216_3672:                           ;   in Loop: Header=BB216_2096 Depth=1
	s_delay_alu instid0(SALU_CYCLE_1)
	s_or_b32 exec_lo, exec_lo, s1
.LBB216_3673:                           ;   in Loop: Header=BB216_2096 Depth=1
	s_delay_alu instid0(SALU_CYCLE_1) | instskip(SKIP_2) | instid1(VALU_DEP_1)
	s_or_b32 exec_lo, exec_lo, s0
	v_lshrrev_b16 v0, 8, v2
	s_mov_b32 s0, exec_lo
	v_cmpx_ne_u16_e32 0, v0
	s_cbranch_execz .LBB216_3681
; %bb.3674:                             ;   in Loop: Header=BB216_2096 Depth=1
	v_mov_b64_e32 v[4:5], 0x8000000000000000
	s_mov_b32 s1, exec_lo
	v_cmpx_ne_u16_e32 0x80, v0
	s_cbranch_execz .LBB216_3680
; %bb.3675:                             ;   in Loop: Header=BB216_2096 Depth=1
	v_and_b32_e32 v1, 0xffff, v0
	v_mov_b64_e32 v[4:5], 0x7f80000100000000
	s_mov_b32 s2, exec_lo
	s_delay_alu instid0(VALU_DEP_2) | instskip(NEXT) | instid1(VALU_DEP_1)
	v_and_b32_e32 v0, 0x7f, v1
	v_cmpx_ne_u32_e32 0x7f, v0
	s_cbranch_execz .LBB216_3679
; %bb.3676:                             ;   in Loop: Header=BB216_2096 Depth=1
	scratch_load_b64 v[6:7], off, s32 offset:192 th:TH_LOAD_LU ; 8-byte Folded Reload
	s_wait_loadcnt 0x0
	v_dual_lshrrev_b32 v3, 3, v0 :: v_dual_bitop2_b32 v6, 7, v1 bitop3:0x40
	v_cmp_gt_u32_e32 vcc_lo, 8, v0
	s_delay_alu instid0(VALU_DEP_2)
	v_mov_b64_e32 v[0:1], v[6:7]
	s_wait_xcnt 0x0
	s_and_saveexec_b32 s3, vcc_lo
; %bb.3677:                             ;   in Loop: Header=BB216_2096 Depth=1
	v_clz_i32_u32_e32 v0, v6
	s_delay_alu instid0(VALU_DEP_1) | instskip(NEXT) | instid1(VALU_DEP_1)
	v_min_u32_e32 v3, 32, v0
	v_subrev_nc_u32_e32 v0, 28, v3
	s_delay_alu instid0(VALU_DEP_1) | instskip(NEXT) | instid1(VALU_DEP_1)
	v_lshlrev_b64_e32 v[0:1], v0, v[6:7]
	v_dual_sub_nc_u32 v3, 29, v3 :: v_dual_bitop2_b32 v0, 7, v0 bitop3:0x40
; %bb.3678:                             ;   in Loop: Header=BB216_2096 Depth=1
	s_or_b32 exec_lo, exec_lo, s3
	s_delay_alu instid0(VALU_DEP_1) | instskip(NEXT) | instid1(VALU_DEP_2)
	v_dual_lshlrev_b32 v1, 16, v2 :: v_dual_lshlrev_b32 v0, 20, v0
	v_lshl_add_u32 v3, v3, 23, 0x3c000000
	v_mov_b32_e32 v4, v7
	s_delay_alu instid0(VALU_DEP_3) | instskip(NEXT) | instid1(VALU_DEP_1)
	v_and_b32_e32 v1, 0x80000000, v1
	v_or3_b32 v5, v0, v1, v3
	v_mov_b32_e32 v1, v7
	scratch_store_b64 off, v[0:1], s32 offset:192 ; 8-byte Folded Spill
.LBB216_3679:                           ;   in Loop: Header=BB216_2096 Depth=1
	s_wait_xcnt 0x0
	s_or_b32 exec_lo, exec_lo, s2
.LBB216_3680:                           ;   in Loop: Header=BB216_2096 Depth=1
	s_delay_alu instid0(SALU_CYCLE_1)
	s_or_b32 exec_lo, exec_lo, s1
.LBB216_3681:                           ;   in Loop: Header=BB216_2096 Depth=1
	s_delay_alu instid0(SALU_CYCLE_1) | instskip(SKIP_4) | instid1(VALU_DEP_3)
	s_or_b32 exec_lo, exec_lo, s0
	v_lshrrev_b32_e32 v3, 16, v2
	v_mov_b64_e32 v[98:99], 0
	v_mov_b64_e32 v[54:55], 0
	s_mov_b32 s0, exec_lo
	v_and_b32_e32 v0, 0xff, v3
	s_delay_alu instid0(VALU_DEP_1)
	v_cmpx_ne_u16_e32 0, v0
	s_cbranch_execz .LBB216_3689
; %bb.3682:                             ;   in Loop: Header=BB216_2096 Depth=1
	v_mov_b64_e32 v[54:55], 0x80000000
	s_mov_b32 s1, exec_lo
	v_cmpx_ne_u16_e32 0x80, v0
	s_cbranch_execz .LBB216_3688
; %bb.3683:                             ;   in Loop: Header=BB216_2096 Depth=1
	v_mov_b64_e32 v[54:55], 0x7f800001
	v_bfe_u32 v0, v2, 16, 7
	s_mov_b32 s2, exec_lo
	s_delay_alu instid0(VALU_DEP_1)
	v_cmpx_ne_u32_e32 0x7f, v0
	s_cbranch_execz .LBB216_3687
; %bb.3684:                             ;   in Loop: Header=BB216_2096 Depth=1
	scratch_load_b64 v[54:55], off, s32 offset:192 th:TH_LOAD_LU ; 8-byte Folded Reload
	s_wait_loadcnt 0x0
	v_dual_lshrrev_b32 v6, 3, v0 :: v_dual_bitop2_b32 v54, 7, v3 bitop3:0x40
	v_cmp_gt_u32_e32 vcc_lo, 8, v0
	s_delay_alu instid0(VALU_DEP_2)
	v_mov_b64_e32 v[0:1], v[54:55]
	s_wait_xcnt 0x0
	s_and_saveexec_b32 s3, vcc_lo
; %bb.3685:                             ;   in Loop: Header=BB216_2096 Depth=1
	v_clz_i32_u32_e32 v0, v54
	s_delay_alu instid0(VALU_DEP_1) | instskip(NEXT) | instid1(VALU_DEP_1)
	v_min_u32_e32 v6, 32, v0
	v_subrev_nc_u32_e32 v0, 28, v6
	s_delay_alu instid0(VALU_DEP_1) | instskip(NEXT) | instid1(VALU_DEP_1)
	v_lshlrev_b64_e32 v[0:1], v0, v[54:55]
	v_dual_sub_nc_u32 v6, 29, v6 :: v_dual_bitop2_b32 v0, 7, v0 bitop3:0x40
; %bb.3686:                             ;   in Loop: Header=BB216_2096 Depth=1
	s_or_b32 exec_lo, exec_lo, s3
	s_delay_alu instid0(VALU_DEP_1) | instskip(NEXT) | instid1(VALU_DEP_2)
	v_dual_lshlrev_b32 v1, 24, v3 :: v_dual_lshlrev_b32 v0, 20, v0
	v_lshl_add_u32 v3, v6, 23, 0x3c000000
	s_delay_alu instid0(VALU_DEP_2) | instskip(NEXT) | instid1(VALU_DEP_1)
	v_and_b32_e32 v1, 0x80000000, v1
	v_or3_b32 v54, v0, v1, v3
	v_mov_b32_e32 v1, v55
	scratch_store_b64 off, v[0:1], s32 offset:192 ; 8-byte Folded Spill
.LBB216_3687:                           ;   in Loop: Header=BB216_2096 Depth=1
	s_wait_xcnt 0x0
	s_or_b32 exec_lo, exec_lo, s2
.LBB216_3688:                           ;   in Loop: Header=BB216_2096 Depth=1
	s_delay_alu instid0(SALU_CYCLE_1)
	s_or_b32 exec_lo, exec_lo, s1
.LBB216_3689:                           ;   in Loop: Header=BB216_2096 Depth=1
	s_delay_alu instid0(SALU_CYCLE_1) | instskip(NEXT) | instid1(SALU_CYCLE_1)
	s_or_b32 exec_lo, exec_lo, s0
	s_mov_b32 s0, exec_lo
	v_cmpx_lt_u32_e32 0xffffff, v2
	s_cbranch_execz .LBB216_3697
; %bb.3690:                             ;   in Loop: Header=BB216_2096 Depth=1
	v_mov_b64_e32 v[98:99], 0x8000000000000000
	v_lshrrev_b32_e32 v3, 24, v2
	s_mov_b32 s1, exec_lo
	s_delay_alu instid0(VALU_DEP_1)
	v_cmpx_ne_u32_e32 0x80, v3
	s_cbranch_execz .LBB216_3696
; %bb.3691:                             ;   in Loop: Header=BB216_2096 Depth=1
	v_mov_b64_e32 v[98:99], 0x7f80000100000000
	v_bfe_u32 v0, v2, 24, 7
	s_mov_b32 s2, exec_lo
	s_delay_alu instid0(VALU_DEP_1)
	v_cmpx_ne_u32_e32 0x7f, v0
	s_cbranch_execz .LBB216_3695
; %bb.3692:                             ;   in Loop: Header=BB216_2096 Depth=1
	scratch_load_b64 v[6:7], off, s32 offset:192 th:TH_LOAD_LU ; 8-byte Folded Reload
	s_wait_loadcnt 0x0
	v_dual_lshrrev_b32 v2, 3, v0 :: v_dual_bitop2_b32 v6, 7, v3 bitop3:0x40
	v_cmp_gt_u32_e32 vcc_lo, 8, v0
	s_delay_alu instid0(VALU_DEP_2)
	v_mov_b64_e32 v[0:1], v[6:7]
	s_wait_xcnt 0x0
	s_and_saveexec_b32 s3, vcc_lo
; %bb.3693:                             ;   in Loop: Header=BB216_2096 Depth=1
	v_clz_i32_u32_e32 v0, v6
	s_delay_alu instid0(VALU_DEP_1) | instskip(NEXT) | instid1(VALU_DEP_1)
	v_min_u32_e32 v2, 32, v0
	v_subrev_nc_u32_e32 v0, 28, v2
	s_delay_alu instid0(VALU_DEP_1) | instskip(NEXT) | instid1(VALU_DEP_1)
	v_lshlrev_b64_e32 v[0:1], v0, v[6:7]
	v_dual_sub_nc_u32 v2, 29, v2 :: v_dual_bitop2_b32 v0, 7, v0 bitop3:0x40
; %bb.3694:                             ;   in Loop: Header=BB216_2096 Depth=1
	s_or_b32 exec_lo, exec_lo, s3
	s_delay_alu instid0(VALU_DEP_1) | instskip(NEXT) | instid1(VALU_DEP_2)
	v_dual_lshlrev_b32 v1, 24, v3 :: v_dual_lshlrev_b32 v0, 20, v0
	v_lshl_add_u32 v2, v2, 23, 0x3c000000
	v_mov_b32_e32 v98, v7
	s_delay_alu instid0(VALU_DEP_3) | instskip(NEXT) | instid1(VALU_DEP_1)
	v_and_b32_e32 v1, 0x80000000, v1
	v_or3_b32 v99, v0, v1, v2
	v_mov_b32_e32 v1, v7
	scratch_store_b64 off, v[0:1], s32 offset:192 ; 8-byte Folded Spill
.LBB216_3695:                           ;   in Loop: Header=BB216_2096 Depth=1
	s_wait_xcnt 0x0
	s_or_b32 exec_lo, exec_lo, s2
.LBB216_3696:                           ;   in Loop: Header=BB216_2096 Depth=1
	s_delay_alu instid0(SALU_CYCLE_1)
	s_or_b32 exec_lo, exec_lo, s1
.LBB216_3697:                           ;   in Loop: Header=BB216_2096 Depth=1
	s_delay_alu instid0(SALU_CYCLE_1)
	s_or_b32 exec_lo, exec_lo, s0
	flat_load_b32 v2, v[24:25] offset:6400
	v_mov_b64_e32 v[94:95], 0
	v_mov_b64_e32 v[60:61], 0
	s_mov_b32 s0, exec_lo
	s_wait_loadcnt_dscnt 0x0
	v_and_b32_e32 v0, 0xff, v2
	s_wait_xcnt 0x0
	s_delay_alu instid0(VALU_DEP_1)
	v_cmpx_ne_u16_e32 0, v0
	s_cbranch_execz .LBB216_3705
; %bb.3698:                             ;   in Loop: Header=BB216_2096 Depth=1
	v_mov_b64_e32 v[60:61], 0x80000000
	s_mov_b32 s1, exec_lo
	v_cmpx_ne_u16_e32 0x80, v0
	s_cbranch_execz .LBB216_3704
; %bb.3699:                             ;   in Loop: Header=BB216_2096 Depth=1
	v_mov_b64_e32 v[60:61], 0x7f800001
	v_and_b32_e32 v0, 0x7f, v2
	s_mov_b32 s2, exec_lo
	s_delay_alu instid0(VALU_DEP_1)
	v_cmpx_ne_u32_e32 0x7f, v0
	s_cbranch_execz .LBB216_3703
; %bb.3700:                             ;   in Loop: Header=BB216_2096 Depth=1
	scratch_load_b64 v[60:61], off, s32 offset:192 th:TH_LOAD_LU ; 8-byte Folded Reload
	s_wait_loadcnt 0x0
	v_dual_lshrrev_b32 v3, 3, v0 :: v_dual_bitop2_b32 v60, 7, v2 bitop3:0x40
	v_cmp_gt_u32_e32 vcc_lo, 8, v0
	s_delay_alu instid0(VALU_DEP_2)
	v_mov_b64_e32 v[0:1], v[60:61]
	s_wait_xcnt 0x0
	s_and_saveexec_b32 s3, vcc_lo
; %bb.3701:                             ;   in Loop: Header=BB216_2096 Depth=1
	v_clz_i32_u32_e32 v0, v60
	s_delay_alu instid0(VALU_DEP_1) | instskip(NEXT) | instid1(VALU_DEP_1)
	v_min_u32_e32 v3, 32, v0
	v_subrev_nc_u32_e32 v0, 28, v3
	s_delay_alu instid0(VALU_DEP_1) | instskip(NEXT) | instid1(VALU_DEP_1)
	v_lshlrev_b64_e32 v[0:1], v0, v[60:61]
	v_dual_sub_nc_u32 v3, 29, v3 :: v_dual_bitop2_b32 v0, 7, v0 bitop3:0x40
; %bb.3702:                             ;   in Loop: Header=BB216_2096 Depth=1
	s_or_b32 exec_lo, exec_lo, s3
	s_delay_alu instid0(VALU_DEP_1) | instskip(NEXT) | instid1(VALU_DEP_2)
	v_dual_lshlrev_b32 v1, 24, v2 :: v_dual_lshlrev_b32 v0, 20, v0
	v_lshl_add_u32 v3, v3, 23, 0x3c000000
	s_delay_alu instid0(VALU_DEP_2) | instskip(NEXT) | instid1(VALU_DEP_1)
	v_and_b32_e32 v1, 0x80000000, v1
	v_or3_b32 v60, v0, v1, v3
	v_mov_b32_e32 v1, v61
	scratch_store_b64 off, v[0:1], s32 offset:192 ; 8-byte Folded Spill
.LBB216_3703:                           ;   in Loop: Header=BB216_2096 Depth=1
	s_wait_xcnt 0x0
	s_or_b32 exec_lo, exec_lo, s2
.LBB216_3704:                           ;   in Loop: Header=BB216_2096 Depth=1
	s_delay_alu instid0(SALU_CYCLE_1)
	s_or_b32 exec_lo, exec_lo, s1
.LBB216_3705:                           ;   in Loop: Header=BB216_2096 Depth=1
	s_delay_alu instid0(SALU_CYCLE_1) | instskip(SKIP_2) | instid1(VALU_DEP_1)
	s_or_b32 exec_lo, exec_lo, s0
	v_lshrrev_b16 v0, 8, v2
	s_mov_b32 s0, exec_lo
	v_cmpx_ne_u16_e32 0, v0
	s_cbranch_execz .LBB216_3713
; %bb.3706:                             ;   in Loop: Header=BB216_2096 Depth=1
	v_mov_b64_e32 v[94:95], 0x8000000000000000
	s_mov_b32 s1, exec_lo
	v_cmpx_ne_u16_e32 0x80, v0
	s_cbranch_execz .LBB216_3712
; %bb.3707:                             ;   in Loop: Header=BB216_2096 Depth=1
	v_and_b32_e32 v1, 0xffff, v0
	v_mov_b64_e32 v[94:95], 0x7f80000100000000
	s_mov_b32 s2, exec_lo
	s_delay_alu instid0(VALU_DEP_2) | instskip(NEXT) | instid1(VALU_DEP_1)
	v_and_b32_e32 v0, 0x7f, v1
	v_cmpx_ne_u32_e32 0x7f, v0
	s_cbranch_execz .LBB216_3711
; %bb.3708:                             ;   in Loop: Header=BB216_2096 Depth=1
	scratch_load_b64 v[6:7], off, s32 offset:192 th:TH_LOAD_LU ; 8-byte Folded Reload
	s_wait_loadcnt 0x0
	v_dual_lshrrev_b32 v3, 3, v0 :: v_dual_bitop2_b32 v6, 7, v1 bitop3:0x40
	v_cmp_gt_u32_e32 vcc_lo, 8, v0
	s_delay_alu instid0(VALU_DEP_2)
	v_mov_b64_e32 v[0:1], v[6:7]
	s_wait_xcnt 0x0
	s_and_saveexec_b32 s3, vcc_lo
; %bb.3709:                             ;   in Loop: Header=BB216_2096 Depth=1
	v_clz_i32_u32_e32 v0, v6
	s_delay_alu instid0(VALU_DEP_1) | instskip(NEXT) | instid1(VALU_DEP_1)
	v_min_u32_e32 v3, 32, v0
	v_subrev_nc_u32_e32 v0, 28, v3
	s_delay_alu instid0(VALU_DEP_1) | instskip(NEXT) | instid1(VALU_DEP_1)
	v_lshlrev_b64_e32 v[0:1], v0, v[6:7]
	v_dual_sub_nc_u32 v3, 29, v3 :: v_dual_bitop2_b32 v0, 7, v0 bitop3:0x40
; %bb.3710:                             ;   in Loop: Header=BB216_2096 Depth=1
	s_or_b32 exec_lo, exec_lo, s3
	s_delay_alu instid0(VALU_DEP_1) | instskip(NEXT) | instid1(VALU_DEP_2)
	v_dual_lshlrev_b32 v1, 16, v2 :: v_dual_lshlrev_b32 v0, 20, v0
	v_lshl_add_u32 v3, v3, 23, 0x3c000000
	v_mov_b32_e32 v94, v7
	s_delay_alu instid0(VALU_DEP_3) | instskip(NEXT) | instid1(VALU_DEP_1)
	v_and_b32_e32 v1, 0x80000000, v1
	v_or3_b32 v95, v0, v1, v3
	v_mov_b32_e32 v1, v7
	scratch_store_b64 off, v[0:1], s32 offset:192 ; 8-byte Folded Spill
.LBB216_3711:                           ;   in Loop: Header=BB216_2096 Depth=1
	s_wait_xcnt 0x0
	s_or_b32 exec_lo, exec_lo, s2
.LBB216_3712:                           ;   in Loop: Header=BB216_2096 Depth=1
	s_delay_alu instid0(SALU_CYCLE_1)
	s_or_b32 exec_lo, exec_lo, s1
.LBB216_3713:                           ;   in Loop: Header=BB216_2096 Depth=1
	s_delay_alu instid0(SALU_CYCLE_1) | instskip(SKIP_4) | instid1(VALU_DEP_3)
	s_or_b32 exec_lo, exec_lo, s0
	v_lshrrev_b32_e32 v3, 16, v2
	v_mov_b64_e32 v[6:7], 0
	v_mov_b64_e32 v[44:45], 0
	s_mov_b32 s0, exec_lo
	v_and_b32_e32 v0, 0xff, v3
	s_delay_alu instid0(VALU_DEP_1)
	v_cmpx_ne_u16_e32 0, v0
	s_cbranch_execz .LBB216_3721
; %bb.3714:                             ;   in Loop: Header=BB216_2096 Depth=1
	v_mov_b64_e32 v[44:45], 0x80000000
	s_mov_b32 s1, exec_lo
	v_cmpx_ne_u16_e32 0x80, v0
	s_cbranch_execz .LBB216_3720
; %bb.3715:                             ;   in Loop: Header=BB216_2096 Depth=1
	v_mov_b64_e32 v[44:45], 0x7f800001
	v_bfe_u32 v0, v2, 16, 7
	s_mov_b32 s2, exec_lo
	s_delay_alu instid0(VALU_DEP_1)
	v_cmpx_ne_u32_e32 0x7f, v0
	s_cbranch_execz .LBB216_3719
; %bb.3716:                             ;   in Loop: Header=BB216_2096 Depth=1
	scratch_load_b64 v[44:45], off, s32 offset:192 th:TH_LOAD_LU ; 8-byte Folded Reload
	s_wait_loadcnt 0x0
	v_dual_lshrrev_b32 v8, 3, v0 :: v_dual_bitop2_b32 v44, 7, v3 bitop3:0x40
	v_cmp_gt_u32_e32 vcc_lo, 8, v0
	s_delay_alu instid0(VALU_DEP_2)
	v_mov_b64_e32 v[0:1], v[44:45]
	s_wait_xcnt 0x0
	s_and_saveexec_b32 s3, vcc_lo
; %bb.3717:                             ;   in Loop: Header=BB216_2096 Depth=1
	v_clz_i32_u32_e32 v0, v44
	s_delay_alu instid0(VALU_DEP_1) | instskip(NEXT) | instid1(VALU_DEP_1)
	v_min_u32_e32 v8, 32, v0
	v_subrev_nc_u32_e32 v0, 28, v8
	v_sub_nc_u32_e32 v8, 29, v8
	s_delay_alu instid0(VALU_DEP_2) | instskip(NEXT) | instid1(VALU_DEP_1)
	v_lshlrev_b64_e32 v[0:1], v0, v[44:45]
	v_and_b32_e32 v0, 7, v0
; %bb.3718:                             ;   in Loop: Header=BB216_2096 Depth=1
	s_or_b32 exec_lo, exec_lo, s3
	s_delay_alu instid0(VALU_DEP_1) | instskip(SKIP_1) | instid1(VALU_DEP_2)
	v_dual_lshlrev_b32 v1, 24, v3 :: v_dual_lshlrev_b32 v0, 20, v0
	v_lshl_add_u32 v3, v8, 23, 0x3c000000
	v_and_b32_e32 v1, 0x80000000, v1
	s_delay_alu instid0(VALU_DEP_1)
	v_or3_b32 v44, v0, v1, v3
	v_mov_b32_e32 v1, v45
	scratch_store_b64 off, v[0:1], s32 offset:192 ; 8-byte Folded Spill
.LBB216_3719:                           ;   in Loop: Header=BB216_2096 Depth=1
	s_wait_xcnt 0x0
	s_or_b32 exec_lo, exec_lo, s2
.LBB216_3720:                           ;   in Loop: Header=BB216_2096 Depth=1
	s_delay_alu instid0(SALU_CYCLE_1)
	s_or_b32 exec_lo, exec_lo, s1
.LBB216_3721:                           ;   in Loop: Header=BB216_2096 Depth=1
	s_delay_alu instid0(SALU_CYCLE_1) | instskip(NEXT) | instid1(SALU_CYCLE_1)
	s_or_b32 exec_lo, exec_lo, s0
	s_mov_b32 s0, exec_lo
	v_cmpx_lt_u32_e32 0xffffff, v2
	s_cbranch_execz .LBB216_3729
; %bb.3722:                             ;   in Loop: Header=BB216_2096 Depth=1
	v_mov_b64_e32 v[6:7], 0x8000000000000000
	v_lshrrev_b32_e32 v3, 24, v2
	s_mov_b32 s1, exec_lo
	s_delay_alu instid0(VALU_DEP_1)
	v_cmpx_ne_u32_e32 0x80, v3
	s_cbranch_execz .LBB216_3728
; %bb.3723:                             ;   in Loop: Header=BB216_2096 Depth=1
	v_mov_b64_e32 v[6:7], 0x7f80000100000000
	v_bfe_u32 v0, v2, 24, 7
	s_mov_b32 s2, exec_lo
	s_delay_alu instid0(VALU_DEP_1)
	v_cmpx_ne_u32_e32 0x7f, v0
	s_cbranch_execz .LBB216_3727
; %bb.3724:                             ;   in Loop: Header=BB216_2096 Depth=1
	scratch_load_b64 v[8:9], off, s32 offset:192 th:TH_LOAD_LU ; 8-byte Folded Reload
	s_wait_loadcnt 0x0
	v_dual_lshrrev_b32 v2, 3, v0 :: v_dual_bitop2_b32 v8, 7, v3 bitop3:0x40
	v_cmp_gt_u32_e32 vcc_lo, 8, v0
	s_delay_alu instid0(VALU_DEP_2)
	v_mov_b64_e32 v[0:1], v[8:9]
	s_wait_xcnt 0x0
	s_and_saveexec_b32 s3, vcc_lo
; %bb.3725:                             ;   in Loop: Header=BB216_2096 Depth=1
	v_clz_i32_u32_e32 v0, v8
	s_delay_alu instid0(VALU_DEP_1) | instskip(NEXT) | instid1(VALU_DEP_1)
	v_min_u32_e32 v2, 32, v0
	v_subrev_nc_u32_e32 v0, 28, v2
	s_delay_alu instid0(VALU_DEP_1) | instskip(NEXT) | instid1(VALU_DEP_1)
	v_lshlrev_b64_e32 v[0:1], v0, v[8:9]
	v_dual_sub_nc_u32 v2, 29, v2 :: v_dual_bitop2_b32 v0, 7, v0 bitop3:0x40
; %bb.3726:                             ;   in Loop: Header=BB216_2096 Depth=1
	s_or_b32 exec_lo, exec_lo, s3
	s_delay_alu instid0(VALU_DEP_1) | instskip(NEXT) | instid1(VALU_DEP_2)
	v_dual_lshlrev_b32 v1, 24, v3 :: v_dual_lshlrev_b32 v0, 20, v0
	v_lshl_add_u32 v2, v2, 23, 0x3c000000
	v_mov_b32_e32 v6, v9
	s_delay_alu instid0(VALU_DEP_3) | instskip(NEXT) | instid1(VALU_DEP_1)
	v_and_b32_e32 v1, 0x80000000, v1
	v_or3_b32 v7, v0, v1, v2
	v_mov_b32_e32 v1, v9
	scratch_store_b64 off, v[0:1], s32 offset:192 ; 8-byte Folded Spill
.LBB216_3727:                           ;   in Loop: Header=BB216_2096 Depth=1
	s_wait_xcnt 0x0
	s_or_b32 exec_lo, exec_lo, s2
.LBB216_3728:                           ;   in Loop: Header=BB216_2096 Depth=1
	s_delay_alu instid0(SALU_CYCLE_1)
	s_or_b32 exec_lo, exec_lo, s1
.LBB216_3729:                           ;   in Loop: Header=BB216_2096 Depth=1
	s_delay_alu instid0(SALU_CYCLE_1)
	s_or_b32 exec_lo, exec_lo, s0
	flat_load_b32 v2, v[24:25] offset:6528
	v_mov_b64_e32 v[16:17], 0
	v_mov_b64_e32 v[88:89], 0
	s_mov_b32 s0, exec_lo
	s_wait_loadcnt_dscnt 0x0
	v_and_b32_e32 v0, 0xff, v2
	s_wait_xcnt 0x0
	s_delay_alu instid0(VALU_DEP_1)
	v_cmpx_ne_u16_e32 0, v0
	s_cbranch_execz .LBB216_3737
; %bb.3730:                             ;   in Loop: Header=BB216_2096 Depth=1
	v_mov_b64_e32 v[88:89], 0x80000000
	s_mov_b32 s1, exec_lo
	v_cmpx_ne_u16_e32 0x80, v0
	s_cbranch_execz .LBB216_3736
; %bb.3731:                             ;   in Loop: Header=BB216_2096 Depth=1
	v_mov_b64_e32 v[88:89], 0x7f800001
	v_and_b32_e32 v0, 0x7f, v2
	s_mov_b32 s2, exec_lo
	s_delay_alu instid0(VALU_DEP_1)
	v_cmpx_ne_u32_e32 0x7f, v0
	s_cbranch_execz .LBB216_3735
; %bb.3732:                             ;   in Loop: Header=BB216_2096 Depth=1
	scratch_load_b64 v[88:89], off, s32 offset:192 th:TH_LOAD_LU ; 8-byte Folded Reload
	s_wait_loadcnt 0x0
	v_dual_lshrrev_b32 v3, 3, v0 :: v_dual_bitop2_b32 v88, 7, v2 bitop3:0x40
	v_cmp_gt_u32_e32 vcc_lo, 8, v0
	s_delay_alu instid0(VALU_DEP_2)
	v_mov_b64_e32 v[0:1], v[88:89]
	s_wait_xcnt 0x0
	s_and_saveexec_b32 s3, vcc_lo
; %bb.3733:                             ;   in Loop: Header=BB216_2096 Depth=1
	v_clz_i32_u32_e32 v0, v88
	s_delay_alu instid0(VALU_DEP_1) | instskip(NEXT) | instid1(VALU_DEP_1)
	v_min_u32_e32 v3, 32, v0
	v_subrev_nc_u32_e32 v0, 28, v3
	s_delay_alu instid0(VALU_DEP_1) | instskip(NEXT) | instid1(VALU_DEP_1)
	v_lshlrev_b64_e32 v[0:1], v0, v[88:89]
	v_dual_sub_nc_u32 v3, 29, v3 :: v_dual_bitop2_b32 v0, 7, v0 bitop3:0x40
; %bb.3734:                             ;   in Loop: Header=BB216_2096 Depth=1
	s_or_b32 exec_lo, exec_lo, s3
	s_delay_alu instid0(VALU_DEP_1) | instskip(NEXT) | instid1(VALU_DEP_2)
	v_dual_lshlrev_b32 v1, 24, v2 :: v_dual_lshlrev_b32 v0, 20, v0
	v_lshl_add_u32 v3, v3, 23, 0x3c000000
	s_delay_alu instid0(VALU_DEP_2) | instskip(NEXT) | instid1(VALU_DEP_1)
	v_and_b32_e32 v1, 0x80000000, v1
	v_or3_b32 v88, v0, v1, v3
	v_mov_b32_e32 v1, v89
	scratch_store_b64 off, v[0:1], s32 offset:192 ; 8-byte Folded Spill
.LBB216_3735:                           ;   in Loop: Header=BB216_2096 Depth=1
	s_wait_xcnt 0x0
	s_or_b32 exec_lo, exec_lo, s2
.LBB216_3736:                           ;   in Loop: Header=BB216_2096 Depth=1
	s_delay_alu instid0(SALU_CYCLE_1)
	s_or_b32 exec_lo, exec_lo, s1
.LBB216_3737:                           ;   in Loop: Header=BB216_2096 Depth=1
	s_delay_alu instid0(SALU_CYCLE_1) | instskip(SKIP_2) | instid1(VALU_DEP_1)
	s_or_b32 exec_lo, exec_lo, s0
	v_lshrrev_b16 v0, 8, v2
	s_mov_b32 s0, exec_lo
	v_cmpx_ne_u16_e32 0, v0
	s_cbranch_execz .LBB216_3745
; %bb.3738:                             ;   in Loop: Header=BB216_2096 Depth=1
	v_mov_b64_e32 v[16:17], 0x8000000000000000
	s_mov_b32 s1, exec_lo
	v_cmpx_ne_u16_e32 0x80, v0
	s_cbranch_execz .LBB216_3744
; %bb.3739:                             ;   in Loop: Header=BB216_2096 Depth=1
	v_and_b32_e32 v1, 0xffff, v0
	v_mov_b64_e32 v[16:17], 0x7f80000100000000
	s_mov_b32 s2, exec_lo
	s_delay_alu instid0(VALU_DEP_2) | instskip(NEXT) | instid1(VALU_DEP_1)
	v_and_b32_e32 v0, 0x7f, v1
	v_cmpx_ne_u32_e32 0x7f, v0
	s_cbranch_execz .LBB216_3743
; %bb.3740:                             ;   in Loop: Header=BB216_2096 Depth=1
	scratch_load_b64 v[8:9], off, s32 offset:192 th:TH_LOAD_LU ; 8-byte Folded Reload
	s_wait_loadcnt 0x0
	v_dual_lshrrev_b32 v3, 3, v0 :: v_dual_bitop2_b32 v8, 7, v1 bitop3:0x40
	v_cmp_gt_u32_e32 vcc_lo, 8, v0
	s_delay_alu instid0(VALU_DEP_2)
	v_mov_b64_e32 v[0:1], v[8:9]
	s_wait_xcnt 0x0
	s_and_saveexec_b32 s3, vcc_lo
; %bb.3741:                             ;   in Loop: Header=BB216_2096 Depth=1
	v_clz_i32_u32_e32 v0, v8
	s_delay_alu instid0(VALU_DEP_1) | instskip(NEXT) | instid1(VALU_DEP_1)
	v_min_u32_e32 v3, 32, v0
	v_subrev_nc_u32_e32 v0, 28, v3
	s_delay_alu instid0(VALU_DEP_1) | instskip(NEXT) | instid1(VALU_DEP_1)
	v_lshlrev_b64_e32 v[0:1], v0, v[8:9]
	v_dual_sub_nc_u32 v3, 29, v3 :: v_dual_bitop2_b32 v0, 7, v0 bitop3:0x40
; %bb.3742:                             ;   in Loop: Header=BB216_2096 Depth=1
	s_or_b32 exec_lo, exec_lo, s3
	s_delay_alu instid0(VALU_DEP_1) | instskip(NEXT) | instid1(VALU_DEP_2)
	v_dual_lshlrev_b32 v1, 16, v2 :: v_dual_lshlrev_b32 v0, 20, v0
	v_lshl_add_u32 v3, v3, 23, 0x3c000000
	v_mov_b32_e32 v16, v9
	s_delay_alu instid0(VALU_DEP_3) | instskip(NEXT) | instid1(VALU_DEP_1)
	v_and_b32_e32 v1, 0x80000000, v1
	v_or3_b32 v17, v0, v1, v3
	v_mov_b32_e32 v1, v9
	scratch_store_b64 off, v[0:1], s32 offset:192 ; 8-byte Folded Spill
.LBB216_3743:                           ;   in Loop: Header=BB216_2096 Depth=1
	s_wait_xcnt 0x0
	s_or_b32 exec_lo, exec_lo, s2
.LBB216_3744:                           ;   in Loop: Header=BB216_2096 Depth=1
	s_delay_alu instid0(SALU_CYCLE_1)
	s_or_b32 exec_lo, exec_lo, s1
.LBB216_3745:                           ;   in Loop: Header=BB216_2096 Depth=1
	s_delay_alu instid0(SALU_CYCLE_1) | instskip(SKIP_4) | instid1(VALU_DEP_3)
	s_or_b32 exec_lo, exec_lo, s0
	v_lshrrev_b32_e32 v3, 16, v2
	v_mov_b64_e32 v[18:19], 0
	v_mov_b64_e32 v[76:77], 0
	s_mov_b32 s0, exec_lo
	v_and_b32_e32 v0, 0xff, v3
	s_delay_alu instid0(VALU_DEP_1)
	v_cmpx_ne_u16_e32 0, v0
	s_cbranch_execz .LBB216_3753
; %bb.3746:                             ;   in Loop: Header=BB216_2096 Depth=1
	v_mov_b64_e32 v[76:77], 0x80000000
	s_mov_b32 s1, exec_lo
	v_cmpx_ne_u16_e32 0x80, v0
	s_cbranch_execz .LBB216_3752
; %bb.3747:                             ;   in Loop: Header=BB216_2096 Depth=1
	v_mov_b64_e32 v[76:77], 0x7f800001
	v_bfe_u32 v0, v2, 16, 7
	s_mov_b32 s2, exec_lo
	s_delay_alu instid0(VALU_DEP_1)
	v_cmpx_ne_u32_e32 0x7f, v0
	s_cbranch_execz .LBB216_3751
; %bb.3748:                             ;   in Loop: Header=BB216_2096 Depth=1
	scratch_load_b64 v[76:77], off, s32 offset:192 th:TH_LOAD_LU ; 8-byte Folded Reload
	s_wait_loadcnt 0x0
	v_dual_lshrrev_b32 v8, 3, v0 :: v_dual_bitop2_b32 v76, 7, v3 bitop3:0x40
	v_cmp_gt_u32_e32 vcc_lo, 8, v0
	s_delay_alu instid0(VALU_DEP_2)
	v_mov_b64_e32 v[0:1], v[76:77]
	s_wait_xcnt 0x0
	s_and_saveexec_b32 s3, vcc_lo
; %bb.3749:                             ;   in Loop: Header=BB216_2096 Depth=1
	v_clz_i32_u32_e32 v0, v76
	s_delay_alu instid0(VALU_DEP_1) | instskip(NEXT) | instid1(VALU_DEP_1)
	v_min_u32_e32 v8, 32, v0
	v_subrev_nc_u32_e32 v0, 28, v8
	v_sub_nc_u32_e32 v8, 29, v8
	s_delay_alu instid0(VALU_DEP_2) | instskip(NEXT) | instid1(VALU_DEP_1)
	v_lshlrev_b64_e32 v[0:1], v0, v[76:77]
	v_and_b32_e32 v0, 7, v0
; %bb.3750:                             ;   in Loop: Header=BB216_2096 Depth=1
	s_or_b32 exec_lo, exec_lo, s3
	s_delay_alu instid0(VALU_DEP_1) | instskip(SKIP_1) | instid1(VALU_DEP_2)
	v_dual_lshlrev_b32 v1, 24, v3 :: v_dual_lshlrev_b32 v0, 20, v0
	v_lshl_add_u32 v3, v8, 23, 0x3c000000
	v_and_b32_e32 v1, 0x80000000, v1
	s_delay_alu instid0(VALU_DEP_1)
	v_or3_b32 v76, v0, v1, v3
	v_mov_b32_e32 v1, v77
	scratch_store_b64 off, v[0:1], s32 offset:192 ; 8-byte Folded Spill
.LBB216_3751:                           ;   in Loop: Header=BB216_2096 Depth=1
	s_wait_xcnt 0x0
	s_or_b32 exec_lo, exec_lo, s2
.LBB216_3752:                           ;   in Loop: Header=BB216_2096 Depth=1
	s_delay_alu instid0(SALU_CYCLE_1)
	s_or_b32 exec_lo, exec_lo, s1
.LBB216_3753:                           ;   in Loop: Header=BB216_2096 Depth=1
	s_delay_alu instid0(SALU_CYCLE_1) | instskip(NEXT) | instid1(SALU_CYCLE_1)
	s_or_b32 exec_lo, exec_lo, s0
	s_mov_b32 s0, exec_lo
	v_cmpx_lt_u32_e32 0xffffff, v2
	s_cbranch_execz .LBB216_3761
; %bb.3754:                             ;   in Loop: Header=BB216_2096 Depth=1
	v_mov_b64_e32 v[18:19], 0x8000000000000000
	v_lshrrev_b32_e32 v3, 24, v2
	s_mov_b32 s1, exec_lo
	s_delay_alu instid0(VALU_DEP_1)
	v_cmpx_ne_u32_e32 0x80, v3
	s_cbranch_execz .LBB216_3760
; %bb.3755:                             ;   in Loop: Header=BB216_2096 Depth=1
	v_mov_b64_e32 v[18:19], 0x7f80000100000000
	v_bfe_u32 v0, v2, 24, 7
	s_mov_b32 s2, exec_lo
	s_delay_alu instid0(VALU_DEP_1)
	v_cmpx_ne_u32_e32 0x7f, v0
	s_cbranch_execz .LBB216_3759
; %bb.3756:                             ;   in Loop: Header=BB216_2096 Depth=1
	scratch_load_b64 v[8:9], off, s32 offset:192 th:TH_LOAD_LU ; 8-byte Folded Reload
	s_wait_loadcnt 0x0
	v_dual_lshrrev_b32 v2, 3, v0 :: v_dual_bitop2_b32 v8, 7, v3 bitop3:0x40
	v_cmp_gt_u32_e32 vcc_lo, 8, v0
	s_delay_alu instid0(VALU_DEP_2)
	v_mov_b64_e32 v[0:1], v[8:9]
	s_wait_xcnt 0x0
	s_and_saveexec_b32 s3, vcc_lo
; %bb.3757:                             ;   in Loop: Header=BB216_2096 Depth=1
	v_clz_i32_u32_e32 v0, v8
	s_delay_alu instid0(VALU_DEP_1) | instskip(NEXT) | instid1(VALU_DEP_1)
	v_min_u32_e32 v2, 32, v0
	v_subrev_nc_u32_e32 v0, 28, v2
	s_delay_alu instid0(VALU_DEP_1) | instskip(NEXT) | instid1(VALU_DEP_1)
	v_lshlrev_b64_e32 v[0:1], v0, v[8:9]
	v_dual_sub_nc_u32 v2, 29, v2 :: v_dual_bitop2_b32 v0, 7, v0 bitop3:0x40
; %bb.3758:                             ;   in Loop: Header=BB216_2096 Depth=1
	s_or_b32 exec_lo, exec_lo, s3
	s_delay_alu instid0(VALU_DEP_1) | instskip(NEXT) | instid1(VALU_DEP_2)
	v_dual_lshlrev_b32 v1, 24, v3 :: v_dual_lshlrev_b32 v0, 20, v0
	v_lshl_add_u32 v2, v2, 23, 0x3c000000
	v_mov_b32_e32 v18, v9
	s_delay_alu instid0(VALU_DEP_3) | instskip(NEXT) | instid1(VALU_DEP_1)
	v_and_b32_e32 v1, 0x80000000, v1
	v_or3_b32 v19, v0, v1, v2
	v_mov_b32_e32 v1, v9
	scratch_store_b64 off, v[0:1], s32 offset:192 ; 8-byte Folded Spill
.LBB216_3759:                           ;   in Loop: Header=BB216_2096 Depth=1
	s_wait_xcnt 0x0
	s_or_b32 exec_lo, exec_lo, s2
.LBB216_3760:                           ;   in Loop: Header=BB216_2096 Depth=1
	s_delay_alu instid0(SALU_CYCLE_1)
	s_or_b32 exec_lo, exec_lo, s1
.LBB216_3761:                           ;   in Loop: Header=BB216_2096 Depth=1
	s_delay_alu instid0(SALU_CYCLE_1)
	s_or_b32 exec_lo, exec_lo, s0
	flat_load_b32 v2, v[24:25] offset:6656
	v_mov_b64_e32 v[100:101], 0
	v_mov_b64_e32 v[12:13], 0
	s_mov_b32 s0, exec_lo
	s_wait_loadcnt_dscnt 0x0
	v_and_b32_e32 v0, 0xff, v2
	s_wait_xcnt 0x0
	s_delay_alu instid0(VALU_DEP_1)
	v_cmpx_ne_u16_e32 0, v0
	s_cbranch_execz .LBB216_3769
; %bb.3762:                             ;   in Loop: Header=BB216_2096 Depth=1
	v_mov_b64_e32 v[12:13], 0x80000000
	s_mov_b32 s1, exec_lo
	v_cmpx_ne_u16_e32 0x80, v0
	s_cbranch_execz .LBB216_3768
; %bb.3763:                             ;   in Loop: Header=BB216_2096 Depth=1
	v_mov_b64_e32 v[12:13], 0x7f800001
	v_and_b32_e32 v0, 0x7f, v2
	s_mov_b32 s2, exec_lo
	s_delay_alu instid0(VALU_DEP_1)
	v_cmpx_ne_u32_e32 0x7f, v0
	s_cbranch_execz .LBB216_3767
; %bb.3764:                             ;   in Loop: Header=BB216_2096 Depth=1
	scratch_load_b64 v[12:13], off, s32 offset:192 th:TH_LOAD_LU ; 8-byte Folded Reload
	s_wait_loadcnt 0x0
	v_dual_lshrrev_b32 v3, 3, v0 :: v_dual_bitop2_b32 v12, 7, v2 bitop3:0x40
	v_cmp_gt_u32_e32 vcc_lo, 8, v0
	s_delay_alu instid0(VALU_DEP_2)
	v_mov_b64_e32 v[0:1], v[12:13]
	s_wait_xcnt 0x0
	s_and_saveexec_b32 s3, vcc_lo
; %bb.3765:                             ;   in Loop: Header=BB216_2096 Depth=1
	v_clz_i32_u32_e32 v0, v12
	s_delay_alu instid0(VALU_DEP_1) | instskip(NEXT) | instid1(VALU_DEP_1)
	v_min_u32_e32 v3, 32, v0
	v_subrev_nc_u32_e32 v0, 28, v3
	s_delay_alu instid0(VALU_DEP_1) | instskip(NEXT) | instid1(VALU_DEP_1)
	v_lshlrev_b64_e32 v[0:1], v0, v[12:13]
	v_dual_sub_nc_u32 v3, 29, v3 :: v_dual_bitop2_b32 v0, 7, v0 bitop3:0x40
; %bb.3766:                             ;   in Loop: Header=BB216_2096 Depth=1
	s_or_b32 exec_lo, exec_lo, s3
	s_delay_alu instid0(VALU_DEP_1) | instskip(NEXT) | instid1(VALU_DEP_2)
	v_dual_lshlrev_b32 v1, 24, v2 :: v_dual_lshlrev_b32 v0, 20, v0
	v_lshl_add_u32 v3, v3, 23, 0x3c000000
	s_delay_alu instid0(VALU_DEP_2) | instskip(NEXT) | instid1(VALU_DEP_1)
	v_and_b32_e32 v1, 0x80000000, v1
	v_or3_b32 v12, v0, v1, v3
	v_mov_b32_e32 v1, v13
	scratch_store_b64 off, v[0:1], s32 offset:192 ; 8-byte Folded Spill
.LBB216_3767:                           ;   in Loop: Header=BB216_2096 Depth=1
	s_wait_xcnt 0x0
	s_or_b32 exec_lo, exec_lo, s2
.LBB216_3768:                           ;   in Loop: Header=BB216_2096 Depth=1
	s_delay_alu instid0(SALU_CYCLE_1)
	s_or_b32 exec_lo, exec_lo, s1
.LBB216_3769:                           ;   in Loop: Header=BB216_2096 Depth=1
	s_delay_alu instid0(SALU_CYCLE_1) | instskip(SKIP_2) | instid1(VALU_DEP_1)
	s_or_b32 exec_lo, exec_lo, s0
	v_lshrrev_b16 v0, 8, v2
	s_mov_b32 s0, exec_lo
	v_cmpx_ne_u16_e32 0, v0
	s_cbranch_execz .LBB216_3777
; %bb.3770:                             ;   in Loop: Header=BB216_2096 Depth=1
	v_mov_b64_e32 v[100:101], 0x8000000000000000
	s_mov_b32 s1, exec_lo
	v_cmpx_ne_u16_e32 0x80, v0
	s_cbranch_execz .LBB216_3776
; %bb.3771:                             ;   in Loop: Header=BB216_2096 Depth=1
	v_and_b32_e32 v1, 0xffff, v0
	v_mov_b64_e32 v[100:101], 0x7f80000100000000
	s_mov_b32 s2, exec_lo
	s_delay_alu instid0(VALU_DEP_2) | instskip(NEXT) | instid1(VALU_DEP_1)
	v_and_b32_e32 v0, 0x7f, v1
	v_cmpx_ne_u32_e32 0x7f, v0
	s_cbranch_execz .LBB216_3775
; %bb.3772:                             ;   in Loop: Header=BB216_2096 Depth=1
	scratch_load_b64 v[8:9], off, s32 offset:192 th:TH_LOAD_LU ; 8-byte Folded Reload
	s_wait_loadcnt 0x0
	v_dual_lshrrev_b32 v3, 3, v0 :: v_dual_bitop2_b32 v8, 7, v1 bitop3:0x40
	v_cmp_gt_u32_e32 vcc_lo, 8, v0
	s_delay_alu instid0(VALU_DEP_2)
	v_mov_b64_e32 v[0:1], v[8:9]
	s_wait_xcnt 0x0
	s_and_saveexec_b32 s3, vcc_lo
; %bb.3773:                             ;   in Loop: Header=BB216_2096 Depth=1
	v_clz_i32_u32_e32 v0, v8
	s_delay_alu instid0(VALU_DEP_1) | instskip(NEXT) | instid1(VALU_DEP_1)
	v_min_u32_e32 v3, 32, v0
	v_subrev_nc_u32_e32 v0, 28, v3
	s_delay_alu instid0(VALU_DEP_1) | instskip(NEXT) | instid1(VALU_DEP_1)
	v_lshlrev_b64_e32 v[0:1], v0, v[8:9]
	v_dual_sub_nc_u32 v3, 29, v3 :: v_dual_bitop2_b32 v0, 7, v0 bitop3:0x40
; %bb.3774:                             ;   in Loop: Header=BB216_2096 Depth=1
	s_or_b32 exec_lo, exec_lo, s3
	s_delay_alu instid0(VALU_DEP_1) | instskip(NEXT) | instid1(VALU_DEP_2)
	v_dual_lshlrev_b32 v1, 16, v2 :: v_dual_lshlrev_b32 v0, 20, v0
	v_lshl_add_u32 v3, v3, 23, 0x3c000000
	v_mov_b32_e32 v100, v9
	s_delay_alu instid0(VALU_DEP_3) | instskip(NEXT) | instid1(VALU_DEP_1)
	v_and_b32_e32 v1, 0x80000000, v1
	v_or3_b32 v101, v0, v1, v3
	v_mov_b32_e32 v1, v9
	scratch_store_b64 off, v[0:1], s32 offset:192 ; 8-byte Folded Spill
.LBB216_3775:                           ;   in Loop: Header=BB216_2096 Depth=1
	s_wait_xcnt 0x0
	s_or_b32 exec_lo, exec_lo, s2
.LBB216_3776:                           ;   in Loop: Header=BB216_2096 Depth=1
	s_delay_alu instid0(SALU_CYCLE_1)
	s_or_b32 exec_lo, exec_lo, s1
.LBB216_3777:                           ;   in Loop: Header=BB216_2096 Depth=1
	s_delay_alu instid0(SALU_CYCLE_1) | instskip(SKIP_4) | instid1(VALU_DEP_3)
	s_or_b32 exec_lo, exec_lo, s0
	v_lshrrev_b32_e32 v3, 16, v2
	v_mov_b64_e32 v[52:53], 0
	v_mov_b64_e32 v[20:21], 0
	s_mov_b32 s0, exec_lo
	v_and_b32_e32 v0, 0xff, v3
	s_delay_alu instid0(VALU_DEP_1)
	v_cmpx_ne_u16_e32 0, v0
	s_cbranch_execz .LBB216_3785
; %bb.3778:                             ;   in Loop: Header=BB216_2096 Depth=1
	v_mov_b64_e32 v[20:21], 0x80000000
	s_mov_b32 s1, exec_lo
	v_cmpx_ne_u16_e32 0x80, v0
	s_cbranch_execz .LBB216_3784
; %bb.3779:                             ;   in Loop: Header=BB216_2096 Depth=1
	v_mov_b64_e32 v[20:21], 0x7f800001
	v_bfe_u32 v0, v2, 16, 7
	s_mov_b32 s2, exec_lo
	s_delay_alu instid0(VALU_DEP_1)
	v_cmpx_ne_u32_e32 0x7f, v0
	s_cbranch_execz .LBB216_3783
; %bb.3780:                             ;   in Loop: Header=BB216_2096 Depth=1
	scratch_load_b64 v[20:21], off, s32 offset:192 th:TH_LOAD_LU ; 8-byte Folded Reload
	s_wait_loadcnt 0x0
	v_dual_lshrrev_b32 v8, 3, v0 :: v_dual_bitop2_b32 v20, 7, v3 bitop3:0x40
	v_cmp_gt_u32_e32 vcc_lo, 8, v0
	s_delay_alu instid0(VALU_DEP_2)
	v_mov_b64_e32 v[0:1], v[20:21]
	s_wait_xcnt 0x0
	s_and_saveexec_b32 s3, vcc_lo
; %bb.3781:                             ;   in Loop: Header=BB216_2096 Depth=1
	v_clz_i32_u32_e32 v0, v20
	s_delay_alu instid0(VALU_DEP_1) | instskip(NEXT) | instid1(VALU_DEP_1)
	v_min_u32_e32 v8, 32, v0
	v_subrev_nc_u32_e32 v0, 28, v8
	v_sub_nc_u32_e32 v8, 29, v8
	s_delay_alu instid0(VALU_DEP_2) | instskip(NEXT) | instid1(VALU_DEP_1)
	v_lshlrev_b64_e32 v[0:1], v0, v[20:21]
	v_and_b32_e32 v0, 7, v0
; %bb.3782:                             ;   in Loop: Header=BB216_2096 Depth=1
	s_or_b32 exec_lo, exec_lo, s3
	s_delay_alu instid0(VALU_DEP_1) | instskip(SKIP_1) | instid1(VALU_DEP_2)
	v_dual_lshlrev_b32 v1, 24, v3 :: v_dual_lshlrev_b32 v0, 20, v0
	v_lshl_add_u32 v3, v8, 23, 0x3c000000
	v_and_b32_e32 v1, 0x80000000, v1
	s_delay_alu instid0(VALU_DEP_1)
	v_or3_b32 v20, v0, v1, v3
	v_mov_b32_e32 v1, v21
	scratch_store_b64 off, v[0:1], s32 offset:192 ; 8-byte Folded Spill
.LBB216_3783:                           ;   in Loop: Header=BB216_2096 Depth=1
	s_wait_xcnt 0x0
	s_or_b32 exec_lo, exec_lo, s2
.LBB216_3784:                           ;   in Loop: Header=BB216_2096 Depth=1
	s_delay_alu instid0(SALU_CYCLE_1)
	s_or_b32 exec_lo, exec_lo, s1
.LBB216_3785:                           ;   in Loop: Header=BB216_2096 Depth=1
	s_delay_alu instid0(SALU_CYCLE_1) | instskip(NEXT) | instid1(SALU_CYCLE_1)
	s_or_b32 exec_lo, exec_lo, s0
	s_mov_b32 s0, exec_lo
	v_cmpx_lt_u32_e32 0xffffff, v2
	s_cbranch_execz .LBB216_3793
; %bb.3786:                             ;   in Loop: Header=BB216_2096 Depth=1
	v_mov_b64_e32 v[52:53], 0x8000000000000000
	v_lshrrev_b32_e32 v3, 24, v2
	s_mov_b32 s1, exec_lo
	s_delay_alu instid0(VALU_DEP_1)
	v_cmpx_ne_u32_e32 0x80, v3
	s_cbranch_execz .LBB216_3792
; %bb.3787:                             ;   in Loop: Header=BB216_2096 Depth=1
	v_mov_b64_e32 v[52:53], 0x7f80000100000000
	v_bfe_u32 v0, v2, 24, 7
	s_mov_b32 s2, exec_lo
	s_delay_alu instid0(VALU_DEP_1)
	v_cmpx_ne_u32_e32 0x7f, v0
	s_cbranch_execz .LBB216_3791
; %bb.3788:                             ;   in Loop: Header=BB216_2096 Depth=1
	scratch_load_b64 v[8:9], off, s32 offset:192 th:TH_LOAD_LU ; 8-byte Folded Reload
	s_wait_loadcnt 0x0
	v_dual_lshrrev_b32 v2, 3, v0 :: v_dual_bitop2_b32 v8, 7, v3 bitop3:0x40
	v_cmp_gt_u32_e32 vcc_lo, 8, v0
	s_delay_alu instid0(VALU_DEP_2)
	v_mov_b64_e32 v[0:1], v[8:9]
	s_wait_xcnt 0x0
	s_and_saveexec_b32 s3, vcc_lo
; %bb.3789:                             ;   in Loop: Header=BB216_2096 Depth=1
	v_clz_i32_u32_e32 v0, v8
	s_delay_alu instid0(VALU_DEP_1) | instskip(NEXT) | instid1(VALU_DEP_1)
	v_min_u32_e32 v2, 32, v0
	v_subrev_nc_u32_e32 v0, 28, v2
	s_delay_alu instid0(VALU_DEP_1) | instskip(NEXT) | instid1(VALU_DEP_1)
	v_lshlrev_b64_e32 v[0:1], v0, v[8:9]
	v_dual_sub_nc_u32 v2, 29, v2 :: v_dual_bitop2_b32 v0, 7, v0 bitop3:0x40
; %bb.3790:                             ;   in Loop: Header=BB216_2096 Depth=1
	s_or_b32 exec_lo, exec_lo, s3
	s_delay_alu instid0(VALU_DEP_1) | instskip(NEXT) | instid1(VALU_DEP_2)
	v_dual_lshlrev_b32 v1, 24, v3 :: v_dual_lshlrev_b32 v0, 20, v0
	v_lshl_add_u32 v2, v2, 23, 0x3c000000
	v_mov_b32_e32 v52, v9
	s_delay_alu instid0(VALU_DEP_3) | instskip(NEXT) | instid1(VALU_DEP_1)
	v_and_b32_e32 v1, 0x80000000, v1
	v_or3_b32 v53, v0, v1, v2
	v_mov_b32_e32 v1, v9
	scratch_store_b64 off, v[0:1], s32 offset:192 ; 8-byte Folded Spill
.LBB216_3791:                           ;   in Loop: Header=BB216_2096 Depth=1
	s_wait_xcnt 0x0
	s_or_b32 exec_lo, exec_lo, s2
.LBB216_3792:                           ;   in Loop: Header=BB216_2096 Depth=1
	s_delay_alu instid0(SALU_CYCLE_1)
	s_or_b32 exec_lo, exec_lo, s1
.LBB216_3793:                           ;   in Loop: Header=BB216_2096 Depth=1
	s_delay_alu instid0(SALU_CYCLE_1)
	s_or_b32 exec_lo, exec_lo, s0
	flat_load_b32 v2, v[24:25] offset:6784
	v_mov_b64_e32 v[28:29], 0
	v_mov_b64_e32 v[32:33], 0
	s_mov_b32 s0, exec_lo
	s_wait_loadcnt_dscnt 0x0
	v_and_b32_e32 v0, 0xff, v2
	s_wait_xcnt 0x0
	s_delay_alu instid0(VALU_DEP_1)
	v_cmpx_ne_u16_e32 0, v0
	s_cbranch_execz .LBB216_3801
; %bb.3794:                             ;   in Loop: Header=BB216_2096 Depth=1
	v_mov_b64_e32 v[32:33], 0x80000000
	s_mov_b32 s1, exec_lo
	v_cmpx_ne_u16_e32 0x80, v0
	s_cbranch_execz .LBB216_3800
; %bb.3795:                             ;   in Loop: Header=BB216_2096 Depth=1
	v_mov_b64_e32 v[32:33], 0x7f800001
	v_and_b32_e32 v0, 0x7f, v2
	s_mov_b32 s2, exec_lo
	s_delay_alu instid0(VALU_DEP_1)
	v_cmpx_ne_u32_e32 0x7f, v0
	s_cbranch_execz .LBB216_3799
; %bb.3796:                             ;   in Loop: Header=BB216_2096 Depth=1
	scratch_load_b64 v[32:33], off, s32 offset:192 th:TH_LOAD_LU ; 8-byte Folded Reload
	s_wait_loadcnt 0x0
	v_dual_lshrrev_b32 v3, 3, v0 :: v_dual_bitop2_b32 v32, 7, v2 bitop3:0x40
	v_cmp_gt_u32_e32 vcc_lo, 8, v0
	s_delay_alu instid0(VALU_DEP_2)
	v_mov_b64_e32 v[0:1], v[32:33]
	s_wait_xcnt 0x0
	s_and_saveexec_b32 s3, vcc_lo
; %bb.3797:                             ;   in Loop: Header=BB216_2096 Depth=1
	v_clz_i32_u32_e32 v0, v32
	s_delay_alu instid0(VALU_DEP_1) | instskip(NEXT) | instid1(VALU_DEP_1)
	v_min_u32_e32 v3, 32, v0
	v_subrev_nc_u32_e32 v0, 28, v3
	s_delay_alu instid0(VALU_DEP_1) | instskip(NEXT) | instid1(VALU_DEP_1)
	v_lshlrev_b64_e32 v[0:1], v0, v[32:33]
	v_dual_sub_nc_u32 v3, 29, v3 :: v_dual_bitop2_b32 v0, 7, v0 bitop3:0x40
; %bb.3798:                             ;   in Loop: Header=BB216_2096 Depth=1
	s_or_b32 exec_lo, exec_lo, s3
	s_delay_alu instid0(VALU_DEP_1) | instskip(NEXT) | instid1(VALU_DEP_2)
	v_dual_lshlrev_b32 v1, 24, v2 :: v_dual_lshlrev_b32 v0, 20, v0
	v_lshl_add_u32 v3, v3, 23, 0x3c000000
	s_delay_alu instid0(VALU_DEP_2) | instskip(NEXT) | instid1(VALU_DEP_1)
	v_and_b32_e32 v1, 0x80000000, v1
	v_or3_b32 v32, v0, v1, v3
	v_mov_b32_e32 v1, v33
	scratch_store_b64 off, v[0:1], s32 offset:192 ; 8-byte Folded Spill
.LBB216_3799:                           ;   in Loop: Header=BB216_2096 Depth=1
	s_wait_xcnt 0x0
	s_or_b32 exec_lo, exec_lo, s2
.LBB216_3800:                           ;   in Loop: Header=BB216_2096 Depth=1
	s_delay_alu instid0(SALU_CYCLE_1)
	s_or_b32 exec_lo, exec_lo, s1
.LBB216_3801:                           ;   in Loop: Header=BB216_2096 Depth=1
	s_delay_alu instid0(SALU_CYCLE_1) | instskip(SKIP_2) | instid1(VALU_DEP_1)
	s_or_b32 exec_lo, exec_lo, s0
	v_lshrrev_b16 v0, 8, v2
	s_mov_b32 s0, exec_lo
	v_cmpx_ne_u16_e32 0, v0
	s_cbranch_execz .LBB216_3809
; %bb.3802:                             ;   in Loop: Header=BB216_2096 Depth=1
	v_mov_b64_e32 v[28:29], 0x8000000000000000
	s_mov_b32 s1, exec_lo
	v_cmpx_ne_u16_e32 0x80, v0
	s_cbranch_execz .LBB216_3808
; %bb.3803:                             ;   in Loop: Header=BB216_2096 Depth=1
	v_and_b32_e32 v1, 0xffff, v0
	v_mov_b64_e32 v[28:29], 0x7f80000100000000
	s_mov_b32 s2, exec_lo
	s_delay_alu instid0(VALU_DEP_2) | instskip(NEXT) | instid1(VALU_DEP_1)
	v_and_b32_e32 v0, 0x7f, v1
	v_cmpx_ne_u32_e32 0x7f, v0
	s_cbranch_execz .LBB216_3807
; %bb.3804:                             ;   in Loop: Header=BB216_2096 Depth=1
	scratch_load_b64 v[8:9], off, s32 offset:192 th:TH_LOAD_LU ; 8-byte Folded Reload
	s_wait_loadcnt 0x0
	v_dual_lshrrev_b32 v3, 3, v0 :: v_dual_bitop2_b32 v8, 7, v1 bitop3:0x40
	v_cmp_gt_u32_e32 vcc_lo, 8, v0
	s_delay_alu instid0(VALU_DEP_2)
	v_mov_b64_e32 v[0:1], v[8:9]
	s_wait_xcnt 0x0
	s_and_saveexec_b32 s3, vcc_lo
; %bb.3805:                             ;   in Loop: Header=BB216_2096 Depth=1
	v_clz_i32_u32_e32 v0, v8
	s_delay_alu instid0(VALU_DEP_1) | instskip(NEXT) | instid1(VALU_DEP_1)
	v_min_u32_e32 v3, 32, v0
	v_subrev_nc_u32_e32 v0, 28, v3
	s_delay_alu instid0(VALU_DEP_1) | instskip(NEXT) | instid1(VALU_DEP_1)
	v_lshlrev_b64_e32 v[0:1], v0, v[8:9]
	v_dual_sub_nc_u32 v3, 29, v3 :: v_dual_bitop2_b32 v0, 7, v0 bitop3:0x40
; %bb.3806:                             ;   in Loop: Header=BB216_2096 Depth=1
	s_or_b32 exec_lo, exec_lo, s3
	s_delay_alu instid0(VALU_DEP_1) | instskip(NEXT) | instid1(VALU_DEP_2)
	v_dual_lshlrev_b32 v1, 16, v2 :: v_dual_lshlrev_b32 v0, 20, v0
	v_lshl_add_u32 v3, v3, 23, 0x3c000000
	v_mov_b32_e32 v28, v9
	s_delay_alu instid0(VALU_DEP_3) | instskip(NEXT) | instid1(VALU_DEP_1)
	v_and_b32_e32 v1, 0x80000000, v1
	v_or3_b32 v29, v0, v1, v3
	v_mov_b32_e32 v1, v9
	scratch_store_b64 off, v[0:1], s32 offset:192 ; 8-byte Folded Spill
.LBB216_3807:                           ;   in Loop: Header=BB216_2096 Depth=1
	s_wait_xcnt 0x0
	s_or_b32 exec_lo, exec_lo, s2
.LBB216_3808:                           ;   in Loop: Header=BB216_2096 Depth=1
	s_delay_alu instid0(SALU_CYCLE_1)
	s_or_b32 exec_lo, exec_lo, s1
.LBB216_3809:                           ;   in Loop: Header=BB216_2096 Depth=1
	s_delay_alu instid0(SALU_CYCLE_1) | instskip(SKIP_4) | instid1(VALU_DEP_3)
	s_or_b32 exec_lo, exec_lo, s0
	v_lshrrev_b32_e32 v3, 16, v2
	v_mov_b64_e32 v[66:67], 0
	v_mov_b64_e32 v[36:37], 0
	s_mov_b32 s0, exec_lo
	v_and_b32_e32 v0, 0xff, v3
	s_delay_alu instid0(VALU_DEP_1)
	v_cmpx_ne_u16_e32 0, v0
	s_cbranch_execz .LBB216_3817
; %bb.3810:                             ;   in Loop: Header=BB216_2096 Depth=1
	v_mov_b64_e32 v[36:37], 0x80000000
	s_mov_b32 s1, exec_lo
	v_cmpx_ne_u16_e32 0x80, v0
	s_cbranch_execz .LBB216_3816
; %bb.3811:                             ;   in Loop: Header=BB216_2096 Depth=1
	v_mov_b64_e32 v[36:37], 0x7f800001
	v_bfe_u32 v0, v2, 16, 7
	s_mov_b32 s2, exec_lo
	s_delay_alu instid0(VALU_DEP_1)
	v_cmpx_ne_u32_e32 0x7f, v0
	s_cbranch_execz .LBB216_3815
; %bb.3812:                             ;   in Loop: Header=BB216_2096 Depth=1
	scratch_load_b64 v[36:37], off, s32 offset:192 th:TH_LOAD_LU ; 8-byte Folded Reload
	s_wait_loadcnt 0x0
	v_dual_lshrrev_b32 v8, 3, v0 :: v_dual_bitop2_b32 v36, 7, v3 bitop3:0x40
	v_cmp_gt_u32_e32 vcc_lo, 8, v0
	s_delay_alu instid0(VALU_DEP_2)
	v_mov_b64_e32 v[0:1], v[36:37]
	s_wait_xcnt 0x0
	s_and_saveexec_b32 s3, vcc_lo
; %bb.3813:                             ;   in Loop: Header=BB216_2096 Depth=1
	v_clz_i32_u32_e32 v0, v36
	s_delay_alu instid0(VALU_DEP_1) | instskip(NEXT) | instid1(VALU_DEP_1)
	v_min_u32_e32 v8, 32, v0
	v_subrev_nc_u32_e32 v0, 28, v8
	v_sub_nc_u32_e32 v8, 29, v8
	s_delay_alu instid0(VALU_DEP_2) | instskip(NEXT) | instid1(VALU_DEP_1)
	v_lshlrev_b64_e32 v[0:1], v0, v[36:37]
	v_and_b32_e32 v0, 7, v0
; %bb.3814:                             ;   in Loop: Header=BB216_2096 Depth=1
	s_or_b32 exec_lo, exec_lo, s3
	s_delay_alu instid0(VALU_DEP_1) | instskip(SKIP_1) | instid1(VALU_DEP_2)
	v_dual_lshlrev_b32 v1, 24, v3 :: v_dual_lshlrev_b32 v0, 20, v0
	v_lshl_add_u32 v3, v8, 23, 0x3c000000
	v_and_b32_e32 v1, 0x80000000, v1
	s_delay_alu instid0(VALU_DEP_1)
	v_or3_b32 v36, v0, v1, v3
	v_mov_b32_e32 v1, v37
	scratch_store_b64 off, v[0:1], s32 offset:192 ; 8-byte Folded Spill
.LBB216_3815:                           ;   in Loop: Header=BB216_2096 Depth=1
	s_wait_xcnt 0x0
	s_or_b32 exec_lo, exec_lo, s2
.LBB216_3816:                           ;   in Loop: Header=BB216_2096 Depth=1
	s_delay_alu instid0(SALU_CYCLE_1)
	s_or_b32 exec_lo, exec_lo, s1
.LBB216_3817:                           ;   in Loop: Header=BB216_2096 Depth=1
	s_delay_alu instid0(SALU_CYCLE_1) | instskip(NEXT) | instid1(SALU_CYCLE_1)
	s_or_b32 exec_lo, exec_lo, s0
	s_mov_b32 s0, exec_lo
	v_cmpx_lt_u32_e32 0xffffff, v2
	s_cbranch_execz .LBB216_3825
; %bb.3818:                             ;   in Loop: Header=BB216_2096 Depth=1
	v_mov_b64_e32 v[66:67], 0x8000000000000000
	v_lshrrev_b32_e32 v3, 24, v2
	s_mov_b32 s1, exec_lo
	s_delay_alu instid0(VALU_DEP_1)
	v_cmpx_ne_u32_e32 0x80, v3
	s_cbranch_execz .LBB216_3824
; %bb.3819:                             ;   in Loop: Header=BB216_2096 Depth=1
	v_mov_b64_e32 v[66:67], 0x7f80000100000000
	v_bfe_u32 v0, v2, 24, 7
	s_mov_b32 s2, exec_lo
	s_delay_alu instid0(VALU_DEP_1)
	v_cmpx_ne_u32_e32 0x7f, v0
	s_cbranch_execz .LBB216_3823
; %bb.3820:                             ;   in Loop: Header=BB216_2096 Depth=1
	scratch_load_b64 v[8:9], off, s32 offset:192 th:TH_LOAD_LU ; 8-byte Folded Reload
	s_wait_loadcnt 0x0
	v_dual_lshrrev_b32 v2, 3, v0 :: v_dual_bitop2_b32 v8, 7, v3 bitop3:0x40
	v_cmp_gt_u32_e32 vcc_lo, 8, v0
	s_delay_alu instid0(VALU_DEP_2)
	v_mov_b64_e32 v[0:1], v[8:9]
	s_wait_xcnt 0x0
	s_and_saveexec_b32 s3, vcc_lo
; %bb.3821:                             ;   in Loop: Header=BB216_2096 Depth=1
	v_clz_i32_u32_e32 v0, v8
	s_delay_alu instid0(VALU_DEP_1) | instskip(NEXT) | instid1(VALU_DEP_1)
	v_min_u32_e32 v2, 32, v0
	v_subrev_nc_u32_e32 v0, 28, v2
	s_delay_alu instid0(VALU_DEP_1) | instskip(NEXT) | instid1(VALU_DEP_1)
	v_lshlrev_b64_e32 v[0:1], v0, v[8:9]
	v_dual_sub_nc_u32 v2, 29, v2 :: v_dual_bitop2_b32 v0, 7, v0 bitop3:0x40
; %bb.3822:                             ;   in Loop: Header=BB216_2096 Depth=1
	s_or_b32 exec_lo, exec_lo, s3
	s_delay_alu instid0(VALU_DEP_1) | instskip(NEXT) | instid1(VALU_DEP_2)
	v_dual_lshlrev_b32 v1, 24, v3 :: v_dual_lshlrev_b32 v0, 20, v0
	v_lshl_add_u32 v2, v2, 23, 0x3c000000
	v_mov_b32_e32 v66, v9
	s_delay_alu instid0(VALU_DEP_3) | instskip(NEXT) | instid1(VALU_DEP_1)
	v_and_b32_e32 v1, 0x80000000, v1
	v_or3_b32 v67, v0, v1, v2
	v_mov_b32_e32 v1, v9
	scratch_store_b64 off, v[0:1], s32 offset:192 ; 8-byte Folded Spill
.LBB216_3823:                           ;   in Loop: Header=BB216_2096 Depth=1
	s_wait_xcnt 0x0
	s_or_b32 exec_lo, exec_lo, s2
.LBB216_3824:                           ;   in Loop: Header=BB216_2096 Depth=1
	s_delay_alu instid0(SALU_CYCLE_1)
	s_or_b32 exec_lo, exec_lo, s1
.LBB216_3825:                           ;   in Loop: Header=BB216_2096 Depth=1
	s_delay_alu instid0(SALU_CYCLE_1)
	s_or_b32 exec_lo, exec_lo, s0
	flat_load_b32 v2, v[24:25] offset:6912
	v_mov_b64_e32 v[120:121], 0
	v_mov_b64_e32 v[90:91], 0
	s_mov_b32 s0, exec_lo
	s_wait_loadcnt_dscnt 0x0
	v_and_b32_e32 v0, 0xff, v2
	s_wait_xcnt 0x0
	s_delay_alu instid0(VALU_DEP_1)
	v_cmpx_ne_u16_e32 0, v0
	s_cbranch_execz .LBB216_3833
; %bb.3826:                             ;   in Loop: Header=BB216_2096 Depth=1
	v_mov_b64_e32 v[90:91], 0x80000000
	s_mov_b32 s1, exec_lo
	v_cmpx_ne_u16_e32 0x80, v0
	s_cbranch_execz .LBB216_3832
; %bb.3827:                             ;   in Loop: Header=BB216_2096 Depth=1
	v_mov_b64_e32 v[90:91], 0x7f800001
	v_and_b32_e32 v0, 0x7f, v2
	s_mov_b32 s2, exec_lo
	s_delay_alu instid0(VALU_DEP_1)
	v_cmpx_ne_u32_e32 0x7f, v0
	s_cbranch_execz .LBB216_3831
; %bb.3828:                             ;   in Loop: Header=BB216_2096 Depth=1
	scratch_load_b64 v[90:91], off, s32 offset:192 th:TH_LOAD_LU ; 8-byte Folded Reload
	s_wait_loadcnt 0x0
	v_dual_lshrrev_b32 v3, 3, v0 :: v_dual_bitop2_b32 v90, 7, v2 bitop3:0x40
	v_cmp_gt_u32_e32 vcc_lo, 8, v0
	s_delay_alu instid0(VALU_DEP_2)
	v_mov_b64_e32 v[0:1], v[90:91]
	s_wait_xcnt 0x0
	s_and_saveexec_b32 s3, vcc_lo
; %bb.3829:                             ;   in Loop: Header=BB216_2096 Depth=1
	v_clz_i32_u32_e32 v0, v90
	s_delay_alu instid0(VALU_DEP_1) | instskip(NEXT) | instid1(VALU_DEP_1)
	v_min_u32_e32 v3, 32, v0
	v_subrev_nc_u32_e32 v0, 28, v3
	s_delay_alu instid0(VALU_DEP_1) | instskip(NEXT) | instid1(VALU_DEP_1)
	v_lshlrev_b64_e32 v[0:1], v0, v[90:91]
	v_dual_sub_nc_u32 v3, 29, v3 :: v_dual_bitop2_b32 v0, 7, v0 bitop3:0x40
; %bb.3830:                             ;   in Loop: Header=BB216_2096 Depth=1
	s_or_b32 exec_lo, exec_lo, s3
	s_delay_alu instid0(VALU_DEP_1) | instskip(NEXT) | instid1(VALU_DEP_2)
	v_dual_lshlrev_b32 v1, 24, v2 :: v_dual_lshlrev_b32 v0, 20, v0
	v_lshl_add_u32 v3, v3, 23, 0x3c000000
	s_delay_alu instid0(VALU_DEP_2) | instskip(NEXT) | instid1(VALU_DEP_1)
	v_and_b32_e32 v1, 0x80000000, v1
	v_or3_b32 v90, v0, v1, v3
	v_mov_b32_e32 v1, v91
	scratch_store_b64 off, v[0:1], s32 offset:192 ; 8-byte Folded Spill
.LBB216_3831:                           ;   in Loop: Header=BB216_2096 Depth=1
	s_wait_xcnt 0x0
	s_or_b32 exec_lo, exec_lo, s2
.LBB216_3832:                           ;   in Loop: Header=BB216_2096 Depth=1
	s_delay_alu instid0(SALU_CYCLE_1)
	s_or_b32 exec_lo, exec_lo, s1
.LBB216_3833:                           ;   in Loop: Header=BB216_2096 Depth=1
	s_delay_alu instid0(SALU_CYCLE_1) | instskip(SKIP_2) | instid1(VALU_DEP_1)
	s_or_b32 exec_lo, exec_lo, s0
	v_lshrrev_b16 v0, 8, v2
	s_mov_b32 s0, exec_lo
	v_cmpx_ne_u16_e32 0, v0
	s_cbranch_execz .LBB216_3841
; %bb.3834:                             ;   in Loop: Header=BB216_2096 Depth=1
	v_mov_b64_e32 v[120:121], 0x8000000000000000
	s_mov_b32 s1, exec_lo
	v_cmpx_ne_u16_e32 0x80, v0
	s_cbranch_execz .LBB216_3840
; %bb.3835:                             ;   in Loop: Header=BB216_2096 Depth=1
	v_and_b32_e32 v1, 0xffff, v0
	v_mov_b64_e32 v[120:121], 0x7f80000100000000
	s_mov_b32 s2, exec_lo
	s_delay_alu instid0(VALU_DEP_2) | instskip(NEXT) | instid1(VALU_DEP_1)
	v_and_b32_e32 v0, 0x7f, v1
	v_cmpx_ne_u32_e32 0x7f, v0
	s_cbranch_execz .LBB216_3839
; %bb.3836:                             ;   in Loop: Header=BB216_2096 Depth=1
	scratch_load_b64 v[8:9], off, s32 offset:192 th:TH_LOAD_LU ; 8-byte Folded Reload
	s_wait_loadcnt 0x0
	v_dual_lshrrev_b32 v3, 3, v0 :: v_dual_bitop2_b32 v8, 7, v1 bitop3:0x40
	v_cmp_gt_u32_e32 vcc_lo, 8, v0
	s_delay_alu instid0(VALU_DEP_2)
	v_mov_b64_e32 v[0:1], v[8:9]
	s_wait_xcnt 0x0
	s_and_saveexec_b32 s3, vcc_lo
; %bb.3837:                             ;   in Loop: Header=BB216_2096 Depth=1
	v_clz_i32_u32_e32 v0, v8
	s_delay_alu instid0(VALU_DEP_1) | instskip(NEXT) | instid1(VALU_DEP_1)
	v_min_u32_e32 v3, 32, v0
	v_subrev_nc_u32_e32 v0, 28, v3
	s_delay_alu instid0(VALU_DEP_1) | instskip(NEXT) | instid1(VALU_DEP_1)
	v_lshlrev_b64_e32 v[0:1], v0, v[8:9]
	v_dual_sub_nc_u32 v3, 29, v3 :: v_dual_bitop2_b32 v0, 7, v0 bitop3:0x40
; %bb.3838:                             ;   in Loop: Header=BB216_2096 Depth=1
	s_or_b32 exec_lo, exec_lo, s3
	s_delay_alu instid0(VALU_DEP_1) | instskip(NEXT) | instid1(VALU_DEP_2)
	v_dual_lshlrev_b32 v1, 16, v2 :: v_dual_lshlrev_b32 v0, 20, v0
	v_lshl_add_u32 v3, v3, 23, 0x3c000000
	v_mov_b32_e32 v120, v9
	s_delay_alu instid0(VALU_DEP_3) | instskip(NEXT) | instid1(VALU_DEP_1)
	v_and_b32_e32 v1, 0x80000000, v1
	v_or3_b32 v121, v0, v1, v3
	v_mov_b32_e32 v1, v9
	scratch_store_b64 off, v[0:1], s32 offset:192 ; 8-byte Folded Spill
.LBB216_3839:                           ;   in Loop: Header=BB216_2096 Depth=1
	s_wait_xcnt 0x0
	s_or_b32 exec_lo, exec_lo, s2
.LBB216_3840:                           ;   in Loop: Header=BB216_2096 Depth=1
	s_delay_alu instid0(SALU_CYCLE_1)
	s_or_b32 exec_lo, exec_lo, s1
.LBB216_3841:                           ;   in Loop: Header=BB216_2096 Depth=1
	s_delay_alu instid0(SALU_CYCLE_1) | instskip(SKIP_4) | instid1(VALU_DEP_3)
	s_or_b32 exec_lo, exec_lo, s0
	v_lshrrev_b32_e32 v3, 16, v2
	v_mov_b64_e32 v[30:31], 0
	v_mov_b64_e32 v[48:49], 0
	s_mov_b32 s0, exec_lo
	v_and_b32_e32 v0, 0xff, v3
	s_delay_alu instid0(VALU_DEP_1)
	v_cmpx_ne_u16_e32 0, v0
	s_cbranch_execz .LBB216_3849
; %bb.3842:                             ;   in Loop: Header=BB216_2096 Depth=1
	v_mov_b64_e32 v[48:49], 0x80000000
	s_mov_b32 s1, exec_lo
	v_cmpx_ne_u16_e32 0x80, v0
	s_cbranch_execz .LBB216_3848
; %bb.3843:                             ;   in Loop: Header=BB216_2096 Depth=1
	v_mov_b64_e32 v[48:49], 0x7f800001
	v_bfe_u32 v0, v2, 16, 7
	s_mov_b32 s2, exec_lo
	s_delay_alu instid0(VALU_DEP_1)
	v_cmpx_ne_u32_e32 0x7f, v0
	s_cbranch_execz .LBB216_3847
; %bb.3844:                             ;   in Loop: Header=BB216_2096 Depth=1
	scratch_load_b64 v[48:49], off, s32 offset:192 th:TH_LOAD_LU ; 8-byte Folded Reload
	s_wait_loadcnt 0x0
	v_dual_lshrrev_b32 v8, 3, v0 :: v_dual_bitop2_b32 v48, 7, v3 bitop3:0x40
	v_cmp_gt_u32_e32 vcc_lo, 8, v0
	s_delay_alu instid0(VALU_DEP_2)
	v_mov_b64_e32 v[0:1], v[48:49]
	s_wait_xcnt 0x0
	s_and_saveexec_b32 s3, vcc_lo
; %bb.3845:                             ;   in Loop: Header=BB216_2096 Depth=1
	v_clz_i32_u32_e32 v0, v48
	s_delay_alu instid0(VALU_DEP_1) | instskip(NEXT) | instid1(VALU_DEP_1)
	v_min_u32_e32 v8, 32, v0
	v_subrev_nc_u32_e32 v0, 28, v8
	v_sub_nc_u32_e32 v8, 29, v8
	s_delay_alu instid0(VALU_DEP_2) | instskip(NEXT) | instid1(VALU_DEP_1)
	v_lshlrev_b64_e32 v[0:1], v0, v[48:49]
	v_and_b32_e32 v0, 7, v0
; %bb.3846:                             ;   in Loop: Header=BB216_2096 Depth=1
	s_or_b32 exec_lo, exec_lo, s3
	s_delay_alu instid0(VALU_DEP_1) | instskip(SKIP_1) | instid1(VALU_DEP_2)
	v_dual_lshlrev_b32 v1, 24, v3 :: v_dual_lshlrev_b32 v0, 20, v0
	v_lshl_add_u32 v3, v8, 23, 0x3c000000
	v_and_b32_e32 v1, 0x80000000, v1
	s_delay_alu instid0(VALU_DEP_1)
	v_or3_b32 v48, v0, v1, v3
	v_mov_b32_e32 v1, v49
	scratch_store_b64 off, v[0:1], s32 offset:192 ; 8-byte Folded Spill
.LBB216_3847:                           ;   in Loop: Header=BB216_2096 Depth=1
	s_wait_xcnt 0x0
	s_or_b32 exec_lo, exec_lo, s2
.LBB216_3848:                           ;   in Loop: Header=BB216_2096 Depth=1
	s_delay_alu instid0(SALU_CYCLE_1)
	s_or_b32 exec_lo, exec_lo, s1
.LBB216_3849:                           ;   in Loop: Header=BB216_2096 Depth=1
	s_delay_alu instid0(SALU_CYCLE_1) | instskip(NEXT) | instid1(SALU_CYCLE_1)
	s_or_b32 exec_lo, exec_lo, s0
	s_mov_b32 s0, exec_lo
	v_cmpx_lt_u32_e32 0xffffff, v2
	s_cbranch_execz .LBB216_3857
; %bb.3850:                             ;   in Loop: Header=BB216_2096 Depth=1
	v_mov_b64_e32 v[30:31], 0x8000000000000000
	v_lshrrev_b32_e32 v3, 24, v2
	s_mov_b32 s1, exec_lo
	s_delay_alu instid0(VALU_DEP_1)
	v_cmpx_ne_u32_e32 0x80, v3
	s_cbranch_execz .LBB216_3856
; %bb.3851:                             ;   in Loop: Header=BB216_2096 Depth=1
	v_mov_b64_e32 v[30:31], 0x7f80000100000000
	v_bfe_u32 v0, v2, 24, 7
	s_mov_b32 s2, exec_lo
	s_delay_alu instid0(VALU_DEP_1)
	v_cmpx_ne_u32_e32 0x7f, v0
	s_cbranch_execz .LBB216_3855
; %bb.3852:                             ;   in Loop: Header=BB216_2096 Depth=1
	scratch_load_b64 v[8:9], off, s32 offset:192 th:TH_LOAD_LU ; 8-byte Folded Reload
	s_wait_loadcnt 0x0
	v_dual_lshrrev_b32 v2, 3, v0 :: v_dual_bitop2_b32 v8, 7, v3 bitop3:0x40
	v_cmp_gt_u32_e32 vcc_lo, 8, v0
	s_delay_alu instid0(VALU_DEP_2)
	v_mov_b64_e32 v[0:1], v[8:9]
	s_wait_xcnt 0x0
	s_and_saveexec_b32 s3, vcc_lo
; %bb.3853:                             ;   in Loop: Header=BB216_2096 Depth=1
	v_clz_i32_u32_e32 v0, v8
	s_delay_alu instid0(VALU_DEP_1) | instskip(NEXT) | instid1(VALU_DEP_1)
	v_min_u32_e32 v2, 32, v0
	v_subrev_nc_u32_e32 v0, 28, v2
	s_delay_alu instid0(VALU_DEP_1) | instskip(NEXT) | instid1(VALU_DEP_1)
	v_lshlrev_b64_e32 v[0:1], v0, v[8:9]
	v_dual_sub_nc_u32 v2, 29, v2 :: v_dual_bitop2_b32 v0, 7, v0 bitop3:0x40
; %bb.3854:                             ;   in Loop: Header=BB216_2096 Depth=1
	s_or_b32 exec_lo, exec_lo, s3
	s_delay_alu instid0(VALU_DEP_1) | instskip(NEXT) | instid1(VALU_DEP_2)
	v_dual_lshlrev_b32 v1, 24, v3 :: v_dual_lshlrev_b32 v0, 20, v0
	v_lshl_add_u32 v2, v2, 23, 0x3c000000
	v_mov_b32_e32 v30, v9
	s_delay_alu instid0(VALU_DEP_3) | instskip(NEXT) | instid1(VALU_DEP_1)
	v_and_b32_e32 v1, 0x80000000, v1
	v_or3_b32 v31, v0, v1, v2
	v_mov_b32_e32 v1, v9
	scratch_store_b64 off, v[0:1], s32 offset:192 ; 8-byte Folded Spill
.LBB216_3855:                           ;   in Loop: Header=BB216_2096 Depth=1
	s_wait_xcnt 0x0
	s_or_b32 exec_lo, exec_lo, s2
.LBB216_3856:                           ;   in Loop: Header=BB216_2096 Depth=1
	s_delay_alu instid0(SALU_CYCLE_1)
	s_or_b32 exec_lo, exec_lo, s1
.LBB216_3857:                           ;   in Loop: Header=BB216_2096 Depth=1
	s_delay_alu instid0(SALU_CYCLE_1)
	s_or_b32 exec_lo, exec_lo, s0
	flat_load_b32 v2, v[24:25] offset:7040
	v_mov_b64_e32 v[82:83], 0
	v_mov_b64_e32 v[62:63], 0
	s_mov_b32 s0, exec_lo
	s_wait_loadcnt_dscnt 0x0
	v_and_b32_e32 v0, 0xff, v2
	s_wait_xcnt 0x0
	s_delay_alu instid0(VALU_DEP_1)
	v_cmpx_ne_u16_e32 0, v0
	s_cbranch_execz .LBB216_3865
; %bb.3858:                             ;   in Loop: Header=BB216_2096 Depth=1
	v_mov_b64_e32 v[62:63], 0x80000000
	s_mov_b32 s1, exec_lo
	v_cmpx_ne_u16_e32 0x80, v0
	s_cbranch_execz .LBB216_3864
; %bb.3859:                             ;   in Loop: Header=BB216_2096 Depth=1
	v_mov_b64_e32 v[62:63], 0x7f800001
	v_and_b32_e32 v0, 0x7f, v2
	s_mov_b32 s2, exec_lo
	s_delay_alu instid0(VALU_DEP_1)
	v_cmpx_ne_u32_e32 0x7f, v0
	s_cbranch_execz .LBB216_3863
; %bb.3860:                             ;   in Loop: Header=BB216_2096 Depth=1
	scratch_load_b64 v[62:63], off, s32 offset:192 th:TH_LOAD_LU ; 8-byte Folded Reload
	s_wait_loadcnt 0x0
	v_dual_lshrrev_b32 v3, 3, v0 :: v_dual_bitop2_b32 v62, 7, v2 bitop3:0x40
	v_cmp_gt_u32_e32 vcc_lo, 8, v0
	s_delay_alu instid0(VALU_DEP_2)
	v_mov_b64_e32 v[0:1], v[62:63]
	s_wait_xcnt 0x0
	s_and_saveexec_b32 s3, vcc_lo
; %bb.3861:                             ;   in Loop: Header=BB216_2096 Depth=1
	v_clz_i32_u32_e32 v0, v62
	s_delay_alu instid0(VALU_DEP_1) | instskip(NEXT) | instid1(VALU_DEP_1)
	v_min_u32_e32 v3, 32, v0
	v_subrev_nc_u32_e32 v0, 28, v3
	s_delay_alu instid0(VALU_DEP_1) | instskip(NEXT) | instid1(VALU_DEP_1)
	v_lshlrev_b64_e32 v[0:1], v0, v[62:63]
	v_dual_sub_nc_u32 v3, 29, v3 :: v_dual_bitop2_b32 v0, 7, v0 bitop3:0x40
; %bb.3862:                             ;   in Loop: Header=BB216_2096 Depth=1
	s_or_b32 exec_lo, exec_lo, s3
	s_delay_alu instid0(VALU_DEP_1) | instskip(NEXT) | instid1(VALU_DEP_2)
	v_dual_lshlrev_b32 v1, 24, v2 :: v_dual_lshlrev_b32 v0, 20, v0
	v_lshl_add_u32 v3, v3, 23, 0x3c000000
	s_delay_alu instid0(VALU_DEP_2) | instskip(NEXT) | instid1(VALU_DEP_1)
	v_and_b32_e32 v1, 0x80000000, v1
	v_or3_b32 v62, v0, v1, v3
	v_mov_b32_e32 v1, v63
	scratch_store_b64 off, v[0:1], s32 offset:192 ; 8-byte Folded Spill
.LBB216_3863:                           ;   in Loop: Header=BB216_2096 Depth=1
	s_wait_xcnt 0x0
	s_or_b32 exec_lo, exec_lo, s2
.LBB216_3864:                           ;   in Loop: Header=BB216_2096 Depth=1
	s_delay_alu instid0(SALU_CYCLE_1)
	s_or_b32 exec_lo, exec_lo, s1
.LBB216_3865:                           ;   in Loop: Header=BB216_2096 Depth=1
	s_delay_alu instid0(SALU_CYCLE_1) | instskip(SKIP_2) | instid1(VALU_DEP_1)
	s_or_b32 exec_lo, exec_lo, s0
	v_lshrrev_b16 v0, 8, v2
	s_mov_b32 s0, exec_lo
	v_cmpx_ne_u16_e32 0, v0
	s_cbranch_execz .LBB216_3873
; %bb.3866:                             ;   in Loop: Header=BB216_2096 Depth=1
	v_mov_b64_e32 v[82:83], 0x8000000000000000
	s_mov_b32 s1, exec_lo
	v_cmpx_ne_u16_e32 0x80, v0
	s_cbranch_execz .LBB216_3872
; %bb.3867:                             ;   in Loop: Header=BB216_2096 Depth=1
	v_and_b32_e32 v1, 0xffff, v0
	v_mov_b64_e32 v[82:83], 0x7f80000100000000
	s_mov_b32 s2, exec_lo
	s_delay_alu instid0(VALU_DEP_2) | instskip(NEXT) | instid1(VALU_DEP_1)
	v_and_b32_e32 v0, 0x7f, v1
	v_cmpx_ne_u32_e32 0x7f, v0
	s_cbranch_execz .LBB216_3871
; %bb.3868:                             ;   in Loop: Header=BB216_2096 Depth=1
	scratch_load_b64 v[8:9], off, s32 offset:192 th:TH_LOAD_LU ; 8-byte Folded Reload
	s_wait_loadcnt 0x0
	v_dual_lshrrev_b32 v3, 3, v0 :: v_dual_bitop2_b32 v8, 7, v1 bitop3:0x40
	v_cmp_gt_u32_e32 vcc_lo, 8, v0
	s_delay_alu instid0(VALU_DEP_2)
	v_mov_b64_e32 v[0:1], v[8:9]
	s_wait_xcnt 0x0
	s_and_saveexec_b32 s3, vcc_lo
; %bb.3869:                             ;   in Loop: Header=BB216_2096 Depth=1
	v_clz_i32_u32_e32 v0, v8
	s_delay_alu instid0(VALU_DEP_1) | instskip(NEXT) | instid1(VALU_DEP_1)
	v_min_u32_e32 v3, 32, v0
	v_subrev_nc_u32_e32 v0, 28, v3
	s_delay_alu instid0(VALU_DEP_1) | instskip(NEXT) | instid1(VALU_DEP_1)
	v_lshlrev_b64_e32 v[0:1], v0, v[8:9]
	v_dual_sub_nc_u32 v3, 29, v3 :: v_dual_bitop2_b32 v0, 7, v0 bitop3:0x40
; %bb.3870:                             ;   in Loop: Header=BB216_2096 Depth=1
	s_or_b32 exec_lo, exec_lo, s3
	s_delay_alu instid0(VALU_DEP_1) | instskip(NEXT) | instid1(VALU_DEP_2)
	v_dual_lshlrev_b32 v1, 16, v2 :: v_dual_lshlrev_b32 v0, 20, v0
	v_lshl_add_u32 v3, v3, 23, 0x3c000000
	v_mov_b32_e32 v82, v9
	s_delay_alu instid0(VALU_DEP_3) | instskip(NEXT) | instid1(VALU_DEP_1)
	v_and_b32_e32 v1, 0x80000000, v1
	v_or3_b32 v83, v0, v1, v3
	v_mov_b32_e32 v1, v9
	scratch_store_b64 off, v[0:1], s32 offset:192 ; 8-byte Folded Spill
.LBB216_3871:                           ;   in Loop: Header=BB216_2096 Depth=1
	s_wait_xcnt 0x0
	s_or_b32 exec_lo, exec_lo, s2
.LBB216_3872:                           ;   in Loop: Header=BB216_2096 Depth=1
	s_delay_alu instid0(SALU_CYCLE_1)
	s_or_b32 exec_lo, exec_lo, s1
.LBB216_3873:                           ;   in Loop: Header=BB216_2096 Depth=1
	s_delay_alu instid0(SALU_CYCLE_1) | instskip(SKIP_4) | instid1(VALU_DEP_3)
	s_or_b32 exec_lo, exec_lo, s0
	v_lshrrev_b32_e32 v3, 16, v2
	v_mov_b64_e32 v[116:117], 0
	v_mov_b64_e32 v[64:65], 0
	s_mov_b32 s0, exec_lo
	v_and_b32_e32 v0, 0xff, v3
	s_delay_alu instid0(VALU_DEP_1)
	v_cmpx_ne_u16_e32 0, v0
	s_cbranch_execz .LBB216_3881
; %bb.3874:                             ;   in Loop: Header=BB216_2096 Depth=1
	v_mov_b64_e32 v[64:65], 0x80000000
	s_mov_b32 s1, exec_lo
	v_cmpx_ne_u16_e32 0x80, v0
	s_cbranch_execz .LBB216_3880
; %bb.3875:                             ;   in Loop: Header=BB216_2096 Depth=1
	v_mov_b64_e32 v[64:65], 0x7f800001
	v_bfe_u32 v0, v2, 16, 7
	s_mov_b32 s2, exec_lo
	s_delay_alu instid0(VALU_DEP_1)
	v_cmpx_ne_u32_e32 0x7f, v0
	s_cbranch_execz .LBB216_3879
; %bb.3876:                             ;   in Loop: Header=BB216_2096 Depth=1
	scratch_load_b64 v[64:65], off, s32 offset:192 th:TH_LOAD_LU ; 8-byte Folded Reload
	s_wait_loadcnt 0x0
	v_dual_lshrrev_b32 v8, 3, v0 :: v_dual_bitop2_b32 v64, 7, v3 bitop3:0x40
	v_cmp_gt_u32_e32 vcc_lo, 8, v0
	s_delay_alu instid0(VALU_DEP_2)
	v_mov_b64_e32 v[0:1], v[64:65]
	s_wait_xcnt 0x0
	s_and_saveexec_b32 s3, vcc_lo
; %bb.3877:                             ;   in Loop: Header=BB216_2096 Depth=1
	v_clz_i32_u32_e32 v0, v64
	s_delay_alu instid0(VALU_DEP_1) | instskip(NEXT) | instid1(VALU_DEP_1)
	v_min_u32_e32 v8, 32, v0
	v_subrev_nc_u32_e32 v0, 28, v8
	v_sub_nc_u32_e32 v8, 29, v8
	s_delay_alu instid0(VALU_DEP_2) | instskip(NEXT) | instid1(VALU_DEP_1)
	v_lshlrev_b64_e32 v[0:1], v0, v[64:65]
	v_and_b32_e32 v0, 7, v0
; %bb.3878:                             ;   in Loop: Header=BB216_2096 Depth=1
	s_or_b32 exec_lo, exec_lo, s3
	s_delay_alu instid0(VALU_DEP_1) | instskip(SKIP_1) | instid1(VALU_DEP_2)
	v_dual_lshlrev_b32 v1, 24, v3 :: v_dual_lshlrev_b32 v0, 20, v0
	v_lshl_add_u32 v3, v8, 23, 0x3c000000
	v_and_b32_e32 v1, 0x80000000, v1
	s_delay_alu instid0(VALU_DEP_1)
	v_or3_b32 v64, v0, v1, v3
	v_mov_b32_e32 v1, v65
	scratch_store_b64 off, v[0:1], s32 offset:192 ; 8-byte Folded Spill
.LBB216_3879:                           ;   in Loop: Header=BB216_2096 Depth=1
	s_wait_xcnt 0x0
	s_or_b32 exec_lo, exec_lo, s2
.LBB216_3880:                           ;   in Loop: Header=BB216_2096 Depth=1
	s_delay_alu instid0(SALU_CYCLE_1)
	s_or_b32 exec_lo, exec_lo, s1
.LBB216_3881:                           ;   in Loop: Header=BB216_2096 Depth=1
	s_delay_alu instid0(SALU_CYCLE_1) | instskip(NEXT) | instid1(SALU_CYCLE_1)
	s_or_b32 exec_lo, exec_lo, s0
	s_mov_b32 s0, exec_lo
	v_cmpx_lt_u32_e32 0xffffff, v2
	s_cbranch_execz .LBB216_3889
; %bb.3882:                             ;   in Loop: Header=BB216_2096 Depth=1
	v_mov_b64_e32 v[116:117], 0x8000000000000000
	v_lshrrev_b32_e32 v3, 24, v2
	s_mov_b32 s1, exec_lo
	s_delay_alu instid0(VALU_DEP_1)
	v_cmpx_ne_u32_e32 0x80, v3
	s_cbranch_execz .LBB216_3888
; %bb.3883:                             ;   in Loop: Header=BB216_2096 Depth=1
	v_mov_b64_e32 v[116:117], 0x7f80000100000000
	v_bfe_u32 v0, v2, 24, 7
	s_mov_b32 s2, exec_lo
	s_delay_alu instid0(VALU_DEP_1)
	v_cmpx_ne_u32_e32 0x7f, v0
	s_cbranch_execz .LBB216_3887
; %bb.3884:                             ;   in Loop: Header=BB216_2096 Depth=1
	scratch_load_b64 v[8:9], off, s32 offset:192 th:TH_LOAD_LU ; 8-byte Folded Reload
	s_wait_loadcnt 0x0
	v_dual_lshrrev_b32 v2, 3, v0 :: v_dual_bitop2_b32 v8, 7, v3 bitop3:0x40
	v_cmp_gt_u32_e32 vcc_lo, 8, v0
	s_delay_alu instid0(VALU_DEP_2)
	v_mov_b64_e32 v[0:1], v[8:9]
	s_wait_xcnt 0x0
	s_and_saveexec_b32 s3, vcc_lo
; %bb.3885:                             ;   in Loop: Header=BB216_2096 Depth=1
	v_clz_i32_u32_e32 v0, v8
	s_delay_alu instid0(VALU_DEP_1) | instskip(NEXT) | instid1(VALU_DEP_1)
	v_min_u32_e32 v2, 32, v0
	v_subrev_nc_u32_e32 v0, 28, v2
	s_delay_alu instid0(VALU_DEP_1) | instskip(NEXT) | instid1(VALU_DEP_1)
	v_lshlrev_b64_e32 v[0:1], v0, v[8:9]
	v_dual_sub_nc_u32 v2, 29, v2 :: v_dual_bitop2_b32 v0, 7, v0 bitop3:0x40
; %bb.3886:                             ;   in Loop: Header=BB216_2096 Depth=1
	s_or_b32 exec_lo, exec_lo, s3
	s_delay_alu instid0(VALU_DEP_1) | instskip(NEXT) | instid1(VALU_DEP_2)
	v_dual_lshlrev_b32 v1, 24, v3 :: v_dual_lshlrev_b32 v0, 20, v0
	v_lshl_add_u32 v2, v2, 23, 0x3c000000
	v_mov_b32_e32 v116, v9
	s_delay_alu instid0(VALU_DEP_3) | instskip(NEXT) | instid1(VALU_DEP_1)
	v_and_b32_e32 v1, 0x80000000, v1
	v_or3_b32 v117, v0, v1, v2
	v_mov_b32_e32 v1, v9
	scratch_store_b64 off, v[0:1], s32 offset:192 ; 8-byte Folded Spill
.LBB216_3887:                           ;   in Loop: Header=BB216_2096 Depth=1
	s_wait_xcnt 0x0
	s_or_b32 exec_lo, exec_lo, s2
.LBB216_3888:                           ;   in Loop: Header=BB216_2096 Depth=1
	s_delay_alu instid0(SALU_CYCLE_1)
	s_or_b32 exec_lo, exec_lo, s1
.LBB216_3889:                           ;   in Loop: Header=BB216_2096 Depth=1
	s_delay_alu instid0(SALU_CYCLE_1)
	s_or_b32 exec_lo, exec_lo, s0
	flat_load_b32 v2, v[24:25] offset:7168
	v_mov_b64_e32 v[84:85], 0
	v_mov_b64_e32 v[38:39], 0
	s_mov_b32 s0, exec_lo
	s_wait_loadcnt_dscnt 0x0
	v_and_b32_e32 v0, 0xff, v2
	s_wait_xcnt 0x0
	s_delay_alu instid0(VALU_DEP_1)
	v_cmpx_ne_u16_e32 0, v0
	s_cbranch_execz .LBB216_3897
; %bb.3890:                             ;   in Loop: Header=BB216_2096 Depth=1
	v_mov_b64_e32 v[38:39], 0x80000000
	s_mov_b32 s1, exec_lo
	v_cmpx_ne_u16_e32 0x80, v0
	s_cbranch_execz .LBB216_3896
; %bb.3891:                             ;   in Loop: Header=BB216_2096 Depth=1
	v_mov_b64_e32 v[38:39], 0x7f800001
	v_and_b32_e32 v0, 0x7f, v2
	s_mov_b32 s2, exec_lo
	s_delay_alu instid0(VALU_DEP_1)
	v_cmpx_ne_u32_e32 0x7f, v0
	s_cbranch_execz .LBB216_3895
; %bb.3892:                             ;   in Loop: Header=BB216_2096 Depth=1
	scratch_load_b64 v[38:39], off, s32 offset:192 th:TH_LOAD_LU ; 8-byte Folded Reload
	s_wait_loadcnt 0x0
	v_dual_lshrrev_b32 v3, 3, v0 :: v_dual_bitop2_b32 v38, 7, v2 bitop3:0x40
	v_cmp_gt_u32_e32 vcc_lo, 8, v0
	s_delay_alu instid0(VALU_DEP_2)
	v_mov_b64_e32 v[0:1], v[38:39]
	s_wait_xcnt 0x0
	s_and_saveexec_b32 s3, vcc_lo
; %bb.3893:                             ;   in Loop: Header=BB216_2096 Depth=1
	v_clz_i32_u32_e32 v0, v38
	s_delay_alu instid0(VALU_DEP_1) | instskip(NEXT) | instid1(VALU_DEP_1)
	v_min_u32_e32 v3, 32, v0
	v_subrev_nc_u32_e32 v0, 28, v3
	s_delay_alu instid0(VALU_DEP_1) | instskip(NEXT) | instid1(VALU_DEP_1)
	v_lshlrev_b64_e32 v[0:1], v0, v[38:39]
	v_dual_sub_nc_u32 v3, 29, v3 :: v_dual_bitop2_b32 v0, 7, v0 bitop3:0x40
; %bb.3894:                             ;   in Loop: Header=BB216_2096 Depth=1
	s_or_b32 exec_lo, exec_lo, s3
	s_delay_alu instid0(VALU_DEP_1) | instskip(NEXT) | instid1(VALU_DEP_2)
	v_dual_lshlrev_b32 v1, 24, v2 :: v_dual_lshlrev_b32 v0, 20, v0
	v_lshl_add_u32 v3, v3, 23, 0x3c000000
	s_delay_alu instid0(VALU_DEP_2) | instskip(NEXT) | instid1(VALU_DEP_1)
	v_and_b32_e32 v1, 0x80000000, v1
	v_or3_b32 v38, v0, v1, v3
	v_mov_b32_e32 v1, v39
	scratch_store_b64 off, v[0:1], s32 offset:192 ; 8-byte Folded Spill
.LBB216_3895:                           ;   in Loop: Header=BB216_2096 Depth=1
	s_wait_xcnt 0x0
	s_or_b32 exec_lo, exec_lo, s2
.LBB216_3896:                           ;   in Loop: Header=BB216_2096 Depth=1
	s_delay_alu instid0(SALU_CYCLE_1)
	s_or_b32 exec_lo, exec_lo, s1
.LBB216_3897:                           ;   in Loop: Header=BB216_2096 Depth=1
	s_delay_alu instid0(SALU_CYCLE_1) | instskip(SKIP_2) | instid1(VALU_DEP_1)
	s_or_b32 exec_lo, exec_lo, s0
	v_lshrrev_b16 v0, 8, v2
	s_mov_b32 s0, exec_lo
	v_cmpx_ne_u16_e32 0, v0
	s_cbranch_execz .LBB216_3905
; %bb.3898:                             ;   in Loop: Header=BB216_2096 Depth=1
	v_mov_b64_e32 v[84:85], 0x8000000000000000
	s_mov_b32 s1, exec_lo
	v_cmpx_ne_u16_e32 0x80, v0
	s_cbranch_execz .LBB216_3904
; %bb.3899:                             ;   in Loop: Header=BB216_2096 Depth=1
	v_and_b32_e32 v1, 0xffff, v0
	v_mov_b64_e32 v[84:85], 0x7f80000100000000
	s_mov_b32 s2, exec_lo
	s_delay_alu instid0(VALU_DEP_2) | instskip(NEXT) | instid1(VALU_DEP_1)
	v_and_b32_e32 v0, 0x7f, v1
	v_cmpx_ne_u32_e32 0x7f, v0
	s_cbranch_execz .LBB216_3903
; %bb.3900:                             ;   in Loop: Header=BB216_2096 Depth=1
	scratch_load_b64 v[8:9], off, s32 offset:192 th:TH_LOAD_LU ; 8-byte Folded Reload
	s_wait_loadcnt 0x0
	v_dual_lshrrev_b32 v3, 3, v0 :: v_dual_bitop2_b32 v8, 7, v1 bitop3:0x40
	v_cmp_gt_u32_e32 vcc_lo, 8, v0
	s_delay_alu instid0(VALU_DEP_2)
	v_mov_b64_e32 v[0:1], v[8:9]
	s_wait_xcnt 0x0
	s_and_saveexec_b32 s3, vcc_lo
; %bb.3901:                             ;   in Loop: Header=BB216_2096 Depth=1
	v_clz_i32_u32_e32 v0, v8
	s_delay_alu instid0(VALU_DEP_1) | instskip(NEXT) | instid1(VALU_DEP_1)
	v_min_u32_e32 v3, 32, v0
	v_subrev_nc_u32_e32 v0, 28, v3
	s_delay_alu instid0(VALU_DEP_1) | instskip(NEXT) | instid1(VALU_DEP_1)
	v_lshlrev_b64_e32 v[0:1], v0, v[8:9]
	v_dual_sub_nc_u32 v3, 29, v3 :: v_dual_bitop2_b32 v0, 7, v0 bitop3:0x40
; %bb.3902:                             ;   in Loop: Header=BB216_2096 Depth=1
	s_or_b32 exec_lo, exec_lo, s3
	s_delay_alu instid0(VALU_DEP_1) | instskip(NEXT) | instid1(VALU_DEP_2)
	v_dual_lshlrev_b32 v1, 16, v2 :: v_dual_lshlrev_b32 v0, 20, v0
	v_lshl_add_u32 v3, v3, 23, 0x3c000000
	v_mov_b32_e32 v84, v9
	s_delay_alu instid0(VALU_DEP_3) | instskip(NEXT) | instid1(VALU_DEP_1)
	v_and_b32_e32 v1, 0x80000000, v1
	v_or3_b32 v85, v0, v1, v3
	v_mov_b32_e32 v1, v9
	scratch_store_b64 off, v[0:1], s32 offset:192 ; 8-byte Folded Spill
.LBB216_3903:                           ;   in Loop: Header=BB216_2096 Depth=1
	s_wait_xcnt 0x0
	s_or_b32 exec_lo, exec_lo, s2
.LBB216_3904:                           ;   in Loop: Header=BB216_2096 Depth=1
	s_delay_alu instid0(SALU_CYCLE_1)
	s_or_b32 exec_lo, exec_lo, s1
.LBB216_3905:                           ;   in Loop: Header=BB216_2096 Depth=1
	s_delay_alu instid0(SALU_CYCLE_1) | instskip(SKIP_4) | instid1(VALU_DEP_3)
	s_or_b32 exec_lo, exec_lo, s0
	v_lshrrev_b32_e32 v3, 16, v2
	v_mov_b64_e32 v[72:73], 0
	v_mov_b64_e32 v[86:87], 0
	s_mov_b32 s0, exec_lo
	v_and_b32_e32 v0, 0xff, v3
	s_delay_alu instid0(VALU_DEP_1)
	v_cmpx_ne_u16_e32 0, v0
	s_cbranch_execz .LBB216_3913
; %bb.3906:                             ;   in Loop: Header=BB216_2096 Depth=1
	v_mov_b64_e32 v[86:87], 0x80000000
	s_mov_b32 s1, exec_lo
	v_cmpx_ne_u16_e32 0x80, v0
	s_cbranch_execz .LBB216_3912
; %bb.3907:                             ;   in Loop: Header=BB216_2096 Depth=1
	v_mov_b64_e32 v[86:87], 0x7f800001
	v_bfe_u32 v0, v2, 16, 7
	s_mov_b32 s2, exec_lo
	s_delay_alu instid0(VALU_DEP_1)
	v_cmpx_ne_u32_e32 0x7f, v0
	s_cbranch_execz .LBB216_3911
; %bb.3908:                             ;   in Loop: Header=BB216_2096 Depth=1
	scratch_load_b64 v[86:87], off, s32 offset:192 th:TH_LOAD_LU ; 8-byte Folded Reload
	s_wait_loadcnt 0x0
	v_dual_lshrrev_b32 v8, 3, v0 :: v_dual_bitop2_b32 v86, 7, v3 bitop3:0x40
	v_cmp_gt_u32_e32 vcc_lo, 8, v0
	s_delay_alu instid0(VALU_DEP_2)
	v_mov_b64_e32 v[0:1], v[86:87]
	s_wait_xcnt 0x0
	s_and_saveexec_b32 s3, vcc_lo
; %bb.3909:                             ;   in Loop: Header=BB216_2096 Depth=1
	v_clz_i32_u32_e32 v0, v86
	s_delay_alu instid0(VALU_DEP_1) | instskip(NEXT) | instid1(VALU_DEP_1)
	v_min_u32_e32 v8, 32, v0
	v_subrev_nc_u32_e32 v0, 28, v8
	v_sub_nc_u32_e32 v8, 29, v8
	s_delay_alu instid0(VALU_DEP_2) | instskip(NEXT) | instid1(VALU_DEP_1)
	v_lshlrev_b64_e32 v[0:1], v0, v[86:87]
	v_and_b32_e32 v0, 7, v0
; %bb.3910:                             ;   in Loop: Header=BB216_2096 Depth=1
	s_or_b32 exec_lo, exec_lo, s3
	s_delay_alu instid0(VALU_DEP_1) | instskip(SKIP_1) | instid1(VALU_DEP_2)
	v_dual_lshlrev_b32 v1, 24, v3 :: v_dual_lshlrev_b32 v0, 20, v0
	v_lshl_add_u32 v3, v8, 23, 0x3c000000
	v_and_b32_e32 v1, 0x80000000, v1
	s_delay_alu instid0(VALU_DEP_1)
	v_or3_b32 v86, v0, v1, v3
	v_mov_b32_e32 v1, v87
	scratch_store_b64 off, v[0:1], s32 offset:192 ; 8-byte Folded Spill
.LBB216_3911:                           ;   in Loop: Header=BB216_2096 Depth=1
	s_wait_xcnt 0x0
	s_or_b32 exec_lo, exec_lo, s2
.LBB216_3912:                           ;   in Loop: Header=BB216_2096 Depth=1
	s_delay_alu instid0(SALU_CYCLE_1)
	s_or_b32 exec_lo, exec_lo, s1
.LBB216_3913:                           ;   in Loop: Header=BB216_2096 Depth=1
	s_delay_alu instid0(SALU_CYCLE_1) | instskip(NEXT) | instid1(SALU_CYCLE_1)
	s_or_b32 exec_lo, exec_lo, s0
	s_mov_b32 s0, exec_lo
	v_cmpx_lt_u32_e32 0xffffff, v2
	s_cbranch_execz .LBB216_3921
; %bb.3914:                             ;   in Loop: Header=BB216_2096 Depth=1
	v_mov_b64_e32 v[72:73], 0x8000000000000000
	v_lshrrev_b32_e32 v3, 24, v2
	s_mov_b32 s1, exec_lo
	s_delay_alu instid0(VALU_DEP_1)
	v_cmpx_ne_u32_e32 0x80, v3
	s_cbranch_execz .LBB216_3920
; %bb.3915:                             ;   in Loop: Header=BB216_2096 Depth=1
	v_mov_b64_e32 v[72:73], 0x7f80000100000000
	v_bfe_u32 v0, v2, 24, 7
	s_mov_b32 s2, exec_lo
	s_delay_alu instid0(VALU_DEP_1)
	v_cmpx_ne_u32_e32 0x7f, v0
	s_cbranch_execz .LBB216_3919
; %bb.3916:                             ;   in Loop: Header=BB216_2096 Depth=1
	scratch_load_b64 v[8:9], off, s32 offset:192 th:TH_LOAD_LU ; 8-byte Folded Reload
	s_wait_loadcnt 0x0
	v_dual_lshrrev_b32 v2, 3, v0 :: v_dual_bitop2_b32 v8, 7, v3 bitop3:0x40
	v_cmp_gt_u32_e32 vcc_lo, 8, v0
	s_delay_alu instid0(VALU_DEP_2)
	v_mov_b64_e32 v[0:1], v[8:9]
	s_wait_xcnt 0x0
	s_and_saveexec_b32 s3, vcc_lo
; %bb.3917:                             ;   in Loop: Header=BB216_2096 Depth=1
	v_clz_i32_u32_e32 v0, v8
	s_delay_alu instid0(VALU_DEP_1) | instskip(NEXT) | instid1(VALU_DEP_1)
	v_min_u32_e32 v2, 32, v0
	v_subrev_nc_u32_e32 v0, 28, v2
	s_delay_alu instid0(VALU_DEP_1) | instskip(NEXT) | instid1(VALU_DEP_1)
	v_lshlrev_b64_e32 v[0:1], v0, v[8:9]
	v_dual_sub_nc_u32 v2, 29, v2 :: v_dual_bitop2_b32 v0, 7, v0 bitop3:0x40
; %bb.3918:                             ;   in Loop: Header=BB216_2096 Depth=1
	s_or_b32 exec_lo, exec_lo, s3
	s_delay_alu instid0(VALU_DEP_1) | instskip(NEXT) | instid1(VALU_DEP_2)
	v_dual_lshlrev_b32 v1, 24, v3 :: v_dual_lshlrev_b32 v0, 20, v0
	v_lshl_add_u32 v2, v2, 23, 0x3c000000
	v_mov_b32_e32 v72, v9
	s_delay_alu instid0(VALU_DEP_3) | instskip(NEXT) | instid1(VALU_DEP_1)
	v_and_b32_e32 v1, 0x80000000, v1
	v_or3_b32 v73, v0, v1, v2
	v_mov_b32_e32 v1, v9
	scratch_store_b64 off, v[0:1], s32 offset:192 ; 8-byte Folded Spill
.LBB216_3919:                           ;   in Loop: Header=BB216_2096 Depth=1
	s_wait_xcnt 0x0
	s_or_b32 exec_lo, exec_lo, s2
.LBB216_3920:                           ;   in Loop: Header=BB216_2096 Depth=1
	s_delay_alu instid0(SALU_CYCLE_1)
	s_or_b32 exec_lo, exec_lo, s1
.LBB216_3921:                           ;   in Loop: Header=BB216_2096 Depth=1
	s_delay_alu instid0(SALU_CYCLE_1)
	s_or_b32 exec_lo, exec_lo, s0
	flat_load_b32 v2, v[24:25] offset:7296
	v_mov_b64_e32 v[34:35], 0
	v_mov_b64_e32 v[56:57], 0
	s_mov_b32 s0, exec_lo
	s_wait_loadcnt_dscnt 0x0
	v_and_b32_e32 v0, 0xff, v2
	s_wait_xcnt 0x0
	s_delay_alu instid0(VALU_DEP_1)
	v_cmpx_ne_u16_e32 0, v0
	s_cbranch_execz .LBB216_3929
; %bb.3922:                             ;   in Loop: Header=BB216_2096 Depth=1
	v_mov_b64_e32 v[56:57], 0x80000000
	s_mov_b32 s1, exec_lo
	v_cmpx_ne_u16_e32 0x80, v0
	s_cbranch_execz .LBB216_3928
; %bb.3923:                             ;   in Loop: Header=BB216_2096 Depth=1
	v_mov_b64_e32 v[56:57], 0x7f800001
	v_and_b32_e32 v0, 0x7f, v2
	s_mov_b32 s2, exec_lo
	s_delay_alu instid0(VALU_DEP_1)
	v_cmpx_ne_u32_e32 0x7f, v0
	s_cbranch_execz .LBB216_3927
; %bb.3924:                             ;   in Loop: Header=BB216_2096 Depth=1
	scratch_load_b64 v[56:57], off, s32 offset:192 th:TH_LOAD_LU ; 8-byte Folded Reload
	s_wait_loadcnt 0x0
	v_dual_lshrrev_b32 v3, 3, v0 :: v_dual_bitop2_b32 v56, 7, v2 bitop3:0x40
	v_cmp_gt_u32_e32 vcc_lo, 8, v0
	s_delay_alu instid0(VALU_DEP_2)
	v_mov_b64_e32 v[0:1], v[56:57]
	s_wait_xcnt 0x0
	s_and_saveexec_b32 s3, vcc_lo
; %bb.3925:                             ;   in Loop: Header=BB216_2096 Depth=1
	v_clz_i32_u32_e32 v0, v56
	s_delay_alu instid0(VALU_DEP_1) | instskip(NEXT) | instid1(VALU_DEP_1)
	v_min_u32_e32 v3, 32, v0
	v_subrev_nc_u32_e32 v0, 28, v3
	s_delay_alu instid0(VALU_DEP_1) | instskip(NEXT) | instid1(VALU_DEP_1)
	v_lshlrev_b64_e32 v[0:1], v0, v[56:57]
	v_dual_sub_nc_u32 v3, 29, v3 :: v_dual_bitop2_b32 v0, 7, v0 bitop3:0x40
; %bb.3926:                             ;   in Loop: Header=BB216_2096 Depth=1
	s_or_b32 exec_lo, exec_lo, s3
	s_delay_alu instid0(VALU_DEP_1) | instskip(NEXT) | instid1(VALU_DEP_2)
	v_dual_lshlrev_b32 v1, 24, v2 :: v_dual_lshlrev_b32 v0, 20, v0
	v_lshl_add_u32 v3, v3, 23, 0x3c000000
	s_delay_alu instid0(VALU_DEP_2) | instskip(NEXT) | instid1(VALU_DEP_1)
	v_and_b32_e32 v1, 0x80000000, v1
	v_or3_b32 v56, v0, v1, v3
	v_mov_b32_e32 v1, v57
	scratch_store_b64 off, v[0:1], s32 offset:192 ; 8-byte Folded Spill
.LBB216_3927:                           ;   in Loop: Header=BB216_2096 Depth=1
	s_wait_xcnt 0x0
	s_or_b32 exec_lo, exec_lo, s2
.LBB216_3928:                           ;   in Loop: Header=BB216_2096 Depth=1
	s_delay_alu instid0(SALU_CYCLE_1)
	s_or_b32 exec_lo, exec_lo, s1
.LBB216_3929:                           ;   in Loop: Header=BB216_2096 Depth=1
	s_delay_alu instid0(SALU_CYCLE_1) | instskip(SKIP_2) | instid1(VALU_DEP_1)
	s_or_b32 exec_lo, exec_lo, s0
	v_lshrrev_b16 v0, 8, v2
	s_mov_b32 s0, exec_lo
	v_cmpx_ne_u16_e32 0, v0
	s_cbranch_execz .LBB216_3937
; %bb.3930:                             ;   in Loop: Header=BB216_2096 Depth=1
	v_mov_b64_e32 v[34:35], 0x8000000000000000
	s_mov_b32 s1, exec_lo
	v_cmpx_ne_u16_e32 0x80, v0
	s_cbranch_execz .LBB216_3936
; %bb.3931:                             ;   in Loop: Header=BB216_2096 Depth=1
	v_and_b32_e32 v1, 0xffff, v0
	v_mov_b64_e32 v[34:35], 0x7f80000100000000
	s_mov_b32 s2, exec_lo
	s_delay_alu instid0(VALU_DEP_2) | instskip(NEXT) | instid1(VALU_DEP_1)
	v_and_b32_e32 v0, 0x7f, v1
	v_cmpx_ne_u32_e32 0x7f, v0
	s_cbranch_execz .LBB216_3935
; %bb.3932:                             ;   in Loop: Header=BB216_2096 Depth=1
	scratch_load_b64 v[8:9], off, s32 offset:192 th:TH_LOAD_LU ; 8-byte Folded Reload
	s_wait_loadcnt 0x0
	v_dual_lshrrev_b32 v3, 3, v0 :: v_dual_bitop2_b32 v8, 7, v1 bitop3:0x40
	v_cmp_gt_u32_e32 vcc_lo, 8, v0
	s_delay_alu instid0(VALU_DEP_2)
	v_mov_b64_e32 v[0:1], v[8:9]
	s_wait_xcnt 0x0
	s_and_saveexec_b32 s3, vcc_lo
; %bb.3933:                             ;   in Loop: Header=BB216_2096 Depth=1
	v_clz_i32_u32_e32 v0, v8
	s_delay_alu instid0(VALU_DEP_1) | instskip(NEXT) | instid1(VALU_DEP_1)
	v_min_u32_e32 v3, 32, v0
	v_subrev_nc_u32_e32 v0, 28, v3
	s_delay_alu instid0(VALU_DEP_1) | instskip(NEXT) | instid1(VALU_DEP_1)
	v_lshlrev_b64_e32 v[0:1], v0, v[8:9]
	v_dual_sub_nc_u32 v3, 29, v3 :: v_dual_bitop2_b32 v0, 7, v0 bitop3:0x40
; %bb.3934:                             ;   in Loop: Header=BB216_2096 Depth=1
	s_or_b32 exec_lo, exec_lo, s3
	s_delay_alu instid0(VALU_DEP_1) | instskip(NEXT) | instid1(VALU_DEP_2)
	v_dual_lshlrev_b32 v1, 16, v2 :: v_dual_lshlrev_b32 v0, 20, v0
	v_lshl_add_u32 v3, v3, 23, 0x3c000000
	v_mov_b32_e32 v34, v9
	s_delay_alu instid0(VALU_DEP_3) | instskip(NEXT) | instid1(VALU_DEP_1)
	v_and_b32_e32 v1, 0x80000000, v1
	v_or3_b32 v35, v0, v1, v3
	v_mov_b32_e32 v1, v9
	scratch_store_b64 off, v[0:1], s32 offset:192 ; 8-byte Folded Spill
.LBB216_3935:                           ;   in Loop: Header=BB216_2096 Depth=1
	s_wait_xcnt 0x0
	s_or_b32 exec_lo, exec_lo, s2
.LBB216_3936:                           ;   in Loop: Header=BB216_2096 Depth=1
	s_delay_alu instid0(SALU_CYCLE_1)
	s_or_b32 exec_lo, exec_lo, s1
.LBB216_3937:                           ;   in Loop: Header=BB216_2096 Depth=1
	s_delay_alu instid0(SALU_CYCLE_1) | instskip(SKIP_4) | instid1(VALU_DEP_3)
	s_or_b32 exec_lo, exec_lo, s0
	v_lshrrev_b32_e32 v3, 16, v2
	v_mov_b64_e32 v[80:81], 0
	v_mov_b64_e32 v[50:51], 0
	s_mov_b32 s0, exec_lo
	v_and_b32_e32 v0, 0xff, v3
	s_delay_alu instid0(VALU_DEP_1)
	v_cmpx_ne_u16_e32 0, v0
	s_cbranch_execz .LBB216_3945
; %bb.3938:                             ;   in Loop: Header=BB216_2096 Depth=1
	v_mov_b64_e32 v[50:51], 0x80000000
	s_mov_b32 s1, exec_lo
	v_cmpx_ne_u16_e32 0x80, v0
	s_cbranch_execz .LBB216_3944
; %bb.3939:                             ;   in Loop: Header=BB216_2096 Depth=1
	v_mov_b64_e32 v[50:51], 0x7f800001
	v_bfe_u32 v0, v2, 16, 7
	s_mov_b32 s2, exec_lo
	s_delay_alu instid0(VALU_DEP_1)
	v_cmpx_ne_u32_e32 0x7f, v0
	s_cbranch_execz .LBB216_3943
; %bb.3940:                             ;   in Loop: Header=BB216_2096 Depth=1
	scratch_load_b64 v[50:51], off, s32 offset:192 th:TH_LOAD_LU ; 8-byte Folded Reload
	s_wait_loadcnt 0x0
	v_dual_lshrrev_b32 v8, 3, v0 :: v_dual_bitop2_b32 v50, 7, v3 bitop3:0x40
	v_cmp_gt_u32_e32 vcc_lo, 8, v0
	s_delay_alu instid0(VALU_DEP_2)
	v_mov_b64_e32 v[0:1], v[50:51]
	s_wait_xcnt 0x0
	s_and_saveexec_b32 s3, vcc_lo
; %bb.3941:                             ;   in Loop: Header=BB216_2096 Depth=1
	v_clz_i32_u32_e32 v0, v50
	s_delay_alu instid0(VALU_DEP_1) | instskip(NEXT) | instid1(VALU_DEP_1)
	v_min_u32_e32 v8, 32, v0
	v_subrev_nc_u32_e32 v0, 28, v8
	v_sub_nc_u32_e32 v8, 29, v8
	s_delay_alu instid0(VALU_DEP_2) | instskip(NEXT) | instid1(VALU_DEP_1)
	v_lshlrev_b64_e32 v[0:1], v0, v[50:51]
	v_and_b32_e32 v0, 7, v0
; %bb.3942:                             ;   in Loop: Header=BB216_2096 Depth=1
	s_or_b32 exec_lo, exec_lo, s3
	s_delay_alu instid0(VALU_DEP_1) | instskip(SKIP_1) | instid1(VALU_DEP_2)
	v_dual_lshlrev_b32 v1, 24, v3 :: v_dual_lshlrev_b32 v0, 20, v0
	v_lshl_add_u32 v3, v8, 23, 0x3c000000
	v_and_b32_e32 v1, 0x80000000, v1
	s_delay_alu instid0(VALU_DEP_1)
	v_or3_b32 v50, v0, v1, v3
	v_mov_b32_e32 v1, v51
	scratch_store_b64 off, v[0:1], s32 offset:192 ; 8-byte Folded Spill
.LBB216_3943:                           ;   in Loop: Header=BB216_2096 Depth=1
	s_wait_xcnt 0x0
	s_or_b32 exec_lo, exec_lo, s2
.LBB216_3944:                           ;   in Loop: Header=BB216_2096 Depth=1
	s_delay_alu instid0(SALU_CYCLE_1)
	s_or_b32 exec_lo, exec_lo, s1
.LBB216_3945:                           ;   in Loop: Header=BB216_2096 Depth=1
	s_delay_alu instid0(SALU_CYCLE_1) | instskip(NEXT) | instid1(SALU_CYCLE_1)
	s_or_b32 exec_lo, exec_lo, s0
	s_mov_b32 s0, exec_lo
	v_cmpx_lt_u32_e32 0xffffff, v2
	s_cbranch_execz .LBB216_3953
; %bb.3946:                             ;   in Loop: Header=BB216_2096 Depth=1
	v_mov_b64_e32 v[80:81], 0x8000000000000000
	v_lshrrev_b32_e32 v3, 24, v2
	s_mov_b32 s1, exec_lo
	s_delay_alu instid0(VALU_DEP_1)
	v_cmpx_ne_u32_e32 0x80, v3
	s_cbranch_execz .LBB216_3952
; %bb.3947:                             ;   in Loop: Header=BB216_2096 Depth=1
	v_mov_b64_e32 v[80:81], 0x7f80000100000000
	v_bfe_u32 v0, v2, 24, 7
	s_mov_b32 s2, exec_lo
	s_delay_alu instid0(VALU_DEP_1)
	v_cmpx_ne_u32_e32 0x7f, v0
	s_cbranch_execz .LBB216_3951
; %bb.3948:                             ;   in Loop: Header=BB216_2096 Depth=1
	scratch_load_b64 v[8:9], off, s32 offset:192 th:TH_LOAD_LU ; 8-byte Folded Reload
	s_wait_loadcnt 0x0
	v_dual_lshrrev_b32 v2, 3, v0 :: v_dual_bitop2_b32 v8, 7, v3 bitop3:0x40
	v_cmp_gt_u32_e32 vcc_lo, 8, v0
	s_delay_alu instid0(VALU_DEP_2)
	v_mov_b64_e32 v[0:1], v[8:9]
	s_wait_xcnt 0x0
	s_and_saveexec_b32 s3, vcc_lo
; %bb.3949:                             ;   in Loop: Header=BB216_2096 Depth=1
	v_clz_i32_u32_e32 v0, v8
	s_delay_alu instid0(VALU_DEP_1) | instskip(NEXT) | instid1(VALU_DEP_1)
	v_min_u32_e32 v2, 32, v0
	v_subrev_nc_u32_e32 v0, 28, v2
	s_delay_alu instid0(VALU_DEP_1) | instskip(NEXT) | instid1(VALU_DEP_1)
	v_lshlrev_b64_e32 v[0:1], v0, v[8:9]
	v_dual_sub_nc_u32 v2, 29, v2 :: v_dual_bitop2_b32 v0, 7, v0 bitop3:0x40
; %bb.3950:                             ;   in Loop: Header=BB216_2096 Depth=1
	s_or_b32 exec_lo, exec_lo, s3
	s_delay_alu instid0(VALU_DEP_1) | instskip(NEXT) | instid1(VALU_DEP_2)
	v_dual_lshlrev_b32 v1, 24, v3 :: v_dual_lshlrev_b32 v0, 20, v0
	v_lshl_add_u32 v2, v2, 23, 0x3c000000
	v_mov_b32_e32 v80, v9
	s_delay_alu instid0(VALU_DEP_3) | instskip(NEXT) | instid1(VALU_DEP_1)
	v_and_b32_e32 v1, 0x80000000, v1
	v_or3_b32 v81, v0, v1, v2
	v_mov_b32_e32 v1, v9
	scratch_store_b64 off, v[0:1], s32 offset:192 ; 8-byte Folded Spill
.LBB216_3951:                           ;   in Loop: Header=BB216_2096 Depth=1
	s_wait_xcnt 0x0
	s_or_b32 exec_lo, exec_lo, s2
.LBB216_3952:                           ;   in Loop: Header=BB216_2096 Depth=1
	s_delay_alu instid0(SALU_CYCLE_1)
	s_or_b32 exec_lo, exec_lo, s1
.LBB216_3953:                           ;   in Loop: Header=BB216_2096 Depth=1
	s_delay_alu instid0(SALU_CYCLE_1)
	s_or_b32 exec_lo, exec_lo, s0
	flat_load_b32 v2, v[24:25] offset:7424
	v_mov_b64_e32 v[8:9], 0
	v_mov_b64_e32 v[70:71], 0
	s_mov_b32 s0, exec_lo
	s_wait_loadcnt_dscnt 0x0
	v_and_b32_e32 v0, 0xff, v2
	s_wait_xcnt 0x0
	s_delay_alu instid0(VALU_DEP_1)
	v_cmpx_ne_u16_e32 0, v0
	s_cbranch_execz .LBB216_3961
; %bb.3954:                             ;   in Loop: Header=BB216_2096 Depth=1
	v_mov_b64_e32 v[70:71], 0x80000000
	s_mov_b32 s1, exec_lo
	v_cmpx_ne_u16_e32 0x80, v0
	s_cbranch_execz .LBB216_3960
; %bb.3955:                             ;   in Loop: Header=BB216_2096 Depth=1
	v_mov_b64_e32 v[70:71], 0x7f800001
	v_and_b32_e32 v0, 0x7f, v2
	s_mov_b32 s2, exec_lo
	s_delay_alu instid0(VALU_DEP_1)
	v_cmpx_ne_u32_e32 0x7f, v0
	s_cbranch_execz .LBB216_3959
; %bb.3956:                             ;   in Loop: Header=BB216_2096 Depth=1
	scratch_load_b64 v[70:71], off, s32 offset:192 th:TH_LOAD_LU ; 8-byte Folded Reload
	s_wait_loadcnt 0x0
	v_dual_lshrrev_b32 v3, 3, v0 :: v_dual_bitop2_b32 v70, 7, v2 bitop3:0x40
	v_cmp_gt_u32_e32 vcc_lo, 8, v0
	s_delay_alu instid0(VALU_DEP_2)
	v_mov_b64_e32 v[0:1], v[70:71]
	s_wait_xcnt 0x0
	s_and_saveexec_b32 s3, vcc_lo
; %bb.3957:                             ;   in Loop: Header=BB216_2096 Depth=1
	v_clz_i32_u32_e32 v0, v70
	s_delay_alu instid0(VALU_DEP_1) | instskip(NEXT) | instid1(VALU_DEP_1)
	v_min_u32_e32 v3, 32, v0
	v_subrev_nc_u32_e32 v0, 28, v3
	s_delay_alu instid0(VALU_DEP_1) | instskip(NEXT) | instid1(VALU_DEP_1)
	v_lshlrev_b64_e32 v[0:1], v0, v[70:71]
	v_dual_sub_nc_u32 v3, 29, v3 :: v_dual_bitop2_b32 v0, 7, v0 bitop3:0x40
; %bb.3958:                             ;   in Loop: Header=BB216_2096 Depth=1
	s_or_b32 exec_lo, exec_lo, s3
	s_delay_alu instid0(VALU_DEP_1) | instskip(NEXT) | instid1(VALU_DEP_2)
	v_dual_lshlrev_b32 v1, 24, v2 :: v_dual_lshlrev_b32 v0, 20, v0
	v_lshl_add_u32 v3, v3, 23, 0x3c000000
	s_delay_alu instid0(VALU_DEP_2) | instskip(NEXT) | instid1(VALU_DEP_1)
	v_and_b32_e32 v1, 0x80000000, v1
	v_or3_b32 v70, v0, v1, v3
	v_mov_b32_e32 v1, v71
	scratch_store_b64 off, v[0:1], s32 offset:192 ; 8-byte Folded Spill
.LBB216_3959:                           ;   in Loop: Header=BB216_2096 Depth=1
	s_wait_xcnt 0x0
	s_or_b32 exec_lo, exec_lo, s2
.LBB216_3960:                           ;   in Loop: Header=BB216_2096 Depth=1
	s_delay_alu instid0(SALU_CYCLE_1)
	s_or_b32 exec_lo, exec_lo, s1
.LBB216_3961:                           ;   in Loop: Header=BB216_2096 Depth=1
	s_delay_alu instid0(SALU_CYCLE_1) | instskip(SKIP_2) | instid1(VALU_DEP_1)
	s_or_b32 exec_lo, exec_lo, s0
	v_lshrrev_b16 v0, 8, v2
	s_mov_b32 s0, exec_lo
	v_cmpx_ne_u16_e32 0, v0
	s_cbranch_execz .LBB216_3969
; %bb.3962:                             ;   in Loop: Header=BB216_2096 Depth=1
	v_mov_b64_e32 v[8:9], 0x8000000000000000
	s_mov_b32 s1, exec_lo
	v_cmpx_ne_u16_e32 0x80, v0
	s_cbranch_execz .LBB216_3968
; %bb.3963:                             ;   in Loop: Header=BB216_2096 Depth=1
	v_and_b32_e32 v1, 0xffff, v0
	v_mov_b64_e32 v[8:9], 0x7f80000100000000
	s_mov_b32 s2, exec_lo
	s_delay_alu instid0(VALU_DEP_2) | instskip(NEXT) | instid1(VALU_DEP_1)
	v_and_b32_e32 v0, 0x7f, v1
	v_cmpx_ne_u32_e32 0x7f, v0
	s_cbranch_execz .LBB216_3967
; %bb.3964:                             ;   in Loop: Header=BB216_2096 Depth=1
	scratch_load_b64 v[10:11], off, s32 offset:192 th:TH_LOAD_LU ; 8-byte Folded Reload
	s_wait_loadcnt 0x0
	v_dual_lshrrev_b32 v3, 3, v0 :: v_dual_bitop2_b32 v10, 7, v1 bitop3:0x40
	v_cmp_gt_u32_e32 vcc_lo, 8, v0
	s_delay_alu instid0(VALU_DEP_2)
	v_mov_b64_e32 v[0:1], v[10:11]
	s_wait_xcnt 0x0
	s_and_saveexec_b32 s3, vcc_lo
; %bb.3965:                             ;   in Loop: Header=BB216_2096 Depth=1
	v_clz_i32_u32_e32 v0, v10
	s_delay_alu instid0(VALU_DEP_1) | instskip(NEXT) | instid1(VALU_DEP_1)
	v_min_u32_e32 v3, 32, v0
	v_subrev_nc_u32_e32 v0, 28, v3
	s_delay_alu instid0(VALU_DEP_1) | instskip(NEXT) | instid1(VALU_DEP_1)
	v_lshlrev_b64_e32 v[0:1], v0, v[10:11]
	v_dual_sub_nc_u32 v3, 29, v3 :: v_dual_bitop2_b32 v0, 7, v0 bitop3:0x40
; %bb.3966:                             ;   in Loop: Header=BB216_2096 Depth=1
	s_or_b32 exec_lo, exec_lo, s3
	s_delay_alu instid0(VALU_DEP_1) | instskip(NEXT) | instid1(VALU_DEP_2)
	v_dual_lshlrev_b32 v1, 16, v2 :: v_dual_lshlrev_b32 v0, 20, v0
	v_lshl_add_u32 v3, v3, 23, 0x3c000000
	v_mov_b32_e32 v8, v11
	s_delay_alu instid0(VALU_DEP_3) | instskip(NEXT) | instid1(VALU_DEP_1)
	v_and_b32_e32 v1, 0x80000000, v1
	v_or3_b32 v9, v0, v1, v3
	v_mov_b32_e32 v1, v11
	scratch_store_b64 off, v[0:1], s32 offset:192 ; 8-byte Folded Spill
.LBB216_3967:                           ;   in Loop: Header=BB216_2096 Depth=1
	s_wait_xcnt 0x0
	s_or_b32 exec_lo, exec_lo, s2
.LBB216_3968:                           ;   in Loop: Header=BB216_2096 Depth=1
	s_delay_alu instid0(SALU_CYCLE_1)
	s_or_b32 exec_lo, exec_lo, s1
.LBB216_3969:                           ;   in Loop: Header=BB216_2096 Depth=1
	s_delay_alu instid0(SALU_CYCLE_1) | instskip(SKIP_4) | instid1(VALU_DEP_3)
	s_or_b32 exec_lo, exec_lo, s0
	v_lshrrev_b32_e32 v3, 16, v2
	v_mov_b64_e32 v[106:107], 0
	v_mov_b64_e32 v[112:113], 0
	s_mov_b32 s0, exec_lo
	v_and_b32_e32 v0, 0xff, v3
	s_delay_alu instid0(VALU_DEP_1)
	v_cmpx_ne_u16_e32 0, v0
	s_cbranch_execz .LBB216_3977
; %bb.3970:                             ;   in Loop: Header=BB216_2096 Depth=1
	v_mov_b64_e32 v[112:113], 0x80000000
	s_mov_b32 s1, exec_lo
	v_cmpx_ne_u16_e32 0x80, v0
	s_cbranch_execz .LBB216_3976
; %bb.3971:                             ;   in Loop: Header=BB216_2096 Depth=1
	v_mov_b64_e32 v[112:113], 0x7f800001
	v_bfe_u32 v0, v2, 16, 7
	s_mov_b32 s2, exec_lo
	s_delay_alu instid0(VALU_DEP_1)
	v_cmpx_ne_u32_e32 0x7f, v0
	s_cbranch_execz .LBB216_3975
; %bb.3972:                             ;   in Loop: Header=BB216_2096 Depth=1
	scratch_load_b64 v[112:113], off, s32 offset:192 th:TH_LOAD_LU ; 8-byte Folded Reload
	s_wait_loadcnt 0x0
	v_dual_lshrrev_b32 v10, 3, v0 :: v_dual_bitop2_b32 v112, 7, v3 bitop3:0x40
	v_cmp_gt_u32_e32 vcc_lo, 8, v0
	s_delay_alu instid0(VALU_DEP_2)
	v_mov_b64_e32 v[0:1], v[112:113]
	s_wait_xcnt 0x0
	s_and_saveexec_b32 s3, vcc_lo
; %bb.3973:                             ;   in Loop: Header=BB216_2096 Depth=1
	v_clz_i32_u32_e32 v0, v112
	s_delay_alu instid0(VALU_DEP_1) | instskip(NEXT) | instid1(VALU_DEP_1)
	v_min_u32_e32 v10, 32, v0
	v_subrev_nc_u32_e32 v0, 28, v10
	s_delay_alu instid0(VALU_DEP_1) | instskip(NEXT) | instid1(VALU_DEP_1)
	v_lshlrev_b64_e32 v[0:1], v0, v[112:113]
	v_dual_sub_nc_u32 v10, 29, v10 :: v_dual_bitop2_b32 v0, 7, v0 bitop3:0x40
; %bb.3974:                             ;   in Loop: Header=BB216_2096 Depth=1
	s_or_b32 exec_lo, exec_lo, s3
	s_delay_alu instid0(VALU_DEP_1) | instskip(NEXT) | instid1(VALU_DEP_2)
	v_dual_lshlrev_b32 v1, 24, v3 :: v_dual_lshlrev_b32 v0, 20, v0
	v_lshl_add_u32 v3, v10, 23, 0x3c000000
	s_delay_alu instid0(VALU_DEP_2) | instskip(NEXT) | instid1(VALU_DEP_1)
	v_and_b32_e32 v1, 0x80000000, v1
	v_or3_b32 v112, v0, v1, v3
	v_mov_b32_e32 v1, v113
	scratch_store_b64 off, v[0:1], s32 offset:192 ; 8-byte Folded Spill
.LBB216_3975:                           ;   in Loop: Header=BB216_2096 Depth=1
	s_wait_xcnt 0x0
	s_or_b32 exec_lo, exec_lo, s2
.LBB216_3976:                           ;   in Loop: Header=BB216_2096 Depth=1
	s_delay_alu instid0(SALU_CYCLE_1)
	s_or_b32 exec_lo, exec_lo, s1
.LBB216_3977:                           ;   in Loop: Header=BB216_2096 Depth=1
	s_delay_alu instid0(SALU_CYCLE_1) | instskip(NEXT) | instid1(SALU_CYCLE_1)
	s_or_b32 exec_lo, exec_lo, s0
	s_mov_b32 s0, exec_lo
	v_cmpx_lt_u32_e32 0xffffff, v2
	s_cbranch_execz .LBB216_3985
; %bb.3978:                             ;   in Loop: Header=BB216_2096 Depth=1
	v_mov_b64_e32 v[106:107], 0x8000000000000000
	v_lshrrev_b32_e32 v3, 24, v2
	s_mov_b32 s1, exec_lo
	s_delay_alu instid0(VALU_DEP_1)
	v_cmpx_ne_u32_e32 0x80, v3
	s_cbranch_execz .LBB216_3984
; %bb.3979:                             ;   in Loop: Header=BB216_2096 Depth=1
	v_mov_b64_e32 v[106:107], 0x7f80000100000000
	v_bfe_u32 v0, v2, 24, 7
	s_mov_b32 s2, exec_lo
	s_delay_alu instid0(VALU_DEP_1)
	v_cmpx_ne_u32_e32 0x7f, v0
	s_cbranch_execz .LBB216_3983
; %bb.3980:                             ;   in Loop: Header=BB216_2096 Depth=1
	scratch_load_b64 v[10:11], off, s32 offset:192 th:TH_LOAD_LU ; 8-byte Folded Reload
	s_wait_loadcnt 0x0
	v_dual_lshrrev_b32 v2, 3, v0 :: v_dual_bitop2_b32 v10, 7, v3 bitop3:0x40
	v_cmp_gt_u32_e32 vcc_lo, 8, v0
	s_delay_alu instid0(VALU_DEP_2)
	v_mov_b64_e32 v[0:1], v[10:11]
	s_wait_xcnt 0x0
	s_and_saveexec_b32 s3, vcc_lo
; %bb.3981:                             ;   in Loop: Header=BB216_2096 Depth=1
	v_clz_i32_u32_e32 v0, v10
	s_delay_alu instid0(VALU_DEP_1) | instskip(NEXT) | instid1(VALU_DEP_1)
	v_min_u32_e32 v2, 32, v0
	v_subrev_nc_u32_e32 v0, 28, v2
	s_delay_alu instid0(VALU_DEP_1) | instskip(NEXT) | instid1(VALU_DEP_1)
	v_lshlrev_b64_e32 v[0:1], v0, v[10:11]
	v_dual_sub_nc_u32 v2, 29, v2 :: v_dual_bitop2_b32 v0, 7, v0 bitop3:0x40
; %bb.3982:                             ;   in Loop: Header=BB216_2096 Depth=1
	s_or_b32 exec_lo, exec_lo, s3
	s_delay_alu instid0(VALU_DEP_1) | instskip(NEXT) | instid1(VALU_DEP_2)
	v_dual_lshlrev_b32 v1, 24, v3 :: v_dual_lshlrev_b32 v0, 20, v0
	v_lshl_add_u32 v2, v2, 23, 0x3c000000
	v_mov_b32_e32 v106, v11
	s_delay_alu instid0(VALU_DEP_3) | instskip(NEXT) | instid1(VALU_DEP_1)
	v_and_b32_e32 v1, 0x80000000, v1
	v_or3_b32 v107, v0, v1, v2
	v_mov_b32_e32 v1, v11
	scratch_store_b64 off, v[0:1], s32 offset:192 ; 8-byte Folded Spill
.LBB216_3983:                           ;   in Loop: Header=BB216_2096 Depth=1
	s_wait_xcnt 0x0
	s_or_b32 exec_lo, exec_lo, s2
.LBB216_3984:                           ;   in Loop: Header=BB216_2096 Depth=1
	s_delay_alu instid0(SALU_CYCLE_1)
	s_or_b32 exec_lo, exec_lo, s1
.LBB216_3985:                           ;   in Loop: Header=BB216_2096 Depth=1
	s_delay_alu instid0(SALU_CYCLE_1)
	s_or_b32 exec_lo, exec_lo, s0
	flat_load_b32 v2, v[24:25] offset:7552
	v_mov_b64_e32 v[104:105], 0
	v_mov_b64_e32 v[68:69], 0
	s_mov_b32 s0, exec_lo
	s_wait_loadcnt_dscnt 0x0
	v_and_b32_e32 v0, 0xff, v2
	s_wait_xcnt 0x0
	s_delay_alu instid0(VALU_DEP_1)
	v_cmpx_ne_u16_e32 0, v0
	s_cbranch_execz .LBB216_3993
; %bb.3986:                             ;   in Loop: Header=BB216_2096 Depth=1
	v_mov_b64_e32 v[68:69], 0x80000000
	s_mov_b32 s1, exec_lo
	v_cmpx_ne_u16_e32 0x80, v0
	s_cbranch_execz .LBB216_3992
; %bb.3987:                             ;   in Loop: Header=BB216_2096 Depth=1
	v_mov_b64_e32 v[68:69], 0x7f800001
	v_and_b32_e32 v0, 0x7f, v2
	s_mov_b32 s2, exec_lo
	s_delay_alu instid0(VALU_DEP_1)
	v_cmpx_ne_u32_e32 0x7f, v0
	s_cbranch_execz .LBB216_3991
; %bb.3988:                             ;   in Loop: Header=BB216_2096 Depth=1
	scratch_load_b64 v[68:69], off, s32 offset:192 th:TH_LOAD_LU ; 8-byte Folded Reload
	s_wait_loadcnt 0x0
	v_dual_lshrrev_b32 v3, 3, v0 :: v_dual_bitop2_b32 v68, 7, v2 bitop3:0x40
	v_cmp_gt_u32_e32 vcc_lo, 8, v0
	s_delay_alu instid0(VALU_DEP_2)
	v_mov_b64_e32 v[0:1], v[68:69]
	s_wait_xcnt 0x0
	s_and_saveexec_b32 s3, vcc_lo
; %bb.3989:                             ;   in Loop: Header=BB216_2096 Depth=1
	v_clz_i32_u32_e32 v0, v68
	s_delay_alu instid0(VALU_DEP_1) | instskip(NEXT) | instid1(VALU_DEP_1)
	v_min_u32_e32 v3, 32, v0
	v_subrev_nc_u32_e32 v0, 28, v3
	s_delay_alu instid0(VALU_DEP_1) | instskip(NEXT) | instid1(VALU_DEP_1)
	v_lshlrev_b64_e32 v[0:1], v0, v[68:69]
	v_dual_sub_nc_u32 v3, 29, v3 :: v_dual_bitop2_b32 v0, 7, v0 bitop3:0x40
; %bb.3990:                             ;   in Loop: Header=BB216_2096 Depth=1
	s_or_b32 exec_lo, exec_lo, s3
	s_delay_alu instid0(VALU_DEP_1) | instskip(NEXT) | instid1(VALU_DEP_2)
	v_dual_lshlrev_b32 v1, 24, v2 :: v_dual_lshlrev_b32 v0, 20, v0
	v_lshl_add_u32 v3, v3, 23, 0x3c000000
	s_delay_alu instid0(VALU_DEP_2) | instskip(NEXT) | instid1(VALU_DEP_1)
	v_and_b32_e32 v1, 0x80000000, v1
	v_or3_b32 v68, v0, v1, v3
	v_mov_b32_e32 v1, v69
	scratch_store_b64 off, v[0:1], s32 offset:192 ; 8-byte Folded Spill
.LBB216_3991:                           ;   in Loop: Header=BB216_2096 Depth=1
	s_wait_xcnt 0x0
	s_or_b32 exec_lo, exec_lo, s2
.LBB216_3992:                           ;   in Loop: Header=BB216_2096 Depth=1
	s_delay_alu instid0(SALU_CYCLE_1)
	s_or_b32 exec_lo, exec_lo, s1
.LBB216_3993:                           ;   in Loop: Header=BB216_2096 Depth=1
	s_delay_alu instid0(SALU_CYCLE_1) | instskip(SKIP_2) | instid1(VALU_DEP_1)
	s_or_b32 exec_lo, exec_lo, s0
	v_lshrrev_b16 v0, 8, v2
	s_mov_b32 s0, exec_lo
	v_cmpx_ne_u16_e32 0, v0
	s_cbranch_execz .LBB216_4001
; %bb.3994:                             ;   in Loop: Header=BB216_2096 Depth=1
	v_mov_b64_e32 v[104:105], 0x8000000000000000
	s_mov_b32 s1, exec_lo
	v_cmpx_ne_u16_e32 0x80, v0
	s_cbranch_execz .LBB216_4000
; %bb.3995:                             ;   in Loop: Header=BB216_2096 Depth=1
	v_and_b32_e32 v1, 0xffff, v0
	v_mov_b64_e32 v[104:105], 0x7f80000100000000
	s_mov_b32 s2, exec_lo
	s_delay_alu instid0(VALU_DEP_2) | instskip(NEXT) | instid1(VALU_DEP_1)
	v_and_b32_e32 v0, 0x7f, v1
	v_cmpx_ne_u32_e32 0x7f, v0
	s_cbranch_execz .LBB216_3999
; %bb.3996:                             ;   in Loop: Header=BB216_2096 Depth=1
	scratch_load_b64 v[10:11], off, s32 offset:192 th:TH_LOAD_LU ; 8-byte Folded Reload
	s_wait_loadcnt 0x0
	v_dual_lshrrev_b32 v3, 3, v0 :: v_dual_bitop2_b32 v10, 7, v1 bitop3:0x40
	v_cmp_gt_u32_e32 vcc_lo, 8, v0
	s_delay_alu instid0(VALU_DEP_2)
	v_mov_b64_e32 v[0:1], v[10:11]
	s_wait_xcnt 0x0
	s_and_saveexec_b32 s3, vcc_lo
; %bb.3997:                             ;   in Loop: Header=BB216_2096 Depth=1
	v_clz_i32_u32_e32 v0, v10
	s_delay_alu instid0(VALU_DEP_1) | instskip(NEXT) | instid1(VALU_DEP_1)
	v_min_u32_e32 v3, 32, v0
	v_subrev_nc_u32_e32 v0, 28, v3
	s_delay_alu instid0(VALU_DEP_1) | instskip(NEXT) | instid1(VALU_DEP_1)
	v_lshlrev_b64_e32 v[0:1], v0, v[10:11]
	v_dual_sub_nc_u32 v3, 29, v3 :: v_dual_bitop2_b32 v0, 7, v0 bitop3:0x40
; %bb.3998:                             ;   in Loop: Header=BB216_2096 Depth=1
	s_or_b32 exec_lo, exec_lo, s3
	s_delay_alu instid0(VALU_DEP_1) | instskip(NEXT) | instid1(VALU_DEP_2)
	v_dual_lshlrev_b32 v1, 16, v2 :: v_dual_lshlrev_b32 v0, 20, v0
	v_lshl_add_u32 v3, v3, 23, 0x3c000000
	v_mov_b32_e32 v104, v11
	s_delay_alu instid0(VALU_DEP_3) | instskip(NEXT) | instid1(VALU_DEP_1)
	v_and_b32_e32 v1, 0x80000000, v1
	v_or3_b32 v105, v0, v1, v3
	v_mov_b32_e32 v1, v11
	scratch_store_b64 off, v[0:1], s32 offset:192 ; 8-byte Folded Spill
.LBB216_3999:                           ;   in Loop: Header=BB216_2096 Depth=1
	s_wait_xcnt 0x0
	s_or_b32 exec_lo, exec_lo, s2
.LBB216_4000:                           ;   in Loop: Header=BB216_2096 Depth=1
	s_delay_alu instid0(SALU_CYCLE_1)
	s_or_b32 exec_lo, exec_lo, s1
.LBB216_4001:                           ;   in Loop: Header=BB216_2096 Depth=1
	s_delay_alu instid0(SALU_CYCLE_1) | instskip(SKIP_4) | instid1(VALU_DEP_3)
	s_or_b32 exec_lo, exec_lo, s0
	v_lshrrev_b32_e32 v3, 16, v2
	v_mov_b64_e32 v[46:47], 0
	v_mov_b64_e32 v[40:41], 0
	s_mov_b32 s0, exec_lo
	v_and_b32_e32 v0, 0xff, v3
	s_delay_alu instid0(VALU_DEP_1)
	v_cmpx_ne_u16_e32 0, v0
	s_cbranch_execz .LBB216_4009
; %bb.4002:                             ;   in Loop: Header=BB216_2096 Depth=1
	v_mov_b64_e32 v[40:41], 0x80000000
	s_mov_b32 s1, exec_lo
	v_cmpx_ne_u16_e32 0x80, v0
	s_cbranch_execz .LBB216_4008
; %bb.4003:                             ;   in Loop: Header=BB216_2096 Depth=1
	v_mov_b64_e32 v[40:41], 0x7f800001
	v_bfe_u32 v0, v2, 16, 7
	s_mov_b32 s2, exec_lo
	s_delay_alu instid0(VALU_DEP_1)
	v_cmpx_ne_u32_e32 0x7f, v0
	s_cbranch_execz .LBB216_4007
; %bb.4004:                             ;   in Loop: Header=BB216_2096 Depth=1
	scratch_load_b64 v[40:41], off, s32 offset:192 th:TH_LOAD_LU ; 8-byte Folded Reload
	s_wait_loadcnt 0x0
	v_dual_lshrrev_b32 v10, 3, v0 :: v_dual_bitop2_b32 v40, 7, v3 bitop3:0x40
	v_cmp_gt_u32_e32 vcc_lo, 8, v0
	s_delay_alu instid0(VALU_DEP_2)
	v_mov_b64_e32 v[0:1], v[40:41]
	s_wait_xcnt 0x0
	s_and_saveexec_b32 s3, vcc_lo
; %bb.4005:                             ;   in Loop: Header=BB216_2096 Depth=1
	v_clz_i32_u32_e32 v0, v40
	s_delay_alu instid0(VALU_DEP_1) | instskip(NEXT) | instid1(VALU_DEP_1)
	v_min_u32_e32 v10, 32, v0
	v_subrev_nc_u32_e32 v0, 28, v10
	s_delay_alu instid0(VALU_DEP_1) | instskip(NEXT) | instid1(VALU_DEP_1)
	v_lshlrev_b64_e32 v[0:1], v0, v[40:41]
	v_dual_sub_nc_u32 v10, 29, v10 :: v_dual_bitop2_b32 v0, 7, v0 bitop3:0x40
; %bb.4006:                             ;   in Loop: Header=BB216_2096 Depth=1
	s_or_b32 exec_lo, exec_lo, s3
	s_delay_alu instid0(VALU_DEP_1) | instskip(NEXT) | instid1(VALU_DEP_2)
	v_dual_lshlrev_b32 v1, 24, v3 :: v_dual_lshlrev_b32 v0, 20, v0
	v_lshl_add_u32 v3, v10, 23, 0x3c000000
	s_delay_alu instid0(VALU_DEP_2) | instskip(NEXT) | instid1(VALU_DEP_1)
	v_and_b32_e32 v1, 0x80000000, v1
	v_or3_b32 v40, v0, v1, v3
	v_mov_b32_e32 v1, v41
	scratch_store_b64 off, v[0:1], s32 offset:192 ; 8-byte Folded Spill
.LBB216_4007:                           ;   in Loop: Header=BB216_2096 Depth=1
	s_wait_xcnt 0x0
	s_or_b32 exec_lo, exec_lo, s2
.LBB216_4008:                           ;   in Loop: Header=BB216_2096 Depth=1
	s_delay_alu instid0(SALU_CYCLE_1)
	s_or_b32 exec_lo, exec_lo, s1
.LBB216_4009:                           ;   in Loop: Header=BB216_2096 Depth=1
	s_delay_alu instid0(SALU_CYCLE_1) | instskip(NEXT) | instid1(SALU_CYCLE_1)
	s_or_b32 exec_lo, exec_lo, s0
	s_mov_b32 s0, exec_lo
	v_cmpx_lt_u32_e32 0xffffff, v2
	s_cbranch_execz .LBB216_4017
; %bb.4010:                             ;   in Loop: Header=BB216_2096 Depth=1
	v_mov_b64_e32 v[46:47], 0x8000000000000000
	v_lshrrev_b32_e32 v3, 24, v2
	s_mov_b32 s1, exec_lo
	s_delay_alu instid0(VALU_DEP_1)
	v_cmpx_ne_u32_e32 0x80, v3
	s_cbranch_execz .LBB216_4016
; %bb.4011:                             ;   in Loop: Header=BB216_2096 Depth=1
	v_mov_b64_e32 v[46:47], 0x7f80000100000000
	v_bfe_u32 v0, v2, 24, 7
	s_mov_b32 s2, exec_lo
	s_delay_alu instid0(VALU_DEP_1)
	v_cmpx_ne_u32_e32 0x7f, v0
	s_cbranch_execz .LBB216_4015
; %bb.4012:                             ;   in Loop: Header=BB216_2096 Depth=1
	scratch_load_b64 v[10:11], off, s32 offset:192 th:TH_LOAD_LU ; 8-byte Folded Reload
	s_wait_loadcnt 0x0
	v_dual_lshrrev_b32 v2, 3, v0 :: v_dual_bitop2_b32 v10, 7, v3 bitop3:0x40
	v_cmp_gt_u32_e32 vcc_lo, 8, v0
	s_delay_alu instid0(VALU_DEP_2)
	v_mov_b64_e32 v[0:1], v[10:11]
	s_wait_xcnt 0x0
	s_and_saveexec_b32 s3, vcc_lo
; %bb.4013:                             ;   in Loop: Header=BB216_2096 Depth=1
	v_clz_i32_u32_e32 v0, v10
	s_delay_alu instid0(VALU_DEP_1) | instskip(NEXT) | instid1(VALU_DEP_1)
	v_min_u32_e32 v2, 32, v0
	v_subrev_nc_u32_e32 v0, 28, v2
	s_delay_alu instid0(VALU_DEP_1) | instskip(NEXT) | instid1(VALU_DEP_1)
	v_lshlrev_b64_e32 v[0:1], v0, v[10:11]
	v_dual_sub_nc_u32 v2, 29, v2 :: v_dual_bitop2_b32 v0, 7, v0 bitop3:0x40
; %bb.4014:                             ;   in Loop: Header=BB216_2096 Depth=1
	s_or_b32 exec_lo, exec_lo, s3
	s_delay_alu instid0(VALU_DEP_1) | instskip(NEXT) | instid1(VALU_DEP_2)
	v_dual_lshlrev_b32 v1, 24, v3 :: v_dual_lshlrev_b32 v0, 20, v0
	v_lshl_add_u32 v2, v2, 23, 0x3c000000
	v_mov_b32_e32 v46, v11
	s_delay_alu instid0(VALU_DEP_3) | instskip(NEXT) | instid1(VALU_DEP_1)
	v_and_b32_e32 v1, 0x80000000, v1
	v_or3_b32 v47, v0, v1, v2
	v_mov_b32_e32 v1, v11
	scratch_store_b64 off, v[0:1], s32 offset:192 ; 8-byte Folded Spill
.LBB216_4015:                           ;   in Loop: Header=BB216_2096 Depth=1
	s_wait_xcnt 0x0
	s_or_b32 exec_lo, exec_lo, s2
.LBB216_4016:                           ;   in Loop: Header=BB216_2096 Depth=1
	s_delay_alu instid0(SALU_CYCLE_1)
	s_or_b32 exec_lo, exec_lo, s1
.LBB216_4017:                           ;   in Loop: Header=BB216_2096 Depth=1
	s_delay_alu instid0(SALU_CYCLE_1)
	s_or_b32 exec_lo, exec_lo, s0
	flat_load_b32 v2, v[24:25] offset:7680
	v_mov_b64_e32 v[110:111], 0
	v_mov_b64_e32 v[102:103], 0
	s_mov_b32 s0, exec_lo
	s_wait_loadcnt_dscnt 0x0
	v_and_b32_e32 v0, 0xff, v2
	s_wait_xcnt 0x0
	s_delay_alu instid0(VALU_DEP_1)
	v_cmpx_ne_u16_e32 0, v0
	s_cbranch_execz .LBB216_4025
; %bb.4018:                             ;   in Loop: Header=BB216_2096 Depth=1
	v_mov_b64_e32 v[102:103], 0x80000000
	s_mov_b32 s1, exec_lo
	v_cmpx_ne_u16_e32 0x80, v0
	s_cbranch_execz .LBB216_4024
; %bb.4019:                             ;   in Loop: Header=BB216_2096 Depth=1
	v_mov_b64_e32 v[102:103], 0x7f800001
	v_and_b32_e32 v0, 0x7f, v2
	s_mov_b32 s2, exec_lo
	s_delay_alu instid0(VALU_DEP_1)
	v_cmpx_ne_u32_e32 0x7f, v0
	s_cbranch_execz .LBB216_4023
; %bb.4020:                             ;   in Loop: Header=BB216_2096 Depth=1
	scratch_load_b64 v[102:103], off, s32 offset:192 th:TH_LOAD_LU ; 8-byte Folded Reload
	s_wait_loadcnt 0x0
	v_dual_lshrrev_b32 v3, 3, v0 :: v_dual_bitop2_b32 v102, 7, v2 bitop3:0x40
	v_cmp_gt_u32_e32 vcc_lo, 8, v0
	s_delay_alu instid0(VALU_DEP_2)
	v_mov_b64_e32 v[0:1], v[102:103]
	s_wait_xcnt 0x0
	s_and_saveexec_b32 s3, vcc_lo
; %bb.4021:                             ;   in Loop: Header=BB216_2096 Depth=1
	v_clz_i32_u32_e32 v0, v102
	s_delay_alu instid0(VALU_DEP_1) | instskip(NEXT) | instid1(VALU_DEP_1)
	v_min_u32_e32 v3, 32, v0
	v_subrev_nc_u32_e32 v0, 28, v3
	s_delay_alu instid0(VALU_DEP_1) | instskip(NEXT) | instid1(VALU_DEP_1)
	v_lshlrev_b64_e32 v[0:1], v0, v[102:103]
	v_dual_sub_nc_u32 v3, 29, v3 :: v_dual_bitop2_b32 v0, 7, v0 bitop3:0x40
; %bb.4022:                             ;   in Loop: Header=BB216_2096 Depth=1
	s_or_b32 exec_lo, exec_lo, s3
	s_delay_alu instid0(VALU_DEP_1) | instskip(NEXT) | instid1(VALU_DEP_2)
	v_dual_lshlrev_b32 v1, 24, v2 :: v_dual_lshlrev_b32 v0, 20, v0
	v_lshl_add_u32 v3, v3, 23, 0x3c000000
	s_delay_alu instid0(VALU_DEP_2) | instskip(NEXT) | instid1(VALU_DEP_1)
	v_and_b32_e32 v1, 0x80000000, v1
	v_or3_b32 v102, v0, v1, v3
	v_mov_b32_e32 v1, v103
	scratch_store_b64 off, v[0:1], s32 offset:192 ; 8-byte Folded Spill
.LBB216_4023:                           ;   in Loop: Header=BB216_2096 Depth=1
	s_wait_xcnt 0x0
	s_or_b32 exec_lo, exec_lo, s2
.LBB216_4024:                           ;   in Loop: Header=BB216_2096 Depth=1
	s_delay_alu instid0(SALU_CYCLE_1)
	s_or_b32 exec_lo, exec_lo, s1
.LBB216_4025:                           ;   in Loop: Header=BB216_2096 Depth=1
	s_delay_alu instid0(SALU_CYCLE_1) | instskip(SKIP_2) | instid1(VALU_DEP_1)
	s_or_b32 exec_lo, exec_lo, s0
	v_lshrrev_b16 v0, 8, v2
	s_mov_b32 s0, exec_lo
	v_cmpx_ne_u16_e32 0, v0
	s_cbranch_execz .LBB216_4033
; %bb.4026:                             ;   in Loop: Header=BB216_2096 Depth=1
	v_mov_b64_e32 v[110:111], 0x8000000000000000
	s_mov_b32 s1, exec_lo
	v_cmpx_ne_u16_e32 0x80, v0
	s_cbranch_execz .LBB216_4032
; %bb.4027:                             ;   in Loop: Header=BB216_2096 Depth=1
	v_and_b32_e32 v1, 0xffff, v0
	v_mov_b64_e32 v[110:111], 0x7f80000100000000
	s_mov_b32 s2, exec_lo
	s_delay_alu instid0(VALU_DEP_2) | instskip(NEXT) | instid1(VALU_DEP_1)
	v_and_b32_e32 v0, 0x7f, v1
	v_cmpx_ne_u32_e32 0x7f, v0
	s_cbranch_execz .LBB216_4031
; %bb.4028:                             ;   in Loop: Header=BB216_2096 Depth=1
	scratch_load_b64 v[10:11], off, s32 offset:192 th:TH_LOAD_LU ; 8-byte Folded Reload
	s_wait_loadcnt 0x0
	v_dual_lshrrev_b32 v3, 3, v0 :: v_dual_bitop2_b32 v10, 7, v1 bitop3:0x40
	v_cmp_gt_u32_e32 vcc_lo, 8, v0
	s_delay_alu instid0(VALU_DEP_2)
	v_mov_b64_e32 v[0:1], v[10:11]
	s_wait_xcnt 0x0
	s_and_saveexec_b32 s3, vcc_lo
; %bb.4029:                             ;   in Loop: Header=BB216_2096 Depth=1
	v_clz_i32_u32_e32 v0, v10
	s_delay_alu instid0(VALU_DEP_1) | instskip(NEXT) | instid1(VALU_DEP_1)
	v_min_u32_e32 v3, 32, v0
	v_subrev_nc_u32_e32 v0, 28, v3
	s_delay_alu instid0(VALU_DEP_1) | instskip(NEXT) | instid1(VALU_DEP_1)
	v_lshlrev_b64_e32 v[0:1], v0, v[10:11]
	v_dual_sub_nc_u32 v3, 29, v3 :: v_dual_bitop2_b32 v0, 7, v0 bitop3:0x40
; %bb.4030:                             ;   in Loop: Header=BB216_2096 Depth=1
	s_or_b32 exec_lo, exec_lo, s3
	s_delay_alu instid0(VALU_DEP_1) | instskip(NEXT) | instid1(VALU_DEP_2)
	v_dual_lshlrev_b32 v1, 16, v2 :: v_dual_lshlrev_b32 v0, 20, v0
	v_lshl_add_u32 v3, v3, 23, 0x3c000000
	v_mov_b32_e32 v110, v11
	s_delay_alu instid0(VALU_DEP_3) | instskip(NEXT) | instid1(VALU_DEP_1)
	v_and_b32_e32 v1, 0x80000000, v1
	v_or3_b32 v111, v0, v1, v3
	v_mov_b32_e32 v1, v11
	scratch_store_b64 off, v[0:1], s32 offset:192 ; 8-byte Folded Spill
.LBB216_4031:                           ;   in Loop: Header=BB216_2096 Depth=1
	s_wait_xcnt 0x0
	s_or_b32 exec_lo, exec_lo, s2
.LBB216_4032:                           ;   in Loop: Header=BB216_2096 Depth=1
	s_delay_alu instid0(SALU_CYCLE_1)
	s_or_b32 exec_lo, exec_lo, s1
.LBB216_4033:                           ;   in Loop: Header=BB216_2096 Depth=1
	s_delay_alu instid0(SALU_CYCLE_1) | instskip(SKIP_4) | instid1(VALU_DEP_3)
	s_or_b32 exec_lo, exec_lo, s0
	v_lshrrev_b32_e32 v3, 16, v2
	v_mov_b64_e32 v[58:59], 0
	v_mov_b64_e32 v[74:75], 0
	s_mov_b32 s0, exec_lo
	v_and_b32_e32 v0, 0xff, v3
	s_delay_alu instid0(VALU_DEP_1)
	v_cmpx_ne_u16_e32 0, v0
	s_cbranch_execz .LBB216_4041
; %bb.4034:                             ;   in Loop: Header=BB216_2096 Depth=1
	v_mov_b64_e32 v[74:75], 0x80000000
	s_mov_b32 s1, exec_lo
	v_cmpx_ne_u16_e32 0x80, v0
	s_cbranch_execz .LBB216_4040
; %bb.4035:                             ;   in Loop: Header=BB216_2096 Depth=1
	v_mov_b64_e32 v[74:75], 0x7f800001
	v_bfe_u32 v0, v2, 16, 7
	s_mov_b32 s2, exec_lo
	s_delay_alu instid0(VALU_DEP_1)
	v_cmpx_ne_u32_e32 0x7f, v0
	s_cbranch_execz .LBB216_4039
; %bb.4036:                             ;   in Loop: Header=BB216_2096 Depth=1
	scratch_load_b64 v[74:75], off, s32 offset:192 th:TH_LOAD_LU ; 8-byte Folded Reload
	s_wait_loadcnt 0x0
	v_dual_lshrrev_b32 v10, 3, v0 :: v_dual_bitop2_b32 v74, 7, v3 bitop3:0x40
	v_cmp_gt_u32_e32 vcc_lo, 8, v0
	s_delay_alu instid0(VALU_DEP_2)
	v_mov_b64_e32 v[0:1], v[74:75]
	s_wait_xcnt 0x0
	s_and_saveexec_b32 s3, vcc_lo
; %bb.4037:                             ;   in Loop: Header=BB216_2096 Depth=1
	v_clz_i32_u32_e32 v0, v74
	s_delay_alu instid0(VALU_DEP_1) | instskip(NEXT) | instid1(VALU_DEP_1)
	v_min_u32_e32 v10, 32, v0
	v_subrev_nc_u32_e32 v0, 28, v10
	s_delay_alu instid0(VALU_DEP_1) | instskip(NEXT) | instid1(VALU_DEP_1)
	v_lshlrev_b64_e32 v[0:1], v0, v[74:75]
	v_dual_sub_nc_u32 v10, 29, v10 :: v_dual_bitop2_b32 v0, 7, v0 bitop3:0x40
; %bb.4038:                             ;   in Loop: Header=BB216_2096 Depth=1
	s_or_b32 exec_lo, exec_lo, s3
	s_delay_alu instid0(VALU_DEP_1) | instskip(NEXT) | instid1(VALU_DEP_2)
	v_dual_lshlrev_b32 v1, 24, v3 :: v_dual_lshlrev_b32 v0, 20, v0
	v_lshl_add_u32 v3, v10, 23, 0x3c000000
	s_delay_alu instid0(VALU_DEP_2) | instskip(NEXT) | instid1(VALU_DEP_1)
	v_and_b32_e32 v1, 0x80000000, v1
	v_or3_b32 v74, v0, v1, v3
	v_mov_b32_e32 v1, v75
	scratch_store_b64 off, v[0:1], s32 offset:192 ; 8-byte Folded Spill
.LBB216_4039:                           ;   in Loop: Header=BB216_2096 Depth=1
	s_wait_xcnt 0x0
	s_or_b32 exec_lo, exec_lo, s2
.LBB216_4040:                           ;   in Loop: Header=BB216_2096 Depth=1
	s_delay_alu instid0(SALU_CYCLE_1)
	s_or_b32 exec_lo, exec_lo, s1
.LBB216_4041:                           ;   in Loop: Header=BB216_2096 Depth=1
	s_delay_alu instid0(SALU_CYCLE_1) | instskip(NEXT) | instid1(SALU_CYCLE_1)
	s_or_b32 exec_lo, exec_lo, s0
	s_mov_b32 s0, exec_lo
	v_cmpx_lt_u32_e32 0xffffff, v2
	s_cbranch_execz .LBB216_4049
; %bb.4042:                             ;   in Loop: Header=BB216_2096 Depth=1
	v_mov_b64_e32 v[58:59], 0x8000000000000000
	v_lshrrev_b32_e32 v3, 24, v2
	s_mov_b32 s1, exec_lo
	s_delay_alu instid0(VALU_DEP_1)
	v_cmpx_ne_u32_e32 0x80, v3
	s_cbranch_execz .LBB216_4048
; %bb.4043:                             ;   in Loop: Header=BB216_2096 Depth=1
	v_mov_b64_e32 v[58:59], 0x7f80000100000000
	v_bfe_u32 v0, v2, 24, 7
	s_mov_b32 s2, exec_lo
	s_delay_alu instid0(VALU_DEP_1)
	v_cmpx_ne_u32_e32 0x7f, v0
	s_cbranch_execz .LBB216_4047
; %bb.4044:                             ;   in Loop: Header=BB216_2096 Depth=1
	scratch_load_b64 v[10:11], off, s32 offset:192 th:TH_LOAD_LU ; 8-byte Folded Reload
	s_wait_loadcnt 0x0
	v_dual_lshrrev_b32 v2, 3, v0 :: v_dual_bitop2_b32 v10, 7, v3 bitop3:0x40
	v_cmp_gt_u32_e32 vcc_lo, 8, v0
	s_delay_alu instid0(VALU_DEP_2)
	v_mov_b64_e32 v[0:1], v[10:11]
	s_wait_xcnt 0x0
	s_and_saveexec_b32 s3, vcc_lo
; %bb.4045:                             ;   in Loop: Header=BB216_2096 Depth=1
	v_clz_i32_u32_e32 v0, v10
	s_delay_alu instid0(VALU_DEP_1) | instskip(NEXT) | instid1(VALU_DEP_1)
	v_min_u32_e32 v2, 32, v0
	v_subrev_nc_u32_e32 v0, 28, v2
	s_delay_alu instid0(VALU_DEP_1) | instskip(NEXT) | instid1(VALU_DEP_1)
	v_lshlrev_b64_e32 v[0:1], v0, v[10:11]
	v_dual_sub_nc_u32 v2, 29, v2 :: v_dual_bitop2_b32 v0, 7, v0 bitop3:0x40
; %bb.4046:                             ;   in Loop: Header=BB216_2096 Depth=1
	s_or_b32 exec_lo, exec_lo, s3
	s_delay_alu instid0(VALU_DEP_1) | instskip(NEXT) | instid1(VALU_DEP_2)
	v_dual_lshlrev_b32 v1, 24, v3 :: v_dual_lshlrev_b32 v0, 20, v0
	v_lshl_add_u32 v2, v2, 23, 0x3c000000
	v_mov_b32_e32 v58, v11
	s_delay_alu instid0(VALU_DEP_3) | instskip(NEXT) | instid1(VALU_DEP_1)
	v_and_b32_e32 v1, 0x80000000, v1
	v_or3_b32 v59, v0, v1, v2
	v_mov_b32_e32 v1, v11
	scratch_store_b64 off, v[0:1], s32 offset:192 ; 8-byte Folded Spill
.LBB216_4047:                           ;   in Loop: Header=BB216_2096 Depth=1
	s_wait_xcnt 0x0
	s_or_b32 exec_lo, exec_lo, s2
.LBB216_4048:                           ;   in Loop: Header=BB216_2096 Depth=1
	s_delay_alu instid0(SALU_CYCLE_1)
	s_or_b32 exec_lo, exec_lo, s1
.LBB216_4049:                           ;   in Loop: Header=BB216_2096 Depth=1
	s_delay_alu instid0(SALU_CYCLE_1)
	s_or_b32 exec_lo, exec_lo, s0
	flat_load_b32 v22, v[24:25] offset:7808
	v_mov_b64_e32 v[0:1], 0
	v_mov_b64_e32 v[114:115], 0
	s_mov_b32 s0, exec_lo
	s_wait_loadcnt_dscnt 0x0
	v_and_b32_e32 v2, 0xff, v22
	s_wait_xcnt 0x0
	s_delay_alu instid0(VALU_DEP_1)
	v_cmpx_ne_u16_e32 0, v2
	s_cbranch_execz .LBB216_4057
; %bb.4050:                             ;   in Loop: Header=BB216_2096 Depth=1
	v_mov_b64_e32 v[114:115], 0x80000000
	s_mov_b32 s1, exec_lo
	v_cmpx_ne_u16_e32 0x80, v2
	s_cbranch_execz .LBB216_4056
; %bb.4051:                             ;   in Loop: Header=BB216_2096 Depth=1
	v_mov_b64_e32 v[114:115], 0x7f800001
	v_and_b32_e32 v2, 0x7f, v22
	s_mov_b32 s2, exec_lo
	s_delay_alu instid0(VALU_DEP_1)
	v_cmpx_ne_u32_e32 0x7f, v2
	s_cbranch_execz .LBB216_4055
; %bb.4052:                             ;   in Loop: Header=BB216_2096 Depth=1
	scratch_load_b64 v[114:115], off, s32 offset:192 th:TH_LOAD_LU ; 8-byte Folded Reload
	s_wait_loadcnt 0x0
	v_and_b32_e32 v114, 7, v22
	v_lshrrev_b32_e32 v10, 3, v2
	v_cmp_gt_u32_e32 vcc_lo, 8, v2
	s_delay_alu instid0(VALU_DEP_3)
	v_mov_b64_e32 v[2:3], v[114:115]
	s_wait_xcnt 0x0
	s_and_saveexec_b32 s3, vcc_lo
; %bb.4053:                             ;   in Loop: Header=BB216_2096 Depth=1
	v_clz_i32_u32_e32 v2, v114
	s_delay_alu instid0(VALU_DEP_1) | instskip(NEXT) | instid1(VALU_DEP_1)
	v_min_u32_e32 v10, 32, v2
	v_subrev_nc_u32_e32 v2, 28, v10
	v_sub_nc_u32_e32 v10, 29, v10
	s_delay_alu instid0(VALU_DEP_2) | instskip(NEXT) | instid1(VALU_DEP_1)
	v_lshlrev_b64_e32 v[2:3], v2, v[114:115]
	v_and_b32_e32 v2, 7, v2
; %bb.4054:                             ;   in Loop: Header=BB216_2096 Depth=1
	s_or_b32 exec_lo, exec_lo, s3
	v_lshlrev_b32_e32 v3, 24, v22
	s_delay_alu instid0(VALU_DEP_2) | instskip(SKIP_1) | instid1(VALU_DEP_3)
	v_lshlrev_b32_e32 v2, 20, v2
	v_lshl_add_u32 v10, v10, 23, 0x3c000000
	v_and_b32_e32 v3, 0x80000000, v3
	s_delay_alu instid0(VALU_DEP_1)
	v_or3_b32 v114, v2, v3, v10
	v_mov_b32_e32 v3, v115
	scratch_store_b64 off, v[2:3], s32 offset:192 ; 8-byte Folded Spill
.LBB216_4055:                           ;   in Loop: Header=BB216_2096 Depth=1
	s_wait_xcnt 0x0
	s_or_b32 exec_lo, exec_lo, s2
.LBB216_4056:                           ;   in Loop: Header=BB216_2096 Depth=1
	s_delay_alu instid0(SALU_CYCLE_1)
	s_or_b32 exec_lo, exec_lo, s1
.LBB216_4057:                           ;   in Loop: Header=BB216_2096 Depth=1
	s_delay_alu instid0(SALU_CYCLE_1) | instskip(SKIP_2) | instid1(VALU_DEP_1)
	s_or_b32 exec_lo, exec_lo, s0
	v_lshrrev_b16 v2, 8, v22
	s_mov_b32 s0, exec_lo
	v_cmpx_ne_u16_e32 0, v2
	s_cbranch_execz .LBB216_4065
; %bb.4058:                             ;   in Loop: Header=BB216_2096 Depth=1
	v_mov_b64_e32 v[0:1], 0x8000000000000000
	s_mov_b32 s1, exec_lo
	v_cmpx_ne_u16_e32 0x80, v2
	s_cbranch_execz .LBB216_4064
; %bb.4059:                             ;   in Loop: Header=BB216_2096 Depth=1
	v_and_b32_e32 v2, 0xffff, v2
	v_mov_b64_e32 v[0:1], 0x7f80000100000000
	s_mov_b32 s2, exec_lo
	s_delay_alu instid0(VALU_DEP_2) | instskip(NEXT) | instid1(VALU_DEP_1)
	v_and_b32_e32 v3, 0x7f, v2
	v_cmpx_ne_u32_e32 0x7f, v3
	s_cbranch_execz .LBB216_4063
; %bb.4060:                             ;   in Loop: Header=BB216_2096 Depth=1
	scratch_load_b64 v[10:11], off, s32 offset:192 th:TH_LOAD_LU ; 8-byte Folded Reload
	s_wait_loadcnt 0x0
	v_dual_lshrrev_b32 v2, 3, v3 :: v_dual_bitop2_b32 v10, 7, v2 bitop3:0x40
	s_mov_b32 s3, exec_lo
	s_delay_alu instid0(VALU_DEP_1)
	v_mov_b64_e32 v[0:1], v[10:11]
	s_wait_xcnt 0x0
	v_cmpx_gt_u32_e32 8, v3
; %bb.4061:                             ;   in Loop: Header=BB216_2096 Depth=1
	v_clz_i32_u32_e32 v0, v10
	s_delay_alu instid0(VALU_DEP_1) | instskip(NEXT) | instid1(VALU_DEP_1)
	v_min_u32_e32 v2, 32, v0
	v_subrev_nc_u32_e32 v0, 28, v2
	s_delay_alu instid0(VALU_DEP_1) | instskip(NEXT) | instid1(VALU_DEP_1)
	v_lshlrev_b64_e32 v[0:1], v0, v[10:11]
	v_dual_sub_nc_u32 v2, 29, v2 :: v_dual_bitop2_b32 v0, 7, v0 bitop3:0x40
; %bb.4062:                             ;   in Loop: Header=BB216_2096 Depth=1
	s_or_b32 exec_lo, exec_lo, s3
	s_delay_alu instid0(VALU_DEP_1) | instskip(NEXT) | instid1(VALU_DEP_2)
	v_dual_lshlrev_b32 v1, 16, v22 :: v_dual_lshlrev_b32 v0, 20, v0
	v_lshl_add_u32 v2, v2, 23, 0x3c000000
	v_mov_b32_e32 v3, v11
	s_delay_alu instid0(VALU_DEP_3) | instskip(NEXT) | instid1(VALU_DEP_1)
	v_and_b32_e32 v1, 0x80000000, v1
	v_or3_b32 v1, v0, v1, v2
	v_mov_b32_e32 v0, v11
	scratch_store_b64 off, v[2:3], s32 offset:192 ; 8-byte Folded Spill
.LBB216_4063:                           ;   in Loop: Header=BB216_2096 Depth=1
	s_wait_xcnt 0x0
	s_or_b32 exec_lo, exec_lo, s2
.LBB216_4064:                           ;   in Loop: Header=BB216_2096 Depth=1
	s_delay_alu instid0(SALU_CYCLE_1)
	s_or_b32 exec_lo, exec_lo, s1
.LBB216_4065:                           ;   in Loop: Header=BB216_2096 Depth=1
	s_delay_alu instid0(SALU_CYCLE_1) | instskip(SKIP_4) | instid1(VALU_DEP_3)
	s_or_b32 exec_lo, exec_lo, s0
	v_lshrrev_b32_e32 v23, 16, v22
	v_mov_b64_e32 v[26:27], 0
	v_mov_b64_e32 v[10:11], 0
	s_mov_b32 s0, exec_lo
	v_and_b32_e32 v2, 0xff, v23
	s_delay_alu instid0(VALU_DEP_1)
	v_cmpx_ne_u16_e32 0, v2
	s_cbranch_execz .LBB216_4073
; %bb.4066:                             ;   in Loop: Header=BB216_2096 Depth=1
	v_mov_b64_e32 v[10:11], 0x80000000
	s_mov_b32 s1, exec_lo
	v_cmpx_ne_u16_e32 0x80, v2
	s_cbranch_execz .LBB216_4072
; %bb.4067:                             ;   in Loop: Header=BB216_2096 Depth=1
	v_mov_b64_e32 v[10:11], 0x7f800001
	v_bfe_u32 v2, v22, 16, 7
	s_mov_b32 s2, exec_lo
	s_delay_alu instid0(VALU_DEP_1)
	v_cmpx_ne_u32_e32 0x7f, v2
	s_cbranch_execz .LBB216_4071
; %bb.4068:                             ;   in Loop: Header=BB216_2096 Depth=1
	scratch_load_b64 v[42:43], off, s32 offset:192 th:TH_LOAD_LU ; 8-byte Folded Reload
	s_wait_loadcnt 0x0
	v_dual_lshrrev_b32 v10, 3, v2 :: v_dual_bitop2_b32 v42, 7, v23 bitop3:0x40
	v_cmp_gt_u32_e32 vcc_lo, 8, v2
	s_delay_alu instid0(VALU_DEP_2)
	v_mov_b64_e32 v[2:3], v[42:43]
	s_wait_xcnt 0x0
	s_and_saveexec_b32 s3, vcc_lo
; %bb.4069:                             ;   in Loop: Header=BB216_2096 Depth=1
	v_clz_i32_u32_e32 v2, v42
	s_delay_alu instid0(VALU_DEP_1) | instskip(NEXT) | instid1(VALU_DEP_1)
	v_min_u32_e32 v10, 32, v2
	v_subrev_nc_u32_e32 v2, 28, v10
	v_sub_nc_u32_e32 v10, 29, v10
	s_delay_alu instid0(VALU_DEP_2) | instskip(NEXT) | instid1(VALU_DEP_1)
	v_lshlrev_b64_e32 v[2:3], v2, v[42:43]
	v_and_b32_e32 v2, 7, v2
; %bb.4070:                             ;   in Loop: Header=BB216_2096 Depth=1
	s_or_b32 exec_lo, exec_lo, s3
	s_delay_alu instid0(VALU_DEP_1) | instskip(SKIP_1) | instid1(VALU_DEP_2)
	v_dual_lshlrev_b32 v3, 24, v23 :: v_dual_lshlrev_b32 v2, 20, v2
	v_lshl_add_u32 v10, v10, 23, 0x3c000000
	v_and_b32_e32 v3, 0x80000000, v3
	s_delay_alu instid0(VALU_DEP_1) | instskip(SKIP_1) | instid1(VALU_DEP_2)
	v_or3_b32 v42, v2, v3, v10
	v_mov_b32_e32 v3, v43
	v_mov_b64_e32 v[10:11], v[42:43]
	scratch_store_b64 off, v[2:3], s32 offset:192 ; 8-byte Folded Spill
.LBB216_4071:                           ;   in Loop: Header=BB216_2096 Depth=1
	s_wait_xcnt 0x0
	s_or_b32 exec_lo, exec_lo, s2
.LBB216_4072:                           ;   in Loop: Header=BB216_2096 Depth=1
	s_delay_alu instid0(SALU_CYCLE_1)
	s_or_b32 exec_lo, exec_lo, s1
.LBB216_4073:                           ;   in Loop: Header=BB216_2096 Depth=1
	s_delay_alu instid0(SALU_CYCLE_1) | instskip(NEXT) | instid1(SALU_CYCLE_1)
	s_or_b32 exec_lo, exec_lo, s0
	s_mov_b32 s0, exec_lo
	v_cmpx_lt_u32_e32 0xffffff, v22
	s_cbranch_execz .LBB216_4081
; %bb.4074:                             ;   in Loop: Header=BB216_2096 Depth=1
	v_mov_b64_e32 v[26:27], 0x8000000000000000
	v_lshrrev_b32_e32 v23, 24, v22
	s_mov_b32 s1, exec_lo
	s_delay_alu instid0(VALU_DEP_1)
	v_cmpx_ne_u32_e32 0x80, v23
	s_cbranch_execz .LBB216_4080
; %bb.4075:                             ;   in Loop: Header=BB216_2096 Depth=1
	v_mov_b64_e32 v[26:27], 0x7f80000100000000
	v_bfe_u32 v2, v22, 24, 7
	s_mov_b32 s2, exec_lo
	s_delay_alu instid0(VALU_DEP_1)
	v_cmpx_ne_u32_e32 0x7f, v2
	s_cbranch_execz .LBB216_4079
; %bb.4076:                             ;   in Loop: Header=BB216_2096 Depth=1
	scratch_load_b64 v[42:43], off, s32 offset:192 th:TH_LOAD_LU ; 8-byte Folded Reload
	s_wait_loadcnt 0x0
	v_dual_lshrrev_b32 v22, 3, v2 :: v_dual_bitop2_b32 v42, 7, v23 bitop3:0x40
	v_cmp_gt_u32_e32 vcc_lo, 8, v2
	s_delay_alu instid0(VALU_DEP_2)
	v_mov_b64_e32 v[2:3], v[42:43]
	s_wait_xcnt 0x0
	s_and_saveexec_b32 s3, vcc_lo
; %bb.4077:                             ;   in Loop: Header=BB216_2096 Depth=1
	v_clz_i32_u32_e32 v2, v42
	s_delay_alu instid0(VALU_DEP_1) | instskip(NEXT) | instid1(VALU_DEP_1)
	v_min_u32_e32 v22, 32, v2
	v_subrev_nc_u32_e32 v2, 28, v22
	v_sub_nc_u32_e32 v22, 29, v22
	s_delay_alu instid0(VALU_DEP_2) | instskip(NEXT) | instid1(VALU_DEP_1)
	v_lshlrev_b64_e32 v[2:3], v2, v[42:43]
	v_and_b32_e32 v2, 7, v2
; %bb.4078:                             ;   in Loop: Header=BB216_2096 Depth=1
	s_or_b32 exec_lo, exec_lo, s3
	s_delay_alu instid0(VALU_DEP_1) | instskip(SKIP_2) | instid1(VALU_DEP_3)
	v_dual_lshlrev_b32 v3, 24, v23 :: v_dual_lshlrev_b32 v2, 20, v2
	v_lshl_add_u32 v22, v22, 23, 0x3c000000
	v_mov_b32_e32 v26, v43
	v_and_b32_e32 v3, 0x80000000, v3
	s_delay_alu instid0(VALU_DEP_1)
	v_or3_b32 v27, v2, v3, v22
	v_mov_b32_e32 v3, v43
	scratch_store_b64 off, v[2:3], s32 offset:192 ; 8-byte Folded Spill
.LBB216_4079:                           ;   in Loop: Header=BB216_2096 Depth=1
	s_wait_xcnt 0x0
	s_or_b32 exec_lo, exec_lo, s2
.LBB216_4080:                           ;   in Loop: Header=BB216_2096 Depth=1
	s_delay_alu instid0(SALU_CYCLE_1)
	s_or_b32 exec_lo, exec_lo, s1
.LBB216_4081:                           ;   in Loop: Header=BB216_2096 Depth=1
	s_delay_alu instid0(SALU_CYCLE_1)
	s_or_b32 exec_lo, exec_lo, s0
	flat_load_b32 v122, v[24:25] offset:7936
	v_mov_b64_e32 v[42:43], 0
	s_wait_xcnt 0x0
	v_mov_b64_e32 v[24:25], 0
	s_mov_b32 s0, exec_lo
	s_wait_loadcnt_dscnt 0x0
	v_and_b32_e32 v2, 0xff, v122
	s_delay_alu instid0(VALU_DEP_1)
	v_cmpx_ne_u16_e32 0, v2
	s_cbranch_execz .LBB216_4089
; %bb.4082:                             ;   in Loop: Header=BB216_2096 Depth=1
	v_mov_b64_e32 v[24:25], 0x80000000
	s_mov_b32 s1, exec_lo
	v_cmpx_ne_u16_e32 0x80, v2
	s_cbranch_execz .LBB216_4088
; %bb.4083:                             ;   in Loop: Header=BB216_2096 Depth=1
	v_mov_b64_e32 v[24:25], 0x7f800001
	v_and_b32_e32 v2, 0x7f, v122
	s_mov_b32 s2, exec_lo
	s_delay_alu instid0(VALU_DEP_1)
	v_cmpx_ne_u32_e32 0x7f, v2
	s_cbranch_execz .LBB216_4087
; %bb.4084:                             ;   in Loop: Header=BB216_2096 Depth=1
	scratch_load_b64 v[24:25], off, s32 offset:192 th:TH_LOAD_LU ; 8-byte Folded Reload
	s_wait_loadcnt 0x0
	v_and_b32_e32 v24, 7, v122
	v_lshrrev_b32_e32 v22, 3, v2
	v_cmp_gt_u32_e32 vcc_lo, 8, v2
	s_delay_alu instid0(VALU_DEP_3)
	v_mov_b64_e32 v[2:3], v[24:25]
	s_wait_xcnt 0x0
	s_and_saveexec_b32 s3, vcc_lo
; %bb.4085:                             ;   in Loop: Header=BB216_2096 Depth=1
	v_clz_i32_u32_e32 v2, v24
	s_delay_alu instid0(VALU_DEP_1) | instskip(NEXT) | instid1(VALU_DEP_1)
	v_min_u32_e32 v22, 32, v2
	v_subrev_nc_u32_e32 v2, 28, v22
	v_sub_nc_u32_e32 v22, 29, v22
	s_delay_alu instid0(VALU_DEP_2) | instskip(NEXT) | instid1(VALU_DEP_1)
	v_lshlrev_b64_e32 v[2:3], v2, v[24:25]
	v_and_b32_e32 v2, 7, v2
; %bb.4086:                             ;   in Loop: Header=BB216_2096 Depth=1
	s_or_b32 exec_lo, exec_lo, s3
	v_lshlrev_b32_e32 v3, 24, v122
	s_delay_alu instid0(VALU_DEP_2) | instskip(SKIP_1) | instid1(VALU_DEP_3)
	v_lshlrev_b32_e32 v2, 20, v2
	v_lshl_add_u32 v22, v22, 23, 0x3c000000
	v_and_b32_e32 v3, 0x80000000, v3
	s_delay_alu instid0(VALU_DEP_1)
	v_or3_b32 v24, v2, v3, v22
	v_mov_b32_e32 v3, v25
	scratch_store_b64 off, v[2:3], s32 offset:192 ; 8-byte Folded Spill
.LBB216_4087:                           ;   in Loop: Header=BB216_2096 Depth=1
	s_wait_xcnt 0x0
	s_or_b32 exec_lo, exec_lo, s2
.LBB216_4088:                           ;   in Loop: Header=BB216_2096 Depth=1
	s_delay_alu instid0(SALU_CYCLE_1)
	s_or_b32 exec_lo, exec_lo, s1
.LBB216_4089:                           ;   in Loop: Header=BB216_2096 Depth=1
	s_delay_alu instid0(SALU_CYCLE_1) | instskip(SKIP_2) | instid1(VALU_DEP_1)
	s_or_b32 exec_lo, exec_lo, s0
	v_lshrrev_b16 v2, 8, v122
	s_mov_b32 s0, exec_lo
	v_cmpx_ne_u16_e32 0, v2
	s_cbranch_execz .LBB216_4097
; %bb.4090:                             ;   in Loop: Header=BB216_2096 Depth=1
	v_mov_b64_e32 v[42:43], 0x8000000000000000
	s_mov_b32 s1, exec_lo
	v_cmpx_ne_u16_e32 0x80, v2
	s_cbranch_execz .LBB216_4096
; %bb.4091:                             ;   in Loop: Header=BB216_2096 Depth=1
	v_and_b32_e32 v3, 0xffff, v2
	v_mov_b64_e32 v[42:43], 0x7f80000100000000
	s_mov_b32 s2, exec_lo
	s_delay_alu instid0(VALU_DEP_2) | instskip(NEXT) | instid1(VALU_DEP_1)
	v_and_b32_e32 v2, 0x7f, v3
	v_cmpx_ne_u32_e32 0x7f, v2
	s_cbranch_execz .LBB216_4095
; %bb.4092:                             ;   in Loop: Header=BB216_2096 Depth=1
	scratch_load_b64 v[78:79], off, s32 offset:192 th:TH_LOAD_LU ; 8-byte Folded Reload
	s_wait_loadcnt 0x0
	v_dual_lshrrev_b32 v22, 3, v2 :: v_dual_bitop2_b32 v78, 7, v3 bitop3:0x40
	v_cmp_gt_u32_e32 vcc_lo, 8, v2
	s_delay_alu instid0(VALU_DEP_2)
	v_mov_b64_e32 v[2:3], v[78:79]
	s_wait_xcnt 0x0
	s_and_saveexec_b32 s3, vcc_lo
; %bb.4093:                             ;   in Loop: Header=BB216_2096 Depth=1
	v_clz_i32_u32_e32 v2, v78
	s_delay_alu instid0(VALU_DEP_1) | instskip(NEXT) | instid1(VALU_DEP_1)
	v_min_u32_e32 v22, 32, v2
	v_subrev_nc_u32_e32 v2, 28, v22
	v_sub_nc_u32_e32 v22, 29, v22
	s_delay_alu instid0(VALU_DEP_2) | instskip(NEXT) | instid1(VALU_DEP_1)
	v_lshlrev_b64_e32 v[2:3], v2, v[78:79]
	v_and_b32_e32 v2, 7, v2
; %bb.4094:                             ;   in Loop: Header=BB216_2096 Depth=1
	s_or_b32 exec_lo, exec_lo, s3
	v_dual_mov_b32 v42, v79 :: v_dual_lshlrev_b32 v3, 16, v122
	s_delay_alu instid0(VALU_DEP_2) | instskip(SKIP_1) | instid1(VALU_DEP_3)
	v_lshlrev_b32_e32 v2, 20, v2
	v_lshl_add_u32 v22, v22, 23, 0x3c000000
	v_and_b32_e32 v3, 0x80000000, v3
	s_delay_alu instid0(VALU_DEP_1)
	v_or3_b32 v43, v2, v3, v22
	v_mov_b32_e32 v3, v79
	scratch_store_b64 off, v[2:3], s32 offset:192 ; 8-byte Folded Spill
.LBB216_4095:                           ;   in Loop: Header=BB216_2096 Depth=1
	s_wait_xcnt 0x0
	s_or_b32 exec_lo, exec_lo, s2
.LBB216_4096:                           ;   in Loop: Header=BB216_2096 Depth=1
	s_delay_alu instid0(SALU_CYCLE_1)
	s_or_b32 exec_lo, exec_lo, s1
.LBB216_4097:                           ;   in Loop: Header=BB216_2096 Depth=1
	s_delay_alu instid0(SALU_CYCLE_1) | instskip(SKIP_4) | instid1(VALU_DEP_3)
	s_or_b32 exec_lo, exec_lo, s0
	v_lshrrev_b32_e32 v123, 16, v122
	v_mov_b64_e32 v[22:23], 0
	v_mov_b64_e32 v[108:109], 0
	s_mov_b32 s0, exec_lo
	v_and_b32_e32 v2, 0xff, v123
	s_delay_alu instid0(VALU_DEP_1)
	v_cmpx_ne_u16_e32 0, v2
	s_cbranch_execz .LBB216_4105
; %bb.4098:                             ;   in Loop: Header=BB216_2096 Depth=1
	v_mov_b64_e32 v[108:109], 0x80000000
	s_mov_b32 s1, exec_lo
	v_cmpx_ne_u16_e32 0x80, v2
	s_cbranch_execz .LBB216_4104
; %bb.4099:                             ;   in Loop: Header=BB216_2096 Depth=1
	v_mov_b64_e32 v[108:109], 0x7f800001
	v_bfe_u32 v2, v122, 16, 7
	s_mov_b32 s2, exec_lo
	s_delay_alu instid0(VALU_DEP_1)
	v_cmpx_ne_u32_e32 0x7f, v2
	s_cbranch_execz .LBB216_4103
; %bb.4100:                             ;   in Loop: Header=BB216_2096 Depth=1
	scratch_load_b64 v[124:125], off, s32 offset:192 th:TH_LOAD_LU ; 8-byte Folded Reload
	s_wait_loadcnt 0x0
	v_dual_lshrrev_b32 v108, 3, v2 :: v_dual_bitop2_b32 v124, 7, v123 bitop3:0x40
	v_cmp_gt_u32_e32 vcc_lo, 8, v2
	s_delay_alu instid0(VALU_DEP_2)
	v_mov_b64_e32 v[2:3], v[124:125]
	s_wait_xcnt 0x0
	s_and_saveexec_b32 s3, vcc_lo
; %bb.4101:                             ;   in Loop: Header=BB216_2096 Depth=1
	v_clz_i32_u32_e32 v2, v124
	s_delay_alu instid0(VALU_DEP_1) | instskip(NEXT) | instid1(VALU_DEP_1)
	v_min_u32_e32 v108, 32, v2
	v_subrev_nc_u32_e32 v2, 28, v108
	s_delay_alu instid0(VALU_DEP_1) | instskip(NEXT) | instid1(VALU_DEP_1)
	v_lshlrev_b64_e32 v[2:3], v2, v[124:125]
	v_dual_sub_nc_u32 v108, 29, v108 :: v_dual_bitop2_b32 v2, 7, v2 bitop3:0x40
; %bb.4102:                             ;   in Loop: Header=BB216_2096 Depth=1
	s_or_b32 exec_lo, exec_lo, s3
	s_delay_alu instid0(VALU_DEP_1) | instskip(NEXT) | instid1(VALU_DEP_2)
	v_dual_lshlrev_b32 v3, 24, v123 :: v_dual_lshlrev_b32 v2, 20, v2
	v_lshl_add_u32 v108, v108, 23, 0x3c000000
	s_delay_alu instid0(VALU_DEP_2) | instskip(NEXT) | instid1(VALU_DEP_1)
	v_and_b32_e32 v3, 0x80000000, v3
	v_or3_b32 v124, v2, v3, v108
	v_mov_b32_e32 v3, v125
	s_delay_alu instid0(VALU_DEP_2)
	v_mov_b64_e32 v[108:109], v[124:125]
	scratch_store_b64 off, v[2:3], s32 offset:192 ; 8-byte Folded Spill
.LBB216_4103:                           ;   in Loop: Header=BB216_2096 Depth=1
	s_wait_xcnt 0x0
	s_or_b32 exec_lo, exec_lo, s2
.LBB216_4104:                           ;   in Loop: Header=BB216_2096 Depth=1
	s_delay_alu instid0(SALU_CYCLE_1)
	s_or_b32 exec_lo, exec_lo, s1
.LBB216_4105:                           ;   in Loop: Header=BB216_2096 Depth=1
	s_delay_alu instid0(SALU_CYCLE_1) | instskip(NEXT) | instid1(SALU_CYCLE_1)
	s_or_b32 exec_lo, exec_lo, s0
	s_mov_b32 s0, exec_lo
	v_cmpx_lt_u32_e32 0xffffff, v122
	s_cbranch_execz .LBB216_4113
; %bb.4106:                             ;   in Loop: Header=BB216_2096 Depth=1
	v_mov_b64_e32 v[22:23], 0x8000000000000000
	v_lshrrev_b32_e32 v123, 24, v122
	s_mov_b32 s1, exec_lo
	s_delay_alu instid0(VALU_DEP_1)
	v_cmpx_ne_u32_e32 0x80, v123
	s_cbranch_execz .LBB216_4112
; %bb.4107:                             ;   in Loop: Header=BB216_2096 Depth=1
	v_mov_b64_e32 v[22:23], 0x7f80000100000000
	v_bfe_u32 v2, v122, 24, 7
	s_mov_b32 s2, exec_lo
	s_delay_alu instid0(VALU_DEP_1)
	v_cmpx_ne_u32_e32 0x7f, v2
	s_cbranch_execz .LBB216_4111
; %bb.4108:                             ;   in Loop: Header=BB216_2096 Depth=1
	scratch_load_b64 v[78:79], off, s32 offset:192 th:TH_LOAD_LU ; 8-byte Folded Reload
	s_wait_loadcnt 0x0
	v_dual_lshrrev_b32 v22, 3, v2 :: v_dual_bitop2_b32 v78, 7, v123 bitop3:0x40
	v_cmp_gt_u32_e32 vcc_lo, 8, v2
	s_delay_alu instid0(VALU_DEP_2)
	v_mov_b64_e32 v[2:3], v[78:79]
	s_wait_xcnt 0x0
	s_and_saveexec_b32 s3, vcc_lo
; %bb.4109:                             ;   in Loop: Header=BB216_2096 Depth=1
	v_clz_i32_u32_e32 v2, v78
	s_delay_alu instid0(VALU_DEP_1) | instskip(NEXT) | instid1(VALU_DEP_1)
	v_min_u32_e32 v22, 32, v2
	v_subrev_nc_u32_e32 v2, 28, v22
	v_sub_nc_u32_e32 v22, 29, v22
	s_delay_alu instid0(VALU_DEP_2) | instskip(NEXT) | instid1(VALU_DEP_1)
	v_lshlrev_b64_e32 v[2:3], v2, v[78:79]
	v_and_b32_e32 v2, 7, v2
; %bb.4110:                             ;   in Loop: Header=BB216_2096 Depth=1
	s_or_b32 exec_lo, exec_lo, s3
	s_delay_alu instid0(VALU_DEP_1) | instskip(SKIP_1) | instid1(VALU_DEP_2)
	v_dual_lshlrev_b32 v3, 24, v123 :: v_dual_lshlrev_b32 v2, 20, v2
	v_lshl_add_u32 v22, v22, 23, 0x3c000000
	v_and_b32_e32 v3, 0x80000000, v3
	s_delay_alu instid0(VALU_DEP_1)
	v_or3_b32 v23, v2, v3, v22
	v_dual_mov_b32 v3, v79 :: v_dual_mov_b32 v22, v79
	scratch_store_b64 off, v[2:3], s32 offset:192 ; 8-byte Folded Spill
.LBB216_4111:                           ;   in Loop: Header=BB216_2096 Depth=1
	s_wait_xcnt 0x0
	s_or_b32 exec_lo, exec_lo, s2
.LBB216_4112:                           ;   in Loop: Header=BB216_2096 Depth=1
	s_delay_alu instid0(SALU_CYCLE_1)
	s_or_b32 exec_lo, exec_lo, s1
.LBB216_4113:                           ;   in Loop: Header=BB216_2096 Depth=1
	s_delay_alu instid0(SALU_CYCLE_1)
	s_or_b32 exec_lo, exec_lo, s0
	s_clause 0x1
	scratch_load_b64 v[2:3], off, s32 offset:2404
	scratch_load_b64 v[78:79], off, s32 offset:260 th:TH_LOAD_LU
	s_mov_b32 s0, exec_lo
	s_wait_loadcnt 0x0
	v_add_nc_u64_e32 v[2:3], v[78:79], v[2:3]
	v_mov_b64_e32 v[78:79], 0
	flat_load_b32 v122, v[2:3]
	scratch_store_b64 off, v[78:79], s32 offset:260 ; 8-byte Folded Spill
	s_wait_xcnt 0x0
	v_mov_b64_e32 v[78:79], 0
	scratch_store_b64 off, v[78:79], s32 offset:1804 ; 8-byte Folded Spill
	s_wait_loadcnt_dscnt 0x0
	v_and_b32_e32 v2, 0xff, v122
	s_wait_xcnt 0x0
	s_delay_alu instid0(VALU_DEP_1)
	v_cmpx_ne_u16_e32 0, v2
	s_cbranch_execz .LBB216_4121
; %bb.4114:                             ;   in Loop: Header=BB216_2096 Depth=1
	v_cmp_ne_u16_e32 vcc_lo, 0x80, v2
	v_mov_b64_e32 v[2:3], 0x80000000
	scratch_store_b64 off, v[2:3], s32 offset:1804 ; 8-byte Folded Spill
	s_wait_xcnt 0x0
	s_and_saveexec_b32 s1, vcc_lo
	s_cbranch_execz .LBB216_4120
; %bb.4115:                             ;   in Loop: Header=BB216_2096 Depth=1
	v_mov_b64_e32 v[78:79], 0x7f800001
	v_and_b32_e32 v2, 0x7f, v122
	s_mov_b32 s2, exec_lo
	scratch_store_b64 off, v[78:79], s32 offset:1804 ; 8-byte Folded Spill
	s_wait_xcnt 0x0
	v_cmpx_ne_u32_e32 0x7f, v2
	s_cbranch_execz .LBB216_4119
; %bb.4116:                             ;   in Loop: Header=BB216_2096 Depth=1
	scratch_load_b64 v[124:125], off, s32 offset:192 th:TH_LOAD_LU ; 8-byte Folded Reload
	s_wait_loadcnt 0x0
	v_and_b32_e32 v124, 7, v122
	v_lshrrev_b32_e32 v123, 3, v2
	v_cmp_gt_u32_e32 vcc_lo, 8, v2
	s_delay_alu instid0(VALU_DEP_3)
	v_mov_b64_e32 v[2:3], v[124:125]
	s_wait_xcnt 0x0
	s_and_saveexec_b32 s3, vcc_lo
; %bb.4117:                             ;   in Loop: Header=BB216_2096 Depth=1
	v_clz_i32_u32_e32 v2, v124
	s_delay_alu instid0(VALU_DEP_1) | instskip(NEXT) | instid1(VALU_DEP_1)
	v_min_u32_e32 v123, 32, v2
	v_subrev_nc_u32_e32 v2, 28, v123
	s_delay_alu instid0(VALU_DEP_1) | instskip(NEXT) | instid1(VALU_DEP_1)
	v_lshlrev_b64_e32 v[2:3], v2, v[124:125]
	v_dual_sub_nc_u32 v123, 29, v123 :: v_dual_bitop2_b32 v2, 7, v2 bitop3:0x40
; %bb.4118:                             ;   in Loop: Header=BB216_2096 Depth=1
	s_or_b32 exec_lo, exec_lo, s3
	v_lshlrev_b32_e32 v3, 24, v122
	s_delay_alu instid0(VALU_DEP_2) | instskip(NEXT) | instid1(VALU_DEP_3)
	v_lshlrev_b32_e32 v2, 20, v2
	v_lshl_add_u32 v123, v123, 23, 0x3c000000
	s_delay_alu instid0(VALU_DEP_3) | instskip(NEXT) | instid1(VALU_DEP_1)
	v_and_b32_e32 v3, 0x80000000, v3
	v_or3_b32 v124, v2, v3, v123
	v_mov_b32_e32 v3, v125
	s_clause 0x1
	scratch_store_b64 off, v[2:3], s32 offset:192
	scratch_store_b64 off, v[124:125], s32 offset:1804
.LBB216_4119:                           ;   in Loop: Header=BB216_2096 Depth=1
	s_wait_xcnt 0x0
	s_or_b32 exec_lo, exec_lo, s2
.LBB216_4120:                           ;   in Loop: Header=BB216_2096 Depth=1
	s_delay_alu instid0(SALU_CYCLE_1)
	s_or_b32 exec_lo, exec_lo, s1
.LBB216_4121:                           ;   in Loop: Header=BB216_2096 Depth=1
	s_delay_alu instid0(SALU_CYCLE_1) | instskip(SKIP_2) | instid1(VALU_DEP_1)
	s_or_b32 exec_lo, exec_lo, s0
	v_lshrrev_b16 v2, 8, v122
	s_mov_b32 s0, exec_lo
	v_cmpx_ne_u16_e32 0, v2
	s_cbranch_execz .LBB216_4129
; %bb.4122:                             ;   in Loop: Header=BB216_2096 Depth=1
	v_mov_b64_e32 v[78:79], 0x8000000000000000
	s_mov_b32 s1, exec_lo
	scratch_store_b64 off, v[78:79], s32 offset:260 ; 8-byte Folded Spill
	s_wait_xcnt 0x0
	v_cmpx_ne_u16_e32 0x80, v2
	s_cbranch_execz .LBB216_4128
; %bb.4123:                             ;   in Loop: Header=BB216_2096 Depth=1
	v_and_b32_e32 v3, 0xffff, v2
	v_mov_b64_e32 v[78:79], 0x7f80000100000000
	s_mov_b32 s2, exec_lo
	s_delay_alu instid0(VALU_DEP_2)
	v_and_b32_e32 v2, 0x7f, v3
	scratch_store_b64 off, v[78:79], s32 offset:260 ; 8-byte Folded Spill
	s_wait_xcnt 0x0
	v_cmpx_ne_u32_e32 0x7f, v2
	s_cbranch_execz .LBB216_4127
; %bb.4124:                             ;   in Loop: Header=BB216_2096 Depth=1
	scratch_load_b64 v[78:79], off, s32 offset:192 th:TH_LOAD_LU ; 8-byte Folded Reload
	s_wait_loadcnt 0x0
	v_dual_lshrrev_b32 v123, 3, v2 :: v_dual_bitop2_b32 v78, 7, v3 bitop3:0x40
	v_cmp_gt_u32_e32 vcc_lo, 8, v2
	s_delay_alu instid0(VALU_DEP_2)
	v_mov_b64_e32 v[2:3], v[78:79]
	s_wait_xcnt 0x0
	s_and_saveexec_b32 s3, vcc_lo
; %bb.4125:                             ;   in Loop: Header=BB216_2096 Depth=1
	v_clz_i32_u32_e32 v2, v78
	s_delay_alu instid0(VALU_DEP_1) | instskip(NEXT) | instid1(VALU_DEP_1)
	v_min_u32_e32 v123, 32, v2
	v_subrev_nc_u32_e32 v2, 28, v123
	s_delay_alu instid0(VALU_DEP_1) | instskip(NEXT) | instid1(VALU_DEP_1)
	v_lshlrev_b64_e32 v[2:3], v2, v[78:79]
	v_dual_sub_nc_u32 v123, 29, v123 :: v_dual_bitop2_b32 v2, 7, v2 bitop3:0x40
; %bb.4126:                             ;   in Loop: Header=BB216_2096 Depth=1
	s_or_b32 exec_lo, exec_lo, s3
	v_dual_mov_b32 v124, v79 :: v_dual_lshlrev_b32 v3, 16, v122
	s_delay_alu instid0(VALU_DEP_2) | instskip(NEXT) | instid1(VALU_DEP_3)
	v_lshlrev_b32_e32 v2, 20, v2
	v_lshl_add_u32 v123, v123, 23, 0x3c000000
	s_delay_alu instid0(VALU_DEP_3) | instskip(NEXT) | instid1(VALU_DEP_1)
	v_and_b32_e32 v3, 0x80000000, v3
	v_or3_b32 v125, v2, v3, v123
	v_mov_b32_e32 v3, v79
	s_clause 0x1
	scratch_store_b64 off, v[124:125], s32 offset:260
	scratch_store_b64 off, v[2:3], s32 offset:192
.LBB216_4127:                           ;   in Loop: Header=BB216_2096 Depth=1
	s_wait_xcnt 0x0
	s_or_b32 exec_lo, exec_lo, s2
.LBB216_4128:                           ;   in Loop: Header=BB216_2096 Depth=1
	s_delay_alu instid0(SALU_CYCLE_1)
	s_or_b32 exec_lo, exec_lo, s1
.LBB216_4129:                           ;   in Loop: Header=BB216_2096 Depth=1
	s_delay_alu instid0(SALU_CYCLE_1) | instskip(SKIP_3) | instid1(VALU_DEP_1)
	s_or_b32 exec_lo, exec_lo, s0
	v_mov_b64_e32 v[78:79], 0
	v_lshrrev_b32_e32 v123, 16, v122
	s_mov_b32 s0, exec_lo
	v_and_b32_e32 v2, 0xff, v123
	scratch_store_b64 off, v[78:79], s32 offset:1812 ; 8-byte Folded Spill
	s_wait_xcnt 0x0
	v_mov_b64_e32 v[78:79], 0
	v_cmpx_ne_u16_e32 0, v2
	s_cbranch_execz .LBB216_4137
; %bb.4130:                             ;   in Loop: Header=BB216_2096 Depth=1
	v_mov_b64_e32 v[78:79], 0x80000000
	s_mov_b32 s1, exec_lo
	v_cmpx_ne_u16_e32 0x80, v2
	s_cbranch_execz .LBB216_4136
; %bb.4131:                             ;   in Loop: Header=BB216_2096 Depth=1
	v_mov_b64_e32 v[78:79], 0x7f800001
	v_bfe_u32 v2, v122, 16, 7
	s_mov_b32 s2, exec_lo
	s_delay_alu instid0(VALU_DEP_1)
	v_cmpx_ne_u32_e32 0x7f, v2
	s_cbranch_execz .LBB216_4135
; %bb.4132:                             ;   in Loop: Header=BB216_2096 Depth=1
	scratch_load_b64 v[78:79], off, s32 offset:192 th:TH_LOAD_LU ; 8-byte Folded Reload
	s_wait_loadcnt 0x0
	v_dual_lshrrev_b32 v124, 3, v2 :: v_dual_bitop2_b32 v78, 7, v123 bitop3:0x40
	v_cmp_gt_u32_e32 vcc_lo, 8, v2
	s_delay_alu instid0(VALU_DEP_2)
	v_mov_b64_e32 v[2:3], v[78:79]
	s_wait_xcnt 0x0
	s_and_saveexec_b32 s3, vcc_lo
; %bb.4133:                             ;   in Loop: Header=BB216_2096 Depth=1
	v_clz_i32_u32_e32 v2, v78
	s_delay_alu instid0(VALU_DEP_1) | instskip(NEXT) | instid1(VALU_DEP_1)
	v_min_u32_e32 v124, 32, v2
	v_subrev_nc_u32_e32 v2, 28, v124
	s_delay_alu instid0(VALU_DEP_1) | instskip(NEXT) | instid1(VALU_DEP_1)
	v_lshlrev_b64_e32 v[2:3], v2, v[78:79]
	v_dual_sub_nc_u32 v124, 29, v124 :: v_dual_bitop2_b32 v2, 7, v2 bitop3:0x40
; %bb.4134:                             ;   in Loop: Header=BB216_2096 Depth=1
	s_or_b32 exec_lo, exec_lo, s3
	s_delay_alu instid0(VALU_DEP_1) | instskip(NEXT) | instid1(VALU_DEP_2)
	v_dual_lshlrev_b32 v3, 24, v123 :: v_dual_lshlrev_b32 v2, 20, v2
	v_lshl_add_u32 v123, v124, 23, 0x3c000000
	s_delay_alu instid0(VALU_DEP_2) | instskip(NEXT) | instid1(VALU_DEP_1)
	v_and_b32_e32 v3, 0x80000000, v3
	v_or3_b32 v78, v2, v3, v123
	v_mov_b32_e32 v3, v79
	scratch_store_b64 off, v[2:3], s32 offset:192 ; 8-byte Folded Spill
.LBB216_4135:                           ;   in Loop: Header=BB216_2096 Depth=1
	s_wait_xcnt 0x0
	s_or_b32 exec_lo, exec_lo, s2
.LBB216_4136:                           ;   in Loop: Header=BB216_2096 Depth=1
	s_delay_alu instid0(SALU_CYCLE_1)
	s_or_b32 exec_lo, exec_lo, s1
.LBB216_4137:                           ;   in Loop: Header=BB216_2096 Depth=1
	s_delay_alu instid0(SALU_CYCLE_1) | instskip(NEXT) | instid1(SALU_CYCLE_1)
	s_or_b32 exec_lo, exec_lo, s0
	s_mov_b32 s0, exec_lo
	scratch_store_b64 off, v[78:79], s32 offset:2132 ; 8-byte Folded Spill
	s_wait_xcnt 0x0
	v_cmpx_lt_u32_e32 0xffffff, v122
	s_cbranch_execz .LBB216_2094
; %bb.4138:                             ;   in Loop: Header=BB216_2096 Depth=1
	v_mov_b64_e32 v[2:3], 0x8000000000000000
	v_lshrrev_b32_e32 v123, 24, v122
	s_mov_b32 s1, exec_lo
	scratch_store_b64 off, v[2:3], s32 offset:1812 ; 8-byte Folded Spill
	s_wait_xcnt 0x0
	v_cmpx_ne_u32_e32 0x80, v123
	s_cbranch_execz .LBB216_2093
; %bb.4139:                             ;   in Loop: Header=BB216_2096 Depth=1
	v_mov_b64_e32 v[78:79], 0x7f80000100000000
	v_bfe_u32 v2, v122, 24, 7
	s_mov_b32 s2, exec_lo
	scratch_store_b64 off, v[78:79], s32 offset:1812 ; 8-byte Folded Spill
	s_wait_xcnt 0x0
	v_cmpx_ne_u32_e32 0x7f, v2
	s_cbranch_execz .LBB216_2092
; %bb.4140:                             ;   in Loop: Header=BB216_2096 Depth=1
	scratch_load_b64 v[78:79], off, s32 offset:192 th:TH_LOAD_LU ; 8-byte Folded Reload
	s_wait_loadcnt 0x0
	v_dual_lshrrev_b32 v122, 3, v2 :: v_dual_bitop2_b32 v78, 7, v123 bitop3:0x40
	v_cmp_gt_u32_e32 vcc_lo, 8, v2
	s_delay_alu instid0(VALU_DEP_2)
	v_mov_b64_e32 v[2:3], v[78:79]
	s_wait_xcnt 0x0
	s_and_saveexec_b32 s3, vcc_lo
	s_cbranch_execz .LBB216_2091
; %bb.4141:                             ;   in Loop: Header=BB216_2096 Depth=1
	v_clz_i32_u32_e32 v2, v78
	s_delay_alu instid0(VALU_DEP_1) | instskip(NEXT) | instid1(VALU_DEP_1)
	v_min_u32_e32 v122, 32, v2
	v_subrev_nc_u32_e32 v2, 28, v122
	v_sub_nc_u32_e32 v122, 29, v122
	s_delay_alu instid0(VALU_DEP_2) | instskip(NEXT) | instid1(VALU_DEP_1)
	v_lshlrev_b64_e32 v[2:3], v2, v[78:79]
	v_and_b32_e32 v2, 7, v2
	s_branch .LBB216_2091
.LBB216_4142:
	s_or_b32 exec_lo, exec_lo, s9
	s_clause 0x4
	scratch_load_b32 v89, off, s32 offset:2436
	scratch_load_b32 v41, off, s32 offset:2452
	;; [unrolled: 1-line block ×3, first 2 shown]
	scratch_load_b64 v[4:5], off, s32 offset:2068
	scratch_load_b64 v[2:3], off, s32 offset:2076
.LBB216_4143:
	s_wait_xcnt 0x0
	s_or_b32 exec_lo, exec_lo, s8
	s_clause 0x9
	scratch_load_b32 v117, off, s32 offset:2420 th:TH_LOAD_LU
	scratch_load_b64 v[16:17], off, s32 offset:2052 th:TH_LOAD_LU
	scratch_load_b64 v[14:15], off, s32 offset:2044 th:TH_LOAD_LU
	;; [unrolled: 1-line block ×9, first 2 shown]
	s_wait_loadcnt 0xa
	v_mov_b64_e32 v[20:21], v[2:3]
	s_clause 0x6
	scratch_load_b64 v[86:87], off, s32 offset:1948 th:TH_LOAD_LU
	scratch_load_b64 v[82:83], off, s32 offset:1940 th:TH_LOAD_LU
	;; [unrolled: 1-line block ×7, first 2 shown]
	v_mov_b64_e32 v[18:19], v[4:5]
	s_clause 0x3
	scratch_load_b64 v[42:43], off, s32 offset:1852 th:TH_LOAD_LU
	scratch_load_b64 v[60:61], off, s32 offset:1844 th:TH_LOAD_LU
	;; [unrolled: 1-line block ×4, first 2 shown]
	s_mov_b32 s2, exec_lo
	v_cmp_eq_u32_e32 vcc_lo, 0, v90
	s_clause 0x4
	scratch_load_b64 v[68:69], off, s32 offset:1964 th:TH_LOAD_LU
	scratch_load_b64 v[66:67], off, s32 offset:1956 th:TH_LOAD_LU
	;; [unrolled: 1-line block ×5, first 2 shown]
	s_wait_loadcnt 0x19
	ds_bpermute_b32 v0, v117, v24
	ds_bpermute_b32 v1, v117, v25
	;; [unrolled: 1-line block ×4, first 2 shown]
	s_wait_loadcnt 0x18
	ds_bpermute_b32 v6, v117, v16
	ds_bpermute_b32 v7, v117, v17
	s_wait_loadcnt 0x17
	ds_bpermute_b32 v8, v117, v14
	ds_bpermute_b32 v9, v117, v15
	;; [unrolled: 3-line block ×5, first 2 shown]
	ds_bpermute_b32 v4, v117, v18
	ds_bpermute_b32 v5, v117, v19
	ds_bpermute_b32 v28, v117, v38
	ds_bpermute_b32 v29, v117, v39
	s_wait_loadcnt 0xe
	ds_bpermute_b32 v70, v117, v82
	ds_bpermute_b32 v71, v117, v83
	s_wait_loadcnt 0x8
	ds_bpermute_b32 v112, v117, v42
	s_wait_dscnt 0x13
	v_pk_add_f32 v[0:1], v[24:25], v[0:1]
	ds_bpermute_b32 v24, v117, v48
	s_wait_dscnt 0x12
	v_pk_add_f32 v[2:3], v[20:21], v[2:3]
	;; [unrolled: 3-line block ×4, first 2 shown]
	ds_bpermute_b32 v14, v41, v0
	ds_bpermute_b32 v15, v41, v1
	;; [unrolled: 1-line block ×6, first 2 shown]
	s_wait_dscnt 0x14
	v_pk_add_f32 v[10:11], v[26:27], v[10:11]
	s_wait_dscnt 0x12
	v_pk_add_f32 v[12:13], v[30:31], v[12:13]
	ds_bpermute_b32 v30, v117, v54
	ds_bpermute_b32 v31, v117, v55
	s_wait_dscnt 0x10
	v_pk_add_f32 v[4:5], v[18:19], v[4:5]
	ds_bpermute_b32 v26, v41, v10
	ds_bpermute_b32 v27, v41, v11
	;; [unrolled: 1-line block ×8, first 2 shown]
	s_wait_dscnt 0x16
	v_pk_add_f32 v[28:29], v[38:39], v[28:29]
	ds_bpermute_b32 v38, v117, v64
	s_wait_dscnt 0xf
	v_pk_add_f32 v[0:1], v[0:1], v[14:15]
	ds_bpermute_b32 v39, v117, v65
	;; [unrolled: 3-line block ×4, first 2 shown]
	ds_bpermute_b32 v7, v89, v1
	ds_bpermute_b32 v16, v89, v2
	;; [unrolled: 1-line block ×5, first 2 shown]
	s_wait_dscnt 0xf
	v_pk_add_f32 v[26:27], v[10:11], v[26:27]
	ds_bpermute_b32 v51, v41, v29
	s_wait_dscnt 0xe
	v_pk_add_f32 v[8:9], v[8:9], v[22:23]
	v_pk_add_f32 v[24:25], v[48:49], v[24:25]
	s_wait_dscnt 0xc
	v_pk_add_f32 v[4:5], v[4:5], v[18:19]
	ds_bpermute_b32 v36, v89, v26
	ds_bpermute_b32 v37, v89, v27
	;; [unrolled: 1-line block ×6, first 2 shown]
	s_wait_dscnt 0x10
	v_pk_add_f32 v[12:13], v[12:13], v[32:33]
	s_wait_dscnt 0xe
	v_pk_add_f32 v[32:33], v[64:65], v[38:39]
	ds_bpermute_b32 v48, v41, v24
	ds_bpermute_b32 v49, v41, v25
	s_wait_dscnt 0xd
	v_pk_add_f32 v[10:11], v[0:1], v[6:7]
	v_pk_add_f32 v[112:113], v[42:43], v[112:113]
	s_wait_dscnt 0xb
	v_pk_add_f32 v[6:7], v[2:3], v[16:17]
	v_pk_add_f32 v[16:17], v[54:55], v[30:31]
	;; [unrolled: 3-line block ×3, first 2 shown]
	s_clause 0x1
	scratch_load_b64 v[54:55], off, s32 offset:1980 th:TH_LOAD_LU
	scratch_load_b64 v[52:53], off, s32 offset:1972 th:TH_LOAD_LU
	s_wait_loadcnt 0x6
	ds_bpermute_b32 v34, v117, v68
	ds_bpermute_b32 v35, v117, v69
	s_wait_dscnt 0xa
	v_pk_add_f32 v[28:29], v[28:29], v[50:51]
	ds_bpermute_b32 v38, v41, v32
	ds_bpermute_b32 v39, v41, v33
	s_wait_dscnt 0x8
	v_pk_add_f32 v[0:1], v[8:9], v[22:23]
	ds_bpermute_b32 v22, v41, v14
	s_wait_dscnt 0x7
	v_pk_add_f32 v[4:5], v[4:5], v[18:19]
	ds_bpermute_b32 v18, v41, v16
	ds_bpermute_b32 v19, v41, v17
	;; [unrolled: 1-line block ×3, first 2 shown]
	v_pk_add_f32 v[8:9], v[26:27], v[36:37]
	s_wait_loadcnt 0x5
	ds_bpermute_b32 v36, v117, v66
	ds_bpermute_b32 v37, v117, v67
	s_wait_dscnt 0xa
	v_pk_add_f32 v[24:25], v[24:25], v[48:49]
	ds_bpermute_b32 v20, v89, v12
	ds_bpermute_b32 v21, v89, v13
	;; [unrolled: 1-line block ×5, first 2 shown]
	s_wait_dscnt 0xd
	v_pk_add_f32 v[34:35], v[68:69], v[34:35]
	ds_bpermute_b32 v68, v117, v86
	ds_bpermute_b32 v69, v117, v87
	s_wait_dscnt 0xd
	v_pk_add_f32 v[32:33], v[32:33], v[38:39]
	ds_bpermute_b32 v38, v41, v34
	ds_bpermute_b32 v39, v41, v35
	s_wait_dscnt 0xc
	v_pk_add_f32 v[50:51], v[16:17], v[18:19]
	s_wait_dscnt 0xb
	v_pk_add_f32 v[22:23], v[14:15], v[22:23]
	ds_bpermute_b32 v16, v89, v28
	ds_bpermute_b32 v17, v89, v29
	s_wait_dscnt 0xb
	v_pk_add_f32 v[36:37], v[66:67], v[36:37]
	ds_bpermute_b32 v14, v89, v50
	ds_bpermute_b32 v15, v89, v51
	;; [unrolled: 4-line block ×4, first 2 shown]
	s_wait_dscnt 0x8
	v_pk_add_f32 v[38:39], v[34:35], v[38:39]
	v_pk_add_f32 v[34:35], v[86:87], v[68:69]
	s_wait_dscnt 0x6
	v_pk_add_f32 v[16:17], v[28:29], v[16:17]
	ds_bpermute_b32 v28, v117, v80
	ds_bpermute_b32 v29, v117, v81
	s_wait_dscnt 0x6
	v_pk_add_f32 v[14:15], v[50:51], v[14:15]
	ds_bpermute_b32 v50, v117, v84
	ds_bpermute_b32 v51, v117, v85
	;; [unrolled: 4-line block ×4, first 2 shown]
	ds_bpermute_b32 v86, v41, v50
	ds_bpermute_b32 v87, v41, v51
	s_wait_dscnt 0x0
	v_pk_add_f32 v[50:51], v[50:51], v[86:87]
	s_wait_loadcnt 0x1
	ds_bpermute_b32 v26, v117, v54
	ds_bpermute_b32 v27, v117, v55
	s_wait_loadcnt 0x0
	ds_bpermute_b32 v30, v117, v52
	ds_bpermute_b32 v31, v117, v53
	s_wait_dscnt 0x2
	v_pk_add_f32 v[26:27], v[54:55], v[26:27]
	s_wait_dscnt 0x0
	v_pk_add_f32 v[30:31], v[52:53], v[30:31]
	ds_bpermute_b32 v52, v89, v22
	ds_bpermute_b32 v53, v89, v23
	;; [unrolled: 1-line block ×6, first 2 shown]
	s_wait_dscnt 0x4
	v_pk_add_f32 v[20:21], v[22:23], v[52:53]
	v_pk_add_f32 v[22:23], v[32:33], v[24:25]
	s_wait_dscnt 0x2
	v_pk_add_f32 v[26:27], v[26:27], v[54:55]
	v_pk_add_f32 v[54:55], v[82:83], v[70:71]
	s_wait_dscnt 0x0
	v_pk_add_f32 v[30:31], v[30:31], v[64:65]
	ds_bpermute_b32 v64, v117, v98
	ds_bpermute_b32 v65, v117, v99
	v_pk_add_f32 v[32:33], v[34:35], v[66:67]
	ds_bpermute_b32 v68, v41, v54
	ds_bpermute_b32 v69, v41, v55
	;; [unrolled: 3-line block ×3, first 2 shown]
	ds_bpermute_b32 v52, v89, v30
	ds_bpermute_b32 v53, v89, v31
	;; [unrolled: 1-line block ×8, first 2 shown]
	s_wait_dscnt 0xc
	v_pk_add_f32 v[64:65], v[98:99], v[64:65]
	scratch_load_b64 v[98:99], off, s32 offset:1892 th:TH_LOAD_LU ; 8-byte Folded Reload
	ds_bpermute_b32 v96, v117, v102
	s_wait_dscnt 0xb
	v_pk_add_f32 v[34:35], v[54:55], v[68:69]
	v_pk_add_f32 v[68:69], v[100:101], v[84:85]
	scratch_load_b64 v[100:101], off, s32 offset:1884 th:TH_LOAD_LU ; 8-byte Folded Reload
	s_wait_dscnt 0x9
	v_pk_add_f32 v[24:25], v[26:27], v[48:49]
	ds_bpermute_b32 v97, v117, v103
	s_wait_dscnt 0x8
	v_pk_add_f32 v[26:27], v[30:31], v[52:53]
	s_wait_storecnt 0x0
	s_wait_loadcnt_dscnt 0x0
	v_pk_add_f32 v[30:31], v[38:39], v[28:29]
	s_barrier_signal -1
	v_pk_add_f32 v[38:39], v[70:71], v[82:83]
	ds_bpermute_b32 v82, v41, v68
	v_pk_add_f32 v[28:29], v[36:37], v[80:81]
	ds_bpermute_b32 v83, v41, v69
	ds_bpermute_b32 v36, v89, v32
	;; [unrolled: 1-line block ×5, first 2 shown]
	s_barrier_wait -1
	s_wait_dscnt 0x0
	ds_bpermute_b32 v54, v41, v64
	ds_bpermute_b32 v55, v41, v65
	;; [unrolled: 1-line block ×4, first 2 shown]
	s_load_b32 s1, s[6:7], 0x0
	v_pk_add_f32 v[80:81], v[102:103], v[96:97]
	ds_bpermute_b32 v102, v117, v44
	ds_bpermute_b32 v103, v117, v45
	;; [unrolled: 1-line block ×4, first 2 shown]
	v_pk_add_f32 v[68:69], v[68:69], v[82:83]
	ds_bpermute_b32 v82, v117, v60
	ds_bpermute_b32 v83, v117, v61
	;; [unrolled: 1-line block ×4, first 2 shown]
	s_wait_dscnt 0xa
	v_pk_add_f32 v[54:55], v[64:65], v[54:55]
	ds_bpermute_b32 v64, v89, v50
	ds_bpermute_b32 v65, v89, v51
	s_wait_dscnt 0x8
	v_pk_add_f32 v[102:103], v[44:45], v[102:103]
	s_wait_dscnt 0x6
	v_pk_add_f32 v[114:115], v[80:81], v[84:85]
	ds_bpermute_b32 v84, v117, v56
	ds_bpermute_b32 v85, v117, v57
	;; [unrolled: 1-line block ×3, first 2 shown]
	s_wait_dscnt 0x7
	v_pk_add_f32 v[82:83], v[60:61], v[82:83]
	ds_bpermute_b32 v45, v41, v103
	ds_bpermute_b32 v40, v89, v114
	s_wait_dscnt 0x7
	v_pk_add_f32 v[68:69], v[68:69], v[118:119]
	s_wait_dscnt 0x3
	v_pk_add_f32 v[84:85], v[56:57], v[84:85]
	;; [unrolled: 2-line block ×3, first 2 shown]
	ds_bpermute_b32 v66, v117, v98
	ds_bpermute_b32 v67, v117, v99
	;; [unrolled: 1-line block ×4, first 2 shown]
	s_wait_dscnt 0x2
	v_pk_add_f32 v[86:87], v[98:99], v[66:67]
	ds_bpermute_b32 v98, v117, v62
	ds_bpermute_b32 v99, v117, v63
	;; [unrolled: 1-line block ×3, first 2 shown]
	s_wait_dscnt 0x3
	v_pk_add_f32 v[70:71], v[100:101], v[70:71]
	ds_bpermute_b32 v96, v41, v86
	ds_bpermute_b32 v97, v41, v87
	ds_bpermute_b32 v100, v117, v46
	ds_bpermute_b32 v101, v117, v47
	ds_bpermute_b32 v80, v41, v70
	ds_bpermute_b32 v81, v41, v71
	ds_bpermute_b32 v117, v117, v59
	ds_bpermute_b32 v67, v89, v55
	s_wait_dscnt 0x9
	v_pk_add_f32 v[98:99], v[62:63], v[98:99]
	s_wait_dscnt 0x6
	v_pk_add_f32 v[96:97], v[86:87], v[96:97]
	;; [unrolled: 2-line block ×3, first 2 shown]
	ds_bpermute_b32 v100, v41, v98
	ds_bpermute_b32 v101, v41, v99
	s_wait_dscnt 0x4
	v_pk_add_f32 v[56:57], v[70:71], v[80:81]
	ds_bpermute_b32 v80, v41, v82
	ds_bpermute_b32 v42, v41, v86
	;; [unrolled: 1-line block ×4, first 2 shown]
	s_wait_dscnt 0x7
	v_pk_add_f32 v[70:71], v[58:59], v[116:117]
	ds_bpermute_b32 v46, v41, v112
	ds_bpermute_b32 v47, v41, v113
	;; [unrolled: 1-line block ×9, first 2 shown]
	s_wait_dscnt 0xd
	v_pk_add_f32 v[98:99], v[98:99], v[100:101]
	ds_bpermute_b32 v100, v89, v56
	ds_bpermute_b32 v101, v89, v57
	s_wait_dscnt 0xc
	v_pk_add_f32 v[42:43], v[86:87], v[42:43]
	ds_bpermute_b32 v62, v89, v98
	ds_bpermute_b32 v63, v89, v99
	v_pk_add_f32 v[86:87], v[32:33], v[36:37]
	scratch_load_b32 v32, off, s32 offset:2316 th:TH_LOAD_LU ; 4-byte Folded Reload
	s_wait_dscnt 0xd
	v_pk_add_f32 v[72:73], v[82:83], v[80:81]
	v_pk_add_f32 v[82:83], v[38:39], v[52:53]
	scratch_load_b32 v38, off, s32 offset:2320 ; 4-byte Folded Reload
	s_wait_dscnt 0xb
	v_pk_add_f32 v[112:113], v[112:113], v[46:47]
	s_wait_dscnt 0x9
	v_pk_add_f32 v[116:117], v[84:85], v[116:117]
	;; [unrolled: 2-line block ×3, first 2 shown]
	ds_bpermute_b32 v44, v89, v42
	ds_bpermute_b32 v45, v89, v43
	;; [unrolled: 1-line block ×11, first 2 shown]
	s_wait_dscnt 0xb
	v_pk_add_f32 v[52:53], v[98:99], v[62:63]
	scratch_load_b32 v98, off, s32 offset:3188 th:TH_LOAD_LU ; 4-byte Folded Reload
	ds_bpermute_b32 v89, v89, v59
	v_pk_add_f32 v[80:81], v[50:51], v[64:65]
	v_pk_add_f32 v[64:65], v[96:97], v[60:61]
	;; [unrolled: 1-line block ×6, first 2 shown]
	s_wait_dscnt 0xa
	v_pk_add_f32 v[50:51], v[42:43], v[44:45]
	s_wait_dscnt 0x8
	v_pk_add_f32 v[48:49], v[102:103], v[46:47]
	;; [unrolled: 2-line block ×4, first 2 shown]
	s_wait_loadcnt 0x2
	v_lshrrev_b32_e32 v96, 3, v32
	s_wait_dscnt 0x2
	v_pk_add_f32 v[32:33], v[116:117], v[78:79]
	s_wait_loadcnt 0x1
	v_and_b32_e32 v99, 0x3c0, v38
	s_wait_dscnt 0x0
	v_pk_add_f32 v[38:39], v[58:59], v[88:89]
	s_wait_loadcnt 0x0
	v_lshlrev_b32_e32 v98, 10, v98
	s_wait_kmcnt 0x0
	v_lshl_add_u32 v97, v96, 2, s1
	v_cmpx_eq_u32_e32 64, v99
	s_cbranch_execz .LBB216_4146
; %bb.4144:
	s_and_b32 exec_lo, exec_lo, vcc_lo
	s_cbranch_execz .LBB216_4146
; %bb.4145:
	v_add_nc_u32_e32 v99, v97, v98
	s_delay_alu instid0(VALU_DEP_1)
	v_add_nc_u32_e32 v100, 0xfffff800, v99
	v_add_nc_u32_e32 v101, 0xfffff810, v99
	v_add_nc_u32_e32 v102, 0xfffff820, v99
	v_add_nc_u32_e32 v103, 0xfffff830, v99
	v_add_nc_u32_e32 v112, 0xfffff840, v99
	v_add_nc_u32_e32 v113, 0xfffff850, v99
	v_add_nc_u32_e32 v114, 0xfffff860, v99
	v_add_nc_u32_e32 v115, 0xfffff870, v99
	ds_store_b32 v100, v10
	ds_store_b32 v101, v11
	ds_store_b32 v102, v6
	ds_store_b32 v103, v7
	ds_store_b32 v112, v4
	ds_store_b32 v113, v5
	ds_store_b32 v114, v2
	ds_store_b32 v115, v3
	v_add_nc_u32_e32 v100, 0xfffff880, v99
	v_add_nc_u32_e32 v101, 0xfffff890, v99
	v_add_nc_u32_e32 v102, 0xfffff8a0, v99
	v_add_nc_u32_e32 v103, 0xfffff8b0, v99
	v_add_nc_u32_e32 v112, 0xfffff8c0, v99
	v_add_nc_u32_e32 v113, 0xfffff8d0, v99
	v_add_nc_u32_e32 v114, 0xfffff8e0, v99
	v_add_nc_u32_e32 v115, 0xfffff8f0, v99
	ds_store_b32 v100, v0
	ds_store_b32 v101, v1
	ds_store_b32 v102, v8
	ds_store_b32 v103, v9
	ds_store_b32 v112, v12
	ds_store_b32 v113, v13
	ds_store_b32 v114, v18
	ds_store_b32 v115, v19
	;; [unrolled: 16-line block ×8, first 2 shown]
.LBB216_4146:
	s_or_b32 exec_lo, exec_lo, s2
	scratch_load_b32 v99, off, s32 offset:2320 ; 4-byte Folded Reload
	v_lshlrev_b32_e32 v96, 2, v96
	s_wait_loadcnt_dscnt 0x0
	s_barrier_signal -1
	s_barrier_wait -1
	s_delay_alu instid0(VALU_DEP_1) | instskip(SKIP_2) | instid1(VALU_DEP_1)
	v_add3_u32 v96, s1, v98, v96
	s_mov_b32 s1, exec_lo
	v_and_b32_e32 v99, 0x3c7, v99
	v_cmpx_eq_u32_e32 0, v99
	s_cbranch_execz .LBB216_4148
; %bb.4147:
	ds_load_2addr_b32 v[98:99], v96 offset1:4
	ds_load_2addr_b32 v[100:101], v96 offset0:8 offset1:12
	ds_load_2addr_b32 v[102:103], v96 offset0:16 offset1:20
	;; [unrolled: 1-line block ×11, first 2 shown]
	s_wait_dscnt 0xb
	v_pk_add_f32 v[10:11], v[98:99], v[10:11]
	s_wait_dscnt 0xa
	v_pk_add_f32 v[6:7], v[100:101], v[6:7]
	;; [unrolled: 2-line block ×12, first 2 shown]
	ds_load_2addr_b32 v[98:99], v96 offset0:96 offset1:100
	ds_load_2addr_b32 v[100:101], v96 offset0:104 offset1:108
	ds_load_2addr_b32 v[102:103], v96 offset0:112 offset1:116
	ds_load_2addr_b32 v[112:113], v96 offset0:120 offset1:124
	ds_load_2addr_b32 v[114:115], v96 offset0:128 offset1:132
	ds_load_2addr_b32 v[116:117], v96 offset0:136 offset1:140
	ds_load_2addr_b32 v[118:119], v96 offset0:144 offset1:148
	ds_load_2addr_b32 v[40:41], v96 offset0:152 offset1:156
	ds_load_2addr_b32 v[42:43], v96 offset0:160 offset1:164
	ds_load_2addr_b32 v[44:45], v96 offset0:168 offset1:172
	ds_load_2addr_b32 v[46:47], v96 offset0:176 offset1:180
	ds_load_2addr_b32 v[56:57], v96 offset0:184 offset1:188
	ds_load_2addr_b32 v[58:59], v96 offset0:192 offset1:196
	ds_load_2addr_b32 v[60:61], v96 offset0:200 offset1:204
	ds_load_2addr_b32 v[62:63], v96 offset0:208 offset1:212
	ds_load_2addr_b32 v[72:73], v96 offset0:216 offset1:220
	ds_load_2addr_b32 v[74:75], v96 offset0:224 offset1:228
	ds_load_2addr_b32 v[76:77], v96 offset0:232 offset1:236
	ds_load_2addr_b32 v[78:79], v96 offset0:240 offset1:244
	ds_load_2addr_b32 v[88:89], v96 offset0:248 offset1:252
	s_wait_dscnt 0x13
	v_pk_add_f32 v[24:25], v[98:99], v[24:25]
	s_wait_dscnt 0x12
	v_pk_add_f32 v[26:27], v[100:101], v[26:27]
	;; [unrolled: 2-line block ×20, first 2 shown]
.LBB216_4148:
	s_or_b32 exec_lo, exec_lo, s1
	scratch_load_b32 v98, off, s32 offset:2320 ; 4-byte Folded Reload
	s_mov_b32 s1, exec_lo
	s_wait_loadcnt 0x0
	s_barrier_signal -1
	s_barrier_wait -1
	v_and_b32_e32 v98, 0x3e7, v98
	s_wait_xcnt 0x0
	s_delay_alu instid0(VALU_DEP_1)
	v_cmpx_eq_u32_e32 32, v98
	s_cbranch_execz .LBB216_4150
; %bb.4149:
	ds_store_2addr_b32 v97, v10, v11 offset1:4
	ds_store_2addr_b32 v97, v6, v7 offset0:8 offset1:12
	ds_store_2addr_b32 v97, v4, v5 offset0:16 offset1:20
	;; [unrolled: 1-line block ×31, first 2 shown]
.LBB216_4150:
	s_or_b32 exec_lo, exec_lo, s1
	s_delay_alu instid0(SALU_CYCLE_1)
	s_mov_b32 s1, exec_lo
	s_wait_dscnt 0x0
	s_barrier_signal -1
	s_barrier_wait -1
	v_cmpx_eq_u32_e32 0, v98
	s_cbranch_execz .LBB216_4152
; %bb.4151:
	ds_load_2addr_b32 v[98:99], v96 offset1:4
	ds_load_2addr_b32 v[100:101], v96 offset0:8 offset1:12
	ds_load_2addr_b32 v[102:103], v96 offset0:16 offset1:20
	;; [unrolled: 1-line block ×11, first 2 shown]
	s_wait_dscnt 0xb
	v_pk_add_f32 v[10:11], v[98:99], v[10:11]
	s_wait_dscnt 0xa
	v_pk_add_f32 v[6:7], v[100:101], v[6:7]
	;; [unrolled: 2-line block ×12, first 2 shown]
	ds_load_2addr_b32 v[98:99], v96 offset0:96 offset1:100
	ds_load_2addr_b32 v[100:101], v96 offset0:104 offset1:108
	;; [unrolled: 1-line block ×20, first 2 shown]
	s_wait_dscnt 0x13
	v_pk_add_f32 v[24:25], v[98:99], v[24:25]
	s_wait_dscnt 0x12
	v_pk_add_f32 v[26:27], v[100:101], v[26:27]
	;; [unrolled: 2-line block ×20, first 2 shown]
.LBB216_4152:
	s_or_b32 exec_lo, exec_lo, s1
	scratch_load_b32 v96, off, s32 offset:2320 ; 4-byte Folded Reload
	s_mov_b32 s1, exec_lo
	s_wait_loadcnt 0x0
	s_barrier_signal -1
	s_barrier_wait -1
	s_wait_xcnt 0x0
	v_cmpx_gt_u32_e32 32, v96
	s_cbranch_execz .LBB216_4155
; %bb.4153:
	s_and_b32 exec_lo, exec_lo, vcc_lo
	s_cbranch_execz .LBB216_4155
; %bb.4154:
	s_clause 0x1
	scratch_load_b64 v[96:97], off, s32 offset:3212 th:TH_LOAD_LU
	scratch_load_b32 v98, off, s32 offset:2320 th:TH_LOAD_LU
	s_and_b32 s0, 0xffff, s13
	s_mov_b32 s3, 0
	s_cmp_lg_u32 s0, 0
	v_mov_b32_e32 v99, 0
	s_cselect_b32 s0, -1, 0
	s_delay_alu instid0(SALU_CYCLE_1)
	s_cmp_lg_u32 s0, 0
	s_add_co_ci_u32 s0, s5, 0
	s_bfe_u32 s8, ttmp6, 0x40014
	s_mul_i32 s5, s11, s0
	s_lshr_b32 s2, ttmp7, 16
	s_mul_i32 s5, s5, s12
	s_add_co_i32 s8, s8, 1
	s_lshl_b32 s6, s5, 8
	s_bfe_u32 s9, ttmp6, 0x40008
	s_ashr_i32 s7, s6, 31
	s_mul_i32 s4, s4, s0
	s_mul_i32 s0, s2, s8
	s_ashr_i32 s5, s4, 31
	s_add_co_i32 s9, s9, s0
	s_cmp_eq_u32 s10, 0
	s_cselect_b32 s0, s2, s9
	s_delay_alu instid0(SALU_CYCLE_1) | instskip(SKIP_4) | instid1(VALU_DEP_2)
	s_lshl_b32 s2, s0, 10
	s_wait_loadcnt 0x1
	v_lshl_add_u64 v[96:97], s[6:7], 2, v[96:97]
	s_wait_loadcnt 0x0
	v_lshrrev_b32_e32 v98, 1, v98
	v_lshl_add_u64 v[96:97], s[4:5], 2, v[96:97]
	s_delay_alu instid0(VALU_DEP_2) | instskip(NEXT) | instid1(VALU_DEP_2)
	v_and_b32_e32 v98, 0x1fc, v98
	v_add_nc_u64_e32 v[96:97], s[2:3], v[96:97]
	s_delay_alu instid0(VALU_DEP_1)
	v_add_nc_u64_e32 v[96:97], v[96:97], v[98:99]
	s_clause 0x3e
	flat_store_b32 v[96:97], v10
	flat_store_b32 v[96:97], v11 offset:16
	flat_store_b32 v[96:97], v6 offset:32
	;; [unrolled: 1-line block ×63, first 2 shown]
.LBB216_4155:
	s_wait_xcnt 0x0
	s_or_b32 exec_lo, exec_lo, s1
	s_clause 0x2f
	scratch_load_b32 v127, off, s32
	scratch_load_b32 v126, off, s32 offset:4
	scratch_load_b32 v125, off, s32 offset:8
	;; [unrolled: 1-line block ×47, first 2 shown]
	s_wait_loadcnt_dscnt 0x0
	s_set_pc_i64 s[30:31]
.Lfunc_end216:
	.size	_ZN4vllm22paged_attention_kernelIfhLi256ELi32ELi128ELNS_18Fp8KVCacheDataTypeE1ELb1ELi0EEEvPfS2_PT_PKS3_PKT0_S9_ifPKiSB_iPKfiiiSD_SD_iiiii, .Lfunc_end216-_ZN4vllm22paged_attention_kernelIfhLi256ELi32ELi128ELNS_18Fp8KVCacheDataTypeE1ELb1ELi0EEEvPfS2_PT_PKS3_PKT0_S9_ifPKiSB_iPKfiiiSD_SD_iiiii
                                        ; -- End function
	.set .L_ZN4vllm22paged_attention_kernelIfhLi256ELi32ELi128ELNS_18Fp8KVCacheDataTypeE1ELb1ELi0EEEvPfS2_PT_PKS3_PKT0_S9_ifPKiSB_iPKfiiiSD_SD_iiiii.num_vgpr, 128
	.set .L_ZN4vllm22paged_attention_kernelIfhLi256ELi32ELi128ELNS_18Fp8KVCacheDataTypeE1ELb1ELi0EEEvPfS2_PT_PKS3_PKT0_S9_ifPKiSB_iPKfiiiSD_SD_iiiii.num_agpr, 0
	.set .L_ZN4vllm22paged_attention_kernelIfhLi256ELi32ELi128ELNS_18Fp8KVCacheDataTypeE1ELb1ELi0EEEvPfS2_PT_PKS3_PKT0_S9_ifPKiSB_iPKfiiiSD_SD_iiiii.numbered_sgpr, 33
	.set .L_ZN4vllm22paged_attention_kernelIfhLi256ELi32ELi128ELNS_18Fp8KVCacheDataTypeE1ELb1ELi0EEEvPfS2_PT_PKS3_PKT0_S9_ifPKiSB_iPKfiiiSD_SD_iiiii.num_named_barrier, 0
	.set .L_ZN4vllm22paged_attention_kernelIfhLi256ELi32ELi128ELNS_18Fp8KVCacheDataTypeE1ELb1ELi0EEEvPfS2_PT_PKS3_PKT0_S9_ifPKiSB_iPKfiiiSD_SD_iiiii.private_seg_size, 3252
	.set .L_ZN4vllm22paged_attention_kernelIfhLi256ELi32ELi128ELNS_18Fp8KVCacheDataTypeE1ELb1ELi0EEEvPfS2_PT_PKS3_PKT0_S9_ifPKiSB_iPKfiiiSD_SD_iiiii.uses_vcc, 1
	.set .L_ZN4vllm22paged_attention_kernelIfhLi256ELi32ELi128ELNS_18Fp8KVCacheDataTypeE1ELb1ELi0EEEvPfS2_PT_PKS3_PKT0_S9_ifPKiSB_iPKfiiiSD_SD_iiiii.uses_flat_scratch, 1
	.set .L_ZN4vllm22paged_attention_kernelIfhLi256ELi32ELi128ELNS_18Fp8KVCacheDataTypeE1ELb1ELi0EEEvPfS2_PT_PKS3_PKT0_S9_ifPKiSB_iPKfiiiSD_SD_iiiii.has_dyn_sized_stack, 0
	.set .L_ZN4vllm22paged_attention_kernelIfhLi256ELi32ELi128ELNS_18Fp8KVCacheDataTypeE1ELb1ELi0EEEvPfS2_PT_PKS3_PKT0_S9_ifPKiSB_iPKfiiiSD_SD_iiiii.has_recursion, 0
	.set .L_ZN4vllm22paged_attention_kernelIfhLi256ELi32ELi128ELNS_18Fp8KVCacheDataTypeE1ELb1ELi0EEEvPfS2_PT_PKS3_PKT0_S9_ifPKiSB_iPKfiiiSD_SD_iiiii.has_indirect_call, 0
	.section	.AMDGPU.csdata,"",@progbits
; Function info:
; codeLenInByte = 205852
; TotalNumSgprs: 35
; NumVgprs: 128
; ScratchSize: 3252
; MemoryBound: 0
	.section	.text._ZN4vllm25paged_attention_v1_kernelIfhLi256ELi32ELi128ELNS_18Fp8KVCacheDataTypeE1ELb1EEEvPT_PKS2_PKT0_S8_ifPKiSA_iPKfiiiSC_SC_iiiii,"axG",@progbits,_ZN4vllm25paged_attention_v1_kernelIfhLi256ELi32ELi128ELNS_18Fp8KVCacheDataTypeE1ELb1EEEvPT_PKS2_PKT0_S8_ifPKiSA_iPKfiiiSC_SC_iiiii,comdat
	.protected	_ZN4vllm25paged_attention_v1_kernelIfhLi256ELi32ELi128ELNS_18Fp8KVCacheDataTypeE1ELb1EEEvPT_PKS2_PKT0_S8_ifPKiSA_iPKfiiiSC_SC_iiiii ; -- Begin function _ZN4vllm25paged_attention_v1_kernelIfhLi256ELi32ELi128ELNS_18Fp8KVCacheDataTypeE1ELb1EEEvPT_PKS2_PKT0_S8_ifPKiSA_iPKfiiiSC_SC_iiiii
	.globl	_ZN4vllm25paged_attention_v1_kernelIfhLi256ELi32ELi128ELNS_18Fp8KVCacheDataTypeE1ELb1EEEvPT_PKS2_PKT0_S8_ifPKiSA_iPKfiiiSC_SC_iiiii
	.p2align	8
	.type	_ZN4vllm25paged_attention_v1_kernelIfhLi256ELi32ELi128ELNS_18Fp8KVCacheDataTypeE1ELb1EEEvPT_PKS2_PKT0_S8_ifPKiSA_iPKfiiiSC_SC_iiiii,@function
_ZN4vllm25paged_attention_v1_kernelIfhLi256ELi32ELi128ELNS_18Fp8KVCacheDataTypeE1ELb1EEEvPT_PKS2_PKT0_S8_ifPKiSA_iPKfiiiSC_SC_iiiii: ; @_ZN4vllm25paged_attention_v1_kernelIfhLi256ELi32ELi128ELNS_18Fp8KVCacheDataTypeE1ELb1EEEvPT_PKS2_PKT0_S8_ifPKiSA_iPKfiiiSC_SC_iiiii
; %bb.0:
	s_clause 0x6
	s_load_b256 s[12:19], s[0:1], 0x0
	s_load_b128 s[4:7], s[0:1], 0x20
	s_load_b96 s[28:30], s[0:1], 0x30
	s_load_b64 s[10:11], s[0:1], 0x40
	s_load_b96 s[36:38], s[0:1], 0x48
	s_load_b256 s[20:27], s[0:1], 0x58
	s_load_b32 s31, s[0:1], 0x78
	v_mov_b32_e32 v31, v0
	s_get_pc_i64 s[2:3]
	s_add_nc_u64 s[2:3], s[2:3], _ZN4vllm22paged_attention_kernelIfhLi256ELi32ELi128ELNS_18Fp8KVCacheDataTypeE1ELb1ELi0EEEvPfS2_PT_PKS3_PKT0_S9_ifPKiSB_iPKfiiiSD_SD_iiiii@rel64+4
	s_add_nc_u64 s[8:9], s[0:1], 0x80
	s_mov_b32 s32, 0
	s_wait_kmcnt 0x0
	v_dual_mov_b32 v15, s10 :: v_dual_mov_b32 v16, s11
	v_dual_mov_b32 v0, s12 :: v_dual_mov_b32 v1, s13
	;; [unrolled: 1-line block ×14, first 2 shown]
	v_mov_b32_e32 v28, s31
	s_mov_b32 s15, 29
	s_swap_pc_i64 s[30:31], s[2:3]
	s_endpgm
	.section	.rodata,"a",@progbits
	.p2align	6, 0x0
	.amdhsa_kernel _ZN4vllm25paged_attention_v1_kernelIfhLi256ELi32ELi128ELNS_18Fp8KVCacheDataTypeE1ELb1EEEvPT_PKS2_PKT0_S8_ifPKiSA_iPKfiiiSC_SC_iiiii
		.amdhsa_group_segment_fixed_size 1056
		.amdhsa_private_segment_fixed_size 3252
		.amdhsa_kernarg_size 384
		.amdhsa_user_sgpr_count 2
		.amdhsa_user_sgpr_dispatch_ptr 0
		.amdhsa_user_sgpr_queue_ptr 0
		.amdhsa_user_sgpr_kernarg_segment_ptr 1
		.amdhsa_user_sgpr_dispatch_id 0
		.amdhsa_user_sgpr_kernarg_preload_length 0
		.amdhsa_user_sgpr_kernarg_preload_offset 0
		.amdhsa_user_sgpr_private_segment_size 0
		.amdhsa_wavefront_size32 1
		.amdhsa_uses_dynamic_stack 0
		.amdhsa_enable_private_segment 1
		.amdhsa_system_sgpr_workgroup_id_x 1
		.amdhsa_system_sgpr_workgroup_id_y 1
		.amdhsa_system_sgpr_workgroup_id_z 1
		.amdhsa_system_sgpr_workgroup_info 0
		.amdhsa_system_vgpr_workitem_id 0
		.amdhsa_next_free_vgpr 128
		.amdhsa_next_free_sgpr 39
		.amdhsa_named_barrier_count 0
		.amdhsa_reserve_vcc 1
		.amdhsa_float_round_mode_32 0
		.amdhsa_float_round_mode_16_64 0
		.amdhsa_float_denorm_mode_32 3
		.amdhsa_float_denorm_mode_16_64 3
		.amdhsa_fp16_overflow 0
		.amdhsa_memory_ordered 1
		.amdhsa_forward_progress 1
		.amdhsa_inst_pref_size 2
		.amdhsa_round_robin_scheduling 0
		.amdhsa_exception_fp_ieee_invalid_op 0
		.amdhsa_exception_fp_denorm_src 0
		.amdhsa_exception_fp_ieee_div_zero 0
		.amdhsa_exception_fp_ieee_overflow 0
		.amdhsa_exception_fp_ieee_underflow 0
		.amdhsa_exception_fp_ieee_inexact 0
		.amdhsa_exception_int_div_zero 0
	.end_amdhsa_kernel
	.section	.text._ZN4vllm25paged_attention_v1_kernelIfhLi256ELi32ELi128ELNS_18Fp8KVCacheDataTypeE1ELb1EEEvPT_PKS2_PKT0_S8_ifPKiSA_iPKfiiiSC_SC_iiiii,"axG",@progbits,_ZN4vllm25paged_attention_v1_kernelIfhLi256ELi32ELi128ELNS_18Fp8KVCacheDataTypeE1ELb1EEEvPT_PKS2_PKT0_S8_ifPKiSA_iPKfiiiSC_SC_iiiii,comdat
.Lfunc_end217:
	.size	_ZN4vllm25paged_attention_v1_kernelIfhLi256ELi32ELi128ELNS_18Fp8KVCacheDataTypeE1ELb1EEEvPT_PKS2_PKT0_S8_ifPKiSA_iPKfiiiSC_SC_iiiii, .Lfunc_end217-_ZN4vllm25paged_attention_v1_kernelIfhLi256ELi32ELi128ELNS_18Fp8KVCacheDataTypeE1ELb1EEEvPT_PKS2_PKT0_S8_ifPKiSA_iPKfiiiSC_SC_iiiii
                                        ; -- End function
	.set _ZN4vllm25paged_attention_v1_kernelIfhLi256ELi32ELi128ELNS_18Fp8KVCacheDataTypeE1ELb1EEEvPT_PKS2_PKT0_S8_ifPKiSA_iPKfiiiSC_SC_iiiii.num_vgpr, max(32, .L_ZN4vllm22paged_attention_kernelIfhLi256ELi32ELi128ELNS_18Fp8KVCacheDataTypeE1ELb1ELi0EEEvPfS2_PT_PKS3_PKT0_S9_ifPKiSB_iPKfiiiSD_SD_iiiii.num_vgpr)
	.set _ZN4vllm25paged_attention_v1_kernelIfhLi256ELi32ELi128ELNS_18Fp8KVCacheDataTypeE1ELb1EEEvPT_PKS2_PKT0_S8_ifPKiSA_iPKfiiiSC_SC_iiiii.num_agpr, max(0, .L_ZN4vllm22paged_attention_kernelIfhLi256ELi32ELi128ELNS_18Fp8KVCacheDataTypeE1ELb1ELi0EEEvPfS2_PT_PKS3_PKT0_S9_ifPKiSB_iPKfiiiSD_SD_iiiii.num_agpr)
	.set _ZN4vllm25paged_attention_v1_kernelIfhLi256ELi32ELi128ELNS_18Fp8KVCacheDataTypeE1ELb1EEEvPT_PKS2_PKT0_S8_ifPKiSA_iPKfiiiSC_SC_iiiii.numbered_sgpr, max(39, .L_ZN4vllm22paged_attention_kernelIfhLi256ELi32ELi128ELNS_18Fp8KVCacheDataTypeE1ELb1ELi0EEEvPfS2_PT_PKS3_PKT0_S9_ifPKiSB_iPKfiiiSD_SD_iiiii.numbered_sgpr)
	.set _ZN4vllm25paged_attention_v1_kernelIfhLi256ELi32ELi128ELNS_18Fp8KVCacheDataTypeE1ELb1EEEvPT_PKS2_PKT0_S8_ifPKiSA_iPKfiiiSC_SC_iiiii.num_named_barrier, max(0, .L_ZN4vllm22paged_attention_kernelIfhLi256ELi32ELi128ELNS_18Fp8KVCacheDataTypeE1ELb1ELi0EEEvPfS2_PT_PKS3_PKT0_S9_ifPKiSB_iPKfiiiSD_SD_iiiii.num_named_barrier)
	.set _ZN4vllm25paged_attention_v1_kernelIfhLi256ELi32ELi128ELNS_18Fp8KVCacheDataTypeE1ELb1EEEvPT_PKS2_PKT0_S8_ifPKiSA_iPKfiiiSC_SC_iiiii.private_seg_size, 0+max(.L_ZN4vllm22paged_attention_kernelIfhLi256ELi32ELi128ELNS_18Fp8KVCacheDataTypeE1ELb1ELi0EEEvPfS2_PT_PKS3_PKT0_S9_ifPKiSB_iPKfiiiSD_SD_iiiii.private_seg_size)
	.set _ZN4vllm25paged_attention_v1_kernelIfhLi256ELi32ELi128ELNS_18Fp8KVCacheDataTypeE1ELb1EEEvPT_PKS2_PKT0_S8_ifPKiSA_iPKfiiiSC_SC_iiiii.uses_vcc, or(1, .L_ZN4vllm22paged_attention_kernelIfhLi256ELi32ELi128ELNS_18Fp8KVCacheDataTypeE1ELb1ELi0EEEvPfS2_PT_PKS3_PKT0_S9_ifPKiSB_iPKfiiiSD_SD_iiiii.uses_vcc)
	.set _ZN4vllm25paged_attention_v1_kernelIfhLi256ELi32ELi128ELNS_18Fp8KVCacheDataTypeE1ELb1EEEvPT_PKS2_PKT0_S8_ifPKiSA_iPKfiiiSC_SC_iiiii.uses_flat_scratch, or(0, .L_ZN4vllm22paged_attention_kernelIfhLi256ELi32ELi128ELNS_18Fp8KVCacheDataTypeE1ELb1ELi0EEEvPfS2_PT_PKS3_PKT0_S9_ifPKiSB_iPKfiiiSD_SD_iiiii.uses_flat_scratch)
	.set _ZN4vllm25paged_attention_v1_kernelIfhLi256ELi32ELi128ELNS_18Fp8KVCacheDataTypeE1ELb1EEEvPT_PKS2_PKT0_S8_ifPKiSA_iPKfiiiSC_SC_iiiii.has_dyn_sized_stack, or(0, .L_ZN4vllm22paged_attention_kernelIfhLi256ELi32ELi128ELNS_18Fp8KVCacheDataTypeE1ELb1ELi0EEEvPfS2_PT_PKS3_PKT0_S9_ifPKiSB_iPKfiiiSD_SD_iiiii.has_dyn_sized_stack)
	.set _ZN4vllm25paged_attention_v1_kernelIfhLi256ELi32ELi128ELNS_18Fp8KVCacheDataTypeE1ELb1EEEvPT_PKS2_PKT0_S8_ifPKiSA_iPKfiiiSC_SC_iiiii.has_recursion, or(0, .L_ZN4vllm22paged_attention_kernelIfhLi256ELi32ELi128ELNS_18Fp8KVCacheDataTypeE1ELb1ELi0EEEvPfS2_PT_PKS3_PKT0_S9_ifPKiSB_iPKfiiiSD_SD_iiiii.has_recursion)
	.set _ZN4vllm25paged_attention_v1_kernelIfhLi256ELi32ELi128ELNS_18Fp8KVCacheDataTypeE1ELb1EEEvPT_PKS2_PKT0_S8_ifPKiSA_iPKfiiiSC_SC_iiiii.has_indirect_call, or(0, .L_ZN4vllm22paged_attention_kernelIfhLi256ELi32ELi128ELNS_18Fp8KVCacheDataTypeE1ELb1ELi0EEEvPfS2_PT_PKS3_PKT0_S9_ifPKiSB_iPKfiiiSD_SD_iiiii.has_indirect_call)
	.section	.AMDGPU.csdata,"",@progbits
; Kernel info:
; codeLenInByte = 224
; TotalNumSgprs: 41
; NumVgprs: 128
; ScratchSize: 3252
; MemoryBound: 0
; FloatMode: 240
; IeeeMode: 1
; LDSByteSize: 1056 bytes/workgroup (compile time only)
; SGPRBlocks: 0
; VGPRBlocks: 7
; NumSGPRsForWavesPerEU: 41
; NumVGPRsForWavesPerEU: 128
; NamedBarCnt: 0
; Occupancy: 8
; WaveLimiterHint : 1
; COMPUTE_PGM_RSRC2:SCRATCH_EN: 1
; COMPUTE_PGM_RSRC2:USER_SGPR: 2
; COMPUTE_PGM_RSRC2:TRAP_HANDLER: 0
; COMPUTE_PGM_RSRC2:TGID_X_EN: 1
; COMPUTE_PGM_RSRC2:TGID_Y_EN: 1
; COMPUTE_PGM_RSRC2:TGID_Z_EN: 1
; COMPUTE_PGM_RSRC2:TIDIG_COMP_CNT: 0
	.section	.text._ZN4vllm25paged_attention_v1_kernelIfhLi32ELi32ELi128ELNS_18Fp8KVCacheDataTypeE1ELb0EEEvPT_PKS2_PKT0_S8_ifPKiSA_iPKfiiiSC_SC_iiiii,"axG",@progbits,_ZN4vllm25paged_attention_v1_kernelIfhLi32ELi32ELi128ELNS_18Fp8KVCacheDataTypeE1ELb0EEEvPT_PKS2_PKT0_S8_ifPKiSA_iPKfiiiSC_SC_iiiii,comdat
	.protected	_ZN4vllm25paged_attention_v1_kernelIfhLi32ELi32ELi128ELNS_18Fp8KVCacheDataTypeE1ELb0EEEvPT_PKS2_PKT0_S8_ifPKiSA_iPKfiiiSC_SC_iiiii ; -- Begin function _ZN4vllm25paged_attention_v1_kernelIfhLi32ELi32ELi128ELNS_18Fp8KVCacheDataTypeE1ELb0EEEvPT_PKS2_PKT0_S8_ifPKiSA_iPKfiiiSC_SC_iiiii
	.globl	_ZN4vllm25paged_attention_v1_kernelIfhLi32ELi32ELi128ELNS_18Fp8KVCacheDataTypeE1ELb0EEEvPT_PKS2_PKT0_S8_ifPKiSA_iPKfiiiSC_SC_iiiii
	.p2align	8
	.type	_ZN4vllm25paged_attention_v1_kernelIfhLi32ELi32ELi128ELNS_18Fp8KVCacheDataTypeE1ELb0EEEvPT_PKS2_PKT0_S8_ifPKiSA_iPKfiiiSC_SC_iiiii,@function
_ZN4vllm25paged_attention_v1_kernelIfhLi32ELi32ELi128ELNS_18Fp8KVCacheDataTypeE1ELb0EEEvPT_PKS2_PKT0_S8_ifPKiSA_iPKfiiiSC_SC_iiiii: ; @_ZN4vllm25paged_attention_v1_kernelIfhLi32ELi32ELi128ELNS_18Fp8KVCacheDataTypeE1ELb0EEEvPT_PKS2_PKT0_S8_ifPKiSA_iPKfiiiSC_SC_iiiii
; %bb.0:
	s_load_b64 s[18:19], s[0:1], 0x20
	s_bfe_u32 s3, ttmp6, 0x4000c
	s_bfe_u32 s5, ttmp6, 0x40010
	s_and_b32 s4, ttmp7, 0xffff
	s_add_co_i32 s3, s3, 1
	s_add_co_i32 s5, s5, 1
	s_and_b32 s2, ttmp6, 15
	s_bfe_u32 s6, ttmp6, 0x40004
	s_mul_i32 s3, ttmp9, s3
	s_mul_i32 s5, s4, s5
	s_getreg_b32 s20, hwreg(HW_REG_IB_STS2, 6, 4)
	s_add_co_i32 s2, s2, s3
	s_add_co_i32 s3, s6, s5
	s_cmp_eq_u32 s20, 0
	s_clause 0x1
	s_load_b32 s21, s[0:1], 0x80
	s_load_b64 s[6:7], s[0:1], 0x30
	s_cselect_b32 s22, s4, s3
	s_cselect_b32 s4, ttmp9, s2
	s_wait_kmcnt 0x0
	s_abs_i32 s2, s18
	s_delay_alu instid0(SALU_CYCLE_1) | instskip(SKIP_1) | instid1(SALU_CYCLE_2)
	s_cvt_f32_u32 s3, s2
	s_sub_co_i32 s5, 0, s2
	v_rcp_iflag_f32_e32 v1, s3
	s_abs_i32 s8, s21
	v_nop
	s_delay_alu instid0(TRANS32_DEP_1) | instskip(SKIP_1) | instid1(SALU_CYCLE_3)
	v_readfirstlane_b32 s3, v1
	s_mul_f32 s3, s3, 0x4f7ffffe
	s_cvt_u32_f32 s3, s3
	s_delay_alu instid0(SALU_CYCLE_3) | instskip(NEXT) | instid1(SALU_CYCLE_1)
	s_mul_i32 s5, s5, s3
	s_mul_hi_u32 s5, s3, s5
	s_delay_alu instid0(SALU_CYCLE_1) | instskip(SKIP_4) | instid1(SALU_CYCLE_1)
	s_add_co_i32 s3, s3, s5
	s_xor_b32 s5, s21, s18
	s_mul_hi_u32 s3, s8, s3
	s_ashr_i32 s5, s5, 31
	s_mul_i32 s9, s3, s2
	s_sub_co_i32 s8, s8, s9
	s_add_co_i32 s9, s3, 1
	s_sub_co_i32 s10, s8, s2
	s_cmp_ge_u32 s8, s2
	s_cselect_b32 s3, s9, s3
	s_cselect_b32 s8, s10, s8
	s_add_co_i32 s9, s3, 1
	s_cmp_ge_u32 s8, s2
	s_cselect_b32 s2, s9, s3
	s_load_b64 s[8:9], s[0:1], 0x40
	s_xor_b32 s2, s2, s5
	s_mov_b32 s3, 0
	s_sub_co_i32 s14, s2, s5
	s_mov_b32 s13, s3
	s_abs_i32 s11, s14
	s_mov_b32 s18, s3
	s_cvt_f32_u32 s2, s11
	s_delay_alu instid0(SALU_CYCLE_3) | instskip(SKIP_1) | instid1(TRANS32_DEP_1)
	v_rcp_iflag_f32_e32 v1, s2
	v_nop
	v_readfirstlane_b32 s2, v1
	s_mul_f32 s2, s2, 0x4f7ffffe
	s_delay_alu instid0(SALU_CYCLE_3) | instskip(SKIP_1) | instid1(SALU_CYCLE_2)
	s_cvt_u32_f32 s5, s2
	s_sub_co_i32 s2, 0, s11
	s_mul_i32 s2, s2, s5
	s_delay_alu instid0(SALU_CYCLE_1)
	s_mul_hi_u32 s10, s5, s2
	s_abs_i32 s2, s4
	s_add_co_i32 s12, s5, s10
	s_wait_kmcnt 0x0
	s_cmp_eq_u64 s[8:9], 0
	s_cbranch_scc1 .LBB218_2
; %bb.1:
	s_ashr_i32 s5, s4, 31
	s_delay_alu instid0(SALU_CYCLE_1) | instskip(NEXT) | instid1(SALU_CYCLE_1)
	s_lshl_b64 s[16:17], s[4:5], 2
	s_add_nc_u64 s[8:9], s[8:9], s[16:17]
	s_load_b32 s18, s[8:9], 0x0
.LBB218_2:
	s_load_b32 s23, s[6:7], s22 offset:0x0 scale_offset
	s_wait_xcnt 0x0
	s_load_b96 s[8:10], s[0:1], 0x48
	s_ashr_i32 s5, s4, 31
	s_ashr_i32 s6, s14, 31
	s_mul_u64 s[16:17], s[2:3], s[12:13]
	s_lshl_b32 s12, s4, 5
	s_mov_b32 s3, exec_lo
	v_cmpx_gt_u32_e32 8, v0
	s_cbranch_execz .LBB218_4
; %bb.3:
	s_load_b64 s[14:15], s[0:1], 0x8
	s_wait_kmcnt 0x0
	s_mul_i32 s24, s8, s22
	s_ashr_i32 s13, s12, 31
	s_ashr_i32 s25, s24, 31
	v_lshlrev_b32_e32 v1, 4, v0
	s_lshl_b64 s[24:25], s[24:25], 2
	s_delay_alu instid0(SALU_CYCLE_1) | instskip(SKIP_1) | instid1(SALU_CYCLE_1)
	s_add_nc_u64 s[14:15], s[14:15], s[24:25]
	s_lshl_b64 s[24:25], s[12:13], 2
	s_add_nc_u64 s[14:15], s[14:15], s[24:25]
	global_load_b128 v[2:5], v0, s[14:15] scale_offset
	s_wait_loadcnt 0x0
	ds_store_b128 v1, v[2:5]
.LBB218_4:
	s_or_b32 exec_lo, exec_lo, s3
	s_wait_kmcnt 0x0
	s_add_co_i32 s3, s23, 31
	s_clause 0x1
	s_load_b64 s[14:15], s[0:1], 0x28
	s_load_b32 s16, s[0:1], 0x38
	s_ashr_i32 s4, s3, 31
	s_xor_b32 s24, s5, s6
	s_lshr_b32 s4, s4, 27
	v_dual_lshrrev_b32 v1, 5, v0 :: v_dual_bitop2_b32 v104, 31, v0 bitop3:0x40
	s_add_co_i32 s3, s3, s4
	s_mul_i32 s4, s17, s11
	s_ashr_i32 s13, s3, 5
	s_sub_co_i32 s2, s2, s4
	s_clause 0x1
	s_load_b32 s8, s[0:1], 0x88
	s_load_b128 s[4:7], s[0:1], 0x58
	s_add_co_i32 s3, s17, 1
	s_sub_co_i32 s25, s2, s11
	s_cmp_ge_u32 s2, s11
	v_dual_mov_b32 v107, 0xff7fffff :: v_dual_lshlrev_b32 v106, 2, v104
	s_cselect_b32 s3, s3, s17
	s_cselect_b32 s2, s25, s2
	s_add_co_i32 s17, s3, 1
	s_cmp_ge_u32 s2, s11
	v_lshrrev_b32_e32 v105, 3, v0
	s_cselect_b32 s2, s17, s3
	s_wait_kmcnt 0x0
	s_mul_i32 s16, s16, s22
	s_xor_b32 s2, s2, s24
	s_ashr_i32 s17, s16, 31
	s_sub_co_i32 s3, s2, s24
	v_cmp_gt_i32_e64 s2, s13, v1
	s_mul_i32 s10, s3, s10
	s_wait_dscnt 0x0
	s_barrier_signal -1
	s_barrier_wait -1
	s_and_saveexec_b32 s24, s2
	s_cbranch_execz .LBB218_264
; %bb.5:
	s_load_b64 s[26:27], s[0:1], 0x10
	v_dual_mov_b32 v35, 0 :: v_dual_lshlrev_b32 v34, 4, v104
	s_load_b32 s4, s[4:5], 0x0
	s_ashr_i32 s11, s10, 31
	ds_load_b128 v[2:5], v35
	ds_load_b128 v[6:9], v35 offset:16
	ds_load_b128 v[10:13], v35 offset:32
	;; [unrolled: 1-line block ×7, first 2 shown]
	s_cmp_neq_f32 s18, 0
	v_lshl_or_b32 v38, v1, 7, v106
	v_lshl_or_b32 v108, v1, 5, v104
	v_mov_b32_e32 v107, 0xff7fffff
	s_cselect_b32 vcc_lo, -1, 0
	s_delay_alu instid0(VALU_DEP_3)
	v_dual_mov_b32 v110, v1 :: v_dual_add_nc_u32 v109, 0xa0, v38
	s_mov_b32 s25, s9
	s_wait_kmcnt 0x0
	s_add_nc_u64 s[26:27], s[26:27], s[10:11]
	s_mov_b32 s11, 0
	v_add_nc_u64_e32 v[36:37], s[26:27], v[34:35]
	v_and_b32_e32 v34, 0x7c, v105
	s_lshl_b64 s[26:27], s[16:17], 2
	s_mov_b32 s5, s4
	s_add_nc_u64 s[26:27], s[14:15], s[26:27]
	s_delay_alu instid0(VALU_DEP_1) | instid1(SALU_CYCLE_1)
	v_add_nc_u64_e32 v[38:39], s[26:27], v[34:35]
	s_sub_co_i32 s26, 1, s23
	s_branch .LBB218_10
.LBB218_6:                              ;   in Loop: Header=BB218_10 Depth=1
	s_or_b32 exec_lo, exec_lo, s30
	s_delay_alu instid0(VALU_DEP_1) | instskip(NEXT) | instid1(VALU_DEP_2)
	v_dual_lshlrev_b32 v101, 24, v112 :: v_dual_lshlrev_b32 v34, 20, v34
	v_lshl_add_u32 v100, v100, 23, 0x3c000000
	s_delay_alu instid0(VALU_DEP_2) | instskip(NEXT) | instid1(VALU_DEP_1)
	v_and_b32_e32 v101, 0x80000000, v101
	v_or3_b32 v101, v34, v101, v100
	v_mov_b32_e32 v100, v35
.LBB218_7:                              ;   in Loop: Header=BB218_10 Depth=1
	s_or_b32 exec_lo, exec_lo, s29
.LBB218_8:                              ;   in Loop: Header=BB218_10 Depth=1
	s_delay_alu instid0(SALU_CYCLE_1)
	s_or_b32 exec_lo, exec_lo, s28
.LBB218_9:                              ;   in Loop: Header=BB218_10 Depth=1
	s_delay_alu instid0(SALU_CYCLE_1)
	s_or_b32 exec_lo, exec_lo, s27
	v_dual_add_nc_u32 v34, s26, v108 :: v_dual_bitop2_b32 v93, v91, v93 bitop3:0x54
	v_or_b32_e32 v92, v90, v92
	v_mov_b64_e32 v[90:91], s[4:5]
	v_or_b32_e32 v49, v49, v51
	v_or_b32_e32 v48, v48, v50
	;; [unrolled: 1-line block ×6, first 2 shown]
	v_pk_mul_f32 v[42:43], v[90:91], v[48:49]
	v_or_b32_e32 v45, v45, v47
	v_pk_mul_f32 v[48:49], v[90:91], v[50:51]
	v_or_b32_e32 v44, v44, v46
	v_pk_mul_f32 v[40:41], v[90:91], v[40:41]
	s_wait_dscnt 0x6
	v_pk_mul_f32 v[42:43], v[6:7], v[42:43]
	v_or_b32_e32 v47, v63, v65
	v_or_b32_e32 v46, v62, v64
	v_pk_mul_f32 v[44:45], v[90:91], v[44:45]
	v_pk_mul_f32 v[48:49], v[8:9], v[48:49]
	v_pk_fma_f32 v[40:41], v[2:3], v[40:41], v[42:43]
	v_or_b32_e32 v43, v71, v73
	v_or_b32_e32 v42, v70, v72
	v_pk_mul_f32 v[46:47], v[90:91], v[46:47]
	v_pk_fma_f32 v[44:45], v[4:5], v[44:45], v[48:49]
	v_cvt_f32_i32_e32 v34, v34
	v_or_b32_e32 v95, v95, v97
	v_or_b32_e32 v49, v79, v81
	;; [unrolled: 1-line block ×3, first 2 shown]
	v_pk_mul_f32 v[42:43], v[90:91], v[42:43]
	s_wait_dscnt 0x5
	v_pk_fma_f32 v[44:45], v[12:13], v[46:47], v[44:45]
	v_dual_mul_f32 v34, s18, v34 :: v_dual_bitop2_b32 v82, v82, v84 bitop3:0x54
	v_or_b32_e32 v74, v74, v76
	v_or_b32_e32 v76, v86, v88
	v_pk_mul_f32 v[46:47], v[90:91], v[48:49]
	s_wait_dscnt 0x4
	v_pk_fma_f32 v[42:43], v[16:17], v[42:43], v[44:45]
	v_dual_cndmask_b32 v34, 0, v34, vcc_lo :: v_dual_bitop2_b32 v75, v75, v77 bitop3:0x54
	v_or_b32_e32 v77, v87, v89
	v_dual_add_nc_u32 v110, 4, v110 :: v_dual_bitop2_b32 v94, v94, v96 bitop3:0x54
	v_or_b32_e32 v59, v59, v61
	v_or_b32_e32 v49, v53, v99
	;; [unrolled: 1-line block ×3, first 2 shown]
	v_pk_mul_f32 v[50:51], v[90:91], v[76:77]
	s_wait_dscnt 0x3
	v_pk_fma_f32 v[42:43], v[20:21], v[46:47], v[42:43]
	v_cmp_gt_i32_e64 s3, s23, v108
	v_or_b32_e32 v58, v58, v60
	v_or_b32_e32 v67, v67, v69
	;; [unrolled: 1-line block ×3, first 2 shown]
	v_pk_mul_f32 v[44:45], v[90:91], v[94:95]
	v_pk_mul_f32 v[46:47], v[90:91], v[48:49]
	;; [unrolled: 1-line block ×3, first 2 shown]
	v_or_b32_e32 v49, v101, v103
	v_or_b32_e32 v48, v100, v102
	s_wait_dscnt 0x2
	v_pk_fma_f32 v[42:43], v[24:25], v[50:51], v[42:43]
	v_pk_mul_f32 v[66:67], v[90:91], v[66:67]
	v_pk_fma_f32 v[40:41], v[10:11], v[54:55], v[40:41]
	v_pk_mul_f32 v[74:75], v[90:91], v[74:75]
	v_pk_mul_f32 v[48:49], v[90:91], v[48:49]
	s_wait_dscnt 0x1
	v_pk_fma_f32 v[42:43], v[28:29], v[44:45], v[42:43]
	v_pk_mul_f32 v[92:93], v[90:91], v[92:93]
	v_pk_fma_f32 v[40:41], v[14:15], v[66:67], v[40:41]
	v_add_nc_u64_e32 v[38:39], 16, v[38:39]
	v_add_nc_u32_e32 v108, 0x80, v108
	s_wait_dscnt 0x0
	v_pk_fma_f32 v[42:43], v[32:33], v[48:49], v[42:43]
	v_or_b32_e32 v83, v83, v85
	v_pk_fma_f32 v[40:41], v[18:19], v[74:75], v[40:41]
	s_delay_alu instid0(VALU_DEP_2) | instskip(NEXT) | instid1(VALU_DEP_1)
	v_pk_mul_f32 v[68:69], v[90:91], v[82:83]
	v_pk_fma_f32 v[40:41], v[22:23], v[68:69], v[40:41]
	s_delay_alu instid0(VALU_DEP_1) | instskip(NEXT) | instid1(VALU_DEP_1)
	v_pk_fma_f32 v[40:41], v[26:27], v[92:93], v[40:41]
	v_pk_fma_f32 v[40:41], v[30:31], v[46:47], v[40:41]
	s_delay_alu instid0(VALU_DEP_1) | instskip(NEXT) | instid1(VALU_DEP_1)
	v_add_f32_e32 v40, v40, v41
	v_add_f32_e32 v40, v40, v42
	s_delay_alu instid0(VALU_DEP_1) | instskip(NEXT) | instid1(VALU_DEP_1)
	v_add_f32_e32 v40, v43, v40
	v_dual_fmac_f32 v34, s19, v40 :: v_dual_max_num_f32 v40, v107, v107
	s_delay_alu instid0(VALU_DEP_1)
	v_dual_cndmask_b32 v41, 0, v34, s3 :: v_dual_max_num_f32 v34, v40, v34
	ds_store_b32 v109, v41
	v_cndmask_b32_e64 v107, v107, v34, s3
	v_cmp_le_i32_e64 s3, s13, v110
	v_add_nc_u32_e32 v109, 0x200, v109
	s_or_b32 s11, s3, s11
	s_delay_alu instid0(SALU_CYCLE_1)
	s_and_not1_b32 exec_lo, exec_lo, s11
	s_cbranch_execz .LBB218_263
.LBB218_10:                             ; =>This Inner Loop Header: Depth=1
	global_load_b32 v34, v[38:39], off
	v_mov_b64_e32 v[40:41], 0
	v_mov_b64_e32 v[42:43], 0
	s_mov_b32 s27, exec_lo
	s_wait_loadcnt 0x0
	v_mad_nc_i64_i32 v[52:53], v34, s25, v[36:37]
	global_load_b32 v48, v[52:53], off
	s_wait_loadcnt 0x0
	v_and_b32_e32 v34, 0xff, v48
	s_wait_xcnt 0x0
	s_delay_alu instid0(VALU_DEP_1)
	v_cmpx_ne_u16_e32 0, v34
	s_cbranch_execz .LBB218_18
; %bb.11:                               ;   in Loop: Header=BB218_10 Depth=1
	v_mov_b64_e32 v[42:43], 0x80000000
	s_mov_b32 s28, exec_lo
	v_cmpx_ne_u16_e32 0x80, v34
	s_cbranch_execz .LBB218_17
; %bb.12:                               ;   in Loop: Header=BB218_10 Depth=1
	v_mov_b64_e32 v[42:43], 0x7f800001
	v_and_b32_e32 v44, 0x7f, v48
	s_mov_b32 s29, exec_lo
	s_delay_alu instid0(VALU_DEP_1)
	v_cmpx_ne_u32_e32 0x7f, v44
	s_cbranch_execz .LBB218_16
; %bb.13:                               ;   in Loop: Header=BB218_10 Depth=1
	v_and_b32_e32 v34, 7, v48
	v_lshrrev_b32_e32 v42, 3, v44
	s_mov_b32 s30, exec_lo
	v_cmpx_gt_u32_e32 8, v44
; %bb.14:                               ;   in Loop: Header=BB218_10 Depth=1
	s_delay_alu instid0(VALU_DEP_3) | instskip(NEXT) | instid1(VALU_DEP_1)
	v_clz_i32_u32_e32 v42, v34
	v_min_u32_e32 v42, 32, v42
	s_delay_alu instid0(VALU_DEP_1) | instskip(NEXT) | instid1(VALU_DEP_1)
	v_subrev_nc_u32_e32 v43, 28, v42
	v_lshlrev_b64_e32 v[44:45], v43, v[34:35]
	s_delay_alu instid0(VALU_DEP_1)
	v_dual_sub_nc_u32 v42, 29, v42 :: v_dual_bitop2_b32 v34, 7, v44 bitop3:0x40
; %bb.15:                               ;   in Loop: Header=BB218_10 Depth=1
	s_or_b32 exec_lo, exec_lo, s30
	s_delay_alu instid0(VALU_DEP_1) | instskip(NEXT) | instid1(VALU_DEP_2)
	v_dual_lshlrev_b32 v43, 24, v48 :: v_dual_lshlrev_b32 v34, 20, v34
	v_lshl_add_u32 v42, v42, 23, 0x3c000000
	s_delay_alu instid0(VALU_DEP_2) | instskip(NEXT) | instid1(VALU_DEP_1)
	v_and_b32_e32 v43, 0x80000000, v43
	v_or3_b32 v34, v34, v43, v42
	s_delay_alu instid0(VALU_DEP_1)
	v_mov_b64_e32 v[42:43], v[34:35]
.LBB218_16:                             ;   in Loop: Header=BB218_10 Depth=1
	s_or_b32 exec_lo, exec_lo, s29
.LBB218_17:                             ;   in Loop: Header=BB218_10 Depth=1
	s_delay_alu instid0(SALU_CYCLE_1)
	s_or_b32 exec_lo, exec_lo, s28
.LBB218_18:                             ;   in Loop: Header=BB218_10 Depth=1
	s_delay_alu instid0(SALU_CYCLE_1) | instskip(SKIP_2) | instid1(VALU_DEP_1)
	s_or_b32 exec_lo, exec_lo, s27
	v_lshrrev_b16 v34, 8, v48
	s_mov_b32 s27, exec_lo
	v_cmpx_ne_u16_e32 0, v34
	s_cbranch_execz .LBB218_26
; %bb.19:                               ;   in Loop: Header=BB218_10 Depth=1
	v_mov_b64_e32 v[40:41], 0x8000000000000000
	s_mov_b32 s28, exec_lo
	v_cmpx_ne_u16_e32 0x80, v34
	s_cbranch_execz .LBB218_25
; %bb.20:                               ;   in Loop: Header=BB218_10 Depth=1
	v_and_b32_e32 v34, 0xffff, v34
	v_mov_b64_e32 v[40:41], 0x7f80000100000000
	s_mov_b32 s29, exec_lo
	s_delay_alu instid0(VALU_DEP_2) | instskip(NEXT) | instid1(VALU_DEP_1)
	v_and_b32_e32 v44, 0x7f, v34
	v_cmpx_ne_u32_e32 0x7f, v44
	s_cbranch_execz .LBB218_24
; %bb.21:                               ;   in Loop: Header=BB218_10 Depth=1
	v_dual_lshrrev_b32 v40, 3, v44 :: v_dual_bitop2_b32 v34, 7, v34 bitop3:0x40
	s_mov_b32 s30, exec_lo
	v_cmpx_gt_u32_e32 8, v44
; %bb.22:                               ;   in Loop: Header=BB218_10 Depth=1
	s_delay_alu instid0(VALU_DEP_2) | instskip(NEXT) | instid1(VALU_DEP_1)
	v_clz_i32_u32_e32 v40, v34
	v_min_u32_e32 v40, 32, v40
	s_delay_alu instid0(VALU_DEP_1) | instskip(SKIP_1) | instid1(VALU_DEP_2)
	v_subrev_nc_u32_e32 v41, 28, v40
	v_sub_nc_u32_e32 v40, 29, v40
	v_lshlrev_b64_e32 v[44:45], v41, v[34:35]
	s_delay_alu instid0(VALU_DEP_1)
	v_and_b32_e32 v34, 7, v44
; %bb.23:                               ;   in Loop: Header=BB218_10 Depth=1
	s_or_b32 exec_lo, exec_lo, s30
	s_delay_alu instid0(VALU_DEP_1) | instskip(SKIP_1) | instid1(VALU_DEP_2)
	v_dual_lshlrev_b32 v41, 16, v48 :: v_dual_lshlrev_b32 v34, 20, v34
	v_lshl_add_u32 v40, v40, 23, 0x3c000000
	v_and_b32_e32 v41, 0x80000000, v41
	s_delay_alu instid0(VALU_DEP_1)
	v_or3_b32 v41, v34, v41, v40
	v_mov_b32_e32 v40, v35
.LBB218_24:                             ;   in Loop: Header=BB218_10 Depth=1
	s_or_b32 exec_lo, exec_lo, s29
.LBB218_25:                             ;   in Loop: Header=BB218_10 Depth=1
	s_delay_alu instid0(SALU_CYCLE_1)
	s_or_b32 exec_lo, exec_lo, s28
.LBB218_26:                             ;   in Loop: Header=BB218_10 Depth=1
	s_delay_alu instid0(SALU_CYCLE_1) | instskip(SKIP_4) | instid1(VALU_DEP_3)
	s_or_b32 exec_lo, exec_lo, s27
	v_lshrrev_b32_e32 v49, 16, v48
	v_mov_b64_e32 v[44:45], 0
	v_mov_b64_e32 v[46:47], 0
	s_mov_b32 s27, exec_lo
	v_and_b32_e32 v34, 0xff, v49
	s_delay_alu instid0(VALU_DEP_1)
	v_cmpx_ne_u16_e32 0, v34
	s_cbranch_execz .LBB218_34
; %bb.27:                               ;   in Loop: Header=BB218_10 Depth=1
	v_mov_b64_e32 v[46:47], 0x80000000
	s_mov_b32 s28, exec_lo
	v_cmpx_ne_u16_e32 0x80, v34
	s_cbranch_execz .LBB218_33
; %bb.28:                               ;   in Loop: Header=BB218_10 Depth=1
	v_mov_b64_e32 v[46:47], 0x7f800001
	v_bfe_u32 v50, v48, 16, 7
	s_mov_b32 s29, exec_lo
	s_delay_alu instid0(VALU_DEP_1)
	v_cmpx_ne_u32_e32 0x7f, v50
	s_cbranch_execz .LBB218_32
; %bb.29:                               ;   in Loop: Header=BB218_10 Depth=1
	v_dual_lshrrev_b32 v46, 3, v50 :: v_dual_bitop2_b32 v34, 7, v49 bitop3:0x40
	s_mov_b32 s30, exec_lo
	v_cmpx_gt_u32_e32 8, v50
; %bb.30:                               ;   in Loop: Header=BB218_10 Depth=1
	s_delay_alu instid0(VALU_DEP_2) | instskip(NEXT) | instid1(VALU_DEP_1)
	v_clz_i32_u32_e32 v46, v34
	v_min_u32_e32 v46, 32, v46
	s_delay_alu instid0(VALU_DEP_1) | instskip(SKIP_1) | instid1(VALU_DEP_2)
	v_subrev_nc_u32_e32 v47, 28, v46
	v_sub_nc_u32_e32 v46, 29, v46
	v_lshlrev_b64_e32 v[50:51], v47, v[34:35]
	s_delay_alu instid0(VALU_DEP_1)
	v_and_b32_e32 v34, 7, v50
; %bb.31:                               ;   in Loop: Header=BB218_10 Depth=1
	s_or_b32 exec_lo, exec_lo, s30
	s_delay_alu instid0(VALU_DEP_1) | instskip(SKIP_1) | instid1(VALU_DEP_2)
	v_dual_lshlrev_b32 v47, 24, v49 :: v_dual_lshlrev_b32 v34, 20, v34
	v_lshl_add_u32 v46, v46, 23, 0x3c000000
	v_and_b32_e32 v47, 0x80000000, v47
	s_delay_alu instid0(VALU_DEP_1) | instskip(NEXT) | instid1(VALU_DEP_1)
	v_or3_b32 v34, v34, v47, v46
	v_mov_b64_e32 v[46:47], v[34:35]
.LBB218_32:                             ;   in Loop: Header=BB218_10 Depth=1
	s_or_b32 exec_lo, exec_lo, s29
.LBB218_33:                             ;   in Loop: Header=BB218_10 Depth=1
	s_delay_alu instid0(SALU_CYCLE_1)
	s_or_b32 exec_lo, exec_lo, s28
.LBB218_34:                             ;   in Loop: Header=BB218_10 Depth=1
	s_delay_alu instid0(SALU_CYCLE_1) | instskip(NEXT) | instid1(SALU_CYCLE_1)
	s_or_b32 exec_lo, exec_lo, s27
	s_mov_b32 s27, exec_lo
	v_cmpx_lt_u32_e32 0xffffff, v48
	s_cbranch_execz .LBB218_42
; %bb.35:                               ;   in Loop: Header=BB218_10 Depth=1
	v_mov_b64_e32 v[44:45], 0x8000000000000000
	v_lshrrev_b32_e32 v49, 24, v48
	s_mov_b32 s28, exec_lo
	s_delay_alu instid0(VALU_DEP_1)
	v_cmpx_ne_u32_e32 0x80, v49
	s_cbranch_execz .LBB218_41
; %bb.36:                               ;   in Loop: Header=BB218_10 Depth=1
	v_mov_b64_e32 v[44:45], 0x7f80000100000000
	v_bfe_u32 v48, v48, 24, 7
	s_mov_b32 s29, exec_lo
	s_delay_alu instid0(VALU_DEP_1)
	v_cmpx_ne_u32_e32 0x7f, v48
	s_cbranch_execz .LBB218_40
; %bb.37:                               ;   in Loop: Header=BB218_10 Depth=1
	v_dual_lshrrev_b32 v44, 3, v48 :: v_dual_bitop2_b32 v34, 7, v49 bitop3:0x40
	s_mov_b32 s30, exec_lo
	v_cmpx_gt_u32_e32 8, v48
; %bb.38:                               ;   in Loop: Header=BB218_10 Depth=1
	s_delay_alu instid0(VALU_DEP_2) | instskip(NEXT) | instid1(VALU_DEP_1)
	v_clz_i32_u32_e32 v44, v34
	v_min_u32_e32 v44, 32, v44
	s_delay_alu instid0(VALU_DEP_1) | instskip(NEXT) | instid1(VALU_DEP_1)
	v_subrev_nc_u32_e32 v45, 28, v44
	v_lshlrev_b64_e32 v[50:51], v45, v[34:35]
	s_delay_alu instid0(VALU_DEP_1)
	v_dual_sub_nc_u32 v44, 29, v44 :: v_dual_bitop2_b32 v34, 7, v50 bitop3:0x40
; %bb.39:                               ;   in Loop: Header=BB218_10 Depth=1
	s_or_b32 exec_lo, exec_lo, s30
	s_delay_alu instid0(VALU_DEP_1) | instskip(NEXT) | instid1(VALU_DEP_2)
	v_dual_lshlrev_b32 v45, 24, v49 :: v_dual_lshlrev_b32 v34, 20, v34
	v_lshl_add_u32 v44, v44, 23, 0x3c000000
	s_delay_alu instid0(VALU_DEP_2) | instskip(NEXT) | instid1(VALU_DEP_1)
	v_and_b32_e32 v45, 0x80000000, v45
	v_or3_b32 v45, v34, v45, v44
	v_mov_b32_e32 v44, v35
.LBB218_40:                             ;   in Loop: Header=BB218_10 Depth=1
	s_or_b32 exec_lo, exec_lo, s29
.LBB218_41:                             ;   in Loop: Header=BB218_10 Depth=1
	s_delay_alu instid0(SALU_CYCLE_1)
	s_or_b32 exec_lo, exec_lo, s28
.LBB218_42:                             ;   in Loop: Header=BB218_10 Depth=1
	s_delay_alu instid0(SALU_CYCLE_1)
	s_or_b32 exec_lo, exec_lo, s27
	global_load_b32 v58, v[52:53], off offset:4
	v_mov_b64_e32 v[48:49], 0
	v_mov_b64_e32 v[50:51], 0
	s_mov_b32 s27, exec_lo
	s_wait_loadcnt 0x0
	v_and_b32_e32 v34, 0xff, v58
	s_wait_xcnt 0x0
	s_delay_alu instid0(VALU_DEP_1)
	v_cmpx_ne_u16_e32 0, v34
	s_cbranch_execz .LBB218_50
; %bb.43:                               ;   in Loop: Header=BB218_10 Depth=1
	v_mov_b64_e32 v[50:51], 0x80000000
	s_mov_b32 s28, exec_lo
	v_cmpx_ne_u16_e32 0x80, v34
	s_cbranch_execz .LBB218_49
; %bb.44:                               ;   in Loop: Header=BB218_10 Depth=1
	v_mov_b64_e32 v[50:51], 0x7f800001
	v_and_b32_e32 v54, 0x7f, v58
	s_mov_b32 s29, exec_lo
	s_delay_alu instid0(VALU_DEP_1)
	v_cmpx_ne_u32_e32 0x7f, v54
	s_cbranch_execz .LBB218_48
; %bb.45:                               ;   in Loop: Header=BB218_10 Depth=1
	v_and_b32_e32 v34, 7, v58
	v_lshrrev_b32_e32 v50, 3, v54
	s_mov_b32 s30, exec_lo
	v_cmpx_gt_u32_e32 8, v54
; %bb.46:                               ;   in Loop: Header=BB218_10 Depth=1
	s_delay_alu instid0(VALU_DEP_3) | instskip(NEXT) | instid1(VALU_DEP_1)
	v_clz_i32_u32_e32 v50, v34
	v_min_u32_e32 v50, 32, v50
	s_delay_alu instid0(VALU_DEP_1) | instskip(SKIP_1) | instid1(VALU_DEP_2)
	v_subrev_nc_u32_e32 v51, 28, v50
	v_sub_nc_u32_e32 v50, 29, v50
	v_lshlrev_b64_e32 v[54:55], v51, v[34:35]
	s_delay_alu instid0(VALU_DEP_1)
	v_and_b32_e32 v34, 7, v54
; %bb.47:                               ;   in Loop: Header=BB218_10 Depth=1
	s_or_b32 exec_lo, exec_lo, s30
	v_lshlrev_b32_e32 v51, 24, v58
	s_delay_alu instid0(VALU_DEP_2) | instskip(SKIP_1) | instid1(VALU_DEP_3)
	v_lshlrev_b32_e32 v34, 20, v34
	v_lshl_add_u32 v50, v50, 23, 0x3c000000
	v_and_b32_e32 v51, 0x80000000, v51
	s_delay_alu instid0(VALU_DEP_1) | instskip(NEXT) | instid1(VALU_DEP_1)
	v_or3_b32 v34, v34, v51, v50
	v_mov_b64_e32 v[50:51], v[34:35]
.LBB218_48:                             ;   in Loop: Header=BB218_10 Depth=1
	s_or_b32 exec_lo, exec_lo, s29
.LBB218_49:                             ;   in Loop: Header=BB218_10 Depth=1
	s_delay_alu instid0(SALU_CYCLE_1)
	s_or_b32 exec_lo, exec_lo, s28
.LBB218_50:                             ;   in Loop: Header=BB218_10 Depth=1
	s_delay_alu instid0(SALU_CYCLE_1) | instskip(SKIP_2) | instid1(VALU_DEP_1)
	s_or_b32 exec_lo, exec_lo, s27
	v_lshrrev_b16 v34, 8, v58
	s_mov_b32 s27, exec_lo
	v_cmpx_ne_u16_e32 0, v34
	s_cbranch_execz .LBB218_58
; %bb.51:                               ;   in Loop: Header=BB218_10 Depth=1
	v_mov_b64_e32 v[48:49], 0x8000000000000000
	s_mov_b32 s28, exec_lo
	v_cmpx_ne_u16_e32 0x80, v34
	s_cbranch_execz .LBB218_57
; %bb.52:                               ;   in Loop: Header=BB218_10 Depth=1
	v_and_b32_e32 v34, 0xffff, v34
	v_mov_b64_e32 v[48:49], 0x7f80000100000000
	s_mov_b32 s29, exec_lo
	s_delay_alu instid0(VALU_DEP_2) | instskip(NEXT) | instid1(VALU_DEP_1)
	v_and_b32_e32 v54, 0x7f, v34
	v_cmpx_ne_u32_e32 0x7f, v54
	s_cbranch_execz .LBB218_56
; %bb.53:                               ;   in Loop: Header=BB218_10 Depth=1
	v_and_b32_e32 v34, 7, v34
	v_lshrrev_b32_e32 v48, 3, v54
	s_mov_b32 s30, exec_lo
	v_cmpx_gt_u32_e32 8, v54
; %bb.54:                               ;   in Loop: Header=BB218_10 Depth=1
	s_delay_alu instid0(VALU_DEP_3) | instskip(NEXT) | instid1(VALU_DEP_1)
	v_clz_i32_u32_e32 v48, v34
	v_min_u32_e32 v48, 32, v48
	s_delay_alu instid0(VALU_DEP_1) | instskip(NEXT) | instid1(VALU_DEP_1)
	v_subrev_nc_u32_e32 v49, 28, v48
	v_lshlrev_b64_e32 v[54:55], v49, v[34:35]
	s_delay_alu instid0(VALU_DEP_1)
	v_dual_sub_nc_u32 v48, 29, v48 :: v_dual_bitop2_b32 v34, 7, v54 bitop3:0x40
; %bb.55:                               ;   in Loop: Header=BB218_10 Depth=1
	s_or_b32 exec_lo, exec_lo, s30
	v_lshlrev_b32_e32 v49, 16, v58
	s_delay_alu instid0(VALU_DEP_2) | instskip(NEXT) | instid1(VALU_DEP_3)
	v_lshlrev_b32_e32 v34, 20, v34
	v_lshl_add_u32 v48, v48, 23, 0x3c000000
	s_delay_alu instid0(VALU_DEP_3) | instskip(NEXT) | instid1(VALU_DEP_1)
	v_and_b32_e32 v49, 0x80000000, v49
	v_or3_b32 v49, v34, v49, v48
	v_mov_b32_e32 v48, v35
.LBB218_56:                             ;   in Loop: Header=BB218_10 Depth=1
	s_or_b32 exec_lo, exec_lo, s29
.LBB218_57:                             ;   in Loop: Header=BB218_10 Depth=1
	s_delay_alu instid0(SALU_CYCLE_1)
	s_or_b32 exec_lo, exec_lo, s28
.LBB218_58:                             ;   in Loop: Header=BB218_10 Depth=1
	s_delay_alu instid0(SALU_CYCLE_1) | instskip(SKIP_4) | instid1(VALU_DEP_3)
	s_or_b32 exec_lo, exec_lo, s27
	v_lshrrev_b32_e32 v59, 16, v58
	v_mov_b64_e32 v[54:55], 0
	v_mov_b64_e32 v[56:57], 0
	s_mov_b32 s27, exec_lo
	v_and_b32_e32 v34, 0xff, v59
	s_delay_alu instid0(VALU_DEP_1)
	v_cmpx_ne_u16_e32 0, v34
	s_cbranch_execz .LBB218_66
; %bb.59:                               ;   in Loop: Header=BB218_10 Depth=1
	v_mov_b64_e32 v[56:57], 0x80000000
	s_mov_b32 s28, exec_lo
	v_cmpx_ne_u16_e32 0x80, v34
	s_cbranch_execz .LBB218_65
; %bb.60:                               ;   in Loop: Header=BB218_10 Depth=1
	v_mov_b64_e32 v[56:57], 0x7f800001
	v_bfe_u32 v60, v58, 16, 7
	s_mov_b32 s29, exec_lo
	s_delay_alu instid0(VALU_DEP_1)
	v_cmpx_ne_u32_e32 0x7f, v60
	s_cbranch_execz .LBB218_64
; %bb.61:                               ;   in Loop: Header=BB218_10 Depth=1
	v_dual_lshrrev_b32 v56, 3, v60 :: v_dual_bitop2_b32 v34, 7, v59 bitop3:0x40
	s_mov_b32 s30, exec_lo
	v_cmpx_gt_u32_e32 8, v60
; %bb.62:                               ;   in Loop: Header=BB218_10 Depth=1
	s_delay_alu instid0(VALU_DEP_2) | instskip(NEXT) | instid1(VALU_DEP_1)
	v_clz_i32_u32_e32 v56, v34
	v_min_u32_e32 v56, 32, v56
	s_delay_alu instid0(VALU_DEP_1) | instskip(SKIP_1) | instid1(VALU_DEP_2)
	v_subrev_nc_u32_e32 v57, 28, v56
	v_sub_nc_u32_e32 v56, 29, v56
	v_lshlrev_b64_e32 v[60:61], v57, v[34:35]
	s_delay_alu instid0(VALU_DEP_1)
	v_and_b32_e32 v34, 7, v60
; %bb.63:                               ;   in Loop: Header=BB218_10 Depth=1
	s_or_b32 exec_lo, exec_lo, s30
	s_delay_alu instid0(VALU_DEP_1) | instskip(SKIP_1) | instid1(VALU_DEP_2)
	v_dual_lshlrev_b32 v57, 24, v59 :: v_dual_lshlrev_b32 v34, 20, v34
	v_lshl_add_u32 v56, v56, 23, 0x3c000000
	v_and_b32_e32 v57, 0x80000000, v57
	s_delay_alu instid0(VALU_DEP_1) | instskip(NEXT) | instid1(VALU_DEP_1)
	v_or3_b32 v34, v34, v57, v56
	v_mov_b64_e32 v[56:57], v[34:35]
.LBB218_64:                             ;   in Loop: Header=BB218_10 Depth=1
	s_or_b32 exec_lo, exec_lo, s29
.LBB218_65:                             ;   in Loop: Header=BB218_10 Depth=1
	s_delay_alu instid0(SALU_CYCLE_1)
	s_or_b32 exec_lo, exec_lo, s28
.LBB218_66:                             ;   in Loop: Header=BB218_10 Depth=1
	s_delay_alu instid0(SALU_CYCLE_1) | instskip(NEXT) | instid1(SALU_CYCLE_1)
	s_or_b32 exec_lo, exec_lo, s27
	s_mov_b32 s27, exec_lo
	v_cmpx_lt_u32_e32 0xffffff, v58
	s_cbranch_execz .LBB218_74
; %bb.67:                               ;   in Loop: Header=BB218_10 Depth=1
	v_mov_b64_e32 v[54:55], 0x8000000000000000
	v_lshrrev_b32_e32 v59, 24, v58
	s_mov_b32 s28, exec_lo
	s_delay_alu instid0(VALU_DEP_1)
	v_cmpx_ne_u32_e32 0x80, v59
	s_cbranch_execz .LBB218_73
; %bb.68:                               ;   in Loop: Header=BB218_10 Depth=1
	v_mov_b64_e32 v[54:55], 0x7f80000100000000
	v_bfe_u32 v58, v58, 24, 7
	s_mov_b32 s29, exec_lo
	s_delay_alu instid0(VALU_DEP_1)
	v_cmpx_ne_u32_e32 0x7f, v58
	s_cbranch_execz .LBB218_72
; %bb.69:                               ;   in Loop: Header=BB218_10 Depth=1
	v_dual_lshrrev_b32 v54, 3, v58 :: v_dual_bitop2_b32 v34, 7, v59 bitop3:0x40
	s_mov_b32 s30, exec_lo
	v_cmpx_gt_u32_e32 8, v58
; %bb.70:                               ;   in Loop: Header=BB218_10 Depth=1
	s_delay_alu instid0(VALU_DEP_2) | instskip(NEXT) | instid1(VALU_DEP_1)
	v_clz_i32_u32_e32 v54, v34
	v_min_u32_e32 v54, 32, v54
	s_delay_alu instid0(VALU_DEP_1) | instskip(NEXT) | instid1(VALU_DEP_1)
	v_subrev_nc_u32_e32 v55, 28, v54
	v_lshlrev_b64_e32 v[60:61], v55, v[34:35]
	s_delay_alu instid0(VALU_DEP_1)
	v_dual_sub_nc_u32 v54, 29, v54 :: v_dual_bitop2_b32 v34, 7, v60 bitop3:0x40
; %bb.71:                               ;   in Loop: Header=BB218_10 Depth=1
	s_or_b32 exec_lo, exec_lo, s30
	s_delay_alu instid0(VALU_DEP_1) | instskip(NEXT) | instid1(VALU_DEP_2)
	v_dual_lshlrev_b32 v55, 24, v59 :: v_dual_lshlrev_b32 v34, 20, v34
	v_lshl_add_u32 v54, v54, 23, 0x3c000000
	s_delay_alu instid0(VALU_DEP_2) | instskip(NEXT) | instid1(VALU_DEP_1)
	v_and_b32_e32 v55, 0x80000000, v55
	v_or3_b32 v55, v34, v55, v54
	v_mov_b32_e32 v54, v35
.LBB218_72:                             ;   in Loop: Header=BB218_10 Depth=1
	s_or_b32 exec_lo, exec_lo, s29
.LBB218_73:                             ;   in Loop: Header=BB218_10 Depth=1
	s_delay_alu instid0(SALU_CYCLE_1)
	s_or_b32 exec_lo, exec_lo, s28
.LBB218_74:                             ;   in Loop: Header=BB218_10 Depth=1
	s_delay_alu instid0(SALU_CYCLE_1)
	s_or_b32 exec_lo, exec_lo, s27
	global_load_b32 v66, v[52:53], off offset:8
	v_mov_b64_e32 v[58:59], 0
	v_mov_b64_e32 v[60:61], 0
	s_mov_b32 s27, exec_lo
	s_wait_loadcnt 0x0
	v_and_b32_e32 v34, 0xff, v66
	s_wait_xcnt 0x0
	s_delay_alu instid0(VALU_DEP_1)
	v_cmpx_ne_u16_e32 0, v34
	s_cbranch_execz .LBB218_82
; %bb.75:                               ;   in Loop: Header=BB218_10 Depth=1
	v_mov_b64_e32 v[60:61], 0x80000000
	s_mov_b32 s28, exec_lo
	v_cmpx_ne_u16_e32 0x80, v34
	s_cbranch_execz .LBB218_81
; %bb.76:                               ;   in Loop: Header=BB218_10 Depth=1
	v_mov_b64_e32 v[60:61], 0x7f800001
	v_and_b32_e32 v62, 0x7f, v66
	s_mov_b32 s29, exec_lo
	s_delay_alu instid0(VALU_DEP_1)
	v_cmpx_ne_u32_e32 0x7f, v62
	s_cbranch_execz .LBB218_80
; %bb.77:                               ;   in Loop: Header=BB218_10 Depth=1
	v_and_b32_e32 v34, 7, v66
	v_lshrrev_b32_e32 v60, 3, v62
	s_mov_b32 s30, exec_lo
	v_cmpx_gt_u32_e32 8, v62
; %bb.78:                               ;   in Loop: Header=BB218_10 Depth=1
	s_delay_alu instid0(VALU_DEP_3) | instskip(NEXT) | instid1(VALU_DEP_1)
	v_clz_i32_u32_e32 v60, v34
	v_min_u32_e32 v60, 32, v60
	s_delay_alu instid0(VALU_DEP_1) | instskip(NEXT) | instid1(VALU_DEP_1)
	v_subrev_nc_u32_e32 v61, 28, v60
	v_lshlrev_b64_e32 v[62:63], v61, v[34:35]
	s_delay_alu instid0(VALU_DEP_1)
	v_dual_sub_nc_u32 v60, 29, v60 :: v_dual_bitop2_b32 v34, 7, v62 bitop3:0x40
; %bb.79:                               ;   in Loop: Header=BB218_10 Depth=1
	s_or_b32 exec_lo, exec_lo, s30
	v_lshlrev_b32_e32 v61, 24, v66
	s_delay_alu instid0(VALU_DEP_2) | instskip(NEXT) | instid1(VALU_DEP_3)
	v_lshlrev_b32_e32 v34, 20, v34
	v_lshl_add_u32 v60, v60, 23, 0x3c000000
	s_delay_alu instid0(VALU_DEP_3) | instskip(NEXT) | instid1(VALU_DEP_1)
	v_and_b32_e32 v61, 0x80000000, v61
	v_or3_b32 v34, v34, v61, v60
	s_delay_alu instid0(VALU_DEP_1)
	v_mov_b64_e32 v[60:61], v[34:35]
.LBB218_80:                             ;   in Loop: Header=BB218_10 Depth=1
	s_or_b32 exec_lo, exec_lo, s29
.LBB218_81:                             ;   in Loop: Header=BB218_10 Depth=1
	s_delay_alu instid0(SALU_CYCLE_1)
	s_or_b32 exec_lo, exec_lo, s28
.LBB218_82:                             ;   in Loop: Header=BB218_10 Depth=1
	s_delay_alu instid0(SALU_CYCLE_1) | instskip(SKIP_2) | instid1(VALU_DEP_1)
	s_or_b32 exec_lo, exec_lo, s27
	v_lshrrev_b16 v34, 8, v66
	s_mov_b32 s27, exec_lo
	v_cmpx_ne_u16_e32 0, v34
	s_cbranch_execz .LBB218_90
; %bb.83:                               ;   in Loop: Header=BB218_10 Depth=1
	v_mov_b64_e32 v[58:59], 0x8000000000000000
	s_mov_b32 s28, exec_lo
	v_cmpx_ne_u16_e32 0x80, v34
	s_cbranch_execz .LBB218_89
; %bb.84:                               ;   in Loop: Header=BB218_10 Depth=1
	v_and_b32_e32 v34, 0xffff, v34
	v_mov_b64_e32 v[58:59], 0x7f80000100000000
	s_mov_b32 s29, exec_lo
	s_delay_alu instid0(VALU_DEP_2) | instskip(NEXT) | instid1(VALU_DEP_1)
	v_and_b32_e32 v62, 0x7f, v34
	v_cmpx_ne_u32_e32 0x7f, v62
	s_cbranch_execz .LBB218_88
; %bb.85:                               ;   in Loop: Header=BB218_10 Depth=1
	v_and_b32_e32 v34, 7, v34
	v_lshrrev_b32_e32 v58, 3, v62
	s_mov_b32 s30, exec_lo
	v_cmpx_gt_u32_e32 8, v62
; %bb.86:                               ;   in Loop: Header=BB218_10 Depth=1
	s_delay_alu instid0(VALU_DEP_3) | instskip(NEXT) | instid1(VALU_DEP_1)
	v_clz_i32_u32_e32 v58, v34
	v_min_u32_e32 v58, 32, v58
	s_delay_alu instid0(VALU_DEP_1) | instskip(SKIP_1) | instid1(VALU_DEP_2)
	v_subrev_nc_u32_e32 v59, 28, v58
	v_sub_nc_u32_e32 v58, 29, v58
	v_lshlrev_b64_e32 v[62:63], v59, v[34:35]
	s_delay_alu instid0(VALU_DEP_1)
	v_and_b32_e32 v34, 7, v62
; %bb.87:                               ;   in Loop: Header=BB218_10 Depth=1
	s_or_b32 exec_lo, exec_lo, s30
	v_lshlrev_b32_e32 v59, 16, v66
	s_delay_alu instid0(VALU_DEP_2) | instskip(SKIP_1) | instid1(VALU_DEP_3)
	v_lshlrev_b32_e32 v34, 20, v34
	v_lshl_add_u32 v58, v58, 23, 0x3c000000
	v_and_b32_e32 v59, 0x80000000, v59
	s_delay_alu instid0(VALU_DEP_1)
	v_or3_b32 v59, v34, v59, v58
	v_mov_b32_e32 v58, v35
.LBB218_88:                             ;   in Loop: Header=BB218_10 Depth=1
	s_or_b32 exec_lo, exec_lo, s29
.LBB218_89:                             ;   in Loop: Header=BB218_10 Depth=1
	s_delay_alu instid0(SALU_CYCLE_1)
	s_or_b32 exec_lo, exec_lo, s28
.LBB218_90:                             ;   in Loop: Header=BB218_10 Depth=1
	s_delay_alu instid0(SALU_CYCLE_1) | instskip(SKIP_4) | instid1(VALU_DEP_3)
	s_or_b32 exec_lo, exec_lo, s27
	v_lshrrev_b32_e32 v67, 16, v66
	v_mov_b64_e32 v[62:63], 0
	v_mov_b64_e32 v[64:65], 0
	s_mov_b32 s27, exec_lo
	v_and_b32_e32 v34, 0xff, v67
	s_delay_alu instid0(VALU_DEP_1)
	v_cmpx_ne_u16_e32 0, v34
	s_cbranch_execz .LBB218_98
; %bb.91:                               ;   in Loop: Header=BB218_10 Depth=1
	v_mov_b64_e32 v[64:65], 0x80000000
	s_mov_b32 s28, exec_lo
	v_cmpx_ne_u16_e32 0x80, v34
	s_cbranch_execz .LBB218_97
; %bb.92:                               ;   in Loop: Header=BB218_10 Depth=1
	v_mov_b64_e32 v[64:65], 0x7f800001
	v_bfe_u32 v68, v66, 16, 7
	s_mov_b32 s29, exec_lo
	s_delay_alu instid0(VALU_DEP_1)
	v_cmpx_ne_u32_e32 0x7f, v68
	s_cbranch_execz .LBB218_96
; %bb.93:                               ;   in Loop: Header=BB218_10 Depth=1
	v_dual_lshrrev_b32 v64, 3, v68 :: v_dual_bitop2_b32 v34, 7, v67 bitop3:0x40
	s_mov_b32 s30, exec_lo
	v_cmpx_gt_u32_e32 8, v68
; %bb.94:                               ;   in Loop: Header=BB218_10 Depth=1
	s_delay_alu instid0(VALU_DEP_2) | instskip(NEXT) | instid1(VALU_DEP_1)
	v_clz_i32_u32_e32 v64, v34
	v_min_u32_e32 v64, 32, v64
	s_delay_alu instid0(VALU_DEP_1) | instskip(SKIP_1) | instid1(VALU_DEP_2)
	v_subrev_nc_u32_e32 v65, 28, v64
	v_sub_nc_u32_e32 v64, 29, v64
	v_lshlrev_b64_e32 v[68:69], v65, v[34:35]
	s_delay_alu instid0(VALU_DEP_1)
	v_and_b32_e32 v34, 7, v68
; %bb.95:                               ;   in Loop: Header=BB218_10 Depth=1
	s_or_b32 exec_lo, exec_lo, s30
	s_delay_alu instid0(VALU_DEP_1) | instskip(SKIP_1) | instid1(VALU_DEP_2)
	v_dual_lshlrev_b32 v65, 24, v67 :: v_dual_lshlrev_b32 v34, 20, v34
	v_lshl_add_u32 v64, v64, 23, 0x3c000000
	v_and_b32_e32 v65, 0x80000000, v65
	s_delay_alu instid0(VALU_DEP_1) | instskip(NEXT) | instid1(VALU_DEP_1)
	v_or3_b32 v34, v34, v65, v64
	v_mov_b64_e32 v[64:65], v[34:35]
.LBB218_96:                             ;   in Loop: Header=BB218_10 Depth=1
	s_or_b32 exec_lo, exec_lo, s29
.LBB218_97:                             ;   in Loop: Header=BB218_10 Depth=1
	s_delay_alu instid0(SALU_CYCLE_1)
	s_or_b32 exec_lo, exec_lo, s28
.LBB218_98:                             ;   in Loop: Header=BB218_10 Depth=1
	s_delay_alu instid0(SALU_CYCLE_1) | instskip(NEXT) | instid1(SALU_CYCLE_1)
	s_or_b32 exec_lo, exec_lo, s27
	s_mov_b32 s27, exec_lo
	v_cmpx_lt_u32_e32 0xffffff, v66
	s_cbranch_execz .LBB218_106
; %bb.99:                               ;   in Loop: Header=BB218_10 Depth=1
	v_mov_b64_e32 v[62:63], 0x8000000000000000
	v_lshrrev_b32_e32 v67, 24, v66
	s_mov_b32 s28, exec_lo
	s_delay_alu instid0(VALU_DEP_1)
	v_cmpx_ne_u32_e32 0x80, v67
	s_cbranch_execz .LBB218_105
; %bb.100:                              ;   in Loop: Header=BB218_10 Depth=1
	v_mov_b64_e32 v[62:63], 0x7f80000100000000
	v_bfe_u32 v66, v66, 24, 7
	s_mov_b32 s29, exec_lo
	s_delay_alu instid0(VALU_DEP_1)
	v_cmpx_ne_u32_e32 0x7f, v66
	s_cbranch_execz .LBB218_104
; %bb.101:                              ;   in Loop: Header=BB218_10 Depth=1
	v_dual_lshrrev_b32 v62, 3, v66 :: v_dual_bitop2_b32 v34, 7, v67 bitop3:0x40
	s_mov_b32 s30, exec_lo
	v_cmpx_gt_u32_e32 8, v66
; %bb.102:                              ;   in Loop: Header=BB218_10 Depth=1
	s_delay_alu instid0(VALU_DEP_2) | instskip(NEXT) | instid1(VALU_DEP_1)
	v_clz_i32_u32_e32 v62, v34
	v_min_u32_e32 v62, 32, v62
	s_delay_alu instid0(VALU_DEP_1) | instskip(NEXT) | instid1(VALU_DEP_1)
	v_subrev_nc_u32_e32 v63, 28, v62
	v_lshlrev_b64_e32 v[68:69], v63, v[34:35]
	s_delay_alu instid0(VALU_DEP_1)
	v_dual_sub_nc_u32 v62, 29, v62 :: v_dual_bitop2_b32 v34, 7, v68 bitop3:0x40
; %bb.103:                              ;   in Loop: Header=BB218_10 Depth=1
	s_or_b32 exec_lo, exec_lo, s30
	s_delay_alu instid0(VALU_DEP_1) | instskip(NEXT) | instid1(VALU_DEP_2)
	v_dual_lshlrev_b32 v63, 24, v67 :: v_dual_lshlrev_b32 v34, 20, v34
	v_lshl_add_u32 v62, v62, 23, 0x3c000000
	s_delay_alu instid0(VALU_DEP_2) | instskip(NEXT) | instid1(VALU_DEP_1)
	v_and_b32_e32 v63, 0x80000000, v63
	v_or3_b32 v63, v34, v63, v62
	v_mov_b32_e32 v62, v35
.LBB218_104:                            ;   in Loop: Header=BB218_10 Depth=1
	s_or_b32 exec_lo, exec_lo, s29
.LBB218_105:                            ;   in Loop: Header=BB218_10 Depth=1
	s_delay_alu instid0(SALU_CYCLE_1)
	s_or_b32 exec_lo, exec_lo, s28
.LBB218_106:                            ;   in Loop: Header=BB218_10 Depth=1
	s_delay_alu instid0(SALU_CYCLE_1)
	s_or_b32 exec_lo, exec_lo, s27
	global_load_b32 v74, v[52:53], off offset:12
	v_mov_b64_e32 v[66:67], 0
	v_mov_b64_e32 v[68:69], 0
	s_mov_b32 s27, exec_lo
	s_wait_loadcnt 0x0
	v_and_b32_e32 v34, 0xff, v74
	s_wait_xcnt 0x0
	s_delay_alu instid0(VALU_DEP_1)
	v_cmpx_ne_u16_e32 0, v34
	s_cbranch_execz .LBB218_114
; %bb.107:                              ;   in Loop: Header=BB218_10 Depth=1
	v_mov_b64_e32 v[68:69], 0x80000000
	s_mov_b32 s28, exec_lo
	v_cmpx_ne_u16_e32 0x80, v34
	s_cbranch_execz .LBB218_113
; %bb.108:                              ;   in Loop: Header=BB218_10 Depth=1
	v_mov_b64_e32 v[68:69], 0x7f800001
	v_and_b32_e32 v70, 0x7f, v74
	s_mov_b32 s29, exec_lo
	s_delay_alu instid0(VALU_DEP_1)
	v_cmpx_ne_u32_e32 0x7f, v70
	s_cbranch_execz .LBB218_112
; %bb.109:                              ;   in Loop: Header=BB218_10 Depth=1
	v_and_b32_e32 v34, 7, v74
	v_lshrrev_b32_e32 v68, 3, v70
	s_mov_b32 s30, exec_lo
	v_cmpx_gt_u32_e32 8, v70
; %bb.110:                              ;   in Loop: Header=BB218_10 Depth=1
	s_delay_alu instid0(VALU_DEP_3) | instskip(NEXT) | instid1(VALU_DEP_1)
	v_clz_i32_u32_e32 v68, v34
	v_min_u32_e32 v68, 32, v68
	s_delay_alu instid0(VALU_DEP_1) | instskip(NEXT) | instid1(VALU_DEP_1)
	v_subrev_nc_u32_e32 v69, 28, v68
	v_lshlrev_b64_e32 v[70:71], v69, v[34:35]
	s_delay_alu instid0(VALU_DEP_1)
	v_dual_sub_nc_u32 v68, 29, v68 :: v_dual_bitop2_b32 v34, 7, v70 bitop3:0x40
; %bb.111:                              ;   in Loop: Header=BB218_10 Depth=1
	s_or_b32 exec_lo, exec_lo, s30
	v_lshlrev_b32_e32 v69, 24, v74
	s_delay_alu instid0(VALU_DEP_2) | instskip(NEXT) | instid1(VALU_DEP_3)
	v_lshlrev_b32_e32 v34, 20, v34
	v_lshl_add_u32 v68, v68, 23, 0x3c000000
	s_delay_alu instid0(VALU_DEP_3) | instskip(NEXT) | instid1(VALU_DEP_1)
	v_and_b32_e32 v69, 0x80000000, v69
	v_or3_b32 v34, v34, v69, v68
	s_delay_alu instid0(VALU_DEP_1)
	v_mov_b64_e32 v[68:69], v[34:35]
.LBB218_112:                            ;   in Loop: Header=BB218_10 Depth=1
	s_or_b32 exec_lo, exec_lo, s29
.LBB218_113:                            ;   in Loop: Header=BB218_10 Depth=1
	s_delay_alu instid0(SALU_CYCLE_1)
	s_or_b32 exec_lo, exec_lo, s28
.LBB218_114:                            ;   in Loop: Header=BB218_10 Depth=1
	s_delay_alu instid0(SALU_CYCLE_1) | instskip(SKIP_2) | instid1(VALU_DEP_1)
	s_or_b32 exec_lo, exec_lo, s27
	v_lshrrev_b16 v34, 8, v74
	s_mov_b32 s27, exec_lo
	v_cmpx_ne_u16_e32 0, v34
	s_cbranch_execz .LBB218_122
; %bb.115:                              ;   in Loop: Header=BB218_10 Depth=1
	v_mov_b64_e32 v[66:67], 0x8000000000000000
	s_mov_b32 s28, exec_lo
	v_cmpx_ne_u16_e32 0x80, v34
	s_cbranch_execz .LBB218_121
; %bb.116:                              ;   in Loop: Header=BB218_10 Depth=1
	v_and_b32_e32 v34, 0xffff, v34
	v_mov_b64_e32 v[66:67], 0x7f80000100000000
	s_mov_b32 s29, exec_lo
	s_delay_alu instid0(VALU_DEP_2) | instskip(NEXT) | instid1(VALU_DEP_1)
	v_and_b32_e32 v70, 0x7f, v34
	v_cmpx_ne_u32_e32 0x7f, v70
	s_cbranch_execz .LBB218_120
; %bb.117:                              ;   in Loop: Header=BB218_10 Depth=1
	v_and_b32_e32 v34, 7, v34
	v_lshrrev_b32_e32 v66, 3, v70
	s_mov_b32 s30, exec_lo
	v_cmpx_gt_u32_e32 8, v70
; %bb.118:                              ;   in Loop: Header=BB218_10 Depth=1
	s_delay_alu instid0(VALU_DEP_3) | instskip(NEXT) | instid1(VALU_DEP_1)
	v_clz_i32_u32_e32 v66, v34
	v_min_u32_e32 v66, 32, v66
	s_delay_alu instid0(VALU_DEP_1) | instskip(SKIP_1) | instid1(VALU_DEP_2)
	v_subrev_nc_u32_e32 v67, 28, v66
	v_sub_nc_u32_e32 v66, 29, v66
	v_lshlrev_b64_e32 v[70:71], v67, v[34:35]
	s_delay_alu instid0(VALU_DEP_1)
	v_and_b32_e32 v34, 7, v70
; %bb.119:                              ;   in Loop: Header=BB218_10 Depth=1
	s_or_b32 exec_lo, exec_lo, s30
	v_lshlrev_b32_e32 v67, 16, v74
	s_delay_alu instid0(VALU_DEP_2) | instskip(SKIP_1) | instid1(VALU_DEP_3)
	v_lshlrev_b32_e32 v34, 20, v34
	v_lshl_add_u32 v66, v66, 23, 0x3c000000
	v_and_b32_e32 v67, 0x80000000, v67
	s_delay_alu instid0(VALU_DEP_1)
	v_or3_b32 v67, v34, v67, v66
	v_mov_b32_e32 v66, v35
.LBB218_120:                            ;   in Loop: Header=BB218_10 Depth=1
	s_or_b32 exec_lo, exec_lo, s29
.LBB218_121:                            ;   in Loop: Header=BB218_10 Depth=1
	s_delay_alu instid0(SALU_CYCLE_1)
	s_or_b32 exec_lo, exec_lo, s28
.LBB218_122:                            ;   in Loop: Header=BB218_10 Depth=1
	s_delay_alu instid0(SALU_CYCLE_1) | instskip(SKIP_4) | instid1(VALU_DEP_3)
	s_or_b32 exec_lo, exec_lo, s27
	v_lshrrev_b32_e32 v75, 16, v74
	v_mov_b64_e32 v[70:71], 0
	v_mov_b64_e32 v[72:73], 0
	s_mov_b32 s27, exec_lo
	v_and_b32_e32 v34, 0xff, v75
	s_delay_alu instid0(VALU_DEP_1)
	v_cmpx_ne_u16_e32 0, v34
	s_cbranch_execz .LBB218_130
; %bb.123:                              ;   in Loop: Header=BB218_10 Depth=1
	v_mov_b64_e32 v[72:73], 0x80000000
	s_mov_b32 s28, exec_lo
	v_cmpx_ne_u16_e32 0x80, v34
	s_cbranch_execz .LBB218_129
; %bb.124:                              ;   in Loop: Header=BB218_10 Depth=1
	v_mov_b64_e32 v[72:73], 0x7f800001
	v_bfe_u32 v76, v74, 16, 7
	s_mov_b32 s29, exec_lo
	s_delay_alu instid0(VALU_DEP_1)
	v_cmpx_ne_u32_e32 0x7f, v76
	s_cbranch_execz .LBB218_128
; %bb.125:                              ;   in Loop: Header=BB218_10 Depth=1
	v_dual_lshrrev_b32 v72, 3, v76 :: v_dual_bitop2_b32 v34, 7, v75 bitop3:0x40
	s_mov_b32 s30, exec_lo
	v_cmpx_gt_u32_e32 8, v76
; %bb.126:                              ;   in Loop: Header=BB218_10 Depth=1
	s_delay_alu instid0(VALU_DEP_2) | instskip(NEXT) | instid1(VALU_DEP_1)
	v_clz_i32_u32_e32 v72, v34
	v_min_u32_e32 v72, 32, v72
	s_delay_alu instid0(VALU_DEP_1) | instskip(SKIP_1) | instid1(VALU_DEP_2)
	v_subrev_nc_u32_e32 v73, 28, v72
	v_sub_nc_u32_e32 v72, 29, v72
	v_lshlrev_b64_e32 v[76:77], v73, v[34:35]
	s_delay_alu instid0(VALU_DEP_1)
	v_and_b32_e32 v34, 7, v76
; %bb.127:                              ;   in Loop: Header=BB218_10 Depth=1
	s_or_b32 exec_lo, exec_lo, s30
	s_delay_alu instid0(VALU_DEP_1) | instskip(SKIP_1) | instid1(VALU_DEP_2)
	v_dual_lshlrev_b32 v73, 24, v75 :: v_dual_lshlrev_b32 v34, 20, v34
	v_lshl_add_u32 v72, v72, 23, 0x3c000000
	v_and_b32_e32 v73, 0x80000000, v73
	s_delay_alu instid0(VALU_DEP_1) | instskip(NEXT) | instid1(VALU_DEP_1)
	v_or3_b32 v34, v34, v73, v72
	v_mov_b64_e32 v[72:73], v[34:35]
.LBB218_128:                            ;   in Loop: Header=BB218_10 Depth=1
	s_or_b32 exec_lo, exec_lo, s29
.LBB218_129:                            ;   in Loop: Header=BB218_10 Depth=1
	s_delay_alu instid0(SALU_CYCLE_1)
	s_or_b32 exec_lo, exec_lo, s28
.LBB218_130:                            ;   in Loop: Header=BB218_10 Depth=1
	s_delay_alu instid0(SALU_CYCLE_1) | instskip(NEXT) | instid1(SALU_CYCLE_1)
	s_or_b32 exec_lo, exec_lo, s27
	s_mov_b32 s27, exec_lo
	v_cmpx_lt_u32_e32 0xffffff, v74
	s_cbranch_execz .LBB218_138
; %bb.131:                              ;   in Loop: Header=BB218_10 Depth=1
	v_mov_b64_e32 v[70:71], 0x8000000000000000
	v_lshrrev_b32_e32 v75, 24, v74
	s_mov_b32 s28, exec_lo
	s_delay_alu instid0(VALU_DEP_1)
	v_cmpx_ne_u32_e32 0x80, v75
	s_cbranch_execz .LBB218_137
; %bb.132:                              ;   in Loop: Header=BB218_10 Depth=1
	v_mov_b64_e32 v[70:71], 0x7f80000100000000
	v_bfe_u32 v74, v74, 24, 7
	s_mov_b32 s29, exec_lo
	s_delay_alu instid0(VALU_DEP_1)
	v_cmpx_ne_u32_e32 0x7f, v74
	s_cbranch_execz .LBB218_136
; %bb.133:                              ;   in Loop: Header=BB218_10 Depth=1
	v_dual_lshrrev_b32 v70, 3, v74 :: v_dual_bitop2_b32 v34, 7, v75 bitop3:0x40
	s_mov_b32 s30, exec_lo
	v_cmpx_gt_u32_e32 8, v74
; %bb.134:                              ;   in Loop: Header=BB218_10 Depth=1
	s_delay_alu instid0(VALU_DEP_2) | instskip(NEXT) | instid1(VALU_DEP_1)
	v_clz_i32_u32_e32 v70, v34
	v_min_u32_e32 v70, 32, v70
	s_delay_alu instid0(VALU_DEP_1) | instskip(NEXT) | instid1(VALU_DEP_1)
	v_subrev_nc_u32_e32 v71, 28, v70
	v_lshlrev_b64_e32 v[76:77], v71, v[34:35]
	s_delay_alu instid0(VALU_DEP_1)
	v_dual_sub_nc_u32 v70, 29, v70 :: v_dual_bitop2_b32 v34, 7, v76 bitop3:0x40
; %bb.135:                              ;   in Loop: Header=BB218_10 Depth=1
	s_or_b32 exec_lo, exec_lo, s30
	s_delay_alu instid0(VALU_DEP_1) | instskip(NEXT) | instid1(VALU_DEP_2)
	v_dual_lshlrev_b32 v71, 24, v75 :: v_dual_lshlrev_b32 v34, 20, v34
	v_lshl_add_u32 v70, v70, 23, 0x3c000000
	s_delay_alu instid0(VALU_DEP_2) | instskip(NEXT) | instid1(VALU_DEP_1)
	v_and_b32_e32 v71, 0x80000000, v71
	v_or3_b32 v71, v34, v71, v70
	v_mov_b32_e32 v70, v35
.LBB218_136:                            ;   in Loop: Header=BB218_10 Depth=1
	s_or_b32 exec_lo, exec_lo, s29
.LBB218_137:                            ;   in Loop: Header=BB218_10 Depth=1
	s_delay_alu instid0(SALU_CYCLE_1)
	s_or_b32 exec_lo, exec_lo, s28
.LBB218_138:                            ;   in Loop: Header=BB218_10 Depth=1
	s_delay_alu instid0(SALU_CYCLE_1)
	s_or_b32 exec_lo, exec_lo, s27
	global_load_b32 v82, v[52:53], off offset:512
	v_mov_b64_e32 v[74:75], 0
	v_mov_b64_e32 v[76:77], 0
	s_mov_b32 s27, exec_lo
	s_wait_loadcnt 0x0
	v_and_b32_e32 v34, 0xff, v82
	s_wait_xcnt 0x0
	s_delay_alu instid0(VALU_DEP_1)
	v_cmpx_ne_u16_e32 0, v34
	s_cbranch_execz .LBB218_146
; %bb.139:                              ;   in Loop: Header=BB218_10 Depth=1
	v_mov_b64_e32 v[76:77], 0x80000000
	s_mov_b32 s28, exec_lo
	v_cmpx_ne_u16_e32 0x80, v34
	s_cbranch_execz .LBB218_145
; %bb.140:                              ;   in Loop: Header=BB218_10 Depth=1
	v_mov_b64_e32 v[76:77], 0x7f800001
	v_and_b32_e32 v78, 0x7f, v82
	s_mov_b32 s29, exec_lo
	s_delay_alu instid0(VALU_DEP_1)
	v_cmpx_ne_u32_e32 0x7f, v78
	s_cbranch_execz .LBB218_144
; %bb.141:                              ;   in Loop: Header=BB218_10 Depth=1
	v_and_b32_e32 v34, 7, v82
	v_lshrrev_b32_e32 v76, 3, v78
	s_mov_b32 s30, exec_lo
	v_cmpx_gt_u32_e32 8, v78
; %bb.142:                              ;   in Loop: Header=BB218_10 Depth=1
	s_delay_alu instid0(VALU_DEP_3) | instskip(NEXT) | instid1(VALU_DEP_1)
	v_clz_i32_u32_e32 v76, v34
	v_min_u32_e32 v76, 32, v76
	s_delay_alu instid0(VALU_DEP_1) | instskip(NEXT) | instid1(VALU_DEP_1)
	v_subrev_nc_u32_e32 v77, 28, v76
	v_lshlrev_b64_e32 v[78:79], v77, v[34:35]
	s_delay_alu instid0(VALU_DEP_1)
	v_dual_sub_nc_u32 v76, 29, v76 :: v_dual_bitop2_b32 v34, 7, v78 bitop3:0x40
; %bb.143:                              ;   in Loop: Header=BB218_10 Depth=1
	s_or_b32 exec_lo, exec_lo, s30
	v_lshlrev_b32_e32 v77, 24, v82
	s_delay_alu instid0(VALU_DEP_2) | instskip(NEXT) | instid1(VALU_DEP_3)
	v_lshlrev_b32_e32 v34, 20, v34
	v_lshl_add_u32 v76, v76, 23, 0x3c000000
	s_delay_alu instid0(VALU_DEP_3) | instskip(NEXT) | instid1(VALU_DEP_1)
	v_and_b32_e32 v77, 0x80000000, v77
	v_or3_b32 v34, v34, v77, v76
	s_delay_alu instid0(VALU_DEP_1)
	v_mov_b64_e32 v[76:77], v[34:35]
.LBB218_144:                            ;   in Loop: Header=BB218_10 Depth=1
	s_or_b32 exec_lo, exec_lo, s29
.LBB218_145:                            ;   in Loop: Header=BB218_10 Depth=1
	s_delay_alu instid0(SALU_CYCLE_1)
	s_or_b32 exec_lo, exec_lo, s28
.LBB218_146:                            ;   in Loop: Header=BB218_10 Depth=1
	s_delay_alu instid0(SALU_CYCLE_1) | instskip(SKIP_2) | instid1(VALU_DEP_1)
	s_or_b32 exec_lo, exec_lo, s27
	v_lshrrev_b16 v34, 8, v82
	s_mov_b32 s27, exec_lo
	v_cmpx_ne_u16_e32 0, v34
	s_cbranch_execz .LBB218_154
; %bb.147:                              ;   in Loop: Header=BB218_10 Depth=1
	v_mov_b64_e32 v[74:75], 0x8000000000000000
	s_mov_b32 s28, exec_lo
	v_cmpx_ne_u16_e32 0x80, v34
	s_cbranch_execz .LBB218_153
; %bb.148:                              ;   in Loop: Header=BB218_10 Depth=1
	v_and_b32_e32 v34, 0xffff, v34
	v_mov_b64_e32 v[74:75], 0x7f80000100000000
	s_mov_b32 s29, exec_lo
	s_delay_alu instid0(VALU_DEP_2) | instskip(NEXT) | instid1(VALU_DEP_1)
	v_and_b32_e32 v78, 0x7f, v34
	v_cmpx_ne_u32_e32 0x7f, v78
	s_cbranch_execz .LBB218_152
; %bb.149:                              ;   in Loop: Header=BB218_10 Depth=1
	v_and_b32_e32 v34, 7, v34
	v_lshrrev_b32_e32 v74, 3, v78
	s_mov_b32 s30, exec_lo
	v_cmpx_gt_u32_e32 8, v78
; %bb.150:                              ;   in Loop: Header=BB218_10 Depth=1
	s_delay_alu instid0(VALU_DEP_3) | instskip(NEXT) | instid1(VALU_DEP_1)
	v_clz_i32_u32_e32 v74, v34
	v_min_u32_e32 v74, 32, v74
	s_delay_alu instid0(VALU_DEP_1) | instskip(SKIP_1) | instid1(VALU_DEP_2)
	v_subrev_nc_u32_e32 v75, 28, v74
	v_sub_nc_u32_e32 v74, 29, v74
	v_lshlrev_b64_e32 v[78:79], v75, v[34:35]
	s_delay_alu instid0(VALU_DEP_1)
	v_and_b32_e32 v34, 7, v78
; %bb.151:                              ;   in Loop: Header=BB218_10 Depth=1
	s_or_b32 exec_lo, exec_lo, s30
	v_lshlrev_b32_e32 v75, 16, v82
	s_delay_alu instid0(VALU_DEP_2) | instskip(SKIP_1) | instid1(VALU_DEP_3)
	v_lshlrev_b32_e32 v34, 20, v34
	v_lshl_add_u32 v74, v74, 23, 0x3c000000
	v_and_b32_e32 v75, 0x80000000, v75
	s_delay_alu instid0(VALU_DEP_1)
	v_or3_b32 v75, v34, v75, v74
	v_mov_b32_e32 v74, v35
.LBB218_152:                            ;   in Loop: Header=BB218_10 Depth=1
	s_or_b32 exec_lo, exec_lo, s29
.LBB218_153:                            ;   in Loop: Header=BB218_10 Depth=1
	s_delay_alu instid0(SALU_CYCLE_1)
	s_or_b32 exec_lo, exec_lo, s28
.LBB218_154:                            ;   in Loop: Header=BB218_10 Depth=1
	s_delay_alu instid0(SALU_CYCLE_1) | instskip(SKIP_4) | instid1(VALU_DEP_3)
	s_or_b32 exec_lo, exec_lo, s27
	v_lshrrev_b32_e32 v83, 16, v82
	v_mov_b64_e32 v[78:79], 0
	v_mov_b64_e32 v[80:81], 0
	s_mov_b32 s27, exec_lo
	v_and_b32_e32 v34, 0xff, v83
	s_delay_alu instid0(VALU_DEP_1)
	v_cmpx_ne_u16_e32 0, v34
	s_cbranch_execz .LBB218_162
; %bb.155:                              ;   in Loop: Header=BB218_10 Depth=1
	v_mov_b64_e32 v[80:81], 0x80000000
	s_mov_b32 s28, exec_lo
	v_cmpx_ne_u16_e32 0x80, v34
	s_cbranch_execz .LBB218_161
; %bb.156:                              ;   in Loop: Header=BB218_10 Depth=1
	v_mov_b64_e32 v[80:81], 0x7f800001
	v_bfe_u32 v84, v82, 16, 7
	s_mov_b32 s29, exec_lo
	s_delay_alu instid0(VALU_DEP_1)
	v_cmpx_ne_u32_e32 0x7f, v84
	s_cbranch_execz .LBB218_160
; %bb.157:                              ;   in Loop: Header=BB218_10 Depth=1
	v_dual_lshrrev_b32 v80, 3, v84 :: v_dual_bitop2_b32 v34, 7, v83 bitop3:0x40
	s_mov_b32 s30, exec_lo
	v_cmpx_gt_u32_e32 8, v84
; %bb.158:                              ;   in Loop: Header=BB218_10 Depth=1
	s_delay_alu instid0(VALU_DEP_2) | instskip(NEXT) | instid1(VALU_DEP_1)
	v_clz_i32_u32_e32 v80, v34
	v_min_u32_e32 v80, 32, v80
	s_delay_alu instid0(VALU_DEP_1) | instskip(SKIP_1) | instid1(VALU_DEP_2)
	v_subrev_nc_u32_e32 v81, 28, v80
	v_sub_nc_u32_e32 v80, 29, v80
	v_lshlrev_b64_e32 v[84:85], v81, v[34:35]
	s_delay_alu instid0(VALU_DEP_1)
	v_and_b32_e32 v34, 7, v84
; %bb.159:                              ;   in Loop: Header=BB218_10 Depth=1
	s_or_b32 exec_lo, exec_lo, s30
	s_delay_alu instid0(VALU_DEP_1) | instskip(SKIP_1) | instid1(VALU_DEP_2)
	v_dual_lshlrev_b32 v81, 24, v83 :: v_dual_lshlrev_b32 v34, 20, v34
	v_lshl_add_u32 v80, v80, 23, 0x3c000000
	v_and_b32_e32 v81, 0x80000000, v81
	s_delay_alu instid0(VALU_DEP_1) | instskip(NEXT) | instid1(VALU_DEP_1)
	v_or3_b32 v34, v34, v81, v80
	v_mov_b64_e32 v[80:81], v[34:35]
.LBB218_160:                            ;   in Loop: Header=BB218_10 Depth=1
	s_or_b32 exec_lo, exec_lo, s29
.LBB218_161:                            ;   in Loop: Header=BB218_10 Depth=1
	s_delay_alu instid0(SALU_CYCLE_1)
	s_or_b32 exec_lo, exec_lo, s28
.LBB218_162:                            ;   in Loop: Header=BB218_10 Depth=1
	s_delay_alu instid0(SALU_CYCLE_1) | instskip(NEXT) | instid1(SALU_CYCLE_1)
	s_or_b32 exec_lo, exec_lo, s27
	s_mov_b32 s27, exec_lo
	v_cmpx_lt_u32_e32 0xffffff, v82
	s_cbranch_execz .LBB218_170
; %bb.163:                              ;   in Loop: Header=BB218_10 Depth=1
	v_mov_b64_e32 v[78:79], 0x8000000000000000
	v_lshrrev_b32_e32 v83, 24, v82
	s_mov_b32 s28, exec_lo
	s_delay_alu instid0(VALU_DEP_1)
	v_cmpx_ne_u32_e32 0x80, v83
	s_cbranch_execz .LBB218_169
; %bb.164:                              ;   in Loop: Header=BB218_10 Depth=1
	v_mov_b64_e32 v[78:79], 0x7f80000100000000
	v_bfe_u32 v82, v82, 24, 7
	s_mov_b32 s29, exec_lo
	s_delay_alu instid0(VALU_DEP_1)
	v_cmpx_ne_u32_e32 0x7f, v82
	s_cbranch_execz .LBB218_168
; %bb.165:                              ;   in Loop: Header=BB218_10 Depth=1
	v_dual_lshrrev_b32 v78, 3, v82 :: v_dual_bitop2_b32 v34, 7, v83 bitop3:0x40
	s_mov_b32 s30, exec_lo
	v_cmpx_gt_u32_e32 8, v82
; %bb.166:                              ;   in Loop: Header=BB218_10 Depth=1
	s_delay_alu instid0(VALU_DEP_2) | instskip(NEXT) | instid1(VALU_DEP_1)
	v_clz_i32_u32_e32 v78, v34
	v_min_u32_e32 v78, 32, v78
	s_delay_alu instid0(VALU_DEP_1) | instskip(NEXT) | instid1(VALU_DEP_1)
	v_subrev_nc_u32_e32 v79, 28, v78
	v_lshlrev_b64_e32 v[84:85], v79, v[34:35]
	s_delay_alu instid0(VALU_DEP_1)
	v_dual_sub_nc_u32 v78, 29, v78 :: v_dual_bitop2_b32 v34, 7, v84 bitop3:0x40
; %bb.167:                              ;   in Loop: Header=BB218_10 Depth=1
	s_or_b32 exec_lo, exec_lo, s30
	s_delay_alu instid0(VALU_DEP_1) | instskip(NEXT) | instid1(VALU_DEP_2)
	v_dual_lshlrev_b32 v79, 24, v83 :: v_dual_lshlrev_b32 v34, 20, v34
	v_lshl_add_u32 v78, v78, 23, 0x3c000000
	s_delay_alu instid0(VALU_DEP_2) | instskip(NEXT) | instid1(VALU_DEP_1)
	v_and_b32_e32 v79, 0x80000000, v79
	v_or3_b32 v79, v34, v79, v78
	v_mov_b32_e32 v78, v35
.LBB218_168:                            ;   in Loop: Header=BB218_10 Depth=1
	s_or_b32 exec_lo, exec_lo, s29
.LBB218_169:                            ;   in Loop: Header=BB218_10 Depth=1
	s_delay_alu instid0(SALU_CYCLE_1)
	s_or_b32 exec_lo, exec_lo, s28
.LBB218_170:                            ;   in Loop: Header=BB218_10 Depth=1
	s_delay_alu instid0(SALU_CYCLE_1)
	s_or_b32 exec_lo, exec_lo, s27
	global_load_b32 v90, v[52:53], off offset:516
	v_mov_b64_e32 v[82:83], 0
	v_mov_b64_e32 v[84:85], 0
	s_mov_b32 s27, exec_lo
	s_wait_loadcnt 0x0
	v_and_b32_e32 v34, 0xff, v90
	s_wait_xcnt 0x0
	s_delay_alu instid0(VALU_DEP_1)
	v_cmpx_ne_u16_e32 0, v34
	s_cbranch_execz .LBB218_178
; %bb.171:                              ;   in Loop: Header=BB218_10 Depth=1
	v_mov_b64_e32 v[84:85], 0x80000000
	s_mov_b32 s28, exec_lo
	v_cmpx_ne_u16_e32 0x80, v34
	s_cbranch_execz .LBB218_177
; %bb.172:                              ;   in Loop: Header=BB218_10 Depth=1
	v_mov_b64_e32 v[84:85], 0x7f800001
	v_and_b32_e32 v86, 0x7f, v90
	s_mov_b32 s29, exec_lo
	s_delay_alu instid0(VALU_DEP_1)
	v_cmpx_ne_u32_e32 0x7f, v86
	s_cbranch_execz .LBB218_176
; %bb.173:                              ;   in Loop: Header=BB218_10 Depth=1
	v_and_b32_e32 v34, 7, v90
	v_lshrrev_b32_e32 v84, 3, v86
	s_mov_b32 s30, exec_lo
	v_cmpx_gt_u32_e32 8, v86
; %bb.174:                              ;   in Loop: Header=BB218_10 Depth=1
	s_delay_alu instid0(VALU_DEP_3) | instskip(NEXT) | instid1(VALU_DEP_1)
	v_clz_i32_u32_e32 v84, v34
	v_min_u32_e32 v84, 32, v84
	s_delay_alu instid0(VALU_DEP_1) | instskip(NEXT) | instid1(VALU_DEP_1)
	v_subrev_nc_u32_e32 v85, 28, v84
	v_lshlrev_b64_e32 v[86:87], v85, v[34:35]
	s_delay_alu instid0(VALU_DEP_1)
	v_dual_sub_nc_u32 v84, 29, v84 :: v_dual_bitop2_b32 v34, 7, v86 bitop3:0x40
; %bb.175:                              ;   in Loop: Header=BB218_10 Depth=1
	s_or_b32 exec_lo, exec_lo, s30
	v_lshlrev_b32_e32 v85, 24, v90
	s_delay_alu instid0(VALU_DEP_2) | instskip(NEXT) | instid1(VALU_DEP_3)
	v_lshlrev_b32_e32 v34, 20, v34
	v_lshl_add_u32 v84, v84, 23, 0x3c000000
	s_delay_alu instid0(VALU_DEP_3) | instskip(NEXT) | instid1(VALU_DEP_1)
	v_and_b32_e32 v85, 0x80000000, v85
	v_or3_b32 v34, v34, v85, v84
	s_delay_alu instid0(VALU_DEP_1)
	v_mov_b64_e32 v[84:85], v[34:35]
.LBB218_176:                            ;   in Loop: Header=BB218_10 Depth=1
	s_or_b32 exec_lo, exec_lo, s29
.LBB218_177:                            ;   in Loop: Header=BB218_10 Depth=1
	s_delay_alu instid0(SALU_CYCLE_1)
	s_or_b32 exec_lo, exec_lo, s28
.LBB218_178:                            ;   in Loop: Header=BB218_10 Depth=1
	s_delay_alu instid0(SALU_CYCLE_1) | instskip(SKIP_2) | instid1(VALU_DEP_1)
	s_or_b32 exec_lo, exec_lo, s27
	v_lshrrev_b16 v34, 8, v90
	s_mov_b32 s27, exec_lo
	v_cmpx_ne_u16_e32 0, v34
	s_cbranch_execz .LBB218_186
; %bb.179:                              ;   in Loop: Header=BB218_10 Depth=1
	v_mov_b64_e32 v[82:83], 0x8000000000000000
	s_mov_b32 s28, exec_lo
	v_cmpx_ne_u16_e32 0x80, v34
	s_cbranch_execz .LBB218_185
; %bb.180:                              ;   in Loop: Header=BB218_10 Depth=1
	v_and_b32_e32 v34, 0xffff, v34
	v_mov_b64_e32 v[82:83], 0x7f80000100000000
	s_mov_b32 s29, exec_lo
	s_delay_alu instid0(VALU_DEP_2) | instskip(NEXT) | instid1(VALU_DEP_1)
	v_and_b32_e32 v86, 0x7f, v34
	v_cmpx_ne_u32_e32 0x7f, v86
	s_cbranch_execz .LBB218_184
; %bb.181:                              ;   in Loop: Header=BB218_10 Depth=1
	v_and_b32_e32 v34, 7, v34
	v_lshrrev_b32_e32 v82, 3, v86
	s_mov_b32 s30, exec_lo
	v_cmpx_gt_u32_e32 8, v86
; %bb.182:                              ;   in Loop: Header=BB218_10 Depth=1
	s_delay_alu instid0(VALU_DEP_3) | instskip(NEXT) | instid1(VALU_DEP_1)
	v_clz_i32_u32_e32 v82, v34
	v_min_u32_e32 v82, 32, v82
	s_delay_alu instid0(VALU_DEP_1) | instskip(SKIP_1) | instid1(VALU_DEP_2)
	v_subrev_nc_u32_e32 v83, 28, v82
	v_sub_nc_u32_e32 v82, 29, v82
	v_lshlrev_b64_e32 v[86:87], v83, v[34:35]
	s_delay_alu instid0(VALU_DEP_1)
	v_and_b32_e32 v34, 7, v86
; %bb.183:                              ;   in Loop: Header=BB218_10 Depth=1
	s_or_b32 exec_lo, exec_lo, s30
	v_lshlrev_b32_e32 v83, 16, v90
	s_delay_alu instid0(VALU_DEP_2) | instskip(SKIP_1) | instid1(VALU_DEP_3)
	v_lshlrev_b32_e32 v34, 20, v34
	v_lshl_add_u32 v82, v82, 23, 0x3c000000
	v_and_b32_e32 v83, 0x80000000, v83
	s_delay_alu instid0(VALU_DEP_1)
	v_or3_b32 v83, v34, v83, v82
	v_mov_b32_e32 v82, v35
.LBB218_184:                            ;   in Loop: Header=BB218_10 Depth=1
	s_or_b32 exec_lo, exec_lo, s29
.LBB218_185:                            ;   in Loop: Header=BB218_10 Depth=1
	s_delay_alu instid0(SALU_CYCLE_1)
	s_or_b32 exec_lo, exec_lo, s28
.LBB218_186:                            ;   in Loop: Header=BB218_10 Depth=1
	s_delay_alu instid0(SALU_CYCLE_1) | instskip(SKIP_4) | instid1(VALU_DEP_3)
	s_or_b32 exec_lo, exec_lo, s27
	v_lshrrev_b32_e32 v91, 16, v90
	v_mov_b64_e32 v[86:87], 0
	v_mov_b64_e32 v[88:89], 0
	s_mov_b32 s27, exec_lo
	v_and_b32_e32 v34, 0xff, v91
	s_delay_alu instid0(VALU_DEP_1)
	v_cmpx_ne_u16_e32 0, v34
	s_cbranch_execz .LBB218_194
; %bb.187:                              ;   in Loop: Header=BB218_10 Depth=1
	v_mov_b64_e32 v[88:89], 0x80000000
	s_mov_b32 s28, exec_lo
	v_cmpx_ne_u16_e32 0x80, v34
	s_cbranch_execz .LBB218_193
; %bb.188:                              ;   in Loop: Header=BB218_10 Depth=1
	v_mov_b64_e32 v[88:89], 0x7f800001
	v_bfe_u32 v92, v90, 16, 7
	s_mov_b32 s29, exec_lo
	s_delay_alu instid0(VALU_DEP_1)
	v_cmpx_ne_u32_e32 0x7f, v92
	s_cbranch_execz .LBB218_192
; %bb.189:                              ;   in Loop: Header=BB218_10 Depth=1
	v_dual_lshrrev_b32 v88, 3, v92 :: v_dual_bitop2_b32 v34, 7, v91 bitop3:0x40
	s_mov_b32 s30, exec_lo
	v_cmpx_gt_u32_e32 8, v92
; %bb.190:                              ;   in Loop: Header=BB218_10 Depth=1
	s_delay_alu instid0(VALU_DEP_2) | instskip(NEXT) | instid1(VALU_DEP_1)
	v_clz_i32_u32_e32 v88, v34
	v_min_u32_e32 v88, 32, v88
	s_delay_alu instid0(VALU_DEP_1) | instskip(SKIP_1) | instid1(VALU_DEP_2)
	v_subrev_nc_u32_e32 v89, 28, v88
	v_sub_nc_u32_e32 v88, 29, v88
	v_lshlrev_b64_e32 v[92:93], v89, v[34:35]
	s_delay_alu instid0(VALU_DEP_1)
	v_and_b32_e32 v34, 7, v92
; %bb.191:                              ;   in Loop: Header=BB218_10 Depth=1
	s_or_b32 exec_lo, exec_lo, s30
	s_delay_alu instid0(VALU_DEP_1) | instskip(SKIP_1) | instid1(VALU_DEP_2)
	v_dual_lshlrev_b32 v89, 24, v91 :: v_dual_lshlrev_b32 v34, 20, v34
	v_lshl_add_u32 v88, v88, 23, 0x3c000000
	v_and_b32_e32 v89, 0x80000000, v89
	s_delay_alu instid0(VALU_DEP_1) | instskip(NEXT) | instid1(VALU_DEP_1)
	v_or3_b32 v34, v34, v89, v88
	v_mov_b64_e32 v[88:89], v[34:35]
.LBB218_192:                            ;   in Loop: Header=BB218_10 Depth=1
	s_or_b32 exec_lo, exec_lo, s29
.LBB218_193:                            ;   in Loop: Header=BB218_10 Depth=1
	s_delay_alu instid0(SALU_CYCLE_1)
	s_or_b32 exec_lo, exec_lo, s28
.LBB218_194:                            ;   in Loop: Header=BB218_10 Depth=1
	s_delay_alu instid0(SALU_CYCLE_1) | instskip(NEXT) | instid1(SALU_CYCLE_1)
	s_or_b32 exec_lo, exec_lo, s27
	s_mov_b32 s27, exec_lo
	v_cmpx_lt_u32_e32 0xffffff, v90
	s_cbranch_execz .LBB218_202
; %bb.195:                              ;   in Loop: Header=BB218_10 Depth=1
	v_mov_b64_e32 v[86:87], 0x8000000000000000
	v_lshrrev_b32_e32 v91, 24, v90
	s_mov_b32 s28, exec_lo
	s_delay_alu instid0(VALU_DEP_1)
	v_cmpx_ne_u32_e32 0x80, v91
	s_cbranch_execz .LBB218_201
; %bb.196:                              ;   in Loop: Header=BB218_10 Depth=1
	v_mov_b64_e32 v[86:87], 0x7f80000100000000
	v_bfe_u32 v90, v90, 24, 7
	s_mov_b32 s29, exec_lo
	s_delay_alu instid0(VALU_DEP_1)
	v_cmpx_ne_u32_e32 0x7f, v90
	s_cbranch_execz .LBB218_200
; %bb.197:                              ;   in Loop: Header=BB218_10 Depth=1
	v_dual_lshrrev_b32 v86, 3, v90 :: v_dual_bitop2_b32 v34, 7, v91 bitop3:0x40
	s_mov_b32 s30, exec_lo
	v_cmpx_gt_u32_e32 8, v90
; %bb.198:                              ;   in Loop: Header=BB218_10 Depth=1
	s_delay_alu instid0(VALU_DEP_2) | instskip(NEXT) | instid1(VALU_DEP_1)
	v_clz_i32_u32_e32 v86, v34
	v_min_u32_e32 v86, 32, v86
	s_delay_alu instid0(VALU_DEP_1) | instskip(NEXT) | instid1(VALU_DEP_1)
	v_subrev_nc_u32_e32 v87, 28, v86
	v_lshlrev_b64_e32 v[92:93], v87, v[34:35]
	s_delay_alu instid0(VALU_DEP_1)
	v_dual_sub_nc_u32 v86, 29, v86 :: v_dual_bitop2_b32 v34, 7, v92 bitop3:0x40
; %bb.199:                              ;   in Loop: Header=BB218_10 Depth=1
	s_or_b32 exec_lo, exec_lo, s30
	s_delay_alu instid0(VALU_DEP_1) | instskip(NEXT) | instid1(VALU_DEP_2)
	v_dual_lshlrev_b32 v87, 24, v91 :: v_dual_lshlrev_b32 v34, 20, v34
	v_lshl_add_u32 v86, v86, 23, 0x3c000000
	s_delay_alu instid0(VALU_DEP_2) | instskip(NEXT) | instid1(VALU_DEP_1)
	v_and_b32_e32 v87, 0x80000000, v87
	v_or3_b32 v87, v34, v87, v86
	v_mov_b32_e32 v86, v35
.LBB218_200:                            ;   in Loop: Header=BB218_10 Depth=1
	s_or_b32 exec_lo, exec_lo, s29
.LBB218_201:                            ;   in Loop: Header=BB218_10 Depth=1
	s_delay_alu instid0(SALU_CYCLE_1)
	s_or_b32 exec_lo, exec_lo, s28
.LBB218_202:                            ;   in Loop: Header=BB218_10 Depth=1
	s_delay_alu instid0(SALU_CYCLE_1)
	s_or_b32 exec_lo, exec_lo, s27
	global_load_b32 v98, v[52:53], off offset:520
	v_mov_b64_e32 v[90:91], 0
	v_mov_b64_e32 v[92:93], 0
	s_mov_b32 s27, exec_lo
	s_wait_loadcnt 0x0
	v_and_b32_e32 v34, 0xff, v98
	s_wait_xcnt 0x0
	s_delay_alu instid0(VALU_DEP_1)
	v_cmpx_ne_u16_e32 0, v34
	s_cbranch_execz .LBB218_210
; %bb.203:                              ;   in Loop: Header=BB218_10 Depth=1
	v_mov_b64_e32 v[92:93], 0x80000000
	s_mov_b32 s28, exec_lo
	v_cmpx_ne_u16_e32 0x80, v34
	s_cbranch_execz .LBB218_209
; %bb.204:                              ;   in Loop: Header=BB218_10 Depth=1
	v_mov_b64_e32 v[92:93], 0x7f800001
	v_and_b32_e32 v94, 0x7f, v98
	s_mov_b32 s29, exec_lo
	s_delay_alu instid0(VALU_DEP_1)
	v_cmpx_ne_u32_e32 0x7f, v94
	s_cbranch_execz .LBB218_208
; %bb.205:                              ;   in Loop: Header=BB218_10 Depth=1
	v_and_b32_e32 v34, 7, v98
	v_lshrrev_b32_e32 v92, 3, v94
	s_mov_b32 s30, exec_lo
	v_cmpx_gt_u32_e32 8, v94
; %bb.206:                              ;   in Loop: Header=BB218_10 Depth=1
	s_delay_alu instid0(VALU_DEP_3) | instskip(NEXT) | instid1(VALU_DEP_1)
	v_clz_i32_u32_e32 v92, v34
	v_min_u32_e32 v92, 32, v92
	s_delay_alu instid0(VALU_DEP_1) | instskip(NEXT) | instid1(VALU_DEP_1)
	v_subrev_nc_u32_e32 v93, 28, v92
	v_lshlrev_b64_e32 v[94:95], v93, v[34:35]
	s_delay_alu instid0(VALU_DEP_1)
	v_dual_sub_nc_u32 v92, 29, v92 :: v_dual_bitop2_b32 v34, 7, v94 bitop3:0x40
; %bb.207:                              ;   in Loop: Header=BB218_10 Depth=1
	s_or_b32 exec_lo, exec_lo, s30
	v_lshlrev_b32_e32 v93, 24, v98
	s_delay_alu instid0(VALU_DEP_2) | instskip(NEXT) | instid1(VALU_DEP_3)
	v_lshlrev_b32_e32 v34, 20, v34
	v_lshl_add_u32 v92, v92, 23, 0x3c000000
	s_delay_alu instid0(VALU_DEP_3) | instskip(NEXT) | instid1(VALU_DEP_1)
	v_and_b32_e32 v93, 0x80000000, v93
	v_or3_b32 v34, v34, v93, v92
	s_delay_alu instid0(VALU_DEP_1)
	v_mov_b64_e32 v[92:93], v[34:35]
.LBB218_208:                            ;   in Loop: Header=BB218_10 Depth=1
	s_or_b32 exec_lo, exec_lo, s29
.LBB218_209:                            ;   in Loop: Header=BB218_10 Depth=1
	s_delay_alu instid0(SALU_CYCLE_1)
	s_or_b32 exec_lo, exec_lo, s28
.LBB218_210:                            ;   in Loop: Header=BB218_10 Depth=1
	s_delay_alu instid0(SALU_CYCLE_1) | instskip(SKIP_2) | instid1(VALU_DEP_1)
	s_or_b32 exec_lo, exec_lo, s27
	v_lshrrev_b16 v34, 8, v98
	s_mov_b32 s27, exec_lo
	v_cmpx_ne_u16_e32 0, v34
	s_cbranch_execz .LBB218_218
; %bb.211:                              ;   in Loop: Header=BB218_10 Depth=1
	v_mov_b64_e32 v[90:91], 0x8000000000000000
	s_mov_b32 s28, exec_lo
	v_cmpx_ne_u16_e32 0x80, v34
	s_cbranch_execz .LBB218_217
; %bb.212:                              ;   in Loop: Header=BB218_10 Depth=1
	v_and_b32_e32 v34, 0xffff, v34
	v_mov_b64_e32 v[90:91], 0x7f80000100000000
	s_mov_b32 s29, exec_lo
	s_delay_alu instid0(VALU_DEP_2) | instskip(NEXT) | instid1(VALU_DEP_1)
	v_and_b32_e32 v94, 0x7f, v34
	v_cmpx_ne_u32_e32 0x7f, v94
	s_cbranch_execz .LBB218_216
; %bb.213:                              ;   in Loop: Header=BB218_10 Depth=1
	v_and_b32_e32 v34, 7, v34
	v_lshrrev_b32_e32 v90, 3, v94
	s_mov_b32 s30, exec_lo
	v_cmpx_gt_u32_e32 8, v94
; %bb.214:                              ;   in Loop: Header=BB218_10 Depth=1
	s_delay_alu instid0(VALU_DEP_3) | instskip(NEXT) | instid1(VALU_DEP_1)
	v_clz_i32_u32_e32 v90, v34
	v_min_u32_e32 v90, 32, v90
	s_delay_alu instid0(VALU_DEP_1) | instskip(SKIP_1) | instid1(VALU_DEP_2)
	v_subrev_nc_u32_e32 v91, 28, v90
	v_sub_nc_u32_e32 v90, 29, v90
	v_lshlrev_b64_e32 v[94:95], v91, v[34:35]
	s_delay_alu instid0(VALU_DEP_1)
	v_and_b32_e32 v34, 7, v94
; %bb.215:                              ;   in Loop: Header=BB218_10 Depth=1
	s_or_b32 exec_lo, exec_lo, s30
	v_lshlrev_b32_e32 v91, 16, v98
	s_delay_alu instid0(VALU_DEP_2) | instskip(SKIP_1) | instid1(VALU_DEP_3)
	v_lshlrev_b32_e32 v34, 20, v34
	v_lshl_add_u32 v90, v90, 23, 0x3c000000
	v_and_b32_e32 v91, 0x80000000, v91
	s_delay_alu instid0(VALU_DEP_1)
	v_or3_b32 v91, v34, v91, v90
	v_mov_b32_e32 v90, v35
.LBB218_216:                            ;   in Loop: Header=BB218_10 Depth=1
	s_or_b32 exec_lo, exec_lo, s29
.LBB218_217:                            ;   in Loop: Header=BB218_10 Depth=1
	s_delay_alu instid0(SALU_CYCLE_1)
	s_or_b32 exec_lo, exec_lo, s28
.LBB218_218:                            ;   in Loop: Header=BB218_10 Depth=1
	s_delay_alu instid0(SALU_CYCLE_1) | instskip(SKIP_4) | instid1(VALU_DEP_3)
	s_or_b32 exec_lo, exec_lo, s27
	v_lshrrev_b32_e32 v99, 16, v98
	v_mov_b64_e32 v[94:95], 0
	v_mov_b64_e32 v[96:97], 0
	s_mov_b32 s27, exec_lo
	v_and_b32_e32 v34, 0xff, v99
	s_delay_alu instid0(VALU_DEP_1)
	v_cmpx_ne_u16_e32 0, v34
	s_cbranch_execz .LBB218_226
; %bb.219:                              ;   in Loop: Header=BB218_10 Depth=1
	v_mov_b64_e32 v[96:97], 0x80000000
	s_mov_b32 s28, exec_lo
	v_cmpx_ne_u16_e32 0x80, v34
	s_cbranch_execz .LBB218_225
; %bb.220:                              ;   in Loop: Header=BB218_10 Depth=1
	v_mov_b64_e32 v[96:97], 0x7f800001
	v_bfe_u32 v100, v98, 16, 7
	s_mov_b32 s29, exec_lo
	s_delay_alu instid0(VALU_DEP_1)
	v_cmpx_ne_u32_e32 0x7f, v100
	s_cbranch_execz .LBB218_224
; %bb.221:                              ;   in Loop: Header=BB218_10 Depth=1
	v_dual_lshrrev_b32 v96, 3, v100 :: v_dual_bitop2_b32 v34, 7, v99 bitop3:0x40
	s_mov_b32 s30, exec_lo
	v_cmpx_gt_u32_e32 8, v100
; %bb.222:                              ;   in Loop: Header=BB218_10 Depth=1
	s_delay_alu instid0(VALU_DEP_2) | instskip(NEXT) | instid1(VALU_DEP_1)
	v_clz_i32_u32_e32 v96, v34
	v_min_u32_e32 v96, 32, v96
	s_delay_alu instid0(VALU_DEP_1) | instskip(SKIP_1) | instid1(VALU_DEP_2)
	v_subrev_nc_u32_e32 v97, 28, v96
	v_sub_nc_u32_e32 v96, 29, v96
	v_lshlrev_b64_e32 v[100:101], v97, v[34:35]
	s_delay_alu instid0(VALU_DEP_1)
	v_and_b32_e32 v34, 7, v100
; %bb.223:                              ;   in Loop: Header=BB218_10 Depth=1
	s_or_b32 exec_lo, exec_lo, s30
	s_delay_alu instid0(VALU_DEP_1) | instskip(SKIP_1) | instid1(VALU_DEP_2)
	v_dual_lshlrev_b32 v97, 24, v99 :: v_dual_lshlrev_b32 v34, 20, v34
	v_lshl_add_u32 v96, v96, 23, 0x3c000000
	v_and_b32_e32 v97, 0x80000000, v97
	s_delay_alu instid0(VALU_DEP_1) | instskip(NEXT) | instid1(VALU_DEP_1)
	v_or3_b32 v34, v34, v97, v96
	v_mov_b64_e32 v[96:97], v[34:35]
.LBB218_224:                            ;   in Loop: Header=BB218_10 Depth=1
	s_or_b32 exec_lo, exec_lo, s29
.LBB218_225:                            ;   in Loop: Header=BB218_10 Depth=1
	s_delay_alu instid0(SALU_CYCLE_1)
	s_or_b32 exec_lo, exec_lo, s28
.LBB218_226:                            ;   in Loop: Header=BB218_10 Depth=1
	s_delay_alu instid0(SALU_CYCLE_1) | instskip(NEXT) | instid1(SALU_CYCLE_1)
	s_or_b32 exec_lo, exec_lo, s27
	s_mov_b32 s27, exec_lo
	v_cmpx_lt_u32_e32 0xffffff, v98
	s_cbranch_execz .LBB218_234
; %bb.227:                              ;   in Loop: Header=BB218_10 Depth=1
	v_mov_b64_e32 v[94:95], 0x8000000000000000
	v_lshrrev_b32_e32 v99, 24, v98
	s_mov_b32 s28, exec_lo
	s_delay_alu instid0(VALU_DEP_1)
	v_cmpx_ne_u32_e32 0x80, v99
	s_cbranch_execz .LBB218_233
; %bb.228:                              ;   in Loop: Header=BB218_10 Depth=1
	v_mov_b64_e32 v[94:95], 0x7f80000100000000
	v_bfe_u32 v98, v98, 24, 7
	s_mov_b32 s29, exec_lo
	s_delay_alu instid0(VALU_DEP_1)
	v_cmpx_ne_u32_e32 0x7f, v98
	s_cbranch_execz .LBB218_232
; %bb.229:                              ;   in Loop: Header=BB218_10 Depth=1
	v_dual_lshrrev_b32 v94, 3, v98 :: v_dual_bitop2_b32 v34, 7, v99 bitop3:0x40
	s_mov_b32 s30, exec_lo
	v_cmpx_gt_u32_e32 8, v98
; %bb.230:                              ;   in Loop: Header=BB218_10 Depth=1
	s_delay_alu instid0(VALU_DEP_2) | instskip(NEXT) | instid1(VALU_DEP_1)
	v_clz_i32_u32_e32 v94, v34
	v_min_u32_e32 v94, 32, v94
	s_delay_alu instid0(VALU_DEP_1) | instskip(NEXT) | instid1(VALU_DEP_1)
	v_subrev_nc_u32_e32 v95, 28, v94
	v_lshlrev_b64_e32 v[100:101], v95, v[34:35]
	s_delay_alu instid0(VALU_DEP_1)
	v_dual_sub_nc_u32 v94, 29, v94 :: v_dual_bitop2_b32 v34, 7, v100 bitop3:0x40
; %bb.231:                              ;   in Loop: Header=BB218_10 Depth=1
	s_or_b32 exec_lo, exec_lo, s30
	s_delay_alu instid0(VALU_DEP_1) | instskip(NEXT) | instid1(VALU_DEP_2)
	v_dual_lshlrev_b32 v95, 24, v99 :: v_dual_lshlrev_b32 v34, 20, v34
	v_lshl_add_u32 v94, v94, 23, 0x3c000000
	s_delay_alu instid0(VALU_DEP_2) | instskip(NEXT) | instid1(VALU_DEP_1)
	v_and_b32_e32 v95, 0x80000000, v95
	v_or3_b32 v95, v34, v95, v94
	v_mov_b32_e32 v94, v35
.LBB218_232:                            ;   in Loop: Header=BB218_10 Depth=1
	s_or_b32 exec_lo, exec_lo, s29
.LBB218_233:                            ;   in Loop: Header=BB218_10 Depth=1
	s_delay_alu instid0(SALU_CYCLE_1)
	s_or_b32 exec_lo, exec_lo, s28
.LBB218_234:                            ;   in Loop: Header=BB218_10 Depth=1
	s_delay_alu instid0(SALU_CYCLE_1)
	s_or_b32 exec_lo, exec_lo, s27
	global_load_b32 v111, v[52:53], off offset:524
	s_wait_xcnt 0x0
	v_mov_b64_e32 v[52:53], 0
	v_mov_b64_e32 v[98:99], 0
	s_mov_b32 s27, exec_lo
	s_wait_loadcnt 0x0
	v_and_b32_e32 v34, 0xff, v111
	s_delay_alu instid0(VALU_DEP_1)
	v_cmpx_ne_u16_e32 0, v34
	s_cbranch_execz .LBB218_242
; %bb.235:                              ;   in Loop: Header=BB218_10 Depth=1
	v_mov_b64_e32 v[98:99], 0x80000000
	s_mov_b32 s28, exec_lo
	v_cmpx_ne_u16_e32 0x80, v34
	s_cbranch_execz .LBB218_241
; %bb.236:                              ;   in Loop: Header=BB218_10 Depth=1
	v_mov_b64_e32 v[98:99], 0x7f800001
	v_and_b32_e32 v100, 0x7f, v111
	s_mov_b32 s29, exec_lo
	s_delay_alu instid0(VALU_DEP_1)
	v_cmpx_ne_u32_e32 0x7f, v100
	s_cbranch_execz .LBB218_240
; %bb.237:                              ;   in Loop: Header=BB218_10 Depth=1
	v_dual_lshrrev_b32 v98, 3, v100 :: v_dual_bitop2_b32 v34, 7, v111 bitop3:0x40
	s_mov_b32 s30, exec_lo
	v_cmpx_gt_u32_e32 8, v100
; %bb.238:                              ;   in Loop: Header=BB218_10 Depth=1
	s_delay_alu instid0(VALU_DEP_2) | instskip(NEXT) | instid1(VALU_DEP_1)
	v_clz_i32_u32_e32 v98, v34
	v_min_u32_e32 v98, 32, v98
	s_delay_alu instid0(VALU_DEP_1) | instskip(NEXT) | instid1(VALU_DEP_1)
	v_subrev_nc_u32_e32 v99, 28, v98
	v_lshlrev_b64_e32 v[100:101], v99, v[34:35]
	s_delay_alu instid0(VALU_DEP_1)
	v_dual_sub_nc_u32 v98, 29, v98 :: v_dual_bitop2_b32 v34, 7, v100 bitop3:0x40
; %bb.239:                              ;   in Loop: Header=BB218_10 Depth=1
	s_or_b32 exec_lo, exec_lo, s30
	s_delay_alu instid0(VALU_DEP_1) | instskip(NEXT) | instid1(VALU_DEP_2)
	v_dual_lshlrev_b32 v99, 24, v111 :: v_dual_lshlrev_b32 v34, 20, v34
	v_lshl_add_u32 v98, v98, 23, 0x3c000000
	s_delay_alu instid0(VALU_DEP_2) | instskip(NEXT) | instid1(VALU_DEP_1)
	v_and_b32_e32 v99, 0x80000000, v99
	v_or3_b32 v34, v34, v99, v98
	s_delay_alu instid0(VALU_DEP_1)
	v_mov_b64_e32 v[98:99], v[34:35]
.LBB218_240:                            ;   in Loop: Header=BB218_10 Depth=1
	s_or_b32 exec_lo, exec_lo, s29
.LBB218_241:                            ;   in Loop: Header=BB218_10 Depth=1
	s_delay_alu instid0(SALU_CYCLE_1)
	s_or_b32 exec_lo, exec_lo, s28
.LBB218_242:                            ;   in Loop: Header=BB218_10 Depth=1
	s_delay_alu instid0(SALU_CYCLE_1) | instskip(SKIP_2) | instid1(VALU_DEP_1)
	s_or_b32 exec_lo, exec_lo, s27
	v_lshrrev_b16 v34, 8, v111
	s_mov_b32 s27, exec_lo
	v_cmpx_ne_u16_e32 0, v34
	s_cbranch_execz .LBB218_250
; %bb.243:                              ;   in Loop: Header=BB218_10 Depth=1
	v_mov_b64_e32 v[52:53], 0x8000000000000000
	s_mov_b32 s28, exec_lo
	v_cmpx_ne_u16_e32 0x80, v34
	s_cbranch_execz .LBB218_249
; %bb.244:                              ;   in Loop: Header=BB218_10 Depth=1
	v_and_b32_e32 v34, 0xffff, v34
	v_mov_b64_e32 v[52:53], 0x7f80000100000000
	s_mov_b32 s29, exec_lo
	s_delay_alu instid0(VALU_DEP_2) | instskip(NEXT) | instid1(VALU_DEP_1)
	v_and_b32_e32 v100, 0x7f, v34
	v_cmpx_ne_u32_e32 0x7f, v100
	s_cbranch_execz .LBB218_248
; %bb.245:                              ;   in Loop: Header=BB218_10 Depth=1
	v_dual_lshrrev_b32 v52, 3, v100 :: v_dual_bitop2_b32 v34, 7, v34 bitop3:0x40
	s_mov_b32 s30, exec_lo
	v_cmpx_gt_u32_e32 8, v100
; %bb.246:                              ;   in Loop: Header=BB218_10 Depth=1
	s_delay_alu instid0(VALU_DEP_2) | instskip(NEXT) | instid1(VALU_DEP_1)
	v_clz_i32_u32_e32 v52, v34
	v_min_u32_e32 v52, 32, v52
	s_delay_alu instid0(VALU_DEP_1) | instskip(SKIP_1) | instid1(VALU_DEP_2)
	v_subrev_nc_u32_e32 v53, 28, v52
	v_sub_nc_u32_e32 v52, 29, v52
	v_lshlrev_b64_e32 v[100:101], v53, v[34:35]
	s_delay_alu instid0(VALU_DEP_1)
	v_and_b32_e32 v34, 7, v100
; %bb.247:                              ;   in Loop: Header=BB218_10 Depth=1
	s_or_b32 exec_lo, exec_lo, s30
	s_delay_alu instid0(VALU_DEP_1) | instskip(SKIP_1) | instid1(VALU_DEP_2)
	v_dual_lshlrev_b32 v53, 16, v111 :: v_dual_lshlrev_b32 v34, 20, v34
	v_lshl_add_u32 v52, v52, 23, 0x3c000000
	v_and_b32_e32 v53, 0x80000000, v53
	s_delay_alu instid0(VALU_DEP_1)
	v_or3_b32 v53, v34, v53, v52
	v_mov_b32_e32 v52, v35
.LBB218_248:                            ;   in Loop: Header=BB218_10 Depth=1
	s_or_b32 exec_lo, exec_lo, s29
.LBB218_249:                            ;   in Loop: Header=BB218_10 Depth=1
	s_delay_alu instid0(SALU_CYCLE_1)
	s_or_b32 exec_lo, exec_lo, s28
.LBB218_250:                            ;   in Loop: Header=BB218_10 Depth=1
	s_delay_alu instid0(SALU_CYCLE_1) | instskip(SKIP_4) | instid1(VALU_DEP_3)
	s_or_b32 exec_lo, exec_lo, s27
	v_lshrrev_b32_e32 v112, 16, v111
	v_mov_b64_e32 v[100:101], 0
	v_mov_b64_e32 v[102:103], 0
	s_mov_b32 s27, exec_lo
	v_and_b32_e32 v34, 0xff, v112
	s_delay_alu instid0(VALU_DEP_1)
	v_cmpx_ne_u16_e32 0, v34
	s_cbranch_execz .LBB218_258
; %bb.251:                              ;   in Loop: Header=BB218_10 Depth=1
	v_mov_b64_e32 v[102:103], 0x80000000
	s_mov_b32 s28, exec_lo
	v_cmpx_ne_u16_e32 0x80, v34
	s_cbranch_execz .LBB218_257
; %bb.252:                              ;   in Loop: Header=BB218_10 Depth=1
	v_mov_b64_e32 v[102:103], 0x7f800001
	v_bfe_u32 v113, v111, 16, 7
	s_mov_b32 s29, exec_lo
	s_delay_alu instid0(VALU_DEP_1)
	v_cmpx_ne_u32_e32 0x7f, v113
	s_cbranch_execz .LBB218_256
; %bb.253:                              ;   in Loop: Header=BB218_10 Depth=1
	v_dual_lshrrev_b32 v102, 3, v113 :: v_dual_bitop2_b32 v34, 7, v112 bitop3:0x40
	s_mov_b32 s30, exec_lo
	v_cmpx_gt_u32_e32 8, v113
; %bb.254:                              ;   in Loop: Header=BB218_10 Depth=1
	s_delay_alu instid0(VALU_DEP_2) | instskip(NEXT) | instid1(VALU_DEP_1)
	v_clz_i32_u32_e32 v102, v34
	v_min_u32_e32 v102, 32, v102
	s_delay_alu instid0(VALU_DEP_1) | instskip(SKIP_1) | instid1(VALU_DEP_2)
	v_subrev_nc_u32_e32 v103, 28, v102
	v_sub_nc_u32_e32 v102, 29, v102
	v_lshlrev_b64_e32 v[114:115], v103, v[34:35]
	s_delay_alu instid0(VALU_DEP_1)
	v_and_b32_e32 v34, 7, v114
; %bb.255:                              ;   in Loop: Header=BB218_10 Depth=1
	s_or_b32 exec_lo, exec_lo, s30
	s_delay_alu instid0(VALU_DEP_1) | instskip(SKIP_1) | instid1(VALU_DEP_2)
	v_dual_lshlrev_b32 v103, 24, v112 :: v_dual_lshlrev_b32 v34, 20, v34
	v_lshl_add_u32 v102, v102, 23, 0x3c000000
	v_and_b32_e32 v103, 0x80000000, v103
	s_delay_alu instid0(VALU_DEP_1) | instskip(NEXT) | instid1(VALU_DEP_1)
	v_or3_b32 v34, v34, v103, v102
	v_mov_b64_e32 v[102:103], v[34:35]
.LBB218_256:                            ;   in Loop: Header=BB218_10 Depth=1
	s_or_b32 exec_lo, exec_lo, s29
.LBB218_257:                            ;   in Loop: Header=BB218_10 Depth=1
	s_delay_alu instid0(SALU_CYCLE_1)
	s_or_b32 exec_lo, exec_lo, s28
.LBB218_258:                            ;   in Loop: Header=BB218_10 Depth=1
	s_delay_alu instid0(SALU_CYCLE_1) | instskip(NEXT) | instid1(SALU_CYCLE_1)
	s_or_b32 exec_lo, exec_lo, s27
	s_mov_b32 s27, exec_lo
	v_cmpx_lt_u32_e32 0xffffff, v111
	s_cbranch_execz .LBB218_9
; %bb.259:                              ;   in Loop: Header=BB218_10 Depth=1
	v_mov_b64_e32 v[100:101], 0x8000000000000000
	v_lshrrev_b32_e32 v112, 24, v111
	s_mov_b32 s28, exec_lo
	s_delay_alu instid0(VALU_DEP_1)
	v_cmpx_ne_u32_e32 0x80, v112
	s_cbranch_execz .LBB218_8
; %bb.260:                              ;   in Loop: Header=BB218_10 Depth=1
	v_mov_b64_e32 v[100:101], 0x7f80000100000000
	v_bfe_u32 v111, v111, 24, 7
	s_mov_b32 s29, exec_lo
	s_delay_alu instid0(VALU_DEP_1)
	v_cmpx_ne_u32_e32 0x7f, v111
	s_cbranch_execz .LBB218_7
; %bb.261:                              ;   in Loop: Header=BB218_10 Depth=1
	v_dual_lshrrev_b32 v100, 3, v111 :: v_dual_bitop2_b32 v34, 7, v112 bitop3:0x40
	s_mov_b32 s30, exec_lo
	v_cmpx_gt_u32_e32 8, v111
	s_cbranch_execz .LBB218_6
; %bb.262:                              ;   in Loop: Header=BB218_10 Depth=1
	s_delay_alu instid0(VALU_DEP_2) | instskip(NEXT) | instid1(VALU_DEP_1)
	v_clz_i32_u32_e32 v100, v34
	v_min_u32_e32 v100, 32, v100
	s_delay_alu instid0(VALU_DEP_1) | instskip(NEXT) | instid1(VALU_DEP_1)
	v_subrev_nc_u32_e32 v101, 28, v100
	v_lshlrev_b64_e32 v[114:115], v101, v[34:35]
	s_delay_alu instid0(VALU_DEP_1)
	v_dual_sub_nc_u32 v100, 29, v100 :: v_dual_bitop2_b32 v34, 7, v114 bitop3:0x40
	s_branch .LBB218_6
.LBB218_263:
	s_or_b32 exec_lo, exec_lo, s11
.LBB218_264:
	s_delay_alu instid0(SALU_CYCLE_1) | instskip(SKIP_4) | instid1(VALU_DEP_1)
	s_or_b32 exec_lo, exec_lo, s24
	v_mbcnt_lo_u32_b32 v4, -1, 0
	s_clause 0x1
	s_load_b64 s[4:5], s[0:1], 0x0
	s_load_b64 s[18:19], s[0:1], 0x18
	v_dual_max_num_f32 v6, v107, v107 :: v_dual_bitop2_b32 v2, 16, v4 bitop3:0x14
	v_xor_b32_e32 v5, 8, v4
	s_delay_alu instid0(VALU_DEP_2) | instskip(SKIP_1) | instid1(VALU_DEP_3)
	v_cmp_gt_i32_e32 vcc_lo, 32, v2
	v_cndmask_b32_e32 v2, v4, v2, vcc_lo
	v_cmp_gt_i32_e32 vcc_lo, 32, v5
	s_delay_alu instid0(VALU_DEP_2) | instskip(SKIP_3) | instid1(VALU_DEP_1)
	v_dual_cndmask_b32 v5, v4, v5 :: v_dual_lshlrev_b32 v2, 2, v2
	ds_bpermute_b32 v3, v2, v107
	s_wait_dscnt 0x0
	v_dual_max_num_f32 v7, v3, v3 :: v_dual_lshlrev_b32 v3, 2, v5
	v_dual_max_num_f32 v5, v6, v7 :: v_dual_bitop2_b32 v7, 4, v4 bitop3:0x14
	ds_bpermute_b32 v6, v3, v5
	v_cmp_gt_i32_e32 vcc_lo, 32, v7
	s_wait_dscnt 0x0
	v_dual_cndmask_b32 v7, v4, v7 :: v_dual_max_num_f32 v6, v6, v6
	s_delay_alu instid0(VALU_DEP_1) | instskip(SKIP_3) | instid1(VALU_DEP_1)
	v_dual_max_num_f32 v5, v5, v6 :: v_dual_lshlrev_b32 v58, 2, v7
	ds_bpermute_b32 v6, v58, v5
	s_wait_dscnt 0x0
	v_dual_max_num_f32 v6, v6, v6 :: v_dual_bitop2_b32 v7, 2, v4 bitop3:0x14
	v_cmp_gt_i32_e32 vcc_lo, 32, v7
	s_delay_alu instid0(VALU_DEP_2) | instskip(NEXT) | instid1(VALU_DEP_1)
	v_dual_max_num_f32 v5, v5, v6 :: v_dual_cndmask_b32 v7, v4, v7, vcc_lo
	v_dual_lshlrev_b32 v57, 2, v7 :: v_dual_bitop2_b32 v7, 1, v4 bitop3:0x14
	ds_bpermute_b32 v6, v57, v5
	v_cmp_gt_i32_e32 vcc_lo, 32, v7
	v_cndmask_b32_e32 v4, v4, v7, vcc_lo
	v_cmp_eq_u32_e32 vcc_lo, 0, v104
	s_delay_alu instid0(VALU_DEP_2) | instskip(SKIP_2) | instid1(VALU_DEP_1)
	v_dual_lshlrev_b32 v56, 2, v4 :: v_dual_lshlrev_b32 v4, 2, v1
	s_wait_dscnt 0x0
	v_max_num_f32_e32 v6, v6, v6
	v_max_num_f32_e32 v5, v5, v6
	ds_bpermute_b32 v6, v56, v5
	s_wait_xcnt 0x0
	s_and_saveexec_b32 s0, vcc_lo
	s_cbranch_execz .LBB218_266
; %bb.265:
	s_wait_dscnt 0x0
	v_dual_max_num_f32 v6, v6, v6 :: v_dual_max_num_f32 v5, v5, v5
	s_delay_alu instid0(VALU_DEP_1)
	v_max_num_f32_e32 v5, v5, v6
	ds_store_b32 v4, v5 offset:128
.LBB218_266:
	s_or_b32 exec_lo, exec_lo, s0
	v_cmp_gt_u32_e64 s0, 4, v104
	v_mov_b32_e32 v5, 0xff7fffff
	s_wait_dscnt 0x0
	s_barrier_signal -1
	s_barrier_wait -1
	s_and_saveexec_b32 s1, s0
; %bb.267:
	ds_load_b32 v5, v106 offset:128
; %bb.268:
	s_or_b32 exec_lo, exec_lo, s1
	s_wait_dscnt 0x0
	ds_bpermute_b32 v6, v57, v5
	v_max_num_f32_e32 v5, v5, v5
	s_lshl_b32 s1, s13, 5
	s_delay_alu instid0(SALU_CYCLE_1) | instskip(NEXT) | instid1(SALU_CYCLE_1)
	s_min_i32 s11, s1, s23
	v_cmp_gt_i32_e64 s1, s11, v0
	s_wait_dscnt 0x0
	v_max_num_f32_e32 v6, v6, v6
	s_delay_alu instid0(VALU_DEP_1) | instskip(SKIP_3) | instid1(VALU_DEP_1)
	v_max_num_f32_e32 v5, v5, v6
	ds_bpermute_b32 v6, v56, v5
	s_wait_dscnt 0x0
	v_max_num_f32_e32 v6, v6, v6
	v_dual_max_num_f32 v6, v5, v6 :: v_dual_mov_b32 v5, 0
	ds_bpermute_b32 v6, v5, v6
	s_and_saveexec_b32 s24, s1
	s_cbranch_execz .LBB218_272
; %bb.269:
	v_lshl_add_u32 v7, v0, 2, 0xa0
	v_dual_mov_b32 v5, 0 :: v_dual_mov_b32 v8, v0
	s_mov_b32 s25, 0
.LBB218_270:                            ; =>This Inner Loop Header: Depth=1
	ds_load_b32 v9, v7
	v_add_nc_u32_e32 v8, 0x80, v8
	s_delay_alu instid0(VALU_DEP_1) | instskip(SKIP_3) | instid1(VALU_DEP_1)
	v_cmp_le_i32_e64 s3, s11, v8
	s_or_b32 s25, s3, s25
	s_wait_dscnt 0x0
	v_sub_f32_e32 v9, v9, v6
	v_mul_f32_e32 v9, 0x3fb8aa3b, v9
	s_delay_alu instid0(VALU_DEP_1)
	v_exp_f32_e32 v9, v9
	ds_store_b32 v7, v9
	v_nop
	v_add_f32_e32 v5, v5, v9
	v_add_nc_u32_e32 v7, 0x200, v7
	s_and_not1_b32 exec_lo, exec_lo, s25
	s_cbranch_execnz .LBB218_270
; %bb.271:
	s_or_b32 exec_lo, exec_lo, s25
.LBB218_272:
	s_delay_alu instid0(SALU_CYCLE_1)
	s_or_b32 exec_lo, exec_lo, s24
	ds_bpermute_b32 v2, v2, v5
	s_wait_dscnt 0x0
	v_add_f32_e32 v2, v5, v2
	ds_bpermute_b32 v3, v3, v2
	s_wait_dscnt 0x0
	v_add_f32_e32 v2, v2, v3
	;; [unrolled: 3-line block ×5, first 2 shown]
	s_and_saveexec_b32 s3, vcc_lo
; %bb.273:
	ds_store_b32 v4, v2 offset:144
; %bb.274:
	s_or_b32 exec_lo, exec_lo, s3
	s_wait_dscnt 0x0
	s_barrier_signal -1
	s_barrier_wait -1
	s_and_saveexec_b32 s3, s0
; %bb.275:
	ds_load_b32 v2, v106 offset:144
; %bb.276:
	s_or_b32 exec_lo, exec_lo, s3
	s_wait_dscnt 0x0
	ds_bpermute_b32 v3, v57, v2
	s_wait_dscnt 0x0
	v_dual_mov_b32 v7, 0 :: v_dual_add_f32 v2, v2, v3
	ds_bpermute_b32 v3, v56, v2
	s_wait_dscnt 0x0
	v_add_f32_e32 v2, v2, v3
	ds_bpermute_b32 v2, v7, v2
	s_and_saveexec_b32 s0, s1
	s_cbranch_execz .LBB218_289
; %bb.277:
	s_wait_dscnt 0x0
	v_add_f32_e32 v2, 0x358637bd, v2
	s_mov_b32 s3, -1
	s_mov_b32 s1, exec_lo
	s_delay_alu instid0(VALU_DEP_1) | instskip(NEXT) | instid1(VALU_DEP_1)
	v_div_scale_f32 v3, null, v2, v2, 1.0
	v_rcp_f32_e32 v5, v3
	v_nop
	s_delay_alu instid0(TRANS32_DEP_1) | instskip(NEXT) | instid1(VALU_DEP_1)
	v_fma_f32 v4, -v3, v5, 1.0
	v_fmac_f32_e32 v5, v4, v5
	v_div_scale_f32 v6, vcc_lo, 1.0, v2, 1.0
	s_delay_alu instid0(VALU_DEP_1) | instskip(NEXT) | instid1(VALU_DEP_1)
	v_mul_f32_e32 v8, v6, v5
	v_fma_f32 v4, -v3, v8, v6
	s_delay_alu instid0(VALU_DEP_1) | instskip(SKIP_1) | instid1(VALU_DEP_2)
	v_fmac_f32_e32 v8, v4, v5
	v_xad_u32 v4, v0, -1, s11
	v_fma_f32 v3, -v3, v8, v6
	s_delay_alu instid0(VALU_DEP_1) | instskip(NEXT) | instid1(VALU_DEP_1)
	v_div_fmas_f32 v3, v3, v5, v8
	v_div_fixup_f32 v2, v3, v2, 1.0
	v_mov_b32_e32 v3, v0
	v_cmpx_lt_u32_e32 0x7f, v4
	s_cbranch_execz .LBB218_286
; %bb.278:
	s_delay_alu instid0(VALU_DEP_3) | instskip(NEXT) | instid1(VALU_DEP_1)
	v_dual_mov_b32 v3, v2 :: v_dual_lshrrev_b32 v4, 7, v4
	v_dual_mov_b32 v9, 0 :: v_dual_add_nc_u32 v5, -1, v4
	s_delay_alu instid0(VALU_DEP_1) | instskip(SKIP_1) | instid1(VALU_DEP_2)
	v_lshrrev_b32_e32 v6, 1, v5
	v_cmp_lt_u32_e32 vcc_lo, 13, v5
	v_add_nc_u32_e32 v5, 1, v6
	s_and_saveexec_b32 s3, vcc_lo
	s_cbranch_execz .LBB218_282
; %bb.279:
	s_delay_alu instid0(VALU_DEP_1)
	v_and_b32_e32 v6, -8, v5
	v_lshl_add_u32 v8, v0, 2, 0xa0
	s_mov_b32 s24, 0
	s_mov_b32 s25, 0
.LBB218_280:                            ; =>This Inner Loop Header: Depth=1
	ds_load_2addr_stride64_b32 v[10:11], v8 offset1:2
	ds_load_2addr_stride64_b32 v[12:13], v8 offset0:4 offset1:6
	ds_load_2addr_stride64_b32 v[14:15], v8 offset0:8 offset1:10
	;; [unrolled: 1-line block ×7, first 2 shown]
	s_add_co_i32 s25, s25, 16
	s_delay_alu instid0(SALU_CYCLE_1) | instskip(NEXT) | instid1(VALU_DEP_1)
	v_dual_mov_b32 v9, s25 :: v_dual_add_nc_u32 v6, -8, v6
	v_cmp_eq_u32_e32 vcc_lo, 0, v6
	s_or_b32 s24, vcc_lo, s24
	s_wait_dscnt 0x7
	v_pk_mul_f32 v[10:11], v[2:3], v[10:11]
	s_wait_dscnt 0x6
	v_pk_mul_f32 v[12:13], v[2:3], v[12:13]
	;; [unrolled: 2-line block ×8, first 2 shown]
	ds_store_2addr_stride64_b32 v8, v10, v11 offset1:2
	ds_store_2addr_stride64_b32 v8, v12, v13 offset0:4 offset1:6
	ds_store_2addr_stride64_b32 v8, v14, v15 offset0:8 offset1:10
	;; [unrolled: 1-line block ×7, first 2 shown]
	v_add_nc_u32_e32 v8, 0x2000, v8
	s_and_not1_b32 exec_lo, exec_lo, s24
	s_cbranch_execnz .LBB218_280
; %bb.281:
	s_or_b32 exec_lo, exec_lo, s24
.LBB218_282:
	s_delay_alu instid0(SALU_CYCLE_1) | instskip(NEXT) | instid1(VALU_DEP_1)
	s_or_b32 exec_lo, exec_lo, s3
	v_and_b32_e32 v5, 7, v5
	s_mov_b32 s24, 0
	s_mov_b32 s3, exec_lo
	s_delay_alu instid0(VALU_DEP_1)
	v_cmpx_ne_u32_e32 0, v5
	s_cbranch_execz .LBB218_285
; %bb.283:
	v_dual_lshlrev_b32 v6, 9, v9 :: v_dual_lshlrev_b32 v8, 2, v0
	s_delay_alu instid0(VALU_DEP_1)
	v_add3_u32 v6, v6, v8, 0xa0
.LBB218_284:                            ; =>This Inner Loop Header: Depth=1
	ds_load_2addr_stride64_b32 v[8:9], v6 offset1:2
	v_add_nc_u32_e32 v5, -1, v5
	s_delay_alu instid0(VALU_DEP_1)
	v_cmp_eq_u32_e32 vcc_lo, 0, v5
	s_or_b32 s24, vcc_lo, s24
	s_wait_dscnt 0x0
	v_pk_mul_f32 v[8:9], v[2:3], v[8:9]
	ds_store_2addr_stride64_b32 v6, v8, v9 offset1:2
	v_add_nc_u32_e32 v6, 0x400, v6
	s_and_not1_b32 exec_lo, exec_lo, s24
	s_cbranch_execnz .LBB218_284
.LBB218_285:
	s_or_b32 exec_lo, exec_lo, s3
	v_add_nc_u32_e32 v3, 1, v4
	s_delay_alu instid0(VALU_DEP_1) | instskip(NEXT) | instid1(VALU_DEP_1)
	v_and_b32_e32 v4, 0x3fffffe, v3
	v_cmp_ne_u32_e32 vcc_lo, v3, v4
	v_lshl_add_u32 v3, v4, 7, v0
	s_or_not1_b32 s3, vcc_lo, exec_lo
.LBB218_286:
	s_or_b32 exec_lo, exec_lo, s1
	s_delay_alu instid0(SALU_CYCLE_1)
	s_and_b32 exec_lo, exec_lo, s3
	s_cbranch_execz .LBB218_289
; %bb.287:
	v_lshl_add_u32 v4, v3, 2, 0xa0
	s_mov_b32 s1, 0
.LBB218_288:                            ; =>This Inner Loop Header: Depth=1
	ds_load_b32 v5, v4
	v_add_nc_u32_e32 v3, 0x80, v3
	s_delay_alu instid0(VALU_DEP_1)
	v_cmp_le_i32_e32 vcc_lo, s11, v3
	s_or_b32 s1, vcc_lo, s1
	s_wait_dscnt 0x0
	v_mul_f32_e32 v5, v2, v5
	ds_store_b32 v4, v5
	v_add_nc_u32_e32 v4, 0x200, v4
	s_and_not1_b32 exec_lo, exec_lo, s1
	s_cbranch_execnz .LBB218_288
.LBB218_289:
	s_or_b32 exec_lo, exec_lo, s0
	v_dual_mov_b32 v6, 0 :: v_dual_bitop2_b32 v59, 7, v0 bitop3:0x40
	v_dual_mov_b32 v9, 0 :: v_dual_mov_b32 v8, 0
	v_dual_mov_b32 v11, 0 :: v_dual_mov_b32 v10, 0
	v_dual_mov_b32 v13, 0 :: v_dual_mov_b32 v12, 0
	s_wait_dscnt 0x0
	s_barrier_signal -1
	s_barrier_wait -1
	s_and_saveexec_b32 s1, s2
	s_cbranch_execz .LBB218_565
; %bb.290:
	s_load_b32 s2, s[6:7], 0x0
	v_dual_mov_b32 v15, 0 :: v_dual_lshlrev_b32 v2, 2, v0
	s_ashr_i32 s11, s10, 31
	v_dual_lshlrev_b32 v3, 4, v59 :: v_dual_mov_b32 v7, 0
	s_delay_alu instid0(VALU_DEP_2)
	v_and_b32_e32 v14, 0x7c, v2
	s_wait_kmcnt 0x0
	s_add_nc_u64 s[10:11], s[18:19], s[10:11]
	s_lshl_b64 s[16:17], s[16:17], 2
	v_dual_mov_b32 v6, 0 :: v_dual_bitop2_b32 v2, 28, v2 bitop3:0x40
	v_add_nc_u64_e32 v[16:17], s[10:11], v[14:15]
	v_and_b32_e32 v14, 0x7c, v105
	v_lshl_or_b32 v3, v1, 7, v3
	s_add_nc_u64 s[10:11], s[14:15], s[16:17]
	v_dual_mov_b32 v9, 0 :: v_dual_mov_b32 v8, 0
	s_delay_alu instid0(VALU_DEP_3)
	v_add_nc_u64_e32 v[18:19], s[10:11], v[14:15]
	v_lshl_or_b32 v60, v1, 5, v2
	v_dual_mov_b32 v10, 0 :: v_dual_add_nc_u32 v61, 0xa0, v3
	v_dual_mov_b32 v11, 0 :: v_dual_mov_b32 v13, 0
	v_dual_mov_b32 v12, 0 :: v_dual_mov_b32 v62, v1
	s_mov_b32 s6, s9
	s_mov_b32 s3, s2
	s_add_co_i32 s7, s13, -1
	s_mov_b32 s10, s23
	s_mov_b32 s9, 0
	s_branch .LBB218_292
.LBB218_291:                            ;   in Loop: Header=BB218_292 Depth=1
	s_or_b32 exec_lo, exec_lo, s0
	s_wait_dscnt 0x0
	v_mul_f32_e32 v44, v2, v44
	v_mul_f32_e32 v14, v2, v48
	v_add_nc_u64_e32 v[18:19], 16, v[18:19]
	v_dual_mul_f32 v28, v2, v28 :: v_dual_mul_f32 v22, v2, v22
	s_delay_alu instid0(VALU_DEP_4) | instskip(NEXT) | instid1(VALU_DEP_4)
	v_fmac_f32_e32 v44, v3, v45
	v_dual_fmac_f32 v14, v3, v49 :: v_dual_mul_f32 v40, v2, v40
	s_delay_alu instid0(VALU_DEP_3) | instskip(NEXT) | instid1(VALU_DEP_4)
	v_dual_mul_f32 v32, v2, v32 :: v_dual_fmac_f32 v28, v3, v29
	v_fmac_f32_e32 v22, v3, v23
	s_delay_alu instid0(VALU_DEP_3) | instskip(SKIP_1) | instid1(VALU_DEP_2)
	v_dual_fmac_f32 v14, v4, v46 :: v_dual_fmac_f32 v40, v3, v41
	v_dual_mul_f32 v41, v2, v36 :: v_dual_fmac_f32 v44, v4, v42
	v_dual_fmac_f32 v32, v3, v33 :: v_dual_fmac_f32 v14, v5, v47
	s_delay_alu instid0(VALU_DEP_2) | instskip(NEXT) | instid1(VALU_DEP_3)
	v_dual_fmac_f32 v40, v4, v38 :: v_dual_fmac_f32 v41, v3, v37
	v_fmac_f32_e32 v44, v5, v43
	v_pk_mul_f32 v[36:37], v[2:3], v[50:51]
	s_delay_alu instid0(VALU_DEP_3) | instskip(NEXT) | instid1(VALU_DEP_4)
	v_dual_add_f32 v6, v6, v14 :: v_dual_fmac_f32 v40, v5, v39
	v_fmac_f32_e32 v41, v4, v34
	v_pk_mul_f32 v[2:3], v[4:5], v[24:25]
	s_delay_alu instid0(VALU_DEP_4) | instskip(NEXT) | instid1(VALU_DEP_3)
	v_dual_add_f32 v14, v37, v36 :: v_dual_fmac_f32 v32, v4, v30
	v_dual_add_f32 v8, v8, v40 :: v_dual_fmac_f32 v41, v5, v35
	v_dual_fmac_f32 v28, v4, v26 :: v_dual_fmac_f32 v22, v4, v20
	s_delay_alu instid0(VALU_DEP_3) | instskip(NEXT) | instid1(VALU_DEP_3)
	v_dual_add_f32 v2, v2, v14 :: v_dual_add_f32 v9, v9, v44
	v_dual_add_f32 v11, v11, v41 :: v_dual_fmac_f32 v32, v5, v31
	s_delay_alu instid0(VALU_DEP_3) | instskip(SKIP_1) | instid1(VALU_DEP_3)
	v_dual_fmac_f32 v28, v5, v27 :: v_dual_fmac_f32 v22, v5, v21
	v_add_nc_u32_e32 v62, 4, v62
	v_dual_add_f32 v2, v3, v2 :: v_dual_add_f32 v10, v10, v32
	s_delay_alu instid0(VALU_DEP_3) | instskip(SKIP_1) | instid1(VALU_DEP_4)
	v_dual_add_f32 v13, v13, v28 :: v_dual_add_f32 v12, v12, v22
	v_add_nc_u32_e32 v61, 0x200, v61
	v_cmp_le_i32_e32 vcc_lo, s13, v62
	s_delay_alu instid0(VALU_DEP_4) | instskip(SKIP_1) | instid1(SALU_CYCLE_1)
	v_dual_add_f32 v7, v7, v2 :: v_dual_add_nc_u32 v60, 0x80, v60
	s_or_b32 s9, vcc_lo, s9
	s_and_not1_b32 exec_lo, exec_lo, s9
	s_cbranch_execz .LBB218_564
.LBB218_292:                            ; =>This Inner Loop Header: Depth=1
	global_load_b32 v2, v[18:19], off
	v_mov_b64_e32 v[20:21], 0
	v_mov_b64_e32 v[22:23], 0
	s_mov_b32 s0, exec_lo
	s_wait_loadcnt 0x0
	v_mad_nc_i64_i32 v[24:25], v2, s6, v[16:17]
	ds_load_b128 v[2:5], v61
	global_load_b32 v30, v[24:25], off
	s_wait_loadcnt 0x0
	v_and_b32_e32 v14, 0xff, v30
	s_delay_alu instid0(VALU_DEP_1)
	v_cmpx_ne_u16_e32 0, v14
	s_cbranch_execz .LBB218_300
; %bb.293:                              ;   in Loop: Header=BB218_292 Depth=1
	v_mov_b64_e32 v[22:23], 0x80000000
	s_mov_b32 s11, exec_lo
	v_cmpx_ne_u16_e32 0x80, v14
	s_cbranch_execz .LBB218_299
; %bb.294:                              ;   in Loop: Header=BB218_292 Depth=1
	v_mov_b64_e32 v[22:23], 0x7f800001
	v_and_b32_e32 v26, 0x7f, v30
	s_mov_b32 s14, exec_lo
	s_delay_alu instid0(VALU_DEP_1)
	v_cmpx_ne_u32_e32 0x7f, v26
	s_cbranch_execz .LBB218_298
; %bb.295:                              ;   in Loop: Header=BB218_292 Depth=1
	v_and_b32_e32 v14, 7, v30
	v_lshrrev_b32_e32 v22, 3, v26
	s_mov_b32 s15, exec_lo
	v_cmpx_gt_u32_e32 8, v26
; %bb.296:                              ;   in Loop: Header=BB218_292 Depth=1
	s_delay_alu instid0(VALU_DEP_3) | instskip(NEXT) | instid1(VALU_DEP_1)
	v_clz_i32_u32_e32 v22, v14
	v_min_u32_e32 v22, 32, v22
	s_delay_alu instid0(VALU_DEP_1) | instskip(SKIP_1) | instid1(VALU_DEP_2)
	v_subrev_nc_u32_e32 v23, 28, v22
	v_sub_nc_u32_e32 v22, 29, v22
	v_lshlrev_b64_e32 v[26:27], v23, v[14:15]
	s_delay_alu instid0(VALU_DEP_1)
	v_and_b32_e32 v14, 7, v26
; %bb.297:                              ;   in Loop: Header=BB218_292 Depth=1
	s_or_b32 exec_lo, exec_lo, s15
	v_lshlrev_b32_e32 v23, 24, v30
	s_delay_alu instid0(VALU_DEP_2) | instskip(SKIP_1) | instid1(VALU_DEP_3)
	v_lshlrev_b32_e32 v14, 20, v14
	v_lshl_add_u32 v22, v22, 23, 0x3c000000
	v_and_b32_e32 v23, 0x80000000, v23
	s_delay_alu instid0(VALU_DEP_1) | instskip(NEXT) | instid1(VALU_DEP_1)
	v_or3_b32 v14, v14, v23, v22
	v_mov_b64_e32 v[22:23], v[14:15]
.LBB218_298:                            ;   in Loop: Header=BB218_292 Depth=1
	s_or_b32 exec_lo, exec_lo, s14
.LBB218_299:                            ;   in Loop: Header=BB218_292 Depth=1
	s_delay_alu instid0(SALU_CYCLE_1)
	s_or_b32 exec_lo, exec_lo, s11
.LBB218_300:                            ;   in Loop: Header=BB218_292 Depth=1
	s_delay_alu instid0(SALU_CYCLE_1) | instskip(SKIP_2) | instid1(VALU_DEP_1)
	s_or_b32 exec_lo, exec_lo, s0
	v_lshrrev_b16 v14, 8, v30
	s_mov_b32 s0, exec_lo
	v_cmpx_ne_u16_e32 0, v14
	s_cbranch_execz .LBB218_308
; %bb.301:                              ;   in Loop: Header=BB218_292 Depth=1
	v_mov_b64_e32 v[20:21], 0x8000000000000000
	s_mov_b32 s11, exec_lo
	v_cmpx_ne_u16_e32 0x80, v14
	s_cbranch_execz .LBB218_307
; %bb.302:                              ;   in Loop: Header=BB218_292 Depth=1
	v_and_b32_e32 v14, 0xffff, v14
	v_mov_b64_e32 v[20:21], 0x7f80000100000000
	s_mov_b32 s14, exec_lo
	s_delay_alu instid0(VALU_DEP_2) | instskip(NEXT) | instid1(VALU_DEP_1)
	v_and_b32_e32 v26, 0x7f, v14
	v_cmpx_ne_u32_e32 0x7f, v26
	s_cbranch_execz .LBB218_306
; %bb.303:                              ;   in Loop: Header=BB218_292 Depth=1
	v_and_b32_e32 v14, 7, v14
	v_lshrrev_b32_e32 v20, 3, v26
	s_mov_b32 s15, exec_lo
	v_cmpx_gt_u32_e32 8, v26
; %bb.304:                              ;   in Loop: Header=BB218_292 Depth=1
	s_delay_alu instid0(VALU_DEP_3) | instskip(NEXT) | instid1(VALU_DEP_1)
	v_clz_i32_u32_e32 v20, v14
	v_min_u32_e32 v20, 32, v20
	s_delay_alu instid0(VALU_DEP_1) | instskip(NEXT) | instid1(VALU_DEP_1)
	v_subrev_nc_u32_e32 v21, 28, v20
	v_lshlrev_b64_e32 v[26:27], v21, v[14:15]
	s_delay_alu instid0(VALU_DEP_1)
	v_dual_sub_nc_u32 v20, 29, v20 :: v_dual_bitop2_b32 v14, 7, v26 bitop3:0x40
; %bb.305:                              ;   in Loop: Header=BB218_292 Depth=1
	s_or_b32 exec_lo, exec_lo, s15
	v_lshlrev_b32_e32 v21, 16, v30
	s_delay_alu instid0(VALU_DEP_2) | instskip(NEXT) | instid1(VALU_DEP_3)
	v_lshlrev_b32_e32 v14, 20, v14
	v_lshl_add_u32 v20, v20, 23, 0x3c000000
	s_delay_alu instid0(VALU_DEP_3) | instskip(NEXT) | instid1(VALU_DEP_1)
	v_and_b32_e32 v21, 0x80000000, v21
	v_or3_b32 v21, v14, v21, v20
	v_mov_b32_e32 v20, v15
.LBB218_306:                            ;   in Loop: Header=BB218_292 Depth=1
	s_or_b32 exec_lo, exec_lo, s14
.LBB218_307:                            ;   in Loop: Header=BB218_292 Depth=1
	s_delay_alu instid0(SALU_CYCLE_1)
	s_or_b32 exec_lo, exec_lo, s11
.LBB218_308:                            ;   in Loop: Header=BB218_292 Depth=1
	s_delay_alu instid0(SALU_CYCLE_1) | instskip(SKIP_4) | instid1(VALU_DEP_3)
	s_or_b32 exec_lo, exec_lo, s0
	v_lshrrev_b32_e32 v31, 16, v30
	v_mov_b64_e32 v[26:27], 0
	v_mov_b64_e32 v[28:29], 0
	s_mov_b32 s0, exec_lo
	v_and_b32_e32 v14, 0xff, v31
	s_delay_alu instid0(VALU_DEP_1)
	v_cmpx_ne_u16_e32 0, v14
	s_cbranch_execz .LBB218_316
; %bb.309:                              ;   in Loop: Header=BB218_292 Depth=1
	v_mov_b64_e32 v[28:29], 0x80000000
	s_mov_b32 s11, exec_lo
	v_cmpx_ne_u16_e32 0x80, v14
	s_cbranch_execz .LBB218_315
; %bb.310:                              ;   in Loop: Header=BB218_292 Depth=1
	v_mov_b64_e32 v[28:29], 0x7f800001
	v_bfe_u32 v32, v30, 16, 7
	s_mov_b32 s14, exec_lo
	s_delay_alu instid0(VALU_DEP_1)
	v_cmpx_ne_u32_e32 0x7f, v32
	s_cbranch_execz .LBB218_314
; %bb.311:                              ;   in Loop: Header=BB218_292 Depth=1
	v_dual_lshrrev_b32 v28, 3, v32 :: v_dual_bitop2_b32 v14, 7, v31 bitop3:0x40
	s_mov_b32 s15, exec_lo
	v_cmpx_gt_u32_e32 8, v32
; %bb.312:                              ;   in Loop: Header=BB218_292 Depth=1
	s_delay_alu instid0(VALU_DEP_2) | instskip(NEXT) | instid1(VALU_DEP_1)
	v_clz_i32_u32_e32 v28, v14
	v_min_u32_e32 v28, 32, v28
	s_delay_alu instid0(VALU_DEP_1) | instskip(SKIP_1) | instid1(VALU_DEP_2)
	v_subrev_nc_u32_e32 v29, 28, v28
	v_sub_nc_u32_e32 v28, 29, v28
	v_lshlrev_b64_e32 v[32:33], v29, v[14:15]
	s_delay_alu instid0(VALU_DEP_1)
	v_and_b32_e32 v14, 7, v32
; %bb.313:                              ;   in Loop: Header=BB218_292 Depth=1
	s_or_b32 exec_lo, exec_lo, s15
	s_delay_alu instid0(VALU_DEP_1) | instskip(SKIP_1) | instid1(VALU_DEP_2)
	v_dual_lshlrev_b32 v29, 24, v31 :: v_dual_lshlrev_b32 v14, 20, v14
	v_lshl_add_u32 v28, v28, 23, 0x3c000000
	v_and_b32_e32 v29, 0x80000000, v29
	s_delay_alu instid0(VALU_DEP_1) | instskip(NEXT) | instid1(VALU_DEP_1)
	v_or3_b32 v14, v14, v29, v28
	v_mov_b64_e32 v[28:29], v[14:15]
.LBB218_314:                            ;   in Loop: Header=BB218_292 Depth=1
	s_or_b32 exec_lo, exec_lo, s14
.LBB218_315:                            ;   in Loop: Header=BB218_292 Depth=1
	s_delay_alu instid0(SALU_CYCLE_1)
	s_or_b32 exec_lo, exec_lo, s11
.LBB218_316:                            ;   in Loop: Header=BB218_292 Depth=1
	s_delay_alu instid0(SALU_CYCLE_1) | instskip(NEXT) | instid1(SALU_CYCLE_1)
	s_or_b32 exec_lo, exec_lo, s0
	s_mov_b32 s0, exec_lo
	v_cmpx_lt_u32_e32 0xffffff, v30
	s_cbranch_execz .LBB218_324
; %bb.317:                              ;   in Loop: Header=BB218_292 Depth=1
	v_mov_b64_e32 v[26:27], 0x8000000000000000
	v_lshrrev_b32_e32 v31, 24, v30
	s_mov_b32 s11, exec_lo
	s_delay_alu instid0(VALU_DEP_1)
	v_cmpx_ne_u32_e32 0x80, v31
	s_cbranch_execz .LBB218_323
; %bb.318:                              ;   in Loop: Header=BB218_292 Depth=1
	v_mov_b64_e32 v[26:27], 0x7f80000100000000
	v_bfe_u32 v30, v30, 24, 7
	s_mov_b32 s14, exec_lo
	s_delay_alu instid0(VALU_DEP_1)
	v_cmpx_ne_u32_e32 0x7f, v30
	s_cbranch_execz .LBB218_322
; %bb.319:                              ;   in Loop: Header=BB218_292 Depth=1
	v_dual_lshrrev_b32 v26, 3, v30 :: v_dual_bitop2_b32 v14, 7, v31 bitop3:0x40
	s_mov_b32 s15, exec_lo
	v_cmpx_gt_u32_e32 8, v30
; %bb.320:                              ;   in Loop: Header=BB218_292 Depth=1
	s_delay_alu instid0(VALU_DEP_2) | instskip(NEXT) | instid1(VALU_DEP_1)
	v_clz_i32_u32_e32 v26, v14
	v_min_u32_e32 v26, 32, v26
	s_delay_alu instid0(VALU_DEP_1) | instskip(NEXT) | instid1(VALU_DEP_1)
	v_subrev_nc_u32_e32 v27, 28, v26
	v_lshlrev_b64_e32 v[32:33], v27, v[14:15]
	s_delay_alu instid0(VALU_DEP_1)
	v_dual_sub_nc_u32 v26, 29, v26 :: v_dual_bitop2_b32 v14, 7, v32 bitop3:0x40
; %bb.321:                              ;   in Loop: Header=BB218_292 Depth=1
	s_or_b32 exec_lo, exec_lo, s15
	s_delay_alu instid0(VALU_DEP_1) | instskip(NEXT) | instid1(VALU_DEP_2)
	v_dual_lshlrev_b32 v27, 24, v31 :: v_dual_lshlrev_b32 v14, 20, v14
	v_lshl_add_u32 v26, v26, 23, 0x3c000000
	s_delay_alu instid0(VALU_DEP_2) | instskip(NEXT) | instid1(VALU_DEP_1)
	v_and_b32_e32 v27, 0x80000000, v27
	v_or3_b32 v27, v14, v27, v26
	v_mov_b32_e32 v26, v15
.LBB218_322:                            ;   in Loop: Header=BB218_292 Depth=1
	s_or_b32 exec_lo, exec_lo, s14
.LBB218_323:                            ;   in Loop: Header=BB218_292 Depth=1
	s_delay_alu instid0(SALU_CYCLE_1)
	s_or_b32 exec_lo, exec_lo, s11
.LBB218_324:                            ;   in Loop: Header=BB218_292 Depth=1
	s_delay_alu instid0(SALU_CYCLE_1)
	s_or_b32 exec_lo, exec_lo, s0
	v_mov_b64_e32 v[30:31], s[2:3]
	v_dual_add_nc_u32 v63, 1, v60 :: v_dual_bitop2_b32 v21, v21, v23 bitop3:0x54
	v_dual_add_nc_u32 v55, 2, v60 :: v_dual_bitop2_b32 v20, v20, v22 bitop3:0x54
	;; [unrolled: 1-line block ×3, first 2 shown]
	v_or_b32_e32 v26, v26, v28
	v_cmp_eq_u32_e32 vcc_lo, s7, v62
	s_delay_alu instid0(VALU_DEP_4) | instskip(NEXT) | instid1(VALU_DEP_3)
	v_pk_mul_f32 v[22:23], v[30:31], v[20:21]
	v_pk_mul_f32 v[20:21], v[30:31], v[26:27]
	s_and_saveexec_b32 s11, vcc_lo
	s_cbranch_execz .LBB218_326
; %bb.325:                              ;   in Loop: Header=BB218_292 Depth=1
	v_cmp_gt_i32_e64 s0, s23, v60
	s_delay_alu instid0(VALU_DEP_1) | instskip(SKIP_1) | instid1(VALU_DEP_1)
	v_cndmask_b32_e64 v22, 0, v22, s0
	v_cmp_gt_i32_e64 s0, s23, v63
	v_cndmask_b32_e64 v23, 0, v23, s0
	v_cmp_gt_i32_e64 s0, s23, v55
	s_delay_alu instid0(VALU_DEP_1) | instskip(SKIP_1) | instid1(VALU_DEP_1)
	v_cndmask_b32_e64 v20, 0, v20, s0
	v_cmp_gt_i32_e64 s0, s23, v54
	v_cndmask_b32_e64 v21, 0, v21, s0
.LBB218_326:                            ;   in Loop: Header=BB218_292 Depth=1
	s_or_b32 exec_lo, exec_lo, s11
	global_load_b32 v34, v[24:25], off offset:128
	v_mov_b64_e32 v[26:27], 0
	v_mov_b64_e32 v[28:29], 0
	s_mov_b32 s11, exec_lo
	s_wait_loadcnt 0x0
	v_and_b32_e32 v14, 0xff, v34
	s_delay_alu instid0(VALU_DEP_1)
	v_cmpx_ne_u16_e32 0, v14
	s_cbranch_execz .LBB218_334
; %bb.327:                              ;   in Loop: Header=BB218_292 Depth=1
	v_mov_b64_e32 v[28:29], 0x80000000
	s_mov_b32 s14, exec_lo
	v_cmpx_ne_u16_e32 0x80, v14
	s_cbranch_execz .LBB218_333
; %bb.328:                              ;   in Loop: Header=BB218_292 Depth=1
	v_mov_b64_e32 v[28:29], 0x7f800001
	v_and_b32_e32 v30, 0x7f, v34
	s_mov_b32 s15, exec_lo
	s_delay_alu instid0(VALU_DEP_1)
	v_cmpx_ne_u32_e32 0x7f, v30
	s_cbranch_execz .LBB218_332
; %bb.329:                              ;   in Loop: Header=BB218_292 Depth=1
	v_and_b32_e32 v14, 7, v34
	v_lshrrev_b32_e32 v28, 3, v30
	s_mov_b32 s16, exec_lo
	v_cmpx_gt_u32_e32 8, v30
; %bb.330:                              ;   in Loop: Header=BB218_292 Depth=1
	s_delay_alu instid0(VALU_DEP_3) | instskip(NEXT) | instid1(VALU_DEP_1)
	v_clz_i32_u32_e32 v28, v14
	v_min_u32_e32 v28, 32, v28
	s_delay_alu instid0(VALU_DEP_1) | instskip(NEXT) | instid1(VALU_DEP_1)
	v_subrev_nc_u32_e32 v29, 28, v28
	v_lshlrev_b64_e32 v[30:31], v29, v[14:15]
	s_delay_alu instid0(VALU_DEP_1)
	v_dual_sub_nc_u32 v28, 29, v28 :: v_dual_bitop2_b32 v14, 7, v30 bitop3:0x40
; %bb.331:                              ;   in Loop: Header=BB218_292 Depth=1
	s_or_b32 exec_lo, exec_lo, s16
	v_lshlrev_b32_e32 v29, 24, v34
	s_delay_alu instid0(VALU_DEP_2) | instskip(NEXT) | instid1(VALU_DEP_3)
	v_lshlrev_b32_e32 v14, 20, v14
	v_lshl_add_u32 v28, v28, 23, 0x3c000000
	s_delay_alu instid0(VALU_DEP_3) | instskip(NEXT) | instid1(VALU_DEP_1)
	v_and_b32_e32 v29, 0x80000000, v29
	v_or3_b32 v14, v14, v29, v28
	s_delay_alu instid0(VALU_DEP_1)
	v_mov_b64_e32 v[28:29], v[14:15]
.LBB218_332:                            ;   in Loop: Header=BB218_292 Depth=1
	s_or_b32 exec_lo, exec_lo, s15
.LBB218_333:                            ;   in Loop: Header=BB218_292 Depth=1
	s_delay_alu instid0(SALU_CYCLE_1)
	s_or_b32 exec_lo, exec_lo, s14
.LBB218_334:                            ;   in Loop: Header=BB218_292 Depth=1
	s_delay_alu instid0(SALU_CYCLE_1) | instskip(SKIP_2) | instid1(VALU_DEP_1)
	s_or_b32 exec_lo, exec_lo, s11
	v_lshrrev_b16 v14, 8, v34
	s_mov_b32 s11, exec_lo
	v_cmpx_ne_u16_e32 0, v14
	s_cbranch_execz .LBB218_342
; %bb.335:                              ;   in Loop: Header=BB218_292 Depth=1
	v_mov_b64_e32 v[26:27], 0x8000000000000000
	s_mov_b32 s14, exec_lo
	v_cmpx_ne_u16_e32 0x80, v14
	s_cbranch_execz .LBB218_341
; %bb.336:                              ;   in Loop: Header=BB218_292 Depth=1
	v_and_b32_e32 v14, 0xffff, v14
	v_mov_b64_e32 v[26:27], 0x7f80000100000000
	s_mov_b32 s15, exec_lo
	s_delay_alu instid0(VALU_DEP_2) | instskip(NEXT) | instid1(VALU_DEP_1)
	v_and_b32_e32 v30, 0x7f, v14
	v_cmpx_ne_u32_e32 0x7f, v30
	s_cbranch_execz .LBB218_340
; %bb.337:                              ;   in Loop: Header=BB218_292 Depth=1
	v_and_b32_e32 v14, 7, v14
	v_lshrrev_b32_e32 v26, 3, v30
	s_mov_b32 s16, exec_lo
	v_cmpx_gt_u32_e32 8, v30
; %bb.338:                              ;   in Loop: Header=BB218_292 Depth=1
	s_delay_alu instid0(VALU_DEP_3) | instskip(NEXT) | instid1(VALU_DEP_1)
	v_clz_i32_u32_e32 v26, v14
	v_min_u32_e32 v26, 32, v26
	s_delay_alu instid0(VALU_DEP_1) | instskip(SKIP_1) | instid1(VALU_DEP_2)
	v_subrev_nc_u32_e32 v27, 28, v26
	v_sub_nc_u32_e32 v26, 29, v26
	v_lshlrev_b64_e32 v[30:31], v27, v[14:15]
	s_delay_alu instid0(VALU_DEP_1)
	v_and_b32_e32 v14, 7, v30
; %bb.339:                              ;   in Loop: Header=BB218_292 Depth=1
	s_or_b32 exec_lo, exec_lo, s16
	v_lshlrev_b32_e32 v27, 16, v34
	s_delay_alu instid0(VALU_DEP_2) | instskip(SKIP_1) | instid1(VALU_DEP_3)
	v_lshlrev_b32_e32 v14, 20, v14
	v_lshl_add_u32 v26, v26, 23, 0x3c000000
	v_and_b32_e32 v27, 0x80000000, v27
	s_delay_alu instid0(VALU_DEP_1)
	v_or3_b32 v27, v14, v27, v26
	v_mov_b32_e32 v26, v15
.LBB218_340:                            ;   in Loop: Header=BB218_292 Depth=1
	s_or_b32 exec_lo, exec_lo, s15
.LBB218_341:                            ;   in Loop: Header=BB218_292 Depth=1
	s_delay_alu instid0(SALU_CYCLE_1)
	s_or_b32 exec_lo, exec_lo, s14
.LBB218_342:                            ;   in Loop: Header=BB218_292 Depth=1
	s_delay_alu instid0(SALU_CYCLE_1) | instskip(SKIP_4) | instid1(VALU_DEP_3)
	s_or_b32 exec_lo, exec_lo, s11
	v_lshrrev_b32_e32 v35, 16, v34
	v_mov_b64_e32 v[30:31], 0
	v_mov_b64_e32 v[32:33], 0
	s_mov_b32 s11, exec_lo
	v_and_b32_e32 v14, 0xff, v35
	s_delay_alu instid0(VALU_DEP_1)
	v_cmpx_ne_u16_e32 0, v14
	s_cbranch_execz .LBB218_350
; %bb.343:                              ;   in Loop: Header=BB218_292 Depth=1
	v_mov_b64_e32 v[32:33], 0x80000000
	s_mov_b32 s14, exec_lo
	v_cmpx_ne_u16_e32 0x80, v14
	s_cbranch_execz .LBB218_349
; %bb.344:                              ;   in Loop: Header=BB218_292 Depth=1
	v_mov_b64_e32 v[32:33], 0x7f800001
	v_bfe_u32 v36, v34, 16, 7
	s_mov_b32 s15, exec_lo
	s_delay_alu instid0(VALU_DEP_1)
	v_cmpx_ne_u32_e32 0x7f, v36
	s_cbranch_execz .LBB218_348
; %bb.345:                              ;   in Loop: Header=BB218_292 Depth=1
	v_dual_lshrrev_b32 v32, 3, v36 :: v_dual_bitop2_b32 v14, 7, v35 bitop3:0x40
	s_mov_b32 s16, exec_lo
	v_cmpx_gt_u32_e32 8, v36
; %bb.346:                              ;   in Loop: Header=BB218_292 Depth=1
	s_delay_alu instid0(VALU_DEP_2) | instskip(NEXT) | instid1(VALU_DEP_1)
	v_clz_i32_u32_e32 v32, v14
	v_min_u32_e32 v32, 32, v32
	s_delay_alu instid0(VALU_DEP_1) | instskip(SKIP_1) | instid1(VALU_DEP_2)
	v_subrev_nc_u32_e32 v33, 28, v32
	v_sub_nc_u32_e32 v32, 29, v32
	v_lshlrev_b64_e32 v[36:37], v33, v[14:15]
	s_delay_alu instid0(VALU_DEP_1)
	v_and_b32_e32 v14, 7, v36
; %bb.347:                              ;   in Loop: Header=BB218_292 Depth=1
	s_or_b32 exec_lo, exec_lo, s16
	s_delay_alu instid0(VALU_DEP_1) | instskip(SKIP_1) | instid1(VALU_DEP_2)
	v_dual_lshlrev_b32 v33, 24, v35 :: v_dual_lshlrev_b32 v14, 20, v14
	v_lshl_add_u32 v32, v32, 23, 0x3c000000
	v_and_b32_e32 v33, 0x80000000, v33
	s_delay_alu instid0(VALU_DEP_1) | instskip(NEXT) | instid1(VALU_DEP_1)
	v_or3_b32 v14, v14, v33, v32
	v_mov_b64_e32 v[32:33], v[14:15]
.LBB218_348:                            ;   in Loop: Header=BB218_292 Depth=1
	s_or_b32 exec_lo, exec_lo, s15
.LBB218_349:                            ;   in Loop: Header=BB218_292 Depth=1
	s_delay_alu instid0(SALU_CYCLE_1)
	s_or_b32 exec_lo, exec_lo, s14
.LBB218_350:                            ;   in Loop: Header=BB218_292 Depth=1
	s_delay_alu instid0(SALU_CYCLE_1) | instskip(NEXT) | instid1(SALU_CYCLE_1)
	s_or_b32 exec_lo, exec_lo, s11
	s_mov_b32 s11, exec_lo
	v_cmpx_lt_u32_e32 0xffffff, v34
	s_cbranch_execz .LBB218_358
; %bb.351:                              ;   in Loop: Header=BB218_292 Depth=1
	v_mov_b64_e32 v[30:31], 0x8000000000000000
	v_lshrrev_b32_e32 v35, 24, v34
	s_mov_b32 s14, exec_lo
	s_delay_alu instid0(VALU_DEP_1)
	v_cmpx_ne_u32_e32 0x80, v35
	s_cbranch_execz .LBB218_357
; %bb.352:                              ;   in Loop: Header=BB218_292 Depth=1
	v_mov_b64_e32 v[30:31], 0x7f80000100000000
	v_bfe_u32 v34, v34, 24, 7
	s_mov_b32 s15, exec_lo
	s_delay_alu instid0(VALU_DEP_1)
	v_cmpx_ne_u32_e32 0x7f, v34
	s_cbranch_execz .LBB218_356
; %bb.353:                              ;   in Loop: Header=BB218_292 Depth=1
	v_dual_lshrrev_b32 v30, 3, v34 :: v_dual_bitop2_b32 v14, 7, v35 bitop3:0x40
	s_mov_b32 s16, exec_lo
	v_cmpx_gt_u32_e32 8, v34
; %bb.354:                              ;   in Loop: Header=BB218_292 Depth=1
	s_delay_alu instid0(VALU_DEP_2) | instskip(NEXT) | instid1(VALU_DEP_1)
	v_clz_i32_u32_e32 v30, v14
	v_min_u32_e32 v30, 32, v30
	s_delay_alu instid0(VALU_DEP_1) | instskip(NEXT) | instid1(VALU_DEP_1)
	v_subrev_nc_u32_e32 v31, 28, v30
	v_lshlrev_b64_e32 v[36:37], v31, v[14:15]
	s_delay_alu instid0(VALU_DEP_1)
	v_dual_sub_nc_u32 v30, 29, v30 :: v_dual_bitop2_b32 v14, 7, v36 bitop3:0x40
; %bb.355:                              ;   in Loop: Header=BB218_292 Depth=1
	s_or_b32 exec_lo, exec_lo, s16
	s_delay_alu instid0(VALU_DEP_1) | instskip(NEXT) | instid1(VALU_DEP_2)
	v_dual_lshlrev_b32 v31, 24, v35 :: v_dual_lshlrev_b32 v14, 20, v14
	v_lshl_add_u32 v30, v30, 23, 0x3c000000
	s_delay_alu instid0(VALU_DEP_2) | instskip(NEXT) | instid1(VALU_DEP_1)
	v_and_b32_e32 v31, 0x80000000, v31
	v_or3_b32 v31, v14, v31, v30
	v_mov_b32_e32 v30, v15
.LBB218_356:                            ;   in Loop: Header=BB218_292 Depth=1
	s_or_b32 exec_lo, exec_lo, s15
.LBB218_357:                            ;   in Loop: Header=BB218_292 Depth=1
	s_delay_alu instid0(SALU_CYCLE_1)
	s_or_b32 exec_lo, exec_lo, s14
.LBB218_358:                            ;   in Loop: Header=BB218_292 Depth=1
	s_delay_alu instid0(SALU_CYCLE_1)
	s_or_b32 exec_lo, exec_lo, s11
	v_mov_b64_e32 v[34:35], s[2:3]
	v_or_b32_e32 v27, v27, v29
	v_or_b32_e32 v26, v26, v28
	v_or_b32_e32 v31, v31, v33
	v_or_b32_e32 v30, v30, v32
	s_delay_alu instid0(VALU_DEP_3) | instskip(NEXT) | instid1(VALU_DEP_2)
	v_pk_mul_f32 v[28:29], v[34:35], v[26:27]
	v_pk_mul_f32 v[26:27], v[34:35], v[30:31]
	s_and_saveexec_b32 s11, vcc_lo
	s_cbranch_execz .LBB218_360
; %bb.359:                              ;   in Loop: Header=BB218_292 Depth=1
	v_cmp_gt_i32_e64 s0, s23, v60
	s_delay_alu instid0(VALU_DEP_1) | instskip(SKIP_1) | instid1(VALU_DEP_1)
	v_cndmask_b32_e64 v28, 0, v28, s0
	v_cmp_gt_i32_e64 s0, s23, v63
	v_cndmask_b32_e64 v29, 0, v29, s0
	v_cmp_gt_i32_e64 s0, s23, v55
	s_delay_alu instid0(VALU_DEP_1) | instskip(SKIP_1) | instid1(VALU_DEP_1)
	v_cndmask_b32_e64 v26, 0, v26, s0
	v_cmp_gt_i32_e64 s0, s23, v54
	v_cndmask_b32_e64 v27, 0, v27, s0
.LBB218_360:                            ;   in Loop: Header=BB218_292 Depth=1
	s_or_b32 exec_lo, exec_lo, s11
	global_load_b32 v38, v[24:25], off offset:256
	v_mov_b64_e32 v[30:31], 0
	v_mov_b64_e32 v[32:33], 0
	s_mov_b32 s11, exec_lo
	s_wait_loadcnt 0x0
	v_and_b32_e32 v14, 0xff, v38
	s_delay_alu instid0(VALU_DEP_1)
	v_cmpx_ne_u16_e32 0, v14
	s_cbranch_execz .LBB218_368
; %bb.361:                              ;   in Loop: Header=BB218_292 Depth=1
	v_mov_b64_e32 v[32:33], 0x80000000
	s_mov_b32 s14, exec_lo
	v_cmpx_ne_u16_e32 0x80, v14
	s_cbranch_execz .LBB218_367
; %bb.362:                              ;   in Loop: Header=BB218_292 Depth=1
	v_mov_b64_e32 v[32:33], 0x7f800001
	v_and_b32_e32 v34, 0x7f, v38
	s_mov_b32 s15, exec_lo
	s_delay_alu instid0(VALU_DEP_1)
	v_cmpx_ne_u32_e32 0x7f, v34
	s_cbranch_execz .LBB218_366
; %bb.363:                              ;   in Loop: Header=BB218_292 Depth=1
	v_and_b32_e32 v14, 7, v38
	v_lshrrev_b32_e32 v32, 3, v34
	s_mov_b32 s16, exec_lo
	v_cmpx_gt_u32_e32 8, v34
; %bb.364:                              ;   in Loop: Header=BB218_292 Depth=1
	s_delay_alu instid0(VALU_DEP_3) | instskip(NEXT) | instid1(VALU_DEP_1)
	v_clz_i32_u32_e32 v32, v14
	v_min_u32_e32 v32, 32, v32
	s_delay_alu instid0(VALU_DEP_1) | instskip(NEXT) | instid1(VALU_DEP_1)
	v_subrev_nc_u32_e32 v33, 28, v32
	v_lshlrev_b64_e32 v[34:35], v33, v[14:15]
	s_delay_alu instid0(VALU_DEP_1)
	v_dual_sub_nc_u32 v32, 29, v32 :: v_dual_bitop2_b32 v14, 7, v34 bitop3:0x40
; %bb.365:                              ;   in Loop: Header=BB218_292 Depth=1
	s_or_b32 exec_lo, exec_lo, s16
	v_lshlrev_b32_e32 v33, 24, v38
	s_delay_alu instid0(VALU_DEP_2) | instskip(NEXT) | instid1(VALU_DEP_3)
	v_lshlrev_b32_e32 v14, 20, v14
	v_lshl_add_u32 v32, v32, 23, 0x3c000000
	s_delay_alu instid0(VALU_DEP_3) | instskip(NEXT) | instid1(VALU_DEP_1)
	v_and_b32_e32 v33, 0x80000000, v33
	v_or3_b32 v14, v14, v33, v32
	s_delay_alu instid0(VALU_DEP_1)
	v_mov_b64_e32 v[32:33], v[14:15]
.LBB218_366:                            ;   in Loop: Header=BB218_292 Depth=1
	s_or_b32 exec_lo, exec_lo, s15
.LBB218_367:                            ;   in Loop: Header=BB218_292 Depth=1
	s_delay_alu instid0(SALU_CYCLE_1)
	s_or_b32 exec_lo, exec_lo, s14
.LBB218_368:                            ;   in Loop: Header=BB218_292 Depth=1
	s_delay_alu instid0(SALU_CYCLE_1) | instskip(SKIP_2) | instid1(VALU_DEP_1)
	s_or_b32 exec_lo, exec_lo, s11
	v_lshrrev_b16 v14, 8, v38
	s_mov_b32 s11, exec_lo
	v_cmpx_ne_u16_e32 0, v14
	s_cbranch_execz .LBB218_376
; %bb.369:                              ;   in Loop: Header=BB218_292 Depth=1
	v_mov_b64_e32 v[30:31], 0x8000000000000000
	s_mov_b32 s14, exec_lo
	v_cmpx_ne_u16_e32 0x80, v14
	s_cbranch_execz .LBB218_375
; %bb.370:                              ;   in Loop: Header=BB218_292 Depth=1
	v_and_b32_e32 v14, 0xffff, v14
	v_mov_b64_e32 v[30:31], 0x7f80000100000000
	s_mov_b32 s15, exec_lo
	s_delay_alu instid0(VALU_DEP_2) | instskip(NEXT) | instid1(VALU_DEP_1)
	v_and_b32_e32 v34, 0x7f, v14
	v_cmpx_ne_u32_e32 0x7f, v34
	s_cbranch_execz .LBB218_374
; %bb.371:                              ;   in Loop: Header=BB218_292 Depth=1
	v_and_b32_e32 v14, 7, v14
	v_lshrrev_b32_e32 v30, 3, v34
	s_mov_b32 s16, exec_lo
	v_cmpx_gt_u32_e32 8, v34
; %bb.372:                              ;   in Loop: Header=BB218_292 Depth=1
	s_delay_alu instid0(VALU_DEP_3) | instskip(NEXT) | instid1(VALU_DEP_1)
	v_clz_i32_u32_e32 v30, v14
	v_min_u32_e32 v30, 32, v30
	s_delay_alu instid0(VALU_DEP_1) | instskip(SKIP_1) | instid1(VALU_DEP_2)
	v_subrev_nc_u32_e32 v31, 28, v30
	v_sub_nc_u32_e32 v30, 29, v30
	v_lshlrev_b64_e32 v[34:35], v31, v[14:15]
	s_delay_alu instid0(VALU_DEP_1)
	v_and_b32_e32 v14, 7, v34
; %bb.373:                              ;   in Loop: Header=BB218_292 Depth=1
	s_or_b32 exec_lo, exec_lo, s16
	v_lshlrev_b32_e32 v31, 16, v38
	s_delay_alu instid0(VALU_DEP_2) | instskip(SKIP_1) | instid1(VALU_DEP_3)
	v_lshlrev_b32_e32 v14, 20, v14
	v_lshl_add_u32 v30, v30, 23, 0x3c000000
	v_and_b32_e32 v31, 0x80000000, v31
	s_delay_alu instid0(VALU_DEP_1)
	v_or3_b32 v31, v14, v31, v30
	v_mov_b32_e32 v30, v15
.LBB218_374:                            ;   in Loop: Header=BB218_292 Depth=1
	s_or_b32 exec_lo, exec_lo, s15
.LBB218_375:                            ;   in Loop: Header=BB218_292 Depth=1
	s_delay_alu instid0(SALU_CYCLE_1)
	s_or_b32 exec_lo, exec_lo, s14
.LBB218_376:                            ;   in Loop: Header=BB218_292 Depth=1
	s_delay_alu instid0(SALU_CYCLE_1) | instskip(SKIP_4) | instid1(VALU_DEP_3)
	s_or_b32 exec_lo, exec_lo, s11
	v_lshrrev_b32_e32 v39, 16, v38
	v_mov_b64_e32 v[34:35], 0
	v_mov_b64_e32 v[36:37], 0
	s_mov_b32 s11, exec_lo
	v_and_b32_e32 v14, 0xff, v39
	s_delay_alu instid0(VALU_DEP_1)
	v_cmpx_ne_u16_e32 0, v14
	s_cbranch_execz .LBB218_384
; %bb.377:                              ;   in Loop: Header=BB218_292 Depth=1
	v_mov_b64_e32 v[36:37], 0x80000000
	s_mov_b32 s14, exec_lo
	v_cmpx_ne_u16_e32 0x80, v14
	s_cbranch_execz .LBB218_383
; %bb.378:                              ;   in Loop: Header=BB218_292 Depth=1
	v_mov_b64_e32 v[36:37], 0x7f800001
	v_bfe_u32 v40, v38, 16, 7
	s_mov_b32 s15, exec_lo
	s_delay_alu instid0(VALU_DEP_1)
	v_cmpx_ne_u32_e32 0x7f, v40
	s_cbranch_execz .LBB218_382
; %bb.379:                              ;   in Loop: Header=BB218_292 Depth=1
	v_dual_lshrrev_b32 v36, 3, v40 :: v_dual_bitop2_b32 v14, 7, v39 bitop3:0x40
	s_mov_b32 s16, exec_lo
	v_cmpx_gt_u32_e32 8, v40
; %bb.380:                              ;   in Loop: Header=BB218_292 Depth=1
	s_delay_alu instid0(VALU_DEP_2) | instskip(NEXT) | instid1(VALU_DEP_1)
	v_clz_i32_u32_e32 v36, v14
	v_min_u32_e32 v36, 32, v36
	s_delay_alu instid0(VALU_DEP_1) | instskip(SKIP_1) | instid1(VALU_DEP_2)
	v_subrev_nc_u32_e32 v37, 28, v36
	v_sub_nc_u32_e32 v36, 29, v36
	v_lshlrev_b64_e32 v[40:41], v37, v[14:15]
	s_delay_alu instid0(VALU_DEP_1)
	v_and_b32_e32 v14, 7, v40
; %bb.381:                              ;   in Loop: Header=BB218_292 Depth=1
	s_or_b32 exec_lo, exec_lo, s16
	s_delay_alu instid0(VALU_DEP_1) | instskip(SKIP_1) | instid1(VALU_DEP_2)
	v_dual_lshlrev_b32 v37, 24, v39 :: v_dual_lshlrev_b32 v14, 20, v14
	v_lshl_add_u32 v36, v36, 23, 0x3c000000
	v_and_b32_e32 v37, 0x80000000, v37
	s_delay_alu instid0(VALU_DEP_1) | instskip(NEXT) | instid1(VALU_DEP_1)
	v_or3_b32 v14, v14, v37, v36
	v_mov_b64_e32 v[36:37], v[14:15]
.LBB218_382:                            ;   in Loop: Header=BB218_292 Depth=1
	s_or_b32 exec_lo, exec_lo, s15
.LBB218_383:                            ;   in Loop: Header=BB218_292 Depth=1
	s_delay_alu instid0(SALU_CYCLE_1)
	s_or_b32 exec_lo, exec_lo, s14
.LBB218_384:                            ;   in Loop: Header=BB218_292 Depth=1
	s_delay_alu instid0(SALU_CYCLE_1) | instskip(NEXT) | instid1(SALU_CYCLE_1)
	s_or_b32 exec_lo, exec_lo, s11
	s_mov_b32 s11, exec_lo
	v_cmpx_lt_u32_e32 0xffffff, v38
	s_cbranch_execz .LBB218_392
; %bb.385:                              ;   in Loop: Header=BB218_292 Depth=1
	v_mov_b64_e32 v[34:35], 0x8000000000000000
	v_lshrrev_b32_e32 v39, 24, v38
	s_mov_b32 s14, exec_lo
	s_delay_alu instid0(VALU_DEP_1)
	v_cmpx_ne_u32_e32 0x80, v39
	s_cbranch_execz .LBB218_391
; %bb.386:                              ;   in Loop: Header=BB218_292 Depth=1
	v_mov_b64_e32 v[34:35], 0x7f80000100000000
	v_bfe_u32 v38, v38, 24, 7
	s_mov_b32 s15, exec_lo
	s_delay_alu instid0(VALU_DEP_1)
	v_cmpx_ne_u32_e32 0x7f, v38
	s_cbranch_execz .LBB218_390
; %bb.387:                              ;   in Loop: Header=BB218_292 Depth=1
	v_dual_lshrrev_b32 v34, 3, v38 :: v_dual_bitop2_b32 v14, 7, v39 bitop3:0x40
	s_mov_b32 s16, exec_lo
	v_cmpx_gt_u32_e32 8, v38
; %bb.388:                              ;   in Loop: Header=BB218_292 Depth=1
	s_delay_alu instid0(VALU_DEP_2) | instskip(NEXT) | instid1(VALU_DEP_1)
	v_clz_i32_u32_e32 v34, v14
	v_min_u32_e32 v34, 32, v34
	s_delay_alu instid0(VALU_DEP_1) | instskip(NEXT) | instid1(VALU_DEP_1)
	v_subrev_nc_u32_e32 v35, 28, v34
	v_lshlrev_b64_e32 v[40:41], v35, v[14:15]
	s_delay_alu instid0(VALU_DEP_1)
	v_dual_sub_nc_u32 v34, 29, v34 :: v_dual_bitop2_b32 v14, 7, v40 bitop3:0x40
; %bb.389:                              ;   in Loop: Header=BB218_292 Depth=1
	s_or_b32 exec_lo, exec_lo, s16
	s_delay_alu instid0(VALU_DEP_1) | instskip(NEXT) | instid1(VALU_DEP_2)
	v_dual_lshlrev_b32 v35, 24, v39 :: v_dual_lshlrev_b32 v14, 20, v14
	v_lshl_add_u32 v34, v34, 23, 0x3c000000
	s_delay_alu instid0(VALU_DEP_2) | instskip(NEXT) | instid1(VALU_DEP_1)
	v_and_b32_e32 v35, 0x80000000, v35
	v_or3_b32 v35, v14, v35, v34
	v_mov_b32_e32 v34, v15
.LBB218_390:                            ;   in Loop: Header=BB218_292 Depth=1
	s_or_b32 exec_lo, exec_lo, s15
.LBB218_391:                            ;   in Loop: Header=BB218_292 Depth=1
	s_delay_alu instid0(SALU_CYCLE_1)
	s_or_b32 exec_lo, exec_lo, s14
.LBB218_392:                            ;   in Loop: Header=BB218_292 Depth=1
	s_delay_alu instid0(SALU_CYCLE_1)
	s_or_b32 exec_lo, exec_lo, s11
	v_mov_b64_e32 v[38:39], s[2:3]
	v_or_b32_e32 v31, v31, v33
	v_or_b32_e32 v30, v30, v32
	;; [unrolled: 1-line block ×4, first 2 shown]
	s_delay_alu instid0(VALU_DEP_3) | instskip(NEXT) | instid1(VALU_DEP_2)
	v_pk_mul_f32 v[32:33], v[38:39], v[30:31]
	v_pk_mul_f32 v[30:31], v[38:39], v[34:35]
	s_and_saveexec_b32 s11, vcc_lo
	s_cbranch_execz .LBB218_394
; %bb.393:                              ;   in Loop: Header=BB218_292 Depth=1
	v_cmp_gt_i32_e64 s0, s23, v60
	s_delay_alu instid0(VALU_DEP_1) | instskip(SKIP_1) | instid1(VALU_DEP_1)
	v_cndmask_b32_e64 v32, 0, v32, s0
	v_cmp_gt_i32_e64 s0, s23, v63
	v_cndmask_b32_e64 v33, 0, v33, s0
	v_cmp_gt_i32_e64 s0, s23, v55
	s_delay_alu instid0(VALU_DEP_1) | instskip(SKIP_1) | instid1(VALU_DEP_1)
	v_cndmask_b32_e64 v30, 0, v30, s0
	v_cmp_gt_i32_e64 s0, s23, v54
	v_cndmask_b32_e64 v31, 0, v31, s0
.LBB218_394:                            ;   in Loop: Header=BB218_292 Depth=1
	s_or_b32 exec_lo, exec_lo, s11
	global_load_b32 v42, v[24:25], off offset:384
	v_mov_b64_e32 v[34:35], 0
	v_mov_b64_e32 v[36:37], 0
	s_mov_b32 s11, exec_lo
	s_wait_loadcnt 0x0
	v_and_b32_e32 v14, 0xff, v42
	s_delay_alu instid0(VALU_DEP_1)
	v_cmpx_ne_u16_e32 0, v14
	s_cbranch_execz .LBB218_402
; %bb.395:                              ;   in Loop: Header=BB218_292 Depth=1
	v_mov_b64_e32 v[36:37], 0x80000000
	s_mov_b32 s14, exec_lo
	v_cmpx_ne_u16_e32 0x80, v14
	s_cbranch_execz .LBB218_401
; %bb.396:                              ;   in Loop: Header=BB218_292 Depth=1
	v_mov_b64_e32 v[36:37], 0x7f800001
	v_and_b32_e32 v38, 0x7f, v42
	s_mov_b32 s15, exec_lo
	s_delay_alu instid0(VALU_DEP_1)
	v_cmpx_ne_u32_e32 0x7f, v38
	s_cbranch_execz .LBB218_400
; %bb.397:                              ;   in Loop: Header=BB218_292 Depth=1
	v_and_b32_e32 v14, 7, v42
	v_lshrrev_b32_e32 v36, 3, v38
	s_mov_b32 s16, exec_lo
	v_cmpx_gt_u32_e32 8, v38
; %bb.398:                              ;   in Loop: Header=BB218_292 Depth=1
	s_delay_alu instid0(VALU_DEP_3) | instskip(NEXT) | instid1(VALU_DEP_1)
	v_clz_i32_u32_e32 v36, v14
	v_min_u32_e32 v36, 32, v36
	s_delay_alu instid0(VALU_DEP_1) | instskip(NEXT) | instid1(VALU_DEP_1)
	v_subrev_nc_u32_e32 v37, 28, v36
	v_lshlrev_b64_e32 v[38:39], v37, v[14:15]
	s_delay_alu instid0(VALU_DEP_1)
	v_dual_sub_nc_u32 v36, 29, v36 :: v_dual_bitop2_b32 v14, 7, v38 bitop3:0x40
; %bb.399:                              ;   in Loop: Header=BB218_292 Depth=1
	s_or_b32 exec_lo, exec_lo, s16
	v_lshlrev_b32_e32 v37, 24, v42
	s_delay_alu instid0(VALU_DEP_2) | instskip(NEXT) | instid1(VALU_DEP_3)
	v_lshlrev_b32_e32 v14, 20, v14
	v_lshl_add_u32 v36, v36, 23, 0x3c000000
	s_delay_alu instid0(VALU_DEP_3) | instskip(NEXT) | instid1(VALU_DEP_1)
	v_and_b32_e32 v37, 0x80000000, v37
	v_or3_b32 v14, v14, v37, v36
	s_delay_alu instid0(VALU_DEP_1)
	v_mov_b64_e32 v[36:37], v[14:15]
.LBB218_400:                            ;   in Loop: Header=BB218_292 Depth=1
	s_or_b32 exec_lo, exec_lo, s15
.LBB218_401:                            ;   in Loop: Header=BB218_292 Depth=1
	s_delay_alu instid0(SALU_CYCLE_1)
	s_or_b32 exec_lo, exec_lo, s14
.LBB218_402:                            ;   in Loop: Header=BB218_292 Depth=1
	s_delay_alu instid0(SALU_CYCLE_1) | instskip(SKIP_2) | instid1(VALU_DEP_1)
	s_or_b32 exec_lo, exec_lo, s11
	v_lshrrev_b16 v14, 8, v42
	s_mov_b32 s11, exec_lo
	v_cmpx_ne_u16_e32 0, v14
	s_cbranch_execz .LBB218_410
; %bb.403:                              ;   in Loop: Header=BB218_292 Depth=1
	v_mov_b64_e32 v[34:35], 0x8000000000000000
	s_mov_b32 s14, exec_lo
	v_cmpx_ne_u16_e32 0x80, v14
	s_cbranch_execz .LBB218_409
; %bb.404:                              ;   in Loop: Header=BB218_292 Depth=1
	v_and_b32_e32 v14, 0xffff, v14
	v_mov_b64_e32 v[34:35], 0x7f80000100000000
	s_mov_b32 s15, exec_lo
	s_delay_alu instid0(VALU_DEP_2) | instskip(NEXT) | instid1(VALU_DEP_1)
	v_and_b32_e32 v38, 0x7f, v14
	v_cmpx_ne_u32_e32 0x7f, v38
	s_cbranch_execz .LBB218_408
; %bb.405:                              ;   in Loop: Header=BB218_292 Depth=1
	v_and_b32_e32 v14, 7, v14
	v_lshrrev_b32_e32 v34, 3, v38
	s_mov_b32 s16, exec_lo
	v_cmpx_gt_u32_e32 8, v38
; %bb.406:                              ;   in Loop: Header=BB218_292 Depth=1
	s_delay_alu instid0(VALU_DEP_3) | instskip(NEXT) | instid1(VALU_DEP_1)
	v_clz_i32_u32_e32 v34, v14
	v_min_u32_e32 v34, 32, v34
	s_delay_alu instid0(VALU_DEP_1) | instskip(SKIP_1) | instid1(VALU_DEP_2)
	v_subrev_nc_u32_e32 v35, 28, v34
	v_sub_nc_u32_e32 v34, 29, v34
	v_lshlrev_b64_e32 v[38:39], v35, v[14:15]
	s_delay_alu instid0(VALU_DEP_1)
	v_and_b32_e32 v14, 7, v38
; %bb.407:                              ;   in Loop: Header=BB218_292 Depth=1
	s_or_b32 exec_lo, exec_lo, s16
	v_lshlrev_b32_e32 v35, 16, v42
	s_delay_alu instid0(VALU_DEP_2) | instskip(SKIP_1) | instid1(VALU_DEP_3)
	v_lshlrev_b32_e32 v14, 20, v14
	v_lshl_add_u32 v34, v34, 23, 0x3c000000
	v_and_b32_e32 v35, 0x80000000, v35
	s_delay_alu instid0(VALU_DEP_1)
	v_or3_b32 v35, v14, v35, v34
	v_mov_b32_e32 v34, v15
.LBB218_408:                            ;   in Loop: Header=BB218_292 Depth=1
	s_or_b32 exec_lo, exec_lo, s15
.LBB218_409:                            ;   in Loop: Header=BB218_292 Depth=1
	s_delay_alu instid0(SALU_CYCLE_1)
	s_or_b32 exec_lo, exec_lo, s14
.LBB218_410:                            ;   in Loop: Header=BB218_292 Depth=1
	s_delay_alu instid0(SALU_CYCLE_1) | instskip(SKIP_4) | instid1(VALU_DEP_3)
	s_or_b32 exec_lo, exec_lo, s11
	v_lshrrev_b32_e32 v43, 16, v42
	v_mov_b64_e32 v[38:39], 0
	v_mov_b64_e32 v[40:41], 0
	s_mov_b32 s11, exec_lo
	v_and_b32_e32 v14, 0xff, v43
	s_delay_alu instid0(VALU_DEP_1)
	v_cmpx_ne_u16_e32 0, v14
	s_cbranch_execz .LBB218_418
; %bb.411:                              ;   in Loop: Header=BB218_292 Depth=1
	v_mov_b64_e32 v[40:41], 0x80000000
	s_mov_b32 s14, exec_lo
	v_cmpx_ne_u16_e32 0x80, v14
	s_cbranch_execz .LBB218_417
; %bb.412:                              ;   in Loop: Header=BB218_292 Depth=1
	v_mov_b64_e32 v[40:41], 0x7f800001
	v_bfe_u32 v44, v42, 16, 7
	s_mov_b32 s15, exec_lo
	s_delay_alu instid0(VALU_DEP_1)
	v_cmpx_ne_u32_e32 0x7f, v44
	s_cbranch_execz .LBB218_416
; %bb.413:                              ;   in Loop: Header=BB218_292 Depth=1
	v_dual_lshrrev_b32 v40, 3, v44 :: v_dual_bitop2_b32 v14, 7, v43 bitop3:0x40
	s_mov_b32 s16, exec_lo
	v_cmpx_gt_u32_e32 8, v44
; %bb.414:                              ;   in Loop: Header=BB218_292 Depth=1
	s_delay_alu instid0(VALU_DEP_2) | instskip(NEXT) | instid1(VALU_DEP_1)
	v_clz_i32_u32_e32 v40, v14
	v_min_u32_e32 v40, 32, v40
	s_delay_alu instid0(VALU_DEP_1) | instskip(SKIP_1) | instid1(VALU_DEP_2)
	v_subrev_nc_u32_e32 v41, 28, v40
	v_sub_nc_u32_e32 v40, 29, v40
	v_lshlrev_b64_e32 v[44:45], v41, v[14:15]
	s_delay_alu instid0(VALU_DEP_1)
	v_and_b32_e32 v14, 7, v44
; %bb.415:                              ;   in Loop: Header=BB218_292 Depth=1
	s_or_b32 exec_lo, exec_lo, s16
	s_delay_alu instid0(VALU_DEP_1) | instskip(SKIP_1) | instid1(VALU_DEP_2)
	v_dual_lshlrev_b32 v41, 24, v43 :: v_dual_lshlrev_b32 v14, 20, v14
	v_lshl_add_u32 v40, v40, 23, 0x3c000000
	v_and_b32_e32 v41, 0x80000000, v41
	s_delay_alu instid0(VALU_DEP_1) | instskip(NEXT) | instid1(VALU_DEP_1)
	v_or3_b32 v14, v14, v41, v40
	v_mov_b64_e32 v[40:41], v[14:15]
.LBB218_416:                            ;   in Loop: Header=BB218_292 Depth=1
	s_or_b32 exec_lo, exec_lo, s15
.LBB218_417:                            ;   in Loop: Header=BB218_292 Depth=1
	s_delay_alu instid0(SALU_CYCLE_1)
	s_or_b32 exec_lo, exec_lo, s14
.LBB218_418:                            ;   in Loop: Header=BB218_292 Depth=1
	s_delay_alu instid0(SALU_CYCLE_1) | instskip(NEXT) | instid1(SALU_CYCLE_1)
	s_or_b32 exec_lo, exec_lo, s11
	s_mov_b32 s11, exec_lo
	v_cmpx_lt_u32_e32 0xffffff, v42
	s_cbranch_execz .LBB218_426
; %bb.419:                              ;   in Loop: Header=BB218_292 Depth=1
	v_mov_b64_e32 v[38:39], 0x8000000000000000
	v_lshrrev_b32_e32 v43, 24, v42
	s_mov_b32 s14, exec_lo
	s_delay_alu instid0(VALU_DEP_1)
	v_cmpx_ne_u32_e32 0x80, v43
	s_cbranch_execz .LBB218_425
; %bb.420:                              ;   in Loop: Header=BB218_292 Depth=1
	v_mov_b64_e32 v[38:39], 0x7f80000100000000
	v_bfe_u32 v42, v42, 24, 7
	s_mov_b32 s15, exec_lo
	s_delay_alu instid0(VALU_DEP_1)
	v_cmpx_ne_u32_e32 0x7f, v42
	s_cbranch_execz .LBB218_424
; %bb.421:                              ;   in Loop: Header=BB218_292 Depth=1
	v_dual_lshrrev_b32 v38, 3, v42 :: v_dual_bitop2_b32 v14, 7, v43 bitop3:0x40
	s_mov_b32 s16, exec_lo
	v_cmpx_gt_u32_e32 8, v42
; %bb.422:                              ;   in Loop: Header=BB218_292 Depth=1
	s_delay_alu instid0(VALU_DEP_2) | instskip(NEXT) | instid1(VALU_DEP_1)
	v_clz_i32_u32_e32 v38, v14
	v_min_u32_e32 v38, 32, v38
	s_delay_alu instid0(VALU_DEP_1) | instskip(NEXT) | instid1(VALU_DEP_1)
	v_subrev_nc_u32_e32 v39, 28, v38
	v_lshlrev_b64_e32 v[44:45], v39, v[14:15]
	s_delay_alu instid0(VALU_DEP_1)
	v_dual_sub_nc_u32 v38, 29, v38 :: v_dual_bitop2_b32 v14, 7, v44 bitop3:0x40
; %bb.423:                              ;   in Loop: Header=BB218_292 Depth=1
	s_or_b32 exec_lo, exec_lo, s16
	s_delay_alu instid0(VALU_DEP_1) | instskip(NEXT) | instid1(VALU_DEP_2)
	v_dual_lshlrev_b32 v39, 24, v43 :: v_dual_lshlrev_b32 v14, 20, v14
	v_lshl_add_u32 v38, v38, 23, 0x3c000000
	s_delay_alu instid0(VALU_DEP_2) | instskip(NEXT) | instid1(VALU_DEP_1)
	v_and_b32_e32 v39, 0x80000000, v39
	v_or3_b32 v39, v14, v39, v38
	v_mov_b32_e32 v38, v15
.LBB218_424:                            ;   in Loop: Header=BB218_292 Depth=1
	s_or_b32 exec_lo, exec_lo, s15
.LBB218_425:                            ;   in Loop: Header=BB218_292 Depth=1
	s_delay_alu instid0(SALU_CYCLE_1)
	s_or_b32 exec_lo, exec_lo, s14
.LBB218_426:                            ;   in Loop: Header=BB218_292 Depth=1
	s_delay_alu instid0(SALU_CYCLE_1)
	s_or_b32 exec_lo, exec_lo, s11
	v_mov_b64_e32 v[42:43], s[2:3]
	v_or_b32_e32 v35, v35, v37
	v_or_b32_e32 v34, v34, v36
	;; [unrolled: 1-line block ×4, first 2 shown]
	s_delay_alu instid0(VALU_DEP_3) | instskip(NEXT) | instid1(VALU_DEP_2)
	v_pk_mul_f32 v[36:37], v[42:43], v[34:35]
	v_pk_mul_f32 v[34:35], v[42:43], v[38:39]
	s_and_saveexec_b32 s11, vcc_lo
	s_cbranch_execz .LBB218_428
; %bb.427:                              ;   in Loop: Header=BB218_292 Depth=1
	v_cmp_gt_i32_e64 s0, s23, v60
	s_delay_alu instid0(VALU_DEP_1) | instskip(SKIP_1) | instid1(VALU_DEP_1)
	v_cndmask_b32_e64 v36, 0, v36, s0
	v_cmp_gt_i32_e64 s0, s23, v63
	v_cndmask_b32_e64 v37, 0, v37, s0
	v_cmp_gt_i32_e64 s0, s23, v55
	s_delay_alu instid0(VALU_DEP_1) | instskip(SKIP_1) | instid1(VALU_DEP_1)
	v_cndmask_b32_e64 v34, 0, v34, s0
	v_cmp_gt_i32_e64 s0, s23, v54
	v_cndmask_b32_e64 v35, 0, v35, s0
.LBB218_428:                            ;   in Loop: Header=BB218_292 Depth=1
	s_or_b32 exec_lo, exec_lo, s11
	global_load_b32 v46, v[24:25], off offset:512
	v_mov_b64_e32 v[38:39], 0
	v_mov_b64_e32 v[40:41], 0
	s_mov_b32 s11, exec_lo
	s_wait_loadcnt 0x0
	v_and_b32_e32 v14, 0xff, v46
	s_delay_alu instid0(VALU_DEP_1)
	v_cmpx_ne_u16_e32 0, v14
	s_cbranch_execz .LBB218_436
; %bb.429:                              ;   in Loop: Header=BB218_292 Depth=1
	v_mov_b64_e32 v[40:41], 0x80000000
	s_mov_b32 s14, exec_lo
	v_cmpx_ne_u16_e32 0x80, v14
	s_cbranch_execz .LBB218_435
; %bb.430:                              ;   in Loop: Header=BB218_292 Depth=1
	v_mov_b64_e32 v[40:41], 0x7f800001
	v_and_b32_e32 v42, 0x7f, v46
	s_mov_b32 s15, exec_lo
	s_delay_alu instid0(VALU_DEP_1)
	v_cmpx_ne_u32_e32 0x7f, v42
	s_cbranch_execz .LBB218_434
; %bb.431:                              ;   in Loop: Header=BB218_292 Depth=1
	v_and_b32_e32 v14, 7, v46
	v_lshrrev_b32_e32 v40, 3, v42
	s_mov_b32 s16, exec_lo
	v_cmpx_gt_u32_e32 8, v42
; %bb.432:                              ;   in Loop: Header=BB218_292 Depth=1
	s_delay_alu instid0(VALU_DEP_3) | instskip(NEXT) | instid1(VALU_DEP_1)
	v_clz_i32_u32_e32 v40, v14
	v_min_u32_e32 v40, 32, v40
	s_delay_alu instid0(VALU_DEP_1) | instskip(NEXT) | instid1(VALU_DEP_1)
	v_subrev_nc_u32_e32 v41, 28, v40
	v_lshlrev_b64_e32 v[42:43], v41, v[14:15]
	s_delay_alu instid0(VALU_DEP_1)
	v_dual_sub_nc_u32 v40, 29, v40 :: v_dual_bitop2_b32 v14, 7, v42 bitop3:0x40
; %bb.433:                              ;   in Loop: Header=BB218_292 Depth=1
	s_or_b32 exec_lo, exec_lo, s16
	v_lshlrev_b32_e32 v41, 24, v46
	s_delay_alu instid0(VALU_DEP_2) | instskip(NEXT) | instid1(VALU_DEP_3)
	v_lshlrev_b32_e32 v14, 20, v14
	v_lshl_add_u32 v40, v40, 23, 0x3c000000
	s_delay_alu instid0(VALU_DEP_3) | instskip(NEXT) | instid1(VALU_DEP_1)
	v_and_b32_e32 v41, 0x80000000, v41
	v_or3_b32 v14, v14, v41, v40
	s_delay_alu instid0(VALU_DEP_1)
	v_mov_b64_e32 v[40:41], v[14:15]
.LBB218_434:                            ;   in Loop: Header=BB218_292 Depth=1
	s_or_b32 exec_lo, exec_lo, s15
.LBB218_435:                            ;   in Loop: Header=BB218_292 Depth=1
	s_delay_alu instid0(SALU_CYCLE_1)
	s_or_b32 exec_lo, exec_lo, s14
.LBB218_436:                            ;   in Loop: Header=BB218_292 Depth=1
	s_delay_alu instid0(SALU_CYCLE_1) | instskip(SKIP_2) | instid1(VALU_DEP_1)
	s_or_b32 exec_lo, exec_lo, s11
	v_lshrrev_b16 v14, 8, v46
	s_mov_b32 s11, exec_lo
	v_cmpx_ne_u16_e32 0, v14
	s_cbranch_execz .LBB218_444
; %bb.437:                              ;   in Loop: Header=BB218_292 Depth=1
	v_mov_b64_e32 v[38:39], 0x8000000000000000
	s_mov_b32 s14, exec_lo
	v_cmpx_ne_u16_e32 0x80, v14
	s_cbranch_execz .LBB218_443
; %bb.438:                              ;   in Loop: Header=BB218_292 Depth=1
	v_and_b32_e32 v14, 0xffff, v14
	v_mov_b64_e32 v[38:39], 0x7f80000100000000
	s_mov_b32 s15, exec_lo
	s_delay_alu instid0(VALU_DEP_2) | instskip(NEXT) | instid1(VALU_DEP_1)
	v_and_b32_e32 v42, 0x7f, v14
	v_cmpx_ne_u32_e32 0x7f, v42
	s_cbranch_execz .LBB218_442
; %bb.439:                              ;   in Loop: Header=BB218_292 Depth=1
	v_and_b32_e32 v14, 7, v14
	v_lshrrev_b32_e32 v38, 3, v42
	s_mov_b32 s16, exec_lo
	v_cmpx_gt_u32_e32 8, v42
; %bb.440:                              ;   in Loop: Header=BB218_292 Depth=1
	s_delay_alu instid0(VALU_DEP_3) | instskip(NEXT) | instid1(VALU_DEP_1)
	v_clz_i32_u32_e32 v38, v14
	v_min_u32_e32 v38, 32, v38
	s_delay_alu instid0(VALU_DEP_1) | instskip(SKIP_1) | instid1(VALU_DEP_2)
	v_subrev_nc_u32_e32 v39, 28, v38
	v_sub_nc_u32_e32 v38, 29, v38
	v_lshlrev_b64_e32 v[42:43], v39, v[14:15]
	s_delay_alu instid0(VALU_DEP_1)
	v_and_b32_e32 v14, 7, v42
; %bb.441:                              ;   in Loop: Header=BB218_292 Depth=1
	s_or_b32 exec_lo, exec_lo, s16
	v_lshlrev_b32_e32 v39, 16, v46
	s_delay_alu instid0(VALU_DEP_2) | instskip(SKIP_1) | instid1(VALU_DEP_3)
	v_lshlrev_b32_e32 v14, 20, v14
	v_lshl_add_u32 v38, v38, 23, 0x3c000000
	v_and_b32_e32 v39, 0x80000000, v39
	s_delay_alu instid0(VALU_DEP_1)
	v_or3_b32 v39, v14, v39, v38
	v_mov_b32_e32 v38, v15
.LBB218_442:                            ;   in Loop: Header=BB218_292 Depth=1
	s_or_b32 exec_lo, exec_lo, s15
.LBB218_443:                            ;   in Loop: Header=BB218_292 Depth=1
	s_delay_alu instid0(SALU_CYCLE_1)
	s_or_b32 exec_lo, exec_lo, s14
.LBB218_444:                            ;   in Loop: Header=BB218_292 Depth=1
	s_delay_alu instid0(SALU_CYCLE_1) | instskip(SKIP_4) | instid1(VALU_DEP_3)
	s_or_b32 exec_lo, exec_lo, s11
	v_lshrrev_b32_e32 v47, 16, v46
	v_mov_b64_e32 v[42:43], 0
	v_mov_b64_e32 v[44:45], 0
	s_mov_b32 s11, exec_lo
	v_and_b32_e32 v14, 0xff, v47
	s_delay_alu instid0(VALU_DEP_1)
	v_cmpx_ne_u16_e32 0, v14
	s_cbranch_execz .LBB218_452
; %bb.445:                              ;   in Loop: Header=BB218_292 Depth=1
	v_mov_b64_e32 v[44:45], 0x80000000
	s_mov_b32 s14, exec_lo
	v_cmpx_ne_u16_e32 0x80, v14
	s_cbranch_execz .LBB218_451
; %bb.446:                              ;   in Loop: Header=BB218_292 Depth=1
	v_mov_b64_e32 v[44:45], 0x7f800001
	v_bfe_u32 v48, v46, 16, 7
	s_mov_b32 s15, exec_lo
	s_delay_alu instid0(VALU_DEP_1)
	v_cmpx_ne_u32_e32 0x7f, v48
	s_cbranch_execz .LBB218_450
; %bb.447:                              ;   in Loop: Header=BB218_292 Depth=1
	v_dual_lshrrev_b32 v44, 3, v48 :: v_dual_bitop2_b32 v14, 7, v47 bitop3:0x40
	s_mov_b32 s16, exec_lo
	v_cmpx_gt_u32_e32 8, v48
; %bb.448:                              ;   in Loop: Header=BB218_292 Depth=1
	s_delay_alu instid0(VALU_DEP_2) | instskip(NEXT) | instid1(VALU_DEP_1)
	v_clz_i32_u32_e32 v44, v14
	v_min_u32_e32 v44, 32, v44
	s_delay_alu instid0(VALU_DEP_1) | instskip(SKIP_1) | instid1(VALU_DEP_2)
	v_subrev_nc_u32_e32 v45, 28, v44
	v_sub_nc_u32_e32 v44, 29, v44
	v_lshlrev_b64_e32 v[48:49], v45, v[14:15]
	s_delay_alu instid0(VALU_DEP_1)
	v_and_b32_e32 v14, 7, v48
; %bb.449:                              ;   in Loop: Header=BB218_292 Depth=1
	s_or_b32 exec_lo, exec_lo, s16
	s_delay_alu instid0(VALU_DEP_1) | instskip(SKIP_1) | instid1(VALU_DEP_2)
	v_dual_lshlrev_b32 v45, 24, v47 :: v_dual_lshlrev_b32 v14, 20, v14
	v_lshl_add_u32 v44, v44, 23, 0x3c000000
	v_and_b32_e32 v45, 0x80000000, v45
	s_delay_alu instid0(VALU_DEP_1) | instskip(NEXT) | instid1(VALU_DEP_1)
	v_or3_b32 v14, v14, v45, v44
	v_mov_b64_e32 v[44:45], v[14:15]
.LBB218_450:                            ;   in Loop: Header=BB218_292 Depth=1
	s_or_b32 exec_lo, exec_lo, s15
.LBB218_451:                            ;   in Loop: Header=BB218_292 Depth=1
	s_delay_alu instid0(SALU_CYCLE_1)
	s_or_b32 exec_lo, exec_lo, s14
.LBB218_452:                            ;   in Loop: Header=BB218_292 Depth=1
	s_delay_alu instid0(SALU_CYCLE_1) | instskip(NEXT) | instid1(SALU_CYCLE_1)
	s_or_b32 exec_lo, exec_lo, s11
	s_mov_b32 s11, exec_lo
	v_cmpx_lt_u32_e32 0xffffff, v46
	s_cbranch_execz .LBB218_460
; %bb.453:                              ;   in Loop: Header=BB218_292 Depth=1
	v_mov_b64_e32 v[42:43], 0x8000000000000000
	v_lshrrev_b32_e32 v47, 24, v46
	s_mov_b32 s14, exec_lo
	s_delay_alu instid0(VALU_DEP_1)
	v_cmpx_ne_u32_e32 0x80, v47
	s_cbranch_execz .LBB218_459
; %bb.454:                              ;   in Loop: Header=BB218_292 Depth=1
	v_mov_b64_e32 v[42:43], 0x7f80000100000000
	v_bfe_u32 v46, v46, 24, 7
	s_mov_b32 s15, exec_lo
	s_delay_alu instid0(VALU_DEP_1)
	v_cmpx_ne_u32_e32 0x7f, v46
	s_cbranch_execz .LBB218_458
; %bb.455:                              ;   in Loop: Header=BB218_292 Depth=1
	v_dual_lshrrev_b32 v42, 3, v46 :: v_dual_bitop2_b32 v14, 7, v47 bitop3:0x40
	s_mov_b32 s16, exec_lo
	v_cmpx_gt_u32_e32 8, v46
; %bb.456:                              ;   in Loop: Header=BB218_292 Depth=1
	s_delay_alu instid0(VALU_DEP_2) | instskip(NEXT) | instid1(VALU_DEP_1)
	v_clz_i32_u32_e32 v42, v14
	v_min_u32_e32 v42, 32, v42
	s_delay_alu instid0(VALU_DEP_1) | instskip(NEXT) | instid1(VALU_DEP_1)
	v_subrev_nc_u32_e32 v43, 28, v42
	v_lshlrev_b64_e32 v[48:49], v43, v[14:15]
	s_delay_alu instid0(VALU_DEP_1)
	v_dual_sub_nc_u32 v42, 29, v42 :: v_dual_bitop2_b32 v14, 7, v48 bitop3:0x40
; %bb.457:                              ;   in Loop: Header=BB218_292 Depth=1
	s_or_b32 exec_lo, exec_lo, s16
	s_delay_alu instid0(VALU_DEP_1) | instskip(NEXT) | instid1(VALU_DEP_2)
	v_dual_lshlrev_b32 v43, 24, v47 :: v_dual_lshlrev_b32 v14, 20, v14
	v_lshl_add_u32 v42, v42, 23, 0x3c000000
	s_delay_alu instid0(VALU_DEP_2) | instskip(NEXT) | instid1(VALU_DEP_1)
	v_and_b32_e32 v43, 0x80000000, v43
	v_or3_b32 v43, v14, v43, v42
	v_mov_b32_e32 v42, v15
.LBB218_458:                            ;   in Loop: Header=BB218_292 Depth=1
	s_or_b32 exec_lo, exec_lo, s15
.LBB218_459:                            ;   in Loop: Header=BB218_292 Depth=1
	s_delay_alu instid0(SALU_CYCLE_1)
	s_or_b32 exec_lo, exec_lo, s14
.LBB218_460:                            ;   in Loop: Header=BB218_292 Depth=1
	s_delay_alu instid0(SALU_CYCLE_1)
	s_or_b32 exec_lo, exec_lo, s11
	v_mov_b64_e32 v[46:47], s[2:3]
	v_or_b32_e32 v39, v39, v41
	v_or_b32_e32 v38, v38, v40
	;; [unrolled: 1-line block ×4, first 2 shown]
	s_delay_alu instid0(VALU_DEP_3) | instskip(NEXT) | instid1(VALU_DEP_2)
	v_pk_mul_f32 v[40:41], v[46:47], v[38:39]
	v_pk_mul_f32 v[38:39], v[46:47], v[42:43]
	s_and_saveexec_b32 s11, vcc_lo
	s_cbranch_execz .LBB218_462
; %bb.461:                              ;   in Loop: Header=BB218_292 Depth=1
	v_cmp_gt_i32_e64 s0, s23, v60
	s_delay_alu instid0(VALU_DEP_1) | instskip(SKIP_1) | instid1(VALU_DEP_1)
	v_cndmask_b32_e64 v40, 0, v40, s0
	v_cmp_gt_i32_e64 s0, s23, v63
	v_cndmask_b32_e64 v41, 0, v41, s0
	v_cmp_gt_i32_e64 s0, s23, v55
	s_delay_alu instid0(VALU_DEP_1) | instskip(SKIP_1) | instid1(VALU_DEP_1)
	v_cndmask_b32_e64 v38, 0, v38, s0
	v_cmp_gt_i32_e64 s0, s23, v54
	v_cndmask_b32_e64 v39, 0, v39, s0
.LBB218_462:                            ;   in Loop: Header=BB218_292 Depth=1
	s_or_b32 exec_lo, exec_lo, s11
	global_load_b32 v50, v[24:25], off offset:640
	v_mov_b64_e32 v[42:43], 0
	v_mov_b64_e32 v[44:45], 0
	s_mov_b32 s11, exec_lo
	s_wait_loadcnt 0x0
	v_and_b32_e32 v14, 0xff, v50
	s_delay_alu instid0(VALU_DEP_1)
	v_cmpx_ne_u16_e32 0, v14
	s_cbranch_execz .LBB218_470
; %bb.463:                              ;   in Loop: Header=BB218_292 Depth=1
	v_mov_b64_e32 v[44:45], 0x80000000
	s_mov_b32 s14, exec_lo
	v_cmpx_ne_u16_e32 0x80, v14
	s_cbranch_execz .LBB218_469
; %bb.464:                              ;   in Loop: Header=BB218_292 Depth=1
	v_mov_b64_e32 v[44:45], 0x7f800001
	v_and_b32_e32 v46, 0x7f, v50
	s_mov_b32 s15, exec_lo
	s_delay_alu instid0(VALU_DEP_1)
	v_cmpx_ne_u32_e32 0x7f, v46
	s_cbranch_execz .LBB218_468
; %bb.465:                              ;   in Loop: Header=BB218_292 Depth=1
	v_and_b32_e32 v14, 7, v50
	v_lshrrev_b32_e32 v44, 3, v46
	s_mov_b32 s16, exec_lo
	v_cmpx_gt_u32_e32 8, v46
; %bb.466:                              ;   in Loop: Header=BB218_292 Depth=1
	s_delay_alu instid0(VALU_DEP_3) | instskip(NEXT) | instid1(VALU_DEP_1)
	v_clz_i32_u32_e32 v44, v14
	v_min_u32_e32 v44, 32, v44
	s_delay_alu instid0(VALU_DEP_1) | instskip(NEXT) | instid1(VALU_DEP_1)
	v_subrev_nc_u32_e32 v45, 28, v44
	v_lshlrev_b64_e32 v[46:47], v45, v[14:15]
	s_delay_alu instid0(VALU_DEP_1)
	v_dual_sub_nc_u32 v44, 29, v44 :: v_dual_bitop2_b32 v14, 7, v46 bitop3:0x40
; %bb.467:                              ;   in Loop: Header=BB218_292 Depth=1
	s_or_b32 exec_lo, exec_lo, s16
	v_lshlrev_b32_e32 v45, 24, v50
	s_delay_alu instid0(VALU_DEP_2) | instskip(NEXT) | instid1(VALU_DEP_3)
	v_lshlrev_b32_e32 v14, 20, v14
	v_lshl_add_u32 v44, v44, 23, 0x3c000000
	s_delay_alu instid0(VALU_DEP_3) | instskip(NEXT) | instid1(VALU_DEP_1)
	v_and_b32_e32 v45, 0x80000000, v45
	v_or3_b32 v14, v14, v45, v44
	s_delay_alu instid0(VALU_DEP_1)
	v_mov_b64_e32 v[44:45], v[14:15]
.LBB218_468:                            ;   in Loop: Header=BB218_292 Depth=1
	s_or_b32 exec_lo, exec_lo, s15
.LBB218_469:                            ;   in Loop: Header=BB218_292 Depth=1
	s_delay_alu instid0(SALU_CYCLE_1)
	s_or_b32 exec_lo, exec_lo, s14
.LBB218_470:                            ;   in Loop: Header=BB218_292 Depth=1
	s_delay_alu instid0(SALU_CYCLE_1) | instskip(SKIP_2) | instid1(VALU_DEP_1)
	s_or_b32 exec_lo, exec_lo, s11
	v_lshrrev_b16 v14, 8, v50
	s_mov_b32 s11, exec_lo
	v_cmpx_ne_u16_e32 0, v14
	s_cbranch_execz .LBB218_478
; %bb.471:                              ;   in Loop: Header=BB218_292 Depth=1
	v_mov_b64_e32 v[42:43], 0x8000000000000000
	s_mov_b32 s14, exec_lo
	v_cmpx_ne_u16_e32 0x80, v14
	s_cbranch_execz .LBB218_477
; %bb.472:                              ;   in Loop: Header=BB218_292 Depth=1
	v_and_b32_e32 v14, 0xffff, v14
	v_mov_b64_e32 v[42:43], 0x7f80000100000000
	s_mov_b32 s15, exec_lo
	s_delay_alu instid0(VALU_DEP_2) | instskip(NEXT) | instid1(VALU_DEP_1)
	v_and_b32_e32 v46, 0x7f, v14
	v_cmpx_ne_u32_e32 0x7f, v46
	s_cbranch_execz .LBB218_476
; %bb.473:                              ;   in Loop: Header=BB218_292 Depth=1
	v_and_b32_e32 v14, 7, v14
	v_lshrrev_b32_e32 v42, 3, v46
	s_mov_b32 s16, exec_lo
	v_cmpx_gt_u32_e32 8, v46
; %bb.474:                              ;   in Loop: Header=BB218_292 Depth=1
	s_delay_alu instid0(VALU_DEP_3) | instskip(NEXT) | instid1(VALU_DEP_1)
	v_clz_i32_u32_e32 v42, v14
	v_min_u32_e32 v42, 32, v42
	s_delay_alu instid0(VALU_DEP_1) | instskip(SKIP_1) | instid1(VALU_DEP_2)
	v_subrev_nc_u32_e32 v43, 28, v42
	v_sub_nc_u32_e32 v42, 29, v42
	v_lshlrev_b64_e32 v[46:47], v43, v[14:15]
	s_delay_alu instid0(VALU_DEP_1)
	v_and_b32_e32 v14, 7, v46
; %bb.475:                              ;   in Loop: Header=BB218_292 Depth=1
	s_or_b32 exec_lo, exec_lo, s16
	v_lshlrev_b32_e32 v43, 16, v50
	s_delay_alu instid0(VALU_DEP_2) | instskip(SKIP_1) | instid1(VALU_DEP_3)
	v_lshlrev_b32_e32 v14, 20, v14
	v_lshl_add_u32 v42, v42, 23, 0x3c000000
	v_and_b32_e32 v43, 0x80000000, v43
	s_delay_alu instid0(VALU_DEP_1)
	v_or3_b32 v43, v14, v43, v42
	v_mov_b32_e32 v42, v15
.LBB218_476:                            ;   in Loop: Header=BB218_292 Depth=1
	s_or_b32 exec_lo, exec_lo, s15
.LBB218_477:                            ;   in Loop: Header=BB218_292 Depth=1
	s_delay_alu instid0(SALU_CYCLE_1)
	s_or_b32 exec_lo, exec_lo, s14
.LBB218_478:                            ;   in Loop: Header=BB218_292 Depth=1
	s_delay_alu instid0(SALU_CYCLE_1) | instskip(SKIP_4) | instid1(VALU_DEP_3)
	s_or_b32 exec_lo, exec_lo, s11
	v_lshrrev_b32_e32 v51, 16, v50
	v_mov_b64_e32 v[46:47], 0
	v_mov_b64_e32 v[48:49], 0
	s_mov_b32 s11, exec_lo
	v_and_b32_e32 v14, 0xff, v51
	s_delay_alu instid0(VALU_DEP_1)
	v_cmpx_ne_u16_e32 0, v14
	s_cbranch_execz .LBB218_486
; %bb.479:                              ;   in Loop: Header=BB218_292 Depth=1
	v_mov_b64_e32 v[48:49], 0x80000000
	s_mov_b32 s14, exec_lo
	v_cmpx_ne_u16_e32 0x80, v14
	s_cbranch_execz .LBB218_485
; %bb.480:                              ;   in Loop: Header=BB218_292 Depth=1
	v_mov_b64_e32 v[48:49], 0x7f800001
	v_bfe_u32 v52, v50, 16, 7
	s_mov_b32 s15, exec_lo
	s_delay_alu instid0(VALU_DEP_1)
	v_cmpx_ne_u32_e32 0x7f, v52
	s_cbranch_execz .LBB218_484
; %bb.481:                              ;   in Loop: Header=BB218_292 Depth=1
	v_dual_lshrrev_b32 v48, 3, v52 :: v_dual_bitop2_b32 v14, 7, v51 bitop3:0x40
	s_mov_b32 s16, exec_lo
	v_cmpx_gt_u32_e32 8, v52
; %bb.482:                              ;   in Loop: Header=BB218_292 Depth=1
	s_delay_alu instid0(VALU_DEP_2) | instskip(NEXT) | instid1(VALU_DEP_1)
	v_clz_i32_u32_e32 v48, v14
	v_min_u32_e32 v48, 32, v48
	s_delay_alu instid0(VALU_DEP_1) | instskip(SKIP_1) | instid1(VALU_DEP_2)
	v_subrev_nc_u32_e32 v49, 28, v48
	v_sub_nc_u32_e32 v48, 29, v48
	v_lshlrev_b64_e32 v[52:53], v49, v[14:15]
	s_delay_alu instid0(VALU_DEP_1)
	v_and_b32_e32 v14, 7, v52
; %bb.483:                              ;   in Loop: Header=BB218_292 Depth=1
	s_or_b32 exec_lo, exec_lo, s16
	s_delay_alu instid0(VALU_DEP_1) | instskip(SKIP_1) | instid1(VALU_DEP_2)
	v_dual_lshlrev_b32 v49, 24, v51 :: v_dual_lshlrev_b32 v14, 20, v14
	v_lshl_add_u32 v48, v48, 23, 0x3c000000
	v_and_b32_e32 v49, 0x80000000, v49
	s_delay_alu instid0(VALU_DEP_1) | instskip(NEXT) | instid1(VALU_DEP_1)
	v_or3_b32 v14, v14, v49, v48
	v_mov_b64_e32 v[48:49], v[14:15]
.LBB218_484:                            ;   in Loop: Header=BB218_292 Depth=1
	s_or_b32 exec_lo, exec_lo, s15
.LBB218_485:                            ;   in Loop: Header=BB218_292 Depth=1
	s_delay_alu instid0(SALU_CYCLE_1)
	s_or_b32 exec_lo, exec_lo, s14
.LBB218_486:                            ;   in Loop: Header=BB218_292 Depth=1
	s_delay_alu instid0(SALU_CYCLE_1) | instskip(NEXT) | instid1(SALU_CYCLE_1)
	s_or_b32 exec_lo, exec_lo, s11
	s_mov_b32 s11, exec_lo
	v_cmpx_lt_u32_e32 0xffffff, v50
	s_cbranch_execz .LBB218_494
; %bb.487:                              ;   in Loop: Header=BB218_292 Depth=1
	v_mov_b64_e32 v[46:47], 0x8000000000000000
	v_lshrrev_b32_e32 v51, 24, v50
	s_mov_b32 s14, exec_lo
	s_delay_alu instid0(VALU_DEP_1)
	v_cmpx_ne_u32_e32 0x80, v51
	s_cbranch_execz .LBB218_493
; %bb.488:                              ;   in Loop: Header=BB218_292 Depth=1
	v_mov_b64_e32 v[46:47], 0x7f80000100000000
	v_bfe_u32 v50, v50, 24, 7
	s_mov_b32 s15, exec_lo
	s_delay_alu instid0(VALU_DEP_1)
	v_cmpx_ne_u32_e32 0x7f, v50
	s_cbranch_execz .LBB218_492
; %bb.489:                              ;   in Loop: Header=BB218_292 Depth=1
	v_dual_lshrrev_b32 v46, 3, v50 :: v_dual_bitop2_b32 v14, 7, v51 bitop3:0x40
	s_mov_b32 s16, exec_lo
	v_cmpx_gt_u32_e32 8, v50
; %bb.490:                              ;   in Loop: Header=BB218_292 Depth=1
	s_delay_alu instid0(VALU_DEP_2) | instskip(NEXT) | instid1(VALU_DEP_1)
	v_clz_i32_u32_e32 v46, v14
	v_min_u32_e32 v46, 32, v46
	s_delay_alu instid0(VALU_DEP_1) | instskip(NEXT) | instid1(VALU_DEP_1)
	v_subrev_nc_u32_e32 v47, 28, v46
	v_lshlrev_b64_e32 v[52:53], v47, v[14:15]
	s_delay_alu instid0(VALU_DEP_1)
	v_dual_sub_nc_u32 v46, 29, v46 :: v_dual_bitop2_b32 v14, 7, v52 bitop3:0x40
; %bb.491:                              ;   in Loop: Header=BB218_292 Depth=1
	s_or_b32 exec_lo, exec_lo, s16
	s_delay_alu instid0(VALU_DEP_1) | instskip(NEXT) | instid1(VALU_DEP_2)
	v_dual_lshlrev_b32 v47, 24, v51 :: v_dual_lshlrev_b32 v14, 20, v14
	v_lshl_add_u32 v46, v46, 23, 0x3c000000
	s_delay_alu instid0(VALU_DEP_2) | instskip(NEXT) | instid1(VALU_DEP_1)
	v_and_b32_e32 v47, 0x80000000, v47
	v_or3_b32 v47, v14, v47, v46
	v_mov_b32_e32 v46, v15
.LBB218_492:                            ;   in Loop: Header=BB218_292 Depth=1
	s_or_b32 exec_lo, exec_lo, s15
.LBB218_493:                            ;   in Loop: Header=BB218_292 Depth=1
	s_delay_alu instid0(SALU_CYCLE_1)
	s_or_b32 exec_lo, exec_lo, s14
.LBB218_494:                            ;   in Loop: Header=BB218_292 Depth=1
	s_delay_alu instid0(SALU_CYCLE_1)
	s_or_b32 exec_lo, exec_lo, s11
	v_mov_b64_e32 v[50:51], s[2:3]
	v_or_b32_e32 v43, v43, v45
	v_or_b32_e32 v42, v42, v44
	;; [unrolled: 1-line block ×4, first 2 shown]
	s_delay_alu instid0(VALU_DEP_3) | instskip(NEXT) | instid1(VALU_DEP_2)
	v_pk_mul_f32 v[44:45], v[50:51], v[42:43]
	v_pk_mul_f32 v[42:43], v[50:51], v[46:47]
	s_and_saveexec_b32 s11, vcc_lo
	s_cbranch_execz .LBB218_496
; %bb.495:                              ;   in Loop: Header=BB218_292 Depth=1
	v_cmp_gt_i32_e64 s0, s23, v60
	s_delay_alu instid0(VALU_DEP_1) | instskip(SKIP_1) | instid1(VALU_DEP_1)
	v_cndmask_b32_e64 v44, 0, v44, s0
	v_cmp_gt_i32_e64 s0, s23, v63
	v_cndmask_b32_e64 v45, 0, v45, s0
	v_cmp_gt_i32_e64 s0, s23, v55
	s_delay_alu instid0(VALU_DEP_1) | instskip(SKIP_1) | instid1(VALU_DEP_1)
	v_cndmask_b32_e64 v42, 0, v42, s0
	v_cmp_gt_i32_e64 s0, s23, v54
	v_cndmask_b32_e64 v43, 0, v43, s0
.LBB218_496:                            ;   in Loop: Header=BB218_292 Depth=1
	s_or_b32 exec_lo, exec_lo, s11
	global_load_b32 v64, v[24:25], off offset:768
	v_mov_b64_e32 v[46:47], 0
	v_mov_b64_e32 v[48:49], 0
	s_mov_b32 s11, exec_lo
	s_wait_loadcnt 0x0
	v_and_b32_e32 v14, 0xff, v64
	s_delay_alu instid0(VALU_DEP_1)
	v_cmpx_ne_u16_e32 0, v14
	s_cbranch_execz .LBB218_504
; %bb.497:                              ;   in Loop: Header=BB218_292 Depth=1
	v_mov_b64_e32 v[48:49], 0x80000000
	s_mov_b32 s14, exec_lo
	v_cmpx_ne_u16_e32 0x80, v14
	s_cbranch_execz .LBB218_503
; %bb.498:                              ;   in Loop: Header=BB218_292 Depth=1
	v_mov_b64_e32 v[48:49], 0x7f800001
	v_and_b32_e32 v50, 0x7f, v64
	s_mov_b32 s15, exec_lo
	s_delay_alu instid0(VALU_DEP_1)
	v_cmpx_ne_u32_e32 0x7f, v50
	s_cbranch_execz .LBB218_502
; %bb.499:                              ;   in Loop: Header=BB218_292 Depth=1
	v_dual_lshrrev_b32 v48, 3, v50 :: v_dual_bitop2_b32 v14, 7, v64 bitop3:0x40
	s_mov_b32 s16, exec_lo
	v_cmpx_gt_u32_e32 8, v50
; %bb.500:                              ;   in Loop: Header=BB218_292 Depth=1
	s_delay_alu instid0(VALU_DEP_2) | instskip(NEXT) | instid1(VALU_DEP_1)
	v_clz_i32_u32_e32 v48, v14
	v_min_u32_e32 v48, 32, v48
	s_delay_alu instid0(VALU_DEP_1) | instskip(NEXT) | instid1(VALU_DEP_1)
	v_subrev_nc_u32_e32 v49, 28, v48
	v_lshlrev_b64_e32 v[50:51], v49, v[14:15]
	s_delay_alu instid0(VALU_DEP_1)
	v_dual_sub_nc_u32 v48, 29, v48 :: v_dual_bitop2_b32 v14, 7, v50 bitop3:0x40
; %bb.501:                              ;   in Loop: Header=BB218_292 Depth=1
	s_or_b32 exec_lo, exec_lo, s16
	s_delay_alu instid0(VALU_DEP_1) | instskip(NEXT) | instid1(VALU_DEP_2)
	v_dual_lshlrev_b32 v49, 24, v64 :: v_dual_lshlrev_b32 v14, 20, v14
	v_lshl_add_u32 v48, v48, 23, 0x3c000000
	s_delay_alu instid0(VALU_DEP_2) | instskip(NEXT) | instid1(VALU_DEP_1)
	v_and_b32_e32 v49, 0x80000000, v49
	v_or3_b32 v14, v14, v49, v48
	s_delay_alu instid0(VALU_DEP_1)
	v_mov_b64_e32 v[48:49], v[14:15]
.LBB218_502:                            ;   in Loop: Header=BB218_292 Depth=1
	s_or_b32 exec_lo, exec_lo, s15
.LBB218_503:                            ;   in Loop: Header=BB218_292 Depth=1
	s_delay_alu instid0(SALU_CYCLE_1)
	s_or_b32 exec_lo, exec_lo, s14
.LBB218_504:                            ;   in Loop: Header=BB218_292 Depth=1
	s_delay_alu instid0(SALU_CYCLE_1) | instskip(SKIP_2) | instid1(VALU_DEP_1)
	s_or_b32 exec_lo, exec_lo, s11
	v_lshrrev_b16 v14, 8, v64
	s_mov_b32 s11, exec_lo
	v_cmpx_ne_u16_e32 0, v14
	s_cbranch_execz .LBB218_512
; %bb.505:                              ;   in Loop: Header=BB218_292 Depth=1
	v_mov_b64_e32 v[46:47], 0x8000000000000000
	s_mov_b32 s14, exec_lo
	v_cmpx_ne_u16_e32 0x80, v14
	s_cbranch_execz .LBB218_511
; %bb.506:                              ;   in Loop: Header=BB218_292 Depth=1
	v_and_b32_e32 v14, 0xffff, v14
	v_mov_b64_e32 v[46:47], 0x7f80000100000000
	s_mov_b32 s15, exec_lo
	s_delay_alu instid0(VALU_DEP_2) | instskip(NEXT) | instid1(VALU_DEP_1)
	v_and_b32_e32 v50, 0x7f, v14
	v_cmpx_ne_u32_e32 0x7f, v50
	s_cbranch_execz .LBB218_510
; %bb.507:                              ;   in Loop: Header=BB218_292 Depth=1
	v_and_b32_e32 v14, 7, v14
	v_lshrrev_b32_e32 v46, 3, v50
	s_mov_b32 s16, exec_lo
	v_cmpx_gt_u32_e32 8, v50
; %bb.508:                              ;   in Loop: Header=BB218_292 Depth=1
	s_delay_alu instid0(VALU_DEP_3) | instskip(NEXT) | instid1(VALU_DEP_1)
	v_clz_i32_u32_e32 v46, v14
	v_min_u32_e32 v46, 32, v46
	s_delay_alu instid0(VALU_DEP_1) | instskip(SKIP_1) | instid1(VALU_DEP_2)
	v_subrev_nc_u32_e32 v47, 28, v46
	v_sub_nc_u32_e32 v46, 29, v46
	v_lshlrev_b64_e32 v[50:51], v47, v[14:15]
	s_delay_alu instid0(VALU_DEP_1)
	v_and_b32_e32 v14, 7, v50
; %bb.509:                              ;   in Loop: Header=BB218_292 Depth=1
	s_or_b32 exec_lo, exec_lo, s16
	s_delay_alu instid0(VALU_DEP_1) | instskip(SKIP_1) | instid1(VALU_DEP_2)
	v_dual_lshlrev_b32 v47, 16, v64 :: v_dual_lshlrev_b32 v14, 20, v14
	v_lshl_add_u32 v46, v46, 23, 0x3c000000
	v_and_b32_e32 v47, 0x80000000, v47
	s_delay_alu instid0(VALU_DEP_1)
	v_or3_b32 v47, v14, v47, v46
	v_mov_b32_e32 v46, v15
.LBB218_510:                            ;   in Loop: Header=BB218_292 Depth=1
	s_or_b32 exec_lo, exec_lo, s15
.LBB218_511:                            ;   in Loop: Header=BB218_292 Depth=1
	s_delay_alu instid0(SALU_CYCLE_1)
	s_or_b32 exec_lo, exec_lo, s14
.LBB218_512:                            ;   in Loop: Header=BB218_292 Depth=1
	s_delay_alu instid0(SALU_CYCLE_1) | instskip(SKIP_4) | instid1(VALU_DEP_3)
	s_or_b32 exec_lo, exec_lo, s11
	v_lshrrev_b32_e32 v65, 16, v64
	v_mov_b64_e32 v[50:51], 0
	v_mov_b64_e32 v[52:53], 0
	s_mov_b32 s11, exec_lo
	v_and_b32_e32 v14, 0xff, v65
	s_delay_alu instid0(VALU_DEP_1)
	v_cmpx_ne_u16_e32 0, v14
	s_cbranch_execz .LBB218_520
; %bb.513:                              ;   in Loop: Header=BB218_292 Depth=1
	v_mov_b64_e32 v[52:53], 0x80000000
	s_mov_b32 s14, exec_lo
	v_cmpx_ne_u16_e32 0x80, v14
	s_cbranch_execz .LBB218_519
; %bb.514:                              ;   in Loop: Header=BB218_292 Depth=1
	v_mov_b64_e32 v[52:53], 0x7f800001
	v_bfe_u32 v66, v64, 16, 7
	s_mov_b32 s15, exec_lo
	s_delay_alu instid0(VALU_DEP_1)
	v_cmpx_ne_u32_e32 0x7f, v66
	s_cbranch_execz .LBB218_518
; %bb.515:                              ;   in Loop: Header=BB218_292 Depth=1
	v_dual_lshrrev_b32 v52, 3, v66 :: v_dual_bitop2_b32 v14, 7, v65 bitop3:0x40
	s_mov_b32 s16, exec_lo
	v_cmpx_gt_u32_e32 8, v66
; %bb.516:                              ;   in Loop: Header=BB218_292 Depth=1
	s_delay_alu instid0(VALU_DEP_2) | instskip(NEXT) | instid1(VALU_DEP_1)
	v_clz_i32_u32_e32 v52, v14
	v_min_u32_e32 v52, 32, v52
	s_delay_alu instid0(VALU_DEP_1) | instskip(NEXT) | instid1(VALU_DEP_1)
	v_subrev_nc_u32_e32 v53, 28, v52
	v_lshlrev_b64_e32 v[66:67], v53, v[14:15]
	s_delay_alu instid0(VALU_DEP_1)
	v_dual_sub_nc_u32 v52, 29, v52 :: v_dual_bitop2_b32 v14, 7, v66 bitop3:0x40
; %bb.517:                              ;   in Loop: Header=BB218_292 Depth=1
	s_or_b32 exec_lo, exec_lo, s16
	s_delay_alu instid0(VALU_DEP_1) | instskip(NEXT) | instid1(VALU_DEP_2)
	v_dual_lshlrev_b32 v53, 24, v65 :: v_dual_lshlrev_b32 v14, 20, v14
	v_lshl_add_u32 v52, v52, 23, 0x3c000000
	s_delay_alu instid0(VALU_DEP_2) | instskip(NEXT) | instid1(VALU_DEP_1)
	v_and_b32_e32 v53, 0x80000000, v53
	v_or3_b32 v14, v14, v53, v52
	s_delay_alu instid0(VALU_DEP_1)
	v_mov_b64_e32 v[52:53], v[14:15]
.LBB218_518:                            ;   in Loop: Header=BB218_292 Depth=1
	s_or_b32 exec_lo, exec_lo, s15
.LBB218_519:                            ;   in Loop: Header=BB218_292 Depth=1
	s_delay_alu instid0(SALU_CYCLE_1)
	s_or_b32 exec_lo, exec_lo, s14
.LBB218_520:                            ;   in Loop: Header=BB218_292 Depth=1
	s_delay_alu instid0(SALU_CYCLE_1) | instskip(NEXT) | instid1(SALU_CYCLE_1)
	s_or_b32 exec_lo, exec_lo, s11
	s_mov_b32 s11, exec_lo
	v_cmpx_lt_u32_e32 0xffffff, v64
	s_cbranch_execz .LBB218_528
; %bb.521:                              ;   in Loop: Header=BB218_292 Depth=1
	v_mov_b64_e32 v[50:51], 0x8000000000000000
	v_lshrrev_b32_e32 v65, 24, v64
	s_mov_b32 s14, exec_lo
	s_delay_alu instid0(VALU_DEP_1)
	v_cmpx_ne_u32_e32 0x80, v65
	s_cbranch_execz .LBB218_527
; %bb.522:                              ;   in Loop: Header=BB218_292 Depth=1
	v_mov_b64_e32 v[50:51], 0x7f80000100000000
	v_bfe_u32 v64, v64, 24, 7
	s_mov_b32 s15, exec_lo
	s_delay_alu instid0(VALU_DEP_1)
	v_cmpx_ne_u32_e32 0x7f, v64
	s_cbranch_execz .LBB218_526
; %bb.523:                              ;   in Loop: Header=BB218_292 Depth=1
	v_dual_lshrrev_b32 v50, 3, v64 :: v_dual_bitop2_b32 v14, 7, v65 bitop3:0x40
	s_mov_b32 s16, exec_lo
	v_cmpx_gt_u32_e32 8, v64
; %bb.524:                              ;   in Loop: Header=BB218_292 Depth=1
	s_delay_alu instid0(VALU_DEP_2) | instskip(NEXT) | instid1(VALU_DEP_1)
	v_clz_i32_u32_e32 v50, v14
	v_min_u32_e32 v50, 32, v50
	s_delay_alu instid0(VALU_DEP_1) | instskip(SKIP_1) | instid1(VALU_DEP_2)
	v_subrev_nc_u32_e32 v51, 28, v50
	v_sub_nc_u32_e32 v50, 29, v50
	v_lshlrev_b64_e32 v[66:67], v51, v[14:15]
	s_delay_alu instid0(VALU_DEP_1)
	v_and_b32_e32 v14, 7, v66
; %bb.525:                              ;   in Loop: Header=BB218_292 Depth=1
	s_or_b32 exec_lo, exec_lo, s16
	s_delay_alu instid0(VALU_DEP_1) | instskip(SKIP_1) | instid1(VALU_DEP_2)
	v_dual_lshlrev_b32 v51, 24, v65 :: v_dual_lshlrev_b32 v14, 20, v14
	v_lshl_add_u32 v50, v50, 23, 0x3c000000
	v_and_b32_e32 v51, 0x80000000, v51
	s_delay_alu instid0(VALU_DEP_1)
	v_or3_b32 v51, v14, v51, v50
	v_mov_b32_e32 v50, v15
.LBB218_526:                            ;   in Loop: Header=BB218_292 Depth=1
	s_or_b32 exec_lo, exec_lo, s15
.LBB218_527:                            ;   in Loop: Header=BB218_292 Depth=1
	s_delay_alu instid0(SALU_CYCLE_1)
	s_or_b32 exec_lo, exec_lo, s14
.LBB218_528:                            ;   in Loop: Header=BB218_292 Depth=1
	s_delay_alu instid0(SALU_CYCLE_1)
	s_or_b32 exec_lo, exec_lo, s11
	v_mov_b64_e32 v[64:65], s[2:3]
	v_or_b32_e32 v47, v47, v49
	v_or_b32_e32 v46, v46, v48
	;; [unrolled: 1-line block ×4, first 2 shown]
	s_delay_alu instid0(VALU_DEP_3) | instskip(NEXT) | instid1(VALU_DEP_2)
	v_pk_mul_f32 v[48:49], v[64:65], v[46:47]
	v_pk_mul_f32 v[46:47], v[64:65], v[50:51]
	s_and_saveexec_b32 s11, vcc_lo
	s_cbranch_execz .LBB218_530
; %bb.529:                              ;   in Loop: Header=BB218_292 Depth=1
	v_cmp_gt_i32_e64 s0, s23, v60
	s_delay_alu instid0(VALU_DEP_1) | instskip(SKIP_1) | instid1(VALU_DEP_1)
	v_cndmask_b32_e64 v48, 0, v48, s0
	v_cmp_gt_i32_e64 s0, s23, v63
	v_cndmask_b32_e64 v49, 0, v49, s0
	v_cmp_gt_i32_e64 s0, s23, v55
	s_delay_alu instid0(VALU_DEP_1) | instskip(SKIP_1) | instid1(VALU_DEP_1)
	v_cndmask_b32_e64 v46, 0, v46, s0
	v_cmp_gt_i32_e64 s0, s23, v54
	v_cndmask_b32_e64 v47, 0, v47, s0
.LBB218_530:                            ;   in Loop: Header=BB218_292 Depth=1
	s_or_b32 exec_lo, exec_lo, s11
	global_load_b32 v64, v[24:25], off offset:896
	s_wait_xcnt 0x0
	v_mov_b64_e32 v[24:25], 0
	v_mov_b64_e32 v[50:51], 0
	s_mov_b32 s11, exec_lo
	s_wait_loadcnt 0x0
	v_and_b32_e32 v14, 0xff, v64
	s_delay_alu instid0(VALU_DEP_1)
	v_cmpx_ne_u16_e32 0, v14
	s_cbranch_execz .LBB218_538
; %bb.531:                              ;   in Loop: Header=BB218_292 Depth=1
	v_mov_b64_e32 v[50:51], 0x80000000
	s_mov_b32 s14, exec_lo
	v_cmpx_ne_u16_e32 0x80, v14
	s_cbranch_execz .LBB218_537
; %bb.532:                              ;   in Loop: Header=BB218_292 Depth=1
	v_mov_b64_e32 v[50:51], 0x7f800001
	v_and_b32_e32 v52, 0x7f, v64
	s_mov_b32 s15, exec_lo
	s_delay_alu instid0(VALU_DEP_1)
	v_cmpx_ne_u32_e32 0x7f, v52
	s_cbranch_execz .LBB218_536
; %bb.533:                              ;   in Loop: Header=BB218_292 Depth=1
	v_and_b32_e32 v14, 7, v64
	v_lshrrev_b32_e32 v50, 3, v52
	s_mov_b32 s16, exec_lo
	v_cmpx_gt_u32_e32 8, v52
; %bb.534:                              ;   in Loop: Header=BB218_292 Depth=1
	s_delay_alu instid0(VALU_DEP_3) | instskip(NEXT) | instid1(VALU_DEP_1)
	v_clz_i32_u32_e32 v50, v14
	v_min_u32_e32 v50, 32, v50
	s_delay_alu instid0(VALU_DEP_1) | instskip(NEXT) | instid1(VALU_DEP_1)
	v_subrev_nc_u32_e32 v51, 28, v50
	v_lshlrev_b64_e32 v[52:53], v51, v[14:15]
	s_delay_alu instid0(VALU_DEP_1)
	v_dual_sub_nc_u32 v50, 29, v50 :: v_dual_bitop2_b32 v14, 7, v52 bitop3:0x40
; %bb.535:                              ;   in Loop: Header=BB218_292 Depth=1
	s_or_b32 exec_lo, exec_lo, s16
	s_delay_alu instid0(VALU_DEP_1) | instskip(NEXT) | instid1(VALU_DEP_2)
	v_dual_lshlrev_b32 v51, 24, v64 :: v_dual_lshlrev_b32 v14, 20, v14
	v_lshl_add_u32 v50, v50, 23, 0x3c000000
	s_delay_alu instid0(VALU_DEP_2) | instskip(NEXT) | instid1(VALU_DEP_1)
	v_and_b32_e32 v51, 0x80000000, v51
	v_or3_b32 v14, v14, v51, v50
	s_delay_alu instid0(VALU_DEP_1)
	v_mov_b64_e32 v[50:51], v[14:15]
.LBB218_536:                            ;   in Loop: Header=BB218_292 Depth=1
	s_or_b32 exec_lo, exec_lo, s15
.LBB218_537:                            ;   in Loop: Header=BB218_292 Depth=1
	s_delay_alu instid0(SALU_CYCLE_1)
	s_or_b32 exec_lo, exec_lo, s14
.LBB218_538:                            ;   in Loop: Header=BB218_292 Depth=1
	s_delay_alu instid0(SALU_CYCLE_1) | instskip(SKIP_2) | instid1(VALU_DEP_1)
	s_or_b32 exec_lo, exec_lo, s11
	v_lshrrev_b16 v14, 8, v64
	s_mov_b32 s11, exec_lo
	v_cmpx_ne_u16_e32 0, v14
	s_cbranch_execz .LBB218_546
; %bb.539:                              ;   in Loop: Header=BB218_292 Depth=1
	v_mov_b64_e32 v[24:25], 0x8000000000000000
	s_mov_b32 s14, exec_lo
	v_cmpx_ne_u16_e32 0x80, v14
	s_cbranch_execz .LBB218_545
; %bb.540:                              ;   in Loop: Header=BB218_292 Depth=1
	v_and_b32_e32 v14, 0xffff, v14
	v_mov_b64_e32 v[24:25], 0x7f80000100000000
	s_mov_b32 s15, exec_lo
	s_delay_alu instid0(VALU_DEP_2) | instskip(NEXT) | instid1(VALU_DEP_1)
	v_and_b32_e32 v52, 0x7f, v14
	v_cmpx_ne_u32_e32 0x7f, v52
	s_cbranch_execz .LBB218_544
; %bb.541:                              ;   in Loop: Header=BB218_292 Depth=1
	v_dual_lshrrev_b32 v24, 3, v52 :: v_dual_bitop2_b32 v14, 7, v14 bitop3:0x40
	s_mov_b32 s16, exec_lo
	v_cmpx_gt_u32_e32 8, v52
; %bb.542:                              ;   in Loop: Header=BB218_292 Depth=1
	s_delay_alu instid0(VALU_DEP_2) | instskip(NEXT) | instid1(VALU_DEP_1)
	v_clz_i32_u32_e32 v24, v14
	v_min_u32_e32 v24, 32, v24
	s_delay_alu instid0(VALU_DEP_1) | instskip(SKIP_1) | instid1(VALU_DEP_2)
	v_subrev_nc_u32_e32 v25, 28, v24
	v_sub_nc_u32_e32 v24, 29, v24
	v_lshlrev_b64_e32 v[52:53], v25, v[14:15]
	s_delay_alu instid0(VALU_DEP_1)
	v_and_b32_e32 v14, 7, v52
; %bb.543:                              ;   in Loop: Header=BB218_292 Depth=1
	s_or_b32 exec_lo, exec_lo, s16
	s_delay_alu instid0(VALU_DEP_1) | instskip(SKIP_1) | instid1(VALU_DEP_2)
	v_dual_lshlrev_b32 v25, 16, v64 :: v_dual_lshlrev_b32 v14, 20, v14
	v_lshl_add_u32 v24, v24, 23, 0x3c000000
	v_and_b32_e32 v25, 0x80000000, v25
	s_delay_alu instid0(VALU_DEP_1)
	v_or3_b32 v25, v14, v25, v24
	v_mov_b32_e32 v24, v15
.LBB218_544:                            ;   in Loop: Header=BB218_292 Depth=1
	s_or_b32 exec_lo, exec_lo, s15
.LBB218_545:                            ;   in Loop: Header=BB218_292 Depth=1
	s_delay_alu instid0(SALU_CYCLE_1)
	s_or_b32 exec_lo, exec_lo, s14
.LBB218_546:                            ;   in Loop: Header=BB218_292 Depth=1
	s_delay_alu instid0(SALU_CYCLE_1) | instskip(SKIP_4) | instid1(VALU_DEP_3)
	s_or_b32 exec_lo, exec_lo, s11
	v_lshrrev_b32_e32 v65, 16, v64
	v_mov_b64_e32 v[52:53], 0
	v_mov_b64_e32 v[54:55], 0
	s_mov_b32 s11, exec_lo
	v_and_b32_e32 v14, 0xff, v65
	s_delay_alu instid0(VALU_DEP_1)
	v_cmpx_ne_u16_e32 0, v14
	s_cbranch_execz .LBB218_554
; %bb.547:                              ;   in Loop: Header=BB218_292 Depth=1
	v_mov_b64_e32 v[54:55], 0x80000000
	s_mov_b32 s14, exec_lo
	v_cmpx_ne_u16_e32 0x80, v14
	s_cbranch_execz .LBB218_553
; %bb.548:                              ;   in Loop: Header=BB218_292 Depth=1
	v_mov_b64_e32 v[54:55], 0x7f800001
	v_bfe_u32 v66, v64, 16, 7
	s_mov_b32 s15, exec_lo
	s_delay_alu instid0(VALU_DEP_1)
	v_cmpx_ne_u32_e32 0x7f, v66
	s_cbranch_execz .LBB218_552
; %bb.549:                              ;   in Loop: Header=BB218_292 Depth=1
	v_dual_lshrrev_b32 v54, 3, v66 :: v_dual_bitop2_b32 v14, 7, v65 bitop3:0x40
	s_mov_b32 s16, exec_lo
	v_cmpx_gt_u32_e32 8, v66
; %bb.550:                              ;   in Loop: Header=BB218_292 Depth=1
	s_delay_alu instid0(VALU_DEP_2) | instskip(NEXT) | instid1(VALU_DEP_1)
	v_clz_i32_u32_e32 v54, v14
	v_min_u32_e32 v54, 32, v54
	s_delay_alu instid0(VALU_DEP_1) | instskip(SKIP_1) | instid1(VALU_DEP_2)
	v_subrev_nc_u32_e32 v55, 28, v54
	v_sub_nc_u32_e32 v54, 29, v54
	v_lshlrev_b64_e32 v[66:67], v55, v[14:15]
	s_delay_alu instid0(VALU_DEP_1)
	v_and_b32_e32 v14, 7, v66
; %bb.551:                              ;   in Loop: Header=BB218_292 Depth=1
	s_or_b32 exec_lo, exec_lo, s16
	s_delay_alu instid0(VALU_DEP_1) | instskip(SKIP_1) | instid1(VALU_DEP_2)
	v_dual_lshlrev_b32 v55, 24, v65 :: v_dual_lshlrev_b32 v14, 20, v14
	v_lshl_add_u32 v54, v54, 23, 0x3c000000
	v_and_b32_e32 v55, 0x80000000, v55
	s_delay_alu instid0(VALU_DEP_1) | instskip(NEXT) | instid1(VALU_DEP_1)
	v_or3_b32 v14, v14, v55, v54
	v_mov_b64_e32 v[54:55], v[14:15]
.LBB218_552:                            ;   in Loop: Header=BB218_292 Depth=1
	s_or_b32 exec_lo, exec_lo, s15
.LBB218_553:                            ;   in Loop: Header=BB218_292 Depth=1
	s_delay_alu instid0(SALU_CYCLE_1)
	s_or_b32 exec_lo, exec_lo, s14
.LBB218_554:                            ;   in Loop: Header=BB218_292 Depth=1
	s_delay_alu instid0(SALU_CYCLE_1) | instskip(NEXT) | instid1(SALU_CYCLE_1)
	s_or_b32 exec_lo, exec_lo, s11
	s_mov_b32 s11, exec_lo
	v_cmpx_lt_u32_e32 0xffffff, v64
	s_cbranch_execz .LBB218_562
; %bb.555:                              ;   in Loop: Header=BB218_292 Depth=1
	v_mov_b64_e32 v[52:53], 0x8000000000000000
	v_lshrrev_b32_e32 v65, 24, v64
	s_mov_b32 s14, exec_lo
	s_delay_alu instid0(VALU_DEP_1)
	v_cmpx_ne_u32_e32 0x80, v65
	s_cbranch_execz .LBB218_561
; %bb.556:                              ;   in Loop: Header=BB218_292 Depth=1
	v_mov_b64_e32 v[52:53], 0x7f80000100000000
	v_bfe_u32 v64, v64, 24, 7
	s_mov_b32 s15, exec_lo
	s_delay_alu instid0(VALU_DEP_1)
	v_cmpx_ne_u32_e32 0x7f, v64
	s_cbranch_execz .LBB218_560
; %bb.557:                              ;   in Loop: Header=BB218_292 Depth=1
	v_dual_lshrrev_b32 v52, 3, v64 :: v_dual_bitop2_b32 v14, 7, v65 bitop3:0x40
	s_mov_b32 s16, exec_lo
	v_cmpx_gt_u32_e32 8, v64
; %bb.558:                              ;   in Loop: Header=BB218_292 Depth=1
	s_delay_alu instid0(VALU_DEP_2) | instskip(NEXT) | instid1(VALU_DEP_1)
	v_clz_i32_u32_e32 v52, v14
	v_min_u32_e32 v52, 32, v52
	s_delay_alu instid0(VALU_DEP_1) | instskip(NEXT) | instid1(VALU_DEP_1)
	v_subrev_nc_u32_e32 v53, 28, v52
	v_lshlrev_b64_e32 v[66:67], v53, v[14:15]
	s_delay_alu instid0(VALU_DEP_1)
	v_dual_sub_nc_u32 v52, 29, v52 :: v_dual_bitop2_b32 v14, 7, v66 bitop3:0x40
; %bb.559:                              ;   in Loop: Header=BB218_292 Depth=1
	s_or_b32 exec_lo, exec_lo, s16
	s_delay_alu instid0(VALU_DEP_1) | instskip(NEXT) | instid1(VALU_DEP_2)
	v_dual_lshlrev_b32 v53, 24, v65 :: v_dual_lshlrev_b32 v14, 20, v14
	v_lshl_add_u32 v52, v52, 23, 0x3c000000
	s_delay_alu instid0(VALU_DEP_2) | instskip(NEXT) | instid1(VALU_DEP_1)
	v_and_b32_e32 v53, 0x80000000, v53
	v_or3_b32 v53, v14, v53, v52
	v_mov_b32_e32 v52, v15
.LBB218_560:                            ;   in Loop: Header=BB218_292 Depth=1
	s_or_b32 exec_lo, exec_lo, s15
.LBB218_561:                            ;   in Loop: Header=BB218_292 Depth=1
	s_delay_alu instid0(SALU_CYCLE_1)
	s_or_b32 exec_lo, exec_lo, s14
.LBB218_562:                            ;   in Loop: Header=BB218_292 Depth=1
	s_delay_alu instid0(SALU_CYCLE_1)
	s_or_b32 exec_lo, exec_lo, s11
	v_mov_b64_e32 v[64:65], s[2:3]
	v_or_b32_e32 v25, v25, v51
	v_or_b32_e32 v24, v24, v50
	;; [unrolled: 1-line block ×4, first 2 shown]
	s_delay_alu instid0(VALU_DEP_3) | instskip(NEXT) | instid1(VALU_DEP_2)
	v_pk_mul_f32 v[50:51], v[64:65], v[24:25]
	v_pk_mul_f32 v[24:25], v[64:65], v[52:53]
	s_and_saveexec_b32 s0, vcc_lo
	s_cbranch_execz .LBB218_291
; %bb.563:                              ;   in Loop: Header=BB218_292 Depth=1
	v_cmp_gt_i32_e32 vcc_lo, s10, v63
	v_dual_cndmask_b32 v51, 0, v51, vcc_lo :: v_dual_bitop2_b32 v14, 3, v60 bitop3:0x54
	v_cmp_gt_i32_e32 vcc_lo, s23, v60
	v_dual_cndmask_b32 v50, 0, v50, vcc_lo :: v_dual_bitop2_b32 v52, 2, v60 bitop3:0x54
	s_delay_alu instid0(VALU_DEP_3) | instskip(SKIP_1) | instid1(VALU_DEP_3)
	v_cmp_gt_i32_e32 vcc_lo, s10, v14
	v_cndmask_b32_e32 v25, 0, v25, vcc_lo
	v_cmp_gt_i32_e32 vcc_lo, s23, v52
	v_cndmask_b32_e32 v24, 0, v24, vcc_lo
	s_branch .LBB218_291
.LBB218_564:
	s_or_b32 exec_lo, exec_lo, s9
.LBB218_565:
	s_delay_alu instid0(SALU_CYCLE_1)
	s_or_b32 exec_lo, exec_lo, s1
	ds_bpermute_b32 v2, v58, v12
	ds_bpermute_b32 v3, v58, v13
	;; [unrolled: 1-line block ×8, first 2 shown]
	s_mov_b32 s0, exec_lo
	s_wait_dscnt 0x0
	s_barrier_signal -1
	s_barrier_wait -1
	v_pk_add_f32 v[2:3], v[12:13], v[2:3]
	v_pk_add_f32 v[4:5], v[10:11], v[4:5]
	;; [unrolled: 1-line block ×3, first 2 shown]
	ds_bpermute_b32 v10, v57, v2
	v_pk_add_f32 v[6:7], v[6:7], v[16:17]
	ds_bpermute_b32 v11, v57, v3
	ds_bpermute_b32 v12, v57, v4
	;; [unrolled: 1-line block ×7, first 2 shown]
	s_wait_dscnt 0x6
	v_pk_add_f32 v[2:3], v[2:3], v[10:11]
	s_wait_dscnt 0x4
	v_pk_add_f32 v[4:5], v[4:5], v[12:13]
	v_and_b32_e32 v13, 0x3c7, v0
	s_wait_dscnt 0x2
	v_pk_add_f32 v[14:15], v[8:9], v[14:15]
	v_lshrrev_b32_e32 v12, 3, v104
	s_wait_dscnt 0x0
	v_pk_add_f32 v[8:9], v[6:7], v[16:17]
	ds_bpermute_b32 v6, v56, v2
	ds_bpermute_b32 v7, v56, v3
	;; [unrolled: 1-line block ×8, first 2 shown]
	s_wait_dscnt 0x6
	v_pk_add_f32 v[6:7], v[2:3], v[6:7]
	s_wait_dscnt 0x4
	v_pk_add_f32 v[4:5], v[4:5], v[16:17]
	;; [unrolled: 2-line block ×3, first 2 shown]
	v_cmpx_ne_u32_e32 64, v13
	s_xor_b32 s0, exec_lo, s0
; %bb.566:
                                        ; implicit-def: $vgpr1
; %bb.567:
	s_delay_alu instid0(SALU_CYCLE_1)
	s_or_saveexec_b32 s0, s0
	s_wait_dscnt 0x0
	v_pk_add_f32 v[8:9], v[8:9], v[10:11]
	v_lshl_add_u32 v10, v12, 2, 0xa0
	s_xor_b32 exec_lo, exec_lo, s0
	s_cbranch_execz .LBB218_569
; %bb.568:
	s_delay_alu instid0(VALU_DEP_1) | instskip(NEXT) | instid1(VALU_DEP_1)
	v_lshl_add_u32 v1, v1, 7, v10
	v_add_nc_u32_e32 v11, 0xffffff00, v1
	v_add_nc_u32_e32 v13, 0xffffff10, v1
	;; [unrolled: 1-line block ×8, first 2 shown]
	ds_store_b32 v11, v6
	ds_store_b32 v13, v7
	;; [unrolled: 1-line block ×8, first 2 shown]
.LBB218_569:
	s_or_b32 exec_lo, exec_lo, s0
	v_and_b32_e32 v1, 0x3e0, v0
	v_lshlrev_b32_e32 v11, 2, v12
	s_mov_b32 s1, exec_lo
	v_cmp_eq_u32_e32 vcc_lo, 0, v59
	s_wait_dscnt 0x0
	v_lshlrev_b32_e32 v1, 2, v1
	s_barrier_signal -1
	s_barrier_wait -1
	s_delay_alu instid0(VALU_DEP_1)
	v_add3_u32 v1, 0xa0, v1, v11
	v_cmpx_gt_u32_e32 64, v0
	s_cbranch_execz .LBB218_580
; %bb.570:
	s_and_saveexec_b32 s0, vcc_lo
	s_cbranch_execnz .LBB218_596
; %bb.571:
	s_or_b32 exec_lo, exec_lo, s0
	s_and_saveexec_b32 s0, vcc_lo
	s_cbranch_execnz .LBB218_597
.LBB218_572:
	s_or_b32 exec_lo, exec_lo, s0
	s_and_saveexec_b32 s0, vcc_lo
	s_cbranch_execnz .LBB218_598
.LBB218_573:
	s_or_b32 exec_lo, exec_lo, s0
	s_and_saveexec_b32 s0, vcc_lo
	s_cbranch_execnz .LBB218_599
.LBB218_574:
	s_or_b32 exec_lo, exec_lo, s0
	s_and_saveexec_b32 s0, vcc_lo
	s_cbranch_execnz .LBB218_600
.LBB218_575:
	s_or_b32 exec_lo, exec_lo, s0
	s_and_saveexec_b32 s0, vcc_lo
	s_cbranch_execnz .LBB218_601
.LBB218_576:
	s_or_b32 exec_lo, exec_lo, s0
	s_and_saveexec_b32 s0, vcc_lo
	s_cbranch_execnz .LBB218_602
.LBB218_577:
	s_or_b32 exec_lo, exec_lo, s0
	s_and_saveexec_b32 s0, vcc_lo
	s_cbranch_execz .LBB218_579
.LBB218_578:
	ds_load_b32 v11, v1 offset:112
	s_wait_dscnt 0x0
	v_add_f32_e32 v9, v9, v11
.LBB218_579:
	s_or_b32 exec_lo, exec_lo, s0
.LBB218_580:
	s_delay_alu instid0(SALU_CYCLE_1) | instskip(SKIP_4) | instid1(VALU_DEP_1)
	s_or_b32 exec_lo, exec_lo, s1
	v_and_b32_e32 v11, 0x3e7, v0
	s_mov_b32 s1, exec_lo
	s_barrier_signal -1
	s_barrier_wait -1
	v_cmpx_eq_u32_e32 32, v11
	s_cbranch_execz .LBB218_582
; %bb.581:
	ds_store_2addr_b32 v10, v6, v7 offset1:4
	ds_store_2addr_b32 v10, v4, v5 offset0:8 offset1:12
	ds_store_2addr_b32 v10, v2, v3 offset0:16 offset1:20
	;; [unrolled: 1-line block ×3, first 2 shown]
.LBB218_582:
	s_or_b32 exec_lo, exec_lo, s1
	s_delay_alu instid0(SALU_CYCLE_1)
	s_mov_b32 s1, exec_lo
	s_wait_dscnt 0x0
	s_barrier_signal -1
	s_barrier_wait -1
	v_cmpx_gt_u32_e32 32, v0
	s_cbranch_execz .LBB218_593
; %bb.583:
	s_and_saveexec_b32 s0, vcc_lo
	s_cbranch_execnz .LBB218_603
; %bb.584:
	s_or_b32 exec_lo, exec_lo, s0
	s_and_saveexec_b32 s0, vcc_lo
	s_cbranch_execnz .LBB218_604
.LBB218_585:
	s_or_b32 exec_lo, exec_lo, s0
	s_and_saveexec_b32 s0, vcc_lo
	s_cbranch_execnz .LBB218_605
.LBB218_586:
	s_or_b32 exec_lo, exec_lo, s0
	s_and_saveexec_b32 s0, vcc_lo
	s_cbranch_execnz .LBB218_606
.LBB218_587:
	s_or_b32 exec_lo, exec_lo, s0
	s_and_saveexec_b32 s0, vcc_lo
	s_cbranch_execnz .LBB218_607
.LBB218_588:
	s_or_b32 exec_lo, exec_lo, s0
	s_and_saveexec_b32 s0, vcc_lo
	s_cbranch_execnz .LBB218_608
.LBB218_589:
	s_or_b32 exec_lo, exec_lo, s0
	s_and_saveexec_b32 s0, vcc_lo
	s_cbranch_execnz .LBB218_609
.LBB218_590:
	s_or_b32 exec_lo, exec_lo, s0
	s_and_saveexec_b32 s0, vcc_lo
	s_cbranch_execz .LBB218_592
.LBB218_591:
	ds_load_b32 v1, v1 offset:112
	s_wait_dscnt 0x0
	v_add_f32_e32 v9, v9, v1
.LBB218_592:
	s_or_b32 exec_lo, exec_lo, s0
.LBB218_593:
	s_delay_alu instid0(SALU_CYCLE_1)
	s_or_b32 exec_lo, exec_lo, s1
	s_mov_b32 s1, 0
	s_barrier_signal -1
	s_barrier_wait -1
	s_mov_b32 s0, exec_lo
	v_cmpx_eq_u32_e32 0, v11
	s_cbranch_execz .LBB218_595
; %bb.594:
	s_mul_i32 s0, s22, s8
	s_mul_i32 s2, s8, s12
	;; [unrolled: 1-line block ×3, first 2 shown]
	s_lshr_b32 s8, ttmp7, 16
	s_lshl_b32 s6, s0, 5
	s_bfe_u32 s0, ttmp6, 0x40014
	s_ashr_i32 s7, s6, 31
	s_add_co_i32 s0, s0, 1
	s_lshl_b64 s[6:7], s[6:7], 2
	s_ashr_i32 s3, s2, 31
	s_wait_kmcnt 0x0
	s_add_nc_u64 s[4:5], s[4:5], s[6:7]
	s_mul_i32 s0, s8, s0
	s_bfe_u32 s6, ttmp6, 0x40008
	s_lshl_b64 s[2:3], s[2:3], 2
	s_add_co_i32 s6, s6, s0
	s_cmp_eq_u32 s20, 0
	v_lshrrev_b32_e32 v0, 1, v0
	s_cselect_b32 s0, s8, s6
	s_add_nc_u64 s[2:3], s[4:5], s[2:3]
	s_lshl_b32 s0, s0, 7
	s_delay_alu instid0(SALU_CYCLE_1)
	s_add_nc_u64 s[0:1], s[2:3], s[0:1]
	s_clause 0x7
	global_store_b32 v0, v6, s[0:1]
	global_store_b32 v0, v7, s[0:1] offset:16
	global_store_b32 v0, v4, s[0:1] offset:32
	;; [unrolled: 1-line block ×7, first 2 shown]
.LBB218_595:
	s_sendmsg sendmsg(MSG_DEALLOC_VGPRS)
	s_endpgm
.LBB218_596:
	ds_load_b32 v11, v1
	s_wait_dscnt 0x0
	v_add_f32_e32 v6, v6, v11
	s_or_b32 exec_lo, exec_lo, s0
	s_and_saveexec_b32 s0, vcc_lo
	s_cbranch_execz .LBB218_572
.LBB218_597:
	ds_load_b32 v11, v1 offset:16
	s_wait_dscnt 0x0
	v_add_f32_e32 v7, v7, v11
	s_or_b32 exec_lo, exec_lo, s0
	s_and_saveexec_b32 s0, vcc_lo
	s_cbranch_execz .LBB218_573
.LBB218_598:
	ds_load_b32 v11, v1 offset:32
	s_wait_dscnt 0x0
	v_add_f32_e32 v4, v4, v11
	s_or_b32 exec_lo, exec_lo, s0
	s_and_saveexec_b32 s0, vcc_lo
	s_cbranch_execz .LBB218_574
.LBB218_599:
	ds_load_b32 v11, v1 offset:48
	s_wait_dscnt 0x0
	v_add_f32_e32 v5, v5, v11
	s_or_b32 exec_lo, exec_lo, s0
	s_and_saveexec_b32 s0, vcc_lo
	s_cbranch_execz .LBB218_575
.LBB218_600:
	ds_load_b32 v11, v1 offset:64
	s_wait_dscnt 0x0
	v_add_f32_e32 v2, v2, v11
	s_or_b32 exec_lo, exec_lo, s0
	s_and_saveexec_b32 s0, vcc_lo
	s_cbranch_execz .LBB218_576
.LBB218_601:
	ds_load_b32 v11, v1 offset:80
	s_wait_dscnt 0x0
	v_add_f32_e32 v3, v3, v11
	s_or_b32 exec_lo, exec_lo, s0
	s_and_saveexec_b32 s0, vcc_lo
	s_cbranch_execz .LBB218_577
.LBB218_602:
	ds_load_b32 v11, v1 offset:96
	s_wait_dscnt 0x0
	v_add_f32_e32 v8, v8, v11
	s_or_b32 exec_lo, exec_lo, s0
	s_and_saveexec_b32 s0, vcc_lo
	s_cbranch_execnz .LBB218_578
	s_branch .LBB218_579
.LBB218_603:
	ds_load_b32 v10, v1
	s_wait_dscnt 0x0
	v_add_f32_e32 v6, v6, v10
	s_or_b32 exec_lo, exec_lo, s0
	s_and_saveexec_b32 s0, vcc_lo
	s_cbranch_execz .LBB218_585
.LBB218_604:
	ds_load_b32 v10, v1 offset:16
	s_wait_dscnt 0x0
	v_add_f32_e32 v7, v7, v10
	s_or_b32 exec_lo, exec_lo, s0
	s_and_saveexec_b32 s0, vcc_lo
	s_cbranch_execz .LBB218_586
.LBB218_605:
	ds_load_b32 v10, v1 offset:32
	s_wait_dscnt 0x0
	v_add_f32_e32 v4, v4, v10
	s_or_b32 exec_lo, exec_lo, s0
	s_and_saveexec_b32 s0, vcc_lo
	s_cbranch_execz .LBB218_587
.LBB218_606:
	ds_load_b32 v10, v1 offset:48
	s_wait_dscnt 0x0
	v_add_f32_e32 v5, v5, v10
	s_or_b32 exec_lo, exec_lo, s0
	s_and_saveexec_b32 s0, vcc_lo
	s_cbranch_execz .LBB218_588
.LBB218_607:
	ds_load_b32 v10, v1 offset:64
	s_wait_dscnt 0x0
	v_add_f32_e32 v2, v2, v10
	s_or_b32 exec_lo, exec_lo, s0
	s_and_saveexec_b32 s0, vcc_lo
	s_cbranch_execz .LBB218_589
.LBB218_608:
	ds_load_b32 v10, v1 offset:80
	s_wait_dscnt 0x0
	v_add_f32_e32 v3, v3, v10
	s_or_b32 exec_lo, exec_lo, s0
	s_and_saveexec_b32 s0, vcc_lo
	s_cbranch_execz .LBB218_590
.LBB218_609:
	ds_load_b32 v10, v1 offset:96
	s_wait_dscnt 0x0
	v_add_f32_e32 v8, v8, v10
	s_or_b32 exec_lo, exec_lo, s0
	s_and_saveexec_b32 s0, vcc_lo
	s_cbranch_execnz .LBB218_591
	s_branch .LBB218_592
	.section	.rodata,"a",@progbits
	.p2align	6, 0x0
	.amdhsa_kernel _ZN4vllm25paged_attention_v1_kernelIfhLi32ELi32ELi128ELNS_18Fp8KVCacheDataTypeE1ELb0EEEvPT_PKS2_PKT0_S8_ifPKiSA_iPKfiiiSC_SC_iiiii
		.amdhsa_group_segment_fixed_size 160
		.amdhsa_private_segment_fixed_size 0
		.amdhsa_kernarg_size 384
		.amdhsa_user_sgpr_count 2
		.amdhsa_user_sgpr_dispatch_ptr 0
		.amdhsa_user_sgpr_queue_ptr 0
		.amdhsa_user_sgpr_kernarg_segment_ptr 1
		.amdhsa_user_sgpr_dispatch_id 0
		.amdhsa_user_sgpr_kernarg_preload_length 0
		.amdhsa_user_sgpr_kernarg_preload_offset 0
		.amdhsa_user_sgpr_private_segment_size 0
		.amdhsa_wavefront_size32 1
		.amdhsa_uses_dynamic_stack 0
		.amdhsa_enable_private_segment 0
		.amdhsa_system_sgpr_workgroup_id_x 1
		.amdhsa_system_sgpr_workgroup_id_y 1
		.amdhsa_system_sgpr_workgroup_id_z 1
		.amdhsa_system_sgpr_workgroup_info 0
		.amdhsa_system_vgpr_workitem_id 0
		.amdhsa_next_free_vgpr 116
		.amdhsa_next_free_sgpr 31
		.amdhsa_named_barrier_count 0
		.amdhsa_reserve_vcc 1
		.amdhsa_float_round_mode_32 0
		.amdhsa_float_round_mode_16_64 0
		.amdhsa_float_denorm_mode_32 3
		.amdhsa_float_denorm_mode_16_64 3
		.amdhsa_fp16_overflow 0
		.amdhsa_memory_ordered 1
		.amdhsa_forward_progress 1
		.amdhsa_inst_pref_size 163
		.amdhsa_round_robin_scheduling 0
		.amdhsa_exception_fp_ieee_invalid_op 0
		.amdhsa_exception_fp_denorm_src 0
		.amdhsa_exception_fp_ieee_div_zero 0
		.amdhsa_exception_fp_ieee_overflow 0
		.amdhsa_exception_fp_ieee_underflow 0
		.amdhsa_exception_fp_ieee_inexact 0
		.amdhsa_exception_int_div_zero 0
	.end_amdhsa_kernel
	.section	.text._ZN4vllm25paged_attention_v1_kernelIfhLi32ELi32ELi128ELNS_18Fp8KVCacheDataTypeE1ELb0EEEvPT_PKS2_PKT0_S8_ifPKiSA_iPKfiiiSC_SC_iiiii,"axG",@progbits,_ZN4vllm25paged_attention_v1_kernelIfhLi32ELi32ELi128ELNS_18Fp8KVCacheDataTypeE1ELb0EEEvPT_PKS2_PKT0_S8_ifPKiSA_iPKfiiiSC_SC_iiiii,comdat
.Lfunc_end218:
	.size	_ZN4vllm25paged_attention_v1_kernelIfhLi32ELi32ELi128ELNS_18Fp8KVCacheDataTypeE1ELb0EEEvPT_PKS2_PKT0_S8_ifPKiSA_iPKfiiiSC_SC_iiiii, .Lfunc_end218-_ZN4vllm25paged_attention_v1_kernelIfhLi32ELi32ELi128ELNS_18Fp8KVCacheDataTypeE1ELb0EEEvPT_PKS2_PKT0_S8_ifPKiSA_iPKfiiiSC_SC_iiiii
                                        ; -- End function
	.set _ZN4vllm25paged_attention_v1_kernelIfhLi32ELi32ELi128ELNS_18Fp8KVCacheDataTypeE1ELb0EEEvPT_PKS2_PKT0_S8_ifPKiSA_iPKfiiiSC_SC_iiiii.num_vgpr, 116
	.set _ZN4vllm25paged_attention_v1_kernelIfhLi32ELi32ELi128ELNS_18Fp8KVCacheDataTypeE1ELb0EEEvPT_PKS2_PKT0_S8_ifPKiSA_iPKfiiiSC_SC_iiiii.num_agpr, 0
	.set _ZN4vllm25paged_attention_v1_kernelIfhLi32ELi32ELi128ELNS_18Fp8KVCacheDataTypeE1ELb0EEEvPT_PKS2_PKT0_S8_ifPKiSA_iPKfiiiSC_SC_iiiii.numbered_sgpr, 31
	.set _ZN4vllm25paged_attention_v1_kernelIfhLi32ELi32ELi128ELNS_18Fp8KVCacheDataTypeE1ELb0EEEvPT_PKS2_PKT0_S8_ifPKiSA_iPKfiiiSC_SC_iiiii.num_named_barrier, 0
	.set _ZN4vllm25paged_attention_v1_kernelIfhLi32ELi32ELi128ELNS_18Fp8KVCacheDataTypeE1ELb0EEEvPT_PKS2_PKT0_S8_ifPKiSA_iPKfiiiSC_SC_iiiii.private_seg_size, 0
	.set _ZN4vllm25paged_attention_v1_kernelIfhLi32ELi32ELi128ELNS_18Fp8KVCacheDataTypeE1ELb0EEEvPT_PKS2_PKT0_S8_ifPKiSA_iPKfiiiSC_SC_iiiii.uses_vcc, 1
	.set _ZN4vllm25paged_attention_v1_kernelIfhLi32ELi32ELi128ELNS_18Fp8KVCacheDataTypeE1ELb0EEEvPT_PKS2_PKT0_S8_ifPKiSA_iPKfiiiSC_SC_iiiii.uses_flat_scratch, 0
	.set _ZN4vllm25paged_attention_v1_kernelIfhLi32ELi32ELi128ELNS_18Fp8KVCacheDataTypeE1ELb0EEEvPT_PKS2_PKT0_S8_ifPKiSA_iPKfiiiSC_SC_iiiii.has_dyn_sized_stack, 0
	.set _ZN4vllm25paged_attention_v1_kernelIfhLi32ELi32ELi128ELNS_18Fp8KVCacheDataTypeE1ELb0EEEvPT_PKS2_PKT0_S8_ifPKiSA_iPKfiiiSC_SC_iiiii.has_recursion, 0
	.set _ZN4vllm25paged_attention_v1_kernelIfhLi32ELi32ELi128ELNS_18Fp8KVCacheDataTypeE1ELb0EEEvPT_PKS2_PKT0_S8_ifPKiSA_iPKfiiiSC_SC_iiiii.has_indirect_call, 0
	.section	.AMDGPU.csdata,"",@progbits
; Kernel info:
; codeLenInByte = 20828
; TotalNumSgprs: 33
; NumVgprs: 116
; ScratchSize: 0
; MemoryBound: 0
; FloatMode: 240
; IeeeMode: 1
; LDSByteSize: 160 bytes/workgroup (compile time only)
; SGPRBlocks: 0
; VGPRBlocks: 7
; NumSGPRsForWavesPerEU: 33
; NumVGPRsForWavesPerEU: 116
; NamedBarCnt: 0
; Occupancy: 8
; WaveLimiterHint : 1
; COMPUTE_PGM_RSRC2:SCRATCH_EN: 0
; COMPUTE_PGM_RSRC2:USER_SGPR: 2
; COMPUTE_PGM_RSRC2:TRAP_HANDLER: 0
; COMPUTE_PGM_RSRC2:TGID_X_EN: 1
; COMPUTE_PGM_RSRC2:TGID_Y_EN: 1
; COMPUTE_PGM_RSRC2:TGID_Z_EN: 1
; COMPUTE_PGM_RSRC2:TIDIG_COMP_CNT: 0
	.section	.text._ZN4vllm25paged_attention_v1_kernelIfhLi64ELi32ELi128ELNS_18Fp8KVCacheDataTypeE1ELb0EEEvPT_PKS2_PKT0_S8_ifPKiSA_iPKfiiiSC_SC_iiiii,"axG",@progbits,_ZN4vllm25paged_attention_v1_kernelIfhLi64ELi32ELi128ELNS_18Fp8KVCacheDataTypeE1ELb0EEEvPT_PKS2_PKT0_S8_ifPKiSA_iPKfiiiSC_SC_iiiii,comdat
	.protected	_ZN4vllm25paged_attention_v1_kernelIfhLi64ELi32ELi128ELNS_18Fp8KVCacheDataTypeE1ELb0EEEvPT_PKS2_PKT0_S8_ifPKiSA_iPKfiiiSC_SC_iiiii ; -- Begin function _ZN4vllm25paged_attention_v1_kernelIfhLi64ELi32ELi128ELNS_18Fp8KVCacheDataTypeE1ELb0EEEvPT_PKS2_PKT0_S8_ifPKiSA_iPKfiiiSC_SC_iiiii
	.globl	_ZN4vllm25paged_attention_v1_kernelIfhLi64ELi32ELi128ELNS_18Fp8KVCacheDataTypeE1ELb0EEEvPT_PKS2_PKT0_S8_ifPKiSA_iPKfiiiSC_SC_iiiii
	.p2align	8
	.type	_ZN4vllm25paged_attention_v1_kernelIfhLi64ELi32ELi128ELNS_18Fp8KVCacheDataTypeE1ELb0EEEvPT_PKS2_PKT0_S8_ifPKiSA_iPKfiiiSC_SC_iiiii,@function
_ZN4vllm25paged_attention_v1_kernelIfhLi64ELi32ELi128ELNS_18Fp8KVCacheDataTypeE1ELb0EEEvPT_PKS2_PKT0_S8_ifPKiSA_iPKfiiiSC_SC_iiiii: ; @_ZN4vllm25paged_attention_v1_kernelIfhLi64ELi32ELi128ELNS_18Fp8KVCacheDataTypeE1ELb0EEEvPT_PKS2_PKT0_S8_ifPKiSA_iPKfiiiSC_SC_iiiii
; %bb.0:
	s_load_b64 s[18:19], s[0:1], 0x20
	s_bfe_u32 s3, ttmp6, 0x4000c
	s_bfe_u32 s5, ttmp6, 0x40010
	s_and_b32 s4, ttmp7, 0xffff
	s_add_co_i32 s3, s3, 1
	s_add_co_i32 s5, s5, 1
	s_and_b32 s2, ttmp6, 15
	s_bfe_u32 s6, ttmp6, 0x40004
	s_mul_i32 s3, ttmp9, s3
	s_mul_i32 s5, s4, s5
	s_getreg_b32 s24, hwreg(HW_REG_IB_STS2, 6, 4)
	s_add_co_i32 s2, s2, s3
	s_add_co_i32 s3, s6, s5
	s_cmp_eq_u32 s24, 0
	scratch_store_b32 off, v0, off offset:312 ; 4-byte Folded Spill
	s_cselect_b32 s26, s4, s3
	s_cselect_b32 s4, ttmp9, s2
	s_clause 0x1
	s_load_b32 s25, s[0:1], 0x80
	s_load_b64 s[6:7], s[0:1], 0x30
	s_wait_kmcnt 0x0
	s_abs_i32 s2, s18
	s_delay_alu instid0(SALU_CYCLE_1) | instskip(SKIP_1) | instid1(SALU_CYCLE_2)
	s_cvt_f32_u32 s3, s2
	s_sub_co_i32 s5, 0, s2
	v_rcp_iflag_f32_e32 v0, s3
	v_nop
	s_delay_alu instid0(TRANS32_DEP_1) | instskip(SKIP_2) | instid1(SALU_CYCLE_3)
	v_readfirstlane_b32 s3, v0
	s_abs_i32 s8, s25
	s_mul_f32 s3, s3, 0x4f7ffffe
	s_cvt_u32_f32 s3, s3
	s_delay_alu instid0(SALU_CYCLE_3) | instskip(NEXT) | instid1(SALU_CYCLE_1)
	s_mul_i32 s5, s5, s3
	s_mul_hi_u32 s5, s3, s5
	s_delay_alu instid0(SALU_CYCLE_1) | instskip(SKIP_4) | instid1(SALU_CYCLE_1)
	s_add_co_i32 s3, s3, s5
	s_xor_b32 s5, s25, s18
	s_mul_hi_u32 s3, s8, s3
	s_ashr_i32 s5, s5, 31
	s_mul_i32 s9, s3, s2
	s_sub_co_i32 s8, s8, s9
	s_add_co_i32 s9, s3, 1
	s_sub_co_i32 s10, s8, s2
	s_cmp_ge_u32 s8, s2
	s_cselect_b32 s3, s9, s3
	s_cselect_b32 s8, s10, s8
	s_add_co_i32 s9, s3, 1
	s_cmp_ge_u32 s8, s2
	s_cselect_b32 s2, s9, s3
	s_load_b64 s[8:9], s[0:1], 0x40
	s_xor_b32 s2, s2, s5
	s_mov_b32 s3, 0
	s_sub_co_i32 s14, s2, s5
	s_mov_b32 s13, s3
	s_abs_i32 s11, s14
	s_mov_b32 s18, s3
	s_cvt_f32_u32 s2, s11
	s_delay_alu instid0(SALU_CYCLE_3) | instskip(SKIP_1) | instid1(TRANS32_DEP_1)
	v_rcp_iflag_f32_e32 v0, s2
	v_nop
	v_readfirstlane_b32 s2, v0
	s_mul_f32 s2, s2, 0x4f7ffffe
	s_delay_alu instid0(SALU_CYCLE_3) | instskip(SKIP_1) | instid1(SALU_CYCLE_2)
	s_cvt_u32_f32 s5, s2
	s_sub_co_i32 s2, 0, s11
	s_mul_i32 s2, s2, s5
	s_delay_alu instid0(SALU_CYCLE_1)
	s_mul_hi_u32 s10, s5, s2
	s_abs_i32 s2, s4
	s_add_co_i32 s12, s5, s10
	s_wait_kmcnt 0x0
	s_cmp_eq_u64 s[8:9], 0
	s_cbranch_scc1 .LBB219_2
; %bb.1:
	s_ashr_i32 s5, s4, 31
	s_delay_alu instid0(SALU_CYCLE_1) | instskip(NEXT) | instid1(SALU_CYCLE_1)
	s_lshl_b64 s[16:17], s[4:5], 2
	s_add_nc_u64 s[8:9], s[8:9], s[16:17]
	s_load_b32 s18, s[8:9], 0x0
.LBB219_2:
	s_load_b32 s27, s[6:7], s26 offset:0x0 scale_offset
	s_wait_xcnt 0x0
	s_load_b96 s[8:10], s[0:1], 0x48
	scratch_load_b32 v0, off, off offset:312 ; 4-byte Folded Reload
	s_ashr_i32 s5, s4, 31
	s_ashr_i32 s6, s14, 31
	s_mul_u64 s[16:17], s[2:3], s[12:13]
	s_lshl_b32 s12, s4, 6
	s_mov_b32 s3, exec_lo
	s_wait_loadcnt 0x0
	v_cmpx_gt_u32_e32 16, v0
	s_cbranch_execz .LBB219_4
; %bb.3:
	scratch_load_b32 v0, off, off offset:312 ; 4-byte Folded Reload
	s_load_b64 s[14:15], s[0:1], 0x8
	s_wait_kmcnt 0x0
	s_mul_i32 s20, s8, s26
	s_ashr_i32 s13, s12, 31
	s_ashr_i32 s21, s20, 31
	s_delay_alu instid0(SALU_CYCLE_1) | instskip(NEXT) | instid1(SALU_CYCLE_1)
	s_lshl_b64 s[20:21], s[20:21], 2
	s_add_nc_u64 s[14:15], s[14:15], s[20:21]
	s_lshl_b64 s[20:21], s[12:13], 2
	s_delay_alu instid0(SALU_CYCLE_1)
	s_add_nc_u64 s[14:15], s[14:15], s[20:21]
	s_wait_loadcnt 0x0
	global_load_b128 v[0:3], v0, s[14:15] scale_offset
	scratch_load_b32 v4, off, off offset:312 ; 4-byte Folded Reload
	s_wait_loadcnt 0x0
	v_lshlrev_b32_e32 v4, 4, v4
	ds_store_b128 v4, v[0:3]
	scratch_load_b32 v0, off, off offset:312 ; 4-byte Folded Reload
.LBB219_4:
	s_wait_xcnt 0x0
	s_or_b32 exec_lo, exec_lo, s3
	s_wait_kmcnt 0x0
	s_add_co_i32 s3, s27, 31
	s_clause 0x1
	s_load_b64 s[14:15], s[0:1], 0x28
	s_load_b32 s16, s[0:1], 0x38
	s_ashr_i32 s4, s3, 31
	s_xor_b32 s20, s5, s6
	s_lshr_b32 s4, s4, 27
	s_wait_loadcnt 0x0
	v_dual_lshrrev_b32 v1, 5, v0 :: v_dual_bitop2_b32 v2, 31, v0 bitop3:0x40
	s_add_co_i32 s3, s3, s4
	s_mul_i32 s4, s17, s11
	s_ashr_i32 s13, s3, 5
	s_sub_co_i32 s2, s2, s4
	s_clause 0x1
	s_load_b32 s8, s[0:1], 0x88
	s_load_b128 s[4:7], s[0:1], 0x58
	s_add_co_i32 s3, s17, 1
	s_sub_co_i32 s21, s2, s11
	s_cmp_ge_u32 s2, s11
	v_mov_b32_e32 v72, 0xff7fffff
	s_cselect_b32 s3, s3, s17
	s_cselect_b32 s2, s21, s2
	s_add_co_i32 s17, s3, 1
	s_cmp_ge_u32 s2, s11
	v_dual_lshlrev_b32 v8, 2, v2 :: v_dual_lshrrev_b32 v26, 3, v0
	s_cselect_b32 s2, s17, s3
	s_wait_kmcnt 0x0
	s_mul_i32 s16, s16, s26
	s_xor_b32 s2, s2, s20
	s_ashr_i32 s17, s16, 31
	s_sub_co_i32 s3, s2, s20
	v_cmp_gt_i32_e64 s2, s13, v1
	s_mul_i32 s10, s3, s10
	s_wait_storecnt_dscnt 0x0
	s_barrier_signal -1
	s_clause 0x1
	scratch_store_b32 off, v1, off offset:320
	scratch_store_b32 off, v2, off offset:316
	s_barrier_wait -1
	s_wait_storecnt 0x0
	s_wait_xcnt 0x0
	s_and_saveexec_b32 s28, s2
	s_cbranch_execz .LBB219_520
; %bb.5:
	s_load_b64 s[22:23], s[0:1], 0x10
	s_load_b32 s20, s[4:5], 0x0
	s_clause 0x1
	scratch_load_b32 v1, off, off offset:316
	scratch_load_b32 v83, off, off offset:320
	v_mov_b32_e32 v67, 0
	s_ashr_i32 s11, s10, 31
	s_cmp_neq_f32 s18, 0
	v_mov_b32_e32 v72, 0xff7fffff
	s_mov_b32 s4, s9
	s_mov_b32 s5, 0
	s_cselect_b32 vcc_lo, -1, 0
	s_clause 0x1
	scratch_store_b32 off, v26, off offset:324
	scratch_store_b32 off, v8, off offset:328
	s_wait_kmcnt 0x0
	s_add_nc_u64 s[22:23], s[22:23], s[10:11]
	s_mov_b32 s21, s20
	s_sub_co_i32 s11, 1, s27
	s_wait_loadcnt 0x1
	v_lshlrev_b32_e32 v66, 4, v1
	ds_load_b128 v[2:5], v67
	s_wait_loadcnt 0x0
	v_lshl_or_b32 v0, v83, 7, v8
	v_lshl_or_b32 v73, v83, 5, v1
	s_delay_alu instid0(VALU_DEP_2)
	v_add_nc_u32_e32 v82, 0x120, v0
	s_wait_dscnt 0x0
	scratch_store_b128 off, v[2:5], off offset:48 ; 16-byte Folded Spill
	s_wait_xcnt 0x0
	ds_load_b128 v[2:5], v67 offset:16
	s_wait_dscnt 0x0
	scratch_store_b128 off, v[2:5], off offset:64 ; 16-byte Folded Spill
	s_wait_xcnt 0x0
	ds_load_b128 v[2:5], v67 offset:32
	;; [unrolled: 4-line block ×15, first 2 shown]
	s_wait_dscnt 0x0
	scratch_store_b128 off, v[2:5], off offset:288 ; 16-byte Folded Spill
	s_wait_xcnt 0x0
	v_add_nc_u64_e32 v[2:3], s[22:23], v[66:67]
	v_and_b32_e32 v66, 0x7c, v26
	s_lshl_b64 s[22:23], s[16:17], 2
	s_delay_alu instid0(SALU_CYCLE_1)
	s_add_nc_u64 s[22:23], s[14:15], s[22:23]
	s_delay_alu instid0(VALU_DEP_1) | instid1(SALU_CYCLE_1)
	v_add_nc_u64_e32 v[70:71], s[22:23], v[66:67]
	scratch_store_b64 off, v[2:3], off offset:304 ; 8-byte Folded Spill
	s_branch .LBB219_10
.LBB219_6:                              ;   in Loop: Header=BB219_10 Depth=1
	s_or_b32 exec_lo, exec_lo, s30
	s_delay_alu instid0(VALU_DEP_1) | instskip(NEXT) | instid1(VALU_DEP_2)
	v_dual_lshlrev_b32 v75, 24, v77 :: v_dual_lshlrev_b32 v66, 20, v66
	v_lshl_add_u32 v74, v74, 23, 0x3c000000
	s_delay_alu instid0(VALU_DEP_2) | instskip(NEXT) | instid1(VALU_DEP_1)
	v_and_b32_e32 v75, 0x80000000, v75
	v_or3_b32 v75, v66, v75, v74
	v_mov_b32_e32 v74, v67
.LBB219_7:                              ;   in Loop: Header=BB219_10 Depth=1
	s_or_b32 exec_lo, exec_lo, s29
.LBB219_8:                              ;   in Loop: Header=BB219_10 Depth=1
	s_delay_alu instid0(SALU_CYCLE_1)
	s_or_b32 exec_lo, exec_lo, s23
.LBB219_9:                              ;   in Loop: Header=BB219_10 Depth=1
	s_delay_alu instid0(SALU_CYCLE_1)
	s_or_b32 exec_lo, exec_lo, s22
	v_or_b32_e32 v59, v57, v59
	v_or_b32_e32 v58, v56, v58
	;; [unrolled: 1-line block ×6, first 2 shown]
	s_clause 0x1
	scratch_load_b64 v[0:1], off, off offset:24 th:TH_LOAD_LU
	scratch_load_b64 v[64:65], off, off offset:32 th:TH_LOAD_LU
	v_or_b32_e32 v15, v13, v15
	v_or_b32_e32 v14, v12, v14
	;; [unrolled: 1-line block ×20, first 2 shown]
	v_cmp_gt_i32_e64 s3, s27, v73
	v_or_b32_e32 v17, v21, v23
	v_or_b32_e32 v23, v107, v109
	;; [unrolled: 1-line block ×9, first 2 shown]
	v_dual_add_nc_u32 v83, 4, v83 :: v_dual_bitop2_b32 v44, v44, v46 bitop3:0x54
	v_or_b32_e32 v47, v103, v105
	v_or_b32_e32 v46, v102, v104
	;; [unrolled: 1-line block ×8, first 2 shown]
	v_add_nc_u64_e32 v[70:71], 16, v[70:71]
	s_wait_loadcnt 0x0
	v_or_b32_e32 v65, v1, v65
	v_or_b32_e32 v64, v0, v64
	scratch_load_b64 v[0:1], off, off offset:40 th:TH_LOAD_LU ; 8-byte Folded Reload
	s_wait_loadcnt 0x0
	v_or_b32_e32 v69, v87, v1
	v_or_b32_e32 v68, v86, v0
	scratch_load_b64 v[0:1], off, off th:TH_LOAD_LU ; 8-byte Folded Reload
	s_wait_loadcnt 0x0
	v_or_b32_e32 v77, v81, v1
	v_or_b32_e32 v76, v80, v0
	s_clause 0x4
	scratch_load_b64 v[0:1], off, off offset:8 th:TH_LOAD_LU
	scratch_load_b64 v[80:81], off, off offset:16 th:TH_LOAD_LU
	scratch_load_b128 v[88:91], off, off offset:64
	scratch_load_b128 v[96:99], off, off offset:96
	;; [unrolled: 1-line block ×3, first 2 shown]
	s_wait_loadcnt 0x3
	v_or_b32_e32 v81, v1, v81
	v_or_b32_e32 v80, v0, v80
	v_mov_b64_e32 v[0:1], s[20:21]
	s_delay_alu instid0(VALU_DEP_1)
	v_pk_mul_f32 v[64:65], v[0:1], v[64:65]
	v_pk_mul_f32 v[76:77], v[0:1], v[76:77]
	;; [unrolled: 1-line block ×5, first 2 shown]
	s_wait_loadcnt 0x2
	v_pk_mul_f32 v[64:65], v[88:89], v[64:65]
	scratch_load_b128 v[86:89], off, off offset:48 ; 16-byte Folded Reload
	v_pk_mul_f32 v[22:23], v[0:1], v[22:23]
	v_pk_mul_f32 v[8:9], v[0:1], v[8:9]
	;; [unrolled: 1-line block ×10, first 2 shown]
	s_wait_loadcnt 0x0
	v_pk_fma_f32 v[64:65], v[86:87], v[76:77], v[64:65]
	s_delay_alu instid0(VALU_DEP_1) | instskip(SKIP_1) | instid1(VALU_DEP_2)
	v_pk_fma_f32 v[54:55], v[92:93], v[54:55], v[64:65]
	v_pk_mul_f32 v[64:65], v[0:1], v[80:81]
	v_pk_fma_f32 v[38:39], v[96:97], v[38:39], v[54:55]
	v_pk_mul_f32 v[54:55], v[0:1], v[68:69]
	s_delay_alu instid0(VALU_DEP_1)
	v_pk_mul_f32 v[54:55], v[90:91], v[54:55]
	scratch_load_b128 v[90:93], off, off offset:144 ; 16-byte Folded Reload
	v_pk_fma_f32 v[54:55], v[88:89], v[64:65], v[54:55]
	scratch_load_b128 v[86:89], off, off offset:128 ; 16-byte Folded Reload
	v_pk_fma_f32 v[54:55], v[94:95], v[62:63], v[54:55]
	s_clause 0x1
	scratch_load_b128 v[62:65], off, off offset:112
	scratch_load_b128 v[94:97], off, off offset:160
	v_pk_fma_f32 v[46:47], v[98:99], v[46:47], v[54:55]
	s_wait_loadcnt 0x1
	v_pk_fma_f32 v[22:23], v[62:63], v[22:23], v[38:39]
	s_delay_alu instid0(VALU_DEP_1) | instskip(NEXT) | instid1(VALU_DEP_1)
	v_pk_fma_f32 v[8:9], v[86:87], v[8:9], v[22:23]
	v_pk_fma_f32 v[4:5], v[90:91], v[4:5], v[8:9]
	s_wait_loadcnt 0x0
	s_delay_alu instid0(VALU_DEP_1)
	v_pk_fma_f32 v[22:23], v[94:95], v[2:3], v[4:5]
	v_pk_mul_f32 v[2:3], v[0:1], v[30:31]
	v_pk_mul_f32 v[4:5], v[0:1], v[10:11]
	;; [unrolled: 1-line block ×5, first 2 shown]
	v_pk_fma_f32 v[2:3], v[64:65], v[2:3], v[46:47]
	s_delay_alu instid0(VALU_DEP_1) | instskip(SKIP_1) | instid1(VALU_DEP_2)
	v_pk_fma_f32 v[8:9], v[88:89], v[4:5], v[2:3]
	v_pk_mul_f32 v[4:5], v[0:1], v[52:53]
	v_pk_fma_f32 v[30:31], v[92:93], v[6:7], v[8:9]
	v_pk_mul_f32 v[8:9], v[0:1], v[44:45]
	v_or_b32_e32 v7, v49, v51
	v_or_b32_e32 v6, v48, v50
	s_delay_alu instid0(VALU_DEP_4)
	v_pk_fma_f32 v[28:29], v[96:97], v[36:37], v[30:31]
	scratch_load_b128 v[36:39], off, off offset:176 ; 16-byte Folded Reload
	v_pk_mul_f32 v[6:7], v[0:1], v[6:7]
	s_wait_loadcnt 0x0
	v_pk_fma_f32 v[20:21], v[36:37], v[20:21], v[22:23]
	v_or_b32_e32 v23, v25, v27
	v_or_b32_e32 v22, v24, v26
	scratch_load_b128 v[24:27], off, off offset:192 ; 16-byte Folded Reload
	v_pk_fma_f32 v[14:15], v[38:39], v[14:15], v[28:29]
	v_pk_mul_f32 v[22:23], v[0:1], v[22:23]
	s_wait_loadcnt 0x0
	v_pk_fma_f32 v[18:19], v[24:25], v[18:19], v[20:21]
	s_delay_alu instid0(VALU_DEP_3)
	v_pk_fma_f32 v[14:15], v[26:27], v[16:17], v[14:15]
	scratch_load_b128 v[24:27], off, off offset:208 ; 16-byte Folded Reload
	v_or_b32_e32 v21, v33, v35
	v_or_b32_e32 v20, v32, v34
	;; [unrolled: 1-line block ×4, first 2 shown]
	s_wait_loadcnt 0x0
	v_pk_fma_f32 v[12:13], v[24:25], v[12:13], v[18:19]
	v_pk_mul_f32 v[18:19], v[0:1], v[20:21]
	v_pk_fma_f32 v[14:15], v[26:27], v[22:23], v[14:15]
	scratch_load_b128 v[20:23], off, off offset:224 ; 16-byte Folded Reload
	s_wait_loadcnt 0x0
	v_pk_fma_f32 v[10:11], v[20:21], v[10:11], v[12:13]
	v_pk_fma_f32 v[14:15], v[22:23], v[18:19], v[14:15]
	scratch_load_b128 v[18:21], off, off offset:240 ; 16-byte Folded Reload
	v_pk_mul_f32 v[12:13], v[0:1], v[16:17]
	v_or_b32_e32 v17, v61, v85
	v_or_b32_e32 v16, v60, v84
	s_wait_loadcnt 0x0
	v_pk_fma_f32 v[8:9], v[18:19], v[8:9], v[10:11]
	v_pk_fma_f32 v[12:13], v[20:21], v[12:13], v[14:15]
	scratch_load_b128 v[18:21], off, off offset:256 ; 16-byte Folded Reload
	v_or_b32_e32 v15, v75, v79
	v_or_b32_e32 v14, v74, v78
	v_pk_mul_f32 v[10:11], v[0:1], v[56:57]
	s_wait_loadcnt 0x0
	v_pk_fma_f32 v[4:5], v[18:19], v[4:5], v[8:9]
	v_pk_mul_f32 v[8:9], v[0:1], v[16:17]
	scratch_load_b128 v[16:19], off, off offset:272 ; 16-byte Folded Reload
	v_pk_fma_f32 v[6:7], v[20:21], v[6:7], v[12:13]
	v_add_nc_u32_e32 v12, s11, v73
	v_pk_mul_f32 v[2:3], v[0:1], v[58:59]
	v_pk_mul_f32 v[0:1], v[0:1], v[14:15]
	v_add_nc_u32_e32 v73, 0x80, v73
	s_wait_loadcnt 0x0
	s_delay_alu instid0(VALU_DEP_3)
	v_pk_fma_f32 v[2:3], v[16:17], v[2:3], v[4:5]
	scratch_load_b128 v[14:17], off, off offset:288 ; 16-byte Folded Reload
	v_pk_fma_f32 v[4:5], v[18:19], v[10:11], v[6:7]
	v_cvt_f32_i32_e32 v6, v12
	s_wait_loadcnt 0x0
	v_pk_fma_f32 v[2:3], v[14:15], v[8:9], v[2:3]
	s_delay_alu instid0(VALU_DEP_3) | instskip(NEXT) | instid1(VALU_DEP_2)
	v_pk_fma_f32 v[0:1], v[16:17], v[0:1], v[4:5]
	v_dual_add_f32 v2, v2, v3 :: v_dual_mul_f32 v3, s18, v6
	s_delay_alu instid0(VALU_DEP_1) | instskip(NEXT) | instid1(VALU_DEP_1)
	v_dual_add_f32 v0, v2, v0 :: v_dual_cndmask_b32 v2, 0, v3, vcc_lo
	v_add_f32_e32 v0, v1, v0
	s_delay_alu instid0(VALU_DEP_1) | instskip(NEXT) | instid1(VALU_DEP_1)
	v_fmac_f32_e32 v2, s19, v0
	v_dual_max_num_f32 v0, v72, v72 :: v_dual_cndmask_b32 v1, 0, v2, s3
	s_delay_alu instid0(VALU_DEP_1)
	v_max_num_f32_e32 v0, v0, v2
	ds_store_b32 v82, v1
	v_cndmask_b32_e64 v72, v72, v0, s3
	v_cmp_le_i32_e64 s3, s13, v83
	v_add_nc_u32_e32 v82, 0x200, v82
	s_or_b32 s5, s3, s5
	s_wait_xcnt 0x0
	s_and_not1_b32 exec_lo, exec_lo, s5
	s_cbranch_execz .LBB219_519
.LBB219_10:                             ; =>This Inner Loop Header: Depth=1
	global_load_b32 v0, v[70:71], off
	scratch_load_b64 v[2:3], off, off offset:304 ; 8-byte Folded Reload
	v_mov_b64_e32 v[80:81], 0
	s_mov_b32 s22, exec_lo
	s_wait_loadcnt 0x0
	v_mad_nc_i64_i32 v[84:85], v0, s4, v[2:3]
	v_mov_b64_e32 v[2:3], 0
	scratch_store_b64 off, v[2:3], off      ; 8-byte Folded Spill
	global_load_b32 v0, v[84:85], off
	s_wait_loadcnt 0x0
	v_and_b32_e32 v1, 0xff, v0
	s_wait_xcnt 0x0
	s_delay_alu instid0(VALU_DEP_1)
	v_cmpx_ne_u16_e32 0, v1
	s_cbranch_execz .LBB219_18
; %bb.11:                               ;   in Loop: Header=BB219_10 Depth=1
	v_mov_b64_e32 v[2:3], 0x80000000
	s_mov_b32 s23, exec_lo
	scratch_store_b64 off, v[2:3], off      ; 8-byte Folded Spill
	s_wait_xcnt 0x0
	v_cmpx_ne_u16_e32 0x80, v1
	s_cbranch_execz .LBB219_17
; %bb.12:                               ;   in Loop: Header=BB219_10 Depth=1
	v_mov_b64_e32 v[4:5], 0x7f800001
	v_and_b32_e32 v2, 0x7f, v0
	s_mov_b32 s29, exec_lo
	scratch_store_b64 off, v[4:5], off      ; 8-byte Folded Spill
	s_wait_xcnt 0x0
	v_cmpx_ne_u32_e32 0x7f, v2
	s_cbranch_execz .LBB219_16
; %bb.13:                               ;   in Loop: Header=BB219_10 Depth=1
	v_dual_lshrrev_b32 v1, 3, v2 :: v_dual_bitop2_b32 v66, 7, v0 bitop3:0x40
	s_mov_b32 s30, exec_lo
	v_cmpx_gt_u32_e32 8, v2
; %bb.14:                               ;   in Loop: Header=BB219_10 Depth=1
	s_delay_alu instid0(VALU_DEP_2) | instskip(NEXT) | instid1(VALU_DEP_1)
	v_clz_i32_u32_e32 v1, v66
	v_min_u32_e32 v1, 32, v1
	s_delay_alu instid0(VALU_DEP_1) | instskip(NEXT) | instid1(VALU_DEP_1)
	v_subrev_nc_u32_e32 v2, 28, v1
	v_lshlrev_b64_e32 v[2:3], v2, v[66:67]
	s_delay_alu instid0(VALU_DEP_1)
	v_dual_sub_nc_u32 v1, 29, v1 :: v_dual_bitop2_b32 v66, 7, v2 bitop3:0x40
; %bb.15:                               ;   in Loop: Header=BB219_10 Depth=1
	s_or_b32 exec_lo, exec_lo, s30
	s_delay_alu instid0(VALU_DEP_1) | instskip(NEXT) | instid1(VALU_DEP_2)
	v_dual_lshlrev_b32 v2, 24, v0 :: v_dual_lshlrev_b32 v3, 20, v66
	v_lshl_add_u32 v1, v1, 23, 0x3c000000
	s_delay_alu instid0(VALU_DEP_2) | instskip(NEXT) | instid1(VALU_DEP_1)
	v_and_b32_e32 v2, 0x80000000, v2
	v_or3_b32 v66, v3, v2, v1
	scratch_store_b64 off, v[66:67], off    ; 8-byte Folded Spill
.LBB219_16:                             ;   in Loop: Header=BB219_10 Depth=1
	s_wait_xcnt 0x0
	s_or_b32 exec_lo, exec_lo, s29
.LBB219_17:                             ;   in Loop: Header=BB219_10 Depth=1
	s_delay_alu instid0(SALU_CYCLE_1)
	s_or_b32 exec_lo, exec_lo, s23
.LBB219_18:                             ;   in Loop: Header=BB219_10 Depth=1
	s_delay_alu instid0(SALU_CYCLE_1) | instskip(SKIP_2) | instid1(VALU_DEP_1)
	s_or_b32 exec_lo, exec_lo, s22
	v_lshrrev_b16 v1, 8, v0
	s_mov_b32 s22, exec_lo
	v_cmpx_ne_u16_e32 0, v1
	s_cbranch_execz .LBB219_26
; %bb.19:                               ;   in Loop: Header=BB219_10 Depth=1
	v_mov_b64_e32 v[80:81], 0x8000000000000000
	s_mov_b32 s23, exec_lo
	v_cmpx_ne_u16_e32 0x80, v1
	s_cbranch_execz .LBB219_25
; %bb.20:                               ;   in Loop: Header=BB219_10 Depth=1
	v_and_b32_e32 v1, 0xffff, v1
	v_mov_b64_e32 v[80:81], 0x7f80000100000000
	s_mov_b32 s29, exec_lo
	s_delay_alu instid0(VALU_DEP_2) | instskip(NEXT) | instid1(VALU_DEP_1)
	v_and_b32_e32 v2, 0x7f, v1
	v_cmpx_ne_u32_e32 0x7f, v2
	s_cbranch_execz .LBB219_24
; %bb.21:                               ;   in Loop: Header=BB219_10 Depth=1
	v_dual_lshrrev_b32 v1, 3, v2 :: v_dual_bitop2_b32 v66, 7, v1 bitop3:0x40
	s_mov_b32 s30, exec_lo
	v_cmpx_gt_u32_e32 8, v2
; %bb.22:                               ;   in Loop: Header=BB219_10 Depth=1
	s_delay_alu instid0(VALU_DEP_2) | instskip(NEXT) | instid1(VALU_DEP_1)
	v_clz_i32_u32_e32 v1, v66
	v_min_u32_e32 v1, 32, v1
	s_delay_alu instid0(VALU_DEP_1) | instskip(NEXT) | instid1(VALU_DEP_1)
	v_subrev_nc_u32_e32 v2, 28, v1
	v_lshlrev_b64_e32 v[2:3], v2, v[66:67]
	s_delay_alu instid0(VALU_DEP_1)
	v_dual_sub_nc_u32 v1, 29, v1 :: v_dual_bitop2_b32 v66, 7, v2 bitop3:0x40
; %bb.23:                               ;   in Loop: Header=BB219_10 Depth=1
	s_or_b32 exec_lo, exec_lo, s30
	s_delay_alu instid0(VALU_DEP_1) | instskip(NEXT) | instid1(VALU_DEP_2)
	v_dual_lshlrev_b32 v2, 16, v0 :: v_dual_lshlrev_b32 v3, 20, v66
	v_lshl_add_u32 v1, v1, 23, 0x3c000000
	v_mov_b32_e32 v80, v67
	s_delay_alu instid0(VALU_DEP_3) | instskip(NEXT) | instid1(VALU_DEP_1)
	v_and_b32_e32 v2, 0x80000000, v2
	v_or3_b32 v81, v3, v2, v1
.LBB219_24:                             ;   in Loop: Header=BB219_10 Depth=1
	s_or_b32 exec_lo, exec_lo, s29
.LBB219_25:                             ;   in Loop: Header=BB219_10 Depth=1
	s_delay_alu instid0(SALU_CYCLE_1)
	s_or_b32 exec_lo, exec_lo, s23
.LBB219_26:                             ;   in Loop: Header=BB219_10 Depth=1
	s_delay_alu instid0(SALU_CYCLE_1) | instskip(SKIP_3) | instid1(VALU_DEP_1)
	s_or_b32 exec_lo, exec_lo, s22
	v_mov_b64_e32 v[4:5], 0
	v_lshrrev_b32_e32 v1, 16, v0
	s_mov_b32 s22, exec_lo
	v_and_b32_e32 v2, 0xff, v1
	scratch_store_b64 off, v[4:5], off offset:8 ; 8-byte Folded Spill
	s_wait_xcnt 0x0
	v_mov_b64_e32 v[4:5], 0
	scratch_store_b64 off, v[4:5], off offset:16 ; 8-byte Folded Spill
	s_wait_xcnt 0x0
	v_cmpx_ne_u16_e32 0, v2
	s_cbranch_execz .LBB219_34
; %bb.27:                               ;   in Loop: Header=BB219_10 Depth=1
	v_mov_b64_e32 v[4:5], 0x80000000
	s_mov_b32 s23, exec_lo
	scratch_store_b64 off, v[4:5], off offset:16 ; 8-byte Folded Spill
	s_wait_xcnt 0x0
	v_cmpx_ne_u16_e32 0x80, v2
	s_cbranch_execz .LBB219_33
; %bb.28:                               ;   in Loop: Header=BB219_10 Depth=1
	v_mov_b64_e32 v[4:5], 0x7f800001
	v_bfe_u32 v3, v0, 16, 7
	s_mov_b32 s29, exec_lo
	scratch_store_b64 off, v[4:5], off offset:16 ; 8-byte Folded Spill
	s_wait_xcnt 0x0
	v_cmpx_ne_u32_e32 0x7f, v3
	s_cbranch_execz .LBB219_32
; %bb.29:                               ;   in Loop: Header=BB219_10 Depth=1
	v_dual_lshrrev_b32 v2, 3, v3 :: v_dual_bitop2_b32 v66, 7, v1 bitop3:0x40
	s_mov_b32 s30, exec_lo
	v_cmpx_gt_u32_e32 8, v3
; %bb.30:                               ;   in Loop: Header=BB219_10 Depth=1
	s_delay_alu instid0(VALU_DEP_2) | instskip(NEXT) | instid1(VALU_DEP_1)
	v_clz_i32_u32_e32 v2, v66
	v_min_u32_e32 v2, 32, v2
	s_delay_alu instid0(VALU_DEP_1) | instskip(NEXT) | instid1(VALU_DEP_1)
	v_subrev_nc_u32_e32 v3, 28, v2
	v_lshlrev_b64_e32 v[4:5], v3, v[66:67]
	s_delay_alu instid0(VALU_DEP_1)
	v_dual_sub_nc_u32 v2, 29, v2 :: v_dual_bitop2_b32 v66, 7, v4 bitop3:0x40
; %bb.31:                               ;   in Loop: Header=BB219_10 Depth=1
	s_or_b32 exec_lo, exec_lo, s30
	s_delay_alu instid0(VALU_DEP_1) | instskip(NEXT) | instid1(VALU_DEP_2)
	v_dual_lshlrev_b32 v1, 24, v1 :: v_dual_lshlrev_b32 v3, 20, v66
	v_lshl_add_u32 v2, v2, 23, 0x3c000000
	s_delay_alu instid0(VALU_DEP_2) | instskip(NEXT) | instid1(VALU_DEP_1)
	v_and_b32_e32 v1, 0x80000000, v1
	v_or3_b32 v66, v3, v1, v2
	scratch_store_b64 off, v[66:67], off offset:16 ; 8-byte Folded Spill
.LBB219_32:                             ;   in Loop: Header=BB219_10 Depth=1
	s_wait_xcnt 0x0
	s_or_b32 exec_lo, exec_lo, s29
.LBB219_33:                             ;   in Loop: Header=BB219_10 Depth=1
	s_delay_alu instid0(SALU_CYCLE_1)
	s_or_b32 exec_lo, exec_lo, s23
.LBB219_34:                             ;   in Loop: Header=BB219_10 Depth=1
	s_delay_alu instid0(SALU_CYCLE_1) | instskip(NEXT) | instid1(SALU_CYCLE_1)
	s_or_b32 exec_lo, exec_lo, s22
	s_mov_b32 s22, exec_lo
	v_cmpx_lt_u32_e32 0xffffff, v0
	s_cbranch_execz .LBB219_42
; %bb.35:                               ;   in Loop: Header=BB219_10 Depth=1
	v_mov_b64_e32 v[2:3], 0x8000000000000000
	v_lshrrev_b32_e32 v1, 24, v0
	s_mov_b32 s23, exec_lo
	scratch_store_b64 off, v[2:3], off offset:8 ; 8-byte Folded Spill
	s_wait_xcnt 0x0
	v_cmpx_ne_u32_e32 0x80, v1
	s_cbranch_execz .LBB219_41
; %bb.36:                               ;   in Loop: Header=BB219_10 Depth=1
	v_mov_b64_e32 v[4:5], 0x7f80000100000000
	v_bfe_u32 v2, v0, 24, 7
	s_mov_b32 s29, exec_lo
	scratch_store_b64 off, v[4:5], off offset:8 ; 8-byte Folded Spill
	s_wait_xcnt 0x0
	v_cmpx_ne_u32_e32 0x7f, v2
	s_cbranch_execz .LBB219_40
; %bb.37:                               ;   in Loop: Header=BB219_10 Depth=1
	v_dual_lshrrev_b32 v0, 3, v2 :: v_dual_bitop2_b32 v66, 7, v1 bitop3:0x40
	s_mov_b32 s30, exec_lo
	v_cmpx_gt_u32_e32 8, v2
; %bb.38:                               ;   in Loop: Header=BB219_10 Depth=1
	s_delay_alu instid0(VALU_DEP_2) | instskip(NEXT) | instid1(VALU_DEP_1)
	v_clz_i32_u32_e32 v0, v66
	v_min_u32_e32 v0, 32, v0
	s_delay_alu instid0(VALU_DEP_1) | instskip(NEXT) | instid1(VALU_DEP_1)
	v_subrev_nc_u32_e32 v2, 28, v0
	v_lshlrev_b64_e32 v[2:3], v2, v[66:67]
	s_delay_alu instid0(VALU_DEP_1)
	v_dual_sub_nc_u32 v0, 29, v0 :: v_dual_bitop2_b32 v66, 7, v2 bitop3:0x40
; %bb.39:                               ;   in Loop: Header=BB219_10 Depth=1
	s_or_b32 exec_lo, exec_lo, s30
	s_delay_alu instid0(VALU_DEP_1) | instskip(NEXT) | instid1(VALU_DEP_2)
	v_dual_lshlrev_b32 v1, 24, v1 :: v_dual_lshlrev_b32 v2, 20, v66
	v_lshl_add_u32 v0, v0, 23, 0x3c000000
	s_delay_alu instid0(VALU_DEP_2) | instskip(NEXT) | instid1(VALU_DEP_1)
	v_and_b32_e32 v1, 0x80000000, v1
	v_or3_b32 v1, v2, v1, v0
	v_mov_b32_e32 v0, v67
	scratch_store_b64 off, v[0:1], off offset:8 ; 8-byte Folded Spill
.LBB219_40:                             ;   in Loop: Header=BB219_10 Depth=1
	s_wait_xcnt 0x0
	s_or_b32 exec_lo, exec_lo, s29
.LBB219_41:                             ;   in Loop: Header=BB219_10 Depth=1
	s_delay_alu instid0(SALU_CYCLE_1)
	s_or_b32 exec_lo, exec_lo, s23
.LBB219_42:                             ;   in Loop: Header=BB219_10 Depth=1
	s_delay_alu instid0(SALU_CYCLE_1)
	s_or_b32 exec_lo, exec_lo, s22
	global_load_b32 v0, v[84:85], off offset:4
	v_mov_b64_e32 v[2:3], 0
	s_mov_b32 s22, exec_lo
	scratch_store_b64 off, v[2:3], off offset:24 ; 8-byte Folded Spill
	s_wait_xcnt 0x0
	v_mov_b64_e32 v[2:3], 0
	scratch_store_b64 off, v[2:3], off offset:32 ; 8-byte Folded Spill
	s_wait_loadcnt 0x0
	v_and_b32_e32 v1, 0xff, v0
	s_wait_xcnt 0x0
	s_delay_alu instid0(VALU_DEP_1)
	v_cmpx_ne_u16_e32 0, v1
	s_cbranch_execz .LBB219_50
; %bb.43:                               ;   in Loop: Header=BB219_10 Depth=1
	v_mov_b64_e32 v[2:3], 0x80000000
	s_mov_b32 s23, exec_lo
	scratch_store_b64 off, v[2:3], off offset:32 ; 8-byte Folded Spill
	s_wait_xcnt 0x0
	v_cmpx_ne_u16_e32 0x80, v1
	s_cbranch_execz .LBB219_49
; %bb.44:                               ;   in Loop: Header=BB219_10 Depth=1
	v_mov_b64_e32 v[4:5], 0x7f800001
	v_and_b32_e32 v2, 0x7f, v0
	s_mov_b32 s29, exec_lo
	scratch_store_b64 off, v[4:5], off offset:32 ; 8-byte Folded Spill
	s_wait_xcnt 0x0
	v_cmpx_ne_u32_e32 0x7f, v2
	s_cbranch_execz .LBB219_48
; %bb.45:                               ;   in Loop: Header=BB219_10 Depth=1
	v_dual_lshrrev_b32 v1, 3, v2 :: v_dual_bitop2_b32 v66, 7, v0 bitop3:0x40
	s_mov_b32 s30, exec_lo
	v_cmpx_gt_u32_e32 8, v2
; %bb.46:                               ;   in Loop: Header=BB219_10 Depth=1
	s_delay_alu instid0(VALU_DEP_2) | instskip(NEXT) | instid1(VALU_DEP_1)
	v_clz_i32_u32_e32 v1, v66
	v_min_u32_e32 v1, 32, v1
	s_delay_alu instid0(VALU_DEP_1) | instskip(NEXT) | instid1(VALU_DEP_1)
	v_subrev_nc_u32_e32 v2, 28, v1
	v_lshlrev_b64_e32 v[2:3], v2, v[66:67]
	s_delay_alu instid0(VALU_DEP_1)
	v_dual_sub_nc_u32 v1, 29, v1 :: v_dual_bitop2_b32 v66, 7, v2 bitop3:0x40
; %bb.47:                               ;   in Loop: Header=BB219_10 Depth=1
	s_or_b32 exec_lo, exec_lo, s30
	s_delay_alu instid0(VALU_DEP_1) | instskip(NEXT) | instid1(VALU_DEP_2)
	v_dual_lshlrev_b32 v2, 24, v0 :: v_dual_lshlrev_b32 v3, 20, v66
	v_lshl_add_u32 v1, v1, 23, 0x3c000000
	s_delay_alu instid0(VALU_DEP_2) | instskip(NEXT) | instid1(VALU_DEP_1)
	v_and_b32_e32 v2, 0x80000000, v2
	v_or3_b32 v66, v3, v2, v1
	scratch_store_b64 off, v[66:67], off offset:32 ; 8-byte Folded Spill
.LBB219_48:                             ;   in Loop: Header=BB219_10 Depth=1
	s_wait_xcnt 0x0
	s_or_b32 exec_lo, exec_lo, s29
.LBB219_49:                             ;   in Loop: Header=BB219_10 Depth=1
	s_delay_alu instid0(SALU_CYCLE_1)
	s_or_b32 exec_lo, exec_lo, s23
.LBB219_50:                             ;   in Loop: Header=BB219_10 Depth=1
	s_delay_alu instid0(SALU_CYCLE_1) | instskip(SKIP_2) | instid1(VALU_DEP_1)
	s_or_b32 exec_lo, exec_lo, s22
	v_lshrrev_b16 v1, 8, v0
	s_mov_b32 s22, exec_lo
	v_cmpx_ne_u16_e32 0, v1
	s_cbranch_execz .LBB219_58
; %bb.51:                               ;   in Loop: Header=BB219_10 Depth=1
	v_mov_b64_e32 v[2:3], 0x8000000000000000
	s_mov_b32 s23, exec_lo
	scratch_store_b64 off, v[2:3], off offset:24 ; 8-byte Folded Spill
	s_wait_xcnt 0x0
	v_cmpx_ne_u16_e32 0x80, v1
	s_cbranch_execz .LBB219_57
; %bb.52:                               ;   in Loop: Header=BB219_10 Depth=1
	v_and_b32_e32 v1, 0xffff, v1
	v_mov_b64_e32 v[4:5], 0x7f80000100000000
	s_mov_b32 s29, exec_lo
	s_delay_alu instid0(VALU_DEP_2)
	v_and_b32_e32 v2, 0x7f, v1
	scratch_store_b64 off, v[4:5], off offset:24 ; 8-byte Folded Spill
	s_wait_xcnt 0x0
	v_cmpx_ne_u32_e32 0x7f, v2
	s_cbranch_execz .LBB219_56
; %bb.53:                               ;   in Loop: Header=BB219_10 Depth=1
	v_dual_lshrrev_b32 v1, 3, v2 :: v_dual_bitop2_b32 v66, 7, v1 bitop3:0x40
	s_mov_b32 s30, exec_lo
	v_cmpx_gt_u32_e32 8, v2
; %bb.54:                               ;   in Loop: Header=BB219_10 Depth=1
	s_delay_alu instid0(VALU_DEP_2) | instskip(NEXT) | instid1(VALU_DEP_1)
	v_clz_i32_u32_e32 v1, v66
	v_min_u32_e32 v1, 32, v1
	s_delay_alu instid0(VALU_DEP_1) | instskip(NEXT) | instid1(VALU_DEP_1)
	v_subrev_nc_u32_e32 v2, 28, v1
	v_lshlrev_b64_e32 v[2:3], v2, v[66:67]
	s_delay_alu instid0(VALU_DEP_1)
	v_dual_sub_nc_u32 v1, 29, v1 :: v_dual_bitop2_b32 v66, 7, v2 bitop3:0x40
; %bb.55:                               ;   in Loop: Header=BB219_10 Depth=1
	s_or_b32 exec_lo, exec_lo, s30
	s_delay_alu instid0(VALU_DEP_1) | instskip(NEXT) | instid1(VALU_DEP_2)
	v_dual_lshlrev_b32 v2, 16, v0 :: v_dual_lshlrev_b32 v3, 20, v66
	v_lshl_add_u32 v1, v1, 23, 0x3c000000
	s_delay_alu instid0(VALU_DEP_2) | instskip(NEXT) | instid1(VALU_DEP_1)
	v_and_b32_e32 v2, 0x80000000, v2
	v_or3_b32 v3, v3, v2, v1
	v_mov_b32_e32 v2, v67
	scratch_store_b64 off, v[2:3], off offset:24 ; 8-byte Folded Spill
.LBB219_56:                             ;   in Loop: Header=BB219_10 Depth=1
	s_wait_xcnt 0x0
	s_or_b32 exec_lo, exec_lo, s29
.LBB219_57:                             ;   in Loop: Header=BB219_10 Depth=1
	s_delay_alu instid0(SALU_CYCLE_1)
	s_or_b32 exec_lo, exec_lo, s23
.LBB219_58:                             ;   in Loop: Header=BB219_10 Depth=1
	s_delay_alu instid0(SALU_CYCLE_1) | instskip(SKIP_4) | instid1(VALU_DEP_3)
	s_or_b32 exec_lo, exec_lo, s22
	v_lshrrev_b32_e32 v1, 16, v0
	v_mov_b64_e32 v[86:87], 0
	v_mov_b64_e32 v[4:5], 0
	s_mov_b32 s22, exec_lo
	v_and_b32_e32 v2, 0xff, v1
	scratch_store_b64 off, v[4:5], off offset:40 ; 8-byte Folded Spill
	s_wait_xcnt 0x0
	v_cmpx_ne_u16_e32 0, v2
	s_cbranch_execz .LBB219_66
; %bb.59:                               ;   in Loop: Header=BB219_10 Depth=1
	v_mov_b64_e32 v[4:5], 0x80000000
	s_mov_b32 s23, exec_lo
	scratch_store_b64 off, v[4:5], off offset:40 ; 8-byte Folded Spill
	s_wait_xcnt 0x0
	v_cmpx_ne_u16_e32 0x80, v2
	s_cbranch_execz .LBB219_65
; %bb.60:                               ;   in Loop: Header=BB219_10 Depth=1
	v_mov_b64_e32 v[4:5], 0x7f800001
	v_bfe_u32 v3, v0, 16, 7
	s_mov_b32 s29, exec_lo
	scratch_store_b64 off, v[4:5], off offset:40 ; 8-byte Folded Spill
	s_wait_xcnt 0x0
	v_cmpx_ne_u32_e32 0x7f, v3
	s_cbranch_execz .LBB219_64
; %bb.61:                               ;   in Loop: Header=BB219_10 Depth=1
	v_dual_lshrrev_b32 v2, 3, v3 :: v_dual_bitop2_b32 v66, 7, v1 bitop3:0x40
	s_mov_b32 s30, exec_lo
	v_cmpx_gt_u32_e32 8, v3
; %bb.62:                               ;   in Loop: Header=BB219_10 Depth=1
	s_delay_alu instid0(VALU_DEP_2) | instskip(NEXT) | instid1(VALU_DEP_1)
	v_clz_i32_u32_e32 v2, v66
	v_min_u32_e32 v2, 32, v2
	s_delay_alu instid0(VALU_DEP_1) | instskip(NEXT) | instid1(VALU_DEP_1)
	v_subrev_nc_u32_e32 v3, 28, v2
	v_lshlrev_b64_e32 v[4:5], v3, v[66:67]
	s_delay_alu instid0(VALU_DEP_1)
	v_dual_sub_nc_u32 v2, 29, v2 :: v_dual_bitop2_b32 v66, 7, v4 bitop3:0x40
; %bb.63:                               ;   in Loop: Header=BB219_10 Depth=1
	s_or_b32 exec_lo, exec_lo, s30
	s_delay_alu instid0(VALU_DEP_1) | instskip(NEXT) | instid1(VALU_DEP_2)
	v_dual_lshlrev_b32 v1, 24, v1 :: v_dual_lshlrev_b32 v3, 20, v66
	v_lshl_add_u32 v2, v2, 23, 0x3c000000
	s_delay_alu instid0(VALU_DEP_2) | instskip(NEXT) | instid1(VALU_DEP_1)
	v_and_b32_e32 v1, 0x80000000, v1
	v_or3_b32 v66, v3, v1, v2
	scratch_store_b64 off, v[66:67], off offset:40 ; 8-byte Folded Spill
.LBB219_64:                             ;   in Loop: Header=BB219_10 Depth=1
	s_wait_xcnt 0x0
	s_or_b32 exec_lo, exec_lo, s29
.LBB219_65:                             ;   in Loop: Header=BB219_10 Depth=1
	s_delay_alu instid0(SALU_CYCLE_1)
	s_or_b32 exec_lo, exec_lo, s23
.LBB219_66:                             ;   in Loop: Header=BB219_10 Depth=1
	s_delay_alu instid0(SALU_CYCLE_1) | instskip(NEXT) | instid1(SALU_CYCLE_1)
	s_or_b32 exec_lo, exec_lo, s22
	s_mov_b32 s22, exec_lo
	v_cmpx_lt_u32_e32 0xffffff, v0
	s_cbranch_execz .LBB219_74
; %bb.67:                               ;   in Loop: Header=BB219_10 Depth=1
	v_mov_b64_e32 v[86:87], 0x8000000000000000
	v_lshrrev_b32_e32 v1, 24, v0
	s_mov_b32 s23, exec_lo
	s_delay_alu instid0(VALU_DEP_1)
	v_cmpx_ne_u32_e32 0x80, v1
	s_cbranch_execz .LBB219_73
; %bb.68:                               ;   in Loop: Header=BB219_10 Depth=1
	v_mov_b64_e32 v[86:87], 0x7f80000100000000
	v_bfe_u32 v2, v0, 24, 7
	s_mov_b32 s29, exec_lo
	s_delay_alu instid0(VALU_DEP_1)
	v_cmpx_ne_u32_e32 0x7f, v2
	s_cbranch_execz .LBB219_72
; %bb.69:                               ;   in Loop: Header=BB219_10 Depth=1
	v_dual_lshrrev_b32 v0, 3, v2 :: v_dual_bitop2_b32 v66, 7, v1 bitop3:0x40
	s_mov_b32 s30, exec_lo
	v_cmpx_gt_u32_e32 8, v2
; %bb.70:                               ;   in Loop: Header=BB219_10 Depth=1
	s_delay_alu instid0(VALU_DEP_2) | instskip(NEXT) | instid1(VALU_DEP_1)
	v_clz_i32_u32_e32 v0, v66
	v_min_u32_e32 v0, 32, v0
	s_delay_alu instid0(VALU_DEP_1) | instskip(NEXT) | instid1(VALU_DEP_1)
	v_subrev_nc_u32_e32 v2, 28, v0
	v_lshlrev_b64_e32 v[2:3], v2, v[66:67]
	s_delay_alu instid0(VALU_DEP_1)
	v_dual_sub_nc_u32 v0, 29, v0 :: v_dual_bitop2_b32 v66, 7, v2 bitop3:0x40
; %bb.71:                               ;   in Loop: Header=BB219_10 Depth=1
	s_or_b32 exec_lo, exec_lo, s30
	s_delay_alu instid0(VALU_DEP_1) | instskip(NEXT) | instid1(VALU_DEP_2)
	v_dual_lshlrev_b32 v1, 24, v1 :: v_dual_lshlrev_b32 v2, 20, v66
	v_lshl_add_u32 v0, v0, 23, 0x3c000000
	v_mov_b32_e32 v86, v67
	s_delay_alu instid0(VALU_DEP_3) | instskip(NEXT) | instid1(VALU_DEP_1)
	v_and_b32_e32 v1, 0x80000000, v1
	v_or3_b32 v87, v2, v1, v0
.LBB219_72:                             ;   in Loop: Header=BB219_10 Depth=1
	s_or_b32 exec_lo, exec_lo, s29
.LBB219_73:                             ;   in Loop: Header=BB219_10 Depth=1
	s_delay_alu instid0(SALU_CYCLE_1)
	s_or_b32 exec_lo, exec_lo, s23
.LBB219_74:                             ;   in Loop: Header=BB219_10 Depth=1
	s_delay_alu instid0(SALU_CYCLE_1)
	s_or_b32 exec_lo, exec_lo, s22
	global_load_b32 v0, v[84:85], off offset:8
	v_mov_b64_e32 v[90:91], 0
	v_mov_b64_e32 v[92:93], 0
	s_mov_b32 s22, exec_lo
	s_wait_loadcnt 0x0
	v_and_b32_e32 v1, 0xff, v0
	s_wait_xcnt 0x0
	s_delay_alu instid0(VALU_DEP_1)
	v_cmpx_ne_u16_e32 0, v1
	s_cbranch_execz .LBB219_82
; %bb.75:                               ;   in Loop: Header=BB219_10 Depth=1
	v_mov_b64_e32 v[92:93], 0x80000000
	s_mov_b32 s23, exec_lo
	v_cmpx_ne_u16_e32 0x80, v1
	s_cbranch_execz .LBB219_81
; %bb.76:                               ;   in Loop: Header=BB219_10 Depth=1
	v_mov_b64_e32 v[92:93], 0x7f800001
	v_and_b32_e32 v2, 0x7f, v0
	s_mov_b32 s29, exec_lo
	s_delay_alu instid0(VALU_DEP_1)
	v_cmpx_ne_u32_e32 0x7f, v2
	s_cbranch_execz .LBB219_80
; %bb.77:                               ;   in Loop: Header=BB219_10 Depth=1
	v_dual_lshrrev_b32 v1, 3, v2 :: v_dual_bitop2_b32 v66, 7, v0 bitop3:0x40
	s_mov_b32 s30, exec_lo
	v_cmpx_gt_u32_e32 8, v2
; %bb.78:                               ;   in Loop: Header=BB219_10 Depth=1
	s_delay_alu instid0(VALU_DEP_2) | instskip(NEXT) | instid1(VALU_DEP_1)
	v_clz_i32_u32_e32 v1, v66
	v_min_u32_e32 v1, 32, v1
	s_delay_alu instid0(VALU_DEP_1) | instskip(NEXT) | instid1(VALU_DEP_1)
	v_subrev_nc_u32_e32 v2, 28, v1
	v_lshlrev_b64_e32 v[2:3], v2, v[66:67]
	s_delay_alu instid0(VALU_DEP_1)
	v_dual_sub_nc_u32 v1, 29, v1 :: v_dual_bitop2_b32 v66, 7, v2 bitop3:0x40
; %bb.79:                               ;   in Loop: Header=BB219_10 Depth=1
	s_or_b32 exec_lo, exec_lo, s30
	s_delay_alu instid0(VALU_DEP_1) | instskip(NEXT) | instid1(VALU_DEP_2)
	v_dual_lshlrev_b32 v2, 24, v0 :: v_dual_lshlrev_b32 v3, 20, v66
	v_lshl_add_u32 v1, v1, 23, 0x3c000000
	s_delay_alu instid0(VALU_DEP_2) | instskip(NEXT) | instid1(VALU_DEP_1)
	v_and_b32_e32 v2, 0x80000000, v2
	v_or3_b32 v66, v3, v2, v1
	s_delay_alu instid0(VALU_DEP_1)
	v_mov_b64_e32 v[92:93], v[66:67]
.LBB219_80:                             ;   in Loop: Header=BB219_10 Depth=1
	s_or_b32 exec_lo, exec_lo, s29
.LBB219_81:                             ;   in Loop: Header=BB219_10 Depth=1
	s_delay_alu instid0(SALU_CYCLE_1)
	s_or_b32 exec_lo, exec_lo, s23
.LBB219_82:                             ;   in Loop: Header=BB219_10 Depth=1
	s_delay_alu instid0(SALU_CYCLE_1) | instskip(SKIP_2) | instid1(VALU_DEP_1)
	s_or_b32 exec_lo, exec_lo, s22
	v_lshrrev_b16 v1, 8, v0
	s_mov_b32 s22, exec_lo
	v_cmpx_ne_u16_e32 0, v1
	s_cbranch_execz .LBB219_90
; %bb.83:                               ;   in Loop: Header=BB219_10 Depth=1
	v_mov_b64_e32 v[90:91], 0x8000000000000000
	s_mov_b32 s23, exec_lo
	v_cmpx_ne_u16_e32 0x80, v1
	s_cbranch_execz .LBB219_89
; %bb.84:                               ;   in Loop: Header=BB219_10 Depth=1
	v_and_b32_e32 v1, 0xffff, v1
	v_mov_b64_e32 v[90:91], 0x7f80000100000000
	s_mov_b32 s29, exec_lo
	s_delay_alu instid0(VALU_DEP_2) | instskip(NEXT) | instid1(VALU_DEP_1)
	v_and_b32_e32 v2, 0x7f, v1
	v_cmpx_ne_u32_e32 0x7f, v2
	s_cbranch_execz .LBB219_88
; %bb.85:                               ;   in Loop: Header=BB219_10 Depth=1
	v_dual_lshrrev_b32 v1, 3, v2 :: v_dual_bitop2_b32 v66, 7, v1 bitop3:0x40
	s_mov_b32 s30, exec_lo
	v_cmpx_gt_u32_e32 8, v2
; %bb.86:                               ;   in Loop: Header=BB219_10 Depth=1
	s_delay_alu instid0(VALU_DEP_2) | instskip(NEXT) | instid1(VALU_DEP_1)
	v_clz_i32_u32_e32 v1, v66
	v_min_u32_e32 v1, 32, v1
	s_delay_alu instid0(VALU_DEP_1) | instskip(NEXT) | instid1(VALU_DEP_1)
	v_subrev_nc_u32_e32 v2, 28, v1
	v_lshlrev_b64_e32 v[2:3], v2, v[66:67]
	s_delay_alu instid0(VALU_DEP_1)
	v_dual_sub_nc_u32 v1, 29, v1 :: v_dual_bitop2_b32 v66, 7, v2 bitop3:0x40
; %bb.87:                               ;   in Loop: Header=BB219_10 Depth=1
	s_or_b32 exec_lo, exec_lo, s30
	s_delay_alu instid0(VALU_DEP_1) | instskip(NEXT) | instid1(VALU_DEP_2)
	v_dual_lshlrev_b32 v2, 16, v0 :: v_dual_lshlrev_b32 v3, 20, v66
	v_lshl_add_u32 v1, v1, 23, 0x3c000000
	v_mov_b32_e32 v90, v67
	s_delay_alu instid0(VALU_DEP_3) | instskip(NEXT) | instid1(VALU_DEP_1)
	v_and_b32_e32 v2, 0x80000000, v2
	v_or3_b32 v91, v3, v2, v1
.LBB219_88:                             ;   in Loop: Header=BB219_10 Depth=1
	s_or_b32 exec_lo, exec_lo, s29
.LBB219_89:                             ;   in Loop: Header=BB219_10 Depth=1
	s_delay_alu instid0(SALU_CYCLE_1)
	s_or_b32 exec_lo, exec_lo, s23
.LBB219_90:                             ;   in Loop: Header=BB219_10 Depth=1
	s_delay_alu instid0(SALU_CYCLE_1) | instskip(SKIP_4) | instid1(VALU_DEP_3)
	s_or_b32 exec_lo, exec_lo, s22
	v_lshrrev_b32_e32 v1, 16, v0
	v_mov_b64_e32 v[94:95], 0
	v_mov_b64_e32 v[96:97], 0
	s_mov_b32 s22, exec_lo
	v_and_b32_e32 v2, 0xff, v1
	s_delay_alu instid0(VALU_DEP_1)
	v_cmpx_ne_u16_e32 0, v2
	s_cbranch_execz .LBB219_98
; %bb.91:                               ;   in Loop: Header=BB219_10 Depth=1
	v_mov_b64_e32 v[96:97], 0x80000000
	s_mov_b32 s23, exec_lo
	v_cmpx_ne_u16_e32 0x80, v2
	s_cbranch_execz .LBB219_97
; %bb.92:                               ;   in Loop: Header=BB219_10 Depth=1
	v_mov_b64_e32 v[96:97], 0x7f800001
	v_bfe_u32 v3, v0, 16, 7
	s_mov_b32 s29, exec_lo
	s_delay_alu instid0(VALU_DEP_1)
	v_cmpx_ne_u32_e32 0x7f, v3
	s_cbranch_execz .LBB219_96
; %bb.93:                               ;   in Loop: Header=BB219_10 Depth=1
	v_dual_lshrrev_b32 v2, 3, v3 :: v_dual_bitop2_b32 v66, 7, v1 bitop3:0x40
	s_mov_b32 s30, exec_lo
	v_cmpx_gt_u32_e32 8, v3
; %bb.94:                               ;   in Loop: Header=BB219_10 Depth=1
	s_delay_alu instid0(VALU_DEP_2) | instskip(NEXT) | instid1(VALU_DEP_1)
	v_clz_i32_u32_e32 v2, v66
	v_min_u32_e32 v2, 32, v2
	s_delay_alu instid0(VALU_DEP_1) | instskip(NEXT) | instid1(VALU_DEP_1)
	v_subrev_nc_u32_e32 v3, 28, v2
	v_lshlrev_b64_e32 v[4:5], v3, v[66:67]
	s_delay_alu instid0(VALU_DEP_1)
	v_dual_sub_nc_u32 v2, 29, v2 :: v_dual_bitop2_b32 v66, 7, v4 bitop3:0x40
; %bb.95:                               ;   in Loop: Header=BB219_10 Depth=1
	s_or_b32 exec_lo, exec_lo, s30
	s_delay_alu instid0(VALU_DEP_1) | instskip(NEXT) | instid1(VALU_DEP_2)
	v_dual_lshlrev_b32 v1, 24, v1 :: v_dual_lshlrev_b32 v3, 20, v66
	v_lshl_add_u32 v2, v2, 23, 0x3c000000
	s_delay_alu instid0(VALU_DEP_2) | instskip(NEXT) | instid1(VALU_DEP_1)
	v_and_b32_e32 v1, 0x80000000, v1
	v_or3_b32 v66, v3, v1, v2
	s_delay_alu instid0(VALU_DEP_1)
	v_mov_b64_e32 v[96:97], v[66:67]
.LBB219_96:                             ;   in Loop: Header=BB219_10 Depth=1
	s_or_b32 exec_lo, exec_lo, s29
.LBB219_97:                             ;   in Loop: Header=BB219_10 Depth=1
	s_delay_alu instid0(SALU_CYCLE_1)
	s_or_b32 exec_lo, exec_lo, s23
.LBB219_98:                             ;   in Loop: Header=BB219_10 Depth=1
	s_delay_alu instid0(SALU_CYCLE_1) | instskip(NEXT) | instid1(SALU_CYCLE_1)
	s_or_b32 exec_lo, exec_lo, s22
	s_mov_b32 s22, exec_lo
	v_cmpx_lt_u32_e32 0xffffff, v0
	s_cbranch_execz .LBB219_106
; %bb.99:                               ;   in Loop: Header=BB219_10 Depth=1
	v_mov_b64_e32 v[94:95], 0x8000000000000000
	v_lshrrev_b32_e32 v1, 24, v0
	s_mov_b32 s23, exec_lo
	s_delay_alu instid0(VALU_DEP_1)
	v_cmpx_ne_u32_e32 0x80, v1
	s_cbranch_execz .LBB219_105
; %bb.100:                              ;   in Loop: Header=BB219_10 Depth=1
	v_mov_b64_e32 v[94:95], 0x7f80000100000000
	v_bfe_u32 v2, v0, 24, 7
	s_mov_b32 s29, exec_lo
	s_delay_alu instid0(VALU_DEP_1)
	v_cmpx_ne_u32_e32 0x7f, v2
	s_cbranch_execz .LBB219_104
; %bb.101:                              ;   in Loop: Header=BB219_10 Depth=1
	v_dual_lshrrev_b32 v0, 3, v2 :: v_dual_bitop2_b32 v66, 7, v1 bitop3:0x40
	s_mov_b32 s30, exec_lo
	v_cmpx_gt_u32_e32 8, v2
; %bb.102:                              ;   in Loop: Header=BB219_10 Depth=1
	s_delay_alu instid0(VALU_DEP_2) | instskip(NEXT) | instid1(VALU_DEP_1)
	v_clz_i32_u32_e32 v0, v66
	v_min_u32_e32 v0, 32, v0
	s_delay_alu instid0(VALU_DEP_1) | instskip(NEXT) | instid1(VALU_DEP_1)
	v_subrev_nc_u32_e32 v2, 28, v0
	v_lshlrev_b64_e32 v[2:3], v2, v[66:67]
	s_delay_alu instid0(VALU_DEP_1)
	v_dual_sub_nc_u32 v0, 29, v0 :: v_dual_bitop2_b32 v66, 7, v2 bitop3:0x40
; %bb.103:                              ;   in Loop: Header=BB219_10 Depth=1
	s_or_b32 exec_lo, exec_lo, s30
	s_delay_alu instid0(VALU_DEP_1) | instskip(NEXT) | instid1(VALU_DEP_2)
	v_dual_lshlrev_b32 v1, 24, v1 :: v_dual_lshlrev_b32 v2, 20, v66
	v_lshl_add_u32 v0, v0, 23, 0x3c000000
	v_mov_b32_e32 v94, v67
	s_delay_alu instid0(VALU_DEP_3) | instskip(NEXT) | instid1(VALU_DEP_1)
	v_and_b32_e32 v1, 0x80000000, v1
	v_or3_b32 v95, v2, v1, v0
.LBB219_104:                            ;   in Loop: Header=BB219_10 Depth=1
	s_or_b32 exec_lo, exec_lo, s29
.LBB219_105:                            ;   in Loop: Header=BB219_10 Depth=1
	s_delay_alu instid0(SALU_CYCLE_1)
	s_or_b32 exec_lo, exec_lo, s23
.LBB219_106:                            ;   in Loop: Header=BB219_10 Depth=1
	s_delay_alu instid0(SALU_CYCLE_1)
	s_or_b32 exec_lo, exec_lo, s22
	global_load_b32 v0, v[84:85], off offset:12
	v_mov_b64_e32 v[98:99], 0
	v_mov_b64_e32 v[100:101], 0
	s_mov_b32 s22, exec_lo
	s_wait_loadcnt 0x0
	v_and_b32_e32 v1, 0xff, v0
	s_wait_xcnt 0x0
	s_delay_alu instid0(VALU_DEP_1)
	v_cmpx_ne_u16_e32 0, v1
	s_cbranch_execz .LBB219_114
; %bb.107:                              ;   in Loop: Header=BB219_10 Depth=1
	v_mov_b64_e32 v[100:101], 0x80000000
	s_mov_b32 s23, exec_lo
	v_cmpx_ne_u16_e32 0x80, v1
	s_cbranch_execz .LBB219_113
; %bb.108:                              ;   in Loop: Header=BB219_10 Depth=1
	v_mov_b64_e32 v[100:101], 0x7f800001
	v_and_b32_e32 v2, 0x7f, v0
	s_mov_b32 s29, exec_lo
	s_delay_alu instid0(VALU_DEP_1)
	v_cmpx_ne_u32_e32 0x7f, v2
	s_cbranch_execz .LBB219_112
; %bb.109:                              ;   in Loop: Header=BB219_10 Depth=1
	v_dual_lshrrev_b32 v1, 3, v2 :: v_dual_bitop2_b32 v66, 7, v0 bitop3:0x40
	s_mov_b32 s30, exec_lo
	v_cmpx_gt_u32_e32 8, v2
; %bb.110:                              ;   in Loop: Header=BB219_10 Depth=1
	s_delay_alu instid0(VALU_DEP_2) | instskip(NEXT) | instid1(VALU_DEP_1)
	v_clz_i32_u32_e32 v1, v66
	v_min_u32_e32 v1, 32, v1
	s_delay_alu instid0(VALU_DEP_1) | instskip(NEXT) | instid1(VALU_DEP_1)
	v_subrev_nc_u32_e32 v2, 28, v1
	v_lshlrev_b64_e32 v[2:3], v2, v[66:67]
	s_delay_alu instid0(VALU_DEP_1)
	v_dual_sub_nc_u32 v1, 29, v1 :: v_dual_bitop2_b32 v66, 7, v2 bitop3:0x40
; %bb.111:                              ;   in Loop: Header=BB219_10 Depth=1
	s_or_b32 exec_lo, exec_lo, s30
	s_delay_alu instid0(VALU_DEP_1) | instskip(NEXT) | instid1(VALU_DEP_2)
	v_dual_lshlrev_b32 v2, 24, v0 :: v_dual_lshlrev_b32 v3, 20, v66
	v_lshl_add_u32 v1, v1, 23, 0x3c000000
	s_delay_alu instid0(VALU_DEP_2) | instskip(NEXT) | instid1(VALU_DEP_1)
	v_and_b32_e32 v2, 0x80000000, v2
	v_or3_b32 v66, v3, v2, v1
	s_delay_alu instid0(VALU_DEP_1)
	v_mov_b64_e32 v[100:101], v[66:67]
.LBB219_112:                            ;   in Loop: Header=BB219_10 Depth=1
	s_or_b32 exec_lo, exec_lo, s29
.LBB219_113:                            ;   in Loop: Header=BB219_10 Depth=1
	s_delay_alu instid0(SALU_CYCLE_1)
	s_or_b32 exec_lo, exec_lo, s23
.LBB219_114:                            ;   in Loop: Header=BB219_10 Depth=1
	s_delay_alu instid0(SALU_CYCLE_1) | instskip(SKIP_2) | instid1(VALU_DEP_1)
	s_or_b32 exec_lo, exec_lo, s22
	v_lshrrev_b16 v1, 8, v0
	s_mov_b32 s22, exec_lo
	v_cmpx_ne_u16_e32 0, v1
	s_cbranch_execz .LBB219_122
; %bb.115:                              ;   in Loop: Header=BB219_10 Depth=1
	v_mov_b64_e32 v[98:99], 0x8000000000000000
	s_mov_b32 s23, exec_lo
	v_cmpx_ne_u16_e32 0x80, v1
	s_cbranch_execz .LBB219_121
; %bb.116:                              ;   in Loop: Header=BB219_10 Depth=1
	v_and_b32_e32 v1, 0xffff, v1
	v_mov_b64_e32 v[98:99], 0x7f80000100000000
	s_mov_b32 s29, exec_lo
	s_delay_alu instid0(VALU_DEP_2) | instskip(NEXT) | instid1(VALU_DEP_1)
	v_and_b32_e32 v2, 0x7f, v1
	v_cmpx_ne_u32_e32 0x7f, v2
	s_cbranch_execz .LBB219_120
; %bb.117:                              ;   in Loop: Header=BB219_10 Depth=1
	v_dual_lshrrev_b32 v1, 3, v2 :: v_dual_bitop2_b32 v66, 7, v1 bitop3:0x40
	s_mov_b32 s30, exec_lo
	v_cmpx_gt_u32_e32 8, v2
; %bb.118:                              ;   in Loop: Header=BB219_10 Depth=1
	s_delay_alu instid0(VALU_DEP_2) | instskip(NEXT) | instid1(VALU_DEP_1)
	v_clz_i32_u32_e32 v1, v66
	v_min_u32_e32 v1, 32, v1
	s_delay_alu instid0(VALU_DEP_1) | instskip(NEXT) | instid1(VALU_DEP_1)
	v_subrev_nc_u32_e32 v2, 28, v1
	v_lshlrev_b64_e32 v[2:3], v2, v[66:67]
	s_delay_alu instid0(VALU_DEP_1)
	v_dual_sub_nc_u32 v1, 29, v1 :: v_dual_bitop2_b32 v66, 7, v2 bitop3:0x40
; %bb.119:                              ;   in Loop: Header=BB219_10 Depth=1
	s_or_b32 exec_lo, exec_lo, s30
	s_delay_alu instid0(VALU_DEP_1) | instskip(NEXT) | instid1(VALU_DEP_2)
	v_dual_lshlrev_b32 v2, 16, v0 :: v_dual_lshlrev_b32 v3, 20, v66
	v_lshl_add_u32 v1, v1, 23, 0x3c000000
	v_mov_b32_e32 v98, v67
	s_delay_alu instid0(VALU_DEP_3) | instskip(NEXT) | instid1(VALU_DEP_1)
	v_and_b32_e32 v2, 0x80000000, v2
	v_or3_b32 v99, v3, v2, v1
.LBB219_120:                            ;   in Loop: Header=BB219_10 Depth=1
	s_or_b32 exec_lo, exec_lo, s29
.LBB219_121:                            ;   in Loop: Header=BB219_10 Depth=1
	s_delay_alu instid0(SALU_CYCLE_1)
	s_or_b32 exec_lo, exec_lo, s23
.LBB219_122:                            ;   in Loop: Header=BB219_10 Depth=1
	s_delay_alu instid0(SALU_CYCLE_1) | instskip(SKIP_4) | instid1(VALU_DEP_3)
	s_or_b32 exec_lo, exec_lo, s22
	v_lshrrev_b32_e32 v1, 16, v0
	v_mov_b64_e32 v[102:103], 0
	v_mov_b64_e32 v[104:105], 0
	s_mov_b32 s22, exec_lo
	v_and_b32_e32 v2, 0xff, v1
	s_delay_alu instid0(VALU_DEP_1)
	v_cmpx_ne_u16_e32 0, v2
	s_cbranch_execz .LBB219_130
; %bb.123:                              ;   in Loop: Header=BB219_10 Depth=1
	v_mov_b64_e32 v[104:105], 0x80000000
	s_mov_b32 s23, exec_lo
	v_cmpx_ne_u16_e32 0x80, v2
	s_cbranch_execz .LBB219_129
; %bb.124:                              ;   in Loop: Header=BB219_10 Depth=1
	v_mov_b64_e32 v[104:105], 0x7f800001
	v_bfe_u32 v3, v0, 16, 7
	s_mov_b32 s29, exec_lo
	s_delay_alu instid0(VALU_DEP_1)
	v_cmpx_ne_u32_e32 0x7f, v3
	s_cbranch_execz .LBB219_128
; %bb.125:                              ;   in Loop: Header=BB219_10 Depth=1
	v_dual_lshrrev_b32 v2, 3, v3 :: v_dual_bitop2_b32 v66, 7, v1 bitop3:0x40
	s_mov_b32 s30, exec_lo
	v_cmpx_gt_u32_e32 8, v3
; %bb.126:                              ;   in Loop: Header=BB219_10 Depth=1
	s_delay_alu instid0(VALU_DEP_2) | instskip(NEXT) | instid1(VALU_DEP_1)
	v_clz_i32_u32_e32 v2, v66
	v_min_u32_e32 v2, 32, v2
	s_delay_alu instid0(VALU_DEP_1) | instskip(NEXT) | instid1(VALU_DEP_1)
	v_subrev_nc_u32_e32 v3, 28, v2
	v_lshlrev_b64_e32 v[4:5], v3, v[66:67]
	s_delay_alu instid0(VALU_DEP_1)
	v_dual_sub_nc_u32 v2, 29, v2 :: v_dual_bitop2_b32 v66, 7, v4 bitop3:0x40
; %bb.127:                              ;   in Loop: Header=BB219_10 Depth=1
	s_or_b32 exec_lo, exec_lo, s30
	s_delay_alu instid0(VALU_DEP_1) | instskip(NEXT) | instid1(VALU_DEP_2)
	v_dual_lshlrev_b32 v1, 24, v1 :: v_dual_lshlrev_b32 v3, 20, v66
	v_lshl_add_u32 v2, v2, 23, 0x3c000000
	s_delay_alu instid0(VALU_DEP_2) | instskip(NEXT) | instid1(VALU_DEP_1)
	v_and_b32_e32 v1, 0x80000000, v1
	v_or3_b32 v66, v3, v1, v2
	s_delay_alu instid0(VALU_DEP_1)
	v_mov_b64_e32 v[104:105], v[66:67]
.LBB219_128:                            ;   in Loop: Header=BB219_10 Depth=1
	s_or_b32 exec_lo, exec_lo, s29
.LBB219_129:                            ;   in Loop: Header=BB219_10 Depth=1
	s_delay_alu instid0(SALU_CYCLE_1)
	s_or_b32 exec_lo, exec_lo, s23
.LBB219_130:                            ;   in Loop: Header=BB219_10 Depth=1
	s_delay_alu instid0(SALU_CYCLE_1) | instskip(NEXT) | instid1(SALU_CYCLE_1)
	s_or_b32 exec_lo, exec_lo, s22
	s_mov_b32 s22, exec_lo
	v_cmpx_lt_u32_e32 0xffffff, v0
	s_cbranch_execz .LBB219_138
; %bb.131:                              ;   in Loop: Header=BB219_10 Depth=1
	v_mov_b64_e32 v[102:103], 0x8000000000000000
	v_lshrrev_b32_e32 v1, 24, v0
	s_mov_b32 s23, exec_lo
	s_delay_alu instid0(VALU_DEP_1)
	v_cmpx_ne_u32_e32 0x80, v1
	s_cbranch_execz .LBB219_137
; %bb.132:                              ;   in Loop: Header=BB219_10 Depth=1
	v_mov_b64_e32 v[102:103], 0x7f80000100000000
	v_bfe_u32 v2, v0, 24, 7
	s_mov_b32 s29, exec_lo
	s_delay_alu instid0(VALU_DEP_1)
	v_cmpx_ne_u32_e32 0x7f, v2
	s_cbranch_execz .LBB219_136
; %bb.133:                              ;   in Loop: Header=BB219_10 Depth=1
	v_dual_lshrrev_b32 v0, 3, v2 :: v_dual_bitop2_b32 v66, 7, v1 bitop3:0x40
	s_mov_b32 s30, exec_lo
	v_cmpx_gt_u32_e32 8, v2
; %bb.134:                              ;   in Loop: Header=BB219_10 Depth=1
	s_delay_alu instid0(VALU_DEP_2) | instskip(NEXT) | instid1(VALU_DEP_1)
	v_clz_i32_u32_e32 v0, v66
	v_min_u32_e32 v0, 32, v0
	s_delay_alu instid0(VALU_DEP_1) | instskip(NEXT) | instid1(VALU_DEP_1)
	v_subrev_nc_u32_e32 v2, 28, v0
	v_lshlrev_b64_e32 v[2:3], v2, v[66:67]
	s_delay_alu instid0(VALU_DEP_1)
	v_dual_sub_nc_u32 v0, 29, v0 :: v_dual_bitop2_b32 v66, 7, v2 bitop3:0x40
; %bb.135:                              ;   in Loop: Header=BB219_10 Depth=1
	s_or_b32 exec_lo, exec_lo, s30
	s_delay_alu instid0(VALU_DEP_1) | instskip(NEXT) | instid1(VALU_DEP_2)
	v_dual_lshlrev_b32 v1, 24, v1 :: v_dual_lshlrev_b32 v2, 20, v66
	v_lshl_add_u32 v0, v0, 23, 0x3c000000
	v_mov_b32_e32 v102, v67
	s_delay_alu instid0(VALU_DEP_3) | instskip(NEXT) | instid1(VALU_DEP_1)
	v_and_b32_e32 v1, 0x80000000, v1
	v_or3_b32 v103, v2, v1, v0
.LBB219_136:                            ;   in Loop: Header=BB219_10 Depth=1
	s_or_b32 exec_lo, exec_lo, s29
.LBB219_137:                            ;   in Loop: Header=BB219_10 Depth=1
	s_delay_alu instid0(SALU_CYCLE_1)
	s_or_b32 exec_lo, exec_lo, s23
.LBB219_138:                            ;   in Loop: Header=BB219_10 Depth=1
	s_delay_alu instid0(SALU_CYCLE_1)
	s_or_b32 exec_lo, exec_lo, s22
	global_load_b32 v0, v[84:85], off offset:512
	v_mov_b64_e32 v[106:107], 0
	v_mov_b64_e32 v[108:109], 0
	s_mov_b32 s22, exec_lo
	s_wait_loadcnt 0x0
	v_and_b32_e32 v1, 0xff, v0
	s_wait_xcnt 0x0
	s_delay_alu instid0(VALU_DEP_1)
	v_cmpx_ne_u16_e32 0, v1
	s_cbranch_execz .LBB219_146
; %bb.139:                              ;   in Loop: Header=BB219_10 Depth=1
	v_mov_b64_e32 v[108:109], 0x80000000
	s_mov_b32 s23, exec_lo
	v_cmpx_ne_u16_e32 0x80, v1
	s_cbranch_execz .LBB219_145
; %bb.140:                              ;   in Loop: Header=BB219_10 Depth=1
	v_mov_b64_e32 v[108:109], 0x7f800001
	v_and_b32_e32 v2, 0x7f, v0
	s_mov_b32 s29, exec_lo
	s_delay_alu instid0(VALU_DEP_1)
	v_cmpx_ne_u32_e32 0x7f, v2
	s_cbranch_execz .LBB219_144
; %bb.141:                              ;   in Loop: Header=BB219_10 Depth=1
	v_dual_lshrrev_b32 v1, 3, v2 :: v_dual_bitop2_b32 v66, 7, v0 bitop3:0x40
	s_mov_b32 s30, exec_lo
	v_cmpx_gt_u32_e32 8, v2
; %bb.142:                              ;   in Loop: Header=BB219_10 Depth=1
	s_delay_alu instid0(VALU_DEP_2) | instskip(NEXT) | instid1(VALU_DEP_1)
	v_clz_i32_u32_e32 v1, v66
	v_min_u32_e32 v1, 32, v1
	s_delay_alu instid0(VALU_DEP_1) | instskip(NEXT) | instid1(VALU_DEP_1)
	v_subrev_nc_u32_e32 v2, 28, v1
	v_lshlrev_b64_e32 v[2:3], v2, v[66:67]
	s_delay_alu instid0(VALU_DEP_1)
	v_dual_sub_nc_u32 v1, 29, v1 :: v_dual_bitop2_b32 v66, 7, v2 bitop3:0x40
; %bb.143:                              ;   in Loop: Header=BB219_10 Depth=1
	s_or_b32 exec_lo, exec_lo, s30
	s_delay_alu instid0(VALU_DEP_1) | instskip(NEXT) | instid1(VALU_DEP_2)
	v_dual_lshlrev_b32 v2, 24, v0 :: v_dual_lshlrev_b32 v3, 20, v66
	v_lshl_add_u32 v1, v1, 23, 0x3c000000
	s_delay_alu instid0(VALU_DEP_2) | instskip(NEXT) | instid1(VALU_DEP_1)
	v_and_b32_e32 v2, 0x80000000, v2
	v_or3_b32 v66, v3, v2, v1
	s_delay_alu instid0(VALU_DEP_1)
	v_mov_b64_e32 v[108:109], v[66:67]
.LBB219_144:                            ;   in Loop: Header=BB219_10 Depth=1
	s_or_b32 exec_lo, exec_lo, s29
.LBB219_145:                            ;   in Loop: Header=BB219_10 Depth=1
	s_delay_alu instid0(SALU_CYCLE_1)
	s_or_b32 exec_lo, exec_lo, s23
.LBB219_146:                            ;   in Loop: Header=BB219_10 Depth=1
	s_delay_alu instid0(SALU_CYCLE_1) | instskip(SKIP_2) | instid1(VALU_DEP_1)
	s_or_b32 exec_lo, exec_lo, s22
	v_lshrrev_b16 v1, 8, v0
	s_mov_b32 s22, exec_lo
	v_cmpx_ne_u16_e32 0, v1
	s_cbranch_execz .LBB219_154
; %bb.147:                              ;   in Loop: Header=BB219_10 Depth=1
	v_mov_b64_e32 v[106:107], 0x8000000000000000
	s_mov_b32 s23, exec_lo
	v_cmpx_ne_u16_e32 0x80, v1
	s_cbranch_execz .LBB219_153
; %bb.148:                              ;   in Loop: Header=BB219_10 Depth=1
	v_and_b32_e32 v1, 0xffff, v1
	v_mov_b64_e32 v[106:107], 0x7f80000100000000
	s_mov_b32 s29, exec_lo
	s_delay_alu instid0(VALU_DEP_2) | instskip(NEXT) | instid1(VALU_DEP_1)
	v_and_b32_e32 v2, 0x7f, v1
	v_cmpx_ne_u32_e32 0x7f, v2
	s_cbranch_execz .LBB219_152
; %bb.149:                              ;   in Loop: Header=BB219_10 Depth=1
	v_dual_lshrrev_b32 v1, 3, v2 :: v_dual_bitop2_b32 v66, 7, v1 bitop3:0x40
	s_mov_b32 s30, exec_lo
	v_cmpx_gt_u32_e32 8, v2
; %bb.150:                              ;   in Loop: Header=BB219_10 Depth=1
	s_delay_alu instid0(VALU_DEP_2) | instskip(NEXT) | instid1(VALU_DEP_1)
	v_clz_i32_u32_e32 v1, v66
	v_min_u32_e32 v1, 32, v1
	s_delay_alu instid0(VALU_DEP_1) | instskip(NEXT) | instid1(VALU_DEP_1)
	v_subrev_nc_u32_e32 v2, 28, v1
	v_lshlrev_b64_e32 v[2:3], v2, v[66:67]
	s_delay_alu instid0(VALU_DEP_1)
	v_dual_sub_nc_u32 v1, 29, v1 :: v_dual_bitop2_b32 v66, 7, v2 bitop3:0x40
; %bb.151:                              ;   in Loop: Header=BB219_10 Depth=1
	s_or_b32 exec_lo, exec_lo, s30
	s_delay_alu instid0(VALU_DEP_1) | instskip(NEXT) | instid1(VALU_DEP_2)
	v_dual_lshlrev_b32 v2, 16, v0 :: v_dual_lshlrev_b32 v3, 20, v66
	v_lshl_add_u32 v1, v1, 23, 0x3c000000
	v_mov_b32_e32 v106, v67
	s_delay_alu instid0(VALU_DEP_3) | instskip(NEXT) | instid1(VALU_DEP_1)
	v_and_b32_e32 v2, 0x80000000, v2
	v_or3_b32 v107, v3, v2, v1
.LBB219_152:                            ;   in Loop: Header=BB219_10 Depth=1
	s_or_b32 exec_lo, exec_lo, s29
.LBB219_153:                            ;   in Loop: Header=BB219_10 Depth=1
	s_delay_alu instid0(SALU_CYCLE_1)
	s_or_b32 exec_lo, exec_lo, s23
.LBB219_154:                            ;   in Loop: Header=BB219_10 Depth=1
	s_delay_alu instid0(SALU_CYCLE_1) | instskip(SKIP_4) | instid1(VALU_DEP_3)
	s_or_b32 exec_lo, exec_lo, s22
	v_lshrrev_b32_e32 v1, 16, v0
	v_mov_b64_e32 v[110:111], 0
	v_mov_b64_e32 v[112:113], 0
	s_mov_b32 s22, exec_lo
	v_and_b32_e32 v2, 0xff, v1
	s_delay_alu instid0(VALU_DEP_1)
	v_cmpx_ne_u16_e32 0, v2
	s_cbranch_execz .LBB219_162
; %bb.155:                              ;   in Loop: Header=BB219_10 Depth=1
	v_mov_b64_e32 v[112:113], 0x80000000
	s_mov_b32 s23, exec_lo
	v_cmpx_ne_u16_e32 0x80, v2
	s_cbranch_execz .LBB219_161
; %bb.156:                              ;   in Loop: Header=BB219_10 Depth=1
	v_mov_b64_e32 v[112:113], 0x7f800001
	v_bfe_u32 v3, v0, 16, 7
	s_mov_b32 s29, exec_lo
	s_delay_alu instid0(VALU_DEP_1)
	v_cmpx_ne_u32_e32 0x7f, v3
	s_cbranch_execz .LBB219_160
; %bb.157:                              ;   in Loop: Header=BB219_10 Depth=1
	v_dual_lshrrev_b32 v2, 3, v3 :: v_dual_bitop2_b32 v66, 7, v1 bitop3:0x40
	s_mov_b32 s30, exec_lo
	v_cmpx_gt_u32_e32 8, v3
; %bb.158:                              ;   in Loop: Header=BB219_10 Depth=1
	s_delay_alu instid0(VALU_DEP_2) | instskip(NEXT) | instid1(VALU_DEP_1)
	v_clz_i32_u32_e32 v2, v66
	v_min_u32_e32 v2, 32, v2
	s_delay_alu instid0(VALU_DEP_1) | instskip(NEXT) | instid1(VALU_DEP_1)
	v_subrev_nc_u32_e32 v3, 28, v2
	v_lshlrev_b64_e32 v[4:5], v3, v[66:67]
	s_delay_alu instid0(VALU_DEP_1)
	v_dual_sub_nc_u32 v2, 29, v2 :: v_dual_bitop2_b32 v66, 7, v4 bitop3:0x40
; %bb.159:                              ;   in Loop: Header=BB219_10 Depth=1
	s_or_b32 exec_lo, exec_lo, s30
	s_delay_alu instid0(VALU_DEP_1) | instskip(NEXT) | instid1(VALU_DEP_2)
	v_dual_lshlrev_b32 v1, 24, v1 :: v_dual_lshlrev_b32 v3, 20, v66
	v_lshl_add_u32 v2, v2, 23, 0x3c000000
	s_delay_alu instid0(VALU_DEP_2) | instskip(NEXT) | instid1(VALU_DEP_1)
	v_and_b32_e32 v1, 0x80000000, v1
	v_or3_b32 v66, v3, v1, v2
	s_delay_alu instid0(VALU_DEP_1)
	v_mov_b64_e32 v[112:113], v[66:67]
.LBB219_160:                            ;   in Loop: Header=BB219_10 Depth=1
	s_or_b32 exec_lo, exec_lo, s29
.LBB219_161:                            ;   in Loop: Header=BB219_10 Depth=1
	s_delay_alu instid0(SALU_CYCLE_1)
	s_or_b32 exec_lo, exec_lo, s23
.LBB219_162:                            ;   in Loop: Header=BB219_10 Depth=1
	s_delay_alu instid0(SALU_CYCLE_1) | instskip(NEXT) | instid1(SALU_CYCLE_1)
	s_or_b32 exec_lo, exec_lo, s22
	s_mov_b32 s22, exec_lo
	v_cmpx_lt_u32_e32 0xffffff, v0
	s_cbranch_execz .LBB219_170
; %bb.163:                              ;   in Loop: Header=BB219_10 Depth=1
	v_mov_b64_e32 v[110:111], 0x8000000000000000
	v_lshrrev_b32_e32 v1, 24, v0
	s_mov_b32 s23, exec_lo
	s_delay_alu instid0(VALU_DEP_1)
	v_cmpx_ne_u32_e32 0x80, v1
	s_cbranch_execz .LBB219_169
; %bb.164:                              ;   in Loop: Header=BB219_10 Depth=1
	v_mov_b64_e32 v[110:111], 0x7f80000100000000
	v_bfe_u32 v2, v0, 24, 7
	s_mov_b32 s29, exec_lo
	s_delay_alu instid0(VALU_DEP_1)
	v_cmpx_ne_u32_e32 0x7f, v2
	s_cbranch_execz .LBB219_168
; %bb.165:                              ;   in Loop: Header=BB219_10 Depth=1
	v_dual_lshrrev_b32 v0, 3, v2 :: v_dual_bitop2_b32 v66, 7, v1 bitop3:0x40
	s_mov_b32 s30, exec_lo
	v_cmpx_gt_u32_e32 8, v2
; %bb.166:                              ;   in Loop: Header=BB219_10 Depth=1
	s_delay_alu instid0(VALU_DEP_2) | instskip(NEXT) | instid1(VALU_DEP_1)
	v_clz_i32_u32_e32 v0, v66
	v_min_u32_e32 v0, 32, v0
	s_delay_alu instid0(VALU_DEP_1) | instskip(NEXT) | instid1(VALU_DEP_1)
	v_subrev_nc_u32_e32 v2, 28, v0
	v_lshlrev_b64_e32 v[2:3], v2, v[66:67]
	s_delay_alu instid0(VALU_DEP_1)
	v_dual_sub_nc_u32 v0, 29, v0 :: v_dual_bitop2_b32 v66, 7, v2 bitop3:0x40
; %bb.167:                              ;   in Loop: Header=BB219_10 Depth=1
	s_or_b32 exec_lo, exec_lo, s30
	s_delay_alu instid0(VALU_DEP_1) | instskip(NEXT) | instid1(VALU_DEP_2)
	v_dual_lshlrev_b32 v1, 24, v1 :: v_dual_lshlrev_b32 v2, 20, v66
	v_lshl_add_u32 v0, v0, 23, 0x3c000000
	v_mov_b32_e32 v110, v67
	s_delay_alu instid0(VALU_DEP_3) | instskip(NEXT) | instid1(VALU_DEP_1)
	v_and_b32_e32 v1, 0x80000000, v1
	v_or3_b32 v111, v2, v1, v0
.LBB219_168:                            ;   in Loop: Header=BB219_10 Depth=1
	s_or_b32 exec_lo, exec_lo, s29
.LBB219_169:                            ;   in Loop: Header=BB219_10 Depth=1
	s_delay_alu instid0(SALU_CYCLE_1)
	s_or_b32 exec_lo, exec_lo, s23
.LBB219_170:                            ;   in Loop: Header=BB219_10 Depth=1
	s_delay_alu instid0(SALU_CYCLE_1)
	s_or_b32 exec_lo, exec_lo, s22
	global_load_b32 v0, v[84:85], off offset:516
	v_mov_b64_e32 v[114:115], 0
	v_mov_b64_e32 v[116:117], 0
	s_mov_b32 s22, exec_lo
	s_wait_loadcnt 0x0
	v_and_b32_e32 v1, 0xff, v0
	s_wait_xcnt 0x0
	s_delay_alu instid0(VALU_DEP_1)
	v_cmpx_ne_u16_e32 0, v1
	s_cbranch_execz .LBB219_178
; %bb.171:                              ;   in Loop: Header=BB219_10 Depth=1
	v_mov_b64_e32 v[116:117], 0x80000000
	s_mov_b32 s23, exec_lo
	v_cmpx_ne_u16_e32 0x80, v1
	s_cbranch_execz .LBB219_177
; %bb.172:                              ;   in Loop: Header=BB219_10 Depth=1
	v_mov_b64_e32 v[116:117], 0x7f800001
	v_and_b32_e32 v2, 0x7f, v0
	s_mov_b32 s29, exec_lo
	s_delay_alu instid0(VALU_DEP_1)
	v_cmpx_ne_u32_e32 0x7f, v2
	s_cbranch_execz .LBB219_176
; %bb.173:                              ;   in Loop: Header=BB219_10 Depth=1
	v_dual_lshrrev_b32 v1, 3, v2 :: v_dual_bitop2_b32 v66, 7, v0 bitop3:0x40
	s_mov_b32 s30, exec_lo
	v_cmpx_gt_u32_e32 8, v2
; %bb.174:                              ;   in Loop: Header=BB219_10 Depth=1
	s_delay_alu instid0(VALU_DEP_2) | instskip(NEXT) | instid1(VALU_DEP_1)
	v_clz_i32_u32_e32 v1, v66
	v_min_u32_e32 v1, 32, v1
	s_delay_alu instid0(VALU_DEP_1) | instskip(NEXT) | instid1(VALU_DEP_1)
	v_subrev_nc_u32_e32 v2, 28, v1
	v_lshlrev_b64_e32 v[2:3], v2, v[66:67]
	s_delay_alu instid0(VALU_DEP_1)
	v_dual_sub_nc_u32 v1, 29, v1 :: v_dual_bitop2_b32 v66, 7, v2 bitop3:0x40
; %bb.175:                              ;   in Loop: Header=BB219_10 Depth=1
	s_or_b32 exec_lo, exec_lo, s30
	s_delay_alu instid0(VALU_DEP_1) | instskip(NEXT) | instid1(VALU_DEP_2)
	v_dual_lshlrev_b32 v2, 24, v0 :: v_dual_lshlrev_b32 v3, 20, v66
	v_lshl_add_u32 v1, v1, 23, 0x3c000000
	s_delay_alu instid0(VALU_DEP_2) | instskip(NEXT) | instid1(VALU_DEP_1)
	v_and_b32_e32 v2, 0x80000000, v2
	v_or3_b32 v66, v3, v2, v1
	s_delay_alu instid0(VALU_DEP_1)
	v_mov_b64_e32 v[116:117], v[66:67]
.LBB219_176:                            ;   in Loop: Header=BB219_10 Depth=1
	s_or_b32 exec_lo, exec_lo, s29
.LBB219_177:                            ;   in Loop: Header=BB219_10 Depth=1
	s_delay_alu instid0(SALU_CYCLE_1)
	s_or_b32 exec_lo, exec_lo, s23
.LBB219_178:                            ;   in Loop: Header=BB219_10 Depth=1
	s_delay_alu instid0(SALU_CYCLE_1) | instskip(SKIP_2) | instid1(VALU_DEP_1)
	s_or_b32 exec_lo, exec_lo, s22
	v_lshrrev_b16 v1, 8, v0
	s_mov_b32 s22, exec_lo
	v_cmpx_ne_u16_e32 0, v1
	s_cbranch_execz .LBB219_186
; %bb.179:                              ;   in Loop: Header=BB219_10 Depth=1
	v_mov_b64_e32 v[114:115], 0x8000000000000000
	s_mov_b32 s23, exec_lo
	v_cmpx_ne_u16_e32 0x80, v1
	s_cbranch_execz .LBB219_185
; %bb.180:                              ;   in Loop: Header=BB219_10 Depth=1
	v_and_b32_e32 v1, 0xffff, v1
	v_mov_b64_e32 v[114:115], 0x7f80000100000000
	s_mov_b32 s29, exec_lo
	s_delay_alu instid0(VALU_DEP_2) | instskip(NEXT) | instid1(VALU_DEP_1)
	v_and_b32_e32 v2, 0x7f, v1
	v_cmpx_ne_u32_e32 0x7f, v2
	s_cbranch_execz .LBB219_184
; %bb.181:                              ;   in Loop: Header=BB219_10 Depth=1
	v_dual_lshrrev_b32 v1, 3, v2 :: v_dual_bitop2_b32 v66, 7, v1 bitop3:0x40
	s_mov_b32 s30, exec_lo
	v_cmpx_gt_u32_e32 8, v2
; %bb.182:                              ;   in Loop: Header=BB219_10 Depth=1
	s_delay_alu instid0(VALU_DEP_2) | instskip(NEXT) | instid1(VALU_DEP_1)
	v_clz_i32_u32_e32 v1, v66
	v_min_u32_e32 v1, 32, v1
	s_delay_alu instid0(VALU_DEP_1) | instskip(NEXT) | instid1(VALU_DEP_1)
	v_subrev_nc_u32_e32 v2, 28, v1
	v_lshlrev_b64_e32 v[2:3], v2, v[66:67]
	s_delay_alu instid0(VALU_DEP_1)
	v_dual_sub_nc_u32 v1, 29, v1 :: v_dual_bitop2_b32 v66, 7, v2 bitop3:0x40
; %bb.183:                              ;   in Loop: Header=BB219_10 Depth=1
	s_or_b32 exec_lo, exec_lo, s30
	s_delay_alu instid0(VALU_DEP_1) | instskip(NEXT) | instid1(VALU_DEP_2)
	v_dual_lshlrev_b32 v2, 16, v0 :: v_dual_lshlrev_b32 v3, 20, v66
	v_lshl_add_u32 v1, v1, 23, 0x3c000000
	v_mov_b32_e32 v114, v67
	s_delay_alu instid0(VALU_DEP_3) | instskip(NEXT) | instid1(VALU_DEP_1)
	v_and_b32_e32 v2, 0x80000000, v2
	v_or3_b32 v115, v3, v2, v1
.LBB219_184:                            ;   in Loop: Header=BB219_10 Depth=1
	s_or_b32 exec_lo, exec_lo, s29
.LBB219_185:                            ;   in Loop: Header=BB219_10 Depth=1
	s_delay_alu instid0(SALU_CYCLE_1)
	s_or_b32 exec_lo, exec_lo, s23
.LBB219_186:                            ;   in Loop: Header=BB219_10 Depth=1
	s_delay_alu instid0(SALU_CYCLE_1) | instskip(SKIP_4) | instid1(VALU_DEP_3)
	s_or_b32 exec_lo, exec_lo, s22
	v_lshrrev_b32_e32 v1, 16, v0
	v_mov_b64_e32 v[118:119], 0
	v_mov_b64_e32 v[120:121], 0
	s_mov_b32 s22, exec_lo
	v_and_b32_e32 v2, 0xff, v1
	s_delay_alu instid0(VALU_DEP_1)
	v_cmpx_ne_u16_e32 0, v2
	s_cbranch_execz .LBB219_194
; %bb.187:                              ;   in Loop: Header=BB219_10 Depth=1
	v_mov_b64_e32 v[120:121], 0x80000000
	s_mov_b32 s23, exec_lo
	v_cmpx_ne_u16_e32 0x80, v2
	s_cbranch_execz .LBB219_193
; %bb.188:                              ;   in Loop: Header=BB219_10 Depth=1
	v_mov_b64_e32 v[120:121], 0x7f800001
	v_bfe_u32 v3, v0, 16, 7
	s_mov_b32 s29, exec_lo
	s_delay_alu instid0(VALU_DEP_1)
	v_cmpx_ne_u32_e32 0x7f, v3
	s_cbranch_execz .LBB219_192
; %bb.189:                              ;   in Loop: Header=BB219_10 Depth=1
	v_dual_lshrrev_b32 v2, 3, v3 :: v_dual_bitop2_b32 v66, 7, v1 bitop3:0x40
	s_mov_b32 s30, exec_lo
	v_cmpx_gt_u32_e32 8, v3
; %bb.190:                              ;   in Loop: Header=BB219_10 Depth=1
	s_delay_alu instid0(VALU_DEP_2) | instskip(NEXT) | instid1(VALU_DEP_1)
	v_clz_i32_u32_e32 v2, v66
	v_min_u32_e32 v2, 32, v2
	s_delay_alu instid0(VALU_DEP_1) | instskip(NEXT) | instid1(VALU_DEP_1)
	v_subrev_nc_u32_e32 v3, 28, v2
	v_lshlrev_b64_e32 v[4:5], v3, v[66:67]
	s_delay_alu instid0(VALU_DEP_1)
	v_dual_sub_nc_u32 v2, 29, v2 :: v_dual_bitop2_b32 v66, 7, v4 bitop3:0x40
; %bb.191:                              ;   in Loop: Header=BB219_10 Depth=1
	s_or_b32 exec_lo, exec_lo, s30
	s_delay_alu instid0(VALU_DEP_1) | instskip(NEXT) | instid1(VALU_DEP_2)
	v_dual_lshlrev_b32 v1, 24, v1 :: v_dual_lshlrev_b32 v3, 20, v66
	v_lshl_add_u32 v2, v2, 23, 0x3c000000
	s_delay_alu instid0(VALU_DEP_2) | instskip(NEXT) | instid1(VALU_DEP_1)
	v_and_b32_e32 v1, 0x80000000, v1
	v_or3_b32 v66, v3, v1, v2
	s_delay_alu instid0(VALU_DEP_1)
	v_mov_b64_e32 v[120:121], v[66:67]
.LBB219_192:                            ;   in Loop: Header=BB219_10 Depth=1
	s_or_b32 exec_lo, exec_lo, s29
.LBB219_193:                            ;   in Loop: Header=BB219_10 Depth=1
	s_delay_alu instid0(SALU_CYCLE_1)
	s_or_b32 exec_lo, exec_lo, s23
.LBB219_194:                            ;   in Loop: Header=BB219_10 Depth=1
	s_delay_alu instid0(SALU_CYCLE_1) | instskip(NEXT) | instid1(SALU_CYCLE_1)
	s_or_b32 exec_lo, exec_lo, s22
	s_mov_b32 s22, exec_lo
	v_cmpx_lt_u32_e32 0xffffff, v0
	s_cbranch_execz .LBB219_202
; %bb.195:                              ;   in Loop: Header=BB219_10 Depth=1
	v_mov_b64_e32 v[118:119], 0x8000000000000000
	v_lshrrev_b32_e32 v1, 24, v0
	s_mov_b32 s23, exec_lo
	s_delay_alu instid0(VALU_DEP_1)
	v_cmpx_ne_u32_e32 0x80, v1
	s_cbranch_execz .LBB219_201
; %bb.196:                              ;   in Loop: Header=BB219_10 Depth=1
	v_mov_b64_e32 v[118:119], 0x7f80000100000000
	v_bfe_u32 v2, v0, 24, 7
	s_mov_b32 s29, exec_lo
	s_delay_alu instid0(VALU_DEP_1)
	v_cmpx_ne_u32_e32 0x7f, v2
	s_cbranch_execz .LBB219_200
; %bb.197:                              ;   in Loop: Header=BB219_10 Depth=1
	v_dual_lshrrev_b32 v0, 3, v2 :: v_dual_bitop2_b32 v66, 7, v1 bitop3:0x40
	s_mov_b32 s30, exec_lo
	v_cmpx_gt_u32_e32 8, v2
; %bb.198:                              ;   in Loop: Header=BB219_10 Depth=1
	s_delay_alu instid0(VALU_DEP_2) | instskip(NEXT) | instid1(VALU_DEP_1)
	v_clz_i32_u32_e32 v0, v66
	v_min_u32_e32 v0, 32, v0
	s_delay_alu instid0(VALU_DEP_1) | instskip(NEXT) | instid1(VALU_DEP_1)
	v_subrev_nc_u32_e32 v2, 28, v0
	v_lshlrev_b64_e32 v[2:3], v2, v[66:67]
	s_delay_alu instid0(VALU_DEP_1)
	v_dual_sub_nc_u32 v0, 29, v0 :: v_dual_bitop2_b32 v66, 7, v2 bitop3:0x40
; %bb.199:                              ;   in Loop: Header=BB219_10 Depth=1
	s_or_b32 exec_lo, exec_lo, s30
	s_delay_alu instid0(VALU_DEP_1) | instskip(NEXT) | instid1(VALU_DEP_2)
	v_dual_lshlrev_b32 v1, 24, v1 :: v_dual_lshlrev_b32 v2, 20, v66
	v_lshl_add_u32 v0, v0, 23, 0x3c000000
	v_mov_b32_e32 v118, v67
	s_delay_alu instid0(VALU_DEP_3) | instskip(NEXT) | instid1(VALU_DEP_1)
	v_and_b32_e32 v1, 0x80000000, v1
	v_or3_b32 v119, v2, v1, v0
.LBB219_200:                            ;   in Loop: Header=BB219_10 Depth=1
	s_or_b32 exec_lo, exec_lo, s29
.LBB219_201:                            ;   in Loop: Header=BB219_10 Depth=1
	s_delay_alu instid0(SALU_CYCLE_1)
	s_or_b32 exec_lo, exec_lo, s23
.LBB219_202:                            ;   in Loop: Header=BB219_10 Depth=1
	s_delay_alu instid0(SALU_CYCLE_1)
	s_or_b32 exec_lo, exec_lo, s22
	global_load_b32 v0, v[84:85], off offset:520
	v_mov_b64_e32 v[122:123], 0
	v_mov_b64_e32 v[124:125], 0
	s_mov_b32 s22, exec_lo
	s_wait_loadcnt 0x0
	v_and_b32_e32 v1, 0xff, v0
	s_wait_xcnt 0x0
	s_delay_alu instid0(VALU_DEP_1)
	v_cmpx_ne_u16_e32 0, v1
	s_cbranch_execz .LBB219_210
; %bb.203:                              ;   in Loop: Header=BB219_10 Depth=1
	v_mov_b64_e32 v[124:125], 0x80000000
	s_mov_b32 s23, exec_lo
	v_cmpx_ne_u16_e32 0x80, v1
	s_cbranch_execz .LBB219_209
; %bb.204:                              ;   in Loop: Header=BB219_10 Depth=1
	v_mov_b64_e32 v[124:125], 0x7f800001
	v_and_b32_e32 v2, 0x7f, v0
	s_mov_b32 s29, exec_lo
	s_delay_alu instid0(VALU_DEP_1)
	v_cmpx_ne_u32_e32 0x7f, v2
	s_cbranch_execz .LBB219_208
; %bb.205:                              ;   in Loop: Header=BB219_10 Depth=1
	v_dual_lshrrev_b32 v1, 3, v2 :: v_dual_bitop2_b32 v66, 7, v0 bitop3:0x40
	s_mov_b32 s30, exec_lo
	v_cmpx_gt_u32_e32 8, v2
; %bb.206:                              ;   in Loop: Header=BB219_10 Depth=1
	s_delay_alu instid0(VALU_DEP_2) | instskip(NEXT) | instid1(VALU_DEP_1)
	v_clz_i32_u32_e32 v1, v66
	v_min_u32_e32 v1, 32, v1
	s_delay_alu instid0(VALU_DEP_1) | instskip(NEXT) | instid1(VALU_DEP_1)
	v_subrev_nc_u32_e32 v2, 28, v1
	v_lshlrev_b64_e32 v[2:3], v2, v[66:67]
	s_delay_alu instid0(VALU_DEP_1)
	v_dual_sub_nc_u32 v1, 29, v1 :: v_dual_bitop2_b32 v66, 7, v2 bitop3:0x40
; %bb.207:                              ;   in Loop: Header=BB219_10 Depth=1
	s_or_b32 exec_lo, exec_lo, s30
	s_delay_alu instid0(VALU_DEP_1) | instskip(NEXT) | instid1(VALU_DEP_2)
	v_dual_lshlrev_b32 v2, 24, v0 :: v_dual_lshlrev_b32 v3, 20, v66
	v_lshl_add_u32 v1, v1, 23, 0x3c000000
	s_delay_alu instid0(VALU_DEP_2) | instskip(NEXT) | instid1(VALU_DEP_1)
	v_and_b32_e32 v2, 0x80000000, v2
	v_or3_b32 v66, v3, v2, v1
	s_delay_alu instid0(VALU_DEP_1)
	v_mov_b64_e32 v[124:125], v[66:67]
.LBB219_208:                            ;   in Loop: Header=BB219_10 Depth=1
	s_or_b32 exec_lo, exec_lo, s29
.LBB219_209:                            ;   in Loop: Header=BB219_10 Depth=1
	s_delay_alu instid0(SALU_CYCLE_1)
	s_or_b32 exec_lo, exec_lo, s23
.LBB219_210:                            ;   in Loop: Header=BB219_10 Depth=1
	s_delay_alu instid0(SALU_CYCLE_1) | instskip(SKIP_2) | instid1(VALU_DEP_1)
	s_or_b32 exec_lo, exec_lo, s22
	v_lshrrev_b16 v1, 8, v0
	s_mov_b32 s22, exec_lo
	v_cmpx_ne_u16_e32 0, v1
	s_cbranch_execz .LBB219_218
; %bb.211:                              ;   in Loop: Header=BB219_10 Depth=1
	v_mov_b64_e32 v[122:123], 0x8000000000000000
	s_mov_b32 s23, exec_lo
	v_cmpx_ne_u16_e32 0x80, v1
	s_cbranch_execz .LBB219_217
; %bb.212:                              ;   in Loop: Header=BB219_10 Depth=1
	v_and_b32_e32 v1, 0xffff, v1
	v_mov_b64_e32 v[122:123], 0x7f80000100000000
	s_mov_b32 s29, exec_lo
	s_delay_alu instid0(VALU_DEP_2) | instskip(NEXT) | instid1(VALU_DEP_1)
	v_and_b32_e32 v2, 0x7f, v1
	v_cmpx_ne_u32_e32 0x7f, v2
	s_cbranch_execz .LBB219_216
; %bb.213:                              ;   in Loop: Header=BB219_10 Depth=1
	v_dual_lshrrev_b32 v1, 3, v2 :: v_dual_bitop2_b32 v66, 7, v1 bitop3:0x40
	s_mov_b32 s30, exec_lo
	v_cmpx_gt_u32_e32 8, v2
; %bb.214:                              ;   in Loop: Header=BB219_10 Depth=1
	s_delay_alu instid0(VALU_DEP_2) | instskip(NEXT) | instid1(VALU_DEP_1)
	v_clz_i32_u32_e32 v1, v66
	v_min_u32_e32 v1, 32, v1
	s_delay_alu instid0(VALU_DEP_1) | instskip(NEXT) | instid1(VALU_DEP_1)
	v_subrev_nc_u32_e32 v2, 28, v1
	v_lshlrev_b64_e32 v[2:3], v2, v[66:67]
	s_delay_alu instid0(VALU_DEP_1)
	v_dual_sub_nc_u32 v1, 29, v1 :: v_dual_bitop2_b32 v66, 7, v2 bitop3:0x40
; %bb.215:                              ;   in Loop: Header=BB219_10 Depth=1
	s_or_b32 exec_lo, exec_lo, s30
	s_delay_alu instid0(VALU_DEP_1) | instskip(NEXT) | instid1(VALU_DEP_2)
	v_dual_lshlrev_b32 v2, 16, v0 :: v_dual_lshlrev_b32 v3, 20, v66
	v_lshl_add_u32 v1, v1, 23, 0x3c000000
	v_mov_b32_e32 v122, v67
	s_delay_alu instid0(VALU_DEP_3) | instskip(NEXT) | instid1(VALU_DEP_1)
	v_and_b32_e32 v2, 0x80000000, v2
	v_or3_b32 v123, v3, v2, v1
.LBB219_216:                            ;   in Loop: Header=BB219_10 Depth=1
	s_or_b32 exec_lo, exec_lo, s29
.LBB219_217:                            ;   in Loop: Header=BB219_10 Depth=1
	s_delay_alu instid0(SALU_CYCLE_1)
	s_or_b32 exec_lo, exec_lo, s23
.LBB219_218:                            ;   in Loop: Header=BB219_10 Depth=1
	s_delay_alu instid0(SALU_CYCLE_1) | instskip(SKIP_4) | instid1(VALU_DEP_3)
	s_or_b32 exec_lo, exec_lo, s22
	v_lshrrev_b32_e32 v1, 16, v0
	v_mov_b64_e32 v[126:127], 0
	v_mov_b64_e32 v[68:69], 0
	s_mov_b32 s22, exec_lo
	v_and_b32_e32 v2, 0xff, v1
	s_delay_alu instid0(VALU_DEP_1)
	v_cmpx_ne_u16_e32 0, v2
	s_cbranch_execz .LBB219_226
; %bb.219:                              ;   in Loop: Header=BB219_10 Depth=1
	v_mov_b64_e32 v[68:69], 0x80000000
	s_mov_b32 s23, exec_lo
	v_cmpx_ne_u16_e32 0x80, v2
	s_cbranch_execz .LBB219_225
; %bb.220:                              ;   in Loop: Header=BB219_10 Depth=1
	v_mov_b64_e32 v[68:69], 0x7f800001
	v_bfe_u32 v3, v0, 16, 7
	s_mov_b32 s29, exec_lo
	s_delay_alu instid0(VALU_DEP_1)
	v_cmpx_ne_u32_e32 0x7f, v3
	s_cbranch_execz .LBB219_224
; %bb.221:                              ;   in Loop: Header=BB219_10 Depth=1
	v_dual_lshrrev_b32 v2, 3, v3 :: v_dual_bitop2_b32 v66, 7, v1 bitop3:0x40
	s_mov_b32 s30, exec_lo
	v_cmpx_gt_u32_e32 8, v3
; %bb.222:                              ;   in Loop: Header=BB219_10 Depth=1
	s_delay_alu instid0(VALU_DEP_2) | instskip(NEXT) | instid1(VALU_DEP_1)
	v_clz_i32_u32_e32 v2, v66
	v_min_u32_e32 v2, 32, v2
	s_delay_alu instid0(VALU_DEP_1) | instskip(NEXT) | instid1(VALU_DEP_1)
	v_subrev_nc_u32_e32 v3, 28, v2
	v_lshlrev_b64_e32 v[4:5], v3, v[66:67]
	s_delay_alu instid0(VALU_DEP_1)
	v_dual_sub_nc_u32 v2, 29, v2 :: v_dual_bitop2_b32 v66, 7, v4 bitop3:0x40
; %bb.223:                              ;   in Loop: Header=BB219_10 Depth=1
	s_or_b32 exec_lo, exec_lo, s30
	s_delay_alu instid0(VALU_DEP_1) | instskip(NEXT) | instid1(VALU_DEP_2)
	v_dual_lshlrev_b32 v1, 24, v1 :: v_dual_lshlrev_b32 v3, 20, v66
	v_lshl_add_u32 v2, v2, 23, 0x3c000000
	s_delay_alu instid0(VALU_DEP_2) | instskip(NEXT) | instid1(VALU_DEP_1)
	v_and_b32_e32 v1, 0x80000000, v1
	v_or3_b32 v66, v3, v1, v2
	s_delay_alu instid0(VALU_DEP_1)
	v_mov_b64_e32 v[68:69], v[66:67]
.LBB219_224:                            ;   in Loop: Header=BB219_10 Depth=1
	s_or_b32 exec_lo, exec_lo, s29
.LBB219_225:                            ;   in Loop: Header=BB219_10 Depth=1
	s_delay_alu instid0(SALU_CYCLE_1)
	s_or_b32 exec_lo, exec_lo, s23
.LBB219_226:                            ;   in Loop: Header=BB219_10 Depth=1
	s_delay_alu instid0(SALU_CYCLE_1) | instskip(NEXT) | instid1(SALU_CYCLE_1)
	s_or_b32 exec_lo, exec_lo, s22
	s_mov_b32 s22, exec_lo
	v_cmpx_lt_u32_e32 0xffffff, v0
	s_cbranch_execz .LBB219_234
; %bb.227:                              ;   in Loop: Header=BB219_10 Depth=1
	v_mov_b64_e32 v[126:127], 0x8000000000000000
	v_lshrrev_b32_e32 v1, 24, v0
	s_mov_b32 s23, exec_lo
	s_delay_alu instid0(VALU_DEP_1)
	v_cmpx_ne_u32_e32 0x80, v1
	s_cbranch_execz .LBB219_233
; %bb.228:                              ;   in Loop: Header=BB219_10 Depth=1
	v_mov_b64_e32 v[126:127], 0x7f80000100000000
	v_bfe_u32 v2, v0, 24, 7
	s_mov_b32 s29, exec_lo
	s_delay_alu instid0(VALU_DEP_1)
	v_cmpx_ne_u32_e32 0x7f, v2
	s_cbranch_execz .LBB219_232
; %bb.229:                              ;   in Loop: Header=BB219_10 Depth=1
	v_dual_lshrrev_b32 v0, 3, v2 :: v_dual_bitop2_b32 v66, 7, v1 bitop3:0x40
	s_mov_b32 s30, exec_lo
	v_cmpx_gt_u32_e32 8, v2
; %bb.230:                              ;   in Loop: Header=BB219_10 Depth=1
	s_delay_alu instid0(VALU_DEP_2) | instskip(NEXT) | instid1(VALU_DEP_1)
	v_clz_i32_u32_e32 v0, v66
	v_min_u32_e32 v0, 32, v0
	s_delay_alu instid0(VALU_DEP_1) | instskip(NEXT) | instid1(VALU_DEP_1)
	v_subrev_nc_u32_e32 v2, 28, v0
	v_lshlrev_b64_e32 v[2:3], v2, v[66:67]
	s_delay_alu instid0(VALU_DEP_1)
	v_dual_sub_nc_u32 v0, 29, v0 :: v_dual_bitop2_b32 v66, 7, v2 bitop3:0x40
; %bb.231:                              ;   in Loop: Header=BB219_10 Depth=1
	s_or_b32 exec_lo, exec_lo, s30
	s_delay_alu instid0(VALU_DEP_1) | instskip(NEXT) | instid1(VALU_DEP_2)
	v_dual_lshlrev_b32 v1, 24, v1 :: v_dual_lshlrev_b32 v2, 20, v66
	v_lshl_add_u32 v0, v0, 23, 0x3c000000
	v_mov_b32_e32 v126, v67
	s_delay_alu instid0(VALU_DEP_3) | instskip(NEXT) | instid1(VALU_DEP_1)
	v_and_b32_e32 v1, 0x80000000, v1
	v_or3_b32 v127, v2, v1, v0
.LBB219_232:                            ;   in Loop: Header=BB219_10 Depth=1
	s_or_b32 exec_lo, exec_lo, s29
.LBB219_233:                            ;   in Loop: Header=BB219_10 Depth=1
	s_delay_alu instid0(SALU_CYCLE_1)
	s_or_b32 exec_lo, exec_lo, s23
.LBB219_234:                            ;   in Loop: Header=BB219_10 Depth=1
	s_delay_alu instid0(SALU_CYCLE_1)
	s_or_b32 exec_lo, exec_lo, s22
	global_load_b32 v8, v[84:85], off offset:524
	v_mov_b64_e32 v[0:1], 0
	v_mov_b64_e32 v[2:3], 0
	s_mov_b32 s22, exec_lo
	s_wait_loadcnt 0x0
	v_and_b32_e32 v4, 0xff, v8
	s_wait_xcnt 0x0
	s_delay_alu instid0(VALU_DEP_1)
	v_cmpx_ne_u16_e32 0, v4
	s_cbranch_execz .LBB219_242
; %bb.235:                              ;   in Loop: Header=BB219_10 Depth=1
	v_mov_b64_e32 v[2:3], 0x80000000
	s_mov_b32 s23, exec_lo
	v_cmpx_ne_u16_e32 0x80, v4
	s_cbranch_execz .LBB219_241
; %bb.236:                              ;   in Loop: Header=BB219_10 Depth=1
	v_mov_b64_e32 v[2:3], 0x7f800001
	v_and_b32_e32 v4, 0x7f, v8
	s_mov_b32 s29, exec_lo
	s_delay_alu instid0(VALU_DEP_1)
	v_cmpx_ne_u32_e32 0x7f, v4
	s_cbranch_execz .LBB219_240
; %bb.237:                              ;   in Loop: Header=BB219_10 Depth=1
	v_and_b32_e32 v66, 7, v8
	v_lshrrev_b32_e32 v2, 3, v4
	s_mov_b32 s30, exec_lo
	v_cmpx_gt_u32_e32 8, v4
; %bb.238:                              ;   in Loop: Header=BB219_10 Depth=1
	s_delay_alu instid0(VALU_DEP_3) | instskip(NEXT) | instid1(VALU_DEP_1)
	v_clz_i32_u32_e32 v2, v66
	v_min_u32_e32 v2, 32, v2
	s_delay_alu instid0(VALU_DEP_1) | instskip(NEXT) | instid1(VALU_DEP_1)
	v_subrev_nc_u32_e32 v3, 28, v2
	v_lshlrev_b64_e32 v[4:5], v3, v[66:67]
	s_delay_alu instid0(VALU_DEP_1)
	v_dual_sub_nc_u32 v2, 29, v2 :: v_dual_bitop2_b32 v66, 7, v4 bitop3:0x40
; %bb.239:                              ;   in Loop: Header=BB219_10 Depth=1
	s_or_b32 exec_lo, exec_lo, s30
	s_delay_alu instid0(VALU_DEP_1) | instskip(NEXT) | instid1(VALU_DEP_2)
	v_dual_lshlrev_b32 v3, 24, v8 :: v_dual_lshlrev_b32 v4, 20, v66
	v_lshl_add_u32 v2, v2, 23, 0x3c000000
	s_delay_alu instid0(VALU_DEP_2) | instskip(NEXT) | instid1(VALU_DEP_1)
	v_and_b32_e32 v3, 0x80000000, v3
	v_or3_b32 v66, v4, v3, v2
	s_delay_alu instid0(VALU_DEP_1)
	v_mov_b64_e32 v[2:3], v[66:67]
.LBB219_240:                            ;   in Loop: Header=BB219_10 Depth=1
	s_or_b32 exec_lo, exec_lo, s29
.LBB219_241:                            ;   in Loop: Header=BB219_10 Depth=1
	s_delay_alu instid0(SALU_CYCLE_1)
	s_or_b32 exec_lo, exec_lo, s23
.LBB219_242:                            ;   in Loop: Header=BB219_10 Depth=1
	s_delay_alu instid0(SALU_CYCLE_1) | instskip(SKIP_2) | instid1(VALU_DEP_1)
	s_or_b32 exec_lo, exec_lo, s22
	v_lshrrev_b16 v4, 8, v8
	s_mov_b32 s22, exec_lo
	v_cmpx_ne_u16_e32 0, v4
	s_cbranch_execz .LBB219_250
; %bb.243:                              ;   in Loop: Header=BB219_10 Depth=1
	v_mov_b64_e32 v[0:1], 0x8000000000000000
	s_mov_b32 s23, exec_lo
	v_cmpx_ne_u16_e32 0x80, v4
	s_cbranch_execz .LBB219_249
; %bb.244:                              ;   in Loop: Header=BB219_10 Depth=1
	v_and_b32_e32 v5, 0xffff, v4
	v_mov_b64_e32 v[0:1], 0x7f80000100000000
	s_mov_b32 s29, exec_lo
	s_delay_alu instid0(VALU_DEP_2) | instskip(NEXT) | instid1(VALU_DEP_1)
	v_and_b32_e32 v4, 0x7f, v5
	v_cmpx_ne_u32_e32 0x7f, v4
	s_cbranch_execz .LBB219_248
; %bb.245:                              ;   in Loop: Header=BB219_10 Depth=1
	v_dual_lshrrev_b32 v0, 3, v4 :: v_dual_bitop2_b32 v66, 7, v5 bitop3:0x40
	s_mov_b32 s30, exec_lo
	v_cmpx_gt_u32_e32 8, v4
; %bb.246:                              ;   in Loop: Header=BB219_10 Depth=1
	s_delay_alu instid0(VALU_DEP_2) | instskip(NEXT) | instid1(VALU_DEP_1)
	v_clz_i32_u32_e32 v0, v66
	v_min_u32_e32 v0, 32, v0
	s_delay_alu instid0(VALU_DEP_1) | instskip(SKIP_1) | instid1(VALU_DEP_2)
	v_subrev_nc_u32_e32 v1, 28, v0
	v_sub_nc_u32_e32 v0, 29, v0
	v_lshlrev_b64_e32 v[4:5], v1, v[66:67]
	s_delay_alu instid0(VALU_DEP_1)
	v_and_b32_e32 v66, 7, v4
; %bb.247:                              ;   in Loop: Header=BB219_10 Depth=1
	s_or_b32 exec_lo, exec_lo, s30
	s_delay_alu instid0(VALU_DEP_1) | instskip(SKIP_1) | instid1(VALU_DEP_2)
	v_dual_lshlrev_b32 v1, 16, v8 :: v_dual_lshlrev_b32 v4, 20, v66
	v_lshl_add_u32 v0, v0, 23, 0x3c000000
	v_and_b32_e32 v1, 0x80000000, v1
	s_delay_alu instid0(VALU_DEP_1)
	v_or3_b32 v1, v4, v1, v0
	v_mov_b32_e32 v0, v67
.LBB219_248:                            ;   in Loop: Header=BB219_10 Depth=1
	s_or_b32 exec_lo, exec_lo, s29
.LBB219_249:                            ;   in Loop: Header=BB219_10 Depth=1
	s_delay_alu instid0(SALU_CYCLE_1)
	s_or_b32 exec_lo, exec_lo, s23
.LBB219_250:                            ;   in Loop: Header=BB219_10 Depth=1
	s_delay_alu instid0(SALU_CYCLE_1) | instskip(SKIP_4) | instid1(VALU_DEP_3)
	s_or_b32 exec_lo, exec_lo, s22
	v_lshrrev_b32_e32 v9, 16, v8
	v_mov_b64_e32 v[4:5], 0
	v_mov_b64_e32 v[6:7], 0
	s_mov_b32 s22, exec_lo
	v_and_b32_e32 v10, 0xff, v9
	s_delay_alu instid0(VALU_DEP_1)
	v_cmpx_ne_u16_e32 0, v10
	s_cbranch_execz .LBB219_258
; %bb.251:                              ;   in Loop: Header=BB219_10 Depth=1
	v_mov_b64_e32 v[6:7], 0x80000000
	s_mov_b32 s23, exec_lo
	v_cmpx_ne_u16_e32 0x80, v10
	s_cbranch_execz .LBB219_257
; %bb.252:                              ;   in Loop: Header=BB219_10 Depth=1
	v_mov_b64_e32 v[6:7], 0x7f800001
	v_bfe_u32 v10, v8, 16, 7
	s_mov_b32 s29, exec_lo
	s_delay_alu instid0(VALU_DEP_1)
	v_cmpx_ne_u32_e32 0x7f, v10
	s_cbranch_execz .LBB219_256
; %bb.253:                              ;   in Loop: Header=BB219_10 Depth=1
	v_dual_lshrrev_b32 v6, 3, v10 :: v_dual_bitop2_b32 v66, 7, v9 bitop3:0x40
	s_mov_b32 s30, exec_lo
	v_cmpx_gt_u32_e32 8, v10
; %bb.254:                              ;   in Loop: Header=BB219_10 Depth=1
	s_delay_alu instid0(VALU_DEP_2) | instskip(NEXT) | instid1(VALU_DEP_1)
	v_clz_i32_u32_e32 v6, v66
	v_min_u32_e32 v6, 32, v6
	s_delay_alu instid0(VALU_DEP_1) | instskip(SKIP_1) | instid1(VALU_DEP_2)
	v_subrev_nc_u32_e32 v7, 28, v6
	v_sub_nc_u32_e32 v6, 29, v6
	v_lshlrev_b64_e32 v[10:11], v7, v[66:67]
	s_delay_alu instid0(VALU_DEP_1)
	v_and_b32_e32 v66, 7, v10
; %bb.255:                              ;   in Loop: Header=BB219_10 Depth=1
	s_or_b32 exec_lo, exec_lo, s30
	s_delay_alu instid0(VALU_DEP_1) | instskip(SKIP_1) | instid1(VALU_DEP_2)
	v_dual_lshlrev_b32 v7, 24, v9 :: v_dual_lshlrev_b32 v9, 20, v66
	v_lshl_add_u32 v6, v6, 23, 0x3c000000
	v_and_b32_e32 v7, 0x80000000, v7
	s_delay_alu instid0(VALU_DEP_1) | instskip(NEXT) | instid1(VALU_DEP_1)
	v_or3_b32 v66, v9, v7, v6
	v_mov_b64_e32 v[6:7], v[66:67]
.LBB219_256:                            ;   in Loop: Header=BB219_10 Depth=1
	s_or_b32 exec_lo, exec_lo, s29
.LBB219_257:                            ;   in Loop: Header=BB219_10 Depth=1
	s_delay_alu instid0(SALU_CYCLE_1)
	s_or_b32 exec_lo, exec_lo, s23
.LBB219_258:                            ;   in Loop: Header=BB219_10 Depth=1
	s_delay_alu instid0(SALU_CYCLE_1) | instskip(NEXT) | instid1(SALU_CYCLE_1)
	s_or_b32 exec_lo, exec_lo, s22
	s_mov_b32 s22, exec_lo
	v_cmpx_lt_u32_e32 0xffffff, v8
	s_cbranch_execz .LBB219_266
; %bb.259:                              ;   in Loop: Header=BB219_10 Depth=1
	v_mov_b64_e32 v[4:5], 0x8000000000000000
	v_lshrrev_b32_e32 v9, 24, v8
	s_mov_b32 s23, exec_lo
	s_delay_alu instid0(VALU_DEP_1)
	v_cmpx_ne_u32_e32 0x80, v9
	s_cbranch_execz .LBB219_265
; %bb.260:                              ;   in Loop: Header=BB219_10 Depth=1
	v_mov_b64_e32 v[4:5], 0x7f80000100000000
	v_bfe_u32 v8, v8, 24, 7
	s_mov_b32 s29, exec_lo
	s_delay_alu instid0(VALU_DEP_1)
	v_cmpx_ne_u32_e32 0x7f, v8
	s_cbranch_execz .LBB219_264
; %bb.261:                              ;   in Loop: Header=BB219_10 Depth=1
	v_dual_lshrrev_b32 v4, 3, v8 :: v_dual_bitop2_b32 v66, 7, v9 bitop3:0x40
	s_mov_b32 s30, exec_lo
	v_cmpx_gt_u32_e32 8, v8
; %bb.262:                              ;   in Loop: Header=BB219_10 Depth=1
	s_delay_alu instid0(VALU_DEP_2) | instskip(NEXT) | instid1(VALU_DEP_1)
	v_clz_i32_u32_e32 v4, v66
	v_min_u32_e32 v4, 32, v4
	s_delay_alu instid0(VALU_DEP_1) | instskip(NEXT) | instid1(VALU_DEP_1)
	v_subrev_nc_u32_e32 v5, 28, v4
	v_lshlrev_b64_e32 v[10:11], v5, v[66:67]
	s_delay_alu instid0(VALU_DEP_1)
	v_dual_sub_nc_u32 v4, 29, v4 :: v_dual_bitop2_b32 v66, 7, v10 bitop3:0x40
; %bb.263:                              ;   in Loop: Header=BB219_10 Depth=1
	s_or_b32 exec_lo, exec_lo, s30
	s_delay_alu instid0(VALU_DEP_1) | instskip(NEXT) | instid1(VALU_DEP_2)
	v_dual_lshlrev_b32 v5, 24, v9 :: v_dual_lshlrev_b32 v8, 20, v66
	v_lshl_add_u32 v4, v4, 23, 0x3c000000
	s_delay_alu instid0(VALU_DEP_2) | instskip(NEXT) | instid1(VALU_DEP_1)
	v_and_b32_e32 v5, 0x80000000, v5
	v_or3_b32 v5, v8, v5, v4
	v_mov_b32_e32 v4, v67
.LBB219_264:                            ;   in Loop: Header=BB219_10 Depth=1
	s_or_b32 exec_lo, exec_lo, s29
.LBB219_265:                            ;   in Loop: Header=BB219_10 Depth=1
	s_delay_alu instid0(SALU_CYCLE_1)
	s_or_b32 exec_lo, exec_lo, s23
.LBB219_266:                            ;   in Loop: Header=BB219_10 Depth=1
	s_delay_alu instid0(SALU_CYCLE_1)
	s_or_b32 exec_lo, exec_lo, s22
	global_load_b32 v16, v[84:85], off offset:1024
	v_mov_b64_e32 v[8:9], 0
	v_mov_b64_e32 v[10:11], 0
	s_mov_b32 s22, exec_lo
	s_wait_loadcnt 0x0
	v_and_b32_e32 v12, 0xff, v16
	s_wait_xcnt 0x0
	s_delay_alu instid0(VALU_DEP_1)
	v_cmpx_ne_u16_e32 0, v12
	s_cbranch_execz .LBB219_274
; %bb.267:                              ;   in Loop: Header=BB219_10 Depth=1
	v_mov_b64_e32 v[10:11], 0x80000000
	s_mov_b32 s23, exec_lo
	v_cmpx_ne_u16_e32 0x80, v12
	s_cbranch_execz .LBB219_273
; %bb.268:                              ;   in Loop: Header=BB219_10 Depth=1
	v_mov_b64_e32 v[10:11], 0x7f800001
	v_and_b32_e32 v12, 0x7f, v16
	s_mov_b32 s29, exec_lo
	s_delay_alu instid0(VALU_DEP_1)
	v_cmpx_ne_u32_e32 0x7f, v12
	s_cbranch_execz .LBB219_272
; %bb.269:                              ;   in Loop: Header=BB219_10 Depth=1
	v_and_b32_e32 v66, 7, v16
	v_lshrrev_b32_e32 v10, 3, v12
	s_mov_b32 s30, exec_lo
	v_cmpx_gt_u32_e32 8, v12
; %bb.270:                              ;   in Loop: Header=BB219_10 Depth=1
	s_delay_alu instid0(VALU_DEP_3) | instskip(NEXT) | instid1(VALU_DEP_1)
	v_clz_i32_u32_e32 v10, v66
	v_min_u32_e32 v10, 32, v10
	s_delay_alu instid0(VALU_DEP_1) | instskip(NEXT) | instid1(VALU_DEP_1)
	v_subrev_nc_u32_e32 v11, 28, v10
	v_lshlrev_b64_e32 v[12:13], v11, v[66:67]
	s_delay_alu instid0(VALU_DEP_1)
	v_dual_sub_nc_u32 v10, 29, v10 :: v_dual_bitop2_b32 v66, 7, v12 bitop3:0x40
; %bb.271:                              ;   in Loop: Header=BB219_10 Depth=1
	s_or_b32 exec_lo, exec_lo, s30
	s_delay_alu instid0(VALU_DEP_1) | instskip(NEXT) | instid1(VALU_DEP_2)
	v_dual_lshlrev_b32 v11, 24, v16 :: v_dual_lshlrev_b32 v12, 20, v66
	v_lshl_add_u32 v10, v10, 23, 0x3c000000
	s_delay_alu instid0(VALU_DEP_2) | instskip(NEXT) | instid1(VALU_DEP_1)
	v_and_b32_e32 v11, 0x80000000, v11
	v_or3_b32 v66, v12, v11, v10
	s_delay_alu instid0(VALU_DEP_1)
	v_mov_b64_e32 v[10:11], v[66:67]
.LBB219_272:                            ;   in Loop: Header=BB219_10 Depth=1
	s_or_b32 exec_lo, exec_lo, s29
.LBB219_273:                            ;   in Loop: Header=BB219_10 Depth=1
	s_delay_alu instid0(SALU_CYCLE_1)
	s_or_b32 exec_lo, exec_lo, s23
.LBB219_274:                            ;   in Loop: Header=BB219_10 Depth=1
	s_delay_alu instid0(SALU_CYCLE_1) | instskip(SKIP_2) | instid1(VALU_DEP_1)
	s_or_b32 exec_lo, exec_lo, s22
	v_lshrrev_b16 v12, 8, v16
	s_mov_b32 s22, exec_lo
	v_cmpx_ne_u16_e32 0, v12
	s_cbranch_execz .LBB219_282
; %bb.275:                              ;   in Loop: Header=BB219_10 Depth=1
	v_mov_b64_e32 v[8:9], 0x8000000000000000
	s_mov_b32 s23, exec_lo
	v_cmpx_ne_u16_e32 0x80, v12
	s_cbranch_execz .LBB219_281
; %bb.276:                              ;   in Loop: Header=BB219_10 Depth=1
	v_and_b32_e32 v13, 0xffff, v12
	v_mov_b64_e32 v[8:9], 0x7f80000100000000
	s_mov_b32 s29, exec_lo
	s_delay_alu instid0(VALU_DEP_2) | instskip(NEXT) | instid1(VALU_DEP_1)
	v_and_b32_e32 v12, 0x7f, v13
	v_cmpx_ne_u32_e32 0x7f, v12
	s_cbranch_execz .LBB219_280
; %bb.277:                              ;   in Loop: Header=BB219_10 Depth=1
	v_dual_lshrrev_b32 v8, 3, v12 :: v_dual_bitop2_b32 v66, 7, v13 bitop3:0x40
	s_mov_b32 s30, exec_lo
	v_cmpx_gt_u32_e32 8, v12
; %bb.278:                              ;   in Loop: Header=BB219_10 Depth=1
	s_delay_alu instid0(VALU_DEP_2) | instskip(NEXT) | instid1(VALU_DEP_1)
	v_clz_i32_u32_e32 v8, v66
	v_min_u32_e32 v8, 32, v8
	s_delay_alu instid0(VALU_DEP_1) | instskip(SKIP_1) | instid1(VALU_DEP_2)
	v_subrev_nc_u32_e32 v9, 28, v8
	v_sub_nc_u32_e32 v8, 29, v8
	v_lshlrev_b64_e32 v[12:13], v9, v[66:67]
	s_delay_alu instid0(VALU_DEP_1)
	v_and_b32_e32 v66, 7, v12
; %bb.279:                              ;   in Loop: Header=BB219_10 Depth=1
	s_or_b32 exec_lo, exec_lo, s30
	s_delay_alu instid0(VALU_DEP_1) | instskip(SKIP_1) | instid1(VALU_DEP_2)
	v_dual_lshlrev_b32 v9, 16, v16 :: v_dual_lshlrev_b32 v12, 20, v66
	v_lshl_add_u32 v8, v8, 23, 0x3c000000
	v_and_b32_e32 v9, 0x80000000, v9
	s_delay_alu instid0(VALU_DEP_1)
	v_or3_b32 v9, v12, v9, v8
	v_mov_b32_e32 v8, v67
.LBB219_280:                            ;   in Loop: Header=BB219_10 Depth=1
	s_or_b32 exec_lo, exec_lo, s29
.LBB219_281:                            ;   in Loop: Header=BB219_10 Depth=1
	s_delay_alu instid0(SALU_CYCLE_1)
	s_or_b32 exec_lo, exec_lo, s23
.LBB219_282:                            ;   in Loop: Header=BB219_10 Depth=1
	s_delay_alu instid0(SALU_CYCLE_1) | instskip(SKIP_4) | instid1(VALU_DEP_3)
	s_or_b32 exec_lo, exec_lo, s22
	v_lshrrev_b32_e32 v17, 16, v16
	v_mov_b64_e32 v[12:13], 0
	v_mov_b64_e32 v[14:15], 0
	s_mov_b32 s22, exec_lo
	v_and_b32_e32 v18, 0xff, v17
	s_delay_alu instid0(VALU_DEP_1)
	v_cmpx_ne_u16_e32 0, v18
	s_cbranch_execz .LBB219_290
; %bb.283:                              ;   in Loop: Header=BB219_10 Depth=1
	v_mov_b64_e32 v[14:15], 0x80000000
	s_mov_b32 s23, exec_lo
	v_cmpx_ne_u16_e32 0x80, v18
	s_cbranch_execz .LBB219_289
; %bb.284:                              ;   in Loop: Header=BB219_10 Depth=1
	v_mov_b64_e32 v[14:15], 0x7f800001
	v_bfe_u32 v18, v16, 16, 7
	s_mov_b32 s29, exec_lo
	s_delay_alu instid0(VALU_DEP_1)
	v_cmpx_ne_u32_e32 0x7f, v18
	s_cbranch_execz .LBB219_288
; %bb.285:                              ;   in Loop: Header=BB219_10 Depth=1
	v_dual_lshrrev_b32 v14, 3, v18 :: v_dual_bitop2_b32 v66, 7, v17 bitop3:0x40
	s_mov_b32 s30, exec_lo
	v_cmpx_gt_u32_e32 8, v18
; %bb.286:                              ;   in Loop: Header=BB219_10 Depth=1
	s_delay_alu instid0(VALU_DEP_2) | instskip(NEXT) | instid1(VALU_DEP_1)
	v_clz_i32_u32_e32 v14, v66
	v_min_u32_e32 v14, 32, v14
	s_delay_alu instid0(VALU_DEP_1) | instskip(SKIP_1) | instid1(VALU_DEP_2)
	v_subrev_nc_u32_e32 v15, 28, v14
	v_sub_nc_u32_e32 v14, 29, v14
	v_lshlrev_b64_e32 v[18:19], v15, v[66:67]
	s_delay_alu instid0(VALU_DEP_1)
	v_and_b32_e32 v66, 7, v18
; %bb.287:                              ;   in Loop: Header=BB219_10 Depth=1
	s_or_b32 exec_lo, exec_lo, s30
	s_delay_alu instid0(VALU_DEP_1) | instskip(SKIP_1) | instid1(VALU_DEP_2)
	v_dual_lshlrev_b32 v15, 24, v17 :: v_dual_lshlrev_b32 v17, 20, v66
	v_lshl_add_u32 v14, v14, 23, 0x3c000000
	v_and_b32_e32 v15, 0x80000000, v15
	s_delay_alu instid0(VALU_DEP_1) | instskip(NEXT) | instid1(VALU_DEP_1)
	v_or3_b32 v66, v17, v15, v14
	v_mov_b64_e32 v[14:15], v[66:67]
.LBB219_288:                            ;   in Loop: Header=BB219_10 Depth=1
	s_or_b32 exec_lo, exec_lo, s29
.LBB219_289:                            ;   in Loop: Header=BB219_10 Depth=1
	s_delay_alu instid0(SALU_CYCLE_1)
	s_or_b32 exec_lo, exec_lo, s23
.LBB219_290:                            ;   in Loop: Header=BB219_10 Depth=1
	s_delay_alu instid0(SALU_CYCLE_1) | instskip(NEXT) | instid1(SALU_CYCLE_1)
	s_or_b32 exec_lo, exec_lo, s22
	s_mov_b32 s22, exec_lo
	v_cmpx_lt_u32_e32 0xffffff, v16
	s_cbranch_execz .LBB219_298
; %bb.291:                              ;   in Loop: Header=BB219_10 Depth=1
	v_mov_b64_e32 v[12:13], 0x8000000000000000
	v_lshrrev_b32_e32 v17, 24, v16
	s_mov_b32 s23, exec_lo
	s_delay_alu instid0(VALU_DEP_1)
	v_cmpx_ne_u32_e32 0x80, v17
	s_cbranch_execz .LBB219_297
; %bb.292:                              ;   in Loop: Header=BB219_10 Depth=1
	v_mov_b64_e32 v[12:13], 0x7f80000100000000
	v_bfe_u32 v16, v16, 24, 7
	s_mov_b32 s29, exec_lo
	s_delay_alu instid0(VALU_DEP_1)
	v_cmpx_ne_u32_e32 0x7f, v16
	s_cbranch_execz .LBB219_296
; %bb.293:                              ;   in Loop: Header=BB219_10 Depth=1
	v_dual_lshrrev_b32 v12, 3, v16 :: v_dual_bitop2_b32 v66, 7, v17 bitop3:0x40
	s_mov_b32 s30, exec_lo
	v_cmpx_gt_u32_e32 8, v16
; %bb.294:                              ;   in Loop: Header=BB219_10 Depth=1
	s_delay_alu instid0(VALU_DEP_2) | instskip(NEXT) | instid1(VALU_DEP_1)
	v_clz_i32_u32_e32 v12, v66
	v_min_u32_e32 v12, 32, v12
	s_delay_alu instid0(VALU_DEP_1) | instskip(NEXT) | instid1(VALU_DEP_1)
	v_subrev_nc_u32_e32 v13, 28, v12
	v_lshlrev_b64_e32 v[18:19], v13, v[66:67]
	s_delay_alu instid0(VALU_DEP_1)
	v_dual_sub_nc_u32 v12, 29, v12 :: v_dual_bitop2_b32 v66, 7, v18 bitop3:0x40
; %bb.295:                              ;   in Loop: Header=BB219_10 Depth=1
	s_or_b32 exec_lo, exec_lo, s30
	s_delay_alu instid0(VALU_DEP_1) | instskip(NEXT) | instid1(VALU_DEP_2)
	v_dual_lshlrev_b32 v13, 24, v17 :: v_dual_lshlrev_b32 v16, 20, v66
	v_lshl_add_u32 v12, v12, 23, 0x3c000000
	s_delay_alu instid0(VALU_DEP_2) | instskip(NEXT) | instid1(VALU_DEP_1)
	v_and_b32_e32 v13, 0x80000000, v13
	v_or3_b32 v13, v16, v13, v12
	v_mov_b32_e32 v12, v67
.LBB219_296:                            ;   in Loop: Header=BB219_10 Depth=1
	s_or_b32 exec_lo, exec_lo, s29
.LBB219_297:                            ;   in Loop: Header=BB219_10 Depth=1
	s_delay_alu instid0(SALU_CYCLE_1)
	s_or_b32 exec_lo, exec_lo, s23
.LBB219_298:                            ;   in Loop: Header=BB219_10 Depth=1
	s_delay_alu instid0(SALU_CYCLE_1)
	s_or_b32 exec_lo, exec_lo, s22
	global_load_b32 v24, v[84:85], off offset:1028
	v_mov_b64_e32 v[16:17], 0
	v_mov_b64_e32 v[18:19], 0
	s_mov_b32 s22, exec_lo
	s_wait_loadcnt 0x0
	v_and_b32_e32 v20, 0xff, v24
	s_wait_xcnt 0x0
	s_delay_alu instid0(VALU_DEP_1)
	v_cmpx_ne_u16_e32 0, v20
	s_cbranch_execz .LBB219_306
; %bb.299:                              ;   in Loop: Header=BB219_10 Depth=1
	v_mov_b64_e32 v[18:19], 0x80000000
	s_mov_b32 s23, exec_lo
	v_cmpx_ne_u16_e32 0x80, v20
	s_cbranch_execz .LBB219_305
; %bb.300:                              ;   in Loop: Header=BB219_10 Depth=1
	v_mov_b64_e32 v[18:19], 0x7f800001
	v_and_b32_e32 v20, 0x7f, v24
	s_mov_b32 s29, exec_lo
	s_delay_alu instid0(VALU_DEP_1)
	v_cmpx_ne_u32_e32 0x7f, v20
	s_cbranch_execz .LBB219_304
; %bb.301:                              ;   in Loop: Header=BB219_10 Depth=1
	v_and_b32_e32 v66, 7, v24
	v_lshrrev_b32_e32 v18, 3, v20
	s_mov_b32 s30, exec_lo
	v_cmpx_gt_u32_e32 8, v20
; %bb.302:                              ;   in Loop: Header=BB219_10 Depth=1
	s_delay_alu instid0(VALU_DEP_3) | instskip(NEXT) | instid1(VALU_DEP_1)
	v_clz_i32_u32_e32 v18, v66
	v_min_u32_e32 v18, 32, v18
	s_delay_alu instid0(VALU_DEP_1) | instskip(NEXT) | instid1(VALU_DEP_1)
	v_subrev_nc_u32_e32 v19, 28, v18
	v_lshlrev_b64_e32 v[20:21], v19, v[66:67]
	s_delay_alu instid0(VALU_DEP_1)
	v_dual_sub_nc_u32 v18, 29, v18 :: v_dual_bitop2_b32 v66, 7, v20 bitop3:0x40
; %bb.303:                              ;   in Loop: Header=BB219_10 Depth=1
	s_or_b32 exec_lo, exec_lo, s30
	s_delay_alu instid0(VALU_DEP_1) | instskip(NEXT) | instid1(VALU_DEP_2)
	v_dual_lshlrev_b32 v19, 24, v24 :: v_dual_lshlrev_b32 v20, 20, v66
	v_lshl_add_u32 v18, v18, 23, 0x3c000000
	s_delay_alu instid0(VALU_DEP_2) | instskip(NEXT) | instid1(VALU_DEP_1)
	v_and_b32_e32 v19, 0x80000000, v19
	v_or3_b32 v66, v20, v19, v18
	s_delay_alu instid0(VALU_DEP_1)
	v_mov_b64_e32 v[18:19], v[66:67]
.LBB219_304:                            ;   in Loop: Header=BB219_10 Depth=1
	s_or_b32 exec_lo, exec_lo, s29
.LBB219_305:                            ;   in Loop: Header=BB219_10 Depth=1
	s_delay_alu instid0(SALU_CYCLE_1)
	s_or_b32 exec_lo, exec_lo, s23
.LBB219_306:                            ;   in Loop: Header=BB219_10 Depth=1
	s_delay_alu instid0(SALU_CYCLE_1) | instskip(SKIP_2) | instid1(VALU_DEP_1)
	s_or_b32 exec_lo, exec_lo, s22
	v_lshrrev_b16 v20, 8, v24
	s_mov_b32 s22, exec_lo
	v_cmpx_ne_u16_e32 0, v20
	s_cbranch_execz .LBB219_314
; %bb.307:                              ;   in Loop: Header=BB219_10 Depth=1
	v_mov_b64_e32 v[16:17], 0x8000000000000000
	s_mov_b32 s23, exec_lo
	v_cmpx_ne_u16_e32 0x80, v20
	s_cbranch_execz .LBB219_313
; %bb.308:                              ;   in Loop: Header=BB219_10 Depth=1
	v_and_b32_e32 v21, 0xffff, v20
	v_mov_b64_e32 v[16:17], 0x7f80000100000000
	s_mov_b32 s29, exec_lo
	s_delay_alu instid0(VALU_DEP_2) | instskip(NEXT) | instid1(VALU_DEP_1)
	v_and_b32_e32 v20, 0x7f, v21
	v_cmpx_ne_u32_e32 0x7f, v20
	s_cbranch_execz .LBB219_312
; %bb.309:                              ;   in Loop: Header=BB219_10 Depth=1
	v_dual_lshrrev_b32 v16, 3, v20 :: v_dual_bitop2_b32 v66, 7, v21 bitop3:0x40
	s_mov_b32 s30, exec_lo
	v_cmpx_gt_u32_e32 8, v20
; %bb.310:                              ;   in Loop: Header=BB219_10 Depth=1
	s_delay_alu instid0(VALU_DEP_2) | instskip(NEXT) | instid1(VALU_DEP_1)
	v_clz_i32_u32_e32 v16, v66
	v_min_u32_e32 v16, 32, v16
	s_delay_alu instid0(VALU_DEP_1) | instskip(SKIP_1) | instid1(VALU_DEP_2)
	v_subrev_nc_u32_e32 v17, 28, v16
	v_sub_nc_u32_e32 v16, 29, v16
	v_lshlrev_b64_e32 v[20:21], v17, v[66:67]
	s_delay_alu instid0(VALU_DEP_1)
	v_and_b32_e32 v66, 7, v20
; %bb.311:                              ;   in Loop: Header=BB219_10 Depth=1
	s_or_b32 exec_lo, exec_lo, s30
	s_delay_alu instid0(VALU_DEP_1) | instskip(SKIP_1) | instid1(VALU_DEP_2)
	v_dual_lshlrev_b32 v17, 16, v24 :: v_dual_lshlrev_b32 v20, 20, v66
	v_lshl_add_u32 v16, v16, 23, 0x3c000000
	v_and_b32_e32 v17, 0x80000000, v17
	s_delay_alu instid0(VALU_DEP_1)
	v_or3_b32 v17, v20, v17, v16
	v_mov_b32_e32 v16, v67
.LBB219_312:                            ;   in Loop: Header=BB219_10 Depth=1
	s_or_b32 exec_lo, exec_lo, s29
.LBB219_313:                            ;   in Loop: Header=BB219_10 Depth=1
	s_delay_alu instid0(SALU_CYCLE_1)
	s_or_b32 exec_lo, exec_lo, s23
.LBB219_314:                            ;   in Loop: Header=BB219_10 Depth=1
	s_delay_alu instid0(SALU_CYCLE_1) | instskip(SKIP_4) | instid1(VALU_DEP_3)
	s_or_b32 exec_lo, exec_lo, s22
	v_lshrrev_b32_e32 v25, 16, v24
	v_mov_b64_e32 v[20:21], 0
	v_mov_b64_e32 v[22:23], 0
	s_mov_b32 s22, exec_lo
	v_and_b32_e32 v26, 0xff, v25
	s_delay_alu instid0(VALU_DEP_1)
	v_cmpx_ne_u16_e32 0, v26
	s_cbranch_execz .LBB219_322
; %bb.315:                              ;   in Loop: Header=BB219_10 Depth=1
	v_mov_b64_e32 v[22:23], 0x80000000
	s_mov_b32 s23, exec_lo
	v_cmpx_ne_u16_e32 0x80, v26
	s_cbranch_execz .LBB219_321
; %bb.316:                              ;   in Loop: Header=BB219_10 Depth=1
	v_mov_b64_e32 v[22:23], 0x7f800001
	v_bfe_u32 v26, v24, 16, 7
	s_mov_b32 s29, exec_lo
	s_delay_alu instid0(VALU_DEP_1)
	v_cmpx_ne_u32_e32 0x7f, v26
	s_cbranch_execz .LBB219_320
; %bb.317:                              ;   in Loop: Header=BB219_10 Depth=1
	v_dual_lshrrev_b32 v22, 3, v26 :: v_dual_bitop2_b32 v66, 7, v25 bitop3:0x40
	s_mov_b32 s30, exec_lo
	v_cmpx_gt_u32_e32 8, v26
; %bb.318:                              ;   in Loop: Header=BB219_10 Depth=1
	s_delay_alu instid0(VALU_DEP_2) | instskip(NEXT) | instid1(VALU_DEP_1)
	v_clz_i32_u32_e32 v22, v66
	v_min_u32_e32 v22, 32, v22
	s_delay_alu instid0(VALU_DEP_1) | instskip(SKIP_1) | instid1(VALU_DEP_2)
	v_subrev_nc_u32_e32 v23, 28, v22
	v_sub_nc_u32_e32 v22, 29, v22
	v_lshlrev_b64_e32 v[26:27], v23, v[66:67]
	s_delay_alu instid0(VALU_DEP_1)
	v_and_b32_e32 v66, 7, v26
; %bb.319:                              ;   in Loop: Header=BB219_10 Depth=1
	s_or_b32 exec_lo, exec_lo, s30
	s_delay_alu instid0(VALU_DEP_1) | instskip(SKIP_1) | instid1(VALU_DEP_2)
	v_dual_lshlrev_b32 v23, 24, v25 :: v_dual_lshlrev_b32 v25, 20, v66
	v_lshl_add_u32 v22, v22, 23, 0x3c000000
	v_and_b32_e32 v23, 0x80000000, v23
	s_delay_alu instid0(VALU_DEP_1) | instskip(NEXT) | instid1(VALU_DEP_1)
	v_or3_b32 v66, v25, v23, v22
	v_mov_b64_e32 v[22:23], v[66:67]
.LBB219_320:                            ;   in Loop: Header=BB219_10 Depth=1
	s_or_b32 exec_lo, exec_lo, s29
.LBB219_321:                            ;   in Loop: Header=BB219_10 Depth=1
	s_delay_alu instid0(SALU_CYCLE_1)
	s_or_b32 exec_lo, exec_lo, s23
.LBB219_322:                            ;   in Loop: Header=BB219_10 Depth=1
	s_delay_alu instid0(SALU_CYCLE_1) | instskip(NEXT) | instid1(SALU_CYCLE_1)
	s_or_b32 exec_lo, exec_lo, s22
	s_mov_b32 s22, exec_lo
	v_cmpx_lt_u32_e32 0xffffff, v24
	s_cbranch_execz .LBB219_330
; %bb.323:                              ;   in Loop: Header=BB219_10 Depth=1
	v_mov_b64_e32 v[20:21], 0x8000000000000000
	v_lshrrev_b32_e32 v25, 24, v24
	s_mov_b32 s23, exec_lo
	s_delay_alu instid0(VALU_DEP_1)
	v_cmpx_ne_u32_e32 0x80, v25
	s_cbranch_execz .LBB219_329
; %bb.324:                              ;   in Loop: Header=BB219_10 Depth=1
	v_mov_b64_e32 v[20:21], 0x7f80000100000000
	v_bfe_u32 v24, v24, 24, 7
	s_mov_b32 s29, exec_lo
	s_delay_alu instid0(VALU_DEP_1)
	v_cmpx_ne_u32_e32 0x7f, v24
	s_cbranch_execz .LBB219_328
; %bb.325:                              ;   in Loop: Header=BB219_10 Depth=1
	v_dual_lshrrev_b32 v20, 3, v24 :: v_dual_bitop2_b32 v66, 7, v25 bitop3:0x40
	s_mov_b32 s30, exec_lo
	v_cmpx_gt_u32_e32 8, v24
; %bb.326:                              ;   in Loop: Header=BB219_10 Depth=1
	s_delay_alu instid0(VALU_DEP_2) | instskip(NEXT) | instid1(VALU_DEP_1)
	v_clz_i32_u32_e32 v20, v66
	v_min_u32_e32 v20, 32, v20
	s_delay_alu instid0(VALU_DEP_1) | instskip(NEXT) | instid1(VALU_DEP_1)
	v_subrev_nc_u32_e32 v21, 28, v20
	v_lshlrev_b64_e32 v[26:27], v21, v[66:67]
	s_delay_alu instid0(VALU_DEP_1)
	v_dual_sub_nc_u32 v20, 29, v20 :: v_dual_bitop2_b32 v66, 7, v26 bitop3:0x40
; %bb.327:                              ;   in Loop: Header=BB219_10 Depth=1
	s_or_b32 exec_lo, exec_lo, s30
	s_delay_alu instid0(VALU_DEP_1) | instskip(NEXT) | instid1(VALU_DEP_2)
	v_dual_lshlrev_b32 v21, 24, v25 :: v_dual_lshlrev_b32 v24, 20, v66
	v_lshl_add_u32 v20, v20, 23, 0x3c000000
	s_delay_alu instid0(VALU_DEP_2) | instskip(NEXT) | instid1(VALU_DEP_1)
	v_and_b32_e32 v21, 0x80000000, v21
	v_or3_b32 v21, v24, v21, v20
	v_mov_b32_e32 v20, v67
.LBB219_328:                            ;   in Loop: Header=BB219_10 Depth=1
	s_or_b32 exec_lo, exec_lo, s29
.LBB219_329:                            ;   in Loop: Header=BB219_10 Depth=1
	s_delay_alu instid0(SALU_CYCLE_1)
	s_or_b32 exec_lo, exec_lo, s23
.LBB219_330:                            ;   in Loop: Header=BB219_10 Depth=1
	s_delay_alu instid0(SALU_CYCLE_1)
	s_or_b32 exec_lo, exec_lo, s22
	global_load_b32 v32, v[84:85], off offset:1032
	v_mov_b64_e32 v[28:29], 0
	v_mov_b64_e32 v[30:31], 0
	s_mov_b32 s22, exec_lo
	s_wait_loadcnt 0x0
	v_and_b32_e32 v24, 0xff, v32
	s_wait_xcnt 0x0
	s_delay_alu instid0(VALU_DEP_1)
	v_cmpx_ne_u16_e32 0, v24
	s_cbranch_execz .LBB219_338
; %bb.331:                              ;   in Loop: Header=BB219_10 Depth=1
	v_mov_b64_e32 v[30:31], 0x80000000
	s_mov_b32 s23, exec_lo
	v_cmpx_ne_u16_e32 0x80, v24
	s_cbranch_execz .LBB219_337
; %bb.332:                              ;   in Loop: Header=BB219_10 Depth=1
	v_mov_b64_e32 v[30:31], 0x7f800001
	v_and_b32_e32 v25, 0x7f, v32
	s_mov_b32 s29, exec_lo
	s_delay_alu instid0(VALU_DEP_1)
	v_cmpx_ne_u32_e32 0x7f, v25
	s_cbranch_execz .LBB219_336
; %bb.333:                              ;   in Loop: Header=BB219_10 Depth=1
	v_dual_lshrrev_b32 v24, 3, v25 :: v_dual_bitop2_b32 v66, 7, v32 bitop3:0x40
	s_mov_b32 s30, exec_lo
	v_cmpx_gt_u32_e32 8, v25
; %bb.334:                              ;   in Loop: Header=BB219_10 Depth=1
	s_delay_alu instid0(VALU_DEP_2) | instskip(NEXT) | instid1(VALU_DEP_1)
	v_clz_i32_u32_e32 v24, v66
	v_min_u32_e32 v24, 32, v24
	s_delay_alu instid0(VALU_DEP_1) | instskip(NEXT) | instid1(VALU_DEP_1)
	v_subrev_nc_u32_e32 v25, 28, v24
	v_lshlrev_b64_e32 v[26:27], v25, v[66:67]
	s_delay_alu instid0(VALU_DEP_1)
	v_dual_sub_nc_u32 v24, 29, v24 :: v_dual_bitop2_b32 v66, 7, v26 bitop3:0x40
; %bb.335:                              ;   in Loop: Header=BB219_10 Depth=1
	s_or_b32 exec_lo, exec_lo, s30
	s_delay_alu instid0(VALU_DEP_1) | instskip(NEXT) | instid1(VALU_DEP_2)
	v_dual_lshlrev_b32 v25, 24, v32 :: v_dual_lshlrev_b32 v26, 20, v66
	v_lshl_add_u32 v24, v24, 23, 0x3c000000
	s_delay_alu instid0(VALU_DEP_2) | instskip(NEXT) | instid1(VALU_DEP_1)
	v_and_b32_e32 v25, 0x80000000, v25
	v_or3_b32 v66, v26, v25, v24
	s_delay_alu instid0(VALU_DEP_1)
	v_mov_b64_e32 v[30:31], v[66:67]
.LBB219_336:                            ;   in Loop: Header=BB219_10 Depth=1
	s_or_b32 exec_lo, exec_lo, s29
.LBB219_337:                            ;   in Loop: Header=BB219_10 Depth=1
	s_delay_alu instid0(SALU_CYCLE_1)
	s_or_b32 exec_lo, exec_lo, s23
.LBB219_338:                            ;   in Loop: Header=BB219_10 Depth=1
	s_delay_alu instid0(SALU_CYCLE_1) | instskip(SKIP_2) | instid1(VALU_DEP_1)
	s_or_b32 exec_lo, exec_lo, s22
	v_lshrrev_b16 v24, 8, v32
	s_mov_b32 s22, exec_lo
	v_cmpx_ne_u16_e32 0, v24
	s_cbranch_execz .LBB219_346
; %bb.339:                              ;   in Loop: Header=BB219_10 Depth=1
	v_mov_b64_e32 v[28:29], 0x8000000000000000
	s_mov_b32 s23, exec_lo
	v_cmpx_ne_u16_e32 0x80, v24
	s_cbranch_execz .LBB219_345
; %bb.340:                              ;   in Loop: Header=BB219_10 Depth=1
	v_and_b32_e32 v24, 0xffff, v24
	v_mov_b64_e32 v[28:29], 0x7f80000100000000
	s_mov_b32 s29, exec_lo
	s_delay_alu instid0(VALU_DEP_2) | instskip(NEXT) | instid1(VALU_DEP_1)
	v_and_b32_e32 v25, 0x7f, v24
	v_cmpx_ne_u32_e32 0x7f, v25
	s_cbranch_execz .LBB219_344
; %bb.341:                              ;   in Loop: Header=BB219_10 Depth=1
	v_dual_lshrrev_b32 v24, 3, v25 :: v_dual_bitop2_b32 v66, 7, v24 bitop3:0x40
	s_mov_b32 s30, exec_lo
	v_cmpx_gt_u32_e32 8, v25
; %bb.342:                              ;   in Loop: Header=BB219_10 Depth=1
	s_delay_alu instid0(VALU_DEP_2) | instskip(NEXT) | instid1(VALU_DEP_1)
	v_clz_i32_u32_e32 v24, v66
	v_min_u32_e32 v24, 32, v24
	s_delay_alu instid0(VALU_DEP_1) | instskip(NEXT) | instid1(VALU_DEP_1)
	v_subrev_nc_u32_e32 v25, 28, v24
	v_lshlrev_b64_e32 v[26:27], v25, v[66:67]
	s_delay_alu instid0(VALU_DEP_1)
	v_dual_sub_nc_u32 v24, 29, v24 :: v_dual_bitop2_b32 v66, 7, v26 bitop3:0x40
; %bb.343:                              ;   in Loop: Header=BB219_10 Depth=1
	s_or_b32 exec_lo, exec_lo, s30
	s_delay_alu instid0(VALU_DEP_1) | instskip(NEXT) | instid1(VALU_DEP_2)
	v_dual_lshlrev_b32 v25, 16, v32 :: v_dual_lshlrev_b32 v26, 20, v66
	v_lshl_add_u32 v24, v24, 23, 0x3c000000
	v_mov_b32_e32 v28, v67
	s_delay_alu instid0(VALU_DEP_3) | instskip(NEXT) | instid1(VALU_DEP_1)
	v_and_b32_e32 v25, 0x80000000, v25
	v_or3_b32 v29, v26, v25, v24
.LBB219_344:                            ;   in Loop: Header=BB219_10 Depth=1
	s_or_b32 exec_lo, exec_lo, s29
.LBB219_345:                            ;   in Loop: Header=BB219_10 Depth=1
	s_delay_alu instid0(SALU_CYCLE_1)
	s_or_b32 exec_lo, exec_lo, s23
.LBB219_346:                            ;   in Loop: Header=BB219_10 Depth=1
	s_delay_alu instid0(SALU_CYCLE_1) | instskip(SKIP_4) | instid1(VALU_DEP_3)
	s_or_b32 exec_lo, exec_lo, s22
	v_lshrrev_b32_e32 v33, 16, v32
	v_mov_b64_e32 v[24:25], 0
	v_mov_b64_e32 v[26:27], 0
	s_mov_b32 s22, exec_lo
	v_and_b32_e32 v34, 0xff, v33
	s_delay_alu instid0(VALU_DEP_1)
	v_cmpx_ne_u16_e32 0, v34
	s_cbranch_execz .LBB219_354
; %bb.347:                              ;   in Loop: Header=BB219_10 Depth=1
	v_mov_b64_e32 v[26:27], 0x80000000
	s_mov_b32 s23, exec_lo
	v_cmpx_ne_u16_e32 0x80, v34
	s_cbranch_execz .LBB219_353
; %bb.348:                              ;   in Loop: Header=BB219_10 Depth=1
	v_mov_b64_e32 v[26:27], 0x7f800001
	v_bfe_u32 v34, v32, 16, 7
	s_mov_b32 s29, exec_lo
	s_delay_alu instid0(VALU_DEP_1)
	v_cmpx_ne_u32_e32 0x7f, v34
	s_cbranch_execz .LBB219_352
; %bb.349:                              ;   in Loop: Header=BB219_10 Depth=1
	v_dual_lshrrev_b32 v26, 3, v34 :: v_dual_bitop2_b32 v66, 7, v33 bitop3:0x40
	s_mov_b32 s30, exec_lo
	v_cmpx_gt_u32_e32 8, v34
; %bb.350:                              ;   in Loop: Header=BB219_10 Depth=1
	s_delay_alu instid0(VALU_DEP_2) | instskip(NEXT) | instid1(VALU_DEP_1)
	v_clz_i32_u32_e32 v26, v66
	v_min_u32_e32 v26, 32, v26
	s_delay_alu instid0(VALU_DEP_1) | instskip(SKIP_1) | instid1(VALU_DEP_2)
	v_subrev_nc_u32_e32 v27, 28, v26
	v_sub_nc_u32_e32 v26, 29, v26
	v_lshlrev_b64_e32 v[34:35], v27, v[66:67]
	s_delay_alu instid0(VALU_DEP_1)
	v_and_b32_e32 v66, 7, v34
; %bb.351:                              ;   in Loop: Header=BB219_10 Depth=1
	s_or_b32 exec_lo, exec_lo, s30
	s_delay_alu instid0(VALU_DEP_1) | instskip(SKIP_1) | instid1(VALU_DEP_2)
	v_dual_lshlrev_b32 v27, 24, v33 :: v_dual_lshlrev_b32 v33, 20, v66
	v_lshl_add_u32 v26, v26, 23, 0x3c000000
	v_and_b32_e32 v27, 0x80000000, v27
	s_delay_alu instid0(VALU_DEP_1) | instskip(NEXT) | instid1(VALU_DEP_1)
	v_or3_b32 v66, v33, v27, v26
	v_mov_b64_e32 v[26:27], v[66:67]
.LBB219_352:                            ;   in Loop: Header=BB219_10 Depth=1
	s_or_b32 exec_lo, exec_lo, s29
.LBB219_353:                            ;   in Loop: Header=BB219_10 Depth=1
	s_delay_alu instid0(SALU_CYCLE_1)
	s_or_b32 exec_lo, exec_lo, s23
.LBB219_354:                            ;   in Loop: Header=BB219_10 Depth=1
	s_delay_alu instid0(SALU_CYCLE_1) | instskip(NEXT) | instid1(SALU_CYCLE_1)
	s_or_b32 exec_lo, exec_lo, s22
	s_mov_b32 s22, exec_lo
	v_cmpx_lt_u32_e32 0xffffff, v32
	s_cbranch_execz .LBB219_362
; %bb.355:                              ;   in Loop: Header=BB219_10 Depth=1
	v_mov_b64_e32 v[24:25], 0x8000000000000000
	v_lshrrev_b32_e32 v33, 24, v32
	s_mov_b32 s23, exec_lo
	s_delay_alu instid0(VALU_DEP_1)
	v_cmpx_ne_u32_e32 0x80, v33
	s_cbranch_execz .LBB219_361
; %bb.356:                              ;   in Loop: Header=BB219_10 Depth=1
	v_mov_b64_e32 v[24:25], 0x7f80000100000000
	v_bfe_u32 v32, v32, 24, 7
	s_mov_b32 s29, exec_lo
	s_delay_alu instid0(VALU_DEP_1)
	v_cmpx_ne_u32_e32 0x7f, v32
	s_cbranch_execz .LBB219_360
; %bb.357:                              ;   in Loop: Header=BB219_10 Depth=1
	v_dual_lshrrev_b32 v24, 3, v32 :: v_dual_bitop2_b32 v66, 7, v33 bitop3:0x40
	s_mov_b32 s30, exec_lo
	v_cmpx_gt_u32_e32 8, v32
; %bb.358:                              ;   in Loop: Header=BB219_10 Depth=1
	s_delay_alu instid0(VALU_DEP_2) | instskip(NEXT) | instid1(VALU_DEP_1)
	v_clz_i32_u32_e32 v24, v66
	v_min_u32_e32 v24, 32, v24
	s_delay_alu instid0(VALU_DEP_1) | instskip(NEXT) | instid1(VALU_DEP_1)
	v_subrev_nc_u32_e32 v25, 28, v24
	v_lshlrev_b64_e32 v[34:35], v25, v[66:67]
	s_delay_alu instid0(VALU_DEP_1)
	v_dual_sub_nc_u32 v24, 29, v24 :: v_dual_bitop2_b32 v66, 7, v34 bitop3:0x40
; %bb.359:                              ;   in Loop: Header=BB219_10 Depth=1
	s_or_b32 exec_lo, exec_lo, s30
	s_delay_alu instid0(VALU_DEP_1) | instskip(NEXT) | instid1(VALU_DEP_2)
	v_dual_lshlrev_b32 v25, 24, v33 :: v_dual_lshlrev_b32 v32, 20, v66
	v_lshl_add_u32 v24, v24, 23, 0x3c000000
	s_delay_alu instid0(VALU_DEP_2) | instskip(NEXT) | instid1(VALU_DEP_1)
	v_and_b32_e32 v25, 0x80000000, v25
	v_or3_b32 v25, v32, v25, v24
	v_mov_b32_e32 v24, v67
.LBB219_360:                            ;   in Loop: Header=BB219_10 Depth=1
	s_or_b32 exec_lo, exec_lo, s29
.LBB219_361:                            ;   in Loop: Header=BB219_10 Depth=1
	s_delay_alu instid0(SALU_CYCLE_1)
	s_or_b32 exec_lo, exec_lo, s23
.LBB219_362:                            ;   in Loop: Header=BB219_10 Depth=1
	s_delay_alu instid0(SALU_CYCLE_1)
	s_or_b32 exec_lo, exec_lo, s22
	global_load_b32 v40, v[84:85], off offset:1036
	v_mov_b64_e32 v[36:37], 0
	v_mov_b64_e32 v[38:39], 0
	s_mov_b32 s22, exec_lo
	s_wait_loadcnt 0x0
	v_and_b32_e32 v32, 0xff, v40
	s_wait_xcnt 0x0
	s_delay_alu instid0(VALU_DEP_1)
	v_cmpx_ne_u16_e32 0, v32
	s_cbranch_execz .LBB219_370
; %bb.363:                              ;   in Loop: Header=BB219_10 Depth=1
	v_mov_b64_e32 v[38:39], 0x80000000
	s_mov_b32 s23, exec_lo
	v_cmpx_ne_u16_e32 0x80, v32
	s_cbranch_execz .LBB219_369
; %bb.364:                              ;   in Loop: Header=BB219_10 Depth=1
	v_mov_b64_e32 v[38:39], 0x7f800001
	v_and_b32_e32 v33, 0x7f, v40
	s_mov_b32 s29, exec_lo
	s_delay_alu instid0(VALU_DEP_1)
	v_cmpx_ne_u32_e32 0x7f, v33
	s_cbranch_execz .LBB219_368
; %bb.365:                              ;   in Loop: Header=BB219_10 Depth=1
	v_dual_lshrrev_b32 v32, 3, v33 :: v_dual_bitop2_b32 v66, 7, v40 bitop3:0x40
	s_mov_b32 s30, exec_lo
	v_cmpx_gt_u32_e32 8, v33
; %bb.366:                              ;   in Loop: Header=BB219_10 Depth=1
	s_delay_alu instid0(VALU_DEP_2) | instskip(NEXT) | instid1(VALU_DEP_1)
	v_clz_i32_u32_e32 v32, v66
	v_min_u32_e32 v32, 32, v32
	s_delay_alu instid0(VALU_DEP_1) | instskip(NEXT) | instid1(VALU_DEP_1)
	v_subrev_nc_u32_e32 v33, 28, v32
	v_lshlrev_b64_e32 v[34:35], v33, v[66:67]
	s_delay_alu instid0(VALU_DEP_1)
	v_dual_sub_nc_u32 v32, 29, v32 :: v_dual_bitop2_b32 v66, 7, v34 bitop3:0x40
; %bb.367:                              ;   in Loop: Header=BB219_10 Depth=1
	s_or_b32 exec_lo, exec_lo, s30
	s_delay_alu instid0(VALU_DEP_1) | instskip(NEXT) | instid1(VALU_DEP_2)
	v_dual_lshlrev_b32 v33, 24, v40 :: v_dual_lshlrev_b32 v34, 20, v66
	v_lshl_add_u32 v32, v32, 23, 0x3c000000
	s_delay_alu instid0(VALU_DEP_2) | instskip(NEXT) | instid1(VALU_DEP_1)
	v_and_b32_e32 v33, 0x80000000, v33
	v_or3_b32 v66, v34, v33, v32
	s_delay_alu instid0(VALU_DEP_1)
	v_mov_b64_e32 v[38:39], v[66:67]
.LBB219_368:                            ;   in Loop: Header=BB219_10 Depth=1
	s_or_b32 exec_lo, exec_lo, s29
.LBB219_369:                            ;   in Loop: Header=BB219_10 Depth=1
	s_delay_alu instid0(SALU_CYCLE_1)
	s_or_b32 exec_lo, exec_lo, s23
.LBB219_370:                            ;   in Loop: Header=BB219_10 Depth=1
	s_delay_alu instid0(SALU_CYCLE_1) | instskip(SKIP_2) | instid1(VALU_DEP_1)
	s_or_b32 exec_lo, exec_lo, s22
	v_lshrrev_b16 v32, 8, v40
	s_mov_b32 s22, exec_lo
	v_cmpx_ne_u16_e32 0, v32
	s_cbranch_execz .LBB219_378
; %bb.371:                              ;   in Loop: Header=BB219_10 Depth=1
	v_mov_b64_e32 v[36:37], 0x8000000000000000
	s_mov_b32 s23, exec_lo
	v_cmpx_ne_u16_e32 0x80, v32
	s_cbranch_execz .LBB219_377
; %bb.372:                              ;   in Loop: Header=BB219_10 Depth=1
	v_and_b32_e32 v32, 0xffff, v32
	v_mov_b64_e32 v[36:37], 0x7f80000100000000
	s_mov_b32 s29, exec_lo
	s_delay_alu instid0(VALU_DEP_2) | instskip(NEXT) | instid1(VALU_DEP_1)
	v_and_b32_e32 v33, 0x7f, v32
	v_cmpx_ne_u32_e32 0x7f, v33
	s_cbranch_execz .LBB219_376
; %bb.373:                              ;   in Loop: Header=BB219_10 Depth=1
	v_dual_lshrrev_b32 v32, 3, v33 :: v_dual_bitop2_b32 v66, 7, v32 bitop3:0x40
	s_mov_b32 s30, exec_lo
	v_cmpx_gt_u32_e32 8, v33
; %bb.374:                              ;   in Loop: Header=BB219_10 Depth=1
	s_delay_alu instid0(VALU_DEP_2) | instskip(NEXT) | instid1(VALU_DEP_1)
	v_clz_i32_u32_e32 v32, v66
	v_min_u32_e32 v32, 32, v32
	s_delay_alu instid0(VALU_DEP_1) | instskip(NEXT) | instid1(VALU_DEP_1)
	v_subrev_nc_u32_e32 v33, 28, v32
	v_lshlrev_b64_e32 v[34:35], v33, v[66:67]
	s_delay_alu instid0(VALU_DEP_1)
	v_dual_sub_nc_u32 v32, 29, v32 :: v_dual_bitop2_b32 v66, 7, v34 bitop3:0x40
; %bb.375:                              ;   in Loop: Header=BB219_10 Depth=1
	s_or_b32 exec_lo, exec_lo, s30
	s_delay_alu instid0(VALU_DEP_1) | instskip(NEXT) | instid1(VALU_DEP_2)
	v_dual_lshlrev_b32 v33, 16, v40 :: v_dual_lshlrev_b32 v34, 20, v66
	v_lshl_add_u32 v32, v32, 23, 0x3c000000
	v_mov_b32_e32 v36, v67
	s_delay_alu instid0(VALU_DEP_3) | instskip(NEXT) | instid1(VALU_DEP_1)
	v_and_b32_e32 v33, 0x80000000, v33
	v_or3_b32 v37, v34, v33, v32
.LBB219_376:                            ;   in Loop: Header=BB219_10 Depth=1
	s_or_b32 exec_lo, exec_lo, s29
.LBB219_377:                            ;   in Loop: Header=BB219_10 Depth=1
	s_delay_alu instid0(SALU_CYCLE_1)
	s_or_b32 exec_lo, exec_lo, s23
.LBB219_378:                            ;   in Loop: Header=BB219_10 Depth=1
	s_delay_alu instid0(SALU_CYCLE_1) | instskip(SKIP_4) | instid1(VALU_DEP_3)
	s_or_b32 exec_lo, exec_lo, s22
	v_lshrrev_b32_e32 v41, 16, v40
	v_mov_b64_e32 v[32:33], 0
	v_mov_b64_e32 v[34:35], 0
	s_mov_b32 s22, exec_lo
	v_and_b32_e32 v42, 0xff, v41
	s_delay_alu instid0(VALU_DEP_1)
	v_cmpx_ne_u16_e32 0, v42
	s_cbranch_execz .LBB219_386
; %bb.379:                              ;   in Loop: Header=BB219_10 Depth=1
	v_mov_b64_e32 v[34:35], 0x80000000
	s_mov_b32 s23, exec_lo
	v_cmpx_ne_u16_e32 0x80, v42
	s_cbranch_execz .LBB219_385
; %bb.380:                              ;   in Loop: Header=BB219_10 Depth=1
	v_mov_b64_e32 v[34:35], 0x7f800001
	v_bfe_u32 v42, v40, 16, 7
	s_mov_b32 s29, exec_lo
	s_delay_alu instid0(VALU_DEP_1)
	v_cmpx_ne_u32_e32 0x7f, v42
	s_cbranch_execz .LBB219_384
; %bb.381:                              ;   in Loop: Header=BB219_10 Depth=1
	v_dual_lshrrev_b32 v34, 3, v42 :: v_dual_bitop2_b32 v66, 7, v41 bitop3:0x40
	s_mov_b32 s30, exec_lo
	v_cmpx_gt_u32_e32 8, v42
; %bb.382:                              ;   in Loop: Header=BB219_10 Depth=1
	s_delay_alu instid0(VALU_DEP_2) | instskip(NEXT) | instid1(VALU_DEP_1)
	v_clz_i32_u32_e32 v34, v66
	v_min_u32_e32 v34, 32, v34
	s_delay_alu instid0(VALU_DEP_1) | instskip(SKIP_1) | instid1(VALU_DEP_2)
	v_subrev_nc_u32_e32 v35, 28, v34
	v_sub_nc_u32_e32 v34, 29, v34
	v_lshlrev_b64_e32 v[42:43], v35, v[66:67]
	s_delay_alu instid0(VALU_DEP_1)
	v_and_b32_e32 v66, 7, v42
; %bb.383:                              ;   in Loop: Header=BB219_10 Depth=1
	s_or_b32 exec_lo, exec_lo, s30
	s_delay_alu instid0(VALU_DEP_1) | instskip(SKIP_1) | instid1(VALU_DEP_2)
	v_dual_lshlrev_b32 v35, 24, v41 :: v_dual_lshlrev_b32 v41, 20, v66
	v_lshl_add_u32 v34, v34, 23, 0x3c000000
	v_and_b32_e32 v35, 0x80000000, v35
	s_delay_alu instid0(VALU_DEP_1) | instskip(NEXT) | instid1(VALU_DEP_1)
	v_or3_b32 v66, v41, v35, v34
	v_mov_b64_e32 v[34:35], v[66:67]
.LBB219_384:                            ;   in Loop: Header=BB219_10 Depth=1
	s_or_b32 exec_lo, exec_lo, s29
.LBB219_385:                            ;   in Loop: Header=BB219_10 Depth=1
	s_delay_alu instid0(SALU_CYCLE_1)
	s_or_b32 exec_lo, exec_lo, s23
.LBB219_386:                            ;   in Loop: Header=BB219_10 Depth=1
	s_delay_alu instid0(SALU_CYCLE_1) | instskip(NEXT) | instid1(SALU_CYCLE_1)
	s_or_b32 exec_lo, exec_lo, s22
	s_mov_b32 s22, exec_lo
	v_cmpx_lt_u32_e32 0xffffff, v40
	s_cbranch_execz .LBB219_394
; %bb.387:                              ;   in Loop: Header=BB219_10 Depth=1
	v_mov_b64_e32 v[32:33], 0x8000000000000000
	v_lshrrev_b32_e32 v41, 24, v40
	s_mov_b32 s23, exec_lo
	s_delay_alu instid0(VALU_DEP_1)
	v_cmpx_ne_u32_e32 0x80, v41
	s_cbranch_execz .LBB219_393
; %bb.388:                              ;   in Loop: Header=BB219_10 Depth=1
	v_mov_b64_e32 v[32:33], 0x7f80000100000000
	v_bfe_u32 v40, v40, 24, 7
	s_mov_b32 s29, exec_lo
	s_delay_alu instid0(VALU_DEP_1)
	v_cmpx_ne_u32_e32 0x7f, v40
	s_cbranch_execz .LBB219_392
; %bb.389:                              ;   in Loop: Header=BB219_10 Depth=1
	v_dual_lshrrev_b32 v32, 3, v40 :: v_dual_bitop2_b32 v66, 7, v41 bitop3:0x40
	s_mov_b32 s30, exec_lo
	v_cmpx_gt_u32_e32 8, v40
; %bb.390:                              ;   in Loop: Header=BB219_10 Depth=1
	s_delay_alu instid0(VALU_DEP_2) | instskip(NEXT) | instid1(VALU_DEP_1)
	v_clz_i32_u32_e32 v32, v66
	v_min_u32_e32 v32, 32, v32
	s_delay_alu instid0(VALU_DEP_1) | instskip(NEXT) | instid1(VALU_DEP_1)
	v_subrev_nc_u32_e32 v33, 28, v32
	v_lshlrev_b64_e32 v[42:43], v33, v[66:67]
	s_delay_alu instid0(VALU_DEP_1)
	v_dual_sub_nc_u32 v32, 29, v32 :: v_dual_bitop2_b32 v66, 7, v42 bitop3:0x40
; %bb.391:                              ;   in Loop: Header=BB219_10 Depth=1
	s_or_b32 exec_lo, exec_lo, s30
	s_delay_alu instid0(VALU_DEP_1) | instskip(NEXT) | instid1(VALU_DEP_2)
	v_dual_lshlrev_b32 v33, 24, v41 :: v_dual_lshlrev_b32 v40, 20, v66
	v_lshl_add_u32 v32, v32, 23, 0x3c000000
	s_delay_alu instid0(VALU_DEP_2) | instskip(NEXT) | instid1(VALU_DEP_1)
	v_and_b32_e32 v33, 0x80000000, v33
	v_or3_b32 v33, v40, v33, v32
	v_mov_b32_e32 v32, v67
.LBB219_392:                            ;   in Loop: Header=BB219_10 Depth=1
	s_or_b32 exec_lo, exec_lo, s29
.LBB219_393:                            ;   in Loop: Header=BB219_10 Depth=1
	s_delay_alu instid0(SALU_CYCLE_1)
	s_or_b32 exec_lo, exec_lo, s23
.LBB219_394:                            ;   in Loop: Header=BB219_10 Depth=1
	s_delay_alu instid0(SALU_CYCLE_1)
	s_or_b32 exec_lo, exec_lo, s22
	global_load_b32 v48, v[84:85], off offset:1536
	v_mov_b64_e32 v[44:45], 0
	v_mov_b64_e32 v[46:47], 0
	s_mov_b32 s22, exec_lo
	s_wait_loadcnt 0x0
	v_and_b32_e32 v40, 0xff, v48
	s_wait_xcnt 0x0
	s_delay_alu instid0(VALU_DEP_1)
	v_cmpx_ne_u16_e32 0, v40
	s_cbranch_execz .LBB219_402
; %bb.395:                              ;   in Loop: Header=BB219_10 Depth=1
	v_mov_b64_e32 v[46:47], 0x80000000
	s_mov_b32 s23, exec_lo
	v_cmpx_ne_u16_e32 0x80, v40
	s_cbranch_execz .LBB219_401
; %bb.396:                              ;   in Loop: Header=BB219_10 Depth=1
	v_mov_b64_e32 v[46:47], 0x7f800001
	v_and_b32_e32 v41, 0x7f, v48
	s_mov_b32 s29, exec_lo
	s_delay_alu instid0(VALU_DEP_1)
	v_cmpx_ne_u32_e32 0x7f, v41
	s_cbranch_execz .LBB219_400
; %bb.397:                              ;   in Loop: Header=BB219_10 Depth=1
	v_dual_lshrrev_b32 v40, 3, v41 :: v_dual_bitop2_b32 v66, 7, v48 bitop3:0x40
	s_mov_b32 s30, exec_lo
	v_cmpx_gt_u32_e32 8, v41
; %bb.398:                              ;   in Loop: Header=BB219_10 Depth=1
	s_delay_alu instid0(VALU_DEP_2) | instskip(NEXT) | instid1(VALU_DEP_1)
	v_clz_i32_u32_e32 v40, v66
	v_min_u32_e32 v40, 32, v40
	s_delay_alu instid0(VALU_DEP_1) | instskip(NEXT) | instid1(VALU_DEP_1)
	v_subrev_nc_u32_e32 v41, 28, v40
	v_lshlrev_b64_e32 v[42:43], v41, v[66:67]
	s_delay_alu instid0(VALU_DEP_1)
	v_dual_sub_nc_u32 v40, 29, v40 :: v_dual_bitop2_b32 v66, 7, v42 bitop3:0x40
; %bb.399:                              ;   in Loop: Header=BB219_10 Depth=1
	s_or_b32 exec_lo, exec_lo, s30
	s_delay_alu instid0(VALU_DEP_1) | instskip(NEXT) | instid1(VALU_DEP_2)
	v_dual_lshlrev_b32 v41, 24, v48 :: v_dual_lshlrev_b32 v42, 20, v66
	v_lshl_add_u32 v40, v40, 23, 0x3c000000
	s_delay_alu instid0(VALU_DEP_2) | instskip(NEXT) | instid1(VALU_DEP_1)
	v_and_b32_e32 v41, 0x80000000, v41
	v_or3_b32 v66, v42, v41, v40
	s_delay_alu instid0(VALU_DEP_1)
	v_mov_b64_e32 v[46:47], v[66:67]
.LBB219_400:                            ;   in Loop: Header=BB219_10 Depth=1
	s_or_b32 exec_lo, exec_lo, s29
.LBB219_401:                            ;   in Loop: Header=BB219_10 Depth=1
	s_delay_alu instid0(SALU_CYCLE_1)
	s_or_b32 exec_lo, exec_lo, s23
.LBB219_402:                            ;   in Loop: Header=BB219_10 Depth=1
	s_delay_alu instid0(SALU_CYCLE_1) | instskip(SKIP_2) | instid1(VALU_DEP_1)
	s_or_b32 exec_lo, exec_lo, s22
	v_lshrrev_b16 v40, 8, v48
	s_mov_b32 s22, exec_lo
	v_cmpx_ne_u16_e32 0, v40
	s_cbranch_execz .LBB219_410
; %bb.403:                              ;   in Loop: Header=BB219_10 Depth=1
	v_mov_b64_e32 v[44:45], 0x8000000000000000
	s_mov_b32 s23, exec_lo
	v_cmpx_ne_u16_e32 0x80, v40
	s_cbranch_execz .LBB219_409
; %bb.404:                              ;   in Loop: Header=BB219_10 Depth=1
	v_and_b32_e32 v40, 0xffff, v40
	v_mov_b64_e32 v[44:45], 0x7f80000100000000
	s_mov_b32 s29, exec_lo
	s_delay_alu instid0(VALU_DEP_2) | instskip(NEXT) | instid1(VALU_DEP_1)
	v_and_b32_e32 v41, 0x7f, v40
	v_cmpx_ne_u32_e32 0x7f, v41
	s_cbranch_execz .LBB219_408
; %bb.405:                              ;   in Loop: Header=BB219_10 Depth=1
	v_dual_lshrrev_b32 v40, 3, v41 :: v_dual_bitop2_b32 v66, 7, v40 bitop3:0x40
	s_mov_b32 s30, exec_lo
	v_cmpx_gt_u32_e32 8, v41
; %bb.406:                              ;   in Loop: Header=BB219_10 Depth=1
	s_delay_alu instid0(VALU_DEP_2) | instskip(NEXT) | instid1(VALU_DEP_1)
	v_clz_i32_u32_e32 v40, v66
	v_min_u32_e32 v40, 32, v40
	s_delay_alu instid0(VALU_DEP_1) | instskip(NEXT) | instid1(VALU_DEP_1)
	v_subrev_nc_u32_e32 v41, 28, v40
	v_lshlrev_b64_e32 v[42:43], v41, v[66:67]
	s_delay_alu instid0(VALU_DEP_1)
	v_dual_sub_nc_u32 v40, 29, v40 :: v_dual_bitop2_b32 v66, 7, v42 bitop3:0x40
; %bb.407:                              ;   in Loop: Header=BB219_10 Depth=1
	s_or_b32 exec_lo, exec_lo, s30
	s_delay_alu instid0(VALU_DEP_1) | instskip(NEXT) | instid1(VALU_DEP_2)
	v_dual_lshlrev_b32 v41, 16, v48 :: v_dual_lshlrev_b32 v42, 20, v66
	v_lshl_add_u32 v40, v40, 23, 0x3c000000
	v_mov_b32_e32 v44, v67
	s_delay_alu instid0(VALU_DEP_3) | instskip(NEXT) | instid1(VALU_DEP_1)
	v_and_b32_e32 v41, 0x80000000, v41
	v_or3_b32 v45, v42, v41, v40
.LBB219_408:                            ;   in Loop: Header=BB219_10 Depth=1
	s_or_b32 exec_lo, exec_lo, s29
.LBB219_409:                            ;   in Loop: Header=BB219_10 Depth=1
	s_delay_alu instid0(SALU_CYCLE_1)
	s_or_b32 exec_lo, exec_lo, s23
.LBB219_410:                            ;   in Loop: Header=BB219_10 Depth=1
	s_delay_alu instid0(SALU_CYCLE_1) | instskip(SKIP_4) | instid1(VALU_DEP_3)
	s_or_b32 exec_lo, exec_lo, s22
	v_lshrrev_b32_e32 v49, 16, v48
	v_mov_b64_e32 v[40:41], 0
	v_mov_b64_e32 v[42:43], 0
	s_mov_b32 s22, exec_lo
	v_and_b32_e32 v50, 0xff, v49
	s_delay_alu instid0(VALU_DEP_1)
	v_cmpx_ne_u16_e32 0, v50
	s_cbranch_execz .LBB219_418
; %bb.411:                              ;   in Loop: Header=BB219_10 Depth=1
	v_mov_b64_e32 v[42:43], 0x80000000
	s_mov_b32 s23, exec_lo
	v_cmpx_ne_u16_e32 0x80, v50
	s_cbranch_execz .LBB219_417
; %bb.412:                              ;   in Loop: Header=BB219_10 Depth=1
	v_mov_b64_e32 v[42:43], 0x7f800001
	v_bfe_u32 v50, v48, 16, 7
	s_mov_b32 s29, exec_lo
	s_delay_alu instid0(VALU_DEP_1)
	v_cmpx_ne_u32_e32 0x7f, v50
	s_cbranch_execz .LBB219_416
; %bb.413:                              ;   in Loop: Header=BB219_10 Depth=1
	v_dual_lshrrev_b32 v42, 3, v50 :: v_dual_bitop2_b32 v66, 7, v49 bitop3:0x40
	s_mov_b32 s30, exec_lo
	v_cmpx_gt_u32_e32 8, v50
; %bb.414:                              ;   in Loop: Header=BB219_10 Depth=1
	s_delay_alu instid0(VALU_DEP_2) | instskip(NEXT) | instid1(VALU_DEP_1)
	v_clz_i32_u32_e32 v42, v66
	v_min_u32_e32 v42, 32, v42
	s_delay_alu instid0(VALU_DEP_1) | instskip(SKIP_1) | instid1(VALU_DEP_2)
	v_subrev_nc_u32_e32 v43, 28, v42
	v_sub_nc_u32_e32 v42, 29, v42
	v_lshlrev_b64_e32 v[50:51], v43, v[66:67]
	s_delay_alu instid0(VALU_DEP_1)
	v_and_b32_e32 v66, 7, v50
; %bb.415:                              ;   in Loop: Header=BB219_10 Depth=1
	s_or_b32 exec_lo, exec_lo, s30
	s_delay_alu instid0(VALU_DEP_1) | instskip(SKIP_1) | instid1(VALU_DEP_2)
	v_dual_lshlrev_b32 v43, 24, v49 :: v_dual_lshlrev_b32 v49, 20, v66
	v_lshl_add_u32 v42, v42, 23, 0x3c000000
	v_and_b32_e32 v43, 0x80000000, v43
	s_delay_alu instid0(VALU_DEP_1) | instskip(NEXT) | instid1(VALU_DEP_1)
	v_or3_b32 v66, v49, v43, v42
	v_mov_b64_e32 v[42:43], v[66:67]
.LBB219_416:                            ;   in Loop: Header=BB219_10 Depth=1
	s_or_b32 exec_lo, exec_lo, s29
.LBB219_417:                            ;   in Loop: Header=BB219_10 Depth=1
	s_delay_alu instid0(SALU_CYCLE_1)
	s_or_b32 exec_lo, exec_lo, s23
.LBB219_418:                            ;   in Loop: Header=BB219_10 Depth=1
	s_delay_alu instid0(SALU_CYCLE_1) | instskip(NEXT) | instid1(SALU_CYCLE_1)
	s_or_b32 exec_lo, exec_lo, s22
	s_mov_b32 s22, exec_lo
	v_cmpx_lt_u32_e32 0xffffff, v48
	s_cbranch_execz .LBB219_426
; %bb.419:                              ;   in Loop: Header=BB219_10 Depth=1
	v_mov_b64_e32 v[40:41], 0x8000000000000000
	v_lshrrev_b32_e32 v49, 24, v48
	s_mov_b32 s23, exec_lo
	s_delay_alu instid0(VALU_DEP_1)
	v_cmpx_ne_u32_e32 0x80, v49
	s_cbranch_execz .LBB219_425
; %bb.420:                              ;   in Loop: Header=BB219_10 Depth=1
	v_mov_b64_e32 v[40:41], 0x7f80000100000000
	v_bfe_u32 v48, v48, 24, 7
	s_mov_b32 s29, exec_lo
	s_delay_alu instid0(VALU_DEP_1)
	v_cmpx_ne_u32_e32 0x7f, v48
	s_cbranch_execz .LBB219_424
; %bb.421:                              ;   in Loop: Header=BB219_10 Depth=1
	v_dual_lshrrev_b32 v40, 3, v48 :: v_dual_bitop2_b32 v66, 7, v49 bitop3:0x40
	s_mov_b32 s30, exec_lo
	v_cmpx_gt_u32_e32 8, v48
; %bb.422:                              ;   in Loop: Header=BB219_10 Depth=1
	s_delay_alu instid0(VALU_DEP_2) | instskip(NEXT) | instid1(VALU_DEP_1)
	v_clz_i32_u32_e32 v40, v66
	v_min_u32_e32 v40, 32, v40
	s_delay_alu instid0(VALU_DEP_1) | instskip(NEXT) | instid1(VALU_DEP_1)
	v_subrev_nc_u32_e32 v41, 28, v40
	v_lshlrev_b64_e32 v[50:51], v41, v[66:67]
	s_delay_alu instid0(VALU_DEP_1)
	v_dual_sub_nc_u32 v40, 29, v40 :: v_dual_bitop2_b32 v66, 7, v50 bitop3:0x40
; %bb.423:                              ;   in Loop: Header=BB219_10 Depth=1
	s_or_b32 exec_lo, exec_lo, s30
	s_delay_alu instid0(VALU_DEP_1) | instskip(NEXT) | instid1(VALU_DEP_2)
	v_dual_lshlrev_b32 v41, 24, v49 :: v_dual_lshlrev_b32 v48, 20, v66
	v_lshl_add_u32 v40, v40, 23, 0x3c000000
	s_delay_alu instid0(VALU_DEP_2) | instskip(NEXT) | instid1(VALU_DEP_1)
	v_and_b32_e32 v41, 0x80000000, v41
	v_or3_b32 v41, v48, v41, v40
	v_mov_b32_e32 v40, v67
.LBB219_424:                            ;   in Loop: Header=BB219_10 Depth=1
	s_or_b32 exec_lo, exec_lo, s29
.LBB219_425:                            ;   in Loop: Header=BB219_10 Depth=1
	s_delay_alu instid0(SALU_CYCLE_1)
	s_or_b32 exec_lo, exec_lo, s23
.LBB219_426:                            ;   in Loop: Header=BB219_10 Depth=1
	s_delay_alu instid0(SALU_CYCLE_1)
	s_or_b32 exec_lo, exec_lo, s22
	global_load_b32 v56, v[84:85], off offset:1540
	v_mov_b64_e32 v[52:53], 0
	v_mov_b64_e32 v[54:55], 0
	s_mov_b32 s22, exec_lo
	s_wait_loadcnt 0x0
	v_and_b32_e32 v48, 0xff, v56
	s_wait_xcnt 0x0
	s_delay_alu instid0(VALU_DEP_1)
	v_cmpx_ne_u16_e32 0, v48
	s_cbranch_execz .LBB219_434
; %bb.427:                              ;   in Loop: Header=BB219_10 Depth=1
	v_mov_b64_e32 v[54:55], 0x80000000
	s_mov_b32 s23, exec_lo
	v_cmpx_ne_u16_e32 0x80, v48
	s_cbranch_execz .LBB219_433
; %bb.428:                              ;   in Loop: Header=BB219_10 Depth=1
	v_mov_b64_e32 v[54:55], 0x7f800001
	v_and_b32_e32 v49, 0x7f, v56
	s_mov_b32 s29, exec_lo
	s_delay_alu instid0(VALU_DEP_1)
	v_cmpx_ne_u32_e32 0x7f, v49
	s_cbranch_execz .LBB219_432
; %bb.429:                              ;   in Loop: Header=BB219_10 Depth=1
	v_dual_lshrrev_b32 v48, 3, v49 :: v_dual_bitop2_b32 v66, 7, v56 bitop3:0x40
	s_mov_b32 s30, exec_lo
	v_cmpx_gt_u32_e32 8, v49
; %bb.430:                              ;   in Loop: Header=BB219_10 Depth=1
	s_delay_alu instid0(VALU_DEP_2) | instskip(NEXT) | instid1(VALU_DEP_1)
	v_clz_i32_u32_e32 v48, v66
	v_min_u32_e32 v48, 32, v48
	s_delay_alu instid0(VALU_DEP_1) | instskip(NEXT) | instid1(VALU_DEP_1)
	v_subrev_nc_u32_e32 v49, 28, v48
	v_lshlrev_b64_e32 v[50:51], v49, v[66:67]
	s_delay_alu instid0(VALU_DEP_1)
	v_dual_sub_nc_u32 v48, 29, v48 :: v_dual_bitop2_b32 v66, 7, v50 bitop3:0x40
; %bb.431:                              ;   in Loop: Header=BB219_10 Depth=1
	s_or_b32 exec_lo, exec_lo, s30
	s_delay_alu instid0(VALU_DEP_1) | instskip(NEXT) | instid1(VALU_DEP_2)
	v_dual_lshlrev_b32 v49, 24, v56 :: v_dual_lshlrev_b32 v50, 20, v66
	v_lshl_add_u32 v48, v48, 23, 0x3c000000
	s_delay_alu instid0(VALU_DEP_2) | instskip(NEXT) | instid1(VALU_DEP_1)
	v_and_b32_e32 v49, 0x80000000, v49
	v_or3_b32 v66, v50, v49, v48
	s_delay_alu instid0(VALU_DEP_1)
	v_mov_b64_e32 v[54:55], v[66:67]
.LBB219_432:                            ;   in Loop: Header=BB219_10 Depth=1
	s_or_b32 exec_lo, exec_lo, s29
.LBB219_433:                            ;   in Loop: Header=BB219_10 Depth=1
	s_delay_alu instid0(SALU_CYCLE_1)
	s_or_b32 exec_lo, exec_lo, s23
.LBB219_434:                            ;   in Loop: Header=BB219_10 Depth=1
	s_delay_alu instid0(SALU_CYCLE_1) | instskip(SKIP_2) | instid1(VALU_DEP_1)
	s_or_b32 exec_lo, exec_lo, s22
	v_lshrrev_b16 v48, 8, v56
	s_mov_b32 s22, exec_lo
	v_cmpx_ne_u16_e32 0, v48
	s_cbranch_execz .LBB219_442
; %bb.435:                              ;   in Loop: Header=BB219_10 Depth=1
	v_mov_b64_e32 v[52:53], 0x8000000000000000
	s_mov_b32 s23, exec_lo
	v_cmpx_ne_u16_e32 0x80, v48
	s_cbranch_execz .LBB219_441
; %bb.436:                              ;   in Loop: Header=BB219_10 Depth=1
	v_and_b32_e32 v48, 0xffff, v48
	v_mov_b64_e32 v[52:53], 0x7f80000100000000
	s_mov_b32 s29, exec_lo
	s_delay_alu instid0(VALU_DEP_2) | instskip(NEXT) | instid1(VALU_DEP_1)
	v_and_b32_e32 v49, 0x7f, v48
	v_cmpx_ne_u32_e32 0x7f, v49
	s_cbranch_execz .LBB219_440
; %bb.437:                              ;   in Loop: Header=BB219_10 Depth=1
	v_dual_lshrrev_b32 v48, 3, v49 :: v_dual_bitop2_b32 v66, 7, v48 bitop3:0x40
	s_mov_b32 s30, exec_lo
	v_cmpx_gt_u32_e32 8, v49
; %bb.438:                              ;   in Loop: Header=BB219_10 Depth=1
	s_delay_alu instid0(VALU_DEP_2) | instskip(NEXT) | instid1(VALU_DEP_1)
	v_clz_i32_u32_e32 v48, v66
	v_min_u32_e32 v48, 32, v48
	s_delay_alu instid0(VALU_DEP_1) | instskip(NEXT) | instid1(VALU_DEP_1)
	v_subrev_nc_u32_e32 v49, 28, v48
	v_lshlrev_b64_e32 v[50:51], v49, v[66:67]
	s_delay_alu instid0(VALU_DEP_1)
	v_dual_sub_nc_u32 v48, 29, v48 :: v_dual_bitop2_b32 v66, 7, v50 bitop3:0x40
; %bb.439:                              ;   in Loop: Header=BB219_10 Depth=1
	s_or_b32 exec_lo, exec_lo, s30
	s_delay_alu instid0(VALU_DEP_1) | instskip(NEXT) | instid1(VALU_DEP_2)
	v_dual_lshlrev_b32 v49, 16, v56 :: v_dual_lshlrev_b32 v50, 20, v66
	v_lshl_add_u32 v48, v48, 23, 0x3c000000
	v_mov_b32_e32 v52, v67
	s_delay_alu instid0(VALU_DEP_3) | instskip(NEXT) | instid1(VALU_DEP_1)
	v_and_b32_e32 v49, 0x80000000, v49
	v_or3_b32 v53, v50, v49, v48
.LBB219_440:                            ;   in Loop: Header=BB219_10 Depth=1
	s_or_b32 exec_lo, exec_lo, s29
.LBB219_441:                            ;   in Loop: Header=BB219_10 Depth=1
	s_delay_alu instid0(SALU_CYCLE_1)
	s_or_b32 exec_lo, exec_lo, s23
.LBB219_442:                            ;   in Loop: Header=BB219_10 Depth=1
	s_delay_alu instid0(SALU_CYCLE_1) | instskip(SKIP_4) | instid1(VALU_DEP_3)
	s_or_b32 exec_lo, exec_lo, s22
	v_lshrrev_b32_e32 v57, 16, v56
	v_mov_b64_e32 v[48:49], 0
	v_mov_b64_e32 v[50:51], 0
	s_mov_b32 s22, exec_lo
	v_and_b32_e32 v58, 0xff, v57
	s_delay_alu instid0(VALU_DEP_1)
	v_cmpx_ne_u16_e32 0, v58
	s_cbranch_execz .LBB219_450
; %bb.443:                              ;   in Loop: Header=BB219_10 Depth=1
	v_mov_b64_e32 v[50:51], 0x80000000
	s_mov_b32 s23, exec_lo
	v_cmpx_ne_u16_e32 0x80, v58
	s_cbranch_execz .LBB219_449
; %bb.444:                              ;   in Loop: Header=BB219_10 Depth=1
	v_mov_b64_e32 v[50:51], 0x7f800001
	v_bfe_u32 v58, v56, 16, 7
	s_mov_b32 s29, exec_lo
	s_delay_alu instid0(VALU_DEP_1)
	v_cmpx_ne_u32_e32 0x7f, v58
	s_cbranch_execz .LBB219_448
; %bb.445:                              ;   in Loop: Header=BB219_10 Depth=1
	v_dual_lshrrev_b32 v50, 3, v58 :: v_dual_bitop2_b32 v66, 7, v57 bitop3:0x40
	s_mov_b32 s30, exec_lo
	v_cmpx_gt_u32_e32 8, v58
; %bb.446:                              ;   in Loop: Header=BB219_10 Depth=1
	s_delay_alu instid0(VALU_DEP_2) | instskip(NEXT) | instid1(VALU_DEP_1)
	v_clz_i32_u32_e32 v50, v66
	v_min_u32_e32 v50, 32, v50
	s_delay_alu instid0(VALU_DEP_1) | instskip(SKIP_1) | instid1(VALU_DEP_2)
	v_subrev_nc_u32_e32 v51, 28, v50
	v_sub_nc_u32_e32 v50, 29, v50
	v_lshlrev_b64_e32 v[58:59], v51, v[66:67]
	s_delay_alu instid0(VALU_DEP_1)
	v_and_b32_e32 v66, 7, v58
; %bb.447:                              ;   in Loop: Header=BB219_10 Depth=1
	s_or_b32 exec_lo, exec_lo, s30
	s_delay_alu instid0(VALU_DEP_1) | instskip(SKIP_1) | instid1(VALU_DEP_2)
	v_dual_lshlrev_b32 v51, 24, v57 :: v_dual_lshlrev_b32 v57, 20, v66
	v_lshl_add_u32 v50, v50, 23, 0x3c000000
	v_and_b32_e32 v51, 0x80000000, v51
	s_delay_alu instid0(VALU_DEP_1) | instskip(NEXT) | instid1(VALU_DEP_1)
	v_or3_b32 v66, v57, v51, v50
	v_mov_b64_e32 v[50:51], v[66:67]
.LBB219_448:                            ;   in Loop: Header=BB219_10 Depth=1
	s_or_b32 exec_lo, exec_lo, s29
.LBB219_449:                            ;   in Loop: Header=BB219_10 Depth=1
	s_delay_alu instid0(SALU_CYCLE_1)
	s_or_b32 exec_lo, exec_lo, s23
.LBB219_450:                            ;   in Loop: Header=BB219_10 Depth=1
	s_delay_alu instid0(SALU_CYCLE_1) | instskip(NEXT) | instid1(SALU_CYCLE_1)
	s_or_b32 exec_lo, exec_lo, s22
	s_mov_b32 s22, exec_lo
	v_cmpx_lt_u32_e32 0xffffff, v56
	s_cbranch_execz .LBB219_458
; %bb.451:                              ;   in Loop: Header=BB219_10 Depth=1
	v_mov_b64_e32 v[48:49], 0x8000000000000000
	v_lshrrev_b32_e32 v57, 24, v56
	s_mov_b32 s23, exec_lo
	s_delay_alu instid0(VALU_DEP_1)
	v_cmpx_ne_u32_e32 0x80, v57
	s_cbranch_execz .LBB219_457
; %bb.452:                              ;   in Loop: Header=BB219_10 Depth=1
	v_mov_b64_e32 v[48:49], 0x7f80000100000000
	v_bfe_u32 v56, v56, 24, 7
	s_mov_b32 s29, exec_lo
	s_delay_alu instid0(VALU_DEP_1)
	v_cmpx_ne_u32_e32 0x7f, v56
	s_cbranch_execz .LBB219_456
; %bb.453:                              ;   in Loop: Header=BB219_10 Depth=1
	v_dual_lshrrev_b32 v48, 3, v56 :: v_dual_bitop2_b32 v66, 7, v57 bitop3:0x40
	s_mov_b32 s30, exec_lo
	v_cmpx_gt_u32_e32 8, v56
; %bb.454:                              ;   in Loop: Header=BB219_10 Depth=1
	s_delay_alu instid0(VALU_DEP_2) | instskip(NEXT) | instid1(VALU_DEP_1)
	v_clz_i32_u32_e32 v48, v66
	v_min_u32_e32 v48, 32, v48
	s_delay_alu instid0(VALU_DEP_1) | instskip(NEXT) | instid1(VALU_DEP_1)
	v_subrev_nc_u32_e32 v49, 28, v48
	v_lshlrev_b64_e32 v[58:59], v49, v[66:67]
	s_delay_alu instid0(VALU_DEP_1)
	v_dual_sub_nc_u32 v48, 29, v48 :: v_dual_bitop2_b32 v66, 7, v58 bitop3:0x40
; %bb.455:                              ;   in Loop: Header=BB219_10 Depth=1
	s_or_b32 exec_lo, exec_lo, s30
	s_delay_alu instid0(VALU_DEP_1) | instskip(NEXT) | instid1(VALU_DEP_2)
	v_dual_lshlrev_b32 v49, 24, v57 :: v_dual_lshlrev_b32 v56, 20, v66
	v_lshl_add_u32 v48, v48, 23, 0x3c000000
	s_delay_alu instid0(VALU_DEP_2) | instskip(NEXT) | instid1(VALU_DEP_1)
	v_and_b32_e32 v49, 0x80000000, v49
	v_or3_b32 v49, v56, v49, v48
	v_mov_b32_e32 v48, v67
.LBB219_456:                            ;   in Loop: Header=BB219_10 Depth=1
	s_or_b32 exec_lo, exec_lo, s29
.LBB219_457:                            ;   in Loop: Header=BB219_10 Depth=1
	s_delay_alu instid0(SALU_CYCLE_1)
	s_or_b32 exec_lo, exec_lo, s23
.LBB219_458:                            ;   in Loop: Header=BB219_10 Depth=1
	s_delay_alu instid0(SALU_CYCLE_1)
	s_or_b32 exec_lo, exec_lo, s22
	global_load_b32 v60, v[84:85], off offset:1544
	v_mov_b64_e32 v[56:57], 0
	v_mov_b64_e32 v[58:59], 0
	s_mov_b32 s22, exec_lo
	s_wait_loadcnt 0x0
	v_and_b32_e32 v61, 0xff, v60
	s_wait_xcnt 0x0
	s_delay_alu instid0(VALU_DEP_1)
	v_cmpx_ne_u16_e32 0, v61
	s_cbranch_execz .LBB219_466
; %bb.459:                              ;   in Loop: Header=BB219_10 Depth=1
	v_mov_b64_e32 v[58:59], 0x80000000
	s_mov_b32 s23, exec_lo
	v_cmpx_ne_u16_e32 0x80, v61
	s_cbranch_execz .LBB219_465
; %bb.460:                              ;   in Loop: Header=BB219_10 Depth=1
	v_mov_b64_e32 v[58:59], 0x7f800001
	v_and_b32_e32 v61, 0x7f, v60
	s_mov_b32 s29, exec_lo
	s_delay_alu instid0(VALU_DEP_1)
	v_cmpx_ne_u32_e32 0x7f, v61
	s_cbranch_execz .LBB219_464
; %bb.461:                              ;   in Loop: Header=BB219_10 Depth=1
	v_dual_lshrrev_b32 v58, 3, v61 :: v_dual_bitop2_b32 v66, 7, v60 bitop3:0x40
	s_mov_b32 s30, exec_lo
	v_cmpx_gt_u32_e32 8, v61
; %bb.462:                              ;   in Loop: Header=BB219_10 Depth=1
	s_delay_alu instid0(VALU_DEP_2) | instskip(NEXT) | instid1(VALU_DEP_1)
	v_clz_i32_u32_e32 v58, v66
	v_min_u32_e32 v58, 32, v58
	s_delay_alu instid0(VALU_DEP_1) | instskip(SKIP_1) | instid1(VALU_DEP_2)
	v_subrev_nc_u32_e32 v59, 28, v58
	v_sub_nc_u32_e32 v58, 29, v58
	v_lshlrev_b64_e32 v[62:63], v59, v[66:67]
	s_delay_alu instid0(VALU_DEP_1)
	v_and_b32_e32 v66, 7, v62
; %bb.463:                              ;   in Loop: Header=BB219_10 Depth=1
	s_or_b32 exec_lo, exec_lo, s30
	s_delay_alu instid0(VALU_DEP_1) | instskip(SKIP_1) | instid1(VALU_DEP_2)
	v_dual_lshlrev_b32 v59, 24, v60 :: v_dual_lshlrev_b32 v61, 20, v66
	v_lshl_add_u32 v58, v58, 23, 0x3c000000
	v_and_b32_e32 v59, 0x80000000, v59
	s_delay_alu instid0(VALU_DEP_1) | instskip(NEXT) | instid1(VALU_DEP_1)
	v_or3_b32 v66, v61, v59, v58
	v_mov_b64_e32 v[58:59], v[66:67]
.LBB219_464:                            ;   in Loop: Header=BB219_10 Depth=1
	s_or_b32 exec_lo, exec_lo, s29
.LBB219_465:                            ;   in Loop: Header=BB219_10 Depth=1
	s_delay_alu instid0(SALU_CYCLE_1)
	s_or_b32 exec_lo, exec_lo, s23
.LBB219_466:                            ;   in Loop: Header=BB219_10 Depth=1
	s_delay_alu instid0(SALU_CYCLE_1) | instskip(SKIP_2) | instid1(VALU_DEP_1)
	s_or_b32 exec_lo, exec_lo, s22
	v_lshrrev_b16 v61, 8, v60
	s_mov_b32 s22, exec_lo
	v_cmpx_ne_u16_e32 0, v61
	s_cbranch_execz .LBB219_474
; %bb.467:                              ;   in Loop: Header=BB219_10 Depth=1
	v_mov_b64_e32 v[56:57], 0x8000000000000000
	s_mov_b32 s23, exec_lo
	v_cmpx_ne_u16_e32 0x80, v61
	s_cbranch_execz .LBB219_473
; %bb.468:                              ;   in Loop: Header=BB219_10 Depth=1
	v_and_b32_e32 v62, 0xffff, v61
	v_mov_b64_e32 v[56:57], 0x7f80000100000000
	s_mov_b32 s29, exec_lo
	s_delay_alu instid0(VALU_DEP_2) | instskip(NEXT) | instid1(VALU_DEP_1)
	v_and_b32_e32 v61, 0x7f, v62
	v_cmpx_ne_u32_e32 0x7f, v61
	s_cbranch_execz .LBB219_472
; %bb.469:                              ;   in Loop: Header=BB219_10 Depth=1
	v_dual_lshrrev_b32 v56, 3, v61 :: v_dual_bitop2_b32 v66, 7, v62 bitop3:0x40
	s_mov_b32 s30, exec_lo
	v_cmpx_gt_u32_e32 8, v61
; %bb.470:                              ;   in Loop: Header=BB219_10 Depth=1
	s_delay_alu instid0(VALU_DEP_2) | instskip(NEXT) | instid1(VALU_DEP_1)
	v_clz_i32_u32_e32 v56, v66
	v_min_u32_e32 v56, 32, v56
	s_delay_alu instid0(VALU_DEP_1) | instskip(NEXT) | instid1(VALU_DEP_1)
	v_subrev_nc_u32_e32 v57, 28, v56
	v_lshlrev_b64_e32 v[62:63], v57, v[66:67]
	s_delay_alu instid0(VALU_DEP_1)
	v_dual_sub_nc_u32 v56, 29, v56 :: v_dual_bitop2_b32 v66, 7, v62 bitop3:0x40
; %bb.471:                              ;   in Loop: Header=BB219_10 Depth=1
	s_or_b32 exec_lo, exec_lo, s30
	s_delay_alu instid0(VALU_DEP_1) | instskip(NEXT) | instid1(VALU_DEP_2)
	v_dual_lshlrev_b32 v57, 16, v60 :: v_dual_lshlrev_b32 v61, 20, v66
	v_lshl_add_u32 v56, v56, 23, 0x3c000000
	s_delay_alu instid0(VALU_DEP_2) | instskip(NEXT) | instid1(VALU_DEP_1)
	v_and_b32_e32 v57, 0x80000000, v57
	v_or3_b32 v57, v61, v57, v56
	v_mov_b32_e32 v56, v67
.LBB219_472:                            ;   in Loop: Header=BB219_10 Depth=1
	s_or_b32 exec_lo, exec_lo, s29
.LBB219_473:                            ;   in Loop: Header=BB219_10 Depth=1
	s_delay_alu instid0(SALU_CYCLE_1)
	s_or_b32 exec_lo, exec_lo, s23
.LBB219_474:                            ;   in Loop: Header=BB219_10 Depth=1
	s_delay_alu instid0(SALU_CYCLE_1) | instskip(SKIP_4) | instid1(VALU_DEP_3)
	s_or_b32 exec_lo, exec_lo, s22
	v_lshrrev_b32_e32 v61, 16, v60
	v_mov_b64_e32 v[62:63], 0
	v_mov_b64_e32 v[64:65], 0
	s_mov_b32 s22, exec_lo
	v_and_b32_e32 v66, 0xff, v61
	s_delay_alu instid0(VALU_DEP_1)
	v_cmpx_ne_u16_e32 0, v66
	s_cbranch_execz .LBB219_482
; %bb.475:                              ;   in Loop: Header=BB219_10 Depth=1
	v_mov_b64_e32 v[64:65], 0x80000000
	s_mov_b32 s23, exec_lo
	v_cmpx_ne_u16_e32 0x80, v66
	s_cbranch_execz .LBB219_481
; %bb.476:                              ;   in Loop: Header=BB219_10 Depth=1
	v_mov_b64_e32 v[64:65], 0x7f800001
	v_bfe_u32 v74, v60, 16, 7
	s_mov_b32 s29, exec_lo
	s_delay_alu instid0(VALU_DEP_1)
	v_cmpx_ne_u32_e32 0x7f, v74
	s_cbranch_execz .LBB219_480
; %bb.477:                              ;   in Loop: Header=BB219_10 Depth=1
	v_dual_lshrrev_b32 v64, 3, v74 :: v_dual_bitop2_b32 v66, 7, v61 bitop3:0x40
	s_mov_b32 s30, exec_lo
	v_cmpx_gt_u32_e32 8, v74
; %bb.478:                              ;   in Loop: Header=BB219_10 Depth=1
	s_delay_alu instid0(VALU_DEP_2) | instskip(NEXT) | instid1(VALU_DEP_1)
	v_clz_i32_u32_e32 v64, v66
	v_min_u32_e32 v64, 32, v64
	s_delay_alu instid0(VALU_DEP_1) | instskip(NEXT) | instid1(VALU_DEP_1)
	v_subrev_nc_u32_e32 v65, 28, v64
	v_lshlrev_b64_e32 v[74:75], v65, v[66:67]
	s_delay_alu instid0(VALU_DEP_1)
	v_dual_sub_nc_u32 v64, 29, v64 :: v_dual_bitop2_b32 v66, 7, v74 bitop3:0x40
; %bb.479:                              ;   in Loop: Header=BB219_10 Depth=1
	s_or_b32 exec_lo, exec_lo, s30
	s_delay_alu instid0(VALU_DEP_1) | instskip(NEXT) | instid1(VALU_DEP_2)
	v_dual_lshlrev_b32 v61, 24, v61 :: v_dual_lshlrev_b32 v65, 20, v66
	v_lshl_add_u32 v64, v64, 23, 0x3c000000
	s_delay_alu instid0(VALU_DEP_2) | instskip(NEXT) | instid1(VALU_DEP_1)
	v_and_b32_e32 v61, 0x80000000, v61
	v_or3_b32 v66, v65, v61, v64
	s_delay_alu instid0(VALU_DEP_1)
	v_mov_b64_e32 v[64:65], v[66:67]
.LBB219_480:                            ;   in Loop: Header=BB219_10 Depth=1
	s_or_b32 exec_lo, exec_lo, s29
.LBB219_481:                            ;   in Loop: Header=BB219_10 Depth=1
	s_delay_alu instid0(SALU_CYCLE_1)
	s_or_b32 exec_lo, exec_lo, s23
.LBB219_482:                            ;   in Loop: Header=BB219_10 Depth=1
	s_delay_alu instid0(SALU_CYCLE_1) | instskip(NEXT) | instid1(SALU_CYCLE_1)
	s_or_b32 exec_lo, exec_lo, s22
	s_mov_b32 s22, exec_lo
	v_cmpx_lt_u32_e32 0xffffff, v60
	s_cbranch_execz .LBB219_490
; %bb.483:                              ;   in Loop: Header=BB219_10 Depth=1
	v_mov_b64_e32 v[62:63], 0x8000000000000000
	v_lshrrev_b32_e32 v61, 24, v60
	s_mov_b32 s23, exec_lo
	s_delay_alu instid0(VALU_DEP_1)
	v_cmpx_ne_u32_e32 0x80, v61
	s_cbranch_execz .LBB219_489
; %bb.484:                              ;   in Loop: Header=BB219_10 Depth=1
	v_mov_b64_e32 v[62:63], 0x7f80000100000000
	v_bfe_u32 v74, v60, 24, 7
	s_mov_b32 s29, exec_lo
	s_delay_alu instid0(VALU_DEP_1)
	v_cmpx_ne_u32_e32 0x7f, v74
	s_cbranch_execz .LBB219_488
; %bb.485:                              ;   in Loop: Header=BB219_10 Depth=1
	v_dual_lshrrev_b32 v60, 3, v74 :: v_dual_bitop2_b32 v66, 7, v61 bitop3:0x40
	s_mov_b32 s30, exec_lo
	v_cmpx_gt_u32_e32 8, v74
; %bb.486:                              ;   in Loop: Header=BB219_10 Depth=1
	s_delay_alu instid0(VALU_DEP_2) | instskip(NEXT) | instid1(VALU_DEP_1)
	v_clz_i32_u32_e32 v60, v66
	v_min_u32_e32 v60, 32, v60
	s_delay_alu instid0(VALU_DEP_1) | instskip(NEXT) | instid1(VALU_DEP_1)
	v_subrev_nc_u32_e32 v62, 28, v60
	v_lshlrev_b64_e32 v[62:63], v62, v[66:67]
	s_delay_alu instid0(VALU_DEP_1)
	v_dual_sub_nc_u32 v60, 29, v60 :: v_dual_bitop2_b32 v66, 7, v62 bitop3:0x40
; %bb.487:                              ;   in Loop: Header=BB219_10 Depth=1
	s_or_b32 exec_lo, exec_lo, s30
	s_delay_alu instid0(VALU_DEP_1) | instskip(NEXT) | instid1(VALU_DEP_2)
	v_dual_lshlrev_b32 v61, 24, v61 :: v_dual_lshlrev_b32 v62, 20, v66
	v_lshl_add_u32 v60, v60, 23, 0x3c000000
	s_delay_alu instid0(VALU_DEP_2) | instskip(NEXT) | instid1(VALU_DEP_1)
	v_and_b32_e32 v61, 0x80000000, v61
	v_or3_b32 v63, v62, v61, v60
	v_mov_b32_e32 v62, v67
.LBB219_488:                            ;   in Loop: Header=BB219_10 Depth=1
	s_or_b32 exec_lo, exec_lo, s29
.LBB219_489:                            ;   in Loop: Header=BB219_10 Depth=1
	s_delay_alu instid0(SALU_CYCLE_1)
	s_or_b32 exec_lo, exec_lo, s23
.LBB219_490:                            ;   in Loop: Header=BB219_10 Depth=1
	s_delay_alu instid0(SALU_CYCLE_1)
	s_or_b32 exec_lo, exec_lo, s22
	global_load_b32 v76, v[84:85], off offset:1548
	v_mov_b64_e32 v[60:61], 0
	s_wait_xcnt 0x0
	v_mov_b64_e32 v[84:85], 0
	s_mov_b32 s22, exec_lo
	s_wait_loadcnt 0x0
	v_and_b32_e32 v66, 0xff, v76
	s_delay_alu instid0(VALU_DEP_1)
	v_cmpx_ne_u16_e32 0, v66
	s_cbranch_execz .LBB219_498
; %bb.491:                              ;   in Loop: Header=BB219_10 Depth=1
	v_mov_b64_e32 v[84:85], 0x80000000
	s_mov_b32 s23, exec_lo
	v_cmpx_ne_u16_e32 0x80, v66
	s_cbranch_execz .LBB219_497
; %bb.492:                              ;   in Loop: Header=BB219_10 Depth=1
	v_mov_b64_e32 v[84:85], 0x7f800001
	v_and_b32_e32 v75, 0x7f, v76
	s_mov_b32 s29, exec_lo
	s_delay_alu instid0(VALU_DEP_1)
	v_cmpx_ne_u32_e32 0x7f, v75
	s_cbranch_execz .LBB219_496
; %bb.493:                              ;   in Loop: Header=BB219_10 Depth=1
	v_dual_lshrrev_b32 v74, 3, v75 :: v_dual_bitop2_b32 v66, 7, v76 bitop3:0x40
	s_mov_b32 s30, exec_lo
	v_cmpx_gt_u32_e32 8, v75
; %bb.494:                              ;   in Loop: Header=BB219_10 Depth=1
	s_delay_alu instid0(VALU_DEP_2) | instskip(NEXT) | instid1(VALU_DEP_1)
	v_clz_i32_u32_e32 v74, v66
	v_min_u32_e32 v74, 32, v74
	s_delay_alu instid0(VALU_DEP_1) | instskip(SKIP_1) | instid1(VALU_DEP_2)
	v_subrev_nc_u32_e32 v75, 28, v74
	v_sub_nc_u32_e32 v74, 29, v74
	v_lshlrev_b64_e32 v[78:79], v75, v[66:67]
	s_delay_alu instid0(VALU_DEP_1)
	v_and_b32_e32 v66, 7, v78
; %bb.495:                              ;   in Loop: Header=BB219_10 Depth=1
	s_or_b32 exec_lo, exec_lo, s30
	s_delay_alu instid0(VALU_DEP_1) | instskip(SKIP_1) | instid1(VALU_DEP_2)
	v_dual_lshlrev_b32 v75, 24, v76 :: v_dual_lshlrev_b32 v66, 20, v66
	v_lshl_add_u32 v74, v74, 23, 0x3c000000
	v_and_b32_e32 v75, 0x80000000, v75
	s_delay_alu instid0(VALU_DEP_1) | instskip(NEXT) | instid1(VALU_DEP_1)
	v_or3_b32 v66, v66, v75, v74
	v_mov_b64_e32 v[84:85], v[66:67]
.LBB219_496:                            ;   in Loop: Header=BB219_10 Depth=1
	s_or_b32 exec_lo, exec_lo, s29
.LBB219_497:                            ;   in Loop: Header=BB219_10 Depth=1
	s_delay_alu instid0(SALU_CYCLE_1)
	s_or_b32 exec_lo, exec_lo, s23
.LBB219_498:                            ;   in Loop: Header=BB219_10 Depth=1
	s_delay_alu instid0(SALU_CYCLE_1) | instskip(SKIP_2) | instid1(VALU_DEP_1)
	s_or_b32 exec_lo, exec_lo, s22
	v_lshrrev_b16 v66, 8, v76
	s_mov_b32 s22, exec_lo
	v_cmpx_ne_u16_e32 0, v66
	s_cbranch_execz .LBB219_506
; %bb.499:                              ;   in Loop: Header=BB219_10 Depth=1
	v_mov_b64_e32 v[60:61], 0x8000000000000000
	s_mov_b32 s23, exec_lo
	v_cmpx_ne_u16_e32 0x80, v66
	s_cbranch_execz .LBB219_505
; %bb.500:                              ;   in Loop: Header=BB219_10 Depth=1
	v_and_b32_e32 v66, 0xffff, v66
	v_mov_b64_e32 v[60:61], 0x7f80000100000000
	s_mov_b32 s29, exec_lo
	s_delay_alu instid0(VALU_DEP_2) | instskip(NEXT) | instid1(VALU_DEP_1)
	v_and_b32_e32 v74, 0x7f, v66
	v_cmpx_ne_u32_e32 0x7f, v74
	s_cbranch_execz .LBB219_504
; %bb.501:                              ;   in Loop: Header=BB219_10 Depth=1
	v_and_b32_e32 v66, 7, v66
	v_lshrrev_b32_e32 v60, 3, v74
	s_mov_b32 s30, exec_lo
	v_cmpx_gt_u32_e32 8, v74
; %bb.502:                              ;   in Loop: Header=BB219_10 Depth=1
	s_delay_alu instid0(VALU_DEP_3) | instskip(NEXT) | instid1(VALU_DEP_1)
	v_clz_i32_u32_e32 v60, v66
	v_min_u32_e32 v60, 32, v60
	s_delay_alu instid0(VALU_DEP_1) | instskip(NEXT) | instid1(VALU_DEP_1)
	v_subrev_nc_u32_e32 v61, 28, v60
	v_lshlrev_b64_e32 v[74:75], v61, v[66:67]
	s_delay_alu instid0(VALU_DEP_1)
	v_dual_sub_nc_u32 v60, 29, v60 :: v_dual_bitop2_b32 v66, 7, v74 bitop3:0x40
; %bb.503:                              ;   in Loop: Header=BB219_10 Depth=1
	s_or_b32 exec_lo, exec_lo, s30
	s_delay_alu instid0(VALU_DEP_1) | instskip(NEXT) | instid1(VALU_DEP_2)
	v_dual_lshlrev_b32 v61, 16, v76 :: v_dual_lshlrev_b32 v66, 20, v66
	v_lshl_add_u32 v60, v60, 23, 0x3c000000
	s_delay_alu instid0(VALU_DEP_2) | instskip(NEXT) | instid1(VALU_DEP_1)
	v_and_b32_e32 v61, 0x80000000, v61
	v_or3_b32 v61, v66, v61, v60
	v_mov_b32_e32 v60, v67
.LBB219_504:                            ;   in Loop: Header=BB219_10 Depth=1
	s_or_b32 exec_lo, exec_lo, s29
.LBB219_505:                            ;   in Loop: Header=BB219_10 Depth=1
	s_delay_alu instid0(SALU_CYCLE_1)
	s_or_b32 exec_lo, exec_lo, s23
.LBB219_506:                            ;   in Loop: Header=BB219_10 Depth=1
	s_delay_alu instid0(SALU_CYCLE_1) | instskip(SKIP_4) | instid1(VALU_DEP_3)
	s_or_b32 exec_lo, exec_lo, s22
	v_lshrrev_b32_e32 v77, 16, v76
	v_mov_b64_e32 v[74:75], 0
	v_mov_b64_e32 v[78:79], 0
	s_mov_b32 s22, exec_lo
	v_and_b32_e32 v66, 0xff, v77
	s_delay_alu instid0(VALU_DEP_1)
	v_cmpx_ne_u16_e32 0, v66
	s_cbranch_execz .LBB219_514
; %bb.507:                              ;   in Loop: Header=BB219_10 Depth=1
	v_mov_b64_e32 v[78:79], 0x80000000
	s_mov_b32 s23, exec_lo
	v_cmpx_ne_u16_e32 0x80, v66
	s_cbranch_execz .LBB219_513
; %bb.508:                              ;   in Loop: Header=BB219_10 Depth=1
	v_mov_b64_e32 v[78:79], 0x7f800001
	v_bfe_u32 v88, v76, 16, 7
	s_mov_b32 s29, exec_lo
	s_delay_alu instid0(VALU_DEP_1)
	v_cmpx_ne_u32_e32 0x7f, v88
	s_cbranch_execz .LBB219_512
; %bb.509:                              ;   in Loop: Header=BB219_10 Depth=1
	v_dual_lshrrev_b32 v78, 3, v88 :: v_dual_bitop2_b32 v66, 7, v77 bitop3:0x40
	s_mov_b32 s30, exec_lo
	v_cmpx_gt_u32_e32 8, v88
; %bb.510:                              ;   in Loop: Header=BB219_10 Depth=1
	s_delay_alu instid0(VALU_DEP_2) | instskip(NEXT) | instid1(VALU_DEP_1)
	v_clz_i32_u32_e32 v78, v66
	v_min_u32_e32 v78, 32, v78
	s_delay_alu instid0(VALU_DEP_1) | instskip(NEXT) | instid1(VALU_DEP_1)
	v_subrev_nc_u32_e32 v79, 28, v78
	v_lshlrev_b64_e32 v[88:89], v79, v[66:67]
	s_delay_alu instid0(VALU_DEP_1)
	v_dual_sub_nc_u32 v78, 29, v78 :: v_dual_bitop2_b32 v66, 7, v88 bitop3:0x40
; %bb.511:                              ;   in Loop: Header=BB219_10 Depth=1
	s_or_b32 exec_lo, exec_lo, s30
	s_delay_alu instid0(VALU_DEP_1) | instskip(NEXT) | instid1(VALU_DEP_2)
	v_dual_lshlrev_b32 v77, 24, v77 :: v_dual_lshlrev_b32 v66, 20, v66
	v_lshl_add_u32 v78, v78, 23, 0x3c000000
	s_delay_alu instid0(VALU_DEP_2) | instskip(NEXT) | instid1(VALU_DEP_1)
	v_and_b32_e32 v77, 0x80000000, v77
	v_or3_b32 v66, v66, v77, v78
	s_delay_alu instid0(VALU_DEP_1)
	v_mov_b64_e32 v[78:79], v[66:67]
.LBB219_512:                            ;   in Loop: Header=BB219_10 Depth=1
	s_or_b32 exec_lo, exec_lo, s29
.LBB219_513:                            ;   in Loop: Header=BB219_10 Depth=1
	s_delay_alu instid0(SALU_CYCLE_1)
	s_or_b32 exec_lo, exec_lo, s23
.LBB219_514:                            ;   in Loop: Header=BB219_10 Depth=1
	s_delay_alu instid0(SALU_CYCLE_1) | instskip(NEXT) | instid1(SALU_CYCLE_1)
	s_or_b32 exec_lo, exec_lo, s22
	s_mov_b32 s22, exec_lo
	v_cmpx_lt_u32_e32 0xffffff, v76
	s_cbranch_execz .LBB219_9
; %bb.515:                              ;   in Loop: Header=BB219_10 Depth=1
	v_mov_b64_e32 v[74:75], 0x8000000000000000
	v_lshrrev_b32_e32 v77, 24, v76
	s_mov_b32 s23, exec_lo
	s_delay_alu instid0(VALU_DEP_1)
	v_cmpx_ne_u32_e32 0x80, v77
	s_cbranch_execz .LBB219_8
; %bb.516:                              ;   in Loop: Header=BB219_10 Depth=1
	v_mov_b64_e32 v[74:75], 0x7f80000100000000
	v_bfe_u32 v76, v76, 24, 7
	s_mov_b32 s29, exec_lo
	s_delay_alu instid0(VALU_DEP_1)
	v_cmpx_ne_u32_e32 0x7f, v76
	s_cbranch_execz .LBB219_7
; %bb.517:                              ;   in Loop: Header=BB219_10 Depth=1
	v_dual_lshrrev_b32 v74, 3, v76 :: v_dual_bitop2_b32 v66, 7, v77 bitop3:0x40
	s_mov_b32 s30, exec_lo
	v_cmpx_gt_u32_e32 8, v76
	s_cbranch_execz .LBB219_6
; %bb.518:                              ;   in Loop: Header=BB219_10 Depth=1
	s_delay_alu instid0(VALU_DEP_2) | instskip(NEXT) | instid1(VALU_DEP_1)
	v_clz_i32_u32_e32 v74, v66
	v_min_u32_e32 v74, 32, v74
	s_delay_alu instid0(VALU_DEP_1) | instskip(NEXT) | instid1(VALU_DEP_1)
	v_subrev_nc_u32_e32 v75, 28, v74
	v_lshlrev_b64_e32 v[88:89], v75, v[66:67]
	s_delay_alu instid0(VALU_DEP_1)
	v_dual_sub_nc_u32 v74, 29, v74 :: v_dual_bitop2_b32 v66, 7, v88 bitop3:0x40
	s_branch .LBB219_6
.LBB219_519:
	s_or_b32 exec_lo, exec_lo, s5
	s_clause 0x1
	scratch_load_b32 v26, off, off offset:324
	scratch_load_b32 v8, off, off offset:328
.LBB219_520:
	s_wait_xcnt 0x0
	s_or_b32 exec_lo, exec_lo, s28
	v_mbcnt_lo_u32_b32 v2, -1, 0
	s_clause 0x1
	s_load_b64 s[4:5], s[0:1], 0x0
	s_load_b64 s[18:19], s[0:1], 0x18
	s_delay_alu instid0(VALU_DEP_1) | instskip(SKIP_1) | instid1(VALU_DEP_2)
	v_dual_max_num_f32 v4, v72, v72 :: v_dual_bitop2_b32 v0, 16, v2 bitop3:0x14
	v_xor_b32_e32 v3, 8, v2
	v_cmp_gt_i32_e32 vcc_lo, 32, v0
	v_cndmask_b32_e32 v0, v2, v0, vcc_lo
	s_delay_alu instid0(VALU_DEP_3) | instskip(NEXT) | instid1(VALU_DEP_2)
	v_cmp_gt_i32_e32 vcc_lo, 32, v3
	v_dual_cndmask_b32 v3, v2, v3 :: v_dual_lshlrev_b32 v0, 2, v0
	ds_bpermute_b32 v1, v0, v72
	s_wait_dscnt 0x0
	v_dual_max_num_f32 v5, v1, v1 :: v_dual_lshlrev_b32 v1, 2, v3
	s_delay_alu instid0(VALU_DEP_1) | instskip(SKIP_4) | instid1(VALU_DEP_1)
	v_dual_max_num_f32 v3, v4, v5 :: v_dual_bitop2_b32 v5, 4, v2 bitop3:0x14
	ds_bpermute_b32 v4, v1, v3
	v_cmp_gt_i32_e32 vcc_lo, 32, v5
	s_wait_dscnt 0x0
	v_dual_cndmask_b32 v5, v2, v5 :: v_dual_max_num_f32 v4, v4, v4
	v_dual_max_num_f32 v3, v3, v4 :: v_dual_lshlrev_b32 v96, 2, v5
	ds_bpermute_b32 v4, v96, v3
	s_wait_dscnt 0x0
	v_dual_max_num_f32 v4, v4, v4 :: v_dual_bitop2_b32 v5, 2, v2 bitop3:0x14
	s_delay_alu instid0(VALU_DEP_1) | instskip(NEXT) | instid1(VALU_DEP_2)
	v_cmp_gt_i32_e32 vcc_lo, 32, v5
	v_dual_max_num_f32 v3, v3, v4 :: v_dual_cndmask_b32 v5, v2, v5, vcc_lo
	s_delay_alu instid0(VALU_DEP_1) | instskip(SKIP_3) | instid1(VALU_DEP_1)
	v_dual_lshlrev_b32 v95, 2, v5 :: v_dual_bitop2_b32 v5, 1, v2 bitop3:0x14
	ds_bpermute_b32 v4, v95, v3
	v_cmp_gt_i32_e32 vcc_lo, 32, v5
	v_cndmask_b32_e32 v2, v2, v5, vcc_lo
	v_lshlrev_b32_e32 v94, 2, v2
	scratch_load_b32 v2, off, off offset:316 ; 4-byte Folded Reload
	s_wait_dscnt 0x0
	v_max_num_f32_e32 v4, v4, v4
	s_delay_alu instid0(VALU_DEP_1)
	v_max_num_f32_e32 v3, v3, v4
	ds_bpermute_b32 v4, v94, v3
	s_wait_loadcnt 0x0
	v_cmp_eq_u32_e32 vcc_lo, 0, v2
	scratch_load_b32 v2, off, off offset:320 ; 4-byte Folded Reload
	s_wait_loadcnt 0x0
	v_lshlrev_b32_e32 v2, 2, v2
	s_wait_xcnt 0x0
	s_and_saveexec_b32 s0, vcc_lo
	s_cbranch_execz .LBB219_522
; %bb.521:
	s_wait_dscnt 0x0
	v_dual_max_num_f32 v4, v4, v4 :: v_dual_max_num_f32 v3, v3, v3
	s_delay_alu instid0(VALU_DEP_1)
	v_max_num_f32_e32 v3, v3, v4
	ds_store_b32 v2, v3 offset:256
.LBB219_522:
	s_or_b32 exec_lo, exec_lo, s0
	scratch_load_b32 v3, off, off offset:316 ; 4-byte Folded Reload
	s_wait_storecnt 0x0
	s_wait_loadcnt_dscnt 0x0
	s_barrier_signal -1
	s_barrier_wait -1
	v_cmp_gt_u32_e64 s0, 4, v3
	v_mov_b32_e32 v3, 0xff7fffff
	s_and_saveexec_b32 s1, s0
; %bb.523:
	ds_load_b32 v3, v8 offset:256
; %bb.524:
	s_or_b32 exec_lo, exec_lo, s1
	scratch_load_b32 v5, off, off offset:312 ; 4-byte Folded Reload
	s_wait_dscnt 0x0
	ds_bpermute_b32 v4, v95, v3
	v_max_num_f32_e32 v3, v3, v3
	s_lshl_b32 s1, s13, 5
	s_delay_alu instid0(SALU_CYCLE_1) | instskip(SKIP_2) | instid1(VALU_DEP_1)
	s_min_i32 s11, s1, s27
	s_wait_dscnt 0x0
	v_max_num_f32_e32 v4, v4, v4
	v_max_num_f32_e32 v3, v3, v4
	ds_bpermute_b32 v4, v94, v3
	s_wait_dscnt 0x0
	v_max_num_f32_e32 v4, v4, v4
	s_delay_alu instid0(VALU_DEP_1)
	v_dual_max_num_f32 v4, v3, v4 :: v_dual_mov_b32 v3, 0
	ds_bpermute_b32 v4, v3, v4
	s_wait_loadcnt 0x0
	v_cmp_gt_i32_e64 s1, s11, v5
	s_and_saveexec_b32 s20, s1
	s_cbranch_execz .LBB219_528
; %bb.525:
	scratch_load_b32 v6, off, off offset:312 ; 4-byte Folded Reload
	v_mov_b32_e32 v3, 0
	s_mov_b32 s21, 0
	s_wait_loadcnt 0x0
	v_lshl_add_u32 v5, v6, 2, 0x120
.LBB219_526:                            ; =>This Inner Loop Header: Depth=1
	ds_load_b32 v7, v5
	v_add_nc_u32_e32 v6, 0x80, v6
	s_delay_alu instid0(VALU_DEP_1) | instskip(SKIP_3) | instid1(VALU_DEP_1)
	v_cmp_le_i32_e64 s3, s11, v6
	s_or_b32 s21, s3, s21
	s_wait_dscnt 0x0
	v_sub_f32_e32 v7, v7, v4
	v_mul_f32_e32 v7, 0x3fb8aa3b, v7
	s_delay_alu instid0(VALU_DEP_1)
	v_exp_f32_e32 v7, v7
	ds_store_b32 v5, v7
	v_nop
	v_add_f32_e32 v3, v3, v7
	v_add_nc_u32_e32 v5, 0x200, v5
	s_and_not1_b32 exec_lo, exec_lo, s21
	s_cbranch_execnz .LBB219_526
; %bb.527:
	s_or_b32 exec_lo, exec_lo, s21
.LBB219_528:
	s_delay_alu instid0(SALU_CYCLE_1)
	s_or_b32 exec_lo, exec_lo, s20
	ds_bpermute_b32 v0, v0, v3
	s_wait_dscnt 0x0
	v_add_f32_e32 v0, v3, v0
	ds_bpermute_b32 v1, v1, v0
	s_wait_dscnt 0x0
	v_add_f32_e32 v0, v0, v1
	;; [unrolled: 3-line block ×5, first 2 shown]
	s_and_saveexec_b32 s3, vcc_lo
; %bb.529:
	ds_store_b32 v2, v0 offset:272
; %bb.530:
	s_or_b32 exec_lo, exec_lo, s3
	s_wait_dscnt 0x0
	s_barrier_signal -1
	s_barrier_wait -1
	s_and_saveexec_b32 s3, s0
; %bb.531:
	ds_load_b32 v0, v8 offset:272
; %bb.532:
	s_or_b32 exec_lo, exec_lo, s3
	s_wait_dscnt 0x0
	ds_bpermute_b32 v1, v95, v0
	s_wait_dscnt 0x0
	v_dual_mov_b32 v7, 0 :: v_dual_add_f32 v0, v0, v1
	ds_bpermute_b32 v1, v94, v0
	s_wait_dscnt 0x0
	v_add_f32_e32 v0, v0, v1
	ds_bpermute_b32 v0, v7, v0
	s_and_saveexec_b32 s0, s1
	s_cbranch_execz .LBB219_545
; %bb.533:
	s_wait_dscnt 0x0
	v_add_f32_e32 v0, 0x358637bd, v0
	s_mov_b32 s3, -1
	s_mov_b32 s1, exec_lo
	s_delay_alu instid0(VALU_DEP_1) | instskip(NEXT) | instid1(VALU_DEP_1)
	v_div_scale_f32 v1, null, v0, v0, 1.0
	v_rcp_f32_e32 v3, v1
	v_nop
	s_delay_alu instid0(TRANS32_DEP_1) | instskip(NEXT) | instid1(VALU_DEP_1)
	v_fma_f32 v2, -v1, v3, 1.0
	v_fmac_f32_e32 v3, v2, v3
	v_div_scale_f32 v4, vcc_lo, 1.0, v0, 1.0
	s_delay_alu instid0(VALU_DEP_1) | instskip(NEXT) | instid1(VALU_DEP_1)
	v_mul_f32_e32 v5, v4, v3
	v_fma_f32 v2, -v1, v5, v4
	s_delay_alu instid0(VALU_DEP_1) | instskip(NEXT) | instid1(VALU_DEP_1)
	v_fmac_f32_e32 v5, v2, v3
	v_fma_f32 v1, -v1, v5, v4
	scratch_load_b32 v4, off, off offset:312 ; 4-byte Folded Reload
	v_div_fmas_f32 v1, v1, v3, v5
	s_delay_alu instid0(VALU_DEP_1) | instskip(SKIP_3) | instid1(VALU_DEP_2)
	v_div_fixup_f32 v0, v1, v0, 1.0
	s_wait_loadcnt 0x0
	v_xad_u32 v2, v4, -1, s11
	v_mov_b32_e32 v1, v4
	v_cmpx_lt_u32_e32 0x7f, v2
	s_cbranch_execz .LBB219_542
; %bb.534:
	v_dual_mov_b32 v1, v0 :: v_dual_lshrrev_b32 v2, 7, v2
	s_delay_alu instid0(VALU_DEP_1) | instskip(NEXT) | instid1(VALU_DEP_1)
	v_dual_mov_b32 v6, 0 :: v_dual_add_nc_u32 v3, -1, v2
	v_lshrrev_b32_e32 v4, 1, v3
	v_cmp_lt_u32_e32 vcc_lo, 13, v3
	s_delay_alu instid0(VALU_DEP_2)
	v_add_nc_u32_e32 v3, 1, v4
	s_and_saveexec_b32 s3, vcc_lo
	s_cbranch_execz .LBB219_538
; %bb.535:
	scratch_load_b32 v5, off, off offset:312 ; 4-byte Folded Reload
	v_and_b32_e32 v4, -8, v3
	s_mov_b32 s20, 0
	s_mov_b32 s21, 0
	s_wait_loadcnt 0x0
	v_lshl_add_u32 v5, v5, 2, 0x120
.LBB219_536:                            ; =>This Inner Loop Header: Depth=1
	ds_load_2addr_stride64_b32 v[8:9], v5 offset1:2
	ds_load_2addr_stride64_b32 v[10:11], v5 offset0:4 offset1:6
	ds_load_2addr_stride64_b32 v[12:13], v5 offset0:8 offset1:10
	;; [unrolled: 1-line block ×7, first 2 shown]
	s_add_co_i32 s21, s21, 16
	s_delay_alu instid0(SALU_CYCLE_1) | instskip(NEXT) | instid1(VALU_DEP_1)
	v_dual_add_nc_u32 v4, -8, v4 :: v_dual_mov_b32 v6, s21
	v_cmp_eq_u32_e32 vcc_lo, 0, v4
	s_or_b32 s20, vcc_lo, s20
	s_wait_dscnt 0x7
	v_pk_mul_f32 v[8:9], v[0:1], v[8:9]
	s_wait_dscnt 0x6
	v_pk_mul_f32 v[10:11], v[0:1], v[10:11]
	;; [unrolled: 2-line block ×8, first 2 shown]
	ds_store_2addr_stride64_b32 v5, v8, v9 offset1:2
	ds_store_2addr_stride64_b32 v5, v10, v11 offset0:4 offset1:6
	ds_store_2addr_stride64_b32 v5, v12, v13 offset0:8 offset1:10
	;; [unrolled: 1-line block ×7, first 2 shown]
	v_add_nc_u32_e32 v5, 0x2000, v5
	s_and_not1_b32 exec_lo, exec_lo, s20
	s_cbranch_execnz .LBB219_536
; %bb.537:
	s_or_b32 exec_lo, exec_lo, s20
.LBB219_538:
	s_delay_alu instid0(SALU_CYCLE_1) | instskip(NEXT) | instid1(VALU_DEP_1)
	s_or_b32 exec_lo, exec_lo, s3
	v_and_b32_e32 v3, 7, v3
	s_mov_b32 s20, 0
	s_mov_b32 s3, exec_lo
	s_delay_alu instid0(VALU_DEP_1)
	v_cmpx_ne_u32_e32 0, v3
	s_cbranch_execz .LBB219_541
; %bb.539:
	scratch_load_b32 v5, off, off offset:312 ; 4-byte Folded Reload
	s_wait_loadcnt 0x0
	v_dual_lshlrev_b32 v4, 9, v6 :: v_dual_lshlrev_b32 v5, 2, v5
	s_delay_alu instid0(VALU_DEP_1)
	v_add3_u32 v4, v4, v5, 0x120
.LBB219_540:                            ; =>This Inner Loop Header: Depth=1
	ds_load_2addr_stride64_b32 v[8:9], v4 offset1:2
	v_add_nc_u32_e32 v3, -1, v3
	s_delay_alu instid0(VALU_DEP_1)
	v_cmp_eq_u32_e32 vcc_lo, 0, v3
	s_or_b32 s20, vcc_lo, s20
	s_wait_dscnt 0x0
	v_pk_mul_f32 v[8:9], v[0:1], v[8:9]
	ds_store_2addr_stride64_b32 v4, v8, v9 offset1:2
	v_add_nc_u32_e32 v4, 0x400, v4
	s_and_not1_b32 exec_lo, exec_lo, s20
	s_cbranch_execnz .LBB219_540
.LBB219_541:
	s_or_b32 exec_lo, exec_lo, s3
	v_add_nc_u32_e32 v1, 1, v2
	s_delay_alu instid0(VALU_DEP_1) | instskip(NEXT) | instid1(VALU_DEP_1)
	v_and_b32_e32 v2, 0x3fffffe, v1
	v_cmp_ne_u32_e32 vcc_lo, v1, v2
	scratch_load_b32 v1, off, off offset:312 ; 4-byte Folded Reload
	s_or_not1_b32 s3, vcc_lo, exec_lo
	s_wait_loadcnt 0x0
	v_lshl_add_u32 v1, v2, 7, v1
.LBB219_542:
	s_or_b32 exec_lo, exec_lo, s1
	s_delay_alu instid0(SALU_CYCLE_1)
	s_and_b32 exec_lo, exec_lo, s3
	s_cbranch_execz .LBB219_545
; %bb.543:
	s_delay_alu instid0(VALU_DEP_1)
	v_lshl_add_u32 v2, v1, 2, 0x120
	s_mov_b32 s1, 0
.LBB219_544:                            ; =>This Inner Loop Header: Depth=1
	ds_load_b32 v3, v2
	v_add_nc_u32_e32 v1, 0x80, v1
	s_delay_alu instid0(VALU_DEP_1)
	v_cmp_le_i32_e32 vcc_lo, s11, v1
	s_or_b32 s1, vcc_lo, s1
	s_wait_dscnt 0x0
	v_mul_f32_e32 v3, v0, v3
	ds_store_b32 v2, v3
	v_add_nc_u32_e32 v2, 0x200, v2
	s_and_not1_b32 exec_lo, exec_lo, s1
	s_cbranch_execnz .LBB219_544
.LBB219_545:
	s_or_b32 exec_lo, exec_lo, s0
	s_wait_dscnt 0x0
	scratch_load_b32 v0, off, off offset:312 ; 4-byte Folded Reload
	v_dual_mov_b32 v9, 0 :: v_dual_mov_b32 v8, 0
	v_dual_mov_b32 v11, 0 :: v_dual_mov_b32 v10, 0
	;; [unrolled: 1-line block ×7, first 2 shown]
	s_wait_loadcnt 0x0
	s_barrier_signal -1
	s_barrier_wait -1
	v_dual_mov_b32 v6, 0 :: v_dual_bitop2_b32 v97, 7, v0 bitop3:0x40
	s_wait_xcnt 0x0
	s_and_saveexec_b32 s1, s2
	s_cbranch_execz .LBB219_1093
; %bb.546:
	scratch_load_b32 v100, off, off offset:320 ; 4-byte Folded Reload
	s_load_b32 s2, s[6:7], 0x0
	v_dual_mov_b32 v23, 0 :: v_dual_lshlrev_b32 v0, 2, v0
	s_ashr_i32 s11, s10, 31
	v_dual_lshlrev_b32 v1, 4, v97 :: v_dual_mov_b32 v7, 0
	s_delay_alu instid0(VALU_DEP_2)
	v_and_b32_e32 v22, 0x7c, v0
	s_wait_kmcnt 0x0
	s_add_nc_u64 s[10:11], s[18:19], s[10:11]
	s_lshl_b64 s[16:17], s[16:17], 2
	v_dual_mov_b32 v6, 0 :: v_dual_bitop2_b32 v0, 28, v0 bitop3:0x40
	v_add_nc_u64_e32 v[24:25], s[10:11], v[22:23]
	v_and_b32_e32 v22, 0x7c, v26
	s_add_nc_u64 s[10:11], s[14:15], s[16:17]
	v_dual_mov_b32 v9, 0 :: v_dual_mov_b32 v8, 0
	v_dual_mov_b32 v11, 0 :: v_dual_mov_b32 v13, 0
	s_delay_alu instid0(VALU_DEP_3)
	v_add_nc_u64_e32 v[26:27], s[10:11], v[22:23]
	v_dual_mov_b32 v12, 0 :: v_dual_mov_b32 v15, 0
	v_dual_mov_b32 v14, 0 :: v_dual_mov_b32 v17, 0
	v_dual_mov_b32 v16, 0 :: v_dual_mov_b32 v19, 0
	v_dual_mov_b32 v18, 0 :: v_dual_mov_b32 v21, 0
	v_mov_b32_e32 v20, 0
	s_mov_b32 s6, s9
	s_mov_b32 s3, s2
	s_add_co_i32 s7, s13, -1
	s_mov_b32 s10, s27
	s_mov_b32 s9, 0
	v_mov_b32_e32 v10, 0
	s_wait_loadcnt 0x0
	v_lshl_or_b32 v1, v100, 7, v1
	v_lshl_or_b32 v98, v100, 5, v0
	s_delay_alu instid0(VALU_DEP_2)
	v_add_nc_u32_e32 v99, 0x120, v1
	s_branch .LBB219_548
.LBB219_547:                            ;   in Loop: Header=BB219_548 Depth=1
	s_or_b32 exec_lo, exec_lo, s0
	s_wait_dscnt 0x0
	v_mul_f32_e32 v82, v2, v82
	v_dual_mul_f32 v22, v2, v86 :: v_dual_add_nc_u32 v100, 4, v100
	v_add_nc_u64_e32 v[26:27], 16, v[26:27]
	s_delay_alu instid0(VALU_DEP_3) | instskip(NEXT) | instid1(VALU_DEP_3)
	v_dual_mul_f32 v52, v2, v52 :: v_dual_fmac_f32 v82, v3, v83
	v_dual_fmac_f32 v22, v3, v87 :: v_dual_mul_f32 v78, v2, v78
	v_mul_f32_e32 v70, v2, v70
	v_cmp_le_i32_e32 vcc_lo, s13, v100
	s_delay_alu instid0(VALU_DEP_4) | instskip(NEXT) | instid1(VALU_DEP_4)
	v_fmac_f32_e32 v82, v4, v80
	v_dual_fmac_f32 v22, v4, v84 :: v_dual_mul_f32 v74, v2, v74
	v_dual_fmac_f32 v78, v3, v79 :: v_dual_mul_f32 v66, v2, v66
	s_delay_alu instid0(VALU_DEP_3) | instskip(SKIP_1) | instid1(VALU_DEP_3)
	v_fmac_f32_e32 v82, v5, v81
	s_or_b32 s9, vcc_lo, s9
	v_dual_fmac_f32 v74, v3, v75 :: v_dual_mul_f32 v56, v2, v56
	v_dual_mul_f32 v58, v2, v58 :: v_dual_fmac_f32 v52, v3, v53
	v_mul_f32_e32 v48, v2, v48
	s_delay_alu instid0(VALU_DEP_3) | instskip(NEXT) | instid1(VALU_DEP_3)
	v_dual_fmac_f32 v74, v4, v72 :: v_dual_fmac_f32 v56, v3, v57
	v_dual_fmac_f32 v58, v3, v59 :: v_dual_fmac_f32 v52, v4, v50
	s_delay_alu instid0(VALU_DEP_3) | instskip(NEXT) | instid1(VALU_DEP_3)
	v_fmac_f32_e32 v48, v3, v49
	v_fmac_f32_e32 v74, v5, v73
	s_delay_alu instid0(VALU_DEP_4) | instskip(NEXT) | instid1(VALU_DEP_3)
	v_dual_fmac_f32 v78, v4, v76 :: v_dual_fmac_f32 v56, v4, v54
	v_dual_fmac_f32 v58, v4, v0 :: v_dual_fmac_f32 v48, v4, v46
	s_delay_alu instid0(VALU_DEP_2) | instskip(SKIP_1) | instid1(VALU_DEP_3)
	v_dual_add_f32 v11, v11, v74 :: v_dual_fmac_f32 v78, v5, v77
	v_fmac_f32_e32 v22, v5, v85
	v_dual_fmac_f32 v58, v5, v1 :: v_dual_fmac_f32 v56, v5, v55
	s_delay_alu instid0(VALU_DEP_3) | instskip(NEXT) | instid1(VALU_DEP_3)
	v_dual_fmac_f32 v52, v5, v51 :: v_dual_add_f32 v8, v8, v78
	v_dual_fmac_f32 v70, v3, v71 :: v_dual_add_f32 v6, v6, v22
	v_dual_mul_f32 v22, v2, v62 :: v_dual_fmac_f32 v66, v3, v67
	v_add_f32_e32 v9, v9, v82
	v_pk_mul_f32 v[0:1], v[2:3], v[88:89]
	v_add_f32_e32 v15, v15, v58
	s_delay_alu instid0(VALU_DEP_4) | instskip(SKIP_3) | instid1(VALU_DEP_4)
	v_fmac_f32_e32 v22, v3, v63
	v_dual_fmac_f32 v66, v4, v64 :: v_dual_mul_f32 v30, v2, v30
	v_add_nc_u32_e32 v99, 0x200, v99
	v_add_nc_u32_e32 v98, 0x80, v98
	v_fmac_f32_e32 v22, v4, v60
	s_delay_alu instid0(VALU_DEP_4) | instskip(SKIP_2) | instid1(VALU_DEP_4)
	v_fmac_f32_e32 v66, v5, v65
	v_fmac_f32_e32 v70, v4, v68
	;; [unrolled: 1-line block ×4, first 2 shown]
	s_delay_alu instid0(VALU_DEP_4) | instskip(NEXT) | instid1(VALU_DEP_2)
	v_add_f32_e32 v13, v13, v66
	v_dual_fmac_f32 v70, v5, v69 :: v_dual_add_f32 v12, v12, v22
	v_dual_mul_f32 v22, v2, v44 :: v_dual_fmac_f32 v48, v5, v47
	v_add_f32_e32 v14, v14, v56
	s_delay_alu instid0(VALU_DEP_3) | instskip(NEXT) | instid1(VALU_DEP_3)
	v_dual_add_f32 v17, v17, v52 :: v_dual_add_f32 v10, v10, v70
	v_dual_fmac_f32 v22, v3, v45 :: v_dual_add_f32 v16, v16, v48
	s_delay_alu instid0(VALU_DEP_1) | instskip(NEXT) | instid1(VALU_DEP_1)
	v_dual_mul_f32 v40, v2, v40 :: v_dual_fmac_f32 v22, v4, v42
	v_dual_mul_f32 v36, v2, v36 :: v_dual_fmac_f32 v40, v3, v41
	s_delay_alu instid0(VALU_DEP_1) | instskip(SKIP_1) | instid1(VALU_DEP_3)
	v_dual_add_f32 v0, v1, v0 :: v_dual_fmac_f32 v36, v3, v37
	v_pk_mul_f32 v[2:3], v[4:5], v[32:33]
	v_dual_fmac_f32 v22, v5, v43 :: v_dual_fmac_f32 v40, v4, v38
	s_delay_alu instid0(VALU_DEP_3) | instskip(NEXT) | instid1(VALU_DEP_2)
	v_dual_fmac_f32 v36, v4, v34 :: v_dual_fmac_f32 v30, v4, v28
	v_dual_add_f32 v19, v19, v22 :: v_dual_add_f32 v0, v2, v0
	s_delay_alu instid0(VALU_DEP_3) | instskip(NEXT) | instid1(VALU_DEP_3)
	v_fmac_f32_e32 v40, v5, v39
	v_dual_fmac_f32 v36, v5, v35 :: v_dual_fmac_f32 v30, v5, v29
	s_delay_alu instid0(VALU_DEP_3) | instskip(NEXT) | instid1(VALU_DEP_3)
	v_add_f32_e32 v0, v3, v0
	v_add_f32_e32 v18, v18, v40
	s_delay_alu instid0(VALU_DEP_3) | instskip(NEXT) | instid1(VALU_DEP_3)
	v_dual_add_f32 v21, v21, v36 :: v_dual_add_f32 v20, v20, v30
	v_add_f32_e32 v7, v7, v0
	s_and_not1_b32 exec_lo, exec_lo, s9
	s_cbranch_execz .LBB219_1092
.LBB219_548:                            ; =>This Inner Loop Header: Depth=1
	global_load_b32 v0, v[26:27], off
	ds_load_b128 v[2:5], v99
	v_mov_b64_e32 v[28:29], 0
	s_mov_b32 s0, exec_lo
	s_wait_loadcnt 0x0
	v_mad_nc_i64_i32 v[32:33], v0, s6, v[24:25]
	v_mov_b64_e32 v[0:1], 0
	global_load_b32 v36, v[32:33], off
	s_wait_loadcnt 0x0
	v_and_b32_e32 v22, 0xff, v36
	s_delay_alu instid0(VALU_DEP_1)
	v_cmpx_ne_u16_e32 0, v22
	s_cbranch_execz .LBB219_556
; %bb.549:                              ;   in Loop: Header=BB219_548 Depth=1
	v_mov_b64_e32 v[28:29], 0x80000000
	s_mov_b32 s11, exec_lo
	v_cmpx_ne_u16_e32 0x80, v22
	s_cbranch_execz .LBB219_555
; %bb.550:                              ;   in Loop: Header=BB219_548 Depth=1
	v_mov_b64_e32 v[28:29], 0x7f800001
	v_and_b32_e32 v30, 0x7f, v36
	s_mov_b32 s14, exec_lo
	s_delay_alu instid0(VALU_DEP_1)
	v_cmpx_ne_u32_e32 0x7f, v30
	s_cbranch_execz .LBB219_554
; %bb.551:                              ;   in Loop: Header=BB219_548 Depth=1
	v_dual_lshrrev_b32 v28, 3, v30 :: v_dual_bitop2_b32 v22, 7, v36 bitop3:0x40
	s_mov_b32 s15, exec_lo
	v_cmpx_gt_u32_e32 8, v30
; %bb.552:                              ;   in Loop: Header=BB219_548 Depth=1
	s_delay_alu instid0(VALU_DEP_2) | instskip(NEXT) | instid1(VALU_DEP_1)
	v_clz_i32_u32_e32 v28, v22
	v_min_u32_e32 v28, 32, v28
	s_delay_alu instid0(VALU_DEP_1) | instskip(NEXT) | instid1(VALU_DEP_1)
	v_subrev_nc_u32_e32 v29, 28, v28
	v_lshlrev_b64_e32 v[30:31], v29, v[22:23]
	s_delay_alu instid0(VALU_DEP_1)
	v_dual_sub_nc_u32 v28, 29, v28 :: v_dual_bitop2_b32 v22, 7, v30 bitop3:0x40
; %bb.553:                              ;   in Loop: Header=BB219_548 Depth=1
	s_or_b32 exec_lo, exec_lo, s15
	s_delay_alu instid0(VALU_DEP_1) | instskip(NEXT) | instid1(VALU_DEP_2)
	v_dual_lshlrev_b32 v29, 24, v36 :: v_dual_lshlrev_b32 v22, 20, v22
	v_lshl_add_u32 v28, v28, 23, 0x3c000000
	s_delay_alu instid0(VALU_DEP_2) | instskip(NEXT) | instid1(VALU_DEP_1)
	v_and_b32_e32 v29, 0x80000000, v29
	v_or3_b32 v22, v22, v29, v28
	s_delay_alu instid0(VALU_DEP_1)
	v_mov_b64_e32 v[28:29], v[22:23]
.LBB219_554:                            ;   in Loop: Header=BB219_548 Depth=1
	s_or_b32 exec_lo, exec_lo, s14
.LBB219_555:                            ;   in Loop: Header=BB219_548 Depth=1
	s_delay_alu instid0(SALU_CYCLE_1)
	s_or_b32 exec_lo, exec_lo, s11
.LBB219_556:                            ;   in Loop: Header=BB219_548 Depth=1
	s_delay_alu instid0(SALU_CYCLE_1) | instskip(SKIP_2) | instid1(VALU_DEP_1)
	s_or_b32 exec_lo, exec_lo, s0
	v_lshrrev_b16 v22, 8, v36
	s_mov_b32 s0, exec_lo
	v_cmpx_ne_u16_e32 0, v22
	s_cbranch_execz .LBB219_564
; %bb.557:                              ;   in Loop: Header=BB219_548 Depth=1
	v_mov_b64_e32 v[0:1], 0x8000000000000000
	s_mov_b32 s11, exec_lo
	v_cmpx_ne_u16_e32 0x80, v22
	s_cbranch_execz .LBB219_563
; %bb.558:                              ;   in Loop: Header=BB219_548 Depth=1
	v_and_b32_e32 v22, 0xffff, v22
	v_mov_b64_e32 v[0:1], 0x7f80000100000000
	s_mov_b32 s14, exec_lo
	s_delay_alu instid0(VALU_DEP_2) | instskip(NEXT) | instid1(VALU_DEP_1)
	v_and_b32_e32 v30, 0x7f, v22
	v_cmpx_ne_u32_e32 0x7f, v30
	s_cbranch_execz .LBB219_562
; %bb.559:                              ;   in Loop: Header=BB219_548 Depth=1
	v_and_b32_e32 v22, 7, v22
	v_lshrrev_b32_e32 v0, 3, v30
	s_mov_b32 s15, exec_lo
	v_cmpx_gt_u32_e32 8, v30
; %bb.560:                              ;   in Loop: Header=BB219_548 Depth=1
	s_delay_alu instid0(VALU_DEP_3) | instskip(NEXT) | instid1(VALU_DEP_1)
	v_clz_i32_u32_e32 v0, v22
	v_min_u32_e32 v0, 32, v0
	s_delay_alu instid0(VALU_DEP_1) | instskip(NEXT) | instid1(VALU_DEP_1)
	v_subrev_nc_u32_e32 v1, 28, v0
	v_lshlrev_b64_e32 v[30:31], v1, v[22:23]
	s_delay_alu instid0(VALU_DEP_1)
	v_dual_sub_nc_u32 v0, 29, v0 :: v_dual_bitop2_b32 v22, 7, v30 bitop3:0x40
; %bb.561:                              ;   in Loop: Header=BB219_548 Depth=1
	s_or_b32 exec_lo, exec_lo, s15
	s_delay_alu instid0(VALU_DEP_1) | instskip(NEXT) | instid1(VALU_DEP_2)
	v_dual_lshlrev_b32 v1, 16, v36 :: v_dual_lshlrev_b32 v22, 20, v22
	v_lshl_add_u32 v0, v0, 23, 0x3c000000
	s_delay_alu instid0(VALU_DEP_2) | instskip(NEXT) | instid1(VALU_DEP_1)
	v_and_b32_e32 v1, 0x80000000, v1
	v_or3_b32 v1, v22, v1, v0
	v_mov_b32_e32 v0, v23
.LBB219_562:                            ;   in Loop: Header=BB219_548 Depth=1
	s_or_b32 exec_lo, exec_lo, s14
.LBB219_563:                            ;   in Loop: Header=BB219_548 Depth=1
	s_delay_alu instid0(SALU_CYCLE_1)
	s_or_b32 exec_lo, exec_lo, s11
.LBB219_564:                            ;   in Loop: Header=BB219_548 Depth=1
	s_delay_alu instid0(SALU_CYCLE_1) | instskip(SKIP_4) | instid1(VALU_DEP_3)
	s_or_b32 exec_lo, exec_lo, s0
	v_lshrrev_b32_e32 v37, 16, v36
	v_mov_b64_e32 v[30:31], 0
	v_mov_b64_e32 v[34:35], 0
	s_mov_b32 s0, exec_lo
	v_and_b32_e32 v22, 0xff, v37
	s_delay_alu instid0(VALU_DEP_1)
	v_cmpx_ne_u16_e32 0, v22
	s_cbranch_execz .LBB219_572
; %bb.565:                              ;   in Loop: Header=BB219_548 Depth=1
	v_mov_b64_e32 v[34:35], 0x80000000
	s_mov_b32 s11, exec_lo
	v_cmpx_ne_u16_e32 0x80, v22
	s_cbranch_execz .LBB219_571
; %bb.566:                              ;   in Loop: Header=BB219_548 Depth=1
	v_mov_b64_e32 v[34:35], 0x7f800001
	v_bfe_u32 v38, v36, 16, 7
	s_mov_b32 s14, exec_lo
	s_delay_alu instid0(VALU_DEP_1)
	v_cmpx_ne_u32_e32 0x7f, v38
	s_cbranch_execz .LBB219_570
; %bb.567:                              ;   in Loop: Header=BB219_548 Depth=1
	v_dual_lshrrev_b32 v34, 3, v38 :: v_dual_bitop2_b32 v22, 7, v37 bitop3:0x40
	s_mov_b32 s15, exec_lo
	v_cmpx_gt_u32_e32 8, v38
; %bb.568:                              ;   in Loop: Header=BB219_548 Depth=1
	s_delay_alu instid0(VALU_DEP_2) | instskip(NEXT) | instid1(VALU_DEP_1)
	v_clz_i32_u32_e32 v34, v22
	v_min_u32_e32 v34, 32, v34
	s_delay_alu instid0(VALU_DEP_1) | instskip(SKIP_1) | instid1(VALU_DEP_2)
	v_subrev_nc_u32_e32 v35, 28, v34
	v_sub_nc_u32_e32 v34, 29, v34
	v_lshlrev_b64_e32 v[38:39], v35, v[22:23]
	s_delay_alu instid0(VALU_DEP_1)
	v_and_b32_e32 v22, 7, v38
; %bb.569:                              ;   in Loop: Header=BB219_548 Depth=1
	s_or_b32 exec_lo, exec_lo, s15
	s_delay_alu instid0(VALU_DEP_1) | instskip(SKIP_1) | instid1(VALU_DEP_2)
	v_dual_lshlrev_b32 v35, 24, v37 :: v_dual_lshlrev_b32 v22, 20, v22
	v_lshl_add_u32 v34, v34, 23, 0x3c000000
	v_and_b32_e32 v35, 0x80000000, v35
	s_delay_alu instid0(VALU_DEP_1) | instskip(NEXT) | instid1(VALU_DEP_1)
	v_or3_b32 v22, v22, v35, v34
	v_mov_b64_e32 v[34:35], v[22:23]
.LBB219_570:                            ;   in Loop: Header=BB219_548 Depth=1
	s_or_b32 exec_lo, exec_lo, s14
.LBB219_571:                            ;   in Loop: Header=BB219_548 Depth=1
	s_delay_alu instid0(SALU_CYCLE_1)
	s_or_b32 exec_lo, exec_lo, s11
.LBB219_572:                            ;   in Loop: Header=BB219_548 Depth=1
	s_delay_alu instid0(SALU_CYCLE_1) | instskip(NEXT) | instid1(SALU_CYCLE_1)
	s_or_b32 exec_lo, exec_lo, s0
	s_mov_b32 s0, exec_lo
	v_cmpx_lt_u32_e32 0xffffff, v36
	s_cbranch_execz .LBB219_580
; %bb.573:                              ;   in Loop: Header=BB219_548 Depth=1
	v_mov_b64_e32 v[30:31], 0x8000000000000000
	v_lshrrev_b32_e32 v37, 24, v36
	s_mov_b32 s11, exec_lo
	s_delay_alu instid0(VALU_DEP_1)
	v_cmpx_ne_u32_e32 0x80, v37
	s_cbranch_execz .LBB219_579
; %bb.574:                              ;   in Loop: Header=BB219_548 Depth=1
	v_mov_b64_e32 v[30:31], 0x7f80000100000000
	v_bfe_u32 v36, v36, 24, 7
	s_mov_b32 s14, exec_lo
	s_delay_alu instid0(VALU_DEP_1)
	v_cmpx_ne_u32_e32 0x7f, v36
	s_cbranch_execz .LBB219_578
; %bb.575:                              ;   in Loop: Header=BB219_548 Depth=1
	v_dual_lshrrev_b32 v30, 3, v36 :: v_dual_bitop2_b32 v22, 7, v37 bitop3:0x40
	s_mov_b32 s15, exec_lo
	v_cmpx_gt_u32_e32 8, v36
; %bb.576:                              ;   in Loop: Header=BB219_548 Depth=1
	s_delay_alu instid0(VALU_DEP_2) | instskip(NEXT) | instid1(VALU_DEP_1)
	v_clz_i32_u32_e32 v30, v22
	v_min_u32_e32 v30, 32, v30
	s_delay_alu instid0(VALU_DEP_1) | instskip(SKIP_1) | instid1(VALU_DEP_2)
	v_subrev_nc_u32_e32 v31, 28, v30
	v_sub_nc_u32_e32 v30, 29, v30
	v_lshlrev_b64_e32 v[38:39], v31, v[22:23]
	s_delay_alu instid0(VALU_DEP_1)
	v_and_b32_e32 v22, 7, v38
; %bb.577:                              ;   in Loop: Header=BB219_548 Depth=1
	s_or_b32 exec_lo, exec_lo, s15
	s_delay_alu instid0(VALU_DEP_1) | instskip(SKIP_1) | instid1(VALU_DEP_2)
	v_dual_lshlrev_b32 v31, 24, v37 :: v_dual_lshlrev_b32 v22, 20, v22
	v_lshl_add_u32 v30, v30, 23, 0x3c000000
	v_and_b32_e32 v31, 0x80000000, v31
	s_delay_alu instid0(VALU_DEP_1)
	v_or3_b32 v31, v22, v31, v30
	v_mov_b32_e32 v30, v23
.LBB219_578:                            ;   in Loop: Header=BB219_548 Depth=1
	s_or_b32 exec_lo, exec_lo, s14
.LBB219_579:                            ;   in Loop: Header=BB219_548 Depth=1
	s_delay_alu instid0(SALU_CYCLE_1)
	s_or_b32 exec_lo, exec_lo, s11
.LBB219_580:                            ;   in Loop: Header=BB219_548 Depth=1
	s_delay_alu instid0(SALU_CYCLE_1)
	s_or_b32 exec_lo, exec_lo, s0
	v_dual_add_nc_u32 v101, 1, v98 :: v_dual_bitop2_b32 v1, v1, v29 bitop3:0x54
	v_dual_add_nc_u32 v93, 2, v98 :: v_dual_bitop2_b32 v0, v0, v28 bitop3:0x54
	v_mov_b64_e32 v[28:29], s[2:3]
	v_dual_add_nc_u32 v92, 3, v98 :: v_dual_bitop2_b32 v35, v31, v35 bitop3:0x54
	v_or_b32_e32 v34, v30, v34
	v_cmp_eq_u32_e32 vcc_lo, s7, v100
	s_delay_alu instid0(VALU_DEP_4) | instskip(NEXT) | instid1(VALU_DEP_3)
	v_pk_mul_f32 v[30:31], v[28:29], v[0:1]
	v_pk_mul_f32 v[28:29], v[28:29], v[34:35]
	s_and_saveexec_b32 s11, vcc_lo
	s_cbranch_execz .LBB219_582
; %bb.581:                              ;   in Loop: Header=BB219_548 Depth=1
	v_cmp_gt_i32_e64 s0, s27, v98
	s_delay_alu instid0(VALU_DEP_1) | instskip(SKIP_1) | instid1(VALU_DEP_1)
	v_cndmask_b32_e64 v30, 0, v30, s0
	v_cmp_gt_i32_e64 s0, s27, v101
	v_cndmask_b32_e64 v31, 0, v31, s0
	v_cmp_gt_i32_e64 s0, s27, v93
	s_delay_alu instid0(VALU_DEP_1) | instskip(SKIP_1) | instid1(VALU_DEP_1)
	v_cndmask_b32_e64 v28, 0, v28, s0
	v_cmp_gt_i32_e64 s0, s27, v92
	v_cndmask_b32_e64 v29, 0, v29, s0
.LBB219_582:                            ;   in Loop: Header=BB219_548 Depth=1
	s_or_b32 exec_lo, exec_lo, s11
	global_load_b32 v40, v[32:33], off offset:128
	v_mov_b64_e32 v[0:1], 0
	v_mov_b64_e32 v[34:35], 0
	s_mov_b32 s11, exec_lo
	s_wait_loadcnt 0x0
	v_and_b32_e32 v22, 0xff, v40
	s_delay_alu instid0(VALU_DEP_1)
	v_cmpx_ne_u16_e32 0, v22
	s_cbranch_execz .LBB219_590
; %bb.583:                              ;   in Loop: Header=BB219_548 Depth=1
	v_mov_b64_e32 v[34:35], 0x80000000
	s_mov_b32 s14, exec_lo
	v_cmpx_ne_u16_e32 0x80, v22
	s_cbranch_execz .LBB219_589
; %bb.584:                              ;   in Loop: Header=BB219_548 Depth=1
	v_mov_b64_e32 v[34:35], 0x7f800001
	v_and_b32_e32 v36, 0x7f, v40
	s_mov_b32 s15, exec_lo
	s_delay_alu instid0(VALU_DEP_1)
	v_cmpx_ne_u32_e32 0x7f, v36
	s_cbranch_execz .LBB219_588
; %bb.585:                              ;   in Loop: Header=BB219_548 Depth=1
	v_and_b32_e32 v22, 7, v40
	v_lshrrev_b32_e32 v34, 3, v36
	s_mov_b32 s16, exec_lo
	v_cmpx_gt_u32_e32 8, v36
; %bb.586:                              ;   in Loop: Header=BB219_548 Depth=1
	s_delay_alu instid0(VALU_DEP_3) | instskip(NEXT) | instid1(VALU_DEP_1)
	v_clz_i32_u32_e32 v34, v22
	v_min_u32_e32 v34, 32, v34
	s_delay_alu instid0(VALU_DEP_1) | instskip(NEXT) | instid1(VALU_DEP_1)
	v_subrev_nc_u32_e32 v35, 28, v34
	v_lshlrev_b64_e32 v[36:37], v35, v[22:23]
	s_delay_alu instid0(VALU_DEP_1)
	v_dual_sub_nc_u32 v34, 29, v34 :: v_dual_bitop2_b32 v22, 7, v36 bitop3:0x40
; %bb.587:                              ;   in Loop: Header=BB219_548 Depth=1
	s_or_b32 exec_lo, exec_lo, s16
	s_delay_alu instid0(VALU_DEP_1) | instskip(NEXT) | instid1(VALU_DEP_2)
	v_dual_lshlrev_b32 v35, 24, v40 :: v_dual_lshlrev_b32 v22, 20, v22
	v_lshl_add_u32 v34, v34, 23, 0x3c000000
	s_delay_alu instid0(VALU_DEP_2) | instskip(NEXT) | instid1(VALU_DEP_1)
	v_and_b32_e32 v35, 0x80000000, v35
	v_or3_b32 v22, v22, v35, v34
	s_delay_alu instid0(VALU_DEP_1)
	v_mov_b64_e32 v[34:35], v[22:23]
.LBB219_588:                            ;   in Loop: Header=BB219_548 Depth=1
	s_or_b32 exec_lo, exec_lo, s15
.LBB219_589:                            ;   in Loop: Header=BB219_548 Depth=1
	s_delay_alu instid0(SALU_CYCLE_1)
	s_or_b32 exec_lo, exec_lo, s14
.LBB219_590:                            ;   in Loop: Header=BB219_548 Depth=1
	s_delay_alu instid0(SALU_CYCLE_1) | instskip(SKIP_2) | instid1(VALU_DEP_1)
	s_or_b32 exec_lo, exec_lo, s11
	v_lshrrev_b16 v22, 8, v40
	s_mov_b32 s11, exec_lo
	v_cmpx_ne_u16_e32 0, v22
	s_cbranch_execz .LBB219_598
; %bb.591:                              ;   in Loop: Header=BB219_548 Depth=1
	v_mov_b64_e32 v[0:1], 0x8000000000000000
	s_mov_b32 s14, exec_lo
	v_cmpx_ne_u16_e32 0x80, v22
	s_cbranch_execz .LBB219_597
; %bb.592:                              ;   in Loop: Header=BB219_548 Depth=1
	v_and_b32_e32 v22, 0xffff, v22
	v_mov_b64_e32 v[0:1], 0x7f80000100000000
	s_mov_b32 s15, exec_lo
	s_delay_alu instid0(VALU_DEP_2) | instskip(NEXT) | instid1(VALU_DEP_1)
	v_and_b32_e32 v36, 0x7f, v22
	v_cmpx_ne_u32_e32 0x7f, v36
	s_cbranch_execz .LBB219_596
; %bb.593:                              ;   in Loop: Header=BB219_548 Depth=1
	v_dual_lshrrev_b32 v0, 3, v36 :: v_dual_bitop2_b32 v22, 7, v22 bitop3:0x40
	s_mov_b32 s16, exec_lo
	v_cmpx_gt_u32_e32 8, v36
; %bb.594:                              ;   in Loop: Header=BB219_548 Depth=1
	s_delay_alu instid0(VALU_DEP_2) | instskip(NEXT) | instid1(VALU_DEP_1)
	v_clz_i32_u32_e32 v0, v22
	v_min_u32_e32 v0, 32, v0
	s_delay_alu instid0(VALU_DEP_1) | instskip(SKIP_1) | instid1(VALU_DEP_2)
	v_subrev_nc_u32_e32 v1, 28, v0
	v_sub_nc_u32_e32 v0, 29, v0
	v_lshlrev_b64_e32 v[36:37], v1, v[22:23]
	s_delay_alu instid0(VALU_DEP_1)
	v_and_b32_e32 v22, 7, v36
; %bb.595:                              ;   in Loop: Header=BB219_548 Depth=1
	s_or_b32 exec_lo, exec_lo, s16
	s_delay_alu instid0(VALU_DEP_1) | instskip(SKIP_1) | instid1(VALU_DEP_2)
	v_dual_lshlrev_b32 v1, 16, v40 :: v_dual_lshlrev_b32 v22, 20, v22
	v_lshl_add_u32 v0, v0, 23, 0x3c000000
	v_and_b32_e32 v1, 0x80000000, v1
	s_delay_alu instid0(VALU_DEP_1)
	v_or3_b32 v1, v22, v1, v0
	v_mov_b32_e32 v0, v23
.LBB219_596:                            ;   in Loop: Header=BB219_548 Depth=1
	s_or_b32 exec_lo, exec_lo, s15
.LBB219_597:                            ;   in Loop: Header=BB219_548 Depth=1
	s_delay_alu instid0(SALU_CYCLE_1)
	s_or_b32 exec_lo, exec_lo, s14
.LBB219_598:                            ;   in Loop: Header=BB219_548 Depth=1
	s_delay_alu instid0(SALU_CYCLE_1) | instskip(SKIP_4) | instid1(VALU_DEP_3)
	s_or_b32 exec_lo, exec_lo, s11
	v_lshrrev_b32_e32 v41, 16, v40
	v_mov_b64_e32 v[36:37], 0
	v_mov_b64_e32 v[38:39], 0
	s_mov_b32 s11, exec_lo
	v_and_b32_e32 v22, 0xff, v41
	s_delay_alu instid0(VALU_DEP_1)
	v_cmpx_ne_u16_e32 0, v22
	s_cbranch_execz .LBB219_606
; %bb.599:                              ;   in Loop: Header=BB219_548 Depth=1
	v_mov_b64_e32 v[38:39], 0x80000000
	s_mov_b32 s14, exec_lo
	v_cmpx_ne_u16_e32 0x80, v22
	s_cbranch_execz .LBB219_605
; %bb.600:                              ;   in Loop: Header=BB219_548 Depth=1
	v_mov_b64_e32 v[38:39], 0x7f800001
	v_bfe_u32 v42, v40, 16, 7
	s_mov_b32 s15, exec_lo
	s_delay_alu instid0(VALU_DEP_1)
	v_cmpx_ne_u32_e32 0x7f, v42
	s_cbranch_execz .LBB219_604
; %bb.601:                              ;   in Loop: Header=BB219_548 Depth=1
	v_dual_lshrrev_b32 v38, 3, v42 :: v_dual_bitop2_b32 v22, 7, v41 bitop3:0x40
	s_mov_b32 s16, exec_lo
	v_cmpx_gt_u32_e32 8, v42
; %bb.602:                              ;   in Loop: Header=BB219_548 Depth=1
	s_delay_alu instid0(VALU_DEP_2) | instskip(NEXT) | instid1(VALU_DEP_1)
	v_clz_i32_u32_e32 v38, v22
	v_min_u32_e32 v38, 32, v38
	s_delay_alu instid0(VALU_DEP_1) | instskip(SKIP_1) | instid1(VALU_DEP_2)
	v_subrev_nc_u32_e32 v39, 28, v38
	v_sub_nc_u32_e32 v38, 29, v38
	v_lshlrev_b64_e32 v[42:43], v39, v[22:23]
	s_delay_alu instid0(VALU_DEP_1)
	v_and_b32_e32 v22, 7, v42
; %bb.603:                              ;   in Loop: Header=BB219_548 Depth=1
	s_or_b32 exec_lo, exec_lo, s16
	s_delay_alu instid0(VALU_DEP_1) | instskip(SKIP_1) | instid1(VALU_DEP_2)
	v_dual_lshlrev_b32 v39, 24, v41 :: v_dual_lshlrev_b32 v22, 20, v22
	v_lshl_add_u32 v38, v38, 23, 0x3c000000
	v_and_b32_e32 v39, 0x80000000, v39
	s_delay_alu instid0(VALU_DEP_1) | instskip(NEXT) | instid1(VALU_DEP_1)
	v_or3_b32 v22, v22, v39, v38
	v_mov_b64_e32 v[38:39], v[22:23]
.LBB219_604:                            ;   in Loop: Header=BB219_548 Depth=1
	s_or_b32 exec_lo, exec_lo, s15
.LBB219_605:                            ;   in Loop: Header=BB219_548 Depth=1
	s_delay_alu instid0(SALU_CYCLE_1)
	s_or_b32 exec_lo, exec_lo, s14
.LBB219_606:                            ;   in Loop: Header=BB219_548 Depth=1
	s_delay_alu instid0(SALU_CYCLE_1) | instskip(NEXT) | instid1(SALU_CYCLE_1)
	s_or_b32 exec_lo, exec_lo, s11
	s_mov_b32 s11, exec_lo
	v_cmpx_lt_u32_e32 0xffffff, v40
	s_cbranch_execz .LBB219_614
; %bb.607:                              ;   in Loop: Header=BB219_548 Depth=1
	v_mov_b64_e32 v[36:37], 0x8000000000000000
	v_lshrrev_b32_e32 v41, 24, v40
	s_mov_b32 s14, exec_lo
	s_delay_alu instid0(VALU_DEP_1)
	v_cmpx_ne_u32_e32 0x80, v41
	s_cbranch_execz .LBB219_613
; %bb.608:                              ;   in Loop: Header=BB219_548 Depth=1
	v_mov_b64_e32 v[36:37], 0x7f80000100000000
	v_bfe_u32 v40, v40, 24, 7
	s_mov_b32 s15, exec_lo
	s_delay_alu instid0(VALU_DEP_1)
	v_cmpx_ne_u32_e32 0x7f, v40
	s_cbranch_execz .LBB219_612
; %bb.609:                              ;   in Loop: Header=BB219_548 Depth=1
	v_dual_lshrrev_b32 v36, 3, v40 :: v_dual_bitop2_b32 v22, 7, v41 bitop3:0x40
	s_mov_b32 s16, exec_lo
	v_cmpx_gt_u32_e32 8, v40
; %bb.610:                              ;   in Loop: Header=BB219_548 Depth=1
	s_delay_alu instid0(VALU_DEP_2) | instskip(NEXT) | instid1(VALU_DEP_1)
	v_clz_i32_u32_e32 v36, v22
	v_min_u32_e32 v36, 32, v36
	s_delay_alu instid0(VALU_DEP_1) | instskip(NEXT) | instid1(VALU_DEP_1)
	v_subrev_nc_u32_e32 v37, 28, v36
	v_lshlrev_b64_e32 v[42:43], v37, v[22:23]
	s_delay_alu instid0(VALU_DEP_1)
	v_dual_sub_nc_u32 v36, 29, v36 :: v_dual_bitop2_b32 v22, 7, v42 bitop3:0x40
; %bb.611:                              ;   in Loop: Header=BB219_548 Depth=1
	s_or_b32 exec_lo, exec_lo, s16
	s_delay_alu instid0(VALU_DEP_1) | instskip(NEXT) | instid1(VALU_DEP_2)
	v_dual_lshlrev_b32 v37, 24, v41 :: v_dual_lshlrev_b32 v22, 20, v22
	v_lshl_add_u32 v36, v36, 23, 0x3c000000
	s_delay_alu instid0(VALU_DEP_2) | instskip(NEXT) | instid1(VALU_DEP_1)
	v_and_b32_e32 v37, 0x80000000, v37
	v_or3_b32 v37, v22, v37, v36
	v_mov_b32_e32 v36, v23
.LBB219_612:                            ;   in Loop: Header=BB219_548 Depth=1
	s_or_b32 exec_lo, exec_lo, s15
.LBB219_613:                            ;   in Loop: Header=BB219_548 Depth=1
	s_delay_alu instid0(SALU_CYCLE_1)
	s_or_b32 exec_lo, exec_lo, s14
.LBB219_614:                            ;   in Loop: Header=BB219_548 Depth=1
	s_delay_alu instid0(SALU_CYCLE_1)
	s_or_b32 exec_lo, exec_lo, s11
	v_or_b32_e32 v1, v1, v35
	v_or_b32_e32 v0, v0, v34
	v_mov_b64_e32 v[34:35], s[2:3]
	v_or_b32_e32 v39, v37, v39
	v_or_b32_e32 v38, v36, v38
	s_delay_alu instid0(VALU_DEP_3) | instskip(NEXT) | instid1(VALU_DEP_2)
	v_pk_mul_f32 v[36:37], v[34:35], v[0:1]
	v_pk_mul_f32 v[34:35], v[34:35], v[38:39]
	s_and_saveexec_b32 s11, vcc_lo
	s_cbranch_execz .LBB219_616
; %bb.615:                              ;   in Loop: Header=BB219_548 Depth=1
	v_cmp_gt_i32_e64 s0, s27, v98
	s_delay_alu instid0(VALU_DEP_1) | instskip(SKIP_1) | instid1(VALU_DEP_1)
	v_cndmask_b32_e64 v36, 0, v36, s0
	v_cmp_gt_i32_e64 s0, s27, v101
	v_cndmask_b32_e64 v37, 0, v37, s0
	v_cmp_gt_i32_e64 s0, s27, v93
	s_delay_alu instid0(VALU_DEP_1) | instskip(SKIP_1) | instid1(VALU_DEP_1)
	v_cndmask_b32_e64 v34, 0, v34, s0
	v_cmp_gt_i32_e64 s0, s27, v92
	v_cndmask_b32_e64 v35, 0, v35, s0
.LBB219_616:                            ;   in Loop: Header=BB219_548 Depth=1
	s_or_b32 exec_lo, exec_lo, s11
	global_load_b32 v44, v[32:33], off offset:256
	v_mov_b64_e32 v[0:1], 0
	v_mov_b64_e32 v[38:39], 0
	s_mov_b32 s11, exec_lo
	s_wait_loadcnt 0x0
	v_and_b32_e32 v22, 0xff, v44
	s_delay_alu instid0(VALU_DEP_1)
	v_cmpx_ne_u16_e32 0, v22
	s_cbranch_execz .LBB219_624
; %bb.617:                              ;   in Loop: Header=BB219_548 Depth=1
	v_mov_b64_e32 v[38:39], 0x80000000
	s_mov_b32 s14, exec_lo
	v_cmpx_ne_u16_e32 0x80, v22
	s_cbranch_execz .LBB219_623
; %bb.618:                              ;   in Loop: Header=BB219_548 Depth=1
	v_mov_b64_e32 v[38:39], 0x7f800001
	v_and_b32_e32 v40, 0x7f, v44
	s_mov_b32 s15, exec_lo
	s_delay_alu instid0(VALU_DEP_1)
	v_cmpx_ne_u32_e32 0x7f, v40
	s_cbranch_execz .LBB219_622
; %bb.619:                              ;   in Loop: Header=BB219_548 Depth=1
	v_and_b32_e32 v22, 7, v44
	v_lshrrev_b32_e32 v38, 3, v40
	s_mov_b32 s16, exec_lo
	v_cmpx_gt_u32_e32 8, v40
; %bb.620:                              ;   in Loop: Header=BB219_548 Depth=1
	s_delay_alu instid0(VALU_DEP_3) | instskip(NEXT) | instid1(VALU_DEP_1)
	v_clz_i32_u32_e32 v38, v22
	v_min_u32_e32 v38, 32, v38
	s_delay_alu instid0(VALU_DEP_1) | instskip(NEXT) | instid1(VALU_DEP_1)
	v_subrev_nc_u32_e32 v39, 28, v38
	v_lshlrev_b64_e32 v[40:41], v39, v[22:23]
	s_delay_alu instid0(VALU_DEP_1)
	v_dual_sub_nc_u32 v38, 29, v38 :: v_dual_bitop2_b32 v22, 7, v40 bitop3:0x40
; %bb.621:                              ;   in Loop: Header=BB219_548 Depth=1
	s_or_b32 exec_lo, exec_lo, s16
	s_delay_alu instid0(VALU_DEP_1) | instskip(NEXT) | instid1(VALU_DEP_2)
	v_dual_lshlrev_b32 v39, 24, v44 :: v_dual_lshlrev_b32 v22, 20, v22
	v_lshl_add_u32 v38, v38, 23, 0x3c000000
	s_delay_alu instid0(VALU_DEP_2) | instskip(NEXT) | instid1(VALU_DEP_1)
	v_and_b32_e32 v39, 0x80000000, v39
	v_or3_b32 v22, v22, v39, v38
	s_delay_alu instid0(VALU_DEP_1)
	v_mov_b64_e32 v[38:39], v[22:23]
.LBB219_622:                            ;   in Loop: Header=BB219_548 Depth=1
	s_or_b32 exec_lo, exec_lo, s15
.LBB219_623:                            ;   in Loop: Header=BB219_548 Depth=1
	s_delay_alu instid0(SALU_CYCLE_1)
	s_or_b32 exec_lo, exec_lo, s14
.LBB219_624:                            ;   in Loop: Header=BB219_548 Depth=1
	s_delay_alu instid0(SALU_CYCLE_1) | instskip(SKIP_2) | instid1(VALU_DEP_1)
	s_or_b32 exec_lo, exec_lo, s11
	v_lshrrev_b16 v22, 8, v44
	s_mov_b32 s11, exec_lo
	v_cmpx_ne_u16_e32 0, v22
	s_cbranch_execz .LBB219_632
; %bb.625:                              ;   in Loop: Header=BB219_548 Depth=1
	v_mov_b64_e32 v[0:1], 0x8000000000000000
	s_mov_b32 s14, exec_lo
	v_cmpx_ne_u16_e32 0x80, v22
	s_cbranch_execz .LBB219_631
; %bb.626:                              ;   in Loop: Header=BB219_548 Depth=1
	v_and_b32_e32 v22, 0xffff, v22
	v_mov_b64_e32 v[0:1], 0x7f80000100000000
	s_mov_b32 s15, exec_lo
	s_delay_alu instid0(VALU_DEP_2) | instskip(NEXT) | instid1(VALU_DEP_1)
	v_and_b32_e32 v40, 0x7f, v22
	v_cmpx_ne_u32_e32 0x7f, v40
	s_cbranch_execz .LBB219_630
; %bb.627:                              ;   in Loop: Header=BB219_548 Depth=1
	v_dual_lshrrev_b32 v0, 3, v40 :: v_dual_bitop2_b32 v22, 7, v22 bitop3:0x40
	s_mov_b32 s16, exec_lo
	v_cmpx_gt_u32_e32 8, v40
; %bb.628:                              ;   in Loop: Header=BB219_548 Depth=1
	s_delay_alu instid0(VALU_DEP_2) | instskip(NEXT) | instid1(VALU_DEP_1)
	v_clz_i32_u32_e32 v0, v22
	v_min_u32_e32 v0, 32, v0
	s_delay_alu instid0(VALU_DEP_1) | instskip(SKIP_1) | instid1(VALU_DEP_2)
	v_subrev_nc_u32_e32 v1, 28, v0
	v_sub_nc_u32_e32 v0, 29, v0
	v_lshlrev_b64_e32 v[40:41], v1, v[22:23]
	s_delay_alu instid0(VALU_DEP_1)
	v_and_b32_e32 v22, 7, v40
; %bb.629:                              ;   in Loop: Header=BB219_548 Depth=1
	s_or_b32 exec_lo, exec_lo, s16
	s_delay_alu instid0(VALU_DEP_1) | instskip(SKIP_1) | instid1(VALU_DEP_2)
	v_dual_lshlrev_b32 v1, 16, v44 :: v_dual_lshlrev_b32 v22, 20, v22
	v_lshl_add_u32 v0, v0, 23, 0x3c000000
	v_and_b32_e32 v1, 0x80000000, v1
	s_delay_alu instid0(VALU_DEP_1)
	v_or3_b32 v1, v22, v1, v0
	v_mov_b32_e32 v0, v23
.LBB219_630:                            ;   in Loop: Header=BB219_548 Depth=1
	s_or_b32 exec_lo, exec_lo, s15
.LBB219_631:                            ;   in Loop: Header=BB219_548 Depth=1
	s_delay_alu instid0(SALU_CYCLE_1)
	s_or_b32 exec_lo, exec_lo, s14
.LBB219_632:                            ;   in Loop: Header=BB219_548 Depth=1
	s_delay_alu instid0(SALU_CYCLE_1) | instskip(SKIP_4) | instid1(VALU_DEP_3)
	s_or_b32 exec_lo, exec_lo, s11
	v_lshrrev_b32_e32 v45, 16, v44
	v_mov_b64_e32 v[40:41], 0
	v_mov_b64_e32 v[42:43], 0
	s_mov_b32 s11, exec_lo
	v_and_b32_e32 v22, 0xff, v45
	s_delay_alu instid0(VALU_DEP_1)
	v_cmpx_ne_u16_e32 0, v22
	s_cbranch_execz .LBB219_640
; %bb.633:                              ;   in Loop: Header=BB219_548 Depth=1
	v_mov_b64_e32 v[42:43], 0x80000000
	s_mov_b32 s14, exec_lo
	v_cmpx_ne_u16_e32 0x80, v22
	s_cbranch_execz .LBB219_639
; %bb.634:                              ;   in Loop: Header=BB219_548 Depth=1
	v_mov_b64_e32 v[42:43], 0x7f800001
	v_bfe_u32 v46, v44, 16, 7
	s_mov_b32 s15, exec_lo
	s_delay_alu instid0(VALU_DEP_1)
	v_cmpx_ne_u32_e32 0x7f, v46
	s_cbranch_execz .LBB219_638
; %bb.635:                              ;   in Loop: Header=BB219_548 Depth=1
	v_dual_lshrrev_b32 v42, 3, v46 :: v_dual_bitop2_b32 v22, 7, v45 bitop3:0x40
	s_mov_b32 s16, exec_lo
	v_cmpx_gt_u32_e32 8, v46
; %bb.636:                              ;   in Loop: Header=BB219_548 Depth=1
	s_delay_alu instid0(VALU_DEP_2) | instskip(NEXT) | instid1(VALU_DEP_1)
	v_clz_i32_u32_e32 v42, v22
	v_min_u32_e32 v42, 32, v42
	s_delay_alu instid0(VALU_DEP_1) | instskip(SKIP_1) | instid1(VALU_DEP_2)
	v_subrev_nc_u32_e32 v43, 28, v42
	v_sub_nc_u32_e32 v42, 29, v42
	v_lshlrev_b64_e32 v[46:47], v43, v[22:23]
	s_delay_alu instid0(VALU_DEP_1)
	v_and_b32_e32 v22, 7, v46
; %bb.637:                              ;   in Loop: Header=BB219_548 Depth=1
	s_or_b32 exec_lo, exec_lo, s16
	s_delay_alu instid0(VALU_DEP_1) | instskip(SKIP_1) | instid1(VALU_DEP_2)
	v_dual_lshlrev_b32 v43, 24, v45 :: v_dual_lshlrev_b32 v22, 20, v22
	v_lshl_add_u32 v42, v42, 23, 0x3c000000
	v_and_b32_e32 v43, 0x80000000, v43
	s_delay_alu instid0(VALU_DEP_1) | instskip(NEXT) | instid1(VALU_DEP_1)
	v_or3_b32 v22, v22, v43, v42
	v_mov_b64_e32 v[42:43], v[22:23]
.LBB219_638:                            ;   in Loop: Header=BB219_548 Depth=1
	s_or_b32 exec_lo, exec_lo, s15
.LBB219_639:                            ;   in Loop: Header=BB219_548 Depth=1
	s_delay_alu instid0(SALU_CYCLE_1)
	s_or_b32 exec_lo, exec_lo, s14
.LBB219_640:                            ;   in Loop: Header=BB219_548 Depth=1
	s_delay_alu instid0(SALU_CYCLE_1) | instskip(NEXT) | instid1(SALU_CYCLE_1)
	s_or_b32 exec_lo, exec_lo, s11
	s_mov_b32 s11, exec_lo
	v_cmpx_lt_u32_e32 0xffffff, v44
	s_cbranch_execz .LBB219_648
; %bb.641:                              ;   in Loop: Header=BB219_548 Depth=1
	v_mov_b64_e32 v[40:41], 0x8000000000000000
	v_lshrrev_b32_e32 v45, 24, v44
	s_mov_b32 s14, exec_lo
	s_delay_alu instid0(VALU_DEP_1)
	v_cmpx_ne_u32_e32 0x80, v45
	s_cbranch_execz .LBB219_647
; %bb.642:                              ;   in Loop: Header=BB219_548 Depth=1
	v_mov_b64_e32 v[40:41], 0x7f80000100000000
	v_bfe_u32 v44, v44, 24, 7
	s_mov_b32 s15, exec_lo
	s_delay_alu instid0(VALU_DEP_1)
	v_cmpx_ne_u32_e32 0x7f, v44
	s_cbranch_execz .LBB219_646
; %bb.643:                              ;   in Loop: Header=BB219_548 Depth=1
	v_dual_lshrrev_b32 v40, 3, v44 :: v_dual_bitop2_b32 v22, 7, v45 bitop3:0x40
	s_mov_b32 s16, exec_lo
	v_cmpx_gt_u32_e32 8, v44
; %bb.644:                              ;   in Loop: Header=BB219_548 Depth=1
	s_delay_alu instid0(VALU_DEP_2) | instskip(NEXT) | instid1(VALU_DEP_1)
	v_clz_i32_u32_e32 v40, v22
	v_min_u32_e32 v40, 32, v40
	s_delay_alu instid0(VALU_DEP_1) | instskip(NEXT) | instid1(VALU_DEP_1)
	v_subrev_nc_u32_e32 v41, 28, v40
	v_lshlrev_b64_e32 v[46:47], v41, v[22:23]
	s_delay_alu instid0(VALU_DEP_1)
	v_dual_sub_nc_u32 v40, 29, v40 :: v_dual_bitop2_b32 v22, 7, v46 bitop3:0x40
; %bb.645:                              ;   in Loop: Header=BB219_548 Depth=1
	s_or_b32 exec_lo, exec_lo, s16
	s_delay_alu instid0(VALU_DEP_1) | instskip(NEXT) | instid1(VALU_DEP_2)
	v_dual_lshlrev_b32 v41, 24, v45 :: v_dual_lshlrev_b32 v22, 20, v22
	v_lshl_add_u32 v40, v40, 23, 0x3c000000
	s_delay_alu instid0(VALU_DEP_2) | instskip(NEXT) | instid1(VALU_DEP_1)
	v_and_b32_e32 v41, 0x80000000, v41
	v_or3_b32 v41, v22, v41, v40
	v_mov_b32_e32 v40, v23
.LBB219_646:                            ;   in Loop: Header=BB219_548 Depth=1
	s_or_b32 exec_lo, exec_lo, s15
.LBB219_647:                            ;   in Loop: Header=BB219_548 Depth=1
	s_delay_alu instid0(SALU_CYCLE_1)
	s_or_b32 exec_lo, exec_lo, s14
.LBB219_648:                            ;   in Loop: Header=BB219_548 Depth=1
	s_delay_alu instid0(SALU_CYCLE_1)
	s_or_b32 exec_lo, exec_lo, s11
	v_or_b32_e32 v1, v1, v39
	v_or_b32_e32 v0, v0, v38
	v_mov_b64_e32 v[38:39], s[2:3]
	v_or_b32_e32 v43, v41, v43
	v_or_b32_e32 v42, v40, v42
	s_delay_alu instid0(VALU_DEP_3) | instskip(NEXT) | instid1(VALU_DEP_2)
	v_pk_mul_f32 v[40:41], v[38:39], v[0:1]
	v_pk_mul_f32 v[38:39], v[38:39], v[42:43]
	s_and_saveexec_b32 s11, vcc_lo
	s_cbranch_execz .LBB219_650
; %bb.649:                              ;   in Loop: Header=BB219_548 Depth=1
	v_cmp_gt_i32_e64 s0, s27, v98
	s_delay_alu instid0(VALU_DEP_1) | instskip(SKIP_1) | instid1(VALU_DEP_1)
	v_cndmask_b32_e64 v40, 0, v40, s0
	v_cmp_gt_i32_e64 s0, s27, v101
	v_cndmask_b32_e64 v41, 0, v41, s0
	v_cmp_gt_i32_e64 s0, s27, v93
	s_delay_alu instid0(VALU_DEP_1) | instskip(SKIP_1) | instid1(VALU_DEP_1)
	v_cndmask_b32_e64 v38, 0, v38, s0
	v_cmp_gt_i32_e64 s0, s27, v92
	v_cndmask_b32_e64 v39, 0, v39, s0
.LBB219_650:                            ;   in Loop: Header=BB219_548 Depth=1
	s_or_b32 exec_lo, exec_lo, s11
	global_load_b32 v48, v[32:33], off offset:384
	v_mov_b64_e32 v[0:1], 0
	v_mov_b64_e32 v[42:43], 0
	s_mov_b32 s11, exec_lo
	s_wait_loadcnt 0x0
	v_and_b32_e32 v22, 0xff, v48
	s_delay_alu instid0(VALU_DEP_1)
	v_cmpx_ne_u16_e32 0, v22
	s_cbranch_execz .LBB219_658
; %bb.651:                              ;   in Loop: Header=BB219_548 Depth=1
	v_mov_b64_e32 v[42:43], 0x80000000
	s_mov_b32 s14, exec_lo
	v_cmpx_ne_u16_e32 0x80, v22
	s_cbranch_execz .LBB219_657
; %bb.652:                              ;   in Loop: Header=BB219_548 Depth=1
	v_mov_b64_e32 v[42:43], 0x7f800001
	v_and_b32_e32 v44, 0x7f, v48
	s_mov_b32 s15, exec_lo
	s_delay_alu instid0(VALU_DEP_1)
	v_cmpx_ne_u32_e32 0x7f, v44
	s_cbranch_execz .LBB219_656
; %bb.653:                              ;   in Loop: Header=BB219_548 Depth=1
	v_and_b32_e32 v22, 7, v48
	v_lshrrev_b32_e32 v42, 3, v44
	s_mov_b32 s16, exec_lo
	v_cmpx_gt_u32_e32 8, v44
; %bb.654:                              ;   in Loop: Header=BB219_548 Depth=1
	s_delay_alu instid0(VALU_DEP_3) | instskip(NEXT) | instid1(VALU_DEP_1)
	v_clz_i32_u32_e32 v42, v22
	v_min_u32_e32 v42, 32, v42
	s_delay_alu instid0(VALU_DEP_1) | instskip(NEXT) | instid1(VALU_DEP_1)
	v_subrev_nc_u32_e32 v43, 28, v42
	v_lshlrev_b64_e32 v[44:45], v43, v[22:23]
	s_delay_alu instid0(VALU_DEP_1)
	v_dual_sub_nc_u32 v42, 29, v42 :: v_dual_bitop2_b32 v22, 7, v44 bitop3:0x40
; %bb.655:                              ;   in Loop: Header=BB219_548 Depth=1
	s_or_b32 exec_lo, exec_lo, s16
	s_delay_alu instid0(VALU_DEP_1) | instskip(NEXT) | instid1(VALU_DEP_2)
	v_dual_lshlrev_b32 v43, 24, v48 :: v_dual_lshlrev_b32 v22, 20, v22
	v_lshl_add_u32 v42, v42, 23, 0x3c000000
	s_delay_alu instid0(VALU_DEP_2) | instskip(NEXT) | instid1(VALU_DEP_1)
	v_and_b32_e32 v43, 0x80000000, v43
	v_or3_b32 v22, v22, v43, v42
	s_delay_alu instid0(VALU_DEP_1)
	v_mov_b64_e32 v[42:43], v[22:23]
.LBB219_656:                            ;   in Loop: Header=BB219_548 Depth=1
	s_or_b32 exec_lo, exec_lo, s15
.LBB219_657:                            ;   in Loop: Header=BB219_548 Depth=1
	s_delay_alu instid0(SALU_CYCLE_1)
	s_or_b32 exec_lo, exec_lo, s14
.LBB219_658:                            ;   in Loop: Header=BB219_548 Depth=1
	s_delay_alu instid0(SALU_CYCLE_1) | instskip(SKIP_2) | instid1(VALU_DEP_1)
	s_or_b32 exec_lo, exec_lo, s11
	v_lshrrev_b16 v22, 8, v48
	s_mov_b32 s11, exec_lo
	v_cmpx_ne_u16_e32 0, v22
	s_cbranch_execz .LBB219_666
; %bb.659:                              ;   in Loop: Header=BB219_548 Depth=1
	v_mov_b64_e32 v[0:1], 0x8000000000000000
	s_mov_b32 s14, exec_lo
	v_cmpx_ne_u16_e32 0x80, v22
	s_cbranch_execz .LBB219_665
; %bb.660:                              ;   in Loop: Header=BB219_548 Depth=1
	v_and_b32_e32 v22, 0xffff, v22
	v_mov_b64_e32 v[0:1], 0x7f80000100000000
	s_mov_b32 s15, exec_lo
	s_delay_alu instid0(VALU_DEP_2) | instskip(NEXT) | instid1(VALU_DEP_1)
	v_and_b32_e32 v44, 0x7f, v22
	v_cmpx_ne_u32_e32 0x7f, v44
	s_cbranch_execz .LBB219_664
; %bb.661:                              ;   in Loop: Header=BB219_548 Depth=1
	v_dual_lshrrev_b32 v0, 3, v44 :: v_dual_bitop2_b32 v22, 7, v22 bitop3:0x40
	s_mov_b32 s16, exec_lo
	v_cmpx_gt_u32_e32 8, v44
; %bb.662:                              ;   in Loop: Header=BB219_548 Depth=1
	s_delay_alu instid0(VALU_DEP_2) | instskip(NEXT) | instid1(VALU_DEP_1)
	v_clz_i32_u32_e32 v0, v22
	v_min_u32_e32 v0, 32, v0
	s_delay_alu instid0(VALU_DEP_1) | instskip(SKIP_1) | instid1(VALU_DEP_2)
	v_subrev_nc_u32_e32 v1, 28, v0
	v_sub_nc_u32_e32 v0, 29, v0
	v_lshlrev_b64_e32 v[44:45], v1, v[22:23]
	s_delay_alu instid0(VALU_DEP_1)
	v_and_b32_e32 v22, 7, v44
; %bb.663:                              ;   in Loop: Header=BB219_548 Depth=1
	s_or_b32 exec_lo, exec_lo, s16
	s_delay_alu instid0(VALU_DEP_1) | instskip(SKIP_1) | instid1(VALU_DEP_2)
	v_dual_lshlrev_b32 v1, 16, v48 :: v_dual_lshlrev_b32 v22, 20, v22
	v_lshl_add_u32 v0, v0, 23, 0x3c000000
	v_and_b32_e32 v1, 0x80000000, v1
	s_delay_alu instid0(VALU_DEP_1)
	v_or3_b32 v1, v22, v1, v0
	v_mov_b32_e32 v0, v23
.LBB219_664:                            ;   in Loop: Header=BB219_548 Depth=1
	s_or_b32 exec_lo, exec_lo, s15
.LBB219_665:                            ;   in Loop: Header=BB219_548 Depth=1
	s_delay_alu instid0(SALU_CYCLE_1)
	s_or_b32 exec_lo, exec_lo, s14
.LBB219_666:                            ;   in Loop: Header=BB219_548 Depth=1
	s_delay_alu instid0(SALU_CYCLE_1) | instskip(SKIP_4) | instid1(VALU_DEP_3)
	s_or_b32 exec_lo, exec_lo, s11
	v_lshrrev_b32_e32 v49, 16, v48
	v_mov_b64_e32 v[44:45], 0
	v_mov_b64_e32 v[46:47], 0
	s_mov_b32 s11, exec_lo
	v_and_b32_e32 v22, 0xff, v49
	s_delay_alu instid0(VALU_DEP_1)
	v_cmpx_ne_u16_e32 0, v22
	s_cbranch_execz .LBB219_674
; %bb.667:                              ;   in Loop: Header=BB219_548 Depth=1
	v_mov_b64_e32 v[46:47], 0x80000000
	s_mov_b32 s14, exec_lo
	v_cmpx_ne_u16_e32 0x80, v22
	s_cbranch_execz .LBB219_673
; %bb.668:                              ;   in Loop: Header=BB219_548 Depth=1
	v_mov_b64_e32 v[46:47], 0x7f800001
	v_bfe_u32 v50, v48, 16, 7
	s_mov_b32 s15, exec_lo
	s_delay_alu instid0(VALU_DEP_1)
	v_cmpx_ne_u32_e32 0x7f, v50
	s_cbranch_execz .LBB219_672
; %bb.669:                              ;   in Loop: Header=BB219_548 Depth=1
	v_dual_lshrrev_b32 v46, 3, v50 :: v_dual_bitop2_b32 v22, 7, v49 bitop3:0x40
	s_mov_b32 s16, exec_lo
	v_cmpx_gt_u32_e32 8, v50
; %bb.670:                              ;   in Loop: Header=BB219_548 Depth=1
	s_delay_alu instid0(VALU_DEP_2) | instskip(NEXT) | instid1(VALU_DEP_1)
	v_clz_i32_u32_e32 v46, v22
	v_min_u32_e32 v46, 32, v46
	s_delay_alu instid0(VALU_DEP_1) | instskip(SKIP_1) | instid1(VALU_DEP_2)
	v_subrev_nc_u32_e32 v47, 28, v46
	v_sub_nc_u32_e32 v46, 29, v46
	v_lshlrev_b64_e32 v[50:51], v47, v[22:23]
	s_delay_alu instid0(VALU_DEP_1)
	v_and_b32_e32 v22, 7, v50
; %bb.671:                              ;   in Loop: Header=BB219_548 Depth=1
	s_or_b32 exec_lo, exec_lo, s16
	s_delay_alu instid0(VALU_DEP_1) | instskip(SKIP_1) | instid1(VALU_DEP_2)
	v_dual_lshlrev_b32 v47, 24, v49 :: v_dual_lshlrev_b32 v22, 20, v22
	v_lshl_add_u32 v46, v46, 23, 0x3c000000
	v_and_b32_e32 v47, 0x80000000, v47
	s_delay_alu instid0(VALU_DEP_1) | instskip(NEXT) | instid1(VALU_DEP_1)
	v_or3_b32 v22, v22, v47, v46
	v_mov_b64_e32 v[46:47], v[22:23]
.LBB219_672:                            ;   in Loop: Header=BB219_548 Depth=1
	s_or_b32 exec_lo, exec_lo, s15
.LBB219_673:                            ;   in Loop: Header=BB219_548 Depth=1
	s_delay_alu instid0(SALU_CYCLE_1)
	s_or_b32 exec_lo, exec_lo, s14
.LBB219_674:                            ;   in Loop: Header=BB219_548 Depth=1
	s_delay_alu instid0(SALU_CYCLE_1) | instskip(NEXT) | instid1(SALU_CYCLE_1)
	s_or_b32 exec_lo, exec_lo, s11
	s_mov_b32 s11, exec_lo
	v_cmpx_lt_u32_e32 0xffffff, v48
	s_cbranch_execz .LBB219_682
; %bb.675:                              ;   in Loop: Header=BB219_548 Depth=1
	v_mov_b64_e32 v[44:45], 0x8000000000000000
	v_lshrrev_b32_e32 v49, 24, v48
	s_mov_b32 s14, exec_lo
	s_delay_alu instid0(VALU_DEP_1)
	v_cmpx_ne_u32_e32 0x80, v49
	s_cbranch_execz .LBB219_681
; %bb.676:                              ;   in Loop: Header=BB219_548 Depth=1
	v_mov_b64_e32 v[44:45], 0x7f80000100000000
	v_bfe_u32 v48, v48, 24, 7
	s_mov_b32 s15, exec_lo
	s_delay_alu instid0(VALU_DEP_1)
	v_cmpx_ne_u32_e32 0x7f, v48
	s_cbranch_execz .LBB219_680
; %bb.677:                              ;   in Loop: Header=BB219_548 Depth=1
	v_dual_lshrrev_b32 v44, 3, v48 :: v_dual_bitop2_b32 v22, 7, v49 bitop3:0x40
	s_mov_b32 s16, exec_lo
	v_cmpx_gt_u32_e32 8, v48
; %bb.678:                              ;   in Loop: Header=BB219_548 Depth=1
	s_delay_alu instid0(VALU_DEP_2) | instskip(NEXT) | instid1(VALU_DEP_1)
	v_clz_i32_u32_e32 v44, v22
	v_min_u32_e32 v44, 32, v44
	s_delay_alu instid0(VALU_DEP_1) | instskip(NEXT) | instid1(VALU_DEP_1)
	v_subrev_nc_u32_e32 v45, 28, v44
	v_lshlrev_b64_e32 v[50:51], v45, v[22:23]
	s_delay_alu instid0(VALU_DEP_1)
	v_dual_sub_nc_u32 v44, 29, v44 :: v_dual_bitop2_b32 v22, 7, v50 bitop3:0x40
; %bb.679:                              ;   in Loop: Header=BB219_548 Depth=1
	s_or_b32 exec_lo, exec_lo, s16
	s_delay_alu instid0(VALU_DEP_1) | instskip(NEXT) | instid1(VALU_DEP_2)
	v_dual_lshlrev_b32 v45, 24, v49 :: v_dual_lshlrev_b32 v22, 20, v22
	v_lshl_add_u32 v44, v44, 23, 0x3c000000
	s_delay_alu instid0(VALU_DEP_2) | instskip(NEXT) | instid1(VALU_DEP_1)
	v_and_b32_e32 v45, 0x80000000, v45
	v_or3_b32 v45, v22, v45, v44
	v_mov_b32_e32 v44, v23
.LBB219_680:                            ;   in Loop: Header=BB219_548 Depth=1
	s_or_b32 exec_lo, exec_lo, s15
.LBB219_681:                            ;   in Loop: Header=BB219_548 Depth=1
	s_delay_alu instid0(SALU_CYCLE_1)
	s_or_b32 exec_lo, exec_lo, s14
.LBB219_682:                            ;   in Loop: Header=BB219_548 Depth=1
	s_delay_alu instid0(SALU_CYCLE_1)
	s_or_b32 exec_lo, exec_lo, s11
	v_or_b32_e32 v1, v1, v43
	v_or_b32_e32 v0, v0, v42
	v_mov_b64_e32 v[42:43], s[2:3]
	v_or_b32_e32 v47, v45, v47
	v_or_b32_e32 v46, v44, v46
	s_delay_alu instid0(VALU_DEP_3) | instskip(NEXT) | instid1(VALU_DEP_2)
	v_pk_mul_f32 v[44:45], v[42:43], v[0:1]
	v_pk_mul_f32 v[42:43], v[42:43], v[46:47]
	s_and_saveexec_b32 s11, vcc_lo
	s_cbranch_execz .LBB219_684
; %bb.683:                              ;   in Loop: Header=BB219_548 Depth=1
	v_cmp_gt_i32_e64 s0, s27, v98
	s_delay_alu instid0(VALU_DEP_1) | instskip(SKIP_1) | instid1(VALU_DEP_1)
	v_cndmask_b32_e64 v44, 0, v44, s0
	v_cmp_gt_i32_e64 s0, s27, v101
	v_cndmask_b32_e64 v45, 0, v45, s0
	v_cmp_gt_i32_e64 s0, s27, v93
	s_delay_alu instid0(VALU_DEP_1) | instskip(SKIP_1) | instid1(VALU_DEP_1)
	v_cndmask_b32_e64 v42, 0, v42, s0
	v_cmp_gt_i32_e64 s0, s27, v92
	v_cndmask_b32_e64 v43, 0, v43, s0
.LBB219_684:                            ;   in Loop: Header=BB219_548 Depth=1
	s_or_b32 exec_lo, exec_lo, s11
	global_load_b32 v52, v[32:33], off offset:512
	v_mov_b64_e32 v[0:1], 0
	v_mov_b64_e32 v[46:47], 0
	s_mov_b32 s11, exec_lo
	s_wait_loadcnt 0x0
	v_and_b32_e32 v22, 0xff, v52
	s_delay_alu instid0(VALU_DEP_1)
	v_cmpx_ne_u16_e32 0, v22
	s_cbranch_execz .LBB219_692
; %bb.685:                              ;   in Loop: Header=BB219_548 Depth=1
	v_mov_b64_e32 v[46:47], 0x80000000
	s_mov_b32 s14, exec_lo
	v_cmpx_ne_u16_e32 0x80, v22
	s_cbranch_execz .LBB219_691
; %bb.686:                              ;   in Loop: Header=BB219_548 Depth=1
	v_mov_b64_e32 v[46:47], 0x7f800001
	v_and_b32_e32 v48, 0x7f, v52
	s_mov_b32 s15, exec_lo
	s_delay_alu instid0(VALU_DEP_1)
	v_cmpx_ne_u32_e32 0x7f, v48
	s_cbranch_execz .LBB219_690
; %bb.687:                              ;   in Loop: Header=BB219_548 Depth=1
	v_and_b32_e32 v22, 7, v52
	v_lshrrev_b32_e32 v46, 3, v48
	s_mov_b32 s16, exec_lo
	v_cmpx_gt_u32_e32 8, v48
; %bb.688:                              ;   in Loop: Header=BB219_548 Depth=1
	s_delay_alu instid0(VALU_DEP_3) | instskip(NEXT) | instid1(VALU_DEP_1)
	v_clz_i32_u32_e32 v46, v22
	v_min_u32_e32 v46, 32, v46
	s_delay_alu instid0(VALU_DEP_1) | instskip(NEXT) | instid1(VALU_DEP_1)
	v_subrev_nc_u32_e32 v47, 28, v46
	v_lshlrev_b64_e32 v[48:49], v47, v[22:23]
	s_delay_alu instid0(VALU_DEP_1)
	v_dual_sub_nc_u32 v46, 29, v46 :: v_dual_bitop2_b32 v22, 7, v48 bitop3:0x40
; %bb.689:                              ;   in Loop: Header=BB219_548 Depth=1
	s_or_b32 exec_lo, exec_lo, s16
	s_delay_alu instid0(VALU_DEP_1) | instskip(NEXT) | instid1(VALU_DEP_2)
	v_dual_lshlrev_b32 v47, 24, v52 :: v_dual_lshlrev_b32 v22, 20, v22
	v_lshl_add_u32 v46, v46, 23, 0x3c000000
	s_delay_alu instid0(VALU_DEP_2) | instskip(NEXT) | instid1(VALU_DEP_1)
	v_and_b32_e32 v47, 0x80000000, v47
	v_or3_b32 v22, v22, v47, v46
	s_delay_alu instid0(VALU_DEP_1)
	v_mov_b64_e32 v[46:47], v[22:23]
.LBB219_690:                            ;   in Loop: Header=BB219_548 Depth=1
	s_or_b32 exec_lo, exec_lo, s15
.LBB219_691:                            ;   in Loop: Header=BB219_548 Depth=1
	s_delay_alu instid0(SALU_CYCLE_1)
	s_or_b32 exec_lo, exec_lo, s14
.LBB219_692:                            ;   in Loop: Header=BB219_548 Depth=1
	s_delay_alu instid0(SALU_CYCLE_1) | instskip(SKIP_2) | instid1(VALU_DEP_1)
	s_or_b32 exec_lo, exec_lo, s11
	v_lshrrev_b16 v22, 8, v52
	s_mov_b32 s11, exec_lo
	v_cmpx_ne_u16_e32 0, v22
	s_cbranch_execz .LBB219_700
; %bb.693:                              ;   in Loop: Header=BB219_548 Depth=1
	v_mov_b64_e32 v[0:1], 0x8000000000000000
	s_mov_b32 s14, exec_lo
	v_cmpx_ne_u16_e32 0x80, v22
	s_cbranch_execz .LBB219_699
; %bb.694:                              ;   in Loop: Header=BB219_548 Depth=1
	v_and_b32_e32 v22, 0xffff, v22
	v_mov_b64_e32 v[0:1], 0x7f80000100000000
	s_mov_b32 s15, exec_lo
	s_delay_alu instid0(VALU_DEP_2) | instskip(NEXT) | instid1(VALU_DEP_1)
	v_and_b32_e32 v48, 0x7f, v22
	v_cmpx_ne_u32_e32 0x7f, v48
	s_cbranch_execz .LBB219_698
; %bb.695:                              ;   in Loop: Header=BB219_548 Depth=1
	v_dual_lshrrev_b32 v0, 3, v48 :: v_dual_bitop2_b32 v22, 7, v22 bitop3:0x40
	s_mov_b32 s16, exec_lo
	v_cmpx_gt_u32_e32 8, v48
; %bb.696:                              ;   in Loop: Header=BB219_548 Depth=1
	s_delay_alu instid0(VALU_DEP_2) | instskip(NEXT) | instid1(VALU_DEP_1)
	v_clz_i32_u32_e32 v0, v22
	v_min_u32_e32 v0, 32, v0
	s_delay_alu instid0(VALU_DEP_1) | instskip(SKIP_1) | instid1(VALU_DEP_2)
	v_subrev_nc_u32_e32 v1, 28, v0
	v_sub_nc_u32_e32 v0, 29, v0
	v_lshlrev_b64_e32 v[48:49], v1, v[22:23]
	s_delay_alu instid0(VALU_DEP_1)
	v_and_b32_e32 v22, 7, v48
; %bb.697:                              ;   in Loop: Header=BB219_548 Depth=1
	s_or_b32 exec_lo, exec_lo, s16
	s_delay_alu instid0(VALU_DEP_1) | instskip(SKIP_1) | instid1(VALU_DEP_2)
	v_dual_lshlrev_b32 v1, 16, v52 :: v_dual_lshlrev_b32 v22, 20, v22
	v_lshl_add_u32 v0, v0, 23, 0x3c000000
	v_and_b32_e32 v1, 0x80000000, v1
	s_delay_alu instid0(VALU_DEP_1)
	v_or3_b32 v1, v22, v1, v0
	v_mov_b32_e32 v0, v23
.LBB219_698:                            ;   in Loop: Header=BB219_548 Depth=1
	s_or_b32 exec_lo, exec_lo, s15
.LBB219_699:                            ;   in Loop: Header=BB219_548 Depth=1
	s_delay_alu instid0(SALU_CYCLE_1)
	s_or_b32 exec_lo, exec_lo, s14
.LBB219_700:                            ;   in Loop: Header=BB219_548 Depth=1
	s_delay_alu instid0(SALU_CYCLE_1) | instskip(SKIP_4) | instid1(VALU_DEP_3)
	s_or_b32 exec_lo, exec_lo, s11
	v_lshrrev_b32_e32 v53, 16, v52
	v_mov_b64_e32 v[48:49], 0
	v_mov_b64_e32 v[50:51], 0
	s_mov_b32 s11, exec_lo
	v_and_b32_e32 v22, 0xff, v53
	s_delay_alu instid0(VALU_DEP_1)
	v_cmpx_ne_u16_e32 0, v22
	s_cbranch_execz .LBB219_708
; %bb.701:                              ;   in Loop: Header=BB219_548 Depth=1
	v_mov_b64_e32 v[50:51], 0x80000000
	s_mov_b32 s14, exec_lo
	v_cmpx_ne_u16_e32 0x80, v22
	s_cbranch_execz .LBB219_707
; %bb.702:                              ;   in Loop: Header=BB219_548 Depth=1
	v_mov_b64_e32 v[50:51], 0x7f800001
	v_bfe_u32 v54, v52, 16, 7
	s_mov_b32 s15, exec_lo
	s_delay_alu instid0(VALU_DEP_1)
	v_cmpx_ne_u32_e32 0x7f, v54
	s_cbranch_execz .LBB219_706
; %bb.703:                              ;   in Loop: Header=BB219_548 Depth=1
	v_dual_lshrrev_b32 v50, 3, v54 :: v_dual_bitop2_b32 v22, 7, v53 bitop3:0x40
	s_mov_b32 s16, exec_lo
	v_cmpx_gt_u32_e32 8, v54
; %bb.704:                              ;   in Loop: Header=BB219_548 Depth=1
	s_delay_alu instid0(VALU_DEP_2) | instskip(NEXT) | instid1(VALU_DEP_1)
	v_clz_i32_u32_e32 v50, v22
	v_min_u32_e32 v50, 32, v50
	s_delay_alu instid0(VALU_DEP_1) | instskip(SKIP_1) | instid1(VALU_DEP_2)
	v_subrev_nc_u32_e32 v51, 28, v50
	v_sub_nc_u32_e32 v50, 29, v50
	v_lshlrev_b64_e32 v[54:55], v51, v[22:23]
	s_delay_alu instid0(VALU_DEP_1)
	v_and_b32_e32 v22, 7, v54
; %bb.705:                              ;   in Loop: Header=BB219_548 Depth=1
	s_or_b32 exec_lo, exec_lo, s16
	s_delay_alu instid0(VALU_DEP_1) | instskip(SKIP_1) | instid1(VALU_DEP_2)
	v_dual_lshlrev_b32 v51, 24, v53 :: v_dual_lshlrev_b32 v22, 20, v22
	v_lshl_add_u32 v50, v50, 23, 0x3c000000
	v_and_b32_e32 v51, 0x80000000, v51
	s_delay_alu instid0(VALU_DEP_1) | instskip(NEXT) | instid1(VALU_DEP_1)
	v_or3_b32 v22, v22, v51, v50
	v_mov_b64_e32 v[50:51], v[22:23]
.LBB219_706:                            ;   in Loop: Header=BB219_548 Depth=1
	s_or_b32 exec_lo, exec_lo, s15
.LBB219_707:                            ;   in Loop: Header=BB219_548 Depth=1
	s_delay_alu instid0(SALU_CYCLE_1)
	s_or_b32 exec_lo, exec_lo, s14
.LBB219_708:                            ;   in Loop: Header=BB219_548 Depth=1
	s_delay_alu instid0(SALU_CYCLE_1) | instskip(NEXT) | instid1(SALU_CYCLE_1)
	s_or_b32 exec_lo, exec_lo, s11
	s_mov_b32 s11, exec_lo
	v_cmpx_lt_u32_e32 0xffffff, v52
	s_cbranch_execz .LBB219_716
; %bb.709:                              ;   in Loop: Header=BB219_548 Depth=1
	v_mov_b64_e32 v[48:49], 0x8000000000000000
	v_lshrrev_b32_e32 v53, 24, v52
	s_mov_b32 s14, exec_lo
	s_delay_alu instid0(VALU_DEP_1)
	v_cmpx_ne_u32_e32 0x80, v53
	s_cbranch_execz .LBB219_715
; %bb.710:                              ;   in Loop: Header=BB219_548 Depth=1
	v_mov_b64_e32 v[48:49], 0x7f80000100000000
	v_bfe_u32 v52, v52, 24, 7
	s_mov_b32 s15, exec_lo
	s_delay_alu instid0(VALU_DEP_1)
	v_cmpx_ne_u32_e32 0x7f, v52
	s_cbranch_execz .LBB219_714
; %bb.711:                              ;   in Loop: Header=BB219_548 Depth=1
	v_dual_lshrrev_b32 v48, 3, v52 :: v_dual_bitop2_b32 v22, 7, v53 bitop3:0x40
	s_mov_b32 s16, exec_lo
	v_cmpx_gt_u32_e32 8, v52
; %bb.712:                              ;   in Loop: Header=BB219_548 Depth=1
	s_delay_alu instid0(VALU_DEP_2) | instskip(NEXT) | instid1(VALU_DEP_1)
	v_clz_i32_u32_e32 v48, v22
	v_min_u32_e32 v48, 32, v48
	s_delay_alu instid0(VALU_DEP_1) | instskip(NEXT) | instid1(VALU_DEP_1)
	v_subrev_nc_u32_e32 v49, 28, v48
	v_lshlrev_b64_e32 v[54:55], v49, v[22:23]
	s_delay_alu instid0(VALU_DEP_1)
	v_dual_sub_nc_u32 v48, 29, v48 :: v_dual_bitop2_b32 v22, 7, v54 bitop3:0x40
; %bb.713:                              ;   in Loop: Header=BB219_548 Depth=1
	s_or_b32 exec_lo, exec_lo, s16
	s_delay_alu instid0(VALU_DEP_1) | instskip(NEXT) | instid1(VALU_DEP_2)
	v_dual_lshlrev_b32 v49, 24, v53 :: v_dual_lshlrev_b32 v22, 20, v22
	v_lshl_add_u32 v48, v48, 23, 0x3c000000
	s_delay_alu instid0(VALU_DEP_2) | instskip(NEXT) | instid1(VALU_DEP_1)
	v_and_b32_e32 v49, 0x80000000, v49
	v_or3_b32 v49, v22, v49, v48
	v_mov_b32_e32 v48, v23
.LBB219_714:                            ;   in Loop: Header=BB219_548 Depth=1
	s_or_b32 exec_lo, exec_lo, s15
.LBB219_715:                            ;   in Loop: Header=BB219_548 Depth=1
	s_delay_alu instid0(SALU_CYCLE_1)
	s_or_b32 exec_lo, exec_lo, s14
.LBB219_716:                            ;   in Loop: Header=BB219_548 Depth=1
	s_delay_alu instid0(SALU_CYCLE_1)
	s_or_b32 exec_lo, exec_lo, s11
	v_or_b32_e32 v1, v1, v47
	v_or_b32_e32 v0, v0, v46
	v_mov_b64_e32 v[46:47], s[2:3]
	v_or_b32_e32 v51, v49, v51
	v_or_b32_e32 v50, v48, v50
	s_delay_alu instid0(VALU_DEP_3) | instskip(NEXT) | instid1(VALU_DEP_2)
	v_pk_mul_f32 v[48:49], v[46:47], v[0:1]
	v_pk_mul_f32 v[46:47], v[46:47], v[50:51]
	s_and_saveexec_b32 s11, vcc_lo
	s_cbranch_execz .LBB219_718
; %bb.717:                              ;   in Loop: Header=BB219_548 Depth=1
	v_cmp_gt_i32_e64 s0, s27, v98
	s_delay_alu instid0(VALU_DEP_1) | instskip(SKIP_1) | instid1(VALU_DEP_1)
	v_cndmask_b32_e64 v48, 0, v48, s0
	v_cmp_gt_i32_e64 s0, s27, v101
	v_cndmask_b32_e64 v49, 0, v49, s0
	v_cmp_gt_i32_e64 s0, s27, v93
	s_delay_alu instid0(VALU_DEP_1) | instskip(SKIP_1) | instid1(VALU_DEP_1)
	v_cndmask_b32_e64 v46, 0, v46, s0
	v_cmp_gt_i32_e64 s0, s27, v92
	v_cndmask_b32_e64 v47, 0, v47, s0
.LBB219_718:                            ;   in Loop: Header=BB219_548 Depth=1
	s_or_b32 exec_lo, exec_lo, s11
	global_load_b32 v56, v[32:33], off offset:640
	v_mov_b64_e32 v[0:1], 0
	v_mov_b64_e32 v[50:51], 0
	s_mov_b32 s11, exec_lo
	s_wait_loadcnt 0x0
	v_and_b32_e32 v22, 0xff, v56
	s_delay_alu instid0(VALU_DEP_1)
	v_cmpx_ne_u16_e32 0, v22
	s_cbranch_execz .LBB219_726
; %bb.719:                              ;   in Loop: Header=BB219_548 Depth=1
	v_mov_b64_e32 v[50:51], 0x80000000
	s_mov_b32 s14, exec_lo
	v_cmpx_ne_u16_e32 0x80, v22
	s_cbranch_execz .LBB219_725
; %bb.720:                              ;   in Loop: Header=BB219_548 Depth=1
	v_mov_b64_e32 v[50:51], 0x7f800001
	v_and_b32_e32 v52, 0x7f, v56
	s_mov_b32 s15, exec_lo
	s_delay_alu instid0(VALU_DEP_1)
	v_cmpx_ne_u32_e32 0x7f, v52
	s_cbranch_execz .LBB219_724
; %bb.721:                              ;   in Loop: Header=BB219_548 Depth=1
	v_and_b32_e32 v22, 7, v56
	v_lshrrev_b32_e32 v50, 3, v52
	s_mov_b32 s16, exec_lo
	v_cmpx_gt_u32_e32 8, v52
; %bb.722:                              ;   in Loop: Header=BB219_548 Depth=1
	s_delay_alu instid0(VALU_DEP_3) | instskip(NEXT) | instid1(VALU_DEP_1)
	v_clz_i32_u32_e32 v50, v22
	v_min_u32_e32 v50, 32, v50
	s_delay_alu instid0(VALU_DEP_1) | instskip(NEXT) | instid1(VALU_DEP_1)
	v_subrev_nc_u32_e32 v51, 28, v50
	v_lshlrev_b64_e32 v[52:53], v51, v[22:23]
	s_delay_alu instid0(VALU_DEP_1)
	v_dual_sub_nc_u32 v50, 29, v50 :: v_dual_bitop2_b32 v22, 7, v52 bitop3:0x40
; %bb.723:                              ;   in Loop: Header=BB219_548 Depth=1
	s_or_b32 exec_lo, exec_lo, s16
	s_delay_alu instid0(VALU_DEP_1) | instskip(NEXT) | instid1(VALU_DEP_2)
	v_dual_lshlrev_b32 v51, 24, v56 :: v_dual_lshlrev_b32 v22, 20, v22
	v_lshl_add_u32 v50, v50, 23, 0x3c000000
	s_delay_alu instid0(VALU_DEP_2) | instskip(NEXT) | instid1(VALU_DEP_1)
	v_and_b32_e32 v51, 0x80000000, v51
	v_or3_b32 v22, v22, v51, v50
	s_delay_alu instid0(VALU_DEP_1)
	v_mov_b64_e32 v[50:51], v[22:23]
.LBB219_724:                            ;   in Loop: Header=BB219_548 Depth=1
	s_or_b32 exec_lo, exec_lo, s15
.LBB219_725:                            ;   in Loop: Header=BB219_548 Depth=1
	s_delay_alu instid0(SALU_CYCLE_1)
	s_or_b32 exec_lo, exec_lo, s14
.LBB219_726:                            ;   in Loop: Header=BB219_548 Depth=1
	s_delay_alu instid0(SALU_CYCLE_1) | instskip(SKIP_2) | instid1(VALU_DEP_1)
	s_or_b32 exec_lo, exec_lo, s11
	v_lshrrev_b16 v22, 8, v56
	s_mov_b32 s11, exec_lo
	v_cmpx_ne_u16_e32 0, v22
	s_cbranch_execz .LBB219_734
; %bb.727:                              ;   in Loop: Header=BB219_548 Depth=1
	v_mov_b64_e32 v[0:1], 0x8000000000000000
	s_mov_b32 s14, exec_lo
	v_cmpx_ne_u16_e32 0x80, v22
	s_cbranch_execz .LBB219_733
; %bb.728:                              ;   in Loop: Header=BB219_548 Depth=1
	v_and_b32_e32 v22, 0xffff, v22
	v_mov_b64_e32 v[0:1], 0x7f80000100000000
	s_mov_b32 s15, exec_lo
	s_delay_alu instid0(VALU_DEP_2) | instskip(NEXT) | instid1(VALU_DEP_1)
	v_and_b32_e32 v52, 0x7f, v22
	v_cmpx_ne_u32_e32 0x7f, v52
	s_cbranch_execz .LBB219_732
; %bb.729:                              ;   in Loop: Header=BB219_548 Depth=1
	v_dual_lshrrev_b32 v0, 3, v52 :: v_dual_bitop2_b32 v22, 7, v22 bitop3:0x40
	s_mov_b32 s16, exec_lo
	v_cmpx_gt_u32_e32 8, v52
; %bb.730:                              ;   in Loop: Header=BB219_548 Depth=1
	s_delay_alu instid0(VALU_DEP_2) | instskip(NEXT) | instid1(VALU_DEP_1)
	v_clz_i32_u32_e32 v0, v22
	v_min_u32_e32 v0, 32, v0
	s_delay_alu instid0(VALU_DEP_1) | instskip(SKIP_1) | instid1(VALU_DEP_2)
	v_subrev_nc_u32_e32 v1, 28, v0
	v_sub_nc_u32_e32 v0, 29, v0
	v_lshlrev_b64_e32 v[52:53], v1, v[22:23]
	s_delay_alu instid0(VALU_DEP_1)
	v_and_b32_e32 v22, 7, v52
; %bb.731:                              ;   in Loop: Header=BB219_548 Depth=1
	s_or_b32 exec_lo, exec_lo, s16
	s_delay_alu instid0(VALU_DEP_1) | instskip(SKIP_1) | instid1(VALU_DEP_2)
	v_dual_lshlrev_b32 v1, 16, v56 :: v_dual_lshlrev_b32 v22, 20, v22
	v_lshl_add_u32 v0, v0, 23, 0x3c000000
	v_and_b32_e32 v1, 0x80000000, v1
	s_delay_alu instid0(VALU_DEP_1)
	v_or3_b32 v1, v22, v1, v0
	v_mov_b32_e32 v0, v23
.LBB219_732:                            ;   in Loop: Header=BB219_548 Depth=1
	s_or_b32 exec_lo, exec_lo, s15
.LBB219_733:                            ;   in Loop: Header=BB219_548 Depth=1
	s_delay_alu instid0(SALU_CYCLE_1)
	s_or_b32 exec_lo, exec_lo, s14
.LBB219_734:                            ;   in Loop: Header=BB219_548 Depth=1
	s_delay_alu instid0(SALU_CYCLE_1) | instskip(SKIP_4) | instid1(VALU_DEP_3)
	s_or_b32 exec_lo, exec_lo, s11
	v_lshrrev_b32_e32 v57, 16, v56
	v_mov_b64_e32 v[52:53], 0
	v_mov_b64_e32 v[54:55], 0
	s_mov_b32 s11, exec_lo
	v_and_b32_e32 v22, 0xff, v57
	s_delay_alu instid0(VALU_DEP_1)
	v_cmpx_ne_u16_e32 0, v22
	s_cbranch_execz .LBB219_742
; %bb.735:                              ;   in Loop: Header=BB219_548 Depth=1
	v_mov_b64_e32 v[54:55], 0x80000000
	s_mov_b32 s14, exec_lo
	v_cmpx_ne_u16_e32 0x80, v22
	s_cbranch_execz .LBB219_741
; %bb.736:                              ;   in Loop: Header=BB219_548 Depth=1
	v_mov_b64_e32 v[54:55], 0x7f800001
	v_bfe_u32 v58, v56, 16, 7
	s_mov_b32 s15, exec_lo
	s_delay_alu instid0(VALU_DEP_1)
	v_cmpx_ne_u32_e32 0x7f, v58
	s_cbranch_execz .LBB219_740
; %bb.737:                              ;   in Loop: Header=BB219_548 Depth=1
	v_dual_lshrrev_b32 v54, 3, v58 :: v_dual_bitop2_b32 v22, 7, v57 bitop3:0x40
	s_mov_b32 s16, exec_lo
	v_cmpx_gt_u32_e32 8, v58
; %bb.738:                              ;   in Loop: Header=BB219_548 Depth=1
	s_delay_alu instid0(VALU_DEP_2) | instskip(NEXT) | instid1(VALU_DEP_1)
	v_clz_i32_u32_e32 v54, v22
	v_min_u32_e32 v54, 32, v54
	s_delay_alu instid0(VALU_DEP_1) | instskip(SKIP_1) | instid1(VALU_DEP_2)
	v_subrev_nc_u32_e32 v55, 28, v54
	v_sub_nc_u32_e32 v54, 29, v54
	v_lshlrev_b64_e32 v[58:59], v55, v[22:23]
	s_delay_alu instid0(VALU_DEP_1)
	v_and_b32_e32 v22, 7, v58
; %bb.739:                              ;   in Loop: Header=BB219_548 Depth=1
	s_or_b32 exec_lo, exec_lo, s16
	s_delay_alu instid0(VALU_DEP_1) | instskip(SKIP_1) | instid1(VALU_DEP_2)
	v_dual_lshlrev_b32 v55, 24, v57 :: v_dual_lshlrev_b32 v22, 20, v22
	v_lshl_add_u32 v54, v54, 23, 0x3c000000
	v_and_b32_e32 v55, 0x80000000, v55
	s_delay_alu instid0(VALU_DEP_1) | instskip(NEXT) | instid1(VALU_DEP_1)
	v_or3_b32 v22, v22, v55, v54
	v_mov_b64_e32 v[54:55], v[22:23]
.LBB219_740:                            ;   in Loop: Header=BB219_548 Depth=1
	s_or_b32 exec_lo, exec_lo, s15
.LBB219_741:                            ;   in Loop: Header=BB219_548 Depth=1
	s_delay_alu instid0(SALU_CYCLE_1)
	s_or_b32 exec_lo, exec_lo, s14
.LBB219_742:                            ;   in Loop: Header=BB219_548 Depth=1
	s_delay_alu instid0(SALU_CYCLE_1) | instskip(NEXT) | instid1(SALU_CYCLE_1)
	s_or_b32 exec_lo, exec_lo, s11
	s_mov_b32 s11, exec_lo
	v_cmpx_lt_u32_e32 0xffffff, v56
	s_cbranch_execz .LBB219_750
; %bb.743:                              ;   in Loop: Header=BB219_548 Depth=1
	v_mov_b64_e32 v[52:53], 0x8000000000000000
	v_lshrrev_b32_e32 v57, 24, v56
	s_mov_b32 s14, exec_lo
	s_delay_alu instid0(VALU_DEP_1)
	v_cmpx_ne_u32_e32 0x80, v57
	s_cbranch_execz .LBB219_749
; %bb.744:                              ;   in Loop: Header=BB219_548 Depth=1
	v_mov_b64_e32 v[52:53], 0x7f80000100000000
	v_bfe_u32 v56, v56, 24, 7
	s_mov_b32 s15, exec_lo
	s_delay_alu instid0(VALU_DEP_1)
	v_cmpx_ne_u32_e32 0x7f, v56
	s_cbranch_execz .LBB219_748
; %bb.745:                              ;   in Loop: Header=BB219_548 Depth=1
	v_dual_lshrrev_b32 v52, 3, v56 :: v_dual_bitop2_b32 v22, 7, v57 bitop3:0x40
	s_mov_b32 s16, exec_lo
	v_cmpx_gt_u32_e32 8, v56
; %bb.746:                              ;   in Loop: Header=BB219_548 Depth=1
	s_delay_alu instid0(VALU_DEP_2) | instskip(NEXT) | instid1(VALU_DEP_1)
	v_clz_i32_u32_e32 v52, v22
	v_min_u32_e32 v52, 32, v52
	s_delay_alu instid0(VALU_DEP_1) | instskip(NEXT) | instid1(VALU_DEP_1)
	v_subrev_nc_u32_e32 v53, 28, v52
	v_lshlrev_b64_e32 v[58:59], v53, v[22:23]
	s_delay_alu instid0(VALU_DEP_1)
	v_dual_sub_nc_u32 v52, 29, v52 :: v_dual_bitop2_b32 v22, 7, v58 bitop3:0x40
; %bb.747:                              ;   in Loop: Header=BB219_548 Depth=1
	s_or_b32 exec_lo, exec_lo, s16
	s_delay_alu instid0(VALU_DEP_1) | instskip(NEXT) | instid1(VALU_DEP_2)
	v_dual_lshlrev_b32 v53, 24, v57 :: v_dual_lshlrev_b32 v22, 20, v22
	v_lshl_add_u32 v52, v52, 23, 0x3c000000
	s_delay_alu instid0(VALU_DEP_2) | instskip(NEXT) | instid1(VALU_DEP_1)
	v_and_b32_e32 v53, 0x80000000, v53
	v_or3_b32 v53, v22, v53, v52
	v_mov_b32_e32 v52, v23
.LBB219_748:                            ;   in Loop: Header=BB219_548 Depth=1
	s_or_b32 exec_lo, exec_lo, s15
.LBB219_749:                            ;   in Loop: Header=BB219_548 Depth=1
	s_delay_alu instid0(SALU_CYCLE_1)
	s_or_b32 exec_lo, exec_lo, s14
.LBB219_750:                            ;   in Loop: Header=BB219_548 Depth=1
	s_delay_alu instid0(SALU_CYCLE_1)
	s_or_b32 exec_lo, exec_lo, s11
	v_or_b32_e32 v1, v1, v51
	v_or_b32_e32 v0, v0, v50
	v_mov_b64_e32 v[50:51], s[2:3]
	v_or_b32_e32 v55, v53, v55
	v_or_b32_e32 v54, v52, v54
	s_delay_alu instid0(VALU_DEP_3) | instskip(NEXT) | instid1(VALU_DEP_2)
	v_pk_mul_f32 v[52:53], v[50:51], v[0:1]
	v_pk_mul_f32 v[50:51], v[50:51], v[54:55]
	s_and_saveexec_b32 s11, vcc_lo
	s_cbranch_execz .LBB219_752
; %bb.751:                              ;   in Loop: Header=BB219_548 Depth=1
	v_cmp_gt_i32_e64 s0, s27, v98
	s_delay_alu instid0(VALU_DEP_1) | instskip(SKIP_1) | instid1(VALU_DEP_1)
	v_cndmask_b32_e64 v52, 0, v52, s0
	v_cmp_gt_i32_e64 s0, s27, v101
	v_cndmask_b32_e64 v53, 0, v53, s0
	v_cmp_gt_i32_e64 s0, s27, v93
	s_delay_alu instid0(VALU_DEP_1) | instskip(SKIP_1) | instid1(VALU_DEP_1)
	v_cndmask_b32_e64 v50, 0, v50, s0
	v_cmp_gt_i32_e64 s0, s27, v92
	v_cndmask_b32_e64 v51, 0, v51, s0
.LBB219_752:                            ;   in Loop: Header=BB219_548 Depth=1
	s_or_b32 exec_lo, exec_lo, s11
	global_load_b32 v60, v[32:33], off offset:768
	v_mov_b64_e32 v[0:1], 0
	v_mov_b64_e32 v[54:55], 0
	s_mov_b32 s11, exec_lo
	s_wait_loadcnt 0x0
	v_and_b32_e32 v22, 0xff, v60
	s_delay_alu instid0(VALU_DEP_1)
	v_cmpx_ne_u16_e32 0, v22
	s_cbranch_execz .LBB219_760
; %bb.753:                              ;   in Loop: Header=BB219_548 Depth=1
	v_mov_b64_e32 v[54:55], 0x80000000
	s_mov_b32 s14, exec_lo
	v_cmpx_ne_u16_e32 0x80, v22
	s_cbranch_execz .LBB219_759
; %bb.754:                              ;   in Loop: Header=BB219_548 Depth=1
	v_mov_b64_e32 v[54:55], 0x7f800001
	v_and_b32_e32 v56, 0x7f, v60
	s_mov_b32 s15, exec_lo
	s_delay_alu instid0(VALU_DEP_1)
	v_cmpx_ne_u32_e32 0x7f, v56
	s_cbranch_execz .LBB219_758
; %bb.755:                              ;   in Loop: Header=BB219_548 Depth=1
	v_and_b32_e32 v22, 7, v60
	v_lshrrev_b32_e32 v54, 3, v56
	s_mov_b32 s16, exec_lo
	v_cmpx_gt_u32_e32 8, v56
; %bb.756:                              ;   in Loop: Header=BB219_548 Depth=1
	s_delay_alu instid0(VALU_DEP_3) | instskip(NEXT) | instid1(VALU_DEP_1)
	v_clz_i32_u32_e32 v54, v22
	v_min_u32_e32 v54, 32, v54
	s_delay_alu instid0(VALU_DEP_1) | instskip(NEXT) | instid1(VALU_DEP_1)
	v_subrev_nc_u32_e32 v55, 28, v54
	v_lshlrev_b64_e32 v[56:57], v55, v[22:23]
	s_delay_alu instid0(VALU_DEP_1)
	v_dual_sub_nc_u32 v54, 29, v54 :: v_dual_bitop2_b32 v22, 7, v56 bitop3:0x40
; %bb.757:                              ;   in Loop: Header=BB219_548 Depth=1
	s_or_b32 exec_lo, exec_lo, s16
	s_delay_alu instid0(VALU_DEP_1) | instskip(NEXT) | instid1(VALU_DEP_2)
	v_dual_lshlrev_b32 v55, 24, v60 :: v_dual_lshlrev_b32 v22, 20, v22
	v_lshl_add_u32 v54, v54, 23, 0x3c000000
	s_delay_alu instid0(VALU_DEP_2) | instskip(NEXT) | instid1(VALU_DEP_1)
	v_and_b32_e32 v55, 0x80000000, v55
	v_or3_b32 v22, v22, v55, v54
	s_delay_alu instid0(VALU_DEP_1)
	v_mov_b64_e32 v[54:55], v[22:23]
.LBB219_758:                            ;   in Loop: Header=BB219_548 Depth=1
	s_or_b32 exec_lo, exec_lo, s15
.LBB219_759:                            ;   in Loop: Header=BB219_548 Depth=1
	s_delay_alu instid0(SALU_CYCLE_1)
	s_or_b32 exec_lo, exec_lo, s14
.LBB219_760:                            ;   in Loop: Header=BB219_548 Depth=1
	s_delay_alu instid0(SALU_CYCLE_1) | instskip(SKIP_2) | instid1(VALU_DEP_1)
	s_or_b32 exec_lo, exec_lo, s11
	v_lshrrev_b16 v22, 8, v60
	s_mov_b32 s11, exec_lo
	v_cmpx_ne_u16_e32 0, v22
	s_cbranch_execz .LBB219_768
; %bb.761:                              ;   in Loop: Header=BB219_548 Depth=1
	v_mov_b64_e32 v[0:1], 0x8000000000000000
	s_mov_b32 s14, exec_lo
	v_cmpx_ne_u16_e32 0x80, v22
	s_cbranch_execz .LBB219_767
; %bb.762:                              ;   in Loop: Header=BB219_548 Depth=1
	v_and_b32_e32 v22, 0xffff, v22
	v_mov_b64_e32 v[0:1], 0x7f80000100000000
	s_mov_b32 s15, exec_lo
	s_delay_alu instid0(VALU_DEP_2) | instskip(NEXT) | instid1(VALU_DEP_1)
	v_and_b32_e32 v56, 0x7f, v22
	v_cmpx_ne_u32_e32 0x7f, v56
	s_cbranch_execz .LBB219_766
; %bb.763:                              ;   in Loop: Header=BB219_548 Depth=1
	v_dual_lshrrev_b32 v0, 3, v56 :: v_dual_bitop2_b32 v22, 7, v22 bitop3:0x40
	s_mov_b32 s16, exec_lo
	v_cmpx_gt_u32_e32 8, v56
; %bb.764:                              ;   in Loop: Header=BB219_548 Depth=1
	s_delay_alu instid0(VALU_DEP_2) | instskip(NEXT) | instid1(VALU_DEP_1)
	v_clz_i32_u32_e32 v0, v22
	v_min_u32_e32 v0, 32, v0
	s_delay_alu instid0(VALU_DEP_1) | instskip(SKIP_1) | instid1(VALU_DEP_2)
	v_subrev_nc_u32_e32 v1, 28, v0
	v_sub_nc_u32_e32 v0, 29, v0
	v_lshlrev_b64_e32 v[56:57], v1, v[22:23]
	s_delay_alu instid0(VALU_DEP_1)
	v_and_b32_e32 v22, 7, v56
; %bb.765:                              ;   in Loop: Header=BB219_548 Depth=1
	s_or_b32 exec_lo, exec_lo, s16
	s_delay_alu instid0(VALU_DEP_1) | instskip(SKIP_1) | instid1(VALU_DEP_2)
	v_dual_lshlrev_b32 v1, 16, v60 :: v_dual_lshlrev_b32 v22, 20, v22
	v_lshl_add_u32 v0, v0, 23, 0x3c000000
	v_and_b32_e32 v1, 0x80000000, v1
	s_delay_alu instid0(VALU_DEP_1)
	v_or3_b32 v1, v22, v1, v0
	v_mov_b32_e32 v0, v23
.LBB219_766:                            ;   in Loop: Header=BB219_548 Depth=1
	s_or_b32 exec_lo, exec_lo, s15
.LBB219_767:                            ;   in Loop: Header=BB219_548 Depth=1
	s_delay_alu instid0(SALU_CYCLE_1)
	s_or_b32 exec_lo, exec_lo, s14
.LBB219_768:                            ;   in Loop: Header=BB219_548 Depth=1
	s_delay_alu instid0(SALU_CYCLE_1) | instskip(SKIP_4) | instid1(VALU_DEP_3)
	s_or_b32 exec_lo, exec_lo, s11
	v_lshrrev_b32_e32 v61, 16, v60
	v_mov_b64_e32 v[56:57], 0
	v_mov_b64_e32 v[58:59], 0
	s_mov_b32 s11, exec_lo
	v_and_b32_e32 v22, 0xff, v61
	s_delay_alu instid0(VALU_DEP_1)
	v_cmpx_ne_u16_e32 0, v22
	s_cbranch_execz .LBB219_776
; %bb.769:                              ;   in Loop: Header=BB219_548 Depth=1
	v_mov_b64_e32 v[58:59], 0x80000000
	s_mov_b32 s14, exec_lo
	v_cmpx_ne_u16_e32 0x80, v22
	s_cbranch_execz .LBB219_775
; %bb.770:                              ;   in Loop: Header=BB219_548 Depth=1
	v_mov_b64_e32 v[58:59], 0x7f800001
	v_bfe_u32 v62, v60, 16, 7
	s_mov_b32 s15, exec_lo
	s_delay_alu instid0(VALU_DEP_1)
	v_cmpx_ne_u32_e32 0x7f, v62
	s_cbranch_execz .LBB219_774
; %bb.771:                              ;   in Loop: Header=BB219_548 Depth=1
	v_dual_lshrrev_b32 v58, 3, v62 :: v_dual_bitop2_b32 v22, 7, v61 bitop3:0x40
	s_mov_b32 s16, exec_lo
	v_cmpx_gt_u32_e32 8, v62
; %bb.772:                              ;   in Loop: Header=BB219_548 Depth=1
	s_delay_alu instid0(VALU_DEP_2) | instskip(NEXT) | instid1(VALU_DEP_1)
	v_clz_i32_u32_e32 v58, v22
	v_min_u32_e32 v58, 32, v58
	s_delay_alu instid0(VALU_DEP_1) | instskip(SKIP_1) | instid1(VALU_DEP_2)
	v_subrev_nc_u32_e32 v59, 28, v58
	v_sub_nc_u32_e32 v58, 29, v58
	v_lshlrev_b64_e32 v[62:63], v59, v[22:23]
	s_delay_alu instid0(VALU_DEP_1)
	v_and_b32_e32 v22, 7, v62
; %bb.773:                              ;   in Loop: Header=BB219_548 Depth=1
	s_or_b32 exec_lo, exec_lo, s16
	s_delay_alu instid0(VALU_DEP_1) | instskip(SKIP_1) | instid1(VALU_DEP_2)
	v_dual_lshlrev_b32 v59, 24, v61 :: v_dual_lshlrev_b32 v22, 20, v22
	v_lshl_add_u32 v58, v58, 23, 0x3c000000
	v_and_b32_e32 v59, 0x80000000, v59
	s_delay_alu instid0(VALU_DEP_1) | instskip(NEXT) | instid1(VALU_DEP_1)
	v_or3_b32 v22, v22, v59, v58
	v_mov_b64_e32 v[58:59], v[22:23]
.LBB219_774:                            ;   in Loop: Header=BB219_548 Depth=1
	s_or_b32 exec_lo, exec_lo, s15
.LBB219_775:                            ;   in Loop: Header=BB219_548 Depth=1
	s_delay_alu instid0(SALU_CYCLE_1)
	s_or_b32 exec_lo, exec_lo, s14
.LBB219_776:                            ;   in Loop: Header=BB219_548 Depth=1
	s_delay_alu instid0(SALU_CYCLE_1) | instskip(NEXT) | instid1(SALU_CYCLE_1)
	s_or_b32 exec_lo, exec_lo, s11
	s_mov_b32 s11, exec_lo
	v_cmpx_lt_u32_e32 0xffffff, v60
	s_cbranch_execz .LBB219_784
; %bb.777:                              ;   in Loop: Header=BB219_548 Depth=1
	v_mov_b64_e32 v[56:57], 0x8000000000000000
	v_lshrrev_b32_e32 v61, 24, v60
	s_mov_b32 s14, exec_lo
	s_delay_alu instid0(VALU_DEP_1)
	v_cmpx_ne_u32_e32 0x80, v61
	s_cbranch_execz .LBB219_783
; %bb.778:                              ;   in Loop: Header=BB219_548 Depth=1
	v_mov_b64_e32 v[56:57], 0x7f80000100000000
	v_bfe_u32 v60, v60, 24, 7
	s_mov_b32 s15, exec_lo
	s_delay_alu instid0(VALU_DEP_1)
	v_cmpx_ne_u32_e32 0x7f, v60
	s_cbranch_execz .LBB219_782
; %bb.779:                              ;   in Loop: Header=BB219_548 Depth=1
	v_dual_lshrrev_b32 v56, 3, v60 :: v_dual_bitop2_b32 v22, 7, v61 bitop3:0x40
	s_mov_b32 s16, exec_lo
	v_cmpx_gt_u32_e32 8, v60
; %bb.780:                              ;   in Loop: Header=BB219_548 Depth=1
	s_delay_alu instid0(VALU_DEP_2) | instskip(NEXT) | instid1(VALU_DEP_1)
	v_clz_i32_u32_e32 v56, v22
	v_min_u32_e32 v56, 32, v56
	s_delay_alu instid0(VALU_DEP_1) | instskip(NEXT) | instid1(VALU_DEP_1)
	v_subrev_nc_u32_e32 v57, 28, v56
	v_lshlrev_b64_e32 v[62:63], v57, v[22:23]
	s_delay_alu instid0(VALU_DEP_1)
	v_dual_sub_nc_u32 v56, 29, v56 :: v_dual_bitop2_b32 v22, 7, v62 bitop3:0x40
; %bb.781:                              ;   in Loop: Header=BB219_548 Depth=1
	s_or_b32 exec_lo, exec_lo, s16
	s_delay_alu instid0(VALU_DEP_1) | instskip(NEXT) | instid1(VALU_DEP_2)
	v_dual_lshlrev_b32 v57, 24, v61 :: v_dual_lshlrev_b32 v22, 20, v22
	v_lshl_add_u32 v56, v56, 23, 0x3c000000
	s_delay_alu instid0(VALU_DEP_2) | instskip(NEXT) | instid1(VALU_DEP_1)
	v_and_b32_e32 v57, 0x80000000, v57
	v_or3_b32 v57, v22, v57, v56
	v_mov_b32_e32 v56, v23
.LBB219_782:                            ;   in Loop: Header=BB219_548 Depth=1
	s_or_b32 exec_lo, exec_lo, s15
.LBB219_783:                            ;   in Loop: Header=BB219_548 Depth=1
	s_delay_alu instid0(SALU_CYCLE_1)
	s_or_b32 exec_lo, exec_lo, s14
.LBB219_784:                            ;   in Loop: Header=BB219_548 Depth=1
	s_delay_alu instid0(SALU_CYCLE_1)
	s_or_b32 exec_lo, exec_lo, s11
	v_or_b32_e32 v1, v1, v55
	v_or_b32_e32 v0, v0, v54
	v_mov_b64_e32 v[54:55], s[2:3]
	v_or_b32_e32 v59, v57, v59
	v_or_b32_e32 v58, v56, v58
	s_delay_alu instid0(VALU_DEP_3) | instskip(NEXT) | instid1(VALU_DEP_2)
	v_pk_mul_f32 v[56:57], v[54:55], v[0:1]
	v_pk_mul_f32 v[54:55], v[54:55], v[58:59]
	s_and_saveexec_b32 s11, vcc_lo
	s_cbranch_execz .LBB219_786
; %bb.785:                              ;   in Loop: Header=BB219_548 Depth=1
	v_cmp_gt_i32_e64 s0, s27, v98
	s_delay_alu instid0(VALU_DEP_1) | instskip(SKIP_1) | instid1(VALU_DEP_1)
	v_cndmask_b32_e64 v56, 0, v56, s0
	v_cmp_gt_i32_e64 s0, s27, v101
	v_cndmask_b32_e64 v57, 0, v57, s0
	v_cmp_gt_i32_e64 s0, s27, v93
	s_delay_alu instid0(VALU_DEP_1) | instskip(SKIP_1) | instid1(VALU_DEP_1)
	v_cndmask_b32_e64 v54, 0, v54, s0
	v_cmp_gt_i32_e64 s0, s27, v92
	v_cndmask_b32_e64 v55, 0, v55, s0
.LBB219_786:                            ;   in Loop: Header=BB219_548 Depth=1
	s_or_b32 exec_lo, exec_lo, s11
	global_load_b32 v64, v[32:33], off offset:896
	v_mov_b64_e32 v[0:1], 0
	v_mov_b64_e32 v[58:59], 0
	s_mov_b32 s11, exec_lo
	s_wait_loadcnt 0x0
	v_and_b32_e32 v22, 0xff, v64
	s_delay_alu instid0(VALU_DEP_1)
	v_cmpx_ne_u16_e32 0, v22
	s_cbranch_execz .LBB219_794
; %bb.787:                              ;   in Loop: Header=BB219_548 Depth=1
	v_mov_b64_e32 v[58:59], 0x80000000
	s_mov_b32 s14, exec_lo
	v_cmpx_ne_u16_e32 0x80, v22
	s_cbranch_execz .LBB219_793
; %bb.788:                              ;   in Loop: Header=BB219_548 Depth=1
	v_mov_b64_e32 v[58:59], 0x7f800001
	v_and_b32_e32 v60, 0x7f, v64
	s_mov_b32 s15, exec_lo
	s_delay_alu instid0(VALU_DEP_1)
	v_cmpx_ne_u32_e32 0x7f, v60
	s_cbranch_execz .LBB219_792
; %bb.789:                              ;   in Loop: Header=BB219_548 Depth=1
	v_and_b32_e32 v22, 7, v64
	v_lshrrev_b32_e32 v58, 3, v60
	s_mov_b32 s16, exec_lo
	v_cmpx_gt_u32_e32 8, v60
; %bb.790:                              ;   in Loop: Header=BB219_548 Depth=1
	s_delay_alu instid0(VALU_DEP_3) | instskip(NEXT) | instid1(VALU_DEP_1)
	v_clz_i32_u32_e32 v58, v22
	v_min_u32_e32 v58, 32, v58
	s_delay_alu instid0(VALU_DEP_1) | instskip(NEXT) | instid1(VALU_DEP_1)
	v_subrev_nc_u32_e32 v59, 28, v58
	v_lshlrev_b64_e32 v[60:61], v59, v[22:23]
	s_delay_alu instid0(VALU_DEP_1)
	v_dual_sub_nc_u32 v58, 29, v58 :: v_dual_bitop2_b32 v22, 7, v60 bitop3:0x40
; %bb.791:                              ;   in Loop: Header=BB219_548 Depth=1
	s_or_b32 exec_lo, exec_lo, s16
	s_delay_alu instid0(VALU_DEP_1) | instskip(NEXT) | instid1(VALU_DEP_2)
	v_dual_lshlrev_b32 v59, 24, v64 :: v_dual_lshlrev_b32 v22, 20, v22
	v_lshl_add_u32 v58, v58, 23, 0x3c000000
	s_delay_alu instid0(VALU_DEP_2) | instskip(NEXT) | instid1(VALU_DEP_1)
	v_and_b32_e32 v59, 0x80000000, v59
	v_or3_b32 v22, v22, v59, v58
	s_delay_alu instid0(VALU_DEP_1)
	v_mov_b64_e32 v[58:59], v[22:23]
.LBB219_792:                            ;   in Loop: Header=BB219_548 Depth=1
	s_or_b32 exec_lo, exec_lo, s15
.LBB219_793:                            ;   in Loop: Header=BB219_548 Depth=1
	s_delay_alu instid0(SALU_CYCLE_1)
	s_or_b32 exec_lo, exec_lo, s14
.LBB219_794:                            ;   in Loop: Header=BB219_548 Depth=1
	s_delay_alu instid0(SALU_CYCLE_1) | instskip(SKIP_2) | instid1(VALU_DEP_1)
	s_or_b32 exec_lo, exec_lo, s11
	v_lshrrev_b16 v22, 8, v64
	s_mov_b32 s11, exec_lo
	v_cmpx_ne_u16_e32 0, v22
	s_cbranch_execz .LBB219_802
; %bb.795:                              ;   in Loop: Header=BB219_548 Depth=1
	v_mov_b64_e32 v[0:1], 0x8000000000000000
	s_mov_b32 s14, exec_lo
	v_cmpx_ne_u16_e32 0x80, v22
	s_cbranch_execz .LBB219_801
; %bb.796:                              ;   in Loop: Header=BB219_548 Depth=1
	v_and_b32_e32 v22, 0xffff, v22
	v_mov_b64_e32 v[0:1], 0x7f80000100000000
	s_mov_b32 s15, exec_lo
	s_delay_alu instid0(VALU_DEP_2) | instskip(NEXT) | instid1(VALU_DEP_1)
	v_and_b32_e32 v60, 0x7f, v22
	v_cmpx_ne_u32_e32 0x7f, v60
	s_cbranch_execz .LBB219_800
; %bb.797:                              ;   in Loop: Header=BB219_548 Depth=1
	v_dual_lshrrev_b32 v0, 3, v60 :: v_dual_bitop2_b32 v22, 7, v22 bitop3:0x40
	s_mov_b32 s16, exec_lo
	v_cmpx_gt_u32_e32 8, v60
; %bb.798:                              ;   in Loop: Header=BB219_548 Depth=1
	s_delay_alu instid0(VALU_DEP_2) | instskip(NEXT) | instid1(VALU_DEP_1)
	v_clz_i32_u32_e32 v0, v22
	v_min_u32_e32 v0, 32, v0
	s_delay_alu instid0(VALU_DEP_1) | instskip(SKIP_1) | instid1(VALU_DEP_2)
	v_subrev_nc_u32_e32 v1, 28, v0
	v_sub_nc_u32_e32 v0, 29, v0
	v_lshlrev_b64_e32 v[60:61], v1, v[22:23]
	s_delay_alu instid0(VALU_DEP_1)
	v_and_b32_e32 v22, 7, v60
; %bb.799:                              ;   in Loop: Header=BB219_548 Depth=1
	s_or_b32 exec_lo, exec_lo, s16
	s_delay_alu instid0(VALU_DEP_1) | instskip(SKIP_1) | instid1(VALU_DEP_2)
	v_dual_lshlrev_b32 v1, 16, v64 :: v_dual_lshlrev_b32 v22, 20, v22
	v_lshl_add_u32 v0, v0, 23, 0x3c000000
	v_and_b32_e32 v1, 0x80000000, v1
	s_delay_alu instid0(VALU_DEP_1)
	v_or3_b32 v1, v22, v1, v0
	v_mov_b32_e32 v0, v23
.LBB219_800:                            ;   in Loop: Header=BB219_548 Depth=1
	s_or_b32 exec_lo, exec_lo, s15
.LBB219_801:                            ;   in Loop: Header=BB219_548 Depth=1
	s_delay_alu instid0(SALU_CYCLE_1)
	s_or_b32 exec_lo, exec_lo, s14
.LBB219_802:                            ;   in Loop: Header=BB219_548 Depth=1
	s_delay_alu instid0(SALU_CYCLE_1) | instskip(SKIP_4) | instid1(VALU_DEP_3)
	s_or_b32 exec_lo, exec_lo, s11
	v_lshrrev_b32_e32 v65, 16, v64
	v_mov_b64_e32 v[60:61], 0
	v_mov_b64_e32 v[62:63], 0
	s_mov_b32 s11, exec_lo
	v_and_b32_e32 v22, 0xff, v65
	s_delay_alu instid0(VALU_DEP_1)
	v_cmpx_ne_u16_e32 0, v22
	s_cbranch_execz .LBB219_810
; %bb.803:                              ;   in Loop: Header=BB219_548 Depth=1
	v_mov_b64_e32 v[62:63], 0x80000000
	s_mov_b32 s14, exec_lo
	v_cmpx_ne_u16_e32 0x80, v22
	s_cbranch_execz .LBB219_809
; %bb.804:                              ;   in Loop: Header=BB219_548 Depth=1
	v_mov_b64_e32 v[62:63], 0x7f800001
	v_bfe_u32 v66, v64, 16, 7
	s_mov_b32 s15, exec_lo
	s_delay_alu instid0(VALU_DEP_1)
	v_cmpx_ne_u32_e32 0x7f, v66
	s_cbranch_execz .LBB219_808
; %bb.805:                              ;   in Loop: Header=BB219_548 Depth=1
	v_dual_lshrrev_b32 v62, 3, v66 :: v_dual_bitop2_b32 v22, 7, v65 bitop3:0x40
	s_mov_b32 s16, exec_lo
	v_cmpx_gt_u32_e32 8, v66
; %bb.806:                              ;   in Loop: Header=BB219_548 Depth=1
	s_delay_alu instid0(VALU_DEP_2) | instskip(NEXT) | instid1(VALU_DEP_1)
	v_clz_i32_u32_e32 v62, v22
	v_min_u32_e32 v62, 32, v62
	s_delay_alu instid0(VALU_DEP_1) | instskip(SKIP_1) | instid1(VALU_DEP_2)
	v_subrev_nc_u32_e32 v63, 28, v62
	v_sub_nc_u32_e32 v62, 29, v62
	v_lshlrev_b64_e32 v[66:67], v63, v[22:23]
	s_delay_alu instid0(VALU_DEP_1)
	v_and_b32_e32 v22, 7, v66
; %bb.807:                              ;   in Loop: Header=BB219_548 Depth=1
	s_or_b32 exec_lo, exec_lo, s16
	s_delay_alu instid0(VALU_DEP_1) | instskip(SKIP_1) | instid1(VALU_DEP_2)
	v_dual_lshlrev_b32 v63, 24, v65 :: v_dual_lshlrev_b32 v22, 20, v22
	v_lshl_add_u32 v62, v62, 23, 0x3c000000
	v_and_b32_e32 v63, 0x80000000, v63
	s_delay_alu instid0(VALU_DEP_1) | instskip(NEXT) | instid1(VALU_DEP_1)
	v_or3_b32 v22, v22, v63, v62
	v_mov_b64_e32 v[62:63], v[22:23]
.LBB219_808:                            ;   in Loop: Header=BB219_548 Depth=1
	s_or_b32 exec_lo, exec_lo, s15
.LBB219_809:                            ;   in Loop: Header=BB219_548 Depth=1
	s_delay_alu instid0(SALU_CYCLE_1)
	s_or_b32 exec_lo, exec_lo, s14
.LBB219_810:                            ;   in Loop: Header=BB219_548 Depth=1
	s_delay_alu instid0(SALU_CYCLE_1) | instskip(NEXT) | instid1(SALU_CYCLE_1)
	s_or_b32 exec_lo, exec_lo, s11
	s_mov_b32 s11, exec_lo
	v_cmpx_lt_u32_e32 0xffffff, v64
	s_cbranch_execz .LBB219_818
; %bb.811:                              ;   in Loop: Header=BB219_548 Depth=1
	v_mov_b64_e32 v[60:61], 0x8000000000000000
	v_lshrrev_b32_e32 v65, 24, v64
	s_mov_b32 s14, exec_lo
	s_delay_alu instid0(VALU_DEP_1)
	v_cmpx_ne_u32_e32 0x80, v65
	s_cbranch_execz .LBB219_817
; %bb.812:                              ;   in Loop: Header=BB219_548 Depth=1
	v_mov_b64_e32 v[60:61], 0x7f80000100000000
	v_bfe_u32 v64, v64, 24, 7
	s_mov_b32 s15, exec_lo
	s_delay_alu instid0(VALU_DEP_1)
	v_cmpx_ne_u32_e32 0x7f, v64
	s_cbranch_execz .LBB219_816
; %bb.813:                              ;   in Loop: Header=BB219_548 Depth=1
	v_dual_lshrrev_b32 v60, 3, v64 :: v_dual_bitop2_b32 v22, 7, v65 bitop3:0x40
	s_mov_b32 s16, exec_lo
	v_cmpx_gt_u32_e32 8, v64
; %bb.814:                              ;   in Loop: Header=BB219_548 Depth=1
	s_delay_alu instid0(VALU_DEP_2) | instskip(NEXT) | instid1(VALU_DEP_1)
	v_clz_i32_u32_e32 v60, v22
	v_min_u32_e32 v60, 32, v60
	s_delay_alu instid0(VALU_DEP_1) | instskip(NEXT) | instid1(VALU_DEP_1)
	v_subrev_nc_u32_e32 v61, 28, v60
	v_lshlrev_b64_e32 v[66:67], v61, v[22:23]
	s_delay_alu instid0(VALU_DEP_1)
	v_dual_sub_nc_u32 v60, 29, v60 :: v_dual_bitop2_b32 v22, 7, v66 bitop3:0x40
; %bb.815:                              ;   in Loop: Header=BB219_548 Depth=1
	s_or_b32 exec_lo, exec_lo, s16
	s_delay_alu instid0(VALU_DEP_1) | instskip(NEXT) | instid1(VALU_DEP_2)
	v_dual_lshlrev_b32 v61, 24, v65 :: v_dual_lshlrev_b32 v22, 20, v22
	v_lshl_add_u32 v60, v60, 23, 0x3c000000
	s_delay_alu instid0(VALU_DEP_2) | instskip(NEXT) | instid1(VALU_DEP_1)
	v_and_b32_e32 v61, 0x80000000, v61
	v_or3_b32 v61, v22, v61, v60
	v_mov_b32_e32 v60, v23
.LBB219_816:                            ;   in Loop: Header=BB219_548 Depth=1
	s_or_b32 exec_lo, exec_lo, s15
.LBB219_817:                            ;   in Loop: Header=BB219_548 Depth=1
	s_delay_alu instid0(SALU_CYCLE_1)
	s_or_b32 exec_lo, exec_lo, s14
.LBB219_818:                            ;   in Loop: Header=BB219_548 Depth=1
	s_delay_alu instid0(SALU_CYCLE_1)
	s_or_b32 exec_lo, exec_lo, s11
	v_mov_b64_e32 v[64:65], s[2:3]
	v_or_b32_e32 v1, v1, v59
	v_or_b32_e32 v0, v0, v58
	;; [unrolled: 1-line block ×4, first 2 shown]
	s_delay_alu instid0(VALU_DEP_3) | instskip(NEXT) | instid1(VALU_DEP_2)
	v_pk_mul_f32 v[58:59], v[64:65], v[0:1]
	v_pk_mul_f32 v[0:1], v[64:65], v[60:61]
	s_and_saveexec_b32 s11, vcc_lo
	s_cbranch_execz .LBB219_820
; %bb.819:                              ;   in Loop: Header=BB219_548 Depth=1
	v_cmp_gt_i32_e64 s0, s27, v98
	s_delay_alu instid0(VALU_DEP_1) | instskip(SKIP_1) | instid1(VALU_DEP_1)
	v_cndmask_b32_e64 v58, 0, v58, s0
	v_cmp_gt_i32_e64 s0, s27, v101
	v_cndmask_b32_e64 v59, 0, v59, s0
	v_cmp_gt_i32_e64 s0, s27, v93
	s_delay_alu instid0(VALU_DEP_1) | instskip(SKIP_1) | instid1(VALU_DEP_1)
	v_cndmask_b32_e64 v0, 0, v0, s0
	v_cmp_gt_i32_e64 s0, s27, v92
	v_cndmask_b32_e64 v1, 0, v1, s0
.LBB219_820:                            ;   in Loop: Header=BB219_548 Depth=1
	s_or_b32 exec_lo, exec_lo, s11
	global_load_b32 v68, v[32:33], off offset:1024
	v_mov_b64_e32 v[60:61], 0
	v_mov_b64_e32 v[62:63], 0
	s_mov_b32 s11, exec_lo
	s_wait_loadcnt 0x0
	v_and_b32_e32 v22, 0xff, v68
	s_delay_alu instid0(VALU_DEP_1)
	v_cmpx_ne_u16_e32 0, v22
	s_cbranch_execz .LBB219_828
; %bb.821:                              ;   in Loop: Header=BB219_548 Depth=1
	v_mov_b64_e32 v[62:63], 0x80000000
	s_mov_b32 s14, exec_lo
	v_cmpx_ne_u16_e32 0x80, v22
	s_cbranch_execz .LBB219_827
; %bb.822:                              ;   in Loop: Header=BB219_548 Depth=1
	v_mov_b64_e32 v[62:63], 0x7f800001
	v_and_b32_e32 v64, 0x7f, v68
	s_mov_b32 s15, exec_lo
	s_delay_alu instid0(VALU_DEP_1)
	v_cmpx_ne_u32_e32 0x7f, v64
	s_cbranch_execz .LBB219_826
; %bb.823:                              ;   in Loop: Header=BB219_548 Depth=1
	v_and_b32_e32 v22, 7, v68
	v_lshrrev_b32_e32 v62, 3, v64
	s_mov_b32 s16, exec_lo
	v_cmpx_gt_u32_e32 8, v64
; %bb.824:                              ;   in Loop: Header=BB219_548 Depth=1
	s_delay_alu instid0(VALU_DEP_3) | instskip(NEXT) | instid1(VALU_DEP_1)
	v_clz_i32_u32_e32 v62, v22
	v_min_u32_e32 v62, 32, v62
	s_delay_alu instid0(VALU_DEP_1) | instskip(NEXT) | instid1(VALU_DEP_1)
	v_subrev_nc_u32_e32 v63, 28, v62
	v_lshlrev_b64_e32 v[64:65], v63, v[22:23]
	s_delay_alu instid0(VALU_DEP_1)
	v_dual_sub_nc_u32 v62, 29, v62 :: v_dual_bitop2_b32 v22, 7, v64 bitop3:0x40
; %bb.825:                              ;   in Loop: Header=BB219_548 Depth=1
	s_or_b32 exec_lo, exec_lo, s16
	s_delay_alu instid0(VALU_DEP_1) | instskip(NEXT) | instid1(VALU_DEP_2)
	v_dual_lshlrev_b32 v63, 24, v68 :: v_dual_lshlrev_b32 v22, 20, v22
	v_lshl_add_u32 v62, v62, 23, 0x3c000000
	s_delay_alu instid0(VALU_DEP_2) | instskip(NEXT) | instid1(VALU_DEP_1)
	v_and_b32_e32 v63, 0x80000000, v63
	v_or3_b32 v22, v22, v63, v62
	s_delay_alu instid0(VALU_DEP_1)
	v_mov_b64_e32 v[62:63], v[22:23]
.LBB219_826:                            ;   in Loop: Header=BB219_548 Depth=1
	s_or_b32 exec_lo, exec_lo, s15
.LBB219_827:                            ;   in Loop: Header=BB219_548 Depth=1
	s_delay_alu instid0(SALU_CYCLE_1)
	s_or_b32 exec_lo, exec_lo, s14
.LBB219_828:                            ;   in Loop: Header=BB219_548 Depth=1
	s_delay_alu instid0(SALU_CYCLE_1) | instskip(SKIP_2) | instid1(VALU_DEP_1)
	s_or_b32 exec_lo, exec_lo, s11
	v_lshrrev_b16 v22, 8, v68
	s_mov_b32 s11, exec_lo
	v_cmpx_ne_u16_e32 0, v22
	s_cbranch_execz .LBB219_836
; %bb.829:                              ;   in Loop: Header=BB219_548 Depth=1
	v_mov_b64_e32 v[60:61], 0x8000000000000000
	s_mov_b32 s14, exec_lo
	v_cmpx_ne_u16_e32 0x80, v22
	s_cbranch_execz .LBB219_835
; %bb.830:                              ;   in Loop: Header=BB219_548 Depth=1
	v_and_b32_e32 v22, 0xffff, v22
	v_mov_b64_e32 v[60:61], 0x7f80000100000000
	s_mov_b32 s15, exec_lo
	s_delay_alu instid0(VALU_DEP_2) | instskip(NEXT) | instid1(VALU_DEP_1)
	v_and_b32_e32 v64, 0x7f, v22
	v_cmpx_ne_u32_e32 0x7f, v64
	s_cbranch_execz .LBB219_834
; %bb.831:                              ;   in Loop: Header=BB219_548 Depth=1
	v_dual_lshrrev_b32 v60, 3, v64 :: v_dual_bitop2_b32 v22, 7, v22 bitop3:0x40
	s_mov_b32 s16, exec_lo
	v_cmpx_gt_u32_e32 8, v64
; %bb.832:                              ;   in Loop: Header=BB219_548 Depth=1
	s_delay_alu instid0(VALU_DEP_2) | instskip(NEXT) | instid1(VALU_DEP_1)
	v_clz_i32_u32_e32 v60, v22
	v_min_u32_e32 v60, 32, v60
	s_delay_alu instid0(VALU_DEP_1) | instskip(SKIP_1) | instid1(VALU_DEP_2)
	v_subrev_nc_u32_e32 v61, 28, v60
	v_sub_nc_u32_e32 v60, 29, v60
	v_lshlrev_b64_e32 v[64:65], v61, v[22:23]
	s_delay_alu instid0(VALU_DEP_1)
	v_and_b32_e32 v22, 7, v64
; %bb.833:                              ;   in Loop: Header=BB219_548 Depth=1
	s_or_b32 exec_lo, exec_lo, s16
	s_delay_alu instid0(VALU_DEP_1) | instskip(SKIP_1) | instid1(VALU_DEP_2)
	v_dual_lshlrev_b32 v61, 16, v68 :: v_dual_lshlrev_b32 v22, 20, v22
	v_lshl_add_u32 v60, v60, 23, 0x3c000000
	v_and_b32_e32 v61, 0x80000000, v61
	s_delay_alu instid0(VALU_DEP_1)
	v_or3_b32 v61, v22, v61, v60
	v_mov_b32_e32 v60, v23
.LBB219_834:                            ;   in Loop: Header=BB219_548 Depth=1
	s_or_b32 exec_lo, exec_lo, s15
.LBB219_835:                            ;   in Loop: Header=BB219_548 Depth=1
	s_delay_alu instid0(SALU_CYCLE_1)
	s_or_b32 exec_lo, exec_lo, s14
.LBB219_836:                            ;   in Loop: Header=BB219_548 Depth=1
	s_delay_alu instid0(SALU_CYCLE_1) | instskip(SKIP_4) | instid1(VALU_DEP_3)
	s_or_b32 exec_lo, exec_lo, s11
	v_lshrrev_b32_e32 v69, 16, v68
	v_mov_b64_e32 v[64:65], 0
	v_mov_b64_e32 v[66:67], 0
	s_mov_b32 s11, exec_lo
	v_and_b32_e32 v22, 0xff, v69
	s_delay_alu instid0(VALU_DEP_1)
	v_cmpx_ne_u16_e32 0, v22
	s_cbranch_execz .LBB219_844
; %bb.837:                              ;   in Loop: Header=BB219_548 Depth=1
	v_mov_b64_e32 v[66:67], 0x80000000
	s_mov_b32 s14, exec_lo
	v_cmpx_ne_u16_e32 0x80, v22
	s_cbranch_execz .LBB219_843
; %bb.838:                              ;   in Loop: Header=BB219_548 Depth=1
	v_mov_b64_e32 v[66:67], 0x7f800001
	v_bfe_u32 v70, v68, 16, 7
	s_mov_b32 s15, exec_lo
	s_delay_alu instid0(VALU_DEP_1)
	v_cmpx_ne_u32_e32 0x7f, v70
	s_cbranch_execz .LBB219_842
; %bb.839:                              ;   in Loop: Header=BB219_548 Depth=1
	v_dual_lshrrev_b32 v66, 3, v70 :: v_dual_bitop2_b32 v22, 7, v69 bitop3:0x40
	s_mov_b32 s16, exec_lo
	v_cmpx_gt_u32_e32 8, v70
; %bb.840:                              ;   in Loop: Header=BB219_548 Depth=1
	s_delay_alu instid0(VALU_DEP_2) | instskip(NEXT) | instid1(VALU_DEP_1)
	v_clz_i32_u32_e32 v66, v22
	v_min_u32_e32 v66, 32, v66
	s_delay_alu instid0(VALU_DEP_1) | instskip(SKIP_1) | instid1(VALU_DEP_2)
	v_subrev_nc_u32_e32 v67, 28, v66
	v_sub_nc_u32_e32 v66, 29, v66
	v_lshlrev_b64_e32 v[70:71], v67, v[22:23]
	s_delay_alu instid0(VALU_DEP_1)
	v_and_b32_e32 v22, 7, v70
; %bb.841:                              ;   in Loop: Header=BB219_548 Depth=1
	s_or_b32 exec_lo, exec_lo, s16
	s_delay_alu instid0(VALU_DEP_1) | instskip(SKIP_1) | instid1(VALU_DEP_2)
	v_dual_lshlrev_b32 v67, 24, v69 :: v_dual_lshlrev_b32 v22, 20, v22
	v_lshl_add_u32 v66, v66, 23, 0x3c000000
	v_and_b32_e32 v67, 0x80000000, v67
	s_delay_alu instid0(VALU_DEP_1) | instskip(NEXT) | instid1(VALU_DEP_1)
	v_or3_b32 v22, v22, v67, v66
	v_mov_b64_e32 v[66:67], v[22:23]
.LBB219_842:                            ;   in Loop: Header=BB219_548 Depth=1
	s_or_b32 exec_lo, exec_lo, s15
.LBB219_843:                            ;   in Loop: Header=BB219_548 Depth=1
	s_delay_alu instid0(SALU_CYCLE_1)
	s_or_b32 exec_lo, exec_lo, s14
.LBB219_844:                            ;   in Loop: Header=BB219_548 Depth=1
	s_delay_alu instid0(SALU_CYCLE_1) | instskip(NEXT) | instid1(SALU_CYCLE_1)
	s_or_b32 exec_lo, exec_lo, s11
	s_mov_b32 s11, exec_lo
	v_cmpx_lt_u32_e32 0xffffff, v68
	s_cbranch_execz .LBB219_852
; %bb.845:                              ;   in Loop: Header=BB219_548 Depth=1
	v_mov_b64_e32 v[64:65], 0x8000000000000000
	v_lshrrev_b32_e32 v69, 24, v68
	s_mov_b32 s14, exec_lo
	s_delay_alu instid0(VALU_DEP_1)
	v_cmpx_ne_u32_e32 0x80, v69
	s_cbranch_execz .LBB219_851
; %bb.846:                              ;   in Loop: Header=BB219_548 Depth=1
	v_mov_b64_e32 v[64:65], 0x7f80000100000000
	v_bfe_u32 v68, v68, 24, 7
	s_mov_b32 s15, exec_lo
	s_delay_alu instid0(VALU_DEP_1)
	v_cmpx_ne_u32_e32 0x7f, v68
	s_cbranch_execz .LBB219_850
; %bb.847:                              ;   in Loop: Header=BB219_548 Depth=1
	v_dual_lshrrev_b32 v64, 3, v68 :: v_dual_bitop2_b32 v22, 7, v69 bitop3:0x40
	s_mov_b32 s16, exec_lo
	v_cmpx_gt_u32_e32 8, v68
; %bb.848:                              ;   in Loop: Header=BB219_548 Depth=1
	s_delay_alu instid0(VALU_DEP_2) | instskip(NEXT) | instid1(VALU_DEP_1)
	v_clz_i32_u32_e32 v64, v22
	v_min_u32_e32 v64, 32, v64
	s_delay_alu instid0(VALU_DEP_1) | instskip(NEXT) | instid1(VALU_DEP_1)
	v_subrev_nc_u32_e32 v65, 28, v64
	v_lshlrev_b64_e32 v[70:71], v65, v[22:23]
	s_delay_alu instid0(VALU_DEP_1)
	v_dual_sub_nc_u32 v64, 29, v64 :: v_dual_bitop2_b32 v22, 7, v70 bitop3:0x40
; %bb.849:                              ;   in Loop: Header=BB219_548 Depth=1
	s_or_b32 exec_lo, exec_lo, s16
	s_delay_alu instid0(VALU_DEP_1) | instskip(NEXT) | instid1(VALU_DEP_2)
	v_dual_lshlrev_b32 v65, 24, v69 :: v_dual_lshlrev_b32 v22, 20, v22
	v_lshl_add_u32 v64, v64, 23, 0x3c000000
	s_delay_alu instid0(VALU_DEP_2) | instskip(NEXT) | instid1(VALU_DEP_1)
	v_and_b32_e32 v65, 0x80000000, v65
	v_or3_b32 v65, v22, v65, v64
	v_mov_b32_e32 v64, v23
.LBB219_850:                            ;   in Loop: Header=BB219_548 Depth=1
	s_or_b32 exec_lo, exec_lo, s15
.LBB219_851:                            ;   in Loop: Header=BB219_548 Depth=1
	s_delay_alu instid0(SALU_CYCLE_1)
	s_or_b32 exec_lo, exec_lo, s14
.LBB219_852:                            ;   in Loop: Header=BB219_548 Depth=1
	s_delay_alu instid0(SALU_CYCLE_1)
	s_or_b32 exec_lo, exec_lo, s11
	v_mov_b64_e32 v[68:69], s[2:3]
	v_or_b32_e32 v61, v61, v63
	v_or_b32_e32 v60, v60, v62
	;; [unrolled: 1-line block ×4, first 2 shown]
	s_delay_alu instid0(VALU_DEP_3) | instskip(NEXT) | instid1(VALU_DEP_2)
	v_pk_mul_f32 v[62:63], v[68:69], v[60:61]
	v_pk_mul_f32 v[60:61], v[68:69], v[64:65]
	s_and_saveexec_b32 s11, vcc_lo
	s_cbranch_execz .LBB219_854
; %bb.853:                              ;   in Loop: Header=BB219_548 Depth=1
	v_cmp_gt_i32_e64 s0, s27, v98
	s_delay_alu instid0(VALU_DEP_1) | instskip(SKIP_1) | instid1(VALU_DEP_1)
	v_cndmask_b32_e64 v62, 0, v62, s0
	v_cmp_gt_i32_e64 s0, s27, v101
	v_cndmask_b32_e64 v63, 0, v63, s0
	v_cmp_gt_i32_e64 s0, s27, v93
	s_delay_alu instid0(VALU_DEP_1) | instskip(SKIP_1) | instid1(VALU_DEP_1)
	v_cndmask_b32_e64 v60, 0, v60, s0
	v_cmp_gt_i32_e64 s0, s27, v92
	v_cndmask_b32_e64 v61, 0, v61, s0
.LBB219_854:                            ;   in Loop: Header=BB219_548 Depth=1
	s_or_b32 exec_lo, exec_lo, s11
	global_load_b32 v72, v[32:33], off offset:1152
	v_mov_b64_e32 v[64:65], 0
	v_mov_b64_e32 v[66:67], 0
	s_mov_b32 s11, exec_lo
	s_wait_loadcnt 0x0
	v_and_b32_e32 v22, 0xff, v72
	s_delay_alu instid0(VALU_DEP_1)
	v_cmpx_ne_u16_e32 0, v22
	s_cbranch_execz .LBB219_862
; %bb.855:                              ;   in Loop: Header=BB219_548 Depth=1
	v_mov_b64_e32 v[66:67], 0x80000000
	s_mov_b32 s14, exec_lo
	v_cmpx_ne_u16_e32 0x80, v22
	s_cbranch_execz .LBB219_861
; %bb.856:                              ;   in Loop: Header=BB219_548 Depth=1
	v_mov_b64_e32 v[66:67], 0x7f800001
	v_and_b32_e32 v68, 0x7f, v72
	s_mov_b32 s15, exec_lo
	s_delay_alu instid0(VALU_DEP_1)
	v_cmpx_ne_u32_e32 0x7f, v68
	s_cbranch_execz .LBB219_860
; %bb.857:                              ;   in Loop: Header=BB219_548 Depth=1
	v_and_b32_e32 v22, 7, v72
	v_lshrrev_b32_e32 v66, 3, v68
	s_mov_b32 s16, exec_lo
	v_cmpx_gt_u32_e32 8, v68
; %bb.858:                              ;   in Loop: Header=BB219_548 Depth=1
	s_delay_alu instid0(VALU_DEP_3) | instskip(NEXT) | instid1(VALU_DEP_1)
	v_clz_i32_u32_e32 v66, v22
	v_min_u32_e32 v66, 32, v66
	s_delay_alu instid0(VALU_DEP_1) | instskip(NEXT) | instid1(VALU_DEP_1)
	v_subrev_nc_u32_e32 v67, 28, v66
	v_lshlrev_b64_e32 v[68:69], v67, v[22:23]
	s_delay_alu instid0(VALU_DEP_1)
	v_dual_sub_nc_u32 v66, 29, v66 :: v_dual_bitop2_b32 v22, 7, v68 bitop3:0x40
; %bb.859:                              ;   in Loop: Header=BB219_548 Depth=1
	s_or_b32 exec_lo, exec_lo, s16
	s_delay_alu instid0(VALU_DEP_1) | instskip(NEXT) | instid1(VALU_DEP_2)
	v_dual_lshlrev_b32 v67, 24, v72 :: v_dual_lshlrev_b32 v22, 20, v22
	v_lshl_add_u32 v66, v66, 23, 0x3c000000
	s_delay_alu instid0(VALU_DEP_2) | instskip(NEXT) | instid1(VALU_DEP_1)
	v_and_b32_e32 v67, 0x80000000, v67
	v_or3_b32 v22, v22, v67, v66
	s_delay_alu instid0(VALU_DEP_1)
	v_mov_b64_e32 v[66:67], v[22:23]
.LBB219_860:                            ;   in Loop: Header=BB219_548 Depth=1
	s_or_b32 exec_lo, exec_lo, s15
.LBB219_861:                            ;   in Loop: Header=BB219_548 Depth=1
	s_delay_alu instid0(SALU_CYCLE_1)
	s_or_b32 exec_lo, exec_lo, s14
.LBB219_862:                            ;   in Loop: Header=BB219_548 Depth=1
	s_delay_alu instid0(SALU_CYCLE_1) | instskip(SKIP_2) | instid1(VALU_DEP_1)
	s_or_b32 exec_lo, exec_lo, s11
	v_lshrrev_b16 v22, 8, v72
	s_mov_b32 s11, exec_lo
	v_cmpx_ne_u16_e32 0, v22
	s_cbranch_execz .LBB219_870
; %bb.863:                              ;   in Loop: Header=BB219_548 Depth=1
	v_mov_b64_e32 v[64:65], 0x8000000000000000
	s_mov_b32 s14, exec_lo
	v_cmpx_ne_u16_e32 0x80, v22
	s_cbranch_execz .LBB219_869
; %bb.864:                              ;   in Loop: Header=BB219_548 Depth=1
	v_and_b32_e32 v22, 0xffff, v22
	v_mov_b64_e32 v[64:65], 0x7f80000100000000
	s_mov_b32 s15, exec_lo
	s_delay_alu instid0(VALU_DEP_2) | instskip(NEXT) | instid1(VALU_DEP_1)
	v_and_b32_e32 v68, 0x7f, v22
	v_cmpx_ne_u32_e32 0x7f, v68
	s_cbranch_execz .LBB219_868
; %bb.865:                              ;   in Loop: Header=BB219_548 Depth=1
	v_dual_lshrrev_b32 v64, 3, v68 :: v_dual_bitop2_b32 v22, 7, v22 bitop3:0x40
	s_mov_b32 s16, exec_lo
	v_cmpx_gt_u32_e32 8, v68
; %bb.866:                              ;   in Loop: Header=BB219_548 Depth=1
	s_delay_alu instid0(VALU_DEP_2) | instskip(NEXT) | instid1(VALU_DEP_1)
	v_clz_i32_u32_e32 v64, v22
	v_min_u32_e32 v64, 32, v64
	s_delay_alu instid0(VALU_DEP_1) | instskip(SKIP_1) | instid1(VALU_DEP_2)
	v_subrev_nc_u32_e32 v65, 28, v64
	v_sub_nc_u32_e32 v64, 29, v64
	v_lshlrev_b64_e32 v[68:69], v65, v[22:23]
	s_delay_alu instid0(VALU_DEP_1)
	v_and_b32_e32 v22, 7, v68
; %bb.867:                              ;   in Loop: Header=BB219_548 Depth=1
	s_or_b32 exec_lo, exec_lo, s16
	s_delay_alu instid0(VALU_DEP_1) | instskip(SKIP_1) | instid1(VALU_DEP_2)
	v_dual_lshlrev_b32 v65, 16, v72 :: v_dual_lshlrev_b32 v22, 20, v22
	v_lshl_add_u32 v64, v64, 23, 0x3c000000
	v_and_b32_e32 v65, 0x80000000, v65
	s_delay_alu instid0(VALU_DEP_1)
	v_or3_b32 v65, v22, v65, v64
	v_mov_b32_e32 v64, v23
.LBB219_868:                            ;   in Loop: Header=BB219_548 Depth=1
	s_or_b32 exec_lo, exec_lo, s15
.LBB219_869:                            ;   in Loop: Header=BB219_548 Depth=1
	s_delay_alu instid0(SALU_CYCLE_1)
	s_or_b32 exec_lo, exec_lo, s14
.LBB219_870:                            ;   in Loop: Header=BB219_548 Depth=1
	s_delay_alu instid0(SALU_CYCLE_1) | instskip(SKIP_4) | instid1(VALU_DEP_3)
	s_or_b32 exec_lo, exec_lo, s11
	v_lshrrev_b32_e32 v73, 16, v72
	v_mov_b64_e32 v[68:69], 0
	v_mov_b64_e32 v[70:71], 0
	s_mov_b32 s11, exec_lo
	v_and_b32_e32 v22, 0xff, v73
	s_delay_alu instid0(VALU_DEP_1)
	v_cmpx_ne_u16_e32 0, v22
	s_cbranch_execz .LBB219_878
; %bb.871:                              ;   in Loop: Header=BB219_548 Depth=1
	v_mov_b64_e32 v[70:71], 0x80000000
	s_mov_b32 s14, exec_lo
	v_cmpx_ne_u16_e32 0x80, v22
	s_cbranch_execz .LBB219_877
; %bb.872:                              ;   in Loop: Header=BB219_548 Depth=1
	v_mov_b64_e32 v[70:71], 0x7f800001
	v_bfe_u32 v74, v72, 16, 7
	s_mov_b32 s15, exec_lo
	s_delay_alu instid0(VALU_DEP_1)
	v_cmpx_ne_u32_e32 0x7f, v74
	s_cbranch_execz .LBB219_876
; %bb.873:                              ;   in Loop: Header=BB219_548 Depth=1
	v_dual_lshrrev_b32 v70, 3, v74 :: v_dual_bitop2_b32 v22, 7, v73 bitop3:0x40
	s_mov_b32 s16, exec_lo
	v_cmpx_gt_u32_e32 8, v74
; %bb.874:                              ;   in Loop: Header=BB219_548 Depth=1
	s_delay_alu instid0(VALU_DEP_2) | instskip(NEXT) | instid1(VALU_DEP_1)
	v_clz_i32_u32_e32 v70, v22
	v_min_u32_e32 v70, 32, v70
	s_delay_alu instid0(VALU_DEP_1) | instskip(SKIP_1) | instid1(VALU_DEP_2)
	v_subrev_nc_u32_e32 v71, 28, v70
	v_sub_nc_u32_e32 v70, 29, v70
	v_lshlrev_b64_e32 v[74:75], v71, v[22:23]
	s_delay_alu instid0(VALU_DEP_1)
	v_and_b32_e32 v22, 7, v74
; %bb.875:                              ;   in Loop: Header=BB219_548 Depth=1
	s_or_b32 exec_lo, exec_lo, s16
	s_delay_alu instid0(VALU_DEP_1) | instskip(SKIP_1) | instid1(VALU_DEP_2)
	v_dual_lshlrev_b32 v71, 24, v73 :: v_dual_lshlrev_b32 v22, 20, v22
	v_lshl_add_u32 v70, v70, 23, 0x3c000000
	v_and_b32_e32 v71, 0x80000000, v71
	s_delay_alu instid0(VALU_DEP_1) | instskip(NEXT) | instid1(VALU_DEP_1)
	v_or3_b32 v22, v22, v71, v70
	v_mov_b64_e32 v[70:71], v[22:23]
.LBB219_876:                            ;   in Loop: Header=BB219_548 Depth=1
	s_or_b32 exec_lo, exec_lo, s15
.LBB219_877:                            ;   in Loop: Header=BB219_548 Depth=1
	s_delay_alu instid0(SALU_CYCLE_1)
	s_or_b32 exec_lo, exec_lo, s14
.LBB219_878:                            ;   in Loop: Header=BB219_548 Depth=1
	s_delay_alu instid0(SALU_CYCLE_1) | instskip(NEXT) | instid1(SALU_CYCLE_1)
	s_or_b32 exec_lo, exec_lo, s11
	s_mov_b32 s11, exec_lo
	v_cmpx_lt_u32_e32 0xffffff, v72
	s_cbranch_execz .LBB219_886
; %bb.879:                              ;   in Loop: Header=BB219_548 Depth=1
	v_mov_b64_e32 v[68:69], 0x8000000000000000
	v_lshrrev_b32_e32 v73, 24, v72
	s_mov_b32 s14, exec_lo
	s_delay_alu instid0(VALU_DEP_1)
	v_cmpx_ne_u32_e32 0x80, v73
	s_cbranch_execz .LBB219_885
; %bb.880:                              ;   in Loop: Header=BB219_548 Depth=1
	v_mov_b64_e32 v[68:69], 0x7f80000100000000
	v_bfe_u32 v72, v72, 24, 7
	s_mov_b32 s15, exec_lo
	s_delay_alu instid0(VALU_DEP_1)
	v_cmpx_ne_u32_e32 0x7f, v72
	s_cbranch_execz .LBB219_884
; %bb.881:                              ;   in Loop: Header=BB219_548 Depth=1
	v_dual_lshrrev_b32 v68, 3, v72 :: v_dual_bitop2_b32 v22, 7, v73 bitop3:0x40
	s_mov_b32 s16, exec_lo
	v_cmpx_gt_u32_e32 8, v72
; %bb.882:                              ;   in Loop: Header=BB219_548 Depth=1
	s_delay_alu instid0(VALU_DEP_2) | instskip(NEXT) | instid1(VALU_DEP_1)
	v_clz_i32_u32_e32 v68, v22
	v_min_u32_e32 v68, 32, v68
	s_delay_alu instid0(VALU_DEP_1) | instskip(NEXT) | instid1(VALU_DEP_1)
	v_subrev_nc_u32_e32 v69, 28, v68
	v_lshlrev_b64_e32 v[74:75], v69, v[22:23]
	s_delay_alu instid0(VALU_DEP_1)
	v_dual_sub_nc_u32 v68, 29, v68 :: v_dual_bitop2_b32 v22, 7, v74 bitop3:0x40
; %bb.883:                              ;   in Loop: Header=BB219_548 Depth=1
	s_or_b32 exec_lo, exec_lo, s16
	s_delay_alu instid0(VALU_DEP_1) | instskip(NEXT) | instid1(VALU_DEP_2)
	v_dual_lshlrev_b32 v69, 24, v73 :: v_dual_lshlrev_b32 v22, 20, v22
	v_lshl_add_u32 v68, v68, 23, 0x3c000000
	s_delay_alu instid0(VALU_DEP_2) | instskip(NEXT) | instid1(VALU_DEP_1)
	v_and_b32_e32 v69, 0x80000000, v69
	v_or3_b32 v69, v22, v69, v68
	v_mov_b32_e32 v68, v23
.LBB219_884:                            ;   in Loop: Header=BB219_548 Depth=1
	s_or_b32 exec_lo, exec_lo, s15
.LBB219_885:                            ;   in Loop: Header=BB219_548 Depth=1
	s_delay_alu instid0(SALU_CYCLE_1)
	s_or_b32 exec_lo, exec_lo, s14
.LBB219_886:                            ;   in Loop: Header=BB219_548 Depth=1
	s_delay_alu instid0(SALU_CYCLE_1)
	s_or_b32 exec_lo, exec_lo, s11
	v_mov_b64_e32 v[72:73], s[2:3]
	v_or_b32_e32 v65, v65, v67
	v_or_b32_e32 v64, v64, v66
	;; [unrolled: 1-line block ×4, first 2 shown]
	s_delay_alu instid0(VALU_DEP_3) | instskip(NEXT) | instid1(VALU_DEP_2)
	v_pk_mul_f32 v[66:67], v[72:73], v[64:65]
	v_pk_mul_f32 v[64:65], v[72:73], v[68:69]
	s_and_saveexec_b32 s11, vcc_lo
	s_cbranch_execz .LBB219_888
; %bb.887:                              ;   in Loop: Header=BB219_548 Depth=1
	v_cmp_gt_i32_e64 s0, s27, v98
	s_delay_alu instid0(VALU_DEP_1) | instskip(SKIP_1) | instid1(VALU_DEP_1)
	v_cndmask_b32_e64 v66, 0, v66, s0
	v_cmp_gt_i32_e64 s0, s27, v101
	v_cndmask_b32_e64 v67, 0, v67, s0
	v_cmp_gt_i32_e64 s0, s27, v93
	s_delay_alu instid0(VALU_DEP_1) | instskip(SKIP_1) | instid1(VALU_DEP_1)
	v_cndmask_b32_e64 v64, 0, v64, s0
	v_cmp_gt_i32_e64 s0, s27, v92
	v_cndmask_b32_e64 v65, 0, v65, s0
.LBB219_888:                            ;   in Loop: Header=BB219_548 Depth=1
	s_or_b32 exec_lo, exec_lo, s11
	global_load_b32 v76, v[32:33], off offset:1280
	v_mov_b64_e32 v[68:69], 0
	v_mov_b64_e32 v[70:71], 0
	s_mov_b32 s11, exec_lo
	s_wait_loadcnt 0x0
	v_and_b32_e32 v22, 0xff, v76
	s_delay_alu instid0(VALU_DEP_1)
	v_cmpx_ne_u16_e32 0, v22
	s_cbranch_execz .LBB219_896
; %bb.889:                              ;   in Loop: Header=BB219_548 Depth=1
	v_mov_b64_e32 v[70:71], 0x80000000
	s_mov_b32 s14, exec_lo
	v_cmpx_ne_u16_e32 0x80, v22
	s_cbranch_execz .LBB219_895
; %bb.890:                              ;   in Loop: Header=BB219_548 Depth=1
	v_mov_b64_e32 v[70:71], 0x7f800001
	v_and_b32_e32 v72, 0x7f, v76
	s_mov_b32 s15, exec_lo
	s_delay_alu instid0(VALU_DEP_1)
	v_cmpx_ne_u32_e32 0x7f, v72
	s_cbranch_execz .LBB219_894
; %bb.891:                              ;   in Loop: Header=BB219_548 Depth=1
	v_and_b32_e32 v22, 7, v76
	v_lshrrev_b32_e32 v70, 3, v72
	s_mov_b32 s16, exec_lo
	v_cmpx_gt_u32_e32 8, v72
; %bb.892:                              ;   in Loop: Header=BB219_548 Depth=1
	s_delay_alu instid0(VALU_DEP_3) | instskip(NEXT) | instid1(VALU_DEP_1)
	v_clz_i32_u32_e32 v70, v22
	v_min_u32_e32 v70, 32, v70
	s_delay_alu instid0(VALU_DEP_1) | instskip(NEXT) | instid1(VALU_DEP_1)
	v_subrev_nc_u32_e32 v71, 28, v70
	v_lshlrev_b64_e32 v[72:73], v71, v[22:23]
	s_delay_alu instid0(VALU_DEP_1)
	v_dual_sub_nc_u32 v70, 29, v70 :: v_dual_bitop2_b32 v22, 7, v72 bitop3:0x40
; %bb.893:                              ;   in Loop: Header=BB219_548 Depth=1
	s_or_b32 exec_lo, exec_lo, s16
	s_delay_alu instid0(VALU_DEP_1) | instskip(NEXT) | instid1(VALU_DEP_2)
	v_dual_lshlrev_b32 v71, 24, v76 :: v_dual_lshlrev_b32 v22, 20, v22
	v_lshl_add_u32 v70, v70, 23, 0x3c000000
	s_delay_alu instid0(VALU_DEP_2) | instskip(NEXT) | instid1(VALU_DEP_1)
	v_and_b32_e32 v71, 0x80000000, v71
	v_or3_b32 v22, v22, v71, v70
	s_delay_alu instid0(VALU_DEP_1)
	v_mov_b64_e32 v[70:71], v[22:23]
.LBB219_894:                            ;   in Loop: Header=BB219_548 Depth=1
	s_or_b32 exec_lo, exec_lo, s15
.LBB219_895:                            ;   in Loop: Header=BB219_548 Depth=1
	s_delay_alu instid0(SALU_CYCLE_1)
	s_or_b32 exec_lo, exec_lo, s14
.LBB219_896:                            ;   in Loop: Header=BB219_548 Depth=1
	s_delay_alu instid0(SALU_CYCLE_1) | instskip(SKIP_2) | instid1(VALU_DEP_1)
	s_or_b32 exec_lo, exec_lo, s11
	v_lshrrev_b16 v22, 8, v76
	s_mov_b32 s11, exec_lo
	v_cmpx_ne_u16_e32 0, v22
	s_cbranch_execz .LBB219_904
; %bb.897:                              ;   in Loop: Header=BB219_548 Depth=1
	v_mov_b64_e32 v[68:69], 0x8000000000000000
	s_mov_b32 s14, exec_lo
	v_cmpx_ne_u16_e32 0x80, v22
	s_cbranch_execz .LBB219_903
; %bb.898:                              ;   in Loop: Header=BB219_548 Depth=1
	v_and_b32_e32 v22, 0xffff, v22
	v_mov_b64_e32 v[68:69], 0x7f80000100000000
	s_mov_b32 s15, exec_lo
	s_delay_alu instid0(VALU_DEP_2) | instskip(NEXT) | instid1(VALU_DEP_1)
	v_and_b32_e32 v72, 0x7f, v22
	v_cmpx_ne_u32_e32 0x7f, v72
	s_cbranch_execz .LBB219_902
; %bb.899:                              ;   in Loop: Header=BB219_548 Depth=1
	v_dual_lshrrev_b32 v68, 3, v72 :: v_dual_bitop2_b32 v22, 7, v22 bitop3:0x40
	s_mov_b32 s16, exec_lo
	v_cmpx_gt_u32_e32 8, v72
; %bb.900:                              ;   in Loop: Header=BB219_548 Depth=1
	s_delay_alu instid0(VALU_DEP_2) | instskip(NEXT) | instid1(VALU_DEP_1)
	v_clz_i32_u32_e32 v68, v22
	v_min_u32_e32 v68, 32, v68
	s_delay_alu instid0(VALU_DEP_1) | instskip(SKIP_1) | instid1(VALU_DEP_2)
	v_subrev_nc_u32_e32 v69, 28, v68
	v_sub_nc_u32_e32 v68, 29, v68
	v_lshlrev_b64_e32 v[72:73], v69, v[22:23]
	s_delay_alu instid0(VALU_DEP_1)
	v_and_b32_e32 v22, 7, v72
; %bb.901:                              ;   in Loop: Header=BB219_548 Depth=1
	s_or_b32 exec_lo, exec_lo, s16
	s_delay_alu instid0(VALU_DEP_1) | instskip(SKIP_1) | instid1(VALU_DEP_2)
	v_dual_lshlrev_b32 v69, 16, v76 :: v_dual_lshlrev_b32 v22, 20, v22
	v_lshl_add_u32 v68, v68, 23, 0x3c000000
	v_and_b32_e32 v69, 0x80000000, v69
	s_delay_alu instid0(VALU_DEP_1)
	v_or3_b32 v69, v22, v69, v68
	v_mov_b32_e32 v68, v23
.LBB219_902:                            ;   in Loop: Header=BB219_548 Depth=1
	s_or_b32 exec_lo, exec_lo, s15
.LBB219_903:                            ;   in Loop: Header=BB219_548 Depth=1
	s_delay_alu instid0(SALU_CYCLE_1)
	s_or_b32 exec_lo, exec_lo, s14
.LBB219_904:                            ;   in Loop: Header=BB219_548 Depth=1
	s_delay_alu instid0(SALU_CYCLE_1) | instskip(SKIP_4) | instid1(VALU_DEP_3)
	s_or_b32 exec_lo, exec_lo, s11
	v_lshrrev_b32_e32 v77, 16, v76
	v_mov_b64_e32 v[72:73], 0
	v_mov_b64_e32 v[74:75], 0
	s_mov_b32 s11, exec_lo
	v_and_b32_e32 v22, 0xff, v77
	s_delay_alu instid0(VALU_DEP_1)
	v_cmpx_ne_u16_e32 0, v22
	s_cbranch_execz .LBB219_912
; %bb.905:                              ;   in Loop: Header=BB219_548 Depth=1
	v_mov_b64_e32 v[74:75], 0x80000000
	s_mov_b32 s14, exec_lo
	v_cmpx_ne_u16_e32 0x80, v22
	s_cbranch_execz .LBB219_911
; %bb.906:                              ;   in Loop: Header=BB219_548 Depth=1
	v_mov_b64_e32 v[74:75], 0x7f800001
	v_bfe_u32 v78, v76, 16, 7
	s_mov_b32 s15, exec_lo
	s_delay_alu instid0(VALU_DEP_1)
	v_cmpx_ne_u32_e32 0x7f, v78
	s_cbranch_execz .LBB219_910
; %bb.907:                              ;   in Loop: Header=BB219_548 Depth=1
	v_dual_lshrrev_b32 v74, 3, v78 :: v_dual_bitop2_b32 v22, 7, v77 bitop3:0x40
	s_mov_b32 s16, exec_lo
	v_cmpx_gt_u32_e32 8, v78
; %bb.908:                              ;   in Loop: Header=BB219_548 Depth=1
	s_delay_alu instid0(VALU_DEP_2) | instskip(NEXT) | instid1(VALU_DEP_1)
	v_clz_i32_u32_e32 v74, v22
	v_min_u32_e32 v74, 32, v74
	s_delay_alu instid0(VALU_DEP_1) | instskip(SKIP_1) | instid1(VALU_DEP_2)
	v_subrev_nc_u32_e32 v75, 28, v74
	v_sub_nc_u32_e32 v74, 29, v74
	v_lshlrev_b64_e32 v[78:79], v75, v[22:23]
	s_delay_alu instid0(VALU_DEP_1)
	v_and_b32_e32 v22, 7, v78
; %bb.909:                              ;   in Loop: Header=BB219_548 Depth=1
	s_or_b32 exec_lo, exec_lo, s16
	s_delay_alu instid0(VALU_DEP_1) | instskip(SKIP_1) | instid1(VALU_DEP_2)
	v_dual_lshlrev_b32 v75, 24, v77 :: v_dual_lshlrev_b32 v22, 20, v22
	v_lshl_add_u32 v74, v74, 23, 0x3c000000
	v_and_b32_e32 v75, 0x80000000, v75
	s_delay_alu instid0(VALU_DEP_1) | instskip(NEXT) | instid1(VALU_DEP_1)
	v_or3_b32 v22, v22, v75, v74
	v_mov_b64_e32 v[74:75], v[22:23]
.LBB219_910:                            ;   in Loop: Header=BB219_548 Depth=1
	s_or_b32 exec_lo, exec_lo, s15
.LBB219_911:                            ;   in Loop: Header=BB219_548 Depth=1
	s_delay_alu instid0(SALU_CYCLE_1)
	s_or_b32 exec_lo, exec_lo, s14
.LBB219_912:                            ;   in Loop: Header=BB219_548 Depth=1
	s_delay_alu instid0(SALU_CYCLE_1) | instskip(NEXT) | instid1(SALU_CYCLE_1)
	s_or_b32 exec_lo, exec_lo, s11
	s_mov_b32 s11, exec_lo
	v_cmpx_lt_u32_e32 0xffffff, v76
	s_cbranch_execz .LBB219_920
; %bb.913:                              ;   in Loop: Header=BB219_548 Depth=1
	v_mov_b64_e32 v[72:73], 0x8000000000000000
	v_lshrrev_b32_e32 v77, 24, v76
	s_mov_b32 s14, exec_lo
	s_delay_alu instid0(VALU_DEP_1)
	v_cmpx_ne_u32_e32 0x80, v77
	s_cbranch_execz .LBB219_919
; %bb.914:                              ;   in Loop: Header=BB219_548 Depth=1
	v_mov_b64_e32 v[72:73], 0x7f80000100000000
	v_bfe_u32 v76, v76, 24, 7
	s_mov_b32 s15, exec_lo
	s_delay_alu instid0(VALU_DEP_1)
	v_cmpx_ne_u32_e32 0x7f, v76
	s_cbranch_execz .LBB219_918
; %bb.915:                              ;   in Loop: Header=BB219_548 Depth=1
	v_dual_lshrrev_b32 v72, 3, v76 :: v_dual_bitop2_b32 v22, 7, v77 bitop3:0x40
	s_mov_b32 s16, exec_lo
	v_cmpx_gt_u32_e32 8, v76
; %bb.916:                              ;   in Loop: Header=BB219_548 Depth=1
	s_delay_alu instid0(VALU_DEP_2) | instskip(NEXT) | instid1(VALU_DEP_1)
	v_clz_i32_u32_e32 v72, v22
	v_min_u32_e32 v72, 32, v72
	s_delay_alu instid0(VALU_DEP_1) | instskip(NEXT) | instid1(VALU_DEP_1)
	v_subrev_nc_u32_e32 v73, 28, v72
	v_lshlrev_b64_e32 v[78:79], v73, v[22:23]
	s_delay_alu instid0(VALU_DEP_1)
	v_dual_sub_nc_u32 v72, 29, v72 :: v_dual_bitop2_b32 v22, 7, v78 bitop3:0x40
; %bb.917:                              ;   in Loop: Header=BB219_548 Depth=1
	s_or_b32 exec_lo, exec_lo, s16
	s_delay_alu instid0(VALU_DEP_1) | instskip(NEXT) | instid1(VALU_DEP_2)
	v_dual_lshlrev_b32 v73, 24, v77 :: v_dual_lshlrev_b32 v22, 20, v22
	v_lshl_add_u32 v72, v72, 23, 0x3c000000
	s_delay_alu instid0(VALU_DEP_2) | instskip(NEXT) | instid1(VALU_DEP_1)
	v_and_b32_e32 v73, 0x80000000, v73
	v_or3_b32 v73, v22, v73, v72
	v_mov_b32_e32 v72, v23
.LBB219_918:                            ;   in Loop: Header=BB219_548 Depth=1
	s_or_b32 exec_lo, exec_lo, s15
.LBB219_919:                            ;   in Loop: Header=BB219_548 Depth=1
	s_delay_alu instid0(SALU_CYCLE_1)
	s_or_b32 exec_lo, exec_lo, s14
.LBB219_920:                            ;   in Loop: Header=BB219_548 Depth=1
	s_delay_alu instid0(SALU_CYCLE_1)
	s_or_b32 exec_lo, exec_lo, s11
	v_mov_b64_e32 v[76:77], s[2:3]
	v_or_b32_e32 v69, v69, v71
	v_or_b32_e32 v68, v68, v70
	;; [unrolled: 1-line block ×4, first 2 shown]
	s_delay_alu instid0(VALU_DEP_3) | instskip(NEXT) | instid1(VALU_DEP_2)
	v_pk_mul_f32 v[70:71], v[76:77], v[68:69]
	v_pk_mul_f32 v[68:69], v[76:77], v[72:73]
	s_and_saveexec_b32 s11, vcc_lo
	s_cbranch_execz .LBB219_922
; %bb.921:                              ;   in Loop: Header=BB219_548 Depth=1
	v_cmp_gt_i32_e64 s0, s27, v98
	s_delay_alu instid0(VALU_DEP_1) | instskip(SKIP_1) | instid1(VALU_DEP_1)
	v_cndmask_b32_e64 v70, 0, v70, s0
	v_cmp_gt_i32_e64 s0, s27, v101
	v_cndmask_b32_e64 v71, 0, v71, s0
	v_cmp_gt_i32_e64 s0, s27, v93
	s_delay_alu instid0(VALU_DEP_1) | instskip(SKIP_1) | instid1(VALU_DEP_1)
	v_cndmask_b32_e64 v68, 0, v68, s0
	v_cmp_gt_i32_e64 s0, s27, v92
	v_cndmask_b32_e64 v69, 0, v69, s0
.LBB219_922:                            ;   in Loop: Header=BB219_548 Depth=1
	s_or_b32 exec_lo, exec_lo, s11
	global_load_b32 v80, v[32:33], off offset:1408
	v_mov_b64_e32 v[72:73], 0
	v_mov_b64_e32 v[74:75], 0
	s_mov_b32 s11, exec_lo
	s_wait_loadcnt 0x0
	v_and_b32_e32 v22, 0xff, v80
	s_delay_alu instid0(VALU_DEP_1)
	v_cmpx_ne_u16_e32 0, v22
	s_cbranch_execz .LBB219_930
; %bb.923:                              ;   in Loop: Header=BB219_548 Depth=1
	v_mov_b64_e32 v[74:75], 0x80000000
	s_mov_b32 s14, exec_lo
	v_cmpx_ne_u16_e32 0x80, v22
	s_cbranch_execz .LBB219_929
; %bb.924:                              ;   in Loop: Header=BB219_548 Depth=1
	v_mov_b64_e32 v[74:75], 0x7f800001
	v_and_b32_e32 v76, 0x7f, v80
	s_mov_b32 s15, exec_lo
	s_delay_alu instid0(VALU_DEP_1)
	v_cmpx_ne_u32_e32 0x7f, v76
	s_cbranch_execz .LBB219_928
; %bb.925:                              ;   in Loop: Header=BB219_548 Depth=1
	v_and_b32_e32 v22, 7, v80
	v_lshrrev_b32_e32 v74, 3, v76
	s_mov_b32 s16, exec_lo
	v_cmpx_gt_u32_e32 8, v76
; %bb.926:                              ;   in Loop: Header=BB219_548 Depth=1
	s_delay_alu instid0(VALU_DEP_3) | instskip(NEXT) | instid1(VALU_DEP_1)
	v_clz_i32_u32_e32 v74, v22
	v_min_u32_e32 v74, 32, v74
	s_delay_alu instid0(VALU_DEP_1) | instskip(NEXT) | instid1(VALU_DEP_1)
	v_subrev_nc_u32_e32 v75, 28, v74
	v_lshlrev_b64_e32 v[76:77], v75, v[22:23]
	s_delay_alu instid0(VALU_DEP_1)
	v_dual_sub_nc_u32 v74, 29, v74 :: v_dual_bitop2_b32 v22, 7, v76 bitop3:0x40
; %bb.927:                              ;   in Loop: Header=BB219_548 Depth=1
	s_or_b32 exec_lo, exec_lo, s16
	s_delay_alu instid0(VALU_DEP_1) | instskip(NEXT) | instid1(VALU_DEP_2)
	v_dual_lshlrev_b32 v75, 24, v80 :: v_dual_lshlrev_b32 v22, 20, v22
	v_lshl_add_u32 v74, v74, 23, 0x3c000000
	s_delay_alu instid0(VALU_DEP_2) | instskip(NEXT) | instid1(VALU_DEP_1)
	v_and_b32_e32 v75, 0x80000000, v75
	v_or3_b32 v22, v22, v75, v74
	s_delay_alu instid0(VALU_DEP_1)
	v_mov_b64_e32 v[74:75], v[22:23]
.LBB219_928:                            ;   in Loop: Header=BB219_548 Depth=1
	s_or_b32 exec_lo, exec_lo, s15
.LBB219_929:                            ;   in Loop: Header=BB219_548 Depth=1
	s_delay_alu instid0(SALU_CYCLE_1)
	s_or_b32 exec_lo, exec_lo, s14
.LBB219_930:                            ;   in Loop: Header=BB219_548 Depth=1
	s_delay_alu instid0(SALU_CYCLE_1) | instskip(SKIP_2) | instid1(VALU_DEP_1)
	s_or_b32 exec_lo, exec_lo, s11
	v_lshrrev_b16 v22, 8, v80
	s_mov_b32 s11, exec_lo
	v_cmpx_ne_u16_e32 0, v22
	s_cbranch_execz .LBB219_938
; %bb.931:                              ;   in Loop: Header=BB219_548 Depth=1
	v_mov_b64_e32 v[72:73], 0x8000000000000000
	s_mov_b32 s14, exec_lo
	v_cmpx_ne_u16_e32 0x80, v22
	s_cbranch_execz .LBB219_937
; %bb.932:                              ;   in Loop: Header=BB219_548 Depth=1
	v_and_b32_e32 v22, 0xffff, v22
	v_mov_b64_e32 v[72:73], 0x7f80000100000000
	s_mov_b32 s15, exec_lo
	s_delay_alu instid0(VALU_DEP_2) | instskip(NEXT) | instid1(VALU_DEP_1)
	v_and_b32_e32 v76, 0x7f, v22
	v_cmpx_ne_u32_e32 0x7f, v76
	s_cbranch_execz .LBB219_936
; %bb.933:                              ;   in Loop: Header=BB219_548 Depth=1
	v_dual_lshrrev_b32 v72, 3, v76 :: v_dual_bitop2_b32 v22, 7, v22 bitop3:0x40
	s_mov_b32 s16, exec_lo
	v_cmpx_gt_u32_e32 8, v76
; %bb.934:                              ;   in Loop: Header=BB219_548 Depth=1
	s_delay_alu instid0(VALU_DEP_2) | instskip(NEXT) | instid1(VALU_DEP_1)
	v_clz_i32_u32_e32 v72, v22
	v_min_u32_e32 v72, 32, v72
	s_delay_alu instid0(VALU_DEP_1) | instskip(SKIP_1) | instid1(VALU_DEP_2)
	v_subrev_nc_u32_e32 v73, 28, v72
	v_sub_nc_u32_e32 v72, 29, v72
	v_lshlrev_b64_e32 v[76:77], v73, v[22:23]
	s_delay_alu instid0(VALU_DEP_1)
	v_and_b32_e32 v22, 7, v76
; %bb.935:                              ;   in Loop: Header=BB219_548 Depth=1
	s_or_b32 exec_lo, exec_lo, s16
	s_delay_alu instid0(VALU_DEP_1) | instskip(SKIP_1) | instid1(VALU_DEP_2)
	v_dual_lshlrev_b32 v73, 16, v80 :: v_dual_lshlrev_b32 v22, 20, v22
	v_lshl_add_u32 v72, v72, 23, 0x3c000000
	v_and_b32_e32 v73, 0x80000000, v73
	s_delay_alu instid0(VALU_DEP_1)
	v_or3_b32 v73, v22, v73, v72
	v_mov_b32_e32 v72, v23
.LBB219_936:                            ;   in Loop: Header=BB219_548 Depth=1
	s_or_b32 exec_lo, exec_lo, s15
.LBB219_937:                            ;   in Loop: Header=BB219_548 Depth=1
	s_delay_alu instid0(SALU_CYCLE_1)
	s_or_b32 exec_lo, exec_lo, s14
.LBB219_938:                            ;   in Loop: Header=BB219_548 Depth=1
	s_delay_alu instid0(SALU_CYCLE_1) | instskip(SKIP_4) | instid1(VALU_DEP_3)
	s_or_b32 exec_lo, exec_lo, s11
	v_lshrrev_b32_e32 v81, 16, v80
	v_mov_b64_e32 v[76:77], 0
	v_mov_b64_e32 v[78:79], 0
	s_mov_b32 s11, exec_lo
	v_and_b32_e32 v22, 0xff, v81
	s_delay_alu instid0(VALU_DEP_1)
	v_cmpx_ne_u16_e32 0, v22
	s_cbranch_execz .LBB219_946
; %bb.939:                              ;   in Loop: Header=BB219_548 Depth=1
	v_mov_b64_e32 v[78:79], 0x80000000
	s_mov_b32 s14, exec_lo
	v_cmpx_ne_u16_e32 0x80, v22
	s_cbranch_execz .LBB219_945
; %bb.940:                              ;   in Loop: Header=BB219_548 Depth=1
	v_mov_b64_e32 v[78:79], 0x7f800001
	v_bfe_u32 v82, v80, 16, 7
	s_mov_b32 s15, exec_lo
	s_delay_alu instid0(VALU_DEP_1)
	v_cmpx_ne_u32_e32 0x7f, v82
	s_cbranch_execz .LBB219_944
; %bb.941:                              ;   in Loop: Header=BB219_548 Depth=1
	v_dual_lshrrev_b32 v78, 3, v82 :: v_dual_bitop2_b32 v22, 7, v81 bitop3:0x40
	s_mov_b32 s16, exec_lo
	v_cmpx_gt_u32_e32 8, v82
; %bb.942:                              ;   in Loop: Header=BB219_548 Depth=1
	s_delay_alu instid0(VALU_DEP_2) | instskip(NEXT) | instid1(VALU_DEP_1)
	v_clz_i32_u32_e32 v78, v22
	v_min_u32_e32 v78, 32, v78
	s_delay_alu instid0(VALU_DEP_1) | instskip(SKIP_1) | instid1(VALU_DEP_2)
	v_subrev_nc_u32_e32 v79, 28, v78
	v_sub_nc_u32_e32 v78, 29, v78
	v_lshlrev_b64_e32 v[82:83], v79, v[22:23]
	s_delay_alu instid0(VALU_DEP_1)
	v_and_b32_e32 v22, 7, v82
; %bb.943:                              ;   in Loop: Header=BB219_548 Depth=1
	s_or_b32 exec_lo, exec_lo, s16
	s_delay_alu instid0(VALU_DEP_1) | instskip(SKIP_1) | instid1(VALU_DEP_2)
	v_dual_lshlrev_b32 v79, 24, v81 :: v_dual_lshlrev_b32 v22, 20, v22
	v_lshl_add_u32 v78, v78, 23, 0x3c000000
	v_and_b32_e32 v79, 0x80000000, v79
	s_delay_alu instid0(VALU_DEP_1) | instskip(NEXT) | instid1(VALU_DEP_1)
	v_or3_b32 v22, v22, v79, v78
	v_mov_b64_e32 v[78:79], v[22:23]
.LBB219_944:                            ;   in Loop: Header=BB219_548 Depth=1
	s_or_b32 exec_lo, exec_lo, s15
.LBB219_945:                            ;   in Loop: Header=BB219_548 Depth=1
	s_delay_alu instid0(SALU_CYCLE_1)
	s_or_b32 exec_lo, exec_lo, s14
.LBB219_946:                            ;   in Loop: Header=BB219_548 Depth=1
	s_delay_alu instid0(SALU_CYCLE_1) | instskip(NEXT) | instid1(SALU_CYCLE_1)
	s_or_b32 exec_lo, exec_lo, s11
	s_mov_b32 s11, exec_lo
	v_cmpx_lt_u32_e32 0xffffff, v80
	s_cbranch_execz .LBB219_954
; %bb.947:                              ;   in Loop: Header=BB219_548 Depth=1
	v_mov_b64_e32 v[76:77], 0x8000000000000000
	v_lshrrev_b32_e32 v81, 24, v80
	s_mov_b32 s14, exec_lo
	s_delay_alu instid0(VALU_DEP_1)
	v_cmpx_ne_u32_e32 0x80, v81
	s_cbranch_execz .LBB219_953
; %bb.948:                              ;   in Loop: Header=BB219_548 Depth=1
	v_mov_b64_e32 v[76:77], 0x7f80000100000000
	v_bfe_u32 v80, v80, 24, 7
	s_mov_b32 s15, exec_lo
	s_delay_alu instid0(VALU_DEP_1)
	v_cmpx_ne_u32_e32 0x7f, v80
	s_cbranch_execz .LBB219_952
; %bb.949:                              ;   in Loop: Header=BB219_548 Depth=1
	v_dual_lshrrev_b32 v76, 3, v80 :: v_dual_bitop2_b32 v22, 7, v81 bitop3:0x40
	s_mov_b32 s16, exec_lo
	v_cmpx_gt_u32_e32 8, v80
; %bb.950:                              ;   in Loop: Header=BB219_548 Depth=1
	s_delay_alu instid0(VALU_DEP_2) | instskip(NEXT) | instid1(VALU_DEP_1)
	v_clz_i32_u32_e32 v76, v22
	v_min_u32_e32 v76, 32, v76
	s_delay_alu instid0(VALU_DEP_1) | instskip(NEXT) | instid1(VALU_DEP_1)
	v_subrev_nc_u32_e32 v77, 28, v76
	v_lshlrev_b64_e32 v[82:83], v77, v[22:23]
	s_delay_alu instid0(VALU_DEP_1)
	v_dual_sub_nc_u32 v76, 29, v76 :: v_dual_bitop2_b32 v22, 7, v82 bitop3:0x40
; %bb.951:                              ;   in Loop: Header=BB219_548 Depth=1
	s_or_b32 exec_lo, exec_lo, s16
	s_delay_alu instid0(VALU_DEP_1) | instskip(NEXT) | instid1(VALU_DEP_2)
	v_dual_lshlrev_b32 v77, 24, v81 :: v_dual_lshlrev_b32 v22, 20, v22
	v_lshl_add_u32 v76, v76, 23, 0x3c000000
	s_delay_alu instid0(VALU_DEP_2) | instskip(NEXT) | instid1(VALU_DEP_1)
	v_and_b32_e32 v77, 0x80000000, v77
	v_or3_b32 v77, v22, v77, v76
	v_mov_b32_e32 v76, v23
.LBB219_952:                            ;   in Loop: Header=BB219_548 Depth=1
	s_or_b32 exec_lo, exec_lo, s15
.LBB219_953:                            ;   in Loop: Header=BB219_548 Depth=1
	s_delay_alu instid0(SALU_CYCLE_1)
	s_or_b32 exec_lo, exec_lo, s14
.LBB219_954:                            ;   in Loop: Header=BB219_548 Depth=1
	s_delay_alu instid0(SALU_CYCLE_1)
	s_or_b32 exec_lo, exec_lo, s11
	v_mov_b64_e32 v[80:81], s[2:3]
	v_or_b32_e32 v73, v73, v75
	v_or_b32_e32 v72, v72, v74
	;; [unrolled: 1-line block ×4, first 2 shown]
	s_delay_alu instid0(VALU_DEP_3) | instskip(NEXT) | instid1(VALU_DEP_2)
	v_pk_mul_f32 v[74:75], v[80:81], v[72:73]
	v_pk_mul_f32 v[72:73], v[80:81], v[76:77]
	s_and_saveexec_b32 s11, vcc_lo
	s_cbranch_execz .LBB219_956
; %bb.955:                              ;   in Loop: Header=BB219_548 Depth=1
	v_cmp_gt_i32_e64 s0, s27, v98
	s_delay_alu instid0(VALU_DEP_1) | instskip(SKIP_1) | instid1(VALU_DEP_1)
	v_cndmask_b32_e64 v74, 0, v74, s0
	v_cmp_gt_i32_e64 s0, s27, v101
	v_cndmask_b32_e64 v75, 0, v75, s0
	v_cmp_gt_i32_e64 s0, s27, v93
	s_delay_alu instid0(VALU_DEP_1) | instskip(SKIP_1) | instid1(VALU_DEP_1)
	v_cndmask_b32_e64 v72, 0, v72, s0
	v_cmp_gt_i32_e64 s0, s27, v92
	v_cndmask_b32_e64 v73, 0, v73, s0
.LBB219_956:                            ;   in Loop: Header=BB219_548 Depth=1
	s_or_b32 exec_lo, exec_lo, s11
	global_load_b32 v84, v[32:33], off offset:1536
	v_mov_b64_e32 v[76:77], 0
	v_mov_b64_e32 v[78:79], 0
	s_mov_b32 s11, exec_lo
	s_wait_loadcnt 0x0
	v_and_b32_e32 v22, 0xff, v84
	s_delay_alu instid0(VALU_DEP_1)
	v_cmpx_ne_u16_e32 0, v22
	s_cbranch_execz .LBB219_964
; %bb.957:                              ;   in Loop: Header=BB219_548 Depth=1
	v_mov_b64_e32 v[78:79], 0x80000000
	s_mov_b32 s14, exec_lo
	v_cmpx_ne_u16_e32 0x80, v22
	s_cbranch_execz .LBB219_963
; %bb.958:                              ;   in Loop: Header=BB219_548 Depth=1
	v_mov_b64_e32 v[78:79], 0x7f800001
	v_and_b32_e32 v80, 0x7f, v84
	s_mov_b32 s15, exec_lo
	s_delay_alu instid0(VALU_DEP_1)
	v_cmpx_ne_u32_e32 0x7f, v80
	s_cbranch_execz .LBB219_962
; %bb.959:                              ;   in Loop: Header=BB219_548 Depth=1
	v_and_b32_e32 v22, 7, v84
	v_lshrrev_b32_e32 v78, 3, v80
	s_mov_b32 s16, exec_lo
	v_cmpx_gt_u32_e32 8, v80
; %bb.960:                              ;   in Loop: Header=BB219_548 Depth=1
	s_delay_alu instid0(VALU_DEP_3) | instskip(NEXT) | instid1(VALU_DEP_1)
	v_clz_i32_u32_e32 v78, v22
	v_min_u32_e32 v78, 32, v78
	s_delay_alu instid0(VALU_DEP_1) | instskip(NEXT) | instid1(VALU_DEP_1)
	v_subrev_nc_u32_e32 v79, 28, v78
	v_lshlrev_b64_e32 v[80:81], v79, v[22:23]
	s_delay_alu instid0(VALU_DEP_1)
	v_dual_sub_nc_u32 v78, 29, v78 :: v_dual_bitop2_b32 v22, 7, v80 bitop3:0x40
; %bb.961:                              ;   in Loop: Header=BB219_548 Depth=1
	s_or_b32 exec_lo, exec_lo, s16
	s_delay_alu instid0(VALU_DEP_1) | instskip(NEXT) | instid1(VALU_DEP_2)
	v_dual_lshlrev_b32 v79, 24, v84 :: v_dual_lshlrev_b32 v22, 20, v22
	v_lshl_add_u32 v78, v78, 23, 0x3c000000
	s_delay_alu instid0(VALU_DEP_2) | instskip(NEXT) | instid1(VALU_DEP_1)
	v_and_b32_e32 v79, 0x80000000, v79
	v_or3_b32 v22, v22, v79, v78
	s_delay_alu instid0(VALU_DEP_1)
	v_mov_b64_e32 v[78:79], v[22:23]
.LBB219_962:                            ;   in Loop: Header=BB219_548 Depth=1
	s_or_b32 exec_lo, exec_lo, s15
.LBB219_963:                            ;   in Loop: Header=BB219_548 Depth=1
	s_delay_alu instid0(SALU_CYCLE_1)
	s_or_b32 exec_lo, exec_lo, s14
.LBB219_964:                            ;   in Loop: Header=BB219_548 Depth=1
	s_delay_alu instid0(SALU_CYCLE_1) | instskip(SKIP_2) | instid1(VALU_DEP_1)
	s_or_b32 exec_lo, exec_lo, s11
	v_lshrrev_b16 v22, 8, v84
	s_mov_b32 s11, exec_lo
	v_cmpx_ne_u16_e32 0, v22
	s_cbranch_execz .LBB219_972
; %bb.965:                              ;   in Loop: Header=BB219_548 Depth=1
	v_mov_b64_e32 v[76:77], 0x8000000000000000
	s_mov_b32 s14, exec_lo
	v_cmpx_ne_u16_e32 0x80, v22
	s_cbranch_execz .LBB219_971
; %bb.966:                              ;   in Loop: Header=BB219_548 Depth=1
	v_and_b32_e32 v22, 0xffff, v22
	v_mov_b64_e32 v[76:77], 0x7f80000100000000
	s_mov_b32 s15, exec_lo
	s_delay_alu instid0(VALU_DEP_2) | instskip(NEXT) | instid1(VALU_DEP_1)
	v_and_b32_e32 v80, 0x7f, v22
	v_cmpx_ne_u32_e32 0x7f, v80
	s_cbranch_execz .LBB219_970
; %bb.967:                              ;   in Loop: Header=BB219_548 Depth=1
	v_dual_lshrrev_b32 v76, 3, v80 :: v_dual_bitop2_b32 v22, 7, v22 bitop3:0x40
	s_mov_b32 s16, exec_lo
	v_cmpx_gt_u32_e32 8, v80
; %bb.968:                              ;   in Loop: Header=BB219_548 Depth=1
	s_delay_alu instid0(VALU_DEP_2) | instskip(NEXT) | instid1(VALU_DEP_1)
	v_clz_i32_u32_e32 v76, v22
	v_min_u32_e32 v76, 32, v76
	s_delay_alu instid0(VALU_DEP_1) | instskip(SKIP_1) | instid1(VALU_DEP_2)
	v_subrev_nc_u32_e32 v77, 28, v76
	v_sub_nc_u32_e32 v76, 29, v76
	v_lshlrev_b64_e32 v[80:81], v77, v[22:23]
	s_delay_alu instid0(VALU_DEP_1)
	v_and_b32_e32 v22, 7, v80
; %bb.969:                              ;   in Loop: Header=BB219_548 Depth=1
	s_or_b32 exec_lo, exec_lo, s16
	s_delay_alu instid0(VALU_DEP_1) | instskip(SKIP_1) | instid1(VALU_DEP_2)
	v_dual_lshlrev_b32 v77, 16, v84 :: v_dual_lshlrev_b32 v22, 20, v22
	v_lshl_add_u32 v76, v76, 23, 0x3c000000
	v_and_b32_e32 v77, 0x80000000, v77
	s_delay_alu instid0(VALU_DEP_1)
	v_or3_b32 v77, v22, v77, v76
	v_mov_b32_e32 v76, v23
.LBB219_970:                            ;   in Loop: Header=BB219_548 Depth=1
	s_or_b32 exec_lo, exec_lo, s15
.LBB219_971:                            ;   in Loop: Header=BB219_548 Depth=1
	s_delay_alu instid0(SALU_CYCLE_1)
	s_or_b32 exec_lo, exec_lo, s14
.LBB219_972:                            ;   in Loop: Header=BB219_548 Depth=1
	s_delay_alu instid0(SALU_CYCLE_1) | instskip(SKIP_4) | instid1(VALU_DEP_3)
	s_or_b32 exec_lo, exec_lo, s11
	v_lshrrev_b32_e32 v85, 16, v84
	v_mov_b64_e32 v[80:81], 0
	v_mov_b64_e32 v[82:83], 0
	s_mov_b32 s11, exec_lo
	v_and_b32_e32 v22, 0xff, v85
	s_delay_alu instid0(VALU_DEP_1)
	v_cmpx_ne_u16_e32 0, v22
	s_cbranch_execz .LBB219_980
; %bb.973:                              ;   in Loop: Header=BB219_548 Depth=1
	v_mov_b64_e32 v[82:83], 0x80000000
	s_mov_b32 s14, exec_lo
	v_cmpx_ne_u16_e32 0x80, v22
	s_cbranch_execz .LBB219_979
; %bb.974:                              ;   in Loop: Header=BB219_548 Depth=1
	v_mov_b64_e32 v[82:83], 0x7f800001
	v_bfe_u32 v86, v84, 16, 7
	s_mov_b32 s15, exec_lo
	s_delay_alu instid0(VALU_DEP_1)
	v_cmpx_ne_u32_e32 0x7f, v86
	s_cbranch_execz .LBB219_978
; %bb.975:                              ;   in Loop: Header=BB219_548 Depth=1
	v_dual_lshrrev_b32 v82, 3, v86 :: v_dual_bitop2_b32 v22, 7, v85 bitop3:0x40
	s_mov_b32 s16, exec_lo
	v_cmpx_gt_u32_e32 8, v86
; %bb.976:                              ;   in Loop: Header=BB219_548 Depth=1
	s_delay_alu instid0(VALU_DEP_2) | instskip(NEXT) | instid1(VALU_DEP_1)
	v_clz_i32_u32_e32 v82, v22
	v_min_u32_e32 v82, 32, v82
	s_delay_alu instid0(VALU_DEP_1) | instskip(SKIP_1) | instid1(VALU_DEP_2)
	v_subrev_nc_u32_e32 v83, 28, v82
	v_sub_nc_u32_e32 v82, 29, v82
	v_lshlrev_b64_e32 v[86:87], v83, v[22:23]
	s_delay_alu instid0(VALU_DEP_1)
	v_and_b32_e32 v22, 7, v86
; %bb.977:                              ;   in Loop: Header=BB219_548 Depth=1
	s_or_b32 exec_lo, exec_lo, s16
	s_delay_alu instid0(VALU_DEP_1) | instskip(SKIP_1) | instid1(VALU_DEP_2)
	v_dual_lshlrev_b32 v83, 24, v85 :: v_dual_lshlrev_b32 v22, 20, v22
	v_lshl_add_u32 v82, v82, 23, 0x3c000000
	v_and_b32_e32 v83, 0x80000000, v83
	s_delay_alu instid0(VALU_DEP_1) | instskip(NEXT) | instid1(VALU_DEP_1)
	v_or3_b32 v22, v22, v83, v82
	v_mov_b64_e32 v[82:83], v[22:23]
.LBB219_978:                            ;   in Loop: Header=BB219_548 Depth=1
	s_or_b32 exec_lo, exec_lo, s15
.LBB219_979:                            ;   in Loop: Header=BB219_548 Depth=1
	s_delay_alu instid0(SALU_CYCLE_1)
	s_or_b32 exec_lo, exec_lo, s14
.LBB219_980:                            ;   in Loop: Header=BB219_548 Depth=1
	s_delay_alu instid0(SALU_CYCLE_1) | instskip(NEXT) | instid1(SALU_CYCLE_1)
	s_or_b32 exec_lo, exec_lo, s11
	s_mov_b32 s11, exec_lo
	v_cmpx_lt_u32_e32 0xffffff, v84
	s_cbranch_execz .LBB219_988
; %bb.981:                              ;   in Loop: Header=BB219_548 Depth=1
	v_mov_b64_e32 v[80:81], 0x8000000000000000
	v_lshrrev_b32_e32 v85, 24, v84
	s_mov_b32 s14, exec_lo
	s_delay_alu instid0(VALU_DEP_1)
	v_cmpx_ne_u32_e32 0x80, v85
	s_cbranch_execz .LBB219_987
; %bb.982:                              ;   in Loop: Header=BB219_548 Depth=1
	v_mov_b64_e32 v[80:81], 0x7f80000100000000
	v_bfe_u32 v84, v84, 24, 7
	s_mov_b32 s15, exec_lo
	s_delay_alu instid0(VALU_DEP_1)
	v_cmpx_ne_u32_e32 0x7f, v84
	s_cbranch_execz .LBB219_986
; %bb.983:                              ;   in Loop: Header=BB219_548 Depth=1
	v_dual_lshrrev_b32 v80, 3, v84 :: v_dual_bitop2_b32 v22, 7, v85 bitop3:0x40
	s_mov_b32 s16, exec_lo
	v_cmpx_gt_u32_e32 8, v84
; %bb.984:                              ;   in Loop: Header=BB219_548 Depth=1
	s_delay_alu instid0(VALU_DEP_2) | instskip(NEXT) | instid1(VALU_DEP_1)
	v_clz_i32_u32_e32 v80, v22
	v_min_u32_e32 v80, 32, v80
	s_delay_alu instid0(VALU_DEP_1) | instskip(NEXT) | instid1(VALU_DEP_1)
	v_subrev_nc_u32_e32 v81, 28, v80
	v_lshlrev_b64_e32 v[86:87], v81, v[22:23]
	s_delay_alu instid0(VALU_DEP_1)
	v_dual_sub_nc_u32 v80, 29, v80 :: v_dual_bitop2_b32 v22, 7, v86 bitop3:0x40
; %bb.985:                              ;   in Loop: Header=BB219_548 Depth=1
	s_or_b32 exec_lo, exec_lo, s16
	s_delay_alu instid0(VALU_DEP_1) | instskip(NEXT) | instid1(VALU_DEP_2)
	v_dual_lshlrev_b32 v81, 24, v85 :: v_dual_lshlrev_b32 v22, 20, v22
	v_lshl_add_u32 v80, v80, 23, 0x3c000000
	s_delay_alu instid0(VALU_DEP_2) | instskip(NEXT) | instid1(VALU_DEP_1)
	v_and_b32_e32 v81, 0x80000000, v81
	v_or3_b32 v81, v22, v81, v80
	v_mov_b32_e32 v80, v23
.LBB219_986:                            ;   in Loop: Header=BB219_548 Depth=1
	s_or_b32 exec_lo, exec_lo, s15
.LBB219_987:                            ;   in Loop: Header=BB219_548 Depth=1
	s_delay_alu instid0(SALU_CYCLE_1)
	s_or_b32 exec_lo, exec_lo, s14
.LBB219_988:                            ;   in Loop: Header=BB219_548 Depth=1
	s_delay_alu instid0(SALU_CYCLE_1)
	s_or_b32 exec_lo, exec_lo, s11
	v_mov_b64_e32 v[84:85], s[2:3]
	v_or_b32_e32 v77, v77, v79
	v_or_b32_e32 v76, v76, v78
	;; [unrolled: 1-line block ×4, first 2 shown]
	s_delay_alu instid0(VALU_DEP_3) | instskip(NEXT) | instid1(VALU_DEP_2)
	v_pk_mul_f32 v[78:79], v[84:85], v[76:77]
	v_pk_mul_f32 v[76:77], v[84:85], v[80:81]
	s_and_saveexec_b32 s11, vcc_lo
	s_cbranch_execz .LBB219_990
; %bb.989:                              ;   in Loop: Header=BB219_548 Depth=1
	v_cmp_gt_i32_e64 s0, s27, v98
	s_delay_alu instid0(VALU_DEP_1) | instskip(SKIP_1) | instid1(VALU_DEP_1)
	v_cndmask_b32_e64 v78, 0, v78, s0
	v_cmp_gt_i32_e64 s0, s27, v101
	v_cndmask_b32_e64 v79, 0, v79, s0
	v_cmp_gt_i32_e64 s0, s27, v93
	s_delay_alu instid0(VALU_DEP_1) | instskip(SKIP_1) | instid1(VALU_DEP_1)
	v_cndmask_b32_e64 v76, 0, v76, s0
	v_cmp_gt_i32_e64 s0, s27, v92
	v_cndmask_b32_e64 v77, 0, v77, s0
.LBB219_990:                            ;   in Loop: Header=BB219_548 Depth=1
	s_or_b32 exec_lo, exec_lo, s11
	global_load_b32 v88, v[32:33], off offset:1664
	v_mov_b64_e32 v[80:81], 0
	v_mov_b64_e32 v[82:83], 0
	s_mov_b32 s11, exec_lo
	s_wait_loadcnt 0x0
	v_and_b32_e32 v22, 0xff, v88
	s_delay_alu instid0(VALU_DEP_1)
	v_cmpx_ne_u16_e32 0, v22
	s_cbranch_execz .LBB219_998
; %bb.991:                              ;   in Loop: Header=BB219_548 Depth=1
	v_mov_b64_e32 v[82:83], 0x80000000
	s_mov_b32 s14, exec_lo
	v_cmpx_ne_u16_e32 0x80, v22
	s_cbranch_execz .LBB219_997
; %bb.992:                              ;   in Loop: Header=BB219_548 Depth=1
	v_mov_b64_e32 v[82:83], 0x7f800001
	v_and_b32_e32 v84, 0x7f, v88
	s_mov_b32 s15, exec_lo
	s_delay_alu instid0(VALU_DEP_1)
	v_cmpx_ne_u32_e32 0x7f, v84
	s_cbranch_execz .LBB219_996
; %bb.993:                              ;   in Loop: Header=BB219_548 Depth=1
	v_and_b32_e32 v22, 7, v88
	v_lshrrev_b32_e32 v82, 3, v84
	s_mov_b32 s16, exec_lo
	v_cmpx_gt_u32_e32 8, v84
; %bb.994:                              ;   in Loop: Header=BB219_548 Depth=1
	s_delay_alu instid0(VALU_DEP_3) | instskip(NEXT) | instid1(VALU_DEP_1)
	v_clz_i32_u32_e32 v82, v22
	v_min_u32_e32 v82, 32, v82
	s_delay_alu instid0(VALU_DEP_1) | instskip(NEXT) | instid1(VALU_DEP_1)
	v_subrev_nc_u32_e32 v83, 28, v82
	v_lshlrev_b64_e32 v[84:85], v83, v[22:23]
	s_delay_alu instid0(VALU_DEP_1)
	v_dual_sub_nc_u32 v82, 29, v82 :: v_dual_bitop2_b32 v22, 7, v84 bitop3:0x40
; %bb.995:                              ;   in Loop: Header=BB219_548 Depth=1
	s_or_b32 exec_lo, exec_lo, s16
	s_delay_alu instid0(VALU_DEP_1) | instskip(NEXT) | instid1(VALU_DEP_2)
	v_dual_lshlrev_b32 v83, 24, v88 :: v_dual_lshlrev_b32 v22, 20, v22
	v_lshl_add_u32 v82, v82, 23, 0x3c000000
	s_delay_alu instid0(VALU_DEP_2) | instskip(NEXT) | instid1(VALU_DEP_1)
	v_and_b32_e32 v83, 0x80000000, v83
	v_or3_b32 v22, v22, v83, v82
	s_delay_alu instid0(VALU_DEP_1)
	v_mov_b64_e32 v[82:83], v[22:23]
.LBB219_996:                            ;   in Loop: Header=BB219_548 Depth=1
	s_or_b32 exec_lo, exec_lo, s15
.LBB219_997:                            ;   in Loop: Header=BB219_548 Depth=1
	s_delay_alu instid0(SALU_CYCLE_1)
	s_or_b32 exec_lo, exec_lo, s14
.LBB219_998:                            ;   in Loop: Header=BB219_548 Depth=1
	s_delay_alu instid0(SALU_CYCLE_1) | instskip(SKIP_2) | instid1(VALU_DEP_1)
	s_or_b32 exec_lo, exec_lo, s11
	v_lshrrev_b16 v22, 8, v88
	s_mov_b32 s11, exec_lo
	v_cmpx_ne_u16_e32 0, v22
	s_cbranch_execz .LBB219_1006
; %bb.999:                              ;   in Loop: Header=BB219_548 Depth=1
	v_mov_b64_e32 v[80:81], 0x8000000000000000
	s_mov_b32 s14, exec_lo
	v_cmpx_ne_u16_e32 0x80, v22
	s_cbranch_execz .LBB219_1005
; %bb.1000:                             ;   in Loop: Header=BB219_548 Depth=1
	v_and_b32_e32 v22, 0xffff, v22
	v_mov_b64_e32 v[80:81], 0x7f80000100000000
	s_mov_b32 s15, exec_lo
	s_delay_alu instid0(VALU_DEP_2) | instskip(NEXT) | instid1(VALU_DEP_1)
	v_and_b32_e32 v84, 0x7f, v22
	v_cmpx_ne_u32_e32 0x7f, v84
	s_cbranch_execz .LBB219_1004
; %bb.1001:                             ;   in Loop: Header=BB219_548 Depth=1
	v_dual_lshrrev_b32 v80, 3, v84 :: v_dual_bitop2_b32 v22, 7, v22 bitop3:0x40
	s_mov_b32 s16, exec_lo
	v_cmpx_gt_u32_e32 8, v84
; %bb.1002:                             ;   in Loop: Header=BB219_548 Depth=1
	s_delay_alu instid0(VALU_DEP_2) | instskip(NEXT) | instid1(VALU_DEP_1)
	v_clz_i32_u32_e32 v80, v22
	v_min_u32_e32 v80, 32, v80
	s_delay_alu instid0(VALU_DEP_1) | instskip(SKIP_1) | instid1(VALU_DEP_2)
	v_subrev_nc_u32_e32 v81, 28, v80
	v_sub_nc_u32_e32 v80, 29, v80
	v_lshlrev_b64_e32 v[84:85], v81, v[22:23]
	s_delay_alu instid0(VALU_DEP_1)
	v_and_b32_e32 v22, 7, v84
; %bb.1003:                             ;   in Loop: Header=BB219_548 Depth=1
	s_or_b32 exec_lo, exec_lo, s16
	s_delay_alu instid0(VALU_DEP_1) | instskip(SKIP_1) | instid1(VALU_DEP_2)
	v_dual_lshlrev_b32 v81, 16, v88 :: v_dual_lshlrev_b32 v22, 20, v22
	v_lshl_add_u32 v80, v80, 23, 0x3c000000
	v_and_b32_e32 v81, 0x80000000, v81
	s_delay_alu instid0(VALU_DEP_1)
	v_or3_b32 v81, v22, v81, v80
	v_mov_b32_e32 v80, v23
.LBB219_1004:                           ;   in Loop: Header=BB219_548 Depth=1
	s_or_b32 exec_lo, exec_lo, s15
.LBB219_1005:                           ;   in Loop: Header=BB219_548 Depth=1
	s_delay_alu instid0(SALU_CYCLE_1)
	s_or_b32 exec_lo, exec_lo, s14
.LBB219_1006:                           ;   in Loop: Header=BB219_548 Depth=1
	s_delay_alu instid0(SALU_CYCLE_1) | instskip(SKIP_4) | instid1(VALU_DEP_3)
	s_or_b32 exec_lo, exec_lo, s11
	v_lshrrev_b32_e32 v89, 16, v88
	v_mov_b64_e32 v[84:85], 0
	v_mov_b64_e32 v[86:87], 0
	s_mov_b32 s11, exec_lo
	v_and_b32_e32 v22, 0xff, v89
	s_delay_alu instid0(VALU_DEP_1)
	v_cmpx_ne_u16_e32 0, v22
	s_cbranch_execz .LBB219_1014
; %bb.1007:                             ;   in Loop: Header=BB219_548 Depth=1
	v_mov_b64_e32 v[86:87], 0x80000000
	s_mov_b32 s14, exec_lo
	v_cmpx_ne_u16_e32 0x80, v22
	s_cbranch_execz .LBB219_1013
; %bb.1008:                             ;   in Loop: Header=BB219_548 Depth=1
	v_mov_b64_e32 v[86:87], 0x7f800001
	v_bfe_u32 v90, v88, 16, 7
	s_mov_b32 s15, exec_lo
	s_delay_alu instid0(VALU_DEP_1)
	v_cmpx_ne_u32_e32 0x7f, v90
	s_cbranch_execz .LBB219_1012
; %bb.1009:                             ;   in Loop: Header=BB219_548 Depth=1
	v_dual_lshrrev_b32 v86, 3, v90 :: v_dual_bitop2_b32 v22, 7, v89 bitop3:0x40
	s_mov_b32 s16, exec_lo
	v_cmpx_gt_u32_e32 8, v90
; %bb.1010:                             ;   in Loop: Header=BB219_548 Depth=1
	s_delay_alu instid0(VALU_DEP_2) | instskip(NEXT) | instid1(VALU_DEP_1)
	v_clz_i32_u32_e32 v86, v22
	v_min_u32_e32 v86, 32, v86
	s_delay_alu instid0(VALU_DEP_1) | instskip(SKIP_1) | instid1(VALU_DEP_2)
	v_subrev_nc_u32_e32 v87, 28, v86
	v_sub_nc_u32_e32 v86, 29, v86
	v_lshlrev_b64_e32 v[90:91], v87, v[22:23]
	s_delay_alu instid0(VALU_DEP_1)
	v_and_b32_e32 v22, 7, v90
; %bb.1011:                             ;   in Loop: Header=BB219_548 Depth=1
	s_or_b32 exec_lo, exec_lo, s16
	s_delay_alu instid0(VALU_DEP_1) | instskip(SKIP_1) | instid1(VALU_DEP_2)
	v_dual_lshlrev_b32 v87, 24, v89 :: v_dual_lshlrev_b32 v22, 20, v22
	v_lshl_add_u32 v86, v86, 23, 0x3c000000
	v_and_b32_e32 v87, 0x80000000, v87
	s_delay_alu instid0(VALU_DEP_1) | instskip(NEXT) | instid1(VALU_DEP_1)
	v_or3_b32 v22, v22, v87, v86
	v_mov_b64_e32 v[86:87], v[22:23]
.LBB219_1012:                           ;   in Loop: Header=BB219_548 Depth=1
	s_or_b32 exec_lo, exec_lo, s15
.LBB219_1013:                           ;   in Loop: Header=BB219_548 Depth=1
	s_delay_alu instid0(SALU_CYCLE_1)
	s_or_b32 exec_lo, exec_lo, s14
.LBB219_1014:                           ;   in Loop: Header=BB219_548 Depth=1
	s_delay_alu instid0(SALU_CYCLE_1) | instskip(NEXT) | instid1(SALU_CYCLE_1)
	s_or_b32 exec_lo, exec_lo, s11
	s_mov_b32 s11, exec_lo
	v_cmpx_lt_u32_e32 0xffffff, v88
	s_cbranch_execz .LBB219_1022
; %bb.1015:                             ;   in Loop: Header=BB219_548 Depth=1
	v_mov_b64_e32 v[84:85], 0x8000000000000000
	v_lshrrev_b32_e32 v89, 24, v88
	s_mov_b32 s14, exec_lo
	s_delay_alu instid0(VALU_DEP_1)
	v_cmpx_ne_u32_e32 0x80, v89
	s_cbranch_execz .LBB219_1021
; %bb.1016:                             ;   in Loop: Header=BB219_548 Depth=1
	v_mov_b64_e32 v[84:85], 0x7f80000100000000
	v_bfe_u32 v88, v88, 24, 7
	s_mov_b32 s15, exec_lo
	s_delay_alu instid0(VALU_DEP_1)
	v_cmpx_ne_u32_e32 0x7f, v88
	s_cbranch_execz .LBB219_1020
; %bb.1017:                             ;   in Loop: Header=BB219_548 Depth=1
	v_dual_lshrrev_b32 v84, 3, v88 :: v_dual_bitop2_b32 v22, 7, v89 bitop3:0x40
	s_mov_b32 s16, exec_lo
	v_cmpx_gt_u32_e32 8, v88
; %bb.1018:                             ;   in Loop: Header=BB219_548 Depth=1
	s_delay_alu instid0(VALU_DEP_2) | instskip(NEXT) | instid1(VALU_DEP_1)
	v_clz_i32_u32_e32 v84, v22
	v_min_u32_e32 v84, 32, v84
	s_delay_alu instid0(VALU_DEP_1) | instskip(NEXT) | instid1(VALU_DEP_1)
	v_subrev_nc_u32_e32 v85, 28, v84
	v_lshlrev_b64_e32 v[90:91], v85, v[22:23]
	s_delay_alu instid0(VALU_DEP_1)
	v_dual_sub_nc_u32 v84, 29, v84 :: v_dual_bitop2_b32 v22, 7, v90 bitop3:0x40
; %bb.1019:                             ;   in Loop: Header=BB219_548 Depth=1
	s_or_b32 exec_lo, exec_lo, s16
	s_delay_alu instid0(VALU_DEP_1) | instskip(NEXT) | instid1(VALU_DEP_2)
	v_dual_lshlrev_b32 v85, 24, v89 :: v_dual_lshlrev_b32 v22, 20, v22
	v_lshl_add_u32 v84, v84, 23, 0x3c000000
	s_delay_alu instid0(VALU_DEP_2) | instskip(NEXT) | instid1(VALU_DEP_1)
	v_and_b32_e32 v85, 0x80000000, v85
	v_or3_b32 v85, v22, v85, v84
	v_mov_b32_e32 v84, v23
.LBB219_1020:                           ;   in Loop: Header=BB219_548 Depth=1
	s_or_b32 exec_lo, exec_lo, s15
.LBB219_1021:                           ;   in Loop: Header=BB219_548 Depth=1
	s_delay_alu instid0(SALU_CYCLE_1)
	s_or_b32 exec_lo, exec_lo, s14
.LBB219_1022:                           ;   in Loop: Header=BB219_548 Depth=1
	s_delay_alu instid0(SALU_CYCLE_1)
	s_or_b32 exec_lo, exec_lo, s11
	v_mov_b64_e32 v[88:89], s[2:3]
	v_or_b32_e32 v81, v81, v83
	v_or_b32_e32 v80, v80, v82
	;; [unrolled: 1-line block ×4, first 2 shown]
	s_delay_alu instid0(VALU_DEP_3) | instskip(NEXT) | instid1(VALU_DEP_2)
	v_pk_mul_f32 v[82:83], v[88:89], v[80:81]
	v_pk_mul_f32 v[80:81], v[88:89], v[84:85]
	s_and_saveexec_b32 s11, vcc_lo
	s_cbranch_execz .LBB219_1024
; %bb.1023:                             ;   in Loop: Header=BB219_548 Depth=1
	v_cmp_gt_i32_e64 s0, s27, v98
	s_delay_alu instid0(VALU_DEP_1) | instskip(SKIP_1) | instid1(VALU_DEP_1)
	v_cndmask_b32_e64 v82, 0, v82, s0
	v_cmp_gt_i32_e64 s0, s27, v101
	v_cndmask_b32_e64 v83, 0, v83, s0
	v_cmp_gt_i32_e64 s0, s27, v93
	s_delay_alu instid0(VALU_DEP_1) | instskip(SKIP_1) | instid1(VALU_DEP_1)
	v_cndmask_b32_e64 v80, 0, v80, s0
	v_cmp_gt_i32_e64 s0, s27, v92
	v_cndmask_b32_e64 v81, 0, v81, s0
.LBB219_1024:                           ;   in Loop: Header=BB219_548 Depth=1
	s_or_b32 exec_lo, exec_lo, s11
	global_load_b32 v102, v[32:33], off offset:1792
	v_mov_b64_e32 v[84:85], 0
	v_mov_b64_e32 v[86:87], 0
	s_mov_b32 s11, exec_lo
	s_wait_loadcnt 0x0
	v_and_b32_e32 v22, 0xff, v102
	s_delay_alu instid0(VALU_DEP_1)
	v_cmpx_ne_u16_e32 0, v22
	s_cbranch_execz .LBB219_1032
; %bb.1025:                             ;   in Loop: Header=BB219_548 Depth=1
	v_mov_b64_e32 v[86:87], 0x80000000
	s_mov_b32 s14, exec_lo
	v_cmpx_ne_u16_e32 0x80, v22
	s_cbranch_execz .LBB219_1031
; %bb.1026:                             ;   in Loop: Header=BB219_548 Depth=1
	v_mov_b64_e32 v[86:87], 0x7f800001
	v_and_b32_e32 v88, 0x7f, v102
	s_mov_b32 s15, exec_lo
	s_delay_alu instid0(VALU_DEP_1)
	v_cmpx_ne_u32_e32 0x7f, v88
	s_cbranch_execz .LBB219_1030
; %bb.1027:                             ;   in Loop: Header=BB219_548 Depth=1
	v_dual_lshrrev_b32 v86, 3, v88 :: v_dual_bitop2_b32 v22, 7, v102 bitop3:0x40
	s_mov_b32 s16, exec_lo
	v_cmpx_gt_u32_e32 8, v88
; %bb.1028:                             ;   in Loop: Header=BB219_548 Depth=1
	s_delay_alu instid0(VALU_DEP_2) | instskip(NEXT) | instid1(VALU_DEP_1)
	v_clz_i32_u32_e32 v86, v22
	v_min_u32_e32 v86, 32, v86
	s_delay_alu instid0(VALU_DEP_1) | instskip(NEXT) | instid1(VALU_DEP_1)
	v_subrev_nc_u32_e32 v87, 28, v86
	v_lshlrev_b64_e32 v[88:89], v87, v[22:23]
	s_delay_alu instid0(VALU_DEP_1)
	v_dual_sub_nc_u32 v86, 29, v86 :: v_dual_bitop2_b32 v22, 7, v88 bitop3:0x40
; %bb.1029:                             ;   in Loop: Header=BB219_548 Depth=1
	s_or_b32 exec_lo, exec_lo, s16
	v_lshlrev_b32_e32 v87, 24, v102
	s_delay_alu instid0(VALU_DEP_2) | instskip(NEXT) | instid1(VALU_DEP_3)
	v_lshlrev_b32_e32 v22, 20, v22
	v_lshl_add_u32 v86, v86, 23, 0x3c000000
	s_delay_alu instid0(VALU_DEP_3) | instskip(NEXT) | instid1(VALU_DEP_1)
	v_and_b32_e32 v87, 0x80000000, v87
	v_or3_b32 v22, v22, v87, v86
	s_delay_alu instid0(VALU_DEP_1)
	v_mov_b64_e32 v[86:87], v[22:23]
.LBB219_1030:                           ;   in Loop: Header=BB219_548 Depth=1
	s_or_b32 exec_lo, exec_lo, s15
.LBB219_1031:                           ;   in Loop: Header=BB219_548 Depth=1
	s_delay_alu instid0(SALU_CYCLE_1)
	s_or_b32 exec_lo, exec_lo, s14
.LBB219_1032:                           ;   in Loop: Header=BB219_548 Depth=1
	s_delay_alu instid0(SALU_CYCLE_1) | instskip(SKIP_2) | instid1(VALU_DEP_1)
	s_or_b32 exec_lo, exec_lo, s11
	v_lshrrev_b16 v22, 8, v102
	s_mov_b32 s11, exec_lo
	v_cmpx_ne_u16_e32 0, v22
	s_cbranch_execz .LBB219_1040
; %bb.1033:                             ;   in Loop: Header=BB219_548 Depth=1
	v_mov_b64_e32 v[84:85], 0x8000000000000000
	s_mov_b32 s14, exec_lo
	v_cmpx_ne_u16_e32 0x80, v22
	s_cbranch_execz .LBB219_1039
; %bb.1034:                             ;   in Loop: Header=BB219_548 Depth=1
	v_and_b32_e32 v22, 0xffff, v22
	v_mov_b64_e32 v[84:85], 0x7f80000100000000
	s_mov_b32 s15, exec_lo
	s_delay_alu instid0(VALU_DEP_2) | instskip(NEXT) | instid1(VALU_DEP_1)
	v_and_b32_e32 v88, 0x7f, v22
	v_cmpx_ne_u32_e32 0x7f, v88
	s_cbranch_execz .LBB219_1038
; %bb.1035:                             ;   in Loop: Header=BB219_548 Depth=1
	v_dual_lshrrev_b32 v84, 3, v88 :: v_dual_bitop2_b32 v22, 7, v22 bitop3:0x40
	s_mov_b32 s16, exec_lo
	v_cmpx_gt_u32_e32 8, v88
; %bb.1036:                             ;   in Loop: Header=BB219_548 Depth=1
	s_delay_alu instid0(VALU_DEP_2) | instskip(NEXT) | instid1(VALU_DEP_1)
	v_clz_i32_u32_e32 v84, v22
	v_min_u32_e32 v84, 32, v84
	s_delay_alu instid0(VALU_DEP_1) | instskip(SKIP_1) | instid1(VALU_DEP_2)
	v_subrev_nc_u32_e32 v85, 28, v84
	v_sub_nc_u32_e32 v84, 29, v84
	v_lshlrev_b64_e32 v[88:89], v85, v[22:23]
	s_delay_alu instid0(VALU_DEP_1)
	v_and_b32_e32 v22, 7, v88
; %bb.1037:                             ;   in Loop: Header=BB219_548 Depth=1
	s_or_b32 exec_lo, exec_lo, s16
	v_lshlrev_b32_e32 v85, 16, v102
	s_delay_alu instid0(VALU_DEP_2) | instskip(SKIP_1) | instid1(VALU_DEP_3)
	v_lshlrev_b32_e32 v22, 20, v22
	v_lshl_add_u32 v84, v84, 23, 0x3c000000
	v_and_b32_e32 v85, 0x80000000, v85
	s_delay_alu instid0(VALU_DEP_1)
	v_or3_b32 v85, v22, v85, v84
	v_mov_b32_e32 v84, v23
.LBB219_1038:                           ;   in Loop: Header=BB219_548 Depth=1
	s_or_b32 exec_lo, exec_lo, s15
.LBB219_1039:                           ;   in Loop: Header=BB219_548 Depth=1
	s_delay_alu instid0(SALU_CYCLE_1)
	s_or_b32 exec_lo, exec_lo, s14
.LBB219_1040:                           ;   in Loop: Header=BB219_548 Depth=1
	s_delay_alu instid0(SALU_CYCLE_1) | instskip(SKIP_4) | instid1(VALU_DEP_3)
	s_or_b32 exec_lo, exec_lo, s11
	v_lshrrev_b32_e32 v103, 16, v102
	v_mov_b64_e32 v[88:89], 0
	v_mov_b64_e32 v[90:91], 0
	s_mov_b32 s11, exec_lo
	v_and_b32_e32 v22, 0xff, v103
	s_delay_alu instid0(VALU_DEP_1)
	v_cmpx_ne_u16_e32 0, v22
	s_cbranch_execz .LBB219_1048
; %bb.1041:                             ;   in Loop: Header=BB219_548 Depth=1
	v_mov_b64_e32 v[90:91], 0x80000000
	s_mov_b32 s14, exec_lo
	v_cmpx_ne_u16_e32 0x80, v22
	s_cbranch_execz .LBB219_1047
; %bb.1042:                             ;   in Loop: Header=BB219_548 Depth=1
	v_mov_b64_e32 v[90:91], 0x7f800001
	v_bfe_u32 v104, v102, 16, 7
	s_mov_b32 s15, exec_lo
	s_delay_alu instid0(VALU_DEP_1)
	v_cmpx_ne_u32_e32 0x7f, v104
	s_cbranch_execz .LBB219_1046
; %bb.1043:                             ;   in Loop: Header=BB219_548 Depth=1
	v_dual_lshrrev_b32 v90, 3, v104 :: v_dual_bitop2_b32 v22, 7, v103 bitop3:0x40
	s_mov_b32 s16, exec_lo
	v_cmpx_gt_u32_e32 8, v104
; %bb.1044:                             ;   in Loop: Header=BB219_548 Depth=1
	s_delay_alu instid0(VALU_DEP_2) | instskip(NEXT) | instid1(VALU_DEP_1)
	v_clz_i32_u32_e32 v90, v22
	v_min_u32_e32 v90, 32, v90
	s_delay_alu instid0(VALU_DEP_1) | instskip(NEXT) | instid1(VALU_DEP_1)
	v_subrev_nc_u32_e32 v91, 28, v90
	v_lshlrev_b64_e32 v[104:105], v91, v[22:23]
	s_delay_alu instid0(VALU_DEP_1)
	v_dual_sub_nc_u32 v90, 29, v90 :: v_dual_bitop2_b32 v22, 7, v104 bitop3:0x40
; %bb.1045:                             ;   in Loop: Header=BB219_548 Depth=1
	s_or_b32 exec_lo, exec_lo, s16
	s_delay_alu instid0(VALU_DEP_1) | instskip(NEXT) | instid1(VALU_DEP_2)
	v_dual_lshlrev_b32 v91, 24, v103 :: v_dual_lshlrev_b32 v22, 20, v22
	v_lshl_add_u32 v90, v90, 23, 0x3c000000
	s_delay_alu instid0(VALU_DEP_2) | instskip(NEXT) | instid1(VALU_DEP_1)
	v_and_b32_e32 v91, 0x80000000, v91
	v_or3_b32 v22, v22, v91, v90
	s_delay_alu instid0(VALU_DEP_1)
	v_mov_b64_e32 v[90:91], v[22:23]
.LBB219_1046:                           ;   in Loop: Header=BB219_548 Depth=1
	s_or_b32 exec_lo, exec_lo, s15
.LBB219_1047:                           ;   in Loop: Header=BB219_548 Depth=1
	s_delay_alu instid0(SALU_CYCLE_1)
	s_or_b32 exec_lo, exec_lo, s14
.LBB219_1048:                           ;   in Loop: Header=BB219_548 Depth=1
	s_delay_alu instid0(SALU_CYCLE_1) | instskip(NEXT) | instid1(SALU_CYCLE_1)
	s_or_b32 exec_lo, exec_lo, s11
	s_mov_b32 s11, exec_lo
	v_cmpx_lt_u32_e32 0xffffff, v102
	s_cbranch_execz .LBB219_1056
; %bb.1049:                             ;   in Loop: Header=BB219_548 Depth=1
	v_mov_b64_e32 v[88:89], 0x8000000000000000
	v_lshrrev_b32_e32 v103, 24, v102
	s_mov_b32 s14, exec_lo
	s_delay_alu instid0(VALU_DEP_1)
	v_cmpx_ne_u32_e32 0x80, v103
	s_cbranch_execz .LBB219_1055
; %bb.1050:                             ;   in Loop: Header=BB219_548 Depth=1
	v_mov_b64_e32 v[88:89], 0x7f80000100000000
	v_bfe_u32 v102, v102, 24, 7
	s_mov_b32 s15, exec_lo
	s_delay_alu instid0(VALU_DEP_1)
	v_cmpx_ne_u32_e32 0x7f, v102
	s_cbranch_execz .LBB219_1054
; %bb.1051:                             ;   in Loop: Header=BB219_548 Depth=1
	v_dual_lshrrev_b32 v88, 3, v102 :: v_dual_bitop2_b32 v22, 7, v103 bitop3:0x40
	s_mov_b32 s16, exec_lo
	v_cmpx_gt_u32_e32 8, v102
; %bb.1052:                             ;   in Loop: Header=BB219_548 Depth=1
	s_delay_alu instid0(VALU_DEP_2) | instskip(NEXT) | instid1(VALU_DEP_1)
	v_clz_i32_u32_e32 v88, v22
	v_min_u32_e32 v88, 32, v88
	s_delay_alu instid0(VALU_DEP_1) | instskip(SKIP_1) | instid1(VALU_DEP_2)
	v_subrev_nc_u32_e32 v89, 28, v88
	v_sub_nc_u32_e32 v88, 29, v88
	v_lshlrev_b64_e32 v[104:105], v89, v[22:23]
	s_delay_alu instid0(VALU_DEP_1)
	v_and_b32_e32 v22, 7, v104
; %bb.1053:                             ;   in Loop: Header=BB219_548 Depth=1
	s_or_b32 exec_lo, exec_lo, s16
	s_delay_alu instid0(VALU_DEP_1) | instskip(SKIP_1) | instid1(VALU_DEP_2)
	v_dual_lshlrev_b32 v89, 24, v103 :: v_dual_lshlrev_b32 v22, 20, v22
	v_lshl_add_u32 v88, v88, 23, 0x3c000000
	v_and_b32_e32 v89, 0x80000000, v89
	s_delay_alu instid0(VALU_DEP_1)
	v_or3_b32 v89, v22, v89, v88
	v_mov_b32_e32 v88, v23
.LBB219_1054:                           ;   in Loop: Header=BB219_548 Depth=1
	s_or_b32 exec_lo, exec_lo, s15
.LBB219_1055:                           ;   in Loop: Header=BB219_548 Depth=1
	s_delay_alu instid0(SALU_CYCLE_1)
	s_or_b32 exec_lo, exec_lo, s14
.LBB219_1056:                           ;   in Loop: Header=BB219_548 Depth=1
	s_delay_alu instid0(SALU_CYCLE_1)
	s_or_b32 exec_lo, exec_lo, s11
	v_mov_b64_e32 v[102:103], s[2:3]
	v_or_b32_e32 v85, v85, v87
	v_or_b32_e32 v84, v84, v86
	;; [unrolled: 1-line block ×4, first 2 shown]
	s_delay_alu instid0(VALU_DEP_3) | instskip(NEXT) | instid1(VALU_DEP_2)
	v_pk_mul_f32 v[86:87], v[102:103], v[84:85]
	v_pk_mul_f32 v[84:85], v[102:103], v[88:89]
	s_and_saveexec_b32 s11, vcc_lo
	s_cbranch_execz .LBB219_1058
; %bb.1057:                             ;   in Loop: Header=BB219_548 Depth=1
	v_cmp_gt_i32_e64 s0, s27, v98
	s_delay_alu instid0(VALU_DEP_1) | instskip(SKIP_1) | instid1(VALU_DEP_1)
	v_cndmask_b32_e64 v86, 0, v86, s0
	v_cmp_gt_i32_e64 s0, s27, v101
	v_cndmask_b32_e64 v87, 0, v87, s0
	v_cmp_gt_i32_e64 s0, s27, v93
	s_delay_alu instid0(VALU_DEP_1) | instskip(SKIP_1) | instid1(VALU_DEP_1)
	v_cndmask_b32_e64 v84, 0, v84, s0
	v_cmp_gt_i32_e64 s0, s27, v92
	v_cndmask_b32_e64 v85, 0, v85, s0
.LBB219_1058:                           ;   in Loop: Header=BB219_548 Depth=1
	s_or_b32 exec_lo, exec_lo, s11
	global_load_b32 v102, v[32:33], off offset:1920
	s_wait_xcnt 0x0
	v_mov_b64_e32 v[32:33], 0
	v_mov_b64_e32 v[88:89], 0
	s_mov_b32 s11, exec_lo
	s_wait_loadcnt 0x0
	v_and_b32_e32 v22, 0xff, v102
	s_delay_alu instid0(VALU_DEP_1)
	v_cmpx_ne_u16_e32 0, v22
	s_cbranch_execz .LBB219_1066
; %bb.1059:                             ;   in Loop: Header=BB219_548 Depth=1
	v_mov_b64_e32 v[88:89], 0x80000000
	s_mov_b32 s14, exec_lo
	v_cmpx_ne_u16_e32 0x80, v22
	s_cbranch_execz .LBB219_1065
; %bb.1060:                             ;   in Loop: Header=BB219_548 Depth=1
	v_mov_b64_e32 v[88:89], 0x7f800001
	v_and_b32_e32 v90, 0x7f, v102
	s_mov_b32 s15, exec_lo
	s_delay_alu instid0(VALU_DEP_1)
	v_cmpx_ne_u32_e32 0x7f, v90
	s_cbranch_execz .LBB219_1064
; %bb.1061:                             ;   in Loop: Header=BB219_548 Depth=1
	v_and_b32_e32 v22, 7, v102
	v_lshrrev_b32_e32 v88, 3, v90
	s_mov_b32 s16, exec_lo
	v_cmpx_gt_u32_e32 8, v90
; %bb.1062:                             ;   in Loop: Header=BB219_548 Depth=1
	s_delay_alu instid0(VALU_DEP_3) | instskip(NEXT) | instid1(VALU_DEP_1)
	v_clz_i32_u32_e32 v88, v22
	v_min_u32_e32 v88, 32, v88
	s_delay_alu instid0(VALU_DEP_1) | instskip(NEXT) | instid1(VALU_DEP_1)
	v_subrev_nc_u32_e32 v89, 28, v88
	v_lshlrev_b64_e32 v[90:91], v89, v[22:23]
	s_delay_alu instid0(VALU_DEP_1)
	v_dual_sub_nc_u32 v88, 29, v88 :: v_dual_bitop2_b32 v22, 7, v90 bitop3:0x40
; %bb.1063:                             ;   in Loop: Header=BB219_548 Depth=1
	s_or_b32 exec_lo, exec_lo, s16
	v_lshlrev_b32_e32 v89, 24, v102
	s_delay_alu instid0(VALU_DEP_2) | instskip(NEXT) | instid1(VALU_DEP_3)
	v_lshlrev_b32_e32 v22, 20, v22
	v_lshl_add_u32 v88, v88, 23, 0x3c000000
	s_delay_alu instid0(VALU_DEP_3) | instskip(NEXT) | instid1(VALU_DEP_1)
	v_and_b32_e32 v89, 0x80000000, v89
	v_or3_b32 v22, v22, v89, v88
	s_delay_alu instid0(VALU_DEP_1)
	v_mov_b64_e32 v[88:89], v[22:23]
.LBB219_1064:                           ;   in Loop: Header=BB219_548 Depth=1
	s_or_b32 exec_lo, exec_lo, s15
.LBB219_1065:                           ;   in Loop: Header=BB219_548 Depth=1
	s_delay_alu instid0(SALU_CYCLE_1)
	s_or_b32 exec_lo, exec_lo, s14
.LBB219_1066:                           ;   in Loop: Header=BB219_548 Depth=1
	s_delay_alu instid0(SALU_CYCLE_1) | instskip(SKIP_2) | instid1(VALU_DEP_1)
	s_or_b32 exec_lo, exec_lo, s11
	v_lshrrev_b16 v22, 8, v102
	s_mov_b32 s11, exec_lo
	v_cmpx_ne_u16_e32 0, v22
	s_cbranch_execz .LBB219_1074
; %bb.1067:                             ;   in Loop: Header=BB219_548 Depth=1
	v_mov_b64_e32 v[32:33], 0x8000000000000000
	s_mov_b32 s14, exec_lo
	v_cmpx_ne_u16_e32 0x80, v22
	s_cbranch_execz .LBB219_1073
; %bb.1068:                             ;   in Loop: Header=BB219_548 Depth=1
	v_and_b32_e32 v22, 0xffff, v22
	v_mov_b64_e32 v[32:33], 0x7f80000100000000
	s_mov_b32 s15, exec_lo
	s_delay_alu instid0(VALU_DEP_2) | instskip(NEXT) | instid1(VALU_DEP_1)
	v_and_b32_e32 v90, 0x7f, v22
	v_cmpx_ne_u32_e32 0x7f, v90
	s_cbranch_execz .LBB219_1072
; %bb.1069:                             ;   in Loop: Header=BB219_548 Depth=1
	v_and_b32_e32 v22, 7, v22
	v_lshrrev_b32_e32 v32, 3, v90
	s_mov_b32 s16, exec_lo
	v_cmpx_gt_u32_e32 8, v90
; %bb.1070:                             ;   in Loop: Header=BB219_548 Depth=1
	s_delay_alu instid0(VALU_DEP_3) | instskip(NEXT) | instid1(VALU_DEP_1)
	v_clz_i32_u32_e32 v32, v22
	v_min_u32_e32 v32, 32, v32
	s_delay_alu instid0(VALU_DEP_1) | instskip(NEXT) | instid1(VALU_DEP_1)
	v_subrev_nc_u32_e32 v33, 28, v32
	v_lshlrev_b64_e32 v[90:91], v33, v[22:23]
	s_delay_alu instid0(VALU_DEP_1)
	v_dual_sub_nc_u32 v32, 29, v32 :: v_dual_bitop2_b32 v22, 7, v90 bitop3:0x40
; %bb.1071:                             ;   in Loop: Header=BB219_548 Depth=1
	s_or_b32 exec_lo, exec_lo, s16
	v_lshlrev_b32_e32 v33, 16, v102
	s_delay_alu instid0(VALU_DEP_2) | instskip(NEXT) | instid1(VALU_DEP_3)
	v_lshlrev_b32_e32 v22, 20, v22
	v_lshl_add_u32 v32, v32, 23, 0x3c000000
	s_delay_alu instid0(VALU_DEP_3) | instskip(NEXT) | instid1(VALU_DEP_1)
	v_and_b32_e32 v33, 0x80000000, v33
	v_or3_b32 v33, v22, v33, v32
	v_mov_b32_e32 v32, v23
.LBB219_1072:                           ;   in Loop: Header=BB219_548 Depth=1
	s_or_b32 exec_lo, exec_lo, s15
.LBB219_1073:                           ;   in Loop: Header=BB219_548 Depth=1
	s_delay_alu instid0(SALU_CYCLE_1)
	s_or_b32 exec_lo, exec_lo, s14
.LBB219_1074:                           ;   in Loop: Header=BB219_548 Depth=1
	s_delay_alu instid0(SALU_CYCLE_1) | instskip(SKIP_4) | instid1(VALU_DEP_3)
	s_or_b32 exec_lo, exec_lo, s11
	v_lshrrev_b32_e32 v103, 16, v102
	v_mov_b64_e32 v[90:91], 0
	v_mov_b64_e32 v[92:93], 0
	s_mov_b32 s11, exec_lo
	v_and_b32_e32 v22, 0xff, v103
	s_delay_alu instid0(VALU_DEP_1)
	v_cmpx_ne_u16_e32 0, v22
	s_cbranch_execz .LBB219_1082
; %bb.1075:                             ;   in Loop: Header=BB219_548 Depth=1
	v_mov_b64_e32 v[92:93], 0x80000000
	s_mov_b32 s14, exec_lo
	v_cmpx_ne_u16_e32 0x80, v22
	s_cbranch_execz .LBB219_1081
; %bb.1076:                             ;   in Loop: Header=BB219_548 Depth=1
	v_mov_b64_e32 v[92:93], 0x7f800001
	v_bfe_u32 v104, v102, 16, 7
	s_mov_b32 s15, exec_lo
	s_delay_alu instid0(VALU_DEP_1)
	v_cmpx_ne_u32_e32 0x7f, v104
	s_cbranch_execz .LBB219_1080
; %bb.1077:                             ;   in Loop: Header=BB219_548 Depth=1
	v_dual_lshrrev_b32 v92, 3, v104 :: v_dual_bitop2_b32 v22, 7, v103 bitop3:0x40
	s_mov_b32 s16, exec_lo
	v_cmpx_gt_u32_e32 8, v104
; %bb.1078:                             ;   in Loop: Header=BB219_548 Depth=1
	s_delay_alu instid0(VALU_DEP_2) | instskip(NEXT) | instid1(VALU_DEP_1)
	v_clz_i32_u32_e32 v92, v22
	v_min_u32_e32 v92, 32, v92
	s_delay_alu instid0(VALU_DEP_1) | instskip(SKIP_1) | instid1(VALU_DEP_2)
	v_subrev_nc_u32_e32 v93, 28, v92
	v_sub_nc_u32_e32 v92, 29, v92
	v_lshlrev_b64_e32 v[104:105], v93, v[22:23]
	s_delay_alu instid0(VALU_DEP_1)
	v_and_b32_e32 v22, 7, v104
; %bb.1079:                             ;   in Loop: Header=BB219_548 Depth=1
	s_or_b32 exec_lo, exec_lo, s16
	s_delay_alu instid0(VALU_DEP_1) | instskip(SKIP_1) | instid1(VALU_DEP_2)
	v_dual_lshlrev_b32 v93, 24, v103 :: v_dual_lshlrev_b32 v22, 20, v22
	v_lshl_add_u32 v92, v92, 23, 0x3c000000
	v_and_b32_e32 v93, 0x80000000, v93
	s_delay_alu instid0(VALU_DEP_1) | instskip(NEXT) | instid1(VALU_DEP_1)
	v_or3_b32 v22, v22, v93, v92
	v_mov_b64_e32 v[92:93], v[22:23]
.LBB219_1080:                           ;   in Loop: Header=BB219_548 Depth=1
	s_or_b32 exec_lo, exec_lo, s15
.LBB219_1081:                           ;   in Loop: Header=BB219_548 Depth=1
	s_delay_alu instid0(SALU_CYCLE_1)
	s_or_b32 exec_lo, exec_lo, s14
.LBB219_1082:                           ;   in Loop: Header=BB219_548 Depth=1
	s_delay_alu instid0(SALU_CYCLE_1) | instskip(NEXT) | instid1(SALU_CYCLE_1)
	s_or_b32 exec_lo, exec_lo, s11
	s_mov_b32 s11, exec_lo
	v_cmpx_lt_u32_e32 0xffffff, v102
	s_cbranch_execz .LBB219_1090
; %bb.1083:                             ;   in Loop: Header=BB219_548 Depth=1
	v_mov_b64_e32 v[90:91], 0x8000000000000000
	v_lshrrev_b32_e32 v103, 24, v102
	s_mov_b32 s14, exec_lo
	s_delay_alu instid0(VALU_DEP_1)
	v_cmpx_ne_u32_e32 0x80, v103
	s_cbranch_execz .LBB219_1089
; %bb.1084:                             ;   in Loop: Header=BB219_548 Depth=1
	v_mov_b64_e32 v[90:91], 0x7f80000100000000
	v_bfe_u32 v102, v102, 24, 7
	s_mov_b32 s15, exec_lo
	s_delay_alu instid0(VALU_DEP_1)
	v_cmpx_ne_u32_e32 0x7f, v102
	s_cbranch_execz .LBB219_1088
; %bb.1085:                             ;   in Loop: Header=BB219_548 Depth=1
	v_dual_lshrrev_b32 v90, 3, v102 :: v_dual_bitop2_b32 v22, 7, v103 bitop3:0x40
	s_mov_b32 s16, exec_lo
	v_cmpx_gt_u32_e32 8, v102
; %bb.1086:                             ;   in Loop: Header=BB219_548 Depth=1
	s_delay_alu instid0(VALU_DEP_2) | instskip(NEXT) | instid1(VALU_DEP_1)
	v_clz_i32_u32_e32 v90, v22
	v_min_u32_e32 v90, 32, v90
	s_delay_alu instid0(VALU_DEP_1) | instskip(NEXT) | instid1(VALU_DEP_1)
	v_subrev_nc_u32_e32 v91, 28, v90
	v_lshlrev_b64_e32 v[104:105], v91, v[22:23]
	s_delay_alu instid0(VALU_DEP_1)
	v_dual_sub_nc_u32 v90, 29, v90 :: v_dual_bitop2_b32 v22, 7, v104 bitop3:0x40
; %bb.1087:                             ;   in Loop: Header=BB219_548 Depth=1
	s_or_b32 exec_lo, exec_lo, s16
	s_delay_alu instid0(VALU_DEP_1) | instskip(NEXT) | instid1(VALU_DEP_2)
	v_dual_lshlrev_b32 v91, 24, v103 :: v_dual_lshlrev_b32 v22, 20, v22
	v_lshl_add_u32 v90, v90, 23, 0x3c000000
	s_delay_alu instid0(VALU_DEP_2) | instskip(NEXT) | instid1(VALU_DEP_1)
	v_and_b32_e32 v91, 0x80000000, v91
	v_or3_b32 v91, v22, v91, v90
	v_mov_b32_e32 v90, v23
.LBB219_1088:                           ;   in Loop: Header=BB219_548 Depth=1
	s_or_b32 exec_lo, exec_lo, s15
.LBB219_1089:                           ;   in Loop: Header=BB219_548 Depth=1
	s_delay_alu instid0(SALU_CYCLE_1)
	s_or_b32 exec_lo, exec_lo, s14
.LBB219_1090:                           ;   in Loop: Header=BB219_548 Depth=1
	s_delay_alu instid0(SALU_CYCLE_1)
	s_or_b32 exec_lo, exec_lo, s11
	v_mov_b64_e32 v[102:103], s[2:3]
	v_or_b32_e32 v33, v33, v89
	v_or_b32_e32 v32, v32, v88
	;; [unrolled: 1-line block ×4, first 2 shown]
	s_delay_alu instid0(VALU_DEP_3) | instskip(NEXT) | instid1(VALU_DEP_2)
	v_pk_mul_f32 v[88:89], v[102:103], v[32:33]
	v_pk_mul_f32 v[32:33], v[102:103], v[90:91]
	s_and_saveexec_b32 s0, vcc_lo
	s_cbranch_execz .LBB219_547
; %bb.1091:                             ;   in Loop: Header=BB219_548 Depth=1
	v_cmp_gt_i32_e32 vcc_lo, s10, v101
	v_dual_cndmask_b32 v89, 0, v89, vcc_lo :: v_dual_bitop2_b32 v22, 3, v98 bitop3:0x54
	v_cmp_gt_i32_e32 vcc_lo, s27, v98
	v_dual_cndmask_b32 v88, 0, v88, vcc_lo :: v_dual_bitop2_b32 v90, 2, v98 bitop3:0x54
	s_delay_alu instid0(VALU_DEP_3) | instskip(SKIP_1) | instid1(VALU_DEP_3)
	v_cmp_gt_i32_e32 vcc_lo, s10, v22
	v_cndmask_b32_e32 v33, 0, v33, vcc_lo
	v_cmp_gt_i32_e32 vcc_lo, s27, v90
	v_cndmask_b32_e32 v32, 0, v32, vcc_lo
	s_branch .LBB219_547
.LBB219_1092:
	s_or_b32 exec_lo, exec_lo, s9
.LBB219_1093:
	s_delay_alu instid0(SALU_CYCLE_1)
	s_or_b32 exec_lo, exec_lo, s1
	ds_bpermute_b32 v2, v96, v18
	ds_bpermute_b32 v3, v96, v19
	;; [unrolled: 1-line block ×16, first 2 shown]
	s_mov_b32 s0, exec_lo
	s_wait_dscnt 0xe
	v_pk_add_f32 v[2:3], v[18:19], v[2:3]
	s_wait_dscnt 0xc
	v_pk_add_f32 v[14:15], v[14:15], v[22:23]
	;; [unrolled: 2-line block ×3, first 2 shown]
	ds_bpermute_b32 v18, v95, v2
	ds_bpermute_b32 v19, v95, v3
	;; [unrolled: 1-line block ×6, first 2 shown]
	s_wait_dscnt 0xe
	v_pk_add_f32 v[0:1], v[20:21], v[0:1]
	s_wait_dscnt 0xc
	v_pk_add_f32 v[4:5], v[16:17], v[4:5]
	;; [unrolled: 2-line block ×5, first 2 shown]
	ds_bpermute_b32 v16, v95, v0
	ds_bpermute_b32 v17, v95, v1
	;; [unrolled: 1-line block ×10, first 2 shown]
	s_wait_dscnt 0xe
	v_pk_add_f32 v[2:3], v[2:3], v[18:19]
	s_wait_dscnt 0xc
	v_pk_add_f32 v[18:19], v[14:15], v[22:23]
	;; [unrolled: 2-line block ×3, first 2 shown]
	scratch_load_b32 v6, off, off offset:312 ; 4-byte Folded Reload
	ds_bpermute_b32 v22, v94, v2
	ds_bpermute_b32 v32, v94, v18
	;; [unrolled: 1-line block ×4, first 2 shown]
	s_wait_dscnt 0xc
	v_pk_add_f32 v[0:1], v[0:1], v[16:17]
	ds_bpermute_b32 v16, v94, v14
	s_wait_dscnt 0xb
	v_pk_add_f32 v[4:5], v[4:5], v[20:21]
	ds_bpermute_b32 v17, v94, v15
	;; [unrolled: 3-line block ×5, first 2 shown]
	ds_bpermute_b32 v25, v94, v5
	ds_bpermute_b32 v34, v94, v20
	;; [unrolled: 1-line block ×7, first 2 shown]
	s_wait_dscnt 0xc
	v_pk_add_f32 v[10:11], v[2:3], v[22:23]
	s_wait_dscnt 0x8
	v_pk_add_f32 v[12:13], v[0:1], v[12:13]
	;; [unrolled: 2-line block ×6, first 2 shown]
	s_wait_loadcnt 0x0
	v_and_b32_e32 v30, 0x3c7, v6
	v_pk_add_f32 v[6:7], v[18:19], v[32:33]
	scratch_load_b32 v18, off, off offset:316 th:TH_LOAD_LU ; 4-byte Folded Reload
	s_wait_loadcnt 0x0
	s_barrier_signal -1
	s_barrier_wait -1
	v_lshrrev_b32_e32 v18, 3, v18
	s_wait_xcnt 0x0
	v_cmpx_ne_u32_e32 64, v30
	s_xor_b32 s0, exec_lo, s0
	s_delay_alu instid0(SALU_CYCLE_1)
	s_or_saveexec_b32 s0, s0
	v_pk_add_f32 v[14:15], v[14:15], v[16:17]
	scratch_load_b32 v16, off, off offset:320 th:TH_LOAD_LU ; 4-byte Folded Reload
	v_lshl_add_u32 v17, v18, 2, 0x120
	s_wait_loadcnt 0x0
	v_lshlrev_b32_e32 v16, 8, v16
	s_xor_b32 exec_lo, exec_lo, s0
	s_cbranch_execz .LBB219_1095
; %bb.1094:
	s_delay_alu instid0(VALU_DEP_1) | instskip(NEXT) | instid1(VALU_DEP_1)
	v_add_nc_u32_e32 v19, v17, v16
	v_add_nc_u32_e32 v20, 0xfffffe00, v19
	;; [unrolled: 1-line block ×9, first 2 shown]
	ds_store_b32 v20, v12
	ds_store_b32 v21, v13
	;; [unrolled: 1-line block ×8, first 2 shown]
	v_add_nc_u32_e32 v20, 0xfffffe80, v19
	v_add_nc_u32_e32 v21, 0xfffffe90, v19
	;; [unrolled: 1-line block ×8, first 2 shown]
	ds_store_b32 v20, v4
	ds_store_b32 v21, v5
	;; [unrolled: 1-line block ×8, first 2 shown]
.LBB219_1095:
	s_or_b32 exec_lo, exec_lo, s0
	v_lshlrev_b32_e32 v18, 2, v18
	s_mov_b32 s1, exec_lo
	v_cmp_eq_u32_e32 vcc_lo, 0, v97
	s_delay_alu instid0(VALU_DEP_2)
	v_add3_u32 v16, 0x120, v16, v18
	scratch_load_b32 v18, off, off offset:312 ; 4-byte Folded Reload
	s_wait_loadcnt_dscnt 0x0
	s_barrier_signal -1
	s_barrier_wait -1
	v_cmpx_gt_u32_e32 64, v18
	s_cbranch_execz .LBB219_1114
; %bb.1096:
	s_and_saveexec_b32 s0, vcc_lo
	s_cbranch_execnz .LBB219_1138
; %bb.1097:
	s_or_b32 exec_lo, exec_lo, s0
	s_and_saveexec_b32 s0, vcc_lo
	s_cbranch_execnz .LBB219_1139
.LBB219_1098:
	s_or_b32 exec_lo, exec_lo, s0
	s_and_saveexec_b32 s0, vcc_lo
	s_cbranch_execnz .LBB219_1140
.LBB219_1099:
	s_or_b32 exec_lo, exec_lo, s0
	s_and_saveexec_b32 s0, vcc_lo
	s_cbranch_execnz .LBB219_1141
.LBB219_1100:
	s_or_b32 exec_lo, exec_lo, s0
	s_and_saveexec_b32 s0, vcc_lo
	s_cbranch_execnz .LBB219_1142
.LBB219_1101:
	s_or_b32 exec_lo, exec_lo, s0
	s_and_saveexec_b32 s0, vcc_lo
	s_cbranch_execnz .LBB219_1143
.LBB219_1102:
	s_or_b32 exec_lo, exec_lo, s0
	s_and_saveexec_b32 s0, vcc_lo
	s_cbranch_execnz .LBB219_1144
.LBB219_1103:
	s_or_b32 exec_lo, exec_lo, s0
	s_and_saveexec_b32 s0, vcc_lo
	s_cbranch_execnz .LBB219_1145
.LBB219_1104:
	s_or_b32 exec_lo, exec_lo, s0
	s_and_saveexec_b32 s0, vcc_lo
	s_cbranch_execnz .LBB219_1146
.LBB219_1105:
	s_or_b32 exec_lo, exec_lo, s0
	s_and_saveexec_b32 s0, vcc_lo
	s_cbranch_execnz .LBB219_1147
.LBB219_1106:
	s_or_b32 exec_lo, exec_lo, s0
	s_and_saveexec_b32 s0, vcc_lo
	s_cbranch_execnz .LBB219_1148
.LBB219_1107:
	s_or_b32 exec_lo, exec_lo, s0
	s_and_saveexec_b32 s0, vcc_lo
	s_cbranch_execnz .LBB219_1149
.LBB219_1108:
	s_or_b32 exec_lo, exec_lo, s0
	s_and_saveexec_b32 s0, vcc_lo
	s_cbranch_execnz .LBB219_1150
.LBB219_1109:
	s_or_b32 exec_lo, exec_lo, s0
	s_and_saveexec_b32 s0, vcc_lo
	s_cbranch_execnz .LBB219_1151
.LBB219_1110:
	s_or_b32 exec_lo, exec_lo, s0
	s_and_saveexec_b32 s0, vcc_lo
	s_cbranch_execnz .LBB219_1152
.LBB219_1111:
	s_or_b32 exec_lo, exec_lo, s0
	s_and_saveexec_b32 s0, vcc_lo
	s_cbranch_execz .LBB219_1113
.LBB219_1112:
	ds_load_b32 v18, v16 offset:240
	s_wait_dscnt 0x0
	v_add_f32_e32 v15, v15, v18
.LBB219_1113:
	s_or_b32 exec_lo, exec_lo, s0
.LBB219_1114:
	s_delay_alu instid0(SALU_CYCLE_1)
	s_or_b32 exec_lo, exec_lo, s1
	scratch_load_b32 v18, off, off offset:312 ; 4-byte Folded Reload
	s_mov_b32 s1, exec_lo
	s_wait_loadcnt 0x0
	s_barrier_signal -1
	s_barrier_wait -1
	v_and_b32_e32 v18, 0x3e7, v18
	s_wait_xcnt 0x0
	s_delay_alu instid0(VALU_DEP_1)
	v_cmpx_eq_u32_e32 32, v18
	s_cbranch_execz .LBB219_1116
; %bb.1115:
	ds_store_2addr_b32 v17, v12, v13 offset1:4
	ds_store_2addr_b32 v17, v10, v11 offset0:8 offset1:12
	ds_store_2addr_b32 v17, v8, v9 offset0:16 offset1:20
	;; [unrolled: 1-line block ×7, first 2 shown]
.LBB219_1116:
	s_or_b32 exec_lo, exec_lo, s1
	scratch_load_b32 v17, off, off offset:312 ; 4-byte Folded Reload
	s_mov_b32 s1, exec_lo
	s_wait_loadcnt_dscnt 0x0
	s_barrier_signal -1
	s_barrier_wait -1
	v_cmpx_gt_u32_e32 32, v17
	s_cbranch_execz .LBB219_1135
; %bb.1117:
	s_and_saveexec_b32 s0, vcc_lo
	s_cbranch_execnz .LBB219_1153
; %bb.1118:
	s_or_b32 exec_lo, exec_lo, s0
	s_and_saveexec_b32 s0, vcc_lo
	s_cbranch_execnz .LBB219_1154
.LBB219_1119:
	s_or_b32 exec_lo, exec_lo, s0
	s_and_saveexec_b32 s0, vcc_lo
	s_cbranch_execnz .LBB219_1155
.LBB219_1120:
	s_or_b32 exec_lo, exec_lo, s0
	s_and_saveexec_b32 s0, vcc_lo
	s_cbranch_execnz .LBB219_1156
.LBB219_1121:
	s_or_b32 exec_lo, exec_lo, s0
	s_and_saveexec_b32 s0, vcc_lo
	s_cbranch_execnz .LBB219_1157
.LBB219_1122:
	s_or_b32 exec_lo, exec_lo, s0
	s_and_saveexec_b32 s0, vcc_lo
	s_cbranch_execnz .LBB219_1158
.LBB219_1123:
	s_or_b32 exec_lo, exec_lo, s0
	s_and_saveexec_b32 s0, vcc_lo
	s_cbranch_execnz .LBB219_1159
.LBB219_1124:
	s_or_b32 exec_lo, exec_lo, s0
	s_and_saveexec_b32 s0, vcc_lo
	s_cbranch_execnz .LBB219_1160
.LBB219_1125:
	s_or_b32 exec_lo, exec_lo, s0
	s_and_saveexec_b32 s0, vcc_lo
	s_cbranch_execnz .LBB219_1161
.LBB219_1126:
	s_or_b32 exec_lo, exec_lo, s0
	s_and_saveexec_b32 s0, vcc_lo
	s_cbranch_execnz .LBB219_1162
.LBB219_1127:
	s_or_b32 exec_lo, exec_lo, s0
	s_and_saveexec_b32 s0, vcc_lo
	s_cbranch_execnz .LBB219_1163
.LBB219_1128:
	s_or_b32 exec_lo, exec_lo, s0
	s_and_saveexec_b32 s0, vcc_lo
	s_cbranch_execnz .LBB219_1164
.LBB219_1129:
	s_or_b32 exec_lo, exec_lo, s0
	s_and_saveexec_b32 s0, vcc_lo
	s_cbranch_execnz .LBB219_1165
.LBB219_1130:
	s_or_b32 exec_lo, exec_lo, s0
	s_and_saveexec_b32 s0, vcc_lo
	s_cbranch_execnz .LBB219_1166
.LBB219_1131:
	s_or_b32 exec_lo, exec_lo, s0
	s_and_saveexec_b32 s0, vcc_lo
	s_cbranch_execnz .LBB219_1167
.LBB219_1132:
	s_or_b32 exec_lo, exec_lo, s0
	s_and_saveexec_b32 s0, vcc_lo
	s_cbranch_execz .LBB219_1134
.LBB219_1133:
	ds_load_b32 v16, v16 offset:240
	s_wait_dscnt 0x0
	v_add_f32_e32 v15, v15, v16
.LBB219_1134:
	s_or_b32 exec_lo, exec_lo, s0
.LBB219_1135:
	s_delay_alu instid0(SALU_CYCLE_1)
	s_or_b32 exec_lo, exec_lo, s1
	s_mov_b32 s1, 0
	s_barrier_signal -1
	s_barrier_wait -1
	s_mov_b32 s0, exec_lo
	v_cmpx_eq_u32_e32 0, v18
	s_cbranch_execz .LBB219_1137
; %bb.1136:
	scratch_load_b32 v16, off, off offset:312 th:TH_LOAD_LU ; 4-byte Folded Reload
	s_mul_i32 s0, s26, s8
	s_mul_i32 s2, s8, s12
	;; [unrolled: 1-line block ×3, first 2 shown]
	s_lshr_b32 s8, ttmp7, 16
	s_lshl_b32 s6, s0, 6
	s_bfe_u32 s0, ttmp6, 0x40014
	s_ashr_i32 s7, s6, 31
	s_add_co_i32 s0, s0, 1
	s_lshl_b64 s[6:7], s[6:7], 2
	s_ashr_i32 s3, s2, 31
	s_wait_kmcnt 0x0
	s_add_nc_u64 s[4:5], s[4:5], s[6:7]
	s_mul_i32 s0, s8, s0
	s_bfe_u32 s6, ttmp6, 0x40008
	s_lshl_b64 s[2:3], s[2:3], 2
	s_add_co_i32 s6, s6, s0
	s_cmp_eq_u32 s24, 0
	s_add_nc_u64 s[2:3], s[4:5], s[2:3]
	s_cselect_b32 s0, s8, s6
	s_delay_alu instid0(SALU_CYCLE_1) | instskip(NEXT) | instid1(SALU_CYCLE_1)
	s_lshl_b32 s0, s0, 8
	s_add_nc_u64 s[0:1], s[2:3], s[0:1]
	s_wait_loadcnt 0x0
	v_lshrrev_b32_e32 v16, 1, v16
	s_clause 0xf
	global_store_b32 v16, v12, s[0:1]
	global_store_b32 v16, v13, s[0:1] offset:16
	global_store_b32 v16, v10, s[0:1] offset:32
	;; [unrolled: 1-line block ×15, first 2 shown]
.LBB219_1137:
	s_sendmsg sendmsg(MSG_DEALLOC_VGPRS)
	s_endpgm
.LBB219_1138:
	ds_load_b32 v18, v16
	s_wait_dscnt 0x0
	v_add_f32_e32 v12, v12, v18
	s_or_b32 exec_lo, exec_lo, s0
	s_and_saveexec_b32 s0, vcc_lo
	s_cbranch_execz .LBB219_1098
.LBB219_1139:
	ds_load_b32 v18, v16 offset:16
	s_wait_dscnt 0x0
	v_add_f32_e32 v13, v13, v18
	s_or_b32 exec_lo, exec_lo, s0
	s_and_saveexec_b32 s0, vcc_lo
	s_cbranch_execz .LBB219_1099
.LBB219_1140:
	ds_load_b32 v18, v16 offset:32
	s_wait_dscnt 0x0
	v_add_f32_e32 v10, v10, v18
	s_or_b32 exec_lo, exec_lo, s0
	s_and_saveexec_b32 s0, vcc_lo
	s_cbranch_execz .LBB219_1100
.LBB219_1141:
	ds_load_b32 v18, v16 offset:48
	s_wait_dscnt 0x0
	v_add_f32_e32 v11, v11, v18
	s_or_b32 exec_lo, exec_lo, s0
	s_and_saveexec_b32 s0, vcc_lo
	s_cbranch_execz .LBB219_1101
.LBB219_1142:
	ds_load_b32 v18, v16 offset:64
	s_wait_dscnt 0x0
	v_add_f32_e32 v8, v8, v18
	s_or_b32 exec_lo, exec_lo, s0
	s_and_saveexec_b32 s0, vcc_lo
	s_cbranch_execz .LBB219_1102
.LBB219_1143:
	ds_load_b32 v18, v16 offset:80
	s_wait_dscnt 0x0
	v_add_f32_e32 v9, v9, v18
	s_or_b32 exec_lo, exec_lo, s0
	s_and_saveexec_b32 s0, vcc_lo
	s_cbranch_execz .LBB219_1103
.LBB219_1144:
	ds_load_b32 v18, v16 offset:96
	s_wait_dscnt 0x0
	v_add_f32_e32 v6, v6, v18
	s_or_b32 exec_lo, exec_lo, s0
	s_and_saveexec_b32 s0, vcc_lo
	s_cbranch_execz .LBB219_1104
.LBB219_1145:
	ds_load_b32 v18, v16 offset:112
	s_wait_dscnt 0x0
	v_add_f32_e32 v7, v7, v18
	s_or_b32 exec_lo, exec_lo, s0
	s_and_saveexec_b32 s0, vcc_lo
	s_cbranch_execz .LBB219_1105
.LBB219_1146:
	ds_load_b32 v18, v16 offset:128
	s_wait_dscnt 0x0
	v_add_f32_e32 v4, v4, v18
	s_or_b32 exec_lo, exec_lo, s0
	s_and_saveexec_b32 s0, vcc_lo
	s_cbranch_execz .LBB219_1106
.LBB219_1147:
	ds_load_b32 v18, v16 offset:144
	s_wait_dscnt 0x0
	v_add_f32_e32 v5, v5, v18
	s_or_b32 exec_lo, exec_lo, s0
	s_and_saveexec_b32 s0, vcc_lo
	s_cbranch_execz .LBB219_1107
.LBB219_1148:
	ds_load_b32 v18, v16 offset:160
	s_wait_dscnt 0x0
	v_add_f32_e32 v2, v2, v18
	s_or_b32 exec_lo, exec_lo, s0
	s_and_saveexec_b32 s0, vcc_lo
	s_cbranch_execz .LBB219_1108
.LBB219_1149:
	ds_load_b32 v18, v16 offset:176
	s_wait_dscnt 0x0
	v_add_f32_e32 v3, v3, v18
	s_or_b32 exec_lo, exec_lo, s0
	s_and_saveexec_b32 s0, vcc_lo
	s_cbranch_execz .LBB219_1109
.LBB219_1150:
	ds_load_b32 v18, v16 offset:192
	s_wait_dscnt 0x0
	v_add_f32_e32 v0, v0, v18
	s_or_b32 exec_lo, exec_lo, s0
	s_and_saveexec_b32 s0, vcc_lo
	s_cbranch_execz .LBB219_1110
.LBB219_1151:
	ds_load_b32 v18, v16 offset:208
	s_wait_dscnt 0x0
	v_add_f32_e32 v1, v1, v18
	s_or_b32 exec_lo, exec_lo, s0
	s_and_saveexec_b32 s0, vcc_lo
	s_cbranch_execz .LBB219_1111
.LBB219_1152:
	ds_load_b32 v18, v16 offset:224
	s_wait_dscnt 0x0
	v_add_f32_e32 v14, v14, v18
	s_or_b32 exec_lo, exec_lo, s0
	s_and_saveexec_b32 s0, vcc_lo
	s_cbranch_execnz .LBB219_1112
	s_branch .LBB219_1113
.LBB219_1153:
	ds_load_b32 v17, v16
	s_wait_dscnt 0x0
	v_add_f32_e32 v12, v12, v17
	s_or_b32 exec_lo, exec_lo, s0
	s_and_saveexec_b32 s0, vcc_lo
	s_cbranch_execz .LBB219_1119
.LBB219_1154:
	ds_load_b32 v17, v16 offset:16
	s_wait_dscnt 0x0
	v_add_f32_e32 v13, v13, v17
	s_or_b32 exec_lo, exec_lo, s0
	s_and_saveexec_b32 s0, vcc_lo
	s_cbranch_execz .LBB219_1120
.LBB219_1155:
	ds_load_b32 v17, v16 offset:32
	s_wait_dscnt 0x0
	v_add_f32_e32 v10, v10, v17
	s_or_b32 exec_lo, exec_lo, s0
	s_and_saveexec_b32 s0, vcc_lo
	s_cbranch_execz .LBB219_1121
.LBB219_1156:
	ds_load_b32 v17, v16 offset:48
	s_wait_dscnt 0x0
	v_add_f32_e32 v11, v11, v17
	s_or_b32 exec_lo, exec_lo, s0
	s_and_saveexec_b32 s0, vcc_lo
	s_cbranch_execz .LBB219_1122
.LBB219_1157:
	ds_load_b32 v17, v16 offset:64
	s_wait_dscnt 0x0
	v_add_f32_e32 v8, v8, v17
	s_or_b32 exec_lo, exec_lo, s0
	s_and_saveexec_b32 s0, vcc_lo
	s_cbranch_execz .LBB219_1123
.LBB219_1158:
	ds_load_b32 v17, v16 offset:80
	s_wait_dscnt 0x0
	v_add_f32_e32 v9, v9, v17
	s_or_b32 exec_lo, exec_lo, s0
	s_and_saveexec_b32 s0, vcc_lo
	s_cbranch_execz .LBB219_1124
.LBB219_1159:
	ds_load_b32 v17, v16 offset:96
	s_wait_dscnt 0x0
	v_add_f32_e32 v6, v6, v17
	s_or_b32 exec_lo, exec_lo, s0
	s_and_saveexec_b32 s0, vcc_lo
	s_cbranch_execz .LBB219_1125
.LBB219_1160:
	ds_load_b32 v17, v16 offset:112
	s_wait_dscnt 0x0
	v_add_f32_e32 v7, v7, v17
	s_or_b32 exec_lo, exec_lo, s0
	s_and_saveexec_b32 s0, vcc_lo
	s_cbranch_execz .LBB219_1126
.LBB219_1161:
	ds_load_b32 v17, v16 offset:128
	s_wait_dscnt 0x0
	v_add_f32_e32 v4, v4, v17
	s_or_b32 exec_lo, exec_lo, s0
	s_and_saveexec_b32 s0, vcc_lo
	s_cbranch_execz .LBB219_1127
.LBB219_1162:
	ds_load_b32 v17, v16 offset:144
	s_wait_dscnt 0x0
	v_add_f32_e32 v5, v5, v17
	s_or_b32 exec_lo, exec_lo, s0
	s_and_saveexec_b32 s0, vcc_lo
	s_cbranch_execz .LBB219_1128
.LBB219_1163:
	ds_load_b32 v17, v16 offset:160
	s_wait_dscnt 0x0
	v_add_f32_e32 v2, v2, v17
	s_or_b32 exec_lo, exec_lo, s0
	s_and_saveexec_b32 s0, vcc_lo
	s_cbranch_execz .LBB219_1129
.LBB219_1164:
	ds_load_b32 v17, v16 offset:176
	s_wait_dscnt 0x0
	v_add_f32_e32 v3, v3, v17
	s_or_b32 exec_lo, exec_lo, s0
	s_and_saveexec_b32 s0, vcc_lo
	s_cbranch_execz .LBB219_1130
.LBB219_1165:
	ds_load_b32 v17, v16 offset:192
	s_wait_dscnt 0x0
	v_add_f32_e32 v0, v0, v17
	s_or_b32 exec_lo, exec_lo, s0
	s_and_saveexec_b32 s0, vcc_lo
	s_cbranch_execz .LBB219_1131
.LBB219_1166:
	ds_load_b32 v17, v16 offset:208
	s_wait_dscnt 0x0
	v_add_f32_e32 v1, v1, v17
	s_or_b32 exec_lo, exec_lo, s0
	s_and_saveexec_b32 s0, vcc_lo
	s_cbranch_execz .LBB219_1132
.LBB219_1167:
	ds_load_b32 v17, v16 offset:224
	s_wait_dscnt 0x0
	v_add_f32_e32 v14, v14, v17
	s_or_b32 exec_lo, exec_lo, s0
	s_and_saveexec_b32 s0, vcc_lo
	s_cbranch_execnz .LBB219_1133
	s_branch .LBB219_1134
	.section	.rodata,"a",@progbits
	.p2align	6, 0x0
	.amdhsa_kernel _ZN4vllm25paged_attention_v1_kernelIfhLi64ELi32ELi128ELNS_18Fp8KVCacheDataTypeE1ELb0EEEvPT_PKS2_PKT0_S8_ifPKiSA_iPKfiiiSC_SC_iiiii
		.amdhsa_group_segment_fixed_size 288
		.amdhsa_private_segment_fixed_size 336
		.amdhsa_kernarg_size 384
		.amdhsa_user_sgpr_count 2
		.amdhsa_user_sgpr_dispatch_ptr 0
		.amdhsa_user_sgpr_queue_ptr 0
		.amdhsa_user_sgpr_kernarg_segment_ptr 1
		.amdhsa_user_sgpr_dispatch_id 0
		.amdhsa_user_sgpr_kernarg_preload_length 0
		.amdhsa_user_sgpr_kernarg_preload_offset 0
		.amdhsa_user_sgpr_private_segment_size 0
		.amdhsa_wavefront_size32 1
		.amdhsa_uses_dynamic_stack 0
		.amdhsa_enable_private_segment 1
		.amdhsa_system_sgpr_workgroup_id_x 1
		.amdhsa_system_sgpr_workgroup_id_y 1
		.amdhsa_system_sgpr_workgroup_id_z 1
		.amdhsa_system_sgpr_workgroup_info 0
		.amdhsa_system_vgpr_workitem_id 0
		.amdhsa_next_free_vgpr 128
		.amdhsa_next_free_sgpr 31
		.amdhsa_named_barrier_count 0
		.amdhsa_reserve_vcc 1
		.amdhsa_float_round_mode_32 0
		.amdhsa_float_round_mode_16_64 0
		.amdhsa_float_denorm_mode_32 3
		.amdhsa_float_denorm_mode_16_64 3
		.amdhsa_fp16_overflow 0
		.amdhsa_memory_ordered 1
		.amdhsa_forward_progress 1
		.amdhsa_inst_pref_size 255
		.amdhsa_round_robin_scheduling 0
		.amdhsa_exception_fp_ieee_invalid_op 0
		.amdhsa_exception_fp_denorm_src 0
		.amdhsa_exception_fp_ieee_div_zero 0
		.amdhsa_exception_fp_ieee_overflow 0
		.amdhsa_exception_fp_ieee_underflow 0
		.amdhsa_exception_fp_ieee_inexact 0
		.amdhsa_exception_int_div_zero 0
	.end_amdhsa_kernel
	.section	.text._ZN4vllm25paged_attention_v1_kernelIfhLi64ELi32ELi128ELNS_18Fp8KVCacheDataTypeE1ELb0EEEvPT_PKS2_PKT0_S8_ifPKiSA_iPKfiiiSC_SC_iiiii,"axG",@progbits,_ZN4vllm25paged_attention_v1_kernelIfhLi64ELi32ELi128ELNS_18Fp8KVCacheDataTypeE1ELb0EEEvPT_PKS2_PKT0_S8_ifPKiSA_iPKfiiiSC_SC_iiiii,comdat
.Lfunc_end219:
	.size	_ZN4vllm25paged_attention_v1_kernelIfhLi64ELi32ELi128ELNS_18Fp8KVCacheDataTypeE1ELb0EEEvPT_PKS2_PKT0_S8_ifPKiSA_iPKfiiiSC_SC_iiiii, .Lfunc_end219-_ZN4vllm25paged_attention_v1_kernelIfhLi64ELi32ELi128ELNS_18Fp8KVCacheDataTypeE1ELb0EEEvPT_PKS2_PKT0_S8_ifPKiSA_iPKfiiiSC_SC_iiiii
                                        ; -- End function
	.set _ZN4vllm25paged_attention_v1_kernelIfhLi64ELi32ELi128ELNS_18Fp8KVCacheDataTypeE1ELb0EEEvPT_PKS2_PKT0_S8_ifPKiSA_iPKfiiiSC_SC_iiiii.num_vgpr, 128
	.set _ZN4vllm25paged_attention_v1_kernelIfhLi64ELi32ELi128ELNS_18Fp8KVCacheDataTypeE1ELb0EEEvPT_PKS2_PKT0_S8_ifPKiSA_iPKfiiiSC_SC_iiiii.num_agpr, 0
	.set _ZN4vllm25paged_attention_v1_kernelIfhLi64ELi32ELi128ELNS_18Fp8KVCacheDataTypeE1ELb0EEEvPT_PKS2_PKT0_S8_ifPKiSA_iPKfiiiSC_SC_iiiii.numbered_sgpr, 31
	.set _ZN4vllm25paged_attention_v1_kernelIfhLi64ELi32ELi128ELNS_18Fp8KVCacheDataTypeE1ELb0EEEvPT_PKS2_PKT0_S8_ifPKiSA_iPKfiiiSC_SC_iiiii.num_named_barrier, 0
	.set _ZN4vllm25paged_attention_v1_kernelIfhLi64ELi32ELi128ELNS_18Fp8KVCacheDataTypeE1ELb0EEEvPT_PKS2_PKT0_S8_ifPKiSA_iPKfiiiSC_SC_iiiii.private_seg_size, 336
	.set _ZN4vllm25paged_attention_v1_kernelIfhLi64ELi32ELi128ELNS_18Fp8KVCacheDataTypeE1ELb0EEEvPT_PKS2_PKT0_S8_ifPKiSA_iPKfiiiSC_SC_iiiii.uses_vcc, 1
	.set _ZN4vllm25paged_attention_v1_kernelIfhLi64ELi32ELi128ELNS_18Fp8KVCacheDataTypeE1ELb0EEEvPT_PKS2_PKT0_S8_ifPKiSA_iPKfiiiSC_SC_iiiii.uses_flat_scratch, 1
	.set _ZN4vllm25paged_attention_v1_kernelIfhLi64ELi32ELi128ELNS_18Fp8KVCacheDataTypeE1ELb0EEEvPT_PKS2_PKT0_S8_ifPKiSA_iPKfiiiSC_SC_iiiii.has_dyn_sized_stack, 0
	.set _ZN4vllm25paged_attention_v1_kernelIfhLi64ELi32ELi128ELNS_18Fp8KVCacheDataTypeE1ELb0EEEvPT_PKS2_PKT0_S8_ifPKiSA_iPKfiiiSC_SC_iiiii.has_recursion, 0
	.set _ZN4vllm25paged_attention_v1_kernelIfhLi64ELi32ELi128ELNS_18Fp8KVCacheDataTypeE1ELb0EEEvPT_PKS2_PKT0_S8_ifPKiSA_iPKfiiiSC_SC_iiiii.has_indirect_call, 0
	.section	.AMDGPU.csdata,"",@progbits
; Kernel info:
; codeLenInByte = 40464
; TotalNumSgprs: 33
; NumVgprs: 128
; ScratchSize: 336
; MemoryBound: 0
; FloatMode: 240
; IeeeMode: 1
; LDSByteSize: 288 bytes/workgroup (compile time only)
; SGPRBlocks: 0
; VGPRBlocks: 7
; NumSGPRsForWavesPerEU: 33
; NumVGPRsForWavesPerEU: 128
; NamedBarCnt: 0
; Occupancy: 8
; WaveLimiterHint : 1
; COMPUTE_PGM_RSRC2:SCRATCH_EN: 1
; COMPUTE_PGM_RSRC2:USER_SGPR: 2
; COMPUTE_PGM_RSRC2:TRAP_HANDLER: 0
; COMPUTE_PGM_RSRC2:TGID_X_EN: 1
; COMPUTE_PGM_RSRC2:TGID_Y_EN: 1
; COMPUTE_PGM_RSRC2:TGID_Z_EN: 1
; COMPUTE_PGM_RSRC2:TIDIG_COMP_CNT: 0
	.text
	.p2align	2                               ; -- Begin function _ZN4vllm22paged_attention_kernelIfhLi80ELi32ELi128ELNS_18Fp8KVCacheDataTypeE1ELb0ELi0EEEvPfS2_PT_PKS3_PKT0_S9_ifPKiSB_iPKfiiiSD_SD_iiiii
	.type	_ZN4vllm22paged_attention_kernelIfhLi80ELi32ELi128ELNS_18Fp8KVCacheDataTypeE1ELb0ELi0EEEvPfS2_PT_PKS3_PKT0_S9_ifPKiSB_iPKfiiiSD_SD_iiiii,@function
_ZN4vllm22paged_attention_kernelIfhLi80ELi32ELi128ELNS_18Fp8KVCacheDataTypeE1ELb0ELi0EEEvPfS2_PT_PKS3_PKT0_S9_ifPKiSB_iPKfiiiSD_SD_iiiii: ; @_ZN4vllm22paged_attention_kernelIfhLi80ELi32ELi128ELNS_18Fp8KVCacheDataTypeE1ELb0ELi0EEEvPfS2_PT_PKS3_PKT0_S9_ifPKiSB_iPKfiiiSD_SD_iiiii
; %bb.0:
	s_wait_loadcnt_dscnt 0x0
	s_wait_kmcnt 0x0
	s_clause 0x2f
	scratch_store_b32 off, v40, s32 offset:188
	; meta instruction
	scratch_store_b32 off, v41, s32 offset:184
	; meta instruction
	;; [unrolled: 2-line block ×47, first 2 shown]
	scratch_store_b32 off, v127, s32
	s_bfe_u32 s0, ttmp6, 0x4000c
	s_bfe_u32 s2, ttmp6, 0x40010
	s_add_co_i32 s0, s0, 1
	s_and_b32 s1, ttmp6, 15
	s_mul_i32 s0, ttmp9, s0
	s_and_b32 s3, ttmp7, 0xffff
	s_add_co_i32 s2, s2, 1
	s_add_co_i32 s0, s1, s0
	s_mul_i32 s1, s3, s2
	s_bfe_u32 s2, ttmp6, 0x40004
	s_getreg_b32 s12, hwreg(HW_REG_IB_STS2, 6, 4)
	s_add_co_i32 s2, s2, s1
	s_cmp_eq_u32 s12, 0
	s_mov_b32 s1, 0
	s_cselect_b32 s13, s3, s2
	s_cselect_b32 s2, ttmp9, s0
	s_lshl_b32 s0, s13, 2
	v_dual_mov_b32 v37, v7 :: v_dual_mov_b32 v36, v6
	v_add_nc_u64_e32 v[6:7], s[0:1], v[12:13]
	s_clause 0x3
	scratch_store_b64 off, v[20:21], s32 offset:392
	scratch_store_b64 off, v[18:19], s32 offset:380
	scratch_store_b32 off, v9, s32 offset:400
	scratch_store_b64 off, v[0:1], s32 offset:744
	s_wait_xcnt 0x0
	v_dual_mov_b32 v1, 0 :: v_dual_mov_b32 v25, v16
	v_mov_b32_e32 v24, v15
	s_clause 0x1
	s_load_u16 s0, s[8:9], 0x12
	s_load_b32 s3, s[8:9], 0x0
	flat_load_b32 v16, v[6:7]
	s_wait_xcnt 0x0
	v_sub_nc_u32_e32 v6, 0, v8
	global_load_u16 v0, v1, s[8:9] offset:22
	s_mov_b32 s10, s15
	s_mov_b32 s4, exec_lo
	v_max_i32_e32 v6, v8, v6
	s_delay_alu instid0(VALU_DEP_1) | instskip(NEXT) | instid1(VALU_DEP_1)
	v_cvt_f32_u32_e32 v7, v6
	v_rcp_iflag_f32_e32 v7, v7
	s_wait_kmcnt 0x0
	s_cmp_lg_u32 s0, 0
	s_cselect_b32 s0, -1, 0
	s_delay_alu instid0(SALU_CYCLE_1) | instskip(SKIP_1) | instid1(TRANS32_DEP_1)
	s_cmp_lg_u32 s0, 0
	v_nop
	v_mul_f32_e32 v7, 0x4f7ffffe, v7
	v_sub_nc_u32_e32 v9, 0, v6
	s_add_co_ci_u32 s14, s3, 0
	s_delay_alu instid0(SALU_CYCLE_1) | instskip(NEXT) | instid1(VALU_DEP_2)
	s_abs_i32 s0, s14
	v_cvt_u32_f32_e32 v7, v7
	s_delay_alu instid0(VALU_DEP_1) | instskip(NEXT) | instid1(VALU_DEP_1)
	v_mul_lo_u32 v9, v9, v7
	v_mul_hi_u32 v9, v7, v9
	s_delay_alu instid0(VALU_DEP_1) | instskip(NEXT) | instid1(VALU_DEP_1)
	v_add_nc_u32_e32 v7, v7, v9
	v_mul_hi_u32 v7, s0, v7
	s_delay_alu instid0(VALU_DEP_1) | instskip(NEXT) | instid1(VALU_DEP_1)
	v_mul_lo_u32 v9, v7, v6
	v_dual_add_nc_u32 v12, 1, v7 :: v_dual_sub_nc_u32 v9, s0, v9
	s_abs_i32 s0, s2
	s_delay_alu instid0(VALU_DEP_1) | instskip(NEXT) | instid1(VALU_DEP_2)
	v_cmp_ge_u32_e32 vcc_lo, v9, v6
	v_dual_sub_nc_u32 v13, v9, v6 :: v_dual_cndmask_b32 v7, v7, v12, vcc_lo
	s_delay_alu instid0(VALU_DEP_1) | instskip(NEXT) | instid1(VALU_DEP_1)
	v_dual_cndmask_b32 v9, v9, v13, vcc_lo :: v_dual_bitop2_b32 v8, s14, v8 bitop3:0x14
	v_dual_add_nc_u32 v12, 1, v7 :: v_dual_ashrrev_i32 v8, 31, v8
	s_delay_alu instid0(VALU_DEP_2) | instskip(NEXT) | instid1(VALU_DEP_2)
	v_cmp_ge_u32_e32 vcc_lo, v9, v6
	v_cndmask_b32_e32 v6, v7, v12, vcc_lo
	s_delay_alu instid0(VALU_DEP_1) | instskip(NEXT) | instid1(VALU_DEP_1)
	v_xor_b32_e32 v6, v6, v8
	v_sub_nc_u32_e32 v7, v6, v8
	s_delay_alu instid0(VALU_DEP_1) | instskip(NEXT) | instid1(VALU_DEP_1)
	v_sub_nc_u32_e32 v6, 0, v7
	v_max_i32_e32 v6, v7, v6
	s_delay_alu instid0(VALU_DEP_1) | instskip(SKIP_1) | instid1(VALU_DEP_2)
	v_cvt_f32_u32_e32 v8, v6
	v_sub_nc_u32_e32 v9, 0, v6
	v_rcp_iflag_f32_e32 v8, v8
	v_nop
	s_delay_alu instid0(TRANS32_DEP_1) | instskip(NEXT) | instid1(VALU_DEP_1)
	v_mul_f32_e32 v8, 0x4f7ffffe, v8
	v_cvt_u32_f32_e32 v8, v8
	s_delay_alu instid0(VALU_DEP_1) | instskip(NEXT) | instid1(VALU_DEP_1)
	v_mul_lo_u32 v9, v9, v8
	v_mul_hi_u32 v9, v8, v9
	s_wait_loadcnt 0x0
	v_readfirstlane_b32 s15, v0
	s_delay_alu instid0(VALU_DEP_2)
	v_dual_add_nc_u32 v0, v8, v9 :: v_dual_mov_b32 v8, v1
	scratch_store_b32 off, v8, s32 offset:388 ; 4-byte Folded Spill
	s_wait_xcnt 0x0
	v_cmpx_ne_u64_e32 0, v[24:25]
	s_cbranch_execz .LBB220_2
; %bb.1:
	s_ashr_i32 s3, s2, 31
	s_delay_alu instid0(SALU_CYCLE_1)
	v_lshl_add_u64 v[8:9], s[2:3], 2, v[24:25]
	flat_load_b32 v8, v[8:9]
	s_wait_loadcnt_dscnt 0x0
	scratch_store_b32 off, v8, s32 offset:388 ; 4-byte Folded Spill
.LBB220_2:
	s_wait_xcnt 0x0
	s_or_b32 exec_lo, exec_lo, s4
	v_mul_u64_e32 v[0:1], s[0:1], v[0:1]
	v_and_b32_e32 v26, 0x3ff, v31
	v_ashrrev_i32_e32 v0, 31, v7
	s_ashr_i32 s1, s2, 31
	s_mul_i32 s4, s2, 0x50
	s_mov_b32 s2, exec_lo
	v_cmpx_gt_u32_e32 20, v26
	s_cbranch_execz .LBB220_4
; %bb.3:
	v_mul_lo_u32 v8, v17, s13
	s_ashr_i32 s5, s4, 31
	v_dual_mov_b32 v13, 0 :: v_dual_lshlrev_b32 v12, 4, v26
	s_delay_alu instid0(VALU_DEP_2) | instskip(NEXT) | instid1(VALU_DEP_1)
	v_ashrrev_i32_e32 v9, 31, v8
	v_lshl_add_u64 v[2:3], v[8:9], 2, v[2:3]
	s_delay_alu instid0(VALU_DEP_1) | instskip(NEXT) | instid1(VALU_DEP_1)
	v_lshl_add_u64 v[2:3], s[4:5], 2, v[2:3]
	v_add_nc_u64_e32 v[2:3], v[2:3], v[12:13]
	flat_load_b128 v[28:31], v[2:3]
	s_wait_loadcnt_dscnt 0x0
	ds_store_b128 v12, v[28:31]
.LBB220_4:
	s_wait_xcnt 0x0
	s_or_b32 exec_lo, exec_lo, s2
	s_delay_alu instid0(VALU_DEP_4)
	v_mul_lo_u32 v2, v1, v6
	s_load_b32 s5, s[8:9], 0x8
	v_mul_lo_u32 v38, v14, s13
	s_get_pc_i64 s[6:7]
	s_add_nc_u64 s[6:7], s[6:7], llvm.amdgcn.dynlds.offset.table@rel64+4
	v_dual_add_nc_u32 v3, 1, v1 :: v_dual_lshrrev_b32 v17, 3, v26
	s_delay_alu instid0(VALU_DEP_3) | instskip(NEXT) | instid1(VALU_DEP_1)
	v_sub_nc_u32_e32 v2, s0, v2
	v_cmp_ge_u32_e32 vcc_lo, v2, v6
	s_delay_alu instid0(VALU_DEP_3) | instskip(NEXT) | instid1(VALU_DEP_1)
	v_dual_sub_nc_u32 v7, v2, v6 :: v_dual_cndmask_b32 v1, v1, v3, vcc_lo
	v_dual_cndmask_b32 v2, v2, v7 :: v_dual_add_nc_u32 v3, 1, v1
	s_delay_alu instid0(VALU_DEP_1) | instskip(SKIP_1) | instid1(VALU_DEP_2)
	v_cmp_ge_u32_e32 vcc_lo, v2, v6
	s_wait_dscnt 0x0
	v_dual_add_nc_u32 v7, 31, v16 :: v_dual_cndmask_b32 v1, v1, v3, vcc_lo
	s_delay_alu instid0(VALU_DEP_1) | instskip(NEXT) | instid1(VALU_DEP_1)
	v_dual_ashrrev_i32 v2, 31, v7 :: v_dual_bitop2_b32 v0, s1, v0 bitop3:0x14
	v_dual_lshrrev_b32 v2, 27, v2 :: v_dual_bitop2_b32 v1, v1, v0 bitop3:0x14
	s_delay_alu instid0(VALU_DEP_1) | instskip(SKIP_2) | instid1(VALU_DEP_3)
	v_dual_sub_nc_u32 v0, v1, v0 :: v_dual_add_nc_u32 v1, v7, v2
	v_and_b32_e32 v2, 31, v26
	v_mov_b32_e32 v9, 0xff7fffff
	v_mul_lo_u32 v48, v0, v19
	s_delay_alu instid0(VALU_DEP_4)
	v_dual_lshrrev_b32 v0, 5, v26 :: v_dual_ashrrev_i32 v1, 5, v1
	v_ashrrev_i32_e32 v39, 31, v38
	v_lshlrev_b32_e32 v12, 2, v2
	s_clause 0x1
	scratch_store_b32 off, v0, s32 offset:736
	scratch_store_b32 off, v1, s32 offset:192
	v_cmp_ge_i32_e64 s0, v0, v1
	v_cmp_lt_i32_e32 vcc_lo, v0, v1
	scratch_store_b32 off, v2, s32 offset:732 ; 4-byte Folded Spill
	s_wait_storecnt 0x0
	v_ashrrev_i32_e32 v49, 31, v48
	s_barrier_signal -1
	s_barrier_wait -1
	s_wait_xcnt 0x0
	s_mov_b32 s2, exec_lo
	s_delay_alu instid0(SALU_CYCLE_1)
	s_and_b32 s1, s2, vcc_lo
	scratch_store_b32 off, v26, s32 offset:740 ; 4-byte Folded Spill
	s_wait_xcnt 0x0
	s_mov_b32 exec_lo, s1
	s_cbranch_execz .LBB220_648
; %bb.5:
	s_clause 0x2
	scratch_store_b64 off, v[36:37], s32 offset:768
	scratch_store_b64 off, v[22:23], s32 offset:760
	scratch_load_b32 v3, off, s32 offset:732
	v_mov_b32_e32 v77, 0
	v_add_nc_u64_e32 v[0:1], v[4:5], v[48:49]
	s_ashr_i32 s11, s10, 31
	v_mov_b32_e32 v9, 0xff7fffff
	s_lshl_b64 s[8:9], s[10:11], 2
	s_mov_b32 s3, 0
	s_add_nc_u64 s[8:9], s[6:7], s[8:9]
	s_load_b32 s1, s[8:9], 0x0
	s_wait_loadcnt 0x0
	v_lshlrev_b32_e32 v76, 4, v3
	ds_load_b128 v[4:7], v77
	scratch_store_b64 off, v[48:49], s32 offset:788 ; 8-byte Folded Spill
	v_add_nc_u64_e32 v[0:1], v[0:1], v[76:77]
	v_and_b32_e32 v76, 0x7c, v17
	s_wait_dscnt 0x0
	scratch_store_b128 off, v[4:7], s32 offset:404 ; 16-byte Folded Spill
	s_wait_xcnt 0x0
	ds_load_b128 v[4:7], v77 offset:16
	s_wait_dscnt 0x0
	scratch_store_b128 off, v[4:7], s32 offset:420 ; 16-byte Folded Spill
	s_wait_xcnt 0x0
	ds_load_b128 v[4:7], v77 offset:32
	;; [unrolled: 4-line block ×19, first 2 shown]
	s_wait_dscnt 0x0
	s_clause 0x4
	scratch_store_b128 off, v[4:7], s32 offset:708
	scratch_store_b64 off, v[0:1], s32 offset:724
	scratch_store_b32 off, v17, s32 offset:784
	scratch_load_b32 v2, off, s32 offset:388
	scratch_load_b32 v26, off, s32 offset:736
	s_wait_xcnt 0x3
	v_lshl_add_u64 v[0:1], v[38:39], 2, v[76:77]
	s_clause 0x2
	scratch_store_b64 off, v[38:39], s32 offset:776
	scratch_store_b32 off, v12, s32 offset:796
	scratch_store_b64 off, v[10:11], s32 offset:752
	v_add_nc_u64_e32 v[88:89], v[10:11], v[0:1]
	s_wait_loadcnt 0x1
	v_cmp_neq_f32_e32 vcc_lo, 0, v2
	s_wait_loadcnt 0x0
	v_lshl_or_b32 v2, v26, 7, v12
	s_wait_xcnt 0x5
	v_lshl_or_b32 v17, v26, 5, v3
	s_wait_kmcnt 0x0
	s_delay_alu instid0(VALU_DEP_2)
	v_add_nc_u32_e32 v27, s1, v2
	s_branch .LBB220_10
.LBB220_6:                              ;   in Loop: Header=BB220_10 Depth=1
	s_or_b32 exec_lo, exec_lo, s16
	s_delay_alu instid0(VALU_DEP_1) | instskip(SKIP_1) | instid1(VALU_DEP_2)
	v_dual_lshlrev_b32 v3, 24, v3 :: v_dual_lshlrev_b32 v6, 20, v76
	v_lshl_add_u32 v2, v2, 23, 0x3c000000
	v_and_b32_e32 v3, 0x80000000, v3
	s_delay_alu instid0(VALU_DEP_1)
	v_or3_b32 v7, v6, v3, v2
	v_mov_b32_e32 v6, v77
.LBB220_7:                              ;   in Loop: Header=BB220_10 Depth=1
	s_or_b32 exec_lo, exec_lo, s11
.LBB220_8:                              ;   in Loop: Header=BB220_10 Depth=1
	s_delay_alu instid0(SALU_CYCLE_1)
	s_or_b32 exec_lo, exec_lo, s9
.LBB220_9:                              ;   in Loop: Header=BB220_10 Depth=1
	s_delay_alu instid0(SALU_CYCLE_1)
	s_or_b32 exec_lo, exec_lo, s8
	v_or_b32_e32 v29, v29, v31
	v_or_b32_e32 v28, v28, v30
	v_or_b32_e32 v31, v33, v35
	v_or_b32_e32 v30, v32, v34
	s_clause 0x1
	scratch_load_b64 v[32:33], off, s32 offset:356 th:TH_LOAD_LU
	scratch_load_b64 v[34:35], off, s32 offset:364 th:TH_LOAD_LU
	v_or_b32_e32 v13, v37, v39
	v_or_b32_e32 v12, v36, v38
	;; [unrolled: 1-line block ×26, first 2 shown]
	v_dual_sub_nc_u32 v6, 1, v16 :: v_dual_bitop2_b32 v11, v19, v15 bitop3:0x54
	v_or_b32_e32 v47, v45, v47
	v_or_b32_e32 v46, v44, v46
	;; [unrolled: 1-line block ×3, first 2 shown]
	s_delay_alu instid0(VALU_DEP_4)
	v_dual_add_nc_u32 v6, v6, v17 :: v_dual_bitop2_b32 v44, v56, v58 bitop3:0x54
	v_or_b32_e32 v75, v75, v73
	v_or_b32_e32 v21, v93, v21
	;; [unrolled: 1-line block ×3, first 2 shown]
	v_cmp_lt_i32_e64 s1, v17, v16
	v_or_b32_e32 v73, v91, v95
	v_cvt_f32_i32_e32 v6, v6
	v_or_b32_e32 v74, v74, v72
	v_or_b32_e32 v72, v90, v94
	;; [unrolled: 1-line block ×7, first 2 shown]
	v_dual_add_nc_u32 v26, 4, v26 :: v_dual_bitop2_b32 v104, v104, v108 bitop3:0x54
	v_or_b32_e32 v19, v127, v121
	v_or_b32_e32 v18, v126, v120
	v_pk_mul_f32 v[28:29], v[8:9], v[28:29] op_sel_hi:[0,1]
	v_pk_mul_f32 v[12:13], v[8:9], v[12:13] op_sel_hi:[0,1]
	v_pk_mul_f32 v[2:3], v[8:9], v[2:3] op_sel_hi:[0,1]
	v_or_b32_e32 v61, v61, v63
	v_or_b32_e32 v60, v60, v62
	v_pk_mul_f32 v[14:15], v[8:9], v[14:15] op_sel_hi:[0,1]
	v_pk_mul_f32 v[20:21], v[8:9], v[20:21] op_sel_hi:[0,1]
	v_or_b32_e32 v1, v1, v125
	v_or_b32_e32 v0, v0, v124
	v_pk_mul_f32 v[18:19], v[8:9], v[18:19] op_sel_hi:[0,1]
	v_pk_mul_f32 v[10:11], v[8:9], v[10:11] op_sel_hi:[0,1]
	v_or_b32_e32 v23, v111, v23
	v_or_b32_e32 v22, v110, v22
	v_pk_mul_f32 v[0:1], v[8:9], v[0:1] op_sel_hi:[0,1]
	v_or_b32_e32 v5, v7, v5
	v_add_nc_u64_e32 v[88:89], 16, v[88:89]
	v_add_nc_u32_e32 v17, 0x80, v17
	s_delay_alu instid0(VALU_DEP_3)
	v_pk_mul_f32 v[4:5], v[8:9], v[4:5] op_sel_hi:[0,1]
	s_wait_loadcnt 0x0
	v_or_b32_e32 v33, v33, v35
	v_or_b32_e32 v32, v32, v34
	scratch_load_b64 v[34:35], off, s32 offset:372 th:TH_LOAD_LU ; 8-byte Folded Reload
	v_pk_mul_f32 v[32:33], v[8:9], v[32:33] op_sel_hi:[0,1]
	s_wait_loadcnt 0x0
	v_or_b32_e32 v25, v25, v35
	v_or_b32_e32 v24, v24, v34
	s_clause 0x1
	scratch_load_b64 v[34:35], off, s32 offset:324 th:TH_LOAD_LU
	scratch_load_b64 v[38:39], off, s32 offset:332 th:TH_LOAD_LU
	v_pk_mul_f32 v[24:25], v[8:9], v[24:25] op_sel_hi:[0,1]
	s_wait_loadcnt 0x0
	v_or_b32_e32 v35, v35, v39
	v_or_b32_e32 v34, v34, v38
	s_clause 0x1
	scratch_load_b64 v[38:39], off, s32 offset:340 th:TH_LOAD_LU
	scratch_load_b64 v[48:49], off, s32 offset:348 th:TH_LOAD_LU
	;; [unrolled: 7-line block ×3, first 2 shown]
	s_wait_loadcnt 0x0
	v_or_b32_e32 v49, v49, v51
	v_or_b32_e32 v48, v48, v50
	s_clause 0x1
	scratch_load_b64 v[50:51], off, s32 offset:308 th:TH_LOAD_LU
	scratch_load_b64 v[54:55], off, s32 offset:316 th:TH_LOAD_LU
	v_pk_mul_f32 v[48:49], v[8:9], v[48:49] op_sel_hi:[0,1]
	s_wait_loadcnt 0x0
	v_or_b32_e32 v51, v51, v55
	v_or_b32_e32 v50, v50, v54
	s_clause 0x1
	scratch_load_b64 v[54:55], off, s32 offset:260 th:TH_LOAD_LU
	scratch_load_b64 v[64:65], off, s32 offset:268 th:TH_LOAD_LU
	s_wait_loadcnt 0x0
	v_or_b32_e32 v55, v55, v65
	v_or_b32_e32 v54, v54, v64
	s_clause 0x1
	scratch_load_b64 v[64:65], off, s32 offset:276 th:TH_LOAD_LU
	scratch_load_b64 v[66:67], off, s32 offset:284 th:TH_LOAD_LU
	v_pk_mul_f32 v[54:55], v[8:9], v[54:55] op_sel_hi:[0,1]
	s_wait_loadcnt 0x0
	v_or_b32_e32 v65, v65, v67
	v_or_b32_e32 v64, v64, v66
	s_clause 0x1
	scratch_load_b64 v[66:67], off, s32 offset:228 th:TH_LOAD_LU
	scratch_load_b64 v[80:81], off, s32 offset:236 th:TH_LOAD_LU
	;; [unrolled: 13-line block ×3, first 2 shown]
	s_wait_loadcnt 0x0
	v_or_b32_e32 v83, v83, v97
	v_or_b32_e32 v82, v82, v96
	s_clause 0x5
	scratch_load_b64 v[96:97], off, s32 offset:212 th:TH_LOAD_LU
	scratch_load_b64 v[98:99], off, s32 offset:220 th:TH_LOAD_LU
	scratch_load_b128 v[40:43], off, s32 offset:420
	scratch_load_b128 v[112:115], off, s32 offset:404
	;; [unrolled: 1-line block ×4, first 2 shown]
	v_pk_mul_f32 v[82:83], v[8:9], v[82:83] op_sel_hi:[0,1]
	s_clause 0x1
	scratch_load_b128 v[120:123], off, s32 offset:500
	scratch_load_b128 v[106:109], off, s32 offset:484
	s_wait_loadcnt 0x6
	v_or_b32_e32 v97, v97, v99
	s_wait_loadcnt 0x5
	v_pk_mul_f32 v[66:67], v[40:41], v[66:67]
	v_or_b32_e32 v96, v96, v98
	s_wait_loadcnt 0x4
	s_delay_alu instid0(VALU_DEP_2) | instskip(SKIP_1) | instid1(VALU_DEP_1)
	v_pk_fma_f32 v[66:67], v[112:113], v[82:83], v[66:67]
	s_wait_loadcnt 0x3
	v_pk_fma_f32 v[54:55], v[56:57], v[54:55], v[66:67]
	s_wait_loadcnt 0x2
	s_delay_alu instid0(VALU_DEP_1) | instskip(SKIP_3) | instid1(VALU_DEP_1)
	v_pk_fma_f32 v[48:49], v[90:91], v[48:49], v[54:55]
	scratch_load_b128 v[54:57], off, s32 offset:468 ; 16-byte Folded Reload
	s_wait_loadcnt 0x0
	v_pk_fma_f32 v[34:35], v[54:55], v[34:35], v[48:49]
	v_pk_fma_f32 v[32:33], v[106:107], v[32:33], v[34:35]
	s_delay_alu instid0(VALU_DEP_1)
	v_pk_fma_f32 v[28:29], v[120:121], v[28:29], v[32:33]
	scratch_load_b128 v[32:35], off, s32 offset:516 ; 16-byte Folded Reload
	s_wait_loadcnt 0x0
	v_pk_fma_f32 v[12:13], v[32:33], v[12:13], v[28:29]
	v_pk_mul_f32 v[28:29], v[8:9], v[80:81] op_sel_hi:[0,1]
	v_pk_mul_f32 v[32:33], v[8:9], v[96:97] op_sel_hi:[0,1]
	s_clause 0x1
	scratch_load_b128 v[80:83], off, s32 offset:612
	scratch_load_b128 v[96:99], off, s32 offset:628
	v_pk_mul_f32 v[28:29], v[42:43], v[28:29]
	s_delay_alu instid0(VALU_DEP_1)
	v_pk_fma_f32 v[28:29], v[114:115], v[32:33], v[28:29]
	v_pk_mul_f32 v[32:33], v[8:9], v[64:65] op_sel_hi:[0,1]
	s_clause 0x1
	scratch_load_b128 v[64:67], off, s32 offset:596
	scratch_load_b128 v[112:115], off, s32 offset:644
	v_pk_fma_f32 v[28:29], v[58:59], v[32:33], v[28:29]
	v_pk_mul_f32 v[32:33], v[8:9], v[50:51] op_sel_hi:[0,1]
	scratch_load_b128 v[48:51], off, s32 offset:580 ; 16-byte Folded Reload
	v_pk_fma_f32 v[28:29], v[92:93], v[32:33], v[28:29]
	v_pk_mul_f32 v[32:33], v[8:9], v[38:39] op_sel_hi:[0,1]
	s_delay_alu instid0(VALU_DEP_1) | instskip(NEXT) | instid1(VALU_DEP_1)
	v_pk_fma_f32 v[28:29], v[56:57], v[32:33], v[28:29]
	v_pk_fma_f32 v[24:25], v[108:109], v[24:25], v[28:29]
	v_pk_mul_f32 v[28:29], v[8:9], v[30:31] op_sel_hi:[0,1]
	s_delay_alu instid0(VALU_DEP_1)
	v_pk_fma_f32 v[24:25], v[122:123], v[28:29], v[24:25]
	v_pk_mul_f32 v[28:29], v[8:9], v[36:37] op_sel_hi:[0,1]
	scratch_load_b128 v[36:39], off, s32 offset:564 ; 16-byte Folded Reload
	v_pk_fma_f32 v[24:25], v[34:35], v[28:29], v[24:25]
	s_clause 0x1
	scratch_load_b128 v[28:31], off, s32 offset:532
	scratch_load_b128 v[32:35], off, s32 offset:548
	s_wait_loadcnt 0x1
	v_pk_fma_f32 v[2:3], v[28:29], v[2:3], v[12:13]
	v_pk_mul_f32 v[12:13], v[8:9], v[70:71] op_sel_hi:[0,1]
	s_wait_loadcnt 0x0
	s_delay_alu instid0(VALU_DEP_1) | instskip(SKIP_1) | instid1(VALU_DEP_1)
	v_pk_fma_f32 v[2:3], v[32:33], v[12:13], v[2:3]
	v_pk_mul_f32 v[12:13], v[8:9], v[86:87] op_sel_hi:[0,1]
	v_pk_fma_f32 v[2:3], v[36:37], v[12:13], v[2:3]
	v_pk_mul_f32 v[12:13], v[8:9], v[102:103] op_sel_hi:[0,1]
	s_delay_alu instid0(VALU_DEP_1) | instskip(SKIP_1) | instid1(VALU_DEP_1)
	v_pk_fma_f32 v[2:3], v[48:49], v[12:13], v[2:3]
	v_pk_mul_f32 v[12:13], v[8:9], v[118:119] op_sel_hi:[0,1]
	v_pk_fma_f32 v[2:3], v[64:65], v[12:13], v[2:3]
	v_pk_mul_f32 v[12:13], v[8:9], v[46:47] op_sel_hi:[0,1]
	;; [unrolled: 5-line block ×3, first 2 shown]
	s_delay_alu instid0(VALU_DEP_1) | instskip(SKIP_2) | instid1(VALU_DEP_2)
	v_pk_fma_f32 v[28:29], v[112:113], v[12:13], v[2:3]
	v_pk_mul_f32 v[2:3], v[8:9], v[52:53] op_sel_hi:[0,1]
	v_pk_mul_f32 v[12:13], v[8:9], v[68:69] op_sel_hi:[0,1]
	v_pk_fma_f32 v[2:3], v[30:31], v[2:3], v[24:25]
	scratch_load_b128 v[30:33], off, s32 offset:660 ; 16-byte Folded Reload
	v_pk_fma_f32 v[2:3], v[34:35], v[12:13], v[2:3]
	v_pk_mul_f32 v[12:13], v[8:9], v[84:85] op_sel_hi:[0,1]
	s_delay_alu instid0(VALU_DEP_1) | instskip(SKIP_1) | instid1(VALU_DEP_1)
	v_pk_fma_f32 v[2:3], v[38:39], v[12:13], v[2:3]
	v_pk_mul_f32 v[12:13], v[8:9], v[100:101] op_sel_hi:[0,1]
	v_pk_fma_f32 v[2:3], v[50:51], v[12:13], v[2:3]
	v_pk_mul_f32 v[12:13], v[8:9], v[116:117] op_sel_hi:[0,1]
	s_delay_alu instid0(VALU_DEP_1) | instskip(SKIP_1) | instid1(VALU_DEP_1)
	v_pk_fma_f32 v[2:3], v[66:67], v[12:13], v[2:3]
	v_pk_mul_f32 v[12:13], v[8:9], v[44:45] op_sel_hi:[0,1]
	v_pk_fma_f32 v[24:25], v[82:83], v[12:13], v[2:3]
	v_pk_mul_f32 v[12:13], v[8:9], v[74:75] op_sel_hi:[0,1]
	v_pk_mul_f32 v[2:3], v[8:9], v[78:79] op_sel_hi:[0,1]
	s_delay_alu instid0(VALU_DEP_3) | instskip(SKIP_1) | instid1(VALU_DEP_1)
	v_pk_fma_f32 v[20:21], v[98:99], v[20:21], v[24:25]
	v_pk_mul_f32 v[24:25], v[8:9], v[72:73] op_sel_hi:[0,1]
	v_pk_fma_f32 v[20:21], v[114:115], v[24:25], v[20:21]
	s_wait_loadcnt 0x0
	v_pk_fma_f32 v[14:15], v[30:31], v[14:15], v[28:29]
	scratch_load_b128 v[28:31], off, s32 offset:676 ; 16-byte Folded Reload
	v_pk_fma_f32 v[18:19], v[32:33], v[18:19], v[20:21]
	s_wait_loadcnt 0x0
	s_delay_alu instid0(VALU_DEP_1) | instskip(SKIP_4) | instid1(VALU_DEP_2)
	v_pk_fma_f32 v[0:1], v[30:31], v[0:1], v[18:19]
	scratch_load_b128 v[18:21], off, s32 offset:692 ; 16-byte Folded Reload
	v_pk_fma_f32 v[12:13], v[28:29], v[12:13], v[14:15]
	v_pk_mul_f32 v[14:15], v[8:9], v[22:23] op_sel_hi:[0,1]
	s_wait_loadcnt 0x0
	v_pk_fma_f32 v[2:3], v[18:19], v[2:3], v[12:13]
	v_pk_fma_f32 v[0:1], v[20:21], v[10:11], v[0:1]
	scratch_load_b128 v[10:13], off, s32 offset:708 ; 16-byte Folded Reload
	s_wait_loadcnt 0x0
	v_pk_fma_f32 v[2:3], v[10:11], v[14:15], v[2:3]
	v_pk_fma_f32 v[0:1], v[12:13], v[4:5], v[0:1]
	s_delay_alu instid0(VALU_DEP_2) | instskip(SKIP_2) | instid1(VALU_DEP_1)
	v_add_f32_e32 v2, v2, v3
	scratch_load_b32 v3, off, s32 offset:388 ; 4-byte Folded Reload
	v_add_f32_e32 v0, v0, v2
	v_add_f32_e32 v0, v1, v0
	scratch_load_b32 v1, off, s32 offset:400 ; 4-byte Folded Reload
	s_wait_loadcnt 0x1
	v_mul_f32_e32 v3, v3, v6
	s_delay_alu instid0(VALU_DEP_1) | instskip(SKIP_1) | instid1(VALU_DEP_1)
	v_cndmask_b32_e32 v2, 0, v3, vcc_lo
	s_wait_loadcnt 0x0
	v_fmac_f32_e32 v2, v1, v0
	s_delay_alu instid0(VALU_DEP_1) | instskip(NEXT) | instid1(VALU_DEP_1)
	v_dual_max_num_f32 v0, v9, v9 :: v_dual_cndmask_b32 v1, 0, v2, s1
	v_max_num_f32_e32 v0, v0, v2
	ds_store_b32 v27, v1
	v_cndmask_b32_e64 v9, v9, v0, s1
	scratch_load_b32 v0, off, s32 offset:192 ; 4-byte Folded Reload
	v_add_nc_u32_e32 v27, 0x200, v27
	s_wait_loadcnt 0x0
	v_cmp_ge_i32_e64 s1, v26, v0
	s_or_b32 s3, s1, s3
	s_wait_xcnt 0x0
	s_and_not1_b32 exec_lo, exec_lo, s3
	s_cbranch_execz .LBB220_647
.LBB220_10:                             ; =>This Inner Loop Header: Depth=1
	flat_load_b32 v0, v[88:89]
	s_clause 0x1
	scratch_load_b64 v[2:3], off, s32 offset:380
	scratch_load_b64 v[4:5], off, s32 offset:724
	s_mov_b32 s8, exec_lo
	s_wait_loadcnt_dscnt 0x0
	v_mad_nc_i64_i32 v[110:111], v0, v2, v[4:5]
	flat_load_b32 v0, v[110:111]
	scratch_load_b64 v[2:3], off, s32 offset:392 ; 8-byte Folded Reload
	s_wait_loadcnt_dscnt 0x100
	v_and_b32_e32 v1, 0xff, v0
	s_wait_loadcnt 0x0
	flat_load_b32 v8, v[2:3]
	s_wait_xcnt 0x0
	v_mov_b64_e32 v[2:3], 0
	scratch_store_b64 off, v[2:3], s32 offset:196 ; 8-byte Folded Spill
	s_wait_xcnt 0x0
	v_mov_b64_e32 v[2:3], 0
	scratch_store_b64 off, v[2:3], s32 offset:204 ; 8-byte Folded Spill
	s_wait_xcnt 0x0
	v_cmpx_ne_u16_e32 0, v1
	s_cbranch_execz .LBB220_18
; %bb.11:                               ;   in Loop: Header=BB220_10 Depth=1
	v_mov_b64_e32 v[2:3], 0x80000000
	s_mov_b32 s9, exec_lo
	scratch_store_b64 off, v[2:3], s32 offset:204 ; 8-byte Folded Spill
	s_wait_xcnt 0x0
	v_cmpx_ne_u16_e32 0x80, v1
	s_cbranch_execz .LBB220_17
; %bb.12:                               ;   in Loop: Header=BB220_10 Depth=1
	v_mov_b64_e32 v[4:5], 0x7f800001
	v_and_b32_e32 v2, 0x7f, v0
	s_mov_b32 s11, exec_lo
	scratch_store_b64 off, v[4:5], s32 offset:204 ; 8-byte Folded Spill
	s_wait_xcnt 0x0
	v_cmpx_ne_u32_e32 0x7f, v2
	s_cbranch_execz .LBB220_16
; %bb.13:                               ;   in Loop: Header=BB220_10 Depth=1
	v_dual_lshrrev_b32 v1, 3, v2 :: v_dual_bitop2_b32 v76, 7, v0 bitop3:0x40
	s_mov_b32 s16, exec_lo
	v_cmpx_gt_u32_e32 8, v2
; %bb.14:                               ;   in Loop: Header=BB220_10 Depth=1
	s_delay_alu instid0(VALU_DEP_2) | instskip(NEXT) | instid1(VALU_DEP_1)
	v_clz_i32_u32_e32 v1, v76
	v_min_u32_e32 v1, 32, v1
	s_delay_alu instid0(VALU_DEP_1) | instskip(NEXT) | instid1(VALU_DEP_1)
	v_subrev_nc_u32_e32 v2, 28, v1
	v_lshlrev_b64_e32 v[2:3], v2, v[76:77]
	s_delay_alu instid0(VALU_DEP_1)
	v_dual_sub_nc_u32 v1, 29, v1 :: v_dual_bitop2_b32 v76, 7, v2 bitop3:0x40
; %bb.15:                               ;   in Loop: Header=BB220_10 Depth=1
	s_or_b32 exec_lo, exec_lo, s16
	v_lshlrev_b32_e32 v2, 24, v0
	s_delay_alu instid0(VALU_DEP_2) | instskip(NEXT) | instid1(VALU_DEP_3)
	v_lshlrev_b32_e32 v3, 20, v76
	v_lshl_add_u32 v1, v1, 23, 0x3c000000
	s_delay_alu instid0(VALU_DEP_3) | instskip(NEXT) | instid1(VALU_DEP_1)
	v_and_b32_e32 v2, 0x80000000, v2
	v_or3_b32 v76, v3, v2, v1
	scratch_store_b64 off, v[76:77], s32 offset:204 ; 8-byte Folded Spill
.LBB220_16:                             ;   in Loop: Header=BB220_10 Depth=1
	s_wait_xcnt 0x0
	s_or_b32 exec_lo, exec_lo, s11
.LBB220_17:                             ;   in Loop: Header=BB220_10 Depth=1
	s_delay_alu instid0(SALU_CYCLE_1)
	s_or_b32 exec_lo, exec_lo, s9
.LBB220_18:                             ;   in Loop: Header=BB220_10 Depth=1
	s_delay_alu instid0(SALU_CYCLE_1) | instskip(SKIP_2) | instid1(VALU_DEP_1)
	s_or_b32 exec_lo, exec_lo, s8
	v_lshrrev_b16 v1, 8, v0
	s_mov_b32 s8, exec_lo
	v_cmpx_ne_u16_e32 0, v1
	s_cbranch_execz .LBB220_26
; %bb.19:                               ;   in Loop: Header=BB220_10 Depth=1
	v_mov_b64_e32 v[2:3], 0x8000000000000000
	s_mov_b32 s9, exec_lo
	scratch_store_b64 off, v[2:3], s32 offset:196 ; 8-byte Folded Spill
	s_wait_xcnt 0x0
	v_cmpx_ne_u16_e32 0x80, v1
	s_cbranch_execz .LBB220_25
; %bb.20:                               ;   in Loop: Header=BB220_10 Depth=1
	v_and_b32_e32 v1, 0xffff, v1
	v_mov_b64_e32 v[4:5], 0x7f80000100000000
	s_mov_b32 s11, exec_lo
	s_delay_alu instid0(VALU_DEP_2)
	v_and_b32_e32 v2, 0x7f, v1
	scratch_store_b64 off, v[4:5], s32 offset:196 ; 8-byte Folded Spill
	s_wait_xcnt 0x0
	v_cmpx_ne_u32_e32 0x7f, v2
	s_cbranch_execz .LBB220_24
; %bb.21:                               ;   in Loop: Header=BB220_10 Depth=1
	v_dual_lshrrev_b32 v1, 3, v2 :: v_dual_bitop2_b32 v76, 7, v1 bitop3:0x40
	s_mov_b32 s16, exec_lo
	v_cmpx_gt_u32_e32 8, v2
; %bb.22:                               ;   in Loop: Header=BB220_10 Depth=1
	s_delay_alu instid0(VALU_DEP_2) | instskip(NEXT) | instid1(VALU_DEP_1)
	v_clz_i32_u32_e32 v1, v76
	v_min_u32_e32 v1, 32, v1
	s_delay_alu instid0(VALU_DEP_1) | instskip(NEXT) | instid1(VALU_DEP_1)
	v_subrev_nc_u32_e32 v2, 28, v1
	v_lshlrev_b64_e32 v[2:3], v2, v[76:77]
	s_delay_alu instid0(VALU_DEP_1)
	v_dual_sub_nc_u32 v1, 29, v1 :: v_dual_bitop2_b32 v76, 7, v2 bitop3:0x40
; %bb.23:                               ;   in Loop: Header=BB220_10 Depth=1
	s_or_b32 exec_lo, exec_lo, s16
	v_lshlrev_b32_e32 v2, 16, v0
	s_delay_alu instid0(VALU_DEP_2) | instskip(NEXT) | instid1(VALU_DEP_3)
	v_lshlrev_b32_e32 v3, 20, v76
	v_lshl_add_u32 v1, v1, 23, 0x3c000000
	s_delay_alu instid0(VALU_DEP_3) | instskip(NEXT) | instid1(VALU_DEP_1)
	v_and_b32_e32 v2, 0x80000000, v2
	v_or3_b32 v3, v3, v2, v1
	v_mov_b32_e32 v2, v77
	scratch_store_b64 off, v[2:3], s32 offset:196 ; 8-byte Folded Spill
.LBB220_24:                             ;   in Loop: Header=BB220_10 Depth=1
	s_wait_xcnt 0x0
	s_or_b32 exec_lo, exec_lo, s11
.LBB220_25:                             ;   in Loop: Header=BB220_10 Depth=1
	s_delay_alu instid0(SALU_CYCLE_1)
	s_or_b32 exec_lo, exec_lo, s9
.LBB220_26:                             ;   in Loop: Header=BB220_10 Depth=1
	s_delay_alu instid0(SALU_CYCLE_1) | instskip(SKIP_3) | instid1(VALU_DEP_1)
	s_or_b32 exec_lo, exec_lo, s8
	v_mov_b64_e32 v[4:5], 0
	v_lshrrev_b32_e32 v1, 16, v0
	s_mov_b32 s8, exec_lo
	v_and_b32_e32 v2, 0xff, v1
	scratch_store_b64 off, v[4:5], s32 offset:212 ; 8-byte Folded Spill
	s_wait_xcnt 0x0
	v_mov_b64_e32 v[4:5], 0
	scratch_store_b64 off, v[4:5], s32 offset:220 ; 8-byte Folded Spill
	s_wait_xcnt 0x0
	v_cmpx_ne_u16_e32 0, v2
	s_cbranch_execz .LBB220_34
; %bb.27:                               ;   in Loop: Header=BB220_10 Depth=1
	v_mov_b64_e32 v[4:5], 0x80000000
	s_mov_b32 s9, exec_lo
	scratch_store_b64 off, v[4:5], s32 offset:220 ; 8-byte Folded Spill
	s_wait_xcnt 0x0
	v_cmpx_ne_u16_e32 0x80, v2
	s_cbranch_execz .LBB220_33
; %bb.28:                               ;   in Loop: Header=BB220_10 Depth=1
	v_mov_b64_e32 v[4:5], 0x7f800001
	v_bfe_u32 v3, v0, 16, 7
	s_mov_b32 s11, exec_lo
	scratch_store_b64 off, v[4:5], s32 offset:220 ; 8-byte Folded Spill
	s_wait_xcnt 0x0
	v_cmpx_ne_u32_e32 0x7f, v3
	s_cbranch_execz .LBB220_32
; %bb.29:                               ;   in Loop: Header=BB220_10 Depth=1
	v_dual_lshrrev_b32 v2, 3, v3 :: v_dual_bitop2_b32 v76, 7, v1 bitop3:0x40
	s_mov_b32 s16, exec_lo
	v_cmpx_gt_u32_e32 8, v3
; %bb.30:                               ;   in Loop: Header=BB220_10 Depth=1
	s_delay_alu instid0(VALU_DEP_2) | instskip(NEXT) | instid1(VALU_DEP_1)
	v_clz_i32_u32_e32 v2, v76
	v_min_u32_e32 v2, 32, v2
	s_delay_alu instid0(VALU_DEP_1) | instskip(NEXT) | instid1(VALU_DEP_1)
	v_subrev_nc_u32_e32 v3, 28, v2
	v_lshlrev_b64_e32 v[4:5], v3, v[76:77]
	s_delay_alu instid0(VALU_DEP_1)
	v_dual_sub_nc_u32 v2, 29, v2 :: v_dual_bitop2_b32 v76, 7, v4 bitop3:0x40
; %bb.31:                               ;   in Loop: Header=BB220_10 Depth=1
	s_or_b32 exec_lo, exec_lo, s16
	s_delay_alu instid0(VALU_DEP_1) | instskip(NEXT) | instid1(VALU_DEP_2)
	v_dual_lshlrev_b32 v1, 24, v1 :: v_dual_lshlrev_b32 v3, 20, v76
	v_lshl_add_u32 v2, v2, 23, 0x3c000000
	s_delay_alu instid0(VALU_DEP_2) | instskip(NEXT) | instid1(VALU_DEP_1)
	v_and_b32_e32 v1, 0x80000000, v1
	v_or3_b32 v76, v3, v1, v2
	scratch_store_b64 off, v[76:77], s32 offset:220 ; 8-byte Folded Spill
.LBB220_32:                             ;   in Loop: Header=BB220_10 Depth=1
	s_wait_xcnt 0x0
	s_or_b32 exec_lo, exec_lo, s11
.LBB220_33:                             ;   in Loop: Header=BB220_10 Depth=1
	s_delay_alu instid0(SALU_CYCLE_1)
	s_or_b32 exec_lo, exec_lo, s9
.LBB220_34:                             ;   in Loop: Header=BB220_10 Depth=1
	s_delay_alu instid0(SALU_CYCLE_1) | instskip(NEXT) | instid1(SALU_CYCLE_1)
	s_or_b32 exec_lo, exec_lo, s8
	s_mov_b32 s8, exec_lo
	v_cmpx_lt_u32_e32 0xffffff, v0
	s_cbranch_execz .LBB220_42
; %bb.35:                               ;   in Loop: Header=BB220_10 Depth=1
	v_mov_b64_e32 v[2:3], 0x8000000000000000
	v_lshrrev_b32_e32 v1, 24, v0
	s_mov_b32 s9, exec_lo
	scratch_store_b64 off, v[2:3], s32 offset:212 ; 8-byte Folded Spill
	s_wait_xcnt 0x0
	v_cmpx_ne_u32_e32 0x80, v1
	s_cbranch_execz .LBB220_41
; %bb.36:                               ;   in Loop: Header=BB220_10 Depth=1
	v_mov_b64_e32 v[4:5], 0x7f80000100000000
	v_bfe_u32 v2, v0, 24, 7
	s_mov_b32 s11, exec_lo
	scratch_store_b64 off, v[4:5], s32 offset:212 ; 8-byte Folded Spill
	s_wait_xcnt 0x0
	v_cmpx_ne_u32_e32 0x7f, v2
	s_cbranch_execz .LBB220_40
; %bb.37:                               ;   in Loop: Header=BB220_10 Depth=1
	v_dual_lshrrev_b32 v0, 3, v2 :: v_dual_bitop2_b32 v76, 7, v1 bitop3:0x40
	s_mov_b32 s16, exec_lo
	v_cmpx_gt_u32_e32 8, v2
; %bb.38:                               ;   in Loop: Header=BB220_10 Depth=1
	s_delay_alu instid0(VALU_DEP_2) | instskip(NEXT) | instid1(VALU_DEP_1)
	v_clz_i32_u32_e32 v0, v76
	v_min_u32_e32 v0, 32, v0
	s_delay_alu instid0(VALU_DEP_1) | instskip(NEXT) | instid1(VALU_DEP_1)
	v_subrev_nc_u32_e32 v2, 28, v0
	v_lshlrev_b64_e32 v[2:3], v2, v[76:77]
	s_delay_alu instid0(VALU_DEP_1)
	v_dual_sub_nc_u32 v0, 29, v0 :: v_dual_bitop2_b32 v76, 7, v2 bitop3:0x40
; %bb.39:                               ;   in Loop: Header=BB220_10 Depth=1
	s_or_b32 exec_lo, exec_lo, s16
	s_delay_alu instid0(VALU_DEP_1) | instskip(NEXT) | instid1(VALU_DEP_2)
	v_dual_lshlrev_b32 v1, 24, v1 :: v_dual_lshlrev_b32 v2, 20, v76
	v_lshl_add_u32 v0, v0, 23, 0x3c000000
	s_delay_alu instid0(VALU_DEP_2) | instskip(NEXT) | instid1(VALU_DEP_1)
	v_and_b32_e32 v1, 0x80000000, v1
	v_or3_b32 v1, v2, v1, v0
	v_mov_b32_e32 v0, v77
	scratch_store_b64 off, v[0:1], s32 offset:212 ; 8-byte Folded Spill
.LBB220_40:                             ;   in Loop: Header=BB220_10 Depth=1
	s_wait_xcnt 0x0
	s_or_b32 exec_lo, exec_lo, s11
.LBB220_41:                             ;   in Loop: Header=BB220_10 Depth=1
	s_delay_alu instid0(SALU_CYCLE_1)
	s_or_b32 exec_lo, exec_lo, s9
.LBB220_42:                             ;   in Loop: Header=BB220_10 Depth=1
	s_delay_alu instid0(SALU_CYCLE_1)
	s_or_b32 exec_lo, exec_lo, s8
	flat_load_b32 v0, v[110:111] offset:4
	v_mov_b64_e32 v[2:3], 0
	s_mov_b32 s8, exec_lo
	scratch_store_b64 off, v[2:3], s32 offset:228 ; 8-byte Folded Spill
	s_wait_xcnt 0x0
	v_mov_b64_e32 v[2:3], 0
	scratch_store_b64 off, v[2:3], s32 offset:236 ; 8-byte Folded Spill
	s_wait_loadcnt_dscnt 0x0
	v_and_b32_e32 v1, 0xff, v0
	s_wait_xcnt 0x0
	s_delay_alu instid0(VALU_DEP_1)
	v_cmpx_ne_u16_e32 0, v1
	s_cbranch_execz .LBB220_50
; %bb.43:                               ;   in Loop: Header=BB220_10 Depth=1
	v_mov_b64_e32 v[2:3], 0x80000000
	s_mov_b32 s9, exec_lo
	scratch_store_b64 off, v[2:3], s32 offset:236 ; 8-byte Folded Spill
	s_wait_xcnt 0x0
	v_cmpx_ne_u16_e32 0x80, v1
	s_cbranch_execz .LBB220_49
; %bb.44:                               ;   in Loop: Header=BB220_10 Depth=1
	v_mov_b64_e32 v[4:5], 0x7f800001
	v_and_b32_e32 v2, 0x7f, v0
	s_mov_b32 s11, exec_lo
	scratch_store_b64 off, v[4:5], s32 offset:236 ; 8-byte Folded Spill
	s_wait_xcnt 0x0
	v_cmpx_ne_u32_e32 0x7f, v2
	s_cbranch_execz .LBB220_48
; %bb.45:                               ;   in Loop: Header=BB220_10 Depth=1
	v_dual_lshrrev_b32 v1, 3, v2 :: v_dual_bitop2_b32 v76, 7, v0 bitop3:0x40
	s_mov_b32 s16, exec_lo
	v_cmpx_gt_u32_e32 8, v2
; %bb.46:                               ;   in Loop: Header=BB220_10 Depth=1
	s_delay_alu instid0(VALU_DEP_2) | instskip(NEXT) | instid1(VALU_DEP_1)
	v_clz_i32_u32_e32 v1, v76
	v_min_u32_e32 v1, 32, v1
	s_delay_alu instid0(VALU_DEP_1) | instskip(NEXT) | instid1(VALU_DEP_1)
	v_subrev_nc_u32_e32 v2, 28, v1
	v_lshlrev_b64_e32 v[2:3], v2, v[76:77]
	s_delay_alu instid0(VALU_DEP_1)
	v_dual_sub_nc_u32 v1, 29, v1 :: v_dual_bitop2_b32 v76, 7, v2 bitop3:0x40
; %bb.47:                               ;   in Loop: Header=BB220_10 Depth=1
	s_or_b32 exec_lo, exec_lo, s16
	v_lshlrev_b32_e32 v2, 24, v0
	s_delay_alu instid0(VALU_DEP_2) | instskip(NEXT) | instid1(VALU_DEP_3)
	v_lshlrev_b32_e32 v3, 20, v76
	v_lshl_add_u32 v1, v1, 23, 0x3c000000
	s_delay_alu instid0(VALU_DEP_3) | instskip(NEXT) | instid1(VALU_DEP_1)
	v_and_b32_e32 v2, 0x80000000, v2
	v_or3_b32 v76, v3, v2, v1
	scratch_store_b64 off, v[76:77], s32 offset:236 ; 8-byte Folded Spill
.LBB220_48:                             ;   in Loop: Header=BB220_10 Depth=1
	s_wait_xcnt 0x0
	s_or_b32 exec_lo, exec_lo, s11
.LBB220_49:                             ;   in Loop: Header=BB220_10 Depth=1
	s_delay_alu instid0(SALU_CYCLE_1)
	s_or_b32 exec_lo, exec_lo, s9
.LBB220_50:                             ;   in Loop: Header=BB220_10 Depth=1
	s_delay_alu instid0(SALU_CYCLE_1) | instskip(SKIP_2) | instid1(VALU_DEP_1)
	s_or_b32 exec_lo, exec_lo, s8
	v_lshrrev_b16 v1, 8, v0
	s_mov_b32 s8, exec_lo
	v_cmpx_ne_u16_e32 0, v1
	s_cbranch_execz .LBB220_58
; %bb.51:                               ;   in Loop: Header=BB220_10 Depth=1
	v_mov_b64_e32 v[2:3], 0x8000000000000000
	s_mov_b32 s9, exec_lo
	scratch_store_b64 off, v[2:3], s32 offset:228 ; 8-byte Folded Spill
	s_wait_xcnt 0x0
	v_cmpx_ne_u16_e32 0x80, v1
	s_cbranch_execz .LBB220_57
; %bb.52:                               ;   in Loop: Header=BB220_10 Depth=1
	v_and_b32_e32 v1, 0xffff, v1
	v_mov_b64_e32 v[4:5], 0x7f80000100000000
	s_mov_b32 s11, exec_lo
	s_delay_alu instid0(VALU_DEP_2)
	v_and_b32_e32 v2, 0x7f, v1
	scratch_store_b64 off, v[4:5], s32 offset:228 ; 8-byte Folded Spill
	s_wait_xcnt 0x0
	v_cmpx_ne_u32_e32 0x7f, v2
	s_cbranch_execz .LBB220_56
; %bb.53:                               ;   in Loop: Header=BB220_10 Depth=1
	v_dual_lshrrev_b32 v1, 3, v2 :: v_dual_bitop2_b32 v76, 7, v1 bitop3:0x40
	s_mov_b32 s16, exec_lo
	v_cmpx_gt_u32_e32 8, v2
; %bb.54:                               ;   in Loop: Header=BB220_10 Depth=1
	s_delay_alu instid0(VALU_DEP_2) | instskip(NEXT) | instid1(VALU_DEP_1)
	v_clz_i32_u32_e32 v1, v76
	v_min_u32_e32 v1, 32, v1
	s_delay_alu instid0(VALU_DEP_1) | instskip(NEXT) | instid1(VALU_DEP_1)
	v_subrev_nc_u32_e32 v2, 28, v1
	v_lshlrev_b64_e32 v[2:3], v2, v[76:77]
	s_delay_alu instid0(VALU_DEP_1)
	v_dual_sub_nc_u32 v1, 29, v1 :: v_dual_bitop2_b32 v76, 7, v2 bitop3:0x40
; %bb.55:                               ;   in Loop: Header=BB220_10 Depth=1
	s_or_b32 exec_lo, exec_lo, s16
	v_lshlrev_b32_e32 v2, 16, v0
	s_delay_alu instid0(VALU_DEP_2) | instskip(NEXT) | instid1(VALU_DEP_3)
	v_lshlrev_b32_e32 v3, 20, v76
	v_lshl_add_u32 v1, v1, 23, 0x3c000000
	s_delay_alu instid0(VALU_DEP_3) | instskip(NEXT) | instid1(VALU_DEP_1)
	v_and_b32_e32 v2, 0x80000000, v2
	v_or3_b32 v3, v3, v2, v1
	v_mov_b32_e32 v2, v77
	scratch_store_b64 off, v[2:3], s32 offset:228 ; 8-byte Folded Spill
.LBB220_56:                             ;   in Loop: Header=BB220_10 Depth=1
	s_wait_xcnt 0x0
	s_or_b32 exec_lo, exec_lo, s11
.LBB220_57:                             ;   in Loop: Header=BB220_10 Depth=1
	s_delay_alu instid0(SALU_CYCLE_1)
	s_or_b32 exec_lo, exec_lo, s9
.LBB220_58:                             ;   in Loop: Header=BB220_10 Depth=1
	s_delay_alu instid0(SALU_CYCLE_1) | instskip(SKIP_3) | instid1(VALU_DEP_1)
	s_or_b32 exec_lo, exec_lo, s8
	v_mov_b64_e32 v[4:5], 0
	v_lshrrev_b32_e32 v1, 16, v0
	s_mov_b32 s8, exec_lo
	v_and_b32_e32 v2, 0xff, v1
	scratch_store_b64 off, v[4:5], s32 offset:244 ; 8-byte Folded Spill
	s_wait_xcnt 0x0
	v_mov_b64_e32 v[4:5], 0
	scratch_store_b64 off, v[4:5], s32 offset:252 ; 8-byte Folded Spill
	s_wait_xcnt 0x0
	v_cmpx_ne_u16_e32 0, v2
	s_cbranch_execz .LBB220_66
; %bb.59:                               ;   in Loop: Header=BB220_10 Depth=1
	v_cmp_ne_u16_e64 s1, 0x80, v2
	v_mov_b64_e32 v[2:3], 0x80000000
	scratch_store_b64 off, v[2:3], s32 offset:252 ; 8-byte Folded Spill
	s_wait_xcnt 0x0
	s_and_saveexec_b32 s9, s1
	s_cbranch_execz .LBB220_65
; %bb.60:                               ;   in Loop: Header=BB220_10 Depth=1
	v_mov_b64_e32 v[4:5], 0x7f800001
	v_bfe_u32 v3, v0, 16, 7
	s_mov_b32 s11, exec_lo
	scratch_store_b64 off, v[4:5], s32 offset:252 ; 8-byte Folded Spill
	s_wait_xcnt 0x0
	v_cmpx_ne_u32_e32 0x7f, v3
	s_cbranch_execz .LBB220_64
; %bb.61:                               ;   in Loop: Header=BB220_10 Depth=1
	v_dual_lshrrev_b32 v2, 3, v3 :: v_dual_bitop2_b32 v76, 7, v1 bitop3:0x40
	s_mov_b32 s16, exec_lo
	v_cmpx_gt_u32_e32 8, v3
; %bb.62:                               ;   in Loop: Header=BB220_10 Depth=1
	s_delay_alu instid0(VALU_DEP_2) | instskip(NEXT) | instid1(VALU_DEP_1)
	v_clz_i32_u32_e32 v2, v76
	v_min_u32_e32 v2, 32, v2
	s_delay_alu instid0(VALU_DEP_1) | instskip(NEXT) | instid1(VALU_DEP_1)
	v_subrev_nc_u32_e32 v3, 28, v2
	v_lshlrev_b64_e32 v[4:5], v3, v[76:77]
	s_delay_alu instid0(VALU_DEP_1)
	v_dual_sub_nc_u32 v2, 29, v2 :: v_dual_bitop2_b32 v76, 7, v4 bitop3:0x40
; %bb.63:                               ;   in Loop: Header=BB220_10 Depth=1
	s_or_b32 exec_lo, exec_lo, s16
	s_delay_alu instid0(VALU_DEP_1) | instskip(NEXT) | instid1(VALU_DEP_2)
	v_dual_lshlrev_b32 v1, 24, v1 :: v_dual_lshlrev_b32 v3, 20, v76
	v_lshl_add_u32 v2, v2, 23, 0x3c000000
	s_delay_alu instid0(VALU_DEP_2) | instskip(NEXT) | instid1(VALU_DEP_1)
	v_and_b32_e32 v1, 0x80000000, v1
	v_or3_b32 v76, v3, v1, v2
	scratch_store_b64 off, v[76:77], s32 offset:252 ; 8-byte Folded Spill
.LBB220_64:                             ;   in Loop: Header=BB220_10 Depth=1
	s_wait_xcnt 0x0
	s_or_b32 exec_lo, exec_lo, s11
.LBB220_65:                             ;   in Loop: Header=BB220_10 Depth=1
	s_delay_alu instid0(SALU_CYCLE_1)
	s_or_b32 exec_lo, exec_lo, s9
.LBB220_66:                             ;   in Loop: Header=BB220_10 Depth=1
	s_delay_alu instid0(SALU_CYCLE_1) | instskip(NEXT) | instid1(SALU_CYCLE_1)
	s_or_b32 exec_lo, exec_lo, s8
	s_mov_b32 s8, exec_lo
	v_cmpx_lt_u32_e32 0xffffff, v0
	s_cbranch_execz .LBB220_74
; %bb.67:                               ;   in Loop: Header=BB220_10 Depth=1
	v_mov_b64_e32 v[2:3], 0x8000000000000000
	v_lshrrev_b32_e32 v1, 24, v0
	s_mov_b32 s9, exec_lo
	scratch_store_b64 off, v[2:3], s32 offset:244 ; 8-byte Folded Spill
	s_wait_xcnt 0x0
	v_cmpx_ne_u32_e32 0x80, v1
	s_cbranch_execz .LBB220_73
; %bb.68:                               ;   in Loop: Header=BB220_10 Depth=1
	v_mov_b64_e32 v[4:5], 0x7f80000100000000
	v_bfe_u32 v2, v0, 24, 7
	s_mov_b32 s11, exec_lo
	scratch_store_b64 off, v[4:5], s32 offset:244 ; 8-byte Folded Spill
	s_wait_xcnt 0x0
	v_cmpx_ne_u32_e32 0x7f, v2
	s_cbranch_execz .LBB220_72
; %bb.69:                               ;   in Loop: Header=BB220_10 Depth=1
	v_dual_lshrrev_b32 v0, 3, v2 :: v_dual_bitop2_b32 v76, 7, v1 bitop3:0x40
	s_mov_b32 s16, exec_lo
	v_cmpx_gt_u32_e32 8, v2
; %bb.70:                               ;   in Loop: Header=BB220_10 Depth=1
	s_delay_alu instid0(VALU_DEP_2) | instskip(NEXT) | instid1(VALU_DEP_1)
	v_clz_i32_u32_e32 v0, v76
	v_min_u32_e32 v0, 32, v0
	s_delay_alu instid0(VALU_DEP_1) | instskip(NEXT) | instid1(VALU_DEP_1)
	v_subrev_nc_u32_e32 v2, 28, v0
	v_lshlrev_b64_e32 v[2:3], v2, v[76:77]
	s_delay_alu instid0(VALU_DEP_1)
	v_dual_sub_nc_u32 v0, 29, v0 :: v_dual_bitop2_b32 v76, 7, v2 bitop3:0x40
; %bb.71:                               ;   in Loop: Header=BB220_10 Depth=1
	s_or_b32 exec_lo, exec_lo, s16
	s_delay_alu instid0(VALU_DEP_1) | instskip(NEXT) | instid1(VALU_DEP_2)
	v_dual_lshlrev_b32 v1, 24, v1 :: v_dual_lshlrev_b32 v2, 20, v76
	v_lshl_add_u32 v0, v0, 23, 0x3c000000
	s_delay_alu instid0(VALU_DEP_2) | instskip(NEXT) | instid1(VALU_DEP_1)
	v_and_b32_e32 v1, 0x80000000, v1
	v_or3_b32 v1, v2, v1, v0
	v_mov_b32_e32 v0, v77
	scratch_store_b64 off, v[0:1], s32 offset:244 ; 8-byte Folded Spill
.LBB220_72:                             ;   in Loop: Header=BB220_10 Depth=1
	s_wait_xcnt 0x0
	s_or_b32 exec_lo, exec_lo, s11
.LBB220_73:                             ;   in Loop: Header=BB220_10 Depth=1
	s_delay_alu instid0(SALU_CYCLE_1)
	s_or_b32 exec_lo, exec_lo, s9
.LBB220_74:                             ;   in Loop: Header=BB220_10 Depth=1
	s_delay_alu instid0(SALU_CYCLE_1)
	s_or_b32 exec_lo, exec_lo, s8
	flat_load_b32 v0, v[110:111] offset:8
	v_mov_b64_e32 v[2:3], 0
	s_mov_b32 s8, exec_lo
	scratch_store_b64 off, v[2:3], s32 offset:260 ; 8-byte Folded Spill
	s_wait_xcnt 0x0
	v_mov_b64_e32 v[2:3], 0
	scratch_store_b64 off, v[2:3], s32 offset:268 ; 8-byte Folded Spill
	s_wait_loadcnt_dscnt 0x0
	v_and_b32_e32 v1, 0xff, v0
	s_wait_xcnt 0x0
	s_delay_alu instid0(VALU_DEP_1)
	v_cmpx_ne_u16_e32 0, v1
	s_cbranch_execz .LBB220_82
; %bb.75:                               ;   in Loop: Header=BB220_10 Depth=1
	v_mov_b64_e32 v[2:3], 0x80000000
	s_mov_b32 s9, exec_lo
	scratch_store_b64 off, v[2:3], s32 offset:268 ; 8-byte Folded Spill
	s_wait_xcnt 0x0
	v_cmpx_ne_u16_e32 0x80, v1
	s_cbranch_execz .LBB220_81
; %bb.76:                               ;   in Loop: Header=BB220_10 Depth=1
	v_mov_b64_e32 v[4:5], 0x7f800001
	v_and_b32_e32 v2, 0x7f, v0
	s_mov_b32 s11, exec_lo
	scratch_store_b64 off, v[4:5], s32 offset:268 ; 8-byte Folded Spill
	s_wait_xcnt 0x0
	v_cmpx_ne_u32_e32 0x7f, v2
	s_cbranch_execz .LBB220_80
; %bb.77:                               ;   in Loop: Header=BB220_10 Depth=1
	v_dual_lshrrev_b32 v1, 3, v2 :: v_dual_bitop2_b32 v76, 7, v0 bitop3:0x40
	s_mov_b32 s16, exec_lo
	v_cmpx_gt_u32_e32 8, v2
; %bb.78:                               ;   in Loop: Header=BB220_10 Depth=1
	s_delay_alu instid0(VALU_DEP_2) | instskip(NEXT) | instid1(VALU_DEP_1)
	v_clz_i32_u32_e32 v1, v76
	v_min_u32_e32 v1, 32, v1
	s_delay_alu instid0(VALU_DEP_1) | instskip(NEXT) | instid1(VALU_DEP_1)
	v_subrev_nc_u32_e32 v2, 28, v1
	v_lshlrev_b64_e32 v[2:3], v2, v[76:77]
	s_delay_alu instid0(VALU_DEP_1)
	v_dual_sub_nc_u32 v1, 29, v1 :: v_dual_bitop2_b32 v76, 7, v2 bitop3:0x40
; %bb.79:                               ;   in Loop: Header=BB220_10 Depth=1
	s_or_b32 exec_lo, exec_lo, s16
	v_lshlrev_b32_e32 v2, 24, v0
	s_delay_alu instid0(VALU_DEP_2) | instskip(NEXT) | instid1(VALU_DEP_3)
	v_lshlrev_b32_e32 v3, 20, v76
	v_lshl_add_u32 v1, v1, 23, 0x3c000000
	s_delay_alu instid0(VALU_DEP_3) | instskip(NEXT) | instid1(VALU_DEP_1)
	v_and_b32_e32 v2, 0x80000000, v2
	v_or3_b32 v76, v3, v2, v1
	scratch_store_b64 off, v[76:77], s32 offset:268 ; 8-byte Folded Spill
.LBB220_80:                             ;   in Loop: Header=BB220_10 Depth=1
	s_wait_xcnt 0x0
	s_or_b32 exec_lo, exec_lo, s11
.LBB220_81:                             ;   in Loop: Header=BB220_10 Depth=1
	s_delay_alu instid0(SALU_CYCLE_1)
	s_or_b32 exec_lo, exec_lo, s9
.LBB220_82:                             ;   in Loop: Header=BB220_10 Depth=1
	s_delay_alu instid0(SALU_CYCLE_1) | instskip(SKIP_2) | instid1(VALU_DEP_1)
	s_or_b32 exec_lo, exec_lo, s8
	v_lshrrev_b16 v1, 8, v0
	s_mov_b32 s8, exec_lo
	v_cmpx_ne_u16_e32 0, v1
	s_cbranch_execz .LBB220_90
; %bb.83:                               ;   in Loop: Header=BB220_10 Depth=1
	v_mov_b64_e32 v[2:3], 0x8000000000000000
	s_mov_b32 s9, exec_lo
	scratch_store_b64 off, v[2:3], s32 offset:260 ; 8-byte Folded Spill
	s_wait_xcnt 0x0
	v_cmpx_ne_u16_e32 0x80, v1
	s_cbranch_execz .LBB220_89
; %bb.84:                               ;   in Loop: Header=BB220_10 Depth=1
	v_and_b32_e32 v1, 0xffff, v1
	v_mov_b64_e32 v[4:5], 0x7f80000100000000
	s_mov_b32 s11, exec_lo
	s_delay_alu instid0(VALU_DEP_2)
	v_and_b32_e32 v2, 0x7f, v1
	scratch_store_b64 off, v[4:5], s32 offset:260 ; 8-byte Folded Spill
	s_wait_xcnt 0x0
	v_cmpx_ne_u32_e32 0x7f, v2
	s_cbranch_execz .LBB220_88
; %bb.85:                               ;   in Loop: Header=BB220_10 Depth=1
	v_dual_lshrrev_b32 v1, 3, v2 :: v_dual_bitop2_b32 v76, 7, v1 bitop3:0x40
	s_mov_b32 s16, exec_lo
	v_cmpx_gt_u32_e32 8, v2
; %bb.86:                               ;   in Loop: Header=BB220_10 Depth=1
	s_delay_alu instid0(VALU_DEP_2) | instskip(NEXT) | instid1(VALU_DEP_1)
	v_clz_i32_u32_e32 v1, v76
	v_min_u32_e32 v1, 32, v1
	s_delay_alu instid0(VALU_DEP_1) | instskip(NEXT) | instid1(VALU_DEP_1)
	v_subrev_nc_u32_e32 v2, 28, v1
	v_lshlrev_b64_e32 v[2:3], v2, v[76:77]
	s_delay_alu instid0(VALU_DEP_1)
	v_dual_sub_nc_u32 v1, 29, v1 :: v_dual_bitop2_b32 v76, 7, v2 bitop3:0x40
; %bb.87:                               ;   in Loop: Header=BB220_10 Depth=1
	s_or_b32 exec_lo, exec_lo, s16
	v_lshlrev_b32_e32 v2, 16, v0
	s_delay_alu instid0(VALU_DEP_2) | instskip(NEXT) | instid1(VALU_DEP_3)
	v_lshlrev_b32_e32 v3, 20, v76
	v_lshl_add_u32 v1, v1, 23, 0x3c000000
	s_delay_alu instid0(VALU_DEP_3) | instskip(NEXT) | instid1(VALU_DEP_1)
	v_and_b32_e32 v2, 0x80000000, v2
	v_or3_b32 v3, v3, v2, v1
	v_mov_b32_e32 v2, v77
	scratch_store_b64 off, v[2:3], s32 offset:260 ; 8-byte Folded Spill
.LBB220_88:                             ;   in Loop: Header=BB220_10 Depth=1
	s_wait_xcnt 0x0
	s_or_b32 exec_lo, exec_lo, s11
.LBB220_89:                             ;   in Loop: Header=BB220_10 Depth=1
	s_delay_alu instid0(SALU_CYCLE_1)
	s_or_b32 exec_lo, exec_lo, s9
.LBB220_90:                             ;   in Loop: Header=BB220_10 Depth=1
	s_delay_alu instid0(SALU_CYCLE_1) | instskip(SKIP_3) | instid1(VALU_DEP_1)
	s_or_b32 exec_lo, exec_lo, s8
	v_mov_b64_e32 v[4:5], 0
	v_lshrrev_b32_e32 v1, 16, v0
	s_mov_b32 s8, exec_lo
	v_and_b32_e32 v2, 0xff, v1
	scratch_store_b64 off, v[4:5], s32 offset:276 ; 8-byte Folded Spill
	s_wait_xcnt 0x0
	v_mov_b64_e32 v[4:5], 0
	scratch_store_b64 off, v[4:5], s32 offset:284 ; 8-byte Folded Spill
	s_wait_xcnt 0x0
	v_cmpx_ne_u16_e32 0, v2
	s_cbranch_execz .LBB220_98
; %bb.91:                               ;   in Loop: Header=BB220_10 Depth=1
	v_cmp_ne_u16_e64 s1, 0x80, v2
	v_mov_b64_e32 v[2:3], 0x80000000
	scratch_store_b64 off, v[2:3], s32 offset:284 ; 8-byte Folded Spill
	s_wait_xcnt 0x0
	s_and_saveexec_b32 s9, s1
	s_cbranch_execz .LBB220_97
; %bb.92:                               ;   in Loop: Header=BB220_10 Depth=1
	v_mov_b64_e32 v[4:5], 0x7f800001
	v_bfe_u32 v3, v0, 16, 7
	s_mov_b32 s11, exec_lo
	scratch_store_b64 off, v[4:5], s32 offset:284 ; 8-byte Folded Spill
	s_wait_xcnt 0x0
	v_cmpx_ne_u32_e32 0x7f, v3
	s_cbranch_execz .LBB220_96
; %bb.93:                               ;   in Loop: Header=BB220_10 Depth=1
	v_dual_lshrrev_b32 v2, 3, v3 :: v_dual_bitop2_b32 v76, 7, v1 bitop3:0x40
	s_mov_b32 s16, exec_lo
	v_cmpx_gt_u32_e32 8, v3
; %bb.94:                               ;   in Loop: Header=BB220_10 Depth=1
	s_delay_alu instid0(VALU_DEP_2) | instskip(NEXT) | instid1(VALU_DEP_1)
	v_clz_i32_u32_e32 v2, v76
	v_min_u32_e32 v2, 32, v2
	s_delay_alu instid0(VALU_DEP_1) | instskip(NEXT) | instid1(VALU_DEP_1)
	v_subrev_nc_u32_e32 v3, 28, v2
	v_lshlrev_b64_e32 v[4:5], v3, v[76:77]
	s_delay_alu instid0(VALU_DEP_1)
	v_dual_sub_nc_u32 v2, 29, v2 :: v_dual_bitop2_b32 v76, 7, v4 bitop3:0x40
; %bb.95:                               ;   in Loop: Header=BB220_10 Depth=1
	s_or_b32 exec_lo, exec_lo, s16
	s_delay_alu instid0(VALU_DEP_1) | instskip(NEXT) | instid1(VALU_DEP_2)
	v_dual_lshlrev_b32 v1, 24, v1 :: v_dual_lshlrev_b32 v3, 20, v76
	v_lshl_add_u32 v2, v2, 23, 0x3c000000
	s_delay_alu instid0(VALU_DEP_2) | instskip(NEXT) | instid1(VALU_DEP_1)
	v_and_b32_e32 v1, 0x80000000, v1
	v_or3_b32 v76, v3, v1, v2
	scratch_store_b64 off, v[76:77], s32 offset:284 ; 8-byte Folded Spill
.LBB220_96:                             ;   in Loop: Header=BB220_10 Depth=1
	s_wait_xcnt 0x0
	s_or_b32 exec_lo, exec_lo, s11
.LBB220_97:                             ;   in Loop: Header=BB220_10 Depth=1
	s_delay_alu instid0(SALU_CYCLE_1)
	s_or_b32 exec_lo, exec_lo, s9
.LBB220_98:                             ;   in Loop: Header=BB220_10 Depth=1
	s_delay_alu instid0(SALU_CYCLE_1) | instskip(NEXT) | instid1(SALU_CYCLE_1)
	s_or_b32 exec_lo, exec_lo, s8
	s_mov_b32 s8, exec_lo
	v_cmpx_lt_u32_e32 0xffffff, v0
	s_cbranch_execz .LBB220_106
; %bb.99:                               ;   in Loop: Header=BB220_10 Depth=1
	v_mov_b64_e32 v[2:3], 0x8000000000000000
	v_lshrrev_b32_e32 v1, 24, v0
	s_mov_b32 s9, exec_lo
	scratch_store_b64 off, v[2:3], s32 offset:276 ; 8-byte Folded Spill
	s_wait_xcnt 0x0
	v_cmpx_ne_u32_e32 0x80, v1
	s_cbranch_execz .LBB220_105
; %bb.100:                              ;   in Loop: Header=BB220_10 Depth=1
	v_mov_b64_e32 v[4:5], 0x7f80000100000000
	v_bfe_u32 v2, v0, 24, 7
	s_mov_b32 s11, exec_lo
	scratch_store_b64 off, v[4:5], s32 offset:276 ; 8-byte Folded Spill
	s_wait_xcnt 0x0
	v_cmpx_ne_u32_e32 0x7f, v2
	s_cbranch_execz .LBB220_104
; %bb.101:                              ;   in Loop: Header=BB220_10 Depth=1
	v_dual_lshrrev_b32 v0, 3, v2 :: v_dual_bitop2_b32 v76, 7, v1 bitop3:0x40
	s_mov_b32 s16, exec_lo
	v_cmpx_gt_u32_e32 8, v2
; %bb.102:                              ;   in Loop: Header=BB220_10 Depth=1
	s_delay_alu instid0(VALU_DEP_2) | instskip(NEXT) | instid1(VALU_DEP_1)
	v_clz_i32_u32_e32 v0, v76
	v_min_u32_e32 v0, 32, v0
	s_delay_alu instid0(VALU_DEP_1) | instskip(NEXT) | instid1(VALU_DEP_1)
	v_subrev_nc_u32_e32 v2, 28, v0
	v_lshlrev_b64_e32 v[2:3], v2, v[76:77]
	s_delay_alu instid0(VALU_DEP_1)
	v_dual_sub_nc_u32 v0, 29, v0 :: v_dual_bitop2_b32 v76, 7, v2 bitop3:0x40
; %bb.103:                              ;   in Loop: Header=BB220_10 Depth=1
	s_or_b32 exec_lo, exec_lo, s16
	s_delay_alu instid0(VALU_DEP_1) | instskip(NEXT) | instid1(VALU_DEP_2)
	v_dual_lshlrev_b32 v1, 24, v1 :: v_dual_lshlrev_b32 v2, 20, v76
	v_lshl_add_u32 v0, v0, 23, 0x3c000000
	s_delay_alu instid0(VALU_DEP_2) | instskip(NEXT) | instid1(VALU_DEP_1)
	v_and_b32_e32 v1, 0x80000000, v1
	v_or3_b32 v1, v2, v1, v0
	v_mov_b32_e32 v0, v77
	scratch_store_b64 off, v[0:1], s32 offset:276 ; 8-byte Folded Spill
.LBB220_104:                            ;   in Loop: Header=BB220_10 Depth=1
	s_wait_xcnt 0x0
	s_or_b32 exec_lo, exec_lo, s11
.LBB220_105:                            ;   in Loop: Header=BB220_10 Depth=1
	s_delay_alu instid0(SALU_CYCLE_1)
	s_or_b32 exec_lo, exec_lo, s9
.LBB220_106:                            ;   in Loop: Header=BB220_10 Depth=1
	s_delay_alu instid0(SALU_CYCLE_1)
	s_or_b32 exec_lo, exec_lo, s8
	flat_load_b32 v0, v[110:111] offset:12
	v_mov_b64_e32 v[2:3], 0
	s_mov_b32 s8, exec_lo
	scratch_store_b64 off, v[2:3], s32 offset:292 ; 8-byte Folded Spill
	s_wait_xcnt 0x0
	v_mov_b64_e32 v[2:3], 0
	scratch_store_b64 off, v[2:3], s32 offset:300 ; 8-byte Folded Spill
	s_wait_loadcnt_dscnt 0x0
	v_and_b32_e32 v1, 0xff, v0
	s_wait_xcnt 0x0
	s_delay_alu instid0(VALU_DEP_1)
	v_cmpx_ne_u16_e32 0, v1
	s_cbranch_execz .LBB220_114
; %bb.107:                              ;   in Loop: Header=BB220_10 Depth=1
	v_mov_b64_e32 v[2:3], 0x80000000
	s_mov_b32 s9, exec_lo
	scratch_store_b64 off, v[2:3], s32 offset:300 ; 8-byte Folded Spill
	s_wait_xcnt 0x0
	v_cmpx_ne_u16_e32 0x80, v1
	s_cbranch_execz .LBB220_113
; %bb.108:                              ;   in Loop: Header=BB220_10 Depth=1
	v_mov_b64_e32 v[4:5], 0x7f800001
	v_and_b32_e32 v2, 0x7f, v0
	s_mov_b32 s11, exec_lo
	scratch_store_b64 off, v[4:5], s32 offset:300 ; 8-byte Folded Spill
	s_wait_xcnt 0x0
	v_cmpx_ne_u32_e32 0x7f, v2
	s_cbranch_execz .LBB220_112
; %bb.109:                              ;   in Loop: Header=BB220_10 Depth=1
	v_dual_lshrrev_b32 v1, 3, v2 :: v_dual_bitop2_b32 v76, 7, v0 bitop3:0x40
	s_mov_b32 s16, exec_lo
	v_cmpx_gt_u32_e32 8, v2
; %bb.110:                              ;   in Loop: Header=BB220_10 Depth=1
	s_delay_alu instid0(VALU_DEP_2) | instskip(NEXT) | instid1(VALU_DEP_1)
	v_clz_i32_u32_e32 v1, v76
	v_min_u32_e32 v1, 32, v1
	s_delay_alu instid0(VALU_DEP_1) | instskip(NEXT) | instid1(VALU_DEP_1)
	v_subrev_nc_u32_e32 v2, 28, v1
	v_lshlrev_b64_e32 v[2:3], v2, v[76:77]
	s_delay_alu instid0(VALU_DEP_1)
	v_dual_sub_nc_u32 v1, 29, v1 :: v_dual_bitop2_b32 v76, 7, v2 bitop3:0x40
; %bb.111:                              ;   in Loop: Header=BB220_10 Depth=1
	s_or_b32 exec_lo, exec_lo, s16
	v_lshlrev_b32_e32 v2, 24, v0
	s_delay_alu instid0(VALU_DEP_2) | instskip(NEXT) | instid1(VALU_DEP_3)
	v_lshlrev_b32_e32 v3, 20, v76
	v_lshl_add_u32 v1, v1, 23, 0x3c000000
	s_delay_alu instid0(VALU_DEP_3) | instskip(NEXT) | instid1(VALU_DEP_1)
	v_and_b32_e32 v2, 0x80000000, v2
	v_or3_b32 v76, v3, v2, v1
	scratch_store_b64 off, v[76:77], s32 offset:300 ; 8-byte Folded Spill
.LBB220_112:                            ;   in Loop: Header=BB220_10 Depth=1
	s_wait_xcnt 0x0
	s_or_b32 exec_lo, exec_lo, s11
.LBB220_113:                            ;   in Loop: Header=BB220_10 Depth=1
	s_delay_alu instid0(SALU_CYCLE_1)
	s_or_b32 exec_lo, exec_lo, s9
.LBB220_114:                            ;   in Loop: Header=BB220_10 Depth=1
	s_delay_alu instid0(SALU_CYCLE_1) | instskip(SKIP_2) | instid1(VALU_DEP_1)
	s_or_b32 exec_lo, exec_lo, s8
	v_lshrrev_b16 v1, 8, v0
	s_mov_b32 s8, exec_lo
	v_cmpx_ne_u16_e32 0, v1
	s_cbranch_execz .LBB220_122
; %bb.115:                              ;   in Loop: Header=BB220_10 Depth=1
	v_mov_b64_e32 v[2:3], 0x8000000000000000
	s_mov_b32 s9, exec_lo
	scratch_store_b64 off, v[2:3], s32 offset:292 ; 8-byte Folded Spill
	s_wait_xcnt 0x0
	v_cmpx_ne_u16_e32 0x80, v1
	s_cbranch_execz .LBB220_121
; %bb.116:                              ;   in Loop: Header=BB220_10 Depth=1
	v_and_b32_e32 v1, 0xffff, v1
	v_mov_b64_e32 v[4:5], 0x7f80000100000000
	s_mov_b32 s11, exec_lo
	s_delay_alu instid0(VALU_DEP_2)
	v_and_b32_e32 v2, 0x7f, v1
	scratch_store_b64 off, v[4:5], s32 offset:292 ; 8-byte Folded Spill
	s_wait_xcnt 0x0
	v_cmpx_ne_u32_e32 0x7f, v2
	s_cbranch_execz .LBB220_120
; %bb.117:                              ;   in Loop: Header=BB220_10 Depth=1
	v_dual_lshrrev_b32 v1, 3, v2 :: v_dual_bitop2_b32 v76, 7, v1 bitop3:0x40
	s_mov_b32 s16, exec_lo
	v_cmpx_gt_u32_e32 8, v2
; %bb.118:                              ;   in Loop: Header=BB220_10 Depth=1
	s_delay_alu instid0(VALU_DEP_2) | instskip(NEXT) | instid1(VALU_DEP_1)
	v_clz_i32_u32_e32 v1, v76
	v_min_u32_e32 v1, 32, v1
	s_delay_alu instid0(VALU_DEP_1) | instskip(NEXT) | instid1(VALU_DEP_1)
	v_subrev_nc_u32_e32 v2, 28, v1
	v_lshlrev_b64_e32 v[2:3], v2, v[76:77]
	s_delay_alu instid0(VALU_DEP_1)
	v_dual_sub_nc_u32 v1, 29, v1 :: v_dual_bitop2_b32 v76, 7, v2 bitop3:0x40
; %bb.119:                              ;   in Loop: Header=BB220_10 Depth=1
	s_or_b32 exec_lo, exec_lo, s16
	v_lshlrev_b32_e32 v2, 16, v0
	s_delay_alu instid0(VALU_DEP_2) | instskip(NEXT) | instid1(VALU_DEP_3)
	v_lshlrev_b32_e32 v3, 20, v76
	v_lshl_add_u32 v1, v1, 23, 0x3c000000
	s_delay_alu instid0(VALU_DEP_3) | instskip(NEXT) | instid1(VALU_DEP_1)
	v_and_b32_e32 v2, 0x80000000, v2
	v_or3_b32 v3, v3, v2, v1
	v_mov_b32_e32 v2, v77
	scratch_store_b64 off, v[2:3], s32 offset:292 ; 8-byte Folded Spill
.LBB220_120:                            ;   in Loop: Header=BB220_10 Depth=1
	s_wait_xcnt 0x0
	s_or_b32 exec_lo, exec_lo, s11
.LBB220_121:                            ;   in Loop: Header=BB220_10 Depth=1
	s_delay_alu instid0(SALU_CYCLE_1)
	s_or_b32 exec_lo, exec_lo, s9
.LBB220_122:                            ;   in Loop: Header=BB220_10 Depth=1
	s_delay_alu instid0(SALU_CYCLE_1) | instskip(SKIP_3) | instid1(VALU_DEP_1)
	s_or_b32 exec_lo, exec_lo, s8
	v_mov_b64_e32 v[4:5], 0
	v_lshrrev_b32_e32 v1, 16, v0
	s_mov_b32 s8, exec_lo
	v_and_b32_e32 v2, 0xff, v1
	scratch_store_b64 off, v[4:5], s32 offset:308 ; 8-byte Folded Spill
	s_wait_xcnt 0x0
	v_mov_b64_e32 v[4:5], 0
	scratch_store_b64 off, v[4:5], s32 offset:316 ; 8-byte Folded Spill
	s_wait_xcnt 0x0
	v_cmpx_ne_u16_e32 0, v2
	s_cbranch_execz .LBB220_130
; %bb.123:                              ;   in Loop: Header=BB220_10 Depth=1
	v_cmp_ne_u16_e64 s1, 0x80, v2
	v_mov_b64_e32 v[2:3], 0x80000000
	scratch_store_b64 off, v[2:3], s32 offset:316 ; 8-byte Folded Spill
	s_wait_xcnt 0x0
	s_and_saveexec_b32 s9, s1
	s_cbranch_execz .LBB220_129
; %bb.124:                              ;   in Loop: Header=BB220_10 Depth=1
	v_mov_b64_e32 v[4:5], 0x7f800001
	v_bfe_u32 v3, v0, 16, 7
	s_mov_b32 s11, exec_lo
	scratch_store_b64 off, v[4:5], s32 offset:316 ; 8-byte Folded Spill
	s_wait_xcnt 0x0
	v_cmpx_ne_u32_e32 0x7f, v3
	s_cbranch_execz .LBB220_128
; %bb.125:                              ;   in Loop: Header=BB220_10 Depth=1
	v_dual_lshrrev_b32 v2, 3, v3 :: v_dual_bitop2_b32 v76, 7, v1 bitop3:0x40
	s_mov_b32 s16, exec_lo
	v_cmpx_gt_u32_e32 8, v3
; %bb.126:                              ;   in Loop: Header=BB220_10 Depth=1
	s_delay_alu instid0(VALU_DEP_2) | instskip(NEXT) | instid1(VALU_DEP_1)
	v_clz_i32_u32_e32 v2, v76
	v_min_u32_e32 v2, 32, v2
	s_delay_alu instid0(VALU_DEP_1) | instskip(NEXT) | instid1(VALU_DEP_1)
	v_subrev_nc_u32_e32 v3, 28, v2
	v_lshlrev_b64_e32 v[4:5], v3, v[76:77]
	s_delay_alu instid0(VALU_DEP_1)
	v_dual_sub_nc_u32 v2, 29, v2 :: v_dual_bitop2_b32 v76, 7, v4 bitop3:0x40
; %bb.127:                              ;   in Loop: Header=BB220_10 Depth=1
	s_or_b32 exec_lo, exec_lo, s16
	s_delay_alu instid0(VALU_DEP_1) | instskip(NEXT) | instid1(VALU_DEP_2)
	v_dual_lshlrev_b32 v1, 24, v1 :: v_dual_lshlrev_b32 v3, 20, v76
	v_lshl_add_u32 v2, v2, 23, 0x3c000000
	s_delay_alu instid0(VALU_DEP_2) | instskip(NEXT) | instid1(VALU_DEP_1)
	v_and_b32_e32 v1, 0x80000000, v1
	v_or3_b32 v76, v3, v1, v2
	scratch_store_b64 off, v[76:77], s32 offset:316 ; 8-byte Folded Spill
.LBB220_128:                            ;   in Loop: Header=BB220_10 Depth=1
	s_wait_xcnt 0x0
	s_or_b32 exec_lo, exec_lo, s11
.LBB220_129:                            ;   in Loop: Header=BB220_10 Depth=1
	s_delay_alu instid0(SALU_CYCLE_1)
	s_or_b32 exec_lo, exec_lo, s9
.LBB220_130:                            ;   in Loop: Header=BB220_10 Depth=1
	s_delay_alu instid0(SALU_CYCLE_1) | instskip(NEXT) | instid1(SALU_CYCLE_1)
	s_or_b32 exec_lo, exec_lo, s8
	s_mov_b32 s8, exec_lo
	v_cmpx_lt_u32_e32 0xffffff, v0
	s_cbranch_execz .LBB220_138
; %bb.131:                              ;   in Loop: Header=BB220_10 Depth=1
	v_mov_b64_e32 v[2:3], 0x8000000000000000
	v_lshrrev_b32_e32 v1, 24, v0
	s_mov_b32 s9, exec_lo
	scratch_store_b64 off, v[2:3], s32 offset:308 ; 8-byte Folded Spill
	s_wait_xcnt 0x0
	v_cmpx_ne_u32_e32 0x80, v1
	s_cbranch_execz .LBB220_137
; %bb.132:                              ;   in Loop: Header=BB220_10 Depth=1
	v_mov_b64_e32 v[4:5], 0x7f80000100000000
	v_bfe_u32 v2, v0, 24, 7
	s_mov_b32 s11, exec_lo
	scratch_store_b64 off, v[4:5], s32 offset:308 ; 8-byte Folded Spill
	s_wait_xcnt 0x0
	v_cmpx_ne_u32_e32 0x7f, v2
	s_cbranch_execz .LBB220_136
; %bb.133:                              ;   in Loop: Header=BB220_10 Depth=1
	v_dual_lshrrev_b32 v0, 3, v2 :: v_dual_bitop2_b32 v76, 7, v1 bitop3:0x40
	s_mov_b32 s16, exec_lo
	v_cmpx_gt_u32_e32 8, v2
; %bb.134:                              ;   in Loop: Header=BB220_10 Depth=1
	s_delay_alu instid0(VALU_DEP_2) | instskip(NEXT) | instid1(VALU_DEP_1)
	v_clz_i32_u32_e32 v0, v76
	v_min_u32_e32 v0, 32, v0
	s_delay_alu instid0(VALU_DEP_1) | instskip(NEXT) | instid1(VALU_DEP_1)
	v_subrev_nc_u32_e32 v2, 28, v0
	v_lshlrev_b64_e32 v[2:3], v2, v[76:77]
	s_delay_alu instid0(VALU_DEP_1)
	v_dual_sub_nc_u32 v0, 29, v0 :: v_dual_bitop2_b32 v76, 7, v2 bitop3:0x40
; %bb.135:                              ;   in Loop: Header=BB220_10 Depth=1
	s_or_b32 exec_lo, exec_lo, s16
	s_delay_alu instid0(VALU_DEP_1) | instskip(NEXT) | instid1(VALU_DEP_2)
	v_dual_lshlrev_b32 v1, 24, v1 :: v_dual_lshlrev_b32 v2, 20, v76
	v_lshl_add_u32 v0, v0, 23, 0x3c000000
	s_delay_alu instid0(VALU_DEP_2) | instskip(NEXT) | instid1(VALU_DEP_1)
	v_and_b32_e32 v1, 0x80000000, v1
	v_or3_b32 v1, v2, v1, v0
	v_mov_b32_e32 v0, v77
	scratch_store_b64 off, v[0:1], s32 offset:308 ; 8-byte Folded Spill
.LBB220_136:                            ;   in Loop: Header=BB220_10 Depth=1
	s_wait_xcnt 0x0
	s_or_b32 exec_lo, exec_lo, s11
.LBB220_137:                            ;   in Loop: Header=BB220_10 Depth=1
	s_delay_alu instid0(SALU_CYCLE_1)
	s_or_b32 exec_lo, exec_lo, s9
.LBB220_138:                            ;   in Loop: Header=BB220_10 Depth=1
	s_delay_alu instid0(SALU_CYCLE_1)
	s_or_b32 exec_lo, exec_lo, s8
	flat_load_b32 v0, v[110:111] offset:512
	v_mov_b64_e32 v[2:3], 0
	s_mov_b32 s8, exec_lo
	scratch_store_b64 off, v[2:3], s32 offset:324 ; 8-byte Folded Spill
	s_wait_xcnt 0x0
	v_mov_b64_e32 v[2:3], 0
	scratch_store_b64 off, v[2:3], s32 offset:332 ; 8-byte Folded Spill
	s_wait_loadcnt_dscnt 0x0
	v_and_b32_e32 v1, 0xff, v0
	s_wait_xcnt 0x0
	s_delay_alu instid0(VALU_DEP_1)
	v_cmpx_ne_u16_e32 0, v1
	s_cbranch_execz .LBB220_146
; %bb.139:                              ;   in Loop: Header=BB220_10 Depth=1
	v_mov_b64_e32 v[2:3], 0x80000000
	s_mov_b32 s9, exec_lo
	scratch_store_b64 off, v[2:3], s32 offset:332 ; 8-byte Folded Spill
	s_wait_xcnt 0x0
	v_cmpx_ne_u16_e32 0x80, v1
	s_cbranch_execz .LBB220_145
; %bb.140:                              ;   in Loop: Header=BB220_10 Depth=1
	v_mov_b64_e32 v[4:5], 0x7f800001
	v_and_b32_e32 v2, 0x7f, v0
	s_mov_b32 s11, exec_lo
	scratch_store_b64 off, v[4:5], s32 offset:332 ; 8-byte Folded Spill
	s_wait_xcnt 0x0
	v_cmpx_ne_u32_e32 0x7f, v2
	s_cbranch_execz .LBB220_144
; %bb.141:                              ;   in Loop: Header=BB220_10 Depth=1
	v_dual_lshrrev_b32 v1, 3, v2 :: v_dual_bitop2_b32 v76, 7, v0 bitop3:0x40
	s_mov_b32 s16, exec_lo
	v_cmpx_gt_u32_e32 8, v2
; %bb.142:                              ;   in Loop: Header=BB220_10 Depth=1
	s_delay_alu instid0(VALU_DEP_2) | instskip(NEXT) | instid1(VALU_DEP_1)
	v_clz_i32_u32_e32 v1, v76
	v_min_u32_e32 v1, 32, v1
	s_delay_alu instid0(VALU_DEP_1) | instskip(NEXT) | instid1(VALU_DEP_1)
	v_subrev_nc_u32_e32 v2, 28, v1
	v_lshlrev_b64_e32 v[2:3], v2, v[76:77]
	s_delay_alu instid0(VALU_DEP_1)
	v_dual_sub_nc_u32 v1, 29, v1 :: v_dual_bitop2_b32 v76, 7, v2 bitop3:0x40
; %bb.143:                              ;   in Loop: Header=BB220_10 Depth=1
	s_or_b32 exec_lo, exec_lo, s16
	v_lshlrev_b32_e32 v2, 24, v0
	s_delay_alu instid0(VALU_DEP_2) | instskip(NEXT) | instid1(VALU_DEP_3)
	v_lshlrev_b32_e32 v3, 20, v76
	v_lshl_add_u32 v1, v1, 23, 0x3c000000
	s_delay_alu instid0(VALU_DEP_3) | instskip(NEXT) | instid1(VALU_DEP_1)
	v_and_b32_e32 v2, 0x80000000, v2
	v_or3_b32 v76, v3, v2, v1
	scratch_store_b64 off, v[76:77], s32 offset:332 ; 8-byte Folded Spill
.LBB220_144:                            ;   in Loop: Header=BB220_10 Depth=1
	s_wait_xcnt 0x0
	s_or_b32 exec_lo, exec_lo, s11
.LBB220_145:                            ;   in Loop: Header=BB220_10 Depth=1
	s_delay_alu instid0(SALU_CYCLE_1)
	s_or_b32 exec_lo, exec_lo, s9
.LBB220_146:                            ;   in Loop: Header=BB220_10 Depth=1
	s_delay_alu instid0(SALU_CYCLE_1) | instskip(SKIP_2) | instid1(VALU_DEP_1)
	s_or_b32 exec_lo, exec_lo, s8
	v_lshrrev_b16 v1, 8, v0
	s_mov_b32 s8, exec_lo
	v_cmpx_ne_u16_e32 0, v1
	s_cbranch_execz .LBB220_154
; %bb.147:                              ;   in Loop: Header=BB220_10 Depth=1
	v_mov_b64_e32 v[2:3], 0x8000000000000000
	s_mov_b32 s9, exec_lo
	scratch_store_b64 off, v[2:3], s32 offset:324 ; 8-byte Folded Spill
	s_wait_xcnt 0x0
	v_cmpx_ne_u16_e32 0x80, v1
	s_cbranch_execz .LBB220_153
; %bb.148:                              ;   in Loop: Header=BB220_10 Depth=1
	v_and_b32_e32 v1, 0xffff, v1
	v_mov_b64_e32 v[4:5], 0x7f80000100000000
	s_mov_b32 s11, exec_lo
	s_delay_alu instid0(VALU_DEP_2)
	v_and_b32_e32 v2, 0x7f, v1
	scratch_store_b64 off, v[4:5], s32 offset:324 ; 8-byte Folded Spill
	s_wait_xcnt 0x0
	v_cmpx_ne_u32_e32 0x7f, v2
	s_cbranch_execz .LBB220_152
; %bb.149:                              ;   in Loop: Header=BB220_10 Depth=1
	v_dual_lshrrev_b32 v1, 3, v2 :: v_dual_bitop2_b32 v76, 7, v1 bitop3:0x40
	s_mov_b32 s16, exec_lo
	v_cmpx_gt_u32_e32 8, v2
; %bb.150:                              ;   in Loop: Header=BB220_10 Depth=1
	s_delay_alu instid0(VALU_DEP_2) | instskip(NEXT) | instid1(VALU_DEP_1)
	v_clz_i32_u32_e32 v1, v76
	v_min_u32_e32 v1, 32, v1
	s_delay_alu instid0(VALU_DEP_1) | instskip(NEXT) | instid1(VALU_DEP_1)
	v_subrev_nc_u32_e32 v2, 28, v1
	v_lshlrev_b64_e32 v[2:3], v2, v[76:77]
	s_delay_alu instid0(VALU_DEP_1)
	v_dual_sub_nc_u32 v1, 29, v1 :: v_dual_bitop2_b32 v76, 7, v2 bitop3:0x40
; %bb.151:                              ;   in Loop: Header=BB220_10 Depth=1
	s_or_b32 exec_lo, exec_lo, s16
	v_lshlrev_b32_e32 v2, 16, v0
	s_delay_alu instid0(VALU_DEP_2) | instskip(NEXT) | instid1(VALU_DEP_3)
	v_lshlrev_b32_e32 v3, 20, v76
	v_lshl_add_u32 v1, v1, 23, 0x3c000000
	s_delay_alu instid0(VALU_DEP_3) | instskip(NEXT) | instid1(VALU_DEP_1)
	v_and_b32_e32 v2, 0x80000000, v2
	v_or3_b32 v3, v3, v2, v1
	v_mov_b32_e32 v2, v77
	scratch_store_b64 off, v[2:3], s32 offset:324 ; 8-byte Folded Spill
.LBB220_152:                            ;   in Loop: Header=BB220_10 Depth=1
	s_wait_xcnt 0x0
	s_or_b32 exec_lo, exec_lo, s11
.LBB220_153:                            ;   in Loop: Header=BB220_10 Depth=1
	s_delay_alu instid0(SALU_CYCLE_1)
	s_or_b32 exec_lo, exec_lo, s9
.LBB220_154:                            ;   in Loop: Header=BB220_10 Depth=1
	s_delay_alu instid0(SALU_CYCLE_1) | instskip(SKIP_3) | instid1(VALU_DEP_1)
	s_or_b32 exec_lo, exec_lo, s8
	v_mov_b64_e32 v[4:5], 0
	v_lshrrev_b32_e32 v1, 16, v0
	s_mov_b32 s8, exec_lo
	v_and_b32_e32 v2, 0xff, v1
	scratch_store_b64 off, v[4:5], s32 offset:340 ; 8-byte Folded Spill
	s_wait_xcnt 0x0
	v_mov_b64_e32 v[4:5], 0
	scratch_store_b64 off, v[4:5], s32 offset:348 ; 8-byte Folded Spill
	s_wait_xcnt 0x0
	v_cmpx_ne_u16_e32 0, v2
	s_cbranch_execz .LBB220_162
; %bb.155:                              ;   in Loop: Header=BB220_10 Depth=1
	v_cmp_ne_u16_e64 s1, 0x80, v2
	v_mov_b64_e32 v[2:3], 0x80000000
	scratch_store_b64 off, v[2:3], s32 offset:348 ; 8-byte Folded Spill
	s_wait_xcnt 0x0
	s_and_saveexec_b32 s9, s1
	s_cbranch_execz .LBB220_161
; %bb.156:                              ;   in Loop: Header=BB220_10 Depth=1
	v_mov_b64_e32 v[4:5], 0x7f800001
	v_bfe_u32 v3, v0, 16, 7
	s_mov_b32 s11, exec_lo
	scratch_store_b64 off, v[4:5], s32 offset:348 ; 8-byte Folded Spill
	s_wait_xcnt 0x0
	v_cmpx_ne_u32_e32 0x7f, v3
	s_cbranch_execz .LBB220_160
; %bb.157:                              ;   in Loop: Header=BB220_10 Depth=1
	v_dual_lshrrev_b32 v2, 3, v3 :: v_dual_bitop2_b32 v76, 7, v1 bitop3:0x40
	s_mov_b32 s16, exec_lo
	v_cmpx_gt_u32_e32 8, v3
; %bb.158:                              ;   in Loop: Header=BB220_10 Depth=1
	s_delay_alu instid0(VALU_DEP_2) | instskip(NEXT) | instid1(VALU_DEP_1)
	v_clz_i32_u32_e32 v2, v76
	v_min_u32_e32 v2, 32, v2
	s_delay_alu instid0(VALU_DEP_1) | instskip(NEXT) | instid1(VALU_DEP_1)
	v_subrev_nc_u32_e32 v3, 28, v2
	v_lshlrev_b64_e32 v[4:5], v3, v[76:77]
	s_delay_alu instid0(VALU_DEP_1)
	v_dual_sub_nc_u32 v2, 29, v2 :: v_dual_bitop2_b32 v76, 7, v4 bitop3:0x40
; %bb.159:                              ;   in Loop: Header=BB220_10 Depth=1
	s_or_b32 exec_lo, exec_lo, s16
	s_delay_alu instid0(VALU_DEP_1) | instskip(NEXT) | instid1(VALU_DEP_2)
	v_dual_lshlrev_b32 v1, 24, v1 :: v_dual_lshlrev_b32 v3, 20, v76
	v_lshl_add_u32 v2, v2, 23, 0x3c000000
	s_delay_alu instid0(VALU_DEP_2) | instskip(NEXT) | instid1(VALU_DEP_1)
	v_and_b32_e32 v1, 0x80000000, v1
	v_or3_b32 v76, v3, v1, v2
	scratch_store_b64 off, v[76:77], s32 offset:348 ; 8-byte Folded Spill
.LBB220_160:                            ;   in Loop: Header=BB220_10 Depth=1
	s_wait_xcnt 0x0
	s_or_b32 exec_lo, exec_lo, s11
.LBB220_161:                            ;   in Loop: Header=BB220_10 Depth=1
	s_delay_alu instid0(SALU_CYCLE_1)
	s_or_b32 exec_lo, exec_lo, s9
.LBB220_162:                            ;   in Loop: Header=BB220_10 Depth=1
	s_delay_alu instid0(SALU_CYCLE_1) | instskip(NEXT) | instid1(SALU_CYCLE_1)
	s_or_b32 exec_lo, exec_lo, s8
	s_mov_b32 s8, exec_lo
	v_cmpx_lt_u32_e32 0xffffff, v0
	s_cbranch_execz .LBB220_170
; %bb.163:                              ;   in Loop: Header=BB220_10 Depth=1
	v_mov_b64_e32 v[2:3], 0x8000000000000000
	v_lshrrev_b32_e32 v1, 24, v0
	s_mov_b32 s9, exec_lo
	scratch_store_b64 off, v[2:3], s32 offset:340 ; 8-byte Folded Spill
	s_wait_xcnt 0x0
	v_cmpx_ne_u32_e32 0x80, v1
	s_cbranch_execz .LBB220_169
; %bb.164:                              ;   in Loop: Header=BB220_10 Depth=1
	v_mov_b64_e32 v[4:5], 0x7f80000100000000
	v_bfe_u32 v2, v0, 24, 7
	s_mov_b32 s11, exec_lo
	scratch_store_b64 off, v[4:5], s32 offset:340 ; 8-byte Folded Spill
	s_wait_xcnt 0x0
	v_cmpx_ne_u32_e32 0x7f, v2
	s_cbranch_execz .LBB220_168
; %bb.165:                              ;   in Loop: Header=BB220_10 Depth=1
	v_dual_lshrrev_b32 v0, 3, v2 :: v_dual_bitop2_b32 v76, 7, v1 bitop3:0x40
	s_mov_b32 s16, exec_lo
	v_cmpx_gt_u32_e32 8, v2
; %bb.166:                              ;   in Loop: Header=BB220_10 Depth=1
	s_delay_alu instid0(VALU_DEP_2) | instskip(NEXT) | instid1(VALU_DEP_1)
	v_clz_i32_u32_e32 v0, v76
	v_min_u32_e32 v0, 32, v0
	s_delay_alu instid0(VALU_DEP_1) | instskip(NEXT) | instid1(VALU_DEP_1)
	v_subrev_nc_u32_e32 v2, 28, v0
	v_lshlrev_b64_e32 v[2:3], v2, v[76:77]
	s_delay_alu instid0(VALU_DEP_1)
	v_dual_sub_nc_u32 v0, 29, v0 :: v_dual_bitop2_b32 v76, 7, v2 bitop3:0x40
; %bb.167:                              ;   in Loop: Header=BB220_10 Depth=1
	s_or_b32 exec_lo, exec_lo, s16
	s_delay_alu instid0(VALU_DEP_1) | instskip(NEXT) | instid1(VALU_DEP_2)
	v_dual_lshlrev_b32 v1, 24, v1 :: v_dual_lshlrev_b32 v2, 20, v76
	v_lshl_add_u32 v0, v0, 23, 0x3c000000
	s_delay_alu instid0(VALU_DEP_2) | instskip(NEXT) | instid1(VALU_DEP_1)
	v_and_b32_e32 v1, 0x80000000, v1
	v_or3_b32 v1, v2, v1, v0
	v_mov_b32_e32 v0, v77
	scratch_store_b64 off, v[0:1], s32 offset:340 ; 8-byte Folded Spill
.LBB220_168:                            ;   in Loop: Header=BB220_10 Depth=1
	s_wait_xcnt 0x0
	s_or_b32 exec_lo, exec_lo, s11
.LBB220_169:                            ;   in Loop: Header=BB220_10 Depth=1
	s_delay_alu instid0(SALU_CYCLE_1)
	s_or_b32 exec_lo, exec_lo, s9
.LBB220_170:                            ;   in Loop: Header=BB220_10 Depth=1
	s_delay_alu instid0(SALU_CYCLE_1)
	s_or_b32 exec_lo, exec_lo, s8
	flat_load_b32 v0, v[110:111] offset:516
	v_mov_b64_e32 v[2:3], 0
	s_mov_b32 s8, exec_lo
	scratch_store_b64 off, v[2:3], s32 offset:356 ; 8-byte Folded Spill
	s_wait_xcnt 0x0
	v_mov_b64_e32 v[2:3], 0
	scratch_store_b64 off, v[2:3], s32 offset:364 ; 8-byte Folded Spill
	s_wait_loadcnt_dscnt 0x0
	v_and_b32_e32 v1, 0xff, v0
	s_wait_xcnt 0x0
	s_delay_alu instid0(VALU_DEP_1)
	v_cmpx_ne_u16_e32 0, v1
	s_cbranch_execz .LBB220_178
; %bb.171:                              ;   in Loop: Header=BB220_10 Depth=1
	v_mov_b64_e32 v[2:3], 0x80000000
	s_mov_b32 s9, exec_lo
	scratch_store_b64 off, v[2:3], s32 offset:364 ; 8-byte Folded Spill
	s_wait_xcnt 0x0
	v_cmpx_ne_u16_e32 0x80, v1
	s_cbranch_execz .LBB220_177
; %bb.172:                              ;   in Loop: Header=BB220_10 Depth=1
	v_mov_b64_e32 v[4:5], 0x7f800001
	v_and_b32_e32 v2, 0x7f, v0
	s_mov_b32 s11, exec_lo
	scratch_store_b64 off, v[4:5], s32 offset:364 ; 8-byte Folded Spill
	s_wait_xcnt 0x0
	v_cmpx_ne_u32_e32 0x7f, v2
	s_cbranch_execz .LBB220_176
; %bb.173:                              ;   in Loop: Header=BB220_10 Depth=1
	v_dual_lshrrev_b32 v1, 3, v2 :: v_dual_bitop2_b32 v76, 7, v0 bitop3:0x40
	s_mov_b32 s16, exec_lo
	v_cmpx_gt_u32_e32 8, v2
; %bb.174:                              ;   in Loop: Header=BB220_10 Depth=1
	s_delay_alu instid0(VALU_DEP_2) | instskip(NEXT) | instid1(VALU_DEP_1)
	v_clz_i32_u32_e32 v1, v76
	v_min_u32_e32 v1, 32, v1
	s_delay_alu instid0(VALU_DEP_1) | instskip(NEXT) | instid1(VALU_DEP_1)
	v_subrev_nc_u32_e32 v2, 28, v1
	v_lshlrev_b64_e32 v[2:3], v2, v[76:77]
	s_delay_alu instid0(VALU_DEP_1)
	v_dual_sub_nc_u32 v1, 29, v1 :: v_dual_bitop2_b32 v76, 7, v2 bitop3:0x40
; %bb.175:                              ;   in Loop: Header=BB220_10 Depth=1
	s_or_b32 exec_lo, exec_lo, s16
	v_lshlrev_b32_e32 v2, 24, v0
	s_delay_alu instid0(VALU_DEP_2) | instskip(NEXT) | instid1(VALU_DEP_3)
	v_lshlrev_b32_e32 v3, 20, v76
	v_lshl_add_u32 v1, v1, 23, 0x3c000000
	s_delay_alu instid0(VALU_DEP_3) | instskip(NEXT) | instid1(VALU_DEP_1)
	v_and_b32_e32 v2, 0x80000000, v2
	v_or3_b32 v76, v3, v2, v1
	scratch_store_b64 off, v[76:77], s32 offset:364 ; 8-byte Folded Spill
.LBB220_176:                            ;   in Loop: Header=BB220_10 Depth=1
	s_wait_xcnt 0x0
	s_or_b32 exec_lo, exec_lo, s11
.LBB220_177:                            ;   in Loop: Header=BB220_10 Depth=1
	s_delay_alu instid0(SALU_CYCLE_1)
	s_or_b32 exec_lo, exec_lo, s9
.LBB220_178:                            ;   in Loop: Header=BB220_10 Depth=1
	s_delay_alu instid0(SALU_CYCLE_1) | instskip(SKIP_2) | instid1(VALU_DEP_1)
	s_or_b32 exec_lo, exec_lo, s8
	v_lshrrev_b16 v1, 8, v0
	s_mov_b32 s8, exec_lo
	v_cmpx_ne_u16_e32 0, v1
	s_cbranch_execz .LBB220_186
; %bb.179:                              ;   in Loop: Header=BB220_10 Depth=1
	v_mov_b64_e32 v[2:3], 0x8000000000000000
	s_mov_b32 s9, exec_lo
	scratch_store_b64 off, v[2:3], s32 offset:356 ; 8-byte Folded Spill
	s_wait_xcnt 0x0
	v_cmpx_ne_u16_e32 0x80, v1
	s_cbranch_execz .LBB220_185
; %bb.180:                              ;   in Loop: Header=BB220_10 Depth=1
	v_and_b32_e32 v1, 0xffff, v1
	v_mov_b64_e32 v[4:5], 0x7f80000100000000
	s_mov_b32 s11, exec_lo
	s_delay_alu instid0(VALU_DEP_2)
	v_and_b32_e32 v2, 0x7f, v1
	scratch_store_b64 off, v[4:5], s32 offset:356 ; 8-byte Folded Spill
	s_wait_xcnt 0x0
	v_cmpx_ne_u32_e32 0x7f, v2
	s_cbranch_execz .LBB220_184
; %bb.181:                              ;   in Loop: Header=BB220_10 Depth=1
	v_dual_lshrrev_b32 v1, 3, v2 :: v_dual_bitop2_b32 v76, 7, v1 bitop3:0x40
	s_mov_b32 s16, exec_lo
	v_cmpx_gt_u32_e32 8, v2
; %bb.182:                              ;   in Loop: Header=BB220_10 Depth=1
	s_delay_alu instid0(VALU_DEP_2) | instskip(NEXT) | instid1(VALU_DEP_1)
	v_clz_i32_u32_e32 v1, v76
	v_min_u32_e32 v1, 32, v1
	s_delay_alu instid0(VALU_DEP_1) | instskip(NEXT) | instid1(VALU_DEP_1)
	v_subrev_nc_u32_e32 v2, 28, v1
	v_lshlrev_b64_e32 v[2:3], v2, v[76:77]
	s_delay_alu instid0(VALU_DEP_1)
	v_dual_sub_nc_u32 v1, 29, v1 :: v_dual_bitop2_b32 v76, 7, v2 bitop3:0x40
; %bb.183:                              ;   in Loop: Header=BB220_10 Depth=1
	s_or_b32 exec_lo, exec_lo, s16
	v_lshlrev_b32_e32 v2, 16, v0
	s_delay_alu instid0(VALU_DEP_2) | instskip(NEXT) | instid1(VALU_DEP_3)
	v_lshlrev_b32_e32 v3, 20, v76
	v_lshl_add_u32 v1, v1, 23, 0x3c000000
	s_delay_alu instid0(VALU_DEP_3) | instskip(NEXT) | instid1(VALU_DEP_1)
	v_and_b32_e32 v2, 0x80000000, v2
	v_or3_b32 v3, v3, v2, v1
	v_mov_b32_e32 v2, v77
	scratch_store_b64 off, v[2:3], s32 offset:356 ; 8-byte Folded Spill
.LBB220_184:                            ;   in Loop: Header=BB220_10 Depth=1
	s_wait_xcnt 0x0
	s_or_b32 exec_lo, exec_lo, s11
.LBB220_185:                            ;   in Loop: Header=BB220_10 Depth=1
	s_delay_alu instid0(SALU_CYCLE_1)
	s_or_b32 exec_lo, exec_lo, s9
.LBB220_186:                            ;   in Loop: Header=BB220_10 Depth=1
	s_delay_alu instid0(SALU_CYCLE_1) | instskip(SKIP_4) | instid1(VALU_DEP_3)
	s_or_b32 exec_lo, exec_lo, s8
	v_lshrrev_b32_e32 v1, 16, v0
	v_mov_b64_e32 v[24:25], 0
	v_mov_b64_e32 v[4:5], 0
	s_mov_b32 s8, exec_lo
	v_and_b32_e32 v2, 0xff, v1
	scratch_store_b64 off, v[4:5], s32 offset:372 ; 8-byte Folded Spill
	s_wait_xcnt 0x0
	v_cmpx_ne_u16_e32 0, v2
	s_cbranch_execz .LBB220_194
; %bb.187:                              ;   in Loop: Header=BB220_10 Depth=1
	v_cmp_ne_u16_e64 s1, 0x80, v2
	v_mov_b64_e32 v[2:3], 0x80000000
	scratch_store_b64 off, v[2:3], s32 offset:372 ; 8-byte Folded Spill
	s_wait_xcnt 0x0
	s_and_saveexec_b32 s9, s1
	s_cbranch_execz .LBB220_193
; %bb.188:                              ;   in Loop: Header=BB220_10 Depth=1
	v_mov_b64_e32 v[4:5], 0x7f800001
	v_bfe_u32 v3, v0, 16, 7
	s_mov_b32 s11, exec_lo
	scratch_store_b64 off, v[4:5], s32 offset:372 ; 8-byte Folded Spill
	s_wait_xcnt 0x0
	v_cmpx_ne_u32_e32 0x7f, v3
	s_cbranch_execz .LBB220_192
; %bb.189:                              ;   in Loop: Header=BB220_10 Depth=1
	v_dual_lshrrev_b32 v2, 3, v3 :: v_dual_bitop2_b32 v76, 7, v1 bitop3:0x40
	s_mov_b32 s16, exec_lo
	v_cmpx_gt_u32_e32 8, v3
; %bb.190:                              ;   in Loop: Header=BB220_10 Depth=1
	s_delay_alu instid0(VALU_DEP_2) | instskip(NEXT) | instid1(VALU_DEP_1)
	v_clz_i32_u32_e32 v2, v76
	v_min_u32_e32 v2, 32, v2
	s_delay_alu instid0(VALU_DEP_1) | instskip(NEXT) | instid1(VALU_DEP_1)
	v_subrev_nc_u32_e32 v3, 28, v2
	v_lshlrev_b64_e32 v[4:5], v3, v[76:77]
	s_delay_alu instid0(VALU_DEP_1)
	v_dual_sub_nc_u32 v2, 29, v2 :: v_dual_bitop2_b32 v76, 7, v4 bitop3:0x40
; %bb.191:                              ;   in Loop: Header=BB220_10 Depth=1
	s_or_b32 exec_lo, exec_lo, s16
	s_delay_alu instid0(VALU_DEP_1) | instskip(NEXT) | instid1(VALU_DEP_2)
	v_dual_lshlrev_b32 v1, 24, v1 :: v_dual_lshlrev_b32 v3, 20, v76
	v_lshl_add_u32 v2, v2, 23, 0x3c000000
	s_delay_alu instid0(VALU_DEP_2) | instskip(NEXT) | instid1(VALU_DEP_1)
	v_and_b32_e32 v1, 0x80000000, v1
	v_or3_b32 v76, v3, v1, v2
	scratch_store_b64 off, v[76:77], s32 offset:372 ; 8-byte Folded Spill
.LBB220_192:                            ;   in Loop: Header=BB220_10 Depth=1
	s_wait_xcnt 0x0
	s_or_b32 exec_lo, exec_lo, s11
.LBB220_193:                            ;   in Loop: Header=BB220_10 Depth=1
	s_delay_alu instid0(SALU_CYCLE_1)
	s_or_b32 exec_lo, exec_lo, s9
.LBB220_194:                            ;   in Loop: Header=BB220_10 Depth=1
	s_delay_alu instid0(SALU_CYCLE_1) | instskip(NEXT) | instid1(SALU_CYCLE_1)
	s_or_b32 exec_lo, exec_lo, s8
	s_mov_b32 s8, exec_lo
	v_cmpx_lt_u32_e32 0xffffff, v0
	s_cbranch_execz .LBB220_202
; %bb.195:                              ;   in Loop: Header=BB220_10 Depth=1
	v_mov_b64_e32 v[24:25], 0x8000000000000000
	v_lshrrev_b32_e32 v1, 24, v0
	s_mov_b32 s9, exec_lo
	s_delay_alu instid0(VALU_DEP_1)
	v_cmpx_ne_u32_e32 0x80, v1
	s_cbranch_execz .LBB220_201
; %bb.196:                              ;   in Loop: Header=BB220_10 Depth=1
	v_mov_b64_e32 v[24:25], 0x7f80000100000000
	v_bfe_u32 v2, v0, 24, 7
	s_mov_b32 s11, exec_lo
	s_delay_alu instid0(VALU_DEP_1)
	v_cmpx_ne_u32_e32 0x7f, v2
	s_cbranch_execz .LBB220_200
; %bb.197:                              ;   in Loop: Header=BB220_10 Depth=1
	v_dual_lshrrev_b32 v0, 3, v2 :: v_dual_bitop2_b32 v76, 7, v1 bitop3:0x40
	s_mov_b32 s16, exec_lo
	v_cmpx_gt_u32_e32 8, v2
; %bb.198:                              ;   in Loop: Header=BB220_10 Depth=1
	s_delay_alu instid0(VALU_DEP_2) | instskip(NEXT) | instid1(VALU_DEP_1)
	v_clz_i32_u32_e32 v0, v76
	v_min_u32_e32 v0, 32, v0
	s_delay_alu instid0(VALU_DEP_1) | instskip(NEXT) | instid1(VALU_DEP_1)
	v_subrev_nc_u32_e32 v2, 28, v0
	v_lshlrev_b64_e32 v[2:3], v2, v[76:77]
	s_delay_alu instid0(VALU_DEP_1)
	v_dual_sub_nc_u32 v0, 29, v0 :: v_dual_bitop2_b32 v76, 7, v2 bitop3:0x40
; %bb.199:                              ;   in Loop: Header=BB220_10 Depth=1
	s_or_b32 exec_lo, exec_lo, s16
	s_delay_alu instid0(VALU_DEP_1) | instskip(NEXT) | instid1(VALU_DEP_2)
	v_dual_lshlrev_b32 v1, 24, v1 :: v_dual_lshlrev_b32 v2, 20, v76
	v_lshl_add_u32 v0, v0, 23, 0x3c000000
	v_mov_b32_e32 v24, v77
	s_delay_alu instid0(VALU_DEP_3) | instskip(NEXT) | instid1(VALU_DEP_1)
	v_and_b32_e32 v1, 0x80000000, v1
	v_or3_b32 v25, v2, v1, v0
.LBB220_200:                            ;   in Loop: Header=BB220_10 Depth=1
	s_or_b32 exec_lo, exec_lo, s11
.LBB220_201:                            ;   in Loop: Header=BB220_10 Depth=1
	s_delay_alu instid0(SALU_CYCLE_1)
	s_or_b32 exec_lo, exec_lo, s9
.LBB220_202:                            ;   in Loop: Header=BB220_10 Depth=1
	s_delay_alu instid0(SALU_CYCLE_1)
	s_or_b32 exec_lo, exec_lo, s8
	flat_load_b32 v0, v[110:111] offset:520
	v_mov_b64_e32 v[28:29], 0
	v_mov_b64_e32 v[30:31], 0
	s_mov_b32 s8, exec_lo
	s_wait_loadcnt_dscnt 0x0
	v_and_b32_e32 v1, 0xff, v0
	s_wait_xcnt 0x0
	s_delay_alu instid0(VALU_DEP_1)
	v_cmpx_ne_u16_e32 0, v1
	s_cbranch_execz .LBB220_210
; %bb.203:                              ;   in Loop: Header=BB220_10 Depth=1
	v_mov_b64_e32 v[30:31], 0x80000000
	s_mov_b32 s9, exec_lo
	v_cmpx_ne_u16_e32 0x80, v1
	s_cbranch_execz .LBB220_209
; %bb.204:                              ;   in Loop: Header=BB220_10 Depth=1
	v_mov_b64_e32 v[30:31], 0x7f800001
	v_and_b32_e32 v2, 0x7f, v0
	s_mov_b32 s11, exec_lo
	s_delay_alu instid0(VALU_DEP_1)
	v_cmpx_ne_u32_e32 0x7f, v2
	s_cbranch_execz .LBB220_208
; %bb.205:                              ;   in Loop: Header=BB220_10 Depth=1
	v_dual_lshrrev_b32 v1, 3, v2 :: v_dual_bitop2_b32 v76, 7, v0 bitop3:0x40
	s_mov_b32 s16, exec_lo
	v_cmpx_gt_u32_e32 8, v2
; %bb.206:                              ;   in Loop: Header=BB220_10 Depth=1
	s_delay_alu instid0(VALU_DEP_2) | instskip(NEXT) | instid1(VALU_DEP_1)
	v_clz_i32_u32_e32 v1, v76
	v_min_u32_e32 v1, 32, v1
	s_delay_alu instid0(VALU_DEP_1) | instskip(NEXT) | instid1(VALU_DEP_1)
	v_subrev_nc_u32_e32 v2, 28, v1
	v_lshlrev_b64_e32 v[2:3], v2, v[76:77]
	s_delay_alu instid0(VALU_DEP_1)
	v_dual_sub_nc_u32 v1, 29, v1 :: v_dual_bitop2_b32 v76, 7, v2 bitop3:0x40
; %bb.207:                              ;   in Loop: Header=BB220_10 Depth=1
	s_or_b32 exec_lo, exec_lo, s16
	v_lshlrev_b32_e32 v2, 24, v0
	s_delay_alu instid0(VALU_DEP_2) | instskip(NEXT) | instid1(VALU_DEP_3)
	v_lshlrev_b32_e32 v3, 20, v76
	v_lshl_add_u32 v1, v1, 23, 0x3c000000
	s_delay_alu instid0(VALU_DEP_3) | instskip(NEXT) | instid1(VALU_DEP_1)
	v_and_b32_e32 v2, 0x80000000, v2
	v_or3_b32 v76, v3, v2, v1
	s_delay_alu instid0(VALU_DEP_1)
	v_mov_b64_e32 v[30:31], v[76:77]
.LBB220_208:                            ;   in Loop: Header=BB220_10 Depth=1
	s_or_b32 exec_lo, exec_lo, s11
.LBB220_209:                            ;   in Loop: Header=BB220_10 Depth=1
	s_delay_alu instid0(SALU_CYCLE_1)
	s_or_b32 exec_lo, exec_lo, s9
.LBB220_210:                            ;   in Loop: Header=BB220_10 Depth=1
	s_delay_alu instid0(SALU_CYCLE_1) | instskip(SKIP_2) | instid1(VALU_DEP_1)
	s_or_b32 exec_lo, exec_lo, s8
	v_lshrrev_b16 v1, 8, v0
	s_mov_b32 s8, exec_lo
	v_cmpx_ne_u16_e32 0, v1
	s_cbranch_execz .LBB220_218
; %bb.211:                              ;   in Loop: Header=BB220_10 Depth=1
	v_mov_b64_e32 v[28:29], 0x8000000000000000
	s_mov_b32 s9, exec_lo
	v_cmpx_ne_u16_e32 0x80, v1
	s_cbranch_execz .LBB220_217
; %bb.212:                              ;   in Loop: Header=BB220_10 Depth=1
	v_and_b32_e32 v1, 0xffff, v1
	v_mov_b64_e32 v[28:29], 0x7f80000100000000
	s_mov_b32 s11, exec_lo
	s_delay_alu instid0(VALU_DEP_2) | instskip(NEXT) | instid1(VALU_DEP_1)
	v_and_b32_e32 v2, 0x7f, v1
	v_cmpx_ne_u32_e32 0x7f, v2
	s_cbranch_execz .LBB220_216
; %bb.213:                              ;   in Loop: Header=BB220_10 Depth=1
	v_dual_lshrrev_b32 v1, 3, v2 :: v_dual_bitop2_b32 v76, 7, v1 bitop3:0x40
	s_mov_b32 s16, exec_lo
	v_cmpx_gt_u32_e32 8, v2
; %bb.214:                              ;   in Loop: Header=BB220_10 Depth=1
	s_delay_alu instid0(VALU_DEP_2) | instskip(NEXT) | instid1(VALU_DEP_1)
	v_clz_i32_u32_e32 v1, v76
	v_min_u32_e32 v1, 32, v1
	s_delay_alu instid0(VALU_DEP_1) | instskip(NEXT) | instid1(VALU_DEP_1)
	v_subrev_nc_u32_e32 v2, 28, v1
	v_lshlrev_b64_e32 v[2:3], v2, v[76:77]
	s_delay_alu instid0(VALU_DEP_1)
	v_dual_sub_nc_u32 v1, 29, v1 :: v_dual_bitop2_b32 v76, 7, v2 bitop3:0x40
; %bb.215:                              ;   in Loop: Header=BB220_10 Depth=1
	s_or_b32 exec_lo, exec_lo, s16
	v_dual_lshlrev_b32 v2, 16, v0 :: v_dual_mov_b32 v28, v77
	s_delay_alu instid0(VALU_DEP_2) | instskip(NEXT) | instid1(VALU_DEP_3)
	v_lshlrev_b32_e32 v3, 20, v76
	v_lshl_add_u32 v1, v1, 23, 0x3c000000
	s_delay_alu instid0(VALU_DEP_3) | instskip(NEXT) | instid1(VALU_DEP_1)
	v_and_b32_e32 v2, 0x80000000, v2
	v_or3_b32 v29, v3, v2, v1
.LBB220_216:                            ;   in Loop: Header=BB220_10 Depth=1
	s_or_b32 exec_lo, exec_lo, s11
.LBB220_217:                            ;   in Loop: Header=BB220_10 Depth=1
	s_delay_alu instid0(SALU_CYCLE_1)
	s_or_b32 exec_lo, exec_lo, s9
.LBB220_218:                            ;   in Loop: Header=BB220_10 Depth=1
	s_delay_alu instid0(SALU_CYCLE_1) | instskip(SKIP_4) | instid1(VALU_DEP_3)
	s_or_b32 exec_lo, exec_lo, s8
	v_lshrrev_b32_e32 v1, 16, v0
	v_mov_b64_e32 v[32:33], 0
	v_mov_b64_e32 v[34:35], 0
	s_mov_b32 s8, exec_lo
	v_and_b32_e32 v2, 0xff, v1
	s_delay_alu instid0(VALU_DEP_1)
	v_cmpx_ne_u16_e32 0, v2
	s_cbranch_execz .LBB220_226
; %bb.219:                              ;   in Loop: Header=BB220_10 Depth=1
	v_mov_b64_e32 v[34:35], 0x80000000
	s_mov_b32 s9, exec_lo
	v_cmpx_ne_u16_e32 0x80, v2
	s_cbranch_execz .LBB220_225
; %bb.220:                              ;   in Loop: Header=BB220_10 Depth=1
	v_mov_b64_e32 v[34:35], 0x7f800001
	v_bfe_u32 v3, v0, 16, 7
	s_mov_b32 s11, exec_lo
	s_delay_alu instid0(VALU_DEP_1)
	v_cmpx_ne_u32_e32 0x7f, v3
	s_cbranch_execz .LBB220_224
; %bb.221:                              ;   in Loop: Header=BB220_10 Depth=1
	v_dual_lshrrev_b32 v2, 3, v3 :: v_dual_bitop2_b32 v76, 7, v1 bitop3:0x40
	s_mov_b32 s16, exec_lo
	v_cmpx_gt_u32_e32 8, v3
; %bb.222:                              ;   in Loop: Header=BB220_10 Depth=1
	s_delay_alu instid0(VALU_DEP_2) | instskip(NEXT) | instid1(VALU_DEP_1)
	v_clz_i32_u32_e32 v2, v76
	v_min_u32_e32 v2, 32, v2
	s_delay_alu instid0(VALU_DEP_1) | instskip(NEXT) | instid1(VALU_DEP_1)
	v_subrev_nc_u32_e32 v3, 28, v2
	v_lshlrev_b64_e32 v[4:5], v3, v[76:77]
	s_delay_alu instid0(VALU_DEP_1)
	v_dual_sub_nc_u32 v2, 29, v2 :: v_dual_bitop2_b32 v76, 7, v4 bitop3:0x40
; %bb.223:                              ;   in Loop: Header=BB220_10 Depth=1
	s_or_b32 exec_lo, exec_lo, s16
	s_delay_alu instid0(VALU_DEP_1) | instskip(NEXT) | instid1(VALU_DEP_2)
	v_dual_lshlrev_b32 v1, 24, v1 :: v_dual_lshlrev_b32 v3, 20, v76
	v_lshl_add_u32 v2, v2, 23, 0x3c000000
	s_delay_alu instid0(VALU_DEP_2) | instskip(NEXT) | instid1(VALU_DEP_1)
	v_and_b32_e32 v1, 0x80000000, v1
	v_or3_b32 v76, v3, v1, v2
	s_delay_alu instid0(VALU_DEP_1)
	v_mov_b64_e32 v[34:35], v[76:77]
.LBB220_224:                            ;   in Loop: Header=BB220_10 Depth=1
	s_or_b32 exec_lo, exec_lo, s11
.LBB220_225:                            ;   in Loop: Header=BB220_10 Depth=1
	s_delay_alu instid0(SALU_CYCLE_1)
	s_or_b32 exec_lo, exec_lo, s9
.LBB220_226:                            ;   in Loop: Header=BB220_10 Depth=1
	s_delay_alu instid0(SALU_CYCLE_1) | instskip(NEXT) | instid1(SALU_CYCLE_1)
	s_or_b32 exec_lo, exec_lo, s8
	s_mov_b32 s8, exec_lo
	v_cmpx_lt_u32_e32 0xffffff, v0
	s_cbranch_execz .LBB220_234
; %bb.227:                              ;   in Loop: Header=BB220_10 Depth=1
	v_mov_b64_e32 v[32:33], 0x8000000000000000
	v_lshrrev_b32_e32 v1, 24, v0
	s_mov_b32 s9, exec_lo
	s_delay_alu instid0(VALU_DEP_1)
	v_cmpx_ne_u32_e32 0x80, v1
	s_cbranch_execz .LBB220_233
; %bb.228:                              ;   in Loop: Header=BB220_10 Depth=1
	v_mov_b64_e32 v[32:33], 0x7f80000100000000
	v_bfe_u32 v2, v0, 24, 7
	s_mov_b32 s11, exec_lo
	s_delay_alu instid0(VALU_DEP_1)
	v_cmpx_ne_u32_e32 0x7f, v2
	s_cbranch_execz .LBB220_232
; %bb.229:                              ;   in Loop: Header=BB220_10 Depth=1
	v_dual_lshrrev_b32 v0, 3, v2 :: v_dual_bitop2_b32 v76, 7, v1 bitop3:0x40
	s_mov_b32 s16, exec_lo
	v_cmpx_gt_u32_e32 8, v2
; %bb.230:                              ;   in Loop: Header=BB220_10 Depth=1
	s_delay_alu instid0(VALU_DEP_2) | instskip(NEXT) | instid1(VALU_DEP_1)
	v_clz_i32_u32_e32 v0, v76
	v_min_u32_e32 v0, 32, v0
	s_delay_alu instid0(VALU_DEP_1) | instskip(NEXT) | instid1(VALU_DEP_1)
	v_subrev_nc_u32_e32 v2, 28, v0
	v_lshlrev_b64_e32 v[2:3], v2, v[76:77]
	s_delay_alu instid0(VALU_DEP_1)
	v_dual_sub_nc_u32 v0, 29, v0 :: v_dual_bitop2_b32 v76, 7, v2 bitop3:0x40
; %bb.231:                              ;   in Loop: Header=BB220_10 Depth=1
	s_or_b32 exec_lo, exec_lo, s16
	s_delay_alu instid0(VALU_DEP_1) | instskip(NEXT) | instid1(VALU_DEP_2)
	v_dual_lshlrev_b32 v1, 24, v1 :: v_dual_lshlrev_b32 v2, 20, v76
	v_lshl_add_u32 v0, v0, 23, 0x3c000000
	v_mov_b32_e32 v32, v77
	s_delay_alu instid0(VALU_DEP_3) | instskip(NEXT) | instid1(VALU_DEP_1)
	v_and_b32_e32 v1, 0x80000000, v1
	v_or3_b32 v33, v2, v1, v0
.LBB220_232:                            ;   in Loop: Header=BB220_10 Depth=1
	s_or_b32 exec_lo, exec_lo, s11
.LBB220_233:                            ;   in Loop: Header=BB220_10 Depth=1
	s_delay_alu instid0(SALU_CYCLE_1)
	s_or_b32 exec_lo, exec_lo, s9
.LBB220_234:                            ;   in Loop: Header=BB220_10 Depth=1
	s_delay_alu instid0(SALU_CYCLE_1)
	s_or_b32 exec_lo, exec_lo, s8
	flat_load_b32 v0, v[110:111] offset:524
	v_mov_b64_e32 v[36:37], 0
	v_mov_b64_e32 v[38:39], 0
	s_mov_b32 s8, exec_lo
	s_wait_loadcnt_dscnt 0x0
	v_and_b32_e32 v1, 0xff, v0
	s_wait_xcnt 0x0
	s_delay_alu instid0(VALU_DEP_1)
	v_cmpx_ne_u16_e32 0, v1
	s_cbranch_execz .LBB220_242
; %bb.235:                              ;   in Loop: Header=BB220_10 Depth=1
	v_mov_b64_e32 v[38:39], 0x80000000
	s_mov_b32 s9, exec_lo
	v_cmpx_ne_u16_e32 0x80, v1
	s_cbranch_execz .LBB220_241
; %bb.236:                              ;   in Loop: Header=BB220_10 Depth=1
	v_mov_b64_e32 v[38:39], 0x7f800001
	v_and_b32_e32 v2, 0x7f, v0
	s_mov_b32 s11, exec_lo
	s_delay_alu instid0(VALU_DEP_1)
	v_cmpx_ne_u32_e32 0x7f, v2
	s_cbranch_execz .LBB220_240
; %bb.237:                              ;   in Loop: Header=BB220_10 Depth=1
	v_dual_lshrrev_b32 v1, 3, v2 :: v_dual_bitop2_b32 v76, 7, v0 bitop3:0x40
	s_mov_b32 s16, exec_lo
	v_cmpx_gt_u32_e32 8, v2
; %bb.238:                              ;   in Loop: Header=BB220_10 Depth=1
	s_delay_alu instid0(VALU_DEP_2) | instskip(NEXT) | instid1(VALU_DEP_1)
	v_clz_i32_u32_e32 v1, v76
	v_min_u32_e32 v1, 32, v1
	s_delay_alu instid0(VALU_DEP_1) | instskip(NEXT) | instid1(VALU_DEP_1)
	v_subrev_nc_u32_e32 v2, 28, v1
	v_lshlrev_b64_e32 v[2:3], v2, v[76:77]
	s_delay_alu instid0(VALU_DEP_1)
	v_dual_sub_nc_u32 v1, 29, v1 :: v_dual_bitop2_b32 v76, 7, v2 bitop3:0x40
; %bb.239:                              ;   in Loop: Header=BB220_10 Depth=1
	s_or_b32 exec_lo, exec_lo, s16
	v_lshlrev_b32_e32 v2, 24, v0
	s_delay_alu instid0(VALU_DEP_2) | instskip(NEXT) | instid1(VALU_DEP_3)
	v_lshlrev_b32_e32 v3, 20, v76
	v_lshl_add_u32 v1, v1, 23, 0x3c000000
	s_delay_alu instid0(VALU_DEP_3) | instskip(NEXT) | instid1(VALU_DEP_1)
	v_and_b32_e32 v2, 0x80000000, v2
	v_or3_b32 v76, v3, v2, v1
	s_delay_alu instid0(VALU_DEP_1)
	v_mov_b64_e32 v[38:39], v[76:77]
.LBB220_240:                            ;   in Loop: Header=BB220_10 Depth=1
	s_or_b32 exec_lo, exec_lo, s11
.LBB220_241:                            ;   in Loop: Header=BB220_10 Depth=1
	s_delay_alu instid0(SALU_CYCLE_1)
	s_or_b32 exec_lo, exec_lo, s9
.LBB220_242:                            ;   in Loop: Header=BB220_10 Depth=1
	s_delay_alu instid0(SALU_CYCLE_1) | instskip(SKIP_2) | instid1(VALU_DEP_1)
	s_or_b32 exec_lo, exec_lo, s8
	v_lshrrev_b16 v1, 8, v0
	s_mov_b32 s8, exec_lo
	v_cmpx_ne_u16_e32 0, v1
	s_cbranch_execz .LBB220_250
; %bb.243:                              ;   in Loop: Header=BB220_10 Depth=1
	v_mov_b64_e32 v[36:37], 0x8000000000000000
	s_mov_b32 s9, exec_lo
	v_cmpx_ne_u16_e32 0x80, v1
	s_cbranch_execz .LBB220_249
; %bb.244:                              ;   in Loop: Header=BB220_10 Depth=1
	v_and_b32_e32 v1, 0xffff, v1
	v_mov_b64_e32 v[36:37], 0x7f80000100000000
	s_mov_b32 s11, exec_lo
	s_delay_alu instid0(VALU_DEP_2) | instskip(NEXT) | instid1(VALU_DEP_1)
	v_and_b32_e32 v2, 0x7f, v1
	v_cmpx_ne_u32_e32 0x7f, v2
	s_cbranch_execz .LBB220_248
; %bb.245:                              ;   in Loop: Header=BB220_10 Depth=1
	v_dual_lshrrev_b32 v1, 3, v2 :: v_dual_bitop2_b32 v76, 7, v1 bitop3:0x40
	s_mov_b32 s16, exec_lo
	v_cmpx_gt_u32_e32 8, v2
; %bb.246:                              ;   in Loop: Header=BB220_10 Depth=1
	s_delay_alu instid0(VALU_DEP_2) | instskip(NEXT) | instid1(VALU_DEP_1)
	v_clz_i32_u32_e32 v1, v76
	v_min_u32_e32 v1, 32, v1
	s_delay_alu instid0(VALU_DEP_1) | instskip(NEXT) | instid1(VALU_DEP_1)
	v_subrev_nc_u32_e32 v2, 28, v1
	v_lshlrev_b64_e32 v[2:3], v2, v[76:77]
	s_delay_alu instid0(VALU_DEP_1)
	v_dual_sub_nc_u32 v1, 29, v1 :: v_dual_bitop2_b32 v76, 7, v2 bitop3:0x40
; %bb.247:                              ;   in Loop: Header=BB220_10 Depth=1
	s_or_b32 exec_lo, exec_lo, s16
	v_dual_lshlrev_b32 v2, 16, v0 :: v_dual_mov_b32 v36, v77
	s_delay_alu instid0(VALU_DEP_2) | instskip(NEXT) | instid1(VALU_DEP_3)
	v_lshlrev_b32_e32 v3, 20, v76
	v_lshl_add_u32 v1, v1, 23, 0x3c000000
	s_delay_alu instid0(VALU_DEP_3) | instskip(NEXT) | instid1(VALU_DEP_1)
	v_and_b32_e32 v2, 0x80000000, v2
	v_or3_b32 v37, v3, v2, v1
.LBB220_248:                            ;   in Loop: Header=BB220_10 Depth=1
	s_or_b32 exec_lo, exec_lo, s11
.LBB220_249:                            ;   in Loop: Header=BB220_10 Depth=1
	s_delay_alu instid0(SALU_CYCLE_1)
	s_or_b32 exec_lo, exec_lo, s9
.LBB220_250:                            ;   in Loop: Header=BB220_10 Depth=1
	s_delay_alu instid0(SALU_CYCLE_1) | instskip(SKIP_4) | instid1(VALU_DEP_3)
	s_or_b32 exec_lo, exec_lo, s8
	v_lshrrev_b32_e32 v1, 16, v0
	v_mov_b64_e32 v[48:49], 0
	v_mov_b64_e32 v[50:51], 0
	s_mov_b32 s8, exec_lo
	v_and_b32_e32 v2, 0xff, v1
	s_delay_alu instid0(VALU_DEP_1)
	v_cmpx_ne_u16_e32 0, v2
	s_cbranch_execz .LBB220_258
; %bb.251:                              ;   in Loop: Header=BB220_10 Depth=1
	v_mov_b64_e32 v[50:51], 0x80000000
	s_mov_b32 s9, exec_lo
	v_cmpx_ne_u16_e32 0x80, v2
	s_cbranch_execz .LBB220_257
; %bb.252:                              ;   in Loop: Header=BB220_10 Depth=1
	v_mov_b64_e32 v[50:51], 0x7f800001
	v_bfe_u32 v3, v0, 16, 7
	s_mov_b32 s11, exec_lo
	s_delay_alu instid0(VALU_DEP_1)
	v_cmpx_ne_u32_e32 0x7f, v3
	s_cbranch_execz .LBB220_256
; %bb.253:                              ;   in Loop: Header=BB220_10 Depth=1
	v_dual_lshrrev_b32 v2, 3, v3 :: v_dual_bitop2_b32 v76, 7, v1 bitop3:0x40
	s_mov_b32 s16, exec_lo
	v_cmpx_gt_u32_e32 8, v3
; %bb.254:                              ;   in Loop: Header=BB220_10 Depth=1
	s_delay_alu instid0(VALU_DEP_2) | instskip(NEXT) | instid1(VALU_DEP_1)
	v_clz_i32_u32_e32 v2, v76
	v_min_u32_e32 v2, 32, v2
	s_delay_alu instid0(VALU_DEP_1) | instskip(NEXT) | instid1(VALU_DEP_1)
	v_subrev_nc_u32_e32 v3, 28, v2
	v_lshlrev_b64_e32 v[4:5], v3, v[76:77]
	s_delay_alu instid0(VALU_DEP_1)
	v_dual_sub_nc_u32 v2, 29, v2 :: v_dual_bitop2_b32 v76, 7, v4 bitop3:0x40
; %bb.255:                              ;   in Loop: Header=BB220_10 Depth=1
	s_or_b32 exec_lo, exec_lo, s16
	s_delay_alu instid0(VALU_DEP_1) | instskip(NEXT) | instid1(VALU_DEP_2)
	v_dual_lshlrev_b32 v1, 24, v1 :: v_dual_lshlrev_b32 v3, 20, v76
	v_lshl_add_u32 v2, v2, 23, 0x3c000000
	s_delay_alu instid0(VALU_DEP_2) | instskip(NEXT) | instid1(VALU_DEP_1)
	v_and_b32_e32 v1, 0x80000000, v1
	v_or3_b32 v76, v3, v1, v2
	s_delay_alu instid0(VALU_DEP_1)
	v_mov_b64_e32 v[50:51], v[76:77]
.LBB220_256:                            ;   in Loop: Header=BB220_10 Depth=1
	s_or_b32 exec_lo, exec_lo, s11
.LBB220_257:                            ;   in Loop: Header=BB220_10 Depth=1
	s_delay_alu instid0(SALU_CYCLE_1)
	s_or_b32 exec_lo, exec_lo, s9
.LBB220_258:                            ;   in Loop: Header=BB220_10 Depth=1
	s_delay_alu instid0(SALU_CYCLE_1) | instskip(NEXT) | instid1(SALU_CYCLE_1)
	s_or_b32 exec_lo, exec_lo, s8
	s_mov_b32 s8, exec_lo
	v_cmpx_lt_u32_e32 0xffffff, v0
	s_cbranch_execz .LBB220_266
; %bb.259:                              ;   in Loop: Header=BB220_10 Depth=1
	v_mov_b64_e32 v[48:49], 0x8000000000000000
	v_lshrrev_b32_e32 v1, 24, v0
	s_mov_b32 s9, exec_lo
	s_delay_alu instid0(VALU_DEP_1)
	v_cmpx_ne_u32_e32 0x80, v1
	s_cbranch_execz .LBB220_265
; %bb.260:                              ;   in Loop: Header=BB220_10 Depth=1
	v_mov_b64_e32 v[48:49], 0x7f80000100000000
	v_bfe_u32 v2, v0, 24, 7
	s_mov_b32 s11, exec_lo
	s_delay_alu instid0(VALU_DEP_1)
	v_cmpx_ne_u32_e32 0x7f, v2
	s_cbranch_execz .LBB220_264
; %bb.261:                              ;   in Loop: Header=BB220_10 Depth=1
	v_dual_lshrrev_b32 v0, 3, v2 :: v_dual_bitop2_b32 v76, 7, v1 bitop3:0x40
	s_mov_b32 s16, exec_lo
	v_cmpx_gt_u32_e32 8, v2
; %bb.262:                              ;   in Loop: Header=BB220_10 Depth=1
	s_delay_alu instid0(VALU_DEP_2) | instskip(NEXT) | instid1(VALU_DEP_1)
	v_clz_i32_u32_e32 v0, v76
	v_min_u32_e32 v0, 32, v0
	s_delay_alu instid0(VALU_DEP_1) | instskip(NEXT) | instid1(VALU_DEP_1)
	v_subrev_nc_u32_e32 v2, 28, v0
	v_lshlrev_b64_e32 v[2:3], v2, v[76:77]
	s_delay_alu instid0(VALU_DEP_1)
	v_dual_sub_nc_u32 v0, 29, v0 :: v_dual_bitop2_b32 v76, 7, v2 bitop3:0x40
; %bb.263:                              ;   in Loop: Header=BB220_10 Depth=1
	s_or_b32 exec_lo, exec_lo, s16
	s_delay_alu instid0(VALU_DEP_1) | instskip(NEXT) | instid1(VALU_DEP_2)
	v_dual_lshlrev_b32 v1, 24, v1 :: v_dual_lshlrev_b32 v2, 20, v76
	v_lshl_add_u32 v0, v0, 23, 0x3c000000
	v_mov_b32_e32 v48, v77
	s_delay_alu instid0(VALU_DEP_3) | instskip(NEXT) | instid1(VALU_DEP_1)
	v_and_b32_e32 v1, 0x80000000, v1
	v_or3_b32 v49, v2, v1, v0
.LBB220_264:                            ;   in Loop: Header=BB220_10 Depth=1
	s_or_b32 exec_lo, exec_lo, s11
.LBB220_265:                            ;   in Loop: Header=BB220_10 Depth=1
	s_delay_alu instid0(SALU_CYCLE_1)
	s_or_b32 exec_lo, exec_lo, s9
.LBB220_266:                            ;   in Loop: Header=BB220_10 Depth=1
	s_delay_alu instid0(SALU_CYCLE_1)
	s_or_b32 exec_lo, exec_lo, s8
	flat_load_b32 v0, v[110:111] offset:1024
	v_mov_b64_e32 v[52:53], 0
	v_mov_b64_e32 v[54:55], 0
	s_mov_b32 s8, exec_lo
	s_wait_loadcnt_dscnt 0x0
	v_and_b32_e32 v1, 0xff, v0
	s_wait_xcnt 0x0
	s_delay_alu instid0(VALU_DEP_1)
	v_cmpx_ne_u16_e32 0, v1
	s_cbranch_execz .LBB220_274
; %bb.267:                              ;   in Loop: Header=BB220_10 Depth=1
	v_mov_b64_e32 v[54:55], 0x80000000
	s_mov_b32 s9, exec_lo
	v_cmpx_ne_u16_e32 0x80, v1
	s_cbranch_execz .LBB220_273
; %bb.268:                              ;   in Loop: Header=BB220_10 Depth=1
	v_mov_b64_e32 v[54:55], 0x7f800001
	v_and_b32_e32 v2, 0x7f, v0
	s_mov_b32 s11, exec_lo
	s_delay_alu instid0(VALU_DEP_1)
	v_cmpx_ne_u32_e32 0x7f, v2
	s_cbranch_execz .LBB220_272
; %bb.269:                              ;   in Loop: Header=BB220_10 Depth=1
	v_dual_lshrrev_b32 v1, 3, v2 :: v_dual_bitop2_b32 v76, 7, v0 bitop3:0x40
	s_mov_b32 s16, exec_lo
	v_cmpx_gt_u32_e32 8, v2
; %bb.270:                              ;   in Loop: Header=BB220_10 Depth=1
	s_delay_alu instid0(VALU_DEP_2) | instskip(NEXT) | instid1(VALU_DEP_1)
	v_clz_i32_u32_e32 v1, v76
	v_min_u32_e32 v1, 32, v1
	s_delay_alu instid0(VALU_DEP_1) | instskip(NEXT) | instid1(VALU_DEP_1)
	v_subrev_nc_u32_e32 v2, 28, v1
	v_lshlrev_b64_e32 v[2:3], v2, v[76:77]
	s_delay_alu instid0(VALU_DEP_1)
	v_dual_sub_nc_u32 v1, 29, v1 :: v_dual_bitop2_b32 v76, 7, v2 bitop3:0x40
; %bb.271:                              ;   in Loop: Header=BB220_10 Depth=1
	s_or_b32 exec_lo, exec_lo, s16
	v_lshlrev_b32_e32 v2, 24, v0
	s_delay_alu instid0(VALU_DEP_2) | instskip(NEXT) | instid1(VALU_DEP_3)
	v_lshlrev_b32_e32 v3, 20, v76
	v_lshl_add_u32 v1, v1, 23, 0x3c000000
	s_delay_alu instid0(VALU_DEP_3) | instskip(NEXT) | instid1(VALU_DEP_1)
	v_and_b32_e32 v2, 0x80000000, v2
	v_or3_b32 v76, v3, v2, v1
	s_delay_alu instid0(VALU_DEP_1)
	v_mov_b64_e32 v[54:55], v[76:77]
.LBB220_272:                            ;   in Loop: Header=BB220_10 Depth=1
	s_or_b32 exec_lo, exec_lo, s11
.LBB220_273:                            ;   in Loop: Header=BB220_10 Depth=1
	s_delay_alu instid0(SALU_CYCLE_1)
	s_or_b32 exec_lo, exec_lo, s9
.LBB220_274:                            ;   in Loop: Header=BB220_10 Depth=1
	s_delay_alu instid0(SALU_CYCLE_1) | instskip(SKIP_2) | instid1(VALU_DEP_1)
	s_or_b32 exec_lo, exec_lo, s8
	v_lshrrev_b16 v1, 8, v0
	s_mov_b32 s8, exec_lo
	v_cmpx_ne_u16_e32 0, v1
	s_cbranch_execz .LBB220_282
; %bb.275:                              ;   in Loop: Header=BB220_10 Depth=1
	v_mov_b64_e32 v[52:53], 0x8000000000000000
	s_mov_b32 s9, exec_lo
	v_cmpx_ne_u16_e32 0x80, v1
	s_cbranch_execz .LBB220_281
; %bb.276:                              ;   in Loop: Header=BB220_10 Depth=1
	v_and_b32_e32 v1, 0xffff, v1
	v_mov_b64_e32 v[52:53], 0x7f80000100000000
	s_mov_b32 s11, exec_lo
	s_delay_alu instid0(VALU_DEP_2) | instskip(NEXT) | instid1(VALU_DEP_1)
	v_and_b32_e32 v2, 0x7f, v1
	v_cmpx_ne_u32_e32 0x7f, v2
	s_cbranch_execz .LBB220_280
; %bb.277:                              ;   in Loop: Header=BB220_10 Depth=1
	v_dual_lshrrev_b32 v1, 3, v2 :: v_dual_bitop2_b32 v76, 7, v1 bitop3:0x40
	s_mov_b32 s16, exec_lo
	v_cmpx_gt_u32_e32 8, v2
; %bb.278:                              ;   in Loop: Header=BB220_10 Depth=1
	s_delay_alu instid0(VALU_DEP_2) | instskip(NEXT) | instid1(VALU_DEP_1)
	v_clz_i32_u32_e32 v1, v76
	v_min_u32_e32 v1, 32, v1
	s_delay_alu instid0(VALU_DEP_1) | instskip(NEXT) | instid1(VALU_DEP_1)
	v_subrev_nc_u32_e32 v2, 28, v1
	v_lshlrev_b64_e32 v[2:3], v2, v[76:77]
	s_delay_alu instid0(VALU_DEP_1)
	v_dual_sub_nc_u32 v1, 29, v1 :: v_dual_bitop2_b32 v76, 7, v2 bitop3:0x40
; %bb.279:                              ;   in Loop: Header=BB220_10 Depth=1
	s_or_b32 exec_lo, exec_lo, s16
	v_dual_lshlrev_b32 v2, 16, v0 :: v_dual_mov_b32 v52, v77
	s_delay_alu instid0(VALU_DEP_2) | instskip(NEXT) | instid1(VALU_DEP_3)
	v_lshlrev_b32_e32 v3, 20, v76
	v_lshl_add_u32 v1, v1, 23, 0x3c000000
	s_delay_alu instid0(VALU_DEP_3) | instskip(NEXT) | instid1(VALU_DEP_1)
	v_and_b32_e32 v2, 0x80000000, v2
	v_or3_b32 v53, v3, v2, v1
.LBB220_280:                            ;   in Loop: Header=BB220_10 Depth=1
	s_or_b32 exec_lo, exec_lo, s11
.LBB220_281:                            ;   in Loop: Header=BB220_10 Depth=1
	s_delay_alu instid0(SALU_CYCLE_1)
	s_or_b32 exec_lo, exec_lo, s9
.LBB220_282:                            ;   in Loop: Header=BB220_10 Depth=1
	s_delay_alu instid0(SALU_CYCLE_1) | instskip(SKIP_4) | instid1(VALU_DEP_3)
	s_or_b32 exec_lo, exec_lo, s8
	v_lshrrev_b32_e32 v1, 16, v0
	v_mov_b64_e32 v[64:65], 0
	v_mov_b64_e32 v[66:67], 0
	s_mov_b32 s8, exec_lo
	v_and_b32_e32 v2, 0xff, v1
	s_delay_alu instid0(VALU_DEP_1)
	v_cmpx_ne_u16_e32 0, v2
	s_cbranch_execz .LBB220_290
; %bb.283:                              ;   in Loop: Header=BB220_10 Depth=1
	v_mov_b64_e32 v[66:67], 0x80000000
	s_mov_b32 s9, exec_lo
	v_cmpx_ne_u16_e32 0x80, v2
	s_cbranch_execz .LBB220_289
; %bb.284:                              ;   in Loop: Header=BB220_10 Depth=1
	v_mov_b64_e32 v[66:67], 0x7f800001
	v_bfe_u32 v3, v0, 16, 7
	s_mov_b32 s11, exec_lo
	s_delay_alu instid0(VALU_DEP_1)
	v_cmpx_ne_u32_e32 0x7f, v3
	s_cbranch_execz .LBB220_288
; %bb.285:                              ;   in Loop: Header=BB220_10 Depth=1
	v_dual_lshrrev_b32 v2, 3, v3 :: v_dual_bitop2_b32 v76, 7, v1 bitop3:0x40
	s_mov_b32 s16, exec_lo
	v_cmpx_gt_u32_e32 8, v3
; %bb.286:                              ;   in Loop: Header=BB220_10 Depth=1
	s_delay_alu instid0(VALU_DEP_2) | instskip(NEXT) | instid1(VALU_DEP_1)
	v_clz_i32_u32_e32 v2, v76
	v_min_u32_e32 v2, 32, v2
	s_delay_alu instid0(VALU_DEP_1) | instskip(NEXT) | instid1(VALU_DEP_1)
	v_subrev_nc_u32_e32 v3, 28, v2
	v_lshlrev_b64_e32 v[4:5], v3, v[76:77]
	s_delay_alu instid0(VALU_DEP_1)
	v_dual_sub_nc_u32 v2, 29, v2 :: v_dual_bitop2_b32 v76, 7, v4 bitop3:0x40
; %bb.287:                              ;   in Loop: Header=BB220_10 Depth=1
	s_or_b32 exec_lo, exec_lo, s16
	s_delay_alu instid0(VALU_DEP_1) | instskip(NEXT) | instid1(VALU_DEP_2)
	v_dual_lshlrev_b32 v1, 24, v1 :: v_dual_lshlrev_b32 v3, 20, v76
	v_lshl_add_u32 v2, v2, 23, 0x3c000000
	s_delay_alu instid0(VALU_DEP_2) | instskip(NEXT) | instid1(VALU_DEP_1)
	v_and_b32_e32 v1, 0x80000000, v1
	v_or3_b32 v76, v3, v1, v2
	s_delay_alu instid0(VALU_DEP_1)
	v_mov_b64_e32 v[66:67], v[76:77]
.LBB220_288:                            ;   in Loop: Header=BB220_10 Depth=1
	s_or_b32 exec_lo, exec_lo, s11
.LBB220_289:                            ;   in Loop: Header=BB220_10 Depth=1
	s_delay_alu instid0(SALU_CYCLE_1)
	s_or_b32 exec_lo, exec_lo, s9
.LBB220_290:                            ;   in Loop: Header=BB220_10 Depth=1
	s_delay_alu instid0(SALU_CYCLE_1) | instskip(NEXT) | instid1(SALU_CYCLE_1)
	s_or_b32 exec_lo, exec_lo, s8
	s_mov_b32 s8, exec_lo
	v_cmpx_lt_u32_e32 0xffffff, v0
	s_cbranch_execz .LBB220_298
; %bb.291:                              ;   in Loop: Header=BB220_10 Depth=1
	v_mov_b64_e32 v[64:65], 0x8000000000000000
	v_lshrrev_b32_e32 v1, 24, v0
	s_mov_b32 s9, exec_lo
	s_delay_alu instid0(VALU_DEP_1)
	v_cmpx_ne_u32_e32 0x80, v1
	s_cbranch_execz .LBB220_297
; %bb.292:                              ;   in Loop: Header=BB220_10 Depth=1
	v_mov_b64_e32 v[64:65], 0x7f80000100000000
	v_bfe_u32 v2, v0, 24, 7
	s_mov_b32 s11, exec_lo
	s_delay_alu instid0(VALU_DEP_1)
	v_cmpx_ne_u32_e32 0x7f, v2
	s_cbranch_execz .LBB220_296
; %bb.293:                              ;   in Loop: Header=BB220_10 Depth=1
	v_dual_lshrrev_b32 v0, 3, v2 :: v_dual_bitop2_b32 v76, 7, v1 bitop3:0x40
	s_mov_b32 s16, exec_lo
	v_cmpx_gt_u32_e32 8, v2
; %bb.294:                              ;   in Loop: Header=BB220_10 Depth=1
	s_delay_alu instid0(VALU_DEP_2) | instskip(NEXT) | instid1(VALU_DEP_1)
	v_clz_i32_u32_e32 v0, v76
	v_min_u32_e32 v0, 32, v0
	s_delay_alu instid0(VALU_DEP_1) | instskip(NEXT) | instid1(VALU_DEP_1)
	v_subrev_nc_u32_e32 v2, 28, v0
	v_lshlrev_b64_e32 v[2:3], v2, v[76:77]
	s_delay_alu instid0(VALU_DEP_1)
	v_dual_sub_nc_u32 v0, 29, v0 :: v_dual_bitop2_b32 v76, 7, v2 bitop3:0x40
; %bb.295:                              ;   in Loop: Header=BB220_10 Depth=1
	s_or_b32 exec_lo, exec_lo, s16
	s_delay_alu instid0(VALU_DEP_1) | instskip(NEXT) | instid1(VALU_DEP_2)
	v_dual_lshlrev_b32 v1, 24, v1 :: v_dual_lshlrev_b32 v2, 20, v76
	v_lshl_add_u32 v0, v0, 23, 0x3c000000
	v_mov_b32_e32 v64, v77
	s_delay_alu instid0(VALU_DEP_3) | instskip(NEXT) | instid1(VALU_DEP_1)
	v_and_b32_e32 v1, 0x80000000, v1
	v_or3_b32 v65, v2, v1, v0
.LBB220_296:                            ;   in Loop: Header=BB220_10 Depth=1
	s_or_b32 exec_lo, exec_lo, s11
.LBB220_297:                            ;   in Loop: Header=BB220_10 Depth=1
	s_delay_alu instid0(SALU_CYCLE_1)
	s_or_b32 exec_lo, exec_lo, s9
.LBB220_298:                            ;   in Loop: Header=BB220_10 Depth=1
	s_delay_alu instid0(SALU_CYCLE_1)
	s_or_b32 exec_lo, exec_lo, s8
	flat_load_b32 v0, v[110:111] offset:1028
	v_mov_b64_e32 v[68:69], 0
	v_mov_b64_e32 v[70:71], 0
	s_mov_b32 s8, exec_lo
	s_wait_loadcnt_dscnt 0x0
	v_and_b32_e32 v1, 0xff, v0
	s_wait_xcnt 0x0
	s_delay_alu instid0(VALU_DEP_1)
	v_cmpx_ne_u16_e32 0, v1
	s_cbranch_execz .LBB220_306
; %bb.299:                              ;   in Loop: Header=BB220_10 Depth=1
	v_mov_b64_e32 v[70:71], 0x80000000
	s_mov_b32 s9, exec_lo
	v_cmpx_ne_u16_e32 0x80, v1
	s_cbranch_execz .LBB220_305
; %bb.300:                              ;   in Loop: Header=BB220_10 Depth=1
	v_mov_b64_e32 v[70:71], 0x7f800001
	v_and_b32_e32 v2, 0x7f, v0
	s_mov_b32 s11, exec_lo
	s_delay_alu instid0(VALU_DEP_1)
	v_cmpx_ne_u32_e32 0x7f, v2
	s_cbranch_execz .LBB220_304
; %bb.301:                              ;   in Loop: Header=BB220_10 Depth=1
	v_dual_lshrrev_b32 v1, 3, v2 :: v_dual_bitop2_b32 v76, 7, v0 bitop3:0x40
	s_mov_b32 s16, exec_lo
	v_cmpx_gt_u32_e32 8, v2
; %bb.302:                              ;   in Loop: Header=BB220_10 Depth=1
	s_delay_alu instid0(VALU_DEP_2) | instskip(NEXT) | instid1(VALU_DEP_1)
	v_clz_i32_u32_e32 v1, v76
	v_min_u32_e32 v1, 32, v1
	s_delay_alu instid0(VALU_DEP_1) | instskip(NEXT) | instid1(VALU_DEP_1)
	v_subrev_nc_u32_e32 v2, 28, v1
	v_lshlrev_b64_e32 v[2:3], v2, v[76:77]
	s_delay_alu instid0(VALU_DEP_1)
	v_dual_sub_nc_u32 v1, 29, v1 :: v_dual_bitop2_b32 v76, 7, v2 bitop3:0x40
; %bb.303:                              ;   in Loop: Header=BB220_10 Depth=1
	s_or_b32 exec_lo, exec_lo, s16
	v_lshlrev_b32_e32 v2, 24, v0
	s_delay_alu instid0(VALU_DEP_2) | instskip(NEXT) | instid1(VALU_DEP_3)
	v_lshlrev_b32_e32 v3, 20, v76
	v_lshl_add_u32 v1, v1, 23, 0x3c000000
	s_delay_alu instid0(VALU_DEP_3) | instskip(NEXT) | instid1(VALU_DEP_1)
	v_and_b32_e32 v2, 0x80000000, v2
	v_or3_b32 v76, v3, v2, v1
	s_delay_alu instid0(VALU_DEP_1)
	v_mov_b64_e32 v[70:71], v[76:77]
.LBB220_304:                            ;   in Loop: Header=BB220_10 Depth=1
	s_or_b32 exec_lo, exec_lo, s11
.LBB220_305:                            ;   in Loop: Header=BB220_10 Depth=1
	s_delay_alu instid0(SALU_CYCLE_1)
	s_or_b32 exec_lo, exec_lo, s9
.LBB220_306:                            ;   in Loop: Header=BB220_10 Depth=1
	s_delay_alu instid0(SALU_CYCLE_1) | instskip(SKIP_2) | instid1(VALU_DEP_1)
	s_or_b32 exec_lo, exec_lo, s8
	v_lshrrev_b16 v1, 8, v0
	s_mov_b32 s8, exec_lo
	v_cmpx_ne_u16_e32 0, v1
	s_cbranch_execz .LBB220_314
; %bb.307:                              ;   in Loop: Header=BB220_10 Depth=1
	v_mov_b64_e32 v[68:69], 0x8000000000000000
	s_mov_b32 s9, exec_lo
	v_cmpx_ne_u16_e32 0x80, v1
	s_cbranch_execz .LBB220_313
; %bb.308:                              ;   in Loop: Header=BB220_10 Depth=1
	v_and_b32_e32 v1, 0xffff, v1
	v_mov_b64_e32 v[68:69], 0x7f80000100000000
	s_mov_b32 s11, exec_lo
	s_delay_alu instid0(VALU_DEP_2) | instskip(NEXT) | instid1(VALU_DEP_1)
	v_and_b32_e32 v2, 0x7f, v1
	v_cmpx_ne_u32_e32 0x7f, v2
	s_cbranch_execz .LBB220_312
; %bb.309:                              ;   in Loop: Header=BB220_10 Depth=1
	v_dual_lshrrev_b32 v1, 3, v2 :: v_dual_bitop2_b32 v76, 7, v1 bitop3:0x40
	s_mov_b32 s16, exec_lo
	v_cmpx_gt_u32_e32 8, v2
; %bb.310:                              ;   in Loop: Header=BB220_10 Depth=1
	s_delay_alu instid0(VALU_DEP_2) | instskip(NEXT) | instid1(VALU_DEP_1)
	v_clz_i32_u32_e32 v1, v76
	v_min_u32_e32 v1, 32, v1
	s_delay_alu instid0(VALU_DEP_1) | instskip(NEXT) | instid1(VALU_DEP_1)
	v_subrev_nc_u32_e32 v2, 28, v1
	v_lshlrev_b64_e32 v[2:3], v2, v[76:77]
	s_delay_alu instid0(VALU_DEP_1)
	v_dual_sub_nc_u32 v1, 29, v1 :: v_dual_bitop2_b32 v76, 7, v2 bitop3:0x40
; %bb.311:                              ;   in Loop: Header=BB220_10 Depth=1
	s_or_b32 exec_lo, exec_lo, s16
	v_dual_lshlrev_b32 v2, 16, v0 :: v_dual_mov_b32 v68, v77
	s_delay_alu instid0(VALU_DEP_2) | instskip(NEXT) | instid1(VALU_DEP_3)
	v_lshlrev_b32_e32 v3, 20, v76
	v_lshl_add_u32 v1, v1, 23, 0x3c000000
	s_delay_alu instid0(VALU_DEP_3) | instskip(NEXT) | instid1(VALU_DEP_1)
	v_and_b32_e32 v2, 0x80000000, v2
	v_or3_b32 v69, v3, v2, v1
.LBB220_312:                            ;   in Loop: Header=BB220_10 Depth=1
	s_or_b32 exec_lo, exec_lo, s11
.LBB220_313:                            ;   in Loop: Header=BB220_10 Depth=1
	s_delay_alu instid0(SALU_CYCLE_1)
	s_or_b32 exec_lo, exec_lo, s9
.LBB220_314:                            ;   in Loop: Header=BB220_10 Depth=1
	s_delay_alu instid0(SALU_CYCLE_1) | instskip(SKIP_4) | instid1(VALU_DEP_3)
	s_or_b32 exec_lo, exec_lo, s8
	v_lshrrev_b32_e32 v1, 16, v0
	v_mov_b64_e32 v[80:81], 0
	v_mov_b64_e32 v[82:83], 0
	s_mov_b32 s8, exec_lo
	v_and_b32_e32 v2, 0xff, v1
	s_delay_alu instid0(VALU_DEP_1)
	v_cmpx_ne_u16_e32 0, v2
	s_cbranch_execz .LBB220_322
; %bb.315:                              ;   in Loop: Header=BB220_10 Depth=1
	v_mov_b64_e32 v[82:83], 0x80000000
	s_mov_b32 s9, exec_lo
	v_cmpx_ne_u16_e32 0x80, v2
	s_cbranch_execz .LBB220_321
; %bb.316:                              ;   in Loop: Header=BB220_10 Depth=1
	v_mov_b64_e32 v[82:83], 0x7f800001
	v_bfe_u32 v3, v0, 16, 7
	s_mov_b32 s11, exec_lo
	s_delay_alu instid0(VALU_DEP_1)
	v_cmpx_ne_u32_e32 0x7f, v3
	s_cbranch_execz .LBB220_320
; %bb.317:                              ;   in Loop: Header=BB220_10 Depth=1
	v_dual_lshrrev_b32 v2, 3, v3 :: v_dual_bitop2_b32 v76, 7, v1 bitop3:0x40
	s_mov_b32 s16, exec_lo
	v_cmpx_gt_u32_e32 8, v3
; %bb.318:                              ;   in Loop: Header=BB220_10 Depth=1
	s_delay_alu instid0(VALU_DEP_2) | instskip(NEXT) | instid1(VALU_DEP_1)
	v_clz_i32_u32_e32 v2, v76
	v_min_u32_e32 v2, 32, v2
	s_delay_alu instid0(VALU_DEP_1) | instskip(NEXT) | instid1(VALU_DEP_1)
	v_subrev_nc_u32_e32 v3, 28, v2
	v_lshlrev_b64_e32 v[4:5], v3, v[76:77]
	s_delay_alu instid0(VALU_DEP_1)
	v_dual_sub_nc_u32 v2, 29, v2 :: v_dual_bitop2_b32 v76, 7, v4 bitop3:0x40
; %bb.319:                              ;   in Loop: Header=BB220_10 Depth=1
	s_or_b32 exec_lo, exec_lo, s16
	s_delay_alu instid0(VALU_DEP_1) | instskip(NEXT) | instid1(VALU_DEP_2)
	v_dual_lshlrev_b32 v1, 24, v1 :: v_dual_lshlrev_b32 v3, 20, v76
	v_lshl_add_u32 v2, v2, 23, 0x3c000000
	s_delay_alu instid0(VALU_DEP_2) | instskip(NEXT) | instid1(VALU_DEP_1)
	v_and_b32_e32 v1, 0x80000000, v1
	v_or3_b32 v76, v3, v1, v2
	s_delay_alu instid0(VALU_DEP_1)
	v_mov_b64_e32 v[82:83], v[76:77]
.LBB220_320:                            ;   in Loop: Header=BB220_10 Depth=1
	s_or_b32 exec_lo, exec_lo, s11
.LBB220_321:                            ;   in Loop: Header=BB220_10 Depth=1
	s_delay_alu instid0(SALU_CYCLE_1)
	s_or_b32 exec_lo, exec_lo, s9
.LBB220_322:                            ;   in Loop: Header=BB220_10 Depth=1
	s_delay_alu instid0(SALU_CYCLE_1) | instskip(NEXT) | instid1(SALU_CYCLE_1)
	s_or_b32 exec_lo, exec_lo, s8
	s_mov_b32 s8, exec_lo
	v_cmpx_lt_u32_e32 0xffffff, v0
	s_cbranch_execz .LBB220_330
; %bb.323:                              ;   in Loop: Header=BB220_10 Depth=1
	v_mov_b64_e32 v[80:81], 0x8000000000000000
	v_lshrrev_b32_e32 v1, 24, v0
	s_mov_b32 s9, exec_lo
	s_delay_alu instid0(VALU_DEP_1)
	v_cmpx_ne_u32_e32 0x80, v1
	s_cbranch_execz .LBB220_329
; %bb.324:                              ;   in Loop: Header=BB220_10 Depth=1
	v_mov_b64_e32 v[80:81], 0x7f80000100000000
	v_bfe_u32 v2, v0, 24, 7
	s_mov_b32 s11, exec_lo
	s_delay_alu instid0(VALU_DEP_1)
	v_cmpx_ne_u32_e32 0x7f, v2
	s_cbranch_execz .LBB220_328
; %bb.325:                              ;   in Loop: Header=BB220_10 Depth=1
	v_dual_lshrrev_b32 v0, 3, v2 :: v_dual_bitop2_b32 v76, 7, v1 bitop3:0x40
	s_mov_b32 s16, exec_lo
	v_cmpx_gt_u32_e32 8, v2
; %bb.326:                              ;   in Loop: Header=BB220_10 Depth=1
	s_delay_alu instid0(VALU_DEP_2) | instskip(NEXT) | instid1(VALU_DEP_1)
	v_clz_i32_u32_e32 v0, v76
	v_min_u32_e32 v0, 32, v0
	s_delay_alu instid0(VALU_DEP_1) | instskip(NEXT) | instid1(VALU_DEP_1)
	v_subrev_nc_u32_e32 v2, 28, v0
	v_lshlrev_b64_e32 v[2:3], v2, v[76:77]
	s_delay_alu instid0(VALU_DEP_1)
	v_dual_sub_nc_u32 v0, 29, v0 :: v_dual_bitop2_b32 v76, 7, v2 bitop3:0x40
; %bb.327:                              ;   in Loop: Header=BB220_10 Depth=1
	s_or_b32 exec_lo, exec_lo, s16
	s_delay_alu instid0(VALU_DEP_1) | instskip(NEXT) | instid1(VALU_DEP_2)
	v_dual_lshlrev_b32 v1, 24, v1 :: v_dual_lshlrev_b32 v2, 20, v76
	v_lshl_add_u32 v0, v0, 23, 0x3c000000
	v_mov_b32_e32 v80, v77
	s_delay_alu instid0(VALU_DEP_3) | instskip(NEXT) | instid1(VALU_DEP_1)
	v_and_b32_e32 v1, 0x80000000, v1
	v_or3_b32 v81, v2, v1, v0
.LBB220_328:                            ;   in Loop: Header=BB220_10 Depth=1
	s_or_b32 exec_lo, exec_lo, s11
.LBB220_329:                            ;   in Loop: Header=BB220_10 Depth=1
	s_delay_alu instid0(SALU_CYCLE_1)
	s_or_b32 exec_lo, exec_lo, s9
.LBB220_330:                            ;   in Loop: Header=BB220_10 Depth=1
	s_delay_alu instid0(SALU_CYCLE_1)
	s_or_b32 exec_lo, exec_lo, s8
	flat_load_b32 v0, v[110:111] offset:1032
	v_mov_b64_e32 v[84:85], 0
	v_mov_b64_e32 v[86:87], 0
	s_mov_b32 s8, exec_lo
	s_wait_loadcnt_dscnt 0x0
	v_and_b32_e32 v1, 0xff, v0
	s_wait_xcnt 0x0
	s_delay_alu instid0(VALU_DEP_1)
	v_cmpx_ne_u16_e32 0, v1
	s_cbranch_execz .LBB220_338
; %bb.331:                              ;   in Loop: Header=BB220_10 Depth=1
	v_mov_b64_e32 v[86:87], 0x80000000
	s_mov_b32 s9, exec_lo
	v_cmpx_ne_u16_e32 0x80, v1
	s_cbranch_execz .LBB220_337
; %bb.332:                              ;   in Loop: Header=BB220_10 Depth=1
	v_mov_b64_e32 v[86:87], 0x7f800001
	v_and_b32_e32 v2, 0x7f, v0
	s_mov_b32 s11, exec_lo
	s_delay_alu instid0(VALU_DEP_1)
	v_cmpx_ne_u32_e32 0x7f, v2
	s_cbranch_execz .LBB220_336
; %bb.333:                              ;   in Loop: Header=BB220_10 Depth=1
	v_dual_lshrrev_b32 v1, 3, v2 :: v_dual_bitop2_b32 v76, 7, v0 bitop3:0x40
	s_mov_b32 s16, exec_lo
	v_cmpx_gt_u32_e32 8, v2
; %bb.334:                              ;   in Loop: Header=BB220_10 Depth=1
	s_delay_alu instid0(VALU_DEP_2) | instskip(NEXT) | instid1(VALU_DEP_1)
	v_clz_i32_u32_e32 v1, v76
	v_min_u32_e32 v1, 32, v1
	s_delay_alu instid0(VALU_DEP_1) | instskip(NEXT) | instid1(VALU_DEP_1)
	v_subrev_nc_u32_e32 v2, 28, v1
	v_lshlrev_b64_e32 v[2:3], v2, v[76:77]
	s_delay_alu instid0(VALU_DEP_1)
	v_dual_sub_nc_u32 v1, 29, v1 :: v_dual_bitop2_b32 v76, 7, v2 bitop3:0x40
; %bb.335:                              ;   in Loop: Header=BB220_10 Depth=1
	s_or_b32 exec_lo, exec_lo, s16
	v_lshlrev_b32_e32 v2, 24, v0
	s_delay_alu instid0(VALU_DEP_2) | instskip(NEXT) | instid1(VALU_DEP_3)
	v_lshlrev_b32_e32 v3, 20, v76
	v_lshl_add_u32 v1, v1, 23, 0x3c000000
	s_delay_alu instid0(VALU_DEP_3) | instskip(NEXT) | instid1(VALU_DEP_1)
	v_and_b32_e32 v2, 0x80000000, v2
	v_or3_b32 v76, v3, v2, v1
	s_delay_alu instid0(VALU_DEP_1)
	v_mov_b64_e32 v[86:87], v[76:77]
.LBB220_336:                            ;   in Loop: Header=BB220_10 Depth=1
	s_or_b32 exec_lo, exec_lo, s11
.LBB220_337:                            ;   in Loop: Header=BB220_10 Depth=1
	s_delay_alu instid0(SALU_CYCLE_1)
	s_or_b32 exec_lo, exec_lo, s9
.LBB220_338:                            ;   in Loop: Header=BB220_10 Depth=1
	s_delay_alu instid0(SALU_CYCLE_1) | instskip(SKIP_2) | instid1(VALU_DEP_1)
	s_or_b32 exec_lo, exec_lo, s8
	v_lshrrev_b16 v1, 8, v0
	s_mov_b32 s8, exec_lo
	v_cmpx_ne_u16_e32 0, v1
	s_cbranch_execz .LBB220_346
; %bb.339:                              ;   in Loop: Header=BB220_10 Depth=1
	v_mov_b64_e32 v[84:85], 0x8000000000000000
	s_mov_b32 s9, exec_lo
	v_cmpx_ne_u16_e32 0x80, v1
	s_cbranch_execz .LBB220_345
; %bb.340:                              ;   in Loop: Header=BB220_10 Depth=1
	v_and_b32_e32 v1, 0xffff, v1
	v_mov_b64_e32 v[84:85], 0x7f80000100000000
	s_mov_b32 s11, exec_lo
	s_delay_alu instid0(VALU_DEP_2) | instskip(NEXT) | instid1(VALU_DEP_1)
	v_and_b32_e32 v2, 0x7f, v1
	v_cmpx_ne_u32_e32 0x7f, v2
	s_cbranch_execz .LBB220_344
; %bb.341:                              ;   in Loop: Header=BB220_10 Depth=1
	v_dual_lshrrev_b32 v1, 3, v2 :: v_dual_bitop2_b32 v76, 7, v1 bitop3:0x40
	s_mov_b32 s16, exec_lo
	v_cmpx_gt_u32_e32 8, v2
; %bb.342:                              ;   in Loop: Header=BB220_10 Depth=1
	s_delay_alu instid0(VALU_DEP_2) | instskip(NEXT) | instid1(VALU_DEP_1)
	v_clz_i32_u32_e32 v1, v76
	v_min_u32_e32 v1, 32, v1
	s_delay_alu instid0(VALU_DEP_1) | instskip(NEXT) | instid1(VALU_DEP_1)
	v_subrev_nc_u32_e32 v2, 28, v1
	v_lshlrev_b64_e32 v[2:3], v2, v[76:77]
	s_delay_alu instid0(VALU_DEP_1)
	v_dual_sub_nc_u32 v1, 29, v1 :: v_dual_bitop2_b32 v76, 7, v2 bitop3:0x40
; %bb.343:                              ;   in Loop: Header=BB220_10 Depth=1
	s_or_b32 exec_lo, exec_lo, s16
	v_dual_lshlrev_b32 v2, 16, v0 :: v_dual_mov_b32 v84, v77
	s_delay_alu instid0(VALU_DEP_2) | instskip(NEXT) | instid1(VALU_DEP_3)
	v_lshlrev_b32_e32 v3, 20, v76
	v_lshl_add_u32 v1, v1, 23, 0x3c000000
	s_delay_alu instid0(VALU_DEP_3) | instskip(NEXT) | instid1(VALU_DEP_1)
	v_and_b32_e32 v2, 0x80000000, v2
	v_or3_b32 v85, v3, v2, v1
.LBB220_344:                            ;   in Loop: Header=BB220_10 Depth=1
	s_or_b32 exec_lo, exec_lo, s11
.LBB220_345:                            ;   in Loop: Header=BB220_10 Depth=1
	s_delay_alu instid0(SALU_CYCLE_1)
	s_or_b32 exec_lo, exec_lo, s9
.LBB220_346:                            ;   in Loop: Header=BB220_10 Depth=1
	s_delay_alu instid0(SALU_CYCLE_1) | instskip(SKIP_4) | instid1(VALU_DEP_3)
	s_or_b32 exec_lo, exec_lo, s8
	v_lshrrev_b32_e32 v1, 16, v0
	v_mov_b64_e32 v[96:97], 0
	v_mov_b64_e32 v[98:99], 0
	s_mov_b32 s8, exec_lo
	v_and_b32_e32 v2, 0xff, v1
	s_delay_alu instid0(VALU_DEP_1)
	v_cmpx_ne_u16_e32 0, v2
	s_cbranch_execz .LBB220_354
; %bb.347:                              ;   in Loop: Header=BB220_10 Depth=1
	v_mov_b64_e32 v[98:99], 0x80000000
	s_mov_b32 s9, exec_lo
	v_cmpx_ne_u16_e32 0x80, v2
	s_cbranch_execz .LBB220_353
; %bb.348:                              ;   in Loop: Header=BB220_10 Depth=1
	v_mov_b64_e32 v[98:99], 0x7f800001
	v_bfe_u32 v3, v0, 16, 7
	s_mov_b32 s11, exec_lo
	s_delay_alu instid0(VALU_DEP_1)
	v_cmpx_ne_u32_e32 0x7f, v3
	s_cbranch_execz .LBB220_352
; %bb.349:                              ;   in Loop: Header=BB220_10 Depth=1
	v_dual_lshrrev_b32 v2, 3, v3 :: v_dual_bitop2_b32 v76, 7, v1 bitop3:0x40
	s_mov_b32 s16, exec_lo
	v_cmpx_gt_u32_e32 8, v3
; %bb.350:                              ;   in Loop: Header=BB220_10 Depth=1
	s_delay_alu instid0(VALU_DEP_2) | instskip(NEXT) | instid1(VALU_DEP_1)
	v_clz_i32_u32_e32 v2, v76
	v_min_u32_e32 v2, 32, v2
	s_delay_alu instid0(VALU_DEP_1) | instskip(NEXT) | instid1(VALU_DEP_1)
	v_subrev_nc_u32_e32 v3, 28, v2
	v_lshlrev_b64_e32 v[4:5], v3, v[76:77]
	s_delay_alu instid0(VALU_DEP_1)
	v_dual_sub_nc_u32 v2, 29, v2 :: v_dual_bitop2_b32 v76, 7, v4 bitop3:0x40
; %bb.351:                              ;   in Loop: Header=BB220_10 Depth=1
	s_or_b32 exec_lo, exec_lo, s16
	s_delay_alu instid0(VALU_DEP_1) | instskip(NEXT) | instid1(VALU_DEP_2)
	v_dual_lshlrev_b32 v1, 24, v1 :: v_dual_lshlrev_b32 v3, 20, v76
	v_lshl_add_u32 v2, v2, 23, 0x3c000000
	s_delay_alu instid0(VALU_DEP_2) | instskip(NEXT) | instid1(VALU_DEP_1)
	v_and_b32_e32 v1, 0x80000000, v1
	v_or3_b32 v76, v3, v1, v2
	s_delay_alu instid0(VALU_DEP_1)
	v_mov_b64_e32 v[98:99], v[76:77]
.LBB220_352:                            ;   in Loop: Header=BB220_10 Depth=1
	s_or_b32 exec_lo, exec_lo, s11
.LBB220_353:                            ;   in Loop: Header=BB220_10 Depth=1
	s_delay_alu instid0(SALU_CYCLE_1)
	s_or_b32 exec_lo, exec_lo, s9
.LBB220_354:                            ;   in Loop: Header=BB220_10 Depth=1
	s_delay_alu instid0(SALU_CYCLE_1) | instskip(NEXT) | instid1(SALU_CYCLE_1)
	s_or_b32 exec_lo, exec_lo, s8
	s_mov_b32 s8, exec_lo
	v_cmpx_lt_u32_e32 0xffffff, v0
	s_cbranch_execz .LBB220_362
; %bb.355:                              ;   in Loop: Header=BB220_10 Depth=1
	v_mov_b64_e32 v[96:97], 0x8000000000000000
	v_lshrrev_b32_e32 v1, 24, v0
	s_mov_b32 s9, exec_lo
	s_delay_alu instid0(VALU_DEP_1)
	v_cmpx_ne_u32_e32 0x80, v1
	s_cbranch_execz .LBB220_361
; %bb.356:                              ;   in Loop: Header=BB220_10 Depth=1
	v_mov_b64_e32 v[96:97], 0x7f80000100000000
	v_bfe_u32 v2, v0, 24, 7
	s_mov_b32 s11, exec_lo
	s_delay_alu instid0(VALU_DEP_1)
	v_cmpx_ne_u32_e32 0x7f, v2
	s_cbranch_execz .LBB220_360
; %bb.357:                              ;   in Loop: Header=BB220_10 Depth=1
	v_dual_lshrrev_b32 v0, 3, v2 :: v_dual_bitop2_b32 v76, 7, v1 bitop3:0x40
	s_mov_b32 s16, exec_lo
	v_cmpx_gt_u32_e32 8, v2
; %bb.358:                              ;   in Loop: Header=BB220_10 Depth=1
	s_delay_alu instid0(VALU_DEP_2) | instskip(NEXT) | instid1(VALU_DEP_1)
	v_clz_i32_u32_e32 v0, v76
	v_min_u32_e32 v0, 32, v0
	s_delay_alu instid0(VALU_DEP_1) | instskip(NEXT) | instid1(VALU_DEP_1)
	v_subrev_nc_u32_e32 v2, 28, v0
	v_lshlrev_b64_e32 v[2:3], v2, v[76:77]
	s_delay_alu instid0(VALU_DEP_1)
	v_dual_sub_nc_u32 v0, 29, v0 :: v_dual_bitop2_b32 v76, 7, v2 bitop3:0x40
; %bb.359:                              ;   in Loop: Header=BB220_10 Depth=1
	s_or_b32 exec_lo, exec_lo, s16
	s_delay_alu instid0(VALU_DEP_1) | instskip(NEXT) | instid1(VALU_DEP_2)
	v_dual_lshlrev_b32 v1, 24, v1 :: v_dual_lshlrev_b32 v2, 20, v76
	v_lshl_add_u32 v0, v0, 23, 0x3c000000
	v_mov_b32_e32 v96, v77
	s_delay_alu instid0(VALU_DEP_3) | instskip(NEXT) | instid1(VALU_DEP_1)
	v_and_b32_e32 v1, 0x80000000, v1
	v_or3_b32 v97, v2, v1, v0
.LBB220_360:                            ;   in Loop: Header=BB220_10 Depth=1
	s_or_b32 exec_lo, exec_lo, s11
.LBB220_361:                            ;   in Loop: Header=BB220_10 Depth=1
	s_delay_alu instid0(SALU_CYCLE_1)
	s_or_b32 exec_lo, exec_lo, s9
.LBB220_362:                            ;   in Loop: Header=BB220_10 Depth=1
	s_delay_alu instid0(SALU_CYCLE_1)
	s_or_b32 exec_lo, exec_lo, s8
	flat_load_b32 v0, v[110:111] offset:1036
	v_mov_b64_e32 v[100:101], 0
	v_mov_b64_e32 v[102:103], 0
	s_mov_b32 s8, exec_lo
	s_wait_loadcnt_dscnt 0x0
	v_and_b32_e32 v1, 0xff, v0
	s_wait_xcnt 0x0
	s_delay_alu instid0(VALU_DEP_1)
	v_cmpx_ne_u16_e32 0, v1
	s_cbranch_execz .LBB220_370
; %bb.363:                              ;   in Loop: Header=BB220_10 Depth=1
	v_mov_b64_e32 v[102:103], 0x80000000
	s_mov_b32 s9, exec_lo
	v_cmpx_ne_u16_e32 0x80, v1
	s_cbranch_execz .LBB220_369
; %bb.364:                              ;   in Loop: Header=BB220_10 Depth=1
	v_mov_b64_e32 v[102:103], 0x7f800001
	v_and_b32_e32 v2, 0x7f, v0
	s_mov_b32 s11, exec_lo
	s_delay_alu instid0(VALU_DEP_1)
	v_cmpx_ne_u32_e32 0x7f, v2
	s_cbranch_execz .LBB220_368
; %bb.365:                              ;   in Loop: Header=BB220_10 Depth=1
	v_dual_lshrrev_b32 v1, 3, v2 :: v_dual_bitop2_b32 v76, 7, v0 bitop3:0x40
	s_mov_b32 s16, exec_lo
	v_cmpx_gt_u32_e32 8, v2
; %bb.366:                              ;   in Loop: Header=BB220_10 Depth=1
	s_delay_alu instid0(VALU_DEP_2) | instskip(NEXT) | instid1(VALU_DEP_1)
	v_clz_i32_u32_e32 v1, v76
	v_min_u32_e32 v1, 32, v1
	s_delay_alu instid0(VALU_DEP_1) | instskip(NEXT) | instid1(VALU_DEP_1)
	v_subrev_nc_u32_e32 v2, 28, v1
	v_lshlrev_b64_e32 v[2:3], v2, v[76:77]
	s_delay_alu instid0(VALU_DEP_1)
	v_dual_sub_nc_u32 v1, 29, v1 :: v_dual_bitop2_b32 v76, 7, v2 bitop3:0x40
; %bb.367:                              ;   in Loop: Header=BB220_10 Depth=1
	s_or_b32 exec_lo, exec_lo, s16
	v_lshlrev_b32_e32 v2, 24, v0
	s_delay_alu instid0(VALU_DEP_2) | instskip(NEXT) | instid1(VALU_DEP_3)
	v_lshlrev_b32_e32 v3, 20, v76
	v_lshl_add_u32 v1, v1, 23, 0x3c000000
	s_delay_alu instid0(VALU_DEP_3) | instskip(NEXT) | instid1(VALU_DEP_1)
	v_and_b32_e32 v2, 0x80000000, v2
	v_or3_b32 v76, v3, v2, v1
	s_delay_alu instid0(VALU_DEP_1)
	v_mov_b64_e32 v[102:103], v[76:77]
.LBB220_368:                            ;   in Loop: Header=BB220_10 Depth=1
	s_or_b32 exec_lo, exec_lo, s11
.LBB220_369:                            ;   in Loop: Header=BB220_10 Depth=1
	s_delay_alu instid0(SALU_CYCLE_1)
	s_or_b32 exec_lo, exec_lo, s9
.LBB220_370:                            ;   in Loop: Header=BB220_10 Depth=1
	s_delay_alu instid0(SALU_CYCLE_1) | instskip(SKIP_2) | instid1(VALU_DEP_1)
	s_or_b32 exec_lo, exec_lo, s8
	v_lshrrev_b16 v1, 8, v0
	s_mov_b32 s8, exec_lo
	v_cmpx_ne_u16_e32 0, v1
	s_cbranch_execz .LBB220_378
; %bb.371:                              ;   in Loop: Header=BB220_10 Depth=1
	v_mov_b64_e32 v[100:101], 0x8000000000000000
	s_mov_b32 s9, exec_lo
	v_cmpx_ne_u16_e32 0x80, v1
	s_cbranch_execz .LBB220_377
; %bb.372:                              ;   in Loop: Header=BB220_10 Depth=1
	v_and_b32_e32 v1, 0xffff, v1
	v_mov_b64_e32 v[100:101], 0x7f80000100000000
	s_mov_b32 s11, exec_lo
	s_delay_alu instid0(VALU_DEP_2) | instskip(NEXT) | instid1(VALU_DEP_1)
	v_and_b32_e32 v2, 0x7f, v1
	v_cmpx_ne_u32_e32 0x7f, v2
	s_cbranch_execz .LBB220_376
; %bb.373:                              ;   in Loop: Header=BB220_10 Depth=1
	v_dual_lshrrev_b32 v1, 3, v2 :: v_dual_bitop2_b32 v76, 7, v1 bitop3:0x40
	s_mov_b32 s16, exec_lo
	v_cmpx_gt_u32_e32 8, v2
; %bb.374:                              ;   in Loop: Header=BB220_10 Depth=1
	s_delay_alu instid0(VALU_DEP_2) | instskip(NEXT) | instid1(VALU_DEP_1)
	v_clz_i32_u32_e32 v1, v76
	v_min_u32_e32 v1, 32, v1
	s_delay_alu instid0(VALU_DEP_1) | instskip(NEXT) | instid1(VALU_DEP_1)
	v_subrev_nc_u32_e32 v2, 28, v1
	v_lshlrev_b64_e32 v[2:3], v2, v[76:77]
	s_delay_alu instid0(VALU_DEP_1)
	v_dual_sub_nc_u32 v1, 29, v1 :: v_dual_bitop2_b32 v76, 7, v2 bitop3:0x40
; %bb.375:                              ;   in Loop: Header=BB220_10 Depth=1
	s_or_b32 exec_lo, exec_lo, s16
	v_dual_lshlrev_b32 v2, 16, v0 :: v_dual_mov_b32 v100, v77
	s_delay_alu instid0(VALU_DEP_2) | instskip(NEXT) | instid1(VALU_DEP_3)
	v_lshlrev_b32_e32 v3, 20, v76
	v_lshl_add_u32 v1, v1, 23, 0x3c000000
	s_delay_alu instid0(VALU_DEP_3) | instskip(NEXT) | instid1(VALU_DEP_1)
	v_and_b32_e32 v2, 0x80000000, v2
	v_or3_b32 v101, v3, v2, v1
.LBB220_376:                            ;   in Loop: Header=BB220_10 Depth=1
	s_or_b32 exec_lo, exec_lo, s11
.LBB220_377:                            ;   in Loop: Header=BB220_10 Depth=1
	s_delay_alu instid0(SALU_CYCLE_1)
	s_or_b32 exec_lo, exec_lo, s9
.LBB220_378:                            ;   in Loop: Header=BB220_10 Depth=1
	s_delay_alu instid0(SALU_CYCLE_1) | instskip(SKIP_4) | instid1(VALU_DEP_3)
	s_or_b32 exec_lo, exec_lo, s8
	v_lshrrev_b32_e32 v1, 16, v0
	v_mov_b64_e32 v[112:113], 0
	v_mov_b64_e32 v[114:115], 0
	s_mov_b32 s8, exec_lo
	v_and_b32_e32 v2, 0xff, v1
	s_delay_alu instid0(VALU_DEP_1)
	v_cmpx_ne_u16_e32 0, v2
	s_cbranch_execz .LBB220_386
; %bb.379:                              ;   in Loop: Header=BB220_10 Depth=1
	v_mov_b64_e32 v[114:115], 0x80000000
	s_mov_b32 s9, exec_lo
	v_cmpx_ne_u16_e32 0x80, v2
	s_cbranch_execz .LBB220_385
; %bb.380:                              ;   in Loop: Header=BB220_10 Depth=1
	v_mov_b64_e32 v[114:115], 0x7f800001
	v_bfe_u32 v3, v0, 16, 7
	s_mov_b32 s11, exec_lo
	s_delay_alu instid0(VALU_DEP_1)
	v_cmpx_ne_u32_e32 0x7f, v3
	s_cbranch_execz .LBB220_384
; %bb.381:                              ;   in Loop: Header=BB220_10 Depth=1
	v_dual_lshrrev_b32 v2, 3, v3 :: v_dual_bitop2_b32 v76, 7, v1 bitop3:0x40
	s_mov_b32 s16, exec_lo
	v_cmpx_gt_u32_e32 8, v3
; %bb.382:                              ;   in Loop: Header=BB220_10 Depth=1
	s_delay_alu instid0(VALU_DEP_2) | instskip(NEXT) | instid1(VALU_DEP_1)
	v_clz_i32_u32_e32 v2, v76
	v_min_u32_e32 v2, 32, v2
	s_delay_alu instid0(VALU_DEP_1) | instskip(NEXT) | instid1(VALU_DEP_1)
	v_subrev_nc_u32_e32 v3, 28, v2
	v_lshlrev_b64_e32 v[4:5], v3, v[76:77]
	s_delay_alu instid0(VALU_DEP_1)
	v_dual_sub_nc_u32 v2, 29, v2 :: v_dual_bitop2_b32 v76, 7, v4 bitop3:0x40
; %bb.383:                              ;   in Loop: Header=BB220_10 Depth=1
	s_or_b32 exec_lo, exec_lo, s16
	s_delay_alu instid0(VALU_DEP_1) | instskip(NEXT) | instid1(VALU_DEP_2)
	v_dual_lshlrev_b32 v1, 24, v1 :: v_dual_lshlrev_b32 v3, 20, v76
	v_lshl_add_u32 v2, v2, 23, 0x3c000000
	s_delay_alu instid0(VALU_DEP_2) | instskip(NEXT) | instid1(VALU_DEP_1)
	v_and_b32_e32 v1, 0x80000000, v1
	v_or3_b32 v76, v3, v1, v2
	s_delay_alu instid0(VALU_DEP_1)
	v_mov_b64_e32 v[114:115], v[76:77]
.LBB220_384:                            ;   in Loop: Header=BB220_10 Depth=1
	s_or_b32 exec_lo, exec_lo, s11
.LBB220_385:                            ;   in Loop: Header=BB220_10 Depth=1
	s_delay_alu instid0(SALU_CYCLE_1)
	s_or_b32 exec_lo, exec_lo, s9
.LBB220_386:                            ;   in Loop: Header=BB220_10 Depth=1
	s_delay_alu instid0(SALU_CYCLE_1) | instskip(NEXT) | instid1(SALU_CYCLE_1)
	s_or_b32 exec_lo, exec_lo, s8
	s_mov_b32 s8, exec_lo
	v_cmpx_lt_u32_e32 0xffffff, v0
	s_cbranch_execz .LBB220_394
; %bb.387:                              ;   in Loop: Header=BB220_10 Depth=1
	v_mov_b64_e32 v[112:113], 0x8000000000000000
	v_lshrrev_b32_e32 v1, 24, v0
	s_mov_b32 s9, exec_lo
	s_delay_alu instid0(VALU_DEP_1)
	v_cmpx_ne_u32_e32 0x80, v1
	s_cbranch_execz .LBB220_393
; %bb.388:                              ;   in Loop: Header=BB220_10 Depth=1
	v_mov_b64_e32 v[112:113], 0x7f80000100000000
	v_bfe_u32 v2, v0, 24, 7
	s_mov_b32 s11, exec_lo
	s_delay_alu instid0(VALU_DEP_1)
	v_cmpx_ne_u32_e32 0x7f, v2
	s_cbranch_execz .LBB220_392
; %bb.389:                              ;   in Loop: Header=BB220_10 Depth=1
	v_dual_lshrrev_b32 v0, 3, v2 :: v_dual_bitop2_b32 v76, 7, v1 bitop3:0x40
	s_mov_b32 s16, exec_lo
	v_cmpx_gt_u32_e32 8, v2
; %bb.390:                              ;   in Loop: Header=BB220_10 Depth=1
	s_delay_alu instid0(VALU_DEP_2) | instskip(NEXT) | instid1(VALU_DEP_1)
	v_clz_i32_u32_e32 v0, v76
	v_min_u32_e32 v0, 32, v0
	s_delay_alu instid0(VALU_DEP_1) | instskip(NEXT) | instid1(VALU_DEP_1)
	v_subrev_nc_u32_e32 v2, 28, v0
	v_lshlrev_b64_e32 v[2:3], v2, v[76:77]
	s_delay_alu instid0(VALU_DEP_1)
	v_dual_sub_nc_u32 v0, 29, v0 :: v_dual_bitop2_b32 v76, 7, v2 bitop3:0x40
; %bb.391:                              ;   in Loop: Header=BB220_10 Depth=1
	s_or_b32 exec_lo, exec_lo, s16
	s_delay_alu instid0(VALU_DEP_1) | instskip(NEXT) | instid1(VALU_DEP_2)
	v_dual_lshlrev_b32 v1, 24, v1 :: v_dual_lshlrev_b32 v2, 20, v76
	v_lshl_add_u32 v0, v0, 23, 0x3c000000
	v_mov_b32_e32 v112, v77
	s_delay_alu instid0(VALU_DEP_3) | instskip(NEXT) | instid1(VALU_DEP_1)
	v_and_b32_e32 v1, 0x80000000, v1
	v_or3_b32 v113, v2, v1, v0
.LBB220_392:                            ;   in Loop: Header=BB220_10 Depth=1
	s_or_b32 exec_lo, exec_lo, s11
.LBB220_393:                            ;   in Loop: Header=BB220_10 Depth=1
	s_delay_alu instid0(SALU_CYCLE_1)
	s_or_b32 exec_lo, exec_lo, s9
.LBB220_394:                            ;   in Loop: Header=BB220_10 Depth=1
	s_delay_alu instid0(SALU_CYCLE_1)
	s_or_b32 exec_lo, exec_lo, s8
	flat_load_b32 v0, v[110:111] offset:1536
	v_mov_b64_e32 v[116:117], 0
	v_mov_b64_e32 v[118:119], 0
	s_mov_b32 s8, exec_lo
	s_wait_loadcnt_dscnt 0x0
	v_and_b32_e32 v1, 0xff, v0
	s_wait_xcnt 0x0
	s_delay_alu instid0(VALU_DEP_1)
	v_cmpx_ne_u16_e32 0, v1
	s_cbranch_execz .LBB220_402
; %bb.395:                              ;   in Loop: Header=BB220_10 Depth=1
	v_mov_b64_e32 v[118:119], 0x80000000
	s_mov_b32 s9, exec_lo
	v_cmpx_ne_u16_e32 0x80, v1
	s_cbranch_execz .LBB220_401
; %bb.396:                              ;   in Loop: Header=BB220_10 Depth=1
	v_mov_b64_e32 v[118:119], 0x7f800001
	v_and_b32_e32 v2, 0x7f, v0
	s_mov_b32 s11, exec_lo
	s_delay_alu instid0(VALU_DEP_1)
	v_cmpx_ne_u32_e32 0x7f, v2
	s_cbranch_execz .LBB220_400
; %bb.397:                              ;   in Loop: Header=BB220_10 Depth=1
	v_dual_lshrrev_b32 v1, 3, v2 :: v_dual_bitop2_b32 v76, 7, v0 bitop3:0x40
	s_mov_b32 s16, exec_lo
	v_cmpx_gt_u32_e32 8, v2
; %bb.398:                              ;   in Loop: Header=BB220_10 Depth=1
	s_delay_alu instid0(VALU_DEP_2) | instskip(NEXT) | instid1(VALU_DEP_1)
	v_clz_i32_u32_e32 v1, v76
	v_min_u32_e32 v1, 32, v1
	s_delay_alu instid0(VALU_DEP_1) | instskip(NEXT) | instid1(VALU_DEP_1)
	v_subrev_nc_u32_e32 v2, 28, v1
	v_lshlrev_b64_e32 v[2:3], v2, v[76:77]
	s_delay_alu instid0(VALU_DEP_1)
	v_dual_sub_nc_u32 v1, 29, v1 :: v_dual_bitop2_b32 v76, 7, v2 bitop3:0x40
; %bb.399:                              ;   in Loop: Header=BB220_10 Depth=1
	s_or_b32 exec_lo, exec_lo, s16
	v_lshlrev_b32_e32 v2, 24, v0
	s_delay_alu instid0(VALU_DEP_2) | instskip(NEXT) | instid1(VALU_DEP_3)
	v_lshlrev_b32_e32 v3, 20, v76
	v_lshl_add_u32 v1, v1, 23, 0x3c000000
	s_delay_alu instid0(VALU_DEP_3) | instskip(NEXT) | instid1(VALU_DEP_1)
	v_and_b32_e32 v2, 0x80000000, v2
	v_or3_b32 v76, v3, v2, v1
	s_delay_alu instid0(VALU_DEP_1)
	v_mov_b64_e32 v[118:119], v[76:77]
.LBB220_400:                            ;   in Loop: Header=BB220_10 Depth=1
	s_or_b32 exec_lo, exec_lo, s11
.LBB220_401:                            ;   in Loop: Header=BB220_10 Depth=1
	s_delay_alu instid0(SALU_CYCLE_1)
	s_or_b32 exec_lo, exec_lo, s9
.LBB220_402:                            ;   in Loop: Header=BB220_10 Depth=1
	s_delay_alu instid0(SALU_CYCLE_1) | instskip(SKIP_2) | instid1(VALU_DEP_1)
	s_or_b32 exec_lo, exec_lo, s8
	v_lshrrev_b16 v1, 8, v0
	s_mov_b32 s8, exec_lo
	v_cmpx_ne_u16_e32 0, v1
	s_cbranch_execz .LBB220_410
; %bb.403:                              ;   in Loop: Header=BB220_10 Depth=1
	v_mov_b64_e32 v[116:117], 0x8000000000000000
	s_mov_b32 s9, exec_lo
	v_cmpx_ne_u16_e32 0x80, v1
	s_cbranch_execz .LBB220_409
; %bb.404:                              ;   in Loop: Header=BB220_10 Depth=1
	v_and_b32_e32 v1, 0xffff, v1
	v_mov_b64_e32 v[116:117], 0x7f80000100000000
	s_mov_b32 s11, exec_lo
	s_delay_alu instid0(VALU_DEP_2) | instskip(NEXT) | instid1(VALU_DEP_1)
	v_and_b32_e32 v2, 0x7f, v1
	v_cmpx_ne_u32_e32 0x7f, v2
	s_cbranch_execz .LBB220_408
; %bb.405:                              ;   in Loop: Header=BB220_10 Depth=1
	v_dual_lshrrev_b32 v1, 3, v2 :: v_dual_bitop2_b32 v76, 7, v1 bitop3:0x40
	s_mov_b32 s16, exec_lo
	v_cmpx_gt_u32_e32 8, v2
; %bb.406:                              ;   in Loop: Header=BB220_10 Depth=1
	s_delay_alu instid0(VALU_DEP_2) | instskip(NEXT) | instid1(VALU_DEP_1)
	v_clz_i32_u32_e32 v1, v76
	v_min_u32_e32 v1, 32, v1
	s_delay_alu instid0(VALU_DEP_1) | instskip(NEXT) | instid1(VALU_DEP_1)
	v_subrev_nc_u32_e32 v2, 28, v1
	v_lshlrev_b64_e32 v[2:3], v2, v[76:77]
	s_delay_alu instid0(VALU_DEP_1)
	v_dual_sub_nc_u32 v1, 29, v1 :: v_dual_bitop2_b32 v76, 7, v2 bitop3:0x40
; %bb.407:                              ;   in Loop: Header=BB220_10 Depth=1
	s_or_b32 exec_lo, exec_lo, s16
	v_dual_lshlrev_b32 v2, 16, v0 :: v_dual_mov_b32 v116, v77
	s_delay_alu instid0(VALU_DEP_2) | instskip(NEXT) | instid1(VALU_DEP_3)
	v_lshlrev_b32_e32 v3, 20, v76
	v_lshl_add_u32 v1, v1, 23, 0x3c000000
	s_delay_alu instid0(VALU_DEP_3) | instskip(NEXT) | instid1(VALU_DEP_1)
	v_and_b32_e32 v2, 0x80000000, v2
	v_or3_b32 v117, v3, v2, v1
.LBB220_408:                            ;   in Loop: Header=BB220_10 Depth=1
	s_or_b32 exec_lo, exec_lo, s11
.LBB220_409:                            ;   in Loop: Header=BB220_10 Depth=1
	s_delay_alu instid0(SALU_CYCLE_1)
	s_or_b32 exec_lo, exec_lo, s9
.LBB220_410:                            ;   in Loop: Header=BB220_10 Depth=1
	s_delay_alu instid0(SALU_CYCLE_1) | instskip(SKIP_4) | instid1(VALU_DEP_3)
	s_or_b32 exec_lo, exec_lo, s8
	v_lshrrev_b32_e32 v1, 16, v0
	v_mov_b64_e32 v[40:41], 0
	v_mov_b64_e32 v[42:43], 0
	s_mov_b32 s8, exec_lo
	v_and_b32_e32 v2, 0xff, v1
	s_delay_alu instid0(VALU_DEP_1)
	v_cmpx_ne_u16_e32 0, v2
	s_cbranch_execz .LBB220_418
; %bb.411:                              ;   in Loop: Header=BB220_10 Depth=1
	v_mov_b64_e32 v[42:43], 0x80000000
	s_mov_b32 s9, exec_lo
	v_cmpx_ne_u16_e32 0x80, v2
	s_cbranch_execz .LBB220_417
; %bb.412:                              ;   in Loop: Header=BB220_10 Depth=1
	v_mov_b64_e32 v[42:43], 0x7f800001
	v_bfe_u32 v3, v0, 16, 7
	s_mov_b32 s11, exec_lo
	s_delay_alu instid0(VALU_DEP_1)
	v_cmpx_ne_u32_e32 0x7f, v3
	s_cbranch_execz .LBB220_416
; %bb.413:                              ;   in Loop: Header=BB220_10 Depth=1
	v_dual_lshrrev_b32 v2, 3, v3 :: v_dual_bitop2_b32 v76, 7, v1 bitop3:0x40
	s_mov_b32 s16, exec_lo
	v_cmpx_gt_u32_e32 8, v3
; %bb.414:                              ;   in Loop: Header=BB220_10 Depth=1
	s_delay_alu instid0(VALU_DEP_2) | instskip(NEXT) | instid1(VALU_DEP_1)
	v_clz_i32_u32_e32 v2, v76
	v_min_u32_e32 v2, 32, v2
	s_delay_alu instid0(VALU_DEP_1) | instskip(NEXT) | instid1(VALU_DEP_1)
	v_subrev_nc_u32_e32 v3, 28, v2
	v_lshlrev_b64_e32 v[4:5], v3, v[76:77]
	s_delay_alu instid0(VALU_DEP_1)
	v_dual_sub_nc_u32 v2, 29, v2 :: v_dual_bitop2_b32 v76, 7, v4 bitop3:0x40
; %bb.415:                              ;   in Loop: Header=BB220_10 Depth=1
	s_or_b32 exec_lo, exec_lo, s16
	s_delay_alu instid0(VALU_DEP_1) | instskip(NEXT) | instid1(VALU_DEP_2)
	v_dual_lshlrev_b32 v1, 24, v1 :: v_dual_lshlrev_b32 v3, 20, v76
	v_lshl_add_u32 v2, v2, 23, 0x3c000000
	s_delay_alu instid0(VALU_DEP_2) | instskip(NEXT) | instid1(VALU_DEP_1)
	v_and_b32_e32 v1, 0x80000000, v1
	v_or3_b32 v76, v3, v1, v2
	s_delay_alu instid0(VALU_DEP_1)
	v_mov_b64_e32 v[42:43], v[76:77]
.LBB220_416:                            ;   in Loop: Header=BB220_10 Depth=1
	s_or_b32 exec_lo, exec_lo, s11
.LBB220_417:                            ;   in Loop: Header=BB220_10 Depth=1
	s_delay_alu instid0(SALU_CYCLE_1)
	s_or_b32 exec_lo, exec_lo, s9
.LBB220_418:                            ;   in Loop: Header=BB220_10 Depth=1
	s_delay_alu instid0(SALU_CYCLE_1) | instskip(NEXT) | instid1(SALU_CYCLE_1)
	s_or_b32 exec_lo, exec_lo, s8
	s_mov_b32 s8, exec_lo
	v_cmpx_lt_u32_e32 0xffffff, v0
	s_cbranch_execz .LBB220_426
; %bb.419:                              ;   in Loop: Header=BB220_10 Depth=1
	v_mov_b64_e32 v[40:41], 0x8000000000000000
	v_lshrrev_b32_e32 v1, 24, v0
	s_mov_b32 s9, exec_lo
	s_delay_alu instid0(VALU_DEP_1)
	v_cmpx_ne_u32_e32 0x80, v1
	s_cbranch_execz .LBB220_425
; %bb.420:                              ;   in Loop: Header=BB220_10 Depth=1
	v_mov_b64_e32 v[40:41], 0x7f80000100000000
	v_bfe_u32 v2, v0, 24, 7
	s_mov_b32 s11, exec_lo
	s_delay_alu instid0(VALU_DEP_1)
	v_cmpx_ne_u32_e32 0x7f, v2
	s_cbranch_execz .LBB220_424
; %bb.421:                              ;   in Loop: Header=BB220_10 Depth=1
	v_dual_lshrrev_b32 v0, 3, v2 :: v_dual_bitop2_b32 v76, 7, v1 bitop3:0x40
	s_mov_b32 s16, exec_lo
	v_cmpx_gt_u32_e32 8, v2
; %bb.422:                              ;   in Loop: Header=BB220_10 Depth=1
	s_delay_alu instid0(VALU_DEP_2) | instskip(NEXT) | instid1(VALU_DEP_1)
	v_clz_i32_u32_e32 v0, v76
	v_min_u32_e32 v0, 32, v0
	s_delay_alu instid0(VALU_DEP_1) | instskip(NEXT) | instid1(VALU_DEP_1)
	v_subrev_nc_u32_e32 v2, 28, v0
	v_lshlrev_b64_e32 v[2:3], v2, v[76:77]
	s_delay_alu instid0(VALU_DEP_1)
	v_dual_sub_nc_u32 v0, 29, v0 :: v_dual_bitop2_b32 v76, 7, v2 bitop3:0x40
; %bb.423:                              ;   in Loop: Header=BB220_10 Depth=1
	s_or_b32 exec_lo, exec_lo, s16
	s_delay_alu instid0(VALU_DEP_1) | instskip(NEXT) | instid1(VALU_DEP_2)
	v_dual_lshlrev_b32 v1, 24, v1 :: v_dual_lshlrev_b32 v2, 20, v76
	v_lshl_add_u32 v0, v0, 23, 0x3c000000
	v_mov_b32_e32 v40, v77
	s_delay_alu instid0(VALU_DEP_3) | instskip(NEXT) | instid1(VALU_DEP_1)
	v_and_b32_e32 v1, 0x80000000, v1
	v_or3_b32 v41, v2, v1, v0
.LBB220_424:                            ;   in Loop: Header=BB220_10 Depth=1
	s_or_b32 exec_lo, exec_lo, s11
.LBB220_425:                            ;   in Loop: Header=BB220_10 Depth=1
	s_delay_alu instid0(SALU_CYCLE_1)
	s_or_b32 exec_lo, exec_lo, s9
.LBB220_426:                            ;   in Loop: Header=BB220_10 Depth=1
	s_delay_alu instid0(SALU_CYCLE_1)
	s_or_b32 exec_lo, exec_lo, s8
	flat_load_b32 v0, v[110:111] offset:1540
	v_mov_b64_e32 v[44:45], 0
	v_mov_b64_e32 v[46:47], 0
	s_mov_b32 s8, exec_lo
	s_wait_loadcnt_dscnt 0x0
	v_and_b32_e32 v1, 0xff, v0
	s_wait_xcnt 0x0
	s_delay_alu instid0(VALU_DEP_1)
	v_cmpx_ne_u16_e32 0, v1
	s_cbranch_execz .LBB220_434
; %bb.427:                              ;   in Loop: Header=BB220_10 Depth=1
	v_mov_b64_e32 v[46:47], 0x80000000
	s_mov_b32 s9, exec_lo
	v_cmpx_ne_u16_e32 0x80, v1
	s_cbranch_execz .LBB220_433
; %bb.428:                              ;   in Loop: Header=BB220_10 Depth=1
	v_mov_b64_e32 v[46:47], 0x7f800001
	v_and_b32_e32 v2, 0x7f, v0
	s_mov_b32 s11, exec_lo
	s_delay_alu instid0(VALU_DEP_1)
	v_cmpx_ne_u32_e32 0x7f, v2
	s_cbranch_execz .LBB220_432
; %bb.429:                              ;   in Loop: Header=BB220_10 Depth=1
	v_dual_lshrrev_b32 v1, 3, v2 :: v_dual_bitop2_b32 v76, 7, v0 bitop3:0x40
	s_mov_b32 s16, exec_lo
	v_cmpx_gt_u32_e32 8, v2
; %bb.430:                              ;   in Loop: Header=BB220_10 Depth=1
	s_delay_alu instid0(VALU_DEP_2) | instskip(NEXT) | instid1(VALU_DEP_1)
	v_clz_i32_u32_e32 v1, v76
	v_min_u32_e32 v1, 32, v1
	s_delay_alu instid0(VALU_DEP_1) | instskip(NEXT) | instid1(VALU_DEP_1)
	v_subrev_nc_u32_e32 v2, 28, v1
	v_lshlrev_b64_e32 v[2:3], v2, v[76:77]
	s_delay_alu instid0(VALU_DEP_1)
	v_dual_sub_nc_u32 v1, 29, v1 :: v_dual_bitop2_b32 v76, 7, v2 bitop3:0x40
; %bb.431:                              ;   in Loop: Header=BB220_10 Depth=1
	s_or_b32 exec_lo, exec_lo, s16
	v_lshlrev_b32_e32 v2, 24, v0
	s_delay_alu instid0(VALU_DEP_2) | instskip(NEXT) | instid1(VALU_DEP_3)
	v_lshlrev_b32_e32 v3, 20, v76
	v_lshl_add_u32 v1, v1, 23, 0x3c000000
	s_delay_alu instid0(VALU_DEP_3) | instskip(NEXT) | instid1(VALU_DEP_1)
	v_and_b32_e32 v2, 0x80000000, v2
	v_or3_b32 v76, v3, v2, v1
	s_delay_alu instid0(VALU_DEP_1)
	v_mov_b64_e32 v[46:47], v[76:77]
.LBB220_432:                            ;   in Loop: Header=BB220_10 Depth=1
	s_or_b32 exec_lo, exec_lo, s11
.LBB220_433:                            ;   in Loop: Header=BB220_10 Depth=1
	s_delay_alu instid0(SALU_CYCLE_1)
	s_or_b32 exec_lo, exec_lo, s9
.LBB220_434:                            ;   in Loop: Header=BB220_10 Depth=1
	s_delay_alu instid0(SALU_CYCLE_1) | instskip(SKIP_2) | instid1(VALU_DEP_1)
	s_or_b32 exec_lo, exec_lo, s8
	v_lshrrev_b16 v1, 8, v0
	s_mov_b32 s8, exec_lo
	v_cmpx_ne_u16_e32 0, v1
	s_cbranch_execz .LBB220_442
; %bb.435:                              ;   in Loop: Header=BB220_10 Depth=1
	v_mov_b64_e32 v[44:45], 0x8000000000000000
	s_mov_b32 s9, exec_lo
	v_cmpx_ne_u16_e32 0x80, v1
	s_cbranch_execz .LBB220_441
; %bb.436:                              ;   in Loop: Header=BB220_10 Depth=1
	v_and_b32_e32 v1, 0xffff, v1
	v_mov_b64_e32 v[44:45], 0x7f80000100000000
	s_mov_b32 s11, exec_lo
	s_delay_alu instid0(VALU_DEP_2) | instskip(NEXT) | instid1(VALU_DEP_1)
	v_and_b32_e32 v2, 0x7f, v1
	v_cmpx_ne_u32_e32 0x7f, v2
	s_cbranch_execz .LBB220_440
; %bb.437:                              ;   in Loop: Header=BB220_10 Depth=1
	v_dual_lshrrev_b32 v1, 3, v2 :: v_dual_bitop2_b32 v76, 7, v1 bitop3:0x40
	s_mov_b32 s16, exec_lo
	v_cmpx_gt_u32_e32 8, v2
; %bb.438:                              ;   in Loop: Header=BB220_10 Depth=1
	s_delay_alu instid0(VALU_DEP_2) | instskip(NEXT) | instid1(VALU_DEP_1)
	v_clz_i32_u32_e32 v1, v76
	v_min_u32_e32 v1, 32, v1
	s_delay_alu instid0(VALU_DEP_1) | instskip(NEXT) | instid1(VALU_DEP_1)
	v_subrev_nc_u32_e32 v2, 28, v1
	v_lshlrev_b64_e32 v[2:3], v2, v[76:77]
	s_delay_alu instid0(VALU_DEP_1)
	v_dual_sub_nc_u32 v1, 29, v1 :: v_dual_bitop2_b32 v76, 7, v2 bitop3:0x40
; %bb.439:                              ;   in Loop: Header=BB220_10 Depth=1
	s_or_b32 exec_lo, exec_lo, s16
	v_dual_lshlrev_b32 v2, 16, v0 :: v_dual_mov_b32 v44, v77
	s_delay_alu instid0(VALU_DEP_2) | instskip(NEXT) | instid1(VALU_DEP_3)
	v_lshlrev_b32_e32 v3, 20, v76
	v_lshl_add_u32 v1, v1, 23, 0x3c000000
	s_delay_alu instid0(VALU_DEP_3) | instskip(NEXT) | instid1(VALU_DEP_1)
	v_and_b32_e32 v2, 0x80000000, v2
	v_or3_b32 v45, v3, v2, v1
.LBB220_440:                            ;   in Loop: Header=BB220_10 Depth=1
	s_or_b32 exec_lo, exec_lo, s11
.LBB220_441:                            ;   in Loop: Header=BB220_10 Depth=1
	s_delay_alu instid0(SALU_CYCLE_1)
	s_or_b32 exec_lo, exec_lo, s9
.LBB220_442:                            ;   in Loop: Header=BB220_10 Depth=1
	s_delay_alu instid0(SALU_CYCLE_1) | instskip(SKIP_4) | instid1(VALU_DEP_3)
	s_or_b32 exec_lo, exec_lo, s8
	v_lshrrev_b32_e32 v1, 16, v0
	v_mov_b64_e32 v[56:57], 0
	v_mov_b64_e32 v[58:59], 0
	s_mov_b32 s8, exec_lo
	v_and_b32_e32 v2, 0xff, v1
	s_delay_alu instid0(VALU_DEP_1)
	v_cmpx_ne_u16_e32 0, v2
	s_cbranch_execz .LBB220_450
; %bb.443:                              ;   in Loop: Header=BB220_10 Depth=1
	v_mov_b64_e32 v[58:59], 0x80000000
	s_mov_b32 s9, exec_lo
	v_cmpx_ne_u16_e32 0x80, v2
	s_cbranch_execz .LBB220_449
; %bb.444:                              ;   in Loop: Header=BB220_10 Depth=1
	v_mov_b64_e32 v[58:59], 0x7f800001
	v_bfe_u32 v3, v0, 16, 7
	s_mov_b32 s11, exec_lo
	s_delay_alu instid0(VALU_DEP_1)
	v_cmpx_ne_u32_e32 0x7f, v3
	s_cbranch_execz .LBB220_448
; %bb.445:                              ;   in Loop: Header=BB220_10 Depth=1
	v_dual_lshrrev_b32 v2, 3, v3 :: v_dual_bitop2_b32 v76, 7, v1 bitop3:0x40
	s_mov_b32 s16, exec_lo
	v_cmpx_gt_u32_e32 8, v3
; %bb.446:                              ;   in Loop: Header=BB220_10 Depth=1
	s_delay_alu instid0(VALU_DEP_2) | instskip(NEXT) | instid1(VALU_DEP_1)
	v_clz_i32_u32_e32 v2, v76
	v_min_u32_e32 v2, 32, v2
	s_delay_alu instid0(VALU_DEP_1) | instskip(NEXT) | instid1(VALU_DEP_1)
	v_subrev_nc_u32_e32 v3, 28, v2
	v_lshlrev_b64_e32 v[4:5], v3, v[76:77]
	s_delay_alu instid0(VALU_DEP_1)
	v_dual_sub_nc_u32 v2, 29, v2 :: v_dual_bitop2_b32 v76, 7, v4 bitop3:0x40
; %bb.447:                              ;   in Loop: Header=BB220_10 Depth=1
	s_or_b32 exec_lo, exec_lo, s16
	s_delay_alu instid0(VALU_DEP_1) | instskip(NEXT) | instid1(VALU_DEP_2)
	v_dual_lshlrev_b32 v1, 24, v1 :: v_dual_lshlrev_b32 v3, 20, v76
	v_lshl_add_u32 v2, v2, 23, 0x3c000000
	s_delay_alu instid0(VALU_DEP_2) | instskip(NEXT) | instid1(VALU_DEP_1)
	v_and_b32_e32 v1, 0x80000000, v1
	v_or3_b32 v76, v3, v1, v2
	s_delay_alu instid0(VALU_DEP_1)
	v_mov_b64_e32 v[58:59], v[76:77]
.LBB220_448:                            ;   in Loop: Header=BB220_10 Depth=1
	s_or_b32 exec_lo, exec_lo, s11
.LBB220_449:                            ;   in Loop: Header=BB220_10 Depth=1
	s_delay_alu instid0(SALU_CYCLE_1)
	s_or_b32 exec_lo, exec_lo, s9
.LBB220_450:                            ;   in Loop: Header=BB220_10 Depth=1
	s_delay_alu instid0(SALU_CYCLE_1) | instskip(NEXT) | instid1(SALU_CYCLE_1)
	s_or_b32 exec_lo, exec_lo, s8
	s_mov_b32 s8, exec_lo
	v_cmpx_lt_u32_e32 0xffffff, v0
	s_cbranch_execz .LBB220_458
; %bb.451:                              ;   in Loop: Header=BB220_10 Depth=1
	v_mov_b64_e32 v[56:57], 0x8000000000000000
	v_lshrrev_b32_e32 v1, 24, v0
	s_mov_b32 s9, exec_lo
	s_delay_alu instid0(VALU_DEP_1)
	v_cmpx_ne_u32_e32 0x80, v1
	s_cbranch_execz .LBB220_457
; %bb.452:                              ;   in Loop: Header=BB220_10 Depth=1
	v_mov_b64_e32 v[56:57], 0x7f80000100000000
	v_bfe_u32 v2, v0, 24, 7
	s_mov_b32 s11, exec_lo
	s_delay_alu instid0(VALU_DEP_1)
	v_cmpx_ne_u32_e32 0x7f, v2
	s_cbranch_execz .LBB220_456
; %bb.453:                              ;   in Loop: Header=BB220_10 Depth=1
	v_dual_lshrrev_b32 v0, 3, v2 :: v_dual_bitop2_b32 v76, 7, v1 bitop3:0x40
	s_mov_b32 s16, exec_lo
	v_cmpx_gt_u32_e32 8, v2
; %bb.454:                              ;   in Loop: Header=BB220_10 Depth=1
	s_delay_alu instid0(VALU_DEP_2) | instskip(NEXT) | instid1(VALU_DEP_1)
	v_clz_i32_u32_e32 v0, v76
	v_min_u32_e32 v0, 32, v0
	s_delay_alu instid0(VALU_DEP_1) | instskip(NEXT) | instid1(VALU_DEP_1)
	v_subrev_nc_u32_e32 v2, 28, v0
	v_lshlrev_b64_e32 v[2:3], v2, v[76:77]
	s_delay_alu instid0(VALU_DEP_1)
	v_dual_sub_nc_u32 v0, 29, v0 :: v_dual_bitop2_b32 v76, 7, v2 bitop3:0x40
; %bb.455:                              ;   in Loop: Header=BB220_10 Depth=1
	s_or_b32 exec_lo, exec_lo, s16
	s_delay_alu instid0(VALU_DEP_1) | instskip(NEXT) | instid1(VALU_DEP_2)
	v_dual_lshlrev_b32 v1, 24, v1 :: v_dual_lshlrev_b32 v2, 20, v76
	v_lshl_add_u32 v0, v0, 23, 0x3c000000
	v_mov_b32_e32 v56, v77
	s_delay_alu instid0(VALU_DEP_3) | instskip(NEXT) | instid1(VALU_DEP_1)
	v_and_b32_e32 v1, 0x80000000, v1
	v_or3_b32 v57, v2, v1, v0
.LBB220_456:                            ;   in Loop: Header=BB220_10 Depth=1
	s_or_b32 exec_lo, exec_lo, s11
.LBB220_457:                            ;   in Loop: Header=BB220_10 Depth=1
	s_delay_alu instid0(SALU_CYCLE_1)
	s_or_b32 exec_lo, exec_lo, s9
.LBB220_458:                            ;   in Loop: Header=BB220_10 Depth=1
	s_delay_alu instid0(SALU_CYCLE_1)
	s_or_b32 exec_lo, exec_lo, s8
	flat_load_b32 v0, v[110:111] offset:1544
	v_mov_b64_e32 v[60:61], 0
	v_mov_b64_e32 v[62:63], 0
	s_mov_b32 s8, exec_lo
	s_wait_loadcnt_dscnt 0x0
	v_and_b32_e32 v1, 0xff, v0
	s_wait_xcnt 0x0
	s_delay_alu instid0(VALU_DEP_1)
	v_cmpx_ne_u16_e32 0, v1
	s_cbranch_execz .LBB220_466
; %bb.459:                              ;   in Loop: Header=BB220_10 Depth=1
	v_mov_b64_e32 v[62:63], 0x80000000
	s_mov_b32 s9, exec_lo
	v_cmpx_ne_u16_e32 0x80, v1
	s_cbranch_execz .LBB220_465
; %bb.460:                              ;   in Loop: Header=BB220_10 Depth=1
	v_mov_b64_e32 v[62:63], 0x7f800001
	v_and_b32_e32 v2, 0x7f, v0
	s_mov_b32 s11, exec_lo
	s_delay_alu instid0(VALU_DEP_1)
	v_cmpx_ne_u32_e32 0x7f, v2
	s_cbranch_execz .LBB220_464
; %bb.461:                              ;   in Loop: Header=BB220_10 Depth=1
	v_dual_lshrrev_b32 v1, 3, v2 :: v_dual_bitop2_b32 v76, 7, v0 bitop3:0x40
	s_mov_b32 s16, exec_lo
	v_cmpx_gt_u32_e32 8, v2
; %bb.462:                              ;   in Loop: Header=BB220_10 Depth=1
	s_delay_alu instid0(VALU_DEP_2) | instskip(NEXT) | instid1(VALU_DEP_1)
	v_clz_i32_u32_e32 v1, v76
	v_min_u32_e32 v1, 32, v1
	s_delay_alu instid0(VALU_DEP_1) | instskip(NEXT) | instid1(VALU_DEP_1)
	v_subrev_nc_u32_e32 v2, 28, v1
	v_lshlrev_b64_e32 v[2:3], v2, v[76:77]
	s_delay_alu instid0(VALU_DEP_1)
	v_dual_sub_nc_u32 v1, 29, v1 :: v_dual_bitop2_b32 v76, 7, v2 bitop3:0x40
; %bb.463:                              ;   in Loop: Header=BB220_10 Depth=1
	s_or_b32 exec_lo, exec_lo, s16
	v_lshlrev_b32_e32 v2, 24, v0
	s_delay_alu instid0(VALU_DEP_2) | instskip(NEXT) | instid1(VALU_DEP_3)
	v_lshlrev_b32_e32 v3, 20, v76
	v_lshl_add_u32 v1, v1, 23, 0x3c000000
	s_delay_alu instid0(VALU_DEP_3) | instskip(NEXT) | instid1(VALU_DEP_1)
	v_and_b32_e32 v2, 0x80000000, v2
	v_or3_b32 v76, v3, v2, v1
	s_delay_alu instid0(VALU_DEP_1)
	v_mov_b64_e32 v[62:63], v[76:77]
.LBB220_464:                            ;   in Loop: Header=BB220_10 Depth=1
	s_or_b32 exec_lo, exec_lo, s11
.LBB220_465:                            ;   in Loop: Header=BB220_10 Depth=1
	s_delay_alu instid0(SALU_CYCLE_1)
	s_or_b32 exec_lo, exec_lo, s9
.LBB220_466:                            ;   in Loop: Header=BB220_10 Depth=1
	s_delay_alu instid0(SALU_CYCLE_1) | instskip(SKIP_2) | instid1(VALU_DEP_1)
	s_or_b32 exec_lo, exec_lo, s8
	v_lshrrev_b16 v1, 8, v0
	s_mov_b32 s8, exec_lo
	v_cmpx_ne_u16_e32 0, v1
	s_cbranch_execz .LBB220_474
; %bb.467:                              ;   in Loop: Header=BB220_10 Depth=1
	v_mov_b64_e32 v[60:61], 0x8000000000000000
	s_mov_b32 s9, exec_lo
	v_cmpx_ne_u16_e32 0x80, v1
	s_cbranch_execz .LBB220_473
; %bb.468:                              ;   in Loop: Header=BB220_10 Depth=1
	v_and_b32_e32 v1, 0xffff, v1
	v_mov_b64_e32 v[60:61], 0x7f80000100000000
	s_mov_b32 s11, exec_lo
	s_delay_alu instid0(VALU_DEP_2) | instskip(NEXT) | instid1(VALU_DEP_1)
	v_and_b32_e32 v2, 0x7f, v1
	v_cmpx_ne_u32_e32 0x7f, v2
	s_cbranch_execz .LBB220_472
; %bb.469:                              ;   in Loop: Header=BB220_10 Depth=1
	v_dual_lshrrev_b32 v1, 3, v2 :: v_dual_bitop2_b32 v76, 7, v1 bitop3:0x40
	s_mov_b32 s16, exec_lo
	v_cmpx_gt_u32_e32 8, v2
; %bb.470:                              ;   in Loop: Header=BB220_10 Depth=1
	s_delay_alu instid0(VALU_DEP_2) | instskip(NEXT) | instid1(VALU_DEP_1)
	v_clz_i32_u32_e32 v1, v76
	v_min_u32_e32 v1, 32, v1
	s_delay_alu instid0(VALU_DEP_1) | instskip(NEXT) | instid1(VALU_DEP_1)
	v_subrev_nc_u32_e32 v2, 28, v1
	v_lshlrev_b64_e32 v[2:3], v2, v[76:77]
	s_delay_alu instid0(VALU_DEP_1)
	v_dual_sub_nc_u32 v1, 29, v1 :: v_dual_bitop2_b32 v76, 7, v2 bitop3:0x40
; %bb.471:                              ;   in Loop: Header=BB220_10 Depth=1
	s_or_b32 exec_lo, exec_lo, s16
	v_dual_lshlrev_b32 v2, 16, v0 :: v_dual_mov_b32 v60, v77
	s_delay_alu instid0(VALU_DEP_2) | instskip(NEXT) | instid1(VALU_DEP_3)
	v_lshlrev_b32_e32 v3, 20, v76
	v_lshl_add_u32 v1, v1, 23, 0x3c000000
	s_delay_alu instid0(VALU_DEP_3) | instskip(NEXT) | instid1(VALU_DEP_1)
	v_and_b32_e32 v2, 0x80000000, v2
	v_or3_b32 v61, v3, v2, v1
.LBB220_472:                            ;   in Loop: Header=BB220_10 Depth=1
	s_or_b32 exec_lo, exec_lo, s11
.LBB220_473:                            ;   in Loop: Header=BB220_10 Depth=1
	s_delay_alu instid0(SALU_CYCLE_1)
	s_or_b32 exec_lo, exec_lo, s9
.LBB220_474:                            ;   in Loop: Header=BB220_10 Depth=1
	s_delay_alu instid0(SALU_CYCLE_1) | instskip(SKIP_4) | instid1(VALU_DEP_3)
	s_or_b32 exec_lo, exec_lo, s8
	v_lshrrev_b32_e32 v1, 16, v0
	v_mov_b64_e32 v[92:93], 0
	v_mov_b64_e32 v[20:21], 0
	s_mov_b32 s8, exec_lo
	v_and_b32_e32 v2, 0xff, v1
	s_delay_alu instid0(VALU_DEP_1)
	v_cmpx_ne_u16_e32 0, v2
	s_cbranch_execz .LBB220_482
; %bb.475:                              ;   in Loop: Header=BB220_10 Depth=1
	v_mov_b64_e32 v[20:21], 0x80000000
	s_mov_b32 s9, exec_lo
	v_cmpx_ne_u16_e32 0x80, v2
	s_cbranch_execz .LBB220_481
; %bb.476:                              ;   in Loop: Header=BB220_10 Depth=1
	v_mov_b64_e32 v[20:21], 0x7f800001
	v_bfe_u32 v3, v0, 16, 7
	s_mov_b32 s11, exec_lo
	s_delay_alu instid0(VALU_DEP_1)
	v_cmpx_ne_u32_e32 0x7f, v3
	s_cbranch_execz .LBB220_480
; %bb.477:                              ;   in Loop: Header=BB220_10 Depth=1
	v_dual_lshrrev_b32 v2, 3, v3 :: v_dual_bitop2_b32 v76, 7, v1 bitop3:0x40
	s_mov_b32 s16, exec_lo
	v_cmpx_gt_u32_e32 8, v3
; %bb.478:                              ;   in Loop: Header=BB220_10 Depth=1
	s_delay_alu instid0(VALU_DEP_2) | instskip(NEXT) | instid1(VALU_DEP_1)
	v_clz_i32_u32_e32 v2, v76
	v_min_u32_e32 v2, 32, v2
	s_delay_alu instid0(VALU_DEP_1) | instskip(NEXT) | instid1(VALU_DEP_1)
	v_subrev_nc_u32_e32 v3, 28, v2
	v_lshlrev_b64_e32 v[4:5], v3, v[76:77]
	s_delay_alu instid0(VALU_DEP_1)
	v_dual_sub_nc_u32 v2, 29, v2 :: v_dual_bitop2_b32 v76, 7, v4 bitop3:0x40
; %bb.479:                              ;   in Loop: Header=BB220_10 Depth=1
	s_or_b32 exec_lo, exec_lo, s16
	s_delay_alu instid0(VALU_DEP_1) | instskip(NEXT) | instid1(VALU_DEP_2)
	v_dual_lshlrev_b32 v1, 24, v1 :: v_dual_lshlrev_b32 v3, 20, v76
	v_lshl_add_u32 v2, v2, 23, 0x3c000000
	s_delay_alu instid0(VALU_DEP_2) | instskip(NEXT) | instid1(VALU_DEP_1)
	v_and_b32_e32 v1, 0x80000000, v1
	v_or3_b32 v76, v3, v1, v2
	s_delay_alu instid0(VALU_DEP_1)
	v_mov_b64_e32 v[20:21], v[76:77]
.LBB220_480:                            ;   in Loop: Header=BB220_10 Depth=1
	s_or_b32 exec_lo, exec_lo, s11
.LBB220_481:                            ;   in Loop: Header=BB220_10 Depth=1
	s_delay_alu instid0(SALU_CYCLE_1)
	s_or_b32 exec_lo, exec_lo, s9
.LBB220_482:                            ;   in Loop: Header=BB220_10 Depth=1
	s_delay_alu instid0(SALU_CYCLE_1) | instskip(NEXT) | instid1(SALU_CYCLE_1)
	s_or_b32 exec_lo, exec_lo, s8
	s_mov_b32 s8, exec_lo
	v_cmpx_lt_u32_e32 0xffffff, v0
	s_cbranch_execz .LBB220_490
; %bb.483:                              ;   in Loop: Header=BB220_10 Depth=1
	v_mov_b64_e32 v[92:93], 0x8000000000000000
	v_lshrrev_b32_e32 v1, 24, v0
	s_mov_b32 s9, exec_lo
	s_delay_alu instid0(VALU_DEP_1)
	v_cmpx_ne_u32_e32 0x80, v1
	s_cbranch_execz .LBB220_489
; %bb.484:                              ;   in Loop: Header=BB220_10 Depth=1
	v_mov_b64_e32 v[92:93], 0x7f80000100000000
	v_bfe_u32 v2, v0, 24, 7
	s_mov_b32 s11, exec_lo
	s_delay_alu instid0(VALU_DEP_1)
	v_cmpx_ne_u32_e32 0x7f, v2
	s_cbranch_execz .LBB220_488
; %bb.485:                              ;   in Loop: Header=BB220_10 Depth=1
	v_dual_lshrrev_b32 v0, 3, v2 :: v_dual_bitop2_b32 v76, 7, v1 bitop3:0x40
	s_mov_b32 s16, exec_lo
	v_cmpx_gt_u32_e32 8, v2
; %bb.486:                              ;   in Loop: Header=BB220_10 Depth=1
	s_delay_alu instid0(VALU_DEP_2) | instskip(NEXT) | instid1(VALU_DEP_1)
	v_clz_i32_u32_e32 v0, v76
	v_min_u32_e32 v0, 32, v0
	s_delay_alu instid0(VALU_DEP_1) | instskip(NEXT) | instid1(VALU_DEP_1)
	v_subrev_nc_u32_e32 v2, 28, v0
	v_lshlrev_b64_e32 v[2:3], v2, v[76:77]
	s_delay_alu instid0(VALU_DEP_1)
	v_dual_sub_nc_u32 v0, 29, v0 :: v_dual_bitop2_b32 v76, 7, v2 bitop3:0x40
; %bb.487:                              ;   in Loop: Header=BB220_10 Depth=1
	s_or_b32 exec_lo, exec_lo, s16
	s_delay_alu instid0(VALU_DEP_1) | instskip(NEXT) | instid1(VALU_DEP_2)
	v_dual_lshlrev_b32 v1, 24, v1 :: v_dual_lshlrev_b32 v2, 20, v76
	v_lshl_add_u32 v0, v0, 23, 0x3c000000
	v_mov_b32_e32 v92, v77
	s_delay_alu instid0(VALU_DEP_3) | instskip(NEXT) | instid1(VALU_DEP_1)
	v_and_b32_e32 v1, 0x80000000, v1
	v_or3_b32 v93, v2, v1, v0
.LBB220_488:                            ;   in Loop: Header=BB220_10 Depth=1
	s_or_b32 exec_lo, exec_lo, s11
.LBB220_489:                            ;   in Loop: Header=BB220_10 Depth=1
	s_delay_alu instid0(SALU_CYCLE_1)
	s_or_b32 exec_lo, exec_lo, s9
.LBB220_490:                            ;   in Loop: Header=BB220_10 Depth=1
	s_delay_alu instid0(SALU_CYCLE_1)
	s_or_b32 exec_lo, exec_lo, s8
	flat_load_b32 v0, v[110:111] offset:1548
	v_mov_b64_e32 v[104:105], 0
	v_mov_b64_e32 v[108:109], 0
	s_mov_b32 s8, exec_lo
	s_wait_loadcnt_dscnt 0x0
	v_and_b32_e32 v1, 0xff, v0
	s_wait_xcnt 0x0
	s_delay_alu instid0(VALU_DEP_1)
	v_cmpx_ne_u16_e32 0, v1
	s_cbranch_execz .LBB220_498
; %bb.491:                              ;   in Loop: Header=BB220_10 Depth=1
	v_mov_b64_e32 v[108:109], 0x80000000
	s_mov_b32 s9, exec_lo
	v_cmpx_ne_u16_e32 0x80, v1
	s_cbranch_execz .LBB220_497
; %bb.492:                              ;   in Loop: Header=BB220_10 Depth=1
	v_mov_b64_e32 v[108:109], 0x7f800001
	v_and_b32_e32 v2, 0x7f, v0
	s_mov_b32 s11, exec_lo
	s_delay_alu instid0(VALU_DEP_1)
	v_cmpx_ne_u32_e32 0x7f, v2
	s_cbranch_execz .LBB220_496
; %bb.493:                              ;   in Loop: Header=BB220_10 Depth=1
	v_dual_lshrrev_b32 v1, 3, v2 :: v_dual_bitop2_b32 v76, 7, v0 bitop3:0x40
	s_mov_b32 s16, exec_lo
	v_cmpx_gt_u32_e32 8, v2
; %bb.494:                              ;   in Loop: Header=BB220_10 Depth=1
	s_delay_alu instid0(VALU_DEP_2) | instskip(NEXT) | instid1(VALU_DEP_1)
	v_clz_i32_u32_e32 v1, v76
	v_min_u32_e32 v1, 32, v1
	s_delay_alu instid0(VALU_DEP_1) | instskip(NEXT) | instid1(VALU_DEP_1)
	v_subrev_nc_u32_e32 v2, 28, v1
	v_lshlrev_b64_e32 v[2:3], v2, v[76:77]
	s_delay_alu instid0(VALU_DEP_1)
	v_dual_sub_nc_u32 v1, 29, v1 :: v_dual_bitop2_b32 v76, 7, v2 bitop3:0x40
; %bb.495:                              ;   in Loop: Header=BB220_10 Depth=1
	s_or_b32 exec_lo, exec_lo, s16
	v_lshlrev_b32_e32 v2, 24, v0
	s_delay_alu instid0(VALU_DEP_2) | instskip(NEXT) | instid1(VALU_DEP_3)
	v_lshlrev_b32_e32 v3, 20, v76
	v_lshl_add_u32 v1, v1, 23, 0x3c000000
	s_delay_alu instid0(VALU_DEP_3) | instskip(NEXT) | instid1(VALU_DEP_1)
	v_and_b32_e32 v2, 0x80000000, v2
	v_or3_b32 v76, v3, v2, v1
	s_delay_alu instid0(VALU_DEP_1)
	v_mov_b64_e32 v[108:109], v[76:77]
.LBB220_496:                            ;   in Loop: Header=BB220_10 Depth=1
	s_or_b32 exec_lo, exec_lo, s11
.LBB220_497:                            ;   in Loop: Header=BB220_10 Depth=1
	s_delay_alu instid0(SALU_CYCLE_1)
	s_or_b32 exec_lo, exec_lo, s9
.LBB220_498:                            ;   in Loop: Header=BB220_10 Depth=1
	s_delay_alu instid0(SALU_CYCLE_1) | instskip(SKIP_2) | instid1(VALU_DEP_1)
	s_or_b32 exec_lo, exec_lo, s8
	v_lshrrev_b16 v1, 8, v0
	s_mov_b32 s8, exec_lo
	v_cmpx_ne_u16_e32 0, v1
	s_cbranch_execz .LBB220_506
; %bb.499:                              ;   in Loop: Header=BB220_10 Depth=1
	v_mov_b64_e32 v[104:105], 0x8000000000000000
	s_mov_b32 s9, exec_lo
	v_cmpx_ne_u16_e32 0x80, v1
	s_cbranch_execz .LBB220_505
; %bb.500:                              ;   in Loop: Header=BB220_10 Depth=1
	v_and_b32_e32 v1, 0xffff, v1
	v_mov_b64_e32 v[104:105], 0x7f80000100000000
	s_mov_b32 s11, exec_lo
	s_delay_alu instid0(VALU_DEP_2) | instskip(NEXT) | instid1(VALU_DEP_1)
	v_and_b32_e32 v2, 0x7f, v1
	v_cmpx_ne_u32_e32 0x7f, v2
	s_cbranch_execz .LBB220_504
; %bb.501:                              ;   in Loop: Header=BB220_10 Depth=1
	v_dual_lshrrev_b32 v1, 3, v2 :: v_dual_bitop2_b32 v76, 7, v1 bitop3:0x40
	s_mov_b32 s16, exec_lo
	v_cmpx_gt_u32_e32 8, v2
; %bb.502:                              ;   in Loop: Header=BB220_10 Depth=1
	s_delay_alu instid0(VALU_DEP_2) | instskip(NEXT) | instid1(VALU_DEP_1)
	v_clz_i32_u32_e32 v1, v76
	v_min_u32_e32 v1, 32, v1
	s_delay_alu instid0(VALU_DEP_1) | instskip(NEXT) | instid1(VALU_DEP_1)
	v_subrev_nc_u32_e32 v2, 28, v1
	v_lshlrev_b64_e32 v[2:3], v2, v[76:77]
	s_delay_alu instid0(VALU_DEP_1)
	v_dual_sub_nc_u32 v1, 29, v1 :: v_dual_bitop2_b32 v76, 7, v2 bitop3:0x40
; %bb.503:                              ;   in Loop: Header=BB220_10 Depth=1
	s_or_b32 exec_lo, exec_lo, s16
	v_dual_lshlrev_b32 v2, 16, v0 :: v_dual_mov_b32 v104, v77
	s_delay_alu instid0(VALU_DEP_2) | instskip(NEXT) | instid1(VALU_DEP_3)
	v_lshlrev_b32_e32 v3, 20, v76
	v_lshl_add_u32 v1, v1, 23, 0x3c000000
	s_delay_alu instid0(VALU_DEP_3) | instskip(NEXT) | instid1(VALU_DEP_1)
	v_and_b32_e32 v2, 0x80000000, v2
	v_or3_b32 v105, v3, v2, v1
.LBB220_504:                            ;   in Loop: Header=BB220_10 Depth=1
	s_or_b32 exec_lo, exec_lo, s11
.LBB220_505:                            ;   in Loop: Header=BB220_10 Depth=1
	s_delay_alu instid0(SALU_CYCLE_1)
	s_or_b32 exec_lo, exec_lo, s9
.LBB220_506:                            ;   in Loop: Header=BB220_10 Depth=1
	s_delay_alu instid0(SALU_CYCLE_1) | instskip(SKIP_4) | instid1(VALU_DEP_3)
	s_or_b32 exec_lo, exec_lo, s8
	v_lshrrev_b32_e32 v1, 16, v0
	v_mov_b64_e32 v[90:91], 0
	v_mov_b64_e32 v[94:95], 0
	s_mov_b32 s8, exec_lo
	v_and_b32_e32 v2, 0xff, v1
	s_delay_alu instid0(VALU_DEP_1)
	v_cmpx_ne_u16_e32 0, v2
	s_cbranch_execz .LBB220_514
; %bb.507:                              ;   in Loop: Header=BB220_10 Depth=1
	v_mov_b64_e32 v[94:95], 0x80000000
	s_mov_b32 s9, exec_lo
	v_cmpx_ne_u16_e32 0x80, v2
	s_cbranch_execz .LBB220_513
; %bb.508:                              ;   in Loop: Header=BB220_10 Depth=1
	v_mov_b64_e32 v[94:95], 0x7f800001
	v_bfe_u32 v3, v0, 16, 7
	s_mov_b32 s11, exec_lo
	s_delay_alu instid0(VALU_DEP_1)
	v_cmpx_ne_u32_e32 0x7f, v3
	s_cbranch_execz .LBB220_512
; %bb.509:                              ;   in Loop: Header=BB220_10 Depth=1
	v_dual_lshrrev_b32 v2, 3, v3 :: v_dual_bitop2_b32 v76, 7, v1 bitop3:0x40
	s_mov_b32 s16, exec_lo
	v_cmpx_gt_u32_e32 8, v3
; %bb.510:                              ;   in Loop: Header=BB220_10 Depth=1
	s_delay_alu instid0(VALU_DEP_2) | instskip(NEXT) | instid1(VALU_DEP_1)
	v_clz_i32_u32_e32 v2, v76
	v_min_u32_e32 v2, 32, v2
	s_delay_alu instid0(VALU_DEP_1) | instskip(NEXT) | instid1(VALU_DEP_1)
	v_subrev_nc_u32_e32 v3, 28, v2
	v_lshlrev_b64_e32 v[4:5], v3, v[76:77]
	s_delay_alu instid0(VALU_DEP_1)
	v_dual_sub_nc_u32 v2, 29, v2 :: v_dual_bitop2_b32 v76, 7, v4 bitop3:0x40
; %bb.511:                              ;   in Loop: Header=BB220_10 Depth=1
	s_or_b32 exec_lo, exec_lo, s16
	s_delay_alu instid0(VALU_DEP_1) | instskip(NEXT) | instid1(VALU_DEP_2)
	v_dual_lshlrev_b32 v1, 24, v1 :: v_dual_lshlrev_b32 v3, 20, v76
	v_lshl_add_u32 v2, v2, 23, 0x3c000000
	s_delay_alu instid0(VALU_DEP_2) | instskip(NEXT) | instid1(VALU_DEP_1)
	v_and_b32_e32 v1, 0x80000000, v1
	v_or3_b32 v76, v3, v1, v2
	s_delay_alu instid0(VALU_DEP_1)
	v_mov_b64_e32 v[94:95], v[76:77]
.LBB220_512:                            ;   in Loop: Header=BB220_10 Depth=1
	s_or_b32 exec_lo, exec_lo, s11
.LBB220_513:                            ;   in Loop: Header=BB220_10 Depth=1
	s_delay_alu instid0(SALU_CYCLE_1)
	s_or_b32 exec_lo, exec_lo, s9
.LBB220_514:                            ;   in Loop: Header=BB220_10 Depth=1
	s_delay_alu instid0(SALU_CYCLE_1) | instskip(NEXT) | instid1(SALU_CYCLE_1)
	s_or_b32 exec_lo, exec_lo, s8
	s_mov_b32 s8, exec_lo
	v_cmpx_lt_u32_e32 0xffffff, v0
	s_cbranch_execz .LBB220_522
; %bb.515:                              ;   in Loop: Header=BB220_10 Depth=1
	v_mov_b64_e32 v[90:91], 0x8000000000000000
	v_lshrrev_b32_e32 v1, 24, v0
	s_mov_b32 s9, exec_lo
	s_delay_alu instid0(VALU_DEP_1)
	v_cmpx_ne_u32_e32 0x80, v1
	s_cbranch_execz .LBB220_521
; %bb.516:                              ;   in Loop: Header=BB220_10 Depth=1
	v_mov_b64_e32 v[90:91], 0x7f80000100000000
	v_bfe_u32 v2, v0, 24, 7
	s_mov_b32 s11, exec_lo
	s_delay_alu instid0(VALU_DEP_1)
	v_cmpx_ne_u32_e32 0x7f, v2
	s_cbranch_execz .LBB220_520
; %bb.517:                              ;   in Loop: Header=BB220_10 Depth=1
	v_dual_lshrrev_b32 v0, 3, v2 :: v_dual_bitop2_b32 v76, 7, v1 bitop3:0x40
	s_mov_b32 s16, exec_lo
	v_cmpx_gt_u32_e32 8, v2
; %bb.518:                              ;   in Loop: Header=BB220_10 Depth=1
	s_delay_alu instid0(VALU_DEP_2) | instskip(NEXT) | instid1(VALU_DEP_1)
	v_clz_i32_u32_e32 v0, v76
	v_min_u32_e32 v0, 32, v0
	s_delay_alu instid0(VALU_DEP_1) | instskip(NEXT) | instid1(VALU_DEP_1)
	v_subrev_nc_u32_e32 v2, 28, v0
	v_lshlrev_b64_e32 v[2:3], v2, v[76:77]
	s_delay_alu instid0(VALU_DEP_1)
	v_dual_sub_nc_u32 v0, 29, v0 :: v_dual_bitop2_b32 v76, 7, v2 bitop3:0x40
; %bb.519:                              ;   in Loop: Header=BB220_10 Depth=1
	s_or_b32 exec_lo, exec_lo, s16
	s_delay_alu instid0(VALU_DEP_1) | instskip(NEXT) | instid1(VALU_DEP_2)
	v_dual_lshlrev_b32 v1, 24, v1 :: v_dual_lshlrev_b32 v2, 20, v76
	v_lshl_add_u32 v0, v0, 23, 0x3c000000
	v_mov_b32_e32 v90, v77
	s_delay_alu instid0(VALU_DEP_3) | instskip(NEXT) | instid1(VALU_DEP_1)
	v_and_b32_e32 v1, 0x80000000, v1
	v_or3_b32 v91, v2, v1, v0
.LBB220_520:                            ;   in Loop: Header=BB220_10 Depth=1
	s_or_b32 exec_lo, exec_lo, s11
.LBB220_521:                            ;   in Loop: Header=BB220_10 Depth=1
	s_delay_alu instid0(SALU_CYCLE_1)
	s_or_b32 exec_lo, exec_lo, s9
.LBB220_522:                            ;   in Loop: Header=BB220_10 Depth=1
	s_delay_alu instid0(SALU_CYCLE_1)
	s_or_b32 exec_lo, exec_lo, s8
	flat_load_b32 v0, v[110:111] offset:2048
	v_mov_b64_e32 v[122:123], 0
	v_mov_b64_e32 v[106:107], 0
	s_mov_b32 s8, exec_lo
	s_wait_loadcnt_dscnt 0x0
	v_and_b32_e32 v1, 0xff, v0
	s_wait_xcnt 0x0
	s_delay_alu instid0(VALU_DEP_1)
	v_cmpx_ne_u16_e32 0, v1
	s_cbranch_execz .LBB220_530
; %bb.523:                              ;   in Loop: Header=BB220_10 Depth=1
	v_mov_b64_e32 v[106:107], 0x80000000
	s_mov_b32 s9, exec_lo
	v_cmpx_ne_u16_e32 0x80, v1
	s_cbranch_execz .LBB220_529
; %bb.524:                              ;   in Loop: Header=BB220_10 Depth=1
	v_mov_b64_e32 v[106:107], 0x7f800001
	v_and_b32_e32 v2, 0x7f, v0
	s_mov_b32 s11, exec_lo
	s_delay_alu instid0(VALU_DEP_1)
	v_cmpx_ne_u32_e32 0x7f, v2
	s_cbranch_execz .LBB220_528
; %bb.525:                              ;   in Loop: Header=BB220_10 Depth=1
	v_dual_lshrrev_b32 v1, 3, v2 :: v_dual_bitop2_b32 v76, 7, v0 bitop3:0x40
	s_mov_b32 s16, exec_lo
	v_cmpx_gt_u32_e32 8, v2
; %bb.526:                              ;   in Loop: Header=BB220_10 Depth=1
	s_delay_alu instid0(VALU_DEP_2) | instskip(NEXT) | instid1(VALU_DEP_1)
	v_clz_i32_u32_e32 v1, v76
	v_min_u32_e32 v1, 32, v1
	s_delay_alu instid0(VALU_DEP_1) | instskip(NEXT) | instid1(VALU_DEP_1)
	v_subrev_nc_u32_e32 v2, 28, v1
	v_lshlrev_b64_e32 v[2:3], v2, v[76:77]
	s_delay_alu instid0(VALU_DEP_1)
	v_dual_sub_nc_u32 v1, 29, v1 :: v_dual_bitop2_b32 v76, 7, v2 bitop3:0x40
; %bb.527:                              ;   in Loop: Header=BB220_10 Depth=1
	s_or_b32 exec_lo, exec_lo, s16
	v_lshlrev_b32_e32 v2, 24, v0
	s_delay_alu instid0(VALU_DEP_2) | instskip(NEXT) | instid1(VALU_DEP_3)
	v_lshlrev_b32_e32 v3, 20, v76
	v_lshl_add_u32 v1, v1, 23, 0x3c000000
	s_delay_alu instid0(VALU_DEP_3) | instskip(NEXT) | instid1(VALU_DEP_1)
	v_and_b32_e32 v2, 0x80000000, v2
	v_or3_b32 v76, v3, v2, v1
	s_delay_alu instid0(VALU_DEP_1)
	v_mov_b64_e32 v[106:107], v[76:77]
.LBB220_528:                            ;   in Loop: Header=BB220_10 Depth=1
	s_or_b32 exec_lo, exec_lo, s11
.LBB220_529:                            ;   in Loop: Header=BB220_10 Depth=1
	s_delay_alu instid0(SALU_CYCLE_1)
	s_or_b32 exec_lo, exec_lo, s9
.LBB220_530:                            ;   in Loop: Header=BB220_10 Depth=1
	s_delay_alu instid0(SALU_CYCLE_1) | instskip(SKIP_2) | instid1(VALU_DEP_1)
	s_or_b32 exec_lo, exec_lo, s8
	v_lshrrev_b16 v1, 8, v0
	s_mov_b32 s8, exec_lo
	v_cmpx_ne_u16_e32 0, v1
	s_cbranch_execz .LBB220_538
; %bb.531:                              ;   in Loop: Header=BB220_10 Depth=1
	v_mov_b64_e32 v[122:123], 0x8000000000000000
	s_mov_b32 s9, exec_lo
	v_cmpx_ne_u16_e32 0x80, v1
	s_cbranch_execz .LBB220_537
; %bb.532:                              ;   in Loop: Header=BB220_10 Depth=1
	v_and_b32_e32 v1, 0xffff, v1
	v_mov_b64_e32 v[122:123], 0x7f80000100000000
	s_mov_b32 s11, exec_lo
	s_delay_alu instid0(VALU_DEP_2) | instskip(NEXT) | instid1(VALU_DEP_1)
	v_and_b32_e32 v2, 0x7f, v1
	v_cmpx_ne_u32_e32 0x7f, v2
	s_cbranch_execz .LBB220_536
; %bb.533:                              ;   in Loop: Header=BB220_10 Depth=1
	v_dual_lshrrev_b32 v1, 3, v2 :: v_dual_bitop2_b32 v76, 7, v1 bitop3:0x40
	s_mov_b32 s16, exec_lo
	v_cmpx_gt_u32_e32 8, v2
; %bb.534:                              ;   in Loop: Header=BB220_10 Depth=1
	s_delay_alu instid0(VALU_DEP_2) | instskip(NEXT) | instid1(VALU_DEP_1)
	v_clz_i32_u32_e32 v1, v76
	v_min_u32_e32 v1, 32, v1
	s_delay_alu instid0(VALU_DEP_1) | instskip(NEXT) | instid1(VALU_DEP_1)
	v_subrev_nc_u32_e32 v2, 28, v1
	v_lshlrev_b64_e32 v[2:3], v2, v[76:77]
	s_delay_alu instid0(VALU_DEP_1)
	v_dual_sub_nc_u32 v1, 29, v1 :: v_dual_bitop2_b32 v76, 7, v2 bitop3:0x40
; %bb.535:                              ;   in Loop: Header=BB220_10 Depth=1
	s_or_b32 exec_lo, exec_lo, s16
	v_dual_lshlrev_b32 v2, 16, v0 :: v_dual_mov_b32 v122, v77
	s_delay_alu instid0(VALU_DEP_2) | instskip(NEXT) | instid1(VALU_DEP_3)
	v_lshlrev_b32_e32 v3, 20, v76
	v_lshl_add_u32 v1, v1, 23, 0x3c000000
	s_delay_alu instid0(VALU_DEP_3) | instskip(NEXT) | instid1(VALU_DEP_1)
	v_and_b32_e32 v2, 0x80000000, v2
	v_or3_b32 v123, v3, v2, v1
.LBB220_536:                            ;   in Loop: Header=BB220_10 Depth=1
	s_or_b32 exec_lo, exec_lo, s11
.LBB220_537:                            ;   in Loop: Header=BB220_10 Depth=1
	s_delay_alu instid0(SALU_CYCLE_1)
	s_or_b32 exec_lo, exec_lo, s9
.LBB220_538:                            ;   in Loop: Header=BB220_10 Depth=1
	s_delay_alu instid0(SALU_CYCLE_1) | instskip(SKIP_4) | instid1(VALU_DEP_3)
	s_or_b32 exec_lo, exec_lo, s8
	v_lshrrev_b32_e32 v1, 16, v0
	v_mov_b64_e32 v[126:127], 0
	v_mov_b64_e32 v[120:121], 0
	s_mov_b32 s8, exec_lo
	v_and_b32_e32 v2, 0xff, v1
	s_delay_alu instid0(VALU_DEP_1)
	v_cmpx_ne_u16_e32 0, v2
	s_cbranch_execz .LBB220_546
; %bb.539:                              ;   in Loop: Header=BB220_10 Depth=1
	v_mov_b64_e32 v[120:121], 0x80000000
	s_mov_b32 s9, exec_lo
	v_cmpx_ne_u16_e32 0x80, v2
	s_cbranch_execz .LBB220_545
; %bb.540:                              ;   in Loop: Header=BB220_10 Depth=1
	v_mov_b64_e32 v[120:121], 0x7f800001
	v_bfe_u32 v3, v0, 16, 7
	s_mov_b32 s11, exec_lo
	s_delay_alu instid0(VALU_DEP_1)
	v_cmpx_ne_u32_e32 0x7f, v3
	s_cbranch_execz .LBB220_544
; %bb.541:                              ;   in Loop: Header=BB220_10 Depth=1
	v_dual_lshrrev_b32 v2, 3, v3 :: v_dual_bitop2_b32 v76, 7, v1 bitop3:0x40
	s_mov_b32 s16, exec_lo
	v_cmpx_gt_u32_e32 8, v3
; %bb.542:                              ;   in Loop: Header=BB220_10 Depth=1
	s_delay_alu instid0(VALU_DEP_2) | instskip(NEXT) | instid1(VALU_DEP_1)
	v_clz_i32_u32_e32 v2, v76
	v_min_u32_e32 v2, 32, v2
	s_delay_alu instid0(VALU_DEP_1) | instskip(NEXT) | instid1(VALU_DEP_1)
	v_subrev_nc_u32_e32 v3, 28, v2
	v_lshlrev_b64_e32 v[4:5], v3, v[76:77]
	s_delay_alu instid0(VALU_DEP_1)
	v_dual_sub_nc_u32 v2, 29, v2 :: v_dual_bitop2_b32 v76, 7, v4 bitop3:0x40
; %bb.543:                              ;   in Loop: Header=BB220_10 Depth=1
	s_or_b32 exec_lo, exec_lo, s16
	s_delay_alu instid0(VALU_DEP_1) | instskip(NEXT) | instid1(VALU_DEP_2)
	v_dual_lshlrev_b32 v1, 24, v1 :: v_dual_lshlrev_b32 v3, 20, v76
	v_lshl_add_u32 v2, v2, 23, 0x3c000000
	s_delay_alu instid0(VALU_DEP_2) | instskip(NEXT) | instid1(VALU_DEP_1)
	v_and_b32_e32 v1, 0x80000000, v1
	v_or3_b32 v76, v3, v1, v2
	s_delay_alu instid0(VALU_DEP_1)
	v_mov_b64_e32 v[120:121], v[76:77]
.LBB220_544:                            ;   in Loop: Header=BB220_10 Depth=1
	s_or_b32 exec_lo, exec_lo, s11
.LBB220_545:                            ;   in Loop: Header=BB220_10 Depth=1
	s_delay_alu instid0(SALU_CYCLE_1)
	s_or_b32 exec_lo, exec_lo, s9
.LBB220_546:                            ;   in Loop: Header=BB220_10 Depth=1
	s_delay_alu instid0(SALU_CYCLE_1) | instskip(NEXT) | instid1(SALU_CYCLE_1)
	s_or_b32 exec_lo, exec_lo, s8
	s_mov_b32 s8, exec_lo
	v_cmpx_lt_u32_e32 0xffffff, v0
	s_cbranch_execz .LBB220_554
; %bb.547:                              ;   in Loop: Header=BB220_10 Depth=1
	v_mov_b64_e32 v[126:127], 0x8000000000000000
	v_lshrrev_b32_e32 v1, 24, v0
	s_mov_b32 s9, exec_lo
	s_delay_alu instid0(VALU_DEP_1)
	v_cmpx_ne_u32_e32 0x80, v1
	s_cbranch_execz .LBB220_553
; %bb.548:                              ;   in Loop: Header=BB220_10 Depth=1
	v_mov_b64_e32 v[126:127], 0x7f80000100000000
	v_bfe_u32 v2, v0, 24, 7
	s_mov_b32 s11, exec_lo
	s_delay_alu instid0(VALU_DEP_1)
	v_cmpx_ne_u32_e32 0x7f, v2
	s_cbranch_execz .LBB220_552
; %bb.549:                              ;   in Loop: Header=BB220_10 Depth=1
	v_dual_lshrrev_b32 v0, 3, v2 :: v_dual_bitop2_b32 v76, 7, v1 bitop3:0x40
	s_mov_b32 s16, exec_lo
	v_cmpx_gt_u32_e32 8, v2
; %bb.550:                              ;   in Loop: Header=BB220_10 Depth=1
	s_delay_alu instid0(VALU_DEP_2) | instskip(NEXT) | instid1(VALU_DEP_1)
	v_clz_i32_u32_e32 v0, v76
	v_min_u32_e32 v0, 32, v0
	s_delay_alu instid0(VALU_DEP_1) | instskip(NEXT) | instid1(VALU_DEP_1)
	v_subrev_nc_u32_e32 v2, 28, v0
	v_lshlrev_b64_e32 v[2:3], v2, v[76:77]
	s_delay_alu instid0(VALU_DEP_1)
	v_dual_sub_nc_u32 v0, 29, v0 :: v_dual_bitop2_b32 v76, 7, v2 bitop3:0x40
; %bb.551:                              ;   in Loop: Header=BB220_10 Depth=1
	s_or_b32 exec_lo, exec_lo, s16
	s_delay_alu instid0(VALU_DEP_1) | instskip(NEXT) | instid1(VALU_DEP_2)
	v_dual_lshlrev_b32 v1, 24, v1 :: v_dual_lshlrev_b32 v2, 20, v76
	v_lshl_add_u32 v0, v0, 23, 0x3c000000
	v_mov_b32_e32 v126, v77
	s_delay_alu instid0(VALU_DEP_3) | instskip(NEXT) | instid1(VALU_DEP_1)
	v_and_b32_e32 v1, 0x80000000, v1
	v_or3_b32 v127, v2, v1, v0
.LBB220_552:                            ;   in Loop: Header=BB220_10 Depth=1
	s_or_b32 exec_lo, exec_lo, s11
.LBB220_553:                            ;   in Loop: Header=BB220_10 Depth=1
	s_delay_alu instid0(SALU_CYCLE_1)
	s_or_b32 exec_lo, exec_lo, s9
.LBB220_554:                            ;   in Loop: Header=BB220_10 Depth=1
	s_delay_alu instid0(SALU_CYCLE_1)
	s_or_b32 exec_lo, exec_lo, s8
	flat_load_b32 v4, v[110:111] offset:2052
	v_mov_b64_e32 v[74:75], 0
	v_mov_b64_e32 v[72:73], 0
	s_mov_b32 s8, exec_lo
	s_wait_loadcnt_dscnt 0x0
	v_and_b32_e32 v0, 0xff, v4
	s_wait_xcnt 0x0
	s_delay_alu instid0(VALU_DEP_1)
	v_cmpx_ne_u16_e32 0, v0
	s_cbranch_execz .LBB220_562
; %bb.555:                              ;   in Loop: Header=BB220_10 Depth=1
	v_mov_b64_e32 v[72:73], 0x80000000
	s_mov_b32 s9, exec_lo
	v_cmpx_ne_u16_e32 0x80, v0
	s_cbranch_execz .LBB220_561
; %bb.556:                              ;   in Loop: Header=BB220_10 Depth=1
	v_mov_b64_e32 v[72:73], 0x7f800001
	v_and_b32_e32 v1, 0x7f, v4
	s_mov_b32 s11, exec_lo
	s_delay_alu instid0(VALU_DEP_1)
	v_cmpx_ne_u32_e32 0x7f, v1
	s_cbranch_execz .LBB220_560
; %bb.557:                              ;   in Loop: Header=BB220_10 Depth=1
	v_dual_lshrrev_b32 v0, 3, v1 :: v_dual_bitop2_b32 v76, 7, v4 bitop3:0x40
	s_mov_b32 s16, exec_lo
	v_cmpx_gt_u32_e32 8, v1
; %bb.558:                              ;   in Loop: Header=BB220_10 Depth=1
	s_delay_alu instid0(VALU_DEP_2) | instskip(NEXT) | instid1(VALU_DEP_1)
	v_clz_i32_u32_e32 v0, v76
	v_min_u32_e32 v0, 32, v0
	s_delay_alu instid0(VALU_DEP_1) | instskip(NEXT) | instid1(VALU_DEP_1)
	v_subrev_nc_u32_e32 v1, 28, v0
	v_lshlrev_b64_e32 v[2:3], v1, v[76:77]
	s_delay_alu instid0(VALU_DEP_1)
	v_dual_sub_nc_u32 v0, 29, v0 :: v_dual_bitop2_b32 v76, 7, v2 bitop3:0x40
; %bb.559:                              ;   in Loop: Header=BB220_10 Depth=1
	s_or_b32 exec_lo, exec_lo, s16
	v_lshlrev_b32_e32 v1, 24, v4
	s_delay_alu instid0(VALU_DEP_2) | instskip(NEXT) | instid1(VALU_DEP_3)
	v_lshlrev_b32_e32 v2, 20, v76
	v_lshl_add_u32 v0, v0, 23, 0x3c000000
	s_delay_alu instid0(VALU_DEP_3) | instskip(NEXT) | instid1(VALU_DEP_1)
	v_and_b32_e32 v1, 0x80000000, v1
	v_or3_b32 v76, v2, v1, v0
	s_delay_alu instid0(VALU_DEP_1)
	v_mov_b64_e32 v[72:73], v[76:77]
.LBB220_560:                            ;   in Loop: Header=BB220_10 Depth=1
	s_or_b32 exec_lo, exec_lo, s11
.LBB220_561:                            ;   in Loop: Header=BB220_10 Depth=1
	s_delay_alu instid0(SALU_CYCLE_1)
	s_or_b32 exec_lo, exec_lo, s9
.LBB220_562:                            ;   in Loop: Header=BB220_10 Depth=1
	s_delay_alu instid0(SALU_CYCLE_1) | instskip(SKIP_2) | instid1(VALU_DEP_1)
	s_or_b32 exec_lo, exec_lo, s8
	v_lshrrev_b16 v0, 8, v4
	s_mov_b32 s8, exec_lo
	v_cmpx_ne_u16_e32 0, v0
	s_cbranch_execz .LBB220_570
; %bb.563:                              ;   in Loop: Header=BB220_10 Depth=1
	v_mov_b64_e32 v[74:75], 0x8000000000000000
	s_mov_b32 s9, exec_lo
	v_cmpx_ne_u16_e32 0x80, v0
	s_cbranch_execz .LBB220_569
; %bb.564:                              ;   in Loop: Header=BB220_10 Depth=1
	v_and_b32_e32 v0, 0xffff, v0
	v_mov_b64_e32 v[74:75], 0x7f80000100000000
	s_mov_b32 s11, exec_lo
	s_delay_alu instid0(VALU_DEP_2) | instskip(NEXT) | instid1(VALU_DEP_1)
	v_and_b32_e32 v1, 0x7f, v0
	v_cmpx_ne_u32_e32 0x7f, v1
	s_cbranch_execz .LBB220_568
; %bb.565:                              ;   in Loop: Header=BB220_10 Depth=1
	v_dual_lshrrev_b32 v0, 3, v1 :: v_dual_bitop2_b32 v76, 7, v0 bitop3:0x40
	s_mov_b32 s16, exec_lo
	v_cmpx_gt_u32_e32 8, v1
; %bb.566:                              ;   in Loop: Header=BB220_10 Depth=1
	s_delay_alu instid0(VALU_DEP_2) | instskip(NEXT) | instid1(VALU_DEP_1)
	v_clz_i32_u32_e32 v0, v76
	v_min_u32_e32 v0, 32, v0
	s_delay_alu instid0(VALU_DEP_1) | instskip(NEXT) | instid1(VALU_DEP_1)
	v_subrev_nc_u32_e32 v1, 28, v0
	v_lshlrev_b64_e32 v[2:3], v1, v[76:77]
	s_delay_alu instid0(VALU_DEP_1)
	v_dual_sub_nc_u32 v0, 29, v0 :: v_dual_bitop2_b32 v76, 7, v2 bitop3:0x40
; %bb.567:                              ;   in Loop: Header=BB220_10 Depth=1
	s_or_b32 exec_lo, exec_lo, s16
	v_dual_mov_b32 v74, v77 :: v_dual_lshlrev_b32 v1, 16, v4
	s_delay_alu instid0(VALU_DEP_2) | instskip(NEXT) | instid1(VALU_DEP_3)
	v_lshlrev_b32_e32 v2, 20, v76
	v_lshl_add_u32 v0, v0, 23, 0x3c000000
	s_delay_alu instid0(VALU_DEP_3) | instskip(NEXT) | instid1(VALU_DEP_1)
	v_and_b32_e32 v1, 0x80000000, v1
	v_or3_b32 v75, v2, v1, v0
.LBB220_568:                            ;   in Loop: Header=BB220_10 Depth=1
	s_or_b32 exec_lo, exec_lo, s11
.LBB220_569:                            ;   in Loop: Header=BB220_10 Depth=1
	s_delay_alu instid0(SALU_CYCLE_1)
	s_or_b32 exec_lo, exec_lo, s9
.LBB220_570:                            ;   in Loop: Header=BB220_10 Depth=1
	s_delay_alu instid0(SALU_CYCLE_1) | instskip(SKIP_4) | instid1(VALU_DEP_3)
	s_or_b32 exec_lo, exec_lo, s8
	v_lshrrev_b32_e32 v2, 16, v4
	v_mov_b64_e32 v[0:1], 0
	v_mov_b64_e32 v[124:125], 0
	s_mov_b32 s8, exec_lo
	v_and_b32_e32 v3, 0xff, v2
	s_delay_alu instid0(VALU_DEP_1)
	v_cmpx_ne_u16_e32 0, v3
	s_cbranch_execz .LBB220_578
; %bb.571:                              ;   in Loop: Header=BB220_10 Depth=1
	v_mov_b64_e32 v[124:125], 0x80000000
	s_mov_b32 s9, exec_lo
	v_cmpx_ne_u16_e32 0x80, v3
	s_cbranch_execz .LBB220_577
; %bb.572:                              ;   in Loop: Header=BB220_10 Depth=1
	v_mov_b64_e32 v[124:125], 0x7f800001
	v_bfe_u32 v5, v4, 16, 7
	s_mov_b32 s11, exec_lo
	s_delay_alu instid0(VALU_DEP_1)
	v_cmpx_ne_u32_e32 0x7f, v5
	s_cbranch_execz .LBB220_576
; %bb.573:                              ;   in Loop: Header=BB220_10 Depth=1
	v_dual_lshrrev_b32 v3, 3, v5 :: v_dual_bitop2_b32 v76, 7, v2 bitop3:0x40
	s_mov_b32 s16, exec_lo
	v_cmpx_gt_u32_e32 8, v5
; %bb.574:                              ;   in Loop: Header=BB220_10 Depth=1
	s_delay_alu instid0(VALU_DEP_2) | instskip(NEXT) | instid1(VALU_DEP_1)
	v_clz_i32_u32_e32 v3, v76
	v_min_u32_e32 v3, 32, v3
	s_delay_alu instid0(VALU_DEP_1) | instskip(NEXT) | instid1(VALU_DEP_1)
	v_subrev_nc_u32_e32 v5, 28, v3
	v_lshlrev_b64_e32 v[6:7], v5, v[76:77]
	s_delay_alu instid0(VALU_DEP_1)
	v_dual_sub_nc_u32 v3, 29, v3 :: v_dual_bitop2_b32 v76, 7, v6 bitop3:0x40
; %bb.575:                              ;   in Loop: Header=BB220_10 Depth=1
	s_or_b32 exec_lo, exec_lo, s16
	s_delay_alu instid0(VALU_DEP_1) | instskip(NEXT) | instid1(VALU_DEP_2)
	v_dual_lshlrev_b32 v2, 24, v2 :: v_dual_lshlrev_b32 v5, 20, v76
	v_lshl_add_u32 v3, v3, 23, 0x3c000000
	s_delay_alu instid0(VALU_DEP_2) | instskip(NEXT) | instid1(VALU_DEP_1)
	v_and_b32_e32 v2, 0x80000000, v2
	v_or3_b32 v76, v5, v2, v3
	s_delay_alu instid0(VALU_DEP_1)
	v_mov_b64_e32 v[124:125], v[76:77]
.LBB220_576:                            ;   in Loop: Header=BB220_10 Depth=1
	s_or_b32 exec_lo, exec_lo, s11
.LBB220_577:                            ;   in Loop: Header=BB220_10 Depth=1
	s_delay_alu instid0(SALU_CYCLE_1)
	s_or_b32 exec_lo, exec_lo, s9
.LBB220_578:                            ;   in Loop: Header=BB220_10 Depth=1
	s_delay_alu instid0(SALU_CYCLE_1) | instskip(NEXT) | instid1(SALU_CYCLE_1)
	s_or_b32 exec_lo, exec_lo, s8
	s_mov_b32 s8, exec_lo
	v_cmpx_lt_u32_e32 0xffffff, v4
	s_cbranch_execz .LBB220_586
; %bb.579:                              ;   in Loop: Header=BB220_10 Depth=1
	v_mov_b64_e32 v[0:1], 0x8000000000000000
	v_lshrrev_b32_e32 v2, 24, v4
	s_mov_b32 s9, exec_lo
	s_delay_alu instid0(VALU_DEP_1)
	v_cmpx_ne_u32_e32 0x80, v2
	s_cbranch_execz .LBB220_585
; %bb.580:                              ;   in Loop: Header=BB220_10 Depth=1
	v_mov_b64_e32 v[0:1], 0x7f80000100000000
	v_bfe_u32 v3, v4, 24, 7
	s_mov_b32 s11, exec_lo
	s_delay_alu instid0(VALU_DEP_1)
	v_cmpx_ne_u32_e32 0x7f, v3
	s_cbranch_execz .LBB220_584
; %bb.581:                              ;   in Loop: Header=BB220_10 Depth=1
	v_dual_lshrrev_b32 v0, 3, v3 :: v_dual_bitop2_b32 v76, 7, v2 bitop3:0x40
	s_mov_b32 s16, exec_lo
	v_cmpx_gt_u32_e32 8, v3
; %bb.582:                              ;   in Loop: Header=BB220_10 Depth=1
	s_delay_alu instid0(VALU_DEP_2) | instskip(NEXT) | instid1(VALU_DEP_1)
	v_clz_i32_u32_e32 v0, v76
	v_min_u32_e32 v0, 32, v0
	s_delay_alu instid0(VALU_DEP_1) | instskip(SKIP_1) | instid1(VALU_DEP_2)
	v_subrev_nc_u32_e32 v1, 28, v0
	v_sub_nc_u32_e32 v0, 29, v0
	v_lshlrev_b64_e32 v[4:5], v1, v[76:77]
	s_delay_alu instid0(VALU_DEP_1)
	v_and_b32_e32 v76, 7, v4
; %bb.583:                              ;   in Loop: Header=BB220_10 Depth=1
	s_or_b32 exec_lo, exec_lo, s16
	s_delay_alu instid0(VALU_DEP_1) | instskip(SKIP_1) | instid1(VALU_DEP_2)
	v_dual_lshlrev_b32 v1, 24, v2 :: v_dual_lshlrev_b32 v2, 20, v76
	v_lshl_add_u32 v0, v0, 23, 0x3c000000
	v_and_b32_e32 v1, 0x80000000, v1
	s_delay_alu instid0(VALU_DEP_1)
	v_or3_b32 v1, v2, v1, v0
	v_mov_b32_e32 v0, v77
.LBB220_584:                            ;   in Loop: Header=BB220_10 Depth=1
	s_or_b32 exec_lo, exec_lo, s11
.LBB220_585:                            ;   in Loop: Header=BB220_10 Depth=1
	s_delay_alu instid0(SALU_CYCLE_1)
	s_or_b32 exec_lo, exec_lo, s9
.LBB220_586:                            ;   in Loop: Header=BB220_10 Depth=1
	s_delay_alu instid0(SALU_CYCLE_1)
	s_or_b32 exec_lo, exec_lo, s8
	flat_load_b32 v4, v[110:111] offset:2056
	v_mov_b64_e32 v[78:79], 0
	v_mov_b64_e32 v[10:11], 0
	s_mov_b32 s8, exec_lo
	s_wait_loadcnt_dscnt 0x0
	v_and_b32_e32 v2, 0xff, v4
	s_wait_xcnt 0x0
	s_delay_alu instid0(VALU_DEP_1)
	v_cmpx_ne_u16_e32 0, v2
	s_cbranch_execz .LBB220_594
; %bb.587:                              ;   in Loop: Header=BB220_10 Depth=1
	v_mov_b64_e32 v[10:11], 0x80000000
	s_mov_b32 s9, exec_lo
	v_cmpx_ne_u16_e32 0x80, v2
	s_cbranch_execz .LBB220_593
; %bb.588:                              ;   in Loop: Header=BB220_10 Depth=1
	v_mov_b64_e32 v[10:11], 0x7f800001
	v_and_b32_e32 v3, 0x7f, v4
	s_mov_b32 s11, exec_lo
	s_delay_alu instid0(VALU_DEP_1)
	v_cmpx_ne_u32_e32 0x7f, v3
	s_cbranch_execz .LBB220_592
; %bb.589:                              ;   in Loop: Header=BB220_10 Depth=1
	v_dual_lshrrev_b32 v2, 3, v3 :: v_dual_bitop2_b32 v76, 7, v4 bitop3:0x40
	s_mov_b32 s16, exec_lo
	v_cmpx_gt_u32_e32 8, v3
; %bb.590:                              ;   in Loop: Header=BB220_10 Depth=1
	s_delay_alu instid0(VALU_DEP_2) | instskip(NEXT) | instid1(VALU_DEP_1)
	v_clz_i32_u32_e32 v2, v76
	v_min_u32_e32 v2, 32, v2
	s_delay_alu instid0(VALU_DEP_1) | instskip(SKIP_1) | instid1(VALU_DEP_2)
	v_subrev_nc_u32_e32 v3, 28, v2
	v_sub_nc_u32_e32 v2, 29, v2
	v_lshlrev_b64_e32 v[6:7], v3, v[76:77]
	s_delay_alu instid0(VALU_DEP_1)
	v_and_b32_e32 v76, 7, v6
; %bb.591:                              ;   in Loop: Header=BB220_10 Depth=1
	s_or_b32 exec_lo, exec_lo, s16
	v_lshlrev_b32_e32 v3, 24, v4
	s_delay_alu instid0(VALU_DEP_2) | instskip(SKIP_1) | instid1(VALU_DEP_3)
	v_lshlrev_b32_e32 v5, 20, v76
	v_lshl_add_u32 v2, v2, 23, 0x3c000000
	v_and_b32_e32 v3, 0x80000000, v3
	s_delay_alu instid0(VALU_DEP_1) | instskip(NEXT) | instid1(VALU_DEP_1)
	v_or3_b32 v76, v5, v3, v2
	v_mov_b64_e32 v[10:11], v[76:77]
.LBB220_592:                            ;   in Loop: Header=BB220_10 Depth=1
	s_or_b32 exec_lo, exec_lo, s11
.LBB220_593:                            ;   in Loop: Header=BB220_10 Depth=1
	s_delay_alu instid0(SALU_CYCLE_1)
	s_or_b32 exec_lo, exec_lo, s9
.LBB220_594:                            ;   in Loop: Header=BB220_10 Depth=1
	s_delay_alu instid0(SALU_CYCLE_1) | instskip(SKIP_2) | instid1(VALU_DEP_1)
	s_or_b32 exec_lo, exec_lo, s8
	v_lshrrev_b16 v2, 8, v4
	s_mov_b32 s8, exec_lo
	v_cmpx_ne_u16_e32 0, v2
	s_cbranch_execz .LBB220_602
; %bb.595:                              ;   in Loop: Header=BB220_10 Depth=1
	v_mov_b64_e32 v[78:79], 0x8000000000000000
	s_mov_b32 s9, exec_lo
	v_cmpx_ne_u16_e32 0x80, v2
	s_cbranch_execz .LBB220_601
; %bb.596:                              ;   in Loop: Header=BB220_10 Depth=1
	v_and_b32_e32 v2, 0xffff, v2
	v_mov_b64_e32 v[78:79], 0x7f80000100000000
	s_mov_b32 s11, exec_lo
	s_delay_alu instid0(VALU_DEP_2) | instskip(NEXT) | instid1(VALU_DEP_1)
	v_and_b32_e32 v3, 0x7f, v2
	v_cmpx_ne_u32_e32 0x7f, v3
	s_cbranch_execz .LBB220_600
; %bb.597:                              ;   in Loop: Header=BB220_10 Depth=1
	v_dual_lshrrev_b32 v2, 3, v3 :: v_dual_bitop2_b32 v76, 7, v2 bitop3:0x40
	s_mov_b32 s16, exec_lo
	v_cmpx_gt_u32_e32 8, v3
; %bb.598:                              ;   in Loop: Header=BB220_10 Depth=1
	s_delay_alu instid0(VALU_DEP_2) | instskip(NEXT) | instid1(VALU_DEP_1)
	v_clz_i32_u32_e32 v2, v76
	v_min_u32_e32 v2, 32, v2
	s_delay_alu instid0(VALU_DEP_1) | instskip(SKIP_1) | instid1(VALU_DEP_2)
	v_subrev_nc_u32_e32 v3, 28, v2
	v_sub_nc_u32_e32 v2, 29, v2
	v_lshlrev_b64_e32 v[6:7], v3, v[76:77]
	s_delay_alu instid0(VALU_DEP_1)
	v_and_b32_e32 v76, 7, v6
; %bb.599:                              ;   in Loop: Header=BB220_10 Depth=1
	s_or_b32 exec_lo, exec_lo, s16
	v_dual_mov_b32 v78, v77 :: v_dual_lshlrev_b32 v3, 16, v4
	s_delay_alu instid0(VALU_DEP_2) | instskip(SKIP_1) | instid1(VALU_DEP_3)
	v_lshlrev_b32_e32 v5, 20, v76
	v_lshl_add_u32 v2, v2, 23, 0x3c000000
	v_and_b32_e32 v3, 0x80000000, v3
	s_delay_alu instid0(VALU_DEP_1)
	v_or3_b32 v79, v5, v3, v2
.LBB220_600:                            ;   in Loop: Header=BB220_10 Depth=1
	s_or_b32 exec_lo, exec_lo, s11
.LBB220_601:                            ;   in Loop: Header=BB220_10 Depth=1
	s_delay_alu instid0(SALU_CYCLE_1)
	s_or_b32 exec_lo, exec_lo, s9
.LBB220_602:                            ;   in Loop: Header=BB220_10 Depth=1
	s_delay_alu instid0(SALU_CYCLE_1) | instskip(SKIP_4) | instid1(VALU_DEP_3)
	s_or_b32 exec_lo, exec_lo, s8
	v_lshrrev_b32_e32 v2, 16, v4
	v_mov_b64_e32 v[18:19], 0
	v_mov_b64_e32 v[14:15], 0
	s_mov_b32 s8, exec_lo
	v_and_b32_e32 v3, 0xff, v2
	s_delay_alu instid0(VALU_DEP_1)
	v_cmpx_ne_u16_e32 0, v3
	s_cbranch_execz .LBB220_610
; %bb.603:                              ;   in Loop: Header=BB220_10 Depth=1
	v_mov_b64_e32 v[14:15], 0x80000000
	s_mov_b32 s9, exec_lo
	v_cmpx_ne_u16_e32 0x80, v3
	s_cbranch_execz .LBB220_609
; %bb.604:                              ;   in Loop: Header=BB220_10 Depth=1
	v_mov_b64_e32 v[14:15], 0x7f800001
	v_bfe_u32 v5, v4, 16, 7
	s_mov_b32 s11, exec_lo
	s_delay_alu instid0(VALU_DEP_1)
	v_cmpx_ne_u32_e32 0x7f, v5
	s_cbranch_execz .LBB220_608
; %bb.605:                              ;   in Loop: Header=BB220_10 Depth=1
	v_dual_lshrrev_b32 v3, 3, v5 :: v_dual_bitop2_b32 v76, 7, v2 bitop3:0x40
	s_mov_b32 s16, exec_lo
	v_cmpx_gt_u32_e32 8, v5
; %bb.606:                              ;   in Loop: Header=BB220_10 Depth=1
	s_delay_alu instid0(VALU_DEP_2) | instskip(NEXT) | instid1(VALU_DEP_1)
	v_clz_i32_u32_e32 v3, v76
	v_min_u32_e32 v3, 32, v3
	s_delay_alu instid0(VALU_DEP_1) | instskip(NEXT) | instid1(VALU_DEP_1)
	v_subrev_nc_u32_e32 v5, 28, v3
	v_lshlrev_b64_e32 v[6:7], v5, v[76:77]
	s_delay_alu instid0(VALU_DEP_1)
	v_dual_sub_nc_u32 v3, 29, v3 :: v_dual_bitop2_b32 v76, 7, v6 bitop3:0x40
; %bb.607:                              ;   in Loop: Header=BB220_10 Depth=1
	s_or_b32 exec_lo, exec_lo, s16
	s_delay_alu instid0(VALU_DEP_1) | instskip(NEXT) | instid1(VALU_DEP_2)
	v_dual_lshlrev_b32 v2, 24, v2 :: v_dual_lshlrev_b32 v5, 20, v76
	v_lshl_add_u32 v3, v3, 23, 0x3c000000
	s_delay_alu instid0(VALU_DEP_2) | instskip(NEXT) | instid1(VALU_DEP_1)
	v_and_b32_e32 v2, 0x80000000, v2
	v_or3_b32 v76, v5, v2, v3
	s_delay_alu instid0(VALU_DEP_1)
	v_mov_b64_e32 v[14:15], v[76:77]
.LBB220_608:                            ;   in Loop: Header=BB220_10 Depth=1
	s_or_b32 exec_lo, exec_lo, s11
.LBB220_609:                            ;   in Loop: Header=BB220_10 Depth=1
	s_delay_alu instid0(SALU_CYCLE_1)
	s_or_b32 exec_lo, exec_lo, s9
.LBB220_610:                            ;   in Loop: Header=BB220_10 Depth=1
	s_delay_alu instid0(SALU_CYCLE_1) | instskip(NEXT) | instid1(SALU_CYCLE_1)
	s_or_b32 exec_lo, exec_lo, s8
	s_mov_b32 s8, exec_lo
	v_cmpx_lt_u32_e32 0xffffff, v4
	s_cbranch_execz .LBB220_618
; %bb.611:                              ;   in Loop: Header=BB220_10 Depth=1
	v_mov_b64_e32 v[18:19], 0x8000000000000000
	v_lshrrev_b32_e32 v2, 24, v4
	s_mov_b32 s9, exec_lo
	s_delay_alu instid0(VALU_DEP_1)
	v_cmpx_ne_u32_e32 0x80, v2
	s_cbranch_execz .LBB220_617
; %bb.612:                              ;   in Loop: Header=BB220_10 Depth=1
	v_mov_b64_e32 v[18:19], 0x7f80000100000000
	v_bfe_u32 v4, v4, 24, 7
	s_mov_b32 s11, exec_lo
	s_delay_alu instid0(VALU_DEP_1)
	v_cmpx_ne_u32_e32 0x7f, v4
	s_cbranch_execz .LBB220_616
; %bb.613:                              ;   in Loop: Header=BB220_10 Depth=1
	v_dual_lshrrev_b32 v3, 3, v4 :: v_dual_bitop2_b32 v76, 7, v2 bitop3:0x40
	s_mov_b32 s16, exec_lo
	v_cmpx_gt_u32_e32 8, v4
; %bb.614:                              ;   in Loop: Header=BB220_10 Depth=1
	s_delay_alu instid0(VALU_DEP_2) | instskip(NEXT) | instid1(VALU_DEP_1)
	v_clz_i32_u32_e32 v3, v76
	v_min_u32_e32 v3, 32, v3
	s_delay_alu instid0(VALU_DEP_1) | instskip(NEXT) | instid1(VALU_DEP_1)
	v_subrev_nc_u32_e32 v4, 28, v3
	v_lshlrev_b64_e32 v[4:5], v4, v[76:77]
	s_delay_alu instid0(VALU_DEP_1)
	v_dual_sub_nc_u32 v3, 29, v3 :: v_dual_bitop2_b32 v76, 7, v4 bitop3:0x40
; %bb.615:                              ;   in Loop: Header=BB220_10 Depth=1
	s_or_b32 exec_lo, exec_lo, s16
	s_delay_alu instid0(VALU_DEP_1) | instskip(NEXT) | instid1(VALU_DEP_2)
	v_dual_lshlrev_b32 v2, 24, v2 :: v_dual_lshlrev_b32 v4, 20, v76
	v_lshl_add_u32 v3, v3, 23, 0x3c000000
	v_mov_b32_e32 v18, v77
	s_delay_alu instid0(VALU_DEP_3) | instskip(NEXT) | instid1(VALU_DEP_1)
	v_and_b32_e32 v2, 0x80000000, v2
	v_or3_b32 v19, v4, v2, v3
.LBB220_616:                            ;   in Loop: Header=BB220_10 Depth=1
	s_or_b32 exec_lo, exec_lo, s11
.LBB220_617:                            ;   in Loop: Header=BB220_10 Depth=1
	s_delay_alu instid0(SALU_CYCLE_1)
	s_or_b32 exec_lo, exec_lo, s9
.LBB220_618:                            ;   in Loop: Header=BB220_10 Depth=1
	s_delay_alu instid0(SALU_CYCLE_1)
	s_or_b32 exec_lo, exec_lo, s8
	flat_load_b32 v2, v[110:111] offset:2060
	s_wait_xcnt 0x0
	v_mov_b64_e32 v[110:111], 0
	v_mov_b64_e32 v[22:23], 0
	s_mov_b32 s8, exec_lo
	s_wait_loadcnt_dscnt 0x0
	v_and_b32_e32 v3, 0xff, v2
	s_delay_alu instid0(VALU_DEP_1)
	v_cmpx_ne_u16_e32 0, v3
	s_cbranch_execz .LBB220_626
; %bb.619:                              ;   in Loop: Header=BB220_10 Depth=1
	v_mov_b64_e32 v[22:23], 0x80000000
	s_mov_b32 s9, exec_lo
	v_cmpx_ne_u16_e32 0x80, v3
	s_cbranch_execz .LBB220_625
; %bb.620:                              ;   in Loop: Header=BB220_10 Depth=1
	v_mov_b64_e32 v[22:23], 0x7f800001
	v_and_b32_e32 v4, 0x7f, v2
	s_mov_b32 s11, exec_lo
	s_delay_alu instid0(VALU_DEP_1)
	v_cmpx_ne_u32_e32 0x7f, v4
	s_cbranch_execz .LBB220_624
; %bb.621:                              ;   in Loop: Header=BB220_10 Depth=1
	v_dual_lshrrev_b32 v3, 3, v4 :: v_dual_bitop2_b32 v76, 7, v2 bitop3:0x40
	s_mov_b32 s16, exec_lo
	v_cmpx_gt_u32_e32 8, v4
; %bb.622:                              ;   in Loop: Header=BB220_10 Depth=1
	s_delay_alu instid0(VALU_DEP_2) | instskip(NEXT) | instid1(VALU_DEP_1)
	v_clz_i32_u32_e32 v3, v76
	v_min_u32_e32 v3, 32, v3
	s_delay_alu instid0(VALU_DEP_1) | instskip(NEXT) | instid1(VALU_DEP_1)
	v_subrev_nc_u32_e32 v4, 28, v3
	v_lshlrev_b64_e32 v[4:5], v4, v[76:77]
	s_delay_alu instid0(VALU_DEP_1)
	v_dual_sub_nc_u32 v3, 29, v3 :: v_dual_bitop2_b32 v76, 7, v4 bitop3:0x40
; %bb.623:                              ;   in Loop: Header=BB220_10 Depth=1
	s_or_b32 exec_lo, exec_lo, s16
	s_delay_alu instid0(VALU_DEP_1) | instskip(NEXT) | instid1(VALU_DEP_2)
	v_dual_lshlrev_b32 v4, 24, v2 :: v_dual_lshlrev_b32 v5, 20, v76
	v_lshl_add_u32 v3, v3, 23, 0x3c000000
	s_delay_alu instid0(VALU_DEP_2) | instskip(NEXT) | instid1(VALU_DEP_1)
	v_and_b32_e32 v4, 0x80000000, v4
	v_or3_b32 v76, v5, v4, v3
	s_delay_alu instid0(VALU_DEP_1)
	v_mov_b64_e32 v[22:23], v[76:77]
.LBB220_624:                            ;   in Loop: Header=BB220_10 Depth=1
	s_or_b32 exec_lo, exec_lo, s11
.LBB220_625:                            ;   in Loop: Header=BB220_10 Depth=1
	s_delay_alu instid0(SALU_CYCLE_1)
	s_or_b32 exec_lo, exec_lo, s9
.LBB220_626:                            ;   in Loop: Header=BB220_10 Depth=1
	s_delay_alu instid0(SALU_CYCLE_1) | instskip(SKIP_2) | instid1(VALU_DEP_1)
	s_or_b32 exec_lo, exec_lo, s8
	v_lshrrev_b16 v3, 8, v2
	s_mov_b32 s8, exec_lo
	v_cmpx_ne_u16_e32 0, v3
	s_cbranch_execz .LBB220_634
; %bb.627:                              ;   in Loop: Header=BB220_10 Depth=1
	v_mov_b64_e32 v[110:111], 0x8000000000000000
	s_mov_b32 s9, exec_lo
	v_cmpx_ne_u16_e32 0x80, v3
	s_cbranch_execz .LBB220_633
; %bb.628:                              ;   in Loop: Header=BB220_10 Depth=1
	v_and_b32_e32 v3, 0xffff, v3
	v_mov_b64_e32 v[110:111], 0x7f80000100000000
	s_mov_b32 s11, exec_lo
	s_delay_alu instid0(VALU_DEP_2) | instskip(NEXT) | instid1(VALU_DEP_1)
	v_and_b32_e32 v4, 0x7f, v3
	v_cmpx_ne_u32_e32 0x7f, v4
	s_cbranch_execz .LBB220_632
; %bb.629:                              ;   in Loop: Header=BB220_10 Depth=1
	v_dual_lshrrev_b32 v3, 3, v4 :: v_dual_bitop2_b32 v76, 7, v3 bitop3:0x40
	s_mov_b32 s16, exec_lo
	v_cmpx_gt_u32_e32 8, v4
; %bb.630:                              ;   in Loop: Header=BB220_10 Depth=1
	s_delay_alu instid0(VALU_DEP_2) | instskip(NEXT) | instid1(VALU_DEP_1)
	v_clz_i32_u32_e32 v3, v76
	v_min_u32_e32 v3, 32, v3
	s_delay_alu instid0(VALU_DEP_1) | instskip(NEXT) | instid1(VALU_DEP_1)
	v_subrev_nc_u32_e32 v4, 28, v3
	v_lshlrev_b64_e32 v[4:5], v4, v[76:77]
	s_delay_alu instid0(VALU_DEP_1)
	v_dual_sub_nc_u32 v3, 29, v3 :: v_dual_bitop2_b32 v76, 7, v4 bitop3:0x40
; %bb.631:                              ;   in Loop: Header=BB220_10 Depth=1
	s_or_b32 exec_lo, exec_lo, s16
	s_delay_alu instid0(VALU_DEP_1) | instskip(NEXT) | instid1(VALU_DEP_2)
	v_dual_lshlrev_b32 v4, 16, v2 :: v_dual_lshlrev_b32 v5, 20, v76
	v_lshl_add_u32 v3, v3, 23, 0x3c000000
	v_mov_b32_e32 v110, v77
	s_delay_alu instid0(VALU_DEP_3) | instskip(NEXT) | instid1(VALU_DEP_1)
	v_and_b32_e32 v4, 0x80000000, v4
	v_or3_b32 v111, v5, v4, v3
.LBB220_632:                            ;   in Loop: Header=BB220_10 Depth=1
	s_or_b32 exec_lo, exec_lo, s11
.LBB220_633:                            ;   in Loop: Header=BB220_10 Depth=1
	s_delay_alu instid0(SALU_CYCLE_1)
	s_or_b32 exec_lo, exec_lo, s9
.LBB220_634:                            ;   in Loop: Header=BB220_10 Depth=1
	s_delay_alu instid0(SALU_CYCLE_1) | instskip(SKIP_4) | instid1(VALU_DEP_3)
	s_or_b32 exec_lo, exec_lo, s8
	v_lshrrev_b32_e32 v3, 16, v2
	v_mov_b64_e32 v[6:7], 0
	v_mov_b64_e32 v[4:5], 0
	s_mov_b32 s8, exec_lo
	v_and_b32_e32 v12, 0xff, v3
	s_delay_alu instid0(VALU_DEP_1)
	v_cmpx_ne_u16_e32 0, v12
	s_cbranch_execz .LBB220_642
; %bb.635:                              ;   in Loop: Header=BB220_10 Depth=1
	v_mov_b64_e32 v[4:5], 0x80000000
	s_mov_b32 s9, exec_lo
	v_cmpx_ne_u16_e32 0x80, v12
	s_cbranch_execz .LBB220_641
; %bb.636:                              ;   in Loop: Header=BB220_10 Depth=1
	v_mov_b64_e32 v[4:5], 0x7f800001
	v_bfe_u32 v12, v2, 16, 7
	s_mov_b32 s11, exec_lo
	s_delay_alu instid0(VALU_DEP_1)
	v_cmpx_ne_u32_e32 0x7f, v12
	s_cbranch_execz .LBB220_640
; %bb.637:                              ;   in Loop: Header=BB220_10 Depth=1
	v_dual_lshrrev_b32 v4, 3, v12 :: v_dual_bitop2_b32 v76, 7, v3 bitop3:0x40
	s_mov_b32 s16, exec_lo
	v_cmpx_gt_u32_e32 8, v12
; %bb.638:                              ;   in Loop: Header=BB220_10 Depth=1
	s_delay_alu instid0(VALU_DEP_2) | instskip(NEXT) | instid1(VALU_DEP_1)
	v_clz_i32_u32_e32 v4, v76
	v_min_u32_e32 v4, 32, v4
	s_delay_alu instid0(VALU_DEP_1) | instskip(SKIP_1) | instid1(VALU_DEP_2)
	v_subrev_nc_u32_e32 v5, 28, v4
	v_sub_nc_u32_e32 v4, 29, v4
	v_lshlrev_b64_e32 v[12:13], v5, v[76:77]
	s_delay_alu instid0(VALU_DEP_1)
	v_and_b32_e32 v76, 7, v12
; %bb.639:                              ;   in Loop: Header=BB220_10 Depth=1
	s_or_b32 exec_lo, exec_lo, s16
	s_delay_alu instid0(VALU_DEP_1) | instskip(SKIP_1) | instid1(VALU_DEP_2)
	v_dual_lshlrev_b32 v3, 24, v3 :: v_dual_lshlrev_b32 v5, 20, v76
	v_lshl_add_u32 v4, v4, 23, 0x3c000000
	v_and_b32_e32 v3, 0x80000000, v3
	s_delay_alu instid0(VALU_DEP_1) | instskip(NEXT) | instid1(VALU_DEP_1)
	v_or3_b32 v76, v5, v3, v4
	v_mov_b64_e32 v[4:5], v[76:77]
.LBB220_640:                            ;   in Loop: Header=BB220_10 Depth=1
	s_or_b32 exec_lo, exec_lo, s11
.LBB220_641:                            ;   in Loop: Header=BB220_10 Depth=1
	s_delay_alu instid0(SALU_CYCLE_1)
	s_or_b32 exec_lo, exec_lo, s9
.LBB220_642:                            ;   in Loop: Header=BB220_10 Depth=1
	s_delay_alu instid0(SALU_CYCLE_1) | instskip(NEXT) | instid1(SALU_CYCLE_1)
	s_or_b32 exec_lo, exec_lo, s8
	s_mov_b32 s8, exec_lo
	v_cmpx_lt_u32_e32 0xffffff, v2
	s_cbranch_execz .LBB220_9
; %bb.643:                              ;   in Loop: Header=BB220_10 Depth=1
	v_mov_b64_e32 v[6:7], 0x8000000000000000
	v_lshrrev_b32_e32 v3, 24, v2
	s_mov_b32 s9, exec_lo
	s_delay_alu instid0(VALU_DEP_1)
	v_cmpx_ne_u32_e32 0x80, v3
	s_cbranch_execz .LBB220_8
; %bb.644:                              ;   in Loop: Header=BB220_10 Depth=1
	v_mov_b64_e32 v[6:7], 0x7f80000100000000
	v_bfe_u32 v12, v2, 24, 7
	s_mov_b32 s11, exec_lo
	s_delay_alu instid0(VALU_DEP_1)
	v_cmpx_ne_u32_e32 0x7f, v12
	s_cbranch_execz .LBB220_7
; %bb.645:                              ;   in Loop: Header=BB220_10 Depth=1
	v_dual_lshrrev_b32 v2, 3, v12 :: v_dual_bitop2_b32 v76, 7, v3 bitop3:0x40
	s_mov_b32 s16, exec_lo
	v_cmpx_gt_u32_e32 8, v12
	s_cbranch_execz .LBB220_6
; %bb.646:                              ;   in Loop: Header=BB220_10 Depth=1
	s_delay_alu instid0(VALU_DEP_2) | instskip(NEXT) | instid1(VALU_DEP_1)
	v_clz_i32_u32_e32 v2, v76
	v_min_u32_e32 v2, 32, v2
	s_delay_alu instid0(VALU_DEP_1) | instskip(SKIP_1) | instid1(VALU_DEP_2)
	v_subrev_nc_u32_e32 v6, 28, v2
	v_sub_nc_u32_e32 v2, 29, v2
	v_lshlrev_b64_e32 v[6:7], v6, v[76:77]
	s_delay_alu instid0(VALU_DEP_1)
	v_and_b32_e32 v76, 7, v6
	s_branch .LBB220_6
.LBB220_647:
	s_or_b32 exec_lo, exec_lo, s3
	s_clause 0x7
	scratch_load_b32 v26, off, s32 offset:740
	scratch_load_b64 v[10:11], off, s32 offset:752
	scratch_load_b64 v[22:23], off, s32 offset:760
	;; [unrolled: 1-line block ×4, first 2 shown]
	scratch_load_b32 v17, off, s32 offset:784
	scratch_load_b64 v[48:49], off, s32 offset:788
	scratch_load_b32 v12, off, s32 offset:796
.LBB220_648:
	s_wait_xcnt 0x0
	s_or_b32 exec_lo, exec_lo, s2
	v_mbcnt_lo_u32_b32 v2, -1, 0
	s_delay_alu instid0(VALU_DEP_1) | instskip(SKIP_1) | instid1(VALU_DEP_2)
	v_dual_max_num_f32 v4, v9, v9 :: v_dual_bitop2_b32 v0, 16, v2 bitop3:0x14
	v_xor_b32_e32 v3, 8, v2
	v_cmp_gt_i32_e32 vcc_lo, 32, v0
	v_cndmask_b32_e32 v0, v2, v0, vcc_lo
	s_delay_alu instid0(VALU_DEP_3) | instskip(NEXT) | instid1(VALU_DEP_2)
	v_cmp_gt_i32_e32 vcc_lo, 32, v3
	v_dual_cndmask_b32 v3, v2, v3 :: v_dual_lshlrev_b32 v0, 2, v0
	ds_bpermute_b32 v1, v0, v9
	s_wait_dscnt 0x0
	v_dual_max_num_f32 v5, v1, v1 :: v_dual_lshlrev_b32 v1, 2, v3
	s_delay_alu instid0(VALU_DEP_1) | instskip(SKIP_4) | instid1(VALU_DEP_1)
	v_dual_max_num_f32 v3, v4, v5 :: v_dual_bitop2_b32 v5, 4, v2 bitop3:0x14
	ds_bpermute_b32 v4, v1, v3
	v_cmp_gt_i32_e32 vcc_lo, 32, v5
	s_wait_dscnt 0x0
	v_dual_cndmask_b32 v5, v2, v5 :: v_dual_max_num_f32 v4, v4, v4
	v_dual_lshlrev_b32 v121, 2, v5 :: v_dual_max_num_f32 v3, v3, v4
	ds_bpermute_b32 v4, v121, v3
	s_wait_dscnt 0x0
	v_dual_max_num_f32 v4, v4, v4 :: v_dual_bitop2_b32 v5, 2, v2 bitop3:0x14
	s_delay_alu instid0(VALU_DEP_1) | instskip(NEXT) | instid1(VALU_DEP_2)
	v_cmp_gt_i32_e32 vcc_lo, 32, v5
	v_dual_max_num_f32 v3, v3, v4 :: v_dual_cndmask_b32 v5, v2, v5, vcc_lo
	s_delay_alu instid0(VALU_DEP_1) | instskip(SKIP_4) | instid1(VALU_DEP_1)
	v_dual_lshlrev_b32 v120, 2, v5 :: v_dual_bitop2_b32 v5, 1, v2 bitop3:0x14
	ds_bpermute_b32 v4, v120, v3
	v_cmp_gt_i32_e32 vcc_lo, 32, v5
	v_cndmask_b32_e32 v5, v2, v5, vcc_lo
	s_wait_dscnt 0x0
	v_dual_lshlrev_b32 v110, 2, v5 :: v_dual_max_num_f32 v4, v4, v4
	s_delay_alu instid0(VALU_DEP_1)
	v_max_num_f32_e32 v2, v3, v4
	scratch_load_b32 v3, off, s32 offset:732 ; 4-byte Folded Reload
	ds_bpermute_b32 v4, v110, v2
	s_wait_loadcnt 0x0
	v_cmp_eq_u32_e32 vcc_lo, 0, v3
	scratch_load_b32 v3, off, s32 offset:736 ; 4-byte Folded Reload
	s_wait_loadcnt 0x0
	v_lshlrev_b32_e32 v3, 2, v3
	s_wait_xcnt 0x0
	s_and_saveexec_b32 s1, vcc_lo
	s_cbranch_execz .LBB220_650
; %bb.649:
	s_wait_dscnt 0x0
	v_dual_max_num_f32 v4, v4, v4 :: v_dual_max_num_f32 v2, v2, v2
	s_delay_alu instid0(VALU_DEP_1)
	v_max_num_f32_e32 v2, v2, v4
	ds_store_b32 v3, v2 offset:320
.LBB220_650:
	s_or_b32 exec_lo, exec_lo, s1
	scratch_load_b32 v2, off, s32 offset:732 ; 4-byte Folded Reload
	s_wait_storecnt 0x0
	s_wait_loadcnt_dscnt 0x0
	s_barrier_signal -1
	s_barrier_wait -1
	v_cmp_gt_u32_e64 s1, 4, v2
	v_mov_b32_e32 v2, 0xff7fffff
	s_and_saveexec_b32 s2, s1
; %bb.651:
	ds_load_b32 v2, v12 offset:320
; %bb.652:
	s_or_b32 exec_lo, exec_lo, s2
	s_wait_dscnt 0x0
	ds_bpermute_b32 v4, v120, v2
	s_wait_dscnt 0x0
	v_dual_max_num_f32 v2, v2, v2 :: v_dual_max_num_f32 v4, v4, v4
	s_delay_alu instid0(VALU_DEP_1) | instskip(SKIP_3) | instid1(VALU_DEP_1)
	v_max_num_f32_e32 v2, v2, v4
	ds_bpermute_b32 v4, v110, v2
	s_wait_dscnt 0x0
	v_max_num_f32_e32 v4, v4, v4
	v_dual_max_num_f32 v2, v2, v4 :: v_dual_mov_b32 v4, 0
	ds_bpermute_b32 v5, v4, v2
	scratch_load_b32 v2, off, s32 offset:192 ; 4-byte Folded Reload
	s_wait_loadcnt 0x0
	v_lshlrev_b32_e32 v2, 5, v2
	s_delay_alu instid0(VALU_DEP_1) | instskip(NEXT) | instid1(VALU_DEP_1)
	v_min_i32_e32 v2, v2, v16
	v_cmp_lt_i32_e64 s2, v26, v2
	s_and_saveexec_b32 s8, s2
	s_cbranch_execz .LBB220_656
; %bb.653:
	s_ashr_i32 s11, s10, 31
	v_dual_mov_b32 v4, 0 :: v_dual_mov_b32 v7, v26
	s_lshl_b64 s[16:17], s[10:11], 2
	s_mov_b32 s9, 0
	s_add_nc_u64 s[16:17], s[6:7], s[16:17]
	s_load_b32 s3, s[16:17], 0x0
	s_wait_kmcnt 0x0
	v_lshl_add_u32 v6, v26, 2, s3
.LBB220_654:                            ; =>This Inner Loop Header: Depth=1
	ds_load_b32 v8, v6
	v_add_nc_u32_e32 v7, 0x80, v7
	s_delay_alu instid0(VALU_DEP_1) | instskip(SKIP_3) | instid1(VALU_DEP_1)
	v_cmp_ge_i32_e64 s3, v7, v2
	s_or_b32 s9, s3, s9
	s_wait_dscnt 0x0
	v_sub_f32_e32 v8, v8, v5
	v_mul_f32_e32 v8, 0x3fb8aa3b, v8
	s_delay_alu instid0(VALU_DEP_1)
	v_exp_f32_e32 v8, v8
	ds_store_b32 v6, v8
	v_nop
	v_add_f32_e32 v4, v4, v8
	v_add_nc_u32_e32 v6, 0x200, v6
	s_and_not1_b32 exec_lo, exec_lo, s9
	s_cbranch_execnz .LBB220_654
; %bb.655:
	s_or_b32 exec_lo, exec_lo, s9
.LBB220_656:
	s_delay_alu instid0(SALU_CYCLE_1)
	s_or_b32 exec_lo, exec_lo, s8
	ds_bpermute_b32 v0, v0, v4
	s_wait_dscnt 0x0
	v_add_f32_e32 v0, v4, v0
	ds_bpermute_b32 v1, v1, v0
	s_wait_dscnt 0x0
	v_add_f32_e32 v0, v0, v1
	;; [unrolled: 3-line block ×5, first 2 shown]
	s_and_saveexec_b32 s3, vcc_lo
; %bb.657:
	ds_store_b32 v3, v0 offset:336
; %bb.658:
	s_or_b32 exec_lo, exec_lo, s3
	s_wait_dscnt 0x0
	s_barrier_signal -1
	s_barrier_wait -1
	s_and_saveexec_b32 s3, s1
; %bb.659:
	ds_load_b32 v0, v12 offset:336
; %bb.660:
	s_or_b32 exec_lo, exec_lo, s3
	s_wait_dscnt 0x0
	ds_bpermute_b32 v1, v120, v0
	s_wait_dscnt 0x0
	v_add_f32_e32 v0, v0, v1
	ds_bpermute_b32 v1, v110, v0
	s_wait_dscnt 0x0
	v_dual_add_f32 v0, v0, v1 :: v_dual_mov_b32 v1, 0
	ds_bpermute_b32 v0, v1, v0
	s_and_saveexec_b32 s1, s2
	s_cbranch_execz .LBB220_673
; %bb.661:
	s_wait_dscnt 0x0
	v_add_f32_e32 v0, 0x358637bd, v0
	s_mov_b32 s3, -1
	s_mov_b32 s2, exec_lo
	s_delay_alu instid0(VALU_DEP_1) | instskip(SKIP_1) | instid1(VALU_DEP_2)
	v_div_scale_f32 v1, null, v0, v0, 1.0
	v_div_scale_f32 v5, vcc_lo, 1.0, v0, 1.0
	v_rcp_f32_e32 v4, v1
	v_nop
	s_delay_alu instid0(TRANS32_DEP_1) | instskip(NEXT) | instid1(VALU_DEP_1)
	v_fma_f32 v3, -v1, v4, 1.0
	v_fmac_f32_e32 v4, v3, v4
	s_delay_alu instid0(VALU_DEP_1) | instskip(NEXT) | instid1(VALU_DEP_1)
	v_mul_f32_e32 v6, v5, v4
	v_fma_f32 v3, -v1, v6, v5
	s_delay_alu instid0(VALU_DEP_1) | instskip(SKIP_1) | instid1(VALU_DEP_2)
	v_fmac_f32_e32 v6, v3, v4
	v_xad_u32 v3, v26, -1, v2
	v_fma_f32 v1, -v1, v6, v5
	s_delay_alu instid0(VALU_DEP_1) | instskip(NEXT) | instid1(VALU_DEP_1)
	v_div_fmas_f32 v1, v1, v4, v6
	v_div_fixup_f32 v0, v1, v0, 1.0
	v_mov_b32_e32 v1, v26
	v_cmpx_lt_u32_e32 0x7f, v3
	s_cbranch_execz .LBB220_670
; %bb.662:
	s_delay_alu instid0(VALU_DEP_3) | instskip(NEXT) | instid1(VALU_DEP_1)
	v_dual_lshrrev_b32 v3, 7, v3 :: v_dual_mov_b32 v1, v0
	v_dual_mov_b32 v7, 0 :: v_dual_add_nc_u32 v4, -1, v3
	s_delay_alu instid0(VALU_DEP_1) | instskip(SKIP_1) | instid1(VALU_DEP_2)
	v_lshrrev_b32_e32 v5, 1, v4
	v_cmp_lt_u32_e32 vcc_lo, 13, v4
	v_add_nc_u32_e32 v4, 1, v5
	s_and_saveexec_b32 s3, vcc_lo
	s_cbranch_execz .LBB220_666
; %bb.663:
	s_ashr_i32 s11, s10, 31
	s_delay_alu instid0(VALU_DEP_1) | instskip(SKIP_1) | instid1(SALU_CYCLE_1)
	v_and_b32_e32 v5, -8, v4
	s_lshl_b64 s[8:9], s[10:11], 2
	s_add_nc_u64 s[8:9], s[6:7], s[8:9]
	s_load_b32 s8, s[8:9], 0x0
	s_wait_xcnt 0x0
	s_mov_b32 s9, 0
	s_wait_kmcnt 0x0
	v_lshl_add_u32 v6, v26, 2, s8
	s_mov_b32 s8, 0
.LBB220_664:                            ; =>This Inner Loop Header: Depth=1
	ds_load_2addr_stride64_b32 v[8:9], v6 offset1:2
	ds_load_2addr_stride64_b32 v[28:29], v6 offset0:4 offset1:6
	ds_load_2addr_stride64_b32 v[12:13], v6 offset0:8 offset1:10
	;; [unrolled: 1-line block ×7, first 2 shown]
	s_add_co_i32 s9, s9, 16
	s_delay_alu instid0(SALU_CYCLE_1) | instskip(NEXT) | instid1(VALU_DEP_1)
	v_dual_add_nc_u32 v5, -8, v5 :: v_dual_mov_b32 v7, s9
	v_cmp_eq_u32_e32 vcc_lo, 0, v5
	s_or_b32 s8, vcc_lo, s8
	s_wait_dscnt 0x7
	v_pk_mul_f32 v[8:9], v[0:1], v[8:9]
	s_wait_dscnt 0x6
	v_pk_mul_f32 v[28:29], v[0:1], v[28:29]
	;; [unrolled: 2-line block ×8, first 2 shown]
	ds_store_2addr_stride64_b32 v6, v8, v9 offset1:2
	ds_store_2addr_stride64_b32 v6, v28, v29 offset0:4 offset1:6
	ds_store_2addr_stride64_b32 v6, v12, v13 offset0:8 offset1:10
	;; [unrolled: 1-line block ×7, first 2 shown]
	v_add_nc_u32_e32 v6, 0x2000, v6
	s_and_not1_b32 exec_lo, exec_lo, s8
	s_cbranch_execnz .LBB220_664
; %bb.665:
	s_or_b32 exec_lo, exec_lo, s8
.LBB220_666:
	s_delay_alu instid0(SALU_CYCLE_1) | instskip(NEXT) | instid1(VALU_DEP_1)
	s_or_b32 exec_lo, exec_lo, s3
	v_and_b32_e32 v4, 7, v4
	s_mov_b32 s8, 0
	s_mov_b32 s3, exec_lo
	s_delay_alu instid0(VALU_DEP_1)
	v_cmpx_ne_u32_e32 0, v4
	s_cbranch_execz .LBB220_669
; %bb.667:
	s_ashr_i32 s11, s10, 31
	v_dual_lshlrev_b32 v5, 9, v7 :: v_dual_lshlrev_b32 v6, 2, v26
	s_lshl_b64 s[16:17], s[10:11], 2
	s_delay_alu instid0(SALU_CYCLE_1)
	s_add_nc_u64 s[16:17], s[6:7], s[16:17]
	s_load_b32 s9, s[16:17], 0x0
	s_wait_kmcnt 0x0
	v_add3_u32 v5, v5, v6, s9
.LBB220_668:                            ; =>This Inner Loop Header: Depth=1
	ds_load_2addr_stride64_b32 v[6:7], v5 offset1:2
	v_add_nc_u32_e32 v4, -1, v4
	s_delay_alu instid0(VALU_DEP_1)
	v_cmp_eq_u32_e32 vcc_lo, 0, v4
	s_or_b32 s8, vcc_lo, s8
	s_wait_dscnt 0x0
	v_pk_mul_f32 v[6:7], v[0:1], v[6:7]
	ds_store_2addr_stride64_b32 v5, v6, v7 offset1:2
	v_add_nc_u32_e32 v5, 0x400, v5
	s_and_not1_b32 exec_lo, exec_lo, s8
	s_cbranch_execnz .LBB220_668
.LBB220_669:
	s_or_b32 exec_lo, exec_lo, s3
	v_add_nc_u32_e32 v1, 1, v3
	s_delay_alu instid0(VALU_DEP_1) | instskip(NEXT) | instid1(VALU_DEP_1)
	v_and_b32_e32 v3, 0x3fffffe, v1
	v_cmp_ne_u32_e32 vcc_lo, v1, v3
	v_lshl_add_u32 v1, v3, 7, v26
	s_or_not1_b32 s3, vcc_lo, exec_lo
.LBB220_670:
	s_or_b32 exec_lo, exec_lo, s2
	s_delay_alu instid0(SALU_CYCLE_1)
	s_and_b32 exec_lo, exec_lo, s3
	s_cbranch_execz .LBB220_673
; %bb.671:
	s_ashr_i32 s11, s10, 31
	s_delay_alu instid0(SALU_CYCLE_1) | instskip(NEXT) | instid1(SALU_CYCLE_1)
	s_lshl_b64 s[2:3], s[10:11], 2
	s_add_nc_u64 s[2:3], s[6:7], s[2:3]
	s_load_b32 s2, s[2:3], 0x0
	s_wait_kmcnt 0x0
	v_lshl_add_u32 v3, v1, 2, s2
	s_mov_b32 s2, 0
.LBB220_672:                            ; =>This Inner Loop Header: Depth=1
	ds_load_b32 v4, v3
	s_wait_dscnt 0x0
	v_dual_mul_f32 v4, v0, v4 :: v_dual_add_nc_u32 v1, 0x80, v1
	s_delay_alu instid0(VALU_DEP_1) | instskip(SKIP_3) | instid1(SALU_CYCLE_1)
	v_cmp_ge_i32_e32 vcc_lo, v1, v2
	ds_store_b32 v3, v4
	v_add_nc_u32_e32 v3, 0x200, v3
	s_or_b32 s2, vcc_lo, s2
	s_and_not1_b32 exec_lo, exec_lo, s2
	s_cbranch_execnz .LBB220_672
.LBB220_673:
	s_or_b32 exec_lo, exec_lo, s1
	s_wait_dscnt 0x0
	s_barrier_signal -1
	s_barrier_wait -1
	s_and_saveexec_b32 s1, s0
	s_delay_alu instid0(SALU_CYCLE_1)
	s_xor_b32 s0, exec_lo, s1
	s_cbranch_execz .LBB220_675
; %bb.674:
	s_ashr_i32 s11, s10, 31
                                        ; implicit-def: $vgpr0
                                        ; implicit-def: $vgpr16
                                        ; kill: killed $vgpr0
                                        ; implicit-def: $vgpr0
	scratch_store_b64 off, v[0:1], s32 offset:380 ; 8-byte Folded Spill
                                        ; implicit-def: $vgpr38_vgpr39
                                        ; implicit-def: $vgpr22_vgpr23
                                        ; implicit-def: $vgpr10_vgpr11
                                        ; implicit-def: $vgpr36_vgpr37
                                        ; implicit-def: $vgpr48
                                        ; implicit-def: $vgpr17
.LBB220_675:
	s_wait_xcnt 0x0
	s_or_saveexec_b32 s1, s0
	v_mov_b64_e32 v[0:1], s[10:11]
	v_dual_mov_b32 v9, 0 :: v_dual_bitop2_b32 v70, 7, v26 bitop3:0x40
	v_dual_mov_b32 v8, 0 :: v_dual_mov_b32 v13, 0
	v_dual_mov_b32 v12, 0 :: v_dual_mov_b32 v15, 0
	;; [unrolled: 1-line block ×9, first 2 shown]
	v_mov_b32_e32 v34, 0
	s_xor_b32 exec_lo, exec_lo, s1
	s_cbranch_execz .LBB220_1359
; %bb.676:
	flat_load_b32 v22, v[22:23]
	s_clause 0x1
	scratch_load_b32 v0, off, s32 offset:740
	scratch_load_b32 v125, off, s32 offset:736
	s_ashr_i32 s11, s10, 31
	v_dual_mov_b32 v111, v16 :: v_dual_lshlrev_b32 v3, 4, v70
	s_lshl_b64 s[2:3], s[10:11], 2
	v_dual_mov_b32 v9, 0 :: v_dual_mov_b32 v8, 0
	s_add_nc_u64 s[2:3], s[6:7], s[2:3]
	v_dual_mov_b32 v13, 0 :: v_dual_mov_b32 v12, 0
	s_load_b32 s0, s[2:3], 0x0
	v_dual_mov_b32 v15, 0 :: v_dual_mov_b32 v14, 0
	v_dual_mov_b32 v21, 0 :: v_dual_mov_b32 v20, 0
	;; [unrolled: 1-line block ×7, first 2 shown]
	s_wait_xcnt 0x0
	s_mov_b32 s2, 0
	v_dual_mov_b32 v7, 0 :: v_dual_mov_b32 v35, 0
	s_wait_loadcnt_dscnt 0x100
	v_dual_mov_b32 v23, v22 :: v_dual_lshlrev_b32 v2, 2, v0
	v_add_nc_u64_e32 v[0:1], v[36:37], v[48:49]
	s_wait_loadcnt 0x0
	v_lshl_or_b32 v3, v125, 7, v3
	v_mov_b32_e32 v34, 0
	v_and_b32_e32 v6, 0x7c, v2
	s_wait_kmcnt 0x0
	s_delay_alu instid0(VALU_DEP_3) | instskip(NEXT) | instid1(VALU_DEP_2)
	v_dual_add_nc_u32 v124, s0, v3 :: v_dual_bitop2_b32 v2, 28, v2 bitop3:0x40
	v_add_nc_u64_e32 v[0:1], v[0:1], v[6:7]
	v_and_b32_e32 v6, 0x7c, v17
	scratch_store_b32 off, v70, s32 offset:204 ; 4-byte Folded Spill
	v_lshl_or_b32 v123, v125, 5, v2
	scratch_store_b64 off, v[0:1], s32 offset:196 ; 8-byte Folded Spill
	s_wait_xcnt 0x0
	v_lshl_add_u64 v[0:1], v[38:39], 2, v[6:7]
	s_delay_alu instid0(VALU_DEP_1)
	v_add_nc_u64_e32 v[10:11], v[10:11], v[0:1]
	s_branch .LBB220_678
.LBB220_677:                            ;   in Loop: Header=BB220_678 Depth=1
	s_or_b32 exec_lo, exec_lo, s3
	v_mul_f32_e32 v17, v3, v91
	v_mul_f32_e32 v6, v3, v95
	;; [unrolled: 1-line block ×4, first 2 shown]
	v_add_nc_u64_e32 v[10:11], 16, v[10:11]
	v_fmac_f32_e32 v17, v2, v90
	v_dual_fmac_f32 v6, v2, v94 :: v_dual_mul_f32 v63, v3, v63
	v_fmac_f32_e32 v37, v2, v74
	v_dual_fmac_f32 v36, v2, v78 :: v_dual_add_nc_u32 v123, 0x80, v123
	s_delay_alu instid0(VALU_DEP_3) | instskip(SKIP_2) | instid1(VALU_DEP_3)
	v_fmac_f32_e32 v6, v4, v92
	v_dual_fmac_f32 v17, v4, v88 :: v_dual_mul_f32 v59, v3, v59
	v_dual_fmac_f32 v63, v2, v62 :: v_dual_add_nc_u32 v124, 0x200, v124
	v_dual_fmac_f32 v6, v5, v93 :: v_dual_fmac_f32 v36, v4, v76
	s_delay_alu instid0(VALU_DEP_3) | instskip(NEXT) | instid1(VALU_DEP_4)
	v_fmac_f32_e32 v17, v5, v89
	v_dual_fmac_f32 v37, v4, v72 :: v_dual_fmac_f32 v59, v2, v58
	s_delay_alu instid0(VALU_DEP_3) | instskip(NEXT) | instid1(VALU_DEP_2)
	v_dual_mul_f32 v103, v3, v103 :: v_dual_fmac_f32 v36, v5, v77
	v_dual_fmac_f32 v63, v4, v60 :: v_dual_fmac_f32 v37, v5, v73
	s_delay_alu instid0(VALU_DEP_4) | instskip(NEXT) | instid1(VALU_DEP_2)
	v_dual_add_f32 v8, v8, v6 :: v_dual_add_f32 v13, v13, v17
	v_dual_add_f32 v12, v12, v36 :: v_dual_fmac_f32 v63, v5, v61
	s_delay_alu instid0(VALU_DEP_3) | instskip(SKIP_2) | instid1(VALU_DEP_4)
	v_add_f32_e32 v15, v15, v37
	v_mul_f32_e32 v17, v3, v43
	v_dual_mul_f32 v6, v3, v47 :: v_dual_fmac_f32 v59, v4, v56
	v_add_f32_e32 v14, v14, v63
	s_delay_alu instid0(VALU_DEP_3) | instskip(NEXT) | instid1(VALU_DEP_3)
	v_dual_mul_f32 v36, v3, v119 :: v_dual_fmac_f32 v17, v2, v42
	v_dual_fmac_f32 v6, v2, v46 :: v_dual_fmac_f32 v59, v5, v57
	s_delay_alu instid0(VALU_DEP_2) | instskip(NEXT) | instid1(VALU_DEP_3)
	v_dual_mul_f32 v37, v3, v115 :: v_dual_fmac_f32 v36, v2, v118
	v_fmac_f32_e32 v17, v4, v40
	s_delay_alu instid0(VALU_DEP_3) | instskip(NEXT) | instid1(VALU_DEP_3)
	v_dual_fmac_f32 v6, v4, v44 :: v_dual_add_f32 v21, v21, v59
	v_dual_fmac_f32 v37, v2, v114 :: v_dual_fmac_f32 v36, v4, v116
	s_delay_alu instid0(VALU_DEP_3) | instskip(NEXT) | instid1(VALU_DEP_3)
	v_fmac_f32_e32 v17, v5, v41
	v_fmac_f32_e32 v6, v5, v45
	s_delay_alu instid0(VALU_DEP_3) | instskip(NEXT) | instid1(VALU_DEP_4)
	v_dual_add_nc_u32 v125, 4, v125 :: v_dual_fmac_f32 v37, v4, v112
	v_fmac_f32_e32 v36, v5, v117
	s_delay_alu instid0(VALU_DEP_3) | instskip(NEXT) | instid1(VALU_DEP_3)
	v_dual_add_f32 v25, v25, v17 :: v_dual_add_f32 v20, v20, v6
	v_dual_mul_f32 v17, v3, v87 :: v_dual_fmac_f32 v37, v5, v113
	s_delay_alu instid0(VALU_DEP_3) | instskip(NEXT) | instid1(VALU_DEP_2)
	v_dual_fmac_f32 v103, v2, v102 :: v_dual_add_f32 v24, v24, v36
	v_add_f32_e32 v27, v27, v37
	s_delay_alu instid0(VALU_DEP_2) | instskip(SKIP_2) | instid1(VALU_DEP_3)
	v_dual_mul_f32 v6, v3, v99 :: v_dual_fmac_f32 v103, v4, v100
	v_dual_mul_f32 v36, v3, v83 :: v_dual_mul_f32 v37, v3, v81
	v_fmac_f32_e32 v17, v2, v86
	v_dual_fmac_f32 v6, v2, v98 :: v_dual_fmac_f32 v103, v5, v101
	s_delay_alu instid0(VALU_DEP_3) | instskip(NEXT) | instid1(VALU_DEP_3)
	v_dual_fmac_f32 v36, v2, v82 :: v_dual_fmac_f32 v37, v2, v80
	v_fmac_f32_e32 v17, v4, v84
	s_delay_alu instid0(VALU_DEP_3) | instskip(NEXT) | instid1(VALU_DEP_3)
	v_dual_fmac_f32 v6, v4, v96 :: v_dual_add_f32 v26, v26, v103
	v_dual_fmac_f32 v36, v4, v18 :: v_dual_fmac_f32 v37, v4, v0
	s_delay_alu instid0(VALU_DEP_3) | instskip(NEXT) | instid1(VALU_DEP_3)
	v_fmac_f32_e32 v17, v5, v85
	v_dual_fmac_f32 v6, v5, v97 :: v_dual_mul_f32 v18, v3, v71
	s_delay_alu instid0(VALU_DEP_3) | instskip(NEXT) | instid1(VALU_DEP_2)
	v_dual_fmac_f32 v36, v5, v19 :: v_dual_fmac_f32 v37, v5, v1
	v_dual_add_f32 v28, v28, v17 :: v_dual_add_f32 v29, v29, v6
	s_delay_alu instid0(VALU_DEP_2) | instskip(SKIP_1) | instid1(VALU_DEP_4)
	v_dual_fmac_f32 v18, v2, v70 :: v_dual_add_f32 v31, v31, v36
	v_dual_mul_f32 v17, v3, v55 :: v_dual_mul_f32 v19, v3, v49
	v_dual_add_f32 v30, v30, v37 :: v_dual_mul_f32 v6, v3, v67
	s_delay_alu instid0(VALU_DEP_2) | instskip(SKIP_1) | instid1(VALU_DEP_3)
	v_dual_fmac_f32 v18, v4, v68 :: v_dual_fmac_f32 v17, v2, v54
	v_pk_mul_f32 v[0:1], v[2:3], v[104:105]
	v_dual_fmac_f32 v19, v2, v48 :: v_dual_fmac_f32 v6, v2, v66
	v_pk_mul_f32 v[2:3], v[4:5], v[50:51]
	s_delay_alu instid0(VALU_DEP_4) | instskip(NEXT) | instid1(VALU_DEP_4)
	v_dual_fmac_f32 v18, v5, v69 :: v_dual_fmac_f32 v17, v4, v52
	v_add_f32_e32 v0, v0, v1
	s_delay_alu instid0(VALU_DEP_4) | instskip(NEXT) | instid1(VALU_DEP_3)
	v_dual_fmac_f32 v6, v4, v64 :: v_dual_fmac_f32 v19, v4, v38
	v_add_f32_e32 v33, v33, v18
	s_delay_alu instid0(VALU_DEP_3) | instskip(NEXT) | instid1(VALU_DEP_3)
	v_dual_fmac_f32 v17, v5, v53 :: v_dual_add_f32 v0, v2, v0
	v_dual_fmac_f32 v6, v5, v65 :: v_dual_fmac_f32 v19, v5, v39
	s_delay_alu instid0(VALU_DEP_2) | instskip(NEXT) | instid1(VALU_DEP_2)
	v_add_f32_e32 v35, v35, v17
	v_dual_add_f32 v0, v3, v0 :: v_dual_add_f32 v32, v32, v6
	s_delay_alu instid0(VALU_DEP_1)
	v_dual_add_f32 v34, v34, v19 :: v_dual_add_f32 v9, v9, v0
	scratch_load_b32 v0, off, s32 offset:192 ; 4-byte Folded Reload
	s_wait_loadcnt 0x0
	v_cmp_ge_i32_e32 vcc_lo, v125, v0
	s_or_b32 s2, vcc_lo, s2
	s_wait_xcnt 0x0
	s_and_not1_b32 exec_lo, exec_lo, s2
	s_cbranch_execz .LBB220_1358
.LBB220_678:                            ; =>This Inner Loop Header: Depth=1
	flat_load_b32 v0, v[10:11]
	s_clause 0x1
	scratch_load_b64 v[2:3], off, s32 offset:380
	scratch_load_b64 v[4:5], off, s32 offset:196
	v_mov_b64_e32 v[18:19], 0
	s_mov_b32 s0, exec_lo
	s_wait_loadcnt_dscnt 0x0
	v_mad_nc_i64_i32 v[50:51], v0, v2, v[4:5]
	ds_load_b128 v[2:5], v124
	v_mov_b64_e32 v[0:1], 0
	flat_load_b32 v17, v[50:51]
	s_wait_loadcnt_dscnt 0x0
	v_and_b32_e32 v6, 0xff, v17
	s_wait_xcnt 0x0
	s_delay_alu instid0(VALU_DEP_1)
	v_cmpx_ne_u16_e32 0, v6
	s_cbranch_execz .LBB220_686
; %bb.679:                              ;   in Loop: Header=BB220_678 Depth=1
	v_mov_b64_e32 v[18:19], 0x80000000
	s_mov_b32 s3, exec_lo
	v_cmpx_ne_u16_e32 0x80, v6
	s_cbranch_execz .LBB220_685
; %bb.680:                              ;   in Loop: Header=BB220_678 Depth=1
	v_mov_b64_e32 v[18:19], 0x7f800001
	v_and_b32_e32 v38, 0x7f, v17
	s_mov_b32 s8, exec_lo
	s_delay_alu instid0(VALU_DEP_1)
	v_cmpx_ne_u32_e32 0x7f, v38
	s_cbranch_execz .LBB220_684
; %bb.681:                              ;   in Loop: Header=BB220_678 Depth=1
	v_dual_lshrrev_b32 v18, 3, v38 :: v_dual_bitop2_b32 v6, 7, v17 bitop3:0x40
	s_mov_b32 s9, exec_lo
	v_cmpx_gt_u32_e32 8, v38
; %bb.682:                              ;   in Loop: Header=BB220_678 Depth=1
	s_delay_alu instid0(VALU_DEP_2) | instskip(NEXT) | instid1(VALU_DEP_1)
	v_clz_i32_u32_e32 v18, v6
	v_min_u32_e32 v18, 32, v18
	s_delay_alu instid0(VALU_DEP_1) | instskip(SKIP_1) | instid1(VALU_DEP_2)
	v_subrev_nc_u32_e32 v19, 28, v18
	v_sub_nc_u32_e32 v18, 29, v18
	v_lshlrev_b64_e32 v[38:39], v19, v[6:7]
	s_delay_alu instid0(VALU_DEP_1)
	v_and_b32_e32 v6, 7, v38
; %bb.683:                              ;   in Loop: Header=BB220_678 Depth=1
	s_or_b32 exec_lo, exec_lo, s9
	s_delay_alu instid0(VALU_DEP_1) | instskip(SKIP_1) | instid1(VALU_DEP_2)
	v_dual_lshlrev_b32 v19, 24, v17 :: v_dual_lshlrev_b32 v6, 20, v6
	v_lshl_add_u32 v18, v18, 23, 0x3c000000
	v_and_b32_e32 v19, 0x80000000, v19
	s_delay_alu instid0(VALU_DEP_1) | instskip(NEXT) | instid1(VALU_DEP_1)
	v_or3_b32 v6, v6, v19, v18
	v_mov_b64_e32 v[18:19], v[6:7]
.LBB220_684:                            ;   in Loop: Header=BB220_678 Depth=1
	s_or_b32 exec_lo, exec_lo, s8
.LBB220_685:                            ;   in Loop: Header=BB220_678 Depth=1
	s_delay_alu instid0(SALU_CYCLE_1)
	s_or_b32 exec_lo, exec_lo, s3
.LBB220_686:                            ;   in Loop: Header=BB220_678 Depth=1
	s_delay_alu instid0(SALU_CYCLE_1) | instskip(SKIP_2) | instid1(VALU_DEP_1)
	s_or_b32 exec_lo, exec_lo, s0
	v_lshrrev_b16 v6, 8, v17
	s_mov_b32 s0, exec_lo
	v_cmpx_ne_u16_e32 0, v6
	s_cbranch_execz .LBB220_694
; %bb.687:                              ;   in Loop: Header=BB220_678 Depth=1
	v_mov_b64_e32 v[0:1], 0x8000000000000000
	s_mov_b32 s3, exec_lo
	v_cmpx_ne_u16_e32 0x80, v6
	s_cbranch_execz .LBB220_693
; %bb.688:                              ;   in Loop: Header=BB220_678 Depth=1
	v_and_b32_e32 v6, 0xffff, v6
	v_mov_b64_e32 v[0:1], 0x7f80000100000000
	s_mov_b32 s8, exec_lo
	s_delay_alu instid0(VALU_DEP_2) | instskip(NEXT) | instid1(VALU_DEP_1)
	v_and_b32_e32 v38, 0x7f, v6
	v_cmpx_ne_u32_e32 0x7f, v38
	s_cbranch_execz .LBB220_692
; %bb.689:                              ;   in Loop: Header=BB220_678 Depth=1
	v_and_b32_e32 v6, 7, v6
	v_lshrrev_b32_e32 v0, 3, v38
	s_mov_b32 s9, exec_lo
	v_cmpx_gt_u32_e32 8, v38
; %bb.690:                              ;   in Loop: Header=BB220_678 Depth=1
	s_delay_alu instid0(VALU_DEP_3) | instskip(NEXT) | instid1(VALU_DEP_1)
	v_clz_i32_u32_e32 v0, v6
	v_min_u32_e32 v0, 32, v0
	s_delay_alu instid0(VALU_DEP_1) | instskip(NEXT) | instid1(VALU_DEP_1)
	v_subrev_nc_u32_e32 v1, 28, v0
	v_lshlrev_b64_e32 v[38:39], v1, v[6:7]
	s_delay_alu instid0(VALU_DEP_1)
	v_dual_sub_nc_u32 v0, 29, v0 :: v_dual_bitop2_b32 v6, 7, v38 bitop3:0x40
; %bb.691:                              ;   in Loop: Header=BB220_678 Depth=1
	s_or_b32 exec_lo, exec_lo, s9
	s_delay_alu instid0(VALU_DEP_1) | instskip(NEXT) | instid1(VALU_DEP_2)
	v_dual_lshlrev_b32 v1, 16, v17 :: v_dual_lshlrev_b32 v6, 20, v6
	v_lshl_add_u32 v0, v0, 23, 0x3c000000
	s_delay_alu instid0(VALU_DEP_2) | instskip(NEXT) | instid1(VALU_DEP_1)
	v_and_b32_e32 v1, 0x80000000, v1
	v_or3_b32 v1, v6, v1, v0
	v_mov_b32_e32 v0, v7
.LBB220_692:                            ;   in Loop: Header=BB220_678 Depth=1
	s_or_b32 exec_lo, exec_lo, s8
.LBB220_693:                            ;   in Loop: Header=BB220_678 Depth=1
	s_delay_alu instid0(SALU_CYCLE_1)
	s_or_b32 exec_lo, exec_lo, s3
.LBB220_694:                            ;   in Loop: Header=BB220_678 Depth=1
	s_delay_alu instid0(SALU_CYCLE_1) | instskip(SKIP_4) | instid1(VALU_DEP_3)
	s_or_b32 exec_lo, exec_lo, s0
	v_lshrrev_b32_e32 v52, 16, v17
	v_mov_b64_e32 v[38:39], 0
	v_mov_b64_e32 v[48:49], 0
	s_mov_b32 s0, exec_lo
	v_and_b32_e32 v6, 0xff, v52
	s_delay_alu instid0(VALU_DEP_1)
	v_cmpx_ne_u16_e32 0, v6
	s_cbranch_execz .LBB220_702
; %bb.695:                              ;   in Loop: Header=BB220_678 Depth=1
	v_mov_b64_e32 v[48:49], 0x80000000
	s_mov_b32 s3, exec_lo
	v_cmpx_ne_u16_e32 0x80, v6
	s_cbranch_execz .LBB220_701
; %bb.696:                              ;   in Loop: Header=BB220_678 Depth=1
	v_mov_b64_e32 v[48:49], 0x7f800001
	v_bfe_u32 v53, v17, 16, 7
	s_mov_b32 s8, exec_lo
	s_delay_alu instid0(VALU_DEP_1)
	v_cmpx_ne_u32_e32 0x7f, v53
	s_cbranch_execz .LBB220_700
; %bb.697:                              ;   in Loop: Header=BB220_678 Depth=1
	v_dual_lshrrev_b32 v48, 3, v53 :: v_dual_bitop2_b32 v6, 7, v52 bitop3:0x40
	s_mov_b32 s9, exec_lo
	v_cmpx_gt_u32_e32 8, v53
; %bb.698:                              ;   in Loop: Header=BB220_678 Depth=1
	s_delay_alu instid0(VALU_DEP_2) | instskip(NEXT) | instid1(VALU_DEP_1)
	v_clz_i32_u32_e32 v36, v6
	v_min_u32_e32 v36, 32, v36
	s_delay_alu instid0(VALU_DEP_1) | instskip(NEXT) | instid1(VALU_DEP_1)
	v_subrev_nc_u32_e32 v37, 28, v36
	v_lshlrev_b64_e32 v[54:55], v37, v[6:7]
	s_delay_alu instid0(VALU_DEP_1)
	v_dual_sub_nc_u32 v48, 29, v36 :: v_dual_bitop2_b32 v6, 7, v54 bitop3:0x40
; %bb.699:                              ;   in Loop: Header=BB220_678 Depth=1
	s_or_b32 exec_lo, exec_lo, s9
	s_delay_alu instid0(VALU_DEP_1) | instskip(NEXT) | instid1(VALU_DEP_2)
	v_dual_lshlrev_b32 v36, 24, v52 :: v_dual_lshlrev_b32 v6, 20, v6
	v_lshl_add_u32 v37, v48, 23, 0x3c000000
	s_delay_alu instid0(VALU_DEP_2) | instskip(NEXT) | instid1(VALU_DEP_1)
	v_and_b32_e32 v36, 0x80000000, v36
	v_or3_b32 v6, v6, v36, v37
	s_delay_alu instid0(VALU_DEP_1)
	v_mov_b64_e32 v[48:49], v[6:7]
.LBB220_700:                            ;   in Loop: Header=BB220_678 Depth=1
	s_or_b32 exec_lo, exec_lo, s8
.LBB220_701:                            ;   in Loop: Header=BB220_678 Depth=1
	s_delay_alu instid0(SALU_CYCLE_1)
	s_or_b32 exec_lo, exec_lo, s3
.LBB220_702:                            ;   in Loop: Header=BB220_678 Depth=1
	s_delay_alu instid0(SALU_CYCLE_1) | instskip(NEXT) | instid1(SALU_CYCLE_1)
	s_or_b32 exec_lo, exec_lo, s0
	s_mov_b32 s0, exec_lo
	v_cmpx_lt_u32_e32 0xffffff, v17
	s_cbranch_execz .LBB220_710
; %bb.703:                              ;   in Loop: Header=BB220_678 Depth=1
	v_mov_b64_e32 v[38:39], 0x8000000000000000
	v_lshrrev_b32_e32 v52, 24, v17
	s_mov_b32 s3, exec_lo
	s_delay_alu instid0(VALU_DEP_1)
	v_cmpx_ne_u32_e32 0x80, v52
	s_cbranch_execz .LBB220_709
; %bb.704:                              ;   in Loop: Header=BB220_678 Depth=1
	v_mov_b64_e32 v[38:39], 0x7f80000100000000
	v_bfe_u32 v53, v17, 24, 7
	s_mov_b32 s8, exec_lo
	s_delay_alu instid0(VALU_DEP_1)
	v_cmpx_ne_u32_e32 0x7f, v53
	s_cbranch_execz .LBB220_708
; %bb.705:                              ;   in Loop: Header=BB220_678 Depth=1
	v_dual_lshrrev_b32 v17, 3, v53 :: v_dual_bitop2_b32 v6, 7, v52 bitop3:0x40
	s_mov_b32 s9, exec_lo
	v_cmpx_gt_u32_e32 8, v53
; %bb.706:                              ;   in Loop: Header=BB220_678 Depth=1
	s_delay_alu instid0(VALU_DEP_2) | instskip(NEXT) | instid1(VALU_DEP_1)
	v_clz_i32_u32_e32 v17, v6
	v_min_u32_e32 v17, 32, v17
	s_delay_alu instid0(VALU_DEP_1) | instskip(NEXT) | instid1(VALU_DEP_1)
	v_subrev_nc_u32_e32 v36, 28, v17
	v_lshlrev_b64_e32 v[38:39], v36, v[6:7]
	s_delay_alu instid0(VALU_DEP_1)
	v_dual_sub_nc_u32 v17, 29, v17 :: v_dual_bitop2_b32 v6, 7, v38 bitop3:0x40
; %bb.707:                              ;   in Loop: Header=BB220_678 Depth=1
	s_or_b32 exec_lo, exec_lo, s9
	s_delay_alu instid0(VALU_DEP_1) | instskip(NEXT) | instid1(VALU_DEP_2)
	v_dual_lshlrev_b32 v36, 24, v52 :: v_dual_lshlrev_b32 v6, 20, v6
	v_lshl_add_u32 v17, v17, 23, 0x3c000000
	v_mov_b32_e32 v38, v7
	s_delay_alu instid0(VALU_DEP_3) | instskip(NEXT) | instid1(VALU_DEP_1)
	v_and_b32_e32 v36, 0x80000000, v36
	v_or3_b32 v39, v6, v36, v17
.LBB220_708:                            ;   in Loop: Header=BB220_678 Depth=1
	s_or_b32 exec_lo, exec_lo, s8
.LBB220_709:                            ;   in Loop: Header=BB220_678 Depth=1
	s_delay_alu instid0(SALU_CYCLE_1)
	s_or_b32 exec_lo, exec_lo, s3
.LBB220_710:                            ;   in Loop: Header=BB220_678 Depth=1
	s_delay_alu instid0(SALU_CYCLE_1)
	s_or_b32 exec_lo, exec_lo, s0
	scratch_load_b32 v6, off, s32 offset:192 ; 4-byte Folded Reload
	v_or_b32_e32 v1, v1, v19
	v_dual_add_nc_u32 v17, 1, v123 :: v_dual_bitop2_b32 v0, v0, v18 bitop3:0x54
	v_dual_add_nc_u32 v109, 2, v123 :: v_dual_bitop2_b32 v19, v39, v49 bitop3:0x54
	;; [unrolled: 1-line block ×3, first 2 shown]
	s_delay_alu instid0(VALU_DEP_1) | instskip(SKIP_3) | instid1(VALU_DEP_2)
	v_pk_mul_f32 v[38:39], v[22:23], v[18:19]
	s_wait_loadcnt 0x0
	v_add_nc_u32_e32 v6, -1, v6
	v_pk_mul_f32 v[48:49], v[22:23], v[0:1]
	v_cmp_eq_u32_e32 vcc_lo, v6, v125
	s_wait_xcnt 0x0
	s_and_saveexec_b32 s3, vcc_lo
	s_cbranch_execz .LBB220_712
; %bb.711:                              ;   in Loop: Header=BB220_678 Depth=1
	v_cmp_lt_i32_e64 s0, v123, v16
	s_delay_alu instid0(VALU_DEP_1) | instskip(SKIP_1) | instid1(VALU_DEP_1)
	v_cndmask_b32_e64 v48, 0, v48, s0
	v_cmp_lt_i32_e64 s0, v17, v16
	v_cndmask_b32_e64 v49, 0, v49, s0
	v_cmp_lt_i32_e64 s0, v109, v16
	s_delay_alu instid0(VALU_DEP_1) | instskip(SKIP_1) | instid1(VALU_DEP_1)
	v_cndmask_b32_e64 v38, 0, v38, s0
	v_cmp_lt_i32_e64 s0, v108, v16
	v_cndmask_b32_e64 v39, 0, v39, s0
.LBB220_712:                            ;   in Loop: Header=BB220_678 Depth=1
	s_or_b32 exec_lo, exec_lo, s3
	flat_load_b32 v64, v[50:51] offset:128
	v_mov_b64_e32 v[0:1], 0
	v_mov_b64_e32 v[18:19], 0
	s_mov_b32 s3, exec_lo
	s_wait_loadcnt_dscnt 0x0
	v_and_b32_e32 v6, 0xff, v64
	s_wait_xcnt 0x0
	s_delay_alu instid0(VALU_DEP_1)
	v_cmpx_ne_u16_e32 0, v6
	s_cbranch_execz .LBB220_720
; %bb.713:                              ;   in Loop: Header=BB220_678 Depth=1
	v_mov_b64_e32 v[18:19], 0x80000000
	s_mov_b32 s8, exec_lo
	v_cmpx_ne_u16_e32 0x80, v6
	s_cbranch_execz .LBB220_719
; %bb.714:                              ;   in Loop: Header=BB220_678 Depth=1
	v_mov_b64_e32 v[18:19], 0x7f800001
	v_and_b32_e32 v52, 0x7f, v64
	s_mov_b32 s9, exec_lo
	s_delay_alu instid0(VALU_DEP_1)
	v_cmpx_ne_u32_e32 0x7f, v52
	s_cbranch_execz .LBB220_718
; %bb.715:                              ;   in Loop: Header=BB220_678 Depth=1
	v_and_b32_e32 v6, 7, v64
	v_lshrrev_b32_e32 v18, 3, v52
	s_mov_b32 s16, exec_lo
	v_cmpx_gt_u32_e32 8, v52
; %bb.716:                              ;   in Loop: Header=BB220_678 Depth=1
	s_delay_alu instid0(VALU_DEP_3) | instskip(NEXT) | instid1(VALU_DEP_1)
	v_clz_i32_u32_e32 v18, v6
	v_min_u32_e32 v18, 32, v18
	s_delay_alu instid0(VALU_DEP_1) | instskip(NEXT) | instid1(VALU_DEP_1)
	v_subrev_nc_u32_e32 v19, 28, v18
	v_lshlrev_b64_e32 v[52:53], v19, v[6:7]
	s_delay_alu instid0(VALU_DEP_1)
	v_dual_sub_nc_u32 v18, 29, v18 :: v_dual_bitop2_b32 v6, 7, v52 bitop3:0x40
; %bb.717:                              ;   in Loop: Header=BB220_678 Depth=1
	s_or_b32 exec_lo, exec_lo, s16
	s_delay_alu instid0(VALU_DEP_1) | instskip(NEXT) | instid1(VALU_DEP_2)
	v_dual_lshlrev_b32 v19, 24, v64 :: v_dual_lshlrev_b32 v6, 20, v6
	v_lshl_add_u32 v18, v18, 23, 0x3c000000
	s_delay_alu instid0(VALU_DEP_2) | instskip(NEXT) | instid1(VALU_DEP_1)
	v_and_b32_e32 v19, 0x80000000, v19
	v_or3_b32 v6, v6, v19, v18
	s_delay_alu instid0(VALU_DEP_1)
	v_mov_b64_e32 v[18:19], v[6:7]
.LBB220_718:                            ;   in Loop: Header=BB220_678 Depth=1
	s_or_b32 exec_lo, exec_lo, s9
.LBB220_719:                            ;   in Loop: Header=BB220_678 Depth=1
	s_delay_alu instid0(SALU_CYCLE_1)
	s_or_b32 exec_lo, exec_lo, s8
.LBB220_720:                            ;   in Loop: Header=BB220_678 Depth=1
	s_delay_alu instid0(SALU_CYCLE_1) | instskip(SKIP_2) | instid1(VALU_DEP_1)
	s_or_b32 exec_lo, exec_lo, s3
	v_lshrrev_b16 v6, 8, v64
	s_mov_b32 s3, exec_lo
	v_cmpx_ne_u16_e32 0, v6
	s_cbranch_execz .LBB220_728
; %bb.721:                              ;   in Loop: Header=BB220_678 Depth=1
	v_mov_b64_e32 v[0:1], 0x8000000000000000
	s_mov_b32 s8, exec_lo
	v_cmpx_ne_u16_e32 0x80, v6
	s_cbranch_execz .LBB220_727
; %bb.722:                              ;   in Loop: Header=BB220_678 Depth=1
	v_and_b32_e32 v6, 0xffff, v6
	v_mov_b64_e32 v[0:1], 0x7f80000100000000
	s_mov_b32 s9, exec_lo
	s_delay_alu instid0(VALU_DEP_2) | instskip(NEXT) | instid1(VALU_DEP_1)
	v_and_b32_e32 v52, 0x7f, v6
	v_cmpx_ne_u32_e32 0x7f, v52
	s_cbranch_execz .LBB220_726
; %bb.723:                              ;   in Loop: Header=BB220_678 Depth=1
	v_dual_lshrrev_b32 v0, 3, v52 :: v_dual_bitop2_b32 v6, 7, v6 bitop3:0x40
	s_mov_b32 s16, exec_lo
	v_cmpx_gt_u32_e32 8, v52
; %bb.724:                              ;   in Loop: Header=BB220_678 Depth=1
	s_delay_alu instid0(VALU_DEP_2) | instskip(NEXT) | instid1(VALU_DEP_1)
	v_clz_i32_u32_e32 v0, v6
	v_min_u32_e32 v0, 32, v0
	s_delay_alu instid0(VALU_DEP_1) | instskip(SKIP_1) | instid1(VALU_DEP_2)
	v_subrev_nc_u32_e32 v1, 28, v0
	v_sub_nc_u32_e32 v0, 29, v0
	v_lshlrev_b64_e32 v[52:53], v1, v[6:7]
	s_delay_alu instid0(VALU_DEP_1)
	v_and_b32_e32 v6, 7, v52
; %bb.725:                              ;   in Loop: Header=BB220_678 Depth=1
	s_or_b32 exec_lo, exec_lo, s16
	s_delay_alu instid0(VALU_DEP_1) | instskip(SKIP_1) | instid1(VALU_DEP_2)
	v_dual_lshlrev_b32 v1, 16, v64 :: v_dual_lshlrev_b32 v6, 20, v6
	v_lshl_add_u32 v0, v0, 23, 0x3c000000
	v_and_b32_e32 v1, 0x80000000, v1
	s_delay_alu instid0(VALU_DEP_1)
	v_or3_b32 v1, v6, v1, v0
	v_mov_b32_e32 v0, v7
.LBB220_726:                            ;   in Loop: Header=BB220_678 Depth=1
	s_or_b32 exec_lo, exec_lo, s9
.LBB220_727:                            ;   in Loop: Header=BB220_678 Depth=1
	s_delay_alu instid0(SALU_CYCLE_1)
	s_or_b32 exec_lo, exec_lo, s8
.LBB220_728:                            ;   in Loop: Header=BB220_678 Depth=1
	s_delay_alu instid0(SALU_CYCLE_1) | instskip(SKIP_4) | instid1(VALU_DEP_3)
	s_or_b32 exec_lo, exec_lo, s3
	v_lshrrev_b32_e32 v65, 16, v64
	v_mov_b64_e32 v[52:53], 0
	v_mov_b64_e32 v[54:55], 0
	s_mov_b32 s3, exec_lo
	v_and_b32_e32 v6, 0xff, v65
	s_delay_alu instid0(VALU_DEP_1)
	v_cmpx_ne_u16_e32 0, v6
	s_cbranch_execz .LBB220_736
; %bb.729:                              ;   in Loop: Header=BB220_678 Depth=1
	v_mov_b64_e32 v[54:55], 0x80000000
	s_mov_b32 s8, exec_lo
	v_cmpx_ne_u16_e32 0x80, v6
	s_cbranch_execz .LBB220_735
; %bb.730:                              ;   in Loop: Header=BB220_678 Depth=1
	v_mov_b64_e32 v[54:55], 0x7f800001
	v_bfe_u32 v66, v64, 16, 7
	s_mov_b32 s9, exec_lo
	s_delay_alu instid0(VALU_DEP_1)
	v_cmpx_ne_u32_e32 0x7f, v66
	s_cbranch_execz .LBB220_734
; %bb.731:                              ;   in Loop: Header=BB220_678 Depth=1
	v_dual_lshrrev_b32 v54, 3, v66 :: v_dual_bitop2_b32 v6, 7, v65 bitop3:0x40
	s_mov_b32 s16, exec_lo
	v_cmpx_gt_u32_e32 8, v66
; %bb.732:                              ;   in Loop: Header=BB220_678 Depth=1
	s_delay_alu instid0(VALU_DEP_2) | instskip(NEXT) | instid1(VALU_DEP_1)
	v_clz_i32_u32_e32 v36, v6
	v_min_u32_e32 v36, 32, v36
	s_delay_alu instid0(VALU_DEP_1) | instskip(NEXT) | instid1(VALU_DEP_1)
	v_subrev_nc_u32_e32 v37, 28, v36
	v_lshlrev_b64_e32 v[66:67], v37, v[6:7]
	s_delay_alu instid0(VALU_DEP_1)
	v_dual_sub_nc_u32 v54, 29, v36 :: v_dual_bitop2_b32 v6, 7, v66 bitop3:0x40
; %bb.733:                              ;   in Loop: Header=BB220_678 Depth=1
	s_or_b32 exec_lo, exec_lo, s16
	s_delay_alu instid0(VALU_DEP_1) | instskip(NEXT) | instid1(VALU_DEP_2)
	v_dual_lshlrev_b32 v36, 24, v65 :: v_dual_lshlrev_b32 v6, 20, v6
	v_lshl_add_u32 v37, v54, 23, 0x3c000000
	s_delay_alu instid0(VALU_DEP_2) | instskip(NEXT) | instid1(VALU_DEP_1)
	v_and_b32_e32 v36, 0x80000000, v36
	v_or3_b32 v6, v6, v36, v37
	s_delay_alu instid0(VALU_DEP_1)
	v_mov_b64_e32 v[54:55], v[6:7]
.LBB220_734:                            ;   in Loop: Header=BB220_678 Depth=1
	s_or_b32 exec_lo, exec_lo, s9
.LBB220_735:                            ;   in Loop: Header=BB220_678 Depth=1
	s_delay_alu instid0(SALU_CYCLE_1)
	s_or_b32 exec_lo, exec_lo, s8
.LBB220_736:                            ;   in Loop: Header=BB220_678 Depth=1
	s_delay_alu instid0(SALU_CYCLE_1) | instskip(NEXT) | instid1(SALU_CYCLE_1)
	s_or_b32 exec_lo, exec_lo, s3
	s_mov_b32 s3, exec_lo
	v_cmpx_lt_u32_e32 0xffffff, v64
	s_cbranch_execz .LBB220_744
; %bb.737:                              ;   in Loop: Header=BB220_678 Depth=1
	v_mov_b64_e32 v[52:53], 0x8000000000000000
	v_lshrrev_b32_e32 v65, 24, v64
	s_mov_b32 s8, exec_lo
	s_delay_alu instid0(VALU_DEP_1)
	v_cmpx_ne_u32_e32 0x80, v65
	s_cbranch_execz .LBB220_743
; %bb.738:                              ;   in Loop: Header=BB220_678 Depth=1
	v_mov_b64_e32 v[52:53], 0x7f80000100000000
	v_bfe_u32 v64, v64, 24, 7
	s_mov_b32 s9, exec_lo
	s_delay_alu instid0(VALU_DEP_1)
	v_cmpx_ne_u32_e32 0x7f, v64
	s_cbranch_execz .LBB220_742
; %bb.739:                              ;   in Loop: Header=BB220_678 Depth=1
	v_dual_lshrrev_b32 v52, 3, v64 :: v_dual_bitop2_b32 v6, 7, v65 bitop3:0x40
	s_mov_b32 s16, exec_lo
	v_cmpx_gt_u32_e32 8, v64
; %bb.740:                              ;   in Loop: Header=BB220_678 Depth=1
	s_delay_alu instid0(VALU_DEP_2) | instskip(NEXT) | instid1(VALU_DEP_1)
	v_clz_i32_u32_e32 v36, v6
	v_min_u32_e32 v36, 32, v36
	s_delay_alu instid0(VALU_DEP_1) | instskip(NEXT) | instid1(VALU_DEP_1)
	v_subrev_nc_u32_e32 v37, 28, v36
	v_lshlrev_b64_e32 v[66:67], v37, v[6:7]
	s_delay_alu instid0(VALU_DEP_1)
	v_dual_sub_nc_u32 v52, 29, v36 :: v_dual_bitop2_b32 v6, 7, v66 bitop3:0x40
; %bb.741:                              ;   in Loop: Header=BB220_678 Depth=1
	s_or_b32 exec_lo, exec_lo, s16
	s_delay_alu instid0(VALU_DEP_1) | instskip(NEXT) | instid1(VALU_DEP_2)
	v_dual_lshlrev_b32 v36, 24, v65 :: v_dual_lshlrev_b32 v6, 20, v6
	v_lshl_add_u32 v37, v52, 23, 0x3c000000
	v_mov_b32_e32 v52, v7
	s_delay_alu instid0(VALU_DEP_3) | instskip(NEXT) | instid1(VALU_DEP_1)
	v_and_b32_e32 v36, 0x80000000, v36
	v_or3_b32 v53, v6, v36, v37
.LBB220_742:                            ;   in Loop: Header=BB220_678 Depth=1
	s_or_b32 exec_lo, exec_lo, s9
.LBB220_743:                            ;   in Loop: Header=BB220_678 Depth=1
	s_delay_alu instid0(SALU_CYCLE_1)
	s_or_b32 exec_lo, exec_lo, s8
.LBB220_744:                            ;   in Loop: Header=BB220_678 Depth=1
	s_delay_alu instid0(SALU_CYCLE_1) | instskip(SKIP_4) | instid1(VALU_DEP_3)
	s_or_b32 exec_lo, exec_lo, s3
	v_or_b32_e32 v1, v1, v19
	v_or_b32_e32 v0, v0, v18
	;; [unrolled: 1-line block ×4, first 2 shown]
	v_pk_mul_f32 v[54:55], v[22:23], v[0:1]
	s_delay_alu instid0(VALU_DEP_2)
	v_pk_mul_f32 v[52:53], v[22:23], v[18:19]
	s_and_saveexec_b32 s3, vcc_lo
	s_cbranch_execz .LBB220_746
; %bb.745:                              ;   in Loop: Header=BB220_678 Depth=1
	v_cmp_lt_i32_e64 s0, v123, v16
	s_delay_alu instid0(VALU_DEP_1) | instskip(SKIP_1) | instid1(VALU_DEP_1)
	v_cndmask_b32_e64 v54, 0, v54, s0
	v_cmp_lt_i32_e64 s0, v17, v16
	v_cndmask_b32_e64 v55, 0, v55, s0
	v_cmp_lt_i32_e64 s0, v109, v16
	s_delay_alu instid0(VALU_DEP_1) | instskip(SKIP_1) | instid1(VALU_DEP_1)
	v_cndmask_b32_e64 v52, 0, v52, s0
	v_cmp_lt_i32_e64 s0, v108, v16
	v_cndmask_b32_e64 v53, 0, v53, s0
.LBB220_746:                            ;   in Loop: Header=BB220_678 Depth=1
	s_or_b32 exec_lo, exec_lo, s3
	flat_load_b32 v68, v[50:51] offset:256
	v_mov_b64_e32 v[0:1], 0
	v_mov_b64_e32 v[18:19], 0
	s_mov_b32 s3, exec_lo
	s_wait_loadcnt_dscnt 0x0
	v_and_b32_e32 v6, 0xff, v68
	s_wait_xcnt 0x0
	s_delay_alu instid0(VALU_DEP_1)
	v_cmpx_ne_u16_e32 0, v6
	s_cbranch_execz .LBB220_754
; %bb.747:                              ;   in Loop: Header=BB220_678 Depth=1
	v_mov_b64_e32 v[18:19], 0x80000000
	s_mov_b32 s8, exec_lo
	v_cmpx_ne_u16_e32 0x80, v6
	s_cbranch_execz .LBB220_753
; %bb.748:                              ;   in Loop: Header=BB220_678 Depth=1
	v_mov_b64_e32 v[18:19], 0x7f800001
	v_and_b32_e32 v64, 0x7f, v68
	s_mov_b32 s9, exec_lo
	s_delay_alu instid0(VALU_DEP_1)
	v_cmpx_ne_u32_e32 0x7f, v64
	s_cbranch_execz .LBB220_752
; %bb.749:                              ;   in Loop: Header=BB220_678 Depth=1
	v_and_b32_e32 v6, 7, v68
	v_lshrrev_b32_e32 v18, 3, v64
	s_mov_b32 s16, exec_lo
	v_cmpx_gt_u32_e32 8, v64
; %bb.750:                              ;   in Loop: Header=BB220_678 Depth=1
	s_delay_alu instid0(VALU_DEP_3) | instskip(NEXT) | instid1(VALU_DEP_1)
	v_clz_i32_u32_e32 v18, v6
	v_min_u32_e32 v18, 32, v18
	s_delay_alu instid0(VALU_DEP_1) | instskip(NEXT) | instid1(VALU_DEP_1)
	v_subrev_nc_u32_e32 v19, 28, v18
	v_lshlrev_b64_e32 v[64:65], v19, v[6:7]
	s_delay_alu instid0(VALU_DEP_1)
	v_dual_sub_nc_u32 v18, 29, v18 :: v_dual_bitop2_b32 v6, 7, v64 bitop3:0x40
; %bb.751:                              ;   in Loop: Header=BB220_678 Depth=1
	s_or_b32 exec_lo, exec_lo, s16
	s_delay_alu instid0(VALU_DEP_1) | instskip(NEXT) | instid1(VALU_DEP_2)
	v_dual_lshlrev_b32 v19, 24, v68 :: v_dual_lshlrev_b32 v6, 20, v6
	v_lshl_add_u32 v18, v18, 23, 0x3c000000
	s_delay_alu instid0(VALU_DEP_2) | instskip(NEXT) | instid1(VALU_DEP_1)
	v_and_b32_e32 v19, 0x80000000, v19
	v_or3_b32 v6, v6, v19, v18
	s_delay_alu instid0(VALU_DEP_1)
	v_mov_b64_e32 v[18:19], v[6:7]
.LBB220_752:                            ;   in Loop: Header=BB220_678 Depth=1
	s_or_b32 exec_lo, exec_lo, s9
.LBB220_753:                            ;   in Loop: Header=BB220_678 Depth=1
	s_delay_alu instid0(SALU_CYCLE_1)
	s_or_b32 exec_lo, exec_lo, s8
.LBB220_754:                            ;   in Loop: Header=BB220_678 Depth=1
	s_delay_alu instid0(SALU_CYCLE_1) | instskip(SKIP_2) | instid1(VALU_DEP_1)
	s_or_b32 exec_lo, exec_lo, s3
	v_lshrrev_b16 v6, 8, v68
	s_mov_b32 s3, exec_lo
	v_cmpx_ne_u16_e32 0, v6
	s_cbranch_execz .LBB220_762
; %bb.755:                              ;   in Loop: Header=BB220_678 Depth=1
	v_mov_b64_e32 v[0:1], 0x8000000000000000
	s_mov_b32 s8, exec_lo
	v_cmpx_ne_u16_e32 0x80, v6
	s_cbranch_execz .LBB220_761
; %bb.756:                              ;   in Loop: Header=BB220_678 Depth=1
	v_and_b32_e32 v6, 0xffff, v6
	v_mov_b64_e32 v[0:1], 0x7f80000100000000
	s_mov_b32 s9, exec_lo
	s_delay_alu instid0(VALU_DEP_2) | instskip(NEXT) | instid1(VALU_DEP_1)
	v_and_b32_e32 v64, 0x7f, v6
	v_cmpx_ne_u32_e32 0x7f, v64
	s_cbranch_execz .LBB220_760
; %bb.757:                              ;   in Loop: Header=BB220_678 Depth=1
	v_dual_lshrrev_b32 v0, 3, v64 :: v_dual_bitop2_b32 v6, 7, v6 bitop3:0x40
	s_mov_b32 s16, exec_lo
	v_cmpx_gt_u32_e32 8, v64
; %bb.758:                              ;   in Loop: Header=BB220_678 Depth=1
	s_delay_alu instid0(VALU_DEP_2) | instskip(NEXT) | instid1(VALU_DEP_1)
	v_clz_i32_u32_e32 v0, v6
	v_min_u32_e32 v0, 32, v0
	s_delay_alu instid0(VALU_DEP_1) | instskip(SKIP_1) | instid1(VALU_DEP_2)
	v_subrev_nc_u32_e32 v1, 28, v0
	v_sub_nc_u32_e32 v0, 29, v0
	v_lshlrev_b64_e32 v[64:65], v1, v[6:7]
	s_delay_alu instid0(VALU_DEP_1)
	v_and_b32_e32 v6, 7, v64
; %bb.759:                              ;   in Loop: Header=BB220_678 Depth=1
	s_or_b32 exec_lo, exec_lo, s16
	s_delay_alu instid0(VALU_DEP_1) | instskip(SKIP_1) | instid1(VALU_DEP_2)
	v_dual_lshlrev_b32 v1, 16, v68 :: v_dual_lshlrev_b32 v6, 20, v6
	v_lshl_add_u32 v0, v0, 23, 0x3c000000
	v_and_b32_e32 v1, 0x80000000, v1
	s_delay_alu instid0(VALU_DEP_1)
	v_or3_b32 v1, v6, v1, v0
	v_mov_b32_e32 v0, v7
.LBB220_760:                            ;   in Loop: Header=BB220_678 Depth=1
	s_or_b32 exec_lo, exec_lo, s9
.LBB220_761:                            ;   in Loop: Header=BB220_678 Depth=1
	s_delay_alu instid0(SALU_CYCLE_1)
	s_or_b32 exec_lo, exec_lo, s8
.LBB220_762:                            ;   in Loop: Header=BB220_678 Depth=1
	s_delay_alu instid0(SALU_CYCLE_1) | instskip(SKIP_4) | instid1(VALU_DEP_3)
	s_or_b32 exec_lo, exec_lo, s3
	v_lshrrev_b32_e32 v69, 16, v68
	v_mov_b64_e32 v[64:65], 0
	v_mov_b64_e32 v[66:67], 0
	s_mov_b32 s3, exec_lo
	v_and_b32_e32 v6, 0xff, v69
	s_delay_alu instid0(VALU_DEP_1)
	v_cmpx_ne_u16_e32 0, v6
	s_cbranch_execz .LBB220_770
; %bb.763:                              ;   in Loop: Header=BB220_678 Depth=1
	v_mov_b64_e32 v[66:67], 0x80000000
	s_mov_b32 s8, exec_lo
	v_cmpx_ne_u16_e32 0x80, v6
	s_cbranch_execz .LBB220_769
; %bb.764:                              ;   in Loop: Header=BB220_678 Depth=1
	v_mov_b64_e32 v[66:67], 0x7f800001
	v_bfe_u32 v70, v68, 16, 7
	s_mov_b32 s9, exec_lo
	s_delay_alu instid0(VALU_DEP_1)
	v_cmpx_ne_u32_e32 0x7f, v70
	s_cbranch_execz .LBB220_768
; %bb.765:                              ;   in Loop: Header=BB220_678 Depth=1
	v_dual_lshrrev_b32 v66, 3, v70 :: v_dual_bitop2_b32 v6, 7, v69 bitop3:0x40
	s_mov_b32 s16, exec_lo
	v_cmpx_gt_u32_e32 8, v70
; %bb.766:                              ;   in Loop: Header=BB220_678 Depth=1
	s_delay_alu instid0(VALU_DEP_2) | instskip(NEXT) | instid1(VALU_DEP_1)
	v_clz_i32_u32_e32 v36, v6
	v_min_u32_e32 v36, 32, v36
	s_delay_alu instid0(VALU_DEP_1) | instskip(NEXT) | instid1(VALU_DEP_1)
	v_subrev_nc_u32_e32 v37, 28, v36
	v_lshlrev_b64_e32 v[70:71], v37, v[6:7]
	s_delay_alu instid0(VALU_DEP_1)
	v_dual_sub_nc_u32 v66, 29, v36 :: v_dual_bitop2_b32 v6, 7, v70 bitop3:0x40
; %bb.767:                              ;   in Loop: Header=BB220_678 Depth=1
	s_or_b32 exec_lo, exec_lo, s16
	s_delay_alu instid0(VALU_DEP_1) | instskip(NEXT) | instid1(VALU_DEP_2)
	v_dual_lshlrev_b32 v36, 24, v69 :: v_dual_lshlrev_b32 v6, 20, v6
	v_lshl_add_u32 v37, v66, 23, 0x3c000000
	s_delay_alu instid0(VALU_DEP_2) | instskip(NEXT) | instid1(VALU_DEP_1)
	v_and_b32_e32 v36, 0x80000000, v36
	v_or3_b32 v6, v6, v36, v37
	s_delay_alu instid0(VALU_DEP_1)
	v_mov_b64_e32 v[66:67], v[6:7]
.LBB220_768:                            ;   in Loop: Header=BB220_678 Depth=1
	s_or_b32 exec_lo, exec_lo, s9
.LBB220_769:                            ;   in Loop: Header=BB220_678 Depth=1
	s_delay_alu instid0(SALU_CYCLE_1)
	s_or_b32 exec_lo, exec_lo, s8
.LBB220_770:                            ;   in Loop: Header=BB220_678 Depth=1
	s_delay_alu instid0(SALU_CYCLE_1) | instskip(NEXT) | instid1(SALU_CYCLE_1)
	s_or_b32 exec_lo, exec_lo, s3
	s_mov_b32 s3, exec_lo
	v_cmpx_lt_u32_e32 0xffffff, v68
	s_cbranch_execz .LBB220_778
; %bb.771:                              ;   in Loop: Header=BB220_678 Depth=1
	v_mov_b64_e32 v[64:65], 0x8000000000000000
	v_lshrrev_b32_e32 v69, 24, v68
	s_mov_b32 s8, exec_lo
	s_delay_alu instid0(VALU_DEP_1)
	v_cmpx_ne_u32_e32 0x80, v69
	s_cbranch_execz .LBB220_777
; %bb.772:                              ;   in Loop: Header=BB220_678 Depth=1
	v_mov_b64_e32 v[64:65], 0x7f80000100000000
	v_bfe_u32 v68, v68, 24, 7
	s_mov_b32 s9, exec_lo
	s_delay_alu instid0(VALU_DEP_1)
	v_cmpx_ne_u32_e32 0x7f, v68
	s_cbranch_execz .LBB220_776
; %bb.773:                              ;   in Loop: Header=BB220_678 Depth=1
	v_dual_lshrrev_b32 v64, 3, v68 :: v_dual_bitop2_b32 v6, 7, v69 bitop3:0x40
	s_mov_b32 s16, exec_lo
	v_cmpx_gt_u32_e32 8, v68
; %bb.774:                              ;   in Loop: Header=BB220_678 Depth=1
	s_delay_alu instid0(VALU_DEP_2) | instskip(NEXT) | instid1(VALU_DEP_1)
	v_clz_i32_u32_e32 v36, v6
	v_min_u32_e32 v36, 32, v36
	s_delay_alu instid0(VALU_DEP_1) | instskip(NEXT) | instid1(VALU_DEP_1)
	v_subrev_nc_u32_e32 v37, 28, v36
	v_lshlrev_b64_e32 v[70:71], v37, v[6:7]
	s_delay_alu instid0(VALU_DEP_1)
	v_dual_sub_nc_u32 v64, 29, v36 :: v_dual_bitop2_b32 v6, 7, v70 bitop3:0x40
; %bb.775:                              ;   in Loop: Header=BB220_678 Depth=1
	s_or_b32 exec_lo, exec_lo, s16
	s_delay_alu instid0(VALU_DEP_1) | instskip(NEXT) | instid1(VALU_DEP_2)
	v_dual_lshlrev_b32 v36, 24, v69 :: v_dual_lshlrev_b32 v6, 20, v6
	v_lshl_add_u32 v37, v64, 23, 0x3c000000
	v_mov_b32_e32 v64, v7
	s_delay_alu instid0(VALU_DEP_3) | instskip(NEXT) | instid1(VALU_DEP_1)
	v_and_b32_e32 v36, 0x80000000, v36
	v_or3_b32 v65, v6, v36, v37
.LBB220_776:                            ;   in Loop: Header=BB220_678 Depth=1
	s_or_b32 exec_lo, exec_lo, s9
.LBB220_777:                            ;   in Loop: Header=BB220_678 Depth=1
	s_delay_alu instid0(SALU_CYCLE_1)
	s_or_b32 exec_lo, exec_lo, s8
.LBB220_778:                            ;   in Loop: Header=BB220_678 Depth=1
	s_delay_alu instid0(SALU_CYCLE_1) | instskip(SKIP_4) | instid1(VALU_DEP_3)
	s_or_b32 exec_lo, exec_lo, s3
	v_or_b32_e32 v1, v1, v19
	v_or_b32_e32 v0, v0, v18
	;; [unrolled: 1-line block ×4, first 2 shown]
	v_pk_mul_f32 v[66:67], v[22:23], v[0:1]
	s_delay_alu instid0(VALU_DEP_2)
	v_pk_mul_f32 v[64:65], v[22:23], v[18:19]
	s_and_saveexec_b32 s3, vcc_lo
	s_cbranch_execz .LBB220_780
; %bb.779:                              ;   in Loop: Header=BB220_678 Depth=1
	v_cmp_lt_i32_e64 s0, v123, v16
	s_delay_alu instid0(VALU_DEP_1) | instskip(SKIP_1) | instid1(VALU_DEP_1)
	v_cndmask_b32_e64 v66, 0, v66, s0
	v_cmp_lt_i32_e64 s0, v17, v16
	v_cndmask_b32_e64 v67, 0, v67, s0
	v_cmp_lt_i32_e64 s0, v109, v16
	s_delay_alu instid0(VALU_DEP_1) | instskip(SKIP_1) | instid1(VALU_DEP_1)
	v_cndmask_b32_e64 v64, 0, v64, s0
	v_cmp_lt_i32_e64 s0, v108, v16
	v_cndmask_b32_e64 v65, 0, v65, s0
.LBB220_780:                            ;   in Loop: Header=BB220_678 Depth=1
	s_or_b32 exec_lo, exec_lo, s3
	flat_load_b32 v80, v[50:51] offset:384
	v_mov_b64_e32 v[0:1], 0
	v_mov_b64_e32 v[18:19], 0
	s_mov_b32 s3, exec_lo
	s_wait_loadcnt_dscnt 0x0
	v_and_b32_e32 v6, 0xff, v80
	s_wait_xcnt 0x0
	s_delay_alu instid0(VALU_DEP_1)
	v_cmpx_ne_u16_e32 0, v6
	s_cbranch_execz .LBB220_788
; %bb.781:                              ;   in Loop: Header=BB220_678 Depth=1
	v_mov_b64_e32 v[18:19], 0x80000000
	s_mov_b32 s8, exec_lo
	v_cmpx_ne_u16_e32 0x80, v6
	s_cbranch_execz .LBB220_787
; %bb.782:                              ;   in Loop: Header=BB220_678 Depth=1
	v_mov_b64_e32 v[18:19], 0x7f800001
	v_and_b32_e32 v68, 0x7f, v80
	s_mov_b32 s9, exec_lo
	s_delay_alu instid0(VALU_DEP_1)
	v_cmpx_ne_u32_e32 0x7f, v68
	s_cbranch_execz .LBB220_786
; %bb.783:                              ;   in Loop: Header=BB220_678 Depth=1
	v_and_b32_e32 v6, 7, v80
	v_lshrrev_b32_e32 v18, 3, v68
	s_mov_b32 s16, exec_lo
	v_cmpx_gt_u32_e32 8, v68
; %bb.784:                              ;   in Loop: Header=BB220_678 Depth=1
	s_delay_alu instid0(VALU_DEP_3) | instskip(NEXT) | instid1(VALU_DEP_1)
	v_clz_i32_u32_e32 v18, v6
	v_min_u32_e32 v18, 32, v18
	s_delay_alu instid0(VALU_DEP_1) | instskip(NEXT) | instid1(VALU_DEP_1)
	v_subrev_nc_u32_e32 v19, 28, v18
	v_lshlrev_b64_e32 v[68:69], v19, v[6:7]
	s_delay_alu instid0(VALU_DEP_1)
	v_dual_sub_nc_u32 v18, 29, v18 :: v_dual_bitop2_b32 v6, 7, v68 bitop3:0x40
; %bb.785:                              ;   in Loop: Header=BB220_678 Depth=1
	s_or_b32 exec_lo, exec_lo, s16
	s_delay_alu instid0(VALU_DEP_1) | instskip(NEXT) | instid1(VALU_DEP_2)
	v_dual_lshlrev_b32 v19, 24, v80 :: v_dual_lshlrev_b32 v6, 20, v6
	v_lshl_add_u32 v18, v18, 23, 0x3c000000
	s_delay_alu instid0(VALU_DEP_2) | instskip(NEXT) | instid1(VALU_DEP_1)
	v_and_b32_e32 v19, 0x80000000, v19
	v_or3_b32 v6, v6, v19, v18
	s_delay_alu instid0(VALU_DEP_1)
	v_mov_b64_e32 v[18:19], v[6:7]
.LBB220_786:                            ;   in Loop: Header=BB220_678 Depth=1
	s_or_b32 exec_lo, exec_lo, s9
.LBB220_787:                            ;   in Loop: Header=BB220_678 Depth=1
	s_delay_alu instid0(SALU_CYCLE_1)
	s_or_b32 exec_lo, exec_lo, s8
.LBB220_788:                            ;   in Loop: Header=BB220_678 Depth=1
	s_delay_alu instid0(SALU_CYCLE_1) | instskip(SKIP_2) | instid1(VALU_DEP_1)
	s_or_b32 exec_lo, exec_lo, s3
	v_lshrrev_b16 v6, 8, v80
	s_mov_b32 s3, exec_lo
	v_cmpx_ne_u16_e32 0, v6
	s_cbranch_execz .LBB220_796
; %bb.789:                              ;   in Loop: Header=BB220_678 Depth=1
	v_mov_b64_e32 v[0:1], 0x8000000000000000
	s_mov_b32 s8, exec_lo
	v_cmpx_ne_u16_e32 0x80, v6
	s_cbranch_execz .LBB220_795
; %bb.790:                              ;   in Loop: Header=BB220_678 Depth=1
	v_and_b32_e32 v6, 0xffff, v6
	v_mov_b64_e32 v[0:1], 0x7f80000100000000
	s_mov_b32 s9, exec_lo
	s_delay_alu instid0(VALU_DEP_2) | instskip(NEXT) | instid1(VALU_DEP_1)
	v_and_b32_e32 v68, 0x7f, v6
	v_cmpx_ne_u32_e32 0x7f, v68
	s_cbranch_execz .LBB220_794
; %bb.791:                              ;   in Loop: Header=BB220_678 Depth=1
	v_dual_lshrrev_b32 v0, 3, v68 :: v_dual_bitop2_b32 v6, 7, v6 bitop3:0x40
	s_mov_b32 s16, exec_lo
	v_cmpx_gt_u32_e32 8, v68
; %bb.792:                              ;   in Loop: Header=BB220_678 Depth=1
	s_delay_alu instid0(VALU_DEP_2) | instskip(NEXT) | instid1(VALU_DEP_1)
	v_clz_i32_u32_e32 v0, v6
	v_min_u32_e32 v0, 32, v0
	s_delay_alu instid0(VALU_DEP_1) | instskip(SKIP_1) | instid1(VALU_DEP_2)
	v_subrev_nc_u32_e32 v1, 28, v0
	v_sub_nc_u32_e32 v0, 29, v0
	v_lshlrev_b64_e32 v[68:69], v1, v[6:7]
	s_delay_alu instid0(VALU_DEP_1)
	v_and_b32_e32 v6, 7, v68
; %bb.793:                              ;   in Loop: Header=BB220_678 Depth=1
	s_or_b32 exec_lo, exec_lo, s16
	s_delay_alu instid0(VALU_DEP_1) | instskip(SKIP_1) | instid1(VALU_DEP_2)
	v_dual_lshlrev_b32 v1, 16, v80 :: v_dual_lshlrev_b32 v6, 20, v6
	v_lshl_add_u32 v0, v0, 23, 0x3c000000
	v_and_b32_e32 v1, 0x80000000, v1
	s_delay_alu instid0(VALU_DEP_1)
	v_or3_b32 v1, v6, v1, v0
	v_mov_b32_e32 v0, v7
.LBB220_794:                            ;   in Loop: Header=BB220_678 Depth=1
	s_or_b32 exec_lo, exec_lo, s9
.LBB220_795:                            ;   in Loop: Header=BB220_678 Depth=1
	s_delay_alu instid0(SALU_CYCLE_1)
	s_or_b32 exec_lo, exec_lo, s8
.LBB220_796:                            ;   in Loop: Header=BB220_678 Depth=1
	s_delay_alu instid0(SALU_CYCLE_1) | instskip(SKIP_4) | instid1(VALU_DEP_3)
	s_or_b32 exec_lo, exec_lo, s3
	v_lshrrev_b32_e32 v81, 16, v80
	v_mov_b64_e32 v[68:69], 0
	v_mov_b64_e32 v[70:71], 0
	s_mov_b32 s3, exec_lo
	v_and_b32_e32 v6, 0xff, v81
	s_delay_alu instid0(VALU_DEP_1)
	v_cmpx_ne_u16_e32 0, v6
	s_cbranch_execz .LBB220_804
; %bb.797:                              ;   in Loop: Header=BB220_678 Depth=1
	v_mov_b64_e32 v[70:71], 0x80000000
	s_mov_b32 s8, exec_lo
	v_cmpx_ne_u16_e32 0x80, v6
	s_cbranch_execz .LBB220_803
; %bb.798:                              ;   in Loop: Header=BB220_678 Depth=1
	v_mov_b64_e32 v[70:71], 0x7f800001
	v_bfe_u32 v82, v80, 16, 7
	s_mov_b32 s9, exec_lo
	s_delay_alu instid0(VALU_DEP_1)
	v_cmpx_ne_u32_e32 0x7f, v82
	s_cbranch_execz .LBB220_802
; %bb.799:                              ;   in Loop: Header=BB220_678 Depth=1
	v_dual_lshrrev_b32 v70, 3, v82 :: v_dual_bitop2_b32 v6, 7, v81 bitop3:0x40
	s_mov_b32 s16, exec_lo
	v_cmpx_gt_u32_e32 8, v82
; %bb.800:                              ;   in Loop: Header=BB220_678 Depth=1
	s_delay_alu instid0(VALU_DEP_2) | instskip(NEXT) | instid1(VALU_DEP_1)
	v_clz_i32_u32_e32 v36, v6
	v_min_u32_e32 v36, 32, v36
	s_delay_alu instid0(VALU_DEP_1) | instskip(NEXT) | instid1(VALU_DEP_1)
	v_subrev_nc_u32_e32 v37, 28, v36
	v_lshlrev_b64_e32 v[82:83], v37, v[6:7]
	s_delay_alu instid0(VALU_DEP_1)
	v_dual_sub_nc_u32 v70, 29, v36 :: v_dual_bitop2_b32 v6, 7, v82 bitop3:0x40
; %bb.801:                              ;   in Loop: Header=BB220_678 Depth=1
	s_or_b32 exec_lo, exec_lo, s16
	s_delay_alu instid0(VALU_DEP_1) | instskip(NEXT) | instid1(VALU_DEP_2)
	v_dual_lshlrev_b32 v36, 24, v81 :: v_dual_lshlrev_b32 v6, 20, v6
	v_lshl_add_u32 v37, v70, 23, 0x3c000000
	s_delay_alu instid0(VALU_DEP_2) | instskip(NEXT) | instid1(VALU_DEP_1)
	v_and_b32_e32 v36, 0x80000000, v36
	v_or3_b32 v6, v6, v36, v37
	s_delay_alu instid0(VALU_DEP_1)
	v_mov_b64_e32 v[70:71], v[6:7]
.LBB220_802:                            ;   in Loop: Header=BB220_678 Depth=1
	s_or_b32 exec_lo, exec_lo, s9
.LBB220_803:                            ;   in Loop: Header=BB220_678 Depth=1
	s_delay_alu instid0(SALU_CYCLE_1)
	s_or_b32 exec_lo, exec_lo, s8
.LBB220_804:                            ;   in Loop: Header=BB220_678 Depth=1
	s_delay_alu instid0(SALU_CYCLE_1) | instskip(NEXT) | instid1(SALU_CYCLE_1)
	s_or_b32 exec_lo, exec_lo, s3
	s_mov_b32 s3, exec_lo
	v_cmpx_lt_u32_e32 0xffffff, v80
	s_cbranch_execz .LBB220_812
; %bb.805:                              ;   in Loop: Header=BB220_678 Depth=1
	v_mov_b64_e32 v[68:69], 0x8000000000000000
	v_lshrrev_b32_e32 v81, 24, v80
	s_mov_b32 s8, exec_lo
	s_delay_alu instid0(VALU_DEP_1)
	v_cmpx_ne_u32_e32 0x80, v81
	s_cbranch_execz .LBB220_811
; %bb.806:                              ;   in Loop: Header=BB220_678 Depth=1
	v_mov_b64_e32 v[68:69], 0x7f80000100000000
	v_bfe_u32 v80, v80, 24, 7
	s_mov_b32 s9, exec_lo
	s_delay_alu instid0(VALU_DEP_1)
	v_cmpx_ne_u32_e32 0x7f, v80
	s_cbranch_execz .LBB220_810
; %bb.807:                              ;   in Loop: Header=BB220_678 Depth=1
	v_dual_lshrrev_b32 v68, 3, v80 :: v_dual_bitop2_b32 v6, 7, v81 bitop3:0x40
	s_mov_b32 s16, exec_lo
	v_cmpx_gt_u32_e32 8, v80
; %bb.808:                              ;   in Loop: Header=BB220_678 Depth=1
	s_delay_alu instid0(VALU_DEP_2) | instskip(NEXT) | instid1(VALU_DEP_1)
	v_clz_i32_u32_e32 v36, v6
	v_min_u32_e32 v36, 32, v36
	s_delay_alu instid0(VALU_DEP_1) | instskip(NEXT) | instid1(VALU_DEP_1)
	v_subrev_nc_u32_e32 v37, 28, v36
	v_lshlrev_b64_e32 v[82:83], v37, v[6:7]
	s_delay_alu instid0(VALU_DEP_1)
	v_dual_sub_nc_u32 v68, 29, v36 :: v_dual_bitop2_b32 v6, 7, v82 bitop3:0x40
; %bb.809:                              ;   in Loop: Header=BB220_678 Depth=1
	s_or_b32 exec_lo, exec_lo, s16
	s_delay_alu instid0(VALU_DEP_1) | instskip(NEXT) | instid1(VALU_DEP_2)
	v_dual_lshlrev_b32 v36, 24, v81 :: v_dual_lshlrev_b32 v6, 20, v6
	v_lshl_add_u32 v37, v68, 23, 0x3c000000
	v_mov_b32_e32 v68, v7
	s_delay_alu instid0(VALU_DEP_3) | instskip(NEXT) | instid1(VALU_DEP_1)
	v_and_b32_e32 v36, 0x80000000, v36
	v_or3_b32 v69, v6, v36, v37
.LBB220_810:                            ;   in Loop: Header=BB220_678 Depth=1
	s_or_b32 exec_lo, exec_lo, s9
.LBB220_811:                            ;   in Loop: Header=BB220_678 Depth=1
	s_delay_alu instid0(SALU_CYCLE_1)
	s_or_b32 exec_lo, exec_lo, s8
.LBB220_812:                            ;   in Loop: Header=BB220_678 Depth=1
	s_delay_alu instid0(SALU_CYCLE_1) | instskip(SKIP_4) | instid1(VALU_DEP_3)
	s_or_b32 exec_lo, exec_lo, s3
	v_or_b32_e32 v1, v1, v19
	v_or_b32_e32 v0, v0, v18
	;; [unrolled: 1-line block ×4, first 2 shown]
	v_pk_mul_f32 v[70:71], v[22:23], v[0:1]
	s_delay_alu instid0(VALU_DEP_2)
	v_pk_mul_f32 v[68:69], v[22:23], v[18:19]
	s_and_saveexec_b32 s3, vcc_lo
	s_cbranch_execz .LBB220_814
; %bb.813:                              ;   in Loop: Header=BB220_678 Depth=1
	v_cmp_lt_i32_e64 s0, v123, v16
	s_delay_alu instid0(VALU_DEP_1) | instskip(SKIP_1) | instid1(VALU_DEP_1)
	v_cndmask_b32_e64 v70, 0, v70, s0
	v_cmp_lt_i32_e64 s0, v17, v16
	v_cndmask_b32_e64 v71, 0, v71, s0
	v_cmp_lt_i32_e64 s0, v109, v16
	s_delay_alu instid0(VALU_DEP_1) | instskip(SKIP_1) | instid1(VALU_DEP_1)
	v_cndmask_b32_e64 v68, 0, v68, s0
	v_cmp_lt_i32_e64 s0, v108, v16
	v_cndmask_b32_e64 v69, 0, v69, s0
.LBB220_814:                            ;   in Loop: Header=BB220_678 Depth=1
	s_or_b32 exec_lo, exec_lo, s3
	flat_load_b32 v84, v[50:51] offset:512
	v_mov_b64_e32 v[0:1], 0
	v_mov_b64_e32 v[18:19], 0
	s_mov_b32 s3, exec_lo
	s_wait_loadcnt_dscnt 0x0
	v_and_b32_e32 v6, 0xff, v84
	s_wait_xcnt 0x0
	s_delay_alu instid0(VALU_DEP_1)
	v_cmpx_ne_u16_e32 0, v6
	s_cbranch_execz .LBB220_822
; %bb.815:                              ;   in Loop: Header=BB220_678 Depth=1
	v_mov_b64_e32 v[18:19], 0x80000000
	s_mov_b32 s8, exec_lo
	v_cmpx_ne_u16_e32 0x80, v6
	s_cbranch_execz .LBB220_821
; %bb.816:                              ;   in Loop: Header=BB220_678 Depth=1
	v_mov_b64_e32 v[18:19], 0x7f800001
	v_and_b32_e32 v80, 0x7f, v84
	s_mov_b32 s9, exec_lo
	s_delay_alu instid0(VALU_DEP_1)
	v_cmpx_ne_u32_e32 0x7f, v80
	s_cbranch_execz .LBB220_820
; %bb.817:                              ;   in Loop: Header=BB220_678 Depth=1
	v_and_b32_e32 v6, 7, v84
	v_lshrrev_b32_e32 v18, 3, v80
	s_mov_b32 s16, exec_lo
	v_cmpx_gt_u32_e32 8, v80
; %bb.818:                              ;   in Loop: Header=BB220_678 Depth=1
	s_delay_alu instid0(VALU_DEP_3) | instskip(NEXT) | instid1(VALU_DEP_1)
	v_clz_i32_u32_e32 v18, v6
	v_min_u32_e32 v18, 32, v18
	s_delay_alu instid0(VALU_DEP_1) | instskip(NEXT) | instid1(VALU_DEP_1)
	v_subrev_nc_u32_e32 v19, 28, v18
	v_lshlrev_b64_e32 v[80:81], v19, v[6:7]
	s_delay_alu instid0(VALU_DEP_1)
	v_dual_sub_nc_u32 v18, 29, v18 :: v_dual_bitop2_b32 v6, 7, v80 bitop3:0x40
; %bb.819:                              ;   in Loop: Header=BB220_678 Depth=1
	s_or_b32 exec_lo, exec_lo, s16
	s_delay_alu instid0(VALU_DEP_1) | instskip(NEXT) | instid1(VALU_DEP_2)
	v_dual_lshlrev_b32 v19, 24, v84 :: v_dual_lshlrev_b32 v6, 20, v6
	v_lshl_add_u32 v18, v18, 23, 0x3c000000
	s_delay_alu instid0(VALU_DEP_2) | instskip(NEXT) | instid1(VALU_DEP_1)
	v_and_b32_e32 v19, 0x80000000, v19
	v_or3_b32 v6, v6, v19, v18
	s_delay_alu instid0(VALU_DEP_1)
	v_mov_b64_e32 v[18:19], v[6:7]
.LBB220_820:                            ;   in Loop: Header=BB220_678 Depth=1
	s_or_b32 exec_lo, exec_lo, s9
.LBB220_821:                            ;   in Loop: Header=BB220_678 Depth=1
	s_delay_alu instid0(SALU_CYCLE_1)
	s_or_b32 exec_lo, exec_lo, s8
.LBB220_822:                            ;   in Loop: Header=BB220_678 Depth=1
	s_delay_alu instid0(SALU_CYCLE_1) | instskip(SKIP_2) | instid1(VALU_DEP_1)
	s_or_b32 exec_lo, exec_lo, s3
	v_lshrrev_b16 v6, 8, v84
	s_mov_b32 s3, exec_lo
	v_cmpx_ne_u16_e32 0, v6
	s_cbranch_execz .LBB220_830
; %bb.823:                              ;   in Loop: Header=BB220_678 Depth=1
	v_mov_b64_e32 v[0:1], 0x8000000000000000
	s_mov_b32 s8, exec_lo
	v_cmpx_ne_u16_e32 0x80, v6
	s_cbranch_execz .LBB220_829
; %bb.824:                              ;   in Loop: Header=BB220_678 Depth=1
	v_and_b32_e32 v6, 0xffff, v6
	v_mov_b64_e32 v[0:1], 0x7f80000100000000
	s_mov_b32 s9, exec_lo
	s_delay_alu instid0(VALU_DEP_2) | instskip(NEXT) | instid1(VALU_DEP_1)
	v_and_b32_e32 v80, 0x7f, v6
	v_cmpx_ne_u32_e32 0x7f, v80
	s_cbranch_execz .LBB220_828
; %bb.825:                              ;   in Loop: Header=BB220_678 Depth=1
	v_dual_lshrrev_b32 v0, 3, v80 :: v_dual_bitop2_b32 v6, 7, v6 bitop3:0x40
	s_mov_b32 s16, exec_lo
	v_cmpx_gt_u32_e32 8, v80
; %bb.826:                              ;   in Loop: Header=BB220_678 Depth=1
	s_delay_alu instid0(VALU_DEP_2) | instskip(NEXT) | instid1(VALU_DEP_1)
	v_clz_i32_u32_e32 v0, v6
	v_min_u32_e32 v0, 32, v0
	s_delay_alu instid0(VALU_DEP_1) | instskip(SKIP_1) | instid1(VALU_DEP_2)
	v_subrev_nc_u32_e32 v1, 28, v0
	v_sub_nc_u32_e32 v0, 29, v0
	v_lshlrev_b64_e32 v[80:81], v1, v[6:7]
	s_delay_alu instid0(VALU_DEP_1)
	v_and_b32_e32 v6, 7, v80
; %bb.827:                              ;   in Loop: Header=BB220_678 Depth=1
	s_or_b32 exec_lo, exec_lo, s16
	s_delay_alu instid0(VALU_DEP_1) | instskip(SKIP_1) | instid1(VALU_DEP_2)
	v_dual_lshlrev_b32 v1, 16, v84 :: v_dual_lshlrev_b32 v6, 20, v6
	v_lshl_add_u32 v0, v0, 23, 0x3c000000
	v_and_b32_e32 v1, 0x80000000, v1
	s_delay_alu instid0(VALU_DEP_1)
	v_or3_b32 v1, v6, v1, v0
	v_mov_b32_e32 v0, v7
.LBB220_828:                            ;   in Loop: Header=BB220_678 Depth=1
	s_or_b32 exec_lo, exec_lo, s9
.LBB220_829:                            ;   in Loop: Header=BB220_678 Depth=1
	s_delay_alu instid0(SALU_CYCLE_1)
	s_or_b32 exec_lo, exec_lo, s8
.LBB220_830:                            ;   in Loop: Header=BB220_678 Depth=1
	s_delay_alu instid0(SALU_CYCLE_1) | instskip(SKIP_4) | instid1(VALU_DEP_3)
	s_or_b32 exec_lo, exec_lo, s3
	v_lshrrev_b32_e32 v85, 16, v84
	v_mov_b64_e32 v[80:81], 0
	v_mov_b64_e32 v[82:83], 0
	s_mov_b32 s3, exec_lo
	v_and_b32_e32 v6, 0xff, v85
	s_delay_alu instid0(VALU_DEP_1)
	v_cmpx_ne_u16_e32 0, v6
	s_cbranch_execz .LBB220_838
; %bb.831:                              ;   in Loop: Header=BB220_678 Depth=1
	v_mov_b64_e32 v[82:83], 0x80000000
	s_mov_b32 s8, exec_lo
	v_cmpx_ne_u16_e32 0x80, v6
	s_cbranch_execz .LBB220_837
; %bb.832:                              ;   in Loop: Header=BB220_678 Depth=1
	v_mov_b64_e32 v[82:83], 0x7f800001
	v_bfe_u32 v86, v84, 16, 7
	s_mov_b32 s9, exec_lo
	s_delay_alu instid0(VALU_DEP_1)
	v_cmpx_ne_u32_e32 0x7f, v86
	s_cbranch_execz .LBB220_836
; %bb.833:                              ;   in Loop: Header=BB220_678 Depth=1
	v_dual_lshrrev_b32 v82, 3, v86 :: v_dual_bitop2_b32 v6, 7, v85 bitop3:0x40
	s_mov_b32 s16, exec_lo
	v_cmpx_gt_u32_e32 8, v86
; %bb.834:                              ;   in Loop: Header=BB220_678 Depth=1
	s_delay_alu instid0(VALU_DEP_2) | instskip(NEXT) | instid1(VALU_DEP_1)
	v_clz_i32_u32_e32 v36, v6
	v_min_u32_e32 v36, 32, v36
	s_delay_alu instid0(VALU_DEP_1) | instskip(NEXT) | instid1(VALU_DEP_1)
	v_subrev_nc_u32_e32 v37, 28, v36
	v_lshlrev_b64_e32 v[86:87], v37, v[6:7]
	s_delay_alu instid0(VALU_DEP_1)
	v_dual_sub_nc_u32 v82, 29, v36 :: v_dual_bitop2_b32 v6, 7, v86 bitop3:0x40
; %bb.835:                              ;   in Loop: Header=BB220_678 Depth=1
	s_or_b32 exec_lo, exec_lo, s16
	s_delay_alu instid0(VALU_DEP_1) | instskip(NEXT) | instid1(VALU_DEP_2)
	v_dual_lshlrev_b32 v36, 24, v85 :: v_dual_lshlrev_b32 v6, 20, v6
	v_lshl_add_u32 v37, v82, 23, 0x3c000000
	s_delay_alu instid0(VALU_DEP_2) | instskip(NEXT) | instid1(VALU_DEP_1)
	v_and_b32_e32 v36, 0x80000000, v36
	v_or3_b32 v6, v6, v36, v37
	s_delay_alu instid0(VALU_DEP_1)
	v_mov_b64_e32 v[82:83], v[6:7]
.LBB220_836:                            ;   in Loop: Header=BB220_678 Depth=1
	s_or_b32 exec_lo, exec_lo, s9
.LBB220_837:                            ;   in Loop: Header=BB220_678 Depth=1
	s_delay_alu instid0(SALU_CYCLE_1)
	s_or_b32 exec_lo, exec_lo, s8
.LBB220_838:                            ;   in Loop: Header=BB220_678 Depth=1
	s_delay_alu instid0(SALU_CYCLE_1) | instskip(NEXT) | instid1(SALU_CYCLE_1)
	s_or_b32 exec_lo, exec_lo, s3
	s_mov_b32 s3, exec_lo
	v_cmpx_lt_u32_e32 0xffffff, v84
	s_cbranch_execz .LBB220_846
; %bb.839:                              ;   in Loop: Header=BB220_678 Depth=1
	v_mov_b64_e32 v[80:81], 0x8000000000000000
	v_lshrrev_b32_e32 v85, 24, v84
	s_mov_b32 s8, exec_lo
	s_delay_alu instid0(VALU_DEP_1)
	v_cmpx_ne_u32_e32 0x80, v85
	s_cbranch_execz .LBB220_845
; %bb.840:                              ;   in Loop: Header=BB220_678 Depth=1
	v_mov_b64_e32 v[80:81], 0x7f80000100000000
	v_bfe_u32 v84, v84, 24, 7
	s_mov_b32 s9, exec_lo
	s_delay_alu instid0(VALU_DEP_1)
	v_cmpx_ne_u32_e32 0x7f, v84
	s_cbranch_execz .LBB220_844
; %bb.841:                              ;   in Loop: Header=BB220_678 Depth=1
	v_dual_lshrrev_b32 v80, 3, v84 :: v_dual_bitop2_b32 v6, 7, v85 bitop3:0x40
	s_mov_b32 s16, exec_lo
	v_cmpx_gt_u32_e32 8, v84
; %bb.842:                              ;   in Loop: Header=BB220_678 Depth=1
	s_delay_alu instid0(VALU_DEP_2) | instskip(NEXT) | instid1(VALU_DEP_1)
	v_clz_i32_u32_e32 v36, v6
	v_min_u32_e32 v36, 32, v36
	s_delay_alu instid0(VALU_DEP_1) | instskip(NEXT) | instid1(VALU_DEP_1)
	v_subrev_nc_u32_e32 v37, 28, v36
	v_lshlrev_b64_e32 v[86:87], v37, v[6:7]
	s_delay_alu instid0(VALU_DEP_1)
	v_dual_sub_nc_u32 v80, 29, v36 :: v_dual_bitop2_b32 v6, 7, v86 bitop3:0x40
; %bb.843:                              ;   in Loop: Header=BB220_678 Depth=1
	s_or_b32 exec_lo, exec_lo, s16
	s_delay_alu instid0(VALU_DEP_1) | instskip(NEXT) | instid1(VALU_DEP_2)
	v_dual_lshlrev_b32 v36, 24, v85 :: v_dual_lshlrev_b32 v6, 20, v6
	v_lshl_add_u32 v37, v80, 23, 0x3c000000
	v_mov_b32_e32 v80, v7
	s_delay_alu instid0(VALU_DEP_3) | instskip(NEXT) | instid1(VALU_DEP_1)
	v_and_b32_e32 v36, 0x80000000, v36
	v_or3_b32 v81, v6, v36, v37
.LBB220_844:                            ;   in Loop: Header=BB220_678 Depth=1
	s_or_b32 exec_lo, exec_lo, s9
.LBB220_845:                            ;   in Loop: Header=BB220_678 Depth=1
	s_delay_alu instid0(SALU_CYCLE_1)
	s_or_b32 exec_lo, exec_lo, s8
.LBB220_846:                            ;   in Loop: Header=BB220_678 Depth=1
	s_delay_alu instid0(SALU_CYCLE_1) | instskip(SKIP_4) | instid1(VALU_DEP_3)
	s_or_b32 exec_lo, exec_lo, s3
	v_or_b32_e32 v1, v1, v19
	v_or_b32_e32 v0, v0, v18
	;; [unrolled: 1-line block ×4, first 2 shown]
	v_pk_mul_f32 v[80:81], v[22:23], v[0:1]
	s_delay_alu instid0(VALU_DEP_2)
	v_pk_mul_f32 v[0:1], v[22:23], v[18:19]
	s_and_saveexec_b32 s3, vcc_lo
	s_cbranch_execz .LBB220_848
; %bb.847:                              ;   in Loop: Header=BB220_678 Depth=1
	v_cmp_lt_i32_e64 s0, v123, v16
	s_delay_alu instid0(VALU_DEP_1) | instskip(SKIP_1) | instid1(VALU_DEP_1)
	v_cndmask_b32_e64 v80, 0, v80, s0
	v_cmp_lt_i32_e64 s0, v17, v16
	v_cndmask_b32_e64 v81, 0, v81, s0
	v_cmp_lt_i32_e64 s0, v109, v16
	s_delay_alu instid0(VALU_DEP_1) | instskip(SKIP_1) | instid1(VALU_DEP_1)
	v_cndmask_b32_e64 v0, 0, v0, s0
	v_cmp_lt_i32_e64 s0, v108, v16
	v_cndmask_b32_e64 v1, 0, v1, s0
.LBB220_848:                            ;   in Loop: Header=BB220_678 Depth=1
	s_or_b32 exec_lo, exec_lo, s3
	flat_load_b32 v96, v[50:51] offset:640
	v_mov_b64_e32 v[18:19], 0
	v_mov_b64_e32 v[82:83], 0
	s_mov_b32 s3, exec_lo
	s_wait_loadcnt_dscnt 0x0
	v_and_b32_e32 v6, 0xff, v96
	s_wait_xcnt 0x0
	s_delay_alu instid0(VALU_DEP_1)
	v_cmpx_ne_u16_e32 0, v6
	s_cbranch_execz .LBB220_856
; %bb.849:                              ;   in Loop: Header=BB220_678 Depth=1
	v_mov_b64_e32 v[82:83], 0x80000000
	s_mov_b32 s8, exec_lo
	v_cmpx_ne_u16_e32 0x80, v6
	s_cbranch_execz .LBB220_855
; %bb.850:                              ;   in Loop: Header=BB220_678 Depth=1
	v_mov_b64_e32 v[82:83], 0x7f800001
	v_and_b32_e32 v84, 0x7f, v96
	s_mov_b32 s9, exec_lo
	s_delay_alu instid0(VALU_DEP_1)
	v_cmpx_ne_u32_e32 0x7f, v84
	s_cbranch_execz .LBB220_854
; %bb.851:                              ;   in Loop: Header=BB220_678 Depth=1
	v_and_b32_e32 v6, 7, v96
	v_lshrrev_b32_e32 v82, 3, v84
	s_mov_b32 s16, exec_lo
	v_cmpx_gt_u32_e32 8, v84
; %bb.852:                              ;   in Loop: Header=BB220_678 Depth=1
	s_delay_alu instid0(VALU_DEP_3) | instskip(NEXT) | instid1(VALU_DEP_1)
	v_clz_i32_u32_e32 v36, v6
	v_min_u32_e32 v36, 32, v36
	s_delay_alu instid0(VALU_DEP_1) | instskip(SKIP_1) | instid1(VALU_DEP_2)
	v_subrev_nc_u32_e32 v37, 28, v36
	v_sub_nc_u32_e32 v82, 29, v36
	v_lshlrev_b64_e32 v[84:85], v37, v[6:7]
	s_delay_alu instid0(VALU_DEP_1)
	v_and_b32_e32 v6, 7, v84
; %bb.853:                              ;   in Loop: Header=BB220_678 Depth=1
	s_or_b32 exec_lo, exec_lo, s16
	s_delay_alu instid0(VALU_DEP_1) | instskip(SKIP_1) | instid1(VALU_DEP_2)
	v_dual_lshlrev_b32 v36, 24, v96 :: v_dual_lshlrev_b32 v6, 20, v6
	v_lshl_add_u32 v37, v82, 23, 0x3c000000
	v_and_b32_e32 v36, 0x80000000, v36
	s_delay_alu instid0(VALU_DEP_1) | instskip(NEXT) | instid1(VALU_DEP_1)
	v_or3_b32 v6, v6, v36, v37
	v_mov_b64_e32 v[82:83], v[6:7]
.LBB220_854:                            ;   in Loop: Header=BB220_678 Depth=1
	s_or_b32 exec_lo, exec_lo, s9
.LBB220_855:                            ;   in Loop: Header=BB220_678 Depth=1
	s_delay_alu instid0(SALU_CYCLE_1)
	s_or_b32 exec_lo, exec_lo, s8
.LBB220_856:                            ;   in Loop: Header=BB220_678 Depth=1
	s_delay_alu instid0(SALU_CYCLE_1) | instskip(SKIP_2) | instid1(VALU_DEP_1)
	s_or_b32 exec_lo, exec_lo, s3
	v_lshrrev_b16 v6, 8, v96
	s_mov_b32 s3, exec_lo
	v_cmpx_ne_u16_e32 0, v6
	s_cbranch_execz .LBB220_864
; %bb.857:                              ;   in Loop: Header=BB220_678 Depth=1
	v_mov_b64_e32 v[18:19], 0x8000000000000000
	s_mov_b32 s8, exec_lo
	v_cmpx_ne_u16_e32 0x80, v6
	s_cbranch_execz .LBB220_863
; %bb.858:                              ;   in Loop: Header=BB220_678 Depth=1
	v_and_b32_e32 v6, 0xffff, v6
	v_mov_b64_e32 v[18:19], 0x7f80000100000000
	s_mov_b32 s9, exec_lo
	s_delay_alu instid0(VALU_DEP_2) | instskip(NEXT) | instid1(VALU_DEP_1)
	v_and_b32_e32 v84, 0x7f, v6
	v_cmpx_ne_u32_e32 0x7f, v84
	s_cbranch_execz .LBB220_862
; %bb.859:                              ;   in Loop: Header=BB220_678 Depth=1
	v_dual_lshrrev_b32 v18, 3, v84 :: v_dual_bitop2_b32 v6, 7, v6 bitop3:0x40
	s_mov_b32 s16, exec_lo
	v_cmpx_gt_u32_e32 8, v84
; %bb.860:                              ;   in Loop: Header=BB220_678 Depth=1
	s_delay_alu instid0(VALU_DEP_2) | instskip(NEXT) | instid1(VALU_DEP_1)
	v_clz_i32_u32_e32 v18, v6
	v_min_u32_e32 v18, 32, v18
	s_delay_alu instid0(VALU_DEP_1) | instskip(NEXT) | instid1(VALU_DEP_1)
	v_subrev_nc_u32_e32 v19, 28, v18
	v_lshlrev_b64_e32 v[84:85], v19, v[6:7]
	s_delay_alu instid0(VALU_DEP_1)
	v_dual_sub_nc_u32 v18, 29, v18 :: v_dual_bitop2_b32 v6, 7, v84 bitop3:0x40
; %bb.861:                              ;   in Loop: Header=BB220_678 Depth=1
	s_or_b32 exec_lo, exec_lo, s16
	s_delay_alu instid0(VALU_DEP_1) | instskip(NEXT) | instid1(VALU_DEP_2)
	v_dual_lshlrev_b32 v19, 16, v96 :: v_dual_lshlrev_b32 v6, 20, v6
	v_lshl_add_u32 v18, v18, 23, 0x3c000000
	s_delay_alu instid0(VALU_DEP_2) | instskip(NEXT) | instid1(VALU_DEP_1)
	v_and_b32_e32 v19, 0x80000000, v19
	v_or3_b32 v19, v6, v19, v18
	v_mov_b32_e32 v18, v7
.LBB220_862:                            ;   in Loop: Header=BB220_678 Depth=1
	s_or_b32 exec_lo, exec_lo, s9
.LBB220_863:                            ;   in Loop: Header=BB220_678 Depth=1
	s_delay_alu instid0(SALU_CYCLE_1)
	s_or_b32 exec_lo, exec_lo, s8
.LBB220_864:                            ;   in Loop: Header=BB220_678 Depth=1
	s_delay_alu instid0(SALU_CYCLE_1) | instskip(SKIP_4) | instid1(VALU_DEP_3)
	s_or_b32 exec_lo, exec_lo, s3
	v_lshrrev_b32_e32 v97, 16, v96
	v_mov_b64_e32 v[84:85], 0
	v_mov_b64_e32 v[86:87], 0
	s_mov_b32 s3, exec_lo
	v_and_b32_e32 v6, 0xff, v97
	s_delay_alu instid0(VALU_DEP_1)
	v_cmpx_ne_u16_e32 0, v6
	s_cbranch_execz .LBB220_872
; %bb.865:                              ;   in Loop: Header=BB220_678 Depth=1
	v_mov_b64_e32 v[86:87], 0x80000000
	s_mov_b32 s8, exec_lo
	v_cmpx_ne_u16_e32 0x80, v6
	s_cbranch_execz .LBB220_871
; %bb.866:                              ;   in Loop: Header=BB220_678 Depth=1
	v_mov_b64_e32 v[86:87], 0x7f800001
	v_bfe_u32 v98, v96, 16, 7
	s_mov_b32 s9, exec_lo
	s_delay_alu instid0(VALU_DEP_1)
	v_cmpx_ne_u32_e32 0x7f, v98
	s_cbranch_execz .LBB220_870
; %bb.867:                              ;   in Loop: Header=BB220_678 Depth=1
	v_dual_lshrrev_b32 v86, 3, v98 :: v_dual_bitop2_b32 v6, 7, v97 bitop3:0x40
	s_mov_b32 s16, exec_lo
	v_cmpx_gt_u32_e32 8, v98
; %bb.868:                              ;   in Loop: Header=BB220_678 Depth=1
	s_delay_alu instid0(VALU_DEP_2) | instskip(NEXT) | instid1(VALU_DEP_1)
	v_clz_i32_u32_e32 v36, v6
	v_min_u32_e32 v36, 32, v36
	s_delay_alu instid0(VALU_DEP_1) | instskip(NEXT) | instid1(VALU_DEP_1)
	v_subrev_nc_u32_e32 v37, 28, v36
	v_lshlrev_b64_e32 v[98:99], v37, v[6:7]
	s_delay_alu instid0(VALU_DEP_1)
	v_dual_sub_nc_u32 v86, 29, v36 :: v_dual_bitop2_b32 v6, 7, v98 bitop3:0x40
; %bb.869:                              ;   in Loop: Header=BB220_678 Depth=1
	s_or_b32 exec_lo, exec_lo, s16
	s_delay_alu instid0(VALU_DEP_1) | instskip(NEXT) | instid1(VALU_DEP_2)
	v_dual_lshlrev_b32 v36, 24, v97 :: v_dual_lshlrev_b32 v6, 20, v6
	v_lshl_add_u32 v37, v86, 23, 0x3c000000
	s_delay_alu instid0(VALU_DEP_2) | instskip(NEXT) | instid1(VALU_DEP_1)
	v_and_b32_e32 v36, 0x80000000, v36
	v_or3_b32 v6, v6, v36, v37
	s_delay_alu instid0(VALU_DEP_1)
	v_mov_b64_e32 v[86:87], v[6:7]
.LBB220_870:                            ;   in Loop: Header=BB220_678 Depth=1
	s_or_b32 exec_lo, exec_lo, s9
.LBB220_871:                            ;   in Loop: Header=BB220_678 Depth=1
	s_delay_alu instid0(SALU_CYCLE_1)
	s_or_b32 exec_lo, exec_lo, s8
.LBB220_872:                            ;   in Loop: Header=BB220_678 Depth=1
	s_delay_alu instid0(SALU_CYCLE_1) | instskip(NEXT) | instid1(SALU_CYCLE_1)
	s_or_b32 exec_lo, exec_lo, s3
	s_mov_b32 s3, exec_lo
	v_cmpx_lt_u32_e32 0xffffff, v96
	s_cbranch_execz .LBB220_880
; %bb.873:                              ;   in Loop: Header=BB220_678 Depth=1
	v_mov_b64_e32 v[84:85], 0x8000000000000000
	v_lshrrev_b32_e32 v97, 24, v96
	s_mov_b32 s8, exec_lo
	s_delay_alu instid0(VALU_DEP_1)
	v_cmpx_ne_u32_e32 0x80, v97
	s_cbranch_execz .LBB220_879
; %bb.874:                              ;   in Loop: Header=BB220_678 Depth=1
	v_mov_b64_e32 v[84:85], 0x7f80000100000000
	v_bfe_u32 v96, v96, 24, 7
	s_mov_b32 s9, exec_lo
	s_delay_alu instid0(VALU_DEP_1)
	v_cmpx_ne_u32_e32 0x7f, v96
	s_cbranch_execz .LBB220_878
; %bb.875:                              ;   in Loop: Header=BB220_678 Depth=1
	v_dual_lshrrev_b32 v84, 3, v96 :: v_dual_bitop2_b32 v6, 7, v97 bitop3:0x40
	s_mov_b32 s16, exec_lo
	v_cmpx_gt_u32_e32 8, v96
; %bb.876:                              ;   in Loop: Header=BB220_678 Depth=1
	s_delay_alu instid0(VALU_DEP_2) | instskip(NEXT) | instid1(VALU_DEP_1)
	v_clz_i32_u32_e32 v36, v6
	v_min_u32_e32 v36, 32, v36
	s_delay_alu instid0(VALU_DEP_1) | instskip(NEXT) | instid1(VALU_DEP_1)
	v_subrev_nc_u32_e32 v37, 28, v36
	v_lshlrev_b64_e32 v[98:99], v37, v[6:7]
	s_delay_alu instid0(VALU_DEP_1)
	v_dual_sub_nc_u32 v84, 29, v36 :: v_dual_bitop2_b32 v6, 7, v98 bitop3:0x40
; %bb.877:                              ;   in Loop: Header=BB220_678 Depth=1
	s_or_b32 exec_lo, exec_lo, s16
	s_delay_alu instid0(VALU_DEP_1) | instskip(NEXT) | instid1(VALU_DEP_2)
	v_dual_lshlrev_b32 v36, 24, v97 :: v_dual_lshlrev_b32 v6, 20, v6
	v_lshl_add_u32 v37, v84, 23, 0x3c000000
	v_mov_b32_e32 v84, v7
	s_delay_alu instid0(VALU_DEP_3) | instskip(NEXT) | instid1(VALU_DEP_1)
	v_and_b32_e32 v36, 0x80000000, v36
	v_or3_b32 v85, v6, v36, v37
.LBB220_878:                            ;   in Loop: Header=BB220_678 Depth=1
	s_or_b32 exec_lo, exec_lo, s9
.LBB220_879:                            ;   in Loop: Header=BB220_678 Depth=1
	s_delay_alu instid0(SALU_CYCLE_1)
	s_or_b32 exec_lo, exec_lo, s8
.LBB220_880:                            ;   in Loop: Header=BB220_678 Depth=1
	s_delay_alu instid0(SALU_CYCLE_1) | instskip(SKIP_4) | instid1(VALU_DEP_3)
	s_or_b32 exec_lo, exec_lo, s3
	v_or_b32_e32 v19, v19, v83
	v_or_b32_e32 v18, v18, v82
	;; [unrolled: 1-line block ×4, first 2 shown]
	v_pk_mul_f32 v[82:83], v[22:23], v[18:19]
	s_delay_alu instid0(VALU_DEP_2)
	v_pk_mul_f32 v[18:19], v[22:23], v[84:85]
	s_and_saveexec_b32 s3, vcc_lo
	s_cbranch_execz .LBB220_882
; %bb.881:                              ;   in Loop: Header=BB220_678 Depth=1
	v_cmp_lt_i32_e64 s0, v123, v16
	s_delay_alu instid0(VALU_DEP_1) | instskip(SKIP_1) | instid1(VALU_DEP_1)
	v_cndmask_b32_e64 v82, 0, v82, s0
	v_cmp_lt_i32_e64 s0, v17, v16
	v_cndmask_b32_e64 v83, 0, v83, s0
	v_cmp_lt_i32_e64 s0, v109, v16
	s_delay_alu instid0(VALU_DEP_1) | instskip(SKIP_1) | instid1(VALU_DEP_1)
	v_cndmask_b32_e64 v18, 0, v18, s0
	v_cmp_lt_i32_e64 s0, v108, v16
	v_cndmask_b32_e64 v19, 0, v19, s0
.LBB220_882:                            ;   in Loop: Header=BB220_678 Depth=1
	s_or_b32 exec_lo, exec_lo, s3
	flat_load_b32 v100, v[50:51] offset:768
	v_mov_b64_e32 v[84:85], 0
	v_mov_b64_e32 v[86:87], 0
	s_mov_b32 s3, exec_lo
	s_wait_loadcnt_dscnt 0x0
	v_and_b32_e32 v6, 0xff, v100
	s_wait_xcnt 0x0
	s_delay_alu instid0(VALU_DEP_1)
	v_cmpx_ne_u16_e32 0, v6
	s_cbranch_execz .LBB220_890
; %bb.883:                              ;   in Loop: Header=BB220_678 Depth=1
	v_mov_b64_e32 v[86:87], 0x80000000
	s_mov_b32 s8, exec_lo
	v_cmpx_ne_u16_e32 0x80, v6
	s_cbranch_execz .LBB220_889
; %bb.884:                              ;   in Loop: Header=BB220_678 Depth=1
	v_mov_b64_e32 v[86:87], 0x7f800001
	v_and_b32_e32 v96, 0x7f, v100
	s_mov_b32 s9, exec_lo
	s_delay_alu instid0(VALU_DEP_1)
	v_cmpx_ne_u32_e32 0x7f, v96
	s_cbranch_execz .LBB220_888
; %bb.885:                              ;   in Loop: Header=BB220_678 Depth=1
	v_and_b32_e32 v6, 7, v100
	v_lshrrev_b32_e32 v86, 3, v96
	s_mov_b32 s16, exec_lo
	v_cmpx_gt_u32_e32 8, v96
; %bb.886:                              ;   in Loop: Header=BB220_678 Depth=1
	s_delay_alu instid0(VALU_DEP_3) | instskip(NEXT) | instid1(VALU_DEP_1)
	v_clz_i32_u32_e32 v36, v6
	v_min_u32_e32 v36, 32, v36
	s_delay_alu instid0(VALU_DEP_1) | instskip(SKIP_1) | instid1(VALU_DEP_2)
	v_subrev_nc_u32_e32 v37, 28, v36
	v_sub_nc_u32_e32 v86, 29, v36
	v_lshlrev_b64_e32 v[96:97], v37, v[6:7]
	s_delay_alu instid0(VALU_DEP_1)
	v_and_b32_e32 v6, 7, v96
; %bb.887:                              ;   in Loop: Header=BB220_678 Depth=1
	s_or_b32 exec_lo, exec_lo, s16
	s_delay_alu instid0(VALU_DEP_1) | instskip(SKIP_1) | instid1(VALU_DEP_2)
	v_dual_lshlrev_b32 v36, 24, v100 :: v_dual_lshlrev_b32 v6, 20, v6
	v_lshl_add_u32 v37, v86, 23, 0x3c000000
	v_and_b32_e32 v36, 0x80000000, v36
	s_delay_alu instid0(VALU_DEP_1) | instskip(NEXT) | instid1(VALU_DEP_1)
	v_or3_b32 v6, v6, v36, v37
	v_mov_b64_e32 v[86:87], v[6:7]
.LBB220_888:                            ;   in Loop: Header=BB220_678 Depth=1
	s_or_b32 exec_lo, exec_lo, s9
.LBB220_889:                            ;   in Loop: Header=BB220_678 Depth=1
	s_delay_alu instid0(SALU_CYCLE_1)
	s_or_b32 exec_lo, exec_lo, s8
.LBB220_890:                            ;   in Loop: Header=BB220_678 Depth=1
	s_delay_alu instid0(SALU_CYCLE_1) | instskip(SKIP_2) | instid1(VALU_DEP_1)
	s_or_b32 exec_lo, exec_lo, s3
	v_lshrrev_b16 v6, 8, v100
	s_mov_b32 s3, exec_lo
	v_cmpx_ne_u16_e32 0, v6
	s_cbranch_execz .LBB220_898
; %bb.891:                              ;   in Loop: Header=BB220_678 Depth=1
	v_mov_b64_e32 v[84:85], 0x8000000000000000
	s_mov_b32 s8, exec_lo
	v_cmpx_ne_u16_e32 0x80, v6
	s_cbranch_execz .LBB220_897
; %bb.892:                              ;   in Loop: Header=BB220_678 Depth=1
	v_and_b32_e32 v6, 0xffff, v6
	v_mov_b64_e32 v[84:85], 0x7f80000100000000
	s_mov_b32 s9, exec_lo
	s_delay_alu instid0(VALU_DEP_2) | instskip(NEXT) | instid1(VALU_DEP_1)
	v_and_b32_e32 v96, 0x7f, v6
	v_cmpx_ne_u32_e32 0x7f, v96
	s_cbranch_execz .LBB220_896
; %bb.893:                              ;   in Loop: Header=BB220_678 Depth=1
	v_dual_lshrrev_b32 v84, 3, v96 :: v_dual_bitop2_b32 v6, 7, v6 bitop3:0x40
	s_mov_b32 s16, exec_lo
	v_cmpx_gt_u32_e32 8, v96
; %bb.894:                              ;   in Loop: Header=BB220_678 Depth=1
	s_delay_alu instid0(VALU_DEP_2) | instskip(NEXT) | instid1(VALU_DEP_1)
	v_clz_i32_u32_e32 v36, v6
	v_min_u32_e32 v36, 32, v36
	s_delay_alu instid0(VALU_DEP_1) | instskip(SKIP_1) | instid1(VALU_DEP_2)
	v_subrev_nc_u32_e32 v37, 28, v36
	v_sub_nc_u32_e32 v84, 29, v36
	v_lshlrev_b64_e32 v[96:97], v37, v[6:7]
	s_delay_alu instid0(VALU_DEP_1)
	v_and_b32_e32 v6, 7, v96
; %bb.895:                              ;   in Loop: Header=BB220_678 Depth=1
	s_or_b32 exec_lo, exec_lo, s16
	s_delay_alu instid0(VALU_DEP_1) | instskip(SKIP_2) | instid1(VALU_DEP_3)
	v_dual_lshlrev_b32 v36, 16, v100 :: v_dual_lshlrev_b32 v6, 20, v6
	v_lshl_add_u32 v37, v84, 23, 0x3c000000
	v_mov_b32_e32 v84, v7
	v_and_b32_e32 v36, 0x80000000, v36
	s_delay_alu instid0(VALU_DEP_1)
	v_or3_b32 v85, v6, v36, v37
.LBB220_896:                            ;   in Loop: Header=BB220_678 Depth=1
	s_or_b32 exec_lo, exec_lo, s9
.LBB220_897:                            ;   in Loop: Header=BB220_678 Depth=1
	s_delay_alu instid0(SALU_CYCLE_1)
	s_or_b32 exec_lo, exec_lo, s8
.LBB220_898:                            ;   in Loop: Header=BB220_678 Depth=1
	s_delay_alu instid0(SALU_CYCLE_1) | instskip(SKIP_4) | instid1(VALU_DEP_3)
	s_or_b32 exec_lo, exec_lo, s3
	v_lshrrev_b32_e32 v101, 16, v100
	v_mov_b64_e32 v[96:97], 0
	v_mov_b64_e32 v[98:99], 0
	s_mov_b32 s3, exec_lo
	v_and_b32_e32 v6, 0xff, v101
	s_delay_alu instid0(VALU_DEP_1)
	v_cmpx_ne_u16_e32 0, v6
	s_cbranch_execz .LBB220_906
; %bb.899:                              ;   in Loop: Header=BB220_678 Depth=1
	v_mov_b64_e32 v[98:99], 0x80000000
	s_mov_b32 s8, exec_lo
	v_cmpx_ne_u16_e32 0x80, v6
	s_cbranch_execz .LBB220_905
; %bb.900:                              ;   in Loop: Header=BB220_678 Depth=1
	v_mov_b64_e32 v[98:99], 0x7f800001
	v_bfe_u32 v102, v100, 16, 7
	s_mov_b32 s9, exec_lo
	s_delay_alu instid0(VALU_DEP_1)
	v_cmpx_ne_u32_e32 0x7f, v102
	s_cbranch_execz .LBB220_904
; %bb.901:                              ;   in Loop: Header=BB220_678 Depth=1
	v_dual_lshrrev_b32 v98, 3, v102 :: v_dual_bitop2_b32 v6, 7, v101 bitop3:0x40
	s_mov_b32 s16, exec_lo
	v_cmpx_gt_u32_e32 8, v102
; %bb.902:                              ;   in Loop: Header=BB220_678 Depth=1
	s_delay_alu instid0(VALU_DEP_2) | instskip(NEXT) | instid1(VALU_DEP_1)
	v_clz_i32_u32_e32 v36, v6
	v_min_u32_e32 v36, 32, v36
	s_delay_alu instid0(VALU_DEP_1) | instskip(NEXT) | instid1(VALU_DEP_1)
	v_subrev_nc_u32_e32 v37, 28, v36
	v_lshlrev_b64_e32 v[102:103], v37, v[6:7]
	s_delay_alu instid0(VALU_DEP_1)
	v_dual_sub_nc_u32 v98, 29, v36 :: v_dual_bitop2_b32 v6, 7, v102 bitop3:0x40
; %bb.903:                              ;   in Loop: Header=BB220_678 Depth=1
	s_or_b32 exec_lo, exec_lo, s16
	s_delay_alu instid0(VALU_DEP_1) | instskip(NEXT) | instid1(VALU_DEP_2)
	v_dual_lshlrev_b32 v36, 24, v101 :: v_dual_lshlrev_b32 v6, 20, v6
	v_lshl_add_u32 v37, v98, 23, 0x3c000000
	s_delay_alu instid0(VALU_DEP_2) | instskip(NEXT) | instid1(VALU_DEP_1)
	v_and_b32_e32 v36, 0x80000000, v36
	v_or3_b32 v6, v6, v36, v37
	s_delay_alu instid0(VALU_DEP_1)
	v_mov_b64_e32 v[98:99], v[6:7]
.LBB220_904:                            ;   in Loop: Header=BB220_678 Depth=1
	s_or_b32 exec_lo, exec_lo, s9
.LBB220_905:                            ;   in Loop: Header=BB220_678 Depth=1
	s_delay_alu instid0(SALU_CYCLE_1)
	s_or_b32 exec_lo, exec_lo, s8
.LBB220_906:                            ;   in Loop: Header=BB220_678 Depth=1
	s_delay_alu instid0(SALU_CYCLE_1) | instskip(NEXT) | instid1(SALU_CYCLE_1)
	s_or_b32 exec_lo, exec_lo, s3
	s_mov_b32 s3, exec_lo
	v_cmpx_lt_u32_e32 0xffffff, v100
	s_cbranch_execz .LBB220_914
; %bb.907:                              ;   in Loop: Header=BB220_678 Depth=1
	v_mov_b64_e32 v[96:97], 0x8000000000000000
	v_lshrrev_b32_e32 v101, 24, v100
	s_mov_b32 s8, exec_lo
	s_delay_alu instid0(VALU_DEP_1)
	v_cmpx_ne_u32_e32 0x80, v101
	s_cbranch_execz .LBB220_913
; %bb.908:                              ;   in Loop: Header=BB220_678 Depth=1
	v_mov_b64_e32 v[96:97], 0x7f80000100000000
	v_bfe_u32 v100, v100, 24, 7
	s_mov_b32 s9, exec_lo
	s_delay_alu instid0(VALU_DEP_1)
	v_cmpx_ne_u32_e32 0x7f, v100
	s_cbranch_execz .LBB220_912
; %bb.909:                              ;   in Loop: Header=BB220_678 Depth=1
	v_dual_lshrrev_b32 v96, 3, v100 :: v_dual_bitop2_b32 v6, 7, v101 bitop3:0x40
	s_mov_b32 s16, exec_lo
	v_cmpx_gt_u32_e32 8, v100
; %bb.910:                              ;   in Loop: Header=BB220_678 Depth=1
	s_delay_alu instid0(VALU_DEP_2) | instskip(NEXT) | instid1(VALU_DEP_1)
	v_clz_i32_u32_e32 v36, v6
	v_min_u32_e32 v36, 32, v36
	s_delay_alu instid0(VALU_DEP_1) | instskip(NEXT) | instid1(VALU_DEP_1)
	v_subrev_nc_u32_e32 v37, 28, v36
	v_lshlrev_b64_e32 v[102:103], v37, v[6:7]
	s_delay_alu instid0(VALU_DEP_1)
	v_dual_sub_nc_u32 v96, 29, v36 :: v_dual_bitop2_b32 v6, 7, v102 bitop3:0x40
; %bb.911:                              ;   in Loop: Header=BB220_678 Depth=1
	s_or_b32 exec_lo, exec_lo, s16
	s_delay_alu instid0(VALU_DEP_1) | instskip(NEXT) | instid1(VALU_DEP_2)
	v_dual_lshlrev_b32 v36, 24, v101 :: v_dual_lshlrev_b32 v6, 20, v6
	v_lshl_add_u32 v37, v96, 23, 0x3c000000
	v_mov_b32_e32 v96, v7
	s_delay_alu instid0(VALU_DEP_3) | instskip(NEXT) | instid1(VALU_DEP_1)
	v_and_b32_e32 v36, 0x80000000, v36
	v_or3_b32 v97, v6, v36, v37
.LBB220_912:                            ;   in Loop: Header=BB220_678 Depth=1
	s_or_b32 exec_lo, exec_lo, s9
.LBB220_913:                            ;   in Loop: Header=BB220_678 Depth=1
	s_delay_alu instid0(SALU_CYCLE_1)
	s_or_b32 exec_lo, exec_lo, s8
.LBB220_914:                            ;   in Loop: Header=BB220_678 Depth=1
	s_delay_alu instid0(SALU_CYCLE_1) | instskip(SKIP_4) | instid1(VALU_DEP_3)
	s_or_b32 exec_lo, exec_lo, s3
	v_or_b32_e32 v85, v85, v87
	v_or_b32_e32 v84, v84, v86
	v_or_b32_e32 v97, v97, v99
	v_or_b32_e32 v96, v96, v98
	v_pk_mul_f32 v[86:87], v[22:23], v[84:85]
	s_delay_alu instid0(VALU_DEP_2)
	v_pk_mul_f32 v[84:85], v[22:23], v[96:97]
	s_and_saveexec_b32 s3, vcc_lo
	s_cbranch_execz .LBB220_916
; %bb.915:                              ;   in Loop: Header=BB220_678 Depth=1
	v_cmp_lt_i32_e64 s0, v123, v16
	s_delay_alu instid0(VALU_DEP_1) | instskip(SKIP_1) | instid1(VALU_DEP_1)
	v_cndmask_b32_e64 v86, 0, v86, s0
	v_cmp_lt_i32_e64 s0, v17, v16
	v_cndmask_b32_e64 v87, 0, v87, s0
	v_cmp_lt_i32_e64 s0, v109, v16
	s_delay_alu instid0(VALU_DEP_1) | instskip(SKIP_1) | instid1(VALU_DEP_1)
	v_cndmask_b32_e64 v84, 0, v84, s0
	v_cmp_lt_i32_e64 s0, v108, v16
	v_cndmask_b32_e64 v85, 0, v85, s0
.LBB220_916:                            ;   in Loop: Header=BB220_678 Depth=1
	s_or_b32 exec_lo, exec_lo, s3
	flat_load_b32 v112, v[50:51] offset:896
	v_mov_b64_e32 v[96:97], 0
	v_mov_b64_e32 v[98:99], 0
	s_mov_b32 s3, exec_lo
	s_wait_loadcnt_dscnt 0x0
	v_and_b32_e32 v6, 0xff, v112
	s_wait_xcnt 0x0
	s_delay_alu instid0(VALU_DEP_1)
	v_cmpx_ne_u16_e32 0, v6
	s_cbranch_execz .LBB220_924
; %bb.917:                              ;   in Loop: Header=BB220_678 Depth=1
	v_mov_b64_e32 v[98:99], 0x80000000
	s_mov_b32 s8, exec_lo
	v_cmpx_ne_u16_e32 0x80, v6
	s_cbranch_execz .LBB220_923
; %bb.918:                              ;   in Loop: Header=BB220_678 Depth=1
	v_mov_b64_e32 v[98:99], 0x7f800001
	v_and_b32_e32 v100, 0x7f, v112
	s_mov_b32 s9, exec_lo
	s_delay_alu instid0(VALU_DEP_1)
	v_cmpx_ne_u32_e32 0x7f, v100
	s_cbranch_execz .LBB220_922
; %bb.919:                              ;   in Loop: Header=BB220_678 Depth=1
	v_and_b32_e32 v6, 7, v112
	v_lshrrev_b32_e32 v98, 3, v100
	s_mov_b32 s16, exec_lo
	v_cmpx_gt_u32_e32 8, v100
; %bb.920:                              ;   in Loop: Header=BB220_678 Depth=1
	s_delay_alu instid0(VALU_DEP_3) | instskip(NEXT) | instid1(VALU_DEP_1)
	v_clz_i32_u32_e32 v36, v6
	v_min_u32_e32 v36, 32, v36
	s_delay_alu instid0(VALU_DEP_1) | instskip(SKIP_1) | instid1(VALU_DEP_2)
	v_subrev_nc_u32_e32 v37, 28, v36
	v_sub_nc_u32_e32 v98, 29, v36
	v_lshlrev_b64_e32 v[100:101], v37, v[6:7]
	s_delay_alu instid0(VALU_DEP_1)
	v_and_b32_e32 v6, 7, v100
; %bb.921:                              ;   in Loop: Header=BB220_678 Depth=1
	s_or_b32 exec_lo, exec_lo, s16
	s_delay_alu instid0(VALU_DEP_1) | instskip(SKIP_1) | instid1(VALU_DEP_2)
	v_dual_lshlrev_b32 v36, 24, v112 :: v_dual_lshlrev_b32 v6, 20, v6
	v_lshl_add_u32 v37, v98, 23, 0x3c000000
	v_and_b32_e32 v36, 0x80000000, v36
	s_delay_alu instid0(VALU_DEP_1) | instskip(NEXT) | instid1(VALU_DEP_1)
	v_or3_b32 v6, v6, v36, v37
	v_mov_b64_e32 v[98:99], v[6:7]
.LBB220_922:                            ;   in Loop: Header=BB220_678 Depth=1
	s_or_b32 exec_lo, exec_lo, s9
.LBB220_923:                            ;   in Loop: Header=BB220_678 Depth=1
	s_delay_alu instid0(SALU_CYCLE_1)
	s_or_b32 exec_lo, exec_lo, s8
.LBB220_924:                            ;   in Loop: Header=BB220_678 Depth=1
	s_delay_alu instid0(SALU_CYCLE_1) | instskip(SKIP_2) | instid1(VALU_DEP_1)
	s_or_b32 exec_lo, exec_lo, s3
	v_lshrrev_b16 v6, 8, v112
	s_mov_b32 s3, exec_lo
	v_cmpx_ne_u16_e32 0, v6
	s_cbranch_execz .LBB220_932
; %bb.925:                              ;   in Loop: Header=BB220_678 Depth=1
	v_mov_b64_e32 v[96:97], 0x8000000000000000
	s_mov_b32 s8, exec_lo
	v_cmpx_ne_u16_e32 0x80, v6
	s_cbranch_execz .LBB220_931
; %bb.926:                              ;   in Loop: Header=BB220_678 Depth=1
	v_and_b32_e32 v6, 0xffff, v6
	v_mov_b64_e32 v[96:97], 0x7f80000100000000
	s_mov_b32 s9, exec_lo
	s_delay_alu instid0(VALU_DEP_2) | instskip(NEXT) | instid1(VALU_DEP_1)
	v_and_b32_e32 v100, 0x7f, v6
	v_cmpx_ne_u32_e32 0x7f, v100
	s_cbranch_execz .LBB220_930
; %bb.927:                              ;   in Loop: Header=BB220_678 Depth=1
	v_dual_lshrrev_b32 v96, 3, v100 :: v_dual_bitop2_b32 v6, 7, v6 bitop3:0x40
	s_mov_b32 s16, exec_lo
	v_cmpx_gt_u32_e32 8, v100
; %bb.928:                              ;   in Loop: Header=BB220_678 Depth=1
	s_delay_alu instid0(VALU_DEP_2) | instskip(NEXT) | instid1(VALU_DEP_1)
	v_clz_i32_u32_e32 v36, v6
	v_min_u32_e32 v36, 32, v36
	s_delay_alu instid0(VALU_DEP_1) | instskip(SKIP_1) | instid1(VALU_DEP_2)
	v_subrev_nc_u32_e32 v37, 28, v36
	v_sub_nc_u32_e32 v96, 29, v36
	v_lshlrev_b64_e32 v[100:101], v37, v[6:7]
	s_delay_alu instid0(VALU_DEP_1)
	v_and_b32_e32 v6, 7, v100
; %bb.929:                              ;   in Loop: Header=BB220_678 Depth=1
	s_or_b32 exec_lo, exec_lo, s16
	s_delay_alu instid0(VALU_DEP_1) | instskip(SKIP_2) | instid1(VALU_DEP_3)
	v_dual_lshlrev_b32 v36, 16, v112 :: v_dual_lshlrev_b32 v6, 20, v6
	v_lshl_add_u32 v37, v96, 23, 0x3c000000
	v_mov_b32_e32 v96, v7
	v_and_b32_e32 v36, 0x80000000, v36
	s_delay_alu instid0(VALU_DEP_1)
	v_or3_b32 v97, v6, v36, v37
.LBB220_930:                            ;   in Loop: Header=BB220_678 Depth=1
	s_or_b32 exec_lo, exec_lo, s9
.LBB220_931:                            ;   in Loop: Header=BB220_678 Depth=1
	s_delay_alu instid0(SALU_CYCLE_1)
	s_or_b32 exec_lo, exec_lo, s8
.LBB220_932:                            ;   in Loop: Header=BB220_678 Depth=1
	s_delay_alu instid0(SALU_CYCLE_1) | instskip(SKIP_4) | instid1(VALU_DEP_3)
	s_or_b32 exec_lo, exec_lo, s3
	v_lshrrev_b32_e32 v113, 16, v112
	v_mov_b64_e32 v[100:101], 0
	v_mov_b64_e32 v[102:103], 0
	s_mov_b32 s3, exec_lo
	v_and_b32_e32 v6, 0xff, v113
	s_delay_alu instid0(VALU_DEP_1)
	v_cmpx_ne_u16_e32 0, v6
	s_cbranch_execz .LBB220_940
; %bb.933:                              ;   in Loop: Header=BB220_678 Depth=1
	v_mov_b64_e32 v[102:103], 0x80000000
	s_mov_b32 s8, exec_lo
	v_cmpx_ne_u16_e32 0x80, v6
	s_cbranch_execz .LBB220_939
; %bb.934:                              ;   in Loop: Header=BB220_678 Depth=1
	v_mov_b64_e32 v[102:103], 0x7f800001
	v_bfe_u32 v114, v112, 16, 7
	s_mov_b32 s9, exec_lo
	s_delay_alu instid0(VALU_DEP_1)
	v_cmpx_ne_u32_e32 0x7f, v114
	s_cbranch_execz .LBB220_938
; %bb.935:                              ;   in Loop: Header=BB220_678 Depth=1
	v_dual_lshrrev_b32 v102, 3, v114 :: v_dual_bitop2_b32 v6, 7, v113 bitop3:0x40
	s_mov_b32 s16, exec_lo
	v_cmpx_gt_u32_e32 8, v114
; %bb.936:                              ;   in Loop: Header=BB220_678 Depth=1
	s_delay_alu instid0(VALU_DEP_2) | instskip(NEXT) | instid1(VALU_DEP_1)
	v_clz_i32_u32_e32 v36, v6
	v_min_u32_e32 v36, 32, v36
	s_delay_alu instid0(VALU_DEP_1) | instskip(NEXT) | instid1(VALU_DEP_1)
	v_subrev_nc_u32_e32 v37, 28, v36
	v_lshlrev_b64_e32 v[114:115], v37, v[6:7]
	s_delay_alu instid0(VALU_DEP_1)
	v_dual_sub_nc_u32 v102, 29, v36 :: v_dual_bitop2_b32 v6, 7, v114 bitop3:0x40
; %bb.937:                              ;   in Loop: Header=BB220_678 Depth=1
	s_or_b32 exec_lo, exec_lo, s16
	s_delay_alu instid0(VALU_DEP_1) | instskip(NEXT) | instid1(VALU_DEP_2)
	v_dual_lshlrev_b32 v36, 24, v113 :: v_dual_lshlrev_b32 v6, 20, v6
	v_lshl_add_u32 v37, v102, 23, 0x3c000000
	s_delay_alu instid0(VALU_DEP_2) | instskip(NEXT) | instid1(VALU_DEP_1)
	v_and_b32_e32 v36, 0x80000000, v36
	v_or3_b32 v6, v6, v36, v37
	s_delay_alu instid0(VALU_DEP_1)
	v_mov_b64_e32 v[102:103], v[6:7]
.LBB220_938:                            ;   in Loop: Header=BB220_678 Depth=1
	s_or_b32 exec_lo, exec_lo, s9
.LBB220_939:                            ;   in Loop: Header=BB220_678 Depth=1
	s_delay_alu instid0(SALU_CYCLE_1)
	s_or_b32 exec_lo, exec_lo, s8
.LBB220_940:                            ;   in Loop: Header=BB220_678 Depth=1
	s_delay_alu instid0(SALU_CYCLE_1) | instskip(NEXT) | instid1(SALU_CYCLE_1)
	s_or_b32 exec_lo, exec_lo, s3
	s_mov_b32 s3, exec_lo
	v_cmpx_lt_u32_e32 0xffffff, v112
	s_cbranch_execz .LBB220_948
; %bb.941:                              ;   in Loop: Header=BB220_678 Depth=1
	v_mov_b64_e32 v[100:101], 0x8000000000000000
	v_lshrrev_b32_e32 v113, 24, v112
	s_mov_b32 s8, exec_lo
	s_delay_alu instid0(VALU_DEP_1)
	v_cmpx_ne_u32_e32 0x80, v113
	s_cbranch_execz .LBB220_947
; %bb.942:                              ;   in Loop: Header=BB220_678 Depth=1
	v_mov_b64_e32 v[100:101], 0x7f80000100000000
	v_bfe_u32 v112, v112, 24, 7
	s_mov_b32 s9, exec_lo
	s_delay_alu instid0(VALU_DEP_1)
	v_cmpx_ne_u32_e32 0x7f, v112
	s_cbranch_execz .LBB220_946
; %bb.943:                              ;   in Loop: Header=BB220_678 Depth=1
	v_dual_lshrrev_b32 v100, 3, v112 :: v_dual_bitop2_b32 v6, 7, v113 bitop3:0x40
	s_mov_b32 s16, exec_lo
	v_cmpx_gt_u32_e32 8, v112
; %bb.944:                              ;   in Loop: Header=BB220_678 Depth=1
	s_delay_alu instid0(VALU_DEP_2) | instskip(NEXT) | instid1(VALU_DEP_1)
	v_clz_i32_u32_e32 v36, v6
	v_min_u32_e32 v36, 32, v36
	s_delay_alu instid0(VALU_DEP_1) | instskip(NEXT) | instid1(VALU_DEP_1)
	v_subrev_nc_u32_e32 v37, 28, v36
	v_lshlrev_b64_e32 v[114:115], v37, v[6:7]
	s_delay_alu instid0(VALU_DEP_1)
	v_dual_sub_nc_u32 v100, 29, v36 :: v_dual_bitop2_b32 v6, 7, v114 bitop3:0x40
; %bb.945:                              ;   in Loop: Header=BB220_678 Depth=1
	s_or_b32 exec_lo, exec_lo, s16
	s_delay_alu instid0(VALU_DEP_1) | instskip(NEXT) | instid1(VALU_DEP_2)
	v_dual_lshlrev_b32 v36, 24, v113 :: v_dual_lshlrev_b32 v6, 20, v6
	v_lshl_add_u32 v37, v100, 23, 0x3c000000
	v_mov_b32_e32 v100, v7
	s_delay_alu instid0(VALU_DEP_3) | instskip(NEXT) | instid1(VALU_DEP_1)
	v_and_b32_e32 v36, 0x80000000, v36
	v_or3_b32 v101, v6, v36, v37
.LBB220_946:                            ;   in Loop: Header=BB220_678 Depth=1
	s_or_b32 exec_lo, exec_lo, s9
.LBB220_947:                            ;   in Loop: Header=BB220_678 Depth=1
	s_delay_alu instid0(SALU_CYCLE_1)
	s_or_b32 exec_lo, exec_lo, s8
.LBB220_948:                            ;   in Loop: Header=BB220_678 Depth=1
	s_delay_alu instid0(SALU_CYCLE_1) | instskip(SKIP_4) | instid1(VALU_DEP_3)
	s_or_b32 exec_lo, exec_lo, s3
	v_or_b32_e32 v97, v97, v99
	v_or_b32_e32 v96, v96, v98
	;; [unrolled: 1-line block ×4, first 2 shown]
	v_pk_mul_f32 v[98:99], v[22:23], v[96:97]
	s_delay_alu instid0(VALU_DEP_2)
	v_pk_mul_f32 v[96:97], v[22:23], v[100:101]
	s_and_saveexec_b32 s3, vcc_lo
	s_cbranch_execz .LBB220_950
; %bb.949:                              ;   in Loop: Header=BB220_678 Depth=1
	v_cmp_lt_i32_e64 s0, v123, v16
	s_delay_alu instid0(VALU_DEP_1) | instskip(SKIP_1) | instid1(VALU_DEP_1)
	v_cndmask_b32_e64 v98, 0, v98, s0
	v_cmp_lt_i32_e64 s0, v17, v16
	v_cndmask_b32_e64 v99, 0, v99, s0
	v_cmp_lt_i32_e64 s0, v109, v16
	s_delay_alu instid0(VALU_DEP_1) | instskip(SKIP_1) | instid1(VALU_DEP_1)
	v_cndmask_b32_e64 v96, 0, v96, s0
	v_cmp_lt_i32_e64 s0, v108, v16
	v_cndmask_b32_e64 v97, 0, v97, s0
.LBB220_950:                            ;   in Loop: Header=BB220_678 Depth=1
	s_or_b32 exec_lo, exec_lo, s3
	flat_load_b32 v116, v[50:51] offset:1024
	v_mov_b64_e32 v[100:101], 0
	v_mov_b64_e32 v[102:103], 0
	s_mov_b32 s3, exec_lo
	s_wait_loadcnt_dscnt 0x0
	v_and_b32_e32 v6, 0xff, v116
	s_wait_xcnt 0x0
	s_delay_alu instid0(VALU_DEP_1)
	v_cmpx_ne_u16_e32 0, v6
	s_cbranch_execz .LBB220_958
; %bb.951:                              ;   in Loop: Header=BB220_678 Depth=1
	v_mov_b64_e32 v[102:103], 0x80000000
	s_mov_b32 s8, exec_lo
	v_cmpx_ne_u16_e32 0x80, v6
	s_cbranch_execz .LBB220_957
; %bb.952:                              ;   in Loop: Header=BB220_678 Depth=1
	v_mov_b64_e32 v[102:103], 0x7f800001
	v_and_b32_e32 v112, 0x7f, v116
	s_mov_b32 s9, exec_lo
	s_delay_alu instid0(VALU_DEP_1)
	v_cmpx_ne_u32_e32 0x7f, v112
	s_cbranch_execz .LBB220_956
; %bb.953:                              ;   in Loop: Header=BB220_678 Depth=1
	v_and_b32_e32 v6, 7, v116
	v_lshrrev_b32_e32 v102, 3, v112
	s_mov_b32 s16, exec_lo
	v_cmpx_gt_u32_e32 8, v112
; %bb.954:                              ;   in Loop: Header=BB220_678 Depth=1
	s_delay_alu instid0(VALU_DEP_3) | instskip(NEXT) | instid1(VALU_DEP_1)
	v_clz_i32_u32_e32 v36, v6
	v_min_u32_e32 v36, 32, v36
	s_delay_alu instid0(VALU_DEP_1) | instskip(SKIP_1) | instid1(VALU_DEP_2)
	v_subrev_nc_u32_e32 v37, 28, v36
	v_sub_nc_u32_e32 v102, 29, v36
	v_lshlrev_b64_e32 v[112:113], v37, v[6:7]
	s_delay_alu instid0(VALU_DEP_1)
	v_and_b32_e32 v6, 7, v112
; %bb.955:                              ;   in Loop: Header=BB220_678 Depth=1
	s_or_b32 exec_lo, exec_lo, s16
	s_delay_alu instid0(VALU_DEP_1) | instskip(SKIP_1) | instid1(VALU_DEP_2)
	v_dual_lshlrev_b32 v36, 24, v116 :: v_dual_lshlrev_b32 v6, 20, v6
	v_lshl_add_u32 v37, v102, 23, 0x3c000000
	v_and_b32_e32 v36, 0x80000000, v36
	s_delay_alu instid0(VALU_DEP_1) | instskip(NEXT) | instid1(VALU_DEP_1)
	v_or3_b32 v6, v6, v36, v37
	v_mov_b64_e32 v[102:103], v[6:7]
.LBB220_956:                            ;   in Loop: Header=BB220_678 Depth=1
	s_or_b32 exec_lo, exec_lo, s9
.LBB220_957:                            ;   in Loop: Header=BB220_678 Depth=1
	s_delay_alu instid0(SALU_CYCLE_1)
	s_or_b32 exec_lo, exec_lo, s8
.LBB220_958:                            ;   in Loop: Header=BB220_678 Depth=1
	s_delay_alu instid0(SALU_CYCLE_1) | instskip(SKIP_2) | instid1(VALU_DEP_1)
	s_or_b32 exec_lo, exec_lo, s3
	v_lshrrev_b16 v6, 8, v116
	s_mov_b32 s3, exec_lo
	v_cmpx_ne_u16_e32 0, v6
	s_cbranch_execz .LBB220_966
; %bb.959:                              ;   in Loop: Header=BB220_678 Depth=1
	v_mov_b64_e32 v[100:101], 0x8000000000000000
	s_mov_b32 s8, exec_lo
	v_cmpx_ne_u16_e32 0x80, v6
	s_cbranch_execz .LBB220_965
; %bb.960:                              ;   in Loop: Header=BB220_678 Depth=1
	v_and_b32_e32 v6, 0xffff, v6
	v_mov_b64_e32 v[100:101], 0x7f80000100000000
	s_mov_b32 s9, exec_lo
	s_delay_alu instid0(VALU_DEP_2) | instskip(NEXT) | instid1(VALU_DEP_1)
	v_and_b32_e32 v112, 0x7f, v6
	v_cmpx_ne_u32_e32 0x7f, v112
	s_cbranch_execz .LBB220_964
; %bb.961:                              ;   in Loop: Header=BB220_678 Depth=1
	v_dual_lshrrev_b32 v100, 3, v112 :: v_dual_bitop2_b32 v6, 7, v6 bitop3:0x40
	s_mov_b32 s16, exec_lo
	v_cmpx_gt_u32_e32 8, v112
; %bb.962:                              ;   in Loop: Header=BB220_678 Depth=1
	s_delay_alu instid0(VALU_DEP_2) | instskip(NEXT) | instid1(VALU_DEP_1)
	v_clz_i32_u32_e32 v36, v6
	v_min_u32_e32 v36, 32, v36
	s_delay_alu instid0(VALU_DEP_1) | instskip(SKIP_1) | instid1(VALU_DEP_2)
	v_subrev_nc_u32_e32 v37, 28, v36
	v_sub_nc_u32_e32 v100, 29, v36
	v_lshlrev_b64_e32 v[112:113], v37, v[6:7]
	s_delay_alu instid0(VALU_DEP_1)
	v_and_b32_e32 v6, 7, v112
; %bb.963:                              ;   in Loop: Header=BB220_678 Depth=1
	s_or_b32 exec_lo, exec_lo, s16
	s_delay_alu instid0(VALU_DEP_1) | instskip(SKIP_2) | instid1(VALU_DEP_3)
	v_dual_lshlrev_b32 v36, 16, v116 :: v_dual_lshlrev_b32 v6, 20, v6
	v_lshl_add_u32 v37, v100, 23, 0x3c000000
	v_mov_b32_e32 v100, v7
	v_and_b32_e32 v36, 0x80000000, v36
	s_delay_alu instid0(VALU_DEP_1)
	v_or3_b32 v101, v6, v36, v37
.LBB220_964:                            ;   in Loop: Header=BB220_678 Depth=1
	s_or_b32 exec_lo, exec_lo, s9
.LBB220_965:                            ;   in Loop: Header=BB220_678 Depth=1
	s_delay_alu instid0(SALU_CYCLE_1)
	s_or_b32 exec_lo, exec_lo, s8
.LBB220_966:                            ;   in Loop: Header=BB220_678 Depth=1
	s_delay_alu instid0(SALU_CYCLE_1) | instskip(SKIP_4) | instid1(VALU_DEP_3)
	s_or_b32 exec_lo, exec_lo, s3
	v_lshrrev_b32_e32 v117, 16, v116
	v_mov_b64_e32 v[112:113], 0
	v_mov_b64_e32 v[114:115], 0
	s_mov_b32 s3, exec_lo
	v_and_b32_e32 v6, 0xff, v117
	s_delay_alu instid0(VALU_DEP_1)
	v_cmpx_ne_u16_e32 0, v6
	s_cbranch_execz .LBB220_974
; %bb.967:                              ;   in Loop: Header=BB220_678 Depth=1
	v_mov_b64_e32 v[114:115], 0x80000000
	s_mov_b32 s8, exec_lo
	v_cmpx_ne_u16_e32 0x80, v6
	s_cbranch_execz .LBB220_973
; %bb.968:                              ;   in Loop: Header=BB220_678 Depth=1
	v_mov_b64_e32 v[114:115], 0x7f800001
	v_bfe_u32 v118, v116, 16, 7
	s_mov_b32 s9, exec_lo
	s_delay_alu instid0(VALU_DEP_1)
	v_cmpx_ne_u32_e32 0x7f, v118
	s_cbranch_execz .LBB220_972
; %bb.969:                              ;   in Loop: Header=BB220_678 Depth=1
	v_dual_lshrrev_b32 v114, 3, v118 :: v_dual_bitop2_b32 v6, 7, v117 bitop3:0x40
	s_mov_b32 s16, exec_lo
	v_cmpx_gt_u32_e32 8, v118
; %bb.970:                              ;   in Loop: Header=BB220_678 Depth=1
	s_delay_alu instid0(VALU_DEP_2) | instskip(NEXT) | instid1(VALU_DEP_1)
	v_clz_i32_u32_e32 v36, v6
	v_min_u32_e32 v36, 32, v36
	s_delay_alu instid0(VALU_DEP_1) | instskip(NEXT) | instid1(VALU_DEP_1)
	v_subrev_nc_u32_e32 v37, 28, v36
	v_lshlrev_b64_e32 v[118:119], v37, v[6:7]
	s_delay_alu instid0(VALU_DEP_1)
	v_dual_sub_nc_u32 v114, 29, v36 :: v_dual_bitop2_b32 v6, 7, v118 bitop3:0x40
; %bb.971:                              ;   in Loop: Header=BB220_678 Depth=1
	s_or_b32 exec_lo, exec_lo, s16
	s_delay_alu instid0(VALU_DEP_1) | instskip(NEXT) | instid1(VALU_DEP_2)
	v_dual_lshlrev_b32 v36, 24, v117 :: v_dual_lshlrev_b32 v6, 20, v6
	v_lshl_add_u32 v37, v114, 23, 0x3c000000
	s_delay_alu instid0(VALU_DEP_2) | instskip(NEXT) | instid1(VALU_DEP_1)
	v_and_b32_e32 v36, 0x80000000, v36
	v_or3_b32 v6, v6, v36, v37
	s_delay_alu instid0(VALU_DEP_1)
	v_mov_b64_e32 v[114:115], v[6:7]
.LBB220_972:                            ;   in Loop: Header=BB220_678 Depth=1
	s_or_b32 exec_lo, exec_lo, s9
.LBB220_973:                            ;   in Loop: Header=BB220_678 Depth=1
	s_delay_alu instid0(SALU_CYCLE_1)
	s_or_b32 exec_lo, exec_lo, s8
.LBB220_974:                            ;   in Loop: Header=BB220_678 Depth=1
	s_delay_alu instid0(SALU_CYCLE_1) | instskip(NEXT) | instid1(SALU_CYCLE_1)
	s_or_b32 exec_lo, exec_lo, s3
	s_mov_b32 s3, exec_lo
	v_cmpx_lt_u32_e32 0xffffff, v116
	s_cbranch_execz .LBB220_982
; %bb.975:                              ;   in Loop: Header=BB220_678 Depth=1
	v_mov_b64_e32 v[112:113], 0x8000000000000000
	v_lshrrev_b32_e32 v117, 24, v116
	s_mov_b32 s8, exec_lo
	s_delay_alu instid0(VALU_DEP_1)
	v_cmpx_ne_u32_e32 0x80, v117
	s_cbranch_execz .LBB220_981
; %bb.976:                              ;   in Loop: Header=BB220_678 Depth=1
	v_mov_b64_e32 v[112:113], 0x7f80000100000000
	v_bfe_u32 v116, v116, 24, 7
	s_mov_b32 s9, exec_lo
	s_delay_alu instid0(VALU_DEP_1)
	v_cmpx_ne_u32_e32 0x7f, v116
	s_cbranch_execz .LBB220_980
; %bb.977:                              ;   in Loop: Header=BB220_678 Depth=1
	v_dual_lshrrev_b32 v112, 3, v116 :: v_dual_bitop2_b32 v6, 7, v117 bitop3:0x40
	s_mov_b32 s16, exec_lo
	v_cmpx_gt_u32_e32 8, v116
; %bb.978:                              ;   in Loop: Header=BB220_678 Depth=1
	s_delay_alu instid0(VALU_DEP_2) | instskip(NEXT) | instid1(VALU_DEP_1)
	v_clz_i32_u32_e32 v36, v6
	v_min_u32_e32 v36, 32, v36
	s_delay_alu instid0(VALU_DEP_1) | instskip(NEXT) | instid1(VALU_DEP_1)
	v_subrev_nc_u32_e32 v37, 28, v36
	v_lshlrev_b64_e32 v[118:119], v37, v[6:7]
	s_delay_alu instid0(VALU_DEP_1)
	v_dual_sub_nc_u32 v112, 29, v36 :: v_dual_bitop2_b32 v6, 7, v118 bitop3:0x40
; %bb.979:                              ;   in Loop: Header=BB220_678 Depth=1
	s_or_b32 exec_lo, exec_lo, s16
	s_delay_alu instid0(VALU_DEP_1) | instskip(NEXT) | instid1(VALU_DEP_2)
	v_dual_lshlrev_b32 v36, 24, v117 :: v_dual_lshlrev_b32 v6, 20, v6
	v_lshl_add_u32 v37, v112, 23, 0x3c000000
	v_mov_b32_e32 v112, v7
	s_delay_alu instid0(VALU_DEP_3) | instskip(NEXT) | instid1(VALU_DEP_1)
	v_and_b32_e32 v36, 0x80000000, v36
	v_or3_b32 v113, v6, v36, v37
.LBB220_980:                            ;   in Loop: Header=BB220_678 Depth=1
	s_or_b32 exec_lo, exec_lo, s9
.LBB220_981:                            ;   in Loop: Header=BB220_678 Depth=1
	s_delay_alu instid0(SALU_CYCLE_1)
	s_or_b32 exec_lo, exec_lo, s8
.LBB220_982:                            ;   in Loop: Header=BB220_678 Depth=1
	s_delay_alu instid0(SALU_CYCLE_1) | instskip(SKIP_4) | instid1(VALU_DEP_3)
	s_or_b32 exec_lo, exec_lo, s3
	v_or_b32_e32 v101, v101, v103
	v_or_b32_e32 v100, v100, v102
	;; [unrolled: 1-line block ×4, first 2 shown]
	v_pk_mul_f32 v[102:103], v[22:23], v[100:101]
	s_delay_alu instid0(VALU_DEP_2)
	v_pk_mul_f32 v[100:101], v[22:23], v[112:113]
	s_and_saveexec_b32 s3, vcc_lo
	s_cbranch_execz .LBB220_984
; %bb.983:                              ;   in Loop: Header=BB220_678 Depth=1
	v_cmp_lt_i32_e64 s0, v123, v16
	s_delay_alu instid0(VALU_DEP_1) | instskip(SKIP_1) | instid1(VALU_DEP_1)
	v_cndmask_b32_e64 v102, 0, v102, s0
	v_cmp_lt_i32_e64 s0, v17, v16
	v_cndmask_b32_e64 v103, 0, v103, s0
	v_cmp_lt_i32_e64 s0, v109, v16
	s_delay_alu instid0(VALU_DEP_1) | instskip(SKIP_1) | instid1(VALU_DEP_1)
	v_cndmask_b32_e64 v100, 0, v100, s0
	v_cmp_lt_i32_e64 s0, v108, v16
	v_cndmask_b32_e64 v101, 0, v101, s0
.LBB220_984:                            ;   in Loop: Header=BB220_678 Depth=1
	s_or_b32 exec_lo, exec_lo, s3
	flat_load_b32 v40, v[50:51] offset:1152
	v_mov_b64_e32 v[112:113], 0
	v_mov_b64_e32 v[114:115], 0
	s_mov_b32 s3, exec_lo
	s_wait_loadcnt_dscnt 0x0
	v_and_b32_e32 v6, 0xff, v40
	s_wait_xcnt 0x0
	s_delay_alu instid0(VALU_DEP_1)
	v_cmpx_ne_u16_e32 0, v6
	s_cbranch_execz .LBB220_992
; %bb.985:                              ;   in Loop: Header=BB220_678 Depth=1
	v_mov_b64_e32 v[114:115], 0x80000000
	s_mov_b32 s8, exec_lo
	v_cmpx_ne_u16_e32 0x80, v6
	s_cbranch_execz .LBB220_991
; %bb.986:                              ;   in Loop: Header=BB220_678 Depth=1
	v_mov_b64_e32 v[114:115], 0x7f800001
	v_and_b32_e32 v116, 0x7f, v40
	s_mov_b32 s9, exec_lo
	s_delay_alu instid0(VALU_DEP_1)
	v_cmpx_ne_u32_e32 0x7f, v116
	s_cbranch_execz .LBB220_990
; %bb.987:                              ;   in Loop: Header=BB220_678 Depth=1
	v_and_b32_e32 v6, 7, v40
	v_lshrrev_b32_e32 v114, 3, v116
	s_mov_b32 s16, exec_lo
	v_cmpx_gt_u32_e32 8, v116
; %bb.988:                              ;   in Loop: Header=BB220_678 Depth=1
	s_delay_alu instid0(VALU_DEP_3) | instskip(NEXT) | instid1(VALU_DEP_1)
	v_clz_i32_u32_e32 v36, v6
	v_min_u32_e32 v36, 32, v36
	s_delay_alu instid0(VALU_DEP_1) | instskip(SKIP_1) | instid1(VALU_DEP_2)
	v_subrev_nc_u32_e32 v37, 28, v36
	v_sub_nc_u32_e32 v114, 29, v36
	v_lshlrev_b64_e32 v[116:117], v37, v[6:7]
	s_delay_alu instid0(VALU_DEP_1)
	v_and_b32_e32 v6, 7, v116
; %bb.989:                              ;   in Loop: Header=BB220_678 Depth=1
	s_or_b32 exec_lo, exec_lo, s16
	s_delay_alu instid0(VALU_DEP_1) | instskip(SKIP_1) | instid1(VALU_DEP_2)
	v_dual_lshlrev_b32 v36, 24, v40 :: v_dual_lshlrev_b32 v6, 20, v6
	v_lshl_add_u32 v37, v114, 23, 0x3c000000
	v_and_b32_e32 v36, 0x80000000, v36
	s_delay_alu instid0(VALU_DEP_1) | instskip(NEXT) | instid1(VALU_DEP_1)
	v_or3_b32 v6, v6, v36, v37
	v_mov_b64_e32 v[114:115], v[6:7]
.LBB220_990:                            ;   in Loop: Header=BB220_678 Depth=1
	s_or_b32 exec_lo, exec_lo, s9
.LBB220_991:                            ;   in Loop: Header=BB220_678 Depth=1
	s_delay_alu instid0(SALU_CYCLE_1)
	s_or_b32 exec_lo, exec_lo, s8
.LBB220_992:                            ;   in Loop: Header=BB220_678 Depth=1
	s_delay_alu instid0(SALU_CYCLE_1) | instskip(SKIP_2) | instid1(VALU_DEP_1)
	s_or_b32 exec_lo, exec_lo, s3
	v_lshrrev_b16 v6, 8, v40
	s_mov_b32 s3, exec_lo
	v_cmpx_ne_u16_e32 0, v6
	s_cbranch_execz .LBB220_1000
; %bb.993:                              ;   in Loop: Header=BB220_678 Depth=1
	v_mov_b64_e32 v[112:113], 0x8000000000000000
	s_mov_b32 s8, exec_lo
	v_cmpx_ne_u16_e32 0x80, v6
	s_cbranch_execz .LBB220_999
; %bb.994:                              ;   in Loop: Header=BB220_678 Depth=1
	v_and_b32_e32 v6, 0xffff, v6
	v_mov_b64_e32 v[112:113], 0x7f80000100000000
	s_mov_b32 s9, exec_lo
	s_delay_alu instid0(VALU_DEP_2) | instskip(NEXT) | instid1(VALU_DEP_1)
	v_and_b32_e32 v116, 0x7f, v6
	v_cmpx_ne_u32_e32 0x7f, v116
	s_cbranch_execz .LBB220_998
; %bb.995:                              ;   in Loop: Header=BB220_678 Depth=1
	v_dual_lshrrev_b32 v112, 3, v116 :: v_dual_bitop2_b32 v6, 7, v6 bitop3:0x40
	s_mov_b32 s16, exec_lo
	v_cmpx_gt_u32_e32 8, v116
; %bb.996:                              ;   in Loop: Header=BB220_678 Depth=1
	s_delay_alu instid0(VALU_DEP_2) | instskip(NEXT) | instid1(VALU_DEP_1)
	v_clz_i32_u32_e32 v36, v6
	v_min_u32_e32 v36, 32, v36
	s_delay_alu instid0(VALU_DEP_1) | instskip(SKIP_1) | instid1(VALU_DEP_2)
	v_subrev_nc_u32_e32 v37, 28, v36
	v_sub_nc_u32_e32 v112, 29, v36
	v_lshlrev_b64_e32 v[116:117], v37, v[6:7]
	s_delay_alu instid0(VALU_DEP_1)
	v_and_b32_e32 v6, 7, v116
; %bb.997:                              ;   in Loop: Header=BB220_678 Depth=1
	s_or_b32 exec_lo, exec_lo, s16
	s_delay_alu instid0(VALU_DEP_1) | instskip(SKIP_2) | instid1(VALU_DEP_3)
	v_dual_lshlrev_b32 v36, 16, v40 :: v_dual_lshlrev_b32 v6, 20, v6
	v_lshl_add_u32 v37, v112, 23, 0x3c000000
	v_mov_b32_e32 v112, v7
	v_and_b32_e32 v36, 0x80000000, v36
	s_delay_alu instid0(VALU_DEP_1)
	v_or3_b32 v113, v6, v36, v37
.LBB220_998:                            ;   in Loop: Header=BB220_678 Depth=1
	s_or_b32 exec_lo, exec_lo, s9
.LBB220_999:                            ;   in Loop: Header=BB220_678 Depth=1
	s_delay_alu instid0(SALU_CYCLE_1)
	s_or_b32 exec_lo, exec_lo, s8
.LBB220_1000:                           ;   in Loop: Header=BB220_678 Depth=1
	s_delay_alu instid0(SALU_CYCLE_1) | instskip(SKIP_4) | instid1(VALU_DEP_3)
	s_or_b32 exec_lo, exec_lo, s3
	v_lshrrev_b32_e32 v41, 16, v40
	v_mov_b64_e32 v[116:117], 0
	v_mov_b64_e32 v[118:119], 0
	s_mov_b32 s3, exec_lo
	v_and_b32_e32 v6, 0xff, v41
	s_delay_alu instid0(VALU_DEP_1)
	v_cmpx_ne_u16_e32 0, v6
	s_cbranch_execz .LBB220_1008
; %bb.1001:                             ;   in Loop: Header=BB220_678 Depth=1
	v_mov_b64_e32 v[118:119], 0x80000000
	s_mov_b32 s8, exec_lo
	v_cmpx_ne_u16_e32 0x80, v6
	s_cbranch_execz .LBB220_1007
; %bb.1002:                             ;   in Loop: Header=BB220_678 Depth=1
	v_mov_b64_e32 v[118:119], 0x7f800001
	v_bfe_u32 v42, v40, 16, 7
	s_mov_b32 s9, exec_lo
	s_delay_alu instid0(VALU_DEP_1)
	v_cmpx_ne_u32_e32 0x7f, v42
	s_cbranch_execz .LBB220_1006
; %bb.1003:                             ;   in Loop: Header=BB220_678 Depth=1
	v_dual_lshrrev_b32 v118, 3, v42 :: v_dual_bitop2_b32 v6, 7, v41 bitop3:0x40
	s_mov_b32 s16, exec_lo
	v_cmpx_gt_u32_e32 8, v42
; %bb.1004:                             ;   in Loop: Header=BB220_678 Depth=1
	s_delay_alu instid0(VALU_DEP_2) | instskip(NEXT) | instid1(VALU_DEP_1)
	v_clz_i32_u32_e32 v36, v6
	v_min_u32_e32 v36, 32, v36
	s_delay_alu instid0(VALU_DEP_1) | instskip(NEXT) | instid1(VALU_DEP_1)
	v_subrev_nc_u32_e32 v37, 28, v36
	v_lshlrev_b64_e32 v[42:43], v37, v[6:7]
	s_delay_alu instid0(VALU_DEP_1)
	v_dual_sub_nc_u32 v118, 29, v36 :: v_dual_bitop2_b32 v6, 7, v42 bitop3:0x40
; %bb.1005:                             ;   in Loop: Header=BB220_678 Depth=1
	s_or_b32 exec_lo, exec_lo, s16
	s_delay_alu instid0(VALU_DEP_1) | instskip(NEXT) | instid1(VALU_DEP_2)
	v_dual_lshlrev_b32 v36, 24, v41 :: v_dual_lshlrev_b32 v6, 20, v6
	v_lshl_add_u32 v37, v118, 23, 0x3c000000
	s_delay_alu instid0(VALU_DEP_2) | instskip(NEXT) | instid1(VALU_DEP_1)
	v_and_b32_e32 v36, 0x80000000, v36
	v_or3_b32 v6, v6, v36, v37
	s_delay_alu instid0(VALU_DEP_1)
	v_mov_b64_e32 v[118:119], v[6:7]
.LBB220_1006:                           ;   in Loop: Header=BB220_678 Depth=1
	s_or_b32 exec_lo, exec_lo, s9
.LBB220_1007:                           ;   in Loop: Header=BB220_678 Depth=1
	s_delay_alu instid0(SALU_CYCLE_1)
	s_or_b32 exec_lo, exec_lo, s8
.LBB220_1008:                           ;   in Loop: Header=BB220_678 Depth=1
	s_delay_alu instid0(SALU_CYCLE_1) | instskip(NEXT) | instid1(SALU_CYCLE_1)
	s_or_b32 exec_lo, exec_lo, s3
	s_mov_b32 s3, exec_lo
	v_cmpx_lt_u32_e32 0xffffff, v40
	s_cbranch_execz .LBB220_1016
; %bb.1009:                             ;   in Loop: Header=BB220_678 Depth=1
	v_mov_b64_e32 v[116:117], 0x8000000000000000
	v_lshrrev_b32_e32 v41, 24, v40
	s_mov_b32 s8, exec_lo
	s_delay_alu instid0(VALU_DEP_1)
	v_cmpx_ne_u32_e32 0x80, v41
	s_cbranch_execz .LBB220_1015
; %bb.1010:                             ;   in Loop: Header=BB220_678 Depth=1
	v_mov_b64_e32 v[116:117], 0x7f80000100000000
	v_bfe_u32 v40, v40, 24, 7
	s_mov_b32 s9, exec_lo
	s_delay_alu instid0(VALU_DEP_1)
	v_cmpx_ne_u32_e32 0x7f, v40
	s_cbranch_execz .LBB220_1014
; %bb.1011:                             ;   in Loop: Header=BB220_678 Depth=1
	v_dual_lshrrev_b32 v116, 3, v40 :: v_dual_bitop2_b32 v6, 7, v41 bitop3:0x40
	s_mov_b32 s16, exec_lo
	v_cmpx_gt_u32_e32 8, v40
; %bb.1012:                             ;   in Loop: Header=BB220_678 Depth=1
	s_delay_alu instid0(VALU_DEP_2) | instskip(NEXT) | instid1(VALU_DEP_1)
	v_clz_i32_u32_e32 v36, v6
	v_min_u32_e32 v36, 32, v36
	s_delay_alu instid0(VALU_DEP_1) | instskip(NEXT) | instid1(VALU_DEP_1)
	v_subrev_nc_u32_e32 v37, 28, v36
	v_lshlrev_b64_e32 v[42:43], v37, v[6:7]
	s_delay_alu instid0(VALU_DEP_1)
	v_dual_sub_nc_u32 v116, 29, v36 :: v_dual_bitop2_b32 v6, 7, v42 bitop3:0x40
; %bb.1013:                             ;   in Loop: Header=BB220_678 Depth=1
	s_or_b32 exec_lo, exec_lo, s16
	s_delay_alu instid0(VALU_DEP_1) | instskip(NEXT) | instid1(VALU_DEP_2)
	v_dual_lshlrev_b32 v36, 24, v41 :: v_dual_lshlrev_b32 v6, 20, v6
	v_lshl_add_u32 v37, v116, 23, 0x3c000000
	v_mov_b32_e32 v116, v7
	s_delay_alu instid0(VALU_DEP_3) | instskip(NEXT) | instid1(VALU_DEP_1)
	v_and_b32_e32 v36, 0x80000000, v36
	v_or3_b32 v117, v6, v36, v37
.LBB220_1014:                           ;   in Loop: Header=BB220_678 Depth=1
	s_or_b32 exec_lo, exec_lo, s9
.LBB220_1015:                           ;   in Loop: Header=BB220_678 Depth=1
	s_delay_alu instid0(SALU_CYCLE_1)
	s_or_b32 exec_lo, exec_lo, s8
.LBB220_1016:                           ;   in Loop: Header=BB220_678 Depth=1
	s_delay_alu instid0(SALU_CYCLE_1) | instskip(SKIP_4) | instid1(VALU_DEP_3)
	s_or_b32 exec_lo, exec_lo, s3
	v_or_b32_e32 v113, v113, v115
	v_or_b32_e32 v112, v112, v114
	;; [unrolled: 1-line block ×4, first 2 shown]
	v_pk_mul_f32 v[114:115], v[22:23], v[112:113]
	s_delay_alu instid0(VALU_DEP_2)
	v_pk_mul_f32 v[112:113], v[22:23], v[116:117]
	s_and_saveexec_b32 s3, vcc_lo
	s_cbranch_execz .LBB220_1018
; %bb.1017:                             ;   in Loop: Header=BB220_678 Depth=1
	v_cmp_lt_i32_e64 s0, v123, v16
	s_delay_alu instid0(VALU_DEP_1) | instskip(SKIP_1) | instid1(VALU_DEP_1)
	v_cndmask_b32_e64 v114, 0, v114, s0
	v_cmp_lt_i32_e64 s0, v17, v16
	v_cndmask_b32_e64 v115, 0, v115, s0
	v_cmp_lt_i32_e64 s0, v109, v16
	s_delay_alu instid0(VALU_DEP_1) | instskip(SKIP_1) | instid1(VALU_DEP_1)
	v_cndmask_b32_e64 v112, 0, v112, s0
	v_cmp_lt_i32_e64 s0, v108, v16
	v_cndmask_b32_e64 v113, 0, v113, s0
.LBB220_1018:                           ;   in Loop: Header=BB220_678 Depth=1
	s_or_b32 exec_lo, exec_lo, s3
	flat_load_b32 v44, v[50:51] offset:1280
	v_mov_b64_e32 v[116:117], 0
	v_mov_b64_e32 v[118:119], 0
	s_mov_b32 s3, exec_lo
	s_wait_loadcnt_dscnt 0x0
	v_and_b32_e32 v6, 0xff, v44
	s_wait_xcnt 0x0
	s_delay_alu instid0(VALU_DEP_1)
	v_cmpx_ne_u16_e32 0, v6
	s_cbranch_execz .LBB220_1026
; %bb.1019:                             ;   in Loop: Header=BB220_678 Depth=1
	v_mov_b64_e32 v[118:119], 0x80000000
	s_mov_b32 s8, exec_lo
	v_cmpx_ne_u16_e32 0x80, v6
	s_cbranch_execz .LBB220_1025
; %bb.1020:                             ;   in Loop: Header=BB220_678 Depth=1
	v_mov_b64_e32 v[118:119], 0x7f800001
	v_and_b32_e32 v40, 0x7f, v44
	s_mov_b32 s9, exec_lo
	s_delay_alu instid0(VALU_DEP_1)
	v_cmpx_ne_u32_e32 0x7f, v40
	s_cbranch_execz .LBB220_1024
; %bb.1021:                             ;   in Loop: Header=BB220_678 Depth=1
	v_and_b32_e32 v6, 7, v44
	v_lshrrev_b32_e32 v118, 3, v40
	s_mov_b32 s16, exec_lo
	v_cmpx_gt_u32_e32 8, v40
; %bb.1022:                             ;   in Loop: Header=BB220_678 Depth=1
	s_delay_alu instid0(VALU_DEP_3) | instskip(NEXT) | instid1(VALU_DEP_1)
	v_clz_i32_u32_e32 v36, v6
	v_min_u32_e32 v36, 32, v36
	s_delay_alu instid0(VALU_DEP_1) | instskip(SKIP_1) | instid1(VALU_DEP_2)
	v_subrev_nc_u32_e32 v37, 28, v36
	v_sub_nc_u32_e32 v118, 29, v36
	v_lshlrev_b64_e32 v[40:41], v37, v[6:7]
	s_delay_alu instid0(VALU_DEP_1)
	v_and_b32_e32 v6, 7, v40
; %bb.1023:                             ;   in Loop: Header=BB220_678 Depth=1
	s_or_b32 exec_lo, exec_lo, s16
	s_delay_alu instid0(VALU_DEP_1) | instskip(SKIP_1) | instid1(VALU_DEP_2)
	v_dual_lshlrev_b32 v36, 24, v44 :: v_dual_lshlrev_b32 v6, 20, v6
	v_lshl_add_u32 v37, v118, 23, 0x3c000000
	v_and_b32_e32 v36, 0x80000000, v36
	s_delay_alu instid0(VALU_DEP_1) | instskip(NEXT) | instid1(VALU_DEP_1)
	v_or3_b32 v6, v6, v36, v37
	v_mov_b64_e32 v[118:119], v[6:7]
.LBB220_1024:                           ;   in Loop: Header=BB220_678 Depth=1
	s_or_b32 exec_lo, exec_lo, s9
.LBB220_1025:                           ;   in Loop: Header=BB220_678 Depth=1
	s_delay_alu instid0(SALU_CYCLE_1)
	s_or_b32 exec_lo, exec_lo, s8
.LBB220_1026:                           ;   in Loop: Header=BB220_678 Depth=1
	s_delay_alu instid0(SALU_CYCLE_1) | instskip(SKIP_2) | instid1(VALU_DEP_1)
	s_or_b32 exec_lo, exec_lo, s3
	v_lshrrev_b16 v6, 8, v44
	s_mov_b32 s3, exec_lo
	v_cmpx_ne_u16_e32 0, v6
	s_cbranch_execz .LBB220_1034
; %bb.1027:                             ;   in Loop: Header=BB220_678 Depth=1
	v_mov_b64_e32 v[116:117], 0x8000000000000000
	s_mov_b32 s8, exec_lo
	v_cmpx_ne_u16_e32 0x80, v6
	s_cbranch_execz .LBB220_1033
; %bb.1028:                             ;   in Loop: Header=BB220_678 Depth=1
	v_and_b32_e32 v6, 0xffff, v6
	v_mov_b64_e32 v[116:117], 0x7f80000100000000
	s_mov_b32 s9, exec_lo
	s_delay_alu instid0(VALU_DEP_2) | instskip(NEXT) | instid1(VALU_DEP_1)
	v_and_b32_e32 v40, 0x7f, v6
	v_cmpx_ne_u32_e32 0x7f, v40
	s_cbranch_execz .LBB220_1032
; %bb.1029:                             ;   in Loop: Header=BB220_678 Depth=1
	v_dual_lshrrev_b32 v116, 3, v40 :: v_dual_bitop2_b32 v6, 7, v6 bitop3:0x40
	s_mov_b32 s16, exec_lo
	v_cmpx_gt_u32_e32 8, v40
; %bb.1030:                             ;   in Loop: Header=BB220_678 Depth=1
	s_delay_alu instid0(VALU_DEP_2) | instskip(NEXT) | instid1(VALU_DEP_1)
	v_clz_i32_u32_e32 v36, v6
	v_min_u32_e32 v36, 32, v36
	s_delay_alu instid0(VALU_DEP_1) | instskip(SKIP_1) | instid1(VALU_DEP_2)
	v_subrev_nc_u32_e32 v37, 28, v36
	v_sub_nc_u32_e32 v116, 29, v36
	v_lshlrev_b64_e32 v[40:41], v37, v[6:7]
	s_delay_alu instid0(VALU_DEP_1)
	v_and_b32_e32 v6, 7, v40
; %bb.1031:                             ;   in Loop: Header=BB220_678 Depth=1
	s_or_b32 exec_lo, exec_lo, s16
	s_delay_alu instid0(VALU_DEP_1) | instskip(SKIP_2) | instid1(VALU_DEP_3)
	v_dual_lshlrev_b32 v36, 16, v44 :: v_dual_lshlrev_b32 v6, 20, v6
	v_lshl_add_u32 v37, v116, 23, 0x3c000000
	v_mov_b32_e32 v116, v7
	v_and_b32_e32 v36, 0x80000000, v36
	s_delay_alu instid0(VALU_DEP_1)
	v_or3_b32 v117, v6, v36, v37
.LBB220_1032:                           ;   in Loop: Header=BB220_678 Depth=1
	s_or_b32 exec_lo, exec_lo, s9
.LBB220_1033:                           ;   in Loop: Header=BB220_678 Depth=1
	s_delay_alu instid0(SALU_CYCLE_1)
	s_or_b32 exec_lo, exec_lo, s8
.LBB220_1034:                           ;   in Loop: Header=BB220_678 Depth=1
	s_delay_alu instid0(SALU_CYCLE_1) | instskip(SKIP_4) | instid1(VALU_DEP_3)
	s_or_b32 exec_lo, exec_lo, s3
	v_lshrrev_b32_e32 v45, 16, v44
	v_mov_b64_e32 v[40:41], 0
	v_mov_b64_e32 v[42:43], 0
	s_mov_b32 s3, exec_lo
	v_and_b32_e32 v6, 0xff, v45
	s_delay_alu instid0(VALU_DEP_1)
	v_cmpx_ne_u16_e32 0, v6
	s_cbranch_execz .LBB220_1042
; %bb.1035:                             ;   in Loop: Header=BB220_678 Depth=1
	v_mov_b64_e32 v[42:43], 0x80000000
	s_mov_b32 s8, exec_lo
	v_cmpx_ne_u16_e32 0x80, v6
	s_cbranch_execz .LBB220_1041
; %bb.1036:                             ;   in Loop: Header=BB220_678 Depth=1
	v_mov_b64_e32 v[42:43], 0x7f800001
	v_bfe_u32 v46, v44, 16, 7
	s_mov_b32 s9, exec_lo
	s_delay_alu instid0(VALU_DEP_1)
	v_cmpx_ne_u32_e32 0x7f, v46
	s_cbranch_execz .LBB220_1040
; %bb.1037:                             ;   in Loop: Header=BB220_678 Depth=1
	v_dual_lshrrev_b32 v42, 3, v46 :: v_dual_bitop2_b32 v6, 7, v45 bitop3:0x40
	s_mov_b32 s16, exec_lo
	v_cmpx_gt_u32_e32 8, v46
; %bb.1038:                             ;   in Loop: Header=BB220_678 Depth=1
	s_delay_alu instid0(VALU_DEP_2) | instskip(NEXT) | instid1(VALU_DEP_1)
	v_clz_i32_u32_e32 v36, v6
	v_min_u32_e32 v36, 32, v36
	s_delay_alu instid0(VALU_DEP_1) | instskip(NEXT) | instid1(VALU_DEP_1)
	v_subrev_nc_u32_e32 v37, 28, v36
	v_lshlrev_b64_e32 v[46:47], v37, v[6:7]
	s_delay_alu instid0(VALU_DEP_1)
	v_dual_sub_nc_u32 v42, 29, v36 :: v_dual_bitop2_b32 v6, 7, v46 bitop3:0x40
; %bb.1039:                             ;   in Loop: Header=BB220_678 Depth=1
	s_or_b32 exec_lo, exec_lo, s16
	s_delay_alu instid0(VALU_DEP_1) | instskip(NEXT) | instid1(VALU_DEP_2)
	v_dual_lshlrev_b32 v36, 24, v45 :: v_dual_lshlrev_b32 v6, 20, v6
	v_lshl_add_u32 v37, v42, 23, 0x3c000000
	s_delay_alu instid0(VALU_DEP_2) | instskip(NEXT) | instid1(VALU_DEP_1)
	v_and_b32_e32 v36, 0x80000000, v36
	v_or3_b32 v6, v6, v36, v37
	s_delay_alu instid0(VALU_DEP_1)
	v_mov_b64_e32 v[42:43], v[6:7]
.LBB220_1040:                           ;   in Loop: Header=BB220_678 Depth=1
	s_or_b32 exec_lo, exec_lo, s9
.LBB220_1041:                           ;   in Loop: Header=BB220_678 Depth=1
	s_delay_alu instid0(SALU_CYCLE_1)
	s_or_b32 exec_lo, exec_lo, s8
.LBB220_1042:                           ;   in Loop: Header=BB220_678 Depth=1
	s_delay_alu instid0(SALU_CYCLE_1) | instskip(NEXT) | instid1(SALU_CYCLE_1)
	s_or_b32 exec_lo, exec_lo, s3
	s_mov_b32 s3, exec_lo
	v_cmpx_lt_u32_e32 0xffffff, v44
	s_cbranch_execz .LBB220_1050
; %bb.1043:                             ;   in Loop: Header=BB220_678 Depth=1
	v_mov_b64_e32 v[40:41], 0x8000000000000000
	v_lshrrev_b32_e32 v45, 24, v44
	s_mov_b32 s8, exec_lo
	s_delay_alu instid0(VALU_DEP_1)
	v_cmpx_ne_u32_e32 0x80, v45
	s_cbranch_execz .LBB220_1049
; %bb.1044:                             ;   in Loop: Header=BB220_678 Depth=1
	v_mov_b64_e32 v[40:41], 0x7f80000100000000
	v_bfe_u32 v44, v44, 24, 7
	s_mov_b32 s9, exec_lo
	s_delay_alu instid0(VALU_DEP_1)
	v_cmpx_ne_u32_e32 0x7f, v44
	s_cbranch_execz .LBB220_1048
; %bb.1045:                             ;   in Loop: Header=BB220_678 Depth=1
	v_dual_lshrrev_b32 v40, 3, v44 :: v_dual_bitop2_b32 v6, 7, v45 bitop3:0x40
	s_mov_b32 s16, exec_lo
	v_cmpx_gt_u32_e32 8, v44
; %bb.1046:                             ;   in Loop: Header=BB220_678 Depth=1
	s_delay_alu instid0(VALU_DEP_2) | instskip(NEXT) | instid1(VALU_DEP_1)
	v_clz_i32_u32_e32 v36, v6
	v_min_u32_e32 v36, 32, v36
	s_delay_alu instid0(VALU_DEP_1) | instskip(NEXT) | instid1(VALU_DEP_1)
	v_subrev_nc_u32_e32 v37, 28, v36
	v_lshlrev_b64_e32 v[46:47], v37, v[6:7]
	s_delay_alu instid0(VALU_DEP_1)
	v_dual_sub_nc_u32 v40, 29, v36 :: v_dual_bitop2_b32 v6, 7, v46 bitop3:0x40
; %bb.1047:                             ;   in Loop: Header=BB220_678 Depth=1
	s_or_b32 exec_lo, exec_lo, s16
	s_delay_alu instid0(VALU_DEP_1) | instskip(NEXT) | instid1(VALU_DEP_2)
	v_dual_lshlrev_b32 v36, 24, v45 :: v_dual_lshlrev_b32 v6, 20, v6
	v_lshl_add_u32 v37, v40, 23, 0x3c000000
	v_mov_b32_e32 v40, v7
	s_delay_alu instid0(VALU_DEP_3) | instskip(NEXT) | instid1(VALU_DEP_1)
	v_and_b32_e32 v36, 0x80000000, v36
	v_or3_b32 v41, v6, v36, v37
.LBB220_1048:                           ;   in Loop: Header=BB220_678 Depth=1
	s_or_b32 exec_lo, exec_lo, s9
.LBB220_1049:                           ;   in Loop: Header=BB220_678 Depth=1
	s_delay_alu instid0(SALU_CYCLE_1)
	s_or_b32 exec_lo, exec_lo, s8
.LBB220_1050:                           ;   in Loop: Header=BB220_678 Depth=1
	s_delay_alu instid0(SALU_CYCLE_1) | instskip(SKIP_4) | instid1(VALU_DEP_3)
	s_or_b32 exec_lo, exec_lo, s3
	v_or_b32_e32 v117, v117, v119
	v_or_b32_e32 v116, v116, v118
	;; [unrolled: 1-line block ×4, first 2 shown]
	v_pk_mul_f32 v[118:119], v[22:23], v[116:117]
	s_delay_alu instid0(VALU_DEP_2)
	v_pk_mul_f32 v[116:117], v[22:23], v[40:41]
	s_and_saveexec_b32 s3, vcc_lo
	s_cbranch_execz .LBB220_1052
; %bb.1051:                             ;   in Loop: Header=BB220_678 Depth=1
	v_cmp_lt_i32_e64 s0, v123, v16
	s_delay_alu instid0(VALU_DEP_1) | instskip(SKIP_1) | instid1(VALU_DEP_1)
	v_cndmask_b32_e64 v118, 0, v118, s0
	v_cmp_lt_i32_e64 s0, v17, v16
	v_cndmask_b32_e64 v119, 0, v119, s0
	v_cmp_lt_i32_e64 s0, v109, v16
	s_delay_alu instid0(VALU_DEP_1) | instskip(SKIP_1) | instid1(VALU_DEP_1)
	v_cndmask_b32_e64 v116, 0, v116, s0
	v_cmp_lt_i32_e64 s0, v108, v16
	v_cndmask_b32_e64 v117, 0, v117, s0
.LBB220_1052:                           ;   in Loop: Header=BB220_678 Depth=1
	s_or_b32 exec_lo, exec_lo, s3
	flat_load_b32 v56, v[50:51] offset:1408
	v_mov_b64_e32 v[40:41], 0
	v_mov_b64_e32 v[42:43], 0
	s_mov_b32 s3, exec_lo
	s_wait_loadcnt_dscnt 0x0
	v_and_b32_e32 v6, 0xff, v56
	s_wait_xcnt 0x0
	s_delay_alu instid0(VALU_DEP_1)
	v_cmpx_ne_u16_e32 0, v6
	s_cbranch_execz .LBB220_1060
; %bb.1053:                             ;   in Loop: Header=BB220_678 Depth=1
	v_mov_b64_e32 v[42:43], 0x80000000
	s_mov_b32 s8, exec_lo
	v_cmpx_ne_u16_e32 0x80, v6
	s_cbranch_execz .LBB220_1059
; %bb.1054:                             ;   in Loop: Header=BB220_678 Depth=1
	v_mov_b64_e32 v[42:43], 0x7f800001
	v_and_b32_e32 v44, 0x7f, v56
	s_mov_b32 s9, exec_lo
	s_delay_alu instid0(VALU_DEP_1)
	v_cmpx_ne_u32_e32 0x7f, v44
	s_cbranch_execz .LBB220_1058
; %bb.1055:                             ;   in Loop: Header=BB220_678 Depth=1
	v_and_b32_e32 v6, 7, v56
	v_lshrrev_b32_e32 v42, 3, v44
	s_mov_b32 s16, exec_lo
	v_cmpx_gt_u32_e32 8, v44
; %bb.1056:                             ;   in Loop: Header=BB220_678 Depth=1
	s_delay_alu instid0(VALU_DEP_3) | instskip(NEXT) | instid1(VALU_DEP_1)
	v_clz_i32_u32_e32 v36, v6
	v_min_u32_e32 v36, 32, v36
	s_delay_alu instid0(VALU_DEP_1) | instskip(SKIP_1) | instid1(VALU_DEP_2)
	v_subrev_nc_u32_e32 v37, 28, v36
	v_sub_nc_u32_e32 v42, 29, v36
	v_lshlrev_b64_e32 v[44:45], v37, v[6:7]
	s_delay_alu instid0(VALU_DEP_1)
	v_and_b32_e32 v6, 7, v44
; %bb.1057:                             ;   in Loop: Header=BB220_678 Depth=1
	s_or_b32 exec_lo, exec_lo, s16
	s_delay_alu instid0(VALU_DEP_1) | instskip(SKIP_1) | instid1(VALU_DEP_2)
	v_dual_lshlrev_b32 v36, 24, v56 :: v_dual_lshlrev_b32 v6, 20, v6
	v_lshl_add_u32 v37, v42, 23, 0x3c000000
	v_and_b32_e32 v36, 0x80000000, v36
	s_delay_alu instid0(VALU_DEP_1) | instskip(NEXT) | instid1(VALU_DEP_1)
	v_or3_b32 v6, v6, v36, v37
	v_mov_b64_e32 v[42:43], v[6:7]
.LBB220_1058:                           ;   in Loop: Header=BB220_678 Depth=1
	s_or_b32 exec_lo, exec_lo, s9
.LBB220_1059:                           ;   in Loop: Header=BB220_678 Depth=1
	s_delay_alu instid0(SALU_CYCLE_1)
	s_or_b32 exec_lo, exec_lo, s8
.LBB220_1060:                           ;   in Loop: Header=BB220_678 Depth=1
	s_delay_alu instid0(SALU_CYCLE_1) | instskip(SKIP_2) | instid1(VALU_DEP_1)
	s_or_b32 exec_lo, exec_lo, s3
	v_lshrrev_b16 v6, 8, v56
	s_mov_b32 s3, exec_lo
	v_cmpx_ne_u16_e32 0, v6
	s_cbranch_execz .LBB220_1068
; %bb.1061:                             ;   in Loop: Header=BB220_678 Depth=1
	v_mov_b64_e32 v[40:41], 0x8000000000000000
	s_mov_b32 s8, exec_lo
	v_cmpx_ne_u16_e32 0x80, v6
	s_cbranch_execz .LBB220_1067
; %bb.1062:                             ;   in Loop: Header=BB220_678 Depth=1
	v_and_b32_e32 v6, 0xffff, v6
	v_mov_b64_e32 v[40:41], 0x7f80000100000000
	s_mov_b32 s9, exec_lo
	s_delay_alu instid0(VALU_DEP_2) | instskip(NEXT) | instid1(VALU_DEP_1)
	v_and_b32_e32 v44, 0x7f, v6
	v_cmpx_ne_u32_e32 0x7f, v44
	s_cbranch_execz .LBB220_1066
; %bb.1063:                             ;   in Loop: Header=BB220_678 Depth=1
	v_dual_lshrrev_b32 v40, 3, v44 :: v_dual_bitop2_b32 v6, 7, v6 bitop3:0x40
	s_mov_b32 s16, exec_lo
	v_cmpx_gt_u32_e32 8, v44
; %bb.1064:                             ;   in Loop: Header=BB220_678 Depth=1
	s_delay_alu instid0(VALU_DEP_2) | instskip(NEXT) | instid1(VALU_DEP_1)
	v_clz_i32_u32_e32 v36, v6
	v_min_u32_e32 v36, 32, v36
	s_delay_alu instid0(VALU_DEP_1) | instskip(SKIP_1) | instid1(VALU_DEP_2)
	v_subrev_nc_u32_e32 v37, 28, v36
	v_sub_nc_u32_e32 v40, 29, v36
	v_lshlrev_b64_e32 v[44:45], v37, v[6:7]
	s_delay_alu instid0(VALU_DEP_1)
	v_and_b32_e32 v6, 7, v44
; %bb.1065:                             ;   in Loop: Header=BB220_678 Depth=1
	s_or_b32 exec_lo, exec_lo, s16
	s_delay_alu instid0(VALU_DEP_1) | instskip(SKIP_2) | instid1(VALU_DEP_3)
	v_dual_lshlrev_b32 v36, 16, v56 :: v_dual_lshlrev_b32 v6, 20, v6
	v_lshl_add_u32 v37, v40, 23, 0x3c000000
	v_mov_b32_e32 v40, v7
	v_and_b32_e32 v36, 0x80000000, v36
	s_delay_alu instid0(VALU_DEP_1)
	v_or3_b32 v41, v6, v36, v37
.LBB220_1066:                           ;   in Loop: Header=BB220_678 Depth=1
	s_or_b32 exec_lo, exec_lo, s9
.LBB220_1067:                           ;   in Loop: Header=BB220_678 Depth=1
	s_delay_alu instid0(SALU_CYCLE_1)
	s_or_b32 exec_lo, exec_lo, s8
.LBB220_1068:                           ;   in Loop: Header=BB220_678 Depth=1
	s_delay_alu instid0(SALU_CYCLE_1) | instskip(SKIP_4) | instid1(VALU_DEP_3)
	s_or_b32 exec_lo, exec_lo, s3
	v_lshrrev_b32_e32 v57, 16, v56
	v_mov_b64_e32 v[44:45], 0
	v_mov_b64_e32 v[46:47], 0
	s_mov_b32 s3, exec_lo
	v_and_b32_e32 v6, 0xff, v57
	s_delay_alu instid0(VALU_DEP_1)
	v_cmpx_ne_u16_e32 0, v6
	s_cbranch_execz .LBB220_1076
; %bb.1069:                             ;   in Loop: Header=BB220_678 Depth=1
	v_mov_b64_e32 v[46:47], 0x80000000
	s_mov_b32 s8, exec_lo
	v_cmpx_ne_u16_e32 0x80, v6
	s_cbranch_execz .LBB220_1075
; %bb.1070:                             ;   in Loop: Header=BB220_678 Depth=1
	v_mov_b64_e32 v[46:47], 0x7f800001
	v_bfe_u32 v58, v56, 16, 7
	s_mov_b32 s9, exec_lo
	s_delay_alu instid0(VALU_DEP_1)
	v_cmpx_ne_u32_e32 0x7f, v58
	s_cbranch_execz .LBB220_1074
; %bb.1071:                             ;   in Loop: Header=BB220_678 Depth=1
	v_dual_lshrrev_b32 v46, 3, v58 :: v_dual_bitop2_b32 v6, 7, v57 bitop3:0x40
	s_mov_b32 s16, exec_lo
	v_cmpx_gt_u32_e32 8, v58
; %bb.1072:                             ;   in Loop: Header=BB220_678 Depth=1
	s_delay_alu instid0(VALU_DEP_2) | instskip(NEXT) | instid1(VALU_DEP_1)
	v_clz_i32_u32_e32 v36, v6
	v_min_u32_e32 v36, 32, v36
	s_delay_alu instid0(VALU_DEP_1) | instskip(NEXT) | instid1(VALU_DEP_1)
	v_subrev_nc_u32_e32 v37, 28, v36
	v_lshlrev_b64_e32 v[58:59], v37, v[6:7]
	s_delay_alu instid0(VALU_DEP_1)
	v_dual_sub_nc_u32 v46, 29, v36 :: v_dual_bitop2_b32 v6, 7, v58 bitop3:0x40
; %bb.1073:                             ;   in Loop: Header=BB220_678 Depth=1
	s_or_b32 exec_lo, exec_lo, s16
	s_delay_alu instid0(VALU_DEP_1) | instskip(NEXT) | instid1(VALU_DEP_2)
	v_dual_lshlrev_b32 v36, 24, v57 :: v_dual_lshlrev_b32 v6, 20, v6
	v_lshl_add_u32 v37, v46, 23, 0x3c000000
	s_delay_alu instid0(VALU_DEP_2) | instskip(NEXT) | instid1(VALU_DEP_1)
	v_and_b32_e32 v36, 0x80000000, v36
	v_or3_b32 v6, v6, v36, v37
	s_delay_alu instid0(VALU_DEP_1)
	v_mov_b64_e32 v[46:47], v[6:7]
.LBB220_1074:                           ;   in Loop: Header=BB220_678 Depth=1
	s_or_b32 exec_lo, exec_lo, s9
.LBB220_1075:                           ;   in Loop: Header=BB220_678 Depth=1
	s_delay_alu instid0(SALU_CYCLE_1)
	s_or_b32 exec_lo, exec_lo, s8
.LBB220_1076:                           ;   in Loop: Header=BB220_678 Depth=1
	s_delay_alu instid0(SALU_CYCLE_1) | instskip(NEXT) | instid1(SALU_CYCLE_1)
	s_or_b32 exec_lo, exec_lo, s3
	s_mov_b32 s3, exec_lo
	v_cmpx_lt_u32_e32 0xffffff, v56
	s_cbranch_execz .LBB220_1084
; %bb.1077:                             ;   in Loop: Header=BB220_678 Depth=1
	v_mov_b64_e32 v[44:45], 0x8000000000000000
	v_lshrrev_b32_e32 v57, 24, v56
	s_mov_b32 s8, exec_lo
	s_delay_alu instid0(VALU_DEP_1)
	v_cmpx_ne_u32_e32 0x80, v57
	s_cbranch_execz .LBB220_1083
; %bb.1078:                             ;   in Loop: Header=BB220_678 Depth=1
	v_mov_b64_e32 v[44:45], 0x7f80000100000000
	v_bfe_u32 v56, v56, 24, 7
	s_mov_b32 s9, exec_lo
	s_delay_alu instid0(VALU_DEP_1)
	v_cmpx_ne_u32_e32 0x7f, v56
	s_cbranch_execz .LBB220_1082
; %bb.1079:                             ;   in Loop: Header=BB220_678 Depth=1
	v_dual_lshrrev_b32 v44, 3, v56 :: v_dual_bitop2_b32 v6, 7, v57 bitop3:0x40
	s_mov_b32 s16, exec_lo
	v_cmpx_gt_u32_e32 8, v56
; %bb.1080:                             ;   in Loop: Header=BB220_678 Depth=1
	s_delay_alu instid0(VALU_DEP_2) | instskip(NEXT) | instid1(VALU_DEP_1)
	v_clz_i32_u32_e32 v36, v6
	v_min_u32_e32 v36, 32, v36
	s_delay_alu instid0(VALU_DEP_1) | instskip(NEXT) | instid1(VALU_DEP_1)
	v_subrev_nc_u32_e32 v37, 28, v36
	v_lshlrev_b64_e32 v[58:59], v37, v[6:7]
	s_delay_alu instid0(VALU_DEP_1)
	v_dual_sub_nc_u32 v44, 29, v36 :: v_dual_bitop2_b32 v6, 7, v58 bitop3:0x40
; %bb.1081:                             ;   in Loop: Header=BB220_678 Depth=1
	s_or_b32 exec_lo, exec_lo, s16
	s_delay_alu instid0(VALU_DEP_1) | instskip(NEXT) | instid1(VALU_DEP_2)
	v_dual_lshlrev_b32 v36, 24, v57 :: v_dual_lshlrev_b32 v6, 20, v6
	v_lshl_add_u32 v37, v44, 23, 0x3c000000
	v_mov_b32_e32 v44, v7
	s_delay_alu instid0(VALU_DEP_3) | instskip(NEXT) | instid1(VALU_DEP_1)
	v_and_b32_e32 v36, 0x80000000, v36
	v_or3_b32 v45, v6, v36, v37
.LBB220_1082:                           ;   in Loop: Header=BB220_678 Depth=1
	s_or_b32 exec_lo, exec_lo, s9
.LBB220_1083:                           ;   in Loop: Header=BB220_678 Depth=1
	s_delay_alu instid0(SALU_CYCLE_1)
	s_or_b32 exec_lo, exec_lo, s8
.LBB220_1084:                           ;   in Loop: Header=BB220_678 Depth=1
	s_delay_alu instid0(SALU_CYCLE_1) | instskip(SKIP_4) | instid1(VALU_DEP_3)
	s_or_b32 exec_lo, exec_lo, s3
	v_or_b32_e32 v41, v41, v43
	v_or_b32_e32 v40, v40, v42
	;; [unrolled: 1-line block ×4, first 2 shown]
	v_pk_mul_f32 v[42:43], v[22:23], v[40:41]
	s_delay_alu instid0(VALU_DEP_2)
	v_pk_mul_f32 v[40:41], v[22:23], v[44:45]
	s_and_saveexec_b32 s3, vcc_lo
	s_cbranch_execz .LBB220_1086
; %bb.1085:                             ;   in Loop: Header=BB220_678 Depth=1
	v_cmp_lt_i32_e64 s0, v123, v16
	s_delay_alu instid0(VALU_DEP_1) | instskip(SKIP_1) | instid1(VALU_DEP_1)
	v_cndmask_b32_e64 v42, 0, v42, s0
	v_cmp_lt_i32_e64 s0, v17, v16
	v_cndmask_b32_e64 v43, 0, v43, s0
	v_cmp_lt_i32_e64 s0, v109, v16
	s_delay_alu instid0(VALU_DEP_1) | instskip(SKIP_1) | instid1(VALU_DEP_1)
	v_cndmask_b32_e64 v40, 0, v40, s0
	v_cmp_lt_i32_e64 s0, v108, v16
	v_cndmask_b32_e64 v41, 0, v41, s0
.LBB220_1086:                           ;   in Loop: Header=BB220_678 Depth=1
	s_or_b32 exec_lo, exec_lo, s3
	flat_load_b32 v60, v[50:51] offset:1536
	v_mov_b64_e32 v[44:45], 0
	v_mov_b64_e32 v[46:47], 0
	s_mov_b32 s3, exec_lo
	s_wait_loadcnt_dscnt 0x0
	v_and_b32_e32 v6, 0xff, v60
	s_wait_xcnt 0x0
	s_delay_alu instid0(VALU_DEP_1)
	v_cmpx_ne_u16_e32 0, v6
	s_cbranch_execz .LBB220_1094
; %bb.1087:                             ;   in Loop: Header=BB220_678 Depth=1
	v_mov_b64_e32 v[46:47], 0x80000000
	s_mov_b32 s8, exec_lo
	v_cmpx_ne_u16_e32 0x80, v6
	s_cbranch_execz .LBB220_1093
; %bb.1088:                             ;   in Loop: Header=BB220_678 Depth=1
	v_mov_b64_e32 v[46:47], 0x7f800001
	v_and_b32_e32 v56, 0x7f, v60
	s_mov_b32 s9, exec_lo
	s_delay_alu instid0(VALU_DEP_1)
	v_cmpx_ne_u32_e32 0x7f, v56
	s_cbranch_execz .LBB220_1092
; %bb.1089:                             ;   in Loop: Header=BB220_678 Depth=1
	v_and_b32_e32 v6, 7, v60
	v_lshrrev_b32_e32 v46, 3, v56
	s_mov_b32 s16, exec_lo
	v_cmpx_gt_u32_e32 8, v56
; %bb.1090:                             ;   in Loop: Header=BB220_678 Depth=1
	s_delay_alu instid0(VALU_DEP_3) | instskip(NEXT) | instid1(VALU_DEP_1)
	v_clz_i32_u32_e32 v36, v6
	v_min_u32_e32 v36, 32, v36
	s_delay_alu instid0(VALU_DEP_1) | instskip(SKIP_1) | instid1(VALU_DEP_2)
	v_subrev_nc_u32_e32 v37, 28, v36
	v_sub_nc_u32_e32 v46, 29, v36
	v_lshlrev_b64_e32 v[56:57], v37, v[6:7]
	s_delay_alu instid0(VALU_DEP_1)
	v_and_b32_e32 v6, 7, v56
; %bb.1091:                             ;   in Loop: Header=BB220_678 Depth=1
	s_or_b32 exec_lo, exec_lo, s16
	s_delay_alu instid0(VALU_DEP_1) | instskip(SKIP_1) | instid1(VALU_DEP_2)
	v_dual_lshlrev_b32 v36, 24, v60 :: v_dual_lshlrev_b32 v6, 20, v6
	v_lshl_add_u32 v37, v46, 23, 0x3c000000
	v_and_b32_e32 v36, 0x80000000, v36
	s_delay_alu instid0(VALU_DEP_1) | instskip(NEXT) | instid1(VALU_DEP_1)
	v_or3_b32 v6, v6, v36, v37
	v_mov_b64_e32 v[46:47], v[6:7]
.LBB220_1092:                           ;   in Loop: Header=BB220_678 Depth=1
	s_or_b32 exec_lo, exec_lo, s9
.LBB220_1093:                           ;   in Loop: Header=BB220_678 Depth=1
	s_delay_alu instid0(SALU_CYCLE_1)
	s_or_b32 exec_lo, exec_lo, s8
.LBB220_1094:                           ;   in Loop: Header=BB220_678 Depth=1
	s_delay_alu instid0(SALU_CYCLE_1) | instskip(SKIP_2) | instid1(VALU_DEP_1)
	s_or_b32 exec_lo, exec_lo, s3
	v_lshrrev_b16 v6, 8, v60
	s_mov_b32 s3, exec_lo
	v_cmpx_ne_u16_e32 0, v6
	s_cbranch_execz .LBB220_1102
; %bb.1095:                             ;   in Loop: Header=BB220_678 Depth=1
	v_mov_b64_e32 v[44:45], 0x8000000000000000
	s_mov_b32 s8, exec_lo
	v_cmpx_ne_u16_e32 0x80, v6
	s_cbranch_execz .LBB220_1101
; %bb.1096:                             ;   in Loop: Header=BB220_678 Depth=1
	v_and_b32_e32 v6, 0xffff, v6
	v_mov_b64_e32 v[44:45], 0x7f80000100000000
	s_mov_b32 s9, exec_lo
	s_delay_alu instid0(VALU_DEP_2) | instskip(NEXT) | instid1(VALU_DEP_1)
	v_and_b32_e32 v56, 0x7f, v6
	v_cmpx_ne_u32_e32 0x7f, v56
	s_cbranch_execz .LBB220_1100
; %bb.1097:                             ;   in Loop: Header=BB220_678 Depth=1
	v_dual_lshrrev_b32 v44, 3, v56 :: v_dual_bitop2_b32 v6, 7, v6 bitop3:0x40
	s_mov_b32 s16, exec_lo
	v_cmpx_gt_u32_e32 8, v56
; %bb.1098:                             ;   in Loop: Header=BB220_678 Depth=1
	s_delay_alu instid0(VALU_DEP_2) | instskip(NEXT) | instid1(VALU_DEP_1)
	v_clz_i32_u32_e32 v36, v6
	v_min_u32_e32 v36, 32, v36
	s_delay_alu instid0(VALU_DEP_1) | instskip(SKIP_1) | instid1(VALU_DEP_2)
	v_subrev_nc_u32_e32 v37, 28, v36
	v_sub_nc_u32_e32 v44, 29, v36
	v_lshlrev_b64_e32 v[56:57], v37, v[6:7]
	s_delay_alu instid0(VALU_DEP_1)
	v_and_b32_e32 v6, 7, v56
; %bb.1099:                             ;   in Loop: Header=BB220_678 Depth=1
	s_or_b32 exec_lo, exec_lo, s16
	s_delay_alu instid0(VALU_DEP_1) | instskip(SKIP_2) | instid1(VALU_DEP_3)
	v_dual_lshlrev_b32 v36, 16, v60 :: v_dual_lshlrev_b32 v6, 20, v6
	v_lshl_add_u32 v37, v44, 23, 0x3c000000
	v_mov_b32_e32 v44, v7
	v_and_b32_e32 v36, 0x80000000, v36
	s_delay_alu instid0(VALU_DEP_1)
	v_or3_b32 v45, v6, v36, v37
.LBB220_1100:                           ;   in Loop: Header=BB220_678 Depth=1
	s_or_b32 exec_lo, exec_lo, s9
.LBB220_1101:                           ;   in Loop: Header=BB220_678 Depth=1
	s_delay_alu instid0(SALU_CYCLE_1)
	s_or_b32 exec_lo, exec_lo, s8
.LBB220_1102:                           ;   in Loop: Header=BB220_678 Depth=1
	s_delay_alu instid0(SALU_CYCLE_1) | instskip(SKIP_4) | instid1(VALU_DEP_3)
	s_or_b32 exec_lo, exec_lo, s3
	v_lshrrev_b32_e32 v61, 16, v60
	v_mov_b64_e32 v[56:57], 0
	v_mov_b64_e32 v[58:59], 0
	s_mov_b32 s3, exec_lo
	v_and_b32_e32 v6, 0xff, v61
	s_delay_alu instid0(VALU_DEP_1)
	v_cmpx_ne_u16_e32 0, v6
	s_cbranch_execz .LBB220_1110
; %bb.1103:                             ;   in Loop: Header=BB220_678 Depth=1
	v_mov_b64_e32 v[58:59], 0x80000000
	s_mov_b32 s8, exec_lo
	v_cmpx_ne_u16_e32 0x80, v6
	s_cbranch_execz .LBB220_1109
; %bb.1104:                             ;   in Loop: Header=BB220_678 Depth=1
	v_mov_b64_e32 v[58:59], 0x7f800001
	v_bfe_u32 v62, v60, 16, 7
	s_mov_b32 s9, exec_lo
	s_delay_alu instid0(VALU_DEP_1)
	v_cmpx_ne_u32_e32 0x7f, v62
	s_cbranch_execz .LBB220_1108
; %bb.1105:                             ;   in Loop: Header=BB220_678 Depth=1
	v_dual_lshrrev_b32 v58, 3, v62 :: v_dual_bitop2_b32 v6, 7, v61 bitop3:0x40
	s_mov_b32 s16, exec_lo
	v_cmpx_gt_u32_e32 8, v62
; %bb.1106:                             ;   in Loop: Header=BB220_678 Depth=1
	s_delay_alu instid0(VALU_DEP_2) | instskip(NEXT) | instid1(VALU_DEP_1)
	v_clz_i32_u32_e32 v36, v6
	v_min_u32_e32 v36, 32, v36
	s_delay_alu instid0(VALU_DEP_1) | instskip(NEXT) | instid1(VALU_DEP_1)
	v_subrev_nc_u32_e32 v37, 28, v36
	v_lshlrev_b64_e32 v[62:63], v37, v[6:7]
	s_delay_alu instid0(VALU_DEP_1)
	v_dual_sub_nc_u32 v58, 29, v36 :: v_dual_bitop2_b32 v6, 7, v62 bitop3:0x40
; %bb.1107:                             ;   in Loop: Header=BB220_678 Depth=1
	s_or_b32 exec_lo, exec_lo, s16
	s_delay_alu instid0(VALU_DEP_1) | instskip(NEXT) | instid1(VALU_DEP_2)
	v_dual_lshlrev_b32 v36, 24, v61 :: v_dual_lshlrev_b32 v6, 20, v6
	v_lshl_add_u32 v37, v58, 23, 0x3c000000
	s_delay_alu instid0(VALU_DEP_2) | instskip(NEXT) | instid1(VALU_DEP_1)
	v_and_b32_e32 v36, 0x80000000, v36
	v_or3_b32 v6, v6, v36, v37
	s_delay_alu instid0(VALU_DEP_1)
	v_mov_b64_e32 v[58:59], v[6:7]
.LBB220_1108:                           ;   in Loop: Header=BB220_678 Depth=1
	s_or_b32 exec_lo, exec_lo, s9
.LBB220_1109:                           ;   in Loop: Header=BB220_678 Depth=1
	s_delay_alu instid0(SALU_CYCLE_1)
	s_or_b32 exec_lo, exec_lo, s8
.LBB220_1110:                           ;   in Loop: Header=BB220_678 Depth=1
	s_delay_alu instid0(SALU_CYCLE_1) | instskip(NEXT) | instid1(SALU_CYCLE_1)
	s_or_b32 exec_lo, exec_lo, s3
	s_mov_b32 s3, exec_lo
	v_cmpx_lt_u32_e32 0xffffff, v60
	s_cbranch_execz .LBB220_1118
; %bb.1111:                             ;   in Loop: Header=BB220_678 Depth=1
	v_mov_b64_e32 v[56:57], 0x8000000000000000
	v_lshrrev_b32_e32 v61, 24, v60
	s_mov_b32 s8, exec_lo
	s_delay_alu instid0(VALU_DEP_1)
	v_cmpx_ne_u32_e32 0x80, v61
	s_cbranch_execz .LBB220_1117
; %bb.1112:                             ;   in Loop: Header=BB220_678 Depth=1
	v_mov_b64_e32 v[56:57], 0x7f80000100000000
	v_bfe_u32 v60, v60, 24, 7
	s_mov_b32 s9, exec_lo
	s_delay_alu instid0(VALU_DEP_1)
	v_cmpx_ne_u32_e32 0x7f, v60
	s_cbranch_execz .LBB220_1116
; %bb.1113:                             ;   in Loop: Header=BB220_678 Depth=1
	v_dual_lshrrev_b32 v56, 3, v60 :: v_dual_bitop2_b32 v6, 7, v61 bitop3:0x40
	s_mov_b32 s16, exec_lo
	v_cmpx_gt_u32_e32 8, v60
; %bb.1114:                             ;   in Loop: Header=BB220_678 Depth=1
	s_delay_alu instid0(VALU_DEP_2) | instskip(NEXT) | instid1(VALU_DEP_1)
	v_clz_i32_u32_e32 v36, v6
	v_min_u32_e32 v36, 32, v36
	s_delay_alu instid0(VALU_DEP_1) | instskip(NEXT) | instid1(VALU_DEP_1)
	v_subrev_nc_u32_e32 v37, 28, v36
	v_lshlrev_b64_e32 v[62:63], v37, v[6:7]
	s_delay_alu instid0(VALU_DEP_1)
	v_dual_sub_nc_u32 v56, 29, v36 :: v_dual_bitop2_b32 v6, 7, v62 bitop3:0x40
; %bb.1115:                             ;   in Loop: Header=BB220_678 Depth=1
	s_or_b32 exec_lo, exec_lo, s16
	s_delay_alu instid0(VALU_DEP_1) | instskip(NEXT) | instid1(VALU_DEP_2)
	v_dual_lshlrev_b32 v36, 24, v61 :: v_dual_lshlrev_b32 v6, 20, v6
	v_lshl_add_u32 v37, v56, 23, 0x3c000000
	v_mov_b32_e32 v56, v7
	s_delay_alu instid0(VALU_DEP_3) | instskip(NEXT) | instid1(VALU_DEP_1)
	v_and_b32_e32 v36, 0x80000000, v36
	v_or3_b32 v57, v6, v36, v37
.LBB220_1116:                           ;   in Loop: Header=BB220_678 Depth=1
	s_or_b32 exec_lo, exec_lo, s9
.LBB220_1117:                           ;   in Loop: Header=BB220_678 Depth=1
	s_delay_alu instid0(SALU_CYCLE_1)
	s_or_b32 exec_lo, exec_lo, s8
.LBB220_1118:                           ;   in Loop: Header=BB220_678 Depth=1
	s_delay_alu instid0(SALU_CYCLE_1) | instskip(SKIP_4) | instid1(VALU_DEP_3)
	s_or_b32 exec_lo, exec_lo, s3
	v_or_b32_e32 v45, v45, v47
	v_or_b32_e32 v44, v44, v46
	v_or_b32_e32 v57, v57, v59
	v_or_b32_e32 v56, v56, v58
	v_pk_mul_f32 v[46:47], v[22:23], v[44:45]
	s_delay_alu instid0(VALU_DEP_2)
	v_pk_mul_f32 v[44:45], v[22:23], v[56:57]
	s_and_saveexec_b32 s3, vcc_lo
	s_cbranch_execz .LBB220_1120
; %bb.1119:                             ;   in Loop: Header=BB220_678 Depth=1
	v_cmp_lt_i32_e64 s0, v123, v16
	s_delay_alu instid0(VALU_DEP_1) | instskip(SKIP_1) | instid1(VALU_DEP_1)
	v_cndmask_b32_e64 v46, 0, v46, s0
	v_cmp_lt_i32_e64 s0, v17, v16
	v_cndmask_b32_e64 v47, 0, v47, s0
	v_cmp_lt_i32_e64 s0, v109, v16
	s_delay_alu instid0(VALU_DEP_1) | instskip(SKIP_1) | instid1(VALU_DEP_1)
	v_cndmask_b32_e64 v44, 0, v44, s0
	v_cmp_lt_i32_e64 s0, v108, v16
	v_cndmask_b32_e64 v45, 0, v45, s0
.LBB220_1120:                           ;   in Loop: Header=BB220_678 Depth=1
	s_or_b32 exec_lo, exec_lo, s3
	flat_load_b32 v72, v[50:51] offset:1664
	v_mov_b64_e32 v[56:57], 0
	v_mov_b64_e32 v[58:59], 0
	s_mov_b32 s3, exec_lo
	s_wait_loadcnt_dscnt 0x0
	v_and_b32_e32 v6, 0xff, v72
	s_wait_xcnt 0x0
	s_delay_alu instid0(VALU_DEP_1)
	v_cmpx_ne_u16_e32 0, v6
	s_cbranch_execz .LBB220_1128
; %bb.1121:                             ;   in Loop: Header=BB220_678 Depth=1
	v_mov_b64_e32 v[58:59], 0x80000000
	s_mov_b32 s8, exec_lo
	v_cmpx_ne_u16_e32 0x80, v6
	s_cbranch_execz .LBB220_1127
; %bb.1122:                             ;   in Loop: Header=BB220_678 Depth=1
	v_mov_b64_e32 v[58:59], 0x7f800001
	v_and_b32_e32 v60, 0x7f, v72
	s_mov_b32 s9, exec_lo
	s_delay_alu instid0(VALU_DEP_1)
	v_cmpx_ne_u32_e32 0x7f, v60
	s_cbranch_execz .LBB220_1126
; %bb.1123:                             ;   in Loop: Header=BB220_678 Depth=1
	v_and_b32_e32 v6, 7, v72
	v_lshrrev_b32_e32 v58, 3, v60
	s_mov_b32 s16, exec_lo
	v_cmpx_gt_u32_e32 8, v60
; %bb.1124:                             ;   in Loop: Header=BB220_678 Depth=1
	s_delay_alu instid0(VALU_DEP_3) | instskip(NEXT) | instid1(VALU_DEP_1)
	v_clz_i32_u32_e32 v36, v6
	v_min_u32_e32 v36, 32, v36
	s_delay_alu instid0(VALU_DEP_1) | instskip(SKIP_1) | instid1(VALU_DEP_2)
	v_subrev_nc_u32_e32 v37, 28, v36
	v_sub_nc_u32_e32 v58, 29, v36
	v_lshlrev_b64_e32 v[60:61], v37, v[6:7]
	s_delay_alu instid0(VALU_DEP_1)
	v_and_b32_e32 v6, 7, v60
; %bb.1125:                             ;   in Loop: Header=BB220_678 Depth=1
	s_or_b32 exec_lo, exec_lo, s16
	s_delay_alu instid0(VALU_DEP_1) | instskip(SKIP_1) | instid1(VALU_DEP_2)
	v_dual_lshlrev_b32 v36, 24, v72 :: v_dual_lshlrev_b32 v6, 20, v6
	v_lshl_add_u32 v37, v58, 23, 0x3c000000
	v_and_b32_e32 v36, 0x80000000, v36
	s_delay_alu instid0(VALU_DEP_1) | instskip(NEXT) | instid1(VALU_DEP_1)
	v_or3_b32 v6, v6, v36, v37
	v_mov_b64_e32 v[58:59], v[6:7]
.LBB220_1126:                           ;   in Loop: Header=BB220_678 Depth=1
	s_or_b32 exec_lo, exec_lo, s9
.LBB220_1127:                           ;   in Loop: Header=BB220_678 Depth=1
	s_delay_alu instid0(SALU_CYCLE_1)
	s_or_b32 exec_lo, exec_lo, s8
.LBB220_1128:                           ;   in Loop: Header=BB220_678 Depth=1
	s_delay_alu instid0(SALU_CYCLE_1) | instskip(SKIP_2) | instid1(VALU_DEP_1)
	s_or_b32 exec_lo, exec_lo, s3
	v_lshrrev_b16 v6, 8, v72
	s_mov_b32 s3, exec_lo
	v_cmpx_ne_u16_e32 0, v6
	s_cbranch_execz .LBB220_1136
; %bb.1129:                             ;   in Loop: Header=BB220_678 Depth=1
	v_mov_b64_e32 v[56:57], 0x8000000000000000
	s_mov_b32 s8, exec_lo
	v_cmpx_ne_u16_e32 0x80, v6
	s_cbranch_execz .LBB220_1135
; %bb.1130:                             ;   in Loop: Header=BB220_678 Depth=1
	v_and_b32_e32 v6, 0xffff, v6
	v_mov_b64_e32 v[56:57], 0x7f80000100000000
	s_mov_b32 s9, exec_lo
	s_delay_alu instid0(VALU_DEP_2) | instskip(NEXT) | instid1(VALU_DEP_1)
	v_and_b32_e32 v60, 0x7f, v6
	v_cmpx_ne_u32_e32 0x7f, v60
	s_cbranch_execz .LBB220_1134
; %bb.1131:                             ;   in Loop: Header=BB220_678 Depth=1
	v_dual_lshrrev_b32 v56, 3, v60 :: v_dual_bitop2_b32 v6, 7, v6 bitop3:0x40
	s_mov_b32 s16, exec_lo
	v_cmpx_gt_u32_e32 8, v60
; %bb.1132:                             ;   in Loop: Header=BB220_678 Depth=1
	s_delay_alu instid0(VALU_DEP_2) | instskip(NEXT) | instid1(VALU_DEP_1)
	v_clz_i32_u32_e32 v36, v6
	v_min_u32_e32 v36, 32, v36
	s_delay_alu instid0(VALU_DEP_1) | instskip(SKIP_1) | instid1(VALU_DEP_2)
	v_subrev_nc_u32_e32 v37, 28, v36
	v_sub_nc_u32_e32 v56, 29, v36
	v_lshlrev_b64_e32 v[60:61], v37, v[6:7]
	s_delay_alu instid0(VALU_DEP_1)
	v_and_b32_e32 v6, 7, v60
; %bb.1133:                             ;   in Loop: Header=BB220_678 Depth=1
	s_or_b32 exec_lo, exec_lo, s16
	s_delay_alu instid0(VALU_DEP_1) | instskip(SKIP_2) | instid1(VALU_DEP_3)
	v_dual_lshlrev_b32 v36, 16, v72 :: v_dual_lshlrev_b32 v6, 20, v6
	v_lshl_add_u32 v37, v56, 23, 0x3c000000
	v_mov_b32_e32 v56, v7
	v_and_b32_e32 v36, 0x80000000, v36
	s_delay_alu instid0(VALU_DEP_1)
	v_or3_b32 v57, v6, v36, v37
.LBB220_1134:                           ;   in Loop: Header=BB220_678 Depth=1
	s_or_b32 exec_lo, exec_lo, s9
.LBB220_1135:                           ;   in Loop: Header=BB220_678 Depth=1
	s_delay_alu instid0(SALU_CYCLE_1)
	s_or_b32 exec_lo, exec_lo, s8
.LBB220_1136:                           ;   in Loop: Header=BB220_678 Depth=1
	s_delay_alu instid0(SALU_CYCLE_1) | instskip(SKIP_4) | instid1(VALU_DEP_3)
	s_or_b32 exec_lo, exec_lo, s3
	v_lshrrev_b32_e32 v73, 16, v72
	v_mov_b64_e32 v[60:61], 0
	v_mov_b64_e32 v[62:63], 0
	s_mov_b32 s3, exec_lo
	v_and_b32_e32 v6, 0xff, v73
	s_delay_alu instid0(VALU_DEP_1)
	v_cmpx_ne_u16_e32 0, v6
	s_cbranch_execz .LBB220_1144
; %bb.1137:                             ;   in Loop: Header=BB220_678 Depth=1
	v_mov_b64_e32 v[62:63], 0x80000000
	s_mov_b32 s8, exec_lo
	v_cmpx_ne_u16_e32 0x80, v6
	s_cbranch_execz .LBB220_1143
; %bb.1138:                             ;   in Loop: Header=BB220_678 Depth=1
	v_mov_b64_e32 v[62:63], 0x7f800001
	v_bfe_u32 v74, v72, 16, 7
	s_mov_b32 s9, exec_lo
	s_delay_alu instid0(VALU_DEP_1)
	v_cmpx_ne_u32_e32 0x7f, v74
	s_cbranch_execz .LBB220_1142
; %bb.1139:                             ;   in Loop: Header=BB220_678 Depth=1
	v_dual_lshrrev_b32 v62, 3, v74 :: v_dual_bitop2_b32 v6, 7, v73 bitop3:0x40
	s_mov_b32 s16, exec_lo
	v_cmpx_gt_u32_e32 8, v74
; %bb.1140:                             ;   in Loop: Header=BB220_678 Depth=1
	s_delay_alu instid0(VALU_DEP_2) | instskip(NEXT) | instid1(VALU_DEP_1)
	v_clz_i32_u32_e32 v36, v6
	v_min_u32_e32 v36, 32, v36
	s_delay_alu instid0(VALU_DEP_1) | instskip(NEXT) | instid1(VALU_DEP_1)
	v_subrev_nc_u32_e32 v37, 28, v36
	v_lshlrev_b64_e32 v[74:75], v37, v[6:7]
	s_delay_alu instid0(VALU_DEP_1)
	v_dual_sub_nc_u32 v62, 29, v36 :: v_dual_bitop2_b32 v6, 7, v74 bitop3:0x40
; %bb.1141:                             ;   in Loop: Header=BB220_678 Depth=1
	s_or_b32 exec_lo, exec_lo, s16
	s_delay_alu instid0(VALU_DEP_1) | instskip(NEXT) | instid1(VALU_DEP_2)
	v_dual_lshlrev_b32 v36, 24, v73 :: v_dual_lshlrev_b32 v6, 20, v6
	v_lshl_add_u32 v37, v62, 23, 0x3c000000
	s_delay_alu instid0(VALU_DEP_2) | instskip(NEXT) | instid1(VALU_DEP_1)
	v_and_b32_e32 v36, 0x80000000, v36
	v_or3_b32 v6, v6, v36, v37
	s_delay_alu instid0(VALU_DEP_1)
	v_mov_b64_e32 v[62:63], v[6:7]
.LBB220_1142:                           ;   in Loop: Header=BB220_678 Depth=1
	s_or_b32 exec_lo, exec_lo, s9
.LBB220_1143:                           ;   in Loop: Header=BB220_678 Depth=1
	s_delay_alu instid0(SALU_CYCLE_1)
	s_or_b32 exec_lo, exec_lo, s8
.LBB220_1144:                           ;   in Loop: Header=BB220_678 Depth=1
	s_delay_alu instid0(SALU_CYCLE_1) | instskip(NEXT) | instid1(SALU_CYCLE_1)
	s_or_b32 exec_lo, exec_lo, s3
	s_mov_b32 s3, exec_lo
	v_cmpx_lt_u32_e32 0xffffff, v72
	s_cbranch_execz .LBB220_1152
; %bb.1145:                             ;   in Loop: Header=BB220_678 Depth=1
	v_mov_b64_e32 v[60:61], 0x8000000000000000
	v_lshrrev_b32_e32 v73, 24, v72
	s_mov_b32 s8, exec_lo
	s_delay_alu instid0(VALU_DEP_1)
	v_cmpx_ne_u32_e32 0x80, v73
	s_cbranch_execz .LBB220_1151
; %bb.1146:                             ;   in Loop: Header=BB220_678 Depth=1
	v_mov_b64_e32 v[60:61], 0x7f80000100000000
	v_bfe_u32 v72, v72, 24, 7
	s_mov_b32 s9, exec_lo
	s_delay_alu instid0(VALU_DEP_1)
	v_cmpx_ne_u32_e32 0x7f, v72
	s_cbranch_execz .LBB220_1150
; %bb.1147:                             ;   in Loop: Header=BB220_678 Depth=1
	v_dual_lshrrev_b32 v60, 3, v72 :: v_dual_bitop2_b32 v6, 7, v73 bitop3:0x40
	s_mov_b32 s16, exec_lo
	v_cmpx_gt_u32_e32 8, v72
; %bb.1148:                             ;   in Loop: Header=BB220_678 Depth=1
	s_delay_alu instid0(VALU_DEP_2) | instskip(NEXT) | instid1(VALU_DEP_1)
	v_clz_i32_u32_e32 v36, v6
	v_min_u32_e32 v36, 32, v36
	s_delay_alu instid0(VALU_DEP_1) | instskip(NEXT) | instid1(VALU_DEP_1)
	v_subrev_nc_u32_e32 v37, 28, v36
	v_lshlrev_b64_e32 v[74:75], v37, v[6:7]
	s_delay_alu instid0(VALU_DEP_1)
	v_dual_sub_nc_u32 v60, 29, v36 :: v_dual_bitop2_b32 v6, 7, v74 bitop3:0x40
; %bb.1149:                             ;   in Loop: Header=BB220_678 Depth=1
	s_or_b32 exec_lo, exec_lo, s16
	s_delay_alu instid0(VALU_DEP_1) | instskip(NEXT) | instid1(VALU_DEP_2)
	v_dual_lshlrev_b32 v36, 24, v73 :: v_dual_lshlrev_b32 v6, 20, v6
	v_lshl_add_u32 v37, v60, 23, 0x3c000000
	v_mov_b32_e32 v60, v7
	s_delay_alu instid0(VALU_DEP_3) | instskip(NEXT) | instid1(VALU_DEP_1)
	v_and_b32_e32 v36, 0x80000000, v36
	v_or3_b32 v61, v6, v36, v37
.LBB220_1150:                           ;   in Loop: Header=BB220_678 Depth=1
	s_or_b32 exec_lo, exec_lo, s9
.LBB220_1151:                           ;   in Loop: Header=BB220_678 Depth=1
	s_delay_alu instid0(SALU_CYCLE_1)
	s_or_b32 exec_lo, exec_lo, s8
.LBB220_1152:                           ;   in Loop: Header=BB220_678 Depth=1
	s_delay_alu instid0(SALU_CYCLE_1) | instskip(SKIP_4) | instid1(VALU_DEP_3)
	s_or_b32 exec_lo, exec_lo, s3
	v_or_b32_e32 v57, v57, v59
	v_or_b32_e32 v56, v56, v58
	;; [unrolled: 1-line block ×4, first 2 shown]
	v_pk_mul_f32 v[58:59], v[22:23], v[56:57]
	s_delay_alu instid0(VALU_DEP_2)
	v_pk_mul_f32 v[56:57], v[22:23], v[60:61]
	s_and_saveexec_b32 s3, vcc_lo
	s_cbranch_execz .LBB220_1154
; %bb.1153:                             ;   in Loop: Header=BB220_678 Depth=1
	v_cmp_lt_i32_e64 s0, v123, v16
	s_delay_alu instid0(VALU_DEP_1) | instskip(SKIP_1) | instid1(VALU_DEP_1)
	v_cndmask_b32_e64 v58, 0, v58, s0
	v_cmp_lt_i32_e64 s0, v17, v16
	v_cndmask_b32_e64 v59, 0, v59, s0
	v_cmp_lt_i32_e64 s0, v109, v16
	s_delay_alu instid0(VALU_DEP_1) | instskip(SKIP_1) | instid1(VALU_DEP_1)
	v_cndmask_b32_e64 v56, 0, v56, s0
	v_cmp_lt_i32_e64 s0, v108, v16
	v_cndmask_b32_e64 v57, 0, v57, s0
.LBB220_1154:                           ;   in Loop: Header=BB220_678 Depth=1
	s_or_b32 exec_lo, exec_lo, s3
	flat_load_b32 v76, v[50:51] offset:1792
	v_mov_b64_e32 v[60:61], 0
	v_mov_b64_e32 v[62:63], 0
	s_mov_b32 s3, exec_lo
	s_wait_loadcnt_dscnt 0x0
	v_and_b32_e32 v6, 0xff, v76
	s_wait_xcnt 0x0
	s_delay_alu instid0(VALU_DEP_1)
	v_cmpx_ne_u16_e32 0, v6
	s_cbranch_execz .LBB220_1162
; %bb.1155:                             ;   in Loop: Header=BB220_678 Depth=1
	v_mov_b64_e32 v[62:63], 0x80000000
	s_mov_b32 s8, exec_lo
	v_cmpx_ne_u16_e32 0x80, v6
	s_cbranch_execz .LBB220_1161
; %bb.1156:                             ;   in Loop: Header=BB220_678 Depth=1
	v_mov_b64_e32 v[62:63], 0x7f800001
	v_and_b32_e32 v72, 0x7f, v76
	s_mov_b32 s9, exec_lo
	s_delay_alu instid0(VALU_DEP_1)
	v_cmpx_ne_u32_e32 0x7f, v72
	s_cbranch_execz .LBB220_1160
; %bb.1157:                             ;   in Loop: Header=BB220_678 Depth=1
	v_and_b32_e32 v6, 7, v76
	v_lshrrev_b32_e32 v62, 3, v72
	s_mov_b32 s16, exec_lo
	v_cmpx_gt_u32_e32 8, v72
; %bb.1158:                             ;   in Loop: Header=BB220_678 Depth=1
	s_delay_alu instid0(VALU_DEP_3) | instskip(NEXT) | instid1(VALU_DEP_1)
	v_clz_i32_u32_e32 v36, v6
	v_min_u32_e32 v36, 32, v36
	s_delay_alu instid0(VALU_DEP_1) | instskip(SKIP_1) | instid1(VALU_DEP_2)
	v_subrev_nc_u32_e32 v37, 28, v36
	v_sub_nc_u32_e32 v62, 29, v36
	v_lshlrev_b64_e32 v[72:73], v37, v[6:7]
	s_delay_alu instid0(VALU_DEP_1)
	v_and_b32_e32 v6, 7, v72
; %bb.1159:                             ;   in Loop: Header=BB220_678 Depth=1
	s_or_b32 exec_lo, exec_lo, s16
	s_delay_alu instid0(VALU_DEP_1) | instskip(SKIP_1) | instid1(VALU_DEP_2)
	v_dual_lshlrev_b32 v36, 24, v76 :: v_dual_lshlrev_b32 v6, 20, v6
	v_lshl_add_u32 v37, v62, 23, 0x3c000000
	v_and_b32_e32 v36, 0x80000000, v36
	s_delay_alu instid0(VALU_DEP_1) | instskip(NEXT) | instid1(VALU_DEP_1)
	v_or3_b32 v6, v6, v36, v37
	v_mov_b64_e32 v[62:63], v[6:7]
.LBB220_1160:                           ;   in Loop: Header=BB220_678 Depth=1
	s_or_b32 exec_lo, exec_lo, s9
.LBB220_1161:                           ;   in Loop: Header=BB220_678 Depth=1
	s_delay_alu instid0(SALU_CYCLE_1)
	s_or_b32 exec_lo, exec_lo, s8
.LBB220_1162:                           ;   in Loop: Header=BB220_678 Depth=1
	s_delay_alu instid0(SALU_CYCLE_1) | instskip(SKIP_2) | instid1(VALU_DEP_1)
	s_or_b32 exec_lo, exec_lo, s3
	v_lshrrev_b16 v6, 8, v76
	s_mov_b32 s3, exec_lo
	v_cmpx_ne_u16_e32 0, v6
	s_cbranch_execz .LBB220_1170
; %bb.1163:                             ;   in Loop: Header=BB220_678 Depth=1
	v_mov_b64_e32 v[60:61], 0x8000000000000000
	s_mov_b32 s8, exec_lo
	v_cmpx_ne_u16_e32 0x80, v6
	s_cbranch_execz .LBB220_1169
; %bb.1164:                             ;   in Loop: Header=BB220_678 Depth=1
	v_and_b32_e32 v6, 0xffff, v6
	v_mov_b64_e32 v[60:61], 0x7f80000100000000
	s_mov_b32 s9, exec_lo
	s_delay_alu instid0(VALU_DEP_2) | instskip(NEXT) | instid1(VALU_DEP_1)
	v_and_b32_e32 v72, 0x7f, v6
	v_cmpx_ne_u32_e32 0x7f, v72
	s_cbranch_execz .LBB220_1168
; %bb.1165:                             ;   in Loop: Header=BB220_678 Depth=1
	v_dual_lshrrev_b32 v60, 3, v72 :: v_dual_bitop2_b32 v6, 7, v6 bitop3:0x40
	s_mov_b32 s16, exec_lo
	v_cmpx_gt_u32_e32 8, v72
; %bb.1166:                             ;   in Loop: Header=BB220_678 Depth=1
	s_delay_alu instid0(VALU_DEP_2) | instskip(NEXT) | instid1(VALU_DEP_1)
	v_clz_i32_u32_e32 v36, v6
	v_min_u32_e32 v36, 32, v36
	s_delay_alu instid0(VALU_DEP_1) | instskip(SKIP_1) | instid1(VALU_DEP_2)
	v_subrev_nc_u32_e32 v37, 28, v36
	v_sub_nc_u32_e32 v60, 29, v36
	v_lshlrev_b64_e32 v[72:73], v37, v[6:7]
	s_delay_alu instid0(VALU_DEP_1)
	v_and_b32_e32 v6, 7, v72
; %bb.1167:                             ;   in Loop: Header=BB220_678 Depth=1
	s_or_b32 exec_lo, exec_lo, s16
	s_delay_alu instid0(VALU_DEP_1) | instskip(SKIP_2) | instid1(VALU_DEP_3)
	v_dual_lshlrev_b32 v36, 16, v76 :: v_dual_lshlrev_b32 v6, 20, v6
	v_lshl_add_u32 v37, v60, 23, 0x3c000000
	v_mov_b32_e32 v60, v7
	v_and_b32_e32 v36, 0x80000000, v36
	s_delay_alu instid0(VALU_DEP_1)
	v_or3_b32 v61, v6, v36, v37
.LBB220_1168:                           ;   in Loop: Header=BB220_678 Depth=1
	s_or_b32 exec_lo, exec_lo, s9
.LBB220_1169:                           ;   in Loop: Header=BB220_678 Depth=1
	s_delay_alu instid0(SALU_CYCLE_1)
	s_or_b32 exec_lo, exec_lo, s8
.LBB220_1170:                           ;   in Loop: Header=BB220_678 Depth=1
	s_delay_alu instid0(SALU_CYCLE_1) | instskip(SKIP_4) | instid1(VALU_DEP_3)
	s_or_b32 exec_lo, exec_lo, s3
	v_lshrrev_b32_e32 v77, 16, v76
	v_mov_b64_e32 v[72:73], 0
	v_mov_b64_e32 v[74:75], 0
	s_mov_b32 s3, exec_lo
	v_and_b32_e32 v6, 0xff, v77
	s_delay_alu instid0(VALU_DEP_1)
	v_cmpx_ne_u16_e32 0, v6
	s_cbranch_execz .LBB220_1178
; %bb.1171:                             ;   in Loop: Header=BB220_678 Depth=1
	v_mov_b64_e32 v[74:75], 0x80000000
	s_mov_b32 s8, exec_lo
	v_cmpx_ne_u16_e32 0x80, v6
	s_cbranch_execz .LBB220_1177
; %bb.1172:                             ;   in Loop: Header=BB220_678 Depth=1
	v_mov_b64_e32 v[74:75], 0x7f800001
	v_bfe_u32 v78, v76, 16, 7
	s_mov_b32 s9, exec_lo
	s_delay_alu instid0(VALU_DEP_1)
	v_cmpx_ne_u32_e32 0x7f, v78
	s_cbranch_execz .LBB220_1176
; %bb.1173:                             ;   in Loop: Header=BB220_678 Depth=1
	v_dual_lshrrev_b32 v74, 3, v78 :: v_dual_bitop2_b32 v6, 7, v77 bitop3:0x40
	s_mov_b32 s16, exec_lo
	v_cmpx_gt_u32_e32 8, v78
; %bb.1174:                             ;   in Loop: Header=BB220_678 Depth=1
	s_delay_alu instid0(VALU_DEP_2) | instskip(NEXT) | instid1(VALU_DEP_1)
	v_clz_i32_u32_e32 v36, v6
	v_min_u32_e32 v36, 32, v36
	s_delay_alu instid0(VALU_DEP_1) | instskip(NEXT) | instid1(VALU_DEP_1)
	v_subrev_nc_u32_e32 v37, 28, v36
	v_lshlrev_b64_e32 v[78:79], v37, v[6:7]
	s_delay_alu instid0(VALU_DEP_1)
	v_dual_sub_nc_u32 v74, 29, v36 :: v_dual_bitop2_b32 v6, 7, v78 bitop3:0x40
; %bb.1175:                             ;   in Loop: Header=BB220_678 Depth=1
	s_or_b32 exec_lo, exec_lo, s16
	s_delay_alu instid0(VALU_DEP_1) | instskip(NEXT) | instid1(VALU_DEP_2)
	v_dual_lshlrev_b32 v36, 24, v77 :: v_dual_lshlrev_b32 v6, 20, v6
	v_lshl_add_u32 v37, v74, 23, 0x3c000000
	s_delay_alu instid0(VALU_DEP_2) | instskip(NEXT) | instid1(VALU_DEP_1)
	v_and_b32_e32 v36, 0x80000000, v36
	v_or3_b32 v6, v6, v36, v37
	s_delay_alu instid0(VALU_DEP_1)
	v_mov_b64_e32 v[74:75], v[6:7]
.LBB220_1176:                           ;   in Loop: Header=BB220_678 Depth=1
	s_or_b32 exec_lo, exec_lo, s9
.LBB220_1177:                           ;   in Loop: Header=BB220_678 Depth=1
	s_delay_alu instid0(SALU_CYCLE_1)
	s_or_b32 exec_lo, exec_lo, s8
.LBB220_1178:                           ;   in Loop: Header=BB220_678 Depth=1
	s_delay_alu instid0(SALU_CYCLE_1) | instskip(NEXT) | instid1(SALU_CYCLE_1)
	s_or_b32 exec_lo, exec_lo, s3
	s_mov_b32 s3, exec_lo
	v_cmpx_lt_u32_e32 0xffffff, v76
	s_cbranch_execz .LBB220_1186
; %bb.1179:                             ;   in Loop: Header=BB220_678 Depth=1
	v_mov_b64_e32 v[72:73], 0x8000000000000000
	v_lshrrev_b32_e32 v77, 24, v76
	s_mov_b32 s8, exec_lo
	s_delay_alu instid0(VALU_DEP_1)
	v_cmpx_ne_u32_e32 0x80, v77
	s_cbranch_execz .LBB220_1185
; %bb.1180:                             ;   in Loop: Header=BB220_678 Depth=1
	v_mov_b64_e32 v[72:73], 0x7f80000100000000
	v_bfe_u32 v76, v76, 24, 7
	s_mov_b32 s9, exec_lo
	s_delay_alu instid0(VALU_DEP_1)
	v_cmpx_ne_u32_e32 0x7f, v76
	s_cbranch_execz .LBB220_1184
; %bb.1181:                             ;   in Loop: Header=BB220_678 Depth=1
	v_dual_lshrrev_b32 v72, 3, v76 :: v_dual_bitop2_b32 v6, 7, v77 bitop3:0x40
	s_mov_b32 s16, exec_lo
	v_cmpx_gt_u32_e32 8, v76
; %bb.1182:                             ;   in Loop: Header=BB220_678 Depth=1
	s_delay_alu instid0(VALU_DEP_2) | instskip(NEXT) | instid1(VALU_DEP_1)
	v_clz_i32_u32_e32 v36, v6
	v_min_u32_e32 v36, 32, v36
	s_delay_alu instid0(VALU_DEP_1) | instskip(NEXT) | instid1(VALU_DEP_1)
	v_subrev_nc_u32_e32 v37, 28, v36
	v_lshlrev_b64_e32 v[78:79], v37, v[6:7]
	s_delay_alu instid0(VALU_DEP_1)
	v_dual_sub_nc_u32 v72, 29, v36 :: v_dual_bitop2_b32 v6, 7, v78 bitop3:0x40
; %bb.1183:                             ;   in Loop: Header=BB220_678 Depth=1
	s_or_b32 exec_lo, exec_lo, s16
	s_delay_alu instid0(VALU_DEP_1) | instskip(NEXT) | instid1(VALU_DEP_2)
	v_dual_lshlrev_b32 v36, 24, v77 :: v_dual_lshlrev_b32 v6, 20, v6
	v_lshl_add_u32 v37, v72, 23, 0x3c000000
	v_mov_b32_e32 v72, v7
	s_delay_alu instid0(VALU_DEP_3) | instskip(NEXT) | instid1(VALU_DEP_1)
	v_and_b32_e32 v36, 0x80000000, v36
	v_or3_b32 v73, v6, v36, v37
.LBB220_1184:                           ;   in Loop: Header=BB220_678 Depth=1
	s_or_b32 exec_lo, exec_lo, s9
.LBB220_1185:                           ;   in Loop: Header=BB220_678 Depth=1
	s_delay_alu instid0(SALU_CYCLE_1)
	s_or_b32 exec_lo, exec_lo, s8
.LBB220_1186:                           ;   in Loop: Header=BB220_678 Depth=1
	s_delay_alu instid0(SALU_CYCLE_1) | instskip(SKIP_4) | instid1(VALU_DEP_3)
	s_or_b32 exec_lo, exec_lo, s3
	v_or_b32_e32 v61, v61, v63
	v_or_b32_e32 v60, v60, v62
	;; [unrolled: 1-line block ×4, first 2 shown]
	v_pk_mul_f32 v[62:63], v[22:23], v[60:61]
	s_delay_alu instid0(VALU_DEP_2)
	v_pk_mul_f32 v[60:61], v[22:23], v[72:73]
	s_and_saveexec_b32 s3, vcc_lo
	s_cbranch_execz .LBB220_1188
; %bb.1187:                             ;   in Loop: Header=BB220_678 Depth=1
	v_cmp_lt_i32_e64 s0, v123, v16
	s_delay_alu instid0(VALU_DEP_1) | instskip(SKIP_1) | instid1(VALU_DEP_1)
	v_cndmask_b32_e64 v62, 0, v62, s0
	v_cmp_lt_i32_e64 s0, v17, v16
	v_cndmask_b32_e64 v63, 0, v63, s0
	v_cmp_lt_i32_e64 s0, v109, v16
	s_delay_alu instid0(VALU_DEP_1) | instskip(SKIP_1) | instid1(VALU_DEP_1)
	v_cndmask_b32_e64 v60, 0, v60, s0
	v_cmp_lt_i32_e64 s0, v108, v16
	v_cndmask_b32_e64 v61, 0, v61, s0
.LBB220_1188:                           ;   in Loop: Header=BB220_678 Depth=1
	s_or_b32 exec_lo, exec_lo, s3
	flat_load_b32 v88, v[50:51] offset:1920
	v_mov_b64_e32 v[72:73], 0
	v_mov_b64_e32 v[74:75], 0
	s_mov_b32 s3, exec_lo
	s_wait_loadcnt_dscnt 0x0
	v_and_b32_e32 v6, 0xff, v88
	s_wait_xcnt 0x0
	s_delay_alu instid0(VALU_DEP_1)
	v_cmpx_ne_u16_e32 0, v6
	s_cbranch_execz .LBB220_1196
; %bb.1189:                             ;   in Loop: Header=BB220_678 Depth=1
	v_mov_b64_e32 v[74:75], 0x80000000
	s_mov_b32 s8, exec_lo
	v_cmpx_ne_u16_e32 0x80, v6
	s_cbranch_execz .LBB220_1195
; %bb.1190:                             ;   in Loop: Header=BB220_678 Depth=1
	v_mov_b64_e32 v[74:75], 0x7f800001
	v_and_b32_e32 v76, 0x7f, v88
	s_mov_b32 s9, exec_lo
	s_delay_alu instid0(VALU_DEP_1)
	v_cmpx_ne_u32_e32 0x7f, v76
	s_cbranch_execz .LBB220_1194
; %bb.1191:                             ;   in Loop: Header=BB220_678 Depth=1
	v_and_b32_e32 v6, 7, v88
	v_lshrrev_b32_e32 v74, 3, v76
	s_mov_b32 s16, exec_lo
	v_cmpx_gt_u32_e32 8, v76
; %bb.1192:                             ;   in Loop: Header=BB220_678 Depth=1
	s_delay_alu instid0(VALU_DEP_3) | instskip(NEXT) | instid1(VALU_DEP_1)
	v_clz_i32_u32_e32 v36, v6
	v_min_u32_e32 v36, 32, v36
	s_delay_alu instid0(VALU_DEP_1) | instskip(SKIP_1) | instid1(VALU_DEP_2)
	v_subrev_nc_u32_e32 v37, 28, v36
	v_sub_nc_u32_e32 v74, 29, v36
	v_lshlrev_b64_e32 v[76:77], v37, v[6:7]
	s_delay_alu instid0(VALU_DEP_1)
	v_and_b32_e32 v6, 7, v76
; %bb.1193:                             ;   in Loop: Header=BB220_678 Depth=1
	s_or_b32 exec_lo, exec_lo, s16
	s_delay_alu instid0(VALU_DEP_1) | instskip(SKIP_1) | instid1(VALU_DEP_2)
	v_dual_lshlrev_b32 v36, 24, v88 :: v_dual_lshlrev_b32 v6, 20, v6
	v_lshl_add_u32 v37, v74, 23, 0x3c000000
	v_and_b32_e32 v36, 0x80000000, v36
	s_delay_alu instid0(VALU_DEP_1) | instskip(NEXT) | instid1(VALU_DEP_1)
	v_or3_b32 v6, v6, v36, v37
	v_mov_b64_e32 v[74:75], v[6:7]
.LBB220_1194:                           ;   in Loop: Header=BB220_678 Depth=1
	s_or_b32 exec_lo, exec_lo, s9
.LBB220_1195:                           ;   in Loop: Header=BB220_678 Depth=1
	s_delay_alu instid0(SALU_CYCLE_1)
	s_or_b32 exec_lo, exec_lo, s8
.LBB220_1196:                           ;   in Loop: Header=BB220_678 Depth=1
	s_delay_alu instid0(SALU_CYCLE_1) | instskip(SKIP_2) | instid1(VALU_DEP_1)
	s_or_b32 exec_lo, exec_lo, s3
	v_lshrrev_b16 v6, 8, v88
	s_mov_b32 s3, exec_lo
	v_cmpx_ne_u16_e32 0, v6
	s_cbranch_execz .LBB220_1204
; %bb.1197:                             ;   in Loop: Header=BB220_678 Depth=1
	v_mov_b64_e32 v[72:73], 0x8000000000000000
	s_mov_b32 s8, exec_lo
	v_cmpx_ne_u16_e32 0x80, v6
	s_cbranch_execz .LBB220_1203
; %bb.1198:                             ;   in Loop: Header=BB220_678 Depth=1
	v_and_b32_e32 v6, 0xffff, v6
	v_mov_b64_e32 v[72:73], 0x7f80000100000000
	s_mov_b32 s9, exec_lo
	s_delay_alu instid0(VALU_DEP_2) | instskip(NEXT) | instid1(VALU_DEP_1)
	v_and_b32_e32 v76, 0x7f, v6
	v_cmpx_ne_u32_e32 0x7f, v76
	s_cbranch_execz .LBB220_1202
; %bb.1199:                             ;   in Loop: Header=BB220_678 Depth=1
	v_dual_lshrrev_b32 v72, 3, v76 :: v_dual_bitop2_b32 v6, 7, v6 bitop3:0x40
	s_mov_b32 s16, exec_lo
	v_cmpx_gt_u32_e32 8, v76
; %bb.1200:                             ;   in Loop: Header=BB220_678 Depth=1
	s_delay_alu instid0(VALU_DEP_2) | instskip(NEXT) | instid1(VALU_DEP_1)
	v_clz_i32_u32_e32 v36, v6
	v_min_u32_e32 v36, 32, v36
	s_delay_alu instid0(VALU_DEP_1) | instskip(SKIP_1) | instid1(VALU_DEP_2)
	v_subrev_nc_u32_e32 v37, 28, v36
	v_sub_nc_u32_e32 v72, 29, v36
	v_lshlrev_b64_e32 v[76:77], v37, v[6:7]
	s_delay_alu instid0(VALU_DEP_1)
	v_and_b32_e32 v6, 7, v76
; %bb.1201:                             ;   in Loop: Header=BB220_678 Depth=1
	s_or_b32 exec_lo, exec_lo, s16
	s_delay_alu instid0(VALU_DEP_1) | instskip(SKIP_2) | instid1(VALU_DEP_3)
	v_dual_lshlrev_b32 v36, 16, v88 :: v_dual_lshlrev_b32 v6, 20, v6
	v_lshl_add_u32 v37, v72, 23, 0x3c000000
	v_mov_b32_e32 v72, v7
	v_and_b32_e32 v36, 0x80000000, v36
	s_delay_alu instid0(VALU_DEP_1)
	v_or3_b32 v73, v6, v36, v37
.LBB220_1202:                           ;   in Loop: Header=BB220_678 Depth=1
	s_or_b32 exec_lo, exec_lo, s9
.LBB220_1203:                           ;   in Loop: Header=BB220_678 Depth=1
	s_delay_alu instid0(SALU_CYCLE_1)
	s_or_b32 exec_lo, exec_lo, s8
.LBB220_1204:                           ;   in Loop: Header=BB220_678 Depth=1
	s_delay_alu instid0(SALU_CYCLE_1) | instskip(SKIP_4) | instid1(VALU_DEP_3)
	s_or_b32 exec_lo, exec_lo, s3
	v_lshrrev_b32_e32 v89, 16, v88
	v_mov_b64_e32 v[76:77], 0
	v_mov_b64_e32 v[78:79], 0
	s_mov_b32 s3, exec_lo
	v_and_b32_e32 v6, 0xff, v89
	s_delay_alu instid0(VALU_DEP_1)
	v_cmpx_ne_u16_e32 0, v6
	s_cbranch_execz .LBB220_1212
; %bb.1205:                             ;   in Loop: Header=BB220_678 Depth=1
	v_mov_b64_e32 v[78:79], 0x80000000
	s_mov_b32 s8, exec_lo
	v_cmpx_ne_u16_e32 0x80, v6
	s_cbranch_execz .LBB220_1211
; %bb.1206:                             ;   in Loop: Header=BB220_678 Depth=1
	v_mov_b64_e32 v[78:79], 0x7f800001
	v_bfe_u32 v90, v88, 16, 7
	s_mov_b32 s9, exec_lo
	s_delay_alu instid0(VALU_DEP_1)
	v_cmpx_ne_u32_e32 0x7f, v90
	s_cbranch_execz .LBB220_1210
; %bb.1207:                             ;   in Loop: Header=BB220_678 Depth=1
	v_dual_lshrrev_b32 v78, 3, v90 :: v_dual_bitop2_b32 v6, 7, v89 bitop3:0x40
	s_mov_b32 s16, exec_lo
	v_cmpx_gt_u32_e32 8, v90
; %bb.1208:                             ;   in Loop: Header=BB220_678 Depth=1
	s_delay_alu instid0(VALU_DEP_2) | instskip(NEXT) | instid1(VALU_DEP_1)
	v_clz_i32_u32_e32 v36, v6
	v_min_u32_e32 v36, 32, v36
	s_delay_alu instid0(VALU_DEP_1) | instskip(NEXT) | instid1(VALU_DEP_1)
	v_subrev_nc_u32_e32 v37, 28, v36
	v_lshlrev_b64_e32 v[90:91], v37, v[6:7]
	s_delay_alu instid0(VALU_DEP_1)
	v_dual_sub_nc_u32 v78, 29, v36 :: v_dual_bitop2_b32 v6, 7, v90 bitop3:0x40
; %bb.1209:                             ;   in Loop: Header=BB220_678 Depth=1
	s_or_b32 exec_lo, exec_lo, s16
	s_delay_alu instid0(VALU_DEP_1) | instskip(NEXT) | instid1(VALU_DEP_2)
	v_dual_lshlrev_b32 v36, 24, v89 :: v_dual_lshlrev_b32 v6, 20, v6
	v_lshl_add_u32 v37, v78, 23, 0x3c000000
	s_delay_alu instid0(VALU_DEP_2) | instskip(NEXT) | instid1(VALU_DEP_1)
	v_and_b32_e32 v36, 0x80000000, v36
	v_or3_b32 v6, v6, v36, v37
	s_delay_alu instid0(VALU_DEP_1)
	v_mov_b64_e32 v[78:79], v[6:7]
.LBB220_1210:                           ;   in Loop: Header=BB220_678 Depth=1
	s_or_b32 exec_lo, exec_lo, s9
.LBB220_1211:                           ;   in Loop: Header=BB220_678 Depth=1
	s_delay_alu instid0(SALU_CYCLE_1)
	s_or_b32 exec_lo, exec_lo, s8
.LBB220_1212:                           ;   in Loop: Header=BB220_678 Depth=1
	s_delay_alu instid0(SALU_CYCLE_1) | instskip(NEXT) | instid1(SALU_CYCLE_1)
	s_or_b32 exec_lo, exec_lo, s3
	s_mov_b32 s3, exec_lo
	v_cmpx_lt_u32_e32 0xffffff, v88
	s_cbranch_execz .LBB220_1220
; %bb.1213:                             ;   in Loop: Header=BB220_678 Depth=1
	v_mov_b64_e32 v[76:77], 0x8000000000000000
	v_lshrrev_b32_e32 v89, 24, v88
	s_mov_b32 s8, exec_lo
	s_delay_alu instid0(VALU_DEP_1)
	v_cmpx_ne_u32_e32 0x80, v89
	s_cbranch_execz .LBB220_1219
; %bb.1214:                             ;   in Loop: Header=BB220_678 Depth=1
	v_mov_b64_e32 v[76:77], 0x7f80000100000000
	v_bfe_u32 v88, v88, 24, 7
	s_mov_b32 s9, exec_lo
	s_delay_alu instid0(VALU_DEP_1)
	v_cmpx_ne_u32_e32 0x7f, v88
	s_cbranch_execz .LBB220_1218
; %bb.1215:                             ;   in Loop: Header=BB220_678 Depth=1
	v_dual_lshrrev_b32 v76, 3, v88 :: v_dual_bitop2_b32 v6, 7, v89 bitop3:0x40
	s_mov_b32 s16, exec_lo
	v_cmpx_gt_u32_e32 8, v88
; %bb.1216:                             ;   in Loop: Header=BB220_678 Depth=1
	s_delay_alu instid0(VALU_DEP_2) | instskip(NEXT) | instid1(VALU_DEP_1)
	v_clz_i32_u32_e32 v36, v6
	v_min_u32_e32 v36, 32, v36
	s_delay_alu instid0(VALU_DEP_1) | instskip(NEXT) | instid1(VALU_DEP_1)
	v_subrev_nc_u32_e32 v37, 28, v36
	v_lshlrev_b64_e32 v[90:91], v37, v[6:7]
	s_delay_alu instid0(VALU_DEP_1)
	v_dual_sub_nc_u32 v76, 29, v36 :: v_dual_bitop2_b32 v6, 7, v90 bitop3:0x40
; %bb.1217:                             ;   in Loop: Header=BB220_678 Depth=1
	s_or_b32 exec_lo, exec_lo, s16
	s_delay_alu instid0(VALU_DEP_1) | instskip(NEXT) | instid1(VALU_DEP_2)
	v_dual_lshlrev_b32 v36, 24, v89 :: v_dual_lshlrev_b32 v6, 20, v6
	v_lshl_add_u32 v37, v76, 23, 0x3c000000
	v_mov_b32_e32 v76, v7
	s_delay_alu instid0(VALU_DEP_3) | instskip(NEXT) | instid1(VALU_DEP_1)
	v_and_b32_e32 v36, 0x80000000, v36
	v_or3_b32 v77, v6, v36, v37
.LBB220_1218:                           ;   in Loop: Header=BB220_678 Depth=1
	s_or_b32 exec_lo, exec_lo, s9
.LBB220_1219:                           ;   in Loop: Header=BB220_678 Depth=1
	s_delay_alu instid0(SALU_CYCLE_1)
	s_or_b32 exec_lo, exec_lo, s8
.LBB220_1220:                           ;   in Loop: Header=BB220_678 Depth=1
	s_delay_alu instid0(SALU_CYCLE_1) | instskip(SKIP_4) | instid1(VALU_DEP_3)
	s_or_b32 exec_lo, exec_lo, s3
	v_or_b32_e32 v73, v73, v75
	v_or_b32_e32 v72, v72, v74
	v_or_b32_e32 v77, v77, v79
	v_or_b32_e32 v76, v76, v78
	v_pk_mul_f32 v[74:75], v[22:23], v[72:73]
	s_delay_alu instid0(VALU_DEP_2)
	v_pk_mul_f32 v[72:73], v[22:23], v[76:77]
	s_and_saveexec_b32 s3, vcc_lo
	s_cbranch_execz .LBB220_1222
; %bb.1221:                             ;   in Loop: Header=BB220_678 Depth=1
	v_cmp_lt_i32_e64 s0, v123, v16
	s_delay_alu instid0(VALU_DEP_1) | instskip(SKIP_1) | instid1(VALU_DEP_1)
	v_cndmask_b32_e64 v74, 0, v74, s0
	v_cmp_lt_i32_e64 s0, v17, v16
	v_cndmask_b32_e64 v75, 0, v75, s0
	v_cmp_lt_i32_e64 s0, v109, v16
	s_delay_alu instid0(VALU_DEP_1) | instskip(SKIP_1) | instid1(VALU_DEP_1)
	v_cndmask_b32_e64 v72, 0, v72, s0
	v_cmp_lt_i32_e64 s0, v108, v16
	v_cndmask_b32_e64 v73, 0, v73, s0
.LBB220_1222:                           ;   in Loop: Header=BB220_678 Depth=1
	s_or_b32 exec_lo, exec_lo, s3
	flat_load_b32 v92, v[50:51] offset:2048
	v_mov_b64_e32 v[76:77], 0
	v_mov_b64_e32 v[78:79], 0
	s_mov_b32 s3, exec_lo
	s_wait_loadcnt_dscnt 0x0
	v_and_b32_e32 v6, 0xff, v92
	s_wait_xcnt 0x0
	s_delay_alu instid0(VALU_DEP_1)
	v_cmpx_ne_u16_e32 0, v6
	s_cbranch_execz .LBB220_1230
; %bb.1223:                             ;   in Loop: Header=BB220_678 Depth=1
	v_mov_b64_e32 v[78:79], 0x80000000
	s_mov_b32 s8, exec_lo
	v_cmpx_ne_u16_e32 0x80, v6
	s_cbranch_execz .LBB220_1229
; %bb.1224:                             ;   in Loop: Header=BB220_678 Depth=1
	v_mov_b64_e32 v[78:79], 0x7f800001
	v_and_b32_e32 v88, 0x7f, v92
	s_mov_b32 s9, exec_lo
	s_delay_alu instid0(VALU_DEP_1)
	v_cmpx_ne_u32_e32 0x7f, v88
	s_cbranch_execz .LBB220_1228
; %bb.1225:                             ;   in Loop: Header=BB220_678 Depth=1
	v_and_b32_e32 v6, 7, v92
	v_lshrrev_b32_e32 v78, 3, v88
	s_mov_b32 s16, exec_lo
	v_cmpx_gt_u32_e32 8, v88
; %bb.1226:                             ;   in Loop: Header=BB220_678 Depth=1
	s_delay_alu instid0(VALU_DEP_3) | instskip(NEXT) | instid1(VALU_DEP_1)
	v_clz_i32_u32_e32 v36, v6
	v_min_u32_e32 v36, 32, v36
	s_delay_alu instid0(VALU_DEP_1) | instskip(SKIP_1) | instid1(VALU_DEP_2)
	v_subrev_nc_u32_e32 v37, 28, v36
	v_sub_nc_u32_e32 v78, 29, v36
	v_lshlrev_b64_e32 v[88:89], v37, v[6:7]
	s_delay_alu instid0(VALU_DEP_1)
	v_and_b32_e32 v6, 7, v88
; %bb.1227:                             ;   in Loop: Header=BB220_678 Depth=1
	s_or_b32 exec_lo, exec_lo, s16
	s_delay_alu instid0(VALU_DEP_1) | instskip(SKIP_1) | instid1(VALU_DEP_2)
	v_dual_lshlrev_b32 v36, 24, v92 :: v_dual_lshlrev_b32 v6, 20, v6
	v_lshl_add_u32 v37, v78, 23, 0x3c000000
	v_and_b32_e32 v36, 0x80000000, v36
	s_delay_alu instid0(VALU_DEP_1) | instskip(NEXT) | instid1(VALU_DEP_1)
	v_or3_b32 v6, v6, v36, v37
	v_mov_b64_e32 v[78:79], v[6:7]
.LBB220_1228:                           ;   in Loop: Header=BB220_678 Depth=1
	s_or_b32 exec_lo, exec_lo, s9
.LBB220_1229:                           ;   in Loop: Header=BB220_678 Depth=1
	s_delay_alu instid0(SALU_CYCLE_1)
	s_or_b32 exec_lo, exec_lo, s8
.LBB220_1230:                           ;   in Loop: Header=BB220_678 Depth=1
	s_delay_alu instid0(SALU_CYCLE_1) | instskip(SKIP_2) | instid1(VALU_DEP_1)
	s_or_b32 exec_lo, exec_lo, s3
	v_lshrrev_b16 v6, 8, v92
	s_mov_b32 s3, exec_lo
	v_cmpx_ne_u16_e32 0, v6
	s_cbranch_execz .LBB220_1238
; %bb.1231:                             ;   in Loop: Header=BB220_678 Depth=1
	v_mov_b64_e32 v[76:77], 0x8000000000000000
	s_mov_b32 s8, exec_lo
	v_cmpx_ne_u16_e32 0x80, v6
	s_cbranch_execz .LBB220_1237
; %bb.1232:                             ;   in Loop: Header=BB220_678 Depth=1
	v_and_b32_e32 v6, 0xffff, v6
	v_mov_b64_e32 v[76:77], 0x7f80000100000000
	s_mov_b32 s9, exec_lo
	s_delay_alu instid0(VALU_DEP_2) | instskip(NEXT) | instid1(VALU_DEP_1)
	v_and_b32_e32 v88, 0x7f, v6
	v_cmpx_ne_u32_e32 0x7f, v88
	s_cbranch_execz .LBB220_1236
; %bb.1233:                             ;   in Loop: Header=BB220_678 Depth=1
	v_dual_lshrrev_b32 v76, 3, v88 :: v_dual_bitop2_b32 v6, 7, v6 bitop3:0x40
	s_mov_b32 s16, exec_lo
	v_cmpx_gt_u32_e32 8, v88
; %bb.1234:                             ;   in Loop: Header=BB220_678 Depth=1
	s_delay_alu instid0(VALU_DEP_2) | instskip(NEXT) | instid1(VALU_DEP_1)
	v_clz_i32_u32_e32 v36, v6
	v_min_u32_e32 v36, 32, v36
	s_delay_alu instid0(VALU_DEP_1) | instskip(SKIP_1) | instid1(VALU_DEP_2)
	v_subrev_nc_u32_e32 v37, 28, v36
	v_sub_nc_u32_e32 v76, 29, v36
	v_lshlrev_b64_e32 v[88:89], v37, v[6:7]
	s_delay_alu instid0(VALU_DEP_1)
	v_and_b32_e32 v6, 7, v88
; %bb.1235:                             ;   in Loop: Header=BB220_678 Depth=1
	s_or_b32 exec_lo, exec_lo, s16
	s_delay_alu instid0(VALU_DEP_1) | instskip(SKIP_2) | instid1(VALU_DEP_3)
	v_dual_lshlrev_b32 v36, 16, v92 :: v_dual_lshlrev_b32 v6, 20, v6
	v_lshl_add_u32 v37, v76, 23, 0x3c000000
	v_mov_b32_e32 v76, v7
	v_and_b32_e32 v36, 0x80000000, v36
	s_delay_alu instid0(VALU_DEP_1)
	v_or3_b32 v77, v6, v36, v37
.LBB220_1236:                           ;   in Loop: Header=BB220_678 Depth=1
	s_or_b32 exec_lo, exec_lo, s9
.LBB220_1237:                           ;   in Loop: Header=BB220_678 Depth=1
	s_delay_alu instid0(SALU_CYCLE_1)
	s_or_b32 exec_lo, exec_lo, s8
.LBB220_1238:                           ;   in Loop: Header=BB220_678 Depth=1
	s_delay_alu instid0(SALU_CYCLE_1) | instskip(SKIP_4) | instid1(VALU_DEP_3)
	s_or_b32 exec_lo, exec_lo, s3
	v_lshrrev_b32_e32 v93, 16, v92
	v_mov_b64_e32 v[88:89], 0
	v_mov_b64_e32 v[90:91], 0
	s_mov_b32 s3, exec_lo
	v_and_b32_e32 v6, 0xff, v93
	s_delay_alu instid0(VALU_DEP_1)
	v_cmpx_ne_u16_e32 0, v6
	s_cbranch_execz .LBB220_1246
; %bb.1239:                             ;   in Loop: Header=BB220_678 Depth=1
	v_mov_b64_e32 v[90:91], 0x80000000
	s_mov_b32 s8, exec_lo
	v_cmpx_ne_u16_e32 0x80, v6
	s_cbranch_execz .LBB220_1245
; %bb.1240:                             ;   in Loop: Header=BB220_678 Depth=1
	v_mov_b64_e32 v[90:91], 0x7f800001
	v_bfe_u32 v94, v92, 16, 7
	s_mov_b32 s9, exec_lo
	s_delay_alu instid0(VALU_DEP_1)
	v_cmpx_ne_u32_e32 0x7f, v94
	s_cbranch_execz .LBB220_1244
; %bb.1241:                             ;   in Loop: Header=BB220_678 Depth=1
	v_dual_lshrrev_b32 v90, 3, v94 :: v_dual_bitop2_b32 v6, 7, v93 bitop3:0x40
	s_mov_b32 s16, exec_lo
	v_cmpx_gt_u32_e32 8, v94
; %bb.1242:                             ;   in Loop: Header=BB220_678 Depth=1
	s_delay_alu instid0(VALU_DEP_2) | instskip(NEXT) | instid1(VALU_DEP_1)
	v_clz_i32_u32_e32 v36, v6
	v_min_u32_e32 v36, 32, v36
	s_delay_alu instid0(VALU_DEP_1) | instskip(NEXT) | instid1(VALU_DEP_1)
	v_subrev_nc_u32_e32 v37, 28, v36
	v_lshlrev_b64_e32 v[94:95], v37, v[6:7]
	s_delay_alu instid0(VALU_DEP_1)
	v_dual_sub_nc_u32 v90, 29, v36 :: v_dual_bitop2_b32 v6, 7, v94 bitop3:0x40
; %bb.1243:                             ;   in Loop: Header=BB220_678 Depth=1
	s_or_b32 exec_lo, exec_lo, s16
	s_delay_alu instid0(VALU_DEP_1) | instskip(NEXT) | instid1(VALU_DEP_2)
	v_dual_lshlrev_b32 v36, 24, v93 :: v_dual_lshlrev_b32 v6, 20, v6
	v_lshl_add_u32 v37, v90, 23, 0x3c000000
	s_delay_alu instid0(VALU_DEP_2) | instskip(NEXT) | instid1(VALU_DEP_1)
	v_and_b32_e32 v36, 0x80000000, v36
	v_or3_b32 v6, v6, v36, v37
	s_delay_alu instid0(VALU_DEP_1)
	v_mov_b64_e32 v[90:91], v[6:7]
.LBB220_1244:                           ;   in Loop: Header=BB220_678 Depth=1
	s_or_b32 exec_lo, exec_lo, s9
.LBB220_1245:                           ;   in Loop: Header=BB220_678 Depth=1
	s_delay_alu instid0(SALU_CYCLE_1)
	s_or_b32 exec_lo, exec_lo, s8
.LBB220_1246:                           ;   in Loop: Header=BB220_678 Depth=1
	s_delay_alu instid0(SALU_CYCLE_1) | instskip(NEXT) | instid1(SALU_CYCLE_1)
	s_or_b32 exec_lo, exec_lo, s3
	s_mov_b32 s3, exec_lo
	v_cmpx_lt_u32_e32 0xffffff, v92
	s_cbranch_execz .LBB220_1254
; %bb.1247:                             ;   in Loop: Header=BB220_678 Depth=1
	v_mov_b64_e32 v[88:89], 0x8000000000000000
	v_lshrrev_b32_e32 v93, 24, v92
	s_mov_b32 s8, exec_lo
	s_delay_alu instid0(VALU_DEP_1)
	v_cmpx_ne_u32_e32 0x80, v93
	s_cbranch_execz .LBB220_1253
; %bb.1248:                             ;   in Loop: Header=BB220_678 Depth=1
	v_mov_b64_e32 v[88:89], 0x7f80000100000000
	v_bfe_u32 v92, v92, 24, 7
	s_mov_b32 s9, exec_lo
	s_delay_alu instid0(VALU_DEP_1)
	v_cmpx_ne_u32_e32 0x7f, v92
	s_cbranch_execz .LBB220_1252
; %bb.1249:                             ;   in Loop: Header=BB220_678 Depth=1
	v_dual_lshrrev_b32 v88, 3, v92 :: v_dual_bitop2_b32 v6, 7, v93 bitop3:0x40
	s_mov_b32 s16, exec_lo
	v_cmpx_gt_u32_e32 8, v92
; %bb.1250:                             ;   in Loop: Header=BB220_678 Depth=1
	s_delay_alu instid0(VALU_DEP_2) | instskip(NEXT) | instid1(VALU_DEP_1)
	v_clz_i32_u32_e32 v36, v6
	v_min_u32_e32 v36, 32, v36
	s_delay_alu instid0(VALU_DEP_1) | instskip(NEXT) | instid1(VALU_DEP_1)
	v_subrev_nc_u32_e32 v37, 28, v36
	v_lshlrev_b64_e32 v[94:95], v37, v[6:7]
	s_delay_alu instid0(VALU_DEP_1)
	v_dual_sub_nc_u32 v88, 29, v36 :: v_dual_bitop2_b32 v6, 7, v94 bitop3:0x40
; %bb.1251:                             ;   in Loop: Header=BB220_678 Depth=1
	s_or_b32 exec_lo, exec_lo, s16
	s_delay_alu instid0(VALU_DEP_1) | instskip(NEXT) | instid1(VALU_DEP_2)
	v_dual_lshlrev_b32 v36, 24, v93 :: v_dual_lshlrev_b32 v6, 20, v6
	v_lshl_add_u32 v37, v88, 23, 0x3c000000
	v_mov_b32_e32 v88, v7
	s_delay_alu instid0(VALU_DEP_3) | instskip(NEXT) | instid1(VALU_DEP_1)
	v_and_b32_e32 v36, 0x80000000, v36
	v_or3_b32 v89, v6, v36, v37
.LBB220_1252:                           ;   in Loop: Header=BB220_678 Depth=1
	s_or_b32 exec_lo, exec_lo, s9
.LBB220_1253:                           ;   in Loop: Header=BB220_678 Depth=1
	s_delay_alu instid0(SALU_CYCLE_1)
	s_or_b32 exec_lo, exec_lo, s8
.LBB220_1254:                           ;   in Loop: Header=BB220_678 Depth=1
	s_delay_alu instid0(SALU_CYCLE_1) | instskip(SKIP_4) | instid1(VALU_DEP_3)
	s_or_b32 exec_lo, exec_lo, s3
	v_or_b32_e32 v77, v77, v79
	v_or_b32_e32 v76, v76, v78
	;; [unrolled: 1-line block ×4, first 2 shown]
	v_pk_mul_f32 v[78:79], v[22:23], v[76:77]
	s_delay_alu instid0(VALU_DEP_2)
	v_pk_mul_f32 v[76:77], v[22:23], v[88:89]
	s_and_saveexec_b32 s3, vcc_lo
	s_cbranch_execz .LBB220_1256
; %bb.1255:                             ;   in Loop: Header=BB220_678 Depth=1
	v_cmp_lt_i32_e64 s0, v123, v16
	s_delay_alu instid0(VALU_DEP_1) | instskip(SKIP_1) | instid1(VALU_DEP_1)
	v_cndmask_b32_e64 v78, 0, v78, s0
	v_cmp_lt_i32_e64 s0, v17, v16
	v_cndmask_b32_e64 v79, 0, v79, s0
	v_cmp_lt_i32_e64 s0, v109, v16
	s_delay_alu instid0(VALU_DEP_1) | instskip(SKIP_1) | instid1(VALU_DEP_1)
	v_cndmask_b32_e64 v76, 0, v76, s0
	v_cmp_lt_i32_e64 s0, v108, v16
	v_cndmask_b32_e64 v77, 0, v77, s0
.LBB220_1256:                           ;   in Loop: Header=BB220_678 Depth=1
	s_or_b32 exec_lo, exec_lo, s3
	flat_load_b32 v104, v[50:51] offset:2176
	v_mov_b64_e32 v[88:89], 0
	v_mov_b64_e32 v[90:91], 0
	s_mov_b32 s3, exec_lo
	s_wait_loadcnt_dscnt 0x0
	v_and_b32_e32 v6, 0xff, v104
	s_wait_xcnt 0x0
	s_delay_alu instid0(VALU_DEP_1)
	v_cmpx_ne_u16_e32 0, v6
	s_cbranch_execz .LBB220_1264
; %bb.1257:                             ;   in Loop: Header=BB220_678 Depth=1
	v_mov_b64_e32 v[90:91], 0x80000000
	s_mov_b32 s8, exec_lo
	v_cmpx_ne_u16_e32 0x80, v6
	s_cbranch_execz .LBB220_1263
; %bb.1258:                             ;   in Loop: Header=BB220_678 Depth=1
	v_mov_b64_e32 v[90:91], 0x7f800001
	v_and_b32_e32 v92, 0x7f, v104
	s_mov_b32 s9, exec_lo
	s_delay_alu instid0(VALU_DEP_1)
	v_cmpx_ne_u32_e32 0x7f, v92
	s_cbranch_execz .LBB220_1262
; %bb.1259:                             ;   in Loop: Header=BB220_678 Depth=1
	v_and_b32_e32 v6, 7, v104
	v_lshrrev_b32_e32 v90, 3, v92
	s_mov_b32 s16, exec_lo
	v_cmpx_gt_u32_e32 8, v92
; %bb.1260:                             ;   in Loop: Header=BB220_678 Depth=1
	s_delay_alu instid0(VALU_DEP_3) | instskip(NEXT) | instid1(VALU_DEP_1)
	v_clz_i32_u32_e32 v36, v6
	v_min_u32_e32 v36, 32, v36
	s_delay_alu instid0(VALU_DEP_1) | instskip(SKIP_1) | instid1(VALU_DEP_2)
	v_subrev_nc_u32_e32 v37, 28, v36
	v_sub_nc_u32_e32 v90, 29, v36
	v_lshlrev_b64_e32 v[92:93], v37, v[6:7]
	s_delay_alu instid0(VALU_DEP_1)
	v_and_b32_e32 v6, 7, v92
; %bb.1261:                             ;   in Loop: Header=BB220_678 Depth=1
	s_or_b32 exec_lo, exec_lo, s16
	s_delay_alu instid0(VALU_DEP_1) | instskip(SKIP_1) | instid1(VALU_DEP_2)
	v_dual_lshlrev_b32 v36, 24, v104 :: v_dual_lshlrev_b32 v6, 20, v6
	v_lshl_add_u32 v37, v90, 23, 0x3c000000
	v_and_b32_e32 v36, 0x80000000, v36
	s_delay_alu instid0(VALU_DEP_1) | instskip(NEXT) | instid1(VALU_DEP_1)
	v_or3_b32 v6, v6, v36, v37
	v_mov_b64_e32 v[90:91], v[6:7]
.LBB220_1262:                           ;   in Loop: Header=BB220_678 Depth=1
	s_or_b32 exec_lo, exec_lo, s9
.LBB220_1263:                           ;   in Loop: Header=BB220_678 Depth=1
	s_delay_alu instid0(SALU_CYCLE_1)
	s_or_b32 exec_lo, exec_lo, s8
.LBB220_1264:                           ;   in Loop: Header=BB220_678 Depth=1
	s_delay_alu instid0(SALU_CYCLE_1) | instskip(SKIP_2) | instid1(VALU_DEP_1)
	s_or_b32 exec_lo, exec_lo, s3
	v_lshrrev_b16 v6, 8, v104
	s_mov_b32 s3, exec_lo
	v_cmpx_ne_u16_e32 0, v6
	s_cbranch_execz .LBB220_1272
; %bb.1265:                             ;   in Loop: Header=BB220_678 Depth=1
	v_mov_b64_e32 v[88:89], 0x8000000000000000
	s_mov_b32 s8, exec_lo
	v_cmpx_ne_u16_e32 0x80, v6
	s_cbranch_execz .LBB220_1271
; %bb.1266:                             ;   in Loop: Header=BB220_678 Depth=1
	v_and_b32_e32 v6, 0xffff, v6
	v_mov_b64_e32 v[88:89], 0x7f80000100000000
	s_mov_b32 s9, exec_lo
	s_delay_alu instid0(VALU_DEP_2) | instskip(NEXT) | instid1(VALU_DEP_1)
	v_and_b32_e32 v92, 0x7f, v6
	v_cmpx_ne_u32_e32 0x7f, v92
	s_cbranch_execz .LBB220_1270
; %bb.1267:                             ;   in Loop: Header=BB220_678 Depth=1
	v_dual_lshrrev_b32 v88, 3, v92 :: v_dual_bitop2_b32 v6, 7, v6 bitop3:0x40
	s_mov_b32 s16, exec_lo
	v_cmpx_gt_u32_e32 8, v92
; %bb.1268:                             ;   in Loop: Header=BB220_678 Depth=1
	s_delay_alu instid0(VALU_DEP_2) | instskip(NEXT) | instid1(VALU_DEP_1)
	v_clz_i32_u32_e32 v36, v6
	v_min_u32_e32 v36, 32, v36
	s_delay_alu instid0(VALU_DEP_1) | instskip(SKIP_1) | instid1(VALU_DEP_2)
	v_subrev_nc_u32_e32 v37, 28, v36
	v_sub_nc_u32_e32 v88, 29, v36
	v_lshlrev_b64_e32 v[92:93], v37, v[6:7]
	s_delay_alu instid0(VALU_DEP_1)
	v_and_b32_e32 v6, 7, v92
; %bb.1269:                             ;   in Loop: Header=BB220_678 Depth=1
	s_or_b32 exec_lo, exec_lo, s16
	s_delay_alu instid0(VALU_DEP_1) | instskip(SKIP_2) | instid1(VALU_DEP_3)
	v_dual_lshlrev_b32 v36, 16, v104 :: v_dual_lshlrev_b32 v6, 20, v6
	v_lshl_add_u32 v37, v88, 23, 0x3c000000
	v_mov_b32_e32 v88, v7
	v_and_b32_e32 v36, 0x80000000, v36
	s_delay_alu instid0(VALU_DEP_1)
	v_or3_b32 v89, v6, v36, v37
.LBB220_1270:                           ;   in Loop: Header=BB220_678 Depth=1
	s_or_b32 exec_lo, exec_lo, s9
.LBB220_1271:                           ;   in Loop: Header=BB220_678 Depth=1
	s_delay_alu instid0(SALU_CYCLE_1)
	s_or_b32 exec_lo, exec_lo, s8
.LBB220_1272:                           ;   in Loop: Header=BB220_678 Depth=1
	s_delay_alu instid0(SALU_CYCLE_1) | instskip(SKIP_4) | instid1(VALU_DEP_3)
	s_or_b32 exec_lo, exec_lo, s3
	v_lshrrev_b32_e32 v105, 16, v104
	v_mov_b64_e32 v[92:93], 0
	v_mov_b64_e32 v[94:95], 0
	s_mov_b32 s3, exec_lo
	v_and_b32_e32 v6, 0xff, v105
	s_delay_alu instid0(VALU_DEP_1)
	v_cmpx_ne_u16_e32 0, v6
	s_cbranch_execz .LBB220_1280
; %bb.1273:                             ;   in Loop: Header=BB220_678 Depth=1
	v_mov_b64_e32 v[94:95], 0x80000000
	s_mov_b32 s8, exec_lo
	v_cmpx_ne_u16_e32 0x80, v6
	s_cbranch_execz .LBB220_1279
; %bb.1274:                             ;   in Loop: Header=BB220_678 Depth=1
	v_mov_b64_e32 v[94:95], 0x7f800001
	v_bfe_u32 v106, v104, 16, 7
	s_mov_b32 s9, exec_lo
	s_delay_alu instid0(VALU_DEP_1)
	v_cmpx_ne_u32_e32 0x7f, v106
	s_cbranch_execz .LBB220_1278
; %bb.1275:                             ;   in Loop: Header=BB220_678 Depth=1
	v_dual_lshrrev_b32 v94, 3, v106 :: v_dual_bitop2_b32 v6, 7, v105 bitop3:0x40
	s_mov_b32 s16, exec_lo
	v_cmpx_gt_u32_e32 8, v106
; %bb.1276:                             ;   in Loop: Header=BB220_678 Depth=1
	s_delay_alu instid0(VALU_DEP_2) | instskip(NEXT) | instid1(VALU_DEP_1)
	v_clz_i32_u32_e32 v36, v6
	v_min_u32_e32 v36, 32, v36
	s_delay_alu instid0(VALU_DEP_1) | instskip(NEXT) | instid1(VALU_DEP_1)
	v_subrev_nc_u32_e32 v37, 28, v36
	v_lshlrev_b64_e32 v[106:107], v37, v[6:7]
	s_delay_alu instid0(VALU_DEP_1)
	v_dual_sub_nc_u32 v94, 29, v36 :: v_dual_bitop2_b32 v6, 7, v106 bitop3:0x40
; %bb.1277:                             ;   in Loop: Header=BB220_678 Depth=1
	s_or_b32 exec_lo, exec_lo, s16
	s_delay_alu instid0(VALU_DEP_1) | instskip(NEXT) | instid1(VALU_DEP_2)
	v_dual_lshlrev_b32 v36, 24, v105 :: v_dual_lshlrev_b32 v6, 20, v6
	v_lshl_add_u32 v37, v94, 23, 0x3c000000
	s_delay_alu instid0(VALU_DEP_2) | instskip(NEXT) | instid1(VALU_DEP_1)
	v_and_b32_e32 v36, 0x80000000, v36
	v_or3_b32 v6, v6, v36, v37
	s_delay_alu instid0(VALU_DEP_1)
	v_mov_b64_e32 v[94:95], v[6:7]
.LBB220_1278:                           ;   in Loop: Header=BB220_678 Depth=1
	s_or_b32 exec_lo, exec_lo, s9
.LBB220_1279:                           ;   in Loop: Header=BB220_678 Depth=1
	s_delay_alu instid0(SALU_CYCLE_1)
	s_or_b32 exec_lo, exec_lo, s8
.LBB220_1280:                           ;   in Loop: Header=BB220_678 Depth=1
	s_delay_alu instid0(SALU_CYCLE_1) | instskip(NEXT) | instid1(SALU_CYCLE_1)
	s_or_b32 exec_lo, exec_lo, s3
	s_mov_b32 s3, exec_lo
	v_cmpx_lt_u32_e32 0xffffff, v104
	s_cbranch_execz .LBB220_1288
; %bb.1281:                             ;   in Loop: Header=BB220_678 Depth=1
	v_mov_b64_e32 v[92:93], 0x8000000000000000
	v_lshrrev_b32_e32 v105, 24, v104
	s_mov_b32 s8, exec_lo
	s_delay_alu instid0(VALU_DEP_1)
	v_cmpx_ne_u32_e32 0x80, v105
	s_cbranch_execz .LBB220_1287
; %bb.1282:                             ;   in Loop: Header=BB220_678 Depth=1
	v_mov_b64_e32 v[92:93], 0x7f80000100000000
	v_bfe_u32 v104, v104, 24, 7
	s_mov_b32 s9, exec_lo
	s_delay_alu instid0(VALU_DEP_1)
	v_cmpx_ne_u32_e32 0x7f, v104
	s_cbranch_execz .LBB220_1286
; %bb.1283:                             ;   in Loop: Header=BB220_678 Depth=1
	v_dual_lshrrev_b32 v92, 3, v104 :: v_dual_bitop2_b32 v6, 7, v105 bitop3:0x40
	s_mov_b32 s16, exec_lo
	v_cmpx_gt_u32_e32 8, v104
; %bb.1284:                             ;   in Loop: Header=BB220_678 Depth=1
	s_delay_alu instid0(VALU_DEP_2) | instskip(NEXT) | instid1(VALU_DEP_1)
	v_clz_i32_u32_e32 v36, v6
	v_min_u32_e32 v36, 32, v36
	s_delay_alu instid0(VALU_DEP_1) | instskip(NEXT) | instid1(VALU_DEP_1)
	v_subrev_nc_u32_e32 v37, 28, v36
	v_lshlrev_b64_e32 v[106:107], v37, v[6:7]
	s_delay_alu instid0(VALU_DEP_1)
	v_dual_sub_nc_u32 v92, 29, v36 :: v_dual_bitop2_b32 v6, 7, v106 bitop3:0x40
; %bb.1285:                             ;   in Loop: Header=BB220_678 Depth=1
	s_or_b32 exec_lo, exec_lo, s16
	s_delay_alu instid0(VALU_DEP_1) | instskip(NEXT) | instid1(VALU_DEP_2)
	v_dual_lshlrev_b32 v36, 24, v105 :: v_dual_lshlrev_b32 v6, 20, v6
	v_lshl_add_u32 v37, v92, 23, 0x3c000000
	v_mov_b32_e32 v92, v7
	s_delay_alu instid0(VALU_DEP_3) | instskip(NEXT) | instid1(VALU_DEP_1)
	v_and_b32_e32 v36, 0x80000000, v36
	v_or3_b32 v93, v6, v36, v37
.LBB220_1286:                           ;   in Loop: Header=BB220_678 Depth=1
	s_or_b32 exec_lo, exec_lo, s9
.LBB220_1287:                           ;   in Loop: Header=BB220_678 Depth=1
	s_delay_alu instid0(SALU_CYCLE_1)
	s_or_b32 exec_lo, exec_lo, s8
.LBB220_1288:                           ;   in Loop: Header=BB220_678 Depth=1
	s_delay_alu instid0(SALU_CYCLE_1) | instskip(SKIP_4) | instid1(VALU_DEP_3)
	s_or_b32 exec_lo, exec_lo, s3
	v_or_b32_e32 v89, v89, v91
	v_or_b32_e32 v88, v88, v90
	;; [unrolled: 1-line block ×4, first 2 shown]
	v_pk_mul_f32 v[90:91], v[22:23], v[88:89]
	s_delay_alu instid0(VALU_DEP_2)
	v_pk_mul_f32 v[88:89], v[22:23], v[92:93]
	s_and_saveexec_b32 s3, vcc_lo
	s_cbranch_execz .LBB220_1290
; %bb.1289:                             ;   in Loop: Header=BB220_678 Depth=1
	v_cmp_lt_i32_e64 s0, v123, v16
	s_delay_alu instid0(VALU_DEP_1) | instskip(SKIP_1) | instid1(VALU_DEP_1)
	v_cndmask_b32_e64 v90, 0, v90, s0
	v_cmp_lt_i32_e64 s0, v17, v16
	v_cndmask_b32_e64 v91, 0, v91, s0
	v_cmp_lt_i32_e64 s0, v109, v16
	s_delay_alu instid0(VALU_DEP_1) | instskip(SKIP_1) | instid1(VALU_DEP_1)
	v_cndmask_b32_e64 v88, 0, v88, s0
	v_cmp_lt_i32_e64 s0, v108, v16
	v_cndmask_b32_e64 v89, 0, v89, s0
.LBB220_1290:                           ;   in Loop: Header=BB220_678 Depth=1
	s_or_b32 exec_lo, exec_lo, s3
	flat_load_b32 v126, v[50:51] offset:2304
	v_mov_b64_e32 v[92:93], 0
	v_mov_b64_e32 v[94:95], 0
	s_mov_b32 s3, exec_lo
	s_wait_loadcnt_dscnt 0x0
	v_and_b32_e32 v6, 0xff, v126
	s_wait_xcnt 0x0
	s_delay_alu instid0(VALU_DEP_1)
	v_cmpx_ne_u16_e32 0, v6
	s_cbranch_execz .LBB220_1298
; %bb.1291:                             ;   in Loop: Header=BB220_678 Depth=1
	v_mov_b64_e32 v[94:95], 0x80000000
	s_mov_b32 s8, exec_lo
	v_cmpx_ne_u16_e32 0x80, v6
	s_cbranch_execz .LBB220_1297
; %bb.1292:                             ;   in Loop: Header=BB220_678 Depth=1
	v_mov_b64_e32 v[94:95], 0x7f800001
	v_and_b32_e32 v104, 0x7f, v126
	s_mov_b32 s9, exec_lo
	s_delay_alu instid0(VALU_DEP_1)
	v_cmpx_ne_u32_e32 0x7f, v104
	s_cbranch_execz .LBB220_1296
; %bb.1293:                             ;   in Loop: Header=BB220_678 Depth=1
	v_dual_lshrrev_b32 v94, 3, v104 :: v_dual_bitop2_b32 v6, 7, v126 bitop3:0x40
	s_mov_b32 s16, exec_lo
	v_cmpx_gt_u32_e32 8, v104
; %bb.1294:                             ;   in Loop: Header=BB220_678 Depth=1
	s_delay_alu instid0(VALU_DEP_2) | instskip(NEXT) | instid1(VALU_DEP_1)
	v_clz_i32_u32_e32 v36, v6
	v_min_u32_e32 v36, 32, v36
	s_delay_alu instid0(VALU_DEP_1) | instskip(SKIP_1) | instid1(VALU_DEP_2)
	v_subrev_nc_u32_e32 v37, 28, v36
	v_sub_nc_u32_e32 v94, 29, v36
	v_lshlrev_b64_e32 v[104:105], v37, v[6:7]
	s_delay_alu instid0(VALU_DEP_1)
	v_and_b32_e32 v6, 7, v104
; %bb.1295:                             ;   in Loop: Header=BB220_678 Depth=1
	s_or_b32 exec_lo, exec_lo, s16
	v_lshlrev_b32_e32 v36, 24, v126
	s_delay_alu instid0(VALU_DEP_2) | instskip(SKIP_1) | instid1(VALU_DEP_3)
	v_lshlrev_b32_e32 v6, 20, v6
	v_lshl_add_u32 v37, v94, 23, 0x3c000000
	v_and_b32_e32 v36, 0x80000000, v36
	s_delay_alu instid0(VALU_DEP_1) | instskip(NEXT) | instid1(VALU_DEP_1)
	v_or3_b32 v6, v6, v36, v37
	v_mov_b64_e32 v[94:95], v[6:7]
.LBB220_1296:                           ;   in Loop: Header=BB220_678 Depth=1
	s_or_b32 exec_lo, exec_lo, s9
.LBB220_1297:                           ;   in Loop: Header=BB220_678 Depth=1
	s_delay_alu instid0(SALU_CYCLE_1)
	s_or_b32 exec_lo, exec_lo, s8
.LBB220_1298:                           ;   in Loop: Header=BB220_678 Depth=1
	s_delay_alu instid0(SALU_CYCLE_1) | instskip(SKIP_2) | instid1(VALU_DEP_1)
	s_or_b32 exec_lo, exec_lo, s3
	v_lshrrev_b16 v6, 8, v126
	s_mov_b32 s3, exec_lo
	v_cmpx_ne_u16_e32 0, v6
	s_cbranch_execz .LBB220_1306
; %bb.1299:                             ;   in Loop: Header=BB220_678 Depth=1
	v_mov_b64_e32 v[92:93], 0x8000000000000000
	s_mov_b32 s8, exec_lo
	v_cmpx_ne_u16_e32 0x80, v6
	s_cbranch_execz .LBB220_1305
; %bb.1300:                             ;   in Loop: Header=BB220_678 Depth=1
	v_and_b32_e32 v6, 0xffff, v6
	v_mov_b64_e32 v[92:93], 0x7f80000100000000
	s_mov_b32 s9, exec_lo
	s_delay_alu instid0(VALU_DEP_2) | instskip(NEXT) | instid1(VALU_DEP_1)
	v_and_b32_e32 v104, 0x7f, v6
	v_cmpx_ne_u32_e32 0x7f, v104
	s_cbranch_execz .LBB220_1304
; %bb.1301:                             ;   in Loop: Header=BB220_678 Depth=1
	v_dual_lshrrev_b32 v92, 3, v104 :: v_dual_bitop2_b32 v6, 7, v6 bitop3:0x40
	s_mov_b32 s16, exec_lo
	v_cmpx_gt_u32_e32 8, v104
; %bb.1302:                             ;   in Loop: Header=BB220_678 Depth=1
	s_delay_alu instid0(VALU_DEP_2) | instskip(NEXT) | instid1(VALU_DEP_1)
	v_clz_i32_u32_e32 v36, v6
	v_min_u32_e32 v36, 32, v36
	s_delay_alu instid0(VALU_DEP_1) | instskip(SKIP_1) | instid1(VALU_DEP_2)
	v_subrev_nc_u32_e32 v37, 28, v36
	v_sub_nc_u32_e32 v92, 29, v36
	v_lshlrev_b64_e32 v[104:105], v37, v[6:7]
	s_delay_alu instid0(VALU_DEP_1)
	v_and_b32_e32 v6, 7, v104
; %bb.1303:                             ;   in Loop: Header=BB220_678 Depth=1
	s_or_b32 exec_lo, exec_lo, s16
	v_lshlrev_b32_e32 v36, 16, v126
	s_delay_alu instid0(VALU_DEP_2) | instskip(SKIP_2) | instid1(VALU_DEP_4)
	v_lshlrev_b32_e32 v6, 20, v6
	v_lshl_add_u32 v37, v92, 23, 0x3c000000
	v_mov_b32_e32 v92, v7
	v_and_b32_e32 v36, 0x80000000, v36
	s_delay_alu instid0(VALU_DEP_1)
	v_or3_b32 v93, v6, v36, v37
.LBB220_1304:                           ;   in Loop: Header=BB220_678 Depth=1
	s_or_b32 exec_lo, exec_lo, s9
.LBB220_1305:                           ;   in Loop: Header=BB220_678 Depth=1
	s_delay_alu instid0(SALU_CYCLE_1)
	s_or_b32 exec_lo, exec_lo, s8
.LBB220_1306:                           ;   in Loop: Header=BB220_678 Depth=1
	s_delay_alu instid0(SALU_CYCLE_1) | instskip(SKIP_4) | instid1(VALU_DEP_3)
	s_or_b32 exec_lo, exec_lo, s3
	v_lshrrev_b32_e32 v127, 16, v126
	v_mov_b64_e32 v[104:105], 0
	v_mov_b64_e32 v[106:107], 0
	s_mov_b32 s3, exec_lo
	v_and_b32_e32 v6, 0xff, v127
	s_delay_alu instid0(VALU_DEP_1)
	v_cmpx_ne_u16_e32 0, v6
	s_cbranch_execz .LBB220_1314
; %bb.1307:                             ;   in Loop: Header=BB220_678 Depth=1
	v_mov_b64_e32 v[106:107], 0x80000000
	s_mov_b32 s8, exec_lo
	v_cmpx_ne_u16_e32 0x80, v6
	s_cbranch_execz .LBB220_1313
; %bb.1308:                             ;   in Loop: Header=BB220_678 Depth=1
	v_mov_b64_e32 v[106:107], 0x7f800001
	v_bfe_u32 v122, v126, 16, 7
	s_mov_b32 s9, exec_lo
	s_delay_alu instid0(VALU_DEP_1)
	v_cmpx_ne_u32_e32 0x7f, v122
	s_cbranch_execz .LBB220_1312
; %bb.1309:                             ;   in Loop: Header=BB220_678 Depth=1
	v_dual_lshrrev_b32 v106, 3, v122 :: v_dual_bitop2_b32 v6, 7, v127 bitop3:0x40
	s_mov_b32 s16, exec_lo
	v_cmpx_gt_u32_e32 8, v122
; %bb.1310:                             ;   in Loop: Header=BB220_678 Depth=1
	s_delay_alu instid0(VALU_DEP_2) | instskip(NEXT) | instid1(VALU_DEP_1)
	v_clz_i32_u32_e32 v36, v6
	v_min_u32_e32 v106, 32, v36
	s_delay_alu instid0(VALU_DEP_1) | instskip(NEXT) | instid1(VALU_DEP_1)
	v_subrev_nc_u32_e32 v36, 28, v106
	v_lshlrev_b64_e32 v[36:37], v36, v[6:7]
	s_delay_alu instid0(VALU_DEP_1)
	v_dual_sub_nc_u32 v106, 29, v106 :: v_dual_bitop2_b32 v6, 7, v36 bitop3:0x40
; %bb.1311:                             ;   in Loop: Header=BB220_678 Depth=1
	s_or_b32 exec_lo, exec_lo, s16
	s_delay_alu instid0(VALU_DEP_1) | instskip(NEXT) | instid1(VALU_DEP_2)
	v_dual_lshlrev_b32 v36, 24, v127 :: v_dual_lshlrev_b32 v6, 20, v6
	v_lshl_add_u32 v37, v106, 23, 0x3c000000
	s_delay_alu instid0(VALU_DEP_2) | instskip(NEXT) | instid1(VALU_DEP_1)
	v_and_b32_e32 v36, 0x80000000, v36
	v_or3_b32 v6, v6, v36, v37
	s_delay_alu instid0(VALU_DEP_1)
	v_mov_b64_e32 v[106:107], v[6:7]
.LBB220_1312:                           ;   in Loop: Header=BB220_678 Depth=1
	s_or_b32 exec_lo, exec_lo, s9
.LBB220_1313:                           ;   in Loop: Header=BB220_678 Depth=1
	s_delay_alu instid0(SALU_CYCLE_1)
	s_or_b32 exec_lo, exec_lo, s8
.LBB220_1314:                           ;   in Loop: Header=BB220_678 Depth=1
	s_delay_alu instid0(SALU_CYCLE_1) | instskip(NEXT) | instid1(SALU_CYCLE_1)
	s_or_b32 exec_lo, exec_lo, s3
	s_mov_b32 s3, exec_lo
	v_cmpx_lt_u32_e32 0xffffff, v126
	s_cbranch_execz .LBB220_1322
; %bb.1315:                             ;   in Loop: Header=BB220_678 Depth=1
	v_mov_b64_e32 v[104:105], 0x8000000000000000
	v_lshrrev_b32_e32 v127, 24, v126
	s_mov_b32 s8, exec_lo
	s_delay_alu instid0(VALU_DEP_1)
	v_cmpx_ne_u32_e32 0x80, v127
	s_cbranch_execz .LBB220_1321
; %bb.1316:                             ;   in Loop: Header=BB220_678 Depth=1
	v_mov_b64_e32 v[104:105], 0x7f80000100000000
	v_bfe_u32 v122, v126, 24, 7
	s_mov_b32 s9, exec_lo
	s_delay_alu instid0(VALU_DEP_1)
	v_cmpx_ne_u32_e32 0x7f, v122
	s_cbranch_execz .LBB220_1320
; %bb.1317:                             ;   in Loop: Header=BB220_678 Depth=1
	v_dual_lshrrev_b32 v104, 3, v122 :: v_dual_bitop2_b32 v6, 7, v127 bitop3:0x40
	s_mov_b32 s16, exec_lo
	v_cmpx_gt_u32_e32 8, v122
; %bb.1318:                             ;   in Loop: Header=BB220_678 Depth=1
	s_delay_alu instid0(VALU_DEP_2) | instskip(NEXT) | instid1(VALU_DEP_1)
	v_clz_i32_u32_e32 v36, v6
	v_min_u32_e32 v104, 32, v36
	s_delay_alu instid0(VALU_DEP_1) | instskip(SKIP_1) | instid1(VALU_DEP_2)
	v_subrev_nc_u32_e32 v36, 28, v104
	v_sub_nc_u32_e32 v104, 29, v104
	v_lshlrev_b64_e32 v[36:37], v36, v[6:7]
	s_delay_alu instid0(VALU_DEP_1)
	v_and_b32_e32 v6, 7, v36
; %bb.1319:                             ;   in Loop: Header=BB220_678 Depth=1
	s_or_b32 exec_lo, exec_lo, s16
	s_delay_alu instid0(VALU_DEP_1) | instskip(SKIP_2) | instid1(VALU_DEP_3)
	v_dual_lshlrev_b32 v36, 24, v127 :: v_dual_lshlrev_b32 v6, 20, v6
	v_lshl_add_u32 v37, v104, 23, 0x3c000000
	v_mov_b32_e32 v104, v7
	v_and_b32_e32 v36, 0x80000000, v36
	s_delay_alu instid0(VALU_DEP_1)
	v_or3_b32 v105, v6, v36, v37
.LBB220_1320:                           ;   in Loop: Header=BB220_678 Depth=1
	s_or_b32 exec_lo, exec_lo, s9
.LBB220_1321:                           ;   in Loop: Header=BB220_678 Depth=1
	s_delay_alu instid0(SALU_CYCLE_1)
	s_or_b32 exec_lo, exec_lo, s8
.LBB220_1322:                           ;   in Loop: Header=BB220_678 Depth=1
	s_delay_alu instid0(SALU_CYCLE_1) | instskip(SKIP_4) | instid1(VALU_DEP_3)
	s_or_b32 exec_lo, exec_lo, s3
	v_or_b32_e32 v37, v93, v95
	v_or_b32_e32 v36, v92, v94
	;; [unrolled: 1-line block ×4, first 2 shown]
	v_pk_mul_f32 v[94:95], v[22:23], v[36:37]
	s_delay_alu instid0(VALU_DEP_2)
	v_pk_mul_f32 v[92:93], v[22:23], v[92:93]
	s_and_saveexec_b32 s3, vcc_lo
	s_cbranch_execz .LBB220_1324
; %bb.1323:                             ;   in Loop: Header=BB220_678 Depth=1
	v_cmp_lt_i32_e64 s0, v123, v16
	s_delay_alu instid0(VALU_DEP_1) | instskip(SKIP_1) | instid1(VALU_DEP_1)
	v_cndmask_b32_e64 v94, 0, v94, s0
	v_cmp_lt_i32_e64 s0, v17, v16
	v_cndmask_b32_e64 v95, 0, v95, s0
	v_cmp_lt_i32_e64 s0, v109, v16
	s_delay_alu instid0(VALU_DEP_1) | instskip(SKIP_1) | instid1(VALU_DEP_1)
	v_cndmask_b32_e64 v92, 0, v92, s0
	v_cmp_lt_i32_e64 s0, v108, v16
	v_cndmask_b32_e64 v93, 0, v93, s0
.LBB220_1324:                           ;   in Loop: Header=BB220_678 Depth=1
	s_or_b32 exec_lo, exec_lo, s3
	flat_load_b32 v126, v[50:51] offset:2432
	s_wait_xcnt 0x0
	v_mov_b64_e32 v[50:51], 0
	v_mov_b64_e32 v[104:105], 0
	s_mov_b32 s3, exec_lo
	s_wait_loadcnt_dscnt 0x0
	v_and_b32_e32 v6, 0xff, v126
	s_delay_alu instid0(VALU_DEP_1)
	v_cmpx_ne_u16_e32 0, v6
	s_cbranch_execz .LBB220_1332
; %bb.1325:                             ;   in Loop: Header=BB220_678 Depth=1
	v_mov_b64_e32 v[104:105], 0x80000000
	s_mov_b32 s8, exec_lo
	v_cmpx_ne_u16_e32 0x80, v6
	s_cbranch_execz .LBB220_1331
; %bb.1326:                             ;   in Loop: Header=BB220_678 Depth=1
	v_mov_b64_e32 v[104:105], 0x7f800001
	v_and_b32_e32 v106, 0x7f, v126
	s_mov_b32 s9, exec_lo
	s_delay_alu instid0(VALU_DEP_1)
	v_cmpx_ne_u32_e32 0x7f, v106
	s_cbranch_execz .LBB220_1330
; %bb.1327:                             ;   in Loop: Header=BB220_678 Depth=1
	v_and_b32_e32 v6, 7, v126
	v_lshrrev_b32_e32 v104, 3, v106
	s_mov_b32 s16, exec_lo
	v_cmpx_gt_u32_e32 8, v106
; %bb.1328:                             ;   in Loop: Header=BB220_678 Depth=1
	s_delay_alu instid0(VALU_DEP_3) | instskip(NEXT) | instid1(VALU_DEP_1)
	v_clz_i32_u32_e32 v36, v6
	v_min_u32_e32 v104, 32, v36
	s_delay_alu instid0(VALU_DEP_1) | instskip(SKIP_1) | instid1(VALU_DEP_2)
	v_subrev_nc_u32_e32 v36, 28, v104
	v_sub_nc_u32_e32 v104, 29, v104
	v_lshlrev_b64_e32 v[36:37], v36, v[6:7]
	s_delay_alu instid0(VALU_DEP_1)
	v_and_b32_e32 v6, 7, v36
; %bb.1329:                             ;   in Loop: Header=BB220_678 Depth=1
	s_or_b32 exec_lo, exec_lo, s16
	v_lshlrev_b32_e32 v36, 24, v126
	s_delay_alu instid0(VALU_DEP_2) | instskip(SKIP_1) | instid1(VALU_DEP_3)
	v_lshlrev_b32_e32 v6, 20, v6
	v_lshl_add_u32 v37, v104, 23, 0x3c000000
	v_and_b32_e32 v36, 0x80000000, v36
	s_delay_alu instid0(VALU_DEP_1) | instskip(NEXT) | instid1(VALU_DEP_1)
	v_or3_b32 v6, v6, v36, v37
	v_mov_b64_e32 v[104:105], v[6:7]
.LBB220_1330:                           ;   in Loop: Header=BB220_678 Depth=1
	s_or_b32 exec_lo, exec_lo, s9
.LBB220_1331:                           ;   in Loop: Header=BB220_678 Depth=1
	s_delay_alu instid0(SALU_CYCLE_1)
	s_or_b32 exec_lo, exec_lo, s8
.LBB220_1332:                           ;   in Loop: Header=BB220_678 Depth=1
	s_delay_alu instid0(SALU_CYCLE_1) | instskip(SKIP_2) | instid1(VALU_DEP_1)
	s_or_b32 exec_lo, exec_lo, s3
	v_lshrrev_b16 v6, 8, v126
	s_mov_b32 s3, exec_lo
	v_cmpx_ne_u16_e32 0, v6
	s_cbranch_execz .LBB220_1340
; %bb.1333:                             ;   in Loop: Header=BB220_678 Depth=1
	v_mov_b64_e32 v[50:51], 0x8000000000000000
	s_mov_b32 s8, exec_lo
	v_cmpx_ne_u16_e32 0x80, v6
	s_cbranch_execz .LBB220_1339
; %bb.1334:                             ;   in Loop: Header=BB220_678 Depth=1
	v_and_b32_e32 v6, 0xffff, v6
	v_mov_b64_e32 v[50:51], 0x7f80000100000000
	s_mov_b32 s9, exec_lo
	s_delay_alu instid0(VALU_DEP_2) | instskip(NEXT) | instid1(VALU_DEP_1)
	v_and_b32_e32 v106, 0x7f, v6
	v_cmpx_ne_u32_e32 0x7f, v106
	s_cbranch_execz .LBB220_1338
; %bb.1335:                             ;   in Loop: Header=BB220_678 Depth=1
	v_and_b32_e32 v6, 7, v6
	v_lshrrev_b32_e32 v50, 3, v106
	s_mov_b32 s16, exec_lo
	v_cmpx_gt_u32_e32 8, v106
; %bb.1336:                             ;   in Loop: Header=BB220_678 Depth=1
	s_delay_alu instid0(VALU_DEP_3) | instskip(NEXT) | instid1(VALU_DEP_1)
	v_clz_i32_u32_e32 v36, v6
	v_min_u32_e32 v50, 32, v36
	s_delay_alu instid0(VALU_DEP_1) | instskip(NEXT) | instid1(VALU_DEP_1)
	v_subrev_nc_u32_e32 v36, 28, v50
	v_lshlrev_b64_e32 v[36:37], v36, v[6:7]
	s_delay_alu instid0(VALU_DEP_1)
	v_dual_sub_nc_u32 v50, 29, v50 :: v_dual_bitop2_b32 v6, 7, v36 bitop3:0x40
; %bb.1337:                             ;   in Loop: Header=BB220_678 Depth=1
	s_or_b32 exec_lo, exec_lo, s16
	v_lshlrev_b32_e32 v36, 16, v126
	s_delay_alu instid0(VALU_DEP_2) | instskip(NEXT) | instid1(VALU_DEP_3)
	v_lshlrev_b32_e32 v6, 20, v6
	v_lshl_add_u32 v37, v50, 23, 0x3c000000
	v_mov_b32_e32 v50, v7
	s_delay_alu instid0(VALU_DEP_4) | instskip(NEXT) | instid1(VALU_DEP_1)
	v_and_b32_e32 v36, 0x80000000, v36
	v_or3_b32 v51, v6, v36, v37
.LBB220_1338:                           ;   in Loop: Header=BB220_678 Depth=1
	s_or_b32 exec_lo, exec_lo, s9
.LBB220_1339:                           ;   in Loop: Header=BB220_678 Depth=1
	s_delay_alu instid0(SALU_CYCLE_1)
	s_or_b32 exec_lo, exec_lo, s8
.LBB220_1340:                           ;   in Loop: Header=BB220_678 Depth=1
	s_delay_alu instid0(SALU_CYCLE_1) | instskip(SKIP_4) | instid1(VALU_DEP_3)
	s_or_b32 exec_lo, exec_lo, s3
	v_lshrrev_b32_e32 v127, 16, v126
	v_mov_b64_e32 v[106:107], 0
	v_mov_b64_e32 v[108:109], 0
	s_mov_b32 s3, exec_lo
	v_and_b32_e32 v6, 0xff, v127
	s_delay_alu instid0(VALU_DEP_1)
	v_cmpx_ne_u16_e32 0, v6
	s_cbranch_execz .LBB220_1348
; %bb.1341:                             ;   in Loop: Header=BB220_678 Depth=1
	v_mov_b64_e32 v[108:109], 0x80000000
	s_mov_b32 s8, exec_lo
	v_cmpx_ne_u16_e32 0x80, v6
	s_cbranch_execz .LBB220_1347
; %bb.1342:                             ;   in Loop: Header=BB220_678 Depth=1
	v_mov_b64_e32 v[108:109], 0x7f800001
	v_bfe_u32 v122, v126, 16, 7
	s_mov_b32 s9, exec_lo
	s_delay_alu instid0(VALU_DEP_1)
	v_cmpx_ne_u32_e32 0x7f, v122
	s_cbranch_execz .LBB220_1346
; %bb.1343:                             ;   in Loop: Header=BB220_678 Depth=1
	v_dual_lshrrev_b32 v108, 3, v122 :: v_dual_bitop2_b32 v6, 7, v127 bitop3:0x40
	s_mov_b32 s16, exec_lo
	v_cmpx_gt_u32_e32 8, v122
; %bb.1344:                             ;   in Loop: Header=BB220_678 Depth=1
	s_delay_alu instid0(VALU_DEP_2) | instskip(NEXT) | instid1(VALU_DEP_1)
	v_clz_i32_u32_e32 v36, v6
	v_min_u32_e32 v108, 32, v36
	s_delay_alu instid0(VALU_DEP_1) | instskip(SKIP_1) | instid1(VALU_DEP_2)
	v_subrev_nc_u32_e32 v36, 28, v108
	v_sub_nc_u32_e32 v108, 29, v108
	v_lshlrev_b64_e32 v[36:37], v36, v[6:7]
	s_delay_alu instid0(VALU_DEP_1)
	v_and_b32_e32 v6, 7, v36
; %bb.1345:                             ;   in Loop: Header=BB220_678 Depth=1
	s_or_b32 exec_lo, exec_lo, s16
	s_delay_alu instid0(VALU_DEP_1) | instskip(SKIP_1) | instid1(VALU_DEP_2)
	v_dual_lshlrev_b32 v36, 24, v127 :: v_dual_lshlrev_b32 v6, 20, v6
	v_lshl_add_u32 v37, v108, 23, 0x3c000000
	v_and_b32_e32 v36, 0x80000000, v36
	s_delay_alu instid0(VALU_DEP_1) | instskip(NEXT) | instid1(VALU_DEP_1)
	v_or3_b32 v6, v6, v36, v37
	v_mov_b64_e32 v[108:109], v[6:7]
.LBB220_1346:                           ;   in Loop: Header=BB220_678 Depth=1
	s_or_b32 exec_lo, exec_lo, s9
.LBB220_1347:                           ;   in Loop: Header=BB220_678 Depth=1
	s_delay_alu instid0(SALU_CYCLE_1)
	s_or_b32 exec_lo, exec_lo, s8
.LBB220_1348:                           ;   in Loop: Header=BB220_678 Depth=1
	s_delay_alu instid0(SALU_CYCLE_1) | instskip(NEXT) | instid1(SALU_CYCLE_1)
	s_or_b32 exec_lo, exec_lo, s3
	s_mov_b32 s3, exec_lo
	v_cmpx_lt_u32_e32 0xffffff, v126
	s_cbranch_execz .LBB220_1356
; %bb.1349:                             ;   in Loop: Header=BB220_678 Depth=1
	v_mov_b64_e32 v[106:107], 0x8000000000000000
	v_lshrrev_b32_e32 v127, 24, v126
	s_mov_b32 s8, exec_lo
	s_delay_alu instid0(VALU_DEP_1)
	v_cmpx_ne_u32_e32 0x80, v127
	s_cbranch_execz .LBB220_1355
; %bb.1350:                             ;   in Loop: Header=BB220_678 Depth=1
	v_mov_b64_e32 v[106:107], 0x7f80000100000000
	v_bfe_u32 v122, v126, 24, 7
	s_mov_b32 s9, exec_lo
	s_delay_alu instid0(VALU_DEP_1)
	v_cmpx_ne_u32_e32 0x7f, v122
	s_cbranch_execz .LBB220_1354
; %bb.1351:                             ;   in Loop: Header=BB220_678 Depth=1
	v_dual_lshrrev_b32 v106, 3, v122 :: v_dual_bitop2_b32 v6, 7, v127 bitop3:0x40
	s_mov_b32 s16, exec_lo
	v_cmpx_gt_u32_e32 8, v122
; %bb.1352:                             ;   in Loop: Header=BB220_678 Depth=1
	s_delay_alu instid0(VALU_DEP_2) | instskip(NEXT) | instid1(VALU_DEP_1)
	v_clz_i32_u32_e32 v36, v6
	v_min_u32_e32 v106, 32, v36
	s_delay_alu instid0(VALU_DEP_1) | instskip(NEXT) | instid1(VALU_DEP_1)
	v_subrev_nc_u32_e32 v36, 28, v106
	v_lshlrev_b64_e32 v[36:37], v36, v[6:7]
	s_delay_alu instid0(VALU_DEP_1)
	v_dual_sub_nc_u32 v106, 29, v106 :: v_dual_bitop2_b32 v6, 7, v36 bitop3:0x40
; %bb.1353:                             ;   in Loop: Header=BB220_678 Depth=1
	s_or_b32 exec_lo, exec_lo, s16
	s_delay_alu instid0(VALU_DEP_1) | instskip(NEXT) | instid1(VALU_DEP_2)
	v_dual_lshlrev_b32 v36, 24, v127 :: v_dual_lshlrev_b32 v6, 20, v6
	v_lshl_add_u32 v37, v106, 23, 0x3c000000
	v_mov_b32_e32 v106, v7
	s_delay_alu instid0(VALU_DEP_3) | instskip(NEXT) | instid1(VALU_DEP_1)
	v_and_b32_e32 v36, 0x80000000, v36
	v_or3_b32 v107, v6, v36, v37
.LBB220_1354:                           ;   in Loop: Header=BB220_678 Depth=1
	s_or_b32 exec_lo, exec_lo, s9
.LBB220_1355:                           ;   in Loop: Header=BB220_678 Depth=1
	s_delay_alu instid0(SALU_CYCLE_1)
	s_or_b32 exec_lo, exec_lo, s8
.LBB220_1356:                           ;   in Loop: Header=BB220_678 Depth=1
	s_delay_alu instid0(SALU_CYCLE_1) | instskip(SKIP_4) | instid1(VALU_DEP_3)
	s_or_b32 exec_lo, exec_lo, s3
	v_or_b32_e32 v37, v51, v105
	v_or_b32_e32 v36, v50, v104
	;; [unrolled: 1-line block ×4, first 2 shown]
	v_pk_mul_f32 v[104:105], v[22:23], v[36:37]
	s_delay_alu instid0(VALU_DEP_2)
	v_pk_mul_f32 v[50:51], v[22:23], v[50:51]
	s_and_saveexec_b32 s3, vcc_lo
	s_cbranch_execz .LBB220_677
; %bb.1357:                             ;   in Loop: Header=BB220_678 Depth=1
	v_cmp_lt_i32_e32 vcc_lo, v123, v16
	v_cmp_lt_i32_e64 s0, v17, v111
	v_dual_cndmask_b32 v104, 0, v104, vcc_lo :: v_dual_bitop2_b32 v17, 2, v123 bitop3:0x54
	s_delay_alu instid0(VALU_DEP_2) | instskip(NEXT) | instid1(VALU_DEP_2)
	v_cndmask_b32_e64 v105, 0, v105, s0
	v_cmp_lt_i32_e32 vcc_lo, v17, v16
	v_dual_cndmask_b32 v50, 0, v50, vcc_lo :: v_dual_bitop2_b32 v6, 3, v123 bitop3:0x54
	s_delay_alu instid0(VALU_DEP_1) | instskip(NEXT) | instid1(VALU_DEP_1)
	v_cmp_lt_i32_e64 s0, v6, v111
	v_cndmask_b32_e64 v51, 0, v51, s0
	s_branch .LBB220_677
.LBB220_1358:
	s_or_b32 exec_lo, exec_lo, s2
	scratch_load_b32 v70, off, s32 offset:204 ; 4-byte Folded Reload
	v_mov_b64_e32 v[0:1], s[10:11]
.LBB220_1359:
	s_wait_xcnt 0x0
	s_or_b32 exec_lo, exec_lo, s1
	ds_bpermute_b32 v16, v121, v26
	ds_bpermute_b32 v17, v121, v27
	;; [unrolled: 1-line block ×6, first 2 shown]
	v_lshl_add_u64 v[0:1], v[0:1], 2, s[6:7]
	s_wait_storecnt 0x0
	s_wait_loadcnt_dscnt 0x0
	s_barrier_signal -1
	s_barrier_wait -1
	global_load_b32 v22, v[0:1], off
	s_wait_xcnt 0x0
	ds_bpermute_b32 v0, v121, v34
	ds_bpermute_b32 v1, v121, v35
	;; [unrolled: 1-line block ×6, first 2 shown]
	s_mov_b32 s0, exec_lo
	scratch_load_b32 v23, off, s32 offset:732 th:TH_LOAD_LU ; 4-byte Folded Reload
	v_pk_add_f32 v[16:17], v[26:27], v[16:17]
	v_pk_add_f32 v[10:11], v[28:29], v[10:11]
	ds_bpermute_b32 v28, v121, v8
	ds_bpermute_b32 v29, v121, v9
	v_pk_add_f32 v[18:19], v[24:25], v[18:19]
	ds_bpermute_b32 v24, v120, v16
	ds_bpermute_b32 v25, v120, v17
	;; [unrolled: 1-line block ×6, first 2 shown]
	s_wait_dscnt 0xc
	v_pk_add_f32 v[0:1], v[34:35], v[0:1]
	ds_bpermute_b32 v34, v121, v12
	s_wait_dscnt 0xb
	v_pk_add_f32 v[2:3], v[32:33], v[2:3]
	ds_bpermute_b32 v32, v121, v14
	;; [unrolled: 3-line block ×3, first 2 shown]
	ds_bpermute_b32 v5, v120, v1
	ds_bpermute_b32 v30, v121, v20
	;; [unrolled: 1-line block ×6, first 2 shown]
	s_wait_dscnt 0xf
	v_pk_add_f32 v[8:9], v[8:9], v[28:29]
	ds_bpermute_b32 v39, v120, v7
	s_wait_dscnt 0xe
	v_pk_add_f32 v[24:25], v[16:17], v[24:25]
	s_wait_dscnt 0xc
	v_pk_add_f32 v[10:11], v[10:11], v[26:27]
	ds_bpermute_b32 v26, v120, v8
	ds_bpermute_b32 v27, v120, v9
	;; [unrolled: 1-line block ×4, first 2 shown]
	s_wait_dscnt 0xe
	v_pk_add_f32 v[48:49], v[18:19], v[48:49]
	s_wait_dscnt 0xa
	v_pk_add_f32 v[0:1], v[0:1], v[4:5]
	ds_bpermute_b32 v4, v120, v2
	ds_bpermute_b32 v5, v120, v3
	s_wait_dscnt 0xa
	v_pk_add_f32 v[20:21], v[20:21], v[30:31]
	s_wait_dscnt 0x9
	v_pk_add_f32 v[14:15], v[14:15], v[32:33]
	ds_bpermute_b32 v36, v110, v0
	ds_bpermute_b32 v37, v110, v1
	s_wait_dscnt 0x8
	v_pk_add_f32 v[6:7], v[6:7], v[38:39]
	ds_bpermute_b32 v38, v110, v10
	ds_bpermute_b32 v30, v120, v14
	;; [unrolled: 1-line block ×5, first 2 shown]
	s_wait_dscnt 0xb
	v_pk_add_f32 v[18:19], v[8:9], v[26:27]
	ds_bpermute_b32 v55, v110, v49
	s_wait_dscnt 0xa
	v_pk_add_f32 v[8:9], v[24:25], v[50:51]
	scratch_load_b32 v25, off, s32 offset:740 ; 4-byte Folded Reload
	s_wait_dscnt 0x8
	v_pk_add_f32 v[2:3], v[2:3], v[4:5]
	v_pk_add_f32 v[4:5], v[12:13], v[34:35]
	ds_bpermute_b32 v12, v120, v20
	ds_bpermute_b32 v13, v120, v21
	;; [unrolled: 1-line block ×6, first 2 shown]
	s_wait_dscnt 0x9
	v_pk_add_f32 v[30:31], v[14:15], v[30:31]
	ds_bpermute_b32 v29, v110, v3
	ds_bpermute_b32 v35, v110, v7
	v_pk_add_f32 v[16:17], v[0:1], v[36:37]
	s_wait_dscnt 0xa
	v_pk_add_f32 v[10:11], v[10:11], v[38:39]
	ds_bpermute_b32 v66, v110, v30
	ds_bpermute_b32 v67, v110, v31
	s_wait_dscnt 0x8
	v_pk_add_f32 v[52:53], v[20:21], v[12:13]
	ds_bpermute_b32 v20, v110, v18
	ds_bpermute_b32 v21, v110, v19
	;; [unrolled: 4-line block ×3, first 2 shown]
	s_wait_dscnt 0x7
	v_pk_add_f32 v[14:15], v[2:3], v[28:29]
	s_wait_dscnt 0x6
	v_pk_add_f32 v[12:13], v[6:7], v[34:35]
	ds_bpermute_b32 v68, v110, v32
	ds_bpermute_b32 v69, v110, v33
	v_pk_add_f32 v[4:5], v[48:49], v[54:55]
	s_wait_dscnt 0x6
	v_pk_add_f32 v[2:3], v[30:31], v[66:67]
	s_wait_dscnt 0x2
	;; [unrolled: 2-line block ×3, first 2 shown]
	v_pk_add_f32 v[0:1], v[32:33], v[68:69]
	s_wait_loadcnt 0x1
	v_lshrrev_b32_e32 v23, 3, v23
	s_wait_loadcnt 0x0
	v_and_b32_e32 v24, 0x3c7, v25
	s_delay_alu instid0(VALU_DEP_1) | instskip(SKIP_1) | instid1(SALU_CYCLE_1)
	v_cmpx_ne_u32_e32 64, v24
	s_xor_b32 s0, exec_lo, s0
	s_or_saveexec_b32 s0, s0
	v_pk_add_f32 v[18:19], v[18:19], v[20:21]
	scratch_load_b32 v20, off, s32 offset:736 th:TH_LOAD_LU ; 4-byte Folded Reload
	v_lshl_add_u32 v21, v23, 2, v22
	s_wait_loadcnt 0x0
	v_mul_u32_u24_e32 v20, 0x140, v20
	s_xor_b32 exec_lo, exec_lo, s0
	s_cbranch_execz .LBB220_1361
; %bb.1360:
	s_delay_alu instid0(VALU_DEP_1) | instskip(NEXT) | instid1(VALU_DEP_1)
	v_add_nc_u32_e32 v24, v21, v20
	v_add_nc_u32_e32 v25, 0xfffffd80, v24
	;; [unrolled: 1-line block ×9, first 2 shown]
	ds_store_b32 v25, v16
	ds_store_b32 v26, v17
	;; [unrolled: 1-line block ×8, first 2 shown]
	v_add_nc_u32_e32 v25, 0xfffffe00, v24
	v_add_nc_u32_e32 v26, 0xfffffe10, v24
	ds_store_b32 v25, v8
	ds_store_b32 v26, v9
	scratch_load_b32 v25, off, s32 offset:740 ; 4-byte Folded Reload
	v_add_nc_u32_e32 v27, 0xfffffe20, v24
	v_add_nc_u32_e32 v28, 0xfffffe30, v24
	;; [unrolled: 1-line block ×10, first 2 shown]
	ds_store_b32 v27, v4
	ds_store_b32 v28, v5
	;; [unrolled: 1-line block ×10, first 2 shown]
.LBB220_1361:
	s_wait_xcnt 0x0
	s_or_b32 exec_lo, exec_lo, s0
	v_lshlrev_b32_e32 v23, 2, v23
	s_mov_b32 s1, exec_lo
	v_cmp_eq_u32_e32 vcc_lo, 0, v70
	s_wait_loadcnt_dscnt 0x0
	s_barrier_signal -1
	v_add3_u32 v20, v22, v20, v23
	s_barrier_wait -1
	v_cmpx_gt_u32_e32 64, v25
	s_cbranch_execz .LBB220_1384
; %bb.1362:
	s_and_saveexec_b32 s0, vcc_lo
	s_cbranch_execnz .LBB220_1412
; %bb.1363:
	s_or_b32 exec_lo, exec_lo, s0
	s_and_saveexec_b32 s0, vcc_lo
	s_cbranch_execnz .LBB220_1413
.LBB220_1364:
	s_or_b32 exec_lo, exec_lo, s0
	s_and_saveexec_b32 s0, vcc_lo
	s_cbranch_execnz .LBB220_1414
.LBB220_1365:
	s_or_b32 exec_lo, exec_lo, s0
	s_and_saveexec_b32 s0, vcc_lo
	s_cbranch_execnz .LBB220_1415
.LBB220_1366:
	s_or_b32 exec_lo, exec_lo, s0
	s_and_saveexec_b32 s0, vcc_lo
	s_cbranch_execnz .LBB220_1416
.LBB220_1367:
	s_or_b32 exec_lo, exec_lo, s0
	s_and_saveexec_b32 s0, vcc_lo
	s_cbranch_execnz .LBB220_1417
.LBB220_1368:
	s_or_b32 exec_lo, exec_lo, s0
	s_and_saveexec_b32 s0, vcc_lo
	s_cbranch_execnz .LBB220_1418
.LBB220_1369:
	s_or_b32 exec_lo, exec_lo, s0
	s_and_saveexec_b32 s0, vcc_lo
	s_cbranch_execnz .LBB220_1419
.LBB220_1370:
	s_or_b32 exec_lo, exec_lo, s0
	s_and_saveexec_b32 s0, vcc_lo
	s_cbranch_execnz .LBB220_1420
.LBB220_1371:
	s_or_b32 exec_lo, exec_lo, s0
	s_and_saveexec_b32 s0, vcc_lo
	s_cbranch_execnz .LBB220_1421
.LBB220_1372:
	s_or_b32 exec_lo, exec_lo, s0
	s_and_saveexec_b32 s0, vcc_lo
	s_cbranch_execnz .LBB220_1422
.LBB220_1373:
	s_or_b32 exec_lo, exec_lo, s0
	s_and_saveexec_b32 s0, vcc_lo
	s_cbranch_execnz .LBB220_1423
.LBB220_1374:
	s_or_b32 exec_lo, exec_lo, s0
	s_and_saveexec_b32 s0, vcc_lo
	s_cbranch_execnz .LBB220_1424
.LBB220_1375:
	s_or_b32 exec_lo, exec_lo, s0
	s_and_saveexec_b32 s0, vcc_lo
	s_cbranch_execnz .LBB220_1425
.LBB220_1376:
	s_or_b32 exec_lo, exec_lo, s0
	s_and_saveexec_b32 s0, vcc_lo
	s_cbranch_execnz .LBB220_1426
.LBB220_1377:
	s_or_b32 exec_lo, exec_lo, s0
	s_and_saveexec_b32 s0, vcc_lo
	s_cbranch_execnz .LBB220_1427
.LBB220_1378:
	s_or_b32 exec_lo, exec_lo, s0
	s_and_saveexec_b32 s0, vcc_lo
	s_cbranch_execnz .LBB220_1428
.LBB220_1379:
	s_or_b32 exec_lo, exec_lo, s0
	s_and_saveexec_b32 s0, vcc_lo
	s_cbranch_execnz .LBB220_1429
.LBB220_1380:
	s_or_b32 exec_lo, exec_lo, s0
	s_and_saveexec_b32 s0, vcc_lo
	s_cbranch_execnz .LBB220_1430
.LBB220_1381:
	s_or_b32 exec_lo, exec_lo, s0
	s_and_saveexec_b32 s0, vcc_lo
	s_cbranch_execz .LBB220_1383
.LBB220_1382:
	ds_load_b32 v22, v20 offset:304
	s_wait_dscnt 0x0
	v_add_f32_e32 v19, v22, v19
.LBB220_1383:
	s_or_b32 exec_lo, exec_lo, s0
.LBB220_1384:
	s_delay_alu instid0(SALU_CYCLE_1) | instskip(SKIP_4) | instid1(VALU_DEP_1)
	s_or_b32 exec_lo, exec_lo, s1
	v_and_b32_e32 v22, 0x3e7, v25
	s_mov_b32 s1, exec_lo
	s_barrier_signal -1
	s_barrier_wait -1
	v_cmpx_eq_u32_e32 32, v22
	s_cbranch_execz .LBB220_1386
; %bb.1385:
	ds_store_2addr_b32 v21, v16, v17 offset1:4
	ds_store_2addr_b32 v21, v14, v15 offset0:8 offset1:12
	ds_store_2addr_b32 v21, v12, v13 offset0:16 offset1:20
	;; [unrolled: 1-line block ×9, first 2 shown]
.LBB220_1386:
	s_or_b32 exec_lo, exec_lo, s1
	s_delay_alu instid0(SALU_CYCLE_1)
	s_mov_b32 s1, exec_lo
	s_wait_dscnt 0x0
	s_barrier_signal -1
	s_barrier_wait -1
	v_cmpx_gt_u32_e32 32, v25
	s_cbranch_execz .LBB220_1409
; %bb.1387:
	s_and_saveexec_b32 s0, vcc_lo
	s_cbranch_execnz .LBB220_1431
; %bb.1388:
	s_or_b32 exec_lo, exec_lo, s0
	s_and_saveexec_b32 s0, vcc_lo
	s_cbranch_execnz .LBB220_1432
.LBB220_1389:
	s_or_b32 exec_lo, exec_lo, s0
	s_and_saveexec_b32 s0, vcc_lo
	s_cbranch_execnz .LBB220_1433
.LBB220_1390:
	s_or_b32 exec_lo, exec_lo, s0
	s_and_saveexec_b32 s0, vcc_lo
	s_cbranch_execnz .LBB220_1434
.LBB220_1391:
	s_or_b32 exec_lo, exec_lo, s0
	s_and_saveexec_b32 s0, vcc_lo
	s_cbranch_execnz .LBB220_1435
.LBB220_1392:
	s_or_b32 exec_lo, exec_lo, s0
	s_and_saveexec_b32 s0, vcc_lo
	s_cbranch_execnz .LBB220_1436
.LBB220_1393:
	s_or_b32 exec_lo, exec_lo, s0
	s_and_saveexec_b32 s0, vcc_lo
	s_cbranch_execnz .LBB220_1437
.LBB220_1394:
	s_or_b32 exec_lo, exec_lo, s0
	s_and_saveexec_b32 s0, vcc_lo
	s_cbranch_execnz .LBB220_1438
.LBB220_1395:
	s_or_b32 exec_lo, exec_lo, s0
	s_and_saveexec_b32 s0, vcc_lo
	s_cbranch_execnz .LBB220_1439
.LBB220_1396:
	s_or_b32 exec_lo, exec_lo, s0
	s_and_saveexec_b32 s0, vcc_lo
	s_cbranch_execnz .LBB220_1440
.LBB220_1397:
	s_or_b32 exec_lo, exec_lo, s0
	s_and_saveexec_b32 s0, vcc_lo
	s_cbranch_execnz .LBB220_1441
.LBB220_1398:
	s_or_b32 exec_lo, exec_lo, s0
	s_and_saveexec_b32 s0, vcc_lo
	s_cbranch_execnz .LBB220_1442
.LBB220_1399:
	s_or_b32 exec_lo, exec_lo, s0
	s_and_saveexec_b32 s0, vcc_lo
	s_cbranch_execnz .LBB220_1443
.LBB220_1400:
	s_or_b32 exec_lo, exec_lo, s0
	s_and_saveexec_b32 s0, vcc_lo
	s_cbranch_execnz .LBB220_1444
.LBB220_1401:
	s_or_b32 exec_lo, exec_lo, s0
	s_and_saveexec_b32 s0, vcc_lo
	s_cbranch_execnz .LBB220_1445
.LBB220_1402:
	s_or_b32 exec_lo, exec_lo, s0
	s_and_saveexec_b32 s0, vcc_lo
	s_cbranch_execnz .LBB220_1446
.LBB220_1403:
	s_or_b32 exec_lo, exec_lo, s0
	s_and_saveexec_b32 s0, vcc_lo
	s_cbranch_execnz .LBB220_1447
.LBB220_1404:
	s_or_b32 exec_lo, exec_lo, s0
	s_and_saveexec_b32 s0, vcc_lo
	s_cbranch_execnz .LBB220_1448
.LBB220_1405:
	s_or_b32 exec_lo, exec_lo, s0
	s_and_saveexec_b32 s0, vcc_lo
	s_cbranch_execnz .LBB220_1449
.LBB220_1406:
	s_or_b32 exec_lo, exec_lo, s0
	s_and_saveexec_b32 s0, vcc_lo
	s_cbranch_execz .LBB220_1408
.LBB220_1407:
	ds_load_b32 v20, v20 offset:304
	s_wait_dscnt 0x0
	v_add_f32_e32 v19, v20, v19
.LBB220_1408:
	s_or_b32 exec_lo, exec_lo, s0
.LBB220_1409:
	s_delay_alu instid0(SALU_CYCLE_1)
	s_or_b32 exec_lo, exec_lo, s1
	s_mov_b32 s1, 0
	s_mov_b32 s2, exec_lo
	s_barrier_signal -1
	s_barrier_wait -1
	v_cmpx_eq_u32_e32 0, v22
	s_cbranch_execz .LBB220_1411
; %bb.1410:
	scratch_load_b64 v[20:21], off, s32 offset:744 th:TH_LOAD_LU ; 8-byte Folded Reload
	s_and_b32 s0, 0xffff, s15
	v_dual_mov_b32 v23, 0 :: v_dual_lshrrev_b32 v22, 1, v25
	s_cmp_lg_u32 s0, 0
	s_cselect_b32 s0, -1, 0
	s_delay_alu instid0(SALU_CYCLE_1)
	s_cmp_lg_u32 s0, 0
	s_wait_kmcnt 0x0
	s_add_co_ci_u32 s0, s5, 0
	s_bfe_u32 s8, ttmp6, 0x40014
	s_mul_i32 s5, s0, s13
	s_lshr_b32 s3, ttmp7, 16
	s_mul_i32 s5, s5, s14
	s_add_co_i32 s8, s8, 1
	s_mul_i32 s6, s5, 0x50
	s_bfe_u32 s9, ttmp6, 0x40008
	s_ashr_i32 s7, s6, 31
	s_mul_i32 s4, s4, s0
	s_mul_i32 s0, s3, s8
	s_ashr_i32 s5, s4, 31
	s_add_co_i32 s9, s9, s0
	s_cmp_eq_u32 s12, 0
	s_cselect_b32 s0, s3, s9
	s_delay_alu instid0(SALU_CYCLE_1) | instskip(SKIP_2) | instid1(VALU_DEP_1)
	s_mulk_i32 s0, 0x140
	s_wait_loadcnt 0x0
	v_lshl_add_u64 v[20:21], s[6:7], 2, v[20:21]
	v_lshl_add_u64 v[20:21], s[4:5], 2, v[20:21]
	s_delay_alu instid0(VALU_DEP_1) | instskip(NEXT) | instid1(VALU_DEP_1)
	v_add_nc_u64_e32 v[20:21], s[0:1], v[20:21]
	v_add_nc_u64_e32 v[20:21], v[20:21], v[22:23]
	s_clause 0x13
	flat_store_b32 v[20:21], v16
	flat_store_b32 v[20:21], v17 offset:16
	flat_store_b32 v[20:21], v14 offset:32
	flat_store_b32 v[20:21], v15 offset:48
	flat_store_b32 v[20:21], v12 offset:64
	flat_store_b32 v[20:21], v13 offset:80
	flat_store_b32 v[20:21], v10 offset:96
	flat_store_b32 v[20:21], v11 offset:112
	flat_store_b32 v[20:21], v8 offset:128
	flat_store_b32 v[20:21], v9 offset:144
	flat_store_b32 v[20:21], v4 offset:160
	flat_store_b32 v[20:21], v5 offset:176
	flat_store_b32 v[20:21], v6 offset:192
	flat_store_b32 v[20:21], v7 offset:208
	flat_store_b32 v[20:21], v2 offset:224
	flat_store_b32 v[20:21], v3 offset:240
	flat_store_b32 v[20:21], v0 offset:256
	flat_store_b32 v[20:21], v1 offset:272
	flat_store_b32 v[20:21], v18 offset:288
	flat_store_b32 v[20:21], v19 offset:304
.LBB220_1411:
	s_wait_xcnt 0x0
	s_or_b32 exec_lo, exec_lo, s2
	s_clause 0x2f
	scratch_load_b32 v127, off, s32
	scratch_load_b32 v126, off, s32 offset:4
	scratch_load_b32 v125, off, s32 offset:8
	;; [unrolled: 1-line block ×47, first 2 shown]
	s_wait_loadcnt_dscnt 0x0
	s_wait_kmcnt 0x0
	s_set_pc_i64 s[30:31]
.LBB220_1412:
	ds_load_b32 v22, v20
	s_wait_dscnt 0x0
	v_add_f32_e32 v16, v22, v16
	s_or_b32 exec_lo, exec_lo, s0
	s_and_saveexec_b32 s0, vcc_lo
	s_cbranch_execz .LBB220_1364
.LBB220_1413:
	ds_load_b32 v22, v20 offset:16
	s_wait_dscnt 0x0
	v_add_f32_e32 v17, v22, v17
	s_or_b32 exec_lo, exec_lo, s0
	s_and_saveexec_b32 s0, vcc_lo
	s_cbranch_execz .LBB220_1365
.LBB220_1414:
	ds_load_b32 v22, v20 offset:32
	s_wait_dscnt 0x0
	v_add_f32_e32 v14, v22, v14
	s_or_b32 exec_lo, exec_lo, s0
	s_and_saveexec_b32 s0, vcc_lo
	s_cbranch_execz .LBB220_1366
.LBB220_1415:
	ds_load_b32 v22, v20 offset:48
	s_wait_dscnt 0x0
	v_add_f32_e32 v15, v22, v15
	s_or_b32 exec_lo, exec_lo, s0
	s_and_saveexec_b32 s0, vcc_lo
	s_cbranch_execz .LBB220_1367
.LBB220_1416:
	ds_load_b32 v22, v20 offset:64
	s_wait_dscnt 0x0
	v_add_f32_e32 v12, v22, v12
	s_or_b32 exec_lo, exec_lo, s0
	s_and_saveexec_b32 s0, vcc_lo
	s_cbranch_execz .LBB220_1368
.LBB220_1417:
	ds_load_b32 v22, v20 offset:80
	s_wait_dscnt 0x0
	v_add_f32_e32 v13, v22, v13
	s_or_b32 exec_lo, exec_lo, s0
	s_and_saveexec_b32 s0, vcc_lo
	s_cbranch_execz .LBB220_1369
.LBB220_1418:
	ds_load_b32 v22, v20 offset:96
	s_wait_dscnt 0x0
	v_add_f32_e32 v10, v22, v10
	s_or_b32 exec_lo, exec_lo, s0
	s_and_saveexec_b32 s0, vcc_lo
	s_cbranch_execz .LBB220_1370
.LBB220_1419:
	ds_load_b32 v22, v20 offset:112
	s_wait_dscnt 0x0
	v_add_f32_e32 v11, v22, v11
	s_or_b32 exec_lo, exec_lo, s0
	s_and_saveexec_b32 s0, vcc_lo
	s_cbranch_execz .LBB220_1371
.LBB220_1420:
	ds_load_b32 v22, v20 offset:128
	s_wait_dscnt 0x0
	v_add_f32_e32 v8, v22, v8
	s_or_b32 exec_lo, exec_lo, s0
	s_and_saveexec_b32 s0, vcc_lo
	s_cbranch_execz .LBB220_1372
.LBB220_1421:
	ds_load_b32 v22, v20 offset:144
	s_wait_dscnt 0x0
	v_add_f32_e32 v9, v22, v9
	s_or_b32 exec_lo, exec_lo, s0
	s_and_saveexec_b32 s0, vcc_lo
	s_cbranch_execz .LBB220_1373
.LBB220_1422:
	ds_load_b32 v22, v20 offset:160
	s_wait_dscnt 0x0
	v_add_f32_e32 v4, v22, v4
	s_or_b32 exec_lo, exec_lo, s0
	s_and_saveexec_b32 s0, vcc_lo
	s_cbranch_execz .LBB220_1374
.LBB220_1423:
	ds_load_b32 v22, v20 offset:176
	s_wait_dscnt 0x0
	v_add_f32_e32 v5, v22, v5
	s_or_b32 exec_lo, exec_lo, s0
	s_and_saveexec_b32 s0, vcc_lo
	s_cbranch_execz .LBB220_1375
.LBB220_1424:
	ds_load_b32 v22, v20 offset:192
	s_wait_dscnt 0x0
	v_add_f32_e32 v6, v22, v6
	s_or_b32 exec_lo, exec_lo, s0
	s_and_saveexec_b32 s0, vcc_lo
	s_cbranch_execz .LBB220_1376
.LBB220_1425:
	ds_load_b32 v22, v20 offset:208
	s_wait_dscnt 0x0
	v_add_f32_e32 v7, v22, v7
	s_or_b32 exec_lo, exec_lo, s0
	s_and_saveexec_b32 s0, vcc_lo
	s_cbranch_execz .LBB220_1377
.LBB220_1426:
	ds_load_b32 v22, v20 offset:224
	s_wait_dscnt 0x0
	v_add_f32_e32 v2, v22, v2
	s_or_b32 exec_lo, exec_lo, s0
	s_and_saveexec_b32 s0, vcc_lo
	s_cbranch_execz .LBB220_1378
.LBB220_1427:
	ds_load_b32 v22, v20 offset:240
	s_wait_dscnt 0x0
	v_add_f32_e32 v3, v22, v3
	s_or_b32 exec_lo, exec_lo, s0
	s_and_saveexec_b32 s0, vcc_lo
	s_cbranch_execz .LBB220_1379
.LBB220_1428:
	ds_load_b32 v22, v20 offset:256
	s_wait_dscnt 0x0
	v_add_f32_e32 v0, v22, v0
	s_or_b32 exec_lo, exec_lo, s0
	s_and_saveexec_b32 s0, vcc_lo
	s_cbranch_execz .LBB220_1380
.LBB220_1429:
	ds_load_b32 v22, v20 offset:272
	s_wait_dscnt 0x0
	v_add_f32_e32 v1, v22, v1
	s_or_b32 exec_lo, exec_lo, s0
	s_and_saveexec_b32 s0, vcc_lo
	s_cbranch_execz .LBB220_1381
.LBB220_1430:
	ds_load_b32 v22, v20 offset:288
	s_wait_dscnt 0x0
	v_add_f32_e32 v18, v22, v18
	s_or_b32 exec_lo, exec_lo, s0
	s_and_saveexec_b32 s0, vcc_lo
	s_cbranch_execnz .LBB220_1382
	s_branch .LBB220_1383
.LBB220_1431:
	ds_load_b32 v21, v20
	s_wait_dscnt 0x0
	v_add_f32_e32 v16, v21, v16
	s_or_b32 exec_lo, exec_lo, s0
	s_and_saveexec_b32 s0, vcc_lo
	s_cbranch_execz .LBB220_1389
.LBB220_1432:
	ds_load_b32 v21, v20 offset:16
	s_wait_dscnt 0x0
	v_add_f32_e32 v17, v21, v17
	s_or_b32 exec_lo, exec_lo, s0
	s_and_saveexec_b32 s0, vcc_lo
	s_cbranch_execz .LBB220_1390
.LBB220_1433:
	ds_load_b32 v21, v20 offset:32
	s_wait_dscnt 0x0
	v_add_f32_e32 v14, v21, v14
	s_or_b32 exec_lo, exec_lo, s0
	s_and_saveexec_b32 s0, vcc_lo
	s_cbranch_execz .LBB220_1391
.LBB220_1434:
	ds_load_b32 v21, v20 offset:48
	s_wait_dscnt 0x0
	v_add_f32_e32 v15, v21, v15
	s_or_b32 exec_lo, exec_lo, s0
	s_and_saveexec_b32 s0, vcc_lo
	s_cbranch_execz .LBB220_1392
.LBB220_1435:
	ds_load_b32 v21, v20 offset:64
	s_wait_dscnt 0x0
	v_add_f32_e32 v12, v21, v12
	s_or_b32 exec_lo, exec_lo, s0
	s_and_saveexec_b32 s0, vcc_lo
	s_cbranch_execz .LBB220_1393
.LBB220_1436:
	ds_load_b32 v21, v20 offset:80
	s_wait_dscnt 0x0
	v_add_f32_e32 v13, v21, v13
	s_or_b32 exec_lo, exec_lo, s0
	s_and_saveexec_b32 s0, vcc_lo
	s_cbranch_execz .LBB220_1394
.LBB220_1437:
	ds_load_b32 v21, v20 offset:96
	s_wait_dscnt 0x0
	v_add_f32_e32 v10, v21, v10
	s_or_b32 exec_lo, exec_lo, s0
	s_and_saveexec_b32 s0, vcc_lo
	s_cbranch_execz .LBB220_1395
.LBB220_1438:
	ds_load_b32 v21, v20 offset:112
	s_wait_dscnt 0x0
	v_add_f32_e32 v11, v21, v11
	s_or_b32 exec_lo, exec_lo, s0
	s_and_saveexec_b32 s0, vcc_lo
	s_cbranch_execz .LBB220_1396
.LBB220_1439:
	ds_load_b32 v21, v20 offset:128
	s_wait_dscnt 0x0
	v_add_f32_e32 v8, v21, v8
	s_or_b32 exec_lo, exec_lo, s0
	s_and_saveexec_b32 s0, vcc_lo
	s_cbranch_execz .LBB220_1397
.LBB220_1440:
	ds_load_b32 v21, v20 offset:144
	s_wait_dscnt 0x0
	v_add_f32_e32 v9, v21, v9
	s_or_b32 exec_lo, exec_lo, s0
	s_and_saveexec_b32 s0, vcc_lo
	s_cbranch_execz .LBB220_1398
.LBB220_1441:
	ds_load_b32 v21, v20 offset:160
	s_wait_dscnt 0x0
	v_add_f32_e32 v4, v21, v4
	s_or_b32 exec_lo, exec_lo, s0
	s_and_saveexec_b32 s0, vcc_lo
	s_cbranch_execz .LBB220_1399
.LBB220_1442:
	ds_load_b32 v21, v20 offset:176
	s_wait_dscnt 0x0
	v_add_f32_e32 v5, v21, v5
	s_or_b32 exec_lo, exec_lo, s0
	s_and_saveexec_b32 s0, vcc_lo
	s_cbranch_execz .LBB220_1400
.LBB220_1443:
	ds_load_b32 v21, v20 offset:192
	s_wait_dscnt 0x0
	v_add_f32_e32 v6, v21, v6
	s_or_b32 exec_lo, exec_lo, s0
	s_and_saveexec_b32 s0, vcc_lo
	s_cbranch_execz .LBB220_1401
.LBB220_1444:
	ds_load_b32 v21, v20 offset:208
	s_wait_dscnt 0x0
	v_add_f32_e32 v7, v21, v7
	s_or_b32 exec_lo, exec_lo, s0
	s_and_saveexec_b32 s0, vcc_lo
	s_cbranch_execz .LBB220_1402
.LBB220_1445:
	ds_load_b32 v21, v20 offset:224
	s_wait_dscnt 0x0
	v_add_f32_e32 v2, v21, v2
	s_or_b32 exec_lo, exec_lo, s0
	s_and_saveexec_b32 s0, vcc_lo
	s_cbranch_execz .LBB220_1403
.LBB220_1446:
	ds_load_b32 v21, v20 offset:240
	s_wait_dscnt 0x0
	v_add_f32_e32 v3, v21, v3
	s_or_b32 exec_lo, exec_lo, s0
	s_and_saveexec_b32 s0, vcc_lo
	s_cbranch_execz .LBB220_1404
.LBB220_1447:
	ds_load_b32 v21, v20 offset:256
	s_wait_dscnt 0x0
	v_add_f32_e32 v0, v21, v0
	s_or_b32 exec_lo, exec_lo, s0
	s_and_saveexec_b32 s0, vcc_lo
	s_cbranch_execz .LBB220_1405
.LBB220_1448:
	ds_load_b32 v21, v20 offset:272
	s_wait_dscnt 0x0
	v_add_f32_e32 v1, v21, v1
	s_or_b32 exec_lo, exec_lo, s0
	s_and_saveexec_b32 s0, vcc_lo
	s_cbranch_execz .LBB220_1406
.LBB220_1449:
	ds_load_b32 v21, v20 offset:288
	s_wait_dscnt 0x0
	v_add_f32_e32 v18, v21, v18
	s_or_b32 exec_lo, exec_lo, s0
	s_and_saveexec_b32 s0, vcc_lo
	s_cbranch_execnz .LBB220_1407
	s_branch .LBB220_1408
.Lfunc_end220:
	.size	_ZN4vllm22paged_attention_kernelIfhLi80ELi32ELi128ELNS_18Fp8KVCacheDataTypeE1ELb0ELi0EEEvPfS2_PT_PKS3_PKT0_S9_ifPKiSB_iPKfiiiSD_SD_iiiii, .Lfunc_end220-_ZN4vllm22paged_attention_kernelIfhLi80ELi32ELi128ELNS_18Fp8KVCacheDataTypeE1ELb0ELi0EEEvPfS2_PT_PKS3_PKT0_S9_ifPKiSB_iPKfiiiSD_SD_iiiii
                                        ; -- End function
	.set .L_ZN4vllm22paged_attention_kernelIfhLi80ELi32ELi128ELNS_18Fp8KVCacheDataTypeE1ELb0ELi0EEEvPfS2_PT_PKS3_PKT0_S9_ifPKiSB_iPKfiiiSD_SD_iiiii.num_vgpr, 128
	.set .L_ZN4vllm22paged_attention_kernelIfhLi80ELi32ELi128ELNS_18Fp8KVCacheDataTypeE1ELb0ELi0EEEvPfS2_PT_PKS3_PKT0_S9_ifPKiSB_iPKfiiiSD_SD_iiiii.num_agpr, 0
	.set .L_ZN4vllm22paged_attention_kernelIfhLi80ELi32ELi128ELNS_18Fp8KVCacheDataTypeE1ELb0ELi0EEEvPfS2_PT_PKS3_PKT0_S9_ifPKiSB_iPKfiiiSD_SD_iiiii.numbered_sgpr, 33
	.set .L_ZN4vllm22paged_attention_kernelIfhLi80ELi32ELi128ELNS_18Fp8KVCacheDataTypeE1ELb0ELi0EEEvPfS2_PT_PKS3_PKT0_S9_ifPKiSB_iPKfiiiSD_SD_iiiii.num_named_barrier, 0
	.set .L_ZN4vllm22paged_attention_kernelIfhLi80ELi32ELi128ELNS_18Fp8KVCacheDataTypeE1ELb0ELi0EEEvPfS2_PT_PKS3_PKT0_S9_ifPKiSB_iPKfiiiSD_SD_iiiii.private_seg_size, 804
	.set .L_ZN4vllm22paged_attention_kernelIfhLi80ELi32ELi128ELNS_18Fp8KVCacheDataTypeE1ELb0ELi0EEEvPfS2_PT_PKS3_PKT0_S9_ifPKiSB_iPKfiiiSD_SD_iiiii.uses_vcc, 1
	.set .L_ZN4vllm22paged_attention_kernelIfhLi80ELi32ELi128ELNS_18Fp8KVCacheDataTypeE1ELb0ELi0EEEvPfS2_PT_PKS3_PKT0_S9_ifPKiSB_iPKfiiiSD_SD_iiiii.uses_flat_scratch, 1
	.set .L_ZN4vllm22paged_attention_kernelIfhLi80ELi32ELi128ELNS_18Fp8KVCacheDataTypeE1ELb0ELi0EEEvPfS2_PT_PKS3_PKT0_S9_ifPKiSB_iPKfiiiSD_SD_iiiii.has_dyn_sized_stack, 0
	.set .L_ZN4vllm22paged_attention_kernelIfhLi80ELi32ELi128ELNS_18Fp8KVCacheDataTypeE1ELb0ELi0EEEvPfS2_PT_PKS3_PKT0_S9_ifPKiSB_iPKfiiiSD_SD_iiiii.has_recursion, 0
	.set .L_ZN4vllm22paged_attention_kernelIfhLi80ELi32ELi128ELNS_18Fp8KVCacheDataTypeE1ELb0ELi0EEEvPfS2_PT_PKS3_PKT0_S9_ifPKiSB_iPKfiiiSD_SD_iiiii.has_indirect_call, 0
	.section	.AMDGPU.csdata,"",@progbits
; Function info:
; codeLenInByte = 52624
; TotalNumSgprs: 35
; NumVgprs: 128
; ScratchSize: 804
; MemoryBound: 0
	.section	.text._ZN4vllm25paged_attention_v1_kernelIfhLi80ELi32ELi128ELNS_18Fp8KVCacheDataTypeE1ELb0EEEvPT_PKS2_PKT0_S8_ifPKiSA_iPKfiiiSC_SC_iiiii,"axG",@progbits,_ZN4vllm25paged_attention_v1_kernelIfhLi80ELi32ELi128ELNS_18Fp8KVCacheDataTypeE1ELb0EEEvPT_PKS2_PKT0_S8_ifPKiSA_iPKfiiiSC_SC_iiiii,comdat
	.protected	_ZN4vllm25paged_attention_v1_kernelIfhLi80ELi32ELi128ELNS_18Fp8KVCacheDataTypeE1ELb0EEEvPT_PKS2_PKT0_S8_ifPKiSA_iPKfiiiSC_SC_iiiii ; -- Begin function _ZN4vllm25paged_attention_v1_kernelIfhLi80ELi32ELi128ELNS_18Fp8KVCacheDataTypeE1ELb0EEEvPT_PKS2_PKT0_S8_ifPKiSA_iPKfiiiSC_SC_iiiii
	.globl	_ZN4vllm25paged_attention_v1_kernelIfhLi80ELi32ELi128ELNS_18Fp8KVCacheDataTypeE1ELb0EEEvPT_PKS2_PKT0_S8_ifPKiSA_iPKfiiiSC_SC_iiiii
	.p2align	8
	.type	_ZN4vllm25paged_attention_v1_kernelIfhLi80ELi32ELi128ELNS_18Fp8KVCacheDataTypeE1ELb0EEEvPT_PKS2_PKT0_S8_ifPKiSA_iPKfiiiSC_SC_iiiii,@function
_ZN4vllm25paged_attention_v1_kernelIfhLi80ELi32ELi128ELNS_18Fp8KVCacheDataTypeE1ELb0EEEvPT_PKS2_PKT0_S8_ifPKiSA_iPKfiiiSC_SC_iiiii: ; @_ZN4vllm25paged_attention_v1_kernelIfhLi80ELi32ELi128ELNS_18Fp8KVCacheDataTypeE1ELb0EEEvPT_PKS2_PKT0_S8_ifPKiSA_iPKfiiiSC_SC_iiiii
; %bb.0:
	s_clause 0x5
	s_load_b256 s[12:19], s[0:1], 0x0
	s_load_b128 s[4:7], s[0:1], 0x20
	s_load_b96 s[20:22], s[0:1], 0x30
	s_load_b64 s[10:11], s[0:1], 0x40
	s_load_b96 s[28:30], s[0:1], 0x48
	s_load_b128 s[24:27], s[0:1], 0x58
	v_mov_b32_e32 v31, v0
	s_get_pc_i64 s[2:3]
	s_add_nc_u64 s[2:3], s[2:3], _ZN4vllm22paged_attention_kernelIfhLi80ELi32ELi128ELNS_18Fp8KVCacheDataTypeE1ELb0ELi0EEEvPfS2_PT_PKS3_PKT0_S9_ifPKiSB_iPKfiiiSD_SD_iiiii@rel64+4
	s_add_nc_u64 s[8:9], s[0:1], 0x80
	s_mov_b32 s32, 0
	s_wait_kmcnt 0x0
	v_dual_mov_b32 v0, s12 :: v_dual_mov_b32 v1, s13
	v_dual_mov_b32 v2, s14 :: v_dual_mov_b32 v3, s15
	;; [unrolled: 1-line block ×12, first 2 shown]
	s_mov_b32 s15, 30
	s_swap_pc_i64 s[30:31], s[2:3]
	s_endpgm
	.section	.rodata,"a",@progbits
	.p2align	6, 0x0
	.amdhsa_kernel _ZN4vllm25paged_attention_v1_kernelIfhLi80ELi32ELi128ELNS_18Fp8KVCacheDataTypeE1ELb0EEEvPT_PKS2_PKT0_S8_ifPKiSA_iPKfiiiSC_SC_iiiii
		.amdhsa_group_segment_fixed_size 352
		.amdhsa_private_segment_fixed_size 804
		.amdhsa_kernarg_size 384
		.amdhsa_user_sgpr_count 2
		.amdhsa_user_sgpr_dispatch_ptr 0
		.amdhsa_user_sgpr_queue_ptr 0
		.amdhsa_user_sgpr_kernarg_segment_ptr 1
		.amdhsa_user_sgpr_dispatch_id 0
		.amdhsa_user_sgpr_kernarg_preload_length 0
		.amdhsa_user_sgpr_kernarg_preload_offset 0
		.amdhsa_user_sgpr_private_segment_size 0
		.amdhsa_wavefront_size32 1
		.amdhsa_uses_dynamic_stack 0
		.amdhsa_enable_private_segment 1
		.amdhsa_system_sgpr_workgroup_id_x 1
		.amdhsa_system_sgpr_workgroup_id_y 1
		.amdhsa_system_sgpr_workgroup_id_z 1
		.amdhsa_system_sgpr_workgroup_info 0
		.amdhsa_system_vgpr_workitem_id 0
		.amdhsa_next_free_vgpr 128
		.amdhsa_next_free_sgpr 33
		.amdhsa_named_barrier_count 0
		.amdhsa_reserve_vcc 1
		.amdhsa_float_round_mode_32 0
		.amdhsa_float_round_mode_16_64 0
		.amdhsa_float_denorm_mode_32 3
		.amdhsa_float_denorm_mode_16_64 3
		.amdhsa_fp16_overflow 0
		.amdhsa_memory_ordered 1
		.amdhsa_forward_progress 1
		.amdhsa_inst_pref_size 2
		.amdhsa_round_robin_scheduling 0
		.amdhsa_exception_fp_ieee_invalid_op 0
		.amdhsa_exception_fp_denorm_src 0
		.amdhsa_exception_fp_ieee_div_zero 0
		.amdhsa_exception_fp_ieee_overflow 0
		.amdhsa_exception_fp_ieee_underflow 0
		.amdhsa_exception_fp_ieee_inexact 0
		.amdhsa_exception_int_div_zero 0
	.end_amdhsa_kernel
	.section	.text._ZN4vllm25paged_attention_v1_kernelIfhLi80ELi32ELi128ELNS_18Fp8KVCacheDataTypeE1ELb0EEEvPT_PKS2_PKT0_S8_ifPKiSA_iPKfiiiSC_SC_iiiii,"axG",@progbits,_ZN4vllm25paged_attention_v1_kernelIfhLi80ELi32ELi128ELNS_18Fp8KVCacheDataTypeE1ELb0EEEvPT_PKS2_PKT0_S8_ifPKiSA_iPKfiiiSC_SC_iiiii,comdat
.Lfunc_end221:
	.size	_ZN4vllm25paged_attention_v1_kernelIfhLi80ELi32ELi128ELNS_18Fp8KVCacheDataTypeE1ELb0EEEvPT_PKS2_PKT0_S8_ifPKiSA_iPKfiiiSC_SC_iiiii, .Lfunc_end221-_ZN4vllm25paged_attention_v1_kernelIfhLi80ELi32ELi128ELNS_18Fp8KVCacheDataTypeE1ELb0EEEvPT_PKS2_PKT0_S8_ifPKiSA_iPKfiiiSC_SC_iiiii
                                        ; -- End function
	.set _ZN4vllm25paged_attention_v1_kernelIfhLi80ELi32ELi128ELNS_18Fp8KVCacheDataTypeE1ELb0EEEvPT_PKS2_PKT0_S8_ifPKiSA_iPKfiiiSC_SC_iiiii.num_vgpr, max(32, .L_ZN4vllm22paged_attention_kernelIfhLi80ELi32ELi128ELNS_18Fp8KVCacheDataTypeE1ELb0ELi0EEEvPfS2_PT_PKS3_PKT0_S9_ifPKiSB_iPKfiiiSD_SD_iiiii.num_vgpr)
	.set _ZN4vllm25paged_attention_v1_kernelIfhLi80ELi32ELi128ELNS_18Fp8KVCacheDataTypeE1ELb0EEEvPT_PKS2_PKT0_S8_ifPKiSA_iPKfiiiSC_SC_iiiii.num_agpr, max(0, .L_ZN4vllm22paged_attention_kernelIfhLi80ELi32ELi128ELNS_18Fp8KVCacheDataTypeE1ELb0ELi0EEEvPfS2_PT_PKS3_PKT0_S9_ifPKiSB_iPKfiiiSD_SD_iiiii.num_agpr)
	.set _ZN4vllm25paged_attention_v1_kernelIfhLi80ELi32ELi128ELNS_18Fp8KVCacheDataTypeE1ELb0EEEvPT_PKS2_PKT0_S8_ifPKiSA_iPKfiiiSC_SC_iiiii.numbered_sgpr, max(33, .L_ZN4vllm22paged_attention_kernelIfhLi80ELi32ELi128ELNS_18Fp8KVCacheDataTypeE1ELb0ELi0EEEvPfS2_PT_PKS3_PKT0_S9_ifPKiSB_iPKfiiiSD_SD_iiiii.numbered_sgpr)
	.set _ZN4vllm25paged_attention_v1_kernelIfhLi80ELi32ELi128ELNS_18Fp8KVCacheDataTypeE1ELb0EEEvPT_PKS2_PKT0_S8_ifPKiSA_iPKfiiiSC_SC_iiiii.num_named_barrier, max(0, .L_ZN4vllm22paged_attention_kernelIfhLi80ELi32ELi128ELNS_18Fp8KVCacheDataTypeE1ELb0ELi0EEEvPfS2_PT_PKS3_PKT0_S9_ifPKiSB_iPKfiiiSD_SD_iiiii.num_named_barrier)
	.set _ZN4vllm25paged_attention_v1_kernelIfhLi80ELi32ELi128ELNS_18Fp8KVCacheDataTypeE1ELb0EEEvPT_PKS2_PKT0_S8_ifPKiSA_iPKfiiiSC_SC_iiiii.private_seg_size, 0+max(.L_ZN4vllm22paged_attention_kernelIfhLi80ELi32ELi128ELNS_18Fp8KVCacheDataTypeE1ELb0ELi0EEEvPfS2_PT_PKS3_PKT0_S9_ifPKiSB_iPKfiiiSD_SD_iiiii.private_seg_size)
	.set _ZN4vllm25paged_attention_v1_kernelIfhLi80ELi32ELi128ELNS_18Fp8KVCacheDataTypeE1ELb0EEEvPT_PKS2_PKT0_S8_ifPKiSA_iPKfiiiSC_SC_iiiii.uses_vcc, or(1, .L_ZN4vllm22paged_attention_kernelIfhLi80ELi32ELi128ELNS_18Fp8KVCacheDataTypeE1ELb0ELi0EEEvPfS2_PT_PKS3_PKT0_S9_ifPKiSB_iPKfiiiSD_SD_iiiii.uses_vcc)
	.set _ZN4vllm25paged_attention_v1_kernelIfhLi80ELi32ELi128ELNS_18Fp8KVCacheDataTypeE1ELb0EEEvPT_PKS2_PKT0_S8_ifPKiSA_iPKfiiiSC_SC_iiiii.uses_flat_scratch, or(0, .L_ZN4vllm22paged_attention_kernelIfhLi80ELi32ELi128ELNS_18Fp8KVCacheDataTypeE1ELb0ELi0EEEvPfS2_PT_PKS3_PKT0_S9_ifPKiSB_iPKfiiiSD_SD_iiiii.uses_flat_scratch)
	.set _ZN4vllm25paged_attention_v1_kernelIfhLi80ELi32ELi128ELNS_18Fp8KVCacheDataTypeE1ELb0EEEvPT_PKS2_PKT0_S8_ifPKiSA_iPKfiiiSC_SC_iiiii.has_dyn_sized_stack, or(0, .L_ZN4vllm22paged_attention_kernelIfhLi80ELi32ELi128ELNS_18Fp8KVCacheDataTypeE1ELb0ELi0EEEvPfS2_PT_PKS3_PKT0_S9_ifPKiSB_iPKfiiiSD_SD_iiiii.has_dyn_sized_stack)
	.set _ZN4vllm25paged_attention_v1_kernelIfhLi80ELi32ELi128ELNS_18Fp8KVCacheDataTypeE1ELb0EEEvPT_PKS2_PKT0_S8_ifPKiSA_iPKfiiiSC_SC_iiiii.has_recursion, or(0, .L_ZN4vllm22paged_attention_kernelIfhLi80ELi32ELi128ELNS_18Fp8KVCacheDataTypeE1ELb0ELi0EEEvPfS2_PT_PKS3_PKT0_S9_ifPKiSB_iPKfiiiSD_SD_iiiii.has_recursion)
	.set _ZN4vllm25paged_attention_v1_kernelIfhLi80ELi32ELi128ELNS_18Fp8KVCacheDataTypeE1ELb0EEEvPT_PKS2_PKT0_S8_ifPKiSA_iPKfiiiSC_SC_iiiii.has_indirect_call, or(0, .L_ZN4vllm22paged_attention_kernelIfhLi80ELi32ELi128ELNS_18Fp8KVCacheDataTypeE1ELb0ELi0EEEvPfS2_PT_PKS3_PKT0_S9_ifPKiSB_iPKfiiiSD_SD_iiiii.has_indirect_call)
	.section	.AMDGPU.csdata,"",@progbits
; Kernel info:
; codeLenInByte = 196
; TotalNumSgprs: 35
; NumVgprs: 128
; ScratchSize: 804
; MemoryBound: 0
; FloatMode: 240
; IeeeMode: 1
; LDSByteSize: 352 bytes/workgroup (compile time only)
; SGPRBlocks: 0
; VGPRBlocks: 7
; NumSGPRsForWavesPerEU: 35
; NumVGPRsForWavesPerEU: 128
; NamedBarCnt: 0
; Occupancy: 8
; WaveLimiterHint : 1
; COMPUTE_PGM_RSRC2:SCRATCH_EN: 1
; COMPUTE_PGM_RSRC2:USER_SGPR: 2
; COMPUTE_PGM_RSRC2:TRAP_HANDLER: 0
; COMPUTE_PGM_RSRC2:TGID_X_EN: 1
; COMPUTE_PGM_RSRC2:TGID_Y_EN: 1
; COMPUTE_PGM_RSRC2:TGID_Z_EN: 1
; COMPUTE_PGM_RSRC2:TIDIG_COMP_CNT: 0
	.text
	.p2align	2                               ; -- Begin function _ZN4vllm22paged_attention_kernelIfhLi96ELi32ELi128ELNS_18Fp8KVCacheDataTypeE1ELb0ELi0EEEvPfS2_PT_PKS3_PKT0_S9_ifPKiSB_iPKfiiiSD_SD_iiiii
	.type	_ZN4vllm22paged_attention_kernelIfhLi96ELi32ELi128ELNS_18Fp8KVCacheDataTypeE1ELb0ELi0EEEvPfS2_PT_PKS3_PKT0_S9_ifPKiSB_iPKfiiiSD_SD_iiiii,@function
_ZN4vllm22paged_attention_kernelIfhLi96ELi32ELi128ELNS_18Fp8KVCacheDataTypeE1ELb0ELi0EEEvPfS2_PT_PKS3_PKT0_S9_ifPKiSB_iPKfiiiSD_SD_iiiii: ; @_ZN4vllm22paged_attention_kernelIfhLi96ELi32ELi128ELNS_18Fp8KVCacheDataTypeE1ELb0ELi0EEEvPfS2_PT_PKS3_PKT0_S9_ifPKiSB_iPKfiiiSD_SD_iiiii
; %bb.0:
	s_wait_loadcnt_dscnt 0x0
	s_wait_kmcnt 0x0
	s_clause 0x2f
	scratch_store_b32 off, v40, s32 offset:188
	; meta instruction
	scratch_store_b32 off, v41, s32 offset:184
	; meta instruction
	;; [unrolled: 2-line block ×47, first 2 shown]
	scratch_store_b32 off, v127, s32
	s_bfe_u32 s0, ttmp6, 0x4000c
	s_bfe_u32 s2, ttmp6, 0x40010
	s_add_co_i32 s0, s0, 1
	s_and_b32 s1, ttmp6, 15
	s_mul_i32 s0, ttmp9, s0
	s_and_b32 s3, ttmp7, 0xffff
	s_add_co_i32 s2, s2, 1
	s_add_co_i32 s0, s1, s0
	s_mul_i32 s1, s3, s2
	s_bfe_u32 s2, ttmp6, 0x40004
	s_getreg_b32 s12, hwreg(HW_REG_IB_STS2, 6, 4)
	s_add_co_i32 s2, s2, s1
	s_cmp_eq_u32 s12, 0
	s_mov_b32 s1, 0
	s_cselect_b32 s13, s3, s2
	s_cselect_b32 s2, ttmp9, s0
	s_lshl_b32 s0, s13, 2
	v_dual_mov_b32 v49, v7 :: v_dual_mov_b32 v48, v6
	v_add_nc_u64_e32 v[6:7], s[0:1], v[12:13]
	s_clause 0x2
	scratch_store_b64 off, v[20:21], s32 offset:536
	scratch_store_b64 off, v[18:19], s32 offset:504
	scratch_store_b32 off, v9, s32 offset:544
	s_clause 0x1
	s_load_u16 s0, s[8:9], 0x12
	s_load_b32 s3, s[8:9], 0x0
	v_dual_mov_b32 v25, v16 :: v_dual_mov_b32 v24, v15
	s_mov_b32 s10, s15
	flat_load_b32 v6, v[6:7]
	scratch_store_b64 off, v[0:1], s32 offset:952 ; 8-byte Folded Spill
	s_wait_xcnt 0x0
	v_mov_b32_e32 v1, 0
	s_mov_b32 s4, exec_lo
	s_wait_kmcnt 0x0
	s_cmp_lg_u32 s0, 0
	s_cselect_b32 s0, -1, 0
	s_delay_alu instid0(SALU_CYCLE_1) | instskip(SKIP_1) | instid1(SALU_CYCLE_1)
	s_cmp_lg_u32 s0, 0
	s_add_co_ci_u32 s14, s3, 0
	s_abs_i32 s0, s14
	s_wait_loadcnt_dscnt 0x0
	scratch_store_b64 off, v[6:7], s32 offset:192 ; 8-byte Folded Spill
	s_wait_xcnt 0x0
	v_sub_nc_u32_e32 v6, 0, v8
	global_load_u16 v0, v1, s[8:9] offset:22
	v_max_i32_e32 v6, v8, v6
	s_delay_alu instid0(VALU_DEP_1) | instskip(NEXT) | instid1(VALU_DEP_1)
	v_cvt_f32_u32_e32 v7, v6
	v_rcp_iflag_f32_e32 v7, v7
	v_nop
	s_delay_alu instid0(TRANS32_DEP_1) | instskip(SKIP_1) | instid1(VALU_DEP_2)
	v_mul_f32_e32 v7, 0x4f7ffffe, v7
	v_sub_nc_u32_e32 v9, 0, v6
	v_cvt_u32_f32_e32 v7, v7
	s_delay_alu instid0(VALU_DEP_1) | instskip(NEXT) | instid1(VALU_DEP_1)
	v_mul_lo_u32 v9, v9, v7
	v_mul_hi_u32 v9, v7, v9
	s_delay_alu instid0(VALU_DEP_1) | instskip(NEXT) | instid1(VALU_DEP_1)
	v_add_nc_u32_e32 v7, v7, v9
	v_mul_hi_u32 v7, s0, v7
	s_delay_alu instid0(VALU_DEP_1) | instskip(NEXT) | instid1(VALU_DEP_1)
	v_mul_lo_u32 v9, v7, v6
	v_dual_add_nc_u32 v12, 1, v7 :: v_dual_sub_nc_u32 v9, s0, v9
	s_abs_i32 s0, s2
	s_delay_alu instid0(VALU_DEP_1) | instskip(NEXT) | instid1(VALU_DEP_2)
	v_cmp_ge_u32_e32 vcc_lo, v9, v6
	v_dual_sub_nc_u32 v13, v9, v6 :: v_dual_cndmask_b32 v7, v7, v12, vcc_lo
	s_delay_alu instid0(VALU_DEP_1) | instskip(NEXT) | instid1(VALU_DEP_1)
	v_dual_cndmask_b32 v9, v9, v13, vcc_lo :: v_dual_bitop2_b32 v8, s14, v8 bitop3:0x14
	v_dual_add_nc_u32 v12, 1, v7 :: v_dual_ashrrev_i32 v8, 31, v8
	s_delay_alu instid0(VALU_DEP_2) | instskip(NEXT) | instid1(VALU_DEP_2)
	v_cmp_ge_u32_e32 vcc_lo, v9, v6
	v_cndmask_b32_e32 v6, v7, v12, vcc_lo
	s_delay_alu instid0(VALU_DEP_1) | instskip(NEXT) | instid1(VALU_DEP_1)
	v_xor_b32_e32 v6, v6, v8
	v_sub_nc_u32_e32 v7, v6, v8
	s_delay_alu instid0(VALU_DEP_1) | instskip(NEXT) | instid1(VALU_DEP_1)
	v_sub_nc_u32_e32 v6, 0, v7
	v_max_i32_e32 v6, v7, v6
	s_delay_alu instid0(VALU_DEP_1) | instskip(SKIP_1) | instid1(VALU_DEP_2)
	v_cvt_f32_u32_e32 v8, v6
	v_sub_nc_u32_e32 v9, 0, v6
	v_rcp_iflag_f32_e32 v8, v8
	v_nop
	s_delay_alu instid0(TRANS32_DEP_1) | instskip(NEXT) | instid1(VALU_DEP_1)
	v_mul_f32_e32 v8, 0x4f7ffffe, v8
	v_cvt_u32_f32_e32 v8, v8
	s_delay_alu instid0(VALU_DEP_1) | instskip(NEXT) | instid1(VALU_DEP_1)
	v_mul_lo_u32 v9, v9, v8
	v_mul_hi_u32 v9, v8, v9
	s_wait_loadcnt 0x0
	v_readfirstlane_b32 s15, v0
	s_delay_alu instid0(VALU_DEP_2)
	v_dual_add_nc_u32 v0, v8, v9 :: v_dual_mov_b32 v8, v1
	scratch_store_b32 off, v8, s32 offset:532 ; 4-byte Folded Spill
	s_wait_xcnt 0x0
	v_cmpx_ne_u64_e32 0, v[24:25]
	s_cbranch_execz .LBB222_2
; %bb.1:
	s_ashr_i32 s3, s2, 31
	s_delay_alu instid0(SALU_CYCLE_1)
	v_lshl_add_u64 v[8:9], s[2:3], 2, v[24:25]
	flat_load_b32 v8, v[8:9]
	s_wait_loadcnt_dscnt 0x0
	scratch_store_b32 off, v8, s32 offset:532 ; 4-byte Folded Spill
.LBB222_2:
	s_wait_xcnt 0x0
	s_or_b32 exec_lo, exec_lo, s4
	v_mul_u64_e32 v[0:1], s[0:1], v[0:1]
	v_and_b32_e32 v9, 0x3ff, v31
	v_ashrrev_i32_e32 v0, 31, v7
	s_ashr_i32 s1, s2, 31
	s_mul_i32 s4, s2, 0x60
	s_delay_alu instid0(VALU_DEP_2) | instskip(SKIP_1) | instid1(SALU_CYCLE_1)
	v_cmp_gt_u32_e32 vcc_lo, 24, v9
	s_mov_b32 s2, exec_lo
	s_and_b32 s3, s2, vcc_lo
	scratch_store_b32 off, v9, s32 offset:940 ; 4-byte Folded Spill
	s_wait_xcnt 0x0
	s_mov_b32 exec_lo, s3
	s_cbranch_execz .LBB222_4
; %bb.3:
	scratch_load_b32 v7, off, s32 offset:940 ; 4-byte Folded Reload
	v_mul_lo_u32 v8, v17, s13
	s_ashr_i32 s5, s4, 31
	s_delay_alu instid0(VALU_DEP_1) | instskip(NEXT) | instid1(VALU_DEP_1)
	v_dual_mov_b32 v13, 0 :: v_dual_ashrrev_i32 v9, 31, v8
	v_lshl_add_u64 v[2:3], v[8:9], 2, v[2:3]
	scratch_load_b32 v9, off, s32 offset:940 ; 4-byte Folded Reload
	v_lshl_add_u64 v[2:3], s[4:5], 2, v[2:3]
	s_wait_loadcnt 0x1
	v_lshlrev_b32_e32 v12, 4, v7
	s_delay_alu instid0(VALU_DEP_1)
	v_add_nc_u64_e32 v[2:3], v[2:3], v[12:13]
	flat_load_b128 v[24:27], v[2:3]
	s_wait_loadcnt_dscnt 0x0
	ds_store_b128 v12, v[24:27]
.LBB222_4:
	s_wait_xcnt 0x0
	s_or_b32 exec_lo, exec_lo, s2
	scratch_load_b64 v[12:13], off, s32 offset:192 ; 8-byte Folded Reload
	v_mul_lo_u32 v2, v1, v6
	s_load_b32 s5, s[8:9], 0x8
	v_mul_lo_u32 v50, v14, s13
	v_lshrrev_b32_e32 v52, 3, v9
	s_mov_b32 s2, exec_lo
	s_get_pc_i64 s[6:7]
	s_add_nc_u64 s[6:7], s[6:7], llvm.amdgcn.dynlds.offset.table@rel64+4
	v_dual_mov_b32 v8, 0xff7fffff :: v_dual_add_nc_u32 v3, 1, v1
	s_delay_alu instid0(VALU_DEP_4) | instskip(NEXT) | instid1(VALU_DEP_4)
	v_sub_nc_u32_e32 v2, s0, v2
	v_ashrrev_i32_e32 v51, 31, v50
	s_delay_alu instid0(VALU_DEP_2) | instskip(NEXT) | instid1(VALU_DEP_4)
	v_cmp_ge_u32_e32 vcc_lo, v2, v6
	v_dual_sub_nc_u32 v7, v2, v6 :: v_dual_cndmask_b32 v1, v1, v3, vcc_lo
	s_delay_alu instid0(VALU_DEP_1) | instskip(NEXT) | instid1(VALU_DEP_1)
	v_dual_cndmask_b32 v2, v2, v7 :: v_dual_add_nc_u32 v3, 1, v1
	v_cmp_ge_u32_e32 vcc_lo, v2, v6
	s_wait_loadcnt 0x0
	s_delay_alu instid0(VALU_DEP_2) | instskip(NEXT) | instid1(VALU_DEP_1)
	v_dual_cndmask_b32 v1, v1, v3, vcc_lo :: v_dual_add_nc_u32 v7, 31, v12
	v_dual_ashrrev_i32 v2, 31, v7 :: v_dual_bitop2_b32 v0, s1, v0 bitop3:0x14
	s_delay_alu instid0(VALU_DEP_1) | instskip(NEXT) | instid1(VALU_DEP_1)
	v_dual_lshrrev_b32 v2, 27, v2 :: v_dual_bitop2_b32 v1, v1, v0 bitop3:0x14
	v_dual_sub_nc_u32 v0, v1, v0 :: v_dual_add_nc_u32 v1, v7, v2
	s_delay_alu instid0(VALU_DEP_1) | instskip(SKIP_1) | instid1(VALU_DEP_3)
	v_mul_lo_u32 v54, v0, v19
	v_dual_lshrrev_b32 v0, 5, v9 :: v_dual_bitop2_b32 v2, 31, v9 bitop3:0x40
	v_ashrrev_i32_e32 v1, 5, v1
	s_clause 0x1
	scratch_store_b32 off, v0, s32 offset:948
	scratch_store_b32 off, v1, s32 offset:200
	v_cmp_ge_i32_e64 s0, v0, v1
	v_lshlrev_b32_e32 v12, 2, v2
	v_ashrrev_i32_e32 v55, 31, v54
	scratch_store_b32 off, v2, s32 offset:944 ; 4-byte Folded Spill
	s_wait_storecnt_dscnt 0x0
	s_barrier_signal -1
	s_barrier_wait -1
	s_wait_xcnt 0x0
	v_cmpx_lt_i32_e64 v0, v1
	s_cbranch_execz .LBB222_776
; %bb.5:
	s_clause 0x4
	scratch_store_b64 off, v[48:49], s32 offset:976
	scratch_store_b64 off, v[22:23], s32 offset:968
	scratch_load_b32 v2, off, s32 offset:944
	scratch_load_b32 v114, off, s32 offset:948
	;; [unrolled: 1-line block ×3, first 2 shown]
	v_add_nc_u64_e32 v[0:1], v[4:5], v[54:55]
	s_ashr_i32 s11, s10, 31
	s_clause 0x1
	scratch_store_b64 off, v[54:55], s32 offset:996
	scratch_store_b32 off, v12, s32 offset:1004
	s_lshl_b64 s[8:9], s[10:11], 2
	s_mov_b32 s3, 0
	s_add_nc_u64 s[8:9], s[6:7], s[8:9]
	v_mov_b32_e32 v95, 0
	s_load_b32 s1, s[8:9], 0x0
	s_wait_loadcnt 0x2
	v_lshlrev_b32_e32 v94, 4, v2
	s_wait_loadcnt 0x1
	v_lshl_or_b32 v16, v114, 5, v2
	v_lshl_or_b32 v2, v114, 7, v12
	s_wait_loadcnt 0x0
	v_cmp_neq_f32_e32 vcc_lo, 0, v3
	v_mov_b32_e32 v8, 0xff7fffff
	v_add_nc_u64_e32 v[0:1], v[0:1], v[94:95]
	v_and_b32_e32 v94, 0x7c, v52
	s_wait_kmcnt 0x0
	v_add_nc_u32_e32 v9, s1, v2
	s_clause 0x1
	scratch_store_b64 off, v[0:1], s32 offset:548
	scratch_store_b32 off, v52, s32 offset:992
	ds_load_b128 v[4:7], v95
	s_wait_xcnt 0x1
	v_lshl_add_u64 v[0:1], v[50:51], 2, v[94:95]
	s_delay_alu instid0(VALU_DEP_1)
	v_add_nc_u64_e32 v[0:1], v[10:11], v[0:1]
	s_wait_dscnt 0x0
	scratch_store_b128 off, v[4:7], s32 offset:556 ; 16-byte Folded Spill
	s_wait_xcnt 0x0
	ds_load_b128 v[4:7], v95 offset:16
	s_wait_dscnt 0x0
	scratch_store_b128 off, v[4:7], s32 offset:572 ; 16-byte Folded Spill
	s_wait_xcnt 0x0
	ds_load_b128 v[4:7], v95 offset:32
	;; [unrolled: 4-line block ×3, first 2 shown]
	s_wait_dscnt 0x0
	s_clause 0x1
	scratch_store_b128 off, v[4:7], s32 offset:604
	scratch_store_b64 off, v[50:51], s32 offset:984
	s_wait_xcnt 0x1
	ds_load_b128 v[4:7], v95 offset:64
	s_wait_dscnt 0x0
	scratch_store_b128 off, v[4:7], s32 offset:620 ; 16-byte Folded Spill
	s_wait_xcnt 0x0
	ds_load_b128 v[4:7], v95 offset:80
	s_wait_dscnt 0x0
	scratch_store_b128 off, v[4:7], s32 offset:636 ; 16-byte Folded Spill
	;; [unrolled: 4-line block ×3, first 2 shown]
	s_wait_xcnt 0x0
	ds_load_b128 v[4:7], v95 offset:112
	s_wait_dscnt 0x0
	s_clause 0x1
	scratch_store_b128 off, v[4:7], s32 offset:668
	scratch_store_b64 off, v[10:11], s32 offset:960
	s_wait_xcnt 0x1
	ds_load_b128 v[2:5], v95 offset:128
	s_wait_dscnt 0x0
	scratch_store_b128 off, v[2:5], s32 offset:684 ; 16-byte Folded Spill
	s_wait_xcnt 0x0
	ds_load_b128 v[2:5], v95 offset:144
	s_wait_dscnt 0x0
	scratch_store_b128 off, v[2:5], s32 offset:700 ; 16-byte Folded Spill
	;; [unrolled: 4-line block ×16, first 2 shown]
	s_branch .LBB222_10
.LBB222_6:                              ;   in Loop: Header=BB222_10 Depth=1
	s_or_b32 exec_lo, exec_lo, s16
	s_delay_alu instid0(VALU_DEP_1) | instskip(SKIP_1) | instid1(VALU_DEP_2)
	v_dual_lshlrev_b32 v85, 24, v97 :: v_dual_lshlrev_b32 v96, 20, v94
	v_lshl_add_u32 v84, v84, 23, 0x3c000000
	v_and_b32_e32 v85, 0x80000000, v85
	s_delay_alu instid0(VALU_DEP_1)
	v_or3_b32 v85, v96, v85, v84
	v_mov_b32_e32 v84, v95
.LBB222_7:                              ;   in Loop: Header=BB222_10 Depth=1
	s_or_b32 exec_lo, exec_lo, s11
.LBB222_8:                              ;   in Loop: Header=BB222_10 Depth=1
	s_delay_alu instid0(SALU_CYCLE_1)
	s_or_b32 exec_lo, exec_lo, s9
	s_wait_loadcnt 0x0
	scratch_load_b32 v94, off, s32 offset:500 ; 4-byte Folded Reload
	v_mov_b32_e32 v9, v17
.LBB222_9:                              ;   in Loop: Header=BB222_10 Depth=1
	s_wait_xcnt 0x0
	s_or_b32 exec_lo, exec_lo, s8
	v_or_b32_e32 v66, v66, v52
	s_wait_loadcnt 0x0
	v_dual_add_nc_u32 v94, 4, v94 :: v_dual_bitop2_b32 v52, v54, v48 bitop3:0x54
	v_or_b32_e32 v29, v25, v29
	v_or_b32_e32 v28, v24, v28
	v_or_b32_e32 v25, v13, v35
	v_or_b32_e32 v24, v12, v34
	v_or_b32_e32 v13, v7, v15
	v_or_b32_e32 v12, v6, v14
	v_or_b32_e32 v15, v127, v23
	v_or_b32_e32 v14, v126, v22
	v_or_b32_e32 v127, v1, v5
	v_or_b32_e32 v126, v0, v4
	scratch_load_b64 v[0:1], off, s32 offset:492 th:TH_LOAD_LU ; 8-byte Folded Reload
	v_or_b32_e32 v69, v83, v69
	v_or_b32_e32 v68, v82, v68
	;; [unrolled: 1-line block ×6, first 2 shown]
	scratch_store_b64 off, v[68:69], s32 offset:524 ; 8-byte Folded Spill
	s_wait_xcnt 0x0
	v_or_b32_e32 v69, v71, v65
	v_or_b32_e32 v68, v70, v64
	;; [unrolled: 1-line block ×4, first 2 shown]
	s_clause 0x1
	scratch_load_b64 v[120:121], off, s32 offset:476 th:TH_LOAD_LU
	scratch_load_b64 v[114:115], off, s32 offset:484 th:TH_LOAD_LU
	v_or_b32_e32 v71, v117, v119
	v_or_b32_e32 v70, v116, v118
	;; [unrolled: 1-line block ×36, first 2 shown]
	v_pk_mul_f32 v[98:99], v[8:9], v[98:99] op_sel_hi:[0,1]
	v_pk_mul_f32 v[70:71], v[8:9], v[70:71] op_sel_hi:[0,1]
	;; [unrolled: 1-line block ×13, first 2 shown]
	s_wait_loadcnt 0x2
	v_or_b32_e32 v65, v113, v1
	v_or_b32_e32 v64, v112, v0
	s_clause 0x1
	scratch_load_b64 v[0:1], off, s32 offset:460 th:TH_LOAD_LU
	scratch_load_b64 v[2:3], off, s32 offset:468 th:TH_LOAD_LU
	v_pk_mul_f32 v[64:65], v[8:9], v[64:65] op_sel_hi:[0,1]
	s_wait_loadcnt 0x2
	v_or_b32_e32 v101, v121, v115
	v_or_b32_e32 v100, v120, v114
	s_clause 0x1
	scratch_load_b64 v[120:121], off, s32 offset:444 th:TH_LOAD_LU
	scratch_load_b64 v[114:115], off, s32 offset:452 th:TH_LOAD_LU
	v_pk_mul_f32 v[100:101], v[8:9], v[100:101] op_sel_hi:[0,1]
	;; [unrolled: 7-line block ×6, first 2 shown]
	s_wait_loadcnt 0x2
	v_or_b32_e32 v119, v1, v3
	v_or_b32_e32 v118, v0, v2
	s_clause 0x1
	scratch_load_b64 v[0:1], off, s32 offset:364 th:TH_LOAD_LU
	scratch_load_b64 v[2:3], off, s32 offset:372 th:TH_LOAD_LU
	s_wait_loadcnt 0x2
	v_or_b32_e32 v41, v121, v115
	v_or_b32_e32 v40, v120, v114
	s_clause 0x1
	scratch_load_b64 v[120:121], off, s32 offset:348 th:TH_LOAD_LU
	scratch_load_b64 v[114:115], off, s32 offset:356 th:TH_LOAD_LU
	v_pk_mul_f32 v[40:41], v[8:9], v[40:41] op_sel_hi:[0,1]
	s_wait_loadcnt 0x2
	v_or_b32_e32 v43, v1, v3
	v_or_b32_e32 v42, v0, v2
	s_clause 0x1
	scratch_load_b64 v[0:1], off, s32 offset:332 th:TH_LOAD_LU
	scratch_load_b64 v[2:3], off, s32 offset:340 th:TH_LOAD_LU
	s_wait_loadcnt 0x2
	v_or_b32_e32 v45, v121, v115
	v_or_b32_e32 v44, v120, v114
	s_clause 0x1
	scratch_load_b64 v[120:121], off, s32 offset:316 th:TH_LOAD_LU
	scratch_load_b64 v[114:115], off, s32 offset:324 th:TH_LOAD_LU
	v_pk_mul_f32 v[44:45], v[8:9], v[44:45] op_sel_hi:[0,1]
	;; [unrolled: 13-line block ×5, first 2 shown]
	s_wait_loadcnt 0x2
	v_or_b32_e32 v75, v1, v3
	v_or_b32_e32 v74, v0, v2
	s_clause 0x5
	scratch_load_b64 v[0:1], off, s32 offset:204 th:TH_LOAD_LU
	scratch_load_b64 v[2:3], off, s32 offset:212 th:TH_LOAD_LU
	scratch_load_b128 v[90:93], off, s32 offset:572
	scratch_load_b128 v[108:111], off, s32 offset:604
	;; [unrolled: 1-line block ×4, first 2 shown]
	s_wait_loadcnt 0x6
	v_or_b32_e32 v77, v121, v115
	v_or_b32_e32 v76, v120, v114
	s_delay_alu instid0(VALU_DEP_1)
	v_pk_mul_f32 v[76:77], v[8:9], v[76:77] op_sel_hi:[0,1]
	s_wait_loadcnt 0x4
	v_or_b32_e32 v79, v1, v3
	s_wait_loadcnt 0x3
	v_pk_mul_f32 v[72:73], v[90:91], v[72:73]
	scratch_load_b128 v[88:91], off, s32 offset:556 ; 16-byte Folded Reload
	v_or_b32_e32 v78, v0, v2
	scratch_load_b128 v[0:3], off, s32 offset:668 ; 16-byte Folded Reload
	s_wait_loadcnt 0x1
	v_pk_fma_f32 v[72:73], v[88:89], v[76:77], v[72:73]
	s_delay_alu instid0(VALU_DEP_1) | instskip(SKIP_2) | instid1(VALU_DEP_1)
	v_pk_fma_f32 v[60:61], v[104:105], v[60:61], v[72:73]
	scratch_load_b128 v[102:105], off, s32 offset:652 ; 16-byte Folded Reload
	v_pk_fma_f32 v[56:57], v[108:109], v[56:57], v[60:61]
	v_pk_fma_f32 v[44:45], v[122:123], v[44:45], v[56:57]
	scratch_load_b128 v[120:123], off, s32 offset:636 ; 16-byte Folded Reload
	s_wait_loadcnt 0x0
	v_pk_fma_f32 v[40:41], v[120:121], v[40:41], v[44:45]
	s_delay_alu instid0(VALU_DEP_1) | instskip(NEXT) | instid1(VALU_DEP_1)
	v_pk_fma_f32 v[116:117], v[102:103], v[116:117], v[40:41]
	v_pk_fma_f32 v[112:113], v[0:1], v[112:113], v[116:117]
	scratch_load_b128 v[114:117], off, s32 offset:684 ; 16-byte Folded Reload
	s_wait_loadcnt 0x0
	v_pk_fma_f32 v[100:101], v[114:115], v[100:101], v[112:113]
	scratch_load_b128 v[112:115], off, s32 offset:700 ; 16-byte Folded Reload
	s_wait_loadcnt 0x0
	;; [unrolled: 3-line block ×4, first 2 shown]
	v_pk_fma_f32 v[54:55], v[98:99], v[54:55], v[70:71]
	v_pk_mul_f32 v[70:71], v[8:9], v[74:75] op_sel_hi:[0,1]
	v_pk_mul_f32 v[98:99], v[8:9], v[78:79] op_sel_hi:[0,1]
	s_delay_alu instid0(VALU_DEP_2) | instskip(NEXT) | instid1(VALU_DEP_1)
	v_pk_mul_f32 v[70:71], v[92:93], v[70:71]
	v_pk_fma_f32 v[70:71], v[90:91], v[98:99], v[70:71]
	v_pk_mul_f32 v[98:99], v[8:9], v[62:63] op_sel_hi:[0,1]
	s_delay_alu instid0(VALU_DEP_1) | instskip(SKIP_1) | instid1(VALU_DEP_1)
	v_pk_fma_f32 v[70:71], v[106:107], v[98:99], v[70:71]
	v_pk_mul_f32 v[98:99], v[8:9], v[58:59] op_sel_hi:[0,1]
	v_pk_fma_f32 v[70:71], v[110:111], v[98:99], v[70:71]
	v_pk_mul_f32 v[98:99], v[8:9], v[46:47] op_sel_hi:[0,1]
	s_delay_alu instid0(VALU_DEP_1) | instskip(SKIP_1) | instid1(VALU_DEP_1)
	v_pk_fma_f32 v[70:71], v[124:125], v[98:99], v[70:71]
	v_pk_mul_f32 v[98:99], v[8:9], v[42:43] op_sel_hi:[0,1]
	v_pk_fma_f32 v[70:71], v[122:123], v[98:99], v[70:71]
	v_pk_mul_f32 v[98:99], v[8:9], v[118:119] op_sel_hi:[0,1]
	s_delay_alu instid0(VALU_DEP_1) | instskip(NEXT) | instid1(VALU_DEP_1)
	v_pk_fma_f32 v[70:71], v[104:105], v[98:99], v[70:71]
	v_pk_fma_f32 v[70:71], v[2:3], v[96:97], v[70:71]
	s_clause 0x1
	scratch_load_b128 v[0:3], off, s32 offset:748
	scratch_load_b128 v[96:99], off, s32 offset:764
	v_pk_fma_f32 v[70:71], v[116:117], v[82:83], v[70:71]
	scratch_load_b128 v[116:119], off, s32 offset:828 ; 16-byte Folded Reload
	v_pk_fma_f32 v[64:65], v[114:115], v[64:65], v[70:71]
	scratch_load_b128 v[112:115], off, s32 offset:812 ; 16-byte Folded Reload
	v_pk_fma_f32 v[48:49], v[102:103], v[48:49], v[64:65]
	s_delay_alu instid0(VALU_DEP_1)
	v_pk_fma_f32 v[38:39], v[100:101], v[38:39], v[48:49]
	scratch_load_b128 v[100:103], off, s32 offset:780 ; 16-byte Folded Reload
	s_wait_loadcnt 0x4
	v_pk_fma_f32 v[34:35], v[0:1], v[34:35], v[54:55]
	v_pk_mul_f32 v[0:1], v[8:9], v[126:127] op_sel_hi:[0,1]
	s_wait_loadcnt 0x3
	s_delay_alu instid0(VALU_DEP_2) | instskip(SKIP_1) | instid1(VALU_DEP_1)
	v_pk_fma_f32 v[32:33], v[96:97], v[32:33], v[34:35]
	s_wait_loadcnt 0x0
	v_pk_fma_f32 v[22:23], v[100:101], v[22:23], v[32:33]
	scratch_load_b128 v[32:35], off, s32 offset:796 ; 16-byte Folded Reload
	s_wait_loadcnt 0x0
	v_pk_fma_f32 v[18:19], v[32:33], v[18:19], v[22:23]
	s_delay_alu instid0(VALU_DEP_1) | instskip(SKIP_1) | instid1(VALU_DEP_2)
	v_pk_fma_f32 v[14:15], v[112:113], v[14:15], v[18:19]
	v_pk_mul_f32 v[18:19], v[8:9], v[20:21] op_sel_hi:[0,1]
	v_pk_fma_f32 v[12:13], v[116:117], v[12:13], v[14:15]
	v_pk_mul_f32 v[14:15], v[8:9], v[30:31] op_sel_hi:[0,1]
	scratch_load_b128 v[30:33], off, s32 offset:844 ; 16-byte Folded Reload
	s_wait_loadcnt 0x0
	v_pk_fma_f32 v[12:13], v[30:31], v[14:15], v[12:13]
	v_pk_mul_f32 v[14:15], v[8:9], v[28:29] op_sel_hi:[0,1]
	scratch_load_b128 v[28:31], off, s32 offset:860 ; 16-byte Folded Reload
	s_wait_loadcnt 0x0
	;; [unrolled: 4-line block ×4, first 2 shown]
	v_pk_fma_f32 v[12:13], v[64:65], v[14:15], v[12:13]
	v_pk_mul_f32 v[14:15], v[8:9], v[26:27] op_sel_hi:[0,1]
	s_delay_alu instid0(VALU_DEP_1) | instskip(SKIP_1) | instid1(VALU_DEP_2)
	v_pk_fma_f32 v[14:15], v[2:3], v[14:15], v[38:39]
	v_pk_mul_f32 v[2:3], v[8:9], v[24:25] op_sel_hi:[0,1]
	v_pk_fma_f32 v[14:15], v[98:99], v[18:19], v[14:15]
	scratch_load_b128 v[18:21], off, s32 offset:908 ; 16-byte Folded Reload
	v_pk_fma_f32 v[10:11], v[102:103], v[10:11], v[14:15]
	s_delay_alu instid0(VALU_DEP_1) | instskip(SKIP_1) | instid1(VALU_DEP_2)
	v_pk_fma_f32 v[4:5], v[34:35], v[4:5], v[10:11]
	v_pk_mul_f32 v[10:11], v[8:9], v[86:87] op_sel_hi:[0,1]
	v_pk_fma_f32 v[0:1], v[114:115], v[0:1], v[4:5]
	v_pk_mul_f32 v[4:5], v[8:9], v[6:7] op_sel_hi:[0,1]
	v_pk_mul_f32 v[6:7], v[8:9], v[80:81] op_sel_hi:[0,1]
	v_mov_b32_e32 v114, v94
	s_delay_alu instid0(VALU_DEP_3) | instskip(SKIP_3) | instid1(VALU_DEP_1)
	v_pk_fma_f32 v[0:1], v[118:119], v[4:5], v[0:1]
	scratch_load_b64 v[4:5], off, s32 offset:524 th:TH_LOAD_LU ; 8-byte Folded Reload
	v_pk_fma_f32 v[0:1], v[32:33], v[2:3], v[0:1]
	v_pk_mul_f32 v[2:3], v[8:9], v[36:37] op_sel_hi:[0,1]
	v_pk_fma_f32 v[0:1], v[30:31], v[2:3], v[0:1]
	v_pk_mul_f32 v[2:3], v[8:9], v[52:53] op_sel_hi:[0,1]
	s_delay_alu instid0(VALU_DEP_1) | instskip(SKIP_1) | instid1(VALU_DEP_1)
	v_pk_fma_f32 v[0:1], v[50:51], v[2:3], v[0:1]
	v_pk_mul_f32 v[2:3], v[8:9], v[68:69] op_sel_hi:[0,1]
	v_pk_fma_f32 v[0:1], v[66:67], v[2:3], v[0:1]
	s_wait_loadcnt 0x1
	s_delay_alu instid0(VALU_DEP_1) | instskip(SKIP_2) | instid1(VALU_DEP_1)
	v_pk_fma_f32 v[0:1], v[20:21], v[6:7], v[0:1]
	s_wait_loadcnt 0x0
	v_pk_mul_f32 v[4:5], v[8:9], v[4:5] op_sel_hi:[0,1]
	v_pk_fma_f32 v[2:3], v[18:19], v[4:5], v[12:13]
	s_clause 0x1
	scratch_load_b128 v[18:21], off, s32 offset:924
	scratch_load_b64 v[4:5], off, s32 offset:192
	s_wait_loadcnt 0x1
	v_pk_fma_f32 v[2:3], v[18:19], v[10:11], v[2:3]
	s_delay_alu instid0(VALU_DEP_1) | instskip(SKIP_3) | instid1(VALU_DEP_1)
	v_add_f32_e32 v2, v2, v3
	scratch_load_b32 v3, off, s32 offset:532 ; 4-byte Folded Reload
	s_wait_loadcnt 0x1
	v_mov_b32_e32 v14, v4
	v_sub_nc_u32_e32 v4, 1, v14
	v_cmp_lt_i32_e64 s1, v16, v14
	s_delay_alu instid0(VALU_DEP_2)
	v_add_nc_u32_e32 v12, v4, v16
	v_pk_mul_f32 v[4:5], v[8:9], v[84:85] op_sel_hi:[0,1]
	scratch_load_b32 v8, off, s32 offset:520 th:TH_LOAD_LU ; 4-byte Folded Reload
	v_add_nc_u32_e32 v16, 0x80, v16
	v_cvt_f32_i32_e32 v6, v12
	v_pk_fma_f32 v[0:1], v[20:21], v[4:5], v[0:1]
	s_delay_alu instid0(VALU_DEP_1) | instskip(NEXT) | instid1(VALU_DEP_1)
	v_add_f32_e32 v0, v0, v2
	v_add_f32_e32 v0, v1, v0
	scratch_load_b32 v1, off, s32 offset:544 ; 4-byte Folded Reload
	s_wait_loadcnt 0x2
	v_mul_f32_e32 v3, v3, v6
	s_delay_alu instid0(VALU_DEP_1) | instskip(SKIP_1) | instid1(VALU_DEP_1)
	v_cndmask_b32_e32 v2, 0, v3, vcc_lo
	s_wait_loadcnt 0x0
	v_fmac_f32_e32 v2, v1, v0
	s_delay_alu instid0(VALU_DEP_1) | instskip(NEXT) | instid1(VALU_DEP_1)
	v_dual_max_num_f32 v0, v8, v8 :: v_dual_cndmask_b32 v1, 0, v2, s1
	v_max_num_f32_e32 v0, v0, v2
	ds_store_b32 v9, v1
	v_cndmask_b32_e64 v8, v8, v0, s1
	scratch_load_b32 v0, off, s32 offset:200 ; 4-byte Folded Reload
	v_add_nc_u32_e32 v9, 0x200, v9
	s_wait_loadcnt 0x0
	v_cmp_ge_i32_e64 s1, v94, v0
	scratch_load_b64 v[0:1], off, s32 offset:512 th:TH_LOAD_LU ; 8-byte Folded Reload
	s_or_b32 s3, s1, s3
	s_wait_loadcnt 0x0
	v_add_nc_u64_e32 v[0:1], 16, v[0:1]
	s_wait_xcnt 0x0
	s_and_not1_b32 exec_lo, exec_lo, s3
	s_cbranch_execz .LBB222_775
.LBB222_10:                             ; =>This Inner Loop Header: Depth=1
	s_clause 0x2
	scratch_store_b32 off, v114, s32 offset:500
	scratch_store_b32 off, v8, s32 offset:520
	scratch_store_b64 off, v[0:1], s32 offset:512
	flat_load_b32 v0, v[0:1]
	s_clause 0x1
	scratch_load_b64 v[2:3], off, s32 offset:504
	scratch_load_b64 v[4:5], off, s32 offset:548
	v_mov_b32_e32 v17, v9
	s_mov_b32 s8, exec_lo
	s_wait_loadcnt_dscnt 0x0
	v_mad_nc_i64_i32 v[106:107], v0, v2, v[4:5]
	flat_load_b32 v0, v[106:107]
	scratch_load_b64 v[2:3], off, s32 offset:536 ; 8-byte Folded Reload
	s_wait_loadcnt_dscnt 0x100
	v_and_b32_e32 v1, 0xff, v0
	s_wait_loadcnt 0x0
	flat_load_b32 v8, v[2:3]
	s_wait_xcnt 0x0
	v_mov_b64_e32 v[2:3], 0
	scratch_store_b64 off, v[2:3], s32 offset:220 ; 8-byte Folded Spill
	s_wait_xcnt 0x0
	v_mov_b64_e32 v[2:3], 0
	scratch_store_b64 off, v[2:3], s32 offset:228 ; 8-byte Folded Spill
	s_wait_xcnt 0x0
	v_cmpx_ne_u16_e32 0, v1
	s_cbranch_execz .LBB222_18
; %bb.11:                               ;   in Loop: Header=BB222_10 Depth=1
	v_mov_b64_e32 v[2:3], 0x80000000
	s_mov_b32 s9, exec_lo
	scratch_store_b64 off, v[2:3], s32 offset:228 ; 8-byte Folded Spill
	s_wait_xcnt 0x0
	v_cmpx_ne_u16_e32 0x80, v1
	s_cbranch_execz .LBB222_17
; %bb.12:                               ;   in Loop: Header=BB222_10 Depth=1
	v_mov_b64_e32 v[4:5], 0x7f800001
	v_and_b32_e32 v2, 0x7f, v0
	s_mov_b32 s11, exec_lo
	scratch_store_b64 off, v[4:5], s32 offset:228 ; 8-byte Folded Spill
	s_wait_xcnt 0x0
	v_cmpx_ne_u32_e32 0x7f, v2
	s_cbranch_execz .LBB222_16
; %bb.13:                               ;   in Loop: Header=BB222_10 Depth=1
	v_dual_lshrrev_b32 v1, 3, v2 :: v_dual_bitop2_b32 v94, 7, v0 bitop3:0x40
	s_mov_b32 s16, exec_lo
	v_cmpx_gt_u32_e32 8, v2
; %bb.14:                               ;   in Loop: Header=BB222_10 Depth=1
	s_delay_alu instid0(VALU_DEP_2) | instskip(NEXT) | instid1(VALU_DEP_1)
	v_clz_i32_u32_e32 v1, v94
	v_min_u32_e32 v1, 32, v1
	s_delay_alu instid0(VALU_DEP_1) | instskip(NEXT) | instid1(VALU_DEP_1)
	v_subrev_nc_u32_e32 v2, 28, v1
	v_lshlrev_b64_e32 v[2:3], v2, v[94:95]
	s_delay_alu instid0(VALU_DEP_1)
	v_dual_sub_nc_u32 v1, 29, v1 :: v_dual_bitop2_b32 v94, 7, v2 bitop3:0x40
; %bb.15:                               ;   in Loop: Header=BB222_10 Depth=1
	s_or_b32 exec_lo, exec_lo, s16
	s_delay_alu instid0(VALU_DEP_1) | instskip(NEXT) | instid1(VALU_DEP_2)
	v_dual_lshlrev_b32 v2, 24, v0 :: v_dual_lshlrev_b32 v3, 20, v94
	v_lshl_add_u32 v1, v1, 23, 0x3c000000
	s_delay_alu instid0(VALU_DEP_2) | instskip(NEXT) | instid1(VALU_DEP_1)
	v_and_b32_e32 v2, 0x80000000, v2
	v_or3_b32 v94, v3, v2, v1
	scratch_store_b64 off, v[94:95], s32 offset:228 ; 8-byte Folded Spill
.LBB222_16:                             ;   in Loop: Header=BB222_10 Depth=1
	s_wait_xcnt 0x0
	s_or_b32 exec_lo, exec_lo, s11
.LBB222_17:                             ;   in Loop: Header=BB222_10 Depth=1
	s_delay_alu instid0(SALU_CYCLE_1)
	s_or_b32 exec_lo, exec_lo, s9
.LBB222_18:                             ;   in Loop: Header=BB222_10 Depth=1
	s_delay_alu instid0(SALU_CYCLE_1) | instskip(SKIP_2) | instid1(VALU_DEP_1)
	s_or_b32 exec_lo, exec_lo, s8
	v_lshrrev_b16 v1, 8, v0
	s_mov_b32 s8, exec_lo
	v_cmpx_ne_u16_e32 0, v1
	s_cbranch_execz .LBB222_26
; %bb.19:                               ;   in Loop: Header=BB222_10 Depth=1
	v_mov_b64_e32 v[2:3], 0x8000000000000000
	s_mov_b32 s9, exec_lo
	scratch_store_b64 off, v[2:3], s32 offset:220 ; 8-byte Folded Spill
	s_wait_xcnt 0x0
	v_cmpx_ne_u16_e32 0x80, v1
	s_cbranch_execz .LBB222_25
; %bb.20:                               ;   in Loop: Header=BB222_10 Depth=1
	v_and_b32_e32 v1, 0xffff, v1
	v_mov_b64_e32 v[4:5], 0x7f80000100000000
	s_mov_b32 s11, exec_lo
	s_delay_alu instid0(VALU_DEP_2)
	v_and_b32_e32 v2, 0x7f, v1
	scratch_store_b64 off, v[4:5], s32 offset:220 ; 8-byte Folded Spill
	s_wait_xcnt 0x0
	v_cmpx_ne_u32_e32 0x7f, v2
	s_cbranch_execz .LBB222_24
; %bb.21:                               ;   in Loop: Header=BB222_10 Depth=1
	v_dual_lshrrev_b32 v1, 3, v2 :: v_dual_bitop2_b32 v94, 7, v1 bitop3:0x40
	s_mov_b32 s16, exec_lo
	v_cmpx_gt_u32_e32 8, v2
; %bb.22:                               ;   in Loop: Header=BB222_10 Depth=1
	s_delay_alu instid0(VALU_DEP_2) | instskip(NEXT) | instid1(VALU_DEP_1)
	v_clz_i32_u32_e32 v1, v94
	v_min_u32_e32 v1, 32, v1
	s_delay_alu instid0(VALU_DEP_1) | instskip(NEXT) | instid1(VALU_DEP_1)
	v_subrev_nc_u32_e32 v2, 28, v1
	v_lshlrev_b64_e32 v[2:3], v2, v[94:95]
	s_delay_alu instid0(VALU_DEP_1)
	v_dual_sub_nc_u32 v1, 29, v1 :: v_dual_bitop2_b32 v94, 7, v2 bitop3:0x40
; %bb.23:                               ;   in Loop: Header=BB222_10 Depth=1
	s_or_b32 exec_lo, exec_lo, s16
	s_delay_alu instid0(VALU_DEP_1) | instskip(NEXT) | instid1(VALU_DEP_2)
	v_dual_lshlrev_b32 v2, 16, v0 :: v_dual_lshlrev_b32 v3, 20, v94
	v_lshl_add_u32 v1, v1, 23, 0x3c000000
	s_delay_alu instid0(VALU_DEP_2) | instskip(NEXT) | instid1(VALU_DEP_1)
	v_and_b32_e32 v2, 0x80000000, v2
	v_or3_b32 v3, v3, v2, v1
	v_mov_b32_e32 v2, v95
	scratch_store_b64 off, v[2:3], s32 offset:220 ; 8-byte Folded Spill
.LBB222_24:                             ;   in Loop: Header=BB222_10 Depth=1
	s_wait_xcnt 0x0
	s_or_b32 exec_lo, exec_lo, s11
.LBB222_25:                             ;   in Loop: Header=BB222_10 Depth=1
	s_delay_alu instid0(SALU_CYCLE_1)
	s_or_b32 exec_lo, exec_lo, s9
.LBB222_26:                             ;   in Loop: Header=BB222_10 Depth=1
	s_delay_alu instid0(SALU_CYCLE_1) | instskip(SKIP_3) | instid1(VALU_DEP_1)
	s_or_b32 exec_lo, exec_lo, s8
	v_mov_b64_e32 v[4:5], 0
	v_lshrrev_b32_e32 v1, 16, v0
	s_mov_b32 s8, exec_lo
	v_and_b32_e32 v2, 0xff, v1
	scratch_store_b64 off, v[4:5], s32 offset:204 ; 8-byte Folded Spill
	s_wait_xcnt 0x0
	v_mov_b64_e32 v[4:5], 0
	scratch_store_b64 off, v[4:5], s32 offset:212 ; 8-byte Folded Spill
	s_wait_xcnt 0x0
	v_cmpx_ne_u16_e32 0, v2
	s_cbranch_execz .LBB222_34
; %bb.27:                               ;   in Loop: Header=BB222_10 Depth=1
	v_cmp_ne_u16_e64 s1, 0x80, v2
	v_mov_b64_e32 v[2:3], 0x80000000
	scratch_store_b64 off, v[2:3], s32 offset:212 ; 8-byte Folded Spill
	s_wait_xcnt 0x0
	s_and_saveexec_b32 s9, s1
	s_cbranch_execz .LBB222_33
; %bb.28:                               ;   in Loop: Header=BB222_10 Depth=1
	v_mov_b64_e32 v[4:5], 0x7f800001
	v_bfe_u32 v3, v0, 16, 7
	s_mov_b32 s11, exec_lo
	scratch_store_b64 off, v[4:5], s32 offset:212 ; 8-byte Folded Spill
	s_wait_xcnt 0x0
	v_cmpx_ne_u32_e32 0x7f, v3
	s_cbranch_execz .LBB222_32
; %bb.29:                               ;   in Loop: Header=BB222_10 Depth=1
	v_dual_lshrrev_b32 v2, 3, v3 :: v_dual_bitop2_b32 v94, 7, v1 bitop3:0x40
	s_mov_b32 s16, exec_lo
	v_cmpx_gt_u32_e32 8, v3
; %bb.30:                               ;   in Loop: Header=BB222_10 Depth=1
	s_delay_alu instid0(VALU_DEP_2) | instskip(NEXT) | instid1(VALU_DEP_1)
	v_clz_i32_u32_e32 v2, v94
	v_min_u32_e32 v2, 32, v2
	s_delay_alu instid0(VALU_DEP_1) | instskip(NEXT) | instid1(VALU_DEP_1)
	v_subrev_nc_u32_e32 v3, 28, v2
	v_lshlrev_b64_e32 v[4:5], v3, v[94:95]
	s_delay_alu instid0(VALU_DEP_1)
	v_dual_sub_nc_u32 v2, 29, v2 :: v_dual_bitop2_b32 v94, 7, v4 bitop3:0x40
; %bb.31:                               ;   in Loop: Header=BB222_10 Depth=1
	s_or_b32 exec_lo, exec_lo, s16
	s_delay_alu instid0(VALU_DEP_1) | instskip(NEXT) | instid1(VALU_DEP_2)
	v_dual_lshlrev_b32 v1, 24, v1 :: v_dual_lshlrev_b32 v3, 20, v94
	v_lshl_add_u32 v2, v2, 23, 0x3c000000
	s_delay_alu instid0(VALU_DEP_2) | instskip(NEXT) | instid1(VALU_DEP_1)
	v_and_b32_e32 v1, 0x80000000, v1
	v_or3_b32 v94, v3, v1, v2
	scratch_store_b64 off, v[94:95], s32 offset:212 ; 8-byte Folded Spill
.LBB222_32:                             ;   in Loop: Header=BB222_10 Depth=1
	s_wait_xcnt 0x0
	s_or_b32 exec_lo, exec_lo, s11
.LBB222_33:                             ;   in Loop: Header=BB222_10 Depth=1
	s_delay_alu instid0(SALU_CYCLE_1)
	s_or_b32 exec_lo, exec_lo, s9
.LBB222_34:                             ;   in Loop: Header=BB222_10 Depth=1
	s_delay_alu instid0(SALU_CYCLE_1) | instskip(NEXT) | instid1(SALU_CYCLE_1)
	s_or_b32 exec_lo, exec_lo, s8
	s_mov_b32 s8, exec_lo
	v_cmpx_lt_u32_e32 0xffffff, v0
	s_cbranch_execz .LBB222_42
; %bb.35:                               ;   in Loop: Header=BB222_10 Depth=1
	v_mov_b64_e32 v[2:3], 0x8000000000000000
	v_lshrrev_b32_e32 v1, 24, v0
	s_mov_b32 s9, exec_lo
	scratch_store_b64 off, v[2:3], s32 offset:204 ; 8-byte Folded Spill
	s_wait_xcnt 0x0
	v_cmpx_ne_u32_e32 0x80, v1
	s_cbranch_execz .LBB222_41
; %bb.36:                               ;   in Loop: Header=BB222_10 Depth=1
	v_mov_b64_e32 v[4:5], 0x7f80000100000000
	v_bfe_u32 v2, v0, 24, 7
	s_mov_b32 s11, exec_lo
	scratch_store_b64 off, v[4:5], s32 offset:204 ; 8-byte Folded Spill
	s_wait_xcnt 0x0
	v_cmpx_ne_u32_e32 0x7f, v2
	s_cbranch_execz .LBB222_40
; %bb.37:                               ;   in Loop: Header=BB222_10 Depth=1
	v_dual_lshrrev_b32 v0, 3, v2 :: v_dual_bitop2_b32 v94, 7, v1 bitop3:0x40
	s_mov_b32 s16, exec_lo
	v_cmpx_gt_u32_e32 8, v2
; %bb.38:                               ;   in Loop: Header=BB222_10 Depth=1
	s_delay_alu instid0(VALU_DEP_2) | instskip(NEXT) | instid1(VALU_DEP_1)
	v_clz_i32_u32_e32 v0, v94
	v_min_u32_e32 v0, 32, v0
	s_delay_alu instid0(VALU_DEP_1) | instskip(NEXT) | instid1(VALU_DEP_1)
	v_subrev_nc_u32_e32 v2, 28, v0
	v_lshlrev_b64_e32 v[2:3], v2, v[94:95]
	s_delay_alu instid0(VALU_DEP_1)
	v_dual_sub_nc_u32 v0, 29, v0 :: v_dual_bitop2_b32 v94, 7, v2 bitop3:0x40
; %bb.39:                               ;   in Loop: Header=BB222_10 Depth=1
	s_or_b32 exec_lo, exec_lo, s16
	s_delay_alu instid0(VALU_DEP_1) | instskip(NEXT) | instid1(VALU_DEP_2)
	v_dual_lshlrev_b32 v1, 24, v1 :: v_dual_lshlrev_b32 v2, 20, v94
	v_lshl_add_u32 v0, v0, 23, 0x3c000000
	s_delay_alu instid0(VALU_DEP_2) | instskip(NEXT) | instid1(VALU_DEP_1)
	v_and_b32_e32 v1, 0x80000000, v1
	v_or3_b32 v1, v2, v1, v0
	v_mov_b32_e32 v0, v95
	scratch_store_b64 off, v[0:1], s32 offset:204 ; 8-byte Folded Spill
.LBB222_40:                             ;   in Loop: Header=BB222_10 Depth=1
	s_wait_xcnt 0x0
	s_or_b32 exec_lo, exec_lo, s11
.LBB222_41:                             ;   in Loop: Header=BB222_10 Depth=1
	s_delay_alu instid0(SALU_CYCLE_1)
	s_or_b32 exec_lo, exec_lo, s9
.LBB222_42:                             ;   in Loop: Header=BB222_10 Depth=1
	s_delay_alu instid0(SALU_CYCLE_1)
	s_or_b32 exec_lo, exec_lo, s8
	flat_load_b32 v0, v[106:107] offset:4
	v_mov_b64_e32 v[2:3], 0
	s_mov_b32 s8, exec_lo
	scratch_store_b64 off, v[2:3], s32 offset:252 ; 8-byte Folded Spill
	s_wait_xcnt 0x0
	v_mov_b64_e32 v[2:3], 0
	scratch_store_b64 off, v[2:3], s32 offset:260 ; 8-byte Folded Spill
	s_wait_loadcnt_dscnt 0x0
	v_and_b32_e32 v1, 0xff, v0
	s_wait_xcnt 0x0
	s_delay_alu instid0(VALU_DEP_1)
	v_cmpx_ne_u16_e32 0, v1
	s_cbranch_execz .LBB222_50
; %bb.43:                               ;   in Loop: Header=BB222_10 Depth=1
	v_mov_b64_e32 v[2:3], 0x80000000
	s_mov_b32 s9, exec_lo
	scratch_store_b64 off, v[2:3], s32 offset:260 ; 8-byte Folded Spill
	s_wait_xcnt 0x0
	v_cmpx_ne_u16_e32 0x80, v1
	s_cbranch_execz .LBB222_49
; %bb.44:                               ;   in Loop: Header=BB222_10 Depth=1
	v_mov_b64_e32 v[4:5], 0x7f800001
	v_and_b32_e32 v2, 0x7f, v0
	s_mov_b32 s11, exec_lo
	scratch_store_b64 off, v[4:5], s32 offset:260 ; 8-byte Folded Spill
	s_wait_xcnt 0x0
	v_cmpx_ne_u32_e32 0x7f, v2
	s_cbranch_execz .LBB222_48
; %bb.45:                               ;   in Loop: Header=BB222_10 Depth=1
	v_dual_lshrrev_b32 v1, 3, v2 :: v_dual_bitop2_b32 v94, 7, v0 bitop3:0x40
	s_mov_b32 s16, exec_lo
	v_cmpx_gt_u32_e32 8, v2
; %bb.46:                               ;   in Loop: Header=BB222_10 Depth=1
	s_delay_alu instid0(VALU_DEP_2) | instskip(NEXT) | instid1(VALU_DEP_1)
	v_clz_i32_u32_e32 v1, v94
	v_min_u32_e32 v1, 32, v1
	s_delay_alu instid0(VALU_DEP_1) | instskip(NEXT) | instid1(VALU_DEP_1)
	v_subrev_nc_u32_e32 v2, 28, v1
	v_lshlrev_b64_e32 v[2:3], v2, v[94:95]
	s_delay_alu instid0(VALU_DEP_1)
	v_dual_sub_nc_u32 v1, 29, v1 :: v_dual_bitop2_b32 v94, 7, v2 bitop3:0x40
; %bb.47:                               ;   in Loop: Header=BB222_10 Depth=1
	s_or_b32 exec_lo, exec_lo, s16
	s_delay_alu instid0(VALU_DEP_1) | instskip(NEXT) | instid1(VALU_DEP_2)
	v_dual_lshlrev_b32 v2, 24, v0 :: v_dual_lshlrev_b32 v3, 20, v94
	v_lshl_add_u32 v1, v1, 23, 0x3c000000
	s_delay_alu instid0(VALU_DEP_2) | instskip(NEXT) | instid1(VALU_DEP_1)
	v_and_b32_e32 v2, 0x80000000, v2
	v_or3_b32 v94, v3, v2, v1
	scratch_store_b64 off, v[94:95], s32 offset:260 ; 8-byte Folded Spill
.LBB222_48:                             ;   in Loop: Header=BB222_10 Depth=1
	s_wait_xcnt 0x0
	s_or_b32 exec_lo, exec_lo, s11
.LBB222_49:                             ;   in Loop: Header=BB222_10 Depth=1
	s_delay_alu instid0(SALU_CYCLE_1)
	s_or_b32 exec_lo, exec_lo, s9
.LBB222_50:                             ;   in Loop: Header=BB222_10 Depth=1
	s_delay_alu instid0(SALU_CYCLE_1) | instskip(SKIP_2) | instid1(VALU_DEP_1)
	s_or_b32 exec_lo, exec_lo, s8
	v_lshrrev_b16 v1, 8, v0
	s_mov_b32 s8, exec_lo
	v_cmpx_ne_u16_e32 0, v1
	s_cbranch_execz .LBB222_58
; %bb.51:                               ;   in Loop: Header=BB222_10 Depth=1
	v_mov_b64_e32 v[2:3], 0x8000000000000000
	s_mov_b32 s9, exec_lo
	scratch_store_b64 off, v[2:3], s32 offset:252 ; 8-byte Folded Spill
	s_wait_xcnt 0x0
	v_cmpx_ne_u16_e32 0x80, v1
	s_cbranch_execz .LBB222_57
; %bb.52:                               ;   in Loop: Header=BB222_10 Depth=1
	v_and_b32_e32 v1, 0xffff, v1
	v_mov_b64_e32 v[4:5], 0x7f80000100000000
	s_mov_b32 s11, exec_lo
	s_delay_alu instid0(VALU_DEP_2)
	v_and_b32_e32 v2, 0x7f, v1
	scratch_store_b64 off, v[4:5], s32 offset:252 ; 8-byte Folded Spill
	s_wait_xcnt 0x0
	v_cmpx_ne_u32_e32 0x7f, v2
	s_cbranch_execz .LBB222_56
; %bb.53:                               ;   in Loop: Header=BB222_10 Depth=1
	v_dual_lshrrev_b32 v1, 3, v2 :: v_dual_bitop2_b32 v94, 7, v1 bitop3:0x40
	s_mov_b32 s16, exec_lo
	v_cmpx_gt_u32_e32 8, v2
; %bb.54:                               ;   in Loop: Header=BB222_10 Depth=1
	s_delay_alu instid0(VALU_DEP_2) | instskip(NEXT) | instid1(VALU_DEP_1)
	v_clz_i32_u32_e32 v1, v94
	v_min_u32_e32 v1, 32, v1
	s_delay_alu instid0(VALU_DEP_1) | instskip(NEXT) | instid1(VALU_DEP_1)
	v_subrev_nc_u32_e32 v2, 28, v1
	v_lshlrev_b64_e32 v[2:3], v2, v[94:95]
	s_delay_alu instid0(VALU_DEP_1)
	v_dual_sub_nc_u32 v1, 29, v1 :: v_dual_bitop2_b32 v94, 7, v2 bitop3:0x40
; %bb.55:                               ;   in Loop: Header=BB222_10 Depth=1
	s_or_b32 exec_lo, exec_lo, s16
	s_delay_alu instid0(VALU_DEP_1) | instskip(NEXT) | instid1(VALU_DEP_2)
	v_dual_lshlrev_b32 v2, 16, v0 :: v_dual_lshlrev_b32 v3, 20, v94
	v_lshl_add_u32 v1, v1, 23, 0x3c000000
	s_delay_alu instid0(VALU_DEP_2) | instskip(NEXT) | instid1(VALU_DEP_1)
	v_and_b32_e32 v2, 0x80000000, v2
	v_or3_b32 v3, v3, v2, v1
	v_mov_b32_e32 v2, v95
	scratch_store_b64 off, v[2:3], s32 offset:252 ; 8-byte Folded Spill
.LBB222_56:                             ;   in Loop: Header=BB222_10 Depth=1
	s_wait_xcnt 0x0
	s_or_b32 exec_lo, exec_lo, s11
.LBB222_57:                             ;   in Loop: Header=BB222_10 Depth=1
	s_delay_alu instid0(SALU_CYCLE_1)
	s_or_b32 exec_lo, exec_lo, s9
.LBB222_58:                             ;   in Loop: Header=BB222_10 Depth=1
	s_delay_alu instid0(SALU_CYCLE_1) | instskip(SKIP_3) | instid1(VALU_DEP_1)
	s_or_b32 exec_lo, exec_lo, s8
	v_mov_b64_e32 v[4:5], 0
	v_lshrrev_b32_e32 v1, 16, v0
	s_mov_b32 s8, exec_lo
	v_and_b32_e32 v2, 0xff, v1
	scratch_store_b64 off, v[4:5], s32 offset:236 ; 8-byte Folded Spill
	s_wait_xcnt 0x0
	v_mov_b64_e32 v[4:5], 0
	scratch_store_b64 off, v[4:5], s32 offset:244 ; 8-byte Folded Spill
	s_wait_xcnt 0x0
	v_cmpx_ne_u16_e32 0, v2
	s_cbranch_execz .LBB222_66
; %bb.59:                               ;   in Loop: Header=BB222_10 Depth=1
	v_cmp_ne_u16_e64 s1, 0x80, v2
	v_mov_b64_e32 v[2:3], 0x80000000
	scratch_store_b64 off, v[2:3], s32 offset:244 ; 8-byte Folded Spill
	s_wait_xcnt 0x0
	s_and_saveexec_b32 s9, s1
	s_cbranch_execz .LBB222_65
; %bb.60:                               ;   in Loop: Header=BB222_10 Depth=1
	v_mov_b64_e32 v[4:5], 0x7f800001
	v_bfe_u32 v3, v0, 16, 7
	s_mov_b32 s11, exec_lo
	scratch_store_b64 off, v[4:5], s32 offset:244 ; 8-byte Folded Spill
	s_wait_xcnt 0x0
	v_cmpx_ne_u32_e32 0x7f, v3
	s_cbranch_execz .LBB222_64
; %bb.61:                               ;   in Loop: Header=BB222_10 Depth=1
	v_dual_lshrrev_b32 v2, 3, v3 :: v_dual_bitop2_b32 v94, 7, v1 bitop3:0x40
	s_mov_b32 s16, exec_lo
	v_cmpx_gt_u32_e32 8, v3
; %bb.62:                               ;   in Loop: Header=BB222_10 Depth=1
	s_delay_alu instid0(VALU_DEP_2) | instskip(NEXT) | instid1(VALU_DEP_1)
	v_clz_i32_u32_e32 v2, v94
	v_min_u32_e32 v2, 32, v2
	s_delay_alu instid0(VALU_DEP_1) | instskip(NEXT) | instid1(VALU_DEP_1)
	v_subrev_nc_u32_e32 v3, 28, v2
	v_lshlrev_b64_e32 v[4:5], v3, v[94:95]
	s_delay_alu instid0(VALU_DEP_1)
	v_dual_sub_nc_u32 v2, 29, v2 :: v_dual_bitop2_b32 v94, 7, v4 bitop3:0x40
; %bb.63:                               ;   in Loop: Header=BB222_10 Depth=1
	s_or_b32 exec_lo, exec_lo, s16
	s_delay_alu instid0(VALU_DEP_1) | instskip(NEXT) | instid1(VALU_DEP_2)
	v_dual_lshlrev_b32 v1, 24, v1 :: v_dual_lshlrev_b32 v3, 20, v94
	v_lshl_add_u32 v2, v2, 23, 0x3c000000
	s_delay_alu instid0(VALU_DEP_2) | instskip(NEXT) | instid1(VALU_DEP_1)
	v_and_b32_e32 v1, 0x80000000, v1
	v_or3_b32 v94, v3, v1, v2
	scratch_store_b64 off, v[94:95], s32 offset:244 ; 8-byte Folded Spill
.LBB222_64:                             ;   in Loop: Header=BB222_10 Depth=1
	s_wait_xcnt 0x0
	s_or_b32 exec_lo, exec_lo, s11
.LBB222_65:                             ;   in Loop: Header=BB222_10 Depth=1
	s_delay_alu instid0(SALU_CYCLE_1)
	s_or_b32 exec_lo, exec_lo, s9
.LBB222_66:                             ;   in Loop: Header=BB222_10 Depth=1
	s_delay_alu instid0(SALU_CYCLE_1) | instskip(NEXT) | instid1(SALU_CYCLE_1)
	s_or_b32 exec_lo, exec_lo, s8
	s_mov_b32 s8, exec_lo
	v_cmpx_lt_u32_e32 0xffffff, v0
	s_cbranch_execz .LBB222_74
; %bb.67:                               ;   in Loop: Header=BB222_10 Depth=1
	v_mov_b64_e32 v[2:3], 0x8000000000000000
	v_lshrrev_b32_e32 v1, 24, v0
	s_mov_b32 s9, exec_lo
	scratch_store_b64 off, v[2:3], s32 offset:236 ; 8-byte Folded Spill
	s_wait_xcnt 0x0
	v_cmpx_ne_u32_e32 0x80, v1
	s_cbranch_execz .LBB222_73
; %bb.68:                               ;   in Loop: Header=BB222_10 Depth=1
	v_mov_b64_e32 v[4:5], 0x7f80000100000000
	v_bfe_u32 v2, v0, 24, 7
	s_mov_b32 s11, exec_lo
	scratch_store_b64 off, v[4:5], s32 offset:236 ; 8-byte Folded Spill
	s_wait_xcnt 0x0
	v_cmpx_ne_u32_e32 0x7f, v2
	s_cbranch_execz .LBB222_72
; %bb.69:                               ;   in Loop: Header=BB222_10 Depth=1
	v_dual_lshrrev_b32 v0, 3, v2 :: v_dual_bitop2_b32 v94, 7, v1 bitop3:0x40
	s_mov_b32 s16, exec_lo
	v_cmpx_gt_u32_e32 8, v2
; %bb.70:                               ;   in Loop: Header=BB222_10 Depth=1
	s_delay_alu instid0(VALU_DEP_2) | instskip(NEXT) | instid1(VALU_DEP_1)
	v_clz_i32_u32_e32 v0, v94
	v_min_u32_e32 v0, 32, v0
	s_delay_alu instid0(VALU_DEP_1) | instskip(NEXT) | instid1(VALU_DEP_1)
	v_subrev_nc_u32_e32 v2, 28, v0
	v_lshlrev_b64_e32 v[2:3], v2, v[94:95]
	s_delay_alu instid0(VALU_DEP_1)
	v_dual_sub_nc_u32 v0, 29, v0 :: v_dual_bitop2_b32 v94, 7, v2 bitop3:0x40
; %bb.71:                               ;   in Loop: Header=BB222_10 Depth=1
	s_or_b32 exec_lo, exec_lo, s16
	s_delay_alu instid0(VALU_DEP_1) | instskip(NEXT) | instid1(VALU_DEP_2)
	v_dual_lshlrev_b32 v1, 24, v1 :: v_dual_lshlrev_b32 v2, 20, v94
	v_lshl_add_u32 v0, v0, 23, 0x3c000000
	s_delay_alu instid0(VALU_DEP_2) | instskip(NEXT) | instid1(VALU_DEP_1)
	v_and_b32_e32 v1, 0x80000000, v1
	v_or3_b32 v1, v2, v1, v0
	v_mov_b32_e32 v0, v95
	scratch_store_b64 off, v[0:1], s32 offset:236 ; 8-byte Folded Spill
.LBB222_72:                             ;   in Loop: Header=BB222_10 Depth=1
	s_wait_xcnt 0x0
	s_or_b32 exec_lo, exec_lo, s11
.LBB222_73:                             ;   in Loop: Header=BB222_10 Depth=1
	s_delay_alu instid0(SALU_CYCLE_1)
	s_or_b32 exec_lo, exec_lo, s9
.LBB222_74:                             ;   in Loop: Header=BB222_10 Depth=1
	s_delay_alu instid0(SALU_CYCLE_1)
	s_or_b32 exec_lo, exec_lo, s8
	flat_load_b32 v0, v[106:107] offset:8
	v_mov_b64_e32 v[2:3], 0
	s_mov_b32 s8, exec_lo
	scratch_store_b64 off, v[2:3], s32 offset:284 ; 8-byte Folded Spill
	s_wait_xcnt 0x0
	v_mov_b64_e32 v[2:3], 0
	scratch_store_b64 off, v[2:3], s32 offset:292 ; 8-byte Folded Spill
	s_wait_loadcnt_dscnt 0x0
	v_and_b32_e32 v1, 0xff, v0
	s_wait_xcnt 0x0
	s_delay_alu instid0(VALU_DEP_1)
	v_cmpx_ne_u16_e32 0, v1
	s_cbranch_execz .LBB222_82
; %bb.75:                               ;   in Loop: Header=BB222_10 Depth=1
	v_mov_b64_e32 v[2:3], 0x80000000
	s_mov_b32 s9, exec_lo
	scratch_store_b64 off, v[2:3], s32 offset:292 ; 8-byte Folded Spill
	s_wait_xcnt 0x0
	v_cmpx_ne_u16_e32 0x80, v1
	s_cbranch_execz .LBB222_81
; %bb.76:                               ;   in Loop: Header=BB222_10 Depth=1
	v_mov_b64_e32 v[4:5], 0x7f800001
	v_and_b32_e32 v2, 0x7f, v0
	s_mov_b32 s11, exec_lo
	scratch_store_b64 off, v[4:5], s32 offset:292 ; 8-byte Folded Spill
	s_wait_xcnt 0x0
	v_cmpx_ne_u32_e32 0x7f, v2
	s_cbranch_execz .LBB222_80
; %bb.77:                               ;   in Loop: Header=BB222_10 Depth=1
	v_dual_lshrrev_b32 v1, 3, v2 :: v_dual_bitop2_b32 v94, 7, v0 bitop3:0x40
	s_mov_b32 s16, exec_lo
	v_cmpx_gt_u32_e32 8, v2
; %bb.78:                               ;   in Loop: Header=BB222_10 Depth=1
	s_delay_alu instid0(VALU_DEP_2) | instskip(NEXT) | instid1(VALU_DEP_1)
	v_clz_i32_u32_e32 v1, v94
	v_min_u32_e32 v1, 32, v1
	s_delay_alu instid0(VALU_DEP_1) | instskip(NEXT) | instid1(VALU_DEP_1)
	v_subrev_nc_u32_e32 v2, 28, v1
	v_lshlrev_b64_e32 v[2:3], v2, v[94:95]
	s_delay_alu instid0(VALU_DEP_1)
	v_dual_sub_nc_u32 v1, 29, v1 :: v_dual_bitop2_b32 v94, 7, v2 bitop3:0x40
; %bb.79:                               ;   in Loop: Header=BB222_10 Depth=1
	s_or_b32 exec_lo, exec_lo, s16
	s_delay_alu instid0(VALU_DEP_1) | instskip(NEXT) | instid1(VALU_DEP_2)
	v_dual_lshlrev_b32 v2, 24, v0 :: v_dual_lshlrev_b32 v3, 20, v94
	v_lshl_add_u32 v1, v1, 23, 0x3c000000
	s_delay_alu instid0(VALU_DEP_2) | instskip(NEXT) | instid1(VALU_DEP_1)
	v_and_b32_e32 v2, 0x80000000, v2
	v_or3_b32 v94, v3, v2, v1
	scratch_store_b64 off, v[94:95], s32 offset:292 ; 8-byte Folded Spill
.LBB222_80:                             ;   in Loop: Header=BB222_10 Depth=1
	s_wait_xcnt 0x0
	s_or_b32 exec_lo, exec_lo, s11
.LBB222_81:                             ;   in Loop: Header=BB222_10 Depth=1
	s_delay_alu instid0(SALU_CYCLE_1)
	s_or_b32 exec_lo, exec_lo, s9
.LBB222_82:                             ;   in Loop: Header=BB222_10 Depth=1
	s_delay_alu instid0(SALU_CYCLE_1) | instskip(SKIP_2) | instid1(VALU_DEP_1)
	s_or_b32 exec_lo, exec_lo, s8
	v_lshrrev_b16 v1, 8, v0
	s_mov_b32 s8, exec_lo
	v_cmpx_ne_u16_e32 0, v1
	s_cbranch_execz .LBB222_90
; %bb.83:                               ;   in Loop: Header=BB222_10 Depth=1
	v_mov_b64_e32 v[2:3], 0x8000000000000000
	s_mov_b32 s9, exec_lo
	scratch_store_b64 off, v[2:3], s32 offset:284 ; 8-byte Folded Spill
	s_wait_xcnt 0x0
	v_cmpx_ne_u16_e32 0x80, v1
	s_cbranch_execz .LBB222_89
; %bb.84:                               ;   in Loop: Header=BB222_10 Depth=1
	v_and_b32_e32 v1, 0xffff, v1
	v_mov_b64_e32 v[4:5], 0x7f80000100000000
	s_mov_b32 s11, exec_lo
	s_delay_alu instid0(VALU_DEP_2)
	v_and_b32_e32 v2, 0x7f, v1
	scratch_store_b64 off, v[4:5], s32 offset:284 ; 8-byte Folded Spill
	s_wait_xcnt 0x0
	v_cmpx_ne_u32_e32 0x7f, v2
	s_cbranch_execz .LBB222_88
; %bb.85:                               ;   in Loop: Header=BB222_10 Depth=1
	v_dual_lshrrev_b32 v1, 3, v2 :: v_dual_bitop2_b32 v94, 7, v1 bitop3:0x40
	s_mov_b32 s16, exec_lo
	v_cmpx_gt_u32_e32 8, v2
; %bb.86:                               ;   in Loop: Header=BB222_10 Depth=1
	s_delay_alu instid0(VALU_DEP_2) | instskip(NEXT) | instid1(VALU_DEP_1)
	v_clz_i32_u32_e32 v1, v94
	v_min_u32_e32 v1, 32, v1
	s_delay_alu instid0(VALU_DEP_1) | instskip(NEXT) | instid1(VALU_DEP_1)
	v_subrev_nc_u32_e32 v2, 28, v1
	v_lshlrev_b64_e32 v[2:3], v2, v[94:95]
	s_delay_alu instid0(VALU_DEP_1)
	v_dual_sub_nc_u32 v1, 29, v1 :: v_dual_bitop2_b32 v94, 7, v2 bitop3:0x40
; %bb.87:                               ;   in Loop: Header=BB222_10 Depth=1
	s_or_b32 exec_lo, exec_lo, s16
	s_delay_alu instid0(VALU_DEP_1) | instskip(NEXT) | instid1(VALU_DEP_2)
	v_dual_lshlrev_b32 v2, 16, v0 :: v_dual_lshlrev_b32 v3, 20, v94
	v_lshl_add_u32 v1, v1, 23, 0x3c000000
	s_delay_alu instid0(VALU_DEP_2) | instskip(NEXT) | instid1(VALU_DEP_1)
	v_and_b32_e32 v2, 0x80000000, v2
	v_or3_b32 v3, v3, v2, v1
	v_mov_b32_e32 v2, v95
	scratch_store_b64 off, v[2:3], s32 offset:284 ; 8-byte Folded Spill
.LBB222_88:                             ;   in Loop: Header=BB222_10 Depth=1
	s_wait_xcnt 0x0
	s_or_b32 exec_lo, exec_lo, s11
.LBB222_89:                             ;   in Loop: Header=BB222_10 Depth=1
	s_delay_alu instid0(SALU_CYCLE_1)
	s_or_b32 exec_lo, exec_lo, s9
.LBB222_90:                             ;   in Loop: Header=BB222_10 Depth=1
	s_delay_alu instid0(SALU_CYCLE_1) | instskip(SKIP_3) | instid1(VALU_DEP_1)
	s_or_b32 exec_lo, exec_lo, s8
	v_mov_b64_e32 v[4:5], 0
	v_lshrrev_b32_e32 v1, 16, v0
	s_mov_b32 s8, exec_lo
	v_and_b32_e32 v2, 0xff, v1
	scratch_store_b64 off, v[4:5], s32 offset:268 ; 8-byte Folded Spill
	s_wait_xcnt 0x0
	v_mov_b64_e32 v[4:5], 0
	scratch_store_b64 off, v[4:5], s32 offset:276 ; 8-byte Folded Spill
	s_wait_xcnt 0x0
	v_cmpx_ne_u16_e32 0, v2
	s_cbranch_execz .LBB222_98
; %bb.91:                               ;   in Loop: Header=BB222_10 Depth=1
	v_cmp_ne_u16_e64 s1, 0x80, v2
	v_mov_b64_e32 v[2:3], 0x80000000
	scratch_store_b64 off, v[2:3], s32 offset:276 ; 8-byte Folded Spill
	s_wait_xcnt 0x0
	s_and_saveexec_b32 s9, s1
	s_cbranch_execz .LBB222_97
; %bb.92:                               ;   in Loop: Header=BB222_10 Depth=1
	v_mov_b64_e32 v[4:5], 0x7f800001
	v_bfe_u32 v3, v0, 16, 7
	s_mov_b32 s11, exec_lo
	scratch_store_b64 off, v[4:5], s32 offset:276 ; 8-byte Folded Spill
	s_wait_xcnt 0x0
	v_cmpx_ne_u32_e32 0x7f, v3
	s_cbranch_execz .LBB222_96
; %bb.93:                               ;   in Loop: Header=BB222_10 Depth=1
	v_dual_lshrrev_b32 v2, 3, v3 :: v_dual_bitop2_b32 v94, 7, v1 bitop3:0x40
	s_mov_b32 s16, exec_lo
	v_cmpx_gt_u32_e32 8, v3
; %bb.94:                               ;   in Loop: Header=BB222_10 Depth=1
	s_delay_alu instid0(VALU_DEP_2) | instskip(NEXT) | instid1(VALU_DEP_1)
	v_clz_i32_u32_e32 v2, v94
	v_min_u32_e32 v2, 32, v2
	s_delay_alu instid0(VALU_DEP_1) | instskip(NEXT) | instid1(VALU_DEP_1)
	v_subrev_nc_u32_e32 v3, 28, v2
	v_lshlrev_b64_e32 v[4:5], v3, v[94:95]
	s_delay_alu instid0(VALU_DEP_1)
	v_dual_sub_nc_u32 v2, 29, v2 :: v_dual_bitop2_b32 v94, 7, v4 bitop3:0x40
; %bb.95:                               ;   in Loop: Header=BB222_10 Depth=1
	s_or_b32 exec_lo, exec_lo, s16
	s_delay_alu instid0(VALU_DEP_1) | instskip(NEXT) | instid1(VALU_DEP_2)
	v_dual_lshlrev_b32 v1, 24, v1 :: v_dual_lshlrev_b32 v3, 20, v94
	v_lshl_add_u32 v2, v2, 23, 0x3c000000
	s_delay_alu instid0(VALU_DEP_2) | instskip(NEXT) | instid1(VALU_DEP_1)
	v_and_b32_e32 v1, 0x80000000, v1
	v_or3_b32 v94, v3, v1, v2
	scratch_store_b64 off, v[94:95], s32 offset:276 ; 8-byte Folded Spill
.LBB222_96:                             ;   in Loop: Header=BB222_10 Depth=1
	s_wait_xcnt 0x0
	s_or_b32 exec_lo, exec_lo, s11
.LBB222_97:                             ;   in Loop: Header=BB222_10 Depth=1
	s_delay_alu instid0(SALU_CYCLE_1)
	s_or_b32 exec_lo, exec_lo, s9
.LBB222_98:                             ;   in Loop: Header=BB222_10 Depth=1
	s_delay_alu instid0(SALU_CYCLE_1) | instskip(NEXT) | instid1(SALU_CYCLE_1)
	s_or_b32 exec_lo, exec_lo, s8
	s_mov_b32 s8, exec_lo
	v_cmpx_lt_u32_e32 0xffffff, v0
	s_cbranch_execz .LBB222_106
; %bb.99:                               ;   in Loop: Header=BB222_10 Depth=1
	v_mov_b64_e32 v[2:3], 0x8000000000000000
	v_lshrrev_b32_e32 v1, 24, v0
	s_mov_b32 s9, exec_lo
	scratch_store_b64 off, v[2:3], s32 offset:268 ; 8-byte Folded Spill
	s_wait_xcnt 0x0
	v_cmpx_ne_u32_e32 0x80, v1
	s_cbranch_execz .LBB222_105
; %bb.100:                              ;   in Loop: Header=BB222_10 Depth=1
	v_mov_b64_e32 v[4:5], 0x7f80000100000000
	v_bfe_u32 v2, v0, 24, 7
	s_mov_b32 s11, exec_lo
	scratch_store_b64 off, v[4:5], s32 offset:268 ; 8-byte Folded Spill
	s_wait_xcnt 0x0
	v_cmpx_ne_u32_e32 0x7f, v2
	s_cbranch_execz .LBB222_104
; %bb.101:                              ;   in Loop: Header=BB222_10 Depth=1
	v_dual_lshrrev_b32 v0, 3, v2 :: v_dual_bitop2_b32 v94, 7, v1 bitop3:0x40
	s_mov_b32 s16, exec_lo
	v_cmpx_gt_u32_e32 8, v2
; %bb.102:                              ;   in Loop: Header=BB222_10 Depth=1
	s_delay_alu instid0(VALU_DEP_2) | instskip(NEXT) | instid1(VALU_DEP_1)
	v_clz_i32_u32_e32 v0, v94
	v_min_u32_e32 v0, 32, v0
	s_delay_alu instid0(VALU_DEP_1) | instskip(NEXT) | instid1(VALU_DEP_1)
	v_subrev_nc_u32_e32 v2, 28, v0
	v_lshlrev_b64_e32 v[2:3], v2, v[94:95]
	s_delay_alu instid0(VALU_DEP_1)
	v_dual_sub_nc_u32 v0, 29, v0 :: v_dual_bitop2_b32 v94, 7, v2 bitop3:0x40
; %bb.103:                              ;   in Loop: Header=BB222_10 Depth=1
	s_or_b32 exec_lo, exec_lo, s16
	s_delay_alu instid0(VALU_DEP_1) | instskip(NEXT) | instid1(VALU_DEP_2)
	v_dual_lshlrev_b32 v1, 24, v1 :: v_dual_lshlrev_b32 v2, 20, v94
	v_lshl_add_u32 v0, v0, 23, 0x3c000000
	s_delay_alu instid0(VALU_DEP_2) | instskip(NEXT) | instid1(VALU_DEP_1)
	v_and_b32_e32 v1, 0x80000000, v1
	v_or3_b32 v1, v2, v1, v0
	v_mov_b32_e32 v0, v95
	scratch_store_b64 off, v[0:1], s32 offset:268 ; 8-byte Folded Spill
.LBB222_104:                            ;   in Loop: Header=BB222_10 Depth=1
	s_wait_xcnt 0x0
	s_or_b32 exec_lo, exec_lo, s11
.LBB222_105:                            ;   in Loop: Header=BB222_10 Depth=1
	s_delay_alu instid0(SALU_CYCLE_1)
	s_or_b32 exec_lo, exec_lo, s9
.LBB222_106:                            ;   in Loop: Header=BB222_10 Depth=1
	s_delay_alu instid0(SALU_CYCLE_1)
	s_or_b32 exec_lo, exec_lo, s8
	flat_load_b32 v0, v[106:107] offset:12
	v_mov_b64_e32 v[2:3], 0
	s_mov_b32 s8, exec_lo
	scratch_store_b64 off, v[2:3], s32 offset:316 ; 8-byte Folded Spill
	s_wait_xcnt 0x0
	v_mov_b64_e32 v[2:3], 0
	scratch_store_b64 off, v[2:3], s32 offset:324 ; 8-byte Folded Spill
	s_wait_loadcnt_dscnt 0x0
	v_and_b32_e32 v1, 0xff, v0
	s_wait_xcnt 0x0
	s_delay_alu instid0(VALU_DEP_1)
	v_cmpx_ne_u16_e32 0, v1
	s_cbranch_execz .LBB222_114
; %bb.107:                              ;   in Loop: Header=BB222_10 Depth=1
	v_mov_b64_e32 v[2:3], 0x80000000
	s_mov_b32 s9, exec_lo
	scratch_store_b64 off, v[2:3], s32 offset:324 ; 8-byte Folded Spill
	s_wait_xcnt 0x0
	v_cmpx_ne_u16_e32 0x80, v1
	s_cbranch_execz .LBB222_113
; %bb.108:                              ;   in Loop: Header=BB222_10 Depth=1
	v_mov_b64_e32 v[4:5], 0x7f800001
	v_and_b32_e32 v2, 0x7f, v0
	s_mov_b32 s11, exec_lo
	scratch_store_b64 off, v[4:5], s32 offset:324 ; 8-byte Folded Spill
	s_wait_xcnt 0x0
	v_cmpx_ne_u32_e32 0x7f, v2
	s_cbranch_execz .LBB222_112
; %bb.109:                              ;   in Loop: Header=BB222_10 Depth=1
	v_dual_lshrrev_b32 v1, 3, v2 :: v_dual_bitop2_b32 v94, 7, v0 bitop3:0x40
	s_mov_b32 s16, exec_lo
	v_cmpx_gt_u32_e32 8, v2
; %bb.110:                              ;   in Loop: Header=BB222_10 Depth=1
	s_delay_alu instid0(VALU_DEP_2) | instskip(NEXT) | instid1(VALU_DEP_1)
	v_clz_i32_u32_e32 v1, v94
	v_min_u32_e32 v1, 32, v1
	s_delay_alu instid0(VALU_DEP_1) | instskip(NEXT) | instid1(VALU_DEP_1)
	v_subrev_nc_u32_e32 v2, 28, v1
	v_lshlrev_b64_e32 v[2:3], v2, v[94:95]
	s_delay_alu instid0(VALU_DEP_1)
	v_dual_sub_nc_u32 v1, 29, v1 :: v_dual_bitop2_b32 v94, 7, v2 bitop3:0x40
; %bb.111:                              ;   in Loop: Header=BB222_10 Depth=1
	s_or_b32 exec_lo, exec_lo, s16
	s_delay_alu instid0(VALU_DEP_1) | instskip(NEXT) | instid1(VALU_DEP_2)
	v_dual_lshlrev_b32 v2, 24, v0 :: v_dual_lshlrev_b32 v3, 20, v94
	v_lshl_add_u32 v1, v1, 23, 0x3c000000
	s_delay_alu instid0(VALU_DEP_2) | instskip(NEXT) | instid1(VALU_DEP_1)
	v_and_b32_e32 v2, 0x80000000, v2
	v_or3_b32 v94, v3, v2, v1
	scratch_store_b64 off, v[94:95], s32 offset:324 ; 8-byte Folded Spill
.LBB222_112:                            ;   in Loop: Header=BB222_10 Depth=1
	s_wait_xcnt 0x0
	s_or_b32 exec_lo, exec_lo, s11
.LBB222_113:                            ;   in Loop: Header=BB222_10 Depth=1
	s_delay_alu instid0(SALU_CYCLE_1)
	s_or_b32 exec_lo, exec_lo, s9
.LBB222_114:                            ;   in Loop: Header=BB222_10 Depth=1
	s_delay_alu instid0(SALU_CYCLE_1) | instskip(SKIP_2) | instid1(VALU_DEP_1)
	s_or_b32 exec_lo, exec_lo, s8
	v_lshrrev_b16 v1, 8, v0
	s_mov_b32 s8, exec_lo
	v_cmpx_ne_u16_e32 0, v1
	s_cbranch_execz .LBB222_122
; %bb.115:                              ;   in Loop: Header=BB222_10 Depth=1
	v_mov_b64_e32 v[2:3], 0x8000000000000000
	s_mov_b32 s9, exec_lo
	scratch_store_b64 off, v[2:3], s32 offset:316 ; 8-byte Folded Spill
	s_wait_xcnt 0x0
	v_cmpx_ne_u16_e32 0x80, v1
	s_cbranch_execz .LBB222_121
; %bb.116:                              ;   in Loop: Header=BB222_10 Depth=1
	v_and_b32_e32 v1, 0xffff, v1
	v_mov_b64_e32 v[4:5], 0x7f80000100000000
	s_mov_b32 s11, exec_lo
	s_delay_alu instid0(VALU_DEP_2)
	v_and_b32_e32 v2, 0x7f, v1
	scratch_store_b64 off, v[4:5], s32 offset:316 ; 8-byte Folded Spill
	s_wait_xcnt 0x0
	v_cmpx_ne_u32_e32 0x7f, v2
	s_cbranch_execz .LBB222_120
; %bb.117:                              ;   in Loop: Header=BB222_10 Depth=1
	v_dual_lshrrev_b32 v1, 3, v2 :: v_dual_bitop2_b32 v94, 7, v1 bitop3:0x40
	s_mov_b32 s16, exec_lo
	v_cmpx_gt_u32_e32 8, v2
; %bb.118:                              ;   in Loop: Header=BB222_10 Depth=1
	s_delay_alu instid0(VALU_DEP_2) | instskip(NEXT) | instid1(VALU_DEP_1)
	v_clz_i32_u32_e32 v1, v94
	v_min_u32_e32 v1, 32, v1
	s_delay_alu instid0(VALU_DEP_1) | instskip(NEXT) | instid1(VALU_DEP_1)
	v_subrev_nc_u32_e32 v2, 28, v1
	v_lshlrev_b64_e32 v[2:3], v2, v[94:95]
	s_delay_alu instid0(VALU_DEP_1)
	v_dual_sub_nc_u32 v1, 29, v1 :: v_dual_bitop2_b32 v94, 7, v2 bitop3:0x40
; %bb.119:                              ;   in Loop: Header=BB222_10 Depth=1
	s_or_b32 exec_lo, exec_lo, s16
	s_delay_alu instid0(VALU_DEP_1) | instskip(NEXT) | instid1(VALU_DEP_2)
	v_dual_lshlrev_b32 v2, 16, v0 :: v_dual_lshlrev_b32 v3, 20, v94
	v_lshl_add_u32 v1, v1, 23, 0x3c000000
	s_delay_alu instid0(VALU_DEP_2) | instskip(NEXT) | instid1(VALU_DEP_1)
	v_and_b32_e32 v2, 0x80000000, v2
	v_or3_b32 v3, v3, v2, v1
	v_mov_b32_e32 v2, v95
	scratch_store_b64 off, v[2:3], s32 offset:316 ; 8-byte Folded Spill
.LBB222_120:                            ;   in Loop: Header=BB222_10 Depth=1
	s_wait_xcnt 0x0
	s_or_b32 exec_lo, exec_lo, s11
.LBB222_121:                            ;   in Loop: Header=BB222_10 Depth=1
	s_delay_alu instid0(SALU_CYCLE_1)
	s_or_b32 exec_lo, exec_lo, s9
.LBB222_122:                            ;   in Loop: Header=BB222_10 Depth=1
	s_delay_alu instid0(SALU_CYCLE_1) | instskip(SKIP_3) | instid1(VALU_DEP_1)
	s_or_b32 exec_lo, exec_lo, s8
	v_mov_b64_e32 v[4:5], 0
	v_lshrrev_b32_e32 v1, 16, v0
	s_mov_b32 s8, exec_lo
	v_and_b32_e32 v2, 0xff, v1
	scratch_store_b64 off, v[4:5], s32 offset:300 ; 8-byte Folded Spill
	s_wait_xcnt 0x0
	v_mov_b64_e32 v[4:5], 0
	scratch_store_b64 off, v[4:5], s32 offset:308 ; 8-byte Folded Spill
	s_wait_xcnt 0x0
	v_cmpx_ne_u16_e32 0, v2
	s_cbranch_execz .LBB222_130
; %bb.123:                              ;   in Loop: Header=BB222_10 Depth=1
	v_cmp_ne_u16_e64 s1, 0x80, v2
	v_mov_b64_e32 v[2:3], 0x80000000
	scratch_store_b64 off, v[2:3], s32 offset:308 ; 8-byte Folded Spill
	s_wait_xcnt 0x0
	s_and_saveexec_b32 s9, s1
	s_cbranch_execz .LBB222_129
; %bb.124:                              ;   in Loop: Header=BB222_10 Depth=1
	v_mov_b64_e32 v[4:5], 0x7f800001
	v_bfe_u32 v3, v0, 16, 7
	s_mov_b32 s11, exec_lo
	scratch_store_b64 off, v[4:5], s32 offset:308 ; 8-byte Folded Spill
	s_wait_xcnt 0x0
	v_cmpx_ne_u32_e32 0x7f, v3
	s_cbranch_execz .LBB222_128
; %bb.125:                              ;   in Loop: Header=BB222_10 Depth=1
	v_dual_lshrrev_b32 v2, 3, v3 :: v_dual_bitop2_b32 v94, 7, v1 bitop3:0x40
	s_mov_b32 s16, exec_lo
	v_cmpx_gt_u32_e32 8, v3
; %bb.126:                              ;   in Loop: Header=BB222_10 Depth=1
	s_delay_alu instid0(VALU_DEP_2) | instskip(NEXT) | instid1(VALU_DEP_1)
	v_clz_i32_u32_e32 v2, v94
	v_min_u32_e32 v2, 32, v2
	s_delay_alu instid0(VALU_DEP_1) | instskip(NEXT) | instid1(VALU_DEP_1)
	v_subrev_nc_u32_e32 v3, 28, v2
	v_lshlrev_b64_e32 v[4:5], v3, v[94:95]
	s_delay_alu instid0(VALU_DEP_1)
	v_dual_sub_nc_u32 v2, 29, v2 :: v_dual_bitop2_b32 v94, 7, v4 bitop3:0x40
; %bb.127:                              ;   in Loop: Header=BB222_10 Depth=1
	s_or_b32 exec_lo, exec_lo, s16
	s_delay_alu instid0(VALU_DEP_1) | instskip(NEXT) | instid1(VALU_DEP_2)
	v_dual_lshlrev_b32 v1, 24, v1 :: v_dual_lshlrev_b32 v3, 20, v94
	v_lshl_add_u32 v2, v2, 23, 0x3c000000
	s_delay_alu instid0(VALU_DEP_2) | instskip(NEXT) | instid1(VALU_DEP_1)
	v_and_b32_e32 v1, 0x80000000, v1
	v_or3_b32 v94, v3, v1, v2
	scratch_store_b64 off, v[94:95], s32 offset:308 ; 8-byte Folded Spill
.LBB222_128:                            ;   in Loop: Header=BB222_10 Depth=1
	s_wait_xcnt 0x0
	s_or_b32 exec_lo, exec_lo, s11
.LBB222_129:                            ;   in Loop: Header=BB222_10 Depth=1
	s_delay_alu instid0(SALU_CYCLE_1)
	s_or_b32 exec_lo, exec_lo, s9
.LBB222_130:                            ;   in Loop: Header=BB222_10 Depth=1
	s_delay_alu instid0(SALU_CYCLE_1) | instskip(NEXT) | instid1(SALU_CYCLE_1)
	s_or_b32 exec_lo, exec_lo, s8
	s_mov_b32 s8, exec_lo
	v_cmpx_lt_u32_e32 0xffffff, v0
	s_cbranch_execz .LBB222_138
; %bb.131:                              ;   in Loop: Header=BB222_10 Depth=1
	v_mov_b64_e32 v[2:3], 0x8000000000000000
	v_lshrrev_b32_e32 v1, 24, v0
	s_mov_b32 s9, exec_lo
	scratch_store_b64 off, v[2:3], s32 offset:300 ; 8-byte Folded Spill
	s_wait_xcnt 0x0
	v_cmpx_ne_u32_e32 0x80, v1
	s_cbranch_execz .LBB222_137
; %bb.132:                              ;   in Loop: Header=BB222_10 Depth=1
	v_mov_b64_e32 v[4:5], 0x7f80000100000000
	v_bfe_u32 v2, v0, 24, 7
	s_mov_b32 s11, exec_lo
	scratch_store_b64 off, v[4:5], s32 offset:300 ; 8-byte Folded Spill
	s_wait_xcnt 0x0
	v_cmpx_ne_u32_e32 0x7f, v2
	s_cbranch_execz .LBB222_136
; %bb.133:                              ;   in Loop: Header=BB222_10 Depth=1
	v_dual_lshrrev_b32 v0, 3, v2 :: v_dual_bitop2_b32 v94, 7, v1 bitop3:0x40
	s_mov_b32 s16, exec_lo
	v_cmpx_gt_u32_e32 8, v2
; %bb.134:                              ;   in Loop: Header=BB222_10 Depth=1
	s_delay_alu instid0(VALU_DEP_2) | instskip(NEXT) | instid1(VALU_DEP_1)
	v_clz_i32_u32_e32 v0, v94
	v_min_u32_e32 v0, 32, v0
	s_delay_alu instid0(VALU_DEP_1) | instskip(NEXT) | instid1(VALU_DEP_1)
	v_subrev_nc_u32_e32 v2, 28, v0
	v_lshlrev_b64_e32 v[2:3], v2, v[94:95]
	s_delay_alu instid0(VALU_DEP_1)
	v_dual_sub_nc_u32 v0, 29, v0 :: v_dual_bitop2_b32 v94, 7, v2 bitop3:0x40
; %bb.135:                              ;   in Loop: Header=BB222_10 Depth=1
	s_or_b32 exec_lo, exec_lo, s16
	s_delay_alu instid0(VALU_DEP_1) | instskip(NEXT) | instid1(VALU_DEP_2)
	v_dual_lshlrev_b32 v1, 24, v1 :: v_dual_lshlrev_b32 v2, 20, v94
	v_lshl_add_u32 v0, v0, 23, 0x3c000000
	s_delay_alu instid0(VALU_DEP_2) | instskip(NEXT) | instid1(VALU_DEP_1)
	v_and_b32_e32 v1, 0x80000000, v1
	v_or3_b32 v1, v2, v1, v0
	v_mov_b32_e32 v0, v95
	scratch_store_b64 off, v[0:1], s32 offset:300 ; 8-byte Folded Spill
.LBB222_136:                            ;   in Loop: Header=BB222_10 Depth=1
	s_wait_xcnt 0x0
	s_or_b32 exec_lo, exec_lo, s11
.LBB222_137:                            ;   in Loop: Header=BB222_10 Depth=1
	s_delay_alu instid0(SALU_CYCLE_1)
	s_or_b32 exec_lo, exec_lo, s9
.LBB222_138:                            ;   in Loop: Header=BB222_10 Depth=1
	s_delay_alu instid0(SALU_CYCLE_1)
	s_or_b32 exec_lo, exec_lo, s8
	flat_load_b32 v0, v[106:107] offset:512
	v_mov_b64_e32 v[2:3], 0
	s_mov_b32 s8, exec_lo
	scratch_store_b64 off, v[2:3], s32 offset:348 ; 8-byte Folded Spill
	s_wait_xcnt 0x0
	v_mov_b64_e32 v[2:3], 0
	scratch_store_b64 off, v[2:3], s32 offset:356 ; 8-byte Folded Spill
	s_wait_loadcnt_dscnt 0x0
	v_and_b32_e32 v1, 0xff, v0
	s_wait_xcnt 0x0
	s_delay_alu instid0(VALU_DEP_1)
	v_cmpx_ne_u16_e32 0, v1
	s_cbranch_execz .LBB222_146
; %bb.139:                              ;   in Loop: Header=BB222_10 Depth=1
	v_mov_b64_e32 v[2:3], 0x80000000
	s_mov_b32 s9, exec_lo
	scratch_store_b64 off, v[2:3], s32 offset:356 ; 8-byte Folded Spill
	s_wait_xcnt 0x0
	v_cmpx_ne_u16_e32 0x80, v1
	s_cbranch_execz .LBB222_145
; %bb.140:                              ;   in Loop: Header=BB222_10 Depth=1
	v_mov_b64_e32 v[4:5], 0x7f800001
	v_and_b32_e32 v2, 0x7f, v0
	s_mov_b32 s11, exec_lo
	scratch_store_b64 off, v[4:5], s32 offset:356 ; 8-byte Folded Spill
	s_wait_xcnt 0x0
	v_cmpx_ne_u32_e32 0x7f, v2
	s_cbranch_execz .LBB222_144
; %bb.141:                              ;   in Loop: Header=BB222_10 Depth=1
	v_dual_lshrrev_b32 v1, 3, v2 :: v_dual_bitop2_b32 v94, 7, v0 bitop3:0x40
	s_mov_b32 s16, exec_lo
	v_cmpx_gt_u32_e32 8, v2
; %bb.142:                              ;   in Loop: Header=BB222_10 Depth=1
	s_delay_alu instid0(VALU_DEP_2) | instskip(NEXT) | instid1(VALU_DEP_1)
	v_clz_i32_u32_e32 v1, v94
	v_min_u32_e32 v1, 32, v1
	s_delay_alu instid0(VALU_DEP_1) | instskip(NEXT) | instid1(VALU_DEP_1)
	v_subrev_nc_u32_e32 v2, 28, v1
	v_lshlrev_b64_e32 v[2:3], v2, v[94:95]
	s_delay_alu instid0(VALU_DEP_1)
	v_dual_sub_nc_u32 v1, 29, v1 :: v_dual_bitop2_b32 v94, 7, v2 bitop3:0x40
; %bb.143:                              ;   in Loop: Header=BB222_10 Depth=1
	s_or_b32 exec_lo, exec_lo, s16
	s_delay_alu instid0(VALU_DEP_1) | instskip(NEXT) | instid1(VALU_DEP_2)
	v_dual_lshlrev_b32 v2, 24, v0 :: v_dual_lshlrev_b32 v3, 20, v94
	v_lshl_add_u32 v1, v1, 23, 0x3c000000
	s_delay_alu instid0(VALU_DEP_2) | instskip(NEXT) | instid1(VALU_DEP_1)
	v_and_b32_e32 v2, 0x80000000, v2
	v_or3_b32 v94, v3, v2, v1
	scratch_store_b64 off, v[94:95], s32 offset:356 ; 8-byte Folded Spill
.LBB222_144:                            ;   in Loop: Header=BB222_10 Depth=1
	s_wait_xcnt 0x0
	s_or_b32 exec_lo, exec_lo, s11
.LBB222_145:                            ;   in Loop: Header=BB222_10 Depth=1
	s_delay_alu instid0(SALU_CYCLE_1)
	s_or_b32 exec_lo, exec_lo, s9
.LBB222_146:                            ;   in Loop: Header=BB222_10 Depth=1
	s_delay_alu instid0(SALU_CYCLE_1) | instskip(SKIP_2) | instid1(VALU_DEP_1)
	s_or_b32 exec_lo, exec_lo, s8
	v_lshrrev_b16 v1, 8, v0
	s_mov_b32 s8, exec_lo
	v_cmpx_ne_u16_e32 0, v1
	s_cbranch_execz .LBB222_154
; %bb.147:                              ;   in Loop: Header=BB222_10 Depth=1
	v_mov_b64_e32 v[2:3], 0x8000000000000000
	s_mov_b32 s9, exec_lo
	scratch_store_b64 off, v[2:3], s32 offset:348 ; 8-byte Folded Spill
	s_wait_xcnt 0x0
	v_cmpx_ne_u16_e32 0x80, v1
	s_cbranch_execz .LBB222_153
; %bb.148:                              ;   in Loop: Header=BB222_10 Depth=1
	v_and_b32_e32 v1, 0xffff, v1
	v_mov_b64_e32 v[4:5], 0x7f80000100000000
	s_mov_b32 s11, exec_lo
	s_delay_alu instid0(VALU_DEP_2)
	v_and_b32_e32 v2, 0x7f, v1
	scratch_store_b64 off, v[4:5], s32 offset:348 ; 8-byte Folded Spill
	s_wait_xcnt 0x0
	v_cmpx_ne_u32_e32 0x7f, v2
	s_cbranch_execz .LBB222_152
; %bb.149:                              ;   in Loop: Header=BB222_10 Depth=1
	v_dual_lshrrev_b32 v1, 3, v2 :: v_dual_bitop2_b32 v94, 7, v1 bitop3:0x40
	s_mov_b32 s16, exec_lo
	v_cmpx_gt_u32_e32 8, v2
; %bb.150:                              ;   in Loop: Header=BB222_10 Depth=1
	s_delay_alu instid0(VALU_DEP_2) | instskip(NEXT) | instid1(VALU_DEP_1)
	v_clz_i32_u32_e32 v1, v94
	v_min_u32_e32 v1, 32, v1
	s_delay_alu instid0(VALU_DEP_1) | instskip(NEXT) | instid1(VALU_DEP_1)
	v_subrev_nc_u32_e32 v2, 28, v1
	v_lshlrev_b64_e32 v[2:3], v2, v[94:95]
	s_delay_alu instid0(VALU_DEP_1)
	v_dual_sub_nc_u32 v1, 29, v1 :: v_dual_bitop2_b32 v94, 7, v2 bitop3:0x40
; %bb.151:                              ;   in Loop: Header=BB222_10 Depth=1
	s_or_b32 exec_lo, exec_lo, s16
	s_delay_alu instid0(VALU_DEP_1) | instskip(NEXT) | instid1(VALU_DEP_2)
	v_dual_lshlrev_b32 v2, 16, v0 :: v_dual_lshlrev_b32 v3, 20, v94
	v_lshl_add_u32 v1, v1, 23, 0x3c000000
	s_delay_alu instid0(VALU_DEP_2) | instskip(NEXT) | instid1(VALU_DEP_1)
	v_and_b32_e32 v2, 0x80000000, v2
	v_or3_b32 v3, v3, v2, v1
	v_mov_b32_e32 v2, v95
	scratch_store_b64 off, v[2:3], s32 offset:348 ; 8-byte Folded Spill
.LBB222_152:                            ;   in Loop: Header=BB222_10 Depth=1
	s_wait_xcnt 0x0
	s_or_b32 exec_lo, exec_lo, s11
.LBB222_153:                            ;   in Loop: Header=BB222_10 Depth=1
	s_delay_alu instid0(SALU_CYCLE_1)
	s_or_b32 exec_lo, exec_lo, s9
.LBB222_154:                            ;   in Loop: Header=BB222_10 Depth=1
	s_delay_alu instid0(SALU_CYCLE_1) | instskip(SKIP_3) | instid1(VALU_DEP_1)
	s_or_b32 exec_lo, exec_lo, s8
	v_mov_b64_e32 v[4:5], 0
	v_lshrrev_b32_e32 v1, 16, v0
	s_mov_b32 s8, exec_lo
	v_and_b32_e32 v2, 0xff, v1
	scratch_store_b64 off, v[4:5], s32 offset:332 ; 8-byte Folded Spill
	s_wait_xcnt 0x0
	v_mov_b64_e32 v[4:5], 0
	scratch_store_b64 off, v[4:5], s32 offset:340 ; 8-byte Folded Spill
	s_wait_xcnt 0x0
	v_cmpx_ne_u16_e32 0, v2
	s_cbranch_execz .LBB222_162
; %bb.155:                              ;   in Loop: Header=BB222_10 Depth=1
	v_cmp_ne_u16_e64 s1, 0x80, v2
	v_mov_b64_e32 v[2:3], 0x80000000
	scratch_store_b64 off, v[2:3], s32 offset:340 ; 8-byte Folded Spill
	s_wait_xcnt 0x0
	s_and_saveexec_b32 s9, s1
	s_cbranch_execz .LBB222_161
; %bb.156:                              ;   in Loop: Header=BB222_10 Depth=1
	v_mov_b64_e32 v[4:5], 0x7f800001
	v_bfe_u32 v3, v0, 16, 7
	s_mov_b32 s11, exec_lo
	scratch_store_b64 off, v[4:5], s32 offset:340 ; 8-byte Folded Spill
	s_wait_xcnt 0x0
	v_cmpx_ne_u32_e32 0x7f, v3
	s_cbranch_execz .LBB222_160
; %bb.157:                              ;   in Loop: Header=BB222_10 Depth=1
	v_dual_lshrrev_b32 v2, 3, v3 :: v_dual_bitop2_b32 v94, 7, v1 bitop3:0x40
	s_mov_b32 s16, exec_lo
	v_cmpx_gt_u32_e32 8, v3
; %bb.158:                              ;   in Loop: Header=BB222_10 Depth=1
	s_delay_alu instid0(VALU_DEP_2) | instskip(NEXT) | instid1(VALU_DEP_1)
	v_clz_i32_u32_e32 v2, v94
	v_min_u32_e32 v2, 32, v2
	s_delay_alu instid0(VALU_DEP_1) | instskip(NEXT) | instid1(VALU_DEP_1)
	v_subrev_nc_u32_e32 v3, 28, v2
	v_lshlrev_b64_e32 v[4:5], v3, v[94:95]
	s_delay_alu instid0(VALU_DEP_1)
	v_dual_sub_nc_u32 v2, 29, v2 :: v_dual_bitop2_b32 v94, 7, v4 bitop3:0x40
; %bb.159:                              ;   in Loop: Header=BB222_10 Depth=1
	s_or_b32 exec_lo, exec_lo, s16
	s_delay_alu instid0(VALU_DEP_1) | instskip(NEXT) | instid1(VALU_DEP_2)
	v_dual_lshlrev_b32 v1, 24, v1 :: v_dual_lshlrev_b32 v3, 20, v94
	v_lshl_add_u32 v2, v2, 23, 0x3c000000
	s_delay_alu instid0(VALU_DEP_2) | instskip(NEXT) | instid1(VALU_DEP_1)
	v_and_b32_e32 v1, 0x80000000, v1
	v_or3_b32 v94, v3, v1, v2
	scratch_store_b64 off, v[94:95], s32 offset:340 ; 8-byte Folded Spill
.LBB222_160:                            ;   in Loop: Header=BB222_10 Depth=1
	s_wait_xcnt 0x0
	s_or_b32 exec_lo, exec_lo, s11
.LBB222_161:                            ;   in Loop: Header=BB222_10 Depth=1
	s_delay_alu instid0(SALU_CYCLE_1)
	s_or_b32 exec_lo, exec_lo, s9
.LBB222_162:                            ;   in Loop: Header=BB222_10 Depth=1
	s_delay_alu instid0(SALU_CYCLE_1) | instskip(NEXT) | instid1(SALU_CYCLE_1)
	s_or_b32 exec_lo, exec_lo, s8
	s_mov_b32 s8, exec_lo
	v_cmpx_lt_u32_e32 0xffffff, v0
	s_cbranch_execz .LBB222_170
; %bb.163:                              ;   in Loop: Header=BB222_10 Depth=1
	v_mov_b64_e32 v[2:3], 0x8000000000000000
	v_lshrrev_b32_e32 v1, 24, v0
	s_mov_b32 s9, exec_lo
	scratch_store_b64 off, v[2:3], s32 offset:332 ; 8-byte Folded Spill
	s_wait_xcnt 0x0
	v_cmpx_ne_u32_e32 0x80, v1
	s_cbranch_execz .LBB222_169
; %bb.164:                              ;   in Loop: Header=BB222_10 Depth=1
	v_mov_b64_e32 v[4:5], 0x7f80000100000000
	v_bfe_u32 v2, v0, 24, 7
	s_mov_b32 s11, exec_lo
	scratch_store_b64 off, v[4:5], s32 offset:332 ; 8-byte Folded Spill
	s_wait_xcnt 0x0
	v_cmpx_ne_u32_e32 0x7f, v2
	s_cbranch_execz .LBB222_168
; %bb.165:                              ;   in Loop: Header=BB222_10 Depth=1
	v_dual_lshrrev_b32 v0, 3, v2 :: v_dual_bitop2_b32 v94, 7, v1 bitop3:0x40
	s_mov_b32 s16, exec_lo
	v_cmpx_gt_u32_e32 8, v2
; %bb.166:                              ;   in Loop: Header=BB222_10 Depth=1
	s_delay_alu instid0(VALU_DEP_2) | instskip(NEXT) | instid1(VALU_DEP_1)
	v_clz_i32_u32_e32 v0, v94
	v_min_u32_e32 v0, 32, v0
	s_delay_alu instid0(VALU_DEP_1) | instskip(NEXT) | instid1(VALU_DEP_1)
	v_subrev_nc_u32_e32 v2, 28, v0
	v_lshlrev_b64_e32 v[2:3], v2, v[94:95]
	s_delay_alu instid0(VALU_DEP_1)
	v_dual_sub_nc_u32 v0, 29, v0 :: v_dual_bitop2_b32 v94, 7, v2 bitop3:0x40
; %bb.167:                              ;   in Loop: Header=BB222_10 Depth=1
	s_or_b32 exec_lo, exec_lo, s16
	s_delay_alu instid0(VALU_DEP_1) | instskip(NEXT) | instid1(VALU_DEP_2)
	v_dual_lshlrev_b32 v1, 24, v1 :: v_dual_lshlrev_b32 v2, 20, v94
	v_lshl_add_u32 v0, v0, 23, 0x3c000000
	s_delay_alu instid0(VALU_DEP_2) | instskip(NEXT) | instid1(VALU_DEP_1)
	v_and_b32_e32 v1, 0x80000000, v1
	v_or3_b32 v1, v2, v1, v0
	v_mov_b32_e32 v0, v95
	scratch_store_b64 off, v[0:1], s32 offset:332 ; 8-byte Folded Spill
.LBB222_168:                            ;   in Loop: Header=BB222_10 Depth=1
	s_wait_xcnt 0x0
	s_or_b32 exec_lo, exec_lo, s11
.LBB222_169:                            ;   in Loop: Header=BB222_10 Depth=1
	s_delay_alu instid0(SALU_CYCLE_1)
	s_or_b32 exec_lo, exec_lo, s9
.LBB222_170:                            ;   in Loop: Header=BB222_10 Depth=1
	s_delay_alu instid0(SALU_CYCLE_1)
	s_or_b32 exec_lo, exec_lo, s8
	flat_load_b32 v0, v[106:107] offset:516
	v_mov_b64_e32 v[2:3], 0
	s_mov_b32 s8, exec_lo
	scratch_store_b64 off, v[2:3], s32 offset:380 ; 8-byte Folded Spill
	s_wait_xcnt 0x0
	v_mov_b64_e32 v[2:3], 0
	scratch_store_b64 off, v[2:3], s32 offset:388 ; 8-byte Folded Spill
	s_wait_loadcnt_dscnt 0x0
	v_and_b32_e32 v1, 0xff, v0
	s_wait_xcnt 0x0
	s_delay_alu instid0(VALU_DEP_1)
	v_cmpx_ne_u16_e32 0, v1
	s_cbranch_execz .LBB222_178
; %bb.171:                              ;   in Loop: Header=BB222_10 Depth=1
	v_mov_b64_e32 v[2:3], 0x80000000
	s_mov_b32 s9, exec_lo
	scratch_store_b64 off, v[2:3], s32 offset:388 ; 8-byte Folded Spill
	s_wait_xcnt 0x0
	v_cmpx_ne_u16_e32 0x80, v1
	s_cbranch_execz .LBB222_177
; %bb.172:                              ;   in Loop: Header=BB222_10 Depth=1
	v_mov_b64_e32 v[4:5], 0x7f800001
	v_and_b32_e32 v2, 0x7f, v0
	s_mov_b32 s11, exec_lo
	scratch_store_b64 off, v[4:5], s32 offset:388 ; 8-byte Folded Spill
	s_wait_xcnt 0x0
	v_cmpx_ne_u32_e32 0x7f, v2
	s_cbranch_execz .LBB222_176
; %bb.173:                              ;   in Loop: Header=BB222_10 Depth=1
	v_dual_lshrrev_b32 v1, 3, v2 :: v_dual_bitop2_b32 v94, 7, v0 bitop3:0x40
	s_mov_b32 s16, exec_lo
	v_cmpx_gt_u32_e32 8, v2
; %bb.174:                              ;   in Loop: Header=BB222_10 Depth=1
	s_delay_alu instid0(VALU_DEP_2) | instskip(NEXT) | instid1(VALU_DEP_1)
	v_clz_i32_u32_e32 v1, v94
	v_min_u32_e32 v1, 32, v1
	s_delay_alu instid0(VALU_DEP_1) | instskip(NEXT) | instid1(VALU_DEP_1)
	v_subrev_nc_u32_e32 v2, 28, v1
	v_lshlrev_b64_e32 v[2:3], v2, v[94:95]
	s_delay_alu instid0(VALU_DEP_1)
	v_dual_sub_nc_u32 v1, 29, v1 :: v_dual_bitop2_b32 v94, 7, v2 bitop3:0x40
; %bb.175:                              ;   in Loop: Header=BB222_10 Depth=1
	s_or_b32 exec_lo, exec_lo, s16
	s_delay_alu instid0(VALU_DEP_1) | instskip(NEXT) | instid1(VALU_DEP_2)
	v_dual_lshlrev_b32 v2, 24, v0 :: v_dual_lshlrev_b32 v3, 20, v94
	v_lshl_add_u32 v1, v1, 23, 0x3c000000
	s_delay_alu instid0(VALU_DEP_2) | instskip(NEXT) | instid1(VALU_DEP_1)
	v_and_b32_e32 v2, 0x80000000, v2
	v_or3_b32 v94, v3, v2, v1
	scratch_store_b64 off, v[94:95], s32 offset:388 ; 8-byte Folded Spill
.LBB222_176:                            ;   in Loop: Header=BB222_10 Depth=1
	s_wait_xcnt 0x0
	s_or_b32 exec_lo, exec_lo, s11
.LBB222_177:                            ;   in Loop: Header=BB222_10 Depth=1
	s_delay_alu instid0(SALU_CYCLE_1)
	s_or_b32 exec_lo, exec_lo, s9
.LBB222_178:                            ;   in Loop: Header=BB222_10 Depth=1
	s_delay_alu instid0(SALU_CYCLE_1) | instskip(SKIP_2) | instid1(VALU_DEP_1)
	s_or_b32 exec_lo, exec_lo, s8
	v_lshrrev_b16 v1, 8, v0
	s_mov_b32 s8, exec_lo
	v_cmpx_ne_u16_e32 0, v1
	s_cbranch_execz .LBB222_186
; %bb.179:                              ;   in Loop: Header=BB222_10 Depth=1
	v_mov_b64_e32 v[2:3], 0x8000000000000000
	s_mov_b32 s9, exec_lo
	scratch_store_b64 off, v[2:3], s32 offset:380 ; 8-byte Folded Spill
	s_wait_xcnt 0x0
	v_cmpx_ne_u16_e32 0x80, v1
	s_cbranch_execz .LBB222_185
; %bb.180:                              ;   in Loop: Header=BB222_10 Depth=1
	v_and_b32_e32 v1, 0xffff, v1
	v_mov_b64_e32 v[4:5], 0x7f80000100000000
	s_mov_b32 s11, exec_lo
	s_delay_alu instid0(VALU_DEP_2)
	v_and_b32_e32 v2, 0x7f, v1
	scratch_store_b64 off, v[4:5], s32 offset:380 ; 8-byte Folded Spill
	s_wait_xcnt 0x0
	v_cmpx_ne_u32_e32 0x7f, v2
	s_cbranch_execz .LBB222_184
; %bb.181:                              ;   in Loop: Header=BB222_10 Depth=1
	v_dual_lshrrev_b32 v1, 3, v2 :: v_dual_bitop2_b32 v94, 7, v1 bitop3:0x40
	s_mov_b32 s16, exec_lo
	v_cmpx_gt_u32_e32 8, v2
; %bb.182:                              ;   in Loop: Header=BB222_10 Depth=1
	s_delay_alu instid0(VALU_DEP_2) | instskip(NEXT) | instid1(VALU_DEP_1)
	v_clz_i32_u32_e32 v1, v94
	v_min_u32_e32 v1, 32, v1
	s_delay_alu instid0(VALU_DEP_1) | instskip(NEXT) | instid1(VALU_DEP_1)
	v_subrev_nc_u32_e32 v2, 28, v1
	v_lshlrev_b64_e32 v[2:3], v2, v[94:95]
	s_delay_alu instid0(VALU_DEP_1)
	v_dual_sub_nc_u32 v1, 29, v1 :: v_dual_bitop2_b32 v94, 7, v2 bitop3:0x40
; %bb.183:                              ;   in Loop: Header=BB222_10 Depth=1
	s_or_b32 exec_lo, exec_lo, s16
	s_delay_alu instid0(VALU_DEP_1) | instskip(NEXT) | instid1(VALU_DEP_2)
	v_dual_lshlrev_b32 v2, 16, v0 :: v_dual_lshlrev_b32 v3, 20, v94
	v_lshl_add_u32 v1, v1, 23, 0x3c000000
	s_delay_alu instid0(VALU_DEP_2) | instskip(NEXT) | instid1(VALU_DEP_1)
	v_and_b32_e32 v2, 0x80000000, v2
	v_or3_b32 v3, v3, v2, v1
	v_mov_b32_e32 v2, v95
	scratch_store_b64 off, v[2:3], s32 offset:380 ; 8-byte Folded Spill
.LBB222_184:                            ;   in Loop: Header=BB222_10 Depth=1
	s_wait_xcnt 0x0
	s_or_b32 exec_lo, exec_lo, s11
.LBB222_185:                            ;   in Loop: Header=BB222_10 Depth=1
	s_delay_alu instid0(SALU_CYCLE_1)
	s_or_b32 exec_lo, exec_lo, s9
.LBB222_186:                            ;   in Loop: Header=BB222_10 Depth=1
	s_delay_alu instid0(SALU_CYCLE_1) | instskip(SKIP_3) | instid1(VALU_DEP_1)
	s_or_b32 exec_lo, exec_lo, s8
	v_mov_b64_e32 v[4:5], 0
	v_lshrrev_b32_e32 v1, 16, v0
	s_mov_b32 s8, exec_lo
	v_and_b32_e32 v2, 0xff, v1
	scratch_store_b64 off, v[4:5], s32 offset:364 ; 8-byte Folded Spill
	s_wait_xcnt 0x0
	v_mov_b64_e32 v[4:5], 0
	scratch_store_b64 off, v[4:5], s32 offset:372 ; 8-byte Folded Spill
	s_wait_xcnt 0x0
	v_cmpx_ne_u16_e32 0, v2
	s_cbranch_execz .LBB222_194
; %bb.187:                              ;   in Loop: Header=BB222_10 Depth=1
	v_cmp_ne_u16_e64 s1, 0x80, v2
	v_mov_b64_e32 v[2:3], 0x80000000
	scratch_store_b64 off, v[2:3], s32 offset:372 ; 8-byte Folded Spill
	s_wait_xcnt 0x0
	s_and_saveexec_b32 s9, s1
	s_cbranch_execz .LBB222_193
; %bb.188:                              ;   in Loop: Header=BB222_10 Depth=1
	v_mov_b64_e32 v[4:5], 0x7f800001
	v_bfe_u32 v3, v0, 16, 7
	s_mov_b32 s11, exec_lo
	scratch_store_b64 off, v[4:5], s32 offset:372 ; 8-byte Folded Spill
	s_wait_xcnt 0x0
	v_cmpx_ne_u32_e32 0x7f, v3
	s_cbranch_execz .LBB222_192
; %bb.189:                              ;   in Loop: Header=BB222_10 Depth=1
	v_dual_lshrrev_b32 v2, 3, v3 :: v_dual_bitop2_b32 v94, 7, v1 bitop3:0x40
	s_mov_b32 s16, exec_lo
	v_cmpx_gt_u32_e32 8, v3
; %bb.190:                              ;   in Loop: Header=BB222_10 Depth=1
	s_delay_alu instid0(VALU_DEP_2) | instskip(NEXT) | instid1(VALU_DEP_1)
	v_clz_i32_u32_e32 v2, v94
	v_min_u32_e32 v2, 32, v2
	s_delay_alu instid0(VALU_DEP_1) | instskip(NEXT) | instid1(VALU_DEP_1)
	v_subrev_nc_u32_e32 v3, 28, v2
	v_lshlrev_b64_e32 v[4:5], v3, v[94:95]
	s_delay_alu instid0(VALU_DEP_1)
	v_dual_sub_nc_u32 v2, 29, v2 :: v_dual_bitop2_b32 v94, 7, v4 bitop3:0x40
; %bb.191:                              ;   in Loop: Header=BB222_10 Depth=1
	s_or_b32 exec_lo, exec_lo, s16
	s_delay_alu instid0(VALU_DEP_1) | instskip(NEXT) | instid1(VALU_DEP_2)
	v_dual_lshlrev_b32 v1, 24, v1 :: v_dual_lshlrev_b32 v3, 20, v94
	v_lshl_add_u32 v2, v2, 23, 0x3c000000
	s_delay_alu instid0(VALU_DEP_2) | instskip(NEXT) | instid1(VALU_DEP_1)
	v_and_b32_e32 v1, 0x80000000, v1
	v_or3_b32 v94, v3, v1, v2
	scratch_store_b64 off, v[94:95], s32 offset:372 ; 8-byte Folded Spill
.LBB222_192:                            ;   in Loop: Header=BB222_10 Depth=1
	s_wait_xcnt 0x0
	s_or_b32 exec_lo, exec_lo, s11
.LBB222_193:                            ;   in Loop: Header=BB222_10 Depth=1
	s_delay_alu instid0(SALU_CYCLE_1)
	s_or_b32 exec_lo, exec_lo, s9
.LBB222_194:                            ;   in Loop: Header=BB222_10 Depth=1
	s_delay_alu instid0(SALU_CYCLE_1) | instskip(NEXT) | instid1(SALU_CYCLE_1)
	s_or_b32 exec_lo, exec_lo, s8
	s_mov_b32 s8, exec_lo
	v_cmpx_lt_u32_e32 0xffffff, v0
	s_cbranch_execz .LBB222_202
; %bb.195:                              ;   in Loop: Header=BB222_10 Depth=1
	v_mov_b64_e32 v[2:3], 0x8000000000000000
	v_lshrrev_b32_e32 v1, 24, v0
	s_mov_b32 s9, exec_lo
	scratch_store_b64 off, v[2:3], s32 offset:364 ; 8-byte Folded Spill
	s_wait_xcnt 0x0
	v_cmpx_ne_u32_e32 0x80, v1
	s_cbranch_execz .LBB222_201
; %bb.196:                              ;   in Loop: Header=BB222_10 Depth=1
	v_mov_b64_e32 v[4:5], 0x7f80000100000000
	v_bfe_u32 v2, v0, 24, 7
	s_mov_b32 s11, exec_lo
	scratch_store_b64 off, v[4:5], s32 offset:364 ; 8-byte Folded Spill
	s_wait_xcnt 0x0
	v_cmpx_ne_u32_e32 0x7f, v2
	s_cbranch_execz .LBB222_200
; %bb.197:                              ;   in Loop: Header=BB222_10 Depth=1
	v_dual_lshrrev_b32 v0, 3, v2 :: v_dual_bitop2_b32 v94, 7, v1 bitop3:0x40
	s_mov_b32 s16, exec_lo
	v_cmpx_gt_u32_e32 8, v2
; %bb.198:                              ;   in Loop: Header=BB222_10 Depth=1
	s_delay_alu instid0(VALU_DEP_2) | instskip(NEXT) | instid1(VALU_DEP_1)
	v_clz_i32_u32_e32 v0, v94
	v_min_u32_e32 v0, 32, v0
	s_delay_alu instid0(VALU_DEP_1) | instskip(NEXT) | instid1(VALU_DEP_1)
	v_subrev_nc_u32_e32 v2, 28, v0
	v_lshlrev_b64_e32 v[2:3], v2, v[94:95]
	s_delay_alu instid0(VALU_DEP_1)
	v_dual_sub_nc_u32 v0, 29, v0 :: v_dual_bitop2_b32 v94, 7, v2 bitop3:0x40
; %bb.199:                              ;   in Loop: Header=BB222_10 Depth=1
	s_or_b32 exec_lo, exec_lo, s16
	s_delay_alu instid0(VALU_DEP_1) | instskip(NEXT) | instid1(VALU_DEP_2)
	v_dual_lshlrev_b32 v1, 24, v1 :: v_dual_lshlrev_b32 v2, 20, v94
	v_lshl_add_u32 v0, v0, 23, 0x3c000000
	s_delay_alu instid0(VALU_DEP_2) | instskip(NEXT) | instid1(VALU_DEP_1)
	v_and_b32_e32 v1, 0x80000000, v1
	v_or3_b32 v1, v2, v1, v0
	v_mov_b32_e32 v0, v95
	scratch_store_b64 off, v[0:1], s32 offset:364 ; 8-byte Folded Spill
.LBB222_200:                            ;   in Loop: Header=BB222_10 Depth=1
	s_wait_xcnt 0x0
	s_or_b32 exec_lo, exec_lo, s11
.LBB222_201:                            ;   in Loop: Header=BB222_10 Depth=1
	s_delay_alu instid0(SALU_CYCLE_1)
	s_or_b32 exec_lo, exec_lo, s9
.LBB222_202:                            ;   in Loop: Header=BB222_10 Depth=1
	s_delay_alu instid0(SALU_CYCLE_1)
	s_or_b32 exec_lo, exec_lo, s8
	flat_load_b32 v0, v[106:107] offset:520
	v_mov_b64_e32 v[2:3], 0
	s_mov_b32 s8, exec_lo
	scratch_store_b64 off, v[2:3], s32 offset:412 ; 8-byte Folded Spill
	s_wait_xcnt 0x0
	v_mov_b64_e32 v[2:3], 0
	scratch_store_b64 off, v[2:3], s32 offset:420 ; 8-byte Folded Spill
	s_wait_loadcnt_dscnt 0x0
	v_and_b32_e32 v1, 0xff, v0
	s_wait_xcnt 0x0
	s_delay_alu instid0(VALU_DEP_1)
	v_cmpx_ne_u16_e32 0, v1
	s_cbranch_execz .LBB222_210
; %bb.203:                              ;   in Loop: Header=BB222_10 Depth=1
	v_mov_b64_e32 v[2:3], 0x80000000
	s_mov_b32 s9, exec_lo
	scratch_store_b64 off, v[2:3], s32 offset:420 ; 8-byte Folded Spill
	s_wait_xcnt 0x0
	v_cmpx_ne_u16_e32 0x80, v1
	s_cbranch_execz .LBB222_209
; %bb.204:                              ;   in Loop: Header=BB222_10 Depth=1
	v_mov_b64_e32 v[4:5], 0x7f800001
	v_and_b32_e32 v2, 0x7f, v0
	s_mov_b32 s11, exec_lo
	scratch_store_b64 off, v[4:5], s32 offset:420 ; 8-byte Folded Spill
	s_wait_xcnt 0x0
	v_cmpx_ne_u32_e32 0x7f, v2
	s_cbranch_execz .LBB222_208
; %bb.205:                              ;   in Loop: Header=BB222_10 Depth=1
	v_dual_lshrrev_b32 v1, 3, v2 :: v_dual_bitop2_b32 v94, 7, v0 bitop3:0x40
	s_mov_b32 s16, exec_lo
	v_cmpx_gt_u32_e32 8, v2
; %bb.206:                              ;   in Loop: Header=BB222_10 Depth=1
	s_delay_alu instid0(VALU_DEP_2) | instskip(NEXT) | instid1(VALU_DEP_1)
	v_clz_i32_u32_e32 v1, v94
	v_min_u32_e32 v1, 32, v1
	s_delay_alu instid0(VALU_DEP_1) | instskip(NEXT) | instid1(VALU_DEP_1)
	v_subrev_nc_u32_e32 v2, 28, v1
	v_lshlrev_b64_e32 v[2:3], v2, v[94:95]
	s_delay_alu instid0(VALU_DEP_1)
	v_dual_sub_nc_u32 v1, 29, v1 :: v_dual_bitop2_b32 v94, 7, v2 bitop3:0x40
; %bb.207:                              ;   in Loop: Header=BB222_10 Depth=1
	s_or_b32 exec_lo, exec_lo, s16
	s_delay_alu instid0(VALU_DEP_1) | instskip(NEXT) | instid1(VALU_DEP_2)
	v_dual_lshlrev_b32 v2, 24, v0 :: v_dual_lshlrev_b32 v3, 20, v94
	v_lshl_add_u32 v1, v1, 23, 0x3c000000
	s_delay_alu instid0(VALU_DEP_2) | instskip(NEXT) | instid1(VALU_DEP_1)
	v_and_b32_e32 v2, 0x80000000, v2
	v_or3_b32 v94, v3, v2, v1
	scratch_store_b64 off, v[94:95], s32 offset:420 ; 8-byte Folded Spill
.LBB222_208:                            ;   in Loop: Header=BB222_10 Depth=1
	s_wait_xcnt 0x0
	s_or_b32 exec_lo, exec_lo, s11
.LBB222_209:                            ;   in Loop: Header=BB222_10 Depth=1
	s_delay_alu instid0(SALU_CYCLE_1)
	s_or_b32 exec_lo, exec_lo, s9
.LBB222_210:                            ;   in Loop: Header=BB222_10 Depth=1
	s_delay_alu instid0(SALU_CYCLE_1) | instskip(SKIP_2) | instid1(VALU_DEP_1)
	s_or_b32 exec_lo, exec_lo, s8
	v_lshrrev_b16 v1, 8, v0
	s_mov_b32 s8, exec_lo
	v_cmpx_ne_u16_e32 0, v1
	s_cbranch_execz .LBB222_218
; %bb.211:                              ;   in Loop: Header=BB222_10 Depth=1
	v_mov_b64_e32 v[2:3], 0x8000000000000000
	s_mov_b32 s9, exec_lo
	scratch_store_b64 off, v[2:3], s32 offset:412 ; 8-byte Folded Spill
	s_wait_xcnt 0x0
	v_cmpx_ne_u16_e32 0x80, v1
	s_cbranch_execz .LBB222_217
; %bb.212:                              ;   in Loop: Header=BB222_10 Depth=1
	v_and_b32_e32 v1, 0xffff, v1
	v_mov_b64_e32 v[4:5], 0x7f80000100000000
	s_mov_b32 s11, exec_lo
	s_delay_alu instid0(VALU_DEP_2)
	v_and_b32_e32 v2, 0x7f, v1
	scratch_store_b64 off, v[4:5], s32 offset:412 ; 8-byte Folded Spill
	s_wait_xcnt 0x0
	v_cmpx_ne_u32_e32 0x7f, v2
	s_cbranch_execz .LBB222_216
; %bb.213:                              ;   in Loop: Header=BB222_10 Depth=1
	v_dual_lshrrev_b32 v1, 3, v2 :: v_dual_bitop2_b32 v94, 7, v1 bitop3:0x40
	s_mov_b32 s16, exec_lo
	v_cmpx_gt_u32_e32 8, v2
; %bb.214:                              ;   in Loop: Header=BB222_10 Depth=1
	s_delay_alu instid0(VALU_DEP_2) | instskip(NEXT) | instid1(VALU_DEP_1)
	v_clz_i32_u32_e32 v1, v94
	v_min_u32_e32 v1, 32, v1
	s_delay_alu instid0(VALU_DEP_1) | instskip(NEXT) | instid1(VALU_DEP_1)
	v_subrev_nc_u32_e32 v2, 28, v1
	v_lshlrev_b64_e32 v[2:3], v2, v[94:95]
	s_delay_alu instid0(VALU_DEP_1)
	v_dual_sub_nc_u32 v1, 29, v1 :: v_dual_bitop2_b32 v94, 7, v2 bitop3:0x40
; %bb.215:                              ;   in Loop: Header=BB222_10 Depth=1
	s_or_b32 exec_lo, exec_lo, s16
	s_delay_alu instid0(VALU_DEP_1) | instskip(NEXT) | instid1(VALU_DEP_2)
	v_dual_lshlrev_b32 v2, 16, v0 :: v_dual_lshlrev_b32 v3, 20, v94
	v_lshl_add_u32 v1, v1, 23, 0x3c000000
	s_delay_alu instid0(VALU_DEP_2) | instskip(NEXT) | instid1(VALU_DEP_1)
	v_and_b32_e32 v2, 0x80000000, v2
	v_or3_b32 v3, v3, v2, v1
	v_mov_b32_e32 v2, v95
	scratch_store_b64 off, v[2:3], s32 offset:412 ; 8-byte Folded Spill
.LBB222_216:                            ;   in Loop: Header=BB222_10 Depth=1
	s_wait_xcnt 0x0
	s_or_b32 exec_lo, exec_lo, s11
.LBB222_217:                            ;   in Loop: Header=BB222_10 Depth=1
	s_delay_alu instid0(SALU_CYCLE_1)
	s_or_b32 exec_lo, exec_lo, s9
.LBB222_218:                            ;   in Loop: Header=BB222_10 Depth=1
	s_delay_alu instid0(SALU_CYCLE_1) | instskip(SKIP_3) | instid1(VALU_DEP_1)
	s_or_b32 exec_lo, exec_lo, s8
	v_mov_b64_e32 v[4:5], 0
	v_lshrrev_b32_e32 v1, 16, v0
	s_mov_b32 s8, exec_lo
	v_and_b32_e32 v2, 0xff, v1
	scratch_store_b64 off, v[4:5], s32 offset:396 ; 8-byte Folded Spill
	s_wait_xcnt 0x0
	v_mov_b64_e32 v[4:5], 0
	scratch_store_b64 off, v[4:5], s32 offset:404 ; 8-byte Folded Spill
	s_wait_xcnt 0x0
	v_cmpx_ne_u16_e32 0, v2
	s_cbranch_execz .LBB222_226
; %bb.219:                              ;   in Loop: Header=BB222_10 Depth=1
	v_cmp_ne_u16_e64 s1, 0x80, v2
	v_mov_b64_e32 v[2:3], 0x80000000
	scratch_store_b64 off, v[2:3], s32 offset:404 ; 8-byte Folded Spill
	s_wait_xcnt 0x0
	s_and_saveexec_b32 s9, s1
	s_cbranch_execz .LBB222_225
; %bb.220:                              ;   in Loop: Header=BB222_10 Depth=1
	v_mov_b64_e32 v[4:5], 0x7f800001
	v_bfe_u32 v3, v0, 16, 7
	s_mov_b32 s11, exec_lo
	scratch_store_b64 off, v[4:5], s32 offset:404 ; 8-byte Folded Spill
	s_wait_xcnt 0x0
	v_cmpx_ne_u32_e32 0x7f, v3
	s_cbranch_execz .LBB222_224
; %bb.221:                              ;   in Loop: Header=BB222_10 Depth=1
	v_dual_lshrrev_b32 v2, 3, v3 :: v_dual_bitop2_b32 v94, 7, v1 bitop3:0x40
	s_mov_b32 s16, exec_lo
	v_cmpx_gt_u32_e32 8, v3
; %bb.222:                              ;   in Loop: Header=BB222_10 Depth=1
	s_delay_alu instid0(VALU_DEP_2) | instskip(NEXT) | instid1(VALU_DEP_1)
	v_clz_i32_u32_e32 v2, v94
	v_min_u32_e32 v2, 32, v2
	s_delay_alu instid0(VALU_DEP_1) | instskip(NEXT) | instid1(VALU_DEP_1)
	v_subrev_nc_u32_e32 v3, 28, v2
	v_lshlrev_b64_e32 v[4:5], v3, v[94:95]
	s_delay_alu instid0(VALU_DEP_1)
	v_dual_sub_nc_u32 v2, 29, v2 :: v_dual_bitop2_b32 v94, 7, v4 bitop3:0x40
; %bb.223:                              ;   in Loop: Header=BB222_10 Depth=1
	s_or_b32 exec_lo, exec_lo, s16
	s_delay_alu instid0(VALU_DEP_1) | instskip(NEXT) | instid1(VALU_DEP_2)
	v_dual_lshlrev_b32 v1, 24, v1 :: v_dual_lshlrev_b32 v3, 20, v94
	v_lshl_add_u32 v2, v2, 23, 0x3c000000
	s_delay_alu instid0(VALU_DEP_2) | instskip(NEXT) | instid1(VALU_DEP_1)
	v_and_b32_e32 v1, 0x80000000, v1
	v_or3_b32 v94, v3, v1, v2
	scratch_store_b64 off, v[94:95], s32 offset:404 ; 8-byte Folded Spill
.LBB222_224:                            ;   in Loop: Header=BB222_10 Depth=1
	s_wait_xcnt 0x0
	s_or_b32 exec_lo, exec_lo, s11
.LBB222_225:                            ;   in Loop: Header=BB222_10 Depth=1
	s_delay_alu instid0(SALU_CYCLE_1)
	s_or_b32 exec_lo, exec_lo, s9
.LBB222_226:                            ;   in Loop: Header=BB222_10 Depth=1
	s_delay_alu instid0(SALU_CYCLE_1) | instskip(NEXT) | instid1(SALU_CYCLE_1)
	s_or_b32 exec_lo, exec_lo, s8
	s_mov_b32 s8, exec_lo
	v_cmpx_lt_u32_e32 0xffffff, v0
	s_cbranch_execz .LBB222_234
; %bb.227:                              ;   in Loop: Header=BB222_10 Depth=1
	v_mov_b64_e32 v[2:3], 0x8000000000000000
	v_lshrrev_b32_e32 v1, 24, v0
	s_mov_b32 s9, exec_lo
	scratch_store_b64 off, v[2:3], s32 offset:396 ; 8-byte Folded Spill
	s_wait_xcnt 0x0
	v_cmpx_ne_u32_e32 0x80, v1
	s_cbranch_execz .LBB222_233
; %bb.228:                              ;   in Loop: Header=BB222_10 Depth=1
	v_mov_b64_e32 v[4:5], 0x7f80000100000000
	v_bfe_u32 v2, v0, 24, 7
	s_mov_b32 s11, exec_lo
	scratch_store_b64 off, v[4:5], s32 offset:396 ; 8-byte Folded Spill
	s_wait_xcnt 0x0
	v_cmpx_ne_u32_e32 0x7f, v2
	s_cbranch_execz .LBB222_232
; %bb.229:                              ;   in Loop: Header=BB222_10 Depth=1
	v_dual_lshrrev_b32 v0, 3, v2 :: v_dual_bitop2_b32 v94, 7, v1 bitop3:0x40
	s_mov_b32 s16, exec_lo
	v_cmpx_gt_u32_e32 8, v2
; %bb.230:                              ;   in Loop: Header=BB222_10 Depth=1
	s_delay_alu instid0(VALU_DEP_2) | instskip(NEXT) | instid1(VALU_DEP_1)
	v_clz_i32_u32_e32 v0, v94
	v_min_u32_e32 v0, 32, v0
	s_delay_alu instid0(VALU_DEP_1) | instskip(NEXT) | instid1(VALU_DEP_1)
	v_subrev_nc_u32_e32 v2, 28, v0
	v_lshlrev_b64_e32 v[2:3], v2, v[94:95]
	s_delay_alu instid0(VALU_DEP_1)
	v_dual_sub_nc_u32 v0, 29, v0 :: v_dual_bitop2_b32 v94, 7, v2 bitop3:0x40
; %bb.231:                              ;   in Loop: Header=BB222_10 Depth=1
	s_or_b32 exec_lo, exec_lo, s16
	s_delay_alu instid0(VALU_DEP_1) | instskip(NEXT) | instid1(VALU_DEP_2)
	v_dual_lshlrev_b32 v1, 24, v1 :: v_dual_lshlrev_b32 v2, 20, v94
	v_lshl_add_u32 v0, v0, 23, 0x3c000000
	s_delay_alu instid0(VALU_DEP_2) | instskip(NEXT) | instid1(VALU_DEP_1)
	v_and_b32_e32 v1, 0x80000000, v1
	v_or3_b32 v1, v2, v1, v0
	v_mov_b32_e32 v0, v95
	scratch_store_b64 off, v[0:1], s32 offset:396 ; 8-byte Folded Spill
.LBB222_232:                            ;   in Loop: Header=BB222_10 Depth=1
	s_wait_xcnt 0x0
	s_or_b32 exec_lo, exec_lo, s11
.LBB222_233:                            ;   in Loop: Header=BB222_10 Depth=1
	s_delay_alu instid0(SALU_CYCLE_1)
	s_or_b32 exec_lo, exec_lo, s9
.LBB222_234:                            ;   in Loop: Header=BB222_10 Depth=1
	s_delay_alu instid0(SALU_CYCLE_1)
	s_or_b32 exec_lo, exec_lo, s8
	flat_load_b32 v0, v[106:107] offset:524
	v_mov_b64_e32 v[2:3], 0
	s_mov_b32 s8, exec_lo
	scratch_store_b64 off, v[2:3], s32 offset:444 ; 8-byte Folded Spill
	s_wait_xcnt 0x0
	v_mov_b64_e32 v[2:3], 0
	scratch_store_b64 off, v[2:3], s32 offset:452 ; 8-byte Folded Spill
	s_wait_loadcnt_dscnt 0x0
	v_and_b32_e32 v1, 0xff, v0
	s_wait_xcnt 0x0
	s_delay_alu instid0(VALU_DEP_1)
	v_cmpx_ne_u16_e32 0, v1
	s_cbranch_execz .LBB222_242
; %bb.235:                              ;   in Loop: Header=BB222_10 Depth=1
	v_mov_b64_e32 v[2:3], 0x80000000
	s_mov_b32 s9, exec_lo
	scratch_store_b64 off, v[2:3], s32 offset:452 ; 8-byte Folded Spill
	s_wait_xcnt 0x0
	v_cmpx_ne_u16_e32 0x80, v1
	s_cbranch_execz .LBB222_241
; %bb.236:                              ;   in Loop: Header=BB222_10 Depth=1
	v_mov_b64_e32 v[4:5], 0x7f800001
	v_and_b32_e32 v2, 0x7f, v0
	s_mov_b32 s11, exec_lo
	scratch_store_b64 off, v[4:5], s32 offset:452 ; 8-byte Folded Spill
	s_wait_xcnt 0x0
	v_cmpx_ne_u32_e32 0x7f, v2
	s_cbranch_execz .LBB222_240
; %bb.237:                              ;   in Loop: Header=BB222_10 Depth=1
	v_dual_lshrrev_b32 v1, 3, v2 :: v_dual_bitop2_b32 v94, 7, v0 bitop3:0x40
	s_mov_b32 s16, exec_lo
	v_cmpx_gt_u32_e32 8, v2
; %bb.238:                              ;   in Loop: Header=BB222_10 Depth=1
	s_delay_alu instid0(VALU_DEP_2) | instskip(NEXT) | instid1(VALU_DEP_1)
	v_clz_i32_u32_e32 v1, v94
	v_min_u32_e32 v1, 32, v1
	s_delay_alu instid0(VALU_DEP_1) | instskip(NEXT) | instid1(VALU_DEP_1)
	v_subrev_nc_u32_e32 v2, 28, v1
	v_lshlrev_b64_e32 v[2:3], v2, v[94:95]
	s_delay_alu instid0(VALU_DEP_1)
	v_dual_sub_nc_u32 v1, 29, v1 :: v_dual_bitop2_b32 v94, 7, v2 bitop3:0x40
; %bb.239:                              ;   in Loop: Header=BB222_10 Depth=1
	s_or_b32 exec_lo, exec_lo, s16
	s_delay_alu instid0(VALU_DEP_1) | instskip(NEXT) | instid1(VALU_DEP_2)
	v_dual_lshlrev_b32 v2, 24, v0 :: v_dual_lshlrev_b32 v3, 20, v94
	v_lshl_add_u32 v1, v1, 23, 0x3c000000
	s_delay_alu instid0(VALU_DEP_2) | instskip(NEXT) | instid1(VALU_DEP_1)
	v_and_b32_e32 v2, 0x80000000, v2
	v_or3_b32 v94, v3, v2, v1
	scratch_store_b64 off, v[94:95], s32 offset:452 ; 8-byte Folded Spill
.LBB222_240:                            ;   in Loop: Header=BB222_10 Depth=1
	s_wait_xcnt 0x0
	s_or_b32 exec_lo, exec_lo, s11
.LBB222_241:                            ;   in Loop: Header=BB222_10 Depth=1
	s_delay_alu instid0(SALU_CYCLE_1)
	s_or_b32 exec_lo, exec_lo, s9
.LBB222_242:                            ;   in Loop: Header=BB222_10 Depth=1
	s_delay_alu instid0(SALU_CYCLE_1) | instskip(SKIP_2) | instid1(VALU_DEP_1)
	s_or_b32 exec_lo, exec_lo, s8
	v_lshrrev_b16 v1, 8, v0
	s_mov_b32 s8, exec_lo
	v_cmpx_ne_u16_e32 0, v1
	s_cbranch_execz .LBB222_250
; %bb.243:                              ;   in Loop: Header=BB222_10 Depth=1
	v_mov_b64_e32 v[2:3], 0x8000000000000000
	s_mov_b32 s9, exec_lo
	scratch_store_b64 off, v[2:3], s32 offset:444 ; 8-byte Folded Spill
	s_wait_xcnt 0x0
	v_cmpx_ne_u16_e32 0x80, v1
	s_cbranch_execz .LBB222_249
; %bb.244:                              ;   in Loop: Header=BB222_10 Depth=1
	v_and_b32_e32 v1, 0xffff, v1
	v_mov_b64_e32 v[4:5], 0x7f80000100000000
	s_mov_b32 s11, exec_lo
	s_delay_alu instid0(VALU_DEP_2)
	v_and_b32_e32 v2, 0x7f, v1
	scratch_store_b64 off, v[4:5], s32 offset:444 ; 8-byte Folded Spill
	s_wait_xcnt 0x0
	v_cmpx_ne_u32_e32 0x7f, v2
	s_cbranch_execz .LBB222_248
; %bb.245:                              ;   in Loop: Header=BB222_10 Depth=1
	v_dual_lshrrev_b32 v1, 3, v2 :: v_dual_bitop2_b32 v94, 7, v1 bitop3:0x40
	s_mov_b32 s16, exec_lo
	v_cmpx_gt_u32_e32 8, v2
; %bb.246:                              ;   in Loop: Header=BB222_10 Depth=1
	s_delay_alu instid0(VALU_DEP_2) | instskip(NEXT) | instid1(VALU_DEP_1)
	v_clz_i32_u32_e32 v1, v94
	v_min_u32_e32 v1, 32, v1
	s_delay_alu instid0(VALU_DEP_1) | instskip(NEXT) | instid1(VALU_DEP_1)
	v_subrev_nc_u32_e32 v2, 28, v1
	v_lshlrev_b64_e32 v[2:3], v2, v[94:95]
	s_delay_alu instid0(VALU_DEP_1)
	v_dual_sub_nc_u32 v1, 29, v1 :: v_dual_bitop2_b32 v94, 7, v2 bitop3:0x40
; %bb.247:                              ;   in Loop: Header=BB222_10 Depth=1
	s_or_b32 exec_lo, exec_lo, s16
	s_delay_alu instid0(VALU_DEP_1) | instskip(NEXT) | instid1(VALU_DEP_2)
	v_dual_lshlrev_b32 v2, 16, v0 :: v_dual_lshlrev_b32 v3, 20, v94
	v_lshl_add_u32 v1, v1, 23, 0x3c000000
	s_delay_alu instid0(VALU_DEP_2) | instskip(NEXT) | instid1(VALU_DEP_1)
	v_and_b32_e32 v2, 0x80000000, v2
	v_or3_b32 v3, v3, v2, v1
	v_mov_b32_e32 v2, v95
	scratch_store_b64 off, v[2:3], s32 offset:444 ; 8-byte Folded Spill
.LBB222_248:                            ;   in Loop: Header=BB222_10 Depth=1
	s_wait_xcnt 0x0
	s_or_b32 exec_lo, exec_lo, s11
.LBB222_249:                            ;   in Loop: Header=BB222_10 Depth=1
	s_delay_alu instid0(SALU_CYCLE_1)
	s_or_b32 exec_lo, exec_lo, s9
.LBB222_250:                            ;   in Loop: Header=BB222_10 Depth=1
	s_delay_alu instid0(SALU_CYCLE_1) | instskip(SKIP_3) | instid1(VALU_DEP_1)
	s_or_b32 exec_lo, exec_lo, s8
	v_mov_b64_e32 v[4:5], 0
	v_lshrrev_b32_e32 v1, 16, v0
	s_mov_b32 s8, exec_lo
	v_and_b32_e32 v2, 0xff, v1
	scratch_store_b64 off, v[4:5], s32 offset:428 ; 8-byte Folded Spill
	s_wait_xcnt 0x0
	v_mov_b64_e32 v[4:5], 0
	scratch_store_b64 off, v[4:5], s32 offset:436 ; 8-byte Folded Spill
	s_wait_xcnt 0x0
	v_cmpx_ne_u16_e32 0, v2
	s_cbranch_execz .LBB222_258
; %bb.251:                              ;   in Loop: Header=BB222_10 Depth=1
	v_cmp_ne_u16_e64 s1, 0x80, v2
	v_mov_b64_e32 v[2:3], 0x80000000
	scratch_store_b64 off, v[2:3], s32 offset:436 ; 8-byte Folded Spill
	s_wait_xcnt 0x0
	s_and_saveexec_b32 s9, s1
	s_cbranch_execz .LBB222_257
; %bb.252:                              ;   in Loop: Header=BB222_10 Depth=1
	v_mov_b64_e32 v[4:5], 0x7f800001
	v_bfe_u32 v3, v0, 16, 7
	s_mov_b32 s11, exec_lo
	scratch_store_b64 off, v[4:5], s32 offset:436 ; 8-byte Folded Spill
	s_wait_xcnt 0x0
	v_cmpx_ne_u32_e32 0x7f, v3
	s_cbranch_execz .LBB222_256
; %bb.253:                              ;   in Loop: Header=BB222_10 Depth=1
	v_dual_lshrrev_b32 v2, 3, v3 :: v_dual_bitop2_b32 v94, 7, v1 bitop3:0x40
	s_mov_b32 s16, exec_lo
	v_cmpx_gt_u32_e32 8, v3
; %bb.254:                              ;   in Loop: Header=BB222_10 Depth=1
	s_delay_alu instid0(VALU_DEP_2) | instskip(NEXT) | instid1(VALU_DEP_1)
	v_clz_i32_u32_e32 v2, v94
	v_min_u32_e32 v2, 32, v2
	s_delay_alu instid0(VALU_DEP_1) | instskip(NEXT) | instid1(VALU_DEP_1)
	v_subrev_nc_u32_e32 v3, 28, v2
	v_lshlrev_b64_e32 v[4:5], v3, v[94:95]
	s_delay_alu instid0(VALU_DEP_1)
	v_dual_sub_nc_u32 v2, 29, v2 :: v_dual_bitop2_b32 v94, 7, v4 bitop3:0x40
; %bb.255:                              ;   in Loop: Header=BB222_10 Depth=1
	s_or_b32 exec_lo, exec_lo, s16
	s_delay_alu instid0(VALU_DEP_1) | instskip(NEXT) | instid1(VALU_DEP_2)
	v_dual_lshlrev_b32 v1, 24, v1 :: v_dual_lshlrev_b32 v3, 20, v94
	v_lshl_add_u32 v2, v2, 23, 0x3c000000
	s_delay_alu instid0(VALU_DEP_2) | instskip(NEXT) | instid1(VALU_DEP_1)
	v_and_b32_e32 v1, 0x80000000, v1
	v_or3_b32 v94, v3, v1, v2
	scratch_store_b64 off, v[94:95], s32 offset:436 ; 8-byte Folded Spill
.LBB222_256:                            ;   in Loop: Header=BB222_10 Depth=1
	s_wait_xcnt 0x0
	s_or_b32 exec_lo, exec_lo, s11
.LBB222_257:                            ;   in Loop: Header=BB222_10 Depth=1
	s_delay_alu instid0(SALU_CYCLE_1)
	s_or_b32 exec_lo, exec_lo, s9
.LBB222_258:                            ;   in Loop: Header=BB222_10 Depth=1
	s_delay_alu instid0(SALU_CYCLE_1) | instskip(NEXT) | instid1(SALU_CYCLE_1)
	s_or_b32 exec_lo, exec_lo, s8
	s_mov_b32 s8, exec_lo
	v_cmpx_lt_u32_e32 0xffffff, v0
	s_cbranch_execz .LBB222_266
; %bb.259:                              ;   in Loop: Header=BB222_10 Depth=1
	v_mov_b64_e32 v[2:3], 0x8000000000000000
	v_lshrrev_b32_e32 v1, 24, v0
	s_mov_b32 s9, exec_lo
	scratch_store_b64 off, v[2:3], s32 offset:428 ; 8-byte Folded Spill
	s_wait_xcnt 0x0
	v_cmpx_ne_u32_e32 0x80, v1
	s_cbranch_execz .LBB222_265
; %bb.260:                              ;   in Loop: Header=BB222_10 Depth=1
	v_mov_b64_e32 v[4:5], 0x7f80000100000000
	v_bfe_u32 v2, v0, 24, 7
	s_mov_b32 s11, exec_lo
	scratch_store_b64 off, v[4:5], s32 offset:428 ; 8-byte Folded Spill
	s_wait_xcnt 0x0
	v_cmpx_ne_u32_e32 0x7f, v2
	s_cbranch_execz .LBB222_264
; %bb.261:                              ;   in Loop: Header=BB222_10 Depth=1
	v_dual_lshrrev_b32 v0, 3, v2 :: v_dual_bitop2_b32 v94, 7, v1 bitop3:0x40
	s_mov_b32 s16, exec_lo
	v_cmpx_gt_u32_e32 8, v2
; %bb.262:                              ;   in Loop: Header=BB222_10 Depth=1
	s_delay_alu instid0(VALU_DEP_2) | instskip(NEXT) | instid1(VALU_DEP_1)
	v_clz_i32_u32_e32 v0, v94
	v_min_u32_e32 v0, 32, v0
	s_delay_alu instid0(VALU_DEP_1) | instskip(NEXT) | instid1(VALU_DEP_1)
	v_subrev_nc_u32_e32 v2, 28, v0
	v_lshlrev_b64_e32 v[2:3], v2, v[94:95]
	s_delay_alu instid0(VALU_DEP_1)
	v_dual_sub_nc_u32 v0, 29, v0 :: v_dual_bitop2_b32 v94, 7, v2 bitop3:0x40
; %bb.263:                              ;   in Loop: Header=BB222_10 Depth=1
	s_or_b32 exec_lo, exec_lo, s16
	s_delay_alu instid0(VALU_DEP_1) | instskip(NEXT) | instid1(VALU_DEP_2)
	v_dual_lshlrev_b32 v1, 24, v1 :: v_dual_lshlrev_b32 v2, 20, v94
	v_lshl_add_u32 v0, v0, 23, 0x3c000000
	s_delay_alu instid0(VALU_DEP_2) | instskip(NEXT) | instid1(VALU_DEP_1)
	v_and_b32_e32 v1, 0x80000000, v1
	v_or3_b32 v1, v2, v1, v0
	v_mov_b32_e32 v0, v95
	scratch_store_b64 off, v[0:1], s32 offset:428 ; 8-byte Folded Spill
.LBB222_264:                            ;   in Loop: Header=BB222_10 Depth=1
	s_wait_xcnt 0x0
	s_or_b32 exec_lo, exec_lo, s11
.LBB222_265:                            ;   in Loop: Header=BB222_10 Depth=1
	s_delay_alu instid0(SALU_CYCLE_1)
	s_or_b32 exec_lo, exec_lo, s9
.LBB222_266:                            ;   in Loop: Header=BB222_10 Depth=1
	s_delay_alu instid0(SALU_CYCLE_1)
	s_or_b32 exec_lo, exec_lo, s8
	flat_load_b32 v0, v[106:107] offset:1024
	v_mov_b64_e32 v[2:3], 0
	s_mov_b32 s8, exec_lo
	scratch_store_b64 off, v[2:3], s32 offset:476 ; 8-byte Folded Spill
	s_wait_xcnt 0x0
	v_mov_b64_e32 v[2:3], 0
	scratch_store_b64 off, v[2:3], s32 offset:484 ; 8-byte Folded Spill
	s_wait_loadcnt_dscnt 0x0
	v_and_b32_e32 v1, 0xff, v0
	s_wait_xcnt 0x0
	s_delay_alu instid0(VALU_DEP_1)
	v_cmpx_ne_u16_e32 0, v1
	s_cbranch_execz .LBB222_274
; %bb.267:                              ;   in Loop: Header=BB222_10 Depth=1
	v_mov_b64_e32 v[2:3], 0x80000000
	s_mov_b32 s9, exec_lo
	scratch_store_b64 off, v[2:3], s32 offset:484 ; 8-byte Folded Spill
	s_wait_xcnt 0x0
	v_cmpx_ne_u16_e32 0x80, v1
	s_cbranch_execz .LBB222_273
; %bb.268:                              ;   in Loop: Header=BB222_10 Depth=1
	v_mov_b64_e32 v[4:5], 0x7f800001
	v_and_b32_e32 v2, 0x7f, v0
	s_mov_b32 s11, exec_lo
	scratch_store_b64 off, v[4:5], s32 offset:484 ; 8-byte Folded Spill
	s_wait_xcnt 0x0
	v_cmpx_ne_u32_e32 0x7f, v2
	s_cbranch_execz .LBB222_272
; %bb.269:                              ;   in Loop: Header=BB222_10 Depth=1
	v_dual_lshrrev_b32 v1, 3, v2 :: v_dual_bitop2_b32 v94, 7, v0 bitop3:0x40
	s_mov_b32 s16, exec_lo
	v_cmpx_gt_u32_e32 8, v2
; %bb.270:                              ;   in Loop: Header=BB222_10 Depth=1
	s_delay_alu instid0(VALU_DEP_2) | instskip(NEXT) | instid1(VALU_DEP_1)
	v_clz_i32_u32_e32 v1, v94
	v_min_u32_e32 v1, 32, v1
	s_delay_alu instid0(VALU_DEP_1) | instskip(NEXT) | instid1(VALU_DEP_1)
	v_subrev_nc_u32_e32 v2, 28, v1
	v_lshlrev_b64_e32 v[2:3], v2, v[94:95]
	s_delay_alu instid0(VALU_DEP_1)
	v_dual_sub_nc_u32 v1, 29, v1 :: v_dual_bitop2_b32 v94, 7, v2 bitop3:0x40
; %bb.271:                              ;   in Loop: Header=BB222_10 Depth=1
	s_or_b32 exec_lo, exec_lo, s16
	s_delay_alu instid0(VALU_DEP_1) | instskip(NEXT) | instid1(VALU_DEP_2)
	v_dual_lshlrev_b32 v2, 24, v0 :: v_dual_lshlrev_b32 v3, 20, v94
	v_lshl_add_u32 v1, v1, 23, 0x3c000000
	s_delay_alu instid0(VALU_DEP_2) | instskip(NEXT) | instid1(VALU_DEP_1)
	v_and_b32_e32 v2, 0x80000000, v2
	v_or3_b32 v94, v3, v2, v1
	scratch_store_b64 off, v[94:95], s32 offset:484 ; 8-byte Folded Spill
.LBB222_272:                            ;   in Loop: Header=BB222_10 Depth=1
	s_wait_xcnt 0x0
	s_or_b32 exec_lo, exec_lo, s11
.LBB222_273:                            ;   in Loop: Header=BB222_10 Depth=1
	s_delay_alu instid0(SALU_CYCLE_1)
	s_or_b32 exec_lo, exec_lo, s9
.LBB222_274:                            ;   in Loop: Header=BB222_10 Depth=1
	s_delay_alu instid0(SALU_CYCLE_1) | instskip(SKIP_2) | instid1(VALU_DEP_1)
	s_or_b32 exec_lo, exec_lo, s8
	v_lshrrev_b16 v1, 8, v0
	s_mov_b32 s8, exec_lo
	v_cmpx_ne_u16_e32 0, v1
	s_cbranch_execz .LBB222_282
; %bb.275:                              ;   in Loop: Header=BB222_10 Depth=1
	v_mov_b64_e32 v[2:3], 0x8000000000000000
	s_mov_b32 s9, exec_lo
	scratch_store_b64 off, v[2:3], s32 offset:476 ; 8-byte Folded Spill
	s_wait_xcnt 0x0
	v_cmpx_ne_u16_e32 0x80, v1
	s_cbranch_execz .LBB222_281
; %bb.276:                              ;   in Loop: Header=BB222_10 Depth=1
	v_and_b32_e32 v1, 0xffff, v1
	v_mov_b64_e32 v[4:5], 0x7f80000100000000
	s_mov_b32 s11, exec_lo
	s_delay_alu instid0(VALU_DEP_2)
	v_and_b32_e32 v2, 0x7f, v1
	scratch_store_b64 off, v[4:5], s32 offset:476 ; 8-byte Folded Spill
	s_wait_xcnt 0x0
	v_cmpx_ne_u32_e32 0x7f, v2
	s_cbranch_execz .LBB222_280
; %bb.277:                              ;   in Loop: Header=BB222_10 Depth=1
	v_dual_lshrrev_b32 v1, 3, v2 :: v_dual_bitop2_b32 v94, 7, v1 bitop3:0x40
	s_mov_b32 s16, exec_lo
	v_cmpx_gt_u32_e32 8, v2
; %bb.278:                              ;   in Loop: Header=BB222_10 Depth=1
	s_delay_alu instid0(VALU_DEP_2) | instskip(NEXT) | instid1(VALU_DEP_1)
	v_clz_i32_u32_e32 v1, v94
	v_min_u32_e32 v1, 32, v1
	s_delay_alu instid0(VALU_DEP_1) | instskip(NEXT) | instid1(VALU_DEP_1)
	v_subrev_nc_u32_e32 v2, 28, v1
	v_lshlrev_b64_e32 v[2:3], v2, v[94:95]
	s_delay_alu instid0(VALU_DEP_1)
	v_dual_sub_nc_u32 v1, 29, v1 :: v_dual_bitop2_b32 v94, 7, v2 bitop3:0x40
; %bb.279:                              ;   in Loop: Header=BB222_10 Depth=1
	s_or_b32 exec_lo, exec_lo, s16
	s_delay_alu instid0(VALU_DEP_1) | instskip(NEXT) | instid1(VALU_DEP_2)
	v_dual_lshlrev_b32 v2, 16, v0 :: v_dual_lshlrev_b32 v3, 20, v94
	v_lshl_add_u32 v1, v1, 23, 0x3c000000
	s_delay_alu instid0(VALU_DEP_2) | instskip(NEXT) | instid1(VALU_DEP_1)
	v_and_b32_e32 v2, 0x80000000, v2
	v_or3_b32 v3, v3, v2, v1
	v_mov_b32_e32 v2, v95
	scratch_store_b64 off, v[2:3], s32 offset:476 ; 8-byte Folded Spill
.LBB222_280:                            ;   in Loop: Header=BB222_10 Depth=1
	s_wait_xcnt 0x0
	s_or_b32 exec_lo, exec_lo, s11
.LBB222_281:                            ;   in Loop: Header=BB222_10 Depth=1
	s_delay_alu instid0(SALU_CYCLE_1)
	s_or_b32 exec_lo, exec_lo, s9
.LBB222_282:                            ;   in Loop: Header=BB222_10 Depth=1
	s_delay_alu instid0(SALU_CYCLE_1) | instskip(SKIP_3) | instid1(VALU_DEP_1)
	s_or_b32 exec_lo, exec_lo, s8
	v_mov_b64_e32 v[4:5], 0
	v_lshrrev_b32_e32 v1, 16, v0
	s_mov_b32 s8, exec_lo
	v_and_b32_e32 v2, 0xff, v1
	scratch_store_b64 off, v[4:5], s32 offset:460 ; 8-byte Folded Spill
	s_wait_xcnt 0x0
	v_mov_b64_e32 v[4:5], 0
	scratch_store_b64 off, v[4:5], s32 offset:468 ; 8-byte Folded Spill
	s_wait_xcnt 0x0
	v_cmpx_ne_u16_e32 0, v2
	s_cbranch_execz .LBB222_290
; %bb.283:                              ;   in Loop: Header=BB222_10 Depth=1
	v_cmp_ne_u16_e64 s1, 0x80, v2
	v_mov_b64_e32 v[2:3], 0x80000000
	scratch_store_b64 off, v[2:3], s32 offset:468 ; 8-byte Folded Spill
	s_wait_xcnt 0x0
	s_and_saveexec_b32 s9, s1
	s_cbranch_execz .LBB222_289
; %bb.284:                              ;   in Loop: Header=BB222_10 Depth=1
	v_mov_b64_e32 v[4:5], 0x7f800001
	v_bfe_u32 v3, v0, 16, 7
	s_mov_b32 s11, exec_lo
	scratch_store_b64 off, v[4:5], s32 offset:468 ; 8-byte Folded Spill
	s_wait_xcnt 0x0
	v_cmpx_ne_u32_e32 0x7f, v3
	s_cbranch_execz .LBB222_288
; %bb.285:                              ;   in Loop: Header=BB222_10 Depth=1
	v_dual_lshrrev_b32 v2, 3, v3 :: v_dual_bitop2_b32 v94, 7, v1 bitop3:0x40
	s_mov_b32 s16, exec_lo
	v_cmpx_gt_u32_e32 8, v3
; %bb.286:                              ;   in Loop: Header=BB222_10 Depth=1
	s_delay_alu instid0(VALU_DEP_2) | instskip(NEXT) | instid1(VALU_DEP_1)
	v_clz_i32_u32_e32 v2, v94
	v_min_u32_e32 v2, 32, v2
	s_delay_alu instid0(VALU_DEP_1) | instskip(NEXT) | instid1(VALU_DEP_1)
	v_subrev_nc_u32_e32 v3, 28, v2
	v_lshlrev_b64_e32 v[4:5], v3, v[94:95]
	s_delay_alu instid0(VALU_DEP_1)
	v_dual_sub_nc_u32 v2, 29, v2 :: v_dual_bitop2_b32 v94, 7, v4 bitop3:0x40
; %bb.287:                              ;   in Loop: Header=BB222_10 Depth=1
	s_or_b32 exec_lo, exec_lo, s16
	s_delay_alu instid0(VALU_DEP_1) | instskip(NEXT) | instid1(VALU_DEP_2)
	v_dual_lshlrev_b32 v1, 24, v1 :: v_dual_lshlrev_b32 v3, 20, v94
	v_lshl_add_u32 v2, v2, 23, 0x3c000000
	s_delay_alu instid0(VALU_DEP_2) | instskip(NEXT) | instid1(VALU_DEP_1)
	v_and_b32_e32 v1, 0x80000000, v1
	v_or3_b32 v94, v3, v1, v2
	scratch_store_b64 off, v[94:95], s32 offset:468 ; 8-byte Folded Spill
.LBB222_288:                            ;   in Loop: Header=BB222_10 Depth=1
	s_wait_xcnt 0x0
	s_or_b32 exec_lo, exec_lo, s11
.LBB222_289:                            ;   in Loop: Header=BB222_10 Depth=1
	s_delay_alu instid0(SALU_CYCLE_1)
	s_or_b32 exec_lo, exec_lo, s9
.LBB222_290:                            ;   in Loop: Header=BB222_10 Depth=1
	s_delay_alu instid0(SALU_CYCLE_1) | instskip(NEXT) | instid1(SALU_CYCLE_1)
	s_or_b32 exec_lo, exec_lo, s8
	s_mov_b32 s8, exec_lo
	v_cmpx_lt_u32_e32 0xffffff, v0
	s_cbranch_execz .LBB222_298
; %bb.291:                              ;   in Loop: Header=BB222_10 Depth=1
	v_mov_b64_e32 v[2:3], 0x8000000000000000
	v_lshrrev_b32_e32 v1, 24, v0
	s_mov_b32 s9, exec_lo
	scratch_store_b64 off, v[2:3], s32 offset:460 ; 8-byte Folded Spill
	s_wait_xcnt 0x0
	v_cmpx_ne_u32_e32 0x80, v1
	s_cbranch_execz .LBB222_297
; %bb.292:                              ;   in Loop: Header=BB222_10 Depth=1
	v_mov_b64_e32 v[4:5], 0x7f80000100000000
	v_bfe_u32 v2, v0, 24, 7
	s_mov_b32 s11, exec_lo
	scratch_store_b64 off, v[4:5], s32 offset:460 ; 8-byte Folded Spill
	s_wait_xcnt 0x0
	v_cmpx_ne_u32_e32 0x7f, v2
	s_cbranch_execz .LBB222_296
; %bb.293:                              ;   in Loop: Header=BB222_10 Depth=1
	v_dual_lshrrev_b32 v0, 3, v2 :: v_dual_bitop2_b32 v94, 7, v1 bitop3:0x40
	s_mov_b32 s16, exec_lo
	v_cmpx_gt_u32_e32 8, v2
; %bb.294:                              ;   in Loop: Header=BB222_10 Depth=1
	s_delay_alu instid0(VALU_DEP_2) | instskip(NEXT) | instid1(VALU_DEP_1)
	v_clz_i32_u32_e32 v0, v94
	v_min_u32_e32 v0, 32, v0
	s_delay_alu instid0(VALU_DEP_1) | instskip(NEXT) | instid1(VALU_DEP_1)
	v_subrev_nc_u32_e32 v2, 28, v0
	v_lshlrev_b64_e32 v[2:3], v2, v[94:95]
	s_delay_alu instid0(VALU_DEP_1)
	v_dual_sub_nc_u32 v0, 29, v0 :: v_dual_bitop2_b32 v94, 7, v2 bitop3:0x40
; %bb.295:                              ;   in Loop: Header=BB222_10 Depth=1
	s_or_b32 exec_lo, exec_lo, s16
	s_delay_alu instid0(VALU_DEP_1) | instskip(NEXT) | instid1(VALU_DEP_2)
	v_dual_lshlrev_b32 v1, 24, v1 :: v_dual_lshlrev_b32 v2, 20, v94
	v_lshl_add_u32 v0, v0, 23, 0x3c000000
	s_delay_alu instid0(VALU_DEP_2) | instskip(NEXT) | instid1(VALU_DEP_1)
	v_and_b32_e32 v1, 0x80000000, v1
	v_or3_b32 v1, v2, v1, v0
	v_mov_b32_e32 v0, v95
	scratch_store_b64 off, v[0:1], s32 offset:460 ; 8-byte Folded Spill
.LBB222_296:                            ;   in Loop: Header=BB222_10 Depth=1
	s_wait_xcnt 0x0
	s_or_b32 exec_lo, exec_lo, s11
.LBB222_297:                            ;   in Loop: Header=BB222_10 Depth=1
	s_delay_alu instid0(SALU_CYCLE_1)
	s_or_b32 exec_lo, exec_lo, s9
.LBB222_298:                            ;   in Loop: Header=BB222_10 Depth=1
	s_delay_alu instid0(SALU_CYCLE_1)
	s_or_b32 exec_lo, exec_lo, s8
	flat_load_b32 v0, v[106:107] offset:1028
	v_mov_b64_e32 v[120:121], 0
	v_mov_b64_e32 v[114:115], 0
	s_mov_b32 s8, exec_lo
	s_wait_loadcnt_dscnt 0x0
	v_and_b32_e32 v1, 0xff, v0
	s_wait_xcnt 0x0
	s_delay_alu instid0(VALU_DEP_1)
	v_cmpx_ne_u16_e32 0, v1
	s_cbranch_execz .LBB222_306
; %bb.299:                              ;   in Loop: Header=BB222_10 Depth=1
	v_mov_b64_e32 v[114:115], 0x80000000
	s_mov_b32 s9, exec_lo
	v_cmpx_ne_u16_e32 0x80, v1
	s_cbranch_execz .LBB222_305
; %bb.300:                              ;   in Loop: Header=BB222_10 Depth=1
	v_mov_b64_e32 v[114:115], 0x7f800001
	v_and_b32_e32 v2, 0x7f, v0
	s_mov_b32 s11, exec_lo
	s_delay_alu instid0(VALU_DEP_1)
	v_cmpx_ne_u32_e32 0x7f, v2
	s_cbranch_execz .LBB222_304
; %bb.301:                              ;   in Loop: Header=BB222_10 Depth=1
	v_dual_lshrrev_b32 v1, 3, v2 :: v_dual_bitop2_b32 v94, 7, v0 bitop3:0x40
	s_mov_b32 s16, exec_lo
	v_cmpx_gt_u32_e32 8, v2
; %bb.302:                              ;   in Loop: Header=BB222_10 Depth=1
	s_delay_alu instid0(VALU_DEP_2) | instskip(NEXT) | instid1(VALU_DEP_1)
	v_clz_i32_u32_e32 v1, v94
	v_min_u32_e32 v1, 32, v1
	s_delay_alu instid0(VALU_DEP_1) | instskip(NEXT) | instid1(VALU_DEP_1)
	v_subrev_nc_u32_e32 v2, 28, v1
	v_lshlrev_b64_e32 v[2:3], v2, v[94:95]
	s_delay_alu instid0(VALU_DEP_1)
	v_dual_sub_nc_u32 v1, 29, v1 :: v_dual_bitop2_b32 v94, 7, v2 bitop3:0x40
; %bb.303:                              ;   in Loop: Header=BB222_10 Depth=1
	s_or_b32 exec_lo, exec_lo, s16
	s_delay_alu instid0(VALU_DEP_1) | instskip(NEXT) | instid1(VALU_DEP_2)
	v_dual_lshlrev_b32 v2, 24, v0 :: v_dual_lshlrev_b32 v3, 20, v94
	v_lshl_add_u32 v1, v1, 23, 0x3c000000
	s_delay_alu instid0(VALU_DEP_2) | instskip(NEXT) | instid1(VALU_DEP_1)
	v_and_b32_e32 v2, 0x80000000, v2
	v_or3_b32 v94, v3, v2, v1
	s_delay_alu instid0(VALU_DEP_1)
	v_mov_b64_e32 v[114:115], v[94:95]
.LBB222_304:                            ;   in Loop: Header=BB222_10 Depth=1
	s_or_b32 exec_lo, exec_lo, s11
.LBB222_305:                            ;   in Loop: Header=BB222_10 Depth=1
	s_delay_alu instid0(SALU_CYCLE_1)
	s_or_b32 exec_lo, exec_lo, s9
.LBB222_306:                            ;   in Loop: Header=BB222_10 Depth=1
	s_delay_alu instid0(SALU_CYCLE_1) | instskip(SKIP_2) | instid1(VALU_DEP_1)
	s_or_b32 exec_lo, exec_lo, s8
	v_lshrrev_b16 v1, 8, v0
	s_mov_b32 s8, exec_lo
	v_cmpx_ne_u16_e32 0, v1
	s_cbranch_execz .LBB222_314
; %bb.307:                              ;   in Loop: Header=BB222_10 Depth=1
	v_mov_b64_e32 v[120:121], 0x8000000000000000
	s_mov_b32 s9, exec_lo
	v_cmpx_ne_u16_e32 0x80, v1
	s_cbranch_execz .LBB222_313
; %bb.308:                              ;   in Loop: Header=BB222_10 Depth=1
	v_and_b32_e32 v1, 0xffff, v1
	v_mov_b64_e32 v[120:121], 0x7f80000100000000
	s_mov_b32 s11, exec_lo
	s_delay_alu instid0(VALU_DEP_2) | instskip(NEXT) | instid1(VALU_DEP_1)
	v_and_b32_e32 v2, 0x7f, v1
	v_cmpx_ne_u32_e32 0x7f, v2
	s_cbranch_execz .LBB222_312
; %bb.309:                              ;   in Loop: Header=BB222_10 Depth=1
	v_dual_lshrrev_b32 v1, 3, v2 :: v_dual_bitop2_b32 v94, 7, v1 bitop3:0x40
	s_mov_b32 s16, exec_lo
	v_cmpx_gt_u32_e32 8, v2
; %bb.310:                              ;   in Loop: Header=BB222_10 Depth=1
	s_delay_alu instid0(VALU_DEP_2) | instskip(NEXT) | instid1(VALU_DEP_1)
	v_clz_i32_u32_e32 v1, v94
	v_min_u32_e32 v1, 32, v1
	s_delay_alu instid0(VALU_DEP_1) | instskip(NEXT) | instid1(VALU_DEP_1)
	v_subrev_nc_u32_e32 v2, 28, v1
	v_lshlrev_b64_e32 v[2:3], v2, v[94:95]
	s_delay_alu instid0(VALU_DEP_1)
	v_dual_sub_nc_u32 v1, 29, v1 :: v_dual_bitop2_b32 v94, 7, v2 bitop3:0x40
; %bb.311:                              ;   in Loop: Header=BB222_10 Depth=1
	s_or_b32 exec_lo, exec_lo, s16
	s_delay_alu instid0(VALU_DEP_1) | instskip(NEXT) | instid1(VALU_DEP_2)
	v_dual_lshlrev_b32 v2, 16, v0 :: v_dual_lshlrev_b32 v3, 20, v94
	v_lshl_add_u32 v1, v1, 23, 0x3c000000
	v_mov_b32_e32 v120, v95
	s_delay_alu instid0(VALU_DEP_3) | instskip(NEXT) | instid1(VALU_DEP_1)
	v_and_b32_e32 v2, 0x80000000, v2
	v_or3_b32 v121, v3, v2, v1
.LBB222_312:                            ;   in Loop: Header=BB222_10 Depth=1
	s_or_b32 exec_lo, exec_lo, s11
.LBB222_313:                            ;   in Loop: Header=BB222_10 Depth=1
	s_delay_alu instid0(SALU_CYCLE_1)
	s_or_b32 exec_lo, exec_lo, s9
.LBB222_314:                            ;   in Loop: Header=BB222_10 Depth=1
	s_delay_alu instid0(SALU_CYCLE_1) | instskip(SKIP_4) | instid1(VALU_DEP_3)
	s_or_b32 exec_lo, exec_lo, s8
	v_lshrrev_b32_e32 v1, 16, v0
	v_mov_b64_e32 v[112:113], 0
	v_mov_b64_e32 v[4:5], 0
	s_mov_b32 s8, exec_lo
	v_and_b32_e32 v2, 0xff, v1
	scratch_store_b64 off, v[4:5], s32 offset:492 ; 8-byte Folded Spill
	s_wait_xcnt 0x0
	v_cmpx_ne_u16_e32 0, v2
	s_cbranch_execz .LBB222_322
; %bb.315:                              ;   in Loop: Header=BB222_10 Depth=1
	v_cmp_ne_u16_e64 s1, 0x80, v2
	v_mov_b64_e32 v[2:3], 0x80000000
	scratch_store_b64 off, v[2:3], s32 offset:492 ; 8-byte Folded Spill
	s_wait_xcnt 0x0
	s_and_saveexec_b32 s9, s1
	s_cbranch_execz .LBB222_321
; %bb.316:                              ;   in Loop: Header=BB222_10 Depth=1
	v_mov_b64_e32 v[4:5], 0x7f800001
	v_bfe_u32 v3, v0, 16, 7
	s_mov_b32 s11, exec_lo
	scratch_store_b64 off, v[4:5], s32 offset:492 ; 8-byte Folded Spill
	s_wait_xcnt 0x0
	v_cmpx_ne_u32_e32 0x7f, v3
	s_cbranch_execz .LBB222_320
; %bb.317:                              ;   in Loop: Header=BB222_10 Depth=1
	v_dual_lshrrev_b32 v2, 3, v3 :: v_dual_bitop2_b32 v94, 7, v1 bitop3:0x40
	s_mov_b32 s16, exec_lo
	v_cmpx_gt_u32_e32 8, v3
; %bb.318:                              ;   in Loop: Header=BB222_10 Depth=1
	s_delay_alu instid0(VALU_DEP_2) | instskip(NEXT) | instid1(VALU_DEP_1)
	v_clz_i32_u32_e32 v2, v94
	v_min_u32_e32 v2, 32, v2
	s_delay_alu instid0(VALU_DEP_1) | instskip(NEXT) | instid1(VALU_DEP_1)
	v_subrev_nc_u32_e32 v3, 28, v2
	v_lshlrev_b64_e32 v[4:5], v3, v[94:95]
	s_delay_alu instid0(VALU_DEP_1)
	v_dual_sub_nc_u32 v2, 29, v2 :: v_dual_bitop2_b32 v94, 7, v4 bitop3:0x40
; %bb.319:                              ;   in Loop: Header=BB222_10 Depth=1
	s_or_b32 exec_lo, exec_lo, s16
	s_delay_alu instid0(VALU_DEP_1) | instskip(NEXT) | instid1(VALU_DEP_2)
	v_dual_lshlrev_b32 v1, 24, v1 :: v_dual_lshlrev_b32 v3, 20, v94
	v_lshl_add_u32 v2, v2, 23, 0x3c000000
	s_delay_alu instid0(VALU_DEP_2) | instskip(NEXT) | instid1(VALU_DEP_1)
	v_and_b32_e32 v1, 0x80000000, v1
	v_or3_b32 v94, v3, v1, v2
	scratch_store_b64 off, v[94:95], s32 offset:492 ; 8-byte Folded Spill
.LBB222_320:                            ;   in Loop: Header=BB222_10 Depth=1
	s_wait_xcnt 0x0
	s_or_b32 exec_lo, exec_lo, s11
.LBB222_321:                            ;   in Loop: Header=BB222_10 Depth=1
	s_delay_alu instid0(SALU_CYCLE_1)
	s_or_b32 exec_lo, exec_lo, s9
.LBB222_322:                            ;   in Loop: Header=BB222_10 Depth=1
	s_delay_alu instid0(SALU_CYCLE_1) | instskip(NEXT) | instid1(SALU_CYCLE_1)
	s_or_b32 exec_lo, exec_lo, s8
	s_mov_b32 s8, exec_lo
	v_cmpx_lt_u32_e32 0xffffff, v0
	s_cbranch_execz .LBB222_330
; %bb.323:                              ;   in Loop: Header=BB222_10 Depth=1
	v_mov_b64_e32 v[112:113], 0x8000000000000000
	v_lshrrev_b32_e32 v1, 24, v0
	s_mov_b32 s9, exec_lo
	s_delay_alu instid0(VALU_DEP_1)
	v_cmpx_ne_u32_e32 0x80, v1
	s_cbranch_execz .LBB222_329
; %bb.324:                              ;   in Loop: Header=BB222_10 Depth=1
	v_mov_b64_e32 v[112:113], 0x7f80000100000000
	v_bfe_u32 v2, v0, 24, 7
	s_mov_b32 s11, exec_lo
	s_delay_alu instid0(VALU_DEP_1)
	v_cmpx_ne_u32_e32 0x7f, v2
	s_cbranch_execz .LBB222_328
; %bb.325:                              ;   in Loop: Header=BB222_10 Depth=1
	v_dual_lshrrev_b32 v0, 3, v2 :: v_dual_bitop2_b32 v94, 7, v1 bitop3:0x40
	s_mov_b32 s16, exec_lo
	v_cmpx_gt_u32_e32 8, v2
; %bb.326:                              ;   in Loop: Header=BB222_10 Depth=1
	s_delay_alu instid0(VALU_DEP_2) | instskip(NEXT) | instid1(VALU_DEP_1)
	v_clz_i32_u32_e32 v0, v94
	v_min_u32_e32 v0, 32, v0
	s_delay_alu instid0(VALU_DEP_1) | instskip(NEXT) | instid1(VALU_DEP_1)
	v_subrev_nc_u32_e32 v2, 28, v0
	v_lshlrev_b64_e32 v[2:3], v2, v[94:95]
	s_delay_alu instid0(VALU_DEP_1)
	v_dual_sub_nc_u32 v0, 29, v0 :: v_dual_bitop2_b32 v94, 7, v2 bitop3:0x40
; %bb.327:                              ;   in Loop: Header=BB222_10 Depth=1
	s_or_b32 exec_lo, exec_lo, s16
	s_delay_alu instid0(VALU_DEP_1) | instskip(NEXT) | instid1(VALU_DEP_2)
	v_dual_lshlrev_b32 v1, 24, v1 :: v_dual_lshlrev_b32 v2, 20, v94
	v_lshl_add_u32 v0, v0, 23, 0x3c000000
	v_mov_b32_e32 v112, v95
	s_delay_alu instid0(VALU_DEP_3) | instskip(NEXT) | instid1(VALU_DEP_1)
	v_and_b32_e32 v1, 0x80000000, v1
	v_or3_b32 v113, v2, v1, v0
.LBB222_328:                            ;   in Loop: Header=BB222_10 Depth=1
	s_or_b32 exec_lo, exec_lo, s11
.LBB222_329:                            ;   in Loop: Header=BB222_10 Depth=1
	s_delay_alu instid0(SALU_CYCLE_1)
	s_or_b32 exec_lo, exec_lo, s9
.LBB222_330:                            ;   in Loop: Header=BB222_10 Depth=1
	s_delay_alu instid0(SALU_CYCLE_1)
	s_or_b32 exec_lo, exec_lo, s8
	flat_load_b32 v0, v[106:107] offset:1032
	v_mov_b64_e32 v[116:117], 0
	v_mov_b64_e32 v[118:119], 0
	s_mov_b32 s8, exec_lo
	s_wait_loadcnt_dscnt 0x0
	v_and_b32_e32 v1, 0xff, v0
	s_wait_xcnt 0x0
	s_delay_alu instid0(VALU_DEP_1)
	v_cmpx_ne_u16_e32 0, v1
	s_cbranch_execz .LBB222_338
; %bb.331:                              ;   in Loop: Header=BB222_10 Depth=1
	v_mov_b64_e32 v[118:119], 0x80000000
	s_mov_b32 s9, exec_lo
	v_cmpx_ne_u16_e32 0x80, v1
	s_cbranch_execz .LBB222_337
; %bb.332:                              ;   in Loop: Header=BB222_10 Depth=1
	v_mov_b64_e32 v[118:119], 0x7f800001
	v_and_b32_e32 v2, 0x7f, v0
	s_mov_b32 s11, exec_lo
	s_delay_alu instid0(VALU_DEP_1)
	v_cmpx_ne_u32_e32 0x7f, v2
	s_cbranch_execz .LBB222_336
; %bb.333:                              ;   in Loop: Header=BB222_10 Depth=1
	v_dual_lshrrev_b32 v1, 3, v2 :: v_dual_bitop2_b32 v94, 7, v0 bitop3:0x40
	s_mov_b32 s16, exec_lo
	v_cmpx_gt_u32_e32 8, v2
; %bb.334:                              ;   in Loop: Header=BB222_10 Depth=1
	s_delay_alu instid0(VALU_DEP_2) | instskip(NEXT) | instid1(VALU_DEP_1)
	v_clz_i32_u32_e32 v1, v94
	v_min_u32_e32 v1, 32, v1
	s_delay_alu instid0(VALU_DEP_1) | instskip(NEXT) | instid1(VALU_DEP_1)
	v_subrev_nc_u32_e32 v2, 28, v1
	v_lshlrev_b64_e32 v[2:3], v2, v[94:95]
	s_delay_alu instid0(VALU_DEP_1)
	v_dual_sub_nc_u32 v1, 29, v1 :: v_dual_bitop2_b32 v94, 7, v2 bitop3:0x40
; %bb.335:                              ;   in Loop: Header=BB222_10 Depth=1
	s_or_b32 exec_lo, exec_lo, s16
	s_delay_alu instid0(VALU_DEP_1) | instskip(NEXT) | instid1(VALU_DEP_2)
	v_dual_lshlrev_b32 v2, 24, v0 :: v_dual_lshlrev_b32 v3, 20, v94
	v_lshl_add_u32 v1, v1, 23, 0x3c000000
	s_delay_alu instid0(VALU_DEP_2) | instskip(NEXT) | instid1(VALU_DEP_1)
	v_and_b32_e32 v2, 0x80000000, v2
	v_or3_b32 v94, v3, v2, v1
	s_delay_alu instid0(VALU_DEP_1)
	v_mov_b64_e32 v[118:119], v[94:95]
.LBB222_336:                            ;   in Loop: Header=BB222_10 Depth=1
	s_or_b32 exec_lo, exec_lo, s11
.LBB222_337:                            ;   in Loop: Header=BB222_10 Depth=1
	s_delay_alu instid0(SALU_CYCLE_1)
	s_or_b32 exec_lo, exec_lo, s9
.LBB222_338:                            ;   in Loop: Header=BB222_10 Depth=1
	s_delay_alu instid0(SALU_CYCLE_1) | instskip(SKIP_2) | instid1(VALU_DEP_1)
	s_or_b32 exec_lo, exec_lo, s8
	v_lshrrev_b16 v1, 8, v0
	s_mov_b32 s8, exec_lo
	v_cmpx_ne_u16_e32 0, v1
	s_cbranch_execz .LBB222_346
; %bb.339:                              ;   in Loop: Header=BB222_10 Depth=1
	v_mov_b64_e32 v[116:117], 0x8000000000000000
	s_mov_b32 s9, exec_lo
	v_cmpx_ne_u16_e32 0x80, v1
	s_cbranch_execz .LBB222_345
; %bb.340:                              ;   in Loop: Header=BB222_10 Depth=1
	v_and_b32_e32 v1, 0xffff, v1
	v_mov_b64_e32 v[116:117], 0x7f80000100000000
	s_mov_b32 s11, exec_lo
	s_delay_alu instid0(VALU_DEP_2) | instskip(NEXT) | instid1(VALU_DEP_1)
	v_and_b32_e32 v2, 0x7f, v1
	v_cmpx_ne_u32_e32 0x7f, v2
	s_cbranch_execz .LBB222_344
; %bb.341:                              ;   in Loop: Header=BB222_10 Depth=1
	v_dual_lshrrev_b32 v1, 3, v2 :: v_dual_bitop2_b32 v94, 7, v1 bitop3:0x40
	s_mov_b32 s16, exec_lo
	v_cmpx_gt_u32_e32 8, v2
; %bb.342:                              ;   in Loop: Header=BB222_10 Depth=1
	s_delay_alu instid0(VALU_DEP_2) | instskip(NEXT) | instid1(VALU_DEP_1)
	v_clz_i32_u32_e32 v1, v94
	v_min_u32_e32 v1, 32, v1
	s_delay_alu instid0(VALU_DEP_1) | instskip(NEXT) | instid1(VALU_DEP_1)
	v_subrev_nc_u32_e32 v2, 28, v1
	v_lshlrev_b64_e32 v[2:3], v2, v[94:95]
	s_delay_alu instid0(VALU_DEP_1)
	v_dual_sub_nc_u32 v1, 29, v1 :: v_dual_bitop2_b32 v94, 7, v2 bitop3:0x40
; %bb.343:                              ;   in Loop: Header=BB222_10 Depth=1
	s_or_b32 exec_lo, exec_lo, s16
	s_delay_alu instid0(VALU_DEP_1) | instskip(NEXT) | instid1(VALU_DEP_2)
	v_dual_lshlrev_b32 v2, 16, v0 :: v_dual_lshlrev_b32 v3, 20, v94
	v_lshl_add_u32 v1, v1, 23, 0x3c000000
	v_mov_b32_e32 v116, v95
	s_delay_alu instid0(VALU_DEP_3) | instskip(NEXT) | instid1(VALU_DEP_1)
	v_and_b32_e32 v2, 0x80000000, v2
	v_or3_b32 v117, v3, v2, v1
.LBB222_344:                            ;   in Loop: Header=BB222_10 Depth=1
	s_or_b32 exec_lo, exec_lo, s11
.LBB222_345:                            ;   in Loop: Header=BB222_10 Depth=1
	s_delay_alu instid0(SALU_CYCLE_1)
	s_or_b32 exec_lo, exec_lo, s9
.LBB222_346:                            ;   in Loop: Header=BB222_10 Depth=1
	s_delay_alu instid0(SALU_CYCLE_1) | instskip(SKIP_4) | instid1(VALU_DEP_3)
	s_or_b32 exec_lo, exec_lo, s8
	v_lshrrev_b32_e32 v1, 16, v0
	v_mov_b64_e32 v[40:41], 0
	v_mov_b64_e32 v[42:43], 0
	s_mov_b32 s8, exec_lo
	v_and_b32_e32 v2, 0xff, v1
	s_delay_alu instid0(VALU_DEP_1)
	v_cmpx_ne_u16_e32 0, v2
	s_cbranch_execz .LBB222_354
; %bb.347:                              ;   in Loop: Header=BB222_10 Depth=1
	v_mov_b64_e32 v[42:43], 0x80000000
	s_mov_b32 s9, exec_lo
	v_cmpx_ne_u16_e32 0x80, v2
	s_cbranch_execz .LBB222_353
; %bb.348:                              ;   in Loop: Header=BB222_10 Depth=1
	v_mov_b64_e32 v[42:43], 0x7f800001
	v_bfe_u32 v3, v0, 16, 7
	s_mov_b32 s11, exec_lo
	s_delay_alu instid0(VALU_DEP_1)
	v_cmpx_ne_u32_e32 0x7f, v3
	s_cbranch_execz .LBB222_352
; %bb.349:                              ;   in Loop: Header=BB222_10 Depth=1
	v_dual_lshrrev_b32 v2, 3, v3 :: v_dual_bitop2_b32 v94, 7, v1 bitop3:0x40
	s_mov_b32 s16, exec_lo
	v_cmpx_gt_u32_e32 8, v3
; %bb.350:                              ;   in Loop: Header=BB222_10 Depth=1
	s_delay_alu instid0(VALU_DEP_2) | instskip(NEXT) | instid1(VALU_DEP_1)
	v_clz_i32_u32_e32 v2, v94
	v_min_u32_e32 v2, 32, v2
	s_delay_alu instid0(VALU_DEP_1) | instskip(NEXT) | instid1(VALU_DEP_1)
	v_subrev_nc_u32_e32 v3, 28, v2
	v_lshlrev_b64_e32 v[4:5], v3, v[94:95]
	s_delay_alu instid0(VALU_DEP_1)
	v_dual_sub_nc_u32 v2, 29, v2 :: v_dual_bitop2_b32 v94, 7, v4 bitop3:0x40
; %bb.351:                              ;   in Loop: Header=BB222_10 Depth=1
	s_or_b32 exec_lo, exec_lo, s16
	s_delay_alu instid0(VALU_DEP_1) | instskip(NEXT) | instid1(VALU_DEP_2)
	v_dual_lshlrev_b32 v1, 24, v1 :: v_dual_lshlrev_b32 v3, 20, v94
	v_lshl_add_u32 v2, v2, 23, 0x3c000000
	s_delay_alu instid0(VALU_DEP_2) | instskip(NEXT) | instid1(VALU_DEP_1)
	v_and_b32_e32 v1, 0x80000000, v1
	v_or3_b32 v94, v3, v1, v2
	s_delay_alu instid0(VALU_DEP_1)
	v_mov_b64_e32 v[42:43], v[94:95]
.LBB222_352:                            ;   in Loop: Header=BB222_10 Depth=1
	s_or_b32 exec_lo, exec_lo, s11
.LBB222_353:                            ;   in Loop: Header=BB222_10 Depth=1
	s_delay_alu instid0(SALU_CYCLE_1)
	s_or_b32 exec_lo, exec_lo, s9
.LBB222_354:                            ;   in Loop: Header=BB222_10 Depth=1
	s_delay_alu instid0(SALU_CYCLE_1) | instskip(NEXT) | instid1(SALU_CYCLE_1)
	s_or_b32 exec_lo, exec_lo, s8
	s_mov_b32 s8, exec_lo
	v_cmpx_lt_u32_e32 0xffffff, v0
	s_cbranch_execz .LBB222_362
; %bb.355:                              ;   in Loop: Header=BB222_10 Depth=1
	v_mov_b64_e32 v[40:41], 0x8000000000000000
	v_lshrrev_b32_e32 v1, 24, v0
	s_mov_b32 s9, exec_lo
	s_delay_alu instid0(VALU_DEP_1)
	v_cmpx_ne_u32_e32 0x80, v1
	s_cbranch_execz .LBB222_361
; %bb.356:                              ;   in Loop: Header=BB222_10 Depth=1
	v_mov_b64_e32 v[40:41], 0x7f80000100000000
	v_bfe_u32 v2, v0, 24, 7
	s_mov_b32 s11, exec_lo
	s_delay_alu instid0(VALU_DEP_1)
	v_cmpx_ne_u32_e32 0x7f, v2
	s_cbranch_execz .LBB222_360
; %bb.357:                              ;   in Loop: Header=BB222_10 Depth=1
	v_dual_lshrrev_b32 v0, 3, v2 :: v_dual_bitop2_b32 v94, 7, v1 bitop3:0x40
	s_mov_b32 s16, exec_lo
	v_cmpx_gt_u32_e32 8, v2
; %bb.358:                              ;   in Loop: Header=BB222_10 Depth=1
	s_delay_alu instid0(VALU_DEP_2) | instskip(NEXT) | instid1(VALU_DEP_1)
	v_clz_i32_u32_e32 v0, v94
	v_min_u32_e32 v0, 32, v0
	s_delay_alu instid0(VALU_DEP_1) | instskip(NEXT) | instid1(VALU_DEP_1)
	v_subrev_nc_u32_e32 v2, 28, v0
	v_lshlrev_b64_e32 v[2:3], v2, v[94:95]
	s_delay_alu instid0(VALU_DEP_1)
	v_dual_sub_nc_u32 v0, 29, v0 :: v_dual_bitop2_b32 v94, 7, v2 bitop3:0x40
; %bb.359:                              ;   in Loop: Header=BB222_10 Depth=1
	s_or_b32 exec_lo, exec_lo, s16
	s_delay_alu instid0(VALU_DEP_1) | instskip(NEXT) | instid1(VALU_DEP_2)
	v_dual_lshlrev_b32 v1, 24, v1 :: v_dual_lshlrev_b32 v2, 20, v94
	v_lshl_add_u32 v0, v0, 23, 0x3c000000
	v_mov_b32_e32 v40, v95
	s_delay_alu instid0(VALU_DEP_3) | instskip(NEXT) | instid1(VALU_DEP_1)
	v_and_b32_e32 v1, 0x80000000, v1
	v_or3_b32 v41, v2, v1, v0
.LBB222_360:                            ;   in Loop: Header=BB222_10 Depth=1
	s_or_b32 exec_lo, exec_lo, s11
.LBB222_361:                            ;   in Loop: Header=BB222_10 Depth=1
	s_delay_alu instid0(SALU_CYCLE_1)
	s_or_b32 exec_lo, exec_lo, s9
.LBB222_362:                            ;   in Loop: Header=BB222_10 Depth=1
	s_delay_alu instid0(SALU_CYCLE_1)
	s_or_b32 exec_lo, exec_lo, s8
	flat_load_b32 v0, v[106:107] offset:1036
	v_mov_b64_e32 v[44:45], 0
	v_mov_b64_e32 v[46:47], 0
	s_mov_b32 s8, exec_lo
	s_wait_loadcnt_dscnt 0x0
	v_and_b32_e32 v1, 0xff, v0
	s_wait_xcnt 0x0
	s_delay_alu instid0(VALU_DEP_1)
	v_cmpx_ne_u16_e32 0, v1
	s_cbranch_execz .LBB222_370
; %bb.363:                              ;   in Loop: Header=BB222_10 Depth=1
	v_mov_b64_e32 v[46:47], 0x80000000
	s_mov_b32 s9, exec_lo
	v_cmpx_ne_u16_e32 0x80, v1
	s_cbranch_execz .LBB222_369
; %bb.364:                              ;   in Loop: Header=BB222_10 Depth=1
	v_mov_b64_e32 v[46:47], 0x7f800001
	v_and_b32_e32 v2, 0x7f, v0
	s_mov_b32 s11, exec_lo
	s_delay_alu instid0(VALU_DEP_1)
	v_cmpx_ne_u32_e32 0x7f, v2
	s_cbranch_execz .LBB222_368
; %bb.365:                              ;   in Loop: Header=BB222_10 Depth=1
	v_dual_lshrrev_b32 v1, 3, v2 :: v_dual_bitop2_b32 v94, 7, v0 bitop3:0x40
	s_mov_b32 s16, exec_lo
	v_cmpx_gt_u32_e32 8, v2
; %bb.366:                              ;   in Loop: Header=BB222_10 Depth=1
	s_delay_alu instid0(VALU_DEP_2) | instskip(NEXT) | instid1(VALU_DEP_1)
	v_clz_i32_u32_e32 v1, v94
	v_min_u32_e32 v1, 32, v1
	s_delay_alu instid0(VALU_DEP_1) | instskip(NEXT) | instid1(VALU_DEP_1)
	v_subrev_nc_u32_e32 v2, 28, v1
	v_lshlrev_b64_e32 v[2:3], v2, v[94:95]
	s_delay_alu instid0(VALU_DEP_1)
	v_dual_sub_nc_u32 v1, 29, v1 :: v_dual_bitop2_b32 v94, 7, v2 bitop3:0x40
; %bb.367:                              ;   in Loop: Header=BB222_10 Depth=1
	s_or_b32 exec_lo, exec_lo, s16
	s_delay_alu instid0(VALU_DEP_1) | instskip(NEXT) | instid1(VALU_DEP_2)
	v_dual_lshlrev_b32 v2, 24, v0 :: v_dual_lshlrev_b32 v3, 20, v94
	v_lshl_add_u32 v1, v1, 23, 0x3c000000
	s_delay_alu instid0(VALU_DEP_2) | instskip(NEXT) | instid1(VALU_DEP_1)
	v_and_b32_e32 v2, 0x80000000, v2
	v_or3_b32 v94, v3, v2, v1
	s_delay_alu instid0(VALU_DEP_1)
	v_mov_b64_e32 v[46:47], v[94:95]
.LBB222_368:                            ;   in Loop: Header=BB222_10 Depth=1
	s_or_b32 exec_lo, exec_lo, s11
.LBB222_369:                            ;   in Loop: Header=BB222_10 Depth=1
	s_delay_alu instid0(SALU_CYCLE_1)
	s_or_b32 exec_lo, exec_lo, s9
.LBB222_370:                            ;   in Loop: Header=BB222_10 Depth=1
	s_delay_alu instid0(SALU_CYCLE_1) | instskip(SKIP_2) | instid1(VALU_DEP_1)
	s_or_b32 exec_lo, exec_lo, s8
	v_lshrrev_b16 v1, 8, v0
	s_mov_b32 s8, exec_lo
	v_cmpx_ne_u16_e32 0, v1
	s_cbranch_execz .LBB222_378
; %bb.371:                              ;   in Loop: Header=BB222_10 Depth=1
	v_mov_b64_e32 v[44:45], 0x8000000000000000
	s_mov_b32 s9, exec_lo
	v_cmpx_ne_u16_e32 0x80, v1
	s_cbranch_execz .LBB222_377
; %bb.372:                              ;   in Loop: Header=BB222_10 Depth=1
	v_and_b32_e32 v1, 0xffff, v1
	v_mov_b64_e32 v[44:45], 0x7f80000100000000
	s_mov_b32 s11, exec_lo
	s_delay_alu instid0(VALU_DEP_2) | instskip(NEXT) | instid1(VALU_DEP_1)
	v_and_b32_e32 v2, 0x7f, v1
	v_cmpx_ne_u32_e32 0x7f, v2
	s_cbranch_execz .LBB222_376
; %bb.373:                              ;   in Loop: Header=BB222_10 Depth=1
	v_dual_lshrrev_b32 v1, 3, v2 :: v_dual_bitop2_b32 v94, 7, v1 bitop3:0x40
	s_mov_b32 s16, exec_lo
	v_cmpx_gt_u32_e32 8, v2
; %bb.374:                              ;   in Loop: Header=BB222_10 Depth=1
	s_delay_alu instid0(VALU_DEP_2) | instskip(NEXT) | instid1(VALU_DEP_1)
	v_clz_i32_u32_e32 v1, v94
	v_min_u32_e32 v1, 32, v1
	s_delay_alu instid0(VALU_DEP_1) | instskip(NEXT) | instid1(VALU_DEP_1)
	v_subrev_nc_u32_e32 v2, 28, v1
	v_lshlrev_b64_e32 v[2:3], v2, v[94:95]
	s_delay_alu instid0(VALU_DEP_1)
	v_dual_sub_nc_u32 v1, 29, v1 :: v_dual_bitop2_b32 v94, 7, v2 bitop3:0x40
; %bb.375:                              ;   in Loop: Header=BB222_10 Depth=1
	s_or_b32 exec_lo, exec_lo, s16
	s_delay_alu instid0(VALU_DEP_1) | instskip(NEXT) | instid1(VALU_DEP_2)
	v_dual_lshlrev_b32 v2, 16, v0 :: v_dual_lshlrev_b32 v3, 20, v94
	v_lshl_add_u32 v1, v1, 23, 0x3c000000
	v_mov_b32_e32 v44, v95
	s_delay_alu instid0(VALU_DEP_3) | instskip(NEXT) | instid1(VALU_DEP_1)
	v_and_b32_e32 v2, 0x80000000, v2
	v_or3_b32 v45, v3, v2, v1
.LBB222_376:                            ;   in Loop: Header=BB222_10 Depth=1
	s_or_b32 exec_lo, exec_lo, s11
.LBB222_377:                            ;   in Loop: Header=BB222_10 Depth=1
	s_delay_alu instid0(SALU_CYCLE_1)
	s_or_b32 exec_lo, exec_lo, s9
.LBB222_378:                            ;   in Loop: Header=BB222_10 Depth=1
	s_delay_alu instid0(SALU_CYCLE_1) | instskip(SKIP_4) | instid1(VALU_DEP_3)
	s_or_b32 exec_lo, exec_lo, s8
	v_lshrrev_b32_e32 v1, 16, v0
	v_mov_b64_e32 v[56:57], 0
	v_mov_b64_e32 v[58:59], 0
	s_mov_b32 s8, exec_lo
	v_and_b32_e32 v2, 0xff, v1
	s_delay_alu instid0(VALU_DEP_1)
	v_cmpx_ne_u16_e32 0, v2
	s_cbranch_execz .LBB222_386
; %bb.379:                              ;   in Loop: Header=BB222_10 Depth=1
	v_mov_b64_e32 v[58:59], 0x80000000
	s_mov_b32 s9, exec_lo
	v_cmpx_ne_u16_e32 0x80, v2
	s_cbranch_execz .LBB222_385
; %bb.380:                              ;   in Loop: Header=BB222_10 Depth=1
	v_mov_b64_e32 v[58:59], 0x7f800001
	v_bfe_u32 v3, v0, 16, 7
	s_mov_b32 s11, exec_lo
	s_delay_alu instid0(VALU_DEP_1)
	v_cmpx_ne_u32_e32 0x7f, v3
	s_cbranch_execz .LBB222_384
; %bb.381:                              ;   in Loop: Header=BB222_10 Depth=1
	v_dual_lshrrev_b32 v2, 3, v3 :: v_dual_bitop2_b32 v94, 7, v1 bitop3:0x40
	s_mov_b32 s16, exec_lo
	v_cmpx_gt_u32_e32 8, v3
; %bb.382:                              ;   in Loop: Header=BB222_10 Depth=1
	s_delay_alu instid0(VALU_DEP_2) | instskip(NEXT) | instid1(VALU_DEP_1)
	v_clz_i32_u32_e32 v2, v94
	v_min_u32_e32 v2, 32, v2
	s_delay_alu instid0(VALU_DEP_1) | instskip(NEXT) | instid1(VALU_DEP_1)
	v_subrev_nc_u32_e32 v3, 28, v2
	v_lshlrev_b64_e32 v[4:5], v3, v[94:95]
	s_delay_alu instid0(VALU_DEP_1)
	v_dual_sub_nc_u32 v2, 29, v2 :: v_dual_bitop2_b32 v94, 7, v4 bitop3:0x40
; %bb.383:                              ;   in Loop: Header=BB222_10 Depth=1
	s_or_b32 exec_lo, exec_lo, s16
	s_delay_alu instid0(VALU_DEP_1) | instskip(NEXT) | instid1(VALU_DEP_2)
	v_dual_lshlrev_b32 v1, 24, v1 :: v_dual_lshlrev_b32 v3, 20, v94
	v_lshl_add_u32 v2, v2, 23, 0x3c000000
	s_delay_alu instid0(VALU_DEP_2) | instskip(NEXT) | instid1(VALU_DEP_1)
	v_and_b32_e32 v1, 0x80000000, v1
	v_or3_b32 v94, v3, v1, v2
	s_delay_alu instid0(VALU_DEP_1)
	v_mov_b64_e32 v[58:59], v[94:95]
.LBB222_384:                            ;   in Loop: Header=BB222_10 Depth=1
	s_or_b32 exec_lo, exec_lo, s11
.LBB222_385:                            ;   in Loop: Header=BB222_10 Depth=1
	s_delay_alu instid0(SALU_CYCLE_1)
	s_or_b32 exec_lo, exec_lo, s9
.LBB222_386:                            ;   in Loop: Header=BB222_10 Depth=1
	s_delay_alu instid0(SALU_CYCLE_1) | instskip(NEXT) | instid1(SALU_CYCLE_1)
	s_or_b32 exec_lo, exec_lo, s8
	s_mov_b32 s8, exec_lo
	v_cmpx_lt_u32_e32 0xffffff, v0
	s_cbranch_execz .LBB222_394
; %bb.387:                              ;   in Loop: Header=BB222_10 Depth=1
	v_mov_b64_e32 v[56:57], 0x8000000000000000
	v_lshrrev_b32_e32 v1, 24, v0
	s_mov_b32 s9, exec_lo
	s_delay_alu instid0(VALU_DEP_1)
	v_cmpx_ne_u32_e32 0x80, v1
	s_cbranch_execz .LBB222_393
; %bb.388:                              ;   in Loop: Header=BB222_10 Depth=1
	v_mov_b64_e32 v[56:57], 0x7f80000100000000
	v_bfe_u32 v2, v0, 24, 7
	s_mov_b32 s11, exec_lo
	s_delay_alu instid0(VALU_DEP_1)
	v_cmpx_ne_u32_e32 0x7f, v2
	s_cbranch_execz .LBB222_392
; %bb.389:                              ;   in Loop: Header=BB222_10 Depth=1
	v_dual_lshrrev_b32 v0, 3, v2 :: v_dual_bitop2_b32 v94, 7, v1 bitop3:0x40
	s_mov_b32 s16, exec_lo
	v_cmpx_gt_u32_e32 8, v2
; %bb.390:                              ;   in Loop: Header=BB222_10 Depth=1
	s_delay_alu instid0(VALU_DEP_2) | instskip(NEXT) | instid1(VALU_DEP_1)
	v_clz_i32_u32_e32 v0, v94
	v_min_u32_e32 v0, 32, v0
	s_delay_alu instid0(VALU_DEP_1) | instskip(NEXT) | instid1(VALU_DEP_1)
	v_subrev_nc_u32_e32 v2, 28, v0
	v_lshlrev_b64_e32 v[2:3], v2, v[94:95]
	s_delay_alu instid0(VALU_DEP_1)
	v_dual_sub_nc_u32 v0, 29, v0 :: v_dual_bitop2_b32 v94, 7, v2 bitop3:0x40
; %bb.391:                              ;   in Loop: Header=BB222_10 Depth=1
	s_or_b32 exec_lo, exec_lo, s16
	s_delay_alu instid0(VALU_DEP_1) | instskip(NEXT) | instid1(VALU_DEP_2)
	v_dual_lshlrev_b32 v1, 24, v1 :: v_dual_lshlrev_b32 v2, 20, v94
	v_lshl_add_u32 v0, v0, 23, 0x3c000000
	v_mov_b32_e32 v56, v95
	s_delay_alu instid0(VALU_DEP_3) | instskip(NEXT) | instid1(VALU_DEP_1)
	v_and_b32_e32 v1, 0x80000000, v1
	v_or3_b32 v57, v2, v1, v0
.LBB222_392:                            ;   in Loop: Header=BB222_10 Depth=1
	s_or_b32 exec_lo, exec_lo, s11
.LBB222_393:                            ;   in Loop: Header=BB222_10 Depth=1
	s_delay_alu instid0(SALU_CYCLE_1)
	s_or_b32 exec_lo, exec_lo, s9
.LBB222_394:                            ;   in Loop: Header=BB222_10 Depth=1
	s_delay_alu instid0(SALU_CYCLE_1)
	s_or_b32 exec_lo, exec_lo, s8
	flat_load_b32 v0, v[106:107] offset:1536
	v_mov_b64_e32 v[60:61], 0
	v_mov_b64_e32 v[62:63], 0
	s_mov_b32 s8, exec_lo
	s_wait_loadcnt_dscnt 0x0
	v_and_b32_e32 v1, 0xff, v0
	s_wait_xcnt 0x0
	s_delay_alu instid0(VALU_DEP_1)
	v_cmpx_ne_u16_e32 0, v1
	s_cbranch_execz .LBB222_402
; %bb.395:                              ;   in Loop: Header=BB222_10 Depth=1
	v_mov_b64_e32 v[62:63], 0x80000000
	s_mov_b32 s9, exec_lo
	v_cmpx_ne_u16_e32 0x80, v1
	s_cbranch_execz .LBB222_401
; %bb.396:                              ;   in Loop: Header=BB222_10 Depth=1
	v_mov_b64_e32 v[62:63], 0x7f800001
	v_and_b32_e32 v2, 0x7f, v0
	s_mov_b32 s11, exec_lo
	s_delay_alu instid0(VALU_DEP_1)
	v_cmpx_ne_u32_e32 0x7f, v2
	s_cbranch_execz .LBB222_400
; %bb.397:                              ;   in Loop: Header=BB222_10 Depth=1
	v_dual_lshrrev_b32 v1, 3, v2 :: v_dual_bitop2_b32 v94, 7, v0 bitop3:0x40
	s_mov_b32 s16, exec_lo
	v_cmpx_gt_u32_e32 8, v2
; %bb.398:                              ;   in Loop: Header=BB222_10 Depth=1
	s_delay_alu instid0(VALU_DEP_2) | instskip(NEXT) | instid1(VALU_DEP_1)
	v_clz_i32_u32_e32 v1, v94
	v_min_u32_e32 v1, 32, v1
	s_delay_alu instid0(VALU_DEP_1) | instskip(NEXT) | instid1(VALU_DEP_1)
	v_subrev_nc_u32_e32 v2, 28, v1
	v_lshlrev_b64_e32 v[2:3], v2, v[94:95]
	s_delay_alu instid0(VALU_DEP_1)
	v_dual_sub_nc_u32 v1, 29, v1 :: v_dual_bitop2_b32 v94, 7, v2 bitop3:0x40
; %bb.399:                              ;   in Loop: Header=BB222_10 Depth=1
	s_or_b32 exec_lo, exec_lo, s16
	s_delay_alu instid0(VALU_DEP_1) | instskip(NEXT) | instid1(VALU_DEP_2)
	v_dual_lshlrev_b32 v2, 24, v0 :: v_dual_lshlrev_b32 v3, 20, v94
	v_lshl_add_u32 v1, v1, 23, 0x3c000000
	s_delay_alu instid0(VALU_DEP_2) | instskip(NEXT) | instid1(VALU_DEP_1)
	v_and_b32_e32 v2, 0x80000000, v2
	v_or3_b32 v94, v3, v2, v1
	s_delay_alu instid0(VALU_DEP_1)
	v_mov_b64_e32 v[62:63], v[94:95]
.LBB222_400:                            ;   in Loop: Header=BB222_10 Depth=1
	s_or_b32 exec_lo, exec_lo, s11
.LBB222_401:                            ;   in Loop: Header=BB222_10 Depth=1
	s_delay_alu instid0(SALU_CYCLE_1)
	s_or_b32 exec_lo, exec_lo, s9
.LBB222_402:                            ;   in Loop: Header=BB222_10 Depth=1
	s_delay_alu instid0(SALU_CYCLE_1) | instskip(SKIP_2) | instid1(VALU_DEP_1)
	s_or_b32 exec_lo, exec_lo, s8
	v_lshrrev_b16 v1, 8, v0
	s_mov_b32 s8, exec_lo
	v_cmpx_ne_u16_e32 0, v1
	s_cbranch_execz .LBB222_410
; %bb.403:                              ;   in Loop: Header=BB222_10 Depth=1
	v_mov_b64_e32 v[60:61], 0x8000000000000000
	s_mov_b32 s9, exec_lo
	v_cmpx_ne_u16_e32 0x80, v1
	s_cbranch_execz .LBB222_409
; %bb.404:                              ;   in Loop: Header=BB222_10 Depth=1
	v_and_b32_e32 v1, 0xffff, v1
	v_mov_b64_e32 v[60:61], 0x7f80000100000000
	s_mov_b32 s11, exec_lo
	s_delay_alu instid0(VALU_DEP_2) | instskip(NEXT) | instid1(VALU_DEP_1)
	v_and_b32_e32 v2, 0x7f, v1
	v_cmpx_ne_u32_e32 0x7f, v2
	s_cbranch_execz .LBB222_408
; %bb.405:                              ;   in Loop: Header=BB222_10 Depth=1
	v_dual_lshrrev_b32 v1, 3, v2 :: v_dual_bitop2_b32 v94, 7, v1 bitop3:0x40
	s_mov_b32 s16, exec_lo
	v_cmpx_gt_u32_e32 8, v2
; %bb.406:                              ;   in Loop: Header=BB222_10 Depth=1
	s_delay_alu instid0(VALU_DEP_2) | instskip(NEXT) | instid1(VALU_DEP_1)
	v_clz_i32_u32_e32 v1, v94
	v_min_u32_e32 v1, 32, v1
	s_delay_alu instid0(VALU_DEP_1) | instskip(NEXT) | instid1(VALU_DEP_1)
	v_subrev_nc_u32_e32 v2, 28, v1
	v_lshlrev_b64_e32 v[2:3], v2, v[94:95]
	s_delay_alu instid0(VALU_DEP_1)
	v_dual_sub_nc_u32 v1, 29, v1 :: v_dual_bitop2_b32 v94, 7, v2 bitop3:0x40
; %bb.407:                              ;   in Loop: Header=BB222_10 Depth=1
	s_or_b32 exec_lo, exec_lo, s16
	s_delay_alu instid0(VALU_DEP_1) | instskip(NEXT) | instid1(VALU_DEP_2)
	v_dual_lshlrev_b32 v2, 16, v0 :: v_dual_lshlrev_b32 v3, 20, v94
	v_lshl_add_u32 v1, v1, 23, 0x3c000000
	v_mov_b32_e32 v60, v95
	s_delay_alu instid0(VALU_DEP_3) | instskip(NEXT) | instid1(VALU_DEP_1)
	v_and_b32_e32 v2, 0x80000000, v2
	v_or3_b32 v61, v3, v2, v1
.LBB222_408:                            ;   in Loop: Header=BB222_10 Depth=1
	s_or_b32 exec_lo, exec_lo, s11
.LBB222_409:                            ;   in Loop: Header=BB222_10 Depth=1
	s_delay_alu instid0(SALU_CYCLE_1)
	s_or_b32 exec_lo, exec_lo, s9
.LBB222_410:                            ;   in Loop: Header=BB222_10 Depth=1
	s_delay_alu instid0(SALU_CYCLE_1) | instskip(SKIP_4) | instid1(VALU_DEP_3)
	s_or_b32 exec_lo, exec_lo, s8
	v_lshrrev_b32_e32 v1, 16, v0
	v_mov_b64_e32 v[72:73], 0
	v_mov_b64_e32 v[74:75], 0
	s_mov_b32 s8, exec_lo
	v_and_b32_e32 v2, 0xff, v1
	s_delay_alu instid0(VALU_DEP_1)
	v_cmpx_ne_u16_e32 0, v2
	s_cbranch_execz .LBB222_418
; %bb.411:                              ;   in Loop: Header=BB222_10 Depth=1
	v_mov_b64_e32 v[74:75], 0x80000000
	s_mov_b32 s9, exec_lo
	v_cmpx_ne_u16_e32 0x80, v2
	s_cbranch_execz .LBB222_417
; %bb.412:                              ;   in Loop: Header=BB222_10 Depth=1
	v_mov_b64_e32 v[74:75], 0x7f800001
	v_bfe_u32 v3, v0, 16, 7
	s_mov_b32 s11, exec_lo
	s_delay_alu instid0(VALU_DEP_1)
	v_cmpx_ne_u32_e32 0x7f, v3
	s_cbranch_execz .LBB222_416
; %bb.413:                              ;   in Loop: Header=BB222_10 Depth=1
	v_dual_lshrrev_b32 v2, 3, v3 :: v_dual_bitop2_b32 v94, 7, v1 bitop3:0x40
	s_mov_b32 s16, exec_lo
	v_cmpx_gt_u32_e32 8, v3
; %bb.414:                              ;   in Loop: Header=BB222_10 Depth=1
	s_delay_alu instid0(VALU_DEP_2) | instskip(NEXT) | instid1(VALU_DEP_1)
	v_clz_i32_u32_e32 v2, v94
	v_min_u32_e32 v2, 32, v2
	s_delay_alu instid0(VALU_DEP_1) | instskip(NEXT) | instid1(VALU_DEP_1)
	v_subrev_nc_u32_e32 v3, 28, v2
	v_lshlrev_b64_e32 v[4:5], v3, v[94:95]
	s_delay_alu instid0(VALU_DEP_1)
	v_dual_sub_nc_u32 v2, 29, v2 :: v_dual_bitop2_b32 v94, 7, v4 bitop3:0x40
; %bb.415:                              ;   in Loop: Header=BB222_10 Depth=1
	s_or_b32 exec_lo, exec_lo, s16
	s_delay_alu instid0(VALU_DEP_1) | instskip(NEXT) | instid1(VALU_DEP_2)
	v_dual_lshlrev_b32 v1, 24, v1 :: v_dual_lshlrev_b32 v3, 20, v94
	v_lshl_add_u32 v2, v2, 23, 0x3c000000
	s_delay_alu instid0(VALU_DEP_2) | instskip(NEXT) | instid1(VALU_DEP_1)
	v_and_b32_e32 v1, 0x80000000, v1
	v_or3_b32 v94, v3, v1, v2
	s_delay_alu instid0(VALU_DEP_1)
	v_mov_b64_e32 v[74:75], v[94:95]
.LBB222_416:                            ;   in Loop: Header=BB222_10 Depth=1
	s_or_b32 exec_lo, exec_lo, s11
.LBB222_417:                            ;   in Loop: Header=BB222_10 Depth=1
	s_delay_alu instid0(SALU_CYCLE_1)
	s_or_b32 exec_lo, exec_lo, s9
.LBB222_418:                            ;   in Loop: Header=BB222_10 Depth=1
	s_delay_alu instid0(SALU_CYCLE_1) | instskip(NEXT) | instid1(SALU_CYCLE_1)
	s_or_b32 exec_lo, exec_lo, s8
	s_mov_b32 s8, exec_lo
	v_cmpx_lt_u32_e32 0xffffff, v0
	s_cbranch_execz .LBB222_426
; %bb.419:                              ;   in Loop: Header=BB222_10 Depth=1
	v_mov_b64_e32 v[72:73], 0x8000000000000000
	v_lshrrev_b32_e32 v1, 24, v0
	s_mov_b32 s9, exec_lo
	s_delay_alu instid0(VALU_DEP_1)
	v_cmpx_ne_u32_e32 0x80, v1
	s_cbranch_execz .LBB222_425
; %bb.420:                              ;   in Loop: Header=BB222_10 Depth=1
	v_mov_b64_e32 v[72:73], 0x7f80000100000000
	v_bfe_u32 v2, v0, 24, 7
	s_mov_b32 s11, exec_lo
	s_delay_alu instid0(VALU_DEP_1)
	v_cmpx_ne_u32_e32 0x7f, v2
	s_cbranch_execz .LBB222_424
; %bb.421:                              ;   in Loop: Header=BB222_10 Depth=1
	v_dual_lshrrev_b32 v0, 3, v2 :: v_dual_bitop2_b32 v94, 7, v1 bitop3:0x40
	s_mov_b32 s16, exec_lo
	v_cmpx_gt_u32_e32 8, v2
; %bb.422:                              ;   in Loop: Header=BB222_10 Depth=1
	s_delay_alu instid0(VALU_DEP_2) | instskip(NEXT) | instid1(VALU_DEP_1)
	v_clz_i32_u32_e32 v0, v94
	v_min_u32_e32 v0, 32, v0
	s_delay_alu instid0(VALU_DEP_1) | instskip(NEXT) | instid1(VALU_DEP_1)
	v_subrev_nc_u32_e32 v2, 28, v0
	v_lshlrev_b64_e32 v[2:3], v2, v[94:95]
	s_delay_alu instid0(VALU_DEP_1)
	v_dual_sub_nc_u32 v0, 29, v0 :: v_dual_bitop2_b32 v94, 7, v2 bitop3:0x40
; %bb.423:                              ;   in Loop: Header=BB222_10 Depth=1
	s_or_b32 exec_lo, exec_lo, s16
	s_delay_alu instid0(VALU_DEP_1) | instskip(NEXT) | instid1(VALU_DEP_2)
	v_dual_lshlrev_b32 v1, 24, v1 :: v_dual_lshlrev_b32 v2, 20, v94
	v_lshl_add_u32 v0, v0, 23, 0x3c000000
	v_mov_b32_e32 v72, v95
	s_delay_alu instid0(VALU_DEP_3) | instskip(NEXT) | instid1(VALU_DEP_1)
	v_and_b32_e32 v1, 0x80000000, v1
	v_or3_b32 v73, v2, v1, v0
.LBB222_424:                            ;   in Loop: Header=BB222_10 Depth=1
	s_or_b32 exec_lo, exec_lo, s11
.LBB222_425:                            ;   in Loop: Header=BB222_10 Depth=1
	s_delay_alu instid0(SALU_CYCLE_1)
	s_or_b32 exec_lo, exec_lo, s9
.LBB222_426:                            ;   in Loop: Header=BB222_10 Depth=1
	s_delay_alu instid0(SALU_CYCLE_1)
	s_or_b32 exec_lo, exec_lo, s8
	flat_load_b32 v0, v[106:107] offset:1540
	v_mov_b64_e32 v[76:77], 0
	v_mov_b64_e32 v[78:79], 0
	s_mov_b32 s8, exec_lo
	s_wait_loadcnt_dscnt 0x0
	v_and_b32_e32 v1, 0xff, v0
	s_wait_xcnt 0x0
	s_delay_alu instid0(VALU_DEP_1)
	v_cmpx_ne_u16_e32 0, v1
	s_cbranch_execz .LBB222_434
; %bb.427:                              ;   in Loop: Header=BB222_10 Depth=1
	v_mov_b64_e32 v[78:79], 0x80000000
	s_mov_b32 s9, exec_lo
	v_cmpx_ne_u16_e32 0x80, v1
	s_cbranch_execz .LBB222_433
; %bb.428:                              ;   in Loop: Header=BB222_10 Depth=1
	v_mov_b64_e32 v[78:79], 0x7f800001
	v_and_b32_e32 v2, 0x7f, v0
	s_mov_b32 s11, exec_lo
	s_delay_alu instid0(VALU_DEP_1)
	v_cmpx_ne_u32_e32 0x7f, v2
	s_cbranch_execz .LBB222_432
; %bb.429:                              ;   in Loop: Header=BB222_10 Depth=1
	v_dual_lshrrev_b32 v1, 3, v2 :: v_dual_bitop2_b32 v94, 7, v0 bitop3:0x40
	s_mov_b32 s16, exec_lo
	v_cmpx_gt_u32_e32 8, v2
; %bb.430:                              ;   in Loop: Header=BB222_10 Depth=1
	s_delay_alu instid0(VALU_DEP_2) | instskip(NEXT) | instid1(VALU_DEP_1)
	v_clz_i32_u32_e32 v1, v94
	v_min_u32_e32 v1, 32, v1
	s_delay_alu instid0(VALU_DEP_1) | instskip(NEXT) | instid1(VALU_DEP_1)
	v_subrev_nc_u32_e32 v2, 28, v1
	v_lshlrev_b64_e32 v[2:3], v2, v[94:95]
	s_delay_alu instid0(VALU_DEP_1)
	v_dual_sub_nc_u32 v1, 29, v1 :: v_dual_bitop2_b32 v94, 7, v2 bitop3:0x40
; %bb.431:                              ;   in Loop: Header=BB222_10 Depth=1
	s_or_b32 exec_lo, exec_lo, s16
	s_delay_alu instid0(VALU_DEP_1) | instskip(NEXT) | instid1(VALU_DEP_2)
	v_dual_lshlrev_b32 v2, 24, v0 :: v_dual_lshlrev_b32 v3, 20, v94
	v_lshl_add_u32 v1, v1, 23, 0x3c000000
	s_delay_alu instid0(VALU_DEP_2) | instskip(NEXT) | instid1(VALU_DEP_1)
	v_and_b32_e32 v2, 0x80000000, v2
	v_or3_b32 v94, v3, v2, v1
	s_delay_alu instid0(VALU_DEP_1)
	v_mov_b64_e32 v[78:79], v[94:95]
.LBB222_432:                            ;   in Loop: Header=BB222_10 Depth=1
	s_or_b32 exec_lo, exec_lo, s11
.LBB222_433:                            ;   in Loop: Header=BB222_10 Depth=1
	s_delay_alu instid0(SALU_CYCLE_1)
	s_or_b32 exec_lo, exec_lo, s9
.LBB222_434:                            ;   in Loop: Header=BB222_10 Depth=1
	s_delay_alu instid0(SALU_CYCLE_1) | instskip(SKIP_2) | instid1(VALU_DEP_1)
	s_or_b32 exec_lo, exec_lo, s8
	v_lshrrev_b16 v1, 8, v0
	s_mov_b32 s8, exec_lo
	v_cmpx_ne_u16_e32 0, v1
	s_cbranch_execz .LBB222_442
; %bb.435:                              ;   in Loop: Header=BB222_10 Depth=1
	v_mov_b64_e32 v[76:77], 0x8000000000000000
	s_mov_b32 s9, exec_lo
	v_cmpx_ne_u16_e32 0x80, v1
	s_cbranch_execz .LBB222_441
; %bb.436:                              ;   in Loop: Header=BB222_10 Depth=1
	v_and_b32_e32 v1, 0xffff, v1
	v_mov_b64_e32 v[76:77], 0x7f80000100000000
	s_mov_b32 s11, exec_lo
	s_delay_alu instid0(VALU_DEP_2) | instskip(NEXT) | instid1(VALU_DEP_1)
	v_and_b32_e32 v2, 0x7f, v1
	v_cmpx_ne_u32_e32 0x7f, v2
	s_cbranch_execz .LBB222_440
; %bb.437:                              ;   in Loop: Header=BB222_10 Depth=1
	v_dual_lshrrev_b32 v1, 3, v2 :: v_dual_bitop2_b32 v94, 7, v1 bitop3:0x40
	s_mov_b32 s16, exec_lo
	v_cmpx_gt_u32_e32 8, v2
; %bb.438:                              ;   in Loop: Header=BB222_10 Depth=1
	s_delay_alu instid0(VALU_DEP_2) | instskip(NEXT) | instid1(VALU_DEP_1)
	v_clz_i32_u32_e32 v1, v94
	v_min_u32_e32 v1, 32, v1
	s_delay_alu instid0(VALU_DEP_1) | instskip(NEXT) | instid1(VALU_DEP_1)
	v_subrev_nc_u32_e32 v2, 28, v1
	v_lshlrev_b64_e32 v[2:3], v2, v[94:95]
	s_delay_alu instid0(VALU_DEP_1)
	v_dual_sub_nc_u32 v1, 29, v1 :: v_dual_bitop2_b32 v94, 7, v2 bitop3:0x40
; %bb.439:                              ;   in Loop: Header=BB222_10 Depth=1
	s_or_b32 exec_lo, exec_lo, s16
	s_delay_alu instid0(VALU_DEP_1) | instskip(NEXT) | instid1(VALU_DEP_2)
	v_dual_lshlrev_b32 v2, 16, v0 :: v_dual_lshlrev_b32 v3, 20, v94
	v_lshl_add_u32 v1, v1, 23, 0x3c000000
	v_mov_b32_e32 v76, v95
	s_delay_alu instid0(VALU_DEP_3) | instskip(NEXT) | instid1(VALU_DEP_1)
	v_and_b32_e32 v2, 0x80000000, v2
	v_or3_b32 v77, v3, v2, v1
.LBB222_440:                            ;   in Loop: Header=BB222_10 Depth=1
	s_or_b32 exec_lo, exec_lo, s11
.LBB222_441:                            ;   in Loop: Header=BB222_10 Depth=1
	s_delay_alu instid0(SALU_CYCLE_1)
	s_or_b32 exec_lo, exec_lo, s9
.LBB222_442:                            ;   in Loop: Header=BB222_10 Depth=1
	s_delay_alu instid0(SALU_CYCLE_1) | instskip(SKIP_4) | instid1(VALU_DEP_3)
	s_or_b32 exec_lo, exec_lo, s8
	v_lshrrev_b32_e32 v1, 16, v0
	v_mov_b64_e32 v[88:89], 0
	v_mov_b64_e32 v[90:91], 0
	s_mov_b32 s8, exec_lo
	v_and_b32_e32 v2, 0xff, v1
	s_delay_alu instid0(VALU_DEP_1)
	v_cmpx_ne_u16_e32 0, v2
	s_cbranch_execz .LBB222_450
; %bb.443:                              ;   in Loop: Header=BB222_10 Depth=1
	v_mov_b64_e32 v[90:91], 0x80000000
	s_mov_b32 s9, exec_lo
	v_cmpx_ne_u16_e32 0x80, v2
	s_cbranch_execz .LBB222_449
; %bb.444:                              ;   in Loop: Header=BB222_10 Depth=1
	v_mov_b64_e32 v[90:91], 0x7f800001
	v_bfe_u32 v3, v0, 16, 7
	s_mov_b32 s11, exec_lo
	s_delay_alu instid0(VALU_DEP_1)
	v_cmpx_ne_u32_e32 0x7f, v3
	s_cbranch_execz .LBB222_448
; %bb.445:                              ;   in Loop: Header=BB222_10 Depth=1
	v_dual_lshrrev_b32 v2, 3, v3 :: v_dual_bitop2_b32 v94, 7, v1 bitop3:0x40
	s_mov_b32 s16, exec_lo
	v_cmpx_gt_u32_e32 8, v3
; %bb.446:                              ;   in Loop: Header=BB222_10 Depth=1
	s_delay_alu instid0(VALU_DEP_2) | instskip(NEXT) | instid1(VALU_DEP_1)
	v_clz_i32_u32_e32 v2, v94
	v_min_u32_e32 v2, 32, v2
	s_delay_alu instid0(VALU_DEP_1) | instskip(NEXT) | instid1(VALU_DEP_1)
	v_subrev_nc_u32_e32 v3, 28, v2
	v_lshlrev_b64_e32 v[4:5], v3, v[94:95]
	s_delay_alu instid0(VALU_DEP_1)
	v_dual_sub_nc_u32 v2, 29, v2 :: v_dual_bitop2_b32 v94, 7, v4 bitop3:0x40
; %bb.447:                              ;   in Loop: Header=BB222_10 Depth=1
	s_or_b32 exec_lo, exec_lo, s16
	s_delay_alu instid0(VALU_DEP_1) | instskip(NEXT) | instid1(VALU_DEP_2)
	v_dual_lshlrev_b32 v1, 24, v1 :: v_dual_lshlrev_b32 v3, 20, v94
	v_lshl_add_u32 v2, v2, 23, 0x3c000000
	s_delay_alu instid0(VALU_DEP_2) | instskip(NEXT) | instid1(VALU_DEP_1)
	v_and_b32_e32 v1, 0x80000000, v1
	v_or3_b32 v94, v3, v1, v2
	s_delay_alu instid0(VALU_DEP_1)
	v_mov_b64_e32 v[90:91], v[94:95]
.LBB222_448:                            ;   in Loop: Header=BB222_10 Depth=1
	s_or_b32 exec_lo, exec_lo, s11
.LBB222_449:                            ;   in Loop: Header=BB222_10 Depth=1
	s_delay_alu instid0(SALU_CYCLE_1)
	s_or_b32 exec_lo, exec_lo, s9
.LBB222_450:                            ;   in Loop: Header=BB222_10 Depth=1
	s_delay_alu instid0(SALU_CYCLE_1) | instskip(NEXT) | instid1(SALU_CYCLE_1)
	s_or_b32 exec_lo, exec_lo, s8
	s_mov_b32 s8, exec_lo
	v_cmpx_lt_u32_e32 0xffffff, v0
	s_cbranch_execz .LBB222_458
; %bb.451:                              ;   in Loop: Header=BB222_10 Depth=1
	v_mov_b64_e32 v[88:89], 0x8000000000000000
	v_lshrrev_b32_e32 v1, 24, v0
	s_mov_b32 s9, exec_lo
	s_delay_alu instid0(VALU_DEP_1)
	v_cmpx_ne_u32_e32 0x80, v1
	s_cbranch_execz .LBB222_457
; %bb.452:                              ;   in Loop: Header=BB222_10 Depth=1
	v_mov_b64_e32 v[88:89], 0x7f80000100000000
	v_bfe_u32 v2, v0, 24, 7
	s_mov_b32 s11, exec_lo
	s_delay_alu instid0(VALU_DEP_1)
	v_cmpx_ne_u32_e32 0x7f, v2
	s_cbranch_execz .LBB222_456
; %bb.453:                              ;   in Loop: Header=BB222_10 Depth=1
	v_dual_lshrrev_b32 v0, 3, v2 :: v_dual_bitop2_b32 v94, 7, v1 bitop3:0x40
	s_mov_b32 s16, exec_lo
	v_cmpx_gt_u32_e32 8, v2
; %bb.454:                              ;   in Loop: Header=BB222_10 Depth=1
	s_delay_alu instid0(VALU_DEP_2) | instskip(NEXT) | instid1(VALU_DEP_1)
	v_clz_i32_u32_e32 v0, v94
	v_min_u32_e32 v0, 32, v0
	s_delay_alu instid0(VALU_DEP_1) | instskip(NEXT) | instid1(VALU_DEP_1)
	v_subrev_nc_u32_e32 v2, 28, v0
	v_lshlrev_b64_e32 v[2:3], v2, v[94:95]
	s_delay_alu instid0(VALU_DEP_1)
	v_dual_sub_nc_u32 v0, 29, v0 :: v_dual_bitop2_b32 v94, 7, v2 bitop3:0x40
; %bb.455:                              ;   in Loop: Header=BB222_10 Depth=1
	s_or_b32 exec_lo, exec_lo, s16
	s_delay_alu instid0(VALU_DEP_1) | instskip(NEXT) | instid1(VALU_DEP_2)
	v_dual_lshlrev_b32 v1, 24, v1 :: v_dual_lshlrev_b32 v2, 20, v94
	v_lshl_add_u32 v0, v0, 23, 0x3c000000
	v_mov_b32_e32 v88, v95
	s_delay_alu instid0(VALU_DEP_3) | instskip(NEXT) | instid1(VALU_DEP_1)
	v_and_b32_e32 v1, 0x80000000, v1
	v_or3_b32 v89, v2, v1, v0
.LBB222_456:                            ;   in Loop: Header=BB222_10 Depth=1
	s_or_b32 exec_lo, exec_lo, s11
.LBB222_457:                            ;   in Loop: Header=BB222_10 Depth=1
	s_delay_alu instid0(SALU_CYCLE_1)
	s_or_b32 exec_lo, exec_lo, s9
.LBB222_458:                            ;   in Loop: Header=BB222_10 Depth=1
	s_delay_alu instid0(SALU_CYCLE_1)
	s_or_b32 exec_lo, exec_lo, s8
	flat_load_b32 v0, v[106:107] offset:1544
	v_mov_b64_e32 v[92:93], 0
	v_mov_b64_e32 v[102:103], 0
	s_mov_b32 s8, exec_lo
	s_wait_loadcnt_dscnt 0x0
	v_and_b32_e32 v1, 0xff, v0
	s_wait_xcnt 0x0
	s_delay_alu instid0(VALU_DEP_1)
	v_cmpx_ne_u16_e32 0, v1
	s_cbranch_execz .LBB222_466
; %bb.459:                              ;   in Loop: Header=BB222_10 Depth=1
	v_mov_b64_e32 v[102:103], 0x80000000
	s_mov_b32 s9, exec_lo
	v_cmpx_ne_u16_e32 0x80, v1
	s_cbranch_execz .LBB222_465
; %bb.460:                              ;   in Loop: Header=BB222_10 Depth=1
	v_mov_b64_e32 v[102:103], 0x7f800001
	v_and_b32_e32 v2, 0x7f, v0
	s_mov_b32 s11, exec_lo
	s_delay_alu instid0(VALU_DEP_1)
	v_cmpx_ne_u32_e32 0x7f, v2
	s_cbranch_execz .LBB222_464
; %bb.461:                              ;   in Loop: Header=BB222_10 Depth=1
	v_dual_lshrrev_b32 v1, 3, v2 :: v_dual_bitop2_b32 v94, 7, v0 bitop3:0x40
	s_mov_b32 s16, exec_lo
	v_cmpx_gt_u32_e32 8, v2
; %bb.462:                              ;   in Loop: Header=BB222_10 Depth=1
	s_delay_alu instid0(VALU_DEP_2) | instskip(NEXT) | instid1(VALU_DEP_1)
	v_clz_i32_u32_e32 v1, v94
	v_min_u32_e32 v1, 32, v1
	s_delay_alu instid0(VALU_DEP_1) | instskip(NEXT) | instid1(VALU_DEP_1)
	v_subrev_nc_u32_e32 v2, 28, v1
	v_lshlrev_b64_e32 v[2:3], v2, v[94:95]
	s_delay_alu instid0(VALU_DEP_1)
	v_dual_sub_nc_u32 v1, 29, v1 :: v_dual_bitop2_b32 v94, 7, v2 bitop3:0x40
; %bb.463:                              ;   in Loop: Header=BB222_10 Depth=1
	s_or_b32 exec_lo, exec_lo, s16
	s_delay_alu instid0(VALU_DEP_1) | instskip(NEXT) | instid1(VALU_DEP_2)
	v_dual_lshlrev_b32 v2, 24, v0 :: v_dual_lshlrev_b32 v3, 20, v94
	v_lshl_add_u32 v1, v1, 23, 0x3c000000
	s_delay_alu instid0(VALU_DEP_2) | instskip(NEXT) | instid1(VALU_DEP_1)
	v_and_b32_e32 v2, 0x80000000, v2
	v_or3_b32 v94, v3, v2, v1
	s_delay_alu instid0(VALU_DEP_1)
	v_mov_b64_e32 v[102:103], v[94:95]
.LBB222_464:                            ;   in Loop: Header=BB222_10 Depth=1
	s_or_b32 exec_lo, exec_lo, s11
.LBB222_465:                            ;   in Loop: Header=BB222_10 Depth=1
	s_delay_alu instid0(SALU_CYCLE_1)
	s_or_b32 exec_lo, exec_lo, s9
.LBB222_466:                            ;   in Loop: Header=BB222_10 Depth=1
	s_delay_alu instid0(SALU_CYCLE_1) | instskip(SKIP_2) | instid1(VALU_DEP_1)
	s_or_b32 exec_lo, exec_lo, s8
	v_lshrrev_b16 v1, 8, v0
	s_mov_b32 s8, exec_lo
	v_cmpx_ne_u16_e32 0, v1
	s_cbranch_execz .LBB222_474
; %bb.467:                              ;   in Loop: Header=BB222_10 Depth=1
	v_mov_b64_e32 v[92:93], 0x8000000000000000
	s_mov_b32 s9, exec_lo
	v_cmpx_ne_u16_e32 0x80, v1
	s_cbranch_execz .LBB222_473
; %bb.468:                              ;   in Loop: Header=BB222_10 Depth=1
	v_and_b32_e32 v1, 0xffff, v1
	v_mov_b64_e32 v[92:93], 0x7f80000100000000
	s_mov_b32 s11, exec_lo
	s_delay_alu instid0(VALU_DEP_2) | instskip(NEXT) | instid1(VALU_DEP_1)
	v_and_b32_e32 v2, 0x7f, v1
	v_cmpx_ne_u32_e32 0x7f, v2
	s_cbranch_execz .LBB222_472
; %bb.469:                              ;   in Loop: Header=BB222_10 Depth=1
	v_dual_lshrrev_b32 v1, 3, v2 :: v_dual_bitop2_b32 v94, 7, v1 bitop3:0x40
	s_mov_b32 s16, exec_lo
	v_cmpx_gt_u32_e32 8, v2
; %bb.470:                              ;   in Loop: Header=BB222_10 Depth=1
	s_delay_alu instid0(VALU_DEP_2) | instskip(NEXT) | instid1(VALU_DEP_1)
	v_clz_i32_u32_e32 v1, v94
	v_min_u32_e32 v1, 32, v1
	s_delay_alu instid0(VALU_DEP_1) | instskip(NEXT) | instid1(VALU_DEP_1)
	v_subrev_nc_u32_e32 v2, 28, v1
	v_lshlrev_b64_e32 v[2:3], v2, v[94:95]
	s_delay_alu instid0(VALU_DEP_1)
	v_dual_sub_nc_u32 v1, 29, v1 :: v_dual_bitop2_b32 v94, 7, v2 bitop3:0x40
; %bb.471:                              ;   in Loop: Header=BB222_10 Depth=1
	s_or_b32 exec_lo, exec_lo, s16
	s_delay_alu instid0(VALU_DEP_1) | instskip(NEXT) | instid1(VALU_DEP_2)
	v_dual_lshlrev_b32 v2, 16, v0 :: v_dual_lshlrev_b32 v3, 20, v94
	v_lshl_add_u32 v1, v1, 23, 0x3c000000
	v_mov_b32_e32 v92, v95
	s_delay_alu instid0(VALU_DEP_3) | instskip(NEXT) | instid1(VALU_DEP_1)
	v_and_b32_e32 v2, 0x80000000, v2
	v_or3_b32 v93, v3, v2, v1
.LBB222_472:                            ;   in Loop: Header=BB222_10 Depth=1
	s_or_b32 exec_lo, exec_lo, s11
.LBB222_473:                            ;   in Loop: Header=BB222_10 Depth=1
	s_delay_alu instid0(SALU_CYCLE_1)
	s_or_b32 exec_lo, exec_lo, s9
.LBB222_474:                            ;   in Loop: Header=BB222_10 Depth=1
	s_delay_alu instid0(SALU_CYCLE_1) | instskip(SKIP_4) | instid1(VALU_DEP_3)
	s_or_b32 exec_lo, exec_lo, s8
	v_lshrrev_b32_e32 v1, 16, v0
	v_mov_b64_e32 v[124:125], 0
	v_mov_b64_e32 v[20:21], 0
	s_mov_b32 s8, exec_lo
	v_and_b32_e32 v2, 0xff, v1
	s_delay_alu instid0(VALU_DEP_1)
	v_cmpx_ne_u16_e32 0, v2
	s_cbranch_execz .LBB222_482
; %bb.475:                              ;   in Loop: Header=BB222_10 Depth=1
	v_mov_b64_e32 v[20:21], 0x80000000
	s_mov_b32 s9, exec_lo
	v_cmpx_ne_u16_e32 0x80, v2
	s_cbranch_execz .LBB222_481
; %bb.476:                              ;   in Loop: Header=BB222_10 Depth=1
	v_mov_b64_e32 v[20:21], 0x7f800001
	v_bfe_u32 v3, v0, 16, 7
	s_mov_b32 s11, exec_lo
	s_delay_alu instid0(VALU_DEP_1)
	v_cmpx_ne_u32_e32 0x7f, v3
	s_cbranch_execz .LBB222_480
; %bb.477:                              ;   in Loop: Header=BB222_10 Depth=1
	v_dual_lshrrev_b32 v2, 3, v3 :: v_dual_bitop2_b32 v94, 7, v1 bitop3:0x40
	s_mov_b32 s16, exec_lo
	v_cmpx_gt_u32_e32 8, v3
; %bb.478:                              ;   in Loop: Header=BB222_10 Depth=1
	s_delay_alu instid0(VALU_DEP_2) | instskip(NEXT) | instid1(VALU_DEP_1)
	v_clz_i32_u32_e32 v2, v94
	v_min_u32_e32 v2, 32, v2
	s_delay_alu instid0(VALU_DEP_1) | instskip(NEXT) | instid1(VALU_DEP_1)
	v_subrev_nc_u32_e32 v3, 28, v2
	v_lshlrev_b64_e32 v[4:5], v3, v[94:95]
	s_delay_alu instid0(VALU_DEP_1)
	v_dual_sub_nc_u32 v2, 29, v2 :: v_dual_bitop2_b32 v94, 7, v4 bitop3:0x40
; %bb.479:                              ;   in Loop: Header=BB222_10 Depth=1
	s_or_b32 exec_lo, exec_lo, s16
	s_delay_alu instid0(VALU_DEP_1) | instskip(NEXT) | instid1(VALU_DEP_2)
	v_dual_lshlrev_b32 v1, 24, v1 :: v_dual_lshlrev_b32 v3, 20, v94
	v_lshl_add_u32 v2, v2, 23, 0x3c000000
	s_delay_alu instid0(VALU_DEP_2) | instskip(NEXT) | instid1(VALU_DEP_1)
	v_and_b32_e32 v1, 0x80000000, v1
	v_or3_b32 v94, v3, v1, v2
	s_delay_alu instid0(VALU_DEP_1)
	v_mov_b64_e32 v[20:21], v[94:95]
.LBB222_480:                            ;   in Loop: Header=BB222_10 Depth=1
	s_or_b32 exec_lo, exec_lo, s11
.LBB222_481:                            ;   in Loop: Header=BB222_10 Depth=1
	s_delay_alu instid0(SALU_CYCLE_1)
	s_or_b32 exec_lo, exec_lo, s9
.LBB222_482:                            ;   in Loop: Header=BB222_10 Depth=1
	s_delay_alu instid0(SALU_CYCLE_1) | instskip(NEXT) | instid1(SALU_CYCLE_1)
	s_or_b32 exec_lo, exec_lo, s8
	s_mov_b32 s8, exec_lo
	v_cmpx_lt_u32_e32 0xffffff, v0
	s_cbranch_execz .LBB222_490
; %bb.483:                              ;   in Loop: Header=BB222_10 Depth=1
	v_mov_b64_e32 v[124:125], 0x8000000000000000
	v_lshrrev_b32_e32 v1, 24, v0
	s_mov_b32 s9, exec_lo
	s_delay_alu instid0(VALU_DEP_1)
	v_cmpx_ne_u32_e32 0x80, v1
	s_cbranch_execz .LBB222_489
; %bb.484:                              ;   in Loop: Header=BB222_10 Depth=1
	v_mov_b64_e32 v[124:125], 0x7f80000100000000
	v_bfe_u32 v2, v0, 24, 7
	s_mov_b32 s11, exec_lo
	s_delay_alu instid0(VALU_DEP_1)
	v_cmpx_ne_u32_e32 0x7f, v2
	s_cbranch_execz .LBB222_488
; %bb.485:                              ;   in Loop: Header=BB222_10 Depth=1
	v_dual_lshrrev_b32 v0, 3, v2 :: v_dual_bitop2_b32 v94, 7, v1 bitop3:0x40
	s_mov_b32 s16, exec_lo
	v_cmpx_gt_u32_e32 8, v2
; %bb.486:                              ;   in Loop: Header=BB222_10 Depth=1
	s_delay_alu instid0(VALU_DEP_2) | instskip(NEXT) | instid1(VALU_DEP_1)
	v_clz_i32_u32_e32 v0, v94
	v_min_u32_e32 v0, 32, v0
	s_delay_alu instid0(VALU_DEP_1) | instskip(NEXT) | instid1(VALU_DEP_1)
	v_subrev_nc_u32_e32 v2, 28, v0
	v_lshlrev_b64_e32 v[2:3], v2, v[94:95]
	s_delay_alu instid0(VALU_DEP_1)
	v_dual_sub_nc_u32 v0, 29, v0 :: v_dual_bitop2_b32 v94, 7, v2 bitop3:0x40
; %bb.487:                              ;   in Loop: Header=BB222_10 Depth=1
	s_or_b32 exec_lo, exec_lo, s16
	s_delay_alu instid0(VALU_DEP_1) | instskip(NEXT) | instid1(VALU_DEP_2)
	v_dual_lshlrev_b32 v1, 24, v1 :: v_dual_lshlrev_b32 v2, 20, v94
	v_lshl_add_u32 v0, v0, 23, 0x3c000000
	v_mov_b32_e32 v124, v95
	s_delay_alu instid0(VALU_DEP_3) | instskip(NEXT) | instid1(VALU_DEP_1)
	v_and_b32_e32 v1, 0x80000000, v1
	v_or3_b32 v125, v2, v1, v0
.LBB222_488:                            ;   in Loop: Header=BB222_10 Depth=1
	s_or_b32 exec_lo, exec_lo, s11
.LBB222_489:                            ;   in Loop: Header=BB222_10 Depth=1
	s_delay_alu instid0(SALU_CYCLE_1)
	s_or_b32 exec_lo, exec_lo, s9
.LBB222_490:                            ;   in Loop: Header=BB222_10 Depth=1
	s_delay_alu instid0(SALU_CYCLE_1)
	s_or_b32 exec_lo, exec_lo, s8
	flat_load_b32 v0, v[106:107] offset:1548
	v_mov_b64_e32 v[104:105], 0
	v_mov_b64_e32 v[10:11], 0
	s_mov_b32 s8, exec_lo
	s_wait_loadcnt_dscnt 0x0
	v_and_b32_e32 v1, 0xff, v0
	s_wait_xcnt 0x0
	s_delay_alu instid0(VALU_DEP_1)
	v_cmpx_ne_u16_e32 0, v1
	s_cbranch_execz .LBB222_498
; %bb.491:                              ;   in Loop: Header=BB222_10 Depth=1
	v_mov_b64_e32 v[10:11], 0x80000000
	s_mov_b32 s9, exec_lo
	v_cmpx_ne_u16_e32 0x80, v1
	s_cbranch_execz .LBB222_497
; %bb.492:                              ;   in Loop: Header=BB222_10 Depth=1
	v_mov_b64_e32 v[10:11], 0x7f800001
	v_and_b32_e32 v2, 0x7f, v0
	s_mov_b32 s11, exec_lo
	s_delay_alu instid0(VALU_DEP_1)
	v_cmpx_ne_u32_e32 0x7f, v2
	s_cbranch_execz .LBB222_496
; %bb.493:                              ;   in Loop: Header=BB222_10 Depth=1
	v_dual_lshrrev_b32 v1, 3, v2 :: v_dual_bitop2_b32 v94, 7, v0 bitop3:0x40
	s_mov_b32 s16, exec_lo
	v_cmpx_gt_u32_e32 8, v2
; %bb.494:                              ;   in Loop: Header=BB222_10 Depth=1
	s_delay_alu instid0(VALU_DEP_2) | instskip(NEXT) | instid1(VALU_DEP_1)
	v_clz_i32_u32_e32 v1, v94
	v_min_u32_e32 v1, 32, v1
	s_delay_alu instid0(VALU_DEP_1) | instskip(NEXT) | instid1(VALU_DEP_1)
	v_subrev_nc_u32_e32 v2, 28, v1
	v_lshlrev_b64_e32 v[2:3], v2, v[94:95]
	s_delay_alu instid0(VALU_DEP_1)
	v_dual_sub_nc_u32 v1, 29, v1 :: v_dual_bitop2_b32 v94, 7, v2 bitop3:0x40
; %bb.495:                              ;   in Loop: Header=BB222_10 Depth=1
	s_or_b32 exec_lo, exec_lo, s16
	s_delay_alu instid0(VALU_DEP_1) | instskip(NEXT) | instid1(VALU_DEP_2)
	v_dual_lshlrev_b32 v2, 24, v0 :: v_dual_lshlrev_b32 v3, 20, v94
	v_lshl_add_u32 v1, v1, 23, 0x3c000000
	s_delay_alu instid0(VALU_DEP_2) | instskip(NEXT) | instid1(VALU_DEP_1)
	v_and_b32_e32 v2, 0x80000000, v2
	v_or3_b32 v94, v3, v2, v1
	s_delay_alu instid0(VALU_DEP_1)
	v_mov_b64_e32 v[10:11], v[94:95]
.LBB222_496:                            ;   in Loop: Header=BB222_10 Depth=1
	s_or_b32 exec_lo, exec_lo, s11
.LBB222_497:                            ;   in Loop: Header=BB222_10 Depth=1
	s_delay_alu instid0(SALU_CYCLE_1)
	s_or_b32 exec_lo, exec_lo, s9
.LBB222_498:                            ;   in Loop: Header=BB222_10 Depth=1
	s_delay_alu instid0(SALU_CYCLE_1) | instskip(SKIP_2) | instid1(VALU_DEP_1)
	s_or_b32 exec_lo, exec_lo, s8
	v_lshrrev_b16 v1, 8, v0
	s_mov_b32 s8, exec_lo
	v_cmpx_ne_u16_e32 0, v1
	s_cbranch_execz .LBB222_506
; %bb.499:                              ;   in Loop: Header=BB222_10 Depth=1
	v_mov_b64_e32 v[104:105], 0x8000000000000000
	s_mov_b32 s9, exec_lo
	v_cmpx_ne_u16_e32 0x80, v1
	s_cbranch_execz .LBB222_505
; %bb.500:                              ;   in Loop: Header=BB222_10 Depth=1
	v_and_b32_e32 v1, 0xffff, v1
	v_mov_b64_e32 v[104:105], 0x7f80000100000000
	s_mov_b32 s11, exec_lo
	s_delay_alu instid0(VALU_DEP_2) | instskip(NEXT) | instid1(VALU_DEP_1)
	v_and_b32_e32 v2, 0x7f, v1
	v_cmpx_ne_u32_e32 0x7f, v2
	s_cbranch_execz .LBB222_504
; %bb.501:                              ;   in Loop: Header=BB222_10 Depth=1
	v_dual_lshrrev_b32 v1, 3, v2 :: v_dual_bitop2_b32 v94, 7, v1 bitop3:0x40
	s_mov_b32 s16, exec_lo
	v_cmpx_gt_u32_e32 8, v2
; %bb.502:                              ;   in Loop: Header=BB222_10 Depth=1
	s_delay_alu instid0(VALU_DEP_2) | instskip(NEXT) | instid1(VALU_DEP_1)
	v_clz_i32_u32_e32 v1, v94
	v_min_u32_e32 v1, 32, v1
	s_delay_alu instid0(VALU_DEP_1) | instskip(NEXT) | instid1(VALU_DEP_1)
	v_subrev_nc_u32_e32 v2, 28, v1
	v_lshlrev_b64_e32 v[2:3], v2, v[94:95]
	s_delay_alu instid0(VALU_DEP_1)
	v_dual_sub_nc_u32 v1, 29, v1 :: v_dual_bitop2_b32 v94, 7, v2 bitop3:0x40
; %bb.503:                              ;   in Loop: Header=BB222_10 Depth=1
	s_or_b32 exec_lo, exec_lo, s16
	s_delay_alu instid0(VALU_DEP_1) | instskip(NEXT) | instid1(VALU_DEP_2)
	v_dual_lshlrev_b32 v2, 16, v0 :: v_dual_lshlrev_b32 v3, 20, v94
	v_lshl_add_u32 v1, v1, 23, 0x3c000000
	v_mov_b32_e32 v104, v95
	s_delay_alu instid0(VALU_DEP_3) | instskip(NEXT) | instid1(VALU_DEP_1)
	v_and_b32_e32 v2, 0x80000000, v2
	v_or3_b32 v105, v3, v2, v1
.LBB222_504:                            ;   in Loop: Header=BB222_10 Depth=1
	s_or_b32 exec_lo, exec_lo, s11
.LBB222_505:                            ;   in Loop: Header=BB222_10 Depth=1
	s_delay_alu instid0(SALU_CYCLE_1)
	s_or_b32 exec_lo, exec_lo, s9
.LBB222_506:                            ;   in Loop: Header=BB222_10 Depth=1
	s_delay_alu instid0(SALU_CYCLE_1) | instskip(SKIP_4) | instid1(VALU_DEP_3)
	s_or_b32 exec_lo, exec_lo, s8
	v_lshrrev_b32_e32 v1, 16, v0
	v_mov_b64_e32 v[122:123], 0
	v_mov_b64_e32 v[110:111], 0
	s_mov_b32 s8, exec_lo
	v_and_b32_e32 v2, 0xff, v1
	s_delay_alu instid0(VALU_DEP_1)
	v_cmpx_ne_u16_e32 0, v2
	s_cbranch_execz .LBB222_514
; %bb.507:                              ;   in Loop: Header=BB222_10 Depth=1
	v_mov_b64_e32 v[110:111], 0x80000000
	s_mov_b32 s9, exec_lo
	v_cmpx_ne_u16_e32 0x80, v2
	s_cbranch_execz .LBB222_513
; %bb.508:                              ;   in Loop: Header=BB222_10 Depth=1
	v_mov_b64_e32 v[110:111], 0x7f800001
	v_bfe_u32 v3, v0, 16, 7
	s_mov_b32 s11, exec_lo
	s_delay_alu instid0(VALU_DEP_1)
	v_cmpx_ne_u32_e32 0x7f, v3
	s_cbranch_execz .LBB222_512
; %bb.509:                              ;   in Loop: Header=BB222_10 Depth=1
	v_dual_lshrrev_b32 v2, 3, v3 :: v_dual_bitop2_b32 v94, 7, v1 bitop3:0x40
	s_mov_b32 s16, exec_lo
	v_cmpx_gt_u32_e32 8, v3
; %bb.510:                              ;   in Loop: Header=BB222_10 Depth=1
	s_delay_alu instid0(VALU_DEP_2) | instskip(NEXT) | instid1(VALU_DEP_1)
	v_clz_i32_u32_e32 v2, v94
	v_min_u32_e32 v2, 32, v2
	s_delay_alu instid0(VALU_DEP_1) | instskip(NEXT) | instid1(VALU_DEP_1)
	v_subrev_nc_u32_e32 v3, 28, v2
	v_lshlrev_b64_e32 v[4:5], v3, v[94:95]
	s_delay_alu instid0(VALU_DEP_1)
	v_dual_sub_nc_u32 v2, 29, v2 :: v_dual_bitop2_b32 v94, 7, v4 bitop3:0x40
; %bb.511:                              ;   in Loop: Header=BB222_10 Depth=1
	s_or_b32 exec_lo, exec_lo, s16
	s_delay_alu instid0(VALU_DEP_1) | instskip(NEXT) | instid1(VALU_DEP_2)
	v_dual_lshlrev_b32 v1, 24, v1 :: v_dual_lshlrev_b32 v3, 20, v94
	v_lshl_add_u32 v2, v2, 23, 0x3c000000
	s_delay_alu instid0(VALU_DEP_2) | instskip(NEXT) | instid1(VALU_DEP_1)
	v_and_b32_e32 v1, 0x80000000, v1
	v_or3_b32 v94, v3, v1, v2
	s_delay_alu instid0(VALU_DEP_1)
	v_mov_b64_e32 v[110:111], v[94:95]
.LBB222_512:                            ;   in Loop: Header=BB222_10 Depth=1
	s_or_b32 exec_lo, exec_lo, s11
.LBB222_513:                            ;   in Loop: Header=BB222_10 Depth=1
	s_delay_alu instid0(SALU_CYCLE_1)
	s_or_b32 exec_lo, exec_lo, s9
.LBB222_514:                            ;   in Loop: Header=BB222_10 Depth=1
	s_delay_alu instid0(SALU_CYCLE_1) | instskip(NEXT) | instid1(SALU_CYCLE_1)
	s_or_b32 exec_lo, exec_lo, s8
	s_mov_b32 s8, exec_lo
	v_cmpx_lt_u32_e32 0xffffff, v0
	s_cbranch_execz .LBB222_522
; %bb.515:                              ;   in Loop: Header=BB222_10 Depth=1
	v_mov_b64_e32 v[122:123], 0x8000000000000000
	v_lshrrev_b32_e32 v1, 24, v0
	s_mov_b32 s9, exec_lo
	s_delay_alu instid0(VALU_DEP_1)
	v_cmpx_ne_u32_e32 0x80, v1
	s_cbranch_execz .LBB222_521
; %bb.516:                              ;   in Loop: Header=BB222_10 Depth=1
	v_mov_b64_e32 v[122:123], 0x7f80000100000000
	v_bfe_u32 v2, v0, 24, 7
	s_mov_b32 s11, exec_lo
	s_delay_alu instid0(VALU_DEP_1)
	v_cmpx_ne_u32_e32 0x7f, v2
	s_cbranch_execz .LBB222_520
; %bb.517:                              ;   in Loop: Header=BB222_10 Depth=1
	v_dual_lshrrev_b32 v0, 3, v2 :: v_dual_bitop2_b32 v94, 7, v1 bitop3:0x40
	s_mov_b32 s16, exec_lo
	v_cmpx_gt_u32_e32 8, v2
; %bb.518:                              ;   in Loop: Header=BB222_10 Depth=1
	s_delay_alu instid0(VALU_DEP_2) | instskip(NEXT) | instid1(VALU_DEP_1)
	v_clz_i32_u32_e32 v0, v94
	v_min_u32_e32 v0, 32, v0
	s_delay_alu instid0(VALU_DEP_1) | instskip(NEXT) | instid1(VALU_DEP_1)
	v_subrev_nc_u32_e32 v2, 28, v0
	v_lshlrev_b64_e32 v[2:3], v2, v[94:95]
	s_delay_alu instid0(VALU_DEP_1)
	v_dual_sub_nc_u32 v0, 29, v0 :: v_dual_bitop2_b32 v94, 7, v2 bitop3:0x40
; %bb.519:                              ;   in Loop: Header=BB222_10 Depth=1
	s_or_b32 exec_lo, exec_lo, s16
	s_delay_alu instid0(VALU_DEP_1) | instskip(NEXT) | instid1(VALU_DEP_2)
	v_dual_lshlrev_b32 v1, 24, v1 :: v_dual_lshlrev_b32 v2, 20, v94
	v_lshl_add_u32 v0, v0, 23, 0x3c000000
	v_mov_b32_e32 v122, v95
	s_delay_alu instid0(VALU_DEP_3) | instskip(NEXT) | instid1(VALU_DEP_1)
	v_and_b32_e32 v1, 0x80000000, v1
	v_or3_b32 v123, v2, v1, v0
.LBB222_520:                            ;   in Loop: Header=BB222_10 Depth=1
	s_or_b32 exec_lo, exec_lo, s11
.LBB222_521:                            ;   in Loop: Header=BB222_10 Depth=1
	s_delay_alu instid0(SALU_CYCLE_1)
	s_or_b32 exec_lo, exec_lo, s9
.LBB222_522:                            ;   in Loop: Header=BB222_10 Depth=1
	s_delay_alu instid0(SALU_CYCLE_1)
	s_or_b32 exec_lo, exec_lo, s8
	flat_load_b32 v2, v[106:107] offset:2048
	v_mov_b64_e32 v[126:127], 0
	v_mov_b64_e32 v[22:23], 0
	s_mov_b32 s8, exec_lo
	s_wait_loadcnt_dscnt 0x0
	v_and_b32_e32 v0, 0xff, v2
	s_wait_xcnt 0x0
	s_delay_alu instid0(VALU_DEP_1)
	v_cmpx_ne_u16_e32 0, v0
	s_cbranch_execz .LBB222_530
; %bb.523:                              ;   in Loop: Header=BB222_10 Depth=1
	v_mov_b64_e32 v[22:23], 0x80000000
	s_mov_b32 s9, exec_lo
	v_cmpx_ne_u16_e32 0x80, v0
	s_cbranch_execz .LBB222_529
; %bb.524:                              ;   in Loop: Header=BB222_10 Depth=1
	v_mov_b64_e32 v[22:23], 0x7f800001
	v_and_b32_e32 v1, 0x7f, v2
	s_mov_b32 s11, exec_lo
	s_delay_alu instid0(VALU_DEP_1)
	v_cmpx_ne_u32_e32 0x7f, v1
	s_cbranch_execz .LBB222_528
; %bb.525:                              ;   in Loop: Header=BB222_10 Depth=1
	v_dual_lshrrev_b32 v0, 3, v1 :: v_dual_bitop2_b32 v94, 7, v2 bitop3:0x40
	s_mov_b32 s16, exec_lo
	v_cmpx_gt_u32_e32 8, v1
; %bb.526:                              ;   in Loop: Header=BB222_10 Depth=1
	s_delay_alu instid0(VALU_DEP_2) | instskip(NEXT) | instid1(VALU_DEP_1)
	v_clz_i32_u32_e32 v0, v94
	v_min_u32_e32 v0, 32, v0
	s_delay_alu instid0(VALU_DEP_1) | instskip(SKIP_1) | instid1(VALU_DEP_2)
	v_subrev_nc_u32_e32 v1, 28, v0
	v_sub_nc_u32_e32 v0, 29, v0
	v_lshlrev_b64_e32 v[4:5], v1, v[94:95]
	s_delay_alu instid0(VALU_DEP_1)
	v_and_b32_e32 v94, 7, v4
; %bb.527:                              ;   in Loop: Header=BB222_10 Depth=1
	s_or_b32 exec_lo, exec_lo, s16
	v_lshlrev_b32_e32 v1, 24, v2
	s_delay_alu instid0(VALU_DEP_2) | instskip(SKIP_1) | instid1(VALU_DEP_3)
	v_lshlrev_b32_e32 v3, 20, v94
	v_lshl_add_u32 v0, v0, 23, 0x3c000000
	v_and_b32_e32 v1, 0x80000000, v1
	s_delay_alu instid0(VALU_DEP_1) | instskip(NEXT) | instid1(VALU_DEP_1)
	v_or3_b32 v94, v3, v1, v0
	v_mov_b64_e32 v[22:23], v[94:95]
.LBB222_528:                            ;   in Loop: Header=BB222_10 Depth=1
	s_or_b32 exec_lo, exec_lo, s11
.LBB222_529:                            ;   in Loop: Header=BB222_10 Depth=1
	s_delay_alu instid0(SALU_CYCLE_1)
	s_or_b32 exec_lo, exec_lo, s9
.LBB222_530:                            ;   in Loop: Header=BB222_10 Depth=1
	s_delay_alu instid0(SALU_CYCLE_1) | instskip(SKIP_2) | instid1(VALU_DEP_1)
	s_or_b32 exec_lo, exec_lo, s8
	v_lshrrev_b16 v0, 8, v2
	s_mov_b32 s8, exec_lo
	v_cmpx_ne_u16_e32 0, v0
	s_cbranch_execz .LBB222_538
; %bb.531:                              ;   in Loop: Header=BB222_10 Depth=1
	v_mov_b64_e32 v[126:127], 0x8000000000000000
	s_mov_b32 s9, exec_lo
	v_cmpx_ne_u16_e32 0x80, v0
	s_cbranch_execz .LBB222_537
; %bb.532:                              ;   in Loop: Header=BB222_10 Depth=1
	v_and_b32_e32 v0, 0xffff, v0
	v_mov_b64_e32 v[126:127], 0x7f80000100000000
	s_mov_b32 s11, exec_lo
	s_delay_alu instid0(VALU_DEP_2) | instskip(NEXT) | instid1(VALU_DEP_1)
	v_and_b32_e32 v1, 0x7f, v0
	v_cmpx_ne_u32_e32 0x7f, v1
	s_cbranch_execz .LBB222_536
; %bb.533:                              ;   in Loop: Header=BB222_10 Depth=1
	v_dual_lshrrev_b32 v0, 3, v1 :: v_dual_bitop2_b32 v94, 7, v0 bitop3:0x40
	s_mov_b32 s16, exec_lo
	v_cmpx_gt_u32_e32 8, v1
; %bb.534:                              ;   in Loop: Header=BB222_10 Depth=1
	s_delay_alu instid0(VALU_DEP_2) | instskip(NEXT) | instid1(VALU_DEP_1)
	v_clz_i32_u32_e32 v0, v94
	v_min_u32_e32 v0, 32, v0
	s_delay_alu instid0(VALU_DEP_1) | instskip(SKIP_1) | instid1(VALU_DEP_2)
	v_subrev_nc_u32_e32 v1, 28, v0
	v_sub_nc_u32_e32 v0, 29, v0
	v_lshlrev_b64_e32 v[4:5], v1, v[94:95]
	s_delay_alu instid0(VALU_DEP_1)
	v_and_b32_e32 v94, 7, v4
; %bb.535:                              ;   in Loop: Header=BB222_10 Depth=1
	s_or_b32 exec_lo, exec_lo, s16
	v_dual_mov_b32 v126, v95 :: v_dual_lshlrev_b32 v1, 16, v2
	s_delay_alu instid0(VALU_DEP_2) | instskip(SKIP_1) | instid1(VALU_DEP_3)
	v_lshlrev_b32_e32 v3, 20, v94
	v_lshl_add_u32 v0, v0, 23, 0x3c000000
	v_and_b32_e32 v1, 0x80000000, v1
	s_delay_alu instid0(VALU_DEP_1)
	v_or3_b32 v127, v3, v1, v0
.LBB222_536:                            ;   in Loop: Header=BB222_10 Depth=1
	s_or_b32 exec_lo, exec_lo, s11
.LBB222_537:                            ;   in Loop: Header=BB222_10 Depth=1
	s_delay_alu instid0(SALU_CYCLE_1)
	s_or_b32 exec_lo, exec_lo, s9
.LBB222_538:                            ;   in Loop: Header=BB222_10 Depth=1
	s_delay_alu instid0(SALU_CYCLE_1) | instskip(SKIP_4) | instid1(VALU_DEP_3)
	s_or_b32 exec_lo, exec_lo, s8
	v_lshrrev_b32_e32 v3, 16, v2
	v_mov_b64_e32 v[0:1], 0
	v_mov_b64_e32 v[4:5], 0
	s_mov_b32 s8, exec_lo
	v_and_b32_e32 v6, 0xff, v3
	s_delay_alu instid0(VALU_DEP_1)
	v_cmpx_ne_u16_e32 0, v6
	s_cbranch_execz .LBB222_546
; %bb.539:                              ;   in Loop: Header=BB222_10 Depth=1
	v_mov_b64_e32 v[4:5], 0x80000000
	s_mov_b32 s9, exec_lo
	v_cmpx_ne_u16_e32 0x80, v6
	s_cbranch_execz .LBB222_545
; %bb.540:                              ;   in Loop: Header=BB222_10 Depth=1
	v_mov_b64_e32 v[4:5], 0x7f800001
	v_bfe_u32 v6, v2, 16, 7
	s_mov_b32 s11, exec_lo
	s_delay_alu instid0(VALU_DEP_1)
	v_cmpx_ne_u32_e32 0x7f, v6
	s_cbranch_execz .LBB222_544
; %bb.541:                              ;   in Loop: Header=BB222_10 Depth=1
	v_dual_lshrrev_b32 v4, 3, v6 :: v_dual_bitop2_b32 v94, 7, v3 bitop3:0x40
	s_mov_b32 s16, exec_lo
	v_cmpx_gt_u32_e32 8, v6
; %bb.542:                              ;   in Loop: Header=BB222_10 Depth=1
	s_delay_alu instid0(VALU_DEP_2) | instskip(NEXT) | instid1(VALU_DEP_1)
	v_clz_i32_u32_e32 v4, v94
	v_min_u32_e32 v4, 32, v4
	s_delay_alu instid0(VALU_DEP_1) | instskip(NEXT) | instid1(VALU_DEP_1)
	v_subrev_nc_u32_e32 v5, 28, v4
	v_lshlrev_b64_e32 v[6:7], v5, v[94:95]
	s_delay_alu instid0(VALU_DEP_1)
	v_dual_sub_nc_u32 v4, 29, v4 :: v_dual_bitop2_b32 v94, 7, v6 bitop3:0x40
; %bb.543:                              ;   in Loop: Header=BB222_10 Depth=1
	s_or_b32 exec_lo, exec_lo, s16
	s_delay_alu instid0(VALU_DEP_1) | instskip(NEXT) | instid1(VALU_DEP_2)
	v_dual_lshlrev_b32 v3, 24, v3 :: v_dual_lshlrev_b32 v5, 20, v94
	v_lshl_add_u32 v4, v4, 23, 0x3c000000
	s_delay_alu instid0(VALU_DEP_2) | instskip(NEXT) | instid1(VALU_DEP_1)
	v_and_b32_e32 v3, 0x80000000, v3
	v_or3_b32 v94, v5, v3, v4
	s_delay_alu instid0(VALU_DEP_1)
	v_mov_b64_e32 v[4:5], v[94:95]
.LBB222_544:                            ;   in Loop: Header=BB222_10 Depth=1
	s_or_b32 exec_lo, exec_lo, s11
.LBB222_545:                            ;   in Loop: Header=BB222_10 Depth=1
	s_delay_alu instid0(SALU_CYCLE_1)
	s_or_b32 exec_lo, exec_lo, s9
.LBB222_546:                            ;   in Loop: Header=BB222_10 Depth=1
	s_delay_alu instid0(SALU_CYCLE_1) | instskip(NEXT) | instid1(SALU_CYCLE_1)
	s_or_b32 exec_lo, exec_lo, s8
	s_mov_b32 s8, exec_lo
	v_cmpx_lt_u32_e32 0xffffff, v2
	s_cbranch_execz .LBB222_554
; %bb.547:                              ;   in Loop: Header=BB222_10 Depth=1
	v_mov_b64_e32 v[0:1], 0x8000000000000000
	v_lshrrev_b32_e32 v3, 24, v2
	s_mov_b32 s9, exec_lo
	s_delay_alu instid0(VALU_DEP_1)
	v_cmpx_ne_u32_e32 0x80, v3
	s_cbranch_execz .LBB222_553
; %bb.548:                              ;   in Loop: Header=BB222_10 Depth=1
	v_mov_b64_e32 v[0:1], 0x7f80000100000000
	v_bfe_u32 v2, v2, 24, 7
	s_mov_b32 s11, exec_lo
	s_delay_alu instid0(VALU_DEP_1)
	v_cmpx_ne_u32_e32 0x7f, v2
	s_cbranch_execz .LBB222_552
; %bb.549:                              ;   in Loop: Header=BB222_10 Depth=1
	v_dual_lshrrev_b32 v0, 3, v2 :: v_dual_bitop2_b32 v94, 7, v3 bitop3:0x40
	s_mov_b32 s16, exec_lo
	v_cmpx_gt_u32_e32 8, v2
; %bb.550:                              ;   in Loop: Header=BB222_10 Depth=1
	s_delay_alu instid0(VALU_DEP_2) | instskip(NEXT) | instid1(VALU_DEP_1)
	v_clz_i32_u32_e32 v0, v94
	v_min_u32_e32 v0, 32, v0
	s_delay_alu instid0(VALU_DEP_1) | instskip(NEXT) | instid1(VALU_DEP_1)
	v_subrev_nc_u32_e32 v1, 28, v0
	v_lshlrev_b64_e32 v[6:7], v1, v[94:95]
	s_delay_alu instid0(VALU_DEP_1)
	v_dual_sub_nc_u32 v0, 29, v0 :: v_dual_bitop2_b32 v94, 7, v6 bitop3:0x40
; %bb.551:                              ;   in Loop: Header=BB222_10 Depth=1
	s_or_b32 exec_lo, exec_lo, s16
	s_delay_alu instid0(VALU_DEP_1) | instskip(NEXT) | instid1(VALU_DEP_2)
	v_dual_lshlrev_b32 v1, 24, v3 :: v_dual_lshlrev_b32 v2, 20, v94
	v_lshl_add_u32 v0, v0, 23, 0x3c000000
	s_delay_alu instid0(VALU_DEP_2) | instskip(NEXT) | instid1(VALU_DEP_1)
	v_and_b32_e32 v1, 0x80000000, v1
	v_or3_b32 v1, v2, v1, v0
	v_mov_b32_e32 v0, v95
.LBB222_552:                            ;   in Loop: Header=BB222_10 Depth=1
	s_or_b32 exec_lo, exec_lo, s11
.LBB222_553:                            ;   in Loop: Header=BB222_10 Depth=1
	s_delay_alu instid0(SALU_CYCLE_1)
	s_or_b32 exec_lo, exec_lo, s9
.LBB222_554:                            ;   in Loop: Header=BB222_10 Depth=1
	s_delay_alu instid0(SALU_CYCLE_1)
	s_or_b32 exec_lo, exec_lo, s8
	flat_load_b32 v2, v[106:107] offset:2052
	v_mov_b64_e32 v[6:7], 0
	v_mov_b64_e32 v[14:15], 0
	s_mov_b32 s8, exec_lo
	s_wait_loadcnt_dscnt 0x0
	v_and_b32_e32 v3, 0xff, v2
	s_wait_xcnt 0x0
	s_delay_alu instid0(VALU_DEP_1)
	v_cmpx_ne_u16_e32 0, v3
	s_cbranch_execz .LBB222_562
; %bb.555:                              ;   in Loop: Header=BB222_10 Depth=1
	v_mov_b64_e32 v[14:15], 0x80000000
	s_mov_b32 s9, exec_lo
	v_cmpx_ne_u16_e32 0x80, v3
	s_cbranch_execz .LBB222_561
; %bb.556:                              ;   in Loop: Header=BB222_10 Depth=1
	v_mov_b64_e32 v[14:15], 0x7f800001
	v_and_b32_e32 v12, 0x7f, v2
	s_mov_b32 s11, exec_lo
	s_delay_alu instid0(VALU_DEP_1)
	v_cmpx_ne_u32_e32 0x7f, v12
	s_cbranch_execz .LBB222_560
; %bb.557:                              ;   in Loop: Header=BB222_10 Depth=1
	v_dual_lshrrev_b32 v3, 3, v12 :: v_dual_bitop2_b32 v94, 7, v2 bitop3:0x40
	s_mov_b32 s16, exec_lo
	v_cmpx_gt_u32_e32 8, v12
; %bb.558:                              ;   in Loop: Header=BB222_10 Depth=1
	s_delay_alu instid0(VALU_DEP_2) | instskip(NEXT) | instid1(VALU_DEP_1)
	v_clz_i32_u32_e32 v3, v94
	v_min_u32_e32 v3, 32, v3
	s_delay_alu instid0(VALU_DEP_1) | instskip(NEXT) | instid1(VALU_DEP_1)
	v_subrev_nc_u32_e32 v12, 28, v3
	v_lshlrev_b64_e32 v[12:13], v12, v[94:95]
	s_delay_alu instid0(VALU_DEP_1)
	v_dual_sub_nc_u32 v3, 29, v3 :: v_dual_bitop2_b32 v94, 7, v12 bitop3:0x40
; %bb.559:                              ;   in Loop: Header=BB222_10 Depth=1
	s_or_b32 exec_lo, exec_lo, s16
	v_lshlrev_b32_e32 v12, 24, v2
	s_delay_alu instid0(VALU_DEP_2) | instskip(NEXT) | instid1(VALU_DEP_3)
	v_lshlrev_b32_e32 v13, 20, v94
	v_lshl_add_u32 v3, v3, 23, 0x3c000000
	s_delay_alu instid0(VALU_DEP_3) | instskip(NEXT) | instid1(VALU_DEP_1)
	v_and_b32_e32 v12, 0x80000000, v12
	v_or3_b32 v94, v13, v12, v3
	s_delay_alu instid0(VALU_DEP_1)
	v_mov_b64_e32 v[14:15], v[94:95]
.LBB222_560:                            ;   in Loop: Header=BB222_10 Depth=1
	s_or_b32 exec_lo, exec_lo, s11
.LBB222_561:                            ;   in Loop: Header=BB222_10 Depth=1
	s_delay_alu instid0(SALU_CYCLE_1)
	s_or_b32 exec_lo, exec_lo, s9
.LBB222_562:                            ;   in Loop: Header=BB222_10 Depth=1
	s_delay_alu instid0(SALU_CYCLE_1) | instskip(SKIP_2) | instid1(VALU_DEP_1)
	s_or_b32 exec_lo, exec_lo, s8
	v_lshrrev_b16 v3, 8, v2
	s_mov_b32 s8, exec_lo
	v_cmpx_ne_u16_e32 0, v3
	s_cbranch_execz .LBB222_570
; %bb.563:                              ;   in Loop: Header=BB222_10 Depth=1
	v_mov_b64_e32 v[6:7], 0x8000000000000000
	s_mov_b32 s9, exec_lo
	v_cmpx_ne_u16_e32 0x80, v3
	s_cbranch_execz .LBB222_569
; %bb.564:                              ;   in Loop: Header=BB222_10 Depth=1
	v_and_b32_e32 v3, 0xffff, v3
	v_mov_b64_e32 v[6:7], 0x7f80000100000000
	s_mov_b32 s11, exec_lo
	s_delay_alu instid0(VALU_DEP_2) | instskip(NEXT) | instid1(VALU_DEP_1)
	v_and_b32_e32 v12, 0x7f, v3
	v_cmpx_ne_u32_e32 0x7f, v12
	s_cbranch_execz .LBB222_568
; %bb.565:                              ;   in Loop: Header=BB222_10 Depth=1
	v_dual_lshrrev_b32 v3, 3, v12 :: v_dual_bitop2_b32 v94, 7, v3 bitop3:0x40
	s_mov_b32 s16, exec_lo
	v_cmpx_gt_u32_e32 8, v12
; %bb.566:                              ;   in Loop: Header=BB222_10 Depth=1
	s_delay_alu instid0(VALU_DEP_2) | instskip(NEXT) | instid1(VALU_DEP_1)
	v_clz_i32_u32_e32 v3, v94
	v_min_u32_e32 v3, 32, v3
	s_delay_alu instid0(VALU_DEP_1) | instskip(NEXT) | instid1(VALU_DEP_1)
	v_subrev_nc_u32_e32 v6, 28, v3
	v_lshlrev_b64_e32 v[6:7], v6, v[94:95]
	s_delay_alu instid0(VALU_DEP_1)
	v_dual_sub_nc_u32 v3, 29, v3 :: v_dual_bitop2_b32 v94, 7, v6 bitop3:0x40
; %bb.567:                              ;   in Loop: Header=BB222_10 Depth=1
	s_or_b32 exec_lo, exec_lo, s16
	v_lshlrev_b32_e32 v6, 16, v2
	s_delay_alu instid0(VALU_DEP_2) | instskip(NEXT) | instid1(VALU_DEP_3)
	v_lshlrev_b32_e32 v7, 20, v94
	v_lshl_add_u32 v3, v3, 23, 0x3c000000
	s_delay_alu instid0(VALU_DEP_3) | instskip(NEXT) | instid1(VALU_DEP_1)
	v_and_b32_e32 v6, 0x80000000, v6
	v_or3_b32 v7, v7, v6, v3
	v_mov_b32_e32 v6, v95
.LBB222_568:                            ;   in Loop: Header=BB222_10 Depth=1
	s_or_b32 exec_lo, exec_lo, s11
.LBB222_569:                            ;   in Loop: Header=BB222_10 Depth=1
	s_delay_alu instid0(SALU_CYCLE_1)
	s_or_b32 exec_lo, exec_lo, s9
.LBB222_570:                            ;   in Loop: Header=BB222_10 Depth=1
	s_delay_alu instid0(SALU_CYCLE_1) | instskip(SKIP_4) | instid1(VALU_DEP_3)
	s_or_b32 exec_lo, exec_lo, s8
	v_lshrrev_b32_e32 v3, 16, v2
	v_mov_b64_e32 v[18:19], 0
	v_mov_b64_e32 v[26:27], 0
	s_mov_b32 s8, exec_lo
	v_and_b32_e32 v12, 0xff, v3
	s_delay_alu instid0(VALU_DEP_1)
	v_cmpx_ne_u16_e32 0, v12
	s_cbranch_execz .LBB222_578
; %bb.571:                              ;   in Loop: Header=BB222_10 Depth=1
	v_mov_b64_e32 v[26:27], 0x80000000
	s_mov_b32 s9, exec_lo
	v_cmpx_ne_u16_e32 0x80, v12
	s_cbranch_execz .LBB222_577
; %bb.572:                              ;   in Loop: Header=BB222_10 Depth=1
	v_mov_b64_e32 v[26:27], 0x7f800001
	v_bfe_u32 v13, v2, 16, 7
	s_mov_b32 s11, exec_lo
	s_delay_alu instid0(VALU_DEP_1)
	v_cmpx_ne_u32_e32 0x7f, v13
	s_cbranch_execz .LBB222_576
; %bb.573:                              ;   in Loop: Header=BB222_10 Depth=1
	v_dual_lshrrev_b32 v12, 3, v13 :: v_dual_bitop2_b32 v94, 7, v3 bitop3:0x40
	s_mov_b32 s16, exec_lo
	v_cmpx_gt_u32_e32 8, v13
; %bb.574:                              ;   in Loop: Header=BB222_10 Depth=1
	s_delay_alu instid0(VALU_DEP_2) | instskip(NEXT) | instid1(VALU_DEP_1)
	v_clz_i32_u32_e32 v12, v94
	v_min_u32_e32 v12, 32, v12
	s_delay_alu instid0(VALU_DEP_1) | instskip(SKIP_1) | instid1(VALU_DEP_2)
	v_subrev_nc_u32_e32 v13, 28, v12
	v_sub_nc_u32_e32 v12, 29, v12
	v_lshlrev_b64_e32 v[24:25], v13, v[94:95]
	s_delay_alu instid0(VALU_DEP_1)
	v_and_b32_e32 v94, 7, v24
; %bb.575:                              ;   in Loop: Header=BB222_10 Depth=1
	s_or_b32 exec_lo, exec_lo, s16
	s_delay_alu instid0(VALU_DEP_1) | instskip(SKIP_1) | instid1(VALU_DEP_2)
	v_dual_lshlrev_b32 v3, 24, v3 :: v_dual_lshlrev_b32 v13, 20, v94
	v_lshl_add_u32 v12, v12, 23, 0x3c000000
	v_and_b32_e32 v3, 0x80000000, v3
	s_delay_alu instid0(VALU_DEP_1) | instskip(NEXT) | instid1(VALU_DEP_1)
	v_or3_b32 v94, v13, v3, v12
	v_mov_b64_e32 v[26:27], v[94:95]
.LBB222_576:                            ;   in Loop: Header=BB222_10 Depth=1
	s_or_b32 exec_lo, exec_lo, s11
.LBB222_577:                            ;   in Loop: Header=BB222_10 Depth=1
	s_delay_alu instid0(SALU_CYCLE_1)
	s_or_b32 exec_lo, exec_lo, s9
.LBB222_578:                            ;   in Loop: Header=BB222_10 Depth=1
	s_delay_alu instid0(SALU_CYCLE_1) | instskip(NEXT) | instid1(SALU_CYCLE_1)
	s_or_b32 exec_lo, exec_lo, s8
	s_mov_b32 s8, exec_lo
	v_cmpx_lt_u32_e32 0xffffff, v2
	s_cbranch_execz .LBB222_586
; %bb.579:                              ;   in Loop: Header=BB222_10 Depth=1
	v_mov_b64_e32 v[18:19], 0x8000000000000000
	v_lshrrev_b32_e32 v3, 24, v2
	s_mov_b32 s9, exec_lo
	s_delay_alu instid0(VALU_DEP_1)
	v_cmpx_ne_u32_e32 0x80, v3
	s_cbranch_execz .LBB222_585
; %bb.580:                              ;   in Loop: Header=BB222_10 Depth=1
	v_mov_b64_e32 v[18:19], 0x7f80000100000000
	v_bfe_u32 v12, v2, 24, 7
	s_mov_b32 s11, exec_lo
	s_delay_alu instid0(VALU_DEP_1)
	v_cmpx_ne_u32_e32 0x7f, v12
	s_cbranch_execz .LBB222_584
; %bb.581:                              ;   in Loop: Header=BB222_10 Depth=1
	v_dual_lshrrev_b32 v2, 3, v12 :: v_dual_bitop2_b32 v94, 7, v3 bitop3:0x40
	s_mov_b32 s16, exec_lo
	v_cmpx_gt_u32_e32 8, v12
; %bb.582:                              ;   in Loop: Header=BB222_10 Depth=1
	s_delay_alu instid0(VALU_DEP_2) | instskip(NEXT) | instid1(VALU_DEP_1)
	v_clz_i32_u32_e32 v2, v94
	v_min_u32_e32 v2, 32, v2
	s_delay_alu instid0(VALU_DEP_1) | instskip(NEXT) | instid1(VALU_DEP_1)
	v_subrev_nc_u32_e32 v12, 28, v2
	v_lshlrev_b64_e32 v[12:13], v12, v[94:95]
	s_delay_alu instid0(VALU_DEP_1)
	v_dual_sub_nc_u32 v2, 29, v2 :: v_dual_bitop2_b32 v94, 7, v12 bitop3:0x40
; %bb.583:                              ;   in Loop: Header=BB222_10 Depth=1
	s_or_b32 exec_lo, exec_lo, s16
	s_delay_alu instid0(VALU_DEP_1) | instskip(NEXT) | instid1(VALU_DEP_2)
	v_dual_lshlrev_b32 v3, 24, v3 :: v_dual_lshlrev_b32 v12, 20, v94
	v_lshl_add_u32 v2, v2, 23, 0x3c000000
	v_mov_b32_e32 v18, v95
	s_delay_alu instid0(VALU_DEP_3) | instskip(NEXT) | instid1(VALU_DEP_1)
	v_and_b32_e32 v3, 0x80000000, v3
	v_or3_b32 v19, v12, v3, v2
.LBB222_584:                            ;   in Loop: Header=BB222_10 Depth=1
	s_or_b32 exec_lo, exec_lo, s11
.LBB222_585:                            ;   in Loop: Header=BB222_10 Depth=1
	s_delay_alu instid0(SALU_CYCLE_1)
	s_or_b32 exec_lo, exec_lo, s9
.LBB222_586:                            ;   in Loop: Header=BB222_10 Depth=1
	s_delay_alu instid0(SALU_CYCLE_1)
	s_or_b32 exec_lo, exec_lo, s8
	flat_load_b32 v24, v[106:107] offset:2056
	v_mov_b64_e32 v[2:3], 0
	v_mov_b64_e32 v[30:31], 0
	s_mov_b32 s8, exec_lo
	s_wait_loadcnt_dscnt 0x0
	v_and_b32_e32 v12, 0xff, v24
	s_wait_xcnt 0x0
	s_delay_alu instid0(VALU_DEP_1)
	v_cmpx_ne_u16_e32 0, v12
	s_cbranch_execz .LBB222_594
; %bb.587:                              ;   in Loop: Header=BB222_10 Depth=1
	v_mov_b64_e32 v[30:31], 0x80000000
	s_mov_b32 s9, exec_lo
	v_cmpx_ne_u16_e32 0x80, v12
	s_cbranch_execz .LBB222_593
; %bb.588:                              ;   in Loop: Header=BB222_10 Depth=1
	v_mov_b64_e32 v[30:31], 0x7f800001
	v_and_b32_e32 v13, 0x7f, v24
	s_mov_b32 s11, exec_lo
	s_delay_alu instid0(VALU_DEP_1)
	v_cmpx_ne_u32_e32 0x7f, v13
	s_cbranch_execz .LBB222_592
; %bb.589:                              ;   in Loop: Header=BB222_10 Depth=1
	v_dual_lshrrev_b32 v12, 3, v13 :: v_dual_bitop2_b32 v94, 7, v24 bitop3:0x40
	s_mov_b32 s16, exec_lo
	v_cmpx_gt_u32_e32 8, v13
; %bb.590:                              ;   in Loop: Header=BB222_10 Depth=1
	s_delay_alu instid0(VALU_DEP_2) | instskip(NEXT) | instid1(VALU_DEP_1)
	v_clz_i32_u32_e32 v12, v94
	v_min_u32_e32 v12, 32, v12
	s_delay_alu instid0(VALU_DEP_1) | instskip(SKIP_1) | instid1(VALU_DEP_2)
	v_subrev_nc_u32_e32 v13, 28, v12
	v_sub_nc_u32_e32 v12, 29, v12
	v_lshlrev_b64_e32 v[28:29], v13, v[94:95]
	s_delay_alu instid0(VALU_DEP_1)
	v_and_b32_e32 v94, 7, v28
; %bb.591:                              ;   in Loop: Header=BB222_10 Depth=1
	s_or_b32 exec_lo, exec_lo, s16
	s_delay_alu instid0(VALU_DEP_1) | instskip(SKIP_1) | instid1(VALU_DEP_2)
	v_dual_lshlrev_b32 v13, 24, v24 :: v_dual_lshlrev_b32 v25, 20, v94
	v_lshl_add_u32 v12, v12, 23, 0x3c000000
	v_and_b32_e32 v13, 0x80000000, v13
	s_delay_alu instid0(VALU_DEP_1) | instskip(NEXT) | instid1(VALU_DEP_1)
	v_or3_b32 v94, v25, v13, v12
	v_mov_b64_e32 v[30:31], v[94:95]
.LBB222_592:                            ;   in Loop: Header=BB222_10 Depth=1
	s_or_b32 exec_lo, exec_lo, s11
.LBB222_593:                            ;   in Loop: Header=BB222_10 Depth=1
	s_delay_alu instid0(SALU_CYCLE_1)
	s_or_b32 exec_lo, exec_lo, s9
.LBB222_594:                            ;   in Loop: Header=BB222_10 Depth=1
	s_delay_alu instid0(SALU_CYCLE_1) | instskip(SKIP_2) | instid1(VALU_DEP_1)
	s_or_b32 exec_lo, exec_lo, s8
	v_lshrrev_b16 v12, 8, v24
	s_mov_b32 s8, exec_lo
	v_cmpx_ne_u16_e32 0, v12
	s_cbranch_execz .LBB222_602
; %bb.595:                              ;   in Loop: Header=BB222_10 Depth=1
	v_mov_b64_e32 v[2:3], 0x8000000000000000
	s_mov_b32 s9, exec_lo
	v_cmpx_ne_u16_e32 0x80, v12
	s_cbranch_execz .LBB222_601
; %bb.596:                              ;   in Loop: Header=BB222_10 Depth=1
	v_and_b32_e32 v13, 0xffff, v12
	v_mov_b64_e32 v[2:3], 0x7f80000100000000
	s_mov_b32 s11, exec_lo
	s_delay_alu instid0(VALU_DEP_2) | instskip(NEXT) | instid1(VALU_DEP_1)
	v_and_b32_e32 v12, 0x7f, v13
	v_cmpx_ne_u32_e32 0x7f, v12
	s_cbranch_execz .LBB222_600
; %bb.597:                              ;   in Loop: Header=BB222_10 Depth=1
	v_dual_lshrrev_b32 v2, 3, v12 :: v_dual_bitop2_b32 v94, 7, v13 bitop3:0x40
	s_mov_b32 s16, exec_lo
	v_cmpx_gt_u32_e32 8, v12
; %bb.598:                              ;   in Loop: Header=BB222_10 Depth=1
	s_delay_alu instid0(VALU_DEP_2) | instskip(NEXT) | instid1(VALU_DEP_1)
	v_clz_i32_u32_e32 v2, v94
	v_min_u32_e32 v2, 32, v2
	s_delay_alu instid0(VALU_DEP_1) | instskip(NEXT) | instid1(VALU_DEP_1)
	v_subrev_nc_u32_e32 v3, 28, v2
	v_lshlrev_b64_e32 v[12:13], v3, v[94:95]
	s_delay_alu instid0(VALU_DEP_1)
	v_dual_sub_nc_u32 v2, 29, v2 :: v_dual_bitop2_b32 v94, 7, v12 bitop3:0x40
; %bb.599:                              ;   in Loop: Header=BB222_10 Depth=1
	s_or_b32 exec_lo, exec_lo, s16
	s_delay_alu instid0(VALU_DEP_1) | instskip(NEXT) | instid1(VALU_DEP_2)
	v_dual_lshlrev_b32 v3, 16, v24 :: v_dual_lshlrev_b32 v12, 20, v94
	v_lshl_add_u32 v2, v2, 23, 0x3c000000
	s_delay_alu instid0(VALU_DEP_2) | instskip(NEXT) | instid1(VALU_DEP_1)
	v_and_b32_e32 v3, 0x80000000, v3
	v_or3_b32 v3, v12, v3, v2
	v_mov_b32_e32 v2, v95
.LBB222_600:                            ;   in Loop: Header=BB222_10 Depth=1
	s_or_b32 exec_lo, exec_lo, s11
.LBB222_601:                            ;   in Loop: Header=BB222_10 Depth=1
	s_delay_alu instid0(SALU_CYCLE_1)
	s_or_b32 exec_lo, exec_lo, s9
.LBB222_602:                            ;   in Loop: Header=BB222_10 Depth=1
	s_delay_alu instid0(SALU_CYCLE_1) | instskip(SKIP_4) | instid1(VALU_DEP_3)
	s_or_b32 exec_lo, exec_lo, s8
	v_lshrrev_b32_e32 v25, 16, v24
	v_mov_b64_e32 v[12:13], 0
	v_mov_b64_e32 v[34:35], 0
	s_mov_b32 s8, exec_lo
	v_and_b32_e32 v28, 0xff, v25
	s_delay_alu instid0(VALU_DEP_1)
	v_cmpx_ne_u16_e32 0, v28
	s_cbranch_execz .LBB222_610
; %bb.603:                              ;   in Loop: Header=BB222_10 Depth=1
	v_mov_b64_e32 v[34:35], 0x80000000
	s_mov_b32 s9, exec_lo
	v_cmpx_ne_u16_e32 0x80, v28
	s_cbranch_execz .LBB222_609
; %bb.604:                              ;   in Loop: Header=BB222_10 Depth=1
	v_mov_b64_e32 v[34:35], 0x7f800001
	v_bfe_u32 v29, v24, 16, 7
	s_mov_b32 s11, exec_lo
	s_delay_alu instid0(VALU_DEP_1)
	v_cmpx_ne_u32_e32 0x7f, v29
	s_cbranch_execz .LBB222_608
; %bb.605:                              ;   in Loop: Header=BB222_10 Depth=1
	v_and_b32_e32 v94, 7, v25
	v_lshrrev_b32_e32 v28, 3, v29
	s_mov_b32 s16, exec_lo
	v_cmpx_gt_u32_e32 8, v29
; %bb.606:                              ;   in Loop: Header=BB222_10 Depth=1
	s_delay_alu instid0(VALU_DEP_3) | instskip(NEXT) | instid1(VALU_DEP_1)
	v_clz_i32_u32_e32 v28, v94
	v_min_u32_e32 v28, 32, v28
	s_delay_alu instid0(VALU_DEP_1) | instskip(SKIP_1) | instid1(VALU_DEP_2)
	v_subrev_nc_u32_e32 v29, 28, v28
	v_sub_nc_u32_e32 v28, 29, v28
	v_lshlrev_b64_e32 v[32:33], v29, v[94:95]
	s_delay_alu instid0(VALU_DEP_1)
	v_and_b32_e32 v94, 7, v32
; %bb.607:                              ;   in Loop: Header=BB222_10 Depth=1
	s_or_b32 exec_lo, exec_lo, s16
	s_delay_alu instid0(VALU_DEP_1) | instskip(SKIP_1) | instid1(VALU_DEP_2)
	v_dual_lshlrev_b32 v25, 24, v25 :: v_dual_lshlrev_b32 v29, 20, v94
	v_lshl_add_u32 v28, v28, 23, 0x3c000000
	v_and_b32_e32 v25, 0x80000000, v25
	s_delay_alu instid0(VALU_DEP_1) | instskip(NEXT) | instid1(VALU_DEP_1)
	v_or3_b32 v94, v29, v25, v28
	v_mov_b64_e32 v[34:35], v[94:95]
.LBB222_608:                            ;   in Loop: Header=BB222_10 Depth=1
	s_or_b32 exec_lo, exec_lo, s11
.LBB222_609:                            ;   in Loop: Header=BB222_10 Depth=1
	s_delay_alu instid0(SALU_CYCLE_1)
	s_or_b32 exec_lo, exec_lo, s9
.LBB222_610:                            ;   in Loop: Header=BB222_10 Depth=1
	s_delay_alu instid0(SALU_CYCLE_1) | instskip(NEXT) | instid1(SALU_CYCLE_1)
	s_or_b32 exec_lo, exec_lo, s8
	s_mov_b32 s8, exec_lo
	v_cmpx_lt_u32_e32 0xffffff, v24
	s_cbranch_execz .LBB222_618
; %bb.611:                              ;   in Loop: Header=BB222_10 Depth=1
	v_mov_b64_e32 v[12:13], 0x8000000000000000
	v_lshrrev_b32_e32 v25, 24, v24
	s_mov_b32 s9, exec_lo
	s_delay_alu instid0(VALU_DEP_1)
	v_cmpx_ne_u32_e32 0x80, v25
	s_cbranch_execz .LBB222_617
; %bb.612:                              ;   in Loop: Header=BB222_10 Depth=1
	v_mov_b64_e32 v[12:13], 0x7f80000100000000
	v_bfe_u32 v24, v24, 24, 7
	s_mov_b32 s11, exec_lo
	s_delay_alu instid0(VALU_DEP_1)
	v_cmpx_ne_u32_e32 0x7f, v24
	s_cbranch_execz .LBB222_616
; %bb.613:                              ;   in Loop: Header=BB222_10 Depth=1
	v_dual_lshrrev_b32 v12, 3, v24 :: v_dual_bitop2_b32 v94, 7, v25 bitop3:0x40
	s_mov_b32 s16, exec_lo
	v_cmpx_gt_u32_e32 8, v24
; %bb.614:                              ;   in Loop: Header=BB222_10 Depth=1
	s_delay_alu instid0(VALU_DEP_2) | instskip(NEXT) | instid1(VALU_DEP_1)
	v_clz_i32_u32_e32 v12, v94
	v_min_u32_e32 v12, 32, v12
	s_delay_alu instid0(VALU_DEP_1) | instskip(SKIP_1) | instid1(VALU_DEP_2)
	v_subrev_nc_u32_e32 v13, 28, v12
	v_sub_nc_u32_e32 v12, 29, v12
	v_lshlrev_b64_e32 v[28:29], v13, v[94:95]
	s_delay_alu instid0(VALU_DEP_1)
	v_and_b32_e32 v94, 7, v28
; %bb.615:                              ;   in Loop: Header=BB222_10 Depth=1
	s_or_b32 exec_lo, exec_lo, s16
	s_delay_alu instid0(VALU_DEP_1) | instskip(SKIP_1) | instid1(VALU_DEP_2)
	v_dual_lshlrev_b32 v13, 24, v25 :: v_dual_lshlrev_b32 v24, 20, v94
	v_lshl_add_u32 v12, v12, 23, 0x3c000000
	v_and_b32_e32 v13, 0x80000000, v13
	s_delay_alu instid0(VALU_DEP_1)
	v_or3_b32 v13, v24, v13, v12
	v_mov_b32_e32 v12, v95
.LBB222_616:                            ;   in Loop: Header=BB222_10 Depth=1
	s_or_b32 exec_lo, exec_lo, s11
.LBB222_617:                            ;   in Loop: Header=BB222_10 Depth=1
	s_delay_alu instid0(SALU_CYCLE_1)
	s_or_b32 exec_lo, exec_lo, s9
.LBB222_618:                            ;   in Loop: Header=BB222_10 Depth=1
	s_delay_alu instid0(SALU_CYCLE_1)
	s_or_b32 exec_lo, exec_lo, s8
	flat_load_b32 v36, v[106:107] offset:2060
	v_mov_b64_e32 v[24:25], 0
	v_mov_b64_e32 v[28:29], 0
	s_mov_b32 s8, exec_lo
	s_wait_loadcnt_dscnt 0x0
	v_and_b32_e32 v32, 0xff, v36
	s_wait_xcnt 0x0
	s_delay_alu instid0(VALU_DEP_1)
	v_cmpx_ne_u16_e32 0, v32
	s_cbranch_execz .LBB222_626
; %bb.619:                              ;   in Loop: Header=BB222_10 Depth=1
	v_mov_b64_e32 v[28:29], 0x80000000
	s_mov_b32 s9, exec_lo
	v_cmpx_ne_u16_e32 0x80, v32
	s_cbranch_execz .LBB222_625
; %bb.620:                              ;   in Loop: Header=BB222_10 Depth=1
	v_mov_b64_e32 v[28:29], 0x7f800001
	v_and_b32_e32 v32, 0x7f, v36
	s_mov_b32 s11, exec_lo
	s_delay_alu instid0(VALU_DEP_1)
	v_cmpx_ne_u32_e32 0x7f, v32
	s_cbranch_execz .LBB222_624
; %bb.621:                              ;   in Loop: Header=BB222_10 Depth=1
	v_and_b32_e32 v94, 7, v36
	v_lshrrev_b32_e32 v28, 3, v32
	s_mov_b32 s16, exec_lo
	v_cmpx_gt_u32_e32 8, v32
; %bb.622:                              ;   in Loop: Header=BB222_10 Depth=1
	s_delay_alu instid0(VALU_DEP_3) | instskip(NEXT) | instid1(VALU_DEP_1)
	v_clz_i32_u32_e32 v28, v94
	v_min_u32_e32 v28, 32, v28
	s_delay_alu instid0(VALU_DEP_1) | instskip(SKIP_1) | instid1(VALU_DEP_2)
	v_subrev_nc_u32_e32 v29, 28, v28
	v_sub_nc_u32_e32 v28, 29, v28
	v_lshlrev_b64_e32 v[32:33], v29, v[94:95]
	s_delay_alu instid0(VALU_DEP_1)
	v_and_b32_e32 v94, 7, v32
; %bb.623:                              ;   in Loop: Header=BB222_10 Depth=1
	s_or_b32 exec_lo, exec_lo, s16
	s_delay_alu instid0(VALU_DEP_1) | instskip(SKIP_1) | instid1(VALU_DEP_2)
	v_dual_lshlrev_b32 v29, 24, v36 :: v_dual_lshlrev_b32 v32, 20, v94
	v_lshl_add_u32 v28, v28, 23, 0x3c000000
	v_and_b32_e32 v29, 0x80000000, v29
	s_delay_alu instid0(VALU_DEP_1) | instskip(NEXT) | instid1(VALU_DEP_1)
	v_or3_b32 v94, v32, v29, v28
	v_mov_b64_e32 v[28:29], v[94:95]
.LBB222_624:                            ;   in Loop: Header=BB222_10 Depth=1
	s_or_b32 exec_lo, exec_lo, s11
.LBB222_625:                            ;   in Loop: Header=BB222_10 Depth=1
	s_delay_alu instid0(SALU_CYCLE_1)
	s_or_b32 exec_lo, exec_lo, s9
.LBB222_626:                            ;   in Loop: Header=BB222_10 Depth=1
	s_delay_alu instid0(SALU_CYCLE_1) | instskip(SKIP_2) | instid1(VALU_DEP_1)
	s_or_b32 exec_lo, exec_lo, s8
	v_lshrrev_b16 v32, 8, v36
	s_mov_b32 s8, exec_lo
	v_cmpx_ne_u16_e32 0, v32
	s_cbranch_execz .LBB222_634
; %bb.627:                              ;   in Loop: Header=BB222_10 Depth=1
	v_mov_b64_e32 v[24:25], 0x8000000000000000
	s_mov_b32 s9, exec_lo
	v_cmpx_ne_u16_e32 0x80, v32
	s_cbranch_execz .LBB222_633
; %bb.628:                              ;   in Loop: Header=BB222_10 Depth=1
	v_and_b32_e32 v33, 0xffff, v32
	v_mov_b64_e32 v[24:25], 0x7f80000100000000
	s_mov_b32 s11, exec_lo
	s_delay_alu instid0(VALU_DEP_2) | instskip(NEXT) | instid1(VALU_DEP_1)
	v_and_b32_e32 v32, 0x7f, v33
	v_cmpx_ne_u32_e32 0x7f, v32
	s_cbranch_execz .LBB222_632
; %bb.629:                              ;   in Loop: Header=BB222_10 Depth=1
	v_dual_lshrrev_b32 v24, 3, v32 :: v_dual_bitop2_b32 v94, 7, v33 bitop3:0x40
	s_mov_b32 s16, exec_lo
	v_cmpx_gt_u32_e32 8, v32
; %bb.630:                              ;   in Loop: Header=BB222_10 Depth=1
	s_delay_alu instid0(VALU_DEP_2) | instskip(NEXT) | instid1(VALU_DEP_1)
	v_clz_i32_u32_e32 v24, v94
	v_min_u32_e32 v24, 32, v24
	s_delay_alu instid0(VALU_DEP_1) | instskip(SKIP_1) | instid1(VALU_DEP_2)
	v_subrev_nc_u32_e32 v25, 28, v24
	v_sub_nc_u32_e32 v24, 29, v24
	v_lshlrev_b64_e32 v[32:33], v25, v[94:95]
	s_delay_alu instid0(VALU_DEP_1)
	v_and_b32_e32 v94, 7, v32
; %bb.631:                              ;   in Loop: Header=BB222_10 Depth=1
	s_or_b32 exec_lo, exec_lo, s16
	s_delay_alu instid0(VALU_DEP_1) | instskip(SKIP_1) | instid1(VALU_DEP_2)
	v_dual_lshlrev_b32 v25, 16, v36 :: v_dual_lshlrev_b32 v32, 20, v94
	v_lshl_add_u32 v24, v24, 23, 0x3c000000
	v_and_b32_e32 v25, 0x80000000, v25
	s_delay_alu instid0(VALU_DEP_1)
	v_or3_b32 v25, v32, v25, v24
	v_mov_b32_e32 v24, v95
.LBB222_632:                            ;   in Loop: Header=BB222_10 Depth=1
	s_or_b32 exec_lo, exec_lo, s11
.LBB222_633:                            ;   in Loop: Header=BB222_10 Depth=1
	s_delay_alu instid0(SALU_CYCLE_1)
	s_or_b32 exec_lo, exec_lo, s9
.LBB222_634:                            ;   in Loop: Header=BB222_10 Depth=1
	s_delay_alu instid0(SALU_CYCLE_1) | instskip(SKIP_4) | instid1(VALU_DEP_3)
	s_or_b32 exec_lo, exec_lo, s8
	v_lshrrev_b32_e32 v37, 16, v36
	v_mov_b64_e32 v[38:39], 0
	v_mov_b64_e32 v[32:33], 0
	s_mov_b32 s8, exec_lo
	v_and_b32_e32 v48, 0xff, v37
	s_delay_alu instid0(VALU_DEP_1)
	v_cmpx_ne_u16_e32 0, v48
	s_cbranch_execz .LBB222_642
; %bb.635:                              ;   in Loop: Header=BB222_10 Depth=1
	v_mov_b64_e32 v[32:33], 0x80000000
	s_mov_b32 s9, exec_lo
	v_cmpx_ne_u16_e32 0x80, v48
	s_cbranch_execz .LBB222_641
; %bb.636:                              ;   in Loop: Header=BB222_10 Depth=1
	v_mov_b64_e32 v[32:33], 0x7f800001
	v_bfe_u32 v48, v36, 16, 7
	s_mov_b32 s11, exec_lo
	s_delay_alu instid0(VALU_DEP_1)
	v_cmpx_ne_u32_e32 0x7f, v48
	s_cbranch_execz .LBB222_640
; %bb.637:                              ;   in Loop: Header=BB222_10 Depth=1
	v_dual_lshrrev_b32 v32, 3, v48 :: v_dual_bitop2_b32 v94, 7, v37 bitop3:0x40
	s_mov_b32 s16, exec_lo
	v_cmpx_gt_u32_e32 8, v48
; %bb.638:                              ;   in Loop: Header=BB222_10 Depth=1
	s_delay_alu instid0(VALU_DEP_2) | instskip(NEXT) | instid1(VALU_DEP_1)
	v_clz_i32_u32_e32 v32, v94
	v_min_u32_e32 v32, 32, v32
	s_delay_alu instid0(VALU_DEP_1) | instskip(SKIP_1) | instid1(VALU_DEP_2)
	v_subrev_nc_u32_e32 v33, 28, v32
	v_sub_nc_u32_e32 v32, 29, v32
	v_lshlrev_b64_e32 v[48:49], v33, v[94:95]
	s_delay_alu instid0(VALU_DEP_1)
	v_and_b32_e32 v94, 7, v48
; %bb.639:                              ;   in Loop: Header=BB222_10 Depth=1
	s_or_b32 exec_lo, exec_lo, s16
	s_delay_alu instid0(VALU_DEP_1) | instskip(SKIP_1) | instid1(VALU_DEP_2)
	v_dual_lshlrev_b32 v33, 24, v37 :: v_dual_lshlrev_b32 v37, 20, v94
	v_lshl_add_u32 v32, v32, 23, 0x3c000000
	v_and_b32_e32 v33, 0x80000000, v33
	s_delay_alu instid0(VALU_DEP_1) | instskip(NEXT) | instid1(VALU_DEP_1)
	v_or3_b32 v94, v37, v33, v32
	v_mov_b64_e32 v[32:33], v[94:95]
.LBB222_640:                            ;   in Loop: Header=BB222_10 Depth=1
	s_or_b32 exec_lo, exec_lo, s11
.LBB222_641:                            ;   in Loop: Header=BB222_10 Depth=1
	s_delay_alu instid0(SALU_CYCLE_1)
	s_or_b32 exec_lo, exec_lo, s9
.LBB222_642:                            ;   in Loop: Header=BB222_10 Depth=1
	s_delay_alu instid0(SALU_CYCLE_1) | instskip(NEXT) | instid1(SALU_CYCLE_1)
	s_or_b32 exec_lo, exec_lo, s8
	s_mov_b32 s8, exec_lo
	v_cmpx_lt_u32_e32 0xffffff, v36
	s_cbranch_execz .LBB222_650
; %bb.643:                              ;   in Loop: Header=BB222_10 Depth=1
	v_mov_b64_e32 v[38:39], 0x8000000000000000
	v_lshrrev_b32_e32 v37, 24, v36
	s_mov_b32 s9, exec_lo
	s_delay_alu instid0(VALU_DEP_1)
	v_cmpx_ne_u32_e32 0x80, v37
	s_cbranch_execz .LBB222_649
; %bb.644:                              ;   in Loop: Header=BB222_10 Depth=1
	v_mov_b64_e32 v[38:39], 0x7f80000100000000
	v_bfe_u32 v48, v36, 24, 7
	s_mov_b32 s11, exec_lo
	s_delay_alu instid0(VALU_DEP_1)
	v_cmpx_ne_u32_e32 0x7f, v48
	s_cbranch_execz .LBB222_648
; %bb.645:                              ;   in Loop: Header=BB222_10 Depth=1
	v_dual_lshrrev_b32 v36, 3, v48 :: v_dual_bitop2_b32 v94, 7, v37 bitop3:0x40
	s_mov_b32 s16, exec_lo
	v_cmpx_gt_u32_e32 8, v48
; %bb.646:                              ;   in Loop: Header=BB222_10 Depth=1
	s_delay_alu instid0(VALU_DEP_2) | instskip(NEXT) | instid1(VALU_DEP_1)
	v_clz_i32_u32_e32 v36, v94
	v_min_u32_e32 v36, 32, v36
	s_delay_alu instid0(VALU_DEP_1) | instskip(NEXT) | instid1(VALU_DEP_1)
	v_subrev_nc_u32_e32 v38, 28, v36
	v_lshlrev_b64_e32 v[38:39], v38, v[94:95]
	s_delay_alu instid0(VALU_DEP_1)
	v_dual_sub_nc_u32 v36, 29, v36 :: v_dual_bitop2_b32 v94, 7, v38 bitop3:0x40
; %bb.647:                              ;   in Loop: Header=BB222_10 Depth=1
	s_or_b32 exec_lo, exec_lo, s16
	s_delay_alu instid0(VALU_DEP_1) | instskip(NEXT) | instid1(VALU_DEP_2)
	v_dual_lshlrev_b32 v37, 24, v37 :: v_dual_lshlrev_b32 v38, 20, v94
	v_lshl_add_u32 v36, v36, 23, 0x3c000000
	s_delay_alu instid0(VALU_DEP_2) | instskip(NEXT) | instid1(VALU_DEP_1)
	v_and_b32_e32 v37, 0x80000000, v37
	v_or3_b32 v39, v38, v37, v36
	v_mov_b32_e32 v38, v95
.LBB222_648:                            ;   in Loop: Header=BB222_10 Depth=1
	s_or_b32 exec_lo, exec_lo, s11
.LBB222_649:                            ;   in Loop: Header=BB222_10 Depth=1
	s_delay_alu instid0(SALU_CYCLE_1)
	s_or_b32 exec_lo, exec_lo, s9
.LBB222_650:                            ;   in Loop: Header=BB222_10 Depth=1
	s_delay_alu instid0(SALU_CYCLE_1)
	s_or_b32 exec_lo, exec_lo, s8
	flat_load_b32 v52, v[106:107] offset:2560
	v_mov_b64_e32 v[50:51], 0
	v_mov_b64_e32 v[36:37], 0
	s_mov_b32 s8, exec_lo
	s_wait_loadcnt_dscnt 0x0
	v_and_b32_e32 v48, 0xff, v52
	s_wait_xcnt 0x0
	s_delay_alu instid0(VALU_DEP_1)
	v_cmpx_ne_u16_e32 0, v48
	s_cbranch_execz .LBB222_658
; %bb.651:                              ;   in Loop: Header=BB222_10 Depth=1
	v_mov_b64_e32 v[36:37], 0x80000000
	s_mov_b32 s9, exec_lo
	v_cmpx_ne_u16_e32 0x80, v48
	s_cbranch_execz .LBB222_657
; %bb.652:                              ;   in Loop: Header=BB222_10 Depth=1
	v_mov_b64_e32 v[36:37], 0x7f800001
	v_and_b32_e32 v48, 0x7f, v52
	s_mov_b32 s11, exec_lo
	s_delay_alu instid0(VALU_DEP_1)
	v_cmpx_ne_u32_e32 0x7f, v48
	s_cbranch_execz .LBB222_656
; %bb.653:                              ;   in Loop: Header=BB222_10 Depth=1
	v_and_b32_e32 v94, 7, v52
	v_lshrrev_b32_e32 v36, 3, v48
	s_mov_b32 s16, exec_lo
	v_cmpx_gt_u32_e32 8, v48
; %bb.654:                              ;   in Loop: Header=BB222_10 Depth=1
	s_delay_alu instid0(VALU_DEP_3) | instskip(NEXT) | instid1(VALU_DEP_1)
	v_clz_i32_u32_e32 v36, v94
	v_min_u32_e32 v36, 32, v36
	s_delay_alu instid0(VALU_DEP_1) | instskip(SKIP_1) | instid1(VALU_DEP_2)
	v_subrev_nc_u32_e32 v37, 28, v36
	v_sub_nc_u32_e32 v36, 29, v36
	v_lshlrev_b64_e32 v[48:49], v37, v[94:95]
	s_delay_alu instid0(VALU_DEP_1)
	v_and_b32_e32 v94, 7, v48
; %bb.655:                              ;   in Loop: Header=BB222_10 Depth=1
	s_or_b32 exec_lo, exec_lo, s16
	s_delay_alu instid0(VALU_DEP_1) | instskip(SKIP_1) | instid1(VALU_DEP_2)
	v_dual_lshlrev_b32 v37, 24, v52 :: v_dual_lshlrev_b32 v48, 20, v94
	v_lshl_add_u32 v36, v36, 23, 0x3c000000
	v_and_b32_e32 v37, 0x80000000, v37
	s_delay_alu instid0(VALU_DEP_1) | instskip(NEXT) | instid1(VALU_DEP_1)
	v_or3_b32 v94, v48, v37, v36
	v_mov_b64_e32 v[36:37], v[94:95]
.LBB222_656:                            ;   in Loop: Header=BB222_10 Depth=1
	s_or_b32 exec_lo, exec_lo, s11
.LBB222_657:                            ;   in Loop: Header=BB222_10 Depth=1
	s_delay_alu instid0(SALU_CYCLE_1)
	s_or_b32 exec_lo, exec_lo, s9
.LBB222_658:                            ;   in Loop: Header=BB222_10 Depth=1
	s_delay_alu instid0(SALU_CYCLE_1) | instskip(SKIP_2) | instid1(VALU_DEP_1)
	s_or_b32 exec_lo, exec_lo, s8
	v_lshrrev_b16 v48, 8, v52
	s_mov_b32 s8, exec_lo
	v_cmpx_ne_u16_e32 0, v48
	s_cbranch_execz .LBB222_666
; %bb.659:                              ;   in Loop: Header=BB222_10 Depth=1
	v_mov_b64_e32 v[50:51], 0x8000000000000000
	s_mov_b32 s9, exec_lo
	v_cmpx_ne_u16_e32 0x80, v48
	s_cbranch_execz .LBB222_665
; %bb.660:                              ;   in Loop: Header=BB222_10 Depth=1
	v_and_b32_e32 v48, 0xffff, v48
	v_mov_b64_e32 v[50:51], 0x7f80000100000000
	s_mov_b32 s11, exec_lo
	s_delay_alu instid0(VALU_DEP_2) | instskip(NEXT) | instid1(VALU_DEP_1)
	v_and_b32_e32 v49, 0x7f, v48
	v_cmpx_ne_u32_e32 0x7f, v49
	s_cbranch_execz .LBB222_664
; %bb.661:                              ;   in Loop: Header=BB222_10 Depth=1
	v_dual_lshrrev_b32 v48, 3, v49 :: v_dual_bitop2_b32 v94, 7, v48 bitop3:0x40
	s_mov_b32 s16, exec_lo
	v_cmpx_gt_u32_e32 8, v49
; %bb.662:                              ;   in Loop: Header=BB222_10 Depth=1
	s_delay_alu instid0(VALU_DEP_2) | instskip(NEXT) | instid1(VALU_DEP_1)
	v_clz_i32_u32_e32 v48, v94
	v_min_u32_e32 v48, 32, v48
	s_delay_alu instid0(VALU_DEP_1) | instskip(NEXT) | instid1(VALU_DEP_1)
	v_subrev_nc_u32_e32 v49, 28, v48
	v_lshlrev_b64_e32 v[50:51], v49, v[94:95]
	s_delay_alu instid0(VALU_DEP_1)
	v_dual_sub_nc_u32 v48, 29, v48 :: v_dual_bitop2_b32 v94, 7, v50 bitop3:0x40
; %bb.663:                              ;   in Loop: Header=BB222_10 Depth=1
	s_or_b32 exec_lo, exec_lo, s16
	s_delay_alu instid0(VALU_DEP_1) | instskip(NEXT) | instid1(VALU_DEP_2)
	v_dual_lshlrev_b32 v49, 16, v52 :: v_dual_lshlrev_b32 v50, 20, v94
	v_lshl_add_u32 v48, v48, 23, 0x3c000000
	s_delay_alu instid0(VALU_DEP_2) | instskip(NEXT) | instid1(VALU_DEP_1)
	v_and_b32_e32 v49, 0x80000000, v49
	v_or3_b32 v51, v50, v49, v48
	v_mov_b32_e32 v50, v95
.LBB222_664:                            ;   in Loop: Header=BB222_10 Depth=1
	s_or_b32 exec_lo, exec_lo, s11
.LBB222_665:                            ;   in Loop: Header=BB222_10 Depth=1
	s_delay_alu instid0(SALU_CYCLE_1)
	s_or_b32 exec_lo, exec_lo, s9
.LBB222_666:                            ;   in Loop: Header=BB222_10 Depth=1
	s_delay_alu instid0(SALU_CYCLE_1) | instskip(SKIP_4) | instid1(VALU_DEP_3)
	s_or_b32 exec_lo, exec_lo, s8
	v_lshrrev_b32_e32 v53, 16, v52
	v_mov_b64_e32 v[54:55], 0
	v_mov_b64_e32 v[48:49], 0
	s_mov_b32 s8, exec_lo
	v_and_b32_e32 v64, 0xff, v53
	s_delay_alu instid0(VALU_DEP_1)
	v_cmpx_ne_u16_e32 0, v64
	s_cbranch_execz .LBB222_674
; %bb.667:                              ;   in Loop: Header=BB222_10 Depth=1
	v_mov_b64_e32 v[48:49], 0x80000000
	s_mov_b32 s9, exec_lo
	v_cmpx_ne_u16_e32 0x80, v64
	s_cbranch_execz .LBB222_673
; %bb.668:                              ;   in Loop: Header=BB222_10 Depth=1
	v_mov_b64_e32 v[48:49], 0x7f800001
	v_bfe_u32 v64, v52, 16, 7
	s_mov_b32 s11, exec_lo
	s_delay_alu instid0(VALU_DEP_1)
	v_cmpx_ne_u32_e32 0x7f, v64
	s_cbranch_execz .LBB222_672
; %bb.669:                              ;   in Loop: Header=BB222_10 Depth=1
	v_dual_lshrrev_b32 v48, 3, v64 :: v_dual_bitop2_b32 v94, 7, v53 bitop3:0x40
	s_mov_b32 s16, exec_lo
	v_cmpx_gt_u32_e32 8, v64
; %bb.670:                              ;   in Loop: Header=BB222_10 Depth=1
	s_delay_alu instid0(VALU_DEP_2) | instskip(NEXT) | instid1(VALU_DEP_1)
	v_clz_i32_u32_e32 v48, v94
	v_min_u32_e32 v48, 32, v48
	s_delay_alu instid0(VALU_DEP_1) | instskip(SKIP_1) | instid1(VALU_DEP_2)
	v_subrev_nc_u32_e32 v49, 28, v48
	v_sub_nc_u32_e32 v48, 29, v48
	v_lshlrev_b64_e32 v[64:65], v49, v[94:95]
	s_delay_alu instid0(VALU_DEP_1)
	v_and_b32_e32 v94, 7, v64
; %bb.671:                              ;   in Loop: Header=BB222_10 Depth=1
	s_or_b32 exec_lo, exec_lo, s16
	s_delay_alu instid0(VALU_DEP_1) | instskip(SKIP_1) | instid1(VALU_DEP_2)
	v_dual_lshlrev_b32 v49, 24, v53 :: v_dual_lshlrev_b32 v53, 20, v94
	v_lshl_add_u32 v48, v48, 23, 0x3c000000
	v_and_b32_e32 v49, 0x80000000, v49
	s_delay_alu instid0(VALU_DEP_1) | instskip(NEXT) | instid1(VALU_DEP_1)
	v_or3_b32 v94, v53, v49, v48
	v_mov_b64_e32 v[48:49], v[94:95]
.LBB222_672:                            ;   in Loop: Header=BB222_10 Depth=1
	s_or_b32 exec_lo, exec_lo, s11
.LBB222_673:                            ;   in Loop: Header=BB222_10 Depth=1
	s_delay_alu instid0(SALU_CYCLE_1)
	s_or_b32 exec_lo, exec_lo, s9
.LBB222_674:                            ;   in Loop: Header=BB222_10 Depth=1
	s_delay_alu instid0(SALU_CYCLE_1) | instskip(NEXT) | instid1(SALU_CYCLE_1)
	s_or_b32 exec_lo, exec_lo, s8
	s_mov_b32 s8, exec_lo
	v_cmpx_lt_u32_e32 0xffffff, v52
	s_cbranch_execz .LBB222_682
; %bb.675:                              ;   in Loop: Header=BB222_10 Depth=1
	v_mov_b64_e32 v[54:55], 0x8000000000000000
	v_lshrrev_b32_e32 v53, 24, v52
	s_mov_b32 s9, exec_lo
	s_delay_alu instid0(VALU_DEP_1)
	v_cmpx_ne_u32_e32 0x80, v53
	s_cbranch_execz .LBB222_681
; %bb.676:                              ;   in Loop: Header=BB222_10 Depth=1
	v_mov_b64_e32 v[54:55], 0x7f80000100000000
	v_bfe_u32 v64, v52, 24, 7
	s_mov_b32 s11, exec_lo
	s_delay_alu instid0(VALU_DEP_1)
	v_cmpx_ne_u32_e32 0x7f, v64
	s_cbranch_execz .LBB222_680
; %bb.677:                              ;   in Loop: Header=BB222_10 Depth=1
	v_dual_lshrrev_b32 v52, 3, v64 :: v_dual_bitop2_b32 v94, 7, v53 bitop3:0x40
	s_mov_b32 s16, exec_lo
	v_cmpx_gt_u32_e32 8, v64
; %bb.678:                              ;   in Loop: Header=BB222_10 Depth=1
	s_delay_alu instid0(VALU_DEP_2) | instskip(NEXT) | instid1(VALU_DEP_1)
	v_clz_i32_u32_e32 v52, v94
	v_min_u32_e32 v52, 32, v52
	s_delay_alu instid0(VALU_DEP_1) | instskip(NEXT) | instid1(VALU_DEP_1)
	v_subrev_nc_u32_e32 v54, 28, v52
	v_lshlrev_b64_e32 v[54:55], v54, v[94:95]
	s_delay_alu instid0(VALU_DEP_1)
	v_dual_sub_nc_u32 v52, 29, v52 :: v_dual_bitop2_b32 v94, 7, v54 bitop3:0x40
; %bb.679:                              ;   in Loop: Header=BB222_10 Depth=1
	s_or_b32 exec_lo, exec_lo, s16
	s_delay_alu instid0(VALU_DEP_1) | instskip(NEXT) | instid1(VALU_DEP_2)
	v_dual_lshlrev_b32 v53, 24, v53 :: v_dual_lshlrev_b32 v54, 20, v94
	v_lshl_add_u32 v52, v52, 23, 0x3c000000
	s_delay_alu instid0(VALU_DEP_2) | instskip(NEXT) | instid1(VALU_DEP_1)
	v_and_b32_e32 v53, 0x80000000, v53
	v_or3_b32 v55, v54, v53, v52
	v_mov_b32_e32 v54, v95
.LBB222_680:                            ;   in Loop: Header=BB222_10 Depth=1
	s_or_b32 exec_lo, exec_lo, s11
.LBB222_681:                            ;   in Loop: Header=BB222_10 Depth=1
	s_delay_alu instid0(SALU_CYCLE_1)
	s_or_b32 exec_lo, exec_lo, s9
.LBB222_682:                            ;   in Loop: Header=BB222_10 Depth=1
	s_delay_alu instid0(SALU_CYCLE_1)
	s_or_b32 exec_lo, exec_lo, s8
	flat_load_b32 v68, v[106:107] offset:2564
	v_mov_b64_e32 v[66:67], 0
	v_mov_b64_e32 v[52:53], 0
	s_mov_b32 s8, exec_lo
	s_wait_loadcnt_dscnt 0x0
	v_and_b32_e32 v64, 0xff, v68
	s_wait_xcnt 0x0
	s_delay_alu instid0(VALU_DEP_1)
	v_cmpx_ne_u16_e32 0, v64
	s_cbranch_execz .LBB222_690
; %bb.683:                              ;   in Loop: Header=BB222_10 Depth=1
	v_mov_b64_e32 v[52:53], 0x80000000
	s_mov_b32 s9, exec_lo
	v_cmpx_ne_u16_e32 0x80, v64
	s_cbranch_execz .LBB222_689
; %bb.684:                              ;   in Loop: Header=BB222_10 Depth=1
	v_mov_b64_e32 v[52:53], 0x7f800001
	v_and_b32_e32 v64, 0x7f, v68
	s_mov_b32 s11, exec_lo
	s_delay_alu instid0(VALU_DEP_1)
	v_cmpx_ne_u32_e32 0x7f, v64
	s_cbranch_execz .LBB222_688
; %bb.685:                              ;   in Loop: Header=BB222_10 Depth=1
	v_and_b32_e32 v94, 7, v68
	v_lshrrev_b32_e32 v52, 3, v64
	s_mov_b32 s16, exec_lo
	v_cmpx_gt_u32_e32 8, v64
; %bb.686:                              ;   in Loop: Header=BB222_10 Depth=1
	s_delay_alu instid0(VALU_DEP_3) | instskip(NEXT) | instid1(VALU_DEP_1)
	v_clz_i32_u32_e32 v52, v94
	v_min_u32_e32 v52, 32, v52
	s_delay_alu instid0(VALU_DEP_1) | instskip(SKIP_1) | instid1(VALU_DEP_2)
	v_subrev_nc_u32_e32 v53, 28, v52
	v_sub_nc_u32_e32 v52, 29, v52
	v_lshlrev_b64_e32 v[64:65], v53, v[94:95]
	s_delay_alu instid0(VALU_DEP_1)
	v_and_b32_e32 v94, 7, v64
; %bb.687:                              ;   in Loop: Header=BB222_10 Depth=1
	s_or_b32 exec_lo, exec_lo, s16
	s_delay_alu instid0(VALU_DEP_1) | instskip(SKIP_1) | instid1(VALU_DEP_2)
	v_dual_lshlrev_b32 v53, 24, v68 :: v_dual_lshlrev_b32 v64, 20, v94
	v_lshl_add_u32 v52, v52, 23, 0x3c000000
	v_and_b32_e32 v53, 0x80000000, v53
	s_delay_alu instid0(VALU_DEP_1) | instskip(NEXT) | instid1(VALU_DEP_1)
	v_or3_b32 v94, v64, v53, v52
	v_mov_b64_e32 v[52:53], v[94:95]
.LBB222_688:                            ;   in Loop: Header=BB222_10 Depth=1
	s_or_b32 exec_lo, exec_lo, s11
.LBB222_689:                            ;   in Loop: Header=BB222_10 Depth=1
	s_delay_alu instid0(SALU_CYCLE_1)
	s_or_b32 exec_lo, exec_lo, s9
.LBB222_690:                            ;   in Loop: Header=BB222_10 Depth=1
	s_delay_alu instid0(SALU_CYCLE_1) | instskip(SKIP_2) | instid1(VALU_DEP_1)
	s_or_b32 exec_lo, exec_lo, s8
	v_lshrrev_b16 v64, 8, v68
	s_mov_b32 s8, exec_lo
	v_cmpx_ne_u16_e32 0, v64
	s_cbranch_execz .LBB222_698
; %bb.691:                              ;   in Loop: Header=BB222_10 Depth=1
	v_mov_b64_e32 v[66:67], 0x8000000000000000
	s_mov_b32 s9, exec_lo
	v_cmpx_ne_u16_e32 0x80, v64
	s_cbranch_execz .LBB222_697
; %bb.692:                              ;   in Loop: Header=BB222_10 Depth=1
	v_and_b32_e32 v64, 0xffff, v64
	v_mov_b64_e32 v[66:67], 0x7f80000100000000
	s_mov_b32 s11, exec_lo
	s_delay_alu instid0(VALU_DEP_2) | instskip(NEXT) | instid1(VALU_DEP_1)
	v_and_b32_e32 v65, 0x7f, v64
	v_cmpx_ne_u32_e32 0x7f, v65
	s_cbranch_execz .LBB222_696
; %bb.693:                              ;   in Loop: Header=BB222_10 Depth=1
	v_dual_lshrrev_b32 v64, 3, v65 :: v_dual_bitop2_b32 v94, 7, v64 bitop3:0x40
	s_mov_b32 s16, exec_lo
	v_cmpx_gt_u32_e32 8, v65
; %bb.694:                              ;   in Loop: Header=BB222_10 Depth=1
	s_delay_alu instid0(VALU_DEP_2) | instskip(NEXT) | instid1(VALU_DEP_1)
	v_clz_i32_u32_e32 v64, v94
	v_min_u32_e32 v64, 32, v64
	s_delay_alu instid0(VALU_DEP_1) | instskip(NEXT) | instid1(VALU_DEP_1)
	v_subrev_nc_u32_e32 v65, 28, v64
	v_lshlrev_b64_e32 v[66:67], v65, v[94:95]
	s_delay_alu instid0(VALU_DEP_1)
	v_dual_sub_nc_u32 v64, 29, v64 :: v_dual_bitop2_b32 v94, 7, v66 bitop3:0x40
; %bb.695:                              ;   in Loop: Header=BB222_10 Depth=1
	s_or_b32 exec_lo, exec_lo, s16
	s_delay_alu instid0(VALU_DEP_1) | instskip(NEXT) | instid1(VALU_DEP_2)
	v_dual_lshlrev_b32 v65, 16, v68 :: v_dual_lshlrev_b32 v66, 20, v94
	v_lshl_add_u32 v64, v64, 23, 0x3c000000
	s_delay_alu instid0(VALU_DEP_2) | instskip(NEXT) | instid1(VALU_DEP_1)
	v_and_b32_e32 v65, 0x80000000, v65
	v_or3_b32 v67, v66, v65, v64
	v_mov_b32_e32 v66, v95
.LBB222_696:                            ;   in Loop: Header=BB222_10 Depth=1
	s_or_b32 exec_lo, exec_lo, s11
.LBB222_697:                            ;   in Loop: Header=BB222_10 Depth=1
	s_delay_alu instid0(SALU_CYCLE_1)
	s_or_b32 exec_lo, exec_lo, s9
.LBB222_698:                            ;   in Loop: Header=BB222_10 Depth=1
	s_delay_alu instid0(SALU_CYCLE_1) | instskip(SKIP_4) | instid1(VALU_DEP_3)
	s_or_b32 exec_lo, exec_lo, s8
	v_lshrrev_b32_e32 v69, 16, v68
	v_mov_b64_e32 v[70:71], 0
	v_mov_b64_e32 v[64:65], 0
	s_mov_b32 s8, exec_lo
	v_and_b32_e32 v80, 0xff, v69
	s_delay_alu instid0(VALU_DEP_1)
	v_cmpx_ne_u16_e32 0, v80
	s_cbranch_execz .LBB222_706
; %bb.699:                              ;   in Loop: Header=BB222_10 Depth=1
	v_mov_b64_e32 v[64:65], 0x80000000
	s_mov_b32 s9, exec_lo
	v_cmpx_ne_u16_e32 0x80, v80
	s_cbranch_execz .LBB222_705
; %bb.700:                              ;   in Loop: Header=BB222_10 Depth=1
	v_mov_b64_e32 v[64:65], 0x7f800001
	v_bfe_u32 v80, v68, 16, 7
	s_mov_b32 s11, exec_lo
	s_delay_alu instid0(VALU_DEP_1)
	v_cmpx_ne_u32_e32 0x7f, v80
	s_cbranch_execz .LBB222_704
; %bb.701:                              ;   in Loop: Header=BB222_10 Depth=1
	v_dual_lshrrev_b32 v64, 3, v80 :: v_dual_bitop2_b32 v94, 7, v69 bitop3:0x40
	s_mov_b32 s16, exec_lo
	v_cmpx_gt_u32_e32 8, v80
; %bb.702:                              ;   in Loop: Header=BB222_10 Depth=1
	s_delay_alu instid0(VALU_DEP_2) | instskip(NEXT) | instid1(VALU_DEP_1)
	v_clz_i32_u32_e32 v64, v94
	v_min_u32_e32 v64, 32, v64
	s_delay_alu instid0(VALU_DEP_1) | instskip(SKIP_1) | instid1(VALU_DEP_2)
	v_subrev_nc_u32_e32 v65, 28, v64
	v_sub_nc_u32_e32 v64, 29, v64
	v_lshlrev_b64_e32 v[80:81], v65, v[94:95]
	s_delay_alu instid0(VALU_DEP_1)
	v_and_b32_e32 v94, 7, v80
; %bb.703:                              ;   in Loop: Header=BB222_10 Depth=1
	s_or_b32 exec_lo, exec_lo, s16
	s_delay_alu instid0(VALU_DEP_1) | instskip(SKIP_1) | instid1(VALU_DEP_2)
	v_dual_lshlrev_b32 v65, 24, v69 :: v_dual_lshlrev_b32 v69, 20, v94
	v_lshl_add_u32 v64, v64, 23, 0x3c000000
	v_and_b32_e32 v65, 0x80000000, v65
	s_delay_alu instid0(VALU_DEP_1) | instskip(NEXT) | instid1(VALU_DEP_1)
	v_or3_b32 v94, v69, v65, v64
	v_mov_b64_e32 v[64:65], v[94:95]
.LBB222_704:                            ;   in Loop: Header=BB222_10 Depth=1
	s_or_b32 exec_lo, exec_lo, s11
.LBB222_705:                            ;   in Loop: Header=BB222_10 Depth=1
	s_delay_alu instid0(SALU_CYCLE_1)
	s_or_b32 exec_lo, exec_lo, s9
.LBB222_706:                            ;   in Loop: Header=BB222_10 Depth=1
	s_delay_alu instid0(SALU_CYCLE_1) | instskip(NEXT) | instid1(SALU_CYCLE_1)
	s_or_b32 exec_lo, exec_lo, s8
	s_mov_b32 s8, exec_lo
	v_cmpx_lt_u32_e32 0xffffff, v68
	s_cbranch_execz .LBB222_714
; %bb.707:                              ;   in Loop: Header=BB222_10 Depth=1
	v_mov_b64_e32 v[70:71], 0x8000000000000000
	v_lshrrev_b32_e32 v69, 24, v68
	s_mov_b32 s9, exec_lo
	s_delay_alu instid0(VALU_DEP_1)
	v_cmpx_ne_u32_e32 0x80, v69
	s_cbranch_execz .LBB222_713
; %bb.708:                              ;   in Loop: Header=BB222_10 Depth=1
	v_mov_b64_e32 v[70:71], 0x7f80000100000000
	v_bfe_u32 v80, v68, 24, 7
	s_mov_b32 s11, exec_lo
	s_delay_alu instid0(VALU_DEP_1)
	v_cmpx_ne_u32_e32 0x7f, v80
	s_cbranch_execz .LBB222_712
; %bb.709:                              ;   in Loop: Header=BB222_10 Depth=1
	v_dual_lshrrev_b32 v68, 3, v80 :: v_dual_bitop2_b32 v94, 7, v69 bitop3:0x40
	s_mov_b32 s16, exec_lo
	v_cmpx_gt_u32_e32 8, v80
; %bb.710:                              ;   in Loop: Header=BB222_10 Depth=1
	s_delay_alu instid0(VALU_DEP_2) | instskip(NEXT) | instid1(VALU_DEP_1)
	v_clz_i32_u32_e32 v68, v94
	v_min_u32_e32 v68, 32, v68
	s_delay_alu instid0(VALU_DEP_1) | instskip(NEXT) | instid1(VALU_DEP_1)
	v_subrev_nc_u32_e32 v70, 28, v68
	v_lshlrev_b64_e32 v[70:71], v70, v[94:95]
	s_delay_alu instid0(VALU_DEP_1)
	v_dual_sub_nc_u32 v68, 29, v68 :: v_dual_bitop2_b32 v94, 7, v70 bitop3:0x40
; %bb.711:                              ;   in Loop: Header=BB222_10 Depth=1
	s_or_b32 exec_lo, exec_lo, s16
	s_delay_alu instid0(VALU_DEP_1) | instskip(NEXT) | instid1(VALU_DEP_2)
	v_dual_lshlrev_b32 v69, 24, v69 :: v_dual_lshlrev_b32 v70, 20, v94
	v_lshl_add_u32 v68, v68, 23, 0x3c000000
	s_delay_alu instid0(VALU_DEP_2) | instskip(NEXT) | instid1(VALU_DEP_1)
	v_and_b32_e32 v69, 0x80000000, v69
	v_or3_b32 v71, v70, v69, v68
	v_mov_b32_e32 v70, v95
.LBB222_712:                            ;   in Loop: Header=BB222_10 Depth=1
	s_or_b32 exec_lo, exec_lo, s11
.LBB222_713:                            ;   in Loop: Header=BB222_10 Depth=1
	s_delay_alu instid0(SALU_CYCLE_1)
	s_or_b32 exec_lo, exec_lo, s9
.LBB222_714:                            ;   in Loop: Header=BB222_10 Depth=1
	s_delay_alu instid0(SALU_CYCLE_1)
	s_or_b32 exec_lo, exec_lo, s8
	flat_load_b32 v84, v[106:107] offset:2568
	v_mov_b64_e32 v[82:83], 0
	v_mov_b64_e32 v[68:69], 0
	s_mov_b32 s8, exec_lo
	s_wait_loadcnt_dscnt 0x0
	v_and_b32_e32 v80, 0xff, v84
	s_wait_xcnt 0x0
	s_delay_alu instid0(VALU_DEP_1)
	v_cmpx_ne_u16_e32 0, v80
	s_cbranch_execz .LBB222_722
; %bb.715:                              ;   in Loop: Header=BB222_10 Depth=1
	v_mov_b64_e32 v[68:69], 0x80000000
	s_mov_b32 s9, exec_lo
	v_cmpx_ne_u16_e32 0x80, v80
	s_cbranch_execz .LBB222_721
; %bb.716:                              ;   in Loop: Header=BB222_10 Depth=1
	v_mov_b64_e32 v[68:69], 0x7f800001
	v_and_b32_e32 v80, 0x7f, v84
	s_mov_b32 s11, exec_lo
	s_delay_alu instid0(VALU_DEP_1)
	v_cmpx_ne_u32_e32 0x7f, v80
	s_cbranch_execz .LBB222_720
; %bb.717:                              ;   in Loop: Header=BB222_10 Depth=1
	v_and_b32_e32 v94, 7, v84
	v_lshrrev_b32_e32 v68, 3, v80
	s_mov_b32 s16, exec_lo
	v_cmpx_gt_u32_e32 8, v80
; %bb.718:                              ;   in Loop: Header=BB222_10 Depth=1
	s_delay_alu instid0(VALU_DEP_3) | instskip(NEXT) | instid1(VALU_DEP_1)
	v_clz_i32_u32_e32 v68, v94
	v_min_u32_e32 v68, 32, v68
	s_delay_alu instid0(VALU_DEP_1) | instskip(SKIP_1) | instid1(VALU_DEP_2)
	v_subrev_nc_u32_e32 v69, 28, v68
	v_sub_nc_u32_e32 v68, 29, v68
	v_lshlrev_b64_e32 v[80:81], v69, v[94:95]
	s_delay_alu instid0(VALU_DEP_1)
	v_and_b32_e32 v94, 7, v80
; %bb.719:                              ;   in Loop: Header=BB222_10 Depth=1
	s_or_b32 exec_lo, exec_lo, s16
	s_delay_alu instid0(VALU_DEP_1) | instskip(SKIP_1) | instid1(VALU_DEP_2)
	v_dual_lshlrev_b32 v69, 24, v84 :: v_dual_lshlrev_b32 v80, 20, v94
	v_lshl_add_u32 v68, v68, 23, 0x3c000000
	v_and_b32_e32 v69, 0x80000000, v69
	s_delay_alu instid0(VALU_DEP_1) | instskip(NEXT) | instid1(VALU_DEP_1)
	v_or3_b32 v94, v80, v69, v68
	v_mov_b64_e32 v[68:69], v[94:95]
.LBB222_720:                            ;   in Loop: Header=BB222_10 Depth=1
	s_or_b32 exec_lo, exec_lo, s11
.LBB222_721:                            ;   in Loop: Header=BB222_10 Depth=1
	s_delay_alu instid0(SALU_CYCLE_1)
	s_or_b32 exec_lo, exec_lo, s9
.LBB222_722:                            ;   in Loop: Header=BB222_10 Depth=1
	s_delay_alu instid0(SALU_CYCLE_1) | instskip(SKIP_2) | instid1(VALU_DEP_1)
	s_or_b32 exec_lo, exec_lo, s8
	v_lshrrev_b16 v80, 8, v84
	s_mov_b32 s8, exec_lo
	v_cmpx_ne_u16_e32 0, v80
	s_cbranch_execz .LBB222_730
; %bb.723:                              ;   in Loop: Header=BB222_10 Depth=1
	v_mov_b64_e32 v[82:83], 0x8000000000000000
	s_mov_b32 s9, exec_lo
	v_cmpx_ne_u16_e32 0x80, v80
	s_cbranch_execz .LBB222_729
; %bb.724:                              ;   in Loop: Header=BB222_10 Depth=1
	v_and_b32_e32 v80, 0xffff, v80
	v_mov_b64_e32 v[82:83], 0x7f80000100000000
	s_mov_b32 s11, exec_lo
	s_delay_alu instid0(VALU_DEP_2) | instskip(NEXT) | instid1(VALU_DEP_1)
	v_and_b32_e32 v81, 0x7f, v80
	v_cmpx_ne_u32_e32 0x7f, v81
	s_cbranch_execz .LBB222_728
; %bb.725:                              ;   in Loop: Header=BB222_10 Depth=1
	v_dual_lshrrev_b32 v80, 3, v81 :: v_dual_bitop2_b32 v94, 7, v80 bitop3:0x40
	s_mov_b32 s16, exec_lo
	v_cmpx_gt_u32_e32 8, v81
; %bb.726:                              ;   in Loop: Header=BB222_10 Depth=1
	s_delay_alu instid0(VALU_DEP_2) | instskip(NEXT) | instid1(VALU_DEP_1)
	v_clz_i32_u32_e32 v80, v94
	v_min_u32_e32 v80, 32, v80
	s_delay_alu instid0(VALU_DEP_1) | instskip(NEXT) | instid1(VALU_DEP_1)
	v_subrev_nc_u32_e32 v81, 28, v80
	v_lshlrev_b64_e32 v[82:83], v81, v[94:95]
	s_delay_alu instid0(VALU_DEP_1)
	v_dual_sub_nc_u32 v80, 29, v80 :: v_dual_bitop2_b32 v94, 7, v82 bitop3:0x40
; %bb.727:                              ;   in Loop: Header=BB222_10 Depth=1
	s_or_b32 exec_lo, exec_lo, s16
	s_delay_alu instid0(VALU_DEP_1) | instskip(NEXT) | instid1(VALU_DEP_2)
	v_dual_lshlrev_b32 v81, 16, v84 :: v_dual_lshlrev_b32 v82, 20, v94
	v_lshl_add_u32 v80, v80, 23, 0x3c000000
	s_delay_alu instid0(VALU_DEP_2) | instskip(NEXT) | instid1(VALU_DEP_1)
	v_and_b32_e32 v81, 0x80000000, v81
	v_or3_b32 v83, v82, v81, v80
	v_mov_b32_e32 v82, v95
.LBB222_728:                            ;   in Loop: Header=BB222_10 Depth=1
	s_or_b32 exec_lo, exec_lo, s11
.LBB222_729:                            ;   in Loop: Header=BB222_10 Depth=1
	s_delay_alu instid0(SALU_CYCLE_1)
	s_or_b32 exec_lo, exec_lo, s9
.LBB222_730:                            ;   in Loop: Header=BB222_10 Depth=1
	s_delay_alu instid0(SALU_CYCLE_1) | instskip(SKIP_4) | instid1(VALU_DEP_3)
	s_or_b32 exec_lo, exec_lo, s8
	v_lshrrev_b32_e32 v85, 16, v84
	v_mov_b64_e32 v[80:81], 0
	v_mov_b64_e32 v[98:99], 0
	s_mov_b32 s8, exec_lo
	v_and_b32_e32 v86, 0xff, v85
	s_delay_alu instid0(VALU_DEP_1)
	v_cmpx_ne_u16_e32 0, v86
	s_cbranch_execz .LBB222_738
; %bb.731:                              ;   in Loop: Header=BB222_10 Depth=1
	v_mov_b64_e32 v[98:99], 0x80000000
	s_mov_b32 s9, exec_lo
	v_cmpx_ne_u16_e32 0x80, v86
	s_cbranch_execz .LBB222_737
; %bb.732:                              ;   in Loop: Header=BB222_10 Depth=1
	v_mov_b64_e32 v[98:99], 0x7f800001
	v_bfe_u32 v87, v84, 16, 7
	s_mov_b32 s11, exec_lo
	s_delay_alu instid0(VALU_DEP_1)
	v_cmpx_ne_u32_e32 0x7f, v87
	s_cbranch_execz .LBB222_736
; %bb.733:                              ;   in Loop: Header=BB222_10 Depth=1
	v_dual_lshrrev_b32 v86, 3, v87 :: v_dual_bitop2_b32 v94, 7, v85 bitop3:0x40
	s_mov_b32 s16, exec_lo
	v_cmpx_gt_u32_e32 8, v87
; %bb.734:                              ;   in Loop: Header=BB222_10 Depth=1
	s_delay_alu instid0(VALU_DEP_2) | instskip(NEXT) | instid1(VALU_DEP_1)
	v_clz_i32_u32_e32 v86, v94
	v_min_u32_e32 v86, 32, v86
	s_delay_alu instid0(VALU_DEP_1) | instskip(NEXT) | instid1(VALU_DEP_1)
	v_subrev_nc_u32_e32 v87, 28, v86
	v_lshlrev_b64_e32 v[96:97], v87, v[94:95]
	s_delay_alu instid0(VALU_DEP_1)
	v_dual_sub_nc_u32 v86, 29, v86 :: v_dual_bitop2_b32 v94, 7, v96 bitop3:0x40
; %bb.735:                              ;   in Loop: Header=BB222_10 Depth=1
	s_or_b32 exec_lo, exec_lo, s16
	s_delay_alu instid0(VALU_DEP_1) | instskip(NEXT) | instid1(VALU_DEP_2)
	v_dual_lshlrev_b32 v85, 24, v85 :: v_dual_lshlrev_b32 v87, 20, v94
	v_lshl_add_u32 v86, v86, 23, 0x3c000000
	s_delay_alu instid0(VALU_DEP_2) | instskip(NEXT) | instid1(VALU_DEP_1)
	v_and_b32_e32 v85, 0x80000000, v85
	v_or3_b32 v94, v87, v85, v86
	s_delay_alu instid0(VALU_DEP_1)
	v_mov_b64_e32 v[98:99], v[94:95]
.LBB222_736:                            ;   in Loop: Header=BB222_10 Depth=1
	s_or_b32 exec_lo, exec_lo, s11
.LBB222_737:                            ;   in Loop: Header=BB222_10 Depth=1
	s_delay_alu instid0(SALU_CYCLE_1)
	s_or_b32 exec_lo, exec_lo, s9
.LBB222_738:                            ;   in Loop: Header=BB222_10 Depth=1
	s_delay_alu instid0(SALU_CYCLE_1) | instskip(NEXT) | instid1(SALU_CYCLE_1)
	s_or_b32 exec_lo, exec_lo, s8
	s_mov_b32 s8, exec_lo
	v_cmpx_lt_u32_e32 0xffffff, v84
	s_cbranch_execz .LBB222_746
; %bb.739:                              ;   in Loop: Header=BB222_10 Depth=1
	v_mov_b64_e32 v[80:81], 0x8000000000000000
	v_lshrrev_b32_e32 v85, 24, v84
	s_mov_b32 s9, exec_lo
	s_delay_alu instid0(VALU_DEP_1)
	v_cmpx_ne_u32_e32 0x80, v85
	s_cbranch_execz .LBB222_745
; %bb.740:                              ;   in Loop: Header=BB222_10 Depth=1
	v_mov_b64_e32 v[80:81], 0x7f80000100000000
	v_bfe_u32 v84, v84, 24, 7
	s_mov_b32 s11, exec_lo
	s_delay_alu instid0(VALU_DEP_1)
	v_cmpx_ne_u32_e32 0x7f, v84
	s_cbranch_execz .LBB222_744
; %bb.741:                              ;   in Loop: Header=BB222_10 Depth=1
	v_dual_lshrrev_b32 v80, 3, v84 :: v_dual_bitop2_b32 v94, 7, v85 bitop3:0x40
	s_mov_b32 s16, exec_lo
	v_cmpx_gt_u32_e32 8, v84
; %bb.742:                              ;   in Loop: Header=BB222_10 Depth=1
	s_delay_alu instid0(VALU_DEP_2) | instskip(NEXT) | instid1(VALU_DEP_1)
	v_clz_i32_u32_e32 v80, v94
	v_min_u32_e32 v80, 32, v80
	s_delay_alu instid0(VALU_DEP_1) | instskip(NEXT) | instid1(VALU_DEP_1)
	v_subrev_nc_u32_e32 v81, 28, v80
	v_lshlrev_b64_e32 v[86:87], v81, v[94:95]
	s_delay_alu instid0(VALU_DEP_1)
	v_dual_sub_nc_u32 v80, 29, v80 :: v_dual_bitop2_b32 v94, 7, v86 bitop3:0x40
; %bb.743:                              ;   in Loop: Header=BB222_10 Depth=1
	s_or_b32 exec_lo, exec_lo, s16
	s_delay_alu instid0(VALU_DEP_1) | instskip(NEXT) | instid1(VALU_DEP_2)
	v_dual_lshlrev_b32 v81, 24, v85 :: v_dual_lshlrev_b32 v84, 20, v94
	v_lshl_add_u32 v80, v80, 23, 0x3c000000
	s_delay_alu instid0(VALU_DEP_2) | instskip(NEXT) | instid1(VALU_DEP_1)
	v_and_b32_e32 v81, 0x80000000, v81
	v_or3_b32 v81, v84, v81, v80
	v_mov_b32_e32 v80, v95
.LBB222_744:                            ;   in Loop: Header=BB222_10 Depth=1
	s_or_b32 exec_lo, exec_lo, s11
.LBB222_745:                            ;   in Loop: Header=BB222_10 Depth=1
	s_delay_alu instid0(SALU_CYCLE_1)
	s_or_b32 exec_lo, exec_lo, s9
.LBB222_746:                            ;   in Loop: Header=BB222_10 Depth=1
	s_delay_alu instid0(SALU_CYCLE_1)
	s_or_b32 exec_lo, exec_lo, s8
	flat_load_b32 v96, v[106:107] offset:2572
	s_wait_xcnt 0x0
	v_mov_b64_e32 v[106:107], 0
	v_mov_b64_e32 v[86:87], 0
	s_mov_b32 s8, exec_lo
	s_wait_loadcnt_dscnt 0x0
	v_and_b32_e32 v84, 0xff, v96
	s_delay_alu instid0(VALU_DEP_1)
	v_cmpx_ne_u16_e32 0, v84
	s_cbranch_execz .LBB222_754
; %bb.747:                              ;   in Loop: Header=BB222_10 Depth=1
	v_mov_b64_e32 v[86:87], 0x80000000
	s_mov_b32 s9, exec_lo
	v_cmpx_ne_u16_e32 0x80, v84
	s_cbranch_execz .LBB222_753
; %bb.748:                              ;   in Loop: Header=BB222_10 Depth=1
	v_mov_b64_e32 v[86:87], 0x7f800001
	v_and_b32_e32 v85, 0x7f, v96
	s_mov_b32 s11, exec_lo
	s_delay_alu instid0(VALU_DEP_1)
	v_cmpx_ne_u32_e32 0x7f, v85
	s_cbranch_execz .LBB222_752
; %bb.749:                              ;   in Loop: Header=BB222_10 Depth=1
	v_dual_lshrrev_b32 v84, 3, v85 :: v_dual_bitop2_b32 v94, 7, v96 bitop3:0x40
	s_mov_b32 s16, exec_lo
	v_cmpx_gt_u32_e32 8, v85
; %bb.750:                              ;   in Loop: Header=BB222_10 Depth=1
	s_delay_alu instid0(VALU_DEP_2) | instskip(NEXT) | instid1(VALU_DEP_1)
	v_clz_i32_u32_e32 v84, v94
	v_min_u32_e32 v84, 32, v84
	s_delay_alu instid0(VALU_DEP_1) | instskip(NEXT) | instid1(VALU_DEP_1)
	v_subrev_nc_u32_e32 v85, 28, v84
	v_lshlrev_b64_e32 v[86:87], v85, v[94:95]
	s_delay_alu instid0(VALU_DEP_1)
	v_dual_sub_nc_u32 v84, 29, v84 :: v_dual_bitop2_b32 v94, 7, v86 bitop3:0x40
; %bb.751:                              ;   in Loop: Header=BB222_10 Depth=1
	s_or_b32 exec_lo, exec_lo, s16
	s_delay_alu instid0(VALU_DEP_1) | instskip(NEXT) | instid1(VALU_DEP_2)
	v_dual_lshlrev_b32 v85, 24, v96 :: v_dual_lshlrev_b32 v86, 20, v94
	v_lshl_add_u32 v84, v84, 23, 0x3c000000
	s_delay_alu instid0(VALU_DEP_2) | instskip(NEXT) | instid1(VALU_DEP_1)
	v_and_b32_e32 v85, 0x80000000, v85
	v_or3_b32 v94, v86, v85, v84
	s_delay_alu instid0(VALU_DEP_1)
	v_mov_b64_e32 v[86:87], v[94:95]
.LBB222_752:                            ;   in Loop: Header=BB222_10 Depth=1
	s_or_b32 exec_lo, exec_lo, s11
.LBB222_753:                            ;   in Loop: Header=BB222_10 Depth=1
	s_delay_alu instid0(SALU_CYCLE_1)
	s_or_b32 exec_lo, exec_lo, s9
.LBB222_754:                            ;   in Loop: Header=BB222_10 Depth=1
	s_delay_alu instid0(SALU_CYCLE_1) | instskip(SKIP_2) | instid1(VALU_DEP_1)
	s_or_b32 exec_lo, exec_lo, s8
	v_lshrrev_b16 v84, 8, v96
	s_mov_b32 s8, exec_lo
	v_cmpx_ne_u16_e32 0, v84
	s_cbranch_execz .LBB222_762
; %bb.755:                              ;   in Loop: Header=BB222_10 Depth=1
	v_mov_b64_e32 v[106:107], 0x8000000000000000
	s_mov_b32 s9, exec_lo
	v_cmpx_ne_u16_e32 0x80, v84
	s_cbranch_execz .LBB222_761
; %bb.756:                              ;   in Loop: Header=BB222_10 Depth=1
	v_and_b32_e32 v84, 0xffff, v84
	v_mov_b64_e32 v[106:107], 0x7f80000100000000
	s_mov_b32 s11, exec_lo
	s_delay_alu instid0(VALU_DEP_2) | instskip(NEXT) | instid1(VALU_DEP_1)
	v_and_b32_e32 v85, 0x7f, v84
	v_cmpx_ne_u32_e32 0x7f, v85
	s_cbranch_execz .LBB222_760
; %bb.757:                              ;   in Loop: Header=BB222_10 Depth=1
	v_dual_lshrrev_b32 v84, 3, v85 :: v_dual_bitop2_b32 v94, 7, v84 bitop3:0x40
	s_mov_b32 s16, exec_lo
	v_cmpx_gt_u32_e32 8, v85
; %bb.758:                              ;   in Loop: Header=BB222_10 Depth=1
	s_delay_alu instid0(VALU_DEP_2) | instskip(NEXT) | instid1(VALU_DEP_1)
	v_clz_i32_u32_e32 v84, v94
	v_min_u32_e32 v84, 32, v84
	s_delay_alu instid0(VALU_DEP_1) | instskip(SKIP_1) | instid1(VALU_DEP_2)
	v_subrev_nc_u32_e32 v85, 28, v84
	v_sub_nc_u32_e32 v84, 29, v84
	v_lshlrev_b64_e32 v[100:101], v85, v[94:95]
	s_delay_alu instid0(VALU_DEP_1)
	v_and_b32_e32 v94, 7, v100
; %bb.759:                              ;   in Loop: Header=BB222_10 Depth=1
	s_or_b32 exec_lo, exec_lo, s16
	s_delay_alu instid0(VALU_DEP_1) | instskip(SKIP_2) | instid1(VALU_DEP_3)
	v_dual_lshlrev_b32 v85, 16, v96 :: v_dual_lshlrev_b32 v97, 20, v94
	v_lshl_add_u32 v84, v84, 23, 0x3c000000
	v_mov_b32_e32 v106, v95
	v_and_b32_e32 v85, 0x80000000, v85
	s_delay_alu instid0(VALU_DEP_1)
	v_or3_b32 v107, v97, v85, v84
.LBB222_760:                            ;   in Loop: Header=BB222_10 Depth=1
	s_or_b32 exec_lo, exec_lo, s11
.LBB222_761:                            ;   in Loop: Header=BB222_10 Depth=1
	s_delay_alu instid0(SALU_CYCLE_1)
	s_or_b32 exec_lo, exec_lo, s9
.LBB222_762:                            ;   in Loop: Header=BB222_10 Depth=1
	s_delay_alu instid0(SALU_CYCLE_1) | instskip(SKIP_4) | instid1(VALU_DEP_3)
	s_or_b32 exec_lo, exec_lo, s8
	v_lshrrev_b32_e32 v97, 16, v96
	v_mov_b64_e32 v[84:85], 0
	v_mov_b64_e32 v[108:109], 0
	s_mov_b32 s8, exec_lo
	v_and_b32_e32 v100, 0xff, v97
	s_delay_alu instid0(VALU_DEP_1)
	v_cmpx_ne_u16_e32 0, v100
	s_cbranch_execz .LBB222_770
; %bb.763:                              ;   in Loop: Header=BB222_10 Depth=1
	v_mov_b64_e32 v[108:109], 0x80000000
	s_mov_b32 s9, exec_lo
	v_cmpx_ne_u16_e32 0x80, v100
	s_cbranch_execz .LBB222_769
; %bb.764:                              ;   in Loop: Header=BB222_10 Depth=1
	v_mov_b64_e32 v[108:109], 0x7f800001
	v_bfe_u32 v100, v96, 16, 7
	s_mov_b32 s11, exec_lo
	s_delay_alu instid0(VALU_DEP_1)
	v_cmpx_ne_u32_e32 0x7f, v100
	s_cbranch_execz .LBB222_768
; %bb.765:                              ;   in Loop: Header=BB222_10 Depth=1
	v_dual_lshrrev_b32 v108, 3, v100 :: v_dual_bitop2_b32 v94, 7, v97 bitop3:0x40
	s_mov_b32 s16, exec_lo
	v_cmpx_gt_u32_e32 8, v100
; %bb.766:                              ;   in Loop: Header=BB222_10 Depth=1
	s_delay_alu instid0(VALU_DEP_2) | instskip(NEXT) | instid1(VALU_DEP_1)
	v_clz_i32_u32_e32 v100, v94
	v_min_u32_e32 v108, 32, v100
	s_delay_alu instid0(VALU_DEP_1) | instskip(SKIP_1) | instid1(VALU_DEP_2)
	v_subrev_nc_u32_e32 v100, 28, v108
	v_sub_nc_u32_e32 v108, 29, v108
	v_lshlrev_b64_e32 v[100:101], v100, v[94:95]
	s_delay_alu instid0(VALU_DEP_1)
	v_and_b32_e32 v94, 7, v100
; %bb.767:                              ;   in Loop: Header=BB222_10 Depth=1
	s_or_b32 exec_lo, exec_lo, s16
	s_delay_alu instid0(VALU_DEP_1) | instskip(SKIP_1) | instid1(VALU_DEP_2)
	v_dual_lshlrev_b32 v97, 24, v97 :: v_dual_lshlrev_b32 v100, 20, v94
	v_lshl_add_u32 v101, v108, 23, 0x3c000000
	v_and_b32_e32 v97, 0x80000000, v97
	s_delay_alu instid0(VALU_DEP_1) | instskip(NEXT) | instid1(VALU_DEP_1)
	v_or3_b32 v94, v100, v97, v101
	v_mov_b64_e32 v[108:109], v[94:95]
.LBB222_768:                            ;   in Loop: Header=BB222_10 Depth=1
	s_or_b32 exec_lo, exec_lo, s11
.LBB222_769:                            ;   in Loop: Header=BB222_10 Depth=1
	s_delay_alu instid0(SALU_CYCLE_1)
	s_or_b32 exec_lo, exec_lo, s9
.LBB222_770:                            ;   in Loop: Header=BB222_10 Depth=1
	s_delay_alu instid0(SALU_CYCLE_1)
	s_or_b32 exec_lo, exec_lo, s8
	v_cmp_lt_u32_e64 s1, 0xffffff, v96
	s_mov_b32 s8, exec_lo
	scratch_load_b32 v94, off, s32 offset:500 ; 4-byte Folded Reload
	v_mov_b32_e32 v9, v17
	s_and_b32 s1, s8, s1
	s_wait_xcnt 0x0
	s_mov_b32 exec_lo, s1
	s_cbranch_execz .LBB222_9
; %bb.771:                              ;   in Loop: Header=BB222_10 Depth=1
	v_mov_b64_e32 v[84:85], 0x8000000000000000
	v_lshrrev_b32_e32 v97, 24, v96
	s_mov_b32 s9, exec_lo
	s_delay_alu instid0(VALU_DEP_1)
	v_cmpx_ne_u32_e32 0x80, v97
	s_cbranch_execz .LBB222_8
; %bb.772:                              ;   in Loop: Header=BB222_10 Depth=1
	v_mov_b64_e32 v[84:85], 0x7f80000100000000
	v_bfe_u32 v96, v96, 24, 7
	s_mov_b32 s11, exec_lo
	s_delay_alu instid0(VALU_DEP_1)
	v_cmpx_ne_u32_e32 0x7f, v96
	s_cbranch_execz .LBB222_7
; %bb.773:                              ;   in Loop: Header=BB222_10 Depth=1
	s_wait_loadcnt 0x0
	v_dual_lshrrev_b32 v84, 3, v96 :: v_dual_bitop2_b32 v94, 7, v97 bitop3:0x40
	s_mov_b32 s16, exec_lo
	v_cmpx_gt_u32_e32 8, v96
	s_cbranch_execz .LBB222_6
; %bb.774:                              ;   in Loop: Header=BB222_10 Depth=1
	s_delay_alu instid0(VALU_DEP_2) | instskip(NEXT) | instid1(VALU_DEP_1)
	v_clz_i32_u32_e32 v84, v94
	v_min_u32_e32 v84, 32, v84
	s_delay_alu instid0(VALU_DEP_1) | instskip(SKIP_1) | instid1(VALU_DEP_2)
	v_subrev_nc_u32_e32 v85, 28, v84
	v_sub_nc_u32_e32 v84, 29, v84
	v_lshlrev_b64_e32 v[100:101], v85, v[94:95]
	s_delay_alu instid0(VALU_DEP_1)
	v_and_b32_e32 v94, 7, v100
	s_branch .LBB222_6
.LBB222_775:
	s_or_b32 exec_lo, exec_lo, s3
	s_clause 0x7
	scratch_load_b32 v9, off, s32 offset:940
	scratch_load_b64 v[10:11], off, s32 offset:960
	scratch_load_b64 v[22:23], off, s32 offset:968
	;; [unrolled: 1-line block ×4, first 2 shown]
	scratch_load_b32 v52, off, s32 offset:992
	scratch_load_b64 v[54:55], off, s32 offset:996
	scratch_load_b32 v12, off, s32 offset:1004
.LBB222_776:
	s_wait_xcnt 0x0
	s_or_b32 exec_lo, exec_lo, s2
	v_mbcnt_lo_u32_b32 v2, -1, 0
	s_delay_alu instid0(VALU_DEP_1) | instskip(SKIP_1) | instid1(VALU_DEP_2)
	v_dual_max_num_f32 v4, v8, v8 :: v_dual_bitop2_b32 v0, 16, v2 bitop3:0x14
	v_xor_b32_e32 v3, 8, v2
	v_cmp_gt_i32_e32 vcc_lo, 32, v0
	v_cndmask_b32_e32 v0, v2, v0, vcc_lo
	s_delay_alu instid0(VALU_DEP_3) | instskip(NEXT) | instid1(VALU_DEP_2)
	v_cmp_gt_i32_e32 vcc_lo, 32, v3
	v_dual_cndmask_b32 v3, v2, v3 :: v_dual_lshlrev_b32 v0, 2, v0
	ds_bpermute_b32 v1, v0, v8
	s_wait_dscnt 0x0
	v_dual_max_num_f32 v5, v1, v1 :: v_dual_lshlrev_b32 v1, 2, v3
	s_delay_alu instid0(VALU_DEP_1) | instskip(SKIP_4) | instid1(VALU_DEP_1)
	v_dual_max_num_f32 v3, v4, v5 :: v_dual_bitop2_b32 v5, 4, v2 bitop3:0x14
	ds_bpermute_b32 v4, v1, v3
	v_cmp_gt_i32_e32 vcc_lo, 32, v5
	s_wait_dscnt 0x0
	v_dual_cndmask_b32 v5, v2, v5 :: v_dual_max_num_f32 v4, v4, v4
	v_dual_lshlrev_b32 v53, 2, v5 :: v_dual_max_num_f32 v3, v3, v4
	ds_bpermute_b32 v4, v53, v3
	s_wait_dscnt 0x0
	v_dual_max_num_f32 v4, v4, v4 :: v_dual_bitop2_b32 v5, 2, v2 bitop3:0x14
	s_delay_alu instid0(VALU_DEP_1) | instskip(NEXT) | instid1(VALU_DEP_2)
	v_cmp_gt_i32_e32 vcc_lo, 32, v5
	v_dual_max_num_f32 v3, v3, v4 :: v_dual_cndmask_b32 v5, v2, v5, vcc_lo
	s_delay_alu instid0(VALU_DEP_1) | instskip(SKIP_4) | instid1(VALU_DEP_1)
	v_dual_lshlrev_b32 v66, 2, v5 :: v_dual_bitop2_b32 v5, 1, v2 bitop3:0x14
	ds_bpermute_b32 v4, v66, v3
	v_cmp_gt_i32_e32 vcc_lo, 32, v5
	v_cndmask_b32_e32 v5, v2, v5, vcc_lo
	s_wait_dscnt 0x0
	v_dual_max_num_f32 v4, v4, v4 :: v_dual_lshlrev_b32 v17, 2, v5
	s_delay_alu instid0(VALU_DEP_1)
	v_max_num_f32_e32 v2, v3, v4
	scratch_load_b32 v3, off, s32 offset:944 ; 4-byte Folded Reload
	ds_bpermute_b32 v4, v17, v2
	s_wait_loadcnt 0x0
	v_cmp_eq_u32_e32 vcc_lo, 0, v3
	scratch_load_b32 v3, off, s32 offset:948 ; 4-byte Folded Reload
	s_wait_loadcnt 0x0
	v_lshlrev_b32_e32 v3, 2, v3
	s_wait_xcnt 0x0
	s_and_saveexec_b32 s1, vcc_lo
	s_cbranch_execz .LBB222_778
; %bb.777:
	s_wait_dscnt 0x0
	v_dual_max_num_f32 v4, v4, v4 :: v_dual_max_num_f32 v2, v2, v2
	s_delay_alu instid0(VALU_DEP_1)
	v_max_num_f32_e32 v2, v2, v4
	ds_store_b32 v3, v2 offset:384
.LBB222_778:
	s_or_b32 exec_lo, exec_lo, s1
	scratch_load_b32 v2, off, s32 offset:944 ; 4-byte Folded Reload
	s_wait_storecnt 0x0
	s_wait_loadcnt_dscnt 0x0
	s_barrier_signal -1
	s_barrier_wait -1
	v_cmp_gt_u32_e64 s1, 4, v2
	v_mov_b32_e32 v2, 0xff7fffff
	s_and_saveexec_b32 s2, s1
; %bb.779:
	ds_load_b32 v2, v12 offset:384
; %bb.780:
	s_or_b32 exec_lo, exec_lo, s2
	s_wait_dscnt 0x0
	ds_bpermute_b32 v4, v66, v2
	v_max_num_f32_e32 v2, v2, v2
	scratch_load_b64 v[6:7], off, s32 offset:192 ; 8-byte Folded Reload
	s_wait_dscnt 0x0
	v_max_num_f32_e32 v4, v4, v4
	s_delay_alu instid0(VALU_DEP_1) | instskip(SKIP_3) | instid1(VALU_DEP_1)
	v_max_num_f32_e32 v2, v2, v4
	ds_bpermute_b32 v4, v17, v2
	s_wait_dscnt 0x0
	v_max_num_f32_e32 v4, v4, v4
	v_dual_max_num_f32 v2, v2, v4 :: v_dual_mov_b32 v4, 0
	ds_bpermute_b32 v5, v4, v2
	scratch_load_b32 v2, off, s32 offset:200 ; 4-byte Folded Reload
	s_wait_loadcnt 0x0
	v_lshlrev_b32_e32 v2, 5, v2
	s_delay_alu instid0(VALU_DEP_1) | instskip(NEXT) | instid1(VALU_DEP_1)
	v_min_i32_e32 v2, v2, v6
	v_cmp_lt_i32_e64 s2, v9, v2
	s_and_saveexec_b32 s8, s2
	s_cbranch_execz .LBB222_784
; %bb.781:
	s_ashr_i32 s11, s10, 31
	v_dual_mov_b32 v4, 0 :: v_dual_mov_b32 v7, v9
	s_lshl_b64 s[16:17], s[10:11], 2
	s_mov_b32 s9, 0
	s_add_nc_u64 s[16:17], s[6:7], s[16:17]
	s_load_b32 s3, s[16:17], 0x0
	s_wait_kmcnt 0x0
	v_lshl_add_u32 v6, v9, 2, s3
.LBB222_782:                            ; =>This Inner Loop Header: Depth=1
	ds_load_b32 v8, v6
	v_add_nc_u32_e32 v7, 0x80, v7
	s_delay_alu instid0(VALU_DEP_1) | instskip(SKIP_3) | instid1(VALU_DEP_1)
	v_cmp_ge_i32_e64 s3, v7, v2
	s_or_b32 s9, s3, s9
	s_wait_dscnt 0x0
	v_sub_f32_e32 v8, v8, v5
	v_mul_f32_e32 v8, 0x3fb8aa3b, v8
	s_delay_alu instid0(VALU_DEP_1)
	v_exp_f32_e32 v8, v8
	ds_store_b32 v6, v8
	v_nop
	v_add_f32_e32 v4, v4, v8
	v_add_nc_u32_e32 v6, 0x200, v6
	s_and_not1_b32 exec_lo, exec_lo, s9
	s_cbranch_execnz .LBB222_782
; %bb.783:
	s_or_b32 exec_lo, exec_lo, s9
.LBB222_784:
	s_delay_alu instid0(SALU_CYCLE_1)
	s_or_b32 exec_lo, exec_lo, s8
	ds_bpermute_b32 v0, v0, v4
	s_wait_dscnt 0x0
	v_add_f32_e32 v0, v4, v0
	ds_bpermute_b32 v1, v1, v0
	s_wait_dscnt 0x0
	v_add_f32_e32 v0, v0, v1
	;; [unrolled: 3-line block ×5, first 2 shown]
	s_and_saveexec_b32 s3, vcc_lo
; %bb.785:
	ds_store_b32 v3, v0 offset:400
; %bb.786:
	s_or_b32 exec_lo, exec_lo, s3
	s_wait_dscnt 0x0
	s_barrier_signal -1
	s_barrier_wait -1
	s_and_saveexec_b32 s3, s1
; %bb.787:
	ds_load_b32 v0, v12 offset:400
; %bb.788:
	s_or_b32 exec_lo, exec_lo, s3
	s_wait_dscnt 0x0
	ds_bpermute_b32 v1, v66, v0
	s_wait_dscnt 0x0
	v_add_f32_e32 v0, v0, v1
	ds_bpermute_b32 v1, v17, v0
	s_wait_dscnt 0x0
	v_dual_add_f32 v0, v0, v1 :: v_dual_mov_b32 v1, 0
	ds_bpermute_b32 v0, v1, v0
	s_and_saveexec_b32 s1, s2
	s_cbranch_execz .LBB222_801
; %bb.789:
	s_wait_dscnt 0x0
	v_add_f32_e32 v0, 0x358637bd, v0
	s_mov_b32 s3, -1
	s_mov_b32 s2, exec_lo
	s_delay_alu instid0(VALU_DEP_1) | instskip(SKIP_1) | instid1(VALU_DEP_2)
	v_div_scale_f32 v1, null, v0, v0, 1.0
	v_div_scale_f32 v5, vcc_lo, 1.0, v0, 1.0
	v_rcp_f32_e32 v4, v1
	v_nop
	s_delay_alu instid0(TRANS32_DEP_1) | instskip(NEXT) | instid1(VALU_DEP_1)
	v_fma_f32 v3, -v1, v4, 1.0
	v_fmac_f32_e32 v4, v3, v4
	s_delay_alu instid0(VALU_DEP_1) | instskip(NEXT) | instid1(VALU_DEP_1)
	v_mul_f32_e32 v6, v5, v4
	v_fma_f32 v3, -v1, v6, v5
	s_delay_alu instid0(VALU_DEP_1) | instskip(SKIP_1) | instid1(VALU_DEP_2)
	v_fmac_f32_e32 v6, v3, v4
	v_xad_u32 v3, v9, -1, v2
	v_fma_f32 v1, -v1, v6, v5
	s_delay_alu instid0(VALU_DEP_1) | instskip(NEXT) | instid1(VALU_DEP_1)
	v_div_fmas_f32 v1, v1, v4, v6
	v_div_fixup_f32 v0, v1, v0, 1.0
	v_mov_b32_e32 v1, v9
	v_cmpx_lt_u32_e32 0x7f, v3
	s_cbranch_execz .LBB222_798
; %bb.790:
	s_delay_alu instid0(VALU_DEP_3) | instskip(NEXT) | instid1(VALU_DEP_1)
	v_dual_lshrrev_b32 v3, 7, v3 :: v_dual_mov_b32 v1, v0
	v_dual_mov_b32 v7, 0 :: v_dual_add_nc_u32 v4, -1, v3
	s_delay_alu instid0(VALU_DEP_1) | instskip(SKIP_1) | instid1(VALU_DEP_2)
	v_lshrrev_b32_e32 v5, 1, v4
	v_cmp_lt_u32_e32 vcc_lo, 13, v4
	v_add_nc_u32_e32 v4, 1, v5
	s_and_saveexec_b32 s3, vcc_lo
	s_cbranch_execz .LBB222_794
; %bb.791:
	s_ashr_i32 s11, s10, 31
	s_delay_alu instid0(VALU_DEP_1) | instskip(SKIP_1) | instid1(SALU_CYCLE_1)
	v_and_b32_e32 v5, -8, v4
	s_lshl_b64 s[8:9], s[10:11], 2
	s_add_nc_u64 s[8:9], s[6:7], s[8:9]
	s_load_b32 s8, s[8:9], 0x0
	s_wait_xcnt 0x0
	s_mov_b32 s9, 0
	s_wait_kmcnt 0x0
	v_lshl_add_u32 v6, v9, 2, s8
	s_mov_b32 s8, 0
.LBB222_792:                            ; =>This Inner Loop Header: Depth=1
	ds_load_2addr_stride64_b32 v[8:9], v6 offset1:2
	ds_load_2addr_stride64_b32 v[26:27], v6 offset0:4 offset1:6
	ds_load_2addr_stride64_b32 v[12:13], v6 offset0:8 offset1:10
	;; [unrolled: 1-line block ×7, first 2 shown]
	s_add_co_i32 s9, s9, 16
	s_delay_alu instid0(SALU_CYCLE_1) | instskip(NEXT) | instid1(VALU_DEP_1)
	v_dual_add_nc_u32 v5, -8, v5 :: v_dual_mov_b32 v7, s9
	v_cmp_eq_u32_e32 vcc_lo, 0, v5
	s_or_b32 s8, vcc_lo, s8
	s_wait_dscnt 0x7
	v_pk_mul_f32 v[8:9], v[0:1], v[8:9]
	s_wait_dscnt 0x6
	v_pk_mul_f32 v[26:27], v[0:1], v[26:27]
	s_wait_dscnt 0x5
	v_pk_mul_f32 v[12:13], v[0:1], v[12:13]
	s_wait_dscnt 0x4
	v_pk_mul_f32 v[14:15], v[0:1], v[14:15]
	s_wait_dscnt 0x3
	v_pk_mul_f32 v[18:19], v[0:1], v[18:19]
	s_wait_dscnt 0x2
	v_pk_mul_f32 v[20:21], v[0:1], v[20:21]
	s_wait_dscnt 0x1
	v_pk_mul_f32 v[28:29], v[0:1], v[28:29]
	s_wait_dscnt 0x0
	v_pk_mul_f32 v[24:25], v[0:1], v[24:25]
	ds_store_2addr_stride64_b32 v6, v8, v9 offset1:2
	ds_store_2addr_stride64_b32 v6, v26, v27 offset0:4 offset1:6
	ds_store_2addr_stride64_b32 v6, v12, v13 offset0:8 offset1:10
	;; [unrolled: 1-line block ×7, first 2 shown]
	v_add_nc_u32_e32 v6, 0x2000, v6
	s_and_not1_b32 exec_lo, exec_lo, s8
	s_cbranch_execnz .LBB222_792
; %bb.793:
	s_or_b32 exec_lo, exec_lo, s8
	scratch_load_b32 v9, off, s32 offset:940 ; 4-byte Folded Reload
.LBB222_794:
	s_wait_xcnt 0x0
	s_or_b32 exec_lo, exec_lo, s3
	v_and_b32_e32 v4, 7, v4
	s_mov_b32 s8, 0
	s_mov_b32 s3, exec_lo
	s_delay_alu instid0(VALU_DEP_1)
	v_cmpx_ne_u32_e32 0, v4
	s_cbranch_execz .LBB222_797
; %bb.795:
	s_ashr_i32 s11, s10, 31
	s_wait_loadcnt 0x0
	v_dual_lshlrev_b32 v5, 9, v7 :: v_dual_lshlrev_b32 v6, 2, v9
	s_lshl_b64 s[16:17], s[10:11], 2
	s_delay_alu instid0(SALU_CYCLE_1)
	s_add_nc_u64 s[16:17], s[6:7], s[16:17]
	s_load_b32 s9, s[16:17], 0x0
	s_wait_kmcnt 0x0
	v_add3_u32 v5, v5, v6, s9
.LBB222_796:                            ; =>This Inner Loop Header: Depth=1
	ds_load_2addr_stride64_b32 v[6:7], v5 offset1:2
	v_add_nc_u32_e32 v4, -1, v4
	s_delay_alu instid0(VALU_DEP_1)
	v_cmp_eq_u32_e32 vcc_lo, 0, v4
	s_or_b32 s8, vcc_lo, s8
	s_wait_dscnt 0x0
	v_pk_mul_f32 v[6:7], v[0:1], v[6:7]
	ds_store_2addr_stride64_b32 v5, v6, v7 offset1:2
	v_add_nc_u32_e32 v5, 0x400, v5
	s_and_not1_b32 exec_lo, exec_lo, s8
	s_cbranch_execnz .LBB222_796
.LBB222_797:
	s_or_b32 exec_lo, exec_lo, s3
	v_add_nc_u32_e32 v1, 1, v3
	s_delay_alu instid0(VALU_DEP_1) | instskip(NEXT) | instid1(VALU_DEP_1)
	v_and_b32_e32 v3, 0x3fffffe, v1
	v_cmp_ne_u32_e32 vcc_lo, v1, v3
	s_wait_loadcnt 0x0
	v_lshl_add_u32 v1, v3, 7, v9
	s_or_not1_b32 s3, vcc_lo, exec_lo
.LBB222_798:
	s_or_b32 exec_lo, exec_lo, s2
	s_delay_alu instid0(SALU_CYCLE_1)
	s_and_b32 exec_lo, exec_lo, s3
	s_cbranch_execz .LBB222_801
; %bb.799:
	s_ashr_i32 s11, s10, 31
	s_delay_alu instid0(SALU_CYCLE_1) | instskip(NEXT) | instid1(SALU_CYCLE_1)
	s_lshl_b64 s[2:3], s[10:11], 2
	s_add_nc_u64 s[2:3], s[6:7], s[2:3]
	s_load_b32 s2, s[2:3], 0x0
	s_wait_kmcnt 0x0
	v_lshl_add_u32 v3, v1, 2, s2
	s_mov_b32 s2, 0
.LBB222_800:                            ; =>This Inner Loop Header: Depth=1
	ds_load_b32 v4, v3
	s_wait_dscnt 0x0
	v_dual_mul_f32 v4, v0, v4 :: v_dual_add_nc_u32 v1, 0x80, v1
	s_delay_alu instid0(VALU_DEP_1) | instskip(SKIP_3) | instid1(SALU_CYCLE_1)
	v_cmp_ge_i32_e32 vcc_lo, v1, v2
	ds_store_b32 v3, v4
	v_add_nc_u32_e32 v3, 0x200, v3
	s_or_b32 s2, vcc_lo, s2
	s_and_not1_b32 exec_lo, exec_lo, s2
	s_cbranch_execnz .LBB222_800
.LBB222_801:
	s_or_b32 exec_lo, exec_lo, s1
	s_wait_dscnt 0x0
	s_barrier_signal -1
	s_barrier_wait -1
	s_and_saveexec_b32 s1, s0
	s_delay_alu instid0(SALU_CYCLE_1)
	s_xor_b32 s0, exec_lo, s1
	s_cbranch_execz .LBB222_803
; %bb.802:
	s_ashr_i32 s11, s10, 31
                                        ; implicit-def: $vgpr0
	s_clause 0x1
	scratch_store_b64 off, v[0:1], s32 offset:192
	; meta instruction
	; meta instruction
	;; [unrolled: 1-line block ×3, first 2 shown]
	scratch_store_b64 off, v[0:1], s32 offset:504
                                        ; implicit-def: $vgpr50_vgpr51
                                        ; implicit-def: $vgpr22_vgpr23
                                        ; implicit-def: $vgpr10_vgpr11
                                        ; implicit-def: $vgpr48_vgpr49
                                        ; implicit-def: $vgpr54
                                        ; implicit-def: $vgpr52
.LBB222_803:
	s_wait_xcnt 0x0
	s_or_saveexec_b32 s1, s0
	scratch_load_b32 v2, off, s32 offset:940 ; 4-byte Folded Reload
	v_mov_b64_e32 v[0:1], s[10:11]
	v_dual_mov_b32 v9, 0 :: v_dual_mov_b32 v8, 0
	v_dual_mov_b32 v13, 0 :: v_dual_mov_b32 v12, 0
	;; [unrolled: 1-line block ×12, first 2 shown]
	s_wait_loadcnt 0x0
	v_and_b32_e32 v2, 7, v2
	s_clause 0x1
	scratch_store_b32 off, v17, s32 offset:292
	scratch_store_b32 off, v2, s32 offset:284
	s_wait_xcnt 0x0
	s_xor_b32 exec_lo, exec_lo, s1
	s_cbranch_execz .LBB222_1623
; %bb.804:
	s_clause 0x1
	scratch_store_b32 off, v53, s32 offset:308
	scratch_store_b32 off, v66, s32 offset:300
	flat_load_b32 v22, v[22:23]
	s_clause 0x2
	scratch_load_b32 v0, off, s32 offset:940
	scratch_load_b64 v[4:5], off, s32 offset:192
	scratch_load_b32 v69, off, s32 offset:948
	s_ashr_i32 s11, s10, 31
	v_dual_mov_b32 v13, 0 :: v_dual_mov_b32 v12, 0
	s_lshl_b64 s[2:3], s[10:11], 2
	v_dual_mov_b32 v15, 0 :: v_dual_mov_b32 v14, 0
	s_add_nc_u64 s[2:3], s[6:7], s[2:3]
	v_dual_mov_b32 v21, 0 :: v_dual_mov_b32 v20, 0
	s_load_b32 s0, s[2:3], 0x0
	v_dual_mov_b32 v25, 0 :: v_dual_mov_b32 v24, 0
	v_dual_mov_b32 v27, 0 :: v_dual_mov_b32 v26, 0
	;; [unrolled: 1-line block ×7, first 2 shown]
	s_wait_xcnt 0x0
	s_mov_b32 s2, 0
	v_dual_mov_b32 v67, 0 :: v_dual_mov_b32 v9, 0
	v_dual_mov_b32 v39, 0 :: v_dual_mov_b32 v8, 0
	s_wait_loadcnt_dscnt 0x200
	v_dual_mov_b32 v23, v22 :: v_dual_lshlrev_b32 v2, 2, v0
	v_add_nc_u64_e32 v[0:1], v[48:49], v[54:55]
	s_wait_loadcnt 0x1
	v_mov_b32_e32 v3, v4
	s_delay_alu instid0(VALU_DEP_3) | instskip(NEXT) | instid1(VALU_DEP_1)
	v_and_b32_e32 v66, 0x7c, v2
	v_add_nc_u64_e32 v[0:1], v[0:1], v[66:67]
	s_clause 0x1
	scratch_store_b64 off, v[2:3], s32 offset:276
	scratch_load_b32 v3, off, s32 offset:284
	v_and_b32_e32 v66, 0x7c, v52
	v_and_b32_e32 v2, 28, v2
	scratch_store_b64 off, v[0:1], s32 offset:268 ; 8-byte Folded Spill
	s_wait_xcnt 0x0
	v_lshl_add_u64 v[0:1], v[50:51], 2, v[66:67]
	s_wait_loadcnt 0x1
	v_lshl_or_b32 v17, v69, 5, v2
	s_delay_alu instid0(VALU_DEP_2) | instskip(SKIP_2) | instid1(VALU_DEP_1)
	v_add_nc_u64_e32 v[10:11], v[10:11], v[0:1]
	s_wait_loadcnt 0x0
	v_lshlrev_b32_e32 v3, 4, v3
	v_lshl_or_b32 v3, v69, 7, v3
	s_wait_kmcnt 0x0
	s_delay_alu instid0(VALU_DEP_1)
	v_dual_mov_b32 v38, 0 :: v_dual_add_nc_u32 v68, s0, v3
	s_branch .LBB222_806
.LBB222_805:                            ;   in Loop: Header=BB222_806 Depth=1
	s_wait_xcnt 0x0
	s_or_b32 exec_lo, exec_lo, s3
	v_mul_f32_e32 v7, v3, v127
	v_mul_f32_e32 v6, v3, v51
	s_clause 0x2
	scratch_load_b64 v[70:71], off, s32 offset:244 th:TH_LOAD_LU
	scratch_load_b64 v[80:81], off, s32 offset:252 th:TH_LOAD_LU
	scratch_load_b64 v[64:65], off, s32 offset:228 th:TH_LOAD_LU
	v_fmac_f32_e32 v7, v2, v126
	v_dual_fmac_f32 v6, v2, v50 :: v_dual_mul_f32 v18, v3, v123
	scratch_load_b64 v[50:51], off, s32 offset:260 th:TH_LOAD_LU ; 8-byte Folded Reload
	v_dual_mul_f32 v19, v3, v111 :: v_dual_fmac_f32 v7, v4, v124
	v_fmac_f32_e32 v6, v4, v48
	v_dual_fmac_f32 v18, v2, v122 :: v_dual_mul_f32 v48, v3, v107
	s_delay_alu instid0(VALU_DEP_3) | instskip(NEXT) | instid1(VALU_DEP_4)
	v_fmac_f32_e32 v19, v2, v110
	v_fmac_f32_e32 v7, v5, v125
	s_delay_alu instid0(VALU_DEP_4) | instskip(NEXT) | instid1(VALU_DEP_4)
	v_fmac_f32_e32 v6, v5, v49
	v_fmac_f32_e32 v18, v4, v120
	v_add_nc_u64_e32 v[10:11], 16, v[10:11]
	v_dual_fmac_f32 v19, v4, v108 :: v_dual_fmac_f32 v48, v2, v106
	s_delay_alu instid0(VALU_DEP_4) | instskip(NEXT) | instid1(VALU_DEP_4)
	v_dual_add_f32 v8, v8, v6 :: v_dual_add_f32 v13, v13, v7
	v_fmac_f32_e32 v18, v5, v121
	s_delay_alu instid0(VALU_DEP_3) | instskip(NEXT) | instid1(VALU_DEP_4)
	v_dual_fmac_f32 v19, v5, v109 :: v_dual_mul_f32 v6, v3, v95
	v_dual_fmac_f32 v48, v4, v104 :: v_dual_mul_f32 v7, v3, v91
	s_delay_alu instid0(VALU_DEP_2) | instskip(NEXT) | instid1(VALU_DEP_3)
	v_dual_add_f32 v12, v12, v18 :: v_dual_add_f32 v15, v15, v19
	v_dual_fmac_f32 v6, v2, v94 :: v_dual_mul_f32 v18, v3, v79
	s_delay_alu instid0(VALU_DEP_3) | instskip(SKIP_1) | instid1(VALU_DEP_3)
	v_dual_fmac_f32 v7, v2, v90 :: v_dual_mul_f32 v19, v3, v75
	v_add_nc_u32_e32 v68, 0x200, v68
	v_dual_fmac_f32 v18, v2, v78 :: v_dual_add_nc_u32 v69, 4, v69
	s_delay_alu instid0(VALU_DEP_3) | instskip(NEXT) | instid1(VALU_DEP_4)
	v_dual_fmac_f32 v48, v5, v105 :: v_dual_fmac_f32 v19, v2, v74
	v_fmac_f32_e32 v7, v4, v88
	v_fmac_f32_e32 v6, v4, v92
	s_delay_alu instid0(VALU_DEP_4) | instskip(NEXT) | instid1(VALU_DEP_4)
	v_fmac_f32_e32 v18, v4, v76
	v_dual_add_f32 v14, v14, v48 :: v_dual_mul_f32 v48, v3, v63
	s_delay_alu instid0(VALU_DEP_4) | instskip(NEXT) | instid1(VALU_DEP_4)
	v_fmac_f32_e32 v7, v5, v89
	v_dual_fmac_f32 v6, v5, v93 :: v_dual_fmac_f32 v19, v4, v72
	s_delay_alu instid0(VALU_DEP_3) | instskip(NEXT) | instid1(VALU_DEP_2)
	v_dual_fmac_f32 v18, v5, v77 :: v_dual_fmac_f32 v48, v2, v62
	v_dual_add_f32 v20, v20, v7 :: v_dual_add_f32 v21, v21, v6
	s_delay_alu instid0(VALU_DEP_3) | instskip(NEXT) | instid1(VALU_DEP_3)
	v_fmac_f32_e32 v19, v5, v73
	v_dual_add_f32 v25, v25, v18 :: v_dual_mul_f32 v6, v3, v59
	s_delay_alu instid0(VALU_DEP_4) | instskip(NEXT) | instid1(VALU_DEP_3)
	v_dual_mul_f32 v7, v3, v47 :: v_dual_fmac_f32 v48, v4, v60
	v_add_f32_e32 v24, v24, v19
	v_mul_f32_e32 v19, v3, v119
	s_delay_alu instid0(VALU_DEP_4) | instskip(NEXT) | instid1(VALU_DEP_4)
	v_dual_mul_f32 v18, v3, v43 :: v_dual_fmac_f32 v6, v2, v58
	v_dual_fmac_f32 v7, v2, v46 :: v_dual_fmac_f32 v48, v5, v61
	s_delay_alu instid0(VALU_DEP_3) | instskip(NEXT) | instid1(VALU_DEP_3)
	v_fmac_f32_e32 v19, v2, v118
	v_fmac_f32_e32 v18, v2, v42
	s_delay_alu instid0(VALU_DEP_4) | instskip(NEXT) | instid1(VALU_DEP_4)
	v_fmac_f32_e32 v6, v4, v56
	v_fmac_f32_e32 v7, v4, v44
	v_add_nc_u32_e32 v17, 0x80, v17
	s_delay_alu instid0(VALU_DEP_3) | instskip(NEXT) | instid1(VALU_DEP_3)
	v_dual_fmac_f32 v19, v4, v116 :: v_dual_fmac_f32 v6, v5, v57
	v_dual_fmac_f32 v18, v4, v40 :: v_dual_fmac_f32 v7, v5, v45
	v_add_f32_e32 v27, v27, v48
	s_delay_alu instid0(VALU_DEP_3) | instskip(NEXT) | instid1(VALU_DEP_3)
	v_dual_mul_f32 v48, v3, v115 :: v_dual_fmac_f32 v19, v5, v117
	v_dual_add_f32 v26, v26, v6 :: v_dual_fmac_f32 v18, v5, v41
	s_delay_alu instid0(VALU_DEP_2) | instskip(NEXT) | instid1(VALU_DEP_3)
	v_dual_add_f32 v29, v29, v7 :: v_dual_fmac_f32 v48, v2, v114
	v_add_f32_e32 v31, v31, v19
	s_delay_alu instid0(VALU_DEP_3) | instskip(NEXT) | instid1(VALU_DEP_3)
	v_dual_mul_f32 v6, v3, v103 :: v_dual_add_f32 v28, v28, v18
	v_dual_fmac_f32 v48, v4, v112 :: v_dual_mul_f32 v7, v3, v99
	s_delay_alu instid0(VALU_DEP_2) | instskip(NEXT) | instid1(VALU_DEP_2)
	v_dual_fmac_f32 v6, v2, v102 :: v_dual_mul_f32 v18, v3, v87
	v_dual_fmac_f32 v7, v2, v98 :: v_dual_mul_f32 v19, v3, v83
	s_delay_alu instid0(VALU_DEP_2) | instskip(NEXT) | instid1(VALU_DEP_2)
	v_dual_fmac_f32 v18, v2, v86 :: v_dual_fmac_f32 v48, v5, v113
	v_fmac_f32_e32 v7, v4, v96
	s_delay_alu instid0(VALU_DEP_2) | instskip(NEXT) | instid1(VALU_DEP_3)
	v_dual_fmac_f32 v19, v2, v82 :: v_dual_fmac_f32 v18, v4, v84
	v_add_f32_e32 v30, v30, v48
	s_delay_alu instid0(VALU_DEP_3) | instskip(NEXT) | instid1(VALU_DEP_1)
	v_dual_fmac_f32 v6, v4, v100 :: v_dual_fmac_f32 v7, v5, v97
	v_dual_fmac_f32 v6, v5, v101 :: v_dual_fmac_f32 v19, v4, v0
	s_delay_alu instid0(VALU_DEP_1) | instskip(NEXT) | instid1(VALU_DEP_2)
	v_dual_add_f32 v32, v32, v7 :: v_dual_add_f32 v33, v33, v6
	v_fmac_f32_e32 v19, v5, v1
	v_pk_mul_f32 v[0:1], v[2:3], v[52:53]
	scratch_load_b64 v[52:53], off, s32 offset:220 th:TH_LOAD_LU ; 8-byte Folded Reload
	v_add_f32_e32 v34, v34, v19
	s_wait_loadcnt 0x4
	v_mul_f32_e32 v6, v3, v71
	s_wait_loadcnt 0x1
	s_delay_alu instid0(VALU_DEP_1) | instskip(NEXT) | instid1(VALU_DEP_1)
	v_dual_fmac_f32 v6, v2, v70 :: v_dual_mul_f32 v48, v3, v51
	v_dual_fmac_f32 v18, v5, v85 :: v_dual_fmac_f32 v48, v2, v50
	scratch_load_b64 v[50:51], off, s32 offset:212 th:TH_LOAD_LU ; 8-byte Folded Reload
	v_add_f32_e32 v35, v35, v18
	v_dual_mul_f32 v7, v3, v65 :: v_dual_fmac_f32 v48, v4, v80
	s_wait_loadcnt 0x0
	s_delay_alu instid0(VALU_DEP_1) | instskip(NEXT) | instid1(VALU_DEP_1)
	v_dual_mul_f32 v18, v3, v51 :: v_dual_fmac_f32 v7, v2, v64
	v_fmac_f32_e32 v18, v2, v50
	v_pk_mul_f32 v[2:3], v[4:5], v[54:55]
	s_clause 0x1
	scratch_load_b64 v[54:55], off, s32 offset:236 th:TH_LOAD_LU
	scratch_load_b64 v[50:51], off, s32 offset:204 th:TH_LOAD_LU
	s_wait_loadcnt 0x1
	v_dual_fmac_f32 v48, v5, v81 :: v_dual_fmac_f32 v6, v4, v54
	s_delay_alu instid0(VALU_DEP_1) | instskip(NEXT) | instid1(VALU_DEP_1)
	v_dual_add_f32 v0, v0, v1 :: v_dual_add_f32 v37, v37, v48
	v_dual_fmac_f32 v6, v5, v55 :: v_dual_add_f32 v0, v2, v0
	s_delay_alu instid0(VALU_DEP_1) | instskip(NEXT) | instid1(VALU_DEP_1)
	v_add_f32_e32 v0, v3, v0
	v_add_f32_e32 v9, v9, v0
	scratch_load_b32 v0, off, s32 offset:200 ; 4-byte Folded Reload
	s_wait_loadcnt 0x1
	v_dual_fmac_f32 v7, v4, v52 :: v_dual_fmac_f32 v18, v4, v50
	s_delay_alu instid0(VALU_DEP_1) | instskip(NEXT) | instid1(VALU_DEP_1)
	v_dual_fmac_f32 v7, v5, v53 :: v_dual_fmac_f32 v18, v5, v51
	v_dual_add_f32 v36, v36, v6 :: v_dual_add_f32 v39, v39, v7
	s_delay_alu instid0(VALU_DEP_2)
	v_add_f32_e32 v38, v38, v18
	s_wait_loadcnt 0x0
	v_cmp_ge_i32_e32 vcc_lo, v69, v0
	s_or_b32 s2, vcc_lo, s2
	s_wait_xcnt 0x0
	s_and_not1_b32 exec_lo, exec_lo, s2
	s_cbranch_execz .LBB222_1622
.LBB222_806:                            ; =>This Inner Loop Header: Depth=1
	flat_load_b32 v0, v[10:11]
	s_clause 0x1
	scratch_load_b64 v[2:3], off, s32 offset:504
	scratch_load_b64 v[4:5], off, s32 offset:268
	v_mov_b64_e32 v[18:19], 0
	s_mov_b32 s0, exec_lo
	s_wait_loadcnt_dscnt 0x0
	v_mad_nc_i64_i32 v[54:55], v0, v2, v[4:5]
	ds_load_b128 v[2:5], v68
	v_mov_b64_e32 v[0:1], 0
	flat_load_b32 v6, v[54:55]
	s_wait_loadcnt_dscnt 0x0
	v_and_b32_e32 v7, 0xff, v6
	s_wait_xcnt 0x0
	s_delay_alu instid0(VALU_DEP_1)
	v_cmpx_ne_u16_e32 0, v7
	s_cbranch_execz .LBB222_814
; %bb.807:                              ;   in Loop: Header=BB222_806 Depth=1
	v_mov_b64_e32 v[18:19], 0x80000000
	s_mov_b32 s3, exec_lo
	v_cmpx_ne_u16_e32 0x80, v7
	s_cbranch_execz .LBB222_813
; %bb.808:                              ;   in Loop: Header=BB222_806 Depth=1
	v_mov_b64_e32 v[18:19], 0x7f800001
	v_and_b32_e32 v48, 0x7f, v6
	s_mov_b32 s8, exec_lo
	s_delay_alu instid0(VALU_DEP_1)
	v_cmpx_ne_u32_e32 0x7f, v48
	s_cbranch_execz .LBB222_812
; %bb.809:                              ;   in Loop: Header=BB222_806 Depth=1
	v_dual_lshrrev_b32 v7, 3, v48 :: v_dual_bitop2_b32 v66, 7, v6 bitop3:0x40
	s_mov_b32 s9, exec_lo
	v_cmpx_gt_u32_e32 8, v48
; %bb.810:                              ;   in Loop: Header=BB222_806 Depth=1
	s_delay_alu instid0(VALU_DEP_2) | instskip(NEXT) | instid1(VALU_DEP_1)
	v_clz_i32_u32_e32 v7, v66
	v_min_u32_e32 v7, 32, v7
	s_delay_alu instid0(VALU_DEP_1) | instskip(NEXT) | instid1(VALU_DEP_1)
	v_subrev_nc_u32_e32 v18, 28, v7
	v_lshlrev_b64_e32 v[18:19], v18, v[66:67]
	s_delay_alu instid0(VALU_DEP_1)
	v_dual_sub_nc_u32 v7, 29, v7 :: v_dual_bitop2_b32 v66, 7, v18 bitop3:0x40
; %bb.811:                              ;   in Loop: Header=BB222_806 Depth=1
	s_or_b32 exec_lo, exec_lo, s9
	v_lshlrev_b32_e32 v18, 24, v6
	s_delay_alu instid0(VALU_DEP_2) | instskip(NEXT) | instid1(VALU_DEP_3)
	v_lshlrev_b32_e32 v19, 20, v66
	v_lshl_add_u32 v7, v7, 23, 0x3c000000
	s_delay_alu instid0(VALU_DEP_3) | instskip(NEXT) | instid1(VALU_DEP_1)
	v_and_b32_e32 v18, 0x80000000, v18
	v_or3_b32 v66, v19, v18, v7
	s_delay_alu instid0(VALU_DEP_1)
	v_mov_b64_e32 v[18:19], v[66:67]
.LBB222_812:                            ;   in Loop: Header=BB222_806 Depth=1
	s_or_b32 exec_lo, exec_lo, s8
.LBB222_813:                            ;   in Loop: Header=BB222_806 Depth=1
	s_delay_alu instid0(SALU_CYCLE_1)
	s_or_b32 exec_lo, exec_lo, s3
.LBB222_814:                            ;   in Loop: Header=BB222_806 Depth=1
	s_delay_alu instid0(SALU_CYCLE_1) | instskip(SKIP_2) | instid1(VALU_DEP_1)
	s_or_b32 exec_lo, exec_lo, s0
	v_lshrrev_b16 v7, 8, v6
	s_mov_b32 s0, exec_lo
	v_cmpx_ne_u16_e32 0, v7
	s_cbranch_execz .LBB222_822
; %bb.815:                              ;   in Loop: Header=BB222_806 Depth=1
	v_mov_b64_e32 v[0:1], 0x8000000000000000
	s_mov_b32 s3, exec_lo
	v_cmpx_ne_u16_e32 0x80, v7
	s_cbranch_execz .LBB222_821
; %bb.816:                              ;   in Loop: Header=BB222_806 Depth=1
	v_and_b32_e32 v48, 0xffff, v7
	v_mov_b64_e32 v[0:1], 0x7f80000100000000
	s_mov_b32 s8, exec_lo
	s_delay_alu instid0(VALU_DEP_2) | instskip(NEXT) | instid1(VALU_DEP_1)
	v_and_b32_e32 v7, 0x7f, v48
	v_cmpx_ne_u32_e32 0x7f, v7
	s_cbranch_execz .LBB222_820
; %bb.817:                              ;   in Loop: Header=BB222_806 Depth=1
	v_dual_lshrrev_b32 v0, 3, v7 :: v_dual_bitop2_b32 v66, 7, v48 bitop3:0x40
	s_mov_b32 s9, exec_lo
	v_cmpx_gt_u32_e32 8, v7
; %bb.818:                              ;   in Loop: Header=BB222_806 Depth=1
	s_delay_alu instid0(VALU_DEP_2) | instskip(NEXT) | instid1(VALU_DEP_1)
	v_clz_i32_u32_e32 v0, v66
	v_min_u32_e32 v0, 32, v0
	s_delay_alu instid0(VALU_DEP_1) | instskip(SKIP_1) | instid1(VALU_DEP_2)
	v_subrev_nc_u32_e32 v1, 28, v0
	v_sub_nc_u32_e32 v0, 29, v0
	v_lshlrev_b64_e32 v[48:49], v1, v[66:67]
	s_delay_alu instid0(VALU_DEP_1)
	v_and_b32_e32 v66, 7, v48
; %bb.819:                              ;   in Loop: Header=BB222_806 Depth=1
	s_or_b32 exec_lo, exec_lo, s9
	v_lshlrev_b32_e32 v1, 16, v6
	s_delay_alu instid0(VALU_DEP_2) | instskip(SKIP_1) | instid1(VALU_DEP_3)
	v_lshlrev_b32_e32 v7, 20, v66
	v_lshl_add_u32 v0, v0, 23, 0x3c000000
	v_and_b32_e32 v1, 0x80000000, v1
	s_delay_alu instid0(VALU_DEP_1)
	v_or3_b32 v1, v7, v1, v0
	v_mov_b32_e32 v0, v67
.LBB222_820:                            ;   in Loop: Header=BB222_806 Depth=1
	s_or_b32 exec_lo, exec_lo, s8
.LBB222_821:                            ;   in Loop: Header=BB222_806 Depth=1
	s_delay_alu instid0(SALU_CYCLE_1)
	s_or_b32 exec_lo, exec_lo, s3
.LBB222_822:                            ;   in Loop: Header=BB222_806 Depth=1
	s_delay_alu instid0(SALU_CYCLE_1) | instskip(SKIP_4) | instid1(VALU_DEP_3)
	s_or_b32 exec_lo, exec_lo, s0
	v_lshrrev_b32_e32 v7, 16, v6
	v_mov_b64_e32 v[48:49], 0
	v_mov_b64_e32 v[50:51], 0
	s_mov_b32 s0, exec_lo
	v_and_b32_e32 v52, 0xff, v7
	s_delay_alu instid0(VALU_DEP_1)
	v_cmpx_ne_u16_e32 0, v52
	s_cbranch_execz .LBB222_830
; %bb.823:                              ;   in Loop: Header=BB222_806 Depth=1
	v_mov_b64_e32 v[50:51], 0x80000000
	s_mov_b32 s3, exec_lo
	v_cmpx_ne_u16_e32 0x80, v52
	s_cbranch_execz .LBB222_829
; %bb.824:                              ;   in Loop: Header=BB222_806 Depth=1
	v_mov_b64_e32 v[50:51], 0x7f800001
	v_bfe_u32 v52, v6, 16, 7
	s_mov_b32 s8, exec_lo
	s_delay_alu instid0(VALU_DEP_1)
	v_cmpx_ne_u32_e32 0x7f, v52
	s_cbranch_execz .LBB222_828
; %bb.825:                              ;   in Loop: Header=BB222_806 Depth=1
	v_dual_lshrrev_b32 v50, 3, v52 :: v_dual_bitop2_b32 v66, 7, v7 bitop3:0x40
	s_mov_b32 s9, exec_lo
	v_cmpx_gt_u32_e32 8, v52
; %bb.826:                              ;   in Loop: Header=BB222_806 Depth=1
	s_delay_alu instid0(VALU_DEP_2) | instskip(NEXT) | instid1(VALU_DEP_1)
	v_clz_i32_u32_e32 v50, v66
	v_min_u32_e32 v50, 32, v50
	s_delay_alu instid0(VALU_DEP_1) | instskip(NEXT) | instid1(VALU_DEP_1)
	v_subrev_nc_u32_e32 v51, 28, v50
	v_lshlrev_b64_e32 v[52:53], v51, v[66:67]
	s_delay_alu instid0(VALU_DEP_1)
	v_dual_sub_nc_u32 v50, 29, v50 :: v_dual_bitop2_b32 v66, 7, v52 bitop3:0x40
; %bb.827:                              ;   in Loop: Header=BB222_806 Depth=1
	s_or_b32 exec_lo, exec_lo, s9
	s_delay_alu instid0(VALU_DEP_1) | instskip(NEXT) | instid1(VALU_DEP_2)
	v_dual_lshlrev_b32 v7, 24, v7 :: v_dual_lshlrev_b32 v51, 20, v66
	v_lshl_add_u32 v50, v50, 23, 0x3c000000
	s_delay_alu instid0(VALU_DEP_2) | instskip(NEXT) | instid1(VALU_DEP_1)
	v_and_b32_e32 v7, 0x80000000, v7
	v_or3_b32 v66, v51, v7, v50
	s_delay_alu instid0(VALU_DEP_1)
	v_mov_b64_e32 v[50:51], v[66:67]
.LBB222_828:                            ;   in Loop: Header=BB222_806 Depth=1
	s_or_b32 exec_lo, exec_lo, s8
.LBB222_829:                            ;   in Loop: Header=BB222_806 Depth=1
	s_delay_alu instid0(SALU_CYCLE_1)
	s_or_b32 exec_lo, exec_lo, s3
.LBB222_830:                            ;   in Loop: Header=BB222_806 Depth=1
	s_delay_alu instid0(SALU_CYCLE_1) | instskip(NEXT) | instid1(SALU_CYCLE_1)
	s_or_b32 exec_lo, exec_lo, s0
	s_mov_b32 s0, exec_lo
	v_cmpx_lt_u32_e32 0xffffff, v6
	s_cbranch_execz .LBB222_838
; %bb.831:                              ;   in Loop: Header=BB222_806 Depth=1
	v_mov_b64_e32 v[48:49], 0x8000000000000000
	v_lshrrev_b32_e32 v7, 24, v6
	s_mov_b32 s3, exec_lo
	s_delay_alu instid0(VALU_DEP_1)
	v_cmpx_ne_u32_e32 0x80, v7
	s_cbranch_execz .LBB222_837
; %bb.832:                              ;   in Loop: Header=BB222_806 Depth=1
	v_mov_b64_e32 v[48:49], 0x7f80000100000000
	v_bfe_u32 v52, v6, 24, 7
	s_mov_b32 s8, exec_lo
	s_delay_alu instid0(VALU_DEP_1)
	v_cmpx_ne_u32_e32 0x7f, v52
	s_cbranch_execz .LBB222_836
; %bb.833:                              ;   in Loop: Header=BB222_806 Depth=1
	v_dual_lshrrev_b32 v6, 3, v52 :: v_dual_bitop2_b32 v66, 7, v7 bitop3:0x40
	s_mov_b32 s9, exec_lo
	v_cmpx_gt_u32_e32 8, v52
; %bb.834:                              ;   in Loop: Header=BB222_806 Depth=1
	s_delay_alu instid0(VALU_DEP_2) | instskip(NEXT) | instid1(VALU_DEP_1)
	v_clz_i32_u32_e32 v6, v66
	v_min_u32_e32 v6, 32, v6
	s_delay_alu instid0(VALU_DEP_1) | instskip(NEXT) | instid1(VALU_DEP_1)
	v_subrev_nc_u32_e32 v48, 28, v6
	v_lshlrev_b64_e32 v[48:49], v48, v[66:67]
	s_delay_alu instid0(VALU_DEP_1)
	v_dual_sub_nc_u32 v6, 29, v6 :: v_dual_bitop2_b32 v66, 7, v48 bitop3:0x40
; %bb.835:                              ;   in Loop: Header=BB222_806 Depth=1
	s_or_b32 exec_lo, exec_lo, s9
	s_delay_alu instid0(VALU_DEP_1) | instskip(NEXT) | instid1(VALU_DEP_2)
	v_dual_lshlrev_b32 v7, 24, v7 :: v_dual_lshlrev_b32 v48, 20, v66
	v_lshl_add_u32 v6, v6, 23, 0x3c000000
	s_delay_alu instid0(VALU_DEP_2) | instskip(NEXT) | instid1(VALU_DEP_1)
	v_and_b32_e32 v7, 0x80000000, v7
	v_or3_b32 v49, v48, v7, v6
	v_mov_b32_e32 v48, v67
.LBB222_836:                            ;   in Loop: Header=BB222_806 Depth=1
	s_or_b32 exec_lo, exec_lo, s8
.LBB222_837:                            ;   in Loop: Header=BB222_806 Depth=1
	s_delay_alu instid0(SALU_CYCLE_1)
	s_or_b32 exec_lo, exec_lo, s3
.LBB222_838:                            ;   in Loop: Header=BB222_806 Depth=1
	s_delay_alu instid0(SALU_CYCLE_1)
	s_or_b32 exec_lo, exec_lo, s0
	scratch_load_b32 v6, off, s32 offset:200 ; 4-byte Folded Reload
	v_or_b32_e32 v1, v1, v19
	v_dual_add_nc_u32 v70, 1, v17 :: v_dual_bitop2_b32 v0, v0, v18 bitop3:0x54
	v_dual_add_nc_u32 v80, 2, v17 :: v_dual_bitop2_b32 v7, v49, v51 bitop3:0x54
	s_wait_loadcnt 0x0
	v_dual_add_nc_u32 v71, 3, v17 :: v_dual_add_nc_u32 v18, -1, v6
	v_or_b32_e32 v6, v48, v50
	v_pk_mul_f32 v[0:1], v[22:23], v[0:1]
	s_delay_alu instid0(VALU_DEP_3)
	v_cmp_eq_u32_e32 vcc_lo, v18, v69
	scratch_store_b64 off, v[0:1], s32 offset:212 ; 8-byte Folded Spill
	s_wait_xcnt 0x0
	v_pk_mul_f32 v[0:1], v[22:23], v[6:7]
	scratch_store_b64 off, v[0:1], s32 offset:204 ; 8-byte Folded Spill
	s_wait_xcnt 0x0
	s_and_saveexec_b32 s3, vcc_lo
	s_cbranch_execz .LBB222_840
; %bb.839:                              ;   in Loop: Header=BB222_806 Depth=1
	scratch_load_b64 v[0:1], off, s32 offset:192 ; 8-byte Folded Reload
	s_wait_loadcnt 0x0
	v_mov_b32_e32 v6, v0
	scratch_load_b64 v[0:1], off, s32 offset:212 th:TH_LOAD_LU ; 8-byte Folded Reload
	v_cmp_lt_i32_e64 s0, v17, v6
	s_wait_loadcnt 0x0
	s_delay_alu instid0(VALU_DEP_1) | instskip(SKIP_1) | instid1(VALU_DEP_1)
	v_cndmask_b32_e64 v0, 0, v0, s0
	v_cmp_lt_i32_e64 s0, v70, v6
	v_cndmask_b32_e64 v1, 0, v1, s0
	v_cmp_lt_i32_e64 s0, v80, v6
	s_clause 0x1
	scratch_store_b64 off, v[0:1], s32 offset:212
	scratch_load_b64 v[0:1], off, s32 offset:204 th:TH_LOAD_LU
	s_wait_loadcnt 0x0
	v_cndmask_b32_e64 v0, 0, v0, s0
	v_cmp_lt_i32_e64 s0, v71, v6
	s_delay_alu instid0(VALU_DEP_1)
	v_cndmask_b32_e64 v1, 0, v1, s0
	scratch_store_b64 off, v[0:1], s32 offset:204 ; 8-byte Folded Spill
.LBB222_840:                            ;   in Loop: Header=BB222_806 Depth=1
	s_wait_xcnt 0x0
	s_or_b32 exec_lo, exec_lo, s3
	flat_load_b32 v50, v[54:55] offset:128
	v_mov_b64_e32 v[0:1], 0
	v_mov_b64_e32 v[18:19], 0
	s_mov_b32 s3, exec_lo
	s_wait_loadcnt_dscnt 0x0
	v_and_b32_e32 v6, 0xff, v50
	s_wait_xcnt 0x0
	s_delay_alu instid0(VALU_DEP_1)
	v_cmpx_ne_u16_e32 0, v6
	s_cbranch_execz .LBB222_848
; %bb.841:                              ;   in Loop: Header=BB222_806 Depth=1
	v_mov_b64_e32 v[18:19], 0x80000000
	s_mov_b32 s8, exec_lo
	v_cmpx_ne_u16_e32 0x80, v6
	s_cbranch_execz .LBB222_847
; %bb.842:                              ;   in Loop: Header=BB222_806 Depth=1
	v_mov_b64_e32 v[18:19], 0x7f800001
	v_and_b32_e32 v7, 0x7f, v50
	s_mov_b32 s9, exec_lo
	s_delay_alu instid0(VALU_DEP_1)
	v_cmpx_ne_u32_e32 0x7f, v7
	s_cbranch_execz .LBB222_846
; %bb.843:                              ;   in Loop: Header=BB222_806 Depth=1
	v_dual_lshrrev_b32 v6, 3, v7 :: v_dual_bitop2_b32 v66, 7, v50 bitop3:0x40
	s_mov_b32 s16, exec_lo
	v_cmpx_gt_u32_e32 8, v7
; %bb.844:                              ;   in Loop: Header=BB222_806 Depth=1
	s_delay_alu instid0(VALU_DEP_2) | instskip(NEXT) | instid1(VALU_DEP_1)
	v_clz_i32_u32_e32 v6, v66
	v_min_u32_e32 v6, 32, v6
	s_delay_alu instid0(VALU_DEP_1) | instskip(SKIP_1) | instid1(VALU_DEP_2)
	v_subrev_nc_u32_e32 v7, 28, v6
	v_sub_nc_u32_e32 v6, 29, v6
	v_lshlrev_b64_e32 v[18:19], v7, v[66:67]
	s_delay_alu instid0(VALU_DEP_1)
	v_and_b32_e32 v66, 7, v18
; %bb.845:                              ;   in Loop: Header=BB222_806 Depth=1
	s_or_b32 exec_lo, exec_lo, s16
	v_lshlrev_b32_e32 v7, 24, v50
	s_delay_alu instid0(VALU_DEP_2) | instskip(SKIP_1) | instid1(VALU_DEP_3)
	v_lshlrev_b32_e32 v18, 20, v66
	v_lshl_add_u32 v6, v6, 23, 0x3c000000
	v_and_b32_e32 v7, 0x80000000, v7
	s_delay_alu instid0(VALU_DEP_1) | instskip(NEXT) | instid1(VALU_DEP_1)
	v_or3_b32 v66, v18, v7, v6
	v_mov_b64_e32 v[18:19], v[66:67]
.LBB222_846:                            ;   in Loop: Header=BB222_806 Depth=1
	s_or_b32 exec_lo, exec_lo, s9
.LBB222_847:                            ;   in Loop: Header=BB222_806 Depth=1
	s_delay_alu instid0(SALU_CYCLE_1)
	s_or_b32 exec_lo, exec_lo, s8
.LBB222_848:                            ;   in Loop: Header=BB222_806 Depth=1
	s_delay_alu instid0(SALU_CYCLE_1) | instskip(SKIP_2) | instid1(VALU_DEP_1)
	s_or_b32 exec_lo, exec_lo, s3
	v_lshrrev_b16 v6, 8, v50
	s_mov_b32 s3, exec_lo
	v_cmpx_ne_u16_e32 0, v6
	s_cbranch_execz .LBB222_856
; %bb.849:                              ;   in Loop: Header=BB222_806 Depth=1
	v_mov_b64_e32 v[0:1], 0x8000000000000000
	s_mov_b32 s8, exec_lo
	v_cmpx_ne_u16_e32 0x80, v6
	s_cbranch_execz .LBB222_855
; %bb.850:                              ;   in Loop: Header=BB222_806 Depth=1
	v_and_b32_e32 v7, 0xffff, v6
	v_mov_b64_e32 v[0:1], 0x7f80000100000000
	s_mov_b32 s9, exec_lo
	s_delay_alu instid0(VALU_DEP_2) | instskip(NEXT) | instid1(VALU_DEP_1)
	v_and_b32_e32 v6, 0x7f, v7
	v_cmpx_ne_u32_e32 0x7f, v6
	s_cbranch_execz .LBB222_854
; %bb.851:                              ;   in Loop: Header=BB222_806 Depth=1
	v_dual_lshrrev_b32 v0, 3, v6 :: v_dual_bitop2_b32 v66, 7, v7 bitop3:0x40
	s_mov_b32 s16, exec_lo
	v_cmpx_gt_u32_e32 8, v6
; %bb.852:                              ;   in Loop: Header=BB222_806 Depth=1
	s_delay_alu instid0(VALU_DEP_2) | instskip(NEXT) | instid1(VALU_DEP_1)
	v_clz_i32_u32_e32 v0, v66
	v_min_u32_e32 v0, 32, v0
	s_delay_alu instid0(VALU_DEP_1) | instskip(NEXT) | instid1(VALU_DEP_1)
	v_subrev_nc_u32_e32 v1, 28, v0
	v_lshlrev_b64_e32 v[6:7], v1, v[66:67]
	s_delay_alu instid0(VALU_DEP_1)
	v_dual_sub_nc_u32 v0, 29, v0 :: v_dual_bitop2_b32 v66, 7, v6 bitop3:0x40
; %bb.853:                              ;   in Loop: Header=BB222_806 Depth=1
	s_or_b32 exec_lo, exec_lo, s16
	v_lshlrev_b32_e32 v1, 16, v50
	s_delay_alu instid0(VALU_DEP_2) | instskip(NEXT) | instid1(VALU_DEP_3)
	v_lshlrev_b32_e32 v6, 20, v66
	v_lshl_add_u32 v0, v0, 23, 0x3c000000
	s_delay_alu instid0(VALU_DEP_3) | instskip(NEXT) | instid1(VALU_DEP_1)
	v_and_b32_e32 v1, 0x80000000, v1
	v_or3_b32 v1, v6, v1, v0
	v_mov_b32_e32 v0, v67
.LBB222_854:                            ;   in Loop: Header=BB222_806 Depth=1
	s_or_b32 exec_lo, exec_lo, s9
.LBB222_855:                            ;   in Loop: Header=BB222_806 Depth=1
	s_delay_alu instid0(SALU_CYCLE_1)
	s_or_b32 exec_lo, exec_lo, s8
.LBB222_856:                            ;   in Loop: Header=BB222_806 Depth=1
	s_delay_alu instid0(SALU_CYCLE_1) | instskip(SKIP_4) | instid1(VALU_DEP_3)
	s_or_b32 exec_lo, exec_lo, s3
	v_lshrrev_b32_e32 v51, 16, v50
	v_mov_b64_e32 v[48:49], 0
	v_mov_b64_e32 v[6:7], 0
	s_mov_b32 s3, exec_lo
	v_and_b32_e32 v52, 0xff, v51
	s_delay_alu instid0(VALU_DEP_1)
	v_cmpx_ne_u16_e32 0, v52
	s_cbranch_execz .LBB222_864
; %bb.857:                              ;   in Loop: Header=BB222_806 Depth=1
	v_mov_b64_e32 v[6:7], 0x80000000
	s_mov_b32 s8, exec_lo
	v_cmpx_ne_u16_e32 0x80, v52
	s_cbranch_execz .LBB222_863
; %bb.858:                              ;   in Loop: Header=BB222_806 Depth=1
	v_mov_b64_e32 v[6:7], 0x7f800001
	v_bfe_u32 v52, v50, 16, 7
	s_mov_b32 s9, exec_lo
	s_delay_alu instid0(VALU_DEP_1)
	v_cmpx_ne_u32_e32 0x7f, v52
	s_cbranch_execz .LBB222_862
; %bb.859:                              ;   in Loop: Header=BB222_806 Depth=1
	v_dual_lshrrev_b32 v6, 3, v52 :: v_dual_bitop2_b32 v66, 7, v51 bitop3:0x40
	s_mov_b32 s16, exec_lo
	v_cmpx_gt_u32_e32 8, v52
; %bb.860:                              ;   in Loop: Header=BB222_806 Depth=1
	s_delay_alu instid0(VALU_DEP_2) | instskip(NEXT) | instid1(VALU_DEP_1)
	v_clz_i32_u32_e32 v6, v66
	v_min_u32_e32 v6, 32, v6
	s_delay_alu instid0(VALU_DEP_1) | instskip(NEXT) | instid1(VALU_DEP_1)
	v_subrev_nc_u32_e32 v7, 28, v6
	v_lshlrev_b64_e32 v[52:53], v7, v[66:67]
	s_delay_alu instid0(VALU_DEP_1)
	v_dual_sub_nc_u32 v6, 29, v6 :: v_dual_bitop2_b32 v66, 7, v52 bitop3:0x40
; %bb.861:                              ;   in Loop: Header=BB222_806 Depth=1
	s_or_b32 exec_lo, exec_lo, s16
	s_delay_alu instid0(VALU_DEP_1) | instskip(NEXT) | instid1(VALU_DEP_2)
	v_dual_lshlrev_b32 v7, 24, v51 :: v_dual_lshlrev_b32 v51, 20, v66
	v_lshl_add_u32 v6, v6, 23, 0x3c000000
	s_delay_alu instid0(VALU_DEP_2) | instskip(NEXT) | instid1(VALU_DEP_1)
	v_and_b32_e32 v7, 0x80000000, v7
	v_or3_b32 v66, v51, v7, v6
	s_delay_alu instid0(VALU_DEP_1)
	v_mov_b64_e32 v[6:7], v[66:67]
.LBB222_862:                            ;   in Loop: Header=BB222_806 Depth=1
	s_or_b32 exec_lo, exec_lo, s9
.LBB222_863:                            ;   in Loop: Header=BB222_806 Depth=1
	s_delay_alu instid0(SALU_CYCLE_1)
	s_or_b32 exec_lo, exec_lo, s8
.LBB222_864:                            ;   in Loop: Header=BB222_806 Depth=1
	s_delay_alu instid0(SALU_CYCLE_1) | instskip(NEXT) | instid1(SALU_CYCLE_1)
	s_or_b32 exec_lo, exec_lo, s3
	s_mov_b32 s3, exec_lo
	v_cmpx_lt_u32_e32 0xffffff, v50
	s_cbranch_execz .LBB222_872
; %bb.865:                              ;   in Loop: Header=BB222_806 Depth=1
	v_mov_b64_e32 v[48:49], 0x8000000000000000
	v_lshrrev_b32_e32 v51, 24, v50
	s_mov_b32 s8, exec_lo
	s_delay_alu instid0(VALU_DEP_1)
	v_cmpx_ne_u32_e32 0x80, v51
	s_cbranch_execz .LBB222_871
; %bb.866:                              ;   in Loop: Header=BB222_806 Depth=1
	v_mov_b64_e32 v[48:49], 0x7f80000100000000
	v_bfe_u32 v50, v50, 24, 7
	s_mov_b32 s9, exec_lo
	s_delay_alu instid0(VALU_DEP_1)
	v_cmpx_ne_u32_e32 0x7f, v50
	s_cbranch_execz .LBB222_870
; %bb.867:                              ;   in Loop: Header=BB222_806 Depth=1
	v_dual_lshrrev_b32 v48, 3, v50 :: v_dual_bitop2_b32 v66, 7, v51 bitop3:0x40
	s_mov_b32 s16, exec_lo
	v_cmpx_gt_u32_e32 8, v50
; %bb.868:                              ;   in Loop: Header=BB222_806 Depth=1
	s_delay_alu instid0(VALU_DEP_2) | instskip(NEXT) | instid1(VALU_DEP_1)
	v_clz_i32_u32_e32 v48, v66
	v_min_u32_e32 v48, 32, v48
	s_delay_alu instid0(VALU_DEP_1) | instskip(SKIP_1) | instid1(VALU_DEP_2)
	v_subrev_nc_u32_e32 v49, 28, v48
	v_sub_nc_u32_e32 v48, 29, v48
	v_lshlrev_b64_e32 v[52:53], v49, v[66:67]
	s_delay_alu instid0(VALU_DEP_1)
	v_and_b32_e32 v66, 7, v52
; %bb.869:                              ;   in Loop: Header=BB222_806 Depth=1
	s_or_b32 exec_lo, exec_lo, s16
	s_delay_alu instid0(VALU_DEP_1) | instskip(SKIP_1) | instid1(VALU_DEP_2)
	v_dual_lshlrev_b32 v49, 24, v51 :: v_dual_lshlrev_b32 v50, 20, v66
	v_lshl_add_u32 v48, v48, 23, 0x3c000000
	v_and_b32_e32 v49, 0x80000000, v49
	s_delay_alu instid0(VALU_DEP_1)
	v_or3_b32 v49, v50, v49, v48
	v_mov_b32_e32 v48, v67
.LBB222_870:                            ;   in Loop: Header=BB222_806 Depth=1
	s_or_b32 exec_lo, exec_lo, s9
.LBB222_871:                            ;   in Loop: Header=BB222_806 Depth=1
	s_delay_alu instid0(SALU_CYCLE_1)
	s_or_b32 exec_lo, exec_lo, s8
.LBB222_872:                            ;   in Loop: Header=BB222_806 Depth=1
	s_delay_alu instid0(SALU_CYCLE_1) | instskip(SKIP_4) | instid1(VALU_DEP_3)
	s_or_b32 exec_lo, exec_lo, s3
	v_or_b32_e32 v1, v1, v19
	v_or_b32_e32 v0, v0, v18
	;; [unrolled: 1-line block ×4, first 2 shown]
	v_pk_mul_f32 v[0:1], v[22:23], v[0:1]
	scratch_store_b64 off, v[0:1], s32 offset:228 ; 8-byte Folded Spill
	s_wait_xcnt 0x0
	v_pk_mul_f32 v[0:1], v[22:23], v[6:7]
	scratch_store_b64 off, v[0:1], s32 offset:220 ; 8-byte Folded Spill
	s_wait_xcnt 0x0
	s_and_saveexec_b32 s3, vcc_lo
	s_cbranch_execz .LBB222_874
; %bb.873:                              ;   in Loop: Header=BB222_806 Depth=1
	s_clause 0x1
	scratch_load_b64 v[0:1], off, s32 offset:192
	scratch_load_b64 v[6:7], off, s32 offset:228 th:TH_LOAD_LU
	s_wait_loadcnt 0x1
	v_cmp_lt_i32_e64 s0, v17, v0
	s_wait_loadcnt 0x0
	s_delay_alu instid0(VALU_DEP_1) | instskip(SKIP_1) | instid1(VALU_DEP_1)
	v_cndmask_b32_e64 v6, 0, v6, s0
	v_cmp_lt_i32_e64 s0, v70, v0
	v_cndmask_b32_e64 v7, 0, v7, s0
	v_cmp_lt_i32_e64 s0, v80, v0
	s_clause 0x1
	scratch_store_b64 off, v[6:7], s32 offset:228
	scratch_load_b64 v[6:7], off, s32 offset:220 th:TH_LOAD_LU
	s_wait_loadcnt 0x0
	v_cndmask_b32_e64 v6, 0, v6, s0
	v_cmp_lt_i32_e64 s0, v71, v0
	s_delay_alu instid0(VALU_DEP_1)
	v_cndmask_b32_e64 v7, 0, v7, s0
	scratch_store_b64 off, v[6:7], s32 offset:220 ; 8-byte Folded Spill
.LBB222_874:                            ;   in Loop: Header=BB222_806 Depth=1
	s_wait_xcnt 0x0
	s_or_b32 exec_lo, exec_lo, s3
	flat_load_b32 v50, v[54:55] offset:256
	v_mov_b64_e32 v[0:1], 0
	v_mov_b64_e32 v[18:19], 0
	s_mov_b32 s3, exec_lo
	s_wait_loadcnt_dscnt 0x0
	v_and_b32_e32 v6, 0xff, v50
	s_wait_xcnt 0x0
	s_delay_alu instid0(VALU_DEP_1)
	v_cmpx_ne_u16_e32 0, v6
	s_cbranch_execz .LBB222_882
; %bb.875:                              ;   in Loop: Header=BB222_806 Depth=1
	v_mov_b64_e32 v[18:19], 0x80000000
	s_mov_b32 s8, exec_lo
	v_cmpx_ne_u16_e32 0x80, v6
	s_cbranch_execz .LBB222_881
; %bb.876:                              ;   in Loop: Header=BB222_806 Depth=1
	v_mov_b64_e32 v[18:19], 0x7f800001
	v_and_b32_e32 v7, 0x7f, v50
	s_mov_b32 s9, exec_lo
	s_delay_alu instid0(VALU_DEP_1)
	v_cmpx_ne_u32_e32 0x7f, v7
	s_cbranch_execz .LBB222_880
; %bb.877:                              ;   in Loop: Header=BB222_806 Depth=1
	v_dual_lshrrev_b32 v6, 3, v7 :: v_dual_bitop2_b32 v66, 7, v50 bitop3:0x40
	s_mov_b32 s16, exec_lo
	v_cmpx_gt_u32_e32 8, v7
; %bb.878:                              ;   in Loop: Header=BB222_806 Depth=1
	s_delay_alu instid0(VALU_DEP_2) | instskip(NEXT) | instid1(VALU_DEP_1)
	v_clz_i32_u32_e32 v6, v66
	v_min_u32_e32 v6, 32, v6
	s_delay_alu instid0(VALU_DEP_1) | instskip(SKIP_1) | instid1(VALU_DEP_2)
	v_subrev_nc_u32_e32 v7, 28, v6
	v_sub_nc_u32_e32 v6, 29, v6
	v_lshlrev_b64_e32 v[18:19], v7, v[66:67]
	s_delay_alu instid0(VALU_DEP_1)
	v_and_b32_e32 v66, 7, v18
; %bb.879:                              ;   in Loop: Header=BB222_806 Depth=1
	s_or_b32 exec_lo, exec_lo, s16
	v_lshlrev_b32_e32 v7, 24, v50
	s_delay_alu instid0(VALU_DEP_2) | instskip(SKIP_1) | instid1(VALU_DEP_3)
	v_lshlrev_b32_e32 v18, 20, v66
	v_lshl_add_u32 v6, v6, 23, 0x3c000000
	v_and_b32_e32 v7, 0x80000000, v7
	s_delay_alu instid0(VALU_DEP_1) | instskip(NEXT) | instid1(VALU_DEP_1)
	v_or3_b32 v66, v18, v7, v6
	v_mov_b64_e32 v[18:19], v[66:67]
.LBB222_880:                            ;   in Loop: Header=BB222_806 Depth=1
	s_or_b32 exec_lo, exec_lo, s9
.LBB222_881:                            ;   in Loop: Header=BB222_806 Depth=1
	s_delay_alu instid0(SALU_CYCLE_1)
	s_or_b32 exec_lo, exec_lo, s8
.LBB222_882:                            ;   in Loop: Header=BB222_806 Depth=1
	s_delay_alu instid0(SALU_CYCLE_1) | instskip(SKIP_2) | instid1(VALU_DEP_1)
	s_or_b32 exec_lo, exec_lo, s3
	v_lshrrev_b16 v6, 8, v50
	s_mov_b32 s3, exec_lo
	v_cmpx_ne_u16_e32 0, v6
	s_cbranch_execz .LBB222_890
; %bb.883:                              ;   in Loop: Header=BB222_806 Depth=1
	v_mov_b64_e32 v[0:1], 0x8000000000000000
	s_mov_b32 s8, exec_lo
	v_cmpx_ne_u16_e32 0x80, v6
	s_cbranch_execz .LBB222_889
; %bb.884:                              ;   in Loop: Header=BB222_806 Depth=1
	v_and_b32_e32 v7, 0xffff, v6
	v_mov_b64_e32 v[0:1], 0x7f80000100000000
	s_mov_b32 s9, exec_lo
	s_delay_alu instid0(VALU_DEP_2) | instskip(NEXT) | instid1(VALU_DEP_1)
	v_and_b32_e32 v6, 0x7f, v7
	v_cmpx_ne_u32_e32 0x7f, v6
	s_cbranch_execz .LBB222_888
; %bb.885:                              ;   in Loop: Header=BB222_806 Depth=1
	v_dual_lshrrev_b32 v0, 3, v6 :: v_dual_bitop2_b32 v66, 7, v7 bitop3:0x40
	s_mov_b32 s16, exec_lo
	v_cmpx_gt_u32_e32 8, v6
; %bb.886:                              ;   in Loop: Header=BB222_806 Depth=1
	s_delay_alu instid0(VALU_DEP_2) | instskip(NEXT) | instid1(VALU_DEP_1)
	v_clz_i32_u32_e32 v0, v66
	v_min_u32_e32 v0, 32, v0
	s_delay_alu instid0(VALU_DEP_1) | instskip(NEXT) | instid1(VALU_DEP_1)
	v_subrev_nc_u32_e32 v1, 28, v0
	v_lshlrev_b64_e32 v[6:7], v1, v[66:67]
	s_delay_alu instid0(VALU_DEP_1)
	v_dual_sub_nc_u32 v0, 29, v0 :: v_dual_bitop2_b32 v66, 7, v6 bitop3:0x40
; %bb.887:                              ;   in Loop: Header=BB222_806 Depth=1
	s_or_b32 exec_lo, exec_lo, s16
	v_lshlrev_b32_e32 v1, 16, v50
	s_delay_alu instid0(VALU_DEP_2) | instskip(NEXT) | instid1(VALU_DEP_3)
	v_lshlrev_b32_e32 v6, 20, v66
	v_lshl_add_u32 v0, v0, 23, 0x3c000000
	s_delay_alu instid0(VALU_DEP_3) | instskip(NEXT) | instid1(VALU_DEP_1)
	v_and_b32_e32 v1, 0x80000000, v1
	v_or3_b32 v1, v6, v1, v0
	v_mov_b32_e32 v0, v67
.LBB222_888:                            ;   in Loop: Header=BB222_806 Depth=1
	s_or_b32 exec_lo, exec_lo, s9
.LBB222_889:                            ;   in Loop: Header=BB222_806 Depth=1
	s_delay_alu instid0(SALU_CYCLE_1)
	s_or_b32 exec_lo, exec_lo, s8
.LBB222_890:                            ;   in Loop: Header=BB222_806 Depth=1
	s_delay_alu instid0(SALU_CYCLE_1) | instskip(SKIP_4) | instid1(VALU_DEP_3)
	s_or_b32 exec_lo, exec_lo, s3
	v_lshrrev_b32_e32 v51, 16, v50
	v_mov_b64_e32 v[48:49], 0
	v_mov_b64_e32 v[6:7], 0
	s_mov_b32 s3, exec_lo
	v_and_b32_e32 v52, 0xff, v51
	s_delay_alu instid0(VALU_DEP_1)
	v_cmpx_ne_u16_e32 0, v52
	s_cbranch_execz .LBB222_898
; %bb.891:                              ;   in Loop: Header=BB222_806 Depth=1
	v_mov_b64_e32 v[6:7], 0x80000000
	s_mov_b32 s8, exec_lo
	v_cmpx_ne_u16_e32 0x80, v52
	s_cbranch_execz .LBB222_897
; %bb.892:                              ;   in Loop: Header=BB222_806 Depth=1
	v_mov_b64_e32 v[6:7], 0x7f800001
	v_bfe_u32 v52, v50, 16, 7
	s_mov_b32 s9, exec_lo
	s_delay_alu instid0(VALU_DEP_1)
	v_cmpx_ne_u32_e32 0x7f, v52
	s_cbranch_execz .LBB222_896
; %bb.893:                              ;   in Loop: Header=BB222_806 Depth=1
	v_dual_lshrrev_b32 v6, 3, v52 :: v_dual_bitop2_b32 v66, 7, v51 bitop3:0x40
	s_mov_b32 s16, exec_lo
	v_cmpx_gt_u32_e32 8, v52
; %bb.894:                              ;   in Loop: Header=BB222_806 Depth=1
	s_delay_alu instid0(VALU_DEP_2) | instskip(NEXT) | instid1(VALU_DEP_1)
	v_clz_i32_u32_e32 v6, v66
	v_min_u32_e32 v6, 32, v6
	s_delay_alu instid0(VALU_DEP_1) | instskip(NEXT) | instid1(VALU_DEP_1)
	v_subrev_nc_u32_e32 v7, 28, v6
	v_lshlrev_b64_e32 v[52:53], v7, v[66:67]
	s_delay_alu instid0(VALU_DEP_1)
	v_dual_sub_nc_u32 v6, 29, v6 :: v_dual_bitop2_b32 v66, 7, v52 bitop3:0x40
; %bb.895:                              ;   in Loop: Header=BB222_806 Depth=1
	s_or_b32 exec_lo, exec_lo, s16
	s_delay_alu instid0(VALU_DEP_1) | instskip(NEXT) | instid1(VALU_DEP_2)
	v_dual_lshlrev_b32 v7, 24, v51 :: v_dual_lshlrev_b32 v51, 20, v66
	v_lshl_add_u32 v6, v6, 23, 0x3c000000
	s_delay_alu instid0(VALU_DEP_2) | instskip(NEXT) | instid1(VALU_DEP_1)
	v_and_b32_e32 v7, 0x80000000, v7
	v_or3_b32 v66, v51, v7, v6
	s_delay_alu instid0(VALU_DEP_1)
	v_mov_b64_e32 v[6:7], v[66:67]
.LBB222_896:                            ;   in Loop: Header=BB222_806 Depth=1
	s_or_b32 exec_lo, exec_lo, s9
.LBB222_897:                            ;   in Loop: Header=BB222_806 Depth=1
	s_delay_alu instid0(SALU_CYCLE_1)
	s_or_b32 exec_lo, exec_lo, s8
.LBB222_898:                            ;   in Loop: Header=BB222_806 Depth=1
	s_delay_alu instid0(SALU_CYCLE_1) | instskip(NEXT) | instid1(SALU_CYCLE_1)
	s_or_b32 exec_lo, exec_lo, s3
	s_mov_b32 s3, exec_lo
	v_cmpx_lt_u32_e32 0xffffff, v50
	s_cbranch_execz .LBB222_906
; %bb.899:                              ;   in Loop: Header=BB222_806 Depth=1
	v_mov_b64_e32 v[48:49], 0x8000000000000000
	v_lshrrev_b32_e32 v51, 24, v50
	s_mov_b32 s8, exec_lo
	s_delay_alu instid0(VALU_DEP_1)
	v_cmpx_ne_u32_e32 0x80, v51
	s_cbranch_execz .LBB222_905
; %bb.900:                              ;   in Loop: Header=BB222_806 Depth=1
	v_mov_b64_e32 v[48:49], 0x7f80000100000000
	v_bfe_u32 v50, v50, 24, 7
	s_mov_b32 s9, exec_lo
	s_delay_alu instid0(VALU_DEP_1)
	v_cmpx_ne_u32_e32 0x7f, v50
	s_cbranch_execz .LBB222_904
; %bb.901:                              ;   in Loop: Header=BB222_806 Depth=1
	v_dual_lshrrev_b32 v48, 3, v50 :: v_dual_bitop2_b32 v66, 7, v51 bitop3:0x40
	s_mov_b32 s16, exec_lo
	v_cmpx_gt_u32_e32 8, v50
; %bb.902:                              ;   in Loop: Header=BB222_806 Depth=1
	s_delay_alu instid0(VALU_DEP_2) | instskip(NEXT) | instid1(VALU_DEP_1)
	v_clz_i32_u32_e32 v48, v66
	v_min_u32_e32 v48, 32, v48
	s_delay_alu instid0(VALU_DEP_1) | instskip(SKIP_1) | instid1(VALU_DEP_2)
	v_subrev_nc_u32_e32 v49, 28, v48
	v_sub_nc_u32_e32 v48, 29, v48
	v_lshlrev_b64_e32 v[52:53], v49, v[66:67]
	s_delay_alu instid0(VALU_DEP_1)
	v_and_b32_e32 v66, 7, v52
; %bb.903:                              ;   in Loop: Header=BB222_806 Depth=1
	s_or_b32 exec_lo, exec_lo, s16
	s_delay_alu instid0(VALU_DEP_1) | instskip(SKIP_1) | instid1(VALU_DEP_2)
	v_dual_lshlrev_b32 v49, 24, v51 :: v_dual_lshlrev_b32 v50, 20, v66
	v_lshl_add_u32 v48, v48, 23, 0x3c000000
	v_and_b32_e32 v49, 0x80000000, v49
	s_delay_alu instid0(VALU_DEP_1)
	v_or3_b32 v49, v50, v49, v48
	v_mov_b32_e32 v48, v67
.LBB222_904:                            ;   in Loop: Header=BB222_806 Depth=1
	s_or_b32 exec_lo, exec_lo, s9
.LBB222_905:                            ;   in Loop: Header=BB222_806 Depth=1
	s_delay_alu instid0(SALU_CYCLE_1)
	s_or_b32 exec_lo, exec_lo, s8
.LBB222_906:                            ;   in Loop: Header=BB222_806 Depth=1
	s_delay_alu instid0(SALU_CYCLE_1) | instskip(SKIP_4) | instid1(VALU_DEP_3)
	s_or_b32 exec_lo, exec_lo, s3
	v_or_b32_e32 v1, v1, v19
	v_or_b32_e32 v0, v0, v18
	;; [unrolled: 1-line block ×4, first 2 shown]
	v_pk_mul_f32 v[0:1], v[22:23], v[0:1]
	scratch_store_b64 off, v[0:1], s32 offset:244 ; 8-byte Folded Spill
	s_wait_xcnt 0x0
	v_pk_mul_f32 v[0:1], v[22:23], v[6:7]
	scratch_store_b64 off, v[0:1], s32 offset:236 ; 8-byte Folded Spill
	s_wait_xcnt 0x0
	s_and_saveexec_b32 s3, vcc_lo
	s_cbranch_execz .LBB222_908
; %bb.907:                              ;   in Loop: Header=BB222_806 Depth=1
	s_clause 0x1
	scratch_load_b64 v[0:1], off, s32 offset:192
	scratch_load_b64 v[6:7], off, s32 offset:244 th:TH_LOAD_LU
	s_wait_loadcnt 0x1
	v_cmp_lt_i32_e64 s0, v17, v0
	s_wait_loadcnt 0x0
	s_delay_alu instid0(VALU_DEP_1) | instskip(SKIP_1) | instid1(VALU_DEP_1)
	v_cndmask_b32_e64 v6, 0, v6, s0
	v_cmp_lt_i32_e64 s0, v70, v0
	v_cndmask_b32_e64 v7, 0, v7, s0
	v_cmp_lt_i32_e64 s0, v80, v0
	s_clause 0x1
	scratch_store_b64 off, v[6:7], s32 offset:244
	scratch_load_b64 v[6:7], off, s32 offset:236 th:TH_LOAD_LU
	s_wait_loadcnt 0x0
	v_cndmask_b32_e64 v6, 0, v6, s0
	v_cmp_lt_i32_e64 s0, v71, v0
	s_delay_alu instid0(VALU_DEP_1)
	v_cndmask_b32_e64 v7, 0, v7, s0
	scratch_store_b64 off, v[6:7], s32 offset:236 ; 8-byte Folded Spill
.LBB222_908:                            ;   in Loop: Header=BB222_806 Depth=1
	s_wait_xcnt 0x0
	s_or_b32 exec_lo, exec_lo, s3
	flat_load_b32 v50, v[54:55] offset:384
	v_mov_b64_e32 v[0:1], 0
	v_mov_b64_e32 v[18:19], 0
	s_mov_b32 s3, exec_lo
	s_wait_loadcnt_dscnt 0x0
	v_and_b32_e32 v6, 0xff, v50
	s_wait_xcnt 0x0
	s_delay_alu instid0(VALU_DEP_1)
	v_cmpx_ne_u16_e32 0, v6
	s_cbranch_execz .LBB222_916
; %bb.909:                              ;   in Loop: Header=BB222_806 Depth=1
	v_mov_b64_e32 v[18:19], 0x80000000
	s_mov_b32 s8, exec_lo
	v_cmpx_ne_u16_e32 0x80, v6
	s_cbranch_execz .LBB222_915
; %bb.910:                              ;   in Loop: Header=BB222_806 Depth=1
	v_mov_b64_e32 v[18:19], 0x7f800001
	v_and_b32_e32 v7, 0x7f, v50
	s_mov_b32 s9, exec_lo
	s_delay_alu instid0(VALU_DEP_1)
	v_cmpx_ne_u32_e32 0x7f, v7
	s_cbranch_execz .LBB222_914
; %bb.911:                              ;   in Loop: Header=BB222_806 Depth=1
	v_dual_lshrrev_b32 v6, 3, v7 :: v_dual_bitop2_b32 v66, 7, v50 bitop3:0x40
	s_mov_b32 s16, exec_lo
	v_cmpx_gt_u32_e32 8, v7
; %bb.912:                              ;   in Loop: Header=BB222_806 Depth=1
	s_delay_alu instid0(VALU_DEP_2) | instskip(NEXT) | instid1(VALU_DEP_1)
	v_clz_i32_u32_e32 v6, v66
	v_min_u32_e32 v6, 32, v6
	s_delay_alu instid0(VALU_DEP_1) | instskip(SKIP_1) | instid1(VALU_DEP_2)
	v_subrev_nc_u32_e32 v7, 28, v6
	v_sub_nc_u32_e32 v6, 29, v6
	v_lshlrev_b64_e32 v[18:19], v7, v[66:67]
	s_delay_alu instid0(VALU_DEP_1)
	v_and_b32_e32 v66, 7, v18
; %bb.913:                              ;   in Loop: Header=BB222_806 Depth=1
	s_or_b32 exec_lo, exec_lo, s16
	v_lshlrev_b32_e32 v7, 24, v50
	s_delay_alu instid0(VALU_DEP_2) | instskip(SKIP_1) | instid1(VALU_DEP_3)
	v_lshlrev_b32_e32 v18, 20, v66
	v_lshl_add_u32 v6, v6, 23, 0x3c000000
	v_and_b32_e32 v7, 0x80000000, v7
	s_delay_alu instid0(VALU_DEP_1) | instskip(NEXT) | instid1(VALU_DEP_1)
	v_or3_b32 v66, v18, v7, v6
	v_mov_b64_e32 v[18:19], v[66:67]
.LBB222_914:                            ;   in Loop: Header=BB222_806 Depth=1
	s_or_b32 exec_lo, exec_lo, s9
.LBB222_915:                            ;   in Loop: Header=BB222_806 Depth=1
	s_delay_alu instid0(SALU_CYCLE_1)
	s_or_b32 exec_lo, exec_lo, s8
.LBB222_916:                            ;   in Loop: Header=BB222_806 Depth=1
	s_delay_alu instid0(SALU_CYCLE_1) | instskip(SKIP_2) | instid1(VALU_DEP_1)
	s_or_b32 exec_lo, exec_lo, s3
	v_lshrrev_b16 v6, 8, v50
	s_mov_b32 s3, exec_lo
	v_cmpx_ne_u16_e32 0, v6
	s_cbranch_execz .LBB222_924
; %bb.917:                              ;   in Loop: Header=BB222_806 Depth=1
	v_mov_b64_e32 v[0:1], 0x8000000000000000
	s_mov_b32 s8, exec_lo
	v_cmpx_ne_u16_e32 0x80, v6
	s_cbranch_execz .LBB222_923
; %bb.918:                              ;   in Loop: Header=BB222_806 Depth=1
	v_and_b32_e32 v7, 0xffff, v6
	v_mov_b64_e32 v[0:1], 0x7f80000100000000
	s_mov_b32 s9, exec_lo
	s_delay_alu instid0(VALU_DEP_2) | instskip(NEXT) | instid1(VALU_DEP_1)
	v_and_b32_e32 v6, 0x7f, v7
	v_cmpx_ne_u32_e32 0x7f, v6
	s_cbranch_execz .LBB222_922
; %bb.919:                              ;   in Loop: Header=BB222_806 Depth=1
	v_dual_lshrrev_b32 v0, 3, v6 :: v_dual_bitop2_b32 v66, 7, v7 bitop3:0x40
	s_mov_b32 s16, exec_lo
	v_cmpx_gt_u32_e32 8, v6
; %bb.920:                              ;   in Loop: Header=BB222_806 Depth=1
	s_delay_alu instid0(VALU_DEP_2) | instskip(NEXT) | instid1(VALU_DEP_1)
	v_clz_i32_u32_e32 v0, v66
	v_min_u32_e32 v0, 32, v0
	s_delay_alu instid0(VALU_DEP_1) | instskip(NEXT) | instid1(VALU_DEP_1)
	v_subrev_nc_u32_e32 v1, 28, v0
	v_lshlrev_b64_e32 v[6:7], v1, v[66:67]
	s_delay_alu instid0(VALU_DEP_1)
	v_dual_sub_nc_u32 v0, 29, v0 :: v_dual_bitop2_b32 v66, 7, v6 bitop3:0x40
; %bb.921:                              ;   in Loop: Header=BB222_806 Depth=1
	s_or_b32 exec_lo, exec_lo, s16
	v_lshlrev_b32_e32 v1, 16, v50
	s_delay_alu instid0(VALU_DEP_2) | instskip(NEXT) | instid1(VALU_DEP_3)
	v_lshlrev_b32_e32 v6, 20, v66
	v_lshl_add_u32 v0, v0, 23, 0x3c000000
	s_delay_alu instid0(VALU_DEP_3) | instskip(NEXT) | instid1(VALU_DEP_1)
	v_and_b32_e32 v1, 0x80000000, v1
	v_or3_b32 v1, v6, v1, v0
	v_mov_b32_e32 v0, v67
.LBB222_922:                            ;   in Loop: Header=BB222_806 Depth=1
	s_or_b32 exec_lo, exec_lo, s9
.LBB222_923:                            ;   in Loop: Header=BB222_806 Depth=1
	s_delay_alu instid0(SALU_CYCLE_1)
	s_or_b32 exec_lo, exec_lo, s8
.LBB222_924:                            ;   in Loop: Header=BB222_806 Depth=1
	s_delay_alu instid0(SALU_CYCLE_1) | instskip(SKIP_4) | instid1(VALU_DEP_3)
	s_or_b32 exec_lo, exec_lo, s3
	v_lshrrev_b32_e32 v51, 16, v50
	v_mov_b64_e32 v[48:49], 0
	v_mov_b64_e32 v[6:7], 0
	s_mov_b32 s3, exec_lo
	v_and_b32_e32 v52, 0xff, v51
	s_delay_alu instid0(VALU_DEP_1)
	v_cmpx_ne_u16_e32 0, v52
	s_cbranch_execz .LBB222_932
; %bb.925:                              ;   in Loop: Header=BB222_806 Depth=1
	v_mov_b64_e32 v[6:7], 0x80000000
	s_mov_b32 s8, exec_lo
	v_cmpx_ne_u16_e32 0x80, v52
	s_cbranch_execz .LBB222_931
; %bb.926:                              ;   in Loop: Header=BB222_806 Depth=1
	v_mov_b64_e32 v[6:7], 0x7f800001
	v_bfe_u32 v52, v50, 16, 7
	s_mov_b32 s9, exec_lo
	s_delay_alu instid0(VALU_DEP_1)
	v_cmpx_ne_u32_e32 0x7f, v52
	s_cbranch_execz .LBB222_930
; %bb.927:                              ;   in Loop: Header=BB222_806 Depth=1
	v_dual_lshrrev_b32 v6, 3, v52 :: v_dual_bitop2_b32 v66, 7, v51 bitop3:0x40
	s_mov_b32 s16, exec_lo
	v_cmpx_gt_u32_e32 8, v52
; %bb.928:                              ;   in Loop: Header=BB222_806 Depth=1
	s_delay_alu instid0(VALU_DEP_2) | instskip(NEXT) | instid1(VALU_DEP_1)
	v_clz_i32_u32_e32 v6, v66
	v_min_u32_e32 v6, 32, v6
	s_delay_alu instid0(VALU_DEP_1) | instskip(NEXT) | instid1(VALU_DEP_1)
	v_subrev_nc_u32_e32 v7, 28, v6
	v_lshlrev_b64_e32 v[52:53], v7, v[66:67]
	s_delay_alu instid0(VALU_DEP_1)
	v_dual_sub_nc_u32 v6, 29, v6 :: v_dual_bitop2_b32 v66, 7, v52 bitop3:0x40
; %bb.929:                              ;   in Loop: Header=BB222_806 Depth=1
	s_or_b32 exec_lo, exec_lo, s16
	s_delay_alu instid0(VALU_DEP_1) | instskip(NEXT) | instid1(VALU_DEP_2)
	v_dual_lshlrev_b32 v7, 24, v51 :: v_dual_lshlrev_b32 v51, 20, v66
	v_lshl_add_u32 v6, v6, 23, 0x3c000000
	s_delay_alu instid0(VALU_DEP_2) | instskip(NEXT) | instid1(VALU_DEP_1)
	v_and_b32_e32 v7, 0x80000000, v7
	v_or3_b32 v66, v51, v7, v6
	s_delay_alu instid0(VALU_DEP_1)
	v_mov_b64_e32 v[6:7], v[66:67]
.LBB222_930:                            ;   in Loop: Header=BB222_806 Depth=1
	s_or_b32 exec_lo, exec_lo, s9
.LBB222_931:                            ;   in Loop: Header=BB222_806 Depth=1
	s_delay_alu instid0(SALU_CYCLE_1)
	s_or_b32 exec_lo, exec_lo, s8
.LBB222_932:                            ;   in Loop: Header=BB222_806 Depth=1
	s_delay_alu instid0(SALU_CYCLE_1) | instskip(NEXT) | instid1(SALU_CYCLE_1)
	s_or_b32 exec_lo, exec_lo, s3
	s_mov_b32 s3, exec_lo
	v_cmpx_lt_u32_e32 0xffffff, v50
	s_cbranch_execz .LBB222_940
; %bb.933:                              ;   in Loop: Header=BB222_806 Depth=1
	v_mov_b64_e32 v[48:49], 0x8000000000000000
	v_lshrrev_b32_e32 v51, 24, v50
	s_mov_b32 s8, exec_lo
	s_delay_alu instid0(VALU_DEP_1)
	v_cmpx_ne_u32_e32 0x80, v51
	s_cbranch_execz .LBB222_939
; %bb.934:                              ;   in Loop: Header=BB222_806 Depth=1
	v_mov_b64_e32 v[48:49], 0x7f80000100000000
	v_bfe_u32 v50, v50, 24, 7
	s_mov_b32 s9, exec_lo
	s_delay_alu instid0(VALU_DEP_1)
	v_cmpx_ne_u32_e32 0x7f, v50
	s_cbranch_execz .LBB222_938
; %bb.935:                              ;   in Loop: Header=BB222_806 Depth=1
	v_dual_lshrrev_b32 v48, 3, v50 :: v_dual_bitop2_b32 v66, 7, v51 bitop3:0x40
	s_mov_b32 s16, exec_lo
	v_cmpx_gt_u32_e32 8, v50
; %bb.936:                              ;   in Loop: Header=BB222_806 Depth=1
	s_delay_alu instid0(VALU_DEP_2) | instskip(NEXT) | instid1(VALU_DEP_1)
	v_clz_i32_u32_e32 v48, v66
	v_min_u32_e32 v48, 32, v48
	s_delay_alu instid0(VALU_DEP_1) | instskip(SKIP_1) | instid1(VALU_DEP_2)
	v_subrev_nc_u32_e32 v49, 28, v48
	v_sub_nc_u32_e32 v48, 29, v48
	v_lshlrev_b64_e32 v[52:53], v49, v[66:67]
	s_delay_alu instid0(VALU_DEP_1)
	v_and_b32_e32 v66, 7, v52
; %bb.937:                              ;   in Loop: Header=BB222_806 Depth=1
	s_or_b32 exec_lo, exec_lo, s16
	s_delay_alu instid0(VALU_DEP_1) | instskip(SKIP_1) | instid1(VALU_DEP_2)
	v_dual_lshlrev_b32 v49, 24, v51 :: v_dual_lshlrev_b32 v50, 20, v66
	v_lshl_add_u32 v48, v48, 23, 0x3c000000
	v_and_b32_e32 v49, 0x80000000, v49
	s_delay_alu instid0(VALU_DEP_1)
	v_or3_b32 v49, v50, v49, v48
	v_mov_b32_e32 v48, v67
.LBB222_938:                            ;   in Loop: Header=BB222_806 Depth=1
	s_or_b32 exec_lo, exec_lo, s9
.LBB222_939:                            ;   in Loop: Header=BB222_806 Depth=1
	s_delay_alu instid0(SALU_CYCLE_1)
	s_or_b32 exec_lo, exec_lo, s8
.LBB222_940:                            ;   in Loop: Header=BB222_806 Depth=1
	s_delay_alu instid0(SALU_CYCLE_1) | instskip(SKIP_4) | instid1(VALU_DEP_3)
	s_or_b32 exec_lo, exec_lo, s3
	v_or_b32_e32 v1, v1, v19
	v_or_b32_e32 v0, v0, v18
	;; [unrolled: 1-line block ×4, first 2 shown]
	v_pk_mul_f32 v[0:1], v[22:23], v[0:1]
	scratch_store_b64 off, v[0:1], s32 offset:260 ; 8-byte Folded Spill
	s_wait_xcnt 0x0
	v_pk_mul_f32 v[0:1], v[22:23], v[6:7]
	scratch_store_b64 off, v[0:1], s32 offset:252 ; 8-byte Folded Spill
	s_wait_xcnt 0x0
	s_and_saveexec_b32 s3, vcc_lo
	s_cbranch_execz .LBB222_942
; %bb.941:                              ;   in Loop: Header=BB222_806 Depth=1
	s_clause 0x1
	scratch_load_b64 v[0:1], off, s32 offset:192
	scratch_load_b64 v[6:7], off, s32 offset:260 th:TH_LOAD_LU
	s_wait_loadcnt 0x1
	v_cmp_lt_i32_e64 s0, v17, v0
	s_wait_loadcnt 0x0
	s_delay_alu instid0(VALU_DEP_1) | instskip(SKIP_1) | instid1(VALU_DEP_1)
	v_cndmask_b32_e64 v6, 0, v6, s0
	v_cmp_lt_i32_e64 s0, v70, v0
	v_cndmask_b32_e64 v7, 0, v7, s0
	v_cmp_lt_i32_e64 s0, v80, v0
	s_clause 0x1
	scratch_store_b64 off, v[6:7], s32 offset:260
	scratch_load_b64 v[6:7], off, s32 offset:252 th:TH_LOAD_LU
	s_wait_loadcnt 0x0
	v_cndmask_b32_e64 v6, 0, v6, s0
	v_cmp_lt_i32_e64 s0, v71, v0
	s_delay_alu instid0(VALU_DEP_1)
	v_cndmask_b32_e64 v7, 0, v7, s0
	scratch_store_b64 off, v[6:7], s32 offset:252 ; 8-byte Folded Spill
.LBB222_942:                            ;   in Loop: Header=BB222_806 Depth=1
	s_wait_xcnt 0x0
	s_or_b32 exec_lo, exec_lo, s3
	flat_load_b32 v0, v[54:55] offset:512
	v_mov_b64_e32 v[48:49], 0
	v_mov_b64_e32 v[50:51], 0
	s_mov_b32 s3, exec_lo
	s_wait_loadcnt_dscnt 0x0
	v_and_b32_e32 v1, 0xff, v0
	s_wait_xcnt 0x0
	s_delay_alu instid0(VALU_DEP_1)
	v_cmpx_ne_u16_e32 0, v1
	s_cbranch_execz .LBB222_950
; %bb.943:                              ;   in Loop: Header=BB222_806 Depth=1
	v_mov_b64_e32 v[50:51], 0x80000000
	s_mov_b32 s8, exec_lo
	v_cmpx_ne_u16_e32 0x80, v1
	s_cbranch_execz .LBB222_949
; %bb.944:                              ;   in Loop: Header=BB222_806 Depth=1
	v_mov_b64_e32 v[50:51], 0x7f800001
	v_and_b32_e32 v6, 0x7f, v0
	s_mov_b32 s9, exec_lo
	s_delay_alu instid0(VALU_DEP_1)
	v_cmpx_ne_u32_e32 0x7f, v6
	s_cbranch_execz .LBB222_948
; %bb.945:                              ;   in Loop: Header=BB222_806 Depth=1
	v_dual_lshrrev_b32 v1, 3, v6 :: v_dual_bitop2_b32 v66, 7, v0 bitop3:0x40
	s_mov_b32 s16, exec_lo
	v_cmpx_gt_u32_e32 8, v6
; %bb.946:                              ;   in Loop: Header=BB222_806 Depth=1
	s_delay_alu instid0(VALU_DEP_2) | instskip(NEXT) | instid1(VALU_DEP_1)
	v_clz_i32_u32_e32 v1, v66
	v_min_u32_e32 v1, 32, v1
	s_delay_alu instid0(VALU_DEP_1) | instskip(NEXT) | instid1(VALU_DEP_1)
	v_subrev_nc_u32_e32 v6, 28, v1
	v_lshlrev_b64_e32 v[6:7], v6, v[66:67]
	s_delay_alu instid0(VALU_DEP_1)
	v_dual_sub_nc_u32 v1, 29, v1 :: v_dual_bitop2_b32 v66, 7, v6 bitop3:0x40
; %bb.947:                              ;   in Loop: Header=BB222_806 Depth=1
	s_or_b32 exec_lo, exec_lo, s16
	s_delay_alu instid0(VALU_DEP_1) | instskip(NEXT) | instid1(VALU_DEP_2)
	v_dual_lshlrev_b32 v6, 24, v0 :: v_dual_lshlrev_b32 v7, 20, v66
	v_lshl_add_u32 v1, v1, 23, 0x3c000000
	s_delay_alu instid0(VALU_DEP_2) | instskip(NEXT) | instid1(VALU_DEP_1)
	v_and_b32_e32 v6, 0x80000000, v6
	v_or3_b32 v66, v7, v6, v1
	s_delay_alu instid0(VALU_DEP_1)
	v_mov_b64_e32 v[50:51], v[66:67]
.LBB222_948:                            ;   in Loop: Header=BB222_806 Depth=1
	s_or_b32 exec_lo, exec_lo, s9
.LBB222_949:                            ;   in Loop: Header=BB222_806 Depth=1
	s_delay_alu instid0(SALU_CYCLE_1)
	s_or_b32 exec_lo, exec_lo, s8
.LBB222_950:                            ;   in Loop: Header=BB222_806 Depth=1
	s_delay_alu instid0(SALU_CYCLE_1) | instskip(SKIP_2) | instid1(VALU_DEP_1)
	s_or_b32 exec_lo, exec_lo, s3
	v_lshrrev_b16 v1, 8, v0
	s_mov_b32 s3, exec_lo
	v_cmpx_ne_u16_e32 0, v1
	s_cbranch_execz .LBB222_958
; %bb.951:                              ;   in Loop: Header=BB222_806 Depth=1
	v_mov_b64_e32 v[48:49], 0x8000000000000000
	s_mov_b32 s8, exec_lo
	v_cmpx_ne_u16_e32 0x80, v1
	s_cbranch_execz .LBB222_957
; %bb.952:                              ;   in Loop: Header=BB222_806 Depth=1
	v_and_b32_e32 v1, 0xffff, v1
	v_mov_b64_e32 v[48:49], 0x7f80000100000000
	s_mov_b32 s9, exec_lo
	s_delay_alu instid0(VALU_DEP_2) | instskip(NEXT) | instid1(VALU_DEP_1)
	v_and_b32_e32 v6, 0x7f, v1
	v_cmpx_ne_u32_e32 0x7f, v6
	s_cbranch_execz .LBB222_956
; %bb.953:                              ;   in Loop: Header=BB222_806 Depth=1
	v_dual_lshrrev_b32 v1, 3, v6 :: v_dual_bitop2_b32 v66, 7, v1 bitop3:0x40
	s_mov_b32 s16, exec_lo
	v_cmpx_gt_u32_e32 8, v6
; %bb.954:                              ;   in Loop: Header=BB222_806 Depth=1
	s_delay_alu instid0(VALU_DEP_2) | instskip(NEXT) | instid1(VALU_DEP_1)
	v_clz_i32_u32_e32 v1, v66
	v_min_u32_e32 v1, 32, v1
	s_delay_alu instid0(VALU_DEP_1) | instskip(NEXT) | instid1(VALU_DEP_1)
	v_subrev_nc_u32_e32 v6, 28, v1
	v_lshlrev_b64_e32 v[6:7], v6, v[66:67]
	s_delay_alu instid0(VALU_DEP_1)
	v_dual_sub_nc_u32 v1, 29, v1 :: v_dual_bitop2_b32 v66, 7, v6 bitop3:0x40
; %bb.955:                              ;   in Loop: Header=BB222_806 Depth=1
	s_or_b32 exec_lo, exec_lo, s16
	s_delay_alu instid0(VALU_DEP_1) | instskip(NEXT) | instid1(VALU_DEP_2)
	v_dual_lshlrev_b32 v6, 16, v0 :: v_dual_lshlrev_b32 v7, 20, v66
	v_lshl_add_u32 v1, v1, 23, 0x3c000000
	v_mov_b32_e32 v48, v67
	s_delay_alu instid0(VALU_DEP_3) | instskip(NEXT) | instid1(VALU_DEP_1)
	v_and_b32_e32 v6, 0x80000000, v6
	v_or3_b32 v49, v7, v6, v1
.LBB222_956:                            ;   in Loop: Header=BB222_806 Depth=1
	s_or_b32 exec_lo, exec_lo, s9
.LBB222_957:                            ;   in Loop: Header=BB222_806 Depth=1
	s_delay_alu instid0(SALU_CYCLE_1)
	s_or_b32 exec_lo, exec_lo, s8
.LBB222_958:                            ;   in Loop: Header=BB222_806 Depth=1
	s_delay_alu instid0(SALU_CYCLE_1) | instskip(SKIP_4) | instid1(VALU_DEP_3)
	s_or_b32 exec_lo, exec_lo, s3
	v_lshrrev_b32_e32 v1, 16, v0
	v_mov_b64_e32 v[52:53], 0
	v_mov_b64_e32 v[6:7], 0
	s_mov_b32 s3, exec_lo
	v_and_b32_e32 v64, 0xff, v1
	s_delay_alu instid0(VALU_DEP_1)
	v_cmpx_ne_u16_e32 0, v64
	s_cbranch_execz .LBB222_966
; %bb.959:                              ;   in Loop: Header=BB222_806 Depth=1
	v_mov_b64_e32 v[6:7], 0x80000000
	s_mov_b32 s8, exec_lo
	v_cmpx_ne_u16_e32 0x80, v64
	s_cbranch_execz .LBB222_965
; %bb.960:                              ;   in Loop: Header=BB222_806 Depth=1
	v_mov_b64_e32 v[6:7], 0x7f800001
	v_bfe_u32 v64, v0, 16, 7
	s_mov_b32 s9, exec_lo
	s_delay_alu instid0(VALU_DEP_1)
	v_cmpx_ne_u32_e32 0x7f, v64
	s_cbranch_execz .LBB222_964
; %bb.961:                              ;   in Loop: Header=BB222_806 Depth=1
	v_dual_lshrrev_b32 v6, 3, v64 :: v_dual_bitop2_b32 v66, 7, v1 bitop3:0x40
	s_mov_b32 s16, exec_lo
	v_cmpx_gt_u32_e32 8, v64
; %bb.962:                              ;   in Loop: Header=BB222_806 Depth=1
	s_delay_alu instid0(VALU_DEP_2) | instskip(NEXT) | instid1(VALU_DEP_1)
	v_clz_i32_u32_e32 v6, v66
	v_min_u32_e32 v6, 32, v6
	s_delay_alu instid0(VALU_DEP_1) | instskip(NEXT) | instid1(VALU_DEP_1)
	v_subrev_nc_u32_e32 v7, 28, v6
	v_lshlrev_b64_e32 v[64:65], v7, v[66:67]
	s_delay_alu instid0(VALU_DEP_1)
	v_dual_sub_nc_u32 v6, 29, v6 :: v_dual_bitop2_b32 v66, 7, v64 bitop3:0x40
; %bb.963:                              ;   in Loop: Header=BB222_806 Depth=1
	s_or_b32 exec_lo, exec_lo, s16
	s_delay_alu instid0(VALU_DEP_1) | instskip(NEXT) | instid1(VALU_DEP_2)
	v_dual_lshlrev_b32 v1, 24, v1 :: v_dual_lshlrev_b32 v7, 20, v66
	v_lshl_add_u32 v6, v6, 23, 0x3c000000
	s_delay_alu instid0(VALU_DEP_2) | instskip(NEXT) | instid1(VALU_DEP_1)
	v_and_b32_e32 v1, 0x80000000, v1
	v_or3_b32 v66, v7, v1, v6
	s_delay_alu instid0(VALU_DEP_1)
	v_mov_b64_e32 v[6:7], v[66:67]
.LBB222_964:                            ;   in Loop: Header=BB222_806 Depth=1
	s_or_b32 exec_lo, exec_lo, s9
.LBB222_965:                            ;   in Loop: Header=BB222_806 Depth=1
	s_delay_alu instid0(SALU_CYCLE_1)
	s_or_b32 exec_lo, exec_lo, s8
.LBB222_966:                            ;   in Loop: Header=BB222_806 Depth=1
	s_delay_alu instid0(SALU_CYCLE_1) | instskip(NEXT) | instid1(SALU_CYCLE_1)
	s_or_b32 exec_lo, exec_lo, s3
	s_mov_b32 s3, exec_lo
	v_cmpx_lt_u32_e32 0xffffff, v0
	s_cbranch_execz .LBB222_974
; %bb.967:                              ;   in Loop: Header=BB222_806 Depth=1
	v_mov_b64_e32 v[52:53], 0x8000000000000000
	v_lshrrev_b32_e32 v1, 24, v0
	s_mov_b32 s8, exec_lo
	s_delay_alu instid0(VALU_DEP_1)
	v_cmpx_ne_u32_e32 0x80, v1
	s_cbranch_execz .LBB222_973
; %bb.968:                              ;   in Loop: Header=BB222_806 Depth=1
	v_mov_b64_e32 v[52:53], 0x7f80000100000000
	v_bfe_u32 v64, v0, 24, 7
	s_mov_b32 s9, exec_lo
	s_delay_alu instid0(VALU_DEP_1)
	v_cmpx_ne_u32_e32 0x7f, v64
	s_cbranch_execz .LBB222_972
; %bb.969:                              ;   in Loop: Header=BB222_806 Depth=1
	v_dual_lshrrev_b32 v0, 3, v64 :: v_dual_bitop2_b32 v66, 7, v1 bitop3:0x40
	s_mov_b32 s16, exec_lo
	v_cmpx_gt_u32_e32 8, v64
; %bb.970:                              ;   in Loop: Header=BB222_806 Depth=1
	s_delay_alu instid0(VALU_DEP_2) | instskip(NEXT) | instid1(VALU_DEP_1)
	v_clz_i32_u32_e32 v0, v66
	v_min_u32_e32 v0, 32, v0
	s_delay_alu instid0(VALU_DEP_1) | instskip(SKIP_1) | instid1(VALU_DEP_2)
	v_subrev_nc_u32_e32 v18, 28, v0
	v_sub_nc_u32_e32 v0, 29, v0
	v_lshlrev_b64_e32 v[52:53], v18, v[66:67]
	s_delay_alu instid0(VALU_DEP_1)
	v_and_b32_e32 v66, 7, v52
; %bb.971:                              ;   in Loop: Header=BB222_806 Depth=1
	s_or_b32 exec_lo, exec_lo, s16
	s_delay_alu instid0(VALU_DEP_1) | instskip(SKIP_2) | instid1(VALU_DEP_3)
	v_dual_lshlrev_b32 v1, 24, v1 :: v_dual_lshlrev_b32 v18, 20, v66
	v_lshl_add_u32 v0, v0, 23, 0x3c000000
	v_mov_b32_e32 v52, v67
	v_and_b32_e32 v1, 0x80000000, v1
	s_delay_alu instid0(VALU_DEP_1)
	v_or3_b32 v53, v18, v1, v0
.LBB222_972:                            ;   in Loop: Header=BB222_806 Depth=1
	s_or_b32 exec_lo, exec_lo, s9
.LBB222_973:                            ;   in Loop: Header=BB222_806 Depth=1
	s_delay_alu instid0(SALU_CYCLE_1)
	s_or_b32 exec_lo, exec_lo, s8
.LBB222_974:                            ;   in Loop: Header=BB222_806 Depth=1
	s_delay_alu instid0(SALU_CYCLE_1) | instskip(SKIP_4) | instid1(VALU_DEP_3)
	s_or_b32 exec_lo, exec_lo, s3
	v_or_b32_e32 v1, v49, v51
	v_or_b32_e32 v0, v48, v50
	;; [unrolled: 1-line block ×4, first 2 shown]
	v_pk_mul_f32 v[82:83], v[22:23], v[0:1]
	s_delay_alu instid0(VALU_DEP_2)
	v_pk_mul_f32 v[0:1], v[22:23], v[6:7]
	s_and_saveexec_b32 s3, vcc_lo
	s_cbranch_execz .LBB222_976
; %bb.975:                              ;   in Loop: Header=BB222_806 Depth=1
	scratch_load_b64 v[6:7], off, s32 offset:192 ; 8-byte Folded Reload
	s_wait_loadcnt 0x0
	v_cmp_lt_i32_e64 s0, v17, v6
	s_delay_alu instid0(VALU_DEP_1) | instskip(SKIP_1) | instid1(VALU_DEP_1)
	v_cndmask_b32_e64 v82, 0, v82, s0
	v_cmp_lt_i32_e64 s0, v70, v6
	v_cndmask_b32_e64 v83, 0, v83, s0
	v_cmp_lt_i32_e64 s0, v80, v6
	s_delay_alu instid0(VALU_DEP_1) | instskip(SKIP_1) | instid1(VALU_DEP_1)
	v_cndmask_b32_e64 v0, 0, v0, s0
	v_cmp_lt_i32_e64 s0, v71, v6
	v_cndmask_b32_e64 v1, 0, v1, s0
.LBB222_976:                            ;   in Loop: Header=BB222_806 Depth=1
	s_wait_xcnt 0x0
	s_or_b32 exec_lo, exec_lo, s3
	flat_load_b32 v64, v[54:55] offset:640
	v_mov_b64_e32 v[48:49], 0
	v_mov_b64_e32 v[50:51], 0
	s_mov_b32 s3, exec_lo
	s_wait_loadcnt_dscnt 0x0
	v_and_b32_e32 v6, 0xff, v64
	s_wait_xcnt 0x0
	s_delay_alu instid0(VALU_DEP_1)
	v_cmpx_ne_u16_e32 0, v6
	s_cbranch_execz .LBB222_984
; %bb.977:                              ;   in Loop: Header=BB222_806 Depth=1
	v_mov_b64_e32 v[50:51], 0x80000000
	s_mov_b32 s8, exec_lo
	v_cmpx_ne_u16_e32 0x80, v6
	s_cbranch_execz .LBB222_983
; %bb.978:                              ;   in Loop: Header=BB222_806 Depth=1
	v_mov_b64_e32 v[50:51], 0x7f800001
	v_and_b32_e32 v7, 0x7f, v64
	s_mov_b32 s9, exec_lo
	s_delay_alu instid0(VALU_DEP_1)
	v_cmpx_ne_u32_e32 0x7f, v7
	s_cbranch_execz .LBB222_982
; %bb.979:                              ;   in Loop: Header=BB222_806 Depth=1
	v_dual_lshrrev_b32 v6, 3, v7 :: v_dual_bitop2_b32 v66, 7, v64 bitop3:0x40
	s_mov_b32 s16, exec_lo
	v_cmpx_gt_u32_e32 8, v7
; %bb.980:                              ;   in Loop: Header=BB222_806 Depth=1
	s_delay_alu instid0(VALU_DEP_2) | instskip(NEXT) | instid1(VALU_DEP_1)
	v_clz_i32_u32_e32 v6, v66
	v_min_u32_e32 v6, 32, v6
	s_delay_alu instid0(VALU_DEP_1) | instskip(SKIP_1) | instid1(VALU_DEP_2)
	v_subrev_nc_u32_e32 v7, 28, v6
	v_sub_nc_u32_e32 v6, 29, v6
	v_lshlrev_b64_e32 v[50:51], v7, v[66:67]
	s_delay_alu instid0(VALU_DEP_1)
	v_and_b32_e32 v66, 7, v50
; %bb.981:                              ;   in Loop: Header=BB222_806 Depth=1
	s_or_b32 exec_lo, exec_lo, s16
	s_delay_alu instid0(VALU_DEP_1) | instskip(SKIP_1) | instid1(VALU_DEP_2)
	v_dual_lshlrev_b32 v7, 24, v64 :: v_dual_lshlrev_b32 v18, 20, v66
	v_lshl_add_u32 v6, v6, 23, 0x3c000000
	v_and_b32_e32 v7, 0x80000000, v7
	s_delay_alu instid0(VALU_DEP_1) | instskip(NEXT) | instid1(VALU_DEP_1)
	v_or3_b32 v66, v18, v7, v6
	v_mov_b64_e32 v[50:51], v[66:67]
.LBB222_982:                            ;   in Loop: Header=BB222_806 Depth=1
	s_or_b32 exec_lo, exec_lo, s9
.LBB222_983:                            ;   in Loop: Header=BB222_806 Depth=1
	s_delay_alu instid0(SALU_CYCLE_1)
	s_or_b32 exec_lo, exec_lo, s8
.LBB222_984:                            ;   in Loop: Header=BB222_806 Depth=1
	s_delay_alu instid0(SALU_CYCLE_1) | instskip(SKIP_2) | instid1(VALU_DEP_1)
	s_or_b32 exec_lo, exec_lo, s3
	v_lshrrev_b16 v6, 8, v64
	s_mov_b32 s3, exec_lo
	v_cmpx_ne_u16_e32 0, v6
	s_cbranch_execz .LBB222_992
; %bb.985:                              ;   in Loop: Header=BB222_806 Depth=1
	v_mov_b64_e32 v[48:49], 0x8000000000000000
	s_mov_b32 s8, exec_lo
	v_cmpx_ne_u16_e32 0x80, v6
	s_cbranch_execz .LBB222_991
; %bb.986:                              ;   in Loop: Header=BB222_806 Depth=1
	v_and_b32_e32 v6, 0xffff, v6
	v_mov_b64_e32 v[48:49], 0x7f80000100000000
	s_mov_b32 s9, exec_lo
	s_delay_alu instid0(VALU_DEP_2) | instskip(NEXT) | instid1(VALU_DEP_1)
	v_and_b32_e32 v7, 0x7f, v6
	v_cmpx_ne_u32_e32 0x7f, v7
	s_cbranch_execz .LBB222_990
; %bb.987:                              ;   in Loop: Header=BB222_806 Depth=1
	v_dual_lshrrev_b32 v6, 3, v7 :: v_dual_bitop2_b32 v66, 7, v6 bitop3:0x40
	s_mov_b32 s16, exec_lo
	v_cmpx_gt_u32_e32 8, v7
; %bb.988:                              ;   in Loop: Header=BB222_806 Depth=1
	s_delay_alu instid0(VALU_DEP_2) | instskip(NEXT) | instid1(VALU_DEP_1)
	v_clz_i32_u32_e32 v6, v66
	v_min_u32_e32 v6, 32, v6
	s_delay_alu instid0(VALU_DEP_1) | instskip(NEXT) | instid1(VALU_DEP_1)
	v_subrev_nc_u32_e32 v7, 28, v6
	v_lshlrev_b64_e32 v[48:49], v7, v[66:67]
	s_delay_alu instid0(VALU_DEP_1)
	v_dual_sub_nc_u32 v6, 29, v6 :: v_dual_bitop2_b32 v66, 7, v48 bitop3:0x40
; %bb.989:                              ;   in Loop: Header=BB222_806 Depth=1
	s_or_b32 exec_lo, exec_lo, s16
	s_delay_alu instid0(VALU_DEP_1) | instskip(NEXT) | instid1(VALU_DEP_2)
	v_dual_lshlrev_b32 v7, 16, v64 :: v_dual_lshlrev_b32 v18, 20, v66
	v_lshl_add_u32 v6, v6, 23, 0x3c000000
	v_mov_b32_e32 v48, v67
	s_delay_alu instid0(VALU_DEP_3) | instskip(NEXT) | instid1(VALU_DEP_1)
	v_and_b32_e32 v7, 0x80000000, v7
	v_or3_b32 v49, v18, v7, v6
.LBB222_990:                            ;   in Loop: Header=BB222_806 Depth=1
	s_or_b32 exec_lo, exec_lo, s9
.LBB222_991:                            ;   in Loop: Header=BB222_806 Depth=1
	s_delay_alu instid0(SALU_CYCLE_1)
	s_or_b32 exec_lo, exec_lo, s8
.LBB222_992:                            ;   in Loop: Header=BB222_806 Depth=1
	s_delay_alu instid0(SALU_CYCLE_1) | instskip(SKIP_4) | instid1(VALU_DEP_3)
	s_or_b32 exec_lo, exec_lo, s3
	v_lshrrev_b32_e32 v65, 16, v64
	v_mov_b64_e32 v[52:53], 0
	v_mov_b64_e32 v[6:7], 0
	s_mov_b32 s3, exec_lo
	v_and_b32_e32 v66, 0xff, v65
	s_delay_alu instid0(VALU_DEP_1)
	v_cmpx_ne_u16_e32 0, v66
	s_cbranch_execz .LBB222_1000
; %bb.993:                              ;   in Loop: Header=BB222_806 Depth=1
	v_mov_b64_e32 v[6:7], 0x80000000
	s_mov_b32 s8, exec_lo
	v_cmpx_ne_u16_e32 0x80, v66
	s_cbranch_execz .LBB222_999
; %bb.994:                              ;   in Loop: Header=BB222_806 Depth=1
	v_mov_b64_e32 v[6:7], 0x7f800001
	v_bfe_u32 v81, v64, 16, 7
	s_mov_b32 s9, exec_lo
	s_delay_alu instid0(VALU_DEP_1)
	v_cmpx_ne_u32_e32 0x7f, v81
	s_cbranch_execz .LBB222_998
; %bb.995:                              ;   in Loop: Header=BB222_806 Depth=1
	v_and_b32_e32 v66, 7, v65
	v_lshrrev_b32_e32 v6, 3, v81
	s_mov_b32 s16, exec_lo
	v_cmpx_gt_u32_e32 8, v81
; %bb.996:                              ;   in Loop: Header=BB222_806 Depth=1
	s_delay_alu instid0(VALU_DEP_3) | instskip(NEXT) | instid1(VALU_DEP_1)
	v_clz_i32_u32_e32 v6, v66
	v_min_u32_e32 v6, 32, v6
	s_delay_alu instid0(VALU_DEP_1) | instskip(NEXT) | instid1(VALU_DEP_1)
	v_subrev_nc_u32_e32 v7, 28, v6
	v_lshlrev_b64_e32 v[84:85], v7, v[66:67]
	s_delay_alu instid0(VALU_DEP_1)
	v_dual_sub_nc_u32 v6, 29, v6 :: v_dual_bitop2_b32 v66, 7, v84 bitop3:0x40
; %bb.997:                              ;   in Loop: Header=BB222_806 Depth=1
	s_or_b32 exec_lo, exec_lo, s16
	s_delay_alu instid0(VALU_DEP_1) | instskip(NEXT) | instid1(VALU_DEP_2)
	v_dual_lshlrev_b32 v7, 24, v65 :: v_dual_lshlrev_b32 v18, 20, v66
	v_lshl_add_u32 v6, v6, 23, 0x3c000000
	s_delay_alu instid0(VALU_DEP_2) | instskip(NEXT) | instid1(VALU_DEP_1)
	v_and_b32_e32 v7, 0x80000000, v7
	v_or3_b32 v66, v18, v7, v6
	s_delay_alu instid0(VALU_DEP_1)
	v_mov_b64_e32 v[6:7], v[66:67]
.LBB222_998:                            ;   in Loop: Header=BB222_806 Depth=1
	s_or_b32 exec_lo, exec_lo, s9
.LBB222_999:                            ;   in Loop: Header=BB222_806 Depth=1
	s_delay_alu instid0(SALU_CYCLE_1)
	s_or_b32 exec_lo, exec_lo, s8
.LBB222_1000:                           ;   in Loop: Header=BB222_806 Depth=1
	s_delay_alu instid0(SALU_CYCLE_1) | instskip(NEXT) | instid1(SALU_CYCLE_1)
	s_or_b32 exec_lo, exec_lo, s3
	s_mov_b32 s3, exec_lo
	v_cmpx_lt_u32_e32 0xffffff, v64
	s_cbranch_execz .LBB222_1008
; %bb.1001:                             ;   in Loop: Header=BB222_806 Depth=1
	v_mov_b64_e32 v[52:53], 0x8000000000000000
	v_lshrrev_b32_e32 v65, 24, v64
	s_mov_b32 s8, exec_lo
	s_delay_alu instid0(VALU_DEP_1)
	v_cmpx_ne_u32_e32 0x80, v65
	s_cbranch_execz .LBB222_1007
; %bb.1002:                             ;   in Loop: Header=BB222_806 Depth=1
	v_mov_b64_e32 v[52:53], 0x7f80000100000000
	v_bfe_u32 v64, v64, 24, 7
	s_mov_b32 s9, exec_lo
	s_delay_alu instid0(VALU_DEP_1)
	v_cmpx_ne_u32_e32 0x7f, v64
	s_cbranch_execz .LBB222_1006
; %bb.1003:                             ;   in Loop: Header=BB222_806 Depth=1
	v_dual_lshrrev_b32 v52, 3, v64 :: v_dual_bitop2_b32 v66, 7, v65 bitop3:0x40
	s_mov_b32 s16, exec_lo
	v_cmpx_gt_u32_e32 8, v64
; %bb.1004:                             ;   in Loop: Header=BB222_806 Depth=1
	s_delay_alu instid0(VALU_DEP_2) | instskip(NEXT) | instid1(VALU_DEP_1)
	v_clz_i32_u32_e32 v18, v66
	v_min_u32_e32 v18, 32, v18
	s_delay_alu instid0(VALU_DEP_1) | instskip(NEXT) | instid1(VALU_DEP_1)
	v_subrev_nc_u32_e32 v19, 28, v18
	v_lshlrev_b64_e32 v[84:85], v19, v[66:67]
	s_delay_alu instid0(VALU_DEP_1)
	v_dual_sub_nc_u32 v52, 29, v18 :: v_dual_bitop2_b32 v66, 7, v84 bitop3:0x40
; %bb.1005:                             ;   in Loop: Header=BB222_806 Depth=1
	s_or_b32 exec_lo, exec_lo, s16
	s_delay_alu instid0(VALU_DEP_1) | instskip(NEXT) | instid1(VALU_DEP_2)
	v_dual_lshlrev_b32 v18, 24, v65 :: v_dual_lshlrev_b32 v19, 20, v66
	v_lshl_add_u32 v52, v52, 23, 0x3c000000
	s_delay_alu instid0(VALU_DEP_2) | instskip(NEXT) | instid1(VALU_DEP_1)
	v_and_b32_e32 v18, 0x80000000, v18
	v_or3_b32 v53, v19, v18, v52
	v_mov_b32_e32 v52, v67
.LBB222_1006:                           ;   in Loop: Header=BB222_806 Depth=1
	s_or_b32 exec_lo, exec_lo, s9
.LBB222_1007:                           ;   in Loop: Header=BB222_806 Depth=1
	s_delay_alu instid0(SALU_CYCLE_1)
	s_or_b32 exec_lo, exec_lo, s8
.LBB222_1008:                           ;   in Loop: Header=BB222_806 Depth=1
	s_delay_alu instid0(SALU_CYCLE_1) | instskip(SKIP_4) | instid1(VALU_DEP_3)
	s_or_b32 exec_lo, exec_lo, s3
	v_or_b32_e32 v49, v49, v51
	v_or_b32_e32 v48, v48, v50
	v_or_b32_e32 v7, v53, v7
	v_or_b32_e32 v6, v52, v6
	v_pk_mul_f32 v[86:87], v[22:23], v[48:49]
	s_delay_alu instid0(VALU_DEP_2)
	v_pk_mul_f32 v[84:85], v[22:23], v[6:7]
	s_and_saveexec_b32 s3, vcc_lo
	s_cbranch_execz .LBB222_1010
; %bb.1009:                             ;   in Loop: Header=BB222_806 Depth=1
	scratch_load_b64 v[6:7], off, s32 offset:192 ; 8-byte Folded Reload
	s_wait_loadcnt 0x0
	v_cmp_lt_i32_e64 s0, v17, v6
	s_delay_alu instid0(VALU_DEP_1) | instskip(SKIP_1) | instid1(VALU_DEP_1)
	v_cndmask_b32_e64 v86, 0, v86, s0
	v_cmp_lt_i32_e64 s0, v70, v6
	v_cndmask_b32_e64 v87, 0, v87, s0
	v_cmp_lt_i32_e64 s0, v80, v6
	s_delay_alu instid0(VALU_DEP_1) | instskip(SKIP_1) | instid1(VALU_DEP_1)
	v_cndmask_b32_e64 v84, 0, v84, s0
	v_cmp_lt_i32_e64 s0, v71, v6
	v_cndmask_b32_e64 v85, 0, v85, s0
.LBB222_1010:                           ;   in Loop: Header=BB222_806 Depth=1
	s_wait_xcnt 0x0
	s_or_b32 exec_lo, exec_lo, s3
	flat_load_b32 v64, v[54:55] offset:768
	v_mov_b64_e32 v[48:49], 0
	v_mov_b64_e32 v[50:51], 0
	s_mov_b32 s3, exec_lo
	s_wait_loadcnt_dscnt 0x0
	v_and_b32_e32 v6, 0xff, v64
	s_wait_xcnt 0x0
	s_delay_alu instid0(VALU_DEP_1)
	v_cmpx_ne_u16_e32 0, v6
	s_cbranch_execz .LBB222_1018
; %bb.1011:                             ;   in Loop: Header=BB222_806 Depth=1
	v_mov_b64_e32 v[50:51], 0x80000000
	s_mov_b32 s8, exec_lo
	v_cmpx_ne_u16_e32 0x80, v6
	s_cbranch_execz .LBB222_1017
; %bb.1012:                             ;   in Loop: Header=BB222_806 Depth=1
	v_mov_b64_e32 v[50:51], 0x7f800001
	v_and_b32_e32 v7, 0x7f, v64
	s_mov_b32 s9, exec_lo
	s_delay_alu instid0(VALU_DEP_1)
	v_cmpx_ne_u32_e32 0x7f, v7
	s_cbranch_execz .LBB222_1016
; %bb.1013:                             ;   in Loop: Header=BB222_806 Depth=1
	v_dual_lshrrev_b32 v6, 3, v7 :: v_dual_bitop2_b32 v66, 7, v64 bitop3:0x40
	s_mov_b32 s16, exec_lo
	v_cmpx_gt_u32_e32 8, v7
; %bb.1014:                             ;   in Loop: Header=BB222_806 Depth=1
	s_delay_alu instid0(VALU_DEP_2) | instskip(NEXT) | instid1(VALU_DEP_1)
	v_clz_i32_u32_e32 v6, v66
	v_min_u32_e32 v6, 32, v6
	s_delay_alu instid0(VALU_DEP_1) | instskip(SKIP_1) | instid1(VALU_DEP_2)
	v_subrev_nc_u32_e32 v7, 28, v6
	v_sub_nc_u32_e32 v6, 29, v6
	v_lshlrev_b64_e32 v[50:51], v7, v[66:67]
	s_delay_alu instid0(VALU_DEP_1)
	v_and_b32_e32 v66, 7, v50
; %bb.1015:                             ;   in Loop: Header=BB222_806 Depth=1
	s_or_b32 exec_lo, exec_lo, s16
	s_delay_alu instid0(VALU_DEP_1) | instskip(SKIP_1) | instid1(VALU_DEP_2)
	v_dual_lshlrev_b32 v7, 24, v64 :: v_dual_lshlrev_b32 v18, 20, v66
	v_lshl_add_u32 v6, v6, 23, 0x3c000000
	v_and_b32_e32 v7, 0x80000000, v7
	s_delay_alu instid0(VALU_DEP_1) | instskip(NEXT) | instid1(VALU_DEP_1)
	v_or3_b32 v66, v18, v7, v6
	v_mov_b64_e32 v[50:51], v[66:67]
.LBB222_1016:                           ;   in Loop: Header=BB222_806 Depth=1
	s_or_b32 exec_lo, exec_lo, s9
.LBB222_1017:                           ;   in Loop: Header=BB222_806 Depth=1
	s_delay_alu instid0(SALU_CYCLE_1)
	s_or_b32 exec_lo, exec_lo, s8
.LBB222_1018:                           ;   in Loop: Header=BB222_806 Depth=1
	s_delay_alu instid0(SALU_CYCLE_1) | instskip(SKIP_2) | instid1(VALU_DEP_1)
	s_or_b32 exec_lo, exec_lo, s3
	v_lshrrev_b16 v6, 8, v64
	s_mov_b32 s3, exec_lo
	v_cmpx_ne_u16_e32 0, v6
	s_cbranch_execz .LBB222_1026
; %bb.1019:                             ;   in Loop: Header=BB222_806 Depth=1
	v_mov_b64_e32 v[48:49], 0x8000000000000000
	s_mov_b32 s8, exec_lo
	v_cmpx_ne_u16_e32 0x80, v6
	s_cbranch_execz .LBB222_1025
; %bb.1020:                             ;   in Loop: Header=BB222_806 Depth=1
	v_and_b32_e32 v6, 0xffff, v6
	v_mov_b64_e32 v[48:49], 0x7f80000100000000
	s_mov_b32 s9, exec_lo
	s_delay_alu instid0(VALU_DEP_2) | instskip(NEXT) | instid1(VALU_DEP_1)
	v_and_b32_e32 v7, 0x7f, v6
	v_cmpx_ne_u32_e32 0x7f, v7
	s_cbranch_execz .LBB222_1024
; %bb.1021:                             ;   in Loop: Header=BB222_806 Depth=1
	v_dual_lshrrev_b32 v6, 3, v7 :: v_dual_bitop2_b32 v66, 7, v6 bitop3:0x40
	s_mov_b32 s16, exec_lo
	v_cmpx_gt_u32_e32 8, v7
; %bb.1022:                             ;   in Loop: Header=BB222_806 Depth=1
	s_delay_alu instid0(VALU_DEP_2) | instskip(NEXT) | instid1(VALU_DEP_1)
	v_clz_i32_u32_e32 v6, v66
	v_min_u32_e32 v6, 32, v6
	s_delay_alu instid0(VALU_DEP_1) | instskip(NEXT) | instid1(VALU_DEP_1)
	v_subrev_nc_u32_e32 v7, 28, v6
	v_lshlrev_b64_e32 v[48:49], v7, v[66:67]
	s_delay_alu instid0(VALU_DEP_1)
	v_dual_sub_nc_u32 v6, 29, v6 :: v_dual_bitop2_b32 v66, 7, v48 bitop3:0x40
; %bb.1023:                             ;   in Loop: Header=BB222_806 Depth=1
	s_or_b32 exec_lo, exec_lo, s16
	s_delay_alu instid0(VALU_DEP_1) | instskip(NEXT) | instid1(VALU_DEP_2)
	v_dual_lshlrev_b32 v7, 16, v64 :: v_dual_lshlrev_b32 v18, 20, v66
	v_lshl_add_u32 v6, v6, 23, 0x3c000000
	v_mov_b32_e32 v48, v67
	s_delay_alu instid0(VALU_DEP_3) | instskip(NEXT) | instid1(VALU_DEP_1)
	v_and_b32_e32 v7, 0x80000000, v7
	v_or3_b32 v49, v18, v7, v6
.LBB222_1024:                           ;   in Loop: Header=BB222_806 Depth=1
	s_or_b32 exec_lo, exec_lo, s9
.LBB222_1025:                           ;   in Loop: Header=BB222_806 Depth=1
	s_delay_alu instid0(SALU_CYCLE_1)
	s_or_b32 exec_lo, exec_lo, s8
.LBB222_1026:                           ;   in Loop: Header=BB222_806 Depth=1
	s_delay_alu instid0(SALU_CYCLE_1) | instskip(SKIP_4) | instid1(VALU_DEP_3)
	s_or_b32 exec_lo, exec_lo, s3
	v_lshrrev_b32_e32 v65, 16, v64
	v_mov_b64_e32 v[52:53], 0
	v_mov_b64_e32 v[6:7], 0
	s_mov_b32 s3, exec_lo
	v_and_b32_e32 v66, 0xff, v65
	s_delay_alu instid0(VALU_DEP_1)
	v_cmpx_ne_u16_e32 0, v66
	s_cbranch_execz .LBB222_1034
; %bb.1027:                             ;   in Loop: Header=BB222_806 Depth=1
	v_mov_b64_e32 v[6:7], 0x80000000
	s_mov_b32 s8, exec_lo
	v_cmpx_ne_u16_e32 0x80, v66
	s_cbranch_execz .LBB222_1033
; %bb.1028:                             ;   in Loop: Header=BB222_806 Depth=1
	v_mov_b64_e32 v[6:7], 0x7f800001
	v_bfe_u32 v81, v64, 16, 7
	s_mov_b32 s9, exec_lo
	s_delay_alu instid0(VALU_DEP_1)
	v_cmpx_ne_u32_e32 0x7f, v81
	s_cbranch_execz .LBB222_1032
; %bb.1029:                             ;   in Loop: Header=BB222_806 Depth=1
	v_and_b32_e32 v66, 7, v65
	v_lshrrev_b32_e32 v6, 3, v81
	s_mov_b32 s16, exec_lo
	v_cmpx_gt_u32_e32 8, v81
; %bb.1030:                             ;   in Loop: Header=BB222_806 Depth=1
	s_delay_alu instid0(VALU_DEP_3) | instskip(NEXT) | instid1(VALU_DEP_1)
	v_clz_i32_u32_e32 v6, v66
	v_min_u32_e32 v6, 32, v6
	s_delay_alu instid0(VALU_DEP_1) | instskip(NEXT) | instid1(VALU_DEP_1)
	v_subrev_nc_u32_e32 v7, 28, v6
	v_lshlrev_b64_e32 v[96:97], v7, v[66:67]
	s_delay_alu instid0(VALU_DEP_1)
	v_dual_sub_nc_u32 v6, 29, v6 :: v_dual_bitop2_b32 v66, 7, v96 bitop3:0x40
; %bb.1031:                             ;   in Loop: Header=BB222_806 Depth=1
	s_or_b32 exec_lo, exec_lo, s16
	s_delay_alu instid0(VALU_DEP_1) | instskip(NEXT) | instid1(VALU_DEP_2)
	v_dual_lshlrev_b32 v7, 24, v65 :: v_dual_lshlrev_b32 v18, 20, v66
	v_lshl_add_u32 v6, v6, 23, 0x3c000000
	s_delay_alu instid0(VALU_DEP_2) | instskip(NEXT) | instid1(VALU_DEP_1)
	v_and_b32_e32 v7, 0x80000000, v7
	v_or3_b32 v66, v18, v7, v6
	s_delay_alu instid0(VALU_DEP_1)
	v_mov_b64_e32 v[6:7], v[66:67]
.LBB222_1032:                           ;   in Loop: Header=BB222_806 Depth=1
	s_or_b32 exec_lo, exec_lo, s9
.LBB222_1033:                           ;   in Loop: Header=BB222_806 Depth=1
	s_delay_alu instid0(SALU_CYCLE_1)
	s_or_b32 exec_lo, exec_lo, s8
.LBB222_1034:                           ;   in Loop: Header=BB222_806 Depth=1
	s_delay_alu instid0(SALU_CYCLE_1) | instskip(NEXT) | instid1(SALU_CYCLE_1)
	s_or_b32 exec_lo, exec_lo, s3
	s_mov_b32 s3, exec_lo
	v_cmpx_lt_u32_e32 0xffffff, v64
	s_cbranch_execz .LBB222_1042
; %bb.1035:                             ;   in Loop: Header=BB222_806 Depth=1
	v_mov_b64_e32 v[52:53], 0x8000000000000000
	v_lshrrev_b32_e32 v65, 24, v64
	s_mov_b32 s8, exec_lo
	s_delay_alu instid0(VALU_DEP_1)
	v_cmpx_ne_u32_e32 0x80, v65
	s_cbranch_execz .LBB222_1041
; %bb.1036:                             ;   in Loop: Header=BB222_806 Depth=1
	v_mov_b64_e32 v[52:53], 0x7f80000100000000
	v_bfe_u32 v64, v64, 24, 7
	s_mov_b32 s9, exec_lo
	s_delay_alu instid0(VALU_DEP_1)
	v_cmpx_ne_u32_e32 0x7f, v64
	s_cbranch_execz .LBB222_1040
; %bb.1037:                             ;   in Loop: Header=BB222_806 Depth=1
	v_dual_lshrrev_b32 v52, 3, v64 :: v_dual_bitop2_b32 v66, 7, v65 bitop3:0x40
	s_mov_b32 s16, exec_lo
	v_cmpx_gt_u32_e32 8, v64
; %bb.1038:                             ;   in Loop: Header=BB222_806 Depth=1
	s_delay_alu instid0(VALU_DEP_2) | instskip(NEXT) | instid1(VALU_DEP_1)
	v_clz_i32_u32_e32 v18, v66
	v_min_u32_e32 v18, 32, v18
	s_delay_alu instid0(VALU_DEP_1) | instskip(NEXT) | instid1(VALU_DEP_1)
	v_subrev_nc_u32_e32 v19, 28, v18
	v_lshlrev_b64_e32 v[96:97], v19, v[66:67]
	s_delay_alu instid0(VALU_DEP_1)
	v_dual_sub_nc_u32 v52, 29, v18 :: v_dual_bitop2_b32 v66, 7, v96 bitop3:0x40
; %bb.1039:                             ;   in Loop: Header=BB222_806 Depth=1
	s_or_b32 exec_lo, exec_lo, s16
	s_delay_alu instid0(VALU_DEP_1) | instskip(NEXT) | instid1(VALU_DEP_2)
	v_dual_lshlrev_b32 v18, 24, v65 :: v_dual_lshlrev_b32 v19, 20, v66
	v_lshl_add_u32 v52, v52, 23, 0x3c000000
	s_delay_alu instid0(VALU_DEP_2) | instskip(NEXT) | instid1(VALU_DEP_1)
	v_and_b32_e32 v18, 0x80000000, v18
	v_or3_b32 v53, v19, v18, v52
	v_mov_b32_e32 v52, v67
.LBB222_1040:                           ;   in Loop: Header=BB222_806 Depth=1
	s_or_b32 exec_lo, exec_lo, s9
.LBB222_1041:                           ;   in Loop: Header=BB222_806 Depth=1
	s_delay_alu instid0(SALU_CYCLE_1)
	s_or_b32 exec_lo, exec_lo, s8
.LBB222_1042:                           ;   in Loop: Header=BB222_806 Depth=1
	s_delay_alu instid0(SALU_CYCLE_1) | instskip(SKIP_4) | instid1(VALU_DEP_3)
	s_or_b32 exec_lo, exec_lo, s3
	v_or_b32_e32 v49, v49, v51
	v_or_b32_e32 v48, v48, v50
	;; [unrolled: 1-line block ×4, first 2 shown]
	v_pk_mul_f32 v[98:99], v[22:23], v[48:49]
	s_delay_alu instid0(VALU_DEP_2)
	v_pk_mul_f32 v[96:97], v[22:23], v[6:7]
	s_and_saveexec_b32 s3, vcc_lo
	s_cbranch_execz .LBB222_1044
; %bb.1043:                             ;   in Loop: Header=BB222_806 Depth=1
	scratch_load_b64 v[6:7], off, s32 offset:192 ; 8-byte Folded Reload
	s_wait_loadcnt 0x0
	v_cmp_lt_i32_e64 s0, v17, v6
	s_delay_alu instid0(VALU_DEP_1) | instskip(SKIP_1) | instid1(VALU_DEP_1)
	v_cndmask_b32_e64 v98, 0, v98, s0
	v_cmp_lt_i32_e64 s0, v70, v6
	v_cndmask_b32_e64 v99, 0, v99, s0
	v_cmp_lt_i32_e64 s0, v80, v6
	s_delay_alu instid0(VALU_DEP_1) | instskip(SKIP_1) | instid1(VALU_DEP_1)
	v_cndmask_b32_e64 v96, 0, v96, s0
	v_cmp_lt_i32_e64 s0, v71, v6
	v_cndmask_b32_e64 v97, 0, v97, s0
.LBB222_1044:                           ;   in Loop: Header=BB222_806 Depth=1
	s_wait_xcnt 0x0
	s_or_b32 exec_lo, exec_lo, s3
	flat_load_b32 v64, v[54:55] offset:896
	v_mov_b64_e32 v[48:49], 0
	v_mov_b64_e32 v[50:51], 0
	s_mov_b32 s3, exec_lo
	s_wait_loadcnt_dscnt 0x0
	v_and_b32_e32 v6, 0xff, v64
	s_wait_xcnt 0x0
	s_delay_alu instid0(VALU_DEP_1)
	v_cmpx_ne_u16_e32 0, v6
	s_cbranch_execz .LBB222_1052
; %bb.1045:                             ;   in Loop: Header=BB222_806 Depth=1
	v_mov_b64_e32 v[50:51], 0x80000000
	s_mov_b32 s8, exec_lo
	v_cmpx_ne_u16_e32 0x80, v6
	s_cbranch_execz .LBB222_1051
; %bb.1046:                             ;   in Loop: Header=BB222_806 Depth=1
	v_mov_b64_e32 v[50:51], 0x7f800001
	v_and_b32_e32 v7, 0x7f, v64
	s_mov_b32 s9, exec_lo
	s_delay_alu instid0(VALU_DEP_1)
	v_cmpx_ne_u32_e32 0x7f, v7
	s_cbranch_execz .LBB222_1050
; %bb.1047:                             ;   in Loop: Header=BB222_806 Depth=1
	v_dual_lshrrev_b32 v6, 3, v7 :: v_dual_bitop2_b32 v66, 7, v64 bitop3:0x40
	s_mov_b32 s16, exec_lo
	v_cmpx_gt_u32_e32 8, v7
; %bb.1048:                             ;   in Loop: Header=BB222_806 Depth=1
	s_delay_alu instid0(VALU_DEP_2) | instskip(NEXT) | instid1(VALU_DEP_1)
	v_clz_i32_u32_e32 v6, v66
	v_min_u32_e32 v6, 32, v6
	s_delay_alu instid0(VALU_DEP_1) | instskip(SKIP_1) | instid1(VALU_DEP_2)
	v_subrev_nc_u32_e32 v7, 28, v6
	v_sub_nc_u32_e32 v6, 29, v6
	v_lshlrev_b64_e32 v[50:51], v7, v[66:67]
	s_delay_alu instid0(VALU_DEP_1)
	v_and_b32_e32 v66, 7, v50
; %bb.1049:                             ;   in Loop: Header=BB222_806 Depth=1
	s_or_b32 exec_lo, exec_lo, s16
	s_delay_alu instid0(VALU_DEP_1) | instskip(SKIP_1) | instid1(VALU_DEP_2)
	v_dual_lshlrev_b32 v7, 24, v64 :: v_dual_lshlrev_b32 v18, 20, v66
	v_lshl_add_u32 v6, v6, 23, 0x3c000000
	v_and_b32_e32 v7, 0x80000000, v7
	s_delay_alu instid0(VALU_DEP_1) | instskip(NEXT) | instid1(VALU_DEP_1)
	v_or3_b32 v66, v18, v7, v6
	v_mov_b64_e32 v[50:51], v[66:67]
.LBB222_1050:                           ;   in Loop: Header=BB222_806 Depth=1
	s_or_b32 exec_lo, exec_lo, s9
.LBB222_1051:                           ;   in Loop: Header=BB222_806 Depth=1
	s_delay_alu instid0(SALU_CYCLE_1)
	s_or_b32 exec_lo, exec_lo, s8
.LBB222_1052:                           ;   in Loop: Header=BB222_806 Depth=1
	s_delay_alu instid0(SALU_CYCLE_1) | instskip(SKIP_2) | instid1(VALU_DEP_1)
	s_or_b32 exec_lo, exec_lo, s3
	v_lshrrev_b16 v6, 8, v64
	s_mov_b32 s3, exec_lo
	v_cmpx_ne_u16_e32 0, v6
	s_cbranch_execz .LBB222_1060
; %bb.1053:                             ;   in Loop: Header=BB222_806 Depth=1
	v_mov_b64_e32 v[48:49], 0x8000000000000000
	s_mov_b32 s8, exec_lo
	v_cmpx_ne_u16_e32 0x80, v6
	s_cbranch_execz .LBB222_1059
; %bb.1054:                             ;   in Loop: Header=BB222_806 Depth=1
	v_and_b32_e32 v6, 0xffff, v6
	v_mov_b64_e32 v[48:49], 0x7f80000100000000
	s_mov_b32 s9, exec_lo
	s_delay_alu instid0(VALU_DEP_2) | instskip(NEXT) | instid1(VALU_DEP_1)
	v_and_b32_e32 v7, 0x7f, v6
	v_cmpx_ne_u32_e32 0x7f, v7
	s_cbranch_execz .LBB222_1058
; %bb.1055:                             ;   in Loop: Header=BB222_806 Depth=1
	v_dual_lshrrev_b32 v6, 3, v7 :: v_dual_bitop2_b32 v66, 7, v6 bitop3:0x40
	s_mov_b32 s16, exec_lo
	v_cmpx_gt_u32_e32 8, v7
; %bb.1056:                             ;   in Loop: Header=BB222_806 Depth=1
	s_delay_alu instid0(VALU_DEP_2) | instskip(NEXT) | instid1(VALU_DEP_1)
	v_clz_i32_u32_e32 v6, v66
	v_min_u32_e32 v6, 32, v6
	s_delay_alu instid0(VALU_DEP_1) | instskip(NEXT) | instid1(VALU_DEP_1)
	v_subrev_nc_u32_e32 v7, 28, v6
	v_lshlrev_b64_e32 v[48:49], v7, v[66:67]
	s_delay_alu instid0(VALU_DEP_1)
	v_dual_sub_nc_u32 v6, 29, v6 :: v_dual_bitop2_b32 v66, 7, v48 bitop3:0x40
; %bb.1057:                             ;   in Loop: Header=BB222_806 Depth=1
	s_or_b32 exec_lo, exec_lo, s16
	s_delay_alu instid0(VALU_DEP_1) | instskip(NEXT) | instid1(VALU_DEP_2)
	v_dual_lshlrev_b32 v7, 16, v64 :: v_dual_lshlrev_b32 v18, 20, v66
	v_lshl_add_u32 v6, v6, 23, 0x3c000000
	v_mov_b32_e32 v48, v67
	s_delay_alu instid0(VALU_DEP_3) | instskip(NEXT) | instid1(VALU_DEP_1)
	v_and_b32_e32 v7, 0x80000000, v7
	v_or3_b32 v49, v18, v7, v6
.LBB222_1058:                           ;   in Loop: Header=BB222_806 Depth=1
	s_or_b32 exec_lo, exec_lo, s9
.LBB222_1059:                           ;   in Loop: Header=BB222_806 Depth=1
	s_delay_alu instid0(SALU_CYCLE_1)
	s_or_b32 exec_lo, exec_lo, s8
.LBB222_1060:                           ;   in Loop: Header=BB222_806 Depth=1
	s_delay_alu instid0(SALU_CYCLE_1) | instskip(SKIP_4) | instid1(VALU_DEP_3)
	s_or_b32 exec_lo, exec_lo, s3
	v_lshrrev_b32_e32 v65, 16, v64
	v_mov_b64_e32 v[52:53], 0
	v_mov_b64_e32 v[6:7], 0
	s_mov_b32 s3, exec_lo
	v_and_b32_e32 v66, 0xff, v65
	s_delay_alu instid0(VALU_DEP_1)
	v_cmpx_ne_u16_e32 0, v66
	s_cbranch_execz .LBB222_1068
; %bb.1061:                             ;   in Loop: Header=BB222_806 Depth=1
	v_mov_b64_e32 v[6:7], 0x80000000
	s_mov_b32 s8, exec_lo
	v_cmpx_ne_u16_e32 0x80, v66
	s_cbranch_execz .LBB222_1067
; %bb.1062:                             ;   in Loop: Header=BB222_806 Depth=1
	v_mov_b64_e32 v[6:7], 0x7f800001
	v_bfe_u32 v81, v64, 16, 7
	s_mov_b32 s9, exec_lo
	s_delay_alu instid0(VALU_DEP_1)
	v_cmpx_ne_u32_e32 0x7f, v81
	s_cbranch_execz .LBB222_1066
; %bb.1063:                             ;   in Loop: Header=BB222_806 Depth=1
	v_and_b32_e32 v66, 7, v65
	v_lshrrev_b32_e32 v6, 3, v81
	s_mov_b32 s16, exec_lo
	v_cmpx_gt_u32_e32 8, v81
; %bb.1064:                             ;   in Loop: Header=BB222_806 Depth=1
	s_delay_alu instid0(VALU_DEP_3) | instskip(NEXT) | instid1(VALU_DEP_1)
	v_clz_i32_u32_e32 v6, v66
	v_min_u32_e32 v6, 32, v6
	s_delay_alu instid0(VALU_DEP_1) | instskip(NEXT) | instid1(VALU_DEP_1)
	v_subrev_nc_u32_e32 v7, 28, v6
	v_lshlrev_b64_e32 v[100:101], v7, v[66:67]
	s_delay_alu instid0(VALU_DEP_1)
	v_dual_sub_nc_u32 v6, 29, v6 :: v_dual_bitop2_b32 v66, 7, v100 bitop3:0x40
; %bb.1065:                             ;   in Loop: Header=BB222_806 Depth=1
	s_or_b32 exec_lo, exec_lo, s16
	s_delay_alu instid0(VALU_DEP_1) | instskip(NEXT) | instid1(VALU_DEP_2)
	v_dual_lshlrev_b32 v7, 24, v65 :: v_dual_lshlrev_b32 v18, 20, v66
	v_lshl_add_u32 v6, v6, 23, 0x3c000000
	s_delay_alu instid0(VALU_DEP_2) | instskip(NEXT) | instid1(VALU_DEP_1)
	v_and_b32_e32 v7, 0x80000000, v7
	v_or3_b32 v66, v18, v7, v6
	s_delay_alu instid0(VALU_DEP_1)
	v_mov_b64_e32 v[6:7], v[66:67]
.LBB222_1066:                           ;   in Loop: Header=BB222_806 Depth=1
	s_or_b32 exec_lo, exec_lo, s9
.LBB222_1067:                           ;   in Loop: Header=BB222_806 Depth=1
	s_delay_alu instid0(SALU_CYCLE_1)
	s_or_b32 exec_lo, exec_lo, s8
.LBB222_1068:                           ;   in Loop: Header=BB222_806 Depth=1
	s_delay_alu instid0(SALU_CYCLE_1) | instskip(NEXT) | instid1(SALU_CYCLE_1)
	s_or_b32 exec_lo, exec_lo, s3
	s_mov_b32 s3, exec_lo
	v_cmpx_lt_u32_e32 0xffffff, v64
	s_cbranch_execz .LBB222_1076
; %bb.1069:                             ;   in Loop: Header=BB222_806 Depth=1
	v_mov_b64_e32 v[52:53], 0x8000000000000000
	v_lshrrev_b32_e32 v65, 24, v64
	s_mov_b32 s8, exec_lo
	s_delay_alu instid0(VALU_DEP_1)
	v_cmpx_ne_u32_e32 0x80, v65
	s_cbranch_execz .LBB222_1075
; %bb.1070:                             ;   in Loop: Header=BB222_806 Depth=1
	v_mov_b64_e32 v[52:53], 0x7f80000100000000
	v_bfe_u32 v64, v64, 24, 7
	s_mov_b32 s9, exec_lo
	s_delay_alu instid0(VALU_DEP_1)
	v_cmpx_ne_u32_e32 0x7f, v64
	s_cbranch_execz .LBB222_1074
; %bb.1071:                             ;   in Loop: Header=BB222_806 Depth=1
	v_dual_lshrrev_b32 v52, 3, v64 :: v_dual_bitop2_b32 v66, 7, v65 bitop3:0x40
	s_mov_b32 s16, exec_lo
	v_cmpx_gt_u32_e32 8, v64
; %bb.1072:                             ;   in Loop: Header=BB222_806 Depth=1
	s_delay_alu instid0(VALU_DEP_2) | instskip(NEXT) | instid1(VALU_DEP_1)
	v_clz_i32_u32_e32 v18, v66
	v_min_u32_e32 v18, 32, v18
	s_delay_alu instid0(VALU_DEP_1) | instskip(NEXT) | instid1(VALU_DEP_1)
	v_subrev_nc_u32_e32 v19, 28, v18
	v_lshlrev_b64_e32 v[100:101], v19, v[66:67]
	s_delay_alu instid0(VALU_DEP_1)
	v_dual_sub_nc_u32 v52, 29, v18 :: v_dual_bitop2_b32 v66, 7, v100 bitop3:0x40
; %bb.1073:                             ;   in Loop: Header=BB222_806 Depth=1
	s_or_b32 exec_lo, exec_lo, s16
	s_delay_alu instid0(VALU_DEP_1) | instskip(NEXT) | instid1(VALU_DEP_2)
	v_dual_lshlrev_b32 v18, 24, v65 :: v_dual_lshlrev_b32 v19, 20, v66
	v_lshl_add_u32 v52, v52, 23, 0x3c000000
	s_delay_alu instid0(VALU_DEP_2) | instskip(NEXT) | instid1(VALU_DEP_1)
	v_and_b32_e32 v18, 0x80000000, v18
	v_or3_b32 v53, v19, v18, v52
	v_mov_b32_e32 v52, v67
.LBB222_1074:                           ;   in Loop: Header=BB222_806 Depth=1
	s_or_b32 exec_lo, exec_lo, s9
.LBB222_1075:                           ;   in Loop: Header=BB222_806 Depth=1
	s_delay_alu instid0(SALU_CYCLE_1)
	s_or_b32 exec_lo, exec_lo, s8
.LBB222_1076:                           ;   in Loop: Header=BB222_806 Depth=1
	s_delay_alu instid0(SALU_CYCLE_1) | instskip(SKIP_4) | instid1(VALU_DEP_3)
	s_or_b32 exec_lo, exec_lo, s3
	v_or_b32_e32 v49, v49, v51
	v_or_b32_e32 v48, v48, v50
	;; [unrolled: 1-line block ×4, first 2 shown]
	v_pk_mul_f32 v[102:103], v[22:23], v[48:49]
	s_delay_alu instid0(VALU_DEP_2)
	v_pk_mul_f32 v[100:101], v[22:23], v[6:7]
	s_and_saveexec_b32 s3, vcc_lo
	s_cbranch_execz .LBB222_1078
; %bb.1077:                             ;   in Loop: Header=BB222_806 Depth=1
	scratch_load_b64 v[6:7], off, s32 offset:192 ; 8-byte Folded Reload
	s_wait_loadcnt 0x0
	v_cmp_lt_i32_e64 s0, v17, v6
	s_delay_alu instid0(VALU_DEP_1) | instskip(SKIP_1) | instid1(VALU_DEP_1)
	v_cndmask_b32_e64 v102, 0, v102, s0
	v_cmp_lt_i32_e64 s0, v70, v6
	v_cndmask_b32_e64 v103, 0, v103, s0
	v_cmp_lt_i32_e64 s0, v80, v6
	s_delay_alu instid0(VALU_DEP_1) | instskip(SKIP_1) | instid1(VALU_DEP_1)
	v_cndmask_b32_e64 v100, 0, v100, s0
	v_cmp_lt_i32_e64 s0, v71, v6
	v_cndmask_b32_e64 v101, 0, v101, s0
.LBB222_1078:                           ;   in Loop: Header=BB222_806 Depth=1
	s_wait_xcnt 0x0
	s_or_b32 exec_lo, exec_lo, s3
	flat_load_b32 v64, v[54:55] offset:1024
	v_mov_b64_e32 v[48:49], 0
	v_mov_b64_e32 v[50:51], 0
	s_mov_b32 s3, exec_lo
	s_wait_loadcnt_dscnt 0x0
	v_and_b32_e32 v6, 0xff, v64
	s_wait_xcnt 0x0
	s_delay_alu instid0(VALU_DEP_1)
	v_cmpx_ne_u16_e32 0, v6
	s_cbranch_execz .LBB222_1086
; %bb.1079:                             ;   in Loop: Header=BB222_806 Depth=1
	v_mov_b64_e32 v[50:51], 0x80000000
	s_mov_b32 s8, exec_lo
	v_cmpx_ne_u16_e32 0x80, v6
	s_cbranch_execz .LBB222_1085
; %bb.1080:                             ;   in Loop: Header=BB222_806 Depth=1
	v_mov_b64_e32 v[50:51], 0x7f800001
	v_and_b32_e32 v7, 0x7f, v64
	s_mov_b32 s9, exec_lo
	s_delay_alu instid0(VALU_DEP_1)
	v_cmpx_ne_u32_e32 0x7f, v7
	s_cbranch_execz .LBB222_1084
; %bb.1081:                             ;   in Loop: Header=BB222_806 Depth=1
	v_dual_lshrrev_b32 v6, 3, v7 :: v_dual_bitop2_b32 v66, 7, v64 bitop3:0x40
	s_mov_b32 s16, exec_lo
	v_cmpx_gt_u32_e32 8, v7
; %bb.1082:                             ;   in Loop: Header=BB222_806 Depth=1
	s_delay_alu instid0(VALU_DEP_2) | instskip(NEXT) | instid1(VALU_DEP_1)
	v_clz_i32_u32_e32 v6, v66
	v_min_u32_e32 v6, 32, v6
	s_delay_alu instid0(VALU_DEP_1) | instskip(SKIP_1) | instid1(VALU_DEP_2)
	v_subrev_nc_u32_e32 v7, 28, v6
	v_sub_nc_u32_e32 v6, 29, v6
	v_lshlrev_b64_e32 v[50:51], v7, v[66:67]
	s_delay_alu instid0(VALU_DEP_1)
	v_and_b32_e32 v66, 7, v50
; %bb.1083:                             ;   in Loop: Header=BB222_806 Depth=1
	s_or_b32 exec_lo, exec_lo, s16
	s_delay_alu instid0(VALU_DEP_1) | instskip(SKIP_1) | instid1(VALU_DEP_2)
	v_dual_lshlrev_b32 v7, 24, v64 :: v_dual_lshlrev_b32 v18, 20, v66
	v_lshl_add_u32 v6, v6, 23, 0x3c000000
	v_and_b32_e32 v7, 0x80000000, v7
	s_delay_alu instid0(VALU_DEP_1) | instskip(NEXT) | instid1(VALU_DEP_1)
	v_or3_b32 v66, v18, v7, v6
	v_mov_b64_e32 v[50:51], v[66:67]
.LBB222_1084:                           ;   in Loop: Header=BB222_806 Depth=1
	s_or_b32 exec_lo, exec_lo, s9
.LBB222_1085:                           ;   in Loop: Header=BB222_806 Depth=1
	s_delay_alu instid0(SALU_CYCLE_1)
	s_or_b32 exec_lo, exec_lo, s8
.LBB222_1086:                           ;   in Loop: Header=BB222_806 Depth=1
	s_delay_alu instid0(SALU_CYCLE_1) | instskip(SKIP_2) | instid1(VALU_DEP_1)
	s_or_b32 exec_lo, exec_lo, s3
	v_lshrrev_b16 v6, 8, v64
	s_mov_b32 s3, exec_lo
	v_cmpx_ne_u16_e32 0, v6
	s_cbranch_execz .LBB222_1094
; %bb.1087:                             ;   in Loop: Header=BB222_806 Depth=1
	v_mov_b64_e32 v[48:49], 0x8000000000000000
	s_mov_b32 s8, exec_lo
	v_cmpx_ne_u16_e32 0x80, v6
	s_cbranch_execz .LBB222_1093
; %bb.1088:                             ;   in Loop: Header=BB222_806 Depth=1
	v_and_b32_e32 v6, 0xffff, v6
	v_mov_b64_e32 v[48:49], 0x7f80000100000000
	s_mov_b32 s9, exec_lo
	s_delay_alu instid0(VALU_DEP_2) | instskip(NEXT) | instid1(VALU_DEP_1)
	v_and_b32_e32 v7, 0x7f, v6
	v_cmpx_ne_u32_e32 0x7f, v7
	s_cbranch_execz .LBB222_1092
; %bb.1089:                             ;   in Loop: Header=BB222_806 Depth=1
	v_dual_lshrrev_b32 v6, 3, v7 :: v_dual_bitop2_b32 v66, 7, v6 bitop3:0x40
	s_mov_b32 s16, exec_lo
	v_cmpx_gt_u32_e32 8, v7
; %bb.1090:                             ;   in Loop: Header=BB222_806 Depth=1
	s_delay_alu instid0(VALU_DEP_2) | instskip(NEXT) | instid1(VALU_DEP_1)
	v_clz_i32_u32_e32 v6, v66
	v_min_u32_e32 v6, 32, v6
	s_delay_alu instid0(VALU_DEP_1) | instskip(NEXT) | instid1(VALU_DEP_1)
	v_subrev_nc_u32_e32 v7, 28, v6
	v_lshlrev_b64_e32 v[48:49], v7, v[66:67]
	s_delay_alu instid0(VALU_DEP_1)
	v_dual_sub_nc_u32 v6, 29, v6 :: v_dual_bitop2_b32 v66, 7, v48 bitop3:0x40
; %bb.1091:                             ;   in Loop: Header=BB222_806 Depth=1
	s_or_b32 exec_lo, exec_lo, s16
	s_delay_alu instid0(VALU_DEP_1) | instskip(NEXT) | instid1(VALU_DEP_2)
	v_dual_lshlrev_b32 v7, 16, v64 :: v_dual_lshlrev_b32 v18, 20, v66
	v_lshl_add_u32 v6, v6, 23, 0x3c000000
	v_mov_b32_e32 v48, v67
	s_delay_alu instid0(VALU_DEP_3) | instskip(NEXT) | instid1(VALU_DEP_1)
	v_and_b32_e32 v7, 0x80000000, v7
	v_or3_b32 v49, v18, v7, v6
.LBB222_1092:                           ;   in Loop: Header=BB222_806 Depth=1
	s_or_b32 exec_lo, exec_lo, s9
.LBB222_1093:                           ;   in Loop: Header=BB222_806 Depth=1
	s_delay_alu instid0(SALU_CYCLE_1)
	s_or_b32 exec_lo, exec_lo, s8
.LBB222_1094:                           ;   in Loop: Header=BB222_806 Depth=1
	s_delay_alu instid0(SALU_CYCLE_1) | instskip(SKIP_4) | instid1(VALU_DEP_3)
	s_or_b32 exec_lo, exec_lo, s3
	v_lshrrev_b32_e32 v65, 16, v64
	v_mov_b64_e32 v[52:53], 0
	v_mov_b64_e32 v[6:7], 0
	s_mov_b32 s3, exec_lo
	v_and_b32_e32 v66, 0xff, v65
	s_delay_alu instid0(VALU_DEP_1)
	v_cmpx_ne_u16_e32 0, v66
	s_cbranch_execz .LBB222_1102
; %bb.1095:                             ;   in Loop: Header=BB222_806 Depth=1
	v_mov_b64_e32 v[6:7], 0x80000000
	s_mov_b32 s8, exec_lo
	v_cmpx_ne_u16_e32 0x80, v66
	s_cbranch_execz .LBB222_1101
; %bb.1096:                             ;   in Loop: Header=BB222_806 Depth=1
	v_mov_b64_e32 v[6:7], 0x7f800001
	v_bfe_u32 v81, v64, 16, 7
	s_mov_b32 s9, exec_lo
	s_delay_alu instid0(VALU_DEP_1)
	v_cmpx_ne_u32_e32 0x7f, v81
	s_cbranch_execz .LBB222_1100
; %bb.1097:                             ;   in Loop: Header=BB222_806 Depth=1
	v_and_b32_e32 v66, 7, v65
	v_lshrrev_b32_e32 v6, 3, v81
	s_mov_b32 s16, exec_lo
	v_cmpx_gt_u32_e32 8, v81
; %bb.1098:                             ;   in Loop: Header=BB222_806 Depth=1
	s_delay_alu instid0(VALU_DEP_3) | instskip(NEXT) | instid1(VALU_DEP_1)
	v_clz_i32_u32_e32 v6, v66
	v_min_u32_e32 v6, 32, v6
	s_delay_alu instid0(VALU_DEP_1) | instskip(NEXT) | instid1(VALU_DEP_1)
	v_subrev_nc_u32_e32 v7, 28, v6
	v_lshlrev_b64_e32 v[112:113], v7, v[66:67]
	s_delay_alu instid0(VALU_DEP_1)
	v_dual_sub_nc_u32 v6, 29, v6 :: v_dual_bitop2_b32 v66, 7, v112 bitop3:0x40
; %bb.1099:                             ;   in Loop: Header=BB222_806 Depth=1
	s_or_b32 exec_lo, exec_lo, s16
	s_delay_alu instid0(VALU_DEP_1) | instskip(NEXT) | instid1(VALU_DEP_2)
	v_dual_lshlrev_b32 v7, 24, v65 :: v_dual_lshlrev_b32 v18, 20, v66
	v_lshl_add_u32 v6, v6, 23, 0x3c000000
	s_delay_alu instid0(VALU_DEP_2) | instskip(NEXT) | instid1(VALU_DEP_1)
	v_and_b32_e32 v7, 0x80000000, v7
	v_or3_b32 v66, v18, v7, v6
	s_delay_alu instid0(VALU_DEP_1)
	v_mov_b64_e32 v[6:7], v[66:67]
.LBB222_1100:                           ;   in Loop: Header=BB222_806 Depth=1
	s_or_b32 exec_lo, exec_lo, s9
.LBB222_1101:                           ;   in Loop: Header=BB222_806 Depth=1
	s_delay_alu instid0(SALU_CYCLE_1)
	s_or_b32 exec_lo, exec_lo, s8
.LBB222_1102:                           ;   in Loop: Header=BB222_806 Depth=1
	s_delay_alu instid0(SALU_CYCLE_1) | instskip(NEXT) | instid1(SALU_CYCLE_1)
	s_or_b32 exec_lo, exec_lo, s3
	s_mov_b32 s3, exec_lo
	v_cmpx_lt_u32_e32 0xffffff, v64
	s_cbranch_execz .LBB222_1110
; %bb.1103:                             ;   in Loop: Header=BB222_806 Depth=1
	v_mov_b64_e32 v[52:53], 0x8000000000000000
	v_lshrrev_b32_e32 v65, 24, v64
	s_mov_b32 s8, exec_lo
	s_delay_alu instid0(VALU_DEP_1)
	v_cmpx_ne_u32_e32 0x80, v65
	s_cbranch_execz .LBB222_1109
; %bb.1104:                             ;   in Loop: Header=BB222_806 Depth=1
	v_mov_b64_e32 v[52:53], 0x7f80000100000000
	v_bfe_u32 v64, v64, 24, 7
	s_mov_b32 s9, exec_lo
	s_delay_alu instid0(VALU_DEP_1)
	v_cmpx_ne_u32_e32 0x7f, v64
	s_cbranch_execz .LBB222_1108
; %bb.1105:                             ;   in Loop: Header=BB222_806 Depth=1
	v_dual_lshrrev_b32 v52, 3, v64 :: v_dual_bitop2_b32 v66, 7, v65 bitop3:0x40
	s_mov_b32 s16, exec_lo
	v_cmpx_gt_u32_e32 8, v64
; %bb.1106:                             ;   in Loop: Header=BB222_806 Depth=1
	s_delay_alu instid0(VALU_DEP_2) | instskip(NEXT) | instid1(VALU_DEP_1)
	v_clz_i32_u32_e32 v18, v66
	v_min_u32_e32 v18, 32, v18
	s_delay_alu instid0(VALU_DEP_1) | instskip(NEXT) | instid1(VALU_DEP_1)
	v_subrev_nc_u32_e32 v19, 28, v18
	v_lshlrev_b64_e32 v[112:113], v19, v[66:67]
	s_delay_alu instid0(VALU_DEP_1)
	v_dual_sub_nc_u32 v52, 29, v18 :: v_dual_bitop2_b32 v66, 7, v112 bitop3:0x40
; %bb.1107:                             ;   in Loop: Header=BB222_806 Depth=1
	s_or_b32 exec_lo, exec_lo, s16
	s_delay_alu instid0(VALU_DEP_1) | instskip(NEXT) | instid1(VALU_DEP_2)
	v_dual_lshlrev_b32 v18, 24, v65 :: v_dual_lshlrev_b32 v19, 20, v66
	v_lshl_add_u32 v52, v52, 23, 0x3c000000
	s_delay_alu instid0(VALU_DEP_2) | instskip(NEXT) | instid1(VALU_DEP_1)
	v_and_b32_e32 v18, 0x80000000, v18
	v_or3_b32 v53, v19, v18, v52
	v_mov_b32_e32 v52, v67
.LBB222_1108:                           ;   in Loop: Header=BB222_806 Depth=1
	s_or_b32 exec_lo, exec_lo, s9
.LBB222_1109:                           ;   in Loop: Header=BB222_806 Depth=1
	s_delay_alu instid0(SALU_CYCLE_1)
	s_or_b32 exec_lo, exec_lo, s8
.LBB222_1110:                           ;   in Loop: Header=BB222_806 Depth=1
	s_delay_alu instid0(SALU_CYCLE_1) | instskip(SKIP_4) | instid1(VALU_DEP_3)
	s_or_b32 exec_lo, exec_lo, s3
	v_or_b32_e32 v49, v49, v51
	v_or_b32_e32 v48, v48, v50
	v_or_b32_e32 v7, v53, v7
	v_or_b32_e32 v6, v52, v6
	v_pk_mul_f32 v[114:115], v[22:23], v[48:49]
	s_delay_alu instid0(VALU_DEP_2)
	v_pk_mul_f32 v[112:113], v[22:23], v[6:7]
	s_and_saveexec_b32 s3, vcc_lo
	s_cbranch_execz .LBB222_1112
; %bb.1111:                             ;   in Loop: Header=BB222_806 Depth=1
	scratch_load_b64 v[6:7], off, s32 offset:192 ; 8-byte Folded Reload
	s_wait_loadcnt 0x0
	v_cmp_lt_i32_e64 s0, v17, v6
	s_delay_alu instid0(VALU_DEP_1) | instskip(SKIP_1) | instid1(VALU_DEP_1)
	v_cndmask_b32_e64 v114, 0, v114, s0
	v_cmp_lt_i32_e64 s0, v70, v6
	v_cndmask_b32_e64 v115, 0, v115, s0
	v_cmp_lt_i32_e64 s0, v80, v6
	s_delay_alu instid0(VALU_DEP_1) | instskip(SKIP_1) | instid1(VALU_DEP_1)
	v_cndmask_b32_e64 v112, 0, v112, s0
	v_cmp_lt_i32_e64 s0, v71, v6
	v_cndmask_b32_e64 v113, 0, v113, s0
.LBB222_1112:                           ;   in Loop: Header=BB222_806 Depth=1
	s_wait_xcnt 0x0
	s_or_b32 exec_lo, exec_lo, s3
	flat_load_b32 v64, v[54:55] offset:1152
	v_mov_b64_e32 v[48:49], 0
	v_mov_b64_e32 v[50:51], 0
	s_mov_b32 s3, exec_lo
	s_wait_loadcnt_dscnt 0x0
	v_and_b32_e32 v6, 0xff, v64
	s_wait_xcnt 0x0
	s_delay_alu instid0(VALU_DEP_1)
	v_cmpx_ne_u16_e32 0, v6
	s_cbranch_execz .LBB222_1120
; %bb.1113:                             ;   in Loop: Header=BB222_806 Depth=1
	v_mov_b64_e32 v[50:51], 0x80000000
	s_mov_b32 s8, exec_lo
	v_cmpx_ne_u16_e32 0x80, v6
	s_cbranch_execz .LBB222_1119
; %bb.1114:                             ;   in Loop: Header=BB222_806 Depth=1
	v_mov_b64_e32 v[50:51], 0x7f800001
	v_and_b32_e32 v7, 0x7f, v64
	s_mov_b32 s9, exec_lo
	s_delay_alu instid0(VALU_DEP_1)
	v_cmpx_ne_u32_e32 0x7f, v7
	s_cbranch_execz .LBB222_1118
; %bb.1115:                             ;   in Loop: Header=BB222_806 Depth=1
	v_dual_lshrrev_b32 v6, 3, v7 :: v_dual_bitop2_b32 v66, 7, v64 bitop3:0x40
	s_mov_b32 s16, exec_lo
	v_cmpx_gt_u32_e32 8, v7
; %bb.1116:                             ;   in Loop: Header=BB222_806 Depth=1
	s_delay_alu instid0(VALU_DEP_2) | instskip(NEXT) | instid1(VALU_DEP_1)
	v_clz_i32_u32_e32 v6, v66
	v_min_u32_e32 v6, 32, v6
	s_delay_alu instid0(VALU_DEP_1) | instskip(SKIP_1) | instid1(VALU_DEP_2)
	v_subrev_nc_u32_e32 v7, 28, v6
	v_sub_nc_u32_e32 v6, 29, v6
	v_lshlrev_b64_e32 v[50:51], v7, v[66:67]
	s_delay_alu instid0(VALU_DEP_1)
	v_and_b32_e32 v66, 7, v50
; %bb.1117:                             ;   in Loop: Header=BB222_806 Depth=1
	s_or_b32 exec_lo, exec_lo, s16
	s_delay_alu instid0(VALU_DEP_1) | instskip(SKIP_1) | instid1(VALU_DEP_2)
	v_dual_lshlrev_b32 v7, 24, v64 :: v_dual_lshlrev_b32 v18, 20, v66
	v_lshl_add_u32 v6, v6, 23, 0x3c000000
	v_and_b32_e32 v7, 0x80000000, v7
	s_delay_alu instid0(VALU_DEP_1) | instskip(NEXT) | instid1(VALU_DEP_1)
	v_or3_b32 v66, v18, v7, v6
	v_mov_b64_e32 v[50:51], v[66:67]
.LBB222_1118:                           ;   in Loop: Header=BB222_806 Depth=1
	s_or_b32 exec_lo, exec_lo, s9
.LBB222_1119:                           ;   in Loop: Header=BB222_806 Depth=1
	s_delay_alu instid0(SALU_CYCLE_1)
	s_or_b32 exec_lo, exec_lo, s8
.LBB222_1120:                           ;   in Loop: Header=BB222_806 Depth=1
	s_delay_alu instid0(SALU_CYCLE_1) | instskip(SKIP_2) | instid1(VALU_DEP_1)
	s_or_b32 exec_lo, exec_lo, s3
	v_lshrrev_b16 v6, 8, v64
	s_mov_b32 s3, exec_lo
	v_cmpx_ne_u16_e32 0, v6
	s_cbranch_execz .LBB222_1128
; %bb.1121:                             ;   in Loop: Header=BB222_806 Depth=1
	v_mov_b64_e32 v[48:49], 0x8000000000000000
	s_mov_b32 s8, exec_lo
	v_cmpx_ne_u16_e32 0x80, v6
	s_cbranch_execz .LBB222_1127
; %bb.1122:                             ;   in Loop: Header=BB222_806 Depth=1
	v_and_b32_e32 v6, 0xffff, v6
	v_mov_b64_e32 v[48:49], 0x7f80000100000000
	s_mov_b32 s9, exec_lo
	s_delay_alu instid0(VALU_DEP_2) | instskip(NEXT) | instid1(VALU_DEP_1)
	v_and_b32_e32 v7, 0x7f, v6
	v_cmpx_ne_u32_e32 0x7f, v7
	s_cbranch_execz .LBB222_1126
; %bb.1123:                             ;   in Loop: Header=BB222_806 Depth=1
	v_dual_lshrrev_b32 v6, 3, v7 :: v_dual_bitop2_b32 v66, 7, v6 bitop3:0x40
	s_mov_b32 s16, exec_lo
	v_cmpx_gt_u32_e32 8, v7
; %bb.1124:                             ;   in Loop: Header=BB222_806 Depth=1
	s_delay_alu instid0(VALU_DEP_2) | instskip(NEXT) | instid1(VALU_DEP_1)
	v_clz_i32_u32_e32 v6, v66
	v_min_u32_e32 v6, 32, v6
	s_delay_alu instid0(VALU_DEP_1) | instskip(NEXT) | instid1(VALU_DEP_1)
	v_subrev_nc_u32_e32 v7, 28, v6
	v_lshlrev_b64_e32 v[48:49], v7, v[66:67]
	s_delay_alu instid0(VALU_DEP_1)
	v_dual_sub_nc_u32 v6, 29, v6 :: v_dual_bitop2_b32 v66, 7, v48 bitop3:0x40
; %bb.1125:                             ;   in Loop: Header=BB222_806 Depth=1
	s_or_b32 exec_lo, exec_lo, s16
	s_delay_alu instid0(VALU_DEP_1) | instskip(NEXT) | instid1(VALU_DEP_2)
	v_dual_lshlrev_b32 v7, 16, v64 :: v_dual_lshlrev_b32 v18, 20, v66
	v_lshl_add_u32 v6, v6, 23, 0x3c000000
	v_mov_b32_e32 v48, v67
	s_delay_alu instid0(VALU_DEP_3) | instskip(NEXT) | instid1(VALU_DEP_1)
	v_and_b32_e32 v7, 0x80000000, v7
	v_or3_b32 v49, v18, v7, v6
.LBB222_1126:                           ;   in Loop: Header=BB222_806 Depth=1
	s_or_b32 exec_lo, exec_lo, s9
.LBB222_1127:                           ;   in Loop: Header=BB222_806 Depth=1
	s_delay_alu instid0(SALU_CYCLE_1)
	s_or_b32 exec_lo, exec_lo, s8
.LBB222_1128:                           ;   in Loop: Header=BB222_806 Depth=1
	s_delay_alu instid0(SALU_CYCLE_1) | instskip(SKIP_4) | instid1(VALU_DEP_3)
	s_or_b32 exec_lo, exec_lo, s3
	v_lshrrev_b32_e32 v65, 16, v64
	v_mov_b64_e32 v[52:53], 0
	v_mov_b64_e32 v[6:7], 0
	s_mov_b32 s3, exec_lo
	v_and_b32_e32 v66, 0xff, v65
	s_delay_alu instid0(VALU_DEP_1)
	v_cmpx_ne_u16_e32 0, v66
	s_cbranch_execz .LBB222_1136
; %bb.1129:                             ;   in Loop: Header=BB222_806 Depth=1
	v_mov_b64_e32 v[6:7], 0x80000000
	s_mov_b32 s8, exec_lo
	v_cmpx_ne_u16_e32 0x80, v66
	s_cbranch_execz .LBB222_1135
; %bb.1130:                             ;   in Loop: Header=BB222_806 Depth=1
	v_mov_b64_e32 v[6:7], 0x7f800001
	v_bfe_u32 v81, v64, 16, 7
	s_mov_b32 s9, exec_lo
	s_delay_alu instid0(VALU_DEP_1)
	v_cmpx_ne_u32_e32 0x7f, v81
	s_cbranch_execz .LBB222_1134
; %bb.1131:                             ;   in Loop: Header=BB222_806 Depth=1
	v_and_b32_e32 v66, 7, v65
	v_lshrrev_b32_e32 v6, 3, v81
	s_mov_b32 s16, exec_lo
	v_cmpx_gt_u32_e32 8, v81
; %bb.1132:                             ;   in Loop: Header=BB222_806 Depth=1
	s_delay_alu instid0(VALU_DEP_3) | instskip(NEXT) | instid1(VALU_DEP_1)
	v_clz_i32_u32_e32 v6, v66
	v_min_u32_e32 v6, 32, v6
	s_delay_alu instid0(VALU_DEP_1) | instskip(NEXT) | instid1(VALU_DEP_1)
	v_subrev_nc_u32_e32 v7, 28, v6
	v_lshlrev_b64_e32 v[116:117], v7, v[66:67]
	s_delay_alu instid0(VALU_DEP_1)
	v_dual_sub_nc_u32 v6, 29, v6 :: v_dual_bitop2_b32 v66, 7, v116 bitop3:0x40
; %bb.1133:                             ;   in Loop: Header=BB222_806 Depth=1
	s_or_b32 exec_lo, exec_lo, s16
	s_delay_alu instid0(VALU_DEP_1) | instskip(NEXT) | instid1(VALU_DEP_2)
	v_dual_lshlrev_b32 v7, 24, v65 :: v_dual_lshlrev_b32 v18, 20, v66
	v_lshl_add_u32 v6, v6, 23, 0x3c000000
	s_delay_alu instid0(VALU_DEP_2) | instskip(NEXT) | instid1(VALU_DEP_1)
	v_and_b32_e32 v7, 0x80000000, v7
	v_or3_b32 v66, v18, v7, v6
	s_delay_alu instid0(VALU_DEP_1)
	v_mov_b64_e32 v[6:7], v[66:67]
.LBB222_1134:                           ;   in Loop: Header=BB222_806 Depth=1
	s_or_b32 exec_lo, exec_lo, s9
.LBB222_1135:                           ;   in Loop: Header=BB222_806 Depth=1
	s_delay_alu instid0(SALU_CYCLE_1)
	s_or_b32 exec_lo, exec_lo, s8
.LBB222_1136:                           ;   in Loop: Header=BB222_806 Depth=1
	s_delay_alu instid0(SALU_CYCLE_1) | instskip(NEXT) | instid1(SALU_CYCLE_1)
	s_or_b32 exec_lo, exec_lo, s3
	s_mov_b32 s3, exec_lo
	v_cmpx_lt_u32_e32 0xffffff, v64
	s_cbranch_execz .LBB222_1144
; %bb.1137:                             ;   in Loop: Header=BB222_806 Depth=1
	v_mov_b64_e32 v[52:53], 0x8000000000000000
	v_lshrrev_b32_e32 v65, 24, v64
	s_mov_b32 s8, exec_lo
	s_delay_alu instid0(VALU_DEP_1)
	v_cmpx_ne_u32_e32 0x80, v65
	s_cbranch_execz .LBB222_1143
; %bb.1138:                             ;   in Loop: Header=BB222_806 Depth=1
	v_mov_b64_e32 v[52:53], 0x7f80000100000000
	v_bfe_u32 v64, v64, 24, 7
	s_mov_b32 s9, exec_lo
	s_delay_alu instid0(VALU_DEP_1)
	v_cmpx_ne_u32_e32 0x7f, v64
	s_cbranch_execz .LBB222_1142
; %bb.1139:                             ;   in Loop: Header=BB222_806 Depth=1
	v_dual_lshrrev_b32 v52, 3, v64 :: v_dual_bitop2_b32 v66, 7, v65 bitop3:0x40
	s_mov_b32 s16, exec_lo
	v_cmpx_gt_u32_e32 8, v64
; %bb.1140:                             ;   in Loop: Header=BB222_806 Depth=1
	s_delay_alu instid0(VALU_DEP_2) | instskip(NEXT) | instid1(VALU_DEP_1)
	v_clz_i32_u32_e32 v18, v66
	v_min_u32_e32 v18, 32, v18
	s_delay_alu instid0(VALU_DEP_1) | instskip(NEXT) | instid1(VALU_DEP_1)
	v_subrev_nc_u32_e32 v19, 28, v18
	v_lshlrev_b64_e32 v[116:117], v19, v[66:67]
	s_delay_alu instid0(VALU_DEP_1)
	v_dual_sub_nc_u32 v52, 29, v18 :: v_dual_bitop2_b32 v66, 7, v116 bitop3:0x40
; %bb.1141:                             ;   in Loop: Header=BB222_806 Depth=1
	s_or_b32 exec_lo, exec_lo, s16
	s_delay_alu instid0(VALU_DEP_1) | instskip(NEXT) | instid1(VALU_DEP_2)
	v_dual_lshlrev_b32 v18, 24, v65 :: v_dual_lshlrev_b32 v19, 20, v66
	v_lshl_add_u32 v52, v52, 23, 0x3c000000
	s_delay_alu instid0(VALU_DEP_2) | instskip(NEXT) | instid1(VALU_DEP_1)
	v_and_b32_e32 v18, 0x80000000, v18
	v_or3_b32 v53, v19, v18, v52
	v_mov_b32_e32 v52, v67
.LBB222_1142:                           ;   in Loop: Header=BB222_806 Depth=1
	s_or_b32 exec_lo, exec_lo, s9
.LBB222_1143:                           ;   in Loop: Header=BB222_806 Depth=1
	s_delay_alu instid0(SALU_CYCLE_1)
	s_or_b32 exec_lo, exec_lo, s8
.LBB222_1144:                           ;   in Loop: Header=BB222_806 Depth=1
	s_delay_alu instid0(SALU_CYCLE_1) | instskip(SKIP_4) | instid1(VALU_DEP_3)
	s_or_b32 exec_lo, exec_lo, s3
	v_or_b32_e32 v49, v49, v51
	v_or_b32_e32 v48, v48, v50
	;; [unrolled: 1-line block ×4, first 2 shown]
	v_pk_mul_f32 v[118:119], v[22:23], v[48:49]
	s_delay_alu instid0(VALU_DEP_2)
	v_pk_mul_f32 v[116:117], v[22:23], v[6:7]
	s_and_saveexec_b32 s3, vcc_lo
	s_cbranch_execz .LBB222_1146
; %bb.1145:                             ;   in Loop: Header=BB222_806 Depth=1
	scratch_load_b64 v[6:7], off, s32 offset:192 ; 8-byte Folded Reload
	s_wait_loadcnt 0x0
	v_cmp_lt_i32_e64 s0, v17, v6
	s_delay_alu instid0(VALU_DEP_1) | instskip(SKIP_1) | instid1(VALU_DEP_1)
	v_cndmask_b32_e64 v118, 0, v118, s0
	v_cmp_lt_i32_e64 s0, v70, v6
	v_cndmask_b32_e64 v119, 0, v119, s0
	v_cmp_lt_i32_e64 s0, v80, v6
	s_delay_alu instid0(VALU_DEP_1) | instskip(SKIP_1) | instid1(VALU_DEP_1)
	v_cndmask_b32_e64 v116, 0, v116, s0
	v_cmp_lt_i32_e64 s0, v71, v6
	v_cndmask_b32_e64 v117, 0, v117, s0
.LBB222_1146:                           ;   in Loop: Header=BB222_806 Depth=1
	s_wait_xcnt 0x0
	s_or_b32 exec_lo, exec_lo, s3
	flat_load_b32 v64, v[54:55] offset:1280
	v_mov_b64_e32 v[48:49], 0
	v_mov_b64_e32 v[50:51], 0
	s_mov_b32 s3, exec_lo
	s_wait_loadcnt_dscnt 0x0
	v_and_b32_e32 v6, 0xff, v64
	s_wait_xcnt 0x0
	s_delay_alu instid0(VALU_DEP_1)
	v_cmpx_ne_u16_e32 0, v6
	s_cbranch_execz .LBB222_1154
; %bb.1147:                             ;   in Loop: Header=BB222_806 Depth=1
	v_mov_b64_e32 v[50:51], 0x80000000
	s_mov_b32 s8, exec_lo
	v_cmpx_ne_u16_e32 0x80, v6
	s_cbranch_execz .LBB222_1153
; %bb.1148:                             ;   in Loop: Header=BB222_806 Depth=1
	v_mov_b64_e32 v[50:51], 0x7f800001
	v_and_b32_e32 v7, 0x7f, v64
	s_mov_b32 s9, exec_lo
	s_delay_alu instid0(VALU_DEP_1)
	v_cmpx_ne_u32_e32 0x7f, v7
	s_cbranch_execz .LBB222_1152
; %bb.1149:                             ;   in Loop: Header=BB222_806 Depth=1
	v_dual_lshrrev_b32 v6, 3, v7 :: v_dual_bitop2_b32 v66, 7, v64 bitop3:0x40
	s_mov_b32 s16, exec_lo
	v_cmpx_gt_u32_e32 8, v7
; %bb.1150:                             ;   in Loop: Header=BB222_806 Depth=1
	s_delay_alu instid0(VALU_DEP_2) | instskip(NEXT) | instid1(VALU_DEP_1)
	v_clz_i32_u32_e32 v6, v66
	v_min_u32_e32 v6, 32, v6
	s_delay_alu instid0(VALU_DEP_1) | instskip(SKIP_1) | instid1(VALU_DEP_2)
	v_subrev_nc_u32_e32 v7, 28, v6
	v_sub_nc_u32_e32 v6, 29, v6
	v_lshlrev_b64_e32 v[50:51], v7, v[66:67]
	s_delay_alu instid0(VALU_DEP_1)
	v_and_b32_e32 v66, 7, v50
; %bb.1151:                             ;   in Loop: Header=BB222_806 Depth=1
	s_or_b32 exec_lo, exec_lo, s16
	s_delay_alu instid0(VALU_DEP_1) | instskip(SKIP_1) | instid1(VALU_DEP_2)
	v_dual_lshlrev_b32 v7, 24, v64 :: v_dual_lshlrev_b32 v18, 20, v66
	v_lshl_add_u32 v6, v6, 23, 0x3c000000
	v_and_b32_e32 v7, 0x80000000, v7
	s_delay_alu instid0(VALU_DEP_1) | instskip(NEXT) | instid1(VALU_DEP_1)
	v_or3_b32 v66, v18, v7, v6
	v_mov_b64_e32 v[50:51], v[66:67]
.LBB222_1152:                           ;   in Loop: Header=BB222_806 Depth=1
	s_or_b32 exec_lo, exec_lo, s9
.LBB222_1153:                           ;   in Loop: Header=BB222_806 Depth=1
	s_delay_alu instid0(SALU_CYCLE_1)
	s_or_b32 exec_lo, exec_lo, s8
.LBB222_1154:                           ;   in Loop: Header=BB222_806 Depth=1
	s_delay_alu instid0(SALU_CYCLE_1) | instskip(SKIP_2) | instid1(VALU_DEP_1)
	s_or_b32 exec_lo, exec_lo, s3
	v_lshrrev_b16 v6, 8, v64
	s_mov_b32 s3, exec_lo
	v_cmpx_ne_u16_e32 0, v6
	s_cbranch_execz .LBB222_1162
; %bb.1155:                             ;   in Loop: Header=BB222_806 Depth=1
	v_mov_b64_e32 v[48:49], 0x8000000000000000
	s_mov_b32 s8, exec_lo
	v_cmpx_ne_u16_e32 0x80, v6
	s_cbranch_execz .LBB222_1161
; %bb.1156:                             ;   in Loop: Header=BB222_806 Depth=1
	v_and_b32_e32 v6, 0xffff, v6
	v_mov_b64_e32 v[48:49], 0x7f80000100000000
	s_mov_b32 s9, exec_lo
	s_delay_alu instid0(VALU_DEP_2) | instskip(NEXT) | instid1(VALU_DEP_1)
	v_and_b32_e32 v7, 0x7f, v6
	v_cmpx_ne_u32_e32 0x7f, v7
	s_cbranch_execz .LBB222_1160
; %bb.1157:                             ;   in Loop: Header=BB222_806 Depth=1
	v_dual_lshrrev_b32 v6, 3, v7 :: v_dual_bitop2_b32 v66, 7, v6 bitop3:0x40
	s_mov_b32 s16, exec_lo
	v_cmpx_gt_u32_e32 8, v7
; %bb.1158:                             ;   in Loop: Header=BB222_806 Depth=1
	s_delay_alu instid0(VALU_DEP_2) | instskip(NEXT) | instid1(VALU_DEP_1)
	v_clz_i32_u32_e32 v6, v66
	v_min_u32_e32 v6, 32, v6
	s_delay_alu instid0(VALU_DEP_1) | instskip(NEXT) | instid1(VALU_DEP_1)
	v_subrev_nc_u32_e32 v7, 28, v6
	v_lshlrev_b64_e32 v[48:49], v7, v[66:67]
	s_delay_alu instid0(VALU_DEP_1)
	v_dual_sub_nc_u32 v6, 29, v6 :: v_dual_bitop2_b32 v66, 7, v48 bitop3:0x40
; %bb.1159:                             ;   in Loop: Header=BB222_806 Depth=1
	s_or_b32 exec_lo, exec_lo, s16
	s_delay_alu instid0(VALU_DEP_1) | instskip(NEXT) | instid1(VALU_DEP_2)
	v_dual_lshlrev_b32 v7, 16, v64 :: v_dual_lshlrev_b32 v18, 20, v66
	v_lshl_add_u32 v6, v6, 23, 0x3c000000
	v_mov_b32_e32 v48, v67
	s_delay_alu instid0(VALU_DEP_3) | instskip(NEXT) | instid1(VALU_DEP_1)
	v_and_b32_e32 v7, 0x80000000, v7
	v_or3_b32 v49, v18, v7, v6
.LBB222_1160:                           ;   in Loop: Header=BB222_806 Depth=1
	s_or_b32 exec_lo, exec_lo, s9
.LBB222_1161:                           ;   in Loop: Header=BB222_806 Depth=1
	s_delay_alu instid0(SALU_CYCLE_1)
	s_or_b32 exec_lo, exec_lo, s8
.LBB222_1162:                           ;   in Loop: Header=BB222_806 Depth=1
	s_delay_alu instid0(SALU_CYCLE_1) | instskip(SKIP_4) | instid1(VALU_DEP_3)
	s_or_b32 exec_lo, exec_lo, s3
	v_lshrrev_b32_e32 v65, 16, v64
	v_mov_b64_e32 v[52:53], 0
	v_mov_b64_e32 v[6:7], 0
	s_mov_b32 s3, exec_lo
	v_and_b32_e32 v66, 0xff, v65
	s_delay_alu instid0(VALU_DEP_1)
	v_cmpx_ne_u16_e32 0, v66
	s_cbranch_execz .LBB222_1170
; %bb.1163:                             ;   in Loop: Header=BB222_806 Depth=1
	v_mov_b64_e32 v[6:7], 0x80000000
	s_mov_b32 s8, exec_lo
	v_cmpx_ne_u16_e32 0x80, v66
	s_cbranch_execz .LBB222_1169
; %bb.1164:                             ;   in Loop: Header=BB222_806 Depth=1
	v_mov_b64_e32 v[6:7], 0x7f800001
	v_bfe_u32 v81, v64, 16, 7
	s_mov_b32 s9, exec_lo
	s_delay_alu instid0(VALU_DEP_1)
	v_cmpx_ne_u32_e32 0x7f, v81
	s_cbranch_execz .LBB222_1168
; %bb.1165:                             ;   in Loop: Header=BB222_806 Depth=1
	v_and_b32_e32 v66, 7, v65
	v_lshrrev_b32_e32 v6, 3, v81
	s_mov_b32 s16, exec_lo
	v_cmpx_gt_u32_e32 8, v81
; %bb.1166:                             ;   in Loop: Header=BB222_806 Depth=1
	s_delay_alu instid0(VALU_DEP_3) | instskip(NEXT) | instid1(VALU_DEP_1)
	v_clz_i32_u32_e32 v6, v66
	v_min_u32_e32 v6, 32, v6
	s_delay_alu instid0(VALU_DEP_1) | instskip(NEXT) | instid1(VALU_DEP_1)
	v_subrev_nc_u32_e32 v7, 28, v6
	v_lshlrev_b64_e32 v[40:41], v7, v[66:67]
	s_delay_alu instid0(VALU_DEP_1)
	v_dual_sub_nc_u32 v6, 29, v6 :: v_dual_bitop2_b32 v66, 7, v40 bitop3:0x40
; %bb.1167:                             ;   in Loop: Header=BB222_806 Depth=1
	s_or_b32 exec_lo, exec_lo, s16
	s_delay_alu instid0(VALU_DEP_1) | instskip(NEXT) | instid1(VALU_DEP_2)
	v_dual_lshlrev_b32 v7, 24, v65 :: v_dual_lshlrev_b32 v18, 20, v66
	v_lshl_add_u32 v6, v6, 23, 0x3c000000
	s_delay_alu instid0(VALU_DEP_2) | instskip(NEXT) | instid1(VALU_DEP_1)
	v_and_b32_e32 v7, 0x80000000, v7
	v_or3_b32 v66, v18, v7, v6
	s_delay_alu instid0(VALU_DEP_1)
	v_mov_b64_e32 v[6:7], v[66:67]
.LBB222_1168:                           ;   in Loop: Header=BB222_806 Depth=1
	s_or_b32 exec_lo, exec_lo, s9
.LBB222_1169:                           ;   in Loop: Header=BB222_806 Depth=1
	s_delay_alu instid0(SALU_CYCLE_1)
	s_or_b32 exec_lo, exec_lo, s8
.LBB222_1170:                           ;   in Loop: Header=BB222_806 Depth=1
	s_delay_alu instid0(SALU_CYCLE_1) | instskip(NEXT) | instid1(SALU_CYCLE_1)
	s_or_b32 exec_lo, exec_lo, s3
	s_mov_b32 s3, exec_lo
	v_cmpx_lt_u32_e32 0xffffff, v64
	s_cbranch_execz .LBB222_1178
; %bb.1171:                             ;   in Loop: Header=BB222_806 Depth=1
	v_mov_b64_e32 v[52:53], 0x8000000000000000
	v_lshrrev_b32_e32 v65, 24, v64
	s_mov_b32 s8, exec_lo
	s_delay_alu instid0(VALU_DEP_1)
	v_cmpx_ne_u32_e32 0x80, v65
	s_cbranch_execz .LBB222_1177
; %bb.1172:                             ;   in Loop: Header=BB222_806 Depth=1
	v_mov_b64_e32 v[52:53], 0x7f80000100000000
	v_bfe_u32 v64, v64, 24, 7
	s_mov_b32 s9, exec_lo
	s_delay_alu instid0(VALU_DEP_1)
	v_cmpx_ne_u32_e32 0x7f, v64
	s_cbranch_execz .LBB222_1176
; %bb.1173:                             ;   in Loop: Header=BB222_806 Depth=1
	v_dual_lshrrev_b32 v52, 3, v64 :: v_dual_bitop2_b32 v66, 7, v65 bitop3:0x40
	s_mov_b32 s16, exec_lo
	v_cmpx_gt_u32_e32 8, v64
; %bb.1174:                             ;   in Loop: Header=BB222_806 Depth=1
	s_delay_alu instid0(VALU_DEP_2) | instskip(NEXT) | instid1(VALU_DEP_1)
	v_clz_i32_u32_e32 v18, v66
	v_min_u32_e32 v18, 32, v18
	s_delay_alu instid0(VALU_DEP_1) | instskip(NEXT) | instid1(VALU_DEP_1)
	v_subrev_nc_u32_e32 v19, 28, v18
	v_lshlrev_b64_e32 v[40:41], v19, v[66:67]
	s_delay_alu instid0(VALU_DEP_1)
	v_dual_sub_nc_u32 v52, 29, v18 :: v_dual_bitop2_b32 v66, 7, v40 bitop3:0x40
; %bb.1175:                             ;   in Loop: Header=BB222_806 Depth=1
	s_or_b32 exec_lo, exec_lo, s16
	s_delay_alu instid0(VALU_DEP_1) | instskip(NEXT) | instid1(VALU_DEP_2)
	v_dual_lshlrev_b32 v18, 24, v65 :: v_dual_lshlrev_b32 v19, 20, v66
	v_lshl_add_u32 v52, v52, 23, 0x3c000000
	s_delay_alu instid0(VALU_DEP_2) | instskip(NEXT) | instid1(VALU_DEP_1)
	v_and_b32_e32 v18, 0x80000000, v18
	v_or3_b32 v53, v19, v18, v52
	v_mov_b32_e32 v52, v67
.LBB222_1176:                           ;   in Loop: Header=BB222_806 Depth=1
	s_or_b32 exec_lo, exec_lo, s9
.LBB222_1177:                           ;   in Loop: Header=BB222_806 Depth=1
	s_delay_alu instid0(SALU_CYCLE_1)
	s_or_b32 exec_lo, exec_lo, s8
.LBB222_1178:                           ;   in Loop: Header=BB222_806 Depth=1
	s_delay_alu instid0(SALU_CYCLE_1) | instskip(SKIP_4) | instid1(VALU_DEP_3)
	s_or_b32 exec_lo, exec_lo, s3
	v_or_b32_e32 v49, v49, v51
	v_or_b32_e32 v48, v48, v50
	;; [unrolled: 1-line block ×4, first 2 shown]
	v_pk_mul_f32 v[42:43], v[22:23], v[48:49]
	s_delay_alu instid0(VALU_DEP_2)
	v_pk_mul_f32 v[40:41], v[22:23], v[6:7]
	s_and_saveexec_b32 s3, vcc_lo
	s_cbranch_execz .LBB222_1180
; %bb.1179:                             ;   in Loop: Header=BB222_806 Depth=1
	scratch_load_b64 v[6:7], off, s32 offset:192 ; 8-byte Folded Reload
	s_wait_loadcnt 0x0
	v_cmp_lt_i32_e64 s0, v17, v6
	s_delay_alu instid0(VALU_DEP_1) | instskip(SKIP_1) | instid1(VALU_DEP_1)
	v_cndmask_b32_e64 v42, 0, v42, s0
	v_cmp_lt_i32_e64 s0, v70, v6
	v_cndmask_b32_e64 v43, 0, v43, s0
	v_cmp_lt_i32_e64 s0, v80, v6
	s_delay_alu instid0(VALU_DEP_1) | instskip(SKIP_1) | instid1(VALU_DEP_1)
	v_cndmask_b32_e64 v40, 0, v40, s0
	v_cmp_lt_i32_e64 s0, v71, v6
	v_cndmask_b32_e64 v41, 0, v41, s0
.LBB222_1180:                           ;   in Loop: Header=BB222_806 Depth=1
	s_wait_xcnt 0x0
	s_or_b32 exec_lo, exec_lo, s3
	flat_load_b32 v64, v[54:55] offset:1408
	v_mov_b64_e32 v[48:49], 0
	v_mov_b64_e32 v[50:51], 0
	s_mov_b32 s3, exec_lo
	s_wait_loadcnt_dscnt 0x0
	v_and_b32_e32 v6, 0xff, v64
	s_wait_xcnt 0x0
	s_delay_alu instid0(VALU_DEP_1)
	v_cmpx_ne_u16_e32 0, v6
	s_cbranch_execz .LBB222_1188
; %bb.1181:                             ;   in Loop: Header=BB222_806 Depth=1
	v_mov_b64_e32 v[50:51], 0x80000000
	s_mov_b32 s8, exec_lo
	v_cmpx_ne_u16_e32 0x80, v6
	s_cbranch_execz .LBB222_1187
; %bb.1182:                             ;   in Loop: Header=BB222_806 Depth=1
	v_mov_b64_e32 v[50:51], 0x7f800001
	v_and_b32_e32 v7, 0x7f, v64
	s_mov_b32 s9, exec_lo
	s_delay_alu instid0(VALU_DEP_1)
	v_cmpx_ne_u32_e32 0x7f, v7
	s_cbranch_execz .LBB222_1186
; %bb.1183:                             ;   in Loop: Header=BB222_806 Depth=1
	v_dual_lshrrev_b32 v6, 3, v7 :: v_dual_bitop2_b32 v66, 7, v64 bitop3:0x40
	s_mov_b32 s16, exec_lo
	v_cmpx_gt_u32_e32 8, v7
; %bb.1184:                             ;   in Loop: Header=BB222_806 Depth=1
	s_delay_alu instid0(VALU_DEP_2) | instskip(NEXT) | instid1(VALU_DEP_1)
	v_clz_i32_u32_e32 v6, v66
	v_min_u32_e32 v6, 32, v6
	s_delay_alu instid0(VALU_DEP_1) | instskip(SKIP_1) | instid1(VALU_DEP_2)
	v_subrev_nc_u32_e32 v7, 28, v6
	v_sub_nc_u32_e32 v6, 29, v6
	v_lshlrev_b64_e32 v[50:51], v7, v[66:67]
	s_delay_alu instid0(VALU_DEP_1)
	v_and_b32_e32 v66, 7, v50
; %bb.1185:                             ;   in Loop: Header=BB222_806 Depth=1
	s_or_b32 exec_lo, exec_lo, s16
	s_delay_alu instid0(VALU_DEP_1) | instskip(SKIP_1) | instid1(VALU_DEP_2)
	v_dual_lshlrev_b32 v7, 24, v64 :: v_dual_lshlrev_b32 v18, 20, v66
	v_lshl_add_u32 v6, v6, 23, 0x3c000000
	v_and_b32_e32 v7, 0x80000000, v7
	s_delay_alu instid0(VALU_DEP_1) | instskip(NEXT) | instid1(VALU_DEP_1)
	v_or3_b32 v66, v18, v7, v6
	v_mov_b64_e32 v[50:51], v[66:67]
.LBB222_1186:                           ;   in Loop: Header=BB222_806 Depth=1
	s_or_b32 exec_lo, exec_lo, s9
.LBB222_1187:                           ;   in Loop: Header=BB222_806 Depth=1
	s_delay_alu instid0(SALU_CYCLE_1)
	s_or_b32 exec_lo, exec_lo, s8
.LBB222_1188:                           ;   in Loop: Header=BB222_806 Depth=1
	s_delay_alu instid0(SALU_CYCLE_1) | instskip(SKIP_2) | instid1(VALU_DEP_1)
	s_or_b32 exec_lo, exec_lo, s3
	v_lshrrev_b16 v6, 8, v64
	s_mov_b32 s3, exec_lo
	v_cmpx_ne_u16_e32 0, v6
	s_cbranch_execz .LBB222_1196
; %bb.1189:                             ;   in Loop: Header=BB222_806 Depth=1
	v_mov_b64_e32 v[48:49], 0x8000000000000000
	s_mov_b32 s8, exec_lo
	v_cmpx_ne_u16_e32 0x80, v6
	s_cbranch_execz .LBB222_1195
; %bb.1190:                             ;   in Loop: Header=BB222_806 Depth=1
	v_and_b32_e32 v6, 0xffff, v6
	v_mov_b64_e32 v[48:49], 0x7f80000100000000
	s_mov_b32 s9, exec_lo
	s_delay_alu instid0(VALU_DEP_2) | instskip(NEXT) | instid1(VALU_DEP_1)
	v_and_b32_e32 v7, 0x7f, v6
	v_cmpx_ne_u32_e32 0x7f, v7
	s_cbranch_execz .LBB222_1194
; %bb.1191:                             ;   in Loop: Header=BB222_806 Depth=1
	v_dual_lshrrev_b32 v6, 3, v7 :: v_dual_bitop2_b32 v66, 7, v6 bitop3:0x40
	s_mov_b32 s16, exec_lo
	v_cmpx_gt_u32_e32 8, v7
; %bb.1192:                             ;   in Loop: Header=BB222_806 Depth=1
	s_delay_alu instid0(VALU_DEP_2) | instskip(NEXT) | instid1(VALU_DEP_1)
	v_clz_i32_u32_e32 v6, v66
	v_min_u32_e32 v6, 32, v6
	s_delay_alu instid0(VALU_DEP_1) | instskip(NEXT) | instid1(VALU_DEP_1)
	v_subrev_nc_u32_e32 v7, 28, v6
	v_lshlrev_b64_e32 v[48:49], v7, v[66:67]
	s_delay_alu instid0(VALU_DEP_1)
	v_dual_sub_nc_u32 v6, 29, v6 :: v_dual_bitop2_b32 v66, 7, v48 bitop3:0x40
; %bb.1193:                             ;   in Loop: Header=BB222_806 Depth=1
	s_or_b32 exec_lo, exec_lo, s16
	s_delay_alu instid0(VALU_DEP_1) | instskip(NEXT) | instid1(VALU_DEP_2)
	v_dual_lshlrev_b32 v7, 16, v64 :: v_dual_lshlrev_b32 v18, 20, v66
	v_lshl_add_u32 v6, v6, 23, 0x3c000000
	v_mov_b32_e32 v48, v67
	s_delay_alu instid0(VALU_DEP_3) | instskip(NEXT) | instid1(VALU_DEP_1)
	v_and_b32_e32 v7, 0x80000000, v7
	v_or3_b32 v49, v18, v7, v6
.LBB222_1194:                           ;   in Loop: Header=BB222_806 Depth=1
	s_or_b32 exec_lo, exec_lo, s9
.LBB222_1195:                           ;   in Loop: Header=BB222_806 Depth=1
	s_delay_alu instid0(SALU_CYCLE_1)
	s_or_b32 exec_lo, exec_lo, s8
.LBB222_1196:                           ;   in Loop: Header=BB222_806 Depth=1
	s_delay_alu instid0(SALU_CYCLE_1) | instskip(SKIP_4) | instid1(VALU_DEP_3)
	s_or_b32 exec_lo, exec_lo, s3
	v_lshrrev_b32_e32 v65, 16, v64
	v_mov_b64_e32 v[52:53], 0
	v_mov_b64_e32 v[6:7], 0
	s_mov_b32 s3, exec_lo
	v_and_b32_e32 v66, 0xff, v65
	s_delay_alu instid0(VALU_DEP_1)
	v_cmpx_ne_u16_e32 0, v66
	s_cbranch_execz .LBB222_1204
; %bb.1197:                             ;   in Loop: Header=BB222_806 Depth=1
	v_mov_b64_e32 v[6:7], 0x80000000
	s_mov_b32 s8, exec_lo
	v_cmpx_ne_u16_e32 0x80, v66
	s_cbranch_execz .LBB222_1203
; %bb.1198:                             ;   in Loop: Header=BB222_806 Depth=1
	v_mov_b64_e32 v[6:7], 0x7f800001
	v_bfe_u32 v81, v64, 16, 7
	s_mov_b32 s9, exec_lo
	s_delay_alu instid0(VALU_DEP_1)
	v_cmpx_ne_u32_e32 0x7f, v81
	s_cbranch_execz .LBB222_1202
; %bb.1199:                             ;   in Loop: Header=BB222_806 Depth=1
	v_and_b32_e32 v66, 7, v65
	v_lshrrev_b32_e32 v6, 3, v81
	s_mov_b32 s16, exec_lo
	v_cmpx_gt_u32_e32 8, v81
; %bb.1200:                             ;   in Loop: Header=BB222_806 Depth=1
	s_delay_alu instid0(VALU_DEP_3) | instskip(NEXT) | instid1(VALU_DEP_1)
	v_clz_i32_u32_e32 v6, v66
	v_min_u32_e32 v6, 32, v6
	s_delay_alu instid0(VALU_DEP_1) | instskip(NEXT) | instid1(VALU_DEP_1)
	v_subrev_nc_u32_e32 v7, 28, v6
	v_lshlrev_b64_e32 v[44:45], v7, v[66:67]
	s_delay_alu instid0(VALU_DEP_1)
	v_dual_sub_nc_u32 v6, 29, v6 :: v_dual_bitop2_b32 v66, 7, v44 bitop3:0x40
; %bb.1201:                             ;   in Loop: Header=BB222_806 Depth=1
	s_or_b32 exec_lo, exec_lo, s16
	s_delay_alu instid0(VALU_DEP_1) | instskip(NEXT) | instid1(VALU_DEP_2)
	v_dual_lshlrev_b32 v7, 24, v65 :: v_dual_lshlrev_b32 v18, 20, v66
	v_lshl_add_u32 v6, v6, 23, 0x3c000000
	s_delay_alu instid0(VALU_DEP_2) | instskip(NEXT) | instid1(VALU_DEP_1)
	v_and_b32_e32 v7, 0x80000000, v7
	v_or3_b32 v66, v18, v7, v6
	s_delay_alu instid0(VALU_DEP_1)
	v_mov_b64_e32 v[6:7], v[66:67]
.LBB222_1202:                           ;   in Loop: Header=BB222_806 Depth=1
	s_or_b32 exec_lo, exec_lo, s9
.LBB222_1203:                           ;   in Loop: Header=BB222_806 Depth=1
	s_delay_alu instid0(SALU_CYCLE_1)
	s_or_b32 exec_lo, exec_lo, s8
.LBB222_1204:                           ;   in Loop: Header=BB222_806 Depth=1
	s_delay_alu instid0(SALU_CYCLE_1) | instskip(NEXT) | instid1(SALU_CYCLE_1)
	s_or_b32 exec_lo, exec_lo, s3
	s_mov_b32 s3, exec_lo
	v_cmpx_lt_u32_e32 0xffffff, v64
	s_cbranch_execz .LBB222_1212
; %bb.1205:                             ;   in Loop: Header=BB222_806 Depth=1
	v_mov_b64_e32 v[52:53], 0x8000000000000000
	v_lshrrev_b32_e32 v65, 24, v64
	s_mov_b32 s8, exec_lo
	s_delay_alu instid0(VALU_DEP_1)
	v_cmpx_ne_u32_e32 0x80, v65
	s_cbranch_execz .LBB222_1211
; %bb.1206:                             ;   in Loop: Header=BB222_806 Depth=1
	v_mov_b64_e32 v[52:53], 0x7f80000100000000
	v_bfe_u32 v64, v64, 24, 7
	s_mov_b32 s9, exec_lo
	s_delay_alu instid0(VALU_DEP_1)
	v_cmpx_ne_u32_e32 0x7f, v64
	s_cbranch_execz .LBB222_1210
; %bb.1207:                             ;   in Loop: Header=BB222_806 Depth=1
	v_dual_lshrrev_b32 v52, 3, v64 :: v_dual_bitop2_b32 v66, 7, v65 bitop3:0x40
	s_mov_b32 s16, exec_lo
	v_cmpx_gt_u32_e32 8, v64
; %bb.1208:                             ;   in Loop: Header=BB222_806 Depth=1
	s_delay_alu instid0(VALU_DEP_2) | instskip(NEXT) | instid1(VALU_DEP_1)
	v_clz_i32_u32_e32 v18, v66
	v_min_u32_e32 v18, 32, v18
	s_delay_alu instid0(VALU_DEP_1) | instskip(NEXT) | instid1(VALU_DEP_1)
	v_subrev_nc_u32_e32 v19, 28, v18
	v_lshlrev_b64_e32 v[44:45], v19, v[66:67]
	s_delay_alu instid0(VALU_DEP_1)
	v_dual_sub_nc_u32 v52, 29, v18 :: v_dual_bitop2_b32 v66, 7, v44 bitop3:0x40
; %bb.1209:                             ;   in Loop: Header=BB222_806 Depth=1
	s_or_b32 exec_lo, exec_lo, s16
	s_delay_alu instid0(VALU_DEP_1) | instskip(NEXT) | instid1(VALU_DEP_2)
	v_dual_lshlrev_b32 v18, 24, v65 :: v_dual_lshlrev_b32 v19, 20, v66
	v_lshl_add_u32 v52, v52, 23, 0x3c000000
	s_delay_alu instid0(VALU_DEP_2) | instskip(NEXT) | instid1(VALU_DEP_1)
	v_and_b32_e32 v18, 0x80000000, v18
	v_or3_b32 v53, v19, v18, v52
	v_mov_b32_e32 v52, v67
.LBB222_1210:                           ;   in Loop: Header=BB222_806 Depth=1
	s_or_b32 exec_lo, exec_lo, s9
.LBB222_1211:                           ;   in Loop: Header=BB222_806 Depth=1
	s_delay_alu instid0(SALU_CYCLE_1)
	s_or_b32 exec_lo, exec_lo, s8
.LBB222_1212:                           ;   in Loop: Header=BB222_806 Depth=1
	s_delay_alu instid0(SALU_CYCLE_1) | instskip(SKIP_4) | instid1(VALU_DEP_3)
	s_or_b32 exec_lo, exec_lo, s3
	v_or_b32_e32 v49, v49, v51
	v_or_b32_e32 v48, v48, v50
	;; [unrolled: 1-line block ×4, first 2 shown]
	v_pk_mul_f32 v[46:47], v[22:23], v[48:49]
	s_delay_alu instid0(VALU_DEP_2)
	v_pk_mul_f32 v[44:45], v[22:23], v[6:7]
	s_and_saveexec_b32 s3, vcc_lo
	s_cbranch_execz .LBB222_1214
; %bb.1213:                             ;   in Loop: Header=BB222_806 Depth=1
	scratch_load_b64 v[6:7], off, s32 offset:192 ; 8-byte Folded Reload
	s_wait_loadcnt 0x0
	v_cmp_lt_i32_e64 s0, v17, v6
	s_delay_alu instid0(VALU_DEP_1) | instskip(SKIP_1) | instid1(VALU_DEP_1)
	v_cndmask_b32_e64 v46, 0, v46, s0
	v_cmp_lt_i32_e64 s0, v70, v6
	v_cndmask_b32_e64 v47, 0, v47, s0
	v_cmp_lt_i32_e64 s0, v80, v6
	s_delay_alu instid0(VALU_DEP_1) | instskip(SKIP_1) | instid1(VALU_DEP_1)
	v_cndmask_b32_e64 v44, 0, v44, s0
	v_cmp_lt_i32_e64 s0, v71, v6
	v_cndmask_b32_e64 v45, 0, v45, s0
.LBB222_1214:                           ;   in Loop: Header=BB222_806 Depth=1
	s_wait_xcnt 0x0
	s_or_b32 exec_lo, exec_lo, s3
	flat_load_b32 v64, v[54:55] offset:1536
	v_mov_b64_e32 v[48:49], 0
	v_mov_b64_e32 v[50:51], 0
	s_mov_b32 s3, exec_lo
	s_wait_loadcnt_dscnt 0x0
	v_and_b32_e32 v6, 0xff, v64
	s_wait_xcnt 0x0
	s_delay_alu instid0(VALU_DEP_1)
	v_cmpx_ne_u16_e32 0, v6
	s_cbranch_execz .LBB222_1222
; %bb.1215:                             ;   in Loop: Header=BB222_806 Depth=1
	v_mov_b64_e32 v[50:51], 0x80000000
	s_mov_b32 s8, exec_lo
	v_cmpx_ne_u16_e32 0x80, v6
	s_cbranch_execz .LBB222_1221
; %bb.1216:                             ;   in Loop: Header=BB222_806 Depth=1
	v_mov_b64_e32 v[50:51], 0x7f800001
	v_and_b32_e32 v7, 0x7f, v64
	s_mov_b32 s9, exec_lo
	s_delay_alu instid0(VALU_DEP_1)
	v_cmpx_ne_u32_e32 0x7f, v7
	s_cbranch_execz .LBB222_1220
; %bb.1217:                             ;   in Loop: Header=BB222_806 Depth=1
	v_dual_lshrrev_b32 v6, 3, v7 :: v_dual_bitop2_b32 v66, 7, v64 bitop3:0x40
	s_mov_b32 s16, exec_lo
	v_cmpx_gt_u32_e32 8, v7
; %bb.1218:                             ;   in Loop: Header=BB222_806 Depth=1
	s_delay_alu instid0(VALU_DEP_2) | instskip(NEXT) | instid1(VALU_DEP_1)
	v_clz_i32_u32_e32 v6, v66
	v_min_u32_e32 v6, 32, v6
	s_delay_alu instid0(VALU_DEP_1) | instskip(SKIP_1) | instid1(VALU_DEP_2)
	v_subrev_nc_u32_e32 v7, 28, v6
	v_sub_nc_u32_e32 v6, 29, v6
	v_lshlrev_b64_e32 v[50:51], v7, v[66:67]
	s_delay_alu instid0(VALU_DEP_1)
	v_and_b32_e32 v66, 7, v50
; %bb.1219:                             ;   in Loop: Header=BB222_806 Depth=1
	s_or_b32 exec_lo, exec_lo, s16
	s_delay_alu instid0(VALU_DEP_1) | instskip(SKIP_1) | instid1(VALU_DEP_2)
	v_dual_lshlrev_b32 v7, 24, v64 :: v_dual_lshlrev_b32 v18, 20, v66
	v_lshl_add_u32 v6, v6, 23, 0x3c000000
	v_and_b32_e32 v7, 0x80000000, v7
	s_delay_alu instid0(VALU_DEP_1) | instskip(NEXT) | instid1(VALU_DEP_1)
	v_or3_b32 v66, v18, v7, v6
	v_mov_b64_e32 v[50:51], v[66:67]
.LBB222_1220:                           ;   in Loop: Header=BB222_806 Depth=1
	s_or_b32 exec_lo, exec_lo, s9
.LBB222_1221:                           ;   in Loop: Header=BB222_806 Depth=1
	s_delay_alu instid0(SALU_CYCLE_1)
	s_or_b32 exec_lo, exec_lo, s8
.LBB222_1222:                           ;   in Loop: Header=BB222_806 Depth=1
	s_delay_alu instid0(SALU_CYCLE_1) | instskip(SKIP_2) | instid1(VALU_DEP_1)
	s_or_b32 exec_lo, exec_lo, s3
	v_lshrrev_b16 v6, 8, v64
	s_mov_b32 s3, exec_lo
	v_cmpx_ne_u16_e32 0, v6
	s_cbranch_execz .LBB222_1230
; %bb.1223:                             ;   in Loop: Header=BB222_806 Depth=1
	v_mov_b64_e32 v[48:49], 0x8000000000000000
	s_mov_b32 s8, exec_lo
	v_cmpx_ne_u16_e32 0x80, v6
	s_cbranch_execz .LBB222_1229
; %bb.1224:                             ;   in Loop: Header=BB222_806 Depth=1
	v_and_b32_e32 v6, 0xffff, v6
	v_mov_b64_e32 v[48:49], 0x7f80000100000000
	s_mov_b32 s9, exec_lo
	s_delay_alu instid0(VALU_DEP_2) | instskip(NEXT) | instid1(VALU_DEP_1)
	v_and_b32_e32 v7, 0x7f, v6
	v_cmpx_ne_u32_e32 0x7f, v7
	s_cbranch_execz .LBB222_1228
; %bb.1225:                             ;   in Loop: Header=BB222_806 Depth=1
	v_dual_lshrrev_b32 v6, 3, v7 :: v_dual_bitop2_b32 v66, 7, v6 bitop3:0x40
	s_mov_b32 s16, exec_lo
	v_cmpx_gt_u32_e32 8, v7
; %bb.1226:                             ;   in Loop: Header=BB222_806 Depth=1
	s_delay_alu instid0(VALU_DEP_2) | instskip(NEXT) | instid1(VALU_DEP_1)
	v_clz_i32_u32_e32 v6, v66
	v_min_u32_e32 v6, 32, v6
	s_delay_alu instid0(VALU_DEP_1) | instskip(NEXT) | instid1(VALU_DEP_1)
	v_subrev_nc_u32_e32 v7, 28, v6
	v_lshlrev_b64_e32 v[48:49], v7, v[66:67]
	s_delay_alu instid0(VALU_DEP_1)
	v_dual_sub_nc_u32 v6, 29, v6 :: v_dual_bitop2_b32 v66, 7, v48 bitop3:0x40
; %bb.1227:                             ;   in Loop: Header=BB222_806 Depth=1
	s_or_b32 exec_lo, exec_lo, s16
	s_delay_alu instid0(VALU_DEP_1) | instskip(NEXT) | instid1(VALU_DEP_2)
	v_dual_lshlrev_b32 v7, 16, v64 :: v_dual_lshlrev_b32 v18, 20, v66
	v_lshl_add_u32 v6, v6, 23, 0x3c000000
	v_mov_b32_e32 v48, v67
	s_delay_alu instid0(VALU_DEP_3) | instskip(NEXT) | instid1(VALU_DEP_1)
	v_and_b32_e32 v7, 0x80000000, v7
	v_or3_b32 v49, v18, v7, v6
.LBB222_1228:                           ;   in Loop: Header=BB222_806 Depth=1
	s_or_b32 exec_lo, exec_lo, s9
.LBB222_1229:                           ;   in Loop: Header=BB222_806 Depth=1
	s_delay_alu instid0(SALU_CYCLE_1)
	s_or_b32 exec_lo, exec_lo, s8
.LBB222_1230:                           ;   in Loop: Header=BB222_806 Depth=1
	s_delay_alu instid0(SALU_CYCLE_1) | instskip(SKIP_4) | instid1(VALU_DEP_3)
	s_or_b32 exec_lo, exec_lo, s3
	v_lshrrev_b32_e32 v65, 16, v64
	v_mov_b64_e32 v[52:53], 0
	v_mov_b64_e32 v[6:7], 0
	s_mov_b32 s3, exec_lo
	v_and_b32_e32 v66, 0xff, v65
	s_delay_alu instid0(VALU_DEP_1)
	v_cmpx_ne_u16_e32 0, v66
	s_cbranch_execz .LBB222_1238
; %bb.1231:                             ;   in Loop: Header=BB222_806 Depth=1
	v_mov_b64_e32 v[6:7], 0x80000000
	s_mov_b32 s8, exec_lo
	v_cmpx_ne_u16_e32 0x80, v66
	s_cbranch_execz .LBB222_1237
; %bb.1232:                             ;   in Loop: Header=BB222_806 Depth=1
	v_mov_b64_e32 v[6:7], 0x7f800001
	v_bfe_u32 v81, v64, 16, 7
	s_mov_b32 s9, exec_lo
	s_delay_alu instid0(VALU_DEP_1)
	v_cmpx_ne_u32_e32 0x7f, v81
	s_cbranch_execz .LBB222_1236
; %bb.1233:                             ;   in Loop: Header=BB222_806 Depth=1
	v_and_b32_e32 v66, 7, v65
	v_lshrrev_b32_e32 v6, 3, v81
	s_mov_b32 s16, exec_lo
	v_cmpx_gt_u32_e32 8, v81
; %bb.1234:                             ;   in Loop: Header=BB222_806 Depth=1
	s_delay_alu instid0(VALU_DEP_3) | instskip(NEXT) | instid1(VALU_DEP_1)
	v_clz_i32_u32_e32 v6, v66
	v_min_u32_e32 v6, 32, v6
	s_delay_alu instid0(VALU_DEP_1) | instskip(NEXT) | instid1(VALU_DEP_1)
	v_subrev_nc_u32_e32 v7, 28, v6
	v_lshlrev_b64_e32 v[56:57], v7, v[66:67]
	s_delay_alu instid0(VALU_DEP_1)
	v_dual_sub_nc_u32 v6, 29, v6 :: v_dual_bitop2_b32 v66, 7, v56 bitop3:0x40
; %bb.1235:                             ;   in Loop: Header=BB222_806 Depth=1
	s_or_b32 exec_lo, exec_lo, s16
	s_delay_alu instid0(VALU_DEP_1) | instskip(NEXT) | instid1(VALU_DEP_2)
	v_dual_lshlrev_b32 v7, 24, v65 :: v_dual_lshlrev_b32 v18, 20, v66
	v_lshl_add_u32 v6, v6, 23, 0x3c000000
	s_delay_alu instid0(VALU_DEP_2) | instskip(NEXT) | instid1(VALU_DEP_1)
	v_and_b32_e32 v7, 0x80000000, v7
	v_or3_b32 v66, v18, v7, v6
	s_delay_alu instid0(VALU_DEP_1)
	v_mov_b64_e32 v[6:7], v[66:67]
.LBB222_1236:                           ;   in Loop: Header=BB222_806 Depth=1
	s_or_b32 exec_lo, exec_lo, s9
.LBB222_1237:                           ;   in Loop: Header=BB222_806 Depth=1
	s_delay_alu instid0(SALU_CYCLE_1)
	s_or_b32 exec_lo, exec_lo, s8
.LBB222_1238:                           ;   in Loop: Header=BB222_806 Depth=1
	s_delay_alu instid0(SALU_CYCLE_1) | instskip(NEXT) | instid1(SALU_CYCLE_1)
	s_or_b32 exec_lo, exec_lo, s3
	s_mov_b32 s3, exec_lo
	v_cmpx_lt_u32_e32 0xffffff, v64
	s_cbranch_execz .LBB222_1246
; %bb.1239:                             ;   in Loop: Header=BB222_806 Depth=1
	v_mov_b64_e32 v[52:53], 0x8000000000000000
	v_lshrrev_b32_e32 v65, 24, v64
	s_mov_b32 s8, exec_lo
	s_delay_alu instid0(VALU_DEP_1)
	v_cmpx_ne_u32_e32 0x80, v65
	s_cbranch_execz .LBB222_1245
; %bb.1240:                             ;   in Loop: Header=BB222_806 Depth=1
	v_mov_b64_e32 v[52:53], 0x7f80000100000000
	v_bfe_u32 v64, v64, 24, 7
	s_mov_b32 s9, exec_lo
	s_delay_alu instid0(VALU_DEP_1)
	v_cmpx_ne_u32_e32 0x7f, v64
	s_cbranch_execz .LBB222_1244
; %bb.1241:                             ;   in Loop: Header=BB222_806 Depth=1
	v_dual_lshrrev_b32 v52, 3, v64 :: v_dual_bitop2_b32 v66, 7, v65 bitop3:0x40
	s_mov_b32 s16, exec_lo
	v_cmpx_gt_u32_e32 8, v64
; %bb.1242:                             ;   in Loop: Header=BB222_806 Depth=1
	s_delay_alu instid0(VALU_DEP_2) | instskip(NEXT) | instid1(VALU_DEP_1)
	v_clz_i32_u32_e32 v18, v66
	v_min_u32_e32 v18, 32, v18
	s_delay_alu instid0(VALU_DEP_1) | instskip(NEXT) | instid1(VALU_DEP_1)
	v_subrev_nc_u32_e32 v19, 28, v18
	v_lshlrev_b64_e32 v[56:57], v19, v[66:67]
	s_delay_alu instid0(VALU_DEP_1)
	v_dual_sub_nc_u32 v52, 29, v18 :: v_dual_bitop2_b32 v66, 7, v56 bitop3:0x40
; %bb.1243:                             ;   in Loop: Header=BB222_806 Depth=1
	s_or_b32 exec_lo, exec_lo, s16
	s_delay_alu instid0(VALU_DEP_1) | instskip(NEXT) | instid1(VALU_DEP_2)
	v_dual_lshlrev_b32 v18, 24, v65 :: v_dual_lshlrev_b32 v19, 20, v66
	v_lshl_add_u32 v52, v52, 23, 0x3c000000
	s_delay_alu instid0(VALU_DEP_2) | instskip(NEXT) | instid1(VALU_DEP_1)
	v_and_b32_e32 v18, 0x80000000, v18
	v_or3_b32 v53, v19, v18, v52
	v_mov_b32_e32 v52, v67
.LBB222_1244:                           ;   in Loop: Header=BB222_806 Depth=1
	s_or_b32 exec_lo, exec_lo, s9
.LBB222_1245:                           ;   in Loop: Header=BB222_806 Depth=1
	s_delay_alu instid0(SALU_CYCLE_1)
	s_or_b32 exec_lo, exec_lo, s8
.LBB222_1246:                           ;   in Loop: Header=BB222_806 Depth=1
	s_delay_alu instid0(SALU_CYCLE_1) | instskip(SKIP_4) | instid1(VALU_DEP_3)
	s_or_b32 exec_lo, exec_lo, s3
	v_or_b32_e32 v49, v49, v51
	v_or_b32_e32 v48, v48, v50
	;; [unrolled: 1-line block ×4, first 2 shown]
	v_pk_mul_f32 v[58:59], v[22:23], v[48:49]
	s_delay_alu instid0(VALU_DEP_2)
	v_pk_mul_f32 v[56:57], v[22:23], v[6:7]
	s_and_saveexec_b32 s3, vcc_lo
	s_cbranch_execz .LBB222_1248
; %bb.1247:                             ;   in Loop: Header=BB222_806 Depth=1
	scratch_load_b64 v[6:7], off, s32 offset:192 ; 8-byte Folded Reload
	s_wait_loadcnt 0x0
	v_cmp_lt_i32_e64 s0, v17, v6
	s_delay_alu instid0(VALU_DEP_1) | instskip(SKIP_1) | instid1(VALU_DEP_1)
	v_cndmask_b32_e64 v58, 0, v58, s0
	v_cmp_lt_i32_e64 s0, v70, v6
	v_cndmask_b32_e64 v59, 0, v59, s0
	v_cmp_lt_i32_e64 s0, v80, v6
	s_delay_alu instid0(VALU_DEP_1) | instskip(SKIP_1) | instid1(VALU_DEP_1)
	v_cndmask_b32_e64 v56, 0, v56, s0
	v_cmp_lt_i32_e64 s0, v71, v6
	v_cndmask_b32_e64 v57, 0, v57, s0
.LBB222_1248:                           ;   in Loop: Header=BB222_806 Depth=1
	s_wait_xcnt 0x0
	s_or_b32 exec_lo, exec_lo, s3
	flat_load_b32 v64, v[54:55] offset:1664
	v_mov_b64_e32 v[48:49], 0
	v_mov_b64_e32 v[50:51], 0
	s_mov_b32 s3, exec_lo
	s_wait_loadcnt_dscnt 0x0
	v_and_b32_e32 v6, 0xff, v64
	s_wait_xcnt 0x0
	s_delay_alu instid0(VALU_DEP_1)
	v_cmpx_ne_u16_e32 0, v6
	s_cbranch_execz .LBB222_1256
; %bb.1249:                             ;   in Loop: Header=BB222_806 Depth=1
	v_mov_b64_e32 v[50:51], 0x80000000
	s_mov_b32 s8, exec_lo
	v_cmpx_ne_u16_e32 0x80, v6
	s_cbranch_execz .LBB222_1255
; %bb.1250:                             ;   in Loop: Header=BB222_806 Depth=1
	v_mov_b64_e32 v[50:51], 0x7f800001
	v_and_b32_e32 v7, 0x7f, v64
	s_mov_b32 s9, exec_lo
	s_delay_alu instid0(VALU_DEP_1)
	v_cmpx_ne_u32_e32 0x7f, v7
	s_cbranch_execz .LBB222_1254
; %bb.1251:                             ;   in Loop: Header=BB222_806 Depth=1
	v_dual_lshrrev_b32 v6, 3, v7 :: v_dual_bitop2_b32 v66, 7, v64 bitop3:0x40
	s_mov_b32 s16, exec_lo
	v_cmpx_gt_u32_e32 8, v7
; %bb.1252:                             ;   in Loop: Header=BB222_806 Depth=1
	s_delay_alu instid0(VALU_DEP_2) | instskip(NEXT) | instid1(VALU_DEP_1)
	v_clz_i32_u32_e32 v6, v66
	v_min_u32_e32 v6, 32, v6
	s_delay_alu instid0(VALU_DEP_1) | instskip(SKIP_1) | instid1(VALU_DEP_2)
	v_subrev_nc_u32_e32 v7, 28, v6
	v_sub_nc_u32_e32 v6, 29, v6
	v_lshlrev_b64_e32 v[50:51], v7, v[66:67]
	s_delay_alu instid0(VALU_DEP_1)
	v_and_b32_e32 v66, 7, v50
; %bb.1253:                             ;   in Loop: Header=BB222_806 Depth=1
	s_or_b32 exec_lo, exec_lo, s16
	s_delay_alu instid0(VALU_DEP_1) | instskip(SKIP_1) | instid1(VALU_DEP_2)
	v_dual_lshlrev_b32 v7, 24, v64 :: v_dual_lshlrev_b32 v18, 20, v66
	v_lshl_add_u32 v6, v6, 23, 0x3c000000
	v_and_b32_e32 v7, 0x80000000, v7
	s_delay_alu instid0(VALU_DEP_1) | instskip(NEXT) | instid1(VALU_DEP_1)
	v_or3_b32 v66, v18, v7, v6
	v_mov_b64_e32 v[50:51], v[66:67]
.LBB222_1254:                           ;   in Loop: Header=BB222_806 Depth=1
	s_or_b32 exec_lo, exec_lo, s9
.LBB222_1255:                           ;   in Loop: Header=BB222_806 Depth=1
	s_delay_alu instid0(SALU_CYCLE_1)
	s_or_b32 exec_lo, exec_lo, s8
.LBB222_1256:                           ;   in Loop: Header=BB222_806 Depth=1
	s_delay_alu instid0(SALU_CYCLE_1) | instskip(SKIP_2) | instid1(VALU_DEP_1)
	s_or_b32 exec_lo, exec_lo, s3
	v_lshrrev_b16 v6, 8, v64
	s_mov_b32 s3, exec_lo
	v_cmpx_ne_u16_e32 0, v6
	s_cbranch_execz .LBB222_1264
; %bb.1257:                             ;   in Loop: Header=BB222_806 Depth=1
	v_mov_b64_e32 v[48:49], 0x8000000000000000
	s_mov_b32 s8, exec_lo
	v_cmpx_ne_u16_e32 0x80, v6
	s_cbranch_execz .LBB222_1263
; %bb.1258:                             ;   in Loop: Header=BB222_806 Depth=1
	v_and_b32_e32 v6, 0xffff, v6
	v_mov_b64_e32 v[48:49], 0x7f80000100000000
	s_mov_b32 s9, exec_lo
	s_delay_alu instid0(VALU_DEP_2) | instskip(NEXT) | instid1(VALU_DEP_1)
	v_and_b32_e32 v7, 0x7f, v6
	v_cmpx_ne_u32_e32 0x7f, v7
	s_cbranch_execz .LBB222_1262
; %bb.1259:                             ;   in Loop: Header=BB222_806 Depth=1
	v_dual_lshrrev_b32 v6, 3, v7 :: v_dual_bitop2_b32 v66, 7, v6 bitop3:0x40
	s_mov_b32 s16, exec_lo
	v_cmpx_gt_u32_e32 8, v7
; %bb.1260:                             ;   in Loop: Header=BB222_806 Depth=1
	s_delay_alu instid0(VALU_DEP_2) | instskip(NEXT) | instid1(VALU_DEP_1)
	v_clz_i32_u32_e32 v6, v66
	v_min_u32_e32 v6, 32, v6
	s_delay_alu instid0(VALU_DEP_1) | instskip(NEXT) | instid1(VALU_DEP_1)
	v_subrev_nc_u32_e32 v7, 28, v6
	v_lshlrev_b64_e32 v[48:49], v7, v[66:67]
	s_delay_alu instid0(VALU_DEP_1)
	v_dual_sub_nc_u32 v6, 29, v6 :: v_dual_bitop2_b32 v66, 7, v48 bitop3:0x40
; %bb.1261:                             ;   in Loop: Header=BB222_806 Depth=1
	s_or_b32 exec_lo, exec_lo, s16
	s_delay_alu instid0(VALU_DEP_1) | instskip(NEXT) | instid1(VALU_DEP_2)
	v_dual_lshlrev_b32 v7, 16, v64 :: v_dual_lshlrev_b32 v18, 20, v66
	v_lshl_add_u32 v6, v6, 23, 0x3c000000
	v_mov_b32_e32 v48, v67
	s_delay_alu instid0(VALU_DEP_3) | instskip(NEXT) | instid1(VALU_DEP_1)
	v_and_b32_e32 v7, 0x80000000, v7
	v_or3_b32 v49, v18, v7, v6
.LBB222_1262:                           ;   in Loop: Header=BB222_806 Depth=1
	s_or_b32 exec_lo, exec_lo, s9
.LBB222_1263:                           ;   in Loop: Header=BB222_806 Depth=1
	s_delay_alu instid0(SALU_CYCLE_1)
	s_or_b32 exec_lo, exec_lo, s8
.LBB222_1264:                           ;   in Loop: Header=BB222_806 Depth=1
	s_delay_alu instid0(SALU_CYCLE_1) | instskip(SKIP_4) | instid1(VALU_DEP_3)
	s_or_b32 exec_lo, exec_lo, s3
	v_lshrrev_b32_e32 v65, 16, v64
	v_mov_b64_e32 v[52:53], 0
	v_mov_b64_e32 v[6:7], 0
	s_mov_b32 s3, exec_lo
	v_and_b32_e32 v66, 0xff, v65
	s_delay_alu instid0(VALU_DEP_1)
	v_cmpx_ne_u16_e32 0, v66
	s_cbranch_execz .LBB222_1272
; %bb.1265:                             ;   in Loop: Header=BB222_806 Depth=1
	v_mov_b64_e32 v[6:7], 0x80000000
	s_mov_b32 s8, exec_lo
	v_cmpx_ne_u16_e32 0x80, v66
	s_cbranch_execz .LBB222_1271
; %bb.1266:                             ;   in Loop: Header=BB222_806 Depth=1
	v_mov_b64_e32 v[6:7], 0x7f800001
	v_bfe_u32 v81, v64, 16, 7
	s_mov_b32 s9, exec_lo
	s_delay_alu instid0(VALU_DEP_1)
	v_cmpx_ne_u32_e32 0x7f, v81
	s_cbranch_execz .LBB222_1270
; %bb.1267:                             ;   in Loop: Header=BB222_806 Depth=1
	v_and_b32_e32 v66, 7, v65
	v_lshrrev_b32_e32 v6, 3, v81
	s_mov_b32 s16, exec_lo
	v_cmpx_gt_u32_e32 8, v81
; %bb.1268:                             ;   in Loop: Header=BB222_806 Depth=1
	s_delay_alu instid0(VALU_DEP_3) | instskip(NEXT) | instid1(VALU_DEP_1)
	v_clz_i32_u32_e32 v6, v66
	v_min_u32_e32 v6, 32, v6
	s_delay_alu instid0(VALU_DEP_1) | instskip(NEXT) | instid1(VALU_DEP_1)
	v_subrev_nc_u32_e32 v7, 28, v6
	v_lshlrev_b64_e32 v[60:61], v7, v[66:67]
	s_delay_alu instid0(VALU_DEP_1)
	v_dual_sub_nc_u32 v6, 29, v6 :: v_dual_bitop2_b32 v66, 7, v60 bitop3:0x40
; %bb.1269:                             ;   in Loop: Header=BB222_806 Depth=1
	s_or_b32 exec_lo, exec_lo, s16
	s_delay_alu instid0(VALU_DEP_1) | instskip(NEXT) | instid1(VALU_DEP_2)
	v_dual_lshlrev_b32 v7, 24, v65 :: v_dual_lshlrev_b32 v18, 20, v66
	v_lshl_add_u32 v6, v6, 23, 0x3c000000
	s_delay_alu instid0(VALU_DEP_2) | instskip(NEXT) | instid1(VALU_DEP_1)
	v_and_b32_e32 v7, 0x80000000, v7
	v_or3_b32 v66, v18, v7, v6
	s_delay_alu instid0(VALU_DEP_1)
	v_mov_b64_e32 v[6:7], v[66:67]
.LBB222_1270:                           ;   in Loop: Header=BB222_806 Depth=1
	s_or_b32 exec_lo, exec_lo, s9
.LBB222_1271:                           ;   in Loop: Header=BB222_806 Depth=1
	s_delay_alu instid0(SALU_CYCLE_1)
	s_or_b32 exec_lo, exec_lo, s8
.LBB222_1272:                           ;   in Loop: Header=BB222_806 Depth=1
	s_delay_alu instid0(SALU_CYCLE_1) | instskip(NEXT) | instid1(SALU_CYCLE_1)
	s_or_b32 exec_lo, exec_lo, s3
	s_mov_b32 s3, exec_lo
	v_cmpx_lt_u32_e32 0xffffff, v64
	s_cbranch_execz .LBB222_1280
; %bb.1273:                             ;   in Loop: Header=BB222_806 Depth=1
	v_mov_b64_e32 v[52:53], 0x8000000000000000
	v_lshrrev_b32_e32 v65, 24, v64
	s_mov_b32 s8, exec_lo
	s_delay_alu instid0(VALU_DEP_1)
	v_cmpx_ne_u32_e32 0x80, v65
	s_cbranch_execz .LBB222_1279
; %bb.1274:                             ;   in Loop: Header=BB222_806 Depth=1
	v_mov_b64_e32 v[52:53], 0x7f80000100000000
	v_bfe_u32 v64, v64, 24, 7
	s_mov_b32 s9, exec_lo
	s_delay_alu instid0(VALU_DEP_1)
	v_cmpx_ne_u32_e32 0x7f, v64
	s_cbranch_execz .LBB222_1278
; %bb.1275:                             ;   in Loop: Header=BB222_806 Depth=1
	v_dual_lshrrev_b32 v52, 3, v64 :: v_dual_bitop2_b32 v66, 7, v65 bitop3:0x40
	s_mov_b32 s16, exec_lo
	v_cmpx_gt_u32_e32 8, v64
; %bb.1276:                             ;   in Loop: Header=BB222_806 Depth=1
	s_delay_alu instid0(VALU_DEP_2) | instskip(NEXT) | instid1(VALU_DEP_1)
	v_clz_i32_u32_e32 v18, v66
	v_min_u32_e32 v18, 32, v18
	s_delay_alu instid0(VALU_DEP_1) | instskip(NEXT) | instid1(VALU_DEP_1)
	v_subrev_nc_u32_e32 v19, 28, v18
	v_lshlrev_b64_e32 v[60:61], v19, v[66:67]
	s_delay_alu instid0(VALU_DEP_1)
	v_dual_sub_nc_u32 v52, 29, v18 :: v_dual_bitop2_b32 v66, 7, v60 bitop3:0x40
; %bb.1277:                             ;   in Loop: Header=BB222_806 Depth=1
	s_or_b32 exec_lo, exec_lo, s16
	s_delay_alu instid0(VALU_DEP_1) | instskip(NEXT) | instid1(VALU_DEP_2)
	v_dual_lshlrev_b32 v18, 24, v65 :: v_dual_lshlrev_b32 v19, 20, v66
	v_lshl_add_u32 v52, v52, 23, 0x3c000000
	s_delay_alu instid0(VALU_DEP_2) | instskip(NEXT) | instid1(VALU_DEP_1)
	v_and_b32_e32 v18, 0x80000000, v18
	v_or3_b32 v53, v19, v18, v52
	v_mov_b32_e32 v52, v67
.LBB222_1278:                           ;   in Loop: Header=BB222_806 Depth=1
	s_or_b32 exec_lo, exec_lo, s9
.LBB222_1279:                           ;   in Loop: Header=BB222_806 Depth=1
	s_delay_alu instid0(SALU_CYCLE_1)
	s_or_b32 exec_lo, exec_lo, s8
.LBB222_1280:                           ;   in Loop: Header=BB222_806 Depth=1
	s_delay_alu instid0(SALU_CYCLE_1) | instskip(SKIP_4) | instid1(VALU_DEP_3)
	s_or_b32 exec_lo, exec_lo, s3
	v_or_b32_e32 v49, v49, v51
	v_or_b32_e32 v48, v48, v50
	;; [unrolled: 1-line block ×4, first 2 shown]
	v_pk_mul_f32 v[62:63], v[22:23], v[48:49]
	s_delay_alu instid0(VALU_DEP_2)
	v_pk_mul_f32 v[60:61], v[22:23], v[6:7]
	s_and_saveexec_b32 s3, vcc_lo
	s_cbranch_execz .LBB222_1282
; %bb.1281:                             ;   in Loop: Header=BB222_806 Depth=1
	scratch_load_b64 v[6:7], off, s32 offset:192 ; 8-byte Folded Reload
	s_wait_loadcnt 0x0
	v_cmp_lt_i32_e64 s0, v17, v6
	s_delay_alu instid0(VALU_DEP_1) | instskip(SKIP_1) | instid1(VALU_DEP_1)
	v_cndmask_b32_e64 v62, 0, v62, s0
	v_cmp_lt_i32_e64 s0, v70, v6
	v_cndmask_b32_e64 v63, 0, v63, s0
	v_cmp_lt_i32_e64 s0, v80, v6
	s_delay_alu instid0(VALU_DEP_1) | instskip(SKIP_1) | instid1(VALU_DEP_1)
	v_cndmask_b32_e64 v60, 0, v60, s0
	v_cmp_lt_i32_e64 s0, v71, v6
	v_cndmask_b32_e64 v61, 0, v61, s0
.LBB222_1282:                           ;   in Loop: Header=BB222_806 Depth=1
	s_wait_xcnt 0x0
	s_or_b32 exec_lo, exec_lo, s3
	flat_load_b32 v64, v[54:55] offset:1792
	v_mov_b64_e32 v[48:49], 0
	v_mov_b64_e32 v[50:51], 0
	s_mov_b32 s3, exec_lo
	s_wait_loadcnt_dscnt 0x0
	v_and_b32_e32 v6, 0xff, v64
	s_wait_xcnt 0x0
	s_delay_alu instid0(VALU_DEP_1)
	v_cmpx_ne_u16_e32 0, v6
	s_cbranch_execz .LBB222_1290
; %bb.1283:                             ;   in Loop: Header=BB222_806 Depth=1
	v_mov_b64_e32 v[50:51], 0x80000000
	s_mov_b32 s8, exec_lo
	v_cmpx_ne_u16_e32 0x80, v6
	s_cbranch_execz .LBB222_1289
; %bb.1284:                             ;   in Loop: Header=BB222_806 Depth=1
	v_mov_b64_e32 v[50:51], 0x7f800001
	v_and_b32_e32 v7, 0x7f, v64
	s_mov_b32 s9, exec_lo
	s_delay_alu instid0(VALU_DEP_1)
	v_cmpx_ne_u32_e32 0x7f, v7
	s_cbranch_execz .LBB222_1288
; %bb.1285:                             ;   in Loop: Header=BB222_806 Depth=1
	v_dual_lshrrev_b32 v6, 3, v7 :: v_dual_bitop2_b32 v66, 7, v64 bitop3:0x40
	s_mov_b32 s16, exec_lo
	v_cmpx_gt_u32_e32 8, v7
; %bb.1286:                             ;   in Loop: Header=BB222_806 Depth=1
	s_delay_alu instid0(VALU_DEP_2) | instskip(NEXT) | instid1(VALU_DEP_1)
	v_clz_i32_u32_e32 v6, v66
	v_min_u32_e32 v6, 32, v6
	s_delay_alu instid0(VALU_DEP_1) | instskip(SKIP_1) | instid1(VALU_DEP_2)
	v_subrev_nc_u32_e32 v7, 28, v6
	v_sub_nc_u32_e32 v6, 29, v6
	v_lshlrev_b64_e32 v[50:51], v7, v[66:67]
	s_delay_alu instid0(VALU_DEP_1)
	v_and_b32_e32 v66, 7, v50
; %bb.1287:                             ;   in Loop: Header=BB222_806 Depth=1
	s_or_b32 exec_lo, exec_lo, s16
	s_delay_alu instid0(VALU_DEP_1) | instskip(SKIP_1) | instid1(VALU_DEP_2)
	v_dual_lshlrev_b32 v7, 24, v64 :: v_dual_lshlrev_b32 v18, 20, v66
	v_lshl_add_u32 v6, v6, 23, 0x3c000000
	v_and_b32_e32 v7, 0x80000000, v7
	s_delay_alu instid0(VALU_DEP_1) | instskip(NEXT) | instid1(VALU_DEP_1)
	v_or3_b32 v66, v18, v7, v6
	v_mov_b64_e32 v[50:51], v[66:67]
.LBB222_1288:                           ;   in Loop: Header=BB222_806 Depth=1
	s_or_b32 exec_lo, exec_lo, s9
.LBB222_1289:                           ;   in Loop: Header=BB222_806 Depth=1
	s_delay_alu instid0(SALU_CYCLE_1)
	s_or_b32 exec_lo, exec_lo, s8
.LBB222_1290:                           ;   in Loop: Header=BB222_806 Depth=1
	s_delay_alu instid0(SALU_CYCLE_1) | instskip(SKIP_2) | instid1(VALU_DEP_1)
	s_or_b32 exec_lo, exec_lo, s3
	v_lshrrev_b16 v6, 8, v64
	s_mov_b32 s3, exec_lo
	v_cmpx_ne_u16_e32 0, v6
	s_cbranch_execz .LBB222_1298
; %bb.1291:                             ;   in Loop: Header=BB222_806 Depth=1
	v_mov_b64_e32 v[48:49], 0x8000000000000000
	s_mov_b32 s8, exec_lo
	v_cmpx_ne_u16_e32 0x80, v6
	s_cbranch_execz .LBB222_1297
; %bb.1292:                             ;   in Loop: Header=BB222_806 Depth=1
	v_and_b32_e32 v6, 0xffff, v6
	v_mov_b64_e32 v[48:49], 0x7f80000100000000
	s_mov_b32 s9, exec_lo
	s_delay_alu instid0(VALU_DEP_2) | instskip(NEXT) | instid1(VALU_DEP_1)
	v_and_b32_e32 v7, 0x7f, v6
	v_cmpx_ne_u32_e32 0x7f, v7
	s_cbranch_execz .LBB222_1296
; %bb.1293:                             ;   in Loop: Header=BB222_806 Depth=1
	v_dual_lshrrev_b32 v6, 3, v7 :: v_dual_bitop2_b32 v66, 7, v6 bitop3:0x40
	s_mov_b32 s16, exec_lo
	v_cmpx_gt_u32_e32 8, v7
; %bb.1294:                             ;   in Loop: Header=BB222_806 Depth=1
	s_delay_alu instid0(VALU_DEP_2) | instskip(NEXT) | instid1(VALU_DEP_1)
	v_clz_i32_u32_e32 v6, v66
	v_min_u32_e32 v6, 32, v6
	s_delay_alu instid0(VALU_DEP_1) | instskip(NEXT) | instid1(VALU_DEP_1)
	v_subrev_nc_u32_e32 v7, 28, v6
	v_lshlrev_b64_e32 v[48:49], v7, v[66:67]
	s_delay_alu instid0(VALU_DEP_1)
	v_dual_sub_nc_u32 v6, 29, v6 :: v_dual_bitop2_b32 v66, 7, v48 bitop3:0x40
; %bb.1295:                             ;   in Loop: Header=BB222_806 Depth=1
	s_or_b32 exec_lo, exec_lo, s16
	s_delay_alu instid0(VALU_DEP_1) | instskip(NEXT) | instid1(VALU_DEP_2)
	v_dual_lshlrev_b32 v7, 16, v64 :: v_dual_lshlrev_b32 v18, 20, v66
	v_lshl_add_u32 v6, v6, 23, 0x3c000000
	v_mov_b32_e32 v48, v67
	s_delay_alu instid0(VALU_DEP_3) | instskip(NEXT) | instid1(VALU_DEP_1)
	v_and_b32_e32 v7, 0x80000000, v7
	v_or3_b32 v49, v18, v7, v6
.LBB222_1296:                           ;   in Loop: Header=BB222_806 Depth=1
	s_or_b32 exec_lo, exec_lo, s9
.LBB222_1297:                           ;   in Loop: Header=BB222_806 Depth=1
	s_delay_alu instid0(SALU_CYCLE_1)
	s_or_b32 exec_lo, exec_lo, s8
.LBB222_1298:                           ;   in Loop: Header=BB222_806 Depth=1
	s_delay_alu instid0(SALU_CYCLE_1) | instskip(SKIP_4) | instid1(VALU_DEP_3)
	s_or_b32 exec_lo, exec_lo, s3
	v_lshrrev_b32_e32 v65, 16, v64
	v_mov_b64_e32 v[52:53], 0
	v_mov_b64_e32 v[6:7], 0
	s_mov_b32 s3, exec_lo
	v_and_b32_e32 v66, 0xff, v65
	s_delay_alu instid0(VALU_DEP_1)
	v_cmpx_ne_u16_e32 0, v66
	s_cbranch_execz .LBB222_1306
; %bb.1299:                             ;   in Loop: Header=BB222_806 Depth=1
	v_mov_b64_e32 v[6:7], 0x80000000
	s_mov_b32 s8, exec_lo
	v_cmpx_ne_u16_e32 0x80, v66
	s_cbranch_execz .LBB222_1305
; %bb.1300:                             ;   in Loop: Header=BB222_806 Depth=1
	v_mov_b64_e32 v[6:7], 0x7f800001
	v_bfe_u32 v81, v64, 16, 7
	s_mov_b32 s9, exec_lo
	s_delay_alu instid0(VALU_DEP_1)
	v_cmpx_ne_u32_e32 0x7f, v81
	s_cbranch_execz .LBB222_1304
; %bb.1301:                             ;   in Loop: Header=BB222_806 Depth=1
	v_and_b32_e32 v66, 7, v65
	v_lshrrev_b32_e32 v6, 3, v81
	s_mov_b32 s16, exec_lo
	v_cmpx_gt_u32_e32 8, v81
; %bb.1302:                             ;   in Loop: Header=BB222_806 Depth=1
	s_delay_alu instid0(VALU_DEP_3) | instskip(NEXT) | instid1(VALU_DEP_1)
	v_clz_i32_u32_e32 v6, v66
	v_min_u32_e32 v6, 32, v6
	s_delay_alu instid0(VALU_DEP_1) | instskip(NEXT) | instid1(VALU_DEP_1)
	v_subrev_nc_u32_e32 v7, 28, v6
	v_lshlrev_b64_e32 v[72:73], v7, v[66:67]
	s_delay_alu instid0(VALU_DEP_1)
	v_dual_sub_nc_u32 v6, 29, v6 :: v_dual_bitop2_b32 v66, 7, v72 bitop3:0x40
; %bb.1303:                             ;   in Loop: Header=BB222_806 Depth=1
	s_or_b32 exec_lo, exec_lo, s16
	s_delay_alu instid0(VALU_DEP_1) | instskip(NEXT) | instid1(VALU_DEP_2)
	v_dual_lshlrev_b32 v7, 24, v65 :: v_dual_lshlrev_b32 v18, 20, v66
	v_lshl_add_u32 v6, v6, 23, 0x3c000000
	s_delay_alu instid0(VALU_DEP_2) | instskip(NEXT) | instid1(VALU_DEP_1)
	v_and_b32_e32 v7, 0x80000000, v7
	v_or3_b32 v66, v18, v7, v6
	s_delay_alu instid0(VALU_DEP_1)
	v_mov_b64_e32 v[6:7], v[66:67]
.LBB222_1304:                           ;   in Loop: Header=BB222_806 Depth=1
	s_or_b32 exec_lo, exec_lo, s9
.LBB222_1305:                           ;   in Loop: Header=BB222_806 Depth=1
	s_delay_alu instid0(SALU_CYCLE_1)
	s_or_b32 exec_lo, exec_lo, s8
.LBB222_1306:                           ;   in Loop: Header=BB222_806 Depth=1
	s_delay_alu instid0(SALU_CYCLE_1) | instskip(NEXT) | instid1(SALU_CYCLE_1)
	s_or_b32 exec_lo, exec_lo, s3
	s_mov_b32 s3, exec_lo
	v_cmpx_lt_u32_e32 0xffffff, v64
	s_cbranch_execz .LBB222_1314
; %bb.1307:                             ;   in Loop: Header=BB222_806 Depth=1
	v_mov_b64_e32 v[52:53], 0x8000000000000000
	v_lshrrev_b32_e32 v65, 24, v64
	s_mov_b32 s8, exec_lo
	s_delay_alu instid0(VALU_DEP_1)
	v_cmpx_ne_u32_e32 0x80, v65
	s_cbranch_execz .LBB222_1313
; %bb.1308:                             ;   in Loop: Header=BB222_806 Depth=1
	v_mov_b64_e32 v[52:53], 0x7f80000100000000
	v_bfe_u32 v64, v64, 24, 7
	s_mov_b32 s9, exec_lo
	s_delay_alu instid0(VALU_DEP_1)
	v_cmpx_ne_u32_e32 0x7f, v64
	s_cbranch_execz .LBB222_1312
; %bb.1309:                             ;   in Loop: Header=BB222_806 Depth=1
	v_dual_lshrrev_b32 v52, 3, v64 :: v_dual_bitop2_b32 v66, 7, v65 bitop3:0x40
	s_mov_b32 s16, exec_lo
	v_cmpx_gt_u32_e32 8, v64
; %bb.1310:                             ;   in Loop: Header=BB222_806 Depth=1
	s_delay_alu instid0(VALU_DEP_2) | instskip(NEXT) | instid1(VALU_DEP_1)
	v_clz_i32_u32_e32 v18, v66
	v_min_u32_e32 v18, 32, v18
	s_delay_alu instid0(VALU_DEP_1) | instskip(NEXT) | instid1(VALU_DEP_1)
	v_subrev_nc_u32_e32 v19, 28, v18
	v_lshlrev_b64_e32 v[72:73], v19, v[66:67]
	s_delay_alu instid0(VALU_DEP_1)
	v_dual_sub_nc_u32 v52, 29, v18 :: v_dual_bitop2_b32 v66, 7, v72 bitop3:0x40
; %bb.1311:                             ;   in Loop: Header=BB222_806 Depth=1
	s_or_b32 exec_lo, exec_lo, s16
	s_delay_alu instid0(VALU_DEP_1) | instskip(NEXT) | instid1(VALU_DEP_2)
	v_dual_lshlrev_b32 v18, 24, v65 :: v_dual_lshlrev_b32 v19, 20, v66
	v_lshl_add_u32 v52, v52, 23, 0x3c000000
	s_delay_alu instid0(VALU_DEP_2) | instskip(NEXT) | instid1(VALU_DEP_1)
	v_and_b32_e32 v18, 0x80000000, v18
	v_or3_b32 v53, v19, v18, v52
	v_mov_b32_e32 v52, v67
.LBB222_1312:                           ;   in Loop: Header=BB222_806 Depth=1
	s_or_b32 exec_lo, exec_lo, s9
.LBB222_1313:                           ;   in Loop: Header=BB222_806 Depth=1
	s_delay_alu instid0(SALU_CYCLE_1)
	s_or_b32 exec_lo, exec_lo, s8
.LBB222_1314:                           ;   in Loop: Header=BB222_806 Depth=1
	s_delay_alu instid0(SALU_CYCLE_1) | instskip(SKIP_4) | instid1(VALU_DEP_3)
	s_or_b32 exec_lo, exec_lo, s3
	v_or_b32_e32 v49, v49, v51
	v_or_b32_e32 v48, v48, v50
	;; [unrolled: 1-line block ×4, first 2 shown]
	v_pk_mul_f32 v[74:75], v[22:23], v[48:49]
	s_delay_alu instid0(VALU_DEP_2)
	v_pk_mul_f32 v[72:73], v[22:23], v[6:7]
	s_and_saveexec_b32 s3, vcc_lo
	s_cbranch_execz .LBB222_1316
; %bb.1315:                             ;   in Loop: Header=BB222_806 Depth=1
	scratch_load_b64 v[6:7], off, s32 offset:192 ; 8-byte Folded Reload
	s_wait_loadcnt 0x0
	v_cmp_lt_i32_e64 s0, v17, v6
	s_delay_alu instid0(VALU_DEP_1) | instskip(SKIP_1) | instid1(VALU_DEP_1)
	v_cndmask_b32_e64 v74, 0, v74, s0
	v_cmp_lt_i32_e64 s0, v70, v6
	v_cndmask_b32_e64 v75, 0, v75, s0
	v_cmp_lt_i32_e64 s0, v80, v6
	s_delay_alu instid0(VALU_DEP_1) | instskip(SKIP_1) | instid1(VALU_DEP_1)
	v_cndmask_b32_e64 v72, 0, v72, s0
	v_cmp_lt_i32_e64 s0, v71, v6
	v_cndmask_b32_e64 v73, 0, v73, s0
.LBB222_1316:                           ;   in Loop: Header=BB222_806 Depth=1
	s_wait_xcnt 0x0
	s_or_b32 exec_lo, exec_lo, s3
	flat_load_b32 v64, v[54:55] offset:1920
	v_mov_b64_e32 v[48:49], 0
	v_mov_b64_e32 v[50:51], 0
	s_mov_b32 s3, exec_lo
	s_wait_loadcnt_dscnt 0x0
	v_and_b32_e32 v6, 0xff, v64
	s_wait_xcnt 0x0
	s_delay_alu instid0(VALU_DEP_1)
	v_cmpx_ne_u16_e32 0, v6
	s_cbranch_execz .LBB222_1324
; %bb.1317:                             ;   in Loop: Header=BB222_806 Depth=1
	v_mov_b64_e32 v[50:51], 0x80000000
	s_mov_b32 s8, exec_lo
	v_cmpx_ne_u16_e32 0x80, v6
	s_cbranch_execz .LBB222_1323
; %bb.1318:                             ;   in Loop: Header=BB222_806 Depth=1
	v_mov_b64_e32 v[50:51], 0x7f800001
	v_and_b32_e32 v7, 0x7f, v64
	s_mov_b32 s9, exec_lo
	s_delay_alu instid0(VALU_DEP_1)
	v_cmpx_ne_u32_e32 0x7f, v7
	s_cbranch_execz .LBB222_1322
; %bb.1319:                             ;   in Loop: Header=BB222_806 Depth=1
	v_dual_lshrrev_b32 v6, 3, v7 :: v_dual_bitop2_b32 v66, 7, v64 bitop3:0x40
	s_mov_b32 s16, exec_lo
	v_cmpx_gt_u32_e32 8, v7
; %bb.1320:                             ;   in Loop: Header=BB222_806 Depth=1
	s_delay_alu instid0(VALU_DEP_2) | instskip(NEXT) | instid1(VALU_DEP_1)
	v_clz_i32_u32_e32 v6, v66
	v_min_u32_e32 v6, 32, v6
	s_delay_alu instid0(VALU_DEP_1) | instskip(SKIP_1) | instid1(VALU_DEP_2)
	v_subrev_nc_u32_e32 v7, 28, v6
	v_sub_nc_u32_e32 v6, 29, v6
	v_lshlrev_b64_e32 v[50:51], v7, v[66:67]
	s_delay_alu instid0(VALU_DEP_1)
	v_and_b32_e32 v66, 7, v50
; %bb.1321:                             ;   in Loop: Header=BB222_806 Depth=1
	s_or_b32 exec_lo, exec_lo, s16
	s_delay_alu instid0(VALU_DEP_1) | instskip(SKIP_1) | instid1(VALU_DEP_2)
	v_dual_lshlrev_b32 v7, 24, v64 :: v_dual_lshlrev_b32 v18, 20, v66
	v_lshl_add_u32 v6, v6, 23, 0x3c000000
	v_and_b32_e32 v7, 0x80000000, v7
	s_delay_alu instid0(VALU_DEP_1) | instskip(NEXT) | instid1(VALU_DEP_1)
	v_or3_b32 v66, v18, v7, v6
	v_mov_b64_e32 v[50:51], v[66:67]
.LBB222_1322:                           ;   in Loop: Header=BB222_806 Depth=1
	s_or_b32 exec_lo, exec_lo, s9
.LBB222_1323:                           ;   in Loop: Header=BB222_806 Depth=1
	s_delay_alu instid0(SALU_CYCLE_1)
	s_or_b32 exec_lo, exec_lo, s8
.LBB222_1324:                           ;   in Loop: Header=BB222_806 Depth=1
	s_delay_alu instid0(SALU_CYCLE_1) | instskip(SKIP_2) | instid1(VALU_DEP_1)
	s_or_b32 exec_lo, exec_lo, s3
	v_lshrrev_b16 v6, 8, v64
	s_mov_b32 s3, exec_lo
	v_cmpx_ne_u16_e32 0, v6
	s_cbranch_execz .LBB222_1332
; %bb.1325:                             ;   in Loop: Header=BB222_806 Depth=1
	v_mov_b64_e32 v[48:49], 0x8000000000000000
	s_mov_b32 s8, exec_lo
	v_cmpx_ne_u16_e32 0x80, v6
	s_cbranch_execz .LBB222_1331
; %bb.1326:                             ;   in Loop: Header=BB222_806 Depth=1
	v_and_b32_e32 v6, 0xffff, v6
	v_mov_b64_e32 v[48:49], 0x7f80000100000000
	s_mov_b32 s9, exec_lo
	s_delay_alu instid0(VALU_DEP_2) | instskip(NEXT) | instid1(VALU_DEP_1)
	v_and_b32_e32 v7, 0x7f, v6
	v_cmpx_ne_u32_e32 0x7f, v7
	s_cbranch_execz .LBB222_1330
; %bb.1327:                             ;   in Loop: Header=BB222_806 Depth=1
	v_dual_lshrrev_b32 v6, 3, v7 :: v_dual_bitop2_b32 v66, 7, v6 bitop3:0x40
	s_mov_b32 s16, exec_lo
	v_cmpx_gt_u32_e32 8, v7
; %bb.1328:                             ;   in Loop: Header=BB222_806 Depth=1
	s_delay_alu instid0(VALU_DEP_2) | instskip(NEXT) | instid1(VALU_DEP_1)
	v_clz_i32_u32_e32 v6, v66
	v_min_u32_e32 v6, 32, v6
	s_delay_alu instid0(VALU_DEP_1) | instskip(NEXT) | instid1(VALU_DEP_1)
	v_subrev_nc_u32_e32 v7, 28, v6
	v_lshlrev_b64_e32 v[48:49], v7, v[66:67]
	s_delay_alu instid0(VALU_DEP_1)
	v_dual_sub_nc_u32 v6, 29, v6 :: v_dual_bitop2_b32 v66, 7, v48 bitop3:0x40
; %bb.1329:                             ;   in Loop: Header=BB222_806 Depth=1
	s_or_b32 exec_lo, exec_lo, s16
	s_delay_alu instid0(VALU_DEP_1) | instskip(NEXT) | instid1(VALU_DEP_2)
	v_dual_lshlrev_b32 v7, 16, v64 :: v_dual_lshlrev_b32 v18, 20, v66
	v_lshl_add_u32 v6, v6, 23, 0x3c000000
	v_mov_b32_e32 v48, v67
	s_delay_alu instid0(VALU_DEP_3) | instskip(NEXT) | instid1(VALU_DEP_1)
	v_and_b32_e32 v7, 0x80000000, v7
	v_or3_b32 v49, v18, v7, v6
.LBB222_1330:                           ;   in Loop: Header=BB222_806 Depth=1
	s_or_b32 exec_lo, exec_lo, s9
.LBB222_1331:                           ;   in Loop: Header=BB222_806 Depth=1
	s_delay_alu instid0(SALU_CYCLE_1)
	s_or_b32 exec_lo, exec_lo, s8
.LBB222_1332:                           ;   in Loop: Header=BB222_806 Depth=1
	s_delay_alu instid0(SALU_CYCLE_1) | instskip(SKIP_4) | instid1(VALU_DEP_3)
	s_or_b32 exec_lo, exec_lo, s3
	v_lshrrev_b32_e32 v65, 16, v64
	v_mov_b64_e32 v[52:53], 0
	v_mov_b64_e32 v[6:7], 0
	s_mov_b32 s3, exec_lo
	v_and_b32_e32 v66, 0xff, v65
	s_delay_alu instid0(VALU_DEP_1)
	v_cmpx_ne_u16_e32 0, v66
	s_cbranch_execz .LBB222_1340
; %bb.1333:                             ;   in Loop: Header=BB222_806 Depth=1
	v_mov_b64_e32 v[6:7], 0x80000000
	s_mov_b32 s8, exec_lo
	v_cmpx_ne_u16_e32 0x80, v66
	s_cbranch_execz .LBB222_1339
; %bb.1334:                             ;   in Loop: Header=BB222_806 Depth=1
	v_mov_b64_e32 v[6:7], 0x7f800001
	v_bfe_u32 v81, v64, 16, 7
	s_mov_b32 s9, exec_lo
	s_delay_alu instid0(VALU_DEP_1)
	v_cmpx_ne_u32_e32 0x7f, v81
	s_cbranch_execz .LBB222_1338
; %bb.1335:                             ;   in Loop: Header=BB222_806 Depth=1
	v_and_b32_e32 v66, 7, v65
	v_lshrrev_b32_e32 v6, 3, v81
	s_mov_b32 s16, exec_lo
	v_cmpx_gt_u32_e32 8, v81
; %bb.1336:                             ;   in Loop: Header=BB222_806 Depth=1
	s_delay_alu instid0(VALU_DEP_3) | instskip(NEXT) | instid1(VALU_DEP_1)
	v_clz_i32_u32_e32 v6, v66
	v_min_u32_e32 v6, 32, v6
	s_delay_alu instid0(VALU_DEP_1) | instskip(NEXT) | instid1(VALU_DEP_1)
	v_subrev_nc_u32_e32 v7, 28, v6
	v_lshlrev_b64_e32 v[76:77], v7, v[66:67]
	s_delay_alu instid0(VALU_DEP_1)
	v_dual_sub_nc_u32 v6, 29, v6 :: v_dual_bitop2_b32 v66, 7, v76 bitop3:0x40
; %bb.1337:                             ;   in Loop: Header=BB222_806 Depth=1
	s_or_b32 exec_lo, exec_lo, s16
	s_delay_alu instid0(VALU_DEP_1) | instskip(NEXT) | instid1(VALU_DEP_2)
	v_dual_lshlrev_b32 v7, 24, v65 :: v_dual_lshlrev_b32 v18, 20, v66
	v_lshl_add_u32 v6, v6, 23, 0x3c000000
	s_delay_alu instid0(VALU_DEP_2) | instskip(NEXT) | instid1(VALU_DEP_1)
	v_and_b32_e32 v7, 0x80000000, v7
	v_or3_b32 v66, v18, v7, v6
	s_delay_alu instid0(VALU_DEP_1)
	v_mov_b64_e32 v[6:7], v[66:67]
.LBB222_1338:                           ;   in Loop: Header=BB222_806 Depth=1
	s_or_b32 exec_lo, exec_lo, s9
.LBB222_1339:                           ;   in Loop: Header=BB222_806 Depth=1
	s_delay_alu instid0(SALU_CYCLE_1)
	s_or_b32 exec_lo, exec_lo, s8
.LBB222_1340:                           ;   in Loop: Header=BB222_806 Depth=1
	s_delay_alu instid0(SALU_CYCLE_1) | instskip(NEXT) | instid1(SALU_CYCLE_1)
	s_or_b32 exec_lo, exec_lo, s3
	s_mov_b32 s3, exec_lo
	v_cmpx_lt_u32_e32 0xffffff, v64
	s_cbranch_execz .LBB222_1348
; %bb.1341:                             ;   in Loop: Header=BB222_806 Depth=1
	v_mov_b64_e32 v[52:53], 0x8000000000000000
	v_lshrrev_b32_e32 v65, 24, v64
	s_mov_b32 s8, exec_lo
	s_delay_alu instid0(VALU_DEP_1)
	v_cmpx_ne_u32_e32 0x80, v65
	s_cbranch_execz .LBB222_1347
; %bb.1342:                             ;   in Loop: Header=BB222_806 Depth=1
	v_mov_b64_e32 v[52:53], 0x7f80000100000000
	v_bfe_u32 v64, v64, 24, 7
	s_mov_b32 s9, exec_lo
	s_delay_alu instid0(VALU_DEP_1)
	v_cmpx_ne_u32_e32 0x7f, v64
	s_cbranch_execz .LBB222_1346
; %bb.1343:                             ;   in Loop: Header=BB222_806 Depth=1
	v_dual_lshrrev_b32 v52, 3, v64 :: v_dual_bitop2_b32 v66, 7, v65 bitop3:0x40
	s_mov_b32 s16, exec_lo
	v_cmpx_gt_u32_e32 8, v64
; %bb.1344:                             ;   in Loop: Header=BB222_806 Depth=1
	s_delay_alu instid0(VALU_DEP_2) | instskip(NEXT) | instid1(VALU_DEP_1)
	v_clz_i32_u32_e32 v18, v66
	v_min_u32_e32 v18, 32, v18
	s_delay_alu instid0(VALU_DEP_1) | instskip(NEXT) | instid1(VALU_DEP_1)
	v_subrev_nc_u32_e32 v19, 28, v18
	v_lshlrev_b64_e32 v[76:77], v19, v[66:67]
	s_delay_alu instid0(VALU_DEP_1)
	v_dual_sub_nc_u32 v52, 29, v18 :: v_dual_bitop2_b32 v66, 7, v76 bitop3:0x40
; %bb.1345:                             ;   in Loop: Header=BB222_806 Depth=1
	s_or_b32 exec_lo, exec_lo, s16
	s_delay_alu instid0(VALU_DEP_1) | instskip(NEXT) | instid1(VALU_DEP_2)
	v_dual_lshlrev_b32 v18, 24, v65 :: v_dual_lshlrev_b32 v19, 20, v66
	v_lshl_add_u32 v52, v52, 23, 0x3c000000
	s_delay_alu instid0(VALU_DEP_2) | instskip(NEXT) | instid1(VALU_DEP_1)
	v_and_b32_e32 v18, 0x80000000, v18
	v_or3_b32 v53, v19, v18, v52
	v_mov_b32_e32 v52, v67
.LBB222_1346:                           ;   in Loop: Header=BB222_806 Depth=1
	s_or_b32 exec_lo, exec_lo, s9
.LBB222_1347:                           ;   in Loop: Header=BB222_806 Depth=1
	s_delay_alu instid0(SALU_CYCLE_1)
	s_or_b32 exec_lo, exec_lo, s8
.LBB222_1348:                           ;   in Loop: Header=BB222_806 Depth=1
	s_delay_alu instid0(SALU_CYCLE_1) | instskip(SKIP_4) | instid1(VALU_DEP_3)
	s_or_b32 exec_lo, exec_lo, s3
	v_or_b32_e32 v49, v49, v51
	v_or_b32_e32 v48, v48, v50
	;; [unrolled: 1-line block ×4, first 2 shown]
	v_pk_mul_f32 v[78:79], v[22:23], v[48:49]
	s_delay_alu instid0(VALU_DEP_2)
	v_pk_mul_f32 v[76:77], v[22:23], v[6:7]
	s_and_saveexec_b32 s3, vcc_lo
	s_cbranch_execz .LBB222_1350
; %bb.1349:                             ;   in Loop: Header=BB222_806 Depth=1
	scratch_load_b64 v[6:7], off, s32 offset:192 ; 8-byte Folded Reload
	s_wait_loadcnt 0x0
	v_cmp_lt_i32_e64 s0, v17, v6
	s_delay_alu instid0(VALU_DEP_1) | instskip(SKIP_1) | instid1(VALU_DEP_1)
	v_cndmask_b32_e64 v78, 0, v78, s0
	v_cmp_lt_i32_e64 s0, v70, v6
	v_cndmask_b32_e64 v79, 0, v79, s0
	v_cmp_lt_i32_e64 s0, v80, v6
	s_delay_alu instid0(VALU_DEP_1) | instskip(SKIP_1) | instid1(VALU_DEP_1)
	v_cndmask_b32_e64 v76, 0, v76, s0
	v_cmp_lt_i32_e64 s0, v71, v6
	v_cndmask_b32_e64 v77, 0, v77, s0
.LBB222_1350:                           ;   in Loop: Header=BB222_806 Depth=1
	s_wait_xcnt 0x0
	s_or_b32 exec_lo, exec_lo, s3
	flat_load_b32 v6, v[54:55] offset:2048
	v_mov_b64_e32 v[48:49], 0
	v_mov_b64_e32 v[50:51], 0
	s_mov_b32 s3, exec_lo
	s_wait_loadcnt_dscnt 0x0
	v_and_b32_e32 v7, 0xff, v6
	s_wait_xcnt 0x0
	s_delay_alu instid0(VALU_DEP_1)
	v_cmpx_ne_u16_e32 0, v7
	s_cbranch_execz .LBB222_1358
; %bb.1351:                             ;   in Loop: Header=BB222_806 Depth=1
	v_mov_b64_e32 v[50:51], 0x80000000
	s_mov_b32 s8, exec_lo
	v_cmpx_ne_u16_e32 0x80, v7
	s_cbranch_execz .LBB222_1357
; %bb.1352:                             ;   in Loop: Header=BB222_806 Depth=1
	v_mov_b64_e32 v[50:51], 0x7f800001
	v_and_b32_e32 v52, 0x7f, v6
	s_mov_b32 s9, exec_lo
	s_delay_alu instid0(VALU_DEP_1)
	v_cmpx_ne_u32_e32 0x7f, v52
	s_cbranch_execz .LBB222_1356
; %bb.1353:                             ;   in Loop: Header=BB222_806 Depth=1
	v_dual_lshrrev_b32 v7, 3, v52 :: v_dual_bitop2_b32 v66, 7, v6 bitop3:0x40
	s_mov_b32 s16, exec_lo
	v_cmpx_gt_u32_e32 8, v52
; %bb.1354:                             ;   in Loop: Header=BB222_806 Depth=1
	s_delay_alu instid0(VALU_DEP_2) | instskip(NEXT) | instid1(VALU_DEP_1)
	v_clz_i32_u32_e32 v7, v66
	v_min_u32_e32 v7, 32, v7
	s_delay_alu instid0(VALU_DEP_1) | instskip(NEXT) | instid1(VALU_DEP_1)
	v_subrev_nc_u32_e32 v18, 28, v7
	v_lshlrev_b64_e32 v[50:51], v18, v[66:67]
	s_delay_alu instid0(VALU_DEP_1)
	v_dual_sub_nc_u32 v7, 29, v7 :: v_dual_bitop2_b32 v66, 7, v50 bitop3:0x40
; %bb.1355:                             ;   in Loop: Header=BB222_806 Depth=1
	s_or_b32 exec_lo, exec_lo, s16
	v_lshlrev_b32_e32 v18, 24, v6
	s_delay_alu instid0(VALU_DEP_2) | instskip(NEXT) | instid1(VALU_DEP_3)
	v_lshlrev_b32_e32 v19, 20, v66
	v_lshl_add_u32 v7, v7, 23, 0x3c000000
	s_delay_alu instid0(VALU_DEP_3) | instskip(NEXT) | instid1(VALU_DEP_1)
	v_and_b32_e32 v18, 0x80000000, v18
	v_or3_b32 v66, v19, v18, v7
	s_delay_alu instid0(VALU_DEP_1)
	v_mov_b64_e32 v[50:51], v[66:67]
.LBB222_1356:                           ;   in Loop: Header=BB222_806 Depth=1
	s_or_b32 exec_lo, exec_lo, s9
.LBB222_1357:                           ;   in Loop: Header=BB222_806 Depth=1
	s_delay_alu instid0(SALU_CYCLE_1)
	s_or_b32 exec_lo, exec_lo, s8
.LBB222_1358:                           ;   in Loop: Header=BB222_806 Depth=1
	s_delay_alu instid0(SALU_CYCLE_1) | instskip(SKIP_2) | instid1(VALU_DEP_1)
	s_or_b32 exec_lo, exec_lo, s3
	v_lshrrev_b16 v7, 8, v6
	s_mov_b32 s3, exec_lo
	v_cmpx_ne_u16_e32 0, v7
	s_cbranch_execz .LBB222_1366
; %bb.1359:                             ;   in Loop: Header=BB222_806 Depth=1
	v_mov_b64_e32 v[48:49], 0x8000000000000000
	s_mov_b32 s8, exec_lo
	v_cmpx_ne_u16_e32 0x80, v7
	s_cbranch_execz .LBB222_1365
; %bb.1360:                             ;   in Loop: Header=BB222_806 Depth=1
	v_and_b32_e32 v7, 0xffff, v7
	v_mov_b64_e32 v[48:49], 0x7f80000100000000
	s_mov_b32 s9, exec_lo
	s_delay_alu instid0(VALU_DEP_2) | instskip(NEXT) | instid1(VALU_DEP_1)
	v_and_b32_e32 v52, 0x7f, v7
	v_cmpx_ne_u32_e32 0x7f, v52
	s_cbranch_execz .LBB222_1364
; %bb.1361:                             ;   in Loop: Header=BB222_806 Depth=1
	v_dual_lshrrev_b32 v7, 3, v52 :: v_dual_bitop2_b32 v66, 7, v7 bitop3:0x40
	s_mov_b32 s16, exec_lo
	v_cmpx_gt_u32_e32 8, v52
; %bb.1362:                             ;   in Loop: Header=BB222_806 Depth=1
	s_delay_alu instid0(VALU_DEP_2) | instskip(NEXT) | instid1(VALU_DEP_1)
	v_clz_i32_u32_e32 v7, v66
	v_min_u32_e32 v7, 32, v7
	s_delay_alu instid0(VALU_DEP_1) | instskip(NEXT) | instid1(VALU_DEP_1)
	v_subrev_nc_u32_e32 v18, 28, v7
	v_lshlrev_b64_e32 v[48:49], v18, v[66:67]
	s_delay_alu instid0(VALU_DEP_1)
	v_dual_sub_nc_u32 v7, 29, v7 :: v_dual_bitop2_b32 v66, 7, v48 bitop3:0x40
; %bb.1363:                             ;   in Loop: Header=BB222_806 Depth=1
	s_or_b32 exec_lo, exec_lo, s16
	v_dual_lshlrev_b32 v18, 16, v6 :: v_dual_mov_b32 v48, v67
	s_delay_alu instid0(VALU_DEP_2) | instskip(NEXT) | instid1(VALU_DEP_3)
	v_lshlrev_b32_e32 v19, 20, v66
	v_lshl_add_u32 v7, v7, 23, 0x3c000000
	s_delay_alu instid0(VALU_DEP_3) | instskip(NEXT) | instid1(VALU_DEP_1)
	v_and_b32_e32 v18, 0x80000000, v18
	v_or3_b32 v49, v19, v18, v7
.LBB222_1364:                           ;   in Loop: Header=BB222_806 Depth=1
	s_or_b32 exec_lo, exec_lo, s9
.LBB222_1365:                           ;   in Loop: Header=BB222_806 Depth=1
	s_delay_alu instid0(SALU_CYCLE_1)
	s_or_b32 exec_lo, exec_lo, s8
.LBB222_1366:                           ;   in Loop: Header=BB222_806 Depth=1
	s_delay_alu instid0(SALU_CYCLE_1) | instskip(SKIP_4) | instid1(VALU_DEP_3)
	s_or_b32 exec_lo, exec_lo, s3
	v_lshrrev_b32_e32 v7, 16, v6
	v_mov_b64_e32 v[52:53], 0
	v_mov_b64_e32 v[64:65], 0
	s_mov_b32 s3, exec_lo
	v_and_b32_e32 v66, 0xff, v7
	s_delay_alu instid0(VALU_DEP_1)
	v_cmpx_ne_u16_e32 0, v66
	s_cbranch_execz .LBB222_1374
; %bb.1367:                             ;   in Loop: Header=BB222_806 Depth=1
	v_mov_b64_e32 v[64:65], 0x80000000
	s_mov_b32 s8, exec_lo
	v_cmpx_ne_u16_e32 0x80, v66
	s_cbranch_execz .LBB222_1373
; %bb.1368:                             ;   in Loop: Header=BB222_806 Depth=1
	v_mov_b64_e32 v[64:65], 0x7f800001
	v_bfe_u32 v81, v6, 16, 7
	s_mov_b32 s9, exec_lo
	s_delay_alu instid0(VALU_DEP_1)
	v_cmpx_ne_u32_e32 0x7f, v81
	s_cbranch_execz .LBB222_1372
; %bb.1369:                             ;   in Loop: Header=BB222_806 Depth=1
	v_dual_lshrrev_b32 v64, 3, v81 :: v_dual_bitop2_b32 v66, 7, v7 bitop3:0x40
	s_mov_b32 s16, exec_lo
	v_cmpx_gt_u32_e32 8, v81
; %bb.1370:                             ;   in Loop: Header=BB222_806 Depth=1
	s_delay_alu instid0(VALU_DEP_2) | instskip(NEXT) | instid1(VALU_DEP_1)
	v_clz_i32_u32_e32 v18, v66
	v_min_u32_e32 v18, 32, v18
	s_delay_alu instid0(VALU_DEP_1) | instskip(NEXT) | instid1(VALU_DEP_1)
	v_subrev_nc_u32_e32 v19, 28, v18
	v_lshlrev_b64_e32 v[88:89], v19, v[66:67]
	s_delay_alu instid0(VALU_DEP_1)
	v_dual_sub_nc_u32 v64, 29, v18 :: v_dual_bitop2_b32 v66, 7, v88 bitop3:0x40
; %bb.1371:                             ;   in Loop: Header=BB222_806 Depth=1
	s_or_b32 exec_lo, exec_lo, s16
	s_delay_alu instid0(VALU_DEP_1) | instskip(NEXT) | instid1(VALU_DEP_2)
	v_dual_lshlrev_b32 v7, 24, v7 :: v_dual_lshlrev_b32 v18, 20, v66
	v_lshl_add_u32 v19, v64, 23, 0x3c000000
	s_delay_alu instid0(VALU_DEP_2) | instskip(NEXT) | instid1(VALU_DEP_1)
	v_and_b32_e32 v7, 0x80000000, v7
	v_or3_b32 v66, v18, v7, v19
	s_delay_alu instid0(VALU_DEP_1)
	v_mov_b64_e32 v[64:65], v[66:67]
.LBB222_1372:                           ;   in Loop: Header=BB222_806 Depth=1
	s_or_b32 exec_lo, exec_lo, s9
.LBB222_1373:                           ;   in Loop: Header=BB222_806 Depth=1
	s_delay_alu instid0(SALU_CYCLE_1)
	s_or_b32 exec_lo, exec_lo, s8
.LBB222_1374:                           ;   in Loop: Header=BB222_806 Depth=1
	s_delay_alu instid0(SALU_CYCLE_1) | instskip(NEXT) | instid1(SALU_CYCLE_1)
	s_or_b32 exec_lo, exec_lo, s3
	s_mov_b32 s3, exec_lo
	v_cmpx_lt_u32_e32 0xffffff, v6
	s_cbranch_execz .LBB222_1382
; %bb.1375:                             ;   in Loop: Header=BB222_806 Depth=1
	v_mov_b64_e32 v[52:53], 0x8000000000000000
	v_lshrrev_b32_e32 v7, 24, v6
	s_mov_b32 s8, exec_lo
	s_delay_alu instid0(VALU_DEP_1)
	v_cmpx_ne_u32_e32 0x80, v7
	s_cbranch_execz .LBB222_1381
; %bb.1376:                             ;   in Loop: Header=BB222_806 Depth=1
	v_mov_b64_e32 v[52:53], 0x7f80000100000000
	v_bfe_u32 v81, v6, 24, 7
	s_mov_b32 s9, exec_lo
	s_delay_alu instid0(VALU_DEP_1)
	v_cmpx_ne_u32_e32 0x7f, v81
	s_cbranch_execz .LBB222_1380
; %bb.1377:                             ;   in Loop: Header=BB222_806 Depth=1
	v_dual_lshrrev_b32 v6, 3, v81 :: v_dual_bitop2_b32 v66, 7, v7 bitop3:0x40
	s_mov_b32 s16, exec_lo
	v_cmpx_gt_u32_e32 8, v81
; %bb.1378:                             ;   in Loop: Header=BB222_806 Depth=1
	s_delay_alu instid0(VALU_DEP_2) | instskip(NEXT) | instid1(VALU_DEP_1)
	v_clz_i32_u32_e32 v6, v66
	v_min_u32_e32 v6, 32, v6
	s_delay_alu instid0(VALU_DEP_1) | instskip(NEXT) | instid1(VALU_DEP_1)
	v_subrev_nc_u32_e32 v18, 28, v6
	v_lshlrev_b64_e32 v[52:53], v18, v[66:67]
	s_delay_alu instid0(VALU_DEP_1)
	v_dual_sub_nc_u32 v6, 29, v6 :: v_dual_bitop2_b32 v66, 7, v52 bitop3:0x40
; %bb.1379:                             ;   in Loop: Header=BB222_806 Depth=1
	s_or_b32 exec_lo, exec_lo, s16
	s_delay_alu instid0(VALU_DEP_1) | instskip(NEXT) | instid1(VALU_DEP_2)
	v_dual_lshlrev_b32 v7, 24, v7 :: v_dual_lshlrev_b32 v18, 20, v66
	v_lshl_add_u32 v6, v6, 23, 0x3c000000
	v_mov_b32_e32 v52, v67
	s_delay_alu instid0(VALU_DEP_3) | instskip(NEXT) | instid1(VALU_DEP_1)
	v_and_b32_e32 v7, 0x80000000, v7
	v_or3_b32 v53, v18, v7, v6
.LBB222_1380:                           ;   in Loop: Header=BB222_806 Depth=1
	s_or_b32 exec_lo, exec_lo, s9
.LBB222_1381:                           ;   in Loop: Header=BB222_806 Depth=1
	s_delay_alu instid0(SALU_CYCLE_1)
	s_or_b32 exec_lo, exec_lo, s8
.LBB222_1382:                           ;   in Loop: Header=BB222_806 Depth=1
	s_delay_alu instid0(SALU_CYCLE_1) | instskip(SKIP_4) | instid1(VALU_DEP_3)
	s_or_b32 exec_lo, exec_lo, s3
	v_or_b32_e32 v7, v49, v51
	v_or_b32_e32 v6, v48, v50
	;; [unrolled: 1-line block ×4, first 2 shown]
	v_pk_mul_f32 v[90:91], v[22:23], v[6:7]
	s_delay_alu instid0(VALU_DEP_2)
	v_pk_mul_f32 v[88:89], v[22:23], v[48:49]
	s_and_saveexec_b32 s3, vcc_lo
	s_cbranch_execz .LBB222_1384
; %bb.1383:                             ;   in Loop: Header=BB222_806 Depth=1
	scratch_load_b64 v[6:7], off, s32 offset:192 ; 8-byte Folded Reload
	s_wait_loadcnt 0x0
	v_cmp_lt_i32_e64 s0, v17, v6
	s_delay_alu instid0(VALU_DEP_1) | instskip(SKIP_1) | instid1(VALU_DEP_1)
	v_cndmask_b32_e64 v90, 0, v90, s0
	v_cmp_lt_i32_e64 s0, v70, v6
	v_cndmask_b32_e64 v91, 0, v91, s0
	v_cmp_lt_i32_e64 s0, v80, v6
	s_delay_alu instid0(VALU_DEP_1) | instskip(SKIP_1) | instid1(VALU_DEP_1)
	v_cndmask_b32_e64 v88, 0, v88, s0
	v_cmp_lt_i32_e64 s0, v71, v6
	v_cndmask_b32_e64 v89, 0, v89, s0
.LBB222_1384:                           ;   in Loop: Header=BB222_806 Depth=1
	s_wait_xcnt 0x0
	s_or_b32 exec_lo, exec_lo, s3
	flat_load_b32 v6, v[54:55] offset:2176
	v_mov_b64_e32 v[48:49], 0
	v_mov_b64_e32 v[50:51], 0
	s_mov_b32 s3, exec_lo
	s_wait_loadcnt_dscnt 0x0
	v_and_b32_e32 v7, 0xff, v6
	s_wait_xcnt 0x0
	s_delay_alu instid0(VALU_DEP_1)
	v_cmpx_ne_u16_e32 0, v7
	s_cbranch_execz .LBB222_1392
; %bb.1385:                             ;   in Loop: Header=BB222_806 Depth=1
	v_mov_b64_e32 v[50:51], 0x80000000
	s_mov_b32 s8, exec_lo
	v_cmpx_ne_u16_e32 0x80, v7
	s_cbranch_execz .LBB222_1391
; %bb.1386:                             ;   in Loop: Header=BB222_806 Depth=1
	v_mov_b64_e32 v[50:51], 0x7f800001
	v_and_b32_e32 v52, 0x7f, v6
	s_mov_b32 s9, exec_lo
	s_delay_alu instid0(VALU_DEP_1)
	v_cmpx_ne_u32_e32 0x7f, v52
	s_cbranch_execz .LBB222_1390
; %bb.1387:                             ;   in Loop: Header=BB222_806 Depth=1
	v_dual_lshrrev_b32 v7, 3, v52 :: v_dual_bitop2_b32 v66, 7, v6 bitop3:0x40
	s_mov_b32 s16, exec_lo
	v_cmpx_gt_u32_e32 8, v52
; %bb.1388:                             ;   in Loop: Header=BB222_806 Depth=1
	s_delay_alu instid0(VALU_DEP_2) | instskip(NEXT) | instid1(VALU_DEP_1)
	v_clz_i32_u32_e32 v7, v66
	v_min_u32_e32 v7, 32, v7
	s_delay_alu instid0(VALU_DEP_1) | instskip(NEXT) | instid1(VALU_DEP_1)
	v_subrev_nc_u32_e32 v18, 28, v7
	v_lshlrev_b64_e32 v[50:51], v18, v[66:67]
	s_delay_alu instid0(VALU_DEP_1)
	v_dual_sub_nc_u32 v7, 29, v7 :: v_dual_bitop2_b32 v66, 7, v50 bitop3:0x40
; %bb.1389:                             ;   in Loop: Header=BB222_806 Depth=1
	s_or_b32 exec_lo, exec_lo, s16
	v_lshlrev_b32_e32 v18, 24, v6
	s_delay_alu instid0(VALU_DEP_2) | instskip(NEXT) | instid1(VALU_DEP_3)
	v_lshlrev_b32_e32 v19, 20, v66
	v_lshl_add_u32 v7, v7, 23, 0x3c000000
	s_delay_alu instid0(VALU_DEP_3) | instskip(NEXT) | instid1(VALU_DEP_1)
	v_and_b32_e32 v18, 0x80000000, v18
	v_or3_b32 v66, v19, v18, v7
	s_delay_alu instid0(VALU_DEP_1)
	v_mov_b64_e32 v[50:51], v[66:67]
.LBB222_1390:                           ;   in Loop: Header=BB222_806 Depth=1
	s_or_b32 exec_lo, exec_lo, s9
.LBB222_1391:                           ;   in Loop: Header=BB222_806 Depth=1
	s_delay_alu instid0(SALU_CYCLE_1)
	s_or_b32 exec_lo, exec_lo, s8
.LBB222_1392:                           ;   in Loop: Header=BB222_806 Depth=1
	s_delay_alu instid0(SALU_CYCLE_1) | instskip(SKIP_2) | instid1(VALU_DEP_1)
	s_or_b32 exec_lo, exec_lo, s3
	v_lshrrev_b16 v7, 8, v6
	s_mov_b32 s3, exec_lo
	v_cmpx_ne_u16_e32 0, v7
	s_cbranch_execz .LBB222_1400
; %bb.1393:                             ;   in Loop: Header=BB222_806 Depth=1
	v_mov_b64_e32 v[48:49], 0x8000000000000000
	s_mov_b32 s8, exec_lo
	v_cmpx_ne_u16_e32 0x80, v7
	s_cbranch_execz .LBB222_1399
; %bb.1394:                             ;   in Loop: Header=BB222_806 Depth=1
	v_and_b32_e32 v7, 0xffff, v7
	v_mov_b64_e32 v[48:49], 0x7f80000100000000
	s_mov_b32 s9, exec_lo
	s_delay_alu instid0(VALU_DEP_2) | instskip(NEXT) | instid1(VALU_DEP_1)
	v_and_b32_e32 v52, 0x7f, v7
	v_cmpx_ne_u32_e32 0x7f, v52
	s_cbranch_execz .LBB222_1398
; %bb.1395:                             ;   in Loop: Header=BB222_806 Depth=1
	v_dual_lshrrev_b32 v7, 3, v52 :: v_dual_bitop2_b32 v66, 7, v7 bitop3:0x40
	s_mov_b32 s16, exec_lo
	v_cmpx_gt_u32_e32 8, v52
; %bb.1396:                             ;   in Loop: Header=BB222_806 Depth=1
	s_delay_alu instid0(VALU_DEP_2) | instskip(NEXT) | instid1(VALU_DEP_1)
	v_clz_i32_u32_e32 v7, v66
	v_min_u32_e32 v7, 32, v7
	s_delay_alu instid0(VALU_DEP_1) | instskip(NEXT) | instid1(VALU_DEP_1)
	v_subrev_nc_u32_e32 v18, 28, v7
	v_lshlrev_b64_e32 v[48:49], v18, v[66:67]
	s_delay_alu instid0(VALU_DEP_1)
	v_dual_sub_nc_u32 v7, 29, v7 :: v_dual_bitop2_b32 v66, 7, v48 bitop3:0x40
; %bb.1397:                             ;   in Loop: Header=BB222_806 Depth=1
	s_or_b32 exec_lo, exec_lo, s16
	v_dual_lshlrev_b32 v18, 16, v6 :: v_dual_mov_b32 v48, v67
	s_delay_alu instid0(VALU_DEP_2) | instskip(NEXT) | instid1(VALU_DEP_3)
	v_lshlrev_b32_e32 v19, 20, v66
	v_lshl_add_u32 v7, v7, 23, 0x3c000000
	s_delay_alu instid0(VALU_DEP_3) | instskip(NEXT) | instid1(VALU_DEP_1)
	v_and_b32_e32 v18, 0x80000000, v18
	v_or3_b32 v49, v19, v18, v7
.LBB222_1398:                           ;   in Loop: Header=BB222_806 Depth=1
	s_or_b32 exec_lo, exec_lo, s9
.LBB222_1399:                           ;   in Loop: Header=BB222_806 Depth=1
	s_delay_alu instid0(SALU_CYCLE_1)
	s_or_b32 exec_lo, exec_lo, s8
.LBB222_1400:                           ;   in Loop: Header=BB222_806 Depth=1
	s_delay_alu instid0(SALU_CYCLE_1) | instskip(SKIP_4) | instid1(VALU_DEP_3)
	s_or_b32 exec_lo, exec_lo, s3
	v_lshrrev_b32_e32 v7, 16, v6
	v_mov_b64_e32 v[52:53], 0
	v_mov_b64_e32 v[64:65], 0
	s_mov_b32 s3, exec_lo
	v_and_b32_e32 v66, 0xff, v7
	s_delay_alu instid0(VALU_DEP_1)
	v_cmpx_ne_u16_e32 0, v66
	s_cbranch_execz .LBB222_1408
; %bb.1401:                             ;   in Loop: Header=BB222_806 Depth=1
	v_mov_b64_e32 v[64:65], 0x80000000
	s_mov_b32 s8, exec_lo
	v_cmpx_ne_u16_e32 0x80, v66
	s_cbranch_execz .LBB222_1407
; %bb.1402:                             ;   in Loop: Header=BB222_806 Depth=1
	v_mov_b64_e32 v[64:65], 0x7f800001
	v_bfe_u32 v81, v6, 16, 7
	s_mov_b32 s9, exec_lo
	s_delay_alu instid0(VALU_DEP_1)
	v_cmpx_ne_u32_e32 0x7f, v81
	s_cbranch_execz .LBB222_1406
; %bb.1403:                             ;   in Loop: Header=BB222_806 Depth=1
	v_dual_lshrrev_b32 v64, 3, v81 :: v_dual_bitop2_b32 v66, 7, v7 bitop3:0x40
	s_mov_b32 s16, exec_lo
	v_cmpx_gt_u32_e32 8, v81
; %bb.1404:                             ;   in Loop: Header=BB222_806 Depth=1
	s_delay_alu instid0(VALU_DEP_2) | instskip(NEXT) | instid1(VALU_DEP_1)
	v_clz_i32_u32_e32 v18, v66
	v_min_u32_e32 v18, 32, v18
	s_delay_alu instid0(VALU_DEP_1) | instskip(NEXT) | instid1(VALU_DEP_1)
	v_subrev_nc_u32_e32 v19, 28, v18
	v_lshlrev_b64_e32 v[92:93], v19, v[66:67]
	s_delay_alu instid0(VALU_DEP_1)
	v_dual_sub_nc_u32 v64, 29, v18 :: v_dual_bitop2_b32 v66, 7, v92 bitop3:0x40
; %bb.1405:                             ;   in Loop: Header=BB222_806 Depth=1
	s_or_b32 exec_lo, exec_lo, s16
	s_delay_alu instid0(VALU_DEP_1) | instskip(NEXT) | instid1(VALU_DEP_2)
	v_dual_lshlrev_b32 v7, 24, v7 :: v_dual_lshlrev_b32 v18, 20, v66
	v_lshl_add_u32 v19, v64, 23, 0x3c000000
	s_delay_alu instid0(VALU_DEP_2) | instskip(NEXT) | instid1(VALU_DEP_1)
	v_and_b32_e32 v7, 0x80000000, v7
	v_or3_b32 v66, v18, v7, v19
	s_delay_alu instid0(VALU_DEP_1)
	v_mov_b64_e32 v[64:65], v[66:67]
.LBB222_1406:                           ;   in Loop: Header=BB222_806 Depth=1
	s_or_b32 exec_lo, exec_lo, s9
.LBB222_1407:                           ;   in Loop: Header=BB222_806 Depth=1
	s_delay_alu instid0(SALU_CYCLE_1)
	s_or_b32 exec_lo, exec_lo, s8
.LBB222_1408:                           ;   in Loop: Header=BB222_806 Depth=1
	s_delay_alu instid0(SALU_CYCLE_1) | instskip(NEXT) | instid1(SALU_CYCLE_1)
	s_or_b32 exec_lo, exec_lo, s3
	s_mov_b32 s3, exec_lo
	v_cmpx_lt_u32_e32 0xffffff, v6
	s_cbranch_execz .LBB222_1416
; %bb.1409:                             ;   in Loop: Header=BB222_806 Depth=1
	v_mov_b64_e32 v[52:53], 0x8000000000000000
	v_lshrrev_b32_e32 v7, 24, v6
	s_mov_b32 s8, exec_lo
	s_delay_alu instid0(VALU_DEP_1)
	v_cmpx_ne_u32_e32 0x80, v7
	s_cbranch_execz .LBB222_1415
; %bb.1410:                             ;   in Loop: Header=BB222_806 Depth=1
	v_mov_b64_e32 v[52:53], 0x7f80000100000000
	v_bfe_u32 v81, v6, 24, 7
	s_mov_b32 s9, exec_lo
	s_delay_alu instid0(VALU_DEP_1)
	v_cmpx_ne_u32_e32 0x7f, v81
	s_cbranch_execz .LBB222_1414
; %bb.1411:                             ;   in Loop: Header=BB222_806 Depth=1
	v_dual_lshrrev_b32 v6, 3, v81 :: v_dual_bitop2_b32 v66, 7, v7 bitop3:0x40
	s_mov_b32 s16, exec_lo
	v_cmpx_gt_u32_e32 8, v81
; %bb.1412:                             ;   in Loop: Header=BB222_806 Depth=1
	s_delay_alu instid0(VALU_DEP_2) | instskip(NEXT) | instid1(VALU_DEP_1)
	v_clz_i32_u32_e32 v6, v66
	v_min_u32_e32 v6, 32, v6
	s_delay_alu instid0(VALU_DEP_1) | instskip(NEXT) | instid1(VALU_DEP_1)
	v_subrev_nc_u32_e32 v18, 28, v6
	v_lshlrev_b64_e32 v[52:53], v18, v[66:67]
	s_delay_alu instid0(VALU_DEP_1)
	v_dual_sub_nc_u32 v6, 29, v6 :: v_dual_bitop2_b32 v66, 7, v52 bitop3:0x40
; %bb.1413:                             ;   in Loop: Header=BB222_806 Depth=1
	s_or_b32 exec_lo, exec_lo, s16
	s_delay_alu instid0(VALU_DEP_1) | instskip(NEXT) | instid1(VALU_DEP_2)
	v_dual_lshlrev_b32 v7, 24, v7 :: v_dual_lshlrev_b32 v18, 20, v66
	v_lshl_add_u32 v6, v6, 23, 0x3c000000
	v_mov_b32_e32 v52, v67
	s_delay_alu instid0(VALU_DEP_3) | instskip(NEXT) | instid1(VALU_DEP_1)
	v_and_b32_e32 v7, 0x80000000, v7
	v_or3_b32 v53, v18, v7, v6
.LBB222_1414:                           ;   in Loop: Header=BB222_806 Depth=1
	s_or_b32 exec_lo, exec_lo, s9
.LBB222_1415:                           ;   in Loop: Header=BB222_806 Depth=1
	s_delay_alu instid0(SALU_CYCLE_1)
	s_or_b32 exec_lo, exec_lo, s8
.LBB222_1416:                           ;   in Loop: Header=BB222_806 Depth=1
	s_delay_alu instid0(SALU_CYCLE_1) | instskip(SKIP_4) | instid1(VALU_DEP_3)
	s_or_b32 exec_lo, exec_lo, s3
	v_or_b32_e32 v7, v49, v51
	v_or_b32_e32 v6, v48, v50
	;; [unrolled: 1-line block ×4, first 2 shown]
	v_pk_mul_f32 v[94:95], v[22:23], v[6:7]
	s_delay_alu instid0(VALU_DEP_2)
	v_pk_mul_f32 v[92:93], v[22:23], v[48:49]
	s_and_saveexec_b32 s3, vcc_lo
	s_cbranch_execz .LBB222_1418
; %bb.1417:                             ;   in Loop: Header=BB222_806 Depth=1
	scratch_load_b64 v[6:7], off, s32 offset:192 ; 8-byte Folded Reload
	s_wait_loadcnt 0x0
	v_cmp_lt_i32_e64 s0, v17, v6
	s_delay_alu instid0(VALU_DEP_1) | instskip(SKIP_1) | instid1(VALU_DEP_1)
	v_cndmask_b32_e64 v94, 0, v94, s0
	v_cmp_lt_i32_e64 s0, v70, v6
	v_cndmask_b32_e64 v95, 0, v95, s0
	v_cmp_lt_i32_e64 s0, v80, v6
	s_delay_alu instid0(VALU_DEP_1) | instskip(SKIP_1) | instid1(VALU_DEP_1)
	v_cndmask_b32_e64 v92, 0, v92, s0
	v_cmp_lt_i32_e64 s0, v71, v6
	v_cndmask_b32_e64 v93, 0, v93, s0
.LBB222_1418:                           ;   in Loop: Header=BB222_806 Depth=1
	s_wait_xcnt 0x0
	s_or_b32 exec_lo, exec_lo, s3
	flat_load_b32 v6, v[54:55] offset:2304
	v_mov_b64_e32 v[48:49], 0
	v_mov_b64_e32 v[50:51], 0
	s_mov_b32 s3, exec_lo
	s_wait_loadcnt_dscnt 0x0
	v_and_b32_e32 v7, 0xff, v6
	s_wait_xcnt 0x0
	s_delay_alu instid0(VALU_DEP_1)
	v_cmpx_ne_u16_e32 0, v7
	s_cbranch_execz .LBB222_1426
; %bb.1419:                             ;   in Loop: Header=BB222_806 Depth=1
	v_mov_b64_e32 v[50:51], 0x80000000
	s_mov_b32 s8, exec_lo
	v_cmpx_ne_u16_e32 0x80, v7
	s_cbranch_execz .LBB222_1425
; %bb.1420:                             ;   in Loop: Header=BB222_806 Depth=1
	v_mov_b64_e32 v[50:51], 0x7f800001
	v_and_b32_e32 v52, 0x7f, v6
	s_mov_b32 s9, exec_lo
	s_delay_alu instid0(VALU_DEP_1)
	v_cmpx_ne_u32_e32 0x7f, v52
	s_cbranch_execz .LBB222_1424
; %bb.1421:                             ;   in Loop: Header=BB222_806 Depth=1
	v_dual_lshrrev_b32 v7, 3, v52 :: v_dual_bitop2_b32 v66, 7, v6 bitop3:0x40
	s_mov_b32 s16, exec_lo
	v_cmpx_gt_u32_e32 8, v52
; %bb.1422:                             ;   in Loop: Header=BB222_806 Depth=1
	s_delay_alu instid0(VALU_DEP_2) | instskip(NEXT) | instid1(VALU_DEP_1)
	v_clz_i32_u32_e32 v7, v66
	v_min_u32_e32 v7, 32, v7
	s_delay_alu instid0(VALU_DEP_1) | instskip(NEXT) | instid1(VALU_DEP_1)
	v_subrev_nc_u32_e32 v18, 28, v7
	v_lshlrev_b64_e32 v[50:51], v18, v[66:67]
	s_delay_alu instid0(VALU_DEP_1)
	v_dual_sub_nc_u32 v7, 29, v7 :: v_dual_bitop2_b32 v66, 7, v50 bitop3:0x40
; %bb.1423:                             ;   in Loop: Header=BB222_806 Depth=1
	s_or_b32 exec_lo, exec_lo, s16
	v_lshlrev_b32_e32 v18, 24, v6
	s_delay_alu instid0(VALU_DEP_2) | instskip(NEXT) | instid1(VALU_DEP_3)
	v_lshlrev_b32_e32 v19, 20, v66
	v_lshl_add_u32 v7, v7, 23, 0x3c000000
	s_delay_alu instid0(VALU_DEP_3) | instskip(NEXT) | instid1(VALU_DEP_1)
	v_and_b32_e32 v18, 0x80000000, v18
	v_or3_b32 v66, v19, v18, v7
	s_delay_alu instid0(VALU_DEP_1)
	v_mov_b64_e32 v[50:51], v[66:67]
.LBB222_1424:                           ;   in Loop: Header=BB222_806 Depth=1
	s_or_b32 exec_lo, exec_lo, s9
.LBB222_1425:                           ;   in Loop: Header=BB222_806 Depth=1
	s_delay_alu instid0(SALU_CYCLE_1)
	s_or_b32 exec_lo, exec_lo, s8
.LBB222_1426:                           ;   in Loop: Header=BB222_806 Depth=1
	s_delay_alu instid0(SALU_CYCLE_1) | instskip(SKIP_2) | instid1(VALU_DEP_1)
	s_or_b32 exec_lo, exec_lo, s3
	v_lshrrev_b16 v7, 8, v6
	s_mov_b32 s3, exec_lo
	v_cmpx_ne_u16_e32 0, v7
	s_cbranch_execz .LBB222_1434
; %bb.1427:                             ;   in Loop: Header=BB222_806 Depth=1
	v_mov_b64_e32 v[48:49], 0x8000000000000000
	s_mov_b32 s8, exec_lo
	v_cmpx_ne_u16_e32 0x80, v7
	s_cbranch_execz .LBB222_1433
; %bb.1428:                             ;   in Loop: Header=BB222_806 Depth=1
	v_and_b32_e32 v7, 0xffff, v7
	v_mov_b64_e32 v[48:49], 0x7f80000100000000
	s_mov_b32 s9, exec_lo
	s_delay_alu instid0(VALU_DEP_2) | instskip(NEXT) | instid1(VALU_DEP_1)
	v_and_b32_e32 v52, 0x7f, v7
	v_cmpx_ne_u32_e32 0x7f, v52
	s_cbranch_execz .LBB222_1432
; %bb.1429:                             ;   in Loop: Header=BB222_806 Depth=1
	v_dual_lshrrev_b32 v7, 3, v52 :: v_dual_bitop2_b32 v66, 7, v7 bitop3:0x40
	s_mov_b32 s16, exec_lo
	v_cmpx_gt_u32_e32 8, v52
; %bb.1430:                             ;   in Loop: Header=BB222_806 Depth=1
	s_delay_alu instid0(VALU_DEP_2) | instskip(NEXT) | instid1(VALU_DEP_1)
	v_clz_i32_u32_e32 v7, v66
	v_min_u32_e32 v7, 32, v7
	s_delay_alu instid0(VALU_DEP_1) | instskip(NEXT) | instid1(VALU_DEP_1)
	v_subrev_nc_u32_e32 v18, 28, v7
	v_lshlrev_b64_e32 v[48:49], v18, v[66:67]
	s_delay_alu instid0(VALU_DEP_1)
	v_dual_sub_nc_u32 v7, 29, v7 :: v_dual_bitop2_b32 v66, 7, v48 bitop3:0x40
; %bb.1431:                             ;   in Loop: Header=BB222_806 Depth=1
	s_or_b32 exec_lo, exec_lo, s16
	v_dual_lshlrev_b32 v18, 16, v6 :: v_dual_mov_b32 v48, v67
	s_delay_alu instid0(VALU_DEP_2) | instskip(NEXT) | instid1(VALU_DEP_3)
	v_lshlrev_b32_e32 v19, 20, v66
	v_lshl_add_u32 v7, v7, 23, 0x3c000000
	s_delay_alu instid0(VALU_DEP_3) | instskip(NEXT) | instid1(VALU_DEP_1)
	v_and_b32_e32 v18, 0x80000000, v18
	v_or3_b32 v49, v19, v18, v7
.LBB222_1432:                           ;   in Loop: Header=BB222_806 Depth=1
	s_or_b32 exec_lo, exec_lo, s9
.LBB222_1433:                           ;   in Loop: Header=BB222_806 Depth=1
	s_delay_alu instid0(SALU_CYCLE_1)
	s_or_b32 exec_lo, exec_lo, s8
.LBB222_1434:                           ;   in Loop: Header=BB222_806 Depth=1
	s_delay_alu instid0(SALU_CYCLE_1) | instskip(SKIP_4) | instid1(VALU_DEP_3)
	s_or_b32 exec_lo, exec_lo, s3
	v_lshrrev_b32_e32 v7, 16, v6
	v_mov_b64_e32 v[52:53], 0
	v_mov_b64_e32 v[64:65], 0
	s_mov_b32 s3, exec_lo
	v_and_b32_e32 v66, 0xff, v7
	s_delay_alu instid0(VALU_DEP_1)
	v_cmpx_ne_u16_e32 0, v66
	s_cbranch_execz .LBB222_1442
; %bb.1435:                             ;   in Loop: Header=BB222_806 Depth=1
	v_mov_b64_e32 v[64:65], 0x80000000
	s_mov_b32 s8, exec_lo
	v_cmpx_ne_u16_e32 0x80, v66
	s_cbranch_execz .LBB222_1441
; %bb.1436:                             ;   in Loop: Header=BB222_806 Depth=1
	v_mov_b64_e32 v[64:65], 0x7f800001
	v_bfe_u32 v81, v6, 16, 7
	s_mov_b32 s9, exec_lo
	s_delay_alu instid0(VALU_DEP_1)
	v_cmpx_ne_u32_e32 0x7f, v81
	s_cbranch_execz .LBB222_1440
; %bb.1437:                             ;   in Loop: Header=BB222_806 Depth=1
	v_dual_lshrrev_b32 v64, 3, v81 :: v_dual_bitop2_b32 v66, 7, v7 bitop3:0x40
	s_mov_b32 s16, exec_lo
	v_cmpx_gt_u32_e32 8, v81
; %bb.1438:                             ;   in Loop: Header=BB222_806 Depth=1
	s_delay_alu instid0(VALU_DEP_2) | instskip(NEXT) | instid1(VALU_DEP_1)
	v_clz_i32_u32_e32 v18, v66
	v_min_u32_e32 v18, 32, v18
	s_delay_alu instid0(VALU_DEP_1) | instskip(NEXT) | instid1(VALU_DEP_1)
	v_subrev_nc_u32_e32 v19, 28, v18
	v_lshlrev_b64_e32 v[104:105], v19, v[66:67]
	s_delay_alu instid0(VALU_DEP_1)
	v_dual_sub_nc_u32 v64, 29, v18 :: v_dual_bitop2_b32 v66, 7, v104 bitop3:0x40
; %bb.1439:                             ;   in Loop: Header=BB222_806 Depth=1
	s_or_b32 exec_lo, exec_lo, s16
	s_delay_alu instid0(VALU_DEP_1) | instskip(NEXT) | instid1(VALU_DEP_2)
	v_dual_lshlrev_b32 v7, 24, v7 :: v_dual_lshlrev_b32 v18, 20, v66
	v_lshl_add_u32 v19, v64, 23, 0x3c000000
	s_delay_alu instid0(VALU_DEP_2) | instskip(NEXT) | instid1(VALU_DEP_1)
	v_and_b32_e32 v7, 0x80000000, v7
	v_or3_b32 v66, v18, v7, v19
	s_delay_alu instid0(VALU_DEP_1)
	v_mov_b64_e32 v[64:65], v[66:67]
.LBB222_1440:                           ;   in Loop: Header=BB222_806 Depth=1
	s_or_b32 exec_lo, exec_lo, s9
.LBB222_1441:                           ;   in Loop: Header=BB222_806 Depth=1
	s_delay_alu instid0(SALU_CYCLE_1)
	s_or_b32 exec_lo, exec_lo, s8
.LBB222_1442:                           ;   in Loop: Header=BB222_806 Depth=1
	s_delay_alu instid0(SALU_CYCLE_1) | instskip(NEXT) | instid1(SALU_CYCLE_1)
	s_or_b32 exec_lo, exec_lo, s3
	s_mov_b32 s3, exec_lo
	v_cmpx_lt_u32_e32 0xffffff, v6
	s_cbranch_execz .LBB222_1450
; %bb.1443:                             ;   in Loop: Header=BB222_806 Depth=1
	v_mov_b64_e32 v[52:53], 0x8000000000000000
	v_lshrrev_b32_e32 v7, 24, v6
	s_mov_b32 s8, exec_lo
	s_delay_alu instid0(VALU_DEP_1)
	v_cmpx_ne_u32_e32 0x80, v7
	s_cbranch_execz .LBB222_1449
; %bb.1444:                             ;   in Loop: Header=BB222_806 Depth=1
	v_mov_b64_e32 v[52:53], 0x7f80000100000000
	v_bfe_u32 v81, v6, 24, 7
	s_mov_b32 s9, exec_lo
	s_delay_alu instid0(VALU_DEP_1)
	v_cmpx_ne_u32_e32 0x7f, v81
	s_cbranch_execz .LBB222_1448
; %bb.1445:                             ;   in Loop: Header=BB222_806 Depth=1
	v_dual_lshrrev_b32 v6, 3, v81 :: v_dual_bitop2_b32 v66, 7, v7 bitop3:0x40
	s_mov_b32 s16, exec_lo
	v_cmpx_gt_u32_e32 8, v81
; %bb.1446:                             ;   in Loop: Header=BB222_806 Depth=1
	s_delay_alu instid0(VALU_DEP_2) | instskip(NEXT) | instid1(VALU_DEP_1)
	v_clz_i32_u32_e32 v6, v66
	v_min_u32_e32 v6, 32, v6
	s_delay_alu instid0(VALU_DEP_1) | instskip(NEXT) | instid1(VALU_DEP_1)
	v_subrev_nc_u32_e32 v18, 28, v6
	v_lshlrev_b64_e32 v[52:53], v18, v[66:67]
	s_delay_alu instid0(VALU_DEP_1)
	v_dual_sub_nc_u32 v6, 29, v6 :: v_dual_bitop2_b32 v66, 7, v52 bitop3:0x40
; %bb.1447:                             ;   in Loop: Header=BB222_806 Depth=1
	s_or_b32 exec_lo, exec_lo, s16
	s_delay_alu instid0(VALU_DEP_1) | instskip(NEXT) | instid1(VALU_DEP_2)
	v_dual_lshlrev_b32 v7, 24, v7 :: v_dual_lshlrev_b32 v18, 20, v66
	v_lshl_add_u32 v6, v6, 23, 0x3c000000
	v_mov_b32_e32 v52, v67
	s_delay_alu instid0(VALU_DEP_3) | instskip(NEXT) | instid1(VALU_DEP_1)
	v_and_b32_e32 v7, 0x80000000, v7
	v_or3_b32 v53, v18, v7, v6
.LBB222_1448:                           ;   in Loop: Header=BB222_806 Depth=1
	s_or_b32 exec_lo, exec_lo, s9
.LBB222_1449:                           ;   in Loop: Header=BB222_806 Depth=1
	s_delay_alu instid0(SALU_CYCLE_1)
	s_or_b32 exec_lo, exec_lo, s8
.LBB222_1450:                           ;   in Loop: Header=BB222_806 Depth=1
	s_delay_alu instid0(SALU_CYCLE_1) | instskip(SKIP_4) | instid1(VALU_DEP_3)
	s_or_b32 exec_lo, exec_lo, s3
	v_or_b32_e32 v7, v49, v51
	v_or_b32_e32 v6, v48, v50
	v_or_b32_e32 v49, v53, v65
	v_or_b32_e32 v48, v52, v64
	v_pk_mul_f32 v[106:107], v[22:23], v[6:7]
	s_delay_alu instid0(VALU_DEP_2)
	v_pk_mul_f32 v[104:105], v[22:23], v[48:49]
	s_and_saveexec_b32 s3, vcc_lo
	s_cbranch_execz .LBB222_1452
; %bb.1451:                             ;   in Loop: Header=BB222_806 Depth=1
	scratch_load_b64 v[6:7], off, s32 offset:192 ; 8-byte Folded Reload
	s_wait_loadcnt 0x0
	v_cmp_lt_i32_e64 s0, v17, v6
	s_delay_alu instid0(VALU_DEP_1) | instskip(SKIP_1) | instid1(VALU_DEP_1)
	v_cndmask_b32_e64 v106, 0, v106, s0
	v_cmp_lt_i32_e64 s0, v70, v6
	v_cndmask_b32_e64 v107, 0, v107, s0
	v_cmp_lt_i32_e64 s0, v80, v6
	s_delay_alu instid0(VALU_DEP_1) | instskip(SKIP_1) | instid1(VALU_DEP_1)
	v_cndmask_b32_e64 v104, 0, v104, s0
	v_cmp_lt_i32_e64 s0, v71, v6
	v_cndmask_b32_e64 v105, 0, v105, s0
.LBB222_1452:                           ;   in Loop: Header=BB222_806 Depth=1
	s_wait_xcnt 0x0
	s_or_b32 exec_lo, exec_lo, s3
	flat_load_b32 v6, v[54:55] offset:2432
	v_mov_b64_e32 v[48:49], 0
	v_mov_b64_e32 v[50:51], 0
	s_mov_b32 s3, exec_lo
	s_wait_loadcnt_dscnt 0x0
	v_and_b32_e32 v7, 0xff, v6
	s_wait_xcnt 0x0
	s_delay_alu instid0(VALU_DEP_1)
	v_cmpx_ne_u16_e32 0, v7
	s_cbranch_execz .LBB222_1460
; %bb.1453:                             ;   in Loop: Header=BB222_806 Depth=1
	v_mov_b64_e32 v[50:51], 0x80000000
	s_mov_b32 s8, exec_lo
	v_cmpx_ne_u16_e32 0x80, v7
	s_cbranch_execz .LBB222_1459
; %bb.1454:                             ;   in Loop: Header=BB222_806 Depth=1
	v_mov_b64_e32 v[50:51], 0x7f800001
	v_and_b32_e32 v52, 0x7f, v6
	s_mov_b32 s9, exec_lo
	s_delay_alu instid0(VALU_DEP_1)
	v_cmpx_ne_u32_e32 0x7f, v52
	s_cbranch_execz .LBB222_1458
; %bb.1455:                             ;   in Loop: Header=BB222_806 Depth=1
	v_dual_lshrrev_b32 v7, 3, v52 :: v_dual_bitop2_b32 v66, 7, v6 bitop3:0x40
	s_mov_b32 s16, exec_lo
	v_cmpx_gt_u32_e32 8, v52
; %bb.1456:                             ;   in Loop: Header=BB222_806 Depth=1
	s_delay_alu instid0(VALU_DEP_2) | instskip(NEXT) | instid1(VALU_DEP_1)
	v_clz_i32_u32_e32 v7, v66
	v_min_u32_e32 v7, 32, v7
	s_delay_alu instid0(VALU_DEP_1) | instskip(NEXT) | instid1(VALU_DEP_1)
	v_subrev_nc_u32_e32 v18, 28, v7
	v_lshlrev_b64_e32 v[50:51], v18, v[66:67]
	s_delay_alu instid0(VALU_DEP_1)
	v_dual_sub_nc_u32 v7, 29, v7 :: v_dual_bitop2_b32 v66, 7, v50 bitop3:0x40
; %bb.1457:                             ;   in Loop: Header=BB222_806 Depth=1
	s_or_b32 exec_lo, exec_lo, s16
	v_lshlrev_b32_e32 v18, 24, v6
	s_delay_alu instid0(VALU_DEP_2) | instskip(NEXT) | instid1(VALU_DEP_3)
	v_lshlrev_b32_e32 v19, 20, v66
	v_lshl_add_u32 v7, v7, 23, 0x3c000000
	s_delay_alu instid0(VALU_DEP_3) | instskip(NEXT) | instid1(VALU_DEP_1)
	v_and_b32_e32 v18, 0x80000000, v18
	v_or3_b32 v66, v19, v18, v7
	s_delay_alu instid0(VALU_DEP_1)
	v_mov_b64_e32 v[50:51], v[66:67]
.LBB222_1458:                           ;   in Loop: Header=BB222_806 Depth=1
	s_or_b32 exec_lo, exec_lo, s9
.LBB222_1459:                           ;   in Loop: Header=BB222_806 Depth=1
	s_delay_alu instid0(SALU_CYCLE_1)
	s_or_b32 exec_lo, exec_lo, s8
.LBB222_1460:                           ;   in Loop: Header=BB222_806 Depth=1
	s_delay_alu instid0(SALU_CYCLE_1) | instskip(SKIP_2) | instid1(VALU_DEP_1)
	s_or_b32 exec_lo, exec_lo, s3
	v_lshrrev_b16 v7, 8, v6
	s_mov_b32 s3, exec_lo
	v_cmpx_ne_u16_e32 0, v7
	s_cbranch_execz .LBB222_1468
; %bb.1461:                             ;   in Loop: Header=BB222_806 Depth=1
	v_mov_b64_e32 v[48:49], 0x8000000000000000
	s_mov_b32 s8, exec_lo
	v_cmpx_ne_u16_e32 0x80, v7
	s_cbranch_execz .LBB222_1467
; %bb.1462:                             ;   in Loop: Header=BB222_806 Depth=1
	v_and_b32_e32 v7, 0xffff, v7
	v_mov_b64_e32 v[48:49], 0x7f80000100000000
	s_mov_b32 s9, exec_lo
	s_delay_alu instid0(VALU_DEP_2) | instskip(NEXT) | instid1(VALU_DEP_1)
	v_and_b32_e32 v52, 0x7f, v7
	v_cmpx_ne_u32_e32 0x7f, v52
	s_cbranch_execz .LBB222_1466
; %bb.1463:                             ;   in Loop: Header=BB222_806 Depth=1
	v_dual_lshrrev_b32 v7, 3, v52 :: v_dual_bitop2_b32 v66, 7, v7 bitop3:0x40
	s_mov_b32 s16, exec_lo
	v_cmpx_gt_u32_e32 8, v52
; %bb.1464:                             ;   in Loop: Header=BB222_806 Depth=1
	s_delay_alu instid0(VALU_DEP_2) | instskip(NEXT) | instid1(VALU_DEP_1)
	v_clz_i32_u32_e32 v7, v66
	v_min_u32_e32 v7, 32, v7
	s_delay_alu instid0(VALU_DEP_1) | instskip(NEXT) | instid1(VALU_DEP_1)
	v_subrev_nc_u32_e32 v18, 28, v7
	v_lshlrev_b64_e32 v[48:49], v18, v[66:67]
	s_delay_alu instid0(VALU_DEP_1)
	v_dual_sub_nc_u32 v7, 29, v7 :: v_dual_bitop2_b32 v66, 7, v48 bitop3:0x40
; %bb.1465:                             ;   in Loop: Header=BB222_806 Depth=1
	s_or_b32 exec_lo, exec_lo, s16
	v_dual_lshlrev_b32 v18, 16, v6 :: v_dual_mov_b32 v48, v67
	s_delay_alu instid0(VALU_DEP_2) | instskip(NEXT) | instid1(VALU_DEP_3)
	v_lshlrev_b32_e32 v19, 20, v66
	v_lshl_add_u32 v7, v7, 23, 0x3c000000
	s_delay_alu instid0(VALU_DEP_3) | instskip(NEXT) | instid1(VALU_DEP_1)
	v_and_b32_e32 v18, 0x80000000, v18
	v_or3_b32 v49, v19, v18, v7
.LBB222_1466:                           ;   in Loop: Header=BB222_806 Depth=1
	s_or_b32 exec_lo, exec_lo, s9
.LBB222_1467:                           ;   in Loop: Header=BB222_806 Depth=1
	s_delay_alu instid0(SALU_CYCLE_1)
	s_or_b32 exec_lo, exec_lo, s8
.LBB222_1468:                           ;   in Loop: Header=BB222_806 Depth=1
	s_delay_alu instid0(SALU_CYCLE_1) | instskip(SKIP_4) | instid1(VALU_DEP_3)
	s_or_b32 exec_lo, exec_lo, s3
	v_lshrrev_b32_e32 v7, 16, v6
	v_mov_b64_e32 v[52:53], 0
	v_mov_b64_e32 v[64:65], 0
	s_mov_b32 s3, exec_lo
	v_and_b32_e32 v66, 0xff, v7
	s_delay_alu instid0(VALU_DEP_1)
	v_cmpx_ne_u16_e32 0, v66
	s_cbranch_execz .LBB222_1476
; %bb.1469:                             ;   in Loop: Header=BB222_806 Depth=1
	v_mov_b64_e32 v[64:65], 0x80000000
	s_mov_b32 s8, exec_lo
	v_cmpx_ne_u16_e32 0x80, v66
	s_cbranch_execz .LBB222_1475
; %bb.1470:                             ;   in Loop: Header=BB222_806 Depth=1
	v_mov_b64_e32 v[64:65], 0x7f800001
	v_bfe_u32 v81, v6, 16, 7
	s_mov_b32 s9, exec_lo
	s_delay_alu instid0(VALU_DEP_1)
	v_cmpx_ne_u32_e32 0x7f, v81
	s_cbranch_execz .LBB222_1474
; %bb.1471:                             ;   in Loop: Header=BB222_806 Depth=1
	v_dual_lshrrev_b32 v64, 3, v81 :: v_dual_bitop2_b32 v66, 7, v7 bitop3:0x40
	s_mov_b32 s16, exec_lo
	v_cmpx_gt_u32_e32 8, v81
; %bb.1472:                             ;   in Loop: Header=BB222_806 Depth=1
	s_delay_alu instid0(VALU_DEP_2) | instskip(NEXT) | instid1(VALU_DEP_1)
	v_clz_i32_u32_e32 v18, v66
	v_min_u32_e32 v18, 32, v18
	s_delay_alu instid0(VALU_DEP_1) | instskip(NEXT) | instid1(VALU_DEP_1)
	v_subrev_nc_u32_e32 v19, 28, v18
	v_lshlrev_b64_e32 v[108:109], v19, v[66:67]
	s_delay_alu instid0(VALU_DEP_1)
	v_dual_sub_nc_u32 v64, 29, v18 :: v_dual_bitop2_b32 v66, 7, v108 bitop3:0x40
; %bb.1473:                             ;   in Loop: Header=BB222_806 Depth=1
	s_or_b32 exec_lo, exec_lo, s16
	s_delay_alu instid0(VALU_DEP_1) | instskip(NEXT) | instid1(VALU_DEP_2)
	v_dual_lshlrev_b32 v7, 24, v7 :: v_dual_lshlrev_b32 v18, 20, v66
	v_lshl_add_u32 v19, v64, 23, 0x3c000000
	s_delay_alu instid0(VALU_DEP_2) | instskip(NEXT) | instid1(VALU_DEP_1)
	v_and_b32_e32 v7, 0x80000000, v7
	v_or3_b32 v66, v18, v7, v19
	s_delay_alu instid0(VALU_DEP_1)
	v_mov_b64_e32 v[64:65], v[66:67]
.LBB222_1474:                           ;   in Loop: Header=BB222_806 Depth=1
	s_or_b32 exec_lo, exec_lo, s9
.LBB222_1475:                           ;   in Loop: Header=BB222_806 Depth=1
	s_delay_alu instid0(SALU_CYCLE_1)
	s_or_b32 exec_lo, exec_lo, s8
.LBB222_1476:                           ;   in Loop: Header=BB222_806 Depth=1
	s_delay_alu instid0(SALU_CYCLE_1) | instskip(NEXT) | instid1(SALU_CYCLE_1)
	s_or_b32 exec_lo, exec_lo, s3
	s_mov_b32 s3, exec_lo
	v_cmpx_lt_u32_e32 0xffffff, v6
	s_cbranch_execz .LBB222_1484
; %bb.1477:                             ;   in Loop: Header=BB222_806 Depth=1
	v_mov_b64_e32 v[52:53], 0x8000000000000000
	v_lshrrev_b32_e32 v7, 24, v6
	s_mov_b32 s8, exec_lo
	s_delay_alu instid0(VALU_DEP_1)
	v_cmpx_ne_u32_e32 0x80, v7
	s_cbranch_execz .LBB222_1483
; %bb.1478:                             ;   in Loop: Header=BB222_806 Depth=1
	v_mov_b64_e32 v[52:53], 0x7f80000100000000
	v_bfe_u32 v81, v6, 24, 7
	s_mov_b32 s9, exec_lo
	s_delay_alu instid0(VALU_DEP_1)
	v_cmpx_ne_u32_e32 0x7f, v81
	s_cbranch_execz .LBB222_1482
; %bb.1479:                             ;   in Loop: Header=BB222_806 Depth=1
	v_dual_lshrrev_b32 v6, 3, v81 :: v_dual_bitop2_b32 v66, 7, v7 bitop3:0x40
	s_mov_b32 s16, exec_lo
	v_cmpx_gt_u32_e32 8, v81
; %bb.1480:                             ;   in Loop: Header=BB222_806 Depth=1
	s_delay_alu instid0(VALU_DEP_2) | instskip(NEXT) | instid1(VALU_DEP_1)
	v_clz_i32_u32_e32 v6, v66
	v_min_u32_e32 v6, 32, v6
	s_delay_alu instid0(VALU_DEP_1) | instskip(NEXT) | instid1(VALU_DEP_1)
	v_subrev_nc_u32_e32 v18, 28, v6
	v_lshlrev_b64_e32 v[52:53], v18, v[66:67]
	s_delay_alu instid0(VALU_DEP_1)
	v_dual_sub_nc_u32 v6, 29, v6 :: v_dual_bitop2_b32 v66, 7, v52 bitop3:0x40
; %bb.1481:                             ;   in Loop: Header=BB222_806 Depth=1
	s_or_b32 exec_lo, exec_lo, s16
	s_delay_alu instid0(VALU_DEP_1) | instskip(NEXT) | instid1(VALU_DEP_2)
	v_dual_lshlrev_b32 v7, 24, v7 :: v_dual_lshlrev_b32 v18, 20, v66
	v_lshl_add_u32 v6, v6, 23, 0x3c000000
	v_mov_b32_e32 v52, v67
	s_delay_alu instid0(VALU_DEP_3) | instskip(NEXT) | instid1(VALU_DEP_1)
	v_and_b32_e32 v7, 0x80000000, v7
	v_or3_b32 v53, v18, v7, v6
.LBB222_1482:                           ;   in Loop: Header=BB222_806 Depth=1
	s_or_b32 exec_lo, exec_lo, s9
.LBB222_1483:                           ;   in Loop: Header=BB222_806 Depth=1
	s_delay_alu instid0(SALU_CYCLE_1)
	s_or_b32 exec_lo, exec_lo, s8
.LBB222_1484:                           ;   in Loop: Header=BB222_806 Depth=1
	s_delay_alu instid0(SALU_CYCLE_1) | instskip(SKIP_4) | instid1(VALU_DEP_3)
	s_or_b32 exec_lo, exec_lo, s3
	v_or_b32_e32 v7, v49, v51
	v_or_b32_e32 v6, v48, v50
	;; [unrolled: 1-line block ×4, first 2 shown]
	v_pk_mul_f32 v[110:111], v[22:23], v[6:7]
	s_delay_alu instid0(VALU_DEP_2)
	v_pk_mul_f32 v[108:109], v[22:23], v[48:49]
	s_and_saveexec_b32 s3, vcc_lo
	s_cbranch_execz .LBB222_1486
; %bb.1485:                             ;   in Loop: Header=BB222_806 Depth=1
	scratch_load_b64 v[6:7], off, s32 offset:192 ; 8-byte Folded Reload
	s_wait_loadcnt 0x0
	v_cmp_lt_i32_e64 s0, v17, v6
	s_delay_alu instid0(VALU_DEP_1) | instskip(SKIP_1) | instid1(VALU_DEP_1)
	v_cndmask_b32_e64 v110, 0, v110, s0
	v_cmp_lt_i32_e64 s0, v70, v6
	v_cndmask_b32_e64 v111, 0, v111, s0
	v_cmp_lt_i32_e64 s0, v80, v6
	s_delay_alu instid0(VALU_DEP_1) | instskip(SKIP_1) | instid1(VALU_DEP_1)
	v_cndmask_b32_e64 v108, 0, v108, s0
	v_cmp_lt_i32_e64 s0, v71, v6
	v_cndmask_b32_e64 v109, 0, v109, s0
.LBB222_1486:                           ;   in Loop: Header=BB222_806 Depth=1
	s_wait_xcnt 0x0
	s_or_b32 exec_lo, exec_lo, s3
	flat_load_b32 v6, v[54:55] offset:2560
	v_mov_b64_e32 v[48:49], 0
	v_mov_b64_e32 v[50:51], 0
	s_mov_b32 s3, exec_lo
	s_wait_loadcnt_dscnt 0x0
	v_and_b32_e32 v7, 0xff, v6
	s_wait_xcnt 0x0
	s_delay_alu instid0(VALU_DEP_1)
	v_cmpx_ne_u16_e32 0, v7
	s_cbranch_execz .LBB222_1494
; %bb.1487:                             ;   in Loop: Header=BB222_806 Depth=1
	v_mov_b64_e32 v[50:51], 0x80000000
	s_mov_b32 s8, exec_lo
	v_cmpx_ne_u16_e32 0x80, v7
	s_cbranch_execz .LBB222_1493
; %bb.1488:                             ;   in Loop: Header=BB222_806 Depth=1
	v_mov_b64_e32 v[50:51], 0x7f800001
	v_and_b32_e32 v52, 0x7f, v6
	s_mov_b32 s9, exec_lo
	s_delay_alu instid0(VALU_DEP_1)
	v_cmpx_ne_u32_e32 0x7f, v52
	s_cbranch_execz .LBB222_1492
; %bb.1489:                             ;   in Loop: Header=BB222_806 Depth=1
	v_dual_lshrrev_b32 v7, 3, v52 :: v_dual_bitop2_b32 v66, 7, v6 bitop3:0x40
	s_mov_b32 s16, exec_lo
	v_cmpx_gt_u32_e32 8, v52
; %bb.1490:                             ;   in Loop: Header=BB222_806 Depth=1
	s_delay_alu instid0(VALU_DEP_2) | instskip(NEXT) | instid1(VALU_DEP_1)
	v_clz_i32_u32_e32 v7, v66
	v_min_u32_e32 v7, 32, v7
	s_delay_alu instid0(VALU_DEP_1) | instskip(NEXT) | instid1(VALU_DEP_1)
	v_subrev_nc_u32_e32 v18, 28, v7
	v_lshlrev_b64_e32 v[50:51], v18, v[66:67]
	s_delay_alu instid0(VALU_DEP_1)
	v_dual_sub_nc_u32 v7, 29, v7 :: v_dual_bitop2_b32 v66, 7, v50 bitop3:0x40
; %bb.1491:                             ;   in Loop: Header=BB222_806 Depth=1
	s_or_b32 exec_lo, exec_lo, s16
	v_lshlrev_b32_e32 v18, 24, v6
	s_delay_alu instid0(VALU_DEP_2) | instskip(NEXT) | instid1(VALU_DEP_3)
	v_lshlrev_b32_e32 v19, 20, v66
	v_lshl_add_u32 v7, v7, 23, 0x3c000000
	s_delay_alu instid0(VALU_DEP_3) | instskip(NEXT) | instid1(VALU_DEP_1)
	v_and_b32_e32 v18, 0x80000000, v18
	v_or3_b32 v66, v19, v18, v7
	s_delay_alu instid0(VALU_DEP_1)
	v_mov_b64_e32 v[50:51], v[66:67]
.LBB222_1492:                           ;   in Loop: Header=BB222_806 Depth=1
	s_or_b32 exec_lo, exec_lo, s9
.LBB222_1493:                           ;   in Loop: Header=BB222_806 Depth=1
	s_delay_alu instid0(SALU_CYCLE_1)
	s_or_b32 exec_lo, exec_lo, s8
.LBB222_1494:                           ;   in Loop: Header=BB222_806 Depth=1
	s_delay_alu instid0(SALU_CYCLE_1) | instskip(SKIP_2) | instid1(VALU_DEP_1)
	s_or_b32 exec_lo, exec_lo, s3
	v_lshrrev_b16 v7, 8, v6
	s_mov_b32 s3, exec_lo
	v_cmpx_ne_u16_e32 0, v7
	s_cbranch_execz .LBB222_1502
; %bb.1495:                             ;   in Loop: Header=BB222_806 Depth=1
	v_mov_b64_e32 v[48:49], 0x8000000000000000
	s_mov_b32 s8, exec_lo
	v_cmpx_ne_u16_e32 0x80, v7
	s_cbranch_execz .LBB222_1501
; %bb.1496:                             ;   in Loop: Header=BB222_806 Depth=1
	v_and_b32_e32 v7, 0xffff, v7
	v_mov_b64_e32 v[48:49], 0x7f80000100000000
	s_mov_b32 s9, exec_lo
	s_delay_alu instid0(VALU_DEP_2) | instskip(NEXT) | instid1(VALU_DEP_1)
	v_and_b32_e32 v52, 0x7f, v7
	v_cmpx_ne_u32_e32 0x7f, v52
	s_cbranch_execz .LBB222_1500
; %bb.1497:                             ;   in Loop: Header=BB222_806 Depth=1
	v_dual_lshrrev_b32 v7, 3, v52 :: v_dual_bitop2_b32 v66, 7, v7 bitop3:0x40
	s_mov_b32 s16, exec_lo
	v_cmpx_gt_u32_e32 8, v52
; %bb.1498:                             ;   in Loop: Header=BB222_806 Depth=1
	s_delay_alu instid0(VALU_DEP_2) | instskip(NEXT) | instid1(VALU_DEP_1)
	v_clz_i32_u32_e32 v7, v66
	v_min_u32_e32 v7, 32, v7
	s_delay_alu instid0(VALU_DEP_1) | instskip(NEXT) | instid1(VALU_DEP_1)
	v_subrev_nc_u32_e32 v18, 28, v7
	v_lshlrev_b64_e32 v[48:49], v18, v[66:67]
	s_delay_alu instid0(VALU_DEP_1)
	v_dual_sub_nc_u32 v7, 29, v7 :: v_dual_bitop2_b32 v66, 7, v48 bitop3:0x40
; %bb.1499:                             ;   in Loop: Header=BB222_806 Depth=1
	s_or_b32 exec_lo, exec_lo, s16
	v_dual_lshlrev_b32 v18, 16, v6 :: v_dual_mov_b32 v48, v67
	s_delay_alu instid0(VALU_DEP_2) | instskip(NEXT) | instid1(VALU_DEP_3)
	v_lshlrev_b32_e32 v19, 20, v66
	v_lshl_add_u32 v7, v7, 23, 0x3c000000
	s_delay_alu instid0(VALU_DEP_3) | instskip(NEXT) | instid1(VALU_DEP_1)
	v_and_b32_e32 v18, 0x80000000, v18
	v_or3_b32 v49, v19, v18, v7
.LBB222_1500:                           ;   in Loop: Header=BB222_806 Depth=1
	s_or_b32 exec_lo, exec_lo, s9
.LBB222_1501:                           ;   in Loop: Header=BB222_806 Depth=1
	s_delay_alu instid0(SALU_CYCLE_1)
	s_or_b32 exec_lo, exec_lo, s8
.LBB222_1502:                           ;   in Loop: Header=BB222_806 Depth=1
	s_delay_alu instid0(SALU_CYCLE_1) | instskip(SKIP_4) | instid1(VALU_DEP_3)
	s_or_b32 exec_lo, exec_lo, s3
	v_lshrrev_b32_e32 v7, 16, v6
	v_mov_b64_e32 v[52:53], 0
	v_mov_b64_e32 v[64:65], 0
	s_mov_b32 s3, exec_lo
	v_and_b32_e32 v66, 0xff, v7
	s_delay_alu instid0(VALU_DEP_1)
	v_cmpx_ne_u16_e32 0, v66
	s_cbranch_execz .LBB222_1510
; %bb.1503:                             ;   in Loop: Header=BB222_806 Depth=1
	v_mov_b64_e32 v[64:65], 0x80000000
	s_mov_b32 s8, exec_lo
	v_cmpx_ne_u16_e32 0x80, v66
	s_cbranch_execz .LBB222_1509
; %bb.1504:                             ;   in Loop: Header=BB222_806 Depth=1
	v_mov_b64_e32 v[64:65], 0x7f800001
	v_bfe_u32 v81, v6, 16, 7
	s_mov_b32 s9, exec_lo
	s_delay_alu instid0(VALU_DEP_1)
	v_cmpx_ne_u32_e32 0x7f, v81
	s_cbranch_execz .LBB222_1508
; %bb.1505:                             ;   in Loop: Header=BB222_806 Depth=1
	v_dual_lshrrev_b32 v64, 3, v81 :: v_dual_bitop2_b32 v66, 7, v7 bitop3:0x40
	s_mov_b32 s16, exec_lo
	v_cmpx_gt_u32_e32 8, v81
; %bb.1506:                             ;   in Loop: Header=BB222_806 Depth=1
	s_delay_alu instid0(VALU_DEP_2) | instskip(NEXT) | instid1(VALU_DEP_1)
	v_clz_i32_u32_e32 v18, v66
	v_min_u32_e32 v18, 32, v18
	s_delay_alu instid0(VALU_DEP_1) | instskip(NEXT) | instid1(VALU_DEP_1)
	v_subrev_nc_u32_e32 v19, 28, v18
	v_lshlrev_b64_e32 v[120:121], v19, v[66:67]
	s_delay_alu instid0(VALU_DEP_1)
	v_dual_sub_nc_u32 v64, 29, v18 :: v_dual_bitop2_b32 v66, 7, v120 bitop3:0x40
; %bb.1507:                             ;   in Loop: Header=BB222_806 Depth=1
	s_or_b32 exec_lo, exec_lo, s16
	s_delay_alu instid0(VALU_DEP_1) | instskip(NEXT) | instid1(VALU_DEP_2)
	v_dual_lshlrev_b32 v7, 24, v7 :: v_dual_lshlrev_b32 v18, 20, v66
	v_lshl_add_u32 v19, v64, 23, 0x3c000000
	s_delay_alu instid0(VALU_DEP_2) | instskip(NEXT) | instid1(VALU_DEP_1)
	v_and_b32_e32 v7, 0x80000000, v7
	v_or3_b32 v66, v18, v7, v19
	s_delay_alu instid0(VALU_DEP_1)
	v_mov_b64_e32 v[64:65], v[66:67]
.LBB222_1508:                           ;   in Loop: Header=BB222_806 Depth=1
	s_or_b32 exec_lo, exec_lo, s9
.LBB222_1509:                           ;   in Loop: Header=BB222_806 Depth=1
	s_delay_alu instid0(SALU_CYCLE_1)
	s_or_b32 exec_lo, exec_lo, s8
.LBB222_1510:                           ;   in Loop: Header=BB222_806 Depth=1
	s_delay_alu instid0(SALU_CYCLE_1) | instskip(NEXT) | instid1(SALU_CYCLE_1)
	s_or_b32 exec_lo, exec_lo, s3
	s_mov_b32 s3, exec_lo
	v_cmpx_lt_u32_e32 0xffffff, v6
	s_cbranch_execz .LBB222_1518
; %bb.1511:                             ;   in Loop: Header=BB222_806 Depth=1
	v_mov_b64_e32 v[52:53], 0x8000000000000000
	v_lshrrev_b32_e32 v7, 24, v6
	s_mov_b32 s8, exec_lo
	s_delay_alu instid0(VALU_DEP_1)
	v_cmpx_ne_u32_e32 0x80, v7
	s_cbranch_execz .LBB222_1517
; %bb.1512:                             ;   in Loop: Header=BB222_806 Depth=1
	v_mov_b64_e32 v[52:53], 0x7f80000100000000
	v_bfe_u32 v81, v6, 24, 7
	s_mov_b32 s9, exec_lo
	s_delay_alu instid0(VALU_DEP_1)
	v_cmpx_ne_u32_e32 0x7f, v81
	s_cbranch_execz .LBB222_1516
; %bb.1513:                             ;   in Loop: Header=BB222_806 Depth=1
	v_dual_lshrrev_b32 v6, 3, v81 :: v_dual_bitop2_b32 v66, 7, v7 bitop3:0x40
	s_mov_b32 s16, exec_lo
	v_cmpx_gt_u32_e32 8, v81
; %bb.1514:                             ;   in Loop: Header=BB222_806 Depth=1
	s_delay_alu instid0(VALU_DEP_2) | instskip(NEXT) | instid1(VALU_DEP_1)
	v_clz_i32_u32_e32 v6, v66
	v_min_u32_e32 v6, 32, v6
	s_delay_alu instid0(VALU_DEP_1) | instskip(NEXT) | instid1(VALU_DEP_1)
	v_subrev_nc_u32_e32 v18, 28, v6
	v_lshlrev_b64_e32 v[52:53], v18, v[66:67]
	s_delay_alu instid0(VALU_DEP_1)
	v_dual_sub_nc_u32 v6, 29, v6 :: v_dual_bitop2_b32 v66, 7, v52 bitop3:0x40
; %bb.1515:                             ;   in Loop: Header=BB222_806 Depth=1
	s_or_b32 exec_lo, exec_lo, s16
	s_delay_alu instid0(VALU_DEP_1) | instskip(NEXT) | instid1(VALU_DEP_2)
	v_dual_lshlrev_b32 v7, 24, v7 :: v_dual_lshlrev_b32 v18, 20, v66
	v_lshl_add_u32 v6, v6, 23, 0x3c000000
	v_mov_b32_e32 v52, v67
	s_delay_alu instid0(VALU_DEP_3) | instskip(NEXT) | instid1(VALU_DEP_1)
	v_and_b32_e32 v7, 0x80000000, v7
	v_or3_b32 v53, v18, v7, v6
.LBB222_1516:                           ;   in Loop: Header=BB222_806 Depth=1
	s_or_b32 exec_lo, exec_lo, s9
.LBB222_1517:                           ;   in Loop: Header=BB222_806 Depth=1
	s_delay_alu instid0(SALU_CYCLE_1)
	s_or_b32 exec_lo, exec_lo, s8
.LBB222_1518:                           ;   in Loop: Header=BB222_806 Depth=1
	s_delay_alu instid0(SALU_CYCLE_1) | instskip(SKIP_4) | instid1(VALU_DEP_3)
	s_or_b32 exec_lo, exec_lo, s3
	v_or_b32_e32 v7, v49, v51
	v_or_b32_e32 v6, v48, v50
	;; [unrolled: 1-line block ×4, first 2 shown]
	v_pk_mul_f32 v[122:123], v[22:23], v[6:7]
	s_delay_alu instid0(VALU_DEP_2)
	v_pk_mul_f32 v[120:121], v[22:23], v[48:49]
	s_and_saveexec_b32 s3, vcc_lo
	s_cbranch_execz .LBB222_1520
; %bb.1519:                             ;   in Loop: Header=BB222_806 Depth=1
	scratch_load_b64 v[6:7], off, s32 offset:192 ; 8-byte Folded Reload
	s_wait_loadcnt 0x0
	v_cmp_lt_i32_e64 s0, v17, v6
	s_delay_alu instid0(VALU_DEP_1) | instskip(SKIP_1) | instid1(VALU_DEP_1)
	v_cndmask_b32_e64 v122, 0, v122, s0
	v_cmp_lt_i32_e64 s0, v70, v6
	v_cndmask_b32_e64 v123, 0, v123, s0
	v_cmp_lt_i32_e64 s0, v80, v6
	s_delay_alu instid0(VALU_DEP_1) | instskip(SKIP_1) | instid1(VALU_DEP_1)
	v_cndmask_b32_e64 v120, 0, v120, s0
	v_cmp_lt_i32_e64 s0, v71, v6
	v_cndmask_b32_e64 v121, 0, v121, s0
.LBB222_1520:                           ;   in Loop: Header=BB222_806 Depth=1
	s_wait_xcnt 0x0
	s_or_b32 exec_lo, exec_lo, s3
	flat_load_b32 v6, v[54:55] offset:2688
	v_mov_b64_e32 v[48:49], 0
	v_mov_b64_e32 v[50:51], 0
	s_mov_b32 s3, exec_lo
	s_wait_loadcnt_dscnt 0x0
	v_and_b32_e32 v7, 0xff, v6
	s_wait_xcnt 0x0
	s_delay_alu instid0(VALU_DEP_1)
	v_cmpx_ne_u16_e32 0, v7
	s_cbranch_execz .LBB222_1528
; %bb.1521:                             ;   in Loop: Header=BB222_806 Depth=1
	v_mov_b64_e32 v[50:51], 0x80000000
	s_mov_b32 s8, exec_lo
	v_cmpx_ne_u16_e32 0x80, v7
	s_cbranch_execz .LBB222_1527
; %bb.1522:                             ;   in Loop: Header=BB222_806 Depth=1
	v_mov_b64_e32 v[50:51], 0x7f800001
	v_and_b32_e32 v52, 0x7f, v6
	s_mov_b32 s9, exec_lo
	s_delay_alu instid0(VALU_DEP_1)
	v_cmpx_ne_u32_e32 0x7f, v52
	s_cbranch_execz .LBB222_1526
; %bb.1523:                             ;   in Loop: Header=BB222_806 Depth=1
	v_dual_lshrrev_b32 v7, 3, v52 :: v_dual_bitop2_b32 v66, 7, v6 bitop3:0x40
	s_mov_b32 s16, exec_lo
	v_cmpx_gt_u32_e32 8, v52
; %bb.1524:                             ;   in Loop: Header=BB222_806 Depth=1
	s_delay_alu instid0(VALU_DEP_2) | instskip(NEXT) | instid1(VALU_DEP_1)
	v_clz_i32_u32_e32 v7, v66
	v_min_u32_e32 v7, 32, v7
	s_delay_alu instid0(VALU_DEP_1) | instskip(NEXT) | instid1(VALU_DEP_1)
	v_subrev_nc_u32_e32 v18, 28, v7
	v_lshlrev_b64_e32 v[50:51], v18, v[66:67]
	s_delay_alu instid0(VALU_DEP_1)
	v_dual_sub_nc_u32 v7, 29, v7 :: v_dual_bitop2_b32 v66, 7, v50 bitop3:0x40
; %bb.1525:                             ;   in Loop: Header=BB222_806 Depth=1
	s_or_b32 exec_lo, exec_lo, s16
	v_lshlrev_b32_e32 v18, 24, v6
	s_delay_alu instid0(VALU_DEP_2) | instskip(NEXT) | instid1(VALU_DEP_3)
	v_lshlrev_b32_e32 v19, 20, v66
	v_lshl_add_u32 v7, v7, 23, 0x3c000000
	s_delay_alu instid0(VALU_DEP_3) | instskip(NEXT) | instid1(VALU_DEP_1)
	v_and_b32_e32 v18, 0x80000000, v18
	v_or3_b32 v66, v19, v18, v7
	s_delay_alu instid0(VALU_DEP_1)
	v_mov_b64_e32 v[50:51], v[66:67]
.LBB222_1526:                           ;   in Loop: Header=BB222_806 Depth=1
	s_or_b32 exec_lo, exec_lo, s9
.LBB222_1527:                           ;   in Loop: Header=BB222_806 Depth=1
	s_delay_alu instid0(SALU_CYCLE_1)
	s_or_b32 exec_lo, exec_lo, s8
.LBB222_1528:                           ;   in Loop: Header=BB222_806 Depth=1
	s_delay_alu instid0(SALU_CYCLE_1) | instskip(SKIP_2) | instid1(VALU_DEP_1)
	s_or_b32 exec_lo, exec_lo, s3
	v_lshrrev_b16 v7, 8, v6
	s_mov_b32 s3, exec_lo
	v_cmpx_ne_u16_e32 0, v7
	s_cbranch_execz .LBB222_1536
; %bb.1529:                             ;   in Loop: Header=BB222_806 Depth=1
	v_mov_b64_e32 v[48:49], 0x8000000000000000
	s_mov_b32 s8, exec_lo
	v_cmpx_ne_u16_e32 0x80, v7
	s_cbranch_execz .LBB222_1535
; %bb.1530:                             ;   in Loop: Header=BB222_806 Depth=1
	v_and_b32_e32 v7, 0xffff, v7
	v_mov_b64_e32 v[48:49], 0x7f80000100000000
	s_mov_b32 s9, exec_lo
	s_delay_alu instid0(VALU_DEP_2) | instskip(NEXT) | instid1(VALU_DEP_1)
	v_and_b32_e32 v52, 0x7f, v7
	v_cmpx_ne_u32_e32 0x7f, v52
	s_cbranch_execz .LBB222_1534
; %bb.1531:                             ;   in Loop: Header=BB222_806 Depth=1
	v_dual_lshrrev_b32 v7, 3, v52 :: v_dual_bitop2_b32 v66, 7, v7 bitop3:0x40
	s_mov_b32 s16, exec_lo
	v_cmpx_gt_u32_e32 8, v52
; %bb.1532:                             ;   in Loop: Header=BB222_806 Depth=1
	s_delay_alu instid0(VALU_DEP_2) | instskip(NEXT) | instid1(VALU_DEP_1)
	v_clz_i32_u32_e32 v7, v66
	v_min_u32_e32 v7, 32, v7
	s_delay_alu instid0(VALU_DEP_1) | instskip(NEXT) | instid1(VALU_DEP_1)
	v_subrev_nc_u32_e32 v18, 28, v7
	v_lshlrev_b64_e32 v[48:49], v18, v[66:67]
	s_delay_alu instid0(VALU_DEP_1)
	v_dual_sub_nc_u32 v7, 29, v7 :: v_dual_bitop2_b32 v66, 7, v48 bitop3:0x40
; %bb.1533:                             ;   in Loop: Header=BB222_806 Depth=1
	s_or_b32 exec_lo, exec_lo, s16
	v_dual_lshlrev_b32 v18, 16, v6 :: v_dual_mov_b32 v48, v67
	s_delay_alu instid0(VALU_DEP_2) | instskip(NEXT) | instid1(VALU_DEP_3)
	v_lshlrev_b32_e32 v19, 20, v66
	v_lshl_add_u32 v7, v7, 23, 0x3c000000
	s_delay_alu instid0(VALU_DEP_3) | instskip(NEXT) | instid1(VALU_DEP_1)
	v_and_b32_e32 v18, 0x80000000, v18
	v_or3_b32 v49, v19, v18, v7
.LBB222_1534:                           ;   in Loop: Header=BB222_806 Depth=1
	s_or_b32 exec_lo, exec_lo, s9
.LBB222_1535:                           ;   in Loop: Header=BB222_806 Depth=1
	s_delay_alu instid0(SALU_CYCLE_1)
	s_or_b32 exec_lo, exec_lo, s8
.LBB222_1536:                           ;   in Loop: Header=BB222_806 Depth=1
	s_delay_alu instid0(SALU_CYCLE_1) | instskip(SKIP_4) | instid1(VALU_DEP_3)
	s_or_b32 exec_lo, exec_lo, s3
	v_lshrrev_b32_e32 v7, 16, v6
	v_mov_b64_e32 v[52:53], 0
	v_mov_b64_e32 v[64:65], 0
	s_mov_b32 s3, exec_lo
	v_and_b32_e32 v66, 0xff, v7
	s_delay_alu instid0(VALU_DEP_1)
	v_cmpx_ne_u16_e32 0, v66
	s_cbranch_execz .LBB222_1544
; %bb.1537:                             ;   in Loop: Header=BB222_806 Depth=1
	v_mov_b64_e32 v[64:65], 0x80000000
	s_mov_b32 s8, exec_lo
	v_cmpx_ne_u16_e32 0x80, v66
	s_cbranch_execz .LBB222_1543
; %bb.1538:                             ;   in Loop: Header=BB222_806 Depth=1
	v_mov_b64_e32 v[64:65], 0x7f800001
	v_bfe_u32 v81, v6, 16, 7
	s_mov_b32 s9, exec_lo
	s_delay_alu instid0(VALU_DEP_1)
	v_cmpx_ne_u32_e32 0x7f, v81
	s_cbranch_execz .LBB222_1542
; %bb.1539:                             ;   in Loop: Header=BB222_806 Depth=1
	v_dual_lshrrev_b32 v64, 3, v81 :: v_dual_bitop2_b32 v66, 7, v7 bitop3:0x40
	s_mov_b32 s16, exec_lo
	v_cmpx_gt_u32_e32 8, v81
; %bb.1540:                             ;   in Loop: Header=BB222_806 Depth=1
	s_delay_alu instid0(VALU_DEP_2) | instskip(NEXT) | instid1(VALU_DEP_1)
	v_clz_i32_u32_e32 v18, v66
	v_min_u32_e32 v18, 32, v18
	s_delay_alu instid0(VALU_DEP_1) | instskip(NEXT) | instid1(VALU_DEP_1)
	v_subrev_nc_u32_e32 v19, 28, v18
	v_lshlrev_b64_e32 v[124:125], v19, v[66:67]
	s_delay_alu instid0(VALU_DEP_1)
	v_dual_sub_nc_u32 v64, 29, v18 :: v_dual_bitop2_b32 v66, 7, v124 bitop3:0x40
; %bb.1541:                             ;   in Loop: Header=BB222_806 Depth=1
	s_or_b32 exec_lo, exec_lo, s16
	s_delay_alu instid0(VALU_DEP_1) | instskip(NEXT) | instid1(VALU_DEP_2)
	v_dual_lshlrev_b32 v7, 24, v7 :: v_dual_lshlrev_b32 v18, 20, v66
	v_lshl_add_u32 v19, v64, 23, 0x3c000000
	s_delay_alu instid0(VALU_DEP_2) | instskip(NEXT) | instid1(VALU_DEP_1)
	v_and_b32_e32 v7, 0x80000000, v7
	v_or3_b32 v66, v18, v7, v19
	s_delay_alu instid0(VALU_DEP_1)
	v_mov_b64_e32 v[64:65], v[66:67]
.LBB222_1542:                           ;   in Loop: Header=BB222_806 Depth=1
	s_or_b32 exec_lo, exec_lo, s9
.LBB222_1543:                           ;   in Loop: Header=BB222_806 Depth=1
	s_delay_alu instid0(SALU_CYCLE_1)
	s_or_b32 exec_lo, exec_lo, s8
.LBB222_1544:                           ;   in Loop: Header=BB222_806 Depth=1
	s_delay_alu instid0(SALU_CYCLE_1) | instskip(NEXT) | instid1(SALU_CYCLE_1)
	s_or_b32 exec_lo, exec_lo, s3
	s_mov_b32 s3, exec_lo
	v_cmpx_lt_u32_e32 0xffffff, v6
	s_cbranch_execz .LBB222_1552
; %bb.1545:                             ;   in Loop: Header=BB222_806 Depth=1
	v_mov_b64_e32 v[52:53], 0x8000000000000000
	v_lshrrev_b32_e32 v7, 24, v6
	s_mov_b32 s8, exec_lo
	s_delay_alu instid0(VALU_DEP_1)
	v_cmpx_ne_u32_e32 0x80, v7
	s_cbranch_execz .LBB222_1551
; %bb.1546:                             ;   in Loop: Header=BB222_806 Depth=1
	v_mov_b64_e32 v[52:53], 0x7f80000100000000
	v_bfe_u32 v81, v6, 24, 7
	s_mov_b32 s9, exec_lo
	s_delay_alu instid0(VALU_DEP_1)
	v_cmpx_ne_u32_e32 0x7f, v81
	s_cbranch_execz .LBB222_1550
; %bb.1547:                             ;   in Loop: Header=BB222_806 Depth=1
	v_dual_lshrrev_b32 v6, 3, v81 :: v_dual_bitop2_b32 v66, 7, v7 bitop3:0x40
	s_mov_b32 s16, exec_lo
	v_cmpx_gt_u32_e32 8, v81
; %bb.1548:                             ;   in Loop: Header=BB222_806 Depth=1
	s_delay_alu instid0(VALU_DEP_2) | instskip(NEXT) | instid1(VALU_DEP_1)
	v_clz_i32_u32_e32 v6, v66
	v_min_u32_e32 v6, 32, v6
	s_delay_alu instid0(VALU_DEP_1) | instskip(NEXT) | instid1(VALU_DEP_1)
	v_subrev_nc_u32_e32 v18, 28, v6
	v_lshlrev_b64_e32 v[52:53], v18, v[66:67]
	s_delay_alu instid0(VALU_DEP_1)
	v_dual_sub_nc_u32 v6, 29, v6 :: v_dual_bitop2_b32 v66, 7, v52 bitop3:0x40
; %bb.1549:                             ;   in Loop: Header=BB222_806 Depth=1
	s_or_b32 exec_lo, exec_lo, s16
	s_delay_alu instid0(VALU_DEP_1) | instskip(NEXT) | instid1(VALU_DEP_2)
	v_dual_lshlrev_b32 v7, 24, v7 :: v_dual_lshlrev_b32 v18, 20, v66
	v_lshl_add_u32 v6, v6, 23, 0x3c000000
	v_mov_b32_e32 v52, v67
	s_delay_alu instid0(VALU_DEP_3) | instskip(NEXT) | instid1(VALU_DEP_1)
	v_and_b32_e32 v7, 0x80000000, v7
	v_or3_b32 v53, v18, v7, v6
.LBB222_1550:                           ;   in Loop: Header=BB222_806 Depth=1
	s_or_b32 exec_lo, exec_lo, s9
.LBB222_1551:                           ;   in Loop: Header=BB222_806 Depth=1
	s_delay_alu instid0(SALU_CYCLE_1)
	s_or_b32 exec_lo, exec_lo, s8
.LBB222_1552:                           ;   in Loop: Header=BB222_806 Depth=1
	s_delay_alu instid0(SALU_CYCLE_1) | instskip(SKIP_4) | instid1(VALU_DEP_3)
	s_or_b32 exec_lo, exec_lo, s3
	v_or_b32_e32 v7, v49, v51
	v_or_b32_e32 v6, v48, v50
	;; [unrolled: 1-line block ×4, first 2 shown]
	v_pk_mul_f32 v[126:127], v[22:23], v[6:7]
	s_delay_alu instid0(VALU_DEP_2)
	v_pk_mul_f32 v[124:125], v[22:23], v[48:49]
	s_and_saveexec_b32 s3, vcc_lo
	s_cbranch_execz .LBB222_1554
; %bb.1553:                             ;   in Loop: Header=BB222_806 Depth=1
	scratch_load_b64 v[6:7], off, s32 offset:192 ; 8-byte Folded Reload
	s_wait_loadcnt 0x0
	v_cmp_lt_i32_e64 s0, v17, v6
	s_delay_alu instid0(VALU_DEP_1) | instskip(SKIP_1) | instid1(VALU_DEP_1)
	v_cndmask_b32_e64 v126, 0, v126, s0
	v_cmp_lt_i32_e64 s0, v70, v6
	v_cndmask_b32_e64 v127, 0, v127, s0
	v_cmp_lt_i32_e64 s0, v80, v6
	s_delay_alu instid0(VALU_DEP_1) | instskip(SKIP_1) | instid1(VALU_DEP_1)
	v_cndmask_b32_e64 v124, 0, v124, s0
	v_cmp_lt_i32_e64 s0, v71, v6
	v_cndmask_b32_e64 v125, 0, v125, s0
.LBB222_1554:                           ;   in Loop: Header=BB222_806 Depth=1
	s_wait_xcnt 0x0
	s_or_b32 exec_lo, exec_lo, s3
	flat_load_b32 v6, v[54:55] offset:2816
	v_mov_b64_e32 v[48:49], 0
	v_mov_b64_e32 v[50:51], 0
	s_mov_b32 s3, exec_lo
	s_wait_loadcnt_dscnt 0x0
	v_and_b32_e32 v7, 0xff, v6
	s_wait_xcnt 0x0
	s_delay_alu instid0(VALU_DEP_1)
	v_cmpx_ne_u16_e32 0, v7
	s_cbranch_execz .LBB222_1562
; %bb.1555:                             ;   in Loop: Header=BB222_806 Depth=1
	v_mov_b64_e32 v[50:51], 0x80000000
	s_mov_b32 s8, exec_lo
	v_cmpx_ne_u16_e32 0x80, v7
	s_cbranch_execz .LBB222_1561
; %bb.1556:                             ;   in Loop: Header=BB222_806 Depth=1
	v_mov_b64_e32 v[50:51], 0x7f800001
	v_and_b32_e32 v52, 0x7f, v6
	s_mov_b32 s9, exec_lo
	s_delay_alu instid0(VALU_DEP_1)
	v_cmpx_ne_u32_e32 0x7f, v52
	s_cbranch_execz .LBB222_1560
; %bb.1557:                             ;   in Loop: Header=BB222_806 Depth=1
	v_dual_lshrrev_b32 v7, 3, v52 :: v_dual_bitop2_b32 v66, 7, v6 bitop3:0x40
	s_mov_b32 s16, exec_lo
	v_cmpx_gt_u32_e32 8, v52
; %bb.1558:                             ;   in Loop: Header=BB222_806 Depth=1
	s_delay_alu instid0(VALU_DEP_2) | instskip(NEXT) | instid1(VALU_DEP_1)
	v_clz_i32_u32_e32 v7, v66
	v_min_u32_e32 v7, 32, v7
	s_delay_alu instid0(VALU_DEP_1) | instskip(NEXT) | instid1(VALU_DEP_1)
	v_subrev_nc_u32_e32 v18, 28, v7
	v_lshlrev_b64_e32 v[50:51], v18, v[66:67]
	s_delay_alu instid0(VALU_DEP_1)
	v_dual_sub_nc_u32 v7, 29, v7 :: v_dual_bitop2_b32 v66, 7, v50 bitop3:0x40
; %bb.1559:                             ;   in Loop: Header=BB222_806 Depth=1
	s_or_b32 exec_lo, exec_lo, s16
	v_lshlrev_b32_e32 v18, 24, v6
	s_delay_alu instid0(VALU_DEP_2) | instskip(NEXT) | instid1(VALU_DEP_3)
	v_lshlrev_b32_e32 v19, 20, v66
	v_lshl_add_u32 v7, v7, 23, 0x3c000000
	s_delay_alu instid0(VALU_DEP_3) | instskip(NEXT) | instid1(VALU_DEP_1)
	v_and_b32_e32 v18, 0x80000000, v18
	v_or3_b32 v66, v19, v18, v7
	s_delay_alu instid0(VALU_DEP_1)
	v_mov_b64_e32 v[50:51], v[66:67]
.LBB222_1560:                           ;   in Loop: Header=BB222_806 Depth=1
	s_or_b32 exec_lo, exec_lo, s9
.LBB222_1561:                           ;   in Loop: Header=BB222_806 Depth=1
	s_delay_alu instid0(SALU_CYCLE_1)
	s_or_b32 exec_lo, exec_lo, s8
.LBB222_1562:                           ;   in Loop: Header=BB222_806 Depth=1
	s_delay_alu instid0(SALU_CYCLE_1) | instskip(SKIP_2) | instid1(VALU_DEP_1)
	s_or_b32 exec_lo, exec_lo, s3
	v_lshrrev_b16 v7, 8, v6
	s_mov_b32 s3, exec_lo
	v_cmpx_ne_u16_e32 0, v7
	s_cbranch_execz .LBB222_1570
; %bb.1563:                             ;   in Loop: Header=BB222_806 Depth=1
	v_mov_b64_e32 v[48:49], 0x8000000000000000
	s_mov_b32 s8, exec_lo
	v_cmpx_ne_u16_e32 0x80, v7
	s_cbranch_execz .LBB222_1569
; %bb.1564:                             ;   in Loop: Header=BB222_806 Depth=1
	v_and_b32_e32 v7, 0xffff, v7
	v_mov_b64_e32 v[48:49], 0x7f80000100000000
	s_mov_b32 s9, exec_lo
	s_delay_alu instid0(VALU_DEP_2) | instskip(NEXT) | instid1(VALU_DEP_1)
	v_and_b32_e32 v52, 0x7f, v7
	v_cmpx_ne_u32_e32 0x7f, v52
	s_cbranch_execz .LBB222_1568
; %bb.1565:                             ;   in Loop: Header=BB222_806 Depth=1
	v_dual_lshrrev_b32 v7, 3, v52 :: v_dual_bitop2_b32 v66, 7, v7 bitop3:0x40
	s_mov_b32 s16, exec_lo
	v_cmpx_gt_u32_e32 8, v52
; %bb.1566:                             ;   in Loop: Header=BB222_806 Depth=1
	s_delay_alu instid0(VALU_DEP_2) | instskip(NEXT) | instid1(VALU_DEP_1)
	v_clz_i32_u32_e32 v7, v66
	v_min_u32_e32 v7, 32, v7
	s_delay_alu instid0(VALU_DEP_1) | instskip(NEXT) | instid1(VALU_DEP_1)
	v_subrev_nc_u32_e32 v18, 28, v7
	v_lshlrev_b64_e32 v[48:49], v18, v[66:67]
	s_delay_alu instid0(VALU_DEP_1)
	v_dual_sub_nc_u32 v7, 29, v7 :: v_dual_bitop2_b32 v66, 7, v48 bitop3:0x40
; %bb.1567:                             ;   in Loop: Header=BB222_806 Depth=1
	s_or_b32 exec_lo, exec_lo, s16
	v_dual_lshlrev_b32 v18, 16, v6 :: v_dual_mov_b32 v48, v67
	s_delay_alu instid0(VALU_DEP_2) | instskip(NEXT) | instid1(VALU_DEP_3)
	v_lshlrev_b32_e32 v19, 20, v66
	v_lshl_add_u32 v7, v7, 23, 0x3c000000
	s_delay_alu instid0(VALU_DEP_3) | instskip(NEXT) | instid1(VALU_DEP_1)
	v_and_b32_e32 v18, 0x80000000, v18
	v_or3_b32 v49, v19, v18, v7
.LBB222_1568:                           ;   in Loop: Header=BB222_806 Depth=1
	s_or_b32 exec_lo, exec_lo, s9
.LBB222_1569:                           ;   in Loop: Header=BB222_806 Depth=1
	s_delay_alu instid0(SALU_CYCLE_1)
	s_or_b32 exec_lo, exec_lo, s8
.LBB222_1570:                           ;   in Loop: Header=BB222_806 Depth=1
	s_delay_alu instid0(SALU_CYCLE_1) | instskip(SKIP_4) | instid1(VALU_DEP_3)
	s_or_b32 exec_lo, exec_lo, s3
	v_lshrrev_b32_e32 v7, 16, v6
	v_mov_b64_e32 v[52:53], 0
	v_mov_b64_e32 v[64:65], 0
	s_mov_b32 s3, exec_lo
	v_and_b32_e32 v66, 0xff, v7
	s_delay_alu instid0(VALU_DEP_1)
	v_cmpx_ne_u16_e32 0, v66
	s_cbranch_execz .LBB222_1578
; %bb.1571:                             ;   in Loop: Header=BB222_806 Depth=1
	v_mov_b64_e32 v[64:65], 0x80000000
	s_mov_b32 s8, exec_lo
	v_cmpx_ne_u16_e32 0x80, v66
	s_cbranch_execz .LBB222_1577
; %bb.1572:                             ;   in Loop: Header=BB222_806 Depth=1
	v_mov_b64_e32 v[64:65], 0x7f800001
	v_bfe_u32 v81, v6, 16, 7
	s_mov_b32 s9, exec_lo
	s_delay_alu instid0(VALU_DEP_1)
	v_cmpx_ne_u32_e32 0x7f, v81
	s_cbranch_execz .LBB222_1576
; %bb.1573:                             ;   in Loop: Header=BB222_806 Depth=1
	v_dual_lshrrev_b32 v64, 3, v81 :: v_dual_bitop2_b32 v66, 7, v7 bitop3:0x40
	s_mov_b32 s16, exec_lo
	v_cmpx_gt_u32_e32 8, v81
; %bb.1574:                             ;   in Loop: Header=BB222_806 Depth=1
	s_delay_alu instid0(VALU_DEP_2) | instskip(NEXT) | instid1(VALU_DEP_1)
	v_clz_i32_u32_e32 v18, v66
	v_min_u32_e32 v64, 32, v18
	s_delay_alu instid0(VALU_DEP_1) | instskip(NEXT) | instid1(VALU_DEP_1)
	v_subrev_nc_u32_e32 v18, 28, v64
	v_lshlrev_b64_e32 v[18:19], v18, v[66:67]
	s_delay_alu instid0(VALU_DEP_1)
	v_dual_sub_nc_u32 v64, 29, v64 :: v_dual_bitop2_b32 v66, 7, v18 bitop3:0x40
; %bb.1575:                             ;   in Loop: Header=BB222_806 Depth=1
	s_or_b32 exec_lo, exec_lo, s16
	s_delay_alu instid0(VALU_DEP_1) | instskip(NEXT) | instid1(VALU_DEP_2)
	v_dual_lshlrev_b32 v7, 24, v7 :: v_dual_lshlrev_b32 v18, 20, v66
	v_lshl_add_u32 v19, v64, 23, 0x3c000000
	s_delay_alu instid0(VALU_DEP_2) | instskip(NEXT) | instid1(VALU_DEP_1)
	v_and_b32_e32 v7, 0x80000000, v7
	v_or3_b32 v66, v18, v7, v19
	s_delay_alu instid0(VALU_DEP_1)
	v_mov_b64_e32 v[64:65], v[66:67]
.LBB222_1576:                           ;   in Loop: Header=BB222_806 Depth=1
	s_or_b32 exec_lo, exec_lo, s9
.LBB222_1577:                           ;   in Loop: Header=BB222_806 Depth=1
	s_delay_alu instid0(SALU_CYCLE_1)
	s_or_b32 exec_lo, exec_lo, s8
.LBB222_1578:                           ;   in Loop: Header=BB222_806 Depth=1
	s_delay_alu instid0(SALU_CYCLE_1) | instskip(NEXT) | instid1(SALU_CYCLE_1)
	s_or_b32 exec_lo, exec_lo, s3
	s_mov_b32 s3, exec_lo
	v_cmpx_lt_u32_e32 0xffffff, v6
	s_cbranch_execz .LBB222_1586
; %bb.1579:                             ;   in Loop: Header=BB222_806 Depth=1
	v_mov_b64_e32 v[52:53], 0x8000000000000000
	v_lshrrev_b32_e32 v7, 24, v6
	s_mov_b32 s8, exec_lo
	s_delay_alu instid0(VALU_DEP_1)
	v_cmpx_ne_u32_e32 0x80, v7
	s_cbranch_execz .LBB222_1585
; %bb.1580:                             ;   in Loop: Header=BB222_806 Depth=1
	v_mov_b64_e32 v[52:53], 0x7f80000100000000
	v_bfe_u32 v81, v6, 24, 7
	s_mov_b32 s9, exec_lo
	s_delay_alu instid0(VALU_DEP_1)
	v_cmpx_ne_u32_e32 0x7f, v81
	s_cbranch_execz .LBB222_1584
; %bb.1581:                             ;   in Loop: Header=BB222_806 Depth=1
	v_dual_lshrrev_b32 v6, 3, v81 :: v_dual_bitop2_b32 v66, 7, v7 bitop3:0x40
	s_mov_b32 s16, exec_lo
	v_cmpx_gt_u32_e32 8, v81
; %bb.1582:                             ;   in Loop: Header=BB222_806 Depth=1
	s_delay_alu instid0(VALU_DEP_2) | instskip(NEXT) | instid1(VALU_DEP_1)
	v_clz_i32_u32_e32 v6, v66
	v_min_u32_e32 v6, 32, v6
	s_delay_alu instid0(VALU_DEP_1) | instskip(SKIP_1) | instid1(VALU_DEP_2)
	v_subrev_nc_u32_e32 v18, 28, v6
	v_sub_nc_u32_e32 v6, 29, v6
	v_lshlrev_b64_e32 v[18:19], v18, v[66:67]
	s_delay_alu instid0(VALU_DEP_1)
	v_and_b32_e32 v66, 7, v18
; %bb.1583:                             ;   in Loop: Header=BB222_806 Depth=1
	s_or_b32 exec_lo, exec_lo, s16
	s_delay_alu instid0(VALU_DEP_1) | instskip(SKIP_2) | instid1(VALU_DEP_3)
	v_dual_lshlrev_b32 v7, 24, v7 :: v_dual_lshlrev_b32 v18, 20, v66
	v_lshl_add_u32 v6, v6, 23, 0x3c000000
	v_mov_b32_e32 v52, v67
	v_and_b32_e32 v7, 0x80000000, v7
	s_delay_alu instid0(VALU_DEP_1)
	v_or3_b32 v53, v18, v7, v6
.LBB222_1584:                           ;   in Loop: Header=BB222_806 Depth=1
	s_or_b32 exec_lo, exec_lo, s9
.LBB222_1585:                           ;   in Loop: Header=BB222_806 Depth=1
	s_delay_alu instid0(SALU_CYCLE_1)
	s_or_b32 exec_lo, exec_lo, s8
.LBB222_1586:                           ;   in Loop: Header=BB222_806 Depth=1
	s_delay_alu instid0(SALU_CYCLE_1) | instskip(SKIP_4) | instid1(VALU_DEP_3)
	s_or_b32 exec_lo, exec_lo, s3
	v_or_b32_e32 v7, v49, v51
	v_or_b32_e32 v6, v48, v50
	;; [unrolled: 1-line block ×4, first 2 shown]
	v_pk_mul_f32 v[50:51], v[22:23], v[6:7]
	s_delay_alu instid0(VALU_DEP_2)
	v_pk_mul_f32 v[48:49], v[22:23], v[18:19]
	s_and_saveexec_b32 s3, vcc_lo
	s_cbranch_execz .LBB222_1588
; %bb.1587:                             ;   in Loop: Header=BB222_806 Depth=1
	scratch_load_b64 v[6:7], off, s32 offset:192 ; 8-byte Folded Reload
	s_wait_loadcnt 0x0
	v_cmp_lt_i32_e64 s0, v17, v6
	s_delay_alu instid0(VALU_DEP_1) | instskip(SKIP_1) | instid1(VALU_DEP_1)
	v_cndmask_b32_e64 v50, 0, v50, s0
	v_cmp_lt_i32_e64 s0, v70, v6
	v_cndmask_b32_e64 v51, 0, v51, s0
	v_cmp_lt_i32_e64 s0, v80, v6
	s_delay_alu instid0(VALU_DEP_1) | instskip(SKIP_1) | instid1(VALU_DEP_1)
	v_cndmask_b32_e64 v48, 0, v48, s0
	v_cmp_lt_i32_e64 s0, v71, v6
	v_cndmask_b32_e64 v49, 0, v49, s0
.LBB222_1588:                           ;   in Loop: Header=BB222_806 Depth=1
	s_wait_xcnt 0x0
	s_or_b32 exec_lo, exec_lo, s3
	flat_load_b32 v71, v[54:55] offset:2944
	v_mov_b64_e32 v[52:53], 0
	s_wait_xcnt 0x0
	v_mov_b64_e32 v[54:55], 0
	s_mov_b32 s3, exec_lo
	s_wait_loadcnt_dscnt 0x0
	v_and_b32_e32 v6, 0xff, v71
	s_delay_alu instid0(VALU_DEP_1)
	v_cmpx_ne_u16_e32 0, v6
	s_cbranch_execz .LBB222_1596
; %bb.1589:                             ;   in Loop: Header=BB222_806 Depth=1
	v_mov_b64_e32 v[54:55], 0x80000000
	s_mov_b32 s8, exec_lo
	v_cmpx_ne_u16_e32 0x80, v6
	s_cbranch_execz .LBB222_1595
; %bb.1590:                             ;   in Loop: Header=BB222_806 Depth=1
	v_mov_b64_e32 v[54:55], 0x7f800001
	v_and_b32_e32 v7, 0x7f, v71
	s_mov_b32 s9, exec_lo
	s_delay_alu instid0(VALU_DEP_1)
	v_cmpx_ne_u32_e32 0x7f, v7
	s_cbranch_execz .LBB222_1594
; %bb.1591:                             ;   in Loop: Header=BB222_806 Depth=1
	v_and_b32_e32 v66, 7, v71
	v_lshrrev_b32_e32 v6, 3, v7
	s_mov_b32 s16, exec_lo
	v_cmpx_gt_u32_e32 8, v7
; %bb.1592:                             ;   in Loop: Header=BB222_806 Depth=1
	s_delay_alu instid0(VALU_DEP_3) | instskip(NEXT) | instid1(VALU_DEP_1)
	v_clz_i32_u32_e32 v6, v66
	v_min_u32_e32 v6, 32, v6
	s_delay_alu instid0(VALU_DEP_1) | instskip(SKIP_1) | instid1(VALU_DEP_2)
	v_subrev_nc_u32_e32 v7, 28, v6
	v_sub_nc_u32_e32 v6, 29, v6
	v_lshlrev_b64_e32 v[18:19], v7, v[66:67]
	s_delay_alu instid0(VALU_DEP_1)
	v_and_b32_e32 v66, 7, v18
; %bb.1593:                             ;   in Loop: Header=BB222_806 Depth=1
	s_or_b32 exec_lo, exec_lo, s16
	s_delay_alu instid0(VALU_DEP_1) | instskip(SKIP_1) | instid1(VALU_DEP_2)
	v_dual_lshlrev_b32 v7, 24, v71 :: v_dual_lshlrev_b32 v18, 20, v66
	v_lshl_add_u32 v6, v6, 23, 0x3c000000
	v_and_b32_e32 v7, 0x80000000, v7
	s_delay_alu instid0(VALU_DEP_1) | instskip(NEXT) | instid1(VALU_DEP_1)
	v_or3_b32 v66, v18, v7, v6
	v_mov_b64_e32 v[54:55], v[66:67]
.LBB222_1594:                           ;   in Loop: Header=BB222_806 Depth=1
	s_or_b32 exec_lo, exec_lo, s9
.LBB222_1595:                           ;   in Loop: Header=BB222_806 Depth=1
	s_delay_alu instid0(SALU_CYCLE_1)
	s_or_b32 exec_lo, exec_lo, s8
.LBB222_1596:                           ;   in Loop: Header=BB222_806 Depth=1
	s_delay_alu instid0(SALU_CYCLE_1) | instskip(SKIP_2) | instid1(VALU_DEP_1)
	s_or_b32 exec_lo, exec_lo, s3
	v_lshrrev_b16 v6, 8, v71
	s_mov_b32 s3, exec_lo
	v_cmpx_ne_u16_e32 0, v6
	s_cbranch_execz .LBB222_1604
; %bb.1597:                             ;   in Loop: Header=BB222_806 Depth=1
	v_mov_b64_e32 v[52:53], 0x8000000000000000
	s_mov_b32 s8, exec_lo
	v_cmpx_ne_u16_e32 0x80, v6
	s_cbranch_execz .LBB222_1603
; %bb.1598:                             ;   in Loop: Header=BB222_806 Depth=1
	v_and_b32_e32 v6, 0xffff, v6
	v_mov_b64_e32 v[52:53], 0x7f80000100000000
	s_mov_b32 s9, exec_lo
	s_delay_alu instid0(VALU_DEP_2) | instskip(NEXT) | instid1(VALU_DEP_1)
	v_and_b32_e32 v7, 0x7f, v6
	v_cmpx_ne_u32_e32 0x7f, v7
	s_cbranch_execz .LBB222_1602
; %bb.1599:                             ;   in Loop: Header=BB222_806 Depth=1
	v_dual_lshrrev_b32 v6, 3, v7 :: v_dual_bitop2_b32 v66, 7, v6 bitop3:0x40
	s_mov_b32 s16, exec_lo
	v_cmpx_gt_u32_e32 8, v7
; %bb.1600:                             ;   in Loop: Header=BB222_806 Depth=1
	s_delay_alu instid0(VALU_DEP_2) | instskip(NEXT) | instid1(VALU_DEP_1)
	v_clz_i32_u32_e32 v6, v66
	v_min_u32_e32 v6, 32, v6
	s_delay_alu instid0(VALU_DEP_1) | instskip(SKIP_1) | instid1(VALU_DEP_2)
	v_subrev_nc_u32_e32 v7, 28, v6
	v_sub_nc_u32_e32 v6, 29, v6
	v_lshlrev_b64_e32 v[18:19], v7, v[66:67]
	s_delay_alu instid0(VALU_DEP_1)
	v_and_b32_e32 v66, 7, v18
; %bb.1601:                             ;   in Loop: Header=BB222_806 Depth=1
	s_or_b32 exec_lo, exec_lo, s16
	s_delay_alu instid0(VALU_DEP_1) | instskip(SKIP_2) | instid1(VALU_DEP_3)
	v_dual_lshlrev_b32 v7, 16, v71 :: v_dual_lshlrev_b32 v18, 20, v66
	v_lshl_add_u32 v6, v6, 23, 0x3c000000
	v_mov_b32_e32 v52, v67
	v_and_b32_e32 v7, 0x80000000, v7
	s_delay_alu instid0(VALU_DEP_1)
	v_or3_b32 v53, v18, v7, v6
.LBB222_1602:                           ;   in Loop: Header=BB222_806 Depth=1
	s_or_b32 exec_lo, exec_lo, s9
.LBB222_1603:                           ;   in Loop: Header=BB222_806 Depth=1
	s_delay_alu instid0(SALU_CYCLE_1)
	s_or_b32 exec_lo, exec_lo, s8
.LBB222_1604:                           ;   in Loop: Header=BB222_806 Depth=1
	s_delay_alu instid0(SALU_CYCLE_1) | instskip(SKIP_4) | instid1(VALU_DEP_3)
	s_or_b32 exec_lo, exec_lo, s3
	v_lshrrev_b32_e32 v80, 16, v71
	v_mov_b64_e32 v[64:65], 0
	v_mov_b64_e32 v[6:7], 0
	s_mov_b32 s3, exec_lo
	v_and_b32_e32 v66, 0xff, v80
	s_delay_alu instid0(VALU_DEP_1)
	v_cmpx_ne_u16_e32 0, v66
	s_cbranch_execz .LBB222_1612
; %bb.1605:                             ;   in Loop: Header=BB222_806 Depth=1
	v_mov_b64_e32 v[6:7], 0x80000000
	s_mov_b32 s8, exec_lo
	v_cmpx_ne_u16_e32 0x80, v66
	s_cbranch_execz .LBB222_1611
; %bb.1606:                             ;   in Loop: Header=BB222_806 Depth=1
	v_mov_b64_e32 v[6:7], 0x7f800001
	v_bfe_u32 v81, v71, 16, 7
	s_mov_b32 s9, exec_lo
	s_delay_alu instid0(VALU_DEP_1)
	v_cmpx_ne_u32_e32 0x7f, v81
	s_cbranch_execz .LBB222_1610
; %bb.1607:                             ;   in Loop: Header=BB222_806 Depth=1
	v_dual_lshrrev_b32 v6, 3, v81 :: v_dual_bitop2_b32 v66, 7, v80 bitop3:0x40
	s_mov_b32 s16, exec_lo
	v_cmpx_gt_u32_e32 8, v81
; %bb.1608:                             ;   in Loop: Header=BB222_806 Depth=1
	s_delay_alu instid0(VALU_DEP_2) | instskip(NEXT) | instid1(VALU_DEP_1)
	v_clz_i32_u32_e32 v6, v66
	v_min_u32_e32 v6, 32, v6
	s_delay_alu instid0(VALU_DEP_1) | instskip(SKIP_1) | instid1(VALU_DEP_2)
	v_subrev_nc_u32_e32 v7, 28, v6
	v_sub_nc_u32_e32 v6, 29, v6
	v_lshlrev_b64_e32 v[18:19], v7, v[66:67]
	s_delay_alu instid0(VALU_DEP_1)
	v_and_b32_e32 v66, 7, v18
; %bb.1609:                             ;   in Loop: Header=BB222_806 Depth=1
	s_or_b32 exec_lo, exec_lo, s16
	s_delay_alu instid0(VALU_DEP_1) | instskip(SKIP_1) | instid1(VALU_DEP_2)
	v_dual_lshlrev_b32 v7, 24, v80 :: v_dual_lshlrev_b32 v18, 20, v66
	v_lshl_add_u32 v6, v6, 23, 0x3c000000
	v_and_b32_e32 v7, 0x80000000, v7
	s_delay_alu instid0(VALU_DEP_1) | instskip(NEXT) | instid1(VALU_DEP_1)
	v_or3_b32 v66, v18, v7, v6
	v_mov_b64_e32 v[6:7], v[66:67]
.LBB222_1610:                           ;   in Loop: Header=BB222_806 Depth=1
	s_or_b32 exec_lo, exec_lo, s9
.LBB222_1611:                           ;   in Loop: Header=BB222_806 Depth=1
	s_delay_alu instid0(SALU_CYCLE_1)
	s_or_b32 exec_lo, exec_lo, s8
.LBB222_1612:                           ;   in Loop: Header=BB222_806 Depth=1
	s_delay_alu instid0(SALU_CYCLE_1) | instskip(NEXT) | instid1(SALU_CYCLE_1)
	s_or_b32 exec_lo, exec_lo, s3
	s_mov_b32 s3, exec_lo
	v_cmpx_lt_u32_e32 0xffffff, v71
	s_cbranch_execz .LBB222_1620
; %bb.1613:                             ;   in Loop: Header=BB222_806 Depth=1
	v_mov_b64_e32 v[64:65], 0x8000000000000000
	v_lshrrev_b32_e32 v80, 24, v71
	s_mov_b32 s8, exec_lo
	s_delay_alu instid0(VALU_DEP_1)
	v_cmpx_ne_u32_e32 0x80, v80
	s_cbranch_execz .LBB222_1619
; %bb.1614:                             ;   in Loop: Header=BB222_806 Depth=1
	v_mov_b64_e32 v[64:65], 0x7f80000100000000
	v_bfe_u32 v71, v71, 24, 7
	s_mov_b32 s9, exec_lo
	s_delay_alu instid0(VALU_DEP_1)
	v_cmpx_ne_u32_e32 0x7f, v71
	s_cbranch_execz .LBB222_1618
; %bb.1615:                             ;   in Loop: Header=BB222_806 Depth=1
	v_dual_lshrrev_b32 v64, 3, v71 :: v_dual_bitop2_b32 v66, 7, v80 bitop3:0x40
	s_mov_b32 s16, exec_lo
	v_cmpx_gt_u32_e32 8, v71
; %bb.1616:                             ;   in Loop: Header=BB222_806 Depth=1
	s_delay_alu instid0(VALU_DEP_2) | instskip(NEXT) | instid1(VALU_DEP_1)
	v_clz_i32_u32_e32 v18, v66
	v_min_u32_e32 v64, 32, v18
	s_delay_alu instid0(VALU_DEP_1) | instskip(NEXT) | instid1(VALU_DEP_1)
	v_subrev_nc_u32_e32 v18, 28, v64
	v_lshlrev_b64_e32 v[18:19], v18, v[66:67]
	s_delay_alu instid0(VALU_DEP_1)
	v_dual_sub_nc_u32 v64, 29, v64 :: v_dual_bitop2_b32 v66, 7, v18 bitop3:0x40
; %bb.1617:                             ;   in Loop: Header=BB222_806 Depth=1
	s_or_b32 exec_lo, exec_lo, s16
	s_delay_alu instid0(VALU_DEP_1) | instskip(NEXT) | instid1(VALU_DEP_2)
	v_dual_lshlrev_b32 v18, 24, v80 :: v_dual_lshlrev_b32 v19, 20, v66
	v_lshl_add_u32 v64, v64, 23, 0x3c000000
	s_delay_alu instid0(VALU_DEP_2) | instskip(NEXT) | instid1(VALU_DEP_1)
	v_and_b32_e32 v18, 0x80000000, v18
	v_or3_b32 v65, v19, v18, v64
	v_mov_b32_e32 v64, v67
.LBB222_1618:                           ;   in Loop: Header=BB222_806 Depth=1
	s_or_b32 exec_lo, exec_lo, s9
.LBB222_1619:                           ;   in Loop: Header=BB222_806 Depth=1
	s_delay_alu instid0(SALU_CYCLE_1)
	s_or_b32 exec_lo, exec_lo, s8
.LBB222_1620:                           ;   in Loop: Header=BB222_806 Depth=1
	s_delay_alu instid0(SALU_CYCLE_1) | instskip(SKIP_4) | instid1(VALU_DEP_3)
	s_or_b32 exec_lo, exec_lo, s3
	v_or_b32_e32 v19, v53, v55
	v_or_b32_e32 v18, v52, v54
	;; [unrolled: 1-line block ×4, first 2 shown]
	v_pk_mul_f32 v[52:53], v[22:23], v[18:19]
	s_delay_alu instid0(VALU_DEP_2)
	v_pk_mul_f32 v[54:55], v[22:23], v[6:7]
	s_and_saveexec_b32 s3, vcc_lo
	s_cbranch_execz .LBB222_805
; %bb.1621:                             ;   in Loop: Header=BB222_806 Depth=1
	scratch_load_b64 v[6:7], off, s32 offset:192 ; 8-byte Folded Reload
	s_wait_loadcnt 0x0
	v_mov_b32_e32 v16, v6
	scratch_load_b64 v[6:7], off, s32 offset:276 ; 8-byte Folded Reload
	s_wait_loadcnt 0x0
	v_dual_mov_b32 v19, v7 :: v_dual_bitop2_b32 v6, 3, v17 bitop3:0x54
	v_cmp_lt_i32_e32 vcc_lo, v17, v16
	v_or_b32_e32 v7, 2, v17
	s_delay_alu instid0(VALU_DEP_3) | instskip(SKIP_1) | instid1(VALU_DEP_3)
	v_cmp_lt_i32_e64 s0, v70, v19
	v_cndmask_b32_e32 v52, 0, v52, vcc_lo
	v_cmp_lt_i32_e32 vcc_lo, v7, v16
	s_delay_alu instid0(VALU_DEP_3) | instskip(SKIP_1) | instid1(VALU_DEP_1)
	v_cndmask_b32_e64 v53, 0, v53, s0
	v_cmp_lt_i32_e64 s0, v6, v19
	v_dual_cndmask_b32 v54, 0, v54, vcc_lo :: v_dual_cndmask_b32 v55, 0, v55, s0
	s_branch .LBB222_805
.LBB222_1622:
	s_or_b32 exec_lo, exec_lo, s2
	s_clause 0x1
	scratch_load_b32 v66, off, s32 offset:300
	scratch_load_b32 v53, off, s32 offset:308
	v_mov_b64_e32 v[0:1], s[10:11]
.LBB222_1623:
	s_wait_xcnt 0x0
	s_or_b32 exec_lo, exec_lo, s1
	s_wait_loadcnt 0x0
	s_wait_storecnt 0x0
	s_barrier_signal -1
	s_barrier_wait -1
	scratch_load_b32 v49, off, s32 offset:292 th:TH_LOAD_LU ; 4-byte Folded Reload
	ds_bpermute_b32 v2, v53, v36
	ds_bpermute_b32 v3, v53, v37
	;; [unrolled: 1-line block ×6, first 2 shown]
	v_lshl_add_u64 v[0:1], v[0:1], 2, s[6:7]
	ds_bpermute_b32 v22, v53, v30
	ds_bpermute_b32 v23, v53, v31
	ds_bpermute_b32 v50, v53, v12
	ds_bpermute_b32 v51, v53, v13
	global_load_b32 v48, v[0:1], off
	s_wait_xcnt 0x0
	ds_bpermute_b32 v0, v53, v38
	ds_bpermute_b32 v1, v53, v39
	s_mov_b32 s0, exec_lo
	s_wait_dscnt 0xa
	v_pk_add_f32 v[2:3], v[36:37], v[2:3]
	ds_bpermute_b32 v36, v53, v24
	s_wait_dscnt 0x9
	v_pk_add_f32 v[16:17], v[32:33], v[16:17]
	ds_bpermute_b32 v32, v53, v26
	ds_bpermute_b32 v33, v53, v27
	;; [unrolled: 1-line block ×4, first 2 shown]
	s_wait_dscnt 0xb
	v_pk_add_f32 v[4:5], v[34:35], v[4:5]
	ds_bpermute_b32 v37, v53, v25
	s_wait_dscnt 0xa
	v_pk_add_f32 v[22:23], v[30:31], v[22:23]
	ds_bpermute_b32 v30, v53, v20
	ds_bpermute_b32 v31, v53, v21
	;; [unrolled: 1-line block ×4, first 2 shown]
	s_wait_dscnt 0xa
	v_pk_add_f32 v[0:1], v[38:39], v[0:1]
	ds_bpermute_b32 v54, v66, v22
	ds_bpermute_b32 v55, v66, v23
	;; [unrolled: 1-line block ×6, first 2 shown]
	v_pk_add_f32 v[12:13], v[12:13], v[50:51]
	s_wait_dscnt 0xd
	v_pk_add_f32 v[26:27], v[26:27], v[32:33]
	s_wait_dscnt 0xb
	v_pk_add_f32 v[2:3], v[2:3], v[10:11]
	ds_bpermute_b32 v10, v53, v28
	ds_bpermute_b32 v11, v53, v29
	s_wait_dscnt 0xc
	v_pk_add_f32 v[24:25], v[24:25], v[36:37]
	ds_bpermute_b32 v36, v66, v26
	ds_bpermute_b32 v37, v66, v27
	s_wait_dscnt 0xc
	v_pk_add_f32 v[20:21], v[20:21], v[30:31]
	s_wait_dscnt 0xa
	v_pk_add_f32 v[4:5], v[4:5], v[18:19]
	ds_bpermute_b32 v18, v66, v16
	ds_bpermute_b32 v19, v66, v17
	;; [unrolled: 1-line block ×4, first 2 shown]
	s_wait_dscnt 0xc
	v_pk_add_f32 v[50:51], v[22:23], v[54:55]
	s_wait_dscnt 0xa
	v_pk_add_f32 v[14:15], v[14:15], v[38:39]
	s_wait_dscnt 0x8
	v_pk_add_f32 v[0:1], v[0:1], v[6:7]
	ds_bpermute_b32 v38, v66, v12
	ds_bpermute_b32 v39, v66, v13
	s_wait_dscnt 0x8
	v_pk_add_f32 v[10:11], v[28:29], v[10:11]
	ds_bpermute_b32 v28, v53, v8
	ds_bpermute_b32 v29, v53, v9
	s_wait_dscnt 0x8
	v_pk_add_f32 v[26:27], v[26:27], v[36:37]
	;; [unrolled: 4-line block ×5, first 2 shown]
	s_wait_dscnt 0x6
	v_pk_add_f32 v[8:9], v[8:9], v[28:29]
	s_wait_dscnt 0x4
	v_pk_add_f32 v[10:11], v[10:11], v[32:33]
	ds_bpermute_b32 v22, v66, v8
	ds_bpermute_b32 v23, v66, v9
	s_wait_dscnt 0x4
	v_pk_add_f32 v[66:67], v[20:21], v[16:17]
	s_wait_dscnt 0x2
	v_pk_add_f32 v[70:71], v[14:15], v[18:19]
	;; [unrolled: 2-line block ×3, first 2 shown]
	s_wait_loadcnt 0x1
	ds_bpermute_b32 v6, v49, v0
	ds_bpermute_b32 v7, v49, v1
	;; [unrolled: 1-line block ×21, first 2 shown]
	s_wait_dscnt 0x13
	v_pk_add_f32 v[20:21], v[0:1], v[6:7]
	scratch_load_b32 v0, off, s32 offset:940 ; 4-byte Folded Reload
	s_wait_dscnt 0x11
	v_pk_add_f32 v[8:9], v[26:27], v[64:65]
	scratch_load_b32 v26, off, s32 offset:944 th:TH_LOAD_LU ; 4-byte Folded Reload
	ds_bpermute_b32 v85, v49, v39
	ds_bpermute_b32 v24, v49, v22
	;; [unrolled: 1-line block ×3, first 2 shown]
	s_wait_dscnt 0x12
	v_pk_add_f32 v[18:19], v[2:3], v[34:35]
	s_wait_dscnt 0x10
	v_pk_add_f32 v[16:17], v[4:5], v[52:53]
	;; [unrolled: 2-line block ×8, first 2 shown]
	s_wait_loadcnt 0x1
	v_and_b32_e32 v27, 0x3c7, v0
	s_wait_dscnt 0x2
	v_pk_add_f32 v[0:1], v[38:39], v[84:85]
	s_wait_loadcnt 0x0
	v_lshrrev_b32_e32 v26, 3, v26
	v_cmpx_ne_u32_e32 64, v27
	s_xor_b32 s0, exec_lo, s0
	s_delay_alu instid0(SALU_CYCLE_1)
	s_or_saveexec_b32 s0, s0
	s_wait_dscnt 0x0
	v_pk_add_f32 v[22:23], v[22:23], v[24:25]
	scratch_load_b32 v24, off, s32 offset:948 th:TH_LOAD_LU ; 4-byte Folded Reload
	v_lshl_add_u32 v25, v26, 2, v48
	s_wait_loadcnt 0x0
	v_mul_u32_u24_e32 v24, 0x180, v24
	s_xor_b32 exec_lo, exec_lo, s0
	s_cbranch_execz .LBB222_1625
; %bb.1624:
	s_delay_alu instid0(VALU_DEP_1) | instskip(NEXT) | instid1(VALU_DEP_1)
	v_add_nc_u32_e32 v27, v25, v24
	v_add_nc_u32_e32 v28, 0xfffffd00, v27
	v_add_nc_u32_e32 v29, 0xfffffd10, v27
	v_add_nc_u32_e32 v30, 0xfffffd20, v27
	v_add_nc_u32_e32 v31, 0xfffffd30, v27
	v_add_nc_u32_e32 v32, 0xfffffd40, v27
	v_add_nc_u32_e32 v33, 0xfffffd50, v27
	v_add_nc_u32_e32 v34, 0xfffffd60, v27
	v_add_nc_u32_e32 v35, 0xfffffd70, v27
	ds_store_b32 v28, v20
	ds_store_b32 v29, v21
	;; [unrolled: 1-line block ×8, first 2 shown]
	v_add_nc_u32_e32 v28, 0xfffffd80, v27
	v_add_nc_u32_e32 v29, 0xfffffd90, v27
	;; [unrolled: 1-line block ×8, first 2 shown]
	ds_store_b32 v28, v12
	ds_store_b32 v29, v13
	;; [unrolled: 1-line block ×8, first 2 shown]
	v_add_nc_u32_e32 v28, 0xfffffe00, v27
	v_add_nc_u32_e32 v29, 0xfffffe10, v27
	;; [unrolled: 1-line block ×8, first 2 shown]
	ds_store_b32 v28, v6
	ds_store_b32 v29, v7
	;; [unrolled: 1-line block ×8, first 2 shown]
.LBB222_1625:
	s_or_b32 exec_lo, exec_lo, s0
	v_lshlrev_b32_e32 v26, 2, v26
	scratch_load_b32 v27, off, s32 offset:284 th:TH_LOAD_LU ; 4-byte Folded Reload
	s_mov_b32 s1, exec_lo
	v_add3_u32 v24, v48, v24, v26
	scratch_load_b32 v26, off, s32 offset:940 ; 4-byte Folded Reload
	s_wait_loadcnt_dscnt 0x0
	s_barrier_signal -1
	s_barrier_wait -1
	v_cmp_eq_u32_e32 vcc_lo, 0, v27
	v_cmpx_gt_u32_e32 64, v26
	s_cbranch_execz .LBB222_1652
; %bb.1626:
	s_and_saveexec_b32 s0, vcc_lo
	s_cbranch_execnz .LBB222_1684
; %bb.1627:
	s_or_b32 exec_lo, exec_lo, s0
	s_and_saveexec_b32 s0, vcc_lo
	s_cbranch_execnz .LBB222_1685
.LBB222_1628:
	s_or_b32 exec_lo, exec_lo, s0
	s_and_saveexec_b32 s0, vcc_lo
	s_cbranch_execnz .LBB222_1686
.LBB222_1629:
	s_or_b32 exec_lo, exec_lo, s0
	s_and_saveexec_b32 s0, vcc_lo
	s_cbranch_execnz .LBB222_1687
.LBB222_1630:
	s_or_b32 exec_lo, exec_lo, s0
	s_and_saveexec_b32 s0, vcc_lo
	s_cbranch_execnz .LBB222_1688
.LBB222_1631:
	s_or_b32 exec_lo, exec_lo, s0
	s_and_saveexec_b32 s0, vcc_lo
	s_cbranch_execnz .LBB222_1689
.LBB222_1632:
	s_or_b32 exec_lo, exec_lo, s0
	s_and_saveexec_b32 s0, vcc_lo
	s_cbranch_execnz .LBB222_1690
.LBB222_1633:
	s_or_b32 exec_lo, exec_lo, s0
	s_and_saveexec_b32 s0, vcc_lo
	s_cbranch_execnz .LBB222_1691
.LBB222_1634:
	s_or_b32 exec_lo, exec_lo, s0
	s_and_saveexec_b32 s0, vcc_lo
	s_cbranch_execnz .LBB222_1692
.LBB222_1635:
	s_or_b32 exec_lo, exec_lo, s0
	s_and_saveexec_b32 s0, vcc_lo
	s_cbranch_execnz .LBB222_1693
.LBB222_1636:
	s_or_b32 exec_lo, exec_lo, s0
	s_and_saveexec_b32 s0, vcc_lo
	s_cbranch_execnz .LBB222_1694
.LBB222_1637:
	s_or_b32 exec_lo, exec_lo, s0
	s_and_saveexec_b32 s0, vcc_lo
	s_cbranch_execnz .LBB222_1695
.LBB222_1638:
	s_or_b32 exec_lo, exec_lo, s0
	s_and_saveexec_b32 s0, vcc_lo
	s_cbranch_execnz .LBB222_1696
.LBB222_1639:
	s_or_b32 exec_lo, exec_lo, s0
	s_and_saveexec_b32 s0, vcc_lo
	s_cbranch_execnz .LBB222_1697
.LBB222_1640:
	s_or_b32 exec_lo, exec_lo, s0
	s_and_saveexec_b32 s0, vcc_lo
	s_cbranch_execnz .LBB222_1698
.LBB222_1641:
	s_or_b32 exec_lo, exec_lo, s0
	s_and_saveexec_b32 s0, vcc_lo
	s_cbranch_execnz .LBB222_1699
.LBB222_1642:
	s_or_b32 exec_lo, exec_lo, s0
	s_and_saveexec_b32 s0, vcc_lo
	s_cbranch_execnz .LBB222_1700
.LBB222_1643:
	s_or_b32 exec_lo, exec_lo, s0
	s_and_saveexec_b32 s0, vcc_lo
	s_cbranch_execnz .LBB222_1701
.LBB222_1644:
	s_or_b32 exec_lo, exec_lo, s0
	s_and_saveexec_b32 s0, vcc_lo
	s_cbranch_execnz .LBB222_1702
.LBB222_1645:
	s_or_b32 exec_lo, exec_lo, s0
	s_and_saveexec_b32 s0, vcc_lo
	s_cbranch_execnz .LBB222_1703
.LBB222_1646:
	s_or_b32 exec_lo, exec_lo, s0
	s_and_saveexec_b32 s0, vcc_lo
	s_cbranch_execnz .LBB222_1704
.LBB222_1647:
	s_or_b32 exec_lo, exec_lo, s0
	s_and_saveexec_b32 s0, vcc_lo
	s_cbranch_execnz .LBB222_1705
.LBB222_1648:
	s_or_b32 exec_lo, exec_lo, s0
	s_and_saveexec_b32 s0, vcc_lo
	s_cbranch_execnz .LBB222_1706
.LBB222_1649:
	s_or_b32 exec_lo, exec_lo, s0
	s_and_saveexec_b32 s0, vcc_lo
	s_cbranch_execz .LBB222_1651
.LBB222_1650:
	ds_load_b32 v26, v24 offset:368
	s_wait_dscnt 0x0
	v_add_f32_e32 v23, v26, v23
.LBB222_1651:
	s_or_b32 exec_lo, exec_lo, s0
.LBB222_1652:
	s_delay_alu instid0(SALU_CYCLE_1)
	s_or_b32 exec_lo, exec_lo, s1
	scratch_load_b32 v26, off, s32 offset:940 ; 4-byte Folded Reload
	s_mov_b32 s1, exec_lo
	s_wait_loadcnt 0x0
	s_barrier_signal -1
	s_barrier_wait -1
	v_and_b32_e32 v26, 0x3e7, v26
	s_wait_xcnt 0x0
	s_delay_alu instid0(VALU_DEP_1)
	v_cmpx_eq_u32_e32 32, v26
	s_cbranch_execz .LBB222_1654
; %bb.1653:
	ds_store_2addr_b32 v25, v20, v21 offset1:4
	ds_store_2addr_b32 v25, v18, v19 offset0:8 offset1:12
	ds_store_2addr_b32 v25, v16, v17 offset0:16 offset1:20
	;; [unrolled: 1-line block ×11, first 2 shown]
.LBB222_1654:
	s_or_b32 exec_lo, exec_lo, s1
	scratch_load_b32 v25, off, s32 offset:940 ; 4-byte Folded Reload
	s_mov_b32 s1, exec_lo
	s_wait_loadcnt_dscnt 0x0
	s_barrier_signal -1
	s_barrier_wait -1
	v_cmpx_gt_u32_e32 32, v25
	s_cbranch_execz .LBB222_1681
; %bb.1655:
	s_and_saveexec_b32 s0, vcc_lo
	s_cbranch_execnz .LBB222_1707
; %bb.1656:
	s_or_b32 exec_lo, exec_lo, s0
	s_and_saveexec_b32 s0, vcc_lo
	s_cbranch_execnz .LBB222_1708
.LBB222_1657:
	s_or_b32 exec_lo, exec_lo, s0
	s_and_saveexec_b32 s0, vcc_lo
	s_cbranch_execnz .LBB222_1709
.LBB222_1658:
	s_or_b32 exec_lo, exec_lo, s0
	s_and_saveexec_b32 s0, vcc_lo
	s_cbranch_execnz .LBB222_1710
.LBB222_1659:
	s_or_b32 exec_lo, exec_lo, s0
	s_and_saveexec_b32 s0, vcc_lo
	s_cbranch_execnz .LBB222_1711
.LBB222_1660:
	s_or_b32 exec_lo, exec_lo, s0
	s_and_saveexec_b32 s0, vcc_lo
	s_cbranch_execnz .LBB222_1712
.LBB222_1661:
	s_or_b32 exec_lo, exec_lo, s0
	s_and_saveexec_b32 s0, vcc_lo
	s_cbranch_execnz .LBB222_1713
.LBB222_1662:
	s_or_b32 exec_lo, exec_lo, s0
	s_and_saveexec_b32 s0, vcc_lo
	s_cbranch_execnz .LBB222_1714
.LBB222_1663:
	s_or_b32 exec_lo, exec_lo, s0
	s_and_saveexec_b32 s0, vcc_lo
	s_cbranch_execnz .LBB222_1715
.LBB222_1664:
	s_or_b32 exec_lo, exec_lo, s0
	s_and_saveexec_b32 s0, vcc_lo
	s_cbranch_execnz .LBB222_1716
.LBB222_1665:
	s_or_b32 exec_lo, exec_lo, s0
	s_and_saveexec_b32 s0, vcc_lo
	s_cbranch_execnz .LBB222_1717
.LBB222_1666:
	s_or_b32 exec_lo, exec_lo, s0
	s_and_saveexec_b32 s0, vcc_lo
	s_cbranch_execnz .LBB222_1718
.LBB222_1667:
	s_or_b32 exec_lo, exec_lo, s0
	s_and_saveexec_b32 s0, vcc_lo
	s_cbranch_execnz .LBB222_1719
.LBB222_1668:
	s_or_b32 exec_lo, exec_lo, s0
	s_and_saveexec_b32 s0, vcc_lo
	s_cbranch_execnz .LBB222_1720
.LBB222_1669:
	s_or_b32 exec_lo, exec_lo, s0
	s_and_saveexec_b32 s0, vcc_lo
	s_cbranch_execnz .LBB222_1721
.LBB222_1670:
	s_or_b32 exec_lo, exec_lo, s0
	s_and_saveexec_b32 s0, vcc_lo
	s_cbranch_execnz .LBB222_1722
.LBB222_1671:
	s_or_b32 exec_lo, exec_lo, s0
	s_and_saveexec_b32 s0, vcc_lo
	s_cbranch_execnz .LBB222_1723
.LBB222_1672:
	s_or_b32 exec_lo, exec_lo, s0
	s_and_saveexec_b32 s0, vcc_lo
	s_cbranch_execnz .LBB222_1724
.LBB222_1673:
	s_or_b32 exec_lo, exec_lo, s0
	s_and_saveexec_b32 s0, vcc_lo
	s_cbranch_execnz .LBB222_1725
.LBB222_1674:
	s_or_b32 exec_lo, exec_lo, s0
	s_and_saveexec_b32 s0, vcc_lo
	s_cbranch_execnz .LBB222_1726
.LBB222_1675:
	s_or_b32 exec_lo, exec_lo, s0
	s_and_saveexec_b32 s0, vcc_lo
	s_cbranch_execnz .LBB222_1727
.LBB222_1676:
	s_or_b32 exec_lo, exec_lo, s0
	s_and_saveexec_b32 s0, vcc_lo
	s_cbranch_execnz .LBB222_1728
.LBB222_1677:
	s_or_b32 exec_lo, exec_lo, s0
	s_and_saveexec_b32 s0, vcc_lo
	s_cbranch_execnz .LBB222_1729
.LBB222_1678:
	s_or_b32 exec_lo, exec_lo, s0
	s_and_saveexec_b32 s0, vcc_lo
	s_cbranch_execz .LBB222_1680
.LBB222_1679:
	ds_load_b32 v24, v24 offset:368
	s_wait_dscnt 0x0
	v_add_f32_e32 v23, v24, v23
.LBB222_1680:
	s_or_b32 exec_lo, exec_lo, s0
.LBB222_1681:
	s_delay_alu instid0(SALU_CYCLE_1)
	s_or_b32 exec_lo, exec_lo, s1
	s_mov_b32 s1, 0
	s_mov_b32 s2, exec_lo
	s_barrier_signal -1
	s_barrier_wait -1
	v_cmpx_eq_u32_e32 0, v26
	s_cbranch_execz .LBB222_1683
; %bb.1682:
	s_clause 0x1
	scratch_load_b64 v[24:25], off, s32 offset:952 th:TH_LOAD_LU
	scratch_load_b32 v26, off, s32 offset:940 th:TH_LOAD_LU
	s_and_b32 s0, 0xffff, s15
	v_mov_b32_e32 v27, 0
	s_cmp_lg_u32 s0, 0
	s_cselect_b32 s0, -1, 0
	s_delay_alu instid0(SALU_CYCLE_1)
	s_cmp_lg_u32 s0, 0
	s_wait_kmcnt 0x0
	s_add_co_ci_u32 s0, s5, 0
	s_bfe_u32 s8, ttmp6, 0x40014
	s_mul_i32 s5, s0, s13
	s_lshr_b32 s3, ttmp7, 16
	s_mul_i32 s5, s5, s14
	s_add_co_i32 s8, s8, 1
	s_mul_i32 s6, s5, 0x60
	s_bfe_u32 s9, ttmp6, 0x40008
	s_ashr_i32 s7, s6, 31
	s_mul_i32 s4, s4, s0
	s_mul_i32 s0, s3, s8
	s_ashr_i32 s5, s4, 31
	s_add_co_i32 s9, s9, s0
	s_cmp_eq_u32 s12, 0
	s_cselect_b32 s0, s3, s9
	s_delay_alu instid0(SALU_CYCLE_1) | instskip(SKIP_4) | instid1(VALU_DEP_2)
	s_mulk_i32 s0, 0x180
	s_wait_loadcnt 0x1
	v_lshl_add_u64 v[24:25], s[6:7], 2, v[24:25]
	s_wait_loadcnt 0x0
	v_lshrrev_b32_e32 v26, 1, v26
	v_lshl_add_u64 v[24:25], s[4:5], 2, v[24:25]
	s_delay_alu instid0(VALU_DEP_1) | instskip(NEXT) | instid1(VALU_DEP_1)
	v_add_nc_u64_e32 v[24:25], s[0:1], v[24:25]
	v_add_nc_u64_e32 v[24:25], v[24:25], v[26:27]
	s_clause 0x17
	flat_store_b32 v[24:25], v20
	flat_store_b32 v[24:25], v21 offset:16
	flat_store_b32 v[24:25], v18 offset:32
	;; [unrolled: 1-line block ×23, first 2 shown]
.LBB222_1683:
	s_wait_xcnt 0x0
	s_or_b32 exec_lo, exec_lo, s2
	s_clause 0x2f
	scratch_load_b32 v127, off, s32
	scratch_load_b32 v126, off, s32 offset:4
	scratch_load_b32 v125, off, s32 offset:8
	;; [unrolled: 1-line block ×47, first 2 shown]
	s_wait_loadcnt_dscnt 0x0
	s_wait_kmcnt 0x0
	s_set_pc_i64 s[30:31]
.LBB222_1684:
	ds_load_b32 v26, v24
	s_wait_dscnt 0x0
	v_add_f32_e32 v20, v26, v20
	s_or_b32 exec_lo, exec_lo, s0
	s_and_saveexec_b32 s0, vcc_lo
	s_cbranch_execz .LBB222_1628
.LBB222_1685:
	ds_load_b32 v26, v24 offset:16
	s_wait_dscnt 0x0
	v_add_f32_e32 v21, v26, v21
	s_or_b32 exec_lo, exec_lo, s0
	s_and_saveexec_b32 s0, vcc_lo
	s_cbranch_execz .LBB222_1629
.LBB222_1686:
	ds_load_b32 v26, v24 offset:32
	s_wait_dscnt 0x0
	v_add_f32_e32 v18, v26, v18
	s_or_b32 exec_lo, exec_lo, s0
	s_and_saveexec_b32 s0, vcc_lo
	s_cbranch_execz .LBB222_1630
.LBB222_1687:
	ds_load_b32 v26, v24 offset:48
	s_wait_dscnt 0x0
	v_add_f32_e32 v19, v26, v19
	s_or_b32 exec_lo, exec_lo, s0
	s_and_saveexec_b32 s0, vcc_lo
	s_cbranch_execz .LBB222_1631
.LBB222_1688:
	ds_load_b32 v26, v24 offset:64
	s_wait_dscnt 0x0
	v_add_f32_e32 v16, v26, v16
	s_or_b32 exec_lo, exec_lo, s0
	s_and_saveexec_b32 s0, vcc_lo
	s_cbranch_execz .LBB222_1632
.LBB222_1689:
	ds_load_b32 v26, v24 offset:80
	s_wait_dscnt 0x0
	v_add_f32_e32 v17, v26, v17
	s_or_b32 exec_lo, exec_lo, s0
	s_and_saveexec_b32 s0, vcc_lo
	s_cbranch_execz .LBB222_1633
.LBB222_1690:
	ds_load_b32 v26, v24 offset:96
	s_wait_dscnt 0x0
	v_add_f32_e32 v14, v26, v14
	s_or_b32 exec_lo, exec_lo, s0
	s_and_saveexec_b32 s0, vcc_lo
	s_cbranch_execz .LBB222_1634
.LBB222_1691:
	ds_load_b32 v26, v24 offset:112
	s_wait_dscnt 0x0
	v_add_f32_e32 v15, v26, v15
	s_or_b32 exec_lo, exec_lo, s0
	s_and_saveexec_b32 s0, vcc_lo
	s_cbranch_execz .LBB222_1635
.LBB222_1692:
	ds_load_b32 v26, v24 offset:128
	s_wait_dscnt 0x0
	v_add_f32_e32 v12, v26, v12
	s_or_b32 exec_lo, exec_lo, s0
	s_and_saveexec_b32 s0, vcc_lo
	s_cbranch_execz .LBB222_1636
.LBB222_1693:
	ds_load_b32 v26, v24 offset:144
	s_wait_dscnt 0x0
	v_add_f32_e32 v13, v26, v13
	s_or_b32 exec_lo, exec_lo, s0
	s_and_saveexec_b32 s0, vcc_lo
	s_cbranch_execz .LBB222_1637
.LBB222_1694:
	ds_load_b32 v26, v24 offset:160
	s_wait_dscnt 0x0
	v_add_f32_e32 v10, v26, v10
	s_or_b32 exec_lo, exec_lo, s0
	s_and_saveexec_b32 s0, vcc_lo
	s_cbranch_execz .LBB222_1638
.LBB222_1695:
	ds_load_b32 v26, v24 offset:176
	s_wait_dscnt 0x0
	v_add_f32_e32 v11, v26, v11
	s_or_b32 exec_lo, exec_lo, s0
	s_and_saveexec_b32 s0, vcc_lo
	s_cbranch_execz .LBB222_1639
.LBB222_1696:
	ds_load_b32 v26, v24 offset:192
	s_wait_dscnt 0x0
	v_add_f32_e32 v8, v26, v8
	s_or_b32 exec_lo, exec_lo, s0
	s_and_saveexec_b32 s0, vcc_lo
	s_cbranch_execz .LBB222_1640
.LBB222_1697:
	ds_load_b32 v26, v24 offset:208
	s_wait_dscnt 0x0
	v_add_f32_e32 v9, v26, v9
	s_or_b32 exec_lo, exec_lo, s0
	s_and_saveexec_b32 s0, vcc_lo
	s_cbranch_execz .LBB222_1641
.LBB222_1698:
	ds_load_b32 v26, v24 offset:224
	s_wait_dscnt 0x0
	v_add_f32_e32 v4, v26, v4
	s_or_b32 exec_lo, exec_lo, s0
	s_and_saveexec_b32 s0, vcc_lo
	s_cbranch_execz .LBB222_1642
.LBB222_1699:
	ds_load_b32 v26, v24 offset:240
	s_wait_dscnt 0x0
	v_add_f32_e32 v5, v26, v5
	s_or_b32 exec_lo, exec_lo, s0
	s_and_saveexec_b32 s0, vcc_lo
	s_cbranch_execz .LBB222_1643
.LBB222_1700:
	ds_load_b32 v26, v24 offset:256
	s_wait_dscnt 0x0
	v_add_f32_e32 v6, v26, v6
	s_or_b32 exec_lo, exec_lo, s0
	s_and_saveexec_b32 s0, vcc_lo
	s_cbranch_execz .LBB222_1644
.LBB222_1701:
	ds_load_b32 v26, v24 offset:272
	s_wait_dscnt 0x0
	v_add_f32_e32 v7, v26, v7
	s_or_b32 exec_lo, exec_lo, s0
	s_and_saveexec_b32 s0, vcc_lo
	s_cbranch_execz .LBB222_1645
.LBB222_1702:
	ds_load_b32 v26, v24 offset:288
	s_wait_dscnt 0x0
	v_add_f32_e32 v2, v26, v2
	s_or_b32 exec_lo, exec_lo, s0
	s_and_saveexec_b32 s0, vcc_lo
	s_cbranch_execz .LBB222_1646
.LBB222_1703:
	ds_load_b32 v26, v24 offset:304
	s_wait_dscnt 0x0
	v_add_f32_e32 v3, v26, v3
	s_or_b32 exec_lo, exec_lo, s0
	s_and_saveexec_b32 s0, vcc_lo
	s_cbranch_execz .LBB222_1647
.LBB222_1704:
	ds_load_b32 v26, v24 offset:320
	s_wait_dscnt 0x0
	v_add_f32_e32 v0, v26, v0
	s_or_b32 exec_lo, exec_lo, s0
	s_and_saveexec_b32 s0, vcc_lo
	s_cbranch_execz .LBB222_1648
.LBB222_1705:
	ds_load_b32 v26, v24 offset:336
	s_wait_dscnt 0x0
	v_add_f32_e32 v1, v26, v1
	s_or_b32 exec_lo, exec_lo, s0
	s_and_saveexec_b32 s0, vcc_lo
	s_cbranch_execz .LBB222_1649
.LBB222_1706:
	ds_load_b32 v26, v24 offset:352
	s_wait_dscnt 0x0
	v_add_f32_e32 v22, v26, v22
	s_or_b32 exec_lo, exec_lo, s0
	s_and_saveexec_b32 s0, vcc_lo
	s_cbranch_execnz .LBB222_1650
	s_branch .LBB222_1651
.LBB222_1707:
	ds_load_b32 v25, v24
	s_wait_dscnt 0x0
	v_add_f32_e32 v20, v25, v20
	s_or_b32 exec_lo, exec_lo, s0
	s_and_saveexec_b32 s0, vcc_lo
	s_cbranch_execz .LBB222_1657
.LBB222_1708:
	ds_load_b32 v25, v24 offset:16
	s_wait_dscnt 0x0
	v_add_f32_e32 v21, v25, v21
	s_or_b32 exec_lo, exec_lo, s0
	s_and_saveexec_b32 s0, vcc_lo
	s_cbranch_execz .LBB222_1658
.LBB222_1709:
	ds_load_b32 v25, v24 offset:32
	s_wait_dscnt 0x0
	v_add_f32_e32 v18, v25, v18
	s_or_b32 exec_lo, exec_lo, s0
	s_and_saveexec_b32 s0, vcc_lo
	s_cbranch_execz .LBB222_1659
.LBB222_1710:
	ds_load_b32 v25, v24 offset:48
	s_wait_dscnt 0x0
	v_add_f32_e32 v19, v25, v19
	s_or_b32 exec_lo, exec_lo, s0
	s_and_saveexec_b32 s0, vcc_lo
	s_cbranch_execz .LBB222_1660
.LBB222_1711:
	ds_load_b32 v25, v24 offset:64
	s_wait_dscnt 0x0
	v_add_f32_e32 v16, v25, v16
	s_or_b32 exec_lo, exec_lo, s0
	s_and_saveexec_b32 s0, vcc_lo
	s_cbranch_execz .LBB222_1661
.LBB222_1712:
	ds_load_b32 v25, v24 offset:80
	s_wait_dscnt 0x0
	v_add_f32_e32 v17, v25, v17
	s_or_b32 exec_lo, exec_lo, s0
	s_and_saveexec_b32 s0, vcc_lo
	s_cbranch_execz .LBB222_1662
.LBB222_1713:
	ds_load_b32 v25, v24 offset:96
	s_wait_dscnt 0x0
	v_add_f32_e32 v14, v25, v14
	s_or_b32 exec_lo, exec_lo, s0
	s_and_saveexec_b32 s0, vcc_lo
	s_cbranch_execz .LBB222_1663
.LBB222_1714:
	ds_load_b32 v25, v24 offset:112
	s_wait_dscnt 0x0
	v_add_f32_e32 v15, v25, v15
	s_or_b32 exec_lo, exec_lo, s0
	s_and_saveexec_b32 s0, vcc_lo
	s_cbranch_execz .LBB222_1664
.LBB222_1715:
	ds_load_b32 v25, v24 offset:128
	s_wait_dscnt 0x0
	v_add_f32_e32 v12, v25, v12
	s_or_b32 exec_lo, exec_lo, s0
	s_and_saveexec_b32 s0, vcc_lo
	s_cbranch_execz .LBB222_1665
.LBB222_1716:
	ds_load_b32 v25, v24 offset:144
	s_wait_dscnt 0x0
	v_add_f32_e32 v13, v25, v13
	s_or_b32 exec_lo, exec_lo, s0
	s_and_saveexec_b32 s0, vcc_lo
	s_cbranch_execz .LBB222_1666
.LBB222_1717:
	ds_load_b32 v25, v24 offset:160
	s_wait_dscnt 0x0
	v_add_f32_e32 v10, v25, v10
	s_or_b32 exec_lo, exec_lo, s0
	s_and_saveexec_b32 s0, vcc_lo
	s_cbranch_execz .LBB222_1667
.LBB222_1718:
	ds_load_b32 v25, v24 offset:176
	s_wait_dscnt 0x0
	v_add_f32_e32 v11, v25, v11
	s_or_b32 exec_lo, exec_lo, s0
	s_and_saveexec_b32 s0, vcc_lo
	s_cbranch_execz .LBB222_1668
.LBB222_1719:
	ds_load_b32 v25, v24 offset:192
	s_wait_dscnt 0x0
	v_add_f32_e32 v8, v25, v8
	s_or_b32 exec_lo, exec_lo, s0
	s_and_saveexec_b32 s0, vcc_lo
	s_cbranch_execz .LBB222_1669
.LBB222_1720:
	ds_load_b32 v25, v24 offset:208
	s_wait_dscnt 0x0
	v_add_f32_e32 v9, v25, v9
	s_or_b32 exec_lo, exec_lo, s0
	s_and_saveexec_b32 s0, vcc_lo
	s_cbranch_execz .LBB222_1670
.LBB222_1721:
	ds_load_b32 v25, v24 offset:224
	s_wait_dscnt 0x0
	v_add_f32_e32 v4, v25, v4
	s_or_b32 exec_lo, exec_lo, s0
	s_and_saveexec_b32 s0, vcc_lo
	s_cbranch_execz .LBB222_1671
.LBB222_1722:
	ds_load_b32 v25, v24 offset:240
	s_wait_dscnt 0x0
	v_add_f32_e32 v5, v25, v5
	s_or_b32 exec_lo, exec_lo, s0
	s_and_saveexec_b32 s0, vcc_lo
	s_cbranch_execz .LBB222_1672
.LBB222_1723:
	ds_load_b32 v25, v24 offset:256
	s_wait_dscnt 0x0
	v_add_f32_e32 v6, v25, v6
	s_or_b32 exec_lo, exec_lo, s0
	s_and_saveexec_b32 s0, vcc_lo
	s_cbranch_execz .LBB222_1673
.LBB222_1724:
	ds_load_b32 v25, v24 offset:272
	s_wait_dscnt 0x0
	v_add_f32_e32 v7, v25, v7
	s_or_b32 exec_lo, exec_lo, s0
	s_and_saveexec_b32 s0, vcc_lo
	s_cbranch_execz .LBB222_1674
.LBB222_1725:
	ds_load_b32 v25, v24 offset:288
	s_wait_dscnt 0x0
	v_add_f32_e32 v2, v25, v2
	s_or_b32 exec_lo, exec_lo, s0
	s_and_saveexec_b32 s0, vcc_lo
	s_cbranch_execz .LBB222_1675
.LBB222_1726:
	ds_load_b32 v25, v24 offset:304
	s_wait_dscnt 0x0
	v_add_f32_e32 v3, v25, v3
	s_or_b32 exec_lo, exec_lo, s0
	s_and_saveexec_b32 s0, vcc_lo
	s_cbranch_execz .LBB222_1676
.LBB222_1727:
	ds_load_b32 v25, v24 offset:320
	s_wait_dscnt 0x0
	v_add_f32_e32 v0, v25, v0
	s_or_b32 exec_lo, exec_lo, s0
	s_and_saveexec_b32 s0, vcc_lo
	s_cbranch_execz .LBB222_1677
.LBB222_1728:
	ds_load_b32 v25, v24 offset:336
	s_wait_dscnt 0x0
	v_add_f32_e32 v1, v25, v1
	s_or_b32 exec_lo, exec_lo, s0
	s_and_saveexec_b32 s0, vcc_lo
	s_cbranch_execz .LBB222_1678
.LBB222_1729:
	ds_load_b32 v25, v24 offset:352
	s_wait_dscnt 0x0
	v_add_f32_e32 v22, v25, v22
	s_or_b32 exec_lo, exec_lo, s0
	s_and_saveexec_b32 s0, vcc_lo
	s_cbranch_execnz .LBB222_1679
	s_branch .LBB222_1680
.Lfunc_end222:
	.size	_ZN4vllm22paged_attention_kernelIfhLi96ELi32ELi128ELNS_18Fp8KVCacheDataTypeE1ELb0ELi0EEEvPfS2_PT_PKS3_PKT0_S9_ifPKiSB_iPKfiiiSD_SD_iiiii, .Lfunc_end222-_ZN4vllm22paged_attention_kernelIfhLi96ELi32ELi128ELNS_18Fp8KVCacheDataTypeE1ELb0ELi0EEEvPfS2_PT_PKS3_PKT0_S9_ifPKiSB_iPKfiiiSD_SD_iiiii
                                        ; -- End function
	.set .L_ZN4vllm22paged_attention_kernelIfhLi96ELi32ELi128ELNS_18Fp8KVCacheDataTypeE1ELb0ELi0EEEvPfS2_PT_PKS3_PKT0_S9_ifPKiSB_iPKfiiiSD_SD_iiiii.num_vgpr, 128
	.set .L_ZN4vllm22paged_attention_kernelIfhLi96ELi32ELi128ELNS_18Fp8KVCacheDataTypeE1ELb0ELi0EEEvPfS2_PT_PKS3_PKT0_S9_ifPKiSB_iPKfiiiSD_SD_iiiii.num_agpr, 0
	.set .L_ZN4vllm22paged_attention_kernelIfhLi96ELi32ELi128ELNS_18Fp8KVCacheDataTypeE1ELb0ELi0EEEvPfS2_PT_PKS3_PKT0_S9_ifPKiSB_iPKfiiiSD_SD_iiiii.numbered_sgpr, 33
	.set .L_ZN4vllm22paged_attention_kernelIfhLi96ELi32ELi128ELNS_18Fp8KVCacheDataTypeE1ELb0ELi0EEEvPfS2_PT_PKS3_PKT0_S9_ifPKiSB_iPKfiiiSD_SD_iiiii.num_named_barrier, 0
	.set .L_ZN4vllm22paged_attention_kernelIfhLi96ELi32ELi128ELNS_18Fp8KVCacheDataTypeE1ELb0ELi0EEEvPfS2_PT_PKS3_PKT0_S9_ifPKiSB_iPKfiiiSD_SD_iiiii.private_seg_size, 1012
	.set .L_ZN4vllm22paged_attention_kernelIfhLi96ELi32ELi128ELNS_18Fp8KVCacheDataTypeE1ELb0ELi0EEEvPfS2_PT_PKS3_PKT0_S9_ifPKiSB_iPKfiiiSD_SD_iiiii.uses_vcc, 1
	.set .L_ZN4vllm22paged_attention_kernelIfhLi96ELi32ELi128ELNS_18Fp8KVCacheDataTypeE1ELb0ELi0EEEvPfS2_PT_PKS3_PKT0_S9_ifPKiSB_iPKfiiiSD_SD_iiiii.uses_flat_scratch, 1
	.set .L_ZN4vllm22paged_attention_kernelIfhLi96ELi32ELi128ELNS_18Fp8KVCacheDataTypeE1ELb0ELi0EEEvPfS2_PT_PKS3_PKT0_S9_ifPKiSB_iPKfiiiSD_SD_iiiii.has_dyn_sized_stack, 0
	.set .L_ZN4vllm22paged_attention_kernelIfhLi96ELi32ELi128ELNS_18Fp8KVCacheDataTypeE1ELb0ELi0EEEvPfS2_PT_PKS3_PKT0_S9_ifPKiSB_iPKfiiiSD_SD_iiiii.has_recursion, 0
	.set .L_ZN4vllm22paged_attention_kernelIfhLi96ELi32ELi128ELNS_18Fp8KVCacheDataTypeE1ELb0ELi0EEEvPfS2_PT_PKS3_PKT0_S9_ifPKiSB_iPKfiiiSD_SD_iiiii.has_indirect_call, 0
	.section	.AMDGPU.csdata,"",@progbits
; Function info:
; codeLenInByte = 64344
; TotalNumSgprs: 35
; NumVgprs: 128
; ScratchSize: 1012
; MemoryBound: 0
	.section	.text._ZN4vllm25paged_attention_v1_kernelIfhLi96ELi32ELi128ELNS_18Fp8KVCacheDataTypeE1ELb0EEEvPT_PKS2_PKT0_S8_ifPKiSA_iPKfiiiSC_SC_iiiii,"axG",@progbits,_ZN4vllm25paged_attention_v1_kernelIfhLi96ELi32ELi128ELNS_18Fp8KVCacheDataTypeE1ELb0EEEvPT_PKS2_PKT0_S8_ifPKiSA_iPKfiiiSC_SC_iiiii,comdat
	.protected	_ZN4vllm25paged_attention_v1_kernelIfhLi96ELi32ELi128ELNS_18Fp8KVCacheDataTypeE1ELb0EEEvPT_PKS2_PKT0_S8_ifPKiSA_iPKfiiiSC_SC_iiiii ; -- Begin function _ZN4vllm25paged_attention_v1_kernelIfhLi96ELi32ELi128ELNS_18Fp8KVCacheDataTypeE1ELb0EEEvPT_PKS2_PKT0_S8_ifPKiSA_iPKfiiiSC_SC_iiiii
	.globl	_ZN4vllm25paged_attention_v1_kernelIfhLi96ELi32ELi128ELNS_18Fp8KVCacheDataTypeE1ELb0EEEvPT_PKS2_PKT0_S8_ifPKiSA_iPKfiiiSC_SC_iiiii
	.p2align	8
	.type	_ZN4vllm25paged_attention_v1_kernelIfhLi96ELi32ELi128ELNS_18Fp8KVCacheDataTypeE1ELb0EEEvPT_PKS2_PKT0_S8_ifPKiSA_iPKfiiiSC_SC_iiiii,@function
_ZN4vllm25paged_attention_v1_kernelIfhLi96ELi32ELi128ELNS_18Fp8KVCacheDataTypeE1ELb0EEEvPT_PKS2_PKT0_S8_ifPKiSA_iPKfiiiSC_SC_iiiii: ; @_ZN4vllm25paged_attention_v1_kernelIfhLi96ELi32ELi128ELNS_18Fp8KVCacheDataTypeE1ELb0EEEvPT_PKS2_PKT0_S8_ifPKiSA_iPKfiiiSC_SC_iiiii
; %bb.0:
	s_clause 0x5
	s_load_b256 s[12:19], s[0:1], 0x0
	s_load_b128 s[4:7], s[0:1], 0x20
	s_load_b96 s[20:22], s[0:1], 0x30
	s_load_b64 s[10:11], s[0:1], 0x40
	s_load_b96 s[28:30], s[0:1], 0x48
	s_load_b128 s[24:27], s[0:1], 0x58
	v_mov_b32_e32 v31, v0
	s_get_pc_i64 s[2:3]
	s_add_nc_u64 s[2:3], s[2:3], _ZN4vllm22paged_attention_kernelIfhLi96ELi32ELi128ELNS_18Fp8KVCacheDataTypeE1ELb0ELi0EEEvPfS2_PT_PKS3_PKT0_S9_ifPKiSB_iPKfiiiSD_SD_iiiii@rel64+4
	s_add_nc_u64 s[8:9], s[0:1], 0x80
	s_mov_b32 s32, 0
	s_wait_kmcnt 0x0
	v_dual_mov_b32 v0, s12 :: v_dual_mov_b32 v1, s13
	v_dual_mov_b32 v2, s14 :: v_dual_mov_b32 v3, s15
	;; [unrolled: 1-line block ×12, first 2 shown]
	s_mov_b32 s15, 32
	s_swap_pc_i64 s[30:31], s[2:3]
	s_endpgm
	.section	.rodata,"a",@progbits
	.p2align	6, 0x0
	.amdhsa_kernel _ZN4vllm25paged_attention_v1_kernelIfhLi96ELi32ELi128ELNS_18Fp8KVCacheDataTypeE1ELb0EEEvPT_PKS2_PKT0_S8_ifPKiSA_iPKfiiiSC_SC_iiiii
		.amdhsa_group_segment_fixed_size 416
		.amdhsa_private_segment_fixed_size 1012
		.amdhsa_kernarg_size 384
		.amdhsa_user_sgpr_count 2
		.amdhsa_user_sgpr_dispatch_ptr 0
		.amdhsa_user_sgpr_queue_ptr 0
		.amdhsa_user_sgpr_kernarg_segment_ptr 1
		.amdhsa_user_sgpr_dispatch_id 0
		.amdhsa_user_sgpr_kernarg_preload_length 0
		.amdhsa_user_sgpr_kernarg_preload_offset 0
		.amdhsa_user_sgpr_private_segment_size 0
		.amdhsa_wavefront_size32 1
		.amdhsa_uses_dynamic_stack 0
		.amdhsa_enable_private_segment 1
		.amdhsa_system_sgpr_workgroup_id_x 1
		.amdhsa_system_sgpr_workgroup_id_y 1
		.amdhsa_system_sgpr_workgroup_id_z 1
		.amdhsa_system_sgpr_workgroup_info 0
		.amdhsa_system_vgpr_workitem_id 0
		.amdhsa_next_free_vgpr 128
		.amdhsa_next_free_sgpr 33
		.amdhsa_named_barrier_count 0
		.amdhsa_reserve_vcc 1
		.amdhsa_float_round_mode_32 0
		.amdhsa_float_round_mode_16_64 0
		.amdhsa_float_denorm_mode_32 3
		.amdhsa_float_denorm_mode_16_64 3
		.amdhsa_fp16_overflow 0
		.amdhsa_memory_ordered 1
		.amdhsa_forward_progress 1
		.amdhsa_inst_pref_size 2
		.amdhsa_round_robin_scheduling 0
		.amdhsa_exception_fp_ieee_invalid_op 0
		.amdhsa_exception_fp_denorm_src 0
		.amdhsa_exception_fp_ieee_div_zero 0
		.amdhsa_exception_fp_ieee_overflow 0
		.amdhsa_exception_fp_ieee_underflow 0
		.amdhsa_exception_fp_ieee_inexact 0
		.amdhsa_exception_int_div_zero 0
	.end_amdhsa_kernel
	.section	.text._ZN4vllm25paged_attention_v1_kernelIfhLi96ELi32ELi128ELNS_18Fp8KVCacheDataTypeE1ELb0EEEvPT_PKS2_PKT0_S8_ifPKiSA_iPKfiiiSC_SC_iiiii,"axG",@progbits,_ZN4vllm25paged_attention_v1_kernelIfhLi96ELi32ELi128ELNS_18Fp8KVCacheDataTypeE1ELb0EEEvPT_PKS2_PKT0_S8_ifPKiSA_iPKfiiiSC_SC_iiiii,comdat
.Lfunc_end223:
	.size	_ZN4vllm25paged_attention_v1_kernelIfhLi96ELi32ELi128ELNS_18Fp8KVCacheDataTypeE1ELb0EEEvPT_PKS2_PKT0_S8_ifPKiSA_iPKfiiiSC_SC_iiiii, .Lfunc_end223-_ZN4vllm25paged_attention_v1_kernelIfhLi96ELi32ELi128ELNS_18Fp8KVCacheDataTypeE1ELb0EEEvPT_PKS2_PKT0_S8_ifPKiSA_iPKfiiiSC_SC_iiiii
                                        ; -- End function
	.set _ZN4vllm25paged_attention_v1_kernelIfhLi96ELi32ELi128ELNS_18Fp8KVCacheDataTypeE1ELb0EEEvPT_PKS2_PKT0_S8_ifPKiSA_iPKfiiiSC_SC_iiiii.num_vgpr, max(32, .L_ZN4vllm22paged_attention_kernelIfhLi96ELi32ELi128ELNS_18Fp8KVCacheDataTypeE1ELb0ELi0EEEvPfS2_PT_PKS3_PKT0_S9_ifPKiSB_iPKfiiiSD_SD_iiiii.num_vgpr)
	.set _ZN4vllm25paged_attention_v1_kernelIfhLi96ELi32ELi128ELNS_18Fp8KVCacheDataTypeE1ELb0EEEvPT_PKS2_PKT0_S8_ifPKiSA_iPKfiiiSC_SC_iiiii.num_agpr, max(0, .L_ZN4vllm22paged_attention_kernelIfhLi96ELi32ELi128ELNS_18Fp8KVCacheDataTypeE1ELb0ELi0EEEvPfS2_PT_PKS3_PKT0_S9_ifPKiSB_iPKfiiiSD_SD_iiiii.num_agpr)
	.set _ZN4vllm25paged_attention_v1_kernelIfhLi96ELi32ELi128ELNS_18Fp8KVCacheDataTypeE1ELb0EEEvPT_PKS2_PKT0_S8_ifPKiSA_iPKfiiiSC_SC_iiiii.numbered_sgpr, max(33, .L_ZN4vllm22paged_attention_kernelIfhLi96ELi32ELi128ELNS_18Fp8KVCacheDataTypeE1ELb0ELi0EEEvPfS2_PT_PKS3_PKT0_S9_ifPKiSB_iPKfiiiSD_SD_iiiii.numbered_sgpr)
	.set _ZN4vllm25paged_attention_v1_kernelIfhLi96ELi32ELi128ELNS_18Fp8KVCacheDataTypeE1ELb0EEEvPT_PKS2_PKT0_S8_ifPKiSA_iPKfiiiSC_SC_iiiii.num_named_barrier, max(0, .L_ZN4vllm22paged_attention_kernelIfhLi96ELi32ELi128ELNS_18Fp8KVCacheDataTypeE1ELb0ELi0EEEvPfS2_PT_PKS3_PKT0_S9_ifPKiSB_iPKfiiiSD_SD_iiiii.num_named_barrier)
	.set _ZN4vllm25paged_attention_v1_kernelIfhLi96ELi32ELi128ELNS_18Fp8KVCacheDataTypeE1ELb0EEEvPT_PKS2_PKT0_S8_ifPKiSA_iPKfiiiSC_SC_iiiii.private_seg_size, 0+max(.L_ZN4vllm22paged_attention_kernelIfhLi96ELi32ELi128ELNS_18Fp8KVCacheDataTypeE1ELb0ELi0EEEvPfS2_PT_PKS3_PKT0_S9_ifPKiSB_iPKfiiiSD_SD_iiiii.private_seg_size)
	.set _ZN4vllm25paged_attention_v1_kernelIfhLi96ELi32ELi128ELNS_18Fp8KVCacheDataTypeE1ELb0EEEvPT_PKS2_PKT0_S8_ifPKiSA_iPKfiiiSC_SC_iiiii.uses_vcc, or(1, .L_ZN4vllm22paged_attention_kernelIfhLi96ELi32ELi128ELNS_18Fp8KVCacheDataTypeE1ELb0ELi0EEEvPfS2_PT_PKS3_PKT0_S9_ifPKiSB_iPKfiiiSD_SD_iiiii.uses_vcc)
	.set _ZN4vllm25paged_attention_v1_kernelIfhLi96ELi32ELi128ELNS_18Fp8KVCacheDataTypeE1ELb0EEEvPT_PKS2_PKT0_S8_ifPKiSA_iPKfiiiSC_SC_iiiii.uses_flat_scratch, or(0, .L_ZN4vllm22paged_attention_kernelIfhLi96ELi32ELi128ELNS_18Fp8KVCacheDataTypeE1ELb0ELi0EEEvPfS2_PT_PKS3_PKT0_S9_ifPKiSB_iPKfiiiSD_SD_iiiii.uses_flat_scratch)
	.set _ZN4vllm25paged_attention_v1_kernelIfhLi96ELi32ELi128ELNS_18Fp8KVCacheDataTypeE1ELb0EEEvPT_PKS2_PKT0_S8_ifPKiSA_iPKfiiiSC_SC_iiiii.has_dyn_sized_stack, or(0, .L_ZN4vllm22paged_attention_kernelIfhLi96ELi32ELi128ELNS_18Fp8KVCacheDataTypeE1ELb0ELi0EEEvPfS2_PT_PKS3_PKT0_S9_ifPKiSB_iPKfiiiSD_SD_iiiii.has_dyn_sized_stack)
	.set _ZN4vllm25paged_attention_v1_kernelIfhLi96ELi32ELi128ELNS_18Fp8KVCacheDataTypeE1ELb0EEEvPT_PKS2_PKT0_S8_ifPKiSA_iPKfiiiSC_SC_iiiii.has_recursion, or(0, .L_ZN4vllm22paged_attention_kernelIfhLi96ELi32ELi128ELNS_18Fp8KVCacheDataTypeE1ELb0ELi0EEEvPfS2_PT_PKS3_PKT0_S9_ifPKiSB_iPKfiiiSD_SD_iiiii.has_recursion)
	.set _ZN4vllm25paged_attention_v1_kernelIfhLi96ELi32ELi128ELNS_18Fp8KVCacheDataTypeE1ELb0EEEvPT_PKS2_PKT0_S8_ifPKiSA_iPKfiiiSC_SC_iiiii.has_indirect_call, or(0, .L_ZN4vllm22paged_attention_kernelIfhLi96ELi32ELi128ELNS_18Fp8KVCacheDataTypeE1ELb0ELi0EEEvPfS2_PT_PKS3_PKT0_S9_ifPKiSB_iPKfiiiSD_SD_iiiii.has_indirect_call)
	.section	.AMDGPU.csdata,"",@progbits
; Kernel info:
; codeLenInByte = 196
; TotalNumSgprs: 35
; NumVgprs: 128
; ScratchSize: 1012
; MemoryBound: 0
; FloatMode: 240
; IeeeMode: 1
; LDSByteSize: 416 bytes/workgroup (compile time only)
; SGPRBlocks: 0
; VGPRBlocks: 7
; NumSGPRsForWavesPerEU: 35
; NumVGPRsForWavesPerEU: 128
; NamedBarCnt: 0
; Occupancy: 8
; WaveLimiterHint : 1
; COMPUTE_PGM_RSRC2:SCRATCH_EN: 1
; COMPUTE_PGM_RSRC2:USER_SGPR: 2
; COMPUTE_PGM_RSRC2:TRAP_HANDLER: 0
; COMPUTE_PGM_RSRC2:TGID_X_EN: 1
; COMPUTE_PGM_RSRC2:TGID_Y_EN: 1
; COMPUTE_PGM_RSRC2:TGID_Z_EN: 1
; COMPUTE_PGM_RSRC2:TIDIG_COMP_CNT: 0
	.text
	.p2align	2                               ; -- Begin function _ZN4vllm22paged_attention_kernelIfhLi112ELi32ELi128ELNS_18Fp8KVCacheDataTypeE1ELb0ELi0EEEvPfS2_PT_PKS3_PKT0_S9_ifPKiSB_iPKfiiiSD_SD_iiiii
	.type	_ZN4vllm22paged_attention_kernelIfhLi112ELi32ELi128ELNS_18Fp8KVCacheDataTypeE1ELb0ELi0EEEvPfS2_PT_PKS3_PKT0_S9_ifPKiSB_iPKfiiiSD_SD_iiiii,@function
_ZN4vllm22paged_attention_kernelIfhLi112ELi32ELi128ELNS_18Fp8KVCacheDataTypeE1ELb0ELi0EEEvPfS2_PT_PKS3_PKT0_S9_ifPKiSB_iPKfiiiSD_SD_iiiii: ; @_ZN4vllm22paged_attention_kernelIfhLi112ELi32ELi128ELNS_18Fp8KVCacheDataTypeE1ELb0ELi0EEEvPfS2_PT_PKS3_PKT0_S9_ifPKiSB_iPKfiiiSD_SD_iiiii
; %bb.0:
	s_wait_loadcnt_dscnt 0x0
	s_wait_kmcnt 0x0
	s_clause 0x2f
	scratch_store_b32 off, v40, s32 offset:188
	; meta instruction
	scratch_store_b32 off, v41, s32 offset:184
	; meta instruction
	;; [unrolled: 2-line block ×47, first 2 shown]
	scratch_store_b32 off, v127, s32
	s_bfe_u32 s0, ttmp6, 0x4000c
	s_bfe_u32 s2, ttmp6, 0x40010
	s_add_co_i32 s0, s0, 1
	s_and_b32 s1, ttmp6, 15
	s_mul_i32 s0, ttmp9, s0
	s_and_b32 s3, ttmp7, 0xffff
	s_add_co_i32 s2, s2, 1
	s_add_co_i32 s0, s1, s0
	s_mul_i32 s1, s3, s2
	s_bfe_u32 s2, ttmp6, 0x40004
	s_getreg_b32 s12, hwreg(HW_REG_IB_STS2, 6, 4)
	s_add_co_i32 s2, s2, s1
	s_cmp_eq_u32 s12, 0
	s_mov_b32 s1, 0
	s_cselect_b32 s13, s3, s2
	s_cselect_b32 s2, ttmp9, s0
	s_lshl_b32 s0, s13, 2
	s_clause 0x6
	scratch_store_b64 off, v[22:23], s32 offset:1252
	scratch_store_b64 off, v[20:21], s32 offset:740
	;; [unrolled: 1-line block ×4, first 2 shown]
	scratch_store_b32 off, v9, s32 offset:748
	scratch_store_b64 off, v[6:7], s32 offset:1260
	scratch_store_b64 off, v[0:1], s32 offset:1244
	s_wait_xcnt 0x1
	v_add_nc_u64_e32 v[6:7], s[0:1], v[12:13]
	s_wait_xcnt 0x0
	v_mov_b32_e32 v1, 0
	s_clause 0x1
	s_load_u16 s0, s[8:9], 0x12
	s_load_b32 s3, s[8:9], 0x0
	v_dual_mov_b32 v25, v16 :: v_dual_mov_b32 v24, v15
	s_mov_b32 s10, s15
	flat_load_b32 v6, v[6:7]
	s_mov_b32 s4, exec_lo
	s_wait_kmcnt 0x0
	s_cmp_lg_u32 s0, 0
	s_cselect_b32 s0, -1, 0
	s_delay_alu instid0(SALU_CYCLE_1) | instskip(SKIP_1) | instid1(SALU_CYCLE_1)
	s_cmp_lg_u32 s0, 0
	s_add_co_ci_u32 s14, s3, 0
	s_abs_i32 s0, s14
	s_wait_loadcnt_dscnt 0x0
	scratch_store_b64 off, v[6:7], s32 offset:200 ; 8-byte Folded Spill
	s_wait_xcnt 0x0
	v_sub_nc_u32_e32 v6, 0, v8
	global_load_u16 v0, v1, s[8:9] offset:22
	v_max_i32_e32 v6, v8, v6
	v_xor_b32_e32 v8, s14, v8
	s_delay_alu instid0(VALU_DEP_2) | instskip(NEXT) | instid1(VALU_DEP_2)
	v_cvt_f32_u32_e32 v7, v6
	v_ashrrev_i32_e32 v8, 31, v8
	s_delay_alu instid0(VALU_DEP_2) | instskip(SKIP_1) | instid1(TRANS32_DEP_1)
	v_rcp_iflag_f32_e32 v7, v7
	v_nop
	v_mul_f32_e32 v7, 0x4f7ffffe, v7
	v_sub_nc_u32_e32 v9, 0, v6
	s_delay_alu instid0(VALU_DEP_2) | instskip(NEXT) | instid1(VALU_DEP_1)
	v_cvt_u32_f32_e32 v7, v7
	v_mul_lo_u32 v9, v9, v7
	s_delay_alu instid0(VALU_DEP_1) | instskip(NEXT) | instid1(VALU_DEP_1)
	v_mul_hi_u32 v9, v7, v9
	v_add_nc_u32_e32 v7, v7, v9
	s_delay_alu instid0(VALU_DEP_1) | instskip(NEXT) | instid1(VALU_DEP_1)
	v_mul_hi_u32 v7, s0, v7
	v_mul_lo_u32 v9, v7, v6
	s_delay_alu instid0(VALU_DEP_1) | instskip(SKIP_1) | instid1(VALU_DEP_1)
	v_dual_add_nc_u32 v10, 1, v7 :: v_dual_sub_nc_u32 v9, s0, v9
	s_abs_i32 s0, s2
	v_sub_nc_u32_e32 v11, v9, v6
	v_cmp_ge_u32_e32 vcc_lo, v9, v6
	s_delay_alu instid0(VALU_DEP_2) | instskip(NEXT) | instid1(VALU_DEP_1)
	v_dual_cndmask_b32 v7, v7, v10, vcc_lo :: v_dual_cndmask_b32 v9, v9, v11, vcc_lo
	v_add_nc_u32_e32 v10, 1, v7
	s_delay_alu instid0(VALU_DEP_2) | instskip(NEXT) | instid1(VALU_DEP_2)
	v_cmp_ge_u32_e32 vcc_lo, v9, v6
	v_cndmask_b32_e32 v6, v7, v10, vcc_lo
	s_delay_alu instid0(VALU_DEP_1) | instskip(NEXT) | instid1(VALU_DEP_1)
	v_xor_b32_e32 v6, v6, v8
	v_sub_nc_u32_e32 v7, v6, v8
	s_delay_alu instid0(VALU_DEP_1) | instskip(NEXT) | instid1(VALU_DEP_1)
	v_sub_nc_u32_e32 v6, 0, v7
	v_max_i32_e32 v6, v7, v6
	s_delay_alu instid0(VALU_DEP_1) | instskip(SKIP_1) | instid1(VALU_DEP_2)
	v_cvt_f32_u32_e32 v8, v6
	v_sub_nc_u32_e32 v9, 0, v6
	v_rcp_iflag_f32_e32 v8, v8
	v_nop
	s_delay_alu instid0(TRANS32_DEP_1) | instskip(NEXT) | instid1(VALU_DEP_1)
	v_mul_f32_e32 v8, 0x4f7ffffe, v8
	v_cvt_u32_f32_e32 v8, v8
	s_delay_alu instid0(VALU_DEP_1) | instskip(NEXT) | instid1(VALU_DEP_1)
	v_mul_lo_u32 v9, v9, v8
	v_mul_hi_u32 v9, v8, v9
	s_wait_loadcnt 0x0
	v_readfirstlane_b32 s15, v0
	s_delay_alu instid0(VALU_DEP_2)
	v_dual_add_nc_u32 v0, v8, v9 :: v_dual_mov_b32 v8, v1
	scratch_store_b32 off, v8, s32 offset:736 ; 4-byte Folded Spill
	s_wait_xcnt 0x0
	v_cmpx_ne_u64_e32 0, v[24:25]
	s_cbranch_execz .LBB224_2
; %bb.1:
	s_ashr_i32 s3, s2, 31
	s_delay_alu instid0(SALU_CYCLE_1)
	v_lshl_add_u64 v[8:9], s[2:3], 2, v[24:25]
	flat_load_b32 v8, v[8:9]
	s_wait_loadcnt_dscnt 0x0
	scratch_store_b32 off, v8, s32 offset:736 ; 4-byte Folded Spill
.LBB224_2:
	s_wait_xcnt 0x0
	s_or_b32 exec_lo, exec_lo, s4
	v_mul_u64_e32 v[0:1], s[0:1], v[0:1]
	v_and_b32_e32 v9, 0x3ff, v31
	v_ashrrev_i32_e32 v0, 31, v7
	s_ashr_i32 s1, s2, 31
	s_mul_i32 s4, s2, 0x70
	s_delay_alu instid0(VALU_DEP_2) | instskip(SKIP_1) | instid1(SALU_CYCLE_1)
	v_cmp_gt_u32_e32 vcc_lo, 28, v9
	s_mov_b32 s2, exec_lo
	s_and_b32 s3, s2, vcc_lo
	scratch_store_b32 off, v9, s32 offset:1208 ; 4-byte Folded Spill
	s_wait_xcnt 0x0
	s_mov_b32 exec_lo, s3
	s_cbranch_execz .LBB224_4
; %bb.3:
	scratch_load_b32 v7, off, s32 offset:1208 ; 4-byte Folded Reload
	v_mul_lo_u32 v8, v17, s13
	s_ashr_i32 s5, s4, 31
	s_delay_alu instid0(VALU_DEP_1) | instskip(SKIP_2) | instid1(VALU_DEP_2)
	v_dual_mov_b32 v13, 0 :: v_dual_ashrrev_i32 v9, 31, v8
	s_wait_loadcnt 0x0
	v_lshlrev_b32_e32 v12, 4, v7
	v_lshl_add_u64 v[2:3], v[8:9], 2, v[2:3]
	s_delay_alu instid0(VALU_DEP_1) | instskip(NEXT) | instid1(VALU_DEP_1)
	v_lshl_add_u64 v[2:3], s[4:5], 2, v[2:3]
	v_add_nc_u64_e32 v[2:3], v[2:3], v[12:13]
	flat_load_b128 v[8:11], v[2:3]
	s_wait_loadcnt_dscnt 0x0
	ds_store_b128 v12, v[8:11]
	scratch_load_b32 v9, off, s32 offset:1208 ; 4-byte Folded Reload
.LBB224_4:
	s_wait_xcnt 0x0
	s_or_b32 exec_lo, exec_lo, s2
	scratch_load_b64 v[10:11], off, s32 offset:200 ; 8-byte Folded Reload
	v_mul_lo_u32 v2, v1, v6
	s_load_b32 s5, s[8:9], 0x8
	s_get_pc_i64 s[6:7]
	s_add_nc_u64 s[6:7], s[6:7], llvm.amdgcn.dynlds.offset.table@rel64+4
	v_dual_add_nc_u32 v3, 1, v1 :: v_dual_bitop2_b32 v0, s1, v0 bitop3:0x14
	v_mov_b32_e32 v8, 0xff7fffff
	s_delay_alu instid0(VALU_DEP_3) | instskip(NEXT) | instid1(VALU_DEP_1)
	v_sub_nc_u32_e32 v2, s0, v2
	v_cmp_ge_u32_e32 vcc_lo, v2, v6
	s_delay_alu instid0(VALU_DEP_4) | instskip(NEXT) | instid1(VALU_DEP_1)
	v_dual_sub_nc_u32 v7, v2, v6 :: v_dual_cndmask_b32 v1, v1, v3, vcc_lo
	v_dual_cndmask_b32 v2, v2, v7 :: v_dual_add_nc_u32 v3, 1, v1
	s_delay_alu instid0(VALU_DEP_1) | instskip(SKIP_3) | instid1(VALU_DEP_1)
	v_cmp_ge_u32_e32 vcc_lo, v2, v6
	v_mul_lo_u32 v6, v14, s13
	s_wait_loadcnt 0x0
	v_add_nc_u32_e32 v7, 31, v10
	v_ashrrev_i32_e32 v2, 31, v7
	v_dual_cndmask_b32 v1, v1, v3, vcc_lo :: v_dual_lshrrev_b32 v3, 3, v9
	s_delay_alu instid0(VALU_DEP_1) | instskip(NEXT) | instid1(VALU_DEP_1)
	v_dual_lshrrev_b32 v2, 27, v2 :: v_dual_bitop2_b32 v1, v1, v0 bitop3:0x14
	v_dual_sub_nc_u32 v0, v1, v0 :: v_dual_add_nc_u32 v1, v7, v2
	v_dual_ashrrev_i32 v7, 31, v6 :: v_dual_bitop2_b32 v2, 31, v9 bitop3:0x40
	scratch_store_b32 off, v3, s32 offset:1240 ; 4-byte Folded Spill
	v_mul_lo_u32 v10, v0, v19
	v_lshrrev_b32_e32 v0, 5, v9
	v_ashrrev_i32_e32 v1, 5, v1
	s_clause 0x2
	scratch_store_b64 off, v[6:7], s32 offset:1232
	scratch_store_b32 off, v0, s32 offset:1216
	scratch_store_b32 off, v1, s32 offset:208
	v_cmp_ge_i32_e64 s0, v0, v1
	v_cmp_lt_i32_e32 vcc_lo, v0, v1
	s_wait_xcnt 0x1
	v_lshlrev_b32_e32 v0, 2, v2
	scratch_store_b32 off, v2, s32 offset:1212 ; 4-byte Folded Spill
	v_ashrrev_i32_e32 v11, 31, v10
	scratch_store_b32 off, v0, s32 offset:1220 ; 4-byte Folded Spill
	s_wait_storecnt_dscnt 0x0
	s_barrier_signal -1
	s_barrier_wait -1
	s_wait_xcnt 0x0
	s_and_saveexec_b32 s2, vcc_lo
	s_cbranch_execz .LBB224_904
; %bb.5:
	s_clause 0x2
	scratch_load_b32 v2, off, s32 offset:1212
	scratch_load_b32 v61, off, s32 offset:1216
	scratch_store_b64 off, v[10:11], s32 offset:1268
	v_add_nc_u64_e32 v[0:1], v[4:5], v[10:11]
	s_wait_xcnt 0x0
	v_dual_mov_b32 v11, 0 :: v_dual_mov_b32 v8, 0xff7fffff
	s_ashr_i32 s11, s10, 31
	s_mov_b32 s3, 0
	s_lshl_b64 s[8:9], s[10:11], 2
	ds_load_b128 v[4:7], v11
	ds_load_b128 v[12:15], v11 offset:128
	s_add_nc_u64 s[8:9], s[6:7], s[8:9]
	s_load_b32 s1, s[8:9], 0x0
	s_wait_dscnt 0x1
	scratch_store_b128 off, v[4:7], s32 offset:760 ; 16-byte Folded Spill
	s_wait_dscnt 0x0
	scratch_store_b128 off, v[12:15], s32 offset:888 ; 16-byte Folded Spill
	s_wait_xcnt 0x1
	ds_load_b128 v[4:7], v11 offset:16
	s_wait_xcnt 0x0
	ds_load_b128 v[12:15], v11 offset:144
	s_wait_dscnt 0x1
	scratch_store_b128 off, v[4:7], s32 offset:776 ; 16-byte Folded Spill
	s_wait_dscnt 0x0
	scratch_store_b128 off, v[12:15], s32 offset:904 ; 16-byte Folded Spill
	s_wait_xcnt 0x1
	ds_load_b128 v[4:7], v11 offset:32
	s_wait_xcnt 0x0
	ds_load_b128 v[12:15], v11 offset:160
	;; [unrolled: 8-line block ×7, first 2 shown]
	s_wait_dscnt 0x1
	s_clause 0x2
	scratch_store_b128 off, v[4:7], s32 offset:872
	scratch_load_b64 v[4:5], off, s32 offset:1224
	scratch_load_b32 v3, off, s32 offset:736
	s_wait_loadcnt 0x3
	v_lshlrev_b32_e32 v10, 4, v2
	s_wait_loadcnt 0x2
	v_lshl_or_b32 v44, v61, 5, v2
	scratch_load_b32 v2, off, s32 offset:1220 ; 4-byte Folded Reload
	v_add_nc_u64_e32 v[0:1], v[0:1], v[10:11]
	s_clause 0x1
	scratch_store_b64 off, v[0:1], s32 offset:752
	scratch_load_b32 v0, off, s32 offset:1240
	s_wait_loadcnt 0x2
	v_cmp_neq_f32_e32 vcc_lo, 0, v3
	s_wait_loadcnt 0x0
	v_and_b32_e32 v10, 0x7c, v0
	scratch_load_b64 v[0:1], off, s32 offset:1232 ; 8-byte Folded Reload
	v_lshl_or_b32 v2, v61, 7, v2
	s_wait_kmcnt 0x0
	s_delay_alu instid0(VALU_DEP_1) | instskip(SKIP_2) | instid1(VALU_DEP_1)
	v_add_nc_u32_e32 v60, s1, v2
	s_wait_loadcnt 0x0
	v_lshl_add_u64 v[0:1], v[0:1], 2, v[10:11]
	v_add_nc_u64_e32 v[4:5], v[4:5], v[0:1]
	v_mov_b32_e32 v1, v11
	s_wait_dscnt 0x0
	scratch_store_b128 off, v[12:15], s32 offset:1000 ; 16-byte Folded Spill
	s_wait_xcnt 0x0
	ds_load_b128 v[12:15], v11 offset:256
	scratch_store_b64 off, v[0:1], s32 offset:192 ; 8-byte Folded Spill
	s_wait_dscnt 0x0
	scratch_store_b128 off, v[12:15], s32 offset:1016 ; 16-byte Folded Spill
	s_wait_xcnt 0x0
	ds_load_b128 v[12:15], v11 offset:272
	s_wait_dscnt 0x0
	scratch_store_b128 off, v[12:15], s32 offset:1032 ; 16-byte Folded Spill
	s_wait_xcnt 0x0
	ds_load_b128 v[12:15], v11 offset:288
	;; [unrolled: 4-line block ×11, first 2 shown]
	s_wait_dscnt 0x0
	scratch_store_b128 off, v[10:13], s32 offset:1192 ; 16-byte Folded Spill
	s_branch .LBB224_10
.LBB224_6:                              ;   in Loop: Header=BB224_10 Depth=1
	s_or_b32 exec_lo, exec_lo, s16
	s_delay_alu instid0(VALU_DEP_1) | instskip(NEXT) | instid1(VALU_DEP_2)
	v_dual_lshlrev_b32 v104, 24, v110 :: v_dual_lshlrev_b32 v10, 20, v8
	v_lshl_add_u32 v17, v17, 23, 0x3c000000
	v_dual_mov_b32 v11, v9 :: v_dual_mov_b32 v106, v9
	s_delay_alu instid0(VALU_DEP_3)
	v_and_b32_e32 v104, 0x80000000, v104
	scratch_store_b64 off, v[10:11], s32 offset:192 ; 8-byte Folded Spill
	v_or3_b32 v107, v10, v104, v17
.LBB224_7:                              ;   in Loop: Header=BB224_10 Depth=1
	s_wait_xcnt 0x0
	s_or_b32 exec_lo, exec_lo, s11
.LBB224_8:                              ;   in Loop: Header=BB224_10 Depth=1
	s_delay_alu instid0(SALU_CYCLE_1)
	s_or_b32 exec_lo, exec_lo, s9
	s_wait_loadcnt 0x1
	scratch_load_b32 v61, off, s32 offset:660 ; 4-byte Folded Reload
	s_wait_loadcnt 0x1
	scratch_load_b32 v44, off, s32 offset:664 ; 4-byte Folded Reload
	v_mov_b32_e32 v60, v16
.LBB224_9:                              ;   in Loop: Header=BB224_10 Depth=1
	s_wait_xcnt 0x0
	s_or_b32 exec_lo, exec_lo, s8
	v_or_b32_e32 v17, v1, v25
	v_or_b32_e32 v16, v0, v24
	scratch_load_b64 v[0:1], off, s32 offset:652 th:TH_LOAD_LU ; 8-byte Folded Reload
	v_or_b32_e32 v9, v109, v123
	v_or_b32_e32 v8, v108, v122
	v_or_b32_e32 v13, v3, v13
	v_or_b32_e32 v12, v2, v12
	v_or_b32_e32 v119, v97, v119
	v_or_b32_e32 v118, v96, v118
	scratch_store_b64 off, v[8:9], s32 offset:704 ; 8-byte Folded Spill
	s_wait_xcnt 0x0
	v_or_b32_e32 v9, v95, v89
	v_or_b32_e32 v8, v94, v88
	v_or_b32_e32 v97, v85, v115
	v_or_b32_e32 v96, v84, v114
	v_or_b32_e32 v85, v65, v87
	v_or_b32_e32 v84, v64, v86
	scratch_store_b64 off, v[8:9], s32 offset:688 ; 8-byte Folded Spill
	s_wait_xcnt 0x0
	;; [unrolled: 8-line block ×3, first 2 shown]
	v_or_b32_e32 v9, v79, v73
	s_wait_loadcnt 0x2
	v_dual_add_nc_u32 v61, 4, v61 :: v_dual_bitop2_b32 v8, v78, v72 bitop3:0x54
	v_or_b32_e32 v33, v29, v51
	v_or_b32_e32 v32, v28, v50
	;; [unrolled: 1-line block ×3, first 2 shown]
	scratch_store_b64 off, v[8:9], s32 offset:696 ; 8-byte Folded Spill
	s_wait_xcnt 0x0
	v_or_b32_e32 v9, v63, v57
	v_or_b32_e32 v8, v62, v56
	;; [unrolled: 1-line block ×6, first 2 shown]
	scratch_store_b64 off, v[8:9], s32 offset:712 ; 8-byte Folded Spill
	s_wait_xcnt 0x0
	v_or_b32_e32 v9, v47, v41
	v_or_b32_e32 v8, v46, v40
	;; [unrolled: 1-line block ×6, first 2 shown]
	scratch_store_b64 off, v[8:9], s32 offset:728 ; 8-byte Folded Spill
	v_or_b32_e32 v68, v48, v70
	v_or_b32_e32 v49, v37, v67
	;; [unrolled: 1-line block ×17, first 2 shown]
	s_wait_loadcnt 0x0
	v_or_b32_e32 v25, v125, v1
	v_or_b32_e32 v24, v124, v0
	s_clause 0x1
	scratch_load_b64 v[0:1], off, s32 offset:620 th:TH_LOAD_LU
	scratch_load_b64 v[2:3], off, s32 offset:628 th:TH_LOAD_LU
	v_pk_mul_f32 v[24:25], v[76:77], v[24:25] op_sel_hi:[0,1]
	s_wait_loadcnt 0x0
	v_or_b32_e32 v29, v1, v3
	v_or_b32_e32 v28, v0, v2
	s_clause 0x1
	scratch_load_b64 v[0:1], off, s32 offset:636 th:TH_LOAD_LU
	scratch_load_b64 v[2:3], off, s32 offset:644 th:TH_LOAD_LU
	v_pk_mul_f32 v[28:29], v[76:77], v[28:29] op_sel_hi:[0,1]
	s_wait_loadcnt 0x0
	v_or_b32_e32 v19, v1, v3
	v_or_b32_e32 v18, v0, v2
	s_clause 0x1
	scratch_load_b64 v[0:1], off, s32 offset:588 th:TH_LOAD_LU
	scratch_load_b64 v[2:3], off, s32 offset:596 th:TH_LOAD_LU
	s_wait_loadcnt 0x0
	v_or_b32_e32 v35, v1, v3
	v_or_b32_e32 v34, v0, v2
	s_clause 0x1
	scratch_load_b64 v[0:1], off, s32 offset:604 th:TH_LOAD_LU
	scratch_load_b64 v[2:3], off, s32 offset:612 th:TH_LOAD_LU
	v_pk_mul_f32 v[34:35], v[76:77], v[34:35] op_sel_hi:[0,1]
	s_wait_loadcnt 0x0
	v_or_b32_e32 v21, v1, v3
	v_or_b32_e32 v20, v0, v2
	s_clause 0x1
	scratch_load_b64 v[0:1], off, s32 offset:556 th:TH_LOAD_LU
	scratch_load_b64 v[2:3], off, s32 offset:564 th:TH_LOAD_LU
	;; [unrolled: 13-line block ×10, first 2 shown]
	v_pk_mul_f32 v[62:63], v[76:77], v[62:63] op_sel_hi:[0,1]
	s_wait_loadcnt 0x0
	v_or_b32_e32 v73, v1, v3
	v_or_b32_e32 v72, v0, v2
	s_clause 0x1
	scratch_load_b64 v[0:1], off, s32 offset:316 th:TH_LOAD_LU
	scratch_load_b64 v[2:3], off, s32 offset:324 th:TH_LOAD_LU
	v_pk_mul_f32 v[72:73], v[76:77], v[72:73] op_sel_hi:[0,1]
	s_wait_loadcnt 0x0
	v_or_b32_e32 v79, v1, v3
	v_or_b32_e32 v78, v0, v2
	s_clause 0x1
	scratch_load_b64 v[0:1], off, s32 offset:268 th:TH_LOAD_LU
	scratch_load_b64 v[2:3], off, s32 offset:276 th:TH_LOAD_LU
	v_pk_mul_f32 v[78:79], v[76:77], v[78:79] op_sel_hi:[0,1]
	s_wait_loadcnt 0x0
	v_or_b32_e32 v89, v1, v3
	v_or_b32_e32 v88, v0, v2
	s_clause 0x1
	scratch_load_b64 v[0:1], off, s32 offset:284 th:TH_LOAD_LU
	scratch_load_b64 v[2:3], off, s32 offset:292 th:TH_LOAD_LU
	v_pk_mul_f32 v[88:89], v[76:77], v[88:89] op_sel_hi:[0,1]
	s_wait_loadcnt 0x0
	v_or_b32_e32 v95, v1, v3
	v_or_b32_e32 v94, v0, v2
	s_clause 0x1
	scratch_load_b64 v[0:1], off, s32 offset:236 th:TH_LOAD_LU
	scratch_load_b64 v[2:3], off, s32 offset:244 th:TH_LOAD_LU
	s_wait_loadcnt 0x0
	v_or_b32_e32 v105, v1, v3
	v_or_b32_e32 v104, v0, v2
	s_clause 0x1
	scratch_load_b64 v[0:1], off, s32 offset:252 th:TH_LOAD_LU
	scratch_load_b64 v[2:3], off, s32 offset:260 th:TH_LOAD_LU
	v_pk_mul_f32 v[92:93], v[76:77], v[104:105] op_sel_hi:[0,1]
	s_wait_loadcnt 0x0
	v_or_b32_e32 v109, v1, v3
	v_or_b32_e32 v108, v0, v2
	scratch_load_b64 v[0:1], off, s32 offset:212 th:TH_LOAD_LU ; 8-byte Folded Reload
	s_wait_loadcnt 0x0
	v_or_b32_e32 v111, v121, v1
	v_or_b32_e32 v110, v120, v0
	s_clause 0x3
	scratch_load_b64 v[0:1], off, s32 offset:220 th:TH_LOAD_LU
	scratch_load_b64 v[2:3], off, s32 offset:228 th:TH_LOAD_LU
	scratch_load_b128 v[124:127], off, s32 offset:776
	scratch_load_b128 v[8:11], off, s32 offset:808
	v_pk_mul_f32 v[104:105], v[76:77], v[110:111] op_sel_hi:[0,1]
	s_wait_loadcnt 0x2
	v_or_b32_e32 v121, v1, v3
	v_or_b32_e32 v120, v0, v2
	scratch_load_b128 v[0:3], off, s32 offset:824 ; 16-byte Folded Reload
	s_wait_loadcnt 0x2
	v_pk_mul_f32 v[92:93], v[124:125], v[92:93]
	scratch_load_b128 v[122:125], off, s32 offset:760 ; 16-byte Folded Reload
	s_wait_loadcnt 0x0
	v_pk_fma_f32 v[92:93], v[122:123], v[104:105], v[92:93]
	scratch_load_b128 v[104:107], off, s32 offset:792 ; 16-byte Folded Reload
	s_wait_loadcnt 0x0
	v_pk_fma_f32 v[88:89], v[104:105], v[88:89], v[92:93]
	s_delay_alu instid0(VALU_DEP_1)
	v_pk_fma_f32 v[72:73], v[8:9], v[72:73], v[88:89]
	v_pk_mul_f32 v[88:89], v[76:77], v[120:121] op_sel_hi:[0,1]
	scratch_load_b128 v[120:123], off, s32 offset:936 ; 16-byte Folded Reload
	v_pk_fma_f32 v[56:57], v[0:1], v[56:57], v[72:73]
	v_pk_mul_f32 v[72:73], v[76:77], v[108:109] op_sel_hi:[0,1]
	scratch_load_b128 v[108:111], off, s32 offset:920 ; 16-byte Folded Reload
	v_pk_mul_f32 v[72:73], v[126:127], v[72:73]
	s_delay_alu instid0(VALU_DEP_1)
	v_pk_fma_f32 v[72:73], v[124:125], v[88:89], v[72:73]
	v_pk_mul_f32 v[88:89], v[76:77], v[94:95] op_sel_hi:[0,1]
	s_clause 0x1
	scratch_load_b128 v[92:95], off, s32 offset:872
	scratch_load_b128 v[124:127], off, s32 offset:952
	v_pk_fma_f32 v[72:73], v[106:107], v[88:89], v[72:73]
	s_clause 0x1
	scratch_load_b128 v[104:107], off, s32 offset:888
	scratch_load_b128 v[88:91], off, s32 offset:968
	v_pk_fma_f32 v[72:73], v[10:11], v[78:79], v[72:73]
	scratch_load_b128 v[8:11], off, s32 offset:856 ; 16-byte Folded Reload
	v_pk_fma_f32 v[62:63], v[2:3], v[62:63], v[72:73]
	s_clause 0x1
	scratch_load_b128 v[0:3], off, s32 offset:840
	scratch_load_b128 v[72:75], off, s32 offset:1000
	s_wait_loadcnt 0x1
	v_pk_fma_f32 v[42:43], v[0:1], v[42:43], v[56:57]
	s_delay_alu instid0(VALU_DEP_1) | instskip(NEXT) | instid1(VALU_DEP_1)
	v_pk_fma_f32 v[114:115], v[8:9], v[114:115], v[42:43]
	v_pk_fma_f32 v[102:103], v[92:93], v[102:103], v[114:115]
	s_delay_alu instid0(VALU_DEP_1)
	v_pk_fma_f32 v[98:99], v[104:105], v[98:99], v[102:103]
	scratch_load_b128 v[102:105], off, s32 offset:904 ; 16-byte Folded Reload
	s_wait_loadcnt 0x0
	v_pk_fma_f32 v[82:83], v[102:103], v[82:83], v[98:99]
	v_mov_b32_e32 v102, v76
	scratch_load_b128 v[76:79], off, s32 offset:984 ; 16-byte Folded Reload
	v_pk_fma_f32 v[66:67], v[108:109], v[66:67], v[82:83]
	v_pk_mul_f32 v[12:13], v[102:103], v[12:13] op_sel_hi:[0,1]
	v_pk_mul_f32 v[20:21], v[102:103], v[20:21] op_sel_hi:[0,1]
	;; [unrolled: 1-line block ×4, first 2 shown]
	v_pk_fma_f32 v[50:51], v[120:121], v[50:51], v[66:67]
	v_pk_mul_f32 v[6:7], v[102:103], v[6:7] op_sel_hi:[0,1]
	s_delay_alu instid0(VALU_DEP_2) | instskip(NEXT) | instid1(VALU_DEP_1)
	v_pk_fma_f32 v[34:35], v[124:125], v[34:35], v[50:51]
	v_pk_fma_f32 v[28:29], v[88:89], v[28:29], v[34:35]
	s_wait_loadcnt 0x0
	s_delay_alu instid0(VALU_DEP_1) | instskip(SKIP_1) | instid1(VALU_DEP_2)
	v_pk_fma_f32 v[24:25], v[76:77], v[24:25], v[28:29]
	v_pk_mul_f32 v[28:29], v[102:103], v[40:41] op_sel_hi:[0,1]
	v_pk_fma_f32 v[12:13], v[72:73], v[12:13], v[24:25]
	v_pk_mul_f32 v[24:25], v[102:103], v[46:47] op_sel_hi:[0,1]
	s_delay_alu instid0(VALU_DEP_1)
	v_pk_fma_f32 v[24:25], v[2:3], v[24:25], v[62:63]
	v_pk_mul_f32 v[2:3], v[102:103], v[4:5] op_sel_hi:[0,1]
	scratch_load_b64 v[4:5], off, s32 offset:720 th:TH_LOAD_LU ; 8-byte Folded Reload
	v_pk_fma_f32 v[24:25], v[10:11], v[28:29], v[24:25]
	scratch_load_b128 v[8:11], off, s32 offset:1016 ; 16-byte Folded Reload
	v_pk_mul_f32 v[28:29], v[102:103], v[86:87] op_sel_hi:[0,1]
	s_delay_alu instid0(VALU_DEP_1) | instskip(SKIP_1) | instid1(VALU_DEP_1)
	v_pk_fma_f32 v[24:25], v[94:95], v[28:29], v[24:25]
	v_pk_mul_f32 v[28:29], v[102:103], v[70:71] op_sel_hi:[0,1]
	v_pk_fma_f32 v[24:25], v[106:107], v[28:29], v[24:25]
	v_pk_mul_f32 v[28:29], v[102:103], v[54:55] op_sel_hi:[0,1]
	s_delay_alu instid0(VALU_DEP_1) | instskip(SKIP_4) | instid1(VALU_DEP_1)
	v_pk_fma_f32 v[24:25], v[104:105], v[28:29], v[24:25]
	v_pk_mul_f32 v[28:29], v[102:103], v[38:39] op_sel_hi:[0,1]
	scratch_load_b128 v[38:41], off, s32 offset:1176 ; 16-byte Folded Reload
	v_pk_fma_f32 v[24:25], v[110:111], v[28:29], v[24:25]
	v_pk_mul_f32 v[28:29], v[102:103], v[30:31] op_sel_hi:[0,1]
	v_pk_fma_f32 v[24:25], v[122:123], v[28:29], v[24:25]
	scratch_load_b128 v[28:31], off, s32 offset:1064 ; 16-byte Folded Reload
	v_pk_fma_f32 v[20:21], v[126:127], v[20:21], v[24:25]
	s_delay_alu instid0(VALU_DEP_1) | instskip(NEXT) | instid1(VALU_DEP_1)
	v_pk_fma_f32 v[18:19], v[90:91], v[18:19], v[20:21]
	v_pk_fma_f32 v[2:3], v[78:79], v[2:3], v[18:19]
	scratch_load_b128 v[16:19], off, s32 offset:1032 ; 16-byte Folded Reload
	v_pk_fma_f32 v[0:1], v[74:75], v[0:1], v[2:3]
	v_pk_mul_f32 v[2:3], v[102:103], v[22:23] op_sel_hi:[0,1]
	scratch_load_b128 v[20:23], off, s32 offset:1048 ; 16-byte Folded Reload
	s_wait_loadcnt 0x4
	v_pk_fma_f32 v[2:3], v[8:9], v[2:3], v[12:13]
	v_pk_mul_f32 v[12:13], v[102:103], v[36:37] op_sel_hi:[0,1]
	scratch_load_b128 v[34:37], off, s32 offset:1080 ; 16-byte Folded Reload
	s_wait_loadcnt 0x2
	;; [unrolled: 4-line block ×3, first 2 shown]
	v_pk_fma_f32 v[2:3], v[20:21], v[12:13], v[2:3]
	v_pk_mul_f32 v[12:13], v[102:103], v[68:69] op_sel_hi:[0,1]
	scratch_load_b128 v[66:69], off, s32 offset:1112 ; 16-byte Folded Reload
	v_pk_fma_f32 v[2:3], v[28:29], v[12:13], v[2:3]
	v_pk_mul_f32 v[12:13], v[102:103], v[84:85] op_sel_hi:[0,1]
	scratch_load_b128 v[82:85], off, s32 offset:1128 ; 16-byte Folded Reload
	s_wait_loadcnt 0x3
	v_pk_fma_f32 v[2:3], v[34:35], v[12:13], v[2:3]
	v_pk_mul_f32 v[12:13], v[102:103], v[100:101] op_sel_hi:[0,1]
	scratch_load_b128 v[98:101], off, s32 offset:1144 ; 16-byte Folded Reload
	s_wait_loadcnt 0x3
	v_pk_fma_f32 v[2:3], v[50:51], v[12:13], v[2:3]
	v_pk_mul_f32 v[12:13], v[102:103], v[118:119] op_sel_hi:[0,1]
	s_wait_loadcnt 0x2
	s_delay_alu instid0(VALU_DEP_1)
	v_pk_fma_f32 v[2:3], v[66:67], v[12:13], v[2:3]
	v_pk_mul_f32 v[12:13], v[102:103], v[116:117] op_sel_hi:[0,1]
	scratch_load_b128 v[114:117], off, s32 offset:1160 ; 16-byte Folded Reload
	s_wait_loadcnt 0x2
	v_pk_fma_f32 v[2:3], v[82:83], v[12:13], v[2:3]
	v_pk_mul_f32 v[12:13], v[102:103], v[58:59] op_sel_hi:[0,1]
	s_wait_loadcnt 0x1
	s_delay_alu instid0(VALU_DEP_1)
	v_pk_fma_f32 v[2:3], v[98:99], v[12:13], v[2:3]
	v_pk_mul_f32 v[12:13], v[102:103], v[4:5] op_sel_hi:[0,1]
	scratch_load_b64 v[4:5], off, s32 offset:704 th:TH_LOAD_LU ; 8-byte Folded Reload
	s_wait_loadcnt 0x1
	v_pk_fma_f32 v[2:3], v[114:115], v[12:13], v[2:3]
	s_wait_loadcnt 0x0
	v_pk_mul_f32 v[12:13], v[102:103], v[4:5] op_sel_hi:[0,1]
	v_pk_mul_f32 v[4:5], v[102:103], v[14:15] op_sel_hi:[0,1]
	s_delay_alu instid0(VALU_DEP_1) | instskip(SKIP_4) | instid1(VALU_DEP_1)
	v_pk_fma_f32 v[0:1], v[10:11], v[4:5], v[0:1]
	v_pk_mul_f32 v[4:5], v[102:103], v[32:33] op_sel_hi:[0,1]
	scratch_load_b128 v[8:11], off, s32 offset:1192 ; 16-byte Folded Reload
	v_pk_fma_f32 v[0:1], v[18:19], v[4:5], v[0:1]
	v_pk_mul_f32 v[4:5], v[102:103], v[48:49] op_sel_hi:[0,1]
	v_pk_fma_f32 v[0:1], v[22:23], v[4:5], v[0:1]
	v_pk_mul_f32 v[4:5], v[102:103], v[64:65] op_sel_hi:[0,1]
	s_delay_alu instid0(VALU_DEP_1) | instskip(SKIP_1) | instid1(VALU_DEP_1)
	v_pk_fma_f32 v[0:1], v[30:31], v[4:5], v[0:1]
	v_pk_mul_f32 v[4:5], v[102:103], v[80:81] op_sel_hi:[0,1]
	v_pk_fma_f32 v[0:1], v[36:37], v[4:5], v[0:1]
	v_pk_mul_f32 v[4:5], v[102:103], v[96:97] op_sel_hi:[0,1]
	s_delay_alu instid0(VALU_DEP_1) | instskip(SKIP_1) | instid1(VALU_DEP_1)
	v_pk_fma_f32 v[0:1], v[52:53], v[4:5], v[0:1]
	v_pk_mul_f32 v[4:5], v[102:103], v[112:113] op_sel_hi:[0,1]
	v_pk_fma_f32 v[0:1], v[68:69], v[4:5], v[0:1]
	scratch_load_b64 v[4:5], off, s32 offset:728 th:TH_LOAD_LU ; 8-byte Folded Reload
	s_wait_loadcnt 0x0
	v_pk_mul_f32 v[4:5], v[102:103], v[4:5] op_sel_hi:[0,1]
	s_delay_alu instid0(VALU_DEP_1) | instskip(SKIP_3) | instid1(VALU_DEP_1)
	v_pk_fma_f32 v[0:1], v[84:85], v[4:5], v[0:1]
	scratch_load_b64 v[4:5], off, s32 offset:712 th:TH_LOAD_LU ; 8-byte Folded Reload
	s_wait_loadcnt 0x0
	v_pk_mul_f32 v[4:5], v[102:103], v[4:5] op_sel_hi:[0,1]
	v_pk_fma_f32 v[0:1], v[100:101], v[4:5], v[0:1]
	scratch_load_b64 v[4:5], off, s32 offset:696 th:TH_LOAD_LU ; 8-byte Folded Reload
	s_wait_loadcnt 0x0
	v_pk_mul_f32 v[4:5], v[102:103], v[4:5] op_sel_hi:[0,1]
	s_delay_alu instid0(VALU_DEP_1) | instskip(SKIP_3) | instid1(VALU_DEP_2)
	v_pk_fma_f32 v[0:1], v[116:117], v[4:5], v[0:1]
	scratch_load_b64 v[4:5], off, s32 offset:688 th:TH_LOAD_LU ; 8-byte Folded Reload
	v_pk_fma_f32 v[2:3], v[38:39], v[12:13], v[2:3]
	v_pk_mul_f32 v[12:13], v[102:103], v[26:27] op_sel_hi:[0,1]
	v_pk_fma_f32 v[2:3], v[8:9], v[6:7], v[2:3]
	scratch_load_b32 v8, off, s32 offset:676 th:TH_LOAD_LU ; 4-byte Folded Reload
	v_add_f32_e32 v2, v2, v3
	s_wait_loadcnt 0x1
	v_pk_mul_f32 v[4:5], v[102:103], v[4:5] op_sel_hi:[0,1]
	s_delay_alu instid0(VALU_DEP_1) | instskip(NEXT) | instid1(VALU_DEP_1)
	v_pk_fma_f32 v[0:1], v[40:41], v[4:5], v[0:1]
	v_pk_fma_f32 v[0:1], v[10:11], v[12:13], v[0:1]
	s_delay_alu instid0(VALU_DEP_1)
	v_add_f32_e32 v0, v0, v2
	scratch_load_b64 v[2:3], off, s32 offset:200 ; 8-byte Folded Reload
	s_wait_loadcnt 0x0
	v_dual_add_f32 v0, v1, v0 :: v_dual_mov_b32 v4, v2
	scratch_load_b32 v2, off, s32 offset:736 ; 4-byte Folded Reload
	v_sub_nc_u32_e32 v1, 1, v4
	v_cmp_lt_i32_e64 s1, v44, v4
	scratch_load_b64 v[4:5], off, s32 offset:680 th:TH_LOAD_LU ; 8-byte Folded Reload
	v_add_nc_u32_e32 v1, v1, v44
	v_add_nc_u32_e32 v44, 0x80, v44
	s_delay_alu instid0(VALU_DEP_2) | instskip(SKIP_1) | instid1(VALU_DEP_1)
	v_cvt_f32_i32_e32 v1, v1
	s_wait_loadcnt 0x1
	v_mul_f32_e32 v1, v2, v1
	scratch_load_b32 v2, off, s32 offset:748 ; 4-byte Folded Reload
	v_cndmask_b32_e32 v1, 0, v1, vcc_lo
	s_wait_loadcnt 0x1
	v_add_nc_u64_e32 v[4:5], 16, v[4:5]
	s_wait_loadcnt 0x0
	s_delay_alu instid0(VALU_DEP_2) | instskip(SKIP_1) | instid1(VALU_DEP_1)
	v_fmac_f32_e32 v1, v2, v0
	v_max_num_f32_e32 v0, v8, v8
	v_dual_max_num_f32 v0, v0, v1 :: v_dual_cndmask_b32 v1, 0, v1, s1
	s_delay_alu instid0(VALU_DEP_1)
	v_cndmask_b32_e64 v8, v8, v0, s1
	scratch_load_b32 v0, off, s32 offset:208 ; 4-byte Folded Reload
	ds_store_b32 v60, v1
	v_add_nc_u32_e32 v60, 0x200, v60
	s_wait_loadcnt 0x0
	v_cmp_ge_i32_e64 s1, v61, v0
	s_or_b32 s3, s1, s3
	s_wait_xcnt 0x0
	s_and_not1_b32 exec_lo, exec_lo, s3
	s_cbranch_execz .LBB224_903
.LBB224_10:                             ; =>This Inner Loop Header: Depth=1
	s_clause 0x3
	scratch_store_b32 off, v44, s32 offset:664
	scratch_store_b32 off, v61, s32 offset:660
	;; [unrolled: 1-line block ×3, first 2 shown]
	scratch_store_b64 off, v[4:5], s32 offset:680
	flat_load_b32 v0, v[4:5]
	s_clause 0x1
	scratch_load_b64 v[2:3], off, s32 offset:668
	scratch_load_b64 v[4:5], off, s32 offset:752
	v_mov_b64_e32 v[120:121], 0
	v_mov_b32_e32 v16, v60
	s_mov_b32 s8, exec_lo
	s_wait_loadcnt_dscnt 0x0
	v_mad_nc_i64_i32 v[26:27], v0, v2, v[4:5]
	flat_load_b32 v0, v[26:27]
	scratch_load_b64 v[2:3], off, s32 offset:740 ; 8-byte Folded Reload
	s_wait_loadcnt_dscnt 0x100
	v_and_b32_e32 v1, 0xff, v0
	s_wait_loadcnt 0x0
	flat_load_b32 v76, v[2:3]
	s_wait_xcnt 0x0
	v_mov_b64_e32 v[2:3], 0
	scratch_store_b64 off, v[2:3], s32 offset:212 ; 8-byte Folded Spill
	s_wait_xcnt 0x0
	v_cmpx_ne_u16_e32 0, v1
	s_cbranch_execz .LBB224_18
; %bb.11:                               ;   in Loop: Header=BB224_10 Depth=1
	v_mov_b64_e32 v[2:3], 0x80000000
	s_mov_b32 s9, exec_lo
	scratch_store_b64 off, v[2:3], s32 offset:212 ; 8-byte Folded Spill
	s_wait_xcnt 0x0
	v_cmpx_ne_u16_e32 0x80, v1
	s_cbranch_execz .LBB224_17
; %bb.12:                               ;   in Loop: Header=BB224_10 Depth=1
	v_mov_b64_e32 v[4:5], 0x7f800001
	v_and_b32_e32 v2, 0x7f, v0
	s_mov_b32 s11, exec_lo
	scratch_store_b64 off, v[4:5], s32 offset:212 ; 8-byte Folded Spill
	s_wait_xcnt 0x0
	v_cmpx_ne_u32_e32 0x7f, v2
	s_cbranch_execz .LBB224_16
; %bb.13:                               ;   in Loop: Header=BB224_10 Depth=1
	scratch_load_b64 v[4:5], off, s32 offset:192 th:TH_LOAD_LU ; 8-byte Folded Reload
	s_wait_loadcnt 0x0
	v_dual_lshrrev_b32 v1, 3, v2 :: v_dual_bitop2_b32 v4, 7, v0 bitop3:0x40
	s_mov_b32 s16, exec_lo
	s_wait_xcnt 0x0
	v_cmpx_gt_u32_e32 8, v2
; %bb.14:                               ;   in Loop: Header=BB224_10 Depth=1
	s_delay_alu instid0(VALU_DEP_2) | instskip(NEXT) | instid1(VALU_DEP_1)
	v_clz_i32_u32_e32 v1, v4
	v_min_u32_e32 v1, 32, v1
	s_delay_alu instid0(VALU_DEP_1) | instskip(NEXT) | instid1(VALU_DEP_1)
	v_subrev_nc_u32_e32 v2, 28, v1
	v_lshlrev_b64_e32 v[2:3], v2, v[4:5]
	s_delay_alu instid0(VALU_DEP_1)
	v_dual_sub_nc_u32 v1, 29, v1 :: v_dual_bitop2_b32 v4, 7, v2 bitop3:0x40
; %bb.15:                               ;   in Loop: Header=BB224_10 Depth=1
	s_or_b32 exec_lo, exec_lo, s16
	v_lshlrev_b32_e32 v2, 24, v0
	s_delay_alu instid0(VALU_DEP_2) | instskip(NEXT) | instid1(VALU_DEP_3)
	v_lshlrev_b32_e32 v3, 20, v4
	v_lshl_add_u32 v1, v1, 23, 0x3c000000
	s_delay_alu instid0(VALU_DEP_3) | instskip(NEXT) | instid1(VALU_DEP_1)
	v_and_b32_e32 v2, 0x80000000, v2
	v_or3_b32 v4, v3, v2, v1
	v_mov_b32_e32 v1, v5
	s_clause 0x1
	scratch_store_b64 off, v[0:1], s32 offset:192
	scratch_store_b64 off, v[4:5], s32 offset:212
.LBB224_16:                             ;   in Loop: Header=BB224_10 Depth=1
	s_wait_xcnt 0x0
	s_or_b32 exec_lo, exec_lo, s11
.LBB224_17:                             ;   in Loop: Header=BB224_10 Depth=1
	s_delay_alu instid0(SALU_CYCLE_1)
	s_or_b32 exec_lo, exec_lo, s9
.LBB224_18:                             ;   in Loop: Header=BB224_10 Depth=1
	s_delay_alu instid0(SALU_CYCLE_1) | instskip(SKIP_2) | instid1(VALU_DEP_1)
	s_or_b32 exec_lo, exec_lo, s8
	v_lshrrev_b16 v1, 8, v0
	s_mov_b32 s8, exec_lo
	v_cmpx_ne_u16_e32 0, v1
	s_cbranch_execz .LBB224_26
; %bb.19:                               ;   in Loop: Header=BB224_10 Depth=1
	v_mov_b64_e32 v[120:121], 0x8000000000000000
	s_mov_b32 s9, exec_lo
	v_cmpx_ne_u16_e32 0x80, v1
	s_cbranch_execz .LBB224_25
; %bb.20:                               ;   in Loop: Header=BB224_10 Depth=1
	v_and_b32_e32 v1, 0xffff, v1
	v_mov_b64_e32 v[120:121], 0x7f80000100000000
	s_mov_b32 s11, exec_lo
	s_delay_alu instid0(VALU_DEP_2) | instskip(NEXT) | instid1(VALU_DEP_1)
	v_and_b32_e32 v2, 0x7f, v1
	v_cmpx_ne_u32_e32 0x7f, v2
	s_cbranch_execz .LBB224_24
; %bb.21:                               ;   in Loop: Header=BB224_10 Depth=1
	scratch_load_b64 v[4:5], off, s32 offset:192 th:TH_LOAD_LU ; 8-byte Folded Reload
	s_wait_loadcnt 0x0
	v_dual_lshrrev_b32 v1, 3, v2 :: v_dual_bitop2_b32 v4, 7, v1 bitop3:0x40
	s_mov_b32 s16, exec_lo
	s_wait_xcnt 0x0
	v_cmpx_gt_u32_e32 8, v2
; %bb.22:                               ;   in Loop: Header=BB224_10 Depth=1
	s_delay_alu instid0(VALU_DEP_2) | instskip(NEXT) | instid1(VALU_DEP_1)
	v_clz_i32_u32_e32 v1, v4
	v_min_u32_e32 v1, 32, v1
	s_delay_alu instid0(VALU_DEP_1) | instskip(NEXT) | instid1(VALU_DEP_1)
	v_subrev_nc_u32_e32 v2, 28, v1
	v_lshlrev_b64_e32 v[2:3], v2, v[4:5]
	s_delay_alu instid0(VALU_DEP_1)
	v_dual_sub_nc_u32 v1, 29, v1 :: v_dual_bitop2_b32 v4, 7, v2 bitop3:0x40
; %bb.23:                               ;   in Loop: Header=BB224_10 Depth=1
	s_or_b32 exec_lo, exec_lo, s16
	v_lshlrev_b32_e32 v2, 16, v0
	s_delay_alu instid0(VALU_DEP_2) | instskip(NEXT) | instid1(VALU_DEP_3)
	v_dual_mov_b32 v120, v5 :: v_dual_lshlrev_b32 v3, 20, v4
	v_lshl_add_u32 v1, v1, 23, 0x3c000000
	s_delay_alu instid0(VALU_DEP_3) | instskip(NEXT) | instid1(VALU_DEP_1)
	v_and_b32_e32 v2, 0x80000000, v2
	v_or3_b32 v121, v3, v2, v1
	v_mov_b32_e32 v1, v5
	scratch_store_b64 off, v[0:1], s32 offset:192 ; 8-byte Folded Spill
.LBB224_24:                             ;   in Loop: Header=BB224_10 Depth=1
	s_wait_xcnt 0x0
	s_or_b32 exec_lo, exec_lo, s11
.LBB224_25:                             ;   in Loop: Header=BB224_10 Depth=1
	s_delay_alu instid0(SALU_CYCLE_1)
	s_or_b32 exec_lo, exec_lo, s9
.LBB224_26:                             ;   in Loop: Header=BB224_10 Depth=1
	s_delay_alu instid0(SALU_CYCLE_1) | instskip(SKIP_3) | instid1(VALU_DEP_1)
	s_or_b32 exec_lo, exec_lo, s8
	v_mov_b64_e32 v[4:5], 0
	v_lshrrev_b32_e32 v1, 16, v0
	s_mov_b32 s8, exec_lo
	v_and_b32_e32 v2, 0xff, v1
	scratch_store_b64 off, v[4:5], s32 offset:220 ; 8-byte Folded Spill
	s_wait_xcnt 0x0
	v_mov_b64_e32 v[4:5], 0
	scratch_store_b64 off, v[4:5], s32 offset:228 ; 8-byte Folded Spill
	s_wait_xcnt 0x0
	v_cmpx_ne_u16_e32 0, v2
	s_cbranch_execz .LBB224_34
; %bb.27:                               ;   in Loop: Header=BB224_10 Depth=1
	v_cmp_ne_u16_e64 s1, 0x80, v2
	v_mov_b64_e32 v[2:3], 0x80000000
	scratch_store_b64 off, v[2:3], s32 offset:228 ; 8-byte Folded Spill
	s_wait_xcnt 0x0
	s_and_saveexec_b32 s9, s1
	s_cbranch_execz .LBB224_33
; %bb.28:                               ;   in Loop: Header=BB224_10 Depth=1
	v_mov_b64_e32 v[4:5], 0x7f800001
	v_bfe_u32 v3, v0, 16, 7
	s_mov_b32 s11, exec_lo
	scratch_store_b64 off, v[4:5], s32 offset:228 ; 8-byte Folded Spill
	s_wait_xcnt 0x0
	v_cmpx_ne_u32_e32 0x7f, v3
	s_cbranch_execz .LBB224_32
; %bb.29:                               ;   in Loop: Header=BB224_10 Depth=1
	scratch_load_b64 v[6:7], off, s32 offset:192 th:TH_LOAD_LU ; 8-byte Folded Reload
	s_wait_loadcnt 0x0
	v_dual_lshrrev_b32 v2, 3, v3 :: v_dual_bitop2_b32 v6, 7, v1 bitop3:0x40
	s_mov_b32 s16, exec_lo
	s_wait_xcnt 0x0
	v_cmpx_gt_u32_e32 8, v3
; %bb.30:                               ;   in Loop: Header=BB224_10 Depth=1
	s_delay_alu instid0(VALU_DEP_2) | instskip(NEXT) | instid1(VALU_DEP_1)
	v_clz_i32_u32_e32 v2, v6
	v_min_u32_e32 v2, 32, v2
	s_delay_alu instid0(VALU_DEP_1) | instskip(NEXT) | instid1(VALU_DEP_1)
	v_subrev_nc_u32_e32 v3, 28, v2
	v_lshlrev_b64_e32 v[4:5], v3, v[6:7]
	s_delay_alu instid0(VALU_DEP_1)
	v_dual_sub_nc_u32 v2, 29, v2 :: v_dual_bitop2_b32 v6, 7, v4 bitop3:0x40
; %bb.31:                               ;   in Loop: Header=BB224_10 Depth=1
	s_or_b32 exec_lo, exec_lo, s16
	s_delay_alu instid0(VALU_DEP_1) | instskip(NEXT) | instid1(VALU_DEP_2)
	v_dual_lshlrev_b32 v1, 24, v1 :: v_dual_lshlrev_b32 v3, 20, v6
	v_lshl_add_u32 v2, v2, 23, 0x3c000000
	s_delay_alu instid0(VALU_DEP_2) | instskip(NEXT) | instid1(VALU_DEP_1)
	v_and_b32_e32 v1, 0x80000000, v1
	v_or3_b32 v6, v3, v1, v2
	v_mov_b32_e32 v1, v7
	s_clause 0x1
	scratch_store_b64 off, v[0:1], s32 offset:192
	scratch_store_b64 off, v[6:7], s32 offset:228
.LBB224_32:                             ;   in Loop: Header=BB224_10 Depth=1
	s_wait_xcnt 0x0
	s_or_b32 exec_lo, exec_lo, s11
.LBB224_33:                             ;   in Loop: Header=BB224_10 Depth=1
	s_delay_alu instid0(SALU_CYCLE_1)
	s_or_b32 exec_lo, exec_lo, s9
.LBB224_34:                             ;   in Loop: Header=BB224_10 Depth=1
	s_delay_alu instid0(SALU_CYCLE_1) | instskip(NEXT) | instid1(SALU_CYCLE_1)
	s_or_b32 exec_lo, exec_lo, s8
	s_mov_b32 s8, exec_lo
	v_cmpx_lt_u32_e32 0xffffff, v0
	s_cbranch_execz .LBB224_42
; %bb.35:                               ;   in Loop: Header=BB224_10 Depth=1
	v_mov_b64_e32 v[2:3], 0x8000000000000000
	v_lshrrev_b32_e32 v1, 24, v0
	s_mov_b32 s9, exec_lo
	scratch_store_b64 off, v[2:3], s32 offset:220 ; 8-byte Folded Spill
	s_wait_xcnt 0x0
	v_cmpx_ne_u32_e32 0x80, v1
	s_cbranch_execz .LBB224_41
; %bb.36:                               ;   in Loop: Header=BB224_10 Depth=1
	v_mov_b64_e32 v[4:5], 0x7f80000100000000
	v_bfe_u32 v2, v0, 24, 7
	s_mov_b32 s11, exec_lo
	scratch_store_b64 off, v[4:5], s32 offset:220 ; 8-byte Folded Spill
	s_wait_xcnt 0x0
	v_cmpx_ne_u32_e32 0x7f, v2
	s_cbranch_execz .LBB224_40
; %bb.37:                               ;   in Loop: Header=BB224_10 Depth=1
	scratch_load_b64 v[4:5], off, s32 offset:192 th:TH_LOAD_LU ; 8-byte Folded Reload
	s_wait_loadcnt 0x0
	v_dual_lshrrev_b32 v0, 3, v2 :: v_dual_bitop2_b32 v4, 7, v1 bitop3:0x40
	v_cmp_gt_u32_e64 s1, 8, v2
	s_delay_alu instid0(VALU_DEP_2)
	v_mov_b64_e32 v[2:3], v[4:5]
	s_wait_xcnt 0x0
	s_and_saveexec_b32 s16, s1
	s_cbranch_execz .LBB224_39
; %bb.38:                               ;   in Loop: Header=BB224_10 Depth=1
	s_delay_alu instid0(VALU_DEP_1) | instskip(NEXT) | instid1(VALU_DEP_2)
	v_clz_i32_u32_e32 v0, v2
	v_mov_b64_e32 v[4:5], v[2:3]
	s_delay_alu instid0(VALU_DEP_2) | instskip(NEXT) | instid1(VALU_DEP_1)
	v_min_u32_e32 v0, 32, v0
	v_subrev_nc_u32_e32 v2, 28, v0
	s_delay_alu instid0(VALU_DEP_1) | instskip(NEXT) | instid1(VALU_DEP_1)
	v_lshlrev_b64_e32 v[2:3], v2, v[4:5]
	v_dual_sub_nc_u32 v0, 29, v0 :: v_dual_bitop2_b32 v4, 7, v2 bitop3:0x40
	s_delay_alu instid0(VALU_DEP_1)
	v_mov_b64_e32 v[2:3], v[4:5]
.LBB224_39:                             ;   in Loop: Header=BB224_10 Depth=1
	s_or_b32 exec_lo, exec_lo, s16
	s_delay_alu instid0(VALU_DEP_1) | instskip(NEXT) | instid1(VALU_DEP_3)
	v_dual_lshlrev_b32 v1, 24, v1 :: v_dual_lshlrev_b32 v2, 20, v2
	v_lshl_add_u32 v0, v0, 23, 0x3c000000
	s_delay_alu instid0(VALU_DEP_3) | instskip(NEXT) | instid1(VALU_DEP_3)
	v_mov_b32_e32 v4, v3
	v_and_b32_e32 v1, 0x80000000, v1
	s_delay_alu instid0(VALU_DEP_1)
	v_or3_b32 v5, v2, v1, v0
	v_mov_b32_e32 v1, v3
	s_clause 0x1
	scratch_store_b64 off, v[4:5], s32 offset:220
	scratch_store_b64 off, v[0:1], s32 offset:192
.LBB224_40:                             ;   in Loop: Header=BB224_10 Depth=1
	s_wait_xcnt 0x0
	s_or_b32 exec_lo, exec_lo, s11
.LBB224_41:                             ;   in Loop: Header=BB224_10 Depth=1
	s_delay_alu instid0(SALU_CYCLE_1)
	s_or_b32 exec_lo, exec_lo, s9
.LBB224_42:                             ;   in Loop: Header=BB224_10 Depth=1
	s_delay_alu instid0(SALU_CYCLE_1)
	s_or_b32 exec_lo, exec_lo, s8
	flat_load_b32 v0, v[26:27] offset:4
	v_mov_b64_e32 v[2:3], 0
	s_mov_b32 s8, exec_lo
	scratch_store_b64 off, v[2:3], s32 offset:236 ; 8-byte Folded Spill
	s_wait_xcnt 0x0
	v_mov_b64_e32 v[2:3], 0
	scratch_store_b64 off, v[2:3], s32 offset:244 ; 8-byte Folded Spill
	s_wait_loadcnt_dscnt 0x0
	v_and_b32_e32 v1, 0xff, v0
	s_wait_xcnt 0x0
	s_delay_alu instid0(VALU_DEP_1)
	v_cmpx_ne_u16_e32 0, v1
	s_cbranch_execz .LBB224_50
; %bb.43:                               ;   in Loop: Header=BB224_10 Depth=1
	v_mov_b64_e32 v[2:3], 0x80000000
	s_mov_b32 s9, exec_lo
	scratch_store_b64 off, v[2:3], s32 offset:244 ; 8-byte Folded Spill
	s_wait_xcnt 0x0
	v_cmpx_ne_u16_e32 0x80, v1
	s_cbranch_execz .LBB224_49
; %bb.44:                               ;   in Loop: Header=BB224_10 Depth=1
	v_mov_b64_e32 v[4:5], 0x7f800001
	v_and_b32_e32 v2, 0x7f, v0
	s_mov_b32 s11, exec_lo
	scratch_store_b64 off, v[4:5], s32 offset:244 ; 8-byte Folded Spill
	s_wait_xcnt 0x0
	v_cmpx_ne_u32_e32 0x7f, v2
	s_cbranch_execz .LBB224_48
; %bb.45:                               ;   in Loop: Header=BB224_10 Depth=1
	scratch_load_b64 v[4:5], off, s32 offset:192 th:TH_LOAD_LU ; 8-byte Folded Reload
	s_wait_loadcnt 0x0
	v_dual_lshrrev_b32 v1, 3, v2 :: v_dual_bitop2_b32 v4, 7, v0 bitop3:0x40
	s_mov_b32 s16, exec_lo
	s_wait_xcnt 0x0
	v_cmpx_gt_u32_e32 8, v2
; %bb.46:                               ;   in Loop: Header=BB224_10 Depth=1
	s_delay_alu instid0(VALU_DEP_2) | instskip(NEXT) | instid1(VALU_DEP_1)
	v_clz_i32_u32_e32 v1, v4
	v_min_u32_e32 v1, 32, v1
	s_delay_alu instid0(VALU_DEP_1) | instskip(NEXT) | instid1(VALU_DEP_1)
	v_subrev_nc_u32_e32 v2, 28, v1
	v_lshlrev_b64_e32 v[2:3], v2, v[4:5]
	s_delay_alu instid0(VALU_DEP_1)
	v_dual_sub_nc_u32 v1, 29, v1 :: v_dual_bitop2_b32 v4, 7, v2 bitop3:0x40
; %bb.47:                               ;   in Loop: Header=BB224_10 Depth=1
	s_or_b32 exec_lo, exec_lo, s16
	v_lshlrev_b32_e32 v2, 24, v0
	s_delay_alu instid0(VALU_DEP_2) | instskip(NEXT) | instid1(VALU_DEP_3)
	v_lshlrev_b32_e32 v3, 20, v4
	v_lshl_add_u32 v1, v1, 23, 0x3c000000
	s_delay_alu instid0(VALU_DEP_3) | instskip(NEXT) | instid1(VALU_DEP_1)
	v_and_b32_e32 v2, 0x80000000, v2
	v_or3_b32 v4, v3, v2, v1
	v_mov_b32_e32 v1, v5
	s_clause 0x1
	scratch_store_b64 off, v[0:1], s32 offset:192
	scratch_store_b64 off, v[4:5], s32 offset:244
.LBB224_48:                             ;   in Loop: Header=BB224_10 Depth=1
	s_wait_xcnt 0x0
	s_or_b32 exec_lo, exec_lo, s11
.LBB224_49:                             ;   in Loop: Header=BB224_10 Depth=1
	s_delay_alu instid0(SALU_CYCLE_1)
	s_or_b32 exec_lo, exec_lo, s9
.LBB224_50:                             ;   in Loop: Header=BB224_10 Depth=1
	s_delay_alu instid0(SALU_CYCLE_1) | instskip(SKIP_2) | instid1(VALU_DEP_1)
	s_or_b32 exec_lo, exec_lo, s8
	v_lshrrev_b16 v1, 8, v0
	s_mov_b32 s8, exec_lo
	v_cmpx_ne_u16_e32 0, v1
	s_cbranch_execz .LBB224_58
; %bb.51:                               ;   in Loop: Header=BB224_10 Depth=1
	v_mov_b64_e32 v[2:3], 0x8000000000000000
	s_mov_b32 s9, exec_lo
	scratch_store_b64 off, v[2:3], s32 offset:236 ; 8-byte Folded Spill
	s_wait_xcnt 0x0
	v_cmpx_ne_u16_e32 0x80, v1
	s_cbranch_execz .LBB224_57
; %bb.52:                               ;   in Loop: Header=BB224_10 Depth=1
	v_and_b32_e32 v1, 0xffff, v1
	v_mov_b64_e32 v[4:5], 0x7f80000100000000
	s_mov_b32 s11, exec_lo
	s_delay_alu instid0(VALU_DEP_2)
	v_and_b32_e32 v2, 0x7f, v1
	scratch_store_b64 off, v[4:5], s32 offset:236 ; 8-byte Folded Spill
	s_wait_xcnt 0x0
	v_cmpx_ne_u32_e32 0x7f, v2
	s_cbranch_execz .LBB224_56
; %bb.53:                               ;   in Loop: Header=BB224_10 Depth=1
	scratch_load_b64 v[4:5], off, s32 offset:192 th:TH_LOAD_LU ; 8-byte Folded Reload
	s_wait_loadcnt 0x0
	v_dual_lshrrev_b32 v1, 3, v2 :: v_dual_bitop2_b32 v4, 7, v1 bitop3:0x40
	s_mov_b32 s16, exec_lo
	s_wait_xcnt 0x0
	v_cmpx_gt_u32_e32 8, v2
; %bb.54:                               ;   in Loop: Header=BB224_10 Depth=1
	s_delay_alu instid0(VALU_DEP_2) | instskip(NEXT) | instid1(VALU_DEP_1)
	v_clz_i32_u32_e32 v1, v4
	v_min_u32_e32 v1, 32, v1
	s_delay_alu instid0(VALU_DEP_1) | instskip(NEXT) | instid1(VALU_DEP_1)
	v_subrev_nc_u32_e32 v2, 28, v1
	v_lshlrev_b64_e32 v[2:3], v2, v[4:5]
	s_delay_alu instid0(VALU_DEP_1)
	v_dual_sub_nc_u32 v1, 29, v1 :: v_dual_bitop2_b32 v4, 7, v2 bitop3:0x40
; %bb.55:                               ;   in Loop: Header=BB224_10 Depth=1
	s_or_b32 exec_lo, exec_lo, s16
	v_lshlrev_b32_e32 v2, 16, v0
	s_delay_alu instid0(VALU_DEP_2) | instskip(NEXT) | instid1(VALU_DEP_3)
	v_lshlrev_b32_e32 v3, 20, v4
	v_lshl_add_u32 v1, v1, 23, 0x3c000000
	s_delay_alu instid0(VALU_DEP_3) | instskip(NEXT) | instid1(VALU_DEP_1)
	v_and_b32_e32 v2, 0x80000000, v2
	v_or3_b32 v3, v3, v2, v1
	v_dual_mov_b32 v1, v5 :: v_dual_mov_b32 v2, v5
	s_clause 0x1
	scratch_store_b64 off, v[0:1], s32 offset:192
	scratch_store_b64 off, v[2:3], s32 offset:236
.LBB224_56:                             ;   in Loop: Header=BB224_10 Depth=1
	s_wait_xcnt 0x0
	s_or_b32 exec_lo, exec_lo, s11
.LBB224_57:                             ;   in Loop: Header=BB224_10 Depth=1
	s_delay_alu instid0(SALU_CYCLE_1)
	s_or_b32 exec_lo, exec_lo, s9
.LBB224_58:                             ;   in Loop: Header=BB224_10 Depth=1
	s_delay_alu instid0(SALU_CYCLE_1) | instskip(SKIP_3) | instid1(VALU_DEP_1)
	s_or_b32 exec_lo, exec_lo, s8
	v_mov_b64_e32 v[4:5], 0
	v_lshrrev_b32_e32 v1, 16, v0
	s_mov_b32 s8, exec_lo
	v_and_b32_e32 v2, 0xff, v1
	scratch_store_b64 off, v[4:5], s32 offset:252 ; 8-byte Folded Spill
	s_wait_xcnt 0x0
	v_mov_b64_e32 v[4:5], 0
	scratch_store_b64 off, v[4:5], s32 offset:260 ; 8-byte Folded Spill
	s_wait_xcnt 0x0
	v_cmpx_ne_u16_e32 0, v2
	s_cbranch_execz .LBB224_66
; %bb.59:                               ;   in Loop: Header=BB224_10 Depth=1
	v_cmp_ne_u16_e64 s1, 0x80, v2
	v_mov_b64_e32 v[2:3], 0x80000000
	scratch_store_b64 off, v[2:3], s32 offset:260 ; 8-byte Folded Spill
	s_wait_xcnt 0x0
	s_and_saveexec_b32 s9, s1
	s_cbranch_execz .LBB224_65
; %bb.60:                               ;   in Loop: Header=BB224_10 Depth=1
	v_mov_b64_e32 v[4:5], 0x7f800001
	v_bfe_u32 v3, v0, 16, 7
	s_mov_b32 s11, exec_lo
	scratch_store_b64 off, v[4:5], s32 offset:260 ; 8-byte Folded Spill
	s_wait_xcnt 0x0
	v_cmpx_ne_u32_e32 0x7f, v3
	s_cbranch_execz .LBB224_64
; %bb.61:                               ;   in Loop: Header=BB224_10 Depth=1
	scratch_load_b64 v[6:7], off, s32 offset:192 th:TH_LOAD_LU ; 8-byte Folded Reload
	s_wait_loadcnt 0x0
	v_dual_lshrrev_b32 v2, 3, v3 :: v_dual_bitop2_b32 v6, 7, v1 bitop3:0x40
	s_mov_b32 s16, exec_lo
	s_wait_xcnt 0x0
	v_cmpx_gt_u32_e32 8, v3
; %bb.62:                               ;   in Loop: Header=BB224_10 Depth=1
	s_delay_alu instid0(VALU_DEP_2) | instskip(NEXT) | instid1(VALU_DEP_1)
	v_clz_i32_u32_e32 v2, v6
	v_min_u32_e32 v2, 32, v2
	s_delay_alu instid0(VALU_DEP_1) | instskip(NEXT) | instid1(VALU_DEP_1)
	v_subrev_nc_u32_e32 v3, 28, v2
	v_lshlrev_b64_e32 v[4:5], v3, v[6:7]
	s_delay_alu instid0(VALU_DEP_1)
	v_dual_sub_nc_u32 v2, 29, v2 :: v_dual_bitop2_b32 v6, 7, v4 bitop3:0x40
; %bb.63:                               ;   in Loop: Header=BB224_10 Depth=1
	s_or_b32 exec_lo, exec_lo, s16
	s_delay_alu instid0(VALU_DEP_1) | instskip(NEXT) | instid1(VALU_DEP_2)
	v_dual_lshlrev_b32 v1, 24, v1 :: v_dual_lshlrev_b32 v3, 20, v6
	v_lshl_add_u32 v2, v2, 23, 0x3c000000
	s_delay_alu instid0(VALU_DEP_2) | instskip(NEXT) | instid1(VALU_DEP_1)
	v_and_b32_e32 v1, 0x80000000, v1
	v_or3_b32 v6, v3, v1, v2
	v_mov_b32_e32 v1, v7
	s_clause 0x1
	scratch_store_b64 off, v[0:1], s32 offset:192
	scratch_store_b64 off, v[6:7], s32 offset:260
.LBB224_64:                             ;   in Loop: Header=BB224_10 Depth=1
	s_wait_xcnt 0x0
	s_or_b32 exec_lo, exec_lo, s11
.LBB224_65:                             ;   in Loop: Header=BB224_10 Depth=1
	s_delay_alu instid0(SALU_CYCLE_1)
	s_or_b32 exec_lo, exec_lo, s9
.LBB224_66:                             ;   in Loop: Header=BB224_10 Depth=1
	s_delay_alu instid0(SALU_CYCLE_1) | instskip(NEXT) | instid1(SALU_CYCLE_1)
	s_or_b32 exec_lo, exec_lo, s8
	s_mov_b32 s8, exec_lo
	v_cmpx_lt_u32_e32 0xffffff, v0
	s_cbranch_execz .LBB224_74
; %bb.67:                               ;   in Loop: Header=BB224_10 Depth=1
	v_mov_b64_e32 v[2:3], 0x8000000000000000
	v_lshrrev_b32_e32 v1, 24, v0
	s_mov_b32 s9, exec_lo
	scratch_store_b64 off, v[2:3], s32 offset:252 ; 8-byte Folded Spill
	s_wait_xcnt 0x0
	v_cmpx_ne_u32_e32 0x80, v1
	s_cbranch_execz .LBB224_73
; %bb.68:                               ;   in Loop: Header=BB224_10 Depth=1
	v_mov_b64_e32 v[4:5], 0x7f80000100000000
	v_bfe_u32 v2, v0, 24, 7
	s_mov_b32 s11, exec_lo
	scratch_store_b64 off, v[4:5], s32 offset:252 ; 8-byte Folded Spill
	s_wait_xcnt 0x0
	v_cmpx_ne_u32_e32 0x7f, v2
	s_cbranch_execz .LBB224_72
; %bb.69:                               ;   in Loop: Header=BB224_10 Depth=1
	scratch_load_b64 v[4:5], off, s32 offset:192 th:TH_LOAD_LU ; 8-byte Folded Reload
	s_wait_loadcnt 0x0
	v_dual_lshrrev_b32 v0, 3, v2 :: v_dual_bitop2_b32 v4, 7, v1 bitop3:0x40
	v_cmp_gt_u32_e64 s1, 8, v2
	s_delay_alu instid0(VALU_DEP_2)
	v_mov_b64_e32 v[2:3], v[4:5]
	s_wait_xcnt 0x0
	s_and_saveexec_b32 s16, s1
	s_cbranch_execz .LBB224_71
; %bb.70:                               ;   in Loop: Header=BB224_10 Depth=1
	s_delay_alu instid0(VALU_DEP_1) | instskip(NEXT) | instid1(VALU_DEP_2)
	v_clz_i32_u32_e32 v0, v2
	v_mov_b64_e32 v[4:5], v[2:3]
	s_delay_alu instid0(VALU_DEP_2) | instskip(NEXT) | instid1(VALU_DEP_1)
	v_min_u32_e32 v0, 32, v0
	v_subrev_nc_u32_e32 v2, 28, v0
	s_delay_alu instid0(VALU_DEP_1) | instskip(NEXT) | instid1(VALU_DEP_1)
	v_lshlrev_b64_e32 v[2:3], v2, v[4:5]
	v_dual_sub_nc_u32 v0, 29, v0 :: v_dual_bitop2_b32 v4, 7, v2 bitop3:0x40
	s_delay_alu instid0(VALU_DEP_1)
	v_mov_b64_e32 v[2:3], v[4:5]
.LBB224_71:                             ;   in Loop: Header=BB224_10 Depth=1
	s_or_b32 exec_lo, exec_lo, s16
	s_delay_alu instid0(VALU_DEP_1) | instskip(NEXT) | instid1(VALU_DEP_3)
	v_dual_lshlrev_b32 v1, 24, v1 :: v_dual_lshlrev_b32 v2, 20, v2
	v_lshl_add_u32 v0, v0, 23, 0x3c000000
	s_delay_alu instid0(VALU_DEP_3) | instskip(NEXT) | instid1(VALU_DEP_3)
	v_mov_b32_e32 v4, v3
	v_and_b32_e32 v1, 0x80000000, v1
	s_delay_alu instid0(VALU_DEP_1)
	v_or3_b32 v5, v2, v1, v0
	v_mov_b32_e32 v1, v3
	s_clause 0x1
	scratch_store_b64 off, v[4:5], s32 offset:252
	scratch_store_b64 off, v[0:1], s32 offset:192
.LBB224_72:                             ;   in Loop: Header=BB224_10 Depth=1
	s_wait_xcnt 0x0
	s_or_b32 exec_lo, exec_lo, s11
.LBB224_73:                             ;   in Loop: Header=BB224_10 Depth=1
	s_delay_alu instid0(SALU_CYCLE_1)
	s_or_b32 exec_lo, exec_lo, s9
.LBB224_74:                             ;   in Loop: Header=BB224_10 Depth=1
	s_delay_alu instid0(SALU_CYCLE_1)
	s_or_b32 exec_lo, exec_lo, s8
	flat_load_b32 v0, v[26:27] offset:8
	v_mov_b64_e32 v[2:3], 0
	s_mov_b32 s8, exec_lo
	scratch_store_b64 off, v[2:3], s32 offset:268 ; 8-byte Folded Spill
	s_wait_xcnt 0x0
	v_mov_b64_e32 v[2:3], 0
	scratch_store_b64 off, v[2:3], s32 offset:276 ; 8-byte Folded Spill
	s_wait_loadcnt_dscnt 0x0
	v_and_b32_e32 v1, 0xff, v0
	s_wait_xcnt 0x0
	s_delay_alu instid0(VALU_DEP_1)
	v_cmpx_ne_u16_e32 0, v1
	s_cbranch_execz .LBB224_82
; %bb.75:                               ;   in Loop: Header=BB224_10 Depth=1
	v_mov_b64_e32 v[2:3], 0x80000000
	s_mov_b32 s9, exec_lo
	scratch_store_b64 off, v[2:3], s32 offset:276 ; 8-byte Folded Spill
	s_wait_xcnt 0x0
	v_cmpx_ne_u16_e32 0x80, v1
	s_cbranch_execz .LBB224_81
; %bb.76:                               ;   in Loop: Header=BB224_10 Depth=1
	v_mov_b64_e32 v[4:5], 0x7f800001
	v_and_b32_e32 v2, 0x7f, v0
	s_mov_b32 s11, exec_lo
	scratch_store_b64 off, v[4:5], s32 offset:276 ; 8-byte Folded Spill
	s_wait_xcnt 0x0
	v_cmpx_ne_u32_e32 0x7f, v2
	s_cbranch_execz .LBB224_80
; %bb.77:                               ;   in Loop: Header=BB224_10 Depth=1
	scratch_load_b64 v[4:5], off, s32 offset:192 th:TH_LOAD_LU ; 8-byte Folded Reload
	s_wait_loadcnt 0x0
	v_dual_lshrrev_b32 v1, 3, v2 :: v_dual_bitop2_b32 v4, 7, v0 bitop3:0x40
	s_mov_b32 s16, exec_lo
	s_wait_xcnt 0x0
	v_cmpx_gt_u32_e32 8, v2
; %bb.78:                               ;   in Loop: Header=BB224_10 Depth=1
	s_delay_alu instid0(VALU_DEP_2) | instskip(NEXT) | instid1(VALU_DEP_1)
	v_clz_i32_u32_e32 v1, v4
	v_min_u32_e32 v1, 32, v1
	s_delay_alu instid0(VALU_DEP_1) | instskip(NEXT) | instid1(VALU_DEP_1)
	v_subrev_nc_u32_e32 v2, 28, v1
	v_lshlrev_b64_e32 v[2:3], v2, v[4:5]
	s_delay_alu instid0(VALU_DEP_1)
	v_dual_sub_nc_u32 v1, 29, v1 :: v_dual_bitop2_b32 v4, 7, v2 bitop3:0x40
; %bb.79:                               ;   in Loop: Header=BB224_10 Depth=1
	s_or_b32 exec_lo, exec_lo, s16
	v_lshlrev_b32_e32 v2, 24, v0
	s_delay_alu instid0(VALU_DEP_2) | instskip(NEXT) | instid1(VALU_DEP_3)
	v_lshlrev_b32_e32 v3, 20, v4
	v_lshl_add_u32 v1, v1, 23, 0x3c000000
	s_delay_alu instid0(VALU_DEP_3) | instskip(NEXT) | instid1(VALU_DEP_1)
	v_and_b32_e32 v2, 0x80000000, v2
	v_or3_b32 v4, v3, v2, v1
	v_mov_b32_e32 v1, v5
	s_clause 0x1
	scratch_store_b64 off, v[0:1], s32 offset:192
	scratch_store_b64 off, v[4:5], s32 offset:276
.LBB224_80:                             ;   in Loop: Header=BB224_10 Depth=1
	s_wait_xcnt 0x0
	s_or_b32 exec_lo, exec_lo, s11
.LBB224_81:                             ;   in Loop: Header=BB224_10 Depth=1
	s_delay_alu instid0(SALU_CYCLE_1)
	s_or_b32 exec_lo, exec_lo, s9
.LBB224_82:                             ;   in Loop: Header=BB224_10 Depth=1
	s_delay_alu instid0(SALU_CYCLE_1) | instskip(SKIP_2) | instid1(VALU_DEP_1)
	s_or_b32 exec_lo, exec_lo, s8
	v_lshrrev_b16 v1, 8, v0
	s_mov_b32 s8, exec_lo
	v_cmpx_ne_u16_e32 0, v1
	s_cbranch_execz .LBB224_90
; %bb.83:                               ;   in Loop: Header=BB224_10 Depth=1
	v_mov_b64_e32 v[2:3], 0x8000000000000000
	s_mov_b32 s9, exec_lo
	scratch_store_b64 off, v[2:3], s32 offset:268 ; 8-byte Folded Spill
	s_wait_xcnt 0x0
	v_cmpx_ne_u16_e32 0x80, v1
	s_cbranch_execz .LBB224_89
; %bb.84:                               ;   in Loop: Header=BB224_10 Depth=1
	v_and_b32_e32 v1, 0xffff, v1
	v_mov_b64_e32 v[4:5], 0x7f80000100000000
	s_mov_b32 s11, exec_lo
	s_delay_alu instid0(VALU_DEP_2)
	v_and_b32_e32 v2, 0x7f, v1
	scratch_store_b64 off, v[4:5], s32 offset:268 ; 8-byte Folded Spill
	s_wait_xcnt 0x0
	v_cmpx_ne_u32_e32 0x7f, v2
	s_cbranch_execz .LBB224_88
; %bb.85:                               ;   in Loop: Header=BB224_10 Depth=1
	scratch_load_b64 v[4:5], off, s32 offset:192 th:TH_LOAD_LU ; 8-byte Folded Reload
	s_wait_loadcnt 0x0
	v_dual_lshrrev_b32 v1, 3, v2 :: v_dual_bitop2_b32 v4, 7, v1 bitop3:0x40
	s_mov_b32 s16, exec_lo
	s_wait_xcnt 0x0
	v_cmpx_gt_u32_e32 8, v2
; %bb.86:                               ;   in Loop: Header=BB224_10 Depth=1
	s_delay_alu instid0(VALU_DEP_2) | instskip(NEXT) | instid1(VALU_DEP_1)
	v_clz_i32_u32_e32 v1, v4
	v_min_u32_e32 v1, 32, v1
	s_delay_alu instid0(VALU_DEP_1) | instskip(NEXT) | instid1(VALU_DEP_1)
	v_subrev_nc_u32_e32 v2, 28, v1
	v_lshlrev_b64_e32 v[2:3], v2, v[4:5]
	s_delay_alu instid0(VALU_DEP_1)
	v_dual_sub_nc_u32 v1, 29, v1 :: v_dual_bitop2_b32 v4, 7, v2 bitop3:0x40
; %bb.87:                               ;   in Loop: Header=BB224_10 Depth=1
	s_or_b32 exec_lo, exec_lo, s16
	v_lshlrev_b32_e32 v2, 16, v0
	s_delay_alu instid0(VALU_DEP_2) | instskip(NEXT) | instid1(VALU_DEP_3)
	v_lshlrev_b32_e32 v3, 20, v4
	v_lshl_add_u32 v1, v1, 23, 0x3c000000
	s_delay_alu instid0(VALU_DEP_3) | instskip(NEXT) | instid1(VALU_DEP_1)
	v_and_b32_e32 v2, 0x80000000, v2
	v_or3_b32 v3, v3, v2, v1
	v_dual_mov_b32 v1, v5 :: v_dual_mov_b32 v2, v5
	s_clause 0x1
	scratch_store_b64 off, v[0:1], s32 offset:192
	scratch_store_b64 off, v[2:3], s32 offset:268
.LBB224_88:                             ;   in Loop: Header=BB224_10 Depth=1
	s_wait_xcnt 0x0
	s_or_b32 exec_lo, exec_lo, s11
.LBB224_89:                             ;   in Loop: Header=BB224_10 Depth=1
	s_delay_alu instid0(SALU_CYCLE_1)
	s_or_b32 exec_lo, exec_lo, s9
.LBB224_90:                             ;   in Loop: Header=BB224_10 Depth=1
	s_delay_alu instid0(SALU_CYCLE_1) | instskip(SKIP_3) | instid1(VALU_DEP_1)
	s_or_b32 exec_lo, exec_lo, s8
	v_mov_b64_e32 v[4:5], 0
	v_lshrrev_b32_e32 v1, 16, v0
	s_mov_b32 s8, exec_lo
	v_and_b32_e32 v2, 0xff, v1
	scratch_store_b64 off, v[4:5], s32 offset:284 ; 8-byte Folded Spill
	s_wait_xcnt 0x0
	v_mov_b64_e32 v[4:5], 0
	scratch_store_b64 off, v[4:5], s32 offset:292 ; 8-byte Folded Spill
	s_wait_xcnt 0x0
	v_cmpx_ne_u16_e32 0, v2
	s_cbranch_execz .LBB224_98
; %bb.91:                               ;   in Loop: Header=BB224_10 Depth=1
	v_cmp_ne_u16_e64 s1, 0x80, v2
	v_mov_b64_e32 v[2:3], 0x80000000
	scratch_store_b64 off, v[2:3], s32 offset:292 ; 8-byte Folded Spill
	s_wait_xcnt 0x0
	s_and_saveexec_b32 s9, s1
	s_cbranch_execz .LBB224_97
; %bb.92:                               ;   in Loop: Header=BB224_10 Depth=1
	v_mov_b64_e32 v[4:5], 0x7f800001
	v_bfe_u32 v3, v0, 16, 7
	s_mov_b32 s11, exec_lo
	scratch_store_b64 off, v[4:5], s32 offset:292 ; 8-byte Folded Spill
	s_wait_xcnt 0x0
	v_cmpx_ne_u32_e32 0x7f, v3
	s_cbranch_execz .LBB224_96
; %bb.93:                               ;   in Loop: Header=BB224_10 Depth=1
	scratch_load_b64 v[6:7], off, s32 offset:192 th:TH_LOAD_LU ; 8-byte Folded Reload
	s_wait_loadcnt 0x0
	v_dual_lshrrev_b32 v2, 3, v3 :: v_dual_bitop2_b32 v6, 7, v1 bitop3:0x40
	s_mov_b32 s16, exec_lo
	s_wait_xcnt 0x0
	v_cmpx_gt_u32_e32 8, v3
; %bb.94:                               ;   in Loop: Header=BB224_10 Depth=1
	s_delay_alu instid0(VALU_DEP_2) | instskip(NEXT) | instid1(VALU_DEP_1)
	v_clz_i32_u32_e32 v2, v6
	v_min_u32_e32 v2, 32, v2
	s_delay_alu instid0(VALU_DEP_1) | instskip(NEXT) | instid1(VALU_DEP_1)
	v_subrev_nc_u32_e32 v3, 28, v2
	v_lshlrev_b64_e32 v[4:5], v3, v[6:7]
	s_delay_alu instid0(VALU_DEP_1)
	v_dual_sub_nc_u32 v2, 29, v2 :: v_dual_bitop2_b32 v6, 7, v4 bitop3:0x40
; %bb.95:                               ;   in Loop: Header=BB224_10 Depth=1
	s_or_b32 exec_lo, exec_lo, s16
	s_delay_alu instid0(VALU_DEP_1) | instskip(NEXT) | instid1(VALU_DEP_2)
	v_dual_lshlrev_b32 v1, 24, v1 :: v_dual_lshlrev_b32 v3, 20, v6
	v_lshl_add_u32 v2, v2, 23, 0x3c000000
	s_delay_alu instid0(VALU_DEP_2) | instskip(NEXT) | instid1(VALU_DEP_1)
	v_and_b32_e32 v1, 0x80000000, v1
	v_or3_b32 v6, v3, v1, v2
	v_mov_b32_e32 v1, v7
	s_clause 0x1
	scratch_store_b64 off, v[0:1], s32 offset:192
	scratch_store_b64 off, v[6:7], s32 offset:292
.LBB224_96:                             ;   in Loop: Header=BB224_10 Depth=1
	s_wait_xcnt 0x0
	s_or_b32 exec_lo, exec_lo, s11
.LBB224_97:                             ;   in Loop: Header=BB224_10 Depth=1
	s_delay_alu instid0(SALU_CYCLE_1)
	s_or_b32 exec_lo, exec_lo, s9
.LBB224_98:                             ;   in Loop: Header=BB224_10 Depth=1
	s_delay_alu instid0(SALU_CYCLE_1) | instskip(NEXT) | instid1(SALU_CYCLE_1)
	s_or_b32 exec_lo, exec_lo, s8
	s_mov_b32 s8, exec_lo
	v_cmpx_lt_u32_e32 0xffffff, v0
	s_cbranch_execz .LBB224_106
; %bb.99:                               ;   in Loop: Header=BB224_10 Depth=1
	v_mov_b64_e32 v[2:3], 0x8000000000000000
	v_lshrrev_b32_e32 v1, 24, v0
	s_mov_b32 s9, exec_lo
	scratch_store_b64 off, v[2:3], s32 offset:284 ; 8-byte Folded Spill
	s_wait_xcnt 0x0
	v_cmpx_ne_u32_e32 0x80, v1
	s_cbranch_execz .LBB224_105
; %bb.100:                              ;   in Loop: Header=BB224_10 Depth=1
	v_mov_b64_e32 v[4:5], 0x7f80000100000000
	v_bfe_u32 v2, v0, 24, 7
	s_mov_b32 s11, exec_lo
	scratch_store_b64 off, v[4:5], s32 offset:284 ; 8-byte Folded Spill
	s_wait_xcnt 0x0
	v_cmpx_ne_u32_e32 0x7f, v2
	s_cbranch_execz .LBB224_104
; %bb.101:                              ;   in Loop: Header=BB224_10 Depth=1
	scratch_load_b64 v[4:5], off, s32 offset:192 th:TH_LOAD_LU ; 8-byte Folded Reload
	s_wait_loadcnt 0x0
	v_dual_lshrrev_b32 v0, 3, v2 :: v_dual_bitop2_b32 v4, 7, v1 bitop3:0x40
	v_cmp_gt_u32_e64 s1, 8, v2
	s_delay_alu instid0(VALU_DEP_2)
	v_mov_b64_e32 v[2:3], v[4:5]
	s_wait_xcnt 0x0
	s_and_saveexec_b32 s16, s1
	s_cbranch_execz .LBB224_103
; %bb.102:                              ;   in Loop: Header=BB224_10 Depth=1
	s_delay_alu instid0(VALU_DEP_1) | instskip(NEXT) | instid1(VALU_DEP_2)
	v_clz_i32_u32_e32 v0, v2
	v_mov_b64_e32 v[4:5], v[2:3]
	s_delay_alu instid0(VALU_DEP_2) | instskip(NEXT) | instid1(VALU_DEP_1)
	v_min_u32_e32 v0, 32, v0
	v_subrev_nc_u32_e32 v2, 28, v0
	s_delay_alu instid0(VALU_DEP_1) | instskip(NEXT) | instid1(VALU_DEP_1)
	v_lshlrev_b64_e32 v[2:3], v2, v[4:5]
	v_dual_sub_nc_u32 v0, 29, v0 :: v_dual_bitop2_b32 v4, 7, v2 bitop3:0x40
	s_delay_alu instid0(VALU_DEP_1)
	v_mov_b64_e32 v[2:3], v[4:5]
.LBB224_103:                            ;   in Loop: Header=BB224_10 Depth=1
	s_or_b32 exec_lo, exec_lo, s16
	s_delay_alu instid0(VALU_DEP_1) | instskip(NEXT) | instid1(VALU_DEP_3)
	v_dual_lshlrev_b32 v1, 24, v1 :: v_dual_lshlrev_b32 v2, 20, v2
	v_lshl_add_u32 v0, v0, 23, 0x3c000000
	s_delay_alu instid0(VALU_DEP_3) | instskip(NEXT) | instid1(VALU_DEP_3)
	v_mov_b32_e32 v4, v3
	v_and_b32_e32 v1, 0x80000000, v1
	s_delay_alu instid0(VALU_DEP_1)
	v_or3_b32 v5, v2, v1, v0
	v_mov_b32_e32 v1, v3
	s_clause 0x1
	scratch_store_b64 off, v[4:5], s32 offset:284
	scratch_store_b64 off, v[0:1], s32 offset:192
.LBB224_104:                            ;   in Loop: Header=BB224_10 Depth=1
	s_wait_xcnt 0x0
	s_or_b32 exec_lo, exec_lo, s11
.LBB224_105:                            ;   in Loop: Header=BB224_10 Depth=1
	s_delay_alu instid0(SALU_CYCLE_1)
	s_or_b32 exec_lo, exec_lo, s9
.LBB224_106:                            ;   in Loop: Header=BB224_10 Depth=1
	s_delay_alu instid0(SALU_CYCLE_1)
	s_or_b32 exec_lo, exec_lo, s8
	flat_load_b32 v0, v[26:27] offset:12
	v_mov_b64_e32 v[2:3], 0
	s_mov_b32 s8, exec_lo
	scratch_store_b64 off, v[2:3], s32 offset:300 ; 8-byte Folded Spill
	s_wait_xcnt 0x0
	v_mov_b64_e32 v[2:3], 0
	scratch_store_b64 off, v[2:3], s32 offset:308 ; 8-byte Folded Spill
	s_wait_loadcnt_dscnt 0x0
	v_and_b32_e32 v1, 0xff, v0
	s_wait_xcnt 0x0
	s_delay_alu instid0(VALU_DEP_1)
	v_cmpx_ne_u16_e32 0, v1
	s_cbranch_execz .LBB224_114
; %bb.107:                              ;   in Loop: Header=BB224_10 Depth=1
	v_mov_b64_e32 v[2:3], 0x80000000
	s_mov_b32 s9, exec_lo
	scratch_store_b64 off, v[2:3], s32 offset:308 ; 8-byte Folded Spill
	s_wait_xcnt 0x0
	v_cmpx_ne_u16_e32 0x80, v1
	s_cbranch_execz .LBB224_113
; %bb.108:                              ;   in Loop: Header=BB224_10 Depth=1
	v_mov_b64_e32 v[4:5], 0x7f800001
	v_and_b32_e32 v2, 0x7f, v0
	s_mov_b32 s11, exec_lo
	scratch_store_b64 off, v[4:5], s32 offset:308 ; 8-byte Folded Spill
	s_wait_xcnt 0x0
	v_cmpx_ne_u32_e32 0x7f, v2
	s_cbranch_execz .LBB224_112
; %bb.109:                              ;   in Loop: Header=BB224_10 Depth=1
	scratch_load_b64 v[4:5], off, s32 offset:192 th:TH_LOAD_LU ; 8-byte Folded Reload
	s_wait_loadcnt 0x0
	v_dual_lshrrev_b32 v1, 3, v2 :: v_dual_bitop2_b32 v4, 7, v0 bitop3:0x40
	s_mov_b32 s16, exec_lo
	s_wait_xcnt 0x0
	v_cmpx_gt_u32_e32 8, v2
; %bb.110:                              ;   in Loop: Header=BB224_10 Depth=1
	s_delay_alu instid0(VALU_DEP_2) | instskip(NEXT) | instid1(VALU_DEP_1)
	v_clz_i32_u32_e32 v1, v4
	v_min_u32_e32 v1, 32, v1
	s_delay_alu instid0(VALU_DEP_1) | instskip(NEXT) | instid1(VALU_DEP_1)
	v_subrev_nc_u32_e32 v2, 28, v1
	v_lshlrev_b64_e32 v[2:3], v2, v[4:5]
	s_delay_alu instid0(VALU_DEP_1)
	v_dual_sub_nc_u32 v1, 29, v1 :: v_dual_bitop2_b32 v4, 7, v2 bitop3:0x40
; %bb.111:                              ;   in Loop: Header=BB224_10 Depth=1
	s_or_b32 exec_lo, exec_lo, s16
	v_lshlrev_b32_e32 v2, 24, v0
	s_delay_alu instid0(VALU_DEP_2) | instskip(NEXT) | instid1(VALU_DEP_3)
	v_lshlrev_b32_e32 v3, 20, v4
	v_lshl_add_u32 v1, v1, 23, 0x3c000000
	s_delay_alu instid0(VALU_DEP_3) | instskip(NEXT) | instid1(VALU_DEP_1)
	v_and_b32_e32 v2, 0x80000000, v2
	v_or3_b32 v4, v3, v2, v1
	v_mov_b32_e32 v1, v5
	s_clause 0x1
	scratch_store_b64 off, v[0:1], s32 offset:192
	scratch_store_b64 off, v[4:5], s32 offset:308
.LBB224_112:                            ;   in Loop: Header=BB224_10 Depth=1
	s_wait_xcnt 0x0
	s_or_b32 exec_lo, exec_lo, s11
.LBB224_113:                            ;   in Loop: Header=BB224_10 Depth=1
	s_delay_alu instid0(SALU_CYCLE_1)
	s_or_b32 exec_lo, exec_lo, s9
.LBB224_114:                            ;   in Loop: Header=BB224_10 Depth=1
	s_delay_alu instid0(SALU_CYCLE_1) | instskip(SKIP_2) | instid1(VALU_DEP_1)
	s_or_b32 exec_lo, exec_lo, s8
	v_lshrrev_b16 v1, 8, v0
	s_mov_b32 s8, exec_lo
	v_cmpx_ne_u16_e32 0, v1
	s_cbranch_execz .LBB224_122
; %bb.115:                              ;   in Loop: Header=BB224_10 Depth=1
	v_mov_b64_e32 v[2:3], 0x8000000000000000
	s_mov_b32 s9, exec_lo
	scratch_store_b64 off, v[2:3], s32 offset:300 ; 8-byte Folded Spill
	s_wait_xcnt 0x0
	v_cmpx_ne_u16_e32 0x80, v1
	s_cbranch_execz .LBB224_121
; %bb.116:                              ;   in Loop: Header=BB224_10 Depth=1
	v_and_b32_e32 v1, 0xffff, v1
	v_mov_b64_e32 v[4:5], 0x7f80000100000000
	s_mov_b32 s11, exec_lo
	s_delay_alu instid0(VALU_DEP_2)
	v_and_b32_e32 v2, 0x7f, v1
	scratch_store_b64 off, v[4:5], s32 offset:300 ; 8-byte Folded Spill
	s_wait_xcnt 0x0
	v_cmpx_ne_u32_e32 0x7f, v2
	s_cbranch_execz .LBB224_120
; %bb.117:                              ;   in Loop: Header=BB224_10 Depth=1
	scratch_load_b64 v[4:5], off, s32 offset:192 th:TH_LOAD_LU ; 8-byte Folded Reload
	s_wait_loadcnt 0x0
	v_dual_lshrrev_b32 v1, 3, v2 :: v_dual_bitop2_b32 v4, 7, v1 bitop3:0x40
	s_mov_b32 s16, exec_lo
	s_wait_xcnt 0x0
	v_cmpx_gt_u32_e32 8, v2
; %bb.118:                              ;   in Loop: Header=BB224_10 Depth=1
	s_delay_alu instid0(VALU_DEP_2) | instskip(NEXT) | instid1(VALU_DEP_1)
	v_clz_i32_u32_e32 v1, v4
	v_min_u32_e32 v1, 32, v1
	s_delay_alu instid0(VALU_DEP_1) | instskip(NEXT) | instid1(VALU_DEP_1)
	v_subrev_nc_u32_e32 v2, 28, v1
	v_lshlrev_b64_e32 v[2:3], v2, v[4:5]
	s_delay_alu instid0(VALU_DEP_1)
	v_dual_sub_nc_u32 v1, 29, v1 :: v_dual_bitop2_b32 v4, 7, v2 bitop3:0x40
; %bb.119:                              ;   in Loop: Header=BB224_10 Depth=1
	s_or_b32 exec_lo, exec_lo, s16
	v_lshlrev_b32_e32 v2, 16, v0
	s_delay_alu instid0(VALU_DEP_2) | instskip(NEXT) | instid1(VALU_DEP_3)
	v_lshlrev_b32_e32 v3, 20, v4
	v_lshl_add_u32 v1, v1, 23, 0x3c000000
	s_delay_alu instid0(VALU_DEP_3) | instskip(NEXT) | instid1(VALU_DEP_1)
	v_and_b32_e32 v2, 0x80000000, v2
	v_or3_b32 v3, v3, v2, v1
	v_dual_mov_b32 v1, v5 :: v_dual_mov_b32 v2, v5
	s_clause 0x1
	scratch_store_b64 off, v[0:1], s32 offset:192
	scratch_store_b64 off, v[2:3], s32 offset:300
.LBB224_120:                            ;   in Loop: Header=BB224_10 Depth=1
	s_wait_xcnt 0x0
	s_or_b32 exec_lo, exec_lo, s11
.LBB224_121:                            ;   in Loop: Header=BB224_10 Depth=1
	s_delay_alu instid0(SALU_CYCLE_1)
	s_or_b32 exec_lo, exec_lo, s9
.LBB224_122:                            ;   in Loop: Header=BB224_10 Depth=1
	s_delay_alu instid0(SALU_CYCLE_1) | instskip(SKIP_3) | instid1(VALU_DEP_1)
	s_or_b32 exec_lo, exec_lo, s8
	v_mov_b64_e32 v[4:5], 0
	v_lshrrev_b32_e32 v1, 16, v0
	s_mov_b32 s8, exec_lo
	v_and_b32_e32 v2, 0xff, v1
	scratch_store_b64 off, v[4:5], s32 offset:316 ; 8-byte Folded Spill
	s_wait_xcnt 0x0
	v_mov_b64_e32 v[4:5], 0
	scratch_store_b64 off, v[4:5], s32 offset:324 ; 8-byte Folded Spill
	s_wait_xcnt 0x0
	v_cmpx_ne_u16_e32 0, v2
	s_cbranch_execz .LBB224_130
; %bb.123:                              ;   in Loop: Header=BB224_10 Depth=1
	v_cmp_ne_u16_e64 s1, 0x80, v2
	v_mov_b64_e32 v[2:3], 0x80000000
	scratch_store_b64 off, v[2:3], s32 offset:324 ; 8-byte Folded Spill
	s_wait_xcnt 0x0
	s_and_saveexec_b32 s9, s1
	s_cbranch_execz .LBB224_129
; %bb.124:                              ;   in Loop: Header=BB224_10 Depth=1
	v_mov_b64_e32 v[4:5], 0x7f800001
	v_bfe_u32 v3, v0, 16, 7
	s_mov_b32 s11, exec_lo
	scratch_store_b64 off, v[4:5], s32 offset:324 ; 8-byte Folded Spill
	s_wait_xcnt 0x0
	v_cmpx_ne_u32_e32 0x7f, v3
	s_cbranch_execz .LBB224_128
; %bb.125:                              ;   in Loop: Header=BB224_10 Depth=1
	scratch_load_b64 v[6:7], off, s32 offset:192 th:TH_LOAD_LU ; 8-byte Folded Reload
	s_wait_loadcnt 0x0
	v_dual_lshrrev_b32 v2, 3, v3 :: v_dual_bitop2_b32 v6, 7, v1 bitop3:0x40
	s_mov_b32 s16, exec_lo
	s_wait_xcnt 0x0
	v_cmpx_gt_u32_e32 8, v3
; %bb.126:                              ;   in Loop: Header=BB224_10 Depth=1
	s_delay_alu instid0(VALU_DEP_2) | instskip(NEXT) | instid1(VALU_DEP_1)
	v_clz_i32_u32_e32 v2, v6
	v_min_u32_e32 v2, 32, v2
	s_delay_alu instid0(VALU_DEP_1) | instskip(NEXT) | instid1(VALU_DEP_1)
	v_subrev_nc_u32_e32 v3, 28, v2
	v_lshlrev_b64_e32 v[4:5], v3, v[6:7]
	s_delay_alu instid0(VALU_DEP_1)
	v_dual_sub_nc_u32 v2, 29, v2 :: v_dual_bitop2_b32 v6, 7, v4 bitop3:0x40
; %bb.127:                              ;   in Loop: Header=BB224_10 Depth=1
	s_or_b32 exec_lo, exec_lo, s16
	s_delay_alu instid0(VALU_DEP_1) | instskip(NEXT) | instid1(VALU_DEP_2)
	v_dual_lshlrev_b32 v1, 24, v1 :: v_dual_lshlrev_b32 v3, 20, v6
	v_lshl_add_u32 v2, v2, 23, 0x3c000000
	s_delay_alu instid0(VALU_DEP_2) | instskip(NEXT) | instid1(VALU_DEP_1)
	v_and_b32_e32 v1, 0x80000000, v1
	v_or3_b32 v6, v3, v1, v2
	v_mov_b32_e32 v1, v7
	s_clause 0x1
	scratch_store_b64 off, v[0:1], s32 offset:192
	scratch_store_b64 off, v[6:7], s32 offset:324
.LBB224_128:                            ;   in Loop: Header=BB224_10 Depth=1
	s_wait_xcnt 0x0
	s_or_b32 exec_lo, exec_lo, s11
.LBB224_129:                            ;   in Loop: Header=BB224_10 Depth=1
	s_delay_alu instid0(SALU_CYCLE_1)
	s_or_b32 exec_lo, exec_lo, s9
.LBB224_130:                            ;   in Loop: Header=BB224_10 Depth=1
	s_delay_alu instid0(SALU_CYCLE_1) | instskip(NEXT) | instid1(SALU_CYCLE_1)
	s_or_b32 exec_lo, exec_lo, s8
	s_mov_b32 s8, exec_lo
	v_cmpx_lt_u32_e32 0xffffff, v0
	s_cbranch_execz .LBB224_138
; %bb.131:                              ;   in Loop: Header=BB224_10 Depth=1
	v_mov_b64_e32 v[2:3], 0x8000000000000000
	v_lshrrev_b32_e32 v1, 24, v0
	s_mov_b32 s9, exec_lo
	scratch_store_b64 off, v[2:3], s32 offset:316 ; 8-byte Folded Spill
	s_wait_xcnt 0x0
	v_cmpx_ne_u32_e32 0x80, v1
	s_cbranch_execz .LBB224_137
; %bb.132:                              ;   in Loop: Header=BB224_10 Depth=1
	v_mov_b64_e32 v[4:5], 0x7f80000100000000
	v_bfe_u32 v2, v0, 24, 7
	s_mov_b32 s11, exec_lo
	scratch_store_b64 off, v[4:5], s32 offset:316 ; 8-byte Folded Spill
	s_wait_xcnt 0x0
	v_cmpx_ne_u32_e32 0x7f, v2
	s_cbranch_execz .LBB224_136
; %bb.133:                              ;   in Loop: Header=BB224_10 Depth=1
	scratch_load_b64 v[4:5], off, s32 offset:192 th:TH_LOAD_LU ; 8-byte Folded Reload
	s_wait_loadcnt 0x0
	v_dual_lshrrev_b32 v0, 3, v2 :: v_dual_bitop2_b32 v4, 7, v1 bitop3:0x40
	v_cmp_gt_u32_e64 s1, 8, v2
	s_delay_alu instid0(VALU_DEP_2)
	v_mov_b64_e32 v[2:3], v[4:5]
	s_wait_xcnt 0x0
	s_and_saveexec_b32 s16, s1
	s_cbranch_execz .LBB224_135
; %bb.134:                              ;   in Loop: Header=BB224_10 Depth=1
	s_delay_alu instid0(VALU_DEP_1) | instskip(NEXT) | instid1(VALU_DEP_2)
	v_clz_i32_u32_e32 v0, v2
	v_mov_b64_e32 v[4:5], v[2:3]
	s_delay_alu instid0(VALU_DEP_2) | instskip(NEXT) | instid1(VALU_DEP_1)
	v_min_u32_e32 v0, 32, v0
	v_subrev_nc_u32_e32 v2, 28, v0
	s_delay_alu instid0(VALU_DEP_1) | instskip(NEXT) | instid1(VALU_DEP_1)
	v_lshlrev_b64_e32 v[2:3], v2, v[4:5]
	v_dual_sub_nc_u32 v0, 29, v0 :: v_dual_bitop2_b32 v4, 7, v2 bitop3:0x40
	s_delay_alu instid0(VALU_DEP_1)
	v_mov_b64_e32 v[2:3], v[4:5]
.LBB224_135:                            ;   in Loop: Header=BB224_10 Depth=1
	s_or_b32 exec_lo, exec_lo, s16
	s_delay_alu instid0(VALU_DEP_1) | instskip(NEXT) | instid1(VALU_DEP_3)
	v_dual_lshlrev_b32 v1, 24, v1 :: v_dual_lshlrev_b32 v2, 20, v2
	v_lshl_add_u32 v0, v0, 23, 0x3c000000
	s_delay_alu instid0(VALU_DEP_3) | instskip(NEXT) | instid1(VALU_DEP_3)
	v_mov_b32_e32 v4, v3
	v_and_b32_e32 v1, 0x80000000, v1
	s_delay_alu instid0(VALU_DEP_1)
	v_or3_b32 v5, v2, v1, v0
	v_mov_b32_e32 v1, v3
	s_clause 0x1
	scratch_store_b64 off, v[4:5], s32 offset:316
	scratch_store_b64 off, v[0:1], s32 offset:192
.LBB224_136:                            ;   in Loop: Header=BB224_10 Depth=1
	s_wait_xcnt 0x0
	s_or_b32 exec_lo, exec_lo, s11
.LBB224_137:                            ;   in Loop: Header=BB224_10 Depth=1
	s_delay_alu instid0(SALU_CYCLE_1)
	s_or_b32 exec_lo, exec_lo, s9
.LBB224_138:                            ;   in Loop: Header=BB224_10 Depth=1
	s_delay_alu instid0(SALU_CYCLE_1)
	s_or_b32 exec_lo, exec_lo, s8
	flat_load_b32 v0, v[26:27] offset:512
	v_mov_b64_e32 v[2:3], 0
	s_mov_b32 s8, exec_lo
	scratch_store_b64 off, v[2:3], s32 offset:332 ; 8-byte Folded Spill
	s_wait_xcnt 0x0
	v_mov_b64_e32 v[2:3], 0
	scratch_store_b64 off, v[2:3], s32 offset:340 ; 8-byte Folded Spill
	s_wait_loadcnt_dscnt 0x0
	v_and_b32_e32 v1, 0xff, v0
	s_wait_xcnt 0x0
	s_delay_alu instid0(VALU_DEP_1)
	v_cmpx_ne_u16_e32 0, v1
	s_cbranch_execz .LBB224_146
; %bb.139:                              ;   in Loop: Header=BB224_10 Depth=1
	v_mov_b64_e32 v[2:3], 0x80000000
	s_mov_b32 s9, exec_lo
	scratch_store_b64 off, v[2:3], s32 offset:340 ; 8-byte Folded Spill
	s_wait_xcnt 0x0
	v_cmpx_ne_u16_e32 0x80, v1
	s_cbranch_execz .LBB224_145
; %bb.140:                              ;   in Loop: Header=BB224_10 Depth=1
	v_mov_b64_e32 v[4:5], 0x7f800001
	v_and_b32_e32 v2, 0x7f, v0
	s_mov_b32 s11, exec_lo
	scratch_store_b64 off, v[4:5], s32 offset:340 ; 8-byte Folded Spill
	s_wait_xcnt 0x0
	v_cmpx_ne_u32_e32 0x7f, v2
	s_cbranch_execz .LBB224_144
; %bb.141:                              ;   in Loop: Header=BB224_10 Depth=1
	scratch_load_b64 v[4:5], off, s32 offset:192 th:TH_LOAD_LU ; 8-byte Folded Reload
	s_wait_loadcnt 0x0
	v_dual_lshrrev_b32 v1, 3, v2 :: v_dual_bitop2_b32 v4, 7, v0 bitop3:0x40
	s_mov_b32 s16, exec_lo
	s_wait_xcnt 0x0
	v_cmpx_gt_u32_e32 8, v2
; %bb.142:                              ;   in Loop: Header=BB224_10 Depth=1
	s_delay_alu instid0(VALU_DEP_2) | instskip(NEXT) | instid1(VALU_DEP_1)
	v_clz_i32_u32_e32 v1, v4
	v_min_u32_e32 v1, 32, v1
	s_delay_alu instid0(VALU_DEP_1) | instskip(NEXT) | instid1(VALU_DEP_1)
	v_subrev_nc_u32_e32 v2, 28, v1
	v_lshlrev_b64_e32 v[2:3], v2, v[4:5]
	s_delay_alu instid0(VALU_DEP_1)
	v_dual_sub_nc_u32 v1, 29, v1 :: v_dual_bitop2_b32 v4, 7, v2 bitop3:0x40
; %bb.143:                              ;   in Loop: Header=BB224_10 Depth=1
	s_or_b32 exec_lo, exec_lo, s16
	v_lshlrev_b32_e32 v2, 24, v0
	s_delay_alu instid0(VALU_DEP_2) | instskip(NEXT) | instid1(VALU_DEP_3)
	v_lshlrev_b32_e32 v3, 20, v4
	v_lshl_add_u32 v1, v1, 23, 0x3c000000
	s_delay_alu instid0(VALU_DEP_3) | instskip(NEXT) | instid1(VALU_DEP_1)
	v_and_b32_e32 v2, 0x80000000, v2
	v_or3_b32 v4, v3, v2, v1
	v_mov_b32_e32 v1, v5
	s_clause 0x1
	scratch_store_b64 off, v[0:1], s32 offset:192
	scratch_store_b64 off, v[4:5], s32 offset:340
.LBB224_144:                            ;   in Loop: Header=BB224_10 Depth=1
	s_wait_xcnt 0x0
	s_or_b32 exec_lo, exec_lo, s11
.LBB224_145:                            ;   in Loop: Header=BB224_10 Depth=1
	s_delay_alu instid0(SALU_CYCLE_1)
	s_or_b32 exec_lo, exec_lo, s9
.LBB224_146:                            ;   in Loop: Header=BB224_10 Depth=1
	s_delay_alu instid0(SALU_CYCLE_1) | instskip(SKIP_2) | instid1(VALU_DEP_1)
	s_or_b32 exec_lo, exec_lo, s8
	v_lshrrev_b16 v1, 8, v0
	s_mov_b32 s8, exec_lo
	v_cmpx_ne_u16_e32 0, v1
	s_cbranch_execz .LBB224_154
; %bb.147:                              ;   in Loop: Header=BB224_10 Depth=1
	v_mov_b64_e32 v[2:3], 0x8000000000000000
	s_mov_b32 s9, exec_lo
	scratch_store_b64 off, v[2:3], s32 offset:332 ; 8-byte Folded Spill
	s_wait_xcnt 0x0
	v_cmpx_ne_u16_e32 0x80, v1
	s_cbranch_execz .LBB224_153
; %bb.148:                              ;   in Loop: Header=BB224_10 Depth=1
	v_and_b32_e32 v1, 0xffff, v1
	v_mov_b64_e32 v[4:5], 0x7f80000100000000
	s_mov_b32 s11, exec_lo
	s_delay_alu instid0(VALU_DEP_2)
	v_and_b32_e32 v2, 0x7f, v1
	scratch_store_b64 off, v[4:5], s32 offset:332 ; 8-byte Folded Spill
	s_wait_xcnt 0x0
	v_cmpx_ne_u32_e32 0x7f, v2
	s_cbranch_execz .LBB224_152
; %bb.149:                              ;   in Loop: Header=BB224_10 Depth=1
	scratch_load_b64 v[4:5], off, s32 offset:192 th:TH_LOAD_LU ; 8-byte Folded Reload
	s_wait_loadcnt 0x0
	v_dual_lshrrev_b32 v1, 3, v2 :: v_dual_bitop2_b32 v4, 7, v1 bitop3:0x40
	s_mov_b32 s16, exec_lo
	s_wait_xcnt 0x0
	v_cmpx_gt_u32_e32 8, v2
; %bb.150:                              ;   in Loop: Header=BB224_10 Depth=1
	s_delay_alu instid0(VALU_DEP_2) | instskip(NEXT) | instid1(VALU_DEP_1)
	v_clz_i32_u32_e32 v1, v4
	v_min_u32_e32 v1, 32, v1
	s_delay_alu instid0(VALU_DEP_1) | instskip(NEXT) | instid1(VALU_DEP_1)
	v_subrev_nc_u32_e32 v2, 28, v1
	v_lshlrev_b64_e32 v[2:3], v2, v[4:5]
	s_delay_alu instid0(VALU_DEP_1)
	v_dual_sub_nc_u32 v1, 29, v1 :: v_dual_bitop2_b32 v4, 7, v2 bitop3:0x40
; %bb.151:                              ;   in Loop: Header=BB224_10 Depth=1
	s_or_b32 exec_lo, exec_lo, s16
	v_lshlrev_b32_e32 v2, 16, v0
	s_delay_alu instid0(VALU_DEP_2) | instskip(NEXT) | instid1(VALU_DEP_3)
	v_lshlrev_b32_e32 v3, 20, v4
	v_lshl_add_u32 v1, v1, 23, 0x3c000000
	s_delay_alu instid0(VALU_DEP_3) | instskip(NEXT) | instid1(VALU_DEP_1)
	v_and_b32_e32 v2, 0x80000000, v2
	v_or3_b32 v3, v3, v2, v1
	v_dual_mov_b32 v1, v5 :: v_dual_mov_b32 v2, v5
	s_clause 0x1
	scratch_store_b64 off, v[0:1], s32 offset:192
	scratch_store_b64 off, v[2:3], s32 offset:332
.LBB224_152:                            ;   in Loop: Header=BB224_10 Depth=1
	s_wait_xcnt 0x0
	s_or_b32 exec_lo, exec_lo, s11
.LBB224_153:                            ;   in Loop: Header=BB224_10 Depth=1
	s_delay_alu instid0(SALU_CYCLE_1)
	s_or_b32 exec_lo, exec_lo, s9
.LBB224_154:                            ;   in Loop: Header=BB224_10 Depth=1
	s_delay_alu instid0(SALU_CYCLE_1) | instskip(SKIP_3) | instid1(VALU_DEP_1)
	s_or_b32 exec_lo, exec_lo, s8
	v_mov_b64_e32 v[4:5], 0
	v_lshrrev_b32_e32 v1, 16, v0
	s_mov_b32 s8, exec_lo
	v_and_b32_e32 v2, 0xff, v1
	scratch_store_b64 off, v[4:5], s32 offset:348 ; 8-byte Folded Spill
	s_wait_xcnt 0x0
	v_mov_b64_e32 v[4:5], 0
	scratch_store_b64 off, v[4:5], s32 offset:356 ; 8-byte Folded Spill
	s_wait_xcnt 0x0
	v_cmpx_ne_u16_e32 0, v2
	s_cbranch_execz .LBB224_162
; %bb.155:                              ;   in Loop: Header=BB224_10 Depth=1
	v_cmp_ne_u16_e64 s1, 0x80, v2
	v_mov_b64_e32 v[2:3], 0x80000000
	scratch_store_b64 off, v[2:3], s32 offset:356 ; 8-byte Folded Spill
	s_wait_xcnt 0x0
	s_and_saveexec_b32 s9, s1
	s_cbranch_execz .LBB224_161
; %bb.156:                              ;   in Loop: Header=BB224_10 Depth=1
	v_mov_b64_e32 v[4:5], 0x7f800001
	v_bfe_u32 v3, v0, 16, 7
	s_mov_b32 s11, exec_lo
	scratch_store_b64 off, v[4:5], s32 offset:356 ; 8-byte Folded Spill
	s_wait_xcnt 0x0
	v_cmpx_ne_u32_e32 0x7f, v3
	s_cbranch_execz .LBB224_160
; %bb.157:                              ;   in Loop: Header=BB224_10 Depth=1
	scratch_load_b64 v[6:7], off, s32 offset:192 th:TH_LOAD_LU ; 8-byte Folded Reload
	s_wait_loadcnt 0x0
	v_dual_lshrrev_b32 v2, 3, v3 :: v_dual_bitop2_b32 v6, 7, v1 bitop3:0x40
	s_mov_b32 s16, exec_lo
	s_wait_xcnt 0x0
	v_cmpx_gt_u32_e32 8, v3
; %bb.158:                              ;   in Loop: Header=BB224_10 Depth=1
	s_delay_alu instid0(VALU_DEP_2) | instskip(NEXT) | instid1(VALU_DEP_1)
	v_clz_i32_u32_e32 v2, v6
	v_min_u32_e32 v2, 32, v2
	s_delay_alu instid0(VALU_DEP_1) | instskip(NEXT) | instid1(VALU_DEP_1)
	v_subrev_nc_u32_e32 v3, 28, v2
	v_lshlrev_b64_e32 v[4:5], v3, v[6:7]
	s_delay_alu instid0(VALU_DEP_1)
	v_dual_sub_nc_u32 v2, 29, v2 :: v_dual_bitop2_b32 v6, 7, v4 bitop3:0x40
; %bb.159:                              ;   in Loop: Header=BB224_10 Depth=1
	s_or_b32 exec_lo, exec_lo, s16
	s_delay_alu instid0(VALU_DEP_1) | instskip(NEXT) | instid1(VALU_DEP_2)
	v_dual_lshlrev_b32 v1, 24, v1 :: v_dual_lshlrev_b32 v3, 20, v6
	v_lshl_add_u32 v2, v2, 23, 0x3c000000
	s_delay_alu instid0(VALU_DEP_2) | instskip(NEXT) | instid1(VALU_DEP_1)
	v_and_b32_e32 v1, 0x80000000, v1
	v_or3_b32 v6, v3, v1, v2
	v_mov_b32_e32 v1, v7
	s_clause 0x1
	scratch_store_b64 off, v[0:1], s32 offset:192
	scratch_store_b64 off, v[6:7], s32 offset:356
.LBB224_160:                            ;   in Loop: Header=BB224_10 Depth=1
	s_wait_xcnt 0x0
	s_or_b32 exec_lo, exec_lo, s11
.LBB224_161:                            ;   in Loop: Header=BB224_10 Depth=1
	s_delay_alu instid0(SALU_CYCLE_1)
	s_or_b32 exec_lo, exec_lo, s9
.LBB224_162:                            ;   in Loop: Header=BB224_10 Depth=1
	s_delay_alu instid0(SALU_CYCLE_1) | instskip(NEXT) | instid1(SALU_CYCLE_1)
	s_or_b32 exec_lo, exec_lo, s8
	s_mov_b32 s8, exec_lo
	v_cmpx_lt_u32_e32 0xffffff, v0
	s_cbranch_execz .LBB224_170
; %bb.163:                              ;   in Loop: Header=BB224_10 Depth=1
	v_mov_b64_e32 v[2:3], 0x8000000000000000
	v_lshrrev_b32_e32 v1, 24, v0
	s_mov_b32 s9, exec_lo
	scratch_store_b64 off, v[2:3], s32 offset:348 ; 8-byte Folded Spill
	s_wait_xcnt 0x0
	v_cmpx_ne_u32_e32 0x80, v1
	s_cbranch_execz .LBB224_169
; %bb.164:                              ;   in Loop: Header=BB224_10 Depth=1
	v_mov_b64_e32 v[4:5], 0x7f80000100000000
	v_bfe_u32 v2, v0, 24, 7
	s_mov_b32 s11, exec_lo
	scratch_store_b64 off, v[4:5], s32 offset:348 ; 8-byte Folded Spill
	s_wait_xcnt 0x0
	v_cmpx_ne_u32_e32 0x7f, v2
	s_cbranch_execz .LBB224_168
; %bb.165:                              ;   in Loop: Header=BB224_10 Depth=1
	scratch_load_b64 v[4:5], off, s32 offset:192 th:TH_LOAD_LU ; 8-byte Folded Reload
	s_wait_loadcnt 0x0
	v_dual_lshrrev_b32 v0, 3, v2 :: v_dual_bitop2_b32 v4, 7, v1 bitop3:0x40
	v_cmp_gt_u32_e64 s1, 8, v2
	s_delay_alu instid0(VALU_DEP_2)
	v_mov_b64_e32 v[2:3], v[4:5]
	s_wait_xcnt 0x0
	s_and_saveexec_b32 s16, s1
	s_cbranch_execz .LBB224_167
; %bb.166:                              ;   in Loop: Header=BB224_10 Depth=1
	s_delay_alu instid0(VALU_DEP_1) | instskip(NEXT) | instid1(VALU_DEP_2)
	v_clz_i32_u32_e32 v0, v2
	v_mov_b64_e32 v[4:5], v[2:3]
	s_delay_alu instid0(VALU_DEP_2) | instskip(NEXT) | instid1(VALU_DEP_1)
	v_min_u32_e32 v0, 32, v0
	v_subrev_nc_u32_e32 v2, 28, v0
	s_delay_alu instid0(VALU_DEP_1) | instskip(NEXT) | instid1(VALU_DEP_1)
	v_lshlrev_b64_e32 v[2:3], v2, v[4:5]
	v_dual_sub_nc_u32 v0, 29, v0 :: v_dual_bitop2_b32 v4, 7, v2 bitop3:0x40
	s_delay_alu instid0(VALU_DEP_1)
	v_mov_b64_e32 v[2:3], v[4:5]
.LBB224_167:                            ;   in Loop: Header=BB224_10 Depth=1
	s_or_b32 exec_lo, exec_lo, s16
	s_delay_alu instid0(VALU_DEP_1) | instskip(NEXT) | instid1(VALU_DEP_3)
	v_dual_lshlrev_b32 v1, 24, v1 :: v_dual_lshlrev_b32 v2, 20, v2
	v_lshl_add_u32 v0, v0, 23, 0x3c000000
	s_delay_alu instid0(VALU_DEP_3) | instskip(NEXT) | instid1(VALU_DEP_3)
	v_mov_b32_e32 v4, v3
	v_and_b32_e32 v1, 0x80000000, v1
	s_delay_alu instid0(VALU_DEP_1)
	v_or3_b32 v5, v2, v1, v0
	v_mov_b32_e32 v1, v3
	s_clause 0x1
	scratch_store_b64 off, v[4:5], s32 offset:348
	scratch_store_b64 off, v[0:1], s32 offset:192
.LBB224_168:                            ;   in Loop: Header=BB224_10 Depth=1
	s_wait_xcnt 0x0
	s_or_b32 exec_lo, exec_lo, s11
.LBB224_169:                            ;   in Loop: Header=BB224_10 Depth=1
	s_delay_alu instid0(SALU_CYCLE_1)
	s_or_b32 exec_lo, exec_lo, s9
.LBB224_170:                            ;   in Loop: Header=BB224_10 Depth=1
	s_delay_alu instid0(SALU_CYCLE_1)
	s_or_b32 exec_lo, exec_lo, s8
	flat_load_b32 v0, v[26:27] offset:516
	v_mov_b64_e32 v[2:3], 0
	s_mov_b32 s8, exec_lo
	scratch_store_b64 off, v[2:3], s32 offset:364 ; 8-byte Folded Spill
	s_wait_xcnt 0x0
	v_mov_b64_e32 v[2:3], 0
	scratch_store_b64 off, v[2:3], s32 offset:372 ; 8-byte Folded Spill
	s_wait_loadcnt_dscnt 0x0
	v_and_b32_e32 v1, 0xff, v0
	s_wait_xcnt 0x0
	s_delay_alu instid0(VALU_DEP_1)
	v_cmpx_ne_u16_e32 0, v1
	s_cbranch_execz .LBB224_178
; %bb.171:                              ;   in Loop: Header=BB224_10 Depth=1
	v_mov_b64_e32 v[2:3], 0x80000000
	s_mov_b32 s9, exec_lo
	scratch_store_b64 off, v[2:3], s32 offset:372 ; 8-byte Folded Spill
	s_wait_xcnt 0x0
	v_cmpx_ne_u16_e32 0x80, v1
	s_cbranch_execz .LBB224_177
; %bb.172:                              ;   in Loop: Header=BB224_10 Depth=1
	v_mov_b64_e32 v[4:5], 0x7f800001
	v_and_b32_e32 v2, 0x7f, v0
	s_mov_b32 s11, exec_lo
	scratch_store_b64 off, v[4:5], s32 offset:372 ; 8-byte Folded Spill
	s_wait_xcnt 0x0
	v_cmpx_ne_u32_e32 0x7f, v2
	s_cbranch_execz .LBB224_176
; %bb.173:                              ;   in Loop: Header=BB224_10 Depth=1
	scratch_load_b64 v[4:5], off, s32 offset:192 th:TH_LOAD_LU ; 8-byte Folded Reload
	s_wait_loadcnt 0x0
	v_dual_lshrrev_b32 v1, 3, v2 :: v_dual_bitop2_b32 v4, 7, v0 bitop3:0x40
	s_mov_b32 s16, exec_lo
	s_wait_xcnt 0x0
	v_cmpx_gt_u32_e32 8, v2
; %bb.174:                              ;   in Loop: Header=BB224_10 Depth=1
	s_delay_alu instid0(VALU_DEP_2) | instskip(NEXT) | instid1(VALU_DEP_1)
	v_clz_i32_u32_e32 v1, v4
	v_min_u32_e32 v1, 32, v1
	s_delay_alu instid0(VALU_DEP_1) | instskip(NEXT) | instid1(VALU_DEP_1)
	v_subrev_nc_u32_e32 v2, 28, v1
	v_lshlrev_b64_e32 v[2:3], v2, v[4:5]
	s_delay_alu instid0(VALU_DEP_1)
	v_dual_sub_nc_u32 v1, 29, v1 :: v_dual_bitop2_b32 v4, 7, v2 bitop3:0x40
; %bb.175:                              ;   in Loop: Header=BB224_10 Depth=1
	s_or_b32 exec_lo, exec_lo, s16
	v_lshlrev_b32_e32 v2, 24, v0
	s_delay_alu instid0(VALU_DEP_2) | instskip(NEXT) | instid1(VALU_DEP_3)
	v_lshlrev_b32_e32 v3, 20, v4
	v_lshl_add_u32 v1, v1, 23, 0x3c000000
	s_delay_alu instid0(VALU_DEP_3) | instskip(NEXT) | instid1(VALU_DEP_1)
	v_and_b32_e32 v2, 0x80000000, v2
	v_or3_b32 v4, v3, v2, v1
	v_mov_b32_e32 v1, v5
	s_clause 0x1
	scratch_store_b64 off, v[0:1], s32 offset:192
	scratch_store_b64 off, v[4:5], s32 offset:372
.LBB224_176:                            ;   in Loop: Header=BB224_10 Depth=1
	s_wait_xcnt 0x0
	s_or_b32 exec_lo, exec_lo, s11
.LBB224_177:                            ;   in Loop: Header=BB224_10 Depth=1
	s_delay_alu instid0(SALU_CYCLE_1)
	s_or_b32 exec_lo, exec_lo, s9
.LBB224_178:                            ;   in Loop: Header=BB224_10 Depth=1
	s_delay_alu instid0(SALU_CYCLE_1) | instskip(SKIP_2) | instid1(VALU_DEP_1)
	s_or_b32 exec_lo, exec_lo, s8
	v_lshrrev_b16 v1, 8, v0
	s_mov_b32 s8, exec_lo
	v_cmpx_ne_u16_e32 0, v1
	s_cbranch_execz .LBB224_186
; %bb.179:                              ;   in Loop: Header=BB224_10 Depth=1
	v_mov_b64_e32 v[2:3], 0x8000000000000000
	s_mov_b32 s9, exec_lo
	scratch_store_b64 off, v[2:3], s32 offset:364 ; 8-byte Folded Spill
	s_wait_xcnt 0x0
	v_cmpx_ne_u16_e32 0x80, v1
	s_cbranch_execz .LBB224_185
; %bb.180:                              ;   in Loop: Header=BB224_10 Depth=1
	v_and_b32_e32 v1, 0xffff, v1
	v_mov_b64_e32 v[4:5], 0x7f80000100000000
	s_mov_b32 s11, exec_lo
	s_delay_alu instid0(VALU_DEP_2)
	v_and_b32_e32 v2, 0x7f, v1
	scratch_store_b64 off, v[4:5], s32 offset:364 ; 8-byte Folded Spill
	s_wait_xcnt 0x0
	v_cmpx_ne_u32_e32 0x7f, v2
	s_cbranch_execz .LBB224_184
; %bb.181:                              ;   in Loop: Header=BB224_10 Depth=1
	scratch_load_b64 v[4:5], off, s32 offset:192 th:TH_LOAD_LU ; 8-byte Folded Reload
	s_wait_loadcnt 0x0
	v_dual_lshrrev_b32 v1, 3, v2 :: v_dual_bitop2_b32 v4, 7, v1 bitop3:0x40
	s_mov_b32 s16, exec_lo
	s_wait_xcnt 0x0
	v_cmpx_gt_u32_e32 8, v2
; %bb.182:                              ;   in Loop: Header=BB224_10 Depth=1
	s_delay_alu instid0(VALU_DEP_2) | instskip(NEXT) | instid1(VALU_DEP_1)
	v_clz_i32_u32_e32 v1, v4
	v_min_u32_e32 v1, 32, v1
	s_delay_alu instid0(VALU_DEP_1) | instskip(NEXT) | instid1(VALU_DEP_1)
	v_subrev_nc_u32_e32 v2, 28, v1
	v_lshlrev_b64_e32 v[2:3], v2, v[4:5]
	s_delay_alu instid0(VALU_DEP_1)
	v_dual_sub_nc_u32 v1, 29, v1 :: v_dual_bitop2_b32 v4, 7, v2 bitop3:0x40
; %bb.183:                              ;   in Loop: Header=BB224_10 Depth=1
	s_or_b32 exec_lo, exec_lo, s16
	v_lshlrev_b32_e32 v2, 16, v0
	s_delay_alu instid0(VALU_DEP_2) | instskip(NEXT) | instid1(VALU_DEP_3)
	v_lshlrev_b32_e32 v3, 20, v4
	v_lshl_add_u32 v1, v1, 23, 0x3c000000
	s_delay_alu instid0(VALU_DEP_3) | instskip(NEXT) | instid1(VALU_DEP_1)
	v_and_b32_e32 v2, 0x80000000, v2
	v_or3_b32 v3, v3, v2, v1
	v_dual_mov_b32 v1, v5 :: v_dual_mov_b32 v2, v5
	s_clause 0x1
	scratch_store_b64 off, v[0:1], s32 offset:192
	scratch_store_b64 off, v[2:3], s32 offset:364
.LBB224_184:                            ;   in Loop: Header=BB224_10 Depth=1
	s_wait_xcnt 0x0
	s_or_b32 exec_lo, exec_lo, s11
.LBB224_185:                            ;   in Loop: Header=BB224_10 Depth=1
	s_delay_alu instid0(SALU_CYCLE_1)
	s_or_b32 exec_lo, exec_lo, s9
.LBB224_186:                            ;   in Loop: Header=BB224_10 Depth=1
	s_delay_alu instid0(SALU_CYCLE_1) | instskip(SKIP_3) | instid1(VALU_DEP_1)
	s_or_b32 exec_lo, exec_lo, s8
	v_mov_b64_e32 v[4:5], 0
	v_lshrrev_b32_e32 v1, 16, v0
	s_mov_b32 s8, exec_lo
	v_and_b32_e32 v2, 0xff, v1
	scratch_store_b64 off, v[4:5], s32 offset:380 ; 8-byte Folded Spill
	s_wait_xcnt 0x0
	v_mov_b64_e32 v[4:5], 0
	scratch_store_b64 off, v[4:5], s32 offset:388 ; 8-byte Folded Spill
	s_wait_xcnt 0x0
	v_cmpx_ne_u16_e32 0, v2
	s_cbranch_execz .LBB224_194
; %bb.187:                              ;   in Loop: Header=BB224_10 Depth=1
	v_cmp_ne_u16_e64 s1, 0x80, v2
	v_mov_b64_e32 v[2:3], 0x80000000
	scratch_store_b64 off, v[2:3], s32 offset:388 ; 8-byte Folded Spill
	s_wait_xcnt 0x0
	s_and_saveexec_b32 s9, s1
	s_cbranch_execz .LBB224_193
; %bb.188:                              ;   in Loop: Header=BB224_10 Depth=1
	v_mov_b64_e32 v[4:5], 0x7f800001
	v_bfe_u32 v3, v0, 16, 7
	s_mov_b32 s11, exec_lo
	scratch_store_b64 off, v[4:5], s32 offset:388 ; 8-byte Folded Spill
	s_wait_xcnt 0x0
	v_cmpx_ne_u32_e32 0x7f, v3
	s_cbranch_execz .LBB224_192
; %bb.189:                              ;   in Loop: Header=BB224_10 Depth=1
	scratch_load_b64 v[6:7], off, s32 offset:192 th:TH_LOAD_LU ; 8-byte Folded Reload
	s_wait_loadcnt 0x0
	v_dual_lshrrev_b32 v2, 3, v3 :: v_dual_bitop2_b32 v6, 7, v1 bitop3:0x40
	s_mov_b32 s16, exec_lo
	s_wait_xcnt 0x0
	v_cmpx_gt_u32_e32 8, v3
; %bb.190:                              ;   in Loop: Header=BB224_10 Depth=1
	s_delay_alu instid0(VALU_DEP_2) | instskip(NEXT) | instid1(VALU_DEP_1)
	v_clz_i32_u32_e32 v2, v6
	v_min_u32_e32 v2, 32, v2
	s_delay_alu instid0(VALU_DEP_1) | instskip(NEXT) | instid1(VALU_DEP_1)
	v_subrev_nc_u32_e32 v3, 28, v2
	v_lshlrev_b64_e32 v[4:5], v3, v[6:7]
	s_delay_alu instid0(VALU_DEP_1)
	v_dual_sub_nc_u32 v2, 29, v2 :: v_dual_bitop2_b32 v6, 7, v4 bitop3:0x40
; %bb.191:                              ;   in Loop: Header=BB224_10 Depth=1
	s_or_b32 exec_lo, exec_lo, s16
	s_delay_alu instid0(VALU_DEP_1) | instskip(NEXT) | instid1(VALU_DEP_2)
	v_dual_lshlrev_b32 v1, 24, v1 :: v_dual_lshlrev_b32 v3, 20, v6
	v_lshl_add_u32 v2, v2, 23, 0x3c000000
	s_delay_alu instid0(VALU_DEP_2) | instskip(NEXT) | instid1(VALU_DEP_1)
	v_and_b32_e32 v1, 0x80000000, v1
	v_or3_b32 v6, v3, v1, v2
	v_mov_b32_e32 v1, v7
	s_clause 0x1
	scratch_store_b64 off, v[0:1], s32 offset:192
	scratch_store_b64 off, v[6:7], s32 offset:388
.LBB224_192:                            ;   in Loop: Header=BB224_10 Depth=1
	s_wait_xcnt 0x0
	s_or_b32 exec_lo, exec_lo, s11
.LBB224_193:                            ;   in Loop: Header=BB224_10 Depth=1
	s_delay_alu instid0(SALU_CYCLE_1)
	s_or_b32 exec_lo, exec_lo, s9
.LBB224_194:                            ;   in Loop: Header=BB224_10 Depth=1
	s_delay_alu instid0(SALU_CYCLE_1) | instskip(NEXT) | instid1(SALU_CYCLE_1)
	s_or_b32 exec_lo, exec_lo, s8
	s_mov_b32 s8, exec_lo
	v_cmpx_lt_u32_e32 0xffffff, v0
	s_cbranch_execz .LBB224_202
; %bb.195:                              ;   in Loop: Header=BB224_10 Depth=1
	v_mov_b64_e32 v[2:3], 0x8000000000000000
	v_lshrrev_b32_e32 v1, 24, v0
	s_mov_b32 s9, exec_lo
	scratch_store_b64 off, v[2:3], s32 offset:380 ; 8-byte Folded Spill
	s_wait_xcnt 0x0
	v_cmpx_ne_u32_e32 0x80, v1
	s_cbranch_execz .LBB224_201
; %bb.196:                              ;   in Loop: Header=BB224_10 Depth=1
	v_mov_b64_e32 v[4:5], 0x7f80000100000000
	v_bfe_u32 v2, v0, 24, 7
	s_mov_b32 s11, exec_lo
	scratch_store_b64 off, v[4:5], s32 offset:380 ; 8-byte Folded Spill
	s_wait_xcnt 0x0
	v_cmpx_ne_u32_e32 0x7f, v2
	s_cbranch_execz .LBB224_200
; %bb.197:                              ;   in Loop: Header=BB224_10 Depth=1
	scratch_load_b64 v[4:5], off, s32 offset:192 th:TH_LOAD_LU ; 8-byte Folded Reload
	s_wait_loadcnt 0x0
	v_dual_lshrrev_b32 v0, 3, v2 :: v_dual_bitop2_b32 v4, 7, v1 bitop3:0x40
	v_cmp_gt_u32_e64 s1, 8, v2
	s_delay_alu instid0(VALU_DEP_2)
	v_mov_b64_e32 v[2:3], v[4:5]
	s_wait_xcnt 0x0
	s_and_saveexec_b32 s16, s1
	s_cbranch_execz .LBB224_199
; %bb.198:                              ;   in Loop: Header=BB224_10 Depth=1
	s_delay_alu instid0(VALU_DEP_1) | instskip(NEXT) | instid1(VALU_DEP_2)
	v_clz_i32_u32_e32 v0, v2
	v_mov_b64_e32 v[4:5], v[2:3]
	s_delay_alu instid0(VALU_DEP_2) | instskip(NEXT) | instid1(VALU_DEP_1)
	v_min_u32_e32 v0, 32, v0
	v_subrev_nc_u32_e32 v2, 28, v0
	s_delay_alu instid0(VALU_DEP_1) | instskip(NEXT) | instid1(VALU_DEP_1)
	v_lshlrev_b64_e32 v[2:3], v2, v[4:5]
	v_dual_sub_nc_u32 v0, 29, v0 :: v_dual_bitop2_b32 v4, 7, v2 bitop3:0x40
	s_delay_alu instid0(VALU_DEP_1)
	v_mov_b64_e32 v[2:3], v[4:5]
.LBB224_199:                            ;   in Loop: Header=BB224_10 Depth=1
	s_or_b32 exec_lo, exec_lo, s16
	s_delay_alu instid0(VALU_DEP_1) | instskip(NEXT) | instid1(VALU_DEP_3)
	v_dual_lshlrev_b32 v1, 24, v1 :: v_dual_lshlrev_b32 v2, 20, v2
	v_lshl_add_u32 v0, v0, 23, 0x3c000000
	s_delay_alu instid0(VALU_DEP_3) | instskip(NEXT) | instid1(VALU_DEP_3)
	v_mov_b32_e32 v4, v3
	v_and_b32_e32 v1, 0x80000000, v1
	s_delay_alu instid0(VALU_DEP_1)
	v_or3_b32 v5, v2, v1, v0
	v_mov_b32_e32 v1, v3
	s_clause 0x1
	scratch_store_b64 off, v[4:5], s32 offset:380
	scratch_store_b64 off, v[0:1], s32 offset:192
.LBB224_200:                            ;   in Loop: Header=BB224_10 Depth=1
	s_wait_xcnt 0x0
	s_or_b32 exec_lo, exec_lo, s11
.LBB224_201:                            ;   in Loop: Header=BB224_10 Depth=1
	s_delay_alu instid0(SALU_CYCLE_1)
	s_or_b32 exec_lo, exec_lo, s9
.LBB224_202:                            ;   in Loop: Header=BB224_10 Depth=1
	s_delay_alu instid0(SALU_CYCLE_1)
	s_or_b32 exec_lo, exec_lo, s8
	flat_load_b32 v0, v[26:27] offset:520
	v_mov_b64_e32 v[2:3], 0
	s_mov_b32 s8, exec_lo
	scratch_store_b64 off, v[2:3], s32 offset:396 ; 8-byte Folded Spill
	s_wait_xcnt 0x0
	v_mov_b64_e32 v[2:3], 0
	scratch_store_b64 off, v[2:3], s32 offset:404 ; 8-byte Folded Spill
	s_wait_loadcnt_dscnt 0x0
	v_and_b32_e32 v1, 0xff, v0
	s_wait_xcnt 0x0
	s_delay_alu instid0(VALU_DEP_1)
	v_cmpx_ne_u16_e32 0, v1
	s_cbranch_execz .LBB224_210
; %bb.203:                              ;   in Loop: Header=BB224_10 Depth=1
	v_mov_b64_e32 v[2:3], 0x80000000
	s_mov_b32 s9, exec_lo
	scratch_store_b64 off, v[2:3], s32 offset:404 ; 8-byte Folded Spill
	s_wait_xcnt 0x0
	v_cmpx_ne_u16_e32 0x80, v1
	s_cbranch_execz .LBB224_209
; %bb.204:                              ;   in Loop: Header=BB224_10 Depth=1
	v_mov_b64_e32 v[4:5], 0x7f800001
	v_and_b32_e32 v2, 0x7f, v0
	s_mov_b32 s11, exec_lo
	scratch_store_b64 off, v[4:5], s32 offset:404 ; 8-byte Folded Spill
	s_wait_xcnt 0x0
	v_cmpx_ne_u32_e32 0x7f, v2
	s_cbranch_execz .LBB224_208
; %bb.205:                              ;   in Loop: Header=BB224_10 Depth=1
	scratch_load_b64 v[4:5], off, s32 offset:192 th:TH_LOAD_LU ; 8-byte Folded Reload
	s_wait_loadcnt 0x0
	v_dual_lshrrev_b32 v1, 3, v2 :: v_dual_bitop2_b32 v4, 7, v0 bitop3:0x40
	s_mov_b32 s16, exec_lo
	s_wait_xcnt 0x0
	v_cmpx_gt_u32_e32 8, v2
; %bb.206:                              ;   in Loop: Header=BB224_10 Depth=1
	s_delay_alu instid0(VALU_DEP_2) | instskip(NEXT) | instid1(VALU_DEP_1)
	v_clz_i32_u32_e32 v1, v4
	v_min_u32_e32 v1, 32, v1
	s_delay_alu instid0(VALU_DEP_1) | instskip(NEXT) | instid1(VALU_DEP_1)
	v_subrev_nc_u32_e32 v2, 28, v1
	v_lshlrev_b64_e32 v[2:3], v2, v[4:5]
	s_delay_alu instid0(VALU_DEP_1)
	v_dual_sub_nc_u32 v1, 29, v1 :: v_dual_bitop2_b32 v4, 7, v2 bitop3:0x40
; %bb.207:                              ;   in Loop: Header=BB224_10 Depth=1
	s_or_b32 exec_lo, exec_lo, s16
	v_lshlrev_b32_e32 v2, 24, v0
	s_delay_alu instid0(VALU_DEP_2) | instskip(NEXT) | instid1(VALU_DEP_3)
	v_lshlrev_b32_e32 v3, 20, v4
	v_lshl_add_u32 v1, v1, 23, 0x3c000000
	s_delay_alu instid0(VALU_DEP_3) | instskip(NEXT) | instid1(VALU_DEP_1)
	v_and_b32_e32 v2, 0x80000000, v2
	v_or3_b32 v4, v3, v2, v1
	v_mov_b32_e32 v1, v5
	s_clause 0x1
	scratch_store_b64 off, v[0:1], s32 offset:192
	scratch_store_b64 off, v[4:5], s32 offset:404
.LBB224_208:                            ;   in Loop: Header=BB224_10 Depth=1
	s_wait_xcnt 0x0
	s_or_b32 exec_lo, exec_lo, s11
.LBB224_209:                            ;   in Loop: Header=BB224_10 Depth=1
	s_delay_alu instid0(SALU_CYCLE_1)
	s_or_b32 exec_lo, exec_lo, s9
.LBB224_210:                            ;   in Loop: Header=BB224_10 Depth=1
	s_delay_alu instid0(SALU_CYCLE_1) | instskip(SKIP_2) | instid1(VALU_DEP_1)
	s_or_b32 exec_lo, exec_lo, s8
	v_lshrrev_b16 v1, 8, v0
	s_mov_b32 s8, exec_lo
	v_cmpx_ne_u16_e32 0, v1
	s_cbranch_execz .LBB224_218
; %bb.211:                              ;   in Loop: Header=BB224_10 Depth=1
	v_mov_b64_e32 v[2:3], 0x8000000000000000
	s_mov_b32 s9, exec_lo
	scratch_store_b64 off, v[2:3], s32 offset:396 ; 8-byte Folded Spill
	s_wait_xcnt 0x0
	v_cmpx_ne_u16_e32 0x80, v1
	s_cbranch_execz .LBB224_217
; %bb.212:                              ;   in Loop: Header=BB224_10 Depth=1
	v_and_b32_e32 v1, 0xffff, v1
	v_mov_b64_e32 v[4:5], 0x7f80000100000000
	s_mov_b32 s11, exec_lo
	s_delay_alu instid0(VALU_DEP_2)
	v_and_b32_e32 v2, 0x7f, v1
	scratch_store_b64 off, v[4:5], s32 offset:396 ; 8-byte Folded Spill
	s_wait_xcnt 0x0
	v_cmpx_ne_u32_e32 0x7f, v2
	s_cbranch_execz .LBB224_216
; %bb.213:                              ;   in Loop: Header=BB224_10 Depth=1
	scratch_load_b64 v[4:5], off, s32 offset:192 th:TH_LOAD_LU ; 8-byte Folded Reload
	s_wait_loadcnt 0x0
	v_dual_lshrrev_b32 v1, 3, v2 :: v_dual_bitop2_b32 v4, 7, v1 bitop3:0x40
	s_mov_b32 s16, exec_lo
	s_wait_xcnt 0x0
	v_cmpx_gt_u32_e32 8, v2
; %bb.214:                              ;   in Loop: Header=BB224_10 Depth=1
	s_delay_alu instid0(VALU_DEP_2) | instskip(NEXT) | instid1(VALU_DEP_1)
	v_clz_i32_u32_e32 v1, v4
	v_min_u32_e32 v1, 32, v1
	s_delay_alu instid0(VALU_DEP_1) | instskip(NEXT) | instid1(VALU_DEP_1)
	v_subrev_nc_u32_e32 v2, 28, v1
	v_lshlrev_b64_e32 v[2:3], v2, v[4:5]
	s_delay_alu instid0(VALU_DEP_1)
	v_dual_sub_nc_u32 v1, 29, v1 :: v_dual_bitop2_b32 v4, 7, v2 bitop3:0x40
; %bb.215:                              ;   in Loop: Header=BB224_10 Depth=1
	s_or_b32 exec_lo, exec_lo, s16
	v_lshlrev_b32_e32 v2, 16, v0
	s_delay_alu instid0(VALU_DEP_2) | instskip(NEXT) | instid1(VALU_DEP_3)
	v_lshlrev_b32_e32 v3, 20, v4
	v_lshl_add_u32 v1, v1, 23, 0x3c000000
	s_delay_alu instid0(VALU_DEP_3) | instskip(NEXT) | instid1(VALU_DEP_1)
	v_and_b32_e32 v2, 0x80000000, v2
	v_or3_b32 v3, v3, v2, v1
	v_dual_mov_b32 v1, v5 :: v_dual_mov_b32 v2, v5
	s_clause 0x1
	scratch_store_b64 off, v[0:1], s32 offset:192
	scratch_store_b64 off, v[2:3], s32 offset:396
.LBB224_216:                            ;   in Loop: Header=BB224_10 Depth=1
	s_wait_xcnt 0x0
	s_or_b32 exec_lo, exec_lo, s11
.LBB224_217:                            ;   in Loop: Header=BB224_10 Depth=1
	s_delay_alu instid0(SALU_CYCLE_1)
	s_or_b32 exec_lo, exec_lo, s9
.LBB224_218:                            ;   in Loop: Header=BB224_10 Depth=1
	s_delay_alu instid0(SALU_CYCLE_1) | instskip(SKIP_3) | instid1(VALU_DEP_1)
	s_or_b32 exec_lo, exec_lo, s8
	v_mov_b64_e32 v[4:5], 0
	v_lshrrev_b32_e32 v1, 16, v0
	s_mov_b32 s8, exec_lo
	v_and_b32_e32 v2, 0xff, v1
	scratch_store_b64 off, v[4:5], s32 offset:412 ; 8-byte Folded Spill
	s_wait_xcnt 0x0
	v_mov_b64_e32 v[4:5], 0
	scratch_store_b64 off, v[4:5], s32 offset:420 ; 8-byte Folded Spill
	s_wait_xcnt 0x0
	v_cmpx_ne_u16_e32 0, v2
	s_cbranch_execz .LBB224_226
; %bb.219:                              ;   in Loop: Header=BB224_10 Depth=1
	v_cmp_ne_u16_e64 s1, 0x80, v2
	v_mov_b64_e32 v[2:3], 0x80000000
	scratch_store_b64 off, v[2:3], s32 offset:420 ; 8-byte Folded Spill
	s_wait_xcnt 0x0
	s_and_saveexec_b32 s9, s1
	s_cbranch_execz .LBB224_225
; %bb.220:                              ;   in Loop: Header=BB224_10 Depth=1
	v_mov_b64_e32 v[4:5], 0x7f800001
	v_bfe_u32 v3, v0, 16, 7
	s_mov_b32 s11, exec_lo
	scratch_store_b64 off, v[4:5], s32 offset:420 ; 8-byte Folded Spill
	s_wait_xcnt 0x0
	v_cmpx_ne_u32_e32 0x7f, v3
	s_cbranch_execz .LBB224_224
; %bb.221:                              ;   in Loop: Header=BB224_10 Depth=1
	scratch_load_b64 v[6:7], off, s32 offset:192 th:TH_LOAD_LU ; 8-byte Folded Reload
	s_wait_loadcnt 0x0
	v_dual_lshrrev_b32 v2, 3, v3 :: v_dual_bitop2_b32 v6, 7, v1 bitop3:0x40
	s_mov_b32 s16, exec_lo
	s_wait_xcnt 0x0
	v_cmpx_gt_u32_e32 8, v3
; %bb.222:                              ;   in Loop: Header=BB224_10 Depth=1
	s_delay_alu instid0(VALU_DEP_2) | instskip(NEXT) | instid1(VALU_DEP_1)
	v_clz_i32_u32_e32 v2, v6
	v_min_u32_e32 v2, 32, v2
	s_delay_alu instid0(VALU_DEP_1) | instskip(NEXT) | instid1(VALU_DEP_1)
	v_subrev_nc_u32_e32 v3, 28, v2
	v_lshlrev_b64_e32 v[4:5], v3, v[6:7]
	s_delay_alu instid0(VALU_DEP_1)
	v_dual_sub_nc_u32 v2, 29, v2 :: v_dual_bitop2_b32 v6, 7, v4 bitop3:0x40
; %bb.223:                              ;   in Loop: Header=BB224_10 Depth=1
	s_or_b32 exec_lo, exec_lo, s16
	s_delay_alu instid0(VALU_DEP_1) | instskip(NEXT) | instid1(VALU_DEP_2)
	v_dual_lshlrev_b32 v1, 24, v1 :: v_dual_lshlrev_b32 v3, 20, v6
	v_lshl_add_u32 v2, v2, 23, 0x3c000000
	s_delay_alu instid0(VALU_DEP_2) | instskip(NEXT) | instid1(VALU_DEP_1)
	v_and_b32_e32 v1, 0x80000000, v1
	v_or3_b32 v6, v3, v1, v2
	v_mov_b32_e32 v1, v7
	s_clause 0x1
	scratch_store_b64 off, v[0:1], s32 offset:192
	scratch_store_b64 off, v[6:7], s32 offset:420
.LBB224_224:                            ;   in Loop: Header=BB224_10 Depth=1
	s_wait_xcnt 0x0
	s_or_b32 exec_lo, exec_lo, s11
.LBB224_225:                            ;   in Loop: Header=BB224_10 Depth=1
	s_delay_alu instid0(SALU_CYCLE_1)
	s_or_b32 exec_lo, exec_lo, s9
.LBB224_226:                            ;   in Loop: Header=BB224_10 Depth=1
	s_delay_alu instid0(SALU_CYCLE_1) | instskip(NEXT) | instid1(SALU_CYCLE_1)
	s_or_b32 exec_lo, exec_lo, s8
	s_mov_b32 s8, exec_lo
	v_cmpx_lt_u32_e32 0xffffff, v0
	s_cbranch_execz .LBB224_234
; %bb.227:                              ;   in Loop: Header=BB224_10 Depth=1
	v_mov_b64_e32 v[2:3], 0x8000000000000000
	v_lshrrev_b32_e32 v1, 24, v0
	s_mov_b32 s9, exec_lo
	scratch_store_b64 off, v[2:3], s32 offset:412 ; 8-byte Folded Spill
	s_wait_xcnt 0x0
	v_cmpx_ne_u32_e32 0x80, v1
	s_cbranch_execz .LBB224_233
; %bb.228:                              ;   in Loop: Header=BB224_10 Depth=1
	v_mov_b64_e32 v[4:5], 0x7f80000100000000
	v_bfe_u32 v2, v0, 24, 7
	s_mov_b32 s11, exec_lo
	scratch_store_b64 off, v[4:5], s32 offset:412 ; 8-byte Folded Spill
	s_wait_xcnt 0x0
	v_cmpx_ne_u32_e32 0x7f, v2
	s_cbranch_execz .LBB224_232
; %bb.229:                              ;   in Loop: Header=BB224_10 Depth=1
	scratch_load_b64 v[4:5], off, s32 offset:192 th:TH_LOAD_LU ; 8-byte Folded Reload
	s_wait_loadcnt 0x0
	v_dual_lshrrev_b32 v0, 3, v2 :: v_dual_bitop2_b32 v4, 7, v1 bitop3:0x40
	v_cmp_gt_u32_e64 s1, 8, v2
	s_delay_alu instid0(VALU_DEP_2)
	v_mov_b64_e32 v[2:3], v[4:5]
	s_wait_xcnt 0x0
	s_and_saveexec_b32 s16, s1
	s_cbranch_execz .LBB224_231
; %bb.230:                              ;   in Loop: Header=BB224_10 Depth=1
	s_delay_alu instid0(VALU_DEP_1) | instskip(NEXT) | instid1(VALU_DEP_2)
	v_clz_i32_u32_e32 v0, v2
	v_mov_b64_e32 v[4:5], v[2:3]
	s_delay_alu instid0(VALU_DEP_2) | instskip(NEXT) | instid1(VALU_DEP_1)
	v_min_u32_e32 v0, 32, v0
	v_subrev_nc_u32_e32 v2, 28, v0
	s_delay_alu instid0(VALU_DEP_1) | instskip(NEXT) | instid1(VALU_DEP_1)
	v_lshlrev_b64_e32 v[2:3], v2, v[4:5]
	v_dual_sub_nc_u32 v0, 29, v0 :: v_dual_bitop2_b32 v4, 7, v2 bitop3:0x40
	s_delay_alu instid0(VALU_DEP_1)
	v_mov_b64_e32 v[2:3], v[4:5]
.LBB224_231:                            ;   in Loop: Header=BB224_10 Depth=1
	s_or_b32 exec_lo, exec_lo, s16
	s_delay_alu instid0(VALU_DEP_1) | instskip(NEXT) | instid1(VALU_DEP_3)
	v_dual_lshlrev_b32 v1, 24, v1 :: v_dual_lshlrev_b32 v2, 20, v2
	v_lshl_add_u32 v0, v0, 23, 0x3c000000
	s_delay_alu instid0(VALU_DEP_3) | instskip(NEXT) | instid1(VALU_DEP_3)
	v_mov_b32_e32 v4, v3
	v_and_b32_e32 v1, 0x80000000, v1
	s_delay_alu instid0(VALU_DEP_1)
	v_or3_b32 v5, v2, v1, v0
	v_mov_b32_e32 v1, v3
	s_clause 0x1
	scratch_store_b64 off, v[4:5], s32 offset:412
	scratch_store_b64 off, v[0:1], s32 offset:192
.LBB224_232:                            ;   in Loop: Header=BB224_10 Depth=1
	s_wait_xcnt 0x0
	s_or_b32 exec_lo, exec_lo, s11
.LBB224_233:                            ;   in Loop: Header=BB224_10 Depth=1
	s_delay_alu instid0(SALU_CYCLE_1)
	s_or_b32 exec_lo, exec_lo, s9
.LBB224_234:                            ;   in Loop: Header=BB224_10 Depth=1
	s_delay_alu instid0(SALU_CYCLE_1)
	s_or_b32 exec_lo, exec_lo, s8
	flat_load_b32 v0, v[26:27] offset:524
	v_mov_b64_e32 v[2:3], 0
	s_mov_b32 s8, exec_lo
	scratch_store_b64 off, v[2:3], s32 offset:428 ; 8-byte Folded Spill
	s_wait_xcnt 0x0
	v_mov_b64_e32 v[2:3], 0
	scratch_store_b64 off, v[2:3], s32 offset:436 ; 8-byte Folded Spill
	s_wait_loadcnt_dscnt 0x0
	v_and_b32_e32 v1, 0xff, v0
	s_wait_xcnt 0x0
	s_delay_alu instid0(VALU_DEP_1)
	v_cmpx_ne_u16_e32 0, v1
	s_cbranch_execz .LBB224_242
; %bb.235:                              ;   in Loop: Header=BB224_10 Depth=1
	v_mov_b64_e32 v[2:3], 0x80000000
	s_mov_b32 s9, exec_lo
	scratch_store_b64 off, v[2:3], s32 offset:436 ; 8-byte Folded Spill
	s_wait_xcnt 0x0
	v_cmpx_ne_u16_e32 0x80, v1
	s_cbranch_execz .LBB224_241
; %bb.236:                              ;   in Loop: Header=BB224_10 Depth=1
	v_mov_b64_e32 v[4:5], 0x7f800001
	v_and_b32_e32 v2, 0x7f, v0
	s_mov_b32 s11, exec_lo
	scratch_store_b64 off, v[4:5], s32 offset:436 ; 8-byte Folded Spill
	s_wait_xcnt 0x0
	v_cmpx_ne_u32_e32 0x7f, v2
	s_cbranch_execz .LBB224_240
; %bb.237:                              ;   in Loop: Header=BB224_10 Depth=1
	scratch_load_b64 v[4:5], off, s32 offset:192 th:TH_LOAD_LU ; 8-byte Folded Reload
	s_wait_loadcnt 0x0
	v_dual_lshrrev_b32 v1, 3, v2 :: v_dual_bitop2_b32 v4, 7, v0 bitop3:0x40
	s_mov_b32 s16, exec_lo
	s_wait_xcnt 0x0
	v_cmpx_gt_u32_e32 8, v2
; %bb.238:                              ;   in Loop: Header=BB224_10 Depth=1
	s_delay_alu instid0(VALU_DEP_2) | instskip(NEXT) | instid1(VALU_DEP_1)
	v_clz_i32_u32_e32 v1, v4
	v_min_u32_e32 v1, 32, v1
	s_delay_alu instid0(VALU_DEP_1) | instskip(NEXT) | instid1(VALU_DEP_1)
	v_subrev_nc_u32_e32 v2, 28, v1
	v_lshlrev_b64_e32 v[2:3], v2, v[4:5]
	s_delay_alu instid0(VALU_DEP_1)
	v_dual_sub_nc_u32 v1, 29, v1 :: v_dual_bitop2_b32 v4, 7, v2 bitop3:0x40
; %bb.239:                              ;   in Loop: Header=BB224_10 Depth=1
	s_or_b32 exec_lo, exec_lo, s16
	v_lshlrev_b32_e32 v2, 24, v0
	s_delay_alu instid0(VALU_DEP_2) | instskip(NEXT) | instid1(VALU_DEP_3)
	v_lshlrev_b32_e32 v3, 20, v4
	v_lshl_add_u32 v1, v1, 23, 0x3c000000
	s_delay_alu instid0(VALU_DEP_3) | instskip(NEXT) | instid1(VALU_DEP_1)
	v_and_b32_e32 v2, 0x80000000, v2
	v_or3_b32 v4, v3, v2, v1
	v_mov_b32_e32 v1, v5
	s_clause 0x1
	scratch_store_b64 off, v[0:1], s32 offset:192
	scratch_store_b64 off, v[4:5], s32 offset:436
.LBB224_240:                            ;   in Loop: Header=BB224_10 Depth=1
	s_wait_xcnt 0x0
	s_or_b32 exec_lo, exec_lo, s11
.LBB224_241:                            ;   in Loop: Header=BB224_10 Depth=1
	s_delay_alu instid0(SALU_CYCLE_1)
	s_or_b32 exec_lo, exec_lo, s9
.LBB224_242:                            ;   in Loop: Header=BB224_10 Depth=1
	s_delay_alu instid0(SALU_CYCLE_1) | instskip(SKIP_2) | instid1(VALU_DEP_1)
	s_or_b32 exec_lo, exec_lo, s8
	v_lshrrev_b16 v1, 8, v0
	s_mov_b32 s8, exec_lo
	v_cmpx_ne_u16_e32 0, v1
	s_cbranch_execz .LBB224_250
; %bb.243:                              ;   in Loop: Header=BB224_10 Depth=1
	v_mov_b64_e32 v[2:3], 0x8000000000000000
	s_mov_b32 s9, exec_lo
	scratch_store_b64 off, v[2:3], s32 offset:428 ; 8-byte Folded Spill
	s_wait_xcnt 0x0
	v_cmpx_ne_u16_e32 0x80, v1
	s_cbranch_execz .LBB224_249
; %bb.244:                              ;   in Loop: Header=BB224_10 Depth=1
	v_and_b32_e32 v1, 0xffff, v1
	v_mov_b64_e32 v[4:5], 0x7f80000100000000
	s_mov_b32 s11, exec_lo
	s_delay_alu instid0(VALU_DEP_2)
	v_and_b32_e32 v2, 0x7f, v1
	scratch_store_b64 off, v[4:5], s32 offset:428 ; 8-byte Folded Spill
	s_wait_xcnt 0x0
	v_cmpx_ne_u32_e32 0x7f, v2
	s_cbranch_execz .LBB224_248
; %bb.245:                              ;   in Loop: Header=BB224_10 Depth=1
	scratch_load_b64 v[4:5], off, s32 offset:192 th:TH_LOAD_LU ; 8-byte Folded Reload
	s_wait_loadcnt 0x0
	v_dual_lshrrev_b32 v1, 3, v2 :: v_dual_bitop2_b32 v4, 7, v1 bitop3:0x40
	s_mov_b32 s16, exec_lo
	s_wait_xcnt 0x0
	v_cmpx_gt_u32_e32 8, v2
; %bb.246:                              ;   in Loop: Header=BB224_10 Depth=1
	s_delay_alu instid0(VALU_DEP_2) | instskip(NEXT) | instid1(VALU_DEP_1)
	v_clz_i32_u32_e32 v1, v4
	v_min_u32_e32 v1, 32, v1
	s_delay_alu instid0(VALU_DEP_1) | instskip(NEXT) | instid1(VALU_DEP_1)
	v_subrev_nc_u32_e32 v2, 28, v1
	v_lshlrev_b64_e32 v[2:3], v2, v[4:5]
	s_delay_alu instid0(VALU_DEP_1)
	v_dual_sub_nc_u32 v1, 29, v1 :: v_dual_bitop2_b32 v4, 7, v2 bitop3:0x40
; %bb.247:                              ;   in Loop: Header=BB224_10 Depth=1
	s_or_b32 exec_lo, exec_lo, s16
	v_lshlrev_b32_e32 v2, 16, v0
	s_delay_alu instid0(VALU_DEP_2) | instskip(NEXT) | instid1(VALU_DEP_3)
	v_lshlrev_b32_e32 v3, 20, v4
	v_lshl_add_u32 v1, v1, 23, 0x3c000000
	s_delay_alu instid0(VALU_DEP_3) | instskip(NEXT) | instid1(VALU_DEP_1)
	v_and_b32_e32 v2, 0x80000000, v2
	v_or3_b32 v3, v3, v2, v1
	v_dual_mov_b32 v1, v5 :: v_dual_mov_b32 v2, v5
	s_clause 0x1
	scratch_store_b64 off, v[0:1], s32 offset:192
	scratch_store_b64 off, v[2:3], s32 offset:428
.LBB224_248:                            ;   in Loop: Header=BB224_10 Depth=1
	s_wait_xcnt 0x0
	s_or_b32 exec_lo, exec_lo, s11
.LBB224_249:                            ;   in Loop: Header=BB224_10 Depth=1
	s_delay_alu instid0(SALU_CYCLE_1)
	s_or_b32 exec_lo, exec_lo, s9
.LBB224_250:                            ;   in Loop: Header=BB224_10 Depth=1
	s_delay_alu instid0(SALU_CYCLE_1) | instskip(SKIP_3) | instid1(VALU_DEP_1)
	s_or_b32 exec_lo, exec_lo, s8
	v_mov_b64_e32 v[4:5], 0
	v_lshrrev_b32_e32 v1, 16, v0
	s_mov_b32 s8, exec_lo
	v_and_b32_e32 v2, 0xff, v1
	scratch_store_b64 off, v[4:5], s32 offset:444 ; 8-byte Folded Spill
	s_wait_xcnt 0x0
	v_mov_b64_e32 v[4:5], 0
	scratch_store_b64 off, v[4:5], s32 offset:452 ; 8-byte Folded Spill
	s_wait_xcnt 0x0
	v_cmpx_ne_u16_e32 0, v2
	s_cbranch_execz .LBB224_258
; %bb.251:                              ;   in Loop: Header=BB224_10 Depth=1
	v_cmp_ne_u16_e64 s1, 0x80, v2
	v_mov_b64_e32 v[2:3], 0x80000000
	scratch_store_b64 off, v[2:3], s32 offset:452 ; 8-byte Folded Spill
	s_wait_xcnt 0x0
	s_and_saveexec_b32 s9, s1
	s_cbranch_execz .LBB224_257
; %bb.252:                              ;   in Loop: Header=BB224_10 Depth=1
	v_mov_b64_e32 v[4:5], 0x7f800001
	v_bfe_u32 v3, v0, 16, 7
	s_mov_b32 s11, exec_lo
	scratch_store_b64 off, v[4:5], s32 offset:452 ; 8-byte Folded Spill
	s_wait_xcnt 0x0
	v_cmpx_ne_u32_e32 0x7f, v3
	s_cbranch_execz .LBB224_256
; %bb.253:                              ;   in Loop: Header=BB224_10 Depth=1
	scratch_load_b64 v[6:7], off, s32 offset:192 th:TH_LOAD_LU ; 8-byte Folded Reload
	s_wait_loadcnt 0x0
	v_dual_lshrrev_b32 v2, 3, v3 :: v_dual_bitop2_b32 v6, 7, v1 bitop3:0x40
	s_mov_b32 s16, exec_lo
	s_wait_xcnt 0x0
	v_cmpx_gt_u32_e32 8, v3
; %bb.254:                              ;   in Loop: Header=BB224_10 Depth=1
	s_delay_alu instid0(VALU_DEP_2) | instskip(NEXT) | instid1(VALU_DEP_1)
	v_clz_i32_u32_e32 v2, v6
	v_min_u32_e32 v2, 32, v2
	s_delay_alu instid0(VALU_DEP_1) | instskip(NEXT) | instid1(VALU_DEP_1)
	v_subrev_nc_u32_e32 v3, 28, v2
	v_lshlrev_b64_e32 v[4:5], v3, v[6:7]
	s_delay_alu instid0(VALU_DEP_1)
	v_dual_sub_nc_u32 v2, 29, v2 :: v_dual_bitop2_b32 v6, 7, v4 bitop3:0x40
; %bb.255:                              ;   in Loop: Header=BB224_10 Depth=1
	s_or_b32 exec_lo, exec_lo, s16
	s_delay_alu instid0(VALU_DEP_1) | instskip(NEXT) | instid1(VALU_DEP_2)
	v_dual_lshlrev_b32 v1, 24, v1 :: v_dual_lshlrev_b32 v3, 20, v6
	v_lshl_add_u32 v2, v2, 23, 0x3c000000
	s_delay_alu instid0(VALU_DEP_2) | instskip(NEXT) | instid1(VALU_DEP_1)
	v_and_b32_e32 v1, 0x80000000, v1
	v_or3_b32 v6, v3, v1, v2
	v_mov_b32_e32 v1, v7
	s_clause 0x1
	scratch_store_b64 off, v[0:1], s32 offset:192
	scratch_store_b64 off, v[6:7], s32 offset:452
.LBB224_256:                            ;   in Loop: Header=BB224_10 Depth=1
	s_wait_xcnt 0x0
	s_or_b32 exec_lo, exec_lo, s11
.LBB224_257:                            ;   in Loop: Header=BB224_10 Depth=1
	s_delay_alu instid0(SALU_CYCLE_1)
	s_or_b32 exec_lo, exec_lo, s9
.LBB224_258:                            ;   in Loop: Header=BB224_10 Depth=1
	s_delay_alu instid0(SALU_CYCLE_1) | instskip(NEXT) | instid1(SALU_CYCLE_1)
	s_or_b32 exec_lo, exec_lo, s8
	s_mov_b32 s8, exec_lo
	v_cmpx_lt_u32_e32 0xffffff, v0
	s_cbranch_execz .LBB224_266
; %bb.259:                              ;   in Loop: Header=BB224_10 Depth=1
	v_mov_b64_e32 v[2:3], 0x8000000000000000
	v_lshrrev_b32_e32 v1, 24, v0
	s_mov_b32 s9, exec_lo
	scratch_store_b64 off, v[2:3], s32 offset:444 ; 8-byte Folded Spill
	s_wait_xcnt 0x0
	v_cmpx_ne_u32_e32 0x80, v1
	s_cbranch_execz .LBB224_265
; %bb.260:                              ;   in Loop: Header=BB224_10 Depth=1
	v_mov_b64_e32 v[4:5], 0x7f80000100000000
	v_bfe_u32 v2, v0, 24, 7
	s_mov_b32 s11, exec_lo
	scratch_store_b64 off, v[4:5], s32 offset:444 ; 8-byte Folded Spill
	s_wait_xcnt 0x0
	v_cmpx_ne_u32_e32 0x7f, v2
	s_cbranch_execz .LBB224_264
; %bb.261:                              ;   in Loop: Header=BB224_10 Depth=1
	scratch_load_b64 v[4:5], off, s32 offset:192 th:TH_LOAD_LU ; 8-byte Folded Reload
	s_wait_loadcnt 0x0
	v_dual_lshrrev_b32 v0, 3, v2 :: v_dual_bitop2_b32 v4, 7, v1 bitop3:0x40
	v_cmp_gt_u32_e64 s1, 8, v2
	s_delay_alu instid0(VALU_DEP_2)
	v_mov_b64_e32 v[2:3], v[4:5]
	s_wait_xcnt 0x0
	s_and_saveexec_b32 s16, s1
	s_cbranch_execz .LBB224_263
; %bb.262:                              ;   in Loop: Header=BB224_10 Depth=1
	s_delay_alu instid0(VALU_DEP_1) | instskip(NEXT) | instid1(VALU_DEP_2)
	v_clz_i32_u32_e32 v0, v2
	v_mov_b64_e32 v[4:5], v[2:3]
	s_delay_alu instid0(VALU_DEP_2) | instskip(NEXT) | instid1(VALU_DEP_1)
	v_min_u32_e32 v0, 32, v0
	v_subrev_nc_u32_e32 v2, 28, v0
	s_delay_alu instid0(VALU_DEP_1) | instskip(NEXT) | instid1(VALU_DEP_1)
	v_lshlrev_b64_e32 v[2:3], v2, v[4:5]
	v_dual_sub_nc_u32 v0, 29, v0 :: v_dual_bitop2_b32 v4, 7, v2 bitop3:0x40
	s_delay_alu instid0(VALU_DEP_1)
	v_mov_b64_e32 v[2:3], v[4:5]
.LBB224_263:                            ;   in Loop: Header=BB224_10 Depth=1
	s_or_b32 exec_lo, exec_lo, s16
	s_delay_alu instid0(VALU_DEP_1) | instskip(NEXT) | instid1(VALU_DEP_3)
	v_dual_lshlrev_b32 v1, 24, v1 :: v_dual_lshlrev_b32 v2, 20, v2
	v_lshl_add_u32 v0, v0, 23, 0x3c000000
	s_delay_alu instid0(VALU_DEP_3) | instskip(NEXT) | instid1(VALU_DEP_3)
	v_mov_b32_e32 v4, v3
	v_and_b32_e32 v1, 0x80000000, v1
	s_delay_alu instid0(VALU_DEP_1)
	v_or3_b32 v5, v2, v1, v0
	v_mov_b32_e32 v1, v3
	s_clause 0x1
	scratch_store_b64 off, v[4:5], s32 offset:444
	scratch_store_b64 off, v[0:1], s32 offset:192
.LBB224_264:                            ;   in Loop: Header=BB224_10 Depth=1
	s_wait_xcnt 0x0
	s_or_b32 exec_lo, exec_lo, s11
.LBB224_265:                            ;   in Loop: Header=BB224_10 Depth=1
	s_delay_alu instid0(SALU_CYCLE_1)
	s_or_b32 exec_lo, exec_lo, s9
.LBB224_266:                            ;   in Loop: Header=BB224_10 Depth=1
	s_delay_alu instid0(SALU_CYCLE_1)
	s_or_b32 exec_lo, exec_lo, s8
	flat_load_b32 v0, v[26:27] offset:1024
	v_mov_b64_e32 v[2:3], 0
	s_mov_b32 s8, exec_lo
	scratch_store_b64 off, v[2:3], s32 offset:460 ; 8-byte Folded Spill
	s_wait_xcnt 0x0
	v_mov_b64_e32 v[2:3], 0
	scratch_store_b64 off, v[2:3], s32 offset:468 ; 8-byte Folded Spill
	s_wait_loadcnt_dscnt 0x0
	v_and_b32_e32 v1, 0xff, v0
	s_wait_xcnt 0x0
	s_delay_alu instid0(VALU_DEP_1)
	v_cmpx_ne_u16_e32 0, v1
	s_cbranch_execz .LBB224_274
; %bb.267:                              ;   in Loop: Header=BB224_10 Depth=1
	v_mov_b64_e32 v[2:3], 0x80000000
	s_mov_b32 s9, exec_lo
	scratch_store_b64 off, v[2:3], s32 offset:468 ; 8-byte Folded Spill
	s_wait_xcnt 0x0
	v_cmpx_ne_u16_e32 0x80, v1
	s_cbranch_execz .LBB224_273
; %bb.268:                              ;   in Loop: Header=BB224_10 Depth=1
	v_mov_b64_e32 v[4:5], 0x7f800001
	v_and_b32_e32 v2, 0x7f, v0
	s_mov_b32 s11, exec_lo
	scratch_store_b64 off, v[4:5], s32 offset:468 ; 8-byte Folded Spill
	s_wait_xcnt 0x0
	v_cmpx_ne_u32_e32 0x7f, v2
	s_cbranch_execz .LBB224_272
; %bb.269:                              ;   in Loop: Header=BB224_10 Depth=1
	scratch_load_b64 v[4:5], off, s32 offset:192 th:TH_LOAD_LU ; 8-byte Folded Reload
	s_wait_loadcnt 0x0
	v_dual_lshrrev_b32 v1, 3, v2 :: v_dual_bitop2_b32 v4, 7, v0 bitop3:0x40
	s_mov_b32 s16, exec_lo
	s_wait_xcnt 0x0
	v_cmpx_gt_u32_e32 8, v2
; %bb.270:                              ;   in Loop: Header=BB224_10 Depth=1
	s_delay_alu instid0(VALU_DEP_2) | instskip(NEXT) | instid1(VALU_DEP_1)
	v_clz_i32_u32_e32 v1, v4
	v_min_u32_e32 v1, 32, v1
	s_delay_alu instid0(VALU_DEP_1) | instskip(NEXT) | instid1(VALU_DEP_1)
	v_subrev_nc_u32_e32 v2, 28, v1
	v_lshlrev_b64_e32 v[2:3], v2, v[4:5]
	s_delay_alu instid0(VALU_DEP_1)
	v_dual_sub_nc_u32 v1, 29, v1 :: v_dual_bitop2_b32 v4, 7, v2 bitop3:0x40
; %bb.271:                              ;   in Loop: Header=BB224_10 Depth=1
	s_or_b32 exec_lo, exec_lo, s16
	v_lshlrev_b32_e32 v2, 24, v0
	s_delay_alu instid0(VALU_DEP_2) | instskip(NEXT) | instid1(VALU_DEP_3)
	v_lshlrev_b32_e32 v3, 20, v4
	v_lshl_add_u32 v1, v1, 23, 0x3c000000
	s_delay_alu instid0(VALU_DEP_3) | instskip(NEXT) | instid1(VALU_DEP_1)
	v_and_b32_e32 v2, 0x80000000, v2
	v_or3_b32 v4, v3, v2, v1
	v_mov_b32_e32 v1, v5
	s_clause 0x1
	scratch_store_b64 off, v[0:1], s32 offset:192
	scratch_store_b64 off, v[4:5], s32 offset:468
.LBB224_272:                            ;   in Loop: Header=BB224_10 Depth=1
	s_wait_xcnt 0x0
	s_or_b32 exec_lo, exec_lo, s11
.LBB224_273:                            ;   in Loop: Header=BB224_10 Depth=1
	s_delay_alu instid0(SALU_CYCLE_1)
	s_or_b32 exec_lo, exec_lo, s9
.LBB224_274:                            ;   in Loop: Header=BB224_10 Depth=1
	s_delay_alu instid0(SALU_CYCLE_1) | instskip(SKIP_2) | instid1(VALU_DEP_1)
	s_or_b32 exec_lo, exec_lo, s8
	v_lshrrev_b16 v1, 8, v0
	s_mov_b32 s8, exec_lo
	v_cmpx_ne_u16_e32 0, v1
	s_cbranch_execz .LBB224_282
; %bb.275:                              ;   in Loop: Header=BB224_10 Depth=1
	v_mov_b64_e32 v[2:3], 0x8000000000000000
	s_mov_b32 s9, exec_lo
	scratch_store_b64 off, v[2:3], s32 offset:460 ; 8-byte Folded Spill
	s_wait_xcnt 0x0
	v_cmpx_ne_u16_e32 0x80, v1
	s_cbranch_execz .LBB224_281
; %bb.276:                              ;   in Loop: Header=BB224_10 Depth=1
	v_and_b32_e32 v1, 0xffff, v1
	v_mov_b64_e32 v[4:5], 0x7f80000100000000
	s_mov_b32 s11, exec_lo
	s_delay_alu instid0(VALU_DEP_2)
	v_and_b32_e32 v2, 0x7f, v1
	scratch_store_b64 off, v[4:5], s32 offset:460 ; 8-byte Folded Spill
	s_wait_xcnt 0x0
	v_cmpx_ne_u32_e32 0x7f, v2
	s_cbranch_execz .LBB224_280
; %bb.277:                              ;   in Loop: Header=BB224_10 Depth=1
	scratch_load_b64 v[4:5], off, s32 offset:192 th:TH_LOAD_LU ; 8-byte Folded Reload
	s_wait_loadcnt 0x0
	v_dual_lshrrev_b32 v1, 3, v2 :: v_dual_bitop2_b32 v4, 7, v1 bitop3:0x40
	s_mov_b32 s16, exec_lo
	s_wait_xcnt 0x0
	v_cmpx_gt_u32_e32 8, v2
; %bb.278:                              ;   in Loop: Header=BB224_10 Depth=1
	s_delay_alu instid0(VALU_DEP_2) | instskip(NEXT) | instid1(VALU_DEP_1)
	v_clz_i32_u32_e32 v1, v4
	v_min_u32_e32 v1, 32, v1
	s_delay_alu instid0(VALU_DEP_1) | instskip(NEXT) | instid1(VALU_DEP_1)
	v_subrev_nc_u32_e32 v2, 28, v1
	v_lshlrev_b64_e32 v[2:3], v2, v[4:5]
	s_delay_alu instid0(VALU_DEP_1)
	v_dual_sub_nc_u32 v1, 29, v1 :: v_dual_bitop2_b32 v4, 7, v2 bitop3:0x40
; %bb.279:                              ;   in Loop: Header=BB224_10 Depth=1
	s_or_b32 exec_lo, exec_lo, s16
	v_lshlrev_b32_e32 v2, 16, v0
	s_delay_alu instid0(VALU_DEP_2) | instskip(NEXT) | instid1(VALU_DEP_3)
	v_lshlrev_b32_e32 v3, 20, v4
	v_lshl_add_u32 v1, v1, 23, 0x3c000000
	s_delay_alu instid0(VALU_DEP_3) | instskip(NEXT) | instid1(VALU_DEP_1)
	v_and_b32_e32 v2, 0x80000000, v2
	v_or3_b32 v3, v3, v2, v1
	v_dual_mov_b32 v1, v5 :: v_dual_mov_b32 v2, v5
	s_clause 0x1
	scratch_store_b64 off, v[0:1], s32 offset:192
	scratch_store_b64 off, v[2:3], s32 offset:460
.LBB224_280:                            ;   in Loop: Header=BB224_10 Depth=1
	s_wait_xcnt 0x0
	s_or_b32 exec_lo, exec_lo, s11
.LBB224_281:                            ;   in Loop: Header=BB224_10 Depth=1
	s_delay_alu instid0(SALU_CYCLE_1)
	s_or_b32 exec_lo, exec_lo, s9
.LBB224_282:                            ;   in Loop: Header=BB224_10 Depth=1
	s_delay_alu instid0(SALU_CYCLE_1) | instskip(SKIP_3) | instid1(VALU_DEP_1)
	s_or_b32 exec_lo, exec_lo, s8
	v_mov_b64_e32 v[4:5], 0
	v_lshrrev_b32_e32 v1, 16, v0
	s_mov_b32 s8, exec_lo
	v_and_b32_e32 v2, 0xff, v1
	scratch_store_b64 off, v[4:5], s32 offset:476 ; 8-byte Folded Spill
	s_wait_xcnt 0x0
	v_mov_b64_e32 v[4:5], 0
	scratch_store_b64 off, v[4:5], s32 offset:484 ; 8-byte Folded Spill
	s_wait_xcnt 0x0
	v_cmpx_ne_u16_e32 0, v2
	s_cbranch_execz .LBB224_290
; %bb.283:                              ;   in Loop: Header=BB224_10 Depth=1
	v_cmp_ne_u16_e64 s1, 0x80, v2
	v_mov_b64_e32 v[2:3], 0x80000000
	scratch_store_b64 off, v[2:3], s32 offset:484 ; 8-byte Folded Spill
	s_wait_xcnt 0x0
	s_and_saveexec_b32 s9, s1
	s_cbranch_execz .LBB224_289
; %bb.284:                              ;   in Loop: Header=BB224_10 Depth=1
	v_mov_b64_e32 v[4:5], 0x7f800001
	v_bfe_u32 v3, v0, 16, 7
	s_mov_b32 s11, exec_lo
	scratch_store_b64 off, v[4:5], s32 offset:484 ; 8-byte Folded Spill
	s_wait_xcnt 0x0
	v_cmpx_ne_u32_e32 0x7f, v3
	s_cbranch_execz .LBB224_288
; %bb.285:                              ;   in Loop: Header=BB224_10 Depth=1
	scratch_load_b64 v[6:7], off, s32 offset:192 th:TH_LOAD_LU ; 8-byte Folded Reload
	s_wait_loadcnt 0x0
	v_dual_lshrrev_b32 v2, 3, v3 :: v_dual_bitop2_b32 v6, 7, v1 bitop3:0x40
	s_mov_b32 s16, exec_lo
	s_wait_xcnt 0x0
	v_cmpx_gt_u32_e32 8, v3
; %bb.286:                              ;   in Loop: Header=BB224_10 Depth=1
	s_delay_alu instid0(VALU_DEP_2) | instskip(NEXT) | instid1(VALU_DEP_1)
	v_clz_i32_u32_e32 v2, v6
	v_min_u32_e32 v2, 32, v2
	s_delay_alu instid0(VALU_DEP_1) | instskip(NEXT) | instid1(VALU_DEP_1)
	v_subrev_nc_u32_e32 v3, 28, v2
	v_lshlrev_b64_e32 v[4:5], v3, v[6:7]
	s_delay_alu instid0(VALU_DEP_1)
	v_dual_sub_nc_u32 v2, 29, v2 :: v_dual_bitop2_b32 v6, 7, v4 bitop3:0x40
; %bb.287:                              ;   in Loop: Header=BB224_10 Depth=1
	s_or_b32 exec_lo, exec_lo, s16
	s_delay_alu instid0(VALU_DEP_1) | instskip(NEXT) | instid1(VALU_DEP_2)
	v_dual_lshlrev_b32 v1, 24, v1 :: v_dual_lshlrev_b32 v3, 20, v6
	v_lshl_add_u32 v2, v2, 23, 0x3c000000
	s_delay_alu instid0(VALU_DEP_2) | instskip(NEXT) | instid1(VALU_DEP_1)
	v_and_b32_e32 v1, 0x80000000, v1
	v_or3_b32 v6, v3, v1, v2
	v_mov_b32_e32 v1, v7
	s_clause 0x1
	scratch_store_b64 off, v[0:1], s32 offset:192
	scratch_store_b64 off, v[6:7], s32 offset:484
.LBB224_288:                            ;   in Loop: Header=BB224_10 Depth=1
	s_wait_xcnt 0x0
	s_or_b32 exec_lo, exec_lo, s11
.LBB224_289:                            ;   in Loop: Header=BB224_10 Depth=1
	s_delay_alu instid0(SALU_CYCLE_1)
	s_or_b32 exec_lo, exec_lo, s9
.LBB224_290:                            ;   in Loop: Header=BB224_10 Depth=1
	s_delay_alu instid0(SALU_CYCLE_1) | instskip(NEXT) | instid1(SALU_CYCLE_1)
	s_or_b32 exec_lo, exec_lo, s8
	s_mov_b32 s8, exec_lo
	v_cmpx_lt_u32_e32 0xffffff, v0
	s_cbranch_execz .LBB224_298
; %bb.291:                              ;   in Loop: Header=BB224_10 Depth=1
	v_mov_b64_e32 v[2:3], 0x8000000000000000
	v_lshrrev_b32_e32 v1, 24, v0
	s_mov_b32 s9, exec_lo
	scratch_store_b64 off, v[2:3], s32 offset:476 ; 8-byte Folded Spill
	s_wait_xcnt 0x0
	v_cmpx_ne_u32_e32 0x80, v1
	s_cbranch_execz .LBB224_297
; %bb.292:                              ;   in Loop: Header=BB224_10 Depth=1
	v_mov_b64_e32 v[4:5], 0x7f80000100000000
	v_bfe_u32 v2, v0, 24, 7
	s_mov_b32 s11, exec_lo
	scratch_store_b64 off, v[4:5], s32 offset:476 ; 8-byte Folded Spill
	s_wait_xcnt 0x0
	v_cmpx_ne_u32_e32 0x7f, v2
	s_cbranch_execz .LBB224_296
; %bb.293:                              ;   in Loop: Header=BB224_10 Depth=1
	scratch_load_b64 v[4:5], off, s32 offset:192 th:TH_LOAD_LU ; 8-byte Folded Reload
	s_wait_loadcnt 0x0
	v_dual_lshrrev_b32 v0, 3, v2 :: v_dual_bitop2_b32 v4, 7, v1 bitop3:0x40
	v_cmp_gt_u32_e64 s1, 8, v2
	s_delay_alu instid0(VALU_DEP_2)
	v_mov_b64_e32 v[2:3], v[4:5]
	s_wait_xcnt 0x0
	s_and_saveexec_b32 s16, s1
	s_cbranch_execz .LBB224_295
; %bb.294:                              ;   in Loop: Header=BB224_10 Depth=1
	s_delay_alu instid0(VALU_DEP_1) | instskip(NEXT) | instid1(VALU_DEP_2)
	v_clz_i32_u32_e32 v0, v2
	v_mov_b64_e32 v[4:5], v[2:3]
	s_delay_alu instid0(VALU_DEP_2) | instskip(NEXT) | instid1(VALU_DEP_1)
	v_min_u32_e32 v0, 32, v0
	v_subrev_nc_u32_e32 v2, 28, v0
	s_delay_alu instid0(VALU_DEP_1) | instskip(NEXT) | instid1(VALU_DEP_1)
	v_lshlrev_b64_e32 v[2:3], v2, v[4:5]
	v_dual_sub_nc_u32 v0, 29, v0 :: v_dual_bitop2_b32 v4, 7, v2 bitop3:0x40
	s_delay_alu instid0(VALU_DEP_1)
	v_mov_b64_e32 v[2:3], v[4:5]
.LBB224_295:                            ;   in Loop: Header=BB224_10 Depth=1
	s_or_b32 exec_lo, exec_lo, s16
	s_delay_alu instid0(VALU_DEP_1) | instskip(NEXT) | instid1(VALU_DEP_3)
	v_dual_lshlrev_b32 v1, 24, v1 :: v_dual_lshlrev_b32 v2, 20, v2
	v_lshl_add_u32 v0, v0, 23, 0x3c000000
	s_delay_alu instid0(VALU_DEP_3) | instskip(NEXT) | instid1(VALU_DEP_3)
	v_mov_b32_e32 v4, v3
	v_and_b32_e32 v1, 0x80000000, v1
	s_delay_alu instid0(VALU_DEP_1)
	v_or3_b32 v5, v2, v1, v0
	v_mov_b32_e32 v1, v3
	s_clause 0x1
	scratch_store_b64 off, v[4:5], s32 offset:476
	scratch_store_b64 off, v[0:1], s32 offset:192
.LBB224_296:                            ;   in Loop: Header=BB224_10 Depth=1
	s_wait_xcnt 0x0
	s_or_b32 exec_lo, exec_lo, s11
.LBB224_297:                            ;   in Loop: Header=BB224_10 Depth=1
	s_delay_alu instid0(SALU_CYCLE_1)
	s_or_b32 exec_lo, exec_lo, s9
.LBB224_298:                            ;   in Loop: Header=BB224_10 Depth=1
	s_delay_alu instid0(SALU_CYCLE_1)
	s_or_b32 exec_lo, exec_lo, s8
	flat_load_b32 v0, v[26:27] offset:1028
	v_mov_b64_e32 v[2:3], 0
	s_mov_b32 s8, exec_lo
	scratch_store_b64 off, v[2:3], s32 offset:492 ; 8-byte Folded Spill
	s_wait_xcnt 0x0
	v_mov_b64_e32 v[2:3], 0
	scratch_store_b64 off, v[2:3], s32 offset:500 ; 8-byte Folded Spill
	s_wait_loadcnt_dscnt 0x0
	v_and_b32_e32 v1, 0xff, v0
	s_wait_xcnt 0x0
	s_delay_alu instid0(VALU_DEP_1)
	v_cmpx_ne_u16_e32 0, v1
	s_cbranch_execz .LBB224_306
; %bb.299:                              ;   in Loop: Header=BB224_10 Depth=1
	v_mov_b64_e32 v[2:3], 0x80000000
	s_mov_b32 s9, exec_lo
	scratch_store_b64 off, v[2:3], s32 offset:500 ; 8-byte Folded Spill
	s_wait_xcnt 0x0
	v_cmpx_ne_u16_e32 0x80, v1
	s_cbranch_execz .LBB224_305
; %bb.300:                              ;   in Loop: Header=BB224_10 Depth=1
	v_mov_b64_e32 v[4:5], 0x7f800001
	v_and_b32_e32 v2, 0x7f, v0
	s_mov_b32 s11, exec_lo
	scratch_store_b64 off, v[4:5], s32 offset:500 ; 8-byte Folded Spill
	s_wait_xcnt 0x0
	v_cmpx_ne_u32_e32 0x7f, v2
	s_cbranch_execz .LBB224_304
; %bb.301:                              ;   in Loop: Header=BB224_10 Depth=1
	scratch_load_b64 v[4:5], off, s32 offset:192 th:TH_LOAD_LU ; 8-byte Folded Reload
	s_wait_loadcnt 0x0
	v_dual_lshrrev_b32 v1, 3, v2 :: v_dual_bitop2_b32 v4, 7, v0 bitop3:0x40
	s_mov_b32 s16, exec_lo
	s_wait_xcnt 0x0
	v_cmpx_gt_u32_e32 8, v2
; %bb.302:                              ;   in Loop: Header=BB224_10 Depth=1
	s_delay_alu instid0(VALU_DEP_2) | instskip(NEXT) | instid1(VALU_DEP_1)
	v_clz_i32_u32_e32 v1, v4
	v_min_u32_e32 v1, 32, v1
	s_delay_alu instid0(VALU_DEP_1) | instskip(NEXT) | instid1(VALU_DEP_1)
	v_subrev_nc_u32_e32 v2, 28, v1
	v_lshlrev_b64_e32 v[2:3], v2, v[4:5]
	s_delay_alu instid0(VALU_DEP_1)
	v_dual_sub_nc_u32 v1, 29, v1 :: v_dual_bitop2_b32 v4, 7, v2 bitop3:0x40
; %bb.303:                              ;   in Loop: Header=BB224_10 Depth=1
	s_or_b32 exec_lo, exec_lo, s16
	v_lshlrev_b32_e32 v2, 24, v0
	s_delay_alu instid0(VALU_DEP_2) | instskip(NEXT) | instid1(VALU_DEP_3)
	v_lshlrev_b32_e32 v3, 20, v4
	v_lshl_add_u32 v1, v1, 23, 0x3c000000
	s_delay_alu instid0(VALU_DEP_3) | instskip(NEXT) | instid1(VALU_DEP_1)
	v_and_b32_e32 v2, 0x80000000, v2
	v_or3_b32 v4, v3, v2, v1
	v_mov_b32_e32 v1, v5
	s_clause 0x1
	scratch_store_b64 off, v[0:1], s32 offset:192
	scratch_store_b64 off, v[4:5], s32 offset:500
.LBB224_304:                            ;   in Loop: Header=BB224_10 Depth=1
	s_wait_xcnt 0x0
	s_or_b32 exec_lo, exec_lo, s11
.LBB224_305:                            ;   in Loop: Header=BB224_10 Depth=1
	s_delay_alu instid0(SALU_CYCLE_1)
	s_or_b32 exec_lo, exec_lo, s9
.LBB224_306:                            ;   in Loop: Header=BB224_10 Depth=1
	s_delay_alu instid0(SALU_CYCLE_1) | instskip(SKIP_2) | instid1(VALU_DEP_1)
	s_or_b32 exec_lo, exec_lo, s8
	v_lshrrev_b16 v1, 8, v0
	s_mov_b32 s8, exec_lo
	v_cmpx_ne_u16_e32 0, v1
	s_cbranch_execz .LBB224_314
; %bb.307:                              ;   in Loop: Header=BB224_10 Depth=1
	v_mov_b64_e32 v[2:3], 0x8000000000000000
	s_mov_b32 s9, exec_lo
	scratch_store_b64 off, v[2:3], s32 offset:492 ; 8-byte Folded Spill
	s_wait_xcnt 0x0
	v_cmpx_ne_u16_e32 0x80, v1
	s_cbranch_execz .LBB224_313
; %bb.308:                              ;   in Loop: Header=BB224_10 Depth=1
	v_and_b32_e32 v1, 0xffff, v1
	v_mov_b64_e32 v[4:5], 0x7f80000100000000
	s_mov_b32 s11, exec_lo
	s_delay_alu instid0(VALU_DEP_2)
	v_and_b32_e32 v2, 0x7f, v1
	scratch_store_b64 off, v[4:5], s32 offset:492 ; 8-byte Folded Spill
	s_wait_xcnt 0x0
	v_cmpx_ne_u32_e32 0x7f, v2
	s_cbranch_execz .LBB224_312
; %bb.309:                              ;   in Loop: Header=BB224_10 Depth=1
	scratch_load_b64 v[4:5], off, s32 offset:192 th:TH_LOAD_LU ; 8-byte Folded Reload
	s_wait_loadcnt 0x0
	v_dual_lshrrev_b32 v1, 3, v2 :: v_dual_bitop2_b32 v4, 7, v1 bitop3:0x40
	s_mov_b32 s16, exec_lo
	s_wait_xcnt 0x0
	v_cmpx_gt_u32_e32 8, v2
; %bb.310:                              ;   in Loop: Header=BB224_10 Depth=1
	s_delay_alu instid0(VALU_DEP_2) | instskip(NEXT) | instid1(VALU_DEP_1)
	v_clz_i32_u32_e32 v1, v4
	v_min_u32_e32 v1, 32, v1
	s_delay_alu instid0(VALU_DEP_1) | instskip(NEXT) | instid1(VALU_DEP_1)
	v_subrev_nc_u32_e32 v2, 28, v1
	v_lshlrev_b64_e32 v[2:3], v2, v[4:5]
	s_delay_alu instid0(VALU_DEP_1)
	v_dual_sub_nc_u32 v1, 29, v1 :: v_dual_bitop2_b32 v4, 7, v2 bitop3:0x40
; %bb.311:                              ;   in Loop: Header=BB224_10 Depth=1
	s_or_b32 exec_lo, exec_lo, s16
	v_lshlrev_b32_e32 v2, 16, v0
	s_delay_alu instid0(VALU_DEP_2) | instskip(NEXT) | instid1(VALU_DEP_3)
	v_lshlrev_b32_e32 v3, 20, v4
	v_lshl_add_u32 v1, v1, 23, 0x3c000000
	s_delay_alu instid0(VALU_DEP_3) | instskip(NEXT) | instid1(VALU_DEP_1)
	v_and_b32_e32 v2, 0x80000000, v2
	v_or3_b32 v3, v3, v2, v1
	v_dual_mov_b32 v1, v5 :: v_dual_mov_b32 v2, v5
	s_clause 0x1
	scratch_store_b64 off, v[0:1], s32 offset:192
	scratch_store_b64 off, v[2:3], s32 offset:492
.LBB224_312:                            ;   in Loop: Header=BB224_10 Depth=1
	s_wait_xcnt 0x0
	s_or_b32 exec_lo, exec_lo, s11
.LBB224_313:                            ;   in Loop: Header=BB224_10 Depth=1
	s_delay_alu instid0(SALU_CYCLE_1)
	s_or_b32 exec_lo, exec_lo, s9
.LBB224_314:                            ;   in Loop: Header=BB224_10 Depth=1
	s_delay_alu instid0(SALU_CYCLE_1) | instskip(SKIP_3) | instid1(VALU_DEP_1)
	s_or_b32 exec_lo, exec_lo, s8
	v_mov_b64_e32 v[4:5], 0
	v_lshrrev_b32_e32 v1, 16, v0
	s_mov_b32 s8, exec_lo
	v_and_b32_e32 v2, 0xff, v1
	scratch_store_b64 off, v[4:5], s32 offset:508 ; 8-byte Folded Spill
	s_wait_xcnt 0x0
	v_mov_b64_e32 v[4:5], 0
	scratch_store_b64 off, v[4:5], s32 offset:516 ; 8-byte Folded Spill
	s_wait_xcnt 0x0
	v_cmpx_ne_u16_e32 0, v2
	s_cbranch_execz .LBB224_322
; %bb.315:                              ;   in Loop: Header=BB224_10 Depth=1
	v_cmp_ne_u16_e64 s1, 0x80, v2
	v_mov_b64_e32 v[2:3], 0x80000000
	scratch_store_b64 off, v[2:3], s32 offset:516 ; 8-byte Folded Spill
	s_wait_xcnt 0x0
	s_and_saveexec_b32 s9, s1
	s_cbranch_execz .LBB224_321
; %bb.316:                              ;   in Loop: Header=BB224_10 Depth=1
	v_mov_b64_e32 v[4:5], 0x7f800001
	v_bfe_u32 v3, v0, 16, 7
	s_mov_b32 s11, exec_lo
	scratch_store_b64 off, v[4:5], s32 offset:516 ; 8-byte Folded Spill
	s_wait_xcnt 0x0
	v_cmpx_ne_u32_e32 0x7f, v3
	s_cbranch_execz .LBB224_320
; %bb.317:                              ;   in Loop: Header=BB224_10 Depth=1
	scratch_load_b64 v[6:7], off, s32 offset:192 th:TH_LOAD_LU ; 8-byte Folded Reload
	s_wait_loadcnt 0x0
	v_dual_lshrrev_b32 v2, 3, v3 :: v_dual_bitop2_b32 v6, 7, v1 bitop3:0x40
	s_mov_b32 s16, exec_lo
	s_wait_xcnt 0x0
	v_cmpx_gt_u32_e32 8, v3
; %bb.318:                              ;   in Loop: Header=BB224_10 Depth=1
	s_delay_alu instid0(VALU_DEP_2) | instskip(NEXT) | instid1(VALU_DEP_1)
	v_clz_i32_u32_e32 v2, v6
	v_min_u32_e32 v2, 32, v2
	s_delay_alu instid0(VALU_DEP_1) | instskip(NEXT) | instid1(VALU_DEP_1)
	v_subrev_nc_u32_e32 v3, 28, v2
	v_lshlrev_b64_e32 v[4:5], v3, v[6:7]
	s_delay_alu instid0(VALU_DEP_1)
	v_dual_sub_nc_u32 v2, 29, v2 :: v_dual_bitop2_b32 v6, 7, v4 bitop3:0x40
; %bb.319:                              ;   in Loop: Header=BB224_10 Depth=1
	s_or_b32 exec_lo, exec_lo, s16
	s_delay_alu instid0(VALU_DEP_1) | instskip(NEXT) | instid1(VALU_DEP_2)
	v_dual_lshlrev_b32 v1, 24, v1 :: v_dual_lshlrev_b32 v3, 20, v6
	v_lshl_add_u32 v2, v2, 23, 0x3c000000
	s_delay_alu instid0(VALU_DEP_2) | instskip(NEXT) | instid1(VALU_DEP_1)
	v_and_b32_e32 v1, 0x80000000, v1
	v_or3_b32 v6, v3, v1, v2
	v_mov_b32_e32 v1, v7
	s_clause 0x1
	scratch_store_b64 off, v[0:1], s32 offset:192
	scratch_store_b64 off, v[6:7], s32 offset:516
.LBB224_320:                            ;   in Loop: Header=BB224_10 Depth=1
	s_wait_xcnt 0x0
	s_or_b32 exec_lo, exec_lo, s11
.LBB224_321:                            ;   in Loop: Header=BB224_10 Depth=1
	s_delay_alu instid0(SALU_CYCLE_1)
	s_or_b32 exec_lo, exec_lo, s9
.LBB224_322:                            ;   in Loop: Header=BB224_10 Depth=1
	s_delay_alu instid0(SALU_CYCLE_1) | instskip(NEXT) | instid1(SALU_CYCLE_1)
	s_or_b32 exec_lo, exec_lo, s8
	s_mov_b32 s8, exec_lo
	v_cmpx_lt_u32_e32 0xffffff, v0
	s_cbranch_execz .LBB224_330
; %bb.323:                              ;   in Loop: Header=BB224_10 Depth=1
	v_mov_b64_e32 v[2:3], 0x8000000000000000
	v_lshrrev_b32_e32 v1, 24, v0
	s_mov_b32 s9, exec_lo
	scratch_store_b64 off, v[2:3], s32 offset:508 ; 8-byte Folded Spill
	s_wait_xcnt 0x0
	v_cmpx_ne_u32_e32 0x80, v1
	s_cbranch_execz .LBB224_329
; %bb.324:                              ;   in Loop: Header=BB224_10 Depth=1
	v_mov_b64_e32 v[4:5], 0x7f80000100000000
	v_bfe_u32 v2, v0, 24, 7
	s_mov_b32 s11, exec_lo
	scratch_store_b64 off, v[4:5], s32 offset:508 ; 8-byte Folded Spill
	s_wait_xcnt 0x0
	v_cmpx_ne_u32_e32 0x7f, v2
	s_cbranch_execz .LBB224_328
; %bb.325:                              ;   in Loop: Header=BB224_10 Depth=1
	scratch_load_b64 v[4:5], off, s32 offset:192 th:TH_LOAD_LU ; 8-byte Folded Reload
	s_wait_loadcnt 0x0
	v_dual_lshrrev_b32 v0, 3, v2 :: v_dual_bitop2_b32 v4, 7, v1 bitop3:0x40
	v_cmp_gt_u32_e64 s1, 8, v2
	s_delay_alu instid0(VALU_DEP_2)
	v_mov_b64_e32 v[2:3], v[4:5]
	s_wait_xcnt 0x0
	s_and_saveexec_b32 s16, s1
	s_cbranch_execz .LBB224_327
; %bb.326:                              ;   in Loop: Header=BB224_10 Depth=1
	s_delay_alu instid0(VALU_DEP_1) | instskip(NEXT) | instid1(VALU_DEP_2)
	v_clz_i32_u32_e32 v0, v2
	v_mov_b64_e32 v[4:5], v[2:3]
	s_delay_alu instid0(VALU_DEP_2) | instskip(NEXT) | instid1(VALU_DEP_1)
	v_min_u32_e32 v0, 32, v0
	v_subrev_nc_u32_e32 v2, 28, v0
	s_delay_alu instid0(VALU_DEP_1) | instskip(NEXT) | instid1(VALU_DEP_1)
	v_lshlrev_b64_e32 v[2:3], v2, v[4:5]
	v_dual_sub_nc_u32 v0, 29, v0 :: v_dual_bitop2_b32 v4, 7, v2 bitop3:0x40
	s_delay_alu instid0(VALU_DEP_1)
	v_mov_b64_e32 v[2:3], v[4:5]
.LBB224_327:                            ;   in Loop: Header=BB224_10 Depth=1
	s_or_b32 exec_lo, exec_lo, s16
	s_delay_alu instid0(VALU_DEP_1) | instskip(NEXT) | instid1(VALU_DEP_3)
	v_dual_lshlrev_b32 v1, 24, v1 :: v_dual_lshlrev_b32 v2, 20, v2
	v_lshl_add_u32 v0, v0, 23, 0x3c000000
	s_delay_alu instid0(VALU_DEP_3) | instskip(NEXT) | instid1(VALU_DEP_3)
	v_mov_b32_e32 v4, v3
	v_and_b32_e32 v1, 0x80000000, v1
	s_delay_alu instid0(VALU_DEP_1)
	v_or3_b32 v5, v2, v1, v0
	v_mov_b32_e32 v1, v3
	s_clause 0x1
	scratch_store_b64 off, v[4:5], s32 offset:508
	scratch_store_b64 off, v[0:1], s32 offset:192
.LBB224_328:                            ;   in Loop: Header=BB224_10 Depth=1
	s_wait_xcnt 0x0
	s_or_b32 exec_lo, exec_lo, s11
.LBB224_329:                            ;   in Loop: Header=BB224_10 Depth=1
	s_delay_alu instid0(SALU_CYCLE_1)
	s_or_b32 exec_lo, exec_lo, s9
.LBB224_330:                            ;   in Loop: Header=BB224_10 Depth=1
	s_delay_alu instid0(SALU_CYCLE_1)
	s_or_b32 exec_lo, exec_lo, s8
	flat_load_b32 v0, v[26:27] offset:1032
	v_mov_b64_e32 v[2:3], 0
	s_mov_b32 s8, exec_lo
	scratch_store_b64 off, v[2:3], s32 offset:524 ; 8-byte Folded Spill
	s_wait_xcnt 0x0
	v_mov_b64_e32 v[2:3], 0
	scratch_store_b64 off, v[2:3], s32 offset:532 ; 8-byte Folded Spill
	s_wait_loadcnt_dscnt 0x0
	v_and_b32_e32 v1, 0xff, v0
	s_wait_xcnt 0x0
	s_delay_alu instid0(VALU_DEP_1)
	v_cmpx_ne_u16_e32 0, v1
	s_cbranch_execz .LBB224_338
; %bb.331:                              ;   in Loop: Header=BB224_10 Depth=1
	v_mov_b64_e32 v[2:3], 0x80000000
	s_mov_b32 s9, exec_lo
	scratch_store_b64 off, v[2:3], s32 offset:532 ; 8-byte Folded Spill
	s_wait_xcnt 0x0
	v_cmpx_ne_u16_e32 0x80, v1
	s_cbranch_execz .LBB224_337
; %bb.332:                              ;   in Loop: Header=BB224_10 Depth=1
	v_mov_b64_e32 v[4:5], 0x7f800001
	v_and_b32_e32 v2, 0x7f, v0
	s_mov_b32 s11, exec_lo
	scratch_store_b64 off, v[4:5], s32 offset:532 ; 8-byte Folded Spill
	s_wait_xcnt 0x0
	v_cmpx_ne_u32_e32 0x7f, v2
	s_cbranch_execz .LBB224_336
; %bb.333:                              ;   in Loop: Header=BB224_10 Depth=1
	scratch_load_b64 v[4:5], off, s32 offset:192 th:TH_LOAD_LU ; 8-byte Folded Reload
	s_wait_loadcnt 0x0
	v_dual_lshrrev_b32 v1, 3, v2 :: v_dual_bitop2_b32 v4, 7, v0 bitop3:0x40
	s_mov_b32 s16, exec_lo
	s_wait_xcnt 0x0
	v_cmpx_gt_u32_e32 8, v2
; %bb.334:                              ;   in Loop: Header=BB224_10 Depth=1
	s_delay_alu instid0(VALU_DEP_2) | instskip(NEXT) | instid1(VALU_DEP_1)
	v_clz_i32_u32_e32 v1, v4
	v_min_u32_e32 v1, 32, v1
	s_delay_alu instid0(VALU_DEP_1) | instskip(NEXT) | instid1(VALU_DEP_1)
	v_subrev_nc_u32_e32 v2, 28, v1
	v_lshlrev_b64_e32 v[2:3], v2, v[4:5]
	s_delay_alu instid0(VALU_DEP_1)
	v_dual_sub_nc_u32 v1, 29, v1 :: v_dual_bitop2_b32 v4, 7, v2 bitop3:0x40
; %bb.335:                              ;   in Loop: Header=BB224_10 Depth=1
	s_or_b32 exec_lo, exec_lo, s16
	v_lshlrev_b32_e32 v2, 24, v0
	s_delay_alu instid0(VALU_DEP_2) | instskip(NEXT) | instid1(VALU_DEP_3)
	v_lshlrev_b32_e32 v3, 20, v4
	v_lshl_add_u32 v1, v1, 23, 0x3c000000
	s_delay_alu instid0(VALU_DEP_3) | instskip(NEXT) | instid1(VALU_DEP_1)
	v_and_b32_e32 v2, 0x80000000, v2
	v_or3_b32 v4, v3, v2, v1
	v_mov_b32_e32 v1, v5
	s_clause 0x1
	scratch_store_b64 off, v[0:1], s32 offset:192
	scratch_store_b64 off, v[4:5], s32 offset:532
.LBB224_336:                            ;   in Loop: Header=BB224_10 Depth=1
	s_wait_xcnt 0x0
	s_or_b32 exec_lo, exec_lo, s11
.LBB224_337:                            ;   in Loop: Header=BB224_10 Depth=1
	s_delay_alu instid0(SALU_CYCLE_1)
	s_or_b32 exec_lo, exec_lo, s9
.LBB224_338:                            ;   in Loop: Header=BB224_10 Depth=1
	s_delay_alu instid0(SALU_CYCLE_1) | instskip(SKIP_2) | instid1(VALU_DEP_1)
	s_or_b32 exec_lo, exec_lo, s8
	v_lshrrev_b16 v1, 8, v0
	s_mov_b32 s8, exec_lo
	v_cmpx_ne_u16_e32 0, v1
	s_cbranch_execz .LBB224_346
; %bb.339:                              ;   in Loop: Header=BB224_10 Depth=1
	v_mov_b64_e32 v[2:3], 0x8000000000000000
	s_mov_b32 s9, exec_lo
	scratch_store_b64 off, v[2:3], s32 offset:524 ; 8-byte Folded Spill
	s_wait_xcnt 0x0
	v_cmpx_ne_u16_e32 0x80, v1
	s_cbranch_execz .LBB224_345
; %bb.340:                              ;   in Loop: Header=BB224_10 Depth=1
	v_and_b32_e32 v1, 0xffff, v1
	v_mov_b64_e32 v[4:5], 0x7f80000100000000
	s_mov_b32 s11, exec_lo
	s_delay_alu instid0(VALU_DEP_2)
	v_and_b32_e32 v2, 0x7f, v1
	scratch_store_b64 off, v[4:5], s32 offset:524 ; 8-byte Folded Spill
	s_wait_xcnt 0x0
	v_cmpx_ne_u32_e32 0x7f, v2
	s_cbranch_execz .LBB224_344
; %bb.341:                              ;   in Loop: Header=BB224_10 Depth=1
	scratch_load_b64 v[4:5], off, s32 offset:192 th:TH_LOAD_LU ; 8-byte Folded Reload
	s_wait_loadcnt 0x0
	v_dual_lshrrev_b32 v1, 3, v2 :: v_dual_bitop2_b32 v4, 7, v1 bitop3:0x40
	s_mov_b32 s16, exec_lo
	s_wait_xcnt 0x0
	v_cmpx_gt_u32_e32 8, v2
; %bb.342:                              ;   in Loop: Header=BB224_10 Depth=1
	s_delay_alu instid0(VALU_DEP_2) | instskip(NEXT) | instid1(VALU_DEP_1)
	v_clz_i32_u32_e32 v1, v4
	v_min_u32_e32 v1, 32, v1
	s_delay_alu instid0(VALU_DEP_1) | instskip(NEXT) | instid1(VALU_DEP_1)
	v_subrev_nc_u32_e32 v2, 28, v1
	v_lshlrev_b64_e32 v[2:3], v2, v[4:5]
	s_delay_alu instid0(VALU_DEP_1)
	v_dual_sub_nc_u32 v1, 29, v1 :: v_dual_bitop2_b32 v4, 7, v2 bitop3:0x40
; %bb.343:                              ;   in Loop: Header=BB224_10 Depth=1
	s_or_b32 exec_lo, exec_lo, s16
	v_lshlrev_b32_e32 v2, 16, v0
	s_delay_alu instid0(VALU_DEP_2) | instskip(NEXT) | instid1(VALU_DEP_3)
	v_lshlrev_b32_e32 v3, 20, v4
	v_lshl_add_u32 v1, v1, 23, 0x3c000000
	s_delay_alu instid0(VALU_DEP_3) | instskip(NEXT) | instid1(VALU_DEP_1)
	v_and_b32_e32 v2, 0x80000000, v2
	v_or3_b32 v3, v3, v2, v1
	v_dual_mov_b32 v1, v5 :: v_dual_mov_b32 v2, v5
	s_clause 0x1
	scratch_store_b64 off, v[0:1], s32 offset:192
	scratch_store_b64 off, v[2:3], s32 offset:524
.LBB224_344:                            ;   in Loop: Header=BB224_10 Depth=1
	s_wait_xcnt 0x0
	s_or_b32 exec_lo, exec_lo, s11
.LBB224_345:                            ;   in Loop: Header=BB224_10 Depth=1
	s_delay_alu instid0(SALU_CYCLE_1)
	s_or_b32 exec_lo, exec_lo, s9
.LBB224_346:                            ;   in Loop: Header=BB224_10 Depth=1
	s_delay_alu instid0(SALU_CYCLE_1) | instskip(SKIP_3) | instid1(VALU_DEP_1)
	s_or_b32 exec_lo, exec_lo, s8
	v_mov_b64_e32 v[4:5], 0
	v_lshrrev_b32_e32 v1, 16, v0
	s_mov_b32 s8, exec_lo
	v_and_b32_e32 v2, 0xff, v1
	scratch_store_b64 off, v[4:5], s32 offset:540 ; 8-byte Folded Spill
	s_wait_xcnt 0x0
	v_mov_b64_e32 v[4:5], 0
	scratch_store_b64 off, v[4:5], s32 offset:548 ; 8-byte Folded Spill
	s_wait_xcnt 0x0
	v_cmpx_ne_u16_e32 0, v2
	s_cbranch_execz .LBB224_354
; %bb.347:                              ;   in Loop: Header=BB224_10 Depth=1
	v_cmp_ne_u16_e64 s1, 0x80, v2
	v_mov_b64_e32 v[2:3], 0x80000000
	scratch_store_b64 off, v[2:3], s32 offset:548 ; 8-byte Folded Spill
	s_wait_xcnt 0x0
	s_and_saveexec_b32 s9, s1
	s_cbranch_execz .LBB224_353
; %bb.348:                              ;   in Loop: Header=BB224_10 Depth=1
	v_mov_b64_e32 v[4:5], 0x7f800001
	v_bfe_u32 v3, v0, 16, 7
	s_mov_b32 s11, exec_lo
	scratch_store_b64 off, v[4:5], s32 offset:548 ; 8-byte Folded Spill
	s_wait_xcnt 0x0
	v_cmpx_ne_u32_e32 0x7f, v3
	s_cbranch_execz .LBB224_352
; %bb.349:                              ;   in Loop: Header=BB224_10 Depth=1
	scratch_load_b64 v[6:7], off, s32 offset:192 th:TH_LOAD_LU ; 8-byte Folded Reload
	s_wait_loadcnt 0x0
	v_dual_lshrrev_b32 v2, 3, v3 :: v_dual_bitop2_b32 v6, 7, v1 bitop3:0x40
	s_mov_b32 s16, exec_lo
	s_wait_xcnt 0x0
	v_cmpx_gt_u32_e32 8, v3
; %bb.350:                              ;   in Loop: Header=BB224_10 Depth=1
	s_delay_alu instid0(VALU_DEP_2) | instskip(NEXT) | instid1(VALU_DEP_1)
	v_clz_i32_u32_e32 v2, v6
	v_min_u32_e32 v2, 32, v2
	s_delay_alu instid0(VALU_DEP_1) | instskip(NEXT) | instid1(VALU_DEP_1)
	v_subrev_nc_u32_e32 v3, 28, v2
	v_lshlrev_b64_e32 v[4:5], v3, v[6:7]
	s_delay_alu instid0(VALU_DEP_1)
	v_dual_sub_nc_u32 v2, 29, v2 :: v_dual_bitop2_b32 v6, 7, v4 bitop3:0x40
; %bb.351:                              ;   in Loop: Header=BB224_10 Depth=1
	s_or_b32 exec_lo, exec_lo, s16
	s_delay_alu instid0(VALU_DEP_1) | instskip(NEXT) | instid1(VALU_DEP_2)
	v_dual_lshlrev_b32 v1, 24, v1 :: v_dual_lshlrev_b32 v3, 20, v6
	v_lshl_add_u32 v2, v2, 23, 0x3c000000
	s_delay_alu instid0(VALU_DEP_2) | instskip(NEXT) | instid1(VALU_DEP_1)
	v_and_b32_e32 v1, 0x80000000, v1
	v_or3_b32 v6, v3, v1, v2
	v_mov_b32_e32 v1, v7
	s_clause 0x1
	scratch_store_b64 off, v[0:1], s32 offset:192
	scratch_store_b64 off, v[6:7], s32 offset:548
.LBB224_352:                            ;   in Loop: Header=BB224_10 Depth=1
	s_wait_xcnt 0x0
	s_or_b32 exec_lo, exec_lo, s11
.LBB224_353:                            ;   in Loop: Header=BB224_10 Depth=1
	s_delay_alu instid0(SALU_CYCLE_1)
	s_or_b32 exec_lo, exec_lo, s9
.LBB224_354:                            ;   in Loop: Header=BB224_10 Depth=1
	s_delay_alu instid0(SALU_CYCLE_1) | instskip(NEXT) | instid1(SALU_CYCLE_1)
	s_or_b32 exec_lo, exec_lo, s8
	s_mov_b32 s8, exec_lo
	v_cmpx_lt_u32_e32 0xffffff, v0
	s_cbranch_execz .LBB224_362
; %bb.355:                              ;   in Loop: Header=BB224_10 Depth=1
	v_mov_b64_e32 v[2:3], 0x8000000000000000
	v_lshrrev_b32_e32 v1, 24, v0
	s_mov_b32 s9, exec_lo
	scratch_store_b64 off, v[2:3], s32 offset:540 ; 8-byte Folded Spill
	s_wait_xcnt 0x0
	v_cmpx_ne_u32_e32 0x80, v1
	s_cbranch_execz .LBB224_361
; %bb.356:                              ;   in Loop: Header=BB224_10 Depth=1
	v_mov_b64_e32 v[4:5], 0x7f80000100000000
	v_bfe_u32 v2, v0, 24, 7
	s_mov_b32 s11, exec_lo
	scratch_store_b64 off, v[4:5], s32 offset:540 ; 8-byte Folded Spill
	s_wait_xcnt 0x0
	v_cmpx_ne_u32_e32 0x7f, v2
	s_cbranch_execz .LBB224_360
; %bb.357:                              ;   in Loop: Header=BB224_10 Depth=1
	scratch_load_b64 v[4:5], off, s32 offset:192 th:TH_LOAD_LU ; 8-byte Folded Reload
	s_wait_loadcnt 0x0
	v_dual_lshrrev_b32 v0, 3, v2 :: v_dual_bitop2_b32 v4, 7, v1 bitop3:0x40
	v_cmp_gt_u32_e64 s1, 8, v2
	s_delay_alu instid0(VALU_DEP_2)
	v_mov_b64_e32 v[2:3], v[4:5]
	s_wait_xcnt 0x0
	s_and_saveexec_b32 s16, s1
	s_cbranch_execz .LBB224_359
; %bb.358:                              ;   in Loop: Header=BB224_10 Depth=1
	s_delay_alu instid0(VALU_DEP_1) | instskip(NEXT) | instid1(VALU_DEP_2)
	v_clz_i32_u32_e32 v0, v2
	v_mov_b64_e32 v[4:5], v[2:3]
	s_delay_alu instid0(VALU_DEP_2) | instskip(NEXT) | instid1(VALU_DEP_1)
	v_min_u32_e32 v0, 32, v0
	v_subrev_nc_u32_e32 v2, 28, v0
	s_delay_alu instid0(VALU_DEP_1) | instskip(NEXT) | instid1(VALU_DEP_1)
	v_lshlrev_b64_e32 v[2:3], v2, v[4:5]
	v_dual_sub_nc_u32 v0, 29, v0 :: v_dual_bitop2_b32 v4, 7, v2 bitop3:0x40
	s_delay_alu instid0(VALU_DEP_1)
	v_mov_b64_e32 v[2:3], v[4:5]
.LBB224_359:                            ;   in Loop: Header=BB224_10 Depth=1
	s_or_b32 exec_lo, exec_lo, s16
	s_delay_alu instid0(VALU_DEP_1) | instskip(NEXT) | instid1(VALU_DEP_3)
	v_dual_lshlrev_b32 v1, 24, v1 :: v_dual_lshlrev_b32 v2, 20, v2
	v_lshl_add_u32 v0, v0, 23, 0x3c000000
	s_delay_alu instid0(VALU_DEP_3) | instskip(NEXT) | instid1(VALU_DEP_3)
	v_mov_b32_e32 v4, v3
	v_and_b32_e32 v1, 0x80000000, v1
	s_delay_alu instid0(VALU_DEP_1)
	v_or3_b32 v5, v2, v1, v0
	v_mov_b32_e32 v1, v3
	s_clause 0x1
	scratch_store_b64 off, v[4:5], s32 offset:540
	scratch_store_b64 off, v[0:1], s32 offset:192
.LBB224_360:                            ;   in Loop: Header=BB224_10 Depth=1
	s_wait_xcnt 0x0
	s_or_b32 exec_lo, exec_lo, s11
.LBB224_361:                            ;   in Loop: Header=BB224_10 Depth=1
	s_delay_alu instid0(SALU_CYCLE_1)
	s_or_b32 exec_lo, exec_lo, s9
.LBB224_362:                            ;   in Loop: Header=BB224_10 Depth=1
	s_delay_alu instid0(SALU_CYCLE_1)
	s_or_b32 exec_lo, exec_lo, s8
	flat_load_b32 v0, v[26:27] offset:1036
	v_mov_b64_e32 v[2:3], 0
	s_mov_b32 s8, exec_lo
	scratch_store_b64 off, v[2:3], s32 offset:556 ; 8-byte Folded Spill
	s_wait_xcnt 0x0
	v_mov_b64_e32 v[2:3], 0
	scratch_store_b64 off, v[2:3], s32 offset:564 ; 8-byte Folded Spill
	s_wait_loadcnt_dscnt 0x0
	v_and_b32_e32 v1, 0xff, v0
	s_wait_xcnt 0x0
	s_delay_alu instid0(VALU_DEP_1)
	v_cmpx_ne_u16_e32 0, v1
	s_cbranch_execz .LBB224_370
; %bb.363:                              ;   in Loop: Header=BB224_10 Depth=1
	v_mov_b64_e32 v[2:3], 0x80000000
	s_mov_b32 s9, exec_lo
	scratch_store_b64 off, v[2:3], s32 offset:564 ; 8-byte Folded Spill
	s_wait_xcnt 0x0
	v_cmpx_ne_u16_e32 0x80, v1
	s_cbranch_execz .LBB224_369
; %bb.364:                              ;   in Loop: Header=BB224_10 Depth=1
	v_mov_b64_e32 v[4:5], 0x7f800001
	v_and_b32_e32 v2, 0x7f, v0
	s_mov_b32 s11, exec_lo
	scratch_store_b64 off, v[4:5], s32 offset:564 ; 8-byte Folded Spill
	s_wait_xcnt 0x0
	v_cmpx_ne_u32_e32 0x7f, v2
	s_cbranch_execz .LBB224_368
; %bb.365:                              ;   in Loop: Header=BB224_10 Depth=1
	scratch_load_b64 v[4:5], off, s32 offset:192 th:TH_LOAD_LU ; 8-byte Folded Reload
	s_wait_loadcnt 0x0
	v_dual_lshrrev_b32 v1, 3, v2 :: v_dual_bitop2_b32 v4, 7, v0 bitop3:0x40
	s_mov_b32 s16, exec_lo
	s_wait_xcnt 0x0
	v_cmpx_gt_u32_e32 8, v2
; %bb.366:                              ;   in Loop: Header=BB224_10 Depth=1
	s_delay_alu instid0(VALU_DEP_2) | instskip(NEXT) | instid1(VALU_DEP_1)
	v_clz_i32_u32_e32 v1, v4
	v_min_u32_e32 v1, 32, v1
	s_delay_alu instid0(VALU_DEP_1) | instskip(NEXT) | instid1(VALU_DEP_1)
	v_subrev_nc_u32_e32 v2, 28, v1
	v_lshlrev_b64_e32 v[2:3], v2, v[4:5]
	s_delay_alu instid0(VALU_DEP_1)
	v_dual_sub_nc_u32 v1, 29, v1 :: v_dual_bitop2_b32 v4, 7, v2 bitop3:0x40
; %bb.367:                              ;   in Loop: Header=BB224_10 Depth=1
	s_or_b32 exec_lo, exec_lo, s16
	v_lshlrev_b32_e32 v2, 24, v0
	s_delay_alu instid0(VALU_DEP_2) | instskip(NEXT) | instid1(VALU_DEP_3)
	v_lshlrev_b32_e32 v3, 20, v4
	v_lshl_add_u32 v1, v1, 23, 0x3c000000
	s_delay_alu instid0(VALU_DEP_3) | instskip(NEXT) | instid1(VALU_DEP_1)
	v_and_b32_e32 v2, 0x80000000, v2
	v_or3_b32 v4, v3, v2, v1
	v_mov_b32_e32 v1, v5
	s_clause 0x1
	scratch_store_b64 off, v[0:1], s32 offset:192
	scratch_store_b64 off, v[4:5], s32 offset:564
.LBB224_368:                            ;   in Loop: Header=BB224_10 Depth=1
	s_wait_xcnt 0x0
	s_or_b32 exec_lo, exec_lo, s11
.LBB224_369:                            ;   in Loop: Header=BB224_10 Depth=1
	s_delay_alu instid0(SALU_CYCLE_1)
	s_or_b32 exec_lo, exec_lo, s9
.LBB224_370:                            ;   in Loop: Header=BB224_10 Depth=1
	s_delay_alu instid0(SALU_CYCLE_1) | instskip(SKIP_2) | instid1(VALU_DEP_1)
	s_or_b32 exec_lo, exec_lo, s8
	v_lshrrev_b16 v1, 8, v0
	s_mov_b32 s8, exec_lo
	v_cmpx_ne_u16_e32 0, v1
	s_cbranch_execz .LBB224_378
; %bb.371:                              ;   in Loop: Header=BB224_10 Depth=1
	v_mov_b64_e32 v[2:3], 0x8000000000000000
	s_mov_b32 s9, exec_lo
	scratch_store_b64 off, v[2:3], s32 offset:556 ; 8-byte Folded Spill
	s_wait_xcnt 0x0
	v_cmpx_ne_u16_e32 0x80, v1
	s_cbranch_execz .LBB224_377
; %bb.372:                              ;   in Loop: Header=BB224_10 Depth=1
	v_and_b32_e32 v1, 0xffff, v1
	v_mov_b64_e32 v[4:5], 0x7f80000100000000
	s_mov_b32 s11, exec_lo
	s_delay_alu instid0(VALU_DEP_2)
	v_and_b32_e32 v2, 0x7f, v1
	scratch_store_b64 off, v[4:5], s32 offset:556 ; 8-byte Folded Spill
	s_wait_xcnt 0x0
	v_cmpx_ne_u32_e32 0x7f, v2
	s_cbranch_execz .LBB224_376
; %bb.373:                              ;   in Loop: Header=BB224_10 Depth=1
	scratch_load_b64 v[4:5], off, s32 offset:192 th:TH_LOAD_LU ; 8-byte Folded Reload
	s_wait_loadcnt 0x0
	v_dual_lshrrev_b32 v1, 3, v2 :: v_dual_bitop2_b32 v4, 7, v1 bitop3:0x40
	s_mov_b32 s16, exec_lo
	s_wait_xcnt 0x0
	v_cmpx_gt_u32_e32 8, v2
; %bb.374:                              ;   in Loop: Header=BB224_10 Depth=1
	s_delay_alu instid0(VALU_DEP_2) | instskip(NEXT) | instid1(VALU_DEP_1)
	v_clz_i32_u32_e32 v1, v4
	v_min_u32_e32 v1, 32, v1
	s_delay_alu instid0(VALU_DEP_1) | instskip(NEXT) | instid1(VALU_DEP_1)
	v_subrev_nc_u32_e32 v2, 28, v1
	v_lshlrev_b64_e32 v[2:3], v2, v[4:5]
	s_delay_alu instid0(VALU_DEP_1)
	v_dual_sub_nc_u32 v1, 29, v1 :: v_dual_bitop2_b32 v4, 7, v2 bitop3:0x40
; %bb.375:                              ;   in Loop: Header=BB224_10 Depth=1
	s_or_b32 exec_lo, exec_lo, s16
	v_lshlrev_b32_e32 v2, 16, v0
	s_delay_alu instid0(VALU_DEP_2) | instskip(NEXT) | instid1(VALU_DEP_3)
	v_lshlrev_b32_e32 v3, 20, v4
	v_lshl_add_u32 v1, v1, 23, 0x3c000000
	s_delay_alu instid0(VALU_DEP_3) | instskip(NEXT) | instid1(VALU_DEP_1)
	v_and_b32_e32 v2, 0x80000000, v2
	v_or3_b32 v3, v3, v2, v1
	v_dual_mov_b32 v1, v5 :: v_dual_mov_b32 v2, v5
	s_clause 0x1
	scratch_store_b64 off, v[0:1], s32 offset:192
	scratch_store_b64 off, v[2:3], s32 offset:556
.LBB224_376:                            ;   in Loop: Header=BB224_10 Depth=1
	s_wait_xcnt 0x0
	s_or_b32 exec_lo, exec_lo, s11
.LBB224_377:                            ;   in Loop: Header=BB224_10 Depth=1
	s_delay_alu instid0(SALU_CYCLE_1)
	s_or_b32 exec_lo, exec_lo, s9
.LBB224_378:                            ;   in Loop: Header=BB224_10 Depth=1
	s_delay_alu instid0(SALU_CYCLE_1) | instskip(SKIP_3) | instid1(VALU_DEP_1)
	s_or_b32 exec_lo, exec_lo, s8
	v_mov_b64_e32 v[4:5], 0
	v_lshrrev_b32_e32 v1, 16, v0
	s_mov_b32 s8, exec_lo
	v_and_b32_e32 v2, 0xff, v1
	scratch_store_b64 off, v[4:5], s32 offset:572 ; 8-byte Folded Spill
	s_wait_xcnt 0x0
	v_mov_b64_e32 v[4:5], 0
	scratch_store_b64 off, v[4:5], s32 offset:580 ; 8-byte Folded Spill
	s_wait_xcnt 0x0
	v_cmpx_ne_u16_e32 0, v2
	s_cbranch_execz .LBB224_386
; %bb.379:                              ;   in Loop: Header=BB224_10 Depth=1
	v_cmp_ne_u16_e64 s1, 0x80, v2
	v_mov_b64_e32 v[2:3], 0x80000000
	scratch_store_b64 off, v[2:3], s32 offset:580 ; 8-byte Folded Spill
	s_wait_xcnt 0x0
	s_and_saveexec_b32 s9, s1
	s_cbranch_execz .LBB224_385
; %bb.380:                              ;   in Loop: Header=BB224_10 Depth=1
	v_mov_b64_e32 v[4:5], 0x7f800001
	v_bfe_u32 v3, v0, 16, 7
	s_mov_b32 s11, exec_lo
	scratch_store_b64 off, v[4:5], s32 offset:580 ; 8-byte Folded Spill
	s_wait_xcnt 0x0
	v_cmpx_ne_u32_e32 0x7f, v3
	s_cbranch_execz .LBB224_384
; %bb.381:                              ;   in Loop: Header=BB224_10 Depth=1
	scratch_load_b64 v[6:7], off, s32 offset:192 th:TH_LOAD_LU ; 8-byte Folded Reload
	s_wait_loadcnt 0x0
	v_dual_lshrrev_b32 v2, 3, v3 :: v_dual_bitop2_b32 v6, 7, v1 bitop3:0x40
	s_mov_b32 s16, exec_lo
	s_wait_xcnt 0x0
	v_cmpx_gt_u32_e32 8, v3
; %bb.382:                              ;   in Loop: Header=BB224_10 Depth=1
	s_delay_alu instid0(VALU_DEP_2) | instskip(NEXT) | instid1(VALU_DEP_1)
	v_clz_i32_u32_e32 v2, v6
	v_min_u32_e32 v2, 32, v2
	s_delay_alu instid0(VALU_DEP_1) | instskip(NEXT) | instid1(VALU_DEP_1)
	v_subrev_nc_u32_e32 v3, 28, v2
	v_lshlrev_b64_e32 v[4:5], v3, v[6:7]
	s_delay_alu instid0(VALU_DEP_1)
	v_dual_sub_nc_u32 v2, 29, v2 :: v_dual_bitop2_b32 v6, 7, v4 bitop3:0x40
; %bb.383:                              ;   in Loop: Header=BB224_10 Depth=1
	s_or_b32 exec_lo, exec_lo, s16
	s_delay_alu instid0(VALU_DEP_1) | instskip(NEXT) | instid1(VALU_DEP_2)
	v_dual_lshlrev_b32 v1, 24, v1 :: v_dual_lshlrev_b32 v3, 20, v6
	v_lshl_add_u32 v2, v2, 23, 0x3c000000
	s_delay_alu instid0(VALU_DEP_2) | instskip(NEXT) | instid1(VALU_DEP_1)
	v_and_b32_e32 v1, 0x80000000, v1
	v_or3_b32 v6, v3, v1, v2
	v_mov_b32_e32 v1, v7
	s_clause 0x1
	scratch_store_b64 off, v[0:1], s32 offset:192
	scratch_store_b64 off, v[6:7], s32 offset:580
.LBB224_384:                            ;   in Loop: Header=BB224_10 Depth=1
	s_wait_xcnt 0x0
	s_or_b32 exec_lo, exec_lo, s11
.LBB224_385:                            ;   in Loop: Header=BB224_10 Depth=1
	s_delay_alu instid0(SALU_CYCLE_1)
	s_or_b32 exec_lo, exec_lo, s9
.LBB224_386:                            ;   in Loop: Header=BB224_10 Depth=1
	s_delay_alu instid0(SALU_CYCLE_1) | instskip(NEXT) | instid1(SALU_CYCLE_1)
	s_or_b32 exec_lo, exec_lo, s8
	s_mov_b32 s8, exec_lo
	v_cmpx_lt_u32_e32 0xffffff, v0
	s_cbranch_execz .LBB224_394
; %bb.387:                              ;   in Loop: Header=BB224_10 Depth=1
	v_mov_b64_e32 v[2:3], 0x8000000000000000
	v_lshrrev_b32_e32 v1, 24, v0
	s_mov_b32 s9, exec_lo
	scratch_store_b64 off, v[2:3], s32 offset:572 ; 8-byte Folded Spill
	s_wait_xcnt 0x0
	v_cmpx_ne_u32_e32 0x80, v1
	s_cbranch_execz .LBB224_393
; %bb.388:                              ;   in Loop: Header=BB224_10 Depth=1
	v_mov_b64_e32 v[4:5], 0x7f80000100000000
	v_bfe_u32 v2, v0, 24, 7
	s_mov_b32 s11, exec_lo
	scratch_store_b64 off, v[4:5], s32 offset:572 ; 8-byte Folded Spill
	s_wait_xcnt 0x0
	v_cmpx_ne_u32_e32 0x7f, v2
	s_cbranch_execz .LBB224_392
; %bb.389:                              ;   in Loop: Header=BB224_10 Depth=1
	scratch_load_b64 v[4:5], off, s32 offset:192 th:TH_LOAD_LU ; 8-byte Folded Reload
	s_wait_loadcnt 0x0
	v_dual_lshrrev_b32 v0, 3, v2 :: v_dual_bitop2_b32 v4, 7, v1 bitop3:0x40
	v_cmp_gt_u32_e64 s1, 8, v2
	s_delay_alu instid0(VALU_DEP_2)
	v_mov_b64_e32 v[2:3], v[4:5]
	s_wait_xcnt 0x0
	s_and_saveexec_b32 s16, s1
	s_cbranch_execz .LBB224_391
; %bb.390:                              ;   in Loop: Header=BB224_10 Depth=1
	s_delay_alu instid0(VALU_DEP_1) | instskip(NEXT) | instid1(VALU_DEP_2)
	v_clz_i32_u32_e32 v0, v2
	v_mov_b64_e32 v[4:5], v[2:3]
	s_delay_alu instid0(VALU_DEP_2) | instskip(NEXT) | instid1(VALU_DEP_1)
	v_min_u32_e32 v0, 32, v0
	v_subrev_nc_u32_e32 v2, 28, v0
	s_delay_alu instid0(VALU_DEP_1) | instskip(NEXT) | instid1(VALU_DEP_1)
	v_lshlrev_b64_e32 v[2:3], v2, v[4:5]
	v_dual_sub_nc_u32 v0, 29, v0 :: v_dual_bitop2_b32 v4, 7, v2 bitop3:0x40
	s_delay_alu instid0(VALU_DEP_1)
	v_mov_b64_e32 v[2:3], v[4:5]
.LBB224_391:                            ;   in Loop: Header=BB224_10 Depth=1
	s_or_b32 exec_lo, exec_lo, s16
	s_delay_alu instid0(VALU_DEP_1) | instskip(NEXT) | instid1(VALU_DEP_3)
	v_dual_lshlrev_b32 v1, 24, v1 :: v_dual_lshlrev_b32 v2, 20, v2
	v_lshl_add_u32 v0, v0, 23, 0x3c000000
	s_delay_alu instid0(VALU_DEP_3) | instskip(NEXT) | instid1(VALU_DEP_3)
	v_mov_b32_e32 v4, v3
	v_and_b32_e32 v1, 0x80000000, v1
	s_delay_alu instid0(VALU_DEP_1)
	v_or3_b32 v5, v2, v1, v0
	v_mov_b32_e32 v1, v3
	s_clause 0x1
	scratch_store_b64 off, v[4:5], s32 offset:572
	scratch_store_b64 off, v[0:1], s32 offset:192
.LBB224_392:                            ;   in Loop: Header=BB224_10 Depth=1
	s_wait_xcnt 0x0
	s_or_b32 exec_lo, exec_lo, s11
.LBB224_393:                            ;   in Loop: Header=BB224_10 Depth=1
	s_delay_alu instid0(SALU_CYCLE_1)
	s_or_b32 exec_lo, exec_lo, s9
.LBB224_394:                            ;   in Loop: Header=BB224_10 Depth=1
	s_delay_alu instid0(SALU_CYCLE_1)
	s_or_b32 exec_lo, exec_lo, s8
	flat_load_b32 v0, v[26:27] offset:1536
	v_mov_b64_e32 v[2:3], 0
	s_mov_b32 s8, exec_lo
	scratch_store_b64 off, v[2:3], s32 offset:588 ; 8-byte Folded Spill
	s_wait_xcnt 0x0
	v_mov_b64_e32 v[2:3], 0
	scratch_store_b64 off, v[2:3], s32 offset:596 ; 8-byte Folded Spill
	s_wait_loadcnt_dscnt 0x0
	v_and_b32_e32 v1, 0xff, v0
	s_wait_xcnt 0x0
	s_delay_alu instid0(VALU_DEP_1)
	v_cmpx_ne_u16_e32 0, v1
	s_cbranch_execz .LBB224_402
; %bb.395:                              ;   in Loop: Header=BB224_10 Depth=1
	v_mov_b64_e32 v[2:3], 0x80000000
	s_mov_b32 s9, exec_lo
	scratch_store_b64 off, v[2:3], s32 offset:596 ; 8-byte Folded Spill
	s_wait_xcnt 0x0
	v_cmpx_ne_u16_e32 0x80, v1
	s_cbranch_execz .LBB224_401
; %bb.396:                              ;   in Loop: Header=BB224_10 Depth=1
	v_mov_b64_e32 v[4:5], 0x7f800001
	v_and_b32_e32 v2, 0x7f, v0
	s_mov_b32 s11, exec_lo
	scratch_store_b64 off, v[4:5], s32 offset:596 ; 8-byte Folded Spill
	s_wait_xcnt 0x0
	v_cmpx_ne_u32_e32 0x7f, v2
	s_cbranch_execz .LBB224_400
; %bb.397:                              ;   in Loop: Header=BB224_10 Depth=1
	scratch_load_b64 v[4:5], off, s32 offset:192 th:TH_LOAD_LU ; 8-byte Folded Reload
	s_wait_loadcnt 0x0
	v_dual_lshrrev_b32 v1, 3, v2 :: v_dual_bitop2_b32 v4, 7, v0 bitop3:0x40
	s_mov_b32 s16, exec_lo
	s_wait_xcnt 0x0
	v_cmpx_gt_u32_e32 8, v2
; %bb.398:                              ;   in Loop: Header=BB224_10 Depth=1
	s_delay_alu instid0(VALU_DEP_2) | instskip(NEXT) | instid1(VALU_DEP_1)
	v_clz_i32_u32_e32 v1, v4
	v_min_u32_e32 v1, 32, v1
	s_delay_alu instid0(VALU_DEP_1) | instskip(NEXT) | instid1(VALU_DEP_1)
	v_subrev_nc_u32_e32 v2, 28, v1
	v_lshlrev_b64_e32 v[2:3], v2, v[4:5]
	s_delay_alu instid0(VALU_DEP_1)
	v_dual_sub_nc_u32 v1, 29, v1 :: v_dual_bitop2_b32 v4, 7, v2 bitop3:0x40
; %bb.399:                              ;   in Loop: Header=BB224_10 Depth=1
	s_or_b32 exec_lo, exec_lo, s16
	v_lshlrev_b32_e32 v2, 24, v0
	s_delay_alu instid0(VALU_DEP_2) | instskip(NEXT) | instid1(VALU_DEP_3)
	v_lshlrev_b32_e32 v3, 20, v4
	v_lshl_add_u32 v1, v1, 23, 0x3c000000
	s_delay_alu instid0(VALU_DEP_3) | instskip(NEXT) | instid1(VALU_DEP_1)
	v_and_b32_e32 v2, 0x80000000, v2
	v_or3_b32 v4, v3, v2, v1
	v_mov_b32_e32 v1, v5
	s_clause 0x1
	scratch_store_b64 off, v[0:1], s32 offset:192
	scratch_store_b64 off, v[4:5], s32 offset:596
.LBB224_400:                            ;   in Loop: Header=BB224_10 Depth=1
	s_wait_xcnt 0x0
	s_or_b32 exec_lo, exec_lo, s11
.LBB224_401:                            ;   in Loop: Header=BB224_10 Depth=1
	s_delay_alu instid0(SALU_CYCLE_1)
	s_or_b32 exec_lo, exec_lo, s9
.LBB224_402:                            ;   in Loop: Header=BB224_10 Depth=1
	s_delay_alu instid0(SALU_CYCLE_1) | instskip(SKIP_2) | instid1(VALU_DEP_1)
	s_or_b32 exec_lo, exec_lo, s8
	v_lshrrev_b16 v1, 8, v0
	s_mov_b32 s8, exec_lo
	v_cmpx_ne_u16_e32 0, v1
	s_cbranch_execz .LBB224_410
; %bb.403:                              ;   in Loop: Header=BB224_10 Depth=1
	v_mov_b64_e32 v[2:3], 0x8000000000000000
	s_mov_b32 s9, exec_lo
	scratch_store_b64 off, v[2:3], s32 offset:588 ; 8-byte Folded Spill
	s_wait_xcnt 0x0
	v_cmpx_ne_u16_e32 0x80, v1
	s_cbranch_execz .LBB224_409
; %bb.404:                              ;   in Loop: Header=BB224_10 Depth=1
	v_and_b32_e32 v1, 0xffff, v1
	v_mov_b64_e32 v[4:5], 0x7f80000100000000
	s_mov_b32 s11, exec_lo
	s_delay_alu instid0(VALU_DEP_2)
	v_and_b32_e32 v2, 0x7f, v1
	scratch_store_b64 off, v[4:5], s32 offset:588 ; 8-byte Folded Spill
	s_wait_xcnt 0x0
	v_cmpx_ne_u32_e32 0x7f, v2
	s_cbranch_execz .LBB224_408
; %bb.405:                              ;   in Loop: Header=BB224_10 Depth=1
	scratch_load_b64 v[4:5], off, s32 offset:192 th:TH_LOAD_LU ; 8-byte Folded Reload
	s_wait_loadcnt 0x0
	v_dual_lshrrev_b32 v1, 3, v2 :: v_dual_bitop2_b32 v4, 7, v1 bitop3:0x40
	s_mov_b32 s16, exec_lo
	s_wait_xcnt 0x0
	v_cmpx_gt_u32_e32 8, v2
; %bb.406:                              ;   in Loop: Header=BB224_10 Depth=1
	s_delay_alu instid0(VALU_DEP_2) | instskip(NEXT) | instid1(VALU_DEP_1)
	v_clz_i32_u32_e32 v1, v4
	v_min_u32_e32 v1, 32, v1
	s_delay_alu instid0(VALU_DEP_1) | instskip(NEXT) | instid1(VALU_DEP_1)
	v_subrev_nc_u32_e32 v2, 28, v1
	v_lshlrev_b64_e32 v[2:3], v2, v[4:5]
	s_delay_alu instid0(VALU_DEP_1)
	v_dual_sub_nc_u32 v1, 29, v1 :: v_dual_bitop2_b32 v4, 7, v2 bitop3:0x40
; %bb.407:                              ;   in Loop: Header=BB224_10 Depth=1
	s_or_b32 exec_lo, exec_lo, s16
	v_lshlrev_b32_e32 v2, 16, v0
	s_delay_alu instid0(VALU_DEP_2) | instskip(NEXT) | instid1(VALU_DEP_3)
	v_lshlrev_b32_e32 v3, 20, v4
	v_lshl_add_u32 v1, v1, 23, 0x3c000000
	s_delay_alu instid0(VALU_DEP_3) | instskip(NEXT) | instid1(VALU_DEP_1)
	v_and_b32_e32 v2, 0x80000000, v2
	v_or3_b32 v3, v3, v2, v1
	v_dual_mov_b32 v1, v5 :: v_dual_mov_b32 v2, v5
	s_clause 0x1
	scratch_store_b64 off, v[0:1], s32 offset:192
	scratch_store_b64 off, v[2:3], s32 offset:588
.LBB224_408:                            ;   in Loop: Header=BB224_10 Depth=1
	s_wait_xcnt 0x0
	s_or_b32 exec_lo, exec_lo, s11
.LBB224_409:                            ;   in Loop: Header=BB224_10 Depth=1
	s_delay_alu instid0(SALU_CYCLE_1)
	s_or_b32 exec_lo, exec_lo, s9
.LBB224_410:                            ;   in Loop: Header=BB224_10 Depth=1
	s_delay_alu instid0(SALU_CYCLE_1) | instskip(SKIP_3) | instid1(VALU_DEP_1)
	s_or_b32 exec_lo, exec_lo, s8
	v_mov_b64_e32 v[4:5], 0
	v_lshrrev_b32_e32 v1, 16, v0
	s_mov_b32 s8, exec_lo
	v_and_b32_e32 v2, 0xff, v1
	scratch_store_b64 off, v[4:5], s32 offset:604 ; 8-byte Folded Spill
	s_wait_xcnt 0x0
	v_mov_b64_e32 v[4:5], 0
	scratch_store_b64 off, v[4:5], s32 offset:612 ; 8-byte Folded Spill
	s_wait_xcnt 0x0
	v_cmpx_ne_u16_e32 0, v2
	s_cbranch_execz .LBB224_418
; %bb.411:                              ;   in Loop: Header=BB224_10 Depth=1
	v_cmp_ne_u16_e64 s1, 0x80, v2
	v_mov_b64_e32 v[2:3], 0x80000000
	scratch_store_b64 off, v[2:3], s32 offset:612 ; 8-byte Folded Spill
	s_wait_xcnt 0x0
	s_and_saveexec_b32 s9, s1
	s_cbranch_execz .LBB224_417
; %bb.412:                              ;   in Loop: Header=BB224_10 Depth=1
	v_mov_b64_e32 v[4:5], 0x7f800001
	v_bfe_u32 v3, v0, 16, 7
	s_mov_b32 s11, exec_lo
	scratch_store_b64 off, v[4:5], s32 offset:612 ; 8-byte Folded Spill
	s_wait_xcnt 0x0
	v_cmpx_ne_u32_e32 0x7f, v3
	s_cbranch_execz .LBB224_416
; %bb.413:                              ;   in Loop: Header=BB224_10 Depth=1
	scratch_load_b64 v[6:7], off, s32 offset:192 th:TH_LOAD_LU ; 8-byte Folded Reload
	s_wait_loadcnt 0x0
	v_dual_lshrrev_b32 v2, 3, v3 :: v_dual_bitop2_b32 v6, 7, v1 bitop3:0x40
	s_mov_b32 s16, exec_lo
	s_wait_xcnt 0x0
	v_cmpx_gt_u32_e32 8, v3
; %bb.414:                              ;   in Loop: Header=BB224_10 Depth=1
	s_delay_alu instid0(VALU_DEP_2) | instskip(NEXT) | instid1(VALU_DEP_1)
	v_clz_i32_u32_e32 v2, v6
	v_min_u32_e32 v2, 32, v2
	s_delay_alu instid0(VALU_DEP_1) | instskip(NEXT) | instid1(VALU_DEP_1)
	v_subrev_nc_u32_e32 v3, 28, v2
	v_lshlrev_b64_e32 v[4:5], v3, v[6:7]
	s_delay_alu instid0(VALU_DEP_1)
	v_dual_sub_nc_u32 v2, 29, v2 :: v_dual_bitop2_b32 v6, 7, v4 bitop3:0x40
; %bb.415:                              ;   in Loop: Header=BB224_10 Depth=1
	s_or_b32 exec_lo, exec_lo, s16
	s_delay_alu instid0(VALU_DEP_1) | instskip(NEXT) | instid1(VALU_DEP_2)
	v_dual_lshlrev_b32 v1, 24, v1 :: v_dual_lshlrev_b32 v3, 20, v6
	v_lshl_add_u32 v2, v2, 23, 0x3c000000
	s_delay_alu instid0(VALU_DEP_2) | instskip(NEXT) | instid1(VALU_DEP_1)
	v_and_b32_e32 v1, 0x80000000, v1
	v_or3_b32 v6, v3, v1, v2
	v_mov_b32_e32 v1, v7
	s_clause 0x1
	scratch_store_b64 off, v[0:1], s32 offset:192
	scratch_store_b64 off, v[6:7], s32 offset:612
.LBB224_416:                            ;   in Loop: Header=BB224_10 Depth=1
	s_wait_xcnt 0x0
	s_or_b32 exec_lo, exec_lo, s11
.LBB224_417:                            ;   in Loop: Header=BB224_10 Depth=1
	s_delay_alu instid0(SALU_CYCLE_1)
	s_or_b32 exec_lo, exec_lo, s9
.LBB224_418:                            ;   in Loop: Header=BB224_10 Depth=1
	s_delay_alu instid0(SALU_CYCLE_1) | instskip(NEXT) | instid1(SALU_CYCLE_1)
	s_or_b32 exec_lo, exec_lo, s8
	s_mov_b32 s8, exec_lo
	v_cmpx_lt_u32_e32 0xffffff, v0
	s_cbranch_execz .LBB224_426
; %bb.419:                              ;   in Loop: Header=BB224_10 Depth=1
	v_mov_b64_e32 v[2:3], 0x8000000000000000
	v_lshrrev_b32_e32 v1, 24, v0
	s_mov_b32 s9, exec_lo
	scratch_store_b64 off, v[2:3], s32 offset:604 ; 8-byte Folded Spill
	s_wait_xcnt 0x0
	v_cmpx_ne_u32_e32 0x80, v1
	s_cbranch_execz .LBB224_425
; %bb.420:                              ;   in Loop: Header=BB224_10 Depth=1
	v_mov_b64_e32 v[4:5], 0x7f80000100000000
	v_bfe_u32 v2, v0, 24, 7
	s_mov_b32 s11, exec_lo
	scratch_store_b64 off, v[4:5], s32 offset:604 ; 8-byte Folded Spill
	s_wait_xcnt 0x0
	v_cmpx_ne_u32_e32 0x7f, v2
	s_cbranch_execz .LBB224_424
; %bb.421:                              ;   in Loop: Header=BB224_10 Depth=1
	scratch_load_b64 v[4:5], off, s32 offset:192 th:TH_LOAD_LU ; 8-byte Folded Reload
	s_wait_loadcnt 0x0
	v_dual_lshrrev_b32 v0, 3, v2 :: v_dual_bitop2_b32 v4, 7, v1 bitop3:0x40
	v_cmp_gt_u32_e64 s1, 8, v2
	s_delay_alu instid0(VALU_DEP_2)
	v_mov_b64_e32 v[2:3], v[4:5]
	s_wait_xcnt 0x0
	s_and_saveexec_b32 s16, s1
	s_cbranch_execz .LBB224_423
; %bb.422:                              ;   in Loop: Header=BB224_10 Depth=1
	s_delay_alu instid0(VALU_DEP_1) | instskip(NEXT) | instid1(VALU_DEP_2)
	v_clz_i32_u32_e32 v0, v2
	v_mov_b64_e32 v[4:5], v[2:3]
	s_delay_alu instid0(VALU_DEP_2) | instskip(NEXT) | instid1(VALU_DEP_1)
	v_min_u32_e32 v0, 32, v0
	v_subrev_nc_u32_e32 v2, 28, v0
	s_delay_alu instid0(VALU_DEP_1) | instskip(NEXT) | instid1(VALU_DEP_1)
	v_lshlrev_b64_e32 v[2:3], v2, v[4:5]
	v_dual_sub_nc_u32 v0, 29, v0 :: v_dual_bitop2_b32 v4, 7, v2 bitop3:0x40
	s_delay_alu instid0(VALU_DEP_1)
	v_mov_b64_e32 v[2:3], v[4:5]
.LBB224_423:                            ;   in Loop: Header=BB224_10 Depth=1
	s_or_b32 exec_lo, exec_lo, s16
	s_delay_alu instid0(VALU_DEP_1) | instskip(NEXT) | instid1(VALU_DEP_3)
	v_dual_lshlrev_b32 v1, 24, v1 :: v_dual_lshlrev_b32 v2, 20, v2
	v_lshl_add_u32 v0, v0, 23, 0x3c000000
	s_delay_alu instid0(VALU_DEP_3) | instskip(NEXT) | instid1(VALU_DEP_3)
	v_mov_b32_e32 v4, v3
	v_and_b32_e32 v1, 0x80000000, v1
	s_delay_alu instid0(VALU_DEP_1)
	v_or3_b32 v5, v2, v1, v0
	v_mov_b32_e32 v1, v3
	s_clause 0x1
	scratch_store_b64 off, v[4:5], s32 offset:604
	scratch_store_b64 off, v[0:1], s32 offset:192
.LBB224_424:                            ;   in Loop: Header=BB224_10 Depth=1
	s_wait_xcnt 0x0
	s_or_b32 exec_lo, exec_lo, s11
.LBB224_425:                            ;   in Loop: Header=BB224_10 Depth=1
	s_delay_alu instid0(SALU_CYCLE_1)
	s_or_b32 exec_lo, exec_lo, s9
.LBB224_426:                            ;   in Loop: Header=BB224_10 Depth=1
	s_delay_alu instid0(SALU_CYCLE_1)
	s_or_b32 exec_lo, exec_lo, s8
	flat_load_b32 v0, v[26:27] offset:1540
	v_mov_b64_e32 v[2:3], 0
	s_mov_b32 s8, exec_lo
	scratch_store_b64 off, v[2:3], s32 offset:620 ; 8-byte Folded Spill
	s_wait_xcnt 0x0
	v_mov_b64_e32 v[2:3], 0
	scratch_store_b64 off, v[2:3], s32 offset:628 ; 8-byte Folded Spill
	s_wait_loadcnt_dscnt 0x0
	v_and_b32_e32 v1, 0xff, v0
	s_wait_xcnt 0x0
	s_delay_alu instid0(VALU_DEP_1)
	v_cmpx_ne_u16_e32 0, v1
	s_cbranch_execz .LBB224_434
; %bb.427:                              ;   in Loop: Header=BB224_10 Depth=1
	v_mov_b64_e32 v[2:3], 0x80000000
	s_mov_b32 s9, exec_lo
	scratch_store_b64 off, v[2:3], s32 offset:628 ; 8-byte Folded Spill
	s_wait_xcnt 0x0
	v_cmpx_ne_u16_e32 0x80, v1
	s_cbranch_execz .LBB224_433
; %bb.428:                              ;   in Loop: Header=BB224_10 Depth=1
	v_mov_b64_e32 v[4:5], 0x7f800001
	v_and_b32_e32 v2, 0x7f, v0
	s_mov_b32 s11, exec_lo
	scratch_store_b64 off, v[4:5], s32 offset:628 ; 8-byte Folded Spill
	s_wait_xcnt 0x0
	v_cmpx_ne_u32_e32 0x7f, v2
	s_cbranch_execz .LBB224_432
; %bb.429:                              ;   in Loop: Header=BB224_10 Depth=1
	scratch_load_b64 v[4:5], off, s32 offset:192 th:TH_LOAD_LU ; 8-byte Folded Reload
	s_wait_loadcnt 0x0
	v_dual_lshrrev_b32 v1, 3, v2 :: v_dual_bitop2_b32 v4, 7, v0 bitop3:0x40
	s_mov_b32 s16, exec_lo
	s_wait_xcnt 0x0
	v_cmpx_gt_u32_e32 8, v2
; %bb.430:                              ;   in Loop: Header=BB224_10 Depth=1
	s_delay_alu instid0(VALU_DEP_2) | instskip(NEXT) | instid1(VALU_DEP_1)
	v_clz_i32_u32_e32 v1, v4
	v_min_u32_e32 v1, 32, v1
	s_delay_alu instid0(VALU_DEP_1) | instskip(NEXT) | instid1(VALU_DEP_1)
	v_subrev_nc_u32_e32 v2, 28, v1
	v_lshlrev_b64_e32 v[2:3], v2, v[4:5]
	s_delay_alu instid0(VALU_DEP_1)
	v_dual_sub_nc_u32 v1, 29, v1 :: v_dual_bitop2_b32 v4, 7, v2 bitop3:0x40
; %bb.431:                              ;   in Loop: Header=BB224_10 Depth=1
	s_or_b32 exec_lo, exec_lo, s16
	v_lshlrev_b32_e32 v2, 24, v0
	s_delay_alu instid0(VALU_DEP_2) | instskip(NEXT) | instid1(VALU_DEP_3)
	v_lshlrev_b32_e32 v3, 20, v4
	v_lshl_add_u32 v1, v1, 23, 0x3c000000
	s_delay_alu instid0(VALU_DEP_3) | instskip(NEXT) | instid1(VALU_DEP_1)
	v_and_b32_e32 v2, 0x80000000, v2
	v_or3_b32 v4, v3, v2, v1
	v_mov_b32_e32 v1, v5
	s_clause 0x1
	scratch_store_b64 off, v[0:1], s32 offset:192
	scratch_store_b64 off, v[4:5], s32 offset:628
.LBB224_432:                            ;   in Loop: Header=BB224_10 Depth=1
	s_wait_xcnt 0x0
	s_or_b32 exec_lo, exec_lo, s11
.LBB224_433:                            ;   in Loop: Header=BB224_10 Depth=1
	s_delay_alu instid0(SALU_CYCLE_1)
	s_or_b32 exec_lo, exec_lo, s9
.LBB224_434:                            ;   in Loop: Header=BB224_10 Depth=1
	s_delay_alu instid0(SALU_CYCLE_1) | instskip(SKIP_2) | instid1(VALU_DEP_1)
	s_or_b32 exec_lo, exec_lo, s8
	v_lshrrev_b16 v1, 8, v0
	s_mov_b32 s8, exec_lo
	v_cmpx_ne_u16_e32 0, v1
	s_cbranch_execz .LBB224_442
; %bb.435:                              ;   in Loop: Header=BB224_10 Depth=1
	v_mov_b64_e32 v[2:3], 0x8000000000000000
	s_mov_b32 s9, exec_lo
	scratch_store_b64 off, v[2:3], s32 offset:620 ; 8-byte Folded Spill
	s_wait_xcnt 0x0
	v_cmpx_ne_u16_e32 0x80, v1
	s_cbranch_execz .LBB224_441
; %bb.436:                              ;   in Loop: Header=BB224_10 Depth=1
	v_and_b32_e32 v1, 0xffff, v1
	v_mov_b64_e32 v[4:5], 0x7f80000100000000
	s_mov_b32 s11, exec_lo
	s_delay_alu instid0(VALU_DEP_2)
	v_and_b32_e32 v2, 0x7f, v1
	scratch_store_b64 off, v[4:5], s32 offset:620 ; 8-byte Folded Spill
	s_wait_xcnt 0x0
	v_cmpx_ne_u32_e32 0x7f, v2
	s_cbranch_execz .LBB224_440
; %bb.437:                              ;   in Loop: Header=BB224_10 Depth=1
	scratch_load_b64 v[4:5], off, s32 offset:192 th:TH_LOAD_LU ; 8-byte Folded Reload
	s_wait_loadcnt 0x0
	v_dual_lshrrev_b32 v1, 3, v2 :: v_dual_bitop2_b32 v4, 7, v1 bitop3:0x40
	s_mov_b32 s16, exec_lo
	s_wait_xcnt 0x0
	v_cmpx_gt_u32_e32 8, v2
; %bb.438:                              ;   in Loop: Header=BB224_10 Depth=1
	s_delay_alu instid0(VALU_DEP_2) | instskip(NEXT) | instid1(VALU_DEP_1)
	v_clz_i32_u32_e32 v1, v4
	v_min_u32_e32 v1, 32, v1
	s_delay_alu instid0(VALU_DEP_1) | instskip(NEXT) | instid1(VALU_DEP_1)
	v_subrev_nc_u32_e32 v2, 28, v1
	v_lshlrev_b64_e32 v[2:3], v2, v[4:5]
	s_delay_alu instid0(VALU_DEP_1)
	v_dual_sub_nc_u32 v1, 29, v1 :: v_dual_bitop2_b32 v4, 7, v2 bitop3:0x40
; %bb.439:                              ;   in Loop: Header=BB224_10 Depth=1
	s_or_b32 exec_lo, exec_lo, s16
	v_lshlrev_b32_e32 v2, 16, v0
	s_delay_alu instid0(VALU_DEP_2) | instskip(NEXT) | instid1(VALU_DEP_3)
	v_lshlrev_b32_e32 v3, 20, v4
	v_lshl_add_u32 v1, v1, 23, 0x3c000000
	s_delay_alu instid0(VALU_DEP_3) | instskip(NEXT) | instid1(VALU_DEP_1)
	v_and_b32_e32 v2, 0x80000000, v2
	v_or3_b32 v3, v3, v2, v1
	v_dual_mov_b32 v1, v5 :: v_dual_mov_b32 v2, v5
	s_clause 0x1
	scratch_store_b64 off, v[0:1], s32 offset:192
	scratch_store_b64 off, v[2:3], s32 offset:620
.LBB224_440:                            ;   in Loop: Header=BB224_10 Depth=1
	s_wait_xcnt 0x0
	s_or_b32 exec_lo, exec_lo, s11
.LBB224_441:                            ;   in Loop: Header=BB224_10 Depth=1
	s_delay_alu instid0(SALU_CYCLE_1)
	s_or_b32 exec_lo, exec_lo, s9
.LBB224_442:                            ;   in Loop: Header=BB224_10 Depth=1
	s_delay_alu instid0(SALU_CYCLE_1) | instskip(SKIP_3) | instid1(VALU_DEP_1)
	s_or_b32 exec_lo, exec_lo, s8
	v_mov_b64_e32 v[4:5], 0
	v_lshrrev_b32_e32 v1, 16, v0
	s_mov_b32 s8, exec_lo
	v_and_b32_e32 v2, 0xff, v1
	scratch_store_b64 off, v[4:5], s32 offset:636 ; 8-byte Folded Spill
	s_wait_xcnt 0x0
	v_mov_b64_e32 v[4:5], 0
	scratch_store_b64 off, v[4:5], s32 offset:644 ; 8-byte Folded Spill
	s_wait_xcnt 0x0
	v_cmpx_ne_u16_e32 0, v2
	s_cbranch_execz .LBB224_450
; %bb.443:                              ;   in Loop: Header=BB224_10 Depth=1
	v_cmp_ne_u16_e64 s1, 0x80, v2
	v_mov_b64_e32 v[2:3], 0x80000000
	scratch_store_b64 off, v[2:3], s32 offset:644 ; 8-byte Folded Spill
	s_wait_xcnt 0x0
	s_and_saveexec_b32 s9, s1
	s_cbranch_execz .LBB224_449
; %bb.444:                              ;   in Loop: Header=BB224_10 Depth=1
	v_mov_b64_e32 v[4:5], 0x7f800001
	v_bfe_u32 v3, v0, 16, 7
	s_mov_b32 s11, exec_lo
	scratch_store_b64 off, v[4:5], s32 offset:644 ; 8-byte Folded Spill
	s_wait_xcnt 0x0
	v_cmpx_ne_u32_e32 0x7f, v3
	s_cbranch_execz .LBB224_448
; %bb.445:                              ;   in Loop: Header=BB224_10 Depth=1
	scratch_load_b64 v[122:123], off, s32 offset:192 th:TH_LOAD_LU ; 8-byte Folded Reload
	s_wait_loadcnt 0x0
	v_dual_lshrrev_b32 v2, 3, v3 :: v_dual_bitop2_b32 v122, 7, v1 bitop3:0x40
	s_mov_b32 s16, exec_lo
	s_wait_xcnt 0x0
	v_cmpx_gt_u32_e32 8, v3
; %bb.446:                              ;   in Loop: Header=BB224_10 Depth=1
	s_delay_alu instid0(VALU_DEP_2) | instskip(NEXT) | instid1(VALU_DEP_1)
	v_clz_i32_u32_e32 v2, v122
	v_min_u32_e32 v2, 32, v2
	s_delay_alu instid0(VALU_DEP_1) | instskip(NEXT) | instid1(VALU_DEP_1)
	v_subrev_nc_u32_e32 v3, 28, v2
	v_lshlrev_b64_e32 v[4:5], v3, v[122:123]
	s_delay_alu instid0(VALU_DEP_1)
	v_dual_sub_nc_u32 v2, 29, v2 :: v_dual_bitop2_b32 v122, 7, v4 bitop3:0x40
; %bb.447:                              ;   in Loop: Header=BB224_10 Depth=1
	s_or_b32 exec_lo, exec_lo, s16
	s_delay_alu instid0(VALU_DEP_1) | instskip(NEXT) | instid1(VALU_DEP_2)
	v_dual_lshlrev_b32 v1, 24, v1 :: v_dual_lshlrev_b32 v3, 20, v122
	v_lshl_add_u32 v2, v2, 23, 0x3c000000
	s_delay_alu instid0(VALU_DEP_2) | instskip(NEXT) | instid1(VALU_DEP_1)
	v_and_b32_e32 v1, 0x80000000, v1
	v_or3_b32 v122, v3, v1, v2
	v_mov_b32_e32 v1, v123
	s_clause 0x1
	scratch_store_b64 off, v[0:1], s32 offset:192
	scratch_store_b64 off, v[122:123], s32 offset:644
.LBB224_448:                            ;   in Loop: Header=BB224_10 Depth=1
	s_wait_xcnt 0x0
	s_or_b32 exec_lo, exec_lo, s11
.LBB224_449:                            ;   in Loop: Header=BB224_10 Depth=1
	s_delay_alu instid0(SALU_CYCLE_1)
	s_or_b32 exec_lo, exec_lo, s9
.LBB224_450:                            ;   in Loop: Header=BB224_10 Depth=1
	s_delay_alu instid0(SALU_CYCLE_1) | instskip(NEXT) | instid1(SALU_CYCLE_1)
	s_or_b32 exec_lo, exec_lo, s8
	s_mov_b32 s8, exec_lo
	v_cmpx_lt_u32_e32 0xffffff, v0
	s_cbranch_execz .LBB224_458
; %bb.451:                              ;   in Loop: Header=BB224_10 Depth=1
	v_mov_b64_e32 v[2:3], 0x8000000000000000
	v_lshrrev_b32_e32 v1, 24, v0
	s_mov_b32 s9, exec_lo
	scratch_store_b64 off, v[2:3], s32 offset:636 ; 8-byte Folded Spill
	s_wait_xcnt 0x0
	v_cmpx_ne_u32_e32 0x80, v1
	s_cbranch_execz .LBB224_457
; %bb.452:                              ;   in Loop: Header=BB224_10 Depth=1
	v_mov_b64_e32 v[4:5], 0x7f80000100000000
	v_bfe_u32 v2, v0, 24, 7
	s_mov_b32 s11, exec_lo
	scratch_store_b64 off, v[4:5], s32 offset:636 ; 8-byte Folded Spill
	s_wait_xcnt 0x0
	v_cmpx_ne_u32_e32 0x7f, v2
	s_cbranch_execz .LBB224_456
; %bb.453:                              ;   in Loop: Header=BB224_10 Depth=1
	scratch_load_b64 v[4:5], off, s32 offset:192 th:TH_LOAD_LU ; 8-byte Folded Reload
	s_wait_loadcnt 0x0
	v_dual_lshrrev_b32 v0, 3, v2 :: v_dual_bitop2_b32 v4, 7, v1 bitop3:0x40
	v_cmp_gt_u32_e64 s1, 8, v2
	s_delay_alu instid0(VALU_DEP_2)
	v_mov_b64_e32 v[2:3], v[4:5]
	s_wait_xcnt 0x0
	s_and_saveexec_b32 s16, s1
	s_cbranch_execz .LBB224_455
; %bb.454:                              ;   in Loop: Header=BB224_10 Depth=1
	s_delay_alu instid0(VALU_DEP_1) | instskip(NEXT) | instid1(VALU_DEP_2)
	v_clz_i32_u32_e32 v0, v2
	v_mov_b64_e32 v[4:5], v[2:3]
	s_delay_alu instid0(VALU_DEP_2) | instskip(NEXT) | instid1(VALU_DEP_1)
	v_min_u32_e32 v0, 32, v0
	v_subrev_nc_u32_e32 v2, 28, v0
	s_delay_alu instid0(VALU_DEP_1) | instskip(NEXT) | instid1(VALU_DEP_1)
	v_lshlrev_b64_e32 v[2:3], v2, v[4:5]
	v_dual_sub_nc_u32 v0, 29, v0 :: v_dual_bitop2_b32 v4, 7, v2 bitop3:0x40
	s_delay_alu instid0(VALU_DEP_1)
	v_mov_b64_e32 v[2:3], v[4:5]
.LBB224_455:                            ;   in Loop: Header=BB224_10 Depth=1
	s_or_b32 exec_lo, exec_lo, s16
	s_delay_alu instid0(VALU_DEP_1) | instskip(NEXT) | instid1(VALU_DEP_3)
	v_dual_lshlrev_b32 v1, 24, v1 :: v_dual_lshlrev_b32 v2, 20, v2
	v_lshl_add_u32 v0, v0, 23, 0x3c000000
	s_delay_alu instid0(VALU_DEP_3) | instskip(NEXT) | instid1(VALU_DEP_3)
	v_mov_b32_e32 v4, v3
	v_and_b32_e32 v1, 0x80000000, v1
	s_delay_alu instid0(VALU_DEP_1)
	v_or3_b32 v5, v2, v1, v0
	v_mov_b32_e32 v1, v3
	s_clause 0x1
	scratch_store_b64 off, v[4:5], s32 offset:636
	scratch_store_b64 off, v[0:1], s32 offset:192
.LBB224_456:                            ;   in Loop: Header=BB224_10 Depth=1
	s_wait_xcnt 0x0
	s_or_b32 exec_lo, exec_lo, s11
.LBB224_457:                            ;   in Loop: Header=BB224_10 Depth=1
	s_delay_alu instid0(SALU_CYCLE_1)
	s_or_b32 exec_lo, exec_lo, s9
.LBB224_458:                            ;   in Loop: Header=BB224_10 Depth=1
	s_delay_alu instid0(SALU_CYCLE_1)
	s_or_b32 exec_lo, exec_lo, s8
	flat_load_b32 v0, v[26:27] offset:1544
	v_mov_b64_e32 v[124:125], 0
	v_mov_b64_e32 v[2:3], 0
	s_mov_b32 s8, exec_lo
	scratch_store_b64 off, v[2:3], s32 offset:652 ; 8-byte Folded Spill
	s_wait_loadcnt_dscnt 0x0
	v_and_b32_e32 v1, 0xff, v0
	s_wait_xcnt 0x0
	s_delay_alu instid0(VALU_DEP_1)
	v_cmpx_ne_u16_e32 0, v1
	s_cbranch_execz .LBB224_466
; %bb.459:                              ;   in Loop: Header=BB224_10 Depth=1
	v_mov_b64_e32 v[2:3], 0x80000000
	s_mov_b32 s9, exec_lo
	scratch_store_b64 off, v[2:3], s32 offset:652 ; 8-byte Folded Spill
	s_wait_xcnt 0x0
	v_cmpx_ne_u16_e32 0x80, v1
	s_cbranch_execz .LBB224_465
; %bb.460:                              ;   in Loop: Header=BB224_10 Depth=1
	v_mov_b64_e32 v[4:5], 0x7f800001
	v_and_b32_e32 v2, 0x7f, v0
	s_mov_b32 s11, exec_lo
	scratch_store_b64 off, v[4:5], s32 offset:652 ; 8-byte Folded Spill
	s_wait_xcnt 0x0
	v_cmpx_ne_u32_e32 0x7f, v2
	s_cbranch_execz .LBB224_464
; %bb.461:                              ;   in Loop: Header=BB224_10 Depth=1
	scratch_load_b64 v[126:127], off, s32 offset:192 th:TH_LOAD_LU ; 8-byte Folded Reload
	s_wait_loadcnt 0x0
	v_dual_lshrrev_b32 v1, 3, v2 :: v_dual_bitop2_b32 v126, 7, v0 bitop3:0x40
	s_mov_b32 s16, exec_lo
	s_wait_xcnt 0x0
	v_cmpx_gt_u32_e32 8, v2
; %bb.462:                              ;   in Loop: Header=BB224_10 Depth=1
	s_delay_alu instid0(VALU_DEP_2) | instskip(NEXT) | instid1(VALU_DEP_1)
	v_clz_i32_u32_e32 v1, v126
	v_min_u32_e32 v1, 32, v1
	s_delay_alu instid0(VALU_DEP_1) | instskip(NEXT) | instid1(VALU_DEP_1)
	v_subrev_nc_u32_e32 v2, 28, v1
	v_lshlrev_b64_e32 v[2:3], v2, v[126:127]
	s_delay_alu instid0(VALU_DEP_1)
	v_dual_sub_nc_u32 v1, 29, v1 :: v_dual_bitop2_b32 v126, 7, v2 bitop3:0x40
; %bb.463:                              ;   in Loop: Header=BB224_10 Depth=1
	s_or_b32 exec_lo, exec_lo, s16
	s_delay_alu instid0(VALU_DEP_1) | instskip(NEXT) | instid1(VALU_DEP_2)
	v_dual_lshlrev_b32 v2, 24, v0 :: v_dual_lshlrev_b32 v3, 20, v126
	v_lshl_add_u32 v1, v1, 23, 0x3c000000
	s_delay_alu instid0(VALU_DEP_2) | instskip(NEXT) | instid1(VALU_DEP_1)
	v_and_b32_e32 v2, 0x80000000, v2
	v_or3_b32 v126, v3, v2, v1
	v_mov_b32_e32 v1, v127
	s_clause 0x1
	scratch_store_b64 off, v[0:1], s32 offset:192
	scratch_store_b64 off, v[126:127], s32 offset:652
.LBB224_464:                            ;   in Loop: Header=BB224_10 Depth=1
	s_wait_xcnt 0x0
	s_or_b32 exec_lo, exec_lo, s11
.LBB224_465:                            ;   in Loop: Header=BB224_10 Depth=1
	s_delay_alu instid0(SALU_CYCLE_1)
	s_or_b32 exec_lo, exec_lo, s9
.LBB224_466:                            ;   in Loop: Header=BB224_10 Depth=1
	s_delay_alu instid0(SALU_CYCLE_1) | instskip(SKIP_2) | instid1(VALU_DEP_1)
	s_or_b32 exec_lo, exec_lo, s8
	v_lshrrev_b16 v1, 8, v0
	s_mov_b32 s8, exec_lo
	v_cmpx_ne_u16_e32 0, v1
	s_cbranch_execz .LBB224_474
; %bb.467:                              ;   in Loop: Header=BB224_10 Depth=1
	v_mov_b64_e32 v[124:125], 0x8000000000000000
	s_mov_b32 s9, exec_lo
	v_cmpx_ne_u16_e32 0x80, v1
	s_cbranch_execz .LBB224_473
; %bb.468:                              ;   in Loop: Header=BB224_10 Depth=1
	v_and_b32_e32 v1, 0xffff, v1
	v_mov_b64_e32 v[124:125], 0x7f80000100000000
	s_mov_b32 s11, exec_lo
	s_delay_alu instid0(VALU_DEP_2) | instskip(NEXT) | instid1(VALU_DEP_1)
	v_and_b32_e32 v2, 0x7f, v1
	v_cmpx_ne_u32_e32 0x7f, v2
	s_cbranch_execz .LBB224_472
; %bb.469:                              ;   in Loop: Header=BB224_10 Depth=1
	scratch_load_b64 v[4:5], off, s32 offset:192 th:TH_LOAD_LU ; 8-byte Folded Reload
	s_wait_loadcnt 0x0
	v_dual_lshrrev_b32 v1, 3, v2 :: v_dual_bitop2_b32 v4, 7, v1 bitop3:0x40
	s_mov_b32 s16, exec_lo
	s_wait_xcnt 0x0
	v_cmpx_gt_u32_e32 8, v2
; %bb.470:                              ;   in Loop: Header=BB224_10 Depth=1
	s_delay_alu instid0(VALU_DEP_2) | instskip(NEXT) | instid1(VALU_DEP_1)
	v_clz_i32_u32_e32 v1, v4
	v_min_u32_e32 v1, 32, v1
	s_delay_alu instid0(VALU_DEP_1) | instskip(NEXT) | instid1(VALU_DEP_1)
	v_subrev_nc_u32_e32 v2, 28, v1
	v_lshlrev_b64_e32 v[2:3], v2, v[4:5]
	s_delay_alu instid0(VALU_DEP_1)
	v_dual_sub_nc_u32 v1, 29, v1 :: v_dual_bitop2_b32 v4, 7, v2 bitop3:0x40
; %bb.471:                              ;   in Loop: Header=BB224_10 Depth=1
	s_or_b32 exec_lo, exec_lo, s16
	v_lshlrev_b32_e32 v2, 16, v0
	s_delay_alu instid0(VALU_DEP_2) | instskip(NEXT) | instid1(VALU_DEP_3)
	v_dual_mov_b32 v124, v5 :: v_dual_lshlrev_b32 v3, 20, v4
	v_lshl_add_u32 v1, v1, 23, 0x3c000000
	s_delay_alu instid0(VALU_DEP_3) | instskip(NEXT) | instid1(VALU_DEP_1)
	v_and_b32_e32 v2, 0x80000000, v2
	v_or3_b32 v125, v3, v2, v1
	v_mov_b32_e32 v1, v5
	scratch_store_b64 off, v[0:1], s32 offset:192 ; 8-byte Folded Spill
.LBB224_472:                            ;   in Loop: Header=BB224_10 Depth=1
	s_wait_xcnt 0x0
	s_or_b32 exec_lo, exec_lo, s11
.LBB224_473:                            ;   in Loop: Header=BB224_10 Depth=1
	s_delay_alu instid0(SALU_CYCLE_1)
	s_or_b32 exec_lo, exec_lo, s9
.LBB224_474:                            ;   in Loop: Header=BB224_10 Depth=1
	s_delay_alu instid0(SALU_CYCLE_1) | instskip(SKIP_4) | instid1(VALU_DEP_3)
	s_or_b32 exec_lo, exec_lo, s8
	v_lshrrev_b32_e32 v1, 16, v0
	v_mov_b64_e32 v[18:19], 0
	v_mov_b64_e32 v[20:21], 0
	s_mov_b32 s8, exec_lo
	v_and_b32_e32 v2, 0xff, v1
	s_delay_alu instid0(VALU_DEP_1)
	v_cmpx_ne_u16_e32 0, v2
	s_cbranch_execz .LBB224_482
; %bb.475:                              ;   in Loop: Header=BB224_10 Depth=1
	v_mov_b64_e32 v[20:21], 0x80000000
	s_mov_b32 s9, exec_lo
	v_cmpx_ne_u16_e32 0x80, v2
	s_cbranch_execz .LBB224_481
; %bb.476:                              ;   in Loop: Header=BB224_10 Depth=1
	v_mov_b64_e32 v[20:21], 0x7f800001
	v_bfe_u32 v3, v0, 16, 7
	s_mov_b32 s11, exec_lo
	s_delay_alu instid0(VALU_DEP_1)
	v_cmpx_ne_u32_e32 0x7f, v3
	s_cbranch_execz .LBB224_480
; %bb.477:                              ;   in Loop: Header=BB224_10 Depth=1
	scratch_load_b64 v[20:21], off, s32 offset:192 th:TH_LOAD_LU ; 8-byte Folded Reload
	s_wait_loadcnt 0x0
	v_dual_lshrrev_b32 v2, 3, v3 :: v_dual_bitop2_b32 v20, 7, v1 bitop3:0x40
	s_mov_b32 s16, exec_lo
	s_wait_xcnt 0x0
	v_cmpx_gt_u32_e32 8, v3
; %bb.478:                              ;   in Loop: Header=BB224_10 Depth=1
	s_delay_alu instid0(VALU_DEP_2) | instskip(NEXT) | instid1(VALU_DEP_1)
	v_clz_i32_u32_e32 v2, v20
	v_min_u32_e32 v2, 32, v2
	s_delay_alu instid0(VALU_DEP_1) | instskip(NEXT) | instid1(VALU_DEP_1)
	v_subrev_nc_u32_e32 v3, 28, v2
	v_lshlrev_b64_e32 v[4:5], v3, v[20:21]
	s_delay_alu instid0(VALU_DEP_1)
	v_dual_sub_nc_u32 v2, 29, v2 :: v_dual_bitop2_b32 v20, 7, v4 bitop3:0x40
; %bb.479:                              ;   in Loop: Header=BB224_10 Depth=1
	s_or_b32 exec_lo, exec_lo, s16
	s_delay_alu instid0(VALU_DEP_1) | instskip(NEXT) | instid1(VALU_DEP_2)
	v_dual_lshlrev_b32 v1, 24, v1 :: v_dual_lshlrev_b32 v3, 20, v20
	v_lshl_add_u32 v2, v2, 23, 0x3c000000
	s_delay_alu instid0(VALU_DEP_2) | instskip(NEXT) | instid1(VALU_DEP_1)
	v_and_b32_e32 v1, 0x80000000, v1
	v_or3_b32 v20, v3, v1, v2
	v_mov_b32_e32 v1, v21
	scratch_store_b64 off, v[0:1], s32 offset:192 ; 8-byte Folded Spill
.LBB224_480:                            ;   in Loop: Header=BB224_10 Depth=1
	s_wait_xcnt 0x0
	s_or_b32 exec_lo, exec_lo, s11
.LBB224_481:                            ;   in Loop: Header=BB224_10 Depth=1
	s_delay_alu instid0(SALU_CYCLE_1)
	s_or_b32 exec_lo, exec_lo, s9
.LBB224_482:                            ;   in Loop: Header=BB224_10 Depth=1
	s_delay_alu instid0(SALU_CYCLE_1) | instskip(NEXT) | instid1(SALU_CYCLE_1)
	s_or_b32 exec_lo, exec_lo, s8
	s_mov_b32 s8, exec_lo
	v_cmpx_lt_u32_e32 0xffffff, v0
	s_cbranch_execz .LBB224_490
; %bb.483:                              ;   in Loop: Header=BB224_10 Depth=1
	v_mov_b64_e32 v[18:19], 0x8000000000000000
	v_lshrrev_b32_e32 v1, 24, v0
	s_mov_b32 s9, exec_lo
	s_delay_alu instid0(VALU_DEP_1)
	v_cmpx_ne_u32_e32 0x80, v1
	s_cbranch_execz .LBB224_489
; %bb.484:                              ;   in Loop: Header=BB224_10 Depth=1
	v_mov_b64_e32 v[18:19], 0x7f80000100000000
	v_bfe_u32 v2, v0, 24, 7
	s_mov_b32 s11, exec_lo
	s_delay_alu instid0(VALU_DEP_1)
	v_cmpx_ne_u32_e32 0x7f, v2
	s_cbranch_execz .LBB224_488
; %bb.485:                              ;   in Loop: Header=BB224_10 Depth=1
	scratch_load_b64 v[4:5], off, s32 offset:192 th:TH_LOAD_LU ; 8-byte Folded Reload
	s_wait_loadcnt 0x0
	v_dual_lshrrev_b32 v0, 3, v2 :: v_dual_bitop2_b32 v4, 7, v1 bitop3:0x40
	v_cmp_gt_u32_e64 s1, 8, v2
	s_delay_alu instid0(VALU_DEP_2)
	v_mov_b64_e32 v[2:3], v[4:5]
	s_wait_xcnt 0x0
	s_and_saveexec_b32 s16, s1
	s_cbranch_execz .LBB224_487
; %bb.486:                              ;   in Loop: Header=BB224_10 Depth=1
	s_delay_alu instid0(VALU_DEP_1) | instskip(NEXT) | instid1(VALU_DEP_2)
	v_clz_i32_u32_e32 v0, v2
	v_mov_b64_e32 v[4:5], v[2:3]
	s_delay_alu instid0(VALU_DEP_2) | instskip(NEXT) | instid1(VALU_DEP_1)
	v_min_u32_e32 v0, 32, v0
	v_subrev_nc_u32_e32 v2, 28, v0
	s_delay_alu instid0(VALU_DEP_1) | instskip(NEXT) | instid1(VALU_DEP_1)
	v_lshlrev_b64_e32 v[2:3], v2, v[4:5]
	v_dual_sub_nc_u32 v0, 29, v0 :: v_dual_bitop2_b32 v4, 7, v2 bitop3:0x40
	s_delay_alu instid0(VALU_DEP_1)
	v_mov_b64_e32 v[2:3], v[4:5]
.LBB224_487:                            ;   in Loop: Header=BB224_10 Depth=1
	s_or_b32 exec_lo, exec_lo, s16
	s_delay_alu instid0(VALU_DEP_1) | instskip(NEXT) | instid1(VALU_DEP_3)
	v_dual_lshlrev_b32 v1, 24, v1 :: v_dual_lshlrev_b32 v2, 20, v2
	v_lshl_add_u32 v0, v0, 23, 0x3c000000
	s_delay_alu instid0(VALU_DEP_3) | instskip(NEXT) | instid1(VALU_DEP_3)
	v_mov_b32_e32 v18, v3
	v_and_b32_e32 v1, 0x80000000, v1
	s_delay_alu instid0(VALU_DEP_1)
	v_or3_b32 v19, v2, v1, v0
	v_mov_b32_e32 v1, v3
	scratch_store_b64 off, v[0:1], s32 offset:192 ; 8-byte Folded Spill
.LBB224_488:                            ;   in Loop: Header=BB224_10 Depth=1
	s_wait_xcnt 0x0
	s_or_b32 exec_lo, exec_lo, s11
.LBB224_489:                            ;   in Loop: Header=BB224_10 Depth=1
	s_delay_alu instid0(SALU_CYCLE_1)
	s_or_b32 exec_lo, exec_lo, s9
.LBB224_490:                            ;   in Loop: Header=BB224_10 Depth=1
	s_delay_alu instid0(SALU_CYCLE_1)
	s_or_b32 exec_lo, exec_lo, s8
	flat_load_b32 v4, v[26:27] offset:1548
	v_mov_b64_e32 v[2:3], 0
	v_mov_b64_e32 v[12:13], 0
	s_mov_b32 s8, exec_lo
	s_wait_loadcnt_dscnt 0x0
	v_and_b32_e32 v0, 0xff, v4
	s_wait_xcnt 0x0
	s_delay_alu instid0(VALU_DEP_1)
	v_cmpx_ne_u16_e32 0, v0
	s_cbranch_execz .LBB224_498
; %bb.491:                              ;   in Loop: Header=BB224_10 Depth=1
	v_mov_b64_e32 v[12:13], 0x80000000
	s_mov_b32 s9, exec_lo
	v_cmpx_ne_u16_e32 0x80, v0
	s_cbranch_execz .LBB224_497
; %bb.492:                              ;   in Loop: Header=BB224_10 Depth=1
	v_mov_b64_e32 v[12:13], 0x7f800001
	v_and_b32_e32 v1, 0x7f, v4
	s_mov_b32 s11, exec_lo
	s_delay_alu instid0(VALU_DEP_1)
	v_cmpx_ne_u32_e32 0x7f, v1
	s_cbranch_execz .LBB224_496
; %bb.493:                              ;   in Loop: Header=BB224_10 Depth=1
	scratch_load_b64 v[12:13], off, s32 offset:192 th:TH_LOAD_LU ; 8-byte Folded Reload
	s_wait_loadcnt 0x0
	v_dual_lshrrev_b32 v0, 3, v1 :: v_dual_bitop2_b32 v12, 7, v4 bitop3:0x40
	s_mov_b32 s16, exec_lo
	s_wait_xcnt 0x0
	v_cmpx_gt_u32_e32 8, v1
; %bb.494:                              ;   in Loop: Header=BB224_10 Depth=1
	s_delay_alu instid0(VALU_DEP_2) | instskip(NEXT) | instid1(VALU_DEP_1)
	v_clz_i32_u32_e32 v0, v12
	v_min_u32_e32 v0, 32, v0
	s_delay_alu instid0(VALU_DEP_1) | instskip(NEXT) | instid1(VALU_DEP_1)
	v_subrev_nc_u32_e32 v1, 28, v0
	v_lshlrev_b64_e32 v[6:7], v1, v[12:13]
	s_delay_alu instid0(VALU_DEP_1)
	v_dual_sub_nc_u32 v0, 29, v0 :: v_dual_bitop2_b32 v12, 7, v6 bitop3:0x40
; %bb.495:                              ;   in Loop: Header=BB224_10 Depth=1
	s_or_b32 exec_lo, exec_lo, s16
	v_lshlrev_b32_e32 v1, 24, v4
	s_delay_alu instid0(VALU_DEP_2) | instskip(NEXT) | instid1(VALU_DEP_3)
	v_lshlrev_b32_e32 v5, 20, v12
	v_lshl_add_u32 v0, v0, 23, 0x3c000000
	s_delay_alu instid0(VALU_DEP_3) | instskip(NEXT) | instid1(VALU_DEP_1)
	v_and_b32_e32 v1, 0x80000000, v1
	v_or3_b32 v12, v5, v1, v0
	v_mov_b32_e32 v1, v13
	scratch_store_b64 off, v[0:1], s32 offset:192 ; 8-byte Folded Spill
.LBB224_496:                            ;   in Loop: Header=BB224_10 Depth=1
	s_wait_xcnt 0x0
	s_or_b32 exec_lo, exec_lo, s11
.LBB224_497:                            ;   in Loop: Header=BB224_10 Depth=1
	s_delay_alu instid0(SALU_CYCLE_1)
	s_or_b32 exec_lo, exec_lo, s9
.LBB224_498:                            ;   in Loop: Header=BB224_10 Depth=1
	s_delay_alu instid0(SALU_CYCLE_1) | instskip(SKIP_2) | instid1(VALU_DEP_1)
	s_or_b32 exec_lo, exec_lo, s8
	v_lshrrev_b16 v0, 8, v4
	s_mov_b32 s8, exec_lo
	v_cmpx_ne_u16_e32 0, v0
	s_cbranch_execz .LBB224_506
; %bb.499:                              ;   in Loop: Header=BB224_10 Depth=1
	v_mov_b64_e32 v[2:3], 0x8000000000000000
	s_mov_b32 s9, exec_lo
	v_cmpx_ne_u16_e32 0x80, v0
	s_cbranch_execz .LBB224_505
; %bb.500:                              ;   in Loop: Header=BB224_10 Depth=1
	v_and_b32_e32 v0, 0xffff, v0
	v_mov_b64_e32 v[2:3], 0x7f80000100000000
	s_mov_b32 s11, exec_lo
	s_delay_alu instid0(VALU_DEP_2) | instskip(NEXT) | instid1(VALU_DEP_1)
	v_and_b32_e32 v1, 0x7f, v0
	v_cmpx_ne_u32_e32 0x7f, v1
	s_cbranch_execz .LBB224_504
; %bb.501:                              ;   in Loop: Header=BB224_10 Depth=1
	scratch_load_b64 v[2:3], off, s32 offset:192 th:TH_LOAD_LU ; 8-byte Folded Reload
	s_wait_loadcnt 0x0
	v_dual_lshrrev_b32 v0, 3, v1 :: v_dual_bitop2_b32 v2, 7, v0 bitop3:0x40
	s_mov_b32 s16, exec_lo
	s_wait_xcnt 0x0
	v_cmpx_gt_u32_e32 8, v1
	s_cbranch_execz .LBB224_503
; %bb.502:                              ;   in Loop: Header=BB224_10 Depth=1
	v_clz_i32_u32_e32 v0, v2
	v_mov_b64_e32 v[6:7], v[2:3]
	s_delay_alu instid0(VALU_DEP_2) | instskip(NEXT) | instid1(VALU_DEP_1)
	v_min_u32_e32 v0, 32, v0
	v_subrev_nc_u32_e32 v1, 28, v0
	s_delay_alu instid0(VALU_DEP_1) | instskip(NEXT) | instid1(VALU_DEP_1)
	v_lshlrev_b64_e32 v[2:3], v1, v[6:7]
	v_dual_sub_nc_u32 v0, 29, v0 :: v_dual_bitop2_b32 v6, 7, v2 bitop3:0x40
	s_delay_alu instid0(VALU_DEP_1)
	v_mov_b64_e32 v[2:3], v[6:7]
.LBB224_503:                            ;   in Loop: Header=BB224_10 Depth=1
	s_or_b32 exec_lo, exec_lo, s16
	s_delay_alu instid0(VALU_DEP_1) | instskip(SKIP_2) | instid1(VALU_DEP_3)
	v_mov_b64_e32 v[6:7], v[2:3]
	v_lshlrev_b32_e32 v1, 16, v4
	v_lshl_add_u32 v0, v0, 23, 0x3c000000
	v_lshlrev_b32_e32 v2, 20, v6
	s_delay_alu instid0(VALU_DEP_3) | instskip(NEXT) | instid1(VALU_DEP_1)
	v_and_b32_e32 v1, 0x80000000, v1
	v_or3_b32 v3, v2, v1, v0
	v_dual_mov_b32 v1, v7 :: v_dual_mov_b32 v2, v7
	scratch_store_b64 off, v[0:1], s32 offset:192 ; 8-byte Folded Spill
.LBB224_504:                            ;   in Loop: Header=BB224_10 Depth=1
	s_wait_xcnt 0x0
	s_or_b32 exec_lo, exec_lo, s11
.LBB224_505:                            ;   in Loop: Header=BB224_10 Depth=1
	s_delay_alu instid0(SALU_CYCLE_1)
	s_or_b32 exec_lo, exec_lo, s9
.LBB224_506:                            ;   in Loop: Header=BB224_10 Depth=1
	s_delay_alu instid0(SALU_CYCLE_1) | instskip(SKIP_4) | instid1(VALU_DEP_3)
	s_or_b32 exec_lo, exec_lo, s8
	v_lshrrev_b32_e32 v5, 16, v4
	v_mov_b64_e32 v[0:1], 0
	v_mov_b64_e32 v[24:25], 0
	s_mov_b32 s8, exec_lo
	v_and_b32_e32 v6, 0xff, v5
	s_delay_alu instid0(VALU_DEP_1)
	v_cmpx_ne_u16_e32 0, v6
	s_cbranch_execz .LBB224_514
; %bb.507:                              ;   in Loop: Header=BB224_10 Depth=1
	v_mov_b64_e32 v[24:25], 0x80000000
	s_mov_b32 s9, exec_lo
	v_cmpx_ne_u16_e32 0x80, v6
	s_cbranch_execz .LBB224_513
; %bb.508:                              ;   in Loop: Header=BB224_10 Depth=1
	v_mov_b64_e32 v[24:25], 0x7f800001
	v_bfe_u32 v7, v4, 16, 7
	s_mov_b32 s11, exec_lo
	s_delay_alu instid0(VALU_DEP_1)
	v_cmpx_ne_u32_e32 0x7f, v7
	s_cbranch_execz .LBB224_512
; %bb.509:                              ;   in Loop: Header=BB224_10 Depth=1
	scratch_load_b64 v[24:25], off, s32 offset:192 th:TH_LOAD_LU ; 8-byte Folded Reload
	s_wait_loadcnt 0x0
	v_dual_lshrrev_b32 v6, 3, v7 :: v_dual_bitop2_b32 v24, 7, v5 bitop3:0x40
	s_mov_b32 s16, exec_lo
	s_wait_xcnt 0x0
	v_cmpx_gt_u32_e32 8, v7
; %bb.510:                              ;   in Loop: Header=BB224_10 Depth=1
	s_delay_alu instid0(VALU_DEP_2) | instskip(NEXT) | instid1(VALU_DEP_1)
	v_clz_i32_u32_e32 v6, v24
	v_min_u32_e32 v6, 32, v6
	s_delay_alu instid0(VALU_DEP_1) | instskip(SKIP_1) | instid1(VALU_DEP_2)
	v_subrev_nc_u32_e32 v7, 28, v6
	v_sub_nc_u32_e32 v6, 29, v6
	v_lshlrev_b64_e32 v[14:15], v7, v[24:25]
	s_delay_alu instid0(VALU_DEP_1)
	v_and_b32_e32 v24, 7, v14
; %bb.511:                              ;   in Loop: Header=BB224_10 Depth=1
	s_or_b32 exec_lo, exec_lo, s16
	s_delay_alu instid0(VALU_DEP_1) | instskip(SKIP_1) | instid1(VALU_DEP_2)
	v_dual_lshlrev_b32 v5, 24, v5 :: v_dual_lshlrev_b32 v7, 20, v24
	v_lshl_add_u32 v6, v6, 23, 0x3c000000
	v_and_b32_e32 v5, 0x80000000, v5
	s_delay_alu instid0(VALU_DEP_1)
	v_or3_b32 v24, v7, v5, v6
	v_mov_b32_e32 v5, v25
	scratch_store_b64 off, v[4:5], s32 offset:192 ; 8-byte Folded Spill
.LBB224_512:                            ;   in Loop: Header=BB224_10 Depth=1
	s_wait_xcnt 0x0
	s_or_b32 exec_lo, exec_lo, s11
.LBB224_513:                            ;   in Loop: Header=BB224_10 Depth=1
	s_delay_alu instid0(SALU_CYCLE_1)
	s_or_b32 exec_lo, exec_lo, s9
.LBB224_514:                            ;   in Loop: Header=BB224_10 Depth=1
	s_delay_alu instid0(SALU_CYCLE_1) | instskip(NEXT) | instid1(SALU_CYCLE_1)
	s_or_b32 exec_lo, exec_lo, s8
	s_mov_b32 s8, exec_lo
	v_cmpx_lt_u32_e32 0xffffff, v4
	s_cbranch_execz .LBB224_522
; %bb.515:                              ;   in Loop: Header=BB224_10 Depth=1
	v_mov_b64_e32 v[0:1], 0x8000000000000000
	v_lshrrev_b32_e32 v5, 24, v4
	s_mov_b32 s9, exec_lo
	s_delay_alu instid0(VALU_DEP_1)
	v_cmpx_ne_u32_e32 0x80, v5
	s_cbranch_execz .LBB224_521
; %bb.516:                              ;   in Loop: Header=BB224_10 Depth=1
	v_mov_b64_e32 v[0:1], 0x7f80000100000000
	v_bfe_u32 v4, v4, 24, 7
	s_mov_b32 s11, exec_lo
	s_delay_alu instid0(VALU_DEP_1)
	v_cmpx_ne_u32_e32 0x7f, v4
	s_cbranch_execz .LBB224_520
; %bb.517:                              ;   in Loop: Header=BB224_10 Depth=1
	scratch_load_b64 v[8:9], off, s32 offset:192 th:TH_LOAD_LU ; 8-byte Folded Reload
	s_wait_loadcnt 0x0
	v_dual_lshrrev_b32 v0, 3, v4 :: v_dual_bitop2_b32 v8, 7, v5 bitop3:0x40
	s_mov_b32 s16, exec_lo
	s_wait_xcnt 0x0
	v_cmpx_gt_u32_e32 8, v4
; %bb.518:                              ;   in Loop: Header=BB224_10 Depth=1
	s_delay_alu instid0(VALU_DEP_2) | instskip(NEXT) | instid1(VALU_DEP_1)
	v_clz_i32_u32_e32 v0, v8
	v_min_u32_e32 v0, 32, v0
	s_delay_alu instid0(VALU_DEP_1) | instskip(NEXT) | instid1(VALU_DEP_1)
	v_subrev_nc_u32_e32 v1, 28, v0
	v_lshlrev_b64_e32 v[6:7], v1, v[8:9]
	s_delay_alu instid0(VALU_DEP_1)
	v_dual_sub_nc_u32 v0, 29, v0 :: v_dual_bitop2_b32 v8, 7, v6 bitop3:0x40
; %bb.519:                              ;   in Loop: Header=BB224_10 Depth=1
	s_or_b32 exec_lo, exec_lo, s16
	s_delay_alu instid0(VALU_DEP_1) | instskip(NEXT) | instid1(VALU_DEP_2)
	v_dual_lshlrev_b32 v1, 24, v5 :: v_dual_lshlrev_b32 v4, 20, v8
	v_lshl_add_u32 v0, v0, 23, 0x3c000000
	v_mov_b32_e32 v5, v9
	s_delay_alu instid0(VALU_DEP_3) | instskip(NEXT) | instid1(VALU_DEP_1)
	v_and_b32_e32 v1, 0x80000000, v1
	v_or3_b32 v1, v4, v1, v0
	v_mov_b32_e32 v0, v9
	scratch_store_b64 off, v[4:5], s32 offset:192 ; 8-byte Folded Spill
.LBB224_520:                            ;   in Loop: Header=BB224_10 Depth=1
	s_wait_xcnt 0x0
	s_or_b32 exec_lo, exec_lo, s11
.LBB224_521:                            ;   in Loop: Header=BB224_10 Depth=1
	s_delay_alu instid0(SALU_CYCLE_1)
	s_or_b32 exec_lo, exec_lo, s9
.LBB224_522:                            ;   in Loop: Header=BB224_10 Depth=1
	s_delay_alu instid0(SALU_CYCLE_1)
	s_or_b32 exec_lo, exec_lo, s8
	flat_load_b32 v6, v[26:27] offset:2048
	v_mov_b64_e32 v[22:23], 0
	v_mov_b64_e32 v[30:31], 0
	s_mov_b32 s8, exec_lo
	s_wait_loadcnt_dscnt 0x0
	v_and_b32_e32 v4, 0xff, v6
	s_wait_xcnt 0x0
	s_delay_alu instid0(VALU_DEP_1)
	v_cmpx_ne_u16_e32 0, v4
	s_cbranch_execz .LBB224_530
; %bb.523:                              ;   in Loop: Header=BB224_10 Depth=1
	v_mov_b64_e32 v[30:31], 0x80000000
	s_mov_b32 s9, exec_lo
	v_cmpx_ne_u16_e32 0x80, v4
	s_cbranch_execz .LBB224_529
; %bb.524:                              ;   in Loop: Header=BB224_10 Depth=1
	v_mov_b64_e32 v[30:31], 0x7f800001
	v_and_b32_e32 v5, 0x7f, v6
	s_mov_b32 s11, exec_lo
	s_delay_alu instid0(VALU_DEP_1)
	v_cmpx_ne_u32_e32 0x7f, v5
	s_cbranch_execz .LBB224_528
; %bb.525:                              ;   in Loop: Header=BB224_10 Depth=1
	scratch_load_b64 v[30:31], off, s32 offset:192 th:TH_LOAD_LU ; 8-byte Folded Reload
	s_wait_loadcnt 0x0
	v_dual_lshrrev_b32 v4, 3, v5 :: v_dual_bitop2_b32 v30, 7, v6 bitop3:0x40
	s_mov_b32 s16, exec_lo
	s_wait_xcnt 0x0
	v_cmpx_gt_u32_e32 8, v5
; %bb.526:                              ;   in Loop: Header=BB224_10 Depth=1
	s_delay_alu instid0(VALU_DEP_2) | instskip(NEXT) | instid1(VALU_DEP_1)
	v_clz_i32_u32_e32 v4, v30
	v_min_u32_e32 v4, 32, v4
	s_delay_alu instid0(VALU_DEP_1) | instskip(NEXT) | instid1(VALU_DEP_1)
	v_subrev_nc_u32_e32 v5, 28, v4
	v_lshlrev_b64_e32 v[14:15], v5, v[30:31]
	s_delay_alu instid0(VALU_DEP_1)
	v_dual_sub_nc_u32 v4, 29, v4 :: v_dual_bitop2_b32 v30, 7, v14 bitop3:0x40
; %bb.527:                              ;   in Loop: Header=BB224_10 Depth=1
	s_or_b32 exec_lo, exec_lo, s16
	v_lshlrev_b32_e32 v5, 24, v6
	s_delay_alu instid0(VALU_DEP_2) | instskip(NEXT) | instid1(VALU_DEP_3)
	v_lshlrev_b32_e32 v7, 20, v30
	v_lshl_add_u32 v4, v4, 23, 0x3c000000
	s_delay_alu instid0(VALU_DEP_3) | instskip(NEXT) | instid1(VALU_DEP_1)
	v_and_b32_e32 v5, 0x80000000, v5
	v_or3_b32 v30, v7, v5, v4
	v_mov_b32_e32 v5, v31
	scratch_store_b64 off, v[4:5], s32 offset:192 ; 8-byte Folded Spill
.LBB224_528:                            ;   in Loop: Header=BB224_10 Depth=1
	s_wait_xcnt 0x0
	s_or_b32 exec_lo, exec_lo, s11
.LBB224_529:                            ;   in Loop: Header=BB224_10 Depth=1
	s_delay_alu instid0(SALU_CYCLE_1)
	s_or_b32 exec_lo, exec_lo, s9
.LBB224_530:                            ;   in Loop: Header=BB224_10 Depth=1
	s_delay_alu instid0(SALU_CYCLE_1) | instskip(SKIP_2) | instid1(VALU_DEP_1)
	s_or_b32 exec_lo, exec_lo, s8
	v_lshrrev_b16 v4, 8, v6
	s_mov_b32 s8, exec_lo
	v_cmpx_ne_u16_e32 0, v4
	s_cbranch_execz .LBB224_538
; %bb.531:                              ;   in Loop: Header=BB224_10 Depth=1
	v_mov_b64_e32 v[22:23], 0x8000000000000000
	s_mov_b32 s9, exec_lo
	v_cmpx_ne_u16_e32 0x80, v4
	s_cbranch_execz .LBB224_537
; %bb.532:                              ;   in Loop: Header=BB224_10 Depth=1
	v_and_b32_e32 v4, 0xffff, v4
	v_mov_b64_e32 v[22:23], 0x7f80000100000000
	s_mov_b32 s11, exec_lo
	s_delay_alu instid0(VALU_DEP_2) | instskip(NEXT) | instid1(VALU_DEP_1)
	v_and_b32_e32 v5, 0x7f, v4
	v_cmpx_ne_u32_e32 0x7f, v5
	s_cbranch_execz .LBB224_536
; %bb.533:                              ;   in Loop: Header=BB224_10 Depth=1
	scratch_load_b64 v[8:9], off, s32 offset:192 th:TH_LOAD_LU ; 8-byte Folded Reload
	s_wait_loadcnt 0x0
	v_dual_lshrrev_b32 v4, 3, v5 :: v_dual_bitop2_b32 v8, 7, v4 bitop3:0x40
	s_mov_b32 s16, exec_lo
	s_wait_xcnt 0x0
	v_cmpx_gt_u32_e32 8, v5
; %bb.534:                              ;   in Loop: Header=BB224_10 Depth=1
	s_delay_alu instid0(VALU_DEP_2) | instskip(NEXT) | instid1(VALU_DEP_1)
	v_clz_i32_u32_e32 v4, v8
	v_min_u32_e32 v4, 32, v4
	s_delay_alu instid0(VALU_DEP_1) | instskip(NEXT) | instid1(VALU_DEP_1)
	v_subrev_nc_u32_e32 v5, 28, v4
	v_lshlrev_b64_e32 v[14:15], v5, v[8:9]
	s_delay_alu instid0(VALU_DEP_1)
	v_dual_sub_nc_u32 v4, 29, v4 :: v_dual_bitop2_b32 v8, 7, v14 bitop3:0x40
; %bb.535:                              ;   in Loop: Header=BB224_10 Depth=1
	s_or_b32 exec_lo, exec_lo, s16
	s_delay_alu instid0(VALU_DEP_1) | instskip(NEXT) | instid1(VALU_DEP_2)
	v_dual_lshlrev_b32 v5, 16, v6 :: v_dual_lshlrev_b32 v7, 20, v8
	v_lshl_add_u32 v4, v4, 23, 0x3c000000
	v_mov_b32_e32 v22, v9
	s_delay_alu instid0(VALU_DEP_3) | instskip(NEXT) | instid1(VALU_DEP_1)
	v_and_b32_e32 v5, 0x80000000, v5
	v_or3_b32 v23, v7, v5, v4
	v_mov_b32_e32 v5, v9
	scratch_store_b64 off, v[4:5], s32 offset:192 ; 8-byte Folded Spill
.LBB224_536:                            ;   in Loop: Header=BB224_10 Depth=1
	s_wait_xcnt 0x0
	s_or_b32 exec_lo, exec_lo, s11
.LBB224_537:                            ;   in Loop: Header=BB224_10 Depth=1
	s_delay_alu instid0(SALU_CYCLE_1)
	s_or_b32 exec_lo, exec_lo, s9
.LBB224_538:                            ;   in Loop: Header=BB224_10 Depth=1
	s_delay_alu instid0(SALU_CYCLE_1) | instskip(SKIP_4) | instid1(VALU_DEP_3)
	s_or_b32 exec_lo, exec_lo, s8
	v_lshrrev_b32_e32 v7, 16, v6
	v_mov_b64_e32 v[4:5], 0
	v_mov_b64_e32 v[34:35], 0
	s_mov_b32 s8, exec_lo
	v_and_b32_e32 v10, 0xff, v7
	s_delay_alu instid0(VALU_DEP_1)
	v_cmpx_ne_u16_e32 0, v10
	s_cbranch_execz .LBB224_546
; %bb.539:                              ;   in Loop: Header=BB224_10 Depth=1
	v_mov_b64_e32 v[34:35], 0x80000000
	s_mov_b32 s9, exec_lo
	v_cmpx_ne_u16_e32 0x80, v10
	s_cbranch_execz .LBB224_545
; %bb.540:                              ;   in Loop: Header=BB224_10 Depth=1
	v_mov_b64_e32 v[34:35], 0x7f800001
	v_bfe_u32 v15, v6, 16, 7
	s_mov_b32 s11, exec_lo
	s_delay_alu instid0(VALU_DEP_1)
	v_cmpx_ne_u32_e32 0x7f, v15
	s_cbranch_execz .LBB224_544
; %bb.541:                              ;   in Loop: Header=BB224_10 Depth=1
	scratch_load_b64 v[34:35], off, s32 offset:192 th:TH_LOAD_LU ; 8-byte Folded Reload
	s_wait_loadcnt 0x0
	v_and_b32_e32 v34, 7, v7
	v_lshrrev_b32_e32 v14, 3, v15
	s_mov_b32 s16, exec_lo
	s_wait_xcnt 0x0
	v_cmpx_gt_u32_e32 8, v15
; %bb.542:                              ;   in Loop: Header=BB224_10 Depth=1
	v_clz_i32_u32_e32 v14, v34
	s_delay_alu instid0(VALU_DEP_1) | instskip(NEXT) | instid1(VALU_DEP_1)
	v_min_u32_e32 v14, 32, v14
	v_subrev_nc_u32_e32 v15, 28, v14
	s_delay_alu instid0(VALU_DEP_1) | instskip(NEXT) | instid1(VALU_DEP_1)
	v_lshlrev_b64_e32 v[28:29], v15, v[34:35]
	v_dual_sub_nc_u32 v14, 29, v14 :: v_dual_bitop2_b32 v34, 7, v28 bitop3:0x40
; %bb.543:                              ;   in Loop: Header=BB224_10 Depth=1
	s_or_b32 exec_lo, exec_lo, s16
	s_delay_alu instid0(VALU_DEP_1) | instskip(NEXT) | instid1(VALU_DEP_2)
	v_dual_lshlrev_b32 v7, 24, v7 :: v_dual_lshlrev_b32 v10, 20, v34
	v_lshl_add_u32 v14, v14, 23, 0x3c000000
	s_delay_alu instid0(VALU_DEP_2) | instskip(NEXT) | instid1(VALU_DEP_1)
	v_and_b32_e32 v7, 0x80000000, v7
	v_or3_b32 v34, v10, v7, v14
	v_mov_b32_e32 v7, v35
	scratch_store_b64 off, v[6:7], s32 offset:192 ; 8-byte Folded Spill
.LBB224_544:                            ;   in Loop: Header=BB224_10 Depth=1
	s_wait_xcnt 0x0
	s_or_b32 exec_lo, exec_lo, s11
.LBB224_545:                            ;   in Loop: Header=BB224_10 Depth=1
	s_delay_alu instid0(SALU_CYCLE_1)
	s_or_b32 exec_lo, exec_lo, s9
.LBB224_546:                            ;   in Loop: Header=BB224_10 Depth=1
	s_delay_alu instid0(SALU_CYCLE_1) | instskip(NEXT) | instid1(SALU_CYCLE_1)
	s_or_b32 exec_lo, exec_lo, s8
	s_mov_b32 s8, exec_lo
	v_cmpx_lt_u32_e32 0xffffff, v6
	s_cbranch_execz .LBB224_554
; %bb.547:                              ;   in Loop: Header=BB224_10 Depth=1
	v_mov_b64_e32 v[4:5], 0x8000000000000000
	v_lshrrev_b32_e32 v7, 24, v6
	s_mov_b32 s9, exec_lo
	s_delay_alu instid0(VALU_DEP_1)
	v_cmpx_ne_u32_e32 0x80, v7
	s_cbranch_execz .LBB224_553
; %bb.548:                              ;   in Loop: Header=BB224_10 Depth=1
	v_mov_b64_e32 v[4:5], 0x7f80000100000000
	v_bfe_u32 v6, v6, 24, 7
	s_mov_b32 s11, exec_lo
	s_delay_alu instid0(VALU_DEP_1)
	v_cmpx_ne_u32_e32 0x7f, v6
	s_cbranch_execz .LBB224_552
; %bb.549:                              ;   in Loop: Header=BB224_10 Depth=1
	scratch_load_b64 v[8:9], off, s32 offset:192 th:TH_LOAD_LU ; 8-byte Folded Reload
	s_wait_loadcnt 0x0
	v_dual_lshrrev_b32 v4, 3, v6 :: v_dual_bitop2_b32 v8, 7, v7 bitop3:0x40
	s_mov_b32 s16, exec_lo
	s_wait_xcnt 0x0
	v_cmpx_gt_u32_e32 8, v6
; %bb.550:                              ;   in Loop: Header=BB224_10 Depth=1
	s_delay_alu instid0(VALU_DEP_2) | instskip(NEXT) | instid1(VALU_DEP_1)
	v_clz_i32_u32_e32 v4, v8
	v_min_u32_e32 v4, 32, v4
	s_delay_alu instid0(VALU_DEP_1) | instskip(NEXT) | instid1(VALU_DEP_1)
	v_subrev_nc_u32_e32 v5, 28, v4
	v_lshlrev_b64_e32 v[14:15], v5, v[8:9]
	s_delay_alu instid0(VALU_DEP_1)
	v_dual_sub_nc_u32 v4, 29, v4 :: v_dual_bitop2_b32 v8, 7, v14 bitop3:0x40
; %bb.551:                              ;   in Loop: Header=BB224_10 Depth=1
	s_or_b32 exec_lo, exec_lo, s16
	s_delay_alu instid0(VALU_DEP_1) | instskip(NEXT) | instid1(VALU_DEP_2)
	v_dual_lshlrev_b32 v5, 24, v7 :: v_dual_lshlrev_b32 v6, 20, v8
	v_lshl_add_u32 v4, v4, 23, 0x3c000000
	v_mov_b32_e32 v7, v9
	s_delay_alu instid0(VALU_DEP_3) | instskip(NEXT) | instid1(VALU_DEP_1)
	v_and_b32_e32 v5, 0x80000000, v5
	v_or3_b32 v5, v6, v5, v4
	v_mov_b32_e32 v4, v9
	scratch_store_b64 off, v[6:7], s32 offset:192 ; 8-byte Folded Spill
.LBB224_552:                            ;   in Loop: Header=BB224_10 Depth=1
	s_wait_xcnt 0x0
	s_or_b32 exec_lo, exec_lo, s11
.LBB224_553:                            ;   in Loop: Header=BB224_10 Depth=1
	s_delay_alu instid0(SALU_CYCLE_1)
	s_or_b32 exec_lo, exec_lo, s9
.LBB224_554:                            ;   in Loop: Header=BB224_10 Depth=1
	s_delay_alu instid0(SALU_CYCLE_1)
	s_or_b32 exec_lo, exec_lo, s8
	flat_load_b32 v6, v[26:27] offset:2052
	v_mov_b64_e32 v[14:15], 0
	v_mov_b64_e32 v[38:39], 0
	s_mov_b32 s8, exec_lo
	s_wait_loadcnt_dscnt 0x0
	v_and_b32_e32 v7, 0xff, v6
	s_wait_xcnt 0x0
	s_delay_alu instid0(VALU_DEP_1)
	v_cmpx_ne_u16_e32 0, v7
	s_cbranch_execz .LBB224_562
; %bb.555:                              ;   in Loop: Header=BB224_10 Depth=1
	v_mov_b64_e32 v[38:39], 0x80000000
	s_mov_b32 s9, exec_lo
	v_cmpx_ne_u16_e32 0x80, v7
	s_cbranch_execz .LBB224_561
; %bb.556:                              ;   in Loop: Header=BB224_10 Depth=1
	v_mov_b64_e32 v[38:39], 0x7f800001
	v_and_b32_e32 v17, 0x7f, v6
	s_mov_b32 s11, exec_lo
	s_delay_alu instid0(VALU_DEP_1)
	v_cmpx_ne_u32_e32 0x7f, v17
	s_cbranch_execz .LBB224_560
; %bb.557:                              ;   in Loop: Header=BB224_10 Depth=1
	scratch_load_b64 v[38:39], off, s32 offset:192 th:TH_LOAD_LU ; 8-byte Folded Reload
	s_wait_loadcnt 0x0
	v_dual_lshrrev_b32 v7, 3, v17 :: v_dual_bitop2_b32 v38, 7, v6 bitop3:0x40
	s_mov_b32 s16, exec_lo
	s_wait_xcnt 0x0
	v_cmpx_gt_u32_e32 8, v17
; %bb.558:                              ;   in Loop: Header=BB224_10 Depth=1
	s_delay_alu instid0(VALU_DEP_2) | instskip(NEXT) | instid1(VALU_DEP_1)
	v_clz_i32_u32_e32 v7, v38
	v_min_u32_e32 v7, 32, v7
	s_delay_alu instid0(VALU_DEP_1) | instskip(NEXT) | instid1(VALU_DEP_1)
	v_subrev_nc_u32_e32 v17, 28, v7
	v_lshlrev_b64_e32 v[28:29], v17, v[38:39]
	s_delay_alu instid0(VALU_DEP_1)
	v_dual_sub_nc_u32 v7, 29, v7 :: v_dual_bitop2_b32 v38, 7, v28 bitop3:0x40
; %bb.559:                              ;   in Loop: Header=BB224_10 Depth=1
	s_or_b32 exec_lo, exec_lo, s16
	v_lshlrev_b32_e32 v17, 24, v6
	s_delay_alu instid0(VALU_DEP_2) | instskip(NEXT) | instid1(VALU_DEP_3)
	v_lshlrev_b32_e32 v10, 20, v38
	v_lshl_add_u32 v7, v7, 23, 0x3c000000
	s_delay_alu instid0(VALU_DEP_3) | instskip(NEXT) | instid1(VALU_DEP_1)
	v_and_b32_e32 v17, 0x80000000, v17
	v_or3_b32 v38, v10, v17, v7
	v_mov_b32_e32 v7, v39
	scratch_store_b64 off, v[6:7], s32 offset:192 ; 8-byte Folded Spill
.LBB224_560:                            ;   in Loop: Header=BB224_10 Depth=1
	s_wait_xcnt 0x0
	s_or_b32 exec_lo, exec_lo, s11
.LBB224_561:                            ;   in Loop: Header=BB224_10 Depth=1
	s_delay_alu instid0(SALU_CYCLE_1)
	s_or_b32 exec_lo, exec_lo, s9
.LBB224_562:                            ;   in Loop: Header=BB224_10 Depth=1
	s_delay_alu instid0(SALU_CYCLE_1) | instskip(SKIP_2) | instid1(VALU_DEP_1)
	s_or_b32 exec_lo, exec_lo, s8
	v_lshrrev_b16 v7, 8, v6
	s_mov_b32 s8, exec_lo
	v_cmpx_ne_u16_e32 0, v7
	s_cbranch_execz .LBB224_570
; %bb.563:                              ;   in Loop: Header=BB224_10 Depth=1
	v_mov_b64_e32 v[14:15], 0x8000000000000000
	s_mov_b32 s9, exec_lo
	v_cmpx_ne_u16_e32 0x80, v7
	s_cbranch_execz .LBB224_569
; %bb.564:                              ;   in Loop: Header=BB224_10 Depth=1
	v_and_b32_e32 v7, 0xffff, v7
	v_mov_b64_e32 v[14:15], 0x7f80000100000000
	s_mov_b32 s11, exec_lo
	s_delay_alu instid0(VALU_DEP_2) | instskip(NEXT) | instid1(VALU_DEP_1)
	v_and_b32_e32 v17, 0x7f, v7
	v_cmpx_ne_u32_e32 0x7f, v17
	s_cbranch_execz .LBB224_568
; %bb.565:                              ;   in Loop: Header=BB224_10 Depth=1
	scratch_load_b64 v[8:9], off, s32 offset:192 th:TH_LOAD_LU ; 8-byte Folded Reload
	s_wait_loadcnt 0x0
	v_dual_lshrrev_b32 v7, 3, v17 :: v_dual_bitop2_b32 v8, 7, v7 bitop3:0x40
	s_mov_b32 s16, exec_lo
	s_wait_xcnt 0x0
	v_cmpx_gt_u32_e32 8, v17
; %bb.566:                              ;   in Loop: Header=BB224_10 Depth=1
	s_delay_alu instid0(VALU_DEP_2) | instskip(NEXT) | instid1(VALU_DEP_1)
	v_clz_i32_u32_e32 v7, v8
	v_min_u32_e32 v7, 32, v7
	s_delay_alu instid0(VALU_DEP_1) | instskip(NEXT) | instid1(VALU_DEP_1)
	v_subrev_nc_u32_e32 v14, 28, v7
	v_lshlrev_b64_e32 v[14:15], v14, v[8:9]
	s_delay_alu instid0(VALU_DEP_1)
	v_dual_sub_nc_u32 v7, 29, v7 :: v_dual_bitop2_b32 v8, 7, v14 bitop3:0x40
; %bb.567:                              ;   in Loop: Header=BB224_10 Depth=1
	s_or_b32 exec_lo, exec_lo, s16
	s_delay_alu instid0(VALU_DEP_1) | instskip(NEXT) | instid1(VALU_DEP_2)
	v_dual_lshlrev_b32 v14, 16, v6 :: v_dual_lshlrev_b32 v10, 20, v8
	v_lshl_add_u32 v7, v7, 23, 0x3c000000
	s_delay_alu instid0(VALU_DEP_2) | instskip(NEXT) | instid1(VALU_DEP_1)
	v_and_b32_e32 v14, 0x80000000, v14
	v_or3_b32 v15, v10, v14, v7
	v_dual_mov_b32 v7, v9 :: v_dual_mov_b32 v14, v9
	scratch_store_b64 off, v[6:7], s32 offset:192 ; 8-byte Folded Spill
.LBB224_568:                            ;   in Loop: Header=BB224_10 Depth=1
	s_wait_xcnt 0x0
	s_or_b32 exec_lo, exec_lo, s11
.LBB224_569:                            ;   in Loop: Header=BB224_10 Depth=1
	s_delay_alu instid0(SALU_CYCLE_1)
	s_or_b32 exec_lo, exec_lo, s9
.LBB224_570:                            ;   in Loop: Header=BB224_10 Depth=1
	s_delay_alu instid0(SALU_CYCLE_1) | instskip(SKIP_4) | instid1(VALU_DEP_3)
	s_or_b32 exec_lo, exec_lo, s8
	v_lshrrev_b32_e32 v7, 16, v6
	v_mov_b64_e32 v[28:29], 0
	v_mov_b64_e32 v[50:51], 0
	s_mov_b32 s8, exec_lo
	v_and_b32_e32 v10, 0xff, v7
	s_delay_alu instid0(VALU_DEP_1)
	v_cmpx_ne_u16_e32 0, v10
	s_cbranch_execz .LBB224_578
; %bb.571:                              ;   in Loop: Header=BB224_10 Depth=1
	v_mov_b64_e32 v[50:51], 0x80000000
	s_mov_b32 s9, exec_lo
	v_cmpx_ne_u16_e32 0x80, v10
	s_cbranch_execz .LBB224_577
; %bb.572:                              ;   in Loop: Header=BB224_10 Depth=1
	v_mov_b64_e32 v[50:51], 0x7f800001
	v_bfe_u32 v32, v6, 16, 7
	s_mov_b32 s11, exec_lo
	s_delay_alu instid0(VALU_DEP_1)
	v_cmpx_ne_u32_e32 0x7f, v32
	s_cbranch_execz .LBB224_576
; %bb.573:                              ;   in Loop: Header=BB224_10 Depth=1
	scratch_load_b64 v[50:51], off, s32 offset:192 th:TH_LOAD_LU ; 8-byte Folded Reload
	s_wait_loadcnt 0x0
	v_dual_lshrrev_b32 v17, 3, v32 :: v_dual_bitop2_b32 v50, 7, v7 bitop3:0x40
	s_mov_b32 s16, exec_lo
	s_wait_xcnt 0x0
	v_cmpx_gt_u32_e32 8, v32
; %bb.574:                              ;   in Loop: Header=BB224_10 Depth=1
	s_delay_alu instid0(VALU_DEP_2) | instskip(NEXT) | instid1(VALU_DEP_1)
	v_clz_i32_u32_e32 v17, v50
	v_min_u32_e32 v17, 32, v17
	s_delay_alu instid0(VALU_DEP_1) | instskip(NEXT) | instid1(VALU_DEP_1)
	v_subrev_nc_u32_e32 v32, 28, v17
	v_lshlrev_b64_e32 v[32:33], v32, v[50:51]
	s_delay_alu instid0(VALU_DEP_1)
	v_dual_sub_nc_u32 v17, 29, v17 :: v_dual_bitop2_b32 v50, 7, v32 bitop3:0x40
; %bb.575:                              ;   in Loop: Header=BB224_10 Depth=1
	s_or_b32 exec_lo, exec_lo, s16
	s_delay_alu instid0(VALU_DEP_1) | instskip(NEXT) | instid1(VALU_DEP_2)
	v_dual_lshlrev_b32 v7, 24, v7 :: v_dual_lshlrev_b32 v10, 20, v50
	v_lshl_add_u32 v17, v17, 23, 0x3c000000
	s_delay_alu instid0(VALU_DEP_2) | instskip(NEXT) | instid1(VALU_DEP_1)
	v_and_b32_e32 v7, 0x80000000, v7
	v_or3_b32 v50, v10, v7, v17
	v_mov_b32_e32 v7, v51
	scratch_store_b64 off, v[6:7], s32 offset:192 ; 8-byte Folded Spill
.LBB224_576:                            ;   in Loop: Header=BB224_10 Depth=1
	s_wait_xcnt 0x0
	s_or_b32 exec_lo, exec_lo, s11
.LBB224_577:                            ;   in Loop: Header=BB224_10 Depth=1
	s_delay_alu instid0(SALU_CYCLE_1)
	s_or_b32 exec_lo, exec_lo, s9
.LBB224_578:                            ;   in Loop: Header=BB224_10 Depth=1
	s_delay_alu instid0(SALU_CYCLE_1) | instskip(NEXT) | instid1(SALU_CYCLE_1)
	s_or_b32 exec_lo, exec_lo, s8
	s_mov_b32 s8, exec_lo
	v_cmpx_lt_u32_e32 0xffffff, v6
	s_cbranch_execz .LBB224_586
; %bb.579:                              ;   in Loop: Header=BB224_10 Depth=1
	v_mov_b64_e32 v[28:29], 0x8000000000000000
	v_lshrrev_b32_e32 v7, 24, v6
	s_mov_b32 s9, exec_lo
	s_delay_alu instid0(VALU_DEP_1)
	v_cmpx_ne_u32_e32 0x80, v7
	s_cbranch_execz .LBB224_585
; %bb.580:                              ;   in Loop: Header=BB224_10 Depth=1
	v_mov_b64_e32 v[28:29], 0x7f80000100000000
	v_bfe_u32 v17, v6, 24, 7
	s_mov_b32 s11, exec_lo
	s_delay_alu instid0(VALU_DEP_1)
	v_cmpx_ne_u32_e32 0x7f, v17
	s_cbranch_execz .LBB224_584
; %bb.581:                              ;   in Loop: Header=BB224_10 Depth=1
	scratch_load_b64 v[8:9], off, s32 offset:192 th:TH_LOAD_LU ; 8-byte Folded Reload
	s_wait_loadcnt 0x0
	v_dual_lshrrev_b32 v6, 3, v17 :: v_dual_bitop2_b32 v8, 7, v7 bitop3:0x40
	s_mov_b32 s16, exec_lo
	s_wait_xcnt 0x0
	v_cmpx_gt_u32_e32 8, v17
; %bb.582:                              ;   in Loop: Header=BB224_10 Depth=1
	s_delay_alu instid0(VALU_DEP_2) | instskip(NEXT) | instid1(VALU_DEP_1)
	v_clz_i32_u32_e32 v6, v8
	v_min_u32_e32 v6, 32, v6
	s_delay_alu instid0(VALU_DEP_1) | instskip(NEXT) | instid1(VALU_DEP_1)
	v_subrev_nc_u32_e32 v17, 28, v6
	v_lshlrev_b64_e32 v[28:29], v17, v[8:9]
	s_delay_alu instid0(VALU_DEP_1)
	v_dual_sub_nc_u32 v6, 29, v6 :: v_dual_bitop2_b32 v8, 7, v28 bitop3:0x40
; %bb.583:                              ;   in Loop: Header=BB224_10 Depth=1
	s_or_b32 exec_lo, exec_lo, s16
	s_delay_alu instid0(VALU_DEP_1) | instskip(NEXT) | instid1(VALU_DEP_2)
	v_dual_lshlrev_b32 v7, 24, v7 :: v_dual_lshlrev_b32 v10, 20, v8
	v_lshl_add_u32 v6, v6, 23, 0x3c000000
	v_mov_b32_e32 v28, v9
	s_delay_alu instid0(VALU_DEP_3) | instskip(NEXT) | instid1(VALU_DEP_1)
	v_and_b32_e32 v7, 0x80000000, v7
	v_or3_b32 v29, v10, v7, v6
	v_mov_b32_e32 v7, v9
	scratch_store_b64 off, v[6:7], s32 offset:192 ; 8-byte Folded Spill
.LBB224_584:                            ;   in Loop: Header=BB224_10 Depth=1
	s_wait_xcnt 0x0
	s_or_b32 exec_lo, exec_lo, s11
.LBB224_585:                            ;   in Loop: Header=BB224_10 Depth=1
	s_delay_alu instid0(SALU_CYCLE_1)
	s_or_b32 exec_lo, exec_lo, s9
.LBB224_586:                            ;   in Loop: Header=BB224_10 Depth=1
	s_delay_alu instid0(SALU_CYCLE_1)
	s_or_b32 exec_lo, exec_lo, s8
	flat_load_b32 v6, v[26:27] offset:2056
	v_mov_b64_e32 v[32:33], 0
	v_mov_b64_e32 v[54:55], 0
	s_mov_b32 s8, exec_lo
	s_wait_loadcnt_dscnt 0x0
	v_and_b32_e32 v7, 0xff, v6
	s_wait_xcnt 0x0
	s_delay_alu instid0(VALU_DEP_1)
	v_cmpx_ne_u16_e32 0, v7
	s_cbranch_execz .LBB224_594
; %bb.587:                              ;   in Loop: Header=BB224_10 Depth=1
	v_mov_b64_e32 v[54:55], 0x80000000
	s_mov_b32 s9, exec_lo
	v_cmpx_ne_u16_e32 0x80, v7
	s_cbranch_execz .LBB224_593
; %bb.588:                              ;   in Loop: Header=BB224_10 Depth=1
	v_mov_b64_e32 v[54:55], 0x7f800001
	v_and_b32_e32 v17, 0x7f, v6
	s_mov_b32 s11, exec_lo
	s_delay_alu instid0(VALU_DEP_1)
	v_cmpx_ne_u32_e32 0x7f, v17
	s_cbranch_execz .LBB224_592
; %bb.589:                              ;   in Loop: Header=BB224_10 Depth=1
	scratch_load_b64 v[54:55], off, s32 offset:192 th:TH_LOAD_LU ; 8-byte Folded Reload
	s_wait_loadcnt 0x0
	v_dual_lshrrev_b32 v7, 3, v17 :: v_dual_bitop2_b32 v54, 7, v6 bitop3:0x40
	s_mov_b32 s16, exec_lo
	s_wait_xcnt 0x0
	v_cmpx_gt_u32_e32 8, v17
; %bb.590:                              ;   in Loop: Header=BB224_10 Depth=1
	s_delay_alu instid0(VALU_DEP_2) | instskip(NEXT) | instid1(VALU_DEP_1)
	v_clz_i32_u32_e32 v7, v54
	v_min_u32_e32 v7, 32, v7
	s_delay_alu instid0(VALU_DEP_1) | instskip(NEXT) | instid1(VALU_DEP_1)
	v_subrev_nc_u32_e32 v17, 28, v7
	v_lshlrev_b64_e32 v[36:37], v17, v[54:55]
	s_delay_alu instid0(VALU_DEP_1)
	v_dual_sub_nc_u32 v7, 29, v7 :: v_dual_bitop2_b32 v54, 7, v36 bitop3:0x40
; %bb.591:                              ;   in Loop: Header=BB224_10 Depth=1
	s_or_b32 exec_lo, exec_lo, s16
	v_lshlrev_b32_e32 v17, 24, v6
	s_delay_alu instid0(VALU_DEP_2) | instskip(NEXT) | instid1(VALU_DEP_3)
	v_lshlrev_b32_e32 v10, 20, v54
	v_lshl_add_u32 v7, v7, 23, 0x3c000000
	s_delay_alu instid0(VALU_DEP_3) | instskip(NEXT) | instid1(VALU_DEP_1)
	v_and_b32_e32 v17, 0x80000000, v17
	v_or3_b32 v54, v10, v17, v7
	v_mov_b32_e32 v7, v55
	scratch_store_b64 off, v[6:7], s32 offset:192 ; 8-byte Folded Spill
.LBB224_592:                            ;   in Loop: Header=BB224_10 Depth=1
	s_wait_xcnt 0x0
	s_or_b32 exec_lo, exec_lo, s11
.LBB224_593:                            ;   in Loop: Header=BB224_10 Depth=1
	s_delay_alu instid0(SALU_CYCLE_1)
	s_or_b32 exec_lo, exec_lo, s9
.LBB224_594:                            ;   in Loop: Header=BB224_10 Depth=1
	s_delay_alu instid0(SALU_CYCLE_1) | instskip(SKIP_2) | instid1(VALU_DEP_1)
	s_or_b32 exec_lo, exec_lo, s8
	v_lshrrev_b16 v7, 8, v6
	s_mov_b32 s8, exec_lo
	v_cmpx_ne_u16_e32 0, v7
	s_cbranch_execz .LBB224_602
; %bb.595:                              ;   in Loop: Header=BB224_10 Depth=1
	v_mov_b64_e32 v[32:33], 0x8000000000000000
	s_mov_b32 s9, exec_lo
	v_cmpx_ne_u16_e32 0x80, v7
	s_cbranch_execz .LBB224_601
; %bb.596:                              ;   in Loop: Header=BB224_10 Depth=1
	v_and_b32_e32 v7, 0xffff, v7
	v_mov_b64_e32 v[32:33], 0x7f80000100000000
	s_mov_b32 s11, exec_lo
	s_delay_alu instid0(VALU_DEP_2) | instskip(NEXT) | instid1(VALU_DEP_1)
	v_and_b32_e32 v17, 0x7f, v7
	v_cmpx_ne_u32_e32 0x7f, v17
	s_cbranch_execz .LBB224_600
; %bb.597:                              ;   in Loop: Header=BB224_10 Depth=1
	scratch_load_b64 v[8:9], off, s32 offset:192 th:TH_LOAD_LU ; 8-byte Folded Reload
	s_wait_loadcnt 0x0
	v_dual_lshrrev_b32 v7, 3, v17 :: v_dual_bitop2_b32 v8, 7, v7 bitop3:0x40
	s_mov_b32 s16, exec_lo
	s_wait_xcnt 0x0
	v_cmpx_gt_u32_e32 8, v17
; %bb.598:                              ;   in Loop: Header=BB224_10 Depth=1
	s_delay_alu instid0(VALU_DEP_2) | instskip(NEXT) | instid1(VALU_DEP_1)
	v_clz_i32_u32_e32 v7, v8
	v_min_u32_e32 v7, 32, v7
	s_delay_alu instid0(VALU_DEP_1) | instskip(NEXT) | instid1(VALU_DEP_1)
	v_subrev_nc_u32_e32 v17, 28, v7
	v_lshlrev_b64_e32 v[32:33], v17, v[8:9]
	s_delay_alu instid0(VALU_DEP_1)
	v_dual_sub_nc_u32 v7, 29, v7 :: v_dual_bitop2_b32 v8, 7, v32 bitop3:0x40
; %bb.599:                              ;   in Loop: Header=BB224_10 Depth=1
	s_or_b32 exec_lo, exec_lo, s16
	s_delay_alu instid0(VALU_DEP_1) | instskip(NEXT) | instid1(VALU_DEP_2)
	v_dual_lshlrev_b32 v17, 16, v6 :: v_dual_lshlrev_b32 v10, 20, v8
	v_lshl_add_u32 v7, v7, 23, 0x3c000000
	v_mov_b32_e32 v32, v9
	s_delay_alu instid0(VALU_DEP_3) | instskip(NEXT) | instid1(VALU_DEP_1)
	v_and_b32_e32 v17, 0x80000000, v17
	v_or3_b32 v33, v10, v17, v7
	v_mov_b32_e32 v7, v9
	scratch_store_b64 off, v[6:7], s32 offset:192 ; 8-byte Folded Spill
.LBB224_600:                            ;   in Loop: Header=BB224_10 Depth=1
	s_wait_xcnt 0x0
	s_or_b32 exec_lo, exec_lo, s11
.LBB224_601:                            ;   in Loop: Header=BB224_10 Depth=1
	s_delay_alu instid0(SALU_CYCLE_1)
	s_or_b32 exec_lo, exec_lo, s9
.LBB224_602:                            ;   in Loop: Header=BB224_10 Depth=1
	s_delay_alu instid0(SALU_CYCLE_1) | instskip(SKIP_4) | instid1(VALU_DEP_3)
	s_or_b32 exec_lo, exec_lo, s8
	v_lshrrev_b32_e32 v7, 16, v6
	v_mov_b64_e32 v[36:37], 0
	v_mov_b64_e32 v[66:67], 0
	s_mov_b32 s8, exec_lo
	v_and_b32_e32 v10, 0xff, v7
	s_delay_alu instid0(VALU_DEP_1)
	v_cmpx_ne_u16_e32 0, v10
	s_cbranch_execz .LBB224_610
; %bb.603:                              ;   in Loop: Header=BB224_10 Depth=1
	v_mov_b64_e32 v[66:67], 0x80000000
	s_mov_b32 s9, exec_lo
	v_cmpx_ne_u16_e32 0x80, v10
	s_cbranch_execz .LBB224_609
; %bb.604:                              ;   in Loop: Header=BB224_10 Depth=1
	v_mov_b64_e32 v[66:67], 0x7f800001
	v_bfe_u32 v48, v6, 16, 7
	s_mov_b32 s11, exec_lo
	s_delay_alu instid0(VALU_DEP_1)
	v_cmpx_ne_u32_e32 0x7f, v48
	s_cbranch_execz .LBB224_608
; %bb.605:                              ;   in Loop: Header=BB224_10 Depth=1
	scratch_load_b64 v[66:67], off, s32 offset:192 th:TH_LOAD_LU ; 8-byte Folded Reload
	s_wait_loadcnt 0x0
	v_dual_lshrrev_b32 v17, 3, v48 :: v_dual_bitop2_b32 v66, 7, v7 bitop3:0x40
	s_mov_b32 s16, exec_lo
	s_wait_xcnt 0x0
	v_cmpx_gt_u32_e32 8, v48
; %bb.606:                              ;   in Loop: Header=BB224_10 Depth=1
	s_delay_alu instid0(VALU_DEP_2) | instskip(NEXT) | instid1(VALU_DEP_1)
	v_clz_i32_u32_e32 v17, v66
	v_min_u32_e32 v17, 32, v17
	s_delay_alu instid0(VALU_DEP_1) | instskip(NEXT) | instid1(VALU_DEP_1)
	v_subrev_nc_u32_e32 v48, 28, v17
	v_lshlrev_b64_e32 v[48:49], v48, v[66:67]
	s_delay_alu instid0(VALU_DEP_1)
	v_dual_sub_nc_u32 v17, 29, v17 :: v_dual_bitop2_b32 v66, 7, v48 bitop3:0x40
; %bb.607:                              ;   in Loop: Header=BB224_10 Depth=1
	s_or_b32 exec_lo, exec_lo, s16
	s_delay_alu instid0(VALU_DEP_1) | instskip(NEXT) | instid1(VALU_DEP_2)
	v_dual_lshlrev_b32 v7, 24, v7 :: v_dual_lshlrev_b32 v10, 20, v66
	v_lshl_add_u32 v17, v17, 23, 0x3c000000
	s_delay_alu instid0(VALU_DEP_2) | instskip(NEXT) | instid1(VALU_DEP_1)
	v_and_b32_e32 v7, 0x80000000, v7
	v_or3_b32 v66, v10, v7, v17
	v_mov_b32_e32 v7, v67
	scratch_store_b64 off, v[6:7], s32 offset:192 ; 8-byte Folded Spill
.LBB224_608:                            ;   in Loop: Header=BB224_10 Depth=1
	s_wait_xcnt 0x0
	s_or_b32 exec_lo, exec_lo, s11
.LBB224_609:                            ;   in Loop: Header=BB224_10 Depth=1
	s_delay_alu instid0(SALU_CYCLE_1)
	s_or_b32 exec_lo, exec_lo, s9
.LBB224_610:                            ;   in Loop: Header=BB224_10 Depth=1
	s_delay_alu instid0(SALU_CYCLE_1) | instskip(NEXT) | instid1(SALU_CYCLE_1)
	s_or_b32 exec_lo, exec_lo, s8
	s_mov_b32 s8, exec_lo
	v_cmpx_lt_u32_e32 0xffffff, v6
	s_cbranch_execz .LBB224_618
; %bb.611:                              ;   in Loop: Header=BB224_10 Depth=1
	v_mov_b64_e32 v[36:37], 0x8000000000000000
	v_lshrrev_b32_e32 v7, 24, v6
	s_mov_b32 s9, exec_lo
	s_delay_alu instid0(VALU_DEP_1)
	v_cmpx_ne_u32_e32 0x80, v7
	s_cbranch_execz .LBB224_617
; %bb.612:                              ;   in Loop: Header=BB224_10 Depth=1
	v_mov_b64_e32 v[36:37], 0x7f80000100000000
	v_bfe_u32 v17, v6, 24, 7
	s_mov_b32 s11, exec_lo
	s_delay_alu instid0(VALU_DEP_1)
	v_cmpx_ne_u32_e32 0x7f, v17
	s_cbranch_execz .LBB224_616
; %bb.613:                              ;   in Loop: Header=BB224_10 Depth=1
	scratch_load_b64 v[8:9], off, s32 offset:192 th:TH_LOAD_LU ; 8-byte Folded Reload
	s_wait_loadcnt 0x0
	v_dual_lshrrev_b32 v6, 3, v17 :: v_dual_bitop2_b32 v8, 7, v7 bitop3:0x40
	s_mov_b32 s16, exec_lo
	s_wait_xcnt 0x0
	v_cmpx_gt_u32_e32 8, v17
; %bb.614:                              ;   in Loop: Header=BB224_10 Depth=1
	s_delay_alu instid0(VALU_DEP_2) | instskip(NEXT) | instid1(VALU_DEP_1)
	v_clz_i32_u32_e32 v6, v8
	v_min_u32_e32 v6, 32, v6
	s_delay_alu instid0(VALU_DEP_1) | instskip(NEXT) | instid1(VALU_DEP_1)
	v_subrev_nc_u32_e32 v17, 28, v6
	v_lshlrev_b64_e32 v[36:37], v17, v[8:9]
	s_delay_alu instid0(VALU_DEP_1)
	v_dual_sub_nc_u32 v6, 29, v6 :: v_dual_bitop2_b32 v8, 7, v36 bitop3:0x40
; %bb.615:                              ;   in Loop: Header=BB224_10 Depth=1
	s_or_b32 exec_lo, exec_lo, s16
	s_delay_alu instid0(VALU_DEP_1) | instskip(NEXT) | instid1(VALU_DEP_2)
	v_dual_lshlrev_b32 v7, 24, v7 :: v_dual_lshlrev_b32 v10, 20, v8
	v_lshl_add_u32 v6, v6, 23, 0x3c000000
	v_mov_b32_e32 v36, v9
	s_delay_alu instid0(VALU_DEP_3) | instskip(NEXT) | instid1(VALU_DEP_1)
	v_and_b32_e32 v7, 0x80000000, v7
	v_or3_b32 v37, v10, v7, v6
	v_mov_b32_e32 v7, v9
	scratch_store_b64 off, v[6:7], s32 offset:192 ; 8-byte Folded Spill
.LBB224_616:                            ;   in Loop: Header=BB224_10 Depth=1
	s_wait_xcnt 0x0
	s_or_b32 exec_lo, exec_lo, s11
.LBB224_617:                            ;   in Loop: Header=BB224_10 Depth=1
	s_delay_alu instid0(SALU_CYCLE_1)
	s_or_b32 exec_lo, exec_lo, s9
.LBB224_618:                            ;   in Loop: Header=BB224_10 Depth=1
	s_delay_alu instid0(SALU_CYCLE_1)
	s_or_b32 exec_lo, exec_lo, s8
	flat_load_b32 v6, v[26:27] offset:2060
	v_mov_b64_e32 v[48:49], 0
	v_mov_b64_e32 v[70:71], 0
	s_mov_b32 s8, exec_lo
	s_wait_loadcnt_dscnt 0x0
	v_and_b32_e32 v7, 0xff, v6
	s_wait_xcnt 0x0
	s_delay_alu instid0(VALU_DEP_1)
	v_cmpx_ne_u16_e32 0, v7
	s_cbranch_execz .LBB224_626
; %bb.619:                              ;   in Loop: Header=BB224_10 Depth=1
	v_mov_b64_e32 v[70:71], 0x80000000
	s_mov_b32 s9, exec_lo
	v_cmpx_ne_u16_e32 0x80, v7
	s_cbranch_execz .LBB224_625
; %bb.620:                              ;   in Loop: Header=BB224_10 Depth=1
	v_mov_b64_e32 v[70:71], 0x7f800001
	v_and_b32_e32 v17, 0x7f, v6
	s_mov_b32 s11, exec_lo
	s_delay_alu instid0(VALU_DEP_1)
	v_cmpx_ne_u32_e32 0x7f, v17
	s_cbranch_execz .LBB224_624
; %bb.621:                              ;   in Loop: Header=BB224_10 Depth=1
	scratch_load_b64 v[70:71], off, s32 offset:192 th:TH_LOAD_LU ; 8-byte Folded Reload
	s_wait_loadcnt 0x0
	v_dual_lshrrev_b32 v7, 3, v17 :: v_dual_bitop2_b32 v70, 7, v6 bitop3:0x40
	s_mov_b32 s16, exec_lo
	s_wait_xcnt 0x0
	v_cmpx_gt_u32_e32 8, v17
; %bb.622:                              ;   in Loop: Header=BB224_10 Depth=1
	s_delay_alu instid0(VALU_DEP_2) | instskip(NEXT) | instid1(VALU_DEP_1)
	v_clz_i32_u32_e32 v7, v70
	v_min_u32_e32 v7, 32, v7
	s_delay_alu instid0(VALU_DEP_1) | instskip(NEXT) | instid1(VALU_DEP_1)
	v_subrev_nc_u32_e32 v17, 28, v7
	v_lshlrev_b64_e32 v[52:53], v17, v[70:71]
	s_delay_alu instid0(VALU_DEP_1)
	v_dual_sub_nc_u32 v7, 29, v7 :: v_dual_bitop2_b32 v70, 7, v52 bitop3:0x40
; %bb.623:                              ;   in Loop: Header=BB224_10 Depth=1
	s_or_b32 exec_lo, exec_lo, s16
	v_lshlrev_b32_e32 v17, 24, v6
	s_delay_alu instid0(VALU_DEP_2) | instskip(NEXT) | instid1(VALU_DEP_3)
	v_lshlrev_b32_e32 v10, 20, v70
	v_lshl_add_u32 v7, v7, 23, 0x3c000000
	s_delay_alu instid0(VALU_DEP_3) | instskip(NEXT) | instid1(VALU_DEP_1)
	v_and_b32_e32 v17, 0x80000000, v17
	v_or3_b32 v70, v10, v17, v7
	v_mov_b32_e32 v7, v71
	scratch_store_b64 off, v[6:7], s32 offset:192 ; 8-byte Folded Spill
.LBB224_624:                            ;   in Loop: Header=BB224_10 Depth=1
	s_wait_xcnt 0x0
	s_or_b32 exec_lo, exec_lo, s11
.LBB224_625:                            ;   in Loop: Header=BB224_10 Depth=1
	s_delay_alu instid0(SALU_CYCLE_1)
	s_or_b32 exec_lo, exec_lo, s9
.LBB224_626:                            ;   in Loop: Header=BB224_10 Depth=1
	s_delay_alu instid0(SALU_CYCLE_1) | instskip(SKIP_2) | instid1(VALU_DEP_1)
	s_or_b32 exec_lo, exec_lo, s8
	v_lshrrev_b16 v7, 8, v6
	s_mov_b32 s8, exec_lo
	v_cmpx_ne_u16_e32 0, v7
	s_cbranch_execz .LBB224_634
; %bb.627:                              ;   in Loop: Header=BB224_10 Depth=1
	v_mov_b64_e32 v[48:49], 0x8000000000000000
	s_mov_b32 s9, exec_lo
	v_cmpx_ne_u16_e32 0x80, v7
	s_cbranch_execz .LBB224_633
; %bb.628:                              ;   in Loop: Header=BB224_10 Depth=1
	v_and_b32_e32 v7, 0xffff, v7
	v_mov_b64_e32 v[48:49], 0x7f80000100000000
	s_mov_b32 s11, exec_lo
	s_delay_alu instid0(VALU_DEP_2) | instskip(NEXT) | instid1(VALU_DEP_1)
	v_and_b32_e32 v17, 0x7f, v7
	v_cmpx_ne_u32_e32 0x7f, v17
	s_cbranch_execz .LBB224_632
; %bb.629:                              ;   in Loop: Header=BB224_10 Depth=1
	scratch_load_b64 v[8:9], off, s32 offset:192 th:TH_LOAD_LU ; 8-byte Folded Reload
	s_wait_loadcnt 0x0
	v_dual_lshrrev_b32 v7, 3, v17 :: v_dual_bitop2_b32 v8, 7, v7 bitop3:0x40
	s_mov_b32 s16, exec_lo
	s_wait_xcnt 0x0
	v_cmpx_gt_u32_e32 8, v17
; %bb.630:                              ;   in Loop: Header=BB224_10 Depth=1
	s_delay_alu instid0(VALU_DEP_2) | instskip(NEXT) | instid1(VALU_DEP_1)
	v_clz_i32_u32_e32 v7, v8
	v_min_u32_e32 v7, 32, v7
	s_delay_alu instid0(VALU_DEP_1) | instskip(NEXT) | instid1(VALU_DEP_1)
	v_subrev_nc_u32_e32 v17, 28, v7
	v_lshlrev_b64_e32 v[48:49], v17, v[8:9]
	s_delay_alu instid0(VALU_DEP_1)
	v_dual_sub_nc_u32 v7, 29, v7 :: v_dual_bitop2_b32 v8, 7, v48 bitop3:0x40
; %bb.631:                              ;   in Loop: Header=BB224_10 Depth=1
	s_or_b32 exec_lo, exec_lo, s16
	s_delay_alu instid0(VALU_DEP_1) | instskip(NEXT) | instid1(VALU_DEP_2)
	v_dual_lshlrev_b32 v17, 16, v6 :: v_dual_lshlrev_b32 v10, 20, v8
	v_lshl_add_u32 v7, v7, 23, 0x3c000000
	v_mov_b32_e32 v48, v9
	s_delay_alu instid0(VALU_DEP_3) | instskip(NEXT) | instid1(VALU_DEP_1)
	v_and_b32_e32 v17, 0x80000000, v17
	v_or3_b32 v49, v10, v17, v7
	v_mov_b32_e32 v7, v9
	scratch_store_b64 off, v[6:7], s32 offset:192 ; 8-byte Folded Spill
.LBB224_632:                            ;   in Loop: Header=BB224_10 Depth=1
	s_wait_xcnt 0x0
	s_or_b32 exec_lo, exec_lo, s11
.LBB224_633:                            ;   in Loop: Header=BB224_10 Depth=1
	s_delay_alu instid0(SALU_CYCLE_1)
	s_or_b32 exec_lo, exec_lo, s9
.LBB224_634:                            ;   in Loop: Header=BB224_10 Depth=1
	s_delay_alu instid0(SALU_CYCLE_1) | instskip(SKIP_4) | instid1(VALU_DEP_3)
	s_or_b32 exec_lo, exec_lo, s8
	v_lshrrev_b32_e32 v7, 16, v6
	v_mov_b64_e32 v[52:53], 0
	v_mov_b64_e32 v[82:83], 0
	s_mov_b32 s8, exec_lo
	v_and_b32_e32 v10, 0xff, v7
	s_delay_alu instid0(VALU_DEP_1)
	v_cmpx_ne_u16_e32 0, v10
	s_cbranch_execz .LBB224_642
; %bb.635:                              ;   in Loop: Header=BB224_10 Depth=1
	v_mov_b64_e32 v[82:83], 0x80000000
	s_mov_b32 s9, exec_lo
	v_cmpx_ne_u16_e32 0x80, v10
	s_cbranch_execz .LBB224_641
; %bb.636:                              ;   in Loop: Header=BB224_10 Depth=1
	v_mov_b64_e32 v[82:83], 0x7f800001
	v_bfe_u32 v64, v6, 16, 7
	s_mov_b32 s11, exec_lo
	s_delay_alu instid0(VALU_DEP_1)
	v_cmpx_ne_u32_e32 0x7f, v64
	s_cbranch_execz .LBB224_640
; %bb.637:                              ;   in Loop: Header=BB224_10 Depth=1
	scratch_load_b64 v[82:83], off, s32 offset:192 th:TH_LOAD_LU ; 8-byte Folded Reload
	s_wait_loadcnt 0x0
	v_dual_lshrrev_b32 v17, 3, v64 :: v_dual_bitop2_b32 v82, 7, v7 bitop3:0x40
	s_mov_b32 s16, exec_lo
	s_wait_xcnt 0x0
	v_cmpx_gt_u32_e32 8, v64
; %bb.638:                              ;   in Loop: Header=BB224_10 Depth=1
	s_delay_alu instid0(VALU_DEP_2) | instskip(NEXT) | instid1(VALU_DEP_1)
	v_clz_i32_u32_e32 v17, v82
	v_min_u32_e32 v17, 32, v17
	s_delay_alu instid0(VALU_DEP_1) | instskip(NEXT) | instid1(VALU_DEP_1)
	v_subrev_nc_u32_e32 v64, 28, v17
	v_lshlrev_b64_e32 v[64:65], v64, v[82:83]
	s_delay_alu instid0(VALU_DEP_1)
	v_dual_sub_nc_u32 v17, 29, v17 :: v_dual_bitop2_b32 v82, 7, v64 bitop3:0x40
; %bb.639:                              ;   in Loop: Header=BB224_10 Depth=1
	s_or_b32 exec_lo, exec_lo, s16
	s_delay_alu instid0(VALU_DEP_1) | instskip(NEXT) | instid1(VALU_DEP_2)
	v_dual_lshlrev_b32 v7, 24, v7 :: v_dual_lshlrev_b32 v10, 20, v82
	v_lshl_add_u32 v17, v17, 23, 0x3c000000
	s_delay_alu instid0(VALU_DEP_2) | instskip(NEXT) | instid1(VALU_DEP_1)
	v_and_b32_e32 v7, 0x80000000, v7
	v_or3_b32 v82, v10, v7, v17
	v_mov_b32_e32 v7, v83
	scratch_store_b64 off, v[6:7], s32 offset:192 ; 8-byte Folded Spill
.LBB224_640:                            ;   in Loop: Header=BB224_10 Depth=1
	s_wait_xcnt 0x0
	s_or_b32 exec_lo, exec_lo, s11
.LBB224_641:                            ;   in Loop: Header=BB224_10 Depth=1
	s_delay_alu instid0(SALU_CYCLE_1)
	s_or_b32 exec_lo, exec_lo, s9
.LBB224_642:                            ;   in Loop: Header=BB224_10 Depth=1
	s_delay_alu instid0(SALU_CYCLE_1) | instskip(NEXT) | instid1(SALU_CYCLE_1)
	s_or_b32 exec_lo, exec_lo, s8
	s_mov_b32 s8, exec_lo
	v_cmpx_lt_u32_e32 0xffffff, v6
	s_cbranch_execz .LBB224_650
; %bb.643:                              ;   in Loop: Header=BB224_10 Depth=1
	v_mov_b64_e32 v[52:53], 0x8000000000000000
	v_lshrrev_b32_e32 v7, 24, v6
	s_mov_b32 s9, exec_lo
	s_delay_alu instid0(VALU_DEP_1)
	v_cmpx_ne_u32_e32 0x80, v7
	s_cbranch_execz .LBB224_649
; %bb.644:                              ;   in Loop: Header=BB224_10 Depth=1
	v_mov_b64_e32 v[52:53], 0x7f80000100000000
	v_bfe_u32 v17, v6, 24, 7
	s_mov_b32 s11, exec_lo
	s_delay_alu instid0(VALU_DEP_1)
	v_cmpx_ne_u32_e32 0x7f, v17
	s_cbranch_execz .LBB224_648
; %bb.645:                              ;   in Loop: Header=BB224_10 Depth=1
	scratch_load_b64 v[8:9], off, s32 offset:192 th:TH_LOAD_LU ; 8-byte Folded Reload
	s_wait_loadcnt 0x0
	v_dual_lshrrev_b32 v6, 3, v17 :: v_dual_bitop2_b32 v8, 7, v7 bitop3:0x40
	s_mov_b32 s16, exec_lo
	s_wait_xcnt 0x0
	v_cmpx_gt_u32_e32 8, v17
; %bb.646:                              ;   in Loop: Header=BB224_10 Depth=1
	s_delay_alu instid0(VALU_DEP_2) | instskip(NEXT) | instid1(VALU_DEP_1)
	v_clz_i32_u32_e32 v6, v8
	v_min_u32_e32 v6, 32, v6
	s_delay_alu instid0(VALU_DEP_1) | instskip(NEXT) | instid1(VALU_DEP_1)
	v_subrev_nc_u32_e32 v17, 28, v6
	v_lshlrev_b64_e32 v[52:53], v17, v[8:9]
	s_delay_alu instid0(VALU_DEP_1)
	v_dual_sub_nc_u32 v6, 29, v6 :: v_dual_bitop2_b32 v8, 7, v52 bitop3:0x40
; %bb.647:                              ;   in Loop: Header=BB224_10 Depth=1
	s_or_b32 exec_lo, exec_lo, s16
	s_delay_alu instid0(VALU_DEP_1) | instskip(NEXT) | instid1(VALU_DEP_2)
	v_dual_lshlrev_b32 v7, 24, v7 :: v_dual_lshlrev_b32 v10, 20, v8
	v_lshl_add_u32 v6, v6, 23, 0x3c000000
	v_mov_b32_e32 v52, v9
	s_delay_alu instid0(VALU_DEP_3) | instskip(NEXT) | instid1(VALU_DEP_1)
	v_and_b32_e32 v7, 0x80000000, v7
	v_or3_b32 v53, v10, v7, v6
	v_mov_b32_e32 v7, v9
	scratch_store_b64 off, v[6:7], s32 offset:192 ; 8-byte Folded Spill
.LBB224_648:                            ;   in Loop: Header=BB224_10 Depth=1
	s_wait_xcnt 0x0
	s_or_b32 exec_lo, exec_lo, s11
.LBB224_649:                            ;   in Loop: Header=BB224_10 Depth=1
	s_delay_alu instid0(SALU_CYCLE_1)
	s_or_b32 exec_lo, exec_lo, s9
.LBB224_650:                            ;   in Loop: Header=BB224_10 Depth=1
	s_delay_alu instid0(SALU_CYCLE_1)
	s_or_b32 exec_lo, exec_lo, s8
	flat_load_b32 v6, v[26:27] offset:2560
	v_mov_b64_e32 v[64:65], 0
	v_mov_b64_e32 v[86:87], 0
	s_mov_b32 s8, exec_lo
	s_wait_loadcnt_dscnt 0x0
	v_and_b32_e32 v7, 0xff, v6
	s_wait_xcnt 0x0
	s_delay_alu instid0(VALU_DEP_1)
	v_cmpx_ne_u16_e32 0, v7
	s_cbranch_execz .LBB224_658
; %bb.651:                              ;   in Loop: Header=BB224_10 Depth=1
	v_mov_b64_e32 v[86:87], 0x80000000
	s_mov_b32 s9, exec_lo
	v_cmpx_ne_u16_e32 0x80, v7
	s_cbranch_execz .LBB224_657
; %bb.652:                              ;   in Loop: Header=BB224_10 Depth=1
	v_mov_b64_e32 v[86:87], 0x7f800001
	v_and_b32_e32 v17, 0x7f, v6
	s_mov_b32 s11, exec_lo
	s_delay_alu instid0(VALU_DEP_1)
	v_cmpx_ne_u32_e32 0x7f, v17
	s_cbranch_execz .LBB224_656
; %bb.653:                              ;   in Loop: Header=BB224_10 Depth=1
	scratch_load_b64 v[86:87], off, s32 offset:192 th:TH_LOAD_LU ; 8-byte Folded Reload
	s_wait_loadcnt 0x0
	v_dual_lshrrev_b32 v7, 3, v17 :: v_dual_bitop2_b32 v86, 7, v6 bitop3:0x40
	s_mov_b32 s16, exec_lo
	s_wait_xcnt 0x0
	v_cmpx_gt_u32_e32 8, v17
; %bb.654:                              ;   in Loop: Header=BB224_10 Depth=1
	s_delay_alu instid0(VALU_DEP_2) | instskip(NEXT) | instid1(VALU_DEP_1)
	v_clz_i32_u32_e32 v7, v86
	v_min_u32_e32 v7, 32, v7
	s_delay_alu instid0(VALU_DEP_1) | instskip(NEXT) | instid1(VALU_DEP_1)
	v_subrev_nc_u32_e32 v17, 28, v7
	v_lshlrev_b64_e32 v[68:69], v17, v[86:87]
	s_delay_alu instid0(VALU_DEP_1)
	v_dual_sub_nc_u32 v7, 29, v7 :: v_dual_bitop2_b32 v86, 7, v68 bitop3:0x40
; %bb.655:                              ;   in Loop: Header=BB224_10 Depth=1
	s_or_b32 exec_lo, exec_lo, s16
	v_lshlrev_b32_e32 v17, 24, v6
	s_delay_alu instid0(VALU_DEP_2) | instskip(NEXT) | instid1(VALU_DEP_3)
	v_lshlrev_b32_e32 v10, 20, v86
	v_lshl_add_u32 v7, v7, 23, 0x3c000000
	s_delay_alu instid0(VALU_DEP_3) | instskip(NEXT) | instid1(VALU_DEP_1)
	v_and_b32_e32 v17, 0x80000000, v17
	v_or3_b32 v86, v10, v17, v7
	v_mov_b32_e32 v7, v87
	scratch_store_b64 off, v[6:7], s32 offset:192 ; 8-byte Folded Spill
.LBB224_656:                            ;   in Loop: Header=BB224_10 Depth=1
	s_wait_xcnt 0x0
	s_or_b32 exec_lo, exec_lo, s11
.LBB224_657:                            ;   in Loop: Header=BB224_10 Depth=1
	s_delay_alu instid0(SALU_CYCLE_1)
	s_or_b32 exec_lo, exec_lo, s9
.LBB224_658:                            ;   in Loop: Header=BB224_10 Depth=1
	s_delay_alu instid0(SALU_CYCLE_1) | instskip(SKIP_2) | instid1(VALU_DEP_1)
	s_or_b32 exec_lo, exec_lo, s8
	v_lshrrev_b16 v7, 8, v6
	s_mov_b32 s8, exec_lo
	v_cmpx_ne_u16_e32 0, v7
	s_cbranch_execz .LBB224_666
; %bb.659:                              ;   in Loop: Header=BB224_10 Depth=1
	v_mov_b64_e32 v[64:65], 0x8000000000000000
	s_mov_b32 s9, exec_lo
	v_cmpx_ne_u16_e32 0x80, v7
	s_cbranch_execz .LBB224_665
; %bb.660:                              ;   in Loop: Header=BB224_10 Depth=1
	v_and_b32_e32 v7, 0xffff, v7
	v_mov_b64_e32 v[64:65], 0x7f80000100000000
	s_mov_b32 s11, exec_lo
	s_delay_alu instid0(VALU_DEP_2) | instskip(NEXT) | instid1(VALU_DEP_1)
	v_and_b32_e32 v17, 0x7f, v7
	v_cmpx_ne_u32_e32 0x7f, v17
	s_cbranch_execz .LBB224_664
; %bb.661:                              ;   in Loop: Header=BB224_10 Depth=1
	scratch_load_b64 v[8:9], off, s32 offset:192 th:TH_LOAD_LU ; 8-byte Folded Reload
	s_wait_loadcnt 0x0
	v_dual_lshrrev_b32 v7, 3, v17 :: v_dual_bitop2_b32 v8, 7, v7 bitop3:0x40
	s_mov_b32 s16, exec_lo
	s_wait_xcnt 0x0
	v_cmpx_gt_u32_e32 8, v17
; %bb.662:                              ;   in Loop: Header=BB224_10 Depth=1
	s_delay_alu instid0(VALU_DEP_2) | instskip(NEXT) | instid1(VALU_DEP_1)
	v_clz_i32_u32_e32 v7, v8
	v_min_u32_e32 v7, 32, v7
	s_delay_alu instid0(VALU_DEP_1) | instskip(NEXT) | instid1(VALU_DEP_1)
	v_subrev_nc_u32_e32 v17, 28, v7
	v_lshlrev_b64_e32 v[64:65], v17, v[8:9]
	s_delay_alu instid0(VALU_DEP_1)
	v_dual_sub_nc_u32 v7, 29, v7 :: v_dual_bitop2_b32 v8, 7, v64 bitop3:0x40
; %bb.663:                              ;   in Loop: Header=BB224_10 Depth=1
	s_or_b32 exec_lo, exec_lo, s16
	s_delay_alu instid0(VALU_DEP_1) | instskip(NEXT) | instid1(VALU_DEP_2)
	v_dual_lshlrev_b32 v17, 16, v6 :: v_dual_lshlrev_b32 v10, 20, v8
	v_lshl_add_u32 v7, v7, 23, 0x3c000000
	v_mov_b32_e32 v64, v9
	s_delay_alu instid0(VALU_DEP_3) | instskip(NEXT) | instid1(VALU_DEP_1)
	v_and_b32_e32 v17, 0x80000000, v17
	v_or3_b32 v65, v10, v17, v7
	v_mov_b32_e32 v7, v9
	scratch_store_b64 off, v[6:7], s32 offset:192 ; 8-byte Folded Spill
.LBB224_664:                            ;   in Loop: Header=BB224_10 Depth=1
	s_wait_xcnt 0x0
	s_or_b32 exec_lo, exec_lo, s11
.LBB224_665:                            ;   in Loop: Header=BB224_10 Depth=1
	s_delay_alu instid0(SALU_CYCLE_1)
	s_or_b32 exec_lo, exec_lo, s9
.LBB224_666:                            ;   in Loop: Header=BB224_10 Depth=1
	s_delay_alu instid0(SALU_CYCLE_1) | instskip(SKIP_4) | instid1(VALU_DEP_3)
	s_or_b32 exec_lo, exec_lo, s8
	v_lshrrev_b32_e32 v7, 16, v6
	v_mov_b64_e32 v[68:69], 0
	v_mov_b64_e32 v[98:99], 0
	s_mov_b32 s8, exec_lo
	v_and_b32_e32 v10, 0xff, v7
	s_delay_alu instid0(VALU_DEP_1)
	v_cmpx_ne_u16_e32 0, v10
	s_cbranch_execz .LBB224_674
; %bb.667:                              ;   in Loop: Header=BB224_10 Depth=1
	v_mov_b64_e32 v[98:99], 0x80000000
	s_mov_b32 s9, exec_lo
	v_cmpx_ne_u16_e32 0x80, v10
	s_cbranch_execz .LBB224_673
; %bb.668:                              ;   in Loop: Header=BB224_10 Depth=1
	v_mov_b64_e32 v[98:99], 0x7f800001
	v_bfe_u32 v80, v6, 16, 7
	s_mov_b32 s11, exec_lo
	s_delay_alu instid0(VALU_DEP_1)
	v_cmpx_ne_u32_e32 0x7f, v80
	s_cbranch_execz .LBB224_672
; %bb.669:                              ;   in Loop: Header=BB224_10 Depth=1
	scratch_load_b64 v[98:99], off, s32 offset:192 th:TH_LOAD_LU ; 8-byte Folded Reload
	s_wait_loadcnt 0x0
	v_dual_lshrrev_b32 v17, 3, v80 :: v_dual_bitop2_b32 v98, 7, v7 bitop3:0x40
	s_mov_b32 s16, exec_lo
	s_wait_xcnt 0x0
	v_cmpx_gt_u32_e32 8, v80
; %bb.670:                              ;   in Loop: Header=BB224_10 Depth=1
	s_delay_alu instid0(VALU_DEP_2) | instskip(NEXT) | instid1(VALU_DEP_1)
	v_clz_i32_u32_e32 v17, v98
	v_min_u32_e32 v17, 32, v17
	s_delay_alu instid0(VALU_DEP_1) | instskip(NEXT) | instid1(VALU_DEP_1)
	v_subrev_nc_u32_e32 v80, 28, v17
	v_lshlrev_b64_e32 v[80:81], v80, v[98:99]
	s_delay_alu instid0(VALU_DEP_1)
	v_dual_sub_nc_u32 v17, 29, v17 :: v_dual_bitop2_b32 v98, 7, v80 bitop3:0x40
; %bb.671:                              ;   in Loop: Header=BB224_10 Depth=1
	s_or_b32 exec_lo, exec_lo, s16
	s_delay_alu instid0(VALU_DEP_1) | instskip(NEXT) | instid1(VALU_DEP_2)
	v_dual_lshlrev_b32 v7, 24, v7 :: v_dual_lshlrev_b32 v10, 20, v98
	v_lshl_add_u32 v17, v17, 23, 0x3c000000
	s_delay_alu instid0(VALU_DEP_2) | instskip(NEXT) | instid1(VALU_DEP_1)
	v_and_b32_e32 v7, 0x80000000, v7
	v_or3_b32 v98, v10, v7, v17
	v_mov_b32_e32 v7, v99
	scratch_store_b64 off, v[6:7], s32 offset:192 ; 8-byte Folded Spill
.LBB224_672:                            ;   in Loop: Header=BB224_10 Depth=1
	s_wait_xcnt 0x0
	s_or_b32 exec_lo, exec_lo, s11
.LBB224_673:                            ;   in Loop: Header=BB224_10 Depth=1
	s_delay_alu instid0(SALU_CYCLE_1)
	s_or_b32 exec_lo, exec_lo, s9
.LBB224_674:                            ;   in Loop: Header=BB224_10 Depth=1
	s_delay_alu instid0(SALU_CYCLE_1) | instskip(NEXT) | instid1(SALU_CYCLE_1)
	s_or_b32 exec_lo, exec_lo, s8
	s_mov_b32 s8, exec_lo
	v_cmpx_lt_u32_e32 0xffffff, v6
	s_cbranch_execz .LBB224_682
; %bb.675:                              ;   in Loop: Header=BB224_10 Depth=1
	v_mov_b64_e32 v[68:69], 0x8000000000000000
	v_lshrrev_b32_e32 v7, 24, v6
	s_mov_b32 s9, exec_lo
	s_delay_alu instid0(VALU_DEP_1)
	v_cmpx_ne_u32_e32 0x80, v7
	s_cbranch_execz .LBB224_681
; %bb.676:                              ;   in Loop: Header=BB224_10 Depth=1
	v_mov_b64_e32 v[68:69], 0x7f80000100000000
	v_bfe_u32 v17, v6, 24, 7
	s_mov_b32 s11, exec_lo
	s_delay_alu instid0(VALU_DEP_1)
	v_cmpx_ne_u32_e32 0x7f, v17
	s_cbranch_execz .LBB224_680
; %bb.677:                              ;   in Loop: Header=BB224_10 Depth=1
	scratch_load_b64 v[8:9], off, s32 offset:192 th:TH_LOAD_LU ; 8-byte Folded Reload
	s_wait_loadcnt 0x0
	v_dual_lshrrev_b32 v6, 3, v17 :: v_dual_bitop2_b32 v8, 7, v7 bitop3:0x40
	s_mov_b32 s16, exec_lo
	s_wait_xcnt 0x0
	v_cmpx_gt_u32_e32 8, v17
; %bb.678:                              ;   in Loop: Header=BB224_10 Depth=1
	s_delay_alu instid0(VALU_DEP_2) | instskip(NEXT) | instid1(VALU_DEP_1)
	v_clz_i32_u32_e32 v6, v8
	v_min_u32_e32 v6, 32, v6
	s_delay_alu instid0(VALU_DEP_1) | instskip(NEXT) | instid1(VALU_DEP_1)
	v_subrev_nc_u32_e32 v17, 28, v6
	v_lshlrev_b64_e32 v[68:69], v17, v[8:9]
	s_delay_alu instid0(VALU_DEP_1)
	v_dual_sub_nc_u32 v6, 29, v6 :: v_dual_bitop2_b32 v8, 7, v68 bitop3:0x40
; %bb.679:                              ;   in Loop: Header=BB224_10 Depth=1
	s_or_b32 exec_lo, exec_lo, s16
	s_delay_alu instid0(VALU_DEP_1) | instskip(NEXT) | instid1(VALU_DEP_2)
	v_dual_lshlrev_b32 v7, 24, v7 :: v_dual_lshlrev_b32 v10, 20, v8
	v_lshl_add_u32 v6, v6, 23, 0x3c000000
	v_mov_b32_e32 v68, v9
	s_delay_alu instid0(VALU_DEP_3) | instskip(NEXT) | instid1(VALU_DEP_1)
	v_and_b32_e32 v7, 0x80000000, v7
	v_or3_b32 v69, v10, v7, v6
	v_mov_b32_e32 v7, v9
	scratch_store_b64 off, v[6:7], s32 offset:192 ; 8-byte Folded Spill
.LBB224_680:                            ;   in Loop: Header=BB224_10 Depth=1
	s_wait_xcnt 0x0
	s_or_b32 exec_lo, exec_lo, s11
.LBB224_681:                            ;   in Loop: Header=BB224_10 Depth=1
	s_delay_alu instid0(SALU_CYCLE_1)
	s_or_b32 exec_lo, exec_lo, s9
.LBB224_682:                            ;   in Loop: Header=BB224_10 Depth=1
	s_delay_alu instid0(SALU_CYCLE_1)
	s_or_b32 exec_lo, exec_lo, s8
	flat_load_b32 v6, v[26:27] offset:2564
	v_mov_b64_e32 v[80:81], 0
	v_mov_b64_e32 v[102:103], 0
	s_mov_b32 s8, exec_lo
	s_wait_loadcnt_dscnt 0x0
	v_and_b32_e32 v7, 0xff, v6
	s_wait_xcnt 0x0
	s_delay_alu instid0(VALU_DEP_1)
	v_cmpx_ne_u16_e32 0, v7
	s_cbranch_execz .LBB224_690
; %bb.683:                              ;   in Loop: Header=BB224_10 Depth=1
	v_mov_b64_e32 v[102:103], 0x80000000
	s_mov_b32 s9, exec_lo
	v_cmpx_ne_u16_e32 0x80, v7
	s_cbranch_execz .LBB224_689
; %bb.684:                              ;   in Loop: Header=BB224_10 Depth=1
	v_mov_b64_e32 v[102:103], 0x7f800001
	v_and_b32_e32 v17, 0x7f, v6
	s_mov_b32 s11, exec_lo
	s_delay_alu instid0(VALU_DEP_1)
	v_cmpx_ne_u32_e32 0x7f, v17
	s_cbranch_execz .LBB224_688
; %bb.685:                              ;   in Loop: Header=BB224_10 Depth=1
	scratch_load_b64 v[102:103], off, s32 offset:192 th:TH_LOAD_LU ; 8-byte Folded Reload
	s_wait_loadcnt 0x0
	v_dual_lshrrev_b32 v7, 3, v17 :: v_dual_bitop2_b32 v102, 7, v6 bitop3:0x40
	s_mov_b32 s16, exec_lo
	s_wait_xcnt 0x0
	v_cmpx_gt_u32_e32 8, v17
; %bb.686:                              ;   in Loop: Header=BB224_10 Depth=1
	s_delay_alu instid0(VALU_DEP_2) | instskip(NEXT) | instid1(VALU_DEP_1)
	v_clz_i32_u32_e32 v7, v102
	v_min_u32_e32 v7, 32, v7
	s_delay_alu instid0(VALU_DEP_1) | instskip(NEXT) | instid1(VALU_DEP_1)
	v_subrev_nc_u32_e32 v17, 28, v7
	v_lshlrev_b64_e32 v[84:85], v17, v[102:103]
	s_delay_alu instid0(VALU_DEP_1)
	v_dual_sub_nc_u32 v7, 29, v7 :: v_dual_bitop2_b32 v102, 7, v84 bitop3:0x40
; %bb.687:                              ;   in Loop: Header=BB224_10 Depth=1
	s_or_b32 exec_lo, exec_lo, s16
	v_lshlrev_b32_e32 v17, 24, v6
	s_delay_alu instid0(VALU_DEP_2) | instskip(NEXT) | instid1(VALU_DEP_3)
	v_lshlrev_b32_e32 v10, 20, v102
	v_lshl_add_u32 v7, v7, 23, 0x3c000000
	s_delay_alu instid0(VALU_DEP_3) | instskip(NEXT) | instid1(VALU_DEP_1)
	v_and_b32_e32 v17, 0x80000000, v17
	v_or3_b32 v102, v10, v17, v7
	v_mov_b32_e32 v7, v103
	scratch_store_b64 off, v[6:7], s32 offset:192 ; 8-byte Folded Spill
.LBB224_688:                            ;   in Loop: Header=BB224_10 Depth=1
	s_wait_xcnt 0x0
	s_or_b32 exec_lo, exec_lo, s11
.LBB224_689:                            ;   in Loop: Header=BB224_10 Depth=1
	s_delay_alu instid0(SALU_CYCLE_1)
	s_or_b32 exec_lo, exec_lo, s9
.LBB224_690:                            ;   in Loop: Header=BB224_10 Depth=1
	s_delay_alu instid0(SALU_CYCLE_1) | instskip(SKIP_2) | instid1(VALU_DEP_1)
	s_or_b32 exec_lo, exec_lo, s8
	v_lshrrev_b16 v7, 8, v6
	s_mov_b32 s8, exec_lo
	v_cmpx_ne_u16_e32 0, v7
	s_cbranch_execz .LBB224_698
; %bb.691:                              ;   in Loop: Header=BB224_10 Depth=1
	v_mov_b64_e32 v[80:81], 0x8000000000000000
	s_mov_b32 s9, exec_lo
	v_cmpx_ne_u16_e32 0x80, v7
	s_cbranch_execz .LBB224_697
; %bb.692:                              ;   in Loop: Header=BB224_10 Depth=1
	v_and_b32_e32 v7, 0xffff, v7
	v_mov_b64_e32 v[80:81], 0x7f80000100000000
	s_mov_b32 s11, exec_lo
	s_delay_alu instid0(VALU_DEP_2) | instskip(NEXT) | instid1(VALU_DEP_1)
	v_and_b32_e32 v17, 0x7f, v7
	v_cmpx_ne_u32_e32 0x7f, v17
	s_cbranch_execz .LBB224_696
; %bb.693:                              ;   in Loop: Header=BB224_10 Depth=1
	scratch_load_b64 v[8:9], off, s32 offset:192 th:TH_LOAD_LU ; 8-byte Folded Reload
	s_wait_loadcnt 0x0
	v_dual_lshrrev_b32 v7, 3, v17 :: v_dual_bitop2_b32 v8, 7, v7 bitop3:0x40
	s_mov_b32 s16, exec_lo
	s_wait_xcnt 0x0
	v_cmpx_gt_u32_e32 8, v17
; %bb.694:                              ;   in Loop: Header=BB224_10 Depth=1
	s_delay_alu instid0(VALU_DEP_2) | instskip(NEXT) | instid1(VALU_DEP_1)
	v_clz_i32_u32_e32 v7, v8
	v_min_u32_e32 v7, 32, v7
	s_delay_alu instid0(VALU_DEP_1) | instskip(NEXT) | instid1(VALU_DEP_1)
	v_subrev_nc_u32_e32 v17, 28, v7
	v_lshlrev_b64_e32 v[80:81], v17, v[8:9]
	s_delay_alu instid0(VALU_DEP_1)
	v_dual_sub_nc_u32 v7, 29, v7 :: v_dual_bitop2_b32 v8, 7, v80 bitop3:0x40
; %bb.695:                              ;   in Loop: Header=BB224_10 Depth=1
	s_or_b32 exec_lo, exec_lo, s16
	s_delay_alu instid0(VALU_DEP_1) | instskip(NEXT) | instid1(VALU_DEP_2)
	v_dual_lshlrev_b32 v17, 16, v6 :: v_dual_lshlrev_b32 v10, 20, v8
	v_lshl_add_u32 v7, v7, 23, 0x3c000000
	v_mov_b32_e32 v80, v9
	s_delay_alu instid0(VALU_DEP_3) | instskip(NEXT) | instid1(VALU_DEP_1)
	v_and_b32_e32 v17, 0x80000000, v17
	v_or3_b32 v81, v10, v17, v7
	v_mov_b32_e32 v7, v9
	scratch_store_b64 off, v[6:7], s32 offset:192 ; 8-byte Folded Spill
.LBB224_696:                            ;   in Loop: Header=BB224_10 Depth=1
	s_wait_xcnt 0x0
	s_or_b32 exec_lo, exec_lo, s11
.LBB224_697:                            ;   in Loop: Header=BB224_10 Depth=1
	s_delay_alu instid0(SALU_CYCLE_1)
	s_or_b32 exec_lo, exec_lo, s9
.LBB224_698:                            ;   in Loop: Header=BB224_10 Depth=1
	s_delay_alu instid0(SALU_CYCLE_1) | instskip(SKIP_4) | instid1(VALU_DEP_3)
	s_or_b32 exec_lo, exec_lo, s8
	v_lshrrev_b32_e32 v7, 16, v6
	v_mov_b64_e32 v[84:85], 0
	v_mov_b64_e32 v[114:115], 0
	s_mov_b32 s8, exec_lo
	v_and_b32_e32 v10, 0xff, v7
	s_delay_alu instid0(VALU_DEP_1)
	v_cmpx_ne_u16_e32 0, v10
	s_cbranch_execz .LBB224_706
; %bb.699:                              ;   in Loop: Header=BB224_10 Depth=1
	v_mov_b64_e32 v[114:115], 0x80000000
	s_mov_b32 s9, exec_lo
	v_cmpx_ne_u16_e32 0x80, v10
	s_cbranch_execz .LBB224_705
; %bb.700:                              ;   in Loop: Header=BB224_10 Depth=1
	v_mov_b64_e32 v[114:115], 0x7f800001
	v_bfe_u32 v96, v6, 16, 7
	s_mov_b32 s11, exec_lo
	s_delay_alu instid0(VALU_DEP_1)
	v_cmpx_ne_u32_e32 0x7f, v96
	s_cbranch_execz .LBB224_704
; %bb.701:                              ;   in Loop: Header=BB224_10 Depth=1
	scratch_load_b64 v[114:115], off, s32 offset:192 th:TH_LOAD_LU ; 8-byte Folded Reload
	s_wait_loadcnt 0x0
	v_dual_lshrrev_b32 v17, 3, v96 :: v_dual_bitop2_b32 v114, 7, v7 bitop3:0x40
	s_mov_b32 s16, exec_lo
	s_wait_xcnt 0x0
	v_cmpx_gt_u32_e32 8, v96
; %bb.702:                              ;   in Loop: Header=BB224_10 Depth=1
	s_delay_alu instid0(VALU_DEP_2) | instskip(NEXT) | instid1(VALU_DEP_1)
	v_clz_i32_u32_e32 v17, v114
	v_min_u32_e32 v17, 32, v17
	s_delay_alu instid0(VALU_DEP_1) | instskip(NEXT) | instid1(VALU_DEP_1)
	v_subrev_nc_u32_e32 v96, 28, v17
	v_lshlrev_b64_e32 v[96:97], v96, v[114:115]
	s_delay_alu instid0(VALU_DEP_1)
	v_dual_sub_nc_u32 v17, 29, v17 :: v_dual_bitop2_b32 v114, 7, v96 bitop3:0x40
; %bb.703:                              ;   in Loop: Header=BB224_10 Depth=1
	s_or_b32 exec_lo, exec_lo, s16
	s_delay_alu instid0(VALU_DEP_1) | instskip(NEXT) | instid1(VALU_DEP_2)
	v_dual_lshlrev_b32 v7, 24, v7 :: v_dual_lshlrev_b32 v10, 20, v114
	v_lshl_add_u32 v17, v17, 23, 0x3c000000
	s_delay_alu instid0(VALU_DEP_2) | instskip(NEXT) | instid1(VALU_DEP_1)
	v_and_b32_e32 v7, 0x80000000, v7
	v_or3_b32 v114, v10, v7, v17
	v_mov_b32_e32 v7, v115
	scratch_store_b64 off, v[6:7], s32 offset:192 ; 8-byte Folded Spill
.LBB224_704:                            ;   in Loop: Header=BB224_10 Depth=1
	s_wait_xcnt 0x0
	s_or_b32 exec_lo, exec_lo, s11
.LBB224_705:                            ;   in Loop: Header=BB224_10 Depth=1
	s_delay_alu instid0(SALU_CYCLE_1)
	s_or_b32 exec_lo, exec_lo, s9
.LBB224_706:                            ;   in Loop: Header=BB224_10 Depth=1
	s_delay_alu instid0(SALU_CYCLE_1) | instskip(NEXT) | instid1(SALU_CYCLE_1)
	s_or_b32 exec_lo, exec_lo, s8
	s_mov_b32 s8, exec_lo
	v_cmpx_lt_u32_e32 0xffffff, v6
	s_cbranch_execz .LBB224_714
; %bb.707:                              ;   in Loop: Header=BB224_10 Depth=1
	v_mov_b64_e32 v[84:85], 0x8000000000000000
	v_lshrrev_b32_e32 v7, 24, v6
	s_mov_b32 s9, exec_lo
	s_delay_alu instid0(VALU_DEP_1)
	v_cmpx_ne_u32_e32 0x80, v7
	s_cbranch_execz .LBB224_713
; %bb.708:                              ;   in Loop: Header=BB224_10 Depth=1
	v_mov_b64_e32 v[84:85], 0x7f80000100000000
	v_bfe_u32 v17, v6, 24, 7
	s_mov_b32 s11, exec_lo
	s_delay_alu instid0(VALU_DEP_1)
	v_cmpx_ne_u32_e32 0x7f, v17
	s_cbranch_execz .LBB224_712
; %bb.709:                              ;   in Loop: Header=BB224_10 Depth=1
	scratch_load_b64 v[8:9], off, s32 offset:192 th:TH_LOAD_LU ; 8-byte Folded Reload
	s_wait_loadcnt 0x0
	v_dual_lshrrev_b32 v6, 3, v17 :: v_dual_bitop2_b32 v8, 7, v7 bitop3:0x40
	s_mov_b32 s16, exec_lo
	s_wait_xcnt 0x0
	v_cmpx_gt_u32_e32 8, v17
; %bb.710:                              ;   in Loop: Header=BB224_10 Depth=1
	s_delay_alu instid0(VALU_DEP_2) | instskip(NEXT) | instid1(VALU_DEP_1)
	v_clz_i32_u32_e32 v6, v8
	v_min_u32_e32 v6, 32, v6
	s_delay_alu instid0(VALU_DEP_1) | instskip(NEXT) | instid1(VALU_DEP_1)
	v_subrev_nc_u32_e32 v17, 28, v6
	v_lshlrev_b64_e32 v[84:85], v17, v[8:9]
	s_delay_alu instid0(VALU_DEP_1)
	v_dual_sub_nc_u32 v6, 29, v6 :: v_dual_bitop2_b32 v8, 7, v84 bitop3:0x40
; %bb.711:                              ;   in Loop: Header=BB224_10 Depth=1
	s_or_b32 exec_lo, exec_lo, s16
	s_delay_alu instid0(VALU_DEP_1) | instskip(NEXT) | instid1(VALU_DEP_2)
	v_dual_lshlrev_b32 v7, 24, v7 :: v_dual_lshlrev_b32 v10, 20, v8
	v_lshl_add_u32 v6, v6, 23, 0x3c000000
	v_mov_b32_e32 v84, v9
	s_delay_alu instid0(VALU_DEP_3) | instskip(NEXT) | instid1(VALU_DEP_1)
	v_and_b32_e32 v7, 0x80000000, v7
	v_or3_b32 v85, v10, v7, v6
	v_mov_b32_e32 v7, v9
	scratch_store_b64 off, v[6:7], s32 offset:192 ; 8-byte Folded Spill
.LBB224_712:                            ;   in Loop: Header=BB224_10 Depth=1
	s_wait_xcnt 0x0
	s_or_b32 exec_lo, exec_lo, s11
.LBB224_713:                            ;   in Loop: Header=BB224_10 Depth=1
	s_delay_alu instid0(SALU_CYCLE_1)
	s_or_b32 exec_lo, exec_lo, s9
.LBB224_714:                            ;   in Loop: Header=BB224_10 Depth=1
	s_delay_alu instid0(SALU_CYCLE_1)
	s_or_b32 exec_lo, exec_lo, s8
	flat_load_b32 v6, v[26:27] offset:2568
	v_mov_b64_e32 v[96:97], 0
	v_mov_b64_e32 v[118:119], 0
	s_mov_b32 s8, exec_lo
	s_wait_loadcnt_dscnt 0x0
	v_and_b32_e32 v7, 0xff, v6
	s_wait_xcnt 0x0
	s_delay_alu instid0(VALU_DEP_1)
	v_cmpx_ne_u16_e32 0, v7
	s_cbranch_execz .LBB224_722
; %bb.715:                              ;   in Loop: Header=BB224_10 Depth=1
	v_mov_b64_e32 v[118:119], 0x80000000
	s_mov_b32 s9, exec_lo
	v_cmpx_ne_u16_e32 0x80, v7
	s_cbranch_execz .LBB224_721
; %bb.716:                              ;   in Loop: Header=BB224_10 Depth=1
	v_mov_b64_e32 v[118:119], 0x7f800001
	v_and_b32_e32 v17, 0x7f, v6
	s_mov_b32 s11, exec_lo
	s_delay_alu instid0(VALU_DEP_1)
	v_cmpx_ne_u32_e32 0x7f, v17
	s_cbranch_execz .LBB224_720
; %bb.717:                              ;   in Loop: Header=BB224_10 Depth=1
	scratch_load_b64 v[118:119], off, s32 offset:192 th:TH_LOAD_LU ; 8-byte Folded Reload
	s_wait_loadcnt 0x0
	v_dual_lshrrev_b32 v7, 3, v17 :: v_dual_bitop2_b32 v118, 7, v6 bitop3:0x40
	s_mov_b32 s16, exec_lo
	s_wait_xcnt 0x0
	v_cmpx_gt_u32_e32 8, v17
; %bb.718:                              ;   in Loop: Header=BB224_10 Depth=1
	s_delay_alu instid0(VALU_DEP_2) | instskip(NEXT) | instid1(VALU_DEP_1)
	v_clz_i32_u32_e32 v7, v118
	v_min_u32_e32 v7, 32, v7
	s_delay_alu instid0(VALU_DEP_1) | instskip(NEXT) | instid1(VALU_DEP_1)
	v_subrev_nc_u32_e32 v17, 28, v7
	v_lshlrev_b64_e32 v[100:101], v17, v[118:119]
	s_delay_alu instid0(VALU_DEP_1)
	v_dual_sub_nc_u32 v7, 29, v7 :: v_dual_bitop2_b32 v118, 7, v100 bitop3:0x40
; %bb.719:                              ;   in Loop: Header=BB224_10 Depth=1
	s_or_b32 exec_lo, exec_lo, s16
	v_lshlrev_b32_e32 v17, 24, v6
	s_delay_alu instid0(VALU_DEP_2) | instskip(NEXT) | instid1(VALU_DEP_3)
	v_lshlrev_b32_e32 v10, 20, v118
	v_lshl_add_u32 v7, v7, 23, 0x3c000000
	s_delay_alu instid0(VALU_DEP_3) | instskip(NEXT) | instid1(VALU_DEP_1)
	v_and_b32_e32 v17, 0x80000000, v17
	v_or3_b32 v118, v10, v17, v7
	v_mov_b32_e32 v7, v119
	scratch_store_b64 off, v[6:7], s32 offset:192 ; 8-byte Folded Spill
.LBB224_720:                            ;   in Loop: Header=BB224_10 Depth=1
	s_wait_xcnt 0x0
	s_or_b32 exec_lo, exec_lo, s11
.LBB224_721:                            ;   in Loop: Header=BB224_10 Depth=1
	s_delay_alu instid0(SALU_CYCLE_1)
	s_or_b32 exec_lo, exec_lo, s9
.LBB224_722:                            ;   in Loop: Header=BB224_10 Depth=1
	s_delay_alu instid0(SALU_CYCLE_1) | instskip(SKIP_2) | instid1(VALU_DEP_1)
	s_or_b32 exec_lo, exec_lo, s8
	v_lshrrev_b16 v7, 8, v6
	s_mov_b32 s8, exec_lo
	v_cmpx_ne_u16_e32 0, v7
	s_cbranch_execz .LBB224_730
; %bb.723:                              ;   in Loop: Header=BB224_10 Depth=1
	v_mov_b64_e32 v[96:97], 0x8000000000000000
	s_mov_b32 s9, exec_lo
	v_cmpx_ne_u16_e32 0x80, v7
	s_cbranch_execz .LBB224_729
; %bb.724:                              ;   in Loop: Header=BB224_10 Depth=1
	v_and_b32_e32 v7, 0xffff, v7
	v_mov_b64_e32 v[96:97], 0x7f80000100000000
	s_mov_b32 s11, exec_lo
	s_delay_alu instid0(VALU_DEP_2) | instskip(NEXT) | instid1(VALU_DEP_1)
	v_and_b32_e32 v17, 0x7f, v7
	v_cmpx_ne_u32_e32 0x7f, v17
	s_cbranch_execz .LBB224_728
; %bb.725:                              ;   in Loop: Header=BB224_10 Depth=1
	scratch_load_b64 v[8:9], off, s32 offset:192 th:TH_LOAD_LU ; 8-byte Folded Reload
	s_wait_loadcnt 0x0
	v_dual_lshrrev_b32 v7, 3, v17 :: v_dual_bitop2_b32 v8, 7, v7 bitop3:0x40
	s_mov_b32 s16, exec_lo
	s_wait_xcnt 0x0
	v_cmpx_gt_u32_e32 8, v17
; %bb.726:                              ;   in Loop: Header=BB224_10 Depth=1
	s_delay_alu instid0(VALU_DEP_2) | instskip(NEXT) | instid1(VALU_DEP_1)
	v_clz_i32_u32_e32 v7, v8
	v_min_u32_e32 v7, 32, v7
	s_delay_alu instid0(VALU_DEP_1) | instskip(NEXT) | instid1(VALU_DEP_1)
	v_subrev_nc_u32_e32 v17, 28, v7
	v_lshlrev_b64_e32 v[96:97], v17, v[8:9]
	s_delay_alu instid0(VALU_DEP_1)
	v_dual_sub_nc_u32 v7, 29, v7 :: v_dual_bitop2_b32 v8, 7, v96 bitop3:0x40
; %bb.727:                              ;   in Loop: Header=BB224_10 Depth=1
	s_or_b32 exec_lo, exec_lo, s16
	s_delay_alu instid0(VALU_DEP_1) | instskip(NEXT) | instid1(VALU_DEP_2)
	v_dual_lshlrev_b32 v17, 16, v6 :: v_dual_lshlrev_b32 v10, 20, v8
	v_lshl_add_u32 v7, v7, 23, 0x3c000000
	v_mov_b32_e32 v96, v9
	s_delay_alu instid0(VALU_DEP_3) | instskip(NEXT) | instid1(VALU_DEP_1)
	v_and_b32_e32 v17, 0x80000000, v17
	v_or3_b32 v97, v10, v17, v7
	v_mov_b32_e32 v7, v9
	scratch_store_b64 off, v[6:7], s32 offset:192 ; 8-byte Folded Spill
.LBB224_728:                            ;   in Loop: Header=BB224_10 Depth=1
	s_wait_xcnt 0x0
	s_or_b32 exec_lo, exec_lo, s11
.LBB224_729:                            ;   in Loop: Header=BB224_10 Depth=1
	s_delay_alu instid0(SALU_CYCLE_1)
	s_or_b32 exec_lo, exec_lo, s9
.LBB224_730:                            ;   in Loop: Header=BB224_10 Depth=1
	s_delay_alu instid0(SALU_CYCLE_1) | instskip(SKIP_4) | instid1(VALU_DEP_3)
	s_or_b32 exec_lo, exec_lo, s8
	v_lshrrev_b32_e32 v7, 16, v6
	v_mov_b64_e32 v[100:101], 0
	v_mov_b64_e32 v[42:43], 0
	s_mov_b32 s8, exec_lo
	v_and_b32_e32 v10, 0xff, v7
	s_delay_alu instid0(VALU_DEP_1)
	v_cmpx_ne_u16_e32 0, v10
	s_cbranch_execz .LBB224_738
; %bb.731:                              ;   in Loop: Header=BB224_10 Depth=1
	v_mov_b64_e32 v[42:43], 0x80000000
	s_mov_b32 s9, exec_lo
	v_cmpx_ne_u16_e32 0x80, v10
	s_cbranch_execz .LBB224_737
; %bb.732:                              ;   in Loop: Header=BB224_10 Depth=1
	v_mov_b64_e32 v[42:43], 0x7f800001
	v_bfe_u32 v112, v6, 16, 7
	s_mov_b32 s11, exec_lo
	s_delay_alu instid0(VALU_DEP_1)
	v_cmpx_ne_u32_e32 0x7f, v112
	s_cbranch_execz .LBB224_736
; %bb.733:                              ;   in Loop: Header=BB224_10 Depth=1
	scratch_load_b64 v[42:43], off, s32 offset:192 th:TH_LOAD_LU ; 8-byte Folded Reload
	s_wait_loadcnt 0x0
	v_dual_lshrrev_b32 v17, 3, v112 :: v_dual_bitop2_b32 v42, 7, v7 bitop3:0x40
	s_mov_b32 s16, exec_lo
	s_wait_xcnt 0x0
	v_cmpx_gt_u32_e32 8, v112
; %bb.734:                              ;   in Loop: Header=BB224_10 Depth=1
	s_delay_alu instid0(VALU_DEP_2) | instskip(NEXT) | instid1(VALU_DEP_1)
	v_clz_i32_u32_e32 v17, v42
	v_min_u32_e32 v17, 32, v17
	s_delay_alu instid0(VALU_DEP_1) | instskip(NEXT) | instid1(VALU_DEP_1)
	v_subrev_nc_u32_e32 v112, 28, v17
	v_lshlrev_b64_e32 v[112:113], v112, v[42:43]
	s_delay_alu instid0(VALU_DEP_1)
	v_dual_sub_nc_u32 v17, 29, v17 :: v_dual_bitop2_b32 v42, 7, v112 bitop3:0x40
; %bb.735:                              ;   in Loop: Header=BB224_10 Depth=1
	s_or_b32 exec_lo, exec_lo, s16
	s_delay_alu instid0(VALU_DEP_1) | instskip(NEXT) | instid1(VALU_DEP_2)
	v_dual_lshlrev_b32 v7, 24, v7 :: v_dual_lshlrev_b32 v10, 20, v42
	v_lshl_add_u32 v17, v17, 23, 0x3c000000
	s_delay_alu instid0(VALU_DEP_2) | instskip(NEXT) | instid1(VALU_DEP_1)
	v_and_b32_e32 v7, 0x80000000, v7
	v_or3_b32 v42, v10, v7, v17
	v_mov_b32_e32 v7, v43
	scratch_store_b64 off, v[6:7], s32 offset:192 ; 8-byte Folded Spill
.LBB224_736:                            ;   in Loop: Header=BB224_10 Depth=1
	s_wait_xcnt 0x0
	s_or_b32 exec_lo, exec_lo, s11
.LBB224_737:                            ;   in Loop: Header=BB224_10 Depth=1
	s_delay_alu instid0(SALU_CYCLE_1)
	s_or_b32 exec_lo, exec_lo, s9
.LBB224_738:                            ;   in Loop: Header=BB224_10 Depth=1
	s_delay_alu instid0(SALU_CYCLE_1) | instskip(NEXT) | instid1(SALU_CYCLE_1)
	s_or_b32 exec_lo, exec_lo, s8
	s_mov_b32 s8, exec_lo
	v_cmpx_lt_u32_e32 0xffffff, v6
	s_cbranch_execz .LBB224_746
; %bb.739:                              ;   in Loop: Header=BB224_10 Depth=1
	v_mov_b64_e32 v[100:101], 0x8000000000000000
	v_lshrrev_b32_e32 v7, 24, v6
	s_mov_b32 s9, exec_lo
	s_delay_alu instid0(VALU_DEP_1)
	v_cmpx_ne_u32_e32 0x80, v7
	s_cbranch_execz .LBB224_745
; %bb.740:                              ;   in Loop: Header=BB224_10 Depth=1
	v_mov_b64_e32 v[100:101], 0x7f80000100000000
	v_bfe_u32 v17, v6, 24, 7
	s_mov_b32 s11, exec_lo
	s_delay_alu instid0(VALU_DEP_1)
	v_cmpx_ne_u32_e32 0x7f, v17
	s_cbranch_execz .LBB224_744
; %bb.741:                              ;   in Loop: Header=BB224_10 Depth=1
	scratch_load_b64 v[8:9], off, s32 offset:192 th:TH_LOAD_LU ; 8-byte Folded Reload
	s_wait_loadcnt 0x0
	v_dual_lshrrev_b32 v6, 3, v17 :: v_dual_bitop2_b32 v8, 7, v7 bitop3:0x40
	s_mov_b32 s16, exec_lo
	s_wait_xcnt 0x0
	v_cmpx_gt_u32_e32 8, v17
; %bb.742:                              ;   in Loop: Header=BB224_10 Depth=1
	s_delay_alu instid0(VALU_DEP_2) | instskip(NEXT) | instid1(VALU_DEP_1)
	v_clz_i32_u32_e32 v6, v8
	v_min_u32_e32 v6, 32, v6
	s_delay_alu instid0(VALU_DEP_1) | instskip(NEXT) | instid1(VALU_DEP_1)
	v_subrev_nc_u32_e32 v17, 28, v6
	v_lshlrev_b64_e32 v[100:101], v17, v[8:9]
	s_delay_alu instid0(VALU_DEP_1)
	v_dual_sub_nc_u32 v6, 29, v6 :: v_dual_bitop2_b32 v8, 7, v100 bitop3:0x40
; %bb.743:                              ;   in Loop: Header=BB224_10 Depth=1
	s_or_b32 exec_lo, exec_lo, s16
	s_delay_alu instid0(VALU_DEP_1) | instskip(NEXT) | instid1(VALU_DEP_2)
	v_dual_lshlrev_b32 v7, 24, v7 :: v_dual_lshlrev_b32 v10, 20, v8
	v_lshl_add_u32 v6, v6, 23, 0x3c000000
	v_mov_b32_e32 v100, v9
	s_delay_alu instid0(VALU_DEP_3) | instskip(NEXT) | instid1(VALU_DEP_1)
	v_and_b32_e32 v7, 0x80000000, v7
	v_or3_b32 v101, v10, v7, v6
	v_mov_b32_e32 v7, v9
	scratch_store_b64 off, v[6:7], s32 offset:192 ; 8-byte Folded Spill
.LBB224_744:                            ;   in Loop: Header=BB224_10 Depth=1
	s_wait_xcnt 0x0
	s_or_b32 exec_lo, exec_lo, s11
.LBB224_745:                            ;   in Loop: Header=BB224_10 Depth=1
	s_delay_alu instid0(SALU_CYCLE_1)
	s_or_b32 exec_lo, exec_lo, s9
.LBB224_746:                            ;   in Loop: Header=BB224_10 Depth=1
	s_delay_alu instid0(SALU_CYCLE_1)
	s_or_b32 exec_lo, exec_lo, s8
	flat_load_b32 v6, v[26:27] offset:2572
	v_mov_b64_e32 v[112:113], 0
	v_mov_b64_e32 v[116:117], 0
	s_mov_b32 s8, exec_lo
	s_wait_loadcnt_dscnt 0x0
	v_and_b32_e32 v7, 0xff, v6
	s_wait_xcnt 0x0
	s_delay_alu instid0(VALU_DEP_1)
	v_cmpx_ne_u16_e32 0, v7
	s_cbranch_execz .LBB224_754
; %bb.747:                              ;   in Loop: Header=BB224_10 Depth=1
	v_mov_b64_e32 v[116:117], 0x80000000
	s_mov_b32 s9, exec_lo
	v_cmpx_ne_u16_e32 0x80, v7
	s_cbranch_execz .LBB224_753
; %bb.748:                              ;   in Loop: Header=BB224_10 Depth=1
	v_mov_b64_e32 v[116:117], 0x7f800001
	v_and_b32_e32 v17, 0x7f, v6
	s_mov_b32 s11, exec_lo
	s_delay_alu instid0(VALU_DEP_1)
	v_cmpx_ne_u32_e32 0x7f, v17
	s_cbranch_execz .LBB224_752
; %bb.749:                              ;   in Loop: Header=BB224_10 Depth=1
	scratch_load_b64 v[8:9], off, s32 offset:192 th:TH_LOAD_LU ; 8-byte Folded Reload
	s_wait_loadcnt 0x0
	v_dual_lshrrev_b32 v7, 3, v17 :: v_dual_bitop2_b32 v8, 7, v6 bitop3:0x40
	s_mov_b32 s16, exec_lo
	s_wait_xcnt 0x0
	v_cmpx_gt_u32_e32 8, v17
; %bb.750:                              ;   in Loop: Header=BB224_10 Depth=1
	s_delay_alu instid0(VALU_DEP_2) | instskip(NEXT) | instid1(VALU_DEP_1)
	v_clz_i32_u32_e32 v7, v8
	v_min_u32_e32 v7, 32, v7
	s_delay_alu instid0(VALU_DEP_1) | instskip(NEXT) | instid1(VALU_DEP_1)
	v_subrev_nc_u32_e32 v17, 28, v7
	v_lshlrev_b64_e32 v[116:117], v17, v[8:9]
	s_delay_alu instid0(VALU_DEP_1)
	v_dual_sub_nc_u32 v7, 29, v7 :: v_dual_bitop2_b32 v8, 7, v116 bitop3:0x40
; %bb.751:                              ;   in Loop: Header=BB224_10 Depth=1
	s_or_b32 exec_lo, exec_lo, s16
	s_delay_alu instid0(VALU_DEP_1) | instskip(NEXT) | instid1(VALU_DEP_2)
	v_dual_lshlrev_b32 v17, 24, v6 :: v_dual_lshlrev_b32 v10, 20, v8
	v_lshl_add_u32 v7, v7, 23, 0x3c000000
	s_delay_alu instid0(VALU_DEP_2) | instskip(NEXT) | instid1(VALU_DEP_1)
	v_and_b32_e32 v17, 0x80000000, v17
	v_or3_b32 v8, v10, v17, v7
	v_mov_b32_e32 v7, v9
	s_delay_alu instid0(VALU_DEP_2)
	v_mov_b64_e32 v[116:117], v[8:9]
	scratch_store_b64 off, v[6:7], s32 offset:192 ; 8-byte Folded Spill
.LBB224_752:                            ;   in Loop: Header=BB224_10 Depth=1
	s_wait_xcnt 0x0
	s_or_b32 exec_lo, exec_lo, s11
.LBB224_753:                            ;   in Loop: Header=BB224_10 Depth=1
	s_delay_alu instid0(SALU_CYCLE_1)
	s_or_b32 exec_lo, exec_lo, s9
.LBB224_754:                            ;   in Loop: Header=BB224_10 Depth=1
	s_delay_alu instid0(SALU_CYCLE_1) | instskip(SKIP_2) | instid1(VALU_DEP_1)
	s_or_b32 exec_lo, exec_lo, s8
	v_lshrrev_b16 v7, 8, v6
	s_mov_b32 s8, exec_lo
	v_cmpx_ne_u16_e32 0, v7
	s_cbranch_execz .LBB224_762
; %bb.755:                              ;   in Loop: Header=BB224_10 Depth=1
	v_mov_b64_e32 v[112:113], 0x8000000000000000
	s_mov_b32 s9, exec_lo
	v_cmpx_ne_u16_e32 0x80, v7
	s_cbranch_execz .LBB224_761
; %bb.756:                              ;   in Loop: Header=BB224_10 Depth=1
	v_and_b32_e32 v7, 0xffff, v7
	v_mov_b64_e32 v[112:113], 0x7f80000100000000
	s_mov_b32 s11, exec_lo
	s_delay_alu instid0(VALU_DEP_2) | instskip(NEXT) | instid1(VALU_DEP_1)
	v_and_b32_e32 v17, 0x7f, v7
	v_cmpx_ne_u32_e32 0x7f, v17
	s_cbranch_execz .LBB224_760
; %bb.757:                              ;   in Loop: Header=BB224_10 Depth=1
	scratch_load_b64 v[8:9], off, s32 offset:192 th:TH_LOAD_LU ; 8-byte Folded Reload
	s_wait_loadcnt 0x0
	v_dual_lshrrev_b32 v7, 3, v17 :: v_dual_bitop2_b32 v8, 7, v7 bitop3:0x40
	s_mov_b32 s16, exec_lo
	s_wait_xcnt 0x0
	v_cmpx_gt_u32_e32 8, v17
; %bb.758:                              ;   in Loop: Header=BB224_10 Depth=1
	s_delay_alu instid0(VALU_DEP_2) | instskip(NEXT) | instid1(VALU_DEP_1)
	v_clz_i32_u32_e32 v7, v8
	v_min_u32_e32 v7, 32, v7
	s_delay_alu instid0(VALU_DEP_1) | instskip(NEXT) | instid1(VALU_DEP_1)
	v_subrev_nc_u32_e32 v17, 28, v7
	v_lshlrev_b64_e32 v[112:113], v17, v[8:9]
	s_delay_alu instid0(VALU_DEP_1)
	v_dual_sub_nc_u32 v7, 29, v7 :: v_dual_bitop2_b32 v8, 7, v112 bitop3:0x40
; %bb.759:                              ;   in Loop: Header=BB224_10 Depth=1
	s_or_b32 exec_lo, exec_lo, s16
	s_delay_alu instid0(VALU_DEP_1) | instskip(NEXT) | instid1(VALU_DEP_2)
	v_dual_lshlrev_b32 v17, 16, v6 :: v_dual_lshlrev_b32 v10, 20, v8
	v_lshl_add_u32 v7, v7, 23, 0x3c000000
	v_mov_b32_e32 v112, v9
	s_delay_alu instid0(VALU_DEP_3) | instskip(NEXT) | instid1(VALU_DEP_1)
	v_and_b32_e32 v17, 0x80000000, v17
	v_or3_b32 v113, v10, v17, v7
	v_mov_b32_e32 v7, v9
	scratch_store_b64 off, v[6:7], s32 offset:192 ; 8-byte Folded Spill
.LBB224_760:                            ;   in Loop: Header=BB224_10 Depth=1
	s_wait_xcnt 0x0
	s_or_b32 exec_lo, exec_lo, s11
.LBB224_761:                            ;   in Loop: Header=BB224_10 Depth=1
	s_delay_alu instid0(SALU_CYCLE_1)
	s_or_b32 exec_lo, exec_lo, s9
.LBB224_762:                            ;   in Loop: Header=BB224_10 Depth=1
	s_delay_alu instid0(SALU_CYCLE_1) | instskip(SKIP_4) | instid1(VALU_DEP_3)
	s_or_b32 exec_lo, exec_lo, s8
	v_lshrrev_b32_e32 v7, 16, v6
	v_mov_b64_e32 v[46:47], 0
	v_mov_b64_e32 v[40:41], 0
	s_mov_b32 s8, exec_lo
	v_and_b32_e32 v10, 0xff, v7
	s_delay_alu instid0(VALU_DEP_1)
	v_cmpx_ne_u16_e32 0, v10
	s_cbranch_execz .LBB224_770
; %bb.763:                              ;   in Loop: Header=BB224_10 Depth=1
	v_mov_b64_e32 v[40:41], 0x80000000
	s_mov_b32 s9, exec_lo
	v_cmpx_ne_u16_e32 0x80, v10
	s_cbranch_execz .LBB224_769
; %bb.764:                              ;   in Loop: Header=BB224_10 Depth=1
	v_mov_b64_e32 v[40:41], 0x7f800001
	v_bfe_u32 v44, v6, 16, 7
	s_mov_b32 s11, exec_lo
	s_delay_alu instid0(VALU_DEP_1)
	v_cmpx_ne_u32_e32 0x7f, v44
	s_cbranch_execz .LBB224_768
; %bb.765:                              ;   in Loop: Header=BB224_10 Depth=1
	scratch_load_b64 v[8:9], off, s32 offset:192 th:TH_LOAD_LU ; 8-byte Folded Reload
	s_wait_loadcnt 0x0
	v_dual_lshrrev_b32 v17, 3, v44 :: v_dual_bitop2_b32 v8, 7, v7 bitop3:0x40
	s_mov_b32 s16, exec_lo
	s_wait_xcnt 0x0
	v_cmpx_gt_u32_e32 8, v44
; %bb.766:                              ;   in Loop: Header=BB224_10 Depth=1
	s_delay_alu instid0(VALU_DEP_2) | instskip(NEXT) | instid1(VALU_DEP_1)
	v_clz_i32_u32_e32 v17, v8
	v_min_u32_e32 v17, 32, v17
	s_delay_alu instid0(VALU_DEP_1) | instskip(NEXT) | instid1(VALU_DEP_1)
	v_subrev_nc_u32_e32 v40, 28, v17
	v_lshlrev_b64_e32 v[40:41], v40, v[8:9]
	s_delay_alu instid0(VALU_DEP_1)
	v_dual_sub_nc_u32 v17, 29, v17 :: v_dual_bitop2_b32 v8, 7, v40 bitop3:0x40
; %bb.767:                              ;   in Loop: Header=BB224_10 Depth=1
	s_or_b32 exec_lo, exec_lo, s16
	s_delay_alu instid0(VALU_DEP_1) | instskip(NEXT) | instid1(VALU_DEP_2)
	v_dual_lshlrev_b32 v7, 24, v7 :: v_dual_lshlrev_b32 v10, 20, v8
	v_lshl_add_u32 v17, v17, 23, 0x3c000000
	s_delay_alu instid0(VALU_DEP_2) | instskip(NEXT) | instid1(VALU_DEP_1)
	v_and_b32_e32 v7, 0x80000000, v7
	v_or3_b32 v8, v10, v7, v17
	v_mov_b32_e32 v7, v9
	s_delay_alu instid0(VALU_DEP_2)
	v_mov_b64_e32 v[40:41], v[8:9]
	scratch_store_b64 off, v[6:7], s32 offset:192 ; 8-byte Folded Spill
.LBB224_768:                            ;   in Loop: Header=BB224_10 Depth=1
	s_wait_xcnt 0x0
	s_or_b32 exec_lo, exec_lo, s11
.LBB224_769:                            ;   in Loop: Header=BB224_10 Depth=1
	s_delay_alu instid0(SALU_CYCLE_1)
	s_or_b32 exec_lo, exec_lo, s9
.LBB224_770:                            ;   in Loop: Header=BB224_10 Depth=1
	s_delay_alu instid0(SALU_CYCLE_1) | instskip(NEXT) | instid1(SALU_CYCLE_1)
	s_or_b32 exec_lo, exec_lo, s8
	s_mov_b32 s8, exec_lo
	v_cmpx_lt_u32_e32 0xffffff, v6
	s_cbranch_execz .LBB224_778
; %bb.771:                              ;   in Loop: Header=BB224_10 Depth=1
	v_mov_b64_e32 v[46:47], 0x8000000000000000
	v_lshrrev_b32_e32 v7, 24, v6
	s_mov_b32 s9, exec_lo
	s_delay_alu instid0(VALU_DEP_1)
	v_cmpx_ne_u32_e32 0x80, v7
	s_cbranch_execz .LBB224_777
; %bb.772:                              ;   in Loop: Header=BB224_10 Depth=1
	v_mov_b64_e32 v[46:47], 0x7f80000100000000
	v_bfe_u32 v17, v6, 24, 7
	s_mov_b32 s11, exec_lo
	s_delay_alu instid0(VALU_DEP_1)
	v_cmpx_ne_u32_e32 0x7f, v17
	s_cbranch_execz .LBB224_776
; %bb.773:                              ;   in Loop: Header=BB224_10 Depth=1
	scratch_load_b64 v[8:9], off, s32 offset:192 th:TH_LOAD_LU ; 8-byte Folded Reload
	s_wait_loadcnt 0x0
	v_dual_lshrrev_b32 v6, 3, v17 :: v_dual_bitop2_b32 v8, 7, v7 bitop3:0x40
	s_mov_b32 s16, exec_lo
	s_wait_xcnt 0x0
	v_cmpx_gt_u32_e32 8, v17
; %bb.774:                              ;   in Loop: Header=BB224_10 Depth=1
	s_delay_alu instid0(VALU_DEP_2) | instskip(NEXT) | instid1(VALU_DEP_1)
	v_clz_i32_u32_e32 v6, v8
	v_min_u32_e32 v6, 32, v6
	s_delay_alu instid0(VALU_DEP_1) | instskip(NEXT) | instid1(VALU_DEP_1)
	v_subrev_nc_u32_e32 v17, 28, v6
	v_lshlrev_b64_e32 v[44:45], v17, v[8:9]
	s_delay_alu instid0(VALU_DEP_1)
	v_dual_sub_nc_u32 v6, 29, v6 :: v_dual_bitop2_b32 v8, 7, v44 bitop3:0x40
; %bb.775:                              ;   in Loop: Header=BB224_10 Depth=1
	s_or_b32 exec_lo, exec_lo, s16
	s_delay_alu instid0(VALU_DEP_1) | instskip(NEXT) | instid1(VALU_DEP_2)
	v_dual_lshlrev_b32 v7, 24, v7 :: v_dual_lshlrev_b32 v10, 20, v8
	v_lshl_add_u32 v6, v6, 23, 0x3c000000
	v_mov_b32_e32 v46, v9
	s_delay_alu instid0(VALU_DEP_3) | instskip(NEXT) | instid1(VALU_DEP_1)
	v_and_b32_e32 v7, 0x80000000, v7
	v_or3_b32 v47, v10, v7, v6
	v_mov_b32_e32 v7, v9
	scratch_store_b64 off, v[6:7], s32 offset:192 ; 8-byte Folded Spill
.LBB224_776:                            ;   in Loop: Header=BB224_10 Depth=1
	s_wait_xcnt 0x0
	s_or_b32 exec_lo, exec_lo, s11
.LBB224_777:                            ;   in Loop: Header=BB224_10 Depth=1
	s_delay_alu instid0(SALU_CYCLE_1)
	s_or_b32 exec_lo, exec_lo, s9
.LBB224_778:                            ;   in Loop: Header=BB224_10 Depth=1
	s_delay_alu instid0(SALU_CYCLE_1)
	s_or_b32 exec_lo, exec_lo, s8
	flat_load_b32 v6, v[26:27] offset:3072
	v_mov_b64_e32 v[58:59], 0
	v_mov_b64_e32 v[74:75], 0
	s_mov_b32 s8, exec_lo
	s_wait_loadcnt_dscnt 0x0
	v_and_b32_e32 v7, 0xff, v6
	s_wait_xcnt 0x0
	s_delay_alu instid0(VALU_DEP_1)
	v_cmpx_ne_u16_e32 0, v7
	s_cbranch_execz .LBB224_786
; %bb.779:                              ;   in Loop: Header=BB224_10 Depth=1
	v_mov_b64_e32 v[74:75], 0x80000000
	s_mov_b32 s9, exec_lo
	v_cmpx_ne_u16_e32 0x80, v7
	s_cbranch_execz .LBB224_785
; %bb.780:                              ;   in Loop: Header=BB224_10 Depth=1
	v_mov_b64_e32 v[74:75], 0x7f800001
	v_and_b32_e32 v17, 0x7f, v6
	s_mov_b32 s11, exec_lo
	s_delay_alu instid0(VALU_DEP_1)
	v_cmpx_ne_u32_e32 0x7f, v17
	s_cbranch_execz .LBB224_784
; %bb.781:                              ;   in Loop: Header=BB224_10 Depth=1
	scratch_load_b64 v[74:75], off, s32 offset:192 th:TH_LOAD_LU ; 8-byte Folded Reload
	s_wait_loadcnt 0x0
	v_dual_lshrrev_b32 v7, 3, v17 :: v_dual_bitop2_b32 v74, 7, v6 bitop3:0x40
	s_mov_b32 s16, exec_lo
	s_wait_xcnt 0x0
	v_cmpx_gt_u32_e32 8, v17
; %bb.782:                              ;   in Loop: Header=BB224_10 Depth=1
	s_delay_alu instid0(VALU_DEP_2) | instskip(NEXT) | instid1(VALU_DEP_1)
	v_clz_i32_u32_e32 v7, v74
	v_min_u32_e32 v7, 32, v7
	s_delay_alu instid0(VALU_DEP_1) | instskip(NEXT) | instid1(VALU_DEP_1)
	v_subrev_nc_u32_e32 v17, 28, v7
	v_lshlrev_b64_e32 v[44:45], v17, v[74:75]
	s_delay_alu instid0(VALU_DEP_1)
	v_dual_sub_nc_u32 v7, 29, v7 :: v_dual_bitop2_b32 v74, 7, v44 bitop3:0x40
; %bb.783:                              ;   in Loop: Header=BB224_10 Depth=1
	s_or_b32 exec_lo, exec_lo, s16
	v_lshlrev_b32_e32 v17, 24, v6
	s_delay_alu instid0(VALU_DEP_2) | instskip(NEXT) | instid1(VALU_DEP_3)
	v_lshlrev_b32_e32 v10, 20, v74
	v_lshl_add_u32 v7, v7, 23, 0x3c000000
	s_delay_alu instid0(VALU_DEP_3) | instskip(NEXT) | instid1(VALU_DEP_1)
	v_and_b32_e32 v17, 0x80000000, v17
	v_or3_b32 v74, v10, v17, v7
	v_mov_b32_e32 v7, v75
	scratch_store_b64 off, v[6:7], s32 offset:192 ; 8-byte Folded Spill
.LBB224_784:                            ;   in Loop: Header=BB224_10 Depth=1
	s_wait_xcnt 0x0
	s_or_b32 exec_lo, exec_lo, s11
.LBB224_785:                            ;   in Loop: Header=BB224_10 Depth=1
	s_delay_alu instid0(SALU_CYCLE_1)
	s_or_b32 exec_lo, exec_lo, s9
.LBB224_786:                            ;   in Loop: Header=BB224_10 Depth=1
	s_delay_alu instid0(SALU_CYCLE_1) | instskip(SKIP_2) | instid1(VALU_DEP_1)
	s_or_b32 exec_lo, exec_lo, s8
	v_lshrrev_b16 v7, 8, v6
	s_mov_b32 s8, exec_lo
	v_cmpx_ne_u16_e32 0, v7
	s_cbranch_execz .LBB224_794
; %bb.787:                              ;   in Loop: Header=BB224_10 Depth=1
	v_mov_b64_e32 v[58:59], 0x8000000000000000
	s_mov_b32 s9, exec_lo
	v_cmpx_ne_u16_e32 0x80, v7
	s_cbranch_execz .LBB224_793
; %bb.788:                              ;   in Loop: Header=BB224_10 Depth=1
	v_and_b32_e32 v7, 0xffff, v7
	v_mov_b64_e32 v[58:59], 0x7f80000100000000
	s_mov_b32 s11, exec_lo
	s_delay_alu instid0(VALU_DEP_2) | instskip(NEXT) | instid1(VALU_DEP_1)
	v_and_b32_e32 v17, 0x7f, v7
	v_cmpx_ne_u32_e32 0x7f, v17
	s_cbranch_execz .LBB224_792
; %bb.789:                              ;   in Loop: Header=BB224_10 Depth=1
	scratch_load_b64 v[8:9], off, s32 offset:192 th:TH_LOAD_LU ; 8-byte Folded Reload
	s_wait_loadcnt 0x0
	v_dual_lshrrev_b32 v7, 3, v17 :: v_dual_bitop2_b32 v8, 7, v7 bitop3:0x40
	s_mov_b32 s16, exec_lo
	s_wait_xcnt 0x0
	v_cmpx_gt_u32_e32 8, v17
; %bb.790:                              ;   in Loop: Header=BB224_10 Depth=1
	s_delay_alu instid0(VALU_DEP_2) | instskip(NEXT) | instid1(VALU_DEP_1)
	v_clz_i32_u32_e32 v7, v8
	v_min_u32_e32 v7, 32, v7
	s_delay_alu instid0(VALU_DEP_1) | instskip(NEXT) | instid1(VALU_DEP_1)
	v_subrev_nc_u32_e32 v17, 28, v7
	v_lshlrev_b64_e32 v[56:57], v17, v[8:9]
	s_delay_alu instid0(VALU_DEP_1)
	v_dual_sub_nc_u32 v7, 29, v7 :: v_dual_bitop2_b32 v8, 7, v56 bitop3:0x40
; %bb.791:                              ;   in Loop: Header=BB224_10 Depth=1
	s_or_b32 exec_lo, exec_lo, s16
	s_delay_alu instid0(VALU_DEP_1) | instskip(NEXT) | instid1(VALU_DEP_2)
	v_dual_lshlrev_b32 v17, 16, v6 :: v_dual_lshlrev_b32 v10, 20, v8
	v_lshl_add_u32 v7, v7, 23, 0x3c000000
	v_mov_b32_e32 v58, v9
	s_delay_alu instid0(VALU_DEP_3) | instskip(NEXT) | instid1(VALU_DEP_1)
	v_and_b32_e32 v17, 0x80000000, v17
	v_or3_b32 v59, v10, v17, v7
	v_mov_b32_e32 v7, v9
	scratch_store_b64 off, v[6:7], s32 offset:192 ; 8-byte Folded Spill
.LBB224_792:                            ;   in Loop: Header=BB224_10 Depth=1
	s_wait_xcnt 0x0
	s_or_b32 exec_lo, exec_lo, s11
.LBB224_793:                            ;   in Loop: Header=BB224_10 Depth=1
	s_delay_alu instid0(SALU_CYCLE_1)
	s_or_b32 exec_lo, exec_lo, s9
.LBB224_794:                            ;   in Loop: Header=BB224_10 Depth=1
	s_delay_alu instid0(SALU_CYCLE_1) | instskip(SKIP_4) | instid1(VALU_DEP_3)
	s_or_b32 exec_lo, exec_lo, s8
	v_lshrrev_b32_e32 v7, 16, v6
	v_mov_b64_e32 v[62:63], 0
	v_mov_b64_e32 v[56:57], 0
	s_mov_b32 s8, exec_lo
	v_and_b32_e32 v10, 0xff, v7
	s_delay_alu instid0(VALU_DEP_1)
	v_cmpx_ne_u16_e32 0, v10
	s_cbranch_execz .LBB224_802
; %bb.795:                              ;   in Loop: Header=BB224_10 Depth=1
	v_mov_b64_e32 v[56:57], 0x80000000
	s_mov_b32 s9, exec_lo
	v_cmpx_ne_u16_e32 0x80, v10
	s_cbranch_execz .LBB224_801
; %bb.796:                              ;   in Loop: Header=BB224_10 Depth=1
	v_mov_b64_e32 v[56:57], 0x7f800001
	v_bfe_u32 v60, v6, 16, 7
	s_mov_b32 s11, exec_lo
	s_delay_alu instid0(VALU_DEP_1)
	v_cmpx_ne_u32_e32 0x7f, v60
	s_cbranch_execz .LBB224_800
; %bb.797:                              ;   in Loop: Header=BB224_10 Depth=1
	scratch_load_b64 v[8:9], off, s32 offset:192 th:TH_LOAD_LU ; 8-byte Folded Reload
	s_wait_loadcnt 0x0
	v_dual_lshrrev_b32 v17, 3, v60 :: v_dual_bitop2_b32 v8, 7, v7 bitop3:0x40
	s_mov_b32 s16, exec_lo
	s_wait_xcnt 0x0
	v_cmpx_gt_u32_e32 8, v60
; %bb.798:                              ;   in Loop: Header=BB224_10 Depth=1
	s_delay_alu instid0(VALU_DEP_2) | instskip(NEXT) | instid1(VALU_DEP_1)
	v_clz_i32_u32_e32 v17, v8
	v_min_u32_e32 v17, 32, v17
	s_delay_alu instid0(VALU_DEP_1) | instskip(NEXT) | instid1(VALU_DEP_1)
	v_subrev_nc_u32_e32 v56, 28, v17
	v_lshlrev_b64_e32 v[56:57], v56, v[8:9]
	s_delay_alu instid0(VALU_DEP_1)
	v_dual_sub_nc_u32 v17, 29, v17 :: v_dual_bitop2_b32 v8, 7, v56 bitop3:0x40
; %bb.799:                              ;   in Loop: Header=BB224_10 Depth=1
	s_or_b32 exec_lo, exec_lo, s16
	s_delay_alu instid0(VALU_DEP_1) | instskip(NEXT) | instid1(VALU_DEP_2)
	v_dual_lshlrev_b32 v7, 24, v7 :: v_dual_lshlrev_b32 v10, 20, v8
	v_lshl_add_u32 v17, v17, 23, 0x3c000000
	s_delay_alu instid0(VALU_DEP_2) | instskip(NEXT) | instid1(VALU_DEP_1)
	v_and_b32_e32 v7, 0x80000000, v7
	v_or3_b32 v8, v10, v7, v17
	v_mov_b32_e32 v7, v9
	s_delay_alu instid0(VALU_DEP_2)
	v_mov_b64_e32 v[56:57], v[8:9]
	scratch_store_b64 off, v[6:7], s32 offset:192 ; 8-byte Folded Spill
.LBB224_800:                            ;   in Loop: Header=BB224_10 Depth=1
	s_wait_xcnt 0x0
	s_or_b32 exec_lo, exec_lo, s11
.LBB224_801:                            ;   in Loop: Header=BB224_10 Depth=1
	s_delay_alu instid0(SALU_CYCLE_1)
	s_or_b32 exec_lo, exec_lo, s9
.LBB224_802:                            ;   in Loop: Header=BB224_10 Depth=1
	s_delay_alu instid0(SALU_CYCLE_1) | instskip(NEXT) | instid1(SALU_CYCLE_1)
	s_or_b32 exec_lo, exec_lo, s8
	s_mov_b32 s8, exec_lo
	v_cmpx_lt_u32_e32 0xffffff, v6
	s_cbranch_execz .LBB224_810
; %bb.803:                              ;   in Loop: Header=BB224_10 Depth=1
	v_mov_b64_e32 v[62:63], 0x8000000000000000
	v_lshrrev_b32_e32 v7, 24, v6
	s_mov_b32 s9, exec_lo
	s_delay_alu instid0(VALU_DEP_1)
	v_cmpx_ne_u32_e32 0x80, v7
	s_cbranch_execz .LBB224_809
; %bb.804:                              ;   in Loop: Header=BB224_10 Depth=1
	v_mov_b64_e32 v[62:63], 0x7f80000100000000
	v_bfe_u32 v17, v6, 24, 7
	s_mov_b32 s11, exec_lo
	s_delay_alu instid0(VALU_DEP_1)
	v_cmpx_ne_u32_e32 0x7f, v17
	s_cbranch_execz .LBB224_808
; %bb.805:                              ;   in Loop: Header=BB224_10 Depth=1
	scratch_load_b64 v[8:9], off, s32 offset:192 th:TH_LOAD_LU ; 8-byte Folded Reload
	s_wait_loadcnt 0x0
	v_dual_lshrrev_b32 v6, 3, v17 :: v_dual_bitop2_b32 v8, 7, v7 bitop3:0x40
	s_mov_b32 s16, exec_lo
	s_wait_xcnt 0x0
	v_cmpx_gt_u32_e32 8, v17
; %bb.806:                              ;   in Loop: Header=BB224_10 Depth=1
	s_delay_alu instid0(VALU_DEP_2) | instskip(NEXT) | instid1(VALU_DEP_1)
	v_clz_i32_u32_e32 v6, v8
	v_min_u32_e32 v6, 32, v6
	s_delay_alu instid0(VALU_DEP_1) | instskip(NEXT) | instid1(VALU_DEP_1)
	v_subrev_nc_u32_e32 v17, 28, v6
	v_lshlrev_b64_e32 v[60:61], v17, v[8:9]
	s_delay_alu instid0(VALU_DEP_1)
	v_dual_sub_nc_u32 v6, 29, v6 :: v_dual_bitop2_b32 v8, 7, v60 bitop3:0x40
; %bb.807:                              ;   in Loop: Header=BB224_10 Depth=1
	s_or_b32 exec_lo, exec_lo, s16
	s_delay_alu instid0(VALU_DEP_1) | instskip(NEXT) | instid1(VALU_DEP_2)
	v_dual_lshlrev_b32 v7, 24, v7 :: v_dual_lshlrev_b32 v10, 20, v8
	v_lshl_add_u32 v6, v6, 23, 0x3c000000
	v_mov_b32_e32 v62, v9
	s_delay_alu instid0(VALU_DEP_3) | instskip(NEXT) | instid1(VALU_DEP_1)
	v_and_b32_e32 v7, 0x80000000, v7
	v_or3_b32 v63, v10, v7, v6
	v_mov_b32_e32 v7, v9
	scratch_store_b64 off, v[6:7], s32 offset:192 ; 8-byte Folded Spill
.LBB224_808:                            ;   in Loop: Header=BB224_10 Depth=1
	s_wait_xcnt 0x0
	s_or_b32 exec_lo, exec_lo, s11
.LBB224_809:                            ;   in Loop: Header=BB224_10 Depth=1
	s_delay_alu instid0(SALU_CYCLE_1)
	s_or_b32 exec_lo, exec_lo, s9
.LBB224_810:                            ;   in Loop: Header=BB224_10 Depth=1
	s_delay_alu instid0(SALU_CYCLE_1)
	s_or_b32 exec_lo, exec_lo, s8
	flat_load_b32 v6, v[26:27] offset:3076
	v_mov_b64_e32 v[126:127], 0
	v_mov_b64_e32 v[90:91], 0
	s_mov_b32 s8, exec_lo
	s_wait_loadcnt_dscnt 0x0
	v_and_b32_e32 v7, 0xff, v6
	s_wait_xcnt 0x0
	s_delay_alu instid0(VALU_DEP_1)
	v_cmpx_ne_u16_e32 0, v7
	s_cbranch_execz .LBB224_818
; %bb.811:                              ;   in Loop: Header=BB224_10 Depth=1
	v_mov_b64_e32 v[90:91], 0x80000000
	s_mov_b32 s9, exec_lo
	v_cmpx_ne_u16_e32 0x80, v7
	s_cbranch_execz .LBB224_817
; %bb.812:                              ;   in Loop: Header=BB224_10 Depth=1
	v_mov_b64_e32 v[90:91], 0x7f800001
	v_and_b32_e32 v17, 0x7f, v6
	s_mov_b32 s11, exec_lo
	s_delay_alu instid0(VALU_DEP_1)
	v_cmpx_ne_u32_e32 0x7f, v17
	s_cbranch_execz .LBB224_816
; %bb.813:                              ;   in Loop: Header=BB224_10 Depth=1
	scratch_load_b64 v[90:91], off, s32 offset:192 th:TH_LOAD_LU ; 8-byte Folded Reload
	s_wait_loadcnt 0x0
	v_dual_lshrrev_b32 v7, 3, v17 :: v_dual_bitop2_b32 v90, 7, v6 bitop3:0x40
	s_mov_b32 s16, exec_lo
	s_wait_xcnt 0x0
	v_cmpx_gt_u32_e32 8, v17
; %bb.814:                              ;   in Loop: Header=BB224_10 Depth=1
	s_delay_alu instid0(VALU_DEP_2) | instskip(NEXT) | instid1(VALU_DEP_1)
	v_clz_i32_u32_e32 v7, v90
	v_min_u32_e32 v7, 32, v7
	s_delay_alu instid0(VALU_DEP_1) | instskip(NEXT) | instid1(VALU_DEP_1)
	v_subrev_nc_u32_e32 v17, 28, v7
	v_lshlrev_b64_e32 v[60:61], v17, v[90:91]
	s_delay_alu instid0(VALU_DEP_1)
	v_dual_sub_nc_u32 v7, 29, v7 :: v_dual_bitop2_b32 v90, 7, v60 bitop3:0x40
; %bb.815:                              ;   in Loop: Header=BB224_10 Depth=1
	s_or_b32 exec_lo, exec_lo, s16
	v_lshlrev_b32_e32 v17, 24, v6
	s_delay_alu instid0(VALU_DEP_2) | instskip(NEXT) | instid1(VALU_DEP_3)
	v_lshlrev_b32_e32 v10, 20, v90
	v_lshl_add_u32 v7, v7, 23, 0x3c000000
	s_delay_alu instid0(VALU_DEP_3) | instskip(NEXT) | instid1(VALU_DEP_1)
	v_and_b32_e32 v17, 0x80000000, v17
	v_or3_b32 v90, v10, v17, v7
	v_mov_b32_e32 v7, v91
	scratch_store_b64 off, v[6:7], s32 offset:192 ; 8-byte Folded Spill
.LBB224_816:                            ;   in Loop: Header=BB224_10 Depth=1
	s_wait_xcnt 0x0
	s_or_b32 exec_lo, exec_lo, s11
.LBB224_817:                            ;   in Loop: Header=BB224_10 Depth=1
	s_delay_alu instid0(SALU_CYCLE_1)
	s_or_b32 exec_lo, exec_lo, s9
.LBB224_818:                            ;   in Loop: Header=BB224_10 Depth=1
	s_delay_alu instid0(SALU_CYCLE_1) | instskip(SKIP_2) | instid1(VALU_DEP_1)
	s_or_b32 exec_lo, exec_lo, s8
	v_lshrrev_b16 v7, 8, v6
	s_mov_b32 s8, exec_lo
	v_cmpx_ne_u16_e32 0, v7
	s_cbranch_execz .LBB224_826
; %bb.819:                              ;   in Loop: Header=BB224_10 Depth=1
	v_mov_b64_e32 v[126:127], 0x8000000000000000
	s_mov_b32 s9, exec_lo
	v_cmpx_ne_u16_e32 0x80, v7
	s_cbranch_execz .LBB224_825
; %bb.820:                              ;   in Loop: Header=BB224_10 Depth=1
	v_and_b32_e32 v7, 0xffff, v7
	v_mov_b64_e32 v[126:127], 0x7f80000100000000
	s_mov_b32 s11, exec_lo
	s_delay_alu instid0(VALU_DEP_2) | instskip(NEXT) | instid1(VALU_DEP_1)
	v_and_b32_e32 v17, 0x7f, v7
	v_cmpx_ne_u32_e32 0x7f, v17
	s_cbranch_execz .LBB224_824
; %bb.821:                              ;   in Loop: Header=BB224_10 Depth=1
	scratch_load_b64 v[8:9], off, s32 offset:192 th:TH_LOAD_LU ; 8-byte Folded Reload
	s_wait_loadcnt 0x0
	v_dual_lshrrev_b32 v7, 3, v17 :: v_dual_bitop2_b32 v8, 7, v7 bitop3:0x40
	s_mov_b32 s16, exec_lo
	s_wait_xcnt 0x0
	v_cmpx_gt_u32_e32 8, v17
; %bb.822:                              ;   in Loop: Header=BB224_10 Depth=1
	s_delay_alu instid0(VALU_DEP_2) | instskip(NEXT) | instid1(VALU_DEP_1)
	v_clz_i32_u32_e32 v7, v8
	v_min_u32_e32 v7, 32, v7
	s_delay_alu instid0(VALU_DEP_1) | instskip(NEXT) | instid1(VALU_DEP_1)
	v_subrev_nc_u32_e32 v17, 28, v7
	v_lshlrev_b64_e32 v[72:73], v17, v[8:9]
	s_delay_alu instid0(VALU_DEP_1)
	v_dual_sub_nc_u32 v7, 29, v7 :: v_dual_bitop2_b32 v8, 7, v72 bitop3:0x40
; %bb.823:                              ;   in Loop: Header=BB224_10 Depth=1
	s_or_b32 exec_lo, exec_lo, s16
	s_delay_alu instid0(VALU_DEP_1) | instskip(NEXT) | instid1(VALU_DEP_2)
	v_dual_lshlrev_b32 v17, 16, v6 :: v_dual_lshlrev_b32 v10, 20, v8
	v_lshl_add_u32 v7, v7, 23, 0x3c000000
	v_mov_b32_e32 v126, v9
	s_delay_alu instid0(VALU_DEP_3) | instskip(NEXT) | instid1(VALU_DEP_1)
	v_and_b32_e32 v17, 0x80000000, v17
	v_or3_b32 v127, v10, v17, v7
	v_mov_b32_e32 v7, v9
	scratch_store_b64 off, v[6:7], s32 offset:192 ; 8-byte Folded Spill
.LBB224_824:                            ;   in Loop: Header=BB224_10 Depth=1
	s_wait_xcnt 0x0
	s_or_b32 exec_lo, exec_lo, s11
.LBB224_825:                            ;   in Loop: Header=BB224_10 Depth=1
	s_delay_alu instid0(SALU_CYCLE_1)
	s_or_b32 exec_lo, exec_lo, s9
.LBB224_826:                            ;   in Loop: Header=BB224_10 Depth=1
	s_delay_alu instid0(SALU_CYCLE_1) | instskip(SKIP_4) | instid1(VALU_DEP_3)
	s_or_b32 exec_lo, exec_lo, s8
	v_lshrrev_b32_e32 v7, 16, v6
	v_mov_b64_e32 v[78:79], 0
	v_mov_b64_e32 v[72:73], 0
	s_mov_b32 s8, exec_lo
	v_and_b32_e32 v10, 0xff, v7
	s_delay_alu instid0(VALU_DEP_1)
	v_cmpx_ne_u16_e32 0, v10
	s_cbranch_execz .LBB224_834
; %bb.827:                              ;   in Loop: Header=BB224_10 Depth=1
	v_mov_b64_e32 v[72:73], 0x80000000
	s_mov_b32 s9, exec_lo
	v_cmpx_ne_u16_e32 0x80, v10
	s_cbranch_execz .LBB224_833
; %bb.828:                              ;   in Loop: Header=BB224_10 Depth=1
	v_mov_b64_e32 v[72:73], 0x7f800001
	v_mov_b32_e32 v44, v76
	v_bfe_u32 v76, v6, 16, 7
	s_mov_b32 s11, exec_lo
	s_delay_alu instid0(VALU_DEP_1)
	v_cmpx_ne_u32_e32 0x7f, v76
	s_cbranch_execz .LBB224_832
; %bb.829:                              ;   in Loop: Header=BB224_10 Depth=1
	scratch_load_b64 v[8:9], off, s32 offset:192 th:TH_LOAD_LU ; 8-byte Folded Reload
	s_wait_loadcnt 0x0
	v_dual_lshrrev_b32 v17, 3, v76 :: v_dual_bitop2_b32 v8, 7, v7 bitop3:0x40
	s_mov_b32 s16, exec_lo
	s_wait_xcnt 0x0
	v_cmpx_gt_u32_e32 8, v76
; %bb.830:                              ;   in Loop: Header=BB224_10 Depth=1
	s_delay_alu instid0(VALU_DEP_2) | instskip(NEXT) | instid1(VALU_DEP_1)
	v_clz_i32_u32_e32 v17, v8
	v_min_u32_e32 v17, 32, v17
	s_delay_alu instid0(VALU_DEP_1) | instskip(NEXT) | instid1(VALU_DEP_1)
	v_subrev_nc_u32_e32 v72, 28, v17
	v_lshlrev_b64_e32 v[72:73], v72, v[8:9]
	s_delay_alu instid0(VALU_DEP_1)
	v_dual_sub_nc_u32 v17, 29, v17 :: v_dual_bitop2_b32 v8, 7, v72 bitop3:0x40
; %bb.831:                              ;   in Loop: Header=BB224_10 Depth=1
	s_or_b32 exec_lo, exec_lo, s16
	s_delay_alu instid0(VALU_DEP_1) | instskip(NEXT) | instid1(VALU_DEP_2)
	v_dual_lshlrev_b32 v7, 24, v7 :: v_dual_lshlrev_b32 v10, 20, v8
	v_lshl_add_u32 v17, v17, 23, 0x3c000000
	s_delay_alu instid0(VALU_DEP_2) | instskip(NEXT) | instid1(VALU_DEP_1)
	v_and_b32_e32 v7, 0x80000000, v7
	v_or3_b32 v8, v10, v7, v17
	v_mov_b32_e32 v7, v9
	s_delay_alu instid0(VALU_DEP_2)
	v_mov_b64_e32 v[72:73], v[8:9]
	scratch_store_b64 off, v[6:7], s32 offset:192 ; 8-byte Folded Spill
.LBB224_832:                            ;   in Loop: Header=BB224_10 Depth=1
	s_wait_xcnt 0x0
	s_or_b32 exec_lo, exec_lo, s11
	v_mov_b32_e32 v76, v44
.LBB224_833:                            ;   in Loop: Header=BB224_10 Depth=1
	s_or_b32 exec_lo, exec_lo, s9
.LBB224_834:                            ;   in Loop: Header=BB224_10 Depth=1
	s_delay_alu instid0(SALU_CYCLE_1) | instskip(NEXT) | instid1(SALU_CYCLE_1)
	s_or_b32 exec_lo, exec_lo, s8
	s_mov_b32 s8, exec_lo
	v_cmpx_lt_u32_e32 0xffffff, v6
	s_cbranch_execz .LBB224_842
; %bb.835:                              ;   in Loop: Header=BB224_10 Depth=1
	v_mov_b64_e32 v[78:79], 0x8000000000000000
	v_lshrrev_b32_e32 v7, 24, v6
	s_mov_b32 s9, exec_lo
	s_delay_alu instid0(VALU_DEP_1)
	v_cmpx_ne_u32_e32 0x80, v7
	s_cbranch_execz .LBB224_841
; %bb.836:                              ;   in Loop: Header=BB224_10 Depth=1
	v_mov_b64_e32 v[78:79], 0x7f80000100000000
	v_bfe_u32 v17, v6, 24, 7
	s_mov_b32 s11, exec_lo
	s_delay_alu instid0(VALU_DEP_1)
	v_cmpx_ne_u32_e32 0x7f, v17
	s_cbranch_execz .LBB224_840
; %bb.837:                              ;   in Loop: Header=BB224_10 Depth=1
	scratch_load_b64 v[8:9], off, s32 offset:192 th:TH_LOAD_LU ; 8-byte Folded Reload
	s_wait_loadcnt 0x0
	v_dual_lshrrev_b32 v6, 3, v17 :: v_dual_bitop2_b32 v8, 7, v7 bitop3:0x40
	s_mov_b32 s16, exec_lo
	s_wait_xcnt 0x0
	v_cmpx_gt_u32_e32 8, v17
	s_cbranch_execz .LBB224_839
; %bb.838:                              ;   in Loop: Header=BB224_10 Depth=1
	v_clz_i32_u32_e32 v6, v8
	s_delay_alu instid0(VALU_DEP_1) | instskip(SKIP_1) | instid1(VALU_DEP_2)
	v_min_u32_e32 v6, 32, v6
	v_mov_b32_e32 v10, v76
	v_subrev_nc_u32_e32 v17, 28, v6
	v_sub_nc_u32_e32 v6, 29, v6
	s_delay_alu instid0(VALU_DEP_2) | instskip(NEXT) | instid1(VALU_DEP_1)
	v_lshlrev_b64_e32 v[76:77], v17, v[8:9]
	v_dual_mov_b32 v76, v10 :: v_dual_bitop2_b32 v8, 7, v76 bitop3:0x40
.LBB224_839:                            ;   in Loop: Header=BB224_10 Depth=1
	s_or_b32 exec_lo, exec_lo, s16
	s_delay_alu instid0(VALU_DEP_1) | instskip(SKIP_2) | instid1(VALU_DEP_3)
	v_dual_lshlrev_b32 v7, 24, v7 :: v_dual_lshlrev_b32 v10, 20, v8
	v_lshl_add_u32 v6, v6, 23, 0x3c000000
	v_mov_b32_e32 v78, v9
	v_and_b32_e32 v7, 0x80000000, v7
	s_delay_alu instid0(VALU_DEP_1)
	v_or3_b32 v79, v10, v7, v6
	v_mov_b32_e32 v7, v9
	scratch_store_b64 off, v[6:7], s32 offset:192 ; 8-byte Folded Spill
.LBB224_840:                            ;   in Loop: Header=BB224_10 Depth=1
	s_wait_xcnt 0x0
	s_or_b32 exec_lo, exec_lo, s11
.LBB224_841:                            ;   in Loop: Header=BB224_10 Depth=1
	s_delay_alu instid0(SALU_CYCLE_1)
	s_or_b32 exec_lo, exec_lo, s9
.LBB224_842:                            ;   in Loop: Header=BB224_10 Depth=1
	s_delay_alu instid0(SALU_CYCLE_1)
	s_or_b32 exec_lo, exec_lo, s8
	flat_load_b32 v6, v[26:27] offset:3080
	v_mov_b64_e32 v[108:109], 0
	v_mov_b64_e32 v[122:123], 0
	s_mov_b32 s8, exec_lo
	s_wait_loadcnt_dscnt 0x0
	v_and_b32_e32 v7, 0xff, v6
	s_wait_xcnt 0x0
	s_delay_alu instid0(VALU_DEP_1)
	v_cmpx_ne_u16_e32 0, v7
	s_cbranch_execz .LBB224_850
; %bb.843:                              ;   in Loop: Header=BB224_10 Depth=1
	v_mov_b64_e32 v[122:123], 0x80000000
	s_mov_b32 s9, exec_lo
	v_cmpx_ne_u16_e32 0x80, v7
	s_cbranch_execz .LBB224_849
; %bb.844:                              ;   in Loop: Header=BB224_10 Depth=1
	v_mov_b64_e32 v[122:123], 0x7f800001
	v_and_b32_e32 v17, 0x7f, v6
	s_mov_b32 s11, exec_lo
	s_delay_alu instid0(VALU_DEP_1)
	v_cmpx_ne_u32_e32 0x7f, v17
	s_cbranch_execz .LBB224_848
; %bb.845:                              ;   in Loop: Header=BB224_10 Depth=1
	scratch_load_b64 v[122:123], off, s32 offset:192 th:TH_LOAD_LU ; 8-byte Folded Reload
	s_wait_loadcnt 0x0
	v_dual_lshrrev_b32 v7, 3, v17 :: v_dual_bitop2_b32 v122, 7, v6 bitop3:0x40
	s_mov_b32 s16, exec_lo
	s_wait_xcnt 0x0
	v_cmpx_gt_u32_e32 8, v17
	s_cbranch_execz .LBB224_847
; %bb.846:                              ;   in Loop: Header=BB224_10 Depth=1
	v_clz_i32_u32_e32 v7, v122
	s_delay_alu instid0(VALU_DEP_1) | instskip(SKIP_1) | instid1(VALU_DEP_2)
	v_min_u32_e32 v7, 32, v7
	v_mov_b32_e32 v10, v76
	v_subrev_nc_u32_e32 v17, 28, v7
	v_sub_nc_u32_e32 v7, 29, v7
	s_delay_alu instid0(VALU_DEP_2) | instskip(NEXT) | instid1(VALU_DEP_1)
	v_lshlrev_b64_e32 v[76:77], v17, v[122:123]
	v_dual_mov_b32 v76, v10 :: v_dual_bitop2_b32 v122, 7, v76 bitop3:0x40
.LBB224_847:                            ;   in Loop: Header=BB224_10 Depth=1
	s_or_b32 exec_lo, exec_lo, s16
	v_lshlrev_b32_e32 v17, 24, v6
	s_delay_alu instid0(VALU_DEP_2) | instskip(SKIP_1) | instid1(VALU_DEP_3)
	v_lshlrev_b32_e32 v10, 20, v122
	v_lshl_add_u32 v7, v7, 23, 0x3c000000
	v_and_b32_e32 v17, 0x80000000, v17
	s_delay_alu instid0(VALU_DEP_1)
	v_or3_b32 v122, v10, v17, v7
	v_mov_b32_e32 v7, v123
	scratch_store_b64 off, v[6:7], s32 offset:192 ; 8-byte Folded Spill
.LBB224_848:                            ;   in Loop: Header=BB224_10 Depth=1
	s_wait_xcnt 0x0
	s_or_b32 exec_lo, exec_lo, s11
.LBB224_849:                            ;   in Loop: Header=BB224_10 Depth=1
	s_delay_alu instid0(SALU_CYCLE_1)
	s_or_b32 exec_lo, exec_lo, s9
.LBB224_850:                            ;   in Loop: Header=BB224_10 Depth=1
	s_delay_alu instid0(SALU_CYCLE_1) | instskip(SKIP_2) | instid1(VALU_DEP_1)
	s_or_b32 exec_lo, exec_lo, s8
	v_lshrrev_b16 v7, 8, v6
	s_mov_b32 s8, exec_lo
	v_cmpx_ne_u16_e32 0, v7
	s_cbranch_execz .LBB224_858
; %bb.851:                              ;   in Loop: Header=BB224_10 Depth=1
	v_mov_b64_e32 v[108:109], 0x8000000000000000
	s_mov_b32 s9, exec_lo
	v_cmpx_ne_u16_e32 0x80, v7
	s_cbranch_execz .LBB224_857
; %bb.852:                              ;   in Loop: Header=BB224_10 Depth=1
	v_and_b32_e32 v7, 0xffff, v7
	v_mov_b64_e32 v[108:109], 0x7f80000100000000
	s_mov_b32 s11, exec_lo
	s_delay_alu instid0(VALU_DEP_2) | instskip(NEXT) | instid1(VALU_DEP_1)
	v_and_b32_e32 v17, 0x7f, v7
	v_cmpx_ne_u32_e32 0x7f, v17
	s_cbranch_execz .LBB224_856
; %bb.853:                              ;   in Loop: Header=BB224_10 Depth=1
	scratch_load_b64 v[8:9], off, s32 offset:192 th:TH_LOAD_LU ; 8-byte Folded Reload
	s_wait_loadcnt 0x0
	v_dual_lshrrev_b32 v7, 3, v17 :: v_dual_bitop2_b32 v8, 7, v7 bitop3:0x40
	s_mov_b32 s16, exec_lo
	s_wait_xcnt 0x0
	v_cmpx_gt_u32_e32 8, v17
; %bb.854:                              ;   in Loop: Header=BB224_10 Depth=1
	s_delay_alu instid0(VALU_DEP_2) | instskip(NEXT) | instid1(VALU_DEP_1)
	v_clz_i32_u32_e32 v7, v8
	v_min_u32_e32 v7, 32, v7
	s_delay_alu instid0(VALU_DEP_1) | instskip(NEXT) | instid1(VALU_DEP_1)
	v_subrev_nc_u32_e32 v17, 28, v7
	v_lshlrev_b64_e32 v[88:89], v17, v[8:9]
	s_delay_alu instid0(VALU_DEP_1)
	v_dual_sub_nc_u32 v7, 29, v7 :: v_dual_bitop2_b32 v8, 7, v88 bitop3:0x40
; %bb.855:                              ;   in Loop: Header=BB224_10 Depth=1
	s_or_b32 exec_lo, exec_lo, s16
	s_delay_alu instid0(VALU_DEP_1) | instskip(NEXT) | instid1(VALU_DEP_2)
	v_dual_lshlrev_b32 v17, 16, v6 :: v_dual_lshlrev_b32 v10, 20, v8
	v_lshl_add_u32 v7, v7, 23, 0x3c000000
	v_mov_b32_e32 v108, v9
	s_delay_alu instid0(VALU_DEP_3) | instskip(NEXT) | instid1(VALU_DEP_1)
	v_and_b32_e32 v17, 0x80000000, v17
	v_or3_b32 v109, v10, v17, v7
	v_mov_b32_e32 v7, v9
	scratch_store_b64 off, v[6:7], s32 offset:192 ; 8-byte Folded Spill
.LBB224_856:                            ;   in Loop: Header=BB224_10 Depth=1
	s_wait_xcnt 0x0
	s_or_b32 exec_lo, exec_lo, s11
.LBB224_857:                            ;   in Loop: Header=BB224_10 Depth=1
	s_delay_alu instid0(SALU_CYCLE_1)
	s_or_b32 exec_lo, exec_lo, s9
.LBB224_858:                            ;   in Loop: Header=BB224_10 Depth=1
	s_delay_alu instid0(SALU_CYCLE_1) | instskip(SKIP_4) | instid1(VALU_DEP_3)
	s_or_b32 exec_lo, exec_lo, s8
	v_lshrrev_b32_e32 v7, 16, v6
	v_mov_b64_e32 v[94:95], 0
	v_mov_b64_e32 v[88:89], 0
	s_mov_b32 s8, exec_lo
	v_and_b32_e32 v10, 0xff, v7
	s_delay_alu instid0(VALU_DEP_1)
	v_cmpx_ne_u16_e32 0, v10
	s_cbranch_execz .LBB224_866
; %bb.859:                              ;   in Loop: Header=BB224_10 Depth=1
	v_mov_b64_e32 v[88:89], 0x80000000
	s_mov_b32 s9, exec_lo
	v_cmpx_ne_u16_e32 0x80, v10
	s_cbranch_execz .LBB224_865
; %bb.860:                              ;   in Loop: Header=BB224_10 Depth=1
	v_mov_b64_e32 v[88:89], 0x7f800001
	v_bfe_u32 v92, v6, 16, 7
	s_mov_b32 s11, exec_lo
	s_delay_alu instid0(VALU_DEP_1)
	v_cmpx_ne_u32_e32 0x7f, v92
	s_cbranch_execz .LBB224_864
; %bb.861:                              ;   in Loop: Header=BB224_10 Depth=1
	scratch_load_b64 v[8:9], off, s32 offset:192 th:TH_LOAD_LU ; 8-byte Folded Reload
	s_wait_loadcnt 0x0
	v_dual_lshrrev_b32 v17, 3, v92 :: v_dual_bitop2_b32 v8, 7, v7 bitop3:0x40
	s_mov_b32 s16, exec_lo
	s_wait_xcnt 0x0
	v_cmpx_gt_u32_e32 8, v92
; %bb.862:                              ;   in Loop: Header=BB224_10 Depth=1
	s_delay_alu instid0(VALU_DEP_2) | instskip(NEXT) | instid1(VALU_DEP_1)
	v_clz_i32_u32_e32 v17, v8
	v_min_u32_e32 v17, 32, v17
	s_delay_alu instid0(VALU_DEP_1) | instskip(NEXT) | instid1(VALU_DEP_1)
	v_subrev_nc_u32_e32 v88, 28, v17
	v_lshlrev_b64_e32 v[88:89], v88, v[8:9]
	s_delay_alu instid0(VALU_DEP_1)
	v_dual_sub_nc_u32 v17, 29, v17 :: v_dual_bitop2_b32 v8, 7, v88 bitop3:0x40
; %bb.863:                              ;   in Loop: Header=BB224_10 Depth=1
	s_or_b32 exec_lo, exec_lo, s16
	s_delay_alu instid0(VALU_DEP_1) | instskip(NEXT) | instid1(VALU_DEP_2)
	v_dual_lshlrev_b32 v7, 24, v7 :: v_dual_lshlrev_b32 v10, 20, v8
	v_lshl_add_u32 v17, v17, 23, 0x3c000000
	s_delay_alu instid0(VALU_DEP_2) | instskip(NEXT) | instid1(VALU_DEP_1)
	v_and_b32_e32 v7, 0x80000000, v7
	v_or3_b32 v8, v10, v7, v17
	v_mov_b32_e32 v7, v9
	s_delay_alu instid0(VALU_DEP_2)
	v_mov_b64_e32 v[88:89], v[8:9]
	scratch_store_b64 off, v[6:7], s32 offset:192 ; 8-byte Folded Spill
.LBB224_864:                            ;   in Loop: Header=BB224_10 Depth=1
	s_wait_xcnt 0x0
	s_or_b32 exec_lo, exec_lo, s11
.LBB224_865:                            ;   in Loop: Header=BB224_10 Depth=1
	s_delay_alu instid0(SALU_CYCLE_1)
	s_or_b32 exec_lo, exec_lo, s9
.LBB224_866:                            ;   in Loop: Header=BB224_10 Depth=1
	s_delay_alu instid0(SALU_CYCLE_1) | instskip(NEXT) | instid1(SALU_CYCLE_1)
	s_or_b32 exec_lo, exec_lo, s8
	s_mov_b32 s8, exec_lo
	v_cmpx_lt_u32_e32 0xffffff, v6
	s_cbranch_execz .LBB224_874
; %bb.867:                              ;   in Loop: Header=BB224_10 Depth=1
	v_mov_b64_e32 v[94:95], 0x8000000000000000
	v_lshrrev_b32_e32 v7, 24, v6
	s_mov_b32 s9, exec_lo
	s_delay_alu instid0(VALU_DEP_1)
	v_cmpx_ne_u32_e32 0x80, v7
	s_cbranch_execz .LBB224_873
; %bb.868:                              ;   in Loop: Header=BB224_10 Depth=1
	v_mov_b64_e32 v[94:95], 0x7f80000100000000
	v_bfe_u32 v17, v6, 24, 7
	s_mov_b32 s11, exec_lo
	s_delay_alu instid0(VALU_DEP_1)
	v_cmpx_ne_u32_e32 0x7f, v17
	s_cbranch_execz .LBB224_872
; %bb.869:                              ;   in Loop: Header=BB224_10 Depth=1
	scratch_load_b64 v[8:9], off, s32 offset:192 th:TH_LOAD_LU ; 8-byte Folded Reload
	s_wait_loadcnt 0x0
	v_dual_lshrrev_b32 v6, 3, v17 :: v_dual_bitop2_b32 v8, 7, v7 bitop3:0x40
	s_mov_b32 s16, exec_lo
	s_wait_xcnt 0x0
	v_cmpx_gt_u32_e32 8, v17
; %bb.870:                              ;   in Loop: Header=BB224_10 Depth=1
	s_delay_alu instid0(VALU_DEP_2) | instskip(NEXT) | instid1(VALU_DEP_1)
	v_clz_i32_u32_e32 v6, v8
	v_min_u32_e32 v6, 32, v6
	s_delay_alu instid0(VALU_DEP_1) | instskip(NEXT) | instid1(VALU_DEP_1)
	v_subrev_nc_u32_e32 v17, 28, v6
	v_lshlrev_b64_e32 v[92:93], v17, v[8:9]
	s_delay_alu instid0(VALU_DEP_1)
	v_dual_sub_nc_u32 v6, 29, v6 :: v_dual_bitop2_b32 v8, 7, v92 bitop3:0x40
; %bb.871:                              ;   in Loop: Header=BB224_10 Depth=1
	s_or_b32 exec_lo, exec_lo, s16
	s_delay_alu instid0(VALU_DEP_1) | instskip(NEXT) | instid1(VALU_DEP_2)
	v_dual_lshlrev_b32 v7, 24, v7 :: v_dual_lshlrev_b32 v10, 20, v8
	v_lshl_add_u32 v6, v6, 23, 0x3c000000
	v_mov_b32_e32 v94, v9
	s_delay_alu instid0(VALU_DEP_3) | instskip(NEXT) | instid1(VALU_DEP_1)
	v_and_b32_e32 v7, 0x80000000, v7
	v_or3_b32 v95, v10, v7, v6
	v_mov_b32_e32 v7, v9
	scratch_store_b64 off, v[6:7], s32 offset:192 ; 8-byte Folded Spill
.LBB224_872:                            ;   in Loop: Header=BB224_10 Depth=1
	s_wait_xcnt 0x0
	s_or_b32 exec_lo, exec_lo, s11
.LBB224_873:                            ;   in Loop: Header=BB224_10 Depth=1
	s_delay_alu instid0(SALU_CYCLE_1)
	s_or_b32 exec_lo, exec_lo, s9
.LBB224_874:                            ;   in Loop: Header=BB224_10 Depth=1
	s_delay_alu instid0(SALU_CYCLE_1)
	s_or_b32 exec_lo, exec_lo, s8
	flat_load_b32 v17, v[26:27] offset:3084
	s_wait_xcnt 0x0
	v_mov_b64_e32 v[26:27], 0
	v_mov_b64_e32 v[6:7], 0
	s_mov_b32 s8, exec_lo
	s_wait_loadcnt_dscnt 0x0
	v_and_b32_e32 v10, 0xff, v17
	s_delay_alu instid0(VALU_DEP_1)
	v_cmpx_ne_u16_e32 0, v10
	s_cbranch_execz .LBB224_882
; %bb.875:                              ;   in Loop: Header=BB224_10 Depth=1
	v_mov_b64_e32 v[6:7], 0x80000000
	s_mov_b32 s9, exec_lo
	v_cmpx_ne_u16_e32 0x80, v10
	s_cbranch_execz .LBB224_881
; %bb.876:                              ;   in Loop: Header=BB224_10 Depth=1
	v_mov_b64_e32 v[6:7], 0x7f800001
	v_and_b32_e32 v92, 0x7f, v17
	s_mov_b32 s11, exec_lo
	s_delay_alu instid0(VALU_DEP_1)
	v_cmpx_ne_u32_e32 0x7f, v92
	s_cbranch_execz .LBB224_880
; %bb.877:                              ;   in Loop: Header=BB224_10 Depth=1
	scratch_load_b64 v[8:9], off, s32 offset:192 th:TH_LOAD_LU ; 8-byte Folded Reload
	s_wait_loadcnt 0x0
	v_dual_lshrrev_b32 v6, 3, v92 :: v_dual_bitop2_b32 v8, 7, v17 bitop3:0x40
	s_mov_b32 s16, exec_lo
	s_wait_xcnt 0x0
	v_cmpx_gt_u32_e32 8, v92
; %bb.878:                              ;   in Loop: Header=BB224_10 Depth=1
	s_delay_alu instid0(VALU_DEP_2) | instskip(NEXT) | instid1(VALU_DEP_1)
	v_clz_i32_u32_e32 v6, v8
	v_min_u32_e32 v6, 32, v6
	s_delay_alu instid0(VALU_DEP_1) | instskip(NEXT) | instid1(VALU_DEP_1)
	v_subrev_nc_u32_e32 v7, 28, v6
	v_lshlrev_b64_e32 v[92:93], v7, v[8:9]
	s_delay_alu instid0(VALU_DEP_1)
	v_dual_sub_nc_u32 v6, 29, v6 :: v_dual_bitop2_b32 v8, 7, v92 bitop3:0x40
; %bb.879:                              ;   in Loop: Header=BB224_10 Depth=1
	s_or_b32 exec_lo, exec_lo, s16
	s_delay_alu instid0(VALU_DEP_1) | instskip(NEXT) | instid1(VALU_DEP_2)
	v_dual_lshlrev_b32 v7, 24, v17 :: v_dual_lshlrev_b32 v10, 20, v8
	v_lshl_add_u32 v6, v6, 23, 0x3c000000
	s_delay_alu instid0(VALU_DEP_2) | instskip(NEXT) | instid1(VALU_DEP_1)
	v_and_b32_e32 v7, 0x80000000, v7
	v_or3_b32 v8, v10, v7, v6
	v_mov_b32_e32 v7, v9
	scratch_store_b64 off, v[6:7], s32 offset:192 ; 8-byte Folded Spill
	s_wait_xcnt 0x0
	v_mov_b64_e32 v[6:7], v[8:9]
.LBB224_880:                            ;   in Loop: Header=BB224_10 Depth=1
	s_or_b32 exec_lo, exec_lo, s11
.LBB224_881:                            ;   in Loop: Header=BB224_10 Depth=1
	s_delay_alu instid0(SALU_CYCLE_1)
	s_or_b32 exec_lo, exec_lo, s9
.LBB224_882:                            ;   in Loop: Header=BB224_10 Depth=1
	s_delay_alu instid0(SALU_CYCLE_1) | instskip(SKIP_2) | instid1(VALU_DEP_1)
	s_or_b32 exec_lo, exec_lo, s8
	v_lshrrev_b16 v10, 8, v17
	s_mov_b32 s8, exec_lo
	v_cmpx_ne_u16_e32 0, v10
	s_cbranch_execz .LBB224_890
; %bb.883:                              ;   in Loop: Header=BB224_10 Depth=1
	v_mov_b64_e32 v[26:27], 0x8000000000000000
	s_mov_b32 s9, exec_lo
	v_cmpx_ne_u16_e32 0x80, v10
	s_cbranch_execz .LBB224_889
; %bb.884:                              ;   in Loop: Header=BB224_10 Depth=1
	v_and_b32_e32 v10, 0xffff, v10
	v_mov_b64_e32 v[26:27], 0x7f80000100000000
	s_mov_b32 s11, exec_lo
	s_delay_alu instid0(VALU_DEP_2) | instskip(NEXT) | instid1(VALU_DEP_1)
	v_and_b32_e32 v92, 0x7f, v10
	v_cmpx_ne_u32_e32 0x7f, v92
	s_cbranch_execz .LBB224_888
; %bb.885:                              ;   in Loop: Header=BB224_10 Depth=1
	scratch_load_b64 v[8:9], off, s32 offset:192 th:TH_LOAD_LU ; 8-byte Folded Reload
	s_wait_loadcnt 0x0
	v_dual_lshrrev_b32 v26, 3, v92 :: v_dual_bitop2_b32 v8, 7, v10 bitop3:0x40
	s_mov_b32 s16, exec_lo
	s_wait_xcnt 0x0
	v_cmpx_gt_u32_e32 8, v92
; %bb.886:                              ;   in Loop: Header=BB224_10 Depth=1
	s_delay_alu instid0(VALU_DEP_2) | instskip(NEXT) | instid1(VALU_DEP_1)
	v_clz_i32_u32_e32 v26, v8
	v_min_u32_e32 v26, 32, v26
	s_delay_alu instid0(VALU_DEP_1) | instskip(NEXT) | instid1(VALU_DEP_1)
	v_subrev_nc_u32_e32 v27, 28, v26
	v_lshlrev_b64_e32 v[92:93], v27, v[8:9]
	s_delay_alu instid0(VALU_DEP_1)
	v_dual_sub_nc_u32 v26, 29, v26 :: v_dual_bitop2_b32 v8, 7, v92 bitop3:0x40
; %bb.887:                              ;   in Loop: Header=BB224_10 Depth=1
	s_or_b32 exec_lo, exec_lo, s16
	s_delay_alu instid0(VALU_DEP_1) | instskip(NEXT) | instid1(VALU_DEP_2)
	v_dual_lshlrev_b32 v27, 16, v17 :: v_dual_lshlrev_b32 v10, 20, v8
	v_lshl_add_u32 v26, v26, 23, 0x3c000000
	v_mov_b32_e32 v11, v9
	s_delay_alu instid0(VALU_DEP_3) | instskip(NEXT) | instid1(VALU_DEP_1)
	v_and_b32_e32 v27, 0x80000000, v27
	v_or3_b32 v27, v10, v27, v26
	v_mov_b32_e32 v26, v9
	scratch_store_b64 off, v[10:11], s32 offset:192 ; 8-byte Folded Spill
.LBB224_888:                            ;   in Loop: Header=BB224_10 Depth=1
	s_wait_xcnt 0x0
	s_or_b32 exec_lo, exec_lo, s11
.LBB224_889:                            ;   in Loop: Header=BB224_10 Depth=1
	s_delay_alu instid0(SALU_CYCLE_1)
	s_or_b32 exec_lo, exec_lo, s9
.LBB224_890:                            ;   in Loop: Header=BB224_10 Depth=1
	s_delay_alu instid0(SALU_CYCLE_1) | instskip(SKIP_4) | instid1(VALU_DEP_3)
	s_or_b32 exec_lo, exec_lo, s8
	v_lshrrev_b32_e32 v110, 16, v17
	v_mov_b64_e32 v[106:107], 0
	v_mov_b64_e32 v[92:93], 0
	s_mov_b32 s8, exec_lo
	v_and_b32_e32 v10, 0xff, v110
	s_delay_alu instid0(VALU_DEP_1)
	v_cmpx_ne_u16_e32 0, v10
	s_cbranch_execz .LBB224_898
; %bb.891:                              ;   in Loop: Header=BB224_10 Depth=1
	v_mov_b64_e32 v[92:93], 0x80000000
	s_mov_b32 s9, exec_lo
	v_cmpx_ne_u16_e32 0x80, v10
	s_cbranch_execz .LBB224_897
; %bb.892:                              ;   in Loop: Header=BB224_10 Depth=1
	v_mov_b64_e32 v[92:93], 0x7f800001
	v_bfe_u32 v111, v17, 16, 7
	s_mov_b32 s11, exec_lo
	s_delay_alu instid0(VALU_DEP_1)
	v_cmpx_ne_u32_e32 0x7f, v111
	s_cbranch_execz .LBB224_896
; %bb.893:                              ;   in Loop: Header=BB224_10 Depth=1
	scratch_load_b64 v[8:9], off, s32 offset:192 th:TH_LOAD_LU ; 8-byte Folded Reload
	s_wait_loadcnt 0x0
	v_dual_lshrrev_b32 v92, 3, v111 :: v_dual_bitop2_b32 v8, 7, v110 bitop3:0x40
	s_mov_b32 s16, exec_lo
	s_wait_xcnt 0x0
	v_cmpx_gt_u32_e32 8, v111
; %bb.894:                              ;   in Loop: Header=BB224_10 Depth=1
	s_delay_alu instid0(VALU_DEP_2) | instskip(NEXT) | instid1(VALU_DEP_1)
	v_clz_i32_u32_e32 v92, v8
	v_min_u32_e32 v92, 32, v92
	s_delay_alu instid0(VALU_DEP_1) | instskip(SKIP_1) | instid1(VALU_DEP_2)
	v_subrev_nc_u32_e32 v93, 28, v92
	v_sub_nc_u32_e32 v92, 29, v92
	v_lshlrev_b64_e32 v[104:105], v93, v[8:9]
	s_delay_alu instid0(VALU_DEP_1)
	v_and_b32_e32 v8, 7, v104
; %bb.895:                              ;   in Loop: Header=BB224_10 Depth=1
	s_or_b32 exec_lo, exec_lo, s16
	s_delay_alu instid0(VALU_DEP_1) | instskip(SKIP_2) | instid1(VALU_DEP_3)
	v_dual_lshlrev_b32 v93, 24, v110 :: v_dual_lshlrev_b32 v10, 20, v8
	v_lshl_add_u32 v92, v92, 23, 0x3c000000
	v_mov_b32_e32 v11, v9
	v_and_b32_e32 v93, 0x80000000, v93
	scratch_store_b64 off, v[10:11], s32 offset:192 ; 8-byte Folded Spill
	v_or3_b32 v8, v10, v93, v92
	s_delay_alu instid0(VALU_DEP_1)
	v_mov_b64_e32 v[92:93], v[8:9]
.LBB224_896:                            ;   in Loop: Header=BB224_10 Depth=1
	s_wait_xcnt 0x0
	s_or_b32 exec_lo, exec_lo, s11
.LBB224_897:                            ;   in Loop: Header=BB224_10 Depth=1
	s_delay_alu instid0(SALU_CYCLE_1)
	s_or_b32 exec_lo, exec_lo, s9
.LBB224_898:                            ;   in Loop: Header=BB224_10 Depth=1
	s_delay_alu instid0(SALU_CYCLE_1)
	s_or_b32 exec_lo, exec_lo, s8
	v_cmp_lt_u32_e64 s1, 0xffffff, v17
	s_mov_b32 s8, exec_lo
	s_clause 0x1
	scratch_load_b32 v61, off, s32 offset:660
	scratch_load_b32 v44, off, s32 offset:664
	v_mov_b32_e32 v60, v16
	s_and_b32 s1, s8, s1
	s_wait_xcnt 0x0
	s_mov_b32 exec_lo, s1
	s_cbranch_execz .LBB224_9
; %bb.899:                              ;   in Loop: Header=BB224_10 Depth=1
	v_mov_b64_e32 v[106:107], 0x8000000000000000
	v_lshrrev_b32_e32 v110, 24, v17
	s_mov_b32 s9, exec_lo
	s_delay_alu instid0(VALU_DEP_1)
	v_cmpx_ne_u32_e32 0x80, v110
	s_cbranch_execz .LBB224_8
; %bb.900:                              ;   in Loop: Header=BB224_10 Depth=1
	v_mov_b64_e32 v[106:107], 0x7f80000100000000
	v_bfe_u32 v111, v17, 24, 7
	s_mov_b32 s11, exec_lo
	s_delay_alu instid0(VALU_DEP_1)
	v_cmpx_ne_u32_e32 0x7f, v111
	s_cbranch_execz .LBB224_7
; %bb.901:                              ;   in Loop: Header=BB224_10 Depth=1
	scratch_load_b64 v[8:9], off, s32 offset:192 th:TH_LOAD_LU ; 8-byte Folded Reload
	s_wait_loadcnt 0x0
	v_dual_lshrrev_b32 v17, 3, v111 :: v_dual_bitop2_b32 v8, 7, v110 bitop3:0x40
	s_mov_b32 s16, exec_lo
	s_wait_xcnt 0x0
	v_cmpx_gt_u32_e32 8, v111
	s_cbranch_execz .LBB224_6
; %bb.902:                              ;   in Loop: Header=BB224_10 Depth=1
	v_clz_i32_u32_e32 v17, v8
	s_delay_alu instid0(VALU_DEP_1) | instskip(NEXT) | instid1(VALU_DEP_1)
	v_min_u32_e32 v17, 32, v17
	v_subrev_nc_u32_e32 v104, 28, v17
	s_delay_alu instid0(VALU_DEP_1) | instskip(NEXT) | instid1(VALU_DEP_1)
	v_lshlrev_b64_e32 v[104:105], v104, v[8:9]
	v_dual_sub_nc_u32 v17, 29, v17 :: v_dual_bitop2_b32 v8, 7, v104 bitop3:0x40
	s_branch .LBB224_6
.LBB224_903:
	s_or_b32 exec_lo, exec_lo, s3
	s_clause 0x1
	scratch_load_b32 v9, off, s32 offset:1208
	scratch_load_b64 v[10:11], off, s32 offset:1268
.LBB224_904:
	s_wait_xcnt 0x0
	s_or_b32 exec_lo, exec_lo, s2
	v_mbcnt_lo_u32_b32 v2, -1, 0
	s_delay_alu instid0(VALU_DEP_1) | instskip(SKIP_1) | instid1(VALU_DEP_2)
	v_dual_max_num_f32 v4, v8, v8 :: v_dual_bitop2_b32 v0, 16, v2 bitop3:0x14
	v_xor_b32_e32 v3, 8, v2
	v_cmp_gt_i32_e32 vcc_lo, 32, v0
	v_cndmask_b32_e32 v0, v2, v0, vcc_lo
	s_delay_alu instid0(VALU_DEP_3) | instskip(NEXT) | instid1(VALU_DEP_2)
	v_cmp_gt_i32_e32 vcc_lo, 32, v3
	v_dual_cndmask_b32 v3, v2, v3 :: v_dual_lshlrev_b32 v0, 2, v0
	ds_bpermute_b32 v1, v0, v8
	s_wait_dscnt 0x0
	v_dual_max_num_f32 v5, v1, v1 :: v_dual_lshlrev_b32 v1, 2, v3
	s_delay_alu instid0(VALU_DEP_1) | instskip(SKIP_4) | instid1(VALU_DEP_1)
	v_dual_max_num_f32 v3, v4, v5 :: v_dual_bitop2_b32 v5, 4, v2 bitop3:0x14
	ds_bpermute_b32 v4, v1, v3
	v_cmp_gt_i32_e32 vcc_lo, 32, v5
	s_wait_dscnt 0x0
	v_dual_cndmask_b32 v5, v2, v5 :: v_dual_max_num_f32 v4, v4, v4
	v_dual_lshlrev_b32 v69, 2, v5 :: v_dual_max_num_f32 v3, v3, v4
	ds_bpermute_b32 v4, v69, v3
	s_wait_dscnt 0x0
	v_dual_max_num_f32 v4, v4, v4 :: v_dual_bitop2_b32 v5, 2, v2 bitop3:0x14
	s_delay_alu instid0(VALU_DEP_1) | instskip(NEXT) | instid1(VALU_DEP_2)
	v_cmp_gt_i32_e32 vcc_lo, 32, v5
	v_dual_max_num_f32 v3, v3, v4 :: v_dual_cndmask_b32 v5, v2, v5, vcc_lo
	s_delay_alu instid0(VALU_DEP_1) | instskip(SKIP_4) | instid1(VALU_DEP_1)
	v_dual_lshlrev_b32 v82, 2, v5 :: v_dual_bitop2_b32 v5, 1, v2 bitop3:0x14
	ds_bpermute_b32 v4, v82, v3
	v_cmp_gt_i32_e32 vcc_lo, 32, v5
	v_cndmask_b32_e32 v5, v2, v5, vcc_lo
	s_wait_dscnt 0x0
	v_dual_max_num_f32 v4, v4, v4 :: v_dual_lshlrev_b32 v53, 2, v5
	s_delay_alu instid0(VALU_DEP_1)
	v_max_num_f32_e32 v2, v3, v4
	scratch_load_b32 v3, off, s32 offset:1212 ; 4-byte Folded Reload
	ds_bpermute_b32 v4, v53, v2
	s_wait_loadcnt 0x0
	v_cmp_eq_u32_e32 vcc_lo, 0, v3
	scratch_load_b32 v3, off, s32 offset:1216 ; 4-byte Folded Reload
	s_wait_loadcnt 0x0
	v_lshlrev_b32_e32 v3, 2, v3
	s_wait_xcnt 0x0
	s_and_saveexec_b32 s1, vcc_lo
	s_cbranch_execz .LBB224_906
; %bb.905:
	s_wait_dscnt 0x0
	v_dual_max_num_f32 v4, v4, v4 :: v_dual_max_num_f32 v2, v2, v2
	s_delay_alu instid0(VALU_DEP_1)
	v_max_num_f32_e32 v2, v2, v4
	ds_store_b32 v3, v2 offset:448
.LBB224_906:
	s_or_b32 exec_lo, exec_lo, s1
	scratch_load_b32 v2, off, s32 offset:1212 ; 4-byte Folded Reload
	s_wait_storecnt 0x0
	s_wait_loadcnt_dscnt 0x0
	s_barrier_signal -1
	s_barrier_wait -1
	v_cmp_gt_u32_e64 s1, 4, v2
	v_mov_b32_e32 v2, 0xff7fffff
	s_and_saveexec_b32 s2, s1
	s_cbranch_execz .LBB224_908
; %bb.907:
	scratch_load_b32 v2, off, s32 offset:1220 ; 4-byte Folded Reload
	s_wait_loadcnt 0x0
	ds_load_b32 v2, v2 offset:448
.LBB224_908:
	s_or_b32 exec_lo, exec_lo, s2
	s_wait_dscnt 0x0
	ds_bpermute_b32 v4, v82, v2
	v_max_num_f32_e32 v2, v2, v2
	scratch_load_b64 v[6:7], off, s32 offset:200 ; 8-byte Folded Reload
	s_wait_dscnt 0x0
	v_max_num_f32_e32 v4, v4, v4
	s_delay_alu instid0(VALU_DEP_1) | instskip(SKIP_3) | instid1(VALU_DEP_1)
	v_max_num_f32_e32 v2, v2, v4
	ds_bpermute_b32 v4, v53, v2
	s_wait_dscnt 0x0
	v_max_num_f32_e32 v4, v4, v4
	v_dual_max_num_f32 v2, v2, v4 :: v_dual_mov_b32 v4, 0
	ds_bpermute_b32 v5, v4, v2
	scratch_load_b32 v2, off, s32 offset:208 ; 4-byte Folded Reload
	s_wait_loadcnt 0x0
	v_lshlrev_b32_e32 v2, 5, v2
	s_delay_alu instid0(VALU_DEP_1) | instskip(NEXT) | instid1(VALU_DEP_1)
	v_min_i32_e32 v2, v2, v6
	v_cmp_lt_i32_e64 s2, v9, v2
	s_and_saveexec_b32 s8, s2
	s_cbranch_execz .LBB224_912
; %bb.909:
	s_ashr_i32 s11, s10, 31
	v_dual_mov_b32 v4, 0 :: v_dual_mov_b32 v7, v9
	s_lshl_b64 s[16:17], s[10:11], 2
	s_mov_b32 s9, 0
	s_add_nc_u64 s[16:17], s[6:7], s[16:17]
	s_load_b32 s3, s[16:17], 0x0
	s_wait_kmcnt 0x0
	v_lshl_add_u32 v6, v9, 2, s3
.LBB224_910:                            ; =>This Inner Loop Header: Depth=1
	ds_load_b32 v8, v6
	v_add_nc_u32_e32 v7, 0x80, v7
	s_delay_alu instid0(VALU_DEP_1) | instskip(SKIP_3) | instid1(VALU_DEP_1)
	v_cmp_ge_i32_e64 s3, v7, v2
	s_or_b32 s9, s3, s9
	s_wait_dscnt 0x0
	v_sub_f32_e32 v8, v8, v5
	v_mul_f32_e32 v8, 0x3fb8aa3b, v8
	s_delay_alu instid0(VALU_DEP_1)
	v_exp_f32_e32 v8, v8
	ds_store_b32 v6, v8
	v_nop
	v_add_f32_e32 v4, v4, v8
	v_add_nc_u32_e32 v6, 0x200, v6
	s_and_not1_b32 exec_lo, exec_lo, s9
	s_cbranch_execnz .LBB224_910
; %bb.911:
	s_or_b32 exec_lo, exec_lo, s9
.LBB224_912:
	s_delay_alu instid0(SALU_CYCLE_1)
	s_or_b32 exec_lo, exec_lo, s8
	ds_bpermute_b32 v0, v0, v4
	s_wait_dscnt 0x0
	v_add_f32_e32 v0, v4, v0
	ds_bpermute_b32 v1, v1, v0
	s_wait_dscnt 0x0
	v_add_f32_e32 v0, v0, v1
	;; [unrolled: 3-line block ×5, first 2 shown]
	s_and_saveexec_b32 s3, vcc_lo
; %bb.913:
	ds_store_b32 v3, v0 offset:464
; %bb.914:
	s_or_b32 exec_lo, exec_lo, s3
	s_wait_dscnt 0x0
	s_barrier_signal -1
	s_barrier_wait -1
	s_and_saveexec_b32 s3, s1
	s_cbranch_execz .LBB224_916
; %bb.915:
	scratch_load_b32 v0, off, s32 offset:1220 th:TH_LOAD_LU ; 4-byte Folded Reload
	s_wait_loadcnt 0x0
	ds_load_b32 v0, v0 offset:464
.LBB224_916:
	s_or_b32 exec_lo, exec_lo, s3
	s_wait_dscnt 0x0
	ds_bpermute_b32 v1, v82, v0
	s_wait_dscnt 0x0
	v_add_f32_e32 v0, v0, v1
	ds_bpermute_b32 v1, v53, v0
	s_wait_dscnt 0x0
	v_dual_add_f32 v0, v0, v1 :: v_dual_mov_b32 v1, 0
	ds_bpermute_b32 v0, v1, v0
	s_and_saveexec_b32 s1, s2
	s_cbranch_execz .LBB224_929
; %bb.917:
	s_wait_dscnt 0x0
	v_add_f32_e32 v0, 0x358637bd, v0
	s_mov_b32 s3, -1
	s_mov_b32 s2, exec_lo
	s_delay_alu instid0(VALU_DEP_1) | instskip(SKIP_1) | instid1(VALU_DEP_2)
	v_div_scale_f32 v1, null, v0, v0, 1.0
	v_div_scale_f32 v5, vcc_lo, 1.0, v0, 1.0
	v_rcp_f32_e32 v4, v1
	v_nop
	s_delay_alu instid0(TRANS32_DEP_1) | instskip(NEXT) | instid1(VALU_DEP_1)
	v_fma_f32 v3, -v1, v4, 1.0
	v_fmac_f32_e32 v4, v3, v4
	s_delay_alu instid0(VALU_DEP_1) | instskip(NEXT) | instid1(VALU_DEP_1)
	v_mul_f32_e32 v6, v5, v4
	v_fma_f32 v3, -v1, v6, v5
	s_delay_alu instid0(VALU_DEP_1) | instskip(SKIP_1) | instid1(VALU_DEP_2)
	v_fmac_f32_e32 v6, v3, v4
	v_xad_u32 v3, v9, -1, v2
	v_fma_f32 v1, -v1, v6, v5
	s_delay_alu instid0(VALU_DEP_1) | instskip(NEXT) | instid1(VALU_DEP_1)
	v_div_fmas_f32 v1, v1, v4, v6
	v_div_fixup_f32 v0, v1, v0, 1.0
	v_mov_b32_e32 v1, v9
	v_cmpx_lt_u32_e32 0x7f, v3
	s_cbranch_execz .LBB224_926
; %bb.918:
	s_delay_alu instid0(VALU_DEP_3) | instskip(NEXT) | instid1(VALU_DEP_1)
	v_dual_lshrrev_b32 v3, 7, v3 :: v_dual_mov_b32 v1, v0
	v_dual_mov_b32 v7, 0 :: v_dual_add_nc_u32 v4, -1, v3
	s_delay_alu instid0(VALU_DEP_1) | instskip(SKIP_1) | instid1(VALU_DEP_2)
	v_lshrrev_b32_e32 v5, 1, v4
	v_cmp_lt_u32_e32 vcc_lo, 13, v4
	v_add_nc_u32_e32 v4, 1, v5
	s_and_saveexec_b32 s3, vcc_lo
	s_cbranch_execz .LBB224_922
; %bb.919:
	s_ashr_i32 s11, s10, 31
	v_mov_b64_e32 v[26:27], v[10:11]
	s_lshl_b64 s[8:9], s[10:11], 2
	v_and_b32_e32 v5, -8, v4
	s_add_nc_u64 s[8:9], s[6:7], s[8:9]
	s_load_b32 s8, s[8:9], 0x0
	s_wait_xcnt 0x0
	s_mov_b32 s9, 0
	s_wait_kmcnt 0x0
	v_lshl_add_u32 v6, v9, 2, s8
	s_mov_b32 s8, 0
.LBB224_920:                            ; =>This Inner Loop Header: Depth=1
	ds_load_2addr_stride64_b32 v[8:9], v6 offset1:2
	ds_load_2addr_stride64_b32 v[10:11], v6 offset0:4 offset1:6
	ds_load_2addr_stride64_b32 v[12:13], v6 offset0:8 offset1:10
	;; [unrolled: 1-line block ×7, first 2 shown]
	s_add_co_i32 s9, s9, 16
	s_delay_alu instid0(SALU_CYCLE_1) | instskip(NEXT) | instid1(VALU_DEP_1)
	v_dual_add_nc_u32 v5, -8, v5 :: v_dual_mov_b32 v7, s9
	v_cmp_eq_u32_e32 vcc_lo, 0, v5
	s_or_b32 s8, vcc_lo, s8
	s_wait_dscnt 0x7
	v_pk_mul_f32 v[8:9], v[0:1], v[8:9]
	s_wait_dscnt 0x6
	v_pk_mul_f32 v[10:11], v[0:1], v[10:11]
	;; [unrolled: 2-line block ×8, first 2 shown]
	ds_store_2addr_stride64_b32 v6, v8, v9 offset1:2
	ds_store_2addr_stride64_b32 v6, v10, v11 offset0:4 offset1:6
	ds_store_2addr_stride64_b32 v6, v12, v13 offset0:8 offset1:10
	;; [unrolled: 1-line block ×7, first 2 shown]
	v_add_nc_u32_e32 v6, 0x2000, v6
	s_and_not1_b32 exec_lo, exec_lo, s8
	s_cbranch_execnz .LBB224_920
; %bb.921:
	s_or_b32 exec_lo, exec_lo, s8
	scratch_load_b32 v9, off, s32 offset:1208 ; 4-byte Folded Reload
	v_mov_b64_e32 v[10:11], v[26:27]
.LBB224_922:
	s_wait_xcnt 0x0
	s_or_b32 exec_lo, exec_lo, s3
	v_and_b32_e32 v4, 7, v4
	s_mov_b32 s8, 0
	s_mov_b32 s3, exec_lo
	s_delay_alu instid0(VALU_DEP_1)
	v_cmpx_ne_u32_e32 0, v4
	s_cbranch_execz .LBB224_925
; %bb.923:
	s_ashr_i32 s11, s10, 31
	s_wait_loadcnt 0x0
	v_dual_lshlrev_b32 v5, 9, v7 :: v_dual_lshlrev_b32 v6, 2, v9
	s_lshl_b64 s[16:17], s[10:11], 2
	s_delay_alu instid0(SALU_CYCLE_1)
	s_add_nc_u64 s[16:17], s[6:7], s[16:17]
	s_load_b32 s9, s[16:17], 0x0
	s_wait_kmcnt 0x0
	v_add3_u32 v5, v5, v6, s9
.LBB224_924:                            ; =>This Inner Loop Header: Depth=1
	ds_load_2addr_stride64_b32 v[6:7], v5 offset1:2
	v_add_nc_u32_e32 v4, -1, v4
	s_delay_alu instid0(VALU_DEP_1)
	v_cmp_eq_u32_e32 vcc_lo, 0, v4
	s_or_b32 s8, vcc_lo, s8
	s_wait_dscnt 0x0
	v_pk_mul_f32 v[6:7], v[0:1], v[6:7]
	ds_store_2addr_stride64_b32 v5, v6, v7 offset1:2
	v_add_nc_u32_e32 v5, 0x400, v5
	s_and_not1_b32 exec_lo, exec_lo, s8
	s_cbranch_execnz .LBB224_924
.LBB224_925:
	s_or_b32 exec_lo, exec_lo, s3
	v_add_nc_u32_e32 v1, 1, v3
	s_delay_alu instid0(VALU_DEP_1) | instskip(NEXT) | instid1(VALU_DEP_1)
	v_and_b32_e32 v3, 0x3fffffe, v1
	v_cmp_ne_u32_e32 vcc_lo, v1, v3
	s_wait_loadcnt 0x0
	v_lshl_add_u32 v1, v3, 7, v9
	s_or_not1_b32 s3, vcc_lo, exec_lo
.LBB224_926:
	s_or_b32 exec_lo, exec_lo, s2
	s_delay_alu instid0(SALU_CYCLE_1)
	s_and_b32 exec_lo, exec_lo, s3
	s_cbranch_execz .LBB224_929
; %bb.927:
	s_ashr_i32 s11, s10, 31
	s_delay_alu instid0(SALU_CYCLE_1) | instskip(NEXT) | instid1(SALU_CYCLE_1)
	s_lshl_b64 s[2:3], s[10:11], 2
	s_add_nc_u64 s[2:3], s[6:7], s[2:3]
	s_load_b32 s2, s[2:3], 0x0
	s_wait_kmcnt 0x0
	v_lshl_add_u32 v3, v1, 2, s2
	s_mov_b32 s2, 0
.LBB224_928:                            ; =>This Inner Loop Header: Depth=1
	ds_load_b32 v4, v3
	s_wait_dscnt 0x0
	v_dual_mul_f32 v4, v0, v4 :: v_dual_add_nc_u32 v1, 0x80, v1
	s_delay_alu instid0(VALU_DEP_1) | instskip(SKIP_3) | instid1(SALU_CYCLE_1)
	v_cmp_ge_i32_e32 vcc_lo, v1, v2
	ds_store_b32 v3, v4
	v_add_nc_u32_e32 v3, 0x200, v3
	s_or_b32 s2, vcc_lo, s2
	s_and_not1_b32 exec_lo, exec_lo, s2
	s_cbranch_execnz .LBB224_928
.LBB224_929:
	s_or_b32 exec_lo, exec_lo, s1
	s_wait_dscnt 0x0
	s_barrier_signal -1
	s_barrier_wait -1
	s_and_saveexec_b32 s1, s0
	s_delay_alu instid0(SALU_CYCLE_1)
	s_xor_b32 s0, exec_lo, s1
	s_cbranch_execz .LBB224_931
; %bb.930:
                                        ; implicit-def: $vgpr0
	s_ashr_i32 s11, s10, 31
	s_clause 0x1
	scratch_store_b64 off, v[0:1], s32 offset:200
	; meta instruction
	; meta instruction
	;; [unrolled: 1-line block ×3, first 2 shown]
	scratch_store_b64 off, v[0:1], s32 offset:668
                                        ; implicit-def: $vgpr0_vgpr1
                                        ; kill: killed $vgpr0_vgpr1
                                        ; implicit-def: $vgpr10
                                        ; implicit-def: $vgpr0_vgpr1
                                        ; kill: killed $vgpr0_vgpr1
                                        ; implicit-def: $vgpr0_vgpr1
                                        ; kill: killed $vgpr0_vgpr1
	;; [unrolled: 2-line block ×3, first 2 shown]
                                        ; implicit-def: $vgpr0
                                        ; kill: killed $vgpr0
.LBB224_931:
	s_wait_xcnt 0x0
	s_or_saveexec_b32 s1, s0
	scratch_load_b32 v2, off, s32 offset:1208 ; 4-byte Folded Reload
	v_mov_b64_e32 v[0:1], s[10:11]
	v_dual_mov_b32 v9, 0 :: v_dual_mov_b32 v8, 0
	v_dual_mov_b32 v13, 0 :: v_dual_mov_b32 v12, 0
	;; [unrolled: 1-line block ×14, first 2 shown]
	s_wait_loadcnt 0x0
	v_and_b32_e32 v112, 7, v2
	s_wait_xcnt 0x0
	s_xor_b32 exec_lo, exec_lo, s1
	s_cbranch_execz .LBB224_1887
; %bb.932:
	s_clause 0x3
	scratch_store_b32 off, v69, s32 offset:372
	scratch_store_b32 off, v82, s32 offset:364
	;; [unrolled: 1-line block ×3, first 2 shown]
	scratch_load_b64 v[0:1], off, s32 offset:1252 th:TH_LOAD_LU
	s_ashr_i32 s11, s10, 31
	v_dual_mov_b32 v9, 0 :: v_dual_mov_b32 v8, 0
	s_lshl_b64 s[2:3], s[10:11], 2
	v_dual_mov_b32 v13, 0 :: v_dual_mov_b32 v12, 0
	s_add_nc_u64 s[2:3], s[6:7], s[2:3]
	v_dual_mov_b32 v15, 0 :: v_dual_mov_b32 v14, 0
	v_dual_mov_b32 v21, 0 :: v_dual_mov_b32 v20, 0
	;; [unrolled: 1-line block ×11, first 2 shown]
	s_wait_loadcnt 0x0
	flat_load_b32 v22, v[0:1]
	s_clause 0x2
	scratch_load_b32 v0, off, s32 offset:1208
	scratch_load_b64 v[4:5], off, s32 offset:200
	scratch_load_b32 v113, off, s32 offset:1216
	v_mov_b32_e32 v103, 0
	s_load_b32 s0, s[2:3], 0x0
	v_dual_lshlrev_b32 v3, 4, v112 :: v_dual_mov_b32 v51, 0
	s_wait_xcnt 0x0
	s_mov_b32 s2, 0
	s_wait_loadcnt_dscnt 0x200
	v_dual_mov_b32 v23, v22 :: v_dual_lshlrev_b32 v2, 2, v0
	scratch_load_b64 v[0:1], off, s32 offset:1260 th:TH_LOAD_LU ; 8-byte Folded Reload
	s_wait_loadcnt 0x2
	v_mov_b32_e32 v117, v4
	scratch_load_b64 v[4:5], off, s32 offset:1224 th:TH_LOAD_LU ; 8-byte Folded Reload
	s_wait_loadcnt 0x2
	v_lshl_or_b32 v3, v113, 7, v3
	v_and_b32_e32 v102, 0x7c, v2
	v_dual_mov_b32 v50, 0 :: v_dual_bitop2_b32 v2, 28, v2 bitop3:0x40
	s_wait_kmcnt 0x0
	s_delay_alu instid0(VALU_DEP_3) | instskip(NEXT) | instid1(VALU_DEP_2)
	v_add_nc_u32_e32 v116, s0, v3
	v_lshl_or_b32 v17, v113, 5, v2
	s_wait_loadcnt 0x1
	v_add_nc_u64_e32 v[0:1], v[0:1], v[10:11]
	s_delay_alu instid0(VALU_DEP_1)
	v_add_nc_u64_e32 v[0:1], v[0:1], v[102:103]
	s_clause 0x2
	scratch_store_b32 off, v112, s32 offset:380
	scratch_store_b64 off, v[0:1], s32 offset:348
	scratch_load_b32 v0, off, s32 offset:1240 th:TH_LOAD_LU
	s_wait_loadcnt 0x0
	v_and_b32_e32 v102, 0x7c, v0
	scratch_load_b64 v[0:1], off, s32 offset:1232 th:TH_LOAD_LU ; 8-byte Folded Reload
	s_wait_loadcnt 0x0
	v_lshl_add_u64 v[0:1], v[0:1], 2, v[102:103]
	s_delay_alu instid0(VALU_DEP_1)
	v_add_nc_u64_e32 v[0:1], v[4:5], v[0:1]
	s_branch .LBB224_934
.LBB224_933:                            ;   in Loop: Header=BB224_934 Depth=1
	s_wait_xcnt 0x0
	s_or_b32 exec_lo, exec_lo, s3
	v_mul_f32_e32 v7, v3, v85
	v_mul_f32_e32 v6, v3, v97
	v_add_nc_u32_e32 v116, 0x200, v116
	v_dual_mul_f32 v10, v3, v19 :: v_dual_add_nc_u32 v113, 4, v113
	s_delay_alu instid0(VALU_DEP_4) | instskip(NEXT) | instid1(VALU_DEP_4)
	v_fmac_f32_e32 v7, v2, v84
	v_dual_fmac_f32 v6, v2, v96 :: v_dual_mul_f32 v11, v3, v71
	s_delay_alu instid0(VALU_DEP_3) | instskip(NEXT) | instid1(VALU_DEP_3)
	v_dual_fmac_f32 v10, v2, v18 :: v_dual_mul_f32 v18, v3, v65
	v_fmac_f32_e32 v7, v4, v82
	s_delay_alu instid0(VALU_DEP_3) | instskip(NEXT) | instid1(VALU_DEP_3)
	v_fmac_f32_e32 v6, v4, v86
	v_dual_fmac_f32 v11, v2, v70 :: v_dual_fmac_f32 v10, v4, v80
	s_delay_alu instid0(VALU_DEP_4) | instskip(SKIP_4) | instid1(VALU_DEP_2)
	v_fmac_f32_e32 v18, v2, v64
	scratch_load_b64 v[64:65], off, s32 offset:324 th:TH_LOAD_LU ; 8-byte Folded Reload
	v_dual_fmac_f32 v6, v5, v87 :: v_dual_fmac_f32 v11, v4, v66
	v_dual_mul_f32 v1, v3, v1 :: v_dual_fmac_f32 v18, v4, v54
	v_dual_fmac_f32 v7, v5, v83 :: v_dual_fmac_f32 v10, v5, v81
	v_dual_fmac_f32 v11, v5, v67 :: v_dual_fmac_f32 v1, v2, v0
	s_delay_alu instid0(VALU_DEP_3) | instskip(SKIP_1) | instid1(VALU_DEP_3)
	v_fmac_f32_e32 v18, v5, v55
	v_dual_mul_f32 v0, v3, v127 :: v_dual_add_f32 v8, v8, v6
	v_dual_add_f32 v13, v13, v7 :: v_dual_fmac_f32 v1, v4, v52
	v_dual_add_f32 v12, v12, v10 :: v_dual_mul_f32 v6, v3, v111
	s_delay_alu instid0(VALU_DEP_3) | instskip(NEXT) | instid1(VALU_DEP_3)
	v_dual_fmac_f32 v0, v2, v126 :: v_dual_mul_f32 v19, v3, v123
	v_fmac_f32_e32 v1, v5, v53
	s_clause 0x1
	scratch_load_b64 v[54:55], off, s32 offset:308 th:TH_LOAD_LU
	scratch_load_b64 v[52:53], off, s32 offset:292 th:TH_LOAD_LU
	v_dual_fmac_f32 v0, v4, v124 :: v_dual_fmac_f32 v19, v2, v122
	v_dual_add_f32 v15, v15, v11 :: v_dual_add_f32 v14, v14, v18
	v_add_nc_u32_e32 v17, 0x80, v17
	s_delay_alu instid0(VALU_DEP_3) | instskip(NEXT) | instid1(VALU_DEP_1)
	v_dual_fmac_f32 v0, v5, v125 :: v_dual_fmac_f32 v19, v4, v120
	v_dual_add_f32 v21, v21, v1 :: v_dual_add_f32 v20, v20, v0
	s_delay_alu instid0(VALU_DEP_2) | instskip(NEXT) | instid1(VALU_DEP_1)
	v_dual_fmac_f32 v19, v5, v121 :: v_dual_fmac_f32 v6, v2, v110
	v_add_f32_e32 v25, v25, v19
	s_delay_alu instid0(VALU_DEP_2) | instskip(SKIP_4) | instid1(VALU_DEP_2)
	v_dual_mul_f32 v0, v3, v107 :: v_dual_fmac_f32 v6, v4, v108
	v_mul_f32_e32 v1, v3, v95
	scratch_load_b64 v[18:19], off, s32 offset:276 th:TH_LOAD_LU ; 8-byte Folded Reload
	v_dual_fmac_f32 v0, v2, v106 :: v_dual_mul_f32 v7, v3, v91
	v_dual_fmac_f32 v1, v2, v94 :: v_dual_mul_f32 v10, v3, v79
	v_dual_fmac_f32 v6, v5, v109 :: v_dual_fmac_f32 v0, v4, v104
	s_delay_alu instid0(VALU_DEP_2) | instskip(NEXT) | instid1(VALU_DEP_3)
	v_dual_fmac_f32 v7, v2, v90 :: v_dual_fmac_f32 v1, v4, v92
	v_fmac_f32_e32 v10, v2, v78
	s_delay_alu instid0(VALU_DEP_3) | instskip(NEXT) | instid1(VALU_DEP_3)
	v_dual_add_f32 v24, v24, v6 :: v_dual_fmac_f32 v0, v5, v105
	v_dual_fmac_f32 v7, v4, v88 :: v_dual_fmac_f32 v1, v5, v93
	s_delay_alu instid0(VALU_DEP_3) | instskip(NEXT) | instid1(VALU_DEP_2)
	v_fmac_f32_e32 v10, v4, v76
	v_dual_add_f32 v27, v27, v0 :: v_dual_fmac_f32 v7, v5, v89
	s_delay_alu instid0(VALU_DEP_2) | instskip(NEXT) | instid1(VALU_DEP_4)
	v_dual_mul_f32 v6, v3, v75 :: v_dual_fmac_f32 v10, v5, v77
	v_dual_add_f32 v26, v26, v1 :: v_dual_mul_f32 v0, v3, v63
	s_delay_alu instid0(VALU_DEP_2) | instskip(NEXT) | instid1(VALU_DEP_3)
	v_dual_add_f32 v29, v29, v7 :: v_dual_fmac_f32 v6, v2, v74
	v_dual_add_f32 v28, v28, v10 :: v_dual_mul_f32 v1, v3, v59
	s_delay_alu instid0(VALU_DEP_3) | instskip(NEXT) | instid1(VALU_DEP_3)
	v_dual_mul_f32 v7, v3, v47 :: v_dual_fmac_f32 v0, v2, v62
	v_dual_fmac_f32 v6, v4, v72 :: v_dual_mul_f32 v10, v3, v43
	s_delay_alu instid0(VALU_DEP_3) | instskip(NEXT) | instid1(VALU_DEP_3)
	v_fmac_f32_e32 v1, v2, v58
	v_dual_fmac_f32 v7, v2, v46 :: v_dual_fmac_f32 v0, v4, v60
	s_delay_alu instid0(VALU_DEP_3) | instskip(NEXT) | instid1(VALU_DEP_3)
	v_fmac_f32_e32 v6, v5, v73
	v_dual_fmac_f32 v10, v2, v42 :: v_dual_fmac_f32 v1, v4, v56
	s_delay_alu instid0(VALU_DEP_3) | instskip(NEXT) | instid1(VALU_DEP_2)
	v_dual_fmac_f32 v7, v4, v44 :: v_dual_fmac_f32 v0, v5, v61
	v_dual_add_f32 v31, v31, v6 :: v_dual_fmac_f32 v10, v4, v40
	s_delay_alu instid0(VALU_DEP_3) | instskip(NEXT) | instid1(VALU_DEP_3)
	v_fmac_f32_e32 v1, v5, v57
	v_dual_fmac_f32 v7, v5, v45 :: v_dual_mul_f32 v6, v3, v119
	s_delay_alu instid0(VALU_DEP_3) | instskip(NEXT) | instid1(VALU_DEP_2)
	v_dual_add_f32 v30, v30, v0 :: v_dual_fmac_f32 v10, v5, v41
	v_dual_add_f32 v33, v33, v1 :: v_dual_add_f32 v32, v32, v7
	s_wait_loadcnt 0x3
	s_delay_alu instid0(VALU_DEP_3) | instskip(NEXT) | instid1(VALU_DEP_3)
	v_dual_fmac_f32 v6, v2, v118 :: v_dual_mul_f32 v0, v3, v65
	v_add_f32_e32 v35, v35, v10
	scratch_load_b64 v[10:11], off, s32 offset:332 th:TH_LOAD_LU ; 8-byte Folded Reload
	v_fmac_f32_e32 v0, v2, v64
	scratch_load_b64 v[64:65], off, s32 offset:316 th:TH_LOAD_LU ; 8-byte Folded Reload
	s_wait_loadcnt 0x3
	v_dual_mul_f32 v1, v3, v55 :: v_dual_mul_f32 v7, v3, v53
	s_delay_alu instid0(VALU_DEP_1)
	v_dual_fmac_f32 v1, v2, v54 :: v_dual_fmac_f32 v7, v2, v52
	s_clause 0x1
	scratch_load_b64 v[52:53], off, s32 offset:268 th:TH_LOAD_LU
	scratch_load_b64 v[54:55], off, s32 offset:300 th:TH_LOAD_LU
	s_wait_loadcnt 0x3
	v_dual_fmac_f32 v6, v4, v10 :: v_dual_mul_f32 v10, v3, v19
	s_delay_alu instid0(VALU_DEP_1) | instskip(NEXT) | instid1(VALU_DEP_2)
	v_fmac_f32_e32 v6, v5, v11
	v_fmac_f32_e32 v10, v2, v18
	scratch_load_b64 v[18:19], off, s32 offset:284 th:TH_LOAD_LU ; 8-byte Folded Reload
	s_wait_loadcnt 0x1
	v_dual_fmac_f32 v0, v4, v64 :: v_dual_fmac_f32 v1, v4, v54
	s_delay_alu instid0(VALU_DEP_1) | instskip(SKIP_3) | instid1(VALU_DEP_1)
	v_dual_add_f32 v34, v34, v6 :: v_dual_fmac_f32 v0, v5, v65
	scratch_load_b64 v[64:65], off, s32 offset:252 th:TH_LOAD_LU ; 8-byte Folded Reload
	s_wait_loadcnt 0x1
	v_fmac_f32_e32 v7, v4, v18
	v_fmac_f32_e32 v7, v5, v19
	scratch_load_b64 v[18:19], off, s32 offset:260 th:TH_LOAD_LU ; 8-byte Folded Reload
	v_dual_fmac_f32 v10, v4, v52 :: v_dual_fmac_f32 v1, v5, v55
	scratch_load_b64 v[54:55], off, s32 offset:244 th:TH_LOAD_LU ; 8-byte Folded Reload
	v_fmac_f32_e32 v10, v5, v53
	scratch_load_b64 v[52:53], off, s32 offset:228 th:TH_LOAD_LU ; 8-byte Folded Reload
	v_dual_add_f32 v37, v37, v0 :: v_dual_add_f32 v36, v36, v1
	v_pk_mul_f32 v[0:1], v[2:3], v[98:99]
	s_wait_loadcnt 0x2
	v_dual_add_f32 v38, v38, v10 :: v_dual_mul_f32 v6, v3, v19
	v_add_f32_e32 v39, v39, v7
	s_wait_loadcnt 0x1
	s_delay_alu instid0(VALU_DEP_2)
	v_dual_mul_f32 v7, v3, v55 :: v_dual_fmac_f32 v6, v2, v18
	scratch_load_b64 v[18:19], off, s32 offset:212 th:TH_LOAD_LU ; 8-byte Folded Reload
	s_wait_loadcnt 0x1
	v_dual_mul_f32 v10, v3, v53 :: v_dual_fmac_f32 v7, v2, v54
	scratch_load_b64 v[54:55], off, s32 offset:236 th:TH_LOAD_LU ; 8-byte Folded Reload
	s_wait_loadcnt 0x1
	v_dual_fmac_f32 v6, v4, v64 :: v_dual_mul_f32 v11, v3, v19
	v_fmac_f32_e32 v10, v2, v52
	scratch_load_b64 v[52:53], off, s32 offset:220 th:TH_LOAD_LU ; 8-byte Folded Reload
	s_wait_loadcnt 0x1
	v_dual_fmac_f32 v6, v5, v65 :: v_dual_fmac_f32 v7, v4, v54
	v_fmac_f32_e32 v11, v2, v18
	v_pk_mul_f32 v[2:3], v[4:5], v[68:69]
	s_delay_alu instid0(VALU_DEP_3) | instskip(NEXT) | instid1(VALU_DEP_4)
	v_dual_add_f32 v0, v0, v1 :: v_dual_add_f32 v49, v49, v6
	v_fmac_f32_e32 v7, v5, v55
	scratch_load_b64 v[18:19], off, s32 offset:192 th:TH_LOAD_LU ; 8-byte Folded Reload
	v_add_f32_e32 v0, v2, v0
	s_delay_alu instid0(VALU_DEP_1) | instskip(NEXT) | instid1(VALU_DEP_1)
	v_add_f32_e32 v0, v3, v0
	v_add_f32_e32 v9, v9, v0
	scratch_load_b32 v0, off, s32 offset:208 ; 4-byte Folded Reload
	s_wait_loadcnt 0x1
	v_dual_fmac_f32 v10, v4, v52 :: v_dual_fmac_f32 v11, v4, v18
	s_delay_alu instid0(VALU_DEP_1) | instskip(NEXT) | instid1(VALU_DEP_1)
	v_dual_fmac_f32 v10, v5, v53 :: v_dual_fmac_f32 v11, v5, v19
	v_dual_add_f32 v48, v48, v7 :: v_dual_add_f32 v51, v51, v10
	s_delay_alu instid0(VALU_DEP_2)
	v_add_f32_e32 v50, v50, v11
	s_wait_loadcnt 0x0
	v_cmp_ge_i32_e32 vcc_lo, v113, v0
	scratch_load_b64 v[0:1], off, s32 offset:340 th:TH_LOAD_LU ; 8-byte Folded Reload
	s_or_b32 s2, vcc_lo, s2
	s_wait_loadcnt 0x0
	v_add_nc_u64_e32 v[0:1], 16, v[0:1]
	s_wait_xcnt 0x0
	s_and_not1_b32 exec_lo, exec_lo, s2
	s_cbranch_execz .LBB224_1886
.LBB224_934:                            ; =>This Inner Loop Header: Depth=1
	scratch_store_b64 off, v[0:1], s32 offset:340 ; 8-byte Folded Spill
	flat_load_b32 v0, v[0:1]
	s_clause 0x1
	scratch_load_b64 v[2:3], off, s32 offset:668
	scratch_load_b64 v[4:5], off, s32 offset:348
	v_mov_b64_e32 v[18:19], 0
	s_mov_b32 s0, exec_lo
	s_wait_loadcnt_dscnt 0x0
	v_mad_nc_i64_i32 v[68:69], v0, v2, v[4:5]
	ds_load_b128 v[2:5], v116
	s_wait_xcnt 0x2
	v_mov_b64_e32 v[0:1], 0
	flat_load_b32 v6, v[68:69]
	s_wait_loadcnt_dscnt 0x0
	v_and_b32_e32 v7, 0xff, v6
	s_wait_xcnt 0x0
	s_delay_alu instid0(VALU_DEP_1)
	v_cmpx_ne_u16_e32 0, v7
	s_cbranch_execz .LBB224_942
; %bb.935:                              ;   in Loop: Header=BB224_934 Depth=1
	v_mov_b64_e32 v[18:19], 0x80000000
	s_mov_b32 s3, exec_lo
	v_cmpx_ne_u16_e32 0x80, v7
	s_cbranch_execz .LBB224_941
; %bb.936:                              ;   in Loop: Header=BB224_934 Depth=1
	v_mov_b64_e32 v[18:19], 0x7f800001
	v_and_b32_e32 v10, 0x7f, v6
	s_mov_b32 s8, exec_lo
	s_delay_alu instid0(VALU_DEP_1)
	v_cmpx_ne_u32_e32 0x7f, v10
	s_cbranch_execz .LBB224_940
; %bb.937:                              ;   in Loop: Header=BB224_934 Depth=1
	v_and_b32_e32 v102, 7, v6
	v_lshrrev_b32_e32 v7, 3, v10
	s_mov_b32 s9, exec_lo
	v_cmpx_gt_u32_e32 8, v10
; %bb.938:                              ;   in Loop: Header=BB224_934 Depth=1
	s_delay_alu instid0(VALU_DEP_3) | instskip(NEXT) | instid1(VALU_DEP_1)
	v_clz_i32_u32_e32 v7, v102
	v_min_u32_e32 v7, 32, v7
	s_delay_alu instid0(VALU_DEP_1) | instskip(NEXT) | instid1(VALU_DEP_1)
	v_subrev_nc_u32_e32 v10, 28, v7
	v_lshlrev_b64_e32 v[10:11], v10, v[102:103]
	s_delay_alu instid0(VALU_DEP_1)
	v_dual_sub_nc_u32 v7, 29, v7 :: v_dual_bitop2_b32 v102, 7, v10 bitop3:0x40
; %bb.939:                              ;   in Loop: Header=BB224_934 Depth=1
	s_or_b32 exec_lo, exec_lo, s9
	v_lshlrev_b32_e32 v10, 24, v6
	s_delay_alu instid0(VALU_DEP_2) | instskip(NEXT) | instid1(VALU_DEP_3)
	v_lshlrev_b32_e32 v11, 20, v102
	v_lshl_add_u32 v7, v7, 23, 0x3c000000
	s_delay_alu instid0(VALU_DEP_3) | instskip(NEXT) | instid1(VALU_DEP_1)
	v_and_b32_e32 v10, 0x80000000, v10
	v_or3_b32 v102, v11, v10, v7
	s_delay_alu instid0(VALU_DEP_1)
	v_mov_b64_e32 v[18:19], v[102:103]
.LBB224_940:                            ;   in Loop: Header=BB224_934 Depth=1
	s_or_b32 exec_lo, exec_lo, s8
.LBB224_941:                            ;   in Loop: Header=BB224_934 Depth=1
	s_delay_alu instid0(SALU_CYCLE_1)
	s_or_b32 exec_lo, exec_lo, s3
.LBB224_942:                            ;   in Loop: Header=BB224_934 Depth=1
	s_delay_alu instid0(SALU_CYCLE_1) | instskip(SKIP_2) | instid1(VALU_DEP_1)
	s_or_b32 exec_lo, exec_lo, s0
	v_lshrrev_b16 v7, 8, v6
	s_mov_b32 s0, exec_lo
	v_cmpx_ne_u16_e32 0, v7
	s_cbranch_execz .LBB224_950
; %bb.943:                              ;   in Loop: Header=BB224_934 Depth=1
	v_mov_b64_e32 v[0:1], 0x8000000000000000
	s_mov_b32 s3, exec_lo
	v_cmpx_ne_u16_e32 0x80, v7
	s_cbranch_execz .LBB224_949
; %bb.944:                              ;   in Loop: Header=BB224_934 Depth=1
	v_and_b32_e32 v10, 0xffff, v7
	v_mov_b64_e32 v[0:1], 0x7f80000100000000
	s_mov_b32 s8, exec_lo
	s_delay_alu instid0(VALU_DEP_2) | instskip(NEXT) | instid1(VALU_DEP_1)
	v_and_b32_e32 v7, 0x7f, v10
	v_cmpx_ne_u32_e32 0x7f, v7
	s_cbranch_execz .LBB224_948
; %bb.945:                              ;   in Loop: Header=BB224_934 Depth=1
	v_dual_lshrrev_b32 v0, 3, v7 :: v_dual_bitop2_b32 v102, 7, v10 bitop3:0x40
	s_mov_b32 s9, exec_lo
	v_cmpx_gt_u32_e32 8, v7
; %bb.946:                              ;   in Loop: Header=BB224_934 Depth=1
	s_delay_alu instid0(VALU_DEP_2) | instskip(NEXT) | instid1(VALU_DEP_1)
	v_clz_i32_u32_e32 v0, v102
	v_min_u32_e32 v0, 32, v0
	s_delay_alu instid0(VALU_DEP_1) | instskip(NEXT) | instid1(VALU_DEP_1)
	v_subrev_nc_u32_e32 v1, 28, v0
	v_lshlrev_b64_e32 v[10:11], v1, v[102:103]
	s_delay_alu instid0(VALU_DEP_1)
	v_dual_sub_nc_u32 v0, 29, v0 :: v_dual_bitop2_b32 v102, 7, v10 bitop3:0x40
; %bb.947:                              ;   in Loop: Header=BB224_934 Depth=1
	s_or_b32 exec_lo, exec_lo, s9
	v_lshlrev_b32_e32 v1, 16, v6
	s_delay_alu instid0(VALU_DEP_2) | instskip(NEXT) | instid1(VALU_DEP_3)
	v_lshlrev_b32_e32 v7, 20, v102
	v_lshl_add_u32 v0, v0, 23, 0x3c000000
	s_delay_alu instid0(VALU_DEP_3) | instskip(NEXT) | instid1(VALU_DEP_1)
	v_and_b32_e32 v1, 0x80000000, v1
	v_or3_b32 v1, v7, v1, v0
	v_mov_b32_e32 v0, v103
.LBB224_948:                            ;   in Loop: Header=BB224_934 Depth=1
	s_or_b32 exec_lo, exec_lo, s8
.LBB224_949:                            ;   in Loop: Header=BB224_934 Depth=1
	s_delay_alu instid0(SALU_CYCLE_1)
	s_or_b32 exec_lo, exec_lo, s3
.LBB224_950:                            ;   in Loop: Header=BB224_934 Depth=1
	s_delay_alu instid0(SALU_CYCLE_1) | instskip(SKIP_4) | instid1(VALU_DEP_3)
	s_or_b32 exec_lo, exec_lo, s0
	v_lshrrev_b32_e32 v7, 16, v6
	v_mov_b64_e32 v[52:53], 0
	v_mov_b64_e32 v[54:55], 0
	s_mov_b32 s0, exec_lo
	v_and_b32_e32 v10, 0xff, v7
	s_delay_alu instid0(VALU_DEP_1)
	v_cmpx_ne_u16_e32 0, v10
	s_cbranch_execz .LBB224_958
; %bb.951:                              ;   in Loop: Header=BB224_934 Depth=1
	v_mov_b64_e32 v[54:55], 0x80000000
	s_mov_b32 s3, exec_lo
	v_cmpx_ne_u16_e32 0x80, v10
	s_cbranch_execz .LBB224_957
; %bb.952:                              ;   in Loop: Header=BB224_934 Depth=1
	v_mov_b64_e32 v[54:55], 0x7f800001
	v_bfe_u32 v11, v6, 16, 7
	s_mov_b32 s8, exec_lo
	s_delay_alu instid0(VALU_DEP_1)
	v_cmpx_ne_u32_e32 0x7f, v11
	s_cbranch_execz .LBB224_956
; %bb.953:                              ;   in Loop: Header=BB224_934 Depth=1
	v_and_b32_e32 v102, 7, v7
	v_lshrrev_b32_e32 v10, 3, v11
	s_mov_b32 s9, exec_lo
	v_cmpx_gt_u32_e32 8, v11
; %bb.954:                              ;   in Loop: Header=BB224_934 Depth=1
	s_delay_alu instid0(VALU_DEP_3) | instskip(NEXT) | instid1(VALU_DEP_1)
	v_clz_i32_u32_e32 v10, v102
	v_min_u32_e32 v10, 32, v10
	s_delay_alu instid0(VALU_DEP_1) | instskip(SKIP_1) | instid1(VALU_DEP_2)
	v_subrev_nc_u32_e32 v11, 28, v10
	v_sub_nc_u32_e32 v10, 29, v10
	v_lshlrev_b64_e32 v[54:55], v11, v[102:103]
	s_delay_alu instid0(VALU_DEP_1)
	v_and_b32_e32 v102, 7, v54
; %bb.955:                              ;   in Loop: Header=BB224_934 Depth=1
	s_or_b32 exec_lo, exec_lo, s9
	s_delay_alu instid0(VALU_DEP_1) | instskip(SKIP_1) | instid1(VALU_DEP_2)
	v_dual_lshlrev_b32 v7, 24, v7 :: v_dual_lshlrev_b32 v11, 20, v102
	v_lshl_add_u32 v10, v10, 23, 0x3c000000
	v_and_b32_e32 v7, 0x80000000, v7
	s_delay_alu instid0(VALU_DEP_1) | instskip(NEXT) | instid1(VALU_DEP_1)
	v_or3_b32 v102, v11, v7, v10
	v_mov_b64_e32 v[54:55], v[102:103]
.LBB224_956:                            ;   in Loop: Header=BB224_934 Depth=1
	s_or_b32 exec_lo, exec_lo, s8
.LBB224_957:                            ;   in Loop: Header=BB224_934 Depth=1
	s_delay_alu instid0(SALU_CYCLE_1)
	s_or_b32 exec_lo, exec_lo, s3
.LBB224_958:                            ;   in Loop: Header=BB224_934 Depth=1
	s_delay_alu instid0(SALU_CYCLE_1) | instskip(NEXT) | instid1(SALU_CYCLE_1)
	s_or_b32 exec_lo, exec_lo, s0
	s_mov_b32 s0, exec_lo
	v_cmpx_lt_u32_e32 0xffffff, v6
	s_cbranch_execz .LBB224_966
; %bb.959:                              ;   in Loop: Header=BB224_934 Depth=1
	v_mov_b64_e32 v[52:53], 0x8000000000000000
	v_lshrrev_b32_e32 v7, 24, v6
	s_mov_b32 s3, exec_lo
	s_delay_alu instid0(VALU_DEP_1)
	v_cmpx_ne_u32_e32 0x80, v7
	s_cbranch_execz .LBB224_965
; %bb.960:                              ;   in Loop: Header=BB224_934 Depth=1
	v_mov_b64_e32 v[52:53], 0x7f80000100000000
	v_bfe_u32 v10, v6, 24, 7
	s_mov_b32 s8, exec_lo
	s_delay_alu instid0(VALU_DEP_1)
	v_cmpx_ne_u32_e32 0x7f, v10
	s_cbranch_execz .LBB224_964
; %bb.961:                              ;   in Loop: Header=BB224_934 Depth=1
	v_dual_lshrrev_b32 v6, 3, v10 :: v_dual_bitop2_b32 v102, 7, v7 bitop3:0x40
	s_mov_b32 s9, exec_lo
	v_cmpx_gt_u32_e32 8, v10
; %bb.962:                              ;   in Loop: Header=BB224_934 Depth=1
	s_delay_alu instid0(VALU_DEP_2) | instskip(NEXT) | instid1(VALU_DEP_1)
	v_clz_i32_u32_e32 v6, v102
	v_min_u32_e32 v6, 32, v6
	s_delay_alu instid0(VALU_DEP_1) | instskip(SKIP_1) | instid1(VALU_DEP_2)
	v_subrev_nc_u32_e32 v10, 28, v6
	v_sub_nc_u32_e32 v6, 29, v6
	v_lshlrev_b64_e32 v[10:11], v10, v[102:103]
	s_delay_alu instid0(VALU_DEP_1)
	v_and_b32_e32 v102, 7, v10
; %bb.963:                              ;   in Loop: Header=BB224_934 Depth=1
	s_or_b32 exec_lo, exec_lo, s9
	s_delay_alu instid0(VALU_DEP_1) | instskip(SKIP_2) | instid1(VALU_DEP_3)
	v_dual_lshlrev_b32 v7, 24, v7 :: v_dual_lshlrev_b32 v10, 20, v102
	v_lshl_add_u32 v6, v6, 23, 0x3c000000
	v_mov_b32_e32 v52, v103
	v_and_b32_e32 v7, 0x80000000, v7
	s_delay_alu instid0(VALU_DEP_1)
	v_or3_b32 v53, v10, v7, v6
.LBB224_964:                            ;   in Loop: Header=BB224_934 Depth=1
	s_or_b32 exec_lo, exec_lo, s8
.LBB224_965:                            ;   in Loop: Header=BB224_934 Depth=1
	s_delay_alu instid0(SALU_CYCLE_1)
	s_or_b32 exec_lo, exec_lo, s3
.LBB224_966:                            ;   in Loop: Header=BB224_934 Depth=1
	s_delay_alu instid0(SALU_CYCLE_1)
	s_or_b32 exec_lo, exec_lo, s0
	scratch_load_b32 v6, off, s32 offset:208 ; 4-byte Folded Reload
	v_or_b32_e32 v1, v1, v19
	v_dual_add_nc_u32 v114, 1, v17 :: v_dual_bitop2_b32 v0, v0, v18 bitop3:0x54
	v_dual_add_nc_u32 v115, 3, v17 :: v_dual_bitop2_b32 v7, v53, v55 bitop3:0x54
	s_wait_loadcnt 0x0
	v_add_nc_u32_e32 v10, -1, v6
	v_or_b32_e32 v6, v52, v54
	v_pk_mul_f32 v[0:1], v[22:23], v[0:1]
	s_delay_alu instid0(VALU_DEP_3)
	v_cmp_eq_u32_e32 vcc_lo, v10, v113
	v_add_nc_u32_e32 v10, 2, v17
	scratch_store_b64 off, v[0:1], s32 offset:212 ; 8-byte Folded Spill
	s_wait_xcnt 0x0
	v_pk_mul_f32 v[0:1], v[22:23], v[6:7]
	scratch_store_b64 off, v[0:1], s32 offset:192 ; 8-byte Folded Spill
	s_wait_xcnt 0x0
	s_and_saveexec_b32 s3, vcc_lo
	s_cbranch_execz .LBB224_968
; %bb.967:                              ;   in Loop: Header=BB224_934 Depth=1
	scratch_load_b64 v[0:1], off, s32 offset:200 ; 8-byte Folded Reload
	s_wait_loadcnt 0x0
	v_mov_b32_e32 v6, v0
	scratch_load_b64 v[0:1], off, s32 offset:212 th:TH_LOAD_LU ; 8-byte Folded Reload
	v_cmp_lt_i32_e64 s0, v17, v6
	s_wait_loadcnt 0x0
	s_delay_alu instid0(VALU_DEP_1) | instskip(SKIP_1) | instid1(VALU_DEP_1)
	v_cndmask_b32_e64 v0, 0, v0, s0
	v_cmp_lt_i32_e64 s0, v114, v6
	v_cndmask_b32_e64 v1, 0, v1, s0
	v_cmp_lt_i32_e64 s0, v10, v6
	s_clause 0x1
	scratch_store_b64 off, v[0:1], s32 offset:212
	scratch_load_b64 v[0:1], off, s32 offset:192 th:TH_LOAD_LU
	s_wait_loadcnt 0x0
	v_cndmask_b32_e64 v0, 0, v0, s0
	v_cmp_lt_i32_e64 s0, v115, v6
	s_delay_alu instid0(VALU_DEP_1)
	v_cndmask_b32_e64 v1, 0, v1, s0
	scratch_store_b64 off, v[0:1], s32 offset:192 ; 8-byte Folded Spill
.LBB224_968:                            ;   in Loop: Header=BB224_934 Depth=1
	s_wait_xcnt 0x0
	s_or_b32 exec_lo, exec_lo, s3
	flat_load_b32 v11, v[68:69] offset:128
	v_mov_b64_e32 v[0:1], 0
	v_mov_b64_e32 v[18:19], 0
	s_mov_b32 s3, exec_lo
	s_wait_loadcnt_dscnt 0x0
	v_and_b32_e32 v6, 0xff, v11
	s_wait_xcnt 0x0
	s_delay_alu instid0(VALU_DEP_1)
	v_cmpx_ne_u16_e32 0, v6
	s_cbranch_execz .LBB224_976
; %bb.969:                              ;   in Loop: Header=BB224_934 Depth=1
	v_mov_b64_e32 v[18:19], 0x80000000
	s_mov_b32 s8, exec_lo
	v_cmpx_ne_u16_e32 0x80, v6
	s_cbranch_execz .LBB224_975
; %bb.970:                              ;   in Loop: Header=BB224_934 Depth=1
	v_mov_b64_e32 v[18:19], 0x7f800001
	v_and_b32_e32 v7, 0x7f, v11
	s_mov_b32 s9, exec_lo
	s_delay_alu instid0(VALU_DEP_1)
	v_cmpx_ne_u32_e32 0x7f, v7
	s_cbranch_execz .LBB224_974
; %bb.971:                              ;   in Loop: Header=BB224_934 Depth=1
	v_and_b32_e32 v102, 7, v11
	v_lshrrev_b32_e32 v6, 3, v7
	s_mov_b32 s16, exec_lo
	v_cmpx_gt_u32_e32 8, v7
; %bb.972:                              ;   in Loop: Header=BB224_934 Depth=1
	s_delay_alu instid0(VALU_DEP_3) | instskip(NEXT) | instid1(VALU_DEP_1)
	v_clz_i32_u32_e32 v6, v102
	v_min_u32_e32 v6, 32, v6
	s_delay_alu instid0(VALU_DEP_1) | instskip(SKIP_1) | instid1(VALU_DEP_2)
	v_subrev_nc_u32_e32 v7, 28, v6
	v_sub_nc_u32_e32 v6, 29, v6
	v_lshlrev_b64_e32 v[18:19], v7, v[102:103]
	s_delay_alu instid0(VALU_DEP_1)
	v_and_b32_e32 v102, 7, v18
; %bb.973:                              ;   in Loop: Header=BB224_934 Depth=1
	s_or_b32 exec_lo, exec_lo, s16
	s_delay_alu instid0(VALU_DEP_1) | instskip(SKIP_1) | instid1(VALU_DEP_2)
	v_dual_lshlrev_b32 v7, 24, v11 :: v_dual_lshlrev_b32 v18, 20, v102
	v_lshl_add_u32 v6, v6, 23, 0x3c000000
	v_and_b32_e32 v7, 0x80000000, v7
	s_delay_alu instid0(VALU_DEP_1) | instskip(NEXT) | instid1(VALU_DEP_1)
	v_or3_b32 v102, v18, v7, v6
	v_mov_b64_e32 v[18:19], v[102:103]
.LBB224_974:                            ;   in Loop: Header=BB224_934 Depth=1
	s_or_b32 exec_lo, exec_lo, s9
.LBB224_975:                            ;   in Loop: Header=BB224_934 Depth=1
	s_delay_alu instid0(SALU_CYCLE_1)
	s_or_b32 exec_lo, exec_lo, s8
.LBB224_976:                            ;   in Loop: Header=BB224_934 Depth=1
	s_delay_alu instid0(SALU_CYCLE_1) | instskip(SKIP_2) | instid1(VALU_DEP_1)
	s_or_b32 exec_lo, exec_lo, s3
	v_lshrrev_b16 v6, 8, v11
	s_mov_b32 s3, exec_lo
	v_cmpx_ne_u16_e32 0, v6
	s_cbranch_execz .LBB224_984
; %bb.977:                              ;   in Loop: Header=BB224_934 Depth=1
	v_mov_b64_e32 v[0:1], 0x8000000000000000
	s_mov_b32 s8, exec_lo
	v_cmpx_ne_u16_e32 0x80, v6
	s_cbranch_execz .LBB224_983
; %bb.978:                              ;   in Loop: Header=BB224_934 Depth=1
	v_and_b32_e32 v7, 0xffff, v6
	v_mov_b64_e32 v[0:1], 0x7f80000100000000
	s_mov_b32 s9, exec_lo
	s_delay_alu instid0(VALU_DEP_2) | instskip(NEXT) | instid1(VALU_DEP_1)
	v_and_b32_e32 v6, 0x7f, v7
	v_cmpx_ne_u32_e32 0x7f, v6
	s_cbranch_execz .LBB224_982
; %bb.979:                              ;   in Loop: Header=BB224_934 Depth=1
	v_dual_lshrrev_b32 v0, 3, v6 :: v_dual_bitop2_b32 v102, 7, v7 bitop3:0x40
	s_mov_b32 s16, exec_lo
	v_cmpx_gt_u32_e32 8, v6
; %bb.980:                              ;   in Loop: Header=BB224_934 Depth=1
	s_delay_alu instid0(VALU_DEP_2) | instskip(NEXT) | instid1(VALU_DEP_1)
	v_clz_i32_u32_e32 v0, v102
	v_min_u32_e32 v0, 32, v0
	s_delay_alu instid0(VALU_DEP_1) | instskip(NEXT) | instid1(VALU_DEP_1)
	v_subrev_nc_u32_e32 v1, 28, v0
	v_lshlrev_b64_e32 v[6:7], v1, v[102:103]
	s_delay_alu instid0(VALU_DEP_1)
	v_dual_sub_nc_u32 v0, 29, v0 :: v_dual_bitop2_b32 v102, 7, v6 bitop3:0x40
; %bb.981:                              ;   in Loop: Header=BB224_934 Depth=1
	s_or_b32 exec_lo, exec_lo, s16
	s_delay_alu instid0(VALU_DEP_1) | instskip(NEXT) | instid1(VALU_DEP_2)
	v_dual_lshlrev_b32 v1, 16, v11 :: v_dual_lshlrev_b32 v6, 20, v102
	v_lshl_add_u32 v0, v0, 23, 0x3c000000
	s_delay_alu instid0(VALU_DEP_2) | instskip(NEXT) | instid1(VALU_DEP_1)
	v_and_b32_e32 v1, 0x80000000, v1
	v_or3_b32 v1, v6, v1, v0
	v_mov_b32_e32 v0, v103
.LBB224_982:                            ;   in Loop: Header=BB224_934 Depth=1
	s_or_b32 exec_lo, exec_lo, s9
.LBB224_983:                            ;   in Loop: Header=BB224_934 Depth=1
	s_delay_alu instid0(SALU_CYCLE_1)
	s_or_b32 exec_lo, exec_lo, s8
.LBB224_984:                            ;   in Loop: Header=BB224_934 Depth=1
	s_delay_alu instid0(SALU_CYCLE_1) | instskip(SKIP_4) | instid1(VALU_DEP_3)
	s_or_b32 exec_lo, exec_lo, s3
	v_lshrrev_b32_e32 v54, 16, v11
	v_mov_b64_e32 v[52:53], 0
	v_mov_b64_e32 v[6:7], 0
	s_mov_b32 s3, exec_lo
	v_and_b32_e32 v55, 0xff, v54
	s_delay_alu instid0(VALU_DEP_1)
	v_cmpx_ne_u16_e32 0, v55
	s_cbranch_execz .LBB224_992
; %bb.985:                              ;   in Loop: Header=BB224_934 Depth=1
	v_mov_b64_e32 v[6:7], 0x80000000
	s_mov_b32 s8, exec_lo
	v_cmpx_ne_u16_e32 0x80, v55
	s_cbranch_execz .LBB224_991
; %bb.986:                              ;   in Loop: Header=BB224_934 Depth=1
	v_mov_b64_e32 v[6:7], 0x7f800001
	v_bfe_u32 v55, v11, 16, 7
	s_mov_b32 s9, exec_lo
	s_delay_alu instid0(VALU_DEP_1)
	v_cmpx_ne_u32_e32 0x7f, v55
	s_cbranch_execz .LBB224_990
; %bb.987:                              ;   in Loop: Header=BB224_934 Depth=1
	v_dual_lshrrev_b32 v6, 3, v55 :: v_dual_bitop2_b32 v102, 7, v54 bitop3:0x40
	s_mov_b32 s16, exec_lo
	v_cmpx_gt_u32_e32 8, v55
; %bb.988:                              ;   in Loop: Header=BB224_934 Depth=1
	s_delay_alu instid0(VALU_DEP_2) | instskip(NEXT) | instid1(VALU_DEP_1)
	v_clz_i32_u32_e32 v6, v102
	v_min_u32_e32 v6, 32, v6
	s_delay_alu instid0(VALU_DEP_1) | instskip(NEXT) | instid1(VALU_DEP_1)
	v_subrev_nc_u32_e32 v7, 28, v6
	v_lshlrev_b64_e32 v[64:65], v7, v[102:103]
	s_delay_alu instid0(VALU_DEP_1)
	v_dual_sub_nc_u32 v6, 29, v6 :: v_dual_bitop2_b32 v102, 7, v64 bitop3:0x40
; %bb.989:                              ;   in Loop: Header=BB224_934 Depth=1
	s_or_b32 exec_lo, exec_lo, s16
	v_lshlrev_b32_e32 v7, 24, v54
	s_delay_alu instid0(VALU_DEP_2) | instskip(NEXT) | instid1(VALU_DEP_3)
	v_lshlrev_b32_e32 v54, 20, v102
	v_lshl_add_u32 v6, v6, 23, 0x3c000000
	s_delay_alu instid0(VALU_DEP_3) | instskip(NEXT) | instid1(VALU_DEP_1)
	v_and_b32_e32 v7, 0x80000000, v7
	v_or3_b32 v102, v54, v7, v6
	s_delay_alu instid0(VALU_DEP_1)
	v_mov_b64_e32 v[6:7], v[102:103]
.LBB224_990:                            ;   in Loop: Header=BB224_934 Depth=1
	s_or_b32 exec_lo, exec_lo, s9
.LBB224_991:                            ;   in Loop: Header=BB224_934 Depth=1
	s_delay_alu instid0(SALU_CYCLE_1)
	s_or_b32 exec_lo, exec_lo, s8
.LBB224_992:                            ;   in Loop: Header=BB224_934 Depth=1
	s_delay_alu instid0(SALU_CYCLE_1) | instskip(NEXT) | instid1(SALU_CYCLE_1)
	s_or_b32 exec_lo, exec_lo, s3
	s_mov_b32 s3, exec_lo
	v_cmpx_lt_u32_e32 0xffffff, v11
	s_cbranch_execz .LBB224_1000
; %bb.993:                              ;   in Loop: Header=BB224_934 Depth=1
	v_mov_b64_e32 v[52:53], 0x8000000000000000
	v_lshrrev_b32_e32 v54, 24, v11
	s_mov_b32 s8, exec_lo
	s_delay_alu instid0(VALU_DEP_1)
	v_cmpx_ne_u32_e32 0x80, v54
	s_cbranch_execz .LBB224_999
; %bb.994:                              ;   in Loop: Header=BB224_934 Depth=1
	v_mov_b64_e32 v[52:53], 0x7f80000100000000
	v_bfe_u32 v55, v11, 24, 7
	s_mov_b32 s9, exec_lo
	s_delay_alu instid0(VALU_DEP_1)
	v_cmpx_ne_u32_e32 0x7f, v55
	s_cbranch_execz .LBB224_998
; %bb.995:                              ;   in Loop: Header=BB224_934 Depth=1
	v_dual_lshrrev_b32 v11, 3, v55 :: v_dual_bitop2_b32 v102, 7, v54 bitop3:0x40
	s_mov_b32 s16, exec_lo
	v_cmpx_gt_u32_e32 8, v55
; %bb.996:                              ;   in Loop: Header=BB224_934 Depth=1
	s_delay_alu instid0(VALU_DEP_2) | instskip(NEXT) | instid1(VALU_DEP_1)
	v_clz_i32_u32_e32 v11, v102
	v_min_u32_e32 v11, 32, v11
	s_delay_alu instid0(VALU_DEP_1) | instskip(NEXT) | instid1(VALU_DEP_1)
	v_subrev_nc_u32_e32 v52, 28, v11
	v_lshlrev_b64_e32 v[52:53], v52, v[102:103]
	s_delay_alu instid0(VALU_DEP_1)
	v_dual_sub_nc_u32 v11, 29, v11 :: v_dual_bitop2_b32 v102, 7, v52 bitop3:0x40
; %bb.997:                              ;   in Loop: Header=BB224_934 Depth=1
	s_or_b32 exec_lo, exec_lo, s16
	v_lshlrev_b32_e32 v52, 24, v54
	s_delay_alu instid0(VALU_DEP_2) | instskip(NEXT) | instid1(VALU_DEP_3)
	v_lshlrev_b32_e32 v53, 20, v102
	v_lshl_add_u32 v11, v11, 23, 0x3c000000
	s_delay_alu instid0(VALU_DEP_3) | instskip(NEXT) | instid1(VALU_DEP_1)
	v_and_b32_e32 v52, 0x80000000, v52
	v_or3_b32 v53, v53, v52, v11
	v_mov_b32_e32 v52, v103
.LBB224_998:                            ;   in Loop: Header=BB224_934 Depth=1
	s_or_b32 exec_lo, exec_lo, s9
.LBB224_999:                            ;   in Loop: Header=BB224_934 Depth=1
	s_delay_alu instid0(SALU_CYCLE_1)
	s_or_b32 exec_lo, exec_lo, s8
.LBB224_1000:                           ;   in Loop: Header=BB224_934 Depth=1
	s_delay_alu instid0(SALU_CYCLE_1) | instskip(SKIP_4) | instid1(VALU_DEP_3)
	s_or_b32 exec_lo, exec_lo, s3
	v_or_b32_e32 v1, v1, v19
	v_or_b32_e32 v0, v0, v18
	;; [unrolled: 1-line block ×4, first 2 shown]
	v_pk_mul_f32 v[0:1], v[22:23], v[0:1]
	scratch_store_b64 off, v[0:1], s32 offset:228 ; 8-byte Folded Spill
	s_wait_xcnt 0x0
	v_pk_mul_f32 v[0:1], v[22:23], v[6:7]
	scratch_store_b64 off, v[0:1], s32 offset:220 ; 8-byte Folded Spill
	s_wait_xcnt 0x0
	s_and_saveexec_b32 s3, vcc_lo
	s_cbranch_execz .LBB224_1002
; %bb.1001:                             ;   in Loop: Header=BB224_934 Depth=1
	scratch_load_b64 v[0:1], off, s32 offset:200 ; 8-byte Folded Reload
	s_wait_loadcnt 0x0
	v_mov_b32_e32 v6, v0
	scratch_load_b64 v[0:1], off, s32 offset:228 th:TH_LOAD_LU ; 8-byte Folded Reload
	v_cmp_lt_i32_e64 s0, v17, v6
	s_wait_loadcnt 0x0
	s_delay_alu instid0(VALU_DEP_1) | instskip(SKIP_1) | instid1(VALU_DEP_1)
	v_cndmask_b32_e64 v0, 0, v0, s0
	v_cmp_lt_i32_e64 s0, v114, v6
	v_cndmask_b32_e64 v1, 0, v1, s0
	v_cmp_lt_i32_e64 s0, v10, v6
	s_clause 0x1
	scratch_store_b64 off, v[0:1], s32 offset:228
	scratch_load_b64 v[0:1], off, s32 offset:220 th:TH_LOAD_LU
	s_wait_loadcnt 0x0
	v_cndmask_b32_e64 v0, 0, v0, s0
	v_cmp_lt_i32_e64 s0, v115, v6
	s_delay_alu instid0(VALU_DEP_1)
	v_cndmask_b32_e64 v1, 0, v1, s0
	scratch_store_b64 off, v[0:1], s32 offset:220 ; 8-byte Folded Spill
.LBB224_1002:                           ;   in Loop: Header=BB224_934 Depth=1
	s_wait_xcnt 0x0
	s_or_b32 exec_lo, exec_lo, s3
	flat_load_b32 v11, v[68:69] offset:256
	v_mov_b64_e32 v[0:1], 0
	v_mov_b64_e32 v[18:19], 0
	s_mov_b32 s3, exec_lo
	s_wait_loadcnt_dscnt 0x0
	v_and_b32_e32 v6, 0xff, v11
	s_wait_xcnt 0x0
	s_delay_alu instid0(VALU_DEP_1)
	v_cmpx_ne_u16_e32 0, v6
	s_cbranch_execz .LBB224_1010
; %bb.1003:                             ;   in Loop: Header=BB224_934 Depth=1
	v_mov_b64_e32 v[18:19], 0x80000000
	s_mov_b32 s8, exec_lo
	v_cmpx_ne_u16_e32 0x80, v6
	s_cbranch_execz .LBB224_1009
; %bb.1004:                             ;   in Loop: Header=BB224_934 Depth=1
	v_mov_b64_e32 v[18:19], 0x7f800001
	v_and_b32_e32 v7, 0x7f, v11
	s_mov_b32 s9, exec_lo
	s_delay_alu instid0(VALU_DEP_1)
	v_cmpx_ne_u32_e32 0x7f, v7
	s_cbranch_execz .LBB224_1008
; %bb.1005:                             ;   in Loop: Header=BB224_934 Depth=1
	v_and_b32_e32 v102, 7, v11
	v_lshrrev_b32_e32 v6, 3, v7
	s_mov_b32 s16, exec_lo
	v_cmpx_gt_u32_e32 8, v7
; %bb.1006:                             ;   in Loop: Header=BB224_934 Depth=1
	s_delay_alu instid0(VALU_DEP_3) | instskip(NEXT) | instid1(VALU_DEP_1)
	v_clz_i32_u32_e32 v6, v102
	v_min_u32_e32 v6, 32, v6
	s_delay_alu instid0(VALU_DEP_1) | instskip(SKIP_1) | instid1(VALU_DEP_2)
	v_subrev_nc_u32_e32 v7, 28, v6
	v_sub_nc_u32_e32 v6, 29, v6
	v_lshlrev_b64_e32 v[18:19], v7, v[102:103]
	s_delay_alu instid0(VALU_DEP_1)
	v_and_b32_e32 v102, 7, v18
; %bb.1007:                             ;   in Loop: Header=BB224_934 Depth=1
	s_or_b32 exec_lo, exec_lo, s16
	s_delay_alu instid0(VALU_DEP_1) | instskip(SKIP_1) | instid1(VALU_DEP_2)
	v_dual_lshlrev_b32 v7, 24, v11 :: v_dual_lshlrev_b32 v18, 20, v102
	v_lshl_add_u32 v6, v6, 23, 0x3c000000
	v_and_b32_e32 v7, 0x80000000, v7
	s_delay_alu instid0(VALU_DEP_1) | instskip(NEXT) | instid1(VALU_DEP_1)
	v_or3_b32 v102, v18, v7, v6
	v_mov_b64_e32 v[18:19], v[102:103]
.LBB224_1008:                           ;   in Loop: Header=BB224_934 Depth=1
	s_or_b32 exec_lo, exec_lo, s9
.LBB224_1009:                           ;   in Loop: Header=BB224_934 Depth=1
	s_delay_alu instid0(SALU_CYCLE_1)
	s_or_b32 exec_lo, exec_lo, s8
.LBB224_1010:                           ;   in Loop: Header=BB224_934 Depth=1
	s_delay_alu instid0(SALU_CYCLE_1) | instskip(SKIP_2) | instid1(VALU_DEP_1)
	s_or_b32 exec_lo, exec_lo, s3
	v_lshrrev_b16 v6, 8, v11
	s_mov_b32 s3, exec_lo
	v_cmpx_ne_u16_e32 0, v6
	s_cbranch_execz .LBB224_1018
; %bb.1011:                             ;   in Loop: Header=BB224_934 Depth=1
	v_mov_b64_e32 v[0:1], 0x8000000000000000
	s_mov_b32 s8, exec_lo
	v_cmpx_ne_u16_e32 0x80, v6
	s_cbranch_execz .LBB224_1017
; %bb.1012:                             ;   in Loop: Header=BB224_934 Depth=1
	v_and_b32_e32 v7, 0xffff, v6
	v_mov_b64_e32 v[0:1], 0x7f80000100000000
	s_mov_b32 s9, exec_lo
	s_delay_alu instid0(VALU_DEP_2) | instskip(NEXT) | instid1(VALU_DEP_1)
	v_and_b32_e32 v6, 0x7f, v7
	v_cmpx_ne_u32_e32 0x7f, v6
	s_cbranch_execz .LBB224_1016
; %bb.1013:                             ;   in Loop: Header=BB224_934 Depth=1
	v_dual_lshrrev_b32 v0, 3, v6 :: v_dual_bitop2_b32 v102, 7, v7 bitop3:0x40
	s_mov_b32 s16, exec_lo
	v_cmpx_gt_u32_e32 8, v6
; %bb.1014:                             ;   in Loop: Header=BB224_934 Depth=1
	s_delay_alu instid0(VALU_DEP_2) | instskip(NEXT) | instid1(VALU_DEP_1)
	v_clz_i32_u32_e32 v0, v102
	v_min_u32_e32 v0, 32, v0
	s_delay_alu instid0(VALU_DEP_1) | instskip(NEXT) | instid1(VALU_DEP_1)
	v_subrev_nc_u32_e32 v1, 28, v0
	v_lshlrev_b64_e32 v[6:7], v1, v[102:103]
	s_delay_alu instid0(VALU_DEP_1)
	v_dual_sub_nc_u32 v0, 29, v0 :: v_dual_bitop2_b32 v102, 7, v6 bitop3:0x40
; %bb.1015:                             ;   in Loop: Header=BB224_934 Depth=1
	s_or_b32 exec_lo, exec_lo, s16
	s_delay_alu instid0(VALU_DEP_1) | instskip(NEXT) | instid1(VALU_DEP_2)
	v_dual_lshlrev_b32 v1, 16, v11 :: v_dual_lshlrev_b32 v6, 20, v102
	v_lshl_add_u32 v0, v0, 23, 0x3c000000
	s_delay_alu instid0(VALU_DEP_2) | instskip(NEXT) | instid1(VALU_DEP_1)
	v_and_b32_e32 v1, 0x80000000, v1
	v_or3_b32 v1, v6, v1, v0
	v_mov_b32_e32 v0, v103
.LBB224_1016:                           ;   in Loop: Header=BB224_934 Depth=1
	s_or_b32 exec_lo, exec_lo, s9
.LBB224_1017:                           ;   in Loop: Header=BB224_934 Depth=1
	s_delay_alu instid0(SALU_CYCLE_1)
	s_or_b32 exec_lo, exec_lo, s8
.LBB224_1018:                           ;   in Loop: Header=BB224_934 Depth=1
	s_delay_alu instid0(SALU_CYCLE_1) | instskip(SKIP_4) | instid1(VALU_DEP_3)
	s_or_b32 exec_lo, exec_lo, s3
	v_lshrrev_b32_e32 v54, 16, v11
	v_mov_b64_e32 v[52:53], 0
	v_mov_b64_e32 v[6:7], 0
	s_mov_b32 s3, exec_lo
	v_and_b32_e32 v55, 0xff, v54
	s_delay_alu instid0(VALU_DEP_1)
	v_cmpx_ne_u16_e32 0, v55
	s_cbranch_execz .LBB224_1026
; %bb.1019:                             ;   in Loop: Header=BB224_934 Depth=1
	v_mov_b64_e32 v[6:7], 0x80000000
	s_mov_b32 s8, exec_lo
	v_cmpx_ne_u16_e32 0x80, v55
	s_cbranch_execz .LBB224_1025
; %bb.1020:                             ;   in Loop: Header=BB224_934 Depth=1
	v_mov_b64_e32 v[6:7], 0x7f800001
	v_bfe_u32 v55, v11, 16, 7
	s_mov_b32 s9, exec_lo
	s_delay_alu instid0(VALU_DEP_1)
	v_cmpx_ne_u32_e32 0x7f, v55
	s_cbranch_execz .LBB224_1024
; %bb.1021:                             ;   in Loop: Header=BB224_934 Depth=1
	v_dual_lshrrev_b32 v6, 3, v55 :: v_dual_bitop2_b32 v102, 7, v54 bitop3:0x40
	s_mov_b32 s16, exec_lo
	v_cmpx_gt_u32_e32 8, v55
; %bb.1022:                             ;   in Loop: Header=BB224_934 Depth=1
	s_delay_alu instid0(VALU_DEP_2) | instskip(NEXT) | instid1(VALU_DEP_1)
	v_clz_i32_u32_e32 v6, v102
	v_min_u32_e32 v6, 32, v6
	s_delay_alu instid0(VALU_DEP_1) | instskip(NEXT) | instid1(VALU_DEP_1)
	v_subrev_nc_u32_e32 v7, 28, v6
	v_lshlrev_b64_e32 v[64:65], v7, v[102:103]
	s_delay_alu instid0(VALU_DEP_1)
	v_dual_sub_nc_u32 v6, 29, v6 :: v_dual_bitop2_b32 v102, 7, v64 bitop3:0x40
; %bb.1023:                             ;   in Loop: Header=BB224_934 Depth=1
	s_or_b32 exec_lo, exec_lo, s16
	v_lshlrev_b32_e32 v7, 24, v54
	s_delay_alu instid0(VALU_DEP_2) | instskip(NEXT) | instid1(VALU_DEP_3)
	v_lshlrev_b32_e32 v54, 20, v102
	v_lshl_add_u32 v6, v6, 23, 0x3c000000
	s_delay_alu instid0(VALU_DEP_3) | instskip(NEXT) | instid1(VALU_DEP_1)
	v_and_b32_e32 v7, 0x80000000, v7
	v_or3_b32 v102, v54, v7, v6
	s_delay_alu instid0(VALU_DEP_1)
	v_mov_b64_e32 v[6:7], v[102:103]
.LBB224_1024:                           ;   in Loop: Header=BB224_934 Depth=1
	s_or_b32 exec_lo, exec_lo, s9
.LBB224_1025:                           ;   in Loop: Header=BB224_934 Depth=1
	s_delay_alu instid0(SALU_CYCLE_1)
	s_or_b32 exec_lo, exec_lo, s8
.LBB224_1026:                           ;   in Loop: Header=BB224_934 Depth=1
	s_delay_alu instid0(SALU_CYCLE_1) | instskip(NEXT) | instid1(SALU_CYCLE_1)
	s_or_b32 exec_lo, exec_lo, s3
	s_mov_b32 s3, exec_lo
	v_cmpx_lt_u32_e32 0xffffff, v11
	s_cbranch_execz .LBB224_1034
; %bb.1027:                             ;   in Loop: Header=BB224_934 Depth=1
	v_mov_b64_e32 v[52:53], 0x8000000000000000
	v_lshrrev_b32_e32 v54, 24, v11
	s_mov_b32 s8, exec_lo
	s_delay_alu instid0(VALU_DEP_1)
	v_cmpx_ne_u32_e32 0x80, v54
	s_cbranch_execz .LBB224_1033
; %bb.1028:                             ;   in Loop: Header=BB224_934 Depth=1
	v_mov_b64_e32 v[52:53], 0x7f80000100000000
	v_bfe_u32 v55, v11, 24, 7
	s_mov_b32 s9, exec_lo
	s_delay_alu instid0(VALU_DEP_1)
	v_cmpx_ne_u32_e32 0x7f, v55
	s_cbranch_execz .LBB224_1032
; %bb.1029:                             ;   in Loop: Header=BB224_934 Depth=1
	v_dual_lshrrev_b32 v11, 3, v55 :: v_dual_bitop2_b32 v102, 7, v54 bitop3:0x40
	s_mov_b32 s16, exec_lo
	v_cmpx_gt_u32_e32 8, v55
; %bb.1030:                             ;   in Loop: Header=BB224_934 Depth=1
	s_delay_alu instid0(VALU_DEP_2) | instskip(NEXT) | instid1(VALU_DEP_1)
	v_clz_i32_u32_e32 v11, v102
	v_min_u32_e32 v11, 32, v11
	s_delay_alu instid0(VALU_DEP_1) | instskip(NEXT) | instid1(VALU_DEP_1)
	v_subrev_nc_u32_e32 v52, 28, v11
	v_lshlrev_b64_e32 v[52:53], v52, v[102:103]
	s_delay_alu instid0(VALU_DEP_1)
	v_dual_sub_nc_u32 v11, 29, v11 :: v_dual_bitop2_b32 v102, 7, v52 bitop3:0x40
; %bb.1031:                             ;   in Loop: Header=BB224_934 Depth=1
	s_or_b32 exec_lo, exec_lo, s16
	v_lshlrev_b32_e32 v52, 24, v54
	s_delay_alu instid0(VALU_DEP_2) | instskip(NEXT) | instid1(VALU_DEP_3)
	v_lshlrev_b32_e32 v53, 20, v102
	v_lshl_add_u32 v11, v11, 23, 0x3c000000
	s_delay_alu instid0(VALU_DEP_3) | instskip(NEXT) | instid1(VALU_DEP_1)
	v_and_b32_e32 v52, 0x80000000, v52
	v_or3_b32 v53, v53, v52, v11
	v_mov_b32_e32 v52, v103
.LBB224_1032:                           ;   in Loop: Header=BB224_934 Depth=1
	s_or_b32 exec_lo, exec_lo, s9
.LBB224_1033:                           ;   in Loop: Header=BB224_934 Depth=1
	s_delay_alu instid0(SALU_CYCLE_1)
	s_or_b32 exec_lo, exec_lo, s8
.LBB224_1034:                           ;   in Loop: Header=BB224_934 Depth=1
	s_delay_alu instid0(SALU_CYCLE_1) | instskip(SKIP_4) | instid1(VALU_DEP_3)
	s_or_b32 exec_lo, exec_lo, s3
	v_or_b32_e32 v1, v1, v19
	v_or_b32_e32 v0, v0, v18
	;; [unrolled: 1-line block ×4, first 2 shown]
	v_pk_mul_f32 v[0:1], v[22:23], v[0:1]
	scratch_store_b64 off, v[0:1], s32 offset:244 ; 8-byte Folded Spill
	s_wait_xcnt 0x0
	v_pk_mul_f32 v[0:1], v[22:23], v[6:7]
	scratch_store_b64 off, v[0:1], s32 offset:236 ; 8-byte Folded Spill
	s_wait_xcnt 0x0
	s_and_saveexec_b32 s3, vcc_lo
	s_cbranch_execz .LBB224_1036
; %bb.1035:                             ;   in Loop: Header=BB224_934 Depth=1
	s_clause 0x1
	scratch_load_b64 v[0:1], off, s32 offset:200
	scratch_load_b64 v[6:7], off, s32 offset:244 th:TH_LOAD_LU
	s_wait_loadcnt 0x1
	v_cmp_lt_i32_e64 s0, v17, v0
	s_wait_loadcnt 0x0
	s_delay_alu instid0(VALU_DEP_1) | instskip(SKIP_1) | instid1(VALU_DEP_1)
	v_cndmask_b32_e64 v6, 0, v6, s0
	v_cmp_lt_i32_e64 s0, v114, v0
	v_cndmask_b32_e64 v7, 0, v7, s0
	v_cmp_lt_i32_e64 s0, v10, v0
	s_clause 0x1
	scratch_store_b64 off, v[6:7], s32 offset:244
	scratch_load_b64 v[6:7], off, s32 offset:236 th:TH_LOAD_LU
	s_wait_loadcnt 0x0
	v_cndmask_b32_e64 v6, 0, v6, s0
	v_cmp_lt_i32_e64 s0, v115, v0
	s_delay_alu instid0(VALU_DEP_1)
	v_cndmask_b32_e64 v7, 0, v7, s0
	scratch_store_b64 off, v[6:7], s32 offset:236 ; 8-byte Folded Spill
.LBB224_1036:                           ;   in Loop: Header=BB224_934 Depth=1
	s_wait_xcnt 0x0
	s_or_b32 exec_lo, exec_lo, s3
	flat_load_b32 v11, v[68:69] offset:384
	v_mov_b64_e32 v[0:1], 0
	v_mov_b64_e32 v[18:19], 0
	s_mov_b32 s3, exec_lo
	s_wait_loadcnt_dscnt 0x0
	v_and_b32_e32 v6, 0xff, v11
	s_wait_xcnt 0x0
	s_delay_alu instid0(VALU_DEP_1)
	v_cmpx_ne_u16_e32 0, v6
	s_cbranch_execz .LBB224_1044
; %bb.1037:                             ;   in Loop: Header=BB224_934 Depth=1
	v_mov_b64_e32 v[18:19], 0x80000000
	s_mov_b32 s8, exec_lo
	v_cmpx_ne_u16_e32 0x80, v6
	s_cbranch_execz .LBB224_1043
; %bb.1038:                             ;   in Loop: Header=BB224_934 Depth=1
	v_mov_b64_e32 v[18:19], 0x7f800001
	v_and_b32_e32 v7, 0x7f, v11
	s_mov_b32 s9, exec_lo
	s_delay_alu instid0(VALU_DEP_1)
	v_cmpx_ne_u32_e32 0x7f, v7
	s_cbranch_execz .LBB224_1042
; %bb.1039:                             ;   in Loop: Header=BB224_934 Depth=1
	v_and_b32_e32 v102, 7, v11
	v_lshrrev_b32_e32 v6, 3, v7
	s_mov_b32 s16, exec_lo
	v_cmpx_gt_u32_e32 8, v7
; %bb.1040:                             ;   in Loop: Header=BB224_934 Depth=1
	s_delay_alu instid0(VALU_DEP_3) | instskip(NEXT) | instid1(VALU_DEP_1)
	v_clz_i32_u32_e32 v6, v102
	v_min_u32_e32 v6, 32, v6
	s_delay_alu instid0(VALU_DEP_1) | instskip(SKIP_1) | instid1(VALU_DEP_2)
	v_subrev_nc_u32_e32 v7, 28, v6
	v_sub_nc_u32_e32 v6, 29, v6
	v_lshlrev_b64_e32 v[18:19], v7, v[102:103]
	s_delay_alu instid0(VALU_DEP_1)
	v_and_b32_e32 v102, 7, v18
; %bb.1041:                             ;   in Loop: Header=BB224_934 Depth=1
	s_or_b32 exec_lo, exec_lo, s16
	s_delay_alu instid0(VALU_DEP_1) | instskip(SKIP_1) | instid1(VALU_DEP_2)
	v_dual_lshlrev_b32 v7, 24, v11 :: v_dual_lshlrev_b32 v18, 20, v102
	v_lshl_add_u32 v6, v6, 23, 0x3c000000
	v_and_b32_e32 v7, 0x80000000, v7
	s_delay_alu instid0(VALU_DEP_1) | instskip(NEXT) | instid1(VALU_DEP_1)
	v_or3_b32 v102, v18, v7, v6
	v_mov_b64_e32 v[18:19], v[102:103]
.LBB224_1042:                           ;   in Loop: Header=BB224_934 Depth=1
	s_or_b32 exec_lo, exec_lo, s9
.LBB224_1043:                           ;   in Loop: Header=BB224_934 Depth=1
	s_delay_alu instid0(SALU_CYCLE_1)
	s_or_b32 exec_lo, exec_lo, s8
.LBB224_1044:                           ;   in Loop: Header=BB224_934 Depth=1
	s_delay_alu instid0(SALU_CYCLE_1) | instskip(SKIP_2) | instid1(VALU_DEP_1)
	s_or_b32 exec_lo, exec_lo, s3
	v_lshrrev_b16 v6, 8, v11
	s_mov_b32 s3, exec_lo
	v_cmpx_ne_u16_e32 0, v6
	s_cbranch_execz .LBB224_1052
; %bb.1045:                             ;   in Loop: Header=BB224_934 Depth=1
	v_mov_b64_e32 v[0:1], 0x8000000000000000
	s_mov_b32 s8, exec_lo
	v_cmpx_ne_u16_e32 0x80, v6
	s_cbranch_execz .LBB224_1051
; %bb.1046:                             ;   in Loop: Header=BB224_934 Depth=1
	v_and_b32_e32 v7, 0xffff, v6
	v_mov_b64_e32 v[0:1], 0x7f80000100000000
	s_mov_b32 s9, exec_lo
	s_delay_alu instid0(VALU_DEP_2) | instskip(NEXT) | instid1(VALU_DEP_1)
	v_and_b32_e32 v6, 0x7f, v7
	v_cmpx_ne_u32_e32 0x7f, v6
	s_cbranch_execz .LBB224_1050
; %bb.1047:                             ;   in Loop: Header=BB224_934 Depth=1
	v_dual_lshrrev_b32 v0, 3, v6 :: v_dual_bitop2_b32 v102, 7, v7 bitop3:0x40
	s_mov_b32 s16, exec_lo
	v_cmpx_gt_u32_e32 8, v6
; %bb.1048:                             ;   in Loop: Header=BB224_934 Depth=1
	s_delay_alu instid0(VALU_DEP_2) | instskip(NEXT) | instid1(VALU_DEP_1)
	v_clz_i32_u32_e32 v0, v102
	v_min_u32_e32 v0, 32, v0
	s_delay_alu instid0(VALU_DEP_1) | instskip(NEXT) | instid1(VALU_DEP_1)
	v_subrev_nc_u32_e32 v1, 28, v0
	v_lshlrev_b64_e32 v[6:7], v1, v[102:103]
	s_delay_alu instid0(VALU_DEP_1)
	v_dual_sub_nc_u32 v0, 29, v0 :: v_dual_bitop2_b32 v102, 7, v6 bitop3:0x40
; %bb.1049:                             ;   in Loop: Header=BB224_934 Depth=1
	s_or_b32 exec_lo, exec_lo, s16
	s_delay_alu instid0(VALU_DEP_1) | instskip(NEXT) | instid1(VALU_DEP_2)
	v_dual_lshlrev_b32 v1, 16, v11 :: v_dual_lshlrev_b32 v6, 20, v102
	v_lshl_add_u32 v0, v0, 23, 0x3c000000
	s_delay_alu instid0(VALU_DEP_2) | instskip(NEXT) | instid1(VALU_DEP_1)
	v_and_b32_e32 v1, 0x80000000, v1
	v_or3_b32 v1, v6, v1, v0
	v_mov_b32_e32 v0, v103
.LBB224_1050:                           ;   in Loop: Header=BB224_934 Depth=1
	s_or_b32 exec_lo, exec_lo, s9
.LBB224_1051:                           ;   in Loop: Header=BB224_934 Depth=1
	s_delay_alu instid0(SALU_CYCLE_1)
	s_or_b32 exec_lo, exec_lo, s8
.LBB224_1052:                           ;   in Loop: Header=BB224_934 Depth=1
	s_delay_alu instid0(SALU_CYCLE_1) | instskip(SKIP_4) | instid1(VALU_DEP_3)
	s_or_b32 exec_lo, exec_lo, s3
	v_lshrrev_b32_e32 v54, 16, v11
	v_mov_b64_e32 v[52:53], 0
	v_mov_b64_e32 v[6:7], 0
	s_mov_b32 s3, exec_lo
	v_and_b32_e32 v55, 0xff, v54
	s_delay_alu instid0(VALU_DEP_1)
	v_cmpx_ne_u16_e32 0, v55
	s_cbranch_execz .LBB224_1060
; %bb.1053:                             ;   in Loop: Header=BB224_934 Depth=1
	v_mov_b64_e32 v[6:7], 0x80000000
	s_mov_b32 s8, exec_lo
	v_cmpx_ne_u16_e32 0x80, v55
	s_cbranch_execz .LBB224_1059
; %bb.1054:                             ;   in Loop: Header=BB224_934 Depth=1
	v_mov_b64_e32 v[6:7], 0x7f800001
	v_bfe_u32 v55, v11, 16, 7
	s_mov_b32 s9, exec_lo
	s_delay_alu instid0(VALU_DEP_1)
	v_cmpx_ne_u32_e32 0x7f, v55
	s_cbranch_execz .LBB224_1058
; %bb.1055:                             ;   in Loop: Header=BB224_934 Depth=1
	v_dual_lshrrev_b32 v6, 3, v55 :: v_dual_bitop2_b32 v102, 7, v54 bitop3:0x40
	s_mov_b32 s16, exec_lo
	v_cmpx_gt_u32_e32 8, v55
; %bb.1056:                             ;   in Loop: Header=BB224_934 Depth=1
	s_delay_alu instid0(VALU_DEP_2) | instskip(NEXT) | instid1(VALU_DEP_1)
	v_clz_i32_u32_e32 v6, v102
	v_min_u32_e32 v6, 32, v6
	s_delay_alu instid0(VALU_DEP_1) | instskip(NEXT) | instid1(VALU_DEP_1)
	v_subrev_nc_u32_e32 v7, 28, v6
	v_lshlrev_b64_e32 v[64:65], v7, v[102:103]
	s_delay_alu instid0(VALU_DEP_1)
	v_dual_sub_nc_u32 v6, 29, v6 :: v_dual_bitop2_b32 v102, 7, v64 bitop3:0x40
; %bb.1057:                             ;   in Loop: Header=BB224_934 Depth=1
	s_or_b32 exec_lo, exec_lo, s16
	v_lshlrev_b32_e32 v7, 24, v54
	s_delay_alu instid0(VALU_DEP_2) | instskip(NEXT) | instid1(VALU_DEP_3)
	v_lshlrev_b32_e32 v54, 20, v102
	v_lshl_add_u32 v6, v6, 23, 0x3c000000
	s_delay_alu instid0(VALU_DEP_3) | instskip(NEXT) | instid1(VALU_DEP_1)
	v_and_b32_e32 v7, 0x80000000, v7
	v_or3_b32 v102, v54, v7, v6
	s_delay_alu instid0(VALU_DEP_1)
	v_mov_b64_e32 v[6:7], v[102:103]
.LBB224_1058:                           ;   in Loop: Header=BB224_934 Depth=1
	s_or_b32 exec_lo, exec_lo, s9
.LBB224_1059:                           ;   in Loop: Header=BB224_934 Depth=1
	s_delay_alu instid0(SALU_CYCLE_1)
	s_or_b32 exec_lo, exec_lo, s8
.LBB224_1060:                           ;   in Loop: Header=BB224_934 Depth=1
	s_delay_alu instid0(SALU_CYCLE_1) | instskip(NEXT) | instid1(SALU_CYCLE_1)
	s_or_b32 exec_lo, exec_lo, s3
	s_mov_b32 s3, exec_lo
	v_cmpx_lt_u32_e32 0xffffff, v11
	s_cbranch_execz .LBB224_1068
; %bb.1061:                             ;   in Loop: Header=BB224_934 Depth=1
	v_mov_b64_e32 v[52:53], 0x8000000000000000
	v_lshrrev_b32_e32 v54, 24, v11
	s_mov_b32 s8, exec_lo
	s_delay_alu instid0(VALU_DEP_1)
	v_cmpx_ne_u32_e32 0x80, v54
	s_cbranch_execz .LBB224_1067
; %bb.1062:                             ;   in Loop: Header=BB224_934 Depth=1
	v_mov_b64_e32 v[52:53], 0x7f80000100000000
	v_bfe_u32 v55, v11, 24, 7
	s_mov_b32 s9, exec_lo
	s_delay_alu instid0(VALU_DEP_1)
	v_cmpx_ne_u32_e32 0x7f, v55
	s_cbranch_execz .LBB224_1066
; %bb.1063:                             ;   in Loop: Header=BB224_934 Depth=1
	v_dual_lshrrev_b32 v11, 3, v55 :: v_dual_bitop2_b32 v102, 7, v54 bitop3:0x40
	s_mov_b32 s16, exec_lo
	v_cmpx_gt_u32_e32 8, v55
; %bb.1064:                             ;   in Loop: Header=BB224_934 Depth=1
	s_delay_alu instid0(VALU_DEP_2) | instskip(NEXT) | instid1(VALU_DEP_1)
	v_clz_i32_u32_e32 v11, v102
	v_min_u32_e32 v11, 32, v11
	s_delay_alu instid0(VALU_DEP_1) | instskip(NEXT) | instid1(VALU_DEP_1)
	v_subrev_nc_u32_e32 v52, 28, v11
	v_lshlrev_b64_e32 v[52:53], v52, v[102:103]
	s_delay_alu instid0(VALU_DEP_1)
	v_dual_sub_nc_u32 v11, 29, v11 :: v_dual_bitop2_b32 v102, 7, v52 bitop3:0x40
; %bb.1065:                             ;   in Loop: Header=BB224_934 Depth=1
	s_or_b32 exec_lo, exec_lo, s16
	v_lshlrev_b32_e32 v52, 24, v54
	s_delay_alu instid0(VALU_DEP_2) | instskip(NEXT) | instid1(VALU_DEP_3)
	v_lshlrev_b32_e32 v53, 20, v102
	v_lshl_add_u32 v11, v11, 23, 0x3c000000
	s_delay_alu instid0(VALU_DEP_3) | instskip(NEXT) | instid1(VALU_DEP_1)
	v_and_b32_e32 v52, 0x80000000, v52
	v_or3_b32 v53, v53, v52, v11
	v_mov_b32_e32 v52, v103
.LBB224_1066:                           ;   in Loop: Header=BB224_934 Depth=1
	s_or_b32 exec_lo, exec_lo, s9
.LBB224_1067:                           ;   in Loop: Header=BB224_934 Depth=1
	s_delay_alu instid0(SALU_CYCLE_1)
	s_or_b32 exec_lo, exec_lo, s8
.LBB224_1068:                           ;   in Loop: Header=BB224_934 Depth=1
	s_delay_alu instid0(SALU_CYCLE_1) | instskip(SKIP_4) | instid1(VALU_DEP_3)
	s_or_b32 exec_lo, exec_lo, s3
	v_or_b32_e32 v1, v1, v19
	v_or_b32_e32 v0, v0, v18
	v_or_b32_e32 v7, v53, v7
	v_or_b32_e32 v6, v52, v6
	v_pk_mul_f32 v[0:1], v[22:23], v[0:1]
	scratch_store_b64 off, v[0:1], s32 offset:260 ; 8-byte Folded Spill
	s_wait_xcnt 0x0
	v_pk_mul_f32 v[0:1], v[22:23], v[6:7]
	scratch_store_b64 off, v[0:1], s32 offset:252 ; 8-byte Folded Spill
	s_wait_xcnt 0x0
	s_and_saveexec_b32 s3, vcc_lo
	s_cbranch_execz .LBB224_1070
; %bb.1069:                             ;   in Loop: Header=BB224_934 Depth=1
	s_clause 0x1
	scratch_load_b64 v[0:1], off, s32 offset:200
	scratch_load_b64 v[6:7], off, s32 offset:260 th:TH_LOAD_LU
	s_wait_loadcnt 0x1
	v_cmp_lt_i32_e64 s0, v17, v0
	s_wait_loadcnt 0x0
	s_delay_alu instid0(VALU_DEP_1) | instskip(SKIP_1) | instid1(VALU_DEP_1)
	v_cndmask_b32_e64 v6, 0, v6, s0
	v_cmp_lt_i32_e64 s0, v114, v0
	v_cndmask_b32_e64 v7, 0, v7, s0
	v_cmp_lt_i32_e64 s0, v10, v0
	s_clause 0x1
	scratch_store_b64 off, v[6:7], s32 offset:260
	scratch_load_b64 v[6:7], off, s32 offset:252 th:TH_LOAD_LU
	s_wait_loadcnt 0x0
	v_cndmask_b32_e64 v6, 0, v6, s0
	v_cmp_lt_i32_e64 s0, v115, v0
	s_delay_alu instid0(VALU_DEP_1)
	v_cndmask_b32_e64 v7, 0, v7, s0
	scratch_store_b64 off, v[6:7], s32 offset:252 ; 8-byte Folded Spill
.LBB224_1070:                           ;   in Loop: Header=BB224_934 Depth=1
	s_wait_xcnt 0x0
	s_or_b32 exec_lo, exec_lo, s3
	flat_load_b32 v11, v[68:69] offset:512
	v_mov_b64_e32 v[0:1], 0
	v_mov_b64_e32 v[18:19], 0
	s_mov_b32 s3, exec_lo
	s_wait_loadcnt_dscnt 0x0
	v_and_b32_e32 v6, 0xff, v11
	s_wait_xcnt 0x0
	s_delay_alu instid0(VALU_DEP_1)
	v_cmpx_ne_u16_e32 0, v6
	s_cbranch_execz .LBB224_1078
; %bb.1071:                             ;   in Loop: Header=BB224_934 Depth=1
	v_mov_b64_e32 v[18:19], 0x80000000
	s_mov_b32 s8, exec_lo
	v_cmpx_ne_u16_e32 0x80, v6
	s_cbranch_execz .LBB224_1077
; %bb.1072:                             ;   in Loop: Header=BB224_934 Depth=1
	v_mov_b64_e32 v[18:19], 0x7f800001
	v_and_b32_e32 v7, 0x7f, v11
	s_mov_b32 s9, exec_lo
	s_delay_alu instid0(VALU_DEP_1)
	v_cmpx_ne_u32_e32 0x7f, v7
	s_cbranch_execz .LBB224_1076
; %bb.1073:                             ;   in Loop: Header=BB224_934 Depth=1
	v_and_b32_e32 v102, 7, v11
	v_lshrrev_b32_e32 v6, 3, v7
	s_mov_b32 s16, exec_lo
	v_cmpx_gt_u32_e32 8, v7
; %bb.1074:                             ;   in Loop: Header=BB224_934 Depth=1
	s_delay_alu instid0(VALU_DEP_3) | instskip(NEXT) | instid1(VALU_DEP_1)
	v_clz_i32_u32_e32 v6, v102
	v_min_u32_e32 v6, 32, v6
	s_delay_alu instid0(VALU_DEP_1) | instskip(SKIP_1) | instid1(VALU_DEP_2)
	v_subrev_nc_u32_e32 v7, 28, v6
	v_sub_nc_u32_e32 v6, 29, v6
	v_lshlrev_b64_e32 v[18:19], v7, v[102:103]
	s_delay_alu instid0(VALU_DEP_1)
	v_and_b32_e32 v102, 7, v18
; %bb.1075:                             ;   in Loop: Header=BB224_934 Depth=1
	s_or_b32 exec_lo, exec_lo, s16
	s_delay_alu instid0(VALU_DEP_1) | instskip(SKIP_1) | instid1(VALU_DEP_2)
	v_dual_lshlrev_b32 v7, 24, v11 :: v_dual_lshlrev_b32 v18, 20, v102
	v_lshl_add_u32 v6, v6, 23, 0x3c000000
	v_and_b32_e32 v7, 0x80000000, v7
	s_delay_alu instid0(VALU_DEP_1) | instskip(NEXT) | instid1(VALU_DEP_1)
	v_or3_b32 v102, v18, v7, v6
	v_mov_b64_e32 v[18:19], v[102:103]
.LBB224_1076:                           ;   in Loop: Header=BB224_934 Depth=1
	s_or_b32 exec_lo, exec_lo, s9
.LBB224_1077:                           ;   in Loop: Header=BB224_934 Depth=1
	s_delay_alu instid0(SALU_CYCLE_1)
	s_or_b32 exec_lo, exec_lo, s8
.LBB224_1078:                           ;   in Loop: Header=BB224_934 Depth=1
	s_delay_alu instid0(SALU_CYCLE_1) | instskip(SKIP_2) | instid1(VALU_DEP_1)
	s_or_b32 exec_lo, exec_lo, s3
	v_lshrrev_b16 v6, 8, v11
	s_mov_b32 s3, exec_lo
	v_cmpx_ne_u16_e32 0, v6
	s_cbranch_execz .LBB224_1086
; %bb.1079:                             ;   in Loop: Header=BB224_934 Depth=1
	v_mov_b64_e32 v[0:1], 0x8000000000000000
	s_mov_b32 s8, exec_lo
	v_cmpx_ne_u16_e32 0x80, v6
	s_cbranch_execz .LBB224_1085
; %bb.1080:                             ;   in Loop: Header=BB224_934 Depth=1
	v_and_b32_e32 v7, 0xffff, v6
	v_mov_b64_e32 v[0:1], 0x7f80000100000000
	s_mov_b32 s9, exec_lo
	s_delay_alu instid0(VALU_DEP_2) | instskip(NEXT) | instid1(VALU_DEP_1)
	v_and_b32_e32 v6, 0x7f, v7
	v_cmpx_ne_u32_e32 0x7f, v6
	s_cbranch_execz .LBB224_1084
; %bb.1081:                             ;   in Loop: Header=BB224_934 Depth=1
	v_dual_lshrrev_b32 v0, 3, v6 :: v_dual_bitop2_b32 v102, 7, v7 bitop3:0x40
	s_mov_b32 s16, exec_lo
	v_cmpx_gt_u32_e32 8, v6
; %bb.1082:                             ;   in Loop: Header=BB224_934 Depth=1
	s_delay_alu instid0(VALU_DEP_2) | instskip(NEXT) | instid1(VALU_DEP_1)
	v_clz_i32_u32_e32 v0, v102
	v_min_u32_e32 v0, 32, v0
	s_delay_alu instid0(VALU_DEP_1) | instskip(NEXT) | instid1(VALU_DEP_1)
	v_subrev_nc_u32_e32 v1, 28, v0
	v_lshlrev_b64_e32 v[6:7], v1, v[102:103]
	s_delay_alu instid0(VALU_DEP_1)
	v_dual_sub_nc_u32 v0, 29, v0 :: v_dual_bitop2_b32 v102, 7, v6 bitop3:0x40
; %bb.1083:                             ;   in Loop: Header=BB224_934 Depth=1
	s_or_b32 exec_lo, exec_lo, s16
	s_delay_alu instid0(VALU_DEP_1) | instskip(NEXT) | instid1(VALU_DEP_2)
	v_dual_lshlrev_b32 v1, 16, v11 :: v_dual_lshlrev_b32 v6, 20, v102
	v_lshl_add_u32 v0, v0, 23, 0x3c000000
	s_delay_alu instid0(VALU_DEP_2) | instskip(NEXT) | instid1(VALU_DEP_1)
	v_and_b32_e32 v1, 0x80000000, v1
	v_or3_b32 v1, v6, v1, v0
	v_mov_b32_e32 v0, v103
.LBB224_1084:                           ;   in Loop: Header=BB224_934 Depth=1
	s_or_b32 exec_lo, exec_lo, s9
.LBB224_1085:                           ;   in Loop: Header=BB224_934 Depth=1
	s_delay_alu instid0(SALU_CYCLE_1)
	s_or_b32 exec_lo, exec_lo, s8
.LBB224_1086:                           ;   in Loop: Header=BB224_934 Depth=1
	s_delay_alu instid0(SALU_CYCLE_1) | instskip(SKIP_4) | instid1(VALU_DEP_3)
	s_or_b32 exec_lo, exec_lo, s3
	v_lshrrev_b32_e32 v54, 16, v11
	v_mov_b64_e32 v[52:53], 0
	v_mov_b64_e32 v[6:7], 0
	s_mov_b32 s3, exec_lo
	v_and_b32_e32 v55, 0xff, v54
	s_delay_alu instid0(VALU_DEP_1)
	v_cmpx_ne_u16_e32 0, v55
	s_cbranch_execz .LBB224_1094
; %bb.1087:                             ;   in Loop: Header=BB224_934 Depth=1
	v_mov_b64_e32 v[6:7], 0x80000000
	s_mov_b32 s8, exec_lo
	v_cmpx_ne_u16_e32 0x80, v55
	s_cbranch_execz .LBB224_1093
; %bb.1088:                             ;   in Loop: Header=BB224_934 Depth=1
	v_mov_b64_e32 v[6:7], 0x7f800001
	v_bfe_u32 v55, v11, 16, 7
	s_mov_b32 s9, exec_lo
	s_delay_alu instid0(VALU_DEP_1)
	v_cmpx_ne_u32_e32 0x7f, v55
	s_cbranch_execz .LBB224_1092
; %bb.1089:                             ;   in Loop: Header=BB224_934 Depth=1
	v_dual_lshrrev_b32 v6, 3, v55 :: v_dual_bitop2_b32 v102, 7, v54 bitop3:0x40
	s_mov_b32 s16, exec_lo
	v_cmpx_gt_u32_e32 8, v55
; %bb.1090:                             ;   in Loop: Header=BB224_934 Depth=1
	s_delay_alu instid0(VALU_DEP_2) | instskip(NEXT) | instid1(VALU_DEP_1)
	v_clz_i32_u32_e32 v6, v102
	v_min_u32_e32 v6, 32, v6
	s_delay_alu instid0(VALU_DEP_1) | instskip(NEXT) | instid1(VALU_DEP_1)
	v_subrev_nc_u32_e32 v7, 28, v6
	v_lshlrev_b64_e32 v[64:65], v7, v[102:103]
	s_delay_alu instid0(VALU_DEP_1)
	v_dual_sub_nc_u32 v6, 29, v6 :: v_dual_bitop2_b32 v102, 7, v64 bitop3:0x40
; %bb.1091:                             ;   in Loop: Header=BB224_934 Depth=1
	s_or_b32 exec_lo, exec_lo, s16
	v_lshlrev_b32_e32 v7, 24, v54
	s_delay_alu instid0(VALU_DEP_2) | instskip(NEXT) | instid1(VALU_DEP_3)
	v_lshlrev_b32_e32 v54, 20, v102
	v_lshl_add_u32 v6, v6, 23, 0x3c000000
	s_delay_alu instid0(VALU_DEP_3) | instskip(NEXT) | instid1(VALU_DEP_1)
	v_and_b32_e32 v7, 0x80000000, v7
	v_or3_b32 v102, v54, v7, v6
	s_delay_alu instid0(VALU_DEP_1)
	v_mov_b64_e32 v[6:7], v[102:103]
.LBB224_1092:                           ;   in Loop: Header=BB224_934 Depth=1
	s_or_b32 exec_lo, exec_lo, s9
.LBB224_1093:                           ;   in Loop: Header=BB224_934 Depth=1
	s_delay_alu instid0(SALU_CYCLE_1)
	s_or_b32 exec_lo, exec_lo, s8
.LBB224_1094:                           ;   in Loop: Header=BB224_934 Depth=1
	s_delay_alu instid0(SALU_CYCLE_1) | instskip(NEXT) | instid1(SALU_CYCLE_1)
	s_or_b32 exec_lo, exec_lo, s3
	s_mov_b32 s3, exec_lo
	v_cmpx_lt_u32_e32 0xffffff, v11
	s_cbranch_execz .LBB224_1102
; %bb.1095:                             ;   in Loop: Header=BB224_934 Depth=1
	v_mov_b64_e32 v[52:53], 0x8000000000000000
	v_lshrrev_b32_e32 v54, 24, v11
	s_mov_b32 s8, exec_lo
	s_delay_alu instid0(VALU_DEP_1)
	v_cmpx_ne_u32_e32 0x80, v54
	s_cbranch_execz .LBB224_1101
; %bb.1096:                             ;   in Loop: Header=BB224_934 Depth=1
	v_mov_b64_e32 v[52:53], 0x7f80000100000000
	v_bfe_u32 v55, v11, 24, 7
	s_mov_b32 s9, exec_lo
	s_delay_alu instid0(VALU_DEP_1)
	v_cmpx_ne_u32_e32 0x7f, v55
	s_cbranch_execz .LBB224_1100
; %bb.1097:                             ;   in Loop: Header=BB224_934 Depth=1
	v_dual_lshrrev_b32 v11, 3, v55 :: v_dual_bitop2_b32 v102, 7, v54 bitop3:0x40
	s_mov_b32 s16, exec_lo
	v_cmpx_gt_u32_e32 8, v55
; %bb.1098:                             ;   in Loop: Header=BB224_934 Depth=1
	s_delay_alu instid0(VALU_DEP_2) | instskip(NEXT) | instid1(VALU_DEP_1)
	v_clz_i32_u32_e32 v11, v102
	v_min_u32_e32 v11, 32, v11
	s_delay_alu instid0(VALU_DEP_1) | instskip(NEXT) | instid1(VALU_DEP_1)
	v_subrev_nc_u32_e32 v52, 28, v11
	v_lshlrev_b64_e32 v[52:53], v52, v[102:103]
	s_delay_alu instid0(VALU_DEP_1)
	v_dual_sub_nc_u32 v11, 29, v11 :: v_dual_bitop2_b32 v102, 7, v52 bitop3:0x40
; %bb.1099:                             ;   in Loop: Header=BB224_934 Depth=1
	s_or_b32 exec_lo, exec_lo, s16
	v_lshlrev_b32_e32 v52, 24, v54
	s_delay_alu instid0(VALU_DEP_2) | instskip(NEXT) | instid1(VALU_DEP_3)
	v_lshlrev_b32_e32 v53, 20, v102
	v_lshl_add_u32 v11, v11, 23, 0x3c000000
	s_delay_alu instid0(VALU_DEP_3) | instskip(NEXT) | instid1(VALU_DEP_1)
	v_and_b32_e32 v52, 0x80000000, v52
	v_or3_b32 v53, v53, v52, v11
	v_mov_b32_e32 v52, v103
.LBB224_1100:                           ;   in Loop: Header=BB224_934 Depth=1
	s_or_b32 exec_lo, exec_lo, s9
.LBB224_1101:                           ;   in Loop: Header=BB224_934 Depth=1
	s_delay_alu instid0(SALU_CYCLE_1)
	s_or_b32 exec_lo, exec_lo, s8
.LBB224_1102:                           ;   in Loop: Header=BB224_934 Depth=1
	s_delay_alu instid0(SALU_CYCLE_1) | instskip(SKIP_4) | instid1(VALU_DEP_3)
	s_or_b32 exec_lo, exec_lo, s3
	v_or_b32_e32 v1, v1, v19
	v_or_b32_e32 v0, v0, v18
	;; [unrolled: 1-line block ×4, first 2 shown]
	v_pk_mul_f32 v[0:1], v[22:23], v[0:1]
	scratch_store_b64 off, v[0:1], s32 offset:276 ; 8-byte Folded Spill
	s_wait_xcnt 0x0
	v_pk_mul_f32 v[0:1], v[22:23], v[6:7]
	scratch_store_b64 off, v[0:1], s32 offset:268 ; 8-byte Folded Spill
	s_wait_xcnt 0x0
	s_and_saveexec_b32 s3, vcc_lo
	s_cbranch_execz .LBB224_1104
; %bb.1103:                             ;   in Loop: Header=BB224_934 Depth=1
	s_clause 0x1
	scratch_load_b64 v[0:1], off, s32 offset:200
	scratch_load_b64 v[6:7], off, s32 offset:276 th:TH_LOAD_LU
	s_wait_loadcnt 0x1
	v_cmp_lt_i32_e64 s0, v17, v0
	s_wait_loadcnt 0x0
	s_delay_alu instid0(VALU_DEP_1) | instskip(SKIP_1) | instid1(VALU_DEP_1)
	v_cndmask_b32_e64 v6, 0, v6, s0
	v_cmp_lt_i32_e64 s0, v114, v0
	v_cndmask_b32_e64 v7, 0, v7, s0
	v_cmp_lt_i32_e64 s0, v10, v0
	s_clause 0x1
	scratch_store_b64 off, v[6:7], s32 offset:276
	scratch_load_b64 v[6:7], off, s32 offset:268 th:TH_LOAD_LU
	s_wait_loadcnt 0x0
	v_cndmask_b32_e64 v6, 0, v6, s0
	v_cmp_lt_i32_e64 s0, v115, v0
	s_delay_alu instid0(VALU_DEP_1)
	v_cndmask_b32_e64 v7, 0, v7, s0
	scratch_store_b64 off, v[6:7], s32 offset:268 ; 8-byte Folded Spill
.LBB224_1104:                           ;   in Loop: Header=BB224_934 Depth=1
	s_wait_xcnt 0x0
	s_or_b32 exec_lo, exec_lo, s3
	flat_load_b32 v11, v[68:69] offset:640
	v_mov_b64_e32 v[0:1], 0
	v_mov_b64_e32 v[18:19], 0
	s_mov_b32 s3, exec_lo
	s_wait_loadcnt_dscnt 0x0
	v_and_b32_e32 v6, 0xff, v11
	s_wait_xcnt 0x0
	s_delay_alu instid0(VALU_DEP_1)
	v_cmpx_ne_u16_e32 0, v6
	s_cbranch_execz .LBB224_1112
; %bb.1105:                             ;   in Loop: Header=BB224_934 Depth=1
	v_mov_b64_e32 v[18:19], 0x80000000
	s_mov_b32 s8, exec_lo
	v_cmpx_ne_u16_e32 0x80, v6
	s_cbranch_execz .LBB224_1111
; %bb.1106:                             ;   in Loop: Header=BB224_934 Depth=1
	v_mov_b64_e32 v[18:19], 0x7f800001
	v_and_b32_e32 v7, 0x7f, v11
	s_mov_b32 s9, exec_lo
	s_delay_alu instid0(VALU_DEP_1)
	v_cmpx_ne_u32_e32 0x7f, v7
	s_cbranch_execz .LBB224_1110
; %bb.1107:                             ;   in Loop: Header=BB224_934 Depth=1
	v_and_b32_e32 v102, 7, v11
	v_lshrrev_b32_e32 v6, 3, v7
	s_mov_b32 s16, exec_lo
	v_cmpx_gt_u32_e32 8, v7
; %bb.1108:                             ;   in Loop: Header=BB224_934 Depth=1
	s_delay_alu instid0(VALU_DEP_3) | instskip(NEXT) | instid1(VALU_DEP_1)
	v_clz_i32_u32_e32 v6, v102
	v_min_u32_e32 v6, 32, v6
	s_delay_alu instid0(VALU_DEP_1) | instskip(SKIP_1) | instid1(VALU_DEP_2)
	v_subrev_nc_u32_e32 v7, 28, v6
	v_sub_nc_u32_e32 v6, 29, v6
	v_lshlrev_b64_e32 v[18:19], v7, v[102:103]
	s_delay_alu instid0(VALU_DEP_1)
	v_and_b32_e32 v102, 7, v18
; %bb.1109:                             ;   in Loop: Header=BB224_934 Depth=1
	s_or_b32 exec_lo, exec_lo, s16
	s_delay_alu instid0(VALU_DEP_1) | instskip(SKIP_1) | instid1(VALU_DEP_2)
	v_dual_lshlrev_b32 v7, 24, v11 :: v_dual_lshlrev_b32 v18, 20, v102
	v_lshl_add_u32 v6, v6, 23, 0x3c000000
	v_and_b32_e32 v7, 0x80000000, v7
	s_delay_alu instid0(VALU_DEP_1) | instskip(NEXT) | instid1(VALU_DEP_1)
	v_or3_b32 v102, v18, v7, v6
	v_mov_b64_e32 v[18:19], v[102:103]
.LBB224_1110:                           ;   in Loop: Header=BB224_934 Depth=1
	s_or_b32 exec_lo, exec_lo, s9
.LBB224_1111:                           ;   in Loop: Header=BB224_934 Depth=1
	s_delay_alu instid0(SALU_CYCLE_1)
	s_or_b32 exec_lo, exec_lo, s8
.LBB224_1112:                           ;   in Loop: Header=BB224_934 Depth=1
	s_delay_alu instid0(SALU_CYCLE_1) | instskip(SKIP_2) | instid1(VALU_DEP_1)
	s_or_b32 exec_lo, exec_lo, s3
	v_lshrrev_b16 v6, 8, v11
	s_mov_b32 s3, exec_lo
	v_cmpx_ne_u16_e32 0, v6
	s_cbranch_execz .LBB224_1120
; %bb.1113:                             ;   in Loop: Header=BB224_934 Depth=1
	v_mov_b64_e32 v[0:1], 0x8000000000000000
	s_mov_b32 s8, exec_lo
	v_cmpx_ne_u16_e32 0x80, v6
	s_cbranch_execz .LBB224_1119
; %bb.1114:                             ;   in Loop: Header=BB224_934 Depth=1
	v_and_b32_e32 v7, 0xffff, v6
	v_mov_b64_e32 v[0:1], 0x7f80000100000000
	s_mov_b32 s9, exec_lo
	s_delay_alu instid0(VALU_DEP_2) | instskip(NEXT) | instid1(VALU_DEP_1)
	v_and_b32_e32 v6, 0x7f, v7
	v_cmpx_ne_u32_e32 0x7f, v6
	s_cbranch_execz .LBB224_1118
; %bb.1115:                             ;   in Loop: Header=BB224_934 Depth=1
	v_dual_lshrrev_b32 v0, 3, v6 :: v_dual_bitop2_b32 v102, 7, v7 bitop3:0x40
	s_mov_b32 s16, exec_lo
	v_cmpx_gt_u32_e32 8, v6
; %bb.1116:                             ;   in Loop: Header=BB224_934 Depth=1
	s_delay_alu instid0(VALU_DEP_2) | instskip(NEXT) | instid1(VALU_DEP_1)
	v_clz_i32_u32_e32 v0, v102
	v_min_u32_e32 v0, 32, v0
	s_delay_alu instid0(VALU_DEP_1) | instskip(NEXT) | instid1(VALU_DEP_1)
	v_subrev_nc_u32_e32 v1, 28, v0
	v_lshlrev_b64_e32 v[6:7], v1, v[102:103]
	s_delay_alu instid0(VALU_DEP_1)
	v_dual_sub_nc_u32 v0, 29, v0 :: v_dual_bitop2_b32 v102, 7, v6 bitop3:0x40
; %bb.1117:                             ;   in Loop: Header=BB224_934 Depth=1
	s_or_b32 exec_lo, exec_lo, s16
	s_delay_alu instid0(VALU_DEP_1) | instskip(NEXT) | instid1(VALU_DEP_2)
	v_dual_lshlrev_b32 v1, 16, v11 :: v_dual_lshlrev_b32 v6, 20, v102
	v_lshl_add_u32 v0, v0, 23, 0x3c000000
	s_delay_alu instid0(VALU_DEP_2) | instskip(NEXT) | instid1(VALU_DEP_1)
	v_and_b32_e32 v1, 0x80000000, v1
	v_or3_b32 v1, v6, v1, v0
	v_mov_b32_e32 v0, v103
.LBB224_1118:                           ;   in Loop: Header=BB224_934 Depth=1
	s_or_b32 exec_lo, exec_lo, s9
.LBB224_1119:                           ;   in Loop: Header=BB224_934 Depth=1
	s_delay_alu instid0(SALU_CYCLE_1)
	s_or_b32 exec_lo, exec_lo, s8
.LBB224_1120:                           ;   in Loop: Header=BB224_934 Depth=1
	s_delay_alu instid0(SALU_CYCLE_1) | instskip(SKIP_4) | instid1(VALU_DEP_3)
	s_or_b32 exec_lo, exec_lo, s3
	v_lshrrev_b32_e32 v54, 16, v11
	v_mov_b64_e32 v[52:53], 0
	v_mov_b64_e32 v[6:7], 0
	s_mov_b32 s3, exec_lo
	v_and_b32_e32 v55, 0xff, v54
	s_delay_alu instid0(VALU_DEP_1)
	v_cmpx_ne_u16_e32 0, v55
	s_cbranch_execz .LBB224_1128
; %bb.1121:                             ;   in Loop: Header=BB224_934 Depth=1
	v_mov_b64_e32 v[6:7], 0x80000000
	s_mov_b32 s8, exec_lo
	v_cmpx_ne_u16_e32 0x80, v55
	s_cbranch_execz .LBB224_1127
; %bb.1122:                             ;   in Loop: Header=BB224_934 Depth=1
	v_mov_b64_e32 v[6:7], 0x7f800001
	v_bfe_u32 v55, v11, 16, 7
	s_mov_b32 s9, exec_lo
	s_delay_alu instid0(VALU_DEP_1)
	v_cmpx_ne_u32_e32 0x7f, v55
	s_cbranch_execz .LBB224_1126
; %bb.1123:                             ;   in Loop: Header=BB224_934 Depth=1
	v_dual_lshrrev_b32 v6, 3, v55 :: v_dual_bitop2_b32 v102, 7, v54 bitop3:0x40
	s_mov_b32 s16, exec_lo
	v_cmpx_gt_u32_e32 8, v55
; %bb.1124:                             ;   in Loop: Header=BB224_934 Depth=1
	s_delay_alu instid0(VALU_DEP_2) | instskip(NEXT) | instid1(VALU_DEP_1)
	v_clz_i32_u32_e32 v6, v102
	v_min_u32_e32 v6, 32, v6
	s_delay_alu instid0(VALU_DEP_1) | instskip(NEXT) | instid1(VALU_DEP_1)
	v_subrev_nc_u32_e32 v7, 28, v6
	v_lshlrev_b64_e32 v[64:65], v7, v[102:103]
	s_delay_alu instid0(VALU_DEP_1)
	v_dual_sub_nc_u32 v6, 29, v6 :: v_dual_bitop2_b32 v102, 7, v64 bitop3:0x40
; %bb.1125:                             ;   in Loop: Header=BB224_934 Depth=1
	s_or_b32 exec_lo, exec_lo, s16
	v_lshlrev_b32_e32 v7, 24, v54
	s_delay_alu instid0(VALU_DEP_2) | instskip(NEXT) | instid1(VALU_DEP_3)
	v_lshlrev_b32_e32 v54, 20, v102
	v_lshl_add_u32 v6, v6, 23, 0x3c000000
	s_delay_alu instid0(VALU_DEP_3) | instskip(NEXT) | instid1(VALU_DEP_1)
	v_and_b32_e32 v7, 0x80000000, v7
	v_or3_b32 v102, v54, v7, v6
	s_delay_alu instid0(VALU_DEP_1)
	v_mov_b64_e32 v[6:7], v[102:103]
.LBB224_1126:                           ;   in Loop: Header=BB224_934 Depth=1
	s_or_b32 exec_lo, exec_lo, s9
.LBB224_1127:                           ;   in Loop: Header=BB224_934 Depth=1
	s_delay_alu instid0(SALU_CYCLE_1)
	s_or_b32 exec_lo, exec_lo, s8
.LBB224_1128:                           ;   in Loop: Header=BB224_934 Depth=1
	s_delay_alu instid0(SALU_CYCLE_1) | instskip(NEXT) | instid1(SALU_CYCLE_1)
	s_or_b32 exec_lo, exec_lo, s3
	s_mov_b32 s3, exec_lo
	v_cmpx_lt_u32_e32 0xffffff, v11
	s_cbranch_execz .LBB224_1136
; %bb.1129:                             ;   in Loop: Header=BB224_934 Depth=1
	v_mov_b64_e32 v[52:53], 0x8000000000000000
	v_lshrrev_b32_e32 v54, 24, v11
	s_mov_b32 s8, exec_lo
	s_delay_alu instid0(VALU_DEP_1)
	v_cmpx_ne_u32_e32 0x80, v54
	s_cbranch_execz .LBB224_1135
; %bb.1130:                             ;   in Loop: Header=BB224_934 Depth=1
	v_mov_b64_e32 v[52:53], 0x7f80000100000000
	v_bfe_u32 v55, v11, 24, 7
	s_mov_b32 s9, exec_lo
	s_delay_alu instid0(VALU_DEP_1)
	v_cmpx_ne_u32_e32 0x7f, v55
	s_cbranch_execz .LBB224_1134
; %bb.1131:                             ;   in Loop: Header=BB224_934 Depth=1
	v_dual_lshrrev_b32 v11, 3, v55 :: v_dual_bitop2_b32 v102, 7, v54 bitop3:0x40
	s_mov_b32 s16, exec_lo
	v_cmpx_gt_u32_e32 8, v55
; %bb.1132:                             ;   in Loop: Header=BB224_934 Depth=1
	s_delay_alu instid0(VALU_DEP_2) | instskip(NEXT) | instid1(VALU_DEP_1)
	v_clz_i32_u32_e32 v11, v102
	v_min_u32_e32 v11, 32, v11
	s_delay_alu instid0(VALU_DEP_1) | instskip(NEXT) | instid1(VALU_DEP_1)
	v_subrev_nc_u32_e32 v52, 28, v11
	v_lshlrev_b64_e32 v[52:53], v52, v[102:103]
	s_delay_alu instid0(VALU_DEP_1)
	v_dual_sub_nc_u32 v11, 29, v11 :: v_dual_bitop2_b32 v102, 7, v52 bitop3:0x40
; %bb.1133:                             ;   in Loop: Header=BB224_934 Depth=1
	s_or_b32 exec_lo, exec_lo, s16
	v_lshlrev_b32_e32 v52, 24, v54
	s_delay_alu instid0(VALU_DEP_2) | instskip(NEXT) | instid1(VALU_DEP_3)
	v_lshlrev_b32_e32 v53, 20, v102
	v_lshl_add_u32 v11, v11, 23, 0x3c000000
	s_delay_alu instid0(VALU_DEP_3) | instskip(NEXT) | instid1(VALU_DEP_1)
	v_and_b32_e32 v52, 0x80000000, v52
	v_or3_b32 v53, v53, v52, v11
	v_mov_b32_e32 v52, v103
.LBB224_1134:                           ;   in Loop: Header=BB224_934 Depth=1
	s_or_b32 exec_lo, exec_lo, s9
.LBB224_1135:                           ;   in Loop: Header=BB224_934 Depth=1
	s_delay_alu instid0(SALU_CYCLE_1)
	s_or_b32 exec_lo, exec_lo, s8
.LBB224_1136:                           ;   in Loop: Header=BB224_934 Depth=1
	s_delay_alu instid0(SALU_CYCLE_1) | instskip(SKIP_4) | instid1(VALU_DEP_3)
	s_or_b32 exec_lo, exec_lo, s3
	v_or_b32_e32 v1, v1, v19
	v_or_b32_e32 v0, v0, v18
	;; [unrolled: 1-line block ×4, first 2 shown]
	v_pk_mul_f32 v[0:1], v[22:23], v[0:1]
	scratch_store_b64 off, v[0:1], s32 offset:292 ; 8-byte Folded Spill
	s_wait_xcnt 0x0
	v_pk_mul_f32 v[0:1], v[22:23], v[6:7]
	scratch_store_b64 off, v[0:1], s32 offset:284 ; 8-byte Folded Spill
	s_wait_xcnt 0x0
	s_and_saveexec_b32 s3, vcc_lo
	s_cbranch_execz .LBB224_1138
; %bb.1137:                             ;   in Loop: Header=BB224_934 Depth=1
	s_clause 0x1
	scratch_load_b64 v[0:1], off, s32 offset:200
	scratch_load_b64 v[6:7], off, s32 offset:292 th:TH_LOAD_LU
	s_wait_loadcnt 0x1
	v_cmp_lt_i32_e64 s0, v17, v0
	s_wait_loadcnt 0x0
	s_delay_alu instid0(VALU_DEP_1) | instskip(SKIP_1) | instid1(VALU_DEP_1)
	v_cndmask_b32_e64 v6, 0, v6, s0
	v_cmp_lt_i32_e64 s0, v114, v0
	v_cndmask_b32_e64 v7, 0, v7, s0
	v_cmp_lt_i32_e64 s0, v10, v0
	s_clause 0x1
	scratch_store_b64 off, v[6:7], s32 offset:292
	scratch_load_b64 v[6:7], off, s32 offset:284 th:TH_LOAD_LU
	s_wait_loadcnt 0x0
	v_cndmask_b32_e64 v6, 0, v6, s0
	v_cmp_lt_i32_e64 s0, v115, v0
	s_delay_alu instid0(VALU_DEP_1)
	v_cndmask_b32_e64 v7, 0, v7, s0
	scratch_store_b64 off, v[6:7], s32 offset:284 ; 8-byte Folded Spill
.LBB224_1138:                           ;   in Loop: Header=BB224_934 Depth=1
	s_wait_xcnt 0x0
	s_or_b32 exec_lo, exec_lo, s3
	flat_load_b32 v11, v[68:69] offset:768
	v_mov_b64_e32 v[0:1], 0
	v_mov_b64_e32 v[18:19], 0
	s_mov_b32 s3, exec_lo
	s_wait_loadcnt_dscnt 0x0
	v_and_b32_e32 v6, 0xff, v11
	s_wait_xcnt 0x0
	s_delay_alu instid0(VALU_DEP_1)
	v_cmpx_ne_u16_e32 0, v6
	s_cbranch_execz .LBB224_1146
; %bb.1139:                             ;   in Loop: Header=BB224_934 Depth=1
	v_mov_b64_e32 v[18:19], 0x80000000
	s_mov_b32 s8, exec_lo
	v_cmpx_ne_u16_e32 0x80, v6
	s_cbranch_execz .LBB224_1145
; %bb.1140:                             ;   in Loop: Header=BB224_934 Depth=1
	v_mov_b64_e32 v[18:19], 0x7f800001
	v_and_b32_e32 v7, 0x7f, v11
	s_mov_b32 s9, exec_lo
	s_delay_alu instid0(VALU_DEP_1)
	v_cmpx_ne_u32_e32 0x7f, v7
	s_cbranch_execz .LBB224_1144
; %bb.1141:                             ;   in Loop: Header=BB224_934 Depth=1
	v_and_b32_e32 v102, 7, v11
	v_lshrrev_b32_e32 v6, 3, v7
	s_mov_b32 s16, exec_lo
	v_cmpx_gt_u32_e32 8, v7
; %bb.1142:                             ;   in Loop: Header=BB224_934 Depth=1
	s_delay_alu instid0(VALU_DEP_3) | instskip(NEXT) | instid1(VALU_DEP_1)
	v_clz_i32_u32_e32 v6, v102
	v_min_u32_e32 v6, 32, v6
	s_delay_alu instid0(VALU_DEP_1) | instskip(SKIP_1) | instid1(VALU_DEP_2)
	v_subrev_nc_u32_e32 v7, 28, v6
	v_sub_nc_u32_e32 v6, 29, v6
	v_lshlrev_b64_e32 v[18:19], v7, v[102:103]
	s_delay_alu instid0(VALU_DEP_1)
	v_and_b32_e32 v102, 7, v18
; %bb.1143:                             ;   in Loop: Header=BB224_934 Depth=1
	s_or_b32 exec_lo, exec_lo, s16
	s_delay_alu instid0(VALU_DEP_1) | instskip(SKIP_1) | instid1(VALU_DEP_2)
	v_dual_lshlrev_b32 v7, 24, v11 :: v_dual_lshlrev_b32 v18, 20, v102
	v_lshl_add_u32 v6, v6, 23, 0x3c000000
	v_and_b32_e32 v7, 0x80000000, v7
	s_delay_alu instid0(VALU_DEP_1) | instskip(NEXT) | instid1(VALU_DEP_1)
	v_or3_b32 v102, v18, v7, v6
	v_mov_b64_e32 v[18:19], v[102:103]
.LBB224_1144:                           ;   in Loop: Header=BB224_934 Depth=1
	s_or_b32 exec_lo, exec_lo, s9
.LBB224_1145:                           ;   in Loop: Header=BB224_934 Depth=1
	s_delay_alu instid0(SALU_CYCLE_1)
	s_or_b32 exec_lo, exec_lo, s8
.LBB224_1146:                           ;   in Loop: Header=BB224_934 Depth=1
	s_delay_alu instid0(SALU_CYCLE_1) | instskip(SKIP_2) | instid1(VALU_DEP_1)
	s_or_b32 exec_lo, exec_lo, s3
	v_lshrrev_b16 v6, 8, v11
	s_mov_b32 s3, exec_lo
	v_cmpx_ne_u16_e32 0, v6
	s_cbranch_execz .LBB224_1154
; %bb.1147:                             ;   in Loop: Header=BB224_934 Depth=1
	v_mov_b64_e32 v[0:1], 0x8000000000000000
	s_mov_b32 s8, exec_lo
	v_cmpx_ne_u16_e32 0x80, v6
	s_cbranch_execz .LBB224_1153
; %bb.1148:                             ;   in Loop: Header=BB224_934 Depth=1
	v_and_b32_e32 v7, 0xffff, v6
	v_mov_b64_e32 v[0:1], 0x7f80000100000000
	s_mov_b32 s9, exec_lo
	s_delay_alu instid0(VALU_DEP_2) | instskip(NEXT) | instid1(VALU_DEP_1)
	v_and_b32_e32 v6, 0x7f, v7
	v_cmpx_ne_u32_e32 0x7f, v6
	s_cbranch_execz .LBB224_1152
; %bb.1149:                             ;   in Loop: Header=BB224_934 Depth=1
	v_dual_lshrrev_b32 v0, 3, v6 :: v_dual_bitop2_b32 v102, 7, v7 bitop3:0x40
	s_mov_b32 s16, exec_lo
	v_cmpx_gt_u32_e32 8, v6
; %bb.1150:                             ;   in Loop: Header=BB224_934 Depth=1
	s_delay_alu instid0(VALU_DEP_2) | instskip(NEXT) | instid1(VALU_DEP_1)
	v_clz_i32_u32_e32 v0, v102
	v_min_u32_e32 v0, 32, v0
	s_delay_alu instid0(VALU_DEP_1) | instskip(NEXT) | instid1(VALU_DEP_1)
	v_subrev_nc_u32_e32 v1, 28, v0
	v_lshlrev_b64_e32 v[6:7], v1, v[102:103]
	s_delay_alu instid0(VALU_DEP_1)
	v_dual_sub_nc_u32 v0, 29, v0 :: v_dual_bitop2_b32 v102, 7, v6 bitop3:0x40
; %bb.1151:                             ;   in Loop: Header=BB224_934 Depth=1
	s_or_b32 exec_lo, exec_lo, s16
	s_delay_alu instid0(VALU_DEP_1) | instskip(NEXT) | instid1(VALU_DEP_2)
	v_dual_lshlrev_b32 v1, 16, v11 :: v_dual_lshlrev_b32 v6, 20, v102
	v_lshl_add_u32 v0, v0, 23, 0x3c000000
	s_delay_alu instid0(VALU_DEP_2) | instskip(NEXT) | instid1(VALU_DEP_1)
	v_and_b32_e32 v1, 0x80000000, v1
	v_or3_b32 v1, v6, v1, v0
	v_mov_b32_e32 v0, v103
.LBB224_1152:                           ;   in Loop: Header=BB224_934 Depth=1
	s_or_b32 exec_lo, exec_lo, s9
.LBB224_1153:                           ;   in Loop: Header=BB224_934 Depth=1
	s_delay_alu instid0(SALU_CYCLE_1)
	s_or_b32 exec_lo, exec_lo, s8
.LBB224_1154:                           ;   in Loop: Header=BB224_934 Depth=1
	s_delay_alu instid0(SALU_CYCLE_1) | instskip(SKIP_4) | instid1(VALU_DEP_3)
	s_or_b32 exec_lo, exec_lo, s3
	v_lshrrev_b32_e32 v54, 16, v11
	v_mov_b64_e32 v[52:53], 0
	v_mov_b64_e32 v[6:7], 0
	s_mov_b32 s3, exec_lo
	v_and_b32_e32 v55, 0xff, v54
	s_delay_alu instid0(VALU_DEP_1)
	v_cmpx_ne_u16_e32 0, v55
	s_cbranch_execz .LBB224_1162
; %bb.1155:                             ;   in Loop: Header=BB224_934 Depth=1
	v_mov_b64_e32 v[6:7], 0x80000000
	s_mov_b32 s8, exec_lo
	v_cmpx_ne_u16_e32 0x80, v55
	s_cbranch_execz .LBB224_1161
; %bb.1156:                             ;   in Loop: Header=BB224_934 Depth=1
	v_mov_b64_e32 v[6:7], 0x7f800001
	v_bfe_u32 v55, v11, 16, 7
	s_mov_b32 s9, exec_lo
	s_delay_alu instid0(VALU_DEP_1)
	v_cmpx_ne_u32_e32 0x7f, v55
	s_cbranch_execz .LBB224_1160
; %bb.1157:                             ;   in Loop: Header=BB224_934 Depth=1
	v_dual_lshrrev_b32 v6, 3, v55 :: v_dual_bitop2_b32 v102, 7, v54 bitop3:0x40
	s_mov_b32 s16, exec_lo
	v_cmpx_gt_u32_e32 8, v55
; %bb.1158:                             ;   in Loop: Header=BB224_934 Depth=1
	s_delay_alu instid0(VALU_DEP_2) | instskip(NEXT) | instid1(VALU_DEP_1)
	v_clz_i32_u32_e32 v6, v102
	v_min_u32_e32 v6, 32, v6
	s_delay_alu instid0(VALU_DEP_1) | instskip(NEXT) | instid1(VALU_DEP_1)
	v_subrev_nc_u32_e32 v7, 28, v6
	v_lshlrev_b64_e32 v[64:65], v7, v[102:103]
	s_delay_alu instid0(VALU_DEP_1)
	v_dual_sub_nc_u32 v6, 29, v6 :: v_dual_bitop2_b32 v102, 7, v64 bitop3:0x40
; %bb.1159:                             ;   in Loop: Header=BB224_934 Depth=1
	s_or_b32 exec_lo, exec_lo, s16
	v_lshlrev_b32_e32 v7, 24, v54
	s_delay_alu instid0(VALU_DEP_2) | instskip(NEXT) | instid1(VALU_DEP_3)
	v_lshlrev_b32_e32 v54, 20, v102
	v_lshl_add_u32 v6, v6, 23, 0x3c000000
	s_delay_alu instid0(VALU_DEP_3) | instskip(NEXT) | instid1(VALU_DEP_1)
	v_and_b32_e32 v7, 0x80000000, v7
	v_or3_b32 v102, v54, v7, v6
	s_delay_alu instid0(VALU_DEP_1)
	v_mov_b64_e32 v[6:7], v[102:103]
.LBB224_1160:                           ;   in Loop: Header=BB224_934 Depth=1
	s_or_b32 exec_lo, exec_lo, s9
.LBB224_1161:                           ;   in Loop: Header=BB224_934 Depth=1
	s_delay_alu instid0(SALU_CYCLE_1)
	s_or_b32 exec_lo, exec_lo, s8
.LBB224_1162:                           ;   in Loop: Header=BB224_934 Depth=1
	s_delay_alu instid0(SALU_CYCLE_1) | instskip(NEXT) | instid1(SALU_CYCLE_1)
	s_or_b32 exec_lo, exec_lo, s3
	s_mov_b32 s3, exec_lo
	v_cmpx_lt_u32_e32 0xffffff, v11
	s_cbranch_execz .LBB224_1170
; %bb.1163:                             ;   in Loop: Header=BB224_934 Depth=1
	v_mov_b64_e32 v[52:53], 0x8000000000000000
	v_lshrrev_b32_e32 v54, 24, v11
	s_mov_b32 s8, exec_lo
	s_delay_alu instid0(VALU_DEP_1)
	v_cmpx_ne_u32_e32 0x80, v54
	s_cbranch_execz .LBB224_1169
; %bb.1164:                             ;   in Loop: Header=BB224_934 Depth=1
	v_mov_b64_e32 v[52:53], 0x7f80000100000000
	v_bfe_u32 v55, v11, 24, 7
	s_mov_b32 s9, exec_lo
	s_delay_alu instid0(VALU_DEP_1)
	v_cmpx_ne_u32_e32 0x7f, v55
	s_cbranch_execz .LBB224_1168
; %bb.1165:                             ;   in Loop: Header=BB224_934 Depth=1
	v_dual_lshrrev_b32 v11, 3, v55 :: v_dual_bitop2_b32 v102, 7, v54 bitop3:0x40
	s_mov_b32 s16, exec_lo
	v_cmpx_gt_u32_e32 8, v55
; %bb.1166:                             ;   in Loop: Header=BB224_934 Depth=1
	s_delay_alu instid0(VALU_DEP_2) | instskip(NEXT) | instid1(VALU_DEP_1)
	v_clz_i32_u32_e32 v11, v102
	v_min_u32_e32 v11, 32, v11
	s_delay_alu instid0(VALU_DEP_1) | instskip(NEXT) | instid1(VALU_DEP_1)
	v_subrev_nc_u32_e32 v52, 28, v11
	v_lshlrev_b64_e32 v[52:53], v52, v[102:103]
	s_delay_alu instid0(VALU_DEP_1)
	v_dual_sub_nc_u32 v11, 29, v11 :: v_dual_bitop2_b32 v102, 7, v52 bitop3:0x40
; %bb.1167:                             ;   in Loop: Header=BB224_934 Depth=1
	s_or_b32 exec_lo, exec_lo, s16
	v_lshlrev_b32_e32 v52, 24, v54
	s_delay_alu instid0(VALU_DEP_2) | instskip(NEXT) | instid1(VALU_DEP_3)
	v_lshlrev_b32_e32 v53, 20, v102
	v_lshl_add_u32 v11, v11, 23, 0x3c000000
	s_delay_alu instid0(VALU_DEP_3) | instskip(NEXT) | instid1(VALU_DEP_1)
	v_and_b32_e32 v52, 0x80000000, v52
	v_or3_b32 v53, v53, v52, v11
	v_mov_b32_e32 v52, v103
.LBB224_1168:                           ;   in Loop: Header=BB224_934 Depth=1
	s_or_b32 exec_lo, exec_lo, s9
.LBB224_1169:                           ;   in Loop: Header=BB224_934 Depth=1
	s_delay_alu instid0(SALU_CYCLE_1)
	s_or_b32 exec_lo, exec_lo, s8
.LBB224_1170:                           ;   in Loop: Header=BB224_934 Depth=1
	s_delay_alu instid0(SALU_CYCLE_1) | instskip(SKIP_4) | instid1(VALU_DEP_3)
	s_or_b32 exec_lo, exec_lo, s3
	v_or_b32_e32 v1, v1, v19
	v_or_b32_e32 v0, v0, v18
	;; [unrolled: 1-line block ×4, first 2 shown]
	v_pk_mul_f32 v[0:1], v[22:23], v[0:1]
	scratch_store_b64 off, v[0:1], s32 offset:308 ; 8-byte Folded Spill
	s_wait_xcnt 0x0
	v_pk_mul_f32 v[0:1], v[22:23], v[6:7]
	scratch_store_b64 off, v[0:1], s32 offset:300 ; 8-byte Folded Spill
	s_wait_xcnt 0x0
	s_and_saveexec_b32 s3, vcc_lo
	s_cbranch_execz .LBB224_1172
; %bb.1171:                             ;   in Loop: Header=BB224_934 Depth=1
	s_clause 0x1
	scratch_load_b64 v[0:1], off, s32 offset:200
	scratch_load_b64 v[6:7], off, s32 offset:308 th:TH_LOAD_LU
	s_wait_loadcnt 0x1
	v_cmp_lt_i32_e64 s0, v17, v0
	s_wait_loadcnt 0x0
	s_delay_alu instid0(VALU_DEP_1) | instskip(SKIP_1) | instid1(VALU_DEP_1)
	v_cndmask_b32_e64 v6, 0, v6, s0
	v_cmp_lt_i32_e64 s0, v114, v0
	v_cndmask_b32_e64 v7, 0, v7, s0
	v_cmp_lt_i32_e64 s0, v10, v0
	s_clause 0x1
	scratch_store_b64 off, v[6:7], s32 offset:308
	scratch_load_b64 v[6:7], off, s32 offset:300 th:TH_LOAD_LU
	s_wait_loadcnt 0x0
	v_cndmask_b32_e64 v6, 0, v6, s0
	v_cmp_lt_i32_e64 s0, v115, v0
	s_delay_alu instid0(VALU_DEP_1)
	v_cndmask_b32_e64 v7, 0, v7, s0
	scratch_store_b64 off, v[6:7], s32 offset:300 ; 8-byte Folded Spill
.LBB224_1172:                           ;   in Loop: Header=BB224_934 Depth=1
	s_wait_xcnt 0x0
	s_or_b32 exec_lo, exec_lo, s3
	flat_load_b32 v11, v[68:69] offset:896
	v_mov_b64_e32 v[0:1], 0
	v_mov_b64_e32 v[18:19], 0
	s_mov_b32 s3, exec_lo
	s_wait_loadcnt_dscnt 0x0
	v_and_b32_e32 v6, 0xff, v11
	s_wait_xcnt 0x0
	s_delay_alu instid0(VALU_DEP_1)
	v_cmpx_ne_u16_e32 0, v6
	s_cbranch_execz .LBB224_1180
; %bb.1173:                             ;   in Loop: Header=BB224_934 Depth=1
	v_mov_b64_e32 v[18:19], 0x80000000
	s_mov_b32 s8, exec_lo
	v_cmpx_ne_u16_e32 0x80, v6
	s_cbranch_execz .LBB224_1179
; %bb.1174:                             ;   in Loop: Header=BB224_934 Depth=1
	v_mov_b64_e32 v[18:19], 0x7f800001
	v_and_b32_e32 v7, 0x7f, v11
	s_mov_b32 s9, exec_lo
	s_delay_alu instid0(VALU_DEP_1)
	v_cmpx_ne_u32_e32 0x7f, v7
	s_cbranch_execz .LBB224_1178
; %bb.1175:                             ;   in Loop: Header=BB224_934 Depth=1
	v_and_b32_e32 v102, 7, v11
	v_lshrrev_b32_e32 v6, 3, v7
	s_mov_b32 s16, exec_lo
	v_cmpx_gt_u32_e32 8, v7
; %bb.1176:                             ;   in Loop: Header=BB224_934 Depth=1
	s_delay_alu instid0(VALU_DEP_3) | instskip(NEXT) | instid1(VALU_DEP_1)
	v_clz_i32_u32_e32 v6, v102
	v_min_u32_e32 v6, 32, v6
	s_delay_alu instid0(VALU_DEP_1) | instskip(SKIP_1) | instid1(VALU_DEP_2)
	v_subrev_nc_u32_e32 v7, 28, v6
	v_sub_nc_u32_e32 v6, 29, v6
	v_lshlrev_b64_e32 v[18:19], v7, v[102:103]
	s_delay_alu instid0(VALU_DEP_1)
	v_and_b32_e32 v102, 7, v18
; %bb.1177:                             ;   in Loop: Header=BB224_934 Depth=1
	s_or_b32 exec_lo, exec_lo, s16
	s_delay_alu instid0(VALU_DEP_1) | instskip(SKIP_1) | instid1(VALU_DEP_2)
	v_dual_lshlrev_b32 v7, 24, v11 :: v_dual_lshlrev_b32 v18, 20, v102
	v_lshl_add_u32 v6, v6, 23, 0x3c000000
	v_and_b32_e32 v7, 0x80000000, v7
	s_delay_alu instid0(VALU_DEP_1) | instskip(NEXT) | instid1(VALU_DEP_1)
	v_or3_b32 v102, v18, v7, v6
	v_mov_b64_e32 v[18:19], v[102:103]
.LBB224_1178:                           ;   in Loop: Header=BB224_934 Depth=1
	s_or_b32 exec_lo, exec_lo, s9
.LBB224_1179:                           ;   in Loop: Header=BB224_934 Depth=1
	s_delay_alu instid0(SALU_CYCLE_1)
	s_or_b32 exec_lo, exec_lo, s8
.LBB224_1180:                           ;   in Loop: Header=BB224_934 Depth=1
	s_delay_alu instid0(SALU_CYCLE_1) | instskip(SKIP_2) | instid1(VALU_DEP_1)
	s_or_b32 exec_lo, exec_lo, s3
	v_lshrrev_b16 v6, 8, v11
	s_mov_b32 s3, exec_lo
	v_cmpx_ne_u16_e32 0, v6
	s_cbranch_execz .LBB224_1188
; %bb.1181:                             ;   in Loop: Header=BB224_934 Depth=1
	v_mov_b64_e32 v[0:1], 0x8000000000000000
	s_mov_b32 s8, exec_lo
	v_cmpx_ne_u16_e32 0x80, v6
	s_cbranch_execz .LBB224_1187
; %bb.1182:                             ;   in Loop: Header=BB224_934 Depth=1
	v_and_b32_e32 v7, 0xffff, v6
	v_mov_b64_e32 v[0:1], 0x7f80000100000000
	s_mov_b32 s9, exec_lo
	s_delay_alu instid0(VALU_DEP_2) | instskip(NEXT) | instid1(VALU_DEP_1)
	v_and_b32_e32 v6, 0x7f, v7
	v_cmpx_ne_u32_e32 0x7f, v6
	s_cbranch_execz .LBB224_1186
; %bb.1183:                             ;   in Loop: Header=BB224_934 Depth=1
	v_dual_lshrrev_b32 v0, 3, v6 :: v_dual_bitop2_b32 v102, 7, v7 bitop3:0x40
	s_mov_b32 s16, exec_lo
	v_cmpx_gt_u32_e32 8, v6
; %bb.1184:                             ;   in Loop: Header=BB224_934 Depth=1
	s_delay_alu instid0(VALU_DEP_2) | instskip(NEXT) | instid1(VALU_DEP_1)
	v_clz_i32_u32_e32 v0, v102
	v_min_u32_e32 v0, 32, v0
	s_delay_alu instid0(VALU_DEP_1) | instskip(NEXT) | instid1(VALU_DEP_1)
	v_subrev_nc_u32_e32 v1, 28, v0
	v_lshlrev_b64_e32 v[6:7], v1, v[102:103]
	s_delay_alu instid0(VALU_DEP_1)
	v_dual_sub_nc_u32 v0, 29, v0 :: v_dual_bitop2_b32 v102, 7, v6 bitop3:0x40
; %bb.1185:                             ;   in Loop: Header=BB224_934 Depth=1
	s_or_b32 exec_lo, exec_lo, s16
	s_delay_alu instid0(VALU_DEP_1) | instskip(NEXT) | instid1(VALU_DEP_2)
	v_dual_lshlrev_b32 v1, 16, v11 :: v_dual_lshlrev_b32 v6, 20, v102
	v_lshl_add_u32 v0, v0, 23, 0x3c000000
	s_delay_alu instid0(VALU_DEP_2) | instskip(NEXT) | instid1(VALU_DEP_1)
	v_and_b32_e32 v1, 0x80000000, v1
	v_or3_b32 v1, v6, v1, v0
	v_mov_b32_e32 v0, v103
.LBB224_1186:                           ;   in Loop: Header=BB224_934 Depth=1
	s_or_b32 exec_lo, exec_lo, s9
.LBB224_1187:                           ;   in Loop: Header=BB224_934 Depth=1
	s_delay_alu instid0(SALU_CYCLE_1)
	s_or_b32 exec_lo, exec_lo, s8
.LBB224_1188:                           ;   in Loop: Header=BB224_934 Depth=1
	s_delay_alu instid0(SALU_CYCLE_1) | instskip(SKIP_4) | instid1(VALU_DEP_3)
	s_or_b32 exec_lo, exec_lo, s3
	v_lshrrev_b32_e32 v54, 16, v11
	v_mov_b64_e32 v[52:53], 0
	v_mov_b64_e32 v[6:7], 0
	s_mov_b32 s3, exec_lo
	v_and_b32_e32 v55, 0xff, v54
	s_delay_alu instid0(VALU_DEP_1)
	v_cmpx_ne_u16_e32 0, v55
	s_cbranch_execz .LBB224_1196
; %bb.1189:                             ;   in Loop: Header=BB224_934 Depth=1
	v_mov_b64_e32 v[6:7], 0x80000000
	s_mov_b32 s8, exec_lo
	v_cmpx_ne_u16_e32 0x80, v55
	s_cbranch_execz .LBB224_1195
; %bb.1190:                             ;   in Loop: Header=BB224_934 Depth=1
	v_mov_b64_e32 v[6:7], 0x7f800001
	v_bfe_u32 v55, v11, 16, 7
	s_mov_b32 s9, exec_lo
	s_delay_alu instid0(VALU_DEP_1)
	v_cmpx_ne_u32_e32 0x7f, v55
	s_cbranch_execz .LBB224_1194
; %bb.1191:                             ;   in Loop: Header=BB224_934 Depth=1
	v_dual_lshrrev_b32 v6, 3, v55 :: v_dual_bitop2_b32 v102, 7, v54 bitop3:0x40
	s_mov_b32 s16, exec_lo
	v_cmpx_gt_u32_e32 8, v55
; %bb.1192:                             ;   in Loop: Header=BB224_934 Depth=1
	s_delay_alu instid0(VALU_DEP_2) | instskip(NEXT) | instid1(VALU_DEP_1)
	v_clz_i32_u32_e32 v6, v102
	v_min_u32_e32 v6, 32, v6
	s_delay_alu instid0(VALU_DEP_1) | instskip(NEXT) | instid1(VALU_DEP_1)
	v_subrev_nc_u32_e32 v7, 28, v6
	v_lshlrev_b64_e32 v[64:65], v7, v[102:103]
	s_delay_alu instid0(VALU_DEP_1)
	v_dual_sub_nc_u32 v6, 29, v6 :: v_dual_bitop2_b32 v102, 7, v64 bitop3:0x40
; %bb.1193:                             ;   in Loop: Header=BB224_934 Depth=1
	s_or_b32 exec_lo, exec_lo, s16
	v_lshlrev_b32_e32 v7, 24, v54
	s_delay_alu instid0(VALU_DEP_2) | instskip(NEXT) | instid1(VALU_DEP_3)
	v_lshlrev_b32_e32 v54, 20, v102
	v_lshl_add_u32 v6, v6, 23, 0x3c000000
	s_delay_alu instid0(VALU_DEP_3) | instskip(NEXT) | instid1(VALU_DEP_1)
	v_and_b32_e32 v7, 0x80000000, v7
	v_or3_b32 v102, v54, v7, v6
	s_delay_alu instid0(VALU_DEP_1)
	v_mov_b64_e32 v[6:7], v[102:103]
.LBB224_1194:                           ;   in Loop: Header=BB224_934 Depth=1
	s_or_b32 exec_lo, exec_lo, s9
.LBB224_1195:                           ;   in Loop: Header=BB224_934 Depth=1
	s_delay_alu instid0(SALU_CYCLE_1)
	s_or_b32 exec_lo, exec_lo, s8
.LBB224_1196:                           ;   in Loop: Header=BB224_934 Depth=1
	s_delay_alu instid0(SALU_CYCLE_1) | instskip(NEXT) | instid1(SALU_CYCLE_1)
	s_or_b32 exec_lo, exec_lo, s3
	s_mov_b32 s3, exec_lo
	v_cmpx_lt_u32_e32 0xffffff, v11
	s_cbranch_execz .LBB224_1204
; %bb.1197:                             ;   in Loop: Header=BB224_934 Depth=1
	v_mov_b64_e32 v[52:53], 0x8000000000000000
	v_lshrrev_b32_e32 v54, 24, v11
	s_mov_b32 s8, exec_lo
	s_delay_alu instid0(VALU_DEP_1)
	v_cmpx_ne_u32_e32 0x80, v54
	s_cbranch_execz .LBB224_1203
; %bb.1198:                             ;   in Loop: Header=BB224_934 Depth=1
	v_mov_b64_e32 v[52:53], 0x7f80000100000000
	v_bfe_u32 v55, v11, 24, 7
	s_mov_b32 s9, exec_lo
	s_delay_alu instid0(VALU_DEP_1)
	v_cmpx_ne_u32_e32 0x7f, v55
	s_cbranch_execz .LBB224_1202
; %bb.1199:                             ;   in Loop: Header=BB224_934 Depth=1
	v_dual_lshrrev_b32 v11, 3, v55 :: v_dual_bitop2_b32 v102, 7, v54 bitop3:0x40
	s_mov_b32 s16, exec_lo
	v_cmpx_gt_u32_e32 8, v55
; %bb.1200:                             ;   in Loop: Header=BB224_934 Depth=1
	s_delay_alu instid0(VALU_DEP_2) | instskip(NEXT) | instid1(VALU_DEP_1)
	v_clz_i32_u32_e32 v11, v102
	v_min_u32_e32 v11, 32, v11
	s_delay_alu instid0(VALU_DEP_1) | instskip(NEXT) | instid1(VALU_DEP_1)
	v_subrev_nc_u32_e32 v52, 28, v11
	v_lshlrev_b64_e32 v[52:53], v52, v[102:103]
	s_delay_alu instid0(VALU_DEP_1)
	v_dual_sub_nc_u32 v11, 29, v11 :: v_dual_bitop2_b32 v102, 7, v52 bitop3:0x40
; %bb.1201:                             ;   in Loop: Header=BB224_934 Depth=1
	s_or_b32 exec_lo, exec_lo, s16
	v_lshlrev_b32_e32 v52, 24, v54
	s_delay_alu instid0(VALU_DEP_2) | instskip(NEXT) | instid1(VALU_DEP_3)
	v_lshlrev_b32_e32 v53, 20, v102
	v_lshl_add_u32 v11, v11, 23, 0x3c000000
	s_delay_alu instid0(VALU_DEP_3) | instskip(NEXT) | instid1(VALU_DEP_1)
	v_and_b32_e32 v52, 0x80000000, v52
	v_or3_b32 v53, v53, v52, v11
	v_mov_b32_e32 v52, v103
.LBB224_1202:                           ;   in Loop: Header=BB224_934 Depth=1
	s_or_b32 exec_lo, exec_lo, s9
.LBB224_1203:                           ;   in Loop: Header=BB224_934 Depth=1
	s_delay_alu instid0(SALU_CYCLE_1)
	s_or_b32 exec_lo, exec_lo, s8
.LBB224_1204:                           ;   in Loop: Header=BB224_934 Depth=1
	s_delay_alu instid0(SALU_CYCLE_1) | instskip(SKIP_4) | instid1(VALU_DEP_3)
	s_or_b32 exec_lo, exec_lo, s3
	v_or_b32_e32 v1, v1, v19
	v_or_b32_e32 v0, v0, v18
	;; [unrolled: 1-line block ×4, first 2 shown]
	v_pk_mul_f32 v[0:1], v[22:23], v[0:1]
	scratch_store_b64 off, v[0:1], s32 offset:324 ; 8-byte Folded Spill
	s_wait_xcnt 0x0
	v_pk_mul_f32 v[0:1], v[22:23], v[6:7]
	scratch_store_b64 off, v[0:1], s32 offset:316 ; 8-byte Folded Spill
	s_wait_xcnt 0x0
	s_and_saveexec_b32 s3, vcc_lo
	s_cbranch_execz .LBB224_1206
; %bb.1205:                             ;   in Loop: Header=BB224_934 Depth=1
	s_clause 0x1
	scratch_load_b64 v[0:1], off, s32 offset:200
	scratch_load_b64 v[6:7], off, s32 offset:324 th:TH_LOAD_LU
	s_wait_loadcnt 0x1
	v_cmp_lt_i32_e64 s0, v17, v0
	s_wait_loadcnt 0x0
	s_delay_alu instid0(VALU_DEP_1) | instskip(SKIP_1) | instid1(VALU_DEP_1)
	v_cndmask_b32_e64 v6, 0, v6, s0
	v_cmp_lt_i32_e64 s0, v114, v0
	v_cndmask_b32_e64 v7, 0, v7, s0
	v_cmp_lt_i32_e64 s0, v10, v0
	s_clause 0x1
	scratch_store_b64 off, v[6:7], s32 offset:324
	scratch_load_b64 v[6:7], off, s32 offset:316 th:TH_LOAD_LU
	s_wait_loadcnt 0x0
	v_cndmask_b32_e64 v6, 0, v6, s0
	v_cmp_lt_i32_e64 s0, v115, v0
	s_delay_alu instid0(VALU_DEP_1)
	v_cndmask_b32_e64 v7, 0, v7, s0
	scratch_store_b64 off, v[6:7], s32 offset:316 ; 8-byte Folded Spill
.LBB224_1206:                           ;   in Loop: Header=BB224_934 Depth=1
	s_wait_xcnt 0x0
	s_or_b32 exec_lo, exec_lo, s3
	flat_load_b32 v11, v[68:69] offset:1024
	v_mov_b64_e32 v[0:1], 0
	v_mov_b64_e32 v[18:19], 0
	s_mov_b32 s3, exec_lo
	s_wait_loadcnt_dscnt 0x0
	v_and_b32_e32 v6, 0xff, v11
	s_wait_xcnt 0x0
	s_delay_alu instid0(VALU_DEP_1)
	v_cmpx_ne_u16_e32 0, v6
	s_cbranch_execz .LBB224_1214
; %bb.1207:                             ;   in Loop: Header=BB224_934 Depth=1
	v_mov_b64_e32 v[18:19], 0x80000000
	s_mov_b32 s8, exec_lo
	v_cmpx_ne_u16_e32 0x80, v6
	s_cbranch_execz .LBB224_1213
; %bb.1208:                             ;   in Loop: Header=BB224_934 Depth=1
	v_mov_b64_e32 v[18:19], 0x7f800001
	v_and_b32_e32 v7, 0x7f, v11
	s_mov_b32 s9, exec_lo
	s_delay_alu instid0(VALU_DEP_1)
	v_cmpx_ne_u32_e32 0x7f, v7
	s_cbranch_execz .LBB224_1212
; %bb.1209:                             ;   in Loop: Header=BB224_934 Depth=1
	v_and_b32_e32 v102, 7, v11
	v_lshrrev_b32_e32 v6, 3, v7
	s_mov_b32 s16, exec_lo
	v_cmpx_gt_u32_e32 8, v7
; %bb.1210:                             ;   in Loop: Header=BB224_934 Depth=1
	s_delay_alu instid0(VALU_DEP_3) | instskip(NEXT) | instid1(VALU_DEP_1)
	v_clz_i32_u32_e32 v6, v102
	v_min_u32_e32 v6, 32, v6
	s_delay_alu instid0(VALU_DEP_1) | instskip(SKIP_1) | instid1(VALU_DEP_2)
	v_subrev_nc_u32_e32 v7, 28, v6
	v_sub_nc_u32_e32 v6, 29, v6
	v_lshlrev_b64_e32 v[18:19], v7, v[102:103]
	s_delay_alu instid0(VALU_DEP_1)
	v_and_b32_e32 v102, 7, v18
; %bb.1211:                             ;   in Loop: Header=BB224_934 Depth=1
	s_or_b32 exec_lo, exec_lo, s16
	s_delay_alu instid0(VALU_DEP_1) | instskip(SKIP_1) | instid1(VALU_DEP_2)
	v_dual_lshlrev_b32 v7, 24, v11 :: v_dual_lshlrev_b32 v18, 20, v102
	v_lshl_add_u32 v6, v6, 23, 0x3c000000
	v_and_b32_e32 v7, 0x80000000, v7
	s_delay_alu instid0(VALU_DEP_1) | instskip(NEXT) | instid1(VALU_DEP_1)
	v_or3_b32 v102, v18, v7, v6
	v_mov_b64_e32 v[18:19], v[102:103]
.LBB224_1212:                           ;   in Loop: Header=BB224_934 Depth=1
	s_or_b32 exec_lo, exec_lo, s9
.LBB224_1213:                           ;   in Loop: Header=BB224_934 Depth=1
	s_delay_alu instid0(SALU_CYCLE_1)
	s_or_b32 exec_lo, exec_lo, s8
.LBB224_1214:                           ;   in Loop: Header=BB224_934 Depth=1
	s_delay_alu instid0(SALU_CYCLE_1) | instskip(SKIP_2) | instid1(VALU_DEP_1)
	s_or_b32 exec_lo, exec_lo, s3
	v_lshrrev_b16 v6, 8, v11
	s_mov_b32 s3, exec_lo
	v_cmpx_ne_u16_e32 0, v6
	s_cbranch_execz .LBB224_1222
; %bb.1215:                             ;   in Loop: Header=BB224_934 Depth=1
	v_mov_b64_e32 v[0:1], 0x8000000000000000
	s_mov_b32 s8, exec_lo
	v_cmpx_ne_u16_e32 0x80, v6
	s_cbranch_execz .LBB224_1221
; %bb.1216:                             ;   in Loop: Header=BB224_934 Depth=1
	v_and_b32_e32 v7, 0xffff, v6
	v_mov_b64_e32 v[0:1], 0x7f80000100000000
	s_mov_b32 s9, exec_lo
	s_delay_alu instid0(VALU_DEP_2) | instskip(NEXT) | instid1(VALU_DEP_1)
	v_and_b32_e32 v6, 0x7f, v7
	v_cmpx_ne_u32_e32 0x7f, v6
	s_cbranch_execz .LBB224_1220
; %bb.1217:                             ;   in Loop: Header=BB224_934 Depth=1
	v_dual_lshrrev_b32 v0, 3, v6 :: v_dual_bitop2_b32 v102, 7, v7 bitop3:0x40
	s_mov_b32 s16, exec_lo
	v_cmpx_gt_u32_e32 8, v6
; %bb.1218:                             ;   in Loop: Header=BB224_934 Depth=1
	s_delay_alu instid0(VALU_DEP_2) | instskip(NEXT) | instid1(VALU_DEP_1)
	v_clz_i32_u32_e32 v0, v102
	v_min_u32_e32 v0, 32, v0
	s_delay_alu instid0(VALU_DEP_1) | instskip(NEXT) | instid1(VALU_DEP_1)
	v_subrev_nc_u32_e32 v1, 28, v0
	v_lshlrev_b64_e32 v[6:7], v1, v[102:103]
	s_delay_alu instid0(VALU_DEP_1)
	v_dual_sub_nc_u32 v0, 29, v0 :: v_dual_bitop2_b32 v102, 7, v6 bitop3:0x40
; %bb.1219:                             ;   in Loop: Header=BB224_934 Depth=1
	s_or_b32 exec_lo, exec_lo, s16
	s_delay_alu instid0(VALU_DEP_1) | instskip(NEXT) | instid1(VALU_DEP_2)
	v_dual_lshlrev_b32 v1, 16, v11 :: v_dual_lshlrev_b32 v6, 20, v102
	v_lshl_add_u32 v0, v0, 23, 0x3c000000
	s_delay_alu instid0(VALU_DEP_2) | instskip(NEXT) | instid1(VALU_DEP_1)
	v_and_b32_e32 v1, 0x80000000, v1
	v_or3_b32 v1, v6, v1, v0
	v_mov_b32_e32 v0, v103
.LBB224_1220:                           ;   in Loop: Header=BB224_934 Depth=1
	s_or_b32 exec_lo, exec_lo, s9
.LBB224_1221:                           ;   in Loop: Header=BB224_934 Depth=1
	s_delay_alu instid0(SALU_CYCLE_1)
	s_or_b32 exec_lo, exec_lo, s8
.LBB224_1222:                           ;   in Loop: Header=BB224_934 Depth=1
	s_delay_alu instid0(SALU_CYCLE_1) | instskip(SKIP_4) | instid1(VALU_DEP_3)
	s_or_b32 exec_lo, exec_lo, s3
	v_lshrrev_b32_e32 v54, 16, v11
	v_mov_b64_e32 v[52:53], 0
	v_mov_b64_e32 v[6:7], 0
	s_mov_b32 s3, exec_lo
	v_and_b32_e32 v55, 0xff, v54
	s_delay_alu instid0(VALU_DEP_1)
	v_cmpx_ne_u16_e32 0, v55
	s_cbranch_execz .LBB224_1230
; %bb.1223:                             ;   in Loop: Header=BB224_934 Depth=1
	v_mov_b64_e32 v[6:7], 0x80000000
	s_mov_b32 s8, exec_lo
	v_cmpx_ne_u16_e32 0x80, v55
	s_cbranch_execz .LBB224_1229
; %bb.1224:                             ;   in Loop: Header=BB224_934 Depth=1
	v_mov_b64_e32 v[6:7], 0x7f800001
	v_bfe_u32 v55, v11, 16, 7
	s_mov_b32 s9, exec_lo
	s_delay_alu instid0(VALU_DEP_1)
	v_cmpx_ne_u32_e32 0x7f, v55
	s_cbranch_execz .LBB224_1228
; %bb.1225:                             ;   in Loop: Header=BB224_934 Depth=1
	v_dual_lshrrev_b32 v6, 3, v55 :: v_dual_bitop2_b32 v102, 7, v54 bitop3:0x40
	s_mov_b32 s16, exec_lo
	v_cmpx_gt_u32_e32 8, v55
; %bb.1226:                             ;   in Loop: Header=BB224_934 Depth=1
	s_delay_alu instid0(VALU_DEP_2) | instskip(NEXT) | instid1(VALU_DEP_1)
	v_clz_i32_u32_e32 v6, v102
	v_min_u32_e32 v6, 32, v6
	s_delay_alu instid0(VALU_DEP_1) | instskip(NEXT) | instid1(VALU_DEP_1)
	v_subrev_nc_u32_e32 v7, 28, v6
	v_lshlrev_b64_e32 v[64:65], v7, v[102:103]
	s_delay_alu instid0(VALU_DEP_1)
	v_dual_sub_nc_u32 v6, 29, v6 :: v_dual_bitop2_b32 v102, 7, v64 bitop3:0x40
; %bb.1227:                             ;   in Loop: Header=BB224_934 Depth=1
	s_or_b32 exec_lo, exec_lo, s16
	v_lshlrev_b32_e32 v7, 24, v54
	s_delay_alu instid0(VALU_DEP_2) | instskip(NEXT) | instid1(VALU_DEP_3)
	v_lshlrev_b32_e32 v54, 20, v102
	v_lshl_add_u32 v6, v6, 23, 0x3c000000
	s_delay_alu instid0(VALU_DEP_3) | instskip(NEXT) | instid1(VALU_DEP_1)
	v_and_b32_e32 v7, 0x80000000, v7
	v_or3_b32 v102, v54, v7, v6
	s_delay_alu instid0(VALU_DEP_1)
	v_mov_b64_e32 v[6:7], v[102:103]
.LBB224_1228:                           ;   in Loop: Header=BB224_934 Depth=1
	s_or_b32 exec_lo, exec_lo, s9
.LBB224_1229:                           ;   in Loop: Header=BB224_934 Depth=1
	s_delay_alu instid0(SALU_CYCLE_1)
	s_or_b32 exec_lo, exec_lo, s8
.LBB224_1230:                           ;   in Loop: Header=BB224_934 Depth=1
	s_delay_alu instid0(SALU_CYCLE_1) | instskip(NEXT) | instid1(SALU_CYCLE_1)
	s_or_b32 exec_lo, exec_lo, s3
	s_mov_b32 s3, exec_lo
	v_cmpx_lt_u32_e32 0xffffff, v11
	s_cbranch_execz .LBB224_1238
; %bb.1231:                             ;   in Loop: Header=BB224_934 Depth=1
	v_mov_b64_e32 v[52:53], 0x8000000000000000
	v_lshrrev_b32_e32 v54, 24, v11
	s_mov_b32 s8, exec_lo
	s_delay_alu instid0(VALU_DEP_1)
	v_cmpx_ne_u32_e32 0x80, v54
	s_cbranch_execz .LBB224_1237
; %bb.1232:                             ;   in Loop: Header=BB224_934 Depth=1
	v_mov_b64_e32 v[52:53], 0x7f80000100000000
	v_bfe_u32 v55, v11, 24, 7
	s_mov_b32 s9, exec_lo
	s_delay_alu instid0(VALU_DEP_1)
	v_cmpx_ne_u32_e32 0x7f, v55
	s_cbranch_execz .LBB224_1236
; %bb.1233:                             ;   in Loop: Header=BB224_934 Depth=1
	v_dual_lshrrev_b32 v11, 3, v55 :: v_dual_bitop2_b32 v102, 7, v54 bitop3:0x40
	s_mov_b32 s16, exec_lo
	v_cmpx_gt_u32_e32 8, v55
; %bb.1234:                             ;   in Loop: Header=BB224_934 Depth=1
	s_delay_alu instid0(VALU_DEP_2) | instskip(NEXT) | instid1(VALU_DEP_1)
	v_clz_i32_u32_e32 v11, v102
	v_min_u32_e32 v11, 32, v11
	s_delay_alu instid0(VALU_DEP_1) | instskip(NEXT) | instid1(VALU_DEP_1)
	v_subrev_nc_u32_e32 v52, 28, v11
	v_lshlrev_b64_e32 v[52:53], v52, v[102:103]
	s_delay_alu instid0(VALU_DEP_1)
	v_dual_sub_nc_u32 v11, 29, v11 :: v_dual_bitop2_b32 v102, 7, v52 bitop3:0x40
; %bb.1235:                             ;   in Loop: Header=BB224_934 Depth=1
	s_or_b32 exec_lo, exec_lo, s16
	v_lshlrev_b32_e32 v52, 24, v54
	s_delay_alu instid0(VALU_DEP_2) | instskip(NEXT) | instid1(VALU_DEP_3)
	v_lshlrev_b32_e32 v53, 20, v102
	v_lshl_add_u32 v11, v11, 23, 0x3c000000
	s_delay_alu instid0(VALU_DEP_3) | instskip(NEXT) | instid1(VALU_DEP_1)
	v_and_b32_e32 v52, 0x80000000, v52
	v_or3_b32 v53, v53, v52, v11
	v_mov_b32_e32 v52, v103
.LBB224_1236:                           ;   in Loop: Header=BB224_934 Depth=1
	s_or_b32 exec_lo, exec_lo, s9
.LBB224_1237:                           ;   in Loop: Header=BB224_934 Depth=1
	s_delay_alu instid0(SALU_CYCLE_1)
	s_or_b32 exec_lo, exec_lo, s8
.LBB224_1238:                           ;   in Loop: Header=BB224_934 Depth=1
	s_delay_alu instid0(SALU_CYCLE_1) | instskip(SKIP_4) | instid1(VALU_DEP_3)
	s_or_b32 exec_lo, exec_lo, s3
	v_or_b32_e32 v1, v1, v19
	v_or_b32_e32 v0, v0, v18
	;; [unrolled: 1-line block ×4, first 2 shown]
	v_pk_mul_f32 v[118:119], v[22:23], v[0:1]
	s_delay_alu instid0(VALU_DEP_2)
	v_pk_mul_f32 v[0:1], v[22:23], v[6:7]
	scratch_store_b64 off, v[0:1], s32 offset:332 ; 8-byte Folded Spill
	s_wait_xcnt 0x0
	s_and_saveexec_b32 s3, vcc_lo
	s_cbranch_execz .LBB224_1240
; %bb.1239:                             ;   in Loop: Header=BB224_934 Depth=1
	s_clause 0x1
	scratch_load_b64 v[0:1], off, s32 offset:200
	scratch_load_b64 v[6:7], off, s32 offset:332 th:TH_LOAD_LU
	s_wait_loadcnt 0x1
	v_cmp_lt_i32_e64 s0, v17, v0
	s_delay_alu instid0(VALU_DEP_1) | instskip(SKIP_1) | instid1(VALU_DEP_1)
	v_cndmask_b32_e64 v118, 0, v118, s0
	v_cmp_lt_i32_e64 s0, v114, v0
	v_cndmask_b32_e64 v119, 0, v119, s0
	v_cmp_lt_i32_e64 s0, v10, v0
	s_wait_loadcnt 0x0
	s_delay_alu instid0(VALU_DEP_1) | instskip(SKIP_1) | instid1(VALU_DEP_1)
	v_cndmask_b32_e64 v6, 0, v6, s0
	v_cmp_lt_i32_e64 s0, v115, v0
	v_cndmask_b32_e64 v7, 0, v7, s0
	scratch_store_b64 off, v[6:7], s32 offset:332 ; 8-byte Folded Spill
.LBB224_1240:                           ;   in Loop: Header=BB224_934 Depth=1
	s_wait_xcnt 0x0
	s_or_b32 exec_lo, exec_lo, s3
	flat_load_b32 v11, v[68:69] offset:1152
	v_mov_b64_e32 v[0:1], 0
	v_mov_b64_e32 v[18:19], 0
	s_mov_b32 s3, exec_lo
	s_wait_loadcnt_dscnt 0x0
	v_and_b32_e32 v6, 0xff, v11
	s_wait_xcnt 0x0
	s_delay_alu instid0(VALU_DEP_1)
	v_cmpx_ne_u16_e32 0, v6
	s_cbranch_execz .LBB224_1248
; %bb.1241:                             ;   in Loop: Header=BB224_934 Depth=1
	v_mov_b64_e32 v[18:19], 0x80000000
	s_mov_b32 s8, exec_lo
	v_cmpx_ne_u16_e32 0x80, v6
	s_cbranch_execz .LBB224_1247
; %bb.1242:                             ;   in Loop: Header=BB224_934 Depth=1
	v_mov_b64_e32 v[18:19], 0x7f800001
	v_and_b32_e32 v7, 0x7f, v11
	s_mov_b32 s9, exec_lo
	s_delay_alu instid0(VALU_DEP_1)
	v_cmpx_ne_u32_e32 0x7f, v7
	s_cbranch_execz .LBB224_1246
; %bb.1243:                             ;   in Loop: Header=BB224_934 Depth=1
	v_and_b32_e32 v102, 7, v11
	v_lshrrev_b32_e32 v6, 3, v7
	s_mov_b32 s16, exec_lo
	v_cmpx_gt_u32_e32 8, v7
; %bb.1244:                             ;   in Loop: Header=BB224_934 Depth=1
	s_delay_alu instid0(VALU_DEP_3) | instskip(NEXT) | instid1(VALU_DEP_1)
	v_clz_i32_u32_e32 v6, v102
	v_min_u32_e32 v6, 32, v6
	s_delay_alu instid0(VALU_DEP_1) | instskip(SKIP_1) | instid1(VALU_DEP_2)
	v_subrev_nc_u32_e32 v7, 28, v6
	v_sub_nc_u32_e32 v6, 29, v6
	v_lshlrev_b64_e32 v[18:19], v7, v[102:103]
	s_delay_alu instid0(VALU_DEP_1)
	v_and_b32_e32 v102, 7, v18
; %bb.1245:                             ;   in Loop: Header=BB224_934 Depth=1
	s_or_b32 exec_lo, exec_lo, s16
	s_delay_alu instid0(VALU_DEP_1) | instskip(SKIP_1) | instid1(VALU_DEP_2)
	v_dual_lshlrev_b32 v7, 24, v11 :: v_dual_lshlrev_b32 v18, 20, v102
	v_lshl_add_u32 v6, v6, 23, 0x3c000000
	v_and_b32_e32 v7, 0x80000000, v7
	s_delay_alu instid0(VALU_DEP_1) | instskip(NEXT) | instid1(VALU_DEP_1)
	v_or3_b32 v102, v18, v7, v6
	v_mov_b64_e32 v[18:19], v[102:103]
.LBB224_1246:                           ;   in Loop: Header=BB224_934 Depth=1
	s_or_b32 exec_lo, exec_lo, s9
.LBB224_1247:                           ;   in Loop: Header=BB224_934 Depth=1
	s_delay_alu instid0(SALU_CYCLE_1)
	s_or_b32 exec_lo, exec_lo, s8
.LBB224_1248:                           ;   in Loop: Header=BB224_934 Depth=1
	s_delay_alu instid0(SALU_CYCLE_1) | instskip(SKIP_2) | instid1(VALU_DEP_1)
	s_or_b32 exec_lo, exec_lo, s3
	v_lshrrev_b16 v6, 8, v11
	s_mov_b32 s3, exec_lo
	v_cmpx_ne_u16_e32 0, v6
	s_cbranch_execz .LBB224_1256
; %bb.1249:                             ;   in Loop: Header=BB224_934 Depth=1
	v_mov_b64_e32 v[0:1], 0x8000000000000000
	s_mov_b32 s8, exec_lo
	v_cmpx_ne_u16_e32 0x80, v6
	s_cbranch_execz .LBB224_1255
; %bb.1250:                             ;   in Loop: Header=BB224_934 Depth=1
	v_and_b32_e32 v7, 0xffff, v6
	v_mov_b64_e32 v[0:1], 0x7f80000100000000
	s_mov_b32 s9, exec_lo
	s_delay_alu instid0(VALU_DEP_2) | instskip(NEXT) | instid1(VALU_DEP_1)
	v_and_b32_e32 v6, 0x7f, v7
	v_cmpx_ne_u32_e32 0x7f, v6
	s_cbranch_execz .LBB224_1254
; %bb.1251:                             ;   in Loop: Header=BB224_934 Depth=1
	v_dual_lshrrev_b32 v0, 3, v6 :: v_dual_bitop2_b32 v102, 7, v7 bitop3:0x40
	s_mov_b32 s16, exec_lo
	v_cmpx_gt_u32_e32 8, v6
; %bb.1252:                             ;   in Loop: Header=BB224_934 Depth=1
	s_delay_alu instid0(VALU_DEP_2) | instskip(NEXT) | instid1(VALU_DEP_1)
	v_clz_i32_u32_e32 v0, v102
	v_min_u32_e32 v0, 32, v0
	s_delay_alu instid0(VALU_DEP_1) | instskip(NEXT) | instid1(VALU_DEP_1)
	v_subrev_nc_u32_e32 v1, 28, v0
	v_lshlrev_b64_e32 v[6:7], v1, v[102:103]
	s_delay_alu instid0(VALU_DEP_1)
	v_dual_sub_nc_u32 v0, 29, v0 :: v_dual_bitop2_b32 v102, 7, v6 bitop3:0x40
; %bb.1253:                             ;   in Loop: Header=BB224_934 Depth=1
	s_or_b32 exec_lo, exec_lo, s16
	s_delay_alu instid0(VALU_DEP_1) | instskip(NEXT) | instid1(VALU_DEP_2)
	v_dual_lshlrev_b32 v1, 16, v11 :: v_dual_lshlrev_b32 v6, 20, v102
	v_lshl_add_u32 v0, v0, 23, 0x3c000000
	s_delay_alu instid0(VALU_DEP_2) | instskip(NEXT) | instid1(VALU_DEP_1)
	v_and_b32_e32 v1, 0x80000000, v1
	v_or3_b32 v1, v6, v1, v0
	v_mov_b32_e32 v0, v103
.LBB224_1254:                           ;   in Loop: Header=BB224_934 Depth=1
	s_or_b32 exec_lo, exec_lo, s9
.LBB224_1255:                           ;   in Loop: Header=BB224_934 Depth=1
	s_delay_alu instid0(SALU_CYCLE_1)
	s_or_b32 exec_lo, exec_lo, s8
.LBB224_1256:                           ;   in Loop: Header=BB224_934 Depth=1
	s_delay_alu instid0(SALU_CYCLE_1) | instskip(SKIP_4) | instid1(VALU_DEP_3)
	s_or_b32 exec_lo, exec_lo, s3
	v_lshrrev_b32_e32 v54, 16, v11
	v_mov_b64_e32 v[52:53], 0
	v_mov_b64_e32 v[6:7], 0
	s_mov_b32 s3, exec_lo
	v_and_b32_e32 v55, 0xff, v54
	s_delay_alu instid0(VALU_DEP_1)
	v_cmpx_ne_u16_e32 0, v55
	s_cbranch_execz .LBB224_1264
; %bb.1257:                             ;   in Loop: Header=BB224_934 Depth=1
	v_mov_b64_e32 v[6:7], 0x80000000
	s_mov_b32 s8, exec_lo
	v_cmpx_ne_u16_e32 0x80, v55
	s_cbranch_execz .LBB224_1263
; %bb.1258:                             ;   in Loop: Header=BB224_934 Depth=1
	v_mov_b64_e32 v[6:7], 0x7f800001
	v_bfe_u32 v55, v11, 16, 7
	s_mov_b32 s9, exec_lo
	s_delay_alu instid0(VALU_DEP_1)
	v_cmpx_ne_u32_e32 0x7f, v55
	s_cbranch_execz .LBB224_1262
; %bb.1259:                             ;   in Loop: Header=BB224_934 Depth=1
	v_dual_lshrrev_b32 v6, 3, v55 :: v_dual_bitop2_b32 v102, 7, v54 bitop3:0x40
	s_mov_b32 s16, exec_lo
	v_cmpx_gt_u32_e32 8, v55
; %bb.1260:                             ;   in Loop: Header=BB224_934 Depth=1
	s_delay_alu instid0(VALU_DEP_2) | instskip(NEXT) | instid1(VALU_DEP_1)
	v_clz_i32_u32_e32 v6, v102
	v_min_u32_e32 v6, 32, v6
	s_delay_alu instid0(VALU_DEP_1) | instskip(NEXT) | instid1(VALU_DEP_1)
	v_subrev_nc_u32_e32 v7, 28, v6
	v_lshlrev_b64_e32 v[64:65], v7, v[102:103]
	s_delay_alu instid0(VALU_DEP_1)
	v_dual_sub_nc_u32 v6, 29, v6 :: v_dual_bitop2_b32 v102, 7, v64 bitop3:0x40
; %bb.1261:                             ;   in Loop: Header=BB224_934 Depth=1
	s_or_b32 exec_lo, exec_lo, s16
	v_lshlrev_b32_e32 v7, 24, v54
	s_delay_alu instid0(VALU_DEP_2) | instskip(NEXT) | instid1(VALU_DEP_3)
	v_lshlrev_b32_e32 v54, 20, v102
	v_lshl_add_u32 v6, v6, 23, 0x3c000000
	s_delay_alu instid0(VALU_DEP_3) | instskip(NEXT) | instid1(VALU_DEP_1)
	v_and_b32_e32 v7, 0x80000000, v7
	v_or3_b32 v102, v54, v7, v6
	s_delay_alu instid0(VALU_DEP_1)
	v_mov_b64_e32 v[6:7], v[102:103]
.LBB224_1262:                           ;   in Loop: Header=BB224_934 Depth=1
	s_or_b32 exec_lo, exec_lo, s9
.LBB224_1263:                           ;   in Loop: Header=BB224_934 Depth=1
	s_delay_alu instid0(SALU_CYCLE_1)
	s_or_b32 exec_lo, exec_lo, s8
.LBB224_1264:                           ;   in Loop: Header=BB224_934 Depth=1
	s_delay_alu instid0(SALU_CYCLE_1) | instskip(NEXT) | instid1(SALU_CYCLE_1)
	s_or_b32 exec_lo, exec_lo, s3
	s_mov_b32 s3, exec_lo
	v_cmpx_lt_u32_e32 0xffffff, v11
	s_cbranch_execz .LBB224_1272
; %bb.1265:                             ;   in Loop: Header=BB224_934 Depth=1
	v_mov_b64_e32 v[52:53], 0x8000000000000000
	v_lshrrev_b32_e32 v54, 24, v11
	s_mov_b32 s8, exec_lo
	s_delay_alu instid0(VALU_DEP_1)
	v_cmpx_ne_u32_e32 0x80, v54
	s_cbranch_execz .LBB224_1271
; %bb.1266:                             ;   in Loop: Header=BB224_934 Depth=1
	v_mov_b64_e32 v[52:53], 0x7f80000100000000
	v_bfe_u32 v55, v11, 24, 7
	s_mov_b32 s9, exec_lo
	s_delay_alu instid0(VALU_DEP_1)
	v_cmpx_ne_u32_e32 0x7f, v55
	s_cbranch_execz .LBB224_1270
; %bb.1267:                             ;   in Loop: Header=BB224_934 Depth=1
	v_dual_lshrrev_b32 v11, 3, v55 :: v_dual_bitop2_b32 v102, 7, v54 bitop3:0x40
	s_mov_b32 s16, exec_lo
	v_cmpx_gt_u32_e32 8, v55
; %bb.1268:                             ;   in Loop: Header=BB224_934 Depth=1
	s_delay_alu instid0(VALU_DEP_2) | instskip(NEXT) | instid1(VALU_DEP_1)
	v_clz_i32_u32_e32 v11, v102
	v_min_u32_e32 v11, 32, v11
	s_delay_alu instid0(VALU_DEP_1) | instskip(NEXT) | instid1(VALU_DEP_1)
	v_subrev_nc_u32_e32 v52, 28, v11
	v_lshlrev_b64_e32 v[52:53], v52, v[102:103]
	s_delay_alu instid0(VALU_DEP_1)
	v_dual_sub_nc_u32 v11, 29, v11 :: v_dual_bitop2_b32 v102, 7, v52 bitop3:0x40
; %bb.1269:                             ;   in Loop: Header=BB224_934 Depth=1
	s_or_b32 exec_lo, exec_lo, s16
	v_lshlrev_b32_e32 v52, 24, v54
	s_delay_alu instid0(VALU_DEP_2) | instskip(NEXT) | instid1(VALU_DEP_3)
	v_lshlrev_b32_e32 v53, 20, v102
	v_lshl_add_u32 v11, v11, 23, 0x3c000000
	s_delay_alu instid0(VALU_DEP_3) | instskip(NEXT) | instid1(VALU_DEP_1)
	v_and_b32_e32 v52, 0x80000000, v52
	v_or3_b32 v53, v53, v52, v11
	v_mov_b32_e32 v52, v103
.LBB224_1270:                           ;   in Loop: Header=BB224_934 Depth=1
	s_or_b32 exec_lo, exec_lo, s9
.LBB224_1271:                           ;   in Loop: Header=BB224_934 Depth=1
	s_delay_alu instid0(SALU_CYCLE_1)
	s_or_b32 exec_lo, exec_lo, s8
.LBB224_1272:                           ;   in Loop: Header=BB224_934 Depth=1
	s_delay_alu instid0(SALU_CYCLE_1) | instskip(SKIP_4) | instid1(VALU_DEP_3)
	s_or_b32 exec_lo, exec_lo, s3
	v_or_b32_e32 v1, v1, v19
	v_or_b32_e32 v0, v0, v18
	;; [unrolled: 1-line block ×4, first 2 shown]
	v_pk_mul_f32 v[42:43], v[22:23], v[0:1]
	s_delay_alu instid0(VALU_DEP_2)
	v_pk_mul_f32 v[40:41], v[22:23], v[6:7]
	s_and_saveexec_b32 s3, vcc_lo
	s_cbranch_execz .LBB224_1274
; %bb.1273:                             ;   in Loop: Header=BB224_934 Depth=1
	scratch_load_b64 v[0:1], off, s32 offset:200 ; 8-byte Folded Reload
	s_wait_loadcnt 0x0
	v_cmp_lt_i32_e64 s0, v17, v0
	s_delay_alu instid0(VALU_DEP_1) | instskip(SKIP_1) | instid1(VALU_DEP_1)
	v_cndmask_b32_e64 v42, 0, v42, s0
	v_cmp_lt_i32_e64 s0, v114, v0
	v_cndmask_b32_e64 v43, 0, v43, s0
	v_cmp_lt_i32_e64 s0, v10, v0
	s_delay_alu instid0(VALU_DEP_1) | instskip(SKIP_1) | instid1(VALU_DEP_1)
	v_cndmask_b32_e64 v40, 0, v40, s0
	v_cmp_lt_i32_e64 s0, v115, v0
	v_cndmask_b32_e64 v41, 0, v41, s0
.LBB224_1274:                           ;   in Loop: Header=BB224_934 Depth=1
	s_wait_xcnt 0x0
	s_or_b32 exec_lo, exec_lo, s3
	flat_load_b32 v11, v[68:69] offset:1280
	v_mov_b64_e32 v[0:1], 0
	v_mov_b64_e32 v[18:19], 0
	s_mov_b32 s3, exec_lo
	s_wait_loadcnt_dscnt 0x0
	v_and_b32_e32 v6, 0xff, v11
	s_wait_xcnt 0x0
	s_delay_alu instid0(VALU_DEP_1)
	v_cmpx_ne_u16_e32 0, v6
	s_cbranch_execz .LBB224_1282
; %bb.1275:                             ;   in Loop: Header=BB224_934 Depth=1
	v_mov_b64_e32 v[18:19], 0x80000000
	s_mov_b32 s8, exec_lo
	v_cmpx_ne_u16_e32 0x80, v6
	s_cbranch_execz .LBB224_1281
; %bb.1276:                             ;   in Loop: Header=BB224_934 Depth=1
	v_mov_b64_e32 v[18:19], 0x7f800001
	v_and_b32_e32 v7, 0x7f, v11
	s_mov_b32 s9, exec_lo
	s_delay_alu instid0(VALU_DEP_1)
	v_cmpx_ne_u32_e32 0x7f, v7
	s_cbranch_execz .LBB224_1280
; %bb.1277:                             ;   in Loop: Header=BB224_934 Depth=1
	v_and_b32_e32 v102, 7, v11
	v_lshrrev_b32_e32 v6, 3, v7
	s_mov_b32 s16, exec_lo
	v_cmpx_gt_u32_e32 8, v7
; %bb.1278:                             ;   in Loop: Header=BB224_934 Depth=1
	s_delay_alu instid0(VALU_DEP_3) | instskip(NEXT) | instid1(VALU_DEP_1)
	v_clz_i32_u32_e32 v6, v102
	v_min_u32_e32 v6, 32, v6
	s_delay_alu instid0(VALU_DEP_1) | instskip(SKIP_1) | instid1(VALU_DEP_2)
	v_subrev_nc_u32_e32 v7, 28, v6
	v_sub_nc_u32_e32 v6, 29, v6
	v_lshlrev_b64_e32 v[18:19], v7, v[102:103]
	s_delay_alu instid0(VALU_DEP_1)
	v_and_b32_e32 v102, 7, v18
; %bb.1279:                             ;   in Loop: Header=BB224_934 Depth=1
	s_or_b32 exec_lo, exec_lo, s16
	s_delay_alu instid0(VALU_DEP_1) | instskip(SKIP_1) | instid1(VALU_DEP_2)
	v_dual_lshlrev_b32 v7, 24, v11 :: v_dual_lshlrev_b32 v18, 20, v102
	v_lshl_add_u32 v6, v6, 23, 0x3c000000
	v_and_b32_e32 v7, 0x80000000, v7
	s_delay_alu instid0(VALU_DEP_1) | instskip(NEXT) | instid1(VALU_DEP_1)
	v_or3_b32 v102, v18, v7, v6
	v_mov_b64_e32 v[18:19], v[102:103]
.LBB224_1280:                           ;   in Loop: Header=BB224_934 Depth=1
	s_or_b32 exec_lo, exec_lo, s9
.LBB224_1281:                           ;   in Loop: Header=BB224_934 Depth=1
	s_delay_alu instid0(SALU_CYCLE_1)
	s_or_b32 exec_lo, exec_lo, s8
.LBB224_1282:                           ;   in Loop: Header=BB224_934 Depth=1
	s_delay_alu instid0(SALU_CYCLE_1) | instskip(SKIP_2) | instid1(VALU_DEP_1)
	s_or_b32 exec_lo, exec_lo, s3
	v_lshrrev_b16 v6, 8, v11
	s_mov_b32 s3, exec_lo
	v_cmpx_ne_u16_e32 0, v6
	s_cbranch_execz .LBB224_1290
; %bb.1283:                             ;   in Loop: Header=BB224_934 Depth=1
	v_mov_b64_e32 v[0:1], 0x8000000000000000
	s_mov_b32 s8, exec_lo
	v_cmpx_ne_u16_e32 0x80, v6
	s_cbranch_execz .LBB224_1289
; %bb.1284:                             ;   in Loop: Header=BB224_934 Depth=1
	v_and_b32_e32 v7, 0xffff, v6
	v_mov_b64_e32 v[0:1], 0x7f80000100000000
	s_mov_b32 s9, exec_lo
	s_delay_alu instid0(VALU_DEP_2) | instskip(NEXT) | instid1(VALU_DEP_1)
	v_and_b32_e32 v6, 0x7f, v7
	v_cmpx_ne_u32_e32 0x7f, v6
	s_cbranch_execz .LBB224_1288
; %bb.1285:                             ;   in Loop: Header=BB224_934 Depth=1
	v_dual_lshrrev_b32 v0, 3, v6 :: v_dual_bitop2_b32 v102, 7, v7 bitop3:0x40
	s_mov_b32 s16, exec_lo
	v_cmpx_gt_u32_e32 8, v6
; %bb.1286:                             ;   in Loop: Header=BB224_934 Depth=1
	s_delay_alu instid0(VALU_DEP_2) | instskip(NEXT) | instid1(VALU_DEP_1)
	v_clz_i32_u32_e32 v0, v102
	v_min_u32_e32 v0, 32, v0
	s_delay_alu instid0(VALU_DEP_1) | instskip(NEXT) | instid1(VALU_DEP_1)
	v_subrev_nc_u32_e32 v1, 28, v0
	v_lshlrev_b64_e32 v[6:7], v1, v[102:103]
	s_delay_alu instid0(VALU_DEP_1)
	v_dual_sub_nc_u32 v0, 29, v0 :: v_dual_bitop2_b32 v102, 7, v6 bitop3:0x40
; %bb.1287:                             ;   in Loop: Header=BB224_934 Depth=1
	s_or_b32 exec_lo, exec_lo, s16
	s_delay_alu instid0(VALU_DEP_1) | instskip(NEXT) | instid1(VALU_DEP_2)
	v_dual_lshlrev_b32 v1, 16, v11 :: v_dual_lshlrev_b32 v6, 20, v102
	v_lshl_add_u32 v0, v0, 23, 0x3c000000
	s_delay_alu instid0(VALU_DEP_2) | instskip(NEXT) | instid1(VALU_DEP_1)
	v_and_b32_e32 v1, 0x80000000, v1
	v_or3_b32 v1, v6, v1, v0
	v_mov_b32_e32 v0, v103
.LBB224_1288:                           ;   in Loop: Header=BB224_934 Depth=1
	s_or_b32 exec_lo, exec_lo, s9
.LBB224_1289:                           ;   in Loop: Header=BB224_934 Depth=1
	s_delay_alu instid0(SALU_CYCLE_1)
	s_or_b32 exec_lo, exec_lo, s8
.LBB224_1290:                           ;   in Loop: Header=BB224_934 Depth=1
	s_delay_alu instid0(SALU_CYCLE_1) | instskip(SKIP_4) | instid1(VALU_DEP_3)
	s_or_b32 exec_lo, exec_lo, s3
	v_lshrrev_b32_e32 v54, 16, v11
	v_mov_b64_e32 v[52:53], 0
	v_mov_b64_e32 v[6:7], 0
	s_mov_b32 s3, exec_lo
	v_and_b32_e32 v55, 0xff, v54
	s_delay_alu instid0(VALU_DEP_1)
	v_cmpx_ne_u16_e32 0, v55
	s_cbranch_execz .LBB224_1298
; %bb.1291:                             ;   in Loop: Header=BB224_934 Depth=1
	v_mov_b64_e32 v[6:7], 0x80000000
	s_mov_b32 s8, exec_lo
	v_cmpx_ne_u16_e32 0x80, v55
	s_cbranch_execz .LBB224_1297
; %bb.1292:                             ;   in Loop: Header=BB224_934 Depth=1
	v_mov_b64_e32 v[6:7], 0x7f800001
	v_bfe_u32 v55, v11, 16, 7
	s_mov_b32 s9, exec_lo
	s_delay_alu instid0(VALU_DEP_1)
	v_cmpx_ne_u32_e32 0x7f, v55
	s_cbranch_execz .LBB224_1296
; %bb.1293:                             ;   in Loop: Header=BB224_934 Depth=1
	v_dual_lshrrev_b32 v6, 3, v55 :: v_dual_bitop2_b32 v102, 7, v54 bitop3:0x40
	s_mov_b32 s16, exec_lo
	v_cmpx_gt_u32_e32 8, v55
; %bb.1294:                             ;   in Loop: Header=BB224_934 Depth=1
	s_delay_alu instid0(VALU_DEP_2) | instskip(NEXT) | instid1(VALU_DEP_1)
	v_clz_i32_u32_e32 v6, v102
	v_min_u32_e32 v6, 32, v6
	s_delay_alu instid0(VALU_DEP_1) | instskip(NEXT) | instid1(VALU_DEP_1)
	v_subrev_nc_u32_e32 v7, 28, v6
	v_lshlrev_b64_e32 v[64:65], v7, v[102:103]
	s_delay_alu instid0(VALU_DEP_1)
	v_dual_sub_nc_u32 v6, 29, v6 :: v_dual_bitop2_b32 v102, 7, v64 bitop3:0x40
; %bb.1295:                             ;   in Loop: Header=BB224_934 Depth=1
	s_or_b32 exec_lo, exec_lo, s16
	v_lshlrev_b32_e32 v7, 24, v54
	s_delay_alu instid0(VALU_DEP_2) | instskip(NEXT) | instid1(VALU_DEP_3)
	v_lshlrev_b32_e32 v54, 20, v102
	v_lshl_add_u32 v6, v6, 23, 0x3c000000
	s_delay_alu instid0(VALU_DEP_3) | instskip(NEXT) | instid1(VALU_DEP_1)
	v_and_b32_e32 v7, 0x80000000, v7
	v_or3_b32 v102, v54, v7, v6
	s_delay_alu instid0(VALU_DEP_1)
	v_mov_b64_e32 v[6:7], v[102:103]
.LBB224_1296:                           ;   in Loop: Header=BB224_934 Depth=1
	s_or_b32 exec_lo, exec_lo, s9
.LBB224_1297:                           ;   in Loop: Header=BB224_934 Depth=1
	s_delay_alu instid0(SALU_CYCLE_1)
	s_or_b32 exec_lo, exec_lo, s8
.LBB224_1298:                           ;   in Loop: Header=BB224_934 Depth=1
	s_delay_alu instid0(SALU_CYCLE_1) | instskip(NEXT) | instid1(SALU_CYCLE_1)
	s_or_b32 exec_lo, exec_lo, s3
	s_mov_b32 s3, exec_lo
	v_cmpx_lt_u32_e32 0xffffff, v11
	s_cbranch_execz .LBB224_1306
; %bb.1299:                             ;   in Loop: Header=BB224_934 Depth=1
	v_mov_b64_e32 v[52:53], 0x8000000000000000
	v_lshrrev_b32_e32 v54, 24, v11
	s_mov_b32 s8, exec_lo
	s_delay_alu instid0(VALU_DEP_1)
	v_cmpx_ne_u32_e32 0x80, v54
	s_cbranch_execz .LBB224_1305
; %bb.1300:                             ;   in Loop: Header=BB224_934 Depth=1
	v_mov_b64_e32 v[52:53], 0x7f80000100000000
	v_bfe_u32 v55, v11, 24, 7
	s_mov_b32 s9, exec_lo
	s_delay_alu instid0(VALU_DEP_1)
	v_cmpx_ne_u32_e32 0x7f, v55
	s_cbranch_execz .LBB224_1304
; %bb.1301:                             ;   in Loop: Header=BB224_934 Depth=1
	v_dual_lshrrev_b32 v11, 3, v55 :: v_dual_bitop2_b32 v102, 7, v54 bitop3:0x40
	s_mov_b32 s16, exec_lo
	v_cmpx_gt_u32_e32 8, v55
; %bb.1302:                             ;   in Loop: Header=BB224_934 Depth=1
	s_delay_alu instid0(VALU_DEP_2) | instskip(NEXT) | instid1(VALU_DEP_1)
	v_clz_i32_u32_e32 v11, v102
	v_min_u32_e32 v11, 32, v11
	s_delay_alu instid0(VALU_DEP_1) | instskip(NEXT) | instid1(VALU_DEP_1)
	v_subrev_nc_u32_e32 v52, 28, v11
	v_lshlrev_b64_e32 v[52:53], v52, v[102:103]
	s_delay_alu instid0(VALU_DEP_1)
	v_dual_sub_nc_u32 v11, 29, v11 :: v_dual_bitop2_b32 v102, 7, v52 bitop3:0x40
; %bb.1303:                             ;   in Loop: Header=BB224_934 Depth=1
	s_or_b32 exec_lo, exec_lo, s16
	v_lshlrev_b32_e32 v52, 24, v54
	s_delay_alu instid0(VALU_DEP_2) | instskip(NEXT) | instid1(VALU_DEP_3)
	v_lshlrev_b32_e32 v53, 20, v102
	v_lshl_add_u32 v11, v11, 23, 0x3c000000
	s_delay_alu instid0(VALU_DEP_3) | instskip(NEXT) | instid1(VALU_DEP_1)
	v_and_b32_e32 v52, 0x80000000, v52
	v_or3_b32 v53, v53, v52, v11
	v_mov_b32_e32 v52, v103
.LBB224_1304:                           ;   in Loop: Header=BB224_934 Depth=1
	s_or_b32 exec_lo, exec_lo, s9
.LBB224_1305:                           ;   in Loop: Header=BB224_934 Depth=1
	s_delay_alu instid0(SALU_CYCLE_1)
	s_or_b32 exec_lo, exec_lo, s8
.LBB224_1306:                           ;   in Loop: Header=BB224_934 Depth=1
	s_delay_alu instid0(SALU_CYCLE_1) | instskip(SKIP_4) | instid1(VALU_DEP_3)
	s_or_b32 exec_lo, exec_lo, s3
	v_or_b32_e32 v1, v1, v19
	v_or_b32_e32 v0, v0, v18
	;; [unrolled: 1-line block ×4, first 2 shown]
	v_pk_mul_f32 v[46:47], v[22:23], v[0:1]
	s_delay_alu instid0(VALU_DEP_2)
	v_pk_mul_f32 v[44:45], v[22:23], v[6:7]
	s_and_saveexec_b32 s3, vcc_lo
	s_cbranch_execz .LBB224_1308
; %bb.1307:                             ;   in Loop: Header=BB224_934 Depth=1
	scratch_load_b64 v[0:1], off, s32 offset:200 ; 8-byte Folded Reload
	s_wait_loadcnt 0x0
	v_cmp_lt_i32_e64 s0, v17, v0
	s_delay_alu instid0(VALU_DEP_1) | instskip(SKIP_1) | instid1(VALU_DEP_1)
	v_cndmask_b32_e64 v46, 0, v46, s0
	v_cmp_lt_i32_e64 s0, v114, v0
	v_cndmask_b32_e64 v47, 0, v47, s0
	v_cmp_lt_i32_e64 s0, v10, v0
	s_delay_alu instid0(VALU_DEP_1) | instskip(SKIP_1) | instid1(VALU_DEP_1)
	v_cndmask_b32_e64 v44, 0, v44, s0
	v_cmp_lt_i32_e64 s0, v115, v0
	v_cndmask_b32_e64 v45, 0, v45, s0
.LBB224_1308:                           ;   in Loop: Header=BB224_934 Depth=1
	s_wait_xcnt 0x0
	s_or_b32 exec_lo, exec_lo, s3
	flat_load_b32 v11, v[68:69] offset:1408
	v_mov_b64_e32 v[0:1], 0
	v_mov_b64_e32 v[18:19], 0
	s_mov_b32 s3, exec_lo
	s_wait_loadcnt_dscnt 0x0
	v_and_b32_e32 v6, 0xff, v11
	s_wait_xcnt 0x0
	s_delay_alu instid0(VALU_DEP_1)
	v_cmpx_ne_u16_e32 0, v6
	s_cbranch_execz .LBB224_1316
; %bb.1309:                             ;   in Loop: Header=BB224_934 Depth=1
	v_mov_b64_e32 v[18:19], 0x80000000
	s_mov_b32 s8, exec_lo
	v_cmpx_ne_u16_e32 0x80, v6
	s_cbranch_execz .LBB224_1315
; %bb.1310:                             ;   in Loop: Header=BB224_934 Depth=1
	v_mov_b64_e32 v[18:19], 0x7f800001
	v_and_b32_e32 v7, 0x7f, v11
	s_mov_b32 s9, exec_lo
	s_delay_alu instid0(VALU_DEP_1)
	v_cmpx_ne_u32_e32 0x7f, v7
	s_cbranch_execz .LBB224_1314
; %bb.1311:                             ;   in Loop: Header=BB224_934 Depth=1
	v_and_b32_e32 v102, 7, v11
	v_lshrrev_b32_e32 v6, 3, v7
	s_mov_b32 s16, exec_lo
	v_cmpx_gt_u32_e32 8, v7
; %bb.1312:                             ;   in Loop: Header=BB224_934 Depth=1
	s_delay_alu instid0(VALU_DEP_3) | instskip(NEXT) | instid1(VALU_DEP_1)
	v_clz_i32_u32_e32 v6, v102
	v_min_u32_e32 v6, 32, v6
	s_delay_alu instid0(VALU_DEP_1) | instskip(SKIP_1) | instid1(VALU_DEP_2)
	v_subrev_nc_u32_e32 v7, 28, v6
	v_sub_nc_u32_e32 v6, 29, v6
	v_lshlrev_b64_e32 v[18:19], v7, v[102:103]
	s_delay_alu instid0(VALU_DEP_1)
	v_and_b32_e32 v102, 7, v18
; %bb.1313:                             ;   in Loop: Header=BB224_934 Depth=1
	s_or_b32 exec_lo, exec_lo, s16
	s_delay_alu instid0(VALU_DEP_1) | instskip(SKIP_1) | instid1(VALU_DEP_2)
	v_dual_lshlrev_b32 v7, 24, v11 :: v_dual_lshlrev_b32 v18, 20, v102
	v_lshl_add_u32 v6, v6, 23, 0x3c000000
	v_and_b32_e32 v7, 0x80000000, v7
	s_delay_alu instid0(VALU_DEP_1) | instskip(NEXT) | instid1(VALU_DEP_1)
	v_or3_b32 v102, v18, v7, v6
	v_mov_b64_e32 v[18:19], v[102:103]
.LBB224_1314:                           ;   in Loop: Header=BB224_934 Depth=1
	s_or_b32 exec_lo, exec_lo, s9
.LBB224_1315:                           ;   in Loop: Header=BB224_934 Depth=1
	s_delay_alu instid0(SALU_CYCLE_1)
	s_or_b32 exec_lo, exec_lo, s8
.LBB224_1316:                           ;   in Loop: Header=BB224_934 Depth=1
	s_delay_alu instid0(SALU_CYCLE_1) | instskip(SKIP_2) | instid1(VALU_DEP_1)
	s_or_b32 exec_lo, exec_lo, s3
	v_lshrrev_b16 v6, 8, v11
	s_mov_b32 s3, exec_lo
	v_cmpx_ne_u16_e32 0, v6
	s_cbranch_execz .LBB224_1324
; %bb.1317:                             ;   in Loop: Header=BB224_934 Depth=1
	v_mov_b64_e32 v[0:1], 0x8000000000000000
	s_mov_b32 s8, exec_lo
	v_cmpx_ne_u16_e32 0x80, v6
	s_cbranch_execz .LBB224_1323
; %bb.1318:                             ;   in Loop: Header=BB224_934 Depth=1
	v_and_b32_e32 v7, 0xffff, v6
	v_mov_b64_e32 v[0:1], 0x7f80000100000000
	s_mov_b32 s9, exec_lo
	s_delay_alu instid0(VALU_DEP_2) | instskip(NEXT) | instid1(VALU_DEP_1)
	v_and_b32_e32 v6, 0x7f, v7
	v_cmpx_ne_u32_e32 0x7f, v6
	s_cbranch_execz .LBB224_1322
; %bb.1319:                             ;   in Loop: Header=BB224_934 Depth=1
	v_dual_lshrrev_b32 v0, 3, v6 :: v_dual_bitop2_b32 v102, 7, v7 bitop3:0x40
	s_mov_b32 s16, exec_lo
	v_cmpx_gt_u32_e32 8, v6
; %bb.1320:                             ;   in Loop: Header=BB224_934 Depth=1
	s_delay_alu instid0(VALU_DEP_2) | instskip(NEXT) | instid1(VALU_DEP_1)
	v_clz_i32_u32_e32 v0, v102
	v_min_u32_e32 v0, 32, v0
	s_delay_alu instid0(VALU_DEP_1) | instskip(NEXT) | instid1(VALU_DEP_1)
	v_subrev_nc_u32_e32 v1, 28, v0
	v_lshlrev_b64_e32 v[6:7], v1, v[102:103]
	s_delay_alu instid0(VALU_DEP_1)
	v_dual_sub_nc_u32 v0, 29, v0 :: v_dual_bitop2_b32 v102, 7, v6 bitop3:0x40
; %bb.1321:                             ;   in Loop: Header=BB224_934 Depth=1
	s_or_b32 exec_lo, exec_lo, s16
	s_delay_alu instid0(VALU_DEP_1) | instskip(NEXT) | instid1(VALU_DEP_2)
	v_dual_lshlrev_b32 v1, 16, v11 :: v_dual_lshlrev_b32 v6, 20, v102
	v_lshl_add_u32 v0, v0, 23, 0x3c000000
	s_delay_alu instid0(VALU_DEP_2) | instskip(NEXT) | instid1(VALU_DEP_1)
	v_and_b32_e32 v1, 0x80000000, v1
	v_or3_b32 v1, v6, v1, v0
	v_mov_b32_e32 v0, v103
.LBB224_1322:                           ;   in Loop: Header=BB224_934 Depth=1
	s_or_b32 exec_lo, exec_lo, s9
.LBB224_1323:                           ;   in Loop: Header=BB224_934 Depth=1
	s_delay_alu instid0(SALU_CYCLE_1)
	s_or_b32 exec_lo, exec_lo, s8
.LBB224_1324:                           ;   in Loop: Header=BB224_934 Depth=1
	s_delay_alu instid0(SALU_CYCLE_1) | instskip(SKIP_4) | instid1(VALU_DEP_3)
	s_or_b32 exec_lo, exec_lo, s3
	v_lshrrev_b32_e32 v54, 16, v11
	v_mov_b64_e32 v[52:53], 0
	v_mov_b64_e32 v[6:7], 0
	s_mov_b32 s3, exec_lo
	v_and_b32_e32 v55, 0xff, v54
	s_delay_alu instid0(VALU_DEP_1)
	v_cmpx_ne_u16_e32 0, v55
	s_cbranch_execz .LBB224_1332
; %bb.1325:                             ;   in Loop: Header=BB224_934 Depth=1
	v_mov_b64_e32 v[6:7], 0x80000000
	s_mov_b32 s8, exec_lo
	v_cmpx_ne_u16_e32 0x80, v55
	s_cbranch_execz .LBB224_1331
; %bb.1326:                             ;   in Loop: Header=BB224_934 Depth=1
	v_mov_b64_e32 v[6:7], 0x7f800001
	v_bfe_u32 v55, v11, 16, 7
	s_mov_b32 s9, exec_lo
	s_delay_alu instid0(VALU_DEP_1)
	v_cmpx_ne_u32_e32 0x7f, v55
	s_cbranch_execz .LBB224_1330
; %bb.1327:                             ;   in Loop: Header=BB224_934 Depth=1
	v_dual_lshrrev_b32 v6, 3, v55 :: v_dual_bitop2_b32 v102, 7, v54 bitop3:0x40
	s_mov_b32 s16, exec_lo
	v_cmpx_gt_u32_e32 8, v55
; %bb.1328:                             ;   in Loop: Header=BB224_934 Depth=1
	s_delay_alu instid0(VALU_DEP_2) | instskip(NEXT) | instid1(VALU_DEP_1)
	v_clz_i32_u32_e32 v6, v102
	v_min_u32_e32 v6, 32, v6
	s_delay_alu instid0(VALU_DEP_1) | instskip(NEXT) | instid1(VALU_DEP_1)
	v_subrev_nc_u32_e32 v7, 28, v6
	v_lshlrev_b64_e32 v[64:65], v7, v[102:103]
	s_delay_alu instid0(VALU_DEP_1)
	v_dual_sub_nc_u32 v6, 29, v6 :: v_dual_bitop2_b32 v102, 7, v64 bitop3:0x40
; %bb.1329:                             ;   in Loop: Header=BB224_934 Depth=1
	s_or_b32 exec_lo, exec_lo, s16
	v_lshlrev_b32_e32 v7, 24, v54
	s_delay_alu instid0(VALU_DEP_2) | instskip(NEXT) | instid1(VALU_DEP_3)
	v_lshlrev_b32_e32 v54, 20, v102
	v_lshl_add_u32 v6, v6, 23, 0x3c000000
	s_delay_alu instid0(VALU_DEP_3) | instskip(NEXT) | instid1(VALU_DEP_1)
	v_and_b32_e32 v7, 0x80000000, v7
	v_or3_b32 v102, v54, v7, v6
	s_delay_alu instid0(VALU_DEP_1)
	v_mov_b64_e32 v[6:7], v[102:103]
.LBB224_1330:                           ;   in Loop: Header=BB224_934 Depth=1
	s_or_b32 exec_lo, exec_lo, s9
.LBB224_1331:                           ;   in Loop: Header=BB224_934 Depth=1
	s_delay_alu instid0(SALU_CYCLE_1)
	s_or_b32 exec_lo, exec_lo, s8
.LBB224_1332:                           ;   in Loop: Header=BB224_934 Depth=1
	s_delay_alu instid0(SALU_CYCLE_1) | instskip(NEXT) | instid1(SALU_CYCLE_1)
	s_or_b32 exec_lo, exec_lo, s3
	s_mov_b32 s3, exec_lo
	v_cmpx_lt_u32_e32 0xffffff, v11
	s_cbranch_execz .LBB224_1340
; %bb.1333:                             ;   in Loop: Header=BB224_934 Depth=1
	v_mov_b64_e32 v[52:53], 0x8000000000000000
	v_lshrrev_b32_e32 v54, 24, v11
	s_mov_b32 s8, exec_lo
	s_delay_alu instid0(VALU_DEP_1)
	v_cmpx_ne_u32_e32 0x80, v54
	s_cbranch_execz .LBB224_1339
; %bb.1334:                             ;   in Loop: Header=BB224_934 Depth=1
	v_mov_b64_e32 v[52:53], 0x7f80000100000000
	v_bfe_u32 v55, v11, 24, 7
	s_mov_b32 s9, exec_lo
	s_delay_alu instid0(VALU_DEP_1)
	v_cmpx_ne_u32_e32 0x7f, v55
	s_cbranch_execz .LBB224_1338
; %bb.1335:                             ;   in Loop: Header=BB224_934 Depth=1
	v_dual_lshrrev_b32 v11, 3, v55 :: v_dual_bitop2_b32 v102, 7, v54 bitop3:0x40
	s_mov_b32 s16, exec_lo
	v_cmpx_gt_u32_e32 8, v55
; %bb.1336:                             ;   in Loop: Header=BB224_934 Depth=1
	s_delay_alu instid0(VALU_DEP_2) | instskip(NEXT) | instid1(VALU_DEP_1)
	v_clz_i32_u32_e32 v11, v102
	v_min_u32_e32 v11, 32, v11
	s_delay_alu instid0(VALU_DEP_1) | instskip(NEXT) | instid1(VALU_DEP_1)
	v_subrev_nc_u32_e32 v52, 28, v11
	v_lshlrev_b64_e32 v[52:53], v52, v[102:103]
	s_delay_alu instid0(VALU_DEP_1)
	v_dual_sub_nc_u32 v11, 29, v11 :: v_dual_bitop2_b32 v102, 7, v52 bitop3:0x40
; %bb.1337:                             ;   in Loop: Header=BB224_934 Depth=1
	s_or_b32 exec_lo, exec_lo, s16
	v_lshlrev_b32_e32 v52, 24, v54
	s_delay_alu instid0(VALU_DEP_2) | instskip(NEXT) | instid1(VALU_DEP_3)
	v_lshlrev_b32_e32 v53, 20, v102
	v_lshl_add_u32 v11, v11, 23, 0x3c000000
	s_delay_alu instid0(VALU_DEP_3) | instskip(NEXT) | instid1(VALU_DEP_1)
	v_and_b32_e32 v52, 0x80000000, v52
	v_or3_b32 v53, v53, v52, v11
	v_mov_b32_e32 v52, v103
.LBB224_1338:                           ;   in Loop: Header=BB224_934 Depth=1
	s_or_b32 exec_lo, exec_lo, s9
.LBB224_1339:                           ;   in Loop: Header=BB224_934 Depth=1
	s_delay_alu instid0(SALU_CYCLE_1)
	s_or_b32 exec_lo, exec_lo, s8
.LBB224_1340:                           ;   in Loop: Header=BB224_934 Depth=1
	s_delay_alu instid0(SALU_CYCLE_1) | instskip(SKIP_4) | instid1(VALU_DEP_3)
	s_or_b32 exec_lo, exec_lo, s3
	v_or_b32_e32 v1, v1, v19
	v_or_b32_e32 v0, v0, v18
	;; [unrolled: 1-line block ×4, first 2 shown]
	v_pk_mul_f32 v[58:59], v[22:23], v[0:1]
	s_delay_alu instid0(VALU_DEP_2)
	v_pk_mul_f32 v[56:57], v[22:23], v[6:7]
	s_and_saveexec_b32 s3, vcc_lo
	s_cbranch_execz .LBB224_1342
; %bb.1341:                             ;   in Loop: Header=BB224_934 Depth=1
	scratch_load_b64 v[0:1], off, s32 offset:200 ; 8-byte Folded Reload
	s_wait_loadcnt 0x0
	v_cmp_lt_i32_e64 s0, v17, v0
	s_delay_alu instid0(VALU_DEP_1) | instskip(SKIP_1) | instid1(VALU_DEP_1)
	v_cndmask_b32_e64 v58, 0, v58, s0
	v_cmp_lt_i32_e64 s0, v114, v0
	v_cndmask_b32_e64 v59, 0, v59, s0
	v_cmp_lt_i32_e64 s0, v10, v0
	s_delay_alu instid0(VALU_DEP_1) | instskip(SKIP_1) | instid1(VALU_DEP_1)
	v_cndmask_b32_e64 v56, 0, v56, s0
	v_cmp_lt_i32_e64 s0, v115, v0
	v_cndmask_b32_e64 v57, 0, v57, s0
.LBB224_1342:                           ;   in Loop: Header=BB224_934 Depth=1
	s_wait_xcnt 0x0
	s_or_b32 exec_lo, exec_lo, s3
	flat_load_b32 v11, v[68:69] offset:1536
	v_mov_b64_e32 v[0:1], 0
	v_mov_b64_e32 v[18:19], 0
	s_mov_b32 s3, exec_lo
	s_wait_loadcnt_dscnt 0x0
	v_and_b32_e32 v6, 0xff, v11
	s_wait_xcnt 0x0
	s_delay_alu instid0(VALU_DEP_1)
	v_cmpx_ne_u16_e32 0, v6
	s_cbranch_execz .LBB224_1350
; %bb.1343:                             ;   in Loop: Header=BB224_934 Depth=1
	v_mov_b64_e32 v[18:19], 0x80000000
	s_mov_b32 s8, exec_lo
	v_cmpx_ne_u16_e32 0x80, v6
	s_cbranch_execz .LBB224_1349
; %bb.1344:                             ;   in Loop: Header=BB224_934 Depth=1
	v_mov_b64_e32 v[18:19], 0x7f800001
	v_and_b32_e32 v7, 0x7f, v11
	s_mov_b32 s9, exec_lo
	s_delay_alu instid0(VALU_DEP_1)
	v_cmpx_ne_u32_e32 0x7f, v7
	s_cbranch_execz .LBB224_1348
; %bb.1345:                             ;   in Loop: Header=BB224_934 Depth=1
	v_and_b32_e32 v102, 7, v11
	v_lshrrev_b32_e32 v6, 3, v7
	s_mov_b32 s16, exec_lo
	v_cmpx_gt_u32_e32 8, v7
; %bb.1346:                             ;   in Loop: Header=BB224_934 Depth=1
	s_delay_alu instid0(VALU_DEP_3) | instskip(NEXT) | instid1(VALU_DEP_1)
	v_clz_i32_u32_e32 v6, v102
	v_min_u32_e32 v6, 32, v6
	s_delay_alu instid0(VALU_DEP_1) | instskip(SKIP_1) | instid1(VALU_DEP_2)
	v_subrev_nc_u32_e32 v7, 28, v6
	v_sub_nc_u32_e32 v6, 29, v6
	v_lshlrev_b64_e32 v[18:19], v7, v[102:103]
	s_delay_alu instid0(VALU_DEP_1)
	v_and_b32_e32 v102, 7, v18
; %bb.1347:                             ;   in Loop: Header=BB224_934 Depth=1
	s_or_b32 exec_lo, exec_lo, s16
	s_delay_alu instid0(VALU_DEP_1) | instskip(SKIP_1) | instid1(VALU_DEP_2)
	v_dual_lshlrev_b32 v7, 24, v11 :: v_dual_lshlrev_b32 v18, 20, v102
	v_lshl_add_u32 v6, v6, 23, 0x3c000000
	v_and_b32_e32 v7, 0x80000000, v7
	s_delay_alu instid0(VALU_DEP_1) | instskip(NEXT) | instid1(VALU_DEP_1)
	v_or3_b32 v102, v18, v7, v6
	v_mov_b64_e32 v[18:19], v[102:103]
.LBB224_1348:                           ;   in Loop: Header=BB224_934 Depth=1
	s_or_b32 exec_lo, exec_lo, s9
.LBB224_1349:                           ;   in Loop: Header=BB224_934 Depth=1
	s_delay_alu instid0(SALU_CYCLE_1)
	s_or_b32 exec_lo, exec_lo, s8
.LBB224_1350:                           ;   in Loop: Header=BB224_934 Depth=1
	s_delay_alu instid0(SALU_CYCLE_1) | instskip(SKIP_2) | instid1(VALU_DEP_1)
	s_or_b32 exec_lo, exec_lo, s3
	v_lshrrev_b16 v6, 8, v11
	s_mov_b32 s3, exec_lo
	v_cmpx_ne_u16_e32 0, v6
	s_cbranch_execz .LBB224_1358
; %bb.1351:                             ;   in Loop: Header=BB224_934 Depth=1
	v_mov_b64_e32 v[0:1], 0x8000000000000000
	s_mov_b32 s8, exec_lo
	v_cmpx_ne_u16_e32 0x80, v6
	s_cbranch_execz .LBB224_1357
; %bb.1352:                             ;   in Loop: Header=BB224_934 Depth=1
	v_and_b32_e32 v7, 0xffff, v6
	v_mov_b64_e32 v[0:1], 0x7f80000100000000
	s_mov_b32 s9, exec_lo
	s_delay_alu instid0(VALU_DEP_2) | instskip(NEXT) | instid1(VALU_DEP_1)
	v_and_b32_e32 v6, 0x7f, v7
	v_cmpx_ne_u32_e32 0x7f, v6
	s_cbranch_execz .LBB224_1356
; %bb.1353:                             ;   in Loop: Header=BB224_934 Depth=1
	v_dual_lshrrev_b32 v0, 3, v6 :: v_dual_bitop2_b32 v102, 7, v7 bitop3:0x40
	s_mov_b32 s16, exec_lo
	v_cmpx_gt_u32_e32 8, v6
; %bb.1354:                             ;   in Loop: Header=BB224_934 Depth=1
	s_delay_alu instid0(VALU_DEP_2) | instskip(NEXT) | instid1(VALU_DEP_1)
	v_clz_i32_u32_e32 v0, v102
	v_min_u32_e32 v0, 32, v0
	s_delay_alu instid0(VALU_DEP_1) | instskip(NEXT) | instid1(VALU_DEP_1)
	v_subrev_nc_u32_e32 v1, 28, v0
	v_lshlrev_b64_e32 v[6:7], v1, v[102:103]
	s_delay_alu instid0(VALU_DEP_1)
	v_dual_sub_nc_u32 v0, 29, v0 :: v_dual_bitop2_b32 v102, 7, v6 bitop3:0x40
; %bb.1355:                             ;   in Loop: Header=BB224_934 Depth=1
	s_or_b32 exec_lo, exec_lo, s16
	s_delay_alu instid0(VALU_DEP_1) | instskip(NEXT) | instid1(VALU_DEP_2)
	v_dual_lshlrev_b32 v1, 16, v11 :: v_dual_lshlrev_b32 v6, 20, v102
	v_lshl_add_u32 v0, v0, 23, 0x3c000000
	s_delay_alu instid0(VALU_DEP_2) | instskip(NEXT) | instid1(VALU_DEP_1)
	v_and_b32_e32 v1, 0x80000000, v1
	v_or3_b32 v1, v6, v1, v0
	v_mov_b32_e32 v0, v103
.LBB224_1356:                           ;   in Loop: Header=BB224_934 Depth=1
	s_or_b32 exec_lo, exec_lo, s9
.LBB224_1357:                           ;   in Loop: Header=BB224_934 Depth=1
	s_delay_alu instid0(SALU_CYCLE_1)
	s_or_b32 exec_lo, exec_lo, s8
.LBB224_1358:                           ;   in Loop: Header=BB224_934 Depth=1
	s_delay_alu instid0(SALU_CYCLE_1) | instskip(SKIP_4) | instid1(VALU_DEP_3)
	s_or_b32 exec_lo, exec_lo, s3
	v_lshrrev_b32_e32 v54, 16, v11
	v_mov_b64_e32 v[52:53], 0
	v_mov_b64_e32 v[6:7], 0
	s_mov_b32 s3, exec_lo
	v_and_b32_e32 v55, 0xff, v54
	s_delay_alu instid0(VALU_DEP_1)
	v_cmpx_ne_u16_e32 0, v55
	s_cbranch_execz .LBB224_1366
; %bb.1359:                             ;   in Loop: Header=BB224_934 Depth=1
	v_mov_b64_e32 v[6:7], 0x80000000
	s_mov_b32 s8, exec_lo
	v_cmpx_ne_u16_e32 0x80, v55
	s_cbranch_execz .LBB224_1365
; %bb.1360:                             ;   in Loop: Header=BB224_934 Depth=1
	v_mov_b64_e32 v[6:7], 0x7f800001
	v_bfe_u32 v55, v11, 16, 7
	s_mov_b32 s9, exec_lo
	s_delay_alu instid0(VALU_DEP_1)
	v_cmpx_ne_u32_e32 0x7f, v55
	s_cbranch_execz .LBB224_1364
; %bb.1361:                             ;   in Loop: Header=BB224_934 Depth=1
	v_dual_lshrrev_b32 v6, 3, v55 :: v_dual_bitop2_b32 v102, 7, v54 bitop3:0x40
	s_mov_b32 s16, exec_lo
	v_cmpx_gt_u32_e32 8, v55
; %bb.1362:                             ;   in Loop: Header=BB224_934 Depth=1
	s_delay_alu instid0(VALU_DEP_2) | instskip(NEXT) | instid1(VALU_DEP_1)
	v_clz_i32_u32_e32 v6, v102
	v_min_u32_e32 v6, 32, v6
	s_delay_alu instid0(VALU_DEP_1) | instskip(NEXT) | instid1(VALU_DEP_1)
	v_subrev_nc_u32_e32 v7, 28, v6
	v_lshlrev_b64_e32 v[64:65], v7, v[102:103]
	s_delay_alu instid0(VALU_DEP_1)
	v_dual_sub_nc_u32 v6, 29, v6 :: v_dual_bitop2_b32 v102, 7, v64 bitop3:0x40
; %bb.1363:                             ;   in Loop: Header=BB224_934 Depth=1
	s_or_b32 exec_lo, exec_lo, s16
	v_lshlrev_b32_e32 v7, 24, v54
	s_delay_alu instid0(VALU_DEP_2) | instskip(NEXT) | instid1(VALU_DEP_3)
	v_lshlrev_b32_e32 v54, 20, v102
	v_lshl_add_u32 v6, v6, 23, 0x3c000000
	s_delay_alu instid0(VALU_DEP_3) | instskip(NEXT) | instid1(VALU_DEP_1)
	v_and_b32_e32 v7, 0x80000000, v7
	v_or3_b32 v102, v54, v7, v6
	s_delay_alu instid0(VALU_DEP_1)
	v_mov_b64_e32 v[6:7], v[102:103]
.LBB224_1364:                           ;   in Loop: Header=BB224_934 Depth=1
	s_or_b32 exec_lo, exec_lo, s9
.LBB224_1365:                           ;   in Loop: Header=BB224_934 Depth=1
	s_delay_alu instid0(SALU_CYCLE_1)
	s_or_b32 exec_lo, exec_lo, s8
.LBB224_1366:                           ;   in Loop: Header=BB224_934 Depth=1
	s_delay_alu instid0(SALU_CYCLE_1) | instskip(NEXT) | instid1(SALU_CYCLE_1)
	s_or_b32 exec_lo, exec_lo, s3
	s_mov_b32 s3, exec_lo
	v_cmpx_lt_u32_e32 0xffffff, v11
	s_cbranch_execz .LBB224_1374
; %bb.1367:                             ;   in Loop: Header=BB224_934 Depth=1
	v_mov_b64_e32 v[52:53], 0x8000000000000000
	v_lshrrev_b32_e32 v54, 24, v11
	s_mov_b32 s8, exec_lo
	s_delay_alu instid0(VALU_DEP_1)
	v_cmpx_ne_u32_e32 0x80, v54
	s_cbranch_execz .LBB224_1373
; %bb.1368:                             ;   in Loop: Header=BB224_934 Depth=1
	v_mov_b64_e32 v[52:53], 0x7f80000100000000
	v_bfe_u32 v55, v11, 24, 7
	s_mov_b32 s9, exec_lo
	s_delay_alu instid0(VALU_DEP_1)
	v_cmpx_ne_u32_e32 0x7f, v55
	s_cbranch_execz .LBB224_1372
; %bb.1369:                             ;   in Loop: Header=BB224_934 Depth=1
	v_dual_lshrrev_b32 v11, 3, v55 :: v_dual_bitop2_b32 v102, 7, v54 bitop3:0x40
	s_mov_b32 s16, exec_lo
	v_cmpx_gt_u32_e32 8, v55
; %bb.1370:                             ;   in Loop: Header=BB224_934 Depth=1
	s_delay_alu instid0(VALU_DEP_2) | instskip(NEXT) | instid1(VALU_DEP_1)
	v_clz_i32_u32_e32 v11, v102
	v_min_u32_e32 v11, 32, v11
	s_delay_alu instid0(VALU_DEP_1) | instskip(NEXT) | instid1(VALU_DEP_1)
	v_subrev_nc_u32_e32 v52, 28, v11
	v_lshlrev_b64_e32 v[52:53], v52, v[102:103]
	s_delay_alu instid0(VALU_DEP_1)
	v_dual_sub_nc_u32 v11, 29, v11 :: v_dual_bitop2_b32 v102, 7, v52 bitop3:0x40
; %bb.1371:                             ;   in Loop: Header=BB224_934 Depth=1
	s_or_b32 exec_lo, exec_lo, s16
	v_lshlrev_b32_e32 v52, 24, v54
	s_delay_alu instid0(VALU_DEP_2) | instskip(NEXT) | instid1(VALU_DEP_3)
	v_lshlrev_b32_e32 v53, 20, v102
	v_lshl_add_u32 v11, v11, 23, 0x3c000000
	s_delay_alu instid0(VALU_DEP_3) | instskip(NEXT) | instid1(VALU_DEP_1)
	v_and_b32_e32 v52, 0x80000000, v52
	v_or3_b32 v53, v53, v52, v11
	v_mov_b32_e32 v52, v103
.LBB224_1372:                           ;   in Loop: Header=BB224_934 Depth=1
	s_or_b32 exec_lo, exec_lo, s9
.LBB224_1373:                           ;   in Loop: Header=BB224_934 Depth=1
	s_delay_alu instid0(SALU_CYCLE_1)
	s_or_b32 exec_lo, exec_lo, s8
.LBB224_1374:                           ;   in Loop: Header=BB224_934 Depth=1
	s_delay_alu instid0(SALU_CYCLE_1) | instskip(SKIP_4) | instid1(VALU_DEP_3)
	s_or_b32 exec_lo, exec_lo, s3
	v_or_b32_e32 v1, v1, v19
	v_or_b32_e32 v0, v0, v18
	v_or_b32_e32 v7, v53, v7
	v_or_b32_e32 v6, v52, v6
	v_pk_mul_f32 v[62:63], v[22:23], v[0:1]
	s_delay_alu instid0(VALU_DEP_2)
	v_pk_mul_f32 v[60:61], v[22:23], v[6:7]
	s_and_saveexec_b32 s3, vcc_lo
	s_cbranch_execz .LBB224_1376
; %bb.1375:                             ;   in Loop: Header=BB224_934 Depth=1
	scratch_load_b64 v[0:1], off, s32 offset:200 ; 8-byte Folded Reload
	s_wait_loadcnt 0x0
	v_cmp_lt_i32_e64 s0, v17, v0
	s_delay_alu instid0(VALU_DEP_1) | instskip(SKIP_1) | instid1(VALU_DEP_1)
	v_cndmask_b32_e64 v62, 0, v62, s0
	v_cmp_lt_i32_e64 s0, v114, v0
	v_cndmask_b32_e64 v63, 0, v63, s0
	v_cmp_lt_i32_e64 s0, v10, v0
	s_delay_alu instid0(VALU_DEP_1) | instskip(SKIP_1) | instid1(VALU_DEP_1)
	v_cndmask_b32_e64 v60, 0, v60, s0
	v_cmp_lt_i32_e64 s0, v115, v0
	v_cndmask_b32_e64 v61, 0, v61, s0
.LBB224_1376:                           ;   in Loop: Header=BB224_934 Depth=1
	s_wait_xcnt 0x0
	s_or_b32 exec_lo, exec_lo, s3
	flat_load_b32 v11, v[68:69] offset:1664
	v_mov_b64_e32 v[0:1], 0
	v_mov_b64_e32 v[18:19], 0
	s_mov_b32 s3, exec_lo
	s_wait_loadcnt_dscnt 0x0
	v_and_b32_e32 v6, 0xff, v11
	s_wait_xcnt 0x0
	s_delay_alu instid0(VALU_DEP_1)
	v_cmpx_ne_u16_e32 0, v6
	s_cbranch_execz .LBB224_1384
; %bb.1377:                             ;   in Loop: Header=BB224_934 Depth=1
	v_mov_b64_e32 v[18:19], 0x80000000
	s_mov_b32 s8, exec_lo
	v_cmpx_ne_u16_e32 0x80, v6
	s_cbranch_execz .LBB224_1383
; %bb.1378:                             ;   in Loop: Header=BB224_934 Depth=1
	v_mov_b64_e32 v[18:19], 0x7f800001
	v_and_b32_e32 v7, 0x7f, v11
	s_mov_b32 s9, exec_lo
	s_delay_alu instid0(VALU_DEP_1)
	v_cmpx_ne_u32_e32 0x7f, v7
	s_cbranch_execz .LBB224_1382
; %bb.1379:                             ;   in Loop: Header=BB224_934 Depth=1
	v_and_b32_e32 v102, 7, v11
	v_lshrrev_b32_e32 v6, 3, v7
	s_mov_b32 s16, exec_lo
	v_cmpx_gt_u32_e32 8, v7
; %bb.1380:                             ;   in Loop: Header=BB224_934 Depth=1
	s_delay_alu instid0(VALU_DEP_3) | instskip(NEXT) | instid1(VALU_DEP_1)
	v_clz_i32_u32_e32 v6, v102
	v_min_u32_e32 v6, 32, v6
	s_delay_alu instid0(VALU_DEP_1) | instskip(SKIP_1) | instid1(VALU_DEP_2)
	v_subrev_nc_u32_e32 v7, 28, v6
	v_sub_nc_u32_e32 v6, 29, v6
	v_lshlrev_b64_e32 v[18:19], v7, v[102:103]
	s_delay_alu instid0(VALU_DEP_1)
	v_and_b32_e32 v102, 7, v18
; %bb.1381:                             ;   in Loop: Header=BB224_934 Depth=1
	s_or_b32 exec_lo, exec_lo, s16
	s_delay_alu instid0(VALU_DEP_1) | instskip(SKIP_1) | instid1(VALU_DEP_2)
	v_dual_lshlrev_b32 v7, 24, v11 :: v_dual_lshlrev_b32 v18, 20, v102
	v_lshl_add_u32 v6, v6, 23, 0x3c000000
	v_and_b32_e32 v7, 0x80000000, v7
	s_delay_alu instid0(VALU_DEP_1) | instskip(NEXT) | instid1(VALU_DEP_1)
	v_or3_b32 v102, v18, v7, v6
	v_mov_b64_e32 v[18:19], v[102:103]
.LBB224_1382:                           ;   in Loop: Header=BB224_934 Depth=1
	s_or_b32 exec_lo, exec_lo, s9
.LBB224_1383:                           ;   in Loop: Header=BB224_934 Depth=1
	s_delay_alu instid0(SALU_CYCLE_1)
	s_or_b32 exec_lo, exec_lo, s8
.LBB224_1384:                           ;   in Loop: Header=BB224_934 Depth=1
	s_delay_alu instid0(SALU_CYCLE_1) | instskip(SKIP_2) | instid1(VALU_DEP_1)
	s_or_b32 exec_lo, exec_lo, s3
	v_lshrrev_b16 v6, 8, v11
	s_mov_b32 s3, exec_lo
	v_cmpx_ne_u16_e32 0, v6
	s_cbranch_execz .LBB224_1392
; %bb.1385:                             ;   in Loop: Header=BB224_934 Depth=1
	v_mov_b64_e32 v[0:1], 0x8000000000000000
	s_mov_b32 s8, exec_lo
	v_cmpx_ne_u16_e32 0x80, v6
	s_cbranch_execz .LBB224_1391
; %bb.1386:                             ;   in Loop: Header=BB224_934 Depth=1
	v_and_b32_e32 v7, 0xffff, v6
	v_mov_b64_e32 v[0:1], 0x7f80000100000000
	s_mov_b32 s9, exec_lo
	s_delay_alu instid0(VALU_DEP_2) | instskip(NEXT) | instid1(VALU_DEP_1)
	v_and_b32_e32 v6, 0x7f, v7
	v_cmpx_ne_u32_e32 0x7f, v6
	s_cbranch_execz .LBB224_1390
; %bb.1387:                             ;   in Loop: Header=BB224_934 Depth=1
	v_dual_lshrrev_b32 v0, 3, v6 :: v_dual_bitop2_b32 v102, 7, v7 bitop3:0x40
	s_mov_b32 s16, exec_lo
	v_cmpx_gt_u32_e32 8, v6
; %bb.1388:                             ;   in Loop: Header=BB224_934 Depth=1
	s_delay_alu instid0(VALU_DEP_2) | instskip(NEXT) | instid1(VALU_DEP_1)
	v_clz_i32_u32_e32 v0, v102
	v_min_u32_e32 v0, 32, v0
	s_delay_alu instid0(VALU_DEP_1) | instskip(NEXT) | instid1(VALU_DEP_1)
	v_subrev_nc_u32_e32 v1, 28, v0
	v_lshlrev_b64_e32 v[6:7], v1, v[102:103]
	s_delay_alu instid0(VALU_DEP_1)
	v_dual_sub_nc_u32 v0, 29, v0 :: v_dual_bitop2_b32 v102, 7, v6 bitop3:0x40
; %bb.1389:                             ;   in Loop: Header=BB224_934 Depth=1
	s_or_b32 exec_lo, exec_lo, s16
	s_delay_alu instid0(VALU_DEP_1) | instskip(NEXT) | instid1(VALU_DEP_2)
	v_dual_lshlrev_b32 v1, 16, v11 :: v_dual_lshlrev_b32 v6, 20, v102
	v_lshl_add_u32 v0, v0, 23, 0x3c000000
	s_delay_alu instid0(VALU_DEP_2) | instskip(NEXT) | instid1(VALU_DEP_1)
	v_and_b32_e32 v1, 0x80000000, v1
	v_or3_b32 v1, v6, v1, v0
	v_mov_b32_e32 v0, v103
.LBB224_1390:                           ;   in Loop: Header=BB224_934 Depth=1
	s_or_b32 exec_lo, exec_lo, s9
.LBB224_1391:                           ;   in Loop: Header=BB224_934 Depth=1
	s_delay_alu instid0(SALU_CYCLE_1)
	s_or_b32 exec_lo, exec_lo, s8
.LBB224_1392:                           ;   in Loop: Header=BB224_934 Depth=1
	s_delay_alu instid0(SALU_CYCLE_1) | instskip(SKIP_4) | instid1(VALU_DEP_3)
	s_or_b32 exec_lo, exec_lo, s3
	v_lshrrev_b32_e32 v54, 16, v11
	v_mov_b64_e32 v[52:53], 0
	v_mov_b64_e32 v[6:7], 0
	s_mov_b32 s3, exec_lo
	v_and_b32_e32 v55, 0xff, v54
	s_delay_alu instid0(VALU_DEP_1)
	v_cmpx_ne_u16_e32 0, v55
	s_cbranch_execz .LBB224_1400
; %bb.1393:                             ;   in Loop: Header=BB224_934 Depth=1
	v_mov_b64_e32 v[6:7], 0x80000000
	s_mov_b32 s8, exec_lo
	v_cmpx_ne_u16_e32 0x80, v55
	s_cbranch_execz .LBB224_1399
; %bb.1394:                             ;   in Loop: Header=BB224_934 Depth=1
	v_mov_b64_e32 v[6:7], 0x7f800001
	v_bfe_u32 v55, v11, 16, 7
	s_mov_b32 s9, exec_lo
	s_delay_alu instid0(VALU_DEP_1)
	v_cmpx_ne_u32_e32 0x7f, v55
	s_cbranch_execz .LBB224_1398
; %bb.1395:                             ;   in Loop: Header=BB224_934 Depth=1
	v_dual_lshrrev_b32 v6, 3, v55 :: v_dual_bitop2_b32 v102, 7, v54 bitop3:0x40
	s_mov_b32 s16, exec_lo
	v_cmpx_gt_u32_e32 8, v55
; %bb.1396:                             ;   in Loop: Header=BB224_934 Depth=1
	s_delay_alu instid0(VALU_DEP_2) | instskip(NEXT) | instid1(VALU_DEP_1)
	v_clz_i32_u32_e32 v6, v102
	v_min_u32_e32 v6, 32, v6
	s_delay_alu instid0(VALU_DEP_1) | instskip(NEXT) | instid1(VALU_DEP_1)
	v_subrev_nc_u32_e32 v7, 28, v6
	v_lshlrev_b64_e32 v[64:65], v7, v[102:103]
	s_delay_alu instid0(VALU_DEP_1)
	v_dual_sub_nc_u32 v6, 29, v6 :: v_dual_bitop2_b32 v102, 7, v64 bitop3:0x40
; %bb.1397:                             ;   in Loop: Header=BB224_934 Depth=1
	s_or_b32 exec_lo, exec_lo, s16
	v_lshlrev_b32_e32 v7, 24, v54
	s_delay_alu instid0(VALU_DEP_2) | instskip(NEXT) | instid1(VALU_DEP_3)
	v_lshlrev_b32_e32 v54, 20, v102
	v_lshl_add_u32 v6, v6, 23, 0x3c000000
	s_delay_alu instid0(VALU_DEP_3) | instskip(NEXT) | instid1(VALU_DEP_1)
	v_and_b32_e32 v7, 0x80000000, v7
	v_or3_b32 v102, v54, v7, v6
	s_delay_alu instid0(VALU_DEP_1)
	v_mov_b64_e32 v[6:7], v[102:103]
.LBB224_1398:                           ;   in Loop: Header=BB224_934 Depth=1
	s_or_b32 exec_lo, exec_lo, s9
.LBB224_1399:                           ;   in Loop: Header=BB224_934 Depth=1
	s_delay_alu instid0(SALU_CYCLE_1)
	s_or_b32 exec_lo, exec_lo, s8
.LBB224_1400:                           ;   in Loop: Header=BB224_934 Depth=1
	s_delay_alu instid0(SALU_CYCLE_1) | instskip(NEXT) | instid1(SALU_CYCLE_1)
	s_or_b32 exec_lo, exec_lo, s3
	s_mov_b32 s3, exec_lo
	v_cmpx_lt_u32_e32 0xffffff, v11
	s_cbranch_execz .LBB224_1408
; %bb.1401:                             ;   in Loop: Header=BB224_934 Depth=1
	v_mov_b64_e32 v[52:53], 0x8000000000000000
	v_lshrrev_b32_e32 v54, 24, v11
	s_mov_b32 s8, exec_lo
	s_delay_alu instid0(VALU_DEP_1)
	v_cmpx_ne_u32_e32 0x80, v54
	s_cbranch_execz .LBB224_1407
; %bb.1402:                             ;   in Loop: Header=BB224_934 Depth=1
	v_mov_b64_e32 v[52:53], 0x7f80000100000000
	v_bfe_u32 v55, v11, 24, 7
	s_mov_b32 s9, exec_lo
	s_delay_alu instid0(VALU_DEP_1)
	v_cmpx_ne_u32_e32 0x7f, v55
	s_cbranch_execz .LBB224_1406
; %bb.1403:                             ;   in Loop: Header=BB224_934 Depth=1
	v_dual_lshrrev_b32 v11, 3, v55 :: v_dual_bitop2_b32 v102, 7, v54 bitop3:0x40
	s_mov_b32 s16, exec_lo
	v_cmpx_gt_u32_e32 8, v55
; %bb.1404:                             ;   in Loop: Header=BB224_934 Depth=1
	s_delay_alu instid0(VALU_DEP_2) | instskip(NEXT) | instid1(VALU_DEP_1)
	v_clz_i32_u32_e32 v11, v102
	v_min_u32_e32 v11, 32, v11
	s_delay_alu instid0(VALU_DEP_1) | instskip(NEXT) | instid1(VALU_DEP_1)
	v_subrev_nc_u32_e32 v52, 28, v11
	v_lshlrev_b64_e32 v[52:53], v52, v[102:103]
	s_delay_alu instid0(VALU_DEP_1)
	v_dual_sub_nc_u32 v11, 29, v11 :: v_dual_bitop2_b32 v102, 7, v52 bitop3:0x40
; %bb.1405:                             ;   in Loop: Header=BB224_934 Depth=1
	s_or_b32 exec_lo, exec_lo, s16
	v_lshlrev_b32_e32 v52, 24, v54
	s_delay_alu instid0(VALU_DEP_2) | instskip(NEXT) | instid1(VALU_DEP_3)
	v_lshlrev_b32_e32 v53, 20, v102
	v_lshl_add_u32 v11, v11, 23, 0x3c000000
	s_delay_alu instid0(VALU_DEP_3) | instskip(NEXT) | instid1(VALU_DEP_1)
	v_and_b32_e32 v52, 0x80000000, v52
	v_or3_b32 v53, v53, v52, v11
	v_mov_b32_e32 v52, v103
.LBB224_1406:                           ;   in Loop: Header=BB224_934 Depth=1
	s_or_b32 exec_lo, exec_lo, s9
.LBB224_1407:                           ;   in Loop: Header=BB224_934 Depth=1
	s_delay_alu instid0(SALU_CYCLE_1)
	s_or_b32 exec_lo, exec_lo, s8
.LBB224_1408:                           ;   in Loop: Header=BB224_934 Depth=1
	s_delay_alu instid0(SALU_CYCLE_1) | instskip(SKIP_4) | instid1(VALU_DEP_3)
	s_or_b32 exec_lo, exec_lo, s3
	v_or_b32_e32 v1, v1, v19
	v_or_b32_e32 v0, v0, v18
	;; [unrolled: 1-line block ×4, first 2 shown]
	v_pk_mul_f32 v[74:75], v[22:23], v[0:1]
	s_delay_alu instid0(VALU_DEP_2)
	v_pk_mul_f32 v[72:73], v[22:23], v[6:7]
	s_and_saveexec_b32 s3, vcc_lo
	s_cbranch_execz .LBB224_1410
; %bb.1409:                             ;   in Loop: Header=BB224_934 Depth=1
	scratch_load_b64 v[0:1], off, s32 offset:200 ; 8-byte Folded Reload
	s_wait_loadcnt 0x0
	v_cmp_lt_i32_e64 s0, v17, v0
	s_delay_alu instid0(VALU_DEP_1) | instskip(SKIP_1) | instid1(VALU_DEP_1)
	v_cndmask_b32_e64 v74, 0, v74, s0
	v_cmp_lt_i32_e64 s0, v114, v0
	v_cndmask_b32_e64 v75, 0, v75, s0
	v_cmp_lt_i32_e64 s0, v10, v0
	s_delay_alu instid0(VALU_DEP_1) | instskip(SKIP_1) | instid1(VALU_DEP_1)
	v_cndmask_b32_e64 v72, 0, v72, s0
	v_cmp_lt_i32_e64 s0, v115, v0
	v_cndmask_b32_e64 v73, 0, v73, s0
.LBB224_1410:                           ;   in Loop: Header=BB224_934 Depth=1
	s_wait_xcnt 0x0
	s_or_b32 exec_lo, exec_lo, s3
	flat_load_b32 v11, v[68:69] offset:1792
	v_mov_b64_e32 v[0:1], 0
	v_mov_b64_e32 v[18:19], 0
	s_mov_b32 s3, exec_lo
	s_wait_loadcnt_dscnt 0x0
	v_and_b32_e32 v6, 0xff, v11
	s_wait_xcnt 0x0
	s_delay_alu instid0(VALU_DEP_1)
	v_cmpx_ne_u16_e32 0, v6
	s_cbranch_execz .LBB224_1418
; %bb.1411:                             ;   in Loop: Header=BB224_934 Depth=1
	v_mov_b64_e32 v[18:19], 0x80000000
	s_mov_b32 s8, exec_lo
	v_cmpx_ne_u16_e32 0x80, v6
	s_cbranch_execz .LBB224_1417
; %bb.1412:                             ;   in Loop: Header=BB224_934 Depth=1
	v_mov_b64_e32 v[18:19], 0x7f800001
	v_and_b32_e32 v7, 0x7f, v11
	s_mov_b32 s9, exec_lo
	s_delay_alu instid0(VALU_DEP_1)
	v_cmpx_ne_u32_e32 0x7f, v7
	s_cbranch_execz .LBB224_1416
; %bb.1413:                             ;   in Loop: Header=BB224_934 Depth=1
	v_and_b32_e32 v102, 7, v11
	v_lshrrev_b32_e32 v6, 3, v7
	s_mov_b32 s16, exec_lo
	v_cmpx_gt_u32_e32 8, v7
; %bb.1414:                             ;   in Loop: Header=BB224_934 Depth=1
	s_delay_alu instid0(VALU_DEP_3) | instskip(NEXT) | instid1(VALU_DEP_1)
	v_clz_i32_u32_e32 v6, v102
	v_min_u32_e32 v6, 32, v6
	s_delay_alu instid0(VALU_DEP_1) | instskip(SKIP_1) | instid1(VALU_DEP_2)
	v_subrev_nc_u32_e32 v7, 28, v6
	v_sub_nc_u32_e32 v6, 29, v6
	v_lshlrev_b64_e32 v[18:19], v7, v[102:103]
	s_delay_alu instid0(VALU_DEP_1)
	v_and_b32_e32 v102, 7, v18
; %bb.1415:                             ;   in Loop: Header=BB224_934 Depth=1
	s_or_b32 exec_lo, exec_lo, s16
	s_delay_alu instid0(VALU_DEP_1) | instskip(SKIP_1) | instid1(VALU_DEP_2)
	v_dual_lshlrev_b32 v7, 24, v11 :: v_dual_lshlrev_b32 v18, 20, v102
	v_lshl_add_u32 v6, v6, 23, 0x3c000000
	v_and_b32_e32 v7, 0x80000000, v7
	s_delay_alu instid0(VALU_DEP_1) | instskip(NEXT) | instid1(VALU_DEP_1)
	v_or3_b32 v102, v18, v7, v6
	v_mov_b64_e32 v[18:19], v[102:103]
.LBB224_1416:                           ;   in Loop: Header=BB224_934 Depth=1
	s_or_b32 exec_lo, exec_lo, s9
.LBB224_1417:                           ;   in Loop: Header=BB224_934 Depth=1
	s_delay_alu instid0(SALU_CYCLE_1)
	s_or_b32 exec_lo, exec_lo, s8
.LBB224_1418:                           ;   in Loop: Header=BB224_934 Depth=1
	s_delay_alu instid0(SALU_CYCLE_1) | instskip(SKIP_2) | instid1(VALU_DEP_1)
	s_or_b32 exec_lo, exec_lo, s3
	v_lshrrev_b16 v6, 8, v11
	s_mov_b32 s3, exec_lo
	v_cmpx_ne_u16_e32 0, v6
	s_cbranch_execz .LBB224_1426
; %bb.1419:                             ;   in Loop: Header=BB224_934 Depth=1
	v_mov_b64_e32 v[0:1], 0x8000000000000000
	s_mov_b32 s8, exec_lo
	v_cmpx_ne_u16_e32 0x80, v6
	s_cbranch_execz .LBB224_1425
; %bb.1420:                             ;   in Loop: Header=BB224_934 Depth=1
	v_and_b32_e32 v7, 0xffff, v6
	v_mov_b64_e32 v[0:1], 0x7f80000100000000
	s_mov_b32 s9, exec_lo
	s_delay_alu instid0(VALU_DEP_2) | instskip(NEXT) | instid1(VALU_DEP_1)
	v_and_b32_e32 v6, 0x7f, v7
	v_cmpx_ne_u32_e32 0x7f, v6
	s_cbranch_execz .LBB224_1424
; %bb.1421:                             ;   in Loop: Header=BB224_934 Depth=1
	v_dual_lshrrev_b32 v0, 3, v6 :: v_dual_bitop2_b32 v102, 7, v7 bitop3:0x40
	s_mov_b32 s16, exec_lo
	v_cmpx_gt_u32_e32 8, v6
; %bb.1422:                             ;   in Loop: Header=BB224_934 Depth=1
	s_delay_alu instid0(VALU_DEP_2) | instskip(NEXT) | instid1(VALU_DEP_1)
	v_clz_i32_u32_e32 v0, v102
	v_min_u32_e32 v0, 32, v0
	s_delay_alu instid0(VALU_DEP_1) | instskip(NEXT) | instid1(VALU_DEP_1)
	v_subrev_nc_u32_e32 v1, 28, v0
	v_lshlrev_b64_e32 v[6:7], v1, v[102:103]
	s_delay_alu instid0(VALU_DEP_1)
	v_dual_sub_nc_u32 v0, 29, v0 :: v_dual_bitop2_b32 v102, 7, v6 bitop3:0x40
; %bb.1423:                             ;   in Loop: Header=BB224_934 Depth=1
	s_or_b32 exec_lo, exec_lo, s16
	s_delay_alu instid0(VALU_DEP_1) | instskip(NEXT) | instid1(VALU_DEP_2)
	v_dual_lshlrev_b32 v1, 16, v11 :: v_dual_lshlrev_b32 v6, 20, v102
	v_lshl_add_u32 v0, v0, 23, 0x3c000000
	s_delay_alu instid0(VALU_DEP_2) | instskip(NEXT) | instid1(VALU_DEP_1)
	v_and_b32_e32 v1, 0x80000000, v1
	v_or3_b32 v1, v6, v1, v0
	v_mov_b32_e32 v0, v103
.LBB224_1424:                           ;   in Loop: Header=BB224_934 Depth=1
	s_or_b32 exec_lo, exec_lo, s9
.LBB224_1425:                           ;   in Loop: Header=BB224_934 Depth=1
	s_delay_alu instid0(SALU_CYCLE_1)
	s_or_b32 exec_lo, exec_lo, s8
.LBB224_1426:                           ;   in Loop: Header=BB224_934 Depth=1
	s_delay_alu instid0(SALU_CYCLE_1) | instskip(SKIP_4) | instid1(VALU_DEP_3)
	s_or_b32 exec_lo, exec_lo, s3
	v_lshrrev_b32_e32 v54, 16, v11
	v_mov_b64_e32 v[52:53], 0
	v_mov_b64_e32 v[6:7], 0
	s_mov_b32 s3, exec_lo
	v_and_b32_e32 v55, 0xff, v54
	s_delay_alu instid0(VALU_DEP_1)
	v_cmpx_ne_u16_e32 0, v55
	s_cbranch_execz .LBB224_1434
; %bb.1427:                             ;   in Loop: Header=BB224_934 Depth=1
	v_mov_b64_e32 v[6:7], 0x80000000
	s_mov_b32 s8, exec_lo
	v_cmpx_ne_u16_e32 0x80, v55
	s_cbranch_execz .LBB224_1433
; %bb.1428:                             ;   in Loop: Header=BB224_934 Depth=1
	v_mov_b64_e32 v[6:7], 0x7f800001
	v_bfe_u32 v55, v11, 16, 7
	s_mov_b32 s9, exec_lo
	s_delay_alu instid0(VALU_DEP_1)
	v_cmpx_ne_u32_e32 0x7f, v55
	s_cbranch_execz .LBB224_1432
; %bb.1429:                             ;   in Loop: Header=BB224_934 Depth=1
	v_dual_lshrrev_b32 v6, 3, v55 :: v_dual_bitop2_b32 v102, 7, v54 bitop3:0x40
	s_mov_b32 s16, exec_lo
	v_cmpx_gt_u32_e32 8, v55
; %bb.1430:                             ;   in Loop: Header=BB224_934 Depth=1
	s_delay_alu instid0(VALU_DEP_2) | instskip(NEXT) | instid1(VALU_DEP_1)
	v_clz_i32_u32_e32 v6, v102
	v_min_u32_e32 v6, 32, v6
	s_delay_alu instid0(VALU_DEP_1) | instskip(NEXT) | instid1(VALU_DEP_1)
	v_subrev_nc_u32_e32 v7, 28, v6
	v_lshlrev_b64_e32 v[64:65], v7, v[102:103]
	s_delay_alu instid0(VALU_DEP_1)
	v_dual_sub_nc_u32 v6, 29, v6 :: v_dual_bitop2_b32 v102, 7, v64 bitop3:0x40
; %bb.1431:                             ;   in Loop: Header=BB224_934 Depth=1
	s_or_b32 exec_lo, exec_lo, s16
	v_lshlrev_b32_e32 v7, 24, v54
	s_delay_alu instid0(VALU_DEP_2) | instskip(NEXT) | instid1(VALU_DEP_3)
	v_lshlrev_b32_e32 v54, 20, v102
	v_lshl_add_u32 v6, v6, 23, 0x3c000000
	s_delay_alu instid0(VALU_DEP_3) | instskip(NEXT) | instid1(VALU_DEP_1)
	v_and_b32_e32 v7, 0x80000000, v7
	v_or3_b32 v102, v54, v7, v6
	s_delay_alu instid0(VALU_DEP_1)
	v_mov_b64_e32 v[6:7], v[102:103]
.LBB224_1432:                           ;   in Loop: Header=BB224_934 Depth=1
	s_or_b32 exec_lo, exec_lo, s9
.LBB224_1433:                           ;   in Loop: Header=BB224_934 Depth=1
	s_delay_alu instid0(SALU_CYCLE_1)
	s_or_b32 exec_lo, exec_lo, s8
.LBB224_1434:                           ;   in Loop: Header=BB224_934 Depth=1
	s_delay_alu instid0(SALU_CYCLE_1) | instskip(NEXT) | instid1(SALU_CYCLE_1)
	s_or_b32 exec_lo, exec_lo, s3
	s_mov_b32 s3, exec_lo
	v_cmpx_lt_u32_e32 0xffffff, v11
	s_cbranch_execz .LBB224_1442
; %bb.1435:                             ;   in Loop: Header=BB224_934 Depth=1
	v_mov_b64_e32 v[52:53], 0x8000000000000000
	v_lshrrev_b32_e32 v54, 24, v11
	s_mov_b32 s8, exec_lo
	s_delay_alu instid0(VALU_DEP_1)
	v_cmpx_ne_u32_e32 0x80, v54
	s_cbranch_execz .LBB224_1441
; %bb.1436:                             ;   in Loop: Header=BB224_934 Depth=1
	v_mov_b64_e32 v[52:53], 0x7f80000100000000
	v_bfe_u32 v55, v11, 24, 7
	s_mov_b32 s9, exec_lo
	s_delay_alu instid0(VALU_DEP_1)
	v_cmpx_ne_u32_e32 0x7f, v55
	s_cbranch_execz .LBB224_1440
; %bb.1437:                             ;   in Loop: Header=BB224_934 Depth=1
	v_dual_lshrrev_b32 v11, 3, v55 :: v_dual_bitop2_b32 v102, 7, v54 bitop3:0x40
	s_mov_b32 s16, exec_lo
	v_cmpx_gt_u32_e32 8, v55
; %bb.1438:                             ;   in Loop: Header=BB224_934 Depth=1
	s_delay_alu instid0(VALU_DEP_2) | instskip(NEXT) | instid1(VALU_DEP_1)
	v_clz_i32_u32_e32 v11, v102
	v_min_u32_e32 v11, 32, v11
	s_delay_alu instid0(VALU_DEP_1) | instskip(NEXT) | instid1(VALU_DEP_1)
	v_subrev_nc_u32_e32 v52, 28, v11
	v_lshlrev_b64_e32 v[52:53], v52, v[102:103]
	s_delay_alu instid0(VALU_DEP_1)
	v_dual_sub_nc_u32 v11, 29, v11 :: v_dual_bitop2_b32 v102, 7, v52 bitop3:0x40
; %bb.1439:                             ;   in Loop: Header=BB224_934 Depth=1
	s_or_b32 exec_lo, exec_lo, s16
	v_lshlrev_b32_e32 v52, 24, v54
	s_delay_alu instid0(VALU_DEP_2) | instskip(NEXT) | instid1(VALU_DEP_3)
	v_lshlrev_b32_e32 v53, 20, v102
	v_lshl_add_u32 v11, v11, 23, 0x3c000000
	s_delay_alu instid0(VALU_DEP_3) | instskip(NEXT) | instid1(VALU_DEP_1)
	v_and_b32_e32 v52, 0x80000000, v52
	v_or3_b32 v53, v53, v52, v11
	v_mov_b32_e32 v52, v103
.LBB224_1440:                           ;   in Loop: Header=BB224_934 Depth=1
	s_or_b32 exec_lo, exec_lo, s9
.LBB224_1441:                           ;   in Loop: Header=BB224_934 Depth=1
	s_delay_alu instid0(SALU_CYCLE_1)
	s_or_b32 exec_lo, exec_lo, s8
.LBB224_1442:                           ;   in Loop: Header=BB224_934 Depth=1
	s_delay_alu instid0(SALU_CYCLE_1) | instskip(SKIP_4) | instid1(VALU_DEP_3)
	s_or_b32 exec_lo, exec_lo, s3
	v_or_b32_e32 v1, v1, v19
	v_or_b32_e32 v0, v0, v18
	;; [unrolled: 1-line block ×4, first 2 shown]
	v_pk_mul_f32 v[78:79], v[22:23], v[0:1]
	s_delay_alu instid0(VALU_DEP_2)
	v_pk_mul_f32 v[76:77], v[22:23], v[6:7]
	s_and_saveexec_b32 s3, vcc_lo
	s_cbranch_execz .LBB224_1444
; %bb.1443:                             ;   in Loop: Header=BB224_934 Depth=1
	scratch_load_b64 v[0:1], off, s32 offset:200 ; 8-byte Folded Reload
	s_wait_loadcnt 0x0
	v_cmp_lt_i32_e64 s0, v17, v0
	s_delay_alu instid0(VALU_DEP_1) | instskip(SKIP_1) | instid1(VALU_DEP_1)
	v_cndmask_b32_e64 v78, 0, v78, s0
	v_cmp_lt_i32_e64 s0, v114, v0
	v_cndmask_b32_e64 v79, 0, v79, s0
	v_cmp_lt_i32_e64 s0, v10, v0
	s_delay_alu instid0(VALU_DEP_1) | instskip(SKIP_1) | instid1(VALU_DEP_1)
	v_cndmask_b32_e64 v76, 0, v76, s0
	v_cmp_lt_i32_e64 s0, v115, v0
	v_cndmask_b32_e64 v77, 0, v77, s0
.LBB224_1444:                           ;   in Loop: Header=BB224_934 Depth=1
	s_wait_xcnt 0x0
	s_or_b32 exec_lo, exec_lo, s3
	flat_load_b32 v6, v[68:69] offset:1920
	v_mov_b64_e32 v[0:1], 0
	v_mov_b64_e32 v[18:19], 0
	s_mov_b32 s3, exec_lo
	s_wait_loadcnt_dscnt 0x0
	v_and_b32_e32 v7, 0xff, v6
	s_wait_xcnt 0x0
	s_delay_alu instid0(VALU_DEP_1)
	v_cmpx_ne_u16_e32 0, v7
	s_cbranch_execz .LBB224_1452
; %bb.1445:                             ;   in Loop: Header=BB224_934 Depth=1
	v_mov_b64_e32 v[18:19], 0x80000000
	s_mov_b32 s8, exec_lo
	v_cmpx_ne_u16_e32 0x80, v7
	s_cbranch_execz .LBB224_1451
; %bb.1446:                             ;   in Loop: Header=BB224_934 Depth=1
	v_mov_b64_e32 v[18:19], 0x7f800001
	v_and_b32_e32 v11, 0x7f, v6
	s_mov_b32 s9, exec_lo
	s_delay_alu instid0(VALU_DEP_1)
	v_cmpx_ne_u32_e32 0x7f, v11
	s_cbranch_execz .LBB224_1450
; %bb.1447:                             ;   in Loop: Header=BB224_934 Depth=1
	v_dual_lshrrev_b32 v7, 3, v11 :: v_dual_bitop2_b32 v102, 7, v6 bitop3:0x40
	s_mov_b32 s16, exec_lo
	v_cmpx_gt_u32_e32 8, v11
; %bb.1448:                             ;   in Loop: Header=BB224_934 Depth=1
	s_delay_alu instid0(VALU_DEP_2) | instskip(NEXT) | instid1(VALU_DEP_1)
	v_clz_i32_u32_e32 v7, v102
	v_min_u32_e32 v7, 32, v7
	s_delay_alu instid0(VALU_DEP_1) | instskip(NEXT) | instid1(VALU_DEP_1)
	v_subrev_nc_u32_e32 v11, 28, v7
	v_lshlrev_b64_e32 v[18:19], v11, v[102:103]
	s_delay_alu instid0(VALU_DEP_1)
	v_dual_sub_nc_u32 v7, 29, v7 :: v_dual_bitop2_b32 v102, 7, v18 bitop3:0x40
; %bb.1449:                             ;   in Loop: Header=BB224_934 Depth=1
	s_or_b32 exec_lo, exec_lo, s16
	v_lshlrev_b32_e32 v11, 24, v6
	s_delay_alu instid0(VALU_DEP_2) | instskip(NEXT) | instid1(VALU_DEP_3)
	v_lshlrev_b32_e32 v18, 20, v102
	v_lshl_add_u32 v7, v7, 23, 0x3c000000
	s_delay_alu instid0(VALU_DEP_3) | instskip(NEXT) | instid1(VALU_DEP_1)
	v_and_b32_e32 v11, 0x80000000, v11
	v_or3_b32 v102, v18, v11, v7
	s_delay_alu instid0(VALU_DEP_1)
	v_mov_b64_e32 v[18:19], v[102:103]
.LBB224_1450:                           ;   in Loop: Header=BB224_934 Depth=1
	s_or_b32 exec_lo, exec_lo, s9
.LBB224_1451:                           ;   in Loop: Header=BB224_934 Depth=1
	s_delay_alu instid0(SALU_CYCLE_1)
	s_or_b32 exec_lo, exec_lo, s8
.LBB224_1452:                           ;   in Loop: Header=BB224_934 Depth=1
	s_delay_alu instid0(SALU_CYCLE_1) | instskip(SKIP_2) | instid1(VALU_DEP_1)
	s_or_b32 exec_lo, exec_lo, s3
	v_lshrrev_b16 v7, 8, v6
	s_mov_b32 s3, exec_lo
	v_cmpx_ne_u16_e32 0, v7
	s_cbranch_execz .LBB224_1460
; %bb.1453:                             ;   in Loop: Header=BB224_934 Depth=1
	v_mov_b64_e32 v[0:1], 0x8000000000000000
	s_mov_b32 s8, exec_lo
	v_cmpx_ne_u16_e32 0x80, v7
	s_cbranch_execz .LBB224_1459
; %bb.1454:                             ;   in Loop: Header=BB224_934 Depth=1
	v_and_b32_e32 v11, 0xffff, v7
	v_mov_b64_e32 v[0:1], 0x7f80000100000000
	s_mov_b32 s9, exec_lo
	s_delay_alu instid0(VALU_DEP_2) | instskip(NEXT) | instid1(VALU_DEP_1)
	v_and_b32_e32 v7, 0x7f, v11
	v_cmpx_ne_u32_e32 0x7f, v7
	s_cbranch_execz .LBB224_1458
; %bb.1455:                             ;   in Loop: Header=BB224_934 Depth=1
	v_and_b32_e32 v102, 7, v11
	v_lshrrev_b32_e32 v0, 3, v7
	s_mov_b32 s16, exec_lo
	v_cmpx_gt_u32_e32 8, v7
; %bb.1456:                             ;   in Loop: Header=BB224_934 Depth=1
	s_delay_alu instid0(VALU_DEP_3) | instskip(NEXT) | instid1(VALU_DEP_1)
	v_clz_i32_u32_e32 v0, v102
	v_min_u32_e32 v0, 32, v0
	s_delay_alu instid0(VALU_DEP_1) | instskip(SKIP_1) | instid1(VALU_DEP_2)
	v_subrev_nc_u32_e32 v1, 28, v0
	v_sub_nc_u32_e32 v0, 29, v0
	v_lshlrev_b64_e32 v[52:53], v1, v[102:103]
	s_delay_alu instid0(VALU_DEP_1)
	v_and_b32_e32 v102, 7, v52
; %bb.1457:                             ;   in Loop: Header=BB224_934 Depth=1
	s_or_b32 exec_lo, exec_lo, s16
	v_lshlrev_b32_e32 v1, 16, v6
	s_delay_alu instid0(VALU_DEP_2) | instskip(SKIP_1) | instid1(VALU_DEP_3)
	v_lshlrev_b32_e32 v7, 20, v102
	v_lshl_add_u32 v0, v0, 23, 0x3c000000
	v_and_b32_e32 v1, 0x80000000, v1
	s_delay_alu instid0(VALU_DEP_1)
	v_or3_b32 v1, v7, v1, v0
	v_mov_b32_e32 v0, v103
.LBB224_1458:                           ;   in Loop: Header=BB224_934 Depth=1
	s_or_b32 exec_lo, exec_lo, s9
.LBB224_1459:                           ;   in Loop: Header=BB224_934 Depth=1
	s_delay_alu instid0(SALU_CYCLE_1)
	s_or_b32 exec_lo, exec_lo, s8
.LBB224_1460:                           ;   in Loop: Header=BB224_934 Depth=1
	s_delay_alu instid0(SALU_CYCLE_1) | instskip(SKIP_4) | instid1(VALU_DEP_3)
	s_or_b32 exec_lo, exec_lo, s3
	v_lshrrev_b32_e32 v7, 16, v6
	v_mov_b64_e32 v[52:53], 0
	v_mov_b64_e32 v[54:55], 0
	s_mov_b32 s3, exec_lo
	v_and_b32_e32 v11, 0xff, v7
	s_delay_alu instid0(VALU_DEP_1)
	v_cmpx_ne_u16_e32 0, v11
	s_cbranch_execz .LBB224_1468
; %bb.1461:                             ;   in Loop: Header=BB224_934 Depth=1
	v_mov_b64_e32 v[54:55], 0x80000000
	s_mov_b32 s8, exec_lo
	v_cmpx_ne_u16_e32 0x80, v11
	s_cbranch_execz .LBB224_1467
; %bb.1462:                             ;   in Loop: Header=BB224_934 Depth=1
	v_mov_b64_e32 v[54:55], 0x7f800001
	v_bfe_u32 v64, v6, 16, 7
	s_mov_b32 s9, exec_lo
	s_delay_alu instid0(VALU_DEP_1)
	v_cmpx_ne_u32_e32 0x7f, v64
	s_cbranch_execz .LBB224_1466
; %bb.1463:                             ;   in Loop: Header=BB224_934 Depth=1
	v_dual_lshrrev_b32 v11, 3, v64 :: v_dual_bitop2_b32 v102, 7, v7 bitop3:0x40
	s_mov_b32 s16, exec_lo
	v_cmpx_gt_u32_e32 8, v64
; %bb.1464:                             ;   in Loop: Header=BB224_934 Depth=1
	s_delay_alu instid0(VALU_DEP_2) | instskip(NEXT) | instid1(VALU_DEP_1)
	v_clz_i32_u32_e32 v11, v102
	v_min_u32_e32 v11, 32, v11
	s_delay_alu instid0(VALU_DEP_1) | instskip(NEXT) | instid1(VALU_DEP_1)
	v_subrev_nc_u32_e32 v54, 28, v11
	v_lshlrev_b64_e32 v[54:55], v54, v[102:103]
	s_delay_alu instid0(VALU_DEP_1)
	v_dual_sub_nc_u32 v11, 29, v11 :: v_dual_bitop2_b32 v102, 7, v54 bitop3:0x40
; %bb.1465:                             ;   in Loop: Header=BB224_934 Depth=1
	s_or_b32 exec_lo, exec_lo, s16
	s_delay_alu instid0(VALU_DEP_1) | instskip(NEXT) | instid1(VALU_DEP_2)
	v_dual_lshlrev_b32 v7, 24, v7 :: v_dual_lshlrev_b32 v54, 20, v102
	v_lshl_add_u32 v11, v11, 23, 0x3c000000
	s_delay_alu instid0(VALU_DEP_2) | instskip(NEXT) | instid1(VALU_DEP_1)
	v_and_b32_e32 v7, 0x80000000, v7
	v_or3_b32 v102, v54, v7, v11
	s_delay_alu instid0(VALU_DEP_1)
	v_mov_b64_e32 v[54:55], v[102:103]
.LBB224_1466:                           ;   in Loop: Header=BB224_934 Depth=1
	s_or_b32 exec_lo, exec_lo, s9
.LBB224_1467:                           ;   in Loop: Header=BB224_934 Depth=1
	s_delay_alu instid0(SALU_CYCLE_1)
	s_or_b32 exec_lo, exec_lo, s8
.LBB224_1468:                           ;   in Loop: Header=BB224_934 Depth=1
	s_delay_alu instid0(SALU_CYCLE_1) | instskip(NEXT) | instid1(SALU_CYCLE_1)
	s_or_b32 exec_lo, exec_lo, s3
	s_mov_b32 s3, exec_lo
	v_cmpx_lt_u32_e32 0xffffff, v6
	s_cbranch_execz .LBB224_1476
; %bb.1469:                             ;   in Loop: Header=BB224_934 Depth=1
	v_mov_b64_e32 v[52:53], 0x8000000000000000
	v_lshrrev_b32_e32 v7, 24, v6
	s_mov_b32 s8, exec_lo
	s_delay_alu instid0(VALU_DEP_1)
	v_cmpx_ne_u32_e32 0x80, v7
	s_cbranch_execz .LBB224_1475
; %bb.1470:                             ;   in Loop: Header=BB224_934 Depth=1
	v_mov_b64_e32 v[52:53], 0x7f80000100000000
	v_bfe_u32 v11, v6, 24, 7
	s_mov_b32 s9, exec_lo
	s_delay_alu instid0(VALU_DEP_1)
	v_cmpx_ne_u32_e32 0x7f, v11
	s_cbranch_execz .LBB224_1474
; %bb.1471:                             ;   in Loop: Header=BB224_934 Depth=1
	v_and_b32_e32 v102, 7, v7
	v_lshrrev_b32_e32 v6, 3, v11
	s_mov_b32 s16, exec_lo
	v_cmpx_gt_u32_e32 8, v11
; %bb.1472:                             ;   in Loop: Header=BB224_934 Depth=1
	s_delay_alu instid0(VALU_DEP_3) | instskip(NEXT) | instid1(VALU_DEP_1)
	v_clz_i32_u32_e32 v6, v102
	v_min_u32_e32 v6, 32, v6
	s_delay_alu instid0(VALU_DEP_1) | instskip(NEXT) | instid1(VALU_DEP_1)
	v_subrev_nc_u32_e32 v11, 28, v6
	v_lshlrev_b64_e32 v[52:53], v11, v[102:103]
	s_delay_alu instid0(VALU_DEP_1)
	v_dual_sub_nc_u32 v6, 29, v6 :: v_dual_bitop2_b32 v102, 7, v52 bitop3:0x40
; %bb.1473:                             ;   in Loop: Header=BB224_934 Depth=1
	s_or_b32 exec_lo, exec_lo, s16
	s_delay_alu instid0(VALU_DEP_1) | instskip(NEXT) | instid1(VALU_DEP_2)
	v_dual_lshlrev_b32 v7, 24, v7 :: v_dual_lshlrev_b32 v11, 20, v102
	v_lshl_add_u32 v6, v6, 23, 0x3c000000
	v_mov_b32_e32 v52, v103
	s_delay_alu instid0(VALU_DEP_3) | instskip(NEXT) | instid1(VALU_DEP_1)
	v_and_b32_e32 v7, 0x80000000, v7
	v_or3_b32 v53, v11, v7, v6
.LBB224_1474:                           ;   in Loop: Header=BB224_934 Depth=1
	s_or_b32 exec_lo, exec_lo, s9
.LBB224_1475:                           ;   in Loop: Header=BB224_934 Depth=1
	s_delay_alu instid0(SALU_CYCLE_1)
	s_or_b32 exec_lo, exec_lo, s8
.LBB224_1476:                           ;   in Loop: Header=BB224_934 Depth=1
	s_delay_alu instid0(SALU_CYCLE_1) | instskip(SKIP_4) | instid1(VALU_DEP_3)
	s_or_b32 exec_lo, exec_lo, s3
	v_or_b32_e32 v1, v1, v19
	v_or_b32_e32 v0, v0, v18
	;; [unrolled: 1-line block ×4, first 2 shown]
	v_pk_mul_f32 v[90:91], v[22:23], v[0:1]
	s_delay_alu instid0(VALU_DEP_2)
	v_pk_mul_f32 v[88:89], v[22:23], v[6:7]
	s_and_saveexec_b32 s3, vcc_lo
	s_cbranch_execz .LBB224_1478
; %bb.1477:                             ;   in Loop: Header=BB224_934 Depth=1
	scratch_load_b64 v[0:1], off, s32 offset:200 ; 8-byte Folded Reload
	s_wait_loadcnt 0x0
	v_cmp_lt_i32_e64 s0, v17, v0
	s_delay_alu instid0(VALU_DEP_1) | instskip(SKIP_1) | instid1(VALU_DEP_1)
	v_cndmask_b32_e64 v90, 0, v90, s0
	v_cmp_lt_i32_e64 s0, v114, v0
	v_cndmask_b32_e64 v91, 0, v91, s0
	v_cmp_lt_i32_e64 s0, v10, v0
	s_delay_alu instid0(VALU_DEP_1) | instskip(SKIP_1) | instid1(VALU_DEP_1)
	v_cndmask_b32_e64 v88, 0, v88, s0
	v_cmp_lt_i32_e64 s0, v115, v0
	v_cndmask_b32_e64 v89, 0, v89, s0
.LBB224_1478:                           ;   in Loop: Header=BB224_934 Depth=1
	s_wait_xcnt 0x0
	s_or_b32 exec_lo, exec_lo, s3
	flat_load_b32 v6, v[68:69] offset:2048
	v_mov_b64_e32 v[0:1], 0
	v_mov_b64_e32 v[18:19], 0
	s_mov_b32 s3, exec_lo
	s_wait_loadcnt_dscnt 0x0
	v_and_b32_e32 v7, 0xff, v6
	s_wait_xcnt 0x0
	s_delay_alu instid0(VALU_DEP_1)
	v_cmpx_ne_u16_e32 0, v7
	s_cbranch_execz .LBB224_1486
; %bb.1479:                             ;   in Loop: Header=BB224_934 Depth=1
	v_mov_b64_e32 v[18:19], 0x80000000
	s_mov_b32 s8, exec_lo
	v_cmpx_ne_u16_e32 0x80, v7
	s_cbranch_execz .LBB224_1485
; %bb.1480:                             ;   in Loop: Header=BB224_934 Depth=1
	v_mov_b64_e32 v[18:19], 0x7f800001
	v_and_b32_e32 v11, 0x7f, v6
	s_mov_b32 s9, exec_lo
	s_delay_alu instid0(VALU_DEP_1)
	v_cmpx_ne_u32_e32 0x7f, v11
	s_cbranch_execz .LBB224_1484
; %bb.1481:                             ;   in Loop: Header=BB224_934 Depth=1
	v_dual_lshrrev_b32 v7, 3, v11 :: v_dual_bitop2_b32 v102, 7, v6 bitop3:0x40
	s_mov_b32 s16, exec_lo
	v_cmpx_gt_u32_e32 8, v11
; %bb.1482:                             ;   in Loop: Header=BB224_934 Depth=1
	s_delay_alu instid0(VALU_DEP_2) | instskip(NEXT) | instid1(VALU_DEP_1)
	v_clz_i32_u32_e32 v7, v102
	v_min_u32_e32 v7, 32, v7
	s_delay_alu instid0(VALU_DEP_1) | instskip(NEXT) | instid1(VALU_DEP_1)
	v_subrev_nc_u32_e32 v11, 28, v7
	v_lshlrev_b64_e32 v[18:19], v11, v[102:103]
	s_delay_alu instid0(VALU_DEP_1)
	v_dual_sub_nc_u32 v7, 29, v7 :: v_dual_bitop2_b32 v102, 7, v18 bitop3:0x40
; %bb.1483:                             ;   in Loop: Header=BB224_934 Depth=1
	s_or_b32 exec_lo, exec_lo, s16
	v_lshlrev_b32_e32 v11, 24, v6
	s_delay_alu instid0(VALU_DEP_2) | instskip(NEXT) | instid1(VALU_DEP_3)
	v_lshlrev_b32_e32 v18, 20, v102
	v_lshl_add_u32 v7, v7, 23, 0x3c000000
	s_delay_alu instid0(VALU_DEP_3) | instskip(NEXT) | instid1(VALU_DEP_1)
	v_and_b32_e32 v11, 0x80000000, v11
	v_or3_b32 v102, v18, v11, v7
	s_delay_alu instid0(VALU_DEP_1)
	v_mov_b64_e32 v[18:19], v[102:103]
.LBB224_1484:                           ;   in Loop: Header=BB224_934 Depth=1
	s_or_b32 exec_lo, exec_lo, s9
.LBB224_1485:                           ;   in Loop: Header=BB224_934 Depth=1
	s_delay_alu instid0(SALU_CYCLE_1)
	s_or_b32 exec_lo, exec_lo, s8
.LBB224_1486:                           ;   in Loop: Header=BB224_934 Depth=1
	s_delay_alu instid0(SALU_CYCLE_1) | instskip(SKIP_2) | instid1(VALU_DEP_1)
	s_or_b32 exec_lo, exec_lo, s3
	v_lshrrev_b16 v7, 8, v6
	s_mov_b32 s3, exec_lo
	v_cmpx_ne_u16_e32 0, v7
	s_cbranch_execz .LBB224_1494
; %bb.1487:                             ;   in Loop: Header=BB224_934 Depth=1
	v_mov_b64_e32 v[0:1], 0x8000000000000000
	s_mov_b32 s8, exec_lo
	v_cmpx_ne_u16_e32 0x80, v7
	s_cbranch_execz .LBB224_1493
; %bb.1488:                             ;   in Loop: Header=BB224_934 Depth=1
	v_and_b32_e32 v11, 0xffff, v7
	v_mov_b64_e32 v[0:1], 0x7f80000100000000
	s_mov_b32 s9, exec_lo
	s_delay_alu instid0(VALU_DEP_2) | instskip(NEXT) | instid1(VALU_DEP_1)
	v_and_b32_e32 v7, 0x7f, v11
	v_cmpx_ne_u32_e32 0x7f, v7
	s_cbranch_execz .LBB224_1492
; %bb.1489:                             ;   in Loop: Header=BB224_934 Depth=1
	v_and_b32_e32 v102, 7, v11
	v_lshrrev_b32_e32 v0, 3, v7
	s_mov_b32 s16, exec_lo
	v_cmpx_gt_u32_e32 8, v7
; %bb.1490:                             ;   in Loop: Header=BB224_934 Depth=1
	s_delay_alu instid0(VALU_DEP_3) | instskip(NEXT) | instid1(VALU_DEP_1)
	v_clz_i32_u32_e32 v0, v102
	v_min_u32_e32 v0, 32, v0
	s_delay_alu instid0(VALU_DEP_1) | instskip(SKIP_1) | instid1(VALU_DEP_2)
	v_subrev_nc_u32_e32 v1, 28, v0
	v_sub_nc_u32_e32 v0, 29, v0
	v_lshlrev_b64_e32 v[52:53], v1, v[102:103]
	s_delay_alu instid0(VALU_DEP_1)
	v_and_b32_e32 v102, 7, v52
; %bb.1491:                             ;   in Loop: Header=BB224_934 Depth=1
	s_or_b32 exec_lo, exec_lo, s16
	v_lshlrev_b32_e32 v1, 16, v6
	s_delay_alu instid0(VALU_DEP_2) | instskip(SKIP_1) | instid1(VALU_DEP_3)
	v_lshlrev_b32_e32 v7, 20, v102
	v_lshl_add_u32 v0, v0, 23, 0x3c000000
	v_and_b32_e32 v1, 0x80000000, v1
	s_delay_alu instid0(VALU_DEP_1)
	v_or3_b32 v1, v7, v1, v0
	v_mov_b32_e32 v0, v103
.LBB224_1492:                           ;   in Loop: Header=BB224_934 Depth=1
	s_or_b32 exec_lo, exec_lo, s9
.LBB224_1493:                           ;   in Loop: Header=BB224_934 Depth=1
	s_delay_alu instid0(SALU_CYCLE_1)
	s_or_b32 exec_lo, exec_lo, s8
.LBB224_1494:                           ;   in Loop: Header=BB224_934 Depth=1
	s_delay_alu instid0(SALU_CYCLE_1) | instskip(SKIP_4) | instid1(VALU_DEP_3)
	s_or_b32 exec_lo, exec_lo, s3
	v_lshrrev_b32_e32 v7, 16, v6
	v_mov_b64_e32 v[52:53], 0
	v_mov_b64_e32 v[54:55], 0
	s_mov_b32 s3, exec_lo
	v_and_b32_e32 v11, 0xff, v7
	s_delay_alu instid0(VALU_DEP_1)
	v_cmpx_ne_u16_e32 0, v11
	s_cbranch_execz .LBB224_1502
; %bb.1495:                             ;   in Loop: Header=BB224_934 Depth=1
	v_mov_b64_e32 v[54:55], 0x80000000
	s_mov_b32 s8, exec_lo
	v_cmpx_ne_u16_e32 0x80, v11
	s_cbranch_execz .LBB224_1501
; %bb.1496:                             ;   in Loop: Header=BB224_934 Depth=1
	v_mov_b64_e32 v[54:55], 0x7f800001
	v_bfe_u32 v64, v6, 16, 7
	s_mov_b32 s9, exec_lo
	s_delay_alu instid0(VALU_DEP_1)
	v_cmpx_ne_u32_e32 0x7f, v64
	s_cbranch_execz .LBB224_1500
; %bb.1497:                             ;   in Loop: Header=BB224_934 Depth=1
	v_dual_lshrrev_b32 v11, 3, v64 :: v_dual_bitop2_b32 v102, 7, v7 bitop3:0x40
	s_mov_b32 s16, exec_lo
	v_cmpx_gt_u32_e32 8, v64
; %bb.1498:                             ;   in Loop: Header=BB224_934 Depth=1
	s_delay_alu instid0(VALU_DEP_2) | instskip(NEXT) | instid1(VALU_DEP_1)
	v_clz_i32_u32_e32 v11, v102
	v_min_u32_e32 v11, 32, v11
	s_delay_alu instid0(VALU_DEP_1) | instskip(NEXT) | instid1(VALU_DEP_1)
	v_subrev_nc_u32_e32 v54, 28, v11
	v_lshlrev_b64_e32 v[54:55], v54, v[102:103]
	s_delay_alu instid0(VALU_DEP_1)
	v_dual_sub_nc_u32 v11, 29, v11 :: v_dual_bitop2_b32 v102, 7, v54 bitop3:0x40
; %bb.1499:                             ;   in Loop: Header=BB224_934 Depth=1
	s_or_b32 exec_lo, exec_lo, s16
	s_delay_alu instid0(VALU_DEP_1) | instskip(NEXT) | instid1(VALU_DEP_2)
	v_dual_lshlrev_b32 v7, 24, v7 :: v_dual_lshlrev_b32 v54, 20, v102
	v_lshl_add_u32 v11, v11, 23, 0x3c000000
	s_delay_alu instid0(VALU_DEP_2) | instskip(NEXT) | instid1(VALU_DEP_1)
	v_and_b32_e32 v7, 0x80000000, v7
	v_or3_b32 v102, v54, v7, v11
	s_delay_alu instid0(VALU_DEP_1)
	v_mov_b64_e32 v[54:55], v[102:103]
.LBB224_1500:                           ;   in Loop: Header=BB224_934 Depth=1
	s_or_b32 exec_lo, exec_lo, s9
.LBB224_1501:                           ;   in Loop: Header=BB224_934 Depth=1
	s_delay_alu instid0(SALU_CYCLE_1)
	s_or_b32 exec_lo, exec_lo, s8
.LBB224_1502:                           ;   in Loop: Header=BB224_934 Depth=1
	s_delay_alu instid0(SALU_CYCLE_1) | instskip(NEXT) | instid1(SALU_CYCLE_1)
	s_or_b32 exec_lo, exec_lo, s3
	s_mov_b32 s3, exec_lo
	v_cmpx_lt_u32_e32 0xffffff, v6
	s_cbranch_execz .LBB224_1510
; %bb.1503:                             ;   in Loop: Header=BB224_934 Depth=1
	v_mov_b64_e32 v[52:53], 0x8000000000000000
	v_lshrrev_b32_e32 v7, 24, v6
	s_mov_b32 s8, exec_lo
	s_delay_alu instid0(VALU_DEP_1)
	v_cmpx_ne_u32_e32 0x80, v7
	s_cbranch_execz .LBB224_1509
; %bb.1504:                             ;   in Loop: Header=BB224_934 Depth=1
	v_mov_b64_e32 v[52:53], 0x7f80000100000000
	v_bfe_u32 v11, v6, 24, 7
	s_mov_b32 s9, exec_lo
	s_delay_alu instid0(VALU_DEP_1)
	v_cmpx_ne_u32_e32 0x7f, v11
	s_cbranch_execz .LBB224_1508
; %bb.1505:                             ;   in Loop: Header=BB224_934 Depth=1
	v_and_b32_e32 v102, 7, v7
	v_lshrrev_b32_e32 v6, 3, v11
	s_mov_b32 s16, exec_lo
	v_cmpx_gt_u32_e32 8, v11
; %bb.1506:                             ;   in Loop: Header=BB224_934 Depth=1
	s_delay_alu instid0(VALU_DEP_3) | instskip(NEXT) | instid1(VALU_DEP_1)
	v_clz_i32_u32_e32 v6, v102
	v_min_u32_e32 v6, 32, v6
	s_delay_alu instid0(VALU_DEP_1) | instskip(NEXT) | instid1(VALU_DEP_1)
	v_subrev_nc_u32_e32 v11, 28, v6
	v_lshlrev_b64_e32 v[52:53], v11, v[102:103]
	s_delay_alu instid0(VALU_DEP_1)
	v_dual_sub_nc_u32 v6, 29, v6 :: v_dual_bitop2_b32 v102, 7, v52 bitop3:0x40
; %bb.1507:                             ;   in Loop: Header=BB224_934 Depth=1
	s_or_b32 exec_lo, exec_lo, s16
	s_delay_alu instid0(VALU_DEP_1) | instskip(NEXT) | instid1(VALU_DEP_2)
	v_dual_lshlrev_b32 v7, 24, v7 :: v_dual_lshlrev_b32 v11, 20, v102
	v_lshl_add_u32 v6, v6, 23, 0x3c000000
	v_mov_b32_e32 v52, v103
	s_delay_alu instid0(VALU_DEP_3) | instskip(NEXT) | instid1(VALU_DEP_1)
	v_and_b32_e32 v7, 0x80000000, v7
	v_or3_b32 v53, v11, v7, v6
.LBB224_1508:                           ;   in Loop: Header=BB224_934 Depth=1
	s_or_b32 exec_lo, exec_lo, s9
.LBB224_1509:                           ;   in Loop: Header=BB224_934 Depth=1
	s_delay_alu instid0(SALU_CYCLE_1)
	s_or_b32 exec_lo, exec_lo, s8
.LBB224_1510:                           ;   in Loop: Header=BB224_934 Depth=1
	s_delay_alu instid0(SALU_CYCLE_1) | instskip(SKIP_4) | instid1(VALU_DEP_3)
	s_or_b32 exec_lo, exec_lo, s3
	v_or_b32_e32 v1, v1, v19
	v_or_b32_e32 v0, v0, v18
	;; [unrolled: 1-line block ×4, first 2 shown]
	v_pk_mul_f32 v[94:95], v[22:23], v[0:1]
	s_delay_alu instid0(VALU_DEP_2)
	v_pk_mul_f32 v[92:93], v[22:23], v[6:7]
	s_and_saveexec_b32 s3, vcc_lo
	s_cbranch_execz .LBB224_1512
; %bb.1511:                             ;   in Loop: Header=BB224_934 Depth=1
	scratch_load_b64 v[0:1], off, s32 offset:200 ; 8-byte Folded Reload
	s_wait_loadcnt 0x0
	v_cmp_lt_i32_e64 s0, v17, v0
	s_delay_alu instid0(VALU_DEP_1) | instskip(SKIP_1) | instid1(VALU_DEP_1)
	v_cndmask_b32_e64 v94, 0, v94, s0
	v_cmp_lt_i32_e64 s0, v114, v0
	v_cndmask_b32_e64 v95, 0, v95, s0
	v_cmp_lt_i32_e64 s0, v10, v0
	s_delay_alu instid0(VALU_DEP_1) | instskip(SKIP_1) | instid1(VALU_DEP_1)
	v_cndmask_b32_e64 v92, 0, v92, s0
	v_cmp_lt_i32_e64 s0, v115, v0
	v_cndmask_b32_e64 v93, 0, v93, s0
.LBB224_1512:                           ;   in Loop: Header=BB224_934 Depth=1
	s_wait_xcnt 0x0
	s_or_b32 exec_lo, exec_lo, s3
	flat_load_b32 v6, v[68:69] offset:2176
	v_mov_b64_e32 v[0:1], 0
	v_mov_b64_e32 v[18:19], 0
	s_mov_b32 s3, exec_lo
	s_wait_loadcnt_dscnt 0x0
	v_and_b32_e32 v7, 0xff, v6
	s_wait_xcnt 0x0
	s_delay_alu instid0(VALU_DEP_1)
	v_cmpx_ne_u16_e32 0, v7
	s_cbranch_execz .LBB224_1520
; %bb.1513:                             ;   in Loop: Header=BB224_934 Depth=1
	v_mov_b64_e32 v[18:19], 0x80000000
	s_mov_b32 s8, exec_lo
	v_cmpx_ne_u16_e32 0x80, v7
	s_cbranch_execz .LBB224_1519
; %bb.1514:                             ;   in Loop: Header=BB224_934 Depth=1
	v_mov_b64_e32 v[18:19], 0x7f800001
	v_and_b32_e32 v11, 0x7f, v6
	s_mov_b32 s9, exec_lo
	s_delay_alu instid0(VALU_DEP_1)
	v_cmpx_ne_u32_e32 0x7f, v11
	s_cbranch_execz .LBB224_1518
; %bb.1515:                             ;   in Loop: Header=BB224_934 Depth=1
	v_dual_lshrrev_b32 v7, 3, v11 :: v_dual_bitop2_b32 v102, 7, v6 bitop3:0x40
	s_mov_b32 s16, exec_lo
	v_cmpx_gt_u32_e32 8, v11
; %bb.1516:                             ;   in Loop: Header=BB224_934 Depth=1
	s_delay_alu instid0(VALU_DEP_2) | instskip(NEXT) | instid1(VALU_DEP_1)
	v_clz_i32_u32_e32 v7, v102
	v_min_u32_e32 v7, 32, v7
	s_delay_alu instid0(VALU_DEP_1) | instskip(NEXT) | instid1(VALU_DEP_1)
	v_subrev_nc_u32_e32 v11, 28, v7
	v_lshlrev_b64_e32 v[18:19], v11, v[102:103]
	s_delay_alu instid0(VALU_DEP_1)
	v_dual_sub_nc_u32 v7, 29, v7 :: v_dual_bitop2_b32 v102, 7, v18 bitop3:0x40
; %bb.1517:                             ;   in Loop: Header=BB224_934 Depth=1
	s_or_b32 exec_lo, exec_lo, s16
	v_lshlrev_b32_e32 v11, 24, v6
	s_delay_alu instid0(VALU_DEP_2) | instskip(NEXT) | instid1(VALU_DEP_3)
	v_lshlrev_b32_e32 v18, 20, v102
	v_lshl_add_u32 v7, v7, 23, 0x3c000000
	s_delay_alu instid0(VALU_DEP_3) | instskip(NEXT) | instid1(VALU_DEP_1)
	v_and_b32_e32 v11, 0x80000000, v11
	v_or3_b32 v102, v18, v11, v7
	s_delay_alu instid0(VALU_DEP_1)
	v_mov_b64_e32 v[18:19], v[102:103]
.LBB224_1518:                           ;   in Loop: Header=BB224_934 Depth=1
	s_or_b32 exec_lo, exec_lo, s9
.LBB224_1519:                           ;   in Loop: Header=BB224_934 Depth=1
	s_delay_alu instid0(SALU_CYCLE_1)
	s_or_b32 exec_lo, exec_lo, s8
.LBB224_1520:                           ;   in Loop: Header=BB224_934 Depth=1
	s_delay_alu instid0(SALU_CYCLE_1) | instskip(SKIP_2) | instid1(VALU_DEP_1)
	s_or_b32 exec_lo, exec_lo, s3
	v_lshrrev_b16 v7, 8, v6
	s_mov_b32 s3, exec_lo
	v_cmpx_ne_u16_e32 0, v7
	s_cbranch_execz .LBB224_1528
; %bb.1521:                             ;   in Loop: Header=BB224_934 Depth=1
	v_mov_b64_e32 v[0:1], 0x8000000000000000
	s_mov_b32 s8, exec_lo
	v_cmpx_ne_u16_e32 0x80, v7
	s_cbranch_execz .LBB224_1527
; %bb.1522:                             ;   in Loop: Header=BB224_934 Depth=1
	v_and_b32_e32 v11, 0xffff, v7
	v_mov_b64_e32 v[0:1], 0x7f80000100000000
	s_mov_b32 s9, exec_lo
	s_delay_alu instid0(VALU_DEP_2) | instskip(NEXT) | instid1(VALU_DEP_1)
	v_and_b32_e32 v7, 0x7f, v11
	v_cmpx_ne_u32_e32 0x7f, v7
	s_cbranch_execz .LBB224_1526
; %bb.1523:                             ;   in Loop: Header=BB224_934 Depth=1
	v_and_b32_e32 v102, 7, v11
	v_lshrrev_b32_e32 v0, 3, v7
	s_mov_b32 s16, exec_lo
	v_cmpx_gt_u32_e32 8, v7
; %bb.1524:                             ;   in Loop: Header=BB224_934 Depth=1
	s_delay_alu instid0(VALU_DEP_3) | instskip(NEXT) | instid1(VALU_DEP_1)
	v_clz_i32_u32_e32 v0, v102
	v_min_u32_e32 v0, 32, v0
	s_delay_alu instid0(VALU_DEP_1) | instskip(SKIP_1) | instid1(VALU_DEP_2)
	v_subrev_nc_u32_e32 v1, 28, v0
	v_sub_nc_u32_e32 v0, 29, v0
	v_lshlrev_b64_e32 v[52:53], v1, v[102:103]
	s_delay_alu instid0(VALU_DEP_1)
	v_and_b32_e32 v102, 7, v52
; %bb.1525:                             ;   in Loop: Header=BB224_934 Depth=1
	s_or_b32 exec_lo, exec_lo, s16
	v_lshlrev_b32_e32 v1, 16, v6
	s_delay_alu instid0(VALU_DEP_2) | instskip(SKIP_1) | instid1(VALU_DEP_3)
	v_lshlrev_b32_e32 v7, 20, v102
	v_lshl_add_u32 v0, v0, 23, 0x3c000000
	v_and_b32_e32 v1, 0x80000000, v1
	s_delay_alu instid0(VALU_DEP_1)
	v_or3_b32 v1, v7, v1, v0
	v_mov_b32_e32 v0, v103
.LBB224_1526:                           ;   in Loop: Header=BB224_934 Depth=1
	s_or_b32 exec_lo, exec_lo, s9
.LBB224_1527:                           ;   in Loop: Header=BB224_934 Depth=1
	s_delay_alu instid0(SALU_CYCLE_1)
	s_or_b32 exec_lo, exec_lo, s8
.LBB224_1528:                           ;   in Loop: Header=BB224_934 Depth=1
	s_delay_alu instid0(SALU_CYCLE_1) | instskip(SKIP_4) | instid1(VALU_DEP_3)
	s_or_b32 exec_lo, exec_lo, s3
	v_lshrrev_b32_e32 v7, 16, v6
	v_mov_b64_e32 v[52:53], 0
	v_mov_b64_e32 v[54:55], 0
	s_mov_b32 s3, exec_lo
	v_and_b32_e32 v11, 0xff, v7
	s_delay_alu instid0(VALU_DEP_1)
	v_cmpx_ne_u16_e32 0, v11
	s_cbranch_execz .LBB224_1536
; %bb.1529:                             ;   in Loop: Header=BB224_934 Depth=1
	v_mov_b64_e32 v[54:55], 0x80000000
	s_mov_b32 s8, exec_lo
	v_cmpx_ne_u16_e32 0x80, v11
	s_cbranch_execz .LBB224_1535
; %bb.1530:                             ;   in Loop: Header=BB224_934 Depth=1
	v_mov_b64_e32 v[54:55], 0x7f800001
	v_bfe_u32 v64, v6, 16, 7
	s_mov_b32 s9, exec_lo
	s_delay_alu instid0(VALU_DEP_1)
	v_cmpx_ne_u32_e32 0x7f, v64
	s_cbranch_execz .LBB224_1534
; %bb.1531:                             ;   in Loop: Header=BB224_934 Depth=1
	v_dual_lshrrev_b32 v11, 3, v64 :: v_dual_bitop2_b32 v102, 7, v7 bitop3:0x40
	s_mov_b32 s16, exec_lo
	v_cmpx_gt_u32_e32 8, v64
; %bb.1532:                             ;   in Loop: Header=BB224_934 Depth=1
	s_delay_alu instid0(VALU_DEP_2) | instskip(NEXT) | instid1(VALU_DEP_1)
	v_clz_i32_u32_e32 v11, v102
	v_min_u32_e32 v11, 32, v11
	s_delay_alu instid0(VALU_DEP_1) | instskip(NEXT) | instid1(VALU_DEP_1)
	v_subrev_nc_u32_e32 v54, 28, v11
	v_lshlrev_b64_e32 v[54:55], v54, v[102:103]
	s_delay_alu instid0(VALU_DEP_1)
	v_dual_sub_nc_u32 v11, 29, v11 :: v_dual_bitop2_b32 v102, 7, v54 bitop3:0x40
; %bb.1533:                             ;   in Loop: Header=BB224_934 Depth=1
	s_or_b32 exec_lo, exec_lo, s16
	s_delay_alu instid0(VALU_DEP_1) | instskip(NEXT) | instid1(VALU_DEP_2)
	v_dual_lshlrev_b32 v7, 24, v7 :: v_dual_lshlrev_b32 v54, 20, v102
	v_lshl_add_u32 v11, v11, 23, 0x3c000000
	s_delay_alu instid0(VALU_DEP_2) | instskip(NEXT) | instid1(VALU_DEP_1)
	v_and_b32_e32 v7, 0x80000000, v7
	v_or3_b32 v102, v54, v7, v11
	s_delay_alu instid0(VALU_DEP_1)
	v_mov_b64_e32 v[54:55], v[102:103]
.LBB224_1534:                           ;   in Loop: Header=BB224_934 Depth=1
	s_or_b32 exec_lo, exec_lo, s9
.LBB224_1535:                           ;   in Loop: Header=BB224_934 Depth=1
	s_delay_alu instid0(SALU_CYCLE_1)
	s_or_b32 exec_lo, exec_lo, s8
.LBB224_1536:                           ;   in Loop: Header=BB224_934 Depth=1
	s_delay_alu instid0(SALU_CYCLE_1) | instskip(NEXT) | instid1(SALU_CYCLE_1)
	s_or_b32 exec_lo, exec_lo, s3
	s_mov_b32 s3, exec_lo
	v_cmpx_lt_u32_e32 0xffffff, v6
	s_cbranch_execz .LBB224_1544
; %bb.1537:                             ;   in Loop: Header=BB224_934 Depth=1
	v_mov_b64_e32 v[52:53], 0x8000000000000000
	v_lshrrev_b32_e32 v7, 24, v6
	s_mov_b32 s8, exec_lo
	s_delay_alu instid0(VALU_DEP_1)
	v_cmpx_ne_u32_e32 0x80, v7
	s_cbranch_execz .LBB224_1543
; %bb.1538:                             ;   in Loop: Header=BB224_934 Depth=1
	v_mov_b64_e32 v[52:53], 0x7f80000100000000
	v_bfe_u32 v11, v6, 24, 7
	s_mov_b32 s9, exec_lo
	s_delay_alu instid0(VALU_DEP_1)
	v_cmpx_ne_u32_e32 0x7f, v11
	s_cbranch_execz .LBB224_1542
; %bb.1539:                             ;   in Loop: Header=BB224_934 Depth=1
	v_and_b32_e32 v102, 7, v7
	v_lshrrev_b32_e32 v6, 3, v11
	s_mov_b32 s16, exec_lo
	v_cmpx_gt_u32_e32 8, v11
; %bb.1540:                             ;   in Loop: Header=BB224_934 Depth=1
	s_delay_alu instid0(VALU_DEP_3) | instskip(NEXT) | instid1(VALU_DEP_1)
	v_clz_i32_u32_e32 v6, v102
	v_min_u32_e32 v6, 32, v6
	s_delay_alu instid0(VALU_DEP_1) | instskip(NEXT) | instid1(VALU_DEP_1)
	v_subrev_nc_u32_e32 v11, 28, v6
	v_lshlrev_b64_e32 v[52:53], v11, v[102:103]
	s_delay_alu instid0(VALU_DEP_1)
	v_dual_sub_nc_u32 v6, 29, v6 :: v_dual_bitop2_b32 v102, 7, v52 bitop3:0x40
; %bb.1541:                             ;   in Loop: Header=BB224_934 Depth=1
	s_or_b32 exec_lo, exec_lo, s16
	s_delay_alu instid0(VALU_DEP_1) | instskip(NEXT) | instid1(VALU_DEP_2)
	v_dual_lshlrev_b32 v7, 24, v7 :: v_dual_lshlrev_b32 v11, 20, v102
	v_lshl_add_u32 v6, v6, 23, 0x3c000000
	v_mov_b32_e32 v52, v103
	s_delay_alu instid0(VALU_DEP_3) | instskip(NEXT) | instid1(VALU_DEP_1)
	v_and_b32_e32 v7, 0x80000000, v7
	v_or3_b32 v53, v11, v7, v6
.LBB224_1542:                           ;   in Loop: Header=BB224_934 Depth=1
	s_or_b32 exec_lo, exec_lo, s9
.LBB224_1543:                           ;   in Loop: Header=BB224_934 Depth=1
	s_delay_alu instid0(SALU_CYCLE_1)
	s_or_b32 exec_lo, exec_lo, s8
.LBB224_1544:                           ;   in Loop: Header=BB224_934 Depth=1
	s_delay_alu instid0(SALU_CYCLE_1) | instskip(SKIP_4) | instid1(VALU_DEP_3)
	s_or_b32 exec_lo, exec_lo, s3
	v_or_b32_e32 v1, v1, v19
	v_or_b32_e32 v0, v0, v18
	;; [unrolled: 1-line block ×4, first 2 shown]
	v_pk_mul_f32 v[106:107], v[22:23], v[0:1]
	s_delay_alu instid0(VALU_DEP_2)
	v_pk_mul_f32 v[104:105], v[22:23], v[6:7]
	s_and_saveexec_b32 s3, vcc_lo
	s_cbranch_execz .LBB224_1546
; %bb.1545:                             ;   in Loop: Header=BB224_934 Depth=1
	scratch_load_b64 v[0:1], off, s32 offset:200 ; 8-byte Folded Reload
	s_wait_loadcnt 0x0
	v_cmp_lt_i32_e64 s0, v17, v0
	s_delay_alu instid0(VALU_DEP_1) | instskip(SKIP_1) | instid1(VALU_DEP_1)
	v_cndmask_b32_e64 v106, 0, v106, s0
	v_cmp_lt_i32_e64 s0, v114, v0
	v_cndmask_b32_e64 v107, 0, v107, s0
	v_cmp_lt_i32_e64 s0, v10, v0
	s_delay_alu instid0(VALU_DEP_1) | instskip(SKIP_1) | instid1(VALU_DEP_1)
	v_cndmask_b32_e64 v104, 0, v104, s0
	v_cmp_lt_i32_e64 s0, v115, v0
	v_cndmask_b32_e64 v105, 0, v105, s0
.LBB224_1546:                           ;   in Loop: Header=BB224_934 Depth=1
	s_wait_xcnt 0x0
	s_or_b32 exec_lo, exec_lo, s3
	flat_load_b32 v6, v[68:69] offset:2304
	v_mov_b64_e32 v[0:1], 0
	v_mov_b64_e32 v[18:19], 0
	s_mov_b32 s3, exec_lo
	s_wait_loadcnt_dscnt 0x0
	v_and_b32_e32 v7, 0xff, v6
	s_wait_xcnt 0x0
	s_delay_alu instid0(VALU_DEP_1)
	v_cmpx_ne_u16_e32 0, v7
	s_cbranch_execz .LBB224_1554
; %bb.1547:                             ;   in Loop: Header=BB224_934 Depth=1
	v_mov_b64_e32 v[18:19], 0x80000000
	s_mov_b32 s8, exec_lo
	v_cmpx_ne_u16_e32 0x80, v7
	s_cbranch_execz .LBB224_1553
; %bb.1548:                             ;   in Loop: Header=BB224_934 Depth=1
	v_mov_b64_e32 v[18:19], 0x7f800001
	v_and_b32_e32 v11, 0x7f, v6
	s_mov_b32 s9, exec_lo
	s_delay_alu instid0(VALU_DEP_1)
	v_cmpx_ne_u32_e32 0x7f, v11
	s_cbranch_execz .LBB224_1552
; %bb.1549:                             ;   in Loop: Header=BB224_934 Depth=1
	v_dual_lshrrev_b32 v7, 3, v11 :: v_dual_bitop2_b32 v102, 7, v6 bitop3:0x40
	s_mov_b32 s16, exec_lo
	v_cmpx_gt_u32_e32 8, v11
; %bb.1550:                             ;   in Loop: Header=BB224_934 Depth=1
	s_delay_alu instid0(VALU_DEP_2) | instskip(NEXT) | instid1(VALU_DEP_1)
	v_clz_i32_u32_e32 v7, v102
	v_min_u32_e32 v7, 32, v7
	s_delay_alu instid0(VALU_DEP_1) | instskip(NEXT) | instid1(VALU_DEP_1)
	v_subrev_nc_u32_e32 v11, 28, v7
	v_lshlrev_b64_e32 v[18:19], v11, v[102:103]
	s_delay_alu instid0(VALU_DEP_1)
	v_dual_sub_nc_u32 v7, 29, v7 :: v_dual_bitop2_b32 v102, 7, v18 bitop3:0x40
; %bb.1551:                             ;   in Loop: Header=BB224_934 Depth=1
	s_or_b32 exec_lo, exec_lo, s16
	v_lshlrev_b32_e32 v11, 24, v6
	s_delay_alu instid0(VALU_DEP_2) | instskip(NEXT) | instid1(VALU_DEP_3)
	v_lshlrev_b32_e32 v18, 20, v102
	v_lshl_add_u32 v7, v7, 23, 0x3c000000
	s_delay_alu instid0(VALU_DEP_3) | instskip(NEXT) | instid1(VALU_DEP_1)
	v_and_b32_e32 v11, 0x80000000, v11
	v_or3_b32 v102, v18, v11, v7
	s_delay_alu instid0(VALU_DEP_1)
	v_mov_b64_e32 v[18:19], v[102:103]
.LBB224_1552:                           ;   in Loop: Header=BB224_934 Depth=1
	s_or_b32 exec_lo, exec_lo, s9
.LBB224_1553:                           ;   in Loop: Header=BB224_934 Depth=1
	s_delay_alu instid0(SALU_CYCLE_1)
	s_or_b32 exec_lo, exec_lo, s8
.LBB224_1554:                           ;   in Loop: Header=BB224_934 Depth=1
	s_delay_alu instid0(SALU_CYCLE_1) | instskip(SKIP_2) | instid1(VALU_DEP_1)
	s_or_b32 exec_lo, exec_lo, s3
	v_lshrrev_b16 v7, 8, v6
	s_mov_b32 s3, exec_lo
	v_cmpx_ne_u16_e32 0, v7
	s_cbranch_execz .LBB224_1562
; %bb.1555:                             ;   in Loop: Header=BB224_934 Depth=1
	v_mov_b64_e32 v[0:1], 0x8000000000000000
	s_mov_b32 s8, exec_lo
	v_cmpx_ne_u16_e32 0x80, v7
	s_cbranch_execz .LBB224_1561
; %bb.1556:                             ;   in Loop: Header=BB224_934 Depth=1
	v_and_b32_e32 v11, 0xffff, v7
	v_mov_b64_e32 v[0:1], 0x7f80000100000000
	s_mov_b32 s9, exec_lo
	s_delay_alu instid0(VALU_DEP_2) | instskip(NEXT) | instid1(VALU_DEP_1)
	v_and_b32_e32 v7, 0x7f, v11
	v_cmpx_ne_u32_e32 0x7f, v7
	s_cbranch_execz .LBB224_1560
; %bb.1557:                             ;   in Loop: Header=BB224_934 Depth=1
	v_and_b32_e32 v102, 7, v11
	v_lshrrev_b32_e32 v0, 3, v7
	s_mov_b32 s16, exec_lo
	v_cmpx_gt_u32_e32 8, v7
; %bb.1558:                             ;   in Loop: Header=BB224_934 Depth=1
	s_delay_alu instid0(VALU_DEP_3) | instskip(NEXT) | instid1(VALU_DEP_1)
	v_clz_i32_u32_e32 v0, v102
	v_min_u32_e32 v0, 32, v0
	s_delay_alu instid0(VALU_DEP_1) | instskip(SKIP_1) | instid1(VALU_DEP_2)
	v_subrev_nc_u32_e32 v1, 28, v0
	v_sub_nc_u32_e32 v0, 29, v0
	v_lshlrev_b64_e32 v[52:53], v1, v[102:103]
	s_delay_alu instid0(VALU_DEP_1)
	v_and_b32_e32 v102, 7, v52
; %bb.1559:                             ;   in Loop: Header=BB224_934 Depth=1
	s_or_b32 exec_lo, exec_lo, s16
	v_lshlrev_b32_e32 v1, 16, v6
	s_delay_alu instid0(VALU_DEP_2) | instskip(SKIP_1) | instid1(VALU_DEP_3)
	v_lshlrev_b32_e32 v7, 20, v102
	v_lshl_add_u32 v0, v0, 23, 0x3c000000
	v_and_b32_e32 v1, 0x80000000, v1
	s_delay_alu instid0(VALU_DEP_1)
	v_or3_b32 v1, v7, v1, v0
	v_mov_b32_e32 v0, v103
.LBB224_1560:                           ;   in Loop: Header=BB224_934 Depth=1
	s_or_b32 exec_lo, exec_lo, s9
.LBB224_1561:                           ;   in Loop: Header=BB224_934 Depth=1
	s_delay_alu instid0(SALU_CYCLE_1)
	s_or_b32 exec_lo, exec_lo, s8
.LBB224_1562:                           ;   in Loop: Header=BB224_934 Depth=1
	s_delay_alu instid0(SALU_CYCLE_1) | instskip(SKIP_4) | instid1(VALU_DEP_3)
	s_or_b32 exec_lo, exec_lo, s3
	v_lshrrev_b32_e32 v7, 16, v6
	v_mov_b64_e32 v[52:53], 0
	v_mov_b64_e32 v[54:55], 0
	s_mov_b32 s3, exec_lo
	v_and_b32_e32 v11, 0xff, v7
	s_delay_alu instid0(VALU_DEP_1)
	v_cmpx_ne_u16_e32 0, v11
	s_cbranch_execz .LBB224_1570
; %bb.1563:                             ;   in Loop: Header=BB224_934 Depth=1
	v_mov_b64_e32 v[54:55], 0x80000000
	s_mov_b32 s8, exec_lo
	v_cmpx_ne_u16_e32 0x80, v11
	s_cbranch_execz .LBB224_1569
; %bb.1564:                             ;   in Loop: Header=BB224_934 Depth=1
	v_mov_b64_e32 v[54:55], 0x7f800001
	v_bfe_u32 v64, v6, 16, 7
	s_mov_b32 s9, exec_lo
	s_delay_alu instid0(VALU_DEP_1)
	v_cmpx_ne_u32_e32 0x7f, v64
	s_cbranch_execz .LBB224_1568
; %bb.1565:                             ;   in Loop: Header=BB224_934 Depth=1
	v_dual_lshrrev_b32 v11, 3, v64 :: v_dual_bitop2_b32 v102, 7, v7 bitop3:0x40
	s_mov_b32 s16, exec_lo
	v_cmpx_gt_u32_e32 8, v64
; %bb.1566:                             ;   in Loop: Header=BB224_934 Depth=1
	s_delay_alu instid0(VALU_DEP_2) | instskip(NEXT) | instid1(VALU_DEP_1)
	v_clz_i32_u32_e32 v11, v102
	v_min_u32_e32 v11, 32, v11
	s_delay_alu instid0(VALU_DEP_1) | instskip(NEXT) | instid1(VALU_DEP_1)
	v_subrev_nc_u32_e32 v54, 28, v11
	v_lshlrev_b64_e32 v[54:55], v54, v[102:103]
	s_delay_alu instid0(VALU_DEP_1)
	v_dual_sub_nc_u32 v11, 29, v11 :: v_dual_bitop2_b32 v102, 7, v54 bitop3:0x40
; %bb.1567:                             ;   in Loop: Header=BB224_934 Depth=1
	s_or_b32 exec_lo, exec_lo, s16
	s_delay_alu instid0(VALU_DEP_1) | instskip(NEXT) | instid1(VALU_DEP_2)
	v_dual_lshlrev_b32 v7, 24, v7 :: v_dual_lshlrev_b32 v54, 20, v102
	v_lshl_add_u32 v11, v11, 23, 0x3c000000
	s_delay_alu instid0(VALU_DEP_2) | instskip(NEXT) | instid1(VALU_DEP_1)
	v_and_b32_e32 v7, 0x80000000, v7
	v_or3_b32 v102, v54, v7, v11
	s_delay_alu instid0(VALU_DEP_1)
	v_mov_b64_e32 v[54:55], v[102:103]
.LBB224_1568:                           ;   in Loop: Header=BB224_934 Depth=1
	s_or_b32 exec_lo, exec_lo, s9
.LBB224_1569:                           ;   in Loop: Header=BB224_934 Depth=1
	s_delay_alu instid0(SALU_CYCLE_1)
	s_or_b32 exec_lo, exec_lo, s8
.LBB224_1570:                           ;   in Loop: Header=BB224_934 Depth=1
	s_delay_alu instid0(SALU_CYCLE_1) | instskip(NEXT) | instid1(SALU_CYCLE_1)
	s_or_b32 exec_lo, exec_lo, s3
	s_mov_b32 s3, exec_lo
	v_cmpx_lt_u32_e32 0xffffff, v6
	s_cbranch_execz .LBB224_1578
; %bb.1571:                             ;   in Loop: Header=BB224_934 Depth=1
	v_mov_b64_e32 v[52:53], 0x8000000000000000
	v_lshrrev_b32_e32 v7, 24, v6
	s_mov_b32 s8, exec_lo
	s_delay_alu instid0(VALU_DEP_1)
	v_cmpx_ne_u32_e32 0x80, v7
	s_cbranch_execz .LBB224_1577
; %bb.1572:                             ;   in Loop: Header=BB224_934 Depth=1
	v_mov_b64_e32 v[52:53], 0x7f80000100000000
	v_bfe_u32 v11, v6, 24, 7
	s_mov_b32 s9, exec_lo
	s_delay_alu instid0(VALU_DEP_1)
	v_cmpx_ne_u32_e32 0x7f, v11
	s_cbranch_execz .LBB224_1576
; %bb.1573:                             ;   in Loop: Header=BB224_934 Depth=1
	v_and_b32_e32 v102, 7, v7
	v_lshrrev_b32_e32 v6, 3, v11
	s_mov_b32 s16, exec_lo
	v_cmpx_gt_u32_e32 8, v11
; %bb.1574:                             ;   in Loop: Header=BB224_934 Depth=1
	s_delay_alu instid0(VALU_DEP_3) | instskip(NEXT) | instid1(VALU_DEP_1)
	v_clz_i32_u32_e32 v6, v102
	v_min_u32_e32 v6, 32, v6
	s_delay_alu instid0(VALU_DEP_1) | instskip(NEXT) | instid1(VALU_DEP_1)
	v_subrev_nc_u32_e32 v11, 28, v6
	v_lshlrev_b64_e32 v[52:53], v11, v[102:103]
	s_delay_alu instid0(VALU_DEP_1)
	v_dual_sub_nc_u32 v6, 29, v6 :: v_dual_bitop2_b32 v102, 7, v52 bitop3:0x40
; %bb.1575:                             ;   in Loop: Header=BB224_934 Depth=1
	s_or_b32 exec_lo, exec_lo, s16
	s_delay_alu instid0(VALU_DEP_1) | instskip(NEXT) | instid1(VALU_DEP_2)
	v_dual_lshlrev_b32 v7, 24, v7 :: v_dual_lshlrev_b32 v11, 20, v102
	v_lshl_add_u32 v6, v6, 23, 0x3c000000
	v_mov_b32_e32 v52, v103
	s_delay_alu instid0(VALU_DEP_3) | instskip(NEXT) | instid1(VALU_DEP_1)
	v_and_b32_e32 v7, 0x80000000, v7
	v_or3_b32 v53, v11, v7, v6
.LBB224_1576:                           ;   in Loop: Header=BB224_934 Depth=1
	s_or_b32 exec_lo, exec_lo, s9
.LBB224_1577:                           ;   in Loop: Header=BB224_934 Depth=1
	s_delay_alu instid0(SALU_CYCLE_1)
	s_or_b32 exec_lo, exec_lo, s8
.LBB224_1578:                           ;   in Loop: Header=BB224_934 Depth=1
	s_delay_alu instid0(SALU_CYCLE_1) | instskip(SKIP_4) | instid1(VALU_DEP_3)
	s_or_b32 exec_lo, exec_lo, s3
	v_or_b32_e32 v1, v1, v19
	v_or_b32_e32 v0, v0, v18
	;; [unrolled: 1-line block ×4, first 2 shown]
	v_pk_mul_f32 v[110:111], v[22:23], v[0:1]
	s_delay_alu instid0(VALU_DEP_2)
	v_pk_mul_f32 v[108:109], v[22:23], v[6:7]
	s_and_saveexec_b32 s3, vcc_lo
	s_cbranch_execz .LBB224_1580
; %bb.1579:                             ;   in Loop: Header=BB224_934 Depth=1
	scratch_load_b64 v[0:1], off, s32 offset:200 ; 8-byte Folded Reload
	s_wait_loadcnt 0x0
	v_cmp_lt_i32_e64 s0, v17, v0
	s_delay_alu instid0(VALU_DEP_1) | instskip(SKIP_1) | instid1(VALU_DEP_1)
	v_cndmask_b32_e64 v110, 0, v110, s0
	v_cmp_lt_i32_e64 s0, v114, v0
	v_cndmask_b32_e64 v111, 0, v111, s0
	v_cmp_lt_i32_e64 s0, v10, v0
	s_delay_alu instid0(VALU_DEP_1) | instskip(SKIP_1) | instid1(VALU_DEP_1)
	v_cndmask_b32_e64 v108, 0, v108, s0
	v_cmp_lt_i32_e64 s0, v115, v0
	v_cndmask_b32_e64 v109, 0, v109, s0
.LBB224_1580:                           ;   in Loop: Header=BB224_934 Depth=1
	s_wait_xcnt 0x0
	s_or_b32 exec_lo, exec_lo, s3
	flat_load_b32 v6, v[68:69] offset:2432
	v_mov_b64_e32 v[0:1], 0
	v_mov_b64_e32 v[18:19], 0
	s_mov_b32 s3, exec_lo
	s_wait_loadcnt_dscnt 0x0
	v_and_b32_e32 v7, 0xff, v6
	s_wait_xcnt 0x0
	s_delay_alu instid0(VALU_DEP_1)
	v_cmpx_ne_u16_e32 0, v7
	s_cbranch_execz .LBB224_1588
; %bb.1581:                             ;   in Loop: Header=BB224_934 Depth=1
	v_mov_b64_e32 v[18:19], 0x80000000
	s_mov_b32 s8, exec_lo
	v_cmpx_ne_u16_e32 0x80, v7
	s_cbranch_execz .LBB224_1587
; %bb.1582:                             ;   in Loop: Header=BB224_934 Depth=1
	v_mov_b64_e32 v[18:19], 0x7f800001
	v_and_b32_e32 v11, 0x7f, v6
	s_mov_b32 s9, exec_lo
	s_delay_alu instid0(VALU_DEP_1)
	v_cmpx_ne_u32_e32 0x7f, v11
	s_cbranch_execz .LBB224_1586
; %bb.1583:                             ;   in Loop: Header=BB224_934 Depth=1
	v_dual_lshrrev_b32 v7, 3, v11 :: v_dual_bitop2_b32 v102, 7, v6 bitop3:0x40
	s_mov_b32 s16, exec_lo
	v_cmpx_gt_u32_e32 8, v11
; %bb.1584:                             ;   in Loop: Header=BB224_934 Depth=1
	s_delay_alu instid0(VALU_DEP_2) | instskip(NEXT) | instid1(VALU_DEP_1)
	v_clz_i32_u32_e32 v7, v102
	v_min_u32_e32 v7, 32, v7
	s_delay_alu instid0(VALU_DEP_1) | instskip(NEXT) | instid1(VALU_DEP_1)
	v_subrev_nc_u32_e32 v11, 28, v7
	v_lshlrev_b64_e32 v[18:19], v11, v[102:103]
	s_delay_alu instid0(VALU_DEP_1)
	v_dual_sub_nc_u32 v7, 29, v7 :: v_dual_bitop2_b32 v102, 7, v18 bitop3:0x40
; %bb.1585:                             ;   in Loop: Header=BB224_934 Depth=1
	s_or_b32 exec_lo, exec_lo, s16
	v_lshlrev_b32_e32 v11, 24, v6
	s_delay_alu instid0(VALU_DEP_2) | instskip(NEXT) | instid1(VALU_DEP_3)
	v_lshlrev_b32_e32 v18, 20, v102
	v_lshl_add_u32 v7, v7, 23, 0x3c000000
	s_delay_alu instid0(VALU_DEP_3) | instskip(NEXT) | instid1(VALU_DEP_1)
	v_and_b32_e32 v11, 0x80000000, v11
	v_or3_b32 v102, v18, v11, v7
	s_delay_alu instid0(VALU_DEP_1)
	v_mov_b64_e32 v[18:19], v[102:103]
.LBB224_1586:                           ;   in Loop: Header=BB224_934 Depth=1
	s_or_b32 exec_lo, exec_lo, s9
.LBB224_1587:                           ;   in Loop: Header=BB224_934 Depth=1
	s_delay_alu instid0(SALU_CYCLE_1)
	s_or_b32 exec_lo, exec_lo, s8
.LBB224_1588:                           ;   in Loop: Header=BB224_934 Depth=1
	s_delay_alu instid0(SALU_CYCLE_1) | instskip(SKIP_2) | instid1(VALU_DEP_1)
	s_or_b32 exec_lo, exec_lo, s3
	v_lshrrev_b16 v7, 8, v6
	s_mov_b32 s3, exec_lo
	v_cmpx_ne_u16_e32 0, v7
	s_cbranch_execz .LBB224_1596
; %bb.1589:                             ;   in Loop: Header=BB224_934 Depth=1
	v_mov_b64_e32 v[0:1], 0x8000000000000000
	s_mov_b32 s8, exec_lo
	v_cmpx_ne_u16_e32 0x80, v7
	s_cbranch_execz .LBB224_1595
; %bb.1590:                             ;   in Loop: Header=BB224_934 Depth=1
	v_and_b32_e32 v11, 0xffff, v7
	v_mov_b64_e32 v[0:1], 0x7f80000100000000
	s_mov_b32 s9, exec_lo
	s_delay_alu instid0(VALU_DEP_2) | instskip(NEXT) | instid1(VALU_DEP_1)
	v_and_b32_e32 v7, 0x7f, v11
	v_cmpx_ne_u32_e32 0x7f, v7
	s_cbranch_execz .LBB224_1594
; %bb.1591:                             ;   in Loop: Header=BB224_934 Depth=1
	v_and_b32_e32 v102, 7, v11
	v_lshrrev_b32_e32 v0, 3, v7
	s_mov_b32 s16, exec_lo
	v_cmpx_gt_u32_e32 8, v7
; %bb.1592:                             ;   in Loop: Header=BB224_934 Depth=1
	s_delay_alu instid0(VALU_DEP_3) | instskip(NEXT) | instid1(VALU_DEP_1)
	v_clz_i32_u32_e32 v0, v102
	v_min_u32_e32 v0, 32, v0
	s_delay_alu instid0(VALU_DEP_1) | instskip(SKIP_1) | instid1(VALU_DEP_2)
	v_subrev_nc_u32_e32 v1, 28, v0
	v_sub_nc_u32_e32 v0, 29, v0
	v_lshlrev_b64_e32 v[52:53], v1, v[102:103]
	s_delay_alu instid0(VALU_DEP_1)
	v_and_b32_e32 v102, 7, v52
; %bb.1593:                             ;   in Loop: Header=BB224_934 Depth=1
	s_or_b32 exec_lo, exec_lo, s16
	v_lshlrev_b32_e32 v1, 16, v6
	s_delay_alu instid0(VALU_DEP_2) | instskip(SKIP_1) | instid1(VALU_DEP_3)
	v_lshlrev_b32_e32 v7, 20, v102
	v_lshl_add_u32 v0, v0, 23, 0x3c000000
	v_and_b32_e32 v1, 0x80000000, v1
	s_delay_alu instid0(VALU_DEP_1)
	v_or3_b32 v1, v7, v1, v0
	v_mov_b32_e32 v0, v103
.LBB224_1594:                           ;   in Loop: Header=BB224_934 Depth=1
	s_or_b32 exec_lo, exec_lo, s9
.LBB224_1595:                           ;   in Loop: Header=BB224_934 Depth=1
	s_delay_alu instid0(SALU_CYCLE_1)
	s_or_b32 exec_lo, exec_lo, s8
.LBB224_1596:                           ;   in Loop: Header=BB224_934 Depth=1
	s_delay_alu instid0(SALU_CYCLE_1) | instskip(SKIP_4) | instid1(VALU_DEP_3)
	s_or_b32 exec_lo, exec_lo, s3
	v_lshrrev_b32_e32 v7, 16, v6
	v_mov_b64_e32 v[52:53], 0
	v_mov_b64_e32 v[54:55], 0
	s_mov_b32 s3, exec_lo
	v_and_b32_e32 v11, 0xff, v7
	s_delay_alu instid0(VALU_DEP_1)
	v_cmpx_ne_u16_e32 0, v11
	s_cbranch_execz .LBB224_1604
; %bb.1597:                             ;   in Loop: Header=BB224_934 Depth=1
	v_mov_b64_e32 v[54:55], 0x80000000
	s_mov_b32 s8, exec_lo
	v_cmpx_ne_u16_e32 0x80, v11
	s_cbranch_execz .LBB224_1603
; %bb.1598:                             ;   in Loop: Header=BB224_934 Depth=1
	v_mov_b64_e32 v[54:55], 0x7f800001
	v_bfe_u32 v64, v6, 16, 7
	s_mov_b32 s9, exec_lo
	s_delay_alu instid0(VALU_DEP_1)
	v_cmpx_ne_u32_e32 0x7f, v64
	s_cbranch_execz .LBB224_1602
; %bb.1599:                             ;   in Loop: Header=BB224_934 Depth=1
	v_dual_lshrrev_b32 v11, 3, v64 :: v_dual_bitop2_b32 v102, 7, v7 bitop3:0x40
	s_mov_b32 s16, exec_lo
	v_cmpx_gt_u32_e32 8, v64
; %bb.1600:                             ;   in Loop: Header=BB224_934 Depth=1
	s_delay_alu instid0(VALU_DEP_2) | instskip(NEXT) | instid1(VALU_DEP_1)
	v_clz_i32_u32_e32 v11, v102
	v_min_u32_e32 v11, 32, v11
	s_delay_alu instid0(VALU_DEP_1) | instskip(NEXT) | instid1(VALU_DEP_1)
	v_subrev_nc_u32_e32 v54, 28, v11
	v_lshlrev_b64_e32 v[54:55], v54, v[102:103]
	s_delay_alu instid0(VALU_DEP_1)
	v_dual_sub_nc_u32 v11, 29, v11 :: v_dual_bitop2_b32 v102, 7, v54 bitop3:0x40
; %bb.1601:                             ;   in Loop: Header=BB224_934 Depth=1
	s_or_b32 exec_lo, exec_lo, s16
	s_delay_alu instid0(VALU_DEP_1) | instskip(NEXT) | instid1(VALU_DEP_2)
	v_dual_lshlrev_b32 v7, 24, v7 :: v_dual_lshlrev_b32 v54, 20, v102
	v_lshl_add_u32 v11, v11, 23, 0x3c000000
	s_delay_alu instid0(VALU_DEP_2) | instskip(NEXT) | instid1(VALU_DEP_1)
	v_and_b32_e32 v7, 0x80000000, v7
	v_or3_b32 v102, v54, v7, v11
	s_delay_alu instid0(VALU_DEP_1)
	v_mov_b64_e32 v[54:55], v[102:103]
.LBB224_1602:                           ;   in Loop: Header=BB224_934 Depth=1
	s_or_b32 exec_lo, exec_lo, s9
.LBB224_1603:                           ;   in Loop: Header=BB224_934 Depth=1
	s_delay_alu instid0(SALU_CYCLE_1)
	s_or_b32 exec_lo, exec_lo, s8
.LBB224_1604:                           ;   in Loop: Header=BB224_934 Depth=1
	s_delay_alu instid0(SALU_CYCLE_1) | instskip(NEXT) | instid1(SALU_CYCLE_1)
	s_or_b32 exec_lo, exec_lo, s3
	s_mov_b32 s3, exec_lo
	v_cmpx_lt_u32_e32 0xffffff, v6
	s_cbranch_execz .LBB224_1612
; %bb.1605:                             ;   in Loop: Header=BB224_934 Depth=1
	v_mov_b64_e32 v[52:53], 0x8000000000000000
	v_lshrrev_b32_e32 v7, 24, v6
	s_mov_b32 s8, exec_lo
	s_delay_alu instid0(VALU_DEP_1)
	v_cmpx_ne_u32_e32 0x80, v7
	s_cbranch_execz .LBB224_1611
; %bb.1606:                             ;   in Loop: Header=BB224_934 Depth=1
	v_mov_b64_e32 v[52:53], 0x7f80000100000000
	v_bfe_u32 v11, v6, 24, 7
	s_mov_b32 s9, exec_lo
	s_delay_alu instid0(VALU_DEP_1)
	v_cmpx_ne_u32_e32 0x7f, v11
	s_cbranch_execz .LBB224_1610
; %bb.1607:                             ;   in Loop: Header=BB224_934 Depth=1
	v_and_b32_e32 v102, 7, v7
	v_lshrrev_b32_e32 v6, 3, v11
	s_mov_b32 s16, exec_lo
	v_cmpx_gt_u32_e32 8, v11
; %bb.1608:                             ;   in Loop: Header=BB224_934 Depth=1
	s_delay_alu instid0(VALU_DEP_3) | instskip(NEXT) | instid1(VALU_DEP_1)
	v_clz_i32_u32_e32 v6, v102
	v_min_u32_e32 v6, 32, v6
	s_delay_alu instid0(VALU_DEP_1) | instskip(NEXT) | instid1(VALU_DEP_1)
	v_subrev_nc_u32_e32 v11, 28, v6
	v_lshlrev_b64_e32 v[52:53], v11, v[102:103]
	s_delay_alu instid0(VALU_DEP_1)
	v_dual_sub_nc_u32 v6, 29, v6 :: v_dual_bitop2_b32 v102, 7, v52 bitop3:0x40
; %bb.1609:                             ;   in Loop: Header=BB224_934 Depth=1
	s_or_b32 exec_lo, exec_lo, s16
	s_delay_alu instid0(VALU_DEP_1) | instskip(NEXT) | instid1(VALU_DEP_2)
	v_dual_lshlrev_b32 v7, 24, v7 :: v_dual_lshlrev_b32 v11, 20, v102
	v_lshl_add_u32 v6, v6, 23, 0x3c000000
	v_mov_b32_e32 v52, v103
	s_delay_alu instid0(VALU_DEP_3) | instskip(NEXT) | instid1(VALU_DEP_1)
	v_and_b32_e32 v7, 0x80000000, v7
	v_or3_b32 v53, v11, v7, v6
.LBB224_1610:                           ;   in Loop: Header=BB224_934 Depth=1
	s_or_b32 exec_lo, exec_lo, s9
.LBB224_1611:                           ;   in Loop: Header=BB224_934 Depth=1
	s_delay_alu instid0(SALU_CYCLE_1)
	s_or_b32 exec_lo, exec_lo, s8
.LBB224_1612:                           ;   in Loop: Header=BB224_934 Depth=1
	s_delay_alu instid0(SALU_CYCLE_1) | instskip(SKIP_4) | instid1(VALU_DEP_3)
	s_or_b32 exec_lo, exec_lo, s3
	v_or_b32_e32 v1, v1, v19
	v_or_b32_e32 v0, v0, v18
	v_or_b32_e32 v7, v53, v55
	v_or_b32_e32 v6, v52, v54
	v_pk_mul_f32 v[122:123], v[22:23], v[0:1]
	s_delay_alu instid0(VALU_DEP_2)
	v_pk_mul_f32 v[120:121], v[22:23], v[6:7]
	s_and_saveexec_b32 s3, vcc_lo
	s_cbranch_execz .LBB224_1614
; %bb.1613:                             ;   in Loop: Header=BB224_934 Depth=1
	scratch_load_b64 v[0:1], off, s32 offset:200 ; 8-byte Folded Reload
	s_wait_loadcnt 0x0
	v_cmp_lt_i32_e64 s0, v17, v0
	s_delay_alu instid0(VALU_DEP_1) | instskip(SKIP_1) | instid1(VALU_DEP_1)
	v_cndmask_b32_e64 v122, 0, v122, s0
	v_cmp_lt_i32_e64 s0, v114, v0
	v_cndmask_b32_e64 v123, 0, v123, s0
	v_cmp_lt_i32_e64 s0, v10, v0
	s_delay_alu instid0(VALU_DEP_1) | instskip(SKIP_1) | instid1(VALU_DEP_1)
	v_cndmask_b32_e64 v120, 0, v120, s0
	v_cmp_lt_i32_e64 s0, v115, v0
	v_cndmask_b32_e64 v121, 0, v121, s0
.LBB224_1614:                           ;   in Loop: Header=BB224_934 Depth=1
	s_wait_xcnt 0x0
	s_or_b32 exec_lo, exec_lo, s3
	flat_load_b32 v6, v[68:69] offset:2560
	v_mov_b64_e32 v[0:1], 0
	v_mov_b64_e32 v[18:19], 0
	s_mov_b32 s3, exec_lo
	s_wait_loadcnt_dscnt 0x0
	v_and_b32_e32 v7, 0xff, v6
	s_wait_xcnt 0x0
	s_delay_alu instid0(VALU_DEP_1)
	v_cmpx_ne_u16_e32 0, v7
	s_cbranch_execz .LBB224_1622
; %bb.1615:                             ;   in Loop: Header=BB224_934 Depth=1
	v_mov_b64_e32 v[18:19], 0x80000000
	s_mov_b32 s8, exec_lo
	v_cmpx_ne_u16_e32 0x80, v7
	s_cbranch_execz .LBB224_1621
; %bb.1616:                             ;   in Loop: Header=BB224_934 Depth=1
	v_mov_b64_e32 v[18:19], 0x7f800001
	v_and_b32_e32 v11, 0x7f, v6
	s_mov_b32 s9, exec_lo
	s_delay_alu instid0(VALU_DEP_1)
	v_cmpx_ne_u32_e32 0x7f, v11
	s_cbranch_execz .LBB224_1620
; %bb.1617:                             ;   in Loop: Header=BB224_934 Depth=1
	v_dual_lshrrev_b32 v7, 3, v11 :: v_dual_bitop2_b32 v102, 7, v6 bitop3:0x40
	s_mov_b32 s16, exec_lo
	v_cmpx_gt_u32_e32 8, v11
; %bb.1618:                             ;   in Loop: Header=BB224_934 Depth=1
	s_delay_alu instid0(VALU_DEP_2) | instskip(NEXT) | instid1(VALU_DEP_1)
	v_clz_i32_u32_e32 v7, v102
	v_min_u32_e32 v7, 32, v7
	s_delay_alu instid0(VALU_DEP_1) | instskip(NEXT) | instid1(VALU_DEP_1)
	v_subrev_nc_u32_e32 v11, 28, v7
	v_lshlrev_b64_e32 v[18:19], v11, v[102:103]
	s_delay_alu instid0(VALU_DEP_1)
	v_dual_sub_nc_u32 v7, 29, v7 :: v_dual_bitop2_b32 v102, 7, v18 bitop3:0x40
; %bb.1619:                             ;   in Loop: Header=BB224_934 Depth=1
	s_or_b32 exec_lo, exec_lo, s16
	v_lshlrev_b32_e32 v11, 24, v6
	s_delay_alu instid0(VALU_DEP_2) | instskip(NEXT) | instid1(VALU_DEP_3)
	v_lshlrev_b32_e32 v18, 20, v102
	v_lshl_add_u32 v7, v7, 23, 0x3c000000
	s_delay_alu instid0(VALU_DEP_3) | instskip(NEXT) | instid1(VALU_DEP_1)
	v_and_b32_e32 v11, 0x80000000, v11
	v_or3_b32 v102, v18, v11, v7
	s_delay_alu instid0(VALU_DEP_1)
	v_mov_b64_e32 v[18:19], v[102:103]
.LBB224_1620:                           ;   in Loop: Header=BB224_934 Depth=1
	s_or_b32 exec_lo, exec_lo, s9
.LBB224_1621:                           ;   in Loop: Header=BB224_934 Depth=1
	s_delay_alu instid0(SALU_CYCLE_1)
	s_or_b32 exec_lo, exec_lo, s8
.LBB224_1622:                           ;   in Loop: Header=BB224_934 Depth=1
	s_delay_alu instid0(SALU_CYCLE_1) | instskip(SKIP_2) | instid1(VALU_DEP_1)
	s_or_b32 exec_lo, exec_lo, s3
	v_lshrrev_b16 v7, 8, v6
	s_mov_b32 s3, exec_lo
	v_cmpx_ne_u16_e32 0, v7
	s_cbranch_execz .LBB224_1630
; %bb.1623:                             ;   in Loop: Header=BB224_934 Depth=1
	v_mov_b64_e32 v[0:1], 0x8000000000000000
	s_mov_b32 s8, exec_lo
	v_cmpx_ne_u16_e32 0x80, v7
	s_cbranch_execz .LBB224_1629
; %bb.1624:                             ;   in Loop: Header=BB224_934 Depth=1
	v_and_b32_e32 v11, 0xffff, v7
	v_mov_b64_e32 v[0:1], 0x7f80000100000000
	s_mov_b32 s9, exec_lo
	s_delay_alu instid0(VALU_DEP_2) | instskip(NEXT) | instid1(VALU_DEP_1)
	v_and_b32_e32 v7, 0x7f, v11
	v_cmpx_ne_u32_e32 0x7f, v7
	s_cbranch_execz .LBB224_1628
; %bb.1625:                             ;   in Loop: Header=BB224_934 Depth=1
	v_and_b32_e32 v102, 7, v11
	v_lshrrev_b32_e32 v0, 3, v7
	s_mov_b32 s16, exec_lo
	v_cmpx_gt_u32_e32 8, v7
; %bb.1626:                             ;   in Loop: Header=BB224_934 Depth=1
	s_delay_alu instid0(VALU_DEP_3) | instskip(NEXT) | instid1(VALU_DEP_1)
	v_clz_i32_u32_e32 v0, v102
	v_min_u32_e32 v0, 32, v0
	s_delay_alu instid0(VALU_DEP_1) | instskip(SKIP_1) | instid1(VALU_DEP_2)
	v_subrev_nc_u32_e32 v1, 28, v0
	v_sub_nc_u32_e32 v0, 29, v0
	v_lshlrev_b64_e32 v[52:53], v1, v[102:103]
	s_delay_alu instid0(VALU_DEP_1)
	v_and_b32_e32 v102, 7, v52
; %bb.1627:                             ;   in Loop: Header=BB224_934 Depth=1
	s_or_b32 exec_lo, exec_lo, s16
	v_lshlrev_b32_e32 v1, 16, v6
	s_delay_alu instid0(VALU_DEP_2) | instskip(SKIP_1) | instid1(VALU_DEP_3)
	v_lshlrev_b32_e32 v7, 20, v102
	v_lshl_add_u32 v0, v0, 23, 0x3c000000
	v_and_b32_e32 v1, 0x80000000, v1
	s_delay_alu instid0(VALU_DEP_1)
	v_or3_b32 v1, v7, v1, v0
	v_mov_b32_e32 v0, v103
.LBB224_1628:                           ;   in Loop: Header=BB224_934 Depth=1
	s_or_b32 exec_lo, exec_lo, s9
.LBB224_1629:                           ;   in Loop: Header=BB224_934 Depth=1
	s_delay_alu instid0(SALU_CYCLE_1)
	s_or_b32 exec_lo, exec_lo, s8
.LBB224_1630:                           ;   in Loop: Header=BB224_934 Depth=1
	s_delay_alu instid0(SALU_CYCLE_1) | instskip(SKIP_4) | instid1(VALU_DEP_3)
	s_or_b32 exec_lo, exec_lo, s3
	v_lshrrev_b32_e32 v7, 16, v6
	v_mov_b64_e32 v[52:53], 0
	v_mov_b64_e32 v[54:55], 0
	s_mov_b32 s3, exec_lo
	v_and_b32_e32 v11, 0xff, v7
	s_delay_alu instid0(VALU_DEP_1)
	v_cmpx_ne_u16_e32 0, v11
	s_cbranch_execz .LBB224_1638
; %bb.1631:                             ;   in Loop: Header=BB224_934 Depth=1
	v_mov_b64_e32 v[54:55], 0x80000000
	s_mov_b32 s8, exec_lo
	v_cmpx_ne_u16_e32 0x80, v11
	s_cbranch_execz .LBB224_1637
; %bb.1632:                             ;   in Loop: Header=BB224_934 Depth=1
	v_mov_b64_e32 v[54:55], 0x7f800001
	v_bfe_u32 v64, v6, 16, 7
	s_mov_b32 s9, exec_lo
	s_delay_alu instid0(VALU_DEP_1)
	v_cmpx_ne_u32_e32 0x7f, v64
	s_cbranch_execz .LBB224_1636
; %bb.1633:                             ;   in Loop: Header=BB224_934 Depth=1
	v_dual_lshrrev_b32 v11, 3, v64 :: v_dual_bitop2_b32 v102, 7, v7 bitop3:0x40
	s_mov_b32 s16, exec_lo
	v_cmpx_gt_u32_e32 8, v64
; %bb.1634:                             ;   in Loop: Header=BB224_934 Depth=1
	s_delay_alu instid0(VALU_DEP_2) | instskip(NEXT) | instid1(VALU_DEP_1)
	v_clz_i32_u32_e32 v11, v102
	v_min_u32_e32 v11, 32, v11
	s_delay_alu instid0(VALU_DEP_1) | instskip(NEXT) | instid1(VALU_DEP_1)
	v_subrev_nc_u32_e32 v54, 28, v11
	v_lshlrev_b64_e32 v[54:55], v54, v[102:103]
	s_delay_alu instid0(VALU_DEP_1)
	v_dual_sub_nc_u32 v11, 29, v11 :: v_dual_bitop2_b32 v102, 7, v54 bitop3:0x40
; %bb.1635:                             ;   in Loop: Header=BB224_934 Depth=1
	s_or_b32 exec_lo, exec_lo, s16
	s_delay_alu instid0(VALU_DEP_1) | instskip(NEXT) | instid1(VALU_DEP_2)
	v_dual_lshlrev_b32 v7, 24, v7 :: v_dual_lshlrev_b32 v54, 20, v102
	v_lshl_add_u32 v11, v11, 23, 0x3c000000
	s_delay_alu instid0(VALU_DEP_2) | instskip(NEXT) | instid1(VALU_DEP_1)
	v_and_b32_e32 v7, 0x80000000, v7
	v_or3_b32 v102, v54, v7, v11
	s_delay_alu instid0(VALU_DEP_1)
	v_mov_b64_e32 v[54:55], v[102:103]
.LBB224_1636:                           ;   in Loop: Header=BB224_934 Depth=1
	s_or_b32 exec_lo, exec_lo, s9
.LBB224_1637:                           ;   in Loop: Header=BB224_934 Depth=1
	s_delay_alu instid0(SALU_CYCLE_1)
	s_or_b32 exec_lo, exec_lo, s8
.LBB224_1638:                           ;   in Loop: Header=BB224_934 Depth=1
	s_delay_alu instid0(SALU_CYCLE_1) | instskip(NEXT) | instid1(SALU_CYCLE_1)
	s_or_b32 exec_lo, exec_lo, s3
	s_mov_b32 s3, exec_lo
	v_cmpx_lt_u32_e32 0xffffff, v6
	s_cbranch_execz .LBB224_1646
; %bb.1639:                             ;   in Loop: Header=BB224_934 Depth=1
	v_mov_b64_e32 v[52:53], 0x8000000000000000
	v_lshrrev_b32_e32 v7, 24, v6
	s_mov_b32 s8, exec_lo
	s_delay_alu instid0(VALU_DEP_1)
	v_cmpx_ne_u32_e32 0x80, v7
	s_cbranch_execz .LBB224_1645
; %bb.1640:                             ;   in Loop: Header=BB224_934 Depth=1
	v_mov_b64_e32 v[52:53], 0x7f80000100000000
	v_bfe_u32 v11, v6, 24, 7
	s_mov_b32 s9, exec_lo
	s_delay_alu instid0(VALU_DEP_1)
	v_cmpx_ne_u32_e32 0x7f, v11
	s_cbranch_execz .LBB224_1644
; %bb.1641:                             ;   in Loop: Header=BB224_934 Depth=1
	v_and_b32_e32 v102, 7, v7
	v_lshrrev_b32_e32 v6, 3, v11
	s_mov_b32 s16, exec_lo
	v_cmpx_gt_u32_e32 8, v11
; %bb.1642:                             ;   in Loop: Header=BB224_934 Depth=1
	s_delay_alu instid0(VALU_DEP_3) | instskip(NEXT) | instid1(VALU_DEP_1)
	v_clz_i32_u32_e32 v6, v102
	v_min_u32_e32 v6, 32, v6
	s_delay_alu instid0(VALU_DEP_1) | instskip(NEXT) | instid1(VALU_DEP_1)
	v_subrev_nc_u32_e32 v11, 28, v6
	v_lshlrev_b64_e32 v[52:53], v11, v[102:103]
	s_delay_alu instid0(VALU_DEP_1)
	v_dual_sub_nc_u32 v6, 29, v6 :: v_dual_bitop2_b32 v102, 7, v52 bitop3:0x40
; %bb.1643:                             ;   in Loop: Header=BB224_934 Depth=1
	s_or_b32 exec_lo, exec_lo, s16
	s_delay_alu instid0(VALU_DEP_1) | instskip(NEXT) | instid1(VALU_DEP_2)
	v_dual_lshlrev_b32 v7, 24, v7 :: v_dual_lshlrev_b32 v11, 20, v102
	v_lshl_add_u32 v6, v6, 23, 0x3c000000
	v_mov_b32_e32 v52, v103
	s_delay_alu instid0(VALU_DEP_3) | instskip(NEXT) | instid1(VALU_DEP_1)
	v_and_b32_e32 v7, 0x80000000, v7
	v_or3_b32 v53, v11, v7, v6
.LBB224_1644:                           ;   in Loop: Header=BB224_934 Depth=1
	s_or_b32 exec_lo, exec_lo, s9
.LBB224_1645:                           ;   in Loop: Header=BB224_934 Depth=1
	s_delay_alu instid0(SALU_CYCLE_1)
	s_or_b32 exec_lo, exec_lo, s8
.LBB224_1646:                           ;   in Loop: Header=BB224_934 Depth=1
	s_delay_alu instid0(SALU_CYCLE_1) | instskip(SKIP_4) | instid1(VALU_DEP_3)
	s_or_b32 exec_lo, exec_lo, s3
	v_or_b32_e32 v1, v1, v19
	v_or_b32_e32 v0, v0, v18
	;; [unrolled: 1-line block ×4, first 2 shown]
	v_pk_mul_f32 v[126:127], v[22:23], v[0:1]
	s_delay_alu instid0(VALU_DEP_2)
	v_pk_mul_f32 v[124:125], v[22:23], v[6:7]
	s_and_saveexec_b32 s3, vcc_lo
	s_cbranch_execz .LBB224_1648
; %bb.1647:                             ;   in Loop: Header=BB224_934 Depth=1
	scratch_load_b64 v[0:1], off, s32 offset:200 ; 8-byte Folded Reload
	s_wait_loadcnt 0x0
	v_cmp_lt_i32_e64 s0, v17, v0
	s_delay_alu instid0(VALU_DEP_1) | instskip(SKIP_1) | instid1(VALU_DEP_1)
	v_cndmask_b32_e64 v126, 0, v126, s0
	v_cmp_lt_i32_e64 s0, v114, v0
	v_cndmask_b32_e64 v127, 0, v127, s0
	v_cmp_lt_i32_e64 s0, v10, v0
	s_delay_alu instid0(VALU_DEP_1) | instskip(SKIP_1) | instid1(VALU_DEP_1)
	v_cndmask_b32_e64 v124, 0, v124, s0
	v_cmp_lt_i32_e64 s0, v115, v0
	v_cndmask_b32_e64 v125, 0, v125, s0
.LBB224_1648:                           ;   in Loop: Header=BB224_934 Depth=1
	s_wait_xcnt 0x0
	s_or_b32 exec_lo, exec_lo, s3
	flat_load_b32 v6, v[68:69] offset:2688
	v_mov_b64_e32 v[0:1], 0
	v_mov_b64_e32 v[18:19], 0
	s_mov_b32 s3, exec_lo
	s_wait_loadcnt_dscnt 0x0
	v_and_b32_e32 v7, 0xff, v6
	s_wait_xcnt 0x0
	s_delay_alu instid0(VALU_DEP_1)
	v_cmpx_ne_u16_e32 0, v7
	s_cbranch_execz .LBB224_1656
; %bb.1649:                             ;   in Loop: Header=BB224_934 Depth=1
	v_mov_b64_e32 v[18:19], 0x80000000
	s_mov_b32 s8, exec_lo
	v_cmpx_ne_u16_e32 0x80, v7
	s_cbranch_execz .LBB224_1655
; %bb.1650:                             ;   in Loop: Header=BB224_934 Depth=1
	v_mov_b64_e32 v[18:19], 0x7f800001
	v_and_b32_e32 v11, 0x7f, v6
	s_mov_b32 s9, exec_lo
	s_delay_alu instid0(VALU_DEP_1)
	v_cmpx_ne_u32_e32 0x7f, v11
	s_cbranch_execz .LBB224_1654
; %bb.1651:                             ;   in Loop: Header=BB224_934 Depth=1
	v_dual_lshrrev_b32 v7, 3, v11 :: v_dual_bitop2_b32 v102, 7, v6 bitop3:0x40
	s_mov_b32 s16, exec_lo
	v_cmpx_gt_u32_e32 8, v11
; %bb.1652:                             ;   in Loop: Header=BB224_934 Depth=1
	s_delay_alu instid0(VALU_DEP_2) | instskip(NEXT) | instid1(VALU_DEP_1)
	v_clz_i32_u32_e32 v7, v102
	v_min_u32_e32 v7, 32, v7
	s_delay_alu instid0(VALU_DEP_1) | instskip(NEXT) | instid1(VALU_DEP_1)
	v_subrev_nc_u32_e32 v11, 28, v7
	v_lshlrev_b64_e32 v[18:19], v11, v[102:103]
	s_delay_alu instid0(VALU_DEP_1)
	v_dual_sub_nc_u32 v7, 29, v7 :: v_dual_bitop2_b32 v102, 7, v18 bitop3:0x40
; %bb.1653:                             ;   in Loop: Header=BB224_934 Depth=1
	s_or_b32 exec_lo, exec_lo, s16
	v_lshlrev_b32_e32 v11, 24, v6
	s_delay_alu instid0(VALU_DEP_2) | instskip(NEXT) | instid1(VALU_DEP_3)
	v_lshlrev_b32_e32 v18, 20, v102
	v_lshl_add_u32 v7, v7, 23, 0x3c000000
	s_delay_alu instid0(VALU_DEP_3) | instskip(NEXT) | instid1(VALU_DEP_1)
	v_and_b32_e32 v11, 0x80000000, v11
	v_or3_b32 v102, v18, v11, v7
	s_delay_alu instid0(VALU_DEP_1)
	v_mov_b64_e32 v[18:19], v[102:103]
.LBB224_1654:                           ;   in Loop: Header=BB224_934 Depth=1
	s_or_b32 exec_lo, exec_lo, s9
.LBB224_1655:                           ;   in Loop: Header=BB224_934 Depth=1
	s_delay_alu instid0(SALU_CYCLE_1)
	s_or_b32 exec_lo, exec_lo, s8
.LBB224_1656:                           ;   in Loop: Header=BB224_934 Depth=1
	s_delay_alu instid0(SALU_CYCLE_1) | instskip(SKIP_2) | instid1(VALU_DEP_1)
	s_or_b32 exec_lo, exec_lo, s3
	v_lshrrev_b16 v7, 8, v6
	s_mov_b32 s3, exec_lo
	v_cmpx_ne_u16_e32 0, v7
	s_cbranch_execz .LBB224_1664
; %bb.1657:                             ;   in Loop: Header=BB224_934 Depth=1
	v_mov_b64_e32 v[0:1], 0x8000000000000000
	s_mov_b32 s8, exec_lo
	v_cmpx_ne_u16_e32 0x80, v7
	s_cbranch_execz .LBB224_1663
; %bb.1658:                             ;   in Loop: Header=BB224_934 Depth=1
	v_and_b32_e32 v11, 0xffff, v7
	v_mov_b64_e32 v[0:1], 0x7f80000100000000
	s_mov_b32 s9, exec_lo
	s_delay_alu instid0(VALU_DEP_2) | instskip(NEXT) | instid1(VALU_DEP_1)
	v_and_b32_e32 v7, 0x7f, v11
	v_cmpx_ne_u32_e32 0x7f, v7
	s_cbranch_execz .LBB224_1662
; %bb.1659:                             ;   in Loop: Header=BB224_934 Depth=1
	v_and_b32_e32 v102, 7, v11
	v_lshrrev_b32_e32 v0, 3, v7
	s_mov_b32 s16, exec_lo
	v_cmpx_gt_u32_e32 8, v7
; %bb.1660:                             ;   in Loop: Header=BB224_934 Depth=1
	s_delay_alu instid0(VALU_DEP_3) | instskip(NEXT) | instid1(VALU_DEP_1)
	v_clz_i32_u32_e32 v0, v102
	v_min_u32_e32 v0, 32, v0
	s_delay_alu instid0(VALU_DEP_1) | instskip(SKIP_1) | instid1(VALU_DEP_2)
	v_subrev_nc_u32_e32 v1, 28, v0
	v_sub_nc_u32_e32 v0, 29, v0
	v_lshlrev_b64_e32 v[52:53], v1, v[102:103]
	s_delay_alu instid0(VALU_DEP_1)
	v_and_b32_e32 v102, 7, v52
; %bb.1661:                             ;   in Loop: Header=BB224_934 Depth=1
	s_or_b32 exec_lo, exec_lo, s16
	v_lshlrev_b32_e32 v1, 16, v6
	s_delay_alu instid0(VALU_DEP_2) | instskip(SKIP_1) | instid1(VALU_DEP_3)
	v_lshlrev_b32_e32 v7, 20, v102
	v_lshl_add_u32 v0, v0, 23, 0x3c000000
	v_and_b32_e32 v1, 0x80000000, v1
	s_delay_alu instid0(VALU_DEP_1)
	v_or3_b32 v1, v7, v1, v0
	v_mov_b32_e32 v0, v103
.LBB224_1662:                           ;   in Loop: Header=BB224_934 Depth=1
	s_or_b32 exec_lo, exec_lo, s9
.LBB224_1663:                           ;   in Loop: Header=BB224_934 Depth=1
	s_delay_alu instid0(SALU_CYCLE_1)
	s_or_b32 exec_lo, exec_lo, s8
.LBB224_1664:                           ;   in Loop: Header=BB224_934 Depth=1
	s_delay_alu instid0(SALU_CYCLE_1) | instskip(SKIP_4) | instid1(VALU_DEP_3)
	s_or_b32 exec_lo, exec_lo, s3
	v_lshrrev_b32_e32 v7, 16, v6
	v_mov_b64_e32 v[52:53], 0
	v_mov_b64_e32 v[54:55], 0
	s_mov_b32 s3, exec_lo
	v_and_b32_e32 v11, 0xff, v7
	s_delay_alu instid0(VALU_DEP_1)
	v_cmpx_ne_u16_e32 0, v11
	s_cbranch_execz .LBB224_1672
; %bb.1665:                             ;   in Loop: Header=BB224_934 Depth=1
	v_mov_b64_e32 v[54:55], 0x80000000
	s_mov_b32 s8, exec_lo
	v_cmpx_ne_u16_e32 0x80, v11
	s_cbranch_execz .LBB224_1671
; %bb.1666:                             ;   in Loop: Header=BB224_934 Depth=1
	v_mov_b64_e32 v[54:55], 0x7f800001
	v_bfe_u32 v64, v6, 16, 7
	s_mov_b32 s9, exec_lo
	s_delay_alu instid0(VALU_DEP_1)
	v_cmpx_ne_u32_e32 0x7f, v64
	s_cbranch_execz .LBB224_1670
; %bb.1667:                             ;   in Loop: Header=BB224_934 Depth=1
	v_dual_lshrrev_b32 v11, 3, v64 :: v_dual_bitop2_b32 v102, 7, v7 bitop3:0x40
	s_mov_b32 s16, exec_lo
	v_cmpx_gt_u32_e32 8, v64
; %bb.1668:                             ;   in Loop: Header=BB224_934 Depth=1
	s_delay_alu instid0(VALU_DEP_2) | instskip(NEXT) | instid1(VALU_DEP_1)
	v_clz_i32_u32_e32 v11, v102
	v_min_u32_e32 v11, 32, v11
	s_delay_alu instid0(VALU_DEP_1) | instskip(NEXT) | instid1(VALU_DEP_1)
	v_subrev_nc_u32_e32 v54, 28, v11
	v_lshlrev_b64_e32 v[54:55], v54, v[102:103]
	s_delay_alu instid0(VALU_DEP_1)
	v_dual_sub_nc_u32 v11, 29, v11 :: v_dual_bitop2_b32 v102, 7, v54 bitop3:0x40
; %bb.1669:                             ;   in Loop: Header=BB224_934 Depth=1
	s_or_b32 exec_lo, exec_lo, s16
	s_delay_alu instid0(VALU_DEP_1) | instskip(NEXT) | instid1(VALU_DEP_2)
	v_dual_lshlrev_b32 v7, 24, v7 :: v_dual_lshlrev_b32 v54, 20, v102
	v_lshl_add_u32 v11, v11, 23, 0x3c000000
	s_delay_alu instid0(VALU_DEP_2) | instskip(NEXT) | instid1(VALU_DEP_1)
	v_and_b32_e32 v7, 0x80000000, v7
	v_or3_b32 v102, v54, v7, v11
	s_delay_alu instid0(VALU_DEP_1)
	v_mov_b64_e32 v[54:55], v[102:103]
.LBB224_1670:                           ;   in Loop: Header=BB224_934 Depth=1
	s_or_b32 exec_lo, exec_lo, s9
.LBB224_1671:                           ;   in Loop: Header=BB224_934 Depth=1
	s_delay_alu instid0(SALU_CYCLE_1)
	s_or_b32 exec_lo, exec_lo, s8
.LBB224_1672:                           ;   in Loop: Header=BB224_934 Depth=1
	s_delay_alu instid0(SALU_CYCLE_1) | instskip(NEXT) | instid1(SALU_CYCLE_1)
	s_or_b32 exec_lo, exec_lo, s3
	s_mov_b32 s3, exec_lo
	v_cmpx_lt_u32_e32 0xffffff, v6
	s_cbranch_execz .LBB224_1680
; %bb.1673:                             ;   in Loop: Header=BB224_934 Depth=1
	v_mov_b64_e32 v[52:53], 0x8000000000000000
	v_lshrrev_b32_e32 v7, 24, v6
	s_mov_b32 s8, exec_lo
	s_delay_alu instid0(VALU_DEP_1)
	v_cmpx_ne_u32_e32 0x80, v7
	s_cbranch_execz .LBB224_1679
; %bb.1674:                             ;   in Loop: Header=BB224_934 Depth=1
	v_mov_b64_e32 v[52:53], 0x7f80000100000000
	v_bfe_u32 v11, v6, 24, 7
	s_mov_b32 s9, exec_lo
	s_delay_alu instid0(VALU_DEP_1)
	v_cmpx_ne_u32_e32 0x7f, v11
	s_cbranch_execz .LBB224_1678
; %bb.1675:                             ;   in Loop: Header=BB224_934 Depth=1
	v_and_b32_e32 v102, 7, v7
	v_lshrrev_b32_e32 v6, 3, v11
	s_mov_b32 s16, exec_lo
	v_cmpx_gt_u32_e32 8, v11
; %bb.1676:                             ;   in Loop: Header=BB224_934 Depth=1
	s_delay_alu instid0(VALU_DEP_3) | instskip(NEXT) | instid1(VALU_DEP_1)
	v_clz_i32_u32_e32 v6, v102
	v_min_u32_e32 v6, 32, v6
	s_delay_alu instid0(VALU_DEP_1) | instskip(NEXT) | instid1(VALU_DEP_1)
	v_subrev_nc_u32_e32 v11, 28, v6
	v_lshlrev_b64_e32 v[52:53], v11, v[102:103]
	s_delay_alu instid0(VALU_DEP_1)
	v_dual_sub_nc_u32 v6, 29, v6 :: v_dual_bitop2_b32 v102, 7, v52 bitop3:0x40
; %bb.1677:                             ;   in Loop: Header=BB224_934 Depth=1
	s_or_b32 exec_lo, exec_lo, s16
	s_delay_alu instid0(VALU_DEP_1) | instskip(NEXT) | instid1(VALU_DEP_2)
	v_dual_lshlrev_b32 v7, 24, v7 :: v_dual_lshlrev_b32 v11, 20, v102
	v_lshl_add_u32 v6, v6, 23, 0x3c000000
	v_mov_b32_e32 v52, v103
	s_delay_alu instid0(VALU_DEP_3) | instskip(NEXT) | instid1(VALU_DEP_1)
	v_and_b32_e32 v7, 0x80000000, v7
	v_or3_b32 v53, v11, v7, v6
.LBB224_1678:                           ;   in Loop: Header=BB224_934 Depth=1
	s_or_b32 exec_lo, exec_lo, s9
.LBB224_1679:                           ;   in Loop: Header=BB224_934 Depth=1
	s_delay_alu instid0(SALU_CYCLE_1)
	s_or_b32 exec_lo, exec_lo, s8
.LBB224_1680:                           ;   in Loop: Header=BB224_934 Depth=1
	s_delay_alu instid0(SALU_CYCLE_1) | instskip(SKIP_4) | instid1(VALU_DEP_3)
	s_or_b32 exec_lo, exec_lo, s3
	v_or_b32_e32 v1, v1, v19
	v_or_b32_e32 v0, v0, v18
	v_or_b32_e32 v7, v53, v55
	v_or_b32_e32 v6, v52, v54
	v_pk_mul_f32 v[0:1], v[22:23], v[0:1]
	s_delay_alu instid0(VALU_DEP_2)
	v_pk_mul_f32 v[52:53], v[22:23], v[6:7]
	s_and_saveexec_b32 s3, vcc_lo
	s_cbranch_execz .LBB224_1682
; %bb.1681:                             ;   in Loop: Header=BB224_934 Depth=1
	scratch_load_b64 v[6:7], off, s32 offset:200 ; 8-byte Folded Reload
	s_wait_loadcnt 0x0
	v_cmp_lt_i32_e64 s0, v17, v6
	s_delay_alu instid0(VALU_DEP_1) | instskip(SKIP_1) | instid1(VALU_DEP_1)
	v_cndmask_b32_e64 v0, 0, v0, s0
	v_cmp_lt_i32_e64 s0, v114, v6
	v_cndmask_b32_e64 v1, 0, v1, s0
	v_cmp_lt_i32_e64 s0, v10, v6
	s_delay_alu instid0(VALU_DEP_1) | instskip(SKIP_1) | instid1(VALU_DEP_1)
	v_cndmask_b32_e64 v52, 0, v52, s0
	v_cmp_lt_i32_e64 s0, v115, v6
	v_cndmask_b32_e64 v53, 0, v53, s0
.LBB224_1682:                           ;   in Loop: Header=BB224_934 Depth=1
	s_wait_xcnt 0x0
	s_or_b32 exec_lo, exec_lo, s3
	flat_load_b32 v6, v[68:69] offset:2816
	v_mov_b64_e32 v[18:19], 0
	v_mov_b64_e32 v[54:55], 0
	s_mov_b32 s3, exec_lo
	s_wait_loadcnt_dscnt 0x0
	v_and_b32_e32 v7, 0xff, v6
	s_wait_xcnt 0x0
	s_delay_alu instid0(VALU_DEP_1)
	v_cmpx_ne_u16_e32 0, v7
	s_cbranch_execz .LBB224_1690
; %bb.1683:                             ;   in Loop: Header=BB224_934 Depth=1
	v_mov_b64_e32 v[54:55], 0x80000000
	s_mov_b32 s8, exec_lo
	v_cmpx_ne_u16_e32 0x80, v7
	s_cbranch_execz .LBB224_1689
; %bb.1684:                             ;   in Loop: Header=BB224_934 Depth=1
	v_mov_b64_e32 v[54:55], 0x7f800001
	v_and_b32_e32 v11, 0x7f, v6
	s_mov_b32 s9, exec_lo
	s_delay_alu instid0(VALU_DEP_1)
	v_cmpx_ne_u32_e32 0x7f, v11
	s_cbranch_execz .LBB224_1688
; %bb.1685:                             ;   in Loop: Header=BB224_934 Depth=1
	v_dual_lshrrev_b32 v7, 3, v11 :: v_dual_bitop2_b32 v102, 7, v6 bitop3:0x40
	s_mov_b32 s16, exec_lo
	v_cmpx_gt_u32_e32 8, v11
; %bb.1686:                             ;   in Loop: Header=BB224_934 Depth=1
	s_delay_alu instid0(VALU_DEP_2) | instskip(NEXT) | instid1(VALU_DEP_1)
	v_clz_i32_u32_e32 v7, v102
	v_min_u32_e32 v7, 32, v7
	s_delay_alu instid0(VALU_DEP_1) | instskip(NEXT) | instid1(VALU_DEP_1)
	v_subrev_nc_u32_e32 v11, 28, v7
	v_lshlrev_b64_e32 v[54:55], v11, v[102:103]
	s_delay_alu instid0(VALU_DEP_1)
	v_dual_sub_nc_u32 v7, 29, v7 :: v_dual_bitop2_b32 v102, 7, v54 bitop3:0x40
; %bb.1687:                             ;   in Loop: Header=BB224_934 Depth=1
	s_or_b32 exec_lo, exec_lo, s16
	v_lshlrev_b32_e32 v11, 24, v6
	s_delay_alu instid0(VALU_DEP_2) | instskip(NEXT) | instid1(VALU_DEP_3)
	v_lshlrev_b32_e32 v54, 20, v102
	v_lshl_add_u32 v7, v7, 23, 0x3c000000
	s_delay_alu instid0(VALU_DEP_3) | instskip(NEXT) | instid1(VALU_DEP_1)
	v_and_b32_e32 v11, 0x80000000, v11
	v_or3_b32 v102, v54, v11, v7
	s_delay_alu instid0(VALU_DEP_1)
	v_mov_b64_e32 v[54:55], v[102:103]
.LBB224_1688:                           ;   in Loop: Header=BB224_934 Depth=1
	s_or_b32 exec_lo, exec_lo, s9
.LBB224_1689:                           ;   in Loop: Header=BB224_934 Depth=1
	s_delay_alu instid0(SALU_CYCLE_1)
	s_or_b32 exec_lo, exec_lo, s8
.LBB224_1690:                           ;   in Loop: Header=BB224_934 Depth=1
	s_delay_alu instid0(SALU_CYCLE_1) | instskip(SKIP_2) | instid1(VALU_DEP_1)
	s_or_b32 exec_lo, exec_lo, s3
	v_lshrrev_b16 v7, 8, v6
	s_mov_b32 s3, exec_lo
	v_cmpx_ne_u16_e32 0, v7
	s_cbranch_execz .LBB224_1698
; %bb.1691:                             ;   in Loop: Header=BB224_934 Depth=1
	v_mov_b64_e32 v[18:19], 0x8000000000000000
	s_mov_b32 s8, exec_lo
	v_cmpx_ne_u16_e32 0x80, v7
	s_cbranch_execz .LBB224_1697
; %bb.1692:                             ;   in Loop: Header=BB224_934 Depth=1
	v_and_b32_e32 v7, 0xffff, v7
	v_mov_b64_e32 v[18:19], 0x7f80000100000000
	s_mov_b32 s9, exec_lo
	s_delay_alu instid0(VALU_DEP_2) | instskip(NEXT) | instid1(VALU_DEP_1)
	v_and_b32_e32 v11, 0x7f, v7
	v_cmpx_ne_u32_e32 0x7f, v11
	s_cbranch_execz .LBB224_1696
; %bb.1693:                             ;   in Loop: Header=BB224_934 Depth=1
	v_and_b32_e32 v102, 7, v7
	v_lshrrev_b32_e32 v7, 3, v11
	s_mov_b32 s16, exec_lo
	v_cmpx_gt_u32_e32 8, v11
; %bb.1694:                             ;   in Loop: Header=BB224_934 Depth=1
	s_delay_alu instid0(VALU_DEP_3) | instskip(NEXT) | instid1(VALU_DEP_1)
	v_clz_i32_u32_e32 v7, v102
	v_min_u32_e32 v7, 32, v7
	s_delay_alu instid0(VALU_DEP_1) | instskip(NEXT) | instid1(VALU_DEP_1)
	v_subrev_nc_u32_e32 v11, 28, v7
	v_lshlrev_b64_e32 v[18:19], v11, v[102:103]
	s_delay_alu instid0(VALU_DEP_1)
	v_dual_sub_nc_u32 v7, 29, v7 :: v_dual_bitop2_b32 v102, 7, v18 bitop3:0x40
; %bb.1695:                             ;   in Loop: Header=BB224_934 Depth=1
	s_or_b32 exec_lo, exec_lo, s16
	v_lshlrev_b32_e32 v11, 16, v6
	s_delay_alu instid0(VALU_DEP_2) | instskip(NEXT) | instid1(VALU_DEP_3)
	v_lshlrev_b32_e32 v18, 20, v102
	v_lshl_add_u32 v7, v7, 23, 0x3c000000
	s_delay_alu instid0(VALU_DEP_3) | instskip(NEXT) | instid1(VALU_DEP_1)
	v_and_b32_e32 v11, 0x80000000, v11
	v_or3_b32 v19, v18, v11, v7
	v_mov_b32_e32 v18, v103
.LBB224_1696:                           ;   in Loop: Header=BB224_934 Depth=1
	s_or_b32 exec_lo, exec_lo, s9
.LBB224_1697:                           ;   in Loop: Header=BB224_934 Depth=1
	s_delay_alu instid0(SALU_CYCLE_1)
	s_or_b32 exec_lo, exec_lo, s8
.LBB224_1698:                           ;   in Loop: Header=BB224_934 Depth=1
	s_delay_alu instid0(SALU_CYCLE_1) | instskip(SKIP_4) | instid1(VALU_DEP_3)
	s_or_b32 exec_lo, exec_lo, s3
	v_lshrrev_b32_e32 v7, 16, v6
	v_mov_b64_e32 v[64:65], 0
	v_mov_b64_e32 v[66:67], 0
	s_mov_b32 s3, exec_lo
	v_and_b32_e32 v11, 0xff, v7
	s_delay_alu instid0(VALU_DEP_1)
	v_cmpx_ne_u16_e32 0, v11
	s_cbranch_execz .LBB224_1706
; %bb.1699:                             ;   in Loop: Header=BB224_934 Depth=1
	v_mov_b64_e32 v[66:67], 0x80000000
	s_mov_b32 s8, exec_lo
	v_cmpx_ne_u16_e32 0x80, v11
	s_cbranch_execz .LBB224_1705
; %bb.1700:                             ;   in Loop: Header=BB224_934 Depth=1
	v_mov_b64_e32 v[66:67], 0x7f800001
	v_bfe_u32 v70, v6, 16, 7
	s_mov_b32 s9, exec_lo
	s_delay_alu instid0(VALU_DEP_1)
	v_cmpx_ne_u32_e32 0x7f, v70
	s_cbranch_execz .LBB224_1704
; %bb.1701:                             ;   in Loop: Header=BB224_934 Depth=1
	v_dual_lshrrev_b32 v11, 3, v70 :: v_dual_bitop2_b32 v102, 7, v7 bitop3:0x40
	s_mov_b32 s16, exec_lo
	v_cmpx_gt_u32_e32 8, v70
; %bb.1702:                             ;   in Loop: Header=BB224_934 Depth=1
	s_delay_alu instid0(VALU_DEP_2) | instskip(NEXT) | instid1(VALU_DEP_1)
	v_clz_i32_u32_e32 v11, v102
	v_min_u32_e32 v11, 32, v11
	s_delay_alu instid0(VALU_DEP_1) | instskip(NEXT) | instid1(VALU_DEP_1)
	v_subrev_nc_u32_e32 v66, 28, v11
	v_lshlrev_b64_e32 v[66:67], v66, v[102:103]
	s_delay_alu instid0(VALU_DEP_1)
	v_dual_sub_nc_u32 v11, 29, v11 :: v_dual_bitop2_b32 v102, 7, v66 bitop3:0x40
; %bb.1703:                             ;   in Loop: Header=BB224_934 Depth=1
	s_or_b32 exec_lo, exec_lo, s16
	s_delay_alu instid0(VALU_DEP_1) | instskip(NEXT) | instid1(VALU_DEP_2)
	v_dual_lshlrev_b32 v7, 24, v7 :: v_dual_lshlrev_b32 v66, 20, v102
	v_lshl_add_u32 v11, v11, 23, 0x3c000000
	s_delay_alu instid0(VALU_DEP_2) | instskip(NEXT) | instid1(VALU_DEP_1)
	v_and_b32_e32 v7, 0x80000000, v7
	v_or3_b32 v102, v66, v7, v11
	s_delay_alu instid0(VALU_DEP_1)
	v_mov_b64_e32 v[66:67], v[102:103]
.LBB224_1704:                           ;   in Loop: Header=BB224_934 Depth=1
	s_or_b32 exec_lo, exec_lo, s9
.LBB224_1705:                           ;   in Loop: Header=BB224_934 Depth=1
	s_delay_alu instid0(SALU_CYCLE_1)
	s_or_b32 exec_lo, exec_lo, s8
.LBB224_1706:                           ;   in Loop: Header=BB224_934 Depth=1
	s_delay_alu instid0(SALU_CYCLE_1) | instskip(NEXT) | instid1(SALU_CYCLE_1)
	s_or_b32 exec_lo, exec_lo, s3
	s_mov_b32 s3, exec_lo
	v_cmpx_lt_u32_e32 0xffffff, v6
	s_cbranch_execz .LBB224_1714
; %bb.1707:                             ;   in Loop: Header=BB224_934 Depth=1
	v_mov_b64_e32 v[64:65], 0x8000000000000000
	v_lshrrev_b32_e32 v7, 24, v6
	s_mov_b32 s8, exec_lo
	s_delay_alu instid0(VALU_DEP_1)
	v_cmpx_ne_u32_e32 0x80, v7
	s_cbranch_execz .LBB224_1713
; %bb.1708:                             ;   in Loop: Header=BB224_934 Depth=1
	v_mov_b64_e32 v[64:65], 0x7f80000100000000
	v_bfe_u32 v11, v6, 24, 7
	s_mov_b32 s9, exec_lo
	s_delay_alu instid0(VALU_DEP_1)
	v_cmpx_ne_u32_e32 0x7f, v11
	s_cbranch_execz .LBB224_1712
; %bb.1709:                             ;   in Loop: Header=BB224_934 Depth=1
	v_and_b32_e32 v102, 7, v7
	v_lshrrev_b32_e32 v6, 3, v11
	s_mov_b32 s16, exec_lo
	v_cmpx_gt_u32_e32 8, v11
; %bb.1710:                             ;   in Loop: Header=BB224_934 Depth=1
	s_delay_alu instid0(VALU_DEP_3) | instskip(NEXT) | instid1(VALU_DEP_1)
	v_clz_i32_u32_e32 v6, v102
	v_min_u32_e32 v6, 32, v6
	s_delay_alu instid0(VALU_DEP_1) | instskip(NEXT) | instid1(VALU_DEP_1)
	v_subrev_nc_u32_e32 v11, 28, v6
	v_lshlrev_b64_e32 v[64:65], v11, v[102:103]
	s_delay_alu instid0(VALU_DEP_1)
	v_dual_sub_nc_u32 v6, 29, v6 :: v_dual_bitop2_b32 v102, 7, v64 bitop3:0x40
; %bb.1711:                             ;   in Loop: Header=BB224_934 Depth=1
	s_or_b32 exec_lo, exec_lo, s16
	s_delay_alu instid0(VALU_DEP_1) | instskip(NEXT) | instid1(VALU_DEP_2)
	v_dual_lshlrev_b32 v7, 24, v7 :: v_dual_lshlrev_b32 v11, 20, v102
	v_lshl_add_u32 v6, v6, 23, 0x3c000000
	v_mov_b32_e32 v64, v103
	s_delay_alu instid0(VALU_DEP_3) | instskip(NEXT) | instid1(VALU_DEP_1)
	v_and_b32_e32 v7, 0x80000000, v7
	v_or3_b32 v65, v11, v7, v6
.LBB224_1712:                           ;   in Loop: Header=BB224_934 Depth=1
	s_or_b32 exec_lo, exec_lo, s9
.LBB224_1713:                           ;   in Loop: Header=BB224_934 Depth=1
	s_delay_alu instid0(SALU_CYCLE_1)
	s_or_b32 exec_lo, exec_lo, s8
.LBB224_1714:                           ;   in Loop: Header=BB224_934 Depth=1
	s_delay_alu instid0(SALU_CYCLE_1) | instskip(SKIP_4) | instid1(VALU_DEP_3)
	s_or_b32 exec_lo, exec_lo, s3
	v_or_b32_e32 v7, v19, v55
	v_or_b32_e32 v6, v18, v54
	;; [unrolled: 1-line block ×4, first 2 shown]
	v_pk_mul_f32 v[64:65], v[22:23], v[6:7]
	s_delay_alu instid0(VALU_DEP_2)
	v_pk_mul_f32 v[54:55], v[22:23], v[18:19]
	s_and_saveexec_b32 s3, vcc_lo
	s_cbranch_execz .LBB224_1716
; %bb.1715:                             ;   in Loop: Header=BB224_934 Depth=1
	scratch_load_b64 v[6:7], off, s32 offset:200 ; 8-byte Folded Reload
	s_wait_loadcnt 0x0
	v_cmp_lt_i32_e64 s0, v17, v6
	s_delay_alu instid0(VALU_DEP_1) | instskip(SKIP_1) | instid1(VALU_DEP_1)
	v_cndmask_b32_e64 v64, 0, v64, s0
	v_cmp_lt_i32_e64 s0, v114, v6
	v_cndmask_b32_e64 v65, 0, v65, s0
	v_cmp_lt_i32_e64 s0, v10, v6
	s_delay_alu instid0(VALU_DEP_1) | instskip(SKIP_1) | instid1(VALU_DEP_1)
	v_cndmask_b32_e64 v54, 0, v54, s0
	v_cmp_lt_i32_e64 s0, v115, v6
	v_cndmask_b32_e64 v55, 0, v55, s0
.LBB224_1716:                           ;   in Loop: Header=BB224_934 Depth=1
	s_wait_xcnt 0x0
	s_or_b32 exec_lo, exec_lo, s3
	flat_load_b32 v6, v[68:69] offset:2944
	v_mov_b64_e32 v[18:19], 0
	v_mov_b64_e32 v[66:67], 0
	s_mov_b32 s3, exec_lo
	s_wait_loadcnt_dscnt 0x0
	v_and_b32_e32 v7, 0xff, v6
	s_wait_xcnt 0x0
	s_delay_alu instid0(VALU_DEP_1)
	v_cmpx_ne_u16_e32 0, v7
	s_cbranch_execz .LBB224_1724
; %bb.1717:                             ;   in Loop: Header=BB224_934 Depth=1
	v_mov_b64_e32 v[66:67], 0x80000000
	s_mov_b32 s8, exec_lo
	v_cmpx_ne_u16_e32 0x80, v7
	s_cbranch_execz .LBB224_1723
; %bb.1718:                             ;   in Loop: Header=BB224_934 Depth=1
	v_mov_b64_e32 v[66:67], 0x7f800001
	v_and_b32_e32 v11, 0x7f, v6
	s_mov_b32 s9, exec_lo
	s_delay_alu instid0(VALU_DEP_1)
	v_cmpx_ne_u32_e32 0x7f, v11
	s_cbranch_execz .LBB224_1722
; %bb.1719:                             ;   in Loop: Header=BB224_934 Depth=1
	v_dual_lshrrev_b32 v7, 3, v11 :: v_dual_bitop2_b32 v102, 7, v6 bitop3:0x40
	s_mov_b32 s16, exec_lo
	v_cmpx_gt_u32_e32 8, v11
; %bb.1720:                             ;   in Loop: Header=BB224_934 Depth=1
	s_delay_alu instid0(VALU_DEP_2) | instskip(NEXT) | instid1(VALU_DEP_1)
	v_clz_i32_u32_e32 v7, v102
	v_min_u32_e32 v7, 32, v7
	s_delay_alu instid0(VALU_DEP_1) | instskip(NEXT) | instid1(VALU_DEP_1)
	v_subrev_nc_u32_e32 v11, 28, v7
	v_lshlrev_b64_e32 v[66:67], v11, v[102:103]
	s_delay_alu instid0(VALU_DEP_1)
	v_dual_sub_nc_u32 v7, 29, v7 :: v_dual_bitop2_b32 v102, 7, v66 bitop3:0x40
; %bb.1721:                             ;   in Loop: Header=BB224_934 Depth=1
	s_or_b32 exec_lo, exec_lo, s16
	v_lshlrev_b32_e32 v11, 24, v6
	s_delay_alu instid0(VALU_DEP_2) | instskip(NEXT) | instid1(VALU_DEP_3)
	v_lshlrev_b32_e32 v66, 20, v102
	v_lshl_add_u32 v7, v7, 23, 0x3c000000
	s_delay_alu instid0(VALU_DEP_3) | instskip(NEXT) | instid1(VALU_DEP_1)
	v_and_b32_e32 v11, 0x80000000, v11
	v_or3_b32 v102, v66, v11, v7
	s_delay_alu instid0(VALU_DEP_1)
	v_mov_b64_e32 v[66:67], v[102:103]
.LBB224_1722:                           ;   in Loop: Header=BB224_934 Depth=1
	s_or_b32 exec_lo, exec_lo, s9
.LBB224_1723:                           ;   in Loop: Header=BB224_934 Depth=1
	s_delay_alu instid0(SALU_CYCLE_1)
	s_or_b32 exec_lo, exec_lo, s8
.LBB224_1724:                           ;   in Loop: Header=BB224_934 Depth=1
	s_delay_alu instid0(SALU_CYCLE_1) | instskip(SKIP_2) | instid1(VALU_DEP_1)
	s_or_b32 exec_lo, exec_lo, s3
	v_lshrrev_b16 v7, 8, v6
	s_mov_b32 s3, exec_lo
	v_cmpx_ne_u16_e32 0, v7
	s_cbranch_execz .LBB224_1732
; %bb.1725:                             ;   in Loop: Header=BB224_934 Depth=1
	v_mov_b64_e32 v[18:19], 0x8000000000000000
	s_mov_b32 s8, exec_lo
	v_cmpx_ne_u16_e32 0x80, v7
	s_cbranch_execz .LBB224_1731
; %bb.1726:                             ;   in Loop: Header=BB224_934 Depth=1
	v_and_b32_e32 v7, 0xffff, v7
	v_mov_b64_e32 v[18:19], 0x7f80000100000000
	s_mov_b32 s9, exec_lo
	s_delay_alu instid0(VALU_DEP_2) | instskip(NEXT) | instid1(VALU_DEP_1)
	v_and_b32_e32 v11, 0x7f, v7
	v_cmpx_ne_u32_e32 0x7f, v11
	s_cbranch_execz .LBB224_1730
; %bb.1727:                             ;   in Loop: Header=BB224_934 Depth=1
	v_and_b32_e32 v102, 7, v7
	v_lshrrev_b32_e32 v7, 3, v11
	s_mov_b32 s16, exec_lo
	v_cmpx_gt_u32_e32 8, v11
; %bb.1728:                             ;   in Loop: Header=BB224_934 Depth=1
	s_delay_alu instid0(VALU_DEP_3) | instskip(NEXT) | instid1(VALU_DEP_1)
	v_clz_i32_u32_e32 v7, v102
	v_min_u32_e32 v7, 32, v7
	s_delay_alu instid0(VALU_DEP_1) | instskip(NEXT) | instid1(VALU_DEP_1)
	v_subrev_nc_u32_e32 v11, 28, v7
	v_lshlrev_b64_e32 v[18:19], v11, v[102:103]
	s_delay_alu instid0(VALU_DEP_1)
	v_dual_sub_nc_u32 v7, 29, v7 :: v_dual_bitop2_b32 v102, 7, v18 bitop3:0x40
; %bb.1729:                             ;   in Loop: Header=BB224_934 Depth=1
	s_or_b32 exec_lo, exec_lo, s16
	v_lshlrev_b32_e32 v11, 16, v6
	s_delay_alu instid0(VALU_DEP_2) | instskip(NEXT) | instid1(VALU_DEP_3)
	v_lshlrev_b32_e32 v18, 20, v102
	v_lshl_add_u32 v7, v7, 23, 0x3c000000
	s_delay_alu instid0(VALU_DEP_3) | instskip(NEXT) | instid1(VALU_DEP_1)
	v_and_b32_e32 v11, 0x80000000, v11
	v_or3_b32 v19, v18, v11, v7
	v_mov_b32_e32 v18, v103
.LBB224_1730:                           ;   in Loop: Header=BB224_934 Depth=1
	s_or_b32 exec_lo, exec_lo, s9
.LBB224_1731:                           ;   in Loop: Header=BB224_934 Depth=1
	s_delay_alu instid0(SALU_CYCLE_1)
	s_or_b32 exec_lo, exec_lo, s8
.LBB224_1732:                           ;   in Loop: Header=BB224_934 Depth=1
	s_delay_alu instid0(SALU_CYCLE_1) | instskip(SKIP_4) | instid1(VALU_DEP_3)
	s_or_b32 exec_lo, exec_lo, s3
	v_lshrrev_b32_e32 v7, 16, v6
	v_mov_b64_e32 v[70:71], 0
	v_mov_b64_e32 v[80:81], 0
	s_mov_b32 s3, exec_lo
	v_and_b32_e32 v11, 0xff, v7
	s_delay_alu instid0(VALU_DEP_1)
	v_cmpx_ne_u16_e32 0, v11
	s_cbranch_execz .LBB224_1740
; %bb.1733:                             ;   in Loop: Header=BB224_934 Depth=1
	v_mov_b64_e32 v[80:81], 0x80000000
	s_mov_b32 s8, exec_lo
	v_cmpx_ne_u16_e32 0x80, v11
	s_cbranch_execz .LBB224_1739
; %bb.1734:                             ;   in Loop: Header=BB224_934 Depth=1
	v_mov_b64_e32 v[80:81], 0x7f800001
	v_bfe_u32 v82, v6, 16, 7
	s_mov_b32 s9, exec_lo
	s_delay_alu instid0(VALU_DEP_1)
	v_cmpx_ne_u32_e32 0x7f, v82
	s_cbranch_execz .LBB224_1738
; %bb.1735:                             ;   in Loop: Header=BB224_934 Depth=1
	v_dual_lshrrev_b32 v11, 3, v82 :: v_dual_bitop2_b32 v102, 7, v7 bitop3:0x40
	s_mov_b32 s16, exec_lo
	v_cmpx_gt_u32_e32 8, v82
; %bb.1736:                             ;   in Loop: Header=BB224_934 Depth=1
	s_delay_alu instid0(VALU_DEP_2) | instskip(NEXT) | instid1(VALU_DEP_1)
	v_clz_i32_u32_e32 v11, v102
	v_min_u32_e32 v11, 32, v11
	s_delay_alu instid0(VALU_DEP_1) | instskip(NEXT) | instid1(VALU_DEP_1)
	v_subrev_nc_u32_e32 v80, 28, v11
	v_lshlrev_b64_e32 v[80:81], v80, v[102:103]
	s_delay_alu instid0(VALU_DEP_1)
	v_dual_sub_nc_u32 v11, 29, v11 :: v_dual_bitop2_b32 v102, 7, v80 bitop3:0x40
; %bb.1737:                             ;   in Loop: Header=BB224_934 Depth=1
	s_or_b32 exec_lo, exec_lo, s16
	s_delay_alu instid0(VALU_DEP_1) | instskip(NEXT) | instid1(VALU_DEP_2)
	v_dual_lshlrev_b32 v7, 24, v7 :: v_dual_lshlrev_b32 v80, 20, v102
	v_lshl_add_u32 v11, v11, 23, 0x3c000000
	s_delay_alu instid0(VALU_DEP_2) | instskip(NEXT) | instid1(VALU_DEP_1)
	v_and_b32_e32 v7, 0x80000000, v7
	v_or3_b32 v102, v80, v7, v11
	s_delay_alu instid0(VALU_DEP_1)
	v_mov_b64_e32 v[80:81], v[102:103]
.LBB224_1738:                           ;   in Loop: Header=BB224_934 Depth=1
	s_or_b32 exec_lo, exec_lo, s9
.LBB224_1739:                           ;   in Loop: Header=BB224_934 Depth=1
	s_delay_alu instid0(SALU_CYCLE_1)
	s_or_b32 exec_lo, exec_lo, s8
.LBB224_1740:                           ;   in Loop: Header=BB224_934 Depth=1
	s_delay_alu instid0(SALU_CYCLE_1) | instskip(NEXT) | instid1(SALU_CYCLE_1)
	s_or_b32 exec_lo, exec_lo, s3
	s_mov_b32 s3, exec_lo
	v_cmpx_lt_u32_e32 0xffffff, v6
	s_cbranch_execz .LBB224_1748
; %bb.1741:                             ;   in Loop: Header=BB224_934 Depth=1
	v_mov_b64_e32 v[70:71], 0x8000000000000000
	v_lshrrev_b32_e32 v7, 24, v6
	s_mov_b32 s8, exec_lo
	s_delay_alu instid0(VALU_DEP_1)
	v_cmpx_ne_u32_e32 0x80, v7
	s_cbranch_execz .LBB224_1747
; %bb.1742:                             ;   in Loop: Header=BB224_934 Depth=1
	v_mov_b64_e32 v[70:71], 0x7f80000100000000
	v_bfe_u32 v11, v6, 24, 7
	s_mov_b32 s9, exec_lo
	s_delay_alu instid0(VALU_DEP_1)
	v_cmpx_ne_u32_e32 0x7f, v11
	s_cbranch_execz .LBB224_1746
; %bb.1743:                             ;   in Loop: Header=BB224_934 Depth=1
	v_and_b32_e32 v102, 7, v7
	v_lshrrev_b32_e32 v6, 3, v11
	s_mov_b32 s16, exec_lo
	v_cmpx_gt_u32_e32 8, v11
; %bb.1744:                             ;   in Loop: Header=BB224_934 Depth=1
	s_delay_alu instid0(VALU_DEP_3) | instskip(NEXT) | instid1(VALU_DEP_1)
	v_clz_i32_u32_e32 v6, v102
	v_min_u32_e32 v6, 32, v6
	s_delay_alu instid0(VALU_DEP_1) | instskip(SKIP_1) | instid1(VALU_DEP_2)
	v_subrev_nc_u32_e32 v11, 28, v6
	v_sub_nc_u32_e32 v6, 29, v6
	v_lshlrev_b64_e32 v[70:71], v11, v[102:103]
	s_delay_alu instid0(VALU_DEP_1)
	v_and_b32_e32 v102, 7, v70
; %bb.1745:                             ;   in Loop: Header=BB224_934 Depth=1
	s_or_b32 exec_lo, exec_lo, s16
	s_delay_alu instid0(VALU_DEP_1) | instskip(SKIP_2) | instid1(VALU_DEP_3)
	v_dual_lshlrev_b32 v7, 24, v7 :: v_dual_lshlrev_b32 v11, 20, v102
	v_lshl_add_u32 v6, v6, 23, 0x3c000000
	v_mov_b32_e32 v70, v103
	v_and_b32_e32 v7, 0x80000000, v7
	s_delay_alu instid0(VALU_DEP_1)
	v_or3_b32 v71, v11, v7, v6
.LBB224_1746:                           ;   in Loop: Header=BB224_934 Depth=1
	s_or_b32 exec_lo, exec_lo, s9
.LBB224_1747:                           ;   in Loop: Header=BB224_934 Depth=1
	s_delay_alu instid0(SALU_CYCLE_1)
	s_or_b32 exec_lo, exec_lo, s8
.LBB224_1748:                           ;   in Loop: Header=BB224_934 Depth=1
	s_delay_alu instid0(SALU_CYCLE_1) | instskip(SKIP_4) | instid1(VALU_DEP_3)
	s_or_b32 exec_lo, exec_lo, s3
	v_or_b32_e32 v7, v19, v67
	v_or_b32_e32 v6, v18, v66
	;; [unrolled: 1-line block ×4, first 2 shown]
	v_pk_mul_f32 v[70:71], v[22:23], v[6:7]
	s_delay_alu instid0(VALU_DEP_2)
	v_pk_mul_f32 v[66:67], v[22:23], v[18:19]
	s_and_saveexec_b32 s3, vcc_lo
	s_cbranch_execz .LBB224_1750
; %bb.1749:                             ;   in Loop: Header=BB224_934 Depth=1
	scratch_load_b64 v[6:7], off, s32 offset:200 ; 8-byte Folded Reload
	s_wait_loadcnt 0x0
	v_cmp_lt_i32_e64 s0, v17, v6
	s_delay_alu instid0(VALU_DEP_1) | instskip(SKIP_1) | instid1(VALU_DEP_1)
	v_cndmask_b32_e64 v70, 0, v70, s0
	v_cmp_lt_i32_e64 s0, v114, v6
	v_cndmask_b32_e64 v71, 0, v71, s0
	v_cmp_lt_i32_e64 s0, v10, v6
	s_delay_alu instid0(VALU_DEP_1) | instskip(SKIP_1) | instid1(VALU_DEP_1)
	v_cndmask_b32_e64 v66, 0, v66, s0
	v_cmp_lt_i32_e64 s0, v115, v6
	v_cndmask_b32_e64 v67, 0, v67, s0
.LBB224_1750:                           ;   in Loop: Header=BB224_934 Depth=1
	s_wait_xcnt 0x0
	s_or_b32 exec_lo, exec_lo, s3
	flat_load_b32 v6, v[68:69] offset:3072
	v_mov_b64_e32 v[18:19], 0
	v_mov_b64_e32 v[80:81], 0
	s_mov_b32 s3, exec_lo
	s_wait_loadcnt_dscnt 0x0
	v_and_b32_e32 v7, 0xff, v6
	s_wait_xcnt 0x0
	s_delay_alu instid0(VALU_DEP_1)
	v_cmpx_ne_u16_e32 0, v7
	s_cbranch_execz .LBB224_1758
; %bb.1751:                             ;   in Loop: Header=BB224_934 Depth=1
	v_mov_b64_e32 v[80:81], 0x80000000
	s_mov_b32 s8, exec_lo
	v_cmpx_ne_u16_e32 0x80, v7
	s_cbranch_execz .LBB224_1757
; %bb.1752:                             ;   in Loop: Header=BB224_934 Depth=1
	v_mov_b64_e32 v[80:81], 0x7f800001
	v_and_b32_e32 v11, 0x7f, v6
	s_mov_b32 s9, exec_lo
	s_delay_alu instid0(VALU_DEP_1)
	v_cmpx_ne_u32_e32 0x7f, v11
	s_cbranch_execz .LBB224_1756
; %bb.1753:                             ;   in Loop: Header=BB224_934 Depth=1
	v_dual_lshrrev_b32 v7, 3, v11 :: v_dual_bitop2_b32 v102, 7, v6 bitop3:0x40
	s_mov_b32 s16, exec_lo
	v_cmpx_gt_u32_e32 8, v11
; %bb.1754:                             ;   in Loop: Header=BB224_934 Depth=1
	s_delay_alu instid0(VALU_DEP_2) | instskip(NEXT) | instid1(VALU_DEP_1)
	v_clz_i32_u32_e32 v7, v102
	v_min_u32_e32 v7, 32, v7
	s_delay_alu instid0(VALU_DEP_1) | instskip(NEXT) | instid1(VALU_DEP_1)
	v_subrev_nc_u32_e32 v11, 28, v7
	v_lshlrev_b64_e32 v[80:81], v11, v[102:103]
	s_delay_alu instid0(VALU_DEP_1)
	v_dual_sub_nc_u32 v7, 29, v7 :: v_dual_bitop2_b32 v102, 7, v80 bitop3:0x40
; %bb.1755:                             ;   in Loop: Header=BB224_934 Depth=1
	s_or_b32 exec_lo, exec_lo, s16
	v_lshlrev_b32_e32 v11, 24, v6
	s_delay_alu instid0(VALU_DEP_2) | instskip(NEXT) | instid1(VALU_DEP_3)
	v_lshlrev_b32_e32 v80, 20, v102
	v_lshl_add_u32 v7, v7, 23, 0x3c000000
	s_delay_alu instid0(VALU_DEP_3) | instskip(NEXT) | instid1(VALU_DEP_1)
	v_and_b32_e32 v11, 0x80000000, v11
	v_or3_b32 v102, v80, v11, v7
	s_delay_alu instid0(VALU_DEP_1)
	v_mov_b64_e32 v[80:81], v[102:103]
.LBB224_1756:                           ;   in Loop: Header=BB224_934 Depth=1
	s_or_b32 exec_lo, exec_lo, s9
.LBB224_1757:                           ;   in Loop: Header=BB224_934 Depth=1
	s_delay_alu instid0(SALU_CYCLE_1)
	s_or_b32 exec_lo, exec_lo, s8
.LBB224_1758:                           ;   in Loop: Header=BB224_934 Depth=1
	s_delay_alu instid0(SALU_CYCLE_1) | instskip(SKIP_2) | instid1(VALU_DEP_1)
	s_or_b32 exec_lo, exec_lo, s3
	v_lshrrev_b16 v7, 8, v6
	s_mov_b32 s3, exec_lo
	v_cmpx_ne_u16_e32 0, v7
	s_cbranch_execz .LBB224_1766
; %bb.1759:                             ;   in Loop: Header=BB224_934 Depth=1
	v_mov_b64_e32 v[18:19], 0x8000000000000000
	s_mov_b32 s8, exec_lo
	v_cmpx_ne_u16_e32 0x80, v7
	s_cbranch_execz .LBB224_1765
; %bb.1760:                             ;   in Loop: Header=BB224_934 Depth=1
	v_and_b32_e32 v7, 0xffff, v7
	v_mov_b64_e32 v[18:19], 0x7f80000100000000
	s_mov_b32 s9, exec_lo
	s_delay_alu instid0(VALU_DEP_2) | instskip(NEXT) | instid1(VALU_DEP_1)
	v_and_b32_e32 v11, 0x7f, v7
	v_cmpx_ne_u32_e32 0x7f, v11
	s_cbranch_execz .LBB224_1764
; %bb.1761:                             ;   in Loop: Header=BB224_934 Depth=1
	v_and_b32_e32 v102, 7, v7
	v_lshrrev_b32_e32 v7, 3, v11
	s_mov_b32 s16, exec_lo
	v_cmpx_gt_u32_e32 8, v11
; %bb.1762:                             ;   in Loop: Header=BB224_934 Depth=1
	s_delay_alu instid0(VALU_DEP_3) | instskip(NEXT) | instid1(VALU_DEP_1)
	v_clz_i32_u32_e32 v7, v102
	v_min_u32_e32 v7, 32, v7
	s_delay_alu instid0(VALU_DEP_1) | instskip(NEXT) | instid1(VALU_DEP_1)
	v_subrev_nc_u32_e32 v11, 28, v7
	v_lshlrev_b64_e32 v[18:19], v11, v[102:103]
	s_delay_alu instid0(VALU_DEP_1)
	v_dual_sub_nc_u32 v7, 29, v7 :: v_dual_bitop2_b32 v102, 7, v18 bitop3:0x40
; %bb.1763:                             ;   in Loop: Header=BB224_934 Depth=1
	s_or_b32 exec_lo, exec_lo, s16
	v_lshlrev_b32_e32 v11, 16, v6
	s_delay_alu instid0(VALU_DEP_2) | instskip(NEXT) | instid1(VALU_DEP_3)
	v_lshlrev_b32_e32 v18, 20, v102
	v_lshl_add_u32 v7, v7, 23, 0x3c000000
	s_delay_alu instid0(VALU_DEP_3) | instskip(NEXT) | instid1(VALU_DEP_1)
	v_and_b32_e32 v11, 0x80000000, v11
	v_or3_b32 v19, v18, v11, v7
	v_mov_b32_e32 v18, v103
.LBB224_1764:                           ;   in Loop: Header=BB224_934 Depth=1
	s_or_b32 exec_lo, exec_lo, s9
.LBB224_1765:                           ;   in Loop: Header=BB224_934 Depth=1
	s_delay_alu instid0(SALU_CYCLE_1)
	s_or_b32 exec_lo, exec_lo, s8
.LBB224_1766:                           ;   in Loop: Header=BB224_934 Depth=1
	s_delay_alu instid0(SALU_CYCLE_1) | instskip(SKIP_4) | instid1(VALU_DEP_3)
	s_or_b32 exec_lo, exec_lo, s3
	v_lshrrev_b32_e32 v7, 16, v6
	v_mov_b64_e32 v[82:83], 0
	v_mov_b64_e32 v[84:85], 0
	s_mov_b32 s3, exec_lo
	v_and_b32_e32 v11, 0xff, v7
	s_delay_alu instid0(VALU_DEP_1)
	v_cmpx_ne_u16_e32 0, v11
	s_cbranch_execz .LBB224_1774
; %bb.1767:                             ;   in Loop: Header=BB224_934 Depth=1
	v_mov_b64_e32 v[84:85], 0x80000000
	s_mov_b32 s8, exec_lo
	v_cmpx_ne_u16_e32 0x80, v11
	s_cbranch_execz .LBB224_1773
; %bb.1768:                             ;   in Loop: Header=BB224_934 Depth=1
	v_mov_b64_e32 v[84:85], 0x7f800001
	v_bfe_u32 v86, v6, 16, 7
	s_mov_b32 s9, exec_lo
	s_delay_alu instid0(VALU_DEP_1)
	v_cmpx_ne_u32_e32 0x7f, v86
	s_cbranch_execz .LBB224_1772
; %bb.1769:                             ;   in Loop: Header=BB224_934 Depth=1
	v_dual_lshrrev_b32 v11, 3, v86 :: v_dual_bitop2_b32 v102, 7, v7 bitop3:0x40
	s_mov_b32 s16, exec_lo
	v_cmpx_gt_u32_e32 8, v86
; %bb.1770:                             ;   in Loop: Header=BB224_934 Depth=1
	s_delay_alu instid0(VALU_DEP_2) | instskip(NEXT) | instid1(VALU_DEP_1)
	v_clz_i32_u32_e32 v11, v102
	v_min_u32_e32 v11, 32, v11
	s_delay_alu instid0(VALU_DEP_1) | instskip(NEXT) | instid1(VALU_DEP_1)
	v_subrev_nc_u32_e32 v84, 28, v11
	v_lshlrev_b64_e32 v[84:85], v84, v[102:103]
	s_delay_alu instid0(VALU_DEP_1)
	v_dual_sub_nc_u32 v11, 29, v11 :: v_dual_bitop2_b32 v102, 7, v84 bitop3:0x40
; %bb.1771:                             ;   in Loop: Header=BB224_934 Depth=1
	s_or_b32 exec_lo, exec_lo, s16
	s_delay_alu instid0(VALU_DEP_1) | instskip(NEXT) | instid1(VALU_DEP_2)
	v_dual_lshlrev_b32 v7, 24, v7 :: v_dual_lshlrev_b32 v84, 20, v102
	v_lshl_add_u32 v11, v11, 23, 0x3c000000
	s_delay_alu instid0(VALU_DEP_2) | instskip(NEXT) | instid1(VALU_DEP_1)
	v_and_b32_e32 v7, 0x80000000, v7
	v_or3_b32 v102, v84, v7, v11
	s_delay_alu instid0(VALU_DEP_1)
	v_mov_b64_e32 v[84:85], v[102:103]
.LBB224_1772:                           ;   in Loop: Header=BB224_934 Depth=1
	s_or_b32 exec_lo, exec_lo, s9
.LBB224_1773:                           ;   in Loop: Header=BB224_934 Depth=1
	s_delay_alu instid0(SALU_CYCLE_1)
	s_or_b32 exec_lo, exec_lo, s8
.LBB224_1774:                           ;   in Loop: Header=BB224_934 Depth=1
	s_delay_alu instid0(SALU_CYCLE_1) | instskip(NEXT) | instid1(SALU_CYCLE_1)
	s_or_b32 exec_lo, exec_lo, s3
	s_mov_b32 s3, exec_lo
	v_cmpx_lt_u32_e32 0xffffff, v6
	s_cbranch_execz .LBB224_1782
; %bb.1775:                             ;   in Loop: Header=BB224_934 Depth=1
	v_mov_b64_e32 v[82:83], 0x8000000000000000
	v_lshrrev_b32_e32 v7, 24, v6
	s_mov_b32 s8, exec_lo
	s_delay_alu instid0(VALU_DEP_1)
	v_cmpx_ne_u32_e32 0x80, v7
	s_cbranch_execz .LBB224_1781
; %bb.1776:                             ;   in Loop: Header=BB224_934 Depth=1
	v_mov_b64_e32 v[82:83], 0x7f80000100000000
	v_bfe_u32 v11, v6, 24, 7
	s_mov_b32 s9, exec_lo
	s_delay_alu instid0(VALU_DEP_1)
	v_cmpx_ne_u32_e32 0x7f, v11
	s_cbranch_execz .LBB224_1780
; %bb.1777:                             ;   in Loop: Header=BB224_934 Depth=1
	v_and_b32_e32 v102, 7, v7
	v_lshrrev_b32_e32 v6, 3, v11
	s_mov_b32 s16, exec_lo
	v_cmpx_gt_u32_e32 8, v11
; %bb.1778:                             ;   in Loop: Header=BB224_934 Depth=1
	s_delay_alu instid0(VALU_DEP_3) | instskip(NEXT) | instid1(VALU_DEP_1)
	v_clz_i32_u32_e32 v6, v102
	v_min_u32_e32 v6, 32, v6
	s_delay_alu instid0(VALU_DEP_1) | instskip(SKIP_1) | instid1(VALU_DEP_2)
	v_subrev_nc_u32_e32 v11, 28, v6
	v_sub_nc_u32_e32 v6, 29, v6
	v_lshlrev_b64_e32 v[82:83], v11, v[102:103]
	s_delay_alu instid0(VALU_DEP_1)
	v_and_b32_e32 v102, 7, v82
; %bb.1779:                             ;   in Loop: Header=BB224_934 Depth=1
	s_or_b32 exec_lo, exec_lo, s16
	s_delay_alu instid0(VALU_DEP_1) | instskip(SKIP_2) | instid1(VALU_DEP_3)
	v_dual_lshlrev_b32 v7, 24, v7 :: v_dual_lshlrev_b32 v11, 20, v102
	v_lshl_add_u32 v6, v6, 23, 0x3c000000
	v_mov_b32_e32 v82, v103
	v_and_b32_e32 v7, 0x80000000, v7
	s_delay_alu instid0(VALU_DEP_1)
	v_or3_b32 v83, v11, v7, v6
.LBB224_1780:                           ;   in Loop: Header=BB224_934 Depth=1
	s_or_b32 exec_lo, exec_lo, s9
.LBB224_1781:                           ;   in Loop: Header=BB224_934 Depth=1
	s_delay_alu instid0(SALU_CYCLE_1)
	s_or_b32 exec_lo, exec_lo, s8
.LBB224_1782:                           ;   in Loop: Header=BB224_934 Depth=1
	s_delay_alu instid0(SALU_CYCLE_1) | instskip(SKIP_4) | instid1(VALU_DEP_3)
	s_or_b32 exec_lo, exec_lo, s3
	v_or_b32_e32 v7, v19, v81
	v_or_b32_e32 v6, v18, v80
	;; [unrolled: 1-line block ×4, first 2 shown]
	v_pk_mul_f32 v[18:19], v[22:23], v[6:7]
	s_delay_alu instid0(VALU_DEP_2)
	v_pk_mul_f32 v[80:81], v[22:23], v[80:81]
	s_and_saveexec_b32 s3, vcc_lo
	s_cbranch_execz .LBB224_1784
; %bb.1783:                             ;   in Loop: Header=BB224_934 Depth=1
	scratch_load_b64 v[6:7], off, s32 offset:200 ; 8-byte Folded Reload
	s_wait_loadcnt 0x0
	v_cmp_lt_i32_e64 s0, v17, v6
	s_delay_alu instid0(VALU_DEP_1) | instskip(SKIP_1) | instid1(VALU_DEP_1)
	v_cndmask_b32_e64 v18, 0, v18, s0
	v_cmp_lt_i32_e64 s0, v114, v6
	v_cndmask_b32_e64 v19, 0, v19, s0
	v_cmp_lt_i32_e64 s0, v10, v6
	s_delay_alu instid0(VALU_DEP_1) | instskip(SKIP_1) | instid1(VALU_DEP_1)
	v_cndmask_b32_e64 v80, 0, v80, s0
	v_cmp_lt_i32_e64 s0, v115, v6
	v_cndmask_b32_e64 v81, 0, v81, s0
.LBB224_1784:                           ;   in Loop: Header=BB224_934 Depth=1
	s_wait_xcnt 0x0
	s_or_b32 exec_lo, exec_lo, s3
	flat_load_b32 v6, v[68:69] offset:3200
	v_mov_b64_e32 v[82:83], 0
	v_mov_b64_e32 v[84:85], 0
	s_mov_b32 s3, exec_lo
	s_wait_loadcnt_dscnt 0x0
	v_and_b32_e32 v7, 0xff, v6
	s_wait_xcnt 0x0
	s_delay_alu instid0(VALU_DEP_1)
	v_cmpx_ne_u16_e32 0, v7
	s_cbranch_execz .LBB224_1792
; %bb.1785:                             ;   in Loop: Header=BB224_934 Depth=1
	v_mov_b64_e32 v[84:85], 0x80000000
	s_mov_b32 s8, exec_lo
	v_cmpx_ne_u16_e32 0x80, v7
	s_cbranch_execz .LBB224_1791
; %bb.1786:                             ;   in Loop: Header=BB224_934 Depth=1
	v_mov_b64_e32 v[84:85], 0x7f800001
	v_and_b32_e32 v11, 0x7f, v6
	s_mov_b32 s9, exec_lo
	s_delay_alu instid0(VALU_DEP_1)
	v_cmpx_ne_u32_e32 0x7f, v11
	s_cbranch_execz .LBB224_1790
; %bb.1787:                             ;   in Loop: Header=BB224_934 Depth=1
	v_dual_lshrrev_b32 v7, 3, v11 :: v_dual_bitop2_b32 v102, 7, v6 bitop3:0x40
	s_mov_b32 s16, exec_lo
	v_cmpx_gt_u32_e32 8, v11
; %bb.1788:                             ;   in Loop: Header=BB224_934 Depth=1
	s_delay_alu instid0(VALU_DEP_2) | instskip(NEXT) | instid1(VALU_DEP_1)
	v_clz_i32_u32_e32 v7, v102
	v_min_u32_e32 v7, 32, v7
	s_delay_alu instid0(VALU_DEP_1) | instskip(NEXT) | instid1(VALU_DEP_1)
	v_subrev_nc_u32_e32 v11, 28, v7
	v_lshlrev_b64_e32 v[84:85], v11, v[102:103]
	s_delay_alu instid0(VALU_DEP_1)
	v_dual_sub_nc_u32 v7, 29, v7 :: v_dual_bitop2_b32 v102, 7, v84 bitop3:0x40
; %bb.1789:                             ;   in Loop: Header=BB224_934 Depth=1
	s_or_b32 exec_lo, exec_lo, s16
	v_lshlrev_b32_e32 v11, 24, v6
	s_delay_alu instid0(VALU_DEP_2) | instskip(NEXT) | instid1(VALU_DEP_3)
	v_lshlrev_b32_e32 v84, 20, v102
	v_lshl_add_u32 v7, v7, 23, 0x3c000000
	s_delay_alu instid0(VALU_DEP_3) | instskip(NEXT) | instid1(VALU_DEP_1)
	v_and_b32_e32 v11, 0x80000000, v11
	v_or3_b32 v102, v84, v11, v7
	s_delay_alu instid0(VALU_DEP_1)
	v_mov_b64_e32 v[84:85], v[102:103]
.LBB224_1790:                           ;   in Loop: Header=BB224_934 Depth=1
	s_or_b32 exec_lo, exec_lo, s9
.LBB224_1791:                           ;   in Loop: Header=BB224_934 Depth=1
	s_delay_alu instid0(SALU_CYCLE_1)
	s_or_b32 exec_lo, exec_lo, s8
.LBB224_1792:                           ;   in Loop: Header=BB224_934 Depth=1
	s_delay_alu instid0(SALU_CYCLE_1) | instskip(SKIP_2) | instid1(VALU_DEP_1)
	s_or_b32 exec_lo, exec_lo, s3
	v_lshrrev_b16 v7, 8, v6
	s_mov_b32 s3, exec_lo
	v_cmpx_ne_u16_e32 0, v7
	s_cbranch_execz .LBB224_1800
; %bb.1793:                             ;   in Loop: Header=BB224_934 Depth=1
	v_mov_b64_e32 v[82:83], 0x8000000000000000
	s_mov_b32 s8, exec_lo
	v_cmpx_ne_u16_e32 0x80, v7
	s_cbranch_execz .LBB224_1799
; %bb.1794:                             ;   in Loop: Header=BB224_934 Depth=1
	v_and_b32_e32 v7, 0xffff, v7
	v_mov_b64_e32 v[82:83], 0x7f80000100000000
	s_mov_b32 s9, exec_lo
	s_delay_alu instid0(VALU_DEP_2) | instskip(NEXT) | instid1(VALU_DEP_1)
	v_and_b32_e32 v11, 0x7f, v7
	v_cmpx_ne_u32_e32 0x7f, v11
	s_cbranch_execz .LBB224_1798
; %bb.1795:                             ;   in Loop: Header=BB224_934 Depth=1
	v_and_b32_e32 v102, 7, v7
	v_lshrrev_b32_e32 v7, 3, v11
	s_mov_b32 s16, exec_lo
	v_cmpx_gt_u32_e32 8, v11
; %bb.1796:                             ;   in Loop: Header=BB224_934 Depth=1
	s_delay_alu instid0(VALU_DEP_3) | instskip(NEXT) | instid1(VALU_DEP_1)
	v_clz_i32_u32_e32 v7, v102
	v_min_u32_e32 v7, 32, v7
	s_delay_alu instid0(VALU_DEP_1) | instskip(NEXT) | instid1(VALU_DEP_1)
	v_subrev_nc_u32_e32 v11, 28, v7
	v_lshlrev_b64_e32 v[82:83], v11, v[102:103]
	s_delay_alu instid0(VALU_DEP_1)
	v_dual_sub_nc_u32 v7, 29, v7 :: v_dual_bitop2_b32 v102, 7, v82 bitop3:0x40
; %bb.1797:                             ;   in Loop: Header=BB224_934 Depth=1
	s_or_b32 exec_lo, exec_lo, s16
	v_lshlrev_b32_e32 v11, 16, v6
	s_delay_alu instid0(VALU_DEP_2) | instskip(NEXT) | instid1(VALU_DEP_3)
	v_lshlrev_b32_e32 v82, 20, v102
	v_lshl_add_u32 v7, v7, 23, 0x3c000000
	s_delay_alu instid0(VALU_DEP_3) | instskip(NEXT) | instid1(VALU_DEP_1)
	v_and_b32_e32 v11, 0x80000000, v11
	v_or3_b32 v83, v82, v11, v7
	v_mov_b32_e32 v82, v103
.LBB224_1798:                           ;   in Loop: Header=BB224_934 Depth=1
	s_or_b32 exec_lo, exec_lo, s9
.LBB224_1799:                           ;   in Loop: Header=BB224_934 Depth=1
	s_delay_alu instid0(SALU_CYCLE_1)
	s_or_b32 exec_lo, exec_lo, s8
.LBB224_1800:                           ;   in Loop: Header=BB224_934 Depth=1
	s_delay_alu instid0(SALU_CYCLE_1) | instskip(SKIP_4) | instid1(VALU_DEP_3)
	s_or_b32 exec_lo, exec_lo, s3
	v_lshrrev_b32_e32 v7, 16, v6
	v_mov_b64_e32 v[86:87], 0
	v_mov_b64_e32 v[96:97], 0
	s_mov_b32 s3, exec_lo
	v_and_b32_e32 v11, 0xff, v7
	s_delay_alu instid0(VALU_DEP_1)
	v_cmpx_ne_u16_e32 0, v11
	s_cbranch_execz .LBB224_1808
; %bb.1801:                             ;   in Loop: Header=BB224_934 Depth=1
	v_mov_b64_e32 v[96:97], 0x80000000
	s_mov_b32 s8, exec_lo
	v_cmpx_ne_u16_e32 0x80, v11
	s_cbranch_execz .LBB224_1807
; %bb.1802:                             ;   in Loop: Header=BB224_934 Depth=1
	v_mov_b64_e32 v[96:97], 0x7f800001
	v_bfe_u32 v98, v6, 16, 7
	s_mov_b32 s9, exec_lo
	s_delay_alu instid0(VALU_DEP_1)
	v_cmpx_ne_u32_e32 0x7f, v98
	s_cbranch_execz .LBB224_1806
; %bb.1803:                             ;   in Loop: Header=BB224_934 Depth=1
	v_dual_lshrrev_b32 v11, 3, v98 :: v_dual_bitop2_b32 v102, 7, v7 bitop3:0x40
	s_mov_b32 s16, exec_lo
	v_cmpx_gt_u32_e32 8, v98
; %bb.1804:                             ;   in Loop: Header=BB224_934 Depth=1
	s_delay_alu instid0(VALU_DEP_2) | instskip(NEXT) | instid1(VALU_DEP_1)
	v_clz_i32_u32_e32 v11, v102
	v_min_u32_e32 v11, 32, v11
	s_delay_alu instid0(VALU_DEP_1) | instskip(NEXT) | instid1(VALU_DEP_1)
	v_subrev_nc_u32_e32 v96, 28, v11
	v_lshlrev_b64_e32 v[96:97], v96, v[102:103]
	s_delay_alu instid0(VALU_DEP_1)
	v_dual_sub_nc_u32 v11, 29, v11 :: v_dual_bitop2_b32 v102, 7, v96 bitop3:0x40
; %bb.1805:                             ;   in Loop: Header=BB224_934 Depth=1
	s_or_b32 exec_lo, exec_lo, s16
	s_delay_alu instid0(VALU_DEP_1) | instskip(NEXT) | instid1(VALU_DEP_2)
	v_dual_lshlrev_b32 v7, 24, v7 :: v_dual_lshlrev_b32 v96, 20, v102
	v_lshl_add_u32 v11, v11, 23, 0x3c000000
	s_delay_alu instid0(VALU_DEP_2) | instskip(NEXT) | instid1(VALU_DEP_1)
	v_and_b32_e32 v7, 0x80000000, v7
	v_or3_b32 v102, v96, v7, v11
	s_delay_alu instid0(VALU_DEP_1)
	v_mov_b64_e32 v[96:97], v[102:103]
.LBB224_1806:                           ;   in Loop: Header=BB224_934 Depth=1
	s_or_b32 exec_lo, exec_lo, s9
.LBB224_1807:                           ;   in Loop: Header=BB224_934 Depth=1
	s_delay_alu instid0(SALU_CYCLE_1)
	s_or_b32 exec_lo, exec_lo, s8
.LBB224_1808:                           ;   in Loop: Header=BB224_934 Depth=1
	s_delay_alu instid0(SALU_CYCLE_1) | instskip(NEXT) | instid1(SALU_CYCLE_1)
	s_or_b32 exec_lo, exec_lo, s3
	s_mov_b32 s3, exec_lo
	v_cmpx_lt_u32_e32 0xffffff, v6
	s_cbranch_execz .LBB224_1816
; %bb.1809:                             ;   in Loop: Header=BB224_934 Depth=1
	v_mov_b64_e32 v[86:87], 0x8000000000000000
	v_lshrrev_b32_e32 v7, 24, v6
	s_mov_b32 s8, exec_lo
	s_delay_alu instid0(VALU_DEP_1)
	v_cmpx_ne_u32_e32 0x80, v7
	s_cbranch_execz .LBB224_1815
; %bb.1810:                             ;   in Loop: Header=BB224_934 Depth=1
	v_mov_b64_e32 v[86:87], 0x7f80000100000000
	v_bfe_u32 v11, v6, 24, 7
	s_mov_b32 s9, exec_lo
	s_delay_alu instid0(VALU_DEP_1)
	v_cmpx_ne_u32_e32 0x7f, v11
	s_cbranch_execz .LBB224_1814
; %bb.1811:                             ;   in Loop: Header=BB224_934 Depth=1
	v_and_b32_e32 v102, 7, v7
	v_lshrrev_b32_e32 v6, 3, v11
	s_mov_b32 s16, exec_lo
	v_cmpx_gt_u32_e32 8, v11
; %bb.1812:                             ;   in Loop: Header=BB224_934 Depth=1
	s_delay_alu instid0(VALU_DEP_3) | instskip(NEXT) | instid1(VALU_DEP_1)
	v_clz_i32_u32_e32 v6, v102
	v_min_u32_e32 v6, 32, v6
	s_delay_alu instid0(VALU_DEP_1) | instskip(SKIP_1) | instid1(VALU_DEP_2)
	v_subrev_nc_u32_e32 v11, 28, v6
	v_sub_nc_u32_e32 v6, 29, v6
	v_lshlrev_b64_e32 v[86:87], v11, v[102:103]
	s_delay_alu instid0(VALU_DEP_1)
	v_and_b32_e32 v102, 7, v86
; %bb.1813:                             ;   in Loop: Header=BB224_934 Depth=1
	s_or_b32 exec_lo, exec_lo, s16
	s_delay_alu instid0(VALU_DEP_1) | instskip(SKIP_2) | instid1(VALU_DEP_3)
	v_dual_lshlrev_b32 v7, 24, v7 :: v_dual_lshlrev_b32 v11, 20, v102
	v_lshl_add_u32 v6, v6, 23, 0x3c000000
	v_mov_b32_e32 v86, v103
	v_and_b32_e32 v7, 0x80000000, v7
	s_delay_alu instid0(VALU_DEP_1)
	v_or3_b32 v87, v11, v7, v6
.LBB224_1814:                           ;   in Loop: Header=BB224_934 Depth=1
	s_or_b32 exec_lo, exec_lo, s9
.LBB224_1815:                           ;   in Loop: Header=BB224_934 Depth=1
	s_delay_alu instid0(SALU_CYCLE_1)
	s_or_b32 exec_lo, exec_lo, s8
.LBB224_1816:                           ;   in Loop: Header=BB224_934 Depth=1
	s_delay_alu instid0(SALU_CYCLE_1) | instskip(SKIP_4) | instid1(VALU_DEP_3)
	s_or_b32 exec_lo, exec_lo, s3
	v_or_b32_e32 v7, v83, v85
	v_or_b32_e32 v6, v82, v84
	;; [unrolled: 1-line block ×4, first 2 shown]
	v_pk_mul_f32 v[84:85], v[22:23], v[6:7]
	s_delay_alu instid0(VALU_DEP_2)
	v_pk_mul_f32 v[82:83], v[22:23], v[82:83]
	s_and_saveexec_b32 s3, vcc_lo
	s_cbranch_execz .LBB224_1818
; %bb.1817:                             ;   in Loop: Header=BB224_934 Depth=1
	scratch_load_b64 v[6:7], off, s32 offset:200 ; 8-byte Folded Reload
	s_wait_loadcnt 0x0
	v_cmp_lt_i32_e64 s0, v17, v6
	s_delay_alu instid0(VALU_DEP_1) | instskip(SKIP_1) | instid1(VALU_DEP_1)
	v_cndmask_b32_e64 v84, 0, v84, s0
	v_cmp_lt_i32_e64 s0, v114, v6
	v_cndmask_b32_e64 v85, 0, v85, s0
	v_cmp_lt_i32_e64 s0, v10, v6
	s_delay_alu instid0(VALU_DEP_1) | instskip(SKIP_1) | instid1(VALU_DEP_1)
	v_cndmask_b32_e64 v82, 0, v82, s0
	v_cmp_lt_i32_e64 s0, v115, v6
	v_cndmask_b32_e64 v83, 0, v83, s0
.LBB224_1818:                           ;   in Loop: Header=BB224_934 Depth=1
	s_wait_xcnt 0x0
	s_or_b32 exec_lo, exec_lo, s3
	flat_load_b32 v6, v[68:69] offset:3328
	v_mov_b64_e32 v[86:87], 0
	v_mov_b64_e32 v[96:97], 0
	s_mov_b32 s3, exec_lo
	s_wait_loadcnt_dscnt 0x0
	v_and_b32_e32 v7, 0xff, v6
	s_wait_xcnt 0x0
	s_delay_alu instid0(VALU_DEP_1)
	v_cmpx_ne_u16_e32 0, v7
	s_cbranch_execz .LBB224_1826
; %bb.1819:                             ;   in Loop: Header=BB224_934 Depth=1
	v_mov_b64_e32 v[96:97], 0x80000000
	s_mov_b32 s8, exec_lo
	v_cmpx_ne_u16_e32 0x80, v7
	s_cbranch_execz .LBB224_1825
; %bb.1820:                             ;   in Loop: Header=BB224_934 Depth=1
	v_mov_b64_e32 v[96:97], 0x7f800001
	v_and_b32_e32 v11, 0x7f, v6
	s_mov_b32 s9, exec_lo
	s_delay_alu instid0(VALU_DEP_1)
	v_cmpx_ne_u32_e32 0x7f, v11
	s_cbranch_execz .LBB224_1824
; %bb.1821:                             ;   in Loop: Header=BB224_934 Depth=1
	v_dual_lshrrev_b32 v7, 3, v11 :: v_dual_bitop2_b32 v102, 7, v6 bitop3:0x40
	s_mov_b32 s16, exec_lo
	v_cmpx_gt_u32_e32 8, v11
; %bb.1822:                             ;   in Loop: Header=BB224_934 Depth=1
	s_delay_alu instid0(VALU_DEP_2) | instskip(NEXT) | instid1(VALU_DEP_1)
	v_clz_i32_u32_e32 v7, v102
	v_min_u32_e32 v7, 32, v7
	s_delay_alu instid0(VALU_DEP_1) | instskip(NEXT) | instid1(VALU_DEP_1)
	v_subrev_nc_u32_e32 v11, 28, v7
	v_lshlrev_b64_e32 v[96:97], v11, v[102:103]
	s_delay_alu instid0(VALU_DEP_1)
	v_dual_sub_nc_u32 v7, 29, v7 :: v_dual_bitop2_b32 v102, 7, v96 bitop3:0x40
; %bb.1823:                             ;   in Loop: Header=BB224_934 Depth=1
	s_or_b32 exec_lo, exec_lo, s16
	v_lshlrev_b32_e32 v11, 24, v6
	s_delay_alu instid0(VALU_DEP_2) | instskip(NEXT) | instid1(VALU_DEP_3)
	v_lshlrev_b32_e32 v96, 20, v102
	v_lshl_add_u32 v7, v7, 23, 0x3c000000
	s_delay_alu instid0(VALU_DEP_3) | instskip(NEXT) | instid1(VALU_DEP_1)
	v_and_b32_e32 v11, 0x80000000, v11
	v_or3_b32 v102, v96, v11, v7
	s_delay_alu instid0(VALU_DEP_1)
	v_mov_b64_e32 v[96:97], v[102:103]
.LBB224_1824:                           ;   in Loop: Header=BB224_934 Depth=1
	s_or_b32 exec_lo, exec_lo, s9
.LBB224_1825:                           ;   in Loop: Header=BB224_934 Depth=1
	s_delay_alu instid0(SALU_CYCLE_1)
	s_or_b32 exec_lo, exec_lo, s8
.LBB224_1826:                           ;   in Loop: Header=BB224_934 Depth=1
	s_delay_alu instid0(SALU_CYCLE_1) | instskip(SKIP_2) | instid1(VALU_DEP_1)
	s_or_b32 exec_lo, exec_lo, s3
	v_lshrrev_b16 v7, 8, v6
	s_mov_b32 s3, exec_lo
	v_cmpx_ne_u16_e32 0, v7
	s_cbranch_execz .LBB224_1834
; %bb.1827:                             ;   in Loop: Header=BB224_934 Depth=1
	v_mov_b64_e32 v[86:87], 0x8000000000000000
	s_mov_b32 s8, exec_lo
	v_cmpx_ne_u16_e32 0x80, v7
	s_cbranch_execz .LBB224_1833
; %bb.1828:                             ;   in Loop: Header=BB224_934 Depth=1
	v_and_b32_e32 v7, 0xffff, v7
	v_mov_b64_e32 v[86:87], 0x7f80000100000000
	s_mov_b32 s9, exec_lo
	s_delay_alu instid0(VALU_DEP_2) | instskip(NEXT) | instid1(VALU_DEP_1)
	v_and_b32_e32 v11, 0x7f, v7
	v_cmpx_ne_u32_e32 0x7f, v11
	s_cbranch_execz .LBB224_1832
; %bb.1829:                             ;   in Loop: Header=BB224_934 Depth=1
	v_and_b32_e32 v102, 7, v7
	v_lshrrev_b32_e32 v7, 3, v11
	s_mov_b32 s16, exec_lo
	v_cmpx_gt_u32_e32 8, v11
; %bb.1830:                             ;   in Loop: Header=BB224_934 Depth=1
	s_delay_alu instid0(VALU_DEP_3) | instskip(NEXT) | instid1(VALU_DEP_1)
	v_clz_i32_u32_e32 v7, v102
	v_min_u32_e32 v7, 32, v7
	s_delay_alu instid0(VALU_DEP_1) | instskip(NEXT) | instid1(VALU_DEP_1)
	v_subrev_nc_u32_e32 v11, 28, v7
	v_lshlrev_b64_e32 v[86:87], v11, v[102:103]
	s_delay_alu instid0(VALU_DEP_1)
	v_dual_sub_nc_u32 v7, 29, v7 :: v_dual_bitop2_b32 v102, 7, v86 bitop3:0x40
; %bb.1831:                             ;   in Loop: Header=BB224_934 Depth=1
	s_or_b32 exec_lo, exec_lo, s16
	v_lshlrev_b32_e32 v11, 16, v6
	s_delay_alu instid0(VALU_DEP_2) | instskip(NEXT) | instid1(VALU_DEP_3)
	v_lshlrev_b32_e32 v86, 20, v102
	v_lshl_add_u32 v7, v7, 23, 0x3c000000
	s_delay_alu instid0(VALU_DEP_3) | instskip(NEXT) | instid1(VALU_DEP_1)
	v_and_b32_e32 v11, 0x80000000, v11
	v_or3_b32 v87, v86, v11, v7
	v_mov_b32_e32 v86, v103
.LBB224_1832:                           ;   in Loop: Header=BB224_934 Depth=1
	s_or_b32 exec_lo, exec_lo, s9
.LBB224_1833:                           ;   in Loop: Header=BB224_934 Depth=1
	s_delay_alu instid0(SALU_CYCLE_1)
	s_or_b32 exec_lo, exec_lo, s8
.LBB224_1834:                           ;   in Loop: Header=BB224_934 Depth=1
	s_delay_alu instid0(SALU_CYCLE_1) | instskip(SKIP_4) | instid1(VALU_DEP_3)
	s_or_b32 exec_lo, exec_lo, s3
	v_lshrrev_b32_e32 v7, 16, v6
	v_mov_b64_e32 v[98:99], 0
	v_mov_b64_e32 v[100:101], 0
	s_mov_b32 s3, exec_lo
	v_and_b32_e32 v11, 0xff, v7
	s_delay_alu instid0(VALU_DEP_1)
	v_cmpx_ne_u16_e32 0, v11
	s_cbranch_execz .LBB224_1842
; %bb.1835:                             ;   in Loop: Header=BB224_934 Depth=1
	v_mov_b64_e32 v[100:101], 0x80000000
	s_mov_b32 s8, exec_lo
	v_cmpx_ne_u16_e32 0x80, v11
	s_cbranch_execz .LBB224_1841
; %bb.1836:                             ;   in Loop: Header=BB224_934 Depth=1
	v_mov_b64_e32 v[100:101], 0x7f800001
	v_bfe_u32 v112, v6, 16, 7
	s_mov_b32 s9, exec_lo
	s_delay_alu instid0(VALU_DEP_1)
	v_cmpx_ne_u32_e32 0x7f, v112
	s_cbranch_execz .LBB224_1840
; %bb.1837:                             ;   in Loop: Header=BB224_934 Depth=1
	v_dual_lshrrev_b32 v11, 3, v112 :: v_dual_bitop2_b32 v102, 7, v7 bitop3:0x40
	s_mov_b32 s16, exec_lo
	v_cmpx_gt_u32_e32 8, v112
; %bb.1838:                             ;   in Loop: Header=BB224_934 Depth=1
	s_delay_alu instid0(VALU_DEP_2) | instskip(NEXT) | instid1(VALU_DEP_1)
	v_clz_i32_u32_e32 v11, v102
	v_min_u32_e32 v11, 32, v11
	s_delay_alu instid0(VALU_DEP_1) | instskip(NEXT) | instid1(VALU_DEP_1)
	v_subrev_nc_u32_e32 v100, 28, v11
	v_lshlrev_b64_e32 v[100:101], v100, v[102:103]
	s_delay_alu instid0(VALU_DEP_1)
	v_dual_sub_nc_u32 v11, 29, v11 :: v_dual_bitop2_b32 v102, 7, v100 bitop3:0x40
; %bb.1839:                             ;   in Loop: Header=BB224_934 Depth=1
	s_or_b32 exec_lo, exec_lo, s16
	s_delay_alu instid0(VALU_DEP_1) | instskip(NEXT) | instid1(VALU_DEP_2)
	v_dual_lshlrev_b32 v7, 24, v7 :: v_dual_lshlrev_b32 v100, 20, v102
	v_lshl_add_u32 v11, v11, 23, 0x3c000000
	s_delay_alu instid0(VALU_DEP_2) | instskip(NEXT) | instid1(VALU_DEP_1)
	v_and_b32_e32 v7, 0x80000000, v7
	v_or3_b32 v102, v100, v7, v11
	s_delay_alu instid0(VALU_DEP_1)
	v_mov_b64_e32 v[100:101], v[102:103]
.LBB224_1840:                           ;   in Loop: Header=BB224_934 Depth=1
	s_or_b32 exec_lo, exec_lo, s9
.LBB224_1841:                           ;   in Loop: Header=BB224_934 Depth=1
	s_delay_alu instid0(SALU_CYCLE_1)
	s_or_b32 exec_lo, exec_lo, s8
.LBB224_1842:                           ;   in Loop: Header=BB224_934 Depth=1
	s_delay_alu instid0(SALU_CYCLE_1) | instskip(NEXT) | instid1(SALU_CYCLE_1)
	s_or_b32 exec_lo, exec_lo, s3
	s_mov_b32 s3, exec_lo
	v_cmpx_lt_u32_e32 0xffffff, v6
	s_cbranch_execz .LBB224_1850
; %bb.1843:                             ;   in Loop: Header=BB224_934 Depth=1
	v_mov_b64_e32 v[98:99], 0x8000000000000000
	v_lshrrev_b32_e32 v7, 24, v6
	s_mov_b32 s8, exec_lo
	s_delay_alu instid0(VALU_DEP_1)
	v_cmpx_ne_u32_e32 0x80, v7
	s_cbranch_execz .LBB224_1849
; %bb.1844:                             ;   in Loop: Header=BB224_934 Depth=1
	v_mov_b64_e32 v[98:99], 0x7f80000100000000
	v_bfe_u32 v11, v6, 24, 7
	s_mov_b32 s9, exec_lo
	s_delay_alu instid0(VALU_DEP_1)
	v_cmpx_ne_u32_e32 0x7f, v11
	s_cbranch_execz .LBB224_1848
; %bb.1845:                             ;   in Loop: Header=BB224_934 Depth=1
	v_and_b32_e32 v102, 7, v7
	v_lshrrev_b32_e32 v6, 3, v11
	s_mov_b32 s16, exec_lo
	v_cmpx_gt_u32_e32 8, v11
; %bb.1846:                             ;   in Loop: Header=BB224_934 Depth=1
	s_delay_alu instid0(VALU_DEP_3) | instskip(NEXT) | instid1(VALU_DEP_1)
	v_clz_i32_u32_e32 v6, v102
	v_min_u32_e32 v6, 32, v6
	s_delay_alu instid0(VALU_DEP_1) | instskip(SKIP_1) | instid1(VALU_DEP_2)
	v_subrev_nc_u32_e32 v11, 28, v6
	v_sub_nc_u32_e32 v6, 29, v6
	v_lshlrev_b64_e32 v[98:99], v11, v[102:103]
	s_delay_alu instid0(VALU_DEP_1)
	v_and_b32_e32 v102, 7, v98
; %bb.1847:                             ;   in Loop: Header=BB224_934 Depth=1
	s_or_b32 exec_lo, exec_lo, s16
	s_delay_alu instid0(VALU_DEP_1) | instskip(SKIP_2) | instid1(VALU_DEP_3)
	v_dual_lshlrev_b32 v7, 24, v7 :: v_dual_lshlrev_b32 v11, 20, v102
	v_lshl_add_u32 v6, v6, 23, 0x3c000000
	v_mov_b32_e32 v98, v103
	v_and_b32_e32 v7, 0x80000000, v7
	s_delay_alu instid0(VALU_DEP_1)
	v_or3_b32 v99, v11, v7, v6
.LBB224_1848:                           ;   in Loop: Header=BB224_934 Depth=1
	s_or_b32 exec_lo, exec_lo, s9
.LBB224_1849:                           ;   in Loop: Header=BB224_934 Depth=1
	s_delay_alu instid0(SALU_CYCLE_1)
	s_or_b32 exec_lo, exec_lo, s8
.LBB224_1850:                           ;   in Loop: Header=BB224_934 Depth=1
	s_delay_alu instid0(SALU_CYCLE_1) | instskip(SKIP_4) | instid1(VALU_DEP_3)
	s_or_b32 exec_lo, exec_lo, s3
	v_or_b32_e32 v7, v87, v97
	v_or_b32_e32 v6, v86, v96
	;; [unrolled: 1-line block ×4, first 2 shown]
	v_pk_mul_f32 v[96:97], v[22:23], v[6:7]
	s_delay_alu instid0(VALU_DEP_2)
	v_pk_mul_f32 v[86:87], v[22:23], v[86:87]
	s_and_saveexec_b32 s3, vcc_lo
	s_cbranch_execz .LBB224_1852
; %bb.1851:                             ;   in Loop: Header=BB224_934 Depth=1
	scratch_load_b64 v[6:7], off, s32 offset:200 ; 8-byte Folded Reload
	s_wait_loadcnt 0x0
	v_cmp_lt_i32_e64 s0, v17, v6
	s_delay_alu instid0(VALU_DEP_1) | instskip(SKIP_1) | instid1(VALU_DEP_1)
	v_cndmask_b32_e64 v96, 0, v96, s0
	v_cmp_lt_i32_e64 s0, v114, v6
	v_cndmask_b32_e64 v97, 0, v97, s0
	v_cmp_lt_i32_e64 s0, v10, v6
	s_delay_alu instid0(VALU_DEP_1) | instskip(SKIP_1) | instid1(VALU_DEP_1)
	v_cndmask_b32_e64 v86, 0, v86, s0
	v_cmp_lt_i32_e64 s0, v115, v6
	v_cndmask_b32_e64 v87, 0, v87, s0
.LBB224_1852:                           ;   in Loop: Header=BB224_934 Depth=1
	s_wait_xcnt 0x0
	s_or_b32 exec_lo, exec_lo, s3
	flat_load_b32 v10, v[68:69] offset:3456
	s_wait_xcnt 0x0
	v_mov_b64_e32 v[68:69], 0
	v_mov_b64_e32 v[98:99], 0
	s_mov_b32 s3, exec_lo
	s_wait_loadcnt_dscnt 0x0
	v_and_b32_e32 v6, 0xff, v10
	s_delay_alu instid0(VALU_DEP_1)
	v_cmpx_ne_u16_e32 0, v6
	s_cbranch_execz .LBB224_1860
; %bb.1853:                             ;   in Loop: Header=BB224_934 Depth=1
	v_mov_b64_e32 v[98:99], 0x80000000
	s_mov_b32 s8, exec_lo
	v_cmpx_ne_u16_e32 0x80, v6
	s_cbranch_execz .LBB224_1859
; %bb.1854:                             ;   in Loop: Header=BB224_934 Depth=1
	v_mov_b64_e32 v[98:99], 0x7f800001
	v_and_b32_e32 v7, 0x7f, v10
	s_mov_b32 s9, exec_lo
	s_delay_alu instid0(VALU_DEP_1)
	v_cmpx_ne_u32_e32 0x7f, v7
	s_cbranch_execz .LBB224_1858
; %bb.1855:                             ;   in Loop: Header=BB224_934 Depth=1
	v_dual_lshrrev_b32 v6, 3, v7 :: v_dual_bitop2_b32 v102, 7, v10 bitop3:0x40
	s_mov_b32 s16, exec_lo
	v_cmpx_gt_u32_e32 8, v7
; %bb.1856:                             ;   in Loop: Header=BB224_934 Depth=1
	s_delay_alu instid0(VALU_DEP_2) | instskip(NEXT) | instid1(VALU_DEP_1)
	v_clz_i32_u32_e32 v6, v102
	v_min_u32_e32 v6, 32, v6
	s_delay_alu instid0(VALU_DEP_1) | instskip(SKIP_1) | instid1(VALU_DEP_2)
	v_subrev_nc_u32_e32 v7, 28, v6
	v_sub_nc_u32_e32 v6, 29, v6
	v_lshlrev_b64_e32 v[98:99], v7, v[102:103]
	s_delay_alu instid0(VALU_DEP_1)
	v_and_b32_e32 v102, 7, v98
; %bb.1857:                             ;   in Loop: Header=BB224_934 Depth=1
	s_or_b32 exec_lo, exec_lo, s16
	v_lshlrev_b32_e32 v7, 24, v10
	s_delay_alu instid0(VALU_DEP_2) | instskip(SKIP_1) | instid1(VALU_DEP_3)
	v_lshlrev_b32_e32 v11, 20, v102
	v_lshl_add_u32 v6, v6, 23, 0x3c000000
	v_and_b32_e32 v7, 0x80000000, v7
	s_delay_alu instid0(VALU_DEP_1) | instskip(NEXT) | instid1(VALU_DEP_1)
	v_or3_b32 v102, v11, v7, v6
	v_mov_b64_e32 v[98:99], v[102:103]
.LBB224_1858:                           ;   in Loop: Header=BB224_934 Depth=1
	s_or_b32 exec_lo, exec_lo, s9
.LBB224_1859:                           ;   in Loop: Header=BB224_934 Depth=1
	s_delay_alu instid0(SALU_CYCLE_1)
	s_or_b32 exec_lo, exec_lo, s8
.LBB224_1860:                           ;   in Loop: Header=BB224_934 Depth=1
	s_delay_alu instid0(SALU_CYCLE_1) | instskip(SKIP_2) | instid1(VALU_DEP_1)
	s_or_b32 exec_lo, exec_lo, s3
	v_lshrrev_b16 v6, 8, v10
	s_mov_b32 s3, exec_lo
	v_cmpx_ne_u16_e32 0, v6
	s_cbranch_execz .LBB224_1868
; %bb.1861:                             ;   in Loop: Header=BB224_934 Depth=1
	v_mov_b64_e32 v[68:69], 0x8000000000000000
	s_mov_b32 s8, exec_lo
	v_cmpx_ne_u16_e32 0x80, v6
	s_cbranch_execz .LBB224_1867
; %bb.1862:                             ;   in Loop: Header=BB224_934 Depth=1
	v_and_b32_e32 v6, 0xffff, v6
	v_mov_b64_e32 v[68:69], 0x7f80000100000000
	s_mov_b32 s9, exec_lo
	s_delay_alu instid0(VALU_DEP_2) | instskip(NEXT) | instid1(VALU_DEP_1)
	v_and_b32_e32 v7, 0x7f, v6
	v_cmpx_ne_u32_e32 0x7f, v7
	s_cbranch_execz .LBB224_1866
; %bb.1863:                             ;   in Loop: Header=BB224_934 Depth=1
	v_dual_lshrrev_b32 v6, 3, v7 :: v_dual_bitop2_b32 v102, 7, v6 bitop3:0x40
	s_mov_b32 s16, exec_lo
	v_cmpx_gt_u32_e32 8, v7
; %bb.1864:                             ;   in Loop: Header=BB224_934 Depth=1
	s_delay_alu instid0(VALU_DEP_2) | instskip(NEXT) | instid1(VALU_DEP_1)
	v_clz_i32_u32_e32 v6, v102
	v_min_u32_e32 v6, 32, v6
	s_delay_alu instid0(VALU_DEP_1) | instskip(NEXT) | instid1(VALU_DEP_1)
	v_subrev_nc_u32_e32 v7, 28, v6
	v_lshlrev_b64_e32 v[68:69], v7, v[102:103]
	s_delay_alu instid0(VALU_DEP_1)
	v_dual_sub_nc_u32 v6, 29, v6 :: v_dual_bitop2_b32 v102, 7, v68 bitop3:0x40
; %bb.1865:                             ;   in Loop: Header=BB224_934 Depth=1
	s_or_b32 exec_lo, exec_lo, s16
	v_dual_mov_b32 v68, v103 :: v_dual_lshlrev_b32 v7, 16, v10
	s_delay_alu instid0(VALU_DEP_2) | instskip(NEXT) | instid1(VALU_DEP_3)
	v_lshlrev_b32_e32 v11, 20, v102
	v_lshl_add_u32 v6, v6, 23, 0x3c000000
	s_delay_alu instid0(VALU_DEP_3) | instskip(NEXT) | instid1(VALU_DEP_1)
	v_and_b32_e32 v7, 0x80000000, v7
	v_or3_b32 v69, v11, v7, v6
.LBB224_1866:                           ;   in Loop: Header=BB224_934 Depth=1
	s_or_b32 exec_lo, exec_lo, s9
.LBB224_1867:                           ;   in Loop: Header=BB224_934 Depth=1
	s_delay_alu instid0(SALU_CYCLE_1)
	s_or_b32 exec_lo, exec_lo, s8
.LBB224_1868:                           ;   in Loop: Header=BB224_934 Depth=1
	s_delay_alu instid0(SALU_CYCLE_1) | instskip(SKIP_4) | instid1(VALU_DEP_3)
	s_or_b32 exec_lo, exec_lo, s3
	v_lshrrev_b32_e32 v11, 16, v10
	v_mov_b64_e32 v[100:101], 0
	v_mov_b64_e32 v[6:7], 0
	s_mov_b32 s3, exec_lo
	v_and_b32_e32 v102, 0xff, v11
	s_delay_alu instid0(VALU_DEP_1)
	v_cmpx_ne_u16_e32 0, v102
	s_cbranch_execz .LBB224_1876
; %bb.1869:                             ;   in Loop: Header=BB224_934 Depth=1
	v_mov_b64_e32 v[6:7], 0x80000000
	s_mov_b32 s8, exec_lo
	v_cmpx_ne_u16_e32 0x80, v102
	s_cbranch_execz .LBB224_1875
; %bb.1870:                             ;   in Loop: Header=BB224_934 Depth=1
	v_mov_b64_e32 v[6:7], 0x7f800001
	v_bfe_u32 v112, v10, 16, 7
	s_mov_b32 s9, exec_lo
	s_delay_alu instid0(VALU_DEP_1)
	v_cmpx_ne_u32_e32 0x7f, v112
	s_cbranch_execz .LBB224_1874
; %bb.1871:                             ;   in Loop: Header=BB224_934 Depth=1
	v_dual_lshrrev_b32 v6, 3, v112 :: v_dual_bitop2_b32 v102, 7, v11 bitop3:0x40
	s_mov_b32 s16, exec_lo
	v_cmpx_gt_u32_e32 8, v112
	s_cbranch_execz .LBB224_1873
; %bb.1872:                             ;   in Loop: Header=BB224_934 Depth=1
	s_delay_alu instid0(VALU_DEP_2) | instskip(SKIP_1) | instid1(VALU_DEP_2)
	v_clz_i32_u32_e32 v6, v102
	v_dual_mov_b32 v115, v117 :: v_dual_mov_b32 v112, v116
	v_min_u32_e32 v6, 32, v6
	s_delay_alu instid0(VALU_DEP_1) | instskip(NEXT) | instid1(VALU_DEP_1)
	v_subrev_nc_u32_e32 v7, 28, v6
	v_lshlrev_b64_e32 v[116:117], v7, v[102:103]
	s_delay_alu instid0(VALU_DEP_4) | instskip(NEXT) | instid1(VALU_DEP_2)
	v_dual_mov_b32 v117, v115 :: v_dual_sub_nc_u32 v6, 29, v6
	v_dual_mov_b32 v116, v112 :: v_dual_bitop2_b32 v102, 7, v116 bitop3:0x40
.LBB224_1873:                           ;   in Loop: Header=BB224_934 Depth=1
	s_or_b32 exec_lo, exec_lo, s16
	s_delay_alu instid0(VALU_DEP_1) | instskip(NEXT) | instid1(VALU_DEP_3)
	v_dual_lshlrev_b32 v7, 24, v11 :: v_dual_lshlrev_b32 v11, 20, v102
	v_lshl_add_u32 v6, v6, 23, 0x3c000000
	s_delay_alu instid0(VALU_DEP_2) | instskip(NEXT) | instid1(VALU_DEP_1)
	v_and_b32_e32 v7, 0x80000000, v7
	v_or3_b32 v102, v11, v7, v6
	s_delay_alu instid0(VALU_DEP_1)
	v_mov_b64_e32 v[6:7], v[102:103]
.LBB224_1874:                           ;   in Loop: Header=BB224_934 Depth=1
	s_or_b32 exec_lo, exec_lo, s9
.LBB224_1875:                           ;   in Loop: Header=BB224_934 Depth=1
	s_delay_alu instid0(SALU_CYCLE_1)
	s_or_b32 exec_lo, exec_lo, s8
.LBB224_1876:                           ;   in Loop: Header=BB224_934 Depth=1
	s_delay_alu instid0(SALU_CYCLE_1) | instskip(NEXT) | instid1(SALU_CYCLE_1)
	s_or_b32 exec_lo, exec_lo, s3
	s_mov_b32 s3, exec_lo
	v_cmpx_lt_u32_e32 0xffffff, v10
	s_cbranch_execz .LBB224_1884
; %bb.1877:                             ;   in Loop: Header=BB224_934 Depth=1
	v_mov_b64_e32 v[100:101], 0x8000000000000000
	v_lshrrev_b32_e32 v11, 24, v10
	s_mov_b32 s8, exec_lo
	s_delay_alu instid0(VALU_DEP_1)
	v_cmpx_ne_u32_e32 0x80, v11
	s_cbranch_execz .LBB224_1883
; %bb.1878:                             ;   in Loop: Header=BB224_934 Depth=1
	v_mov_b64_e32 v[100:101], 0x7f80000100000000
	v_bfe_u32 v112, v10, 24, 7
	s_mov_b32 s9, exec_lo
	s_delay_alu instid0(VALU_DEP_1)
	v_cmpx_ne_u32_e32 0x7f, v112
	s_cbranch_execz .LBB224_1882
; %bb.1879:                             ;   in Loop: Header=BB224_934 Depth=1
	v_dual_lshrrev_b32 v10, 3, v112 :: v_dual_bitop2_b32 v102, 7, v11 bitop3:0x40
	s_mov_b32 s16, exec_lo
	v_cmpx_gt_u32_e32 8, v112
; %bb.1880:                             ;   in Loop: Header=BB224_934 Depth=1
	s_delay_alu instid0(VALU_DEP_2) | instskip(NEXT) | instid1(VALU_DEP_1)
	v_clz_i32_u32_e32 v10, v102
	v_min_u32_e32 v10, 32, v10
	s_delay_alu instid0(VALU_DEP_1) | instskip(NEXT) | instid1(VALU_DEP_1)
	v_subrev_nc_u32_e32 v100, 28, v10
	v_lshlrev_b64_e32 v[100:101], v100, v[102:103]
	s_delay_alu instid0(VALU_DEP_1)
	v_dual_sub_nc_u32 v10, 29, v10 :: v_dual_bitop2_b32 v102, 7, v100 bitop3:0x40
; %bb.1881:                             ;   in Loop: Header=BB224_934 Depth=1
	s_or_b32 exec_lo, exec_lo, s16
	s_delay_alu instid0(VALU_DEP_1) | instskip(NEXT) | instid1(VALU_DEP_2)
	v_dual_lshlrev_b32 v11, 24, v11 :: v_dual_lshlrev_b32 v100, 20, v102
	v_lshl_add_u32 v10, v10, 23, 0x3c000000
	s_delay_alu instid0(VALU_DEP_2) | instskip(NEXT) | instid1(VALU_DEP_1)
	v_and_b32_e32 v11, 0x80000000, v11
	v_or3_b32 v101, v100, v11, v10
	v_mov_b32_e32 v100, v103
.LBB224_1882:                           ;   in Loop: Header=BB224_934 Depth=1
	s_or_b32 exec_lo, exec_lo, s9
.LBB224_1883:                           ;   in Loop: Header=BB224_934 Depth=1
	s_delay_alu instid0(SALU_CYCLE_1)
	s_or_b32 exec_lo, exec_lo, s8
.LBB224_1884:                           ;   in Loop: Header=BB224_934 Depth=1
	s_delay_alu instid0(SALU_CYCLE_1) | instskip(SKIP_4) | instid1(VALU_DEP_3)
	s_or_b32 exec_lo, exec_lo, s3
	v_or_b32_e32 v11, v69, v99
	v_or_b32_e32 v10, v68, v98
	;; [unrolled: 1-line block ×4, first 2 shown]
	v_pk_mul_f32 v[98:99], v[22:23], v[10:11]
	s_delay_alu instid0(VALU_DEP_2)
	v_pk_mul_f32 v[68:69], v[22:23], v[6:7]
	s_and_saveexec_b32 s3, vcc_lo
	s_cbranch_execz .LBB224_933
; %bb.1885:                             ;   in Loop: Header=BB224_934 Depth=1
	scratch_load_b64 v[6:7], off, s32 offset:200 ; 8-byte Folded Reload
	v_cmp_lt_i32_e64 s0, v114, v117
	s_wait_loadcnt 0x0
	s_delay_alu instid0(VALU_DEP_1) | instskip(SKIP_1) | instid1(VALU_DEP_1)
	v_dual_cndmask_b32 v99, 0, v99, s0 :: v_dual_bitop2_b32 v7, 2, v17 bitop3:0x54
	v_dual_mov_b32 v10, v6 :: v_dual_bitop2_b32 v6, 3, v17 bitop3:0x54
	v_cmp_lt_i32_e32 vcc_lo, v17, v10
	s_delay_alu instid0(VALU_DEP_2) | instskip(SKIP_2) | instid1(VALU_DEP_3)
	v_cmp_lt_i32_e64 s0, v6, v117
	v_cndmask_b32_e32 v98, 0, v98, vcc_lo
	v_cmp_lt_i32_e32 vcc_lo, v7, v10
	v_dual_cndmask_b32 v69, 0, v69, s0 :: v_dual_cndmask_b32 v68, 0, v68, vcc_lo
	s_branch .LBB224_933
.LBB224_1886:
	s_or_b32 exec_lo, exec_lo, s2
	s_clause 0x3
	scratch_load_b32 v53, off, s32 offset:356
	scratch_load_b32 v82, off, s32 offset:364
	;; [unrolled: 1-line block ×4, first 2 shown]
	v_mov_b64_e32 v[0:1], s[10:11]
.LBB224_1887:
	s_wait_xcnt 0x0
	s_or_b32 exec_lo, exec_lo, s1
	s_delay_alu instid0(VALU_DEP_1)
	v_lshl_add_u64 v[0:1], v[0:1], 2, s[6:7]
	s_wait_loadcnt 0x0
	s_wait_storecnt 0x0
	s_barrier_signal -1
	s_barrier_wait -1
	global_load_b32 v52, v[0:1], off
	s_wait_xcnt 0x0
	ds_bpermute_b32 v0, v69, v50
	ds_bpermute_b32 v1, v69, v51
	;; [unrolled: 1-line block ×16, first 2 shown]
	s_mov_b32 s0, exec_lo
	s_wait_dscnt 0xe
	v_pk_add_f32 v[0:1], v[50:51], v[0:1]
	s_wait_dscnt 0xc
	v_pk_add_f32 v[2:3], v[48:49], v[2:3]
	ds_bpermute_b32 v48, v69, v28
	s_wait_dscnt 0xb
	v_pk_add_f32 v[10:11], v[34:35], v[10:11]
	ds_bpermute_b32 v16, v82, v0
	ds_bpermute_b32 v17, v82, v1
	;; [unrolled: 1-line block ×7, first 2 shown]
	s_wait_dscnt 0x10
	v_pk_add_f32 v[14:15], v[14:15], v[64:65]
	s_wait_dscnt 0xe
	v_pk_add_f32 v[4:5], v[38:39], v[4:5]
	;; [unrolled: 2-line block ×5, first 2 shown]
	ds_bpermute_b32 v22, v82, v4
	ds_bpermute_b32 v23, v82, v5
	;; [unrolled: 1-line block ×8, first 2 shown]
	s_wait_dscnt 0xd
	v_pk_add_f32 v[0:1], v[0:1], v[16:17]
	ds_bpermute_b32 v16, v82, v10
	ds_bpermute_b32 v17, v82, v11
	s_wait_dscnt 0xd
	v_pk_add_f32 v[2:3], v[2:3], v[18:19]
	ds_bpermute_b32 v18, v69, v30
	ds_bpermute_b32 v19, v69, v31
	s_wait_dscnt 0xd
	v_pk_add_f32 v[32:33], v[32:33], v[34:35]
	s_wait_dscnt 0xc
	v_pk_add_f32 v[28:29], v[28:29], v[48:49]
	ds_bpermute_b32 v48, v69, v8
	ds_bpermute_b32 v49, v69, v9
	;; [unrolled: 1-line block ×6, first 2 shown]
	s_wait_dscnt 0x10
	v_pk_add_f32 v[4:5], v[4:5], v[22:23]
	s_wait_dscnt 0xe
	v_pk_add_f32 v[6:7], v[6:7], v[36:37]
	ds_bpermute_b32 v22, v53, v2
	s_wait_dscnt 0xd
	v_pk_add_f32 v[80:81], v[24:25], v[80:81]
	ds_bpermute_b32 v23, v53, v3
	;; [unrolled: 3-line block ×3, first 2 shown]
	ds_bpermute_b32 v37, v53, v5
	s_wait_dscnt 0xc
	v_pk_add_f32 v[10:11], v[10:11], v[16:17]
	ds_bpermute_b32 v16, v82, v32
	ds_bpermute_b32 v17, v82, v33
	s_wait_dscnt 0xc
	v_pk_add_f32 v[18:19], v[30:31], v[18:19]
	ds_bpermute_b32 v30, v69, v20
	ds_bpermute_b32 v31, v69, v21
	ds_bpermute_b32 v50, v53, v6
	s_wait_dscnt 0xd
	v_pk_add_f32 v[8:9], v[8:9], v[48:49]
	ds_bpermute_b32 v70, v82, v18
	;; [unrolled: 5-line block ×3, first 2 shown]
	ds_bpermute_b32 v35, v82, v29
	ds_bpermute_b32 v68, v53, v10
	;; [unrolled: 1-line block ×9, first 2 shown]
	s_wait_dscnt 0x14
	v_pk_add_f32 v[24:25], v[2:3], v[22:23]
	s_wait_dscnt 0x12
	v_pk_add_f32 v[22:23], v[4:5], v[36:37]
	s_wait_dscnt 0xe
	v_pk_add_f32 v[20:21], v[20:21], v[30:31]
	v_pk_add_f32 v[30:31], v[32:33], v[16:17]
	ds_bpermute_b32 v32, v82, v14
	ds_bpermute_b32 v33, v82, v15
	s_wait_dscnt 0xd
	v_pk_add_f32 v[66:67], v[18:19], v[70:71]
	ds_bpermute_b32 v16, v82, v20
	ds_bpermute_b32 v17, v82, v21
	;; [unrolled: 1-line block ×6, first 2 shown]
	s_wait_dscnt 0x10
	v_pk_add_f32 v[34:35], v[28:29], v[34:35]
	s_wait_dscnt 0xc
	v_pk_add_f32 v[54:55], v[26:27], v[54:55]
	ds_bpermute_b32 v70, v53, v66
	ds_bpermute_b32 v71, v53, v67
	s_wait_dscnt 0xc
	v_pk_add_f32 v[4:5], v[80:81], v[96:97]
	ds_bpermute_b32 v82, v53, v34
	ds_bpermute_b32 v83, v53, v35
	;; [unrolled: 1-line block ×4, first 2 shown]
	s_wait_dscnt 0xc
	v_pk_add_f32 v[32:33], v[14:15], v[32:33]
	s_wait_dscnt 0xa
	v_pk_add_f32 v[86:87], v[20:21], v[16:17]
	v_pk_add_f32 v[20:21], v[0:1], v[38:39]
	s_wait_dscnt 0x8
	v_pk_add_f32 v[14:15], v[30:31], v[48:49]
	s_clause 0x1
	scratch_load_b32 v0, off, s32 offset:1208
	scratch_load_b32 v30, off, s32 offset:1212 th:TH_LOAD_LU
	ds_bpermute_b32 v98, v53, v86
	ds_bpermute_b32 v99, v53, v87
	;; [unrolled: 1-line block ×4, first 2 shown]
	s_wait_dscnt 0xa
	v_pk_add_f32 v[26:27], v[8:9], v[18:19]
	v_pk_add_f32 v[18:19], v[6:7], v[50:51]
	;; [unrolled: 1-line block ×3, first 2 shown]
	s_wait_dscnt 0x8
	v_pk_add_f32 v[12:13], v[66:67], v[70:71]
	s_wait_dscnt 0x6
	v_pk_add_f32 v[10:11], v[34:35], v[82:83]
	ds_bpermute_b32 v28, v53, v26
	ds_bpermute_b32 v29, v53, v27
	s_wait_dscnt 0x6
	v_pk_add_f32 v[8:9], v[54:55], v[84:85]
	s_wait_dscnt 0x4
	v_pk_add_f32 v[6:7], v[86:87], v[98:99]
	;; [unrolled: 2-line block ×3, first 2 shown]
	s_wait_loadcnt 0x1
	v_and_b32_e32 v31, 0x3c7, v0
	v_pk_add_f32 v[0:1], v[64:65], v[102:103]
	s_wait_loadcnt 0x0
	v_lshrrev_b32_e32 v30, 3, v30
	s_delay_alu instid0(VALU_DEP_3) | instskip(SKIP_1) | instid1(SALU_CYCLE_1)
	v_cmpx_ne_u32_e32 64, v31
	s_xor_b32 s0, exec_lo, s0
	s_or_saveexec_b32 s0, s0
	s_wait_dscnt 0x0
	v_pk_add_f32 v[26:27], v[26:27], v[28:29]
	scratch_load_b32 v28, off, s32 offset:1216 th:TH_LOAD_LU ; 4-byte Folded Reload
	v_lshl_add_u32 v29, v30, 2, v52
	s_wait_loadcnt 0x0
	v_mul_u32_u24_e32 v28, 0x1c0, v28
	s_xor_b32 exec_lo, exec_lo, s0
	s_cbranch_execz .LBB224_1889
; %bb.1888:
	s_delay_alu instid0(VALU_DEP_1) | instskip(NEXT) | instid1(VALU_DEP_1)
	v_add_nc_u32_e32 v31, v29, v28
	v_add_nc_u32_e32 v32, 0xfffffc80, v31
	;; [unrolled: 1-line block ×9, first 2 shown]
	ds_store_b32 v32, v20
	ds_store_b32 v33, v21
	;; [unrolled: 1-line block ×8, first 2 shown]
	v_add_nc_u32_e32 v32, 0xfffffd00, v31
	v_add_nc_u32_e32 v33, 0xfffffd10, v31
	v_add_nc_u32_e32 v34, 0xfffffd20, v31
	v_add_nc_u32_e32 v35, 0xfffffd30, v31
	v_add_nc_u32_e32 v36, 0xfffffd40, v31
	v_add_nc_u32_e32 v37, 0xfffffd50, v31
	v_add_nc_u32_e32 v38, 0xfffffd60, v31
	v_add_nc_u32_e32 v39, 0xfffffd70, v31
	ds_store_b32 v32, v16
	ds_store_b32 v33, v17
	;; [unrolled: 1-line block ×8, first 2 shown]
	v_add_nc_u32_e32 v32, 0xfffffd80, v31
	v_add_nc_u32_e32 v33, 0xfffffd90, v31
	;; [unrolled: 1-line block ×12, first 2 shown]
	ds_store_b32 v32, v8
	ds_store_b32 v33, v9
	;; [unrolled: 1-line block ×12, first 2 shown]
.LBB224_1889:
	s_or_b32 exec_lo, exec_lo, s0
	v_lshlrev_b32_e32 v30, 2, v30
	s_mov_b32 s1, exec_lo
	v_cmp_eq_u32_e32 vcc_lo, 0, v112
	s_delay_alu instid0(VALU_DEP_2)
	v_add3_u32 v28, v52, v28, v30
	scratch_load_b32 v30, off, s32 offset:1208 ; 4-byte Folded Reload
	s_wait_loadcnt_dscnt 0x0
	s_barrier_signal -1
	s_barrier_wait -1
	v_cmpx_gt_u32_e32 64, v30
	s_cbranch_execz .LBB224_1920
; %bb.1890:
	s_and_saveexec_b32 s0, vcc_lo
	s_cbranch_execnz .LBB224_1956
; %bb.1891:
	s_or_b32 exec_lo, exec_lo, s0
	s_and_saveexec_b32 s0, vcc_lo
	s_cbranch_execnz .LBB224_1957
.LBB224_1892:
	s_or_b32 exec_lo, exec_lo, s0
	s_and_saveexec_b32 s0, vcc_lo
	s_cbranch_execnz .LBB224_1958
.LBB224_1893:
	s_or_b32 exec_lo, exec_lo, s0
	s_and_saveexec_b32 s0, vcc_lo
	s_cbranch_execnz .LBB224_1959
.LBB224_1894:
	s_or_b32 exec_lo, exec_lo, s0
	s_and_saveexec_b32 s0, vcc_lo
	s_cbranch_execnz .LBB224_1960
.LBB224_1895:
	s_or_b32 exec_lo, exec_lo, s0
	s_and_saveexec_b32 s0, vcc_lo
	s_cbranch_execnz .LBB224_1961
.LBB224_1896:
	s_or_b32 exec_lo, exec_lo, s0
	s_and_saveexec_b32 s0, vcc_lo
	s_cbranch_execnz .LBB224_1962
.LBB224_1897:
	s_or_b32 exec_lo, exec_lo, s0
	s_and_saveexec_b32 s0, vcc_lo
	s_cbranch_execnz .LBB224_1963
.LBB224_1898:
	s_or_b32 exec_lo, exec_lo, s0
	s_and_saveexec_b32 s0, vcc_lo
	s_cbranch_execnz .LBB224_1964
.LBB224_1899:
	s_or_b32 exec_lo, exec_lo, s0
	s_and_saveexec_b32 s0, vcc_lo
	s_cbranch_execnz .LBB224_1965
.LBB224_1900:
	s_or_b32 exec_lo, exec_lo, s0
	s_and_saveexec_b32 s0, vcc_lo
	s_cbranch_execnz .LBB224_1966
.LBB224_1901:
	s_or_b32 exec_lo, exec_lo, s0
	s_and_saveexec_b32 s0, vcc_lo
	s_cbranch_execnz .LBB224_1967
.LBB224_1902:
	s_or_b32 exec_lo, exec_lo, s0
	s_and_saveexec_b32 s0, vcc_lo
	s_cbranch_execnz .LBB224_1968
.LBB224_1903:
	s_or_b32 exec_lo, exec_lo, s0
	s_and_saveexec_b32 s0, vcc_lo
	s_cbranch_execnz .LBB224_1969
.LBB224_1904:
	s_or_b32 exec_lo, exec_lo, s0
	s_and_saveexec_b32 s0, vcc_lo
	s_cbranch_execnz .LBB224_1970
.LBB224_1905:
	s_or_b32 exec_lo, exec_lo, s0
	s_and_saveexec_b32 s0, vcc_lo
	s_cbranch_execnz .LBB224_1971
.LBB224_1906:
	s_or_b32 exec_lo, exec_lo, s0
	s_and_saveexec_b32 s0, vcc_lo
	s_cbranch_execnz .LBB224_1972
.LBB224_1907:
	s_or_b32 exec_lo, exec_lo, s0
	s_and_saveexec_b32 s0, vcc_lo
	s_cbranch_execnz .LBB224_1973
.LBB224_1908:
	s_or_b32 exec_lo, exec_lo, s0
	s_and_saveexec_b32 s0, vcc_lo
	s_cbranch_execnz .LBB224_1974
.LBB224_1909:
	s_or_b32 exec_lo, exec_lo, s0
	s_and_saveexec_b32 s0, vcc_lo
	s_cbranch_execnz .LBB224_1975
.LBB224_1910:
	s_or_b32 exec_lo, exec_lo, s0
	s_and_saveexec_b32 s0, vcc_lo
	s_cbranch_execnz .LBB224_1976
.LBB224_1911:
	s_or_b32 exec_lo, exec_lo, s0
	s_and_saveexec_b32 s0, vcc_lo
	s_cbranch_execnz .LBB224_1977
.LBB224_1912:
	s_or_b32 exec_lo, exec_lo, s0
	s_and_saveexec_b32 s0, vcc_lo
	s_cbranch_execnz .LBB224_1978
.LBB224_1913:
	s_or_b32 exec_lo, exec_lo, s0
	s_and_saveexec_b32 s0, vcc_lo
	s_cbranch_execnz .LBB224_1979
.LBB224_1914:
	s_or_b32 exec_lo, exec_lo, s0
	s_and_saveexec_b32 s0, vcc_lo
	s_cbranch_execnz .LBB224_1980
.LBB224_1915:
	s_or_b32 exec_lo, exec_lo, s0
	s_and_saveexec_b32 s0, vcc_lo
	s_cbranch_execnz .LBB224_1981
.LBB224_1916:
	s_or_b32 exec_lo, exec_lo, s0
	s_and_saveexec_b32 s0, vcc_lo
	s_cbranch_execnz .LBB224_1982
.LBB224_1917:
	s_or_b32 exec_lo, exec_lo, s0
	s_and_saveexec_b32 s0, vcc_lo
	s_cbranch_execz .LBB224_1919
.LBB224_1918:
	ds_load_b32 v30, v28 offset:432
	s_wait_dscnt 0x0
	v_add_f32_e32 v27, v30, v27
.LBB224_1919:
	s_or_b32 exec_lo, exec_lo, s0
.LBB224_1920:
	s_delay_alu instid0(SALU_CYCLE_1)
	s_or_b32 exec_lo, exec_lo, s1
	scratch_load_b32 v30, off, s32 offset:1208 ; 4-byte Folded Reload
	s_mov_b32 s1, exec_lo
	s_wait_loadcnt 0x0
	s_barrier_signal -1
	s_barrier_wait -1
	v_and_b32_e32 v30, 0x3e7, v30
	s_wait_xcnt 0x0
	s_delay_alu instid0(VALU_DEP_1)
	v_cmpx_eq_u32_e32 32, v30
	s_cbranch_execz .LBB224_1922
; %bb.1921:
	ds_store_2addr_b32 v29, v20, v21 offset1:4
	ds_store_2addr_b32 v29, v24, v25 offset0:8 offset1:12
	ds_store_2addr_b32 v29, v22, v23 offset0:16 offset1:20
	;; [unrolled: 1-line block ×13, first 2 shown]
.LBB224_1922:
	s_or_b32 exec_lo, exec_lo, s1
	scratch_load_b32 v29, off, s32 offset:1208 ; 4-byte Folded Reload
	s_mov_b32 s1, exec_lo
	s_wait_loadcnt_dscnt 0x0
	s_barrier_signal -1
	s_barrier_wait -1
	v_cmpx_gt_u32_e32 32, v29
	s_cbranch_execz .LBB224_1953
; %bb.1923:
	s_and_saveexec_b32 s0, vcc_lo
	s_cbranch_execnz .LBB224_1983
; %bb.1924:
	s_or_b32 exec_lo, exec_lo, s0
	s_and_saveexec_b32 s0, vcc_lo
	s_cbranch_execnz .LBB224_1984
.LBB224_1925:
	s_or_b32 exec_lo, exec_lo, s0
	s_and_saveexec_b32 s0, vcc_lo
	s_cbranch_execnz .LBB224_1985
.LBB224_1926:
	s_or_b32 exec_lo, exec_lo, s0
	s_and_saveexec_b32 s0, vcc_lo
	s_cbranch_execnz .LBB224_1986
.LBB224_1927:
	s_or_b32 exec_lo, exec_lo, s0
	s_and_saveexec_b32 s0, vcc_lo
	s_cbranch_execnz .LBB224_1987
.LBB224_1928:
	s_or_b32 exec_lo, exec_lo, s0
	s_and_saveexec_b32 s0, vcc_lo
	s_cbranch_execnz .LBB224_1988
.LBB224_1929:
	s_or_b32 exec_lo, exec_lo, s0
	s_and_saveexec_b32 s0, vcc_lo
	s_cbranch_execnz .LBB224_1989
.LBB224_1930:
	s_or_b32 exec_lo, exec_lo, s0
	s_and_saveexec_b32 s0, vcc_lo
	s_cbranch_execnz .LBB224_1990
.LBB224_1931:
	s_or_b32 exec_lo, exec_lo, s0
	s_and_saveexec_b32 s0, vcc_lo
	s_cbranch_execnz .LBB224_1991
.LBB224_1932:
	s_or_b32 exec_lo, exec_lo, s0
	s_and_saveexec_b32 s0, vcc_lo
	s_cbranch_execnz .LBB224_1992
.LBB224_1933:
	s_or_b32 exec_lo, exec_lo, s0
	s_and_saveexec_b32 s0, vcc_lo
	s_cbranch_execnz .LBB224_1993
.LBB224_1934:
	s_or_b32 exec_lo, exec_lo, s0
	s_and_saveexec_b32 s0, vcc_lo
	s_cbranch_execnz .LBB224_1994
.LBB224_1935:
	s_or_b32 exec_lo, exec_lo, s0
	s_and_saveexec_b32 s0, vcc_lo
	s_cbranch_execnz .LBB224_1995
.LBB224_1936:
	s_or_b32 exec_lo, exec_lo, s0
	s_and_saveexec_b32 s0, vcc_lo
	s_cbranch_execnz .LBB224_1996
.LBB224_1937:
	s_or_b32 exec_lo, exec_lo, s0
	s_and_saveexec_b32 s0, vcc_lo
	s_cbranch_execnz .LBB224_1997
.LBB224_1938:
	s_or_b32 exec_lo, exec_lo, s0
	s_and_saveexec_b32 s0, vcc_lo
	s_cbranch_execnz .LBB224_1998
.LBB224_1939:
	s_or_b32 exec_lo, exec_lo, s0
	s_and_saveexec_b32 s0, vcc_lo
	s_cbranch_execnz .LBB224_1999
.LBB224_1940:
	s_or_b32 exec_lo, exec_lo, s0
	s_and_saveexec_b32 s0, vcc_lo
	s_cbranch_execnz .LBB224_2000
.LBB224_1941:
	s_or_b32 exec_lo, exec_lo, s0
	s_and_saveexec_b32 s0, vcc_lo
	s_cbranch_execnz .LBB224_2001
.LBB224_1942:
	s_or_b32 exec_lo, exec_lo, s0
	s_and_saveexec_b32 s0, vcc_lo
	s_cbranch_execnz .LBB224_2002
.LBB224_1943:
	s_or_b32 exec_lo, exec_lo, s0
	s_and_saveexec_b32 s0, vcc_lo
	s_cbranch_execnz .LBB224_2003
.LBB224_1944:
	s_or_b32 exec_lo, exec_lo, s0
	s_and_saveexec_b32 s0, vcc_lo
	s_cbranch_execnz .LBB224_2004
.LBB224_1945:
	s_or_b32 exec_lo, exec_lo, s0
	s_and_saveexec_b32 s0, vcc_lo
	s_cbranch_execnz .LBB224_2005
.LBB224_1946:
	s_or_b32 exec_lo, exec_lo, s0
	s_and_saveexec_b32 s0, vcc_lo
	s_cbranch_execnz .LBB224_2006
.LBB224_1947:
	s_or_b32 exec_lo, exec_lo, s0
	s_and_saveexec_b32 s0, vcc_lo
	s_cbranch_execnz .LBB224_2007
.LBB224_1948:
	s_or_b32 exec_lo, exec_lo, s0
	s_and_saveexec_b32 s0, vcc_lo
	s_cbranch_execnz .LBB224_2008
.LBB224_1949:
	s_or_b32 exec_lo, exec_lo, s0
	s_and_saveexec_b32 s0, vcc_lo
	s_cbranch_execnz .LBB224_2009
.LBB224_1950:
	s_or_b32 exec_lo, exec_lo, s0
	s_and_saveexec_b32 s0, vcc_lo
	s_cbranch_execz .LBB224_1952
.LBB224_1951:
	ds_load_b32 v28, v28 offset:432
	s_wait_dscnt 0x0
	v_add_f32_e32 v27, v28, v27
.LBB224_1952:
	s_or_b32 exec_lo, exec_lo, s0
.LBB224_1953:
	s_delay_alu instid0(SALU_CYCLE_1)
	s_or_b32 exec_lo, exec_lo, s1
	s_mov_b32 s1, 0
	s_mov_b32 s2, exec_lo
	s_barrier_signal -1
	s_barrier_wait -1
	v_cmpx_eq_u32_e32 0, v30
	s_cbranch_execz .LBB224_1955
; %bb.1954:
	s_clause 0x1
	scratch_load_b64 v[28:29], off, s32 offset:1244 th:TH_LOAD_LU
	scratch_load_b32 v30, off, s32 offset:1208 th:TH_LOAD_LU
	s_and_b32 s0, 0xffff, s15
	v_mov_b32_e32 v31, 0
	s_cmp_lg_u32 s0, 0
	s_cselect_b32 s0, -1, 0
	s_delay_alu instid0(SALU_CYCLE_1)
	s_cmp_lg_u32 s0, 0
	s_wait_kmcnt 0x0
	s_add_co_ci_u32 s0, s5, 0
	s_bfe_u32 s8, ttmp6, 0x40014
	s_mul_i32 s5, s0, s13
	s_lshr_b32 s3, ttmp7, 16
	s_mul_i32 s5, s5, s14
	s_add_co_i32 s8, s8, 1
	s_mul_i32 s6, s5, 0x70
	s_bfe_u32 s9, ttmp6, 0x40008
	s_ashr_i32 s7, s6, 31
	s_mul_i32 s4, s4, s0
	s_mul_i32 s0, s3, s8
	s_ashr_i32 s5, s4, 31
	s_add_co_i32 s9, s9, s0
	s_cmp_eq_u32 s12, 0
	s_cselect_b32 s0, s3, s9
	s_delay_alu instid0(SALU_CYCLE_1) | instskip(SKIP_4) | instid1(VALU_DEP_2)
	s_mulk_i32 s0, 0x1c0
	s_wait_loadcnt 0x1
	v_lshl_add_u64 v[28:29], s[6:7], 2, v[28:29]
	s_wait_loadcnt 0x0
	v_lshrrev_b32_e32 v30, 1, v30
	v_lshl_add_u64 v[28:29], s[4:5], 2, v[28:29]
	s_delay_alu instid0(VALU_DEP_1) | instskip(NEXT) | instid1(VALU_DEP_1)
	v_add_nc_u64_e32 v[28:29], s[0:1], v[28:29]
	v_add_nc_u64_e32 v[28:29], v[28:29], v[30:31]
	s_clause 0x1b
	flat_store_b32 v[28:29], v20
	flat_store_b32 v[28:29], v21 offset:16
	flat_store_b32 v[28:29], v24 offset:32
	;; [unrolled: 1-line block ×27, first 2 shown]
.LBB224_1955:
	s_wait_xcnt 0x0
	s_or_b32 exec_lo, exec_lo, s2
	s_clause 0x2f
	scratch_load_b32 v127, off, s32
	scratch_load_b32 v126, off, s32 offset:4
	scratch_load_b32 v125, off, s32 offset:8
	scratch_load_b32 v124, off, s32 offset:12
	scratch_load_b32 v123, off, s32 offset:16
	scratch_load_b32 v122, off, s32 offset:20
	scratch_load_b32 v121, off, s32 offset:24
	scratch_load_b32 v120, off, s32 offset:28
	scratch_load_b32 v111, off, s32 offset:32
	scratch_load_b32 v110, off, s32 offset:36
	scratch_load_b32 v109, off, s32 offset:40
	scratch_load_b32 v108, off, s32 offset:44
	scratch_load_b32 v107, off, s32 offset:48
	scratch_load_b32 v106, off, s32 offset:52
	scratch_load_b32 v105, off, s32 offset:56
	scratch_load_b32 v104, off, s32 offset:60
	scratch_load_b32 v95, off, s32 offset:64
	scratch_load_b32 v94, off, s32 offset:68
	scratch_load_b32 v93, off, s32 offset:72
	scratch_load_b32 v92, off, s32 offset:76
	scratch_load_b32 v91, off, s32 offset:80
	scratch_load_b32 v90, off, s32 offset:84
	scratch_load_b32 v89, off, s32 offset:88
	scratch_load_b32 v88, off, s32 offset:92
	scratch_load_b32 v79, off, s32 offset:96
	scratch_load_b32 v78, off, s32 offset:100
	scratch_load_b32 v77, off, s32 offset:104
	scratch_load_b32 v76, off, s32 offset:108
	scratch_load_b32 v75, off, s32 offset:112
	scratch_load_b32 v74, off, s32 offset:116
	scratch_load_b32 v73, off, s32 offset:120
	scratch_load_b32 v72, off, s32 offset:124
	scratch_load_b32 v63, off, s32 offset:128
	scratch_load_b32 v62, off, s32 offset:132
	scratch_load_b32 v61, off, s32 offset:136
	scratch_load_b32 v60, off, s32 offset:140
	scratch_load_b32 v59, off, s32 offset:144
	scratch_load_b32 v58, off, s32 offset:148
	scratch_load_b32 v57, off, s32 offset:152
	scratch_load_b32 v56, off, s32 offset:156
	scratch_load_b32 v47, off, s32 offset:160
	scratch_load_b32 v46, off, s32 offset:164
	scratch_load_b32 v45, off, s32 offset:168
	scratch_load_b32 v44, off, s32 offset:172
	scratch_load_b32 v43, off, s32 offset:176
	scratch_load_b32 v42, off, s32 offset:180
	scratch_load_b32 v41, off, s32 offset:184
	scratch_load_b32 v40, off, s32 offset:188
	s_wait_loadcnt_dscnt 0x0
	s_wait_kmcnt 0x0
	s_set_pc_i64 s[30:31]
.LBB224_1956:
	ds_load_b32 v30, v28
	s_wait_dscnt 0x0
	v_add_f32_e32 v20, v30, v20
	s_or_b32 exec_lo, exec_lo, s0
	s_and_saveexec_b32 s0, vcc_lo
	s_cbranch_execz .LBB224_1892
.LBB224_1957:
	ds_load_b32 v30, v28 offset:16
	s_wait_dscnt 0x0
	v_add_f32_e32 v21, v30, v21
	s_or_b32 exec_lo, exec_lo, s0
	s_and_saveexec_b32 s0, vcc_lo
	s_cbranch_execz .LBB224_1893
.LBB224_1958:
	ds_load_b32 v30, v28 offset:32
	s_wait_dscnt 0x0
	v_add_f32_e32 v24, v30, v24
	s_or_b32 exec_lo, exec_lo, s0
	s_and_saveexec_b32 s0, vcc_lo
	s_cbranch_execz .LBB224_1894
.LBB224_1959:
	ds_load_b32 v30, v28 offset:48
	s_wait_dscnt 0x0
	v_add_f32_e32 v25, v30, v25
	s_or_b32 exec_lo, exec_lo, s0
	s_and_saveexec_b32 s0, vcc_lo
	s_cbranch_execz .LBB224_1895
.LBB224_1960:
	ds_load_b32 v30, v28 offset:64
	s_wait_dscnt 0x0
	v_add_f32_e32 v22, v30, v22
	s_or_b32 exec_lo, exec_lo, s0
	s_and_saveexec_b32 s0, vcc_lo
	s_cbranch_execz .LBB224_1896
.LBB224_1961:
	ds_load_b32 v30, v28 offset:80
	s_wait_dscnt 0x0
	v_add_f32_e32 v23, v30, v23
	s_or_b32 exec_lo, exec_lo, s0
	s_and_saveexec_b32 s0, vcc_lo
	s_cbranch_execz .LBB224_1897
.LBB224_1962:
	ds_load_b32 v30, v28 offset:96
	s_wait_dscnt 0x0
	v_add_f32_e32 v18, v30, v18
	s_or_b32 exec_lo, exec_lo, s0
	s_and_saveexec_b32 s0, vcc_lo
	s_cbranch_execz .LBB224_1898
.LBB224_1963:
	ds_load_b32 v30, v28 offset:112
	s_wait_dscnt 0x0
	v_add_f32_e32 v19, v30, v19
	s_or_b32 exec_lo, exec_lo, s0
	s_and_saveexec_b32 s0, vcc_lo
	s_cbranch_execz .LBB224_1899
.LBB224_1964:
	ds_load_b32 v30, v28 offset:128
	s_wait_dscnt 0x0
	v_add_f32_e32 v16, v30, v16
	s_or_b32 exec_lo, exec_lo, s0
	s_and_saveexec_b32 s0, vcc_lo
	s_cbranch_execz .LBB224_1900
.LBB224_1965:
	ds_load_b32 v30, v28 offset:144
	s_wait_dscnt 0x0
	v_add_f32_e32 v17, v30, v17
	s_or_b32 exec_lo, exec_lo, s0
	s_and_saveexec_b32 s0, vcc_lo
	s_cbranch_execz .LBB224_1901
.LBB224_1966:
	ds_load_b32 v30, v28 offset:160
	s_wait_dscnt 0x0
	v_add_f32_e32 v14, v30, v14
	s_or_b32 exec_lo, exec_lo, s0
	s_and_saveexec_b32 s0, vcc_lo
	s_cbranch_execz .LBB224_1902
.LBB224_1967:
	ds_load_b32 v30, v28 offset:176
	s_wait_dscnt 0x0
	v_add_f32_e32 v15, v30, v15
	s_or_b32 exec_lo, exec_lo, s0
	s_and_saveexec_b32 s0, vcc_lo
	s_cbranch_execz .LBB224_1903
.LBB224_1968:
	ds_load_b32 v30, v28 offset:192
	s_wait_dscnt 0x0
	v_add_f32_e32 v12, v30, v12
	s_or_b32 exec_lo, exec_lo, s0
	s_and_saveexec_b32 s0, vcc_lo
	s_cbranch_execz .LBB224_1904
.LBB224_1969:
	ds_load_b32 v30, v28 offset:208
	s_wait_dscnt 0x0
	v_add_f32_e32 v13, v30, v13
	s_or_b32 exec_lo, exec_lo, s0
	s_and_saveexec_b32 s0, vcc_lo
	s_cbranch_execz .LBB224_1905
.LBB224_1970:
	ds_load_b32 v30, v28 offset:224
	s_wait_dscnt 0x0
	v_add_f32_e32 v10, v30, v10
	s_or_b32 exec_lo, exec_lo, s0
	s_and_saveexec_b32 s0, vcc_lo
	s_cbranch_execz .LBB224_1906
.LBB224_1971:
	ds_load_b32 v30, v28 offset:240
	s_wait_dscnt 0x0
	v_add_f32_e32 v11, v30, v11
	s_or_b32 exec_lo, exec_lo, s0
	s_and_saveexec_b32 s0, vcc_lo
	s_cbranch_execz .LBB224_1907
.LBB224_1972:
	ds_load_b32 v30, v28 offset:256
	s_wait_dscnt 0x0
	v_add_f32_e32 v8, v30, v8
	s_or_b32 exec_lo, exec_lo, s0
	s_and_saveexec_b32 s0, vcc_lo
	s_cbranch_execz .LBB224_1908
.LBB224_1973:
	ds_load_b32 v30, v28 offset:272
	s_wait_dscnt 0x0
	v_add_f32_e32 v9, v30, v9
	s_or_b32 exec_lo, exec_lo, s0
	s_and_saveexec_b32 s0, vcc_lo
	s_cbranch_execz .LBB224_1909
.LBB224_1974:
	ds_load_b32 v30, v28 offset:288
	s_wait_dscnt 0x0
	v_add_f32_e32 v4, v30, v4
	s_or_b32 exec_lo, exec_lo, s0
	s_and_saveexec_b32 s0, vcc_lo
	s_cbranch_execz .LBB224_1910
.LBB224_1975:
	ds_load_b32 v30, v28 offset:304
	s_wait_dscnt 0x0
	v_add_f32_e32 v5, v30, v5
	s_or_b32 exec_lo, exec_lo, s0
	s_and_saveexec_b32 s0, vcc_lo
	s_cbranch_execz .LBB224_1911
.LBB224_1976:
	ds_load_b32 v30, v28 offset:320
	s_wait_dscnt 0x0
	v_add_f32_e32 v6, v30, v6
	s_or_b32 exec_lo, exec_lo, s0
	s_and_saveexec_b32 s0, vcc_lo
	s_cbranch_execz .LBB224_1912
.LBB224_1977:
	ds_load_b32 v30, v28 offset:336
	s_wait_dscnt 0x0
	v_add_f32_e32 v7, v30, v7
	s_or_b32 exec_lo, exec_lo, s0
	s_and_saveexec_b32 s0, vcc_lo
	s_cbranch_execz .LBB224_1913
.LBB224_1978:
	ds_load_b32 v30, v28 offset:352
	s_wait_dscnt 0x0
	v_add_f32_e32 v2, v30, v2
	s_or_b32 exec_lo, exec_lo, s0
	s_and_saveexec_b32 s0, vcc_lo
	s_cbranch_execz .LBB224_1914
.LBB224_1979:
	ds_load_b32 v30, v28 offset:368
	s_wait_dscnt 0x0
	v_add_f32_e32 v3, v30, v3
	s_or_b32 exec_lo, exec_lo, s0
	s_and_saveexec_b32 s0, vcc_lo
	s_cbranch_execz .LBB224_1915
.LBB224_1980:
	ds_load_b32 v30, v28 offset:384
	s_wait_dscnt 0x0
	v_add_f32_e32 v0, v30, v0
	s_or_b32 exec_lo, exec_lo, s0
	s_and_saveexec_b32 s0, vcc_lo
	s_cbranch_execz .LBB224_1916
.LBB224_1981:
	ds_load_b32 v30, v28 offset:400
	s_wait_dscnt 0x0
	v_add_f32_e32 v1, v30, v1
	s_or_b32 exec_lo, exec_lo, s0
	s_and_saveexec_b32 s0, vcc_lo
	s_cbranch_execz .LBB224_1917
.LBB224_1982:
	ds_load_b32 v30, v28 offset:416
	s_wait_dscnt 0x0
	v_add_f32_e32 v26, v30, v26
	s_or_b32 exec_lo, exec_lo, s0
	s_and_saveexec_b32 s0, vcc_lo
	s_cbranch_execnz .LBB224_1918
	s_branch .LBB224_1919
.LBB224_1983:
	ds_load_b32 v29, v28
	s_wait_dscnt 0x0
	v_add_f32_e32 v20, v29, v20
	s_or_b32 exec_lo, exec_lo, s0
	s_and_saveexec_b32 s0, vcc_lo
	s_cbranch_execz .LBB224_1925
.LBB224_1984:
	ds_load_b32 v29, v28 offset:16
	s_wait_dscnt 0x0
	v_add_f32_e32 v21, v29, v21
	s_or_b32 exec_lo, exec_lo, s0
	s_and_saveexec_b32 s0, vcc_lo
	s_cbranch_execz .LBB224_1926
.LBB224_1985:
	ds_load_b32 v29, v28 offset:32
	s_wait_dscnt 0x0
	v_add_f32_e32 v24, v29, v24
	s_or_b32 exec_lo, exec_lo, s0
	s_and_saveexec_b32 s0, vcc_lo
	s_cbranch_execz .LBB224_1927
.LBB224_1986:
	ds_load_b32 v29, v28 offset:48
	s_wait_dscnt 0x0
	v_add_f32_e32 v25, v29, v25
	s_or_b32 exec_lo, exec_lo, s0
	s_and_saveexec_b32 s0, vcc_lo
	s_cbranch_execz .LBB224_1928
.LBB224_1987:
	ds_load_b32 v29, v28 offset:64
	s_wait_dscnt 0x0
	v_add_f32_e32 v22, v29, v22
	s_or_b32 exec_lo, exec_lo, s0
	s_and_saveexec_b32 s0, vcc_lo
	s_cbranch_execz .LBB224_1929
.LBB224_1988:
	ds_load_b32 v29, v28 offset:80
	s_wait_dscnt 0x0
	v_add_f32_e32 v23, v29, v23
	s_or_b32 exec_lo, exec_lo, s0
	s_and_saveexec_b32 s0, vcc_lo
	s_cbranch_execz .LBB224_1930
.LBB224_1989:
	ds_load_b32 v29, v28 offset:96
	s_wait_dscnt 0x0
	v_add_f32_e32 v18, v29, v18
	s_or_b32 exec_lo, exec_lo, s0
	s_and_saveexec_b32 s0, vcc_lo
	s_cbranch_execz .LBB224_1931
.LBB224_1990:
	ds_load_b32 v29, v28 offset:112
	s_wait_dscnt 0x0
	v_add_f32_e32 v19, v29, v19
	s_or_b32 exec_lo, exec_lo, s0
	s_and_saveexec_b32 s0, vcc_lo
	s_cbranch_execz .LBB224_1932
.LBB224_1991:
	ds_load_b32 v29, v28 offset:128
	s_wait_dscnt 0x0
	v_add_f32_e32 v16, v29, v16
	s_or_b32 exec_lo, exec_lo, s0
	s_and_saveexec_b32 s0, vcc_lo
	s_cbranch_execz .LBB224_1933
.LBB224_1992:
	ds_load_b32 v29, v28 offset:144
	s_wait_dscnt 0x0
	v_add_f32_e32 v17, v29, v17
	s_or_b32 exec_lo, exec_lo, s0
	s_and_saveexec_b32 s0, vcc_lo
	s_cbranch_execz .LBB224_1934
.LBB224_1993:
	ds_load_b32 v29, v28 offset:160
	s_wait_dscnt 0x0
	v_add_f32_e32 v14, v29, v14
	s_or_b32 exec_lo, exec_lo, s0
	s_and_saveexec_b32 s0, vcc_lo
	s_cbranch_execz .LBB224_1935
.LBB224_1994:
	ds_load_b32 v29, v28 offset:176
	s_wait_dscnt 0x0
	v_add_f32_e32 v15, v29, v15
	s_or_b32 exec_lo, exec_lo, s0
	s_and_saveexec_b32 s0, vcc_lo
	s_cbranch_execz .LBB224_1936
.LBB224_1995:
	ds_load_b32 v29, v28 offset:192
	s_wait_dscnt 0x0
	v_add_f32_e32 v12, v29, v12
	s_or_b32 exec_lo, exec_lo, s0
	s_and_saveexec_b32 s0, vcc_lo
	s_cbranch_execz .LBB224_1937
.LBB224_1996:
	ds_load_b32 v29, v28 offset:208
	s_wait_dscnt 0x0
	v_add_f32_e32 v13, v29, v13
	s_or_b32 exec_lo, exec_lo, s0
	s_and_saveexec_b32 s0, vcc_lo
	s_cbranch_execz .LBB224_1938
.LBB224_1997:
	ds_load_b32 v29, v28 offset:224
	s_wait_dscnt 0x0
	v_add_f32_e32 v10, v29, v10
	s_or_b32 exec_lo, exec_lo, s0
	s_and_saveexec_b32 s0, vcc_lo
	s_cbranch_execz .LBB224_1939
.LBB224_1998:
	ds_load_b32 v29, v28 offset:240
	s_wait_dscnt 0x0
	v_add_f32_e32 v11, v29, v11
	s_or_b32 exec_lo, exec_lo, s0
	s_and_saveexec_b32 s0, vcc_lo
	s_cbranch_execz .LBB224_1940
.LBB224_1999:
	ds_load_b32 v29, v28 offset:256
	s_wait_dscnt 0x0
	v_add_f32_e32 v8, v29, v8
	s_or_b32 exec_lo, exec_lo, s0
	s_and_saveexec_b32 s0, vcc_lo
	s_cbranch_execz .LBB224_1941
.LBB224_2000:
	ds_load_b32 v29, v28 offset:272
	s_wait_dscnt 0x0
	v_add_f32_e32 v9, v29, v9
	s_or_b32 exec_lo, exec_lo, s0
	s_and_saveexec_b32 s0, vcc_lo
	s_cbranch_execz .LBB224_1942
.LBB224_2001:
	ds_load_b32 v29, v28 offset:288
	s_wait_dscnt 0x0
	v_add_f32_e32 v4, v29, v4
	s_or_b32 exec_lo, exec_lo, s0
	s_and_saveexec_b32 s0, vcc_lo
	s_cbranch_execz .LBB224_1943
.LBB224_2002:
	ds_load_b32 v29, v28 offset:304
	s_wait_dscnt 0x0
	v_add_f32_e32 v5, v29, v5
	s_or_b32 exec_lo, exec_lo, s0
	s_and_saveexec_b32 s0, vcc_lo
	s_cbranch_execz .LBB224_1944
.LBB224_2003:
	ds_load_b32 v29, v28 offset:320
	s_wait_dscnt 0x0
	v_add_f32_e32 v6, v29, v6
	s_or_b32 exec_lo, exec_lo, s0
	s_and_saveexec_b32 s0, vcc_lo
	s_cbranch_execz .LBB224_1945
.LBB224_2004:
	ds_load_b32 v29, v28 offset:336
	s_wait_dscnt 0x0
	v_add_f32_e32 v7, v29, v7
	s_or_b32 exec_lo, exec_lo, s0
	s_and_saveexec_b32 s0, vcc_lo
	s_cbranch_execz .LBB224_1946
.LBB224_2005:
	ds_load_b32 v29, v28 offset:352
	s_wait_dscnt 0x0
	v_add_f32_e32 v2, v29, v2
	s_or_b32 exec_lo, exec_lo, s0
	s_and_saveexec_b32 s0, vcc_lo
	s_cbranch_execz .LBB224_1947
.LBB224_2006:
	ds_load_b32 v29, v28 offset:368
	s_wait_dscnt 0x0
	v_add_f32_e32 v3, v29, v3
	s_or_b32 exec_lo, exec_lo, s0
	s_and_saveexec_b32 s0, vcc_lo
	s_cbranch_execz .LBB224_1948
.LBB224_2007:
	ds_load_b32 v29, v28 offset:384
	s_wait_dscnt 0x0
	v_add_f32_e32 v0, v29, v0
	s_or_b32 exec_lo, exec_lo, s0
	s_and_saveexec_b32 s0, vcc_lo
	s_cbranch_execz .LBB224_1949
.LBB224_2008:
	ds_load_b32 v29, v28 offset:400
	s_wait_dscnt 0x0
	v_add_f32_e32 v1, v29, v1
	s_or_b32 exec_lo, exec_lo, s0
	s_and_saveexec_b32 s0, vcc_lo
	s_cbranch_execz .LBB224_1950
.LBB224_2009:
	ds_load_b32 v29, v28 offset:416
	s_wait_dscnt 0x0
	v_add_f32_e32 v26, v29, v26
	s_or_b32 exec_lo, exec_lo, s0
	s_and_saveexec_b32 s0, vcc_lo
	s_cbranch_execnz .LBB224_1951
	s_branch .LBB224_1952
.Lfunc_end224:
	.size	_ZN4vllm22paged_attention_kernelIfhLi112ELi32ELi128ELNS_18Fp8KVCacheDataTypeE1ELb0ELi0EEEvPfS2_PT_PKS3_PKT0_S9_ifPKiSB_iPKfiiiSD_SD_iiiii, .Lfunc_end224-_ZN4vllm22paged_attention_kernelIfhLi112ELi32ELi128ELNS_18Fp8KVCacheDataTypeE1ELb0ELi0EEEvPfS2_PT_PKS3_PKT0_S9_ifPKiSB_iPKfiiiSD_SD_iiiii
                                        ; -- End function
	.set .L_ZN4vllm22paged_attention_kernelIfhLi112ELi32ELi128ELNS_18Fp8KVCacheDataTypeE1ELb0ELi0EEEvPfS2_PT_PKS3_PKT0_S9_ifPKiSB_iPKfiiiSD_SD_iiiii.num_vgpr, 128
	.set .L_ZN4vllm22paged_attention_kernelIfhLi112ELi32ELi128ELNS_18Fp8KVCacheDataTypeE1ELb0ELi0EEEvPfS2_PT_PKS3_PKT0_S9_ifPKiSB_iPKfiiiSD_SD_iiiii.num_agpr, 0
	.set .L_ZN4vllm22paged_attention_kernelIfhLi112ELi32ELi128ELNS_18Fp8KVCacheDataTypeE1ELb0ELi0EEEvPfS2_PT_PKS3_PKT0_S9_ifPKiSB_iPKfiiiSD_SD_iiiii.numbered_sgpr, 33
	.set .L_ZN4vllm22paged_attention_kernelIfhLi112ELi32ELi128ELNS_18Fp8KVCacheDataTypeE1ELb0ELi0EEEvPfS2_PT_PKS3_PKT0_S9_ifPKiSB_iPKfiiiSD_SD_iiiii.num_named_barrier, 0
	.set .L_ZN4vllm22paged_attention_kernelIfhLi112ELi32ELi128ELNS_18Fp8KVCacheDataTypeE1ELb0ELi0EEEvPfS2_PT_PKS3_PKT0_S9_ifPKiSB_iPKfiiiSD_SD_iiiii.private_seg_size, 1280
	.set .L_ZN4vllm22paged_attention_kernelIfhLi112ELi32ELi128ELNS_18Fp8KVCacheDataTypeE1ELb0ELi0EEEvPfS2_PT_PKS3_PKT0_S9_ifPKiSB_iPKfiiiSD_SD_iiiii.uses_vcc, 1
	.set .L_ZN4vllm22paged_attention_kernelIfhLi112ELi32ELi128ELNS_18Fp8KVCacheDataTypeE1ELb0ELi0EEEvPfS2_PT_PKS3_PKT0_S9_ifPKiSB_iPKfiiiSD_SD_iiiii.uses_flat_scratch, 1
	.set .L_ZN4vllm22paged_attention_kernelIfhLi112ELi32ELi128ELNS_18Fp8KVCacheDataTypeE1ELb0ELi0EEEvPfS2_PT_PKS3_PKT0_S9_ifPKiSB_iPKfiiiSD_SD_iiiii.has_dyn_sized_stack, 0
	.set .L_ZN4vllm22paged_attention_kernelIfhLi112ELi32ELi128ELNS_18Fp8KVCacheDataTypeE1ELb0ELi0EEEvPfS2_PT_PKS3_PKT0_S9_ifPKiSB_iPKfiiiSD_SD_iiiii.has_recursion, 0
	.set .L_ZN4vllm22paged_attention_kernelIfhLi112ELi32ELi128ELNS_18Fp8KVCacheDataTypeE1ELb0ELi0EEEvPfS2_PT_PKS3_PKT0_S9_ifPKiSB_iPKfiiiSD_SD_iiiii.has_indirect_call, 0
	.section	.AMDGPU.csdata,"",@progbits
; Function info:
; codeLenInByte = 80236
; TotalNumSgprs: 35
; NumVgprs: 128
; ScratchSize: 1280
; MemoryBound: 0
	.section	.text._ZN4vllm25paged_attention_v1_kernelIfhLi112ELi32ELi128ELNS_18Fp8KVCacheDataTypeE1ELb0EEEvPT_PKS2_PKT0_S8_ifPKiSA_iPKfiiiSC_SC_iiiii,"axG",@progbits,_ZN4vllm25paged_attention_v1_kernelIfhLi112ELi32ELi128ELNS_18Fp8KVCacheDataTypeE1ELb0EEEvPT_PKS2_PKT0_S8_ifPKiSA_iPKfiiiSC_SC_iiiii,comdat
	.protected	_ZN4vllm25paged_attention_v1_kernelIfhLi112ELi32ELi128ELNS_18Fp8KVCacheDataTypeE1ELb0EEEvPT_PKS2_PKT0_S8_ifPKiSA_iPKfiiiSC_SC_iiiii ; -- Begin function _ZN4vllm25paged_attention_v1_kernelIfhLi112ELi32ELi128ELNS_18Fp8KVCacheDataTypeE1ELb0EEEvPT_PKS2_PKT0_S8_ifPKiSA_iPKfiiiSC_SC_iiiii
	.globl	_ZN4vllm25paged_attention_v1_kernelIfhLi112ELi32ELi128ELNS_18Fp8KVCacheDataTypeE1ELb0EEEvPT_PKS2_PKT0_S8_ifPKiSA_iPKfiiiSC_SC_iiiii
	.p2align	8
	.type	_ZN4vllm25paged_attention_v1_kernelIfhLi112ELi32ELi128ELNS_18Fp8KVCacheDataTypeE1ELb0EEEvPT_PKS2_PKT0_S8_ifPKiSA_iPKfiiiSC_SC_iiiii,@function
_ZN4vllm25paged_attention_v1_kernelIfhLi112ELi32ELi128ELNS_18Fp8KVCacheDataTypeE1ELb0EEEvPT_PKS2_PKT0_S8_ifPKiSA_iPKfiiiSC_SC_iiiii: ; @_ZN4vllm25paged_attention_v1_kernelIfhLi112ELi32ELi128ELNS_18Fp8KVCacheDataTypeE1ELb0EEEvPT_PKS2_PKT0_S8_ifPKiSA_iPKfiiiSC_SC_iiiii
; %bb.0:
	s_clause 0x5
	s_load_b256 s[12:19], s[0:1], 0x0
	s_load_b128 s[4:7], s[0:1], 0x20
	s_load_b96 s[20:22], s[0:1], 0x30
	s_load_b64 s[10:11], s[0:1], 0x40
	s_load_b96 s[28:30], s[0:1], 0x48
	s_load_b128 s[24:27], s[0:1], 0x58
	v_mov_b32_e32 v31, v0
	s_get_pc_i64 s[2:3]
	s_add_nc_u64 s[2:3], s[2:3], _ZN4vllm22paged_attention_kernelIfhLi112ELi32ELi128ELNS_18Fp8KVCacheDataTypeE1ELb0ELi0EEEvPfS2_PT_PKS3_PKT0_S9_ifPKiSB_iPKfiiiSD_SD_iiiii@rel64+4
	s_add_nc_u64 s[8:9], s[0:1], 0x80
	s_mov_b32 s32, 0
	s_wait_kmcnt 0x0
	v_dual_mov_b32 v0, s12 :: v_dual_mov_b32 v1, s13
	v_dual_mov_b32 v2, s14 :: v_dual_mov_b32 v3, s15
	;; [unrolled: 1-line block ×12, first 2 shown]
	s_mov_b32 s15, 16
	s_swap_pc_i64 s[30:31], s[2:3]
	s_endpgm
	.section	.rodata,"a",@progbits
	.p2align	6, 0x0
	.amdhsa_kernel _ZN4vllm25paged_attention_v1_kernelIfhLi112ELi32ELi128ELNS_18Fp8KVCacheDataTypeE1ELb0EEEvPT_PKS2_PKT0_S8_ifPKiSA_iPKfiiiSC_SC_iiiii
		.amdhsa_group_segment_fixed_size 480
		.amdhsa_private_segment_fixed_size 1280
		.amdhsa_kernarg_size 384
		.amdhsa_user_sgpr_count 2
		.amdhsa_user_sgpr_dispatch_ptr 0
		.amdhsa_user_sgpr_queue_ptr 0
		.amdhsa_user_sgpr_kernarg_segment_ptr 1
		.amdhsa_user_sgpr_dispatch_id 0
		.amdhsa_user_sgpr_kernarg_preload_length 0
		.amdhsa_user_sgpr_kernarg_preload_offset 0
		.amdhsa_user_sgpr_private_segment_size 0
		.amdhsa_wavefront_size32 1
		.amdhsa_uses_dynamic_stack 0
		.amdhsa_enable_private_segment 1
		.amdhsa_system_sgpr_workgroup_id_x 1
		.amdhsa_system_sgpr_workgroup_id_y 1
		.amdhsa_system_sgpr_workgroup_id_z 1
		.amdhsa_system_sgpr_workgroup_info 0
		.amdhsa_system_vgpr_workitem_id 0
		.amdhsa_next_free_vgpr 128
		.amdhsa_next_free_sgpr 33
		.amdhsa_named_barrier_count 0
		.amdhsa_reserve_vcc 1
		.amdhsa_float_round_mode_32 0
		.amdhsa_float_round_mode_16_64 0
		.amdhsa_float_denorm_mode_32 3
		.amdhsa_float_denorm_mode_16_64 3
		.amdhsa_fp16_overflow 0
		.amdhsa_memory_ordered 1
		.amdhsa_forward_progress 1
		.amdhsa_inst_pref_size 2
		.amdhsa_round_robin_scheduling 0
		.amdhsa_exception_fp_ieee_invalid_op 0
		.amdhsa_exception_fp_denorm_src 0
		.amdhsa_exception_fp_ieee_div_zero 0
		.amdhsa_exception_fp_ieee_overflow 0
		.amdhsa_exception_fp_ieee_underflow 0
		.amdhsa_exception_fp_ieee_inexact 0
		.amdhsa_exception_int_div_zero 0
	.end_amdhsa_kernel
	.section	.text._ZN4vllm25paged_attention_v1_kernelIfhLi112ELi32ELi128ELNS_18Fp8KVCacheDataTypeE1ELb0EEEvPT_PKS2_PKT0_S8_ifPKiSA_iPKfiiiSC_SC_iiiii,"axG",@progbits,_ZN4vllm25paged_attention_v1_kernelIfhLi112ELi32ELi128ELNS_18Fp8KVCacheDataTypeE1ELb0EEEvPT_PKS2_PKT0_S8_ifPKiSA_iPKfiiiSC_SC_iiiii,comdat
.Lfunc_end225:
	.size	_ZN4vllm25paged_attention_v1_kernelIfhLi112ELi32ELi128ELNS_18Fp8KVCacheDataTypeE1ELb0EEEvPT_PKS2_PKT0_S8_ifPKiSA_iPKfiiiSC_SC_iiiii, .Lfunc_end225-_ZN4vllm25paged_attention_v1_kernelIfhLi112ELi32ELi128ELNS_18Fp8KVCacheDataTypeE1ELb0EEEvPT_PKS2_PKT0_S8_ifPKiSA_iPKfiiiSC_SC_iiiii
                                        ; -- End function
	.set _ZN4vllm25paged_attention_v1_kernelIfhLi112ELi32ELi128ELNS_18Fp8KVCacheDataTypeE1ELb0EEEvPT_PKS2_PKT0_S8_ifPKiSA_iPKfiiiSC_SC_iiiii.num_vgpr, max(32, .L_ZN4vllm22paged_attention_kernelIfhLi112ELi32ELi128ELNS_18Fp8KVCacheDataTypeE1ELb0ELi0EEEvPfS2_PT_PKS3_PKT0_S9_ifPKiSB_iPKfiiiSD_SD_iiiii.num_vgpr)
	.set _ZN4vllm25paged_attention_v1_kernelIfhLi112ELi32ELi128ELNS_18Fp8KVCacheDataTypeE1ELb0EEEvPT_PKS2_PKT0_S8_ifPKiSA_iPKfiiiSC_SC_iiiii.num_agpr, max(0, .L_ZN4vllm22paged_attention_kernelIfhLi112ELi32ELi128ELNS_18Fp8KVCacheDataTypeE1ELb0ELi0EEEvPfS2_PT_PKS3_PKT0_S9_ifPKiSB_iPKfiiiSD_SD_iiiii.num_agpr)
	.set _ZN4vllm25paged_attention_v1_kernelIfhLi112ELi32ELi128ELNS_18Fp8KVCacheDataTypeE1ELb0EEEvPT_PKS2_PKT0_S8_ifPKiSA_iPKfiiiSC_SC_iiiii.numbered_sgpr, max(33, .L_ZN4vllm22paged_attention_kernelIfhLi112ELi32ELi128ELNS_18Fp8KVCacheDataTypeE1ELb0ELi0EEEvPfS2_PT_PKS3_PKT0_S9_ifPKiSB_iPKfiiiSD_SD_iiiii.numbered_sgpr)
	.set _ZN4vllm25paged_attention_v1_kernelIfhLi112ELi32ELi128ELNS_18Fp8KVCacheDataTypeE1ELb0EEEvPT_PKS2_PKT0_S8_ifPKiSA_iPKfiiiSC_SC_iiiii.num_named_barrier, max(0, .L_ZN4vllm22paged_attention_kernelIfhLi112ELi32ELi128ELNS_18Fp8KVCacheDataTypeE1ELb0ELi0EEEvPfS2_PT_PKS3_PKT0_S9_ifPKiSB_iPKfiiiSD_SD_iiiii.num_named_barrier)
	.set _ZN4vllm25paged_attention_v1_kernelIfhLi112ELi32ELi128ELNS_18Fp8KVCacheDataTypeE1ELb0EEEvPT_PKS2_PKT0_S8_ifPKiSA_iPKfiiiSC_SC_iiiii.private_seg_size, 0+max(.L_ZN4vllm22paged_attention_kernelIfhLi112ELi32ELi128ELNS_18Fp8KVCacheDataTypeE1ELb0ELi0EEEvPfS2_PT_PKS3_PKT0_S9_ifPKiSB_iPKfiiiSD_SD_iiiii.private_seg_size)
	.set _ZN4vllm25paged_attention_v1_kernelIfhLi112ELi32ELi128ELNS_18Fp8KVCacheDataTypeE1ELb0EEEvPT_PKS2_PKT0_S8_ifPKiSA_iPKfiiiSC_SC_iiiii.uses_vcc, or(1, .L_ZN4vllm22paged_attention_kernelIfhLi112ELi32ELi128ELNS_18Fp8KVCacheDataTypeE1ELb0ELi0EEEvPfS2_PT_PKS3_PKT0_S9_ifPKiSB_iPKfiiiSD_SD_iiiii.uses_vcc)
	.set _ZN4vllm25paged_attention_v1_kernelIfhLi112ELi32ELi128ELNS_18Fp8KVCacheDataTypeE1ELb0EEEvPT_PKS2_PKT0_S8_ifPKiSA_iPKfiiiSC_SC_iiiii.uses_flat_scratch, or(0, .L_ZN4vllm22paged_attention_kernelIfhLi112ELi32ELi128ELNS_18Fp8KVCacheDataTypeE1ELb0ELi0EEEvPfS2_PT_PKS3_PKT0_S9_ifPKiSB_iPKfiiiSD_SD_iiiii.uses_flat_scratch)
	.set _ZN4vllm25paged_attention_v1_kernelIfhLi112ELi32ELi128ELNS_18Fp8KVCacheDataTypeE1ELb0EEEvPT_PKS2_PKT0_S8_ifPKiSA_iPKfiiiSC_SC_iiiii.has_dyn_sized_stack, or(0, .L_ZN4vllm22paged_attention_kernelIfhLi112ELi32ELi128ELNS_18Fp8KVCacheDataTypeE1ELb0ELi0EEEvPfS2_PT_PKS3_PKT0_S9_ifPKiSB_iPKfiiiSD_SD_iiiii.has_dyn_sized_stack)
	.set _ZN4vllm25paged_attention_v1_kernelIfhLi112ELi32ELi128ELNS_18Fp8KVCacheDataTypeE1ELb0EEEvPT_PKS2_PKT0_S8_ifPKiSA_iPKfiiiSC_SC_iiiii.has_recursion, or(0, .L_ZN4vllm22paged_attention_kernelIfhLi112ELi32ELi128ELNS_18Fp8KVCacheDataTypeE1ELb0ELi0EEEvPfS2_PT_PKS3_PKT0_S9_ifPKiSB_iPKfiiiSD_SD_iiiii.has_recursion)
	.set _ZN4vllm25paged_attention_v1_kernelIfhLi112ELi32ELi128ELNS_18Fp8KVCacheDataTypeE1ELb0EEEvPT_PKS2_PKT0_S8_ifPKiSA_iPKfiiiSC_SC_iiiii.has_indirect_call, or(0, .L_ZN4vllm22paged_attention_kernelIfhLi112ELi32ELi128ELNS_18Fp8KVCacheDataTypeE1ELb0ELi0EEEvPfS2_PT_PKS3_PKT0_S9_ifPKiSB_iPKfiiiSD_SD_iiiii.has_indirect_call)
	.section	.AMDGPU.csdata,"",@progbits
; Kernel info:
; codeLenInByte = 196
; TotalNumSgprs: 35
; NumVgprs: 128
; ScratchSize: 1280
; MemoryBound: 0
; FloatMode: 240
; IeeeMode: 1
; LDSByteSize: 480 bytes/workgroup (compile time only)
; SGPRBlocks: 0
; VGPRBlocks: 7
; NumSGPRsForWavesPerEU: 35
; NumVGPRsForWavesPerEU: 128
; NamedBarCnt: 0
; Occupancy: 8
; WaveLimiterHint : 1
; COMPUTE_PGM_RSRC2:SCRATCH_EN: 1
; COMPUTE_PGM_RSRC2:USER_SGPR: 2
; COMPUTE_PGM_RSRC2:TRAP_HANDLER: 0
; COMPUTE_PGM_RSRC2:TGID_X_EN: 1
; COMPUTE_PGM_RSRC2:TGID_Y_EN: 1
; COMPUTE_PGM_RSRC2:TGID_Z_EN: 1
; COMPUTE_PGM_RSRC2:TIDIG_COMP_CNT: 0
	.text
	.p2align	2                               ; -- Begin function _ZN4vllm22paged_attention_kernelIfhLi120ELi32ELi128ELNS_18Fp8KVCacheDataTypeE1ELb0ELi0EEEvPfS2_PT_PKS3_PKT0_S9_ifPKiSB_iPKfiiiSD_SD_iiiii
	.type	_ZN4vllm22paged_attention_kernelIfhLi120ELi32ELi128ELNS_18Fp8KVCacheDataTypeE1ELb0ELi0EEEvPfS2_PT_PKS3_PKT0_S9_ifPKiSB_iPKfiiiSD_SD_iiiii,@function
_ZN4vllm22paged_attention_kernelIfhLi120ELi32ELi128ELNS_18Fp8KVCacheDataTypeE1ELb0ELi0EEEvPfS2_PT_PKS3_PKT0_S9_ifPKiSB_iPKfiiiSD_SD_iiiii: ; @_ZN4vllm22paged_attention_kernelIfhLi120ELi32ELi128ELNS_18Fp8KVCacheDataTypeE1ELb0ELi0EEEvPfS2_PT_PKS3_PKT0_S9_ifPKiSB_iPKfiiiSD_SD_iiiii
; %bb.0:
	s_wait_loadcnt_dscnt 0x0
	s_wait_kmcnt 0x0
	s_clause 0x2f
	scratch_store_b32 off, v40, s32 offset:188
	; meta instruction
	scratch_store_b32 off, v41, s32 offset:184
	; meta instruction
	scratch_store_b32 off, v42, s32 offset:180
	; meta instruction
	scratch_store_b32 off, v43, s32 offset:176
	; meta instruction
	scratch_store_b32 off, v44, s32 offset:172
	; meta instruction
	scratch_store_b32 off, v45, s32 offset:168
	; meta instruction
	scratch_store_b32 off, v46, s32 offset:164
	; meta instruction
	scratch_store_b32 off, v47, s32 offset:160
	; meta instruction
	scratch_store_b32 off, v56, s32 offset:156
	; meta instruction
	scratch_store_b32 off, v57, s32 offset:152
	; meta instruction
	scratch_store_b32 off, v58, s32 offset:148
	; meta instruction
	scratch_store_b32 off, v59, s32 offset:144
	; meta instruction
	scratch_store_b32 off, v60, s32 offset:140
	; meta instruction
	scratch_store_b32 off, v61, s32 offset:136
	; meta instruction
	scratch_store_b32 off, v62, s32 offset:132
	; meta instruction
	scratch_store_b32 off, v63, s32 offset:128
	; meta instruction
	scratch_store_b32 off, v72, s32 offset:124
	; meta instruction
	scratch_store_b32 off, v73, s32 offset:120
	; meta instruction
	scratch_store_b32 off, v74, s32 offset:116
	; meta instruction
	scratch_store_b32 off, v75, s32 offset:112
	; meta instruction
	scratch_store_b32 off, v76, s32 offset:108
	; meta instruction
	scratch_store_b32 off, v77, s32 offset:104
	; meta instruction
	scratch_store_b32 off, v78, s32 offset:100
	; meta instruction
	scratch_store_b32 off, v79, s32 offset:96
	; meta instruction
	scratch_store_b32 off, v88, s32 offset:92
	; meta instruction
	scratch_store_b32 off, v89, s32 offset:88
	; meta instruction
	scratch_store_b32 off, v90, s32 offset:84
	; meta instruction
	scratch_store_b32 off, v91, s32 offset:80
	; meta instruction
	scratch_store_b32 off, v92, s32 offset:76
	; meta instruction
	scratch_store_b32 off, v93, s32 offset:72
	; meta instruction
	scratch_store_b32 off, v94, s32 offset:68
	; meta instruction
	scratch_store_b32 off, v95, s32 offset:64
	; meta instruction
	scratch_store_b32 off, v104, s32 offset:60
	; meta instruction
	scratch_store_b32 off, v105, s32 offset:56
	; meta instruction
	scratch_store_b32 off, v106, s32 offset:52
	; meta instruction
	scratch_store_b32 off, v107, s32 offset:48
	; meta instruction
	scratch_store_b32 off, v108, s32 offset:44
	; meta instruction
	scratch_store_b32 off, v109, s32 offset:40
	; meta instruction
	scratch_store_b32 off, v110, s32 offset:36
	; meta instruction
	scratch_store_b32 off, v111, s32 offset:32
	; meta instruction
	scratch_store_b32 off, v120, s32 offset:28
	; meta instruction
	scratch_store_b32 off, v121, s32 offset:24
	; meta instruction
	scratch_store_b32 off, v122, s32 offset:20
	; meta instruction
	scratch_store_b32 off, v123, s32 offset:16
	; meta instruction
	scratch_store_b32 off, v124, s32 offset:12
	; meta instruction
	scratch_store_b32 off, v125, s32 offset:8
	; meta instruction
	scratch_store_b32 off, v126, s32 offset:4
	; meta instruction
	scratch_store_b32 off, v127, s32
	s_bfe_u32 s0, ttmp6, 0x4000c
	s_bfe_u32 s2, ttmp6, 0x40010
	s_add_co_i32 s0, s0, 1
	s_and_b32 s1, ttmp6, 15
	s_mul_i32 s0, ttmp9, s0
	s_and_b32 s3, ttmp7, 0xffff
	s_add_co_i32 s2, s2, 1
	s_add_co_i32 s0, s1, s0
	s_mul_i32 s1, s3, s2
	s_bfe_u32 s2, ttmp6, 0x40004
	s_getreg_b32 s12, hwreg(HW_REG_IB_STS2, 6, 4)
	s_add_co_i32 s2, s2, s1
	s_cmp_eq_u32 s12, 0
	s_mov_b32 s1, 0
	s_cselect_b32 s13, s3, s2
	s_cselect_b32 s2, ttmp9, s0
	s_lshl_b32 s0, s13, 2
	s_clause 0x6
	scratch_store_b64 off, v[22:23], s32 offset:1384
	scratch_store_b64 off, v[20:21], s32 offset:840
	;; [unrolled: 1-line block ×4, first 2 shown]
	scratch_store_b32 off, v9, s32 offset:848
	scratch_store_b64 off, v[6:7], s32 offset:1392
	scratch_store_b64 off, v[0:1], s32 offset:1376
	s_wait_xcnt 0x1
	v_add_nc_u64_e32 v[6:7], s[0:1], v[12:13]
	s_wait_xcnt 0x0
	v_mov_b32_e32 v1, 0
	s_clause 0x1
	s_load_u16 s0, s[8:9], 0x12
	s_load_b32 s3, s[8:9], 0x0
	v_dual_mov_b32 v25, v16 :: v_dual_mov_b32 v24, v15
	s_mov_b32 s10, s15
	flat_load_b32 v6, v[6:7]
	s_mov_b32 s4, exec_lo
	s_wait_kmcnt 0x0
	s_cmp_lg_u32 s0, 0
	s_cselect_b32 s0, -1, 0
	s_delay_alu instid0(SALU_CYCLE_1) | instskip(SKIP_1) | instid1(SALU_CYCLE_1)
	s_cmp_lg_u32 s0, 0
	s_add_co_ci_u32 s14, s3, 0
	s_abs_i32 s0, s14
	s_wait_loadcnt_dscnt 0x0
	scratch_store_b64 off, v[6:7], s32 offset:200 ; 8-byte Folded Spill
	s_wait_xcnt 0x0
	v_sub_nc_u32_e32 v6, 0, v8
	global_load_u16 v0, v1, s[8:9] offset:22
	v_max_i32_e32 v6, v8, v6
	v_xor_b32_e32 v8, s14, v8
	s_delay_alu instid0(VALU_DEP_2) | instskip(NEXT) | instid1(VALU_DEP_2)
	v_cvt_f32_u32_e32 v7, v6
	v_ashrrev_i32_e32 v8, 31, v8
	s_delay_alu instid0(VALU_DEP_2) | instskip(SKIP_1) | instid1(TRANS32_DEP_1)
	v_rcp_iflag_f32_e32 v7, v7
	v_nop
	v_mul_f32_e32 v7, 0x4f7ffffe, v7
	v_sub_nc_u32_e32 v9, 0, v6
	s_delay_alu instid0(VALU_DEP_2) | instskip(NEXT) | instid1(VALU_DEP_1)
	v_cvt_u32_f32_e32 v7, v7
	v_mul_lo_u32 v9, v9, v7
	s_delay_alu instid0(VALU_DEP_1) | instskip(NEXT) | instid1(VALU_DEP_1)
	v_mul_hi_u32 v9, v7, v9
	v_add_nc_u32_e32 v7, v7, v9
	s_delay_alu instid0(VALU_DEP_1) | instskip(NEXT) | instid1(VALU_DEP_1)
	v_mul_hi_u32 v7, s0, v7
	v_mul_lo_u32 v9, v7, v6
	s_delay_alu instid0(VALU_DEP_1) | instskip(SKIP_1) | instid1(VALU_DEP_1)
	v_dual_add_nc_u32 v10, 1, v7 :: v_dual_sub_nc_u32 v9, s0, v9
	s_abs_i32 s0, s2
	v_sub_nc_u32_e32 v11, v9, v6
	v_cmp_ge_u32_e32 vcc_lo, v9, v6
	s_delay_alu instid0(VALU_DEP_2) | instskip(NEXT) | instid1(VALU_DEP_1)
	v_dual_cndmask_b32 v7, v7, v10, vcc_lo :: v_dual_cndmask_b32 v9, v9, v11, vcc_lo
	v_add_nc_u32_e32 v10, 1, v7
	s_delay_alu instid0(VALU_DEP_2) | instskip(NEXT) | instid1(VALU_DEP_2)
	v_cmp_ge_u32_e32 vcc_lo, v9, v6
	v_cndmask_b32_e32 v6, v7, v10, vcc_lo
	s_delay_alu instid0(VALU_DEP_1) | instskip(NEXT) | instid1(VALU_DEP_1)
	v_xor_b32_e32 v6, v6, v8
	v_sub_nc_u32_e32 v7, v6, v8
	s_delay_alu instid0(VALU_DEP_1) | instskip(NEXT) | instid1(VALU_DEP_1)
	v_sub_nc_u32_e32 v6, 0, v7
	v_max_i32_e32 v6, v7, v6
	s_delay_alu instid0(VALU_DEP_1) | instskip(SKIP_1) | instid1(VALU_DEP_2)
	v_cvt_f32_u32_e32 v8, v6
	v_sub_nc_u32_e32 v9, 0, v6
	v_rcp_iflag_f32_e32 v8, v8
	v_nop
	s_delay_alu instid0(TRANS32_DEP_1) | instskip(NEXT) | instid1(VALU_DEP_1)
	v_mul_f32_e32 v8, 0x4f7ffffe, v8
	v_cvt_u32_f32_e32 v8, v8
	s_delay_alu instid0(VALU_DEP_1) | instskip(NEXT) | instid1(VALU_DEP_1)
	v_mul_lo_u32 v9, v9, v8
	v_mul_hi_u32 v9, v8, v9
	s_wait_loadcnt 0x0
	v_readfirstlane_b32 s15, v0
	s_delay_alu instid0(VALU_DEP_2)
	v_dual_add_nc_u32 v0, v8, v9 :: v_dual_mov_b32 v8, v1
	scratch_store_b32 off, v8, s32 offset:836 ; 4-byte Folded Spill
	s_wait_xcnt 0x0
	v_cmpx_ne_u64_e32 0, v[24:25]
	s_cbranch_execz .LBB226_2
; %bb.1:
	s_ashr_i32 s3, s2, 31
	s_delay_alu instid0(SALU_CYCLE_1)
	v_lshl_add_u64 v[8:9], s[2:3], 2, v[24:25]
	flat_load_b32 v8, v[8:9]
	s_wait_loadcnt_dscnt 0x0
	scratch_store_b32 off, v8, s32 offset:836 ; 4-byte Folded Spill
.LBB226_2:
	s_wait_xcnt 0x0
	s_or_b32 exec_lo, exec_lo, s4
	v_mul_u64_e32 v[0:1], s[0:1], v[0:1]
	v_and_b32_e32 v15, 0x3ff, v31
	v_ashrrev_i32_e32 v0, 31, v7
	s_ashr_i32 s1, s2, 31
	s_mul_i32 s4, s2, 0x78
	s_mov_b32 s2, exec_lo
	v_cmpx_gt_u32_e32 30, v15
	s_cbranch_execz .LBB226_4
; %bb.3:
	v_mul_lo_u32 v8, v17, s13
	s_ashr_i32 s5, s4, 31
	v_dual_mov_b32 v13, 0 :: v_dual_lshlrev_b32 v12, 4, v15
	s_delay_alu instid0(VALU_DEP_2) | instskip(NEXT) | instid1(VALU_DEP_1)
	v_ashrrev_i32_e32 v9, 31, v8
	v_lshl_add_u64 v[2:3], v[8:9], 2, v[2:3]
	s_delay_alu instid0(VALU_DEP_1) | instskip(NEXT) | instid1(VALU_DEP_1)
	v_lshl_add_u64 v[2:3], s[4:5], 2, v[2:3]
	v_add_nc_u64_e32 v[2:3], v[2:3], v[12:13]
	flat_load_b128 v[8:11], v[2:3]
	s_wait_loadcnt_dscnt 0x0
	ds_store_b128 v12, v[8:11]
.LBB226_4:
	s_wait_xcnt 0x0
	s_or_b32 exec_lo, exec_lo, s2
	scratch_load_b64 v[8:9], off, s32 offset:200 ; 8-byte Folded Reload
	v_mul_lo_u32 v2, v1, v6
	s_load_b32 s5, s[8:9], 0x8
	s_get_pc_i64 s[6:7]
	s_add_nc_u64 s[6:7], s[6:7], llvm.amdgcn.dynlds.offset.table@rel64+4
	v_dual_mov_b32 v20, 0xff7fffff :: v_dual_add_nc_u32 v3, 1, v1
	s_delay_alu instid0(VALU_DEP_2) | instskip(NEXT) | instid1(VALU_DEP_1)
	v_sub_nc_u32_e32 v2, s0, v2
	v_cmp_ge_u32_e32 vcc_lo, v2, v6
	s_delay_alu instid0(VALU_DEP_3) | instskip(NEXT) | instid1(VALU_DEP_1)
	v_dual_sub_nc_u32 v7, v2, v6 :: v_dual_cndmask_b32 v1, v1, v3, vcc_lo
	v_dual_cndmask_b32 v2, v2, v7 :: v_dual_add_nc_u32 v3, 1, v1
	s_delay_alu instid0(VALU_DEP_1) | instskip(SKIP_1) | instid1(VALU_DEP_3)
	v_cmp_ge_u32_e32 vcc_lo, v2, v6
	v_mul_lo_u32 v6, v14, s13
	v_cndmask_b32_e32 v1, v1, v3, vcc_lo
	s_wait_loadcnt 0x0
	v_dual_lshrrev_b32 v3, 3, v15 :: v_dual_add_nc_u32 v7, 31, v8
	s_delay_alu instid0(VALU_DEP_1) | instskip(NEXT) | instid1(VALU_DEP_1)
	v_dual_ashrrev_i32 v2, 31, v7 :: v_dual_bitop2_b32 v0, s1, v0 bitop3:0x14
	v_dual_lshrrev_b32 v2, 27, v2 :: v_dual_bitop2_b32 v1, v1, v0 bitop3:0x14
	s_delay_alu instid0(VALU_DEP_1) | instskip(NEXT) | instid1(VALU_DEP_1)
	v_dual_sub_nc_u32 v0, v1, v0 :: v_dual_add_nc_u32 v1, v7, v2
	v_mul_lo_u32 v10, v0, v19
	v_dual_lshrrev_b32 v0, 5, v15 :: v_dual_bitop2_b32 v2, 31, v15 bitop3:0x40
	s_delay_alu instid0(VALU_DEP_3)
	v_dual_ashrrev_i32 v7, 31, v6 :: v_dual_ashrrev_i32 v1, 5, v1
	s_clause 0x1
	scratch_store_b32 off, v3, s32 offset:1372
	scratch_store_b64 off, v[6:7], s32 offset:1364
	v_cmp_ge_i32_e64 s0, v0, v1
	s_clause 0x1
	scratch_store_b32 off, v0, s32 offset:1348
	scratch_store_b32 off, v1, s32 offset:208
	v_cmp_lt_i32_e32 vcc_lo, v0, v1
	v_ashrrev_i32_e32 v11, 31, v10
	s_wait_xcnt 0x1
	v_lshlrev_b32_e32 v0, 2, v2
	s_clause 0x1
	scratch_store_b32 off, v2, s32 offset:1344
	scratch_store_b32 off, v0, s32 offset:1352
	s_wait_storecnt_dscnt 0x0
	s_barrier_signal -1
	s_barrier_wait -1
	s_wait_xcnt 0x0
	s_mov_b32 s2, exec_lo
	s_delay_alu instid0(SALU_CYCLE_1)
	s_and_b32 s1, s2, vcc_lo
	scratch_store_b32 off, v15, s32 offset:1340 ; 4-byte Folded Spill
	s_wait_xcnt 0x0
	s_mov_b32 exec_lo, s1
	s_cbranch_execz .LBB226_968
; %bb.5:
	v_add_nc_u64_e32 v[2:3], v[4:5], v[10:11]
	s_clause 0x2
	scratch_load_b32 v4, off, s32 offset:1344
	scratch_load_b32 v0, off, s32 offset:1372
	;; [unrolled: 1-line block ×3, first 2 shown]
	v_dual_mov_b32 v13, 0 :: v_dual_mov_b32 v20, 0xff7fffff
	s_ashr_i32 s11, s10, 31
	s_mov_b32 s3, 0
	s_lshl_b64 s[8:9], s[10:11], 2
	ds_load_b128 v[6:9], v13
	s_add_nc_u64 s[8:9], s[6:7], s[8:9]
	s_load_b32 s1, s[8:9], 0x0
	s_wait_dscnt 0x0
	scratch_store_b128 off, v[6:9], s32 offset:860 ; 16-byte Folded Spill
	s_wait_xcnt 0x0
	ds_load_b128 v[6:9], v13 offset:64
	s_wait_dscnt 0x0
	scratch_store_b128 off, v[6:9], s32 offset:924 ; 16-byte Folded Spill
	s_wait_xcnt 0x0
	ds_load_b128 v[6:9], v13 offset:80
	;; [unrolled: 4-line block ×4, first 2 shown]
	s_wait_dscnt 0x0
	s_clause 0x2
	scratch_store_b128 off, v[6:9], s32 offset:972
	scratch_load_b64 v[6:7], off, s32 offset:1356
	scratch_load_b32 v5, off, s32 offset:836
	s_wait_loadcnt 0x4
	v_lshlrev_b32_e32 v12, 4, v4
	s_wait_loadcnt 0x2
	v_lshl_or_b32 v90, v91, 5, v4
	scratch_load_b32 v4, off, s32 offset:1352 ; 4-byte Folded Reload
	v_add_nc_u64_e32 v[2:3], v[2:3], v[12:13]
	scratch_store_b64 off, v[10:11], s32 offset:1400 ; 8-byte Folded Spill
	v_and_b32_e32 v12, 0x7c, v0
	scratch_store_b64 off, v[2:3], s32 offset:852 ; 8-byte Folded Spill
	s_wait_xcnt 0x0
	ds_load_b128 v[0:3], v13 offset:16
	s_wait_dscnt 0x0
	scratch_store_b128 off, v[0:3], s32 offset:876 ; 16-byte Folded Spill
	s_wait_xcnt 0x0
	ds_load_b128 v[0:3], v13 offset:32
	s_wait_dscnt 0x0
	scratch_store_b128 off, v[0:3], s32 offset:892 ; 16-byte Folded Spill
	s_wait_xcnt 0x0
	ds_load_b128 v[0:3], v13 offset:48
	s_wait_dscnt 0x0
	s_clause 0x1
	scratch_store_b128 off, v[0:3], s32 offset:908
	scratch_load_b64 v[2:3], off, s32 offset:1364
	v_mov_b32_e32 v1, v13
	scratch_store_b64 off, v[0:1], s32 offset:192 ; 8-byte Folded Spill
	s_wait_loadcnt 0x2
	v_cmp_neq_f32_e32 vcc_lo, 0, v5
	s_wait_loadcnt 0x1
	v_lshl_or_b32 v4, v91, 7, v4
	s_wait_kmcnt 0x0
	s_delay_alu instid0(VALU_DEP_1) | instskip(SKIP_2) | instid1(VALU_DEP_1)
	v_add_nc_u32_e32 v76, s1, v4
	s_wait_loadcnt 0x0
	v_lshl_add_u64 v[2:3], v[2:3], 2, v[12:13]
	v_add_nc_u64_e32 v[2:3], v[6:7], v[2:3]
	ds_load_b128 v[4:7], v13 offset:128
	s_wait_dscnt 0x0
	scratch_store_b128 off, v[4:7], s32 offset:988 ; 16-byte Folded Spill
	s_wait_xcnt 0x0
	ds_load_b128 v[4:7], v13 offset:144
	s_wait_dscnt 0x0
	scratch_store_b128 off, v[4:7], s32 offset:1004 ; 16-byte Folded Spill
	s_wait_xcnt 0x0
	;; [unrolled: 4-line block ×21, first 2 shown]
	ds_load_b128 v[4:7], v13 offset:464
	s_wait_dscnt 0x0
	scratch_store_b128 off, v[4:7], s32 offset:1324 ; 16-byte Folded Spill
	s_branch .LBB226_10
.LBB226_6:                              ;   in Loop: Header=BB226_10 Depth=1
	s_or_b32 exec_lo, exec_lo, s16
	s_delay_alu instid0(VALU_DEP_1) | instskip(SKIP_2) | instid1(VALU_DEP_3)
	v_dual_lshlrev_b32 v8, 24, v21 :: v_dual_lshlrev_b32 v0, 20, v0
	v_lshl_add_u32 v9, v9, 23, 0x3c000000
	v_mov_b32_e32 v40, v1
	v_and_b32_e32 v8, 0x80000000, v8
	s_delay_alu instid0(VALU_DEP_1)
	v_or3_b32 v41, v0, v8, v9
	v_mov_b32_e32 v9, v1
	scratch_store_b64 off, v[8:9], s32 offset:192 ; 8-byte Folded Spill
.LBB226_7:                              ;   in Loop: Header=BB226_10 Depth=1
	s_wait_xcnt 0x0
	s_or_b32 exec_lo, exec_lo, s11
.LBB226_8:                              ;   in Loop: Header=BB226_10 Depth=1
	s_delay_alu instid0(SALU_CYCLE_1)
	s_or_b32 exec_lo, exec_lo, s9
	s_wait_loadcnt 0x2
	scratch_load_b32 v90, off, s32 offset:460 ; 4-byte Folded Reload
	s_wait_loadcnt 0x2
	scratch_load_b32 v91, off, s32 offset:464 ; 4-byte Folded Reload
	;; [unrolled: 2-line block ×3, first 2 shown]
.LBB226_9:                              ;   in Loop: Header=BB226_10 Depth=1
	s_wait_xcnt 0x0
	s_or_b32 exec_lo, exec_lo, s8
	v_or_b32_e32 v1, v11, v23
	v_or_b32_e32 v0, v10, v22
	;; [unrolled: 1-line block ×3, first 2 shown]
	s_wait_loadcnt 0x1
	v_dual_add_nc_u32 v91, 4, v91 :: v_dual_bitop2_b32 v32, v32, v2 bitop3:0x54
	scratch_store_b64 off, v[0:1], s32 offset:756 ; 8-byte Folded Spill
	s_wait_xcnt 0x0
	v_or_b32_e32 v1, v111, v127
	v_or_b32_e32 v0, v110, v126
	scratch_store_b64 off, v[0:1], s32 offset:740 ; 8-byte Folded Spill
	s_wait_xcnt 0x0
	v_or_b32_e32 v1, v75, v7
	v_or_b32_e32 v0, v74, v6
	;; [unrolled: 4-line block ×6, first 2 shown]
	v_or_b32_e32 v63, v119, v61
	v_or_b32_e32 v62, v118, v60
	v_or_b32_e32 v119, v87, v117
	v_or_b32_e32 v118, v86, v116
	scratch_store_b64 off, v[0:1], s32 offset:804 ; 8-byte Folded Spill
	s_wait_xcnt 0x0
	v_or_b32_e32 v1, v93, v79
	v_or_b32_e32 v0, v92, v78
	v_or_b32_e32 v87, v55, v85
	v_or_b32_e32 v86, v54, v84
	v_or_b32_e32 v55, v29, v53
	v_or_b32_e32 v54, v28, v52
	scratch_store_b64 off, v[0:1], s32 offset:780 ; 8-byte Folded Spill
	s_wait_xcnt 0x0
	v_or_b32_e32 v1, v47, v15
	v_or_b32_e32 v0, v46, v14
	;; [unrolled: 8-line block ×5, first 2 shown]
	v_or_b32_e32 v99, v51, v81
	v_or_b32_e32 v98, v50, v80
	;; [unrolled: 1-line block ×4, first 2 shown]
	s_clause 0x2
	scratch_store_b64 off, v[0:1], s32 offset:828
	scratch_load_b64 v[0:1], off, s32 offset:452 th:TH_LOAD_LU
	scratch_load_b64 v[6:7], off, s32 offset:704 th:TH_LOAD_LU
	v_or_b32_e32 v115, v67, v97
	v_or_b32_e32 v114, v66, v96
	;; [unrolled: 1-line block ×6, first 2 shown]
	s_wait_loadcnt 0x0
	v_or_b32_e32 v35, v1, v7
	v_or_b32_e32 v34, v0, v6
	scratch_load_b64 v[0:1], off, s32 offset:712 th:TH_LOAD_LU ; 8-byte Folded Reload
	s_wait_loadcnt 0x0
	v_or_b32_e32 v123, v31, v1
	v_or_b32_e32 v122, v30, v0
	s_clause 0x1
	scratch_load_b64 v[0:1], off, s32 offset:436 th:TH_LOAD_LU
	scratch_load_b64 v[6:7], off, s32 offset:688 th:TH_LOAD_LU
	s_wait_loadcnt 0x0
	v_or_b32_e32 v27, v1, v7
	v_or_b32_e32 v26, v0, v6
	s_clause 0x1
	scratch_load_b64 v[0:1], off, s32 offset:444 th:TH_LOAD_LU
	scratch_load_b64 v[6:7], off, s32 offset:696 th:TH_LOAD_LU
	s_wait_loadcnt 0x0
	v_or_b32_e32 v39, v1, v7
	v_or_b32_e32 v38, v0, v6
	s_clause 0x1
	scratch_load_b64 v[0:1], off, s32 offset:420 th:TH_LOAD_LU
	scratch_load_b64 v[6:7], off, s32 offset:672 th:TH_LOAD_LU
	s_wait_loadcnt 0x0
	v_or_b32_e32 v37, v1, v7
	v_or_b32_e32 v36, v0, v6
	s_clause 0x1
	scratch_load_b64 v[0:1], off, s32 offset:428 th:TH_LOAD_LU
	scratch_load_b64 v[6:7], off, s32 offset:680 th:TH_LOAD_LU
	s_wait_loadcnt 0x0
	v_or_b32_e32 v75, v1, v7
	v_or_b32_e32 v74, v0, v6
	s_clause 0x1
	scratch_load_b64 v[0:1], off, s32 offset:404 th:TH_LOAD_LU
	scratch_load_b64 v[6:7], off, s32 offset:656 th:TH_LOAD_LU
	s_wait_loadcnt 0x0
	v_or_b32_e32 v53, v1, v7
	v_or_b32_e32 v52, v0, v6
	s_clause 0x1
	scratch_load_b64 v[0:1], off, s32 offset:412 th:TH_LOAD_LU
	scratch_load_b64 v[6:7], off, s32 offset:664 th:TH_LOAD_LU
	s_wait_loadcnt 0x0
	v_or_b32_e32 v31, v1, v7
	v_or_b32_e32 v30, v0, v6
	s_clause 0x1
	scratch_load_b64 v[0:1], off, s32 offset:388 th:TH_LOAD_LU
	scratch_load_b64 v[6:7], off, s32 offset:640 th:TH_LOAD_LU
	s_wait_loadcnt 0x0
	v_or_b32_e32 v69, v1, v7
	v_or_b32_e32 v68, v0, v6
	s_clause 0x1
	scratch_load_b64 v[0:1], off, s32 offset:396 th:TH_LOAD_LU
	scratch_load_b64 v[6:7], off, s32 offset:648 th:TH_LOAD_LU
	s_wait_loadcnt 0x0
	v_or_b32_e32 v49, v1, v7
	v_or_b32_e32 v48, v0, v6
	s_clause 0x1
	scratch_load_b64 v[0:1], off, s32 offset:372 th:TH_LOAD_LU
	scratch_load_b64 v[6:7], off, s32 offset:624 th:TH_LOAD_LU
	s_wait_loadcnt 0x0
	v_or_b32_e32 v85, v1, v7
	v_or_b32_e32 v84, v0, v6
	s_clause 0x1
	scratch_load_b64 v[0:1], off, s32 offset:380 th:TH_LOAD_LU
	scratch_load_b64 v[6:7], off, s32 offset:632 th:TH_LOAD_LU
	s_wait_loadcnt 0x0
	v_or_b32_e32 v65, v1, v7
	v_or_b32_e32 v64, v0, v6
	s_clause 0x1
	scratch_load_b64 v[0:1], off, s32 offset:356 th:TH_LOAD_LU
	scratch_load_b64 v[6:7], off, s32 offset:608 th:TH_LOAD_LU
	s_wait_loadcnt 0x0
	v_or_b32_e32 v101, v1, v7
	v_or_b32_e32 v100, v0, v6
	s_clause 0x1
	scratch_load_b64 v[0:1], off, s32 offset:364 th:TH_LOAD_LU
	scratch_load_b64 v[6:7], off, s32 offset:616 th:TH_LOAD_LU
	s_wait_loadcnt 0x0
	v_or_b32_e32 v81, v1, v7
	v_or_b32_e32 v80, v0, v6
	s_clause 0x1
	scratch_load_b64 v[0:1], off, s32 offset:340 th:TH_LOAD_LU
	scratch_load_b64 v[6:7], off, s32 offset:592 th:TH_LOAD_LU
	s_wait_loadcnt 0x0
	v_or_b32_e32 v117, v1, v7
	v_or_b32_e32 v116, v0, v6
	s_clause 0x1
	scratch_load_b64 v[0:1], off, s32 offset:348 th:TH_LOAD_LU
	scratch_load_b64 v[6:7], off, s32 offset:600 th:TH_LOAD_LU
	s_wait_loadcnt 0x0
	v_or_b32_e32 v97, v1, v7
	v_or_b32_e32 v96, v0, v6
	s_clause 0x1
	scratch_load_b64 v[0:1], off, s32 offset:324 th:TH_LOAD_LU
	scratch_load_b64 v[6:7], off, s32 offset:576 th:TH_LOAD_LU
	s_wait_loadcnt 0x0
	v_or_b32_e32 v25, v1, v7
	v_or_b32_e32 v24, v0, v6
	s_clause 0x1
	scratch_load_b64 v[0:1], off, s32 offset:332 th:TH_LOAD_LU
	scratch_load_b64 v[6:7], off, s32 offset:584 th:TH_LOAD_LU
	s_wait_loadcnt 0x0
	v_or_b32_e32 v113, v1, v7
	v_or_b32_e32 v112, v0, v6
	s_clause 0x1
	scratch_load_b64 v[0:1], off, s32 offset:308 th:TH_LOAD_LU
	scratch_load_b64 v[6:7], off, s32 offset:560 th:TH_LOAD_LU
	s_wait_loadcnt 0x0
	v_or_b32_e32 v45, v1, v7
	v_or_b32_e32 v44, v0, v6
	s_clause 0x1
	scratch_load_b64 v[0:1], off, s32 offset:316 th:TH_LOAD_LU
	scratch_load_b64 v[6:7], off, s32 offset:568 th:TH_LOAD_LU
	v_pk_mul_f32 v[44:45], v[16:17], v[44:45] op_sel_hi:[0,1]
	s_wait_loadcnt 0x0
	v_or_b32_e32 v57, v1, v7
	v_or_b32_e32 v56, v0, v6
	s_clause 0x1
	scratch_load_b64 v[0:1], off, s32 offset:292 th:TH_LOAD_LU
	scratch_load_b64 v[6:7], off, s32 offset:544 th:TH_LOAD_LU
	s_wait_loadcnt 0x0
	v_or_b32_e32 v61, v1, v7
	v_or_b32_e32 v60, v0, v6
	s_clause 0x1
	scratch_load_b64 v[0:1], off, s32 offset:300 th:TH_LOAD_LU
	scratch_load_b64 v[6:7], off, s32 offset:552 th:TH_LOAD_LU
	v_pk_mul_f32 v[60:61], v[16:17], v[60:61] op_sel_hi:[0,1]
	s_wait_loadcnt 0x0
	v_or_b32_e32 v73, v1, v7
	v_or_b32_e32 v72, v0, v6
	s_clause 0x1
	scratch_load_b64 v[0:1], off, s32 offset:276 th:TH_LOAD_LU
	scratch_load_b64 v[6:7], off, s32 offset:528 th:TH_LOAD_LU
	s_wait_loadcnt 0x0
	v_or_b32_e32 v79, v1, v7
	v_or_b32_e32 v78, v0, v6
	s_clause 0x1
	scratch_load_b64 v[0:1], off, s32 offset:284 th:TH_LOAD_LU
	scratch_load_b64 v[6:7], off, s32 offset:536 th:TH_LOAD_LU
	v_pk_mul_f32 v[78:79], v[16:17], v[78:79] op_sel_hi:[0,1]
	s_wait_loadcnt 0x0
	v_or_b32_e32 v89, v1, v7
	v_or_b32_e32 v88, v0, v6
	s_clause 0x1
	scratch_load_b64 v[0:1], off, s32 offset:260 th:TH_LOAD_LU
	scratch_load_b64 v[6:7], off, s32 offset:512 th:TH_LOAD_LU
	s_wait_loadcnt 0x0
	v_or_b32_e32 v93, v1, v7
	v_or_b32_e32 v92, v0, v6
	s_clause 0x1
	scratch_load_b64 v[0:1], off, s32 offset:268 th:TH_LOAD_LU
	scratch_load_b64 v[6:7], off, s32 offset:520 th:TH_LOAD_LU
	v_pk_mul_f32 v[92:93], v[16:17], v[92:93] op_sel_hi:[0,1]
	s_wait_loadcnt 0x0
	v_or_b32_e32 v95, v1, v7
	v_or_b32_e32 v94, v0, v6
	s_clause 0x1
	scratch_load_b64 v[0:1], off, s32 offset:244 th:TH_LOAD_LU
	scratch_load_b64 v[6:7], off, s32 offset:496 th:TH_LOAD_LU
	s_wait_loadcnt 0x0
	v_or_b32_e32 v105, v1, v7
	v_or_b32_e32 v104, v0, v6
	s_clause 0x1
	scratch_load_b64 v[0:1], off, s32 offset:252 th:TH_LOAD_LU
	scratch_load_b64 v[6:7], off, s32 offset:504 th:TH_LOAD_LU
	v_pk_mul_f32 v[104:105], v[16:17], v[104:105] op_sel_hi:[0,1]
	s_wait_loadcnt 0x0
	v_or_b32_e32 v107, v1, v7
	v_or_b32_e32 v106, v0, v6
	s_clause 0x1
	scratch_load_b64 v[0:1], off, s32 offset:228 th:TH_LOAD_LU
	scratch_load_b64 v[6:7], off, s32 offset:480 th:TH_LOAD_LU
	s_wait_loadcnt 0x0
	v_or_b32_e32 v109, v1, v7
	v_or_b32_e32 v108, v0, v6
	s_clause 0x1
	scratch_load_b64 v[0:1], off, s32 offset:236 th:TH_LOAD_LU
	scratch_load_b64 v[6:7], off, s32 offset:488 th:TH_LOAD_LU
	v_pk_mul_f32 v[40:41], v[16:17], v[108:109] op_sel_hi:[0,1]
	s_wait_loadcnt 0x0
	v_or_b32_e32 v125, v1, v7
	v_or_b32_e32 v124, v0, v6
	scratch_load_b64 v[0:1], off, s32 offset:212 th:TH_LOAD_LU ; 8-byte Folded Reload
	s_wait_loadcnt 0x0
	v_or_b32_e32 v127, v19, v1
	v_or_b32_e32 v126, v18, v0
	s_clause 0x4
	scratch_load_b64 v[0:1], off, s32 offset:220 th:TH_LOAD_LU
	scratch_load_b64 v[6:7], off, s32 offset:472 th:TH_LOAD_LU
	scratch_load_b128 v[20:23], off, s32 offset:876
	scratch_load_b128 v[8:11], off, s32 offset:924
	;; [unrolled: 1-line block ×3, first 2 shown]
	v_pk_mul_f32 v[108:109], v[16:17], v[126:127] op_sel_hi:[0,1]
	s_wait_loadcnt 0x3
	v_or_b32_e32 v121, v1, v7
	v_or_b32_e32 v120, v0, v6
	scratch_load_b128 v[0:3], off, s32 offset:860 ; 16-byte Folded Reload
	s_wait_loadcnt 0x3
	v_pk_mul_f32 v[40:41], v[20:21], v[40:41]
	scratch_load_b128 v[4:7], off, s32 offset:908 ; 16-byte Folded Reload
	s_wait_loadcnt 0x1
	v_pk_fma_f32 v[40:41], v[0:1], v[108:109], v[40:41]
	scratch_load_b128 v[108:111], off, s32 offset:892 ; 16-byte Folded Reload
	s_wait_loadcnt 0x0
	v_pk_fma_f32 v[40:41], v[108:109], v[104:105], v[40:41]
	s_delay_alu instid0(VALU_DEP_1) | instskip(NEXT) | instid1(VALU_DEP_1)
	v_pk_fma_f32 v[40:41], v[4:5], v[92:93], v[40:41]
	v_pk_fma_f32 v[40:41], v[8:9], v[78:79], v[40:41]
	s_delay_alu instid0(VALU_DEP_1)
	v_pk_fma_f32 v[40:41], v[12:13], v[60:61], v[40:41]
	v_mov_b32_e32 v60, v16
	scratch_load_b128 v[16:19], off, s32 offset:956 ; 16-byte Folded Reload
	v_pk_mul_f32 v[0:1], v[60:61], v[120:121] op_sel_hi:[0,1]
	v_pk_mul_f32 v[8:9], v[60:61], v[24:25] op_sel_hi:[0,1]
	;; [unrolled: 1-line block ×10, first 2 shown]
	s_wait_loadcnt 0x0
	v_pk_fma_f32 v[40:41], v[16:17], v[44:45], v[40:41]
	v_pk_mul_f32 v[44:45], v[60:61], v[124:125] op_sel_hi:[0,1]
	scratch_load_b128 v[124:127], off, s32 offset:1084 ; 16-byte Folded Reload
	v_pk_mul_f32 v[44:45], v[22:23], v[44:45]
	s_delay_alu instid0(VALU_DEP_1)
	v_pk_fma_f32 v[20:21], v[2:3], v[0:1], v[44:45]
	v_pk_mul_f32 v[44:45], v[60:61], v[106:107] op_sel_hi:[0,1]
	s_clause 0x1
	scratch_load_b128 v[0:3], off, s32 offset:972
	scratch_load_b128 v[104:107], off, s32 offset:1052
	v_pk_fma_f32 v[20:21], v[110:111], v[44:45], v[20:21]
	v_pk_mul_f32 v[44:45], v[60:61], v[94:95] op_sel_hi:[0,1]
	s_clause 0x1
	scratch_load_b128 v[92:95], off, s32 offset:1036
	scratch_load_b128 v[108:111], off, s32 offset:1068
	v_pk_fma_f32 v[20:21], v[6:7], v[44:45], v[20:21]
	v_pk_mul_f32 v[44:45], v[60:61], v[88:89] op_sel_hi:[0,1]
	scratch_load_b128 v[4:7], off, s32 offset:988 ; 16-byte Folded Reload
	v_pk_fma_f32 v[20:21], v[10:11], v[44:45], v[20:21]
	v_pk_mul_f32 v[44:45], v[60:61], v[72:73] op_sel_hi:[0,1]
	scratch_load_b128 v[10:13], off, s32 offset:1004 ; 16-byte Folded Reload
	v_pk_fma_f32 v[20:21], v[14:15], v[44:45], v[20:21]
	scratch_load_b128 v[14:17], off, s32 offset:1020 ; 16-byte Folded Reload
	v_pk_mul_f32 v[44:45], v[60:61], v[56:57] op_sel_hi:[0,1]
	s_delay_alu instid0(VALU_DEP_1) | instskip(SKIP_4) | instid1(VALU_DEP_1)
	v_pk_fma_f32 v[20:21], v[18:19], v[44:45], v[20:21]
	v_pk_mul_f32 v[18:19], v[60:61], v[74:75] op_sel_hi:[0,1]
	s_wait_loadcnt 0x6
	v_pk_fma_f32 v[8:9], v[0:1], v[8:9], v[40:41]
	s_wait_loadcnt 0x2
	v_pk_fma_f32 v[8:9], v[4:5], v[116:117], v[8:9]
	v_pk_mul_f32 v[4:5], v[60:61], v[28:29] op_sel_hi:[0,1]
	s_wait_loadcnt 0x1
	s_delay_alu instid0(VALU_DEP_2) | instskip(SKIP_1) | instid1(VALU_DEP_1)
	v_pk_fma_f32 v[8:9], v[10:11], v[100:101], v[8:9]
	s_wait_loadcnt 0x0
	v_pk_fma_f32 v[8:9], v[14:15], v[84:85], v[8:9]
	v_pk_mul_f32 v[14:15], v[60:61], v[38:39] op_sel_hi:[0,1]
	s_delay_alu instid0(VALU_DEP_2) | instskip(NEXT) | instid1(VALU_DEP_1)
	v_pk_fma_f32 v[8:9], v[92:93], v[68:69], v[8:9]
	v_pk_fma_f32 v[8:9], v[104:105], v[52:53], v[8:9]
	s_delay_alu instid0(VALU_DEP_1) | instskip(SKIP_3) | instid1(VALU_DEP_1)
	v_pk_fma_f32 v[8:9], v[108:109], v[36:37], v[8:9]
	scratch_load_b128 v[34:37], off, s32 offset:1100 ; 16-byte Folded Reload
	v_pk_fma_f32 v[8:9], v[124:125], v[26:27], v[8:9]
	s_wait_loadcnt 0x0
	v_pk_fma_f32 v[8:9], v[34:35], v[24:25], v[8:9]
	v_pk_mul_f32 v[24:25], v[60:61], v[50:51] op_sel_hi:[0,1]
	scratch_load_b128 v[50:53], off, s32 offset:1116 ; 16-byte Folded Reload
	s_wait_loadcnt 0x0
	v_pk_fma_f32 v[8:9], v[50:51], v[24:25], v[8:9]
	v_pk_mul_f32 v[24:25], v[60:61], v[54:55] op_sel_hi:[0,1]
	scratch_load_b128 v[54:57], off, s32 offset:1132 ; 16-byte Folded Reload
	s_wait_loadcnt 0x0
	v_pk_fma_f32 v[8:9], v[54:55], v[24:25], v[8:9]
	v_pk_mul_f32 v[24:25], v[60:61], v[112:113] op_sel_hi:[0,1]
	s_delay_alu instid0(VALU_DEP_1) | instskip(SKIP_2) | instid1(VALU_DEP_1)
	v_pk_fma_f32 v[20:21], v[2:3], v[24:25], v[20:21]
	scratch_load_b128 v[0:3], off, s32 offset:1148 ; 16-byte Folded Reload
	v_pk_mul_f32 v[24:25], v[60:61], v[96:97] op_sel_hi:[0,1]
	v_pk_fma_f32 v[20:21], v[6:7], v[24:25], v[20:21]
	v_pk_mul_f32 v[24:25], v[60:61], v[80:81] op_sel_hi:[0,1]
	v_pk_mul_f32 v[6:7], v[60:61], v[122:123] op_sel_hi:[0,1]
	s_delay_alu instid0(VALU_DEP_2)
	v_pk_fma_f32 v[20:21], v[12:13], v[24:25], v[20:21]
	v_pk_mul_f32 v[24:25], v[60:61], v[64:65] op_sel_hi:[0,1]
	v_pk_mul_f32 v[12:13], v[60:61], v[66:67] op_sel_hi:[0,1]
	scratch_load_b128 v[64:67], off, s32 offset:1260 ; 16-byte Folded Reload
	v_pk_fma_f32 v[20:21], v[16:17], v[24:25], v[20:21]
	v_pk_mul_f32 v[24:25], v[60:61], v[48:49] op_sel_hi:[0,1]
	scratch_load_b128 v[48:51], off, s32 offset:1228 ; 16-byte Folded Reload
	v_pk_fma_f32 v[20:21], v[94:95], v[24:25], v[20:21]
	v_pk_mul_f32 v[24:25], v[60:61], v[30:31] op_sel_hi:[0,1]
	s_delay_alu instid0(VALU_DEP_1) | instskip(SKIP_2) | instid1(VALU_DEP_1)
	v_pk_fma_f32 v[20:21], v[106:107], v[24:25], v[20:21]
	scratch_load_b128 v[22:25], off, s32 offset:1196 ; 16-byte Folded Reload
	v_pk_fma_f32 v[18:19], v[110:111], v[18:19], v[20:21]
	v_pk_fma_f32 v[14:15], v[126:127], v[14:15], v[18:19]
	scratch_load_b128 v[18:21], off, s32 offset:1180 ; 16-byte Folded Reload
	v_pk_fma_f32 v[6:7], v[36:37], v[6:7], v[14:15]
	s_clause 0x1
	scratch_load_b128 v[14:17], off, s32 offset:1164
	scratch_load_b128 v[34:37], off, s32 offset:1212
	v_pk_fma_f32 v[6:7], v[52:53], v[12:13], v[6:7]
	v_pk_mul_f32 v[12:13], v[60:61], v[70:71] op_sel_hi:[0,1]
	s_clause 0x1
	scratch_load_b128 v[52:55], off, s32 offset:1244
	scratch_load_b128 v[68:71], off, s32 offset:1276
	v_pk_fma_f32 v[6:7], v[56:57], v[12:13], v[6:7]
	v_pk_mul_f32 v[12:13], v[60:61], v[82:83] op_sel_hi:[0,1]
	scratch_load_b128 v[80:83], off, s32 offset:1292 ; 16-byte Folded Reload
	s_wait_loadcnt 0x9
	v_pk_fma_f32 v[8:9], v[0:1], v[12:13], v[8:9]
	scratch_load_b64 v[0:1], off, s32 offset:820 th:TH_LOAD_LU ; 8-byte Folded Reload
	v_pk_mul_f32 v[12:13], v[60:61], v[86:87] op_sel_hi:[0,1]
	scratch_load_b128 v[84:87], off, s32 offset:1308 ; 16-byte Folded Reload
	s_wait_loadcnt 0x6
	v_pk_fma_f32 v[8:9], v[14:15], v[12:13], v[8:9]
	v_pk_mul_f32 v[12:13], v[60:61], v[102:103] op_sel_hi:[0,1]
	s_delay_alu instid0(VALU_DEP_1) | instskip(SKIP_1) | instid1(VALU_DEP_1)
	v_pk_fma_f32 v[8:9], v[18:19], v[12:13], v[8:9]
	v_pk_mul_f32 v[12:13], v[60:61], v[118:119] op_sel_hi:[0,1]
	v_pk_fma_f32 v[8:9], v[22:23], v[12:13], v[8:9]
	v_pk_mul_f32 v[12:13], v[60:61], v[46:47] op_sel_hi:[0,1]
	s_wait_loadcnt 0x5
	s_delay_alu instid0(VALU_DEP_1) | instskip(SKIP_1) | instid1(VALU_DEP_1)
	v_pk_fma_f32 v[8:9], v[34:35], v[12:13], v[8:9]
	v_pk_mul_f32 v[12:13], v[60:61], v[62:63] op_sel_hi:[0,1]
	v_pk_fma_f32 v[8:9], v[48:49], v[12:13], v[8:9]
	s_wait_loadcnt 0x1
	v_pk_mul_f32 v[12:13], v[60:61], v[0:1] op_sel_hi:[0,1]
	scratch_load_b64 v[0:1], off, s32 offset:804 th:TH_LOAD_LU ; 8-byte Folded Reload
	v_pk_fma_f32 v[8:9], v[52:53], v[12:13], v[8:9]
	s_wait_loadcnt 0x0
	v_pk_mul_f32 v[12:13], v[60:61], v[0:1] op_sel_hi:[0,1]
	scratch_load_b64 v[0:1], off, s32 offset:788 th:TH_LOAD_LU ; 8-byte Folded Reload
	;; [unrolled: 4-line block ×5, first 2 shown]
	v_pk_fma_f32 v[8:9], v[84:85], v[12:13], v[8:9]
	v_pk_mul_f32 v[12:13], v[60:61], v[98:99] op_sel_hi:[0,1]
	s_delay_alu instid0(VALU_DEP_1) | instskip(SKIP_1) | instid1(VALU_DEP_1)
	v_pk_fma_f32 v[6:7], v[2:3], v[12:13], v[6:7]
	v_pk_mul_f32 v[12:13], v[60:61], v[114:115] op_sel_hi:[0,1]
	v_pk_fma_f32 v[6:7], v[16:17], v[12:13], v[6:7]
	v_pk_mul_f32 v[12:13], v[60:61], v[42:43] op_sel_hi:[0,1]
	scratch_load_b128 v[14:17], off, s32 offset:1324 ; 16-byte Folded Reload
	v_pk_fma_f32 v[6:7], v[20:21], v[12:13], v[6:7]
	v_pk_mul_f32 v[12:13], v[60:61], v[58:59] op_sel_hi:[0,1]
	scratch_load_b32 v20, off, s32 offset:728 th:TH_LOAD_LU ; 4-byte Folded Reload
	v_pk_fma_f32 v[6:7], v[24:25], v[12:13], v[6:7]
	s_wait_loadcnt 0x2
	v_pk_mul_f32 v[12:13], v[60:61], v[0:1] op_sel_hi:[0,1]
	scratch_load_b64 v[0:1], off, s32 offset:812 th:TH_LOAD_LU ; 8-byte Folded Reload
	v_pk_fma_f32 v[6:7], v[36:37], v[12:13], v[6:7]
	s_wait_loadcnt 0x0
	v_pk_mul_f32 v[12:13], v[60:61], v[0:1] op_sel_hi:[0,1]
	scratch_load_b64 v[0:1], off, s32 offset:796 th:TH_LOAD_LU ; 8-byte Folded Reload
	;; [unrolled: 4-line block ×6, first 2 shown]
	v_pk_fma_f32 v[6:7], v[82:83], v[12:13], v[6:7]
	v_pk_mul_f32 v[12:13], v[60:61], v[32:33] op_sel_hi:[0,1]
	s_wait_loadcnt 0x0
	v_pk_mul_f32 v[2:3], v[60:61], v[0:1] op_sel_hi:[0,1]
	s_delay_alu instid0(VALU_DEP_1) | instskip(NEXT) | instid1(VALU_DEP_3)
	v_pk_fma_f32 v[2:3], v[86:87], v[2:3], v[6:7]
	v_pk_fma_f32 v[6:7], v[14:15], v[12:13], v[8:9]
	s_delay_alu instid0(VALU_DEP_2) | instskip(NEXT) | instid1(VALU_DEP_2)
	v_pk_fma_f32 v[2:3], v[16:17], v[4:5], v[2:3]
	v_add_f32_e32 v0, v6, v7
	s_delay_alu instid0(VALU_DEP_1) | instskip(NEXT) | instid1(VALU_DEP_1)
	v_add_f32_e32 v0, v2, v0
	v_add_f32_e32 v0, v3, v0
	scratch_load_b64 v[2:3], off, s32 offset:200 ; 8-byte Folded Reload
	s_wait_loadcnt 0x0
	scratch_load_b32 v3, off, s32 offset:836 ; 4-byte Folded Reload
	v_mov_b32_e32 v4, v2
	s_delay_alu instid0(VALU_DEP_1) | instskip(SKIP_1) | instid1(VALU_DEP_2)
	v_sub_nc_u32_e32 v2, 1, v4
	v_cmp_lt_i32_e64 s1, v90, v4
	v_add_nc_u32_e32 v2, v2, v90
	v_add_nc_u32_e32 v90, 0x80, v90
	s_delay_alu instid0(VALU_DEP_2) | instskip(SKIP_1) | instid1(VALU_DEP_1)
	v_cvt_f32_i32_e32 v2, v2
	s_wait_loadcnt 0x0
	v_mul_f32_e32 v2, v3, v2
	scratch_load_b32 v3, off, s32 offset:848 ; 4-byte Folded Reload
	v_cndmask_b32_e32 v2, 0, v2, vcc_lo
	s_wait_loadcnt 0x0
	s_delay_alu instid0(VALU_DEP_1) | instskip(SKIP_1) | instid1(VALU_DEP_1)
	v_fmac_f32_e32 v2, v3, v0
	v_max_num_f32_e32 v0, v20, v20
	v_dual_max_num_f32 v0, v0, v2 :: v_dual_cndmask_b32 v2, 0, v2, s1
	s_delay_alu instid0(VALU_DEP_1)
	v_cndmask_b32_e64 v20, v20, v0, s1
	ds_store_b32 v76, v2
	s_clause 0x1
	scratch_load_b32 v0, off, s32 offset:208
	scratch_load_b64 v[2:3], off, s32 offset:732 th:TH_LOAD_LU
	v_add_nc_u32_e32 v76, 0x200, v76
	s_wait_loadcnt 0x1
	v_cmp_ge_i32_e64 s1, v91, v0
	s_wait_loadcnt 0x0
	v_add_nc_u64_e32 v[2:3], 16, v[2:3]
	s_or_b32 s3, s1, s3
	s_wait_xcnt 0x0
	s_and_not1_b32 exec_lo, exec_lo, s3
	s_cbranch_execz .LBB226_967
.LBB226_10:                             ; =>This Inner Loop Header: Depth=1
	s_clause 0x3
	scratch_store_b32 off, v76, s32 offset:468
	scratch_store_b32 off, v91, s32 offset:464
	scratch_store_b32 off, v90, s32 offset:460
	scratch_store_b64 off, v[2:3], s32 offset:732
	flat_load_b32 v0, v[2:3]
	s_clause 0x1
	scratch_load_b64 v[2:3], off, s32 offset:720
	scratch_load_b64 v[4:5], off, s32 offset:852
	v_mov_b64_e32 v[18:19], 0
	s_mov_b32 s8, exec_lo
	s_wait_loadcnt_dscnt 0x0
	v_mad_nc_i64_i32 v[32:33], v0, v2, v[4:5]
	flat_load_b32 v2, v[32:33]
	scratch_load_b64 v[4:5], off, s32 offset:840 ; 8-byte Folded Reload
	s_wait_loadcnt_dscnt 0x100
	v_and_b32_e32 v0, 0xff, v2
	s_wait_loadcnt 0x0
	flat_load_b32 v16, v[4:5]
	s_wait_xcnt 0x0
	v_mov_b64_e32 v[4:5], 0
	scratch_store_b64 off, v[4:5], s32 offset:212 ; 8-byte Folded Spill
	s_wait_xcnt 0x0
	v_cmpx_ne_u16_e32 0, v0
	s_cbranch_execz .LBB226_18
; %bb.11:                               ;   in Loop: Header=BB226_10 Depth=1
	v_cmp_ne_u16_e64 s1, 0x80, v0
	v_mov_b64_e32 v[0:1], 0x80000000
	scratch_store_b64 off, v[0:1], s32 offset:212 ; 8-byte Folded Spill
	s_wait_xcnt 0x0
	s_and_saveexec_b32 s9, s1
	s_cbranch_execz .LBB226_17
; %bb.12:                               ;   in Loop: Header=BB226_10 Depth=1
	v_mov_b64_e32 v[0:1], 0x7f800001
	v_and_b32_e32 v4, 0x7f, v2
	s_mov_b32 s11, exec_lo
	scratch_store_b64 off, v[0:1], s32 offset:212 ; 8-byte Folded Spill
	s_wait_xcnt 0x0
	v_cmpx_ne_u32_e32 0x7f, v4
	s_cbranch_execz .LBB226_16
; %bb.13:                               ;   in Loop: Header=BB226_10 Depth=1
	scratch_load_b64 v[0:1], off, s32 offset:192 th:TH_LOAD_LU ; 8-byte Folded Reload
	s_wait_loadcnt 0x0
	v_dual_lshrrev_b32 v3, 3, v4 :: v_dual_bitop2_b32 v0, 7, v2 bitop3:0x40
	s_mov_b32 s16, exec_lo
	s_wait_xcnt 0x0
	v_cmpx_gt_u32_e32 8, v4
; %bb.14:                               ;   in Loop: Header=BB226_10 Depth=1
	s_delay_alu instid0(VALU_DEP_2) | instskip(NEXT) | instid1(VALU_DEP_1)
	v_clz_i32_u32_e32 v3, v0
	v_min_u32_e32 v3, 32, v3
	s_delay_alu instid0(VALU_DEP_1) | instskip(NEXT) | instid1(VALU_DEP_1)
	v_subrev_nc_u32_e32 v4, 28, v3
	v_lshlrev_b64_e32 v[4:5], v4, v[0:1]
	s_delay_alu instid0(VALU_DEP_1)
	v_dual_sub_nc_u32 v3, 29, v3 :: v_dual_bitop2_b32 v0, 7, v4 bitop3:0x40
; %bb.15:                               ;   in Loop: Header=BB226_10 Depth=1
	s_or_b32 exec_lo, exec_lo, s16
	s_delay_alu instid0(VALU_DEP_1) | instskip(NEXT) | instid1(VALU_DEP_2)
	v_dual_lshlrev_b32 v4, 24, v2 :: v_dual_lshlrev_b32 v0, 20, v0
	v_lshl_add_u32 v3, v3, 23, 0x3c000000
	s_delay_alu instid0(VALU_DEP_2) | instskip(NEXT) | instid1(VALU_DEP_1)
	v_and_b32_e32 v4, 0x80000000, v4
	v_or3_b32 v0, v0, v4, v3
	v_mov_b32_e32 v3, v1
	s_clause 0x1
	scratch_store_b64 off, v[2:3], s32 offset:192
	scratch_store_b64 off, v[0:1], s32 offset:212
.LBB226_16:                             ;   in Loop: Header=BB226_10 Depth=1
	s_wait_xcnt 0x0
	s_or_b32 exec_lo, exec_lo, s11
.LBB226_17:                             ;   in Loop: Header=BB226_10 Depth=1
	s_delay_alu instid0(SALU_CYCLE_1)
	s_or_b32 exec_lo, exec_lo, s9
.LBB226_18:                             ;   in Loop: Header=BB226_10 Depth=1
	s_delay_alu instid0(SALU_CYCLE_1) | instskip(SKIP_2) | instid1(VALU_DEP_1)
	s_or_b32 exec_lo, exec_lo, s8
	v_lshrrev_b16 v0, 8, v2
	s_mov_b32 s8, exec_lo
	v_cmpx_ne_u16_e32 0, v0
	s_cbranch_execz .LBB226_26
; %bb.19:                               ;   in Loop: Header=BB226_10 Depth=1
	v_mov_b64_e32 v[18:19], 0x8000000000000000
	s_mov_b32 s9, exec_lo
	v_cmpx_ne_u16_e32 0x80, v0
	s_cbranch_execz .LBB226_25
; %bb.20:                               ;   in Loop: Header=BB226_10 Depth=1
	v_and_b32_e32 v0, 0xffff, v0
	v_mov_b64_e32 v[18:19], 0x7f80000100000000
	s_mov_b32 s11, exec_lo
	s_delay_alu instid0(VALU_DEP_2) | instskip(NEXT) | instid1(VALU_DEP_1)
	v_and_b32_e32 v4, 0x7f, v0
	v_cmpx_ne_u32_e32 0x7f, v4
	s_cbranch_execz .LBB226_24
; %bb.21:                               ;   in Loop: Header=BB226_10 Depth=1
	scratch_load_b64 v[6:7], off, s32 offset:192 th:TH_LOAD_LU ; 8-byte Folded Reload
	v_lshrrev_b32_e32 v3, 3, v4
	s_mov_b32 s16, exec_lo
	s_wait_loadcnt 0x0
	v_dual_mov_b32 v1, v7 :: v_dual_bitop2_b32 v0, 7, v0 bitop3:0x40
	s_wait_xcnt 0x0
	v_cmpx_gt_u32_e32 8, v4
; %bb.22:                               ;   in Loop: Header=BB226_10 Depth=1
	s_delay_alu instid0(VALU_DEP_2) | instskip(NEXT) | instid1(VALU_DEP_1)
	v_clz_i32_u32_e32 v3, v0
	v_min_u32_e32 v3, 32, v3
	s_delay_alu instid0(VALU_DEP_1) | instskip(NEXT) | instid1(VALU_DEP_1)
	v_subrev_nc_u32_e32 v4, 28, v3
	v_lshlrev_b64_e32 v[4:5], v4, v[0:1]
	s_delay_alu instid0(VALU_DEP_1)
	v_dual_sub_nc_u32 v3, 29, v3 :: v_dual_bitop2_b32 v0, 7, v4 bitop3:0x40
; %bb.23:                               ;   in Loop: Header=BB226_10 Depth=1
	s_or_b32 exec_lo, exec_lo, s16
	s_delay_alu instid0(VALU_DEP_1) | instskip(NEXT) | instid1(VALU_DEP_2)
	v_dual_lshlrev_b32 v4, 16, v2 :: v_dual_lshlrev_b32 v0, 20, v0
	v_lshl_add_u32 v3, v3, 23, 0x3c000000
	v_mov_b32_e32 v18, v1
	s_delay_alu instid0(VALU_DEP_3) | instskip(NEXT) | instid1(VALU_DEP_1)
	v_and_b32_e32 v4, 0x80000000, v4
	v_or3_b32 v19, v0, v4, v3
	v_mov_b32_e32 v3, v1
	scratch_store_b64 off, v[2:3], s32 offset:192 ; 8-byte Folded Spill
.LBB226_24:                             ;   in Loop: Header=BB226_10 Depth=1
	s_wait_xcnt 0x0
	s_or_b32 exec_lo, exec_lo, s11
.LBB226_25:                             ;   in Loop: Header=BB226_10 Depth=1
	s_delay_alu instid0(SALU_CYCLE_1)
	s_or_b32 exec_lo, exec_lo, s9
.LBB226_26:                             ;   in Loop: Header=BB226_10 Depth=1
	s_delay_alu instid0(SALU_CYCLE_1) | instskip(SKIP_3) | instid1(VALU_DEP_1)
	s_or_b32 exec_lo, exec_lo, s8
	v_mov_b64_e32 v[4:5], 0
	v_lshrrev_b32_e32 v3, 16, v2
	s_mov_b32 s8, exec_lo
	v_and_b32_e32 v0, 0xff, v3
	scratch_store_b64 off, v[4:5], s32 offset:220 ; 8-byte Folded Spill
	s_wait_xcnt 0x0
	v_mov_b64_e32 v[4:5], 0
	scratch_store_b64 off, v[4:5], s32 offset:472 ; 8-byte Folded Spill
	s_wait_xcnt 0x0
	v_cmpx_ne_u16_e32 0, v0
	s_cbranch_execz .LBB226_34
; %bb.27:                               ;   in Loop: Header=BB226_10 Depth=1
	v_cmp_ne_u16_e64 s1, 0x80, v0
	v_mov_b64_e32 v[0:1], 0x80000000
	s_and_saveexec_b32 s9, s1
	s_cbranch_execz .LBB226_33
; %bb.28:                               ;   in Loop: Header=BB226_10 Depth=1
	v_mov_b64_e32 v[0:1], 0x7f800001
	v_bfe_u32 v5, v2, 16, 7
	s_mov_b32 s11, exec_lo
	s_delay_alu instid0(VALU_DEP_1)
	v_cmpx_ne_u32_e32 0x7f, v5
	s_cbranch_execz .LBB226_32
; %bb.29:                               ;   in Loop: Header=BB226_10 Depth=1
	scratch_load_b64 v[0:1], off, s32 offset:192 th:TH_LOAD_LU ; 8-byte Folded Reload
	s_wait_loadcnt 0x0
	v_dual_lshrrev_b32 v4, 3, v5 :: v_dual_bitop2_b32 v0, 7, v3 bitop3:0x40
	s_mov_b32 s16, exec_lo
	s_wait_xcnt 0x0
	v_cmpx_gt_u32_e32 8, v5
; %bb.30:                               ;   in Loop: Header=BB226_10 Depth=1
	s_delay_alu instid0(VALU_DEP_2) | instskip(NEXT) | instid1(VALU_DEP_1)
	v_clz_i32_u32_e32 v4, v0
	v_min_u32_e32 v4, 32, v4
	s_delay_alu instid0(VALU_DEP_1) | instskip(NEXT) | instid1(VALU_DEP_1)
	v_subrev_nc_u32_e32 v5, 28, v4
	v_lshlrev_b64_e32 v[6:7], v5, v[0:1]
	s_delay_alu instid0(VALU_DEP_1)
	v_dual_sub_nc_u32 v4, 29, v4 :: v_dual_bitop2_b32 v0, 7, v6 bitop3:0x40
; %bb.31:                               ;   in Loop: Header=BB226_10 Depth=1
	s_or_b32 exec_lo, exec_lo, s16
	s_delay_alu instid0(VALU_DEP_1) | instskip(NEXT) | instid1(VALU_DEP_2)
	v_dual_lshlrev_b32 v3, 24, v3 :: v_dual_lshlrev_b32 v0, 20, v0
	v_lshl_add_u32 v4, v4, 23, 0x3c000000
	s_delay_alu instid0(VALU_DEP_2) | instskip(NEXT) | instid1(VALU_DEP_1)
	v_and_b32_e32 v3, 0x80000000, v3
	v_or3_b32 v0, v0, v3, v4
	v_mov_b32_e32 v3, v1
	scratch_store_b64 off, v[2:3], s32 offset:192 ; 8-byte Folded Spill
.LBB226_32:                             ;   in Loop: Header=BB226_10 Depth=1
	s_wait_xcnt 0x0
	s_or_b32 exec_lo, exec_lo, s11
.LBB226_33:                             ;   in Loop: Header=BB226_10 Depth=1
	s_delay_alu instid0(SALU_CYCLE_1)
	s_or_b32 exec_lo, exec_lo, s9
	scratch_store_b64 off, v[0:1], s32 offset:472 ; 8-byte Folded Spill
.LBB226_34:                             ;   in Loop: Header=BB226_10 Depth=1
	s_wait_xcnt 0x0
	s_or_b32 exec_lo, exec_lo, s8
	s_delay_alu instid0(SALU_CYCLE_1)
	s_mov_b32 s8, exec_lo
	v_cmpx_lt_u32_e32 0xffffff, v2
	s_cbranch_execz .LBB226_42
; %bb.35:                               ;   in Loop: Header=BB226_10 Depth=1
	v_mov_b64_e32 v[0:1], 0x8000000000000000
	v_lshrrev_b32_e32 v3, 24, v2
	s_mov_b32 s9, exec_lo
	scratch_store_b64 off, v[0:1], s32 offset:220 ; 8-byte Folded Spill
	s_wait_xcnt 0x0
	v_cmpx_ne_u32_e32 0x80, v3
	s_cbranch_execz .LBB226_41
; %bb.36:                               ;   in Loop: Header=BB226_10 Depth=1
	v_mov_b64_e32 v[0:1], 0x7f80000100000000
	v_bfe_u32 v4, v2, 24, 7
	s_mov_b32 s11, exec_lo
	scratch_store_b64 off, v[0:1], s32 offset:220 ; 8-byte Folded Spill
	s_wait_xcnt 0x0
	v_cmpx_ne_u32_e32 0x7f, v4
	s_cbranch_execz .LBB226_40
; %bb.37:                               ;   in Loop: Header=BB226_10 Depth=1
	scratch_load_b64 v[0:1], off, s32 offset:192 th:TH_LOAD_LU ; 8-byte Folded Reload
	s_wait_loadcnt 0x0
	v_dual_lshrrev_b32 v2, 3, v4 :: v_dual_bitop2_b32 v0, 7, v3 bitop3:0x40
	s_mov_b32 s16, exec_lo
	s_wait_xcnt 0x0
	v_cmpx_gt_u32_e32 8, v4
; %bb.38:                               ;   in Loop: Header=BB226_10 Depth=1
	s_delay_alu instid0(VALU_DEP_2) | instskip(NEXT) | instid1(VALU_DEP_1)
	v_clz_i32_u32_e32 v2, v0
	v_min_u32_e32 v2, 32, v2
	s_delay_alu instid0(VALU_DEP_1) | instskip(NEXT) | instid1(VALU_DEP_1)
	v_subrev_nc_u32_e32 v4, 28, v2
	v_lshlrev_b64_e32 v[4:5], v4, v[0:1]
	s_delay_alu instid0(VALU_DEP_1)
	v_dual_sub_nc_u32 v2, 29, v2 :: v_dual_bitop2_b32 v0, 7, v4 bitop3:0x40
; %bb.39:                               ;   in Loop: Header=BB226_10 Depth=1
	s_or_b32 exec_lo, exec_lo, s16
	s_delay_alu instid0(VALU_DEP_1) | instskip(NEXT) | instid1(VALU_DEP_2)
	v_dual_lshlrev_b32 v3, 24, v3 :: v_dual_lshlrev_b32 v0, 20, v0
	v_lshl_add_u32 v2, v2, 23, 0x3c000000
	v_mov_b32_e32 v4, v1
	s_delay_alu instid0(VALU_DEP_3) | instskip(NEXT) | instid1(VALU_DEP_1)
	v_and_b32_e32 v3, 0x80000000, v3
	v_or3_b32 v5, v0, v3, v2
	v_mov_b32_e32 v3, v1
	s_clause 0x1
	scratch_store_b64 off, v[4:5], s32 offset:220
	scratch_store_b64 off, v[2:3], s32 offset:192
.LBB226_40:                             ;   in Loop: Header=BB226_10 Depth=1
	s_wait_xcnt 0x0
	s_or_b32 exec_lo, exec_lo, s11
.LBB226_41:                             ;   in Loop: Header=BB226_10 Depth=1
	s_delay_alu instid0(SALU_CYCLE_1)
	s_or_b32 exec_lo, exec_lo, s9
.LBB226_42:                             ;   in Loop: Header=BB226_10 Depth=1
	s_delay_alu instid0(SALU_CYCLE_1)
	s_or_b32 exec_lo, exec_lo, s8
	flat_load_b32 v2, v[32:33] offset:4
	v_mov_b64_e32 v[4:5], 0
	s_mov_b32 s8, exec_lo
	scratch_store_b64 off, v[4:5], s32 offset:228 ; 8-byte Folded Spill
	s_wait_xcnt 0x0
	v_mov_b64_e32 v[4:5], 0
	scratch_store_b64 off, v[4:5], s32 offset:480 ; 8-byte Folded Spill
	s_wait_loadcnt_dscnt 0x0
	v_and_b32_e32 v0, 0xff, v2
	s_wait_xcnt 0x0
	s_delay_alu instid0(VALU_DEP_1)
	v_cmpx_ne_u16_e32 0, v0
	s_cbranch_execz .LBB226_50
; %bb.43:                               ;   in Loop: Header=BB226_10 Depth=1
	v_cmp_ne_u16_e64 s1, 0x80, v0
	v_mov_b64_e32 v[0:1], 0x80000000
	s_and_saveexec_b32 s9, s1
	s_cbranch_execz .LBB226_49
; %bb.44:                               ;   in Loop: Header=BB226_10 Depth=1
	v_mov_b64_e32 v[0:1], 0x7f800001
	v_and_b32_e32 v4, 0x7f, v2
	s_mov_b32 s11, exec_lo
	s_delay_alu instid0(VALU_DEP_1)
	v_cmpx_ne_u32_e32 0x7f, v4
	s_cbranch_execz .LBB226_48
; %bb.45:                               ;   in Loop: Header=BB226_10 Depth=1
	scratch_load_b64 v[0:1], off, s32 offset:192 th:TH_LOAD_LU ; 8-byte Folded Reload
	s_wait_loadcnt 0x0
	v_dual_lshrrev_b32 v3, 3, v4 :: v_dual_bitop2_b32 v0, 7, v2 bitop3:0x40
	s_mov_b32 s16, exec_lo
	s_wait_xcnt 0x0
	v_cmpx_gt_u32_e32 8, v4
; %bb.46:                               ;   in Loop: Header=BB226_10 Depth=1
	s_delay_alu instid0(VALU_DEP_2) | instskip(NEXT) | instid1(VALU_DEP_1)
	v_clz_i32_u32_e32 v3, v0
	v_min_u32_e32 v3, 32, v3
	s_delay_alu instid0(VALU_DEP_1) | instskip(NEXT) | instid1(VALU_DEP_1)
	v_subrev_nc_u32_e32 v4, 28, v3
	v_lshlrev_b64_e32 v[4:5], v4, v[0:1]
	s_delay_alu instid0(VALU_DEP_1)
	v_dual_sub_nc_u32 v3, 29, v3 :: v_dual_bitop2_b32 v0, 7, v4 bitop3:0x40
; %bb.47:                               ;   in Loop: Header=BB226_10 Depth=1
	s_or_b32 exec_lo, exec_lo, s16
	s_delay_alu instid0(VALU_DEP_1) | instskip(NEXT) | instid1(VALU_DEP_2)
	v_dual_lshlrev_b32 v4, 24, v2 :: v_dual_lshlrev_b32 v0, 20, v0
	v_lshl_add_u32 v3, v3, 23, 0x3c000000
	s_delay_alu instid0(VALU_DEP_2) | instskip(NEXT) | instid1(VALU_DEP_1)
	v_and_b32_e32 v4, 0x80000000, v4
	v_or3_b32 v0, v0, v4, v3
	v_mov_b32_e32 v3, v1
	scratch_store_b64 off, v[2:3], s32 offset:192 ; 8-byte Folded Spill
.LBB226_48:                             ;   in Loop: Header=BB226_10 Depth=1
	s_wait_xcnt 0x0
	s_or_b32 exec_lo, exec_lo, s11
.LBB226_49:                             ;   in Loop: Header=BB226_10 Depth=1
	s_delay_alu instid0(SALU_CYCLE_1)
	s_or_b32 exec_lo, exec_lo, s9
	scratch_store_b64 off, v[0:1], s32 offset:480 ; 8-byte Folded Spill
.LBB226_50:                             ;   in Loop: Header=BB226_10 Depth=1
	s_wait_xcnt 0x0
	s_or_b32 exec_lo, exec_lo, s8
	v_lshrrev_b16 v0, 8, v2
	s_mov_b32 s8, exec_lo
	s_delay_alu instid0(VALU_DEP_1)
	v_cmpx_ne_u16_e32 0, v0
	s_cbranch_execz .LBB226_58
; %bb.51:                               ;   in Loop: Header=BB226_10 Depth=1
	v_mov_b64_e32 v[4:5], 0x8000000000000000
	s_mov_b32 s9, exec_lo
	scratch_store_b64 off, v[4:5], s32 offset:228 ; 8-byte Folded Spill
	s_wait_xcnt 0x0
	v_cmpx_ne_u16_e32 0x80, v0
	s_cbranch_execz .LBB226_57
; %bb.52:                               ;   in Loop: Header=BB226_10 Depth=1
	v_and_b32_e32 v0, 0xffff, v0
	v_mov_b64_e32 v[6:7], 0x7f80000100000000
	s_mov_b32 s11, exec_lo
	s_delay_alu instid0(VALU_DEP_2)
	v_and_b32_e32 v4, 0x7f, v0
	scratch_store_b64 off, v[6:7], s32 offset:228 ; 8-byte Folded Spill
	s_wait_xcnt 0x0
	v_cmpx_ne_u32_e32 0x7f, v4
	s_cbranch_execz .LBB226_56
; %bb.53:                               ;   in Loop: Header=BB226_10 Depth=1
	scratch_load_b64 v[6:7], off, s32 offset:192 th:TH_LOAD_LU ; 8-byte Folded Reload
	v_lshrrev_b32_e32 v3, 3, v4
	s_mov_b32 s16, exec_lo
	s_wait_loadcnt 0x0
	v_dual_mov_b32 v1, v7 :: v_dual_bitop2_b32 v0, 7, v0 bitop3:0x40
	s_wait_xcnt 0x0
	v_cmpx_gt_u32_e32 8, v4
; %bb.54:                               ;   in Loop: Header=BB226_10 Depth=1
	s_delay_alu instid0(VALU_DEP_2) | instskip(NEXT) | instid1(VALU_DEP_1)
	v_clz_i32_u32_e32 v3, v0
	v_min_u32_e32 v3, 32, v3
	s_delay_alu instid0(VALU_DEP_1) | instskip(NEXT) | instid1(VALU_DEP_1)
	v_subrev_nc_u32_e32 v4, 28, v3
	v_lshlrev_b64_e32 v[4:5], v4, v[0:1]
	s_delay_alu instid0(VALU_DEP_1)
	v_dual_sub_nc_u32 v3, 29, v3 :: v_dual_bitop2_b32 v0, 7, v4 bitop3:0x40
; %bb.55:                               ;   in Loop: Header=BB226_10 Depth=1
	s_or_b32 exec_lo, exec_lo, s16
	s_delay_alu instid0(VALU_DEP_1) | instskip(NEXT) | instid1(VALU_DEP_2)
	v_dual_lshlrev_b32 v4, 16, v2 :: v_dual_lshlrev_b32 v0, 20, v0
	v_lshl_add_u32 v3, v3, 23, 0x3c000000
	s_delay_alu instid0(VALU_DEP_2) | instskip(NEXT) | instid1(VALU_DEP_1)
	v_and_b32_e32 v4, 0x80000000, v4
	v_or3_b32 v5, v0, v4, v3
	v_dual_mov_b32 v3, v1 :: v_dual_mov_b32 v4, v1
	s_clause 0x1
	scratch_store_b64 off, v[2:3], s32 offset:192
	scratch_store_b64 off, v[4:5], s32 offset:228
.LBB226_56:                             ;   in Loop: Header=BB226_10 Depth=1
	s_wait_xcnt 0x0
	s_or_b32 exec_lo, exec_lo, s11
.LBB226_57:                             ;   in Loop: Header=BB226_10 Depth=1
	s_delay_alu instid0(SALU_CYCLE_1)
	s_or_b32 exec_lo, exec_lo, s9
.LBB226_58:                             ;   in Loop: Header=BB226_10 Depth=1
	s_delay_alu instid0(SALU_CYCLE_1) | instskip(SKIP_3) | instid1(VALU_DEP_1)
	s_or_b32 exec_lo, exec_lo, s8
	v_mov_b64_e32 v[4:5], 0
	v_lshrrev_b32_e32 v3, 16, v2
	s_mov_b32 s8, exec_lo
	v_and_b32_e32 v0, 0xff, v3
	scratch_store_b64 off, v[4:5], s32 offset:236 ; 8-byte Folded Spill
	s_wait_xcnt 0x0
	v_mov_b64_e32 v[4:5], 0
	scratch_store_b64 off, v[4:5], s32 offset:488 ; 8-byte Folded Spill
	s_wait_xcnt 0x0
	v_cmpx_ne_u16_e32 0, v0
	s_cbranch_execz .LBB226_66
; %bb.59:                               ;   in Loop: Header=BB226_10 Depth=1
	v_cmp_ne_u16_e64 s1, 0x80, v0
	v_mov_b64_e32 v[0:1], 0x80000000
	s_and_saveexec_b32 s9, s1
	s_cbranch_execz .LBB226_65
; %bb.60:                               ;   in Loop: Header=BB226_10 Depth=1
	v_mov_b64_e32 v[0:1], 0x7f800001
	v_bfe_u32 v5, v2, 16, 7
	s_mov_b32 s11, exec_lo
	s_delay_alu instid0(VALU_DEP_1)
	v_cmpx_ne_u32_e32 0x7f, v5
	s_cbranch_execz .LBB226_64
; %bb.61:                               ;   in Loop: Header=BB226_10 Depth=1
	scratch_load_b64 v[0:1], off, s32 offset:192 th:TH_LOAD_LU ; 8-byte Folded Reload
	s_wait_loadcnt 0x0
	v_dual_lshrrev_b32 v4, 3, v5 :: v_dual_bitop2_b32 v0, 7, v3 bitop3:0x40
	s_mov_b32 s16, exec_lo
	s_wait_xcnt 0x0
	v_cmpx_gt_u32_e32 8, v5
; %bb.62:                               ;   in Loop: Header=BB226_10 Depth=1
	s_delay_alu instid0(VALU_DEP_2) | instskip(NEXT) | instid1(VALU_DEP_1)
	v_clz_i32_u32_e32 v4, v0
	v_min_u32_e32 v4, 32, v4
	s_delay_alu instid0(VALU_DEP_1) | instskip(NEXT) | instid1(VALU_DEP_1)
	v_subrev_nc_u32_e32 v5, 28, v4
	v_lshlrev_b64_e32 v[6:7], v5, v[0:1]
	s_delay_alu instid0(VALU_DEP_1)
	v_dual_sub_nc_u32 v4, 29, v4 :: v_dual_bitop2_b32 v0, 7, v6 bitop3:0x40
; %bb.63:                               ;   in Loop: Header=BB226_10 Depth=1
	s_or_b32 exec_lo, exec_lo, s16
	s_delay_alu instid0(VALU_DEP_1) | instskip(NEXT) | instid1(VALU_DEP_2)
	v_dual_lshlrev_b32 v3, 24, v3 :: v_dual_lshlrev_b32 v0, 20, v0
	v_lshl_add_u32 v4, v4, 23, 0x3c000000
	s_delay_alu instid0(VALU_DEP_2) | instskip(NEXT) | instid1(VALU_DEP_1)
	v_and_b32_e32 v3, 0x80000000, v3
	v_or3_b32 v0, v0, v3, v4
	v_mov_b32_e32 v3, v1
	scratch_store_b64 off, v[2:3], s32 offset:192 ; 8-byte Folded Spill
.LBB226_64:                             ;   in Loop: Header=BB226_10 Depth=1
	s_wait_xcnt 0x0
	s_or_b32 exec_lo, exec_lo, s11
.LBB226_65:                             ;   in Loop: Header=BB226_10 Depth=1
	s_delay_alu instid0(SALU_CYCLE_1)
	s_or_b32 exec_lo, exec_lo, s9
	scratch_store_b64 off, v[0:1], s32 offset:488 ; 8-byte Folded Spill
.LBB226_66:                             ;   in Loop: Header=BB226_10 Depth=1
	s_wait_xcnt 0x0
	s_or_b32 exec_lo, exec_lo, s8
	s_delay_alu instid0(SALU_CYCLE_1)
	s_mov_b32 s8, exec_lo
	v_cmpx_lt_u32_e32 0xffffff, v2
	s_cbranch_execz .LBB226_74
; %bb.67:                               ;   in Loop: Header=BB226_10 Depth=1
	v_mov_b64_e32 v[0:1], 0x8000000000000000
	v_lshrrev_b32_e32 v3, 24, v2
	s_mov_b32 s9, exec_lo
	scratch_store_b64 off, v[0:1], s32 offset:236 ; 8-byte Folded Spill
	s_wait_xcnt 0x0
	v_cmpx_ne_u32_e32 0x80, v3
	s_cbranch_execz .LBB226_73
; %bb.68:                               ;   in Loop: Header=BB226_10 Depth=1
	v_mov_b64_e32 v[0:1], 0x7f80000100000000
	v_bfe_u32 v4, v2, 24, 7
	s_mov_b32 s11, exec_lo
	scratch_store_b64 off, v[0:1], s32 offset:236 ; 8-byte Folded Spill
	s_wait_xcnt 0x0
	v_cmpx_ne_u32_e32 0x7f, v4
	s_cbranch_execz .LBB226_72
; %bb.69:                               ;   in Loop: Header=BB226_10 Depth=1
	scratch_load_b64 v[0:1], off, s32 offset:192 th:TH_LOAD_LU ; 8-byte Folded Reload
	s_wait_loadcnt 0x0
	v_dual_lshrrev_b32 v2, 3, v4 :: v_dual_bitop2_b32 v0, 7, v3 bitop3:0x40
	s_mov_b32 s16, exec_lo
	s_wait_xcnt 0x0
	v_cmpx_gt_u32_e32 8, v4
; %bb.70:                               ;   in Loop: Header=BB226_10 Depth=1
	s_delay_alu instid0(VALU_DEP_2) | instskip(NEXT) | instid1(VALU_DEP_1)
	v_clz_i32_u32_e32 v2, v0
	v_min_u32_e32 v2, 32, v2
	s_delay_alu instid0(VALU_DEP_1) | instskip(NEXT) | instid1(VALU_DEP_1)
	v_subrev_nc_u32_e32 v4, 28, v2
	v_lshlrev_b64_e32 v[4:5], v4, v[0:1]
	s_delay_alu instid0(VALU_DEP_1)
	v_dual_sub_nc_u32 v2, 29, v2 :: v_dual_bitop2_b32 v0, 7, v4 bitop3:0x40
; %bb.71:                               ;   in Loop: Header=BB226_10 Depth=1
	s_or_b32 exec_lo, exec_lo, s16
	s_delay_alu instid0(VALU_DEP_1) | instskip(NEXT) | instid1(VALU_DEP_2)
	v_dual_lshlrev_b32 v3, 24, v3 :: v_dual_lshlrev_b32 v0, 20, v0
	v_lshl_add_u32 v2, v2, 23, 0x3c000000
	v_mov_b32_e32 v4, v1
	s_delay_alu instid0(VALU_DEP_3) | instskip(NEXT) | instid1(VALU_DEP_1)
	v_and_b32_e32 v3, 0x80000000, v3
	v_or3_b32 v5, v0, v3, v2
	v_mov_b32_e32 v3, v1
	s_clause 0x1
	scratch_store_b64 off, v[4:5], s32 offset:236
	scratch_store_b64 off, v[2:3], s32 offset:192
.LBB226_72:                             ;   in Loop: Header=BB226_10 Depth=1
	s_wait_xcnt 0x0
	s_or_b32 exec_lo, exec_lo, s11
.LBB226_73:                             ;   in Loop: Header=BB226_10 Depth=1
	s_delay_alu instid0(SALU_CYCLE_1)
	s_or_b32 exec_lo, exec_lo, s9
.LBB226_74:                             ;   in Loop: Header=BB226_10 Depth=1
	s_delay_alu instid0(SALU_CYCLE_1)
	s_or_b32 exec_lo, exec_lo, s8
	flat_load_b32 v2, v[32:33] offset:8
	v_mov_b64_e32 v[4:5], 0
	s_mov_b32 s8, exec_lo
	scratch_store_b64 off, v[4:5], s32 offset:244 ; 8-byte Folded Spill
	s_wait_xcnt 0x0
	v_mov_b64_e32 v[4:5], 0
	scratch_store_b64 off, v[4:5], s32 offset:496 ; 8-byte Folded Spill
	s_wait_loadcnt_dscnt 0x0
	v_and_b32_e32 v0, 0xff, v2
	s_wait_xcnt 0x0
	s_delay_alu instid0(VALU_DEP_1)
	v_cmpx_ne_u16_e32 0, v0
	s_cbranch_execz .LBB226_82
; %bb.75:                               ;   in Loop: Header=BB226_10 Depth=1
	v_cmp_ne_u16_e64 s1, 0x80, v0
	v_mov_b64_e32 v[0:1], 0x80000000
	s_and_saveexec_b32 s9, s1
	s_cbranch_execz .LBB226_81
; %bb.76:                               ;   in Loop: Header=BB226_10 Depth=1
	v_mov_b64_e32 v[0:1], 0x7f800001
	v_and_b32_e32 v4, 0x7f, v2
	s_mov_b32 s11, exec_lo
	s_delay_alu instid0(VALU_DEP_1)
	v_cmpx_ne_u32_e32 0x7f, v4
	s_cbranch_execz .LBB226_80
; %bb.77:                               ;   in Loop: Header=BB226_10 Depth=1
	scratch_load_b64 v[0:1], off, s32 offset:192 th:TH_LOAD_LU ; 8-byte Folded Reload
	s_wait_loadcnt 0x0
	v_dual_lshrrev_b32 v3, 3, v4 :: v_dual_bitop2_b32 v0, 7, v2 bitop3:0x40
	s_mov_b32 s16, exec_lo
	s_wait_xcnt 0x0
	v_cmpx_gt_u32_e32 8, v4
; %bb.78:                               ;   in Loop: Header=BB226_10 Depth=1
	s_delay_alu instid0(VALU_DEP_2) | instskip(NEXT) | instid1(VALU_DEP_1)
	v_clz_i32_u32_e32 v3, v0
	v_min_u32_e32 v3, 32, v3
	s_delay_alu instid0(VALU_DEP_1) | instskip(NEXT) | instid1(VALU_DEP_1)
	v_subrev_nc_u32_e32 v4, 28, v3
	v_lshlrev_b64_e32 v[4:5], v4, v[0:1]
	s_delay_alu instid0(VALU_DEP_1)
	v_dual_sub_nc_u32 v3, 29, v3 :: v_dual_bitop2_b32 v0, 7, v4 bitop3:0x40
; %bb.79:                               ;   in Loop: Header=BB226_10 Depth=1
	s_or_b32 exec_lo, exec_lo, s16
	s_delay_alu instid0(VALU_DEP_1) | instskip(NEXT) | instid1(VALU_DEP_2)
	v_dual_lshlrev_b32 v4, 24, v2 :: v_dual_lshlrev_b32 v0, 20, v0
	v_lshl_add_u32 v3, v3, 23, 0x3c000000
	s_delay_alu instid0(VALU_DEP_2) | instskip(NEXT) | instid1(VALU_DEP_1)
	v_and_b32_e32 v4, 0x80000000, v4
	v_or3_b32 v0, v0, v4, v3
	v_mov_b32_e32 v3, v1
	scratch_store_b64 off, v[2:3], s32 offset:192 ; 8-byte Folded Spill
.LBB226_80:                             ;   in Loop: Header=BB226_10 Depth=1
	s_wait_xcnt 0x0
	s_or_b32 exec_lo, exec_lo, s11
.LBB226_81:                             ;   in Loop: Header=BB226_10 Depth=1
	s_delay_alu instid0(SALU_CYCLE_1)
	s_or_b32 exec_lo, exec_lo, s9
	scratch_store_b64 off, v[0:1], s32 offset:496 ; 8-byte Folded Spill
.LBB226_82:                             ;   in Loop: Header=BB226_10 Depth=1
	s_wait_xcnt 0x0
	s_or_b32 exec_lo, exec_lo, s8
	v_lshrrev_b16 v0, 8, v2
	s_mov_b32 s8, exec_lo
	s_delay_alu instid0(VALU_DEP_1)
	v_cmpx_ne_u16_e32 0, v0
	s_cbranch_execz .LBB226_90
; %bb.83:                               ;   in Loop: Header=BB226_10 Depth=1
	v_mov_b64_e32 v[4:5], 0x8000000000000000
	s_mov_b32 s9, exec_lo
	scratch_store_b64 off, v[4:5], s32 offset:244 ; 8-byte Folded Spill
	s_wait_xcnt 0x0
	v_cmpx_ne_u16_e32 0x80, v0
	s_cbranch_execz .LBB226_89
; %bb.84:                               ;   in Loop: Header=BB226_10 Depth=1
	v_and_b32_e32 v0, 0xffff, v0
	v_mov_b64_e32 v[6:7], 0x7f80000100000000
	s_mov_b32 s11, exec_lo
	s_delay_alu instid0(VALU_DEP_2)
	v_and_b32_e32 v4, 0x7f, v0
	scratch_store_b64 off, v[6:7], s32 offset:244 ; 8-byte Folded Spill
	s_wait_xcnt 0x0
	v_cmpx_ne_u32_e32 0x7f, v4
	s_cbranch_execz .LBB226_88
; %bb.85:                               ;   in Loop: Header=BB226_10 Depth=1
	scratch_load_b64 v[6:7], off, s32 offset:192 th:TH_LOAD_LU ; 8-byte Folded Reload
	v_lshrrev_b32_e32 v3, 3, v4
	s_mov_b32 s16, exec_lo
	s_wait_loadcnt 0x0
	v_dual_mov_b32 v1, v7 :: v_dual_bitop2_b32 v0, 7, v0 bitop3:0x40
	s_wait_xcnt 0x0
	v_cmpx_gt_u32_e32 8, v4
; %bb.86:                               ;   in Loop: Header=BB226_10 Depth=1
	s_delay_alu instid0(VALU_DEP_2) | instskip(NEXT) | instid1(VALU_DEP_1)
	v_clz_i32_u32_e32 v3, v0
	v_min_u32_e32 v3, 32, v3
	s_delay_alu instid0(VALU_DEP_1) | instskip(NEXT) | instid1(VALU_DEP_1)
	v_subrev_nc_u32_e32 v4, 28, v3
	v_lshlrev_b64_e32 v[4:5], v4, v[0:1]
	s_delay_alu instid0(VALU_DEP_1)
	v_dual_sub_nc_u32 v3, 29, v3 :: v_dual_bitop2_b32 v0, 7, v4 bitop3:0x40
; %bb.87:                               ;   in Loop: Header=BB226_10 Depth=1
	s_or_b32 exec_lo, exec_lo, s16
	s_delay_alu instid0(VALU_DEP_1) | instskip(NEXT) | instid1(VALU_DEP_2)
	v_dual_lshlrev_b32 v4, 16, v2 :: v_dual_lshlrev_b32 v0, 20, v0
	v_lshl_add_u32 v3, v3, 23, 0x3c000000
	s_delay_alu instid0(VALU_DEP_2) | instskip(NEXT) | instid1(VALU_DEP_1)
	v_and_b32_e32 v4, 0x80000000, v4
	v_or3_b32 v5, v0, v4, v3
	v_dual_mov_b32 v3, v1 :: v_dual_mov_b32 v4, v1
	s_clause 0x1
	scratch_store_b64 off, v[2:3], s32 offset:192
	scratch_store_b64 off, v[4:5], s32 offset:244
.LBB226_88:                             ;   in Loop: Header=BB226_10 Depth=1
	s_wait_xcnt 0x0
	s_or_b32 exec_lo, exec_lo, s11
.LBB226_89:                             ;   in Loop: Header=BB226_10 Depth=1
	s_delay_alu instid0(SALU_CYCLE_1)
	s_or_b32 exec_lo, exec_lo, s9
.LBB226_90:                             ;   in Loop: Header=BB226_10 Depth=1
	s_delay_alu instid0(SALU_CYCLE_1) | instskip(SKIP_3) | instid1(VALU_DEP_1)
	s_or_b32 exec_lo, exec_lo, s8
	v_mov_b64_e32 v[4:5], 0
	v_lshrrev_b32_e32 v3, 16, v2
	s_mov_b32 s8, exec_lo
	v_and_b32_e32 v0, 0xff, v3
	scratch_store_b64 off, v[4:5], s32 offset:252 ; 8-byte Folded Spill
	s_wait_xcnt 0x0
	v_mov_b64_e32 v[4:5], 0
	scratch_store_b64 off, v[4:5], s32 offset:504 ; 8-byte Folded Spill
	s_wait_xcnt 0x0
	v_cmpx_ne_u16_e32 0, v0
	s_cbranch_execz .LBB226_98
; %bb.91:                               ;   in Loop: Header=BB226_10 Depth=1
	v_cmp_ne_u16_e64 s1, 0x80, v0
	v_mov_b64_e32 v[0:1], 0x80000000
	s_and_saveexec_b32 s9, s1
	s_cbranch_execz .LBB226_97
; %bb.92:                               ;   in Loop: Header=BB226_10 Depth=1
	v_mov_b64_e32 v[0:1], 0x7f800001
	v_bfe_u32 v5, v2, 16, 7
	s_mov_b32 s11, exec_lo
	s_delay_alu instid0(VALU_DEP_1)
	v_cmpx_ne_u32_e32 0x7f, v5
	s_cbranch_execz .LBB226_96
; %bb.93:                               ;   in Loop: Header=BB226_10 Depth=1
	scratch_load_b64 v[0:1], off, s32 offset:192 th:TH_LOAD_LU ; 8-byte Folded Reload
	s_wait_loadcnt 0x0
	v_dual_lshrrev_b32 v4, 3, v5 :: v_dual_bitop2_b32 v0, 7, v3 bitop3:0x40
	s_mov_b32 s16, exec_lo
	s_wait_xcnt 0x0
	v_cmpx_gt_u32_e32 8, v5
; %bb.94:                               ;   in Loop: Header=BB226_10 Depth=1
	s_delay_alu instid0(VALU_DEP_2) | instskip(NEXT) | instid1(VALU_DEP_1)
	v_clz_i32_u32_e32 v4, v0
	v_min_u32_e32 v4, 32, v4
	s_delay_alu instid0(VALU_DEP_1) | instskip(NEXT) | instid1(VALU_DEP_1)
	v_subrev_nc_u32_e32 v5, 28, v4
	v_lshlrev_b64_e32 v[6:7], v5, v[0:1]
	s_delay_alu instid0(VALU_DEP_1)
	v_dual_sub_nc_u32 v4, 29, v4 :: v_dual_bitop2_b32 v0, 7, v6 bitop3:0x40
; %bb.95:                               ;   in Loop: Header=BB226_10 Depth=1
	s_or_b32 exec_lo, exec_lo, s16
	s_delay_alu instid0(VALU_DEP_1) | instskip(NEXT) | instid1(VALU_DEP_2)
	v_dual_lshlrev_b32 v3, 24, v3 :: v_dual_lshlrev_b32 v0, 20, v0
	v_lshl_add_u32 v4, v4, 23, 0x3c000000
	s_delay_alu instid0(VALU_DEP_2) | instskip(NEXT) | instid1(VALU_DEP_1)
	v_and_b32_e32 v3, 0x80000000, v3
	v_or3_b32 v0, v0, v3, v4
	v_mov_b32_e32 v3, v1
	scratch_store_b64 off, v[2:3], s32 offset:192 ; 8-byte Folded Spill
.LBB226_96:                             ;   in Loop: Header=BB226_10 Depth=1
	s_wait_xcnt 0x0
	s_or_b32 exec_lo, exec_lo, s11
.LBB226_97:                             ;   in Loop: Header=BB226_10 Depth=1
	s_delay_alu instid0(SALU_CYCLE_1)
	s_or_b32 exec_lo, exec_lo, s9
	scratch_store_b64 off, v[0:1], s32 offset:504 ; 8-byte Folded Spill
.LBB226_98:                             ;   in Loop: Header=BB226_10 Depth=1
	s_wait_xcnt 0x0
	s_or_b32 exec_lo, exec_lo, s8
	s_delay_alu instid0(SALU_CYCLE_1)
	s_mov_b32 s8, exec_lo
	v_cmpx_lt_u32_e32 0xffffff, v2
	s_cbranch_execz .LBB226_106
; %bb.99:                               ;   in Loop: Header=BB226_10 Depth=1
	v_mov_b64_e32 v[0:1], 0x8000000000000000
	v_lshrrev_b32_e32 v3, 24, v2
	s_mov_b32 s9, exec_lo
	scratch_store_b64 off, v[0:1], s32 offset:252 ; 8-byte Folded Spill
	s_wait_xcnt 0x0
	v_cmpx_ne_u32_e32 0x80, v3
	s_cbranch_execz .LBB226_105
; %bb.100:                              ;   in Loop: Header=BB226_10 Depth=1
	v_mov_b64_e32 v[0:1], 0x7f80000100000000
	v_bfe_u32 v4, v2, 24, 7
	s_mov_b32 s11, exec_lo
	scratch_store_b64 off, v[0:1], s32 offset:252 ; 8-byte Folded Spill
	s_wait_xcnt 0x0
	v_cmpx_ne_u32_e32 0x7f, v4
	s_cbranch_execz .LBB226_104
; %bb.101:                              ;   in Loop: Header=BB226_10 Depth=1
	scratch_load_b64 v[0:1], off, s32 offset:192 th:TH_LOAD_LU ; 8-byte Folded Reload
	s_wait_loadcnt 0x0
	v_dual_lshrrev_b32 v2, 3, v4 :: v_dual_bitop2_b32 v0, 7, v3 bitop3:0x40
	s_mov_b32 s16, exec_lo
	s_wait_xcnt 0x0
	v_cmpx_gt_u32_e32 8, v4
; %bb.102:                              ;   in Loop: Header=BB226_10 Depth=1
	s_delay_alu instid0(VALU_DEP_2) | instskip(NEXT) | instid1(VALU_DEP_1)
	v_clz_i32_u32_e32 v2, v0
	v_min_u32_e32 v2, 32, v2
	s_delay_alu instid0(VALU_DEP_1) | instskip(NEXT) | instid1(VALU_DEP_1)
	v_subrev_nc_u32_e32 v4, 28, v2
	v_lshlrev_b64_e32 v[4:5], v4, v[0:1]
	s_delay_alu instid0(VALU_DEP_1)
	v_dual_sub_nc_u32 v2, 29, v2 :: v_dual_bitop2_b32 v0, 7, v4 bitop3:0x40
; %bb.103:                              ;   in Loop: Header=BB226_10 Depth=1
	s_or_b32 exec_lo, exec_lo, s16
	s_delay_alu instid0(VALU_DEP_1) | instskip(NEXT) | instid1(VALU_DEP_2)
	v_dual_lshlrev_b32 v3, 24, v3 :: v_dual_lshlrev_b32 v0, 20, v0
	v_lshl_add_u32 v2, v2, 23, 0x3c000000
	v_mov_b32_e32 v4, v1
	s_delay_alu instid0(VALU_DEP_3) | instskip(NEXT) | instid1(VALU_DEP_1)
	v_and_b32_e32 v3, 0x80000000, v3
	v_or3_b32 v5, v0, v3, v2
	v_mov_b32_e32 v3, v1
	s_clause 0x1
	scratch_store_b64 off, v[4:5], s32 offset:252
	scratch_store_b64 off, v[2:3], s32 offset:192
.LBB226_104:                            ;   in Loop: Header=BB226_10 Depth=1
	s_wait_xcnt 0x0
	s_or_b32 exec_lo, exec_lo, s11
.LBB226_105:                            ;   in Loop: Header=BB226_10 Depth=1
	s_delay_alu instid0(SALU_CYCLE_1)
	s_or_b32 exec_lo, exec_lo, s9
.LBB226_106:                            ;   in Loop: Header=BB226_10 Depth=1
	s_delay_alu instid0(SALU_CYCLE_1)
	s_or_b32 exec_lo, exec_lo, s8
	flat_load_b32 v2, v[32:33] offset:12
	v_mov_b64_e32 v[4:5], 0
	s_mov_b32 s8, exec_lo
	scratch_store_b64 off, v[4:5], s32 offset:260 ; 8-byte Folded Spill
	s_wait_xcnt 0x0
	v_mov_b64_e32 v[4:5], 0
	scratch_store_b64 off, v[4:5], s32 offset:512 ; 8-byte Folded Spill
	s_wait_loadcnt_dscnt 0x0
	v_and_b32_e32 v0, 0xff, v2
	s_wait_xcnt 0x0
	s_delay_alu instid0(VALU_DEP_1)
	v_cmpx_ne_u16_e32 0, v0
	s_cbranch_execz .LBB226_114
; %bb.107:                              ;   in Loop: Header=BB226_10 Depth=1
	v_cmp_ne_u16_e64 s1, 0x80, v0
	v_mov_b64_e32 v[0:1], 0x80000000
	s_and_saveexec_b32 s9, s1
	s_cbranch_execz .LBB226_113
; %bb.108:                              ;   in Loop: Header=BB226_10 Depth=1
	v_mov_b64_e32 v[0:1], 0x7f800001
	v_and_b32_e32 v4, 0x7f, v2
	s_mov_b32 s11, exec_lo
	s_delay_alu instid0(VALU_DEP_1)
	v_cmpx_ne_u32_e32 0x7f, v4
	s_cbranch_execz .LBB226_112
; %bb.109:                              ;   in Loop: Header=BB226_10 Depth=1
	scratch_load_b64 v[0:1], off, s32 offset:192 th:TH_LOAD_LU ; 8-byte Folded Reload
	s_wait_loadcnt 0x0
	v_dual_lshrrev_b32 v3, 3, v4 :: v_dual_bitop2_b32 v0, 7, v2 bitop3:0x40
	s_mov_b32 s16, exec_lo
	s_wait_xcnt 0x0
	v_cmpx_gt_u32_e32 8, v4
; %bb.110:                              ;   in Loop: Header=BB226_10 Depth=1
	s_delay_alu instid0(VALU_DEP_2) | instskip(NEXT) | instid1(VALU_DEP_1)
	v_clz_i32_u32_e32 v3, v0
	v_min_u32_e32 v3, 32, v3
	s_delay_alu instid0(VALU_DEP_1) | instskip(NEXT) | instid1(VALU_DEP_1)
	v_subrev_nc_u32_e32 v4, 28, v3
	v_lshlrev_b64_e32 v[4:5], v4, v[0:1]
	s_delay_alu instid0(VALU_DEP_1)
	v_dual_sub_nc_u32 v3, 29, v3 :: v_dual_bitop2_b32 v0, 7, v4 bitop3:0x40
; %bb.111:                              ;   in Loop: Header=BB226_10 Depth=1
	s_or_b32 exec_lo, exec_lo, s16
	s_delay_alu instid0(VALU_DEP_1) | instskip(NEXT) | instid1(VALU_DEP_2)
	v_dual_lshlrev_b32 v4, 24, v2 :: v_dual_lshlrev_b32 v0, 20, v0
	v_lshl_add_u32 v3, v3, 23, 0x3c000000
	s_delay_alu instid0(VALU_DEP_2) | instskip(NEXT) | instid1(VALU_DEP_1)
	v_and_b32_e32 v4, 0x80000000, v4
	v_or3_b32 v0, v0, v4, v3
	v_mov_b32_e32 v3, v1
	scratch_store_b64 off, v[2:3], s32 offset:192 ; 8-byte Folded Spill
.LBB226_112:                            ;   in Loop: Header=BB226_10 Depth=1
	s_wait_xcnt 0x0
	s_or_b32 exec_lo, exec_lo, s11
.LBB226_113:                            ;   in Loop: Header=BB226_10 Depth=1
	s_delay_alu instid0(SALU_CYCLE_1)
	s_or_b32 exec_lo, exec_lo, s9
	scratch_store_b64 off, v[0:1], s32 offset:512 ; 8-byte Folded Spill
.LBB226_114:                            ;   in Loop: Header=BB226_10 Depth=1
	s_wait_xcnt 0x0
	s_or_b32 exec_lo, exec_lo, s8
	v_lshrrev_b16 v0, 8, v2
	s_mov_b32 s8, exec_lo
	s_delay_alu instid0(VALU_DEP_1)
	v_cmpx_ne_u16_e32 0, v0
	s_cbranch_execz .LBB226_122
; %bb.115:                              ;   in Loop: Header=BB226_10 Depth=1
	v_mov_b64_e32 v[4:5], 0x8000000000000000
	s_mov_b32 s9, exec_lo
	scratch_store_b64 off, v[4:5], s32 offset:260 ; 8-byte Folded Spill
	s_wait_xcnt 0x0
	v_cmpx_ne_u16_e32 0x80, v0
	s_cbranch_execz .LBB226_121
; %bb.116:                              ;   in Loop: Header=BB226_10 Depth=1
	v_and_b32_e32 v0, 0xffff, v0
	v_mov_b64_e32 v[6:7], 0x7f80000100000000
	s_mov_b32 s11, exec_lo
	s_delay_alu instid0(VALU_DEP_2)
	v_and_b32_e32 v4, 0x7f, v0
	scratch_store_b64 off, v[6:7], s32 offset:260 ; 8-byte Folded Spill
	s_wait_xcnt 0x0
	v_cmpx_ne_u32_e32 0x7f, v4
	s_cbranch_execz .LBB226_120
; %bb.117:                              ;   in Loop: Header=BB226_10 Depth=1
	scratch_load_b64 v[6:7], off, s32 offset:192 th:TH_LOAD_LU ; 8-byte Folded Reload
	v_lshrrev_b32_e32 v3, 3, v4
	s_mov_b32 s16, exec_lo
	s_wait_loadcnt 0x0
	v_dual_mov_b32 v1, v7 :: v_dual_bitop2_b32 v0, 7, v0 bitop3:0x40
	s_wait_xcnt 0x0
	v_cmpx_gt_u32_e32 8, v4
; %bb.118:                              ;   in Loop: Header=BB226_10 Depth=1
	s_delay_alu instid0(VALU_DEP_2) | instskip(NEXT) | instid1(VALU_DEP_1)
	v_clz_i32_u32_e32 v3, v0
	v_min_u32_e32 v3, 32, v3
	s_delay_alu instid0(VALU_DEP_1) | instskip(NEXT) | instid1(VALU_DEP_1)
	v_subrev_nc_u32_e32 v4, 28, v3
	v_lshlrev_b64_e32 v[4:5], v4, v[0:1]
	s_delay_alu instid0(VALU_DEP_1)
	v_dual_sub_nc_u32 v3, 29, v3 :: v_dual_bitop2_b32 v0, 7, v4 bitop3:0x40
; %bb.119:                              ;   in Loop: Header=BB226_10 Depth=1
	s_or_b32 exec_lo, exec_lo, s16
	s_delay_alu instid0(VALU_DEP_1) | instskip(NEXT) | instid1(VALU_DEP_2)
	v_dual_lshlrev_b32 v4, 16, v2 :: v_dual_lshlrev_b32 v0, 20, v0
	v_lshl_add_u32 v3, v3, 23, 0x3c000000
	s_delay_alu instid0(VALU_DEP_2) | instskip(NEXT) | instid1(VALU_DEP_1)
	v_and_b32_e32 v4, 0x80000000, v4
	v_or3_b32 v5, v0, v4, v3
	v_dual_mov_b32 v3, v1 :: v_dual_mov_b32 v4, v1
	s_clause 0x1
	scratch_store_b64 off, v[2:3], s32 offset:192
	scratch_store_b64 off, v[4:5], s32 offset:260
.LBB226_120:                            ;   in Loop: Header=BB226_10 Depth=1
	s_wait_xcnt 0x0
	s_or_b32 exec_lo, exec_lo, s11
.LBB226_121:                            ;   in Loop: Header=BB226_10 Depth=1
	s_delay_alu instid0(SALU_CYCLE_1)
	s_or_b32 exec_lo, exec_lo, s9
.LBB226_122:                            ;   in Loop: Header=BB226_10 Depth=1
	s_delay_alu instid0(SALU_CYCLE_1) | instskip(SKIP_3) | instid1(VALU_DEP_1)
	s_or_b32 exec_lo, exec_lo, s8
	v_mov_b64_e32 v[4:5], 0
	v_lshrrev_b32_e32 v3, 16, v2
	s_mov_b32 s8, exec_lo
	v_and_b32_e32 v0, 0xff, v3
	scratch_store_b64 off, v[4:5], s32 offset:268 ; 8-byte Folded Spill
	s_wait_xcnt 0x0
	v_mov_b64_e32 v[4:5], 0
	scratch_store_b64 off, v[4:5], s32 offset:520 ; 8-byte Folded Spill
	s_wait_xcnt 0x0
	v_cmpx_ne_u16_e32 0, v0
	s_cbranch_execz .LBB226_130
; %bb.123:                              ;   in Loop: Header=BB226_10 Depth=1
	v_cmp_ne_u16_e64 s1, 0x80, v0
	v_mov_b64_e32 v[0:1], 0x80000000
	s_and_saveexec_b32 s9, s1
	s_cbranch_execz .LBB226_129
; %bb.124:                              ;   in Loop: Header=BB226_10 Depth=1
	v_mov_b64_e32 v[0:1], 0x7f800001
	v_bfe_u32 v5, v2, 16, 7
	s_mov_b32 s11, exec_lo
	s_delay_alu instid0(VALU_DEP_1)
	v_cmpx_ne_u32_e32 0x7f, v5
	s_cbranch_execz .LBB226_128
; %bb.125:                              ;   in Loop: Header=BB226_10 Depth=1
	scratch_load_b64 v[0:1], off, s32 offset:192 th:TH_LOAD_LU ; 8-byte Folded Reload
	s_wait_loadcnt 0x0
	v_dual_lshrrev_b32 v4, 3, v5 :: v_dual_bitop2_b32 v0, 7, v3 bitop3:0x40
	s_mov_b32 s16, exec_lo
	s_wait_xcnt 0x0
	v_cmpx_gt_u32_e32 8, v5
; %bb.126:                              ;   in Loop: Header=BB226_10 Depth=1
	s_delay_alu instid0(VALU_DEP_2) | instskip(NEXT) | instid1(VALU_DEP_1)
	v_clz_i32_u32_e32 v4, v0
	v_min_u32_e32 v4, 32, v4
	s_delay_alu instid0(VALU_DEP_1) | instskip(NEXT) | instid1(VALU_DEP_1)
	v_subrev_nc_u32_e32 v5, 28, v4
	v_lshlrev_b64_e32 v[6:7], v5, v[0:1]
	s_delay_alu instid0(VALU_DEP_1)
	v_dual_sub_nc_u32 v4, 29, v4 :: v_dual_bitop2_b32 v0, 7, v6 bitop3:0x40
; %bb.127:                              ;   in Loop: Header=BB226_10 Depth=1
	s_or_b32 exec_lo, exec_lo, s16
	s_delay_alu instid0(VALU_DEP_1) | instskip(NEXT) | instid1(VALU_DEP_2)
	v_dual_lshlrev_b32 v3, 24, v3 :: v_dual_lshlrev_b32 v0, 20, v0
	v_lshl_add_u32 v4, v4, 23, 0x3c000000
	s_delay_alu instid0(VALU_DEP_2) | instskip(NEXT) | instid1(VALU_DEP_1)
	v_and_b32_e32 v3, 0x80000000, v3
	v_or3_b32 v0, v0, v3, v4
	v_mov_b32_e32 v3, v1
	scratch_store_b64 off, v[2:3], s32 offset:192 ; 8-byte Folded Spill
.LBB226_128:                            ;   in Loop: Header=BB226_10 Depth=1
	s_wait_xcnt 0x0
	s_or_b32 exec_lo, exec_lo, s11
.LBB226_129:                            ;   in Loop: Header=BB226_10 Depth=1
	s_delay_alu instid0(SALU_CYCLE_1)
	s_or_b32 exec_lo, exec_lo, s9
	scratch_store_b64 off, v[0:1], s32 offset:520 ; 8-byte Folded Spill
.LBB226_130:                            ;   in Loop: Header=BB226_10 Depth=1
	s_wait_xcnt 0x0
	s_or_b32 exec_lo, exec_lo, s8
	s_delay_alu instid0(SALU_CYCLE_1)
	s_mov_b32 s8, exec_lo
	v_cmpx_lt_u32_e32 0xffffff, v2
	s_cbranch_execz .LBB226_138
; %bb.131:                              ;   in Loop: Header=BB226_10 Depth=1
	v_mov_b64_e32 v[0:1], 0x8000000000000000
	v_lshrrev_b32_e32 v3, 24, v2
	s_mov_b32 s9, exec_lo
	scratch_store_b64 off, v[0:1], s32 offset:268 ; 8-byte Folded Spill
	s_wait_xcnt 0x0
	v_cmpx_ne_u32_e32 0x80, v3
	s_cbranch_execz .LBB226_137
; %bb.132:                              ;   in Loop: Header=BB226_10 Depth=1
	v_mov_b64_e32 v[0:1], 0x7f80000100000000
	v_bfe_u32 v4, v2, 24, 7
	s_mov_b32 s11, exec_lo
	scratch_store_b64 off, v[0:1], s32 offset:268 ; 8-byte Folded Spill
	s_wait_xcnt 0x0
	v_cmpx_ne_u32_e32 0x7f, v4
	s_cbranch_execz .LBB226_136
; %bb.133:                              ;   in Loop: Header=BB226_10 Depth=1
	scratch_load_b64 v[0:1], off, s32 offset:192 th:TH_LOAD_LU ; 8-byte Folded Reload
	s_wait_loadcnt 0x0
	v_dual_lshrrev_b32 v2, 3, v4 :: v_dual_bitop2_b32 v0, 7, v3 bitop3:0x40
	s_mov_b32 s16, exec_lo
	s_wait_xcnt 0x0
	v_cmpx_gt_u32_e32 8, v4
; %bb.134:                              ;   in Loop: Header=BB226_10 Depth=1
	s_delay_alu instid0(VALU_DEP_2) | instskip(NEXT) | instid1(VALU_DEP_1)
	v_clz_i32_u32_e32 v2, v0
	v_min_u32_e32 v2, 32, v2
	s_delay_alu instid0(VALU_DEP_1) | instskip(NEXT) | instid1(VALU_DEP_1)
	v_subrev_nc_u32_e32 v4, 28, v2
	v_lshlrev_b64_e32 v[4:5], v4, v[0:1]
	s_delay_alu instid0(VALU_DEP_1)
	v_dual_sub_nc_u32 v2, 29, v2 :: v_dual_bitop2_b32 v0, 7, v4 bitop3:0x40
; %bb.135:                              ;   in Loop: Header=BB226_10 Depth=1
	s_or_b32 exec_lo, exec_lo, s16
	s_delay_alu instid0(VALU_DEP_1) | instskip(NEXT) | instid1(VALU_DEP_2)
	v_dual_lshlrev_b32 v3, 24, v3 :: v_dual_lshlrev_b32 v0, 20, v0
	v_lshl_add_u32 v2, v2, 23, 0x3c000000
	v_mov_b32_e32 v4, v1
	s_delay_alu instid0(VALU_DEP_3) | instskip(NEXT) | instid1(VALU_DEP_1)
	v_and_b32_e32 v3, 0x80000000, v3
	v_or3_b32 v5, v0, v3, v2
	v_mov_b32_e32 v3, v1
	s_clause 0x1
	scratch_store_b64 off, v[4:5], s32 offset:268
	scratch_store_b64 off, v[2:3], s32 offset:192
.LBB226_136:                            ;   in Loop: Header=BB226_10 Depth=1
	s_wait_xcnt 0x0
	s_or_b32 exec_lo, exec_lo, s11
.LBB226_137:                            ;   in Loop: Header=BB226_10 Depth=1
	s_delay_alu instid0(SALU_CYCLE_1)
	s_or_b32 exec_lo, exec_lo, s9
.LBB226_138:                            ;   in Loop: Header=BB226_10 Depth=1
	s_delay_alu instid0(SALU_CYCLE_1)
	s_or_b32 exec_lo, exec_lo, s8
	flat_load_b32 v2, v[32:33] offset:512
	v_mov_b64_e32 v[4:5], 0
	s_mov_b32 s8, exec_lo
	scratch_store_b64 off, v[4:5], s32 offset:276 ; 8-byte Folded Spill
	s_wait_xcnt 0x0
	v_mov_b64_e32 v[4:5], 0
	scratch_store_b64 off, v[4:5], s32 offset:528 ; 8-byte Folded Spill
	s_wait_loadcnt_dscnt 0x0
	v_and_b32_e32 v0, 0xff, v2
	s_wait_xcnt 0x0
	s_delay_alu instid0(VALU_DEP_1)
	v_cmpx_ne_u16_e32 0, v0
	s_cbranch_execz .LBB226_146
; %bb.139:                              ;   in Loop: Header=BB226_10 Depth=1
	v_cmp_ne_u16_e64 s1, 0x80, v0
	v_mov_b64_e32 v[0:1], 0x80000000
	s_and_saveexec_b32 s9, s1
	s_cbranch_execz .LBB226_145
; %bb.140:                              ;   in Loop: Header=BB226_10 Depth=1
	v_mov_b64_e32 v[0:1], 0x7f800001
	v_and_b32_e32 v4, 0x7f, v2
	s_mov_b32 s11, exec_lo
	s_delay_alu instid0(VALU_DEP_1)
	v_cmpx_ne_u32_e32 0x7f, v4
	s_cbranch_execz .LBB226_144
; %bb.141:                              ;   in Loop: Header=BB226_10 Depth=1
	scratch_load_b64 v[0:1], off, s32 offset:192 th:TH_LOAD_LU ; 8-byte Folded Reload
	s_wait_loadcnt 0x0
	v_dual_lshrrev_b32 v3, 3, v4 :: v_dual_bitop2_b32 v0, 7, v2 bitop3:0x40
	s_mov_b32 s16, exec_lo
	s_wait_xcnt 0x0
	v_cmpx_gt_u32_e32 8, v4
; %bb.142:                              ;   in Loop: Header=BB226_10 Depth=1
	s_delay_alu instid0(VALU_DEP_2) | instskip(NEXT) | instid1(VALU_DEP_1)
	v_clz_i32_u32_e32 v3, v0
	v_min_u32_e32 v3, 32, v3
	s_delay_alu instid0(VALU_DEP_1) | instskip(NEXT) | instid1(VALU_DEP_1)
	v_subrev_nc_u32_e32 v4, 28, v3
	v_lshlrev_b64_e32 v[4:5], v4, v[0:1]
	s_delay_alu instid0(VALU_DEP_1)
	v_dual_sub_nc_u32 v3, 29, v3 :: v_dual_bitop2_b32 v0, 7, v4 bitop3:0x40
; %bb.143:                              ;   in Loop: Header=BB226_10 Depth=1
	s_or_b32 exec_lo, exec_lo, s16
	s_delay_alu instid0(VALU_DEP_1) | instskip(NEXT) | instid1(VALU_DEP_2)
	v_dual_lshlrev_b32 v4, 24, v2 :: v_dual_lshlrev_b32 v0, 20, v0
	v_lshl_add_u32 v3, v3, 23, 0x3c000000
	s_delay_alu instid0(VALU_DEP_2) | instskip(NEXT) | instid1(VALU_DEP_1)
	v_and_b32_e32 v4, 0x80000000, v4
	v_or3_b32 v0, v0, v4, v3
	v_mov_b32_e32 v3, v1
	scratch_store_b64 off, v[2:3], s32 offset:192 ; 8-byte Folded Spill
.LBB226_144:                            ;   in Loop: Header=BB226_10 Depth=1
	s_wait_xcnt 0x0
	s_or_b32 exec_lo, exec_lo, s11
.LBB226_145:                            ;   in Loop: Header=BB226_10 Depth=1
	s_delay_alu instid0(SALU_CYCLE_1)
	s_or_b32 exec_lo, exec_lo, s9
	scratch_store_b64 off, v[0:1], s32 offset:528 ; 8-byte Folded Spill
.LBB226_146:                            ;   in Loop: Header=BB226_10 Depth=1
	s_wait_xcnt 0x0
	s_or_b32 exec_lo, exec_lo, s8
	v_lshrrev_b16 v0, 8, v2
	s_mov_b32 s8, exec_lo
	s_delay_alu instid0(VALU_DEP_1)
	v_cmpx_ne_u16_e32 0, v0
	s_cbranch_execz .LBB226_154
; %bb.147:                              ;   in Loop: Header=BB226_10 Depth=1
	v_mov_b64_e32 v[4:5], 0x8000000000000000
	s_mov_b32 s9, exec_lo
	scratch_store_b64 off, v[4:5], s32 offset:276 ; 8-byte Folded Spill
	s_wait_xcnt 0x0
	v_cmpx_ne_u16_e32 0x80, v0
	s_cbranch_execz .LBB226_153
; %bb.148:                              ;   in Loop: Header=BB226_10 Depth=1
	v_and_b32_e32 v0, 0xffff, v0
	v_mov_b64_e32 v[6:7], 0x7f80000100000000
	s_mov_b32 s11, exec_lo
	s_delay_alu instid0(VALU_DEP_2)
	v_and_b32_e32 v4, 0x7f, v0
	scratch_store_b64 off, v[6:7], s32 offset:276 ; 8-byte Folded Spill
	s_wait_xcnt 0x0
	v_cmpx_ne_u32_e32 0x7f, v4
	s_cbranch_execz .LBB226_152
; %bb.149:                              ;   in Loop: Header=BB226_10 Depth=1
	scratch_load_b64 v[6:7], off, s32 offset:192 th:TH_LOAD_LU ; 8-byte Folded Reload
	v_lshrrev_b32_e32 v3, 3, v4
	s_mov_b32 s16, exec_lo
	s_wait_loadcnt 0x0
	v_dual_mov_b32 v1, v7 :: v_dual_bitop2_b32 v0, 7, v0 bitop3:0x40
	s_wait_xcnt 0x0
	v_cmpx_gt_u32_e32 8, v4
; %bb.150:                              ;   in Loop: Header=BB226_10 Depth=1
	s_delay_alu instid0(VALU_DEP_2) | instskip(NEXT) | instid1(VALU_DEP_1)
	v_clz_i32_u32_e32 v3, v0
	v_min_u32_e32 v3, 32, v3
	s_delay_alu instid0(VALU_DEP_1) | instskip(NEXT) | instid1(VALU_DEP_1)
	v_subrev_nc_u32_e32 v4, 28, v3
	v_lshlrev_b64_e32 v[4:5], v4, v[0:1]
	s_delay_alu instid0(VALU_DEP_1)
	v_dual_sub_nc_u32 v3, 29, v3 :: v_dual_bitop2_b32 v0, 7, v4 bitop3:0x40
; %bb.151:                              ;   in Loop: Header=BB226_10 Depth=1
	s_or_b32 exec_lo, exec_lo, s16
	s_delay_alu instid0(VALU_DEP_1) | instskip(NEXT) | instid1(VALU_DEP_2)
	v_dual_lshlrev_b32 v4, 16, v2 :: v_dual_lshlrev_b32 v0, 20, v0
	v_lshl_add_u32 v3, v3, 23, 0x3c000000
	s_delay_alu instid0(VALU_DEP_2) | instskip(NEXT) | instid1(VALU_DEP_1)
	v_and_b32_e32 v4, 0x80000000, v4
	v_or3_b32 v5, v0, v4, v3
	v_dual_mov_b32 v3, v1 :: v_dual_mov_b32 v4, v1
	s_clause 0x1
	scratch_store_b64 off, v[2:3], s32 offset:192
	scratch_store_b64 off, v[4:5], s32 offset:276
.LBB226_152:                            ;   in Loop: Header=BB226_10 Depth=1
	s_wait_xcnt 0x0
	s_or_b32 exec_lo, exec_lo, s11
.LBB226_153:                            ;   in Loop: Header=BB226_10 Depth=1
	s_delay_alu instid0(SALU_CYCLE_1)
	s_or_b32 exec_lo, exec_lo, s9
.LBB226_154:                            ;   in Loop: Header=BB226_10 Depth=1
	s_delay_alu instid0(SALU_CYCLE_1) | instskip(SKIP_3) | instid1(VALU_DEP_1)
	s_or_b32 exec_lo, exec_lo, s8
	v_mov_b64_e32 v[4:5], 0
	v_lshrrev_b32_e32 v3, 16, v2
	s_mov_b32 s8, exec_lo
	v_and_b32_e32 v0, 0xff, v3
	scratch_store_b64 off, v[4:5], s32 offset:284 ; 8-byte Folded Spill
	s_wait_xcnt 0x0
	v_mov_b64_e32 v[4:5], 0
	scratch_store_b64 off, v[4:5], s32 offset:536 ; 8-byte Folded Spill
	s_wait_xcnt 0x0
	v_cmpx_ne_u16_e32 0, v0
	s_cbranch_execz .LBB226_162
; %bb.155:                              ;   in Loop: Header=BB226_10 Depth=1
	v_cmp_ne_u16_e64 s1, 0x80, v0
	v_mov_b64_e32 v[0:1], 0x80000000
	s_and_saveexec_b32 s9, s1
	s_cbranch_execz .LBB226_161
; %bb.156:                              ;   in Loop: Header=BB226_10 Depth=1
	v_mov_b64_e32 v[0:1], 0x7f800001
	v_bfe_u32 v5, v2, 16, 7
	s_mov_b32 s11, exec_lo
	s_delay_alu instid0(VALU_DEP_1)
	v_cmpx_ne_u32_e32 0x7f, v5
	s_cbranch_execz .LBB226_160
; %bb.157:                              ;   in Loop: Header=BB226_10 Depth=1
	scratch_load_b64 v[0:1], off, s32 offset:192 th:TH_LOAD_LU ; 8-byte Folded Reload
	s_wait_loadcnt 0x0
	v_dual_lshrrev_b32 v4, 3, v5 :: v_dual_bitop2_b32 v0, 7, v3 bitop3:0x40
	s_mov_b32 s16, exec_lo
	s_wait_xcnt 0x0
	v_cmpx_gt_u32_e32 8, v5
; %bb.158:                              ;   in Loop: Header=BB226_10 Depth=1
	s_delay_alu instid0(VALU_DEP_2) | instskip(NEXT) | instid1(VALU_DEP_1)
	v_clz_i32_u32_e32 v4, v0
	v_min_u32_e32 v4, 32, v4
	s_delay_alu instid0(VALU_DEP_1) | instskip(NEXT) | instid1(VALU_DEP_1)
	v_subrev_nc_u32_e32 v5, 28, v4
	v_lshlrev_b64_e32 v[6:7], v5, v[0:1]
	s_delay_alu instid0(VALU_DEP_1)
	v_dual_sub_nc_u32 v4, 29, v4 :: v_dual_bitop2_b32 v0, 7, v6 bitop3:0x40
; %bb.159:                              ;   in Loop: Header=BB226_10 Depth=1
	s_or_b32 exec_lo, exec_lo, s16
	s_delay_alu instid0(VALU_DEP_1) | instskip(NEXT) | instid1(VALU_DEP_2)
	v_dual_lshlrev_b32 v3, 24, v3 :: v_dual_lshlrev_b32 v0, 20, v0
	v_lshl_add_u32 v4, v4, 23, 0x3c000000
	s_delay_alu instid0(VALU_DEP_2) | instskip(NEXT) | instid1(VALU_DEP_1)
	v_and_b32_e32 v3, 0x80000000, v3
	v_or3_b32 v0, v0, v3, v4
	v_mov_b32_e32 v3, v1
	scratch_store_b64 off, v[2:3], s32 offset:192 ; 8-byte Folded Spill
.LBB226_160:                            ;   in Loop: Header=BB226_10 Depth=1
	s_wait_xcnt 0x0
	s_or_b32 exec_lo, exec_lo, s11
.LBB226_161:                            ;   in Loop: Header=BB226_10 Depth=1
	s_delay_alu instid0(SALU_CYCLE_1)
	s_or_b32 exec_lo, exec_lo, s9
	scratch_store_b64 off, v[0:1], s32 offset:536 ; 8-byte Folded Spill
.LBB226_162:                            ;   in Loop: Header=BB226_10 Depth=1
	s_wait_xcnt 0x0
	s_or_b32 exec_lo, exec_lo, s8
	s_delay_alu instid0(SALU_CYCLE_1)
	s_mov_b32 s8, exec_lo
	v_cmpx_lt_u32_e32 0xffffff, v2
	s_cbranch_execz .LBB226_170
; %bb.163:                              ;   in Loop: Header=BB226_10 Depth=1
	v_mov_b64_e32 v[0:1], 0x8000000000000000
	v_lshrrev_b32_e32 v3, 24, v2
	s_mov_b32 s9, exec_lo
	scratch_store_b64 off, v[0:1], s32 offset:284 ; 8-byte Folded Spill
	s_wait_xcnt 0x0
	v_cmpx_ne_u32_e32 0x80, v3
	s_cbranch_execz .LBB226_169
; %bb.164:                              ;   in Loop: Header=BB226_10 Depth=1
	v_mov_b64_e32 v[0:1], 0x7f80000100000000
	v_bfe_u32 v4, v2, 24, 7
	s_mov_b32 s11, exec_lo
	scratch_store_b64 off, v[0:1], s32 offset:284 ; 8-byte Folded Spill
	s_wait_xcnt 0x0
	v_cmpx_ne_u32_e32 0x7f, v4
	s_cbranch_execz .LBB226_168
; %bb.165:                              ;   in Loop: Header=BB226_10 Depth=1
	scratch_load_b64 v[0:1], off, s32 offset:192 th:TH_LOAD_LU ; 8-byte Folded Reload
	s_wait_loadcnt 0x0
	v_dual_lshrrev_b32 v2, 3, v4 :: v_dual_bitop2_b32 v0, 7, v3 bitop3:0x40
	s_mov_b32 s16, exec_lo
	s_wait_xcnt 0x0
	v_cmpx_gt_u32_e32 8, v4
; %bb.166:                              ;   in Loop: Header=BB226_10 Depth=1
	s_delay_alu instid0(VALU_DEP_2) | instskip(NEXT) | instid1(VALU_DEP_1)
	v_clz_i32_u32_e32 v2, v0
	v_min_u32_e32 v2, 32, v2
	s_delay_alu instid0(VALU_DEP_1) | instskip(NEXT) | instid1(VALU_DEP_1)
	v_subrev_nc_u32_e32 v4, 28, v2
	v_lshlrev_b64_e32 v[4:5], v4, v[0:1]
	s_delay_alu instid0(VALU_DEP_1)
	v_dual_sub_nc_u32 v2, 29, v2 :: v_dual_bitop2_b32 v0, 7, v4 bitop3:0x40
; %bb.167:                              ;   in Loop: Header=BB226_10 Depth=1
	s_or_b32 exec_lo, exec_lo, s16
	s_delay_alu instid0(VALU_DEP_1) | instskip(NEXT) | instid1(VALU_DEP_2)
	v_dual_lshlrev_b32 v3, 24, v3 :: v_dual_lshlrev_b32 v0, 20, v0
	v_lshl_add_u32 v2, v2, 23, 0x3c000000
	v_mov_b32_e32 v4, v1
	s_delay_alu instid0(VALU_DEP_3) | instskip(NEXT) | instid1(VALU_DEP_1)
	v_and_b32_e32 v3, 0x80000000, v3
	v_or3_b32 v5, v0, v3, v2
	v_mov_b32_e32 v3, v1
	s_clause 0x1
	scratch_store_b64 off, v[4:5], s32 offset:284
	scratch_store_b64 off, v[2:3], s32 offset:192
.LBB226_168:                            ;   in Loop: Header=BB226_10 Depth=1
	s_wait_xcnt 0x0
	s_or_b32 exec_lo, exec_lo, s11
.LBB226_169:                            ;   in Loop: Header=BB226_10 Depth=1
	s_delay_alu instid0(SALU_CYCLE_1)
	s_or_b32 exec_lo, exec_lo, s9
.LBB226_170:                            ;   in Loop: Header=BB226_10 Depth=1
	s_delay_alu instid0(SALU_CYCLE_1)
	s_or_b32 exec_lo, exec_lo, s8
	flat_load_b32 v2, v[32:33] offset:516
	v_mov_b64_e32 v[4:5], 0
	s_mov_b32 s8, exec_lo
	scratch_store_b64 off, v[4:5], s32 offset:292 ; 8-byte Folded Spill
	s_wait_xcnt 0x0
	v_mov_b64_e32 v[4:5], 0
	scratch_store_b64 off, v[4:5], s32 offset:544 ; 8-byte Folded Spill
	s_wait_loadcnt_dscnt 0x0
	v_and_b32_e32 v0, 0xff, v2
	s_wait_xcnt 0x0
	s_delay_alu instid0(VALU_DEP_1)
	v_cmpx_ne_u16_e32 0, v0
	s_cbranch_execz .LBB226_178
; %bb.171:                              ;   in Loop: Header=BB226_10 Depth=1
	v_cmp_ne_u16_e64 s1, 0x80, v0
	v_mov_b64_e32 v[0:1], 0x80000000
	s_and_saveexec_b32 s9, s1
	s_cbranch_execz .LBB226_177
; %bb.172:                              ;   in Loop: Header=BB226_10 Depth=1
	v_mov_b64_e32 v[0:1], 0x7f800001
	v_and_b32_e32 v4, 0x7f, v2
	s_mov_b32 s11, exec_lo
	s_delay_alu instid0(VALU_DEP_1)
	v_cmpx_ne_u32_e32 0x7f, v4
	s_cbranch_execz .LBB226_176
; %bb.173:                              ;   in Loop: Header=BB226_10 Depth=1
	scratch_load_b64 v[0:1], off, s32 offset:192 th:TH_LOAD_LU ; 8-byte Folded Reload
	s_wait_loadcnt 0x0
	v_dual_lshrrev_b32 v3, 3, v4 :: v_dual_bitop2_b32 v0, 7, v2 bitop3:0x40
	s_mov_b32 s16, exec_lo
	s_wait_xcnt 0x0
	v_cmpx_gt_u32_e32 8, v4
; %bb.174:                              ;   in Loop: Header=BB226_10 Depth=1
	s_delay_alu instid0(VALU_DEP_2) | instskip(NEXT) | instid1(VALU_DEP_1)
	v_clz_i32_u32_e32 v3, v0
	v_min_u32_e32 v3, 32, v3
	s_delay_alu instid0(VALU_DEP_1) | instskip(NEXT) | instid1(VALU_DEP_1)
	v_subrev_nc_u32_e32 v4, 28, v3
	v_lshlrev_b64_e32 v[4:5], v4, v[0:1]
	s_delay_alu instid0(VALU_DEP_1)
	v_dual_sub_nc_u32 v3, 29, v3 :: v_dual_bitop2_b32 v0, 7, v4 bitop3:0x40
; %bb.175:                              ;   in Loop: Header=BB226_10 Depth=1
	s_or_b32 exec_lo, exec_lo, s16
	s_delay_alu instid0(VALU_DEP_1) | instskip(NEXT) | instid1(VALU_DEP_2)
	v_dual_lshlrev_b32 v4, 24, v2 :: v_dual_lshlrev_b32 v0, 20, v0
	v_lshl_add_u32 v3, v3, 23, 0x3c000000
	s_delay_alu instid0(VALU_DEP_2) | instskip(NEXT) | instid1(VALU_DEP_1)
	v_and_b32_e32 v4, 0x80000000, v4
	v_or3_b32 v0, v0, v4, v3
	v_mov_b32_e32 v3, v1
	scratch_store_b64 off, v[2:3], s32 offset:192 ; 8-byte Folded Spill
.LBB226_176:                            ;   in Loop: Header=BB226_10 Depth=1
	s_wait_xcnt 0x0
	s_or_b32 exec_lo, exec_lo, s11
.LBB226_177:                            ;   in Loop: Header=BB226_10 Depth=1
	s_delay_alu instid0(SALU_CYCLE_1)
	s_or_b32 exec_lo, exec_lo, s9
	scratch_store_b64 off, v[0:1], s32 offset:544 ; 8-byte Folded Spill
.LBB226_178:                            ;   in Loop: Header=BB226_10 Depth=1
	s_wait_xcnt 0x0
	s_or_b32 exec_lo, exec_lo, s8
	v_lshrrev_b16 v0, 8, v2
	s_mov_b32 s8, exec_lo
	s_delay_alu instid0(VALU_DEP_1)
	v_cmpx_ne_u16_e32 0, v0
	s_cbranch_execz .LBB226_186
; %bb.179:                              ;   in Loop: Header=BB226_10 Depth=1
	v_mov_b64_e32 v[4:5], 0x8000000000000000
	s_mov_b32 s9, exec_lo
	scratch_store_b64 off, v[4:5], s32 offset:292 ; 8-byte Folded Spill
	s_wait_xcnt 0x0
	v_cmpx_ne_u16_e32 0x80, v0
	s_cbranch_execz .LBB226_185
; %bb.180:                              ;   in Loop: Header=BB226_10 Depth=1
	v_and_b32_e32 v0, 0xffff, v0
	v_mov_b64_e32 v[6:7], 0x7f80000100000000
	s_mov_b32 s11, exec_lo
	s_delay_alu instid0(VALU_DEP_2)
	v_and_b32_e32 v4, 0x7f, v0
	scratch_store_b64 off, v[6:7], s32 offset:292 ; 8-byte Folded Spill
	s_wait_xcnt 0x0
	v_cmpx_ne_u32_e32 0x7f, v4
	s_cbranch_execz .LBB226_184
; %bb.181:                              ;   in Loop: Header=BB226_10 Depth=1
	scratch_load_b64 v[6:7], off, s32 offset:192 th:TH_LOAD_LU ; 8-byte Folded Reload
	v_lshrrev_b32_e32 v3, 3, v4
	s_mov_b32 s16, exec_lo
	s_wait_loadcnt 0x0
	v_dual_mov_b32 v1, v7 :: v_dual_bitop2_b32 v0, 7, v0 bitop3:0x40
	s_wait_xcnt 0x0
	v_cmpx_gt_u32_e32 8, v4
; %bb.182:                              ;   in Loop: Header=BB226_10 Depth=1
	s_delay_alu instid0(VALU_DEP_2) | instskip(NEXT) | instid1(VALU_DEP_1)
	v_clz_i32_u32_e32 v3, v0
	v_min_u32_e32 v3, 32, v3
	s_delay_alu instid0(VALU_DEP_1) | instskip(NEXT) | instid1(VALU_DEP_1)
	v_subrev_nc_u32_e32 v4, 28, v3
	v_lshlrev_b64_e32 v[4:5], v4, v[0:1]
	s_delay_alu instid0(VALU_DEP_1)
	v_dual_sub_nc_u32 v3, 29, v3 :: v_dual_bitop2_b32 v0, 7, v4 bitop3:0x40
; %bb.183:                              ;   in Loop: Header=BB226_10 Depth=1
	s_or_b32 exec_lo, exec_lo, s16
	s_delay_alu instid0(VALU_DEP_1) | instskip(NEXT) | instid1(VALU_DEP_2)
	v_dual_lshlrev_b32 v4, 16, v2 :: v_dual_lshlrev_b32 v0, 20, v0
	v_lshl_add_u32 v3, v3, 23, 0x3c000000
	s_delay_alu instid0(VALU_DEP_2) | instskip(NEXT) | instid1(VALU_DEP_1)
	v_and_b32_e32 v4, 0x80000000, v4
	v_or3_b32 v5, v0, v4, v3
	v_dual_mov_b32 v3, v1 :: v_dual_mov_b32 v4, v1
	s_clause 0x1
	scratch_store_b64 off, v[2:3], s32 offset:192
	scratch_store_b64 off, v[4:5], s32 offset:292
.LBB226_184:                            ;   in Loop: Header=BB226_10 Depth=1
	s_wait_xcnt 0x0
	s_or_b32 exec_lo, exec_lo, s11
.LBB226_185:                            ;   in Loop: Header=BB226_10 Depth=1
	s_delay_alu instid0(SALU_CYCLE_1)
	s_or_b32 exec_lo, exec_lo, s9
.LBB226_186:                            ;   in Loop: Header=BB226_10 Depth=1
	s_delay_alu instid0(SALU_CYCLE_1) | instskip(SKIP_3) | instid1(VALU_DEP_1)
	s_or_b32 exec_lo, exec_lo, s8
	v_mov_b64_e32 v[4:5], 0
	v_lshrrev_b32_e32 v3, 16, v2
	s_mov_b32 s8, exec_lo
	v_and_b32_e32 v0, 0xff, v3
	scratch_store_b64 off, v[4:5], s32 offset:300 ; 8-byte Folded Spill
	s_wait_xcnt 0x0
	v_mov_b64_e32 v[4:5], 0
	scratch_store_b64 off, v[4:5], s32 offset:552 ; 8-byte Folded Spill
	s_wait_xcnt 0x0
	v_cmpx_ne_u16_e32 0, v0
	s_cbranch_execz .LBB226_194
; %bb.187:                              ;   in Loop: Header=BB226_10 Depth=1
	v_cmp_ne_u16_e64 s1, 0x80, v0
	v_mov_b64_e32 v[0:1], 0x80000000
	s_and_saveexec_b32 s9, s1
	s_cbranch_execz .LBB226_193
; %bb.188:                              ;   in Loop: Header=BB226_10 Depth=1
	v_mov_b64_e32 v[0:1], 0x7f800001
	v_bfe_u32 v5, v2, 16, 7
	s_mov_b32 s11, exec_lo
	s_delay_alu instid0(VALU_DEP_1)
	v_cmpx_ne_u32_e32 0x7f, v5
	s_cbranch_execz .LBB226_192
; %bb.189:                              ;   in Loop: Header=BB226_10 Depth=1
	scratch_load_b64 v[0:1], off, s32 offset:192 th:TH_LOAD_LU ; 8-byte Folded Reload
	s_wait_loadcnt 0x0
	v_dual_lshrrev_b32 v4, 3, v5 :: v_dual_bitop2_b32 v0, 7, v3 bitop3:0x40
	s_mov_b32 s16, exec_lo
	s_wait_xcnt 0x0
	v_cmpx_gt_u32_e32 8, v5
; %bb.190:                              ;   in Loop: Header=BB226_10 Depth=1
	s_delay_alu instid0(VALU_DEP_2) | instskip(NEXT) | instid1(VALU_DEP_1)
	v_clz_i32_u32_e32 v4, v0
	v_min_u32_e32 v4, 32, v4
	s_delay_alu instid0(VALU_DEP_1) | instskip(NEXT) | instid1(VALU_DEP_1)
	v_subrev_nc_u32_e32 v5, 28, v4
	v_lshlrev_b64_e32 v[6:7], v5, v[0:1]
	s_delay_alu instid0(VALU_DEP_1)
	v_dual_sub_nc_u32 v4, 29, v4 :: v_dual_bitop2_b32 v0, 7, v6 bitop3:0x40
; %bb.191:                              ;   in Loop: Header=BB226_10 Depth=1
	s_or_b32 exec_lo, exec_lo, s16
	s_delay_alu instid0(VALU_DEP_1) | instskip(NEXT) | instid1(VALU_DEP_2)
	v_dual_lshlrev_b32 v3, 24, v3 :: v_dual_lshlrev_b32 v0, 20, v0
	v_lshl_add_u32 v4, v4, 23, 0x3c000000
	s_delay_alu instid0(VALU_DEP_2) | instskip(NEXT) | instid1(VALU_DEP_1)
	v_and_b32_e32 v3, 0x80000000, v3
	v_or3_b32 v0, v0, v3, v4
	v_mov_b32_e32 v3, v1
	scratch_store_b64 off, v[2:3], s32 offset:192 ; 8-byte Folded Spill
.LBB226_192:                            ;   in Loop: Header=BB226_10 Depth=1
	s_wait_xcnt 0x0
	s_or_b32 exec_lo, exec_lo, s11
.LBB226_193:                            ;   in Loop: Header=BB226_10 Depth=1
	s_delay_alu instid0(SALU_CYCLE_1)
	s_or_b32 exec_lo, exec_lo, s9
	scratch_store_b64 off, v[0:1], s32 offset:552 ; 8-byte Folded Spill
.LBB226_194:                            ;   in Loop: Header=BB226_10 Depth=1
	s_wait_xcnt 0x0
	s_or_b32 exec_lo, exec_lo, s8
	s_delay_alu instid0(SALU_CYCLE_1)
	s_mov_b32 s8, exec_lo
	v_cmpx_lt_u32_e32 0xffffff, v2
	s_cbranch_execz .LBB226_202
; %bb.195:                              ;   in Loop: Header=BB226_10 Depth=1
	v_mov_b64_e32 v[0:1], 0x8000000000000000
	v_lshrrev_b32_e32 v3, 24, v2
	s_mov_b32 s9, exec_lo
	scratch_store_b64 off, v[0:1], s32 offset:300 ; 8-byte Folded Spill
	s_wait_xcnt 0x0
	v_cmpx_ne_u32_e32 0x80, v3
	s_cbranch_execz .LBB226_201
; %bb.196:                              ;   in Loop: Header=BB226_10 Depth=1
	v_mov_b64_e32 v[0:1], 0x7f80000100000000
	v_bfe_u32 v4, v2, 24, 7
	s_mov_b32 s11, exec_lo
	scratch_store_b64 off, v[0:1], s32 offset:300 ; 8-byte Folded Spill
	s_wait_xcnt 0x0
	v_cmpx_ne_u32_e32 0x7f, v4
	s_cbranch_execz .LBB226_200
; %bb.197:                              ;   in Loop: Header=BB226_10 Depth=1
	scratch_load_b64 v[0:1], off, s32 offset:192 th:TH_LOAD_LU ; 8-byte Folded Reload
	s_wait_loadcnt 0x0
	v_dual_lshrrev_b32 v2, 3, v4 :: v_dual_bitop2_b32 v0, 7, v3 bitop3:0x40
	s_mov_b32 s16, exec_lo
	s_wait_xcnt 0x0
	v_cmpx_gt_u32_e32 8, v4
; %bb.198:                              ;   in Loop: Header=BB226_10 Depth=1
	s_delay_alu instid0(VALU_DEP_2) | instskip(NEXT) | instid1(VALU_DEP_1)
	v_clz_i32_u32_e32 v2, v0
	v_min_u32_e32 v2, 32, v2
	s_delay_alu instid0(VALU_DEP_1) | instskip(NEXT) | instid1(VALU_DEP_1)
	v_subrev_nc_u32_e32 v4, 28, v2
	v_lshlrev_b64_e32 v[4:5], v4, v[0:1]
	s_delay_alu instid0(VALU_DEP_1)
	v_dual_sub_nc_u32 v2, 29, v2 :: v_dual_bitop2_b32 v0, 7, v4 bitop3:0x40
; %bb.199:                              ;   in Loop: Header=BB226_10 Depth=1
	s_or_b32 exec_lo, exec_lo, s16
	s_delay_alu instid0(VALU_DEP_1) | instskip(NEXT) | instid1(VALU_DEP_2)
	v_dual_lshlrev_b32 v3, 24, v3 :: v_dual_lshlrev_b32 v0, 20, v0
	v_lshl_add_u32 v2, v2, 23, 0x3c000000
	v_mov_b32_e32 v4, v1
	s_delay_alu instid0(VALU_DEP_3) | instskip(NEXT) | instid1(VALU_DEP_1)
	v_and_b32_e32 v3, 0x80000000, v3
	v_or3_b32 v5, v0, v3, v2
	v_mov_b32_e32 v3, v1
	s_clause 0x1
	scratch_store_b64 off, v[4:5], s32 offset:300
	scratch_store_b64 off, v[2:3], s32 offset:192
.LBB226_200:                            ;   in Loop: Header=BB226_10 Depth=1
	s_wait_xcnt 0x0
	s_or_b32 exec_lo, exec_lo, s11
.LBB226_201:                            ;   in Loop: Header=BB226_10 Depth=1
	s_delay_alu instid0(SALU_CYCLE_1)
	s_or_b32 exec_lo, exec_lo, s9
.LBB226_202:                            ;   in Loop: Header=BB226_10 Depth=1
	s_delay_alu instid0(SALU_CYCLE_1)
	s_or_b32 exec_lo, exec_lo, s8
	flat_load_b32 v2, v[32:33] offset:520
	v_mov_b64_e32 v[4:5], 0
	s_mov_b32 s8, exec_lo
	scratch_store_b64 off, v[4:5], s32 offset:308 ; 8-byte Folded Spill
	s_wait_xcnt 0x0
	v_mov_b64_e32 v[4:5], 0
	scratch_store_b64 off, v[4:5], s32 offset:560 ; 8-byte Folded Spill
	s_wait_loadcnt_dscnt 0x0
	v_and_b32_e32 v0, 0xff, v2
	s_wait_xcnt 0x0
	s_delay_alu instid0(VALU_DEP_1)
	v_cmpx_ne_u16_e32 0, v0
	s_cbranch_execz .LBB226_210
; %bb.203:                              ;   in Loop: Header=BB226_10 Depth=1
	v_cmp_ne_u16_e64 s1, 0x80, v0
	v_mov_b64_e32 v[0:1], 0x80000000
	s_and_saveexec_b32 s9, s1
	s_cbranch_execz .LBB226_209
; %bb.204:                              ;   in Loop: Header=BB226_10 Depth=1
	v_mov_b64_e32 v[0:1], 0x7f800001
	v_and_b32_e32 v4, 0x7f, v2
	s_mov_b32 s11, exec_lo
	s_delay_alu instid0(VALU_DEP_1)
	v_cmpx_ne_u32_e32 0x7f, v4
	s_cbranch_execz .LBB226_208
; %bb.205:                              ;   in Loop: Header=BB226_10 Depth=1
	scratch_load_b64 v[0:1], off, s32 offset:192 th:TH_LOAD_LU ; 8-byte Folded Reload
	s_wait_loadcnt 0x0
	v_dual_lshrrev_b32 v3, 3, v4 :: v_dual_bitop2_b32 v0, 7, v2 bitop3:0x40
	s_mov_b32 s16, exec_lo
	s_wait_xcnt 0x0
	v_cmpx_gt_u32_e32 8, v4
; %bb.206:                              ;   in Loop: Header=BB226_10 Depth=1
	s_delay_alu instid0(VALU_DEP_2) | instskip(NEXT) | instid1(VALU_DEP_1)
	v_clz_i32_u32_e32 v3, v0
	v_min_u32_e32 v3, 32, v3
	s_delay_alu instid0(VALU_DEP_1) | instskip(NEXT) | instid1(VALU_DEP_1)
	v_subrev_nc_u32_e32 v4, 28, v3
	v_lshlrev_b64_e32 v[4:5], v4, v[0:1]
	s_delay_alu instid0(VALU_DEP_1)
	v_dual_sub_nc_u32 v3, 29, v3 :: v_dual_bitop2_b32 v0, 7, v4 bitop3:0x40
; %bb.207:                              ;   in Loop: Header=BB226_10 Depth=1
	s_or_b32 exec_lo, exec_lo, s16
	s_delay_alu instid0(VALU_DEP_1) | instskip(NEXT) | instid1(VALU_DEP_2)
	v_dual_lshlrev_b32 v4, 24, v2 :: v_dual_lshlrev_b32 v0, 20, v0
	v_lshl_add_u32 v3, v3, 23, 0x3c000000
	s_delay_alu instid0(VALU_DEP_2) | instskip(NEXT) | instid1(VALU_DEP_1)
	v_and_b32_e32 v4, 0x80000000, v4
	v_or3_b32 v0, v0, v4, v3
	v_mov_b32_e32 v3, v1
	scratch_store_b64 off, v[2:3], s32 offset:192 ; 8-byte Folded Spill
.LBB226_208:                            ;   in Loop: Header=BB226_10 Depth=1
	s_wait_xcnt 0x0
	s_or_b32 exec_lo, exec_lo, s11
.LBB226_209:                            ;   in Loop: Header=BB226_10 Depth=1
	s_delay_alu instid0(SALU_CYCLE_1)
	s_or_b32 exec_lo, exec_lo, s9
	scratch_store_b64 off, v[0:1], s32 offset:560 ; 8-byte Folded Spill
.LBB226_210:                            ;   in Loop: Header=BB226_10 Depth=1
	s_wait_xcnt 0x0
	s_or_b32 exec_lo, exec_lo, s8
	v_lshrrev_b16 v0, 8, v2
	s_mov_b32 s8, exec_lo
	s_delay_alu instid0(VALU_DEP_1)
	v_cmpx_ne_u16_e32 0, v0
	s_cbranch_execz .LBB226_218
; %bb.211:                              ;   in Loop: Header=BB226_10 Depth=1
	v_mov_b64_e32 v[4:5], 0x8000000000000000
	s_mov_b32 s9, exec_lo
	scratch_store_b64 off, v[4:5], s32 offset:308 ; 8-byte Folded Spill
	s_wait_xcnt 0x0
	v_cmpx_ne_u16_e32 0x80, v0
	s_cbranch_execz .LBB226_217
; %bb.212:                              ;   in Loop: Header=BB226_10 Depth=1
	v_and_b32_e32 v0, 0xffff, v0
	v_mov_b64_e32 v[6:7], 0x7f80000100000000
	s_mov_b32 s11, exec_lo
	s_delay_alu instid0(VALU_DEP_2)
	v_and_b32_e32 v4, 0x7f, v0
	scratch_store_b64 off, v[6:7], s32 offset:308 ; 8-byte Folded Spill
	s_wait_xcnt 0x0
	v_cmpx_ne_u32_e32 0x7f, v4
	s_cbranch_execz .LBB226_216
; %bb.213:                              ;   in Loop: Header=BB226_10 Depth=1
	scratch_load_b64 v[6:7], off, s32 offset:192 th:TH_LOAD_LU ; 8-byte Folded Reload
	v_lshrrev_b32_e32 v3, 3, v4
	s_mov_b32 s16, exec_lo
	s_wait_loadcnt 0x0
	v_dual_mov_b32 v1, v7 :: v_dual_bitop2_b32 v0, 7, v0 bitop3:0x40
	s_wait_xcnt 0x0
	v_cmpx_gt_u32_e32 8, v4
; %bb.214:                              ;   in Loop: Header=BB226_10 Depth=1
	s_delay_alu instid0(VALU_DEP_2) | instskip(NEXT) | instid1(VALU_DEP_1)
	v_clz_i32_u32_e32 v3, v0
	v_min_u32_e32 v3, 32, v3
	s_delay_alu instid0(VALU_DEP_1) | instskip(NEXT) | instid1(VALU_DEP_1)
	v_subrev_nc_u32_e32 v4, 28, v3
	v_lshlrev_b64_e32 v[4:5], v4, v[0:1]
	s_delay_alu instid0(VALU_DEP_1)
	v_dual_sub_nc_u32 v3, 29, v3 :: v_dual_bitop2_b32 v0, 7, v4 bitop3:0x40
; %bb.215:                              ;   in Loop: Header=BB226_10 Depth=1
	s_or_b32 exec_lo, exec_lo, s16
	s_delay_alu instid0(VALU_DEP_1) | instskip(NEXT) | instid1(VALU_DEP_2)
	v_dual_lshlrev_b32 v4, 16, v2 :: v_dual_lshlrev_b32 v0, 20, v0
	v_lshl_add_u32 v3, v3, 23, 0x3c000000
	s_delay_alu instid0(VALU_DEP_2) | instskip(NEXT) | instid1(VALU_DEP_1)
	v_and_b32_e32 v4, 0x80000000, v4
	v_or3_b32 v5, v0, v4, v3
	v_dual_mov_b32 v3, v1 :: v_dual_mov_b32 v4, v1
	s_clause 0x1
	scratch_store_b64 off, v[2:3], s32 offset:192
	scratch_store_b64 off, v[4:5], s32 offset:308
.LBB226_216:                            ;   in Loop: Header=BB226_10 Depth=1
	s_wait_xcnt 0x0
	s_or_b32 exec_lo, exec_lo, s11
.LBB226_217:                            ;   in Loop: Header=BB226_10 Depth=1
	s_delay_alu instid0(SALU_CYCLE_1)
	s_or_b32 exec_lo, exec_lo, s9
.LBB226_218:                            ;   in Loop: Header=BB226_10 Depth=1
	s_delay_alu instid0(SALU_CYCLE_1) | instskip(SKIP_3) | instid1(VALU_DEP_1)
	s_or_b32 exec_lo, exec_lo, s8
	v_mov_b64_e32 v[4:5], 0
	v_lshrrev_b32_e32 v3, 16, v2
	s_mov_b32 s8, exec_lo
	v_and_b32_e32 v0, 0xff, v3
	scratch_store_b64 off, v[4:5], s32 offset:316 ; 8-byte Folded Spill
	s_wait_xcnt 0x0
	v_mov_b64_e32 v[4:5], 0
	scratch_store_b64 off, v[4:5], s32 offset:568 ; 8-byte Folded Spill
	s_wait_xcnt 0x0
	v_cmpx_ne_u16_e32 0, v0
	s_cbranch_execz .LBB226_226
; %bb.219:                              ;   in Loop: Header=BB226_10 Depth=1
	v_cmp_ne_u16_e64 s1, 0x80, v0
	v_mov_b64_e32 v[0:1], 0x80000000
	s_and_saveexec_b32 s9, s1
	s_cbranch_execz .LBB226_225
; %bb.220:                              ;   in Loop: Header=BB226_10 Depth=1
	v_mov_b64_e32 v[0:1], 0x7f800001
	v_bfe_u32 v5, v2, 16, 7
	s_mov_b32 s11, exec_lo
	s_delay_alu instid0(VALU_DEP_1)
	v_cmpx_ne_u32_e32 0x7f, v5
	s_cbranch_execz .LBB226_224
; %bb.221:                              ;   in Loop: Header=BB226_10 Depth=1
	scratch_load_b64 v[0:1], off, s32 offset:192 th:TH_LOAD_LU ; 8-byte Folded Reload
	s_wait_loadcnt 0x0
	v_dual_lshrrev_b32 v4, 3, v5 :: v_dual_bitop2_b32 v0, 7, v3 bitop3:0x40
	s_mov_b32 s16, exec_lo
	s_wait_xcnt 0x0
	v_cmpx_gt_u32_e32 8, v5
; %bb.222:                              ;   in Loop: Header=BB226_10 Depth=1
	s_delay_alu instid0(VALU_DEP_2) | instskip(NEXT) | instid1(VALU_DEP_1)
	v_clz_i32_u32_e32 v4, v0
	v_min_u32_e32 v4, 32, v4
	s_delay_alu instid0(VALU_DEP_1) | instskip(NEXT) | instid1(VALU_DEP_1)
	v_subrev_nc_u32_e32 v5, 28, v4
	v_lshlrev_b64_e32 v[6:7], v5, v[0:1]
	s_delay_alu instid0(VALU_DEP_1)
	v_dual_sub_nc_u32 v4, 29, v4 :: v_dual_bitop2_b32 v0, 7, v6 bitop3:0x40
; %bb.223:                              ;   in Loop: Header=BB226_10 Depth=1
	s_or_b32 exec_lo, exec_lo, s16
	s_delay_alu instid0(VALU_DEP_1) | instskip(NEXT) | instid1(VALU_DEP_2)
	v_dual_lshlrev_b32 v3, 24, v3 :: v_dual_lshlrev_b32 v0, 20, v0
	v_lshl_add_u32 v4, v4, 23, 0x3c000000
	s_delay_alu instid0(VALU_DEP_2) | instskip(NEXT) | instid1(VALU_DEP_1)
	v_and_b32_e32 v3, 0x80000000, v3
	v_or3_b32 v0, v0, v3, v4
	v_mov_b32_e32 v3, v1
	scratch_store_b64 off, v[2:3], s32 offset:192 ; 8-byte Folded Spill
.LBB226_224:                            ;   in Loop: Header=BB226_10 Depth=1
	s_wait_xcnt 0x0
	s_or_b32 exec_lo, exec_lo, s11
.LBB226_225:                            ;   in Loop: Header=BB226_10 Depth=1
	s_delay_alu instid0(SALU_CYCLE_1)
	s_or_b32 exec_lo, exec_lo, s9
	scratch_store_b64 off, v[0:1], s32 offset:568 ; 8-byte Folded Spill
.LBB226_226:                            ;   in Loop: Header=BB226_10 Depth=1
	s_wait_xcnt 0x0
	s_or_b32 exec_lo, exec_lo, s8
	s_delay_alu instid0(SALU_CYCLE_1)
	s_mov_b32 s8, exec_lo
	v_cmpx_lt_u32_e32 0xffffff, v2
	s_cbranch_execz .LBB226_234
; %bb.227:                              ;   in Loop: Header=BB226_10 Depth=1
	v_mov_b64_e32 v[0:1], 0x8000000000000000
	v_lshrrev_b32_e32 v3, 24, v2
	s_mov_b32 s9, exec_lo
	scratch_store_b64 off, v[0:1], s32 offset:316 ; 8-byte Folded Spill
	s_wait_xcnt 0x0
	v_cmpx_ne_u32_e32 0x80, v3
	s_cbranch_execz .LBB226_233
; %bb.228:                              ;   in Loop: Header=BB226_10 Depth=1
	v_mov_b64_e32 v[0:1], 0x7f80000100000000
	v_bfe_u32 v4, v2, 24, 7
	s_mov_b32 s11, exec_lo
	scratch_store_b64 off, v[0:1], s32 offset:316 ; 8-byte Folded Spill
	s_wait_xcnt 0x0
	v_cmpx_ne_u32_e32 0x7f, v4
	s_cbranch_execz .LBB226_232
; %bb.229:                              ;   in Loop: Header=BB226_10 Depth=1
	scratch_load_b64 v[0:1], off, s32 offset:192 th:TH_LOAD_LU ; 8-byte Folded Reload
	s_wait_loadcnt 0x0
	v_dual_lshrrev_b32 v2, 3, v4 :: v_dual_bitop2_b32 v0, 7, v3 bitop3:0x40
	s_mov_b32 s16, exec_lo
	s_wait_xcnt 0x0
	v_cmpx_gt_u32_e32 8, v4
; %bb.230:                              ;   in Loop: Header=BB226_10 Depth=1
	s_delay_alu instid0(VALU_DEP_2) | instskip(NEXT) | instid1(VALU_DEP_1)
	v_clz_i32_u32_e32 v2, v0
	v_min_u32_e32 v2, 32, v2
	s_delay_alu instid0(VALU_DEP_1) | instskip(NEXT) | instid1(VALU_DEP_1)
	v_subrev_nc_u32_e32 v4, 28, v2
	v_lshlrev_b64_e32 v[4:5], v4, v[0:1]
	s_delay_alu instid0(VALU_DEP_1)
	v_dual_sub_nc_u32 v2, 29, v2 :: v_dual_bitop2_b32 v0, 7, v4 bitop3:0x40
; %bb.231:                              ;   in Loop: Header=BB226_10 Depth=1
	s_or_b32 exec_lo, exec_lo, s16
	s_delay_alu instid0(VALU_DEP_1) | instskip(NEXT) | instid1(VALU_DEP_2)
	v_dual_lshlrev_b32 v3, 24, v3 :: v_dual_lshlrev_b32 v0, 20, v0
	v_lshl_add_u32 v2, v2, 23, 0x3c000000
	v_mov_b32_e32 v4, v1
	s_delay_alu instid0(VALU_DEP_3) | instskip(NEXT) | instid1(VALU_DEP_1)
	v_and_b32_e32 v3, 0x80000000, v3
	v_or3_b32 v5, v0, v3, v2
	v_mov_b32_e32 v3, v1
	s_clause 0x1
	scratch_store_b64 off, v[4:5], s32 offset:316
	scratch_store_b64 off, v[2:3], s32 offset:192
.LBB226_232:                            ;   in Loop: Header=BB226_10 Depth=1
	s_wait_xcnt 0x0
	s_or_b32 exec_lo, exec_lo, s11
.LBB226_233:                            ;   in Loop: Header=BB226_10 Depth=1
	s_delay_alu instid0(SALU_CYCLE_1)
	s_or_b32 exec_lo, exec_lo, s9
.LBB226_234:                            ;   in Loop: Header=BB226_10 Depth=1
	s_delay_alu instid0(SALU_CYCLE_1)
	s_or_b32 exec_lo, exec_lo, s8
	flat_load_b32 v2, v[32:33] offset:524
	v_mov_b64_e32 v[4:5], 0
	s_mov_b32 s8, exec_lo
	scratch_store_b64 off, v[4:5], s32 offset:324 ; 8-byte Folded Spill
	s_wait_xcnt 0x0
	v_mov_b64_e32 v[4:5], 0
	scratch_store_b64 off, v[4:5], s32 offset:576 ; 8-byte Folded Spill
	s_wait_loadcnt_dscnt 0x0
	v_and_b32_e32 v0, 0xff, v2
	s_wait_xcnt 0x0
	s_delay_alu instid0(VALU_DEP_1)
	v_cmpx_ne_u16_e32 0, v0
	s_cbranch_execz .LBB226_242
; %bb.235:                              ;   in Loop: Header=BB226_10 Depth=1
	v_cmp_ne_u16_e64 s1, 0x80, v0
	v_mov_b64_e32 v[0:1], 0x80000000
	s_and_saveexec_b32 s9, s1
	s_cbranch_execz .LBB226_241
; %bb.236:                              ;   in Loop: Header=BB226_10 Depth=1
	v_mov_b64_e32 v[0:1], 0x7f800001
	v_and_b32_e32 v4, 0x7f, v2
	s_mov_b32 s11, exec_lo
	s_delay_alu instid0(VALU_DEP_1)
	v_cmpx_ne_u32_e32 0x7f, v4
	s_cbranch_execz .LBB226_240
; %bb.237:                              ;   in Loop: Header=BB226_10 Depth=1
	scratch_load_b64 v[0:1], off, s32 offset:192 th:TH_LOAD_LU ; 8-byte Folded Reload
	s_wait_loadcnt 0x0
	v_dual_lshrrev_b32 v3, 3, v4 :: v_dual_bitop2_b32 v0, 7, v2 bitop3:0x40
	s_mov_b32 s16, exec_lo
	s_wait_xcnt 0x0
	v_cmpx_gt_u32_e32 8, v4
; %bb.238:                              ;   in Loop: Header=BB226_10 Depth=1
	s_delay_alu instid0(VALU_DEP_2) | instskip(NEXT) | instid1(VALU_DEP_1)
	v_clz_i32_u32_e32 v3, v0
	v_min_u32_e32 v3, 32, v3
	s_delay_alu instid0(VALU_DEP_1) | instskip(NEXT) | instid1(VALU_DEP_1)
	v_subrev_nc_u32_e32 v4, 28, v3
	v_lshlrev_b64_e32 v[4:5], v4, v[0:1]
	s_delay_alu instid0(VALU_DEP_1)
	v_dual_sub_nc_u32 v3, 29, v3 :: v_dual_bitop2_b32 v0, 7, v4 bitop3:0x40
; %bb.239:                              ;   in Loop: Header=BB226_10 Depth=1
	s_or_b32 exec_lo, exec_lo, s16
	s_delay_alu instid0(VALU_DEP_1) | instskip(NEXT) | instid1(VALU_DEP_2)
	v_dual_lshlrev_b32 v4, 24, v2 :: v_dual_lshlrev_b32 v0, 20, v0
	v_lshl_add_u32 v3, v3, 23, 0x3c000000
	s_delay_alu instid0(VALU_DEP_2) | instskip(NEXT) | instid1(VALU_DEP_1)
	v_and_b32_e32 v4, 0x80000000, v4
	v_or3_b32 v0, v0, v4, v3
	v_mov_b32_e32 v3, v1
	scratch_store_b64 off, v[2:3], s32 offset:192 ; 8-byte Folded Spill
.LBB226_240:                            ;   in Loop: Header=BB226_10 Depth=1
	s_wait_xcnt 0x0
	s_or_b32 exec_lo, exec_lo, s11
.LBB226_241:                            ;   in Loop: Header=BB226_10 Depth=1
	s_delay_alu instid0(SALU_CYCLE_1)
	s_or_b32 exec_lo, exec_lo, s9
	scratch_store_b64 off, v[0:1], s32 offset:576 ; 8-byte Folded Spill
.LBB226_242:                            ;   in Loop: Header=BB226_10 Depth=1
	s_wait_xcnt 0x0
	s_or_b32 exec_lo, exec_lo, s8
	v_lshrrev_b16 v0, 8, v2
	s_mov_b32 s8, exec_lo
	s_delay_alu instid0(VALU_DEP_1)
	v_cmpx_ne_u16_e32 0, v0
	s_cbranch_execz .LBB226_250
; %bb.243:                              ;   in Loop: Header=BB226_10 Depth=1
	v_mov_b64_e32 v[4:5], 0x8000000000000000
	s_mov_b32 s9, exec_lo
	scratch_store_b64 off, v[4:5], s32 offset:324 ; 8-byte Folded Spill
	s_wait_xcnt 0x0
	v_cmpx_ne_u16_e32 0x80, v0
	s_cbranch_execz .LBB226_249
; %bb.244:                              ;   in Loop: Header=BB226_10 Depth=1
	v_and_b32_e32 v0, 0xffff, v0
	v_mov_b64_e32 v[6:7], 0x7f80000100000000
	s_mov_b32 s11, exec_lo
	s_delay_alu instid0(VALU_DEP_2)
	v_and_b32_e32 v4, 0x7f, v0
	scratch_store_b64 off, v[6:7], s32 offset:324 ; 8-byte Folded Spill
	s_wait_xcnt 0x0
	v_cmpx_ne_u32_e32 0x7f, v4
	s_cbranch_execz .LBB226_248
; %bb.245:                              ;   in Loop: Header=BB226_10 Depth=1
	scratch_load_b64 v[6:7], off, s32 offset:192 th:TH_LOAD_LU ; 8-byte Folded Reload
	v_lshrrev_b32_e32 v3, 3, v4
	s_mov_b32 s16, exec_lo
	s_wait_loadcnt 0x0
	v_dual_mov_b32 v1, v7 :: v_dual_bitop2_b32 v0, 7, v0 bitop3:0x40
	s_wait_xcnt 0x0
	v_cmpx_gt_u32_e32 8, v4
; %bb.246:                              ;   in Loop: Header=BB226_10 Depth=1
	s_delay_alu instid0(VALU_DEP_2) | instskip(NEXT) | instid1(VALU_DEP_1)
	v_clz_i32_u32_e32 v3, v0
	v_min_u32_e32 v3, 32, v3
	s_delay_alu instid0(VALU_DEP_1) | instskip(NEXT) | instid1(VALU_DEP_1)
	v_subrev_nc_u32_e32 v4, 28, v3
	v_lshlrev_b64_e32 v[4:5], v4, v[0:1]
	s_delay_alu instid0(VALU_DEP_1)
	v_dual_sub_nc_u32 v3, 29, v3 :: v_dual_bitop2_b32 v0, 7, v4 bitop3:0x40
; %bb.247:                              ;   in Loop: Header=BB226_10 Depth=1
	s_or_b32 exec_lo, exec_lo, s16
	s_delay_alu instid0(VALU_DEP_1) | instskip(NEXT) | instid1(VALU_DEP_2)
	v_dual_lshlrev_b32 v4, 16, v2 :: v_dual_lshlrev_b32 v0, 20, v0
	v_lshl_add_u32 v3, v3, 23, 0x3c000000
	s_delay_alu instid0(VALU_DEP_2) | instskip(NEXT) | instid1(VALU_DEP_1)
	v_and_b32_e32 v4, 0x80000000, v4
	v_or3_b32 v5, v0, v4, v3
	v_dual_mov_b32 v3, v1 :: v_dual_mov_b32 v4, v1
	s_clause 0x1
	scratch_store_b64 off, v[2:3], s32 offset:192
	scratch_store_b64 off, v[4:5], s32 offset:324
.LBB226_248:                            ;   in Loop: Header=BB226_10 Depth=1
	s_wait_xcnt 0x0
	s_or_b32 exec_lo, exec_lo, s11
.LBB226_249:                            ;   in Loop: Header=BB226_10 Depth=1
	s_delay_alu instid0(SALU_CYCLE_1)
	s_or_b32 exec_lo, exec_lo, s9
.LBB226_250:                            ;   in Loop: Header=BB226_10 Depth=1
	s_delay_alu instid0(SALU_CYCLE_1) | instskip(SKIP_3) | instid1(VALU_DEP_1)
	s_or_b32 exec_lo, exec_lo, s8
	v_mov_b64_e32 v[4:5], 0
	v_lshrrev_b32_e32 v3, 16, v2
	s_mov_b32 s8, exec_lo
	v_and_b32_e32 v0, 0xff, v3
	scratch_store_b64 off, v[4:5], s32 offset:332 ; 8-byte Folded Spill
	s_wait_xcnt 0x0
	v_mov_b64_e32 v[4:5], 0
	scratch_store_b64 off, v[4:5], s32 offset:584 ; 8-byte Folded Spill
	s_wait_xcnt 0x0
	v_cmpx_ne_u16_e32 0, v0
	s_cbranch_execz .LBB226_258
; %bb.251:                              ;   in Loop: Header=BB226_10 Depth=1
	v_cmp_ne_u16_e64 s1, 0x80, v0
	v_mov_b64_e32 v[0:1], 0x80000000
	s_and_saveexec_b32 s9, s1
	s_cbranch_execz .LBB226_257
; %bb.252:                              ;   in Loop: Header=BB226_10 Depth=1
	v_mov_b64_e32 v[0:1], 0x7f800001
	v_bfe_u32 v5, v2, 16, 7
	s_mov_b32 s11, exec_lo
	s_delay_alu instid0(VALU_DEP_1)
	v_cmpx_ne_u32_e32 0x7f, v5
	s_cbranch_execz .LBB226_256
; %bb.253:                              ;   in Loop: Header=BB226_10 Depth=1
	scratch_load_b64 v[0:1], off, s32 offset:192 th:TH_LOAD_LU ; 8-byte Folded Reload
	s_wait_loadcnt 0x0
	v_dual_lshrrev_b32 v4, 3, v5 :: v_dual_bitop2_b32 v0, 7, v3 bitop3:0x40
	s_mov_b32 s16, exec_lo
	s_wait_xcnt 0x0
	v_cmpx_gt_u32_e32 8, v5
; %bb.254:                              ;   in Loop: Header=BB226_10 Depth=1
	s_delay_alu instid0(VALU_DEP_2) | instskip(NEXT) | instid1(VALU_DEP_1)
	v_clz_i32_u32_e32 v4, v0
	v_min_u32_e32 v4, 32, v4
	s_delay_alu instid0(VALU_DEP_1) | instskip(NEXT) | instid1(VALU_DEP_1)
	v_subrev_nc_u32_e32 v5, 28, v4
	v_lshlrev_b64_e32 v[6:7], v5, v[0:1]
	s_delay_alu instid0(VALU_DEP_1)
	v_dual_sub_nc_u32 v4, 29, v4 :: v_dual_bitop2_b32 v0, 7, v6 bitop3:0x40
; %bb.255:                              ;   in Loop: Header=BB226_10 Depth=1
	s_or_b32 exec_lo, exec_lo, s16
	s_delay_alu instid0(VALU_DEP_1) | instskip(NEXT) | instid1(VALU_DEP_2)
	v_dual_lshlrev_b32 v3, 24, v3 :: v_dual_lshlrev_b32 v0, 20, v0
	v_lshl_add_u32 v4, v4, 23, 0x3c000000
	s_delay_alu instid0(VALU_DEP_2) | instskip(NEXT) | instid1(VALU_DEP_1)
	v_and_b32_e32 v3, 0x80000000, v3
	v_or3_b32 v0, v0, v3, v4
	v_mov_b32_e32 v3, v1
	scratch_store_b64 off, v[2:3], s32 offset:192 ; 8-byte Folded Spill
.LBB226_256:                            ;   in Loop: Header=BB226_10 Depth=1
	s_wait_xcnt 0x0
	s_or_b32 exec_lo, exec_lo, s11
.LBB226_257:                            ;   in Loop: Header=BB226_10 Depth=1
	s_delay_alu instid0(SALU_CYCLE_1)
	s_or_b32 exec_lo, exec_lo, s9
	scratch_store_b64 off, v[0:1], s32 offset:584 ; 8-byte Folded Spill
.LBB226_258:                            ;   in Loop: Header=BB226_10 Depth=1
	s_wait_xcnt 0x0
	s_or_b32 exec_lo, exec_lo, s8
	s_delay_alu instid0(SALU_CYCLE_1)
	s_mov_b32 s8, exec_lo
	v_cmpx_lt_u32_e32 0xffffff, v2
	s_cbranch_execz .LBB226_266
; %bb.259:                              ;   in Loop: Header=BB226_10 Depth=1
	v_mov_b64_e32 v[0:1], 0x8000000000000000
	v_lshrrev_b32_e32 v3, 24, v2
	s_mov_b32 s9, exec_lo
	scratch_store_b64 off, v[0:1], s32 offset:332 ; 8-byte Folded Spill
	s_wait_xcnt 0x0
	v_cmpx_ne_u32_e32 0x80, v3
	s_cbranch_execz .LBB226_265
; %bb.260:                              ;   in Loop: Header=BB226_10 Depth=1
	v_mov_b64_e32 v[0:1], 0x7f80000100000000
	v_bfe_u32 v4, v2, 24, 7
	s_mov_b32 s11, exec_lo
	scratch_store_b64 off, v[0:1], s32 offset:332 ; 8-byte Folded Spill
	s_wait_xcnt 0x0
	v_cmpx_ne_u32_e32 0x7f, v4
	s_cbranch_execz .LBB226_264
; %bb.261:                              ;   in Loop: Header=BB226_10 Depth=1
	scratch_load_b64 v[0:1], off, s32 offset:192 th:TH_LOAD_LU ; 8-byte Folded Reload
	s_wait_loadcnt 0x0
	v_dual_lshrrev_b32 v2, 3, v4 :: v_dual_bitop2_b32 v0, 7, v3 bitop3:0x40
	s_mov_b32 s16, exec_lo
	s_wait_xcnt 0x0
	v_cmpx_gt_u32_e32 8, v4
; %bb.262:                              ;   in Loop: Header=BB226_10 Depth=1
	s_delay_alu instid0(VALU_DEP_2) | instskip(NEXT) | instid1(VALU_DEP_1)
	v_clz_i32_u32_e32 v2, v0
	v_min_u32_e32 v2, 32, v2
	s_delay_alu instid0(VALU_DEP_1) | instskip(NEXT) | instid1(VALU_DEP_1)
	v_subrev_nc_u32_e32 v4, 28, v2
	v_lshlrev_b64_e32 v[4:5], v4, v[0:1]
	s_delay_alu instid0(VALU_DEP_1)
	v_dual_sub_nc_u32 v2, 29, v2 :: v_dual_bitop2_b32 v0, 7, v4 bitop3:0x40
; %bb.263:                              ;   in Loop: Header=BB226_10 Depth=1
	s_or_b32 exec_lo, exec_lo, s16
	s_delay_alu instid0(VALU_DEP_1) | instskip(NEXT) | instid1(VALU_DEP_2)
	v_dual_lshlrev_b32 v3, 24, v3 :: v_dual_lshlrev_b32 v0, 20, v0
	v_lshl_add_u32 v2, v2, 23, 0x3c000000
	v_mov_b32_e32 v4, v1
	s_delay_alu instid0(VALU_DEP_3) | instskip(NEXT) | instid1(VALU_DEP_1)
	v_and_b32_e32 v3, 0x80000000, v3
	v_or3_b32 v5, v0, v3, v2
	v_mov_b32_e32 v3, v1
	s_clause 0x1
	scratch_store_b64 off, v[4:5], s32 offset:332
	scratch_store_b64 off, v[2:3], s32 offset:192
.LBB226_264:                            ;   in Loop: Header=BB226_10 Depth=1
	s_wait_xcnt 0x0
	s_or_b32 exec_lo, exec_lo, s11
.LBB226_265:                            ;   in Loop: Header=BB226_10 Depth=1
	s_delay_alu instid0(SALU_CYCLE_1)
	s_or_b32 exec_lo, exec_lo, s9
.LBB226_266:                            ;   in Loop: Header=BB226_10 Depth=1
	s_delay_alu instid0(SALU_CYCLE_1)
	s_or_b32 exec_lo, exec_lo, s8
	flat_load_b32 v2, v[32:33] offset:1024
	v_mov_b64_e32 v[4:5], 0
	s_mov_b32 s8, exec_lo
	scratch_store_b64 off, v[4:5], s32 offset:340 ; 8-byte Folded Spill
	s_wait_xcnt 0x0
	v_mov_b64_e32 v[4:5], 0
	scratch_store_b64 off, v[4:5], s32 offset:592 ; 8-byte Folded Spill
	s_wait_loadcnt_dscnt 0x0
	v_and_b32_e32 v0, 0xff, v2
	s_wait_xcnt 0x0
	s_delay_alu instid0(VALU_DEP_1)
	v_cmpx_ne_u16_e32 0, v0
	s_cbranch_execz .LBB226_274
; %bb.267:                              ;   in Loop: Header=BB226_10 Depth=1
	v_cmp_ne_u16_e64 s1, 0x80, v0
	v_mov_b64_e32 v[0:1], 0x80000000
	s_and_saveexec_b32 s9, s1
	s_cbranch_execz .LBB226_273
; %bb.268:                              ;   in Loop: Header=BB226_10 Depth=1
	v_mov_b64_e32 v[0:1], 0x7f800001
	v_and_b32_e32 v4, 0x7f, v2
	s_mov_b32 s11, exec_lo
	s_delay_alu instid0(VALU_DEP_1)
	v_cmpx_ne_u32_e32 0x7f, v4
	s_cbranch_execz .LBB226_272
; %bb.269:                              ;   in Loop: Header=BB226_10 Depth=1
	scratch_load_b64 v[0:1], off, s32 offset:192 th:TH_LOAD_LU ; 8-byte Folded Reload
	s_wait_loadcnt 0x0
	v_dual_lshrrev_b32 v3, 3, v4 :: v_dual_bitop2_b32 v0, 7, v2 bitop3:0x40
	s_mov_b32 s16, exec_lo
	s_wait_xcnt 0x0
	v_cmpx_gt_u32_e32 8, v4
; %bb.270:                              ;   in Loop: Header=BB226_10 Depth=1
	s_delay_alu instid0(VALU_DEP_2) | instskip(NEXT) | instid1(VALU_DEP_1)
	v_clz_i32_u32_e32 v3, v0
	v_min_u32_e32 v3, 32, v3
	s_delay_alu instid0(VALU_DEP_1) | instskip(NEXT) | instid1(VALU_DEP_1)
	v_subrev_nc_u32_e32 v4, 28, v3
	v_lshlrev_b64_e32 v[4:5], v4, v[0:1]
	s_delay_alu instid0(VALU_DEP_1)
	v_dual_sub_nc_u32 v3, 29, v3 :: v_dual_bitop2_b32 v0, 7, v4 bitop3:0x40
; %bb.271:                              ;   in Loop: Header=BB226_10 Depth=1
	s_or_b32 exec_lo, exec_lo, s16
	s_delay_alu instid0(VALU_DEP_1) | instskip(NEXT) | instid1(VALU_DEP_2)
	v_dual_lshlrev_b32 v4, 24, v2 :: v_dual_lshlrev_b32 v0, 20, v0
	v_lshl_add_u32 v3, v3, 23, 0x3c000000
	s_delay_alu instid0(VALU_DEP_2) | instskip(NEXT) | instid1(VALU_DEP_1)
	v_and_b32_e32 v4, 0x80000000, v4
	v_or3_b32 v0, v0, v4, v3
	v_mov_b32_e32 v3, v1
	scratch_store_b64 off, v[2:3], s32 offset:192 ; 8-byte Folded Spill
.LBB226_272:                            ;   in Loop: Header=BB226_10 Depth=1
	s_wait_xcnt 0x0
	s_or_b32 exec_lo, exec_lo, s11
.LBB226_273:                            ;   in Loop: Header=BB226_10 Depth=1
	s_delay_alu instid0(SALU_CYCLE_1)
	s_or_b32 exec_lo, exec_lo, s9
	scratch_store_b64 off, v[0:1], s32 offset:592 ; 8-byte Folded Spill
.LBB226_274:                            ;   in Loop: Header=BB226_10 Depth=1
	s_wait_xcnt 0x0
	s_or_b32 exec_lo, exec_lo, s8
	v_lshrrev_b16 v0, 8, v2
	s_mov_b32 s8, exec_lo
	s_delay_alu instid0(VALU_DEP_1)
	v_cmpx_ne_u16_e32 0, v0
	s_cbranch_execz .LBB226_282
; %bb.275:                              ;   in Loop: Header=BB226_10 Depth=1
	v_mov_b64_e32 v[4:5], 0x8000000000000000
	s_mov_b32 s9, exec_lo
	scratch_store_b64 off, v[4:5], s32 offset:340 ; 8-byte Folded Spill
	s_wait_xcnt 0x0
	v_cmpx_ne_u16_e32 0x80, v0
	s_cbranch_execz .LBB226_281
; %bb.276:                              ;   in Loop: Header=BB226_10 Depth=1
	v_and_b32_e32 v0, 0xffff, v0
	v_mov_b64_e32 v[6:7], 0x7f80000100000000
	s_mov_b32 s11, exec_lo
	s_delay_alu instid0(VALU_DEP_2)
	v_and_b32_e32 v4, 0x7f, v0
	scratch_store_b64 off, v[6:7], s32 offset:340 ; 8-byte Folded Spill
	s_wait_xcnt 0x0
	v_cmpx_ne_u32_e32 0x7f, v4
	s_cbranch_execz .LBB226_280
; %bb.277:                              ;   in Loop: Header=BB226_10 Depth=1
	scratch_load_b64 v[6:7], off, s32 offset:192 th:TH_LOAD_LU ; 8-byte Folded Reload
	v_lshrrev_b32_e32 v3, 3, v4
	s_mov_b32 s16, exec_lo
	s_wait_loadcnt 0x0
	v_dual_mov_b32 v1, v7 :: v_dual_bitop2_b32 v0, 7, v0 bitop3:0x40
	s_wait_xcnt 0x0
	v_cmpx_gt_u32_e32 8, v4
; %bb.278:                              ;   in Loop: Header=BB226_10 Depth=1
	s_delay_alu instid0(VALU_DEP_2) | instskip(NEXT) | instid1(VALU_DEP_1)
	v_clz_i32_u32_e32 v3, v0
	v_min_u32_e32 v3, 32, v3
	s_delay_alu instid0(VALU_DEP_1) | instskip(NEXT) | instid1(VALU_DEP_1)
	v_subrev_nc_u32_e32 v4, 28, v3
	v_lshlrev_b64_e32 v[4:5], v4, v[0:1]
	s_delay_alu instid0(VALU_DEP_1)
	v_dual_sub_nc_u32 v3, 29, v3 :: v_dual_bitop2_b32 v0, 7, v4 bitop3:0x40
; %bb.279:                              ;   in Loop: Header=BB226_10 Depth=1
	s_or_b32 exec_lo, exec_lo, s16
	s_delay_alu instid0(VALU_DEP_1) | instskip(NEXT) | instid1(VALU_DEP_2)
	v_dual_lshlrev_b32 v4, 16, v2 :: v_dual_lshlrev_b32 v0, 20, v0
	v_lshl_add_u32 v3, v3, 23, 0x3c000000
	s_delay_alu instid0(VALU_DEP_2) | instskip(NEXT) | instid1(VALU_DEP_1)
	v_and_b32_e32 v4, 0x80000000, v4
	v_or3_b32 v5, v0, v4, v3
	v_dual_mov_b32 v3, v1 :: v_dual_mov_b32 v4, v1
	s_clause 0x1
	scratch_store_b64 off, v[2:3], s32 offset:192
	scratch_store_b64 off, v[4:5], s32 offset:340
.LBB226_280:                            ;   in Loop: Header=BB226_10 Depth=1
	s_wait_xcnt 0x0
	s_or_b32 exec_lo, exec_lo, s11
.LBB226_281:                            ;   in Loop: Header=BB226_10 Depth=1
	s_delay_alu instid0(SALU_CYCLE_1)
	s_or_b32 exec_lo, exec_lo, s9
.LBB226_282:                            ;   in Loop: Header=BB226_10 Depth=1
	s_delay_alu instid0(SALU_CYCLE_1) | instskip(SKIP_3) | instid1(VALU_DEP_1)
	s_or_b32 exec_lo, exec_lo, s8
	v_mov_b64_e32 v[4:5], 0
	v_lshrrev_b32_e32 v3, 16, v2
	s_mov_b32 s8, exec_lo
	v_and_b32_e32 v0, 0xff, v3
	scratch_store_b64 off, v[4:5], s32 offset:348 ; 8-byte Folded Spill
	s_wait_xcnt 0x0
	v_mov_b64_e32 v[4:5], 0
	scratch_store_b64 off, v[4:5], s32 offset:600 ; 8-byte Folded Spill
	s_wait_xcnt 0x0
	v_cmpx_ne_u16_e32 0, v0
	s_cbranch_execz .LBB226_290
; %bb.283:                              ;   in Loop: Header=BB226_10 Depth=1
	v_cmp_ne_u16_e64 s1, 0x80, v0
	v_mov_b64_e32 v[0:1], 0x80000000
	s_and_saveexec_b32 s9, s1
	s_cbranch_execz .LBB226_289
; %bb.284:                              ;   in Loop: Header=BB226_10 Depth=1
	v_mov_b64_e32 v[0:1], 0x7f800001
	v_bfe_u32 v5, v2, 16, 7
	s_mov_b32 s11, exec_lo
	s_delay_alu instid0(VALU_DEP_1)
	v_cmpx_ne_u32_e32 0x7f, v5
	s_cbranch_execz .LBB226_288
; %bb.285:                              ;   in Loop: Header=BB226_10 Depth=1
	scratch_load_b64 v[0:1], off, s32 offset:192 th:TH_LOAD_LU ; 8-byte Folded Reload
	s_wait_loadcnt 0x0
	v_dual_lshrrev_b32 v4, 3, v5 :: v_dual_bitop2_b32 v0, 7, v3 bitop3:0x40
	s_mov_b32 s16, exec_lo
	s_wait_xcnt 0x0
	v_cmpx_gt_u32_e32 8, v5
; %bb.286:                              ;   in Loop: Header=BB226_10 Depth=1
	s_delay_alu instid0(VALU_DEP_2) | instskip(NEXT) | instid1(VALU_DEP_1)
	v_clz_i32_u32_e32 v4, v0
	v_min_u32_e32 v4, 32, v4
	s_delay_alu instid0(VALU_DEP_1) | instskip(NEXT) | instid1(VALU_DEP_1)
	v_subrev_nc_u32_e32 v5, 28, v4
	v_lshlrev_b64_e32 v[6:7], v5, v[0:1]
	s_delay_alu instid0(VALU_DEP_1)
	v_dual_sub_nc_u32 v4, 29, v4 :: v_dual_bitop2_b32 v0, 7, v6 bitop3:0x40
; %bb.287:                              ;   in Loop: Header=BB226_10 Depth=1
	s_or_b32 exec_lo, exec_lo, s16
	s_delay_alu instid0(VALU_DEP_1) | instskip(NEXT) | instid1(VALU_DEP_2)
	v_dual_lshlrev_b32 v3, 24, v3 :: v_dual_lshlrev_b32 v0, 20, v0
	v_lshl_add_u32 v4, v4, 23, 0x3c000000
	s_delay_alu instid0(VALU_DEP_2) | instskip(NEXT) | instid1(VALU_DEP_1)
	v_and_b32_e32 v3, 0x80000000, v3
	v_or3_b32 v0, v0, v3, v4
	v_mov_b32_e32 v3, v1
	scratch_store_b64 off, v[2:3], s32 offset:192 ; 8-byte Folded Spill
.LBB226_288:                            ;   in Loop: Header=BB226_10 Depth=1
	s_wait_xcnt 0x0
	s_or_b32 exec_lo, exec_lo, s11
.LBB226_289:                            ;   in Loop: Header=BB226_10 Depth=1
	s_delay_alu instid0(SALU_CYCLE_1)
	s_or_b32 exec_lo, exec_lo, s9
	scratch_store_b64 off, v[0:1], s32 offset:600 ; 8-byte Folded Spill
.LBB226_290:                            ;   in Loop: Header=BB226_10 Depth=1
	s_wait_xcnt 0x0
	s_or_b32 exec_lo, exec_lo, s8
	s_delay_alu instid0(SALU_CYCLE_1)
	s_mov_b32 s8, exec_lo
	v_cmpx_lt_u32_e32 0xffffff, v2
	s_cbranch_execz .LBB226_298
; %bb.291:                              ;   in Loop: Header=BB226_10 Depth=1
	v_mov_b64_e32 v[0:1], 0x8000000000000000
	v_lshrrev_b32_e32 v3, 24, v2
	s_mov_b32 s9, exec_lo
	scratch_store_b64 off, v[0:1], s32 offset:348 ; 8-byte Folded Spill
	s_wait_xcnt 0x0
	v_cmpx_ne_u32_e32 0x80, v3
	s_cbranch_execz .LBB226_297
; %bb.292:                              ;   in Loop: Header=BB226_10 Depth=1
	v_mov_b64_e32 v[0:1], 0x7f80000100000000
	v_bfe_u32 v4, v2, 24, 7
	s_mov_b32 s11, exec_lo
	scratch_store_b64 off, v[0:1], s32 offset:348 ; 8-byte Folded Spill
	s_wait_xcnt 0x0
	v_cmpx_ne_u32_e32 0x7f, v4
	s_cbranch_execz .LBB226_296
; %bb.293:                              ;   in Loop: Header=BB226_10 Depth=1
	scratch_load_b64 v[0:1], off, s32 offset:192 th:TH_LOAD_LU ; 8-byte Folded Reload
	s_wait_loadcnt 0x0
	v_dual_lshrrev_b32 v2, 3, v4 :: v_dual_bitop2_b32 v0, 7, v3 bitop3:0x40
	s_mov_b32 s16, exec_lo
	s_wait_xcnt 0x0
	v_cmpx_gt_u32_e32 8, v4
; %bb.294:                              ;   in Loop: Header=BB226_10 Depth=1
	s_delay_alu instid0(VALU_DEP_2) | instskip(NEXT) | instid1(VALU_DEP_1)
	v_clz_i32_u32_e32 v2, v0
	v_min_u32_e32 v2, 32, v2
	s_delay_alu instid0(VALU_DEP_1) | instskip(NEXT) | instid1(VALU_DEP_1)
	v_subrev_nc_u32_e32 v4, 28, v2
	v_lshlrev_b64_e32 v[4:5], v4, v[0:1]
	s_delay_alu instid0(VALU_DEP_1)
	v_dual_sub_nc_u32 v2, 29, v2 :: v_dual_bitop2_b32 v0, 7, v4 bitop3:0x40
; %bb.295:                              ;   in Loop: Header=BB226_10 Depth=1
	s_or_b32 exec_lo, exec_lo, s16
	s_delay_alu instid0(VALU_DEP_1) | instskip(NEXT) | instid1(VALU_DEP_2)
	v_dual_lshlrev_b32 v3, 24, v3 :: v_dual_lshlrev_b32 v0, 20, v0
	v_lshl_add_u32 v2, v2, 23, 0x3c000000
	v_mov_b32_e32 v4, v1
	s_delay_alu instid0(VALU_DEP_3) | instskip(NEXT) | instid1(VALU_DEP_1)
	v_and_b32_e32 v3, 0x80000000, v3
	v_or3_b32 v5, v0, v3, v2
	v_mov_b32_e32 v3, v1
	s_clause 0x1
	scratch_store_b64 off, v[4:5], s32 offset:348
	scratch_store_b64 off, v[2:3], s32 offset:192
.LBB226_296:                            ;   in Loop: Header=BB226_10 Depth=1
	s_wait_xcnt 0x0
	s_or_b32 exec_lo, exec_lo, s11
.LBB226_297:                            ;   in Loop: Header=BB226_10 Depth=1
	s_delay_alu instid0(SALU_CYCLE_1)
	s_or_b32 exec_lo, exec_lo, s9
.LBB226_298:                            ;   in Loop: Header=BB226_10 Depth=1
	s_delay_alu instid0(SALU_CYCLE_1)
	s_or_b32 exec_lo, exec_lo, s8
	flat_load_b32 v2, v[32:33] offset:1028
	v_mov_b64_e32 v[4:5], 0
	s_mov_b32 s8, exec_lo
	scratch_store_b64 off, v[4:5], s32 offset:356 ; 8-byte Folded Spill
	s_wait_xcnt 0x0
	v_mov_b64_e32 v[4:5], 0
	scratch_store_b64 off, v[4:5], s32 offset:608 ; 8-byte Folded Spill
	s_wait_loadcnt_dscnt 0x0
	v_and_b32_e32 v0, 0xff, v2
	s_wait_xcnt 0x0
	s_delay_alu instid0(VALU_DEP_1)
	v_cmpx_ne_u16_e32 0, v0
	s_cbranch_execz .LBB226_306
; %bb.299:                              ;   in Loop: Header=BB226_10 Depth=1
	v_cmp_ne_u16_e64 s1, 0x80, v0
	v_mov_b64_e32 v[0:1], 0x80000000
	s_and_saveexec_b32 s9, s1
	s_cbranch_execz .LBB226_305
; %bb.300:                              ;   in Loop: Header=BB226_10 Depth=1
	v_mov_b64_e32 v[0:1], 0x7f800001
	v_and_b32_e32 v4, 0x7f, v2
	s_mov_b32 s11, exec_lo
	s_delay_alu instid0(VALU_DEP_1)
	v_cmpx_ne_u32_e32 0x7f, v4
	s_cbranch_execz .LBB226_304
; %bb.301:                              ;   in Loop: Header=BB226_10 Depth=1
	scratch_load_b64 v[0:1], off, s32 offset:192 th:TH_LOAD_LU ; 8-byte Folded Reload
	s_wait_loadcnt 0x0
	v_dual_lshrrev_b32 v3, 3, v4 :: v_dual_bitop2_b32 v0, 7, v2 bitop3:0x40
	s_mov_b32 s16, exec_lo
	s_wait_xcnt 0x0
	v_cmpx_gt_u32_e32 8, v4
; %bb.302:                              ;   in Loop: Header=BB226_10 Depth=1
	s_delay_alu instid0(VALU_DEP_2) | instskip(NEXT) | instid1(VALU_DEP_1)
	v_clz_i32_u32_e32 v3, v0
	v_min_u32_e32 v3, 32, v3
	s_delay_alu instid0(VALU_DEP_1) | instskip(NEXT) | instid1(VALU_DEP_1)
	v_subrev_nc_u32_e32 v4, 28, v3
	v_lshlrev_b64_e32 v[4:5], v4, v[0:1]
	s_delay_alu instid0(VALU_DEP_1)
	v_dual_sub_nc_u32 v3, 29, v3 :: v_dual_bitop2_b32 v0, 7, v4 bitop3:0x40
; %bb.303:                              ;   in Loop: Header=BB226_10 Depth=1
	s_or_b32 exec_lo, exec_lo, s16
	s_delay_alu instid0(VALU_DEP_1) | instskip(NEXT) | instid1(VALU_DEP_2)
	v_dual_lshlrev_b32 v4, 24, v2 :: v_dual_lshlrev_b32 v0, 20, v0
	v_lshl_add_u32 v3, v3, 23, 0x3c000000
	s_delay_alu instid0(VALU_DEP_2) | instskip(NEXT) | instid1(VALU_DEP_1)
	v_and_b32_e32 v4, 0x80000000, v4
	v_or3_b32 v0, v0, v4, v3
	v_mov_b32_e32 v3, v1
	scratch_store_b64 off, v[2:3], s32 offset:192 ; 8-byte Folded Spill
.LBB226_304:                            ;   in Loop: Header=BB226_10 Depth=1
	s_wait_xcnt 0x0
	s_or_b32 exec_lo, exec_lo, s11
.LBB226_305:                            ;   in Loop: Header=BB226_10 Depth=1
	s_delay_alu instid0(SALU_CYCLE_1)
	s_or_b32 exec_lo, exec_lo, s9
	scratch_store_b64 off, v[0:1], s32 offset:608 ; 8-byte Folded Spill
.LBB226_306:                            ;   in Loop: Header=BB226_10 Depth=1
	s_wait_xcnt 0x0
	s_or_b32 exec_lo, exec_lo, s8
	v_lshrrev_b16 v0, 8, v2
	s_mov_b32 s8, exec_lo
	s_delay_alu instid0(VALU_DEP_1)
	v_cmpx_ne_u16_e32 0, v0
	s_cbranch_execz .LBB226_314
; %bb.307:                              ;   in Loop: Header=BB226_10 Depth=1
	v_mov_b64_e32 v[4:5], 0x8000000000000000
	s_mov_b32 s9, exec_lo
	scratch_store_b64 off, v[4:5], s32 offset:356 ; 8-byte Folded Spill
	s_wait_xcnt 0x0
	v_cmpx_ne_u16_e32 0x80, v0
	s_cbranch_execz .LBB226_313
; %bb.308:                              ;   in Loop: Header=BB226_10 Depth=1
	v_and_b32_e32 v0, 0xffff, v0
	v_mov_b64_e32 v[6:7], 0x7f80000100000000
	s_mov_b32 s11, exec_lo
	s_delay_alu instid0(VALU_DEP_2)
	v_and_b32_e32 v4, 0x7f, v0
	scratch_store_b64 off, v[6:7], s32 offset:356 ; 8-byte Folded Spill
	s_wait_xcnt 0x0
	v_cmpx_ne_u32_e32 0x7f, v4
	s_cbranch_execz .LBB226_312
; %bb.309:                              ;   in Loop: Header=BB226_10 Depth=1
	scratch_load_b64 v[6:7], off, s32 offset:192 th:TH_LOAD_LU ; 8-byte Folded Reload
	v_lshrrev_b32_e32 v3, 3, v4
	s_mov_b32 s16, exec_lo
	s_wait_loadcnt 0x0
	v_dual_mov_b32 v1, v7 :: v_dual_bitop2_b32 v0, 7, v0 bitop3:0x40
	s_wait_xcnt 0x0
	v_cmpx_gt_u32_e32 8, v4
; %bb.310:                              ;   in Loop: Header=BB226_10 Depth=1
	s_delay_alu instid0(VALU_DEP_2) | instskip(NEXT) | instid1(VALU_DEP_1)
	v_clz_i32_u32_e32 v3, v0
	v_min_u32_e32 v3, 32, v3
	s_delay_alu instid0(VALU_DEP_1) | instskip(NEXT) | instid1(VALU_DEP_1)
	v_subrev_nc_u32_e32 v4, 28, v3
	v_lshlrev_b64_e32 v[4:5], v4, v[0:1]
	s_delay_alu instid0(VALU_DEP_1)
	v_dual_sub_nc_u32 v3, 29, v3 :: v_dual_bitop2_b32 v0, 7, v4 bitop3:0x40
; %bb.311:                              ;   in Loop: Header=BB226_10 Depth=1
	s_or_b32 exec_lo, exec_lo, s16
	s_delay_alu instid0(VALU_DEP_1) | instskip(NEXT) | instid1(VALU_DEP_2)
	v_dual_lshlrev_b32 v4, 16, v2 :: v_dual_lshlrev_b32 v0, 20, v0
	v_lshl_add_u32 v3, v3, 23, 0x3c000000
	s_delay_alu instid0(VALU_DEP_2) | instskip(NEXT) | instid1(VALU_DEP_1)
	v_and_b32_e32 v4, 0x80000000, v4
	v_or3_b32 v5, v0, v4, v3
	v_dual_mov_b32 v3, v1 :: v_dual_mov_b32 v4, v1
	s_clause 0x1
	scratch_store_b64 off, v[2:3], s32 offset:192
	scratch_store_b64 off, v[4:5], s32 offset:356
.LBB226_312:                            ;   in Loop: Header=BB226_10 Depth=1
	s_wait_xcnt 0x0
	s_or_b32 exec_lo, exec_lo, s11
.LBB226_313:                            ;   in Loop: Header=BB226_10 Depth=1
	s_delay_alu instid0(SALU_CYCLE_1)
	s_or_b32 exec_lo, exec_lo, s9
.LBB226_314:                            ;   in Loop: Header=BB226_10 Depth=1
	s_delay_alu instid0(SALU_CYCLE_1) | instskip(SKIP_3) | instid1(VALU_DEP_1)
	s_or_b32 exec_lo, exec_lo, s8
	v_mov_b64_e32 v[4:5], 0
	v_lshrrev_b32_e32 v3, 16, v2
	s_mov_b32 s8, exec_lo
	v_and_b32_e32 v0, 0xff, v3
	scratch_store_b64 off, v[4:5], s32 offset:364 ; 8-byte Folded Spill
	s_wait_xcnt 0x0
	v_mov_b64_e32 v[4:5], 0
	scratch_store_b64 off, v[4:5], s32 offset:616 ; 8-byte Folded Spill
	s_wait_xcnt 0x0
	v_cmpx_ne_u16_e32 0, v0
	s_cbranch_execz .LBB226_322
; %bb.315:                              ;   in Loop: Header=BB226_10 Depth=1
	v_cmp_ne_u16_e64 s1, 0x80, v0
	v_mov_b64_e32 v[0:1], 0x80000000
	s_and_saveexec_b32 s9, s1
	s_cbranch_execz .LBB226_321
; %bb.316:                              ;   in Loop: Header=BB226_10 Depth=1
	v_mov_b64_e32 v[0:1], 0x7f800001
	v_bfe_u32 v5, v2, 16, 7
	s_mov_b32 s11, exec_lo
	s_delay_alu instid0(VALU_DEP_1)
	v_cmpx_ne_u32_e32 0x7f, v5
	s_cbranch_execz .LBB226_320
; %bb.317:                              ;   in Loop: Header=BB226_10 Depth=1
	scratch_load_b64 v[0:1], off, s32 offset:192 th:TH_LOAD_LU ; 8-byte Folded Reload
	s_wait_loadcnt 0x0
	v_dual_lshrrev_b32 v4, 3, v5 :: v_dual_bitop2_b32 v0, 7, v3 bitop3:0x40
	s_mov_b32 s16, exec_lo
	s_wait_xcnt 0x0
	v_cmpx_gt_u32_e32 8, v5
; %bb.318:                              ;   in Loop: Header=BB226_10 Depth=1
	s_delay_alu instid0(VALU_DEP_2) | instskip(NEXT) | instid1(VALU_DEP_1)
	v_clz_i32_u32_e32 v4, v0
	v_min_u32_e32 v4, 32, v4
	s_delay_alu instid0(VALU_DEP_1) | instskip(NEXT) | instid1(VALU_DEP_1)
	v_subrev_nc_u32_e32 v5, 28, v4
	v_lshlrev_b64_e32 v[6:7], v5, v[0:1]
	s_delay_alu instid0(VALU_DEP_1)
	v_dual_sub_nc_u32 v4, 29, v4 :: v_dual_bitop2_b32 v0, 7, v6 bitop3:0x40
; %bb.319:                              ;   in Loop: Header=BB226_10 Depth=1
	s_or_b32 exec_lo, exec_lo, s16
	s_delay_alu instid0(VALU_DEP_1) | instskip(NEXT) | instid1(VALU_DEP_2)
	v_dual_lshlrev_b32 v3, 24, v3 :: v_dual_lshlrev_b32 v0, 20, v0
	v_lshl_add_u32 v4, v4, 23, 0x3c000000
	s_delay_alu instid0(VALU_DEP_2) | instskip(NEXT) | instid1(VALU_DEP_1)
	v_and_b32_e32 v3, 0x80000000, v3
	v_or3_b32 v0, v0, v3, v4
	v_mov_b32_e32 v3, v1
	scratch_store_b64 off, v[2:3], s32 offset:192 ; 8-byte Folded Spill
.LBB226_320:                            ;   in Loop: Header=BB226_10 Depth=1
	s_wait_xcnt 0x0
	s_or_b32 exec_lo, exec_lo, s11
.LBB226_321:                            ;   in Loop: Header=BB226_10 Depth=1
	s_delay_alu instid0(SALU_CYCLE_1)
	s_or_b32 exec_lo, exec_lo, s9
	scratch_store_b64 off, v[0:1], s32 offset:616 ; 8-byte Folded Spill
.LBB226_322:                            ;   in Loop: Header=BB226_10 Depth=1
	s_wait_xcnt 0x0
	s_or_b32 exec_lo, exec_lo, s8
	s_delay_alu instid0(SALU_CYCLE_1)
	s_mov_b32 s8, exec_lo
	v_cmpx_lt_u32_e32 0xffffff, v2
	s_cbranch_execz .LBB226_330
; %bb.323:                              ;   in Loop: Header=BB226_10 Depth=1
	v_mov_b64_e32 v[0:1], 0x8000000000000000
	v_lshrrev_b32_e32 v3, 24, v2
	s_mov_b32 s9, exec_lo
	scratch_store_b64 off, v[0:1], s32 offset:364 ; 8-byte Folded Spill
	s_wait_xcnt 0x0
	v_cmpx_ne_u32_e32 0x80, v3
	s_cbranch_execz .LBB226_329
; %bb.324:                              ;   in Loop: Header=BB226_10 Depth=1
	v_mov_b64_e32 v[0:1], 0x7f80000100000000
	v_bfe_u32 v4, v2, 24, 7
	s_mov_b32 s11, exec_lo
	scratch_store_b64 off, v[0:1], s32 offset:364 ; 8-byte Folded Spill
	s_wait_xcnt 0x0
	v_cmpx_ne_u32_e32 0x7f, v4
	s_cbranch_execz .LBB226_328
; %bb.325:                              ;   in Loop: Header=BB226_10 Depth=1
	scratch_load_b64 v[0:1], off, s32 offset:192 th:TH_LOAD_LU ; 8-byte Folded Reload
	s_wait_loadcnt 0x0
	v_dual_lshrrev_b32 v2, 3, v4 :: v_dual_bitop2_b32 v0, 7, v3 bitop3:0x40
	s_mov_b32 s16, exec_lo
	s_wait_xcnt 0x0
	v_cmpx_gt_u32_e32 8, v4
; %bb.326:                              ;   in Loop: Header=BB226_10 Depth=1
	s_delay_alu instid0(VALU_DEP_2) | instskip(NEXT) | instid1(VALU_DEP_1)
	v_clz_i32_u32_e32 v2, v0
	v_min_u32_e32 v2, 32, v2
	s_delay_alu instid0(VALU_DEP_1) | instskip(NEXT) | instid1(VALU_DEP_1)
	v_subrev_nc_u32_e32 v4, 28, v2
	v_lshlrev_b64_e32 v[4:5], v4, v[0:1]
	s_delay_alu instid0(VALU_DEP_1)
	v_dual_sub_nc_u32 v2, 29, v2 :: v_dual_bitop2_b32 v0, 7, v4 bitop3:0x40
; %bb.327:                              ;   in Loop: Header=BB226_10 Depth=1
	s_or_b32 exec_lo, exec_lo, s16
	s_delay_alu instid0(VALU_DEP_1) | instskip(NEXT) | instid1(VALU_DEP_2)
	v_dual_lshlrev_b32 v3, 24, v3 :: v_dual_lshlrev_b32 v0, 20, v0
	v_lshl_add_u32 v2, v2, 23, 0x3c000000
	v_mov_b32_e32 v4, v1
	s_delay_alu instid0(VALU_DEP_3) | instskip(NEXT) | instid1(VALU_DEP_1)
	v_and_b32_e32 v3, 0x80000000, v3
	v_or3_b32 v5, v0, v3, v2
	v_mov_b32_e32 v3, v1
	s_clause 0x1
	scratch_store_b64 off, v[4:5], s32 offset:364
	scratch_store_b64 off, v[2:3], s32 offset:192
.LBB226_328:                            ;   in Loop: Header=BB226_10 Depth=1
	s_wait_xcnt 0x0
	s_or_b32 exec_lo, exec_lo, s11
.LBB226_329:                            ;   in Loop: Header=BB226_10 Depth=1
	s_delay_alu instid0(SALU_CYCLE_1)
	s_or_b32 exec_lo, exec_lo, s9
.LBB226_330:                            ;   in Loop: Header=BB226_10 Depth=1
	s_delay_alu instid0(SALU_CYCLE_1)
	s_or_b32 exec_lo, exec_lo, s8
	flat_load_b32 v2, v[32:33] offset:1032
	v_mov_b64_e32 v[4:5], 0
	s_mov_b32 s8, exec_lo
	scratch_store_b64 off, v[4:5], s32 offset:372 ; 8-byte Folded Spill
	s_wait_xcnt 0x0
	v_mov_b64_e32 v[4:5], 0
	scratch_store_b64 off, v[4:5], s32 offset:624 ; 8-byte Folded Spill
	s_wait_loadcnt_dscnt 0x0
	v_and_b32_e32 v0, 0xff, v2
	s_wait_xcnt 0x0
	s_delay_alu instid0(VALU_DEP_1)
	v_cmpx_ne_u16_e32 0, v0
	s_cbranch_execz .LBB226_338
; %bb.331:                              ;   in Loop: Header=BB226_10 Depth=1
	v_cmp_ne_u16_e64 s1, 0x80, v0
	v_mov_b64_e32 v[0:1], 0x80000000
	s_and_saveexec_b32 s9, s1
	s_cbranch_execz .LBB226_337
; %bb.332:                              ;   in Loop: Header=BB226_10 Depth=1
	v_mov_b64_e32 v[0:1], 0x7f800001
	v_and_b32_e32 v4, 0x7f, v2
	s_mov_b32 s11, exec_lo
	s_delay_alu instid0(VALU_DEP_1)
	v_cmpx_ne_u32_e32 0x7f, v4
	s_cbranch_execz .LBB226_336
; %bb.333:                              ;   in Loop: Header=BB226_10 Depth=1
	scratch_load_b64 v[0:1], off, s32 offset:192 th:TH_LOAD_LU ; 8-byte Folded Reload
	s_wait_loadcnt 0x0
	v_dual_lshrrev_b32 v3, 3, v4 :: v_dual_bitop2_b32 v0, 7, v2 bitop3:0x40
	s_mov_b32 s16, exec_lo
	s_wait_xcnt 0x0
	v_cmpx_gt_u32_e32 8, v4
; %bb.334:                              ;   in Loop: Header=BB226_10 Depth=1
	s_delay_alu instid0(VALU_DEP_2) | instskip(NEXT) | instid1(VALU_DEP_1)
	v_clz_i32_u32_e32 v3, v0
	v_min_u32_e32 v3, 32, v3
	s_delay_alu instid0(VALU_DEP_1) | instskip(NEXT) | instid1(VALU_DEP_1)
	v_subrev_nc_u32_e32 v4, 28, v3
	v_lshlrev_b64_e32 v[4:5], v4, v[0:1]
	s_delay_alu instid0(VALU_DEP_1)
	v_dual_sub_nc_u32 v3, 29, v3 :: v_dual_bitop2_b32 v0, 7, v4 bitop3:0x40
; %bb.335:                              ;   in Loop: Header=BB226_10 Depth=1
	s_or_b32 exec_lo, exec_lo, s16
	s_delay_alu instid0(VALU_DEP_1) | instskip(NEXT) | instid1(VALU_DEP_2)
	v_dual_lshlrev_b32 v4, 24, v2 :: v_dual_lshlrev_b32 v0, 20, v0
	v_lshl_add_u32 v3, v3, 23, 0x3c000000
	s_delay_alu instid0(VALU_DEP_2) | instskip(NEXT) | instid1(VALU_DEP_1)
	v_and_b32_e32 v4, 0x80000000, v4
	v_or3_b32 v0, v0, v4, v3
	v_mov_b32_e32 v3, v1
	scratch_store_b64 off, v[2:3], s32 offset:192 ; 8-byte Folded Spill
.LBB226_336:                            ;   in Loop: Header=BB226_10 Depth=1
	s_wait_xcnt 0x0
	s_or_b32 exec_lo, exec_lo, s11
.LBB226_337:                            ;   in Loop: Header=BB226_10 Depth=1
	s_delay_alu instid0(SALU_CYCLE_1)
	s_or_b32 exec_lo, exec_lo, s9
	scratch_store_b64 off, v[0:1], s32 offset:624 ; 8-byte Folded Spill
.LBB226_338:                            ;   in Loop: Header=BB226_10 Depth=1
	s_wait_xcnt 0x0
	s_or_b32 exec_lo, exec_lo, s8
	v_lshrrev_b16 v0, 8, v2
	s_mov_b32 s8, exec_lo
	s_delay_alu instid0(VALU_DEP_1)
	v_cmpx_ne_u16_e32 0, v0
	s_cbranch_execz .LBB226_346
; %bb.339:                              ;   in Loop: Header=BB226_10 Depth=1
	v_mov_b64_e32 v[4:5], 0x8000000000000000
	s_mov_b32 s9, exec_lo
	scratch_store_b64 off, v[4:5], s32 offset:372 ; 8-byte Folded Spill
	s_wait_xcnt 0x0
	v_cmpx_ne_u16_e32 0x80, v0
	s_cbranch_execz .LBB226_345
; %bb.340:                              ;   in Loop: Header=BB226_10 Depth=1
	v_and_b32_e32 v0, 0xffff, v0
	v_mov_b64_e32 v[6:7], 0x7f80000100000000
	s_mov_b32 s11, exec_lo
	s_delay_alu instid0(VALU_DEP_2)
	v_and_b32_e32 v4, 0x7f, v0
	scratch_store_b64 off, v[6:7], s32 offset:372 ; 8-byte Folded Spill
	s_wait_xcnt 0x0
	v_cmpx_ne_u32_e32 0x7f, v4
	s_cbranch_execz .LBB226_344
; %bb.341:                              ;   in Loop: Header=BB226_10 Depth=1
	scratch_load_b64 v[6:7], off, s32 offset:192 th:TH_LOAD_LU ; 8-byte Folded Reload
	v_lshrrev_b32_e32 v3, 3, v4
	s_mov_b32 s16, exec_lo
	s_wait_loadcnt 0x0
	v_dual_mov_b32 v1, v7 :: v_dual_bitop2_b32 v0, 7, v0 bitop3:0x40
	s_wait_xcnt 0x0
	v_cmpx_gt_u32_e32 8, v4
; %bb.342:                              ;   in Loop: Header=BB226_10 Depth=1
	s_delay_alu instid0(VALU_DEP_2) | instskip(NEXT) | instid1(VALU_DEP_1)
	v_clz_i32_u32_e32 v3, v0
	v_min_u32_e32 v3, 32, v3
	s_delay_alu instid0(VALU_DEP_1) | instskip(NEXT) | instid1(VALU_DEP_1)
	v_subrev_nc_u32_e32 v4, 28, v3
	v_lshlrev_b64_e32 v[4:5], v4, v[0:1]
	s_delay_alu instid0(VALU_DEP_1)
	v_dual_sub_nc_u32 v3, 29, v3 :: v_dual_bitop2_b32 v0, 7, v4 bitop3:0x40
; %bb.343:                              ;   in Loop: Header=BB226_10 Depth=1
	s_or_b32 exec_lo, exec_lo, s16
	s_delay_alu instid0(VALU_DEP_1) | instskip(NEXT) | instid1(VALU_DEP_2)
	v_dual_lshlrev_b32 v4, 16, v2 :: v_dual_lshlrev_b32 v0, 20, v0
	v_lshl_add_u32 v3, v3, 23, 0x3c000000
	s_delay_alu instid0(VALU_DEP_2) | instskip(NEXT) | instid1(VALU_DEP_1)
	v_and_b32_e32 v4, 0x80000000, v4
	v_or3_b32 v5, v0, v4, v3
	v_dual_mov_b32 v3, v1 :: v_dual_mov_b32 v4, v1
	s_clause 0x1
	scratch_store_b64 off, v[2:3], s32 offset:192
	scratch_store_b64 off, v[4:5], s32 offset:372
.LBB226_344:                            ;   in Loop: Header=BB226_10 Depth=1
	s_wait_xcnt 0x0
	s_or_b32 exec_lo, exec_lo, s11
.LBB226_345:                            ;   in Loop: Header=BB226_10 Depth=1
	s_delay_alu instid0(SALU_CYCLE_1)
	s_or_b32 exec_lo, exec_lo, s9
.LBB226_346:                            ;   in Loop: Header=BB226_10 Depth=1
	s_delay_alu instid0(SALU_CYCLE_1) | instskip(SKIP_3) | instid1(VALU_DEP_1)
	s_or_b32 exec_lo, exec_lo, s8
	v_mov_b64_e32 v[4:5], 0
	v_lshrrev_b32_e32 v3, 16, v2
	s_mov_b32 s8, exec_lo
	v_and_b32_e32 v0, 0xff, v3
	scratch_store_b64 off, v[4:5], s32 offset:380 ; 8-byte Folded Spill
	s_wait_xcnt 0x0
	v_mov_b64_e32 v[4:5], 0
	scratch_store_b64 off, v[4:5], s32 offset:632 ; 8-byte Folded Spill
	s_wait_xcnt 0x0
	v_cmpx_ne_u16_e32 0, v0
	s_cbranch_execz .LBB226_354
; %bb.347:                              ;   in Loop: Header=BB226_10 Depth=1
	v_cmp_ne_u16_e64 s1, 0x80, v0
	v_mov_b64_e32 v[0:1], 0x80000000
	s_and_saveexec_b32 s9, s1
	s_cbranch_execz .LBB226_353
; %bb.348:                              ;   in Loop: Header=BB226_10 Depth=1
	v_mov_b64_e32 v[0:1], 0x7f800001
	v_bfe_u32 v5, v2, 16, 7
	s_mov_b32 s11, exec_lo
	s_delay_alu instid0(VALU_DEP_1)
	v_cmpx_ne_u32_e32 0x7f, v5
	s_cbranch_execz .LBB226_352
; %bb.349:                              ;   in Loop: Header=BB226_10 Depth=1
	scratch_load_b64 v[0:1], off, s32 offset:192 th:TH_LOAD_LU ; 8-byte Folded Reload
	s_wait_loadcnt 0x0
	v_dual_lshrrev_b32 v4, 3, v5 :: v_dual_bitop2_b32 v0, 7, v3 bitop3:0x40
	s_mov_b32 s16, exec_lo
	s_wait_xcnt 0x0
	v_cmpx_gt_u32_e32 8, v5
; %bb.350:                              ;   in Loop: Header=BB226_10 Depth=1
	s_delay_alu instid0(VALU_DEP_2) | instskip(NEXT) | instid1(VALU_DEP_1)
	v_clz_i32_u32_e32 v4, v0
	v_min_u32_e32 v4, 32, v4
	s_delay_alu instid0(VALU_DEP_1) | instskip(NEXT) | instid1(VALU_DEP_1)
	v_subrev_nc_u32_e32 v5, 28, v4
	v_lshlrev_b64_e32 v[6:7], v5, v[0:1]
	s_delay_alu instid0(VALU_DEP_1)
	v_dual_sub_nc_u32 v4, 29, v4 :: v_dual_bitop2_b32 v0, 7, v6 bitop3:0x40
; %bb.351:                              ;   in Loop: Header=BB226_10 Depth=1
	s_or_b32 exec_lo, exec_lo, s16
	s_delay_alu instid0(VALU_DEP_1) | instskip(NEXT) | instid1(VALU_DEP_2)
	v_dual_lshlrev_b32 v3, 24, v3 :: v_dual_lshlrev_b32 v0, 20, v0
	v_lshl_add_u32 v4, v4, 23, 0x3c000000
	s_delay_alu instid0(VALU_DEP_2) | instskip(NEXT) | instid1(VALU_DEP_1)
	v_and_b32_e32 v3, 0x80000000, v3
	v_or3_b32 v0, v0, v3, v4
	v_mov_b32_e32 v3, v1
	scratch_store_b64 off, v[2:3], s32 offset:192 ; 8-byte Folded Spill
.LBB226_352:                            ;   in Loop: Header=BB226_10 Depth=1
	s_wait_xcnt 0x0
	s_or_b32 exec_lo, exec_lo, s11
.LBB226_353:                            ;   in Loop: Header=BB226_10 Depth=1
	s_delay_alu instid0(SALU_CYCLE_1)
	s_or_b32 exec_lo, exec_lo, s9
	scratch_store_b64 off, v[0:1], s32 offset:632 ; 8-byte Folded Spill
.LBB226_354:                            ;   in Loop: Header=BB226_10 Depth=1
	s_wait_xcnt 0x0
	s_or_b32 exec_lo, exec_lo, s8
	s_delay_alu instid0(SALU_CYCLE_1)
	s_mov_b32 s8, exec_lo
	v_cmpx_lt_u32_e32 0xffffff, v2
	s_cbranch_execz .LBB226_362
; %bb.355:                              ;   in Loop: Header=BB226_10 Depth=1
	v_mov_b64_e32 v[0:1], 0x8000000000000000
	v_lshrrev_b32_e32 v3, 24, v2
	s_mov_b32 s9, exec_lo
	scratch_store_b64 off, v[0:1], s32 offset:380 ; 8-byte Folded Spill
	s_wait_xcnt 0x0
	v_cmpx_ne_u32_e32 0x80, v3
	s_cbranch_execz .LBB226_361
; %bb.356:                              ;   in Loop: Header=BB226_10 Depth=1
	v_mov_b64_e32 v[0:1], 0x7f80000100000000
	v_bfe_u32 v4, v2, 24, 7
	s_mov_b32 s11, exec_lo
	scratch_store_b64 off, v[0:1], s32 offset:380 ; 8-byte Folded Spill
	s_wait_xcnt 0x0
	v_cmpx_ne_u32_e32 0x7f, v4
	s_cbranch_execz .LBB226_360
; %bb.357:                              ;   in Loop: Header=BB226_10 Depth=1
	scratch_load_b64 v[0:1], off, s32 offset:192 th:TH_LOAD_LU ; 8-byte Folded Reload
	s_wait_loadcnt 0x0
	v_dual_lshrrev_b32 v2, 3, v4 :: v_dual_bitop2_b32 v0, 7, v3 bitop3:0x40
	s_mov_b32 s16, exec_lo
	s_wait_xcnt 0x0
	v_cmpx_gt_u32_e32 8, v4
; %bb.358:                              ;   in Loop: Header=BB226_10 Depth=1
	s_delay_alu instid0(VALU_DEP_2) | instskip(NEXT) | instid1(VALU_DEP_1)
	v_clz_i32_u32_e32 v2, v0
	v_min_u32_e32 v2, 32, v2
	s_delay_alu instid0(VALU_DEP_1) | instskip(NEXT) | instid1(VALU_DEP_1)
	v_subrev_nc_u32_e32 v4, 28, v2
	v_lshlrev_b64_e32 v[4:5], v4, v[0:1]
	s_delay_alu instid0(VALU_DEP_1)
	v_dual_sub_nc_u32 v2, 29, v2 :: v_dual_bitop2_b32 v0, 7, v4 bitop3:0x40
; %bb.359:                              ;   in Loop: Header=BB226_10 Depth=1
	s_or_b32 exec_lo, exec_lo, s16
	s_delay_alu instid0(VALU_DEP_1) | instskip(NEXT) | instid1(VALU_DEP_2)
	v_dual_lshlrev_b32 v3, 24, v3 :: v_dual_lshlrev_b32 v0, 20, v0
	v_lshl_add_u32 v2, v2, 23, 0x3c000000
	v_mov_b32_e32 v4, v1
	s_delay_alu instid0(VALU_DEP_3) | instskip(NEXT) | instid1(VALU_DEP_1)
	v_and_b32_e32 v3, 0x80000000, v3
	v_or3_b32 v5, v0, v3, v2
	v_mov_b32_e32 v3, v1
	s_clause 0x1
	scratch_store_b64 off, v[4:5], s32 offset:380
	scratch_store_b64 off, v[2:3], s32 offset:192
.LBB226_360:                            ;   in Loop: Header=BB226_10 Depth=1
	s_wait_xcnt 0x0
	s_or_b32 exec_lo, exec_lo, s11
.LBB226_361:                            ;   in Loop: Header=BB226_10 Depth=1
	s_delay_alu instid0(SALU_CYCLE_1)
	s_or_b32 exec_lo, exec_lo, s9
.LBB226_362:                            ;   in Loop: Header=BB226_10 Depth=1
	s_delay_alu instid0(SALU_CYCLE_1)
	s_or_b32 exec_lo, exec_lo, s8
	flat_load_b32 v2, v[32:33] offset:1036
	v_mov_b64_e32 v[4:5], 0
	s_mov_b32 s8, exec_lo
	scratch_store_b64 off, v[4:5], s32 offset:388 ; 8-byte Folded Spill
	s_wait_xcnt 0x0
	v_mov_b64_e32 v[4:5], 0
	scratch_store_b64 off, v[4:5], s32 offset:640 ; 8-byte Folded Spill
	s_wait_loadcnt_dscnt 0x0
	v_and_b32_e32 v0, 0xff, v2
	s_wait_xcnt 0x0
	s_delay_alu instid0(VALU_DEP_1)
	v_cmpx_ne_u16_e32 0, v0
	s_cbranch_execz .LBB226_370
; %bb.363:                              ;   in Loop: Header=BB226_10 Depth=1
	v_cmp_ne_u16_e64 s1, 0x80, v0
	v_mov_b64_e32 v[0:1], 0x80000000
	s_and_saveexec_b32 s9, s1
	s_cbranch_execz .LBB226_369
; %bb.364:                              ;   in Loop: Header=BB226_10 Depth=1
	v_mov_b64_e32 v[0:1], 0x7f800001
	v_and_b32_e32 v4, 0x7f, v2
	s_mov_b32 s11, exec_lo
	s_delay_alu instid0(VALU_DEP_1)
	v_cmpx_ne_u32_e32 0x7f, v4
	s_cbranch_execz .LBB226_368
; %bb.365:                              ;   in Loop: Header=BB226_10 Depth=1
	scratch_load_b64 v[0:1], off, s32 offset:192 th:TH_LOAD_LU ; 8-byte Folded Reload
	s_wait_loadcnt 0x0
	v_dual_lshrrev_b32 v3, 3, v4 :: v_dual_bitop2_b32 v0, 7, v2 bitop3:0x40
	s_mov_b32 s16, exec_lo
	s_wait_xcnt 0x0
	v_cmpx_gt_u32_e32 8, v4
; %bb.366:                              ;   in Loop: Header=BB226_10 Depth=1
	s_delay_alu instid0(VALU_DEP_2) | instskip(NEXT) | instid1(VALU_DEP_1)
	v_clz_i32_u32_e32 v3, v0
	v_min_u32_e32 v3, 32, v3
	s_delay_alu instid0(VALU_DEP_1) | instskip(NEXT) | instid1(VALU_DEP_1)
	v_subrev_nc_u32_e32 v4, 28, v3
	v_lshlrev_b64_e32 v[4:5], v4, v[0:1]
	s_delay_alu instid0(VALU_DEP_1)
	v_dual_sub_nc_u32 v3, 29, v3 :: v_dual_bitop2_b32 v0, 7, v4 bitop3:0x40
; %bb.367:                              ;   in Loop: Header=BB226_10 Depth=1
	s_or_b32 exec_lo, exec_lo, s16
	s_delay_alu instid0(VALU_DEP_1) | instskip(NEXT) | instid1(VALU_DEP_2)
	v_dual_lshlrev_b32 v4, 24, v2 :: v_dual_lshlrev_b32 v0, 20, v0
	v_lshl_add_u32 v3, v3, 23, 0x3c000000
	s_delay_alu instid0(VALU_DEP_2) | instskip(NEXT) | instid1(VALU_DEP_1)
	v_and_b32_e32 v4, 0x80000000, v4
	v_or3_b32 v0, v0, v4, v3
	v_mov_b32_e32 v3, v1
	scratch_store_b64 off, v[2:3], s32 offset:192 ; 8-byte Folded Spill
.LBB226_368:                            ;   in Loop: Header=BB226_10 Depth=1
	s_wait_xcnt 0x0
	s_or_b32 exec_lo, exec_lo, s11
.LBB226_369:                            ;   in Loop: Header=BB226_10 Depth=1
	s_delay_alu instid0(SALU_CYCLE_1)
	s_or_b32 exec_lo, exec_lo, s9
	scratch_store_b64 off, v[0:1], s32 offset:640 ; 8-byte Folded Spill
.LBB226_370:                            ;   in Loop: Header=BB226_10 Depth=1
	s_wait_xcnt 0x0
	s_or_b32 exec_lo, exec_lo, s8
	v_lshrrev_b16 v0, 8, v2
	s_mov_b32 s8, exec_lo
	s_delay_alu instid0(VALU_DEP_1)
	v_cmpx_ne_u16_e32 0, v0
	s_cbranch_execz .LBB226_378
; %bb.371:                              ;   in Loop: Header=BB226_10 Depth=1
	v_mov_b64_e32 v[4:5], 0x8000000000000000
	s_mov_b32 s9, exec_lo
	scratch_store_b64 off, v[4:5], s32 offset:388 ; 8-byte Folded Spill
	s_wait_xcnt 0x0
	v_cmpx_ne_u16_e32 0x80, v0
	s_cbranch_execz .LBB226_377
; %bb.372:                              ;   in Loop: Header=BB226_10 Depth=1
	v_and_b32_e32 v0, 0xffff, v0
	v_mov_b64_e32 v[6:7], 0x7f80000100000000
	s_mov_b32 s11, exec_lo
	s_delay_alu instid0(VALU_DEP_2)
	v_and_b32_e32 v4, 0x7f, v0
	scratch_store_b64 off, v[6:7], s32 offset:388 ; 8-byte Folded Spill
	s_wait_xcnt 0x0
	v_cmpx_ne_u32_e32 0x7f, v4
	s_cbranch_execz .LBB226_376
; %bb.373:                              ;   in Loop: Header=BB226_10 Depth=1
	scratch_load_b64 v[6:7], off, s32 offset:192 th:TH_LOAD_LU ; 8-byte Folded Reload
	v_lshrrev_b32_e32 v3, 3, v4
	s_mov_b32 s16, exec_lo
	s_wait_loadcnt 0x0
	v_dual_mov_b32 v1, v7 :: v_dual_bitop2_b32 v0, 7, v0 bitop3:0x40
	s_wait_xcnt 0x0
	v_cmpx_gt_u32_e32 8, v4
; %bb.374:                              ;   in Loop: Header=BB226_10 Depth=1
	s_delay_alu instid0(VALU_DEP_2) | instskip(NEXT) | instid1(VALU_DEP_1)
	v_clz_i32_u32_e32 v3, v0
	v_min_u32_e32 v3, 32, v3
	s_delay_alu instid0(VALU_DEP_1) | instskip(NEXT) | instid1(VALU_DEP_1)
	v_subrev_nc_u32_e32 v4, 28, v3
	v_lshlrev_b64_e32 v[4:5], v4, v[0:1]
	s_delay_alu instid0(VALU_DEP_1)
	v_dual_sub_nc_u32 v3, 29, v3 :: v_dual_bitop2_b32 v0, 7, v4 bitop3:0x40
; %bb.375:                              ;   in Loop: Header=BB226_10 Depth=1
	s_or_b32 exec_lo, exec_lo, s16
	s_delay_alu instid0(VALU_DEP_1) | instskip(NEXT) | instid1(VALU_DEP_2)
	v_dual_lshlrev_b32 v4, 16, v2 :: v_dual_lshlrev_b32 v0, 20, v0
	v_lshl_add_u32 v3, v3, 23, 0x3c000000
	s_delay_alu instid0(VALU_DEP_2) | instskip(NEXT) | instid1(VALU_DEP_1)
	v_and_b32_e32 v4, 0x80000000, v4
	v_or3_b32 v5, v0, v4, v3
	v_dual_mov_b32 v3, v1 :: v_dual_mov_b32 v4, v1
	s_clause 0x1
	scratch_store_b64 off, v[2:3], s32 offset:192
	scratch_store_b64 off, v[4:5], s32 offset:388
.LBB226_376:                            ;   in Loop: Header=BB226_10 Depth=1
	s_wait_xcnt 0x0
	s_or_b32 exec_lo, exec_lo, s11
.LBB226_377:                            ;   in Loop: Header=BB226_10 Depth=1
	s_delay_alu instid0(SALU_CYCLE_1)
	s_or_b32 exec_lo, exec_lo, s9
.LBB226_378:                            ;   in Loop: Header=BB226_10 Depth=1
	s_delay_alu instid0(SALU_CYCLE_1) | instskip(SKIP_3) | instid1(VALU_DEP_1)
	s_or_b32 exec_lo, exec_lo, s8
	v_mov_b64_e32 v[4:5], 0
	v_lshrrev_b32_e32 v3, 16, v2
	s_mov_b32 s8, exec_lo
	v_and_b32_e32 v0, 0xff, v3
	scratch_store_b64 off, v[4:5], s32 offset:396 ; 8-byte Folded Spill
	s_wait_xcnt 0x0
	v_mov_b64_e32 v[4:5], 0
	scratch_store_b64 off, v[4:5], s32 offset:648 ; 8-byte Folded Spill
	s_wait_xcnt 0x0
	v_cmpx_ne_u16_e32 0, v0
	s_cbranch_execz .LBB226_386
; %bb.379:                              ;   in Loop: Header=BB226_10 Depth=1
	v_cmp_ne_u16_e64 s1, 0x80, v0
	v_mov_b64_e32 v[0:1], 0x80000000
	s_and_saveexec_b32 s9, s1
	s_cbranch_execz .LBB226_385
; %bb.380:                              ;   in Loop: Header=BB226_10 Depth=1
	v_mov_b64_e32 v[0:1], 0x7f800001
	v_bfe_u32 v5, v2, 16, 7
	s_mov_b32 s11, exec_lo
	s_delay_alu instid0(VALU_DEP_1)
	v_cmpx_ne_u32_e32 0x7f, v5
	s_cbranch_execz .LBB226_384
; %bb.381:                              ;   in Loop: Header=BB226_10 Depth=1
	scratch_load_b64 v[0:1], off, s32 offset:192 th:TH_LOAD_LU ; 8-byte Folded Reload
	s_wait_loadcnt 0x0
	v_dual_lshrrev_b32 v4, 3, v5 :: v_dual_bitop2_b32 v0, 7, v3 bitop3:0x40
	s_mov_b32 s16, exec_lo
	s_wait_xcnt 0x0
	v_cmpx_gt_u32_e32 8, v5
; %bb.382:                              ;   in Loop: Header=BB226_10 Depth=1
	s_delay_alu instid0(VALU_DEP_2) | instskip(NEXT) | instid1(VALU_DEP_1)
	v_clz_i32_u32_e32 v4, v0
	v_min_u32_e32 v4, 32, v4
	s_delay_alu instid0(VALU_DEP_1) | instskip(NEXT) | instid1(VALU_DEP_1)
	v_subrev_nc_u32_e32 v5, 28, v4
	v_lshlrev_b64_e32 v[6:7], v5, v[0:1]
	s_delay_alu instid0(VALU_DEP_1)
	v_dual_sub_nc_u32 v4, 29, v4 :: v_dual_bitop2_b32 v0, 7, v6 bitop3:0x40
; %bb.383:                              ;   in Loop: Header=BB226_10 Depth=1
	s_or_b32 exec_lo, exec_lo, s16
	s_delay_alu instid0(VALU_DEP_1) | instskip(NEXT) | instid1(VALU_DEP_2)
	v_dual_lshlrev_b32 v3, 24, v3 :: v_dual_lshlrev_b32 v0, 20, v0
	v_lshl_add_u32 v4, v4, 23, 0x3c000000
	s_delay_alu instid0(VALU_DEP_2) | instskip(NEXT) | instid1(VALU_DEP_1)
	v_and_b32_e32 v3, 0x80000000, v3
	v_or3_b32 v0, v0, v3, v4
	v_mov_b32_e32 v3, v1
	scratch_store_b64 off, v[2:3], s32 offset:192 ; 8-byte Folded Spill
.LBB226_384:                            ;   in Loop: Header=BB226_10 Depth=1
	s_wait_xcnt 0x0
	s_or_b32 exec_lo, exec_lo, s11
.LBB226_385:                            ;   in Loop: Header=BB226_10 Depth=1
	s_delay_alu instid0(SALU_CYCLE_1)
	s_or_b32 exec_lo, exec_lo, s9
	scratch_store_b64 off, v[0:1], s32 offset:648 ; 8-byte Folded Spill
.LBB226_386:                            ;   in Loop: Header=BB226_10 Depth=1
	s_wait_xcnt 0x0
	s_or_b32 exec_lo, exec_lo, s8
	s_delay_alu instid0(SALU_CYCLE_1)
	s_mov_b32 s8, exec_lo
	v_cmpx_lt_u32_e32 0xffffff, v2
	s_cbranch_execz .LBB226_394
; %bb.387:                              ;   in Loop: Header=BB226_10 Depth=1
	v_mov_b64_e32 v[0:1], 0x8000000000000000
	v_lshrrev_b32_e32 v3, 24, v2
	s_mov_b32 s9, exec_lo
	scratch_store_b64 off, v[0:1], s32 offset:396 ; 8-byte Folded Spill
	s_wait_xcnt 0x0
	v_cmpx_ne_u32_e32 0x80, v3
	s_cbranch_execz .LBB226_393
; %bb.388:                              ;   in Loop: Header=BB226_10 Depth=1
	v_mov_b64_e32 v[0:1], 0x7f80000100000000
	v_bfe_u32 v4, v2, 24, 7
	s_mov_b32 s11, exec_lo
	scratch_store_b64 off, v[0:1], s32 offset:396 ; 8-byte Folded Spill
	s_wait_xcnt 0x0
	v_cmpx_ne_u32_e32 0x7f, v4
	s_cbranch_execz .LBB226_392
; %bb.389:                              ;   in Loop: Header=BB226_10 Depth=1
	scratch_load_b64 v[0:1], off, s32 offset:192 th:TH_LOAD_LU ; 8-byte Folded Reload
	s_wait_loadcnt 0x0
	v_dual_lshrrev_b32 v2, 3, v4 :: v_dual_bitop2_b32 v0, 7, v3 bitop3:0x40
	s_mov_b32 s16, exec_lo
	s_wait_xcnt 0x0
	v_cmpx_gt_u32_e32 8, v4
; %bb.390:                              ;   in Loop: Header=BB226_10 Depth=1
	s_delay_alu instid0(VALU_DEP_2) | instskip(NEXT) | instid1(VALU_DEP_1)
	v_clz_i32_u32_e32 v2, v0
	v_min_u32_e32 v2, 32, v2
	s_delay_alu instid0(VALU_DEP_1) | instskip(NEXT) | instid1(VALU_DEP_1)
	v_subrev_nc_u32_e32 v4, 28, v2
	v_lshlrev_b64_e32 v[4:5], v4, v[0:1]
	s_delay_alu instid0(VALU_DEP_1)
	v_dual_sub_nc_u32 v2, 29, v2 :: v_dual_bitop2_b32 v0, 7, v4 bitop3:0x40
; %bb.391:                              ;   in Loop: Header=BB226_10 Depth=1
	s_or_b32 exec_lo, exec_lo, s16
	s_delay_alu instid0(VALU_DEP_1) | instskip(NEXT) | instid1(VALU_DEP_2)
	v_dual_lshlrev_b32 v3, 24, v3 :: v_dual_lshlrev_b32 v0, 20, v0
	v_lshl_add_u32 v2, v2, 23, 0x3c000000
	v_mov_b32_e32 v4, v1
	s_delay_alu instid0(VALU_DEP_3) | instskip(NEXT) | instid1(VALU_DEP_1)
	v_and_b32_e32 v3, 0x80000000, v3
	v_or3_b32 v5, v0, v3, v2
	v_mov_b32_e32 v3, v1
	s_clause 0x1
	scratch_store_b64 off, v[4:5], s32 offset:396
	scratch_store_b64 off, v[2:3], s32 offset:192
.LBB226_392:                            ;   in Loop: Header=BB226_10 Depth=1
	s_wait_xcnt 0x0
	s_or_b32 exec_lo, exec_lo, s11
.LBB226_393:                            ;   in Loop: Header=BB226_10 Depth=1
	s_delay_alu instid0(SALU_CYCLE_1)
	s_or_b32 exec_lo, exec_lo, s9
.LBB226_394:                            ;   in Loop: Header=BB226_10 Depth=1
	s_delay_alu instid0(SALU_CYCLE_1)
	s_or_b32 exec_lo, exec_lo, s8
	flat_load_b32 v2, v[32:33] offset:1536
	v_mov_b64_e32 v[4:5], 0
	s_mov_b32 s8, exec_lo
	scratch_store_b64 off, v[4:5], s32 offset:404 ; 8-byte Folded Spill
	s_wait_xcnt 0x0
	v_mov_b64_e32 v[4:5], 0
	scratch_store_b64 off, v[4:5], s32 offset:656 ; 8-byte Folded Spill
	s_wait_loadcnt_dscnt 0x0
	v_and_b32_e32 v0, 0xff, v2
	s_wait_xcnt 0x0
	s_delay_alu instid0(VALU_DEP_1)
	v_cmpx_ne_u16_e32 0, v0
	s_cbranch_execz .LBB226_402
; %bb.395:                              ;   in Loop: Header=BB226_10 Depth=1
	v_cmp_ne_u16_e64 s1, 0x80, v0
	v_mov_b64_e32 v[0:1], 0x80000000
	s_and_saveexec_b32 s9, s1
	s_cbranch_execz .LBB226_401
; %bb.396:                              ;   in Loop: Header=BB226_10 Depth=1
	v_mov_b64_e32 v[0:1], 0x7f800001
	v_and_b32_e32 v4, 0x7f, v2
	s_mov_b32 s11, exec_lo
	s_delay_alu instid0(VALU_DEP_1)
	v_cmpx_ne_u32_e32 0x7f, v4
	s_cbranch_execz .LBB226_400
; %bb.397:                              ;   in Loop: Header=BB226_10 Depth=1
	scratch_load_b64 v[0:1], off, s32 offset:192 th:TH_LOAD_LU ; 8-byte Folded Reload
	s_wait_loadcnt 0x0
	v_dual_lshrrev_b32 v3, 3, v4 :: v_dual_bitop2_b32 v0, 7, v2 bitop3:0x40
	s_mov_b32 s16, exec_lo
	s_wait_xcnt 0x0
	v_cmpx_gt_u32_e32 8, v4
; %bb.398:                              ;   in Loop: Header=BB226_10 Depth=1
	s_delay_alu instid0(VALU_DEP_2) | instskip(NEXT) | instid1(VALU_DEP_1)
	v_clz_i32_u32_e32 v3, v0
	v_min_u32_e32 v3, 32, v3
	s_delay_alu instid0(VALU_DEP_1) | instskip(NEXT) | instid1(VALU_DEP_1)
	v_subrev_nc_u32_e32 v4, 28, v3
	v_lshlrev_b64_e32 v[4:5], v4, v[0:1]
	s_delay_alu instid0(VALU_DEP_1)
	v_dual_sub_nc_u32 v3, 29, v3 :: v_dual_bitop2_b32 v0, 7, v4 bitop3:0x40
; %bb.399:                              ;   in Loop: Header=BB226_10 Depth=1
	s_or_b32 exec_lo, exec_lo, s16
	s_delay_alu instid0(VALU_DEP_1) | instskip(NEXT) | instid1(VALU_DEP_2)
	v_dual_lshlrev_b32 v4, 24, v2 :: v_dual_lshlrev_b32 v0, 20, v0
	v_lshl_add_u32 v3, v3, 23, 0x3c000000
	s_delay_alu instid0(VALU_DEP_2) | instskip(NEXT) | instid1(VALU_DEP_1)
	v_and_b32_e32 v4, 0x80000000, v4
	v_or3_b32 v0, v0, v4, v3
	v_mov_b32_e32 v3, v1
	scratch_store_b64 off, v[2:3], s32 offset:192 ; 8-byte Folded Spill
.LBB226_400:                            ;   in Loop: Header=BB226_10 Depth=1
	s_wait_xcnt 0x0
	s_or_b32 exec_lo, exec_lo, s11
.LBB226_401:                            ;   in Loop: Header=BB226_10 Depth=1
	s_delay_alu instid0(SALU_CYCLE_1)
	s_or_b32 exec_lo, exec_lo, s9
	scratch_store_b64 off, v[0:1], s32 offset:656 ; 8-byte Folded Spill
.LBB226_402:                            ;   in Loop: Header=BB226_10 Depth=1
	s_wait_xcnt 0x0
	s_or_b32 exec_lo, exec_lo, s8
	v_lshrrev_b16 v0, 8, v2
	s_mov_b32 s8, exec_lo
	s_delay_alu instid0(VALU_DEP_1)
	v_cmpx_ne_u16_e32 0, v0
	s_cbranch_execz .LBB226_410
; %bb.403:                              ;   in Loop: Header=BB226_10 Depth=1
	v_mov_b64_e32 v[4:5], 0x8000000000000000
	s_mov_b32 s9, exec_lo
	scratch_store_b64 off, v[4:5], s32 offset:404 ; 8-byte Folded Spill
	s_wait_xcnt 0x0
	v_cmpx_ne_u16_e32 0x80, v0
	s_cbranch_execz .LBB226_409
; %bb.404:                              ;   in Loop: Header=BB226_10 Depth=1
	v_and_b32_e32 v0, 0xffff, v0
	v_mov_b64_e32 v[6:7], 0x7f80000100000000
	s_mov_b32 s11, exec_lo
	s_delay_alu instid0(VALU_DEP_2)
	v_and_b32_e32 v4, 0x7f, v0
	scratch_store_b64 off, v[6:7], s32 offset:404 ; 8-byte Folded Spill
	s_wait_xcnt 0x0
	v_cmpx_ne_u32_e32 0x7f, v4
	s_cbranch_execz .LBB226_408
; %bb.405:                              ;   in Loop: Header=BB226_10 Depth=1
	scratch_load_b64 v[6:7], off, s32 offset:192 th:TH_LOAD_LU ; 8-byte Folded Reload
	v_lshrrev_b32_e32 v3, 3, v4
	s_mov_b32 s16, exec_lo
	s_wait_loadcnt 0x0
	v_dual_mov_b32 v1, v7 :: v_dual_bitop2_b32 v0, 7, v0 bitop3:0x40
	s_wait_xcnt 0x0
	v_cmpx_gt_u32_e32 8, v4
; %bb.406:                              ;   in Loop: Header=BB226_10 Depth=1
	s_delay_alu instid0(VALU_DEP_2) | instskip(NEXT) | instid1(VALU_DEP_1)
	v_clz_i32_u32_e32 v3, v0
	v_min_u32_e32 v3, 32, v3
	s_delay_alu instid0(VALU_DEP_1) | instskip(NEXT) | instid1(VALU_DEP_1)
	v_subrev_nc_u32_e32 v4, 28, v3
	v_lshlrev_b64_e32 v[4:5], v4, v[0:1]
	s_delay_alu instid0(VALU_DEP_1)
	v_dual_sub_nc_u32 v3, 29, v3 :: v_dual_bitop2_b32 v0, 7, v4 bitop3:0x40
; %bb.407:                              ;   in Loop: Header=BB226_10 Depth=1
	s_or_b32 exec_lo, exec_lo, s16
	s_delay_alu instid0(VALU_DEP_1) | instskip(NEXT) | instid1(VALU_DEP_2)
	v_dual_lshlrev_b32 v4, 16, v2 :: v_dual_lshlrev_b32 v0, 20, v0
	v_lshl_add_u32 v3, v3, 23, 0x3c000000
	s_delay_alu instid0(VALU_DEP_2) | instskip(NEXT) | instid1(VALU_DEP_1)
	v_and_b32_e32 v4, 0x80000000, v4
	v_or3_b32 v5, v0, v4, v3
	v_dual_mov_b32 v3, v1 :: v_dual_mov_b32 v4, v1
	s_clause 0x1
	scratch_store_b64 off, v[2:3], s32 offset:192
	scratch_store_b64 off, v[4:5], s32 offset:404
.LBB226_408:                            ;   in Loop: Header=BB226_10 Depth=1
	s_wait_xcnt 0x0
	s_or_b32 exec_lo, exec_lo, s11
.LBB226_409:                            ;   in Loop: Header=BB226_10 Depth=1
	s_delay_alu instid0(SALU_CYCLE_1)
	s_or_b32 exec_lo, exec_lo, s9
.LBB226_410:                            ;   in Loop: Header=BB226_10 Depth=1
	s_delay_alu instid0(SALU_CYCLE_1) | instskip(SKIP_3) | instid1(VALU_DEP_1)
	s_or_b32 exec_lo, exec_lo, s8
	v_mov_b64_e32 v[4:5], 0
	v_lshrrev_b32_e32 v3, 16, v2
	s_mov_b32 s8, exec_lo
	v_and_b32_e32 v0, 0xff, v3
	scratch_store_b64 off, v[4:5], s32 offset:412 ; 8-byte Folded Spill
	s_wait_xcnt 0x0
	v_mov_b64_e32 v[4:5], 0
	scratch_store_b64 off, v[4:5], s32 offset:664 ; 8-byte Folded Spill
	s_wait_xcnt 0x0
	v_cmpx_ne_u16_e32 0, v0
	s_cbranch_execz .LBB226_418
; %bb.411:                              ;   in Loop: Header=BB226_10 Depth=1
	v_cmp_ne_u16_e64 s1, 0x80, v0
	v_mov_b64_e32 v[0:1], 0x80000000
	s_and_saveexec_b32 s9, s1
	s_cbranch_execz .LBB226_417
; %bb.412:                              ;   in Loop: Header=BB226_10 Depth=1
	v_mov_b64_e32 v[0:1], 0x7f800001
	v_bfe_u32 v5, v2, 16, 7
	s_mov_b32 s11, exec_lo
	s_delay_alu instid0(VALU_DEP_1)
	v_cmpx_ne_u32_e32 0x7f, v5
	s_cbranch_execz .LBB226_416
; %bb.413:                              ;   in Loop: Header=BB226_10 Depth=1
	scratch_load_b64 v[0:1], off, s32 offset:192 th:TH_LOAD_LU ; 8-byte Folded Reload
	s_wait_loadcnt 0x0
	v_dual_lshrrev_b32 v4, 3, v5 :: v_dual_bitop2_b32 v0, 7, v3 bitop3:0x40
	s_mov_b32 s16, exec_lo
	s_wait_xcnt 0x0
	v_cmpx_gt_u32_e32 8, v5
; %bb.414:                              ;   in Loop: Header=BB226_10 Depth=1
	s_delay_alu instid0(VALU_DEP_2) | instskip(NEXT) | instid1(VALU_DEP_1)
	v_clz_i32_u32_e32 v4, v0
	v_min_u32_e32 v4, 32, v4
	s_delay_alu instid0(VALU_DEP_1) | instskip(NEXT) | instid1(VALU_DEP_1)
	v_subrev_nc_u32_e32 v5, 28, v4
	v_lshlrev_b64_e32 v[6:7], v5, v[0:1]
	s_delay_alu instid0(VALU_DEP_1)
	v_dual_sub_nc_u32 v4, 29, v4 :: v_dual_bitop2_b32 v0, 7, v6 bitop3:0x40
; %bb.415:                              ;   in Loop: Header=BB226_10 Depth=1
	s_or_b32 exec_lo, exec_lo, s16
	s_delay_alu instid0(VALU_DEP_1) | instskip(NEXT) | instid1(VALU_DEP_2)
	v_dual_lshlrev_b32 v3, 24, v3 :: v_dual_lshlrev_b32 v0, 20, v0
	v_lshl_add_u32 v4, v4, 23, 0x3c000000
	s_delay_alu instid0(VALU_DEP_2) | instskip(NEXT) | instid1(VALU_DEP_1)
	v_and_b32_e32 v3, 0x80000000, v3
	v_or3_b32 v0, v0, v3, v4
	v_mov_b32_e32 v3, v1
	scratch_store_b64 off, v[2:3], s32 offset:192 ; 8-byte Folded Spill
.LBB226_416:                            ;   in Loop: Header=BB226_10 Depth=1
	s_wait_xcnt 0x0
	s_or_b32 exec_lo, exec_lo, s11
.LBB226_417:                            ;   in Loop: Header=BB226_10 Depth=1
	s_delay_alu instid0(SALU_CYCLE_1)
	s_or_b32 exec_lo, exec_lo, s9
	scratch_store_b64 off, v[0:1], s32 offset:664 ; 8-byte Folded Spill
.LBB226_418:                            ;   in Loop: Header=BB226_10 Depth=1
	s_wait_xcnt 0x0
	s_or_b32 exec_lo, exec_lo, s8
	s_delay_alu instid0(SALU_CYCLE_1)
	s_mov_b32 s8, exec_lo
	v_cmpx_lt_u32_e32 0xffffff, v2
	s_cbranch_execz .LBB226_426
; %bb.419:                              ;   in Loop: Header=BB226_10 Depth=1
	v_mov_b64_e32 v[0:1], 0x8000000000000000
	v_lshrrev_b32_e32 v3, 24, v2
	s_mov_b32 s9, exec_lo
	scratch_store_b64 off, v[0:1], s32 offset:412 ; 8-byte Folded Spill
	s_wait_xcnt 0x0
	v_cmpx_ne_u32_e32 0x80, v3
	s_cbranch_execz .LBB226_425
; %bb.420:                              ;   in Loop: Header=BB226_10 Depth=1
	v_mov_b64_e32 v[0:1], 0x7f80000100000000
	v_bfe_u32 v4, v2, 24, 7
	s_mov_b32 s11, exec_lo
	scratch_store_b64 off, v[0:1], s32 offset:412 ; 8-byte Folded Spill
	s_wait_xcnt 0x0
	v_cmpx_ne_u32_e32 0x7f, v4
	s_cbranch_execz .LBB226_424
; %bb.421:                              ;   in Loop: Header=BB226_10 Depth=1
	scratch_load_b64 v[0:1], off, s32 offset:192 th:TH_LOAD_LU ; 8-byte Folded Reload
	s_wait_loadcnt 0x0
	v_dual_lshrrev_b32 v2, 3, v4 :: v_dual_bitop2_b32 v0, 7, v3 bitop3:0x40
	s_mov_b32 s16, exec_lo
	s_wait_xcnt 0x0
	v_cmpx_gt_u32_e32 8, v4
; %bb.422:                              ;   in Loop: Header=BB226_10 Depth=1
	s_delay_alu instid0(VALU_DEP_2) | instskip(NEXT) | instid1(VALU_DEP_1)
	v_clz_i32_u32_e32 v2, v0
	v_min_u32_e32 v2, 32, v2
	s_delay_alu instid0(VALU_DEP_1) | instskip(NEXT) | instid1(VALU_DEP_1)
	v_subrev_nc_u32_e32 v4, 28, v2
	v_lshlrev_b64_e32 v[4:5], v4, v[0:1]
	s_delay_alu instid0(VALU_DEP_1)
	v_dual_sub_nc_u32 v2, 29, v2 :: v_dual_bitop2_b32 v0, 7, v4 bitop3:0x40
; %bb.423:                              ;   in Loop: Header=BB226_10 Depth=1
	s_or_b32 exec_lo, exec_lo, s16
	s_delay_alu instid0(VALU_DEP_1) | instskip(NEXT) | instid1(VALU_DEP_2)
	v_dual_lshlrev_b32 v3, 24, v3 :: v_dual_lshlrev_b32 v0, 20, v0
	v_lshl_add_u32 v2, v2, 23, 0x3c000000
	v_mov_b32_e32 v4, v1
	s_delay_alu instid0(VALU_DEP_3) | instskip(NEXT) | instid1(VALU_DEP_1)
	v_and_b32_e32 v3, 0x80000000, v3
	v_or3_b32 v5, v0, v3, v2
	v_mov_b32_e32 v3, v1
	s_clause 0x1
	scratch_store_b64 off, v[4:5], s32 offset:412
	scratch_store_b64 off, v[2:3], s32 offset:192
.LBB226_424:                            ;   in Loop: Header=BB226_10 Depth=1
	s_wait_xcnt 0x0
	s_or_b32 exec_lo, exec_lo, s11
.LBB226_425:                            ;   in Loop: Header=BB226_10 Depth=1
	s_delay_alu instid0(SALU_CYCLE_1)
	s_or_b32 exec_lo, exec_lo, s9
.LBB226_426:                            ;   in Loop: Header=BB226_10 Depth=1
	s_delay_alu instid0(SALU_CYCLE_1)
	s_or_b32 exec_lo, exec_lo, s8
	flat_load_b32 v2, v[32:33] offset:1540
	v_mov_b64_e32 v[4:5], 0
	s_mov_b32 s8, exec_lo
	scratch_store_b64 off, v[4:5], s32 offset:420 ; 8-byte Folded Spill
	s_wait_xcnt 0x0
	v_mov_b64_e32 v[4:5], 0
	scratch_store_b64 off, v[4:5], s32 offset:672 ; 8-byte Folded Spill
	s_wait_loadcnt_dscnt 0x0
	v_and_b32_e32 v0, 0xff, v2
	s_wait_xcnt 0x0
	s_delay_alu instid0(VALU_DEP_1)
	v_cmpx_ne_u16_e32 0, v0
	s_cbranch_execz .LBB226_434
; %bb.427:                              ;   in Loop: Header=BB226_10 Depth=1
	v_cmp_ne_u16_e64 s1, 0x80, v0
	v_mov_b64_e32 v[0:1], 0x80000000
	s_and_saveexec_b32 s9, s1
	s_cbranch_execz .LBB226_433
; %bb.428:                              ;   in Loop: Header=BB226_10 Depth=1
	v_mov_b64_e32 v[0:1], 0x7f800001
	v_and_b32_e32 v4, 0x7f, v2
	s_mov_b32 s11, exec_lo
	s_delay_alu instid0(VALU_DEP_1)
	v_cmpx_ne_u32_e32 0x7f, v4
	s_cbranch_execz .LBB226_432
; %bb.429:                              ;   in Loop: Header=BB226_10 Depth=1
	scratch_load_b64 v[0:1], off, s32 offset:192 th:TH_LOAD_LU ; 8-byte Folded Reload
	s_wait_loadcnt 0x0
	v_dual_lshrrev_b32 v3, 3, v4 :: v_dual_bitop2_b32 v0, 7, v2 bitop3:0x40
	s_mov_b32 s16, exec_lo
	s_wait_xcnt 0x0
	v_cmpx_gt_u32_e32 8, v4
; %bb.430:                              ;   in Loop: Header=BB226_10 Depth=1
	s_delay_alu instid0(VALU_DEP_2) | instskip(NEXT) | instid1(VALU_DEP_1)
	v_clz_i32_u32_e32 v3, v0
	v_min_u32_e32 v3, 32, v3
	s_delay_alu instid0(VALU_DEP_1) | instskip(NEXT) | instid1(VALU_DEP_1)
	v_subrev_nc_u32_e32 v4, 28, v3
	v_lshlrev_b64_e32 v[4:5], v4, v[0:1]
	s_delay_alu instid0(VALU_DEP_1)
	v_dual_sub_nc_u32 v3, 29, v3 :: v_dual_bitop2_b32 v0, 7, v4 bitop3:0x40
; %bb.431:                              ;   in Loop: Header=BB226_10 Depth=1
	s_or_b32 exec_lo, exec_lo, s16
	s_delay_alu instid0(VALU_DEP_1) | instskip(NEXT) | instid1(VALU_DEP_2)
	v_dual_lshlrev_b32 v4, 24, v2 :: v_dual_lshlrev_b32 v0, 20, v0
	v_lshl_add_u32 v3, v3, 23, 0x3c000000
	s_delay_alu instid0(VALU_DEP_2) | instskip(NEXT) | instid1(VALU_DEP_1)
	v_and_b32_e32 v4, 0x80000000, v4
	v_or3_b32 v0, v0, v4, v3
	v_mov_b32_e32 v3, v1
	scratch_store_b64 off, v[2:3], s32 offset:192 ; 8-byte Folded Spill
.LBB226_432:                            ;   in Loop: Header=BB226_10 Depth=1
	s_wait_xcnt 0x0
	s_or_b32 exec_lo, exec_lo, s11
.LBB226_433:                            ;   in Loop: Header=BB226_10 Depth=1
	s_delay_alu instid0(SALU_CYCLE_1)
	s_or_b32 exec_lo, exec_lo, s9
	scratch_store_b64 off, v[0:1], s32 offset:672 ; 8-byte Folded Spill
.LBB226_434:                            ;   in Loop: Header=BB226_10 Depth=1
	s_wait_xcnt 0x0
	s_or_b32 exec_lo, exec_lo, s8
	v_lshrrev_b16 v0, 8, v2
	s_mov_b32 s8, exec_lo
	s_delay_alu instid0(VALU_DEP_1)
	v_cmpx_ne_u16_e32 0, v0
	s_cbranch_execz .LBB226_442
; %bb.435:                              ;   in Loop: Header=BB226_10 Depth=1
	v_mov_b64_e32 v[4:5], 0x8000000000000000
	s_mov_b32 s9, exec_lo
	scratch_store_b64 off, v[4:5], s32 offset:420 ; 8-byte Folded Spill
	s_wait_xcnt 0x0
	v_cmpx_ne_u16_e32 0x80, v0
	s_cbranch_execz .LBB226_441
; %bb.436:                              ;   in Loop: Header=BB226_10 Depth=1
	v_and_b32_e32 v0, 0xffff, v0
	v_mov_b64_e32 v[6:7], 0x7f80000100000000
	s_mov_b32 s11, exec_lo
	s_delay_alu instid0(VALU_DEP_2)
	v_and_b32_e32 v4, 0x7f, v0
	scratch_store_b64 off, v[6:7], s32 offset:420 ; 8-byte Folded Spill
	s_wait_xcnt 0x0
	v_cmpx_ne_u32_e32 0x7f, v4
	s_cbranch_execz .LBB226_440
; %bb.437:                              ;   in Loop: Header=BB226_10 Depth=1
	scratch_load_b64 v[6:7], off, s32 offset:192 th:TH_LOAD_LU ; 8-byte Folded Reload
	v_lshrrev_b32_e32 v3, 3, v4
	s_mov_b32 s16, exec_lo
	s_wait_loadcnt 0x0
	v_dual_mov_b32 v1, v7 :: v_dual_bitop2_b32 v0, 7, v0 bitop3:0x40
	s_wait_xcnt 0x0
	v_cmpx_gt_u32_e32 8, v4
; %bb.438:                              ;   in Loop: Header=BB226_10 Depth=1
	s_delay_alu instid0(VALU_DEP_2) | instskip(NEXT) | instid1(VALU_DEP_1)
	v_clz_i32_u32_e32 v3, v0
	v_min_u32_e32 v3, 32, v3
	s_delay_alu instid0(VALU_DEP_1) | instskip(NEXT) | instid1(VALU_DEP_1)
	v_subrev_nc_u32_e32 v4, 28, v3
	v_lshlrev_b64_e32 v[4:5], v4, v[0:1]
	s_delay_alu instid0(VALU_DEP_1)
	v_dual_sub_nc_u32 v3, 29, v3 :: v_dual_bitop2_b32 v0, 7, v4 bitop3:0x40
; %bb.439:                              ;   in Loop: Header=BB226_10 Depth=1
	s_or_b32 exec_lo, exec_lo, s16
	s_delay_alu instid0(VALU_DEP_1) | instskip(NEXT) | instid1(VALU_DEP_2)
	v_dual_lshlrev_b32 v4, 16, v2 :: v_dual_lshlrev_b32 v0, 20, v0
	v_lshl_add_u32 v3, v3, 23, 0x3c000000
	s_delay_alu instid0(VALU_DEP_2) | instskip(NEXT) | instid1(VALU_DEP_1)
	v_and_b32_e32 v4, 0x80000000, v4
	v_or3_b32 v5, v0, v4, v3
	v_dual_mov_b32 v3, v1 :: v_dual_mov_b32 v4, v1
	s_clause 0x1
	scratch_store_b64 off, v[2:3], s32 offset:192
	scratch_store_b64 off, v[4:5], s32 offset:420
.LBB226_440:                            ;   in Loop: Header=BB226_10 Depth=1
	s_wait_xcnt 0x0
	s_or_b32 exec_lo, exec_lo, s11
.LBB226_441:                            ;   in Loop: Header=BB226_10 Depth=1
	s_delay_alu instid0(SALU_CYCLE_1)
	s_or_b32 exec_lo, exec_lo, s9
.LBB226_442:                            ;   in Loop: Header=BB226_10 Depth=1
	s_delay_alu instid0(SALU_CYCLE_1) | instskip(SKIP_3) | instid1(VALU_DEP_1)
	s_or_b32 exec_lo, exec_lo, s8
	v_mov_b64_e32 v[4:5], 0
	v_lshrrev_b32_e32 v3, 16, v2
	s_mov_b32 s8, exec_lo
	v_and_b32_e32 v0, 0xff, v3
	scratch_store_b64 off, v[4:5], s32 offset:428 ; 8-byte Folded Spill
	s_wait_xcnt 0x0
	v_mov_b64_e32 v[4:5], 0
	scratch_store_b64 off, v[4:5], s32 offset:680 ; 8-byte Folded Spill
	s_wait_xcnt 0x0
	v_cmpx_ne_u16_e32 0, v0
	s_cbranch_execz .LBB226_450
; %bb.443:                              ;   in Loop: Header=BB226_10 Depth=1
	v_cmp_ne_u16_e64 s1, 0x80, v0
	v_mov_b64_e32 v[0:1], 0x80000000
	s_and_saveexec_b32 s9, s1
	s_cbranch_execz .LBB226_449
; %bb.444:                              ;   in Loop: Header=BB226_10 Depth=1
	v_mov_b64_e32 v[0:1], 0x7f800001
	v_bfe_u32 v5, v2, 16, 7
	s_mov_b32 s11, exec_lo
	s_delay_alu instid0(VALU_DEP_1)
	v_cmpx_ne_u32_e32 0x7f, v5
	s_cbranch_execz .LBB226_448
; %bb.445:                              ;   in Loop: Header=BB226_10 Depth=1
	scratch_load_b64 v[0:1], off, s32 offset:192 th:TH_LOAD_LU ; 8-byte Folded Reload
	s_wait_loadcnt 0x0
	v_dual_lshrrev_b32 v4, 3, v5 :: v_dual_bitop2_b32 v0, 7, v3 bitop3:0x40
	s_mov_b32 s16, exec_lo
	s_wait_xcnt 0x0
	v_cmpx_gt_u32_e32 8, v5
; %bb.446:                              ;   in Loop: Header=BB226_10 Depth=1
	s_delay_alu instid0(VALU_DEP_2) | instskip(NEXT) | instid1(VALU_DEP_1)
	v_clz_i32_u32_e32 v4, v0
	v_min_u32_e32 v4, 32, v4
	s_delay_alu instid0(VALU_DEP_1) | instskip(NEXT) | instid1(VALU_DEP_1)
	v_subrev_nc_u32_e32 v5, 28, v4
	v_lshlrev_b64_e32 v[6:7], v5, v[0:1]
	s_delay_alu instid0(VALU_DEP_1)
	v_dual_sub_nc_u32 v4, 29, v4 :: v_dual_bitop2_b32 v0, 7, v6 bitop3:0x40
; %bb.447:                              ;   in Loop: Header=BB226_10 Depth=1
	s_or_b32 exec_lo, exec_lo, s16
	s_delay_alu instid0(VALU_DEP_1) | instskip(NEXT) | instid1(VALU_DEP_2)
	v_dual_lshlrev_b32 v3, 24, v3 :: v_dual_lshlrev_b32 v0, 20, v0
	v_lshl_add_u32 v4, v4, 23, 0x3c000000
	s_delay_alu instid0(VALU_DEP_2) | instskip(NEXT) | instid1(VALU_DEP_1)
	v_and_b32_e32 v3, 0x80000000, v3
	v_or3_b32 v0, v0, v3, v4
	v_mov_b32_e32 v3, v1
	scratch_store_b64 off, v[2:3], s32 offset:192 ; 8-byte Folded Spill
.LBB226_448:                            ;   in Loop: Header=BB226_10 Depth=1
	s_wait_xcnt 0x0
	s_or_b32 exec_lo, exec_lo, s11
.LBB226_449:                            ;   in Loop: Header=BB226_10 Depth=1
	s_delay_alu instid0(SALU_CYCLE_1)
	s_or_b32 exec_lo, exec_lo, s9
	scratch_store_b64 off, v[0:1], s32 offset:680 ; 8-byte Folded Spill
.LBB226_450:                            ;   in Loop: Header=BB226_10 Depth=1
	s_wait_xcnt 0x0
	s_or_b32 exec_lo, exec_lo, s8
	s_delay_alu instid0(SALU_CYCLE_1)
	s_mov_b32 s8, exec_lo
	v_cmpx_lt_u32_e32 0xffffff, v2
	s_cbranch_execz .LBB226_458
; %bb.451:                              ;   in Loop: Header=BB226_10 Depth=1
	v_mov_b64_e32 v[0:1], 0x8000000000000000
	v_lshrrev_b32_e32 v3, 24, v2
	s_mov_b32 s9, exec_lo
	scratch_store_b64 off, v[0:1], s32 offset:428 ; 8-byte Folded Spill
	s_wait_xcnt 0x0
	v_cmpx_ne_u32_e32 0x80, v3
	s_cbranch_execz .LBB226_457
; %bb.452:                              ;   in Loop: Header=BB226_10 Depth=1
	v_mov_b64_e32 v[0:1], 0x7f80000100000000
	v_bfe_u32 v4, v2, 24, 7
	s_mov_b32 s11, exec_lo
	scratch_store_b64 off, v[0:1], s32 offset:428 ; 8-byte Folded Spill
	s_wait_xcnt 0x0
	v_cmpx_ne_u32_e32 0x7f, v4
	s_cbranch_execz .LBB226_456
; %bb.453:                              ;   in Loop: Header=BB226_10 Depth=1
	scratch_load_b64 v[0:1], off, s32 offset:192 th:TH_LOAD_LU ; 8-byte Folded Reload
	s_wait_loadcnt 0x0
	v_dual_lshrrev_b32 v2, 3, v4 :: v_dual_bitop2_b32 v0, 7, v3 bitop3:0x40
	s_mov_b32 s16, exec_lo
	s_wait_xcnt 0x0
	v_cmpx_gt_u32_e32 8, v4
; %bb.454:                              ;   in Loop: Header=BB226_10 Depth=1
	s_delay_alu instid0(VALU_DEP_2) | instskip(NEXT) | instid1(VALU_DEP_1)
	v_clz_i32_u32_e32 v2, v0
	v_min_u32_e32 v2, 32, v2
	s_delay_alu instid0(VALU_DEP_1) | instskip(NEXT) | instid1(VALU_DEP_1)
	v_subrev_nc_u32_e32 v4, 28, v2
	v_lshlrev_b64_e32 v[4:5], v4, v[0:1]
	s_delay_alu instid0(VALU_DEP_1)
	v_dual_sub_nc_u32 v2, 29, v2 :: v_dual_bitop2_b32 v0, 7, v4 bitop3:0x40
; %bb.455:                              ;   in Loop: Header=BB226_10 Depth=1
	s_or_b32 exec_lo, exec_lo, s16
	s_delay_alu instid0(VALU_DEP_1) | instskip(NEXT) | instid1(VALU_DEP_2)
	v_dual_lshlrev_b32 v3, 24, v3 :: v_dual_lshlrev_b32 v0, 20, v0
	v_lshl_add_u32 v2, v2, 23, 0x3c000000
	v_mov_b32_e32 v4, v1
	s_delay_alu instid0(VALU_DEP_3) | instskip(NEXT) | instid1(VALU_DEP_1)
	v_and_b32_e32 v3, 0x80000000, v3
	v_or3_b32 v5, v0, v3, v2
	v_mov_b32_e32 v3, v1
	s_clause 0x1
	scratch_store_b64 off, v[4:5], s32 offset:428
	scratch_store_b64 off, v[2:3], s32 offset:192
.LBB226_456:                            ;   in Loop: Header=BB226_10 Depth=1
	s_wait_xcnt 0x0
	s_or_b32 exec_lo, exec_lo, s11
.LBB226_457:                            ;   in Loop: Header=BB226_10 Depth=1
	s_delay_alu instid0(SALU_CYCLE_1)
	s_or_b32 exec_lo, exec_lo, s9
.LBB226_458:                            ;   in Loop: Header=BB226_10 Depth=1
	s_delay_alu instid0(SALU_CYCLE_1)
	s_or_b32 exec_lo, exec_lo, s8
	flat_load_b32 v2, v[32:33] offset:1544
	v_mov_b64_e32 v[4:5], 0
	s_mov_b32 s8, exec_lo
	scratch_store_b64 off, v[4:5], s32 offset:436 ; 8-byte Folded Spill
	s_wait_xcnt 0x0
	v_mov_b64_e32 v[4:5], 0
	scratch_store_b64 off, v[4:5], s32 offset:688 ; 8-byte Folded Spill
	s_wait_loadcnt_dscnt 0x0
	v_and_b32_e32 v0, 0xff, v2
	s_wait_xcnt 0x0
	s_delay_alu instid0(VALU_DEP_1)
	v_cmpx_ne_u16_e32 0, v0
	s_cbranch_execz .LBB226_466
; %bb.459:                              ;   in Loop: Header=BB226_10 Depth=1
	v_cmp_ne_u16_e64 s1, 0x80, v0
	v_mov_b64_e32 v[0:1], 0x80000000
	s_and_saveexec_b32 s9, s1
	s_cbranch_execz .LBB226_465
; %bb.460:                              ;   in Loop: Header=BB226_10 Depth=1
	v_mov_b64_e32 v[0:1], 0x7f800001
	v_and_b32_e32 v4, 0x7f, v2
	s_mov_b32 s11, exec_lo
	s_delay_alu instid0(VALU_DEP_1)
	v_cmpx_ne_u32_e32 0x7f, v4
	s_cbranch_execz .LBB226_464
; %bb.461:                              ;   in Loop: Header=BB226_10 Depth=1
	scratch_load_b64 v[0:1], off, s32 offset:192 th:TH_LOAD_LU ; 8-byte Folded Reload
	s_wait_loadcnt 0x0
	v_dual_lshrrev_b32 v3, 3, v4 :: v_dual_bitop2_b32 v0, 7, v2 bitop3:0x40
	s_mov_b32 s16, exec_lo
	s_wait_xcnt 0x0
	v_cmpx_gt_u32_e32 8, v4
; %bb.462:                              ;   in Loop: Header=BB226_10 Depth=1
	s_delay_alu instid0(VALU_DEP_2) | instskip(NEXT) | instid1(VALU_DEP_1)
	v_clz_i32_u32_e32 v3, v0
	v_min_u32_e32 v3, 32, v3
	s_delay_alu instid0(VALU_DEP_1) | instskip(NEXT) | instid1(VALU_DEP_1)
	v_subrev_nc_u32_e32 v4, 28, v3
	v_lshlrev_b64_e32 v[4:5], v4, v[0:1]
	s_delay_alu instid0(VALU_DEP_1)
	v_dual_sub_nc_u32 v3, 29, v3 :: v_dual_bitop2_b32 v0, 7, v4 bitop3:0x40
; %bb.463:                              ;   in Loop: Header=BB226_10 Depth=1
	s_or_b32 exec_lo, exec_lo, s16
	s_delay_alu instid0(VALU_DEP_1) | instskip(NEXT) | instid1(VALU_DEP_2)
	v_dual_lshlrev_b32 v4, 24, v2 :: v_dual_lshlrev_b32 v0, 20, v0
	v_lshl_add_u32 v3, v3, 23, 0x3c000000
	s_delay_alu instid0(VALU_DEP_2) | instskip(NEXT) | instid1(VALU_DEP_1)
	v_and_b32_e32 v4, 0x80000000, v4
	v_or3_b32 v0, v0, v4, v3
	v_mov_b32_e32 v3, v1
	scratch_store_b64 off, v[2:3], s32 offset:192 ; 8-byte Folded Spill
.LBB226_464:                            ;   in Loop: Header=BB226_10 Depth=1
	s_wait_xcnt 0x0
	s_or_b32 exec_lo, exec_lo, s11
.LBB226_465:                            ;   in Loop: Header=BB226_10 Depth=1
	s_delay_alu instid0(SALU_CYCLE_1)
	s_or_b32 exec_lo, exec_lo, s9
	scratch_store_b64 off, v[0:1], s32 offset:688 ; 8-byte Folded Spill
.LBB226_466:                            ;   in Loop: Header=BB226_10 Depth=1
	s_wait_xcnt 0x0
	s_or_b32 exec_lo, exec_lo, s8
	v_lshrrev_b16 v0, 8, v2
	s_mov_b32 s8, exec_lo
	s_delay_alu instid0(VALU_DEP_1)
	v_cmpx_ne_u16_e32 0, v0
	s_cbranch_execz .LBB226_474
; %bb.467:                              ;   in Loop: Header=BB226_10 Depth=1
	v_mov_b64_e32 v[4:5], 0x8000000000000000
	s_mov_b32 s9, exec_lo
	scratch_store_b64 off, v[4:5], s32 offset:436 ; 8-byte Folded Spill
	s_wait_xcnt 0x0
	v_cmpx_ne_u16_e32 0x80, v0
	s_cbranch_execz .LBB226_473
; %bb.468:                              ;   in Loop: Header=BB226_10 Depth=1
	v_and_b32_e32 v0, 0xffff, v0
	v_mov_b64_e32 v[6:7], 0x7f80000100000000
	s_mov_b32 s11, exec_lo
	s_delay_alu instid0(VALU_DEP_2)
	v_and_b32_e32 v4, 0x7f, v0
	scratch_store_b64 off, v[6:7], s32 offset:436 ; 8-byte Folded Spill
	s_wait_xcnt 0x0
	v_cmpx_ne_u32_e32 0x7f, v4
	s_cbranch_execz .LBB226_472
; %bb.469:                              ;   in Loop: Header=BB226_10 Depth=1
	scratch_load_b64 v[6:7], off, s32 offset:192 th:TH_LOAD_LU ; 8-byte Folded Reload
	v_lshrrev_b32_e32 v3, 3, v4
	s_mov_b32 s16, exec_lo
	s_wait_loadcnt 0x0
	v_dual_mov_b32 v1, v7 :: v_dual_bitop2_b32 v0, 7, v0 bitop3:0x40
	s_wait_xcnt 0x0
	v_cmpx_gt_u32_e32 8, v4
; %bb.470:                              ;   in Loop: Header=BB226_10 Depth=1
	s_delay_alu instid0(VALU_DEP_2) | instskip(NEXT) | instid1(VALU_DEP_1)
	v_clz_i32_u32_e32 v3, v0
	v_min_u32_e32 v3, 32, v3
	s_delay_alu instid0(VALU_DEP_1) | instskip(NEXT) | instid1(VALU_DEP_1)
	v_subrev_nc_u32_e32 v4, 28, v3
	v_lshlrev_b64_e32 v[4:5], v4, v[0:1]
	s_delay_alu instid0(VALU_DEP_1)
	v_dual_sub_nc_u32 v3, 29, v3 :: v_dual_bitop2_b32 v0, 7, v4 bitop3:0x40
; %bb.471:                              ;   in Loop: Header=BB226_10 Depth=1
	s_or_b32 exec_lo, exec_lo, s16
	s_delay_alu instid0(VALU_DEP_1) | instskip(NEXT) | instid1(VALU_DEP_2)
	v_dual_lshlrev_b32 v4, 16, v2 :: v_dual_lshlrev_b32 v0, 20, v0
	v_lshl_add_u32 v3, v3, 23, 0x3c000000
	s_delay_alu instid0(VALU_DEP_2) | instskip(NEXT) | instid1(VALU_DEP_1)
	v_and_b32_e32 v4, 0x80000000, v4
	v_or3_b32 v5, v0, v4, v3
	v_dual_mov_b32 v3, v1 :: v_dual_mov_b32 v4, v1
	s_clause 0x1
	scratch_store_b64 off, v[2:3], s32 offset:192
	scratch_store_b64 off, v[4:5], s32 offset:436
.LBB226_472:                            ;   in Loop: Header=BB226_10 Depth=1
	s_wait_xcnt 0x0
	s_or_b32 exec_lo, exec_lo, s11
.LBB226_473:                            ;   in Loop: Header=BB226_10 Depth=1
	s_delay_alu instid0(SALU_CYCLE_1)
	s_or_b32 exec_lo, exec_lo, s9
.LBB226_474:                            ;   in Loop: Header=BB226_10 Depth=1
	s_delay_alu instid0(SALU_CYCLE_1) | instskip(SKIP_3) | instid1(VALU_DEP_1)
	s_or_b32 exec_lo, exec_lo, s8
	v_mov_b64_e32 v[4:5], 0
	v_lshrrev_b32_e32 v3, 16, v2
	s_mov_b32 s8, exec_lo
	v_and_b32_e32 v0, 0xff, v3
	scratch_store_b64 off, v[4:5], s32 offset:444 ; 8-byte Folded Spill
	s_wait_xcnt 0x0
	v_mov_b64_e32 v[4:5], 0
	scratch_store_b64 off, v[4:5], s32 offset:696 ; 8-byte Folded Spill
	s_wait_xcnt 0x0
	v_cmpx_ne_u16_e32 0, v0
	s_cbranch_execz .LBB226_482
; %bb.475:                              ;   in Loop: Header=BB226_10 Depth=1
	v_cmp_ne_u16_e64 s1, 0x80, v0
	v_mov_b64_e32 v[0:1], 0x80000000
	s_and_saveexec_b32 s9, s1
	s_cbranch_execz .LBB226_481
; %bb.476:                              ;   in Loop: Header=BB226_10 Depth=1
	v_mov_b64_e32 v[0:1], 0x7f800001
	v_bfe_u32 v5, v2, 16, 7
	s_mov_b32 s11, exec_lo
	s_delay_alu instid0(VALU_DEP_1)
	v_cmpx_ne_u32_e32 0x7f, v5
	s_cbranch_execz .LBB226_480
; %bb.477:                              ;   in Loop: Header=BB226_10 Depth=1
	scratch_load_b64 v[0:1], off, s32 offset:192 th:TH_LOAD_LU ; 8-byte Folded Reload
	s_wait_loadcnt 0x0
	v_dual_lshrrev_b32 v4, 3, v5 :: v_dual_bitop2_b32 v0, 7, v3 bitop3:0x40
	s_mov_b32 s16, exec_lo
	s_wait_xcnt 0x0
	v_cmpx_gt_u32_e32 8, v5
; %bb.478:                              ;   in Loop: Header=BB226_10 Depth=1
	s_delay_alu instid0(VALU_DEP_2) | instskip(NEXT) | instid1(VALU_DEP_1)
	v_clz_i32_u32_e32 v4, v0
	v_min_u32_e32 v4, 32, v4
	s_delay_alu instid0(VALU_DEP_1) | instskip(NEXT) | instid1(VALU_DEP_1)
	v_subrev_nc_u32_e32 v5, 28, v4
	v_lshlrev_b64_e32 v[6:7], v5, v[0:1]
	s_delay_alu instid0(VALU_DEP_1)
	v_dual_sub_nc_u32 v4, 29, v4 :: v_dual_bitop2_b32 v0, 7, v6 bitop3:0x40
; %bb.479:                              ;   in Loop: Header=BB226_10 Depth=1
	s_or_b32 exec_lo, exec_lo, s16
	s_delay_alu instid0(VALU_DEP_1) | instskip(NEXT) | instid1(VALU_DEP_2)
	v_dual_lshlrev_b32 v3, 24, v3 :: v_dual_lshlrev_b32 v0, 20, v0
	v_lshl_add_u32 v4, v4, 23, 0x3c000000
	s_delay_alu instid0(VALU_DEP_2) | instskip(NEXT) | instid1(VALU_DEP_1)
	v_and_b32_e32 v3, 0x80000000, v3
	v_or3_b32 v0, v0, v3, v4
	v_mov_b32_e32 v3, v1
	scratch_store_b64 off, v[2:3], s32 offset:192 ; 8-byte Folded Spill
.LBB226_480:                            ;   in Loop: Header=BB226_10 Depth=1
	s_wait_xcnt 0x0
	s_or_b32 exec_lo, exec_lo, s11
.LBB226_481:                            ;   in Loop: Header=BB226_10 Depth=1
	s_delay_alu instid0(SALU_CYCLE_1)
	s_or_b32 exec_lo, exec_lo, s9
	scratch_store_b64 off, v[0:1], s32 offset:696 ; 8-byte Folded Spill
.LBB226_482:                            ;   in Loop: Header=BB226_10 Depth=1
	s_wait_xcnt 0x0
	s_or_b32 exec_lo, exec_lo, s8
	s_delay_alu instid0(SALU_CYCLE_1)
	s_mov_b32 s8, exec_lo
	v_cmpx_lt_u32_e32 0xffffff, v2
	s_cbranch_execz .LBB226_490
; %bb.483:                              ;   in Loop: Header=BB226_10 Depth=1
	v_mov_b64_e32 v[0:1], 0x8000000000000000
	v_lshrrev_b32_e32 v3, 24, v2
	s_mov_b32 s9, exec_lo
	scratch_store_b64 off, v[0:1], s32 offset:444 ; 8-byte Folded Spill
	s_wait_xcnt 0x0
	v_cmpx_ne_u32_e32 0x80, v3
	s_cbranch_execz .LBB226_489
; %bb.484:                              ;   in Loop: Header=BB226_10 Depth=1
	v_mov_b64_e32 v[0:1], 0x7f80000100000000
	v_bfe_u32 v4, v2, 24, 7
	s_mov_b32 s11, exec_lo
	scratch_store_b64 off, v[0:1], s32 offset:444 ; 8-byte Folded Spill
	s_wait_xcnt 0x0
	v_cmpx_ne_u32_e32 0x7f, v4
	s_cbranch_execz .LBB226_488
; %bb.485:                              ;   in Loop: Header=BB226_10 Depth=1
	scratch_load_b64 v[0:1], off, s32 offset:192 th:TH_LOAD_LU ; 8-byte Folded Reload
	s_wait_loadcnt 0x0
	v_dual_lshrrev_b32 v2, 3, v4 :: v_dual_bitop2_b32 v0, 7, v3 bitop3:0x40
	s_mov_b32 s16, exec_lo
	s_wait_xcnt 0x0
	v_cmpx_gt_u32_e32 8, v4
; %bb.486:                              ;   in Loop: Header=BB226_10 Depth=1
	s_delay_alu instid0(VALU_DEP_2) | instskip(NEXT) | instid1(VALU_DEP_1)
	v_clz_i32_u32_e32 v2, v0
	v_min_u32_e32 v2, 32, v2
	s_delay_alu instid0(VALU_DEP_1) | instskip(NEXT) | instid1(VALU_DEP_1)
	v_subrev_nc_u32_e32 v4, 28, v2
	v_lshlrev_b64_e32 v[4:5], v4, v[0:1]
	s_delay_alu instid0(VALU_DEP_1)
	v_dual_sub_nc_u32 v2, 29, v2 :: v_dual_bitop2_b32 v0, 7, v4 bitop3:0x40
; %bb.487:                              ;   in Loop: Header=BB226_10 Depth=1
	s_or_b32 exec_lo, exec_lo, s16
	s_delay_alu instid0(VALU_DEP_1) | instskip(NEXT) | instid1(VALU_DEP_2)
	v_dual_lshlrev_b32 v3, 24, v3 :: v_dual_lshlrev_b32 v0, 20, v0
	v_lshl_add_u32 v2, v2, 23, 0x3c000000
	v_mov_b32_e32 v4, v1
	s_delay_alu instid0(VALU_DEP_3) | instskip(NEXT) | instid1(VALU_DEP_1)
	v_and_b32_e32 v3, 0x80000000, v3
	v_or3_b32 v5, v0, v3, v2
	v_mov_b32_e32 v3, v1
	s_clause 0x1
	scratch_store_b64 off, v[4:5], s32 offset:444
	scratch_store_b64 off, v[2:3], s32 offset:192
.LBB226_488:                            ;   in Loop: Header=BB226_10 Depth=1
	s_wait_xcnt 0x0
	s_or_b32 exec_lo, exec_lo, s11
.LBB226_489:                            ;   in Loop: Header=BB226_10 Depth=1
	s_delay_alu instid0(SALU_CYCLE_1)
	s_or_b32 exec_lo, exec_lo, s9
.LBB226_490:                            ;   in Loop: Header=BB226_10 Depth=1
	s_delay_alu instid0(SALU_CYCLE_1)
	s_or_b32 exec_lo, exec_lo, s8
	flat_load_b32 v2, v[32:33] offset:1548
	v_mov_b64_e32 v[4:5], 0
	s_mov_b32 s8, exec_lo
	scratch_store_b64 off, v[4:5], s32 offset:452 ; 8-byte Folded Spill
	s_wait_xcnt 0x0
	v_mov_b64_e32 v[4:5], 0
	scratch_store_b64 off, v[4:5], s32 offset:704 ; 8-byte Folded Spill
	s_wait_loadcnt_dscnt 0x0
	v_and_b32_e32 v0, 0xff, v2
	s_wait_xcnt 0x0
	s_delay_alu instid0(VALU_DEP_1)
	v_cmpx_ne_u16_e32 0, v0
	s_cbranch_execz .LBB226_498
; %bb.491:                              ;   in Loop: Header=BB226_10 Depth=1
	v_cmp_ne_u16_e64 s1, 0x80, v0
	v_mov_b64_e32 v[0:1], 0x80000000
	s_and_saveexec_b32 s9, s1
	s_cbranch_execz .LBB226_497
; %bb.492:                              ;   in Loop: Header=BB226_10 Depth=1
	v_mov_b64_e32 v[0:1], 0x7f800001
	v_and_b32_e32 v4, 0x7f, v2
	s_mov_b32 s11, exec_lo
	s_delay_alu instid0(VALU_DEP_1)
	v_cmpx_ne_u32_e32 0x7f, v4
	s_cbranch_execz .LBB226_496
; %bb.493:                              ;   in Loop: Header=BB226_10 Depth=1
	scratch_load_b64 v[0:1], off, s32 offset:192 th:TH_LOAD_LU ; 8-byte Folded Reload
	s_wait_loadcnt 0x0
	v_dual_lshrrev_b32 v3, 3, v4 :: v_dual_bitop2_b32 v0, 7, v2 bitop3:0x40
	s_mov_b32 s16, exec_lo
	s_wait_xcnt 0x0
	v_cmpx_gt_u32_e32 8, v4
; %bb.494:                              ;   in Loop: Header=BB226_10 Depth=1
	s_delay_alu instid0(VALU_DEP_2) | instskip(NEXT) | instid1(VALU_DEP_1)
	v_clz_i32_u32_e32 v3, v0
	v_min_u32_e32 v3, 32, v3
	s_delay_alu instid0(VALU_DEP_1) | instskip(NEXT) | instid1(VALU_DEP_1)
	v_subrev_nc_u32_e32 v4, 28, v3
	v_lshlrev_b64_e32 v[4:5], v4, v[0:1]
	s_delay_alu instid0(VALU_DEP_1)
	v_dual_sub_nc_u32 v3, 29, v3 :: v_dual_bitop2_b32 v0, 7, v4 bitop3:0x40
; %bb.495:                              ;   in Loop: Header=BB226_10 Depth=1
	s_or_b32 exec_lo, exec_lo, s16
	s_delay_alu instid0(VALU_DEP_1) | instskip(NEXT) | instid1(VALU_DEP_2)
	v_dual_lshlrev_b32 v4, 24, v2 :: v_dual_lshlrev_b32 v0, 20, v0
	v_lshl_add_u32 v3, v3, 23, 0x3c000000
	s_delay_alu instid0(VALU_DEP_2) | instskip(NEXT) | instid1(VALU_DEP_1)
	v_and_b32_e32 v4, 0x80000000, v4
	v_or3_b32 v0, v0, v4, v3
	v_mov_b32_e32 v3, v1
	scratch_store_b64 off, v[2:3], s32 offset:192 ; 8-byte Folded Spill
.LBB226_496:                            ;   in Loop: Header=BB226_10 Depth=1
	s_wait_xcnt 0x0
	s_or_b32 exec_lo, exec_lo, s11
.LBB226_497:                            ;   in Loop: Header=BB226_10 Depth=1
	s_delay_alu instid0(SALU_CYCLE_1)
	s_or_b32 exec_lo, exec_lo, s9
	scratch_store_b64 off, v[0:1], s32 offset:704 ; 8-byte Folded Spill
.LBB226_498:                            ;   in Loop: Header=BB226_10 Depth=1
	s_wait_xcnt 0x0
	s_or_b32 exec_lo, exec_lo, s8
	v_lshrrev_b16 v0, 8, v2
	s_mov_b32 s8, exec_lo
	s_delay_alu instid0(VALU_DEP_1)
	v_cmpx_ne_u16_e32 0, v0
	s_cbranch_execz .LBB226_506
; %bb.499:                              ;   in Loop: Header=BB226_10 Depth=1
	v_mov_b64_e32 v[4:5], 0x8000000000000000
	s_mov_b32 s9, exec_lo
	scratch_store_b64 off, v[4:5], s32 offset:452 ; 8-byte Folded Spill
	s_wait_xcnt 0x0
	v_cmpx_ne_u16_e32 0x80, v0
	s_cbranch_execz .LBB226_505
; %bb.500:                              ;   in Loop: Header=BB226_10 Depth=1
	v_and_b32_e32 v0, 0xffff, v0
	v_mov_b64_e32 v[6:7], 0x7f80000100000000
	s_mov_b32 s11, exec_lo
	s_delay_alu instid0(VALU_DEP_2)
	v_and_b32_e32 v4, 0x7f, v0
	scratch_store_b64 off, v[6:7], s32 offset:452 ; 8-byte Folded Spill
	s_wait_xcnt 0x0
	v_cmpx_ne_u32_e32 0x7f, v4
	s_cbranch_execz .LBB226_504
; %bb.501:                              ;   in Loop: Header=BB226_10 Depth=1
	scratch_load_b64 v[6:7], off, s32 offset:192 th:TH_LOAD_LU ; 8-byte Folded Reload
	v_lshrrev_b32_e32 v3, 3, v4
	s_mov_b32 s16, exec_lo
	s_wait_loadcnt 0x0
	v_dual_mov_b32 v1, v7 :: v_dual_bitop2_b32 v0, 7, v0 bitop3:0x40
	s_wait_xcnt 0x0
	v_cmpx_gt_u32_e32 8, v4
; %bb.502:                              ;   in Loop: Header=BB226_10 Depth=1
	s_delay_alu instid0(VALU_DEP_2) | instskip(NEXT) | instid1(VALU_DEP_1)
	v_clz_i32_u32_e32 v3, v0
	v_min_u32_e32 v3, 32, v3
	s_delay_alu instid0(VALU_DEP_1) | instskip(NEXT) | instid1(VALU_DEP_1)
	v_subrev_nc_u32_e32 v4, 28, v3
	v_lshlrev_b64_e32 v[4:5], v4, v[0:1]
	s_delay_alu instid0(VALU_DEP_1)
	v_dual_sub_nc_u32 v3, 29, v3 :: v_dual_bitop2_b32 v0, 7, v4 bitop3:0x40
; %bb.503:                              ;   in Loop: Header=BB226_10 Depth=1
	s_or_b32 exec_lo, exec_lo, s16
	s_delay_alu instid0(VALU_DEP_1) | instskip(NEXT) | instid1(VALU_DEP_2)
	v_dual_lshlrev_b32 v4, 16, v2 :: v_dual_lshlrev_b32 v0, 20, v0
	v_lshl_add_u32 v3, v3, 23, 0x3c000000
	s_delay_alu instid0(VALU_DEP_2) | instskip(NEXT) | instid1(VALU_DEP_1)
	v_and_b32_e32 v4, 0x80000000, v4
	v_or3_b32 v5, v0, v4, v3
	v_dual_mov_b32 v3, v1 :: v_dual_mov_b32 v4, v1
	s_clause 0x1
	scratch_store_b64 off, v[2:3], s32 offset:192
	scratch_store_b64 off, v[4:5], s32 offset:452
.LBB226_504:                            ;   in Loop: Header=BB226_10 Depth=1
	s_wait_xcnt 0x0
	s_or_b32 exec_lo, exec_lo, s11
.LBB226_505:                            ;   in Loop: Header=BB226_10 Depth=1
	s_delay_alu instid0(SALU_CYCLE_1)
	s_or_b32 exec_lo, exec_lo, s9
.LBB226_506:                            ;   in Loop: Header=BB226_10 Depth=1
	s_delay_alu instid0(SALU_CYCLE_1) | instskip(SKIP_4) | instid1(VALU_DEP_3)
	s_or_b32 exec_lo, exec_lo, s8
	v_lshrrev_b32_e32 v3, 16, v2
	v_mov_b64_e32 v[30:31], 0
	v_mov_b64_e32 v[4:5], 0
	s_mov_b32 s8, exec_lo
	v_and_b32_e32 v0, 0xff, v3
	scratch_store_b64 off, v[4:5], s32 offset:712 ; 8-byte Folded Spill
	s_wait_xcnt 0x0
	v_cmpx_ne_u16_e32 0, v0
	s_cbranch_execz .LBB226_514
; %bb.507:                              ;   in Loop: Header=BB226_10 Depth=1
	v_cmp_ne_u16_e64 s1, 0x80, v0
	v_mov_b64_e32 v[0:1], 0x80000000
	s_and_saveexec_b32 s9, s1
	s_cbranch_execz .LBB226_513
; %bb.508:                              ;   in Loop: Header=BB226_10 Depth=1
	v_mov_b64_e32 v[0:1], 0x7f800001
	v_bfe_u32 v5, v2, 16, 7
	s_mov_b32 s11, exec_lo
	s_delay_alu instid0(VALU_DEP_1)
	v_cmpx_ne_u32_e32 0x7f, v5
	s_cbranch_execz .LBB226_512
; %bb.509:                              ;   in Loop: Header=BB226_10 Depth=1
	scratch_load_b64 v[0:1], off, s32 offset:192 th:TH_LOAD_LU ; 8-byte Folded Reload
	s_wait_loadcnt 0x0
	v_dual_lshrrev_b32 v4, 3, v5 :: v_dual_bitop2_b32 v0, 7, v3 bitop3:0x40
	s_mov_b32 s16, exec_lo
	s_wait_xcnt 0x0
	v_cmpx_gt_u32_e32 8, v5
; %bb.510:                              ;   in Loop: Header=BB226_10 Depth=1
	s_delay_alu instid0(VALU_DEP_2) | instskip(NEXT) | instid1(VALU_DEP_1)
	v_clz_i32_u32_e32 v4, v0
	v_min_u32_e32 v4, 32, v4
	s_delay_alu instid0(VALU_DEP_1) | instskip(NEXT) | instid1(VALU_DEP_1)
	v_subrev_nc_u32_e32 v5, 28, v4
	v_lshlrev_b64_e32 v[6:7], v5, v[0:1]
	s_delay_alu instid0(VALU_DEP_1)
	v_dual_sub_nc_u32 v4, 29, v4 :: v_dual_bitop2_b32 v0, 7, v6 bitop3:0x40
; %bb.511:                              ;   in Loop: Header=BB226_10 Depth=1
	s_or_b32 exec_lo, exec_lo, s16
	s_delay_alu instid0(VALU_DEP_1) | instskip(NEXT) | instid1(VALU_DEP_2)
	v_dual_lshlrev_b32 v3, 24, v3 :: v_dual_lshlrev_b32 v0, 20, v0
	v_lshl_add_u32 v4, v4, 23, 0x3c000000
	s_delay_alu instid0(VALU_DEP_2) | instskip(NEXT) | instid1(VALU_DEP_1)
	v_and_b32_e32 v3, 0x80000000, v3
	v_or3_b32 v0, v0, v3, v4
	v_mov_b32_e32 v3, v1
	scratch_store_b64 off, v[2:3], s32 offset:192 ; 8-byte Folded Spill
.LBB226_512:                            ;   in Loop: Header=BB226_10 Depth=1
	s_wait_xcnt 0x0
	s_or_b32 exec_lo, exec_lo, s11
.LBB226_513:                            ;   in Loop: Header=BB226_10 Depth=1
	s_delay_alu instid0(SALU_CYCLE_1)
	s_or_b32 exec_lo, exec_lo, s9
	scratch_store_b64 off, v[0:1], s32 offset:712 ; 8-byte Folded Spill
.LBB226_514:                            ;   in Loop: Header=BB226_10 Depth=1
	s_wait_xcnt 0x0
	s_or_b32 exec_lo, exec_lo, s8
	s_delay_alu instid0(SALU_CYCLE_1)
	s_mov_b32 s8, exec_lo
	v_cmpx_lt_u32_e32 0xffffff, v2
	s_cbranch_execz .LBB226_522
; %bb.515:                              ;   in Loop: Header=BB226_10 Depth=1
	v_mov_b64_e32 v[30:31], 0x8000000000000000
	v_lshrrev_b32_e32 v3, 24, v2
	s_mov_b32 s9, exec_lo
	s_delay_alu instid0(VALU_DEP_1)
	v_cmpx_ne_u32_e32 0x80, v3
	s_cbranch_execz .LBB226_521
; %bb.516:                              ;   in Loop: Header=BB226_10 Depth=1
	v_mov_b64_e32 v[30:31], 0x7f80000100000000
	v_bfe_u32 v4, v2, 24, 7
	s_mov_b32 s11, exec_lo
	s_delay_alu instid0(VALU_DEP_1)
	v_cmpx_ne_u32_e32 0x7f, v4
	s_cbranch_execz .LBB226_520
; %bb.517:                              ;   in Loop: Header=BB226_10 Depth=1
	scratch_load_b64 v[0:1], off, s32 offset:192 th:TH_LOAD_LU ; 8-byte Folded Reload
	s_wait_loadcnt 0x0
	v_dual_lshrrev_b32 v2, 3, v4 :: v_dual_bitop2_b32 v0, 7, v3 bitop3:0x40
	s_mov_b32 s16, exec_lo
	s_wait_xcnt 0x0
	v_cmpx_gt_u32_e32 8, v4
; %bb.518:                              ;   in Loop: Header=BB226_10 Depth=1
	s_delay_alu instid0(VALU_DEP_2) | instskip(NEXT) | instid1(VALU_DEP_1)
	v_clz_i32_u32_e32 v2, v0
	v_min_u32_e32 v2, 32, v2
	s_delay_alu instid0(VALU_DEP_1) | instskip(NEXT) | instid1(VALU_DEP_1)
	v_subrev_nc_u32_e32 v4, 28, v2
	v_lshlrev_b64_e32 v[4:5], v4, v[0:1]
	s_delay_alu instid0(VALU_DEP_1)
	v_dual_sub_nc_u32 v2, 29, v2 :: v_dual_bitop2_b32 v0, 7, v4 bitop3:0x40
; %bb.519:                              ;   in Loop: Header=BB226_10 Depth=1
	s_or_b32 exec_lo, exec_lo, s16
	s_delay_alu instid0(VALU_DEP_1) | instskip(NEXT) | instid1(VALU_DEP_2)
	v_dual_lshlrev_b32 v3, 24, v3 :: v_dual_lshlrev_b32 v0, 20, v0
	v_lshl_add_u32 v2, v2, 23, 0x3c000000
	v_mov_b32_e32 v30, v1
	s_delay_alu instid0(VALU_DEP_3) | instskip(NEXT) | instid1(VALU_DEP_1)
	v_and_b32_e32 v3, 0x80000000, v3
	v_or3_b32 v31, v0, v3, v2
	v_mov_b32_e32 v3, v1
	scratch_store_b64 off, v[2:3], s32 offset:192 ; 8-byte Folded Spill
.LBB226_520:                            ;   in Loop: Header=BB226_10 Depth=1
	s_wait_xcnt 0x0
	s_or_b32 exec_lo, exec_lo, s11
.LBB226_521:                            ;   in Loop: Header=BB226_10 Depth=1
	s_delay_alu instid0(SALU_CYCLE_1)
	s_or_b32 exec_lo, exec_lo, s9
.LBB226_522:                            ;   in Loop: Header=BB226_10 Depth=1
	s_delay_alu instid0(SALU_CYCLE_1)
	s_or_b32 exec_lo, exec_lo, s8
	flat_load_b32 v2, v[32:33] offset:2048
	v_mov_b64_e32 v[12:13], 0
	v_mov_b64_e32 v[36:37], 0
	s_mov_b32 s8, exec_lo
	s_wait_loadcnt_dscnt 0x0
	v_and_b32_e32 v0, 0xff, v2
	s_wait_xcnt 0x0
	s_delay_alu instid0(VALU_DEP_1)
	v_cmpx_ne_u16_e32 0, v0
	s_cbranch_execz .LBB226_530
; %bb.523:                              ;   in Loop: Header=BB226_10 Depth=1
	v_mov_b64_e32 v[36:37], 0x80000000
	s_mov_b32 s9, exec_lo
	v_cmpx_ne_u16_e32 0x80, v0
	s_cbranch_execz .LBB226_529
; %bb.524:                              ;   in Loop: Header=BB226_10 Depth=1
	v_mov_b64_e32 v[36:37], 0x7f800001
	v_and_b32_e32 v4, 0x7f, v2
	s_mov_b32 s11, exec_lo
	s_delay_alu instid0(VALU_DEP_1)
	v_cmpx_ne_u32_e32 0x7f, v4
	s_cbranch_execz .LBB226_528
; %bb.525:                              ;   in Loop: Header=BB226_10 Depth=1
	scratch_load_b64 v[36:37], off, s32 offset:192 th:TH_LOAD_LU ; 8-byte Folded Reload
	s_wait_loadcnt 0x0
	v_dual_lshrrev_b32 v3, 3, v4 :: v_dual_bitop2_b32 v36, 7, v2 bitop3:0x40
	s_mov_b32 s16, exec_lo
	s_wait_xcnt 0x0
	v_cmpx_gt_u32_e32 8, v4
; %bb.526:                              ;   in Loop: Header=BB226_10 Depth=1
	s_delay_alu instid0(VALU_DEP_2) | instskip(NEXT) | instid1(VALU_DEP_1)
	v_clz_i32_u32_e32 v3, v36
	v_min_u32_e32 v3, 32, v3
	s_delay_alu instid0(VALU_DEP_1) | instskip(NEXT) | instid1(VALU_DEP_1)
	v_subrev_nc_u32_e32 v4, 28, v3
	v_lshlrev_b64_e32 v[4:5], v4, v[36:37]
	s_delay_alu instid0(VALU_DEP_1)
	v_dual_sub_nc_u32 v3, 29, v3 :: v_dual_bitop2_b32 v36, 7, v4 bitop3:0x40
; %bb.527:                              ;   in Loop: Header=BB226_10 Depth=1
	s_or_b32 exec_lo, exec_lo, s16
	s_delay_alu instid0(VALU_DEP_1) | instskip(NEXT) | instid1(VALU_DEP_2)
	v_dual_lshlrev_b32 v4, 24, v2 :: v_dual_lshlrev_b32 v0, 20, v36
	v_lshl_add_u32 v3, v3, 23, 0x3c000000
	v_mov_b32_e32 v1, v37
	s_delay_alu instid0(VALU_DEP_3)
	v_and_b32_e32 v4, 0x80000000, v4
	scratch_store_b64 off, v[0:1], s32 offset:192 ; 8-byte Folded Spill
	v_or3_b32 v36, v0, v4, v3
.LBB226_528:                            ;   in Loop: Header=BB226_10 Depth=1
	s_wait_xcnt 0x0
	s_or_b32 exec_lo, exec_lo, s11
.LBB226_529:                            ;   in Loop: Header=BB226_10 Depth=1
	s_delay_alu instid0(SALU_CYCLE_1)
	s_or_b32 exec_lo, exec_lo, s9
.LBB226_530:                            ;   in Loop: Header=BB226_10 Depth=1
	s_delay_alu instid0(SALU_CYCLE_1) | instskip(SKIP_2) | instid1(VALU_DEP_1)
	s_or_b32 exec_lo, exec_lo, s8
	v_lshrrev_b16 v0, 8, v2
	s_mov_b32 s8, exec_lo
	v_cmpx_ne_u16_e32 0, v0
	s_cbranch_execz .LBB226_538
; %bb.531:                              ;   in Loop: Header=BB226_10 Depth=1
	v_mov_b64_e32 v[12:13], 0x8000000000000000
	s_mov_b32 s9, exec_lo
	v_cmpx_ne_u16_e32 0x80, v0
	s_cbranch_execz .LBB226_537
; %bb.532:                              ;   in Loop: Header=BB226_10 Depth=1
	v_and_b32_e32 v0, 0xffff, v0
	v_mov_b64_e32 v[12:13], 0x7f80000100000000
	s_mov_b32 s11, exec_lo
	s_delay_alu instid0(VALU_DEP_2) | instskip(NEXT) | instid1(VALU_DEP_1)
	v_and_b32_e32 v4, 0x7f, v0
	v_cmpx_ne_u32_e32 0x7f, v4
	s_cbranch_execz .LBB226_536
; %bb.533:                              ;   in Loop: Header=BB226_10 Depth=1
	scratch_load_b64 v[6:7], off, s32 offset:192 th:TH_LOAD_LU ; 8-byte Folded Reload
	v_lshrrev_b32_e32 v3, 3, v4
	s_mov_b32 s16, exec_lo
	s_wait_loadcnt 0x0
	v_dual_mov_b32 v1, v7 :: v_dual_bitop2_b32 v0, 7, v0 bitop3:0x40
	s_wait_xcnt 0x0
	v_cmpx_gt_u32_e32 8, v4
; %bb.534:                              ;   in Loop: Header=BB226_10 Depth=1
	s_delay_alu instid0(VALU_DEP_2) | instskip(NEXT) | instid1(VALU_DEP_1)
	v_clz_i32_u32_e32 v3, v0
	v_min_u32_e32 v3, 32, v3
	s_delay_alu instid0(VALU_DEP_1) | instskip(NEXT) | instid1(VALU_DEP_1)
	v_subrev_nc_u32_e32 v4, 28, v3
	v_lshlrev_b64_e32 v[4:5], v4, v[0:1]
	s_delay_alu instid0(VALU_DEP_1)
	v_dual_sub_nc_u32 v3, 29, v3 :: v_dual_bitop2_b32 v0, 7, v4 bitop3:0x40
; %bb.535:                              ;   in Loop: Header=BB226_10 Depth=1
	s_or_b32 exec_lo, exec_lo, s16
	s_delay_alu instid0(VALU_DEP_1) | instskip(NEXT) | instid1(VALU_DEP_2)
	v_dual_lshlrev_b32 v4, 16, v2 :: v_dual_lshlrev_b32 v0, 20, v0
	v_lshl_add_u32 v3, v3, 23, 0x3c000000
	v_mov_b32_e32 v12, v1
	s_delay_alu instid0(VALU_DEP_3) | instskip(NEXT) | instid1(VALU_DEP_1)
	v_and_b32_e32 v4, 0x80000000, v4
	v_or3_b32 v13, v0, v4, v3
	v_mov_b32_e32 v3, v1
	scratch_store_b64 off, v[2:3], s32 offset:192 ; 8-byte Folded Spill
.LBB226_536:                            ;   in Loop: Header=BB226_10 Depth=1
	s_wait_xcnt 0x0
	s_or_b32 exec_lo, exec_lo, s11
.LBB226_537:                            ;   in Loop: Header=BB226_10 Depth=1
	s_delay_alu instid0(SALU_CYCLE_1)
	s_or_b32 exec_lo, exec_lo, s9
.LBB226_538:                            ;   in Loop: Header=BB226_10 Depth=1
	s_delay_alu instid0(SALU_CYCLE_1) | instskip(SKIP_4) | instid1(VALU_DEP_3)
	s_or_b32 exec_lo, exec_lo, s8
	v_lshrrev_b32_e32 v3, 16, v2
	v_mov_b64_e32 v[24:25], 0
	v_mov_b64_e32 v[48:49], 0
	s_mov_b32 s8, exec_lo
	v_and_b32_e32 v0, 0xff, v3
	s_delay_alu instid0(VALU_DEP_1)
	v_cmpx_ne_u16_e32 0, v0
	s_cbranch_execz .LBB226_546
; %bb.539:                              ;   in Loop: Header=BB226_10 Depth=1
	v_mov_b64_e32 v[48:49], 0x80000000
	s_mov_b32 s9, exec_lo
	v_cmpx_ne_u16_e32 0x80, v0
	s_cbranch_execz .LBB226_545
; %bb.540:                              ;   in Loop: Header=BB226_10 Depth=1
	v_mov_b64_e32 v[48:49], 0x7f800001
	v_bfe_u32 v5, v2, 16, 7
	s_mov_b32 s11, exec_lo
	s_delay_alu instid0(VALU_DEP_1)
	v_cmpx_ne_u32_e32 0x7f, v5
	s_cbranch_execz .LBB226_544
; %bb.541:                              ;   in Loop: Header=BB226_10 Depth=1
	scratch_load_b64 v[48:49], off, s32 offset:192 th:TH_LOAD_LU ; 8-byte Folded Reload
	s_wait_loadcnt 0x0
	v_dual_lshrrev_b32 v4, 3, v5 :: v_dual_bitop2_b32 v48, 7, v3 bitop3:0x40
	s_mov_b32 s16, exec_lo
	s_wait_xcnt 0x0
	v_cmpx_gt_u32_e32 8, v5
; %bb.542:                              ;   in Loop: Header=BB226_10 Depth=1
	s_delay_alu instid0(VALU_DEP_2) | instskip(NEXT) | instid1(VALU_DEP_1)
	v_clz_i32_u32_e32 v4, v48
	v_min_u32_e32 v4, 32, v4
	s_delay_alu instid0(VALU_DEP_1) | instskip(SKIP_1) | instid1(VALU_DEP_2)
	v_subrev_nc_u32_e32 v5, 28, v4
	v_sub_nc_u32_e32 v4, 29, v4
	v_lshlrev_b64_e32 v[8:9], v5, v[48:49]
	s_delay_alu instid0(VALU_DEP_1)
	v_and_b32_e32 v48, 7, v8
; %bb.543:                              ;   in Loop: Header=BB226_10 Depth=1
	s_or_b32 exec_lo, exec_lo, s16
	s_delay_alu instid0(VALU_DEP_1) | instskip(SKIP_2) | instid1(VALU_DEP_3)
	v_dual_lshlrev_b32 v3, 24, v3 :: v_dual_lshlrev_b32 v0, 20, v48
	v_lshl_add_u32 v4, v4, 23, 0x3c000000
	v_mov_b32_e32 v1, v49
	v_and_b32_e32 v3, 0x80000000, v3
	scratch_store_b64 off, v[0:1], s32 offset:192 ; 8-byte Folded Spill
	v_or3_b32 v48, v0, v3, v4
.LBB226_544:                            ;   in Loop: Header=BB226_10 Depth=1
	s_wait_xcnt 0x0
	s_or_b32 exec_lo, exec_lo, s11
.LBB226_545:                            ;   in Loop: Header=BB226_10 Depth=1
	s_delay_alu instid0(SALU_CYCLE_1)
	s_or_b32 exec_lo, exec_lo, s9
.LBB226_546:                            ;   in Loop: Header=BB226_10 Depth=1
	s_delay_alu instid0(SALU_CYCLE_1) | instskip(NEXT) | instid1(SALU_CYCLE_1)
	s_or_b32 exec_lo, exec_lo, s8
	s_mov_b32 s8, exec_lo
	v_cmpx_lt_u32_e32 0xffffff, v2
	s_cbranch_execz .LBB226_554
; %bb.547:                              ;   in Loop: Header=BB226_10 Depth=1
	v_mov_b64_e32 v[24:25], 0x8000000000000000
	v_lshrrev_b32_e32 v3, 24, v2
	s_mov_b32 s9, exec_lo
	s_delay_alu instid0(VALU_DEP_1)
	v_cmpx_ne_u32_e32 0x80, v3
	s_cbranch_execz .LBB226_553
; %bb.548:                              ;   in Loop: Header=BB226_10 Depth=1
	v_mov_b64_e32 v[24:25], 0x7f80000100000000
	v_bfe_u32 v4, v2, 24, 7
	s_mov_b32 s11, exec_lo
	s_delay_alu instid0(VALU_DEP_1)
	v_cmpx_ne_u32_e32 0x7f, v4
	s_cbranch_execz .LBB226_552
; %bb.549:                              ;   in Loop: Header=BB226_10 Depth=1
	scratch_load_b64 v[0:1], off, s32 offset:192 th:TH_LOAD_LU ; 8-byte Folded Reload
	s_wait_loadcnt 0x0
	v_dual_lshrrev_b32 v2, 3, v4 :: v_dual_bitop2_b32 v0, 7, v3 bitop3:0x40
	s_mov_b32 s16, exec_lo
	s_wait_xcnt 0x0
	v_cmpx_gt_u32_e32 8, v4
; %bb.550:                              ;   in Loop: Header=BB226_10 Depth=1
	s_delay_alu instid0(VALU_DEP_2) | instskip(NEXT) | instid1(VALU_DEP_1)
	v_clz_i32_u32_e32 v2, v0
	v_min_u32_e32 v2, 32, v2
	s_delay_alu instid0(VALU_DEP_1) | instskip(NEXT) | instid1(VALU_DEP_1)
	v_subrev_nc_u32_e32 v4, 28, v2
	v_lshlrev_b64_e32 v[4:5], v4, v[0:1]
	s_delay_alu instid0(VALU_DEP_1)
	v_dual_sub_nc_u32 v2, 29, v2 :: v_dual_bitop2_b32 v0, 7, v4 bitop3:0x40
; %bb.551:                              ;   in Loop: Header=BB226_10 Depth=1
	s_or_b32 exec_lo, exec_lo, s16
	s_delay_alu instid0(VALU_DEP_1) | instskip(NEXT) | instid1(VALU_DEP_2)
	v_dual_lshlrev_b32 v3, 24, v3 :: v_dual_lshlrev_b32 v0, 20, v0
	v_lshl_add_u32 v2, v2, 23, 0x3c000000
	v_mov_b32_e32 v24, v1
	s_delay_alu instid0(VALU_DEP_3) | instskip(NEXT) | instid1(VALU_DEP_1)
	v_and_b32_e32 v3, 0x80000000, v3
	v_or3_b32 v25, v0, v3, v2
	v_mov_b32_e32 v3, v1
	scratch_store_b64 off, v[2:3], s32 offset:192 ; 8-byte Folded Spill
.LBB226_552:                            ;   in Loop: Header=BB226_10 Depth=1
	s_wait_xcnt 0x0
	s_or_b32 exec_lo, exec_lo, s11
.LBB226_553:                            ;   in Loop: Header=BB226_10 Depth=1
	s_delay_alu instid0(SALU_CYCLE_1)
	s_or_b32 exec_lo, exec_lo, s9
.LBB226_554:                            ;   in Loop: Header=BB226_10 Depth=1
	s_delay_alu instid0(SALU_CYCLE_1)
	s_or_b32 exec_lo, exec_lo, s8
	flat_load_b32 v2, v[32:33] offset:2052
	v_mov_b64_e32 v[28:29], 0
	v_mov_b64_e32 v[52:53], 0
	s_mov_b32 s8, exec_lo
	s_wait_loadcnt_dscnt 0x0
	v_and_b32_e32 v0, 0xff, v2
	s_wait_xcnt 0x0
	s_delay_alu instid0(VALU_DEP_1)
	v_cmpx_ne_u16_e32 0, v0
	s_cbranch_execz .LBB226_562
; %bb.555:                              ;   in Loop: Header=BB226_10 Depth=1
	v_mov_b64_e32 v[52:53], 0x80000000
	s_mov_b32 s9, exec_lo
	v_cmpx_ne_u16_e32 0x80, v0
	s_cbranch_execz .LBB226_561
; %bb.556:                              ;   in Loop: Header=BB226_10 Depth=1
	v_mov_b64_e32 v[52:53], 0x7f800001
	v_and_b32_e32 v4, 0x7f, v2
	s_mov_b32 s11, exec_lo
	s_delay_alu instid0(VALU_DEP_1)
	v_cmpx_ne_u32_e32 0x7f, v4
	s_cbranch_execz .LBB226_560
; %bb.557:                              ;   in Loop: Header=BB226_10 Depth=1
	scratch_load_b64 v[52:53], off, s32 offset:192 th:TH_LOAD_LU ; 8-byte Folded Reload
	s_wait_loadcnt 0x0
	v_dual_lshrrev_b32 v3, 3, v4 :: v_dual_bitop2_b32 v52, 7, v2 bitop3:0x40
	s_mov_b32 s16, exec_lo
	s_wait_xcnt 0x0
	v_cmpx_gt_u32_e32 8, v4
; %bb.558:                              ;   in Loop: Header=BB226_10 Depth=1
	s_delay_alu instid0(VALU_DEP_2) | instskip(NEXT) | instid1(VALU_DEP_1)
	v_clz_i32_u32_e32 v3, v52
	v_min_u32_e32 v3, 32, v3
	s_delay_alu instid0(VALU_DEP_1) | instskip(NEXT) | instid1(VALU_DEP_1)
	v_subrev_nc_u32_e32 v4, 28, v3
	v_lshlrev_b64_e32 v[4:5], v4, v[52:53]
	s_delay_alu instid0(VALU_DEP_1)
	v_dual_sub_nc_u32 v3, 29, v3 :: v_dual_bitop2_b32 v52, 7, v4 bitop3:0x40
; %bb.559:                              ;   in Loop: Header=BB226_10 Depth=1
	s_or_b32 exec_lo, exec_lo, s16
	s_delay_alu instid0(VALU_DEP_1) | instskip(NEXT) | instid1(VALU_DEP_2)
	v_dual_lshlrev_b32 v4, 24, v2 :: v_dual_lshlrev_b32 v0, 20, v52
	v_lshl_add_u32 v3, v3, 23, 0x3c000000
	v_mov_b32_e32 v1, v53
	s_delay_alu instid0(VALU_DEP_3)
	v_and_b32_e32 v4, 0x80000000, v4
	scratch_store_b64 off, v[0:1], s32 offset:192 ; 8-byte Folded Spill
	v_or3_b32 v52, v0, v4, v3
.LBB226_560:                            ;   in Loop: Header=BB226_10 Depth=1
	s_wait_xcnt 0x0
	s_or_b32 exec_lo, exec_lo, s11
.LBB226_561:                            ;   in Loop: Header=BB226_10 Depth=1
	s_delay_alu instid0(SALU_CYCLE_1)
	s_or_b32 exec_lo, exec_lo, s9
.LBB226_562:                            ;   in Loop: Header=BB226_10 Depth=1
	s_delay_alu instid0(SALU_CYCLE_1) | instskip(SKIP_2) | instid1(VALU_DEP_1)
	s_or_b32 exec_lo, exec_lo, s8
	v_lshrrev_b16 v0, 8, v2
	s_mov_b32 s8, exec_lo
	v_cmpx_ne_u16_e32 0, v0
	s_cbranch_execz .LBB226_570
; %bb.563:                              ;   in Loop: Header=BB226_10 Depth=1
	v_mov_b64_e32 v[28:29], 0x8000000000000000
	s_mov_b32 s9, exec_lo
	v_cmpx_ne_u16_e32 0x80, v0
	s_cbranch_execz .LBB226_569
; %bb.564:                              ;   in Loop: Header=BB226_10 Depth=1
	v_and_b32_e32 v0, 0xffff, v0
	v_mov_b64_e32 v[28:29], 0x7f80000100000000
	s_mov_b32 s11, exec_lo
	s_delay_alu instid0(VALU_DEP_2) | instskip(NEXT) | instid1(VALU_DEP_1)
	v_and_b32_e32 v4, 0x7f, v0
	v_cmpx_ne_u32_e32 0x7f, v4
	s_cbranch_execz .LBB226_568
; %bb.565:                              ;   in Loop: Header=BB226_10 Depth=1
	scratch_load_b64 v[6:7], off, s32 offset:192 th:TH_LOAD_LU ; 8-byte Folded Reload
	v_lshrrev_b32_e32 v3, 3, v4
	s_mov_b32 s16, exec_lo
	s_wait_loadcnt 0x0
	v_dual_mov_b32 v1, v7 :: v_dual_bitop2_b32 v0, 7, v0 bitop3:0x40
	s_wait_xcnt 0x0
	v_cmpx_gt_u32_e32 8, v4
; %bb.566:                              ;   in Loop: Header=BB226_10 Depth=1
	s_delay_alu instid0(VALU_DEP_2) | instskip(NEXT) | instid1(VALU_DEP_1)
	v_clz_i32_u32_e32 v3, v0
	v_min_u32_e32 v3, 32, v3
	s_delay_alu instid0(VALU_DEP_1) | instskip(NEXT) | instid1(VALU_DEP_1)
	v_subrev_nc_u32_e32 v4, 28, v3
	v_lshlrev_b64_e32 v[4:5], v4, v[0:1]
	s_delay_alu instid0(VALU_DEP_1)
	v_dual_sub_nc_u32 v3, 29, v3 :: v_dual_bitop2_b32 v0, 7, v4 bitop3:0x40
; %bb.567:                              ;   in Loop: Header=BB226_10 Depth=1
	s_or_b32 exec_lo, exec_lo, s16
	s_delay_alu instid0(VALU_DEP_1) | instskip(NEXT) | instid1(VALU_DEP_2)
	v_dual_lshlrev_b32 v4, 16, v2 :: v_dual_lshlrev_b32 v0, 20, v0
	v_lshl_add_u32 v3, v3, 23, 0x3c000000
	v_mov_b32_e32 v28, v1
	s_delay_alu instid0(VALU_DEP_3) | instskip(NEXT) | instid1(VALU_DEP_1)
	v_and_b32_e32 v4, 0x80000000, v4
	v_or3_b32 v29, v0, v4, v3
	v_mov_b32_e32 v3, v1
	scratch_store_b64 off, v[2:3], s32 offset:192 ; 8-byte Folded Spill
.LBB226_568:                            ;   in Loop: Header=BB226_10 Depth=1
	s_wait_xcnt 0x0
	s_or_b32 exec_lo, exec_lo, s11
.LBB226_569:                            ;   in Loop: Header=BB226_10 Depth=1
	s_delay_alu instid0(SALU_CYCLE_1)
	s_or_b32 exec_lo, exec_lo, s9
.LBB226_570:                            ;   in Loop: Header=BB226_10 Depth=1
	s_delay_alu instid0(SALU_CYCLE_1) | instskip(SKIP_4) | instid1(VALU_DEP_3)
	s_or_b32 exec_lo, exec_lo, s8
	v_lshrrev_b32_e32 v3, 16, v2
	v_mov_b64_e32 v[34:35], 0
	v_mov_b64_e32 v[64:65], 0
	s_mov_b32 s8, exec_lo
	v_and_b32_e32 v0, 0xff, v3
	s_delay_alu instid0(VALU_DEP_1)
	v_cmpx_ne_u16_e32 0, v0
	s_cbranch_execz .LBB226_578
; %bb.571:                              ;   in Loop: Header=BB226_10 Depth=1
	v_mov_b64_e32 v[64:65], 0x80000000
	s_mov_b32 s9, exec_lo
	v_cmpx_ne_u16_e32 0x80, v0
	s_cbranch_execz .LBB226_577
; %bb.572:                              ;   in Loop: Header=BB226_10 Depth=1
	v_mov_b64_e32 v[64:65], 0x7f800001
	v_bfe_u32 v5, v2, 16, 7
	s_mov_b32 s11, exec_lo
	s_delay_alu instid0(VALU_DEP_1)
	v_cmpx_ne_u32_e32 0x7f, v5
	s_cbranch_execz .LBB226_576
; %bb.573:                              ;   in Loop: Header=BB226_10 Depth=1
	scratch_load_b64 v[64:65], off, s32 offset:192 th:TH_LOAD_LU ; 8-byte Folded Reload
	s_wait_loadcnt 0x0
	v_dual_lshrrev_b32 v4, 3, v5 :: v_dual_bitop2_b32 v64, 7, v3 bitop3:0x40
	s_mov_b32 s16, exec_lo
	s_wait_xcnt 0x0
	v_cmpx_gt_u32_e32 8, v5
; %bb.574:                              ;   in Loop: Header=BB226_10 Depth=1
	s_delay_alu instid0(VALU_DEP_2) | instskip(NEXT) | instid1(VALU_DEP_1)
	v_clz_i32_u32_e32 v4, v64
	v_min_u32_e32 v4, 32, v4
	s_delay_alu instid0(VALU_DEP_1) | instskip(SKIP_1) | instid1(VALU_DEP_2)
	v_subrev_nc_u32_e32 v5, 28, v4
	v_sub_nc_u32_e32 v4, 29, v4
	v_lshlrev_b64_e32 v[8:9], v5, v[64:65]
	s_delay_alu instid0(VALU_DEP_1)
	v_and_b32_e32 v64, 7, v8
; %bb.575:                              ;   in Loop: Header=BB226_10 Depth=1
	s_or_b32 exec_lo, exec_lo, s16
	s_delay_alu instid0(VALU_DEP_1) | instskip(SKIP_2) | instid1(VALU_DEP_3)
	v_dual_lshlrev_b32 v3, 24, v3 :: v_dual_lshlrev_b32 v0, 20, v64
	v_lshl_add_u32 v4, v4, 23, 0x3c000000
	v_mov_b32_e32 v1, v65
	v_and_b32_e32 v3, 0x80000000, v3
	scratch_store_b64 off, v[0:1], s32 offset:192 ; 8-byte Folded Spill
	v_or3_b32 v64, v0, v3, v4
.LBB226_576:                            ;   in Loop: Header=BB226_10 Depth=1
	s_wait_xcnt 0x0
	s_or_b32 exec_lo, exec_lo, s11
.LBB226_577:                            ;   in Loop: Header=BB226_10 Depth=1
	s_delay_alu instid0(SALU_CYCLE_1)
	s_or_b32 exec_lo, exec_lo, s9
.LBB226_578:                            ;   in Loop: Header=BB226_10 Depth=1
	s_delay_alu instid0(SALU_CYCLE_1) | instskip(NEXT) | instid1(SALU_CYCLE_1)
	s_or_b32 exec_lo, exec_lo, s8
	s_mov_b32 s8, exec_lo
	v_cmpx_lt_u32_e32 0xffffff, v2
	s_cbranch_execz .LBB226_586
; %bb.579:                              ;   in Loop: Header=BB226_10 Depth=1
	v_mov_b64_e32 v[34:35], 0x8000000000000000
	v_lshrrev_b32_e32 v3, 24, v2
	s_mov_b32 s9, exec_lo
	s_delay_alu instid0(VALU_DEP_1)
	v_cmpx_ne_u32_e32 0x80, v3
	s_cbranch_execz .LBB226_585
; %bb.580:                              ;   in Loop: Header=BB226_10 Depth=1
	v_mov_b64_e32 v[34:35], 0x7f80000100000000
	v_bfe_u32 v4, v2, 24, 7
	s_mov_b32 s11, exec_lo
	s_delay_alu instid0(VALU_DEP_1)
	v_cmpx_ne_u32_e32 0x7f, v4
	s_cbranch_execz .LBB226_584
; %bb.581:                              ;   in Loop: Header=BB226_10 Depth=1
	scratch_load_b64 v[0:1], off, s32 offset:192 th:TH_LOAD_LU ; 8-byte Folded Reload
	s_wait_loadcnt 0x0
	v_dual_lshrrev_b32 v2, 3, v4 :: v_dual_bitop2_b32 v0, 7, v3 bitop3:0x40
	s_mov_b32 s16, exec_lo
	s_wait_xcnt 0x0
	v_cmpx_gt_u32_e32 8, v4
; %bb.582:                              ;   in Loop: Header=BB226_10 Depth=1
	s_delay_alu instid0(VALU_DEP_2) | instskip(NEXT) | instid1(VALU_DEP_1)
	v_clz_i32_u32_e32 v2, v0
	v_min_u32_e32 v2, 32, v2
	s_delay_alu instid0(VALU_DEP_1) | instskip(NEXT) | instid1(VALU_DEP_1)
	v_subrev_nc_u32_e32 v4, 28, v2
	v_lshlrev_b64_e32 v[4:5], v4, v[0:1]
	s_delay_alu instid0(VALU_DEP_1)
	v_dual_sub_nc_u32 v2, 29, v2 :: v_dual_bitop2_b32 v0, 7, v4 bitop3:0x40
; %bb.583:                              ;   in Loop: Header=BB226_10 Depth=1
	s_or_b32 exec_lo, exec_lo, s16
	s_delay_alu instid0(VALU_DEP_1) | instskip(NEXT) | instid1(VALU_DEP_2)
	v_dual_lshlrev_b32 v3, 24, v3 :: v_dual_lshlrev_b32 v0, 20, v0
	v_lshl_add_u32 v2, v2, 23, 0x3c000000
	v_mov_b32_e32 v34, v1
	s_delay_alu instid0(VALU_DEP_3) | instskip(NEXT) | instid1(VALU_DEP_1)
	v_and_b32_e32 v3, 0x80000000, v3
	v_or3_b32 v35, v0, v3, v2
	v_mov_b32_e32 v3, v1
	scratch_store_b64 off, v[2:3], s32 offset:192 ; 8-byte Folded Spill
.LBB226_584:                            ;   in Loop: Header=BB226_10 Depth=1
	s_wait_xcnt 0x0
	s_or_b32 exec_lo, exec_lo, s11
.LBB226_585:                            ;   in Loop: Header=BB226_10 Depth=1
	s_delay_alu instid0(SALU_CYCLE_1)
	s_or_b32 exec_lo, exec_lo, s9
.LBB226_586:                            ;   in Loop: Header=BB226_10 Depth=1
	s_delay_alu instid0(SALU_CYCLE_1)
	s_or_b32 exec_lo, exec_lo, s8
	flat_load_b32 v2, v[32:33] offset:2056
	v_mov_b64_e32 v[38:39], 0
	v_mov_b64_e32 v[68:69], 0
	s_mov_b32 s8, exec_lo
	s_wait_loadcnt_dscnt 0x0
	v_and_b32_e32 v0, 0xff, v2
	s_wait_xcnt 0x0
	s_delay_alu instid0(VALU_DEP_1)
	v_cmpx_ne_u16_e32 0, v0
	s_cbranch_execz .LBB226_594
; %bb.587:                              ;   in Loop: Header=BB226_10 Depth=1
	v_mov_b64_e32 v[68:69], 0x80000000
	s_mov_b32 s9, exec_lo
	v_cmpx_ne_u16_e32 0x80, v0
	s_cbranch_execz .LBB226_593
; %bb.588:                              ;   in Loop: Header=BB226_10 Depth=1
	v_mov_b64_e32 v[68:69], 0x7f800001
	v_and_b32_e32 v4, 0x7f, v2
	s_mov_b32 s11, exec_lo
	s_delay_alu instid0(VALU_DEP_1)
	v_cmpx_ne_u32_e32 0x7f, v4
	s_cbranch_execz .LBB226_592
; %bb.589:                              ;   in Loop: Header=BB226_10 Depth=1
	scratch_load_b64 v[68:69], off, s32 offset:192 th:TH_LOAD_LU ; 8-byte Folded Reload
	s_wait_loadcnt 0x0
	v_dual_lshrrev_b32 v3, 3, v4 :: v_dual_bitop2_b32 v68, 7, v2 bitop3:0x40
	s_mov_b32 s16, exec_lo
	s_wait_xcnt 0x0
	v_cmpx_gt_u32_e32 8, v4
; %bb.590:                              ;   in Loop: Header=BB226_10 Depth=1
	s_delay_alu instid0(VALU_DEP_2) | instskip(NEXT) | instid1(VALU_DEP_1)
	v_clz_i32_u32_e32 v3, v68
	v_min_u32_e32 v3, 32, v3
	s_delay_alu instid0(VALU_DEP_1) | instskip(NEXT) | instid1(VALU_DEP_1)
	v_subrev_nc_u32_e32 v4, 28, v3
	v_lshlrev_b64_e32 v[4:5], v4, v[68:69]
	s_delay_alu instid0(VALU_DEP_1)
	v_dual_sub_nc_u32 v3, 29, v3 :: v_dual_bitop2_b32 v68, 7, v4 bitop3:0x40
; %bb.591:                              ;   in Loop: Header=BB226_10 Depth=1
	s_or_b32 exec_lo, exec_lo, s16
	s_delay_alu instid0(VALU_DEP_1) | instskip(NEXT) | instid1(VALU_DEP_2)
	v_dual_lshlrev_b32 v4, 24, v2 :: v_dual_lshlrev_b32 v0, 20, v68
	v_lshl_add_u32 v3, v3, 23, 0x3c000000
	v_mov_b32_e32 v1, v69
	s_delay_alu instid0(VALU_DEP_3)
	v_and_b32_e32 v4, 0x80000000, v4
	scratch_store_b64 off, v[0:1], s32 offset:192 ; 8-byte Folded Spill
	v_or3_b32 v68, v0, v4, v3
.LBB226_592:                            ;   in Loop: Header=BB226_10 Depth=1
	s_wait_xcnt 0x0
	s_or_b32 exec_lo, exec_lo, s11
.LBB226_593:                            ;   in Loop: Header=BB226_10 Depth=1
	s_delay_alu instid0(SALU_CYCLE_1)
	s_or_b32 exec_lo, exec_lo, s9
.LBB226_594:                            ;   in Loop: Header=BB226_10 Depth=1
	s_delay_alu instid0(SALU_CYCLE_1) | instskip(SKIP_2) | instid1(VALU_DEP_1)
	s_or_b32 exec_lo, exec_lo, s8
	v_lshrrev_b16 v0, 8, v2
	s_mov_b32 s8, exec_lo
	v_cmpx_ne_u16_e32 0, v0
	s_cbranch_execz .LBB226_602
; %bb.595:                              ;   in Loop: Header=BB226_10 Depth=1
	v_mov_b64_e32 v[38:39], 0x8000000000000000
	s_mov_b32 s9, exec_lo
	v_cmpx_ne_u16_e32 0x80, v0
	s_cbranch_execz .LBB226_601
; %bb.596:                              ;   in Loop: Header=BB226_10 Depth=1
	v_and_b32_e32 v0, 0xffff, v0
	v_mov_b64_e32 v[38:39], 0x7f80000100000000
	s_mov_b32 s11, exec_lo
	s_delay_alu instid0(VALU_DEP_2) | instskip(NEXT) | instid1(VALU_DEP_1)
	v_and_b32_e32 v4, 0x7f, v0
	v_cmpx_ne_u32_e32 0x7f, v4
	s_cbranch_execz .LBB226_600
; %bb.597:                              ;   in Loop: Header=BB226_10 Depth=1
	scratch_load_b64 v[6:7], off, s32 offset:192 th:TH_LOAD_LU ; 8-byte Folded Reload
	v_lshrrev_b32_e32 v3, 3, v4
	s_mov_b32 s16, exec_lo
	s_wait_loadcnt 0x0
	v_dual_mov_b32 v1, v7 :: v_dual_bitop2_b32 v0, 7, v0 bitop3:0x40
	s_wait_xcnt 0x0
	v_cmpx_gt_u32_e32 8, v4
; %bb.598:                              ;   in Loop: Header=BB226_10 Depth=1
	s_delay_alu instid0(VALU_DEP_2) | instskip(NEXT) | instid1(VALU_DEP_1)
	v_clz_i32_u32_e32 v3, v0
	v_min_u32_e32 v3, 32, v3
	s_delay_alu instid0(VALU_DEP_1) | instskip(NEXT) | instid1(VALU_DEP_1)
	v_subrev_nc_u32_e32 v4, 28, v3
	v_lshlrev_b64_e32 v[4:5], v4, v[0:1]
	s_delay_alu instid0(VALU_DEP_1)
	v_dual_sub_nc_u32 v3, 29, v3 :: v_dual_bitop2_b32 v0, 7, v4 bitop3:0x40
; %bb.599:                              ;   in Loop: Header=BB226_10 Depth=1
	s_or_b32 exec_lo, exec_lo, s16
	s_delay_alu instid0(VALU_DEP_1) | instskip(NEXT) | instid1(VALU_DEP_2)
	v_dual_lshlrev_b32 v4, 16, v2 :: v_dual_lshlrev_b32 v0, 20, v0
	v_lshl_add_u32 v3, v3, 23, 0x3c000000
	v_mov_b32_e32 v38, v1
	s_delay_alu instid0(VALU_DEP_3) | instskip(NEXT) | instid1(VALU_DEP_1)
	v_and_b32_e32 v4, 0x80000000, v4
	v_or3_b32 v39, v0, v4, v3
	v_mov_b32_e32 v3, v1
	scratch_store_b64 off, v[2:3], s32 offset:192 ; 8-byte Folded Spill
.LBB226_600:                            ;   in Loop: Header=BB226_10 Depth=1
	s_wait_xcnt 0x0
	s_or_b32 exec_lo, exec_lo, s11
.LBB226_601:                            ;   in Loop: Header=BB226_10 Depth=1
	s_delay_alu instid0(SALU_CYCLE_1)
	s_or_b32 exec_lo, exec_lo, s9
.LBB226_602:                            ;   in Loop: Header=BB226_10 Depth=1
	s_delay_alu instid0(SALU_CYCLE_1) | instskip(SKIP_4) | instid1(VALU_DEP_3)
	s_or_b32 exec_lo, exec_lo, s8
	v_lshrrev_b32_e32 v3, 16, v2
	v_mov_b64_e32 v[50:51], 0
	v_mov_b64_e32 v[80:81], 0
	s_mov_b32 s8, exec_lo
	v_and_b32_e32 v0, 0xff, v3
	s_delay_alu instid0(VALU_DEP_1)
	v_cmpx_ne_u16_e32 0, v0
	s_cbranch_execz .LBB226_610
; %bb.603:                              ;   in Loop: Header=BB226_10 Depth=1
	v_mov_b64_e32 v[80:81], 0x80000000
	s_mov_b32 s9, exec_lo
	v_cmpx_ne_u16_e32 0x80, v0
	s_cbranch_execz .LBB226_609
; %bb.604:                              ;   in Loop: Header=BB226_10 Depth=1
	v_mov_b64_e32 v[80:81], 0x7f800001
	v_bfe_u32 v5, v2, 16, 7
	s_mov_b32 s11, exec_lo
	s_delay_alu instid0(VALU_DEP_1)
	v_cmpx_ne_u32_e32 0x7f, v5
	s_cbranch_execz .LBB226_608
; %bb.605:                              ;   in Loop: Header=BB226_10 Depth=1
	scratch_load_b64 v[80:81], off, s32 offset:192 th:TH_LOAD_LU ; 8-byte Folded Reload
	s_wait_loadcnt 0x0
	v_dual_lshrrev_b32 v4, 3, v5 :: v_dual_bitop2_b32 v80, 7, v3 bitop3:0x40
	s_mov_b32 s16, exec_lo
	s_wait_xcnt 0x0
	v_cmpx_gt_u32_e32 8, v5
; %bb.606:                              ;   in Loop: Header=BB226_10 Depth=1
	s_delay_alu instid0(VALU_DEP_2) | instskip(NEXT) | instid1(VALU_DEP_1)
	v_clz_i32_u32_e32 v4, v80
	v_min_u32_e32 v4, 32, v4
	s_delay_alu instid0(VALU_DEP_1) | instskip(SKIP_1) | instid1(VALU_DEP_2)
	v_subrev_nc_u32_e32 v5, 28, v4
	v_sub_nc_u32_e32 v4, 29, v4
	v_lshlrev_b64_e32 v[8:9], v5, v[80:81]
	s_delay_alu instid0(VALU_DEP_1)
	v_and_b32_e32 v80, 7, v8
; %bb.607:                              ;   in Loop: Header=BB226_10 Depth=1
	s_or_b32 exec_lo, exec_lo, s16
	s_delay_alu instid0(VALU_DEP_1) | instskip(SKIP_2) | instid1(VALU_DEP_3)
	v_dual_lshlrev_b32 v3, 24, v3 :: v_dual_lshlrev_b32 v0, 20, v80
	v_lshl_add_u32 v4, v4, 23, 0x3c000000
	v_mov_b32_e32 v1, v81
	v_and_b32_e32 v3, 0x80000000, v3
	scratch_store_b64 off, v[0:1], s32 offset:192 ; 8-byte Folded Spill
	v_or3_b32 v80, v0, v3, v4
.LBB226_608:                            ;   in Loop: Header=BB226_10 Depth=1
	s_wait_xcnt 0x0
	s_or_b32 exec_lo, exec_lo, s11
.LBB226_609:                            ;   in Loop: Header=BB226_10 Depth=1
	s_delay_alu instid0(SALU_CYCLE_1)
	s_or_b32 exec_lo, exec_lo, s9
.LBB226_610:                            ;   in Loop: Header=BB226_10 Depth=1
	s_delay_alu instid0(SALU_CYCLE_1) | instskip(NEXT) | instid1(SALU_CYCLE_1)
	s_or_b32 exec_lo, exec_lo, s8
	s_mov_b32 s8, exec_lo
	v_cmpx_lt_u32_e32 0xffffff, v2
	s_cbranch_execz .LBB226_618
; %bb.611:                              ;   in Loop: Header=BB226_10 Depth=1
	v_mov_b64_e32 v[50:51], 0x8000000000000000
	v_lshrrev_b32_e32 v3, 24, v2
	s_mov_b32 s9, exec_lo
	s_delay_alu instid0(VALU_DEP_1)
	v_cmpx_ne_u32_e32 0x80, v3
	s_cbranch_execz .LBB226_617
; %bb.612:                              ;   in Loop: Header=BB226_10 Depth=1
	v_mov_b64_e32 v[50:51], 0x7f80000100000000
	v_bfe_u32 v4, v2, 24, 7
	s_mov_b32 s11, exec_lo
	s_delay_alu instid0(VALU_DEP_1)
	v_cmpx_ne_u32_e32 0x7f, v4
	s_cbranch_execz .LBB226_616
; %bb.613:                              ;   in Loop: Header=BB226_10 Depth=1
	scratch_load_b64 v[0:1], off, s32 offset:192 th:TH_LOAD_LU ; 8-byte Folded Reload
	s_wait_loadcnt 0x0
	v_dual_lshrrev_b32 v2, 3, v4 :: v_dual_bitop2_b32 v0, 7, v3 bitop3:0x40
	s_mov_b32 s16, exec_lo
	s_wait_xcnt 0x0
	v_cmpx_gt_u32_e32 8, v4
; %bb.614:                              ;   in Loop: Header=BB226_10 Depth=1
	s_delay_alu instid0(VALU_DEP_2) | instskip(NEXT) | instid1(VALU_DEP_1)
	v_clz_i32_u32_e32 v2, v0
	v_min_u32_e32 v2, 32, v2
	s_delay_alu instid0(VALU_DEP_1) | instskip(NEXT) | instid1(VALU_DEP_1)
	v_subrev_nc_u32_e32 v4, 28, v2
	v_lshlrev_b64_e32 v[4:5], v4, v[0:1]
	s_delay_alu instid0(VALU_DEP_1)
	v_dual_sub_nc_u32 v2, 29, v2 :: v_dual_bitop2_b32 v0, 7, v4 bitop3:0x40
; %bb.615:                              ;   in Loop: Header=BB226_10 Depth=1
	s_or_b32 exec_lo, exec_lo, s16
	s_delay_alu instid0(VALU_DEP_1) | instskip(NEXT) | instid1(VALU_DEP_2)
	v_dual_lshlrev_b32 v3, 24, v3 :: v_dual_lshlrev_b32 v0, 20, v0
	v_lshl_add_u32 v2, v2, 23, 0x3c000000
	v_mov_b32_e32 v50, v1
	s_delay_alu instid0(VALU_DEP_3) | instskip(NEXT) | instid1(VALU_DEP_1)
	v_and_b32_e32 v3, 0x80000000, v3
	v_or3_b32 v51, v0, v3, v2
	v_mov_b32_e32 v3, v1
	scratch_store_b64 off, v[2:3], s32 offset:192 ; 8-byte Folded Spill
.LBB226_616:                            ;   in Loop: Header=BB226_10 Depth=1
	s_wait_xcnt 0x0
	s_or_b32 exec_lo, exec_lo, s11
.LBB226_617:                            ;   in Loop: Header=BB226_10 Depth=1
	s_delay_alu instid0(SALU_CYCLE_1)
	s_or_b32 exec_lo, exec_lo, s9
.LBB226_618:                            ;   in Loop: Header=BB226_10 Depth=1
	s_delay_alu instid0(SALU_CYCLE_1)
	s_or_b32 exec_lo, exec_lo, s8
	flat_load_b32 v2, v[32:33] offset:2060
	v_mov_b64_e32 v[54:55], 0
	v_mov_b64_e32 v[84:85], 0
	s_mov_b32 s8, exec_lo
	s_wait_loadcnt_dscnt 0x0
	v_and_b32_e32 v0, 0xff, v2
	s_wait_xcnt 0x0
	s_delay_alu instid0(VALU_DEP_1)
	v_cmpx_ne_u16_e32 0, v0
	s_cbranch_execz .LBB226_626
; %bb.619:                              ;   in Loop: Header=BB226_10 Depth=1
	v_mov_b64_e32 v[84:85], 0x80000000
	s_mov_b32 s9, exec_lo
	v_cmpx_ne_u16_e32 0x80, v0
	s_cbranch_execz .LBB226_625
; %bb.620:                              ;   in Loop: Header=BB226_10 Depth=1
	v_mov_b64_e32 v[84:85], 0x7f800001
	v_and_b32_e32 v4, 0x7f, v2
	s_mov_b32 s11, exec_lo
	s_delay_alu instid0(VALU_DEP_1)
	v_cmpx_ne_u32_e32 0x7f, v4
	s_cbranch_execz .LBB226_624
; %bb.621:                              ;   in Loop: Header=BB226_10 Depth=1
	scratch_load_b64 v[84:85], off, s32 offset:192 th:TH_LOAD_LU ; 8-byte Folded Reload
	s_wait_loadcnt 0x0
	v_dual_lshrrev_b32 v3, 3, v4 :: v_dual_bitop2_b32 v84, 7, v2 bitop3:0x40
	s_mov_b32 s16, exec_lo
	s_wait_xcnt 0x0
	v_cmpx_gt_u32_e32 8, v4
; %bb.622:                              ;   in Loop: Header=BB226_10 Depth=1
	s_delay_alu instid0(VALU_DEP_2) | instskip(NEXT) | instid1(VALU_DEP_1)
	v_clz_i32_u32_e32 v3, v84
	v_min_u32_e32 v3, 32, v3
	s_delay_alu instid0(VALU_DEP_1) | instskip(NEXT) | instid1(VALU_DEP_1)
	v_subrev_nc_u32_e32 v4, 28, v3
	v_lshlrev_b64_e32 v[4:5], v4, v[84:85]
	s_delay_alu instid0(VALU_DEP_1)
	v_dual_sub_nc_u32 v3, 29, v3 :: v_dual_bitop2_b32 v84, 7, v4 bitop3:0x40
; %bb.623:                              ;   in Loop: Header=BB226_10 Depth=1
	s_or_b32 exec_lo, exec_lo, s16
	s_delay_alu instid0(VALU_DEP_1) | instskip(NEXT) | instid1(VALU_DEP_2)
	v_dual_lshlrev_b32 v4, 24, v2 :: v_dual_lshlrev_b32 v0, 20, v84
	v_lshl_add_u32 v3, v3, 23, 0x3c000000
	v_mov_b32_e32 v1, v85
	s_delay_alu instid0(VALU_DEP_3)
	v_and_b32_e32 v4, 0x80000000, v4
	scratch_store_b64 off, v[0:1], s32 offset:192 ; 8-byte Folded Spill
	v_or3_b32 v84, v0, v4, v3
.LBB226_624:                            ;   in Loop: Header=BB226_10 Depth=1
	s_wait_xcnt 0x0
	s_or_b32 exec_lo, exec_lo, s11
.LBB226_625:                            ;   in Loop: Header=BB226_10 Depth=1
	s_delay_alu instid0(SALU_CYCLE_1)
	s_or_b32 exec_lo, exec_lo, s9
.LBB226_626:                            ;   in Loop: Header=BB226_10 Depth=1
	s_delay_alu instid0(SALU_CYCLE_1) | instskip(SKIP_2) | instid1(VALU_DEP_1)
	s_or_b32 exec_lo, exec_lo, s8
	v_lshrrev_b16 v0, 8, v2
	s_mov_b32 s8, exec_lo
	v_cmpx_ne_u16_e32 0, v0
	s_cbranch_execz .LBB226_634
; %bb.627:                              ;   in Loop: Header=BB226_10 Depth=1
	v_mov_b64_e32 v[54:55], 0x8000000000000000
	s_mov_b32 s9, exec_lo
	v_cmpx_ne_u16_e32 0x80, v0
	s_cbranch_execz .LBB226_633
; %bb.628:                              ;   in Loop: Header=BB226_10 Depth=1
	v_and_b32_e32 v0, 0xffff, v0
	v_mov_b64_e32 v[54:55], 0x7f80000100000000
	s_mov_b32 s11, exec_lo
	s_delay_alu instid0(VALU_DEP_2) | instskip(NEXT) | instid1(VALU_DEP_1)
	v_and_b32_e32 v4, 0x7f, v0
	v_cmpx_ne_u32_e32 0x7f, v4
	s_cbranch_execz .LBB226_632
; %bb.629:                              ;   in Loop: Header=BB226_10 Depth=1
	scratch_load_b64 v[6:7], off, s32 offset:192 th:TH_LOAD_LU ; 8-byte Folded Reload
	v_lshrrev_b32_e32 v3, 3, v4
	s_mov_b32 s16, exec_lo
	s_wait_loadcnt 0x0
	v_dual_mov_b32 v1, v7 :: v_dual_bitop2_b32 v0, 7, v0 bitop3:0x40
	s_wait_xcnt 0x0
	v_cmpx_gt_u32_e32 8, v4
; %bb.630:                              ;   in Loop: Header=BB226_10 Depth=1
	s_delay_alu instid0(VALU_DEP_2) | instskip(NEXT) | instid1(VALU_DEP_1)
	v_clz_i32_u32_e32 v3, v0
	v_min_u32_e32 v3, 32, v3
	s_delay_alu instid0(VALU_DEP_1) | instskip(NEXT) | instid1(VALU_DEP_1)
	v_subrev_nc_u32_e32 v4, 28, v3
	v_lshlrev_b64_e32 v[4:5], v4, v[0:1]
	s_delay_alu instid0(VALU_DEP_1)
	v_dual_sub_nc_u32 v3, 29, v3 :: v_dual_bitop2_b32 v0, 7, v4 bitop3:0x40
; %bb.631:                              ;   in Loop: Header=BB226_10 Depth=1
	s_or_b32 exec_lo, exec_lo, s16
	s_delay_alu instid0(VALU_DEP_1) | instskip(NEXT) | instid1(VALU_DEP_2)
	v_dual_lshlrev_b32 v4, 16, v2 :: v_dual_lshlrev_b32 v0, 20, v0
	v_lshl_add_u32 v3, v3, 23, 0x3c000000
	v_mov_b32_e32 v54, v1
	s_delay_alu instid0(VALU_DEP_3) | instskip(NEXT) | instid1(VALU_DEP_1)
	v_and_b32_e32 v4, 0x80000000, v4
	v_or3_b32 v55, v0, v4, v3
	v_mov_b32_e32 v3, v1
	scratch_store_b64 off, v[2:3], s32 offset:192 ; 8-byte Folded Spill
.LBB226_632:                            ;   in Loop: Header=BB226_10 Depth=1
	s_wait_xcnt 0x0
	s_or_b32 exec_lo, exec_lo, s11
.LBB226_633:                            ;   in Loop: Header=BB226_10 Depth=1
	s_delay_alu instid0(SALU_CYCLE_1)
	s_or_b32 exec_lo, exec_lo, s9
.LBB226_634:                            ;   in Loop: Header=BB226_10 Depth=1
	s_delay_alu instid0(SALU_CYCLE_1) | instskip(SKIP_4) | instid1(VALU_DEP_3)
	s_or_b32 exec_lo, exec_lo, s8
	v_lshrrev_b32_e32 v3, 16, v2
	v_mov_b64_e32 v[66:67], 0
	v_mov_b64_e32 v[96:97], 0
	s_mov_b32 s8, exec_lo
	v_and_b32_e32 v0, 0xff, v3
	s_delay_alu instid0(VALU_DEP_1)
	v_cmpx_ne_u16_e32 0, v0
	s_cbranch_execz .LBB226_642
; %bb.635:                              ;   in Loop: Header=BB226_10 Depth=1
	v_mov_b64_e32 v[96:97], 0x80000000
	s_mov_b32 s9, exec_lo
	v_cmpx_ne_u16_e32 0x80, v0
	s_cbranch_execz .LBB226_641
; %bb.636:                              ;   in Loop: Header=BB226_10 Depth=1
	v_mov_b64_e32 v[96:97], 0x7f800001
	v_bfe_u32 v5, v2, 16, 7
	s_mov_b32 s11, exec_lo
	s_delay_alu instid0(VALU_DEP_1)
	v_cmpx_ne_u32_e32 0x7f, v5
	s_cbranch_execz .LBB226_640
; %bb.637:                              ;   in Loop: Header=BB226_10 Depth=1
	scratch_load_b64 v[96:97], off, s32 offset:192 th:TH_LOAD_LU ; 8-byte Folded Reload
	s_wait_loadcnt 0x0
	v_dual_lshrrev_b32 v4, 3, v5 :: v_dual_bitop2_b32 v96, 7, v3 bitop3:0x40
	s_mov_b32 s16, exec_lo
	s_wait_xcnt 0x0
	v_cmpx_gt_u32_e32 8, v5
; %bb.638:                              ;   in Loop: Header=BB226_10 Depth=1
	s_delay_alu instid0(VALU_DEP_2) | instskip(NEXT) | instid1(VALU_DEP_1)
	v_clz_i32_u32_e32 v4, v96
	v_min_u32_e32 v4, 32, v4
	s_delay_alu instid0(VALU_DEP_1) | instskip(SKIP_1) | instid1(VALU_DEP_2)
	v_subrev_nc_u32_e32 v5, 28, v4
	v_sub_nc_u32_e32 v4, 29, v4
	v_lshlrev_b64_e32 v[8:9], v5, v[96:97]
	s_delay_alu instid0(VALU_DEP_1)
	v_and_b32_e32 v96, 7, v8
; %bb.639:                              ;   in Loop: Header=BB226_10 Depth=1
	s_or_b32 exec_lo, exec_lo, s16
	s_delay_alu instid0(VALU_DEP_1) | instskip(SKIP_2) | instid1(VALU_DEP_3)
	v_dual_lshlrev_b32 v3, 24, v3 :: v_dual_lshlrev_b32 v0, 20, v96
	v_lshl_add_u32 v4, v4, 23, 0x3c000000
	v_mov_b32_e32 v1, v97
	v_and_b32_e32 v3, 0x80000000, v3
	scratch_store_b64 off, v[0:1], s32 offset:192 ; 8-byte Folded Spill
	v_or3_b32 v96, v0, v3, v4
.LBB226_640:                            ;   in Loop: Header=BB226_10 Depth=1
	s_wait_xcnt 0x0
	s_or_b32 exec_lo, exec_lo, s11
.LBB226_641:                            ;   in Loop: Header=BB226_10 Depth=1
	s_delay_alu instid0(SALU_CYCLE_1)
	s_or_b32 exec_lo, exec_lo, s9
.LBB226_642:                            ;   in Loop: Header=BB226_10 Depth=1
	s_delay_alu instid0(SALU_CYCLE_1) | instskip(NEXT) | instid1(SALU_CYCLE_1)
	s_or_b32 exec_lo, exec_lo, s8
	s_mov_b32 s8, exec_lo
	v_cmpx_lt_u32_e32 0xffffff, v2
	s_cbranch_execz .LBB226_650
; %bb.643:                              ;   in Loop: Header=BB226_10 Depth=1
	v_mov_b64_e32 v[66:67], 0x8000000000000000
	v_lshrrev_b32_e32 v3, 24, v2
	s_mov_b32 s9, exec_lo
	s_delay_alu instid0(VALU_DEP_1)
	v_cmpx_ne_u32_e32 0x80, v3
	s_cbranch_execz .LBB226_649
; %bb.644:                              ;   in Loop: Header=BB226_10 Depth=1
	v_mov_b64_e32 v[66:67], 0x7f80000100000000
	v_bfe_u32 v4, v2, 24, 7
	s_mov_b32 s11, exec_lo
	s_delay_alu instid0(VALU_DEP_1)
	v_cmpx_ne_u32_e32 0x7f, v4
	s_cbranch_execz .LBB226_648
; %bb.645:                              ;   in Loop: Header=BB226_10 Depth=1
	scratch_load_b64 v[0:1], off, s32 offset:192 th:TH_LOAD_LU ; 8-byte Folded Reload
	s_wait_loadcnt 0x0
	v_dual_lshrrev_b32 v2, 3, v4 :: v_dual_bitop2_b32 v0, 7, v3 bitop3:0x40
	s_mov_b32 s16, exec_lo
	s_wait_xcnt 0x0
	v_cmpx_gt_u32_e32 8, v4
; %bb.646:                              ;   in Loop: Header=BB226_10 Depth=1
	s_delay_alu instid0(VALU_DEP_2) | instskip(NEXT) | instid1(VALU_DEP_1)
	v_clz_i32_u32_e32 v2, v0
	v_min_u32_e32 v2, 32, v2
	s_delay_alu instid0(VALU_DEP_1) | instskip(NEXT) | instid1(VALU_DEP_1)
	v_subrev_nc_u32_e32 v4, 28, v2
	v_lshlrev_b64_e32 v[4:5], v4, v[0:1]
	s_delay_alu instid0(VALU_DEP_1)
	v_dual_sub_nc_u32 v2, 29, v2 :: v_dual_bitop2_b32 v0, 7, v4 bitop3:0x40
; %bb.647:                              ;   in Loop: Header=BB226_10 Depth=1
	s_or_b32 exec_lo, exec_lo, s16
	s_delay_alu instid0(VALU_DEP_1) | instskip(NEXT) | instid1(VALU_DEP_2)
	v_dual_lshlrev_b32 v3, 24, v3 :: v_dual_lshlrev_b32 v0, 20, v0
	v_lshl_add_u32 v2, v2, 23, 0x3c000000
	v_mov_b32_e32 v66, v1
	s_delay_alu instid0(VALU_DEP_3) | instskip(NEXT) | instid1(VALU_DEP_1)
	v_and_b32_e32 v3, 0x80000000, v3
	v_or3_b32 v67, v0, v3, v2
	v_mov_b32_e32 v3, v1
	scratch_store_b64 off, v[2:3], s32 offset:192 ; 8-byte Folded Spill
.LBB226_648:                            ;   in Loop: Header=BB226_10 Depth=1
	s_wait_xcnt 0x0
	s_or_b32 exec_lo, exec_lo, s11
.LBB226_649:                            ;   in Loop: Header=BB226_10 Depth=1
	s_delay_alu instid0(SALU_CYCLE_1)
	s_or_b32 exec_lo, exec_lo, s9
.LBB226_650:                            ;   in Loop: Header=BB226_10 Depth=1
	s_delay_alu instid0(SALU_CYCLE_1)
	s_or_b32 exec_lo, exec_lo, s8
	flat_load_b32 v2, v[32:33] offset:2560
	v_mov_b64_e32 v[70:71], 0
	v_mov_b64_e32 v[100:101], 0
	s_mov_b32 s8, exec_lo
	s_wait_loadcnt_dscnt 0x0
	v_and_b32_e32 v0, 0xff, v2
	s_wait_xcnt 0x0
	s_delay_alu instid0(VALU_DEP_1)
	v_cmpx_ne_u16_e32 0, v0
	s_cbranch_execz .LBB226_658
; %bb.651:                              ;   in Loop: Header=BB226_10 Depth=1
	v_mov_b64_e32 v[100:101], 0x80000000
	s_mov_b32 s9, exec_lo
	v_cmpx_ne_u16_e32 0x80, v0
	s_cbranch_execz .LBB226_657
; %bb.652:                              ;   in Loop: Header=BB226_10 Depth=1
	v_mov_b64_e32 v[100:101], 0x7f800001
	v_and_b32_e32 v4, 0x7f, v2
	s_mov_b32 s11, exec_lo
	s_delay_alu instid0(VALU_DEP_1)
	v_cmpx_ne_u32_e32 0x7f, v4
	s_cbranch_execz .LBB226_656
; %bb.653:                              ;   in Loop: Header=BB226_10 Depth=1
	scratch_load_b64 v[100:101], off, s32 offset:192 th:TH_LOAD_LU ; 8-byte Folded Reload
	s_wait_loadcnt 0x0
	v_dual_lshrrev_b32 v3, 3, v4 :: v_dual_bitop2_b32 v100, 7, v2 bitop3:0x40
	s_mov_b32 s16, exec_lo
	s_wait_xcnt 0x0
	v_cmpx_gt_u32_e32 8, v4
; %bb.654:                              ;   in Loop: Header=BB226_10 Depth=1
	s_delay_alu instid0(VALU_DEP_2) | instskip(NEXT) | instid1(VALU_DEP_1)
	v_clz_i32_u32_e32 v3, v100
	v_min_u32_e32 v3, 32, v3
	s_delay_alu instid0(VALU_DEP_1) | instskip(NEXT) | instid1(VALU_DEP_1)
	v_subrev_nc_u32_e32 v4, 28, v3
	v_lshlrev_b64_e32 v[4:5], v4, v[100:101]
	s_delay_alu instid0(VALU_DEP_1)
	v_dual_sub_nc_u32 v3, 29, v3 :: v_dual_bitop2_b32 v100, 7, v4 bitop3:0x40
; %bb.655:                              ;   in Loop: Header=BB226_10 Depth=1
	s_or_b32 exec_lo, exec_lo, s16
	s_delay_alu instid0(VALU_DEP_1) | instskip(NEXT) | instid1(VALU_DEP_2)
	v_dual_lshlrev_b32 v4, 24, v2 :: v_dual_lshlrev_b32 v0, 20, v100
	v_lshl_add_u32 v3, v3, 23, 0x3c000000
	v_mov_b32_e32 v1, v101
	s_delay_alu instid0(VALU_DEP_3)
	v_and_b32_e32 v4, 0x80000000, v4
	scratch_store_b64 off, v[0:1], s32 offset:192 ; 8-byte Folded Spill
	v_or3_b32 v100, v0, v4, v3
.LBB226_656:                            ;   in Loop: Header=BB226_10 Depth=1
	s_wait_xcnt 0x0
	s_or_b32 exec_lo, exec_lo, s11
.LBB226_657:                            ;   in Loop: Header=BB226_10 Depth=1
	s_delay_alu instid0(SALU_CYCLE_1)
	s_or_b32 exec_lo, exec_lo, s9
.LBB226_658:                            ;   in Loop: Header=BB226_10 Depth=1
	s_delay_alu instid0(SALU_CYCLE_1) | instskip(SKIP_2) | instid1(VALU_DEP_1)
	s_or_b32 exec_lo, exec_lo, s8
	v_lshrrev_b16 v0, 8, v2
	s_mov_b32 s8, exec_lo
	v_cmpx_ne_u16_e32 0, v0
	s_cbranch_execz .LBB226_666
; %bb.659:                              ;   in Loop: Header=BB226_10 Depth=1
	v_mov_b64_e32 v[70:71], 0x8000000000000000
	s_mov_b32 s9, exec_lo
	v_cmpx_ne_u16_e32 0x80, v0
	s_cbranch_execz .LBB226_665
; %bb.660:                              ;   in Loop: Header=BB226_10 Depth=1
	v_and_b32_e32 v0, 0xffff, v0
	v_mov_b64_e32 v[70:71], 0x7f80000100000000
	s_mov_b32 s11, exec_lo
	s_delay_alu instid0(VALU_DEP_2) | instskip(NEXT) | instid1(VALU_DEP_1)
	v_and_b32_e32 v4, 0x7f, v0
	v_cmpx_ne_u32_e32 0x7f, v4
	s_cbranch_execz .LBB226_664
; %bb.661:                              ;   in Loop: Header=BB226_10 Depth=1
	scratch_load_b64 v[6:7], off, s32 offset:192 th:TH_LOAD_LU ; 8-byte Folded Reload
	v_lshrrev_b32_e32 v3, 3, v4
	s_mov_b32 s16, exec_lo
	s_wait_loadcnt 0x0
	v_dual_mov_b32 v1, v7 :: v_dual_bitop2_b32 v0, 7, v0 bitop3:0x40
	s_wait_xcnt 0x0
	v_cmpx_gt_u32_e32 8, v4
; %bb.662:                              ;   in Loop: Header=BB226_10 Depth=1
	s_delay_alu instid0(VALU_DEP_2) | instskip(NEXT) | instid1(VALU_DEP_1)
	v_clz_i32_u32_e32 v3, v0
	v_min_u32_e32 v3, 32, v3
	s_delay_alu instid0(VALU_DEP_1) | instskip(NEXT) | instid1(VALU_DEP_1)
	v_subrev_nc_u32_e32 v4, 28, v3
	v_lshlrev_b64_e32 v[4:5], v4, v[0:1]
	s_delay_alu instid0(VALU_DEP_1)
	v_dual_sub_nc_u32 v3, 29, v3 :: v_dual_bitop2_b32 v0, 7, v4 bitop3:0x40
; %bb.663:                              ;   in Loop: Header=BB226_10 Depth=1
	s_or_b32 exec_lo, exec_lo, s16
	s_delay_alu instid0(VALU_DEP_1) | instskip(NEXT) | instid1(VALU_DEP_2)
	v_dual_lshlrev_b32 v4, 16, v2 :: v_dual_lshlrev_b32 v0, 20, v0
	v_lshl_add_u32 v3, v3, 23, 0x3c000000
	v_mov_b32_e32 v70, v1
	s_delay_alu instid0(VALU_DEP_3) | instskip(NEXT) | instid1(VALU_DEP_1)
	v_and_b32_e32 v4, 0x80000000, v4
	v_or3_b32 v71, v0, v4, v3
	v_mov_b32_e32 v3, v1
	scratch_store_b64 off, v[2:3], s32 offset:192 ; 8-byte Folded Spill
.LBB226_664:                            ;   in Loop: Header=BB226_10 Depth=1
	s_wait_xcnt 0x0
	s_or_b32 exec_lo, exec_lo, s11
.LBB226_665:                            ;   in Loop: Header=BB226_10 Depth=1
	s_delay_alu instid0(SALU_CYCLE_1)
	s_or_b32 exec_lo, exec_lo, s9
.LBB226_666:                            ;   in Loop: Header=BB226_10 Depth=1
	s_delay_alu instid0(SALU_CYCLE_1) | instskip(SKIP_4) | instid1(VALU_DEP_3)
	s_or_b32 exec_lo, exec_lo, s8
	v_lshrrev_b32_e32 v3, 16, v2
	v_mov_b64_e32 v[82:83], 0
	v_mov_b64_e32 v[112:113], 0
	s_mov_b32 s8, exec_lo
	v_and_b32_e32 v0, 0xff, v3
	s_delay_alu instid0(VALU_DEP_1)
	v_cmpx_ne_u16_e32 0, v0
	s_cbranch_execz .LBB226_674
; %bb.667:                              ;   in Loop: Header=BB226_10 Depth=1
	v_mov_b64_e32 v[112:113], 0x80000000
	s_mov_b32 s9, exec_lo
	v_cmpx_ne_u16_e32 0x80, v0
	s_cbranch_execz .LBB226_673
; %bb.668:                              ;   in Loop: Header=BB226_10 Depth=1
	v_mov_b64_e32 v[112:113], 0x7f800001
	v_bfe_u32 v5, v2, 16, 7
	s_mov_b32 s11, exec_lo
	s_delay_alu instid0(VALU_DEP_1)
	v_cmpx_ne_u32_e32 0x7f, v5
	s_cbranch_execz .LBB226_672
; %bb.669:                              ;   in Loop: Header=BB226_10 Depth=1
	scratch_load_b64 v[112:113], off, s32 offset:192 th:TH_LOAD_LU ; 8-byte Folded Reload
	s_wait_loadcnt 0x0
	v_dual_lshrrev_b32 v4, 3, v5 :: v_dual_bitop2_b32 v112, 7, v3 bitop3:0x40
	s_mov_b32 s16, exec_lo
	s_wait_xcnt 0x0
	v_cmpx_gt_u32_e32 8, v5
; %bb.670:                              ;   in Loop: Header=BB226_10 Depth=1
	s_delay_alu instid0(VALU_DEP_2) | instskip(NEXT) | instid1(VALU_DEP_1)
	v_clz_i32_u32_e32 v4, v112
	v_min_u32_e32 v4, 32, v4
	s_delay_alu instid0(VALU_DEP_1) | instskip(SKIP_1) | instid1(VALU_DEP_2)
	v_subrev_nc_u32_e32 v5, 28, v4
	v_sub_nc_u32_e32 v4, 29, v4
	v_lshlrev_b64_e32 v[8:9], v5, v[112:113]
	s_delay_alu instid0(VALU_DEP_1)
	v_and_b32_e32 v112, 7, v8
; %bb.671:                              ;   in Loop: Header=BB226_10 Depth=1
	s_or_b32 exec_lo, exec_lo, s16
	s_delay_alu instid0(VALU_DEP_1) | instskip(SKIP_2) | instid1(VALU_DEP_3)
	v_dual_lshlrev_b32 v3, 24, v3 :: v_dual_lshlrev_b32 v0, 20, v112
	v_lshl_add_u32 v4, v4, 23, 0x3c000000
	v_mov_b32_e32 v1, v113
	v_and_b32_e32 v3, 0x80000000, v3
	scratch_store_b64 off, v[0:1], s32 offset:192 ; 8-byte Folded Spill
	v_or3_b32 v112, v0, v3, v4
.LBB226_672:                            ;   in Loop: Header=BB226_10 Depth=1
	s_wait_xcnt 0x0
	s_or_b32 exec_lo, exec_lo, s11
.LBB226_673:                            ;   in Loop: Header=BB226_10 Depth=1
	s_delay_alu instid0(SALU_CYCLE_1)
	s_or_b32 exec_lo, exec_lo, s9
.LBB226_674:                            ;   in Loop: Header=BB226_10 Depth=1
	s_delay_alu instid0(SALU_CYCLE_1) | instskip(NEXT) | instid1(SALU_CYCLE_1)
	s_or_b32 exec_lo, exec_lo, s8
	s_mov_b32 s8, exec_lo
	v_cmpx_lt_u32_e32 0xffffff, v2
	s_cbranch_execz .LBB226_682
; %bb.675:                              ;   in Loop: Header=BB226_10 Depth=1
	v_mov_b64_e32 v[82:83], 0x8000000000000000
	v_lshrrev_b32_e32 v3, 24, v2
	s_mov_b32 s9, exec_lo
	s_delay_alu instid0(VALU_DEP_1)
	v_cmpx_ne_u32_e32 0x80, v3
	s_cbranch_execz .LBB226_681
; %bb.676:                              ;   in Loop: Header=BB226_10 Depth=1
	v_mov_b64_e32 v[82:83], 0x7f80000100000000
	v_bfe_u32 v4, v2, 24, 7
	s_mov_b32 s11, exec_lo
	s_delay_alu instid0(VALU_DEP_1)
	v_cmpx_ne_u32_e32 0x7f, v4
	s_cbranch_execz .LBB226_680
; %bb.677:                              ;   in Loop: Header=BB226_10 Depth=1
	scratch_load_b64 v[0:1], off, s32 offset:192 th:TH_LOAD_LU ; 8-byte Folded Reload
	s_wait_loadcnt 0x0
	v_dual_lshrrev_b32 v2, 3, v4 :: v_dual_bitop2_b32 v0, 7, v3 bitop3:0x40
	s_mov_b32 s16, exec_lo
	s_wait_xcnt 0x0
	v_cmpx_gt_u32_e32 8, v4
; %bb.678:                              ;   in Loop: Header=BB226_10 Depth=1
	s_delay_alu instid0(VALU_DEP_2) | instskip(NEXT) | instid1(VALU_DEP_1)
	v_clz_i32_u32_e32 v2, v0
	v_min_u32_e32 v2, 32, v2
	s_delay_alu instid0(VALU_DEP_1) | instskip(NEXT) | instid1(VALU_DEP_1)
	v_subrev_nc_u32_e32 v4, 28, v2
	v_lshlrev_b64_e32 v[4:5], v4, v[0:1]
	s_delay_alu instid0(VALU_DEP_1)
	v_dual_sub_nc_u32 v2, 29, v2 :: v_dual_bitop2_b32 v0, 7, v4 bitop3:0x40
; %bb.679:                              ;   in Loop: Header=BB226_10 Depth=1
	s_or_b32 exec_lo, exec_lo, s16
	s_delay_alu instid0(VALU_DEP_1) | instskip(NEXT) | instid1(VALU_DEP_2)
	v_dual_lshlrev_b32 v3, 24, v3 :: v_dual_lshlrev_b32 v0, 20, v0
	v_lshl_add_u32 v2, v2, 23, 0x3c000000
	v_mov_b32_e32 v82, v1
	s_delay_alu instid0(VALU_DEP_3) | instskip(NEXT) | instid1(VALU_DEP_1)
	v_and_b32_e32 v3, 0x80000000, v3
	v_or3_b32 v83, v0, v3, v2
	v_mov_b32_e32 v3, v1
	scratch_store_b64 off, v[2:3], s32 offset:192 ; 8-byte Folded Spill
.LBB226_680:                            ;   in Loop: Header=BB226_10 Depth=1
	s_wait_xcnt 0x0
	s_or_b32 exec_lo, exec_lo, s11
.LBB226_681:                            ;   in Loop: Header=BB226_10 Depth=1
	s_delay_alu instid0(SALU_CYCLE_1)
	s_or_b32 exec_lo, exec_lo, s9
.LBB226_682:                            ;   in Loop: Header=BB226_10 Depth=1
	s_delay_alu instid0(SALU_CYCLE_1)
	s_or_b32 exec_lo, exec_lo, s8
	flat_load_b32 v2, v[32:33] offset:2564
	v_mov_b64_e32 v[86:87], 0
	v_mov_b64_e32 v[116:117], 0
	s_mov_b32 s8, exec_lo
	s_wait_loadcnt_dscnt 0x0
	v_and_b32_e32 v0, 0xff, v2
	s_wait_xcnt 0x0
	s_delay_alu instid0(VALU_DEP_1)
	v_cmpx_ne_u16_e32 0, v0
	s_cbranch_execz .LBB226_690
; %bb.683:                              ;   in Loop: Header=BB226_10 Depth=1
	v_mov_b64_e32 v[116:117], 0x80000000
	s_mov_b32 s9, exec_lo
	v_cmpx_ne_u16_e32 0x80, v0
	s_cbranch_execz .LBB226_689
; %bb.684:                              ;   in Loop: Header=BB226_10 Depth=1
	v_mov_b64_e32 v[116:117], 0x7f800001
	v_and_b32_e32 v4, 0x7f, v2
	s_mov_b32 s11, exec_lo
	s_delay_alu instid0(VALU_DEP_1)
	v_cmpx_ne_u32_e32 0x7f, v4
	s_cbranch_execz .LBB226_688
; %bb.685:                              ;   in Loop: Header=BB226_10 Depth=1
	scratch_load_b64 v[116:117], off, s32 offset:192 th:TH_LOAD_LU ; 8-byte Folded Reload
	s_wait_loadcnt 0x0
	v_dual_lshrrev_b32 v3, 3, v4 :: v_dual_bitop2_b32 v116, 7, v2 bitop3:0x40
	s_mov_b32 s16, exec_lo
	s_wait_xcnt 0x0
	v_cmpx_gt_u32_e32 8, v4
; %bb.686:                              ;   in Loop: Header=BB226_10 Depth=1
	s_delay_alu instid0(VALU_DEP_2) | instskip(NEXT) | instid1(VALU_DEP_1)
	v_clz_i32_u32_e32 v3, v116
	v_min_u32_e32 v3, 32, v3
	s_delay_alu instid0(VALU_DEP_1) | instskip(NEXT) | instid1(VALU_DEP_1)
	v_subrev_nc_u32_e32 v4, 28, v3
	v_lshlrev_b64_e32 v[4:5], v4, v[116:117]
	s_delay_alu instid0(VALU_DEP_1)
	v_dual_sub_nc_u32 v3, 29, v3 :: v_dual_bitop2_b32 v116, 7, v4 bitop3:0x40
; %bb.687:                              ;   in Loop: Header=BB226_10 Depth=1
	s_or_b32 exec_lo, exec_lo, s16
	s_delay_alu instid0(VALU_DEP_1) | instskip(NEXT) | instid1(VALU_DEP_2)
	v_dual_lshlrev_b32 v4, 24, v2 :: v_dual_lshlrev_b32 v0, 20, v116
	v_lshl_add_u32 v3, v3, 23, 0x3c000000
	v_mov_b32_e32 v1, v117
	s_delay_alu instid0(VALU_DEP_3)
	v_and_b32_e32 v4, 0x80000000, v4
	scratch_store_b64 off, v[0:1], s32 offset:192 ; 8-byte Folded Spill
	v_or3_b32 v116, v0, v4, v3
.LBB226_688:                            ;   in Loop: Header=BB226_10 Depth=1
	s_wait_xcnt 0x0
	s_or_b32 exec_lo, exec_lo, s11
.LBB226_689:                            ;   in Loop: Header=BB226_10 Depth=1
	s_delay_alu instid0(SALU_CYCLE_1)
	s_or_b32 exec_lo, exec_lo, s9
.LBB226_690:                            ;   in Loop: Header=BB226_10 Depth=1
	s_delay_alu instid0(SALU_CYCLE_1) | instskip(SKIP_2) | instid1(VALU_DEP_1)
	s_or_b32 exec_lo, exec_lo, s8
	v_lshrrev_b16 v0, 8, v2
	s_mov_b32 s8, exec_lo
	v_cmpx_ne_u16_e32 0, v0
	s_cbranch_execz .LBB226_698
; %bb.691:                              ;   in Loop: Header=BB226_10 Depth=1
	v_mov_b64_e32 v[86:87], 0x8000000000000000
	s_mov_b32 s9, exec_lo
	v_cmpx_ne_u16_e32 0x80, v0
	s_cbranch_execz .LBB226_697
; %bb.692:                              ;   in Loop: Header=BB226_10 Depth=1
	v_and_b32_e32 v0, 0xffff, v0
	v_mov_b64_e32 v[86:87], 0x7f80000100000000
	s_mov_b32 s11, exec_lo
	s_delay_alu instid0(VALU_DEP_2) | instskip(NEXT) | instid1(VALU_DEP_1)
	v_and_b32_e32 v4, 0x7f, v0
	v_cmpx_ne_u32_e32 0x7f, v4
	s_cbranch_execz .LBB226_696
; %bb.693:                              ;   in Loop: Header=BB226_10 Depth=1
	scratch_load_b64 v[6:7], off, s32 offset:192 th:TH_LOAD_LU ; 8-byte Folded Reload
	v_lshrrev_b32_e32 v3, 3, v4
	s_mov_b32 s16, exec_lo
	s_wait_loadcnt 0x0
	v_dual_mov_b32 v1, v7 :: v_dual_bitop2_b32 v0, 7, v0 bitop3:0x40
	s_wait_xcnt 0x0
	v_cmpx_gt_u32_e32 8, v4
; %bb.694:                              ;   in Loop: Header=BB226_10 Depth=1
	s_delay_alu instid0(VALU_DEP_2) | instskip(NEXT) | instid1(VALU_DEP_1)
	v_clz_i32_u32_e32 v3, v0
	v_min_u32_e32 v3, 32, v3
	s_delay_alu instid0(VALU_DEP_1) | instskip(NEXT) | instid1(VALU_DEP_1)
	v_subrev_nc_u32_e32 v4, 28, v3
	v_lshlrev_b64_e32 v[4:5], v4, v[0:1]
	s_delay_alu instid0(VALU_DEP_1)
	v_dual_sub_nc_u32 v3, 29, v3 :: v_dual_bitop2_b32 v0, 7, v4 bitop3:0x40
; %bb.695:                              ;   in Loop: Header=BB226_10 Depth=1
	s_or_b32 exec_lo, exec_lo, s16
	s_delay_alu instid0(VALU_DEP_1) | instskip(NEXT) | instid1(VALU_DEP_2)
	v_dual_lshlrev_b32 v4, 16, v2 :: v_dual_lshlrev_b32 v0, 20, v0
	v_lshl_add_u32 v3, v3, 23, 0x3c000000
	v_mov_b32_e32 v86, v1
	s_delay_alu instid0(VALU_DEP_3) | instskip(NEXT) | instid1(VALU_DEP_1)
	v_and_b32_e32 v4, 0x80000000, v4
	v_or3_b32 v87, v0, v4, v3
	v_mov_b32_e32 v3, v1
	scratch_store_b64 off, v[2:3], s32 offset:192 ; 8-byte Folded Spill
.LBB226_696:                            ;   in Loop: Header=BB226_10 Depth=1
	s_wait_xcnt 0x0
	s_or_b32 exec_lo, exec_lo, s11
.LBB226_697:                            ;   in Loop: Header=BB226_10 Depth=1
	s_delay_alu instid0(SALU_CYCLE_1)
	s_or_b32 exec_lo, exec_lo, s9
.LBB226_698:                            ;   in Loop: Header=BB226_10 Depth=1
	s_delay_alu instid0(SALU_CYCLE_1) | instskip(SKIP_4) | instid1(VALU_DEP_3)
	s_or_b32 exec_lo, exec_lo, s8
	v_lshrrev_b32_e32 v3, 16, v2
	v_mov_b64_e32 v[98:99], 0
	v_mov_b64_e32 v[26:27], 0
	s_mov_b32 s8, exec_lo
	v_and_b32_e32 v0, 0xff, v3
	s_delay_alu instid0(VALU_DEP_1)
	v_cmpx_ne_u16_e32 0, v0
	s_cbranch_execz .LBB226_706
; %bb.699:                              ;   in Loop: Header=BB226_10 Depth=1
	v_mov_b64_e32 v[26:27], 0x80000000
	s_mov_b32 s9, exec_lo
	v_cmpx_ne_u16_e32 0x80, v0
	s_cbranch_execz .LBB226_705
; %bb.700:                              ;   in Loop: Header=BB226_10 Depth=1
	v_mov_b64_e32 v[26:27], 0x7f800001
	v_bfe_u32 v5, v2, 16, 7
	s_mov_b32 s11, exec_lo
	s_delay_alu instid0(VALU_DEP_1)
	v_cmpx_ne_u32_e32 0x7f, v5
	s_cbranch_execz .LBB226_704
; %bb.701:                              ;   in Loop: Header=BB226_10 Depth=1
	scratch_load_b64 v[26:27], off, s32 offset:192 th:TH_LOAD_LU ; 8-byte Folded Reload
	s_wait_loadcnt 0x0
	v_dual_lshrrev_b32 v4, 3, v5 :: v_dual_bitop2_b32 v26, 7, v3 bitop3:0x40
	s_mov_b32 s16, exec_lo
	s_wait_xcnt 0x0
	v_cmpx_gt_u32_e32 8, v5
; %bb.702:                              ;   in Loop: Header=BB226_10 Depth=1
	s_delay_alu instid0(VALU_DEP_2) | instskip(NEXT) | instid1(VALU_DEP_1)
	v_clz_i32_u32_e32 v4, v26
	v_min_u32_e32 v4, 32, v4
	s_delay_alu instid0(VALU_DEP_1) | instskip(SKIP_1) | instid1(VALU_DEP_2)
	v_subrev_nc_u32_e32 v5, 28, v4
	v_sub_nc_u32_e32 v4, 29, v4
	v_lshlrev_b64_e32 v[8:9], v5, v[26:27]
	s_delay_alu instid0(VALU_DEP_1)
	v_and_b32_e32 v26, 7, v8
; %bb.703:                              ;   in Loop: Header=BB226_10 Depth=1
	s_or_b32 exec_lo, exec_lo, s16
	s_delay_alu instid0(VALU_DEP_1) | instskip(SKIP_2) | instid1(VALU_DEP_3)
	v_dual_lshlrev_b32 v3, 24, v3 :: v_dual_lshlrev_b32 v0, 20, v26
	v_lshl_add_u32 v4, v4, 23, 0x3c000000
	v_mov_b32_e32 v1, v27
	v_and_b32_e32 v3, 0x80000000, v3
	scratch_store_b64 off, v[0:1], s32 offset:192 ; 8-byte Folded Spill
	v_or3_b32 v26, v0, v3, v4
.LBB226_704:                            ;   in Loop: Header=BB226_10 Depth=1
	s_wait_xcnt 0x0
	s_or_b32 exec_lo, exec_lo, s11
.LBB226_705:                            ;   in Loop: Header=BB226_10 Depth=1
	s_delay_alu instid0(SALU_CYCLE_1)
	s_or_b32 exec_lo, exec_lo, s9
.LBB226_706:                            ;   in Loop: Header=BB226_10 Depth=1
	s_delay_alu instid0(SALU_CYCLE_1) | instskip(NEXT) | instid1(SALU_CYCLE_1)
	s_or_b32 exec_lo, exec_lo, s8
	s_mov_b32 s8, exec_lo
	v_cmpx_lt_u32_e32 0xffffff, v2
	s_cbranch_execz .LBB226_714
; %bb.707:                              ;   in Loop: Header=BB226_10 Depth=1
	v_mov_b64_e32 v[98:99], 0x8000000000000000
	v_lshrrev_b32_e32 v3, 24, v2
	s_mov_b32 s9, exec_lo
	s_delay_alu instid0(VALU_DEP_1)
	v_cmpx_ne_u32_e32 0x80, v3
	s_cbranch_execz .LBB226_713
; %bb.708:                              ;   in Loop: Header=BB226_10 Depth=1
	v_mov_b64_e32 v[98:99], 0x7f80000100000000
	v_bfe_u32 v4, v2, 24, 7
	s_mov_b32 s11, exec_lo
	s_delay_alu instid0(VALU_DEP_1)
	v_cmpx_ne_u32_e32 0x7f, v4
	s_cbranch_execz .LBB226_712
; %bb.709:                              ;   in Loop: Header=BB226_10 Depth=1
	scratch_load_b64 v[0:1], off, s32 offset:192 th:TH_LOAD_LU ; 8-byte Folded Reload
	s_wait_loadcnt 0x0
	v_dual_lshrrev_b32 v2, 3, v4 :: v_dual_bitop2_b32 v0, 7, v3 bitop3:0x40
	s_mov_b32 s16, exec_lo
	s_wait_xcnt 0x0
	v_cmpx_gt_u32_e32 8, v4
; %bb.710:                              ;   in Loop: Header=BB226_10 Depth=1
	s_delay_alu instid0(VALU_DEP_2) | instskip(NEXT) | instid1(VALU_DEP_1)
	v_clz_i32_u32_e32 v2, v0
	v_min_u32_e32 v2, 32, v2
	s_delay_alu instid0(VALU_DEP_1) | instskip(NEXT) | instid1(VALU_DEP_1)
	v_subrev_nc_u32_e32 v4, 28, v2
	v_lshlrev_b64_e32 v[4:5], v4, v[0:1]
	s_delay_alu instid0(VALU_DEP_1)
	v_dual_sub_nc_u32 v2, 29, v2 :: v_dual_bitop2_b32 v0, 7, v4 bitop3:0x40
; %bb.711:                              ;   in Loop: Header=BB226_10 Depth=1
	s_or_b32 exec_lo, exec_lo, s16
	s_delay_alu instid0(VALU_DEP_1) | instskip(NEXT) | instid1(VALU_DEP_2)
	v_dual_lshlrev_b32 v3, 24, v3 :: v_dual_lshlrev_b32 v0, 20, v0
	v_lshl_add_u32 v2, v2, 23, 0x3c000000
	v_mov_b32_e32 v98, v1
	s_delay_alu instid0(VALU_DEP_3) | instskip(NEXT) | instid1(VALU_DEP_1)
	v_and_b32_e32 v3, 0x80000000, v3
	v_or3_b32 v99, v0, v3, v2
	v_mov_b32_e32 v3, v1
	scratch_store_b64 off, v[2:3], s32 offset:192 ; 8-byte Folded Spill
.LBB226_712:                            ;   in Loop: Header=BB226_10 Depth=1
	s_wait_xcnt 0x0
	s_or_b32 exec_lo, exec_lo, s11
.LBB226_713:                            ;   in Loop: Header=BB226_10 Depth=1
	s_delay_alu instid0(SALU_CYCLE_1)
	s_or_b32 exec_lo, exec_lo, s9
.LBB226_714:                            ;   in Loop: Header=BB226_10 Depth=1
	s_delay_alu instid0(SALU_CYCLE_1)
	s_or_b32 exec_lo, exec_lo, s8
	flat_load_b32 v2, v[32:33] offset:2568
	v_mov_b64_e32 v[102:103], 0
	v_mov_b64_e32 v[44:45], 0
	s_mov_b32 s8, exec_lo
	s_wait_loadcnt_dscnt 0x0
	v_and_b32_e32 v0, 0xff, v2
	s_wait_xcnt 0x0
	s_delay_alu instid0(VALU_DEP_1)
	v_cmpx_ne_u16_e32 0, v0
	s_cbranch_execz .LBB226_722
; %bb.715:                              ;   in Loop: Header=BB226_10 Depth=1
	v_mov_b64_e32 v[44:45], 0x80000000
	s_mov_b32 s9, exec_lo
	v_cmpx_ne_u16_e32 0x80, v0
	s_cbranch_execz .LBB226_721
; %bb.716:                              ;   in Loop: Header=BB226_10 Depth=1
	v_mov_b64_e32 v[44:45], 0x7f800001
	v_and_b32_e32 v4, 0x7f, v2
	s_mov_b32 s11, exec_lo
	s_delay_alu instid0(VALU_DEP_1)
	v_cmpx_ne_u32_e32 0x7f, v4
	s_cbranch_execz .LBB226_720
; %bb.717:                              ;   in Loop: Header=BB226_10 Depth=1
	scratch_load_b64 v[44:45], off, s32 offset:192 th:TH_LOAD_LU ; 8-byte Folded Reload
	s_wait_loadcnt 0x0
	v_dual_lshrrev_b32 v3, 3, v4 :: v_dual_bitop2_b32 v44, 7, v2 bitop3:0x40
	s_mov_b32 s16, exec_lo
	s_wait_xcnt 0x0
	v_cmpx_gt_u32_e32 8, v4
; %bb.718:                              ;   in Loop: Header=BB226_10 Depth=1
	s_delay_alu instid0(VALU_DEP_2) | instskip(NEXT) | instid1(VALU_DEP_1)
	v_clz_i32_u32_e32 v3, v44
	v_min_u32_e32 v3, 32, v3
	s_delay_alu instid0(VALU_DEP_1) | instskip(NEXT) | instid1(VALU_DEP_1)
	v_subrev_nc_u32_e32 v4, 28, v3
	v_lshlrev_b64_e32 v[4:5], v4, v[44:45]
	s_delay_alu instid0(VALU_DEP_1)
	v_dual_sub_nc_u32 v3, 29, v3 :: v_dual_bitop2_b32 v44, 7, v4 bitop3:0x40
; %bb.719:                              ;   in Loop: Header=BB226_10 Depth=1
	s_or_b32 exec_lo, exec_lo, s16
	s_delay_alu instid0(VALU_DEP_1) | instskip(NEXT) | instid1(VALU_DEP_2)
	v_dual_lshlrev_b32 v4, 24, v2 :: v_dual_lshlrev_b32 v0, 20, v44
	v_lshl_add_u32 v3, v3, 23, 0x3c000000
	v_mov_b32_e32 v1, v45
	s_delay_alu instid0(VALU_DEP_3)
	v_and_b32_e32 v4, 0x80000000, v4
	scratch_store_b64 off, v[0:1], s32 offset:192 ; 8-byte Folded Spill
	v_or3_b32 v44, v0, v4, v3
.LBB226_720:                            ;   in Loop: Header=BB226_10 Depth=1
	s_wait_xcnt 0x0
	s_or_b32 exec_lo, exec_lo, s11
.LBB226_721:                            ;   in Loop: Header=BB226_10 Depth=1
	s_delay_alu instid0(SALU_CYCLE_1)
	s_or_b32 exec_lo, exec_lo, s9
.LBB226_722:                            ;   in Loop: Header=BB226_10 Depth=1
	s_delay_alu instid0(SALU_CYCLE_1) | instskip(SKIP_2) | instid1(VALU_DEP_1)
	s_or_b32 exec_lo, exec_lo, s8
	v_lshrrev_b16 v0, 8, v2
	s_mov_b32 s8, exec_lo
	v_cmpx_ne_u16_e32 0, v0
	s_cbranch_execz .LBB226_730
; %bb.723:                              ;   in Loop: Header=BB226_10 Depth=1
	v_mov_b64_e32 v[102:103], 0x8000000000000000
	s_mov_b32 s9, exec_lo
	v_cmpx_ne_u16_e32 0x80, v0
	s_cbranch_execz .LBB226_729
; %bb.724:                              ;   in Loop: Header=BB226_10 Depth=1
	v_and_b32_e32 v0, 0xffff, v0
	v_mov_b64_e32 v[102:103], 0x7f80000100000000
	s_mov_b32 s11, exec_lo
	s_delay_alu instid0(VALU_DEP_2) | instskip(NEXT) | instid1(VALU_DEP_1)
	v_and_b32_e32 v4, 0x7f, v0
	v_cmpx_ne_u32_e32 0x7f, v4
	s_cbranch_execz .LBB226_728
; %bb.725:                              ;   in Loop: Header=BB226_10 Depth=1
	scratch_load_b64 v[6:7], off, s32 offset:192 th:TH_LOAD_LU ; 8-byte Folded Reload
	v_lshrrev_b32_e32 v3, 3, v4
	s_mov_b32 s16, exec_lo
	s_wait_loadcnt 0x0
	v_dual_mov_b32 v1, v7 :: v_dual_bitop2_b32 v0, 7, v0 bitop3:0x40
	s_wait_xcnt 0x0
	v_cmpx_gt_u32_e32 8, v4
; %bb.726:                              ;   in Loop: Header=BB226_10 Depth=1
	s_delay_alu instid0(VALU_DEP_2) | instskip(NEXT) | instid1(VALU_DEP_1)
	v_clz_i32_u32_e32 v3, v0
	v_min_u32_e32 v3, 32, v3
	s_delay_alu instid0(VALU_DEP_1) | instskip(NEXT) | instid1(VALU_DEP_1)
	v_subrev_nc_u32_e32 v4, 28, v3
	v_lshlrev_b64_e32 v[4:5], v4, v[0:1]
	s_delay_alu instid0(VALU_DEP_1)
	v_dual_sub_nc_u32 v3, 29, v3 :: v_dual_bitop2_b32 v0, 7, v4 bitop3:0x40
; %bb.727:                              ;   in Loop: Header=BB226_10 Depth=1
	s_or_b32 exec_lo, exec_lo, s16
	s_delay_alu instid0(VALU_DEP_1) | instskip(NEXT) | instid1(VALU_DEP_2)
	v_dual_lshlrev_b32 v4, 16, v2 :: v_dual_lshlrev_b32 v0, 20, v0
	v_lshl_add_u32 v3, v3, 23, 0x3c000000
	v_mov_b32_e32 v102, v1
	s_delay_alu instid0(VALU_DEP_3) | instskip(NEXT) | instid1(VALU_DEP_1)
	v_and_b32_e32 v4, 0x80000000, v4
	v_or3_b32 v103, v0, v4, v3
	v_mov_b32_e32 v3, v1
	scratch_store_b64 off, v[2:3], s32 offset:192 ; 8-byte Folded Spill
.LBB226_728:                            ;   in Loop: Header=BB226_10 Depth=1
	s_wait_xcnt 0x0
	s_or_b32 exec_lo, exec_lo, s11
.LBB226_729:                            ;   in Loop: Header=BB226_10 Depth=1
	s_delay_alu instid0(SALU_CYCLE_1)
	s_or_b32 exec_lo, exec_lo, s9
.LBB226_730:                            ;   in Loop: Header=BB226_10 Depth=1
	s_delay_alu instid0(SALU_CYCLE_1) | instskip(SKIP_4) | instid1(VALU_DEP_3)
	s_or_b32 exec_lo, exec_lo, s8
	v_lshrrev_b32_e32 v3, 16, v2
	v_mov_b64_e32 v[114:115], 0
	v_mov_b64_e32 v[56:57], 0
	s_mov_b32 s8, exec_lo
	v_and_b32_e32 v0, 0xff, v3
	s_delay_alu instid0(VALU_DEP_1)
	v_cmpx_ne_u16_e32 0, v0
	s_cbranch_execz .LBB226_738
; %bb.731:                              ;   in Loop: Header=BB226_10 Depth=1
	v_mov_b64_e32 v[56:57], 0x80000000
	s_mov_b32 s9, exec_lo
	v_cmpx_ne_u16_e32 0x80, v0
	s_cbranch_execz .LBB226_737
; %bb.732:                              ;   in Loop: Header=BB226_10 Depth=1
	v_mov_b64_e32 v[56:57], 0x7f800001
	v_bfe_u32 v5, v2, 16, 7
	s_mov_b32 s11, exec_lo
	s_delay_alu instid0(VALU_DEP_1)
	v_cmpx_ne_u32_e32 0x7f, v5
	s_cbranch_execz .LBB226_736
; %bb.733:                              ;   in Loop: Header=BB226_10 Depth=1
	scratch_load_b64 v[56:57], off, s32 offset:192 th:TH_LOAD_LU ; 8-byte Folded Reload
	s_wait_loadcnt 0x0
	v_dual_lshrrev_b32 v4, 3, v5 :: v_dual_bitop2_b32 v56, 7, v3 bitop3:0x40
	s_mov_b32 s16, exec_lo
	s_wait_xcnt 0x0
	v_cmpx_gt_u32_e32 8, v5
; %bb.734:                              ;   in Loop: Header=BB226_10 Depth=1
	s_delay_alu instid0(VALU_DEP_2) | instskip(NEXT) | instid1(VALU_DEP_1)
	v_clz_i32_u32_e32 v4, v56
	v_min_u32_e32 v4, 32, v4
	s_delay_alu instid0(VALU_DEP_1) | instskip(SKIP_1) | instid1(VALU_DEP_2)
	v_subrev_nc_u32_e32 v5, 28, v4
	v_sub_nc_u32_e32 v4, 29, v4
	v_lshlrev_b64_e32 v[8:9], v5, v[56:57]
	s_delay_alu instid0(VALU_DEP_1)
	v_and_b32_e32 v56, 7, v8
; %bb.735:                              ;   in Loop: Header=BB226_10 Depth=1
	s_or_b32 exec_lo, exec_lo, s16
	s_delay_alu instid0(VALU_DEP_1) | instskip(SKIP_2) | instid1(VALU_DEP_3)
	v_dual_lshlrev_b32 v3, 24, v3 :: v_dual_lshlrev_b32 v0, 20, v56
	v_lshl_add_u32 v4, v4, 23, 0x3c000000
	v_mov_b32_e32 v1, v57
	v_and_b32_e32 v3, 0x80000000, v3
	scratch_store_b64 off, v[0:1], s32 offset:192 ; 8-byte Folded Spill
	v_or3_b32 v56, v0, v3, v4
.LBB226_736:                            ;   in Loop: Header=BB226_10 Depth=1
	s_wait_xcnt 0x0
	s_or_b32 exec_lo, exec_lo, s11
.LBB226_737:                            ;   in Loop: Header=BB226_10 Depth=1
	s_delay_alu instid0(SALU_CYCLE_1)
	s_or_b32 exec_lo, exec_lo, s9
.LBB226_738:                            ;   in Loop: Header=BB226_10 Depth=1
	s_delay_alu instid0(SALU_CYCLE_1) | instskip(NEXT) | instid1(SALU_CYCLE_1)
	s_or_b32 exec_lo, exec_lo, s8
	s_mov_b32 s8, exec_lo
	v_cmpx_lt_u32_e32 0xffffff, v2
	s_cbranch_execz .LBB226_746
; %bb.739:                              ;   in Loop: Header=BB226_10 Depth=1
	v_mov_b64_e32 v[114:115], 0x8000000000000000
	v_lshrrev_b32_e32 v3, 24, v2
	s_mov_b32 s9, exec_lo
	s_delay_alu instid0(VALU_DEP_1)
	v_cmpx_ne_u32_e32 0x80, v3
	s_cbranch_execz .LBB226_745
; %bb.740:                              ;   in Loop: Header=BB226_10 Depth=1
	v_mov_b64_e32 v[114:115], 0x7f80000100000000
	v_bfe_u32 v4, v2, 24, 7
	s_mov_b32 s11, exec_lo
	s_delay_alu instid0(VALU_DEP_1)
	v_cmpx_ne_u32_e32 0x7f, v4
	s_cbranch_execz .LBB226_744
; %bb.741:                              ;   in Loop: Header=BB226_10 Depth=1
	scratch_load_b64 v[0:1], off, s32 offset:192 th:TH_LOAD_LU ; 8-byte Folded Reload
	s_wait_loadcnt 0x0
	v_dual_lshrrev_b32 v2, 3, v4 :: v_dual_bitop2_b32 v0, 7, v3 bitop3:0x40
	s_mov_b32 s16, exec_lo
	s_wait_xcnt 0x0
	v_cmpx_gt_u32_e32 8, v4
; %bb.742:                              ;   in Loop: Header=BB226_10 Depth=1
	s_delay_alu instid0(VALU_DEP_2) | instskip(NEXT) | instid1(VALU_DEP_1)
	v_clz_i32_u32_e32 v2, v0
	v_min_u32_e32 v2, 32, v2
	s_delay_alu instid0(VALU_DEP_1) | instskip(NEXT) | instid1(VALU_DEP_1)
	v_subrev_nc_u32_e32 v4, 28, v2
	v_lshlrev_b64_e32 v[4:5], v4, v[0:1]
	s_delay_alu instid0(VALU_DEP_1)
	v_dual_sub_nc_u32 v2, 29, v2 :: v_dual_bitop2_b32 v0, 7, v4 bitop3:0x40
; %bb.743:                              ;   in Loop: Header=BB226_10 Depth=1
	s_or_b32 exec_lo, exec_lo, s16
	s_delay_alu instid0(VALU_DEP_1) | instskip(NEXT) | instid1(VALU_DEP_2)
	v_dual_lshlrev_b32 v3, 24, v3 :: v_dual_lshlrev_b32 v0, 20, v0
	v_lshl_add_u32 v2, v2, 23, 0x3c000000
	v_mov_b32_e32 v114, v1
	s_delay_alu instid0(VALU_DEP_3) | instskip(NEXT) | instid1(VALU_DEP_1)
	v_and_b32_e32 v3, 0x80000000, v3
	v_or3_b32 v115, v0, v3, v2
	v_mov_b32_e32 v3, v1
	scratch_store_b64 off, v[2:3], s32 offset:192 ; 8-byte Folded Spill
.LBB226_744:                            ;   in Loop: Header=BB226_10 Depth=1
	s_wait_xcnt 0x0
	s_or_b32 exec_lo, exec_lo, s11
.LBB226_745:                            ;   in Loop: Header=BB226_10 Depth=1
	s_delay_alu instid0(SALU_CYCLE_1)
	s_or_b32 exec_lo, exec_lo, s9
.LBB226_746:                            ;   in Loop: Header=BB226_10 Depth=1
	s_delay_alu instid0(SALU_CYCLE_1)
	s_or_b32 exec_lo, exec_lo, s8
	flat_load_b32 v2, v[32:33] offset:2572
	v_mov_b64_e32 v[118:119], 0
	v_mov_b64_e32 v[60:61], 0
	s_mov_b32 s8, exec_lo
	s_wait_loadcnt_dscnt 0x0
	v_and_b32_e32 v0, 0xff, v2
	s_wait_xcnt 0x0
	s_delay_alu instid0(VALU_DEP_1)
	v_cmpx_ne_u16_e32 0, v0
	s_cbranch_execz .LBB226_754
; %bb.747:                              ;   in Loop: Header=BB226_10 Depth=1
	v_mov_b64_e32 v[60:61], 0x80000000
	s_mov_b32 s9, exec_lo
	v_cmpx_ne_u16_e32 0x80, v0
	s_cbranch_execz .LBB226_753
; %bb.748:                              ;   in Loop: Header=BB226_10 Depth=1
	v_mov_b64_e32 v[60:61], 0x7f800001
	v_and_b32_e32 v4, 0x7f, v2
	s_mov_b32 s11, exec_lo
	s_delay_alu instid0(VALU_DEP_1)
	v_cmpx_ne_u32_e32 0x7f, v4
	s_cbranch_execz .LBB226_752
; %bb.749:                              ;   in Loop: Header=BB226_10 Depth=1
	scratch_load_b64 v[60:61], off, s32 offset:192 th:TH_LOAD_LU ; 8-byte Folded Reload
	s_wait_loadcnt 0x0
	v_dual_lshrrev_b32 v3, 3, v4 :: v_dual_bitop2_b32 v60, 7, v2 bitop3:0x40
	s_mov_b32 s16, exec_lo
	s_wait_xcnt 0x0
	v_cmpx_gt_u32_e32 8, v4
; %bb.750:                              ;   in Loop: Header=BB226_10 Depth=1
	s_delay_alu instid0(VALU_DEP_2) | instskip(NEXT) | instid1(VALU_DEP_1)
	v_clz_i32_u32_e32 v3, v60
	v_min_u32_e32 v3, 32, v3
	s_delay_alu instid0(VALU_DEP_1) | instskip(NEXT) | instid1(VALU_DEP_1)
	v_subrev_nc_u32_e32 v4, 28, v3
	v_lshlrev_b64_e32 v[4:5], v4, v[60:61]
	s_delay_alu instid0(VALU_DEP_1)
	v_dual_sub_nc_u32 v3, 29, v3 :: v_dual_bitop2_b32 v60, 7, v4 bitop3:0x40
; %bb.751:                              ;   in Loop: Header=BB226_10 Depth=1
	s_or_b32 exec_lo, exec_lo, s16
	s_delay_alu instid0(VALU_DEP_1) | instskip(NEXT) | instid1(VALU_DEP_2)
	v_dual_lshlrev_b32 v4, 24, v2 :: v_dual_lshlrev_b32 v0, 20, v60
	v_lshl_add_u32 v3, v3, 23, 0x3c000000
	v_mov_b32_e32 v1, v61
	s_delay_alu instid0(VALU_DEP_3)
	v_and_b32_e32 v4, 0x80000000, v4
	scratch_store_b64 off, v[0:1], s32 offset:192 ; 8-byte Folded Spill
	v_or3_b32 v60, v0, v4, v3
.LBB226_752:                            ;   in Loop: Header=BB226_10 Depth=1
	s_wait_xcnt 0x0
	s_or_b32 exec_lo, exec_lo, s11
.LBB226_753:                            ;   in Loop: Header=BB226_10 Depth=1
	s_delay_alu instid0(SALU_CYCLE_1)
	s_or_b32 exec_lo, exec_lo, s9
.LBB226_754:                            ;   in Loop: Header=BB226_10 Depth=1
	s_delay_alu instid0(SALU_CYCLE_1) | instskip(SKIP_2) | instid1(VALU_DEP_1)
	s_or_b32 exec_lo, exec_lo, s8
	v_lshrrev_b16 v0, 8, v2
	s_mov_b32 s8, exec_lo
	v_cmpx_ne_u16_e32 0, v0
	s_cbranch_execz .LBB226_762
; %bb.755:                              ;   in Loop: Header=BB226_10 Depth=1
	v_mov_b64_e32 v[118:119], 0x8000000000000000
	s_mov_b32 s9, exec_lo
	v_cmpx_ne_u16_e32 0x80, v0
	s_cbranch_execz .LBB226_761
; %bb.756:                              ;   in Loop: Header=BB226_10 Depth=1
	v_and_b32_e32 v0, 0xffff, v0
	v_mov_b64_e32 v[118:119], 0x7f80000100000000
	s_mov_b32 s11, exec_lo
	s_delay_alu instid0(VALU_DEP_2) | instskip(NEXT) | instid1(VALU_DEP_1)
	v_and_b32_e32 v4, 0x7f, v0
	v_cmpx_ne_u32_e32 0x7f, v4
	s_cbranch_execz .LBB226_760
; %bb.757:                              ;   in Loop: Header=BB226_10 Depth=1
	scratch_load_b64 v[6:7], off, s32 offset:192 th:TH_LOAD_LU ; 8-byte Folded Reload
	v_lshrrev_b32_e32 v3, 3, v4
	s_mov_b32 s16, exec_lo
	s_wait_loadcnt 0x0
	v_dual_mov_b32 v1, v7 :: v_dual_bitop2_b32 v0, 7, v0 bitop3:0x40
	s_wait_xcnt 0x0
	v_cmpx_gt_u32_e32 8, v4
; %bb.758:                              ;   in Loop: Header=BB226_10 Depth=1
	s_delay_alu instid0(VALU_DEP_2) | instskip(NEXT) | instid1(VALU_DEP_1)
	v_clz_i32_u32_e32 v3, v0
	v_min_u32_e32 v3, 32, v3
	s_delay_alu instid0(VALU_DEP_1) | instskip(NEXT) | instid1(VALU_DEP_1)
	v_subrev_nc_u32_e32 v4, 28, v3
	v_lshlrev_b64_e32 v[4:5], v4, v[0:1]
	s_delay_alu instid0(VALU_DEP_1)
	v_dual_sub_nc_u32 v3, 29, v3 :: v_dual_bitop2_b32 v0, 7, v4 bitop3:0x40
; %bb.759:                              ;   in Loop: Header=BB226_10 Depth=1
	s_or_b32 exec_lo, exec_lo, s16
	s_delay_alu instid0(VALU_DEP_1) | instskip(NEXT) | instid1(VALU_DEP_2)
	v_dual_lshlrev_b32 v4, 16, v2 :: v_dual_lshlrev_b32 v0, 20, v0
	v_lshl_add_u32 v3, v3, 23, 0x3c000000
	v_mov_b32_e32 v118, v1
	s_delay_alu instid0(VALU_DEP_3) | instskip(NEXT) | instid1(VALU_DEP_1)
	v_and_b32_e32 v4, 0x80000000, v4
	v_or3_b32 v119, v0, v4, v3
	v_mov_b32_e32 v3, v1
	scratch_store_b64 off, v[2:3], s32 offset:192 ; 8-byte Folded Spill
.LBB226_760:                            ;   in Loop: Header=BB226_10 Depth=1
	s_wait_xcnt 0x0
	s_or_b32 exec_lo, exec_lo, s11
.LBB226_761:                            ;   in Loop: Header=BB226_10 Depth=1
	s_delay_alu instid0(SALU_CYCLE_1)
	s_or_b32 exec_lo, exec_lo, s9
.LBB226_762:                            ;   in Loop: Header=BB226_10 Depth=1
	s_delay_alu instid0(SALU_CYCLE_1) | instskip(SKIP_4) | instid1(VALU_DEP_3)
	s_or_b32 exec_lo, exec_lo, s8
	v_lshrrev_b32_e32 v3, 16, v2
	v_mov_b64_e32 v[42:43], 0
	v_mov_b64_e32 v[72:73], 0
	s_mov_b32 s8, exec_lo
	v_and_b32_e32 v0, 0xff, v3
	s_delay_alu instid0(VALU_DEP_1)
	v_cmpx_ne_u16_e32 0, v0
	s_cbranch_execz .LBB226_770
; %bb.763:                              ;   in Loop: Header=BB226_10 Depth=1
	v_mov_b64_e32 v[72:73], 0x80000000
	s_mov_b32 s9, exec_lo
	v_cmpx_ne_u16_e32 0x80, v0
	s_cbranch_execz .LBB226_769
; %bb.764:                              ;   in Loop: Header=BB226_10 Depth=1
	v_mov_b64_e32 v[72:73], 0x7f800001
	v_bfe_u32 v5, v2, 16, 7
	s_mov_b32 s11, exec_lo
	s_delay_alu instid0(VALU_DEP_1)
	v_cmpx_ne_u32_e32 0x7f, v5
	s_cbranch_execz .LBB226_768
; %bb.765:                              ;   in Loop: Header=BB226_10 Depth=1
	scratch_load_b64 v[72:73], off, s32 offset:192 th:TH_LOAD_LU ; 8-byte Folded Reload
	s_wait_loadcnt 0x0
	v_dual_lshrrev_b32 v4, 3, v5 :: v_dual_bitop2_b32 v72, 7, v3 bitop3:0x40
	s_mov_b32 s16, exec_lo
	s_wait_xcnt 0x0
	v_cmpx_gt_u32_e32 8, v5
; %bb.766:                              ;   in Loop: Header=BB226_10 Depth=1
	s_delay_alu instid0(VALU_DEP_2) | instskip(NEXT) | instid1(VALU_DEP_1)
	v_clz_i32_u32_e32 v4, v72
	v_min_u32_e32 v4, 32, v4
	s_delay_alu instid0(VALU_DEP_1) | instskip(SKIP_1) | instid1(VALU_DEP_2)
	v_subrev_nc_u32_e32 v5, 28, v4
	v_sub_nc_u32_e32 v4, 29, v4
	v_lshlrev_b64_e32 v[8:9], v5, v[72:73]
	s_delay_alu instid0(VALU_DEP_1)
	v_and_b32_e32 v72, 7, v8
; %bb.767:                              ;   in Loop: Header=BB226_10 Depth=1
	s_or_b32 exec_lo, exec_lo, s16
	s_delay_alu instid0(VALU_DEP_1) | instskip(SKIP_2) | instid1(VALU_DEP_3)
	v_dual_lshlrev_b32 v3, 24, v3 :: v_dual_lshlrev_b32 v0, 20, v72
	v_lshl_add_u32 v4, v4, 23, 0x3c000000
	v_mov_b32_e32 v1, v73
	v_and_b32_e32 v3, 0x80000000, v3
	scratch_store_b64 off, v[0:1], s32 offset:192 ; 8-byte Folded Spill
	v_or3_b32 v72, v0, v3, v4
.LBB226_768:                            ;   in Loop: Header=BB226_10 Depth=1
	s_wait_xcnt 0x0
	s_or_b32 exec_lo, exec_lo, s11
.LBB226_769:                            ;   in Loop: Header=BB226_10 Depth=1
	s_delay_alu instid0(SALU_CYCLE_1)
	s_or_b32 exec_lo, exec_lo, s9
.LBB226_770:                            ;   in Loop: Header=BB226_10 Depth=1
	s_delay_alu instid0(SALU_CYCLE_1) | instskip(NEXT) | instid1(SALU_CYCLE_1)
	s_or_b32 exec_lo, exec_lo, s8
	s_mov_b32 s8, exec_lo
	v_cmpx_lt_u32_e32 0xffffff, v2
	s_cbranch_execz .LBB226_778
; %bb.771:                              ;   in Loop: Header=BB226_10 Depth=1
	v_mov_b64_e32 v[42:43], 0x8000000000000000
	v_lshrrev_b32_e32 v3, 24, v2
	s_mov_b32 s9, exec_lo
	s_delay_alu instid0(VALU_DEP_1)
	v_cmpx_ne_u32_e32 0x80, v3
	s_cbranch_execz .LBB226_777
; %bb.772:                              ;   in Loop: Header=BB226_10 Depth=1
	v_mov_b64_e32 v[42:43], 0x7f80000100000000
	v_bfe_u32 v4, v2, 24, 7
	s_mov_b32 s11, exec_lo
	s_delay_alu instid0(VALU_DEP_1)
	v_cmpx_ne_u32_e32 0x7f, v4
	s_cbranch_execz .LBB226_776
; %bb.773:                              ;   in Loop: Header=BB226_10 Depth=1
	scratch_load_b64 v[0:1], off, s32 offset:192 th:TH_LOAD_LU ; 8-byte Folded Reload
	s_wait_loadcnt 0x0
	v_dual_lshrrev_b32 v2, 3, v4 :: v_dual_bitop2_b32 v0, 7, v3 bitop3:0x40
	s_mov_b32 s16, exec_lo
	s_wait_xcnt 0x0
	v_cmpx_gt_u32_e32 8, v4
; %bb.774:                              ;   in Loop: Header=BB226_10 Depth=1
	s_delay_alu instid0(VALU_DEP_2) | instskip(NEXT) | instid1(VALU_DEP_1)
	v_clz_i32_u32_e32 v2, v0
	v_min_u32_e32 v2, 32, v2
	s_delay_alu instid0(VALU_DEP_1) | instskip(NEXT) | instid1(VALU_DEP_1)
	v_subrev_nc_u32_e32 v4, 28, v2
	v_lshlrev_b64_e32 v[4:5], v4, v[0:1]
	s_delay_alu instid0(VALU_DEP_1)
	v_dual_sub_nc_u32 v2, 29, v2 :: v_dual_bitop2_b32 v0, 7, v4 bitop3:0x40
; %bb.775:                              ;   in Loop: Header=BB226_10 Depth=1
	s_or_b32 exec_lo, exec_lo, s16
	s_delay_alu instid0(VALU_DEP_1) | instskip(NEXT) | instid1(VALU_DEP_2)
	v_dual_lshlrev_b32 v3, 24, v3 :: v_dual_lshlrev_b32 v0, 20, v0
	v_lshl_add_u32 v2, v2, 23, 0x3c000000
	v_mov_b32_e32 v42, v1
	s_delay_alu instid0(VALU_DEP_3) | instskip(NEXT) | instid1(VALU_DEP_1)
	v_and_b32_e32 v3, 0x80000000, v3
	v_or3_b32 v43, v0, v3, v2
	v_mov_b32_e32 v3, v1
	scratch_store_b64 off, v[2:3], s32 offset:192 ; 8-byte Folded Spill
.LBB226_776:                            ;   in Loop: Header=BB226_10 Depth=1
	s_wait_xcnt 0x0
	s_or_b32 exec_lo, exec_lo, s11
.LBB226_777:                            ;   in Loop: Header=BB226_10 Depth=1
	s_delay_alu instid0(SALU_CYCLE_1)
	s_or_b32 exec_lo, exec_lo, s9
.LBB226_778:                            ;   in Loop: Header=BB226_10 Depth=1
	s_delay_alu instid0(SALU_CYCLE_1)
	s_or_b32 exec_lo, exec_lo, s8
	flat_load_b32 v2, v[32:33] offset:3072
	v_mov_b64_e32 v[46:47], 0
	v_mov_b64_e32 v[14:15], 0
	s_mov_b32 s8, exec_lo
	s_wait_loadcnt_dscnt 0x0
	v_and_b32_e32 v0, 0xff, v2
	s_wait_xcnt 0x0
	s_delay_alu instid0(VALU_DEP_1)
	v_cmpx_ne_u16_e32 0, v0
	s_cbranch_execz .LBB226_786
; %bb.779:                              ;   in Loop: Header=BB226_10 Depth=1
	v_mov_b64_e32 v[14:15], 0x80000000
	s_mov_b32 s9, exec_lo
	v_cmpx_ne_u16_e32 0x80, v0
	s_cbranch_execz .LBB226_785
; %bb.780:                              ;   in Loop: Header=BB226_10 Depth=1
	v_mov_b64_e32 v[14:15], 0x7f800001
	v_and_b32_e32 v4, 0x7f, v2
	s_mov_b32 s11, exec_lo
	s_delay_alu instid0(VALU_DEP_1)
	v_cmpx_ne_u32_e32 0x7f, v4
	s_cbranch_execz .LBB226_784
; %bb.781:                              ;   in Loop: Header=BB226_10 Depth=1
	scratch_load_b64 v[14:15], off, s32 offset:192 th:TH_LOAD_LU ; 8-byte Folded Reload
	s_wait_loadcnt 0x0
	v_dual_lshrrev_b32 v3, 3, v4 :: v_dual_bitop2_b32 v14, 7, v2 bitop3:0x40
	s_mov_b32 s16, exec_lo
	s_wait_xcnt 0x0
	v_cmpx_gt_u32_e32 8, v4
; %bb.782:                              ;   in Loop: Header=BB226_10 Depth=1
	s_delay_alu instid0(VALU_DEP_2) | instskip(NEXT) | instid1(VALU_DEP_1)
	v_clz_i32_u32_e32 v3, v14
	v_min_u32_e32 v3, 32, v3
	s_delay_alu instid0(VALU_DEP_1) | instskip(NEXT) | instid1(VALU_DEP_1)
	v_subrev_nc_u32_e32 v4, 28, v3
	v_lshlrev_b64_e32 v[4:5], v4, v[14:15]
	s_delay_alu instid0(VALU_DEP_1)
	v_dual_sub_nc_u32 v3, 29, v3 :: v_dual_bitop2_b32 v14, 7, v4 bitop3:0x40
; %bb.783:                              ;   in Loop: Header=BB226_10 Depth=1
	s_or_b32 exec_lo, exec_lo, s16
	v_dual_mov_b32 v1, v15 :: v_dual_lshlrev_b32 v4, 24, v2
	s_delay_alu instid0(VALU_DEP_2) | instskip(NEXT) | instid1(VALU_DEP_3)
	v_lshlrev_b32_e32 v0, 20, v14
	v_lshl_add_u32 v3, v3, 23, 0x3c000000
	s_delay_alu instid0(VALU_DEP_3)
	v_and_b32_e32 v4, 0x80000000, v4
	scratch_store_b64 off, v[0:1], s32 offset:192 ; 8-byte Folded Spill
	v_or3_b32 v14, v0, v4, v3
.LBB226_784:                            ;   in Loop: Header=BB226_10 Depth=1
	s_wait_xcnt 0x0
	s_or_b32 exec_lo, exec_lo, s11
.LBB226_785:                            ;   in Loop: Header=BB226_10 Depth=1
	s_delay_alu instid0(SALU_CYCLE_1)
	s_or_b32 exec_lo, exec_lo, s9
.LBB226_786:                            ;   in Loop: Header=BB226_10 Depth=1
	s_delay_alu instid0(SALU_CYCLE_1) | instskip(SKIP_2) | instid1(VALU_DEP_1)
	s_or_b32 exec_lo, exec_lo, s8
	v_lshrrev_b16 v0, 8, v2
	s_mov_b32 s8, exec_lo
	v_cmpx_ne_u16_e32 0, v0
	s_cbranch_execz .LBB226_794
; %bb.787:                              ;   in Loop: Header=BB226_10 Depth=1
	v_mov_b64_e32 v[46:47], 0x8000000000000000
	s_mov_b32 s9, exec_lo
	v_cmpx_ne_u16_e32 0x80, v0
	s_cbranch_execz .LBB226_793
; %bb.788:                              ;   in Loop: Header=BB226_10 Depth=1
	v_and_b32_e32 v0, 0xffff, v0
	v_mov_b64_e32 v[46:47], 0x7f80000100000000
	s_mov_b32 s11, exec_lo
	s_delay_alu instid0(VALU_DEP_2) | instskip(NEXT) | instid1(VALU_DEP_1)
	v_and_b32_e32 v4, 0x7f, v0
	v_cmpx_ne_u32_e32 0x7f, v4
	s_cbranch_execz .LBB226_792
; %bb.789:                              ;   in Loop: Header=BB226_10 Depth=1
	scratch_load_b64 v[6:7], off, s32 offset:192 th:TH_LOAD_LU ; 8-byte Folded Reload
	v_lshrrev_b32_e32 v3, 3, v4
	s_mov_b32 s16, exec_lo
	s_wait_loadcnt 0x0
	v_dual_mov_b32 v1, v7 :: v_dual_bitop2_b32 v0, 7, v0 bitop3:0x40
	s_wait_xcnt 0x0
	v_cmpx_gt_u32_e32 8, v4
; %bb.790:                              ;   in Loop: Header=BB226_10 Depth=1
	s_delay_alu instid0(VALU_DEP_2) | instskip(NEXT) | instid1(VALU_DEP_1)
	v_clz_i32_u32_e32 v3, v0
	v_min_u32_e32 v3, 32, v3
	s_delay_alu instid0(VALU_DEP_1) | instskip(NEXT) | instid1(VALU_DEP_1)
	v_subrev_nc_u32_e32 v4, 28, v3
	v_lshlrev_b64_e32 v[4:5], v4, v[0:1]
	s_delay_alu instid0(VALU_DEP_1)
	v_dual_sub_nc_u32 v3, 29, v3 :: v_dual_bitop2_b32 v0, 7, v4 bitop3:0x40
; %bb.791:                              ;   in Loop: Header=BB226_10 Depth=1
	s_or_b32 exec_lo, exec_lo, s16
	s_delay_alu instid0(VALU_DEP_1) | instskip(NEXT) | instid1(VALU_DEP_2)
	v_dual_lshlrev_b32 v4, 16, v2 :: v_dual_lshlrev_b32 v0, 20, v0
	v_lshl_add_u32 v3, v3, 23, 0x3c000000
	v_mov_b32_e32 v46, v1
	s_delay_alu instid0(VALU_DEP_3) | instskip(NEXT) | instid1(VALU_DEP_1)
	v_and_b32_e32 v4, 0x80000000, v4
	v_or3_b32 v47, v0, v4, v3
	v_mov_b32_e32 v3, v1
	scratch_store_b64 off, v[2:3], s32 offset:192 ; 8-byte Folded Spill
.LBB226_792:                            ;   in Loop: Header=BB226_10 Depth=1
	s_wait_xcnt 0x0
	s_or_b32 exec_lo, exec_lo, s11
.LBB226_793:                            ;   in Loop: Header=BB226_10 Depth=1
	s_delay_alu instid0(SALU_CYCLE_1)
	s_or_b32 exec_lo, exec_lo, s9
.LBB226_794:                            ;   in Loop: Header=BB226_10 Depth=1
	s_delay_alu instid0(SALU_CYCLE_1) | instskip(SKIP_4) | instid1(VALU_DEP_3)
	s_or_b32 exec_lo, exec_lo, s8
	v_lshrrev_b32_e32 v3, 16, v2
	v_mov_b64_e32 v[58:59], 0
	v_mov_b64_e32 v[88:89], 0
	s_mov_b32 s8, exec_lo
	v_and_b32_e32 v0, 0xff, v3
	s_delay_alu instid0(VALU_DEP_1)
	v_cmpx_ne_u16_e32 0, v0
	s_cbranch_execz .LBB226_802
; %bb.795:                              ;   in Loop: Header=BB226_10 Depth=1
	v_mov_b64_e32 v[88:89], 0x80000000
	s_mov_b32 s9, exec_lo
	v_cmpx_ne_u16_e32 0x80, v0
	s_cbranch_execz .LBB226_801
; %bb.796:                              ;   in Loop: Header=BB226_10 Depth=1
	v_mov_b64_e32 v[88:89], 0x7f800001
	v_bfe_u32 v5, v2, 16, 7
	s_mov_b32 s11, exec_lo
	s_delay_alu instid0(VALU_DEP_1)
	v_cmpx_ne_u32_e32 0x7f, v5
	s_cbranch_execz .LBB226_800
; %bb.797:                              ;   in Loop: Header=BB226_10 Depth=1
	scratch_load_b64 v[88:89], off, s32 offset:192 th:TH_LOAD_LU ; 8-byte Folded Reload
	s_wait_loadcnt 0x0
	v_dual_lshrrev_b32 v4, 3, v5 :: v_dual_bitop2_b32 v88, 7, v3 bitop3:0x40
	s_mov_b32 s16, exec_lo
	s_wait_xcnt 0x0
	v_cmpx_gt_u32_e32 8, v5
; %bb.798:                              ;   in Loop: Header=BB226_10 Depth=1
	s_delay_alu instid0(VALU_DEP_2) | instskip(NEXT) | instid1(VALU_DEP_1)
	v_clz_i32_u32_e32 v4, v88
	v_min_u32_e32 v4, 32, v4
	s_delay_alu instid0(VALU_DEP_1) | instskip(SKIP_1) | instid1(VALU_DEP_2)
	v_subrev_nc_u32_e32 v5, 28, v4
	v_sub_nc_u32_e32 v4, 29, v4
	v_lshlrev_b64_e32 v[8:9], v5, v[88:89]
	s_delay_alu instid0(VALU_DEP_1)
	v_and_b32_e32 v88, 7, v8
; %bb.799:                              ;   in Loop: Header=BB226_10 Depth=1
	s_or_b32 exec_lo, exec_lo, s16
	s_delay_alu instid0(VALU_DEP_1) | instskip(SKIP_2) | instid1(VALU_DEP_3)
	v_dual_lshlrev_b32 v3, 24, v3 :: v_dual_lshlrev_b32 v0, 20, v88
	v_lshl_add_u32 v4, v4, 23, 0x3c000000
	v_mov_b32_e32 v1, v89
	v_and_b32_e32 v3, 0x80000000, v3
	scratch_store_b64 off, v[0:1], s32 offset:192 ; 8-byte Folded Spill
	v_or3_b32 v88, v0, v3, v4
.LBB226_800:                            ;   in Loop: Header=BB226_10 Depth=1
	s_wait_xcnt 0x0
	s_or_b32 exec_lo, exec_lo, s11
.LBB226_801:                            ;   in Loop: Header=BB226_10 Depth=1
	s_delay_alu instid0(SALU_CYCLE_1)
	s_or_b32 exec_lo, exec_lo, s9
.LBB226_802:                            ;   in Loop: Header=BB226_10 Depth=1
	s_delay_alu instid0(SALU_CYCLE_1) | instskip(NEXT) | instid1(SALU_CYCLE_1)
	s_or_b32 exec_lo, exec_lo, s8
	s_mov_b32 s8, exec_lo
	v_cmpx_lt_u32_e32 0xffffff, v2
	s_cbranch_execz .LBB226_810
; %bb.803:                              ;   in Loop: Header=BB226_10 Depth=1
	v_mov_b64_e32 v[58:59], 0x8000000000000000
	v_lshrrev_b32_e32 v3, 24, v2
	s_mov_b32 s9, exec_lo
	s_delay_alu instid0(VALU_DEP_1)
	v_cmpx_ne_u32_e32 0x80, v3
	s_cbranch_execz .LBB226_809
; %bb.804:                              ;   in Loop: Header=BB226_10 Depth=1
	v_mov_b64_e32 v[58:59], 0x7f80000100000000
	v_bfe_u32 v4, v2, 24, 7
	s_mov_b32 s11, exec_lo
	s_delay_alu instid0(VALU_DEP_1)
	v_cmpx_ne_u32_e32 0x7f, v4
	s_cbranch_execz .LBB226_808
; %bb.805:                              ;   in Loop: Header=BB226_10 Depth=1
	scratch_load_b64 v[0:1], off, s32 offset:192 th:TH_LOAD_LU ; 8-byte Folded Reload
	s_wait_loadcnt 0x0
	v_dual_lshrrev_b32 v2, 3, v4 :: v_dual_bitop2_b32 v0, 7, v3 bitop3:0x40
	s_mov_b32 s16, exec_lo
	s_wait_xcnt 0x0
	v_cmpx_gt_u32_e32 8, v4
; %bb.806:                              ;   in Loop: Header=BB226_10 Depth=1
	s_delay_alu instid0(VALU_DEP_2) | instskip(NEXT) | instid1(VALU_DEP_1)
	v_clz_i32_u32_e32 v2, v0
	v_min_u32_e32 v2, 32, v2
	s_delay_alu instid0(VALU_DEP_1) | instskip(NEXT) | instid1(VALU_DEP_1)
	v_subrev_nc_u32_e32 v4, 28, v2
	v_lshlrev_b64_e32 v[4:5], v4, v[0:1]
	s_delay_alu instid0(VALU_DEP_1)
	v_dual_sub_nc_u32 v2, 29, v2 :: v_dual_bitop2_b32 v0, 7, v4 bitop3:0x40
; %bb.807:                              ;   in Loop: Header=BB226_10 Depth=1
	s_or_b32 exec_lo, exec_lo, s16
	s_delay_alu instid0(VALU_DEP_1) | instskip(NEXT) | instid1(VALU_DEP_2)
	v_dual_lshlrev_b32 v3, 24, v3 :: v_dual_lshlrev_b32 v0, 20, v0
	v_lshl_add_u32 v2, v2, 23, 0x3c000000
	v_mov_b32_e32 v58, v1
	s_delay_alu instid0(VALU_DEP_3) | instskip(NEXT) | instid1(VALU_DEP_1)
	v_and_b32_e32 v3, 0x80000000, v3
	v_or3_b32 v59, v0, v3, v2
	v_mov_b32_e32 v3, v1
	scratch_store_b64 off, v[2:3], s32 offset:192 ; 8-byte Folded Spill
.LBB226_808:                            ;   in Loop: Header=BB226_10 Depth=1
	s_wait_xcnt 0x0
	s_or_b32 exec_lo, exec_lo, s11
.LBB226_809:                            ;   in Loop: Header=BB226_10 Depth=1
	s_delay_alu instid0(SALU_CYCLE_1)
	s_or_b32 exec_lo, exec_lo, s9
.LBB226_810:                            ;   in Loop: Header=BB226_10 Depth=1
	s_delay_alu instid0(SALU_CYCLE_1)
	s_or_b32 exec_lo, exec_lo, s8
	flat_load_b32 v2, v[32:33] offset:3076
	v_mov_b64_e32 v[62:63], 0
	v_mov_b64_e32 v[122:123], 0
	s_mov_b32 s8, exec_lo
	s_wait_loadcnt_dscnt 0x0
	v_and_b32_e32 v0, 0xff, v2
	s_wait_xcnt 0x0
	s_delay_alu instid0(VALU_DEP_1)
	v_cmpx_ne_u16_e32 0, v0
	s_cbranch_execz .LBB226_818
; %bb.811:                              ;   in Loop: Header=BB226_10 Depth=1
	v_mov_b64_e32 v[122:123], 0x80000000
	s_mov_b32 s9, exec_lo
	v_cmpx_ne_u16_e32 0x80, v0
	s_cbranch_execz .LBB226_817
; %bb.812:                              ;   in Loop: Header=BB226_10 Depth=1
	v_mov_b64_e32 v[122:123], 0x7f800001
	v_and_b32_e32 v4, 0x7f, v2
	s_mov_b32 s11, exec_lo
	s_delay_alu instid0(VALU_DEP_1)
	v_cmpx_ne_u32_e32 0x7f, v4
	s_cbranch_execz .LBB226_816
; %bb.813:                              ;   in Loop: Header=BB226_10 Depth=1
	scratch_load_b64 v[122:123], off, s32 offset:192 th:TH_LOAD_LU ; 8-byte Folded Reload
	s_wait_loadcnt 0x0
	v_dual_lshrrev_b32 v3, 3, v4 :: v_dual_bitop2_b32 v122, 7, v2 bitop3:0x40
	s_mov_b32 s16, exec_lo
	s_wait_xcnt 0x0
	v_cmpx_gt_u32_e32 8, v4
; %bb.814:                              ;   in Loop: Header=BB226_10 Depth=1
	s_delay_alu instid0(VALU_DEP_2) | instskip(NEXT) | instid1(VALU_DEP_1)
	v_clz_i32_u32_e32 v3, v122
	v_min_u32_e32 v3, 32, v3
	s_delay_alu instid0(VALU_DEP_1) | instskip(NEXT) | instid1(VALU_DEP_1)
	v_subrev_nc_u32_e32 v4, 28, v3
	v_lshlrev_b64_e32 v[4:5], v4, v[122:123]
	s_delay_alu instid0(VALU_DEP_1)
	v_dual_sub_nc_u32 v3, 29, v3 :: v_dual_bitop2_b32 v122, 7, v4 bitop3:0x40
; %bb.815:                              ;   in Loop: Header=BB226_10 Depth=1
	s_or_b32 exec_lo, exec_lo, s16
	v_dual_mov_b32 v1, v123 :: v_dual_lshlrev_b32 v4, 24, v2
	s_delay_alu instid0(VALU_DEP_2) | instskip(NEXT) | instid1(VALU_DEP_3)
	v_lshlrev_b32_e32 v0, 20, v122
	v_lshl_add_u32 v3, v3, 23, 0x3c000000
	s_delay_alu instid0(VALU_DEP_3)
	v_and_b32_e32 v4, 0x80000000, v4
	scratch_store_b64 off, v[0:1], s32 offset:192 ; 8-byte Folded Spill
	v_or3_b32 v122, v0, v4, v3
.LBB226_816:                            ;   in Loop: Header=BB226_10 Depth=1
	s_wait_xcnt 0x0
	s_or_b32 exec_lo, exec_lo, s11
.LBB226_817:                            ;   in Loop: Header=BB226_10 Depth=1
	s_delay_alu instid0(SALU_CYCLE_1)
	s_or_b32 exec_lo, exec_lo, s9
.LBB226_818:                            ;   in Loop: Header=BB226_10 Depth=1
	s_delay_alu instid0(SALU_CYCLE_1) | instskip(SKIP_2) | instid1(VALU_DEP_1)
	s_or_b32 exec_lo, exec_lo, s8
	v_lshrrev_b16 v0, 8, v2
	s_mov_b32 s8, exec_lo
	v_cmpx_ne_u16_e32 0, v0
	s_cbranch_execz .LBB226_826
; %bb.819:                              ;   in Loop: Header=BB226_10 Depth=1
	v_mov_b64_e32 v[62:63], 0x8000000000000000
	s_mov_b32 s9, exec_lo
	v_cmpx_ne_u16_e32 0x80, v0
	s_cbranch_execz .LBB226_825
; %bb.820:                              ;   in Loop: Header=BB226_10 Depth=1
	v_and_b32_e32 v0, 0xffff, v0
	v_mov_b64_e32 v[62:63], 0x7f80000100000000
	s_mov_b32 s11, exec_lo
	s_delay_alu instid0(VALU_DEP_2) | instskip(NEXT) | instid1(VALU_DEP_1)
	v_and_b32_e32 v4, 0x7f, v0
	v_cmpx_ne_u32_e32 0x7f, v4
	s_cbranch_execz .LBB226_824
; %bb.821:                              ;   in Loop: Header=BB226_10 Depth=1
	scratch_load_b64 v[6:7], off, s32 offset:192 th:TH_LOAD_LU ; 8-byte Folded Reload
	v_lshrrev_b32_e32 v3, 3, v4
	s_mov_b32 s16, exec_lo
	s_wait_loadcnt 0x0
	v_dual_mov_b32 v1, v7 :: v_dual_bitop2_b32 v0, 7, v0 bitop3:0x40
	s_wait_xcnt 0x0
	v_cmpx_gt_u32_e32 8, v4
; %bb.822:                              ;   in Loop: Header=BB226_10 Depth=1
	s_delay_alu instid0(VALU_DEP_2) | instskip(NEXT) | instid1(VALU_DEP_1)
	v_clz_i32_u32_e32 v3, v0
	v_min_u32_e32 v3, 32, v3
	s_delay_alu instid0(VALU_DEP_1) | instskip(NEXT) | instid1(VALU_DEP_1)
	v_subrev_nc_u32_e32 v4, 28, v3
	v_lshlrev_b64_e32 v[4:5], v4, v[0:1]
	s_delay_alu instid0(VALU_DEP_1)
	v_dual_sub_nc_u32 v3, 29, v3 :: v_dual_bitop2_b32 v0, 7, v4 bitop3:0x40
; %bb.823:                              ;   in Loop: Header=BB226_10 Depth=1
	s_or_b32 exec_lo, exec_lo, s16
	s_delay_alu instid0(VALU_DEP_1) | instskip(NEXT) | instid1(VALU_DEP_2)
	v_dual_lshlrev_b32 v4, 16, v2 :: v_dual_lshlrev_b32 v0, 20, v0
	v_lshl_add_u32 v3, v3, 23, 0x3c000000
	v_mov_b32_e32 v62, v1
	s_delay_alu instid0(VALU_DEP_3) | instskip(NEXT) | instid1(VALU_DEP_1)
	v_and_b32_e32 v4, 0x80000000, v4
	v_or3_b32 v63, v0, v4, v3
	v_mov_b32_e32 v3, v1
	scratch_store_b64 off, v[2:3], s32 offset:192 ; 8-byte Folded Spill
.LBB226_824:                            ;   in Loop: Header=BB226_10 Depth=1
	s_wait_xcnt 0x0
	s_or_b32 exec_lo, exec_lo, s11
.LBB226_825:                            ;   in Loop: Header=BB226_10 Depth=1
	s_delay_alu instid0(SALU_CYCLE_1)
	s_or_b32 exec_lo, exec_lo, s9
.LBB226_826:                            ;   in Loop: Header=BB226_10 Depth=1
	s_delay_alu instid0(SALU_CYCLE_1) | instskip(SKIP_4) | instid1(VALU_DEP_3)
	s_or_b32 exec_lo, exec_lo, s8
	v_lshrrev_b32_e32 v3, 16, v2
	v_mov_b64_e32 v[92:93], 0
	v_mov_b64_e32 v[78:79], 0
	s_mov_b32 s8, exec_lo
	v_and_b32_e32 v0, 0xff, v3
	s_delay_alu instid0(VALU_DEP_1)
	v_cmpx_ne_u16_e32 0, v0
	s_cbranch_execz .LBB226_834
; %bb.827:                              ;   in Loop: Header=BB226_10 Depth=1
	v_mov_b64_e32 v[78:79], 0x80000000
	s_mov_b32 s9, exec_lo
	v_cmpx_ne_u16_e32 0x80, v0
	s_cbranch_execz .LBB226_833
; %bb.828:                              ;   in Loop: Header=BB226_10 Depth=1
	v_mov_b64_e32 v[78:79], 0x7f800001
	v_bfe_u32 v5, v2, 16, 7
	s_mov_b32 s11, exec_lo
	s_delay_alu instid0(VALU_DEP_1)
	v_cmpx_ne_u32_e32 0x7f, v5
	s_cbranch_execz .LBB226_832
; %bb.829:                              ;   in Loop: Header=BB226_10 Depth=1
	scratch_load_b64 v[78:79], off, s32 offset:192 th:TH_LOAD_LU ; 8-byte Folded Reload
	s_wait_loadcnt 0x0
	v_dual_lshrrev_b32 v4, 3, v5 :: v_dual_bitop2_b32 v78, 7, v3 bitop3:0x40
	s_mov_b32 s16, exec_lo
	s_wait_xcnt 0x0
	v_cmpx_gt_u32_e32 8, v5
; %bb.830:                              ;   in Loop: Header=BB226_10 Depth=1
	s_delay_alu instid0(VALU_DEP_2) | instskip(NEXT) | instid1(VALU_DEP_1)
	v_clz_i32_u32_e32 v4, v78
	v_min_u32_e32 v4, 32, v4
	s_delay_alu instid0(VALU_DEP_1) | instskip(SKIP_1) | instid1(VALU_DEP_2)
	v_subrev_nc_u32_e32 v5, 28, v4
	v_sub_nc_u32_e32 v4, 29, v4
	v_lshlrev_b64_e32 v[8:9], v5, v[78:79]
	s_delay_alu instid0(VALU_DEP_1)
	v_and_b32_e32 v78, 7, v8
; %bb.831:                              ;   in Loop: Header=BB226_10 Depth=1
	s_or_b32 exec_lo, exec_lo, s16
	s_delay_alu instid0(VALU_DEP_1) | instskip(SKIP_2) | instid1(VALU_DEP_3)
	v_dual_lshlrev_b32 v3, 24, v3 :: v_dual_lshlrev_b32 v0, 20, v78
	v_lshl_add_u32 v4, v4, 23, 0x3c000000
	v_mov_b32_e32 v1, v79
	v_and_b32_e32 v3, 0x80000000, v3
	scratch_store_b64 off, v[0:1], s32 offset:192 ; 8-byte Folded Spill
	v_or3_b32 v78, v0, v3, v4
.LBB226_832:                            ;   in Loop: Header=BB226_10 Depth=1
	s_wait_xcnt 0x0
	s_or_b32 exec_lo, exec_lo, s11
.LBB226_833:                            ;   in Loop: Header=BB226_10 Depth=1
	s_delay_alu instid0(SALU_CYCLE_1)
	s_or_b32 exec_lo, exec_lo, s9
.LBB226_834:                            ;   in Loop: Header=BB226_10 Depth=1
	s_delay_alu instid0(SALU_CYCLE_1) | instskip(NEXT) | instid1(SALU_CYCLE_1)
	s_or_b32 exec_lo, exec_lo, s8
	s_mov_b32 s8, exec_lo
	v_cmpx_lt_u32_e32 0xffffff, v2
	s_cbranch_execz .LBB226_842
; %bb.835:                              ;   in Loop: Header=BB226_10 Depth=1
	v_mov_b64_e32 v[92:93], 0x8000000000000000
	v_lshrrev_b32_e32 v3, 24, v2
	s_mov_b32 s9, exec_lo
	s_delay_alu instid0(VALU_DEP_1)
	v_cmpx_ne_u32_e32 0x80, v3
	s_cbranch_execz .LBB226_841
; %bb.836:                              ;   in Loop: Header=BB226_10 Depth=1
	v_mov_b64_e32 v[92:93], 0x7f80000100000000
	v_bfe_u32 v4, v2, 24, 7
	s_mov_b32 s11, exec_lo
	s_delay_alu instid0(VALU_DEP_1)
	v_cmpx_ne_u32_e32 0x7f, v4
	s_cbranch_execz .LBB226_840
; %bb.837:                              ;   in Loop: Header=BB226_10 Depth=1
	scratch_load_b64 v[0:1], off, s32 offset:192 th:TH_LOAD_LU ; 8-byte Folded Reload
	s_wait_loadcnt 0x0
	v_dual_lshrrev_b32 v2, 3, v4 :: v_dual_bitop2_b32 v0, 7, v3 bitop3:0x40
	s_mov_b32 s16, exec_lo
	s_wait_xcnt 0x0
	v_cmpx_gt_u32_e32 8, v4
; %bb.838:                              ;   in Loop: Header=BB226_10 Depth=1
	s_delay_alu instid0(VALU_DEP_2) | instskip(NEXT) | instid1(VALU_DEP_1)
	v_clz_i32_u32_e32 v2, v0
	v_min_u32_e32 v2, 32, v2
	s_delay_alu instid0(VALU_DEP_1) | instskip(NEXT) | instid1(VALU_DEP_1)
	v_subrev_nc_u32_e32 v4, 28, v2
	v_lshlrev_b64_e32 v[4:5], v4, v[0:1]
	s_delay_alu instid0(VALU_DEP_1)
	v_dual_sub_nc_u32 v2, 29, v2 :: v_dual_bitop2_b32 v0, 7, v4 bitop3:0x40
; %bb.839:                              ;   in Loop: Header=BB226_10 Depth=1
	s_or_b32 exec_lo, exec_lo, s16
	s_delay_alu instid0(VALU_DEP_1) | instskip(NEXT) | instid1(VALU_DEP_2)
	v_dual_lshlrev_b32 v3, 24, v3 :: v_dual_lshlrev_b32 v0, 20, v0
	v_lshl_add_u32 v2, v2, 23, 0x3c000000
	v_mov_b32_e32 v92, v1
	s_delay_alu instid0(VALU_DEP_3) | instskip(NEXT) | instid1(VALU_DEP_1)
	v_and_b32_e32 v3, 0x80000000, v3
	v_or3_b32 v93, v0, v3, v2
	v_mov_b32_e32 v3, v1
	scratch_store_b64 off, v[2:3], s32 offset:192 ; 8-byte Folded Spill
.LBB226_840:                            ;   in Loop: Header=BB226_10 Depth=1
	s_wait_xcnt 0x0
	s_or_b32 exec_lo, exec_lo, s11
.LBB226_841:                            ;   in Loop: Header=BB226_10 Depth=1
	s_delay_alu instid0(SALU_CYCLE_1)
	s_or_b32 exec_lo, exec_lo, s9
.LBB226_842:                            ;   in Loop: Header=BB226_10 Depth=1
	s_delay_alu instid0(SALU_CYCLE_1)
	s_or_b32 exec_lo, exec_lo, s8
	flat_load_b32 v2, v[32:33] offset:3080
	v_mov_b64_e32 v[104:105], 0
	v_mov_b64_e32 v[120:121], 0
	s_mov_b32 s8, exec_lo
	s_wait_loadcnt_dscnt 0x0
	v_and_b32_e32 v0, 0xff, v2
	s_wait_xcnt 0x0
	s_delay_alu instid0(VALU_DEP_1)
	v_cmpx_ne_u16_e32 0, v0
	s_cbranch_execz .LBB226_850
; %bb.843:                              ;   in Loop: Header=BB226_10 Depth=1
	v_mov_b64_e32 v[120:121], 0x80000000
	s_mov_b32 s9, exec_lo
	v_cmpx_ne_u16_e32 0x80, v0
	s_cbranch_execz .LBB226_849
; %bb.844:                              ;   in Loop: Header=BB226_10 Depth=1
	v_mov_b64_e32 v[120:121], 0x7f800001
	v_and_b32_e32 v4, 0x7f, v2
	s_mov_b32 s11, exec_lo
	s_delay_alu instid0(VALU_DEP_1)
	v_cmpx_ne_u32_e32 0x7f, v4
	s_cbranch_execz .LBB226_848
; %bb.845:                              ;   in Loop: Header=BB226_10 Depth=1
	scratch_load_b64 v[120:121], off, s32 offset:192 th:TH_LOAD_LU ; 8-byte Folded Reload
	s_wait_loadcnt 0x0
	v_dual_lshrrev_b32 v3, 3, v4 :: v_dual_bitop2_b32 v120, 7, v2 bitop3:0x40
	s_mov_b32 s16, exec_lo
	s_wait_xcnt 0x0
	v_cmpx_gt_u32_e32 8, v4
; %bb.846:                              ;   in Loop: Header=BB226_10 Depth=1
	s_delay_alu instid0(VALU_DEP_2) | instskip(NEXT) | instid1(VALU_DEP_1)
	v_clz_i32_u32_e32 v3, v120
	v_min_u32_e32 v3, 32, v3
	s_delay_alu instid0(VALU_DEP_1) | instskip(NEXT) | instid1(VALU_DEP_1)
	v_subrev_nc_u32_e32 v4, 28, v3
	v_lshlrev_b64_e32 v[4:5], v4, v[120:121]
	s_delay_alu instid0(VALU_DEP_1)
	v_dual_sub_nc_u32 v3, 29, v3 :: v_dual_bitop2_b32 v120, 7, v4 bitop3:0x40
; %bb.847:                              ;   in Loop: Header=BB226_10 Depth=1
	s_or_b32 exec_lo, exec_lo, s16
	s_delay_alu instid0(VALU_DEP_1) | instskip(NEXT) | instid1(VALU_DEP_2)
	v_dual_lshlrev_b32 v4, 24, v2 :: v_dual_lshlrev_b32 v0, 20, v120
	v_lshl_add_u32 v3, v3, 23, 0x3c000000
	v_mov_b32_e32 v1, v121
	s_delay_alu instid0(VALU_DEP_3)
	v_and_b32_e32 v4, 0x80000000, v4
	scratch_store_b64 off, v[0:1], s32 offset:192 ; 8-byte Folded Spill
	v_or3_b32 v120, v0, v4, v3
.LBB226_848:                            ;   in Loop: Header=BB226_10 Depth=1
	s_wait_xcnt 0x0
	s_or_b32 exec_lo, exec_lo, s11
.LBB226_849:                            ;   in Loop: Header=BB226_10 Depth=1
	s_delay_alu instid0(SALU_CYCLE_1)
	s_or_b32 exec_lo, exec_lo, s9
.LBB226_850:                            ;   in Loop: Header=BB226_10 Depth=1
	s_delay_alu instid0(SALU_CYCLE_1) | instskip(SKIP_2) | instid1(VALU_DEP_1)
	s_or_b32 exec_lo, exec_lo, s8
	v_lshrrev_b16 v0, 8, v2
	s_mov_b32 s8, exec_lo
	v_cmpx_ne_u16_e32 0, v0
	s_cbranch_execz .LBB226_858
; %bb.851:                              ;   in Loop: Header=BB226_10 Depth=1
	v_mov_b64_e32 v[104:105], 0x8000000000000000
	s_mov_b32 s9, exec_lo
	v_cmpx_ne_u16_e32 0x80, v0
	s_cbranch_execz .LBB226_857
; %bb.852:                              ;   in Loop: Header=BB226_10 Depth=1
	v_and_b32_e32 v0, 0xffff, v0
	v_mov_b64_e32 v[104:105], 0x7f80000100000000
	s_mov_b32 s11, exec_lo
	s_delay_alu instid0(VALU_DEP_2) | instskip(NEXT) | instid1(VALU_DEP_1)
	v_and_b32_e32 v4, 0x7f, v0
	v_cmpx_ne_u32_e32 0x7f, v4
	s_cbranch_execz .LBB226_856
; %bb.853:                              ;   in Loop: Header=BB226_10 Depth=1
	scratch_load_b64 v[6:7], off, s32 offset:192 th:TH_LOAD_LU ; 8-byte Folded Reload
	v_lshrrev_b32_e32 v3, 3, v4
	s_mov_b32 s16, exec_lo
	s_wait_loadcnt 0x0
	v_dual_mov_b32 v1, v7 :: v_dual_bitop2_b32 v0, 7, v0 bitop3:0x40
	s_wait_xcnt 0x0
	v_cmpx_gt_u32_e32 8, v4
; %bb.854:                              ;   in Loop: Header=BB226_10 Depth=1
	s_delay_alu instid0(VALU_DEP_2) | instskip(NEXT) | instid1(VALU_DEP_1)
	v_clz_i32_u32_e32 v3, v0
	v_min_u32_e32 v3, 32, v3
	s_delay_alu instid0(VALU_DEP_1) | instskip(NEXT) | instid1(VALU_DEP_1)
	v_subrev_nc_u32_e32 v4, 28, v3
	v_lshlrev_b64_e32 v[4:5], v4, v[0:1]
	s_delay_alu instid0(VALU_DEP_1)
	v_dual_sub_nc_u32 v3, 29, v3 :: v_dual_bitop2_b32 v0, 7, v4 bitop3:0x40
; %bb.855:                              ;   in Loop: Header=BB226_10 Depth=1
	s_or_b32 exec_lo, exec_lo, s16
	s_delay_alu instid0(VALU_DEP_1) | instskip(NEXT) | instid1(VALU_DEP_2)
	v_dual_lshlrev_b32 v4, 16, v2 :: v_dual_lshlrev_b32 v0, 20, v0
	v_lshl_add_u32 v3, v3, 23, 0x3c000000
	v_mov_b32_e32 v104, v1
	s_delay_alu instid0(VALU_DEP_3) | instskip(NEXT) | instid1(VALU_DEP_1)
	v_and_b32_e32 v4, 0x80000000, v4
	v_or3_b32 v105, v0, v4, v3
	v_mov_b32_e32 v3, v1
	scratch_store_b64 off, v[2:3], s32 offset:192 ; 8-byte Folded Spill
.LBB226_856:                            ;   in Loop: Header=BB226_10 Depth=1
	s_wait_xcnt 0x0
	s_or_b32 exec_lo, exec_lo, s11
.LBB226_857:                            ;   in Loop: Header=BB226_10 Depth=1
	s_delay_alu instid0(SALU_CYCLE_1)
	s_or_b32 exec_lo, exec_lo, s9
.LBB226_858:                            ;   in Loop: Header=BB226_10 Depth=1
	s_delay_alu instid0(SALU_CYCLE_1) | instskip(SKIP_4) | instid1(VALU_DEP_3)
	s_or_b32 exec_lo, exec_lo, s8
	v_lshrrev_b32_e32 v3, 16, v2
	v_mov_b64_e32 v[108:109], 0
	v_mov_b64_e32 v[94:95], 0
	s_mov_b32 s8, exec_lo
	v_and_b32_e32 v0, 0xff, v3
	s_delay_alu instid0(VALU_DEP_1)
	v_cmpx_ne_u16_e32 0, v0
	s_cbranch_execz .LBB226_866
; %bb.859:                              ;   in Loop: Header=BB226_10 Depth=1
	v_mov_b64_e32 v[94:95], 0x80000000
	s_mov_b32 s9, exec_lo
	v_cmpx_ne_u16_e32 0x80, v0
	s_cbranch_execz .LBB226_865
; %bb.860:                              ;   in Loop: Header=BB226_10 Depth=1
	v_mov_b64_e32 v[94:95], 0x7f800001
	v_bfe_u32 v5, v2, 16, 7
	s_mov_b32 s11, exec_lo
	s_delay_alu instid0(VALU_DEP_1)
	v_cmpx_ne_u32_e32 0x7f, v5
	s_cbranch_execz .LBB226_864
; %bb.861:                              ;   in Loop: Header=BB226_10 Depth=1
	scratch_load_b64 v[94:95], off, s32 offset:192 th:TH_LOAD_LU ; 8-byte Folded Reload
	s_wait_loadcnt 0x0
	v_dual_lshrrev_b32 v4, 3, v5 :: v_dual_bitop2_b32 v94, 7, v3 bitop3:0x40
	s_mov_b32 s16, exec_lo
	s_wait_xcnt 0x0
	v_cmpx_gt_u32_e32 8, v5
; %bb.862:                              ;   in Loop: Header=BB226_10 Depth=1
	s_delay_alu instid0(VALU_DEP_2) | instskip(NEXT) | instid1(VALU_DEP_1)
	v_clz_i32_u32_e32 v4, v94
	v_min_u32_e32 v4, 32, v4
	s_delay_alu instid0(VALU_DEP_1) | instskip(SKIP_1) | instid1(VALU_DEP_2)
	v_subrev_nc_u32_e32 v5, 28, v4
	v_sub_nc_u32_e32 v4, 29, v4
	v_lshlrev_b64_e32 v[8:9], v5, v[94:95]
	s_delay_alu instid0(VALU_DEP_1)
	v_and_b32_e32 v94, 7, v8
; %bb.863:                              ;   in Loop: Header=BB226_10 Depth=1
	s_or_b32 exec_lo, exec_lo, s16
	s_delay_alu instid0(VALU_DEP_1) | instskip(SKIP_2) | instid1(VALU_DEP_3)
	v_dual_lshlrev_b32 v3, 24, v3 :: v_dual_lshlrev_b32 v0, 20, v94
	v_lshl_add_u32 v4, v4, 23, 0x3c000000
	v_mov_b32_e32 v1, v95
	v_and_b32_e32 v3, 0x80000000, v3
	scratch_store_b64 off, v[0:1], s32 offset:192 ; 8-byte Folded Spill
	v_or3_b32 v94, v0, v3, v4
.LBB226_864:                            ;   in Loop: Header=BB226_10 Depth=1
	s_wait_xcnt 0x0
	s_or_b32 exec_lo, exec_lo, s11
.LBB226_865:                            ;   in Loop: Header=BB226_10 Depth=1
	s_delay_alu instid0(SALU_CYCLE_1)
	s_or_b32 exec_lo, exec_lo, s9
.LBB226_866:                            ;   in Loop: Header=BB226_10 Depth=1
	s_delay_alu instid0(SALU_CYCLE_1) | instskip(NEXT) | instid1(SALU_CYCLE_1)
	s_or_b32 exec_lo, exec_lo, s8
	s_mov_b32 s8, exec_lo
	v_cmpx_lt_u32_e32 0xffffff, v2
	s_cbranch_execz .LBB226_874
; %bb.867:                              ;   in Loop: Header=BB226_10 Depth=1
	v_mov_b64_e32 v[108:109], 0x8000000000000000
	v_lshrrev_b32_e32 v3, 24, v2
	s_mov_b32 s9, exec_lo
	s_delay_alu instid0(VALU_DEP_1)
	v_cmpx_ne_u32_e32 0x80, v3
	s_cbranch_execz .LBB226_873
; %bb.868:                              ;   in Loop: Header=BB226_10 Depth=1
	v_mov_b64_e32 v[108:109], 0x7f80000100000000
	v_bfe_u32 v4, v2, 24, 7
	s_mov_b32 s11, exec_lo
	s_delay_alu instid0(VALU_DEP_1)
	v_cmpx_ne_u32_e32 0x7f, v4
	s_cbranch_execz .LBB226_872
; %bb.869:                              ;   in Loop: Header=BB226_10 Depth=1
	scratch_load_b64 v[0:1], off, s32 offset:192 th:TH_LOAD_LU ; 8-byte Folded Reload
	s_wait_loadcnt 0x0
	v_dual_lshrrev_b32 v2, 3, v4 :: v_dual_bitop2_b32 v0, 7, v3 bitop3:0x40
	s_mov_b32 s16, exec_lo
	s_wait_xcnt 0x0
	v_cmpx_gt_u32_e32 8, v4
; %bb.870:                              ;   in Loop: Header=BB226_10 Depth=1
	s_delay_alu instid0(VALU_DEP_2) | instskip(NEXT) | instid1(VALU_DEP_1)
	v_clz_i32_u32_e32 v2, v0
	v_min_u32_e32 v2, 32, v2
	s_delay_alu instid0(VALU_DEP_1) | instskip(NEXT) | instid1(VALU_DEP_1)
	v_subrev_nc_u32_e32 v4, 28, v2
	v_lshlrev_b64_e32 v[4:5], v4, v[0:1]
	s_delay_alu instid0(VALU_DEP_1)
	v_dual_sub_nc_u32 v2, 29, v2 :: v_dual_bitop2_b32 v0, 7, v4 bitop3:0x40
; %bb.871:                              ;   in Loop: Header=BB226_10 Depth=1
	s_or_b32 exec_lo, exec_lo, s16
	s_delay_alu instid0(VALU_DEP_1) | instskip(NEXT) | instid1(VALU_DEP_2)
	v_dual_lshlrev_b32 v3, 24, v3 :: v_dual_lshlrev_b32 v0, 20, v0
	v_lshl_add_u32 v2, v2, 23, 0x3c000000
	v_mov_b32_e32 v108, v1
	s_delay_alu instid0(VALU_DEP_3) | instskip(NEXT) | instid1(VALU_DEP_1)
	v_and_b32_e32 v3, 0x80000000, v3
	v_or3_b32 v109, v0, v3, v2
	v_mov_b32_e32 v3, v1
	scratch_store_b64 off, v[2:3], s32 offset:192 ; 8-byte Folded Spill
.LBB226_872:                            ;   in Loop: Header=BB226_10 Depth=1
	s_wait_xcnt 0x0
	s_or_b32 exec_lo, exec_lo, s11
.LBB226_873:                            ;   in Loop: Header=BB226_10 Depth=1
	s_delay_alu instid0(SALU_CYCLE_1)
	s_or_b32 exec_lo, exec_lo, s9
.LBB226_874:                            ;   in Loop: Header=BB226_10 Depth=1
	s_delay_alu instid0(SALU_CYCLE_1)
	s_or_b32 exec_lo, exec_lo, s8
	flat_load_b32 v2, v[32:33] offset:3084
	v_mov_b64_e32 v[74:75], 0
	v_mov_b64_e32 v[6:7], 0
	s_mov_b32 s8, exec_lo
	s_wait_loadcnt_dscnt 0x0
	v_and_b32_e32 v0, 0xff, v2
	s_wait_xcnt 0x0
	s_delay_alu instid0(VALU_DEP_1)
	v_cmpx_ne_u16_e32 0, v0
	s_cbranch_execz .LBB226_882
; %bb.875:                              ;   in Loop: Header=BB226_10 Depth=1
	v_mov_b64_e32 v[6:7], 0x80000000
	s_mov_b32 s9, exec_lo
	v_cmpx_ne_u16_e32 0x80, v0
	s_cbranch_execz .LBB226_881
; %bb.876:                              ;   in Loop: Header=BB226_10 Depth=1
	v_mov_b64_e32 v[6:7], 0x7f800001
	v_and_b32_e32 v4, 0x7f, v2
	s_mov_b32 s11, exec_lo
	s_delay_alu instid0(VALU_DEP_1)
	v_cmpx_ne_u32_e32 0x7f, v4
	s_cbranch_execz .LBB226_880
; %bb.877:                              ;   in Loop: Header=BB226_10 Depth=1
	scratch_load_b64 v[6:7], off, s32 offset:192 th:TH_LOAD_LU ; 8-byte Folded Reload
	s_wait_loadcnt 0x0
	v_dual_lshrrev_b32 v3, 3, v4 :: v_dual_bitop2_b32 v6, 7, v2 bitop3:0x40
	s_mov_b32 s16, exec_lo
	s_wait_xcnt 0x0
	v_cmpx_gt_u32_e32 8, v4
; %bb.878:                              ;   in Loop: Header=BB226_10 Depth=1
	s_delay_alu instid0(VALU_DEP_2) | instskip(NEXT) | instid1(VALU_DEP_1)
	v_clz_i32_u32_e32 v3, v6
	v_min_u32_e32 v3, 32, v3
	s_delay_alu instid0(VALU_DEP_1) | instskip(NEXT) | instid1(VALU_DEP_1)
	v_subrev_nc_u32_e32 v4, 28, v3
	v_lshlrev_b64_e32 v[4:5], v4, v[6:7]
	s_delay_alu instid0(VALU_DEP_1)
	v_dual_sub_nc_u32 v3, 29, v3 :: v_dual_bitop2_b32 v6, 7, v4 bitop3:0x40
; %bb.879:                              ;   in Loop: Header=BB226_10 Depth=1
	s_or_b32 exec_lo, exec_lo, s16
	v_dual_mov_b32 v1, v7 :: v_dual_lshlrev_b32 v4, 24, v2
	s_delay_alu instid0(VALU_DEP_2) | instskip(NEXT) | instid1(VALU_DEP_3)
	v_lshlrev_b32_e32 v0, 20, v6
	v_lshl_add_u32 v3, v3, 23, 0x3c000000
	s_delay_alu instid0(VALU_DEP_3)
	v_and_b32_e32 v4, 0x80000000, v4
	scratch_store_b64 off, v[0:1], s32 offset:192 ; 8-byte Folded Spill
	v_or3_b32 v6, v0, v4, v3
.LBB226_880:                            ;   in Loop: Header=BB226_10 Depth=1
	s_wait_xcnt 0x0
	s_or_b32 exec_lo, exec_lo, s11
.LBB226_881:                            ;   in Loop: Header=BB226_10 Depth=1
	s_delay_alu instid0(SALU_CYCLE_1)
	s_or_b32 exec_lo, exec_lo, s9
.LBB226_882:                            ;   in Loop: Header=BB226_10 Depth=1
	s_delay_alu instid0(SALU_CYCLE_1) | instskip(SKIP_2) | instid1(VALU_DEP_1)
	s_or_b32 exec_lo, exec_lo, s8
	v_lshrrev_b16 v0, 8, v2
	s_mov_b32 s8, exec_lo
	v_cmpx_ne_u16_e32 0, v0
	s_cbranch_execz .LBB226_890
; %bb.883:                              ;   in Loop: Header=BB226_10 Depth=1
	v_mov_b64_e32 v[74:75], 0x8000000000000000
	s_mov_b32 s9, exec_lo
	v_cmpx_ne_u16_e32 0x80, v0
	s_cbranch_execz .LBB226_889
; %bb.884:                              ;   in Loop: Header=BB226_10 Depth=1
	v_and_b32_e32 v0, 0xffff, v0
	v_mov_b64_e32 v[74:75], 0x7f80000100000000
	s_mov_b32 s11, exec_lo
	s_delay_alu instid0(VALU_DEP_2) | instskip(NEXT) | instid1(VALU_DEP_1)
	v_and_b32_e32 v4, 0x7f, v0
	v_cmpx_ne_u32_e32 0x7f, v4
	s_cbranch_execz .LBB226_888
; %bb.885:                              ;   in Loop: Header=BB226_10 Depth=1
	scratch_load_b64 v[8:9], off, s32 offset:192 th:TH_LOAD_LU ; 8-byte Folded Reload
	v_lshrrev_b32_e32 v3, 3, v4
	s_mov_b32 s16, exec_lo
	s_wait_loadcnt 0x0
	v_dual_mov_b32 v1, v9 :: v_dual_bitop2_b32 v0, 7, v0 bitop3:0x40
	s_wait_xcnt 0x0
	v_cmpx_gt_u32_e32 8, v4
; %bb.886:                              ;   in Loop: Header=BB226_10 Depth=1
	s_delay_alu instid0(VALU_DEP_2) | instskip(NEXT) | instid1(VALU_DEP_1)
	v_clz_i32_u32_e32 v3, v0
	v_min_u32_e32 v3, 32, v3
	s_delay_alu instid0(VALU_DEP_1) | instskip(NEXT) | instid1(VALU_DEP_1)
	v_subrev_nc_u32_e32 v4, 28, v3
	v_lshlrev_b64_e32 v[4:5], v4, v[0:1]
	s_delay_alu instid0(VALU_DEP_1)
	v_dual_sub_nc_u32 v3, 29, v3 :: v_dual_bitop2_b32 v0, 7, v4 bitop3:0x40
; %bb.887:                              ;   in Loop: Header=BB226_10 Depth=1
	s_or_b32 exec_lo, exec_lo, s16
	s_delay_alu instid0(VALU_DEP_1) | instskip(NEXT) | instid1(VALU_DEP_2)
	v_dual_lshlrev_b32 v4, 16, v2 :: v_dual_lshlrev_b32 v0, 20, v0
	v_lshl_add_u32 v3, v3, 23, 0x3c000000
	v_mov_b32_e32 v74, v1
	s_delay_alu instid0(VALU_DEP_3) | instskip(NEXT) | instid1(VALU_DEP_1)
	v_and_b32_e32 v4, 0x80000000, v4
	v_or3_b32 v75, v0, v4, v3
	v_mov_b32_e32 v3, v1
	scratch_store_b64 off, v[2:3], s32 offset:192 ; 8-byte Folded Spill
.LBB226_888:                            ;   in Loop: Header=BB226_10 Depth=1
	s_wait_xcnt 0x0
	s_or_b32 exec_lo, exec_lo, s11
.LBB226_889:                            ;   in Loop: Header=BB226_10 Depth=1
	s_delay_alu instid0(SALU_CYCLE_1)
	s_or_b32 exec_lo, exec_lo, s9
.LBB226_890:                            ;   in Loop: Header=BB226_10 Depth=1
	s_delay_alu instid0(SALU_CYCLE_1) | instskip(SKIP_4) | instid1(VALU_DEP_3)
	s_or_b32 exec_lo, exec_lo, s8
	v_lshrrev_b32_e32 v3, 16, v2
	v_mov_b64_e32 v[106:107], 0
	v_mov_b64_e32 v[124:125], 0
	s_mov_b32 s8, exec_lo
	v_and_b32_e32 v0, 0xff, v3
	s_delay_alu instid0(VALU_DEP_1)
	v_cmpx_ne_u16_e32 0, v0
	s_cbranch_execz .LBB226_898
; %bb.891:                              ;   in Loop: Header=BB226_10 Depth=1
	v_mov_b64_e32 v[124:125], 0x80000000
	s_mov_b32 s9, exec_lo
	v_cmpx_ne_u16_e32 0x80, v0
	s_cbranch_execz .LBB226_897
; %bb.892:                              ;   in Loop: Header=BB226_10 Depth=1
	v_mov_b64_e32 v[124:125], 0x7f800001
	v_bfe_u32 v5, v2, 16, 7
	s_mov_b32 s11, exec_lo
	s_delay_alu instid0(VALU_DEP_1)
	v_cmpx_ne_u32_e32 0x7f, v5
	s_cbranch_execz .LBB226_896
; %bb.893:                              ;   in Loop: Header=BB226_10 Depth=1
	scratch_load_b64 v[124:125], off, s32 offset:192 th:TH_LOAD_LU ; 8-byte Folded Reload
	s_wait_loadcnt 0x0
	v_dual_lshrrev_b32 v4, 3, v5 :: v_dual_bitop2_b32 v124, 7, v3 bitop3:0x40
	s_mov_b32 s16, exec_lo
	s_wait_xcnt 0x0
	v_cmpx_gt_u32_e32 8, v5
; %bb.894:                              ;   in Loop: Header=BB226_10 Depth=1
	s_delay_alu instid0(VALU_DEP_2) | instskip(NEXT) | instid1(VALU_DEP_1)
	v_clz_i32_u32_e32 v4, v124
	v_min_u32_e32 v4, 32, v4
	s_delay_alu instid0(VALU_DEP_1) | instskip(SKIP_1) | instid1(VALU_DEP_2)
	v_subrev_nc_u32_e32 v5, 28, v4
	v_sub_nc_u32_e32 v4, 29, v4
	v_lshlrev_b64_e32 v[8:9], v5, v[124:125]
	s_delay_alu instid0(VALU_DEP_1)
	v_and_b32_e32 v124, 7, v8
; %bb.895:                              ;   in Loop: Header=BB226_10 Depth=1
	s_or_b32 exec_lo, exec_lo, s16
	s_delay_alu instid0(VALU_DEP_1) | instskip(SKIP_2) | instid1(VALU_DEP_3)
	v_dual_lshlrev_b32 v3, 24, v3 :: v_dual_lshlrev_b32 v0, 20, v124
	v_lshl_add_u32 v4, v4, 23, 0x3c000000
	v_mov_b32_e32 v1, v125
	v_and_b32_e32 v3, 0x80000000, v3
	scratch_store_b64 off, v[0:1], s32 offset:192 ; 8-byte Folded Spill
	v_or3_b32 v124, v0, v3, v4
.LBB226_896:                            ;   in Loop: Header=BB226_10 Depth=1
	s_wait_xcnt 0x0
	s_or_b32 exec_lo, exec_lo, s11
.LBB226_897:                            ;   in Loop: Header=BB226_10 Depth=1
	s_delay_alu instid0(SALU_CYCLE_1)
	s_or_b32 exec_lo, exec_lo, s9
.LBB226_898:                            ;   in Loop: Header=BB226_10 Depth=1
	s_delay_alu instid0(SALU_CYCLE_1) | instskip(NEXT) | instid1(SALU_CYCLE_1)
	s_or_b32 exec_lo, exec_lo, s8
	s_mov_b32 s8, exec_lo
	v_cmpx_lt_u32_e32 0xffffff, v2
	s_cbranch_execz .LBB226_906
; %bb.899:                              ;   in Loop: Header=BB226_10 Depth=1
	v_mov_b64_e32 v[106:107], 0x8000000000000000
	v_lshrrev_b32_e32 v3, 24, v2
	s_mov_b32 s9, exec_lo
	s_delay_alu instid0(VALU_DEP_1)
	v_cmpx_ne_u32_e32 0x80, v3
	s_cbranch_execz .LBB226_905
; %bb.900:                              ;   in Loop: Header=BB226_10 Depth=1
	v_mov_b64_e32 v[106:107], 0x7f80000100000000
	v_bfe_u32 v4, v2, 24, 7
	s_mov_b32 s11, exec_lo
	s_delay_alu instid0(VALU_DEP_1)
	v_cmpx_ne_u32_e32 0x7f, v4
	s_cbranch_execz .LBB226_904
; %bb.901:                              ;   in Loop: Header=BB226_10 Depth=1
	scratch_load_b64 v[0:1], off, s32 offset:192 th:TH_LOAD_LU ; 8-byte Folded Reload
	s_wait_loadcnt 0x0
	v_dual_lshrrev_b32 v2, 3, v4 :: v_dual_bitop2_b32 v0, 7, v3 bitop3:0x40
	s_mov_b32 s16, exec_lo
	s_wait_xcnt 0x0
	v_cmpx_gt_u32_e32 8, v4
; %bb.902:                              ;   in Loop: Header=BB226_10 Depth=1
	s_delay_alu instid0(VALU_DEP_2) | instskip(NEXT) | instid1(VALU_DEP_1)
	v_clz_i32_u32_e32 v2, v0
	v_min_u32_e32 v2, 32, v2
	s_delay_alu instid0(VALU_DEP_1) | instskip(NEXT) | instid1(VALU_DEP_1)
	v_subrev_nc_u32_e32 v4, 28, v2
	v_lshlrev_b64_e32 v[4:5], v4, v[0:1]
	s_delay_alu instid0(VALU_DEP_1)
	v_dual_sub_nc_u32 v2, 29, v2 :: v_dual_bitop2_b32 v0, 7, v4 bitop3:0x40
; %bb.903:                              ;   in Loop: Header=BB226_10 Depth=1
	s_or_b32 exec_lo, exec_lo, s16
	s_delay_alu instid0(VALU_DEP_1) | instskip(NEXT) | instid1(VALU_DEP_2)
	v_dual_lshlrev_b32 v3, 24, v3 :: v_dual_lshlrev_b32 v0, 20, v0
	v_lshl_add_u32 v2, v2, 23, 0x3c000000
	v_mov_b32_e32 v106, v1
	s_delay_alu instid0(VALU_DEP_3) | instskip(NEXT) | instid1(VALU_DEP_1)
	v_and_b32_e32 v3, 0x80000000, v3
	v_or3_b32 v107, v0, v3, v2
	v_mov_b32_e32 v3, v1
	scratch_store_b64 off, v[2:3], s32 offset:192 ; 8-byte Folded Spill
.LBB226_904:                            ;   in Loop: Header=BB226_10 Depth=1
	s_wait_xcnt 0x0
	s_or_b32 exec_lo, exec_lo, s11
.LBB226_905:                            ;   in Loop: Header=BB226_10 Depth=1
	s_delay_alu instid0(SALU_CYCLE_1)
	s_or_b32 exec_lo, exec_lo, s9
.LBB226_906:                            ;   in Loop: Header=BB226_10 Depth=1
	s_delay_alu instid0(SALU_CYCLE_1)
	s_or_b32 exec_lo, exec_lo, s8
	flat_load_b32 v4, v[32:33] offset:3584
	v_mov_b64_e32 v[10:11], 0
	v_mov_b64_e32 v[22:23], 0
	s_mov_b32 s8, exec_lo
	s_wait_loadcnt_dscnt 0x0
	v_and_b32_e32 v0, 0xff, v4
	s_wait_xcnt 0x0
	s_delay_alu instid0(VALU_DEP_1)
	v_cmpx_ne_u16_e32 0, v0
	s_cbranch_execz .LBB226_914
; %bb.907:                              ;   in Loop: Header=BB226_10 Depth=1
	v_mov_b64_e32 v[22:23], 0x80000000
	s_mov_b32 s9, exec_lo
	v_cmpx_ne_u16_e32 0x80, v0
	s_cbranch_execz .LBB226_913
; %bb.908:                              ;   in Loop: Header=BB226_10 Depth=1
	v_mov_b64_e32 v[22:23], 0x7f800001
	v_and_b32_e32 v5, 0x7f, v4
	s_mov_b32 s11, exec_lo
	s_delay_alu instid0(VALU_DEP_1)
	v_cmpx_ne_u32_e32 0x7f, v5
	s_cbranch_execz .LBB226_912
; %bb.909:                              ;   in Loop: Header=BB226_10 Depth=1
	scratch_load_b64 v[22:23], off, s32 offset:192 th:TH_LOAD_LU ; 8-byte Folded Reload
	s_wait_loadcnt 0x0
	v_dual_lshrrev_b32 v2, 3, v5 :: v_dual_bitop2_b32 v22, 7, v4 bitop3:0x40
	s_mov_b32 s16, exec_lo
	s_wait_xcnt 0x0
	v_cmpx_gt_u32_e32 8, v5
; %bb.910:                              ;   in Loop: Header=BB226_10 Depth=1
	s_delay_alu instid0(VALU_DEP_2) | instskip(NEXT) | instid1(VALU_DEP_1)
	v_clz_i32_u32_e32 v2, v22
	v_min_u32_e32 v2, 32, v2
	s_delay_alu instid0(VALU_DEP_1) | instskip(NEXT) | instid1(VALU_DEP_1)
	v_subrev_nc_u32_e32 v3, 28, v2
	v_lshlrev_b64_e32 v[8:9], v3, v[22:23]
	s_delay_alu instid0(VALU_DEP_1)
	v_dual_sub_nc_u32 v2, 29, v2 :: v_dual_bitop2_b32 v22, 7, v8 bitop3:0x40
; %bb.911:                              ;   in Loop: Header=BB226_10 Depth=1
	s_or_b32 exec_lo, exec_lo, s16
	s_delay_alu instid0(VALU_DEP_1) | instskip(NEXT) | instid1(VALU_DEP_2)
	v_dual_lshlrev_b32 v3, 24, v4 :: v_dual_lshlrev_b32 v0, 20, v22
	v_lshl_add_u32 v2, v2, 23, 0x3c000000
	v_mov_b32_e32 v1, v23
	s_delay_alu instid0(VALU_DEP_3)
	v_and_b32_e32 v3, 0x80000000, v3
	scratch_store_b64 off, v[0:1], s32 offset:192 ; 8-byte Folded Spill
	v_or3_b32 v22, v0, v3, v2
.LBB226_912:                            ;   in Loop: Header=BB226_10 Depth=1
	s_wait_xcnt 0x0
	s_or_b32 exec_lo, exec_lo, s11
.LBB226_913:                            ;   in Loop: Header=BB226_10 Depth=1
	s_delay_alu instid0(SALU_CYCLE_1)
	s_or_b32 exec_lo, exec_lo, s9
.LBB226_914:                            ;   in Loop: Header=BB226_10 Depth=1
	s_delay_alu instid0(SALU_CYCLE_1) | instskip(SKIP_2) | instid1(VALU_DEP_1)
	s_or_b32 exec_lo, exec_lo, s8
	v_lshrrev_b16 v0, 8, v4
	s_mov_b32 s8, exec_lo
	v_cmpx_ne_u16_e32 0, v0
	s_cbranch_execz .LBB226_922
; %bb.915:                              ;   in Loop: Header=BB226_10 Depth=1
	v_mov_b64_e32 v[10:11], 0x8000000000000000
	s_mov_b32 s9, exec_lo
	v_cmpx_ne_u16_e32 0x80, v0
	s_cbranch_execz .LBB226_921
; %bb.916:                              ;   in Loop: Header=BB226_10 Depth=1
	v_and_b32_e32 v0, 0xffff, v0
	v_mov_b64_e32 v[10:11], 0x7f80000100000000
	s_mov_b32 s11, exec_lo
	s_delay_alu instid0(VALU_DEP_2) | instskip(NEXT) | instid1(VALU_DEP_1)
	v_and_b32_e32 v9, 0x7f, v0
	v_cmpx_ne_u32_e32 0x7f, v9
	s_cbranch_execz .LBB226_920
; %bb.917:                              ;   in Loop: Header=BB226_10 Depth=1
	scratch_load_b64 v[2:3], off, s32 offset:192 th:TH_LOAD_LU ; 8-byte Folded Reload
	v_lshrrev_b32_e32 v5, 3, v9
	s_mov_b32 s16, exec_lo
	s_wait_loadcnt 0x0
	v_dual_mov_b32 v1, v3 :: v_dual_bitop2_b32 v0, 7, v0 bitop3:0x40
	s_wait_xcnt 0x0
	v_cmpx_gt_u32_e32 8, v9
; %bb.918:                              ;   in Loop: Header=BB226_10 Depth=1
	s_delay_alu instid0(VALU_DEP_2) | instskip(NEXT) | instid1(VALU_DEP_1)
	v_clz_i32_u32_e32 v5, v0
	v_min_u32_e32 v5, 32, v5
	s_delay_alu instid0(VALU_DEP_1) | instskip(NEXT) | instid1(VALU_DEP_1)
	v_subrev_nc_u32_e32 v8, 28, v5
	v_lshlrev_b64_e32 v[8:9], v8, v[0:1]
	s_delay_alu instid0(VALU_DEP_1)
	v_dual_sub_nc_u32 v5, 29, v5 :: v_dual_bitop2_b32 v0, 7, v8 bitop3:0x40
; %bb.919:                              ;   in Loop: Header=BB226_10 Depth=1
	s_or_b32 exec_lo, exec_lo, s16
	v_dual_mov_b32 v3, v1 :: v_dual_lshlrev_b32 v8, 16, v4
	s_delay_alu instid0(VALU_DEP_2) | instskip(NEXT) | instid1(VALU_DEP_3)
	v_dual_lshlrev_b32 v0, 20, v0 :: v_dual_mov_b32 v10, v1
	v_lshl_add_u32 v5, v5, 23, 0x3c000000
	s_delay_alu instid0(VALU_DEP_3)
	v_and_b32_e32 v8, 0x80000000, v8
	scratch_store_b64 off, v[2:3], s32 offset:192 ; 8-byte Folded Spill
	v_or3_b32 v11, v0, v8, v5
.LBB226_920:                            ;   in Loop: Header=BB226_10 Depth=1
	s_wait_xcnt 0x0
	s_or_b32 exec_lo, exec_lo, s11
.LBB226_921:                            ;   in Loop: Header=BB226_10 Depth=1
	s_delay_alu instid0(SALU_CYCLE_1)
	s_or_b32 exec_lo, exec_lo, s9
.LBB226_922:                            ;   in Loop: Header=BB226_10 Depth=1
	s_delay_alu instid0(SALU_CYCLE_1) | instskip(SKIP_4) | instid1(VALU_DEP_3)
	s_or_b32 exec_lo, exec_lo, s8
	v_lshrrev_b32_e32 v5, 16, v4
	v_mov_b64_e32 v[110:111], 0
	v_mov_b64_e32 v[126:127], 0
	s_mov_b32 s8, exec_lo
	v_and_b32_e32 v0, 0xff, v5
	s_delay_alu instid0(VALU_DEP_1)
	v_cmpx_ne_u16_e32 0, v0
	s_cbranch_execz .LBB226_930
; %bb.923:                              ;   in Loop: Header=BB226_10 Depth=1
	v_mov_b64_e32 v[126:127], 0x80000000
	s_mov_b32 s9, exec_lo
	v_cmpx_ne_u16_e32 0x80, v0
	s_cbranch_execz .LBB226_929
; %bb.924:                              ;   in Loop: Header=BB226_10 Depth=1
	v_mov_b64_e32 v[126:127], 0x7f800001
	v_bfe_u32 v21, v4, 16, 7
	s_mov_b32 s11, exec_lo
	s_delay_alu instid0(VALU_DEP_1)
	v_cmpx_ne_u32_e32 0x7f, v21
	s_cbranch_execz .LBB226_928
; %bb.925:                              ;   in Loop: Header=BB226_10 Depth=1
	scratch_load_b64 v[126:127], off, s32 offset:192 th:TH_LOAD_LU ; 8-byte Folded Reload
	s_wait_loadcnt 0x0
	v_and_b32_e32 v126, 7, v5
	v_lshrrev_b32_e32 v9, 3, v21
	s_mov_b32 s16, exec_lo
	s_wait_xcnt 0x0
	v_cmpx_gt_u32_e32 8, v21
	s_cbranch_execz .LBB226_927
; %bb.926:                              ;   in Loop: Header=BB226_10 Depth=1
	v_clz_i32_u32_e32 v8, v126
	v_mov_b64_e32 v[0:1], v[18:19]
	s_delay_alu instid0(VALU_DEP_2) | instskip(NEXT) | instid1(VALU_DEP_1)
	v_min_u32_e32 v18, 32, v8
	v_subrev_nc_u32_e32 v8, 28, v18
	s_delay_alu instid0(VALU_DEP_1) | instskip(SKIP_2) | instid1(VALU_DEP_3)
	v_lshlrev_b64_e32 v[8:9], v8, v[126:127]
	v_sub_nc_u32_e32 v9, 29, v18
	v_mov_b64_e32 v[18:19], v[0:1]
	v_and_b32_e32 v126, 7, v8
.LBB226_927:                            ;   in Loop: Header=BB226_10 Depth=1
	s_or_b32 exec_lo, exec_lo, s16
	s_delay_alu instid0(VALU_DEP_1) | instskip(SKIP_2) | instid1(VALU_DEP_3)
	v_dual_lshlrev_b32 v5, 24, v5 :: v_dual_lshlrev_b32 v0, 20, v126
	v_lshl_add_u32 v8, v9, 23, 0x3c000000
	v_mov_b32_e32 v1, v127
	v_and_b32_e32 v5, 0x80000000, v5
	scratch_store_b64 off, v[0:1], s32 offset:192 ; 8-byte Folded Spill
	v_or3_b32 v126, v0, v5, v8
.LBB226_928:                            ;   in Loop: Header=BB226_10 Depth=1
	s_wait_xcnt 0x0
	s_or_b32 exec_lo, exec_lo, s11
.LBB226_929:                            ;   in Loop: Header=BB226_10 Depth=1
	s_delay_alu instid0(SALU_CYCLE_1)
	s_or_b32 exec_lo, exec_lo, s9
.LBB226_930:                            ;   in Loop: Header=BB226_10 Depth=1
	s_delay_alu instid0(SALU_CYCLE_1) | instskip(NEXT) | instid1(SALU_CYCLE_1)
	s_or_b32 exec_lo, exec_lo, s8
	s_mov_b32 s8, exec_lo
	v_cmpx_lt_u32_e32 0xffffff, v4
	s_cbranch_execz .LBB226_938
; %bb.931:                              ;   in Loop: Header=BB226_10 Depth=1
	v_mov_b64_e32 v[110:111], 0x8000000000000000
	v_lshrrev_b32_e32 v5, 24, v4
	s_mov_b32 s9, exec_lo
	s_delay_alu instid0(VALU_DEP_1)
	v_cmpx_ne_u32_e32 0x80, v5
	s_cbranch_execz .LBB226_937
; %bb.932:                              ;   in Loop: Header=BB226_10 Depth=1
	v_mov_b64_e32 v[110:111], 0x7f80000100000000
	v_bfe_u32 v9, v4, 24, 7
	s_mov_b32 s11, exec_lo
	s_delay_alu instid0(VALU_DEP_1)
	v_cmpx_ne_u32_e32 0x7f, v9
	s_cbranch_execz .LBB226_936
; %bb.933:                              ;   in Loop: Header=BB226_10 Depth=1
	scratch_load_b64 v[0:1], off, s32 offset:192 th:TH_LOAD_LU ; 8-byte Folded Reload
	s_wait_loadcnt 0x0
	v_and_b32_e32 v0, 7, v5
	v_lshrrev_b32_e32 v4, 3, v9
	s_mov_b32 s16, exec_lo
	s_wait_xcnt 0x0
	v_cmpx_gt_u32_e32 8, v9
; %bb.934:                              ;   in Loop: Header=BB226_10 Depth=1
	v_clz_i32_u32_e32 v4, v0
	s_delay_alu instid0(VALU_DEP_1) | instskip(NEXT) | instid1(VALU_DEP_1)
	v_min_u32_e32 v4, 32, v4
	v_subrev_nc_u32_e32 v8, 28, v4
	v_sub_nc_u32_e32 v4, 29, v4
	s_delay_alu instid0(VALU_DEP_2) | instskip(NEXT) | instid1(VALU_DEP_1)
	v_lshlrev_b64_e32 v[8:9], v8, v[0:1]
	v_and_b32_e32 v0, 7, v8
; %bb.935:                              ;   in Loop: Header=BB226_10 Depth=1
	s_or_b32 exec_lo, exec_lo, s16
	s_delay_alu instid0(VALU_DEP_1) | instskip(SKIP_2) | instid1(VALU_DEP_3)
	v_dual_lshlrev_b32 v5, 24, v5 :: v_dual_lshlrev_b32 v0, 20, v0
	v_lshl_add_u32 v4, v4, 23, 0x3c000000
	v_dual_mov_b32 v3, v1 :: v_dual_mov_b32 v110, v1
	v_and_b32_e32 v5, 0x80000000, v5
	scratch_store_b64 off, v[2:3], s32 offset:192 ; 8-byte Folded Spill
	v_or3_b32 v111, v0, v5, v4
.LBB226_936:                            ;   in Loop: Header=BB226_10 Depth=1
	s_wait_xcnt 0x0
	s_or_b32 exec_lo, exec_lo, s11
.LBB226_937:                            ;   in Loop: Header=BB226_10 Depth=1
	s_delay_alu instid0(SALU_CYCLE_1)
	s_or_b32 exec_lo, exec_lo, s9
.LBB226_938:                            ;   in Loop: Header=BB226_10 Depth=1
	s_delay_alu instid0(SALU_CYCLE_1)
	s_or_b32 exec_lo, exec_lo, s8
	flat_load_b32 v9, v[32:33] offset:3588
	s_wait_xcnt 0x0
	v_mov_b64_e32 v[32:33], 0
	v_mov_b64_e32 v[2:3], 0
	s_mov_b32 s8, exec_lo
	s_wait_loadcnt_dscnt 0x0
	v_and_b32_e32 v0, 0xff, v9
	s_delay_alu instid0(VALU_DEP_1)
	v_cmpx_ne_u16_e32 0, v0
	s_cbranch_execz .LBB226_946
; %bb.939:                              ;   in Loop: Header=BB226_10 Depth=1
	v_mov_b64_e32 v[2:3], 0x80000000
	s_mov_b32 s9, exec_lo
	v_cmpx_ne_u16_e32 0x80, v0
	s_cbranch_execz .LBB226_945
; %bb.940:                              ;   in Loop: Header=BB226_10 Depth=1
	v_mov_b64_e32 v[2:3], 0x7f800001
	v_and_b32_e32 v5, 0x7f, v9
	s_mov_b32 s11, exec_lo
	s_delay_alu instid0(VALU_DEP_1)
	v_cmpx_ne_u32_e32 0x7f, v5
	s_cbranch_execz .LBB226_944
; %bb.941:                              ;   in Loop: Header=BB226_10 Depth=1
	scratch_load_b64 v[2:3], off, s32 offset:192 th:TH_LOAD_LU ; 8-byte Folded Reload
	s_wait_loadcnt 0x0
	v_and_b32_e32 v2, 7, v9
	v_lshrrev_b32_e32 v4, 3, v5
	s_mov_b32 s16, exec_lo
	s_wait_xcnt 0x0
	v_cmpx_gt_u32_e32 8, v5
; %bb.942:                              ;   in Loop: Header=BB226_10 Depth=1
	v_clz_i32_u32_e32 v4, v2
	s_delay_alu instid0(VALU_DEP_1) | instskip(NEXT) | instid1(VALU_DEP_1)
	v_min_u32_e32 v4, 32, v4
	v_subrev_nc_u32_e32 v5, 28, v4
	v_sub_nc_u32_e32 v4, 29, v4
	s_delay_alu instid0(VALU_DEP_2) | instskip(NEXT) | instid1(VALU_DEP_1)
	v_lshlrev_b64_e32 v[40:41], v5, v[2:3]
	v_and_b32_e32 v2, 7, v40
; %bb.943:                              ;   in Loop: Header=BB226_10 Depth=1
	s_or_b32 exec_lo, exec_lo, s16
	s_delay_alu instid0(VALU_DEP_1) | instskip(SKIP_2) | instid1(VALU_DEP_3)
	v_dual_lshlrev_b32 v5, 24, v9 :: v_dual_lshlrev_b32 v0, 20, v2
	v_lshl_add_u32 v4, v4, 23, 0x3c000000
	v_mov_b32_e32 v1, v3
	v_and_b32_e32 v5, 0x80000000, v5
	scratch_store_b64 off, v[0:1], s32 offset:192 ; 8-byte Folded Spill
	v_or3_b32 v2, v0, v5, v4
.LBB226_944:                            ;   in Loop: Header=BB226_10 Depth=1
	s_wait_xcnt 0x0
	s_or_b32 exec_lo, exec_lo, s11
.LBB226_945:                            ;   in Loop: Header=BB226_10 Depth=1
	s_delay_alu instid0(SALU_CYCLE_1)
	s_or_b32 exec_lo, exec_lo, s9
.LBB226_946:                            ;   in Loop: Header=BB226_10 Depth=1
	s_delay_alu instid0(SALU_CYCLE_1) | instskip(SKIP_2) | instid1(VALU_DEP_1)
	s_or_b32 exec_lo, exec_lo, s8
	v_lshrrev_b16 v0, 8, v9
	s_mov_b32 s8, exec_lo
	v_cmpx_ne_u16_e32 0, v0
	s_cbranch_execz .LBB226_954
; %bb.947:                              ;   in Loop: Header=BB226_10 Depth=1
	v_mov_b64_e32 v[32:33], 0x8000000000000000
	s_mov_b32 s9, exec_lo
	v_cmpx_ne_u16_e32 0x80, v0
	s_cbranch_execz .LBB226_953
; %bb.948:                              ;   in Loop: Header=BB226_10 Depth=1
	v_and_b32_e32 v0, 0xffff, v0
	v_mov_b64_e32 v[32:33], 0x7f80000100000000
	s_mov_b32 s11, exec_lo
	s_delay_alu instid0(VALU_DEP_2) | instskip(NEXT) | instid1(VALU_DEP_1)
	v_and_b32_e32 v5, 0x7f, v0
	v_cmpx_ne_u32_e32 0x7f, v5
	s_cbranch_execz .LBB226_952
; %bb.949:                              ;   in Loop: Header=BB226_10 Depth=1
	v_mov_b32_e32 v8, v16
	scratch_load_b64 v[16:17], off, s32 offset:192 th:TH_LOAD_LU ; 8-byte Folded Reload
	v_dual_lshrrev_b32 v4, 3, v5 :: v_dual_bitop2_b32 v0, 7, v0 bitop3:0x40
	s_mov_b32 s16, exec_lo
	s_wait_loadcnt 0x0
	v_mov_b32_e32 v1, v17
	s_wait_xcnt 0x0
	v_cmpx_gt_u32_e32 8, v5
; %bb.950:                              ;   in Loop: Header=BB226_10 Depth=1
	v_clz_i32_u32_e32 v4, v0
	s_delay_alu instid0(VALU_DEP_1) | instskip(NEXT) | instid1(VALU_DEP_1)
	v_min_u32_e32 v4, 32, v4
	v_subrev_nc_u32_e32 v5, 28, v4
	v_sub_nc_u32_e32 v4, 29, v4
	s_delay_alu instid0(VALU_DEP_2) | instskip(NEXT) | instid1(VALU_DEP_1)
	v_lshlrev_b64_e32 v[32:33], v5, v[0:1]
	v_and_b32_e32 v0, 7, v32
; %bb.951:                              ;   in Loop: Header=BB226_10 Depth=1
	s_or_b32 exec_lo, exec_lo, s16
	s_delay_alu instid0(VALU_DEP_1) | instskip(SKIP_2) | instid1(VALU_DEP_3)
	v_dual_lshlrev_b32 v5, 16, v9 :: v_dual_lshlrev_b32 v0, 20, v0
	v_lshl_add_u32 v4, v4, 23, 0x3c000000
	v_dual_mov_b32 v16, v8 :: v_dual_mov_b32 v32, v1
	v_and_b32_e32 v5, 0x80000000, v5
	s_delay_alu instid0(VALU_DEP_1)
	v_or3_b32 v33, v0, v5, v4
	v_mov_b32_e32 v5, v1
	scratch_store_b64 off, v[4:5], s32 offset:192 ; 8-byte Folded Spill
.LBB226_952:                            ;   in Loop: Header=BB226_10 Depth=1
	s_wait_xcnt 0x0
	s_or_b32 exec_lo, exec_lo, s11
.LBB226_953:                            ;   in Loop: Header=BB226_10 Depth=1
	s_delay_alu instid0(SALU_CYCLE_1)
	s_or_b32 exec_lo, exec_lo, s9
.LBB226_954:                            ;   in Loop: Header=BB226_10 Depth=1
	s_delay_alu instid0(SALU_CYCLE_1) | instskip(SKIP_4) | instid1(VALU_DEP_3)
	s_or_b32 exec_lo, exec_lo, s8
	v_lshrrev_b32_e32 v21, 16, v9
	v_mov_b64_e32 v[40:41], 0
	v_mov_b64_e32 v[4:5], 0
	s_mov_b32 s8, exec_lo
	v_and_b32_e32 v0, 0xff, v21
	s_delay_alu instid0(VALU_DEP_1)
	v_cmpx_ne_u16_e32 0, v0
	s_cbranch_execz .LBB226_962
; %bb.955:                              ;   in Loop: Header=BB226_10 Depth=1
	v_mov_b64_e32 v[4:5], 0x80000000
	s_mov_b32 s9, exec_lo
	v_cmpx_ne_u16_e32 0x80, v0
	s_cbranch_execz .LBB226_961
; %bb.956:                              ;   in Loop: Header=BB226_10 Depth=1
	v_mov_b64_e32 v[4:5], 0x7f800001
	v_bfe_u32 v8, v9, 16, 7
	s_mov_b32 s11, exec_lo
	s_delay_alu instid0(VALU_DEP_1)
	v_cmpx_ne_u32_e32 0x7f, v8
	s_cbranch_execz .LBB226_960
; %bb.957:                              ;   in Loop: Header=BB226_10 Depth=1
	scratch_load_b64 v[0:1], off, s32 offset:192 th:TH_LOAD_LU ; 8-byte Folded Reload
	s_wait_loadcnt 0x0
	v_dual_lshrrev_b32 v4, 3, v8 :: v_dual_bitop2_b32 v0, 7, v21 bitop3:0x40
	s_mov_b32 s16, exec_lo
	s_wait_xcnt 0x0
	v_cmpx_gt_u32_e32 8, v8
	s_cbranch_execz .LBB226_959
; %bb.958:                              ;   in Loop: Header=BB226_10 Depth=1
	v_clz_i32_u32_e32 v4, v0
	v_mov_b64_e32 v[76:77], v[18:19]
	s_delay_alu instid0(VALU_DEP_2) | instskip(NEXT) | instid1(VALU_DEP_1)
	v_min_u32_e32 v4, 32, v4
	v_subrev_nc_u32_e32 v5, 28, v4
	s_delay_alu instid0(VALU_DEP_1) | instskip(NEXT) | instid1(VALU_DEP_1)
	v_lshlrev_b64_e32 v[18:19], v5, v[0:1]
	v_dual_sub_nc_u32 v4, 29, v4 :: v_dual_bitop2_b32 v0, 7, v18 bitop3:0x40
	v_mov_b64_e32 v[18:19], v[76:77]
.LBB226_959:                            ;   in Loop: Header=BB226_10 Depth=1
	s_or_b32 exec_lo, exec_lo, s16
	s_delay_alu instid0(VALU_DEP_2) | instskip(NEXT) | instid1(VALU_DEP_3)
	v_dual_lshlrev_b32 v5, 24, v21 :: v_dual_lshlrev_b32 v0, 20, v0
	v_lshl_add_u32 v4, v4, 23, 0x3c000000
	s_delay_alu instid0(VALU_DEP_2) | instskip(NEXT) | instid1(VALU_DEP_1)
	v_and_b32_e32 v5, 0x80000000, v5
	v_or3_b32 v0, v0, v5, v4
	v_mov_b32_e32 v5, v1
	scratch_store_b64 off, v[4:5], s32 offset:192 ; 8-byte Folded Spill
	s_wait_xcnt 0x0
	v_mov_b64_e32 v[4:5], v[0:1]
.LBB226_960:                            ;   in Loop: Header=BB226_10 Depth=1
	s_or_b32 exec_lo, exec_lo, s11
.LBB226_961:                            ;   in Loop: Header=BB226_10 Depth=1
	s_delay_alu instid0(SALU_CYCLE_1)
	s_or_b32 exec_lo, exec_lo, s9
.LBB226_962:                            ;   in Loop: Header=BB226_10 Depth=1
	s_delay_alu instid0(SALU_CYCLE_1)
	s_or_b32 exec_lo, exec_lo, s8
	scratch_store_b32 off, v20, s32 offset:728 ; 4-byte Folded Spill
	v_cmp_lt_u32_e64 s1, 0xffffff, v9
	s_wait_xcnt 0x0
	s_mov_b32 s8, exec_lo
	s_clause 0x2
	scratch_load_b32 v90, off, s32 offset:460
	scratch_load_b32 v91, off, s32 offset:464
	;; [unrolled: 1-line block ×3, first 2 shown]
	s_and_b32 s1, s8, s1
	s_wait_xcnt 0x0
	s_mov_b32 exec_lo, s1
	s_cbranch_execz .LBB226_9
; %bb.963:                              ;   in Loop: Header=BB226_10 Depth=1
	v_mov_b64_e32 v[40:41], 0x8000000000000000
	v_lshrrev_b32_e32 v21, 24, v9
	s_mov_b32 s9, exec_lo
	s_delay_alu instid0(VALU_DEP_1)
	v_cmpx_ne_u32_e32 0x80, v21
	s_cbranch_execz .LBB226_8
; %bb.964:                              ;   in Loop: Header=BB226_10 Depth=1
	v_mov_b64_e32 v[40:41], 0x7f80000100000000
	v_bfe_u32 v8, v9, 24, 7
	s_mov_b32 s11, exec_lo
	s_delay_alu instid0(VALU_DEP_1)
	v_cmpx_ne_u32_e32 0x7f, v8
	s_cbranch_execz .LBB226_7
; %bb.965:                              ;   in Loop: Header=BB226_10 Depth=1
	scratch_load_b64 v[0:1], off, s32 offset:192 th:TH_LOAD_LU ; 8-byte Folded Reload
	s_wait_loadcnt 0x0
	v_dual_lshrrev_b32 v9, 3, v8 :: v_dual_bitop2_b32 v0, 7, v21 bitop3:0x40
	s_mov_b32 s16, exec_lo
	s_wait_xcnt 0x0
	v_cmpx_gt_u32_e32 8, v8
	s_cbranch_execz .LBB226_6
; %bb.966:                              ;   in Loop: Header=BB226_10 Depth=1
	v_clz_i32_u32_e32 v8, v0
	v_mov_b64_e32 v[40:41], v[18:19]
	s_delay_alu instid0(VALU_DEP_2) | instskip(NEXT) | instid1(VALU_DEP_1)
	v_min_u32_e32 v18, 32, v8
	v_subrev_nc_u32_e32 v8, 28, v18
	s_delay_alu instid0(VALU_DEP_1) | instskip(SKIP_2) | instid1(VALU_DEP_3)
	v_lshlrev_b64_e32 v[8:9], v8, v[0:1]
	v_sub_nc_u32_e32 v9, 29, v18
	v_mov_b64_e32 v[18:19], v[40:41]
	v_and_b32_e32 v0, 7, v8
	s_branch .LBB226_6
.LBB226_967:
	s_or_b32 exec_lo, exec_lo, s3
	scratch_load_b64 v[10:11], off, s32 offset:1400 ; 8-byte Folded Reload
.LBB226_968:
	s_wait_xcnt 0x0
	s_or_b32 exec_lo, exec_lo, s2
	v_mbcnt_lo_u32_b32 v2, -1, 0
	s_delay_alu instid0(VALU_DEP_1) | instskip(SKIP_1) | instid1(VALU_DEP_2)
	v_dual_max_num_f32 v4, v20, v20 :: v_dual_bitop2_b32 v0, 16, v2 bitop3:0x14
	v_xor_b32_e32 v3, 8, v2
	v_cmp_gt_i32_e32 vcc_lo, 32, v0
	v_cndmask_b32_e32 v0, v2, v0, vcc_lo
	s_delay_alu instid0(VALU_DEP_3) | instskip(NEXT) | instid1(VALU_DEP_2)
	v_cmp_gt_i32_e32 vcc_lo, 32, v3
	v_dual_cndmask_b32 v3, v2, v3 :: v_dual_lshlrev_b32 v0, 2, v0
	ds_bpermute_b32 v1, v0, v20
	s_wait_dscnt 0x0
	v_dual_max_num_f32 v5, v1, v1 :: v_dual_lshlrev_b32 v1, 2, v3
	s_delay_alu instid0(VALU_DEP_1) | instskip(SKIP_4) | instid1(VALU_DEP_1)
	v_dual_max_num_f32 v3, v4, v5 :: v_dual_bitop2_b32 v5, 4, v2 bitop3:0x14
	ds_bpermute_b32 v4, v1, v3
	v_cmp_gt_i32_e32 vcc_lo, 32, v5
	s_wait_dscnt 0x0
	v_dual_cndmask_b32 v5, v2, v5 :: v_dual_max_num_f32 v4, v4, v4
	v_dual_lshlrev_b32 v81, 2, v5 :: v_dual_max_num_f32 v3, v3, v4
	ds_bpermute_b32 v4, v81, v3
	s_wait_dscnt 0x0
	v_dual_max_num_f32 v4, v4, v4 :: v_dual_bitop2_b32 v5, 2, v2 bitop3:0x14
	s_delay_alu instid0(VALU_DEP_1) | instskip(NEXT) | instid1(VALU_DEP_2)
	v_cmp_gt_i32_e32 vcc_lo, 32, v5
	v_dual_max_num_f32 v3, v3, v4 :: v_dual_cndmask_b32 v5, v2, v5, vcc_lo
	s_delay_alu instid0(VALU_DEP_1) | instskip(SKIP_4) | instid1(VALU_DEP_1)
	v_dual_lshlrev_b32 v96, 2, v5 :: v_dual_bitop2_b32 v5, 1, v2 bitop3:0x14
	ds_bpermute_b32 v4, v96, v3
	v_cmp_gt_i32_e32 vcc_lo, 32, v5
	v_cndmask_b32_e32 v5, v2, v5, vcc_lo
	s_wait_dscnt 0x0
	v_dual_max_num_f32 v4, v4, v4 :: v_dual_lshlrev_b32 v51, 2, v5
	s_delay_alu instid0(VALU_DEP_1)
	v_max_num_f32_e32 v2, v3, v4
	scratch_load_b32 v3, off, s32 offset:1344 ; 4-byte Folded Reload
	ds_bpermute_b32 v4, v51, v2
	s_wait_loadcnt 0x0
	v_cmp_eq_u32_e32 vcc_lo, 0, v3
	scratch_load_b32 v3, off, s32 offset:1348 ; 4-byte Folded Reload
	s_wait_loadcnt 0x0
	v_lshlrev_b32_e32 v3, 2, v3
	s_wait_xcnt 0x0
	s_and_saveexec_b32 s1, vcc_lo
	s_cbranch_execz .LBB226_970
; %bb.969:
	s_wait_dscnt 0x0
	v_dual_max_num_f32 v4, v4, v4 :: v_dual_max_num_f32 v2, v2, v2
	s_delay_alu instid0(VALU_DEP_1)
	v_max_num_f32_e32 v2, v2, v4
	ds_store_b32 v3, v2 offset:480
.LBB226_970:
	s_or_b32 exec_lo, exec_lo, s1
	scratch_load_b32 v2, off, s32 offset:1344 ; 4-byte Folded Reload
	s_wait_storecnt 0x0
	s_wait_loadcnt_dscnt 0x0
	s_barrier_signal -1
	s_barrier_wait -1
	v_cmp_gt_u32_e64 s1, 4, v2
	v_mov_b32_e32 v2, 0xff7fffff
	s_and_saveexec_b32 s2, s1
	s_cbranch_execz .LBB226_972
; %bb.971:
	scratch_load_b32 v2, off, s32 offset:1352 ; 4-byte Folded Reload
	s_wait_loadcnt 0x0
	ds_load_b32 v2, v2 offset:480
.LBB226_972:
	s_or_b32 exec_lo, exec_lo, s2
	s_wait_dscnt 0x0
	ds_bpermute_b32 v4, v96, v2
	v_max_num_f32_e32 v2, v2, v2
	scratch_load_b64 v[6:7], off, s32 offset:200 ; 8-byte Folded Reload
	s_wait_dscnt 0x0
	v_max_num_f32_e32 v4, v4, v4
	s_delay_alu instid0(VALU_DEP_1) | instskip(SKIP_3) | instid1(VALU_DEP_1)
	v_max_num_f32_e32 v2, v2, v4
	ds_bpermute_b32 v4, v51, v2
	s_wait_dscnt 0x0
	v_max_num_f32_e32 v4, v4, v4
	v_dual_max_num_f32 v2, v2, v4 :: v_dual_mov_b32 v4, 0
	ds_bpermute_b32 v5, v4, v2
	scratch_load_b32 v2, off, s32 offset:208 ; 4-byte Folded Reload
	s_wait_loadcnt 0x0
	v_lshlrev_b32_e32 v2, 5, v2
	s_delay_alu instid0(VALU_DEP_1)
	v_min_i32_e32 v2, v2, v6
	scratch_load_b32 v6, off, s32 offset:1340 ; 4-byte Folded Reload
	s_wait_loadcnt 0x0
	v_cmp_lt_i32_e64 s2, v6, v2
	s_and_saveexec_b32 s8, s2
	s_cbranch_execz .LBB226_976
; %bb.973:
	scratch_load_b32 v7, off, s32 offset:1340 ; 4-byte Folded Reload
	s_ashr_i32 s11, s10, 31
	v_mov_b32_e32 v4, 0
	s_lshl_b64 s[16:17], s[10:11], 2
	s_mov_b32 s9, 0
	s_add_nc_u64 s[16:17], s[6:7], s[16:17]
	s_load_b32 s3, s[16:17], 0x0
	s_wait_loadcnt 0x0
	s_wait_kmcnt 0x0
	v_lshl_add_u32 v6, v7, 2, s3
.LBB226_974:                            ; =>This Inner Loop Header: Depth=1
	ds_load_b32 v8, v6
	v_add_nc_u32_e32 v7, 0x80, v7
	s_delay_alu instid0(VALU_DEP_1) | instskip(SKIP_3) | instid1(VALU_DEP_1)
	v_cmp_ge_i32_e64 s3, v7, v2
	s_or_b32 s9, s3, s9
	s_wait_dscnt 0x0
	v_sub_f32_e32 v8, v8, v5
	v_mul_f32_e32 v8, 0x3fb8aa3b, v8
	s_delay_alu instid0(VALU_DEP_1)
	v_exp_f32_e32 v8, v8
	ds_store_b32 v6, v8
	v_nop
	v_add_f32_e32 v4, v4, v8
	v_add_nc_u32_e32 v6, 0x200, v6
	s_and_not1_b32 exec_lo, exec_lo, s9
	s_cbranch_execnz .LBB226_974
; %bb.975:
	s_or_b32 exec_lo, exec_lo, s9
.LBB226_976:
	s_delay_alu instid0(SALU_CYCLE_1)
	s_or_b32 exec_lo, exec_lo, s8
	ds_bpermute_b32 v0, v0, v4
	s_wait_dscnt 0x0
	v_add_f32_e32 v0, v4, v0
	ds_bpermute_b32 v1, v1, v0
	s_wait_dscnt 0x0
	v_add_f32_e32 v0, v0, v1
	;; [unrolled: 3-line block ×5, first 2 shown]
	s_and_saveexec_b32 s3, vcc_lo
; %bb.977:
	ds_store_b32 v3, v0 offset:496
; %bb.978:
	s_or_b32 exec_lo, exec_lo, s3
	s_wait_dscnt 0x0
	s_barrier_signal -1
	s_barrier_wait -1
	s_and_saveexec_b32 s3, s1
	s_cbranch_execz .LBB226_980
; %bb.979:
	scratch_load_b32 v0, off, s32 offset:1352 th:TH_LOAD_LU ; 4-byte Folded Reload
	s_wait_loadcnt 0x0
	ds_load_b32 v0, v0 offset:496
.LBB226_980:
	s_or_b32 exec_lo, exec_lo, s3
	s_wait_dscnt 0x0
	ds_bpermute_b32 v1, v96, v0
	s_wait_dscnt 0x0
	v_add_f32_e32 v0, v0, v1
	ds_bpermute_b32 v1, v51, v0
	s_wait_dscnt 0x0
	v_dual_add_f32 v0, v0, v1 :: v_dual_mov_b32 v1, 0
	ds_bpermute_b32 v0, v1, v0
	s_and_saveexec_b32 s1, s2
	s_cbranch_execz .LBB226_993
; %bb.981:
	s_wait_dscnt 0x0
	v_add_f32_e32 v0, 0x358637bd, v0
	s_mov_b32 s3, -1
	s_mov_b32 s2, exec_lo
	s_delay_alu instid0(VALU_DEP_1) | instskip(SKIP_1) | instid1(VALU_DEP_2)
	v_div_scale_f32 v1, null, v0, v0, 1.0
	v_div_scale_f32 v5, vcc_lo, 1.0, v0, 1.0
	v_rcp_f32_e32 v4, v1
	v_nop
	s_delay_alu instid0(TRANS32_DEP_1) | instskip(NEXT) | instid1(VALU_DEP_1)
	v_fma_f32 v3, -v1, v4, 1.0
	v_fmac_f32_e32 v4, v3, v4
	s_delay_alu instid0(VALU_DEP_1) | instskip(NEXT) | instid1(VALU_DEP_1)
	v_mul_f32_e32 v6, v5, v4
	v_fma_f32 v3, -v1, v6, v5
	s_delay_alu instid0(VALU_DEP_1) | instskip(NEXT) | instid1(VALU_DEP_1)
	v_fmac_f32_e32 v6, v3, v4
	v_fma_f32 v1, -v1, v6, v5
	scratch_load_b32 v5, off, s32 offset:1340 ; 4-byte Folded Reload
	v_div_fmas_f32 v1, v1, v4, v6
	s_delay_alu instid0(VALU_DEP_1) | instskip(SKIP_3) | instid1(VALU_DEP_2)
	v_div_fixup_f32 v0, v1, v0, 1.0
	s_wait_loadcnt 0x0
	v_xad_u32 v3, v5, -1, v2
	v_mov_b32_e32 v1, v5
	v_cmpx_lt_u32_e32 0x7f, v3
	s_cbranch_execz .LBB226_990
; %bb.982:
	v_dual_lshrrev_b32 v3, 7, v3 :: v_dual_mov_b32 v1, v0
	s_delay_alu instid0(VALU_DEP_1) | instskip(NEXT) | instid1(VALU_DEP_1)
	v_dual_mov_b32 v7, 0 :: v_dual_add_nc_u32 v4, -1, v3
	v_lshrrev_b32_e32 v5, 1, v4
	v_cmp_lt_u32_e32 vcc_lo, 13, v4
	s_delay_alu instid0(VALU_DEP_2)
	v_add_nc_u32_e32 v4, 1, v5
	s_and_saveexec_b32 s3, vcc_lo
	s_cbranch_execz .LBB226_986
; %bb.983:
	scratch_load_b32 v6, off, s32 offset:1340 ; 4-byte Folded Reload
	s_ashr_i32 s11, s10, 31
	v_mov_b64_e32 v[24:25], v[10:11]
	s_lshl_b64 s[8:9], s[10:11], 2
	v_and_b32_e32 v5, -8, v4
	s_add_nc_u64 s[8:9], s[6:7], s[8:9]
	s_load_b32 s8, s[8:9], 0x0
	s_wait_xcnt 0x0
	s_mov_b32 s9, 0
	s_wait_loadcnt 0x0
	s_wait_kmcnt 0x0
	v_lshl_add_u32 v6, v6, 2, s8
	s_mov_b32 s8, 0
.LBB226_984:                            ; =>This Inner Loop Header: Depth=1
	ds_load_2addr_stride64_b32 v[8:9], v6 offset1:2
	ds_load_2addr_stride64_b32 v[10:11], v6 offset0:4 offset1:6
	ds_load_2addr_stride64_b32 v[12:13], v6 offset0:8 offset1:10
	;; [unrolled: 1-line block ×7, first 2 shown]
	s_add_co_i32 s9, s9, 16
	s_delay_alu instid0(SALU_CYCLE_1) | instskip(NEXT) | instid1(VALU_DEP_1)
	v_dual_add_nc_u32 v5, -8, v5 :: v_dual_mov_b32 v7, s9
	v_cmp_eq_u32_e32 vcc_lo, 0, v5
	s_or_b32 s8, vcc_lo, s8
	s_wait_dscnt 0x7
	v_pk_mul_f32 v[8:9], v[0:1], v[8:9]
	s_wait_dscnt 0x6
	v_pk_mul_f32 v[10:11], v[0:1], v[10:11]
	;; [unrolled: 2-line block ×8, first 2 shown]
	ds_store_2addr_stride64_b32 v6, v8, v9 offset1:2
	ds_store_2addr_stride64_b32 v6, v10, v11 offset0:4 offset1:6
	ds_store_2addr_stride64_b32 v6, v12, v13 offset0:8 offset1:10
	ds_store_2addr_stride64_b32 v6, v14, v15 offset0:12 offset1:14
	ds_store_2addr_stride64_b32 v6, v16, v17 offset0:16 offset1:18
	ds_store_2addr_stride64_b32 v6, v18, v19 offset0:20 offset1:22
	ds_store_2addr_stride64_b32 v6, v20, v21 offset0:24 offset1:26
	ds_store_2addr_stride64_b32 v6, v22, v23 offset0:28 offset1:30
	v_add_nc_u32_e32 v6, 0x2000, v6
	s_and_not1_b32 exec_lo, exec_lo, s8
	s_cbranch_execnz .LBB226_984
; %bb.985:
	s_or_b32 exec_lo, exec_lo, s8
	v_mov_b64_e32 v[10:11], v[24:25]
.LBB226_986:
	s_or_b32 exec_lo, exec_lo, s3
	s_delay_alu instid0(VALU_DEP_1) | instskip(SKIP_2) | instid1(VALU_DEP_1)
	v_and_b32_e32 v4, 7, v4
	s_mov_b32 s8, 0
	s_mov_b32 s3, exec_lo
	v_cmpx_ne_u32_e32 0, v4
	s_cbranch_execz .LBB226_989
; %bb.987:
	scratch_load_b32 v6, off, s32 offset:1340 ; 4-byte Folded Reload
	s_ashr_i32 s11, s10, 31
	v_lshlrev_b32_e32 v5, 9, v7
	s_lshl_b64 s[16:17], s[10:11], 2
	s_delay_alu instid0(SALU_CYCLE_1) | instskip(SKIP_4) | instid1(VALU_DEP_1)
	s_add_nc_u64 s[16:17], s[6:7], s[16:17]
	s_load_b32 s9, s[16:17], 0x0
	s_wait_loadcnt 0x0
	v_lshlrev_b32_e32 v6, 2, v6
	s_wait_kmcnt 0x0
	v_add3_u32 v5, v5, v6, s9
.LBB226_988:                            ; =>This Inner Loop Header: Depth=1
	ds_load_2addr_stride64_b32 v[6:7], v5 offset1:2
	v_add_nc_u32_e32 v4, -1, v4
	s_delay_alu instid0(VALU_DEP_1)
	v_cmp_eq_u32_e32 vcc_lo, 0, v4
	s_or_b32 s8, vcc_lo, s8
	s_wait_dscnt 0x0
	v_pk_mul_f32 v[6:7], v[0:1], v[6:7]
	ds_store_2addr_stride64_b32 v5, v6, v7 offset1:2
	v_add_nc_u32_e32 v5, 0x400, v5
	s_and_not1_b32 exec_lo, exec_lo, s8
	s_cbranch_execnz .LBB226_988
.LBB226_989:
	s_or_b32 exec_lo, exec_lo, s3
	v_add_nc_u32_e32 v1, 1, v3
	s_delay_alu instid0(VALU_DEP_1) | instskip(NEXT) | instid1(VALU_DEP_1)
	v_and_b32_e32 v3, 0x3fffffe, v1
	v_cmp_ne_u32_e32 vcc_lo, v1, v3
	scratch_load_b32 v1, off, s32 offset:1340 ; 4-byte Folded Reload
	s_or_not1_b32 s3, vcc_lo, exec_lo
	s_wait_loadcnt 0x0
	v_lshl_add_u32 v1, v3, 7, v1
.LBB226_990:
	s_or_b32 exec_lo, exec_lo, s2
	s_delay_alu instid0(SALU_CYCLE_1)
	s_and_b32 exec_lo, exec_lo, s3
	s_cbranch_execz .LBB226_993
; %bb.991:
	s_ashr_i32 s11, s10, 31
	s_delay_alu instid0(SALU_CYCLE_1) | instskip(NEXT) | instid1(SALU_CYCLE_1)
	s_lshl_b64 s[2:3], s[10:11], 2
	s_add_nc_u64 s[2:3], s[6:7], s[2:3]
	s_load_b32 s2, s[2:3], 0x0
	s_wait_kmcnt 0x0
	v_lshl_add_u32 v3, v1, 2, s2
	s_mov_b32 s2, 0
.LBB226_992:                            ; =>This Inner Loop Header: Depth=1
	ds_load_b32 v4, v3
	s_wait_dscnt 0x0
	v_dual_mul_f32 v4, v0, v4 :: v_dual_add_nc_u32 v1, 0x80, v1
	s_delay_alu instid0(VALU_DEP_1) | instskip(SKIP_3) | instid1(SALU_CYCLE_1)
	v_cmp_ge_i32_e32 vcc_lo, v1, v2
	ds_store_b32 v3, v4
	v_add_nc_u32_e32 v3, 0x200, v3
	s_or_b32 s2, vcc_lo, s2
	s_and_not1_b32 exec_lo, exec_lo, s2
	s_cbranch_execnz .LBB226_992
.LBB226_993:
	s_or_b32 exec_lo, exec_lo, s1
	s_wait_dscnt 0x0
	s_barrier_signal -1
	s_barrier_wait -1
	s_and_saveexec_b32 s1, s0
	s_delay_alu instid0(SALU_CYCLE_1)
	s_xor_b32 s0, exec_lo, s1
	s_cbranch_execz .LBB226_995
; %bb.994:
                                        ; implicit-def: $vgpr0
	s_ashr_i32 s11, s10, 31
	s_clause 0x1
	scratch_store_b64 off, v[0:1], s32 offset:200
	; meta instruction
	; meta instruction
	;; [unrolled: 1-line block ×3, first 2 shown]
	scratch_store_b64 off, v[0:1], s32 offset:720
                                        ; implicit-def: $vgpr0_vgpr1
                                        ; kill: killed $vgpr0_vgpr1
                                        ; implicit-def: $vgpr10
                                        ; implicit-def: $vgpr0_vgpr1
                                        ; kill: killed $vgpr0_vgpr1
                                        ; implicit-def: $vgpr0_vgpr1
                                        ; kill: killed $vgpr0_vgpr1
	;; [unrolled: 2-line block ×3, first 2 shown]
                                        ; implicit-def: $vgpr0
                                        ; kill: killed $vgpr0
.LBB226_995:
	s_wait_xcnt 0x0
	s_or_saveexec_b32 s1, s0
	scratch_load_b32 v2, off, s32 offset:1340 ; 4-byte Folded Reload
	v_mov_b64_e32 v[0:1], s[10:11]
	v_dual_mov_b32 v7, 0 :: v_dual_mov_b32 v6, 0
	v_dual_mov_b32 v9, 0 :: v_dual_mov_b32 v8, 0
	;; [unrolled: 1-line block ×15, first 2 shown]
	s_wait_loadcnt 0x0
	v_and_b32_e32 v42, 7, v2
	s_wait_xcnt 0x0
	s_xor_b32 exec_lo, exec_lo, s1
	s_cbranch_execz .LBB226_2019
; %bb.996:
	s_clause 0x3
	scratch_store_b32 off, v81, s32 offset:420
	scratch_store_b32 off, v96, s32 offset:412
	;; [unrolled: 1-line block ×3, first 2 shown]
	scratch_load_b64 v[0:1], off, s32 offset:1384 th:TH_LOAD_LU
	s_ashr_i32 s11, s10, 31
	v_dual_mov_b32 v9, 0 :: v_dual_mov_b32 v8, 0
	s_lshl_b64 s[2:3], s[10:11], 2
	v_dual_mov_b32 v13, 0 :: v_dual_mov_b32 v12, 0
	s_add_nc_u64 s[2:3], s[6:7], s[2:3]
	v_dual_mov_b32 v15, 0 :: v_dual_mov_b32 v14, 0
	v_dual_mov_b32 v17, 0 :: v_dual_mov_b32 v16, 0
	v_dual_mov_b32 v19, 0 :: v_dual_mov_b32 v18, 0
	v_dual_mov_b32 v25, 0 :: v_dual_mov_b32 v24, 0
	v_dual_mov_b32 v27, 0 :: v_dual_mov_b32 v26, 0
	v_dual_mov_b32 v29, 0 :: v_dual_mov_b32 v28, 0
	v_dual_mov_b32 v31, 0 :: v_dual_mov_b32 v30, 0
	v_dual_mov_b32 v33, 0 :: v_dual_mov_b32 v32, 0
	v_dual_mov_b32 v35, 0 :: v_dual_mov_b32 v34, 0
	v_dual_mov_b32 v37, 0 :: v_dual_mov_b32 v36, 0
	v_dual_mov_b32 v39, 0 :: v_dual_mov_b32 v38, 0
	s_wait_loadcnt 0x0
	flat_load_b32 v50, v[0:1]
	s_clause 0x1
	scratch_load_b32 v0, off, s32 offset:1340
	scratch_load_b64 v[4:5], off, s32 offset:200
	s_load_b32 s0, s[2:3], 0x0
	s_wait_xcnt 0x0
	s_mov_b32 s2, 0
	v_dual_mov_b32 v41, 0 :: v_dual_mov_b32 v7, 0
	v_dual_mov_b32 v6, 0 :: v_dual_mov_b32 v49, 0
	s_wait_loadcnt_dscnt 0x100
	v_dual_mov_b32 v51, v50 :: v_dual_lshlrev_b32 v2, 2, v0
	scratch_load_b64 v[0:1], off, s32 offset:1392 th:TH_LOAD_LU ; 8-byte Folded Reload
	v_and_b32_e32 v40, 0x7c, v2
	s_wait_loadcnt 0x0
	v_add_nc_u64_e32 v[0:1], v[0:1], v[10:11]
	s_delay_alu instid0(VALU_DEP_1)
	v_add_nc_u64_e32 v[0:1], v[0:1], v[40:41]
	s_clause 0x2
	scratch_store_b32 off, v42, s32 offset:428
	scratch_store_b64 off, v[0:1], s32 offset:388
	scratch_load_b32 v0, off, s32 offset:1372 th:TH_LOAD_LU
	s_wait_loadcnt 0x0
	v_and_b32_e32 v40, 0x7c, v0
	scratch_load_b64 v[0:1], off, s32 offset:1364 th:TH_LOAD_LU ; 8-byte Folded Reload
	v_mov_b32_e32 v3, v4
	s_clause 0x1
	scratch_load_b64 v[4:5], off, s32 offset:1356 th:TH_LOAD_LU
	scratch_store_b64 off, v[2:3], s32 offset:396
	s_wait_xcnt 0x0
	v_lshlrev_b32_e32 v3, 4, v42
	scratch_load_b32 v42, off, s32 offset:1348 ; 4-byte Folded Reload
	v_and_b32_e32 v2, 28, v2
	s_wait_loadcnt 0x2
	v_lshl_add_u64 v[0:1], v[0:1], 2, v[40:41]
	s_wait_loadcnt 0x1
	s_delay_alu instid0(VALU_DEP_1)
	v_add_nc_u64_e32 v[56:57], v[4:5], v[0:1]
	s_wait_loadcnt 0x0
	v_lshl_or_b32 v3, v42, 7, v3
	v_mov_b32_e32 v48, 0
	v_lshl_or_b32 v21, v42, 5, v2
	s_wait_kmcnt 0x0
	s_delay_alu instid0(VALU_DEP_3)
	v_add_nc_u32_e32 v1, s0, v3
	s_branch .LBB226_998
.LBB226_997:                            ;   in Loop: Header=BB226_998 Depth=1
	s_wait_xcnt 0x0
	s_or_b32 exec_lo, exec_lo, s3
	v_mul_f32_e32 v81, v3, v81
	v_mul_f32_e32 v22, v3, v113
	;; [unrolled: 1-line block ×4, first 2 shown]
	v_add_nc_u64_e32 v[56:57], 16, v[56:57]
	v_fmac_f32_e32 v81, v2, v80
	v_fmac_f32_e32 v22, v2, v112
	v_dual_fmac_f32 v20, v2, v116 :: v_dual_mul_f32 v23, v3, v101
	v_dual_fmac_f32 v85, v2, v84 :: v_dual_mul_f32 v67, v3, v67
	s_delay_alu instid0(VALU_DEP_4) | instskip(NEXT) | instid1(VALU_DEP_3)
	v_dual_fmac_f32 v81, v4, v70 :: v_dual_mul_f32 v55, v3, v55
	v_dual_fmac_f32 v23, v2, v100 :: v_dual_mul_f32 v97, v3, v97
	s_delay_alu instid0(VALU_DEP_4) | instskip(NEXT) | instid1(VALU_DEP_4)
	v_fmac_f32_e32 v20, v4, v114
	v_fmac_f32_e32 v85, v4, v82
	s_delay_alu instid0(VALU_DEP_4) | instskip(NEXT) | instid1(VALU_DEP_3)
	v_dual_fmac_f32 v81, v5, v71 :: v_dual_fmac_f32 v55, v2, v54
	v_dual_fmac_f32 v97, v2, v96 :: v_dual_fmac_f32 v20, v5, v115
	v_fmac_f32_e32 v23, v4, v98
	s_delay_alu instid0(VALU_DEP_4) | instskip(SKIP_2) | instid1(VALU_DEP_4)
	v_dual_fmac_f32 v22, v4, v102 :: v_dual_fmac_f32 v85, v5, v83
	v_fmac_f32_e32 v67, v2, v66
	v_fmac_f32_e32 v55, v4, v0
	v_fmac_f32_e32 v23, v5, v99
	s_delay_alu instid0(VALU_DEP_4) | instskip(NEXT) | instid1(VALU_DEP_4)
	v_dual_fmac_f32 v22, v5, v103 :: v_dual_fmac_f32 v97, v4, v86
	v_dual_fmac_f32 v67, v4, v64 :: v_dual_mul_f32 v0, v3, v53
	s_delay_alu instid0(VALU_DEP_4) | instskip(NEXT) | instid1(VALU_DEP_3)
	v_fmac_f32_e32 v55, v5, v1
	v_dual_mul_f32 v1, v3, v125 :: v_dual_fmac_f32 v97, v5, v87
	s_delay_alu instid0(VALU_DEP_3) | instskip(SKIP_1) | instid1(VALU_DEP_3)
	v_dual_fmac_f32 v67, v5, v65 :: v_dual_fmac_f32 v0, v2, v52
	v_dual_add_f32 v9, v9, v22 :: v_dual_add_f32 v8, v8, v23
	v_dual_fmac_f32 v1, v2, v124 :: v_dual_add_f32 v13, v13, v97
	v_add_f32_e32 v6, v6, v20
	scratch_load_b64 v[64:65], off, s32 offset:356 th:TH_LOAD_LU ; 8-byte Folded Reload
	v_dual_add_f32 v12, v12, v85 :: v_dual_add_f32 v14, v14, v67
	v_fmac_f32_e32 v1, v4, v122
	v_dual_fmac_f32 v0, v4, v126 :: v_dual_add_f32 v15, v15, v81
	v_add_f32_e32 v17, v17, v55
	scratch_load_b64 v[54:55], off, s32 offset:372 th:TH_LOAD_LU ; 8-byte Folded Reload
	v_fmac_f32_e32 v1, v5, v123
	v_dual_fmac_f32 v0, v5, v127 :: v_dual_mul_f32 v20, v3, v121
	s_clause 0x1
	scratch_load_b64 v[66:67], off, s32 offset:332 th:TH_LOAD_LU
	scratch_load_b64 v[70:71], off, s32 offset:340 th:TH_LOAD_LU
	v_dual_add_f32 v19, v19, v1 :: v_dual_add_f32 v16, v16, v0
	v_dual_fmac_f32 v20, v2, v120 :: v_dual_mul_f32 v0, v3, v109
	v_add_nc_u32_e32 v42, 4, v42
	s_delay_alu instid0(VALU_DEP_2) | instskip(NEXT) | instid1(VALU_DEP_3)
	v_dual_fmac_f32 v20, v4, v110 :: v_dual_add_nc_u32 v21, 0x80, v21
	v_dual_mul_f32 v1, v3, v105 :: v_dual_fmac_f32 v0, v2, v108
	s_delay_alu instid0(VALU_DEP_1) | instskip(NEXT) | instid1(VALU_DEP_1)
	v_dual_mul_f32 v22, v3, v93 :: v_dual_fmac_f32 v1, v2, v104
	v_dual_mul_f32 v23, v3, v89 :: v_dual_fmac_f32 v22, v2, v92
	s_delay_alu instid0(VALU_DEP_1) | instskip(NEXT) | instid1(VALU_DEP_1)
	v_dual_fmac_f32 v20, v5, v111 :: v_dual_fmac_f32 v23, v2, v88
	v_dual_fmac_f32 v0, v4, v106 :: v_dual_add_f32 v18, v18, v20
	s_delay_alu instid0(VALU_DEP_1) | instskip(NEXT) | instid1(VALU_DEP_1)
	v_dual_fmac_f32 v1, v4, v94 :: v_dual_fmac_f32 v0, v5, v107
	v_dual_fmac_f32 v22, v4, v90 :: v_dual_fmac_f32 v1, v5, v95
	s_delay_alu instid0(VALU_DEP_2) | instskip(NEXT) | instid1(VALU_DEP_2)
	v_dual_fmac_f32 v23, v4, v78 :: v_dual_add_f32 v25, v25, v0
	v_dual_fmac_f32 v22, v5, v91 :: v_dual_add_f32 v24, v24, v1
	scratch_load_b64 v[0:1], off, s32 offset:364 th:TH_LOAD_LU ; 8-byte Folded Reload
	v_dual_mul_f32 v20, v3, v77 :: v_dual_fmac_f32 v23, v5, v79
	v_add_f32_e32 v27, v27, v22
	s_delay_alu instid0(VALU_DEP_2) | instskip(NEXT) | instid1(VALU_DEP_1)
	v_dual_mul_f32 v22, v3, v73 :: v_dual_fmac_f32 v20, v2, v76
	v_dual_add_f32 v26, v26, v23 :: v_dual_fmac_f32 v20, v4, v74
	s_wait_loadcnt 0x0
	s_delay_alu instid0(VALU_DEP_1) | instskip(NEXT) | instid1(VALU_DEP_1)
	v_dual_mul_f32 v53, v3, v1 :: v_dual_fmac_f32 v20, v5, v75
	v_fmac_f32_e32 v53, v2, v0
	scratch_load_b64 v[0:1], off, s32 offset:192 th:TH_LOAD_LU ; 8-byte Folded Reload
	v_fmac_f32_e32 v53, v4, v64
	s_delay_alu instid0(VALU_DEP_1) | instskip(SKIP_3) | instid1(VALU_DEP_2)
	v_fmac_f32_e32 v53, v5, v65
	scratch_load_b64 v[64:65], off, s32 offset:316 th:TH_LOAD_LU ; 8-byte Folded Reload
	v_dual_mul_f32 v23, v3, v61 :: v_dual_mul_f32 v52, v3, v55
	v_fmac_f32_e32 v22, v2, v72
	v_dual_fmac_f32 v23, v2, v60 :: v_dual_fmac_f32 v52, v2, v54
	scratch_load_b64 v[54:55], off, s32 offset:348 th:TH_LOAD_LU ; 8-byte Folded Reload
	v_dual_add_f32 v29, v29, v20 :: v_dual_fmac_f32 v22, v4, v62
	s_delay_alu instid0(VALU_DEP_1) | instskip(NEXT) | instid1(VALU_DEP_1)
	v_fmac_f32_e32 v22, v5, v63
	v_dual_add_f32 v28, v28, v22 :: v_dual_add_f32 v33, v33, v53
	s_wait_loadcnt 0x1
	v_mul_f32_e32 v20, v3, v65
	s_delay_alu instid0(VALU_DEP_1) | instskip(SKIP_3) | instid1(VALU_DEP_1)
	v_fmac_f32_e32 v20, v2, v64
	scratch_load_b64 v[64:65], off, s32 offset:308 th:TH_LOAD_LU ; 8-byte Folded Reload
	s_wait_loadcnt 0x0
	v_fmac_f32_e32 v20, v4, v64
	v_fmac_f32_e32 v20, v5, v65
	scratch_load_b64 v[64:65], off, s32 offset:236 th:TH_LOAD_LU ; 8-byte Folded Reload
	v_dual_fmac_f32 v23, v4, v58 :: v_dual_fmac_f32 v52, v4, v0
	v_mul_f32_e32 v0, v3, v55
	s_delay_alu instid0(VALU_DEP_2) | instskip(NEXT) | instid1(VALU_DEP_2)
	v_dual_fmac_f32 v23, v5, v59 :: v_dual_fmac_f32 v52, v5, v1
	v_fmac_f32_e32 v0, v2, v54
	scratch_load_b64 v[54:55], off, s32 offset:300 th:TH_LOAD_LU ; 8-byte Folded Reload
	v_mul_f32_e32 v1, v3, v67
	v_dual_add_f32 v31, v31, v23 :: v_dual_add_f32 v30, v30, v52
	scratch_load_b64 v[52:53], off, s32 offset:284 th:TH_LOAD_LU ; 8-byte Folded Reload
	v_fmac_f32_e32 v0, v4, v70
	v_fmac_f32_e32 v1, v2, v66
	scratch_load_b64 v[66:67], off, s32 offset:324 th:TH_LOAD_LU ; 8-byte Folded Reload
	s_wait_loadcnt 0x1
	v_dual_mul_f32 v22, v3, v55 :: v_dual_mul_f32 v23, v3, v53
	s_delay_alu instid0(VALU_DEP_1)
	v_fmac_f32_e32 v22, v2, v54
	scratch_load_b64 v[54:55], off, s32 offset:292 th:TH_LOAD_LU ; 8-byte Folded Reload
	v_fmac_f32_e32 v0, v5, v71
	scratch_load_b64 v[70:71], off, s32 offset:260 th:TH_LOAD_LU ; 8-byte Folded Reload
	;; [unrolled: 2-line block ×3, first 2 shown]
	s_wait_loadcnt 0x3
	v_fmac_f32_e32 v1, v4, v66
	s_wait_loadcnt 0x0
	v_dual_fmac_f32 v22, v4, v54 :: v_dual_fmac_f32 v23, v4, v52
	s_delay_alu instid0(VALU_DEP_1)
	v_fmac_f32_e32 v22, v5, v55
	scratch_load_b64 v[54:55], off, s32 offset:268 th:TH_LOAD_LU ; 8-byte Folded Reload
	v_dual_add_f32 v32, v32, v0 :: v_dual_fmac_f32 v1, v5, v67
	scratch_load_b64 v[66:67], off, s32 offset:252 th:TH_LOAD_LU ; 8-byte Folded Reload
	v_fmac_f32_e32 v23, v5, v53
	v_dual_add_f32 v37, v37, v22 :: v_dual_add_f32 v34, v34, v20
	v_add_f32_e32 v35, v35, v1
	v_pk_mul_f32 v[0:1], v[2:3], v[10:11]
	s_delay_alu instid0(VALU_DEP_4) | instskip(NEXT) | instid1(VALU_DEP_2)
	v_add_f32_e32 v36, v36, v23
	v_add_f32_e32 v0, v0, v1
	scratch_load_b32 v1, off, s32 offset:380 th:TH_LOAD_LU ; 4-byte Folded Reload
	s_wait_loadcnt 0x2
	v_mul_f32_e32 v52, v3, v55
	s_delay_alu instid0(VALU_DEP_1) | instskip(SKIP_2) | instid1(VALU_DEP_1)
	v_fmac_f32_e32 v52, v2, v54
	scratch_load_b64 v[54:55], off, s32 offset:220 th:TH_LOAD_LU ; 8-byte Folded Reload
	v_mul_f32_e32 v22, v3, v65
	v_fmac_f32_e32 v22, v2, v64
	s_clause 0x1
	scratch_load_b64 v[64:65], off, s32 offset:244 th:TH_LOAD_LU
	scratch_load_b64 v[10:11], off, s32 offset:212 th:TH_LOAD_LU
	s_wait_loadcnt 0x3
	v_add_nc_u32_e32 v1, 0x200, v1
	s_wait_loadcnt 0x2
	v_mul_f32_e32 v23, v3, v55
	s_delay_alu instid0(VALU_DEP_1) | instskip(SKIP_2) | instid1(VALU_DEP_1)
	v_fmac_f32_e32 v23, v2, v54
	scratch_load_b64 v[54:55], off, s32 offset:228 th:TH_LOAD_LU ; 8-byte Folded Reload
	v_mul_f32_e32 v20, v3, v67
	v_fmac_f32_e32 v20, v2, v66
	v_pk_mul_f32 v[2:3], v[4:5], v[68:69]
	s_delay_alu instid0(VALU_DEP_1) | instskip(NEXT) | instid1(VALU_DEP_1)
	v_dual_fmac_f32 v52, v4, v70 :: v_dual_add_f32 v0, v2, v0
	v_dual_fmac_f32 v52, v5, v71 :: v_dual_add_f32 v0, v3, v0
	s_delay_alu instid0(VALU_DEP_1) | instskip(SKIP_3) | instid1(VALU_DEP_1)
	v_add_f32_e32 v7, v7, v0
	scratch_load_b32 v0, off, s32 offset:208 ; 4-byte Folded Reload
	s_wait_loadcnt 0x2
	v_dual_fmac_f32 v20, v4, v64 :: v_dual_fmac_f32 v23, v4, v10
	v_dual_fmac_f32 v20, v5, v65 :: v_dual_fmac_f32 v23, v5, v11
	s_delay_alu instid0(VALU_DEP_1) | instskip(SKIP_2) | instid1(VALU_DEP_1)
	v_add_f32_e32 v48, v48, v23
	s_wait_loadcnt 0x1
	v_dual_fmac_f32 v22, v4, v54 :: v_dual_add_f32 v39, v39, v52
	v_dual_fmac_f32 v22, v5, v55 :: v_dual_add_f32 v38, v38, v20
	s_delay_alu instid0(VALU_DEP_1)
	v_add_f32_e32 v49, v49, v22
	s_wait_loadcnt 0x0
	v_cmp_ge_i32_e32 vcc_lo, v42, v0
	s_or_b32 s2, vcc_lo, s2
	s_wait_xcnt 0x0
	s_and_not1_b32 exec_lo, exec_lo, s2
	s_cbranch_execz .LBB226_2018
.LBB226_998:                            ; =>This Inner Loop Header: Depth=1
	flat_load_b32 v0, v[56:57]
	s_clause 0x2
	scratch_load_b64 v[2:3], off, s32 offset:720
	scratch_load_b64 v[4:5], off, s32 offset:388
	scratch_store_b32 off, v1, s32 offset:380
	v_mov_b64_e32 v[10:11], 0
	s_mov_b32 s0, exec_lo
	s_wait_loadcnt_dscnt 0x0
	v_mad_nc_i64_i32 v[68:69], v0, v2, v[4:5]
	ds_load_b128 v[2:5], v1
	s_wait_xcnt 0x0
	v_mov_b64_e32 v[0:1], 0
	flat_load_b32 v22, v[68:69]
	s_wait_loadcnt_dscnt 0x0
	v_and_b32_e32 v23, 0xff, v22
	s_wait_xcnt 0x0
	s_delay_alu instid0(VALU_DEP_1)
	v_cmpx_ne_u16_e32 0, v23
	s_cbranch_execz .LBB226_1006
; %bb.999:                              ;   in Loop: Header=BB226_998 Depth=1
	v_mov_b64_e32 v[10:11], 0x80000000
	s_mov_b32 s3, exec_lo
	v_cmpx_ne_u16_e32 0x80, v23
	s_cbranch_execz .LBB226_1005
; %bb.1000:                             ;   in Loop: Header=BB226_998 Depth=1
	v_mov_b64_e32 v[10:11], 0x7f800001
	v_and_b32_e32 v23, 0x7f, v22
	s_mov_b32 s8, exec_lo
	s_delay_alu instid0(VALU_DEP_1)
	v_cmpx_ne_u32_e32 0x7f, v23
	s_cbranch_execz .LBB226_1004
; %bb.1001:                             ;   in Loop: Header=BB226_998 Depth=1
	v_dual_lshrrev_b32 v10, 3, v23 :: v_dual_bitop2_b32 v40, 7, v22 bitop3:0x40
	s_mov_b32 s9, exec_lo
	v_cmpx_gt_u32_e32 8, v23
; %bb.1002:                             ;   in Loop: Header=BB226_998 Depth=1
	s_delay_alu instid0(VALU_DEP_2) | instskip(NEXT) | instid1(VALU_DEP_1)
	v_clz_i32_u32_e32 v10, v40
	v_min_u32_e32 v10, 32, v10
	s_delay_alu instid0(VALU_DEP_1) | instskip(NEXT) | instid1(VALU_DEP_1)
	v_subrev_nc_u32_e32 v11, 28, v10
	v_lshlrev_b64_e32 v[52:53], v11, v[40:41]
	s_delay_alu instid0(VALU_DEP_1)
	v_dual_sub_nc_u32 v10, 29, v10 :: v_dual_bitop2_b32 v40, 7, v52 bitop3:0x40
; %bb.1003:                             ;   in Loop: Header=BB226_998 Depth=1
	s_or_b32 exec_lo, exec_lo, s9
	s_delay_alu instid0(VALU_DEP_1) | instskip(NEXT) | instid1(VALU_DEP_2)
	v_dual_lshlrev_b32 v11, 24, v22 :: v_dual_lshlrev_b32 v20, 20, v40
	v_lshl_add_u32 v10, v10, 23, 0x3c000000
	s_delay_alu instid0(VALU_DEP_2) | instskip(NEXT) | instid1(VALU_DEP_1)
	v_and_b32_e32 v11, 0x80000000, v11
	v_or3_b32 v40, v20, v11, v10
	s_delay_alu instid0(VALU_DEP_1)
	v_mov_b64_e32 v[10:11], v[40:41]
.LBB226_1004:                           ;   in Loop: Header=BB226_998 Depth=1
	s_or_b32 exec_lo, exec_lo, s8
.LBB226_1005:                           ;   in Loop: Header=BB226_998 Depth=1
	s_delay_alu instid0(SALU_CYCLE_1)
	s_or_b32 exec_lo, exec_lo, s3
.LBB226_1006:                           ;   in Loop: Header=BB226_998 Depth=1
	s_delay_alu instid0(SALU_CYCLE_1) | instskip(SKIP_2) | instid1(VALU_DEP_1)
	s_or_b32 exec_lo, exec_lo, s0
	v_lshrrev_b16 v23, 8, v22
	s_mov_b32 s0, exec_lo
	v_cmpx_ne_u16_e32 0, v23
	s_cbranch_execz .LBB226_1014
; %bb.1007:                             ;   in Loop: Header=BB226_998 Depth=1
	v_mov_b64_e32 v[0:1], 0x8000000000000000
	s_mov_b32 s3, exec_lo
	v_cmpx_ne_u16_e32 0x80, v23
	s_cbranch_execz .LBB226_1013
; %bb.1008:                             ;   in Loop: Header=BB226_998 Depth=1
	v_and_b32_e32 v52, 0xffff, v23
	v_mov_b64_e32 v[0:1], 0x7f80000100000000
	s_mov_b32 s8, exec_lo
	s_delay_alu instid0(VALU_DEP_2) | instskip(NEXT) | instid1(VALU_DEP_1)
	v_and_b32_e32 v23, 0x7f, v52
	v_cmpx_ne_u32_e32 0x7f, v23
	s_cbranch_execz .LBB226_1012
; %bb.1009:                             ;   in Loop: Header=BB226_998 Depth=1
	v_dual_lshrrev_b32 v0, 3, v23 :: v_dual_bitop2_b32 v40, 7, v52 bitop3:0x40
	s_mov_b32 s9, exec_lo
	v_cmpx_gt_u32_e32 8, v23
; %bb.1010:                             ;   in Loop: Header=BB226_998 Depth=1
	s_delay_alu instid0(VALU_DEP_2) | instskip(NEXT) | instid1(VALU_DEP_1)
	v_clz_i32_u32_e32 v0, v40
	v_min_u32_e32 v0, 32, v0
	s_delay_alu instid0(VALU_DEP_1) | instskip(SKIP_1) | instid1(VALU_DEP_2)
	v_subrev_nc_u32_e32 v1, 28, v0
	v_sub_nc_u32_e32 v0, 29, v0
	v_lshlrev_b64_e32 v[52:53], v1, v[40:41]
	s_delay_alu instid0(VALU_DEP_1)
	v_and_b32_e32 v40, 7, v52
; %bb.1011:                             ;   in Loop: Header=BB226_998 Depth=1
	s_or_b32 exec_lo, exec_lo, s9
	s_delay_alu instid0(VALU_DEP_1) | instskip(SKIP_1) | instid1(VALU_DEP_2)
	v_dual_lshlrev_b32 v1, 16, v22 :: v_dual_lshlrev_b32 v20, 20, v40
	v_lshl_add_u32 v0, v0, 23, 0x3c000000
	v_and_b32_e32 v1, 0x80000000, v1
	s_delay_alu instid0(VALU_DEP_1)
	v_or3_b32 v1, v20, v1, v0
	v_mov_b32_e32 v0, v41
.LBB226_1012:                           ;   in Loop: Header=BB226_998 Depth=1
	s_or_b32 exec_lo, exec_lo, s8
.LBB226_1013:                           ;   in Loop: Header=BB226_998 Depth=1
	s_delay_alu instid0(SALU_CYCLE_1)
	s_or_b32 exec_lo, exec_lo, s3
.LBB226_1014:                           ;   in Loop: Header=BB226_998 Depth=1
	s_delay_alu instid0(SALU_CYCLE_1) | instskip(SKIP_4) | instid1(VALU_DEP_3)
	s_or_b32 exec_lo, exec_lo, s0
	v_lshrrev_b32_e32 v23, 16, v22
	v_mov_b64_e32 v[52:53], 0
	v_mov_b64_e32 v[54:55], 0
	s_mov_b32 s0, exec_lo
	v_and_b32_e32 v64, 0xff, v23
	s_delay_alu instid0(VALU_DEP_1)
	v_cmpx_ne_u16_e32 0, v64
	s_cbranch_execz .LBB226_1022
; %bb.1015:                             ;   in Loop: Header=BB226_998 Depth=1
	v_mov_b64_e32 v[54:55], 0x80000000
	s_mov_b32 s3, exec_lo
	v_cmpx_ne_u16_e32 0x80, v64
	s_cbranch_execz .LBB226_1021
; %bb.1016:                             ;   in Loop: Header=BB226_998 Depth=1
	v_mov_b64_e32 v[54:55], 0x7f800001
	v_bfe_u32 v64, v22, 16, 7
	s_mov_b32 s8, exec_lo
	s_delay_alu instid0(VALU_DEP_1)
	v_cmpx_ne_u32_e32 0x7f, v64
	s_cbranch_execz .LBB226_1020
; %bb.1017:                             ;   in Loop: Header=BB226_998 Depth=1
	v_dual_lshrrev_b32 v54, 3, v64 :: v_dual_bitop2_b32 v40, 7, v23 bitop3:0x40
	s_mov_b32 s9, exec_lo
	v_cmpx_gt_u32_e32 8, v64
; %bb.1018:                             ;   in Loop: Header=BB226_998 Depth=1
	s_delay_alu instid0(VALU_DEP_2) | instskip(NEXT) | instid1(VALU_DEP_1)
	v_clz_i32_u32_e32 v20, v40
	v_min_u32_e32 v20, 32, v20
	s_delay_alu instid0(VALU_DEP_1) | instskip(NEXT) | instid1(VALU_DEP_1)
	v_subrev_nc_u32_e32 v54, 28, v20
	v_lshlrev_b64_e32 v[64:65], v54, v[40:41]
	v_sub_nc_u32_e32 v54, 29, v20
	s_delay_alu instid0(VALU_DEP_2)
	v_and_b32_e32 v40, 7, v64
; %bb.1019:                             ;   in Loop: Header=BB226_998 Depth=1
	s_or_b32 exec_lo, exec_lo, s9
	s_delay_alu instid0(VALU_DEP_1) | instskip(NEXT) | instid1(VALU_DEP_3)
	v_dual_lshlrev_b32 v20, 24, v23 :: v_dual_lshlrev_b32 v23, 20, v40
	v_lshl_add_u32 v54, v54, 23, 0x3c000000
	s_delay_alu instid0(VALU_DEP_2) | instskip(NEXT) | instid1(VALU_DEP_1)
	v_and_b32_e32 v20, 0x80000000, v20
	v_or3_b32 v40, v23, v20, v54
	s_delay_alu instid0(VALU_DEP_1)
	v_mov_b64_e32 v[54:55], v[40:41]
.LBB226_1020:                           ;   in Loop: Header=BB226_998 Depth=1
	s_or_b32 exec_lo, exec_lo, s8
.LBB226_1021:                           ;   in Loop: Header=BB226_998 Depth=1
	s_delay_alu instid0(SALU_CYCLE_1)
	s_or_b32 exec_lo, exec_lo, s3
.LBB226_1022:                           ;   in Loop: Header=BB226_998 Depth=1
	s_delay_alu instid0(SALU_CYCLE_1) | instskip(NEXT) | instid1(SALU_CYCLE_1)
	s_or_b32 exec_lo, exec_lo, s0
	s_mov_b32 s0, exec_lo
	v_cmpx_lt_u32_e32 0xffffff, v22
	s_cbranch_execz .LBB226_1030
; %bb.1023:                             ;   in Loop: Header=BB226_998 Depth=1
	v_mov_b64_e32 v[52:53], 0x8000000000000000
	v_lshrrev_b32_e32 v23, 24, v22
	s_mov_b32 s3, exec_lo
	s_delay_alu instid0(VALU_DEP_1)
	v_cmpx_ne_u32_e32 0x80, v23
	s_cbranch_execz .LBB226_1029
; %bb.1024:                             ;   in Loop: Header=BB226_998 Depth=1
	v_mov_b64_e32 v[52:53], 0x7f80000100000000
	v_bfe_u32 v64, v22, 24, 7
	s_mov_b32 s8, exec_lo
	s_delay_alu instid0(VALU_DEP_1)
	v_cmpx_ne_u32_e32 0x7f, v64
	s_cbranch_execz .LBB226_1028
; %bb.1025:                             ;   in Loop: Header=BB226_998 Depth=1
	v_dual_lshrrev_b32 v22, 3, v64 :: v_dual_bitop2_b32 v40, 7, v23 bitop3:0x40
	s_mov_b32 s9, exec_lo
	v_cmpx_gt_u32_e32 8, v64
; %bb.1026:                             ;   in Loop: Header=BB226_998 Depth=1
	s_delay_alu instid0(VALU_DEP_2) | instskip(NEXT) | instid1(VALU_DEP_1)
	v_clz_i32_u32_e32 v20, v40
	v_min_u32_e32 v20, 32, v20
	s_delay_alu instid0(VALU_DEP_1) | instskip(NEXT) | instid1(VALU_DEP_1)
	v_subrev_nc_u32_e32 v22, 28, v20
	v_lshlrev_b64_e32 v[52:53], v22, v[40:41]
	v_sub_nc_u32_e32 v22, 29, v20
	s_delay_alu instid0(VALU_DEP_2)
	v_and_b32_e32 v40, 7, v52
; %bb.1027:                             ;   in Loop: Header=BB226_998 Depth=1
	s_or_b32 exec_lo, exec_lo, s9
	s_delay_alu instid0(VALU_DEP_1) | instskip(NEXT) | instid1(VALU_DEP_3)
	v_dual_lshlrev_b32 v20, 24, v23 :: v_dual_lshlrev_b32 v23, 20, v40
	v_lshl_add_u32 v22, v22, 23, 0x3c000000
	v_mov_b32_e32 v52, v41
	s_delay_alu instid0(VALU_DEP_3) | instskip(NEXT) | instid1(VALU_DEP_1)
	v_and_b32_e32 v20, 0x80000000, v20
	v_or3_b32 v53, v23, v20, v22
.LBB226_1028:                           ;   in Loop: Header=BB226_998 Depth=1
	s_or_b32 exec_lo, exec_lo, s8
.LBB226_1029:                           ;   in Loop: Header=BB226_998 Depth=1
	s_delay_alu instid0(SALU_CYCLE_1)
	s_or_b32 exec_lo, exec_lo, s3
.LBB226_1030:                           ;   in Loop: Header=BB226_998 Depth=1
	s_delay_alu instid0(SALU_CYCLE_1)
	s_or_b32 exec_lo, exec_lo, s0
	v_dual_add_nc_u32 v43, 1, v21 :: v_dual_bitop2_b32 v0, v0, v10 bitop3:0x54
	scratch_load_b32 v10, off, s32 offset:208 ; 4-byte Folded Reload
	v_or_b32_e32 v1, v1, v11
	v_dual_add_nc_u32 v45, 2, v21 :: v_dual_bitop2_b32 v11, v53, v55 bitop3:0x54
	s_wait_loadcnt 0x0
	v_dual_add_nc_u32 v44, 3, v21 :: v_dual_add_nc_u32 v20, -1, v10
	v_or_b32_e32 v10, v52, v54
	v_pk_mul_f32 v[0:1], v[50:51], v[0:1]
	s_delay_alu instid0(VALU_DEP_3)
	v_cmp_eq_u32_e32 vcc_lo, v20, v42
	scratch_store_b64 off, v[0:1], s32 offset:220 ; 8-byte Folded Spill
	s_wait_xcnt 0x0
	v_pk_mul_f32 v[0:1], v[50:51], v[10:11]
	scratch_store_b64 off, v[0:1], s32 offset:212 ; 8-byte Folded Spill
	s_wait_xcnt 0x0
	s_and_saveexec_b32 s3, vcc_lo
	s_cbranch_execz .LBB226_1032
; %bb.1031:                             ;   in Loop: Header=BB226_998 Depth=1
	s_clause 0x1
	scratch_load_b64 v[0:1], off, s32 offset:200
	scratch_load_b64 v[10:11], off, s32 offset:220 th:TH_LOAD_LU
	s_wait_loadcnt 0x1
	v_cmp_lt_i32_e64 s0, v21, v0
	s_wait_loadcnt 0x0
	s_delay_alu instid0(VALU_DEP_1) | instskip(SKIP_1) | instid1(VALU_DEP_1)
	v_cndmask_b32_e64 v10, 0, v10, s0
	v_cmp_lt_i32_e64 s0, v43, v0
	v_cndmask_b32_e64 v11, 0, v11, s0
	v_cmp_lt_i32_e64 s0, v45, v0
	s_clause 0x1
	scratch_store_b64 off, v[10:11], s32 offset:220
	scratch_load_b64 v[10:11], off, s32 offset:212 th:TH_LOAD_LU
	s_wait_loadcnt 0x0
	v_cndmask_b32_e64 v10, 0, v10, s0
	v_cmp_lt_i32_e64 s0, v44, v0
	s_delay_alu instid0(VALU_DEP_1)
	v_cndmask_b32_e64 v11, 0, v11, s0
	scratch_store_b64 off, v[10:11], s32 offset:212 ; 8-byte Folded Spill
.LBB226_1032:                           ;   in Loop: Header=BB226_998 Depth=1
	s_wait_xcnt 0x0
	s_or_b32 exec_lo, exec_lo, s3
	flat_load_b32 v54, v[68:69] offset:128
	v_mov_b64_e32 v[0:1], 0
	v_mov_b64_e32 v[10:11], 0
	s_mov_b32 s3, exec_lo
	s_wait_loadcnt_dscnt 0x0
	v_and_b32_e32 v22, 0xff, v54
	s_wait_xcnt 0x0
	s_delay_alu instid0(VALU_DEP_1)
	v_cmpx_ne_u16_e32 0, v22
	s_cbranch_execz .LBB226_1040
; %bb.1033:                             ;   in Loop: Header=BB226_998 Depth=1
	v_mov_b64_e32 v[10:11], 0x80000000
	s_mov_b32 s8, exec_lo
	v_cmpx_ne_u16_e32 0x80, v22
	s_cbranch_execz .LBB226_1039
; %bb.1034:                             ;   in Loop: Header=BB226_998 Depth=1
	v_mov_b64_e32 v[10:11], 0x7f800001
	v_and_b32_e32 v22, 0x7f, v54
	s_mov_b32 s9, exec_lo
	s_delay_alu instid0(VALU_DEP_1)
	v_cmpx_ne_u32_e32 0x7f, v22
	s_cbranch_execz .LBB226_1038
; %bb.1035:                             ;   in Loop: Header=BB226_998 Depth=1
	v_and_b32_e32 v40, 7, v54
	v_lshrrev_b32_e32 v10, 3, v22
	s_mov_b32 s16, exec_lo
	v_cmpx_gt_u32_e32 8, v22
; %bb.1036:                             ;   in Loop: Header=BB226_998 Depth=1
	s_delay_alu instid0(VALU_DEP_3) | instskip(NEXT) | instid1(VALU_DEP_1)
	v_clz_i32_u32_e32 v10, v40
	v_min_u32_e32 v10, 32, v10
	s_delay_alu instid0(VALU_DEP_1) | instskip(SKIP_1) | instid1(VALU_DEP_2)
	v_subrev_nc_u32_e32 v11, 28, v10
	v_sub_nc_u32_e32 v10, 29, v10
	v_lshlrev_b64_e32 v[22:23], v11, v[40:41]
	s_delay_alu instid0(VALU_DEP_1)
	v_and_b32_e32 v40, 7, v22
; %bb.1037:                             ;   in Loop: Header=BB226_998 Depth=1
	s_or_b32 exec_lo, exec_lo, s16
	s_delay_alu instid0(VALU_DEP_1) | instskip(SKIP_1) | instid1(VALU_DEP_2)
	v_dual_lshlrev_b32 v11, 24, v54 :: v_dual_lshlrev_b32 v20, 20, v40
	v_lshl_add_u32 v10, v10, 23, 0x3c000000
	v_and_b32_e32 v11, 0x80000000, v11
	s_delay_alu instid0(VALU_DEP_1) | instskip(NEXT) | instid1(VALU_DEP_1)
	v_or3_b32 v40, v20, v11, v10
	v_mov_b64_e32 v[10:11], v[40:41]
.LBB226_1038:                           ;   in Loop: Header=BB226_998 Depth=1
	s_or_b32 exec_lo, exec_lo, s9
.LBB226_1039:                           ;   in Loop: Header=BB226_998 Depth=1
	s_delay_alu instid0(SALU_CYCLE_1)
	s_or_b32 exec_lo, exec_lo, s8
.LBB226_1040:                           ;   in Loop: Header=BB226_998 Depth=1
	s_delay_alu instid0(SALU_CYCLE_1) | instskip(SKIP_2) | instid1(VALU_DEP_1)
	s_or_b32 exec_lo, exec_lo, s3
	v_lshrrev_b16 v22, 8, v54
	s_mov_b32 s3, exec_lo
	v_cmpx_ne_u16_e32 0, v22
	s_cbranch_execz .LBB226_1048
; %bb.1041:                             ;   in Loop: Header=BB226_998 Depth=1
	v_mov_b64_e32 v[0:1], 0x8000000000000000
	s_mov_b32 s8, exec_lo
	v_cmpx_ne_u16_e32 0x80, v22
	s_cbranch_execz .LBB226_1047
; %bb.1042:                             ;   in Loop: Header=BB226_998 Depth=1
	v_and_b32_e32 v23, 0xffff, v22
	v_mov_b64_e32 v[0:1], 0x7f80000100000000
	s_mov_b32 s9, exec_lo
	s_delay_alu instid0(VALU_DEP_2) | instskip(NEXT) | instid1(VALU_DEP_1)
	v_and_b32_e32 v22, 0x7f, v23
	v_cmpx_ne_u32_e32 0x7f, v22
	s_cbranch_execz .LBB226_1046
; %bb.1043:                             ;   in Loop: Header=BB226_998 Depth=1
	v_dual_lshrrev_b32 v0, 3, v22 :: v_dual_bitop2_b32 v40, 7, v23 bitop3:0x40
	s_mov_b32 s16, exec_lo
	v_cmpx_gt_u32_e32 8, v22
; %bb.1044:                             ;   in Loop: Header=BB226_998 Depth=1
	s_delay_alu instid0(VALU_DEP_2) | instskip(NEXT) | instid1(VALU_DEP_1)
	v_clz_i32_u32_e32 v0, v40
	v_min_u32_e32 v0, 32, v0
	s_delay_alu instid0(VALU_DEP_1) | instskip(NEXT) | instid1(VALU_DEP_1)
	v_subrev_nc_u32_e32 v1, 28, v0
	v_lshlrev_b64_e32 v[22:23], v1, v[40:41]
	s_delay_alu instid0(VALU_DEP_1)
	v_dual_sub_nc_u32 v0, 29, v0 :: v_dual_bitop2_b32 v40, 7, v22 bitop3:0x40
; %bb.1045:                             ;   in Loop: Header=BB226_998 Depth=1
	s_or_b32 exec_lo, exec_lo, s16
	s_delay_alu instid0(VALU_DEP_1) | instskip(NEXT) | instid1(VALU_DEP_2)
	v_dual_lshlrev_b32 v1, 16, v54 :: v_dual_lshlrev_b32 v20, 20, v40
	v_lshl_add_u32 v0, v0, 23, 0x3c000000
	s_delay_alu instid0(VALU_DEP_2) | instskip(NEXT) | instid1(VALU_DEP_1)
	v_and_b32_e32 v1, 0x80000000, v1
	v_or3_b32 v1, v20, v1, v0
	v_mov_b32_e32 v0, v41
.LBB226_1046:                           ;   in Loop: Header=BB226_998 Depth=1
	s_or_b32 exec_lo, exec_lo, s9
.LBB226_1047:                           ;   in Loop: Header=BB226_998 Depth=1
	s_delay_alu instid0(SALU_CYCLE_1)
	s_or_b32 exec_lo, exec_lo, s8
.LBB226_1048:                           ;   in Loop: Header=BB226_998 Depth=1
	s_delay_alu instid0(SALU_CYCLE_1) | instskip(SKIP_4) | instid1(VALU_DEP_3)
	s_or_b32 exec_lo, exec_lo, s3
	v_lshrrev_b32_e32 v55, 16, v54
	v_mov_b64_e32 v[52:53], 0
	v_mov_b64_e32 v[22:23], 0
	s_mov_b32 s3, exec_lo
	v_and_b32_e32 v64, 0xff, v55
	s_delay_alu instid0(VALU_DEP_1)
	v_cmpx_ne_u16_e32 0, v64
	s_cbranch_execz .LBB226_1056
; %bb.1049:                             ;   in Loop: Header=BB226_998 Depth=1
	v_mov_b64_e32 v[22:23], 0x80000000
	s_mov_b32 s8, exec_lo
	v_cmpx_ne_u16_e32 0x80, v64
	s_cbranch_execz .LBB226_1055
; %bb.1050:                             ;   in Loop: Header=BB226_998 Depth=1
	v_mov_b64_e32 v[22:23], 0x7f800001
	v_bfe_u32 v64, v54, 16, 7
	s_mov_b32 s9, exec_lo
	s_delay_alu instid0(VALU_DEP_1)
	v_cmpx_ne_u32_e32 0x7f, v64
	s_cbranch_execz .LBB226_1054
; %bb.1051:                             ;   in Loop: Header=BB226_998 Depth=1
	v_dual_lshrrev_b32 v22, 3, v64 :: v_dual_bitop2_b32 v40, 7, v55 bitop3:0x40
	s_mov_b32 s16, exec_lo
	v_cmpx_gt_u32_e32 8, v64
; %bb.1052:                             ;   in Loop: Header=BB226_998 Depth=1
	s_delay_alu instid0(VALU_DEP_2) | instskip(NEXT) | instid1(VALU_DEP_1)
	v_clz_i32_u32_e32 v20, v40
	v_min_u32_e32 v20, 32, v20
	s_delay_alu instid0(VALU_DEP_1) | instskip(NEXT) | instid1(VALU_DEP_1)
	v_subrev_nc_u32_e32 v22, 28, v20
	v_lshlrev_b64_e32 v[64:65], v22, v[40:41]
	v_sub_nc_u32_e32 v22, 29, v20
	s_delay_alu instid0(VALU_DEP_2)
	v_and_b32_e32 v40, 7, v64
; %bb.1053:                             ;   in Loop: Header=BB226_998 Depth=1
	s_or_b32 exec_lo, exec_lo, s16
	s_delay_alu instid0(VALU_DEP_1) | instskip(NEXT) | instid1(VALU_DEP_3)
	v_dual_lshlrev_b32 v20, 24, v55 :: v_dual_lshlrev_b32 v23, 20, v40
	v_lshl_add_u32 v22, v22, 23, 0x3c000000
	s_delay_alu instid0(VALU_DEP_2) | instskip(NEXT) | instid1(VALU_DEP_1)
	v_and_b32_e32 v20, 0x80000000, v20
	v_or3_b32 v40, v23, v20, v22
	s_delay_alu instid0(VALU_DEP_1)
	v_mov_b64_e32 v[22:23], v[40:41]
.LBB226_1054:                           ;   in Loop: Header=BB226_998 Depth=1
	s_or_b32 exec_lo, exec_lo, s9
.LBB226_1055:                           ;   in Loop: Header=BB226_998 Depth=1
	s_delay_alu instid0(SALU_CYCLE_1)
	s_or_b32 exec_lo, exec_lo, s8
.LBB226_1056:                           ;   in Loop: Header=BB226_998 Depth=1
	s_delay_alu instid0(SALU_CYCLE_1) | instskip(NEXT) | instid1(SALU_CYCLE_1)
	s_or_b32 exec_lo, exec_lo, s3
	s_mov_b32 s3, exec_lo
	v_cmpx_lt_u32_e32 0xffffff, v54
	s_cbranch_execz .LBB226_1064
; %bb.1057:                             ;   in Loop: Header=BB226_998 Depth=1
	v_mov_b64_e32 v[52:53], 0x8000000000000000
	v_lshrrev_b32_e32 v55, 24, v54
	s_mov_b32 s8, exec_lo
	s_delay_alu instid0(VALU_DEP_1)
	v_cmpx_ne_u32_e32 0x80, v55
	s_cbranch_execz .LBB226_1063
; %bb.1058:                             ;   in Loop: Header=BB226_998 Depth=1
	v_mov_b64_e32 v[52:53], 0x7f80000100000000
	v_bfe_u32 v54, v54, 24, 7
	s_mov_b32 s9, exec_lo
	s_delay_alu instid0(VALU_DEP_1)
	v_cmpx_ne_u32_e32 0x7f, v54
	s_cbranch_execz .LBB226_1062
; %bb.1059:                             ;   in Loop: Header=BB226_998 Depth=1
	v_dual_lshrrev_b32 v52, 3, v54 :: v_dual_bitop2_b32 v40, 7, v55 bitop3:0x40
	s_mov_b32 s16, exec_lo
	v_cmpx_gt_u32_e32 8, v54
; %bb.1060:                             ;   in Loop: Header=BB226_998 Depth=1
	s_delay_alu instid0(VALU_DEP_2) | instskip(NEXT) | instid1(VALU_DEP_1)
	v_clz_i32_u32_e32 v20, v40
	v_min_u32_e32 v20, 32, v20
	s_delay_alu instid0(VALU_DEP_1) | instskip(NEXT) | instid1(VALU_DEP_1)
	v_subrev_nc_u32_e32 v52, 28, v20
	v_lshlrev_b64_e32 v[64:65], v52, v[40:41]
	v_sub_nc_u32_e32 v52, 29, v20
	s_delay_alu instid0(VALU_DEP_2)
	v_and_b32_e32 v40, 7, v64
; %bb.1061:                             ;   in Loop: Header=BB226_998 Depth=1
	s_or_b32 exec_lo, exec_lo, s16
	s_delay_alu instid0(VALU_DEP_1) | instskip(NEXT) | instid1(VALU_DEP_3)
	v_dual_lshlrev_b32 v20, 24, v55 :: v_dual_lshlrev_b32 v53, 20, v40
	v_lshl_add_u32 v52, v52, 23, 0x3c000000
	s_delay_alu instid0(VALU_DEP_2) | instskip(NEXT) | instid1(VALU_DEP_1)
	v_and_b32_e32 v20, 0x80000000, v20
	v_or3_b32 v53, v53, v20, v52
	v_mov_b32_e32 v52, v41
.LBB226_1062:                           ;   in Loop: Header=BB226_998 Depth=1
	s_or_b32 exec_lo, exec_lo, s9
.LBB226_1063:                           ;   in Loop: Header=BB226_998 Depth=1
	s_delay_alu instid0(SALU_CYCLE_1)
	s_or_b32 exec_lo, exec_lo, s8
.LBB226_1064:                           ;   in Loop: Header=BB226_998 Depth=1
	s_delay_alu instid0(SALU_CYCLE_1) | instskip(SKIP_4) | instid1(VALU_DEP_3)
	s_or_b32 exec_lo, exec_lo, s3
	v_or_b32_e32 v1, v1, v11
	v_or_b32_e32 v0, v0, v10
	;; [unrolled: 1-line block ×4, first 2 shown]
	v_pk_mul_f32 v[0:1], v[50:51], v[0:1]
	scratch_store_b64 off, v[0:1], s32 offset:236 ; 8-byte Folded Spill
	s_wait_xcnt 0x0
	v_pk_mul_f32 v[0:1], v[50:51], v[10:11]
	scratch_store_b64 off, v[0:1], s32 offset:228 ; 8-byte Folded Spill
	s_wait_xcnt 0x0
	s_and_saveexec_b32 s3, vcc_lo
	s_cbranch_execz .LBB226_1066
; %bb.1065:                             ;   in Loop: Header=BB226_998 Depth=1
	s_clause 0x1
	scratch_load_b64 v[0:1], off, s32 offset:200
	scratch_load_b64 v[10:11], off, s32 offset:236 th:TH_LOAD_LU
	s_wait_loadcnt 0x1
	v_cmp_lt_i32_e64 s0, v21, v0
	s_wait_loadcnt 0x0
	s_delay_alu instid0(VALU_DEP_1) | instskip(SKIP_1) | instid1(VALU_DEP_1)
	v_cndmask_b32_e64 v10, 0, v10, s0
	v_cmp_lt_i32_e64 s0, v43, v0
	v_cndmask_b32_e64 v11, 0, v11, s0
	v_cmp_lt_i32_e64 s0, v45, v0
	s_clause 0x1
	scratch_store_b64 off, v[10:11], s32 offset:236
	scratch_load_b64 v[10:11], off, s32 offset:228 th:TH_LOAD_LU
	s_wait_loadcnt 0x0
	v_cndmask_b32_e64 v10, 0, v10, s0
	v_cmp_lt_i32_e64 s0, v44, v0
	s_delay_alu instid0(VALU_DEP_1)
	v_cndmask_b32_e64 v11, 0, v11, s0
	scratch_store_b64 off, v[10:11], s32 offset:228 ; 8-byte Folded Spill
.LBB226_1066:                           ;   in Loop: Header=BB226_998 Depth=1
	s_wait_xcnt 0x0
	s_or_b32 exec_lo, exec_lo, s3
	flat_load_b32 v54, v[68:69] offset:256
	v_mov_b64_e32 v[0:1], 0
	v_mov_b64_e32 v[10:11], 0
	s_mov_b32 s3, exec_lo
	s_wait_loadcnt_dscnt 0x0
	v_and_b32_e32 v22, 0xff, v54
	s_wait_xcnt 0x0
	s_delay_alu instid0(VALU_DEP_1)
	v_cmpx_ne_u16_e32 0, v22
	s_cbranch_execz .LBB226_1074
; %bb.1067:                             ;   in Loop: Header=BB226_998 Depth=1
	v_mov_b64_e32 v[10:11], 0x80000000
	s_mov_b32 s8, exec_lo
	v_cmpx_ne_u16_e32 0x80, v22
	s_cbranch_execz .LBB226_1073
; %bb.1068:                             ;   in Loop: Header=BB226_998 Depth=1
	v_mov_b64_e32 v[10:11], 0x7f800001
	v_and_b32_e32 v22, 0x7f, v54
	s_mov_b32 s9, exec_lo
	s_delay_alu instid0(VALU_DEP_1)
	v_cmpx_ne_u32_e32 0x7f, v22
	s_cbranch_execz .LBB226_1072
; %bb.1069:                             ;   in Loop: Header=BB226_998 Depth=1
	v_and_b32_e32 v40, 7, v54
	v_lshrrev_b32_e32 v10, 3, v22
	s_mov_b32 s16, exec_lo
	v_cmpx_gt_u32_e32 8, v22
; %bb.1070:                             ;   in Loop: Header=BB226_998 Depth=1
	s_delay_alu instid0(VALU_DEP_3) | instskip(NEXT) | instid1(VALU_DEP_1)
	v_clz_i32_u32_e32 v10, v40
	v_min_u32_e32 v10, 32, v10
	s_delay_alu instid0(VALU_DEP_1) | instskip(SKIP_1) | instid1(VALU_DEP_2)
	v_subrev_nc_u32_e32 v11, 28, v10
	v_sub_nc_u32_e32 v10, 29, v10
	v_lshlrev_b64_e32 v[22:23], v11, v[40:41]
	s_delay_alu instid0(VALU_DEP_1)
	v_and_b32_e32 v40, 7, v22
; %bb.1071:                             ;   in Loop: Header=BB226_998 Depth=1
	s_or_b32 exec_lo, exec_lo, s16
	s_delay_alu instid0(VALU_DEP_1) | instskip(SKIP_1) | instid1(VALU_DEP_2)
	v_dual_lshlrev_b32 v11, 24, v54 :: v_dual_lshlrev_b32 v20, 20, v40
	v_lshl_add_u32 v10, v10, 23, 0x3c000000
	v_and_b32_e32 v11, 0x80000000, v11
	s_delay_alu instid0(VALU_DEP_1) | instskip(NEXT) | instid1(VALU_DEP_1)
	v_or3_b32 v40, v20, v11, v10
	v_mov_b64_e32 v[10:11], v[40:41]
.LBB226_1072:                           ;   in Loop: Header=BB226_998 Depth=1
	s_or_b32 exec_lo, exec_lo, s9
.LBB226_1073:                           ;   in Loop: Header=BB226_998 Depth=1
	s_delay_alu instid0(SALU_CYCLE_1)
	s_or_b32 exec_lo, exec_lo, s8
.LBB226_1074:                           ;   in Loop: Header=BB226_998 Depth=1
	s_delay_alu instid0(SALU_CYCLE_1) | instskip(SKIP_2) | instid1(VALU_DEP_1)
	s_or_b32 exec_lo, exec_lo, s3
	v_lshrrev_b16 v22, 8, v54
	s_mov_b32 s3, exec_lo
	v_cmpx_ne_u16_e32 0, v22
	s_cbranch_execz .LBB226_1082
; %bb.1075:                             ;   in Loop: Header=BB226_998 Depth=1
	v_mov_b64_e32 v[0:1], 0x8000000000000000
	s_mov_b32 s8, exec_lo
	v_cmpx_ne_u16_e32 0x80, v22
	s_cbranch_execz .LBB226_1081
; %bb.1076:                             ;   in Loop: Header=BB226_998 Depth=1
	v_and_b32_e32 v23, 0xffff, v22
	v_mov_b64_e32 v[0:1], 0x7f80000100000000
	s_mov_b32 s9, exec_lo
	s_delay_alu instid0(VALU_DEP_2) | instskip(NEXT) | instid1(VALU_DEP_1)
	v_and_b32_e32 v22, 0x7f, v23
	v_cmpx_ne_u32_e32 0x7f, v22
	s_cbranch_execz .LBB226_1080
; %bb.1077:                             ;   in Loop: Header=BB226_998 Depth=1
	v_dual_lshrrev_b32 v0, 3, v22 :: v_dual_bitop2_b32 v40, 7, v23 bitop3:0x40
	s_mov_b32 s16, exec_lo
	v_cmpx_gt_u32_e32 8, v22
; %bb.1078:                             ;   in Loop: Header=BB226_998 Depth=1
	s_delay_alu instid0(VALU_DEP_2) | instskip(NEXT) | instid1(VALU_DEP_1)
	v_clz_i32_u32_e32 v0, v40
	v_min_u32_e32 v0, 32, v0
	s_delay_alu instid0(VALU_DEP_1) | instskip(NEXT) | instid1(VALU_DEP_1)
	v_subrev_nc_u32_e32 v1, 28, v0
	v_lshlrev_b64_e32 v[22:23], v1, v[40:41]
	s_delay_alu instid0(VALU_DEP_1)
	v_dual_sub_nc_u32 v0, 29, v0 :: v_dual_bitop2_b32 v40, 7, v22 bitop3:0x40
; %bb.1079:                             ;   in Loop: Header=BB226_998 Depth=1
	s_or_b32 exec_lo, exec_lo, s16
	s_delay_alu instid0(VALU_DEP_1) | instskip(NEXT) | instid1(VALU_DEP_2)
	v_dual_lshlrev_b32 v1, 16, v54 :: v_dual_lshlrev_b32 v20, 20, v40
	v_lshl_add_u32 v0, v0, 23, 0x3c000000
	s_delay_alu instid0(VALU_DEP_2) | instskip(NEXT) | instid1(VALU_DEP_1)
	v_and_b32_e32 v1, 0x80000000, v1
	v_or3_b32 v1, v20, v1, v0
	v_mov_b32_e32 v0, v41
.LBB226_1080:                           ;   in Loop: Header=BB226_998 Depth=1
	s_or_b32 exec_lo, exec_lo, s9
.LBB226_1081:                           ;   in Loop: Header=BB226_998 Depth=1
	s_delay_alu instid0(SALU_CYCLE_1)
	s_or_b32 exec_lo, exec_lo, s8
.LBB226_1082:                           ;   in Loop: Header=BB226_998 Depth=1
	s_delay_alu instid0(SALU_CYCLE_1) | instskip(SKIP_4) | instid1(VALU_DEP_3)
	s_or_b32 exec_lo, exec_lo, s3
	v_lshrrev_b32_e32 v55, 16, v54
	v_mov_b64_e32 v[52:53], 0
	v_mov_b64_e32 v[22:23], 0
	s_mov_b32 s3, exec_lo
	v_and_b32_e32 v64, 0xff, v55
	s_delay_alu instid0(VALU_DEP_1)
	v_cmpx_ne_u16_e32 0, v64
	s_cbranch_execz .LBB226_1090
; %bb.1083:                             ;   in Loop: Header=BB226_998 Depth=1
	v_mov_b64_e32 v[22:23], 0x80000000
	s_mov_b32 s8, exec_lo
	v_cmpx_ne_u16_e32 0x80, v64
	s_cbranch_execz .LBB226_1089
; %bb.1084:                             ;   in Loop: Header=BB226_998 Depth=1
	v_mov_b64_e32 v[22:23], 0x7f800001
	v_bfe_u32 v64, v54, 16, 7
	s_mov_b32 s9, exec_lo
	s_delay_alu instid0(VALU_DEP_1)
	v_cmpx_ne_u32_e32 0x7f, v64
	s_cbranch_execz .LBB226_1088
; %bb.1085:                             ;   in Loop: Header=BB226_998 Depth=1
	v_dual_lshrrev_b32 v22, 3, v64 :: v_dual_bitop2_b32 v40, 7, v55 bitop3:0x40
	s_mov_b32 s16, exec_lo
	v_cmpx_gt_u32_e32 8, v64
; %bb.1086:                             ;   in Loop: Header=BB226_998 Depth=1
	s_delay_alu instid0(VALU_DEP_2) | instskip(NEXT) | instid1(VALU_DEP_1)
	v_clz_i32_u32_e32 v20, v40
	v_min_u32_e32 v20, 32, v20
	s_delay_alu instid0(VALU_DEP_1) | instskip(NEXT) | instid1(VALU_DEP_1)
	v_subrev_nc_u32_e32 v22, 28, v20
	v_lshlrev_b64_e32 v[64:65], v22, v[40:41]
	v_sub_nc_u32_e32 v22, 29, v20
	s_delay_alu instid0(VALU_DEP_2)
	v_and_b32_e32 v40, 7, v64
; %bb.1087:                             ;   in Loop: Header=BB226_998 Depth=1
	s_or_b32 exec_lo, exec_lo, s16
	s_delay_alu instid0(VALU_DEP_1) | instskip(NEXT) | instid1(VALU_DEP_3)
	v_dual_lshlrev_b32 v20, 24, v55 :: v_dual_lshlrev_b32 v23, 20, v40
	v_lshl_add_u32 v22, v22, 23, 0x3c000000
	s_delay_alu instid0(VALU_DEP_2) | instskip(NEXT) | instid1(VALU_DEP_1)
	v_and_b32_e32 v20, 0x80000000, v20
	v_or3_b32 v40, v23, v20, v22
	s_delay_alu instid0(VALU_DEP_1)
	v_mov_b64_e32 v[22:23], v[40:41]
.LBB226_1088:                           ;   in Loop: Header=BB226_998 Depth=1
	s_or_b32 exec_lo, exec_lo, s9
.LBB226_1089:                           ;   in Loop: Header=BB226_998 Depth=1
	s_delay_alu instid0(SALU_CYCLE_1)
	s_or_b32 exec_lo, exec_lo, s8
.LBB226_1090:                           ;   in Loop: Header=BB226_998 Depth=1
	s_delay_alu instid0(SALU_CYCLE_1) | instskip(NEXT) | instid1(SALU_CYCLE_1)
	s_or_b32 exec_lo, exec_lo, s3
	s_mov_b32 s3, exec_lo
	v_cmpx_lt_u32_e32 0xffffff, v54
	s_cbranch_execz .LBB226_1098
; %bb.1091:                             ;   in Loop: Header=BB226_998 Depth=1
	v_mov_b64_e32 v[52:53], 0x8000000000000000
	v_lshrrev_b32_e32 v55, 24, v54
	s_mov_b32 s8, exec_lo
	s_delay_alu instid0(VALU_DEP_1)
	v_cmpx_ne_u32_e32 0x80, v55
	s_cbranch_execz .LBB226_1097
; %bb.1092:                             ;   in Loop: Header=BB226_998 Depth=1
	v_mov_b64_e32 v[52:53], 0x7f80000100000000
	v_bfe_u32 v54, v54, 24, 7
	s_mov_b32 s9, exec_lo
	s_delay_alu instid0(VALU_DEP_1)
	v_cmpx_ne_u32_e32 0x7f, v54
	s_cbranch_execz .LBB226_1096
; %bb.1093:                             ;   in Loop: Header=BB226_998 Depth=1
	v_dual_lshrrev_b32 v52, 3, v54 :: v_dual_bitop2_b32 v40, 7, v55 bitop3:0x40
	s_mov_b32 s16, exec_lo
	v_cmpx_gt_u32_e32 8, v54
; %bb.1094:                             ;   in Loop: Header=BB226_998 Depth=1
	s_delay_alu instid0(VALU_DEP_2) | instskip(NEXT) | instid1(VALU_DEP_1)
	v_clz_i32_u32_e32 v20, v40
	v_min_u32_e32 v20, 32, v20
	s_delay_alu instid0(VALU_DEP_1) | instskip(NEXT) | instid1(VALU_DEP_1)
	v_subrev_nc_u32_e32 v52, 28, v20
	v_lshlrev_b64_e32 v[64:65], v52, v[40:41]
	v_sub_nc_u32_e32 v52, 29, v20
	s_delay_alu instid0(VALU_DEP_2)
	v_and_b32_e32 v40, 7, v64
; %bb.1095:                             ;   in Loop: Header=BB226_998 Depth=1
	s_or_b32 exec_lo, exec_lo, s16
	s_delay_alu instid0(VALU_DEP_1) | instskip(NEXT) | instid1(VALU_DEP_3)
	v_dual_lshlrev_b32 v20, 24, v55 :: v_dual_lshlrev_b32 v53, 20, v40
	v_lshl_add_u32 v52, v52, 23, 0x3c000000
	s_delay_alu instid0(VALU_DEP_2) | instskip(NEXT) | instid1(VALU_DEP_1)
	v_and_b32_e32 v20, 0x80000000, v20
	v_or3_b32 v53, v53, v20, v52
	v_mov_b32_e32 v52, v41
.LBB226_1096:                           ;   in Loop: Header=BB226_998 Depth=1
	s_or_b32 exec_lo, exec_lo, s9
.LBB226_1097:                           ;   in Loop: Header=BB226_998 Depth=1
	s_delay_alu instid0(SALU_CYCLE_1)
	s_or_b32 exec_lo, exec_lo, s8
.LBB226_1098:                           ;   in Loop: Header=BB226_998 Depth=1
	s_delay_alu instid0(SALU_CYCLE_1) | instskip(SKIP_4) | instid1(VALU_DEP_3)
	s_or_b32 exec_lo, exec_lo, s3
	v_or_b32_e32 v1, v1, v11
	v_or_b32_e32 v0, v0, v10
	;; [unrolled: 1-line block ×4, first 2 shown]
	v_pk_mul_f32 v[0:1], v[50:51], v[0:1]
	scratch_store_b64 off, v[0:1], s32 offset:252 ; 8-byte Folded Spill
	s_wait_xcnt 0x0
	v_pk_mul_f32 v[0:1], v[50:51], v[10:11]
	scratch_store_b64 off, v[0:1], s32 offset:244 ; 8-byte Folded Spill
	s_wait_xcnt 0x0
	s_and_saveexec_b32 s3, vcc_lo
	s_cbranch_execz .LBB226_1100
; %bb.1099:                             ;   in Loop: Header=BB226_998 Depth=1
	s_clause 0x1
	scratch_load_b64 v[0:1], off, s32 offset:200
	scratch_load_b64 v[10:11], off, s32 offset:252 th:TH_LOAD_LU
	s_wait_loadcnt 0x1
	v_cmp_lt_i32_e64 s0, v21, v0
	s_wait_loadcnt 0x0
	s_delay_alu instid0(VALU_DEP_1) | instskip(SKIP_1) | instid1(VALU_DEP_1)
	v_cndmask_b32_e64 v10, 0, v10, s0
	v_cmp_lt_i32_e64 s0, v43, v0
	v_cndmask_b32_e64 v11, 0, v11, s0
	v_cmp_lt_i32_e64 s0, v45, v0
	s_clause 0x1
	scratch_store_b64 off, v[10:11], s32 offset:252
	scratch_load_b64 v[10:11], off, s32 offset:244 th:TH_LOAD_LU
	s_wait_loadcnt 0x0
	v_cndmask_b32_e64 v10, 0, v10, s0
	v_cmp_lt_i32_e64 s0, v44, v0
	s_delay_alu instid0(VALU_DEP_1)
	v_cndmask_b32_e64 v11, 0, v11, s0
	scratch_store_b64 off, v[10:11], s32 offset:244 ; 8-byte Folded Spill
.LBB226_1100:                           ;   in Loop: Header=BB226_998 Depth=1
	s_wait_xcnt 0x0
	s_or_b32 exec_lo, exec_lo, s3
	flat_load_b32 v54, v[68:69] offset:384
	v_mov_b64_e32 v[0:1], 0
	v_mov_b64_e32 v[10:11], 0
	s_mov_b32 s3, exec_lo
	s_wait_loadcnt_dscnt 0x0
	v_and_b32_e32 v22, 0xff, v54
	s_wait_xcnt 0x0
	s_delay_alu instid0(VALU_DEP_1)
	v_cmpx_ne_u16_e32 0, v22
	s_cbranch_execz .LBB226_1108
; %bb.1101:                             ;   in Loop: Header=BB226_998 Depth=1
	v_mov_b64_e32 v[10:11], 0x80000000
	s_mov_b32 s8, exec_lo
	v_cmpx_ne_u16_e32 0x80, v22
	s_cbranch_execz .LBB226_1107
; %bb.1102:                             ;   in Loop: Header=BB226_998 Depth=1
	v_mov_b64_e32 v[10:11], 0x7f800001
	v_and_b32_e32 v22, 0x7f, v54
	s_mov_b32 s9, exec_lo
	s_delay_alu instid0(VALU_DEP_1)
	v_cmpx_ne_u32_e32 0x7f, v22
	s_cbranch_execz .LBB226_1106
; %bb.1103:                             ;   in Loop: Header=BB226_998 Depth=1
	v_and_b32_e32 v40, 7, v54
	v_lshrrev_b32_e32 v10, 3, v22
	s_mov_b32 s16, exec_lo
	v_cmpx_gt_u32_e32 8, v22
; %bb.1104:                             ;   in Loop: Header=BB226_998 Depth=1
	s_delay_alu instid0(VALU_DEP_3) | instskip(NEXT) | instid1(VALU_DEP_1)
	v_clz_i32_u32_e32 v10, v40
	v_min_u32_e32 v10, 32, v10
	s_delay_alu instid0(VALU_DEP_1) | instskip(SKIP_1) | instid1(VALU_DEP_2)
	v_subrev_nc_u32_e32 v11, 28, v10
	v_sub_nc_u32_e32 v10, 29, v10
	v_lshlrev_b64_e32 v[22:23], v11, v[40:41]
	s_delay_alu instid0(VALU_DEP_1)
	v_and_b32_e32 v40, 7, v22
; %bb.1105:                             ;   in Loop: Header=BB226_998 Depth=1
	s_or_b32 exec_lo, exec_lo, s16
	s_delay_alu instid0(VALU_DEP_1) | instskip(SKIP_1) | instid1(VALU_DEP_2)
	v_dual_lshlrev_b32 v11, 24, v54 :: v_dual_lshlrev_b32 v20, 20, v40
	v_lshl_add_u32 v10, v10, 23, 0x3c000000
	v_and_b32_e32 v11, 0x80000000, v11
	s_delay_alu instid0(VALU_DEP_1) | instskip(NEXT) | instid1(VALU_DEP_1)
	v_or3_b32 v40, v20, v11, v10
	v_mov_b64_e32 v[10:11], v[40:41]
.LBB226_1106:                           ;   in Loop: Header=BB226_998 Depth=1
	s_or_b32 exec_lo, exec_lo, s9
.LBB226_1107:                           ;   in Loop: Header=BB226_998 Depth=1
	s_delay_alu instid0(SALU_CYCLE_1)
	s_or_b32 exec_lo, exec_lo, s8
.LBB226_1108:                           ;   in Loop: Header=BB226_998 Depth=1
	s_delay_alu instid0(SALU_CYCLE_1) | instskip(SKIP_2) | instid1(VALU_DEP_1)
	s_or_b32 exec_lo, exec_lo, s3
	v_lshrrev_b16 v22, 8, v54
	s_mov_b32 s3, exec_lo
	v_cmpx_ne_u16_e32 0, v22
	s_cbranch_execz .LBB226_1116
; %bb.1109:                             ;   in Loop: Header=BB226_998 Depth=1
	v_mov_b64_e32 v[0:1], 0x8000000000000000
	s_mov_b32 s8, exec_lo
	v_cmpx_ne_u16_e32 0x80, v22
	s_cbranch_execz .LBB226_1115
; %bb.1110:                             ;   in Loop: Header=BB226_998 Depth=1
	v_and_b32_e32 v23, 0xffff, v22
	v_mov_b64_e32 v[0:1], 0x7f80000100000000
	s_mov_b32 s9, exec_lo
	s_delay_alu instid0(VALU_DEP_2) | instskip(NEXT) | instid1(VALU_DEP_1)
	v_and_b32_e32 v22, 0x7f, v23
	v_cmpx_ne_u32_e32 0x7f, v22
	s_cbranch_execz .LBB226_1114
; %bb.1111:                             ;   in Loop: Header=BB226_998 Depth=1
	v_dual_lshrrev_b32 v0, 3, v22 :: v_dual_bitop2_b32 v40, 7, v23 bitop3:0x40
	s_mov_b32 s16, exec_lo
	v_cmpx_gt_u32_e32 8, v22
; %bb.1112:                             ;   in Loop: Header=BB226_998 Depth=1
	s_delay_alu instid0(VALU_DEP_2) | instskip(NEXT) | instid1(VALU_DEP_1)
	v_clz_i32_u32_e32 v0, v40
	v_min_u32_e32 v0, 32, v0
	s_delay_alu instid0(VALU_DEP_1) | instskip(NEXT) | instid1(VALU_DEP_1)
	v_subrev_nc_u32_e32 v1, 28, v0
	v_lshlrev_b64_e32 v[22:23], v1, v[40:41]
	s_delay_alu instid0(VALU_DEP_1)
	v_dual_sub_nc_u32 v0, 29, v0 :: v_dual_bitop2_b32 v40, 7, v22 bitop3:0x40
; %bb.1113:                             ;   in Loop: Header=BB226_998 Depth=1
	s_or_b32 exec_lo, exec_lo, s16
	s_delay_alu instid0(VALU_DEP_1) | instskip(NEXT) | instid1(VALU_DEP_2)
	v_dual_lshlrev_b32 v1, 16, v54 :: v_dual_lshlrev_b32 v20, 20, v40
	v_lshl_add_u32 v0, v0, 23, 0x3c000000
	s_delay_alu instid0(VALU_DEP_2) | instskip(NEXT) | instid1(VALU_DEP_1)
	v_and_b32_e32 v1, 0x80000000, v1
	v_or3_b32 v1, v20, v1, v0
	v_mov_b32_e32 v0, v41
.LBB226_1114:                           ;   in Loop: Header=BB226_998 Depth=1
	s_or_b32 exec_lo, exec_lo, s9
.LBB226_1115:                           ;   in Loop: Header=BB226_998 Depth=1
	s_delay_alu instid0(SALU_CYCLE_1)
	s_or_b32 exec_lo, exec_lo, s8
.LBB226_1116:                           ;   in Loop: Header=BB226_998 Depth=1
	s_delay_alu instid0(SALU_CYCLE_1) | instskip(SKIP_4) | instid1(VALU_DEP_3)
	s_or_b32 exec_lo, exec_lo, s3
	v_lshrrev_b32_e32 v55, 16, v54
	v_mov_b64_e32 v[52:53], 0
	v_mov_b64_e32 v[22:23], 0
	s_mov_b32 s3, exec_lo
	v_and_b32_e32 v64, 0xff, v55
	s_delay_alu instid0(VALU_DEP_1)
	v_cmpx_ne_u16_e32 0, v64
	s_cbranch_execz .LBB226_1124
; %bb.1117:                             ;   in Loop: Header=BB226_998 Depth=1
	v_mov_b64_e32 v[22:23], 0x80000000
	s_mov_b32 s8, exec_lo
	v_cmpx_ne_u16_e32 0x80, v64
	s_cbranch_execz .LBB226_1123
; %bb.1118:                             ;   in Loop: Header=BB226_998 Depth=1
	v_mov_b64_e32 v[22:23], 0x7f800001
	v_bfe_u32 v64, v54, 16, 7
	s_mov_b32 s9, exec_lo
	s_delay_alu instid0(VALU_DEP_1)
	v_cmpx_ne_u32_e32 0x7f, v64
	s_cbranch_execz .LBB226_1122
; %bb.1119:                             ;   in Loop: Header=BB226_998 Depth=1
	v_dual_lshrrev_b32 v22, 3, v64 :: v_dual_bitop2_b32 v40, 7, v55 bitop3:0x40
	s_mov_b32 s16, exec_lo
	v_cmpx_gt_u32_e32 8, v64
; %bb.1120:                             ;   in Loop: Header=BB226_998 Depth=1
	s_delay_alu instid0(VALU_DEP_2) | instskip(NEXT) | instid1(VALU_DEP_1)
	v_clz_i32_u32_e32 v20, v40
	v_min_u32_e32 v20, 32, v20
	s_delay_alu instid0(VALU_DEP_1) | instskip(NEXT) | instid1(VALU_DEP_1)
	v_subrev_nc_u32_e32 v22, 28, v20
	v_lshlrev_b64_e32 v[64:65], v22, v[40:41]
	v_sub_nc_u32_e32 v22, 29, v20
	s_delay_alu instid0(VALU_DEP_2)
	v_and_b32_e32 v40, 7, v64
; %bb.1121:                             ;   in Loop: Header=BB226_998 Depth=1
	s_or_b32 exec_lo, exec_lo, s16
	s_delay_alu instid0(VALU_DEP_1) | instskip(NEXT) | instid1(VALU_DEP_3)
	v_dual_lshlrev_b32 v20, 24, v55 :: v_dual_lshlrev_b32 v23, 20, v40
	v_lshl_add_u32 v22, v22, 23, 0x3c000000
	s_delay_alu instid0(VALU_DEP_2) | instskip(NEXT) | instid1(VALU_DEP_1)
	v_and_b32_e32 v20, 0x80000000, v20
	v_or3_b32 v40, v23, v20, v22
	s_delay_alu instid0(VALU_DEP_1)
	v_mov_b64_e32 v[22:23], v[40:41]
.LBB226_1122:                           ;   in Loop: Header=BB226_998 Depth=1
	s_or_b32 exec_lo, exec_lo, s9
.LBB226_1123:                           ;   in Loop: Header=BB226_998 Depth=1
	s_delay_alu instid0(SALU_CYCLE_1)
	s_or_b32 exec_lo, exec_lo, s8
.LBB226_1124:                           ;   in Loop: Header=BB226_998 Depth=1
	s_delay_alu instid0(SALU_CYCLE_1) | instskip(NEXT) | instid1(SALU_CYCLE_1)
	s_or_b32 exec_lo, exec_lo, s3
	s_mov_b32 s3, exec_lo
	v_cmpx_lt_u32_e32 0xffffff, v54
	s_cbranch_execz .LBB226_1132
; %bb.1125:                             ;   in Loop: Header=BB226_998 Depth=1
	v_mov_b64_e32 v[52:53], 0x8000000000000000
	v_lshrrev_b32_e32 v55, 24, v54
	s_mov_b32 s8, exec_lo
	s_delay_alu instid0(VALU_DEP_1)
	v_cmpx_ne_u32_e32 0x80, v55
	s_cbranch_execz .LBB226_1131
; %bb.1126:                             ;   in Loop: Header=BB226_998 Depth=1
	v_mov_b64_e32 v[52:53], 0x7f80000100000000
	v_bfe_u32 v54, v54, 24, 7
	s_mov_b32 s9, exec_lo
	s_delay_alu instid0(VALU_DEP_1)
	v_cmpx_ne_u32_e32 0x7f, v54
	s_cbranch_execz .LBB226_1130
; %bb.1127:                             ;   in Loop: Header=BB226_998 Depth=1
	v_dual_lshrrev_b32 v52, 3, v54 :: v_dual_bitop2_b32 v40, 7, v55 bitop3:0x40
	s_mov_b32 s16, exec_lo
	v_cmpx_gt_u32_e32 8, v54
; %bb.1128:                             ;   in Loop: Header=BB226_998 Depth=1
	s_delay_alu instid0(VALU_DEP_2) | instskip(NEXT) | instid1(VALU_DEP_1)
	v_clz_i32_u32_e32 v20, v40
	v_min_u32_e32 v20, 32, v20
	s_delay_alu instid0(VALU_DEP_1) | instskip(NEXT) | instid1(VALU_DEP_1)
	v_subrev_nc_u32_e32 v52, 28, v20
	v_lshlrev_b64_e32 v[64:65], v52, v[40:41]
	v_sub_nc_u32_e32 v52, 29, v20
	s_delay_alu instid0(VALU_DEP_2)
	v_and_b32_e32 v40, 7, v64
; %bb.1129:                             ;   in Loop: Header=BB226_998 Depth=1
	s_or_b32 exec_lo, exec_lo, s16
	s_delay_alu instid0(VALU_DEP_1) | instskip(NEXT) | instid1(VALU_DEP_3)
	v_dual_lshlrev_b32 v20, 24, v55 :: v_dual_lshlrev_b32 v53, 20, v40
	v_lshl_add_u32 v52, v52, 23, 0x3c000000
	s_delay_alu instid0(VALU_DEP_2) | instskip(NEXT) | instid1(VALU_DEP_1)
	v_and_b32_e32 v20, 0x80000000, v20
	v_or3_b32 v53, v53, v20, v52
	v_mov_b32_e32 v52, v41
.LBB226_1130:                           ;   in Loop: Header=BB226_998 Depth=1
	s_or_b32 exec_lo, exec_lo, s9
.LBB226_1131:                           ;   in Loop: Header=BB226_998 Depth=1
	s_delay_alu instid0(SALU_CYCLE_1)
	s_or_b32 exec_lo, exec_lo, s8
.LBB226_1132:                           ;   in Loop: Header=BB226_998 Depth=1
	s_delay_alu instid0(SALU_CYCLE_1) | instskip(SKIP_4) | instid1(VALU_DEP_3)
	s_or_b32 exec_lo, exec_lo, s3
	v_or_b32_e32 v1, v1, v11
	v_or_b32_e32 v0, v0, v10
	;; [unrolled: 1-line block ×4, first 2 shown]
	v_pk_mul_f32 v[0:1], v[50:51], v[0:1]
	scratch_store_b64 off, v[0:1], s32 offset:268 ; 8-byte Folded Spill
	s_wait_xcnt 0x0
	v_pk_mul_f32 v[0:1], v[50:51], v[10:11]
	scratch_store_b64 off, v[0:1], s32 offset:260 ; 8-byte Folded Spill
	s_wait_xcnt 0x0
	s_and_saveexec_b32 s3, vcc_lo
	s_cbranch_execz .LBB226_1134
; %bb.1133:                             ;   in Loop: Header=BB226_998 Depth=1
	s_clause 0x1
	scratch_load_b64 v[0:1], off, s32 offset:200
	scratch_load_b64 v[10:11], off, s32 offset:268 th:TH_LOAD_LU
	s_wait_loadcnt 0x1
	v_cmp_lt_i32_e64 s0, v21, v0
	s_wait_loadcnt 0x0
	s_delay_alu instid0(VALU_DEP_1) | instskip(SKIP_1) | instid1(VALU_DEP_1)
	v_cndmask_b32_e64 v10, 0, v10, s0
	v_cmp_lt_i32_e64 s0, v43, v0
	v_cndmask_b32_e64 v11, 0, v11, s0
	v_cmp_lt_i32_e64 s0, v45, v0
	s_clause 0x1
	scratch_store_b64 off, v[10:11], s32 offset:268
	scratch_load_b64 v[10:11], off, s32 offset:260 th:TH_LOAD_LU
	s_wait_loadcnt 0x0
	v_cndmask_b32_e64 v10, 0, v10, s0
	v_cmp_lt_i32_e64 s0, v44, v0
	s_delay_alu instid0(VALU_DEP_1)
	v_cndmask_b32_e64 v11, 0, v11, s0
	scratch_store_b64 off, v[10:11], s32 offset:260 ; 8-byte Folded Spill
.LBB226_1134:                           ;   in Loop: Header=BB226_998 Depth=1
	s_wait_xcnt 0x0
	s_or_b32 exec_lo, exec_lo, s3
	flat_load_b32 v54, v[68:69] offset:512
	v_mov_b64_e32 v[0:1], 0
	v_mov_b64_e32 v[10:11], 0
	s_mov_b32 s3, exec_lo
	s_wait_loadcnt_dscnt 0x0
	v_and_b32_e32 v22, 0xff, v54
	s_wait_xcnt 0x0
	s_delay_alu instid0(VALU_DEP_1)
	v_cmpx_ne_u16_e32 0, v22
	s_cbranch_execz .LBB226_1142
; %bb.1135:                             ;   in Loop: Header=BB226_998 Depth=1
	v_mov_b64_e32 v[10:11], 0x80000000
	s_mov_b32 s8, exec_lo
	v_cmpx_ne_u16_e32 0x80, v22
	s_cbranch_execz .LBB226_1141
; %bb.1136:                             ;   in Loop: Header=BB226_998 Depth=1
	v_mov_b64_e32 v[10:11], 0x7f800001
	v_and_b32_e32 v22, 0x7f, v54
	s_mov_b32 s9, exec_lo
	s_delay_alu instid0(VALU_DEP_1)
	v_cmpx_ne_u32_e32 0x7f, v22
	s_cbranch_execz .LBB226_1140
; %bb.1137:                             ;   in Loop: Header=BB226_998 Depth=1
	v_and_b32_e32 v40, 7, v54
	v_lshrrev_b32_e32 v10, 3, v22
	s_mov_b32 s16, exec_lo
	v_cmpx_gt_u32_e32 8, v22
; %bb.1138:                             ;   in Loop: Header=BB226_998 Depth=1
	s_delay_alu instid0(VALU_DEP_3) | instskip(NEXT) | instid1(VALU_DEP_1)
	v_clz_i32_u32_e32 v10, v40
	v_min_u32_e32 v10, 32, v10
	s_delay_alu instid0(VALU_DEP_1) | instskip(SKIP_1) | instid1(VALU_DEP_2)
	v_subrev_nc_u32_e32 v11, 28, v10
	v_sub_nc_u32_e32 v10, 29, v10
	v_lshlrev_b64_e32 v[22:23], v11, v[40:41]
	s_delay_alu instid0(VALU_DEP_1)
	v_and_b32_e32 v40, 7, v22
; %bb.1139:                             ;   in Loop: Header=BB226_998 Depth=1
	s_or_b32 exec_lo, exec_lo, s16
	s_delay_alu instid0(VALU_DEP_1) | instskip(SKIP_1) | instid1(VALU_DEP_2)
	v_dual_lshlrev_b32 v11, 24, v54 :: v_dual_lshlrev_b32 v20, 20, v40
	v_lshl_add_u32 v10, v10, 23, 0x3c000000
	v_and_b32_e32 v11, 0x80000000, v11
	s_delay_alu instid0(VALU_DEP_1) | instskip(NEXT) | instid1(VALU_DEP_1)
	v_or3_b32 v40, v20, v11, v10
	v_mov_b64_e32 v[10:11], v[40:41]
.LBB226_1140:                           ;   in Loop: Header=BB226_998 Depth=1
	s_or_b32 exec_lo, exec_lo, s9
.LBB226_1141:                           ;   in Loop: Header=BB226_998 Depth=1
	s_delay_alu instid0(SALU_CYCLE_1)
	s_or_b32 exec_lo, exec_lo, s8
.LBB226_1142:                           ;   in Loop: Header=BB226_998 Depth=1
	s_delay_alu instid0(SALU_CYCLE_1) | instskip(SKIP_2) | instid1(VALU_DEP_1)
	s_or_b32 exec_lo, exec_lo, s3
	v_lshrrev_b16 v22, 8, v54
	s_mov_b32 s3, exec_lo
	v_cmpx_ne_u16_e32 0, v22
	s_cbranch_execz .LBB226_1150
; %bb.1143:                             ;   in Loop: Header=BB226_998 Depth=1
	v_mov_b64_e32 v[0:1], 0x8000000000000000
	s_mov_b32 s8, exec_lo
	v_cmpx_ne_u16_e32 0x80, v22
	s_cbranch_execz .LBB226_1149
; %bb.1144:                             ;   in Loop: Header=BB226_998 Depth=1
	v_and_b32_e32 v23, 0xffff, v22
	v_mov_b64_e32 v[0:1], 0x7f80000100000000
	s_mov_b32 s9, exec_lo
	s_delay_alu instid0(VALU_DEP_2) | instskip(NEXT) | instid1(VALU_DEP_1)
	v_and_b32_e32 v22, 0x7f, v23
	v_cmpx_ne_u32_e32 0x7f, v22
	s_cbranch_execz .LBB226_1148
; %bb.1145:                             ;   in Loop: Header=BB226_998 Depth=1
	v_dual_lshrrev_b32 v0, 3, v22 :: v_dual_bitop2_b32 v40, 7, v23 bitop3:0x40
	s_mov_b32 s16, exec_lo
	v_cmpx_gt_u32_e32 8, v22
; %bb.1146:                             ;   in Loop: Header=BB226_998 Depth=1
	s_delay_alu instid0(VALU_DEP_2) | instskip(NEXT) | instid1(VALU_DEP_1)
	v_clz_i32_u32_e32 v0, v40
	v_min_u32_e32 v0, 32, v0
	s_delay_alu instid0(VALU_DEP_1) | instskip(NEXT) | instid1(VALU_DEP_1)
	v_subrev_nc_u32_e32 v1, 28, v0
	v_lshlrev_b64_e32 v[22:23], v1, v[40:41]
	s_delay_alu instid0(VALU_DEP_1)
	v_dual_sub_nc_u32 v0, 29, v0 :: v_dual_bitop2_b32 v40, 7, v22 bitop3:0x40
; %bb.1147:                             ;   in Loop: Header=BB226_998 Depth=1
	s_or_b32 exec_lo, exec_lo, s16
	s_delay_alu instid0(VALU_DEP_1) | instskip(NEXT) | instid1(VALU_DEP_2)
	v_dual_lshlrev_b32 v1, 16, v54 :: v_dual_lshlrev_b32 v20, 20, v40
	v_lshl_add_u32 v0, v0, 23, 0x3c000000
	s_delay_alu instid0(VALU_DEP_2) | instskip(NEXT) | instid1(VALU_DEP_1)
	v_and_b32_e32 v1, 0x80000000, v1
	v_or3_b32 v1, v20, v1, v0
	v_mov_b32_e32 v0, v41
.LBB226_1148:                           ;   in Loop: Header=BB226_998 Depth=1
	s_or_b32 exec_lo, exec_lo, s9
.LBB226_1149:                           ;   in Loop: Header=BB226_998 Depth=1
	s_delay_alu instid0(SALU_CYCLE_1)
	s_or_b32 exec_lo, exec_lo, s8
.LBB226_1150:                           ;   in Loop: Header=BB226_998 Depth=1
	s_delay_alu instid0(SALU_CYCLE_1) | instskip(SKIP_4) | instid1(VALU_DEP_3)
	s_or_b32 exec_lo, exec_lo, s3
	v_lshrrev_b32_e32 v55, 16, v54
	v_mov_b64_e32 v[52:53], 0
	v_mov_b64_e32 v[22:23], 0
	s_mov_b32 s3, exec_lo
	v_and_b32_e32 v64, 0xff, v55
	s_delay_alu instid0(VALU_DEP_1)
	v_cmpx_ne_u16_e32 0, v64
	s_cbranch_execz .LBB226_1158
; %bb.1151:                             ;   in Loop: Header=BB226_998 Depth=1
	v_mov_b64_e32 v[22:23], 0x80000000
	s_mov_b32 s8, exec_lo
	v_cmpx_ne_u16_e32 0x80, v64
	s_cbranch_execz .LBB226_1157
; %bb.1152:                             ;   in Loop: Header=BB226_998 Depth=1
	v_mov_b64_e32 v[22:23], 0x7f800001
	v_bfe_u32 v64, v54, 16, 7
	s_mov_b32 s9, exec_lo
	s_delay_alu instid0(VALU_DEP_1)
	v_cmpx_ne_u32_e32 0x7f, v64
	s_cbranch_execz .LBB226_1156
; %bb.1153:                             ;   in Loop: Header=BB226_998 Depth=1
	v_dual_lshrrev_b32 v22, 3, v64 :: v_dual_bitop2_b32 v40, 7, v55 bitop3:0x40
	s_mov_b32 s16, exec_lo
	v_cmpx_gt_u32_e32 8, v64
; %bb.1154:                             ;   in Loop: Header=BB226_998 Depth=1
	s_delay_alu instid0(VALU_DEP_2) | instskip(NEXT) | instid1(VALU_DEP_1)
	v_clz_i32_u32_e32 v20, v40
	v_min_u32_e32 v20, 32, v20
	s_delay_alu instid0(VALU_DEP_1) | instskip(NEXT) | instid1(VALU_DEP_1)
	v_subrev_nc_u32_e32 v22, 28, v20
	v_lshlrev_b64_e32 v[64:65], v22, v[40:41]
	v_sub_nc_u32_e32 v22, 29, v20
	s_delay_alu instid0(VALU_DEP_2)
	v_and_b32_e32 v40, 7, v64
; %bb.1155:                             ;   in Loop: Header=BB226_998 Depth=1
	s_or_b32 exec_lo, exec_lo, s16
	s_delay_alu instid0(VALU_DEP_1) | instskip(NEXT) | instid1(VALU_DEP_3)
	v_dual_lshlrev_b32 v20, 24, v55 :: v_dual_lshlrev_b32 v23, 20, v40
	v_lshl_add_u32 v22, v22, 23, 0x3c000000
	s_delay_alu instid0(VALU_DEP_2) | instskip(NEXT) | instid1(VALU_DEP_1)
	v_and_b32_e32 v20, 0x80000000, v20
	v_or3_b32 v40, v23, v20, v22
	s_delay_alu instid0(VALU_DEP_1)
	v_mov_b64_e32 v[22:23], v[40:41]
.LBB226_1156:                           ;   in Loop: Header=BB226_998 Depth=1
	s_or_b32 exec_lo, exec_lo, s9
.LBB226_1157:                           ;   in Loop: Header=BB226_998 Depth=1
	s_delay_alu instid0(SALU_CYCLE_1)
	s_or_b32 exec_lo, exec_lo, s8
.LBB226_1158:                           ;   in Loop: Header=BB226_998 Depth=1
	s_delay_alu instid0(SALU_CYCLE_1) | instskip(NEXT) | instid1(SALU_CYCLE_1)
	s_or_b32 exec_lo, exec_lo, s3
	s_mov_b32 s3, exec_lo
	v_cmpx_lt_u32_e32 0xffffff, v54
	s_cbranch_execz .LBB226_1166
; %bb.1159:                             ;   in Loop: Header=BB226_998 Depth=1
	v_mov_b64_e32 v[52:53], 0x8000000000000000
	v_lshrrev_b32_e32 v55, 24, v54
	s_mov_b32 s8, exec_lo
	s_delay_alu instid0(VALU_DEP_1)
	v_cmpx_ne_u32_e32 0x80, v55
	s_cbranch_execz .LBB226_1165
; %bb.1160:                             ;   in Loop: Header=BB226_998 Depth=1
	v_mov_b64_e32 v[52:53], 0x7f80000100000000
	v_bfe_u32 v54, v54, 24, 7
	s_mov_b32 s9, exec_lo
	s_delay_alu instid0(VALU_DEP_1)
	v_cmpx_ne_u32_e32 0x7f, v54
	s_cbranch_execz .LBB226_1164
; %bb.1161:                             ;   in Loop: Header=BB226_998 Depth=1
	v_dual_lshrrev_b32 v52, 3, v54 :: v_dual_bitop2_b32 v40, 7, v55 bitop3:0x40
	s_mov_b32 s16, exec_lo
	v_cmpx_gt_u32_e32 8, v54
; %bb.1162:                             ;   in Loop: Header=BB226_998 Depth=1
	s_delay_alu instid0(VALU_DEP_2) | instskip(NEXT) | instid1(VALU_DEP_1)
	v_clz_i32_u32_e32 v20, v40
	v_min_u32_e32 v20, 32, v20
	s_delay_alu instid0(VALU_DEP_1) | instskip(NEXT) | instid1(VALU_DEP_1)
	v_subrev_nc_u32_e32 v52, 28, v20
	v_lshlrev_b64_e32 v[64:65], v52, v[40:41]
	v_sub_nc_u32_e32 v52, 29, v20
	s_delay_alu instid0(VALU_DEP_2)
	v_and_b32_e32 v40, 7, v64
; %bb.1163:                             ;   in Loop: Header=BB226_998 Depth=1
	s_or_b32 exec_lo, exec_lo, s16
	s_delay_alu instid0(VALU_DEP_1) | instskip(NEXT) | instid1(VALU_DEP_3)
	v_dual_lshlrev_b32 v20, 24, v55 :: v_dual_lshlrev_b32 v53, 20, v40
	v_lshl_add_u32 v52, v52, 23, 0x3c000000
	s_delay_alu instid0(VALU_DEP_2) | instskip(NEXT) | instid1(VALU_DEP_1)
	v_and_b32_e32 v20, 0x80000000, v20
	v_or3_b32 v53, v53, v20, v52
	v_mov_b32_e32 v52, v41
.LBB226_1164:                           ;   in Loop: Header=BB226_998 Depth=1
	s_or_b32 exec_lo, exec_lo, s9
.LBB226_1165:                           ;   in Loop: Header=BB226_998 Depth=1
	s_delay_alu instid0(SALU_CYCLE_1)
	s_or_b32 exec_lo, exec_lo, s8
.LBB226_1166:                           ;   in Loop: Header=BB226_998 Depth=1
	s_delay_alu instid0(SALU_CYCLE_1) | instskip(SKIP_4) | instid1(VALU_DEP_3)
	s_or_b32 exec_lo, exec_lo, s3
	v_or_b32_e32 v1, v1, v11
	v_or_b32_e32 v0, v0, v10
	;; [unrolled: 1-line block ×4, first 2 shown]
	v_pk_mul_f32 v[0:1], v[50:51], v[0:1]
	scratch_store_b64 off, v[0:1], s32 offset:284 ; 8-byte Folded Spill
	s_wait_xcnt 0x0
	v_pk_mul_f32 v[0:1], v[50:51], v[10:11]
	scratch_store_b64 off, v[0:1], s32 offset:276 ; 8-byte Folded Spill
	s_wait_xcnt 0x0
	s_and_saveexec_b32 s3, vcc_lo
	s_cbranch_execz .LBB226_1168
; %bb.1167:                             ;   in Loop: Header=BB226_998 Depth=1
	s_clause 0x1
	scratch_load_b64 v[0:1], off, s32 offset:200
	scratch_load_b64 v[10:11], off, s32 offset:284 th:TH_LOAD_LU
	s_wait_loadcnt 0x1
	v_cmp_lt_i32_e64 s0, v21, v0
	s_wait_loadcnt 0x0
	s_delay_alu instid0(VALU_DEP_1) | instskip(SKIP_1) | instid1(VALU_DEP_1)
	v_cndmask_b32_e64 v10, 0, v10, s0
	v_cmp_lt_i32_e64 s0, v43, v0
	v_cndmask_b32_e64 v11, 0, v11, s0
	v_cmp_lt_i32_e64 s0, v45, v0
	s_clause 0x1
	scratch_store_b64 off, v[10:11], s32 offset:284
	scratch_load_b64 v[10:11], off, s32 offset:276 th:TH_LOAD_LU
	s_wait_loadcnt 0x0
	v_cndmask_b32_e64 v10, 0, v10, s0
	v_cmp_lt_i32_e64 s0, v44, v0
	s_delay_alu instid0(VALU_DEP_1)
	v_cndmask_b32_e64 v11, 0, v11, s0
	scratch_store_b64 off, v[10:11], s32 offset:276 ; 8-byte Folded Spill
.LBB226_1168:                           ;   in Loop: Header=BB226_998 Depth=1
	s_wait_xcnt 0x0
	s_or_b32 exec_lo, exec_lo, s3
	flat_load_b32 v54, v[68:69] offset:640
	v_mov_b64_e32 v[0:1], 0
	v_mov_b64_e32 v[10:11], 0
	s_mov_b32 s3, exec_lo
	s_wait_loadcnt_dscnt 0x0
	v_and_b32_e32 v22, 0xff, v54
	s_wait_xcnt 0x0
	s_delay_alu instid0(VALU_DEP_1)
	v_cmpx_ne_u16_e32 0, v22
	s_cbranch_execz .LBB226_1176
; %bb.1169:                             ;   in Loop: Header=BB226_998 Depth=1
	v_mov_b64_e32 v[10:11], 0x80000000
	s_mov_b32 s8, exec_lo
	v_cmpx_ne_u16_e32 0x80, v22
	s_cbranch_execz .LBB226_1175
; %bb.1170:                             ;   in Loop: Header=BB226_998 Depth=1
	v_mov_b64_e32 v[10:11], 0x7f800001
	v_and_b32_e32 v22, 0x7f, v54
	s_mov_b32 s9, exec_lo
	s_delay_alu instid0(VALU_DEP_1)
	v_cmpx_ne_u32_e32 0x7f, v22
	s_cbranch_execz .LBB226_1174
; %bb.1171:                             ;   in Loop: Header=BB226_998 Depth=1
	v_and_b32_e32 v40, 7, v54
	v_lshrrev_b32_e32 v10, 3, v22
	s_mov_b32 s16, exec_lo
	v_cmpx_gt_u32_e32 8, v22
; %bb.1172:                             ;   in Loop: Header=BB226_998 Depth=1
	s_delay_alu instid0(VALU_DEP_3) | instskip(NEXT) | instid1(VALU_DEP_1)
	v_clz_i32_u32_e32 v10, v40
	v_min_u32_e32 v10, 32, v10
	s_delay_alu instid0(VALU_DEP_1) | instskip(SKIP_1) | instid1(VALU_DEP_2)
	v_subrev_nc_u32_e32 v11, 28, v10
	v_sub_nc_u32_e32 v10, 29, v10
	v_lshlrev_b64_e32 v[22:23], v11, v[40:41]
	s_delay_alu instid0(VALU_DEP_1)
	v_and_b32_e32 v40, 7, v22
; %bb.1173:                             ;   in Loop: Header=BB226_998 Depth=1
	s_or_b32 exec_lo, exec_lo, s16
	s_delay_alu instid0(VALU_DEP_1) | instskip(SKIP_1) | instid1(VALU_DEP_2)
	v_dual_lshlrev_b32 v11, 24, v54 :: v_dual_lshlrev_b32 v20, 20, v40
	v_lshl_add_u32 v10, v10, 23, 0x3c000000
	v_and_b32_e32 v11, 0x80000000, v11
	s_delay_alu instid0(VALU_DEP_1) | instskip(NEXT) | instid1(VALU_DEP_1)
	v_or3_b32 v40, v20, v11, v10
	v_mov_b64_e32 v[10:11], v[40:41]
.LBB226_1174:                           ;   in Loop: Header=BB226_998 Depth=1
	s_or_b32 exec_lo, exec_lo, s9
.LBB226_1175:                           ;   in Loop: Header=BB226_998 Depth=1
	s_delay_alu instid0(SALU_CYCLE_1)
	s_or_b32 exec_lo, exec_lo, s8
.LBB226_1176:                           ;   in Loop: Header=BB226_998 Depth=1
	s_delay_alu instid0(SALU_CYCLE_1) | instskip(SKIP_2) | instid1(VALU_DEP_1)
	s_or_b32 exec_lo, exec_lo, s3
	v_lshrrev_b16 v22, 8, v54
	s_mov_b32 s3, exec_lo
	v_cmpx_ne_u16_e32 0, v22
	s_cbranch_execz .LBB226_1184
; %bb.1177:                             ;   in Loop: Header=BB226_998 Depth=1
	v_mov_b64_e32 v[0:1], 0x8000000000000000
	s_mov_b32 s8, exec_lo
	v_cmpx_ne_u16_e32 0x80, v22
	s_cbranch_execz .LBB226_1183
; %bb.1178:                             ;   in Loop: Header=BB226_998 Depth=1
	v_and_b32_e32 v23, 0xffff, v22
	v_mov_b64_e32 v[0:1], 0x7f80000100000000
	s_mov_b32 s9, exec_lo
	s_delay_alu instid0(VALU_DEP_2) | instskip(NEXT) | instid1(VALU_DEP_1)
	v_and_b32_e32 v22, 0x7f, v23
	v_cmpx_ne_u32_e32 0x7f, v22
	s_cbranch_execz .LBB226_1182
; %bb.1179:                             ;   in Loop: Header=BB226_998 Depth=1
	v_dual_lshrrev_b32 v0, 3, v22 :: v_dual_bitop2_b32 v40, 7, v23 bitop3:0x40
	s_mov_b32 s16, exec_lo
	v_cmpx_gt_u32_e32 8, v22
; %bb.1180:                             ;   in Loop: Header=BB226_998 Depth=1
	s_delay_alu instid0(VALU_DEP_2) | instskip(NEXT) | instid1(VALU_DEP_1)
	v_clz_i32_u32_e32 v0, v40
	v_min_u32_e32 v0, 32, v0
	s_delay_alu instid0(VALU_DEP_1) | instskip(NEXT) | instid1(VALU_DEP_1)
	v_subrev_nc_u32_e32 v1, 28, v0
	v_lshlrev_b64_e32 v[22:23], v1, v[40:41]
	s_delay_alu instid0(VALU_DEP_1)
	v_dual_sub_nc_u32 v0, 29, v0 :: v_dual_bitop2_b32 v40, 7, v22 bitop3:0x40
; %bb.1181:                             ;   in Loop: Header=BB226_998 Depth=1
	s_or_b32 exec_lo, exec_lo, s16
	s_delay_alu instid0(VALU_DEP_1) | instskip(NEXT) | instid1(VALU_DEP_2)
	v_dual_lshlrev_b32 v1, 16, v54 :: v_dual_lshlrev_b32 v20, 20, v40
	v_lshl_add_u32 v0, v0, 23, 0x3c000000
	s_delay_alu instid0(VALU_DEP_2) | instskip(NEXT) | instid1(VALU_DEP_1)
	v_and_b32_e32 v1, 0x80000000, v1
	v_or3_b32 v1, v20, v1, v0
	v_mov_b32_e32 v0, v41
.LBB226_1182:                           ;   in Loop: Header=BB226_998 Depth=1
	s_or_b32 exec_lo, exec_lo, s9
.LBB226_1183:                           ;   in Loop: Header=BB226_998 Depth=1
	s_delay_alu instid0(SALU_CYCLE_1)
	s_or_b32 exec_lo, exec_lo, s8
.LBB226_1184:                           ;   in Loop: Header=BB226_998 Depth=1
	s_delay_alu instid0(SALU_CYCLE_1) | instskip(SKIP_4) | instid1(VALU_DEP_3)
	s_or_b32 exec_lo, exec_lo, s3
	v_lshrrev_b32_e32 v55, 16, v54
	v_mov_b64_e32 v[52:53], 0
	v_mov_b64_e32 v[22:23], 0
	s_mov_b32 s3, exec_lo
	v_and_b32_e32 v64, 0xff, v55
	s_delay_alu instid0(VALU_DEP_1)
	v_cmpx_ne_u16_e32 0, v64
	s_cbranch_execz .LBB226_1192
; %bb.1185:                             ;   in Loop: Header=BB226_998 Depth=1
	v_mov_b64_e32 v[22:23], 0x80000000
	s_mov_b32 s8, exec_lo
	v_cmpx_ne_u16_e32 0x80, v64
	s_cbranch_execz .LBB226_1191
; %bb.1186:                             ;   in Loop: Header=BB226_998 Depth=1
	v_mov_b64_e32 v[22:23], 0x7f800001
	v_bfe_u32 v64, v54, 16, 7
	s_mov_b32 s9, exec_lo
	s_delay_alu instid0(VALU_DEP_1)
	v_cmpx_ne_u32_e32 0x7f, v64
	s_cbranch_execz .LBB226_1190
; %bb.1187:                             ;   in Loop: Header=BB226_998 Depth=1
	v_dual_lshrrev_b32 v22, 3, v64 :: v_dual_bitop2_b32 v40, 7, v55 bitop3:0x40
	s_mov_b32 s16, exec_lo
	v_cmpx_gt_u32_e32 8, v64
; %bb.1188:                             ;   in Loop: Header=BB226_998 Depth=1
	s_delay_alu instid0(VALU_DEP_2) | instskip(NEXT) | instid1(VALU_DEP_1)
	v_clz_i32_u32_e32 v20, v40
	v_min_u32_e32 v20, 32, v20
	s_delay_alu instid0(VALU_DEP_1) | instskip(NEXT) | instid1(VALU_DEP_1)
	v_subrev_nc_u32_e32 v22, 28, v20
	v_lshlrev_b64_e32 v[64:65], v22, v[40:41]
	v_sub_nc_u32_e32 v22, 29, v20
	s_delay_alu instid0(VALU_DEP_2)
	v_and_b32_e32 v40, 7, v64
; %bb.1189:                             ;   in Loop: Header=BB226_998 Depth=1
	s_or_b32 exec_lo, exec_lo, s16
	s_delay_alu instid0(VALU_DEP_1) | instskip(NEXT) | instid1(VALU_DEP_3)
	v_dual_lshlrev_b32 v20, 24, v55 :: v_dual_lshlrev_b32 v23, 20, v40
	v_lshl_add_u32 v22, v22, 23, 0x3c000000
	s_delay_alu instid0(VALU_DEP_2) | instskip(NEXT) | instid1(VALU_DEP_1)
	v_and_b32_e32 v20, 0x80000000, v20
	v_or3_b32 v40, v23, v20, v22
	s_delay_alu instid0(VALU_DEP_1)
	v_mov_b64_e32 v[22:23], v[40:41]
.LBB226_1190:                           ;   in Loop: Header=BB226_998 Depth=1
	s_or_b32 exec_lo, exec_lo, s9
.LBB226_1191:                           ;   in Loop: Header=BB226_998 Depth=1
	s_delay_alu instid0(SALU_CYCLE_1)
	s_or_b32 exec_lo, exec_lo, s8
.LBB226_1192:                           ;   in Loop: Header=BB226_998 Depth=1
	s_delay_alu instid0(SALU_CYCLE_1) | instskip(NEXT) | instid1(SALU_CYCLE_1)
	s_or_b32 exec_lo, exec_lo, s3
	s_mov_b32 s3, exec_lo
	v_cmpx_lt_u32_e32 0xffffff, v54
	s_cbranch_execz .LBB226_1200
; %bb.1193:                             ;   in Loop: Header=BB226_998 Depth=1
	v_mov_b64_e32 v[52:53], 0x8000000000000000
	v_lshrrev_b32_e32 v55, 24, v54
	s_mov_b32 s8, exec_lo
	s_delay_alu instid0(VALU_DEP_1)
	v_cmpx_ne_u32_e32 0x80, v55
	s_cbranch_execz .LBB226_1199
; %bb.1194:                             ;   in Loop: Header=BB226_998 Depth=1
	v_mov_b64_e32 v[52:53], 0x7f80000100000000
	v_bfe_u32 v54, v54, 24, 7
	s_mov_b32 s9, exec_lo
	s_delay_alu instid0(VALU_DEP_1)
	v_cmpx_ne_u32_e32 0x7f, v54
	s_cbranch_execz .LBB226_1198
; %bb.1195:                             ;   in Loop: Header=BB226_998 Depth=1
	v_dual_lshrrev_b32 v52, 3, v54 :: v_dual_bitop2_b32 v40, 7, v55 bitop3:0x40
	s_mov_b32 s16, exec_lo
	v_cmpx_gt_u32_e32 8, v54
; %bb.1196:                             ;   in Loop: Header=BB226_998 Depth=1
	s_delay_alu instid0(VALU_DEP_2) | instskip(NEXT) | instid1(VALU_DEP_1)
	v_clz_i32_u32_e32 v20, v40
	v_min_u32_e32 v20, 32, v20
	s_delay_alu instid0(VALU_DEP_1) | instskip(NEXT) | instid1(VALU_DEP_1)
	v_subrev_nc_u32_e32 v52, 28, v20
	v_lshlrev_b64_e32 v[64:65], v52, v[40:41]
	v_sub_nc_u32_e32 v52, 29, v20
	s_delay_alu instid0(VALU_DEP_2)
	v_and_b32_e32 v40, 7, v64
; %bb.1197:                             ;   in Loop: Header=BB226_998 Depth=1
	s_or_b32 exec_lo, exec_lo, s16
	s_delay_alu instid0(VALU_DEP_1) | instskip(NEXT) | instid1(VALU_DEP_3)
	v_dual_lshlrev_b32 v20, 24, v55 :: v_dual_lshlrev_b32 v53, 20, v40
	v_lshl_add_u32 v52, v52, 23, 0x3c000000
	s_delay_alu instid0(VALU_DEP_2) | instskip(NEXT) | instid1(VALU_DEP_1)
	v_and_b32_e32 v20, 0x80000000, v20
	v_or3_b32 v53, v53, v20, v52
	v_mov_b32_e32 v52, v41
.LBB226_1198:                           ;   in Loop: Header=BB226_998 Depth=1
	s_or_b32 exec_lo, exec_lo, s9
.LBB226_1199:                           ;   in Loop: Header=BB226_998 Depth=1
	s_delay_alu instid0(SALU_CYCLE_1)
	s_or_b32 exec_lo, exec_lo, s8
.LBB226_1200:                           ;   in Loop: Header=BB226_998 Depth=1
	s_delay_alu instid0(SALU_CYCLE_1) | instskip(SKIP_4) | instid1(VALU_DEP_3)
	s_or_b32 exec_lo, exec_lo, s3
	v_or_b32_e32 v1, v1, v11
	v_or_b32_e32 v0, v0, v10
	;; [unrolled: 1-line block ×4, first 2 shown]
	v_pk_mul_f32 v[0:1], v[50:51], v[0:1]
	scratch_store_b64 off, v[0:1], s32 offset:300 ; 8-byte Folded Spill
	s_wait_xcnt 0x0
	v_pk_mul_f32 v[0:1], v[50:51], v[10:11]
	scratch_store_b64 off, v[0:1], s32 offset:292 ; 8-byte Folded Spill
	s_wait_xcnt 0x0
	s_and_saveexec_b32 s3, vcc_lo
	s_cbranch_execz .LBB226_1202
; %bb.1201:                             ;   in Loop: Header=BB226_998 Depth=1
	s_clause 0x1
	scratch_load_b64 v[0:1], off, s32 offset:200
	scratch_load_b64 v[10:11], off, s32 offset:300 th:TH_LOAD_LU
	s_wait_loadcnt 0x1
	v_cmp_lt_i32_e64 s0, v21, v0
	s_wait_loadcnt 0x0
	s_delay_alu instid0(VALU_DEP_1) | instskip(SKIP_1) | instid1(VALU_DEP_1)
	v_cndmask_b32_e64 v10, 0, v10, s0
	v_cmp_lt_i32_e64 s0, v43, v0
	v_cndmask_b32_e64 v11, 0, v11, s0
	v_cmp_lt_i32_e64 s0, v45, v0
	s_clause 0x1
	scratch_store_b64 off, v[10:11], s32 offset:300
	scratch_load_b64 v[10:11], off, s32 offset:292 th:TH_LOAD_LU
	s_wait_loadcnt 0x0
	v_cndmask_b32_e64 v10, 0, v10, s0
	v_cmp_lt_i32_e64 s0, v44, v0
	s_delay_alu instid0(VALU_DEP_1)
	v_cndmask_b32_e64 v11, 0, v11, s0
	scratch_store_b64 off, v[10:11], s32 offset:292 ; 8-byte Folded Spill
.LBB226_1202:                           ;   in Loop: Header=BB226_998 Depth=1
	s_wait_xcnt 0x0
	s_or_b32 exec_lo, exec_lo, s3
	flat_load_b32 v54, v[68:69] offset:768
	v_mov_b64_e32 v[0:1], 0
	v_mov_b64_e32 v[10:11], 0
	s_mov_b32 s3, exec_lo
	s_wait_loadcnt_dscnt 0x0
	v_and_b32_e32 v22, 0xff, v54
	s_wait_xcnt 0x0
	s_delay_alu instid0(VALU_DEP_1)
	v_cmpx_ne_u16_e32 0, v22
	s_cbranch_execz .LBB226_1210
; %bb.1203:                             ;   in Loop: Header=BB226_998 Depth=1
	v_mov_b64_e32 v[10:11], 0x80000000
	s_mov_b32 s8, exec_lo
	v_cmpx_ne_u16_e32 0x80, v22
	s_cbranch_execz .LBB226_1209
; %bb.1204:                             ;   in Loop: Header=BB226_998 Depth=1
	v_mov_b64_e32 v[10:11], 0x7f800001
	v_and_b32_e32 v22, 0x7f, v54
	s_mov_b32 s9, exec_lo
	s_delay_alu instid0(VALU_DEP_1)
	v_cmpx_ne_u32_e32 0x7f, v22
	s_cbranch_execz .LBB226_1208
; %bb.1205:                             ;   in Loop: Header=BB226_998 Depth=1
	v_and_b32_e32 v40, 7, v54
	v_lshrrev_b32_e32 v10, 3, v22
	s_mov_b32 s16, exec_lo
	v_cmpx_gt_u32_e32 8, v22
; %bb.1206:                             ;   in Loop: Header=BB226_998 Depth=1
	s_delay_alu instid0(VALU_DEP_3) | instskip(NEXT) | instid1(VALU_DEP_1)
	v_clz_i32_u32_e32 v10, v40
	v_min_u32_e32 v10, 32, v10
	s_delay_alu instid0(VALU_DEP_1) | instskip(SKIP_1) | instid1(VALU_DEP_2)
	v_subrev_nc_u32_e32 v11, 28, v10
	v_sub_nc_u32_e32 v10, 29, v10
	v_lshlrev_b64_e32 v[22:23], v11, v[40:41]
	s_delay_alu instid0(VALU_DEP_1)
	v_and_b32_e32 v40, 7, v22
; %bb.1207:                             ;   in Loop: Header=BB226_998 Depth=1
	s_or_b32 exec_lo, exec_lo, s16
	s_delay_alu instid0(VALU_DEP_1) | instskip(SKIP_1) | instid1(VALU_DEP_2)
	v_dual_lshlrev_b32 v11, 24, v54 :: v_dual_lshlrev_b32 v20, 20, v40
	v_lshl_add_u32 v10, v10, 23, 0x3c000000
	v_and_b32_e32 v11, 0x80000000, v11
	s_delay_alu instid0(VALU_DEP_1) | instskip(NEXT) | instid1(VALU_DEP_1)
	v_or3_b32 v40, v20, v11, v10
	v_mov_b64_e32 v[10:11], v[40:41]
.LBB226_1208:                           ;   in Loop: Header=BB226_998 Depth=1
	s_or_b32 exec_lo, exec_lo, s9
.LBB226_1209:                           ;   in Loop: Header=BB226_998 Depth=1
	s_delay_alu instid0(SALU_CYCLE_1)
	s_or_b32 exec_lo, exec_lo, s8
.LBB226_1210:                           ;   in Loop: Header=BB226_998 Depth=1
	s_delay_alu instid0(SALU_CYCLE_1) | instskip(SKIP_2) | instid1(VALU_DEP_1)
	s_or_b32 exec_lo, exec_lo, s3
	v_lshrrev_b16 v22, 8, v54
	s_mov_b32 s3, exec_lo
	v_cmpx_ne_u16_e32 0, v22
	s_cbranch_execz .LBB226_1218
; %bb.1211:                             ;   in Loop: Header=BB226_998 Depth=1
	v_mov_b64_e32 v[0:1], 0x8000000000000000
	s_mov_b32 s8, exec_lo
	v_cmpx_ne_u16_e32 0x80, v22
	s_cbranch_execz .LBB226_1217
; %bb.1212:                             ;   in Loop: Header=BB226_998 Depth=1
	v_and_b32_e32 v23, 0xffff, v22
	v_mov_b64_e32 v[0:1], 0x7f80000100000000
	s_mov_b32 s9, exec_lo
	s_delay_alu instid0(VALU_DEP_2) | instskip(NEXT) | instid1(VALU_DEP_1)
	v_and_b32_e32 v22, 0x7f, v23
	v_cmpx_ne_u32_e32 0x7f, v22
	s_cbranch_execz .LBB226_1216
; %bb.1213:                             ;   in Loop: Header=BB226_998 Depth=1
	v_dual_lshrrev_b32 v0, 3, v22 :: v_dual_bitop2_b32 v40, 7, v23 bitop3:0x40
	s_mov_b32 s16, exec_lo
	v_cmpx_gt_u32_e32 8, v22
; %bb.1214:                             ;   in Loop: Header=BB226_998 Depth=1
	s_delay_alu instid0(VALU_DEP_2) | instskip(NEXT) | instid1(VALU_DEP_1)
	v_clz_i32_u32_e32 v0, v40
	v_min_u32_e32 v0, 32, v0
	s_delay_alu instid0(VALU_DEP_1) | instskip(NEXT) | instid1(VALU_DEP_1)
	v_subrev_nc_u32_e32 v1, 28, v0
	v_lshlrev_b64_e32 v[22:23], v1, v[40:41]
	s_delay_alu instid0(VALU_DEP_1)
	v_dual_sub_nc_u32 v0, 29, v0 :: v_dual_bitop2_b32 v40, 7, v22 bitop3:0x40
; %bb.1215:                             ;   in Loop: Header=BB226_998 Depth=1
	s_or_b32 exec_lo, exec_lo, s16
	s_delay_alu instid0(VALU_DEP_1) | instskip(NEXT) | instid1(VALU_DEP_2)
	v_dual_lshlrev_b32 v1, 16, v54 :: v_dual_lshlrev_b32 v20, 20, v40
	v_lshl_add_u32 v0, v0, 23, 0x3c000000
	s_delay_alu instid0(VALU_DEP_2) | instskip(NEXT) | instid1(VALU_DEP_1)
	v_and_b32_e32 v1, 0x80000000, v1
	v_or3_b32 v1, v20, v1, v0
	v_mov_b32_e32 v0, v41
.LBB226_1216:                           ;   in Loop: Header=BB226_998 Depth=1
	s_or_b32 exec_lo, exec_lo, s9
.LBB226_1217:                           ;   in Loop: Header=BB226_998 Depth=1
	s_delay_alu instid0(SALU_CYCLE_1)
	s_or_b32 exec_lo, exec_lo, s8
.LBB226_1218:                           ;   in Loop: Header=BB226_998 Depth=1
	s_delay_alu instid0(SALU_CYCLE_1) | instskip(SKIP_4) | instid1(VALU_DEP_3)
	s_or_b32 exec_lo, exec_lo, s3
	v_lshrrev_b32_e32 v55, 16, v54
	v_mov_b64_e32 v[52:53], 0
	v_mov_b64_e32 v[22:23], 0
	s_mov_b32 s3, exec_lo
	v_and_b32_e32 v64, 0xff, v55
	s_delay_alu instid0(VALU_DEP_1)
	v_cmpx_ne_u16_e32 0, v64
	s_cbranch_execz .LBB226_1226
; %bb.1219:                             ;   in Loop: Header=BB226_998 Depth=1
	v_mov_b64_e32 v[22:23], 0x80000000
	s_mov_b32 s8, exec_lo
	v_cmpx_ne_u16_e32 0x80, v64
	s_cbranch_execz .LBB226_1225
; %bb.1220:                             ;   in Loop: Header=BB226_998 Depth=1
	v_mov_b64_e32 v[22:23], 0x7f800001
	v_bfe_u32 v64, v54, 16, 7
	s_mov_b32 s9, exec_lo
	s_delay_alu instid0(VALU_DEP_1)
	v_cmpx_ne_u32_e32 0x7f, v64
	s_cbranch_execz .LBB226_1224
; %bb.1221:                             ;   in Loop: Header=BB226_998 Depth=1
	v_dual_lshrrev_b32 v22, 3, v64 :: v_dual_bitop2_b32 v40, 7, v55 bitop3:0x40
	s_mov_b32 s16, exec_lo
	v_cmpx_gt_u32_e32 8, v64
; %bb.1222:                             ;   in Loop: Header=BB226_998 Depth=1
	s_delay_alu instid0(VALU_DEP_2) | instskip(NEXT) | instid1(VALU_DEP_1)
	v_clz_i32_u32_e32 v20, v40
	v_min_u32_e32 v20, 32, v20
	s_delay_alu instid0(VALU_DEP_1) | instskip(NEXT) | instid1(VALU_DEP_1)
	v_subrev_nc_u32_e32 v22, 28, v20
	v_lshlrev_b64_e32 v[64:65], v22, v[40:41]
	v_sub_nc_u32_e32 v22, 29, v20
	s_delay_alu instid0(VALU_DEP_2)
	v_and_b32_e32 v40, 7, v64
; %bb.1223:                             ;   in Loop: Header=BB226_998 Depth=1
	s_or_b32 exec_lo, exec_lo, s16
	s_delay_alu instid0(VALU_DEP_1) | instskip(NEXT) | instid1(VALU_DEP_3)
	v_dual_lshlrev_b32 v20, 24, v55 :: v_dual_lshlrev_b32 v23, 20, v40
	v_lshl_add_u32 v22, v22, 23, 0x3c000000
	s_delay_alu instid0(VALU_DEP_2) | instskip(NEXT) | instid1(VALU_DEP_1)
	v_and_b32_e32 v20, 0x80000000, v20
	v_or3_b32 v40, v23, v20, v22
	s_delay_alu instid0(VALU_DEP_1)
	v_mov_b64_e32 v[22:23], v[40:41]
.LBB226_1224:                           ;   in Loop: Header=BB226_998 Depth=1
	s_or_b32 exec_lo, exec_lo, s9
.LBB226_1225:                           ;   in Loop: Header=BB226_998 Depth=1
	s_delay_alu instid0(SALU_CYCLE_1)
	s_or_b32 exec_lo, exec_lo, s8
.LBB226_1226:                           ;   in Loop: Header=BB226_998 Depth=1
	s_delay_alu instid0(SALU_CYCLE_1) | instskip(NEXT) | instid1(SALU_CYCLE_1)
	s_or_b32 exec_lo, exec_lo, s3
	s_mov_b32 s3, exec_lo
	v_cmpx_lt_u32_e32 0xffffff, v54
	s_cbranch_execz .LBB226_1234
; %bb.1227:                             ;   in Loop: Header=BB226_998 Depth=1
	v_mov_b64_e32 v[52:53], 0x8000000000000000
	v_lshrrev_b32_e32 v55, 24, v54
	s_mov_b32 s8, exec_lo
	s_delay_alu instid0(VALU_DEP_1)
	v_cmpx_ne_u32_e32 0x80, v55
	s_cbranch_execz .LBB226_1233
; %bb.1228:                             ;   in Loop: Header=BB226_998 Depth=1
	v_mov_b64_e32 v[52:53], 0x7f80000100000000
	v_bfe_u32 v54, v54, 24, 7
	s_mov_b32 s9, exec_lo
	s_delay_alu instid0(VALU_DEP_1)
	v_cmpx_ne_u32_e32 0x7f, v54
	s_cbranch_execz .LBB226_1232
; %bb.1229:                             ;   in Loop: Header=BB226_998 Depth=1
	v_dual_lshrrev_b32 v52, 3, v54 :: v_dual_bitop2_b32 v40, 7, v55 bitop3:0x40
	s_mov_b32 s16, exec_lo
	v_cmpx_gt_u32_e32 8, v54
; %bb.1230:                             ;   in Loop: Header=BB226_998 Depth=1
	s_delay_alu instid0(VALU_DEP_2) | instskip(NEXT) | instid1(VALU_DEP_1)
	v_clz_i32_u32_e32 v20, v40
	v_min_u32_e32 v20, 32, v20
	s_delay_alu instid0(VALU_DEP_1) | instskip(NEXT) | instid1(VALU_DEP_1)
	v_subrev_nc_u32_e32 v52, 28, v20
	v_lshlrev_b64_e32 v[64:65], v52, v[40:41]
	v_sub_nc_u32_e32 v52, 29, v20
	s_delay_alu instid0(VALU_DEP_2)
	v_and_b32_e32 v40, 7, v64
; %bb.1231:                             ;   in Loop: Header=BB226_998 Depth=1
	s_or_b32 exec_lo, exec_lo, s16
	s_delay_alu instid0(VALU_DEP_1) | instskip(NEXT) | instid1(VALU_DEP_3)
	v_dual_lshlrev_b32 v20, 24, v55 :: v_dual_lshlrev_b32 v53, 20, v40
	v_lshl_add_u32 v52, v52, 23, 0x3c000000
	s_delay_alu instid0(VALU_DEP_2) | instskip(NEXT) | instid1(VALU_DEP_1)
	v_and_b32_e32 v20, 0x80000000, v20
	v_or3_b32 v53, v53, v20, v52
	v_mov_b32_e32 v52, v41
.LBB226_1232:                           ;   in Loop: Header=BB226_998 Depth=1
	s_or_b32 exec_lo, exec_lo, s9
.LBB226_1233:                           ;   in Loop: Header=BB226_998 Depth=1
	s_delay_alu instid0(SALU_CYCLE_1)
	s_or_b32 exec_lo, exec_lo, s8
.LBB226_1234:                           ;   in Loop: Header=BB226_998 Depth=1
	s_delay_alu instid0(SALU_CYCLE_1) | instskip(SKIP_4) | instid1(VALU_DEP_3)
	s_or_b32 exec_lo, exec_lo, s3
	v_or_b32_e32 v1, v1, v11
	v_or_b32_e32 v0, v0, v10
	;; [unrolled: 1-line block ×4, first 2 shown]
	v_pk_mul_f32 v[0:1], v[50:51], v[0:1]
	scratch_store_b64 off, v[0:1], s32 offset:316 ; 8-byte Folded Spill
	s_wait_xcnt 0x0
	v_pk_mul_f32 v[0:1], v[50:51], v[10:11]
	scratch_store_b64 off, v[0:1], s32 offset:308 ; 8-byte Folded Spill
	s_wait_xcnt 0x0
	s_and_saveexec_b32 s3, vcc_lo
	s_cbranch_execz .LBB226_1236
; %bb.1235:                             ;   in Loop: Header=BB226_998 Depth=1
	s_clause 0x1
	scratch_load_b64 v[0:1], off, s32 offset:200
	scratch_load_b64 v[10:11], off, s32 offset:316 th:TH_LOAD_LU
	s_wait_loadcnt 0x1
	v_cmp_lt_i32_e64 s0, v21, v0
	s_wait_loadcnt 0x0
	s_delay_alu instid0(VALU_DEP_1) | instskip(SKIP_1) | instid1(VALU_DEP_1)
	v_cndmask_b32_e64 v10, 0, v10, s0
	v_cmp_lt_i32_e64 s0, v43, v0
	v_cndmask_b32_e64 v11, 0, v11, s0
	v_cmp_lt_i32_e64 s0, v45, v0
	s_clause 0x1
	scratch_store_b64 off, v[10:11], s32 offset:316
	scratch_load_b64 v[10:11], off, s32 offset:308 th:TH_LOAD_LU
	s_wait_loadcnt 0x0
	v_cndmask_b32_e64 v10, 0, v10, s0
	v_cmp_lt_i32_e64 s0, v44, v0
	s_delay_alu instid0(VALU_DEP_1)
	v_cndmask_b32_e64 v11, 0, v11, s0
	scratch_store_b64 off, v[10:11], s32 offset:308 ; 8-byte Folded Spill
.LBB226_1236:                           ;   in Loop: Header=BB226_998 Depth=1
	s_wait_xcnt 0x0
	s_or_b32 exec_lo, exec_lo, s3
	flat_load_b32 v54, v[68:69] offset:896
	v_mov_b64_e32 v[0:1], 0
	v_mov_b64_e32 v[10:11], 0
	s_mov_b32 s3, exec_lo
	s_wait_loadcnt_dscnt 0x0
	v_and_b32_e32 v22, 0xff, v54
	s_wait_xcnt 0x0
	s_delay_alu instid0(VALU_DEP_1)
	v_cmpx_ne_u16_e32 0, v22
	s_cbranch_execz .LBB226_1244
; %bb.1237:                             ;   in Loop: Header=BB226_998 Depth=1
	v_mov_b64_e32 v[10:11], 0x80000000
	s_mov_b32 s8, exec_lo
	v_cmpx_ne_u16_e32 0x80, v22
	s_cbranch_execz .LBB226_1243
; %bb.1238:                             ;   in Loop: Header=BB226_998 Depth=1
	v_mov_b64_e32 v[10:11], 0x7f800001
	v_and_b32_e32 v22, 0x7f, v54
	s_mov_b32 s9, exec_lo
	s_delay_alu instid0(VALU_DEP_1)
	v_cmpx_ne_u32_e32 0x7f, v22
	s_cbranch_execz .LBB226_1242
; %bb.1239:                             ;   in Loop: Header=BB226_998 Depth=1
	v_and_b32_e32 v40, 7, v54
	v_lshrrev_b32_e32 v10, 3, v22
	s_mov_b32 s16, exec_lo
	v_cmpx_gt_u32_e32 8, v22
; %bb.1240:                             ;   in Loop: Header=BB226_998 Depth=1
	s_delay_alu instid0(VALU_DEP_3) | instskip(NEXT) | instid1(VALU_DEP_1)
	v_clz_i32_u32_e32 v10, v40
	v_min_u32_e32 v10, 32, v10
	s_delay_alu instid0(VALU_DEP_1) | instskip(SKIP_1) | instid1(VALU_DEP_2)
	v_subrev_nc_u32_e32 v11, 28, v10
	v_sub_nc_u32_e32 v10, 29, v10
	v_lshlrev_b64_e32 v[22:23], v11, v[40:41]
	s_delay_alu instid0(VALU_DEP_1)
	v_and_b32_e32 v40, 7, v22
; %bb.1241:                             ;   in Loop: Header=BB226_998 Depth=1
	s_or_b32 exec_lo, exec_lo, s16
	s_delay_alu instid0(VALU_DEP_1) | instskip(SKIP_1) | instid1(VALU_DEP_2)
	v_dual_lshlrev_b32 v11, 24, v54 :: v_dual_lshlrev_b32 v20, 20, v40
	v_lshl_add_u32 v10, v10, 23, 0x3c000000
	v_and_b32_e32 v11, 0x80000000, v11
	s_delay_alu instid0(VALU_DEP_1) | instskip(NEXT) | instid1(VALU_DEP_1)
	v_or3_b32 v40, v20, v11, v10
	v_mov_b64_e32 v[10:11], v[40:41]
.LBB226_1242:                           ;   in Loop: Header=BB226_998 Depth=1
	s_or_b32 exec_lo, exec_lo, s9
.LBB226_1243:                           ;   in Loop: Header=BB226_998 Depth=1
	s_delay_alu instid0(SALU_CYCLE_1)
	s_or_b32 exec_lo, exec_lo, s8
.LBB226_1244:                           ;   in Loop: Header=BB226_998 Depth=1
	s_delay_alu instid0(SALU_CYCLE_1) | instskip(SKIP_2) | instid1(VALU_DEP_1)
	s_or_b32 exec_lo, exec_lo, s3
	v_lshrrev_b16 v22, 8, v54
	s_mov_b32 s3, exec_lo
	v_cmpx_ne_u16_e32 0, v22
	s_cbranch_execz .LBB226_1252
; %bb.1245:                             ;   in Loop: Header=BB226_998 Depth=1
	v_mov_b64_e32 v[0:1], 0x8000000000000000
	s_mov_b32 s8, exec_lo
	v_cmpx_ne_u16_e32 0x80, v22
	s_cbranch_execz .LBB226_1251
; %bb.1246:                             ;   in Loop: Header=BB226_998 Depth=1
	v_and_b32_e32 v23, 0xffff, v22
	v_mov_b64_e32 v[0:1], 0x7f80000100000000
	s_mov_b32 s9, exec_lo
	s_delay_alu instid0(VALU_DEP_2) | instskip(NEXT) | instid1(VALU_DEP_1)
	v_and_b32_e32 v22, 0x7f, v23
	v_cmpx_ne_u32_e32 0x7f, v22
	s_cbranch_execz .LBB226_1250
; %bb.1247:                             ;   in Loop: Header=BB226_998 Depth=1
	v_dual_lshrrev_b32 v0, 3, v22 :: v_dual_bitop2_b32 v40, 7, v23 bitop3:0x40
	s_mov_b32 s16, exec_lo
	v_cmpx_gt_u32_e32 8, v22
; %bb.1248:                             ;   in Loop: Header=BB226_998 Depth=1
	s_delay_alu instid0(VALU_DEP_2) | instskip(NEXT) | instid1(VALU_DEP_1)
	v_clz_i32_u32_e32 v0, v40
	v_min_u32_e32 v0, 32, v0
	s_delay_alu instid0(VALU_DEP_1) | instskip(NEXT) | instid1(VALU_DEP_1)
	v_subrev_nc_u32_e32 v1, 28, v0
	v_lshlrev_b64_e32 v[22:23], v1, v[40:41]
	s_delay_alu instid0(VALU_DEP_1)
	v_dual_sub_nc_u32 v0, 29, v0 :: v_dual_bitop2_b32 v40, 7, v22 bitop3:0x40
; %bb.1249:                             ;   in Loop: Header=BB226_998 Depth=1
	s_or_b32 exec_lo, exec_lo, s16
	s_delay_alu instid0(VALU_DEP_1) | instskip(NEXT) | instid1(VALU_DEP_2)
	v_dual_lshlrev_b32 v1, 16, v54 :: v_dual_lshlrev_b32 v20, 20, v40
	v_lshl_add_u32 v0, v0, 23, 0x3c000000
	s_delay_alu instid0(VALU_DEP_2) | instskip(NEXT) | instid1(VALU_DEP_1)
	v_and_b32_e32 v1, 0x80000000, v1
	v_or3_b32 v1, v20, v1, v0
	v_mov_b32_e32 v0, v41
.LBB226_1250:                           ;   in Loop: Header=BB226_998 Depth=1
	s_or_b32 exec_lo, exec_lo, s9
.LBB226_1251:                           ;   in Loop: Header=BB226_998 Depth=1
	s_delay_alu instid0(SALU_CYCLE_1)
	s_or_b32 exec_lo, exec_lo, s8
.LBB226_1252:                           ;   in Loop: Header=BB226_998 Depth=1
	s_delay_alu instid0(SALU_CYCLE_1) | instskip(SKIP_4) | instid1(VALU_DEP_3)
	s_or_b32 exec_lo, exec_lo, s3
	v_lshrrev_b32_e32 v55, 16, v54
	v_mov_b64_e32 v[52:53], 0
	v_mov_b64_e32 v[22:23], 0
	s_mov_b32 s3, exec_lo
	v_and_b32_e32 v64, 0xff, v55
	s_delay_alu instid0(VALU_DEP_1)
	v_cmpx_ne_u16_e32 0, v64
	s_cbranch_execz .LBB226_1260
; %bb.1253:                             ;   in Loop: Header=BB226_998 Depth=1
	v_mov_b64_e32 v[22:23], 0x80000000
	s_mov_b32 s8, exec_lo
	v_cmpx_ne_u16_e32 0x80, v64
	s_cbranch_execz .LBB226_1259
; %bb.1254:                             ;   in Loop: Header=BB226_998 Depth=1
	v_mov_b64_e32 v[22:23], 0x7f800001
	v_bfe_u32 v64, v54, 16, 7
	s_mov_b32 s9, exec_lo
	s_delay_alu instid0(VALU_DEP_1)
	v_cmpx_ne_u32_e32 0x7f, v64
	s_cbranch_execz .LBB226_1258
; %bb.1255:                             ;   in Loop: Header=BB226_998 Depth=1
	v_dual_lshrrev_b32 v22, 3, v64 :: v_dual_bitop2_b32 v40, 7, v55 bitop3:0x40
	s_mov_b32 s16, exec_lo
	v_cmpx_gt_u32_e32 8, v64
; %bb.1256:                             ;   in Loop: Header=BB226_998 Depth=1
	s_delay_alu instid0(VALU_DEP_2) | instskip(NEXT) | instid1(VALU_DEP_1)
	v_clz_i32_u32_e32 v20, v40
	v_min_u32_e32 v20, 32, v20
	s_delay_alu instid0(VALU_DEP_1) | instskip(NEXT) | instid1(VALU_DEP_1)
	v_subrev_nc_u32_e32 v22, 28, v20
	v_lshlrev_b64_e32 v[64:65], v22, v[40:41]
	v_sub_nc_u32_e32 v22, 29, v20
	s_delay_alu instid0(VALU_DEP_2)
	v_and_b32_e32 v40, 7, v64
; %bb.1257:                             ;   in Loop: Header=BB226_998 Depth=1
	s_or_b32 exec_lo, exec_lo, s16
	s_delay_alu instid0(VALU_DEP_1) | instskip(NEXT) | instid1(VALU_DEP_3)
	v_dual_lshlrev_b32 v20, 24, v55 :: v_dual_lshlrev_b32 v23, 20, v40
	v_lshl_add_u32 v22, v22, 23, 0x3c000000
	s_delay_alu instid0(VALU_DEP_2) | instskip(NEXT) | instid1(VALU_DEP_1)
	v_and_b32_e32 v20, 0x80000000, v20
	v_or3_b32 v40, v23, v20, v22
	s_delay_alu instid0(VALU_DEP_1)
	v_mov_b64_e32 v[22:23], v[40:41]
.LBB226_1258:                           ;   in Loop: Header=BB226_998 Depth=1
	s_or_b32 exec_lo, exec_lo, s9
.LBB226_1259:                           ;   in Loop: Header=BB226_998 Depth=1
	s_delay_alu instid0(SALU_CYCLE_1)
	s_or_b32 exec_lo, exec_lo, s8
.LBB226_1260:                           ;   in Loop: Header=BB226_998 Depth=1
	s_delay_alu instid0(SALU_CYCLE_1) | instskip(NEXT) | instid1(SALU_CYCLE_1)
	s_or_b32 exec_lo, exec_lo, s3
	s_mov_b32 s3, exec_lo
	v_cmpx_lt_u32_e32 0xffffff, v54
	s_cbranch_execz .LBB226_1268
; %bb.1261:                             ;   in Loop: Header=BB226_998 Depth=1
	v_mov_b64_e32 v[52:53], 0x8000000000000000
	v_lshrrev_b32_e32 v55, 24, v54
	s_mov_b32 s8, exec_lo
	s_delay_alu instid0(VALU_DEP_1)
	v_cmpx_ne_u32_e32 0x80, v55
	s_cbranch_execz .LBB226_1267
; %bb.1262:                             ;   in Loop: Header=BB226_998 Depth=1
	v_mov_b64_e32 v[52:53], 0x7f80000100000000
	v_bfe_u32 v54, v54, 24, 7
	s_mov_b32 s9, exec_lo
	s_delay_alu instid0(VALU_DEP_1)
	v_cmpx_ne_u32_e32 0x7f, v54
	s_cbranch_execz .LBB226_1266
; %bb.1263:                             ;   in Loop: Header=BB226_998 Depth=1
	v_dual_lshrrev_b32 v52, 3, v54 :: v_dual_bitop2_b32 v40, 7, v55 bitop3:0x40
	s_mov_b32 s16, exec_lo
	v_cmpx_gt_u32_e32 8, v54
; %bb.1264:                             ;   in Loop: Header=BB226_998 Depth=1
	s_delay_alu instid0(VALU_DEP_2) | instskip(NEXT) | instid1(VALU_DEP_1)
	v_clz_i32_u32_e32 v20, v40
	v_min_u32_e32 v20, 32, v20
	s_delay_alu instid0(VALU_DEP_1) | instskip(NEXT) | instid1(VALU_DEP_1)
	v_subrev_nc_u32_e32 v52, 28, v20
	v_lshlrev_b64_e32 v[64:65], v52, v[40:41]
	v_sub_nc_u32_e32 v52, 29, v20
	s_delay_alu instid0(VALU_DEP_2)
	v_and_b32_e32 v40, 7, v64
; %bb.1265:                             ;   in Loop: Header=BB226_998 Depth=1
	s_or_b32 exec_lo, exec_lo, s16
	s_delay_alu instid0(VALU_DEP_1) | instskip(NEXT) | instid1(VALU_DEP_3)
	v_dual_lshlrev_b32 v20, 24, v55 :: v_dual_lshlrev_b32 v53, 20, v40
	v_lshl_add_u32 v52, v52, 23, 0x3c000000
	s_delay_alu instid0(VALU_DEP_2) | instskip(NEXT) | instid1(VALU_DEP_1)
	v_and_b32_e32 v20, 0x80000000, v20
	v_or3_b32 v53, v53, v20, v52
	v_mov_b32_e32 v52, v41
.LBB226_1266:                           ;   in Loop: Header=BB226_998 Depth=1
	s_or_b32 exec_lo, exec_lo, s9
.LBB226_1267:                           ;   in Loop: Header=BB226_998 Depth=1
	s_delay_alu instid0(SALU_CYCLE_1)
	s_or_b32 exec_lo, exec_lo, s8
.LBB226_1268:                           ;   in Loop: Header=BB226_998 Depth=1
	s_delay_alu instid0(SALU_CYCLE_1) | instskip(SKIP_4) | instid1(VALU_DEP_3)
	s_or_b32 exec_lo, exec_lo, s3
	v_or_b32_e32 v1, v1, v11
	v_or_b32_e32 v0, v0, v10
	;; [unrolled: 1-line block ×4, first 2 shown]
	v_pk_mul_f32 v[0:1], v[50:51], v[0:1]
	scratch_store_b64 off, v[0:1], s32 offset:332 ; 8-byte Folded Spill
	s_wait_xcnt 0x0
	v_pk_mul_f32 v[0:1], v[50:51], v[10:11]
	scratch_store_b64 off, v[0:1], s32 offset:324 ; 8-byte Folded Spill
	s_wait_xcnt 0x0
	s_and_saveexec_b32 s3, vcc_lo
	s_cbranch_execz .LBB226_1270
; %bb.1269:                             ;   in Loop: Header=BB226_998 Depth=1
	s_clause 0x1
	scratch_load_b64 v[0:1], off, s32 offset:200
	scratch_load_b64 v[10:11], off, s32 offset:332 th:TH_LOAD_LU
	s_wait_loadcnt 0x1
	v_cmp_lt_i32_e64 s0, v21, v0
	s_wait_loadcnt 0x0
	s_delay_alu instid0(VALU_DEP_1) | instskip(SKIP_1) | instid1(VALU_DEP_1)
	v_cndmask_b32_e64 v10, 0, v10, s0
	v_cmp_lt_i32_e64 s0, v43, v0
	v_cndmask_b32_e64 v11, 0, v11, s0
	v_cmp_lt_i32_e64 s0, v45, v0
	s_clause 0x1
	scratch_store_b64 off, v[10:11], s32 offset:332
	scratch_load_b64 v[10:11], off, s32 offset:324 th:TH_LOAD_LU
	s_wait_loadcnt 0x0
	v_cndmask_b32_e64 v10, 0, v10, s0
	v_cmp_lt_i32_e64 s0, v44, v0
	s_delay_alu instid0(VALU_DEP_1)
	v_cndmask_b32_e64 v11, 0, v11, s0
	scratch_store_b64 off, v[10:11], s32 offset:324 ; 8-byte Folded Spill
.LBB226_1270:                           ;   in Loop: Header=BB226_998 Depth=1
	s_wait_xcnt 0x0
	s_or_b32 exec_lo, exec_lo, s3
	flat_load_b32 v54, v[68:69] offset:1024
	v_mov_b64_e32 v[0:1], 0
	v_mov_b64_e32 v[10:11], 0
	s_mov_b32 s3, exec_lo
	s_wait_loadcnt_dscnt 0x0
	v_and_b32_e32 v22, 0xff, v54
	s_wait_xcnt 0x0
	s_delay_alu instid0(VALU_DEP_1)
	v_cmpx_ne_u16_e32 0, v22
	s_cbranch_execz .LBB226_1278
; %bb.1271:                             ;   in Loop: Header=BB226_998 Depth=1
	v_mov_b64_e32 v[10:11], 0x80000000
	s_mov_b32 s8, exec_lo
	v_cmpx_ne_u16_e32 0x80, v22
	s_cbranch_execz .LBB226_1277
; %bb.1272:                             ;   in Loop: Header=BB226_998 Depth=1
	v_mov_b64_e32 v[10:11], 0x7f800001
	v_and_b32_e32 v22, 0x7f, v54
	s_mov_b32 s9, exec_lo
	s_delay_alu instid0(VALU_DEP_1)
	v_cmpx_ne_u32_e32 0x7f, v22
	s_cbranch_execz .LBB226_1276
; %bb.1273:                             ;   in Loop: Header=BB226_998 Depth=1
	v_and_b32_e32 v40, 7, v54
	v_lshrrev_b32_e32 v10, 3, v22
	s_mov_b32 s16, exec_lo
	v_cmpx_gt_u32_e32 8, v22
; %bb.1274:                             ;   in Loop: Header=BB226_998 Depth=1
	s_delay_alu instid0(VALU_DEP_3) | instskip(NEXT) | instid1(VALU_DEP_1)
	v_clz_i32_u32_e32 v10, v40
	v_min_u32_e32 v10, 32, v10
	s_delay_alu instid0(VALU_DEP_1) | instskip(SKIP_1) | instid1(VALU_DEP_2)
	v_subrev_nc_u32_e32 v11, 28, v10
	v_sub_nc_u32_e32 v10, 29, v10
	v_lshlrev_b64_e32 v[22:23], v11, v[40:41]
	s_delay_alu instid0(VALU_DEP_1)
	v_and_b32_e32 v40, 7, v22
; %bb.1275:                             ;   in Loop: Header=BB226_998 Depth=1
	s_or_b32 exec_lo, exec_lo, s16
	s_delay_alu instid0(VALU_DEP_1) | instskip(SKIP_1) | instid1(VALU_DEP_2)
	v_dual_lshlrev_b32 v11, 24, v54 :: v_dual_lshlrev_b32 v20, 20, v40
	v_lshl_add_u32 v10, v10, 23, 0x3c000000
	v_and_b32_e32 v11, 0x80000000, v11
	s_delay_alu instid0(VALU_DEP_1) | instskip(NEXT) | instid1(VALU_DEP_1)
	v_or3_b32 v40, v20, v11, v10
	v_mov_b64_e32 v[10:11], v[40:41]
.LBB226_1276:                           ;   in Loop: Header=BB226_998 Depth=1
	s_or_b32 exec_lo, exec_lo, s9
.LBB226_1277:                           ;   in Loop: Header=BB226_998 Depth=1
	s_delay_alu instid0(SALU_CYCLE_1)
	s_or_b32 exec_lo, exec_lo, s8
.LBB226_1278:                           ;   in Loop: Header=BB226_998 Depth=1
	s_delay_alu instid0(SALU_CYCLE_1) | instskip(SKIP_2) | instid1(VALU_DEP_1)
	s_or_b32 exec_lo, exec_lo, s3
	v_lshrrev_b16 v22, 8, v54
	s_mov_b32 s3, exec_lo
	v_cmpx_ne_u16_e32 0, v22
	s_cbranch_execz .LBB226_1286
; %bb.1279:                             ;   in Loop: Header=BB226_998 Depth=1
	v_mov_b64_e32 v[0:1], 0x8000000000000000
	s_mov_b32 s8, exec_lo
	v_cmpx_ne_u16_e32 0x80, v22
	s_cbranch_execz .LBB226_1285
; %bb.1280:                             ;   in Loop: Header=BB226_998 Depth=1
	v_and_b32_e32 v23, 0xffff, v22
	v_mov_b64_e32 v[0:1], 0x7f80000100000000
	s_mov_b32 s9, exec_lo
	s_delay_alu instid0(VALU_DEP_2) | instskip(NEXT) | instid1(VALU_DEP_1)
	v_and_b32_e32 v22, 0x7f, v23
	v_cmpx_ne_u32_e32 0x7f, v22
	s_cbranch_execz .LBB226_1284
; %bb.1281:                             ;   in Loop: Header=BB226_998 Depth=1
	v_dual_lshrrev_b32 v0, 3, v22 :: v_dual_bitop2_b32 v40, 7, v23 bitop3:0x40
	s_mov_b32 s16, exec_lo
	v_cmpx_gt_u32_e32 8, v22
; %bb.1282:                             ;   in Loop: Header=BB226_998 Depth=1
	s_delay_alu instid0(VALU_DEP_2) | instskip(NEXT) | instid1(VALU_DEP_1)
	v_clz_i32_u32_e32 v0, v40
	v_min_u32_e32 v0, 32, v0
	s_delay_alu instid0(VALU_DEP_1) | instskip(NEXT) | instid1(VALU_DEP_1)
	v_subrev_nc_u32_e32 v1, 28, v0
	v_lshlrev_b64_e32 v[22:23], v1, v[40:41]
	s_delay_alu instid0(VALU_DEP_1)
	v_dual_sub_nc_u32 v0, 29, v0 :: v_dual_bitop2_b32 v40, 7, v22 bitop3:0x40
; %bb.1283:                             ;   in Loop: Header=BB226_998 Depth=1
	s_or_b32 exec_lo, exec_lo, s16
	s_delay_alu instid0(VALU_DEP_1) | instskip(NEXT) | instid1(VALU_DEP_2)
	v_dual_lshlrev_b32 v1, 16, v54 :: v_dual_lshlrev_b32 v20, 20, v40
	v_lshl_add_u32 v0, v0, 23, 0x3c000000
	s_delay_alu instid0(VALU_DEP_2) | instskip(NEXT) | instid1(VALU_DEP_1)
	v_and_b32_e32 v1, 0x80000000, v1
	v_or3_b32 v1, v20, v1, v0
	v_mov_b32_e32 v0, v41
.LBB226_1284:                           ;   in Loop: Header=BB226_998 Depth=1
	s_or_b32 exec_lo, exec_lo, s9
.LBB226_1285:                           ;   in Loop: Header=BB226_998 Depth=1
	s_delay_alu instid0(SALU_CYCLE_1)
	s_or_b32 exec_lo, exec_lo, s8
.LBB226_1286:                           ;   in Loop: Header=BB226_998 Depth=1
	s_delay_alu instid0(SALU_CYCLE_1) | instskip(SKIP_4) | instid1(VALU_DEP_3)
	s_or_b32 exec_lo, exec_lo, s3
	v_lshrrev_b32_e32 v55, 16, v54
	v_mov_b64_e32 v[52:53], 0
	v_mov_b64_e32 v[22:23], 0
	s_mov_b32 s3, exec_lo
	v_and_b32_e32 v64, 0xff, v55
	s_delay_alu instid0(VALU_DEP_1)
	v_cmpx_ne_u16_e32 0, v64
	s_cbranch_execz .LBB226_1294
; %bb.1287:                             ;   in Loop: Header=BB226_998 Depth=1
	v_mov_b64_e32 v[22:23], 0x80000000
	s_mov_b32 s8, exec_lo
	v_cmpx_ne_u16_e32 0x80, v64
	s_cbranch_execz .LBB226_1293
; %bb.1288:                             ;   in Loop: Header=BB226_998 Depth=1
	v_mov_b64_e32 v[22:23], 0x7f800001
	v_bfe_u32 v64, v54, 16, 7
	s_mov_b32 s9, exec_lo
	s_delay_alu instid0(VALU_DEP_1)
	v_cmpx_ne_u32_e32 0x7f, v64
	s_cbranch_execz .LBB226_1292
; %bb.1289:                             ;   in Loop: Header=BB226_998 Depth=1
	v_dual_lshrrev_b32 v22, 3, v64 :: v_dual_bitop2_b32 v40, 7, v55 bitop3:0x40
	s_mov_b32 s16, exec_lo
	v_cmpx_gt_u32_e32 8, v64
; %bb.1290:                             ;   in Loop: Header=BB226_998 Depth=1
	s_delay_alu instid0(VALU_DEP_2) | instskip(NEXT) | instid1(VALU_DEP_1)
	v_clz_i32_u32_e32 v20, v40
	v_min_u32_e32 v20, 32, v20
	s_delay_alu instid0(VALU_DEP_1) | instskip(NEXT) | instid1(VALU_DEP_1)
	v_subrev_nc_u32_e32 v22, 28, v20
	v_lshlrev_b64_e32 v[64:65], v22, v[40:41]
	v_sub_nc_u32_e32 v22, 29, v20
	s_delay_alu instid0(VALU_DEP_2)
	v_and_b32_e32 v40, 7, v64
; %bb.1291:                             ;   in Loop: Header=BB226_998 Depth=1
	s_or_b32 exec_lo, exec_lo, s16
	s_delay_alu instid0(VALU_DEP_1) | instskip(NEXT) | instid1(VALU_DEP_3)
	v_dual_lshlrev_b32 v20, 24, v55 :: v_dual_lshlrev_b32 v23, 20, v40
	v_lshl_add_u32 v22, v22, 23, 0x3c000000
	s_delay_alu instid0(VALU_DEP_2) | instskip(NEXT) | instid1(VALU_DEP_1)
	v_and_b32_e32 v20, 0x80000000, v20
	v_or3_b32 v40, v23, v20, v22
	s_delay_alu instid0(VALU_DEP_1)
	v_mov_b64_e32 v[22:23], v[40:41]
.LBB226_1292:                           ;   in Loop: Header=BB226_998 Depth=1
	s_or_b32 exec_lo, exec_lo, s9
.LBB226_1293:                           ;   in Loop: Header=BB226_998 Depth=1
	s_delay_alu instid0(SALU_CYCLE_1)
	s_or_b32 exec_lo, exec_lo, s8
.LBB226_1294:                           ;   in Loop: Header=BB226_998 Depth=1
	s_delay_alu instid0(SALU_CYCLE_1) | instskip(NEXT) | instid1(SALU_CYCLE_1)
	s_or_b32 exec_lo, exec_lo, s3
	s_mov_b32 s3, exec_lo
	v_cmpx_lt_u32_e32 0xffffff, v54
	s_cbranch_execz .LBB226_1302
; %bb.1295:                             ;   in Loop: Header=BB226_998 Depth=1
	v_mov_b64_e32 v[52:53], 0x8000000000000000
	v_lshrrev_b32_e32 v55, 24, v54
	s_mov_b32 s8, exec_lo
	s_delay_alu instid0(VALU_DEP_1)
	v_cmpx_ne_u32_e32 0x80, v55
	s_cbranch_execz .LBB226_1301
; %bb.1296:                             ;   in Loop: Header=BB226_998 Depth=1
	v_mov_b64_e32 v[52:53], 0x7f80000100000000
	v_bfe_u32 v54, v54, 24, 7
	s_mov_b32 s9, exec_lo
	s_delay_alu instid0(VALU_DEP_1)
	v_cmpx_ne_u32_e32 0x7f, v54
	s_cbranch_execz .LBB226_1300
; %bb.1297:                             ;   in Loop: Header=BB226_998 Depth=1
	v_dual_lshrrev_b32 v52, 3, v54 :: v_dual_bitop2_b32 v40, 7, v55 bitop3:0x40
	s_mov_b32 s16, exec_lo
	v_cmpx_gt_u32_e32 8, v54
; %bb.1298:                             ;   in Loop: Header=BB226_998 Depth=1
	s_delay_alu instid0(VALU_DEP_2) | instskip(NEXT) | instid1(VALU_DEP_1)
	v_clz_i32_u32_e32 v20, v40
	v_min_u32_e32 v20, 32, v20
	s_delay_alu instid0(VALU_DEP_1) | instskip(NEXT) | instid1(VALU_DEP_1)
	v_subrev_nc_u32_e32 v52, 28, v20
	v_lshlrev_b64_e32 v[64:65], v52, v[40:41]
	v_sub_nc_u32_e32 v52, 29, v20
	s_delay_alu instid0(VALU_DEP_2)
	v_and_b32_e32 v40, 7, v64
; %bb.1299:                             ;   in Loop: Header=BB226_998 Depth=1
	s_or_b32 exec_lo, exec_lo, s16
	s_delay_alu instid0(VALU_DEP_1) | instskip(NEXT) | instid1(VALU_DEP_3)
	v_dual_lshlrev_b32 v20, 24, v55 :: v_dual_lshlrev_b32 v53, 20, v40
	v_lshl_add_u32 v52, v52, 23, 0x3c000000
	s_delay_alu instid0(VALU_DEP_2) | instskip(NEXT) | instid1(VALU_DEP_1)
	v_and_b32_e32 v20, 0x80000000, v20
	v_or3_b32 v53, v53, v20, v52
	v_mov_b32_e32 v52, v41
.LBB226_1300:                           ;   in Loop: Header=BB226_998 Depth=1
	s_or_b32 exec_lo, exec_lo, s9
.LBB226_1301:                           ;   in Loop: Header=BB226_998 Depth=1
	s_delay_alu instid0(SALU_CYCLE_1)
	s_or_b32 exec_lo, exec_lo, s8
.LBB226_1302:                           ;   in Loop: Header=BB226_998 Depth=1
	s_delay_alu instid0(SALU_CYCLE_1) | instskip(SKIP_4) | instid1(VALU_DEP_3)
	s_or_b32 exec_lo, exec_lo, s3
	v_or_b32_e32 v1, v1, v11
	v_or_b32_e32 v0, v0, v10
	;; [unrolled: 1-line block ×4, first 2 shown]
	v_pk_mul_f32 v[0:1], v[50:51], v[0:1]
	scratch_store_b64 off, v[0:1], s32 offset:348 ; 8-byte Folded Spill
	s_wait_xcnt 0x0
	v_pk_mul_f32 v[0:1], v[50:51], v[10:11]
	scratch_store_b64 off, v[0:1], s32 offset:340 ; 8-byte Folded Spill
	s_wait_xcnt 0x0
	s_and_saveexec_b32 s3, vcc_lo
	s_cbranch_execz .LBB226_1304
; %bb.1303:                             ;   in Loop: Header=BB226_998 Depth=1
	s_clause 0x1
	scratch_load_b64 v[0:1], off, s32 offset:200
	scratch_load_b64 v[10:11], off, s32 offset:348 th:TH_LOAD_LU
	s_wait_loadcnt 0x1
	v_cmp_lt_i32_e64 s0, v21, v0
	s_wait_loadcnt 0x0
	s_delay_alu instid0(VALU_DEP_1) | instskip(SKIP_1) | instid1(VALU_DEP_1)
	v_cndmask_b32_e64 v10, 0, v10, s0
	v_cmp_lt_i32_e64 s0, v43, v0
	v_cndmask_b32_e64 v11, 0, v11, s0
	v_cmp_lt_i32_e64 s0, v45, v0
	s_clause 0x1
	scratch_store_b64 off, v[10:11], s32 offset:348
	scratch_load_b64 v[10:11], off, s32 offset:340 th:TH_LOAD_LU
	s_wait_loadcnt 0x0
	v_cndmask_b32_e64 v10, 0, v10, s0
	v_cmp_lt_i32_e64 s0, v44, v0
	s_delay_alu instid0(VALU_DEP_1)
	v_cndmask_b32_e64 v11, 0, v11, s0
	scratch_store_b64 off, v[10:11], s32 offset:340 ; 8-byte Folded Spill
.LBB226_1304:                           ;   in Loop: Header=BB226_998 Depth=1
	s_wait_xcnt 0x0
	s_or_b32 exec_lo, exec_lo, s3
	flat_load_b32 v54, v[68:69] offset:1152
	v_mov_b64_e32 v[0:1], 0
	v_mov_b64_e32 v[10:11], 0
	s_mov_b32 s3, exec_lo
	s_wait_loadcnt_dscnt 0x0
	v_and_b32_e32 v22, 0xff, v54
	s_wait_xcnt 0x0
	s_delay_alu instid0(VALU_DEP_1)
	v_cmpx_ne_u16_e32 0, v22
	s_cbranch_execz .LBB226_1312
; %bb.1305:                             ;   in Loop: Header=BB226_998 Depth=1
	v_mov_b64_e32 v[10:11], 0x80000000
	s_mov_b32 s8, exec_lo
	v_cmpx_ne_u16_e32 0x80, v22
	s_cbranch_execz .LBB226_1311
; %bb.1306:                             ;   in Loop: Header=BB226_998 Depth=1
	v_mov_b64_e32 v[10:11], 0x7f800001
	v_and_b32_e32 v22, 0x7f, v54
	s_mov_b32 s9, exec_lo
	s_delay_alu instid0(VALU_DEP_1)
	v_cmpx_ne_u32_e32 0x7f, v22
	s_cbranch_execz .LBB226_1310
; %bb.1307:                             ;   in Loop: Header=BB226_998 Depth=1
	v_and_b32_e32 v40, 7, v54
	v_lshrrev_b32_e32 v10, 3, v22
	s_mov_b32 s16, exec_lo
	v_cmpx_gt_u32_e32 8, v22
; %bb.1308:                             ;   in Loop: Header=BB226_998 Depth=1
	s_delay_alu instid0(VALU_DEP_3) | instskip(NEXT) | instid1(VALU_DEP_1)
	v_clz_i32_u32_e32 v10, v40
	v_min_u32_e32 v10, 32, v10
	s_delay_alu instid0(VALU_DEP_1) | instskip(SKIP_1) | instid1(VALU_DEP_2)
	v_subrev_nc_u32_e32 v11, 28, v10
	v_sub_nc_u32_e32 v10, 29, v10
	v_lshlrev_b64_e32 v[22:23], v11, v[40:41]
	s_delay_alu instid0(VALU_DEP_1)
	v_and_b32_e32 v40, 7, v22
; %bb.1309:                             ;   in Loop: Header=BB226_998 Depth=1
	s_or_b32 exec_lo, exec_lo, s16
	s_delay_alu instid0(VALU_DEP_1) | instskip(SKIP_1) | instid1(VALU_DEP_2)
	v_dual_lshlrev_b32 v11, 24, v54 :: v_dual_lshlrev_b32 v20, 20, v40
	v_lshl_add_u32 v10, v10, 23, 0x3c000000
	v_and_b32_e32 v11, 0x80000000, v11
	s_delay_alu instid0(VALU_DEP_1) | instskip(NEXT) | instid1(VALU_DEP_1)
	v_or3_b32 v40, v20, v11, v10
	v_mov_b64_e32 v[10:11], v[40:41]
.LBB226_1310:                           ;   in Loop: Header=BB226_998 Depth=1
	s_or_b32 exec_lo, exec_lo, s9
.LBB226_1311:                           ;   in Loop: Header=BB226_998 Depth=1
	s_delay_alu instid0(SALU_CYCLE_1)
	s_or_b32 exec_lo, exec_lo, s8
.LBB226_1312:                           ;   in Loop: Header=BB226_998 Depth=1
	s_delay_alu instid0(SALU_CYCLE_1) | instskip(SKIP_2) | instid1(VALU_DEP_1)
	s_or_b32 exec_lo, exec_lo, s3
	v_lshrrev_b16 v22, 8, v54
	s_mov_b32 s3, exec_lo
	v_cmpx_ne_u16_e32 0, v22
	s_cbranch_execz .LBB226_1320
; %bb.1313:                             ;   in Loop: Header=BB226_998 Depth=1
	v_mov_b64_e32 v[0:1], 0x8000000000000000
	s_mov_b32 s8, exec_lo
	v_cmpx_ne_u16_e32 0x80, v22
	s_cbranch_execz .LBB226_1319
; %bb.1314:                             ;   in Loop: Header=BB226_998 Depth=1
	v_and_b32_e32 v23, 0xffff, v22
	v_mov_b64_e32 v[0:1], 0x7f80000100000000
	s_mov_b32 s9, exec_lo
	s_delay_alu instid0(VALU_DEP_2) | instskip(NEXT) | instid1(VALU_DEP_1)
	v_and_b32_e32 v22, 0x7f, v23
	v_cmpx_ne_u32_e32 0x7f, v22
	s_cbranch_execz .LBB226_1318
; %bb.1315:                             ;   in Loop: Header=BB226_998 Depth=1
	v_dual_lshrrev_b32 v0, 3, v22 :: v_dual_bitop2_b32 v40, 7, v23 bitop3:0x40
	s_mov_b32 s16, exec_lo
	v_cmpx_gt_u32_e32 8, v22
; %bb.1316:                             ;   in Loop: Header=BB226_998 Depth=1
	s_delay_alu instid0(VALU_DEP_2) | instskip(NEXT) | instid1(VALU_DEP_1)
	v_clz_i32_u32_e32 v0, v40
	v_min_u32_e32 v0, 32, v0
	s_delay_alu instid0(VALU_DEP_1) | instskip(NEXT) | instid1(VALU_DEP_1)
	v_subrev_nc_u32_e32 v1, 28, v0
	v_lshlrev_b64_e32 v[22:23], v1, v[40:41]
	s_delay_alu instid0(VALU_DEP_1)
	v_dual_sub_nc_u32 v0, 29, v0 :: v_dual_bitop2_b32 v40, 7, v22 bitop3:0x40
; %bb.1317:                             ;   in Loop: Header=BB226_998 Depth=1
	s_or_b32 exec_lo, exec_lo, s16
	s_delay_alu instid0(VALU_DEP_1) | instskip(NEXT) | instid1(VALU_DEP_2)
	v_dual_lshlrev_b32 v1, 16, v54 :: v_dual_lshlrev_b32 v20, 20, v40
	v_lshl_add_u32 v0, v0, 23, 0x3c000000
	s_delay_alu instid0(VALU_DEP_2) | instskip(NEXT) | instid1(VALU_DEP_1)
	v_and_b32_e32 v1, 0x80000000, v1
	v_or3_b32 v1, v20, v1, v0
	v_mov_b32_e32 v0, v41
.LBB226_1318:                           ;   in Loop: Header=BB226_998 Depth=1
	s_or_b32 exec_lo, exec_lo, s9
.LBB226_1319:                           ;   in Loop: Header=BB226_998 Depth=1
	s_delay_alu instid0(SALU_CYCLE_1)
	s_or_b32 exec_lo, exec_lo, s8
.LBB226_1320:                           ;   in Loop: Header=BB226_998 Depth=1
	s_delay_alu instid0(SALU_CYCLE_1) | instskip(SKIP_4) | instid1(VALU_DEP_3)
	s_or_b32 exec_lo, exec_lo, s3
	v_lshrrev_b32_e32 v55, 16, v54
	v_mov_b64_e32 v[52:53], 0
	v_mov_b64_e32 v[22:23], 0
	s_mov_b32 s3, exec_lo
	v_and_b32_e32 v64, 0xff, v55
	s_delay_alu instid0(VALU_DEP_1)
	v_cmpx_ne_u16_e32 0, v64
	s_cbranch_execz .LBB226_1328
; %bb.1321:                             ;   in Loop: Header=BB226_998 Depth=1
	v_mov_b64_e32 v[22:23], 0x80000000
	s_mov_b32 s8, exec_lo
	v_cmpx_ne_u16_e32 0x80, v64
	s_cbranch_execz .LBB226_1327
; %bb.1322:                             ;   in Loop: Header=BB226_998 Depth=1
	v_mov_b64_e32 v[22:23], 0x7f800001
	v_bfe_u32 v64, v54, 16, 7
	s_mov_b32 s9, exec_lo
	s_delay_alu instid0(VALU_DEP_1)
	v_cmpx_ne_u32_e32 0x7f, v64
	s_cbranch_execz .LBB226_1326
; %bb.1323:                             ;   in Loop: Header=BB226_998 Depth=1
	v_dual_lshrrev_b32 v22, 3, v64 :: v_dual_bitop2_b32 v40, 7, v55 bitop3:0x40
	s_mov_b32 s16, exec_lo
	v_cmpx_gt_u32_e32 8, v64
; %bb.1324:                             ;   in Loop: Header=BB226_998 Depth=1
	s_delay_alu instid0(VALU_DEP_2) | instskip(NEXT) | instid1(VALU_DEP_1)
	v_clz_i32_u32_e32 v20, v40
	v_min_u32_e32 v20, 32, v20
	s_delay_alu instid0(VALU_DEP_1) | instskip(NEXT) | instid1(VALU_DEP_1)
	v_subrev_nc_u32_e32 v22, 28, v20
	v_lshlrev_b64_e32 v[64:65], v22, v[40:41]
	v_sub_nc_u32_e32 v22, 29, v20
	s_delay_alu instid0(VALU_DEP_2)
	v_and_b32_e32 v40, 7, v64
; %bb.1325:                             ;   in Loop: Header=BB226_998 Depth=1
	s_or_b32 exec_lo, exec_lo, s16
	s_delay_alu instid0(VALU_DEP_1) | instskip(NEXT) | instid1(VALU_DEP_3)
	v_dual_lshlrev_b32 v20, 24, v55 :: v_dual_lshlrev_b32 v23, 20, v40
	v_lshl_add_u32 v22, v22, 23, 0x3c000000
	s_delay_alu instid0(VALU_DEP_2) | instskip(NEXT) | instid1(VALU_DEP_1)
	v_and_b32_e32 v20, 0x80000000, v20
	v_or3_b32 v40, v23, v20, v22
	s_delay_alu instid0(VALU_DEP_1)
	v_mov_b64_e32 v[22:23], v[40:41]
.LBB226_1326:                           ;   in Loop: Header=BB226_998 Depth=1
	s_or_b32 exec_lo, exec_lo, s9
.LBB226_1327:                           ;   in Loop: Header=BB226_998 Depth=1
	s_delay_alu instid0(SALU_CYCLE_1)
	s_or_b32 exec_lo, exec_lo, s8
.LBB226_1328:                           ;   in Loop: Header=BB226_998 Depth=1
	s_delay_alu instid0(SALU_CYCLE_1) | instskip(NEXT) | instid1(SALU_CYCLE_1)
	s_or_b32 exec_lo, exec_lo, s3
	s_mov_b32 s3, exec_lo
	v_cmpx_lt_u32_e32 0xffffff, v54
	s_cbranch_execz .LBB226_1336
; %bb.1329:                             ;   in Loop: Header=BB226_998 Depth=1
	v_mov_b64_e32 v[52:53], 0x8000000000000000
	v_lshrrev_b32_e32 v55, 24, v54
	s_mov_b32 s8, exec_lo
	s_delay_alu instid0(VALU_DEP_1)
	v_cmpx_ne_u32_e32 0x80, v55
	s_cbranch_execz .LBB226_1335
; %bb.1330:                             ;   in Loop: Header=BB226_998 Depth=1
	v_mov_b64_e32 v[52:53], 0x7f80000100000000
	v_bfe_u32 v54, v54, 24, 7
	s_mov_b32 s9, exec_lo
	s_delay_alu instid0(VALU_DEP_1)
	v_cmpx_ne_u32_e32 0x7f, v54
	s_cbranch_execz .LBB226_1334
; %bb.1331:                             ;   in Loop: Header=BB226_998 Depth=1
	v_dual_lshrrev_b32 v52, 3, v54 :: v_dual_bitop2_b32 v40, 7, v55 bitop3:0x40
	s_mov_b32 s16, exec_lo
	v_cmpx_gt_u32_e32 8, v54
; %bb.1332:                             ;   in Loop: Header=BB226_998 Depth=1
	s_delay_alu instid0(VALU_DEP_2) | instskip(NEXT) | instid1(VALU_DEP_1)
	v_clz_i32_u32_e32 v20, v40
	v_min_u32_e32 v20, 32, v20
	s_delay_alu instid0(VALU_DEP_1) | instskip(NEXT) | instid1(VALU_DEP_1)
	v_subrev_nc_u32_e32 v52, 28, v20
	v_lshlrev_b64_e32 v[64:65], v52, v[40:41]
	v_sub_nc_u32_e32 v52, 29, v20
	s_delay_alu instid0(VALU_DEP_2)
	v_and_b32_e32 v40, 7, v64
; %bb.1333:                             ;   in Loop: Header=BB226_998 Depth=1
	s_or_b32 exec_lo, exec_lo, s16
	s_delay_alu instid0(VALU_DEP_1) | instskip(NEXT) | instid1(VALU_DEP_3)
	v_dual_lshlrev_b32 v20, 24, v55 :: v_dual_lshlrev_b32 v53, 20, v40
	v_lshl_add_u32 v52, v52, 23, 0x3c000000
	s_delay_alu instid0(VALU_DEP_2) | instskip(NEXT) | instid1(VALU_DEP_1)
	v_and_b32_e32 v20, 0x80000000, v20
	v_or3_b32 v53, v53, v20, v52
	v_mov_b32_e32 v52, v41
.LBB226_1334:                           ;   in Loop: Header=BB226_998 Depth=1
	s_or_b32 exec_lo, exec_lo, s9
.LBB226_1335:                           ;   in Loop: Header=BB226_998 Depth=1
	s_delay_alu instid0(SALU_CYCLE_1)
	s_or_b32 exec_lo, exec_lo, s8
.LBB226_1336:                           ;   in Loop: Header=BB226_998 Depth=1
	s_delay_alu instid0(SALU_CYCLE_1) | instskip(SKIP_4) | instid1(VALU_DEP_3)
	s_or_b32 exec_lo, exec_lo, s3
	v_or_b32_e32 v1, v1, v11
	v_or_b32_e32 v0, v0, v10
	;; [unrolled: 1-line block ×4, first 2 shown]
	v_pk_mul_f32 v[0:1], v[50:51], v[0:1]
	scratch_store_b64 off, v[0:1], s32 offset:364 ; 8-byte Folded Spill
	s_wait_xcnt 0x0
	v_pk_mul_f32 v[0:1], v[50:51], v[10:11]
	scratch_store_b64 off, v[0:1], s32 offset:356 ; 8-byte Folded Spill
	s_wait_xcnt 0x0
	s_and_saveexec_b32 s3, vcc_lo
	s_cbranch_execz .LBB226_1338
; %bb.1337:                             ;   in Loop: Header=BB226_998 Depth=1
	s_clause 0x1
	scratch_load_b64 v[0:1], off, s32 offset:200
	scratch_load_b64 v[10:11], off, s32 offset:364 th:TH_LOAD_LU
	s_wait_loadcnt 0x1
	v_cmp_lt_i32_e64 s0, v21, v0
	s_wait_loadcnt 0x0
	s_delay_alu instid0(VALU_DEP_1) | instskip(SKIP_1) | instid1(VALU_DEP_1)
	v_cndmask_b32_e64 v10, 0, v10, s0
	v_cmp_lt_i32_e64 s0, v43, v0
	v_cndmask_b32_e64 v11, 0, v11, s0
	v_cmp_lt_i32_e64 s0, v45, v0
	s_clause 0x1
	scratch_store_b64 off, v[10:11], s32 offset:364
	scratch_load_b64 v[10:11], off, s32 offset:356 th:TH_LOAD_LU
	s_wait_loadcnt 0x0
	v_cndmask_b32_e64 v10, 0, v10, s0
	v_cmp_lt_i32_e64 s0, v44, v0
	s_delay_alu instid0(VALU_DEP_1)
	v_cndmask_b32_e64 v11, 0, v11, s0
	scratch_store_b64 off, v[10:11], s32 offset:356 ; 8-byte Folded Spill
.LBB226_1338:                           ;   in Loop: Header=BB226_998 Depth=1
	s_wait_xcnt 0x0
	s_or_b32 exec_lo, exec_lo, s3
	flat_load_b32 v54, v[68:69] offset:1280
	v_mov_b64_e32 v[0:1], 0
	v_mov_b64_e32 v[10:11], 0
	s_mov_b32 s3, exec_lo
	s_wait_loadcnt_dscnt 0x0
	v_and_b32_e32 v22, 0xff, v54
	s_wait_xcnt 0x0
	s_delay_alu instid0(VALU_DEP_1)
	v_cmpx_ne_u16_e32 0, v22
	s_cbranch_execz .LBB226_1346
; %bb.1339:                             ;   in Loop: Header=BB226_998 Depth=1
	v_mov_b64_e32 v[10:11], 0x80000000
	s_mov_b32 s8, exec_lo
	v_cmpx_ne_u16_e32 0x80, v22
	s_cbranch_execz .LBB226_1345
; %bb.1340:                             ;   in Loop: Header=BB226_998 Depth=1
	v_mov_b64_e32 v[10:11], 0x7f800001
	v_and_b32_e32 v22, 0x7f, v54
	s_mov_b32 s9, exec_lo
	s_delay_alu instid0(VALU_DEP_1)
	v_cmpx_ne_u32_e32 0x7f, v22
	s_cbranch_execz .LBB226_1344
; %bb.1341:                             ;   in Loop: Header=BB226_998 Depth=1
	v_and_b32_e32 v40, 7, v54
	v_lshrrev_b32_e32 v10, 3, v22
	s_mov_b32 s16, exec_lo
	v_cmpx_gt_u32_e32 8, v22
; %bb.1342:                             ;   in Loop: Header=BB226_998 Depth=1
	s_delay_alu instid0(VALU_DEP_3) | instskip(NEXT) | instid1(VALU_DEP_1)
	v_clz_i32_u32_e32 v10, v40
	v_min_u32_e32 v10, 32, v10
	s_delay_alu instid0(VALU_DEP_1) | instskip(SKIP_1) | instid1(VALU_DEP_2)
	v_subrev_nc_u32_e32 v11, 28, v10
	v_sub_nc_u32_e32 v10, 29, v10
	v_lshlrev_b64_e32 v[22:23], v11, v[40:41]
	s_delay_alu instid0(VALU_DEP_1)
	v_and_b32_e32 v40, 7, v22
; %bb.1343:                             ;   in Loop: Header=BB226_998 Depth=1
	s_or_b32 exec_lo, exec_lo, s16
	s_delay_alu instid0(VALU_DEP_1) | instskip(SKIP_1) | instid1(VALU_DEP_2)
	v_dual_lshlrev_b32 v11, 24, v54 :: v_dual_lshlrev_b32 v20, 20, v40
	v_lshl_add_u32 v10, v10, 23, 0x3c000000
	v_and_b32_e32 v11, 0x80000000, v11
	s_delay_alu instid0(VALU_DEP_1) | instskip(NEXT) | instid1(VALU_DEP_1)
	v_or3_b32 v40, v20, v11, v10
	v_mov_b64_e32 v[10:11], v[40:41]
.LBB226_1344:                           ;   in Loop: Header=BB226_998 Depth=1
	s_or_b32 exec_lo, exec_lo, s9
.LBB226_1345:                           ;   in Loop: Header=BB226_998 Depth=1
	s_delay_alu instid0(SALU_CYCLE_1)
	s_or_b32 exec_lo, exec_lo, s8
.LBB226_1346:                           ;   in Loop: Header=BB226_998 Depth=1
	s_delay_alu instid0(SALU_CYCLE_1) | instskip(SKIP_2) | instid1(VALU_DEP_1)
	s_or_b32 exec_lo, exec_lo, s3
	v_lshrrev_b16 v22, 8, v54
	s_mov_b32 s3, exec_lo
	v_cmpx_ne_u16_e32 0, v22
	s_cbranch_execz .LBB226_1354
; %bb.1347:                             ;   in Loop: Header=BB226_998 Depth=1
	v_mov_b64_e32 v[0:1], 0x8000000000000000
	s_mov_b32 s8, exec_lo
	v_cmpx_ne_u16_e32 0x80, v22
	s_cbranch_execz .LBB226_1353
; %bb.1348:                             ;   in Loop: Header=BB226_998 Depth=1
	v_and_b32_e32 v23, 0xffff, v22
	v_mov_b64_e32 v[0:1], 0x7f80000100000000
	s_mov_b32 s9, exec_lo
	s_delay_alu instid0(VALU_DEP_2) | instskip(NEXT) | instid1(VALU_DEP_1)
	v_and_b32_e32 v22, 0x7f, v23
	v_cmpx_ne_u32_e32 0x7f, v22
	s_cbranch_execz .LBB226_1352
; %bb.1349:                             ;   in Loop: Header=BB226_998 Depth=1
	v_dual_lshrrev_b32 v0, 3, v22 :: v_dual_bitop2_b32 v40, 7, v23 bitop3:0x40
	s_mov_b32 s16, exec_lo
	v_cmpx_gt_u32_e32 8, v22
; %bb.1350:                             ;   in Loop: Header=BB226_998 Depth=1
	s_delay_alu instid0(VALU_DEP_2) | instskip(NEXT) | instid1(VALU_DEP_1)
	v_clz_i32_u32_e32 v0, v40
	v_min_u32_e32 v0, 32, v0
	s_delay_alu instid0(VALU_DEP_1) | instskip(NEXT) | instid1(VALU_DEP_1)
	v_subrev_nc_u32_e32 v1, 28, v0
	v_lshlrev_b64_e32 v[22:23], v1, v[40:41]
	s_delay_alu instid0(VALU_DEP_1)
	v_dual_sub_nc_u32 v0, 29, v0 :: v_dual_bitop2_b32 v40, 7, v22 bitop3:0x40
; %bb.1351:                             ;   in Loop: Header=BB226_998 Depth=1
	s_or_b32 exec_lo, exec_lo, s16
	s_delay_alu instid0(VALU_DEP_1) | instskip(NEXT) | instid1(VALU_DEP_2)
	v_dual_lshlrev_b32 v1, 16, v54 :: v_dual_lshlrev_b32 v20, 20, v40
	v_lshl_add_u32 v0, v0, 23, 0x3c000000
	s_delay_alu instid0(VALU_DEP_2) | instskip(NEXT) | instid1(VALU_DEP_1)
	v_and_b32_e32 v1, 0x80000000, v1
	v_or3_b32 v1, v20, v1, v0
	v_mov_b32_e32 v0, v41
.LBB226_1352:                           ;   in Loop: Header=BB226_998 Depth=1
	s_or_b32 exec_lo, exec_lo, s9
.LBB226_1353:                           ;   in Loop: Header=BB226_998 Depth=1
	s_delay_alu instid0(SALU_CYCLE_1)
	s_or_b32 exec_lo, exec_lo, s8
.LBB226_1354:                           ;   in Loop: Header=BB226_998 Depth=1
	s_delay_alu instid0(SALU_CYCLE_1) | instskip(SKIP_4) | instid1(VALU_DEP_3)
	s_or_b32 exec_lo, exec_lo, s3
	v_lshrrev_b32_e32 v55, 16, v54
	v_mov_b64_e32 v[52:53], 0
	v_mov_b64_e32 v[22:23], 0
	s_mov_b32 s3, exec_lo
	v_and_b32_e32 v64, 0xff, v55
	s_delay_alu instid0(VALU_DEP_1)
	v_cmpx_ne_u16_e32 0, v64
	s_cbranch_execz .LBB226_1362
; %bb.1355:                             ;   in Loop: Header=BB226_998 Depth=1
	v_mov_b64_e32 v[22:23], 0x80000000
	s_mov_b32 s8, exec_lo
	v_cmpx_ne_u16_e32 0x80, v64
	s_cbranch_execz .LBB226_1361
; %bb.1356:                             ;   in Loop: Header=BB226_998 Depth=1
	v_mov_b64_e32 v[22:23], 0x7f800001
	v_bfe_u32 v64, v54, 16, 7
	s_mov_b32 s9, exec_lo
	s_delay_alu instid0(VALU_DEP_1)
	v_cmpx_ne_u32_e32 0x7f, v64
	s_cbranch_execz .LBB226_1360
; %bb.1357:                             ;   in Loop: Header=BB226_998 Depth=1
	v_dual_lshrrev_b32 v22, 3, v64 :: v_dual_bitop2_b32 v40, 7, v55 bitop3:0x40
	s_mov_b32 s16, exec_lo
	v_cmpx_gt_u32_e32 8, v64
; %bb.1358:                             ;   in Loop: Header=BB226_998 Depth=1
	s_delay_alu instid0(VALU_DEP_2) | instskip(NEXT) | instid1(VALU_DEP_1)
	v_clz_i32_u32_e32 v20, v40
	v_min_u32_e32 v20, 32, v20
	s_delay_alu instid0(VALU_DEP_1) | instskip(NEXT) | instid1(VALU_DEP_1)
	v_subrev_nc_u32_e32 v22, 28, v20
	v_lshlrev_b64_e32 v[64:65], v22, v[40:41]
	v_sub_nc_u32_e32 v22, 29, v20
	s_delay_alu instid0(VALU_DEP_2)
	v_and_b32_e32 v40, 7, v64
; %bb.1359:                             ;   in Loop: Header=BB226_998 Depth=1
	s_or_b32 exec_lo, exec_lo, s16
	s_delay_alu instid0(VALU_DEP_1) | instskip(NEXT) | instid1(VALU_DEP_3)
	v_dual_lshlrev_b32 v20, 24, v55 :: v_dual_lshlrev_b32 v23, 20, v40
	v_lshl_add_u32 v22, v22, 23, 0x3c000000
	s_delay_alu instid0(VALU_DEP_2) | instskip(NEXT) | instid1(VALU_DEP_1)
	v_and_b32_e32 v20, 0x80000000, v20
	v_or3_b32 v40, v23, v20, v22
	s_delay_alu instid0(VALU_DEP_1)
	v_mov_b64_e32 v[22:23], v[40:41]
.LBB226_1360:                           ;   in Loop: Header=BB226_998 Depth=1
	s_or_b32 exec_lo, exec_lo, s9
.LBB226_1361:                           ;   in Loop: Header=BB226_998 Depth=1
	s_delay_alu instid0(SALU_CYCLE_1)
	s_or_b32 exec_lo, exec_lo, s8
.LBB226_1362:                           ;   in Loop: Header=BB226_998 Depth=1
	s_delay_alu instid0(SALU_CYCLE_1) | instskip(NEXT) | instid1(SALU_CYCLE_1)
	s_or_b32 exec_lo, exec_lo, s3
	s_mov_b32 s3, exec_lo
	v_cmpx_lt_u32_e32 0xffffff, v54
	s_cbranch_execz .LBB226_1370
; %bb.1363:                             ;   in Loop: Header=BB226_998 Depth=1
	v_mov_b64_e32 v[52:53], 0x8000000000000000
	v_lshrrev_b32_e32 v55, 24, v54
	s_mov_b32 s8, exec_lo
	s_delay_alu instid0(VALU_DEP_1)
	v_cmpx_ne_u32_e32 0x80, v55
	s_cbranch_execz .LBB226_1369
; %bb.1364:                             ;   in Loop: Header=BB226_998 Depth=1
	v_mov_b64_e32 v[52:53], 0x7f80000100000000
	v_bfe_u32 v54, v54, 24, 7
	s_mov_b32 s9, exec_lo
	s_delay_alu instid0(VALU_DEP_1)
	v_cmpx_ne_u32_e32 0x7f, v54
	s_cbranch_execz .LBB226_1368
; %bb.1365:                             ;   in Loop: Header=BB226_998 Depth=1
	v_dual_lshrrev_b32 v52, 3, v54 :: v_dual_bitop2_b32 v40, 7, v55 bitop3:0x40
	s_mov_b32 s16, exec_lo
	v_cmpx_gt_u32_e32 8, v54
; %bb.1366:                             ;   in Loop: Header=BB226_998 Depth=1
	s_delay_alu instid0(VALU_DEP_2) | instskip(NEXT) | instid1(VALU_DEP_1)
	v_clz_i32_u32_e32 v20, v40
	v_min_u32_e32 v20, 32, v20
	s_delay_alu instid0(VALU_DEP_1) | instskip(NEXT) | instid1(VALU_DEP_1)
	v_subrev_nc_u32_e32 v52, 28, v20
	v_lshlrev_b64_e32 v[64:65], v52, v[40:41]
	v_sub_nc_u32_e32 v52, 29, v20
	s_delay_alu instid0(VALU_DEP_2)
	v_and_b32_e32 v40, 7, v64
; %bb.1367:                             ;   in Loop: Header=BB226_998 Depth=1
	s_or_b32 exec_lo, exec_lo, s16
	s_delay_alu instid0(VALU_DEP_1) | instskip(NEXT) | instid1(VALU_DEP_3)
	v_dual_lshlrev_b32 v20, 24, v55 :: v_dual_lshlrev_b32 v53, 20, v40
	v_lshl_add_u32 v52, v52, 23, 0x3c000000
	s_delay_alu instid0(VALU_DEP_2) | instskip(NEXT) | instid1(VALU_DEP_1)
	v_and_b32_e32 v20, 0x80000000, v20
	v_or3_b32 v53, v53, v20, v52
	v_mov_b32_e32 v52, v41
.LBB226_1368:                           ;   in Loop: Header=BB226_998 Depth=1
	s_or_b32 exec_lo, exec_lo, s9
.LBB226_1369:                           ;   in Loop: Header=BB226_998 Depth=1
	s_delay_alu instid0(SALU_CYCLE_1)
	s_or_b32 exec_lo, exec_lo, s8
.LBB226_1370:                           ;   in Loop: Header=BB226_998 Depth=1
	s_delay_alu instid0(SALU_CYCLE_1) | instskip(SKIP_4) | instid1(VALU_DEP_3)
	s_or_b32 exec_lo, exec_lo, s3
	v_or_b32_e32 v1, v1, v11
	v_or_b32_e32 v0, v0, v10
	;; [unrolled: 1-line block ×4, first 2 shown]
	v_pk_mul_f32 v[0:1], v[50:51], v[0:1]
	scratch_store_b64 off, v[0:1], s32 offset:372 ; 8-byte Folded Spill
	s_wait_xcnt 0x0
	v_pk_mul_f32 v[0:1], v[50:51], v[10:11]
	scratch_store_b64 off, v[0:1], s32 offset:192 ; 8-byte Folded Spill
	s_wait_xcnt 0x0
	s_and_saveexec_b32 s3, vcc_lo
	s_cbranch_execz .LBB226_1372
; %bb.1371:                             ;   in Loop: Header=BB226_998 Depth=1
	scratch_load_b64 v[0:1], off, s32 offset:200 ; 8-byte Folded Reload
	s_wait_loadcnt 0x0
	v_mov_b32_e32 v10, v0
	scratch_load_b64 v[0:1], off, s32 offset:372 th:TH_LOAD_LU ; 8-byte Folded Reload
	v_cmp_lt_i32_e64 s0, v21, v10
	s_wait_loadcnt 0x0
	s_delay_alu instid0(VALU_DEP_1) | instskip(SKIP_1) | instid1(VALU_DEP_1)
	v_cndmask_b32_e64 v0, 0, v0, s0
	v_cmp_lt_i32_e64 s0, v43, v10
	v_cndmask_b32_e64 v1, 0, v1, s0
	v_cmp_lt_i32_e64 s0, v45, v10
	s_clause 0x1
	scratch_store_b64 off, v[0:1], s32 offset:372
	scratch_load_b64 v[0:1], off, s32 offset:192 th:TH_LOAD_LU
	s_wait_loadcnt 0x0
	v_cndmask_b32_e64 v0, 0, v0, s0
	v_cmp_lt_i32_e64 s0, v44, v10
	s_delay_alu instid0(VALU_DEP_1)
	v_cndmask_b32_e64 v1, 0, v1, s0
	scratch_store_b64 off, v[0:1], s32 offset:192 ; 8-byte Folded Spill
.LBB226_1372:                           ;   in Loop: Header=BB226_998 Depth=1
	s_wait_xcnt 0x0
	s_or_b32 exec_lo, exec_lo, s3
	flat_load_b32 v54, v[68:69] offset:1408
	v_mov_b64_e32 v[0:1], 0
	v_mov_b64_e32 v[10:11], 0
	s_mov_b32 s3, exec_lo
	s_wait_loadcnt_dscnt 0x0
	v_and_b32_e32 v22, 0xff, v54
	s_wait_xcnt 0x0
	s_delay_alu instid0(VALU_DEP_1)
	v_cmpx_ne_u16_e32 0, v22
	s_cbranch_execz .LBB226_1380
; %bb.1373:                             ;   in Loop: Header=BB226_998 Depth=1
	v_mov_b64_e32 v[10:11], 0x80000000
	s_mov_b32 s8, exec_lo
	v_cmpx_ne_u16_e32 0x80, v22
	s_cbranch_execz .LBB226_1379
; %bb.1374:                             ;   in Loop: Header=BB226_998 Depth=1
	v_mov_b64_e32 v[10:11], 0x7f800001
	v_and_b32_e32 v22, 0x7f, v54
	s_mov_b32 s9, exec_lo
	s_delay_alu instid0(VALU_DEP_1)
	v_cmpx_ne_u32_e32 0x7f, v22
	s_cbranch_execz .LBB226_1378
; %bb.1375:                             ;   in Loop: Header=BB226_998 Depth=1
	v_and_b32_e32 v40, 7, v54
	v_lshrrev_b32_e32 v10, 3, v22
	s_mov_b32 s16, exec_lo
	v_cmpx_gt_u32_e32 8, v22
; %bb.1376:                             ;   in Loop: Header=BB226_998 Depth=1
	s_delay_alu instid0(VALU_DEP_3) | instskip(NEXT) | instid1(VALU_DEP_1)
	v_clz_i32_u32_e32 v10, v40
	v_min_u32_e32 v10, 32, v10
	s_delay_alu instid0(VALU_DEP_1) | instskip(SKIP_1) | instid1(VALU_DEP_2)
	v_subrev_nc_u32_e32 v11, 28, v10
	v_sub_nc_u32_e32 v10, 29, v10
	v_lshlrev_b64_e32 v[22:23], v11, v[40:41]
	s_delay_alu instid0(VALU_DEP_1)
	v_and_b32_e32 v40, 7, v22
; %bb.1377:                             ;   in Loop: Header=BB226_998 Depth=1
	s_or_b32 exec_lo, exec_lo, s16
	s_delay_alu instid0(VALU_DEP_1) | instskip(SKIP_1) | instid1(VALU_DEP_2)
	v_dual_lshlrev_b32 v11, 24, v54 :: v_dual_lshlrev_b32 v20, 20, v40
	v_lshl_add_u32 v10, v10, 23, 0x3c000000
	v_and_b32_e32 v11, 0x80000000, v11
	s_delay_alu instid0(VALU_DEP_1) | instskip(NEXT) | instid1(VALU_DEP_1)
	v_or3_b32 v40, v20, v11, v10
	v_mov_b64_e32 v[10:11], v[40:41]
.LBB226_1378:                           ;   in Loop: Header=BB226_998 Depth=1
	s_or_b32 exec_lo, exec_lo, s9
.LBB226_1379:                           ;   in Loop: Header=BB226_998 Depth=1
	s_delay_alu instid0(SALU_CYCLE_1)
	s_or_b32 exec_lo, exec_lo, s8
.LBB226_1380:                           ;   in Loop: Header=BB226_998 Depth=1
	s_delay_alu instid0(SALU_CYCLE_1) | instskip(SKIP_2) | instid1(VALU_DEP_1)
	s_or_b32 exec_lo, exec_lo, s3
	v_lshrrev_b16 v22, 8, v54
	s_mov_b32 s3, exec_lo
	v_cmpx_ne_u16_e32 0, v22
	s_cbranch_execz .LBB226_1388
; %bb.1381:                             ;   in Loop: Header=BB226_998 Depth=1
	v_mov_b64_e32 v[0:1], 0x8000000000000000
	s_mov_b32 s8, exec_lo
	v_cmpx_ne_u16_e32 0x80, v22
	s_cbranch_execz .LBB226_1387
; %bb.1382:                             ;   in Loop: Header=BB226_998 Depth=1
	v_and_b32_e32 v23, 0xffff, v22
	v_mov_b64_e32 v[0:1], 0x7f80000100000000
	s_mov_b32 s9, exec_lo
	s_delay_alu instid0(VALU_DEP_2) | instskip(NEXT) | instid1(VALU_DEP_1)
	v_and_b32_e32 v22, 0x7f, v23
	v_cmpx_ne_u32_e32 0x7f, v22
	s_cbranch_execz .LBB226_1386
; %bb.1383:                             ;   in Loop: Header=BB226_998 Depth=1
	v_dual_lshrrev_b32 v0, 3, v22 :: v_dual_bitop2_b32 v40, 7, v23 bitop3:0x40
	s_mov_b32 s16, exec_lo
	v_cmpx_gt_u32_e32 8, v22
; %bb.1384:                             ;   in Loop: Header=BB226_998 Depth=1
	s_delay_alu instid0(VALU_DEP_2) | instskip(NEXT) | instid1(VALU_DEP_1)
	v_clz_i32_u32_e32 v0, v40
	v_min_u32_e32 v0, 32, v0
	s_delay_alu instid0(VALU_DEP_1) | instskip(NEXT) | instid1(VALU_DEP_1)
	v_subrev_nc_u32_e32 v1, 28, v0
	v_lshlrev_b64_e32 v[22:23], v1, v[40:41]
	s_delay_alu instid0(VALU_DEP_1)
	v_dual_sub_nc_u32 v0, 29, v0 :: v_dual_bitop2_b32 v40, 7, v22 bitop3:0x40
; %bb.1385:                             ;   in Loop: Header=BB226_998 Depth=1
	s_or_b32 exec_lo, exec_lo, s16
	s_delay_alu instid0(VALU_DEP_1) | instskip(NEXT) | instid1(VALU_DEP_2)
	v_dual_lshlrev_b32 v1, 16, v54 :: v_dual_lshlrev_b32 v20, 20, v40
	v_lshl_add_u32 v0, v0, 23, 0x3c000000
	s_delay_alu instid0(VALU_DEP_2) | instskip(NEXT) | instid1(VALU_DEP_1)
	v_and_b32_e32 v1, 0x80000000, v1
	v_or3_b32 v1, v20, v1, v0
	v_mov_b32_e32 v0, v41
.LBB226_1386:                           ;   in Loop: Header=BB226_998 Depth=1
	s_or_b32 exec_lo, exec_lo, s9
.LBB226_1387:                           ;   in Loop: Header=BB226_998 Depth=1
	s_delay_alu instid0(SALU_CYCLE_1)
	s_or_b32 exec_lo, exec_lo, s8
.LBB226_1388:                           ;   in Loop: Header=BB226_998 Depth=1
	s_delay_alu instid0(SALU_CYCLE_1) | instskip(SKIP_4) | instid1(VALU_DEP_3)
	s_or_b32 exec_lo, exec_lo, s3
	v_lshrrev_b32_e32 v55, 16, v54
	v_mov_b64_e32 v[52:53], 0
	v_mov_b64_e32 v[22:23], 0
	s_mov_b32 s3, exec_lo
	v_and_b32_e32 v64, 0xff, v55
	s_delay_alu instid0(VALU_DEP_1)
	v_cmpx_ne_u16_e32 0, v64
	s_cbranch_execz .LBB226_1396
; %bb.1389:                             ;   in Loop: Header=BB226_998 Depth=1
	v_mov_b64_e32 v[22:23], 0x80000000
	s_mov_b32 s8, exec_lo
	v_cmpx_ne_u16_e32 0x80, v64
	s_cbranch_execz .LBB226_1395
; %bb.1390:                             ;   in Loop: Header=BB226_998 Depth=1
	v_mov_b64_e32 v[22:23], 0x7f800001
	v_bfe_u32 v64, v54, 16, 7
	s_mov_b32 s9, exec_lo
	s_delay_alu instid0(VALU_DEP_1)
	v_cmpx_ne_u32_e32 0x7f, v64
	s_cbranch_execz .LBB226_1394
; %bb.1391:                             ;   in Loop: Header=BB226_998 Depth=1
	v_dual_lshrrev_b32 v22, 3, v64 :: v_dual_bitop2_b32 v40, 7, v55 bitop3:0x40
	s_mov_b32 s16, exec_lo
	v_cmpx_gt_u32_e32 8, v64
; %bb.1392:                             ;   in Loop: Header=BB226_998 Depth=1
	s_delay_alu instid0(VALU_DEP_2) | instskip(NEXT) | instid1(VALU_DEP_1)
	v_clz_i32_u32_e32 v20, v40
	v_min_u32_e32 v20, 32, v20
	s_delay_alu instid0(VALU_DEP_1) | instskip(NEXT) | instid1(VALU_DEP_1)
	v_subrev_nc_u32_e32 v22, 28, v20
	v_lshlrev_b64_e32 v[64:65], v22, v[40:41]
	v_sub_nc_u32_e32 v22, 29, v20
	s_delay_alu instid0(VALU_DEP_2)
	v_and_b32_e32 v40, 7, v64
; %bb.1393:                             ;   in Loop: Header=BB226_998 Depth=1
	s_or_b32 exec_lo, exec_lo, s16
	s_delay_alu instid0(VALU_DEP_1) | instskip(NEXT) | instid1(VALU_DEP_3)
	v_dual_lshlrev_b32 v20, 24, v55 :: v_dual_lshlrev_b32 v23, 20, v40
	v_lshl_add_u32 v22, v22, 23, 0x3c000000
	s_delay_alu instid0(VALU_DEP_2) | instskip(NEXT) | instid1(VALU_DEP_1)
	v_and_b32_e32 v20, 0x80000000, v20
	v_or3_b32 v40, v23, v20, v22
	s_delay_alu instid0(VALU_DEP_1)
	v_mov_b64_e32 v[22:23], v[40:41]
.LBB226_1394:                           ;   in Loop: Header=BB226_998 Depth=1
	s_or_b32 exec_lo, exec_lo, s9
.LBB226_1395:                           ;   in Loop: Header=BB226_998 Depth=1
	s_delay_alu instid0(SALU_CYCLE_1)
	s_or_b32 exec_lo, exec_lo, s8
.LBB226_1396:                           ;   in Loop: Header=BB226_998 Depth=1
	s_delay_alu instid0(SALU_CYCLE_1) | instskip(NEXT) | instid1(SALU_CYCLE_1)
	s_or_b32 exec_lo, exec_lo, s3
	s_mov_b32 s3, exec_lo
	v_cmpx_lt_u32_e32 0xffffff, v54
	s_cbranch_execz .LBB226_1404
; %bb.1397:                             ;   in Loop: Header=BB226_998 Depth=1
	v_mov_b64_e32 v[52:53], 0x8000000000000000
	v_lshrrev_b32_e32 v55, 24, v54
	s_mov_b32 s8, exec_lo
	s_delay_alu instid0(VALU_DEP_1)
	v_cmpx_ne_u32_e32 0x80, v55
	s_cbranch_execz .LBB226_1403
; %bb.1398:                             ;   in Loop: Header=BB226_998 Depth=1
	v_mov_b64_e32 v[52:53], 0x7f80000100000000
	v_bfe_u32 v54, v54, 24, 7
	s_mov_b32 s9, exec_lo
	s_delay_alu instid0(VALU_DEP_1)
	v_cmpx_ne_u32_e32 0x7f, v54
	s_cbranch_execz .LBB226_1402
; %bb.1399:                             ;   in Loop: Header=BB226_998 Depth=1
	v_dual_lshrrev_b32 v52, 3, v54 :: v_dual_bitop2_b32 v40, 7, v55 bitop3:0x40
	s_mov_b32 s16, exec_lo
	v_cmpx_gt_u32_e32 8, v54
; %bb.1400:                             ;   in Loop: Header=BB226_998 Depth=1
	s_delay_alu instid0(VALU_DEP_2) | instskip(NEXT) | instid1(VALU_DEP_1)
	v_clz_i32_u32_e32 v20, v40
	v_min_u32_e32 v20, 32, v20
	s_delay_alu instid0(VALU_DEP_1) | instskip(NEXT) | instid1(VALU_DEP_1)
	v_subrev_nc_u32_e32 v52, 28, v20
	v_lshlrev_b64_e32 v[64:65], v52, v[40:41]
	v_sub_nc_u32_e32 v52, 29, v20
	s_delay_alu instid0(VALU_DEP_2)
	v_and_b32_e32 v40, 7, v64
; %bb.1401:                             ;   in Loop: Header=BB226_998 Depth=1
	s_or_b32 exec_lo, exec_lo, s16
	s_delay_alu instid0(VALU_DEP_1) | instskip(NEXT) | instid1(VALU_DEP_3)
	v_dual_lshlrev_b32 v20, 24, v55 :: v_dual_lshlrev_b32 v53, 20, v40
	v_lshl_add_u32 v52, v52, 23, 0x3c000000
	s_delay_alu instid0(VALU_DEP_2) | instskip(NEXT) | instid1(VALU_DEP_1)
	v_and_b32_e32 v20, 0x80000000, v20
	v_or3_b32 v53, v53, v20, v52
	v_mov_b32_e32 v52, v41
.LBB226_1402:                           ;   in Loop: Header=BB226_998 Depth=1
	s_or_b32 exec_lo, exec_lo, s9
.LBB226_1403:                           ;   in Loop: Header=BB226_998 Depth=1
	s_delay_alu instid0(SALU_CYCLE_1)
	s_or_b32 exec_lo, exec_lo, s8
.LBB226_1404:                           ;   in Loop: Header=BB226_998 Depth=1
	s_delay_alu instid0(SALU_CYCLE_1) | instskip(SKIP_4) | instid1(VALU_DEP_3)
	s_or_b32 exec_lo, exec_lo, s3
	v_or_b32_e32 v1, v1, v11
	v_or_b32_e32 v0, v0, v10
	;; [unrolled: 1-line block ×4, first 2 shown]
	v_pk_mul_f32 v[60:61], v[50:51], v[0:1]
	s_delay_alu instid0(VALU_DEP_2)
	v_pk_mul_f32 v[58:59], v[50:51], v[10:11]
	s_and_saveexec_b32 s3, vcc_lo
	s_cbranch_execz .LBB226_1406
; %bb.1405:                             ;   in Loop: Header=BB226_998 Depth=1
	scratch_load_b64 v[0:1], off, s32 offset:200 ; 8-byte Folded Reload
	s_wait_loadcnt 0x0
	v_cmp_lt_i32_e64 s0, v21, v0
	s_delay_alu instid0(VALU_DEP_1) | instskip(SKIP_1) | instid1(VALU_DEP_1)
	v_cndmask_b32_e64 v60, 0, v60, s0
	v_cmp_lt_i32_e64 s0, v43, v0
	v_cndmask_b32_e64 v61, 0, v61, s0
	v_cmp_lt_i32_e64 s0, v45, v0
	s_delay_alu instid0(VALU_DEP_1) | instskip(SKIP_1) | instid1(VALU_DEP_1)
	v_cndmask_b32_e64 v58, 0, v58, s0
	v_cmp_lt_i32_e64 s0, v44, v0
	v_cndmask_b32_e64 v59, 0, v59, s0
.LBB226_1406:                           ;   in Loop: Header=BB226_998 Depth=1
	s_wait_xcnt 0x0
	s_or_b32 exec_lo, exec_lo, s3
	flat_load_b32 v54, v[68:69] offset:1536
	v_mov_b64_e32 v[0:1], 0
	v_mov_b64_e32 v[10:11], 0
	s_mov_b32 s3, exec_lo
	s_wait_loadcnt_dscnt 0x0
	v_and_b32_e32 v22, 0xff, v54
	s_wait_xcnt 0x0
	s_delay_alu instid0(VALU_DEP_1)
	v_cmpx_ne_u16_e32 0, v22
	s_cbranch_execz .LBB226_1414
; %bb.1407:                             ;   in Loop: Header=BB226_998 Depth=1
	v_mov_b64_e32 v[10:11], 0x80000000
	s_mov_b32 s8, exec_lo
	v_cmpx_ne_u16_e32 0x80, v22
	s_cbranch_execz .LBB226_1413
; %bb.1408:                             ;   in Loop: Header=BB226_998 Depth=1
	v_mov_b64_e32 v[10:11], 0x7f800001
	v_and_b32_e32 v22, 0x7f, v54
	s_mov_b32 s9, exec_lo
	s_delay_alu instid0(VALU_DEP_1)
	v_cmpx_ne_u32_e32 0x7f, v22
	s_cbranch_execz .LBB226_1412
; %bb.1409:                             ;   in Loop: Header=BB226_998 Depth=1
	v_and_b32_e32 v40, 7, v54
	v_lshrrev_b32_e32 v10, 3, v22
	s_mov_b32 s16, exec_lo
	v_cmpx_gt_u32_e32 8, v22
; %bb.1410:                             ;   in Loop: Header=BB226_998 Depth=1
	s_delay_alu instid0(VALU_DEP_3) | instskip(NEXT) | instid1(VALU_DEP_1)
	v_clz_i32_u32_e32 v10, v40
	v_min_u32_e32 v10, 32, v10
	s_delay_alu instid0(VALU_DEP_1) | instskip(SKIP_1) | instid1(VALU_DEP_2)
	v_subrev_nc_u32_e32 v11, 28, v10
	v_sub_nc_u32_e32 v10, 29, v10
	v_lshlrev_b64_e32 v[22:23], v11, v[40:41]
	s_delay_alu instid0(VALU_DEP_1)
	v_and_b32_e32 v40, 7, v22
; %bb.1411:                             ;   in Loop: Header=BB226_998 Depth=1
	s_or_b32 exec_lo, exec_lo, s16
	s_delay_alu instid0(VALU_DEP_1) | instskip(SKIP_1) | instid1(VALU_DEP_2)
	v_dual_lshlrev_b32 v11, 24, v54 :: v_dual_lshlrev_b32 v20, 20, v40
	v_lshl_add_u32 v10, v10, 23, 0x3c000000
	v_and_b32_e32 v11, 0x80000000, v11
	s_delay_alu instid0(VALU_DEP_1) | instskip(NEXT) | instid1(VALU_DEP_1)
	v_or3_b32 v40, v20, v11, v10
	v_mov_b64_e32 v[10:11], v[40:41]
.LBB226_1412:                           ;   in Loop: Header=BB226_998 Depth=1
	s_or_b32 exec_lo, exec_lo, s9
.LBB226_1413:                           ;   in Loop: Header=BB226_998 Depth=1
	s_delay_alu instid0(SALU_CYCLE_1)
	s_or_b32 exec_lo, exec_lo, s8
.LBB226_1414:                           ;   in Loop: Header=BB226_998 Depth=1
	s_delay_alu instid0(SALU_CYCLE_1) | instskip(SKIP_2) | instid1(VALU_DEP_1)
	s_or_b32 exec_lo, exec_lo, s3
	v_lshrrev_b16 v22, 8, v54
	s_mov_b32 s3, exec_lo
	v_cmpx_ne_u16_e32 0, v22
	s_cbranch_execz .LBB226_1422
; %bb.1415:                             ;   in Loop: Header=BB226_998 Depth=1
	v_mov_b64_e32 v[0:1], 0x8000000000000000
	s_mov_b32 s8, exec_lo
	v_cmpx_ne_u16_e32 0x80, v22
	s_cbranch_execz .LBB226_1421
; %bb.1416:                             ;   in Loop: Header=BB226_998 Depth=1
	v_and_b32_e32 v23, 0xffff, v22
	v_mov_b64_e32 v[0:1], 0x7f80000100000000
	s_mov_b32 s9, exec_lo
	s_delay_alu instid0(VALU_DEP_2) | instskip(NEXT) | instid1(VALU_DEP_1)
	v_and_b32_e32 v22, 0x7f, v23
	v_cmpx_ne_u32_e32 0x7f, v22
	s_cbranch_execz .LBB226_1420
; %bb.1417:                             ;   in Loop: Header=BB226_998 Depth=1
	v_dual_lshrrev_b32 v0, 3, v22 :: v_dual_bitop2_b32 v40, 7, v23 bitop3:0x40
	s_mov_b32 s16, exec_lo
	v_cmpx_gt_u32_e32 8, v22
; %bb.1418:                             ;   in Loop: Header=BB226_998 Depth=1
	s_delay_alu instid0(VALU_DEP_2) | instskip(NEXT) | instid1(VALU_DEP_1)
	v_clz_i32_u32_e32 v0, v40
	v_min_u32_e32 v0, 32, v0
	s_delay_alu instid0(VALU_DEP_1) | instskip(NEXT) | instid1(VALU_DEP_1)
	v_subrev_nc_u32_e32 v1, 28, v0
	v_lshlrev_b64_e32 v[22:23], v1, v[40:41]
	s_delay_alu instid0(VALU_DEP_1)
	v_dual_sub_nc_u32 v0, 29, v0 :: v_dual_bitop2_b32 v40, 7, v22 bitop3:0x40
; %bb.1419:                             ;   in Loop: Header=BB226_998 Depth=1
	s_or_b32 exec_lo, exec_lo, s16
	s_delay_alu instid0(VALU_DEP_1) | instskip(NEXT) | instid1(VALU_DEP_2)
	v_dual_lshlrev_b32 v1, 16, v54 :: v_dual_lshlrev_b32 v20, 20, v40
	v_lshl_add_u32 v0, v0, 23, 0x3c000000
	s_delay_alu instid0(VALU_DEP_2) | instskip(NEXT) | instid1(VALU_DEP_1)
	v_and_b32_e32 v1, 0x80000000, v1
	v_or3_b32 v1, v20, v1, v0
	v_mov_b32_e32 v0, v41
.LBB226_1420:                           ;   in Loop: Header=BB226_998 Depth=1
	s_or_b32 exec_lo, exec_lo, s9
.LBB226_1421:                           ;   in Loop: Header=BB226_998 Depth=1
	s_delay_alu instid0(SALU_CYCLE_1)
	s_or_b32 exec_lo, exec_lo, s8
.LBB226_1422:                           ;   in Loop: Header=BB226_998 Depth=1
	s_delay_alu instid0(SALU_CYCLE_1) | instskip(SKIP_4) | instid1(VALU_DEP_3)
	s_or_b32 exec_lo, exec_lo, s3
	v_lshrrev_b32_e32 v55, 16, v54
	v_mov_b64_e32 v[52:53], 0
	v_mov_b64_e32 v[22:23], 0
	s_mov_b32 s3, exec_lo
	v_and_b32_e32 v64, 0xff, v55
	s_delay_alu instid0(VALU_DEP_1)
	v_cmpx_ne_u16_e32 0, v64
	s_cbranch_execz .LBB226_1430
; %bb.1423:                             ;   in Loop: Header=BB226_998 Depth=1
	v_mov_b64_e32 v[22:23], 0x80000000
	s_mov_b32 s8, exec_lo
	v_cmpx_ne_u16_e32 0x80, v64
	s_cbranch_execz .LBB226_1429
; %bb.1424:                             ;   in Loop: Header=BB226_998 Depth=1
	v_mov_b64_e32 v[22:23], 0x7f800001
	v_bfe_u32 v64, v54, 16, 7
	s_mov_b32 s9, exec_lo
	s_delay_alu instid0(VALU_DEP_1)
	v_cmpx_ne_u32_e32 0x7f, v64
	s_cbranch_execz .LBB226_1428
; %bb.1425:                             ;   in Loop: Header=BB226_998 Depth=1
	v_dual_lshrrev_b32 v22, 3, v64 :: v_dual_bitop2_b32 v40, 7, v55 bitop3:0x40
	s_mov_b32 s16, exec_lo
	v_cmpx_gt_u32_e32 8, v64
; %bb.1426:                             ;   in Loop: Header=BB226_998 Depth=1
	s_delay_alu instid0(VALU_DEP_2) | instskip(NEXT) | instid1(VALU_DEP_1)
	v_clz_i32_u32_e32 v20, v40
	v_min_u32_e32 v20, 32, v20
	s_delay_alu instid0(VALU_DEP_1) | instskip(NEXT) | instid1(VALU_DEP_1)
	v_subrev_nc_u32_e32 v22, 28, v20
	v_lshlrev_b64_e32 v[64:65], v22, v[40:41]
	v_sub_nc_u32_e32 v22, 29, v20
	s_delay_alu instid0(VALU_DEP_2)
	v_and_b32_e32 v40, 7, v64
; %bb.1427:                             ;   in Loop: Header=BB226_998 Depth=1
	s_or_b32 exec_lo, exec_lo, s16
	s_delay_alu instid0(VALU_DEP_1) | instskip(NEXT) | instid1(VALU_DEP_3)
	v_dual_lshlrev_b32 v20, 24, v55 :: v_dual_lshlrev_b32 v23, 20, v40
	v_lshl_add_u32 v22, v22, 23, 0x3c000000
	s_delay_alu instid0(VALU_DEP_2) | instskip(NEXT) | instid1(VALU_DEP_1)
	v_and_b32_e32 v20, 0x80000000, v20
	v_or3_b32 v40, v23, v20, v22
	s_delay_alu instid0(VALU_DEP_1)
	v_mov_b64_e32 v[22:23], v[40:41]
.LBB226_1428:                           ;   in Loop: Header=BB226_998 Depth=1
	s_or_b32 exec_lo, exec_lo, s9
.LBB226_1429:                           ;   in Loop: Header=BB226_998 Depth=1
	s_delay_alu instid0(SALU_CYCLE_1)
	s_or_b32 exec_lo, exec_lo, s8
.LBB226_1430:                           ;   in Loop: Header=BB226_998 Depth=1
	s_delay_alu instid0(SALU_CYCLE_1) | instskip(NEXT) | instid1(SALU_CYCLE_1)
	s_or_b32 exec_lo, exec_lo, s3
	s_mov_b32 s3, exec_lo
	v_cmpx_lt_u32_e32 0xffffff, v54
	s_cbranch_execz .LBB226_1438
; %bb.1431:                             ;   in Loop: Header=BB226_998 Depth=1
	v_mov_b64_e32 v[52:53], 0x8000000000000000
	v_lshrrev_b32_e32 v55, 24, v54
	s_mov_b32 s8, exec_lo
	s_delay_alu instid0(VALU_DEP_1)
	v_cmpx_ne_u32_e32 0x80, v55
	s_cbranch_execz .LBB226_1437
; %bb.1432:                             ;   in Loop: Header=BB226_998 Depth=1
	v_mov_b64_e32 v[52:53], 0x7f80000100000000
	v_bfe_u32 v54, v54, 24, 7
	s_mov_b32 s9, exec_lo
	s_delay_alu instid0(VALU_DEP_1)
	v_cmpx_ne_u32_e32 0x7f, v54
	s_cbranch_execz .LBB226_1436
; %bb.1433:                             ;   in Loop: Header=BB226_998 Depth=1
	v_dual_lshrrev_b32 v52, 3, v54 :: v_dual_bitop2_b32 v40, 7, v55 bitop3:0x40
	s_mov_b32 s16, exec_lo
	v_cmpx_gt_u32_e32 8, v54
; %bb.1434:                             ;   in Loop: Header=BB226_998 Depth=1
	s_delay_alu instid0(VALU_DEP_2) | instskip(NEXT) | instid1(VALU_DEP_1)
	v_clz_i32_u32_e32 v20, v40
	v_min_u32_e32 v20, 32, v20
	s_delay_alu instid0(VALU_DEP_1) | instskip(NEXT) | instid1(VALU_DEP_1)
	v_subrev_nc_u32_e32 v52, 28, v20
	v_lshlrev_b64_e32 v[64:65], v52, v[40:41]
	v_sub_nc_u32_e32 v52, 29, v20
	s_delay_alu instid0(VALU_DEP_2)
	v_and_b32_e32 v40, 7, v64
; %bb.1435:                             ;   in Loop: Header=BB226_998 Depth=1
	s_or_b32 exec_lo, exec_lo, s16
	s_delay_alu instid0(VALU_DEP_1) | instskip(NEXT) | instid1(VALU_DEP_3)
	v_dual_lshlrev_b32 v20, 24, v55 :: v_dual_lshlrev_b32 v53, 20, v40
	v_lshl_add_u32 v52, v52, 23, 0x3c000000
	s_delay_alu instid0(VALU_DEP_2) | instskip(NEXT) | instid1(VALU_DEP_1)
	v_and_b32_e32 v20, 0x80000000, v20
	v_or3_b32 v53, v53, v20, v52
	v_mov_b32_e32 v52, v41
.LBB226_1436:                           ;   in Loop: Header=BB226_998 Depth=1
	s_or_b32 exec_lo, exec_lo, s9
.LBB226_1437:                           ;   in Loop: Header=BB226_998 Depth=1
	s_delay_alu instid0(SALU_CYCLE_1)
	s_or_b32 exec_lo, exec_lo, s8
.LBB226_1438:                           ;   in Loop: Header=BB226_998 Depth=1
	s_delay_alu instid0(SALU_CYCLE_1) | instskip(SKIP_4) | instid1(VALU_DEP_3)
	s_or_b32 exec_lo, exec_lo, s3
	v_or_b32_e32 v1, v1, v11
	v_or_b32_e32 v0, v0, v10
	v_or_b32_e32 v11, v53, v23
	v_or_b32_e32 v10, v52, v22
	v_pk_mul_f32 v[72:73], v[50:51], v[0:1]
	s_delay_alu instid0(VALU_DEP_2)
	v_pk_mul_f32 v[62:63], v[50:51], v[10:11]
	s_and_saveexec_b32 s3, vcc_lo
	s_cbranch_execz .LBB226_1440
; %bb.1439:                             ;   in Loop: Header=BB226_998 Depth=1
	scratch_load_b64 v[0:1], off, s32 offset:200 ; 8-byte Folded Reload
	s_wait_loadcnt 0x0
	v_cmp_lt_i32_e64 s0, v21, v0
	s_delay_alu instid0(VALU_DEP_1) | instskip(SKIP_1) | instid1(VALU_DEP_1)
	v_cndmask_b32_e64 v72, 0, v72, s0
	v_cmp_lt_i32_e64 s0, v43, v0
	v_cndmask_b32_e64 v73, 0, v73, s0
	v_cmp_lt_i32_e64 s0, v45, v0
	s_delay_alu instid0(VALU_DEP_1) | instskip(SKIP_1) | instid1(VALU_DEP_1)
	v_cndmask_b32_e64 v62, 0, v62, s0
	v_cmp_lt_i32_e64 s0, v44, v0
	v_cndmask_b32_e64 v63, 0, v63, s0
.LBB226_1440:                           ;   in Loop: Header=BB226_998 Depth=1
	s_wait_xcnt 0x0
	s_or_b32 exec_lo, exec_lo, s3
	flat_load_b32 v54, v[68:69] offset:1664
	v_mov_b64_e32 v[0:1], 0
	v_mov_b64_e32 v[10:11], 0
	s_mov_b32 s3, exec_lo
	s_wait_loadcnt_dscnt 0x0
	v_and_b32_e32 v22, 0xff, v54
	s_wait_xcnt 0x0
	s_delay_alu instid0(VALU_DEP_1)
	v_cmpx_ne_u16_e32 0, v22
	s_cbranch_execz .LBB226_1448
; %bb.1441:                             ;   in Loop: Header=BB226_998 Depth=1
	v_mov_b64_e32 v[10:11], 0x80000000
	s_mov_b32 s8, exec_lo
	v_cmpx_ne_u16_e32 0x80, v22
	s_cbranch_execz .LBB226_1447
; %bb.1442:                             ;   in Loop: Header=BB226_998 Depth=1
	v_mov_b64_e32 v[10:11], 0x7f800001
	v_and_b32_e32 v22, 0x7f, v54
	s_mov_b32 s9, exec_lo
	s_delay_alu instid0(VALU_DEP_1)
	v_cmpx_ne_u32_e32 0x7f, v22
	s_cbranch_execz .LBB226_1446
; %bb.1443:                             ;   in Loop: Header=BB226_998 Depth=1
	v_and_b32_e32 v40, 7, v54
	v_lshrrev_b32_e32 v10, 3, v22
	s_mov_b32 s16, exec_lo
	v_cmpx_gt_u32_e32 8, v22
; %bb.1444:                             ;   in Loop: Header=BB226_998 Depth=1
	s_delay_alu instid0(VALU_DEP_3) | instskip(NEXT) | instid1(VALU_DEP_1)
	v_clz_i32_u32_e32 v10, v40
	v_min_u32_e32 v10, 32, v10
	s_delay_alu instid0(VALU_DEP_1) | instskip(SKIP_1) | instid1(VALU_DEP_2)
	v_subrev_nc_u32_e32 v11, 28, v10
	v_sub_nc_u32_e32 v10, 29, v10
	v_lshlrev_b64_e32 v[22:23], v11, v[40:41]
	s_delay_alu instid0(VALU_DEP_1)
	v_and_b32_e32 v40, 7, v22
; %bb.1445:                             ;   in Loop: Header=BB226_998 Depth=1
	s_or_b32 exec_lo, exec_lo, s16
	s_delay_alu instid0(VALU_DEP_1) | instskip(SKIP_1) | instid1(VALU_DEP_2)
	v_dual_lshlrev_b32 v11, 24, v54 :: v_dual_lshlrev_b32 v20, 20, v40
	v_lshl_add_u32 v10, v10, 23, 0x3c000000
	v_and_b32_e32 v11, 0x80000000, v11
	s_delay_alu instid0(VALU_DEP_1) | instskip(NEXT) | instid1(VALU_DEP_1)
	v_or3_b32 v40, v20, v11, v10
	v_mov_b64_e32 v[10:11], v[40:41]
.LBB226_1446:                           ;   in Loop: Header=BB226_998 Depth=1
	s_or_b32 exec_lo, exec_lo, s9
.LBB226_1447:                           ;   in Loop: Header=BB226_998 Depth=1
	s_delay_alu instid0(SALU_CYCLE_1)
	s_or_b32 exec_lo, exec_lo, s8
.LBB226_1448:                           ;   in Loop: Header=BB226_998 Depth=1
	s_delay_alu instid0(SALU_CYCLE_1) | instskip(SKIP_2) | instid1(VALU_DEP_1)
	s_or_b32 exec_lo, exec_lo, s3
	v_lshrrev_b16 v22, 8, v54
	s_mov_b32 s3, exec_lo
	v_cmpx_ne_u16_e32 0, v22
	s_cbranch_execz .LBB226_1456
; %bb.1449:                             ;   in Loop: Header=BB226_998 Depth=1
	v_mov_b64_e32 v[0:1], 0x8000000000000000
	s_mov_b32 s8, exec_lo
	v_cmpx_ne_u16_e32 0x80, v22
	s_cbranch_execz .LBB226_1455
; %bb.1450:                             ;   in Loop: Header=BB226_998 Depth=1
	v_and_b32_e32 v23, 0xffff, v22
	v_mov_b64_e32 v[0:1], 0x7f80000100000000
	s_mov_b32 s9, exec_lo
	s_delay_alu instid0(VALU_DEP_2) | instskip(NEXT) | instid1(VALU_DEP_1)
	v_and_b32_e32 v22, 0x7f, v23
	v_cmpx_ne_u32_e32 0x7f, v22
	s_cbranch_execz .LBB226_1454
; %bb.1451:                             ;   in Loop: Header=BB226_998 Depth=1
	v_dual_lshrrev_b32 v0, 3, v22 :: v_dual_bitop2_b32 v40, 7, v23 bitop3:0x40
	s_mov_b32 s16, exec_lo
	v_cmpx_gt_u32_e32 8, v22
; %bb.1452:                             ;   in Loop: Header=BB226_998 Depth=1
	s_delay_alu instid0(VALU_DEP_2) | instskip(NEXT) | instid1(VALU_DEP_1)
	v_clz_i32_u32_e32 v0, v40
	v_min_u32_e32 v0, 32, v0
	s_delay_alu instid0(VALU_DEP_1) | instskip(NEXT) | instid1(VALU_DEP_1)
	v_subrev_nc_u32_e32 v1, 28, v0
	v_lshlrev_b64_e32 v[22:23], v1, v[40:41]
	s_delay_alu instid0(VALU_DEP_1)
	v_dual_sub_nc_u32 v0, 29, v0 :: v_dual_bitop2_b32 v40, 7, v22 bitop3:0x40
; %bb.1453:                             ;   in Loop: Header=BB226_998 Depth=1
	s_or_b32 exec_lo, exec_lo, s16
	s_delay_alu instid0(VALU_DEP_1) | instskip(NEXT) | instid1(VALU_DEP_2)
	v_dual_lshlrev_b32 v1, 16, v54 :: v_dual_lshlrev_b32 v20, 20, v40
	v_lshl_add_u32 v0, v0, 23, 0x3c000000
	s_delay_alu instid0(VALU_DEP_2) | instskip(NEXT) | instid1(VALU_DEP_1)
	v_and_b32_e32 v1, 0x80000000, v1
	v_or3_b32 v1, v20, v1, v0
	v_mov_b32_e32 v0, v41
.LBB226_1454:                           ;   in Loop: Header=BB226_998 Depth=1
	s_or_b32 exec_lo, exec_lo, s9
.LBB226_1455:                           ;   in Loop: Header=BB226_998 Depth=1
	s_delay_alu instid0(SALU_CYCLE_1)
	s_or_b32 exec_lo, exec_lo, s8
.LBB226_1456:                           ;   in Loop: Header=BB226_998 Depth=1
	s_delay_alu instid0(SALU_CYCLE_1) | instskip(SKIP_4) | instid1(VALU_DEP_3)
	s_or_b32 exec_lo, exec_lo, s3
	v_lshrrev_b32_e32 v55, 16, v54
	v_mov_b64_e32 v[52:53], 0
	v_mov_b64_e32 v[22:23], 0
	s_mov_b32 s3, exec_lo
	v_and_b32_e32 v64, 0xff, v55
	s_delay_alu instid0(VALU_DEP_1)
	v_cmpx_ne_u16_e32 0, v64
	s_cbranch_execz .LBB226_1464
; %bb.1457:                             ;   in Loop: Header=BB226_998 Depth=1
	v_mov_b64_e32 v[22:23], 0x80000000
	s_mov_b32 s8, exec_lo
	v_cmpx_ne_u16_e32 0x80, v64
	s_cbranch_execz .LBB226_1463
; %bb.1458:                             ;   in Loop: Header=BB226_998 Depth=1
	v_mov_b64_e32 v[22:23], 0x7f800001
	v_bfe_u32 v64, v54, 16, 7
	s_mov_b32 s9, exec_lo
	s_delay_alu instid0(VALU_DEP_1)
	v_cmpx_ne_u32_e32 0x7f, v64
	s_cbranch_execz .LBB226_1462
; %bb.1459:                             ;   in Loop: Header=BB226_998 Depth=1
	v_dual_lshrrev_b32 v22, 3, v64 :: v_dual_bitop2_b32 v40, 7, v55 bitop3:0x40
	s_mov_b32 s16, exec_lo
	v_cmpx_gt_u32_e32 8, v64
; %bb.1460:                             ;   in Loop: Header=BB226_998 Depth=1
	s_delay_alu instid0(VALU_DEP_2) | instskip(NEXT) | instid1(VALU_DEP_1)
	v_clz_i32_u32_e32 v20, v40
	v_min_u32_e32 v20, 32, v20
	s_delay_alu instid0(VALU_DEP_1) | instskip(NEXT) | instid1(VALU_DEP_1)
	v_subrev_nc_u32_e32 v22, 28, v20
	v_lshlrev_b64_e32 v[64:65], v22, v[40:41]
	v_sub_nc_u32_e32 v22, 29, v20
	s_delay_alu instid0(VALU_DEP_2)
	v_and_b32_e32 v40, 7, v64
; %bb.1461:                             ;   in Loop: Header=BB226_998 Depth=1
	s_or_b32 exec_lo, exec_lo, s16
	s_delay_alu instid0(VALU_DEP_1) | instskip(NEXT) | instid1(VALU_DEP_3)
	v_dual_lshlrev_b32 v20, 24, v55 :: v_dual_lshlrev_b32 v23, 20, v40
	v_lshl_add_u32 v22, v22, 23, 0x3c000000
	s_delay_alu instid0(VALU_DEP_2) | instskip(NEXT) | instid1(VALU_DEP_1)
	v_and_b32_e32 v20, 0x80000000, v20
	v_or3_b32 v40, v23, v20, v22
	s_delay_alu instid0(VALU_DEP_1)
	v_mov_b64_e32 v[22:23], v[40:41]
.LBB226_1462:                           ;   in Loop: Header=BB226_998 Depth=1
	s_or_b32 exec_lo, exec_lo, s9
.LBB226_1463:                           ;   in Loop: Header=BB226_998 Depth=1
	s_delay_alu instid0(SALU_CYCLE_1)
	s_or_b32 exec_lo, exec_lo, s8
.LBB226_1464:                           ;   in Loop: Header=BB226_998 Depth=1
	s_delay_alu instid0(SALU_CYCLE_1) | instskip(NEXT) | instid1(SALU_CYCLE_1)
	s_or_b32 exec_lo, exec_lo, s3
	s_mov_b32 s3, exec_lo
	v_cmpx_lt_u32_e32 0xffffff, v54
	s_cbranch_execz .LBB226_1472
; %bb.1465:                             ;   in Loop: Header=BB226_998 Depth=1
	v_mov_b64_e32 v[52:53], 0x8000000000000000
	v_lshrrev_b32_e32 v55, 24, v54
	s_mov_b32 s8, exec_lo
	s_delay_alu instid0(VALU_DEP_1)
	v_cmpx_ne_u32_e32 0x80, v55
	s_cbranch_execz .LBB226_1471
; %bb.1466:                             ;   in Loop: Header=BB226_998 Depth=1
	v_mov_b64_e32 v[52:53], 0x7f80000100000000
	v_bfe_u32 v54, v54, 24, 7
	s_mov_b32 s9, exec_lo
	s_delay_alu instid0(VALU_DEP_1)
	v_cmpx_ne_u32_e32 0x7f, v54
	s_cbranch_execz .LBB226_1470
; %bb.1467:                             ;   in Loop: Header=BB226_998 Depth=1
	v_dual_lshrrev_b32 v52, 3, v54 :: v_dual_bitop2_b32 v40, 7, v55 bitop3:0x40
	s_mov_b32 s16, exec_lo
	v_cmpx_gt_u32_e32 8, v54
; %bb.1468:                             ;   in Loop: Header=BB226_998 Depth=1
	s_delay_alu instid0(VALU_DEP_2) | instskip(NEXT) | instid1(VALU_DEP_1)
	v_clz_i32_u32_e32 v20, v40
	v_min_u32_e32 v20, 32, v20
	s_delay_alu instid0(VALU_DEP_1) | instskip(NEXT) | instid1(VALU_DEP_1)
	v_subrev_nc_u32_e32 v52, 28, v20
	v_lshlrev_b64_e32 v[64:65], v52, v[40:41]
	v_sub_nc_u32_e32 v52, 29, v20
	s_delay_alu instid0(VALU_DEP_2)
	v_and_b32_e32 v40, 7, v64
; %bb.1469:                             ;   in Loop: Header=BB226_998 Depth=1
	s_or_b32 exec_lo, exec_lo, s16
	s_delay_alu instid0(VALU_DEP_1) | instskip(NEXT) | instid1(VALU_DEP_3)
	v_dual_lshlrev_b32 v20, 24, v55 :: v_dual_lshlrev_b32 v53, 20, v40
	v_lshl_add_u32 v52, v52, 23, 0x3c000000
	s_delay_alu instid0(VALU_DEP_2) | instskip(NEXT) | instid1(VALU_DEP_1)
	v_and_b32_e32 v20, 0x80000000, v20
	v_or3_b32 v53, v53, v20, v52
	v_mov_b32_e32 v52, v41
.LBB226_1470:                           ;   in Loop: Header=BB226_998 Depth=1
	s_or_b32 exec_lo, exec_lo, s9
.LBB226_1471:                           ;   in Loop: Header=BB226_998 Depth=1
	s_delay_alu instid0(SALU_CYCLE_1)
	s_or_b32 exec_lo, exec_lo, s8
.LBB226_1472:                           ;   in Loop: Header=BB226_998 Depth=1
	s_delay_alu instid0(SALU_CYCLE_1) | instskip(SKIP_4) | instid1(VALU_DEP_3)
	s_or_b32 exec_lo, exec_lo, s3
	v_or_b32_e32 v1, v1, v11
	v_or_b32_e32 v0, v0, v10
	;; [unrolled: 1-line block ×4, first 2 shown]
	v_pk_mul_f32 v[76:77], v[50:51], v[0:1]
	s_delay_alu instid0(VALU_DEP_2)
	v_pk_mul_f32 v[74:75], v[50:51], v[10:11]
	s_and_saveexec_b32 s3, vcc_lo
	s_cbranch_execz .LBB226_1474
; %bb.1473:                             ;   in Loop: Header=BB226_998 Depth=1
	scratch_load_b64 v[0:1], off, s32 offset:200 ; 8-byte Folded Reload
	s_wait_loadcnt 0x0
	v_cmp_lt_i32_e64 s0, v21, v0
	s_delay_alu instid0(VALU_DEP_1) | instskip(SKIP_1) | instid1(VALU_DEP_1)
	v_cndmask_b32_e64 v76, 0, v76, s0
	v_cmp_lt_i32_e64 s0, v43, v0
	v_cndmask_b32_e64 v77, 0, v77, s0
	v_cmp_lt_i32_e64 s0, v45, v0
	s_delay_alu instid0(VALU_DEP_1) | instskip(SKIP_1) | instid1(VALU_DEP_1)
	v_cndmask_b32_e64 v74, 0, v74, s0
	v_cmp_lt_i32_e64 s0, v44, v0
	v_cndmask_b32_e64 v75, 0, v75, s0
.LBB226_1474:                           ;   in Loop: Header=BB226_998 Depth=1
	s_wait_xcnt 0x0
	s_or_b32 exec_lo, exec_lo, s3
	flat_load_b32 v22, v[68:69] offset:1792
	v_mov_b64_e32 v[0:1], 0
	v_mov_b64_e32 v[10:11], 0
	s_mov_b32 s3, exec_lo
	s_wait_loadcnt_dscnt 0x0
	v_and_b32_e32 v23, 0xff, v22
	s_wait_xcnt 0x0
	s_delay_alu instid0(VALU_DEP_1)
	v_cmpx_ne_u16_e32 0, v23
	s_cbranch_execz .LBB226_1482
; %bb.1475:                             ;   in Loop: Header=BB226_998 Depth=1
	v_mov_b64_e32 v[10:11], 0x80000000
	s_mov_b32 s8, exec_lo
	v_cmpx_ne_u16_e32 0x80, v23
	s_cbranch_execz .LBB226_1481
; %bb.1476:                             ;   in Loop: Header=BB226_998 Depth=1
	v_mov_b64_e32 v[10:11], 0x7f800001
	v_and_b32_e32 v23, 0x7f, v22
	s_mov_b32 s9, exec_lo
	s_delay_alu instid0(VALU_DEP_1)
	v_cmpx_ne_u32_e32 0x7f, v23
	s_cbranch_execz .LBB226_1480
; %bb.1477:                             ;   in Loop: Header=BB226_998 Depth=1
	v_dual_lshrrev_b32 v10, 3, v23 :: v_dual_bitop2_b32 v40, 7, v22 bitop3:0x40
	s_mov_b32 s16, exec_lo
	v_cmpx_gt_u32_e32 8, v23
; %bb.1478:                             ;   in Loop: Header=BB226_998 Depth=1
	s_delay_alu instid0(VALU_DEP_2) | instskip(NEXT) | instid1(VALU_DEP_1)
	v_clz_i32_u32_e32 v10, v40
	v_min_u32_e32 v10, 32, v10
	s_delay_alu instid0(VALU_DEP_1) | instskip(NEXT) | instid1(VALU_DEP_1)
	v_subrev_nc_u32_e32 v11, 28, v10
	v_lshlrev_b64_e32 v[52:53], v11, v[40:41]
	s_delay_alu instid0(VALU_DEP_1)
	v_dual_sub_nc_u32 v10, 29, v10 :: v_dual_bitop2_b32 v40, 7, v52 bitop3:0x40
; %bb.1479:                             ;   in Loop: Header=BB226_998 Depth=1
	s_or_b32 exec_lo, exec_lo, s16
	s_delay_alu instid0(VALU_DEP_1) | instskip(NEXT) | instid1(VALU_DEP_2)
	v_dual_lshlrev_b32 v11, 24, v22 :: v_dual_lshlrev_b32 v20, 20, v40
	v_lshl_add_u32 v10, v10, 23, 0x3c000000
	s_delay_alu instid0(VALU_DEP_2) | instskip(NEXT) | instid1(VALU_DEP_1)
	v_and_b32_e32 v11, 0x80000000, v11
	v_or3_b32 v40, v20, v11, v10
	s_delay_alu instid0(VALU_DEP_1)
	v_mov_b64_e32 v[10:11], v[40:41]
.LBB226_1480:                           ;   in Loop: Header=BB226_998 Depth=1
	s_or_b32 exec_lo, exec_lo, s9
.LBB226_1481:                           ;   in Loop: Header=BB226_998 Depth=1
	s_delay_alu instid0(SALU_CYCLE_1)
	s_or_b32 exec_lo, exec_lo, s8
.LBB226_1482:                           ;   in Loop: Header=BB226_998 Depth=1
	s_delay_alu instid0(SALU_CYCLE_1) | instskip(SKIP_2) | instid1(VALU_DEP_1)
	s_or_b32 exec_lo, exec_lo, s3
	v_lshrrev_b16 v23, 8, v22
	s_mov_b32 s3, exec_lo
	v_cmpx_ne_u16_e32 0, v23
	s_cbranch_execz .LBB226_1490
; %bb.1483:                             ;   in Loop: Header=BB226_998 Depth=1
	v_mov_b64_e32 v[0:1], 0x8000000000000000
	s_mov_b32 s8, exec_lo
	v_cmpx_ne_u16_e32 0x80, v23
	s_cbranch_execz .LBB226_1489
; %bb.1484:                             ;   in Loop: Header=BB226_998 Depth=1
	v_and_b32_e32 v52, 0xffff, v23
	v_mov_b64_e32 v[0:1], 0x7f80000100000000
	s_mov_b32 s9, exec_lo
	s_delay_alu instid0(VALU_DEP_2) | instskip(NEXT) | instid1(VALU_DEP_1)
	v_and_b32_e32 v23, 0x7f, v52
	v_cmpx_ne_u32_e32 0x7f, v23
	s_cbranch_execz .LBB226_1488
; %bb.1485:                             ;   in Loop: Header=BB226_998 Depth=1
	v_dual_lshrrev_b32 v0, 3, v23 :: v_dual_bitop2_b32 v40, 7, v52 bitop3:0x40
	s_mov_b32 s16, exec_lo
	v_cmpx_gt_u32_e32 8, v23
; %bb.1486:                             ;   in Loop: Header=BB226_998 Depth=1
	s_delay_alu instid0(VALU_DEP_2) | instskip(NEXT) | instid1(VALU_DEP_1)
	v_clz_i32_u32_e32 v0, v40
	v_min_u32_e32 v0, 32, v0
	s_delay_alu instid0(VALU_DEP_1) | instskip(SKIP_1) | instid1(VALU_DEP_2)
	v_subrev_nc_u32_e32 v1, 28, v0
	v_sub_nc_u32_e32 v0, 29, v0
	v_lshlrev_b64_e32 v[52:53], v1, v[40:41]
	s_delay_alu instid0(VALU_DEP_1)
	v_and_b32_e32 v40, 7, v52
; %bb.1487:                             ;   in Loop: Header=BB226_998 Depth=1
	s_or_b32 exec_lo, exec_lo, s16
	s_delay_alu instid0(VALU_DEP_1) | instskip(SKIP_1) | instid1(VALU_DEP_2)
	v_dual_lshlrev_b32 v1, 16, v22 :: v_dual_lshlrev_b32 v20, 20, v40
	v_lshl_add_u32 v0, v0, 23, 0x3c000000
	v_and_b32_e32 v1, 0x80000000, v1
	s_delay_alu instid0(VALU_DEP_1)
	v_or3_b32 v1, v20, v1, v0
	v_mov_b32_e32 v0, v41
.LBB226_1488:                           ;   in Loop: Header=BB226_998 Depth=1
	s_or_b32 exec_lo, exec_lo, s9
.LBB226_1489:                           ;   in Loop: Header=BB226_998 Depth=1
	s_delay_alu instid0(SALU_CYCLE_1)
	s_or_b32 exec_lo, exec_lo, s8
.LBB226_1490:                           ;   in Loop: Header=BB226_998 Depth=1
	s_delay_alu instid0(SALU_CYCLE_1) | instskip(SKIP_4) | instid1(VALU_DEP_3)
	s_or_b32 exec_lo, exec_lo, s3
	v_lshrrev_b32_e32 v23, 16, v22
	v_mov_b64_e32 v[52:53], 0
	v_mov_b64_e32 v[54:55], 0
	s_mov_b32 s3, exec_lo
	v_and_b32_e32 v64, 0xff, v23
	s_delay_alu instid0(VALU_DEP_1)
	v_cmpx_ne_u16_e32 0, v64
	s_cbranch_execz .LBB226_1498
; %bb.1491:                             ;   in Loop: Header=BB226_998 Depth=1
	v_mov_b64_e32 v[54:55], 0x80000000
	s_mov_b32 s8, exec_lo
	v_cmpx_ne_u16_e32 0x80, v64
	s_cbranch_execz .LBB226_1497
; %bb.1492:                             ;   in Loop: Header=BB226_998 Depth=1
	v_mov_b64_e32 v[54:55], 0x7f800001
	v_bfe_u32 v64, v22, 16, 7
	s_mov_b32 s9, exec_lo
	s_delay_alu instid0(VALU_DEP_1)
	v_cmpx_ne_u32_e32 0x7f, v64
	s_cbranch_execz .LBB226_1496
; %bb.1493:                             ;   in Loop: Header=BB226_998 Depth=1
	v_dual_lshrrev_b32 v54, 3, v64 :: v_dual_bitop2_b32 v40, 7, v23 bitop3:0x40
	s_mov_b32 s16, exec_lo
	v_cmpx_gt_u32_e32 8, v64
; %bb.1494:                             ;   in Loop: Header=BB226_998 Depth=1
	s_delay_alu instid0(VALU_DEP_2) | instskip(NEXT) | instid1(VALU_DEP_1)
	v_clz_i32_u32_e32 v20, v40
	v_min_u32_e32 v20, 32, v20
	s_delay_alu instid0(VALU_DEP_1) | instskip(NEXT) | instid1(VALU_DEP_1)
	v_subrev_nc_u32_e32 v54, 28, v20
	v_lshlrev_b64_e32 v[64:65], v54, v[40:41]
	v_sub_nc_u32_e32 v54, 29, v20
	s_delay_alu instid0(VALU_DEP_2)
	v_and_b32_e32 v40, 7, v64
; %bb.1495:                             ;   in Loop: Header=BB226_998 Depth=1
	s_or_b32 exec_lo, exec_lo, s16
	s_delay_alu instid0(VALU_DEP_1) | instskip(NEXT) | instid1(VALU_DEP_3)
	v_dual_lshlrev_b32 v20, 24, v23 :: v_dual_lshlrev_b32 v23, 20, v40
	v_lshl_add_u32 v54, v54, 23, 0x3c000000
	s_delay_alu instid0(VALU_DEP_2) | instskip(NEXT) | instid1(VALU_DEP_1)
	v_and_b32_e32 v20, 0x80000000, v20
	v_or3_b32 v40, v23, v20, v54
	s_delay_alu instid0(VALU_DEP_1)
	v_mov_b64_e32 v[54:55], v[40:41]
.LBB226_1496:                           ;   in Loop: Header=BB226_998 Depth=1
	s_or_b32 exec_lo, exec_lo, s9
.LBB226_1497:                           ;   in Loop: Header=BB226_998 Depth=1
	s_delay_alu instid0(SALU_CYCLE_1)
	s_or_b32 exec_lo, exec_lo, s8
.LBB226_1498:                           ;   in Loop: Header=BB226_998 Depth=1
	s_delay_alu instid0(SALU_CYCLE_1) | instskip(NEXT) | instid1(SALU_CYCLE_1)
	s_or_b32 exec_lo, exec_lo, s3
	s_mov_b32 s3, exec_lo
	v_cmpx_lt_u32_e32 0xffffff, v22
	s_cbranch_execz .LBB226_1506
; %bb.1499:                             ;   in Loop: Header=BB226_998 Depth=1
	v_mov_b64_e32 v[52:53], 0x8000000000000000
	v_lshrrev_b32_e32 v23, 24, v22
	s_mov_b32 s8, exec_lo
	s_delay_alu instid0(VALU_DEP_1)
	v_cmpx_ne_u32_e32 0x80, v23
	s_cbranch_execz .LBB226_1505
; %bb.1500:                             ;   in Loop: Header=BB226_998 Depth=1
	v_mov_b64_e32 v[52:53], 0x7f80000100000000
	v_bfe_u32 v64, v22, 24, 7
	s_mov_b32 s9, exec_lo
	s_delay_alu instid0(VALU_DEP_1)
	v_cmpx_ne_u32_e32 0x7f, v64
	s_cbranch_execz .LBB226_1504
; %bb.1501:                             ;   in Loop: Header=BB226_998 Depth=1
	v_dual_lshrrev_b32 v22, 3, v64 :: v_dual_bitop2_b32 v40, 7, v23 bitop3:0x40
	s_mov_b32 s16, exec_lo
	v_cmpx_gt_u32_e32 8, v64
; %bb.1502:                             ;   in Loop: Header=BB226_998 Depth=1
	s_delay_alu instid0(VALU_DEP_2) | instskip(NEXT) | instid1(VALU_DEP_1)
	v_clz_i32_u32_e32 v20, v40
	v_min_u32_e32 v20, 32, v20
	s_delay_alu instid0(VALU_DEP_1) | instskip(NEXT) | instid1(VALU_DEP_1)
	v_subrev_nc_u32_e32 v22, 28, v20
	v_lshlrev_b64_e32 v[52:53], v22, v[40:41]
	v_sub_nc_u32_e32 v22, 29, v20
	s_delay_alu instid0(VALU_DEP_2)
	v_and_b32_e32 v40, 7, v52
; %bb.1503:                             ;   in Loop: Header=BB226_998 Depth=1
	s_or_b32 exec_lo, exec_lo, s16
	s_delay_alu instid0(VALU_DEP_1) | instskip(NEXT) | instid1(VALU_DEP_3)
	v_dual_lshlrev_b32 v20, 24, v23 :: v_dual_lshlrev_b32 v23, 20, v40
	v_lshl_add_u32 v22, v22, 23, 0x3c000000
	v_mov_b32_e32 v52, v41
	s_delay_alu instid0(VALU_DEP_3) | instskip(NEXT) | instid1(VALU_DEP_1)
	v_and_b32_e32 v20, 0x80000000, v20
	v_or3_b32 v53, v23, v20, v22
.LBB226_1504:                           ;   in Loop: Header=BB226_998 Depth=1
	s_or_b32 exec_lo, exec_lo, s9
.LBB226_1505:                           ;   in Loop: Header=BB226_998 Depth=1
	s_delay_alu instid0(SALU_CYCLE_1)
	s_or_b32 exec_lo, exec_lo, s8
.LBB226_1506:                           ;   in Loop: Header=BB226_998 Depth=1
	s_delay_alu instid0(SALU_CYCLE_1) | instskip(SKIP_4) | instid1(VALU_DEP_3)
	s_or_b32 exec_lo, exec_lo, s3
	v_or_b32_e32 v1, v1, v11
	v_or_b32_e32 v0, v0, v10
	;; [unrolled: 1-line block ×4, first 2 shown]
	v_pk_mul_f32 v[88:89], v[50:51], v[0:1]
	s_delay_alu instid0(VALU_DEP_2)
	v_pk_mul_f32 v[78:79], v[50:51], v[10:11]
	s_and_saveexec_b32 s3, vcc_lo
	s_cbranch_execz .LBB226_1508
; %bb.1507:                             ;   in Loop: Header=BB226_998 Depth=1
	scratch_load_b64 v[0:1], off, s32 offset:200 ; 8-byte Folded Reload
	s_wait_loadcnt 0x0
	v_cmp_lt_i32_e64 s0, v21, v0
	s_delay_alu instid0(VALU_DEP_1) | instskip(SKIP_1) | instid1(VALU_DEP_1)
	v_cndmask_b32_e64 v88, 0, v88, s0
	v_cmp_lt_i32_e64 s0, v43, v0
	v_cndmask_b32_e64 v89, 0, v89, s0
	v_cmp_lt_i32_e64 s0, v45, v0
	s_delay_alu instid0(VALU_DEP_1) | instskip(SKIP_1) | instid1(VALU_DEP_1)
	v_cndmask_b32_e64 v78, 0, v78, s0
	v_cmp_lt_i32_e64 s0, v44, v0
	v_cndmask_b32_e64 v79, 0, v79, s0
.LBB226_1508:                           ;   in Loop: Header=BB226_998 Depth=1
	s_wait_xcnt 0x0
	s_or_b32 exec_lo, exec_lo, s3
	flat_load_b32 v22, v[68:69] offset:1920
	v_mov_b64_e32 v[0:1], 0
	v_mov_b64_e32 v[10:11], 0
	s_mov_b32 s3, exec_lo
	s_wait_loadcnt_dscnt 0x0
	v_and_b32_e32 v23, 0xff, v22
	s_wait_xcnt 0x0
	s_delay_alu instid0(VALU_DEP_1)
	v_cmpx_ne_u16_e32 0, v23
	s_cbranch_execz .LBB226_1516
; %bb.1509:                             ;   in Loop: Header=BB226_998 Depth=1
	v_mov_b64_e32 v[10:11], 0x80000000
	s_mov_b32 s8, exec_lo
	v_cmpx_ne_u16_e32 0x80, v23
	s_cbranch_execz .LBB226_1515
; %bb.1510:                             ;   in Loop: Header=BB226_998 Depth=1
	v_mov_b64_e32 v[10:11], 0x7f800001
	v_and_b32_e32 v23, 0x7f, v22
	s_mov_b32 s9, exec_lo
	s_delay_alu instid0(VALU_DEP_1)
	v_cmpx_ne_u32_e32 0x7f, v23
	s_cbranch_execz .LBB226_1514
; %bb.1511:                             ;   in Loop: Header=BB226_998 Depth=1
	v_dual_lshrrev_b32 v10, 3, v23 :: v_dual_bitop2_b32 v40, 7, v22 bitop3:0x40
	s_mov_b32 s16, exec_lo
	v_cmpx_gt_u32_e32 8, v23
; %bb.1512:                             ;   in Loop: Header=BB226_998 Depth=1
	s_delay_alu instid0(VALU_DEP_2) | instskip(NEXT) | instid1(VALU_DEP_1)
	v_clz_i32_u32_e32 v10, v40
	v_min_u32_e32 v10, 32, v10
	s_delay_alu instid0(VALU_DEP_1) | instskip(NEXT) | instid1(VALU_DEP_1)
	v_subrev_nc_u32_e32 v11, 28, v10
	v_lshlrev_b64_e32 v[52:53], v11, v[40:41]
	s_delay_alu instid0(VALU_DEP_1)
	v_dual_sub_nc_u32 v10, 29, v10 :: v_dual_bitop2_b32 v40, 7, v52 bitop3:0x40
; %bb.1513:                             ;   in Loop: Header=BB226_998 Depth=1
	s_or_b32 exec_lo, exec_lo, s16
	s_delay_alu instid0(VALU_DEP_1) | instskip(NEXT) | instid1(VALU_DEP_2)
	v_dual_lshlrev_b32 v11, 24, v22 :: v_dual_lshlrev_b32 v20, 20, v40
	v_lshl_add_u32 v10, v10, 23, 0x3c000000
	s_delay_alu instid0(VALU_DEP_2) | instskip(NEXT) | instid1(VALU_DEP_1)
	v_and_b32_e32 v11, 0x80000000, v11
	v_or3_b32 v40, v20, v11, v10
	s_delay_alu instid0(VALU_DEP_1)
	v_mov_b64_e32 v[10:11], v[40:41]
.LBB226_1514:                           ;   in Loop: Header=BB226_998 Depth=1
	s_or_b32 exec_lo, exec_lo, s9
.LBB226_1515:                           ;   in Loop: Header=BB226_998 Depth=1
	s_delay_alu instid0(SALU_CYCLE_1)
	s_or_b32 exec_lo, exec_lo, s8
.LBB226_1516:                           ;   in Loop: Header=BB226_998 Depth=1
	s_delay_alu instid0(SALU_CYCLE_1) | instskip(SKIP_2) | instid1(VALU_DEP_1)
	s_or_b32 exec_lo, exec_lo, s3
	v_lshrrev_b16 v23, 8, v22
	s_mov_b32 s3, exec_lo
	v_cmpx_ne_u16_e32 0, v23
	s_cbranch_execz .LBB226_1524
; %bb.1517:                             ;   in Loop: Header=BB226_998 Depth=1
	v_mov_b64_e32 v[0:1], 0x8000000000000000
	s_mov_b32 s8, exec_lo
	v_cmpx_ne_u16_e32 0x80, v23
	s_cbranch_execz .LBB226_1523
; %bb.1518:                             ;   in Loop: Header=BB226_998 Depth=1
	v_and_b32_e32 v52, 0xffff, v23
	v_mov_b64_e32 v[0:1], 0x7f80000100000000
	s_mov_b32 s9, exec_lo
	s_delay_alu instid0(VALU_DEP_2) | instskip(NEXT) | instid1(VALU_DEP_1)
	v_and_b32_e32 v23, 0x7f, v52
	v_cmpx_ne_u32_e32 0x7f, v23
	s_cbranch_execz .LBB226_1522
; %bb.1519:                             ;   in Loop: Header=BB226_998 Depth=1
	v_dual_lshrrev_b32 v0, 3, v23 :: v_dual_bitop2_b32 v40, 7, v52 bitop3:0x40
	s_mov_b32 s16, exec_lo
	v_cmpx_gt_u32_e32 8, v23
; %bb.1520:                             ;   in Loop: Header=BB226_998 Depth=1
	s_delay_alu instid0(VALU_DEP_2) | instskip(NEXT) | instid1(VALU_DEP_1)
	v_clz_i32_u32_e32 v0, v40
	v_min_u32_e32 v0, 32, v0
	s_delay_alu instid0(VALU_DEP_1) | instskip(SKIP_1) | instid1(VALU_DEP_2)
	v_subrev_nc_u32_e32 v1, 28, v0
	v_sub_nc_u32_e32 v0, 29, v0
	v_lshlrev_b64_e32 v[52:53], v1, v[40:41]
	s_delay_alu instid0(VALU_DEP_1)
	v_and_b32_e32 v40, 7, v52
; %bb.1521:                             ;   in Loop: Header=BB226_998 Depth=1
	s_or_b32 exec_lo, exec_lo, s16
	s_delay_alu instid0(VALU_DEP_1) | instskip(SKIP_1) | instid1(VALU_DEP_2)
	v_dual_lshlrev_b32 v1, 16, v22 :: v_dual_lshlrev_b32 v20, 20, v40
	v_lshl_add_u32 v0, v0, 23, 0x3c000000
	v_and_b32_e32 v1, 0x80000000, v1
	s_delay_alu instid0(VALU_DEP_1)
	v_or3_b32 v1, v20, v1, v0
	v_mov_b32_e32 v0, v41
.LBB226_1522:                           ;   in Loop: Header=BB226_998 Depth=1
	s_or_b32 exec_lo, exec_lo, s9
.LBB226_1523:                           ;   in Loop: Header=BB226_998 Depth=1
	s_delay_alu instid0(SALU_CYCLE_1)
	s_or_b32 exec_lo, exec_lo, s8
.LBB226_1524:                           ;   in Loop: Header=BB226_998 Depth=1
	s_delay_alu instid0(SALU_CYCLE_1) | instskip(SKIP_4) | instid1(VALU_DEP_3)
	s_or_b32 exec_lo, exec_lo, s3
	v_lshrrev_b32_e32 v23, 16, v22
	v_mov_b64_e32 v[52:53], 0
	v_mov_b64_e32 v[54:55], 0
	s_mov_b32 s3, exec_lo
	v_and_b32_e32 v64, 0xff, v23
	s_delay_alu instid0(VALU_DEP_1)
	v_cmpx_ne_u16_e32 0, v64
	s_cbranch_execz .LBB226_1532
; %bb.1525:                             ;   in Loop: Header=BB226_998 Depth=1
	v_mov_b64_e32 v[54:55], 0x80000000
	s_mov_b32 s8, exec_lo
	v_cmpx_ne_u16_e32 0x80, v64
	s_cbranch_execz .LBB226_1531
; %bb.1526:                             ;   in Loop: Header=BB226_998 Depth=1
	v_mov_b64_e32 v[54:55], 0x7f800001
	v_bfe_u32 v64, v22, 16, 7
	s_mov_b32 s9, exec_lo
	s_delay_alu instid0(VALU_DEP_1)
	v_cmpx_ne_u32_e32 0x7f, v64
	s_cbranch_execz .LBB226_1530
; %bb.1527:                             ;   in Loop: Header=BB226_998 Depth=1
	v_dual_lshrrev_b32 v54, 3, v64 :: v_dual_bitop2_b32 v40, 7, v23 bitop3:0x40
	s_mov_b32 s16, exec_lo
	v_cmpx_gt_u32_e32 8, v64
; %bb.1528:                             ;   in Loop: Header=BB226_998 Depth=1
	s_delay_alu instid0(VALU_DEP_2) | instskip(NEXT) | instid1(VALU_DEP_1)
	v_clz_i32_u32_e32 v20, v40
	v_min_u32_e32 v20, 32, v20
	s_delay_alu instid0(VALU_DEP_1) | instskip(NEXT) | instid1(VALU_DEP_1)
	v_subrev_nc_u32_e32 v54, 28, v20
	v_lshlrev_b64_e32 v[64:65], v54, v[40:41]
	v_sub_nc_u32_e32 v54, 29, v20
	s_delay_alu instid0(VALU_DEP_2)
	v_and_b32_e32 v40, 7, v64
; %bb.1529:                             ;   in Loop: Header=BB226_998 Depth=1
	s_or_b32 exec_lo, exec_lo, s16
	s_delay_alu instid0(VALU_DEP_1) | instskip(NEXT) | instid1(VALU_DEP_3)
	v_dual_lshlrev_b32 v20, 24, v23 :: v_dual_lshlrev_b32 v23, 20, v40
	v_lshl_add_u32 v54, v54, 23, 0x3c000000
	s_delay_alu instid0(VALU_DEP_2) | instskip(NEXT) | instid1(VALU_DEP_1)
	v_and_b32_e32 v20, 0x80000000, v20
	v_or3_b32 v40, v23, v20, v54
	s_delay_alu instid0(VALU_DEP_1)
	v_mov_b64_e32 v[54:55], v[40:41]
.LBB226_1530:                           ;   in Loop: Header=BB226_998 Depth=1
	s_or_b32 exec_lo, exec_lo, s9
.LBB226_1531:                           ;   in Loop: Header=BB226_998 Depth=1
	s_delay_alu instid0(SALU_CYCLE_1)
	s_or_b32 exec_lo, exec_lo, s8
.LBB226_1532:                           ;   in Loop: Header=BB226_998 Depth=1
	s_delay_alu instid0(SALU_CYCLE_1) | instskip(NEXT) | instid1(SALU_CYCLE_1)
	s_or_b32 exec_lo, exec_lo, s3
	s_mov_b32 s3, exec_lo
	v_cmpx_lt_u32_e32 0xffffff, v22
	s_cbranch_execz .LBB226_1540
; %bb.1533:                             ;   in Loop: Header=BB226_998 Depth=1
	v_mov_b64_e32 v[52:53], 0x8000000000000000
	v_lshrrev_b32_e32 v23, 24, v22
	s_mov_b32 s8, exec_lo
	s_delay_alu instid0(VALU_DEP_1)
	v_cmpx_ne_u32_e32 0x80, v23
	s_cbranch_execz .LBB226_1539
; %bb.1534:                             ;   in Loop: Header=BB226_998 Depth=1
	v_mov_b64_e32 v[52:53], 0x7f80000100000000
	v_bfe_u32 v64, v22, 24, 7
	s_mov_b32 s9, exec_lo
	s_delay_alu instid0(VALU_DEP_1)
	v_cmpx_ne_u32_e32 0x7f, v64
	s_cbranch_execz .LBB226_1538
; %bb.1535:                             ;   in Loop: Header=BB226_998 Depth=1
	v_dual_lshrrev_b32 v22, 3, v64 :: v_dual_bitop2_b32 v40, 7, v23 bitop3:0x40
	s_mov_b32 s16, exec_lo
	v_cmpx_gt_u32_e32 8, v64
; %bb.1536:                             ;   in Loop: Header=BB226_998 Depth=1
	s_delay_alu instid0(VALU_DEP_2) | instskip(NEXT) | instid1(VALU_DEP_1)
	v_clz_i32_u32_e32 v20, v40
	v_min_u32_e32 v20, 32, v20
	s_delay_alu instid0(VALU_DEP_1) | instskip(NEXT) | instid1(VALU_DEP_1)
	v_subrev_nc_u32_e32 v22, 28, v20
	v_lshlrev_b64_e32 v[52:53], v22, v[40:41]
	v_sub_nc_u32_e32 v22, 29, v20
	s_delay_alu instid0(VALU_DEP_2)
	v_and_b32_e32 v40, 7, v52
; %bb.1537:                             ;   in Loop: Header=BB226_998 Depth=1
	s_or_b32 exec_lo, exec_lo, s16
	s_delay_alu instid0(VALU_DEP_1) | instskip(NEXT) | instid1(VALU_DEP_3)
	v_dual_lshlrev_b32 v20, 24, v23 :: v_dual_lshlrev_b32 v23, 20, v40
	v_lshl_add_u32 v22, v22, 23, 0x3c000000
	v_mov_b32_e32 v52, v41
	s_delay_alu instid0(VALU_DEP_3) | instskip(NEXT) | instid1(VALU_DEP_1)
	v_and_b32_e32 v20, 0x80000000, v20
	v_or3_b32 v53, v23, v20, v22
.LBB226_1538:                           ;   in Loop: Header=BB226_998 Depth=1
	s_or_b32 exec_lo, exec_lo, s9
.LBB226_1539:                           ;   in Loop: Header=BB226_998 Depth=1
	s_delay_alu instid0(SALU_CYCLE_1)
	s_or_b32 exec_lo, exec_lo, s8
.LBB226_1540:                           ;   in Loop: Header=BB226_998 Depth=1
	s_delay_alu instid0(SALU_CYCLE_1) | instskip(SKIP_4) | instid1(VALU_DEP_3)
	s_or_b32 exec_lo, exec_lo, s3
	v_or_b32_e32 v1, v1, v11
	v_or_b32_e32 v0, v0, v10
	;; [unrolled: 1-line block ×4, first 2 shown]
	v_pk_mul_f32 v[92:93], v[50:51], v[0:1]
	s_delay_alu instid0(VALU_DEP_2)
	v_pk_mul_f32 v[90:91], v[50:51], v[10:11]
	s_and_saveexec_b32 s3, vcc_lo
	s_cbranch_execz .LBB226_1542
; %bb.1541:                             ;   in Loop: Header=BB226_998 Depth=1
	scratch_load_b64 v[0:1], off, s32 offset:200 ; 8-byte Folded Reload
	s_wait_loadcnt 0x0
	v_cmp_lt_i32_e64 s0, v21, v0
	s_delay_alu instid0(VALU_DEP_1) | instskip(SKIP_1) | instid1(VALU_DEP_1)
	v_cndmask_b32_e64 v92, 0, v92, s0
	v_cmp_lt_i32_e64 s0, v43, v0
	v_cndmask_b32_e64 v93, 0, v93, s0
	v_cmp_lt_i32_e64 s0, v45, v0
	s_delay_alu instid0(VALU_DEP_1) | instskip(SKIP_1) | instid1(VALU_DEP_1)
	v_cndmask_b32_e64 v90, 0, v90, s0
	v_cmp_lt_i32_e64 s0, v44, v0
	v_cndmask_b32_e64 v91, 0, v91, s0
.LBB226_1542:                           ;   in Loop: Header=BB226_998 Depth=1
	s_wait_xcnt 0x0
	s_or_b32 exec_lo, exec_lo, s3
	flat_load_b32 v22, v[68:69] offset:2048
	v_mov_b64_e32 v[0:1], 0
	v_mov_b64_e32 v[10:11], 0
	s_mov_b32 s3, exec_lo
	s_wait_loadcnt_dscnt 0x0
	v_and_b32_e32 v23, 0xff, v22
	s_wait_xcnt 0x0
	s_delay_alu instid0(VALU_DEP_1)
	v_cmpx_ne_u16_e32 0, v23
	s_cbranch_execz .LBB226_1550
; %bb.1543:                             ;   in Loop: Header=BB226_998 Depth=1
	v_mov_b64_e32 v[10:11], 0x80000000
	s_mov_b32 s8, exec_lo
	v_cmpx_ne_u16_e32 0x80, v23
	s_cbranch_execz .LBB226_1549
; %bb.1544:                             ;   in Loop: Header=BB226_998 Depth=1
	v_mov_b64_e32 v[10:11], 0x7f800001
	v_and_b32_e32 v23, 0x7f, v22
	s_mov_b32 s9, exec_lo
	s_delay_alu instid0(VALU_DEP_1)
	v_cmpx_ne_u32_e32 0x7f, v23
	s_cbranch_execz .LBB226_1548
; %bb.1545:                             ;   in Loop: Header=BB226_998 Depth=1
	v_dual_lshrrev_b32 v10, 3, v23 :: v_dual_bitop2_b32 v40, 7, v22 bitop3:0x40
	s_mov_b32 s16, exec_lo
	v_cmpx_gt_u32_e32 8, v23
; %bb.1546:                             ;   in Loop: Header=BB226_998 Depth=1
	s_delay_alu instid0(VALU_DEP_2) | instskip(NEXT) | instid1(VALU_DEP_1)
	v_clz_i32_u32_e32 v10, v40
	v_min_u32_e32 v10, 32, v10
	s_delay_alu instid0(VALU_DEP_1) | instskip(NEXT) | instid1(VALU_DEP_1)
	v_subrev_nc_u32_e32 v11, 28, v10
	v_lshlrev_b64_e32 v[52:53], v11, v[40:41]
	s_delay_alu instid0(VALU_DEP_1)
	v_dual_sub_nc_u32 v10, 29, v10 :: v_dual_bitop2_b32 v40, 7, v52 bitop3:0x40
; %bb.1547:                             ;   in Loop: Header=BB226_998 Depth=1
	s_or_b32 exec_lo, exec_lo, s16
	s_delay_alu instid0(VALU_DEP_1) | instskip(NEXT) | instid1(VALU_DEP_2)
	v_dual_lshlrev_b32 v11, 24, v22 :: v_dual_lshlrev_b32 v20, 20, v40
	v_lshl_add_u32 v10, v10, 23, 0x3c000000
	s_delay_alu instid0(VALU_DEP_2) | instskip(NEXT) | instid1(VALU_DEP_1)
	v_and_b32_e32 v11, 0x80000000, v11
	v_or3_b32 v40, v20, v11, v10
	s_delay_alu instid0(VALU_DEP_1)
	v_mov_b64_e32 v[10:11], v[40:41]
.LBB226_1548:                           ;   in Loop: Header=BB226_998 Depth=1
	s_or_b32 exec_lo, exec_lo, s9
.LBB226_1549:                           ;   in Loop: Header=BB226_998 Depth=1
	s_delay_alu instid0(SALU_CYCLE_1)
	s_or_b32 exec_lo, exec_lo, s8
.LBB226_1550:                           ;   in Loop: Header=BB226_998 Depth=1
	s_delay_alu instid0(SALU_CYCLE_1) | instskip(SKIP_2) | instid1(VALU_DEP_1)
	s_or_b32 exec_lo, exec_lo, s3
	v_lshrrev_b16 v23, 8, v22
	s_mov_b32 s3, exec_lo
	v_cmpx_ne_u16_e32 0, v23
	s_cbranch_execz .LBB226_1558
; %bb.1551:                             ;   in Loop: Header=BB226_998 Depth=1
	v_mov_b64_e32 v[0:1], 0x8000000000000000
	s_mov_b32 s8, exec_lo
	v_cmpx_ne_u16_e32 0x80, v23
	s_cbranch_execz .LBB226_1557
; %bb.1552:                             ;   in Loop: Header=BB226_998 Depth=1
	v_and_b32_e32 v52, 0xffff, v23
	v_mov_b64_e32 v[0:1], 0x7f80000100000000
	s_mov_b32 s9, exec_lo
	s_delay_alu instid0(VALU_DEP_2) | instskip(NEXT) | instid1(VALU_DEP_1)
	v_and_b32_e32 v23, 0x7f, v52
	v_cmpx_ne_u32_e32 0x7f, v23
	s_cbranch_execz .LBB226_1556
; %bb.1553:                             ;   in Loop: Header=BB226_998 Depth=1
	v_dual_lshrrev_b32 v0, 3, v23 :: v_dual_bitop2_b32 v40, 7, v52 bitop3:0x40
	s_mov_b32 s16, exec_lo
	v_cmpx_gt_u32_e32 8, v23
; %bb.1554:                             ;   in Loop: Header=BB226_998 Depth=1
	s_delay_alu instid0(VALU_DEP_2) | instskip(NEXT) | instid1(VALU_DEP_1)
	v_clz_i32_u32_e32 v0, v40
	v_min_u32_e32 v0, 32, v0
	s_delay_alu instid0(VALU_DEP_1) | instskip(SKIP_1) | instid1(VALU_DEP_2)
	v_subrev_nc_u32_e32 v1, 28, v0
	v_sub_nc_u32_e32 v0, 29, v0
	v_lshlrev_b64_e32 v[52:53], v1, v[40:41]
	s_delay_alu instid0(VALU_DEP_1)
	v_and_b32_e32 v40, 7, v52
; %bb.1555:                             ;   in Loop: Header=BB226_998 Depth=1
	s_or_b32 exec_lo, exec_lo, s16
	s_delay_alu instid0(VALU_DEP_1) | instskip(SKIP_1) | instid1(VALU_DEP_2)
	v_dual_lshlrev_b32 v1, 16, v22 :: v_dual_lshlrev_b32 v20, 20, v40
	v_lshl_add_u32 v0, v0, 23, 0x3c000000
	v_and_b32_e32 v1, 0x80000000, v1
	s_delay_alu instid0(VALU_DEP_1)
	v_or3_b32 v1, v20, v1, v0
	v_mov_b32_e32 v0, v41
.LBB226_1556:                           ;   in Loop: Header=BB226_998 Depth=1
	s_or_b32 exec_lo, exec_lo, s9
.LBB226_1557:                           ;   in Loop: Header=BB226_998 Depth=1
	s_delay_alu instid0(SALU_CYCLE_1)
	s_or_b32 exec_lo, exec_lo, s8
.LBB226_1558:                           ;   in Loop: Header=BB226_998 Depth=1
	s_delay_alu instid0(SALU_CYCLE_1) | instskip(SKIP_4) | instid1(VALU_DEP_3)
	s_or_b32 exec_lo, exec_lo, s3
	v_lshrrev_b32_e32 v23, 16, v22
	v_mov_b64_e32 v[52:53], 0
	v_mov_b64_e32 v[54:55], 0
	s_mov_b32 s3, exec_lo
	v_and_b32_e32 v64, 0xff, v23
	s_delay_alu instid0(VALU_DEP_1)
	v_cmpx_ne_u16_e32 0, v64
	s_cbranch_execz .LBB226_1566
; %bb.1559:                             ;   in Loop: Header=BB226_998 Depth=1
	v_mov_b64_e32 v[54:55], 0x80000000
	s_mov_b32 s8, exec_lo
	v_cmpx_ne_u16_e32 0x80, v64
	s_cbranch_execz .LBB226_1565
; %bb.1560:                             ;   in Loop: Header=BB226_998 Depth=1
	v_mov_b64_e32 v[54:55], 0x7f800001
	v_bfe_u32 v64, v22, 16, 7
	s_mov_b32 s9, exec_lo
	s_delay_alu instid0(VALU_DEP_1)
	v_cmpx_ne_u32_e32 0x7f, v64
	s_cbranch_execz .LBB226_1564
; %bb.1561:                             ;   in Loop: Header=BB226_998 Depth=1
	v_dual_lshrrev_b32 v54, 3, v64 :: v_dual_bitop2_b32 v40, 7, v23 bitop3:0x40
	s_mov_b32 s16, exec_lo
	v_cmpx_gt_u32_e32 8, v64
; %bb.1562:                             ;   in Loop: Header=BB226_998 Depth=1
	s_delay_alu instid0(VALU_DEP_2) | instskip(NEXT) | instid1(VALU_DEP_1)
	v_clz_i32_u32_e32 v20, v40
	v_min_u32_e32 v20, 32, v20
	s_delay_alu instid0(VALU_DEP_1) | instskip(NEXT) | instid1(VALU_DEP_1)
	v_subrev_nc_u32_e32 v54, 28, v20
	v_lshlrev_b64_e32 v[64:65], v54, v[40:41]
	v_sub_nc_u32_e32 v54, 29, v20
	s_delay_alu instid0(VALU_DEP_2)
	v_and_b32_e32 v40, 7, v64
; %bb.1563:                             ;   in Loop: Header=BB226_998 Depth=1
	s_or_b32 exec_lo, exec_lo, s16
	s_delay_alu instid0(VALU_DEP_1) | instskip(NEXT) | instid1(VALU_DEP_3)
	v_dual_lshlrev_b32 v20, 24, v23 :: v_dual_lshlrev_b32 v23, 20, v40
	v_lshl_add_u32 v54, v54, 23, 0x3c000000
	s_delay_alu instid0(VALU_DEP_2) | instskip(NEXT) | instid1(VALU_DEP_1)
	v_and_b32_e32 v20, 0x80000000, v20
	v_or3_b32 v40, v23, v20, v54
	s_delay_alu instid0(VALU_DEP_1)
	v_mov_b64_e32 v[54:55], v[40:41]
.LBB226_1564:                           ;   in Loop: Header=BB226_998 Depth=1
	s_or_b32 exec_lo, exec_lo, s9
.LBB226_1565:                           ;   in Loop: Header=BB226_998 Depth=1
	s_delay_alu instid0(SALU_CYCLE_1)
	s_or_b32 exec_lo, exec_lo, s8
.LBB226_1566:                           ;   in Loop: Header=BB226_998 Depth=1
	s_delay_alu instid0(SALU_CYCLE_1) | instskip(NEXT) | instid1(SALU_CYCLE_1)
	s_or_b32 exec_lo, exec_lo, s3
	s_mov_b32 s3, exec_lo
	v_cmpx_lt_u32_e32 0xffffff, v22
	s_cbranch_execz .LBB226_1574
; %bb.1567:                             ;   in Loop: Header=BB226_998 Depth=1
	v_mov_b64_e32 v[52:53], 0x8000000000000000
	v_lshrrev_b32_e32 v23, 24, v22
	s_mov_b32 s8, exec_lo
	s_delay_alu instid0(VALU_DEP_1)
	v_cmpx_ne_u32_e32 0x80, v23
	s_cbranch_execz .LBB226_1573
; %bb.1568:                             ;   in Loop: Header=BB226_998 Depth=1
	v_mov_b64_e32 v[52:53], 0x7f80000100000000
	v_bfe_u32 v64, v22, 24, 7
	s_mov_b32 s9, exec_lo
	s_delay_alu instid0(VALU_DEP_1)
	v_cmpx_ne_u32_e32 0x7f, v64
	s_cbranch_execz .LBB226_1572
; %bb.1569:                             ;   in Loop: Header=BB226_998 Depth=1
	v_dual_lshrrev_b32 v22, 3, v64 :: v_dual_bitop2_b32 v40, 7, v23 bitop3:0x40
	s_mov_b32 s16, exec_lo
	v_cmpx_gt_u32_e32 8, v64
; %bb.1570:                             ;   in Loop: Header=BB226_998 Depth=1
	s_delay_alu instid0(VALU_DEP_2) | instskip(NEXT) | instid1(VALU_DEP_1)
	v_clz_i32_u32_e32 v20, v40
	v_min_u32_e32 v20, 32, v20
	s_delay_alu instid0(VALU_DEP_1) | instskip(NEXT) | instid1(VALU_DEP_1)
	v_subrev_nc_u32_e32 v22, 28, v20
	v_lshlrev_b64_e32 v[52:53], v22, v[40:41]
	v_sub_nc_u32_e32 v22, 29, v20
	s_delay_alu instid0(VALU_DEP_2)
	v_and_b32_e32 v40, 7, v52
; %bb.1571:                             ;   in Loop: Header=BB226_998 Depth=1
	s_or_b32 exec_lo, exec_lo, s16
	s_delay_alu instid0(VALU_DEP_1) | instskip(NEXT) | instid1(VALU_DEP_3)
	v_dual_lshlrev_b32 v20, 24, v23 :: v_dual_lshlrev_b32 v23, 20, v40
	v_lshl_add_u32 v22, v22, 23, 0x3c000000
	v_mov_b32_e32 v52, v41
	s_delay_alu instid0(VALU_DEP_3) | instskip(NEXT) | instid1(VALU_DEP_1)
	v_and_b32_e32 v20, 0x80000000, v20
	v_or3_b32 v53, v23, v20, v22
.LBB226_1572:                           ;   in Loop: Header=BB226_998 Depth=1
	s_or_b32 exec_lo, exec_lo, s9
.LBB226_1573:                           ;   in Loop: Header=BB226_998 Depth=1
	s_delay_alu instid0(SALU_CYCLE_1)
	s_or_b32 exec_lo, exec_lo, s8
.LBB226_1574:                           ;   in Loop: Header=BB226_998 Depth=1
	s_delay_alu instid0(SALU_CYCLE_1) | instskip(SKIP_4) | instid1(VALU_DEP_3)
	s_or_b32 exec_lo, exec_lo, s3
	v_or_b32_e32 v1, v1, v11
	v_or_b32_e32 v0, v0, v10
	;; [unrolled: 1-line block ×4, first 2 shown]
	v_pk_mul_f32 v[104:105], v[50:51], v[0:1]
	s_delay_alu instid0(VALU_DEP_2)
	v_pk_mul_f32 v[94:95], v[50:51], v[10:11]
	s_and_saveexec_b32 s3, vcc_lo
	s_cbranch_execz .LBB226_1576
; %bb.1575:                             ;   in Loop: Header=BB226_998 Depth=1
	scratch_load_b64 v[0:1], off, s32 offset:200 ; 8-byte Folded Reload
	s_wait_loadcnt 0x0
	v_cmp_lt_i32_e64 s0, v21, v0
	s_delay_alu instid0(VALU_DEP_1) | instskip(SKIP_1) | instid1(VALU_DEP_1)
	v_cndmask_b32_e64 v104, 0, v104, s0
	v_cmp_lt_i32_e64 s0, v43, v0
	v_cndmask_b32_e64 v105, 0, v105, s0
	v_cmp_lt_i32_e64 s0, v45, v0
	s_delay_alu instid0(VALU_DEP_1) | instskip(SKIP_1) | instid1(VALU_DEP_1)
	v_cndmask_b32_e64 v94, 0, v94, s0
	v_cmp_lt_i32_e64 s0, v44, v0
	v_cndmask_b32_e64 v95, 0, v95, s0
.LBB226_1576:                           ;   in Loop: Header=BB226_998 Depth=1
	s_wait_xcnt 0x0
	s_or_b32 exec_lo, exec_lo, s3
	flat_load_b32 v22, v[68:69] offset:2176
	v_mov_b64_e32 v[0:1], 0
	v_mov_b64_e32 v[10:11], 0
	s_mov_b32 s3, exec_lo
	s_wait_loadcnt_dscnt 0x0
	v_and_b32_e32 v23, 0xff, v22
	s_wait_xcnt 0x0
	s_delay_alu instid0(VALU_DEP_1)
	v_cmpx_ne_u16_e32 0, v23
	s_cbranch_execz .LBB226_1584
; %bb.1577:                             ;   in Loop: Header=BB226_998 Depth=1
	v_mov_b64_e32 v[10:11], 0x80000000
	s_mov_b32 s8, exec_lo
	v_cmpx_ne_u16_e32 0x80, v23
	s_cbranch_execz .LBB226_1583
; %bb.1578:                             ;   in Loop: Header=BB226_998 Depth=1
	v_mov_b64_e32 v[10:11], 0x7f800001
	v_and_b32_e32 v23, 0x7f, v22
	s_mov_b32 s9, exec_lo
	s_delay_alu instid0(VALU_DEP_1)
	v_cmpx_ne_u32_e32 0x7f, v23
	s_cbranch_execz .LBB226_1582
; %bb.1579:                             ;   in Loop: Header=BB226_998 Depth=1
	v_dual_lshrrev_b32 v10, 3, v23 :: v_dual_bitop2_b32 v40, 7, v22 bitop3:0x40
	s_mov_b32 s16, exec_lo
	v_cmpx_gt_u32_e32 8, v23
; %bb.1580:                             ;   in Loop: Header=BB226_998 Depth=1
	s_delay_alu instid0(VALU_DEP_2) | instskip(NEXT) | instid1(VALU_DEP_1)
	v_clz_i32_u32_e32 v10, v40
	v_min_u32_e32 v10, 32, v10
	s_delay_alu instid0(VALU_DEP_1) | instskip(NEXT) | instid1(VALU_DEP_1)
	v_subrev_nc_u32_e32 v11, 28, v10
	v_lshlrev_b64_e32 v[52:53], v11, v[40:41]
	s_delay_alu instid0(VALU_DEP_1)
	v_dual_sub_nc_u32 v10, 29, v10 :: v_dual_bitop2_b32 v40, 7, v52 bitop3:0x40
; %bb.1581:                             ;   in Loop: Header=BB226_998 Depth=1
	s_or_b32 exec_lo, exec_lo, s16
	s_delay_alu instid0(VALU_DEP_1) | instskip(NEXT) | instid1(VALU_DEP_2)
	v_dual_lshlrev_b32 v11, 24, v22 :: v_dual_lshlrev_b32 v20, 20, v40
	v_lshl_add_u32 v10, v10, 23, 0x3c000000
	s_delay_alu instid0(VALU_DEP_2) | instskip(NEXT) | instid1(VALU_DEP_1)
	v_and_b32_e32 v11, 0x80000000, v11
	v_or3_b32 v40, v20, v11, v10
	s_delay_alu instid0(VALU_DEP_1)
	v_mov_b64_e32 v[10:11], v[40:41]
.LBB226_1582:                           ;   in Loop: Header=BB226_998 Depth=1
	s_or_b32 exec_lo, exec_lo, s9
.LBB226_1583:                           ;   in Loop: Header=BB226_998 Depth=1
	s_delay_alu instid0(SALU_CYCLE_1)
	s_or_b32 exec_lo, exec_lo, s8
.LBB226_1584:                           ;   in Loop: Header=BB226_998 Depth=1
	s_delay_alu instid0(SALU_CYCLE_1) | instskip(SKIP_2) | instid1(VALU_DEP_1)
	s_or_b32 exec_lo, exec_lo, s3
	v_lshrrev_b16 v23, 8, v22
	s_mov_b32 s3, exec_lo
	v_cmpx_ne_u16_e32 0, v23
	s_cbranch_execz .LBB226_1592
; %bb.1585:                             ;   in Loop: Header=BB226_998 Depth=1
	v_mov_b64_e32 v[0:1], 0x8000000000000000
	s_mov_b32 s8, exec_lo
	v_cmpx_ne_u16_e32 0x80, v23
	s_cbranch_execz .LBB226_1591
; %bb.1586:                             ;   in Loop: Header=BB226_998 Depth=1
	v_and_b32_e32 v52, 0xffff, v23
	v_mov_b64_e32 v[0:1], 0x7f80000100000000
	s_mov_b32 s9, exec_lo
	s_delay_alu instid0(VALU_DEP_2) | instskip(NEXT) | instid1(VALU_DEP_1)
	v_and_b32_e32 v23, 0x7f, v52
	v_cmpx_ne_u32_e32 0x7f, v23
	s_cbranch_execz .LBB226_1590
; %bb.1587:                             ;   in Loop: Header=BB226_998 Depth=1
	v_dual_lshrrev_b32 v0, 3, v23 :: v_dual_bitop2_b32 v40, 7, v52 bitop3:0x40
	s_mov_b32 s16, exec_lo
	v_cmpx_gt_u32_e32 8, v23
; %bb.1588:                             ;   in Loop: Header=BB226_998 Depth=1
	s_delay_alu instid0(VALU_DEP_2) | instskip(NEXT) | instid1(VALU_DEP_1)
	v_clz_i32_u32_e32 v0, v40
	v_min_u32_e32 v0, 32, v0
	s_delay_alu instid0(VALU_DEP_1) | instskip(SKIP_1) | instid1(VALU_DEP_2)
	v_subrev_nc_u32_e32 v1, 28, v0
	v_sub_nc_u32_e32 v0, 29, v0
	v_lshlrev_b64_e32 v[52:53], v1, v[40:41]
	s_delay_alu instid0(VALU_DEP_1)
	v_and_b32_e32 v40, 7, v52
; %bb.1589:                             ;   in Loop: Header=BB226_998 Depth=1
	s_or_b32 exec_lo, exec_lo, s16
	s_delay_alu instid0(VALU_DEP_1) | instskip(SKIP_1) | instid1(VALU_DEP_2)
	v_dual_lshlrev_b32 v1, 16, v22 :: v_dual_lshlrev_b32 v20, 20, v40
	v_lshl_add_u32 v0, v0, 23, 0x3c000000
	v_and_b32_e32 v1, 0x80000000, v1
	s_delay_alu instid0(VALU_DEP_1)
	v_or3_b32 v1, v20, v1, v0
	v_mov_b32_e32 v0, v41
.LBB226_1590:                           ;   in Loop: Header=BB226_998 Depth=1
	s_or_b32 exec_lo, exec_lo, s9
.LBB226_1591:                           ;   in Loop: Header=BB226_998 Depth=1
	s_delay_alu instid0(SALU_CYCLE_1)
	s_or_b32 exec_lo, exec_lo, s8
.LBB226_1592:                           ;   in Loop: Header=BB226_998 Depth=1
	s_delay_alu instid0(SALU_CYCLE_1) | instskip(SKIP_4) | instid1(VALU_DEP_3)
	s_or_b32 exec_lo, exec_lo, s3
	v_lshrrev_b32_e32 v23, 16, v22
	v_mov_b64_e32 v[52:53], 0
	v_mov_b64_e32 v[54:55], 0
	s_mov_b32 s3, exec_lo
	v_and_b32_e32 v64, 0xff, v23
	s_delay_alu instid0(VALU_DEP_1)
	v_cmpx_ne_u16_e32 0, v64
	s_cbranch_execz .LBB226_1600
; %bb.1593:                             ;   in Loop: Header=BB226_998 Depth=1
	v_mov_b64_e32 v[54:55], 0x80000000
	s_mov_b32 s8, exec_lo
	v_cmpx_ne_u16_e32 0x80, v64
	s_cbranch_execz .LBB226_1599
; %bb.1594:                             ;   in Loop: Header=BB226_998 Depth=1
	v_mov_b64_e32 v[54:55], 0x7f800001
	v_bfe_u32 v64, v22, 16, 7
	s_mov_b32 s9, exec_lo
	s_delay_alu instid0(VALU_DEP_1)
	v_cmpx_ne_u32_e32 0x7f, v64
	s_cbranch_execz .LBB226_1598
; %bb.1595:                             ;   in Loop: Header=BB226_998 Depth=1
	v_dual_lshrrev_b32 v54, 3, v64 :: v_dual_bitop2_b32 v40, 7, v23 bitop3:0x40
	s_mov_b32 s16, exec_lo
	v_cmpx_gt_u32_e32 8, v64
; %bb.1596:                             ;   in Loop: Header=BB226_998 Depth=1
	s_delay_alu instid0(VALU_DEP_2) | instskip(NEXT) | instid1(VALU_DEP_1)
	v_clz_i32_u32_e32 v20, v40
	v_min_u32_e32 v20, 32, v20
	s_delay_alu instid0(VALU_DEP_1) | instskip(NEXT) | instid1(VALU_DEP_1)
	v_subrev_nc_u32_e32 v54, 28, v20
	v_lshlrev_b64_e32 v[64:65], v54, v[40:41]
	v_sub_nc_u32_e32 v54, 29, v20
	s_delay_alu instid0(VALU_DEP_2)
	v_and_b32_e32 v40, 7, v64
; %bb.1597:                             ;   in Loop: Header=BB226_998 Depth=1
	s_or_b32 exec_lo, exec_lo, s16
	s_delay_alu instid0(VALU_DEP_1) | instskip(NEXT) | instid1(VALU_DEP_3)
	v_dual_lshlrev_b32 v20, 24, v23 :: v_dual_lshlrev_b32 v23, 20, v40
	v_lshl_add_u32 v54, v54, 23, 0x3c000000
	s_delay_alu instid0(VALU_DEP_2) | instskip(NEXT) | instid1(VALU_DEP_1)
	v_and_b32_e32 v20, 0x80000000, v20
	v_or3_b32 v40, v23, v20, v54
	s_delay_alu instid0(VALU_DEP_1)
	v_mov_b64_e32 v[54:55], v[40:41]
.LBB226_1598:                           ;   in Loop: Header=BB226_998 Depth=1
	s_or_b32 exec_lo, exec_lo, s9
.LBB226_1599:                           ;   in Loop: Header=BB226_998 Depth=1
	s_delay_alu instid0(SALU_CYCLE_1)
	s_or_b32 exec_lo, exec_lo, s8
.LBB226_1600:                           ;   in Loop: Header=BB226_998 Depth=1
	s_delay_alu instid0(SALU_CYCLE_1) | instskip(NEXT) | instid1(SALU_CYCLE_1)
	s_or_b32 exec_lo, exec_lo, s3
	s_mov_b32 s3, exec_lo
	v_cmpx_lt_u32_e32 0xffffff, v22
	s_cbranch_execz .LBB226_1608
; %bb.1601:                             ;   in Loop: Header=BB226_998 Depth=1
	v_mov_b64_e32 v[52:53], 0x8000000000000000
	v_lshrrev_b32_e32 v23, 24, v22
	s_mov_b32 s8, exec_lo
	s_delay_alu instid0(VALU_DEP_1)
	v_cmpx_ne_u32_e32 0x80, v23
	s_cbranch_execz .LBB226_1607
; %bb.1602:                             ;   in Loop: Header=BB226_998 Depth=1
	v_mov_b64_e32 v[52:53], 0x7f80000100000000
	v_bfe_u32 v64, v22, 24, 7
	s_mov_b32 s9, exec_lo
	s_delay_alu instid0(VALU_DEP_1)
	v_cmpx_ne_u32_e32 0x7f, v64
	s_cbranch_execz .LBB226_1606
; %bb.1603:                             ;   in Loop: Header=BB226_998 Depth=1
	v_dual_lshrrev_b32 v22, 3, v64 :: v_dual_bitop2_b32 v40, 7, v23 bitop3:0x40
	s_mov_b32 s16, exec_lo
	v_cmpx_gt_u32_e32 8, v64
; %bb.1604:                             ;   in Loop: Header=BB226_998 Depth=1
	s_delay_alu instid0(VALU_DEP_2) | instskip(NEXT) | instid1(VALU_DEP_1)
	v_clz_i32_u32_e32 v20, v40
	v_min_u32_e32 v20, 32, v20
	s_delay_alu instid0(VALU_DEP_1) | instskip(NEXT) | instid1(VALU_DEP_1)
	v_subrev_nc_u32_e32 v22, 28, v20
	v_lshlrev_b64_e32 v[52:53], v22, v[40:41]
	v_sub_nc_u32_e32 v22, 29, v20
	s_delay_alu instid0(VALU_DEP_2)
	v_and_b32_e32 v40, 7, v52
; %bb.1605:                             ;   in Loop: Header=BB226_998 Depth=1
	s_or_b32 exec_lo, exec_lo, s16
	s_delay_alu instid0(VALU_DEP_1) | instskip(NEXT) | instid1(VALU_DEP_3)
	v_dual_lshlrev_b32 v20, 24, v23 :: v_dual_lshlrev_b32 v23, 20, v40
	v_lshl_add_u32 v22, v22, 23, 0x3c000000
	v_mov_b32_e32 v52, v41
	s_delay_alu instid0(VALU_DEP_3) | instskip(NEXT) | instid1(VALU_DEP_1)
	v_and_b32_e32 v20, 0x80000000, v20
	v_or3_b32 v53, v23, v20, v22
.LBB226_1606:                           ;   in Loop: Header=BB226_998 Depth=1
	s_or_b32 exec_lo, exec_lo, s9
.LBB226_1607:                           ;   in Loop: Header=BB226_998 Depth=1
	s_delay_alu instid0(SALU_CYCLE_1)
	s_or_b32 exec_lo, exec_lo, s8
.LBB226_1608:                           ;   in Loop: Header=BB226_998 Depth=1
	s_delay_alu instid0(SALU_CYCLE_1) | instskip(SKIP_4) | instid1(VALU_DEP_3)
	s_or_b32 exec_lo, exec_lo, s3
	v_or_b32_e32 v1, v1, v11
	v_or_b32_e32 v0, v0, v10
	;; [unrolled: 1-line block ×4, first 2 shown]
	v_pk_mul_f32 v[108:109], v[50:51], v[0:1]
	s_delay_alu instid0(VALU_DEP_2)
	v_pk_mul_f32 v[106:107], v[50:51], v[10:11]
	s_and_saveexec_b32 s3, vcc_lo
	s_cbranch_execz .LBB226_1610
; %bb.1609:                             ;   in Loop: Header=BB226_998 Depth=1
	scratch_load_b64 v[0:1], off, s32 offset:200 ; 8-byte Folded Reload
	s_wait_loadcnt 0x0
	v_cmp_lt_i32_e64 s0, v21, v0
	s_delay_alu instid0(VALU_DEP_1) | instskip(SKIP_1) | instid1(VALU_DEP_1)
	v_cndmask_b32_e64 v108, 0, v108, s0
	v_cmp_lt_i32_e64 s0, v43, v0
	v_cndmask_b32_e64 v109, 0, v109, s0
	v_cmp_lt_i32_e64 s0, v45, v0
	s_delay_alu instid0(VALU_DEP_1) | instskip(SKIP_1) | instid1(VALU_DEP_1)
	v_cndmask_b32_e64 v106, 0, v106, s0
	v_cmp_lt_i32_e64 s0, v44, v0
	v_cndmask_b32_e64 v107, 0, v107, s0
.LBB226_1610:                           ;   in Loop: Header=BB226_998 Depth=1
	s_wait_xcnt 0x0
	s_or_b32 exec_lo, exec_lo, s3
	flat_load_b32 v22, v[68:69] offset:2304
	v_mov_b64_e32 v[0:1], 0
	v_mov_b64_e32 v[10:11], 0
	s_mov_b32 s3, exec_lo
	s_wait_loadcnt_dscnt 0x0
	v_and_b32_e32 v23, 0xff, v22
	s_wait_xcnt 0x0
	s_delay_alu instid0(VALU_DEP_1)
	v_cmpx_ne_u16_e32 0, v23
	s_cbranch_execz .LBB226_1618
; %bb.1611:                             ;   in Loop: Header=BB226_998 Depth=1
	v_mov_b64_e32 v[10:11], 0x80000000
	s_mov_b32 s8, exec_lo
	v_cmpx_ne_u16_e32 0x80, v23
	s_cbranch_execz .LBB226_1617
; %bb.1612:                             ;   in Loop: Header=BB226_998 Depth=1
	v_mov_b64_e32 v[10:11], 0x7f800001
	v_and_b32_e32 v23, 0x7f, v22
	s_mov_b32 s9, exec_lo
	s_delay_alu instid0(VALU_DEP_1)
	v_cmpx_ne_u32_e32 0x7f, v23
	s_cbranch_execz .LBB226_1616
; %bb.1613:                             ;   in Loop: Header=BB226_998 Depth=1
	v_dual_lshrrev_b32 v10, 3, v23 :: v_dual_bitop2_b32 v40, 7, v22 bitop3:0x40
	s_mov_b32 s16, exec_lo
	v_cmpx_gt_u32_e32 8, v23
; %bb.1614:                             ;   in Loop: Header=BB226_998 Depth=1
	s_delay_alu instid0(VALU_DEP_2) | instskip(NEXT) | instid1(VALU_DEP_1)
	v_clz_i32_u32_e32 v10, v40
	v_min_u32_e32 v10, 32, v10
	s_delay_alu instid0(VALU_DEP_1) | instskip(NEXT) | instid1(VALU_DEP_1)
	v_subrev_nc_u32_e32 v11, 28, v10
	v_lshlrev_b64_e32 v[52:53], v11, v[40:41]
	s_delay_alu instid0(VALU_DEP_1)
	v_dual_sub_nc_u32 v10, 29, v10 :: v_dual_bitop2_b32 v40, 7, v52 bitop3:0x40
; %bb.1615:                             ;   in Loop: Header=BB226_998 Depth=1
	s_or_b32 exec_lo, exec_lo, s16
	s_delay_alu instid0(VALU_DEP_1) | instskip(NEXT) | instid1(VALU_DEP_2)
	v_dual_lshlrev_b32 v11, 24, v22 :: v_dual_lshlrev_b32 v20, 20, v40
	v_lshl_add_u32 v10, v10, 23, 0x3c000000
	s_delay_alu instid0(VALU_DEP_2) | instskip(NEXT) | instid1(VALU_DEP_1)
	v_and_b32_e32 v11, 0x80000000, v11
	v_or3_b32 v40, v20, v11, v10
	s_delay_alu instid0(VALU_DEP_1)
	v_mov_b64_e32 v[10:11], v[40:41]
.LBB226_1616:                           ;   in Loop: Header=BB226_998 Depth=1
	s_or_b32 exec_lo, exec_lo, s9
.LBB226_1617:                           ;   in Loop: Header=BB226_998 Depth=1
	s_delay_alu instid0(SALU_CYCLE_1)
	s_or_b32 exec_lo, exec_lo, s8
.LBB226_1618:                           ;   in Loop: Header=BB226_998 Depth=1
	s_delay_alu instid0(SALU_CYCLE_1) | instskip(SKIP_2) | instid1(VALU_DEP_1)
	s_or_b32 exec_lo, exec_lo, s3
	v_lshrrev_b16 v23, 8, v22
	s_mov_b32 s3, exec_lo
	v_cmpx_ne_u16_e32 0, v23
	s_cbranch_execz .LBB226_1626
; %bb.1619:                             ;   in Loop: Header=BB226_998 Depth=1
	v_mov_b64_e32 v[0:1], 0x8000000000000000
	s_mov_b32 s8, exec_lo
	v_cmpx_ne_u16_e32 0x80, v23
	s_cbranch_execz .LBB226_1625
; %bb.1620:                             ;   in Loop: Header=BB226_998 Depth=1
	v_and_b32_e32 v52, 0xffff, v23
	v_mov_b64_e32 v[0:1], 0x7f80000100000000
	s_mov_b32 s9, exec_lo
	s_delay_alu instid0(VALU_DEP_2) | instskip(NEXT) | instid1(VALU_DEP_1)
	v_and_b32_e32 v23, 0x7f, v52
	v_cmpx_ne_u32_e32 0x7f, v23
	s_cbranch_execz .LBB226_1624
; %bb.1621:                             ;   in Loop: Header=BB226_998 Depth=1
	v_dual_lshrrev_b32 v0, 3, v23 :: v_dual_bitop2_b32 v40, 7, v52 bitop3:0x40
	s_mov_b32 s16, exec_lo
	v_cmpx_gt_u32_e32 8, v23
; %bb.1622:                             ;   in Loop: Header=BB226_998 Depth=1
	s_delay_alu instid0(VALU_DEP_2) | instskip(NEXT) | instid1(VALU_DEP_1)
	v_clz_i32_u32_e32 v0, v40
	v_min_u32_e32 v0, 32, v0
	s_delay_alu instid0(VALU_DEP_1) | instskip(SKIP_1) | instid1(VALU_DEP_2)
	v_subrev_nc_u32_e32 v1, 28, v0
	v_sub_nc_u32_e32 v0, 29, v0
	v_lshlrev_b64_e32 v[52:53], v1, v[40:41]
	s_delay_alu instid0(VALU_DEP_1)
	v_and_b32_e32 v40, 7, v52
; %bb.1623:                             ;   in Loop: Header=BB226_998 Depth=1
	s_or_b32 exec_lo, exec_lo, s16
	s_delay_alu instid0(VALU_DEP_1) | instskip(SKIP_1) | instid1(VALU_DEP_2)
	v_dual_lshlrev_b32 v1, 16, v22 :: v_dual_lshlrev_b32 v20, 20, v40
	v_lshl_add_u32 v0, v0, 23, 0x3c000000
	v_and_b32_e32 v1, 0x80000000, v1
	s_delay_alu instid0(VALU_DEP_1)
	v_or3_b32 v1, v20, v1, v0
	v_mov_b32_e32 v0, v41
.LBB226_1624:                           ;   in Loop: Header=BB226_998 Depth=1
	s_or_b32 exec_lo, exec_lo, s9
.LBB226_1625:                           ;   in Loop: Header=BB226_998 Depth=1
	s_delay_alu instid0(SALU_CYCLE_1)
	s_or_b32 exec_lo, exec_lo, s8
.LBB226_1626:                           ;   in Loop: Header=BB226_998 Depth=1
	s_delay_alu instid0(SALU_CYCLE_1) | instskip(SKIP_4) | instid1(VALU_DEP_3)
	s_or_b32 exec_lo, exec_lo, s3
	v_lshrrev_b32_e32 v23, 16, v22
	v_mov_b64_e32 v[52:53], 0
	v_mov_b64_e32 v[54:55], 0
	s_mov_b32 s3, exec_lo
	v_and_b32_e32 v64, 0xff, v23
	s_delay_alu instid0(VALU_DEP_1)
	v_cmpx_ne_u16_e32 0, v64
	s_cbranch_execz .LBB226_1634
; %bb.1627:                             ;   in Loop: Header=BB226_998 Depth=1
	v_mov_b64_e32 v[54:55], 0x80000000
	s_mov_b32 s8, exec_lo
	v_cmpx_ne_u16_e32 0x80, v64
	s_cbranch_execz .LBB226_1633
; %bb.1628:                             ;   in Loop: Header=BB226_998 Depth=1
	v_mov_b64_e32 v[54:55], 0x7f800001
	v_bfe_u32 v64, v22, 16, 7
	s_mov_b32 s9, exec_lo
	s_delay_alu instid0(VALU_DEP_1)
	v_cmpx_ne_u32_e32 0x7f, v64
	s_cbranch_execz .LBB226_1632
; %bb.1629:                             ;   in Loop: Header=BB226_998 Depth=1
	v_dual_lshrrev_b32 v54, 3, v64 :: v_dual_bitop2_b32 v40, 7, v23 bitop3:0x40
	s_mov_b32 s16, exec_lo
	v_cmpx_gt_u32_e32 8, v64
; %bb.1630:                             ;   in Loop: Header=BB226_998 Depth=1
	s_delay_alu instid0(VALU_DEP_2) | instskip(NEXT) | instid1(VALU_DEP_1)
	v_clz_i32_u32_e32 v20, v40
	v_min_u32_e32 v20, 32, v20
	s_delay_alu instid0(VALU_DEP_1) | instskip(NEXT) | instid1(VALU_DEP_1)
	v_subrev_nc_u32_e32 v54, 28, v20
	v_lshlrev_b64_e32 v[64:65], v54, v[40:41]
	v_sub_nc_u32_e32 v54, 29, v20
	s_delay_alu instid0(VALU_DEP_2)
	v_and_b32_e32 v40, 7, v64
; %bb.1631:                             ;   in Loop: Header=BB226_998 Depth=1
	s_or_b32 exec_lo, exec_lo, s16
	s_delay_alu instid0(VALU_DEP_1) | instskip(NEXT) | instid1(VALU_DEP_3)
	v_dual_lshlrev_b32 v20, 24, v23 :: v_dual_lshlrev_b32 v23, 20, v40
	v_lshl_add_u32 v54, v54, 23, 0x3c000000
	s_delay_alu instid0(VALU_DEP_2) | instskip(NEXT) | instid1(VALU_DEP_1)
	v_and_b32_e32 v20, 0x80000000, v20
	v_or3_b32 v40, v23, v20, v54
	s_delay_alu instid0(VALU_DEP_1)
	v_mov_b64_e32 v[54:55], v[40:41]
.LBB226_1632:                           ;   in Loop: Header=BB226_998 Depth=1
	s_or_b32 exec_lo, exec_lo, s9
.LBB226_1633:                           ;   in Loop: Header=BB226_998 Depth=1
	s_delay_alu instid0(SALU_CYCLE_1)
	s_or_b32 exec_lo, exec_lo, s8
.LBB226_1634:                           ;   in Loop: Header=BB226_998 Depth=1
	s_delay_alu instid0(SALU_CYCLE_1) | instskip(NEXT) | instid1(SALU_CYCLE_1)
	s_or_b32 exec_lo, exec_lo, s3
	s_mov_b32 s3, exec_lo
	v_cmpx_lt_u32_e32 0xffffff, v22
	s_cbranch_execz .LBB226_1642
; %bb.1635:                             ;   in Loop: Header=BB226_998 Depth=1
	v_mov_b64_e32 v[52:53], 0x8000000000000000
	v_lshrrev_b32_e32 v23, 24, v22
	s_mov_b32 s8, exec_lo
	s_delay_alu instid0(VALU_DEP_1)
	v_cmpx_ne_u32_e32 0x80, v23
	s_cbranch_execz .LBB226_1641
; %bb.1636:                             ;   in Loop: Header=BB226_998 Depth=1
	v_mov_b64_e32 v[52:53], 0x7f80000100000000
	v_bfe_u32 v64, v22, 24, 7
	s_mov_b32 s9, exec_lo
	s_delay_alu instid0(VALU_DEP_1)
	v_cmpx_ne_u32_e32 0x7f, v64
	s_cbranch_execz .LBB226_1640
; %bb.1637:                             ;   in Loop: Header=BB226_998 Depth=1
	v_dual_lshrrev_b32 v22, 3, v64 :: v_dual_bitop2_b32 v40, 7, v23 bitop3:0x40
	s_mov_b32 s16, exec_lo
	v_cmpx_gt_u32_e32 8, v64
; %bb.1638:                             ;   in Loop: Header=BB226_998 Depth=1
	s_delay_alu instid0(VALU_DEP_2) | instskip(NEXT) | instid1(VALU_DEP_1)
	v_clz_i32_u32_e32 v20, v40
	v_min_u32_e32 v20, 32, v20
	s_delay_alu instid0(VALU_DEP_1) | instskip(NEXT) | instid1(VALU_DEP_1)
	v_subrev_nc_u32_e32 v22, 28, v20
	v_lshlrev_b64_e32 v[52:53], v22, v[40:41]
	v_sub_nc_u32_e32 v22, 29, v20
	s_delay_alu instid0(VALU_DEP_2)
	v_and_b32_e32 v40, 7, v52
; %bb.1639:                             ;   in Loop: Header=BB226_998 Depth=1
	s_or_b32 exec_lo, exec_lo, s16
	s_delay_alu instid0(VALU_DEP_1) | instskip(NEXT) | instid1(VALU_DEP_3)
	v_dual_lshlrev_b32 v20, 24, v23 :: v_dual_lshlrev_b32 v23, 20, v40
	v_lshl_add_u32 v22, v22, 23, 0x3c000000
	v_mov_b32_e32 v52, v41
	s_delay_alu instid0(VALU_DEP_3) | instskip(NEXT) | instid1(VALU_DEP_1)
	v_and_b32_e32 v20, 0x80000000, v20
	v_or3_b32 v53, v23, v20, v22
.LBB226_1640:                           ;   in Loop: Header=BB226_998 Depth=1
	s_or_b32 exec_lo, exec_lo, s9
.LBB226_1641:                           ;   in Loop: Header=BB226_998 Depth=1
	s_delay_alu instid0(SALU_CYCLE_1)
	s_or_b32 exec_lo, exec_lo, s8
.LBB226_1642:                           ;   in Loop: Header=BB226_998 Depth=1
	s_delay_alu instid0(SALU_CYCLE_1) | instskip(SKIP_4) | instid1(VALU_DEP_3)
	s_or_b32 exec_lo, exec_lo, s3
	v_or_b32_e32 v1, v1, v11
	v_or_b32_e32 v0, v0, v10
	;; [unrolled: 1-line block ×4, first 2 shown]
	v_pk_mul_f32 v[120:121], v[50:51], v[0:1]
	s_delay_alu instid0(VALU_DEP_2)
	v_pk_mul_f32 v[110:111], v[50:51], v[10:11]
	s_and_saveexec_b32 s3, vcc_lo
	s_cbranch_execz .LBB226_1644
; %bb.1643:                             ;   in Loop: Header=BB226_998 Depth=1
	scratch_load_b64 v[0:1], off, s32 offset:200 ; 8-byte Folded Reload
	s_wait_loadcnt 0x0
	v_cmp_lt_i32_e64 s0, v21, v0
	s_delay_alu instid0(VALU_DEP_1) | instskip(SKIP_1) | instid1(VALU_DEP_1)
	v_cndmask_b32_e64 v120, 0, v120, s0
	v_cmp_lt_i32_e64 s0, v43, v0
	v_cndmask_b32_e64 v121, 0, v121, s0
	v_cmp_lt_i32_e64 s0, v45, v0
	s_delay_alu instid0(VALU_DEP_1) | instskip(SKIP_1) | instid1(VALU_DEP_1)
	v_cndmask_b32_e64 v110, 0, v110, s0
	v_cmp_lt_i32_e64 s0, v44, v0
	v_cndmask_b32_e64 v111, 0, v111, s0
.LBB226_1644:                           ;   in Loop: Header=BB226_998 Depth=1
	s_wait_xcnt 0x0
	s_or_b32 exec_lo, exec_lo, s3
	flat_load_b32 v22, v[68:69] offset:2432
	v_mov_b64_e32 v[0:1], 0
	v_mov_b64_e32 v[10:11], 0
	s_mov_b32 s3, exec_lo
	s_wait_loadcnt_dscnt 0x0
	v_and_b32_e32 v23, 0xff, v22
	s_wait_xcnt 0x0
	s_delay_alu instid0(VALU_DEP_1)
	v_cmpx_ne_u16_e32 0, v23
	s_cbranch_execz .LBB226_1652
; %bb.1645:                             ;   in Loop: Header=BB226_998 Depth=1
	v_mov_b64_e32 v[10:11], 0x80000000
	s_mov_b32 s8, exec_lo
	v_cmpx_ne_u16_e32 0x80, v23
	s_cbranch_execz .LBB226_1651
; %bb.1646:                             ;   in Loop: Header=BB226_998 Depth=1
	v_mov_b64_e32 v[10:11], 0x7f800001
	v_and_b32_e32 v23, 0x7f, v22
	s_mov_b32 s9, exec_lo
	s_delay_alu instid0(VALU_DEP_1)
	v_cmpx_ne_u32_e32 0x7f, v23
	s_cbranch_execz .LBB226_1650
; %bb.1647:                             ;   in Loop: Header=BB226_998 Depth=1
	v_dual_lshrrev_b32 v10, 3, v23 :: v_dual_bitop2_b32 v40, 7, v22 bitop3:0x40
	s_mov_b32 s16, exec_lo
	v_cmpx_gt_u32_e32 8, v23
; %bb.1648:                             ;   in Loop: Header=BB226_998 Depth=1
	s_delay_alu instid0(VALU_DEP_2) | instskip(NEXT) | instid1(VALU_DEP_1)
	v_clz_i32_u32_e32 v10, v40
	v_min_u32_e32 v10, 32, v10
	s_delay_alu instid0(VALU_DEP_1) | instskip(NEXT) | instid1(VALU_DEP_1)
	v_subrev_nc_u32_e32 v11, 28, v10
	v_lshlrev_b64_e32 v[52:53], v11, v[40:41]
	s_delay_alu instid0(VALU_DEP_1)
	v_dual_sub_nc_u32 v10, 29, v10 :: v_dual_bitop2_b32 v40, 7, v52 bitop3:0x40
; %bb.1649:                             ;   in Loop: Header=BB226_998 Depth=1
	s_or_b32 exec_lo, exec_lo, s16
	s_delay_alu instid0(VALU_DEP_1) | instskip(NEXT) | instid1(VALU_DEP_2)
	v_dual_lshlrev_b32 v11, 24, v22 :: v_dual_lshlrev_b32 v20, 20, v40
	v_lshl_add_u32 v10, v10, 23, 0x3c000000
	s_delay_alu instid0(VALU_DEP_2) | instskip(NEXT) | instid1(VALU_DEP_1)
	v_and_b32_e32 v11, 0x80000000, v11
	v_or3_b32 v40, v20, v11, v10
	s_delay_alu instid0(VALU_DEP_1)
	v_mov_b64_e32 v[10:11], v[40:41]
.LBB226_1650:                           ;   in Loop: Header=BB226_998 Depth=1
	s_or_b32 exec_lo, exec_lo, s9
.LBB226_1651:                           ;   in Loop: Header=BB226_998 Depth=1
	s_delay_alu instid0(SALU_CYCLE_1)
	s_or_b32 exec_lo, exec_lo, s8
.LBB226_1652:                           ;   in Loop: Header=BB226_998 Depth=1
	s_delay_alu instid0(SALU_CYCLE_1) | instskip(SKIP_2) | instid1(VALU_DEP_1)
	s_or_b32 exec_lo, exec_lo, s3
	v_lshrrev_b16 v23, 8, v22
	s_mov_b32 s3, exec_lo
	v_cmpx_ne_u16_e32 0, v23
	s_cbranch_execz .LBB226_1660
; %bb.1653:                             ;   in Loop: Header=BB226_998 Depth=1
	v_mov_b64_e32 v[0:1], 0x8000000000000000
	s_mov_b32 s8, exec_lo
	v_cmpx_ne_u16_e32 0x80, v23
	s_cbranch_execz .LBB226_1659
; %bb.1654:                             ;   in Loop: Header=BB226_998 Depth=1
	v_and_b32_e32 v52, 0xffff, v23
	v_mov_b64_e32 v[0:1], 0x7f80000100000000
	s_mov_b32 s9, exec_lo
	s_delay_alu instid0(VALU_DEP_2) | instskip(NEXT) | instid1(VALU_DEP_1)
	v_and_b32_e32 v23, 0x7f, v52
	v_cmpx_ne_u32_e32 0x7f, v23
	s_cbranch_execz .LBB226_1658
; %bb.1655:                             ;   in Loop: Header=BB226_998 Depth=1
	v_dual_lshrrev_b32 v0, 3, v23 :: v_dual_bitop2_b32 v40, 7, v52 bitop3:0x40
	s_mov_b32 s16, exec_lo
	v_cmpx_gt_u32_e32 8, v23
; %bb.1656:                             ;   in Loop: Header=BB226_998 Depth=1
	s_delay_alu instid0(VALU_DEP_2) | instskip(NEXT) | instid1(VALU_DEP_1)
	v_clz_i32_u32_e32 v0, v40
	v_min_u32_e32 v0, 32, v0
	s_delay_alu instid0(VALU_DEP_1) | instskip(SKIP_1) | instid1(VALU_DEP_2)
	v_subrev_nc_u32_e32 v1, 28, v0
	v_sub_nc_u32_e32 v0, 29, v0
	v_lshlrev_b64_e32 v[52:53], v1, v[40:41]
	s_delay_alu instid0(VALU_DEP_1)
	v_and_b32_e32 v40, 7, v52
; %bb.1657:                             ;   in Loop: Header=BB226_998 Depth=1
	s_or_b32 exec_lo, exec_lo, s16
	s_delay_alu instid0(VALU_DEP_1) | instskip(SKIP_1) | instid1(VALU_DEP_2)
	v_dual_lshlrev_b32 v1, 16, v22 :: v_dual_lshlrev_b32 v20, 20, v40
	v_lshl_add_u32 v0, v0, 23, 0x3c000000
	v_and_b32_e32 v1, 0x80000000, v1
	s_delay_alu instid0(VALU_DEP_1)
	v_or3_b32 v1, v20, v1, v0
	v_mov_b32_e32 v0, v41
.LBB226_1658:                           ;   in Loop: Header=BB226_998 Depth=1
	s_or_b32 exec_lo, exec_lo, s9
.LBB226_1659:                           ;   in Loop: Header=BB226_998 Depth=1
	s_delay_alu instid0(SALU_CYCLE_1)
	s_or_b32 exec_lo, exec_lo, s8
.LBB226_1660:                           ;   in Loop: Header=BB226_998 Depth=1
	s_delay_alu instid0(SALU_CYCLE_1) | instskip(SKIP_4) | instid1(VALU_DEP_3)
	s_or_b32 exec_lo, exec_lo, s3
	v_lshrrev_b32_e32 v23, 16, v22
	v_mov_b64_e32 v[52:53], 0
	v_mov_b64_e32 v[54:55], 0
	s_mov_b32 s3, exec_lo
	v_and_b32_e32 v64, 0xff, v23
	s_delay_alu instid0(VALU_DEP_1)
	v_cmpx_ne_u16_e32 0, v64
	s_cbranch_execz .LBB226_1668
; %bb.1661:                             ;   in Loop: Header=BB226_998 Depth=1
	v_mov_b64_e32 v[54:55], 0x80000000
	s_mov_b32 s8, exec_lo
	v_cmpx_ne_u16_e32 0x80, v64
	s_cbranch_execz .LBB226_1667
; %bb.1662:                             ;   in Loop: Header=BB226_998 Depth=1
	v_mov_b64_e32 v[54:55], 0x7f800001
	v_bfe_u32 v64, v22, 16, 7
	s_mov_b32 s9, exec_lo
	s_delay_alu instid0(VALU_DEP_1)
	v_cmpx_ne_u32_e32 0x7f, v64
	s_cbranch_execz .LBB226_1666
; %bb.1663:                             ;   in Loop: Header=BB226_998 Depth=1
	v_dual_lshrrev_b32 v54, 3, v64 :: v_dual_bitop2_b32 v40, 7, v23 bitop3:0x40
	s_mov_b32 s16, exec_lo
	v_cmpx_gt_u32_e32 8, v64
; %bb.1664:                             ;   in Loop: Header=BB226_998 Depth=1
	s_delay_alu instid0(VALU_DEP_2) | instskip(NEXT) | instid1(VALU_DEP_1)
	v_clz_i32_u32_e32 v20, v40
	v_min_u32_e32 v20, 32, v20
	s_delay_alu instid0(VALU_DEP_1) | instskip(NEXT) | instid1(VALU_DEP_1)
	v_subrev_nc_u32_e32 v54, 28, v20
	v_lshlrev_b64_e32 v[64:65], v54, v[40:41]
	v_sub_nc_u32_e32 v54, 29, v20
	s_delay_alu instid0(VALU_DEP_2)
	v_and_b32_e32 v40, 7, v64
; %bb.1665:                             ;   in Loop: Header=BB226_998 Depth=1
	s_or_b32 exec_lo, exec_lo, s16
	s_delay_alu instid0(VALU_DEP_1) | instskip(NEXT) | instid1(VALU_DEP_3)
	v_dual_lshlrev_b32 v20, 24, v23 :: v_dual_lshlrev_b32 v23, 20, v40
	v_lshl_add_u32 v54, v54, 23, 0x3c000000
	s_delay_alu instid0(VALU_DEP_2) | instskip(NEXT) | instid1(VALU_DEP_1)
	v_and_b32_e32 v20, 0x80000000, v20
	v_or3_b32 v40, v23, v20, v54
	s_delay_alu instid0(VALU_DEP_1)
	v_mov_b64_e32 v[54:55], v[40:41]
.LBB226_1666:                           ;   in Loop: Header=BB226_998 Depth=1
	s_or_b32 exec_lo, exec_lo, s9
.LBB226_1667:                           ;   in Loop: Header=BB226_998 Depth=1
	s_delay_alu instid0(SALU_CYCLE_1)
	s_or_b32 exec_lo, exec_lo, s8
.LBB226_1668:                           ;   in Loop: Header=BB226_998 Depth=1
	s_delay_alu instid0(SALU_CYCLE_1) | instskip(NEXT) | instid1(SALU_CYCLE_1)
	s_or_b32 exec_lo, exec_lo, s3
	s_mov_b32 s3, exec_lo
	v_cmpx_lt_u32_e32 0xffffff, v22
	s_cbranch_execz .LBB226_1676
; %bb.1669:                             ;   in Loop: Header=BB226_998 Depth=1
	v_mov_b64_e32 v[52:53], 0x8000000000000000
	v_lshrrev_b32_e32 v23, 24, v22
	s_mov_b32 s8, exec_lo
	s_delay_alu instid0(VALU_DEP_1)
	v_cmpx_ne_u32_e32 0x80, v23
	s_cbranch_execz .LBB226_1675
; %bb.1670:                             ;   in Loop: Header=BB226_998 Depth=1
	v_mov_b64_e32 v[52:53], 0x7f80000100000000
	v_bfe_u32 v64, v22, 24, 7
	s_mov_b32 s9, exec_lo
	s_delay_alu instid0(VALU_DEP_1)
	v_cmpx_ne_u32_e32 0x7f, v64
	s_cbranch_execz .LBB226_1674
; %bb.1671:                             ;   in Loop: Header=BB226_998 Depth=1
	v_dual_lshrrev_b32 v22, 3, v64 :: v_dual_bitop2_b32 v40, 7, v23 bitop3:0x40
	s_mov_b32 s16, exec_lo
	v_cmpx_gt_u32_e32 8, v64
; %bb.1672:                             ;   in Loop: Header=BB226_998 Depth=1
	s_delay_alu instid0(VALU_DEP_2) | instskip(NEXT) | instid1(VALU_DEP_1)
	v_clz_i32_u32_e32 v20, v40
	v_min_u32_e32 v20, 32, v20
	s_delay_alu instid0(VALU_DEP_1) | instskip(NEXT) | instid1(VALU_DEP_1)
	v_subrev_nc_u32_e32 v22, 28, v20
	v_lshlrev_b64_e32 v[52:53], v22, v[40:41]
	v_sub_nc_u32_e32 v22, 29, v20
	s_delay_alu instid0(VALU_DEP_2)
	v_and_b32_e32 v40, 7, v52
; %bb.1673:                             ;   in Loop: Header=BB226_998 Depth=1
	s_or_b32 exec_lo, exec_lo, s16
	s_delay_alu instid0(VALU_DEP_1) | instskip(NEXT) | instid1(VALU_DEP_3)
	v_dual_lshlrev_b32 v20, 24, v23 :: v_dual_lshlrev_b32 v23, 20, v40
	v_lshl_add_u32 v22, v22, 23, 0x3c000000
	v_mov_b32_e32 v52, v41
	s_delay_alu instid0(VALU_DEP_3) | instskip(NEXT) | instid1(VALU_DEP_1)
	v_and_b32_e32 v20, 0x80000000, v20
	v_or3_b32 v53, v23, v20, v22
.LBB226_1674:                           ;   in Loop: Header=BB226_998 Depth=1
	s_or_b32 exec_lo, exec_lo, s9
.LBB226_1675:                           ;   in Loop: Header=BB226_998 Depth=1
	s_delay_alu instid0(SALU_CYCLE_1)
	s_or_b32 exec_lo, exec_lo, s8
.LBB226_1676:                           ;   in Loop: Header=BB226_998 Depth=1
	s_delay_alu instid0(SALU_CYCLE_1) | instskip(SKIP_4) | instid1(VALU_DEP_3)
	s_or_b32 exec_lo, exec_lo, s3
	v_or_b32_e32 v1, v1, v11
	v_or_b32_e32 v0, v0, v10
	v_or_b32_e32 v11, v53, v55
	v_or_b32_e32 v10, v52, v54
	v_pk_mul_f32 v[124:125], v[50:51], v[0:1]
	s_delay_alu instid0(VALU_DEP_2)
	v_pk_mul_f32 v[122:123], v[50:51], v[10:11]
	s_and_saveexec_b32 s3, vcc_lo
	s_cbranch_execz .LBB226_1678
; %bb.1677:                             ;   in Loop: Header=BB226_998 Depth=1
	scratch_load_b64 v[0:1], off, s32 offset:200 ; 8-byte Folded Reload
	s_wait_loadcnt 0x0
	v_cmp_lt_i32_e64 s0, v21, v0
	s_delay_alu instid0(VALU_DEP_1) | instskip(SKIP_1) | instid1(VALU_DEP_1)
	v_cndmask_b32_e64 v124, 0, v124, s0
	v_cmp_lt_i32_e64 s0, v43, v0
	v_cndmask_b32_e64 v125, 0, v125, s0
	v_cmp_lt_i32_e64 s0, v45, v0
	s_delay_alu instid0(VALU_DEP_1) | instskip(SKIP_1) | instid1(VALU_DEP_1)
	v_cndmask_b32_e64 v122, 0, v122, s0
	v_cmp_lt_i32_e64 s0, v44, v0
	v_cndmask_b32_e64 v123, 0, v123, s0
.LBB226_1678:                           ;   in Loop: Header=BB226_998 Depth=1
	s_wait_xcnt 0x0
	s_or_b32 exec_lo, exec_lo, s3
	flat_load_b32 v22, v[68:69] offset:2560
	v_mov_b64_e32 v[0:1], 0
	v_mov_b64_e32 v[10:11], 0
	s_mov_b32 s3, exec_lo
	s_wait_loadcnt_dscnt 0x0
	v_and_b32_e32 v23, 0xff, v22
	s_wait_xcnt 0x0
	s_delay_alu instid0(VALU_DEP_1)
	v_cmpx_ne_u16_e32 0, v23
	s_cbranch_execz .LBB226_1686
; %bb.1679:                             ;   in Loop: Header=BB226_998 Depth=1
	v_mov_b64_e32 v[10:11], 0x80000000
	s_mov_b32 s8, exec_lo
	v_cmpx_ne_u16_e32 0x80, v23
	s_cbranch_execz .LBB226_1685
; %bb.1680:                             ;   in Loop: Header=BB226_998 Depth=1
	v_mov_b64_e32 v[10:11], 0x7f800001
	v_and_b32_e32 v23, 0x7f, v22
	s_mov_b32 s9, exec_lo
	s_delay_alu instid0(VALU_DEP_1)
	v_cmpx_ne_u32_e32 0x7f, v23
	s_cbranch_execz .LBB226_1684
; %bb.1681:                             ;   in Loop: Header=BB226_998 Depth=1
	v_dual_lshrrev_b32 v10, 3, v23 :: v_dual_bitop2_b32 v40, 7, v22 bitop3:0x40
	s_mov_b32 s16, exec_lo
	v_cmpx_gt_u32_e32 8, v23
; %bb.1682:                             ;   in Loop: Header=BB226_998 Depth=1
	s_delay_alu instid0(VALU_DEP_2) | instskip(NEXT) | instid1(VALU_DEP_1)
	v_clz_i32_u32_e32 v10, v40
	v_min_u32_e32 v10, 32, v10
	s_delay_alu instid0(VALU_DEP_1) | instskip(NEXT) | instid1(VALU_DEP_1)
	v_subrev_nc_u32_e32 v11, 28, v10
	v_lshlrev_b64_e32 v[52:53], v11, v[40:41]
	s_delay_alu instid0(VALU_DEP_1)
	v_dual_sub_nc_u32 v10, 29, v10 :: v_dual_bitop2_b32 v40, 7, v52 bitop3:0x40
; %bb.1683:                             ;   in Loop: Header=BB226_998 Depth=1
	s_or_b32 exec_lo, exec_lo, s16
	s_delay_alu instid0(VALU_DEP_1) | instskip(NEXT) | instid1(VALU_DEP_2)
	v_dual_lshlrev_b32 v11, 24, v22 :: v_dual_lshlrev_b32 v20, 20, v40
	v_lshl_add_u32 v10, v10, 23, 0x3c000000
	s_delay_alu instid0(VALU_DEP_2) | instskip(NEXT) | instid1(VALU_DEP_1)
	v_and_b32_e32 v11, 0x80000000, v11
	v_or3_b32 v40, v20, v11, v10
	s_delay_alu instid0(VALU_DEP_1)
	v_mov_b64_e32 v[10:11], v[40:41]
.LBB226_1684:                           ;   in Loop: Header=BB226_998 Depth=1
	s_or_b32 exec_lo, exec_lo, s9
.LBB226_1685:                           ;   in Loop: Header=BB226_998 Depth=1
	s_delay_alu instid0(SALU_CYCLE_1)
	s_or_b32 exec_lo, exec_lo, s8
.LBB226_1686:                           ;   in Loop: Header=BB226_998 Depth=1
	s_delay_alu instid0(SALU_CYCLE_1) | instskip(SKIP_2) | instid1(VALU_DEP_1)
	s_or_b32 exec_lo, exec_lo, s3
	v_lshrrev_b16 v23, 8, v22
	s_mov_b32 s3, exec_lo
	v_cmpx_ne_u16_e32 0, v23
	s_cbranch_execz .LBB226_1694
; %bb.1687:                             ;   in Loop: Header=BB226_998 Depth=1
	v_mov_b64_e32 v[0:1], 0x8000000000000000
	s_mov_b32 s8, exec_lo
	v_cmpx_ne_u16_e32 0x80, v23
	s_cbranch_execz .LBB226_1693
; %bb.1688:                             ;   in Loop: Header=BB226_998 Depth=1
	v_and_b32_e32 v52, 0xffff, v23
	v_mov_b64_e32 v[0:1], 0x7f80000100000000
	s_mov_b32 s9, exec_lo
	s_delay_alu instid0(VALU_DEP_2) | instskip(NEXT) | instid1(VALU_DEP_1)
	v_and_b32_e32 v23, 0x7f, v52
	v_cmpx_ne_u32_e32 0x7f, v23
	s_cbranch_execz .LBB226_1692
; %bb.1689:                             ;   in Loop: Header=BB226_998 Depth=1
	v_dual_lshrrev_b32 v0, 3, v23 :: v_dual_bitop2_b32 v40, 7, v52 bitop3:0x40
	s_mov_b32 s16, exec_lo
	v_cmpx_gt_u32_e32 8, v23
; %bb.1690:                             ;   in Loop: Header=BB226_998 Depth=1
	s_delay_alu instid0(VALU_DEP_2) | instskip(NEXT) | instid1(VALU_DEP_1)
	v_clz_i32_u32_e32 v0, v40
	v_min_u32_e32 v0, 32, v0
	s_delay_alu instid0(VALU_DEP_1) | instskip(SKIP_1) | instid1(VALU_DEP_2)
	v_subrev_nc_u32_e32 v1, 28, v0
	v_sub_nc_u32_e32 v0, 29, v0
	v_lshlrev_b64_e32 v[52:53], v1, v[40:41]
	s_delay_alu instid0(VALU_DEP_1)
	v_and_b32_e32 v40, 7, v52
; %bb.1691:                             ;   in Loop: Header=BB226_998 Depth=1
	s_or_b32 exec_lo, exec_lo, s16
	s_delay_alu instid0(VALU_DEP_1) | instskip(SKIP_1) | instid1(VALU_DEP_2)
	v_dual_lshlrev_b32 v1, 16, v22 :: v_dual_lshlrev_b32 v20, 20, v40
	v_lshl_add_u32 v0, v0, 23, 0x3c000000
	v_and_b32_e32 v1, 0x80000000, v1
	s_delay_alu instid0(VALU_DEP_1)
	v_or3_b32 v1, v20, v1, v0
	v_mov_b32_e32 v0, v41
.LBB226_1692:                           ;   in Loop: Header=BB226_998 Depth=1
	s_or_b32 exec_lo, exec_lo, s9
.LBB226_1693:                           ;   in Loop: Header=BB226_998 Depth=1
	s_delay_alu instid0(SALU_CYCLE_1)
	s_or_b32 exec_lo, exec_lo, s8
.LBB226_1694:                           ;   in Loop: Header=BB226_998 Depth=1
	s_delay_alu instid0(SALU_CYCLE_1) | instskip(SKIP_4) | instid1(VALU_DEP_3)
	s_or_b32 exec_lo, exec_lo, s3
	v_lshrrev_b32_e32 v23, 16, v22
	v_mov_b64_e32 v[52:53], 0
	v_mov_b64_e32 v[54:55], 0
	s_mov_b32 s3, exec_lo
	v_and_b32_e32 v64, 0xff, v23
	s_delay_alu instid0(VALU_DEP_1)
	v_cmpx_ne_u16_e32 0, v64
	s_cbranch_execz .LBB226_1702
; %bb.1695:                             ;   in Loop: Header=BB226_998 Depth=1
	v_mov_b64_e32 v[54:55], 0x80000000
	s_mov_b32 s8, exec_lo
	v_cmpx_ne_u16_e32 0x80, v64
	s_cbranch_execz .LBB226_1701
; %bb.1696:                             ;   in Loop: Header=BB226_998 Depth=1
	v_mov_b64_e32 v[54:55], 0x7f800001
	v_bfe_u32 v64, v22, 16, 7
	s_mov_b32 s9, exec_lo
	s_delay_alu instid0(VALU_DEP_1)
	v_cmpx_ne_u32_e32 0x7f, v64
	s_cbranch_execz .LBB226_1700
; %bb.1697:                             ;   in Loop: Header=BB226_998 Depth=1
	v_dual_lshrrev_b32 v54, 3, v64 :: v_dual_bitop2_b32 v40, 7, v23 bitop3:0x40
	s_mov_b32 s16, exec_lo
	v_cmpx_gt_u32_e32 8, v64
; %bb.1698:                             ;   in Loop: Header=BB226_998 Depth=1
	s_delay_alu instid0(VALU_DEP_2) | instskip(NEXT) | instid1(VALU_DEP_1)
	v_clz_i32_u32_e32 v20, v40
	v_min_u32_e32 v20, 32, v20
	s_delay_alu instid0(VALU_DEP_1) | instskip(NEXT) | instid1(VALU_DEP_1)
	v_subrev_nc_u32_e32 v54, 28, v20
	v_lshlrev_b64_e32 v[64:65], v54, v[40:41]
	v_sub_nc_u32_e32 v54, 29, v20
	s_delay_alu instid0(VALU_DEP_2)
	v_and_b32_e32 v40, 7, v64
; %bb.1699:                             ;   in Loop: Header=BB226_998 Depth=1
	s_or_b32 exec_lo, exec_lo, s16
	s_delay_alu instid0(VALU_DEP_1) | instskip(NEXT) | instid1(VALU_DEP_3)
	v_dual_lshlrev_b32 v20, 24, v23 :: v_dual_lshlrev_b32 v23, 20, v40
	v_lshl_add_u32 v54, v54, 23, 0x3c000000
	s_delay_alu instid0(VALU_DEP_2) | instskip(NEXT) | instid1(VALU_DEP_1)
	v_and_b32_e32 v20, 0x80000000, v20
	v_or3_b32 v40, v23, v20, v54
	s_delay_alu instid0(VALU_DEP_1)
	v_mov_b64_e32 v[54:55], v[40:41]
.LBB226_1700:                           ;   in Loop: Header=BB226_998 Depth=1
	s_or_b32 exec_lo, exec_lo, s9
.LBB226_1701:                           ;   in Loop: Header=BB226_998 Depth=1
	s_delay_alu instid0(SALU_CYCLE_1)
	s_or_b32 exec_lo, exec_lo, s8
.LBB226_1702:                           ;   in Loop: Header=BB226_998 Depth=1
	s_delay_alu instid0(SALU_CYCLE_1) | instskip(NEXT) | instid1(SALU_CYCLE_1)
	s_or_b32 exec_lo, exec_lo, s3
	s_mov_b32 s3, exec_lo
	v_cmpx_lt_u32_e32 0xffffff, v22
	s_cbranch_execz .LBB226_1710
; %bb.1703:                             ;   in Loop: Header=BB226_998 Depth=1
	v_mov_b64_e32 v[52:53], 0x8000000000000000
	v_lshrrev_b32_e32 v23, 24, v22
	s_mov_b32 s8, exec_lo
	s_delay_alu instid0(VALU_DEP_1)
	v_cmpx_ne_u32_e32 0x80, v23
	s_cbranch_execz .LBB226_1709
; %bb.1704:                             ;   in Loop: Header=BB226_998 Depth=1
	v_mov_b64_e32 v[52:53], 0x7f80000100000000
	v_bfe_u32 v64, v22, 24, 7
	s_mov_b32 s9, exec_lo
	s_delay_alu instid0(VALU_DEP_1)
	v_cmpx_ne_u32_e32 0x7f, v64
	s_cbranch_execz .LBB226_1708
; %bb.1705:                             ;   in Loop: Header=BB226_998 Depth=1
	v_dual_lshrrev_b32 v22, 3, v64 :: v_dual_bitop2_b32 v40, 7, v23 bitop3:0x40
	s_mov_b32 s16, exec_lo
	v_cmpx_gt_u32_e32 8, v64
; %bb.1706:                             ;   in Loop: Header=BB226_998 Depth=1
	s_delay_alu instid0(VALU_DEP_2) | instskip(NEXT) | instid1(VALU_DEP_1)
	v_clz_i32_u32_e32 v20, v40
	v_min_u32_e32 v20, 32, v20
	s_delay_alu instid0(VALU_DEP_1) | instskip(NEXT) | instid1(VALU_DEP_1)
	v_subrev_nc_u32_e32 v22, 28, v20
	v_lshlrev_b64_e32 v[52:53], v22, v[40:41]
	v_sub_nc_u32_e32 v22, 29, v20
	s_delay_alu instid0(VALU_DEP_2)
	v_and_b32_e32 v40, 7, v52
; %bb.1707:                             ;   in Loop: Header=BB226_998 Depth=1
	s_or_b32 exec_lo, exec_lo, s16
	s_delay_alu instid0(VALU_DEP_1) | instskip(NEXT) | instid1(VALU_DEP_3)
	v_dual_lshlrev_b32 v20, 24, v23 :: v_dual_lshlrev_b32 v23, 20, v40
	v_lshl_add_u32 v22, v22, 23, 0x3c000000
	v_mov_b32_e32 v52, v41
	s_delay_alu instid0(VALU_DEP_3) | instskip(NEXT) | instid1(VALU_DEP_1)
	v_and_b32_e32 v20, 0x80000000, v20
	v_or3_b32 v53, v23, v20, v22
.LBB226_1708:                           ;   in Loop: Header=BB226_998 Depth=1
	s_or_b32 exec_lo, exec_lo, s9
.LBB226_1709:                           ;   in Loop: Header=BB226_998 Depth=1
	s_delay_alu instid0(SALU_CYCLE_1)
	s_or_b32 exec_lo, exec_lo, s8
.LBB226_1710:                           ;   in Loop: Header=BB226_998 Depth=1
	s_delay_alu instid0(SALU_CYCLE_1) | instskip(SKIP_4) | instid1(VALU_DEP_3)
	s_or_b32 exec_lo, exec_lo, s3
	v_or_b32_e32 v1, v1, v11
	v_or_b32_e32 v0, v0, v10
	;; [unrolled: 1-line block ×4, first 2 shown]
	v_pk_mul_f32 v[52:53], v[50:51], v[0:1]
	s_delay_alu instid0(VALU_DEP_2)
	v_pk_mul_f32 v[126:127], v[50:51], v[10:11]
	s_and_saveexec_b32 s3, vcc_lo
	s_cbranch_execz .LBB226_1712
; %bb.1711:                             ;   in Loop: Header=BB226_998 Depth=1
	scratch_load_b64 v[0:1], off, s32 offset:200 ; 8-byte Folded Reload
	s_wait_loadcnt 0x0
	v_cmp_lt_i32_e64 s0, v21, v0
	s_delay_alu instid0(VALU_DEP_1) | instskip(SKIP_1) | instid1(VALU_DEP_1)
	v_cndmask_b32_e64 v52, 0, v52, s0
	v_cmp_lt_i32_e64 s0, v43, v0
	v_cndmask_b32_e64 v53, 0, v53, s0
	v_cmp_lt_i32_e64 s0, v45, v0
	s_delay_alu instid0(VALU_DEP_1) | instskip(SKIP_1) | instid1(VALU_DEP_1)
	v_cndmask_b32_e64 v126, 0, v126, s0
	v_cmp_lt_i32_e64 s0, v44, v0
	v_cndmask_b32_e64 v127, 0, v127, s0
.LBB226_1712:                           ;   in Loop: Header=BB226_998 Depth=1
	s_wait_xcnt 0x0
	s_or_b32 exec_lo, exec_lo, s3
	flat_load_b32 v22, v[68:69] offset:2688
	v_mov_b64_e32 v[0:1], 0
	v_mov_b64_e32 v[10:11], 0
	s_mov_b32 s3, exec_lo
	s_wait_loadcnt_dscnt 0x0
	v_and_b32_e32 v23, 0xff, v22
	s_wait_xcnt 0x0
	s_delay_alu instid0(VALU_DEP_1)
	v_cmpx_ne_u16_e32 0, v23
	s_cbranch_execz .LBB226_1720
; %bb.1713:                             ;   in Loop: Header=BB226_998 Depth=1
	v_mov_b64_e32 v[10:11], 0x80000000
	s_mov_b32 s8, exec_lo
	v_cmpx_ne_u16_e32 0x80, v23
	s_cbranch_execz .LBB226_1719
; %bb.1714:                             ;   in Loop: Header=BB226_998 Depth=1
	v_mov_b64_e32 v[10:11], 0x7f800001
	v_and_b32_e32 v23, 0x7f, v22
	s_mov_b32 s9, exec_lo
	s_delay_alu instid0(VALU_DEP_1)
	v_cmpx_ne_u32_e32 0x7f, v23
	s_cbranch_execz .LBB226_1718
; %bb.1715:                             ;   in Loop: Header=BB226_998 Depth=1
	v_dual_lshrrev_b32 v10, 3, v23 :: v_dual_bitop2_b32 v40, 7, v22 bitop3:0x40
	s_mov_b32 s16, exec_lo
	v_cmpx_gt_u32_e32 8, v23
; %bb.1716:                             ;   in Loop: Header=BB226_998 Depth=1
	s_delay_alu instid0(VALU_DEP_2) | instskip(NEXT) | instid1(VALU_DEP_1)
	v_clz_i32_u32_e32 v10, v40
	v_min_u32_e32 v10, 32, v10
	s_delay_alu instid0(VALU_DEP_1) | instskip(SKIP_1) | instid1(VALU_DEP_2)
	v_subrev_nc_u32_e32 v11, 28, v10
	v_sub_nc_u32_e32 v10, 29, v10
	v_lshlrev_b64_e32 v[54:55], v11, v[40:41]
	s_delay_alu instid0(VALU_DEP_1)
	v_and_b32_e32 v40, 7, v54
; %bb.1717:                             ;   in Loop: Header=BB226_998 Depth=1
	s_or_b32 exec_lo, exec_lo, s16
	s_delay_alu instid0(VALU_DEP_1) | instskip(SKIP_1) | instid1(VALU_DEP_2)
	v_dual_lshlrev_b32 v11, 24, v22 :: v_dual_lshlrev_b32 v20, 20, v40
	v_lshl_add_u32 v10, v10, 23, 0x3c000000
	v_and_b32_e32 v11, 0x80000000, v11
	s_delay_alu instid0(VALU_DEP_1) | instskip(NEXT) | instid1(VALU_DEP_1)
	v_or3_b32 v40, v20, v11, v10
	v_mov_b64_e32 v[10:11], v[40:41]
.LBB226_1718:                           ;   in Loop: Header=BB226_998 Depth=1
	s_or_b32 exec_lo, exec_lo, s9
.LBB226_1719:                           ;   in Loop: Header=BB226_998 Depth=1
	s_delay_alu instid0(SALU_CYCLE_1)
	s_or_b32 exec_lo, exec_lo, s8
.LBB226_1720:                           ;   in Loop: Header=BB226_998 Depth=1
	s_delay_alu instid0(SALU_CYCLE_1) | instskip(SKIP_2) | instid1(VALU_DEP_1)
	s_or_b32 exec_lo, exec_lo, s3
	v_lshrrev_b16 v23, 8, v22
	s_mov_b32 s3, exec_lo
	v_cmpx_ne_u16_e32 0, v23
	s_cbranch_execz .LBB226_1728
; %bb.1721:                             ;   in Loop: Header=BB226_998 Depth=1
	v_mov_b64_e32 v[0:1], 0x8000000000000000
	s_mov_b32 s8, exec_lo
	v_cmpx_ne_u16_e32 0x80, v23
	s_cbranch_execz .LBB226_1727
; %bb.1722:                             ;   in Loop: Header=BB226_998 Depth=1
	v_and_b32_e32 v54, 0xffff, v23
	v_mov_b64_e32 v[0:1], 0x7f80000100000000
	s_mov_b32 s9, exec_lo
	s_delay_alu instid0(VALU_DEP_2) | instskip(NEXT) | instid1(VALU_DEP_1)
	v_and_b32_e32 v23, 0x7f, v54
	v_cmpx_ne_u32_e32 0x7f, v23
	s_cbranch_execz .LBB226_1726
; %bb.1723:                             ;   in Loop: Header=BB226_998 Depth=1
	v_dual_lshrrev_b32 v0, 3, v23 :: v_dual_bitop2_b32 v40, 7, v54 bitop3:0x40
	s_mov_b32 s16, exec_lo
	v_cmpx_gt_u32_e32 8, v23
; %bb.1724:                             ;   in Loop: Header=BB226_998 Depth=1
	s_delay_alu instid0(VALU_DEP_2) | instskip(NEXT) | instid1(VALU_DEP_1)
	v_clz_i32_u32_e32 v0, v40
	v_min_u32_e32 v0, 32, v0
	s_delay_alu instid0(VALU_DEP_1) | instskip(NEXT) | instid1(VALU_DEP_1)
	v_subrev_nc_u32_e32 v1, 28, v0
	v_lshlrev_b64_e32 v[54:55], v1, v[40:41]
	s_delay_alu instid0(VALU_DEP_1)
	v_dual_sub_nc_u32 v0, 29, v0 :: v_dual_bitop2_b32 v40, 7, v54 bitop3:0x40
; %bb.1725:                             ;   in Loop: Header=BB226_998 Depth=1
	s_or_b32 exec_lo, exec_lo, s16
	s_delay_alu instid0(VALU_DEP_1) | instskip(NEXT) | instid1(VALU_DEP_2)
	v_dual_lshlrev_b32 v1, 16, v22 :: v_dual_lshlrev_b32 v20, 20, v40
	v_lshl_add_u32 v0, v0, 23, 0x3c000000
	s_delay_alu instid0(VALU_DEP_2) | instskip(NEXT) | instid1(VALU_DEP_1)
	v_and_b32_e32 v1, 0x80000000, v1
	v_or3_b32 v1, v20, v1, v0
	v_mov_b32_e32 v0, v41
.LBB226_1726:                           ;   in Loop: Header=BB226_998 Depth=1
	s_or_b32 exec_lo, exec_lo, s9
.LBB226_1727:                           ;   in Loop: Header=BB226_998 Depth=1
	s_delay_alu instid0(SALU_CYCLE_1)
	s_or_b32 exec_lo, exec_lo, s8
.LBB226_1728:                           ;   in Loop: Header=BB226_998 Depth=1
	s_delay_alu instid0(SALU_CYCLE_1) | instskip(SKIP_4) | instid1(VALU_DEP_3)
	s_or_b32 exec_lo, exec_lo, s3
	v_lshrrev_b32_e32 v23, 16, v22
	v_mov_b64_e32 v[54:55], 0
	v_mov_b64_e32 v[64:65], 0
	s_mov_b32 s3, exec_lo
	v_and_b32_e32 v66, 0xff, v23
	s_delay_alu instid0(VALU_DEP_1)
	v_cmpx_ne_u16_e32 0, v66
	s_cbranch_execz .LBB226_1736
; %bb.1729:                             ;   in Loop: Header=BB226_998 Depth=1
	v_mov_b64_e32 v[64:65], 0x80000000
	s_mov_b32 s8, exec_lo
	v_cmpx_ne_u16_e32 0x80, v66
	s_cbranch_execz .LBB226_1735
; %bb.1730:                             ;   in Loop: Header=BB226_998 Depth=1
	v_mov_b64_e32 v[64:65], 0x7f800001
	v_bfe_u32 v66, v22, 16, 7
	s_mov_b32 s9, exec_lo
	s_delay_alu instid0(VALU_DEP_1)
	v_cmpx_ne_u32_e32 0x7f, v66
	s_cbranch_execz .LBB226_1734
; %bb.1731:                             ;   in Loop: Header=BB226_998 Depth=1
	v_dual_lshrrev_b32 v64, 3, v66 :: v_dual_bitop2_b32 v40, 7, v23 bitop3:0x40
	s_mov_b32 s16, exec_lo
	v_cmpx_gt_u32_e32 8, v66
; %bb.1732:                             ;   in Loop: Header=BB226_998 Depth=1
	s_delay_alu instid0(VALU_DEP_2) | instskip(NEXT) | instid1(VALU_DEP_1)
	v_clz_i32_u32_e32 v20, v40
	v_min_u32_e32 v20, 32, v20
	s_delay_alu instid0(VALU_DEP_1) | instskip(NEXT) | instid1(VALU_DEP_1)
	v_subrev_nc_u32_e32 v64, 28, v20
	v_lshlrev_b64_e32 v[66:67], v64, v[40:41]
	s_delay_alu instid0(VALU_DEP_1)
	v_dual_sub_nc_u32 v64, 29, v20 :: v_dual_bitop2_b32 v40, 7, v66 bitop3:0x40
; %bb.1733:                             ;   in Loop: Header=BB226_998 Depth=1
	s_or_b32 exec_lo, exec_lo, s16
	s_delay_alu instid0(VALU_DEP_1) | instskip(NEXT) | instid1(VALU_DEP_2)
	v_dual_lshlrev_b32 v20, 24, v23 :: v_dual_lshlrev_b32 v23, 20, v40
	v_lshl_add_u32 v64, v64, 23, 0x3c000000
	s_delay_alu instid0(VALU_DEP_2) | instskip(NEXT) | instid1(VALU_DEP_1)
	v_and_b32_e32 v20, 0x80000000, v20
	v_or3_b32 v40, v23, v20, v64
	s_delay_alu instid0(VALU_DEP_1)
	v_mov_b64_e32 v[64:65], v[40:41]
.LBB226_1734:                           ;   in Loop: Header=BB226_998 Depth=1
	s_or_b32 exec_lo, exec_lo, s9
.LBB226_1735:                           ;   in Loop: Header=BB226_998 Depth=1
	s_delay_alu instid0(SALU_CYCLE_1)
	s_or_b32 exec_lo, exec_lo, s8
.LBB226_1736:                           ;   in Loop: Header=BB226_998 Depth=1
	s_delay_alu instid0(SALU_CYCLE_1) | instskip(NEXT) | instid1(SALU_CYCLE_1)
	s_or_b32 exec_lo, exec_lo, s3
	s_mov_b32 s3, exec_lo
	v_cmpx_lt_u32_e32 0xffffff, v22
	s_cbranch_execz .LBB226_1744
; %bb.1737:                             ;   in Loop: Header=BB226_998 Depth=1
	v_mov_b64_e32 v[54:55], 0x8000000000000000
	v_lshrrev_b32_e32 v23, 24, v22
	s_mov_b32 s8, exec_lo
	s_delay_alu instid0(VALU_DEP_1)
	v_cmpx_ne_u32_e32 0x80, v23
	s_cbranch_execz .LBB226_1743
; %bb.1738:                             ;   in Loop: Header=BB226_998 Depth=1
	v_mov_b64_e32 v[54:55], 0x7f80000100000000
	v_bfe_u32 v66, v22, 24, 7
	s_mov_b32 s9, exec_lo
	s_delay_alu instid0(VALU_DEP_1)
	v_cmpx_ne_u32_e32 0x7f, v66
	s_cbranch_execz .LBB226_1742
; %bb.1739:                             ;   in Loop: Header=BB226_998 Depth=1
	v_dual_lshrrev_b32 v22, 3, v66 :: v_dual_bitop2_b32 v40, 7, v23 bitop3:0x40
	s_mov_b32 s16, exec_lo
	v_cmpx_gt_u32_e32 8, v66
; %bb.1740:                             ;   in Loop: Header=BB226_998 Depth=1
	s_delay_alu instid0(VALU_DEP_2) | instskip(NEXT) | instid1(VALU_DEP_1)
	v_clz_i32_u32_e32 v20, v40
	v_min_u32_e32 v20, 32, v20
	s_delay_alu instid0(VALU_DEP_1) | instskip(NEXT) | instid1(VALU_DEP_1)
	v_subrev_nc_u32_e32 v22, 28, v20
	v_lshlrev_b64_e32 v[54:55], v22, v[40:41]
	s_delay_alu instid0(VALU_DEP_1)
	v_dual_sub_nc_u32 v22, 29, v20 :: v_dual_bitop2_b32 v40, 7, v54 bitop3:0x40
; %bb.1741:                             ;   in Loop: Header=BB226_998 Depth=1
	s_or_b32 exec_lo, exec_lo, s16
	s_delay_alu instid0(VALU_DEP_1) | instskip(NEXT) | instid1(VALU_DEP_2)
	v_dual_lshlrev_b32 v20, 24, v23 :: v_dual_lshlrev_b32 v23, 20, v40
	v_lshl_add_u32 v22, v22, 23, 0x3c000000
	v_mov_b32_e32 v54, v41
	s_delay_alu instid0(VALU_DEP_3) | instskip(NEXT) | instid1(VALU_DEP_1)
	v_and_b32_e32 v20, 0x80000000, v20
	v_or3_b32 v55, v23, v20, v22
.LBB226_1742:                           ;   in Loop: Header=BB226_998 Depth=1
	s_or_b32 exec_lo, exec_lo, s9
.LBB226_1743:                           ;   in Loop: Header=BB226_998 Depth=1
	s_delay_alu instid0(SALU_CYCLE_1)
	s_or_b32 exec_lo, exec_lo, s8
.LBB226_1744:                           ;   in Loop: Header=BB226_998 Depth=1
	s_delay_alu instid0(SALU_CYCLE_1) | instskip(SKIP_4) | instid1(VALU_DEP_3)
	s_or_b32 exec_lo, exec_lo, s3
	v_or_b32_e32 v1, v1, v11
	v_or_b32_e32 v0, v0, v10
	;; [unrolled: 1-line block ×4, first 2 shown]
	v_pk_mul_f32 v[54:55], v[50:51], v[0:1]
	s_delay_alu instid0(VALU_DEP_2)
	v_pk_mul_f32 v[0:1], v[50:51], v[10:11]
	s_and_saveexec_b32 s3, vcc_lo
	s_cbranch_execz .LBB226_1746
; %bb.1745:                             ;   in Loop: Header=BB226_998 Depth=1
	scratch_load_b64 v[10:11], off, s32 offset:200 ; 8-byte Folded Reload
	s_wait_loadcnt 0x0
	v_cmp_lt_i32_e64 s0, v21, v10
	s_delay_alu instid0(VALU_DEP_1) | instskip(SKIP_1) | instid1(VALU_DEP_1)
	v_cndmask_b32_e64 v54, 0, v54, s0
	v_cmp_lt_i32_e64 s0, v43, v10
	v_cndmask_b32_e64 v55, 0, v55, s0
	v_cmp_lt_i32_e64 s0, v45, v10
	s_delay_alu instid0(VALU_DEP_1) | instskip(SKIP_1) | instid1(VALU_DEP_1)
	v_cndmask_b32_e64 v0, 0, v0, s0
	v_cmp_lt_i32_e64 s0, v44, v10
	v_cndmask_b32_e64 v1, 0, v1, s0
.LBB226_1746:                           ;   in Loop: Header=BB226_998 Depth=1
	s_wait_xcnt 0x0
	s_or_b32 exec_lo, exec_lo, s3
	flat_load_b32 v22, v[68:69] offset:2816
	v_mov_b64_e32 v[10:11], 0
	v_mov_b64_e32 v[64:65], 0
	s_mov_b32 s3, exec_lo
	s_wait_loadcnt_dscnt 0x0
	v_and_b32_e32 v23, 0xff, v22
	s_wait_xcnt 0x0
	s_delay_alu instid0(VALU_DEP_1)
	v_cmpx_ne_u16_e32 0, v23
	s_cbranch_execz .LBB226_1754
; %bb.1747:                             ;   in Loop: Header=BB226_998 Depth=1
	v_mov_b64_e32 v[64:65], 0x80000000
	s_mov_b32 s8, exec_lo
	v_cmpx_ne_u16_e32 0x80, v23
	s_cbranch_execz .LBB226_1753
; %bb.1748:                             ;   in Loop: Header=BB226_998 Depth=1
	v_mov_b64_e32 v[64:65], 0x7f800001
	v_and_b32_e32 v66, 0x7f, v22
	s_mov_b32 s9, exec_lo
	s_delay_alu instid0(VALU_DEP_1)
	v_cmpx_ne_u32_e32 0x7f, v66
	s_cbranch_execz .LBB226_1752
; %bb.1749:                             ;   in Loop: Header=BB226_998 Depth=1
	v_and_b32_e32 v40, 7, v22
	v_lshrrev_b32_e32 v23, 3, v66
	s_mov_b32 s16, exec_lo
	v_cmpx_gt_u32_e32 8, v66
; %bb.1750:                             ;   in Loop: Header=BB226_998 Depth=1
	s_delay_alu instid0(VALU_DEP_3) | instskip(NEXT) | instid1(VALU_DEP_1)
	v_clz_i32_u32_e32 v20, v40
	v_min_u32_e32 v20, 32, v20
	s_delay_alu instid0(VALU_DEP_1) | instskip(NEXT) | instid1(VALU_DEP_1)
	v_subrev_nc_u32_e32 v23, 28, v20
	v_lshlrev_b64_e32 v[64:65], v23, v[40:41]
	v_sub_nc_u32_e32 v23, 29, v20
	s_delay_alu instid0(VALU_DEP_2)
	v_and_b32_e32 v40, 7, v64
; %bb.1751:                             ;   in Loop: Header=BB226_998 Depth=1
	s_or_b32 exec_lo, exec_lo, s16
	s_delay_alu instid0(VALU_DEP_1) | instskip(NEXT) | instid1(VALU_DEP_3)
	v_dual_lshlrev_b32 v20, 24, v22 :: v_dual_lshlrev_b32 v64, 20, v40
	v_lshl_add_u32 v23, v23, 23, 0x3c000000
	s_delay_alu instid0(VALU_DEP_2) | instskip(NEXT) | instid1(VALU_DEP_1)
	v_and_b32_e32 v20, 0x80000000, v20
	v_or3_b32 v40, v64, v20, v23
	s_delay_alu instid0(VALU_DEP_1)
	v_mov_b64_e32 v[64:65], v[40:41]
.LBB226_1752:                           ;   in Loop: Header=BB226_998 Depth=1
	s_or_b32 exec_lo, exec_lo, s9
.LBB226_1753:                           ;   in Loop: Header=BB226_998 Depth=1
	s_delay_alu instid0(SALU_CYCLE_1)
	s_or_b32 exec_lo, exec_lo, s8
.LBB226_1754:                           ;   in Loop: Header=BB226_998 Depth=1
	s_delay_alu instid0(SALU_CYCLE_1) | instskip(SKIP_2) | instid1(VALU_DEP_1)
	s_or_b32 exec_lo, exec_lo, s3
	v_lshrrev_b16 v23, 8, v22
	s_mov_b32 s3, exec_lo
	v_cmpx_ne_u16_e32 0, v23
	s_cbranch_execz .LBB226_1762
; %bb.1755:                             ;   in Loop: Header=BB226_998 Depth=1
	v_mov_b64_e32 v[10:11], 0x8000000000000000
	s_mov_b32 s8, exec_lo
	v_cmpx_ne_u16_e32 0x80, v23
	s_cbranch_execz .LBB226_1761
; %bb.1756:                             ;   in Loop: Header=BB226_998 Depth=1
	v_and_b32_e32 v66, 0xffff, v23
	v_mov_b64_e32 v[10:11], 0x7f80000100000000
	s_mov_b32 s9, exec_lo
	s_delay_alu instid0(VALU_DEP_2) | instskip(NEXT) | instid1(VALU_DEP_1)
	v_and_b32_e32 v23, 0x7f, v66
	v_cmpx_ne_u32_e32 0x7f, v23
	s_cbranch_execz .LBB226_1760
; %bb.1757:                             ;   in Loop: Header=BB226_998 Depth=1
	v_dual_lshrrev_b32 v10, 3, v23 :: v_dual_bitop2_b32 v40, 7, v66 bitop3:0x40
	s_mov_b32 s16, exec_lo
	v_cmpx_gt_u32_e32 8, v23
; %bb.1758:                             ;   in Loop: Header=BB226_998 Depth=1
	s_delay_alu instid0(VALU_DEP_2) | instskip(NEXT) | instid1(VALU_DEP_1)
	v_clz_i32_u32_e32 v10, v40
	v_min_u32_e32 v10, 32, v10
	s_delay_alu instid0(VALU_DEP_1) | instskip(SKIP_1) | instid1(VALU_DEP_2)
	v_subrev_nc_u32_e32 v11, 28, v10
	v_sub_nc_u32_e32 v10, 29, v10
	v_lshlrev_b64_e32 v[66:67], v11, v[40:41]
	s_delay_alu instid0(VALU_DEP_1)
	v_and_b32_e32 v40, 7, v66
; %bb.1759:                             ;   in Loop: Header=BB226_998 Depth=1
	s_or_b32 exec_lo, exec_lo, s16
	s_delay_alu instid0(VALU_DEP_1) | instskip(SKIP_1) | instid1(VALU_DEP_2)
	v_dual_lshlrev_b32 v11, 16, v22 :: v_dual_lshlrev_b32 v20, 20, v40
	v_lshl_add_u32 v10, v10, 23, 0x3c000000
	v_and_b32_e32 v11, 0x80000000, v11
	s_delay_alu instid0(VALU_DEP_1)
	v_or3_b32 v11, v20, v11, v10
	v_mov_b32_e32 v10, v41
.LBB226_1760:                           ;   in Loop: Header=BB226_998 Depth=1
	s_or_b32 exec_lo, exec_lo, s9
.LBB226_1761:                           ;   in Loop: Header=BB226_998 Depth=1
	s_delay_alu instid0(SALU_CYCLE_1)
	s_or_b32 exec_lo, exec_lo, s8
.LBB226_1762:                           ;   in Loop: Header=BB226_998 Depth=1
	s_delay_alu instid0(SALU_CYCLE_1) | instskip(SKIP_4) | instid1(VALU_DEP_3)
	s_or_b32 exec_lo, exec_lo, s3
	v_lshrrev_b32_e32 v23, 16, v22
	v_mov_b64_e32 v[66:67], 0
	v_mov_b64_e32 v[70:71], 0
	s_mov_b32 s3, exec_lo
	v_and_b32_e32 v80, 0xff, v23
	s_delay_alu instid0(VALU_DEP_1)
	v_cmpx_ne_u16_e32 0, v80
	s_cbranch_execz .LBB226_1770
; %bb.1763:                             ;   in Loop: Header=BB226_998 Depth=1
	v_mov_b64_e32 v[70:71], 0x80000000
	s_mov_b32 s8, exec_lo
	v_cmpx_ne_u16_e32 0x80, v80
	s_cbranch_execz .LBB226_1769
; %bb.1764:                             ;   in Loop: Header=BB226_998 Depth=1
	v_mov_b64_e32 v[70:71], 0x7f800001
	v_bfe_u32 v80, v22, 16, 7
	s_mov_b32 s9, exec_lo
	s_delay_alu instid0(VALU_DEP_1)
	v_cmpx_ne_u32_e32 0x7f, v80
	s_cbranch_execz .LBB226_1768
; %bb.1765:                             ;   in Loop: Header=BB226_998 Depth=1
	v_dual_lshrrev_b32 v70, 3, v80 :: v_dual_bitop2_b32 v40, 7, v23 bitop3:0x40
	s_mov_b32 s16, exec_lo
	v_cmpx_gt_u32_e32 8, v80
; %bb.1766:                             ;   in Loop: Header=BB226_998 Depth=1
	s_delay_alu instid0(VALU_DEP_2) | instskip(NEXT) | instid1(VALU_DEP_1)
	v_clz_i32_u32_e32 v20, v40
	v_min_u32_e32 v20, 32, v20
	s_delay_alu instid0(VALU_DEP_1) | instskip(NEXT) | instid1(VALU_DEP_1)
	v_subrev_nc_u32_e32 v70, 28, v20
	v_lshlrev_b64_e32 v[80:81], v70, v[40:41]
	v_sub_nc_u32_e32 v70, 29, v20
	s_delay_alu instid0(VALU_DEP_2)
	v_and_b32_e32 v40, 7, v80
; %bb.1767:                             ;   in Loop: Header=BB226_998 Depth=1
	s_or_b32 exec_lo, exec_lo, s16
	s_delay_alu instid0(VALU_DEP_1) | instskip(NEXT) | instid1(VALU_DEP_3)
	v_dual_lshlrev_b32 v20, 24, v23 :: v_dual_lshlrev_b32 v23, 20, v40
	v_lshl_add_u32 v70, v70, 23, 0x3c000000
	s_delay_alu instid0(VALU_DEP_2) | instskip(NEXT) | instid1(VALU_DEP_1)
	v_and_b32_e32 v20, 0x80000000, v20
	v_or3_b32 v40, v23, v20, v70
	s_delay_alu instid0(VALU_DEP_1)
	v_mov_b64_e32 v[70:71], v[40:41]
.LBB226_1768:                           ;   in Loop: Header=BB226_998 Depth=1
	s_or_b32 exec_lo, exec_lo, s9
.LBB226_1769:                           ;   in Loop: Header=BB226_998 Depth=1
	s_delay_alu instid0(SALU_CYCLE_1)
	s_or_b32 exec_lo, exec_lo, s8
.LBB226_1770:                           ;   in Loop: Header=BB226_998 Depth=1
	s_delay_alu instid0(SALU_CYCLE_1) | instskip(NEXT) | instid1(SALU_CYCLE_1)
	s_or_b32 exec_lo, exec_lo, s3
	s_mov_b32 s3, exec_lo
	v_cmpx_lt_u32_e32 0xffffff, v22
	s_cbranch_execz .LBB226_1778
; %bb.1771:                             ;   in Loop: Header=BB226_998 Depth=1
	v_mov_b64_e32 v[66:67], 0x8000000000000000
	v_lshrrev_b32_e32 v23, 24, v22
	s_mov_b32 s8, exec_lo
	s_delay_alu instid0(VALU_DEP_1)
	v_cmpx_ne_u32_e32 0x80, v23
	s_cbranch_execz .LBB226_1777
; %bb.1772:                             ;   in Loop: Header=BB226_998 Depth=1
	v_mov_b64_e32 v[66:67], 0x7f80000100000000
	v_bfe_u32 v80, v22, 24, 7
	s_mov_b32 s9, exec_lo
	s_delay_alu instid0(VALU_DEP_1)
	v_cmpx_ne_u32_e32 0x7f, v80
	s_cbranch_execz .LBB226_1776
; %bb.1773:                             ;   in Loop: Header=BB226_998 Depth=1
	v_dual_lshrrev_b32 v22, 3, v80 :: v_dual_bitop2_b32 v40, 7, v23 bitop3:0x40
	s_mov_b32 s16, exec_lo
	v_cmpx_gt_u32_e32 8, v80
; %bb.1774:                             ;   in Loop: Header=BB226_998 Depth=1
	s_delay_alu instid0(VALU_DEP_2) | instskip(NEXT) | instid1(VALU_DEP_1)
	v_clz_i32_u32_e32 v20, v40
	v_min_u32_e32 v20, 32, v20
	s_delay_alu instid0(VALU_DEP_1) | instskip(NEXT) | instid1(VALU_DEP_1)
	v_subrev_nc_u32_e32 v22, 28, v20
	v_lshlrev_b64_e32 v[66:67], v22, v[40:41]
	s_delay_alu instid0(VALU_DEP_1)
	v_dual_sub_nc_u32 v22, 29, v20 :: v_dual_bitop2_b32 v40, 7, v66 bitop3:0x40
; %bb.1775:                             ;   in Loop: Header=BB226_998 Depth=1
	s_or_b32 exec_lo, exec_lo, s16
	s_delay_alu instid0(VALU_DEP_1) | instskip(NEXT) | instid1(VALU_DEP_2)
	v_dual_lshlrev_b32 v20, 24, v23 :: v_dual_lshlrev_b32 v23, 20, v40
	v_lshl_add_u32 v22, v22, 23, 0x3c000000
	v_mov_b32_e32 v66, v41
	s_delay_alu instid0(VALU_DEP_3) | instskip(NEXT) | instid1(VALU_DEP_1)
	v_and_b32_e32 v20, 0x80000000, v20
	v_or3_b32 v67, v23, v20, v22
.LBB226_1776:                           ;   in Loop: Header=BB226_998 Depth=1
	s_or_b32 exec_lo, exec_lo, s9
.LBB226_1777:                           ;   in Loop: Header=BB226_998 Depth=1
	s_delay_alu instid0(SALU_CYCLE_1)
	s_or_b32 exec_lo, exec_lo, s8
.LBB226_1778:                           ;   in Loop: Header=BB226_998 Depth=1
	s_delay_alu instid0(SALU_CYCLE_1) | instskip(SKIP_4) | instid1(VALU_DEP_3)
	s_or_b32 exec_lo, exec_lo, s3
	v_or_b32_e32 v11, v11, v65
	v_or_b32_e32 v10, v10, v64
	;; [unrolled: 1-line block ×4, first 2 shown]
	v_pk_mul_f32 v[66:67], v[50:51], v[10:11]
	s_delay_alu instid0(VALU_DEP_2)
	v_pk_mul_f32 v[64:65], v[50:51], v[22:23]
	s_and_saveexec_b32 s3, vcc_lo
	s_cbranch_execz .LBB226_1780
; %bb.1779:                             ;   in Loop: Header=BB226_998 Depth=1
	scratch_load_b64 v[10:11], off, s32 offset:200 ; 8-byte Folded Reload
	s_wait_loadcnt 0x0
	v_cmp_lt_i32_e64 s0, v21, v10
	s_delay_alu instid0(VALU_DEP_1) | instskip(SKIP_1) | instid1(VALU_DEP_1)
	v_cndmask_b32_e64 v66, 0, v66, s0
	v_cmp_lt_i32_e64 s0, v43, v10
	v_cndmask_b32_e64 v67, 0, v67, s0
	v_cmp_lt_i32_e64 s0, v45, v10
	s_delay_alu instid0(VALU_DEP_1) | instskip(SKIP_1) | instid1(VALU_DEP_1)
	v_cndmask_b32_e64 v64, 0, v64, s0
	v_cmp_lt_i32_e64 s0, v44, v10
	v_cndmask_b32_e64 v65, 0, v65, s0
.LBB226_1780:                           ;   in Loop: Header=BB226_998 Depth=1
	s_wait_xcnt 0x0
	s_or_b32 exec_lo, exec_lo, s3
	flat_load_b32 v22, v[68:69] offset:2944
	v_mov_b64_e32 v[10:11], 0
	v_mov_b64_e32 v[70:71], 0
	s_mov_b32 s3, exec_lo
	s_wait_loadcnt_dscnt 0x0
	v_and_b32_e32 v23, 0xff, v22
	s_wait_xcnt 0x0
	s_delay_alu instid0(VALU_DEP_1)
	v_cmpx_ne_u16_e32 0, v23
	s_cbranch_execz .LBB226_1788
; %bb.1781:                             ;   in Loop: Header=BB226_998 Depth=1
	v_mov_b64_e32 v[70:71], 0x80000000
	s_mov_b32 s8, exec_lo
	v_cmpx_ne_u16_e32 0x80, v23
	s_cbranch_execz .LBB226_1787
; %bb.1782:                             ;   in Loop: Header=BB226_998 Depth=1
	v_mov_b64_e32 v[70:71], 0x7f800001
	v_and_b32_e32 v80, 0x7f, v22
	s_mov_b32 s9, exec_lo
	s_delay_alu instid0(VALU_DEP_1)
	v_cmpx_ne_u32_e32 0x7f, v80
	s_cbranch_execz .LBB226_1786
; %bb.1783:                             ;   in Loop: Header=BB226_998 Depth=1
	v_dual_lshrrev_b32 v23, 3, v80 :: v_dual_bitop2_b32 v40, 7, v22 bitop3:0x40
	s_mov_b32 s16, exec_lo
	v_cmpx_gt_u32_e32 8, v80
; %bb.1784:                             ;   in Loop: Header=BB226_998 Depth=1
	s_delay_alu instid0(VALU_DEP_2) | instskip(NEXT) | instid1(VALU_DEP_1)
	v_clz_i32_u32_e32 v20, v40
	v_min_u32_e32 v20, 32, v20
	s_delay_alu instid0(VALU_DEP_1) | instskip(NEXT) | instid1(VALU_DEP_1)
	v_subrev_nc_u32_e32 v23, 28, v20
	v_lshlrev_b64_e32 v[70:71], v23, v[40:41]
	s_delay_alu instid0(VALU_DEP_1)
	v_dual_sub_nc_u32 v23, 29, v20 :: v_dual_bitop2_b32 v40, 7, v70 bitop3:0x40
; %bb.1785:                             ;   in Loop: Header=BB226_998 Depth=1
	s_or_b32 exec_lo, exec_lo, s16
	s_delay_alu instid0(VALU_DEP_1) | instskip(NEXT) | instid1(VALU_DEP_2)
	v_dual_lshlrev_b32 v20, 24, v22 :: v_dual_lshlrev_b32 v70, 20, v40
	v_lshl_add_u32 v23, v23, 23, 0x3c000000
	s_delay_alu instid0(VALU_DEP_2) | instskip(NEXT) | instid1(VALU_DEP_1)
	v_and_b32_e32 v20, 0x80000000, v20
	v_or3_b32 v40, v70, v20, v23
	s_delay_alu instid0(VALU_DEP_1)
	v_mov_b64_e32 v[70:71], v[40:41]
.LBB226_1786:                           ;   in Loop: Header=BB226_998 Depth=1
	s_or_b32 exec_lo, exec_lo, s9
.LBB226_1787:                           ;   in Loop: Header=BB226_998 Depth=1
	s_delay_alu instid0(SALU_CYCLE_1)
	s_or_b32 exec_lo, exec_lo, s8
.LBB226_1788:                           ;   in Loop: Header=BB226_998 Depth=1
	s_delay_alu instid0(SALU_CYCLE_1) | instskip(SKIP_2) | instid1(VALU_DEP_1)
	s_or_b32 exec_lo, exec_lo, s3
	v_lshrrev_b16 v23, 8, v22
	s_mov_b32 s3, exec_lo
	v_cmpx_ne_u16_e32 0, v23
	s_cbranch_execz .LBB226_1796
; %bb.1789:                             ;   in Loop: Header=BB226_998 Depth=1
	v_mov_b64_e32 v[10:11], 0x8000000000000000
	s_mov_b32 s8, exec_lo
	v_cmpx_ne_u16_e32 0x80, v23
	s_cbranch_execz .LBB226_1795
; %bb.1790:                             ;   in Loop: Header=BB226_998 Depth=1
	v_and_b32_e32 v80, 0xffff, v23
	v_mov_b64_e32 v[10:11], 0x7f80000100000000
	s_mov_b32 s9, exec_lo
	s_delay_alu instid0(VALU_DEP_2) | instskip(NEXT) | instid1(VALU_DEP_1)
	v_and_b32_e32 v23, 0x7f, v80
	v_cmpx_ne_u32_e32 0x7f, v23
	s_cbranch_execz .LBB226_1794
; %bb.1791:                             ;   in Loop: Header=BB226_998 Depth=1
	v_dual_lshrrev_b32 v10, 3, v23 :: v_dual_bitop2_b32 v40, 7, v80 bitop3:0x40
	s_mov_b32 s16, exec_lo
	v_cmpx_gt_u32_e32 8, v23
; %bb.1792:                             ;   in Loop: Header=BB226_998 Depth=1
	s_delay_alu instid0(VALU_DEP_2) | instskip(NEXT) | instid1(VALU_DEP_1)
	v_clz_i32_u32_e32 v10, v40
	v_min_u32_e32 v10, 32, v10
	s_delay_alu instid0(VALU_DEP_1) | instskip(NEXT) | instid1(VALU_DEP_1)
	v_subrev_nc_u32_e32 v11, 28, v10
	v_lshlrev_b64_e32 v[80:81], v11, v[40:41]
	s_delay_alu instid0(VALU_DEP_1)
	v_dual_sub_nc_u32 v10, 29, v10 :: v_dual_bitop2_b32 v40, 7, v80 bitop3:0x40
; %bb.1793:                             ;   in Loop: Header=BB226_998 Depth=1
	s_or_b32 exec_lo, exec_lo, s16
	s_delay_alu instid0(VALU_DEP_1) | instskip(NEXT) | instid1(VALU_DEP_2)
	v_dual_lshlrev_b32 v11, 16, v22 :: v_dual_lshlrev_b32 v20, 20, v40
	v_lshl_add_u32 v10, v10, 23, 0x3c000000
	s_delay_alu instid0(VALU_DEP_2) | instskip(NEXT) | instid1(VALU_DEP_1)
	v_and_b32_e32 v11, 0x80000000, v11
	v_or3_b32 v11, v20, v11, v10
	v_mov_b32_e32 v10, v41
.LBB226_1794:                           ;   in Loop: Header=BB226_998 Depth=1
	s_or_b32 exec_lo, exec_lo, s9
.LBB226_1795:                           ;   in Loop: Header=BB226_998 Depth=1
	s_delay_alu instid0(SALU_CYCLE_1)
	s_or_b32 exec_lo, exec_lo, s8
.LBB226_1796:                           ;   in Loop: Header=BB226_998 Depth=1
	s_delay_alu instid0(SALU_CYCLE_1) | instskip(SKIP_4) | instid1(VALU_DEP_3)
	s_or_b32 exec_lo, exec_lo, s3
	v_lshrrev_b32_e32 v23, 16, v22
	v_mov_b64_e32 v[80:81], 0
	v_mov_b64_e32 v[82:83], 0
	s_mov_b32 s3, exec_lo
	v_and_b32_e32 v84, 0xff, v23
	s_delay_alu instid0(VALU_DEP_1)
	v_cmpx_ne_u16_e32 0, v84
	s_cbranch_execz .LBB226_1804
; %bb.1797:                             ;   in Loop: Header=BB226_998 Depth=1
	v_mov_b64_e32 v[82:83], 0x80000000
	s_mov_b32 s8, exec_lo
	v_cmpx_ne_u16_e32 0x80, v84
	s_cbranch_execz .LBB226_1803
; %bb.1798:                             ;   in Loop: Header=BB226_998 Depth=1
	v_mov_b64_e32 v[82:83], 0x7f800001
	v_bfe_u32 v84, v22, 16, 7
	s_mov_b32 s9, exec_lo
	s_delay_alu instid0(VALU_DEP_1)
	v_cmpx_ne_u32_e32 0x7f, v84
	s_cbranch_execz .LBB226_1802
; %bb.1799:                             ;   in Loop: Header=BB226_998 Depth=1
	v_dual_lshrrev_b32 v82, 3, v84 :: v_dual_bitop2_b32 v40, 7, v23 bitop3:0x40
	s_mov_b32 s16, exec_lo
	v_cmpx_gt_u32_e32 8, v84
; %bb.1800:                             ;   in Loop: Header=BB226_998 Depth=1
	s_delay_alu instid0(VALU_DEP_2) | instskip(NEXT) | instid1(VALU_DEP_1)
	v_clz_i32_u32_e32 v20, v40
	v_min_u32_e32 v20, 32, v20
	s_delay_alu instid0(VALU_DEP_1) | instskip(NEXT) | instid1(VALU_DEP_1)
	v_subrev_nc_u32_e32 v82, 28, v20
	v_lshlrev_b64_e32 v[84:85], v82, v[40:41]
	v_sub_nc_u32_e32 v82, 29, v20
	s_delay_alu instid0(VALU_DEP_2)
	v_and_b32_e32 v40, 7, v84
; %bb.1801:                             ;   in Loop: Header=BB226_998 Depth=1
	s_or_b32 exec_lo, exec_lo, s16
	s_delay_alu instid0(VALU_DEP_1) | instskip(NEXT) | instid1(VALU_DEP_3)
	v_dual_lshlrev_b32 v20, 24, v23 :: v_dual_lshlrev_b32 v23, 20, v40
	v_lshl_add_u32 v82, v82, 23, 0x3c000000
	s_delay_alu instid0(VALU_DEP_2) | instskip(NEXT) | instid1(VALU_DEP_1)
	v_and_b32_e32 v20, 0x80000000, v20
	v_or3_b32 v40, v23, v20, v82
	s_delay_alu instid0(VALU_DEP_1)
	v_mov_b64_e32 v[82:83], v[40:41]
.LBB226_1802:                           ;   in Loop: Header=BB226_998 Depth=1
	s_or_b32 exec_lo, exec_lo, s9
.LBB226_1803:                           ;   in Loop: Header=BB226_998 Depth=1
	s_delay_alu instid0(SALU_CYCLE_1)
	s_or_b32 exec_lo, exec_lo, s8
.LBB226_1804:                           ;   in Loop: Header=BB226_998 Depth=1
	s_delay_alu instid0(SALU_CYCLE_1) | instskip(NEXT) | instid1(SALU_CYCLE_1)
	s_or_b32 exec_lo, exec_lo, s3
	s_mov_b32 s3, exec_lo
	v_cmpx_lt_u32_e32 0xffffff, v22
	s_cbranch_execz .LBB226_1812
; %bb.1805:                             ;   in Loop: Header=BB226_998 Depth=1
	v_mov_b64_e32 v[80:81], 0x8000000000000000
	v_lshrrev_b32_e32 v23, 24, v22
	s_mov_b32 s8, exec_lo
	s_delay_alu instid0(VALU_DEP_1)
	v_cmpx_ne_u32_e32 0x80, v23
	s_cbranch_execz .LBB226_1811
; %bb.1806:                             ;   in Loop: Header=BB226_998 Depth=1
	v_mov_b64_e32 v[80:81], 0x7f80000100000000
	v_bfe_u32 v84, v22, 24, 7
	s_mov_b32 s9, exec_lo
	s_delay_alu instid0(VALU_DEP_1)
	v_cmpx_ne_u32_e32 0x7f, v84
	s_cbranch_execz .LBB226_1810
; %bb.1807:                             ;   in Loop: Header=BB226_998 Depth=1
	v_dual_lshrrev_b32 v22, 3, v84 :: v_dual_bitop2_b32 v40, 7, v23 bitop3:0x40
	s_mov_b32 s16, exec_lo
	v_cmpx_gt_u32_e32 8, v84
; %bb.1808:                             ;   in Loop: Header=BB226_998 Depth=1
	s_delay_alu instid0(VALU_DEP_2) | instskip(NEXT) | instid1(VALU_DEP_1)
	v_clz_i32_u32_e32 v20, v40
	v_min_u32_e32 v20, 32, v20
	s_delay_alu instid0(VALU_DEP_1) | instskip(NEXT) | instid1(VALU_DEP_1)
	v_subrev_nc_u32_e32 v22, 28, v20
	v_lshlrev_b64_e32 v[80:81], v22, v[40:41]
	v_sub_nc_u32_e32 v22, 29, v20
	s_delay_alu instid0(VALU_DEP_2)
	v_and_b32_e32 v40, 7, v80
; %bb.1809:                             ;   in Loop: Header=BB226_998 Depth=1
	s_or_b32 exec_lo, exec_lo, s16
	s_delay_alu instid0(VALU_DEP_1) | instskip(NEXT) | instid1(VALU_DEP_3)
	v_dual_lshlrev_b32 v20, 24, v23 :: v_dual_lshlrev_b32 v23, 20, v40
	v_lshl_add_u32 v22, v22, 23, 0x3c000000
	v_mov_b32_e32 v80, v41
	s_delay_alu instid0(VALU_DEP_3) | instskip(NEXT) | instid1(VALU_DEP_1)
	v_and_b32_e32 v20, 0x80000000, v20
	v_or3_b32 v81, v23, v20, v22
.LBB226_1810:                           ;   in Loop: Header=BB226_998 Depth=1
	s_or_b32 exec_lo, exec_lo, s9
.LBB226_1811:                           ;   in Loop: Header=BB226_998 Depth=1
	s_delay_alu instid0(SALU_CYCLE_1)
	s_or_b32 exec_lo, exec_lo, s8
.LBB226_1812:                           ;   in Loop: Header=BB226_998 Depth=1
	s_delay_alu instid0(SALU_CYCLE_1) | instskip(SKIP_4) | instid1(VALU_DEP_3)
	s_or_b32 exec_lo, exec_lo, s3
	v_or_b32_e32 v11, v11, v71
	v_or_b32_e32 v10, v10, v70
	;; [unrolled: 1-line block ×4, first 2 shown]
	v_pk_mul_f32 v[80:81], v[50:51], v[10:11]
	s_delay_alu instid0(VALU_DEP_2)
	v_pk_mul_f32 v[70:71], v[50:51], v[22:23]
	s_and_saveexec_b32 s3, vcc_lo
	s_cbranch_execz .LBB226_1814
; %bb.1813:                             ;   in Loop: Header=BB226_998 Depth=1
	scratch_load_b64 v[10:11], off, s32 offset:200 ; 8-byte Folded Reload
	s_wait_loadcnt 0x0
	v_cmp_lt_i32_e64 s0, v21, v10
	s_delay_alu instid0(VALU_DEP_1) | instskip(SKIP_1) | instid1(VALU_DEP_1)
	v_cndmask_b32_e64 v80, 0, v80, s0
	v_cmp_lt_i32_e64 s0, v43, v10
	v_cndmask_b32_e64 v81, 0, v81, s0
	v_cmp_lt_i32_e64 s0, v45, v10
	s_delay_alu instid0(VALU_DEP_1) | instskip(SKIP_1) | instid1(VALU_DEP_1)
	v_cndmask_b32_e64 v70, 0, v70, s0
	v_cmp_lt_i32_e64 s0, v44, v10
	v_cndmask_b32_e64 v71, 0, v71, s0
.LBB226_1814:                           ;   in Loop: Header=BB226_998 Depth=1
	s_wait_xcnt 0x0
	s_or_b32 exec_lo, exec_lo, s3
	flat_load_b32 v22, v[68:69] offset:3072
	v_mov_b64_e32 v[10:11], 0
	v_mov_b64_e32 v[82:83], 0
	s_mov_b32 s3, exec_lo
	s_wait_loadcnt_dscnt 0x0
	v_and_b32_e32 v23, 0xff, v22
	s_wait_xcnt 0x0
	s_delay_alu instid0(VALU_DEP_1)
	v_cmpx_ne_u16_e32 0, v23
	s_cbranch_execz .LBB226_1822
; %bb.1815:                             ;   in Loop: Header=BB226_998 Depth=1
	v_mov_b64_e32 v[82:83], 0x80000000
	s_mov_b32 s8, exec_lo
	v_cmpx_ne_u16_e32 0x80, v23
	s_cbranch_execz .LBB226_1821
; %bb.1816:                             ;   in Loop: Header=BB226_998 Depth=1
	v_mov_b64_e32 v[82:83], 0x7f800001
	v_and_b32_e32 v84, 0x7f, v22
	s_mov_b32 s9, exec_lo
	s_delay_alu instid0(VALU_DEP_1)
	v_cmpx_ne_u32_e32 0x7f, v84
	s_cbranch_execz .LBB226_1820
; %bb.1817:                             ;   in Loop: Header=BB226_998 Depth=1
	v_dual_lshrrev_b32 v23, 3, v84 :: v_dual_bitop2_b32 v40, 7, v22 bitop3:0x40
	s_mov_b32 s16, exec_lo
	v_cmpx_gt_u32_e32 8, v84
; %bb.1818:                             ;   in Loop: Header=BB226_998 Depth=1
	s_delay_alu instid0(VALU_DEP_2) | instskip(NEXT) | instid1(VALU_DEP_1)
	v_clz_i32_u32_e32 v20, v40
	v_min_u32_e32 v20, 32, v20
	s_delay_alu instid0(VALU_DEP_1) | instskip(NEXT) | instid1(VALU_DEP_1)
	v_subrev_nc_u32_e32 v23, 28, v20
	v_lshlrev_b64_e32 v[82:83], v23, v[40:41]
	s_delay_alu instid0(VALU_DEP_1)
	v_dual_sub_nc_u32 v23, 29, v20 :: v_dual_bitop2_b32 v40, 7, v82 bitop3:0x40
; %bb.1819:                             ;   in Loop: Header=BB226_998 Depth=1
	s_or_b32 exec_lo, exec_lo, s16
	s_delay_alu instid0(VALU_DEP_1) | instskip(NEXT) | instid1(VALU_DEP_2)
	v_dual_lshlrev_b32 v20, 24, v22 :: v_dual_lshlrev_b32 v82, 20, v40
	v_lshl_add_u32 v23, v23, 23, 0x3c000000
	s_delay_alu instid0(VALU_DEP_2) | instskip(NEXT) | instid1(VALU_DEP_1)
	v_and_b32_e32 v20, 0x80000000, v20
	v_or3_b32 v40, v82, v20, v23
	s_delay_alu instid0(VALU_DEP_1)
	v_mov_b64_e32 v[82:83], v[40:41]
.LBB226_1820:                           ;   in Loop: Header=BB226_998 Depth=1
	s_or_b32 exec_lo, exec_lo, s9
.LBB226_1821:                           ;   in Loop: Header=BB226_998 Depth=1
	s_delay_alu instid0(SALU_CYCLE_1)
	s_or_b32 exec_lo, exec_lo, s8
.LBB226_1822:                           ;   in Loop: Header=BB226_998 Depth=1
	s_delay_alu instid0(SALU_CYCLE_1) | instskip(SKIP_2) | instid1(VALU_DEP_1)
	s_or_b32 exec_lo, exec_lo, s3
	v_lshrrev_b16 v23, 8, v22
	s_mov_b32 s3, exec_lo
	v_cmpx_ne_u16_e32 0, v23
	s_cbranch_execz .LBB226_1830
; %bb.1823:                             ;   in Loop: Header=BB226_998 Depth=1
	v_mov_b64_e32 v[10:11], 0x8000000000000000
	s_mov_b32 s8, exec_lo
	v_cmpx_ne_u16_e32 0x80, v23
	s_cbranch_execz .LBB226_1829
; %bb.1824:                             ;   in Loop: Header=BB226_998 Depth=1
	v_and_b32_e32 v84, 0xffff, v23
	v_mov_b64_e32 v[10:11], 0x7f80000100000000
	s_mov_b32 s9, exec_lo
	s_delay_alu instid0(VALU_DEP_2) | instskip(NEXT) | instid1(VALU_DEP_1)
	v_and_b32_e32 v23, 0x7f, v84
	v_cmpx_ne_u32_e32 0x7f, v23
	s_cbranch_execz .LBB226_1828
; %bb.1825:                             ;   in Loop: Header=BB226_998 Depth=1
	v_dual_lshrrev_b32 v10, 3, v23 :: v_dual_bitop2_b32 v40, 7, v84 bitop3:0x40
	s_mov_b32 s16, exec_lo
	v_cmpx_gt_u32_e32 8, v23
; %bb.1826:                             ;   in Loop: Header=BB226_998 Depth=1
	s_delay_alu instid0(VALU_DEP_2) | instskip(NEXT) | instid1(VALU_DEP_1)
	v_clz_i32_u32_e32 v10, v40
	v_min_u32_e32 v10, 32, v10
	s_delay_alu instid0(VALU_DEP_1) | instskip(NEXT) | instid1(VALU_DEP_1)
	v_subrev_nc_u32_e32 v11, 28, v10
	v_lshlrev_b64_e32 v[84:85], v11, v[40:41]
	s_delay_alu instid0(VALU_DEP_1)
	v_dual_sub_nc_u32 v10, 29, v10 :: v_dual_bitop2_b32 v40, 7, v84 bitop3:0x40
; %bb.1827:                             ;   in Loop: Header=BB226_998 Depth=1
	s_or_b32 exec_lo, exec_lo, s16
	s_delay_alu instid0(VALU_DEP_1) | instskip(NEXT) | instid1(VALU_DEP_2)
	v_dual_lshlrev_b32 v11, 16, v22 :: v_dual_lshlrev_b32 v20, 20, v40
	v_lshl_add_u32 v10, v10, 23, 0x3c000000
	s_delay_alu instid0(VALU_DEP_2) | instskip(NEXT) | instid1(VALU_DEP_1)
	v_and_b32_e32 v11, 0x80000000, v11
	v_or3_b32 v11, v20, v11, v10
	v_mov_b32_e32 v10, v41
.LBB226_1828:                           ;   in Loop: Header=BB226_998 Depth=1
	s_or_b32 exec_lo, exec_lo, s9
.LBB226_1829:                           ;   in Loop: Header=BB226_998 Depth=1
	s_delay_alu instid0(SALU_CYCLE_1)
	s_or_b32 exec_lo, exec_lo, s8
.LBB226_1830:                           ;   in Loop: Header=BB226_998 Depth=1
	s_delay_alu instid0(SALU_CYCLE_1) | instskip(SKIP_4) | instid1(VALU_DEP_3)
	s_or_b32 exec_lo, exec_lo, s3
	v_lshrrev_b32_e32 v23, 16, v22
	v_mov_b64_e32 v[84:85], 0
	v_mov_b64_e32 v[86:87], 0
	s_mov_b32 s3, exec_lo
	v_and_b32_e32 v96, 0xff, v23
	s_delay_alu instid0(VALU_DEP_1)
	v_cmpx_ne_u16_e32 0, v96
	s_cbranch_execz .LBB226_1838
; %bb.1831:                             ;   in Loop: Header=BB226_998 Depth=1
	v_mov_b64_e32 v[86:87], 0x80000000
	s_mov_b32 s8, exec_lo
	v_cmpx_ne_u16_e32 0x80, v96
	s_cbranch_execz .LBB226_1837
; %bb.1832:                             ;   in Loop: Header=BB226_998 Depth=1
	v_mov_b64_e32 v[86:87], 0x7f800001
	v_bfe_u32 v96, v22, 16, 7
	s_mov_b32 s9, exec_lo
	s_delay_alu instid0(VALU_DEP_1)
	v_cmpx_ne_u32_e32 0x7f, v96
	s_cbranch_execz .LBB226_1836
; %bb.1833:                             ;   in Loop: Header=BB226_998 Depth=1
	v_dual_lshrrev_b32 v86, 3, v96 :: v_dual_bitop2_b32 v40, 7, v23 bitop3:0x40
	s_mov_b32 s16, exec_lo
	v_cmpx_gt_u32_e32 8, v96
; %bb.1834:                             ;   in Loop: Header=BB226_998 Depth=1
	s_delay_alu instid0(VALU_DEP_2) | instskip(NEXT) | instid1(VALU_DEP_1)
	v_clz_i32_u32_e32 v20, v40
	v_min_u32_e32 v20, 32, v20
	s_delay_alu instid0(VALU_DEP_1) | instskip(NEXT) | instid1(VALU_DEP_1)
	v_subrev_nc_u32_e32 v86, 28, v20
	v_lshlrev_b64_e32 v[96:97], v86, v[40:41]
	v_sub_nc_u32_e32 v86, 29, v20
	s_delay_alu instid0(VALU_DEP_2)
	v_and_b32_e32 v40, 7, v96
; %bb.1835:                             ;   in Loop: Header=BB226_998 Depth=1
	s_or_b32 exec_lo, exec_lo, s16
	s_delay_alu instid0(VALU_DEP_1) | instskip(NEXT) | instid1(VALU_DEP_3)
	v_dual_lshlrev_b32 v20, 24, v23 :: v_dual_lshlrev_b32 v23, 20, v40
	v_lshl_add_u32 v86, v86, 23, 0x3c000000
	s_delay_alu instid0(VALU_DEP_2) | instskip(NEXT) | instid1(VALU_DEP_1)
	v_and_b32_e32 v20, 0x80000000, v20
	v_or3_b32 v40, v23, v20, v86
	s_delay_alu instid0(VALU_DEP_1)
	v_mov_b64_e32 v[86:87], v[40:41]
.LBB226_1836:                           ;   in Loop: Header=BB226_998 Depth=1
	s_or_b32 exec_lo, exec_lo, s9
.LBB226_1837:                           ;   in Loop: Header=BB226_998 Depth=1
	s_delay_alu instid0(SALU_CYCLE_1)
	s_or_b32 exec_lo, exec_lo, s8
.LBB226_1838:                           ;   in Loop: Header=BB226_998 Depth=1
	s_delay_alu instid0(SALU_CYCLE_1) | instskip(NEXT) | instid1(SALU_CYCLE_1)
	s_or_b32 exec_lo, exec_lo, s3
	s_mov_b32 s3, exec_lo
	v_cmpx_lt_u32_e32 0xffffff, v22
	s_cbranch_execz .LBB226_1846
; %bb.1839:                             ;   in Loop: Header=BB226_998 Depth=1
	v_mov_b64_e32 v[84:85], 0x8000000000000000
	v_lshrrev_b32_e32 v23, 24, v22
	s_mov_b32 s8, exec_lo
	s_delay_alu instid0(VALU_DEP_1)
	v_cmpx_ne_u32_e32 0x80, v23
	s_cbranch_execz .LBB226_1845
; %bb.1840:                             ;   in Loop: Header=BB226_998 Depth=1
	v_mov_b64_e32 v[84:85], 0x7f80000100000000
	v_bfe_u32 v96, v22, 24, 7
	s_mov_b32 s9, exec_lo
	s_delay_alu instid0(VALU_DEP_1)
	v_cmpx_ne_u32_e32 0x7f, v96
	s_cbranch_execz .LBB226_1844
; %bb.1841:                             ;   in Loop: Header=BB226_998 Depth=1
	v_dual_lshrrev_b32 v22, 3, v96 :: v_dual_bitop2_b32 v40, 7, v23 bitop3:0x40
	s_mov_b32 s16, exec_lo
	v_cmpx_gt_u32_e32 8, v96
; %bb.1842:                             ;   in Loop: Header=BB226_998 Depth=1
	s_delay_alu instid0(VALU_DEP_2) | instskip(NEXT) | instid1(VALU_DEP_1)
	v_clz_i32_u32_e32 v20, v40
	v_min_u32_e32 v20, 32, v20
	s_delay_alu instid0(VALU_DEP_1) | instskip(NEXT) | instid1(VALU_DEP_1)
	v_subrev_nc_u32_e32 v22, 28, v20
	v_lshlrev_b64_e32 v[84:85], v22, v[40:41]
	v_sub_nc_u32_e32 v22, 29, v20
	s_delay_alu instid0(VALU_DEP_2)
	v_and_b32_e32 v40, 7, v84
; %bb.1843:                             ;   in Loop: Header=BB226_998 Depth=1
	s_or_b32 exec_lo, exec_lo, s16
	s_delay_alu instid0(VALU_DEP_1) | instskip(NEXT) | instid1(VALU_DEP_3)
	v_dual_lshlrev_b32 v20, 24, v23 :: v_dual_lshlrev_b32 v23, 20, v40
	v_lshl_add_u32 v22, v22, 23, 0x3c000000
	v_mov_b32_e32 v84, v41
	s_delay_alu instid0(VALU_DEP_3) | instskip(NEXT) | instid1(VALU_DEP_1)
	v_and_b32_e32 v20, 0x80000000, v20
	v_or3_b32 v85, v23, v20, v22
.LBB226_1844:                           ;   in Loop: Header=BB226_998 Depth=1
	s_or_b32 exec_lo, exec_lo, s9
.LBB226_1845:                           ;   in Loop: Header=BB226_998 Depth=1
	s_delay_alu instid0(SALU_CYCLE_1)
	s_or_b32 exec_lo, exec_lo, s8
.LBB226_1846:                           ;   in Loop: Header=BB226_998 Depth=1
	s_delay_alu instid0(SALU_CYCLE_1) | instskip(SKIP_4) | instid1(VALU_DEP_3)
	s_or_b32 exec_lo, exec_lo, s3
	v_or_b32_e32 v11, v11, v83
	v_or_b32_e32 v10, v10, v82
	;; [unrolled: 1-line block ×4, first 2 shown]
	v_pk_mul_f32 v[84:85], v[50:51], v[10:11]
	s_delay_alu instid0(VALU_DEP_2)
	v_pk_mul_f32 v[82:83], v[50:51], v[22:23]
	s_and_saveexec_b32 s3, vcc_lo
	s_cbranch_execz .LBB226_1848
; %bb.1847:                             ;   in Loop: Header=BB226_998 Depth=1
	scratch_load_b64 v[10:11], off, s32 offset:200 ; 8-byte Folded Reload
	s_wait_loadcnt 0x0
	v_cmp_lt_i32_e64 s0, v21, v10
	s_delay_alu instid0(VALU_DEP_1) | instskip(SKIP_1) | instid1(VALU_DEP_1)
	v_cndmask_b32_e64 v84, 0, v84, s0
	v_cmp_lt_i32_e64 s0, v43, v10
	v_cndmask_b32_e64 v85, 0, v85, s0
	v_cmp_lt_i32_e64 s0, v45, v10
	s_delay_alu instid0(VALU_DEP_1) | instskip(SKIP_1) | instid1(VALU_DEP_1)
	v_cndmask_b32_e64 v82, 0, v82, s0
	v_cmp_lt_i32_e64 s0, v44, v10
	v_cndmask_b32_e64 v83, 0, v83, s0
.LBB226_1848:                           ;   in Loop: Header=BB226_998 Depth=1
	s_wait_xcnt 0x0
	s_or_b32 exec_lo, exec_lo, s3
	flat_load_b32 v22, v[68:69] offset:3200
	v_mov_b64_e32 v[10:11], 0
	v_mov_b64_e32 v[86:87], 0
	s_mov_b32 s3, exec_lo
	s_wait_loadcnt_dscnt 0x0
	v_and_b32_e32 v23, 0xff, v22
	s_wait_xcnt 0x0
	s_delay_alu instid0(VALU_DEP_1)
	v_cmpx_ne_u16_e32 0, v23
	s_cbranch_execz .LBB226_1856
; %bb.1849:                             ;   in Loop: Header=BB226_998 Depth=1
	v_mov_b64_e32 v[86:87], 0x80000000
	s_mov_b32 s8, exec_lo
	v_cmpx_ne_u16_e32 0x80, v23
	s_cbranch_execz .LBB226_1855
; %bb.1850:                             ;   in Loop: Header=BB226_998 Depth=1
	v_mov_b64_e32 v[86:87], 0x7f800001
	v_and_b32_e32 v96, 0x7f, v22
	s_mov_b32 s9, exec_lo
	s_delay_alu instid0(VALU_DEP_1)
	v_cmpx_ne_u32_e32 0x7f, v96
	s_cbranch_execz .LBB226_1854
; %bb.1851:                             ;   in Loop: Header=BB226_998 Depth=1
	v_dual_lshrrev_b32 v23, 3, v96 :: v_dual_bitop2_b32 v40, 7, v22 bitop3:0x40
	s_mov_b32 s16, exec_lo
	v_cmpx_gt_u32_e32 8, v96
; %bb.1852:                             ;   in Loop: Header=BB226_998 Depth=1
	s_delay_alu instid0(VALU_DEP_2) | instskip(NEXT) | instid1(VALU_DEP_1)
	v_clz_i32_u32_e32 v20, v40
	v_min_u32_e32 v20, 32, v20
	s_delay_alu instid0(VALU_DEP_1) | instskip(NEXT) | instid1(VALU_DEP_1)
	v_subrev_nc_u32_e32 v23, 28, v20
	v_lshlrev_b64_e32 v[86:87], v23, v[40:41]
	s_delay_alu instid0(VALU_DEP_1)
	v_dual_sub_nc_u32 v23, 29, v20 :: v_dual_bitop2_b32 v40, 7, v86 bitop3:0x40
; %bb.1853:                             ;   in Loop: Header=BB226_998 Depth=1
	s_or_b32 exec_lo, exec_lo, s16
	s_delay_alu instid0(VALU_DEP_1) | instskip(NEXT) | instid1(VALU_DEP_2)
	v_dual_lshlrev_b32 v20, 24, v22 :: v_dual_lshlrev_b32 v86, 20, v40
	v_lshl_add_u32 v23, v23, 23, 0x3c000000
	s_delay_alu instid0(VALU_DEP_2) | instskip(NEXT) | instid1(VALU_DEP_1)
	v_and_b32_e32 v20, 0x80000000, v20
	v_or3_b32 v40, v86, v20, v23
	s_delay_alu instid0(VALU_DEP_1)
	v_mov_b64_e32 v[86:87], v[40:41]
.LBB226_1854:                           ;   in Loop: Header=BB226_998 Depth=1
	s_or_b32 exec_lo, exec_lo, s9
.LBB226_1855:                           ;   in Loop: Header=BB226_998 Depth=1
	s_delay_alu instid0(SALU_CYCLE_1)
	s_or_b32 exec_lo, exec_lo, s8
.LBB226_1856:                           ;   in Loop: Header=BB226_998 Depth=1
	s_delay_alu instid0(SALU_CYCLE_1) | instskip(SKIP_2) | instid1(VALU_DEP_1)
	s_or_b32 exec_lo, exec_lo, s3
	v_lshrrev_b16 v23, 8, v22
	s_mov_b32 s3, exec_lo
	v_cmpx_ne_u16_e32 0, v23
	s_cbranch_execz .LBB226_1864
; %bb.1857:                             ;   in Loop: Header=BB226_998 Depth=1
	v_mov_b64_e32 v[10:11], 0x8000000000000000
	s_mov_b32 s8, exec_lo
	v_cmpx_ne_u16_e32 0x80, v23
	s_cbranch_execz .LBB226_1863
; %bb.1858:                             ;   in Loop: Header=BB226_998 Depth=1
	v_and_b32_e32 v96, 0xffff, v23
	v_mov_b64_e32 v[10:11], 0x7f80000100000000
	s_mov_b32 s9, exec_lo
	s_delay_alu instid0(VALU_DEP_2) | instskip(NEXT) | instid1(VALU_DEP_1)
	v_and_b32_e32 v23, 0x7f, v96
	v_cmpx_ne_u32_e32 0x7f, v23
	s_cbranch_execz .LBB226_1862
; %bb.1859:                             ;   in Loop: Header=BB226_998 Depth=1
	v_dual_lshrrev_b32 v10, 3, v23 :: v_dual_bitop2_b32 v40, 7, v96 bitop3:0x40
	s_mov_b32 s16, exec_lo
	v_cmpx_gt_u32_e32 8, v23
; %bb.1860:                             ;   in Loop: Header=BB226_998 Depth=1
	s_delay_alu instid0(VALU_DEP_2) | instskip(NEXT) | instid1(VALU_DEP_1)
	v_clz_i32_u32_e32 v10, v40
	v_min_u32_e32 v10, 32, v10
	s_delay_alu instid0(VALU_DEP_1) | instskip(NEXT) | instid1(VALU_DEP_1)
	v_subrev_nc_u32_e32 v11, 28, v10
	v_lshlrev_b64_e32 v[96:97], v11, v[40:41]
	s_delay_alu instid0(VALU_DEP_1)
	v_dual_sub_nc_u32 v10, 29, v10 :: v_dual_bitop2_b32 v40, 7, v96 bitop3:0x40
; %bb.1861:                             ;   in Loop: Header=BB226_998 Depth=1
	s_or_b32 exec_lo, exec_lo, s16
	s_delay_alu instid0(VALU_DEP_1) | instskip(NEXT) | instid1(VALU_DEP_2)
	v_dual_lshlrev_b32 v11, 16, v22 :: v_dual_lshlrev_b32 v20, 20, v40
	v_lshl_add_u32 v10, v10, 23, 0x3c000000
	s_delay_alu instid0(VALU_DEP_2) | instskip(NEXT) | instid1(VALU_DEP_1)
	v_and_b32_e32 v11, 0x80000000, v11
	v_or3_b32 v11, v20, v11, v10
	v_mov_b32_e32 v10, v41
.LBB226_1862:                           ;   in Loop: Header=BB226_998 Depth=1
	s_or_b32 exec_lo, exec_lo, s9
.LBB226_1863:                           ;   in Loop: Header=BB226_998 Depth=1
	s_delay_alu instid0(SALU_CYCLE_1)
	s_or_b32 exec_lo, exec_lo, s8
.LBB226_1864:                           ;   in Loop: Header=BB226_998 Depth=1
	s_delay_alu instid0(SALU_CYCLE_1) | instskip(SKIP_4) | instid1(VALU_DEP_3)
	s_or_b32 exec_lo, exec_lo, s3
	v_lshrrev_b32_e32 v23, 16, v22
	v_mov_b64_e32 v[96:97], 0
	v_mov_b64_e32 v[98:99], 0
	s_mov_b32 s3, exec_lo
	v_and_b32_e32 v100, 0xff, v23
	s_delay_alu instid0(VALU_DEP_1)
	v_cmpx_ne_u16_e32 0, v100
	s_cbranch_execz .LBB226_1872
; %bb.1865:                             ;   in Loop: Header=BB226_998 Depth=1
	v_mov_b64_e32 v[98:99], 0x80000000
	s_mov_b32 s8, exec_lo
	v_cmpx_ne_u16_e32 0x80, v100
	s_cbranch_execz .LBB226_1871
; %bb.1866:                             ;   in Loop: Header=BB226_998 Depth=1
	v_mov_b64_e32 v[98:99], 0x7f800001
	v_bfe_u32 v100, v22, 16, 7
	s_mov_b32 s9, exec_lo
	s_delay_alu instid0(VALU_DEP_1)
	v_cmpx_ne_u32_e32 0x7f, v100
	s_cbranch_execz .LBB226_1870
; %bb.1867:                             ;   in Loop: Header=BB226_998 Depth=1
	v_dual_lshrrev_b32 v98, 3, v100 :: v_dual_bitop2_b32 v40, 7, v23 bitop3:0x40
	s_mov_b32 s16, exec_lo
	v_cmpx_gt_u32_e32 8, v100
; %bb.1868:                             ;   in Loop: Header=BB226_998 Depth=1
	s_delay_alu instid0(VALU_DEP_2) | instskip(NEXT) | instid1(VALU_DEP_1)
	v_clz_i32_u32_e32 v20, v40
	v_min_u32_e32 v20, 32, v20
	s_delay_alu instid0(VALU_DEP_1) | instskip(NEXT) | instid1(VALU_DEP_1)
	v_subrev_nc_u32_e32 v98, 28, v20
	v_lshlrev_b64_e32 v[100:101], v98, v[40:41]
	v_sub_nc_u32_e32 v98, 29, v20
	s_delay_alu instid0(VALU_DEP_2)
	v_and_b32_e32 v40, 7, v100
; %bb.1869:                             ;   in Loop: Header=BB226_998 Depth=1
	s_or_b32 exec_lo, exec_lo, s16
	s_delay_alu instid0(VALU_DEP_1) | instskip(NEXT) | instid1(VALU_DEP_3)
	v_dual_lshlrev_b32 v20, 24, v23 :: v_dual_lshlrev_b32 v23, 20, v40
	v_lshl_add_u32 v98, v98, 23, 0x3c000000
	s_delay_alu instid0(VALU_DEP_2) | instskip(NEXT) | instid1(VALU_DEP_1)
	v_and_b32_e32 v20, 0x80000000, v20
	v_or3_b32 v40, v23, v20, v98
	s_delay_alu instid0(VALU_DEP_1)
	v_mov_b64_e32 v[98:99], v[40:41]
.LBB226_1870:                           ;   in Loop: Header=BB226_998 Depth=1
	s_or_b32 exec_lo, exec_lo, s9
.LBB226_1871:                           ;   in Loop: Header=BB226_998 Depth=1
	s_delay_alu instid0(SALU_CYCLE_1)
	s_or_b32 exec_lo, exec_lo, s8
.LBB226_1872:                           ;   in Loop: Header=BB226_998 Depth=1
	s_delay_alu instid0(SALU_CYCLE_1) | instskip(NEXT) | instid1(SALU_CYCLE_1)
	s_or_b32 exec_lo, exec_lo, s3
	s_mov_b32 s3, exec_lo
	v_cmpx_lt_u32_e32 0xffffff, v22
	s_cbranch_execz .LBB226_1880
; %bb.1873:                             ;   in Loop: Header=BB226_998 Depth=1
	v_mov_b64_e32 v[96:97], 0x8000000000000000
	v_lshrrev_b32_e32 v23, 24, v22
	s_mov_b32 s8, exec_lo
	s_delay_alu instid0(VALU_DEP_1)
	v_cmpx_ne_u32_e32 0x80, v23
	s_cbranch_execz .LBB226_1879
; %bb.1874:                             ;   in Loop: Header=BB226_998 Depth=1
	v_mov_b64_e32 v[96:97], 0x7f80000100000000
	v_bfe_u32 v100, v22, 24, 7
	s_mov_b32 s9, exec_lo
	s_delay_alu instid0(VALU_DEP_1)
	v_cmpx_ne_u32_e32 0x7f, v100
	s_cbranch_execz .LBB226_1878
; %bb.1875:                             ;   in Loop: Header=BB226_998 Depth=1
	v_dual_lshrrev_b32 v22, 3, v100 :: v_dual_bitop2_b32 v40, 7, v23 bitop3:0x40
	s_mov_b32 s16, exec_lo
	v_cmpx_gt_u32_e32 8, v100
; %bb.1876:                             ;   in Loop: Header=BB226_998 Depth=1
	s_delay_alu instid0(VALU_DEP_2) | instskip(NEXT) | instid1(VALU_DEP_1)
	v_clz_i32_u32_e32 v20, v40
	v_min_u32_e32 v20, 32, v20
	s_delay_alu instid0(VALU_DEP_1) | instskip(NEXT) | instid1(VALU_DEP_1)
	v_subrev_nc_u32_e32 v22, 28, v20
	v_lshlrev_b64_e32 v[96:97], v22, v[40:41]
	v_sub_nc_u32_e32 v22, 29, v20
	s_delay_alu instid0(VALU_DEP_2)
	v_and_b32_e32 v40, 7, v96
; %bb.1877:                             ;   in Loop: Header=BB226_998 Depth=1
	s_or_b32 exec_lo, exec_lo, s16
	s_delay_alu instid0(VALU_DEP_1) | instskip(NEXT) | instid1(VALU_DEP_3)
	v_dual_lshlrev_b32 v20, 24, v23 :: v_dual_lshlrev_b32 v23, 20, v40
	v_lshl_add_u32 v22, v22, 23, 0x3c000000
	v_mov_b32_e32 v96, v41
	s_delay_alu instid0(VALU_DEP_3) | instskip(NEXT) | instid1(VALU_DEP_1)
	v_and_b32_e32 v20, 0x80000000, v20
	v_or3_b32 v97, v23, v20, v22
.LBB226_1878:                           ;   in Loop: Header=BB226_998 Depth=1
	s_or_b32 exec_lo, exec_lo, s9
.LBB226_1879:                           ;   in Loop: Header=BB226_998 Depth=1
	s_delay_alu instid0(SALU_CYCLE_1)
	s_or_b32 exec_lo, exec_lo, s8
.LBB226_1880:                           ;   in Loop: Header=BB226_998 Depth=1
	s_delay_alu instid0(SALU_CYCLE_1) | instskip(SKIP_4) | instid1(VALU_DEP_3)
	s_or_b32 exec_lo, exec_lo, s3
	v_or_b32_e32 v11, v11, v87
	v_or_b32_e32 v10, v10, v86
	;; [unrolled: 1-line block ×4, first 2 shown]
	v_pk_mul_f32 v[96:97], v[50:51], v[10:11]
	s_delay_alu instid0(VALU_DEP_2)
	v_pk_mul_f32 v[86:87], v[50:51], v[22:23]
	s_and_saveexec_b32 s3, vcc_lo
	s_cbranch_execz .LBB226_1882
; %bb.1881:                             ;   in Loop: Header=BB226_998 Depth=1
	scratch_load_b64 v[10:11], off, s32 offset:200 ; 8-byte Folded Reload
	s_wait_loadcnt 0x0
	v_cmp_lt_i32_e64 s0, v21, v10
	s_delay_alu instid0(VALU_DEP_1) | instskip(SKIP_1) | instid1(VALU_DEP_1)
	v_cndmask_b32_e64 v96, 0, v96, s0
	v_cmp_lt_i32_e64 s0, v43, v10
	v_cndmask_b32_e64 v97, 0, v97, s0
	v_cmp_lt_i32_e64 s0, v45, v10
	s_delay_alu instid0(VALU_DEP_1) | instskip(SKIP_1) | instid1(VALU_DEP_1)
	v_cndmask_b32_e64 v86, 0, v86, s0
	v_cmp_lt_i32_e64 s0, v44, v10
	v_cndmask_b32_e64 v87, 0, v87, s0
.LBB226_1882:                           ;   in Loop: Header=BB226_998 Depth=1
	s_wait_xcnt 0x0
	s_or_b32 exec_lo, exec_lo, s3
	flat_load_b32 v22, v[68:69] offset:3328
	v_mov_b64_e32 v[10:11], 0
	v_mov_b64_e32 v[98:99], 0
	s_mov_b32 s3, exec_lo
	s_wait_loadcnt_dscnt 0x0
	v_and_b32_e32 v23, 0xff, v22
	s_wait_xcnt 0x0
	s_delay_alu instid0(VALU_DEP_1)
	v_cmpx_ne_u16_e32 0, v23
	s_cbranch_execz .LBB226_1890
; %bb.1883:                             ;   in Loop: Header=BB226_998 Depth=1
	v_mov_b64_e32 v[98:99], 0x80000000
	s_mov_b32 s8, exec_lo
	v_cmpx_ne_u16_e32 0x80, v23
	s_cbranch_execz .LBB226_1889
; %bb.1884:                             ;   in Loop: Header=BB226_998 Depth=1
	v_mov_b64_e32 v[98:99], 0x7f800001
	v_and_b32_e32 v100, 0x7f, v22
	s_mov_b32 s9, exec_lo
	s_delay_alu instid0(VALU_DEP_1)
	v_cmpx_ne_u32_e32 0x7f, v100
	s_cbranch_execz .LBB226_1888
; %bb.1885:                             ;   in Loop: Header=BB226_998 Depth=1
	v_dual_lshrrev_b32 v23, 3, v100 :: v_dual_bitop2_b32 v40, 7, v22 bitop3:0x40
	s_mov_b32 s16, exec_lo
	v_cmpx_gt_u32_e32 8, v100
; %bb.1886:                             ;   in Loop: Header=BB226_998 Depth=1
	s_delay_alu instid0(VALU_DEP_2) | instskip(NEXT) | instid1(VALU_DEP_1)
	v_clz_i32_u32_e32 v20, v40
	v_min_u32_e32 v20, 32, v20
	s_delay_alu instid0(VALU_DEP_1) | instskip(NEXT) | instid1(VALU_DEP_1)
	v_subrev_nc_u32_e32 v23, 28, v20
	v_lshlrev_b64_e32 v[98:99], v23, v[40:41]
	s_delay_alu instid0(VALU_DEP_1)
	v_dual_sub_nc_u32 v23, 29, v20 :: v_dual_bitop2_b32 v40, 7, v98 bitop3:0x40
; %bb.1887:                             ;   in Loop: Header=BB226_998 Depth=1
	s_or_b32 exec_lo, exec_lo, s16
	s_delay_alu instid0(VALU_DEP_1) | instskip(NEXT) | instid1(VALU_DEP_2)
	v_dual_lshlrev_b32 v20, 24, v22 :: v_dual_lshlrev_b32 v98, 20, v40
	v_lshl_add_u32 v23, v23, 23, 0x3c000000
	s_delay_alu instid0(VALU_DEP_2) | instskip(NEXT) | instid1(VALU_DEP_1)
	v_and_b32_e32 v20, 0x80000000, v20
	v_or3_b32 v40, v98, v20, v23
	s_delay_alu instid0(VALU_DEP_1)
	v_mov_b64_e32 v[98:99], v[40:41]
.LBB226_1888:                           ;   in Loop: Header=BB226_998 Depth=1
	s_or_b32 exec_lo, exec_lo, s9
.LBB226_1889:                           ;   in Loop: Header=BB226_998 Depth=1
	s_delay_alu instid0(SALU_CYCLE_1)
	s_or_b32 exec_lo, exec_lo, s8
.LBB226_1890:                           ;   in Loop: Header=BB226_998 Depth=1
	s_delay_alu instid0(SALU_CYCLE_1) | instskip(SKIP_2) | instid1(VALU_DEP_1)
	s_or_b32 exec_lo, exec_lo, s3
	v_lshrrev_b16 v23, 8, v22
	s_mov_b32 s3, exec_lo
	v_cmpx_ne_u16_e32 0, v23
	s_cbranch_execz .LBB226_1898
; %bb.1891:                             ;   in Loop: Header=BB226_998 Depth=1
	v_mov_b64_e32 v[10:11], 0x8000000000000000
	s_mov_b32 s8, exec_lo
	v_cmpx_ne_u16_e32 0x80, v23
	s_cbranch_execz .LBB226_1897
; %bb.1892:                             ;   in Loop: Header=BB226_998 Depth=1
	v_and_b32_e32 v100, 0xffff, v23
	v_mov_b64_e32 v[10:11], 0x7f80000100000000
	s_mov_b32 s9, exec_lo
	s_delay_alu instid0(VALU_DEP_2) | instskip(NEXT) | instid1(VALU_DEP_1)
	v_and_b32_e32 v23, 0x7f, v100
	v_cmpx_ne_u32_e32 0x7f, v23
	s_cbranch_execz .LBB226_1896
; %bb.1893:                             ;   in Loop: Header=BB226_998 Depth=1
	v_dual_lshrrev_b32 v10, 3, v23 :: v_dual_bitop2_b32 v40, 7, v100 bitop3:0x40
	s_mov_b32 s16, exec_lo
	v_cmpx_gt_u32_e32 8, v23
; %bb.1894:                             ;   in Loop: Header=BB226_998 Depth=1
	s_delay_alu instid0(VALU_DEP_2) | instskip(NEXT) | instid1(VALU_DEP_1)
	v_clz_i32_u32_e32 v10, v40
	v_min_u32_e32 v10, 32, v10
	s_delay_alu instid0(VALU_DEP_1) | instskip(NEXT) | instid1(VALU_DEP_1)
	v_subrev_nc_u32_e32 v11, 28, v10
	v_lshlrev_b64_e32 v[100:101], v11, v[40:41]
	s_delay_alu instid0(VALU_DEP_1)
	v_dual_sub_nc_u32 v10, 29, v10 :: v_dual_bitop2_b32 v40, 7, v100 bitop3:0x40
; %bb.1895:                             ;   in Loop: Header=BB226_998 Depth=1
	s_or_b32 exec_lo, exec_lo, s16
	s_delay_alu instid0(VALU_DEP_1) | instskip(NEXT) | instid1(VALU_DEP_2)
	v_dual_lshlrev_b32 v11, 16, v22 :: v_dual_lshlrev_b32 v20, 20, v40
	v_lshl_add_u32 v10, v10, 23, 0x3c000000
	s_delay_alu instid0(VALU_DEP_2) | instskip(NEXT) | instid1(VALU_DEP_1)
	v_and_b32_e32 v11, 0x80000000, v11
	v_or3_b32 v11, v20, v11, v10
	v_mov_b32_e32 v10, v41
.LBB226_1896:                           ;   in Loop: Header=BB226_998 Depth=1
	s_or_b32 exec_lo, exec_lo, s9
.LBB226_1897:                           ;   in Loop: Header=BB226_998 Depth=1
	s_delay_alu instid0(SALU_CYCLE_1)
	s_or_b32 exec_lo, exec_lo, s8
.LBB226_1898:                           ;   in Loop: Header=BB226_998 Depth=1
	s_delay_alu instid0(SALU_CYCLE_1) | instskip(SKIP_4) | instid1(VALU_DEP_3)
	s_or_b32 exec_lo, exec_lo, s3
	v_lshrrev_b32_e32 v23, 16, v22
	v_mov_b64_e32 v[100:101], 0
	v_mov_b64_e32 v[102:103], 0
	s_mov_b32 s3, exec_lo
	v_and_b32_e32 v112, 0xff, v23
	s_delay_alu instid0(VALU_DEP_1)
	v_cmpx_ne_u16_e32 0, v112
	s_cbranch_execz .LBB226_1906
; %bb.1899:                             ;   in Loop: Header=BB226_998 Depth=1
	v_mov_b64_e32 v[102:103], 0x80000000
	s_mov_b32 s8, exec_lo
	v_cmpx_ne_u16_e32 0x80, v112
	s_cbranch_execz .LBB226_1905
; %bb.1900:                             ;   in Loop: Header=BB226_998 Depth=1
	v_mov_b64_e32 v[102:103], 0x7f800001
	v_bfe_u32 v112, v22, 16, 7
	s_mov_b32 s9, exec_lo
	s_delay_alu instid0(VALU_DEP_1)
	v_cmpx_ne_u32_e32 0x7f, v112
	s_cbranch_execz .LBB226_1904
; %bb.1901:                             ;   in Loop: Header=BB226_998 Depth=1
	v_dual_lshrrev_b32 v102, 3, v112 :: v_dual_bitop2_b32 v40, 7, v23 bitop3:0x40
	s_mov_b32 s16, exec_lo
	v_cmpx_gt_u32_e32 8, v112
; %bb.1902:                             ;   in Loop: Header=BB226_998 Depth=1
	s_delay_alu instid0(VALU_DEP_2) | instskip(NEXT) | instid1(VALU_DEP_1)
	v_clz_i32_u32_e32 v20, v40
	v_min_u32_e32 v20, 32, v20
	s_delay_alu instid0(VALU_DEP_1) | instskip(NEXT) | instid1(VALU_DEP_1)
	v_subrev_nc_u32_e32 v102, 28, v20
	v_lshlrev_b64_e32 v[112:113], v102, v[40:41]
	v_sub_nc_u32_e32 v102, 29, v20
	s_delay_alu instid0(VALU_DEP_2)
	v_and_b32_e32 v40, 7, v112
; %bb.1903:                             ;   in Loop: Header=BB226_998 Depth=1
	s_or_b32 exec_lo, exec_lo, s16
	s_delay_alu instid0(VALU_DEP_1) | instskip(NEXT) | instid1(VALU_DEP_3)
	v_dual_lshlrev_b32 v20, 24, v23 :: v_dual_lshlrev_b32 v23, 20, v40
	v_lshl_add_u32 v102, v102, 23, 0x3c000000
	s_delay_alu instid0(VALU_DEP_2) | instskip(NEXT) | instid1(VALU_DEP_1)
	v_and_b32_e32 v20, 0x80000000, v20
	v_or3_b32 v40, v23, v20, v102
	s_delay_alu instid0(VALU_DEP_1)
	v_mov_b64_e32 v[102:103], v[40:41]
.LBB226_1904:                           ;   in Loop: Header=BB226_998 Depth=1
	s_or_b32 exec_lo, exec_lo, s9
.LBB226_1905:                           ;   in Loop: Header=BB226_998 Depth=1
	s_delay_alu instid0(SALU_CYCLE_1)
	s_or_b32 exec_lo, exec_lo, s8
.LBB226_1906:                           ;   in Loop: Header=BB226_998 Depth=1
	s_delay_alu instid0(SALU_CYCLE_1) | instskip(NEXT) | instid1(SALU_CYCLE_1)
	s_or_b32 exec_lo, exec_lo, s3
	s_mov_b32 s3, exec_lo
	v_cmpx_lt_u32_e32 0xffffff, v22
	s_cbranch_execz .LBB226_1914
; %bb.1907:                             ;   in Loop: Header=BB226_998 Depth=1
	v_mov_b64_e32 v[100:101], 0x8000000000000000
	v_lshrrev_b32_e32 v23, 24, v22
	s_mov_b32 s8, exec_lo
	s_delay_alu instid0(VALU_DEP_1)
	v_cmpx_ne_u32_e32 0x80, v23
	s_cbranch_execz .LBB226_1913
; %bb.1908:                             ;   in Loop: Header=BB226_998 Depth=1
	v_mov_b64_e32 v[100:101], 0x7f80000100000000
	v_bfe_u32 v112, v22, 24, 7
	s_mov_b32 s9, exec_lo
	s_delay_alu instid0(VALU_DEP_1)
	v_cmpx_ne_u32_e32 0x7f, v112
	s_cbranch_execz .LBB226_1912
; %bb.1909:                             ;   in Loop: Header=BB226_998 Depth=1
	v_dual_lshrrev_b32 v22, 3, v112 :: v_dual_bitop2_b32 v40, 7, v23 bitop3:0x40
	s_mov_b32 s16, exec_lo
	v_cmpx_gt_u32_e32 8, v112
; %bb.1910:                             ;   in Loop: Header=BB226_998 Depth=1
	s_delay_alu instid0(VALU_DEP_2) | instskip(NEXT) | instid1(VALU_DEP_1)
	v_clz_i32_u32_e32 v20, v40
	v_min_u32_e32 v20, 32, v20
	s_delay_alu instid0(VALU_DEP_1) | instskip(NEXT) | instid1(VALU_DEP_1)
	v_subrev_nc_u32_e32 v22, 28, v20
	v_lshlrev_b64_e32 v[100:101], v22, v[40:41]
	v_sub_nc_u32_e32 v22, 29, v20
	s_delay_alu instid0(VALU_DEP_2)
	v_and_b32_e32 v40, 7, v100
; %bb.1911:                             ;   in Loop: Header=BB226_998 Depth=1
	s_or_b32 exec_lo, exec_lo, s16
	s_delay_alu instid0(VALU_DEP_1) | instskip(NEXT) | instid1(VALU_DEP_3)
	v_dual_lshlrev_b32 v20, 24, v23 :: v_dual_lshlrev_b32 v23, 20, v40
	v_lshl_add_u32 v22, v22, 23, 0x3c000000
	v_mov_b32_e32 v100, v41
	s_delay_alu instid0(VALU_DEP_3) | instskip(NEXT) | instid1(VALU_DEP_1)
	v_and_b32_e32 v20, 0x80000000, v20
	v_or3_b32 v101, v23, v20, v22
.LBB226_1912:                           ;   in Loop: Header=BB226_998 Depth=1
	s_or_b32 exec_lo, exec_lo, s9
.LBB226_1913:                           ;   in Loop: Header=BB226_998 Depth=1
	s_delay_alu instid0(SALU_CYCLE_1)
	s_or_b32 exec_lo, exec_lo, s8
.LBB226_1914:                           ;   in Loop: Header=BB226_998 Depth=1
	s_delay_alu instid0(SALU_CYCLE_1) | instskip(SKIP_4) | instid1(VALU_DEP_3)
	s_or_b32 exec_lo, exec_lo, s3
	v_or_b32_e32 v11, v11, v99
	v_or_b32_e32 v10, v10, v98
	;; [unrolled: 1-line block ×4, first 2 shown]
	v_pk_mul_f32 v[100:101], v[50:51], v[10:11]
	s_delay_alu instid0(VALU_DEP_2)
	v_pk_mul_f32 v[98:99], v[50:51], v[22:23]
	s_and_saveexec_b32 s3, vcc_lo
	s_cbranch_execz .LBB226_1916
; %bb.1915:                             ;   in Loop: Header=BB226_998 Depth=1
	scratch_load_b64 v[10:11], off, s32 offset:200 ; 8-byte Folded Reload
	s_wait_loadcnt 0x0
	v_cmp_lt_i32_e64 s0, v21, v10
	s_delay_alu instid0(VALU_DEP_1) | instskip(SKIP_1) | instid1(VALU_DEP_1)
	v_cndmask_b32_e64 v100, 0, v100, s0
	v_cmp_lt_i32_e64 s0, v43, v10
	v_cndmask_b32_e64 v101, 0, v101, s0
	v_cmp_lt_i32_e64 s0, v45, v10
	s_delay_alu instid0(VALU_DEP_1) | instskip(SKIP_1) | instid1(VALU_DEP_1)
	v_cndmask_b32_e64 v98, 0, v98, s0
	v_cmp_lt_i32_e64 s0, v44, v10
	v_cndmask_b32_e64 v99, 0, v99, s0
.LBB226_1916:                           ;   in Loop: Header=BB226_998 Depth=1
	s_wait_xcnt 0x0
	s_or_b32 exec_lo, exec_lo, s3
	flat_load_b32 v22, v[68:69] offset:3456
	v_mov_b64_e32 v[10:11], 0
	v_mov_b64_e32 v[102:103], 0
	s_mov_b32 s3, exec_lo
	s_wait_loadcnt_dscnt 0x0
	v_and_b32_e32 v23, 0xff, v22
	s_wait_xcnt 0x0
	s_delay_alu instid0(VALU_DEP_1)
	v_cmpx_ne_u16_e32 0, v23
	s_cbranch_execz .LBB226_1924
; %bb.1917:                             ;   in Loop: Header=BB226_998 Depth=1
	v_mov_b64_e32 v[102:103], 0x80000000
	s_mov_b32 s8, exec_lo
	v_cmpx_ne_u16_e32 0x80, v23
	s_cbranch_execz .LBB226_1923
; %bb.1918:                             ;   in Loop: Header=BB226_998 Depth=1
	v_mov_b64_e32 v[102:103], 0x7f800001
	v_and_b32_e32 v112, 0x7f, v22
	s_mov_b32 s9, exec_lo
	s_delay_alu instid0(VALU_DEP_1)
	v_cmpx_ne_u32_e32 0x7f, v112
	s_cbranch_execz .LBB226_1922
; %bb.1919:                             ;   in Loop: Header=BB226_998 Depth=1
	v_dual_lshrrev_b32 v23, 3, v112 :: v_dual_bitop2_b32 v40, 7, v22 bitop3:0x40
	s_mov_b32 s16, exec_lo
	v_cmpx_gt_u32_e32 8, v112
; %bb.1920:                             ;   in Loop: Header=BB226_998 Depth=1
	s_delay_alu instid0(VALU_DEP_2) | instskip(NEXT) | instid1(VALU_DEP_1)
	v_clz_i32_u32_e32 v20, v40
	v_min_u32_e32 v20, 32, v20
	s_delay_alu instid0(VALU_DEP_1) | instskip(NEXT) | instid1(VALU_DEP_1)
	v_subrev_nc_u32_e32 v23, 28, v20
	v_lshlrev_b64_e32 v[102:103], v23, v[40:41]
	s_delay_alu instid0(VALU_DEP_1)
	v_dual_sub_nc_u32 v23, 29, v20 :: v_dual_bitop2_b32 v40, 7, v102 bitop3:0x40
; %bb.1921:                             ;   in Loop: Header=BB226_998 Depth=1
	s_or_b32 exec_lo, exec_lo, s16
	s_delay_alu instid0(VALU_DEP_1) | instskip(NEXT) | instid1(VALU_DEP_2)
	v_dual_lshlrev_b32 v20, 24, v22 :: v_dual_lshlrev_b32 v102, 20, v40
	v_lshl_add_u32 v23, v23, 23, 0x3c000000
	s_delay_alu instid0(VALU_DEP_2) | instskip(NEXT) | instid1(VALU_DEP_1)
	v_and_b32_e32 v20, 0x80000000, v20
	v_or3_b32 v40, v102, v20, v23
	s_delay_alu instid0(VALU_DEP_1)
	v_mov_b64_e32 v[102:103], v[40:41]
.LBB226_1922:                           ;   in Loop: Header=BB226_998 Depth=1
	s_or_b32 exec_lo, exec_lo, s9
.LBB226_1923:                           ;   in Loop: Header=BB226_998 Depth=1
	s_delay_alu instid0(SALU_CYCLE_1)
	s_or_b32 exec_lo, exec_lo, s8
.LBB226_1924:                           ;   in Loop: Header=BB226_998 Depth=1
	s_delay_alu instid0(SALU_CYCLE_1) | instskip(SKIP_2) | instid1(VALU_DEP_1)
	s_or_b32 exec_lo, exec_lo, s3
	v_lshrrev_b16 v23, 8, v22
	s_mov_b32 s3, exec_lo
	v_cmpx_ne_u16_e32 0, v23
	s_cbranch_execz .LBB226_1932
; %bb.1925:                             ;   in Loop: Header=BB226_998 Depth=1
	v_mov_b64_e32 v[10:11], 0x8000000000000000
	s_mov_b32 s8, exec_lo
	v_cmpx_ne_u16_e32 0x80, v23
	s_cbranch_execz .LBB226_1931
; %bb.1926:                             ;   in Loop: Header=BB226_998 Depth=1
	v_and_b32_e32 v112, 0xffff, v23
	v_mov_b64_e32 v[10:11], 0x7f80000100000000
	s_mov_b32 s9, exec_lo
	s_delay_alu instid0(VALU_DEP_2) | instskip(NEXT) | instid1(VALU_DEP_1)
	v_and_b32_e32 v23, 0x7f, v112
	v_cmpx_ne_u32_e32 0x7f, v23
	s_cbranch_execz .LBB226_1930
; %bb.1927:                             ;   in Loop: Header=BB226_998 Depth=1
	v_dual_lshrrev_b32 v10, 3, v23 :: v_dual_bitop2_b32 v40, 7, v112 bitop3:0x40
	s_mov_b32 s16, exec_lo
	v_cmpx_gt_u32_e32 8, v23
; %bb.1928:                             ;   in Loop: Header=BB226_998 Depth=1
	s_delay_alu instid0(VALU_DEP_2) | instskip(NEXT) | instid1(VALU_DEP_1)
	v_clz_i32_u32_e32 v10, v40
	v_min_u32_e32 v10, 32, v10
	s_delay_alu instid0(VALU_DEP_1) | instskip(NEXT) | instid1(VALU_DEP_1)
	v_subrev_nc_u32_e32 v11, 28, v10
	v_lshlrev_b64_e32 v[112:113], v11, v[40:41]
	s_delay_alu instid0(VALU_DEP_1)
	v_dual_sub_nc_u32 v10, 29, v10 :: v_dual_bitop2_b32 v40, 7, v112 bitop3:0x40
; %bb.1929:                             ;   in Loop: Header=BB226_998 Depth=1
	s_or_b32 exec_lo, exec_lo, s16
	s_delay_alu instid0(VALU_DEP_1) | instskip(NEXT) | instid1(VALU_DEP_2)
	v_dual_lshlrev_b32 v11, 16, v22 :: v_dual_lshlrev_b32 v20, 20, v40
	v_lshl_add_u32 v10, v10, 23, 0x3c000000
	s_delay_alu instid0(VALU_DEP_2) | instskip(NEXT) | instid1(VALU_DEP_1)
	v_and_b32_e32 v11, 0x80000000, v11
	v_or3_b32 v11, v20, v11, v10
	v_mov_b32_e32 v10, v41
.LBB226_1930:                           ;   in Loop: Header=BB226_998 Depth=1
	s_or_b32 exec_lo, exec_lo, s9
.LBB226_1931:                           ;   in Loop: Header=BB226_998 Depth=1
	s_delay_alu instid0(SALU_CYCLE_1)
	s_or_b32 exec_lo, exec_lo, s8
.LBB226_1932:                           ;   in Loop: Header=BB226_998 Depth=1
	s_delay_alu instid0(SALU_CYCLE_1) | instskip(SKIP_4) | instid1(VALU_DEP_3)
	s_or_b32 exec_lo, exec_lo, s3
	v_lshrrev_b32_e32 v23, 16, v22
	v_mov_b64_e32 v[112:113], 0
	v_mov_b64_e32 v[114:115], 0
	s_mov_b32 s3, exec_lo
	v_and_b32_e32 v116, 0xff, v23
	s_delay_alu instid0(VALU_DEP_1)
	v_cmpx_ne_u16_e32 0, v116
	s_cbranch_execz .LBB226_1940
; %bb.1933:                             ;   in Loop: Header=BB226_998 Depth=1
	v_mov_b64_e32 v[114:115], 0x80000000
	s_mov_b32 s8, exec_lo
	v_cmpx_ne_u16_e32 0x80, v116
	s_cbranch_execz .LBB226_1939
; %bb.1934:                             ;   in Loop: Header=BB226_998 Depth=1
	v_mov_b64_e32 v[114:115], 0x7f800001
	v_bfe_u32 v116, v22, 16, 7
	s_mov_b32 s9, exec_lo
	s_delay_alu instid0(VALU_DEP_1)
	v_cmpx_ne_u32_e32 0x7f, v116
	s_cbranch_execz .LBB226_1938
; %bb.1935:                             ;   in Loop: Header=BB226_998 Depth=1
	v_dual_lshrrev_b32 v114, 3, v116 :: v_dual_bitop2_b32 v40, 7, v23 bitop3:0x40
	s_mov_b32 s16, exec_lo
	v_cmpx_gt_u32_e32 8, v116
; %bb.1936:                             ;   in Loop: Header=BB226_998 Depth=1
	s_delay_alu instid0(VALU_DEP_2) | instskip(NEXT) | instid1(VALU_DEP_1)
	v_clz_i32_u32_e32 v20, v40
	v_min_u32_e32 v20, 32, v20
	s_delay_alu instid0(VALU_DEP_1) | instskip(NEXT) | instid1(VALU_DEP_1)
	v_subrev_nc_u32_e32 v114, 28, v20
	v_lshlrev_b64_e32 v[116:117], v114, v[40:41]
	v_sub_nc_u32_e32 v114, 29, v20
	s_delay_alu instid0(VALU_DEP_2)
	v_and_b32_e32 v40, 7, v116
; %bb.1937:                             ;   in Loop: Header=BB226_998 Depth=1
	s_or_b32 exec_lo, exec_lo, s16
	s_delay_alu instid0(VALU_DEP_1) | instskip(NEXT) | instid1(VALU_DEP_3)
	v_dual_lshlrev_b32 v20, 24, v23 :: v_dual_lshlrev_b32 v23, 20, v40
	v_lshl_add_u32 v114, v114, 23, 0x3c000000
	s_delay_alu instid0(VALU_DEP_2) | instskip(NEXT) | instid1(VALU_DEP_1)
	v_and_b32_e32 v20, 0x80000000, v20
	v_or3_b32 v40, v23, v20, v114
	s_delay_alu instid0(VALU_DEP_1)
	v_mov_b64_e32 v[114:115], v[40:41]
.LBB226_1938:                           ;   in Loop: Header=BB226_998 Depth=1
	s_or_b32 exec_lo, exec_lo, s9
.LBB226_1939:                           ;   in Loop: Header=BB226_998 Depth=1
	s_delay_alu instid0(SALU_CYCLE_1)
	s_or_b32 exec_lo, exec_lo, s8
.LBB226_1940:                           ;   in Loop: Header=BB226_998 Depth=1
	s_delay_alu instid0(SALU_CYCLE_1) | instskip(NEXT) | instid1(SALU_CYCLE_1)
	s_or_b32 exec_lo, exec_lo, s3
	s_mov_b32 s3, exec_lo
	v_cmpx_lt_u32_e32 0xffffff, v22
	s_cbranch_execz .LBB226_1948
; %bb.1941:                             ;   in Loop: Header=BB226_998 Depth=1
	v_mov_b64_e32 v[112:113], 0x8000000000000000
	v_lshrrev_b32_e32 v23, 24, v22
	s_mov_b32 s8, exec_lo
	s_delay_alu instid0(VALU_DEP_1)
	v_cmpx_ne_u32_e32 0x80, v23
	s_cbranch_execz .LBB226_1947
; %bb.1942:                             ;   in Loop: Header=BB226_998 Depth=1
	v_mov_b64_e32 v[112:113], 0x7f80000100000000
	v_bfe_u32 v116, v22, 24, 7
	s_mov_b32 s9, exec_lo
	s_delay_alu instid0(VALU_DEP_1)
	v_cmpx_ne_u32_e32 0x7f, v116
	s_cbranch_execz .LBB226_1946
; %bb.1943:                             ;   in Loop: Header=BB226_998 Depth=1
	v_dual_lshrrev_b32 v22, 3, v116 :: v_dual_bitop2_b32 v40, 7, v23 bitop3:0x40
	s_mov_b32 s16, exec_lo
	v_cmpx_gt_u32_e32 8, v116
; %bb.1944:                             ;   in Loop: Header=BB226_998 Depth=1
	s_delay_alu instid0(VALU_DEP_2) | instskip(NEXT) | instid1(VALU_DEP_1)
	v_clz_i32_u32_e32 v20, v40
	v_min_u32_e32 v20, 32, v20
	s_delay_alu instid0(VALU_DEP_1) | instskip(NEXT) | instid1(VALU_DEP_1)
	v_subrev_nc_u32_e32 v22, 28, v20
	v_lshlrev_b64_e32 v[112:113], v22, v[40:41]
	v_sub_nc_u32_e32 v22, 29, v20
	s_delay_alu instid0(VALU_DEP_2)
	v_and_b32_e32 v40, 7, v112
; %bb.1945:                             ;   in Loop: Header=BB226_998 Depth=1
	s_or_b32 exec_lo, exec_lo, s16
	s_delay_alu instid0(VALU_DEP_1) | instskip(NEXT) | instid1(VALU_DEP_3)
	v_dual_lshlrev_b32 v20, 24, v23 :: v_dual_lshlrev_b32 v23, 20, v40
	v_lshl_add_u32 v22, v22, 23, 0x3c000000
	v_mov_b32_e32 v112, v41
	s_delay_alu instid0(VALU_DEP_3) | instskip(NEXT) | instid1(VALU_DEP_1)
	v_and_b32_e32 v20, 0x80000000, v20
	v_or3_b32 v113, v23, v20, v22
.LBB226_1946:                           ;   in Loop: Header=BB226_998 Depth=1
	s_or_b32 exec_lo, exec_lo, s9
.LBB226_1947:                           ;   in Loop: Header=BB226_998 Depth=1
	s_delay_alu instid0(SALU_CYCLE_1)
	s_or_b32 exec_lo, exec_lo, s8
.LBB226_1948:                           ;   in Loop: Header=BB226_998 Depth=1
	s_delay_alu instid0(SALU_CYCLE_1) | instskip(SKIP_4) | instid1(VALU_DEP_3)
	s_or_b32 exec_lo, exec_lo, s3
	v_or_b32_e32 v11, v11, v103
	v_or_b32_e32 v10, v10, v102
	;; [unrolled: 1-line block ×4, first 2 shown]
	v_pk_mul_f32 v[112:113], v[50:51], v[10:11]
	s_delay_alu instid0(VALU_DEP_2)
	v_pk_mul_f32 v[102:103], v[50:51], v[22:23]
	s_and_saveexec_b32 s3, vcc_lo
	s_cbranch_execz .LBB226_1950
; %bb.1949:                             ;   in Loop: Header=BB226_998 Depth=1
	scratch_load_b64 v[10:11], off, s32 offset:200 ; 8-byte Folded Reload
	s_wait_loadcnt 0x0
	v_cmp_lt_i32_e64 s0, v21, v10
	s_delay_alu instid0(VALU_DEP_1) | instskip(SKIP_1) | instid1(VALU_DEP_1)
	v_cndmask_b32_e64 v112, 0, v112, s0
	v_cmp_lt_i32_e64 s0, v43, v10
	v_cndmask_b32_e64 v113, 0, v113, s0
	v_cmp_lt_i32_e64 s0, v45, v10
	s_delay_alu instid0(VALU_DEP_1) | instskip(SKIP_1) | instid1(VALU_DEP_1)
	v_cndmask_b32_e64 v102, 0, v102, s0
	v_cmp_lt_i32_e64 s0, v44, v10
	v_cndmask_b32_e64 v103, 0, v103, s0
.LBB226_1950:                           ;   in Loop: Header=BB226_998 Depth=1
	s_wait_xcnt 0x0
	s_or_b32 exec_lo, exec_lo, s3
	flat_load_b32 v22, v[68:69] offset:3584
	v_mov_b64_e32 v[10:11], 0
	v_mov_b64_e32 v[114:115], 0
	s_mov_b32 s3, exec_lo
	s_wait_loadcnt_dscnt 0x0
	v_and_b32_e32 v23, 0xff, v22
	s_wait_xcnt 0x0
	s_delay_alu instid0(VALU_DEP_1)
	v_cmpx_ne_u16_e32 0, v23
	s_cbranch_execz .LBB226_1958
; %bb.1951:                             ;   in Loop: Header=BB226_998 Depth=1
	v_mov_b64_e32 v[114:115], 0x80000000
	s_mov_b32 s8, exec_lo
	v_cmpx_ne_u16_e32 0x80, v23
	s_cbranch_execz .LBB226_1957
; %bb.1952:                             ;   in Loop: Header=BB226_998 Depth=1
	v_mov_b64_e32 v[114:115], 0x7f800001
	v_and_b32_e32 v116, 0x7f, v22
	s_mov_b32 s9, exec_lo
	s_delay_alu instid0(VALU_DEP_1)
	v_cmpx_ne_u32_e32 0x7f, v116
	s_cbranch_execz .LBB226_1956
; %bb.1953:                             ;   in Loop: Header=BB226_998 Depth=1
	v_dual_lshrrev_b32 v23, 3, v116 :: v_dual_bitop2_b32 v40, 7, v22 bitop3:0x40
	s_mov_b32 s16, exec_lo
	v_cmpx_gt_u32_e32 8, v116
; %bb.1954:                             ;   in Loop: Header=BB226_998 Depth=1
	s_delay_alu instid0(VALU_DEP_2) | instskip(NEXT) | instid1(VALU_DEP_1)
	v_clz_i32_u32_e32 v20, v40
	v_min_u32_e32 v20, 32, v20
	s_delay_alu instid0(VALU_DEP_1) | instskip(NEXT) | instid1(VALU_DEP_1)
	v_subrev_nc_u32_e32 v23, 28, v20
	v_lshlrev_b64_e32 v[114:115], v23, v[40:41]
	s_delay_alu instid0(VALU_DEP_1)
	v_dual_sub_nc_u32 v23, 29, v20 :: v_dual_bitop2_b32 v40, 7, v114 bitop3:0x40
; %bb.1955:                             ;   in Loop: Header=BB226_998 Depth=1
	s_or_b32 exec_lo, exec_lo, s16
	s_delay_alu instid0(VALU_DEP_1) | instskip(NEXT) | instid1(VALU_DEP_2)
	v_dual_lshlrev_b32 v20, 24, v22 :: v_dual_lshlrev_b32 v114, 20, v40
	v_lshl_add_u32 v23, v23, 23, 0x3c000000
	s_delay_alu instid0(VALU_DEP_2) | instskip(NEXT) | instid1(VALU_DEP_1)
	v_and_b32_e32 v20, 0x80000000, v20
	v_or3_b32 v40, v114, v20, v23
	s_delay_alu instid0(VALU_DEP_1)
	v_mov_b64_e32 v[114:115], v[40:41]
.LBB226_1956:                           ;   in Loop: Header=BB226_998 Depth=1
	s_or_b32 exec_lo, exec_lo, s9
.LBB226_1957:                           ;   in Loop: Header=BB226_998 Depth=1
	s_delay_alu instid0(SALU_CYCLE_1)
	s_or_b32 exec_lo, exec_lo, s8
.LBB226_1958:                           ;   in Loop: Header=BB226_998 Depth=1
	s_delay_alu instid0(SALU_CYCLE_1) | instskip(SKIP_2) | instid1(VALU_DEP_1)
	s_or_b32 exec_lo, exec_lo, s3
	v_lshrrev_b16 v23, 8, v22
	s_mov_b32 s3, exec_lo
	v_cmpx_ne_u16_e32 0, v23
	s_cbranch_execz .LBB226_1966
; %bb.1959:                             ;   in Loop: Header=BB226_998 Depth=1
	v_mov_b64_e32 v[10:11], 0x8000000000000000
	s_mov_b32 s8, exec_lo
	v_cmpx_ne_u16_e32 0x80, v23
	s_cbranch_execz .LBB226_1965
; %bb.1960:                             ;   in Loop: Header=BB226_998 Depth=1
	v_and_b32_e32 v116, 0xffff, v23
	v_mov_b64_e32 v[10:11], 0x7f80000100000000
	s_mov_b32 s9, exec_lo
	s_delay_alu instid0(VALU_DEP_2) | instskip(NEXT) | instid1(VALU_DEP_1)
	v_and_b32_e32 v23, 0x7f, v116
	v_cmpx_ne_u32_e32 0x7f, v23
	s_cbranch_execz .LBB226_1964
; %bb.1961:                             ;   in Loop: Header=BB226_998 Depth=1
	v_dual_lshrrev_b32 v10, 3, v23 :: v_dual_bitop2_b32 v40, 7, v116 bitop3:0x40
	s_mov_b32 s16, exec_lo
	v_cmpx_gt_u32_e32 8, v23
; %bb.1962:                             ;   in Loop: Header=BB226_998 Depth=1
	s_delay_alu instid0(VALU_DEP_2) | instskip(NEXT) | instid1(VALU_DEP_1)
	v_clz_i32_u32_e32 v10, v40
	v_min_u32_e32 v10, 32, v10
	s_delay_alu instid0(VALU_DEP_1) | instskip(NEXT) | instid1(VALU_DEP_1)
	v_subrev_nc_u32_e32 v11, 28, v10
	v_lshlrev_b64_e32 v[116:117], v11, v[40:41]
	s_delay_alu instid0(VALU_DEP_1)
	v_dual_sub_nc_u32 v10, 29, v10 :: v_dual_bitop2_b32 v40, 7, v116 bitop3:0x40
; %bb.1963:                             ;   in Loop: Header=BB226_998 Depth=1
	s_or_b32 exec_lo, exec_lo, s16
	s_delay_alu instid0(VALU_DEP_1) | instskip(NEXT) | instid1(VALU_DEP_2)
	v_dual_lshlrev_b32 v11, 16, v22 :: v_dual_lshlrev_b32 v20, 20, v40
	v_lshl_add_u32 v10, v10, 23, 0x3c000000
	s_delay_alu instid0(VALU_DEP_2) | instskip(NEXT) | instid1(VALU_DEP_1)
	v_and_b32_e32 v11, 0x80000000, v11
	v_or3_b32 v11, v20, v11, v10
	v_mov_b32_e32 v10, v41
.LBB226_1964:                           ;   in Loop: Header=BB226_998 Depth=1
	s_or_b32 exec_lo, exec_lo, s9
.LBB226_1965:                           ;   in Loop: Header=BB226_998 Depth=1
	s_delay_alu instid0(SALU_CYCLE_1)
	s_or_b32 exec_lo, exec_lo, s8
.LBB226_1966:                           ;   in Loop: Header=BB226_998 Depth=1
	s_delay_alu instid0(SALU_CYCLE_1) | instskip(SKIP_4) | instid1(VALU_DEP_3)
	s_or_b32 exec_lo, exec_lo, s3
	v_lshrrev_b32_e32 v23, 16, v22
	v_mov_b64_e32 v[116:117], 0
	v_mov_b64_e32 v[118:119], 0
	s_mov_b32 s3, exec_lo
	v_and_b32_e32 v40, 0xff, v23
	s_delay_alu instid0(VALU_DEP_1)
	v_cmpx_ne_u16_e32 0, v40
	s_cbranch_execz .LBB226_1974
; %bb.1967:                             ;   in Loop: Header=BB226_998 Depth=1
	v_mov_b64_e32 v[118:119], 0x80000000
	s_mov_b32 s8, exec_lo
	v_cmpx_ne_u16_e32 0x80, v40
	s_cbranch_execz .LBB226_1973
; %bb.1968:                             ;   in Loop: Header=BB226_998 Depth=1
	v_mov_b64_e32 v[118:119], 0x7f800001
	v_bfe_u32 v46, v22, 16, 7
	s_mov_b32 s9, exec_lo
	s_delay_alu instid0(VALU_DEP_1)
	v_cmpx_ne_u32_e32 0x7f, v46
	s_cbranch_execz .LBB226_1972
; %bb.1969:                             ;   in Loop: Header=BB226_998 Depth=1
	v_dual_lshrrev_b32 v118, 3, v46 :: v_dual_bitop2_b32 v40, 7, v23 bitop3:0x40
	s_mov_b32 s16, exec_lo
	v_cmpx_gt_u32_e32 8, v46
; %bb.1970:                             ;   in Loop: Header=BB226_998 Depth=1
	s_delay_alu instid0(VALU_DEP_2) | instskip(NEXT) | instid1(VALU_DEP_1)
	v_clz_i32_u32_e32 v20, v40
	v_min_u32_e32 v20, 32, v20
	s_delay_alu instid0(VALU_DEP_1) | instskip(NEXT) | instid1(VALU_DEP_1)
	v_subrev_nc_u32_e32 v118, 28, v20
	v_lshlrev_b64_e32 v[46:47], v118, v[40:41]
	s_delay_alu instid0(VALU_DEP_1)
	v_dual_sub_nc_u32 v118, 29, v20 :: v_dual_bitop2_b32 v40, 7, v46 bitop3:0x40
; %bb.1971:                             ;   in Loop: Header=BB226_998 Depth=1
	s_or_b32 exec_lo, exec_lo, s16
	s_delay_alu instid0(VALU_DEP_1) | instskip(NEXT) | instid1(VALU_DEP_2)
	v_dual_lshlrev_b32 v20, 24, v23 :: v_dual_lshlrev_b32 v23, 20, v40
	v_lshl_add_u32 v118, v118, 23, 0x3c000000
	s_delay_alu instid0(VALU_DEP_2) | instskip(NEXT) | instid1(VALU_DEP_1)
	v_and_b32_e32 v20, 0x80000000, v20
	v_or3_b32 v40, v23, v20, v118
	s_delay_alu instid0(VALU_DEP_1)
	v_mov_b64_e32 v[118:119], v[40:41]
.LBB226_1972:                           ;   in Loop: Header=BB226_998 Depth=1
	s_or_b32 exec_lo, exec_lo, s9
.LBB226_1973:                           ;   in Loop: Header=BB226_998 Depth=1
	s_delay_alu instid0(SALU_CYCLE_1)
	s_or_b32 exec_lo, exec_lo, s8
.LBB226_1974:                           ;   in Loop: Header=BB226_998 Depth=1
	s_delay_alu instid0(SALU_CYCLE_1) | instskip(NEXT) | instid1(SALU_CYCLE_1)
	s_or_b32 exec_lo, exec_lo, s3
	s_mov_b32 s3, exec_lo
	v_cmpx_lt_u32_e32 0xffffff, v22
	s_cbranch_execz .LBB226_1982
; %bb.1975:                             ;   in Loop: Header=BB226_998 Depth=1
	v_mov_b64_e32 v[116:117], 0x8000000000000000
	v_lshrrev_b32_e32 v23, 24, v22
	s_mov_b32 s8, exec_lo
	s_delay_alu instid0(VALU_DEP_1)
	v_cmpx_ne_u32_e32 0x80, v23
	s_cbranch_execz .LBB226_1981
; %bb.1976:                             ;   in Loop: Header=BB226_998 Depth=1
	v_mov_b64_e32 v[116:117], 0x7f80000100000000
	v_bfe_u32 v46, v22, 24, 7
	s_mov_b32 s9, exec_lo
	s_delay_alu instid0(VALU_DEP_1)
	v_cmpx_ne_u32_e32 0x7f, v46
	s_cbranch_execz .LBB226_1980
; %bb.1977:                             ;   in Loop: Header=BB226_998 Depth=1
	v_dual_lshrrev_b32 v22, 3, v46 :: v_dual_bitop2_b32 v40, 7, v23 bitop3:0x40
	s_mov_b32 s16, exec_lo
	v_cmpx_gt_u32_e32 8, v46
; %bb.1978:                             ;   in Loop: Header=BB226_998 Depth=1
	s_delay_alu instid0(VALU_DEP_2) | instskip(NEXT) | instid1(VALU_DEP_1)
	v_clz_i32_u32_e32 v20, v40
	v_min_u32_e32 v20, 32, v20
	s_delay_alu instid0(VALU_DEP_1) | instskip(NEXT) | instid1(VALU_DEP_1)
	v_subrev_nc_u32_e32 v22, 28, v20
	v_lshlrev_b64_e32 v[116:117], v22, v[40:41]
	v_sub_nc_u32_e32 v22, 29, v20
	s_delay_alu instid0(VALU_DEP_2)
	v_and_b32_e32 v40, 7, v116
; %bb.1979:                             ;   in Loop: Header=BB226_998 Depth=1
	s_or_b32 exec_lo, exec_lo, s16
	s_delay_alu instid0(VALU_DEP_1) | instskip(NEXT) | instid1(VALU_DEP_3)
	v_dual_lshlrev_b32 v20, 24, v23 :: v_dual_lshlrev_b32 v23, 20, v40
	v_lshl_add_u32 v22, v22, 23, 0x3c000000
	v_mov_b32_e32 v116, v41
	s_delay_alu instid0(VALU_DEP_3) | instskip(NEXT) | instid1(VALU_DEP_1)
	v_and_b32_e32 v20, 0x80000000, v20
	v_or3_b32 v117, v23, v20, v22
.LBB226_1980:                           ;   in Loop: Header=BB226_998 Depth=1
	s_or_b32 exec_lo, exec_lo, s9
.LBB226_1981:                           ;   in Loop: Header=BB226_998 Depth=1
	s_delay_alu instid0(SALU_CYCLE_1)
	s_or_b32 exec_lo, exec_lo, s8
.LBB226_1982:                           ;   in Loop: Header=BB226_998 Depth=1
	s_delay_alu instid0(SALU_CYCLE_1) | instskip(SKIP_4) | instid1(VALU_DEP_3)
	s_or_b32 exec_lo, exec_lo, s3
	v_or_b32_e32 v11, v11, v115
	v_or_b32_e32 v10, v10, v114
	;; [unrolled: 1-line block ×4, first 2 shown]
	v_pk_mul_f32 v[116:117], v[50:51], v[10:11]
	s_delay_alu instid0(VALU_DEP_2)
	v_pk_mul_f32 v[114:115], v[50:51], v[22:23]
	s_and_saveexec_b32 s3, vcc_lo
	s_cbranch_execz .LBB226_1984
; %bb.1983:                             ;   in Loop: Header=BB226_998 Depth=1
	scratch_load_b64 v[10:11], off, s32 offset:200 ; 8-byte Folded Reload
	s_wait_loadcnt 0x0
	v_cmp_lt_i32_e64 s0, v21, v10
	s_delay_alu instid0(VALU_DEP_1) | instskip(SKIP_1) | instid1(VALU_DEP_1)
	v_cndmask_b32_e64 v116, 0, v116, s0
	v_cmp_lt_i32_e64 s0, v43, v10
	v_cndmask_b32_e64 v117, 0, v117, s0
	v_cmp_lt_i32_e64 s0, v45, v10
	s_delay_alu instid0(VALU_DEP_1) | instskip(SKIP_1) | instid1(VALU_DEP_1)
	v_cndmask_b32_e64 v114, 0, v114, s0
	v_cmp_lt_i32_e64 s0, v44, v10
	v_cndmask_b32_e64 v115, 0, v115, s0
.LBB226_1984:                           ;   in Loop: Header=BB226_998 Depth=1
	s_wait_xcnt 0x0
	s_or_b32 exec_lo, exec_lo, s3
	flat_load_b32 v44, v[68:69] offset:3712
	v_mov_b64_e32 v[10:11], 0
	s_wait_xcnt 0x0
	v_mov_b64_e32 v[68:69], 0
	s_mov_b32 s3, exec_lo
	s_wait_loadcnt_dscnt 0x0
	v_and_b32_e32 v22, 0xff, v44
	s_delay_alu instid0(VALU_DEP_1)
	v_cmpx_ne_u16_e32 0, v22
	s_cbranch_execz .LBB226_1992
; %bb.1985:                             ;   in Loop: Header=BB226_998 Depth=1
	v_mov_b64_e32 v[68:69], 0x80000000
	s_mov_b32 s8, exec_lo
	v_cmpx_ne_u16_e32 0x80, v22
	s_cbranch_execz .LBB226_1991
; %bb.1986:                             ;   in Loop: Header=BB226_998 Depth=1
	v_mov_b64_e32 v[68:69], 0x7f800001
	v_and_b32_e32 v23, 0x7f, v44
	s_mov_b32 s9, exec_lo
	s_delay_alu instid0(VALU_DEP_1)
	v_cmpx_ne_u32_e32 0x7f, v23
	s_cbranch_execz .LBB226_1990
; %bb.1987:                             ;   in Loop: Header=BB226_998 Depth=1
	v_dual_lshrrev_b32 v22, 3, v23 :: v_dual_bitop2_b32 v40, 7, v44 bitop3:0x40
	s_mov_b32 s16, exec_lo
	v_cmpx_gt_u32_e32 8, v23
; %bb.1988:                             ;   in Loop: Header=BB226_998 Depth=1
	s_delay_alu instid0(VALU_DEP_2) | instskip(NEXT) | instid1(VALU_DEP_1)
	v_clz_i32_u32_e32 v20, v40
	v_min_u32_e32 v20, 32, v20
	s_delay_alu instid0(VALU_DEP_1) | instskip(NEXT) | instid1(VALU_DEP_1)
	v_subrev_nc_u32_e32 v22, 28, v20
	v_lshlrev_b64_e32 v[68:69], v22, v[40:41]
	v_sub_nc_u32_e32 v22, 29, v20
	s_delay_alu instid0(VALU_DEP_2)
	v_and_b32_e32 v40, 7, v68
; %bb.1989:                             ;   in Loop: Header=BB226_998 Depth=1
	s_or_b32 exec_lo, exec_lo, s16
	v_lshlrev_b32_e32 v20, 24, v44
	s_delay_alu instid0(VALU_DEP_2) | instskip(SKIP_1) | instid1(VALU_DEP_3)
	v_lshlrev_b32_e32 v23, 20, v40
	v_lshl_add_u32 v22, v22, 23, 0x3c000000
	v_and_b32_e32 v20, 0x80000000, v20
	s_delay_alu instid0(VALU_DEP_1) | instskip(NEXT) | instid1(VALU_DEP_1)
	v_or3_b32 v40, v23, v20, v22
	v_mov_b64_e32 v[68:69], v[40:41]
.LBB226_1990:                           ;   in Loop: Header=BB226_998 Depth=1
	s_or_b32 exec_lo, exec_lo, s9
.LBB226_1991:                           ;   in Loop: Header=BB226_998 Depth=1
	s_delay_alu instid0(SALU_CYCLE_1)
	s_or_b32 exec_lo, exec_lo, s8
.LBB226_1992:                           ;   in Loop: Header=BB226_998 Depth=1
	s_delay_alu instid0(SALU_CYCLE_1) | instskip(SKIP_2) | instid1(VALU_DEP_1)
	s_or_b32 exec_lo, exec_lo, s3
	v_lshrrev_b16 v22, 8, v44
	s_mov_b32 s3, exec_lo
	v_cmpx_ne_u16_e32 0, v22
	s_cbranch_execz .LBB226_2000
; %bb.1993:                             ;   in Loop: Header=BB226_998 Depth=1
	v_mov_b64_e32 v[10:11], 0x8000000000000000
	s_mov_b32 s8, exec_lo
	v_cmpx_ne_u16_e32 0x80, v22
	s_cbranch_execz .LBB226_1999
; %bb.1994:                             ;   in Loop: Header=BB226_998 Depth=1
	v_and_b32_e32 v23, 0xffff, v22
	v_mov_b64_e32 v[10:11], 0x7f80000100000000
	s_mov_b32 s9, exec_lo
	s_delay_alu instid0(VALU_DEP_2) | instskip(NEXT) | instid1(VALU_DEP_1)
	v_and_b32_e32 v22, 0x7f, v23
	v_cmpx_ne_u32_e32 0x7f, v22
	s_cbranch_execz .LBB226_1998
; %bb.1995:                             ;   in Loop: Header=BB226_998 Depth=1
	v_dual_lshrrev_b32 v10, 3, v22 :: v_dual_bitop2_b32 v40, 7, v23 bitop3:0x40
	s_mov_b32 s16, exec_lo
	v_cmpx_gt_u32_e32 8, v22
; %bb.1996:                             ;   in Loop: Header=BB226_998 Depth=1
	s_delay_alu instid0(VALU_DEP_2) | instskip(NEXT) | instid1(VALU_DEP_1)
	v_clz_i32_u32_e32 v10, v40
	v_min_u32_e32 v10, 32, v10
	s_delay_alu instid0(VALU_DEP_1) | instskip(SKIP_1) | instid1(VALU_DEP_2)
	v_subrev_nc_u32_e32 v11, 28, v10
	v_sub_nc_u32_e32 v10, 29, v10
	v_lshlrev_b64_e32 v[22:23], v11, v[40:41]
	s_delay_alu instid0(VALU_DEP_1)
	v_and_b32_e32 v40, 7, v22
; %bb.1997:                             ;   in Loop: Header=BB226_998 Depth=1
	s_or_b32 exec_lo, exec_lo, s16
	v_lshlrev_b32_e32 v11, 16, v44
	s_delay_alu instid0(VALU_DEP_2) | instskip(SKIP_1) | instid1(VALU_DEP_3)
	v_lshlrev_b32_e32 v20, 20, v40
	v_lshl_add_u32 v10, v10, 23, 0x3c000000
	v_and_b32_e32 v11, 0x80000000, v11
	s_delay_alu instid0(VALU_DEP_1)
	v_or3_b32 v11, v20, v11, v10
	v_mov_b32_e32 v10, v41
.LBB226_1998:                           ;   in Loop: Header=BB226_998 Depth=1
	s_or_b32 exec_lo, exec_lo, s9
.LBB226_1999:                           ;   in Loop: Header=BB226_998 Depth=1
	s_delay_alu instid0(SALU_CYCLE_1)
	s_or_b32 exec_lo, exec_lo, s8
.LBB226_2000:                           ;   in Loop: Header=BB226_998 Depth=1
	s_delay_alu instid0(SALU_CYCLE_1) | instskip(SKIP_4) | instid1(VALU_DEP_3)
	s_or_b32 exec_lo, exec_lo, s3
	v_lshrrev_b32_e32 v45, 16, v44
	v_mov_b64_e32 v[118:119], 0
	v_mov_b64_e32 v[22:23], 0
	s_mov_b32 s3, exec_lo
	v_and_b32_e32 v40, 0xff, v45
	s_delay_alu instid0(VALU_DEP_1)
	v_cmpx_ne_u16_e32 0, v40
	s_cbranch_execz .LBB226_2008
; %bb.2001:                             ;   in Loop: Header=BB226_998 Depth=1
	v_mov_b64_e32 v[22:23], 0x80000000
	s_mov_b32 s8, exec_lo
	v_cmpx_ne_u16_e32 0x80, v40
	s_cbranch_execz .LBB226_2007
; %bb.2002:                             ;   in Loop: Header=BB226_998 Depth=1
	v_mov_b64_e32 v[22:23], 0x7f800001
	v_bfe_u32 v46, v44, 16, 7
	s_mov_b32 s9, exec_lo
	s_delay_alu instid0(VALU_DEP_1)
	v_cmpx_ne_u32_e32 0x7f, v46
	s_cbranch_execz .LBB226_2006
; %bb.2003:                             ;   in Loop: Header=BB226_998 Depth=1
	v_dual_lshrrev_b32 v22, 3, v46 :: v_dual_bitop2_b32 v40, 7, v45 bitop3:0x40
	s_mov_b32 s16, exec_lo
	v_cmpx_gt_u32_e32 8, v46
; %bb.2004:                             ;   in Loop: Header=BB226_998 Depth=1
	s_delay_alu instid0(VALU_DEP_2) | instskip(NEXT) | instid1(VALU_DEP_1)
	v_clz_i32_u32_e32 v20, v40
	v_min_u32_e32 v20, 32, v20
	s_delay_alu instid0(VALU_DEP_1) | instskip(NEXT) | instid1(VALU_DEP_1)
	v_subrev_nc_u32_e32 v22, 28, v20
	v_lshlrev_b64_e32 v[46:47], v22, v[40:41]
	s_delay_alu instid0(VALU_DEP_1)
	v_dual_sub_nc_u32 v22, 29, v20 :: v_dual_bitop2_b32 v40, 7, v46 bitop3:0x40
; %bb.2005:                             ;   in Loop: Header=BB226_998 Depth=1
	s_or_b32 exec_lo, exec_lo, s16
	s_delay_alu instid0(VALU_DEP_1) | instskip(NEXT) | instid1(VALU_DEP_2)
	v_dual_lshlrev_b32 v20, 24, v45 :: v_dual_lshlrev_b32 v23, 20, v40
	v_lshl_add_u32 v22, v22, 23, 0x3c000000
	s_delay_alu instid0(VALU_DEP_2) | instskip(NEXT) | instid1(VALU_DEP_1)
	v_and_b32_e32 v20, 0x80000000, v20
	v_or3_b32 v40, v23, v20, v22
	s_delay_alu instid0(VALU_DEP_1)
	v_mov_b64_e32 v[22:23], v[40:41]
.LBB226_2006:                           ;   in Loop: Header=BB226_998 Depth=1
	s_or_b32 exec_lo, exec_lo, s9
.LBB226_2007:                           ;   in Loop: Header=BB226_998 Depth=1
	s_delay_alu instid0(SALU_CYCLE_1)
	s_or_b32 exec_lo, exec_lo, s8
.LBB226_2008:                           ;   in Loop: Header=BB226_998 Depth=1
	s_delay_alu instid0(SALU_CYCLE_1) | instskip(NEXT) | instid1(SALU_CYCLE_1)
	s_or_b32 exec_lo, exec_lo, s3
	s_mov_b32 s3, exec_lo
	v_cmpx_lt_u32_e32 0xffffff, v44
	s_cbranch_execz .LBB226_2016
; %bb.2009:                             ;   in Loop: Header=BB226_998 Depth=1
	v_mov_b64_e32 v[118:119], 0x8000000000000000
	v_lshrrev_b32_e32 v45, 24, v44
	s_mov_b32 s8, exec_lo
	s_delay_alu instid0(VALU_DEP_1)
	v_cmpx_ne_u32_e32 0x80, v45
	s_cbranch_execz .LBB226_2015
; %bb.2010:                             ;   in Loop: Header=BB226_998 Depth=1
	v_mov_b64_e32 v[118:119], 0x7f80000100000000
	v_bfe_u32 v44, v44, 24, 7
	s_mov_b32 s9, exec_lo
	s_delay_alu instid0(VALU_DEP_1)
	v_cmpx_ne_u32_e32 0x7f, v44
	s_cbranch_execz .LBB226_2014
; %bb.2011:                             ;   in Loop: Header=BB226_998 Depth=1
	v_dual_lshrrev_b32 v118, 3, v44 :: v_dual_bitop2_b32 v40, 7, v45 bitop3:0x40
	s_mov_b32 s16, exec_lo
	v_cmpx_gt_u32_e32 8, v44
; %bb.2012:                             ;   in Loop: Header=BB226_998 Depth=1
	s_delay_alu instid0(VALU_DEP_2) | instskip(NEXT) | instid1(VALU_DEP_1)
	v_clz_i32_u32_e32 v20, v40
	v_min_u32_e32 v20, 32, v20
	s_delay_alu instid0(VALU_DEP_1) | instskip(NEXT) | instid1(VALU_DEP_1)
	v_subrev_nc_u32_e32 v118, 28, v20
	v_lshlrev_b64_e32 v[46:47], v118, v[40:41]
	s_delay_alu instid0(VALU_DEP_1)
	v_dual_sub_nc_u32 v118, 29, v20 :: v_dual_bitop2_b32 v40, 7, v46 bitop3:0x40
; %bb.2013:                             ;   in Loop: Header=BB226_998 Depth=1
	s_or_b32 exec_lo, exec_lo, s16
	s_delay_alu instid0(VALU_DEP_1) | instskip(NEXT) | instid1(VALU_DEP_2)
	v_dual_lshlrev_b32 v20, 24, v45 :: v_dual_lshlrev_b32 v119, 20, v40
	v_lshl_add_u32 v118, v118, 23, 0x3c000000
	s_delay_alu instid0(VALU_DEP_2) | instskip(NEXT) | instid1(VALU_DEP_1)
	v_and_b32_e32 v20, 0x80000000, v20
	v_or3_b32 v119, v119, v20, v118
	v_mov_b32_e32 v118, v41
.LBB226_2014:                           ;   in Loop: Header=BB226_998 Depth=1
	s_or_b32 exec_lo, exec_lo, s9
.LBB226_2015:                           ;   in Loop: Header=BB226_998 Depth=1
	s_delay_alu instid0(SALU_CYCLE_1)
	s_or_b32 exec_lo, exec_lo, s8
.LBB226_2016:                           ;   in Loop: Header=BB226_998 Depth=1
	s_delay_alu instid0(SALU_CYCLE_1) | instskip(SKIP_4) | instid1(VALU_DEP_3)
	s_or_b32 exec_lo, exec_lo, s3
	v_or_b32_e32 v11, v11, v69
	v_or_b32_e32 v10, v10, v68
	;; [unrolled: 1-line block ×4, first 2 shown]
	v_pk_mul_f32 v[10:11], v[50:51], v[10:11]
	s_delay_alu instid0(VALU_DEP_2)
	v_pk_mul_f32 v[68:69], v[50:51], v[22:23]
	s_and_saveexec_b32 s3, vcc_lo
	s_cbranch_execz .LBB226_997
; %bb.2017:                             ;   in Loop: Header=BB226_998 Depth=1
	scratch_load_b64 v[22:23], off, s32 offset:200 ; 8-byte Folded Reload
	s_wait_loadcnt 0x0
	v_dual_mov_b32 v118, v22 :: v_dual_bitop2_b32 v20, 3, v21 bitop3:0x54
	scratch_load_b64 v[22:23], off, s32 offset:396 ; 8-byte Folded Reload
	s_wait_loadcnt 0x0
	v_or_b32_e32 v22, 2, v21
	v_cmp_lt_i32_e64 s0, v43, v23
	s_delay_alu instid0(VALU_DEP_1) | instskip(SKIP_4) | instid1(VALU_DEP_3)
	v_cndmask_b32_e64 v11, 0, v11, s0
	v_cmp_lt_i32_e32 vcc_lo, v21, v118
	v_cmp_lt_i32_e64 s0, v20, v23
	v_cndmask_b32_e32 v10, 0, v10, vcc_lo
	v_cmp_lt_i32_e32 vcc_lo, v22, v118
	v_dual_cndmask_b32 v69, 0, v69, s0 :: v_dual_cndmask_b32 v68, 0, v68, vcc_lo
	s_branch .LBB226_997
.LBB226_2018:
	s_or_b32 exec_lo, exec_lo, s2
	s_clause 0x3
	scratch_load_b32 v51, off, s32 offset:404
	scratch_load_b32 v96, off, s32 offset:412
	;; [unrolled: 1-line block ×4, first 2 shown]
	v_mov_b64_e32 v[0:1], s[10:11]
.LBB226_2019:
	s_wait_xcnt 0x0
	s_or_b32 exec_lo, exec_lo, s1
	s_wait_loadcnt 0x1
	ds_bpermute_b32 v4, v81, v36
	ds_bpermute_b32 v5, v81, v37
	v_lshl_add_u64 v[0:1], v[0:1], 2, s[6:7]
	ds_bpermute_b32 v10, v81, v34
	ds_bpermute_b32 v11, v81, v35
	;; [unrolled: 1-line block ×4, first 2 shown]
	s_wait_storecnt 0x0
	s_wait_loadcnt_dscnt 0x0
	s_barrier_signal -1
	s_barrier_wait -1
	global_load_b32 v50, v[0:1], off
	s_wait_xcnt 0x0
	ds_bpermute_b32 v0, v81, v48
	ds_bpermute_b32 v1, v81, v49
	;; [unrolled: 1-line block ×9, first 2 shown]
	v_pk_add_f32 v[4:5], v[36:37], v[4:5]
	ds_bpermute_b32 v71, v81, v9
	s_mov_b32 s0, exec_lo
	v_pk_add_f32 v[10:11], v[34:35], v[10:11]
	ds_bpermute_b32 v34, v96, v4
	ds_bpermute_b32 v35, v96, v5
	v_pk_add_f32 v[20:21], v[32:33], v[20:21]
	ds_bpermute_b32 v32, v96, v10
	ds_bpermute_b32 v33, v96, v11
	s_wait_dscnt 0xc
	v_pk_add_f32 v[0:1], v[48:49], v[0:1]
	ds_bpermute_b32 v48, v96, v20
	ds_bpermute_b32 v49, v96, v21
	s_wait_dscnt 0xc
	v_pk_add_f32 v[2:3], v[38:39], v[2:3]
	ds_bpermute_b32 v38, v81, v30
	ds_bpermute_b32 v22, v96, v0
	;; [unrolled: 1-line block ×6, first 2 shown]
	s_wait_dscnt 0x10
	v_pk_add_f32 v[16:17], v[16:17], v[66:67]
	s_wait_dscnt 0xe
	v_pk_add_f32 v[12:13], v[12:13], v[68:69]
	;; [unrolled: 2-line block ×4, first 2 shown]
	ds_bpermute_b32 v34, v81, v26
	ds_bpermute_b32 v35, v81, v27
	s_wait_dscnt 0xa
	v_pk_add_f32 v[10:11], v[10:11], v[32:33]
	ds_bpermute_b32 v84, v96, v16
	ds_bpermute_b32 v32, v51, v4
	;; [unrolled: 1-line block ×4, first 2 shown]
	s_wait_dscnt 0xc
	v_pk_add_f32 v[48:49], v[20:21], v[48:49]
	ds_bpermute_b32 v20, v81, v24
	ds_bpermute_b32 v21, v81, v25
	;; [unrolled: 1-line block ×3, first 2 shown]
	s_wait_dscnt 0xc
	v_pk_add_f32 v[0:1], v[0:1], v[22:23]
	s_wait_dscnt 0xb
	v_pk_add_f32 v[22:23], v[30:31], v[38:39]
	ds_bpermute_b32 v30, v81, v28
	ds_bpermute_b32 v31, v81, v29
	s_wait_dscnt 0xb
	v_pk_add_f32 v[2:3], v[2:3], v[36:37]
	ds_bpermute_b32 v38, v51, v0
	ds_bpermute_b32 v39, v51, v1
	;; [unrolled: 1-line block ×5, first 2 shown]
	s_wait_dscnt 0xe
	v_pk_add_f32 v[26:27], v[26:27], v[34:35]
	ds_bpermute_b32 v34, v81, v14
	ds_bpermute_b32 v35, v81, v15
	;; [unrolled: 1-line block ×6, first 2 shown]
	s_wait_dscnt 0x10
	v_pk_add_f32 v[84:85], v[16:17], v[84:85]
	s_wait_dscnt 0xe
	v_pk_add_f32 v[20:21], v[24:25], v[20:21]
	ds_bpermute_b32 v24, v81, v6
	ds_bpermute_b32 v25, v81, v7
	ds_bpermute_b32 v54, v51, v10
	ds_bpermute_b32 v55, v51, v11
	s_wait_dscnt 0xf
	v_pk_add_f32 v[28:29], v[28:29], v[30:31]
	ds_bpermute_b32 v30, v81, v18
	ds_bpermute_b32 v31, v81, v19
	;; [unrolled: 1-line block ×4, first 2 shown]
	s_wait_dscnt 0xf
	v_pk_add_f32 v[36:37], v[22:23], v[36:37]
	ds_bpermute_b32 v22, v96, v28
	ds_bpermute_b32 v23, v96, v29
	s_wait_dscnt 0x10
	v_pk_add_f32 v[68:69], v[8:9], v[68:69]
	s_wait_dscnt 0xe
	v_pk_add_f32 v[14:15], v[14:15], v[34:35]
	ds_bpermute_b32 v80, v51, v36
	ds_bpermute_b32 v81, v51, v37
	;; [unrolled: 1-line block ×3, first 2 shown]
	s_wait_dscnt 0xd
	v_pk_add_f32 v[82:83], v[26:27], v[82:83]
	v_pk_add_f32 v[26:27], v[4:5], v[32:33]
	scratch_load_b32 v32, off, s32 offset:1344 th:TH_LOAD_LU ; 4-byte Folded Reload
	ds_bpermute_b32 v113, v51, v85
	s_wait_dscnt 0xc
	v_pk_add_f32 v[6:7], v[6:7], v[24:25]
	v_pk_add_f32 v[24:25], v[0:1], v[38:39]
	scratch_load_b32 v0, off, s32 offset:1340 ; 4-byte Folded Reload
	ds_bpermute_b32 v97, v51, v83
	ds_bpermute_b32 v40, v51, v68
	s_wait_dscnt 0xa
	v_pk_add_f32 v[18:19], v[18:19], v[30:31]
	ds_bpermute_b32 v30, v96, v20
	ds_bpermute_b32 v31, v96, v21
	;; [unrolled: 1-line block ×5, first 2 shown]
	s_wait_dscnt 0xb
	v_pk_add_f32 v[34:35], v[28:29], v[22:23]
	ds_bpermute_b32 v22, v96, v14
	ds_bpermute_b32 v23, v96, v15
	;; [unrolled: 1-line block ×6, first 2 shown]
	s_wait_dscnt 0xf
	v_pk_add_f32 v[16:17], v[36:37], v[80:81]
	s_wait_dscnt 0xd
	v_pk_add_f32 v[4:5], v[84:85], v[112:113]
	;; [unrolled: 2-line block ×3, first 2 shown]
	ds_bpermute_b32 v20, v96, v6
	ds_bpermute_b32 v21, v96, v7
	;; [unrolled: 1-line block ×3, first 2 shown]
	s_wait_dscnt 0x9
	v_pk_add_f32 v[66:67], v[18:19], v[66:67]
	ds_bpermute_b32 v98, v51, v86
	ds_bpermute_b32 v99, v51, v87
	s_wait_dscnt 0x9
	v_pk_add_f32 v[102:103], v[14:15], v[22:23]
	v_pk_add_f32 v[22:23], v[10:11], v[54:55]
	s_wait_dscnt 0x7
	v_pk_add_f32 v[114:115], v[12:13], v[28:29]
	ds_bpermute_b32 v100, v51, v66
	ds_bpermute_b32 v101, v51, v67
	;; [unrolled: 1-line block ×6, first 2 shown]
	v_pk_add_f32 v[18:19], v[48:49], v[64:65]
	s_wait_dscnt 0xb
	v_pk_add_f32 v[14:15], v[34:35], v[70:71]
	s_wait_dscnt 0x9
	v_pk_add_f32 v[28:29], v[6:7], v[20:21]
	v_pk_add_f32 v[20:21], v[2:3], v[52:53]
	s_wait_dscnt 0x8
	v_pk_add_f32 v[12:13], v[82:83], v[96:97]
	s_wait_dscnt 0x6
	v_pk_add_f32 v[10:11], v[86:87], v[98:99]
	ds_bpermute_b32 v30, v51, v28
	ds_bpermute_b32 v31, v51, v29
	s_wait_dscnt 0x6
	v_pk_add_f32 v[8:9], v[66:67], v[100:101]
	s_wait_dscnt 0x4
	v_pk_add_f32 v[6:7], v[102:103], v[116:117]
	;; [unrolled: 2-line block ×3, first 2 shown]
	s_wait_loadcnt 0x1
	v_lshrrev_b32_e32 v32, 3, v32
	s_wait_loadcnt 0x0
	v_and_b32_e32 v33, 0x3c7, v0
	v_pk_add_f32 v[0:1], v[68:69], v[40:41]
	s_delay_alu instid0(VALU_DEP_2) | instskip(SKIP_1) | instid1(SALU_CYCLE_1)
	v_cmpx_ne_u32_e32 64, v33
	s_xor_b32 s0, exec_lo, s0
	s_or_saveexec_b32 s0, s0
	s_wait_dscnt 0x0
	v_pk_add_f32 v[28:29], v[28:29], v[30:31]
	scratch_load_b32 v30, off, s32 offset:1348 th:TH_LOAD_LU ; 4-byte Folded Reload
	v_lshl_add_u32 v31, v32, 2, v50
	s_wait_loadcnt 0x0
	v_mul_u32_u24_e32 v30, 0x1e0, v30
	s_xor_b32 exec_lo, exec_lo, s0
	s_cbranch_execz .LBB226_2021
; %bb.2020:
	s_delay_alu instid0(VALU_DEP_1) | instskip(NEXT) | instid1(VALU_DEP_1)
	v_add_nc_u32_e32 v33, v31, v30
	v_add_nc_u32_e32 v34, 0xfffffc40, v33
	v_add_nc_u32_e32 v35, 0xfffffc50, v33
	v_add_nc_u32_e32 v36, 0xfffffc60, v33
	v_add_nc_u32_e32 v37, 0xfffffc70, v33
	v_add_nc_u32_e32 v38, 0xfffffc80, v33
	v_add_nc_u32_e32 v39, 0xfffffc90, v33
	v_add_nc_u32_e32 v48, 0xfffffca0, v33
	v_add_nc_u32_e32 v49, 0xfffffcb0, v33
	ds_store_b32 v34, v24
	ds_store_b32 v35, v25
	;; [unrolled: 1-line block ×8, first 2 shown]
	v_add_nc_u32_e32 v34, 0xfffffcc0, v33
	v_add_nc_u32_e32 v35, 0xfffffcd0, v33
	;; [unrolled: 1-line block ×8, first 2 shown]
	ds_store_b32 v34, v18
	ds_store_b32 v35, v19
	;; [unrolled: 1-line block ×8, first 2 shown]
	v_add_nc_u32_e32 v34, 0xfffffd40, v33
	v_add_nc_u32_e32 v35, 0xfffffd50, v33
	;; [unrolled: 1-line block ×8, first 2 shown]
	ds_store_b32 v34, v10
	ds_store_b32 v35, v11
	;; [unrolled: 1-line block ×8, first 2 shown]
	v_add_nc_u32_e32 v34, 0xfffffdc0, v33
	v_add_nc_u32_e32 v35, 0xfffffdd0, v33
	;; [unrolled: 1-line block ×6, first 2 shown]
	ds_store_b32 v34, v2
	ds_store_b32 v35, v3
	;; [unrolled: 1-line block ×6, first 2 shown]
.LBB226_2021:
	s_or_b32 exec_lo, exec_lo, s0
	v_lshlrev_b32_e32 v32, 2, v32
	s_mov_b32 s1, exec_lo
	v_cmp_eq_u32_e32 vcc_lo, 0, v42
	s_delay_alu instid0(VALU_DEP_2)
	v_add3_u32 v30, v50, v30, v32
	scratch_load_b32 v32, off, s32 offset:1340 ; 4-byte Folded Reload
	s_wait_loadcnt_dscnt 0x0
	s_barrier_signal -1
	s_barrier_wait -1
	v_cmpx_gt_u32_e32 64, v32
	s_cbranch_execz .LBB226_2054
; %bb.2022:
	s_and_saveexec_b32 s0, vcc_lo
	s_cbranch_execnz .LBB226_2092
; %bb.2023:
	s_or_b32 exec_lo, exec_lo, s0
	s_and_saveexec_b32 s0, vcc_lo
	s_cbranch_execnz .LBB226_2093
.LBB226_2024:
	s_or_b32 exec_lo, exec_lo, s0
	s_and_saveexec_b32 s0, vcc_lo
	s_cbranch_execnz .LBB226_2094
.LBB226_2025:
	s_or_b32 exec_lo, exec_lo, s0
	s_and_saveexec_b32 s0, vcc_lo
	s_cbranch_execnz .LBB226_2095
.LBB226_2026:
	s_or_b32 exec_lo, exec_lo, s0
	s_and_saveexec_b32 s0, vcc_lo
	s_cbranch_execnz .LBB226_2096
.LBB226_2027:
	s_or_b32 exec_lo, exec_lo, s0
	s_and_saveexec_b32 s0, vcc_lo
	s_cbranch_execnz .LBB226_2097
.LBB226_2028:
	s_or_b32 exec_lo, exec_lo, s0
	s_and_saveexec_b32 s0, vcc_lo
	s_cbranch_execnz .LBB226_2098
.LBB226_2029:
	s_or_b32 exec_lo, exec_lo, s0
	s_and_saveexec_b32 s0, vcc_lo
	s_cbranch_execnz .LBB226_2099
.LBB226_2030:
	s_or_b32 exec_lo, exec_lo, s0
	s_and_saveexec_b32 s0, vcc_lo
	s_cbranch_execnz .LBB226_2100
.LBB226_2031:
	s_or_b32 exec_lo, exec_lo, s0
	s_and_saveexec_b32 s0, vcc_lo
	s_cbranch_execnz .LBB226_2101
.LBB226_2032:
	s_or_b32 exec_lo, exec_lo, s0
	s_and_saveexec_b32 s0, vcc_lo
	s_cbranch_execnz .LBB226_2102
.LBB226_2033:
	s_or_b32 exec_lo, exec_lo, s0
	s_and_saveexec_b32 s0, vcc_lo
	s_cbranch_execnz .LBB226_2103
.LBB226_2034:
	s_or_b32 exec_lo, exec_lo, s0
	s_and_saveexec_b32 s0, vcc_lo
	s_cbranch_execnz .LBB226_2104
.LBB226_2035:
	s_or_b32 exec_lo, exec_lo, s0
	s_and_saveexec_b32 s0, vcc_lo
	s_cbranch_execnz .LBB226_2105
.LBB226_2036:
	s_or_b32 exec_lo, exec_lo, s0
	s_and_saveexec_b32 s0, vcc_lo
	s_cbranch_execnz .LBB226_2106
.LBB226_2037:
	s_or_b32 exec_lo, exec_lo, s0
	s_and_saveexec_b32 s0, vcc_lo
	s_cbranch_execnz .LBB226_2107
.LBB226_2038:
	s_or_b32 exec_lo, exec_lo, s0
	s_and_saveexec_b32 s0, vcc_lo
	s_cbranch_execnz .LBB226_2108
.LBB226_2039:
	s_or_b32 exec_lo, exec_lo, s0
	s_and_saveexec_b32 s0, vcc_lo
	s_cbranch_execnz .LBB226_2109
.LBB226_2040:
	s_or_b32 exec_lo, exec_lo, s0
	s_and_saveexec_b32 s0, vcc_lo
	s_cbranch_execnz .LBB226_2110
.LBB226_2041:
	s_or_b32 exec_lo, exec_lo, s0
	s_and_saveexec_b32 s0, vcc_lo
	s_cbranch_execnz .LBB226_2111
.LBB226_2042:
	s_or_b32 exec_lo, exec_lo, s0
	s_and_saveexec_b32 s0, vcc_lo
	s_cbranch_execnz .LBB226_2112
.LBB226_2043:
	s_or_b32 exec_lo, exec_lo, s0
	s_and_saveexec_b32 s0, vcc_lo
	s_cbranch_execnz .LBB226_2113
.LBB226_2044:
	s_or_b32 exec_lo, exec_lo, s0
	s_and_saveexec_b32 s0, vcc_lo
	s_cbranch_execnz .LBB226_2114
.LBB226_2045:
	s_or_b32 exec_lo, exec_lo, s0
	s_and_saveexec_b32 s0, vcc_lo
	s_cbranch_execnz .LBB226_2115
.LBB226_2046:
	s_or_b32 exec_lo, exec_lo, s0
	s_and_saveexec_b32 s0, vcc_lo
	s_cbranch_execnz .LBB226_2116
.LBB226_2047:
	s_or_b32 exec_lo, exec_lo, s0
	s_and_saveexec_b32 s0, vcc_lo
	s_cbranch_execnz .LBB226_2117
.LBB226_2048:
	s_or_b32 exec_lo, exec_lo, s0
	s_and_saveexec_b32 s0, vcc_lo
	s_cbranch_execnz .LBB226_2118
.LBB226_2049:
	s_or_b32 exec_lo, exec_lo, s0
	s_and_saveexec_b32 s0, vcc_lo
	s_cbranch_execnz .LBB226_2119
.LBB226_2050:
	s_or_b32 exec_lo, exec_lo, s0
	s_and_saveexec_b32 s0, vcc_lo
	s_cbranch_execnz .LBB226_2120
.LBB226_2051:
	s_or_b32 exec_lo, exec_lo, s0
	s_and_saveexec_b32 s0, vcc_lo
	s_cbranch_execz .LBB226_2053
.LBB226_2052:
	ds_load_b32 v32, v30 offset:464
	s_wait_dscnt 0x0
	v_add_f32_e32 v29, v32, v29
.LBB226_2053:
	s_or_b32 exec_lo, exec_lo, s0
.LBB226_2054:
	s_delay_alu instid0(SALU_CYCLE_1)
	s_or_b32 exec_lo, exec_lo, s1
	scratch_load_b32 v32, off, s32 offset:1340 ; 4-byte Folded Reload
	s_mov_b32 s1, exec_lo
	s_wait_loadcnt 0x0
	s_barrier_signal -1
	s_barrier_wait -1
	v_and_b32_e32 v32, 0x3e7, v32
	s_wait_xcnt 0x0
	s_delay_alu instid0(VALU_DEP_1)
	v_cmpx_eq_u32_e32 32, v32
	s_cbranch_execz .LBB226_2056
; %bb.2055:
	ds_store_2addr_b32 v31, v24, v25 offset1:4
	ds_store_2addr_b32 v31, v20, v21 offset0:8 offset1:12
	ds_store_2addr_b32 v31, v26, v27 offset0:16 offset1:20
	;; [unrolled: 1-line block ×14, first 2 shown]
.LBB226_2056:
	s_or_b32 exec_lo, exec_lo, s1
	scratch_load_b32 v31, off, s32 offset:1340 ; 4-byte Folded Reload
	s_mov_b32 s1, exec_lo
	s_wait_loadcnt_dscnt 0x0
	s_barrier_signal -1
	s_barrier_wait -1
	v_cmpx_gt_u32_e32 32, v31
	s_cbranch_execz .LBB226_2089
; %bb.2057:
	s_and_saveexec_b32 s0, vcc_lo
	s_cbranch_execnz .LBB226_2121
; %bb.2058:
	s_or_b32 exec_lo, exec_lo, s0
	s_and_saveexec_b32 s0, vcc_lo
	s_cbranch_execnz .LBB226_2122
.LBB226_2059:
	s_or_b32 exec_lo, exec_lo, s0
	s_and_saveexec_b32 s0, vcc_lo
	s_cbranch_execnz .LBB226_2123
.LBB226_2060:
	s_or_b32 exec_lo, exec_lo, s0
	s_and_saveexec_b32 s0, vcc_lo
	s_cbranch_execnz .LBB226_2124
.LBB226_2061:
	s_or_b32 exec_lo, exec_lo, s0
	s_and_saveexec_b32 s0, vcc_lo
	s_cbranch_execnz .LBB226_2125
.LBB226_2062:
	s_or_b32 exec_lo, exec_lo, s0
	s_and_saveexec_b32 s0, vcc_lo
	s_cbranch_execnz .LBB226_2126
.LBB226_2063:
	s_or_b32 exec_lo, exec_lo, s0
	s_and_saveexec_b32 s0, vcc_lo
	s_cbranch_execnz .LBB226_2127
.LBB226_2064:
	s_or_b32 exec_lo, exec_lo, s0
	s_and_saveexec_b32 s0, vcc_lo
	s_cbranch_execnz .LBB226_2128
.LBB226_2065:
	s_or_b32 exec_lo, exec_lo, s0
	s_and_saveexec_b32 s0, vcc_lo
	s_cbranch_execnz .LBB226_2129
.LBB226_2066:
	s_or_b32 exec_lo, exec_lo, s0
	s_and_saveexec_b32 s0, vcc_lo
	s_cbranch_execnz .LBB226_2130
.LBB226_2067:
	s_or_b32 exec_lo, exec_lo, s0
	s_and_saveexec_b32 s0, vcc_lo
	s_cbranch_execnz .LBB226_2131
.LBB226_2068:
	s_or_b32 exec_lo, exec_lo, s0
	s_and_saveexec_b32 s0, vcc_lo
	s_cbranch_execnz .LBB226_2132
.LBB226_2069:
	s_or_b32 exec_lo, exec_lo, s0
	s_and_saveexec_b32 s0, vcc_lo
	s_cbranch_execnz .LBB226_2133
.LBB226_2070:
	s_or_b32 exec_lo, exec_lo, s0
	s_and_saveexec_b32 s0, vcc_lo
	s_cbranch_execnz .LBB226_2134
.LBB226_2071:
	s_or_b32 exec_lo, exec_lo, s0
	s_and_saveexec_b32 s0, vcc_lo
	s_cbranch_execnz .LBB226_2135
.LBB226_2072:
	s_or_b32 exec_lo, exec_lo, s0
	s_and_saveexec_b32 s0, vcc_lo
	s_cbranch_execnz .LBB226_2136
.LBB226_2073:
	s_or_b32 exec_lo, exec_lo, s0
	s_and_saveexec_b32 s0, vcc_lo
	s_cbranch_execnz .LBB226_2137
.LBB226_2074:
	s_or_b32 exec_lo, exec_lo, s0
	s_and_saveexec_b32 s0, vcc_lo
	s_cbranch_execnz .LBB226_2138
.LBB226_2075:
	s_or_b32 exec_lo, exec_lo, s0
	s_and_saveexec_b32 s0, vcc_lo
	s_cbranch_execnz .LBB226_2139
.LBB226_2076:
	s_or_b32 exec_lo, exec_lo, s0
	s_and_saveexec_b32 s0, vcc_lo
	s_cbranch_execnz .LBB226_2140
.LBB226_2077:
	s_or_b32 exec_lo, exec_lo, s0
	s_and_saveexec_b32 s0, vcc_lo
	s_cbranch_execnz .LBB226_2141
.LBB226_2078:
	s_or_b32 exec_lo, exec_lo, s0
	s_and_saveexec_b32 s0, vcc_lo
	s_cbranch_execnz .LBB226_2142
.LBB226_2079:
	s_or_b32 exec_lo, exec_lo, s0
	s_and_saveexec_b32 s0, vcc_lo
	s_cbranch_execnz .LBB226_2143
.LBB226_2080:
	s_or_b32 exec_lo, exec_lo, s0
	s_and_saveexec_b32 s0, vcc_lo
	s_cbranch_execnz .LBB226_2144
.LBB226_2081:
	s_or_b32 exec_lo, exec_lo, s0
	s_and_saveexec_b32 s0, vcc_lo
	s_cbranch_execnz .LBB226_2145
.LBB226_2082:
	s_or_b32 exec_lo, exec_lo, s0
	s_and_saveexec_b32 s0, vcc_lo
	s_cbranch_execnz .LBB226_2146
.LBB226_2083:
	s_or_b32 exec_lo, exec_lo, s0
	s_and_saveexec_b32 s0, vcc_lo
	s_cbranch_execnz .LBB226_2147
.LBB226_2084:
	s_or_b32 exec_lo, exec_lo, s0
	s_and_saveexec_b32 s0, vcc_lo
	s_cbranch_execnz .LBB226_2148
.LBB226_2085:
	s_or_b32 exec_lo, exec_lo, s0
	s_and_saveexec_b32 s0, vcc_lo
	s_cbranch_execnz .LBB226_2149
.LBB226_2086:
	s_or_b32 exec_lo, exec_lo, s0
	s_and_saveexec_b32 s0, vcc_lo
	s_cbranch_execz .LBB226_2088
.LBB226_2087:
	ds_load_b32 v30, v30 offset:464
	s_wait_dscnt 0x0
	v_add_f32_e32 v29, v30, v29
.LBB226_2088:
	s_or_b32 exec_lo, exec_lo, s0
.LBB226_2089:
	s_delay_alu instid0(SALU_CYCLE_1)
	s_or_b32 exec_lo, exec_lo, s1
	s_mov_b32 s1, 0
	s_mov_b32 s2, exec_lo
	s_barrier_signal -1
	s_barrier_wait -1
	v_cmpx_eq_u32_e32 0, v32
	s_cbranch_execz .LBB226_2091
; %bb.2090:
	s_clause 0x1
	scratch_load_b64 v[30:31], off, s32 offset:1376 th:TH_LOAD_LU
	scratch_load_b32 v32, off, s32 offset:1340 th:TH_LOAD_LU
	s_and_b32 s0, 0xffff, s15
	v_mov_b32_e32 v33, 0
	s_cmp_lg_u32 s0, 0
	s_cselect_b32 s0, -1, 0
	s_delay_alu instid0(SALU_CYCLE_1)
	s_cmp_lg_u32 s0, 0
	s_wait_kmcnt 0x0
	s_add_co_ci_u32 s0, s5, 0
	s_bfe_u32 s8, ttmp6, 0x40014
	s_mul_i32 s5, s0, s13
	s_lshr_b32 s3, ttmp7, 16
	s_mul_i32 s5, s5, s14
	s_add_co_i32 s8, s8, 1
	s_mul_i32 s6, s5, 0x78
	s_bfe_u32 s9, ttmp6, 0x40008
	s_ashr_i32 s7, s6, 31
	s_mul_i32 s4, s4, s0
	s_mul_i32 s0, s3, s8
	s_ashr_i32 s5, s4, 31
	s_add_co_i32 s9, s9, s0
	s_cmp_eq_u32 s12, 0
	s_cselect_b32 s0, s3, s9
	s_delay_alu instid0(SALU_CYCLE_1) | instskip(SKIP_4) | instid1(VALU_DEP_2)
	s_mulk_i32 s0, 0x1e0
	s_wait_loadcnt 0x1
	v_lshl_add_u64 v[30:31], s[6:7], 2, v[30:31]
	s_wait_loadcnt 0x0
	v_lshrrev_b32_e32 v32, 1, v32
	v_lshl_add_u64 v[30:31], s[4:5], 2, v[30:31]
	s_delay_alu instid0(VALU_DEP_1) | instskip(NEXT) | instid1(VALU_DEP_1)
	v_add_nc_u64_e32 v[30:31], s[0:1], v[30:31]
	v_add_nc_u64_e32 v[30:31], v[30:31], v[32:33]
	s_clause 0x1d
	flat_store_b32 v[30:31], v24
	flat_store_b32 v[30:31], v25 offset:16
	flat_store_b32 v[30:31], v20 offset:32
	;; [unrolled: 1-line block ×29, first 2 shown]
.LBB226_2091:
	s_wait_xcnt 0x0
	s_or_b32 exec_lo, exec_lo, s2
	s_clause 0x2f
	scratch_load_b32 v127, off, s32
	scratch_load_b32 v126, off, s32 offset:4
	scratch_load_b32 v125, off, s32 offset:8
	;; [unrolled: 1-line block ×47, first 2 shown]
	s_wait_loadcnt_dscnt 0x0
	s_wait_kmcnt 0x0
	s_set_pc_i64 s[30:31]
.LBB226_2092:
	ds_load_b32 v32, v30
	s_wait_dscnt 0x0
	v_add_f32_e32 v24, v32, v24
	s_or_b32 exec_lo, exec_lo, s0
	s_and_saveexec_b32 s0, vcc_lo
	s_cbranch_execz .LBB226_2024
.LBB226_2093:
	ds_load_b32 v32, v30 offset:16
	s_wait_dscnt 0x0
	v_add_f32_e32 v25, v32, v25
	s_or_b32 exec_lo, exec_lo, s0
	s_and_saveexec_b32 s0, vcc_lo
	s_cbranch_execz .LBB226_2025
.LBB226_2094:
	ds_load_b32 v32, v30 offset:32
	s_wait_dscnt 0x0
	v_add_f32_e32 v20, v32, v20
	s_or_b32 exec_lo, exec_lo, s0
	s_and_saveexec_b32 s0, vcc_lo
	s_cbranch_execz .LBB226_2026
.LBB226_2095:
	ds_load_b32 v32, v30 offset:48
	s_wait_dscnt 0x0
	v_add_f32_e32 v21, v32, v21
	s_or_b32 exec_lo, exec_lo, s0
	s_and_saveexec_b32 s0, vcc_lo
	s_cbranch_execz .LBB226_2027
.LBB226_2096:
	ds_load_b32 v32, v30 offset:64
	s_wait_dscnt 0x0
	v_add_f32_e32 v26, v32, v26
	s_or_b32 exec_lo, exec_lo, s0
	s_and_saveexec_b32 s0, vcc_lo
	s_cbranch_execz .LBB226_2028
.LBB226_2097:
	ds_load_b32 v32, v30 offset:80
	s_wait_dscnt 0x0
	v_add_f32_e32 v27, v32, v27
	s_or_b32 exec_lo, exec_lo, s0
	s_and_saveexec_b32 s0, vcc_lo
	s_cbranch_execz .LBB226_2029
.LBB226_2098:
	ds_load_b32 v32, v30 offset:96
	s_wait_dscnt 0x0
	v_add_f32_e32 v22, v32, v22
	s_or_b32 exec_lo, exec_lo, s0
	s_and_saveexec_b32 s0, vcc_lo
	s_cbranch_execz .LBB226_2030
.LBB226_2099:
	ds_load_b32 v32, v30 offset:112
	s_wait_dscnt 0x0
	v_add_f32_e32 v23, v32, v23
	s_or_b32 exec_lo, exec_lo, s0
	s_and_saveexec_b32 s0, vcc_lo
	s_cbranch_execz .LBB226_2031
.LBB226_2100:
	ds_load_b32 v32, v30 offset:128
	s_wait_dscnt 0x0
	v_add_f32_e32 v18, v32, v18
	s_or_b32 exec_lo, exec_lo, s0
	s_and_saveexec_b32 s0, vcc_lo
	s_cbranch_execz .LBB226_2032
.LBB226_2101:
	ds_load_b32 v32, v30 offset:144
	s_wait_dscnt 0x0
	v_add_f32_e32 v19, v32, v19
	s_or_b32 exec_lo, exec_lo, s0
	s_and_saveexec_b32 s0, vcc_lo
	s_cbranch_execz .LBB226_2033
.LBB226_2102:
	ds_load_b32 v32, v30 offset:160
	s_wait_dscnt 0x0
	v_add_f32_e32 v16, v32, v16
	s_or_b32 exec_lo, exec_lo, s0
	s_and_saveexec_b32 s0, vcc_lo
	s_cbranch_execz .LBB226_2034
.LBB226_2103:
	ds_load_b32 v32, v30 offset:176
	s_wait_dscnt 0x0
	v_add_f32_e32 v17, v32, v17
	s_or_b32 exec_lo, exec_lo, s0
	s_and_saveexec_b32 s0, vcc_lo
	s_cbranch_execz .LBB226_2035
.LBB226_2104:
	ds_load_b32 v32, v30 offset:192
	s_wait_dscnt 0x0
	v_add_f32_e32 v14, v32, v14
	s_or_b32 exec_lo, exec_lo, s0
	s_and_saveexec_b32 s0, vcc_lo
	s_cbranch_execz .LBB226_2036
.LBB226_2105:
	ds_load_b32 v32, v30 offset:208
	s_wait_dscnt 0x0
	v_add_f32_e32 v15, v32, v15
	s_or_b32 exec_lo, exec_lo, s0
	s_and_saveexec_b32 s0, vcc_lo
	s_cbranch_execz .LBB226_2037
.LBB226_2106:
	ds_load_b32 v32, v30 offset:224
	s_wait_dscnt 0x0
	v_add_f32_e32 v12, v32, v12
	s_or_b32 exec_lo, exec_lo, s0
	s_and_saveexec_b32 s0, vcc_lo
	s_cbranch_execz .LBB226_2038
.LBB226_2107:
	ds_load_b32 v32, v30 offset:240
	s_wait_dscnt 0x0
	v_add_f32_e32 v13, v32, v13
	s_or_b32 exec_lo, exec_lo, s0
	s_and_saveexec_b32 s0, vcc_lo
	s_cbranch_execz .LBB226_2039
.LBB226_2108:
	ds_load_b32 v32, v30 offset:256
	s_wait_dscnt 0x0
	v_add_f32_e32 v10, v32, v10
	s_or_b32 exec_lo, exec_lo, s0
	s_and_saveexec_b32 s0, vcc_lo
	s_cbranch_execz .LBB226_2040
.LBB226_2109:
	ds_load_b32 v32, v30 offset:272
	s_wait_dscnt 0x0
	v_add_f32_e32 v11, v32, v11
	s_or_b32 exec_lo, exec_lo, s0
	s_and_saveexec_b32 s0, vcc_lo
	s_cbranch_execz .LBB226_2041
.LBB226_2110:
	ds_load_b32 v32, v30 offset:288
	s_wait_dscnt 0x0
	v_add_f32_e32 v8, v32, v8
	s_or_b32 exec_lo, exec_lo, s0
	s_and_saveexec_b32 s0, vcc_lo
	s_cbranch_execz .LBB226_2042
.LBB226_2111:
	ds_load_b32 v32, v30 offset:304
	s_wait_dscnt 0x0
	v_add_f32_e32 v9, v32, v9
	s_or_b32 exec_lo, exec_lo, s0
	s_and_saveexec_b32 s0, vcc_lo
	s_cbranch_execz .LBB226_2043
.LBB226_2112:
	ds_load_b32 v32, v30 offset:320
	s_wait_dscnt 0x0
	v_add_f32_e32 v4, v32, v4
	s_or_b32 exec_lo, exec_lo, s0
	s_and_saveexec_b32 s0, vcc_lo
	s_cbranch_execz .LBB226_2044
.LBB226_2113:
	ds_load_b32 v32, v30 offset:336
	s_wait_dscnt 0x0
	v_add_f32_e32 v5, v32, v5
	s_or_b32 exec_lo, exec_lo, s0
	s_and_saveexec_b32 s0, vcc_lo
	s_cbranch_execz .LBB226_2045
.LBB226_2114:
	ds_load_b32 v32, v30 offset:352
	s_wait_dscnt 0x0
	v_add_f32_e32 v6, v32, v6
	s_or_b32 exec_lo, exec_lo, s0
	s_and_saveexec_b32 s0, vcc_lo
	s_cbranch_execz .LBB226_2046
.LBB226_2115:
	ds_load_b32 v32, v30 offset:368
	s_wait_dscnt 0x0
	v_add_f32_e32 v7, v32, v7
	s_or_b32 exec_lo, exec_lo, s0
	s_and_saveexec_b32 s0, vcc_lo
	s_cbranch_execz .LBB226_2047
.LBB226_2116:
	ds_load_b32 v32, v30 offset:384
	s_wait_dscnt 0x0
	v_add_f32_e32 v2, v32, v2
	s_or_b32 exec_lo, exec_lo, s0
	s_and_saveexec_b32 s0, vcc_lo
	s_cbranch_execz .LBB226_2048
.LBB226_2117:
	ds_load_b32 v32, v30 offset:400
	s_wait_dscnt 0x0
	v_add_f32_e32 v3, v32, v3
	s_or_b32 exec_lo, exec_lo, s0
	s_and_saveexec_b32 s0, vcc_lo
	s_cbranch_execz .LBB226_2049
.LBB226_2118:
	ds_load_b32 v32, v30 offset:416
	s_wait_dscnt 0x0
	v_add_f32_e32 v0, v32, v0
	s_or_b32 exec_lo, exec_lo, s0
	s_and_saveexec_b32 s0, vcc_lo
	s_cbranch_execz .LBB226_2050
.LBB226_2119:
	ds_load_b32 v32, v30 offset:432
	s_wait_dscnt 0x0
	v_add_f32_e32 v1, v32, v1
	s_or_b32 exec_lo, exec_lo, s0
	s_and_saveexec_b32 s0, vcc_lo
	s_cbranch_execz .LBB226_2051
.LBB226_2120:
	ds_load_b32 v32, v30 offset:448
	s_wait_dscnt 0x0
	v_add_f32_e32 v28, v32, v28
	s_or_b32 exec_lo, exec_lo, s0
	s_and_saveexec_b32 s0, vcc_lo
	s_cbranch_execnz .LBB226_2052
	s_branch .LBB226_2053
.LBB226_2121:
	ds_load_b32 v31, v30
	s_wait_dscnt 0x0
	v_add_f32_e32 v24, v31, v24
	s_or_b32 exec_lo, exec_lo, s0
	s_and_saveexec_b32 s0, vcc_lo
	s_cbranch_execz .LBB226_2059
.LBB226_2122:
	ds_load_b32 v31, v30 offset:16
	s_wait_dscnt 0x0
	v_add_f32_e32 v25, v31, v25
	s_or_b32 exec_lo, exec_lo, s0
	s_and_saveexec_b32 s0, vcc_lo
	s_cbranch_execz .LBB226_2060
.LBB226_2123:
	ds_load_b32 v31, v30 offset:32
	s_wait_dscnt 0x0
	v_add_f32_e32 v20, v31, v20
	s_or_b32 exec_lo, exec_lo, s0
	s_and_saveexec_b32 s0, vcc_lo
	s_cbranch_execz .LBB226_2061
.LBB226_2124:
	ds_load_b32 v31, v30 offset:48
	s_wait_dscnt 0x0
	v_add_f32_e32 v21, v31, v21
	s_or_b32 exec_lo, exec_lo, s0
	s_and_saveexec_b32 s0, vcc_lo
	s_cbranch_execz .LBB226_2062
.LBB226_2125:
	ds_load_b32 v31, v30 offset:64
	s_wait_dscnt 0x0
	v_add_f32_e32 v26, v31, v26
	s_or_b32 exec_lo, exec_lo, s0
	s_and_saveexec_b32 s0, vcc_lo
	s_cbranch_execz .LBB226_2063
.LBB226_2126:
	ds_load_b32 v31, v30 offset:80
	s_wait_dscnt 0x0
	v_add_f32_e32 v27, v31, v27
	s_or_b32 exec_lo, exec_lo, s0
	s_and_saveexec_b32 s0, vcc_lo
	s_cbranch_execz .LBB226_2064
.LBB226_2127:
	ds_load_b32 v31, v30 offset:96
	s_wait_dscnt 0x0
	v_add_f32_e32 v22, v31, v22
	s_or_b32 exec_lo, exec_lo, s0
	s_and_saveexec_b32 s0, vcc_lo
	s_cbranch_execz .LBB226_2065
.LBB226_2128:
	ds_load_b32 v31, v30 offset:112
	s_wait_dscnt 0x0
	v_add_f32_e32 v23, v31, v23
	s_or_b32 exec_lo, exec_lo, s0
	s_and_saveexec_b32 s0, vcc_lo
	s_cbranch_execz .LBB226_2066
.LBB226_2129:
	ds_load_b32 v31, v30 offset:128
	s_wait_dscnt 0x0
	v_add_f32_e32 v18, v31, v18
	s_or_b32 exec_lo, exec_lo, s0
	s_and_saveexec_b32 s0, vcc_lo
	s_cbranch_execz .LBB226_2067
.LBB226_2130:
	ds_load_b32 v31, v30 offset:144
	s_wait_dscnt 0x0
	v_add_f32_e32 v19, v31, v19
	s_or_b32 exec_lo, exec_lo, s0
	s_and_saveexec_b32 s0, vcc_lo
	s_cbranch_execz .LBB226_2068
.LBB226_2131:
	ds_load_b32 v31, v30 offset:160
	s_wait_dscnt 0x0
	v_add_f32_e32 v16, v31, v16
	s_or_b32 exec_lo, exec_lo, s0
	s_and_saveexec_b32 s0, vcc_lo
	s_cbranch_execz .LBB226_2069
.LBB226_2132:
	ds_load_b32 v31, v30 offset:176
	s_wait_dscnt 0x0
	v_add_f32_e32 v17, v31, v17
	s_or_b32 exec_lo, exec_lo, s0
	s_and_saveexec_b32 s0, vcc_lo
	s_cbranch_execz .LBB226_2070
.LBB226_2133:
	ds_load_b32 v31, v30 offset:192
	s_wait_dscnt 0x0
	v_add_f32_e32 v14, v31, v14
	s_or_b32 exec_lo, exec_lo, s0
	s_and_saveexec_b32 s0, vcc_lo
	s_cbranch_execz .LBB226_2071
.LBB226_2134:
	ds_load_b32 v31, v30 offset:208
	s_wait_dscnt 0x0
	v_add_f32_e32 v15, v31, v15
	s_or_b32 exec_lo, exec_lo, s0
	s_and_saveexec_b32 s0, vcc_lo
	s_cbranch_execz .LBB226_2072
.LBB226_2135:
	ds_load_b32 v31, v30 offset:224
	s_wait_dscnt 0x0
	v_add_f32_e32 v12, v31, v12
	s_or_b32 exec_lo, exec_lo, s0
	s_and_saveexec_b32 s0, vcc_lo
	s_cbranch_execz .LBB226_2073
.LBB226_2136:
	ds_load_b32 v31, v30 offset:240
	s_wait_dscnt 0x0
	v_add_f32_e32 v13, v31, v13
	s_or_b32 exec_lo, exec_lo, s0
	s_and_saveexec_b32 s0, vcc_lo
	s_cbranch_execz .LBB226_2074
.LBB226_2137:
	ds_load_b32 v31, v30 offset:256
	s_wait_dscnt 0x0
	v_add_f32_e32 v10, v31, v10
	s_or_b32 exec_lo, exec_lo, s0
	s_and_saveexec_b32 s0, vcc_lo
	s_cbranch_execz .LBB226_2075
.LBB226_2138:
	ds_load_b32 v31, v30 offset:272
	s_wait_dscnt 0x0
	v_add_f32_e32 v11, v31, v11
	s_or_b32 exec_lo, exec_lo, s0
	s_and_saveexec_b32 s0, vcc_lo
	s_cbranch_execz .LBB226_2076
.LBB226_2139:
	ds_load_b32 v31, v30 offset:288
	s_wait_dscnt 0x0
	v_add_f32_e32 v8, v31, v8
	s_or_b32 exec_lo, exec_lo, s0
	s_and_saveexec_b32 s0, vcc_lo
	s_cbranch_execz .LBB226_2077
.LBB226_2140:
	ds_load_b32 v31, v30 offset:304
	s_wait_dscnt 0x0
	v_add_f32_e32 v9, v31, v9
	s_or_b32 exec_lo, exec_lo, s0
	s_and_saveexec_b32 s0, vcc_lo
	s_cbranch_execz .LBB226_2078
.LBB226_2141:
	ds_load_b32 v31, v30 offset:320
	s_wait_dscnt 0x0
	v_add_f32_e32 v4, v31, v4
	s_or_b32 exec_lo, exec_lo, s0
	s_and_saveexec_b32 s0, vcc_lo
	s_cbranch_execz .LBB226_2079
.LBB226_2142:
	ds_load_b32 v31, v30 offset:336
	s_wait_dscnt 0x0
	v_add_f32_e32 v5, v31, v5
	s_or_b32 exec_lo, exec_lo, s0
	s_and_saveexec_b32 s0, vcc_lo
	s_cbranch_execz .LBB226_2080
.LBB226_2143:
	ds_load_b32 v31, v30 offset:352
	s_wait_dscnt 0x0
	v_add_f32_e32 v6, v31, v6
	s_or_b32 exec_lo, exec_lo, s0
	s_and_saveexec_b32 s0, vcc_lo
	s_cbranch_execz .LBB226_2081
.LBB226_2144:
	ds_load_b32 v31, v30 offset:368
	s_wait_dscnt 0x0
	v_add_f32_e32 v7, v31, v7
	s_or_b32 exec_lo, exec_lo, s0
	s_and_saveexec_b32 s0, vcc_lo
	s_cbranch_execz .LBB226_2082
.LBB226_2145:
	ds_load_b32 v31, v30 offset:384
	s_wait_dscnt 0x0
	v_add_f32_e32 v2, v31, v2
	s_or_b32 exec_lo, exec_lo, s0
	s_and_saveexec_b32 s0, vcc_lo
	s_cbranch_execz .LBB226_2083
.LBB226_2146:
	ds_load_b32 v31, v30 offset:400
	s_wait_dscnt 0x0
	v_add_f32_e32 v3, v31, v3
	s_or_b32 exec_lo, exec_lo, s0
	s_and_saveexec_b32 s0, vcc_lo
	s_cbranch_execz .LBB226_2084
.LBB226_2147:
	ds_load_b32 v31, v30 offset:416
	s_wait_dscnt 0x0
	v_add_f32_e32 v0, v31, v0
	s_or_b32 exec_lo, exec_lo, s0
	s_and_saveexec_b32 s0, vcc_lo
	s_cbranch_execz .LBB226_2085
.LBB226_2148:
	ds_load_b32 v31, v30 offset:432
	s_wait_dscnt 0x0
	v_add_f32_e32 v1, v31, v1
	s_or_b32 exec_lo, exec_lo, s0
	s_and_saveexec_b32 s0, vcc_lo
	s_cbranch_execz .LBB226_2086
.LBB226_2149:
	ds_load_b32 v31, v30 offset:448
	s_wait_dscnt 0x0
	v_add_f32_e32 v28, v31, v28
	s_or_b32 exec_lo, exec_lo, s0
	s_and_saveexec_b32 s0, vcc_lo
	s_cbranch_execnz .LBB226_2087
	s_branch .LBB226_2088
.Lfunc_end226:
	.size	_ZN4vllm22paged_attention_kernelIfhLi120ELi32ELi128ELNS_18Fp8KVCacheDataTypeE1ELb0ELi0EEEvPfS2_PT_PKS3_PKT0_S9_ifPKiSB_iPKfiiiSD_SD_iiiii, .Lfunc_end226-_ZN4vllm22paged_attention_kernelIfhLi120ELi32ELi128ELNS_18Fp8KVCacheDataTypeE1ELb0ELi0EEEvPfS2_PT_PKS3_PKT0_S9_ifPKiSB_iPKfiiiSD_SD_iiiii
                                        ; -- End function
	.set .L_ZN4vllm22paged_attention_kernelIfhLi120ELi32ELi128ELNS_18Fp8KVCacheDataTypeE1ELb0ELi0EEEvPfS2_PT_PKS3_PKT0_S9_ifPKiSB_iPKfiiiSD_SD_iiiii.num_vgpr, 128
	.set .L_ZN4vllm22paged_attention_kernelIfhLi120ELi32ELi128ELNS_18Fp8KVCacheDataTypeE1ELb0ELi0EEEvPfS2_PT_PKS3_PKT0_S9_ifPKiSB_iPKfiiiSD_SD_iiiii.num_agpr, 0
	.set .L_ZN4vllm22paged_attention_kernelIfhLi120ELi32ELi128ELNS_18Fp8KVCacheDataTypeE1ELb0ELi0EEEvPfS2_PT_PKS3_PKT0_S9_ifPKiSB_iPKfiiiSD_SD_iiiii.numbered_sgpr, 33
	.set .L_ZN4vllm22paged_attention_kernelIfhLi120ELi32ELi128ELNS_18Fp8KVCacheDataTypeE1ELb0ELi0EEEvPfS2_PT_PKS3_PKT0_S9_ifPKiSB_iPKfiiiSD_SD_iiiii.num_named_barrier, 0
	.set .L_ZN4vllm22paged_attention_kernelIfhLi120ELi32ELi128ELNS_18Fp8KVCacheDataTypeE1ELb0ELi0EEEvPfS2_PT_PKS3_PKT0_S9_ifPKiSB_iPKfiiiSD_SD_iiiii.private_seg_size, 1412
	.set .L_ZN4vllm22paged_attention_kernelIfhLi120ELi32ELi128ELNS_18Fp8KVCacheDataTypeE1ELb0ELi0EEEvPfS2_PT_PKS3_PKT0_S9_ifPKiSB_iPKfiiiSD_SD_iiiii.uses_vcc, 1
	.set .L_ZN4vllm22paged_attention_kernelIfhLi120ELi32ELi128ELNS_18Fp8KVCacheDataTypeE1ELb0ELi0EEEvPfS2_PT_PKS3_PKT0_S9_ifPKiSB_iPKfiiiSD_SD_iiiii.uses_flat_scratch, 1
	.set .L_ZN4vllm22paged_attention_kernelIfhLi120ELi32ELi128ELNS_18Fp8KVCacheDataTypeE1ELb0ELi0EEEvPfS2_PT_PKS3_PKT0_S9_ifPKiSB_iPKfiiiSD_SD_iiiii.has_dyn_sized_stack, 0
	.set .L_ZN4vllm22paged_attention_kernelIfhLi120ELi32ELi128ELNS_18Fp8KVCacheDataTypeE1ELb0ELi0EEEvPfS2_PT_PKS3_PKT0_S9_ifPKiSB_iPKfiiiSD_SD_iiiii.has_recursion, 0
	.set .L_ZN4vllm22paged_attention_kernelIfhLi120ELi32ELi128ELNS_18Fp8KVCacheDataTypeE1ELb0ELi0EEEvPfS2_PT_PKS3_PKT0_S9_ifPKiSB_iPKfiiiSD_SD_iiiii.has_indirect_call, 0
	.section	.AMDGPU.csdata,"",@progbits
; Function info:
; codeLenInByte = 85020
; TotalNumSgprs: 35
; NumVgprs: 128
; ScratchSize: 1412
; MemoryBound: 0
	.section	.text._ZN4vllm25paged_attention_v1_kernelIfhLi120ELi32ELi128ELNS_18Fp8KVCacheDataTypeE1ELb0EEEvPT_PKS2_PKT0_S8_ifPKiSA_iPKfiiiSC_SC_iiiii,"axG",@progbits,_ZN4vllm25paged_attention_v1_kernelIfhLi120ELi32ELi128ELNS_18Fp8KVCacheDataTypeE1ELb0EEEvPT_PKS2_PKT0_S8_ifPKiSA_iPKfiiiSC_SC_iiiii,comdat
	.protected	_ZN4vllm25paged_attention_v1_kernelIfhLi120ELi32ELi128ELNS_18Fp8KVCacheDataTypeE1ELb0EEEvPT_PKS2_PKT0_S8_ifPKiSA_iPKfiiiSC_SC_iiiii ; -- Begin function _ZN4vllm25paged_attention_v1_kernelIfhLi120ELi32ELi128ELNS_18Fp8KVCacheDataTypeE1ELb0EEEvPT_PKS2_PKT0_S8_ifPKiSA_iPKfiiiSC_SC_iiiii
	.globl	_ZN4vllm25paged_attention_v1_kernelIfhLi120ELi32ELi128ELNS_18Fp8KVCacheDataTypeE1ELb0EEEvPT_PKS2_PKT0_S8_ifPKiSA_iPKfiiiSC_SC_iiiii
	.p2align	8
	.type	_ZN4vllm25paged_attention_v1_kernelIfhLi120ELi32ELi128ELNS_18Fp8KVCacheDataTypeE1ELb0EEEvPT_PKS2_PKT0_S8_ifPKiSA_iPKfiiiSC_SC_iiiii,@function
_ZN4vllm25paged_attention_v1_kernelIfhLi120ELi32ELi128ELNS_18Fp8KVCacheDataTypeE1ELb0EEEvPT_PKS2_PKT0_S8_ifPKiSA_iPKfiiiSC_SC_iiiii: ; @_ZN4vllm25paged_attention_v1_kernelIfhLi120ELi32ELi128ELNS_18Fp8KVCacheDataTypeE1ELb0EEEvPT_PKS2_PKT0_S8_ifPKiSA_iPKfiiiSC_SC_iiiii
; %bb.0:
	s_clause 0x5
	s_load_b256 s[12:19], s[0:1], 0x0
	s_load_b128 s[4:7], s[0:1], 0x20
	s_load_b96 s[20:22], s[0:1], 0x30
	s_load_b64 s[10:11], s[0:1], 0x40
	s_load_b96 s[28:30], s[0:1], 0x48
	s_load_b128 s[24:27], s[0:1], 0x58
	v_mov_b32_e32 v31, v0
	s_get_pc_i64 s[2:3]
	s_add_nc_u64 s[2:3], s[2:3], _ZN4vllm22paged_attention_kernelIfhLi120ELi32ELi128ELNS_18Fp8KVCacheDataTypeE1ELb0ELi0EEEvPfS2_PT_PKS3_PKT0_S9_ifPKiSB_iPKfiiiSD_SD_iiiii@rel64+4
	s_add_nc_u64 s[8:9], s[0:1], 0x80
	s_mov_b32 s32, 0
	s_wait_kmcnt 0x0
	v_dual_mov_b32 v0, s12 :: v_dual_mov_b32 v1, s13
	v_dual_mov_b32 v2, s14 :: v_dual_mov_b32 v3, s15
	;; [unrolled: 1-line block ×12, first 2 shown]
	s_mov_b32 s15, 18
	s_swap_pc_i64 s[30:31], s[2:3]
	s_endpgm
	.section	.rodata,"a",@progbits
	.p2align	6, 0x0
	.amdhsa_kernel _ZN4vllm25paged_attention_v1_kernelIfhLi120ELi32ELi128ELNS_18Fp8KVCacheDataTypeE1ELb0EEEvPT_PKS2_PKT0_S8_ifPKiSA_iPKfiiiSC_SC_iiiii
		.amdhsa_group_segment_fixed_size 512
		.amdhsa_private_segment_fixed_size 1412
		.amdhsa_kernarg_size 384
		.amdhsa_user_sgpr_count 2
		.amdhsa_user_sgpr_dispatch_ptr 0
		.amdhsa_user_sgpr_queue_ptr 0
		.amdhsa_user_sgpr_kernarg_segment_ptr 1
		.amdhsa_user_sgpr_dispatch_id 0
		.amdhsa_user_sgpr_kernarg_preload_length 0
		.amdhsa_user_sgpr_kernarg_preload_offset 0
		.amdhsa_user_sgpr_private_segment_size 0
		.amdhsa_wavefront_size32 1
		.amdhsa_uses_dynamic_stack 0
		.amdhsa_enable_private_segment 1
		.amdhsa_system_sgpr_workgroup_id_x 1
		.amdhsa_system_sgpr_workgroup_id_y 1
		.amdhsa_system_sgpr_workgroup_id_z 1
		.amdhsa_system_sgpr_workgroup_info 0
		.amdhsa_system_vgpr_workitem_id 0
		.amdhsa_next_free_vgpr 128
		.amdhsa_next_free_sgpr 33
		.amdhsa_named_barrier_count 0
		.amdhsa_reserve_vcc 1
		.amdhsa_float_round_mode_32 0
		.amdhsa_float_round_mode_16_64 0
		.amdhsa_float_denorm_mode_32 3
		.amdhsa_float_denorm_mode_16_64 3
		.amdhsa_fp16_overflow 0
		.amdhsa_memory_ordered 1
		.amdhsa_forward_progress 1
		.amdhsa_inst_pref_size 2
		.amdhsa_round_robin_scheduling 0
		.amdhsa_exception_fp_ieee_invalid_op 0
		.amdhsa_exception_fp_denorm_src 0
		.amdhsa_exception_fp_ieee_div_zero 0
		.amdhsa_exception_fp_ieee_overflow 0
		.amdhsa_exception_fp_ieee_underflow 0
		.amdhsa_exception_fp_ieee_inexact 0
		.amdhsa_exception_int_div_zero 0
	.end_amdhsa_kernel
	.section	.text._ZN4vllm25paged_attention_v1_kernelIfhLi120ELi32ELi128ELNS_18Fp8KVCacheDataTypeE1ELb0EEEvPT_PKS2_PKT0_S8_ifPKiSA_iPKfiiiSC_SC_iiiii,"axG",@progbits,_ZN4vllm25paged_attention_v1_kernelIfhLi120ELi32ELi128ELNS_18Fp8KVCacheDataTypeE1ELb0EEEvPT_PKS2_PKT0_S8_ifPKiSA_iPKfiiiSC_SC_iiiii,comdat
.Lfunc_end227:
	.size	_ZN4vllm25paged_attention_v1_kernelIfhLi120ELi32ELi128ELNS_18Fp8KVCacheDataTypeE1ELb0EEEvPT_PKS2_PKT0_S8_ifPKiSA_iPKfiiiSC_SC_iiiii, .Lfunc_end227-_ZN4vllm25paged_attention_v1_kernelIfhLi120ELi32ELi128ELNS_18Fp8KVCacheDataTypeE1ELb0EEEvPT_PKS2_PKT0_S8_ifPKiSA_iPKfiiiSC_SC_iiiii
                                        ; -- End function
	.set _ZN4vllm25paged_attention_v1_kernelIfhLi120ELi32ELi128ELNS_18Fp8KVCacheDataTypeE1ELb0EEEvPT_PKS2_PKT0_S8_ifPKiSA_iPKfiiiSC_SC_iiiii.num_vgpr, max(32, .L_ZN4vllm22paged_attention_kernelIfhLi120ELi32ELi128ELNS_18Fp8KVCacheDataTypeE1ELb0ELi0EEEvPfS2_PT_PKS3_PKT0_S9_ifPKiSB_iPKfiiiSD_SD_iiiii.num_vgpr)
	.set _ZN4vllm25paged_attention_v1_kernelIfhLi120ELi32ELi128ELNS_18Fp8KVCacheDataTypeE1ELb0EEEvPT_PKS2_PKT0_S8_ifPKiSA_iPKfiiiSC_SC_iiiii.num_agpr, max(0, .L_ZN4vllm22paged_attention_kernelIfhLi120ELi32ELi128ELNS_18Fp8KVCacheDataTypeE1ELb0ELi0EEEvPfS2_PT_PKS3_PKT0_S9_ifPKiSB_iPKfiiiSD_SD_iiiii.num_agpr)
	.set _ZN4vllm25paged_attention_v1_kernelIfhLi120ELi32ELi128ELNS_18Fp8KVCacheDataTypeE1ELb0EEEvPT_PKS2_PKT0_S8_ifPKiSA_iPKfiiiSC_SC_iiiii.numbered_sgpr, max(33, .L_ZN4vllm22paged_attention_kernelIfhLi120ELi32ELi128ELNS_18Fp8KVCacheDataTypeE1ELb0ELi0EEEvPfS2_PT_PKS3_PKT0_S9_ifPKiSB_iPKfiiiSD_SD_iiiii.numbered_sgpr)
	.set _ZN4vllm25paged_attention_v1_kernelIfhLi120ELi32ELi128ELNS_18Fp8KVCacheDataTypeE1ELb0EEEvPT_PKS2_PKT0_S8_ifPKiSA_iPKfiiiSC_SC_iiiii.num_named_barrier, max(0, .L_ZN4vllm22paged_attention_kernelIfhLi120ELi32ELi128ELNS_18Fp8KVCacheDataTypeE1ELb0ELi0EEEvPfS2_PT_PKS3_PKT0_S9_ifPKiSB_iPKfiiiSD_SD_iiiii.num_named_barrier)
	.set _ZN4vllm25paged_attention_v1_kernelIfhLi120ELi32ELi128ELNS_18Fp8KVCacheDataTypeE1ELb0EEEvPT_PKS2_PKT0_S8_ifPKiSA_iPKfiiiSC_SC_iiiii.private_seg_size, 0+max(.L_ZN4vllm22paged_attention_kernelIfhLi120ELi32ELi128ELNS_18Fp8KVCacheDataTypeE1ELb0ELi0EEEvPfS2_PT_PKS3_PKT0_S9_ifPKiSB_iPKfiiiSD_SD_iiiii.private_seg_size)
	.set _ZN4vllm25paged_attention_v1_kernelIfhLi120ELi32ELi128ELNS_18Fp8KVCacheDataTypeE1ELb0EEEvPT_PKS2_PKT0_S8_ifPKiSA_iPKfiiiSC_SC_iiiii.uses_vcc, or(1, .L_ZN4vllm22paged_attention_kernelIfhLi120ELi32ELi128ELNS_18Fp8KVCacheDataTypeE1ELb0ELi0EEEvPfS2_PT_PKS3_PKT0_S9_ifPKiSB_iPKfiiiSD_SD_iiiii.uses_vcc)
	.set _ZN4vllm25paged_attention_v1_kernelIfhLi120ELi32ELi128ELNS_18Fp8KVCacheDataTypeE1ELb0EEEvPT_PKS2_PKT0_S8_ifPKiSA_iPKfiiiSC_SC_iiiii.uses_flat_scratch, or(0, .L_ZN4vllm22paged_attention_kernelIfhLi120ELi32ELi128ELNS_18Fp8KVCacheDataTypeE1ELb0ELi0EEEvPfS2_PT_PKS3_PKT0_S9_ifPKiSB_iPKfiiiSD_SD_iiiii.uses_flat_scratch)
	.set _ZN4vllm25paged_attention_v1_kernelIfhLi120ELi32ELi128ELNS_18Fp8KVCacheDataTypeE1ELb0EEEvPT_PKS2_PKT0_S8_ifPKiSA_iPKfiiiSC_SC_iiiii.has_dyn_sized_stack, or(0, .L_ZN4vllm22paged_attention_kernelIfhLi120ELi32ELi128ELNS_18Fp8KVCacheDataTypeE1ELb0ELi0EEEvPfS2_PT_PKS3_PKT0_S9_ifPKiSB_iPKfiiiSD_SD_iiiii.has_dyn_sized_stack)
	.set _ZN4vllm25paged_attention_v1_kernelIfhLi120ELi32ELi128ELNS_18Fp8KVCacheDataTypeE1ELb0EEEvPT_PKS2_PKT0_S8_ifPKiSA_iPKfiiiSC_SC_iiiii.has_recursion, or(0, .L_ZN4vllm22paged_attention_kernelIfhLi120ELi32ELi128ELNS_18Fp8KVCacheDataTypeE1ELb0ELi0EEEvPfS2_PT_PKS3_PKT0_S9_ifPKiSB_iPKfiiiSD_SD_iiiii.has_recursion)
	.set _ZN4vllm25paged_attention_v1_kernelIfhLi120ELi32ELi128ELNS_18Fp8KVCacheDataTypeE1ELb0EEEvPT_PKS2_PKT0_S8_ifPKiSA_iPKfiiiSC_SC_iiiii.has_indirect_call, or(0, .L_ZN4vllm22paged_attention_kernelIfhLi120ELi32ELi128ELNS_18Fp8KVCacheDataTypeE1ELb0ELi0EEEvPfS2_PT_PKS3_PKT0_S9_ifPKiSB_iPKfiiiSD_SD_iiiii.has_indirect_call)
	.section	.AMDGPU.csdata,"",@progbits
; Kernel info:
; codeLenInByte = 196
; TotalNumSgprs: 35
; NumVgprs: 128
; ScratchSize: 1412
; MemoryBound: 0
; FloatMode: 240
; IeeeMode: 1
; LDSByteSize: 512 bytes/workgroup (compile time only)
; SGPRBlocks: 0
; VGPRBlocks: 7
; NumSGPRsForWavesPerEU: 35
; NumVGPRsForWavesPerEU: 128
; NamedBarCnt: 0
; Occupancy: 8
; WaveLimiterHint : 1
; COMPUTE_PGM_RSRC2:SCRATCH_EN: 1
; COMPUTE_PGM_RSRC2:USER_SGPR: 2
; COMPUTE_PGM_RSRC2:TRAP_HANDLER: 0
; COMPUTE_PGM_RSRC2:TGID_X_EN: 1
; COMPUTE_PGM_RSRC2:TGID_Y_EN: 1
; COMPUTE_PGM_RSRC2:TGID_Z_EN: 1
; COMPUTE_PGM_RSRC2:TIDIG_COMP_CNT: 0
	.text
	.p2align	2                               ; -- Begin function _ZN4vllm22paged_attention_kernelIfhLi128ELi32ELi128ELNS_18Fp8KVCacheDataTypeE1ELb0ELi0EEEvPfS2_PT_PKS3_PKT0_S9_ifPKiSB_iPKfiiiSD_SD_iiiii
	.type	_ZN4vllm22paged_attention_kernelIfhLi128ELi32ELi128ELNS_18Fp8KVCacheDataTypeE1ELb0ELi0EEEvPfS2_PT_PKS3_PKT0_S9_ifPKiSB_iPKfiiiSD_SD_iiiii,@function
_ZN4vllm22paged_attention_kernelIfhLi128ELi32ELi128ELNS_18Fp8KVCacheDataTypeE1ELb0ELi0EEEvPfS2_PT_PKS3_PKT0_S9_ifPKiSB_iPKfiiiSD_SD_iiiii: ; @_ZN4vllm22paged_attention_kernelIfhLi128ELi32ELi128ELNS_18Fp8KVCacheDataTypeE1ELb0ELi0EEEvPfS2_PT_PKS3_PKT0_S9_ifPKiSB_iPKfiiiSD_SD_iiiii
; %bb.0:
	s_wait_loadcnt_dscnt 0x0
	s_wait_kmcnt 0x0
	s_clause 0x2f
	scratch_store_b32 off, v40, s32 offset:188
	; meta instruction
	scratch_store_b32 off, v41, s32 offset:184
	; meta instruction
	;; [unrolled: 2-line block ×47, first 2 shown]
	scratch_store_b32 off, v127, s32
	s_bfe_u32 s0, ttmp6, 0x4000c
	s_bfe_u32 s2, ttmp6, 0x40010
	s_add_co_i32 s0, s0, 1
	s_and_b32 s1, ttmp6, 15
	s_mul_i32 s0, ttmp9, s0
	s_and_b32 s3, ttmp7, 0xffff
	s_add_co_i32 s2, s2, 1
	s_add_co_i32 s0, s1, s0
	s_mul_i32 s1, s3, s2
	s_bfe_u32 s2, ttmp6, 0x40004
	s_getreg_b32 s12, hwreg(HW_REG_IB_STS2, 6, 4)
	s_add_co_i32 s2, s2, s1
	s_cmp_eq_u32 s12, 0
	s_mov_b32 s1, 0
	s_cselect_b32 s13, s3, s2
	s_cselect_b32 s2, ttmp9, s0
	s_lshl_b32 s0, s13, 2
	s_clause 0x6
	scratch_store_b64 off, v[22:23], s32 offset:1540
	scratch_store_b64 off, v[20:21], s32 offset:956
	;; [unrolled: 1-line block ×4, first 2 shown]
	scratch_store_b32 off, v9, s32 offset:964
	scratch_store_b64 off, v[6:7], s32 offset:1548
	scratch_store_b64 off, v[0:1], s32 offset:1532
	s_wait_xcnt 0x1
	v_add_nc_u64_e32 v[6:7], s[0:1], v[12:13]
	s_wait_xcnt 0x0
	v_mov_b32_e32 v1, 0
	s_clause 0x1
	s_load_u16 s0, s[8:9], 0x12
	s_load_b32 s3, s[8:9], 0x0
	v_dual_mov_b32 v25, v16 :: v_dual_mov_b32 v24, v15
	s_mov_b32 s10, s15
	flat_load_b32 v6, v[6:7]
	s_mov_b32 s4, exec_lo
	s_wait_kmcnt 0x0
	s_cmp_lg_u32 s0, 0
	s_cselect_b32 s0, -1, 0
	s_delay_alu instid0(SALU_CYCLE_1) | instskip(SKIP_1) | instid1(SALU_CYCLE_1)
	s_cmp_lg_u32 s0, 0
	s_add_co_ci_u32 s14, s3, 0
	s_abs_i32 s0, s14
	s_wait_loadcnt_dscnt 0x0
	scratch_store_b64 off, v[6:7], s32 offset:200 ; 8-byte Folded Spill
	s_wait_xcnt 0x0
	v_sub_nc_u32_e32 v6, 0, v8
	global_load_u16 v0, v1, s[8:9] offset:22
	v_max_i32_e32 v6, v8, v6
	v_xor_b32_e32 v8, s14, v8
	s_delay_alu instid0(VALU_DEP_2) | instskip(NEXT) | instid1(VALU_DEP_2)
	v_cvt_f32_u32_e32 v7, v6
	v_ashrrev_i32_e32 v8, 31, v8
	s_delay_alu instid0(VALU_DEP_2) | instskip(SKIP_1) | instid1(TRANS32_DEP_1)
	v_rcp_iflag_f32_e32 v7, v7
	v_nop
	v_mul_f32_e32 v7, 0x4f7ffffe, v7
	v_sub_nc_u32_e32 v9, 0, v6
	s_delay_alu instid0(VALU_DEP_2) | instskip(NEXT) | instid1(VALU_DEP_1)
	v_cvt_u32_f32_e32 v7, v7
	v_mul_lo_u32 v9, v9, v7
	s_delay_alu instid0(VALU_DEP_1) | instskip(NEXT) | instid1(VALU_DEP_1)
	v_mul_hi_u32 v9, v7, v9
	v_add_nc_u32_e32 v7, v7, v9
	s_delay_alu instid0(VALU_DEP_1) | instskip(NEXT) | instid1(VALU_DEP_1)
	v_mul_hi_u32 v7, s0, v7
	v_mul_lo_u32 v9, v7, v6
	s_delay_alu instid0(VALU_DEP_1) | instskip(SKIP_1) | instid1(VALU_DEP_1)
	v_dual_add_nc_u32 v10, 1, v7 :: v_dual_sub_nc_u32 v9, s0, v9
	s_abs_i32 s0, s2
	v_sub_nc_u32_e32 v11, v9, v6
	v_cmp_ge_u32_e32 vcc_lo, v9, v6
	s_delay_alu instid0(VALU_DEP_2) | instskip(NEXT) | instid1(VALU_DEP_1)
	v_dual_cndmask_b32 v7, v7, v10, vcc_lo :: v_dual_cndmask_b32 v9, v9, v11, vcc_lo
	v_add_nc_u32_e32 v10, 1, v7
	s_delay_alu instid0(VALU_DEP_2) | instskip(NEXT) | instid1(VALU_DEP_2)
	v_cmp_ge_u32_e32 vcc_lo, v9, v6
	v_cndmask_b32_e32 v6, v7, v10, vcc_lo
	s_delay_alu instid0(VALU_DEP_1) | instskip(NEXT) | instid1(VALU_DEP_1)
	v_xor_b32_e32 v6, v6, v8
	v_sub_nc_u32_e32 v7, v6, v8
	s_delay_alu instid0(VALU_DEP_1) | instskip(NEXT) | instid1(VALU_DEP_1)
	v_sub_nc_u32_e32 v6, 0, v7
	v_max_i32_e32 v6, v7, v6
	s_delay_alu instid0(VALU_DEP_1) | instskip(SKIP_1) | instid1(VALU_DEP_2)
	v_cvt_f32_u32_e32 v8, v6
	v_sub_nc_u32_e32 v9, 0, v6
	v_rcp_iflag_f32_e32 v8, v8
	v_nop
	s_delay_alu instid0(TRANS32_DEP_1) | instskip(NEXT) | instid1(VALU_DEP_1)
	v_mul_f32_e32 v8, 0x4f7ffffe, v8
	v_cvt_u32_f32_e32 v8, v8
	s_delay_alu instid0(VALU_DEP_1) | instskip(NEXT) | instid1(VALU_DEP_1)
	v_mul_lo_u32 v9, v9, v8
	v_mul_hi_u32 v9, v8, v9
	s_wait_loadcnt 0x0
	v_readfirstlane_b32 s15, v0
	s_delay_alu instid0(VALU_DEP_2)
	v_dual_add_nc_u32 v0, v8, v9 :: v_dual_mov_b32 v8, v1
	scratch_store_b32 off, v8, s32 offset:952 ; 4-byte Folded Spill
	s_wait_xcnt 0x0
	v_cmpx_ne_u64_e32 0, v[24:25]
	s_cbranch_execz .LBB228_2
; %bb.1:
	s_ashr_i32 s3, s2, 31
	s_delay_alu instid0(SALU_CYCLE_1)
	v_lshl_add_u64 v[8:9], s[2:3], 2, v[24:25]
	flat_load_b32 v8, v[8:9]
	s_wait_loadcnt_dscnt 0x0
	scratch_store_b32 off, v8, s32 offset:952 ; 4-byte Folded Spill
.LBB228_2:
	s_wait_xcnt 0x0
	s_or_b32 exec_lo, exec_lo, s4
	v_mul_u64_e32 v[0:1], s[0:1], v[0:1]
	v_and_b32_e32 v10, 0x3ff, v31
	v_ashrrev_i32_e32 v0, 31, v7
	s_ashr_i32 s1, s2, 31
	s_lshl_b32 s4, s2, 7
	s_mov_b32 s2, exec_lo
	v_cmpx_gt_u32_e32 32, v10
	s_cbranch_execz .LBB228_4
; %bb.3:
	v_mul_lo_u32 v8, v17, s13
	s_ashr_i32 s5, s4, 31
	s_delay_alu instid0(VALU_DEP_1) | instskip(NEXT) | instid1(VALU_DEP_1)
	v_ashrrev_i32_e32 v9, 31, v8
	v_lshl_add_u64 v[2:3], v[8:9], 2, v[2:3]
	v_dual_mov_b32 v9, 0 :: v_dual_lshlrev_b32 v8, 4, v10
	s_delay_alu instid0(VALU_DEP_2) | instskip(NEXT) | instid1(VALU_DEP_1)
	v_lshl_add_u64 v[2:3], s[4:5], 2, v[2:3]
	v_add_nc_u64_e32 v[2:3], v[2:3], v[8:9]
	flat_load_b128 v[20:23], v[2:3]
	s_wait_loadcnt_dscnt 0x0
	ds_store_b128 v8, v[20:23]
.LBB228_4:
	s_wait_xcnt 0x0
	s_or_b32 exec_lo, exec_lo, s2
	scratch_load_b64 v[8:9], off, s32 offset:200 ; 8-byte Folded Reload
	v_mul_lo_u32 v2, v1, v6
	s_load_b32 s5, s[8:9], 0x8
	s_get_pc_i64 s[6:7]
	s_add_nc_u64 s[6:7], s[6:7], llvm.amdgcn.dynlds.offset.table@rel64+4
	s_delay_alu instid0(VALU_DEP_1) | instskip(NEXT) | instid1(VALU_DEP_1)
	v_dual_add_nc_u32 v3, 1, v1 :: v_dual_sub_nc_u32 v2, s0, v2
	v_cmp_ge_u32_e32 vcc_lo, v2, v6
	s_delay_alu instid0(VALU_DEP_2) | instskip(NEXT) | instid1(VALU_DEP_1)
	v_dual_sub_nc_u32 v7, v2, v6 :: v_dual_cndmask_b32 v1, v1, v3, vcc_lo
	v_dual_cndmask_b32 v2, v2, v7 :: v_dual_add_nc_u32 v3, 1, v1
	s_delay_alu instid0(VALU_DEP_1) | instskip(SKIP_1) | instid1(VALU_DEP_3)
	v_cmp_ge_u32_e32 vcc_lo, v2, v6
	v_mul_lo_u32 v6, v14, s13
	v_dual_cndmask_b32 v1, v1, v3, vcc_lo :: v_dual_lshrrev_b32 v3, 3, v10
	s_wait_loadcnt 0x0
	v_add_nc_u32_e32 v7, 31, v8
	s_delay_alu instid0(VALU_DEP_1) | instskip(NEXT) | instid1(VALU_DEP_1)
	v_dual_ashrrev_i32 v2, 31, v7 :: v_dual_bitop2_b32 v0, s1, v0 bitop3:0x14
	v_dual_lshrrev_b32 v2, 27, v2 :: v_dual_bitop2_b32 v1, v1, v0 bitop3:0x14
	s_delay_alu instid0(VALU_DEP_1) | instskip(NEXT) | instid1(VALU_DEP_1)
	v_dual_sub_nc_u32 v0, v1, v0 :: v_dual_add_nc_u32 v1, v7, v2
	v_mul_lo_u32 v8, v0, v19
	v_dual_lshrrev_b32 v0, 5, v10 :: v_dual_bitop2_b32 v2, 31, v10 bitop3:0x40
	s_delay_alu instid0(VALU_DEP_3) | instskip(SKIP_1) | instid1(VALU_DEP_2)
	v_dual_ashrrev_i32 v7, 31, v6 :: v_dual_ashrrev_i32 v1, 5, v1
	v_mov_b32_e32 v11, 0xff7fffff
	v_cmp_ge_i32_e64 s0, v0, v1
	v_cmp_lt_i32_e32 vcc_lo, v0, v1
	v_ashrrev_i32_e32 v9, 31, v8
	s_clause 0x3
	scratch_store_b32 off, v3, s32 offset:1528
	scratch_store_b64 off, v[6:7], s32 offset:1520
	scratch_store_b32 off, v0, s32 offset:1496
	scratch_store_b32 off, v1, s32 offset:208
	s_wait_xcnt 0x1
	v_lshlrev_b32_e32 v0, 2, v2
	s_clause 0x2
	scratch_store_b64 off, v[8:9], s32 offset:1500
	scratch_store_b32 off, v2, s32 offset:1492
	scratch_store_b32 off, v0, s32 offset:1508
	s_wait_storecnt_dscnt 0x0
	s_barrier_signal -1
	s_barrier_wait -1
	s_wait_xcnt 0x0
	s_mov_b32 s2, exec_lo
	v_mov_b32_e32 v6, v10
	s_and_b32 s1, s2, vcc_lo
	scratch_store_b32 off, v6, s32 offset:1488 ; 4-byte Folded Spill
	s_wait_xcnt 0x0
	s_mov_b32 exec_lo, s1
	s_cbranch_execz .LBB228_1032
; %bb.5:
	s_clause 0x3
	scratch_load_b64 v[0:1], off, s32 offset:1500
	scratch_load_b32 v2, off, s32 offset:1492
	scratch_load_b32 v63, off, s32 offset:1496
	;; [unrolled: 1-line block ×3, first 2 shown]
	s_ashr_i32 s11, s10, 31
	v_mov_b32_e32 v11, 0xff7fffff
	s_lshl_b64 s[8:9], s[10:11], 2
	s_mov_b32 s3, 0
	s_add_nc_u64 s[8:9], s[6:7], s[8:9]
	v_mov_b32_e32 v7, 0
	s_load_b32 s1, s[8:9], 0x0
	ds_load_b128 v[12:15], v7
	s_wait_loadcnt 0x3
	v_add_nc_u64_e32 v[0:1], v[4:5], v[0:1]
	s_wait_loadcnt 0x2
	v_lshlrev_b32_e32 v6, 4, v2
	s_wait_loadcnt 0x1
	v_lshl_or_b32 v46, v63, 5, v2
	s_clause 0x1
	scratch_load_b32 v2, off, s32 offset:1508
	scratch_load_b64 v[4:5], off, s32 offset:1512
	s_wait_loadcnt 0x2
	v_cmp_neq_f32_e32 vcc_lo, 0, v3
	v_add_nc_u64_e32 v[0:1], v[0:1], v[6:7]
	s_clause 0x1
	scratch_store_b64 off, v[0:1], s32 offset:968
	scratch_load_b32 v0, off, s32 offset:1528
	s_wait_loadcnt 0x2
	v_lshl_or_b32 v2, v63, 7, v2
	s_wait_kmcnt 0x0
	s_delay_alu instid0(VALU_DEP_1)
	v_add_nc_u32_e32 v47, s1, v2
	s_wait_loadcnt 0x0
	v_and_b32_e32 v6, 0x7c, v0
	scratch_load_b64 v[0:1], off, s32 offset:1520 ; 8-byte Folded Reload
	s_wait_loadcnt 0x0
	v_lshl_add_u64 v[0:1], v[0:1], 2, v[6:7]
	s_delay_alu instid0(VALU_DEP_1)
	v_add_nc_u64_e32 v[4:5], v[4:5], v[0:1]
	ds_load_b128 v[0:3], v7 offset:128
	s_wait_dscnt 0x1
	scratch_store_b128 off, v[12:15], s32 offset:976 ; 16-byte Folded Spill
	s_wait_xcnt 0x0
	ds_load_b128 v[12:15], v7 offset:16
	s_wait_dscnt 0x1
	scratch_store_b128 off, v[0:3], s32 offset:1104 ; 16-byte Folded Spill
	s_wait_xcnt 0x0
	ds_load_b128 v[0:3], v7 offset:144
	s_wait_dscnt 0x1
	scratch_store_b128 off, v[12:15], s32 offset:992 ; 16-byte Folded Spill
	s_wait_xcnt 0x0
	ds_load_b128 v[12:15], v7 offset:32
	s_wait_dscnt 0x1
	scratch_store_b128 off, v[0:3], s32 offset:1120 ; 16-byte Folded Spill
	s_wait_xcnt 0x0
	ds_load_b128 v[0:3], v7 offset:160
	s_wait_dscnt 0x1
	scratch_store_b128 off, v[12:15], s32 offset:1008 ; 16-byte Folded Spill
	s_wait_xcnt 0x0
	ds_load_b128 v[12:15], v7 offset:48
	s_wait_dscnt 0x1
	scratch_store_b128 off, v[0:3], s32 offset:1136 ; 16-byte Folded Spill
	s_wait_xcnt 0x0
	ds_load_b128 v[0:3], v7 offset:176
	s_wait_dscnt 0x1
	scratch_store_b128 off, v[12:15], s32 offset:1024 ; 16-byte Folded Spill
	s_wait_xcnt 0x0
	ds_load_b128 v[12:15], v7 offset:64
	s_wait_dscnt 0x1
	scratch_store_b128 off, v[0:3], s32 offset:1152 ; 16-byte Folded Spill
	s_wait_xcnt 0x0
	ds_load_b128 v[0:3], v7 offset:192
	s_wait_dscnt 0x1
	scratch_store_b128 off, v[12:15], s32 offset:1040 ; 16-byte Folded Spill
	s_wait_xcnt 0x0
	ds_load_b128 v[12:15], v7 offset:80
	s_wait_dscnt 0x1
	scratch_store_b128 off, v[0:3], s32 offset:1168 ; 16-byte Folded Spill
	s_wait_xcnt 0x0
	ds_load_b128 v[0:3], v7 offset:208
	s_wait_dscnt 0x1
	scratch_store_b128 off, v[12:15], s32 offset:1056 ; 16-byte Folded Spill
	s_wait_xcnt 0x0
	ds_load_b128 v[12:15], v7 offset:96
	s_wait_dscnt 0x1
	scratch_store_b128 off, v[0:3], s32 offset:1184 ; 16-byte Folded Spill
	s_wait_xcnt 0x0
	ds_load_b128 v[0:3], v7 offset:224
	s_wait_dscnt 0x1
	scratch_store_b128 off, v[12:15], s32 offset:1072 ; 16-byte Folded Spill
	s_wait_xcnt 0x0
	ds_load_b128 v[12:15], v7 offset:112
	s_wait_dscnt 0x1
	scratch_store_b128 off, v[0:3], s32 offset:1200 ; 16-byte Folded Spill
	s_wait_xcnt 0x0
	ds_load_b128 v[0:3], v7 offset:240
	s_wait_dscnt 0x0
	scratch_store_b128 off, v[0:3], s32 offset:1216 ; 16-byte Folded Spill
	s_wait_xcnt 0x0
	ds_load_b128 v[0:3], v7 offset:256
	s_wait_dscnt 0x0
	scratch_store_b128 off, v[0:3], s32 offset:1232 ; 16-byte Folded Spill
	s_wait_xcnt 0x0
	ds_load_b128 v[0:3], v7 offset:272
	s_wait_dscnt 0x0
	scratch_store_b128 off, v[0:3], s32 offset:1248 ; 16-byte Folded Spill
	s_wait_xcnt 0x0
	ds_load_b128 v[0:3], v7 offset:288
	s_wait_dscnt 0x0
	scratch_store_b128 off, v[0:3], s32 offset:1264 ; 16-byte Folded Spill
	s_wait_xcnt 0x0
	ds_load_b128 v[0:3], v7 offset:304
	s_wait_dscnt 0x0
	scratch_store_b128 off, v[0:3], s32 offset:1280 ; 16-byte Folded Spill
	s_wait_xcnt 0x0
	ds_load_b128 v[0:3], v7 offset:320
	s_wait_dscnt 0x0
	scratch_store_b128 off, v[0:3], s32 offset:1296 ; 16-byte Folded Spill
	s_wait_xcnt 0x0
	ds_load_b128 v[0:3], v7 offset:336
	s_wait_dscnt 0x0
	scratch_store_b128 off, v[0:3], s32 offset:1312 ; 16-byte Folded Spill
	s_wait_xcnt 0x0
	ds_load_b128 v[0:3], v7 offset:352
	s_wait_dscnt 0x0
	scratch_store_b128 off, v[0:3], s32 offset:1328 ; 16-byte Folded Spill
	s_wait_xcnt 0x0
	ds_load_b128 v[0:3], v7 offset:368
	s_wait_dscnt 0x0
	scratch_store_b128 off, v[0:3], s32 offset:1344 ; 16-byte Folded Spill
	s_wait_xcnt 0x0
	ds_load_b128 v[0:3], v7 offset:384
	s_wait_dscnt 0x0
	scratch_store_b128 off, v[0:3], s32 offset:1360 ; 16-byte Folded Spill
	s_wait_xcnt 0x0
	ds_load_b128 v[0:3], v7 offset:400
	s_wait_dscnt 0x0
	scratch_store_b128 off, v[0:3], s32 offset:1376 ; 16-byte Folded Spill
	s_wait_xcnt 0x0
	ds_load_b128 v[0:3], v7 offset:416
	s_wait_dscnt 0x0
	scratch_store_b128 off, v[0:3], s32 offset:1392 ; 16-byte Folded Spill
	s_wait_xcnt 0x0
	ds_load_b128 v[0:3], v7 offset:432
	s_wait_dscnt 0x0
	scratch_store_b128 off, v[0:3], s32 offset:1408 ; 16-byte Folded Spill
	s_wait_xcnt 0x0
	ds_load_b128 v[0:3], v7 offset:448
	s_wait_dscnt 0x0
	scratch_store_b128 off, v[0:3], s32 offset:1424 ; 16-byte Folded Spill
	s_wait_xcnt 0x0
	ds_load_b128 v[0:3], v7 offset:464
	s_wait_dscnt 0x0
	scratch_store_b128 off, v[0:3], s32 offset:1440 ; 16-byte Folded Spill
	s_wait_xcnt 0x0
	ds_load_b128 v[0:3], v7 offset:480
	s_wait_dscnt 0x0
	scratch_store_b128 off, v[0:3], s32 offset:1456 ; 16-byte Folded Spill
	s_wait_xcnt 0x0
	v_mov_b32_e32 v1, v7
	s_clause 0x1
	scratch_store_b128 off, v[12:15], s32 offset:1088
	scratch_store_b64 off, v[0:1], s32 offset:192
	s_wait_xcnt 0x0
	ds_load_b128 v[0:3], v7 offset:496
	s_wait_dscnt 0x0
	scratch_store_b128 off, v[0:3], s32 offset:1472 ; 16-byte Folded Spill
	s_branch .LBB228_10
.LBB228_6:                              ;   in Loop: Header=BB228_10 Depth=1
	s_or_b32 exec_lo, exec_lo, s16
	s_delay_alu instid0(VALU_DEP_2) | instskip(SKIP_2) | instid1(VALU_DEP_3)
	v_dual_lshlrev_b32 v8, 24, v9 :: v_dual_lshlrev_b32 v6, 20, v6
	v_lshl_add_u32 v9, v11, 23, 0x3c000000
	v_mov_b32_e32 v28, v7
	v_and_b32_e32 v8, 0x80000000, v8
	s_delay_alu instid0(VALU_DEP_1)
	v_or3_b32 v29, v6, v8, v9
	v_mov_b32_e32 v9, v7
	scratch_store_b64 off, v[8:9], s32 offset:192 ; 8-byte Folded Spill
.LBB228_7:                              ;   in Loop: Header=BB228_10 Depth=1
	s_wait_xcnt 0x0
	s_or_b32 exec_lo, exec_lo, s11
	v_mov_b64_e32 v[36:37], v[30:31]
.LBB228_8:                              ;   in Loop: Header=BB228_10 Depth=1
	s_or_b32 exec_lo, exec_lo, s9
	s_wait_loadcnt 0x1
	scratch_load_b32 v6, off, s32 offset:780 ; 4-byte Folded Reload
	s_wait_loadcnt 0x1
	scratch_load_b32 v47, off, s32 offset:784 ; 4-byte Folded Reload
	v_mov_b32_e32 v46, v53
.LBB228_9:                              ;   in Loop: Header=BB228_10 Depth=1
	s_wait_xcnt 0x0
	s_or_b32 exec_lo, exec_lo, s8
	v_or_b32_e32 v9, v15, v23
	v_or_b32_e32 v8, v14, v22
	;; [unrolled: 1-line block ×4, first 2 shown]
	scratch_store_b64 off, v[8:9], s32 offset:832 ; 8-byte Folded Spill
	s_wait_xcnt 0x0
	v_or_b32_e32 v9, v25, v69
	v_or_b32_e32 v8, v24, v68
	scratch_store_b64 off, v[0:1], s32 offset:864 ; 8-byte Folded Spill
	s_wait_xcnt 0x0
	v_or_b32_e32 v1, v5, v13
	v_or_b32_e32 v0, v4, v12
	scratch_store_b64 off, v[8:9], s32 offset:816 ; 8-byte Folded Spill
	s_wait_xcnt 0x0
	v_or_b32_e32 v9, v65, v51
	v_or_b32_e32 v8, v64, v50
	scratch_store_b64 off, v[0:1], s32 offset:840 ; 8-byte Folded Spill
	s_wait_xcnt 0x0
	v_or_b32_e32 v1, v111, v123
	v_or_b32_e32 v0, v110, v122
	scratch_store_b64 off, v[8:9], s32 offset:848 ; 8-byte Folded Spill
	s_wait_xcnt 0x0
	v_or_b32_e32 v9, v19, v35
	v_or_b32_e32 v8, v18, v34
	scratch_store_b64 off, v[0:1], s32 offset:880 ; 8-byte Folded Spill
	s_wait_xcnt 0x0
	v_or_b32_e32 v1, v17, v127
	v_or_b32_e32 v0, v16, v126
	s_clause 0x1
	scratch_store_b64 off, v[8:9], s32 offset:824
	scratch_store_b64 off, v[0:1], s32 offset:856
	s_wait_xcnt 0x0
	v_or_b32_e32 v1, v95, v125
	v_or_b32_e32 v0, v94, v124
	scratch_store_b64 off, v[0:1], s32 offset:896 ; 8-byte Folded Spill
	s_wait_xcnt 0x0
	v_or_b32_e32 v1, v107, v3
	v_or_b32_e32 v0, v106, v2
	scratch_store_b64 off, v[0:1], s32 offset:872 ; 8-byte Folded Spill
	;; [unrolled: 4-line block ×6, first 2 shown]
	s_wait_xcnt 0x0
	v_or_b32_e32 v1, v63, v77
	v_or_b32_e32 v0, v62, v76
	s_wait_loadcnt 0x1
	v_mov_b32_e32 v63, v6
	scratch_store_b64 off, v[0:1], s32 offset:944 ; 8-byte Folded Spill
	s_wait_xcnt 0x0
	v_or_b32_e32 v1, v59, v81
	v_or_b32_e32 v0, v58, v80
	;; [unrolled: 1-line block ×6, first 2 shown]
	scratch_store_b64 off, v[0:1], s32 offset:920 ; 8-byte Folded Spill
	s_wait_xcnt 0x0
	v_or_b32_e32 v1, v43, v73
	v_or_b32_e32 v0, v42, v72
	;; [unrolled: 1-line block ×6, first 2 shown]
	s_clause 0x1
	scratch_store_b64 off, v[0:1], s32 offset:936
	scratch_load_b64 v[0:1], off, s32 offset:764 th:TH_LOAD_LU
	v_or_b32_e32 v43, v103, v45
	v_or_b32_e32 v42, v102, v44
	;; [unrolled: 1-line block ×8, first 2 shown]
	s_wait_loadcnt 0x0
	v_or_b32_e32 v83, v55, v1
	v_or_b32_e32 v82, v54, v0
	s_clause 0x1
	scratch_load_b64 v[0:1], off, s32 offset:740 th:TH_LOAD_LU
	scratch_load_b64 v[2:3], off, s32 offset:748 th:TH_LOAD_LU
	s_wait_loadcnt 0x0
	v_or_b32_e32 v67, v1, v3
	v_or_b32_e32 v66, v0, v2
	s_clause 0x1
	scratch_load_b64 v[0:1], off, s32 offset:756 th:TH_LOAD_LU
	scratch_load_b64 v[2:3], off, s32 offset:772 th:TH_LOAD_LU
	;; [unrolled: 6-line block ×18, first 2 shown]
	s_wait_loadcnt 0x0
	v_or_b32_e32 v73, v1, v3
	v_or_b32_e32 v72, v0, v2
	scratch_load_b64 v[0:1], off, s32 offset:460 th:TH_LOAD_LU ; 8-byte Folded Reload
	s_wait_loadcnt 0x0
	v_or_b32_e32 v33, v33, v1
	v_or_b32_e32 v32, v32, v0
	s_clause 0x1
	scratch_load_b64 v[0:1], off, s32 offset:468 th:TH_LOAD_LU
	scratch_load_b64 v[2:3], off, s32 offset:476 th:TH_LOAD_LU
	s_wait_loadcnt 0x0
	v_or_b32_e32 v79, v1, v3
	v_or_b32_e32 v78, v0, v2
	s_clause 0x1
	scratch_load_b64 v[0:1], off, s32 offset:428 th:TH_LOAD_LU
	scratch_load_b64 v[2:3], off, s32 offset:436 th:TH_LOAD_LU
	;; [unrolled: 6-line block ×15, first 2 shown]
	s_wait_loadcnt 0x0
	v_or_b32_e32 v49, v1, v3
	v_or_b32_e32 v48, v0, v2
	scratch_load_b64 v[0:1], off, s32 offset:212 th:TH_LOAD_LU ; 8-byte Folded Reload
	s_wait_loadcnt 0x0
	v_or_b32_e32 v53, v37, v1
	v_or_b32_e32 v52, v36, v0
	s_clause 0x1
	scratch_load_b64 v[0:1], off, s32 offset:220 th:TH_LOAD_LU
	scratch_load_b64 v[2:3], off, s32 offset:228 th:TH_LOAD_LU
	v_or_b32_e32 v37, v39, v27
	v_or_b32_e32 v36, v38, v26
	;; [unrolled: 1-line block ×4, first 2 shown]
	s_clause 0x5
	scratch_load_b128 v[16:19], off, s32 offset:1024
	scratch_load_b128 v[20:23], off, s32 offset:1040
	;; [unrolled: 1-line block ×6, first 2 shown]
	s_wait_loadcnt 0x6
	v_or_b32_e32 v1, v1, v3
	v_or_b32_e32 v0, v0, v2
	scratch_load_b64 v[2:3], off, s32 offset:808 th:TH_LOAD_LU ; 8-byte Folded Reload
	s_wait_loadcnt 0x0
	v_mov_b32_e32 v62, v2
	scratch_load_b128 v[2:5], off, s32 offset:976 ; 16-byte Folded Reload
	v_pk_mul_f32 v[8:9], v[62:63], v[8:9] op_sel_hi:[0,1]
	v_pk_mul_f32 v[52:53], v[62:63], v[52:53] op_sel_hi:[0,1]
	;; [unrolled: 1-line block ×4, first 2 shown]
	s_delay_alu instid0(VALU_DEP_4) | instskip(NEXT) | instid1(VALU_DEP_3)
	v_pk_mul_f32 v[8:9], v[88:89], v[8:9]
	v_pk_mul_f32 v[48:49], v[90:91], v[48:49]
	s_wait_loadcnt 0x0
	s_delay_alu instid0(VALU_DEP_2) | instskip(SKIP_1) | instid1(VALU_DEP_3)
	v_pk_fma_f32 v[8:9], v[2:3], v[52:53], v[8:9]
	v_pk_mul_f32 v[52:53], v[62:63], v[126:127] op_sel_hi:[0,1]
	v_pk_fma_f32 v[0:1], v[4:5], v[0:1], v[48:49]
	scratch_load_b128 v[2:5], off, s32 offset:1120 ; 16-byte Folded Reload
	v_pk_fma_f32 v[8:9], v[12:13], v[52:53], v[8:9]
	v_pk_mul_f32 v[52:53], v[62:63], v[122:123] op_sel_hi:[0,1]
	s_delay_alu instid0(VALU_DEP_1) | instskip(SKIP_1) | instid1(VALU_DEP_1)
	v_pk_fma_f32 v[8:9], v[16:17], v[52:53], v[8:9]
	v_pk_mul_f32 v[52:53], v[62:63], v[110:111] op_sel_hi:[0,1]
	v_pk_fma_f32 v[8:9], v[20:21], v[52:53], v[8:9]
	v_pk_mul_f32 v[52:53], v[62:63], v[106:107] op_sel_hi:[0,1]
	s_delay_alu instid0(VALU_DEP_1) | instskip(SKIP_1) | instid1(VALU_DEP_1)
	v_pk_fma_f32 v[8:9], v[24:25], v[52:53], v[8:9]
	v_pk_mul_f32 v[52:53], v[62:63], v[94:95] op_sel_hi:[0,1]
	v_pk_fma_f32 v[8:9], v[28:29], v[52:53], v[8:9]
	v_pk_mul_f32 v[52:53], v[62:63], v[10:11] op_sel_hi:[0,1]
	scratch_load_b128 v[10:13], off, s32 offset:1088 ; 16-byte Folded Reload
	s_wait_loadcnt 0x0
	v_pk_fma_f32 v[8:9], v[10:11], v[52:53], v[8:9]
	v_pk_mul_f32 v[52:53], v[62:63], v[32:33] op_sel_hi:[0,1]
	scratch_load_b128 v[32:35], off, s32 offset:1104 ; 16-byte Folded Reload
	v_pk_mul_f32 v[10:11], v[62:63], v[6:7] op_sel_hi:[0,1]
	s_delay_alu instid0(VALU_DEP_1) | instskip(SKIP_1) | instid1(VALU_DEP_1)
	v_pk_fma_f32 v[0:1], v[14:15], v[10:11], v[0:1]
	v_pk_mul_f32 v[10:11], v[62:63], v[124:125] op_sel_hi:[0,1]
	v_pk_fma_f32 v[0:1], v[18:19], v[10:11], v[0:1]
	v_pk_mul_f32 v[10:11], v[62:63], v[120:121] op_sel_hi:[0,1]
	scratch_load_b128 v[16:19], off, s32 offset:1152 ; 16-byte Folded Reload
	v_pk_fma_f32 v[0:1], v[22:23], v[10:11], v[0:1]
	v_pk_mul_f32 v[10:11], v[62:63], v[108:109] op_sel_hi:[0,1]
	scratch_load_b128 v[20:23], off, s32 offset:1168 ; 16-byte Folded Reload
	;; [unrolled: 3-line block ×4, first 2 shown]
	v_pk_fma_f32 v[0:1], v[12:13], v[10:11], v[0:1]
	scratch_load_b128 v[12:15], off, s32 offset:1136 ; 16-byte Folded Reload
	v_pk_mul_f32 v[10:11], v[62:63], v[78:79] op_sel_hi:[0,1]
	s_wait_loadcnt 0x5
	v_pk_fma_f32 v[8:9], v[32:33], v[52:53], v[8:9]
	s_delay_alu instid0(VALU_DEP_2)
	v_pk_fma_f32 v[0:1], v[34:35], v[10:11], v[0:1]
	v_pk_mul_f32 v[10:11], v[62:63], v[76:77] op_sel_hi:[0,1]
	scratch_load_b128 v[32:35], off, s32 offset:1216 ; 16-byte Folded Reload
	v_pk_fma_f32 v[8:9], v[2:3], v[10:11], v[8:9]
	v_pk_mul_f32 v[10:11], v[62:63], v[74:75] op_sel_hi:[0,1]
	scratch_load_b128 v[74:77], off, s32 offset:1232 ; 16-byte Folded Reload
	s_wait_loadcnt 0x2
	v_pk_fma_f32 v[8:9], v[12:13], v[10:11], v[8:9]
	v_pk_mul_f32 v[10:11], v[62:63], v[60:61] op_sel_hi:[0,1]
	s_delay_alu instid0(VALU_DEP_1) | instskip(SKIP_1) | instid1(VALU_DEP_1)
	v_pk_fma_f32 v[8:9], v[16:17], v[10:11], v[8:9]
	v_pk_mul_f32 v[10:11], v[62:63], v[44:45] op_sel_hi:[0,1]
	v_pk_fma_f32 v[8:9], v[20:21], v[10:11], v[8:9]
	v_pk_mul_f32 v[10:11], v[62:63], v[116:117] op_sel_hi:[0,1]
	s_delay_alu instid0(VALU_DEP_1) | instskip(SKIP_1) | instid1(VALU_DEP_1)
	v_pk_fma_f32 v[8:9], v[24:25], v[10:11], v[8:9]
	v_pk_mul_f32 v[10:11], v[62:63], v[100:101] op_sel_hi:[0,1]
	v_pk_fma_f32 v[8:9], v[28:29], v[10:11], v[8:9]
	v_pk_mul_f32 v[10:11], v[62:63], v[84:85] op_sel_hi:[0,1]
	s_wait_loadcnt 0x1
	s_delay_alu instid0(VALU_DEP_1) | instskip(SKIP_2) | instid1(VALU_DEP_1)
	v_pk_fma_f32 v[8:9], v[32:33], v[10:11], v[8:9]
	v_pk_mul_f32 v[10:11], v[62:63], v[68:69] op_sel_hi:[0,1]
	s_wait_loadcnt 0x0
	v_pk_fma_f32 v[8:9], v[74:75], v[10:11], v[8:9]
	v_pk_mul_f32 v[10:11], v[62:63], v[66:67] op_sel_hi:[0,1]
	scratch_load_b128 v[66:69], off, s32 offset:1248 ; 16-byte Folded Reload
	s_wait_loadcnt 0x0
	v_pk_fma_f32 v[8:9], v[66:67], v[10:11], v[8:9]
	v_pk_mul_f32 v[10:11], v[62:63], v[82:83] op_sel_hi:[0,1]
	scratch_load_b128 v[82:85], off, s32 offset:1264 ; 16-byte Folded Reload
	;; [unrolled: 4-line block ×3, first 2 shown]
	s_wait_loadcnt 0x0
	v_pk_fma_f32 v[8:9], v[98:99], v[10:11], v[8:9]
	v_pk_mul_f32 v[10:11], v[62:63], v[72:73] op_sel_hi:[0,1]
	s_delay_alu instid0(VALU_DEP_1) | instskip(SKIP_2) | instid1(VALU_DEP_1)
	v_pk_fma_f32 v[0:1], v[4:5], v[10:11], v[0:1]
	scratch_load_b128 v[2:5], off, s32 offset:1296 ; 16-byte Folded Reload
	v_pk_mul_f32 v[10:11], v[62:63], v[56:57] op_sel_hi:[0,1]
	v_pk_fma_f32 v[0:1], v[14:15], v[10:11], v[0:1]
	v_pk_mul_f32 v[10:11], v[62:63], v[40:41] op_sel_hi:[0,1]
	scratch_load_b128 v[12:15], off, s32 offset:1312 ; 16-byte Folded Reload
	v_pk_fma_f32 v[0:1], v[18:19], v[10:11], v[0:1]
	v_pk_mul_f32 v[10:11], v[62:63], v[112:113] op_sel_hi:[0,1]
	scratch_load_b128 v[16:19], off, s32 offset:1328 ; 16-byte Folded Reload
	;; [unrolled: 3-line block ×4, first 2 shown]
	v_pk_fma_f32 v[0:1], v[30:31], v[10:11], v[0:1]
	v_pk_mul_f32 v[10:11], v[62:63], v[64:65] op_sel_hi:[0,1]
	s_clause 0x1
	scratch_load_b128 v[28:31], off, s32 offset:1376
	scratch_load_b128 v[64:67], off, s32 offset:1440
	v_pk_fma_f32 v[0:1], v[34:35], v[10:11], v[0:1]
	v_pk_mul_f32 v[10:11], v[62:63], v[50:51] op_sel_hi:[0,1]
	s_clause 0x1
	scratch_load_b128 v[32:35], off, s32 offset:1392
	scratch_load_b128 v[48:51], off, s32 offset:1408
	v_pk_fma_f32 v[0:1], v[76:77], v[10:11], v[0:1]
	v_pk_mul_f32 v[10:11], v[62:63], v[54:55] op_sel_hi:[0,1]
	scratch_load_b128 v[52:55], off, s32 offset:1424 ; 16-byte Folded Reload
	v_pk_fma_f32 v[0:1], v[68:69], v[10:11], v[0:1]
	v_pk_mul_f32 v[10:11], v[62:63], v[70:71] op_sel_hi:[0,1]
	scratch_load_b128 v[68:71], off, s32 offset:1456 ; 16-byte Folded Reload
	v_pk_fma_f32 v[0:1], v[84:85], v[10:11], v[0:1]
	v_pk_mul_f32 v[10:11], v[62:63], v[86:87] op_sel_hi:[0,1]
	s_delay_alu instid0(VALU_DEP_1) | instskip(SKIP_2) | instid1(VALU_DEP_1)
	v_pk_fma_f32 v[0:1], v[100:101], v[10:11], v[0:1]
	v_pk_mul_f32 v[10:11], v[62:63], v[114:115] op_sel_hi:[0,1]
	s_wait_loadcnt 0xa
	v_pk_fma_f32 v[8:9], v[2:3], v[10:11], v[8:9]
	scratch_load_b64 v[2:3], off, s32 offset:944 th:TH_LOAD_LU ; 8-byte Folded Reload
	v_pk_mul_f32 v[10:11], v[62:63], v[42:43] op_sel_hi:[0,1]
	s_wait_loadcnt 0xa
	s_delay_alu instid0(VALU_DEP_1) | instskip(SKIP_2) | instid1(VALU_DEP_1)
	v_pk_fma_f32 v[8:9], v[12:13], v[10:11], v[8:9]
	v_pk_mul_f32 v[10:11], v[62:63], v[58:59] op_sel_hi:[0,1]
	s_wait_loadcnt 0x9
	v_pk_fma_f32 v[8:9], v[16:17], v[10:11], v[8:9]
	s_wait_loadcnt 0x0
	v_pk_mul_f32 v[10:11], v[62:63], v[2:3] op_sel_hi:[0,1]
	scratch_load_b64 v[2:3], off, s32 offset:928 th:TH_LOAD_LU ; 8-byte Folded Reload
	v_pk_fma_f32 v[8:9], v[20:21], v[10:11], v[8:9]
	s_wait_loadcnt 0x0
	v_pk_mul_f32 v[10:11], v[62:63], v[2:3] op_sel_hi:[0,1]
	scratch_load_b64 v[2:3], off, s32 offset:912 th:TH_LOAD_LU ; 8-byte Folded Reload
	v_pk_fma_f32 v[8:9], v[24:25], v[10:11], v[8:9]
	s_wait_loadcnt 0x0
	v_pk_mul_f32 v[10:11], v[62:63], v[2:3] op_sel_hi:[0,1]
	scratch_load_b64 v[2:3], off, s32 offset:896 th:TH_LOAD_LU ; 8-byte Folded Reload
	v_pk_fma_f32 v[8:9], v[28:29], v[10:11], v[8:9]
	s_wait_loadcnt 0x0
	v_pk_mul_f32 v[10:11], v[62:63], v[2:3] op_sel_hi:[0,1]
	scratch_load_b64 v[2:3], off, s32 offset:880 th:TH_LOAD_LU ; 8-byte Folded Reload
	v_pk_fma_f32 v[8:9], v[32:33], v[10:11], v[8:9]
	s_wait_loadcnt 0x0
	v_pk_mul_f32 v[10:11], v[62:63], v[2:3] op_sel_hi:[0,1]
	scratch_load_b64 v[2:3], off, s32 offset:864 th:TH_LOAD_LU ; 8-byte Folded Reload
	v_pk_fma_f32 v[8:9], v[48:49], v[10:11], v[8:9]
	s_wait_loadcnt 0x0
	v_pk_mul_f32 v[10:11], v[62:63], v[2:3] op_sel_hi:[0,1]
	scratch_load_b64 v[2:3], off, s32 offset:848 th:TH_LOAD_LU ; 8-byte Folded Reload
	v_pk_fma_f32 v[8:9], v[52:53], v[10:11], v[8:9]
	s_wait_loadcnt 0x0
	v_pk_mul_f32 v[10:11], v[62:63], v[2:3] op_sel_hi:[0,1]
	scratch_load_b64 v[2:3], off, s32 offset:832 th:TH_LOAD_LU ; 8-byte Folded Reload
	v_pk_fma_f32 v[8:9], v[64:65], v[10:11], v[8:9]
	s_wait_loadcnt 0x0
	v_pk_mul_f32 v[10:11], v[62:63], v[2:3] op_sel_hi:[0,1]
	scratch_load_b64 v[2:3], off, s32 offset:936 th:TH_LOAD_LU ; 8-byte Folded Reload
	v_pk_fma_f32 v[8:9], v[68:69], v[10:11], v[8:9]
	v_pk_mul_f32 v[10:11], v[62:63], v[102:103] op_sel_hi:[0,1]
	s_delay_alu instid0(VALU_DEP_1) | instskip(SKIP_2) | instid1(VALU_DEP_2)
	v_pk_fma_f32 v[0:1], v[4:5], v[10:11], v[0:1]
	v_pk_mul_f32 v[10:11], v[62:63], v[118:119] op_sel_hi:[0,1]
	v_pk_mul_f32 v[4:5], v[62:63], v[36:37] op_sel_hi:[0,1]
	v_pk_fma_f32 v[0:1], v[14:15], v[10:11], v[0:1]
	scratch_load_b128 v[12:15], off, s32 offset:1472 ; 16-byte Folded Reload
	s_wait_loadcnt 0x1
	v_pk_mul_f32 v[10:11], v[62:63], v[2:3] op_sel_hi:[0,1]
	scratch_load_b64 v[2:3], off, s32 offset:920 th:TH_LOAD_LU ; 8-byte Folded Reload
	v_pk_fma_f32 v[0:1], v[18:19], v[10:11], v[0:1]
	s_wait_loadcnt 0x0
	v_pk_mul_f32 v[10:11], v[62:63], v[2:3] op_sel_hi:[0,1]
	scratch_load_b64 v[2:3], off, s32 offset:904 th:TH_LOAD_LU ; 8-byte Folded Reload
	v_pk_fma_f32 v[0:1], v[22:23], v[10:11], v[0:1]
	;; [unrolled: 4-line block ×4, first 2 shown]
	v_pk_mul_f32 v[10:11], v[62:63], v[38:39] op_sel_hi:[0,1]
	s_wait_loadcnt 0x0
	v_pk_mul_f32 v[2:3], v[62:63], v[2:3] op_sel_hi:[0,1]
	s_delay_alu instid0(VALU_DEP_1) | instskip(SKIP_3) | instid1(VALU_DEP_1)
	v_pk_fma_f32 v[0:1], v[34:35], v[2:3], v[0:1]
	scratch_load_b64 v[2:3], off, s32 offset:856 th:TH_LOAD_LU ; 8-byte Folded Reload
	s_wait_loadcnt 0x0
	v_pk_mul_f32 v[2:3], v[62:63], v[2:3] op_sel_hi:[0,1]
	v_pk_fma_f32 v[0:1], v[50:51], v[2:3], v[0:1]
	scratch_load_b64 v[2:3], off, s32 offset:840 th:TH_LOAD_LU ; 8-byte Folded Reload
	s_wait_loadcnt 0x0
	v_pk_mul_f32 v[2:3], v[62:63], v[2:3] op_sel_hi:[0,1]
	s_delay_alu instid0(VALU_DEP_1) | instskip(SKIP_3) | instid1(VALU_DEP_1)
	v_pk_fma_f32 v[0:1], v[54:55], v[2:3], v[0:1]
	scratch_load_b64 v[2:3], off, s32 offset:824 th:TH_LOAD_LU ; 8-byte Folded Reload
	s_wait_loadcnt 0x0
	v_pk_mul_f32 v[2:3], v[62:63], v[2:3] op_sel_hi:[0,1]
	v_pk_fma_f32 v[0:1], v[66:67], v[2:3], v[0:1]
	scratch_load_b64 v[2:3], off, s32 offset:816 th:TH_LOAD_LU ; 8-byte Folded Reload
	s_wait_loadcnt 0x0
	v_pk_mul_f32 v[2:3], v[62:63], v[2:3] op_sel_hi:[0,1]
	v_add_nc_u32_e32 v63, 4, v63
	s_delay_alu instid0(VALU_DEP_2)
	v_pk_fma_f32 v[0:1], v[70:71], v[2:3], v[0:1]
	v_pk_fma_f32 v[2:3], v[12:13], v[4:5], v[8:9]
	scratch_load_b64 v[4:5], off, s32 offset:800 th:TH_LOAD_LU ; 8-byte Folded Reload
	v_pk_fma_f32 v[0:1], v[14:15], v[10:11], v[0:1]
	v_add_f32_e32 v2, v2, v3
	scratch_load_b32 v11, off, s32 offset:796 th:TH_LOAD_LU ; 4-byte Folded Reload
	v_add_f32_e32 v0, v0, v2
	scratch_load_b64 v[2:3], off, s32 offset:200 ; 8-byte Folded Reload
	s_wait_loadcnt 0x0
	scratch_load_b32 v3, off, s32 offset:952 ; 4-byte Folded Reload
	v_add_f32_e32 v0, v1, v0
	v_add_nc_u64_e32 v[4:5], 16, v[4:5]
	v_sub_nc_u32_e32 v1, 1, v2
	v_cmp_lt_i32_e64 s1, v46, v2
	s_delay_alu instid0(VALU_DEP_2) | instskip(SKIP_1) | instid1(VALU_DEP_2)
	v_add_nc_u32_e32 v1, v1, v46
	v_add_nc_u32_e32 v46, 0x80, v46
	v_cvt_f32_i32_e32 v1, v1
	s_wait_loadcnt 0x0
	s_delay_alu instid0(VALU_DEP_1) | instskip(SKIP_3) | instid1(VALU_DEP_1)
	v_mul_f32_e32 v1, v3, v1
	scratch_load_b32 v3, off, s32 offset:964 ; 4-byte Folded Reload
	v_cndmask_b32_e32 v1, 0, v1, vcc_lo
	s_wait_loadcnt 0x0
	v_fmac_f32_e32 v1, v3, v0
	v_max_num_f32_e32 v0, v11, v11
	s_delay_alu instid0(VALU_DEP_1) | instskip(NEXT) | instid1(VALU_DEP_1)
	v_dual_max_num_f32 v0, v0, v1 :: v_dual_cndmask_b32 v1, 0, v1, s1
	v_cndmask_b32_e64 v11, v11, v0, s1
	scratch_load_b32 v0, off, s32 offset:208 ; 4-byte Folded Reload
	ds_store_b32 v47, v1
	v_add_nc_u32_e32 v47, 0x200, v47
	s_wait_loadcnt 0x0
	v_cmp_ge_i32_e64 s1, v63, v0
	s_or_b32 s3, s1, s3
	s_wait_xcnt 0x0
	s_and_not1_b32 exec_lo, exec_lo, s3
	s_cbranch_execz .LBB228_1031
.LBB228_10:                             ; =>This Inner Loop Header: Depth=1
	s_clause 0x3
	scratch_store_b32 off, v47, s32 offset:784
	scratch_store_b32 off, v63, s32 offset:780
	;; [unrolled: 1-line block ×3, first 2 shown]
	scratch_store_b64 off, v[4:5], s32 offset:800
	flat_load_b32 v0, v[4:5]
	s_clause 0x1
	scratch_load_b64 v[2:3], off, s32 offset:788
	scratch_load_b64 v[4:5], off, s32 offset:968
	v_mov_b64_e32 v[36:37], 0
	v_mov_b32_e32 v53, v46
	s_mov_b32 s8, exec_lo
	s_wait_loadcnt_dscnt 0x0
	v_mad_nc_i64_i32 v[48:49], v0, v2, v[4:5]
	flat_load_b32 v0, v[48:49]
	scratch_load_b64 v[2:3], off, s32 offset:956 ; 8-byte Folded Reload
	s_wait_loadcnt_dscnt 0x100
	v_and_b32_e32 v1, 0xff, v0
	s_wait_loadcnt 0x0
	flat_load_b32 v2, v[2:3]
	s_wait_loadcnt_dscnt 0x0
	scratch_store_b64 off, v[2:3], s32 offset:808 ; 8-byte Folded Spill
	s_wait_xcnt 0x0
	v_mov_b64_e32 v[2:3], 0
	scratch_store_b64 off, v[2:3], s32 offset:212 ; 8-byte Folded Spill
	s_wait_xcnt 0x0
	v_cmpx_ne_u16_e32 0, v1
	s_cbranch_execz .LBB228_18
; %bb.11:                               ;   in Loop: Header=BB228_10 Depth=1
	v_mov_b64_e32 v[2:3], 0x80000000
	s_mov_b32 s9, exec_lo
	scratch_store_b64 off, v[2:3], s32 offset:212 ; 8-byte Folded Spill
	s_wait_xcnt 0x0
	v_cmpx_ne_u16_e32 0x80, v1
	s_cbranch_execz .LBB228_17
; %bb.12:                               ;   in Loop: Header=BB228_10 Depth=1
	v_mov_b64_e32 v[4:5], 0x7f800001
	v_and_b32_e32 v2, 0x7f, v0
	s_mov_b32 s11, exec_lo
	scratch_store_b64 off, v[4:5], s32 offset:212 ; 8-byte Folded Spill
	s_wait_xcnt 0x0
	v_cmpx_ne_u32_e32 0x7f, v2
	s_cbranch_execz .LBB228_16
; %bb.13:                               ;   in Loop: Header=BB228_10 Depth=1
	scratch_load_b64 v[4:5], off, s32 offset:192 th:TH_LOAD_LU ; 8-byte Folded Reload
	s_wait_loadcnt 0x0
	v_dual_lshrrev_b32 v1, 3, v2 :: v_dual_bitop2_b32 v4, 7, v0 bitop3:0x40
	s_mov_b32 s16, exec_lo
	s_wait_xcnt 0x0
	v_cmpx_gt_u32_e32 8, v2
; %bb.14:                               ;   in Loop: Header=BB228_10 Depth=1
	s_delay_alu instid0(VALU_DEP_2) | instskip(NEXT) | instid1(VALU_DEP_1)
	v_clz_i32_u32_e32 v1, v4
	v_min_u32_e32 v1, 32, v1
	s_delay_alu instid0(VALU_DEP_1) | instskip(NEXT) | instid1(VALU_DEP_1)
	v_subrev_nc_u32_e32 v2, 28, v1
	v_lshlrev_b64_e32 v[2:3], v2, v[4:5]
	s_delay_alu instid0(VALU_DEP_1)
	v_dual_sub_nc_u32 v1, 29, v1 :: v_dual_bitop2_b32 v4, 7, v2 bitop3:0x40
; %bb.15:                               ;   in Loop: Header=BB228_10 Depth=1
	s_or_b32 exec_lo, exec_lo, s16
	v_lshlrev_b32_e32 v2, 24, v0
	s_delay_alu instid0(VALU_DEP_2) | instskip(NEXT) | instid1(VALU_DEP_3)
	v_lshlrev_b32_e32 v3, 20, v4
	v_lshl_add_u32 v1, v1, 23, 0x3c000000
	s_delay_alu instid0(VALU_DEP_3) | instskip(NEXT) | instid1(VALU_DEP_1)
	v_and_b32_e32 v2, 0x80000000, v2
	v_or3_b32 v4, v3, v2, v1
	v_mov_b32_e32 v1, v5
	s_clause 0x1
	scratch_store_b64 off, v[0:1], s32 offset:192
	scratch_store_b64 off, v[4:5], s32 offset:212
.LBB228_16:                             ;   in Loop: Header=BB228_10 Depth=1
	s_wait_xcnt 0x0
	s_or_b32 exec_lo, exec_lo, s11
.LBB228_17:                             ;   in Loop: Header=BB228_10 Depth=1
	s_delay_alu instid0(SALU_CYCLE_1)
	s_or_b32 exec_lo, exec_lo, s9
.LBB228_18:                             ;   in Loop: Header=BB228_10 Depth=1
	s_delay_alu instid0(SALU_CYCLE_1) | instskip(SKIP_2) | instid1(VALU_DEP_1)
	s_or_b32 exec_lo, exec_lo, s8
	v_lshrrev_b16 v1, 8, v0
	s_mov_b32 s8, exec_lo
	v_cmpx_ne_u16_e32 0, v1
	s_cbranch_execz .LBB228_26
; %bb.19:                               ;   in Loop: Header=BB228_10 Depth=1
	v_mov_b64_e32 v[36:37], 0x8000000000000000
	s_mov_b32 s9, exec_lo
	v_cmpx_ne_u16_e32 0x80, v1
	s_cbranch_execz .LBB228_25
; %bb.20:                               ;   in Loop: Header=BB228_10 Depth=1
	v_and_b32_e32 v1, 0xffff, v1
	v_mov_b64_e32 v[36:37], 0x7f80000100000000
	s_mov_b32 s11, exec_lo
	s_delay_alu instid0(VALU_DEP_2) | instskip(NEXT) | instid1(VALU_DEP_1)
	v_and_b32_e32 v2, 0x7f, v1
	v_cmpx_ne_u32_e32 0x7f, v2
	s_cbranch_execz .LBB228_24
; %bb.21:                               ;   in Loop: Header=BB228_10 Depth=1
	scratch_load_b64 v[4:5], off, s32 offset:192 th:TH_LOAD_LU ; 8-byte Folded Reload
	s_wait_loadcnt 0x0
	v_dual_lshrrev_b32 v1, 3, v2 :: v_dual_bitop2_b32 v4, 7, v1 bitop3:0x40
	s_mov_b32 s16, exec_lo
	s_wait_xcnt 0x0
	v_cmpx_gt_u32_e32 8, v2
; %bb.22:                               ;   in Loop: Header=BB228_10 Depth=1
	s_delay_alu instid0(VALU_DEP_2) | instskip(NEXT) | instid1(VALU_DEP_1)
	v_clz_i32_u32_e32 v1, v4
	v_min_u32_e32 v1, 32, v1
	s_delay_alu instid0(VALU_DEP_1) | instskip(NEXT) | instid1(VALU_DEP_1)
	v_subrev_nc_u32_e32 v2, 28, v1
	v_lshlrev_b64_e32 v[2:3], v2, v[4:5]
	s_delay_alu instid0(VALU_DEP_1)
	v_dual_sub_nc_u32 v1, 29, v1 :: v_dual_bitop2_b32 v4, 7, v2 bitop3:0x40
; %bb.23:                               ;   in Loop: Header=BB228_10 Depth=1
	s_or_b32 exec_lo, exec_lo, s16
	v_lshlrev_b32_e32 v2, 16, v0
	s_delay_alu instid0(VALU_DEP_2) | instskip(NEXT) | instid1(VALU_DEP_3)
	v_dual_mov_b32 v36, v5 :: v_dual_lshlrev_b32 v3, 20, v4
	v_lshl_add_u32 v1, v1, 23, 0x3c000000
	s_delay_alu instid0(VALU_DEP_3) | instskip(NEXT) | instid1(VALU_DEP_1)
	v_and_b32_e32 v2, 0x80000000, v2
	v_or3_b32 v37, v3, v2, v1
	v_mov_b32_e32 v1, v5
	scratch_store_b64 off, v[0:1], s32 offset:192 ; 8-byte Folded Spill
.LBB228_24:                             ;   in Loop: Header=BB228_10 Depth=1
	s_wait_xcnt 0x0
	s_or_b32 exec_lo, exec_lo, s11
.LBB228_25:                             ;   in Loop: Header=BB228_10 Depth=1
	s_delay_alu instid0(SALU_CYCLE_1)
	s_or_b32 exec_lo, exec_lo, s9
.LBB228_26:                             ;   in Loop: Header=BB228_10 Depth=1
	s_delay_alu instid0(SALU_CYCLE_1) | instskip(SKIP_3) | instid1(VALU_DEP_1)
	s_or_b32 exec_lo, exec_lo, s8
	v_mov_b64_e32 v[4:5], 0
	v_lshrrev_b32_e32 v1, 16, v0
	s_mov_b32 s8, exec_lo
	v_and_b32_e32 v2, 0xff, v1
	scratch_store_b64 off, v[4:5], s32 offset:220 ; 8-byte Folded Spill
	s_wait_xcnt 0x0
	v_mov_b64_e32 v[4:5], 0
	scratch_store_b64 off, v[4:5], s32 offset:228 ; 8-byte Folded Spill
	s_wait_xcnt 0x0
	v_cmpx_ne_u16_e32 0, v2
	s_cbranch_execz .LBB228_34
; %bb.27:                               ;   in Loop: Header=BB228_10 Depth=1
	v_cmp_ne_u16_e64 s1, 0x80, v2
	v_mov_b64_e32 v[2:3], 0x80000000
	scratch_store_b64 off, v[2:3], s32 offset:228 ; 8-byte Folded Spill
	s_wait_xcnt 0x0
	s_and_saveexec_b32 s9, s1
	s_cbranch_execz .LBB228_33
; %bb.28:                               ;   in Loop: Header=BB228_10 Depth=1
	v_mov_b64_e32 v[4:5], 0x7f800001
	v_bfe_u32 v3, v0, 16, 7
	s_mov_b32 s11, exec_lo
	scratch_store_b64 off, v[4:5], s32 offset:228 ; 8-byte Folded Spill
	s_wait_xcnt 0x0
	v_cmpx_ne_u32_e32 0x7f, v3
	s_cbranch_execz .LBB228_32
; %bb.29:                               ;   in Loop: Header=BB228_10 Depth=1
	scratch_load_b64 v[6:7], off, s32 offset:192 th:TH_LOAD_LU ; 8-byte Folded Reload
	s_wait_loadcnt 0x0
	v_dual_lshrrev_b32 v2, 3, v3 :: v_dual_bitop2_b32 v6, 7, v1 bitop3:0x40
	s_mov_b32 s16, exec_lo
	s_wait_xcnt 0x0
	v_cmpx_gt_u32_e32 8, v3
; %bb.30:                               ;   in Loop: Header=BB228_10 Depth=1
	s_delay_alu instid0(VALU_DEP_2) | instskip(NEXT) | instid1(VALU_DEP_1)
	v_clz_i32_u32_e32 v2, v6
	v_min_u32_e32 v2, 32, v2
	s_delay_alu instid0(VALU_DEP_1) | instskip(NEXT) | instid1(VALU_DEP_1)
	v_subrev_nc_u32_e32 v3, 28, v2
	v_lshlrev_b64_e32 v[4:5], v3, v[6:7]
	s_delay_alu instid0(VALU_DEP_1)
	v_dual_sub_nc_u32 v2, 29, v2 :: v_dual_bitop2_b32 v6, 7, v4 bitop3:0x40
; %bb.31:                               ;   in Loop: Header=BB228_10 Depth=1
	s_or_b32 exec_lo, exec_lo, s16
	s_delay_alu instid0(VALU_DEP_1) | instskip(NEXT) | instid1(VALU_DEP_2)
	v_dual_lshlrev_b32 v1, 24, v1 :: v_dual_lshlrev_b32 v3, 20, v6
	v_lshl_add_u32 v2, v2, 23, 0x3c000000
	s_delay_alu instid0(VALU_DEP_2) | instskip(NEXT) | instid1(VALU_DEP_1)
	v_and_b32_e32 v1, 0x80000000, v1
	v_or3_b32 v6, v3, v1, v2
	v_mov_b32_e32 v1, v7
	s_clause 0x1
	scratch_store_b64 off, v[0:1], s32 offset:192
	scratch_store_b64 off, v[6:7], s32 offset:228
.LBB228_32:                             ;   in Loop: Header=BB228_10 Depth=1
	s_wait_xcnt 0x0
	s_or_b32 exec_lo, exec_lo, s11
.LBB228_33:                             ;   in Loop: Header=BB228_10 Depth=1
	s_delay_alu instid0(SALU_CYCLE_1)
	s_or_b32 exec_lo, exec_lo, s9
.LBB228_34:                             ;   in Loop: Header=BB228_10 Depth=1
	s_delay_alu instid0(SALU_CYCLE_1) | instskip(NEXT) | instid1(SALU_CYCLE_1)
	s_or_b32 exec_lo, exec_lo, s8
	s_mov_b32 s8, exec_lo
	v_cmpx_lt_u32_e32 0xffffff, v0
	s_cbranch_execz .LBB228_42
; %bb.35:                               ;   in Loop: Header=BB228_10 Depth=1
	v_mov_b64_e32 v[2:3], 0x8000000000000000
	v_lshrrev_b32_e32 v1, 24, v0
	s_mov_b32 s9, exec_lo
	scratch_store_b64 off, v[2:3], s32 offset:220 ; 8-byte Folded Spill
	s_wait_xcnt 0x0
	v_cmpx_ne_u32_e32 0x80, v1
	s_cbranch_execz .LBB228_41
; %bb.36:                               ;   in Loop: Header=BB228_10 Depth=1
	v_mov_b64_e32 v[4:5], 0x7f80000100000000
	v_bfe_u32 v2, v0, 24, 7
	s_mov_b32 s11, exec_lo
	scratch_store_b64 off, v[4:5], s32 offset:220 ; 8-byte Folded Spill
	s_wait_xcnt 0x0
	v_cmpx_ne_u32_e32 0x7f, v2
	s_cbranch_execz .LBB228_40
; %bb.37:                               ;   in Loop: Header=BB228_10 Depth=1
	scratch_load_b64 v[4:5], off, s32 offset:192 th:TH_LOAD_LU ; 8-byte Folded Reload
	s_wait_loadcnt 0x0
	v_dual_lshrrev_b32 v0, 3, v2 :: v_dual_bitop2_b32 v4, 7, v1 bitop3:0x40
	s_mov_b32 s16, exec_lo
	s_wait_xcnt 0x0
	v_cmpx_gt_u32_e32 8, v2
; %bb.38:                               ;   in Loop: Header=BB228_10 Depth=1
	s_delay_alu instid0(VALU_DEP_2) | instskip(NEXT) | instid1(VALU_DEP_1)
	v_clz_i32_u32_e32 v0, v4
	v_min_u32_e32 v0, 32, v0
	s_delay_alu instid0(VALU_DEP_1) | instskip(NEXT) | instid1(VALU_DEP_1)
	v_subrev_nc_u32_e32 v2, 28, v0
	v_lshlrev_b64_e32 v[2:3], v2, v[4:5]
	s_delay_alu instid0(VALU_DEP_1)
	v_dual_sub_nc_u32 v0, 29, v0 :: v_dual_bitop2_b32 v4, 7, v2 bitop3:0x40
; %bb.39:                               ;   in Loop: Header=BB228_10 Depth=1
	s_or_b32 exec_lo, exec_lo, s16
	s_delay_alu instid0(VALU_DEP_1) | instskip(NEXT) | instid1(VALU_DEP_2)
	v_dual_lshlrev_b32 v1, 24, v1 :: v_dual_lshlrev_b32 v2, 20, v4
	v_lshl_add_u32 v0, v0, 23, 0x3c000000
	s_delay_alu instid0(VALU_DEP_2) | instskip(NEXT) | instid1(VALU_DEP_1)
	v_and_b32_e32 v1, 0x80000000, v1
	v_or3_b32 v3, v2, v1, v0
	v_dual_mov_b32 v1, v5 :: v_dual_mov_b32 v2, v5
	s_clause 0x1
	scratch_store_b64 off, v[0:1], s32 offset:192
	scratch_store_b64 off, v[2:3], s32 offset:220
.LBB228_40:                             ;   in Loop: Header=BB228_10 Depth=1
	s_wait_xcnt 0x0
	s_or_b32 exec_lo, exec_lo, s11
.LBB228_41:                             ;   in Loop: Header=BB228_10 Depth=1
	s_delay_alu instid0(SALU_CYCLE_1)
	s_or_b32 exec_lo, exec_lo, s9
.LBB228_42:                             ;   in Loop: Header=BB228_10 Depth=1
	s_delay_alu instid0(SALU_CYCLE_1)
	s_or_b32 exec_lo, exec_lo, s8
	flat_load_b32 v0, v[48:49] offset:4
	v_mov_b64_e32 v[2:3], 0
	s_mov_b32 s8, exec_lo
	scratch_store_b64 off, v[2:3], s32 offset:236 ; 8-byte Folded Spill
	s_wait_xcnt 0x0
	v_mov_b64_e32 v[2:3], 0
	scratch_store_b64 off, v[2:3], s32 offset:244 ; 8-byte Folded Spill
	s_wait_loadcnt_dscnt 0x0
	v_and_b32_e32 v1, 0xff, v0
	s_wait_xcnt 0x0
	s_delay_alu instid0(VALU_DEP_1)
	v_cmpx_ne_u16_e32 0, v1
	s_cbranch_execz .LBB228_50
; %bb.43:                               ;   in Loop: Header=BB228_10 Depth=1
	v_mov_b64_e32 v[2:3], 0x80000000
	s_mov_b32 s9, exec_lo
	scratch_store_b64 off, v[2:3], s32 offset:244 ; 8-byte Folded Spill
	s_wait_xcnt 0x0
	v_cmpx_ne_u16_e32 0x80, v1
	s_cbranch_execz .LBB228_49
; %bb.44:                               ;   in Loop: Header=BB228_10 Depth=1
	v_mov_b64_e32 v[4:5], 0x7f800001
	v_and_b32_e32 v2, 0x7f, v0
	s_mov_b32 s11, exec_lo
	scratch_store_b64 off, v[4:5], s32 offset:244 ; 8-byte Folded Spill
	s_wait_xcnt 0x0
	v_cmpx_ne_u32_e32 0x7f, v2
	s_cbranch_execz .LBB228_48
; %bb.45:                               ;   in Loop: Header=BB228_10 Depth=1
	scratch_load_b64 v[4:5], off, s32 offset:192 th:TH_LOAD_LU ; 8-byte Folded Reload
	s_wait_loadcnt 0x0
	v_dual_lshrrev_b32 v1, 3, v2 :: v_dual_bitop2_b32 v4, 7, v0 bitop3:0x40
	s_mov_b32 s16, exec_lo
	s_wait_xcnt 0x0
	v_cmpx_gt_u32_e32 8, v2
; %bb.46:                               ;   in Loop: Header=BB228_10 Depth=1
	s_delay_alu instid0(VALU_DEP_2) | instskip(NEXT) | instid1(VALU_DEP_1)
	v_clz_i32_u32_e32 v1, v4
	v_min_u32_e32 v1, 32, v1
	s_delay_alu instid0(VALU_DEP_1) | instskip(NEXT) | instid1(VALU_DEP_1)
	v_subrev_nc_u32_e32 v2, 28, v1
	v_lshlrev_b64_e32 v[2:3], v2, v[4:5]
	s_delay_alu instid0(VALU_DEP_1)
	v_dual_sub_nc_u32 v1, 29, v1 :: v_dual_bitop2_b32 v4, 7, v2 bitop3:0x40
; %bb.47:                               ;   in Loop: Header=BB228_10 Depth=1
	s_or_b32 exec_lo, exec_lo, s16
	v_lshlrev_b32_e32 v2, 24, v0
	s_delay_alu instid0(VALU_DEP_2) | instskip(NEXT) | instid1(VALU_DEP_3)
	v_lshlrev_b32_e32 v3, 20, v4
	v_lshl_add_u32 v1, v1, 23, 0x3c000000
	s_delay_alu instid0(VALU_DEP_3) | instskip(NEXT) | instid1(VALU_DEP_1)
	v_and_b32_e32 v2, 0x80000000, v2
	v_or3_b32 v4, v3, v2, v1
	v_mov_b32_e32 v1, v5
	s_clause 0x1
	scratch_store_b64 off, v[0:1], s32 offset:192
	scratch_store_b64 off, v[4:5], s32 offset:244
.LBB228_48:                             ;   in Loop: Header=BB228_10 Depth=1
	s_wait_xcnt 0x0
	s_or_b32 exec_lo, exec_lo, s11
.LBB228_49:                             ;   in Loop: Header=BB228_10 Depth=1
	s_delay_alu instid0(SALU_CYCLE_1)
	s_or_b32 exec_lo, exec_lo, s9
.LBB228_50:                             ;   in Loop: Header=BB228_10 Depth=1
	s_delay_alu instid0(SALU_CYCLE_1) | instskip(SKIP_2) | instid1(VALU_DEP_1)
	s_or_b32 exec_lo, exec_lo, s8
	v_lshrrev_b16 v1, 8, v0
	s_mov_b32 s8, exec_lo
	v_cmpx_ne_u16_e32 0, v1
	s_cbranch_execz .LBB228_58
; %bb.51:                               ;   in Loop: Header=BB228_10 Depth=1
	v_mov_b64_e32 v[2:3], 0x8000000000000000
	s_mov_b32 s9, exec_lo
	scratch_store_b64 off, v[2:3], s32 offset:236 ; 8-byte Folded Spill
	s_wait_xcnt 0x0
	v_cmpx_ne_u16_e32 0x80, v1
	s_cbranch_execz .LBB228_57
; %bb.52:                               ;   in Loop: Header=BB228_10 Depth=1
	v_and_b32_e32 v1, 0xffff, v1
	v_mov_b64_e32 v[4:5], 0x7f80000100000000
	s_mov_b32 s11, exec_lo
	s_delay_alu instid0(VALU_DEP_2)
	v_and_b32_e32 v2, 0x7f, v1
	scratch_store_b64 off, v[4:5], s32 offset:236 ; 8-byte Folded Spill
	s_wait_xcnt 0x0
	v_cmpx_ne_u32_e32 0x7f, v2
	s_cbranch_execz .LBB228_56
; %bb.53:                               ;   in Loop: Header=BB228_10 Depth=1
	scratch_load_b64 v[4:5], off, s32 offset:192 th:TH_LOAD_LU ; 8-byte Folded Reload
	s_wait_loadcnt 0x0
	v_dual_lshrrev_b32 v1, 3, v2 :: v_dual_bitop2_b32 v4, 7, v1 bitop3:0x40
	s_mov_b32 s16, exec_lo
	s_wait_xcnt 0x0
	v_cmpx_gt_u32_e32 8, v2
; %bb.54:                               ;   in Loop: Header=BB228_10 Depth=1
	s_delay_alu instid0(VALU_DEP_2) | instskip(NEXT) | instid1(VALU_DEP_1)
	v_clz_i32_u32_e32 v1, v4
	v_min_u32_e32 v1, 32, v1
	s_delay_alu instid0(VALU_DEP_1) | instskip(NEXT) | instid1(VALU_DEP_1)
	v_subrev_nc_u32_e32 v2, 28, v1
	v_lshlrev_b64_e32 v[2:3], v2, v[4:5]
	s_delay_alu instid0(VALU_DEP_1)
	v_dual_sub_nc_u32 v1, 29, v1 :: v_dual_bitop2_b32 v4, 7, v2 bitop3:0x40
; %bb.55:                               ;   in Loop: Header=BB228_10 Depth=1
	s_or_b32 exec_lo, exec_lo, s16
	v_lshlrev_b32_e32 v2, 16, v0
	s_delay_alu instid0(VALU_DEP_2) | instskip(NEXT) | instid1(VALU_DEP_3)
	v_lshlrev_b32_e32 v3, 20, v4
	v_lshl_add_u32 v1, v1, 23, 0x3c000000
	s_delay_alu instid0(VALU_DEP_3) | instskip(NEXT) | instid1(VALU_DEP_1)
	v_and_b32_e32 v2, 0x80000000, v2
	v_or3_b32 v3, v3, v2, v1
	v_dual_mov_b32 v1, v5 :: v_dual_mov_b32 v2, v5
	s_clause 0x1
	scratch_store_b64 off, v[0:1], s32 offset:192
	scratch_store_b64 off, v[2:3], s32 offset:236
.LBB228_56:                             ;   in Loop: Header=BB228_10 Depth=1
	s_wait_xcnt 0x0
	s_or_b32 exec_lo, exec_lo, s11
.LBB228_57:                             ;   in Loop: Header=BB228_10 Depth=1
	s_delay_alu instid0(SALU_CYCLE_1)
	s_or_b32 exec_lo, exec_lo, s9
.LBB228_58:                             ;   in Loop: Header=BB228_10 Depth=1
	s_delay_alu instid0(SALU_CYCLE_1) | instskip(SKIP_3) | instid1(VALU_DEP_1)
	s_or_b32 exec_lo, exec_lo, s8
	v_mov_b64_e32 v[4:5], 0
	v_lshrrev_b32_e32 v1, 16, v0
	s_mov_b32 s8, exec_lo
	v_and_b32_e32 v2, 0xff, v1
	scratch_store_b64 off, v[4:5], s32 offset:252 ; 8-byte Folded Spill
	s_wait_xcnt 0x0
	v_mov_b64_e32 v[4:5], 0
	scratch_store_b64 off, v[4:5], s32 offset:260 ; 8-byte Folded Spill
	s_wait_xcnt 0x0
	v_cmpx_ne_u16_e32 0, v2
	s_cbranch_execz .LBB228_66
; %bb.59:                               ;   in Loop: Header=BB228_10 Depth=1
	v_cmp_ne_u16_e64 s1, 0x80, v2
	v_mov_b64_e32 v[2:3], 0x80000000
	scratch_store_b64 off, v[2:3], s32 offset:260 ; 8-byte Folded Spill
	s_wait_xcnt 0x0
	s_and_saveexec_b32 s9, s1
	s_cbranch_execz .LBB228_65
; %bb.60:                               ;   in Loop: Header=BB228_10 Depth=1
	v_mov_b64_e32 v[4:5], 0x7f800001
	v_bfe_u32 v3, v0, 16, 7
	s_mov_b32 s11, exec_lo
	scratch_store_b64 off, v[4:5], s32 offset:260 ; 8-byte Folded Spill
	s_wait_xcnt 0x0
	v_cmpx_ne_u32_e32 0x7f, v3
	s_cbranch_execz .LBB228_64
; %bb.61:                               ;   in Loop: Header=BB228_10 Depth=1
	scratch_load_b64 v[6:7], off, s32 offset:192 th:TH_LOAD_LU ; 8-byte Folded Reload
	s_wait_loadcnt 0x0
	v_dual_lshrrev_b32 v2, 3, v3 :: v_dual_bitop2_b32 v6, 7, v1 bitop3:0x40
	s_mov_b32 s16, exec_lo
	s_wait_xcnt 0x0
	v_cmpx_gt_u32_e32 8, v3
; %bb.62:                               ;   in Loop: Header=BB228_10 Depth=1
	s_delay_alu instid0(VALU_DEP_2) | instskip(NEXT) | instid1(VALU_DEP_1)
	v_clz_i32_u32_e32 v2, v6
	v_min_u32_e32 v2, 32, v2
	s_delay_alu instid0(VALU_DEP_1) | instskip(NEXT) | instid1(VALU_DEP_1)
	v_subrev_nc_u32_e32 v3, 28, v2
	v_lshlrev_b64_e32 v[4:5], v3, v[6:7]
	s_delay_alu instid0(VALU_DEP_1)
	v_dual_sub_nc_u32 v2, 29, v2 :: v_dual_bitop2_b32 v6, 7, v4 bitop3:0x40
; %bb.63:                               ;   in Loop: Header=BB228_10 Depth=1
	s_or_b32 exec_lo, exec_lo, s16
	s_delay_alu instid0(VALU_DEP_1) | instskip(NEXT) | instid1(VALU_DEP_2)
	v_dual_lshlrev_b32 v1, 24, v1 :: v_dual_lshlrev_b32 v3, 20, v6
	v_lshl_add_u32 v2, v2, 23, 0x3c000000
	s_delay_alu instid0(VALU_DEP_2) | instskip(NEXT) | instid1(VALU_DEP_1)
	v_and_b32_e32 v1, 0x80000000, v1
	v_or3_b32 v6, v3, v1, v2
	v_mov_b32_e32 v1, v7
	s_clause 0x1
	scratch_store_b64 off, v[0:1], s32 offset:192
	scratch_store_b64 off, v[6:7], s32 offset:260
.LBB228_64:                             ;   in Loop: Header=BB228_10 Depth=1
	s_wait_xcnt 0x0
	s_or_b32 exec_lo, exec_lo, s11
.LBB228_65:                             ;   in Loop: Header=BB228_10 Depth=1
	s_delay_alu instid0(SALU_CYCLE_1)
	s_or_b32 exec_lo, exec_lo, s9
.LBB228_66:                             ;   in Loop: Header=BB228_10 Depth=1
	s_delay_alu instid0(SALU_CYCLE_1) | instskip(NEXT) | instid1(SALU_CYCLE_1)
	s_or_b32 exec_lo, exec_lo, s8
	s_mov_b32 s8, exec_lo
	v_cmpx_lt_u32_e32 0xffffff, v0
	s_cbranch_execz .LBB228_74
; %bb.67:                               ;   in Loop: Header=BB228_10 Depth=1
	v_mov_b64_e32 v[2:3], 0x8000000000000000
	v_lshrrev_b32_e32 v1, 24, v0
	s_mov_b32 s9, exec_lo
	scratch_store_b64 off, v[2:3], s32 offset:252 ; 8-byte Folded Spill
	s_wait_xcnt 0x0
	v_cmpx_ne_u32_e32 0x80, v1
	s_cbranch_execz .LBB228_73
; %bb.68:                               ;   in Loop: Header=BB228_10 Depth=1
	v_mov_b64_e32 v[4:5], 0x7f80000100000000
	v_bfe_u32 v2, v0, 24, 7
	s_mov_b32 s11, exec_lo
	scratch_store_b64 off, v[4:5], s32 offset:252 ; 8-byte Folded Spill
	s_wait_xcnt 0x0
	v_cmpx_ne_u32_e32 0x7f, v2
	s_cbranch_execz .LBB228_72
; %bb.69:                               ;   in Loop: Header=BB228_10 Depth=1
	scratch_load_b64 v[4:5], off, s32 offset:192 th:TH_LOAD_LU ; 8-byte Folded Reload
	s_wait_loadcnt 0x0
	v_dual_lshrrev_b32 v0, 3, v2 :: v_dual_bitop2_b32 v4, 7, v1 bitop3:0x40
	s_mov_b32 s16, exec_lo
	s_wait_xcnt 0x0
	v_cmpx_gt_u32_e32 8, v2
; %bb.70:                               ;   in Loop: Header=BB228_10 Depth=1
	s_delay_alu instid0(VALU_DEP_2) | instskip(NEXT) | instid1(VALU_DEP_1)
	v_clz_i32_u32_e32 v0, v4
	v_min_u32_e32 v0, 32, v0
	s_delay_alu instid0(VALU_DEP_1) | instskip(NEXT) | instid1(VALU_DEP_1)
	v_subrev_nc_u32_e32 v2, 28, v0
	v_lshlrev_b64_e32 v[2:3], v2, v[4:5]
	s_delay_alu instid0(VALU_DEP_1)
	v_dual_sub_nc_u32 v0, 29, v0 :: v_dual_bitop2_b32 v4, 7, v2 bitop3:0x40
; %bb.71:                               ;   in Loop: Header=BB228_10 Depth=1
	s_or_b32 exec_lo, exec_lo, s16
	s_delay_alu instid0(VALU_DEP_1) | instskip(NEXT) | instid1(VALU_DEP_2)
	v_dual_lshlrev_b32 v1, 24, v1 :: v_dual_lshlrev_b32 v2, 20, v4
	v_lshl_add_u32 v0, v0, 23, 0x3c000000
	s_delay_alu instid0(VALU_DEP_2) | instskip(NEXT) | instid1(VALU_DEP_1)
	v_and_b32_e32 v1, 0x80000000, v1
	v_or3_b32 v3, v2, v1, v0
	v_dual_mov_b32 v1, v5 :: v_dual_mov_b32 v2, v5
	s_clause 0x1
	scratch_store_b64 off, v[0:1], s32 offset:192
	scratch_store_b64 off, v[2:3], s32 offset:252
.LBB228_72:                             ;   in Loop: Header=BB228_10 Depth=1
	s_wait_xcnt 0x0
	s_or_b32 exec_lo, exec_lo, s11
.LBB228_73:                             ;   in Loop: Header=BB228_10 Depth=1
	s_delay_alu instid0(SALU_CYCLE_1)
	s_or_b32 exec_lo, exec_lo, s9
.LBB228_74:                             ;   in Loop: Header=BB228_10 Depth=1
	s_delay_alu instid0(SALU_CYCLE_1)
	s_or_b32 exec_lo, exec_lo, s8
	flat_load_b32 v0, v[48:49] offset:8
	v_mov_b64_e32 v[2:3], 0
	s_mov_b32 s8, exec_lo
	scratch_store_b64 off, v[2:3], s32 offset:268 ; 8-byte Folded Spill
	s_wait_xcnt 0x0
	v_mov_b64_e32 v[2:3], 0
	scratch_store_b64 off, v[2:3], s32 offset:276 ; 8-byte Folded Spill
	s_wait_loadcnt_dscnt 0x0
	v_and_b32_e32 v1, 0xff, v0
	s_wait_xcnt 0x0
	s_delay_alu instid0(VALU_DEP_1)
	v_cmpx_ne_u16_e32 0, v1
	s_cbranch_execz .LBB228_82
; %bb.75:                               ;   in Loop: Header=BB228_10 Depth=1
	v_mov_b64_e32 v[2:3], 0x80000000
	s_mov_b32 s9, exec_lo
	scratch_store_b64 off, v[2:3], s32 offset:276 ; 8-byte Folded Spill
	s_wait_xcnt 0x0
	v_cmpx_ne_u16_e32 0x80, v1
	s_cbranch_execz .LBB228_81
; %bb.76:                               ;   in Loop: Header=BB228_10 Depth=1
	v_mov_b64_e32 v[4:5], 0x7f800001
	v_and_b32_e32 v2, 0x7f, v0
	s_mov_b32 s11, exec_lo
	scratch_store_b64 off, v[4:5], s32 offset:276 ; 8-byte Folded Spill
	s_wait_xcnt 0x0
	v_cmpx_ne_u32_e32 0x7f, v2
	s_cbranch_execz .LBB228_80
; %bb.77:                               ;   in Loop: Header=BB228_10 Depth=1
	scratch_load_b64 v[4:5], off, s32 offset:192 th:TH_LOAD_LU ; 8-byte Folded Reload
	s_wait_loadcnt 0x0
	v_dual_lshrrev_b32 v1, 3, v2 :: v_dual_bitop2_b32 v4, 7, v0 bitop3:0x40
	s_mov_b32 s16, exec_lo
	s_wait_xcnt 0x0
	v_cmpx_gt_u32_e32 8, v2
; %bb.78:                               ;   in Loop: Header=BB228_10 Depth=1
	s_delay_alu instid0(VALU_DEP_2) | instskip(NEXT) | instid1(VALU_DEP_1)
	v_clz_i32_u32_e32 v1, v4
	v_min_u32_e32 v1, 32, v1
	s_delay_alu instid0(VALU_DEP_1) | instskip(NEXT) | instid1(VALU_DEP_1)
	v_subrev_nc_u32_e32 v2, 28, v1
	v_lshlrev_b64_e32 v[2:3], v2, v[4:5]
	s_delay_alu instid0(VALU_DEP_1)
	v_dual_sub_nc_u32 v1, 29, v1 :: v_dual_bitop2_b32 v4, 7, v2 bitop3:0x40
; %bb.79:                               ;   in Loop: Header=BB228_10 Depth=1
	s_or_b32 exec_lo, exec_lo, s16
	v_lshlrev_b32_e32 v2, 24, v0
	s_delay_alu instid0(VALU_DEP_2) | instskip(NEXT) | instid1(VALU_DEP_3)
	v_lshlrev_b32_e32 v3, 20, v4
	v_lshl_add_u32 v1, v1, 23, 0x3c000000
	s_delay_alu instid0(VALU_DEP_3) | instskip(NEXT) | instid1(VALU_DEP_1)
	v_and_b32_e32 v2, 0x80000000, v2
	v_or3_b32 v4, v3, v2, v1
	v_mov_b32_e32 v1, v5
	s_clause 0x1
	scratch_store_b64 off, v[0:1], s32 offset:192
	scratch_store_b64 off, v[4:5], s32 offset:276
.LBB228_80:                             ;   in Loop: Header=BB228_10 Depth=1
	s_wait_xcnt 0x0
	s_or_b32 exec_lo, exec_lo, s11
.LBB228_81:                             ;   in Loop: Header=BB228_10 Depth=1
	s_delay_alu instid0(SALU_CYCLE_1)
	s_or_b32 exec_lo, exec_lo, s9
.LBB228_82:                             ;   in Loop: Header=BB228_10 Depth=1
	s_delay_alu instid0(SALU_CYCLE_1) | instskip(SKIP_2) | instid1(VALU_DEP_1)
	s_or_b32 exec_lo, exec_lo, s8
	v_lshrrev_b16 v1, 8, v0
	s_mov_b32 s8, exec_lo
	v_cmpx_ne_u16_e32 0, v1
	s_cbranch_execz .LBB228_90
; %bb.83:                               ;   in Loop: Header=BB228_10 Depth=1
	v_mov_b64_e32 v[2:3], 0x8000000000000000
	s_mov_b32 s9, exec_lo
	scratch_store_b64 off, v[2:3], s32 offset:268 ; 8-byte Folded Spill
	s_wait_xcnt 0x0
	v_cmpx_ne_u16_e32 0x80, v1
	s_cbranch_execz .LBB228_89
; %bb.84:                               ;   in Loop: Header=BB228_10 Depth=1
	v_and_b32_e32 v1, 0xffff, v1
	v_mov_b64_e32 v[4:5], 0x7f80000100000000
	s_mov_b32 s11, exec_lo
	s_delay_alu instid0(VALU_DEP_2)
	v_and_b32_e32 v2, 0x7f, v1
	scratch_store_b64 off, v[4:5], s32 offset:268 ; 8-byte Folded Spill
	s_wait_xcnt 0x0
	v_cmpx_ne_u32_e32 0x7f, v2
	s_cbranch_execz .LBB228_88
; %bb.85:                               ;   in Loop: Header=BB228_10 Depth=1
	scratch_load_b64 v[4:5], off, s32 offset:192 th:TH_LOAD_LU ; 8-byte Folded Reload
	s_wait_loadcnt 0x0
	v_dual_lshrrev_b32 v1, 3, v2 :: v_dual_bitop2_b32 v4, 7, v1 bitop3:0x40
	s_mov_b32 s16, exec_lo
	s_wait_xcnt 0x0
	v_cmpx_gt_u32_e32 8, v2
; %bb.86:                               ;   in Loop: Header=BB228_10 Depth=1
	s_delay_alu instid0(VALU_DEP_2) | instskip(NEXT) | instid1(VALU_DEP_1)
	v_clz_i32_u32_e32 v1, v4
	v_min_u32_e32 v1, 32, v1
	s_delay_alu instid0(VALU_DEP_1) | instskip(NEXT) | instid1(VALU_DEP_1)
	v_subrev_nc_u32_e32 v2, 28, v1
	v_lshlrev_b64_e32 v[2:3], v2, v[4:5]
	s_delay_alu instid0(VALU_DEP_1)
	v_dual_sub_nc_u32 v1, 29, v1 :: v_dual_bitop2_b32 v4, 7, v2 bitop3:0x40
; %bb.87:                               ;   in Loop: Header=BB228_10 Depth=1
	s_or_b32 exec_lo, exec_lo, s16
	v_lshlrev_b32_e32 v2, 16, v0
	s_delay_alu instid0(VALU_DEP_2) | instskip(NEXT) | instid1(VALU_DEP_3)
	v_lshlrev_b32_e32 v3, 20, v4
	v_lshl_add_u32 v1, v1, 23, 0x3c000000
	s_delay_alu instid0(VALU_DEP_3) | instskip(NEXT) | instid1(VALU_DEP_1)
	v_and_b32_e32 v2, 0x80000000, v2
	v_or3_b32 v3, v3, v2, v1
	v_dual_mov_b32 v1, v5 :: v_dual_mov_b32 v2, v5
	s_clause 0x1
	scratch_store_b64 off, v[0:1], s32 offset:192
	scratch_store_b64 off, v[2:3], s32 offset:268
.LBB228_88:                             ;   in Loop: Header=BB228_10 Depth=1
	s_wait_xcnt 0x0
	s_or_b32 exec_lo, exec_lo, s11
.LBB228_89:                             ;   in Loop: Header=BB228_10 Depth=1
	s_delay_alu instid0(SALU_CYCLE_1)
	s_or_b32 exec_lo, exec_lo, s9
.LBB228_90:                             ;   in Loop: Header=BB228_10 Depth=1
	s_delay_alu instid0(SALU_CYCLE_1) | instskip(SKIP_3) | instid1(VALU_DEP_1)
	s_or_b32 exec_lo, exec_lo, s8
	v_mov_b64_e32 v[4:5], 0
	v_lshrrev_b32_e32 v1, 16, v0
	s_mov_b32 s8, exec_lo
	v_and_b32_e32 v2, 0xff, v1
	scratch_store_b64 off, v[4:5], s32 offset:284 ; 8-byte Folded Spill
	s_wait_xcnt 0x0
	v_mov_b64_e32 v[4:5], 0
	scratch_store_b64 off, v[4:5], s32 offset:292 ; 8-byte Folded Spill
	s_wait_xcnt 0x0
	v_cmpx_ne_u16_e32 0, v2
	s_cbranch_execz .LBB228_98
; %bb.91:                               ;   in Loop: Header=BB228_10 Depth=1
	v_cmp_ne_u16_e64 s1, 0x80, v2
	v_mov_b64_e32 v[2:3], 0x80000000
	scratch_store_b64 off, v[2:3], s32 offset:292 ; 8-byte Folded Spill
	s_wait_xcnt 0x0
	s_and_saveexec_b32 s9, s1
	s_cbranch_execz .LBB228_97
; %bb.92:                               ;   in Loop: Header=BB228_10 Depth=1
	v_mov_b64_e32 v[4:5], 0x7f800001
	v_bfe_u32 v3, v0, 16, 7
	s_mov_b32 s11, exec_lo
	scratch_store_b64 off, v[4:5], s32 offset:292 ; 8-byte Folded Spill
	s_wait_xcnt 0x0
	v_cmpx_ne_u32_e32 0x7f, v3
	s_cbranch_execz .LBB228_96
; %bb.93:                               ;   in Loop: Header=BB228_10 Depth=1
	scratch_load_b64 v[6:7], off, s32 offset:192 th:TH_LOAD_LU ; 8-byte Folded Reload
	s_wait_loadcnt 0x0
	v_dual_lshrrev_b32 v2, 3, v3 :: v_dual_bitop2_b32 v6, 7, v1 bitop3:0x40
	s_mov_b32 s16, exec_lo
	s_wait_xcnt 0x0
	v_cmpx_gt_u32_e32 8, v3
; %bb.94:                               ;   in Loop: Header=BB228_10 Depth=1
	s_delay_alu instid0(VALU_DEP_2) | instskip(NEXT) | instid1(VALU_DEP_1)
	v_clz_i32_u32_e32 v2, v6
	v_min_u32_e32 v2, 32, v2
	s_delay_alu instid0(VALU_DEP_1) | instskip(NEXT) | instid1(VALU_DEP_1)
	v_subrev_nc_u32_e32 v3, 28, v2
	v_lshlrev_b64_e32 v[4:5], v3, v[6:7]
	s_delay_alu instid0(VALU_DEP_1)
	v_dual_sub_nc_u32 v2, 29, v2 :: v_dual_bitop2_b32 v6, 7, v4 bitop3:0x40
; %bb.95:                               ;   in Loop: Header=BB228_10 Depth=1
	s_or_b32 exec_lo, exec_lo, s16
	s_delay_alu instid0(VALU_DEP_1) | instskip(NEXT) | instid1(VALU_DEP_2)
	v_dual_lshlrev_b32 v1, 24, v1 :: v_dual_lshlrev_b32 v3, 20, v6
	v_lshl_add_u32 v2, v2, 23, 0x3c000000
	s_delay_alu instid0(VALU_DEP_2) | instskip(NEXT) | instid1(VALU_DEP_1)
	v_and_b32_e32 v1, 0x80000000, v1
	v_or3_b32 v6, v3, v1, v2
	v_mov_b32_e32 v1, v7
	s_clause 0x1
	scratch_store_b64 off, v[0:1], s32 offset:192
	scratch_store_b64 off, v[6:7], s32 offset:292
.LBB228_96:                             ;   in Loop: Header=BB228_10 Depth=1
	s_wait_xcnt 0x0
	s_or_b32 exec_lo, exec_lo, s11
.LBB228_97:                             ;   in Loop: Header=BB228_10 Depth=1
	s_delay_alu instid0(SALU_CYCLE_1)
	s_or_b32 exec_lo, exec_lo, s9
.LBB228_98:                             ;   in Loop: Header=BB228_10 Depth=1
	s_delay_alu instid0(SALU_CYCLE_1) | instskip(NEXT) | instid1(SALU_CYCLE_1)
	s_or_b32 exec_lo, exec_lo, s8
	s_mov_b32 s8, exec_lo
	v_cmpx_lt_u32_e32 0xffffff, v0
	s_cbranch_execz .LBB228_106
; %bb.99:                               ;   in Loop: Header=BB228_10 Depth=1
	v_mov_b64_e32 v[2:3], 0x8000000000000000
	v_lshrrev_b32_e32 v1, 24, v0
	s_mov_b32 s9, exec_lo
	scratch_store_b64 off, v[2:3], s32 offset:284 ; 8-byte Folded Spill
	s_wait_xcnt 0x0
	v_cmpx_ne_u32_e32 0x80, v1
	s_cbranch_execz .LBB228_105
; %bb.100:                              ;   in Loop: Header=BB228_10 Depth=1
	v_mov_b64_e32 v[4:5], 0x7f80000100000000
	v_bfe_u32 v2, v0, 24, 7
	s_mov_b32 s11, exec_lo
	scratch_store_b64 off, v[4:5], s32 offset:284 ; 8-byte Folded Spill
	s_wait_xcnt 0x0
	v_cmpx_ne_u32_e32 0x7f, v2
	s_cbranch_execz .LBB228_104
; %bb.101:                              ;   in Loop: Header=BB228_10 Depth=1
	scratch_load_b64 v[4:5], off, s32 offset:192 th:TH_LOAD_LU ; 8-byte Folded Reload
	s_wait_loadcnt 0x0
	v_dual_lshrrev_b32 v0, 3, v2 :: v_dual_bitop2_b32 v4, 7, v1 bitop3:0x40
	s_mov_b32 s16, exec_lo
	s_wait_xcnt 0x0
	v_cmpx_gt_u32_e32 8, v2
; %bb.102:                              ;   in Loop: Header=BB228_10 Depth=1
	s_delay_alu instid0(VALU_DEP_2) | instskip(NEXT) | instid1(VALU_DEP_1)
	v_clz_i32_u32_e32 v0, v4
	v_min_u32_e32 v0, 32, v0
	s_delay_alu instid0(VALU_DEP_1) | instskip(NEXT) | instid1(VALU_DEP_1)
	v_subrev_nc_u32_e32 v2, 28, v0
	v_lshlrev_b64_e32 v[2:3], v2, v[4:5]
	s_delay_alu instid0(VALU_DEP_1)
	v_dual_sub_nc_u32 v0, 29, v0 :: v_dual_bitop2_b32 v4, 7, v2 bitop3:0x40
; %bb.103:                              ;   in Loop: Header=BB228_10 Depth=1
	s_or_b32 exec_lo, exec_lo, s16
	s_delay_alu instid0(VALU_DEP_1) | instskip(NEXT) | instid1(VALU_DEP_2)
	v_dual_lshlrev_b32 v1, 24, v1 :: v_dual_lshlrev_b32 v2, 20, v4
	v_lshl_add_u32 v0, v0, 23, 0x3c000000
	s_delay_alu instid0(VALU_DEP_2) | instskip(NEXT) | instid1(VALU_DEP_1)
	v_and_b32_e32 v1, 0x80000000, v1
	v_or3_b32 v3, v2, v1, v0
	v_dual_mov_b32 v1, v5 :: v_dual_mov_b32 v2, v5
	s_clause 0x1
	scratch_store_b64 off, v[0:1], s32 offset:192
	scratch_store_b64 off, v[2:3], s32 offset:284
.LBB228_104:                            ;   in Loop: Header=BB228_10 Depth=1
	s_wait_xcnt 0x0
	s_or_b32 exec_lo, exec_lo, s11
.LBB228_105:                            ;   in Loop: Header=BB228_10 Depth=1
	s_delay_alu instid0(SALU_CYCLE_1)
	s_or_b32 exec_lo, exec_lo, s9
.LBB228_106:                            ;   in Loop: Header=BB228_10 Depth=1
	s_delay_alu instid0(SALU_CYCLE_1)
	s_or_b32 exec_lo, exec_lo, s8
	flat_load_b32 v0, v[48:49] offset:12
	v_mov_b64_e32 v[2:3], 0
	s_mov_b32 s8, exec_lo
	scratch_store_b64 off, v[2:3], s32 offset:300 ; 8-byte Folded Spill
	s_wait_xcnt 0x0
	v_mov_b64_e32 v[2:3], 0
	scratch_store_b64 off, v[2:3], s32 offset:308 ; 8-byte Folded Spill
	s_wait_loadcnt_dscnt 0x0
	v_and_b32_e32 v1, 0xff, v0
	s_wait_xcnt 0x0
	s_delay_alu instid0(VALU_DEP_1)
	v_cmpx_ne_u16_e32 0, v1
	s_cbranch_execz .LBB228_114
; %bb.107:                              ;   in Loop: Header=BB228_10 Depth=1
	v_mov_b64_e32 v[2:3], 0x80000000
	s_mov_b32 s9, exec_lo
	scratch_store_b64 off, v[2:3], s32 offset:308 ; 8-byte Folded Spill
	s_wait_xcnt 0x0
	v_cmpx_ne_u16_e32 0x80, v1
	s_cbranch_execz .LBB228_113
; %bb.108:                              ;   in Loop: Header=BB228_10 Depth=1
	v_mov_b64_e32 v[4:5], 0x7f800001
	v_and_b32_e32 v2, 0x7f, v0
	s_mov_b32 s11, exec_lo
	scratch_store_b64 off, v[4:5], s32 offset:308 ; 8-byte Folded Spill
	s_wait_xcnt 0x0
	v_cmpx_ne_u32_e32 0x7f, v2
	s_cbranch_execz .LBB228_112
; %bb.109:                              ;   in Loop: Header=BB228_10 Depth=1
	scratch_load_b64 v[4:5], off, s32 offset:192 th:TH_LOAD_LU ; 8-byte Folded Reload
	s_wait_loadcnt 0x0
	v_dual_lshrrev_b32 v1, 3, v2 :: v_dual_bitop2_b32 v4, 7, v0 bitop3:0x40
	s_mov_b32 s16, exec_lo
	s_wait_xcnt 0x0
	v_cmpx_gt_u32_e32 8, v2
; %bb.110:                              ;   in Loop: Header=BB228_10 Depth=1
	s_delay_alu instid0(VALU_DEP_2) | instskip(NEXT) | instid1(VALU_DEP_1)
	v_clz_i32_u32_e32 v1, v4
	v_min_u32_e32 v1, 32, v1
	s_delay_alu instid0(VALU_DEP_1) | instskip(NEXT) | instid1(VALU_DEP_1)
	v_subrev_nc_u32_e32 v2, 28, v1
	v_lshlrev_b64_e32 v[2:3], v2, v[4:5]
	s_delay_alu instid0(VALU_DEP_1)
	v_dual_sub_nc_u32 v1, 29, v1 :: v_dual_bitop2_b32 v4, 7, v2 bitop3:0x40
; %bb.111:                              ;   in Loop: Header=BB228_10 Depth=1
	s_or_b32 exec_lo, exec_lo, s16
	v_lshlrev_b32_e32 v2, 24, v0
	s_delay_alu instid0(VALU_DEP_2) | instskip(NEXT) | instid1(VALU_DEP_3)
	v_lshlrev_b32_e32 v3, 20, v4
	v_lshl_add_u32 v1, v1, 23, 0x3c000000
	s_delay_alu instid0(VALU_DEP_3) | instskip(NEXT) | instid1(VALU_DEP_1)
	v_and_b32_e32 v2, 0x80000000, v2
	v_or3_b32 v4, v3, v2, v1
	v_mov_b32_e32 v1, v5
	s_clause 0x1
	scratch_store_b64 off, v[0:1], s32 offset:192
	scratch_store_b64 off, v[4:5], s32 offset:308
.LBB228_112:                            ;   in Loop: Header=BB228_10 Depth=1
	s_wait_xcnt 0x0
	s_or_b32 exec_lo, exec_lo, s11
.LBB228_113:                            ;   in Loop: Header=BB228_10 Depth=1
	s_delay_alu instid0(SALU_CYCLE_1)
	s_or_b32 exec_lo, exec_lo, s9
.LBB228_114:                            ;   in Loop: Header=BB228_10 Depth=1
	s_delay_alu instid0(SALU_CYCLE_1) | instskip(SKIP_2) | instid1(VALU_DEP_1)
	s_or_b32 exec_lo, exec_lo, s8
	v_lshrrev_b16 v1, 8, v0
	s_mov_b32 s8, exec_lo
	v_cmpx_ne_u16_e32 0, v1
	s_cbranch_execz .LBB228_122
; %bb.115:                              ;   in Loop: Header=BB228_10 Depth=1
	v_mov_b64_e32 v[2:3], 0x8000000000000000
	s_mov_b32 s9, exec_lo
	scratch_store_b64 off, v[2:3], s32 offset:300 ; 8-byte Folded Spill
	s_wait_xcnt 0x0
	v_cmpx_ne_u16_e32 0x80, v1
	s_cbranch_execz .LBB228_121
; %bb.116:                              ;   in Loop: Header=BB228_10 Depth=1
	v_and_b32_e32 v1, 0xffff, v1
	v_mov_b64_e32 v[4:5], 0x7f80000100000000
	s_mov_b32 s11, exec_lo
	s_delay_alu instid0(VALU_DEP_2)
	v_and_b32_e32 v2, 0x7f, v1
	scratch_store_b64 off, v[4:5], s32 offset:300 ; 8-byte Folded Spill
	s_wait_xcnt 0x0
	v_cmpx_ne_u32_e32 0x7f, v2
	s_cbranch_execz .LBB228_120
; %bb.117:                              ;   in Loop: Header=BB228_10 Depth=1
	scratch_load_b64 v[4:5], off, s32 offset:192 th:TH_LOAD_LU ; 8-byte Folded Reload
	s_wait_loadcnt 0x0
	v_dual_lshrrev_b32 v1, 3, v2 :: v_dual_bitop2_b32 v4, 7, v1 bitop3:0x40
	s_mov_b32 s16, exec_lo
	s_wait_xcnt 0x0
	v_cmpx_gt_u32_e32 8, v2
; %bb.118:                              ;   in Loop: Header=BB228_10 Depth=1
	s_delay_alu instid0(VALU_DEP_2) | instskip(NEXT) | instid1(VALU_DEP_1)
	v_clz_i32_u32_e32 v1, v4
	v_min_u32_e32 v1, 32, v1
	s_delay_alu instid0(VALU_DEP_1) | instskip(NEXT) | instid1(VALU_DEP_1)
	v_subrev_nc_u32_e32 v2, 28, v1
	v_lshlrev_b64_e32 v[2:3], v2, v[4:5]
	s_delay_alu instid0(VALU_DEP_1)
	v_dual_sub_nc_u32 v1, 29, v1 :: v_dual_bitop2_b32 v4, 7, v2 bitop3:0x40
; %bb.119:                              ;   in Loop: Header=BB228_10 Depth=1
	s_or_b32 exec_lo, exec_lo, s16
	v_lshlrev_b32_e32 v2, 16, v0
	s_delay_alu instid0(VALU_DEP_2) | instskip(NEXT) | instid1(VALU_DEP_3)
	v_lshlrev_b32_e32 v3, 20, v4
	v_lshl_add_u32 v1, v1, 23, 0x3c000000
	s_delay_alu instid0(VALU_DEP_3) | instskip(NEXT) | instid1(VALU_DEP_1)
	v_and_b32_e32 v2, 0x80000000, v2
	v_or3_b32 v3, v3, v2, v1
	v_dual_mov_b32 v1, v5 :: v_dual_mov_b32 v2, v5
	s_clause 0x1
	scratch_store_b64 off, v[0:1], s32 offset:192
	scratch_store_b64 off, v[2:3], s32 offset:300
.LBB228_120:                            ;   in Loop: Header=BB228_10 Depth=1
	s_wait_xcnt 0x0
	s_or_b32 exec_lo, exec_lo, s11
.LBB228_121:                            ;   in Loop: Header=BB228_10 Depth=1
	s_delay_alu instid0(SALU_CYCLE_1)
	s_or_b32 exec_lo, exec_lo, s9
.LBB228_122:                            ;   in Loop: Header=BB228_10 Depth=1
	s_delay_alu instid0(SALU_CYCLE_1) | instskip(SKIP_3) | instid1(VALU_DEP_1)
	s_or_b32 exec_lo, exec_lo, s8
	v_mov_b64_e32 v[4:5], 0
	v_lshrrev_b32_e32 v1, 16, v0
	s_mov_b32 s8, exec_lo
	v_and_b32_e32 v2, 0xff, v1
	scratch_store_b64 off, v[4:5], s32 offset:316 ; 8-byte Folded Spill
	s_wait_xcnt 0x0
	v_mov_b64_e32 v[4:5], 0
	scratch_store_b64 off, v[4:5], s32 offset:324 ; 8-byte Folded Spill
	s_wait_xcnt 0x0
	v_cmpx_ne_u16_e32 0, v2
	s_cbranch_execz .LBB228_130
; %bb.123:                              ;   in Loop: Header=BB228_10 Depth=1
	v_cmp_ne_u16_e64 s1, 0x80, v2
	v_mov_b64_e32 v[2:3], 0x80000000
	scratch_store_b64 off, v[2:3], s32 offset:324 ; 8-byte Folded Spill
	s_wait_xcnt 0x0
	s_and_saveexec_b32 s9, s1
	s_cbranch_execz .LBB228_129
; %bb.124:                              ;   in Loop: Header=BB228_10 Depth=1
	v_mov_b64_e32 v[4:5], 0x7f800001
	v_bfe_u32 v3, v0, 16, 7
	s_mov_b32 s11, exec_lo
	scratch_store_b64 off, v[4:5], s32 offset:324 ; 8-byte Folded Spill
	s_wait_xcnt 0x0
	v_cmpx_ne_u32_e32 0x7f, v3
	s_cbranch_execz .LBB228_128
; %bb.125:                              ;   in Loop: Header=BB228_10 Depth=1
	scratch_load_b64 v[6:7], off, s32 offset:192 th:TH_LOAD_LU ; 8-byte Folded Reload
	s_wait_loadcnt 0x0
	v_dual_lshrrev_b32 v2, 3, v3 :: v_dual_bitop2_b32 v6, 7, v1 bitop3:0x40
	s_mov_b32 s16, exec_lo
	s_wait_xcnt 0x0
	v_cmpx_gt_u32_e32 8, v3
; %bb.126:                              ;   in Loop: Header=BB228_10 Depth=1
	s_delay_alu instid0(VALU_DEP_2) | instskip(NEXT) | instid1(VALU_DEP_1)
	v_clz_i32_u32_e32 v2, v6
	v_min_u32_e32 v2, 32, v2
	s_delay_alu instid0(VALU_DEP_1) | instskip(NEXT) | instid1(VALU_DEP_1)
	v_subrev_nc_u32_e32 v3, 28, v2
	v_lshlrev_b64_e32 v[4:5], v3, v[6:7]
	s_delay_alu instid0(VALU_DEP_1)
	v_dual_sub_nc_u32 v2, 29, v2 :: v_dual_bitop2_b32 v6, 7, v4 bitop3:0x40
; %bb.127:                              ;   in Loop: Header=BB228_10 Depth=1
	s_or_b32 exec_lo, exec_lo, s16
	s_delay_alu instid0(VALU_DEP_1) | instskip(NEXT) | instid1(VALU_DEP_2)
	v_dual_lshlrev_b32 v1, 24, v1 :: v_dual_lshlrev_b32 v3, 20, v6
	v_lshl_add_u32 v2, v2, 23, 0x3c000000
	s_delay_alu instid0(VALU_DEP_2) | instskip(NEXT) | instid1(VALU_DEP_1)
	v_and_b32_e32 v1, 0x80000000, v1
	v_or3_b32 v6, v3, v1, v2
	v_mov_b32_e32 v1, v7
	s_clause 0x1
	scratch_store_b64 off, v[0:1], s32 offset:192
	scratch_store_b64 off, v[6:7], s32 offset:324
.LBB228_128:                            ;   in Loop: Header=BB228_10 Depth=1
	s_wait_xcnt 0x0
	s_or_b32 exec_lo, exec_lo, s11
.LBB228_129:                            ;   in Loop: Header=BB228_10 Depth=1
	s_delay_alu instid0(SALU_CYCLE_1)
	s_or_b32 exec_lo, exec_lo, s9
.LBB228_130:                            ;   in Loop: Header=BB228_10 Depth=1
	s_delay_alu instid0(SALU_CYCLE_1) | instskip(NEXT) | instid1(SALU_CYCLE_1)
	s_or_b32 exec_lo, exec_lo, s8
	s_mov_b32 s8, exec_lo
	v_cmpx_lt_u32_e32 0xffffff, v0
	s_cbranch_execz .LBB228_138
; %bb.131:                              ;   in Loop: Header=BB228_10 Depth=1
	v_mov_b64_e32 v[2:3], 0x8000000000000000
	v_lshrrev_b32_e32 v1, 24, v0
	s_mov_b32 s9, exec_lo
	scratch_store_b64 off, v[2:3], s32 offset:316 ; 8-byte Folded Spill
	s_wait_xcnt 0x0
	v_cmpx_ne_u32_e32 0x80, v1
	s_cbranch_execz .LBB228_137
; %bb.132:                              ;   in Loop: Header=BB228_10 Depth=1
	v_mov_b64_e32 v[4:5], 0x7f80000100000000
	v_bfe_u32 v2, v0, 24, 7
	s_mov_b32 s11, exec_lo
	scratch_store_b64 off, v[4:5], s32 offset:316 ; 8-byte Folded Spill
	s_wait_xcnt 0x0
	v_cmpx_ne_u32_e32 0x7f, v2
	s_cbranch_execz .LBB228_136
; %bb.133:                              ;   in Loop: Header=BB228_10 Depth=1
	scratch_load_b64 v[4:5], off, s32 offset:192 th:TH_LOAD_LU ; 8-byte Folded Reload
	s_wait_loadcnt 0x0
	v_dual_lshrrev_b32 v0, 3, v2 :: v_dual_bitop2_b32 v4, 7, v1 bitop3:0x40
	s_mov_b32 s16, exec_lo
	s_wait_xcnt 0x0
	v_cmpx_gt_u32_e32 8, v2
; %bb.134:                              ;   in Loop: Header=BB228_10 Depth=1
	s_delay_alu instid0(VALU_DEP_2) | instskip(NEXT) | instid1(VALU_DEP_1)
	v_clz_i32_u32_e32 v0, v4
	v_min_u32_e32 v0, 32, v0
	s_delay_alu instid0(VALU_DEP_1) | instskip(NEXT) | instid1(VALU_DEP_1)
	v_subrev_nc_u32_e32 v2, 28, v0
	v_lshlrev_b64_e32 v[2:3], v2, v[4:5]
	s_delay_alu instid0(VALU_DEP_1)
	v_dual_sub_nc_u32 v0, 29, v0 :: v_dual_bitop2_b32 v4, 7, v2 bitop3:0x40
; %bb.135:                              ;   in Loop: Header=BB228_10 Depth=1
	s_or_b32 exec_lo, exec_lo, s16
	s_delay_alu instid0(VALU_DEP_1) | instskip(NEXT) | instid1(VALU_DEP_2)
	v_dual_lshlrev_b32 v1, 24, v1 :: v_dual_lshlrev_b32 v2, 20, v4
	v_lshl_add_u32 v0, v0, 23, 0x3c000000
	s_delay_alu instid0(VALU_DEP_2) | instskip(NEXT) | instid1(VALU_DEP_1)
	v_and_b32_e32 v1, 0x80000000, v1
	v_or3_b32 v3, v2, v1, v0
	v_dual_mov_b32 v1, v5 :: v_dual_mov_b32 v2, v5
	s_clause 0x1
	scratch_store_b64 off, v[0:1], s32 offset:192
	scratch_store_b64 off, v[2:3], s32 offset:316
.LBB228_136:                            ;   in Loop: Header=BB228_10 Depth=1
	s_wait_xcnt 0x0
	s_or_b32 exec_lo, exec_lo, s11
.LBB228_137:                            ;   in Loop: Header=BB228_10 Depth=1
	s_delay_alu instid0(SALU_CYCLE_1)
	s_or_b32 exec_lo, exec_lo, s9
.LBB228_138:                            ;   in Loop: Header=BB228_10 Depth=1
	s_delay_alu instid0(SALU_CYCLE_1)
	s_or_b32 exec_lo, exec_lo, s8
	flat_load_b32 v0, v[48:49] offset:512
	v_mov_b64_e32 v[2:3], 0
	s_mov_b32 s8, exec_lo
	scratch_store_b64 off, v[2:3], s32 offset:332 ; 8-byte Folded Spill
	s_wait_xcnt 0x0
	v_mov_b64_e32 v[2:3], 0
	scratch_store_b64 off, v[2:3], s32 offset:340 ; 8-byte Folded Spill
	s_wait_loadcnt_dscnt 0x0
	v_and_b32_e32 v1, 0xff, v0
	s_wait_xcnt 0x0
	s_delay_alu instid0(VALU_DEP_1)
	v_cmpx_ne_u16_e32 0, v1
	s_cbranch_execz .LBB228_146
; %bb.139:                              ;   in Loop: Header=BB228_10 Depth=1
	v_mov_b64_e32 v[2:3], 0x80000000
	s_mov_b32 s9, exec_lo
	scratch_store_b64 off, v[2:3], s32 offset:340 ; 8-byte Folded Spill
	s_wait_xcnt 0x0
	v_cmpx_ne_u16_e32 0x80, v1
	s_cbranch_execz .LBB228_145
; %bb.140:                              ;   in Loop: Header=BB228_10 Depth=1
	v_mov_b64_e32 v[4:5], 0x7f800001
	v_and_b32_e32 v2, 0x7f, v0
	s_mov_b32 s11, exec_lo
	scratch_store_b64 off, v[4:5], s32 offset:340 ; 8-byte Folded Spill
	s_wait_xcnt 0x0
	v_cmpx_ne_u32_e32 0x7f, v2
	s_cbranch_execz .LBB228_144
; %bb.141:                              ;   in Loop: Header=BB228_10 Depth=1
	scratch_load_b64 v[4:5], off, s32 offset:192 th:TH_LOAD_LU ; 8-byte Folded Reload
	s_wait_loadcnt 0x0
	v_dual_lshrrev_b32 v1, 3, v2 :: v_dual_bitop2_b32 v4, 7, v0 bitop3:0x40
	s_mov_b32 s16, exec_lo
	s_wait_xcnt 0x0
	v_cmpx_gt_u32_e32 8, v2
; %bb.142:                              ;   in Loop: Header=BB228_10 Depth=1
	s_delay_alu instid0(VALU_DEP_2) | instskip(NEXT) | instid1(VALU_DEP_1)
	v_clz_i32_u32_e32 v1, v4
	v_min_u32_e32 v1, 32, v1
	s_delay_alu instid0(VALU_DEP_1) | instskip(NEXT) | instid1(VALU_DEP_1)
	v_subrev_nc_u32_e32 v2, 28, v1
	v_lshlrev_b64_e32 v[2:3], v2, v[4:5]
	s_delay_alu instid0(VALU_DEP_1)
	v_dual_sub_nc_u32 v1, 29, v1 :: v_dual_bitop2_b32 v4, 7, v2 bitop3:0x40
; %bb.143:                              ;   in Loop: Header=BB228_10 Depth=1
	s_or_b32 exec_lo, exec_lo, s16
	v_lshlrev_b32_e32 v2, 24, v0
	s_delay_alu instid0(VALU_DEP_2) | instskip(NEXT) | instid1(VALU_DEP_3)
	v_lshlrev_b32_e32 v3, 20, v4
	v_lshl_add_u32 v1, v1, 23, 0x3c000000
	s_delay_alu instid0(VALU_DEP_3) | instskip(NEXT) | instid1(VALU_DEP_1)
	v_and_b32_e32 v2, 0x80000000, v2
	v_or3_b32 v4, v3, v2, v1
	v_mov_b32_e32 v1, v5
	s_clause 0x1
	scratch_store_b64 off, v[0:1], s32 offset:192
	scratch_store_b64 off, v[4:5], s32 offset:340
.LBB228_144:                            ;   in Loop: Header=BB228_10 Depth=1
	s_wait_xcnt 0x0
	s_or_b32 exec_lo, exec_lo, s11
.LBB228_145:                            ;   in Loop: Header=BB228_10 Depth=1
	s_delay_alu instid0(SALU_CYCLE_1)
	s_or_b32 exec_lo, exec_lo, s9
.LBB228_146:                            ;   in Loop: Header=BB228_10 Depth=1
	s_delay_alu instid0(SALU_CYCLE_1) | instskip(SKIP_2) | instid1(VALU_DEP_1)
	s_or_b32 exec_lo, exec_lo, s8
	v_lshrrev_b16 v1, 8, v0
	s_mov_b32 s8, exec_lo
	v_cmpx_ne_u16_e32 0, v1
	s_cbranch_execz .LBB228_154
; %bb.147:                              ;   in Loop: Header=BB228_10 Depth=1
	v_mov_b64_e32 v[2:3], 0x8000000000000000
	s_mov_b32 s9, exec_lo
	scratch_store_b64 off, v[2:3], s32 offset:332 ; 8-byte Folded Spill
	s_wait_xcnt 0x0
	v_cmpx_ne_u16_e32 0x80, v1
	s_cbranch_execz .LBB228_153
; %bb.148:                              ;   in Loop: Header=BB228_10 Depth=1
	v_and_b32_e32 v1, 0xffff, v1
	v_mov_b64_e32 v[4:5], 0x7f80000100000000
	s_mov_b32 s11, exec_lo
	s_delay_alu instid0(VALU_DEP_2)
	v_and_b32_e32 v2, 0x7f, v1
	scratch_store_b64 off, v[4:5], s32 offset:332 ; 8-byte Folded Spill
	s_wait_xcnt 0x0
	v_cmpx_ne_u32_e32 0x7f, v2
	s_cbranch_execz .LBB228_152
; %bb.149:                              ;   in Loop: Header=BB228_10 Depth=1
	scratch_load_b64 v[4:5], off, s32 offset:192 th:TH_LOAD_LU ; 8-byte Folded Reload
	s_wait_loadcnt 0x0
	v_dual_lshrrev_b32 v1, 3, v2 :: v_dual_bitop2_b32 v4, 7, v1 bitop3:0x40
	s_mov_b32 s16, exec_lo
	s_wait_xcnt 0x0
	v_cmpx_gt_u32_e32 8, v2
; %bb.150:                              ;   in Loop: Header=BB228_10 Depth=1
	s_delay_alu instid0(VALU_DEP_2) | instskip(NEXT) | instid1(VALU_DEP_1)
	v_clz_i32_u32_e32 v1, v4
	v_min_u32_e32 v1, 32, v1
	s_delay_alu instid0(VALU_DEP_1) | instskip(NEXT) | instid1(VALU_DEP_1)
	v_subrev_nc_u32_e32 v2, 28, v1
	v_lshlrev_b64_e32 v[2:3], v2, v[4:5]
	s_delay_alu instid0(VALU_DEP_1)
	v_dual_sub_nc_u32 v1, 29, v1 :: v_dual_bitop2_b32 v4, 7, v2 bitop3:0x40
; %bb.151:                              ;   in Loop: Header=BB228_10 Depth=1
	s_or_b32 exec_lo, exec_lo, s16
	v_lshlrev_b32_e32 v2, 16, v0
	s_delay_alu instid0(VALU_DEP_2) | instskip(NEXT) | instid1(VALU_DEP_3)
	v_lshlrev_b32_e32 v3, 20, v4
	v_lshl_add_u32 v1, v1, 23, 0x3c000000
	s_delay_alu instid0(VALU_DEP_3) | instskip(NEXT) | instid1(VALU_DEP_1)
	v_and_b32_e32 v2, 0x80000000, v2
	v_or3_b32 v3, v3, v2, v1
	v_dual_mov_b32 v1, v5 :: v_dual_mov_b32 v2, v5
	s_clause 0x1
	scratch_store_b64 off, v[0:1], s32 offset:192
	scratch_store_b64 off, v[2:3], s32 offset:332
.LBB228_152:                            ;   in Loop: Header=BB228_10 Depth=1
	s_wait_xcnt 0x0
	s_or_b32 exec_lo, exec_lo, s11
.LBB228_153:                            ;   in Loop: Header=BB228_10 Depth=1
	s_delay_alu instid0(SALU_CYCLE_1)
	s_or_b32 exec_lo, exec_lo, s9
.LBB228_154:                            ;   in Loop: Header=BB228_10 Depth=1
	s_delay_alu instid0(SALU_CYCLE_1) | instskip(SKIP_3) | instid1(VALU_DEP_1)
	s_or_b32 exec_lo, exec_lo, s8
	v_mov_b64_e32 v[4:5], 0
	v_lshrrev_b32_e32 v1, 16, v0
	s_mov_b32 s8, exec_lo
	v_and_b32_e32 v2, 0xff, v1
	scratch_store_b64 off, v[4:5], s32 offset:348 ; 8-byte Folded Spill
	s_wait_xcnt 0x0
	v_mov_b64_e32 v[4:5], 0
	scratch_store_b64 off, v[4:5], s32 offset:356 ; 8-byte Folded Spill
	s_wait_xcnt 0x0
	v_cmpx_ne_u16_e32 0, v2
	s_cbranch_execz .LBB228_162
; %bb.155:                              ;   in Loop: Header=BB228_10 Depth=1
	v_cmp_ne_u16_e64 s1, 0x80, v2
	v_mov_b64_e32 v[2:3], 0x80000000
	scratch_store_b64 off, v[2:3], s32 offset:356 ; 8-byte Folded Spill
	s_wait_xcnt 0x0
	s_and_saveexec_b32 s9, s1
	s_cbranch_execz .LBB228_161
; %bb.156:                              ;   in Loop: Header=BB228_10 Depth=1
	v_mov_b64_e32 v[4:5], 0x7f800001
	v_bfe_u32 v3, v0, 16, 7
	s_mov_b32 s11, exec_lo
	scratch_store_b64 off, v[4:5], s32 offset:356 ; 8-byte Folded Spill
	s_wait_xcnt 0x0
	v_cmpx_ne_u32_e32 0x7f, v3
	s_cbranch_execz .LBB228_160
; %bb.157:                              ;   in Loop: Header=BB228_10 Depth=1
	scratch_load_b64 v[6:7], off, s32 offset:192 th:TH_LOAD_LU ; 8-byte Folded Reload
	s_wait_loadcnt 0x0
	v_dual_lshrrev_b32 v2, 3, v3 :: v_dual_bitop2_b32 v6, 7, v1 bitop3:0x40
	s_mov_b32 s16, exec_lo
	s_wait_xcnt 0x0
	v_cmpx_gt_u32_e32 8, v3
; %bb.158:                              ;   in Loop: Header=BB228_10 Depth=1
	s_delay_alu instid0(VALU_DEP_2) | instskip(NEXT) | instid1(VALU_DEP_1)
	v_clz_i32_u32_e32 v2, v6
	v_min_u32_e32 v2, 32, v2
	s_delay_alu instid0(VALU_DEP_1) | instskip(NEXT) | instid1(VALU_DEP_1)
	v_subrev_nc_u32_e32 v3, 28, v2
	v_lshlrev_b64_e32 v[4:5], v3, v[6:7]
	s_delay_alu instid0(VALU_DEP_1)
	v_dual_sub_nc_u32 v2, 29, v2 :: v_dual_bitop2_b32 v6, 7, v4 bitop3:0x40
; %bb.159:                              ;   in Loop: Header=BB228_10 Depth=1
	s_or_b32 exec_lo, exec_lo, s16
	s_delay_alu instid0(VALU_DEP_1) | instskip(NEXT) | instid1(VALU_DEP_2)
	v_dual_lshlrev_b32 v1, 24, v1 :: v_dual_lshlrev_b32 v3, 20, v6
	v_lshl_add_u32 v2, v2, 23, 0x3c000000
	s_delay_alu instid0(VALU_DEP_2) | instskip(NEXT) | instid1(VALU_DEP_1)
	v_and_b32_e32 v1, 0x80000000, v1
	v_or3_b32 v6, v3, v1, v2
	v_mov_b32_e32 v1, v7
	s_clause 0x1
	scratch_store_b64 off, v[0:1], s32 offset:192
	scratch_store_b64 off, v[6:7], s32 offset:356
.LBB228_160:                            ;   in Loop: Header=BB228_10 Depth=1
	s_wait_xcnt 0x0
	s_or_b32 exec_lo, exec_lo, s11
.LBB228_161:                            ;   in Loop: Header=BB228_10 Depth=1
	s_delay_alu instid0(SALU_CYCLE_1)
	s_or_b32 exec_lo, exec_lo, s9
.LBB228_162:                            ;   in Loop: Header=BB228_10 Depth=1
	s_delay_alu instid0(SALU_CYCLE_1) | instskip(NEXT) | instid1(SALU_CYCLE_1)
	s_or_b32 exec_lo, exec_lo, s8
	s_mov_b32 s8, exec_lo
	v_cmpx_lt_u32_e32 0xffffff, v0
	s_cbranch_execz .LBB228_170
; %bb.163:                              ;   in Loop: Header=BB228_10 Depth=1
	v_mov_b64_e32 v[2:3], 0x8000000000000000
	v_lshrrev_b32_e32 v1, 24, v0
	s_mov_b32 s9, exec_lo
	scratch_store_b64 off, v[2:3], s32 offset:348 ; 8-byte Folded Spill
	s_wait_xcnt 0x0
	v_cmpx_ne_u32_e32 0x80, v1
	s_cbranch_execz .LBB228_169
; %bb.164:                              ;   in Loop: Header=BB228_10 Depth=1
	v_mov_b64_e32 v[4:5], 0x7f80000100000000
	v_bfe_u32 v2, v0, 24, 7
	s_mov_b32 s11, exec_lo
	scratch_store_b64 off, v[4:5], s32 offset:348 ; 8-byte Folded Spill
	s_wait_xcnt 0x0
	v_cmpx_ne_u32_e32 0x7f, v2
	s_cbranch_execz .LBB228_168
; %bb.165:                              ;   in Loop: Header=BB228_10 Depth=1
	scratch_load_b64 v[4:5], off, s32 offset:192 th:TH_LOAD_LU ; 8-byte Folded Reload
	s_wait_loadcnt 0x0
	v_dual_lshrrev_b32 v0, 3, v2 :: v_dual_bitop2_b32 v4, 7, v1 bitop3:0x40
	s_mov_b32 s16, exec_lo
	s_wait_xcnt 0x0
	v_cmpx_gt_u32_e32 8, v2
; %bb.166:                              ;   in Loop: Header=BB228_10 Depth=1
	s_delay_alu instid0(VALU_DEP_2) | instskip(NEXT) | instid1(VALU_DEP_1)
	v_clz_i32_u32_e32 v0, v4
	v_min_u32_e32 v0, 32, v0
	s_delay_alu instid0(VALU_DEP_1) | instskip(NEXT) | instid1(VALU_DEP_1)
	v_subrev_nc_u32_e32 v2, 28, v0
	v_lshlrev_b64_e32 v[2:3], v2, v[4:5]
	s_delay_alu instid0(VALU_DEP_1)
	v_dual_sub_nc_u32 v0, 29, v0 :: v_dual_bitop2_b32 v4, 7, v2 bitop3:0x40
; %bb.167:                              ;   in Loop: Header=BB228_10 Depth=1
	s_or_b32 exec_lo, exec_lo, s16
	s_delay_alu instid0(VALU_DEP_1) | instskip(NEXT) | instid1(VALU_DEP_2)
	v_dual_lshlrev_b32 v1, 24, v1 :: v_dual_lshlrev_b32 v2, 20, v4
	v_lshl_add_u32 v0, v0, 23, 0x3c000000
	s_delay_alu instid0(VALU_DEP_2) | instskip(NEXT) | instid1(VALU_DEP_1)
	v_and_b32_e32 v1, 0x80000000, v1
	v_or3_b32 v3, v2, v1, v0
	v_dual_mov_b32 v1, v5 :: v_dual_mov_b32 v2, v5
	s_clause 0x1
	scratch_store_b64 off, v[0:1], s32 offset:192
	scratch_store_b64 off, v[2:3], s32 offset:348
.LBB228_168:                            ;   in Loop: Header=BB228_10 Depth=1
	s_wait_xcnt 0x0
	s_or_b32 exec_lo, exec_lo, s11
.LBB228_169:                            ;   in Loop: Header=BB228_10 Depth=1
	s_delay_alu instid0(SALU_CYCLE_1)
	s_or_b32 exec_lo, exec_lo, s9
.LBB228_170:                            ;   in Loop: Header=BB228_10 Depth=1
	s_delay_alu instid0(SALU_CYCLE_1)
	s_or_b32 exec_lo, exec_lo, s8
	flat_load_b32 v0, v[48:49] offset:516
	v_mov_b64_e32 v[2:3], 0
	s_mov_b32 s8, exec_lo
	scratch_store_b64 off, v[2:3], s32 offset:364 ; 8-byte Folded Spill
	s_wait_xcnt 0x0
	v_mov_b64_e32 v[2:3], 0
	scratch_store_b64 off, v[2:3], s32 offset:372 ; 8-byte Folded Spill
	s_wait_loadcnt_dscnt 0x0
	v_and_b32_e32 v1, 0xff, v0
	s_wait_xcnt 0x0
	s_delay_alu instid0(VALU_DEP_1)
	v_cmpx_ne_u16_e32 0, v1
	s_cbranch_execz .LBB228_178
; %bb.171:                              ;   in Loop: Header=BB228_10 Depth=1
	v_mov_b64_e32 v[2:3], 0x80000000
	s_mov_b32 s9, exec_lo
	scratch_store_b64 off, v[2:3], s32 offset:372 ; 8-byte Folded Spill
	s_wait_xcnt 0x0
	v_cmpx_ne_u16_e32 0x80, v1
	s_cbranch_execz .LBB228_177
; %bb.172:                              ;   in Loop: Header=BB228_10 Depth=1
	v_mov_b64_e32 v[4:5], 0x7f800001
	v_and_b32_e32 v2, 0x7f, v0
	s_mov_b32 s11, exec_lo
	scratch_store_b64 off, v[4:5], s32 offset:372 ; 8-byte Folded Spill
	s_wait_xcnt 0x0
	v_cmpx_ne_u32_e32 0x7f, v2
	s_cbranch_execz .LBB228_176
; %bb.173:                              ;   in Loop: Header=BB228_10 Depth=1
	scratch_load_b64 v[4:5], off, s32 offset:192 th:TH_LOAD_LU ; 8-byte Folded Reload
	s_wait_loadcnt 0x0
	v_dual_lshrrev_b32 v1, 3, v2 :: v_dual_bitop2_b32 v4, 7, v0 bitop3:0x40
	s_mov_b32 s16, exec_lo
	s_wait_xcnt 0x0
	v_cmpx_gt_u32_e32 8, v2
; %bb.174:                              ;   in Loop: Header=BB228_10 Depth=1
	s_delay_alu instid0(VALU_DEP_2) | instskip(NEXT) | instid1(VALU_DEP_1)
	v_clz_i32_u32_e32 v1, v4
	v_min_u32_e32 v1, 32, v1
	s_delay_alu instid0(VALU_DEP_1) | instskip(NEXT) | instid1(VALU_DEP_1)
	v_subrev_nc_u32_e32 v2, 28, v1
	v_lshlrev_b64_e32 v[2:3], v2, v[4:5]
	s_delay_alu instid0(VALU_DEP_1)
	v_dual_sub_nc_u32 v1, 29, v1 :: v_dual_bitop2_b32 v4, 7, v2 bitop3:0x40
; %bb.175:                              ;   in Loop: Header=BB228_10 Depth=1
	s_or_b32 exec_lo, exec_lo, s16
	v_lshlrev_b32_e32 v2, 24, v0
	s_delay_alu instid0(VALU_DEP_2) | instskip(NEXT) | instid1(VALU_DEP_3)
	v_lshlrev_b32_e32 v3, 20, v4
	v_lshl_add_u32 v1, v1, 23, 0x3c000000
	s_delay_alu instid0(VALU_DEP_3) | instskip(NEXT) | instid1(VALU_DEP_1)
	v_and_b32_e32 v2, 0x80000000, v2
	v_or3_b32 v4, v3, v2, v1
	v_mov_b32_e32 v1, v5
	s_clause 0x1
	scratch_store_b64 off, v[0:1], s32 offset:192
	scratch_store_b64 off, v[4:5], s32 offset:372
.LBB228_176:                            ;   in Loop: Header=BB228_10 Depth=1
	s_wait_xcnt 0x0
	s_or_b32 exec_lo, exec_lo, s11
.LBB228_177:                            ;   in Loop: Header=BB228_10 Depth=1
	s_delay_alu instid0(SALU_CYCLE_1)
	s_or_b32 exec_lo, exec_lo, s9
.LBB228_178:                            ;   in Loop: Header=BB228_10 Depth=1
	s_delay_alu instid0(SALU_CYCLE_1) | instskip(SKIP_2) | instid1(VALU_DEP_1)
	s_or_b32 exec_lo, exec_lo, s8
	v_lshrrev_b16 v1, 8, v0
	s_mov_b32 s8, exec_lo
	v_cmpx_ne_u16_e32 0, v1
	s_cbranch_execz .LBB228_186
; %bb.179:                              ;   in Loop: Header=BB228_10 Depth=1
	v_mov_b64_e32 v[2:3], 0x8000000000000000
	s_mov_b32 s9, exec_lo
	scratch_store_b64 off, v[2:3], s32 offset:364 ; 8-byte Folded Spill
	s_wait_xcnt 0x0
	v_cmpx_ne_u16_e32 0x80, v1
	s_cbranch_execz .LBB228_185
; %bb.180:                              ;   in Loop: Header=BB228_10 Depth=1
	v_and_b32_e32 v1, 0xffff, v1
	v_mov_b64_e32 v[4:5], 0x7f80000100000000
	s_mov_b32 s11, exec_lo
	s_delay_alu instid0(VALU_DEP_2)
	v_and_b32_e32 v2, 0x7f, v1
	scratch_store_b64 off, v[4:5], s32 offset:364 ; 8-byte Folded Spill
	s_wait_xcnt 0x0
	v_cmpx_ne_u32_e32 0x7f, v2
	s_cbranch_execz .LBB228_184
; %bb.181:                              ;   in Loop: Header=BB228_10 Depth=1
	scratch_load_b64 v[4:5], off, s32 offset:192 th:TH_LOAD_LU ; 8-byte Folded Reload
	s_wait_loadcnt 0x0
	v_dual_lshrrev_b32 v1, 3, v2 :: v_dual_bitop2_b32 v4, 7, v1 bitop3:0x40
	s_mov_b32 s16, exec_lo
	s_wait_xcnt 0x0
	v_cmpx_gt_u32_e32 8, v2
; %bb.182:                              ;   in Loop: Header=BB228_10 Depth=1
	s_delay_alu instid0(VALU_DEP_2) | instskip(NEXT) | instid1(VALU_DEP_1)
	v_clz_i32_u32_e32 v1, v4
	v_min_u32_e32 v1, 32, v1
	s_delay_alu instid0(VALU_DEP_1) | instskip(NEXT) | instid1(VALU_DEP_1)
	v_subrev_nc_u32_e32 v2, 28, v1
	v_lshlrev_b64_e32 v[2:3], v2, v[4:5]
	s_delay_alu instid0(VALU_DEP_1)
	v_dual_sub_nc_u32 v1, 29, v1 :: v_dual_bitop2_b32 v4, 7, v2 bitop3:0x40
; %bb.183:                              ;   in Loop: Header=BB228_10 Depth=1
	s_or_b32 exec_lo, exec_lo, s16
	v_lshlrev_b32_e32 v2, 16, v0
	s_delay_alu instid0(VALU_DEP_2) | instskip(NEXT) | instid1(VALU_DEP_3)
	v_lshlrev_b32_e32 v3, 20, v4
	v_lshl_add_u32 v1, v1, 23, 0x3c000000
	s_delay_alu instid0(VALU_DEP_3) | instskip(NEXT) | instid1(VALU_DEP_1)
	v_and_b32_e32 v2, 0x80000000, v2
	v_or3_b32 v3, v3, v2, v1
	v_dual_mov_b32 v1, v5 :: v_dual_mov_b32 v2, v5
	s_clause 0x1
	scratch_store_b64 off, v[0:1], s32 offset:192
	scratch_store_b64 off, v[2:3], s32 offset:364
.LBB228_184:                            ;   in Loop: Header=BB228_10 Depth=1
	s_wait_xcnt 0x0
	s_or_b32 exec_lo, exec_lo, s11
.LBB228_185:                            ;   in Loop: Header=BB228_10 Depth=1
	s_delay_alu instid0(SALU_CYCLE_1)
	s_or_b32 exec_lo, exec_lo, s9
.LBB228_186:                            ;   in Loop: Header=BB228_10 Depth=1
	s_delay_alu instid0(SALU_CYCLE_1) | instskip(SKIP_3) | instid1(VALU_DEP_1)
	s_or_b32 exec_lo, exec_lo, s8
	v_mov_b64_e32 v[4:5], 0
	v_lshrrev_b32_e32 v1, 16, v0
	s_mov_b32 s8, exec_lo
	v_and_b32_e32 v2, 0xff, v1
	scratch_store_b64 off, v[4:5], s32 offset:380 ; 8-byte Folded Spill
	s_wait_xcnt 0x0
	v_mov_b64_e32 v[4:5], 0
	scratch_store_b64 off, v[4:5], s32 offset:388 ; 8-byte Folded Spill
	s_wait_xcnt 0x0
	v_cmpx_ne_u16_e32 0, v2
	s_cbranch_execz .LBB228_194
; %bb.187:                              ;   in Loop: Header=BB228_10 Depth=1
	v_cmp_ne_u16_e64 s1, 0x80, v2
	v_mov_b64_e32 v[2:3], 0x80000000
	scratch_store_b64 off, v[2:3], s32 offset:388 ; 8-byte Folded Spill
	s_wait_xcnt 0x0
	s_and_saveexec_b32 s9, s1
	s_cbranch_execz .LBB228_193
; %bb.188:                              ;   in Loop: Header=BB228_10 Depth=1
	v_mov_b64_e32 v[4:5], 0x7f800001
	v_bfe_u32 v3, v0, 16, 7
	s_mov_b32 s11, exec_lo
	scratch_store_b64 off, v[4:5], s32 offset:388 ; 8-byte Folded Spill
	s_wait_xcnt 0x0
	v_cmpx_ne_u32_e32 0x7f, v3
	s_cbranch_execz .LBB228_192
; %bb.189:                              ;   in Loop: Header=BB228_10 Depth=1
	scratch_load_b64 v[6:7], off, s32 offset:192 th:TH_LOAD_LU ; 8-byte Folded Reload
	s_wait_loadcnt 0x0
	v_dual_lshrrev_b32 v2, 3, v3 :: v_dual_bitop2_b32 v6, 7, v1 bitop3:0x40
	s_mov_b32 s16, exec_lo
	s_wait_xcnt 0x0
	v_cmpx_gt_u32_e32 8, v3
; %bb.190:                              ;   in Loop: Header=BB228_10 Depth=1
	s_delay_alu instid0(VALU_DEP_2) | instskip(NEXT) | instid1(VALU_DEP_1)
	v_clz_i32_u32_e32 v2, v6
	v_min_u32_e32 v2, 32, v2
	s_delay_alu instid0(VALU_DEP_1) | instskip(NEXT) | instid1(VALU_DEP_1)
	v_subrev_nc_u32_e32 v3, 28, v2
	v_lshlrev_b64_e32 v[4:5], v3, v[6:7]
	s_delay_alu instid0(VALU_DEP_1)
	v_dual_sub_nc_u32 v2, 29, v2 :: v_dual_bitop2_b32 v6, 7, v4 bitop3:0x40
; %bb.191:                              ;   in Loop: Header=BB228_10 Depth=1
	s_or_b32 exec_lo, exec_lo, s16
	s_delay_alu instid0(VALU_DEP_1) | instskip(NEXT) | instid1(VALU_DEP_2)
	v_dual_lshlrev_b32 v1, 24, v1 :: v_dual_lshlrev_b32 v3, 20, v6
	v_lshl_add_u32 v2, v2, 23, 0x3c000000
	s_delay_alu instid0(VALU_DEP_2) | instskip(NEXT) | instid1(VALU_DEP_1)
	v_and_b32_e32 v1, 0x80000000, v1
	v_or3_b32 v6, v3, v1, v2
	v_mov_b32_e32 v1, v7
	s_clause 0x1
	scratch_store_b64 off, v[0:1], s32 offset:192
	scratch_store_b64 off, v[6:7], s32 offset:388
.LBB228_192:                            ;   in Loop: Header=BB228_10 Depth=1
	s_wait_xcnt 0x0
	s_or_b32 exec_lo, exec_lo, s11
.LBB228_193:                            ;   in Loop: Header=BB228_10 Depth=1
	s_delay_alu instid0(SALU_CYCLE_1)
	s_or_b32 exec_lo, exec_lo, s9
.LBB228_194:                            ;   in Loop: Header=BB228_10 Depth=1
	s_delay_alu instid0(SALU_CYCLE_1) | instskip(NEXT) | instid1(SALU_CYCLE_1)
	s_or_b32 exec_lo, exec_lo, s8
	s_mov_b32 s8, exec_lo
	v_cmpx_lt_u32_e32 0xffffff, v0
	s_cbranch_execz .LBB228_202
; %bb.195:                              ;   in Loop: Header=BB228_10 Depth=1
	v_mov_b64_e32 v[2:3], 0x8000000000000000
	v_lshrrev_b32_e32 v1, 24, v0
	s_mov_b32 s9, exec_lo
	scratch_store_b64 off, v[2:3], s32 offset:380 ; 8-byte Folded Spill
	s_wait_xcnt 0x0
	v_cmpx_ne_u32_e32 0x80, v1
	s_cbranch_execz .LBB228_201
; %bb.196:                              ;   in Loop: Header=BB228_10 Depth=1
	v_mov_b64_e32 v[4:5], 0x7f80000100000000
	v_bfe_u32 v2, v0, 24, 7
	s_mov_b32 s11, exec_lo
	scratch_store_b64 off, v[4:5], s32 offset:380 ; 8-byte Folded Spill
	s_wait_xcnt 0x0
	v_cmpx_ne_u32_e32 0x7f, v2
	s_cbranch_execz .LBB228_200
; %bb.197:                              ;   in Loop: Header=BB228_10 Depth=1
	scratch_load_b64 v[4:5], off, s32 offset:192 th:TH_LOAD_LU ; 8-byte Folded Reload
	s_wait_loadcnt 0x0
	v_dual_lshrrev_b32 v0, 3, v2 :: v_dual_bitop2_b32 v4, 7, v1 bitop3:0x40
	s_mov_b32 s16, exec_lo
	s_wait_xcnt 0x0
	v_cmpx_gt_u32_e32 8, v2
; %bb.198:                              ;   in Loop: Header=BB228_10 Depth=1
	s_delay_alu instid0(VALU_DEP_2) | instskip(NEXT) | instid1(VALU_DEP_1)
	v_clz_i32_u32_e32 v0, v4
	v_min_u32_e32 v0, 32, v0
	s_delay_alu instid0(VALU_DEP_1) | instskip(NEXT) | instid1(VALU_DEP_1)
	v_subrev_nc_u32_e32 v2, 28, v0
	v_lshlrev_b64_e32 v[2:3], v2, v[4:5]
	s_delay_alu instid0(VALU_DEP_1)
	v_dual_sub_nc_u32 v0, 29, v0 :: v_dual_bitop2_b32 v4, 7, v2 bitop3:0x40
; %bb.199:                              ;   in Loop: Header=BB228_10 Depth=1
	s_or_b32 exec_lo, exec_lo, s16
	s_delay_alu instid0(VALU_DEP_1) | instskip(NEXT) | instid1(VALU_DEP_2)
	v_dual_lshlrev_b32 v1, 24, v1 :: v_dual_lshlrev_b32 v2, 20, v4
	v_lshl_add_u32 v0, v0, 23, 0x3c000000
	s_delay_alu instid0(VALU_DEP_2) | instskip(NEXT) | instid1(VALU_DEP_1)
	v_and_b32_e32 v1, 0x80000000, v1
	v_or3_b32 v3, v2, v1, v0
	v_dual_mov_b32 v1, v5 :: v_dual_mov_b32 v2, v5
	s_clause 0x1
	scratch_store_b64 off, v[0:1], s32 offset:192
	scratch_store_b64 off, v[2:3], s32 offset:380
.LBB228_200:                            ;   in Loop: Header=BB228_10 Depth=1
	s_wait_xcnt 0x0
	s_or_b32 exec_lo, exec_lo, s11
.LBB228_201:                            ;   in Loop: Header=BB228_10 Depth=1
	s_delay_alu instid0(SALU_CYCLE_1)
	s_or_b32 exec_lo, exec_lo, s9
.LBB228_202:                            ;   in Loop: Header=BB228_10 Depth=1
	s_delay_alu instid0(SALU_CYCLE_1)
	s_or_b32 exec_lo, exec_lo, s8
	flat_load_b32 v0, v[48:49] offset:520
	v_mov_b64_e32 v[2:3], 0
	s_mov_b32 s8, exec_lo
	scratch_store_b64 off, v[2:3], s32 offset:396 ; 8-byte Folded Spill
	s_wait_xcnt 0x0
	v_mov_b64_e32 v[2:3], 0
	scratch_store_b64 off, v[2:3], s32 offset:404 ; 8-byte Folded Spill
	s_wait_loadcnt_dscnt 0x0
	v_and_b32_e32 v1, 0xff, v0
	s_wait_xcnt 0x0
	s_delay_alu instid0(VALU_DEP_1)
	v_cmpx_ne_u16_e32 0, v1
	s_cbranch_execz .LBB228_210
; %bb.203:                              ;   in Loop: Header=BB228_10 Depth=1
	v_mov_b64_e32 v[2:3], 0x80000000
	s_mov_b32 s9, exec_lo
	scratch_store_b64 off, v[2:3], s32 offset:404 ; 8-byte Folded Spill
	s_wait_xcnt 0x0
	v_cmpx_ne_u16_e32 0x80, v1
	s_cbranch_execz .LBB228_209
; %bb.204:                              ;   in Loop: Header=BB228_10 Depth=1
	v_mov_b64_e32 v[4:5], 0x7f800001
	v_and_b32_e32 v2, 0x7f, v0
	s_mov_b32 s11, exec_lo
	scratch_store_b64 off, v[4:5], s32 offset:404 ; 8-byte Folded Spill
	s_wait_xcnt 0x0
	v_cmpx_ne_u32_e32 0x7f, v2
	s_cbranch_execz .LBB228_208
; %bb.205:                              ;   in Loop: Header=BB228_10 Depth=1
	scratch_load_b64 v[4:5], off, s32 offset:192 th:TH_LOAD_LU ; 8-byte Folded Reload
	s_wait_loadcnt 0x0
	v_dual_lshrrev_b32 v1, 3, v2 :: v_dual_bitop2_b32 v4, 7, v0 bitop3:0x40
	s_mov_b32 s16, exec_lo
	s_wait_xcnt 0x0
	v_cmpx_gt_u32_e32 8, v2
; %bb.206:                              ;   in Loop: Header=BB228_10 Depth=1
	s_delay_alu instid0(VALU_DEP_2) | instskip(NEXT) | instid1(VALU_DEP_1)
	v_clz_i32_u32_e32 v1, v4
	v_min_u32_e32 v1, 32, v1
	s_delay_alu instid0(VALU_DEP_1) | instskip(NEXT) | instid1(VALU_DEP_1)
	v_subrev_nc_u32_e32 v2, 28, v1
	v_lshlrev_b64_e32 v[2:3], v2, v[4:5]
	s_delay_alu instid0(VALU_DEP_1)
	v_dual_sub_nc_u32 v1, 29, v1 :: v_dual_bitop2_b32 v4, 7, v2 bitop3:0x40
; %bb.207:                              ;   in Loop: Header=BB228_10 Depth=1
	s_or_b32 exec_lo, exec_lo, s16
	v_lshlrev_b32_e32 v2, 24, v0
	s_delay_alu instid0(VALU_DEP_2) | instskip(NEXT) | instid1(VALU_DEP_3)
	v_lshlrev_b32_e32 v3, 20, v4
	v_lshl_add_u32 v1, v1, 23, 0x3c000000
	s_delay_alu instid0(VALU_DEP_3) | instskip(NEXT) | instid1(VALU_DEP_1)
	v_and_b32_e32 v2, 0x80000000, v2
	v_or3_b32 v4, v3, v2, v1
	v_mov_b32_e32 v1, v5
	s_clause 0x1
	scratch_store_b64 off, v[0:1], s32 offset:192
	scratch_store_b64 off, v[4:5], s32 offset:404
.LBB228_208:                            ;   in Loop: Header=BB228_10 Depth=1
	s_wait_xcnt 0x0
	s_or_b32 exec_lo, exec_lo, s11
.LBB228_209:                            ;   in Loop: Header=BB228_10 Depth=1
	s_delay_alu instid0(SALU_CYCLE_1)
	s_or_b32 exec_lo, exec_lo, s9
.LBB228_210:                            ;   in Loop: Header=BB228_10 Depth=1
	s_delay_alu instid0(SALU_CYCLE_1) | instskip(SKIP_2) | instid1(VALU_DEP_1)
	s_or_b32 exec_lo, exec_lo, s8
	v_lshrrev_b16 v1, 8, v0
	s_mov_b32 s8, exec_lo
	v_cmpx_ne_u16_e32 0, v1
	s_cbranch_execz .LBB228_218
; %bb.211:                              ;   in Loop: Header=BB228_10 Depth=1
	v_mov_b64_e32 v[2:3], 0x8000000000000000
	s_mov_b32 s9, exec_lo
	scratch_store_b64 off, v[2:3], s32 offset:396 ; 8-byte Folded Spill
	s_wait_xcnt 0x0
	v_cmpx_ne_u16_e32 0x80, v1
	s_cbranch_execz .LBB228_217
; %bb.212:                              ;   in Loop: Header=BB228_10 Depth=1
	v_and_b32_e32 v1, 0xffff, v1
	v_mov_b64_e32 v[4:5], 0x7f80000100000000
	s_mov_b32 s11, exec_lo
	s_delay_alu instid0(VALU_DEP_2)
	v_and_b32_e32 v2, 0x7f, v1
	scratch_store_b64 off, v[4:5], s32 offset:396 ; 8-byte Folded Spill
	s_wait_xcnt 0x0
	v_cmpx_ne_u32_e32 0x7f, v2
	s_cbranch_execz .LBB228_216
; %bb.213:                              ;   in Loop: Header=BB228_10 Depth=1
	scratch_load_b64 v[4:5], off, s32 offset:192 th:TH_LOAD_LU ; 8-byte Folded Reload
	s_wait_loadcnt 0x0
	v_dual_lshrrev_b32 v1, 3, v2 :: v_dual_bitop2_b32 v4, 7, v1 bitop3:0x40
	s_mov_b32 s16, exec_lo
	s_wait_xcnt 0x0
	v_cmpx_gt_u32_e32 8, v2
; %bb.214:                              ;   in Loop: Header=BB228_10 Depth=1
	s_delay_alu instid0(VALU_DEP_2) | instskip(NEXT) | instid1(VALU_DEP_1)
	v_clz_i32_u32_e32 v1, v4
	v_min_u32_e32 v1, 32, v1
	s_delay_alu instid0(VALU_DEP_1) | instskip(NEXT) | instid1(VALU_DEP_1)
	v_subrev_nc_u32_e32 v2, 28, v1
	v_lshlrev_b64_e32 v[2:3], v2, v[4:5]
	s_delay_alu instid0(VALU_DEP_1)
	v_dual_sub_nc_u32 v1, 29, v1 :: v_dual_bitop2_b32 v4, 7, v2 bitop3:0x40
; %bb.215:                              ;   in Loop: Header=BB228_10 Depth=1
	s_or_b32 exec_lo, exec_lo, s16
	v_lshlrev_b32_e32 v2, 16, v0
	s_delay_alu instid0(VALU_DEP_2) | instskip(NEXT) | instid1(VALU_DEP_3)
	v_lshlrev_b32_e32 v3, 20, v4
	v_lshl_add_u32 v1, v1, 23, 0x3c000000
	s_delay_alu instid0(VALU_DEP_3) | instskip(NEXT) | instid1(VALU_DEP_1)
	v_and_b32_e32 v2, 0x80000000, v2
	v_or3_b32 v3, v3, v2, v1
	v_dual_mov_b32 v1, v5 :: v_dual_mov_b32 v2, v5
	s_clause 0x1
	scratch_store_b64 off, v[0:1], s32 offset:192
	scratch_store_b64 off, v[2:3], s32 offset:396
.LBB228_216:                            ;   in Loop: Header=BB228_10 Depth=1
	s_wait_xcnt 0x0
	s_or_b32 exec_lo, exec_lo, s11
.LBB228_217:                            ;   in Loop: Header=BB228_10 Depth=1
	s_delay_alu instid0(SALU_CYCLE_1)
	s_or_b32 exec_lo, exec_lo, s9
.LBB228_218:                            ;   in Loop: Header=BB228_10 Depth=1
	s_delay_alu instid0(SALU_CYCLE_1) | instskip(SKIP_3) | instid1(VALU_DEP_1)
	s_or_b32 exec_lo, exec_lo, s8
	v_mov_b64_e32 v[4:5], 0
	v_lshrrev_b32_e32 v1, 16, v0
	s_mov_b32 s8, exec_lo
	v_and_b32_e32 v2, 0xff, v1
	scratch_store_b64 off, v[4:5], s32 offset:412 ; 8-byte Folded Spill
	s_wait_xcnt 0x0
	v_mov_b64_e32 v[4:5], 0
	scratch_store_b64 off, v[4:5], s32 offset:420 ; 8-byte Folded Spill
	s_wait_xcnt 0x0
	v_cmpx_ne_u16_e32 0, v2
	s_cbranch_execz .LBB228_226
; %bb.219:                              ;   in Loop: Header=BB228_10 Depth=1
	v_cmp_ne_u16_e64 s1, 0x80, v2
	v_mov_b64_e32 v[2:3], 0x80000000
	scratch_store_b64 off, v[2:3], s32 offset:420 ; 8-byte Folded Spill
	s_wait_xcnt 0x0
	s_and_saveexec_b32 s9, s1
	s_cbranch_execz .LBB228_225
; %bb.220:                              ;   in Loop: Header=BB228_10 Depth=1
	v_mov_b64_e32 v[4:5], 0x7f800001
	v_bfe_u32 v3, v0, 16, 7
	s_mov_b32 s11, exec_lo
	scratch_store_b64 off, v[4:5], s32 offset:420 ; 8-byte Folded Spill
	s_wait_xcnt 0x0
	v_cmpx_ne_u32_e32 0x7f, v3
	s_cbranch_execz .LBB228_224
; %bb.221:                              ;   in Loop: Header=BB228_10 Depth=1
	scratch_load_b64 v[6:7], off, s32 offset:192 th:TH_LOAD_LU ; 8-byte Folded Reload
	s_wait_loadcnt 0x0
	v_dual_lshrrev_b32 v2, 3, v3 :: v_dual_bitop2_b32 v6, 7, v1 bitop3:0x40
	s_mov_b32 s16, exec_lo
	s_wait_xcnt 0x0
	v_cmpx_gt_u32_e32 8, v3
; %bb.222:                              ;   in Loop: Header=BB228_10 Depth=1
	s_delay_alu instid0(VALU_DEP_2) | instskip(NEXT) | instid1(VALU_DEP_1)
	v_clz_i32_u32_e32 v2, v6
	v_min_u32_e32 v2, 32, v2
	s_delay_alu instid0(VALU_DEP_1) | instskip(NEXT) | instid1(VALU_DEP_1)
	v_subrev_nc_u32_e32 v3, 28, v2
	v_lshlrev_b64_e32 v[4:5], v3, v[6:7]
	s_delay_alu instid0(VALU_DEP_1)
	v_dual_sub_nc_u32 v2, 29, v2 :: v_dual_bitop2_b32 v6, 7, v4 bitop3:0x40
; %bb.223:                              ;   in Loop: Header=BB228_10 Depth=1
	s_or_b32 exec_lo, exec_lo, s16
	s_delay_alu instid0(VALU_DEP_1) | instskip(NEXT) | instid1(VALU_DEP_2)
	v_dual_lshlrev_b32 v1, 24, v1 :: v_dual_lshlrev_b32 v3, 20, v6
	v_lshl_add_u32 v2, v2, 23, 0x3c000000
	s_delay_alu instid0(VALU_DEP_2) | instskip(NEXT) | instid1(VALU_DEP_1)
	v_and_b32_e32 v1, 0x80000000, v1
	v_or3_b32 v6, v3, v1, v2
	v_mov_b32_e32 v1, v7
	s_clause 0x1
	scratch_store_b64 off, v[0:1], s32 offset:192
	scratch_store_b64 off, v[6:7], s32 offset:420
.LBB228_224:                            ;   in Loop: Header=BB228_10 Depth=1
	s_wait_xcnt 0x0
	s_or_b32 exec_lo, exec_lo, s11
.LBB228_225:                            ;   in Loop: Header=BB228_10 Depth=1
	s_delay_alu instid0(SALU_CYCLE_1)
	s_or_b32 exec_lo, exec_lo, s9
.LBB228_226:                            ;   in Loop: Header=BB228_10 Depth=1
	s_delay_alu instid0(SALU_CYCLE_1) | instskip(NEXT) | instid1(SALU_CYCLE_1)
	s_or_b32 exec_lo, exec_lo, s8
	s_mov_b32 s8, exec_lo
	v_cmpx_lt_u32_e32 0xffffff, v0
	s_cbranch_execz .LBB228_234
; %bb.227:                              ;   in Loop: Header=BB228_10 Depth=1
	v_mov_b64_e32 v[2:3], 0x8000000000000000
	v_lshrrev_b32_e32 v1, 24, v0
	s_mov_b32 s9, exec_lo
	scratch_store_b64 off, v[2:3], s32 offset:412 ; 8-byte Folded Spill
	s_wait_xcnt 0x0
	v_cmpx_ne_u32_e32 0x80, v1
	s_cbranch_execz .LBB228_233
; %bb.228:                              ;   in Loop: Header=BB228_10 Depth=1
	v_mov_b64_e32 v[4:5], 0x7f80000100000000
	v_bfe_u32 v2, v0, 24, 7
	s_mov_b32 s11, exec_lo
	scratch_store_b64 off, v[4:5], s32 offset:412 ; 8-byte Folded Spill
	s_wait_xcnt 0x0
	v_cmpx_ne_u32_e32 0x7f, v2
	s_cbranch_execz .LBB228_232
; %bb.229:                              ;   in Loop: Header=BB228_10 Depth=1
	scratch_load_b64 v[4:5], off, s32 offset:192 th:TH_LOAD_LU ; 8-byte Folded Reload
	s_wait_loadcnt 0x0
	v_dual_lshrrev_b32 v0, 3, v2 :: v_dual_bitop2_b32 v4, 7, v1 bitop3:0x40
	s_mov_b32 s16, exec_lo
	s_wait_xcnt 0x0
	v_cmpx_gt_u32_e32 8, v2
; %bb.230:                              ;   in Loop: Header=BB228_10 Depth=1
	s_delay_alu instid0(VALU_DEP_2) | instskip(NEXT) | instid1(VALU_DEP_1)
	v_clz_i32_u32_e32 v0, v4
	v_min_u32_e32 v0, 32, v0
	s_delay_alu instid0(VALU_DEP_1) | instskip(NEXT) | instid1(VALU_DEP_1)
	v_subrev_nc_u32_e32 v2, 28, v0
	v_lshlrev_b64_e32 v[2:3], v2, v[4:5]
	s_delay_alu instid0(VALU_DEP_1)
	v_dual_sub_nc_u32 v0, 29, v0 :: v_dual_bitop2_b32 v4, 7, v2 bitop3:0x40
; %bb.231:                              ;   in Loop: Header=BB228_10 Depth=1
	s_or_b32 exec_lo, exec_lo, s16
	s_delay_alu instid0(VALU_DEP_1) | instskip(NEXT) | instid1(VALU_DEP_2)
	v_dual_lshlrev_b32 v1, 24, v1 :: v_dual_lshlrev_b32 v2, 20, v4
	v_lshl_add_u32 v0, v0, 23, 0x3c000000
	s_delay_alu instid0(VALU_DEP_2) | instskip(NEXT) | instid1(VALU_DEP_1)
	v_and_b32_e32 v1, 0x80000000, v1
	v_or3_b32 v3, v2, v1, v0
	v_dual_mov_b32 v1, v5 :: v_dual_mov_b32 v2, v5
	s_clause 0x1
	scratch_store_b64 off, v[0:1], s32 offset:192
	scratch_store_b64 off, v[2:3], s32 offset:412
.LBB228_232:                            ;   in Loop: Header=BB228_10 Depth=1
	s_wait_xcnt 0x0
	s_or_b32 exec_lo, exec_lo, s11
.LBB228_233:                            ;   in Loop: Header=BB228_10 Depth=1
	s_delay_alu instid0(SALU_CYCLE_1)
	s_or_b32 exec_lo, exec_lo, s9
.LBB228_234:                            ;   in Loop: Header=BB228_10 Depth=1
	s_delay_alu instid0(SALU_CYCLE_1)
	s_or_b32 exec_lo, exec_lo, s8
	flat_load_b32 v0, v[48:49] offset:524
	v_mov_b64_e32 v[2:3], 0
	s_mov_b32 s8, exec_lo
	scratch_store_b64 off, v[2:3], s32 offset:428 ; 8-byte Folded Spill
	s_wait_xcnt 0x0
	v_mov_b64_e32 v[2:3], 0
	scratch_store_b64 off, v[2:3], s32 offset:436 ; 8-byte Folded Spill
	s_wait_loadcnt_dscnt 0x0
	v_and_b32_e32 v1, 0xff, v0
	s_wait_xcnt 0x0
	s_delay_alu instid0(VALU_DEP_1)
	v_cmpx_ne_u16_e32 0, v1
	s_cbranch_execz .LBB228_242
; %bb.235:                              ;   in Loop: Header=BB228_10 Depth=1
	v_mov_b64_e32 v[2:3], 0x80000000
	s_mov_b32 s9, exec_lo
	scratch_store_b64 off, v[2:3], s32 offset:436 ; 8-byte Folded Spill
	s_wait_xcnt 0x0
	v_cmpx_ne_u16_e32 0x80, v1
	s_cbranch_execz .LBB228_241
; %bb.236:                              ;   in Loop: Header=BB228_10 Depth=1
	v_mov_b64_e32 v[4:5], 0x7f800001
	v_and_b32_e32 v2, 0x7f, v0
	s_mov_b32 s11, exec_lo
	scratch_store_b64 off, v[4:5], s32 offset:436 ; 8-byte Folded Spill
	s_wait_xcnt 0x0
	v_cmpx_ne_u32_e32 0x7f, v2
	s_cbranch_execz .LBB228_240
; %bb.237:                              ;   in Loop: Header=BB228_10 Depth=1
	scratch_load_b64 v[4:5], off, s32 offset:192 th:TH_LOAD_LU ; 8-byte Folded Reload
	s_wait_loadcnt 0x0
	v_dual_lshrrev_b32 v1, 3, v2 :: v_dual_bitop2_b32 v4, 7, v0 bitop3:0x40
	s_mov_b32 s16, exec_lo
	s_wait_xcnt 0x0
	v_cmpx_gt_u32_e32 8, v2
; %bb.238:                              ;   in Loop: Header=BB228_10 Depth=1
	s_delay_alu instid0(VALU_DEP_2) | instskip(NEXT) | instid1(VALU_DEP_1)
	v_clz_i32_u32_e32 v1, v4
	v_min_u32_e32 v1, 32, v1
	s_delay_alu instid0(VALU_DEP_1) | instskip(NEXT) | instid1(VALU_DEP_1)
	v_subrev_nc_u32_e32 v2, 28, v1
	v_lshlrev_b64_e32 v[2:3], v2, v[4:5]
	s_delay_alu instid0(VALU_DEP_1)
	v_dual_sub_nc_u32 v1, 29, v1 :: v_dual_bitop2_b32 v4, 7, v2 bitop3:0x40
; %bb.239:                              ;   in Loop: Header=BB228_10 Depth=1
	s_or_b32 exec_lo, exec_lo, s16
	v_lshlrev_b32_e32 v2, 24, v0
	s_delay_alu instid0(VALU_DEP_2) | instskip(NEXT) | instid1(VALU_DEP_3)
	v_lshlrev_b32_e32 v3, 20, v4
	v_lshl_add_u32 v1, v1, 23, 0x3c000000
	s_delay_alu instid0(VALU_DEP_3) | instskip(NEXT) | instid1(VALU_DEP_1)
	v_and_b32_e32 v2, 0x80000000, v2
	v_or3_b32 v4, v3, v2, v1
	v_mov_b32_e32 v1, v5
	s_clause 0x1
	scratch_store_b64 off, v[0:1], s32 offset:192
	scratch_store_b64 off, v[4:5], s32 offset:436
.LBB228_240:                            ;   in Loop: Header=BB228_10 Depth=1
	s_wait_xcnt 0x0
	s_or_b32 exec_lo, exec_lo, s11
.LBB228_241:                            ;   in Loop: Header=BB228_10 Depth=1
	s_delay_alu instid0(SALU_CYCLE_1)
	s_or_b32 exec_lo, exec_lo, s9
.LBB228_242:                            ;   in Loop: Header=BB228_10 Depth=1
	s_delay_alu instid0(SALU_CYCLE_1) | instskip(SKIP_2) | instid1(VALU_DEP_1)
	s_or_b32 exec_lo, exec_lo, s8
	v_lshrrev_b16 v1, 8, v0
	s_mov_b32 s8, exec_lo
	v_cmpx_ne_u16_e32 0, v1
	s_cbranch_execz .LBB228_250
; %bb.243:                              ;   in Loop: Header=BB228_10 Depth=1
	v_mov_b64_e32 v[2:3], 0x8000000000000000
	s_mov_b32 s9, exec_lo
	scratch_store_b64 off, v[2:3], s32 offset:428 ; 8-byte Folded Spill
	s_wait_xcnt 0x0
	v_cmpx_ne_u16_e32 0x80, v1
	s_cbranch_execz .LBB228_249
; %bb.244:                              ;   in Loop: Header=BB228_10 Depth=1
	v_and_b32_e32 v1, 0xffff, v1
	v_mov_b64_e32 v[4:5], 0x7f80000100000000
	s_mov_b32 s11, exec_lo
	s_delay_alu instid0(VALU_DEP_2)
	v_and_b32_e32 v2, 0x7f, v1
	scratch_store_b64 off, v[4:5], s32 offset:428 ; 8-byte Folded Spill
	s_wait_xcnt 0x0
	v_cmpx_ne_u32_e32 0x7f, v2
	s_cbranch_execz .LBB228_248
; %bb.245:                              ;   in Loop: Header=BB228_10 Depth=1
	scratch_load_b64 v[4:5], off, s32 offset:192 th:TH_LOAD_LU ; 8-byte Folded Reload
	s_wait_loadcnt 0x0
	v_dual_lshrrev_b32 v1, 3, v2 :: v_dual_bitop2_b32 v4, 7, v1 bitop3:0x40
	s_mov_b32 s16, exec_lo
	s_wait_xcnt 0x0
	v_cmpx_gt_u32_e32 8, v2
; %bb.246:                              ;   in Loop: Header=BB228_10 Depth=1
	s_delay_alu instid0(VALU_DEP_2) | instskip(NEXT) | instid1(VALU_DEP_1)
	v_clz_i32_u32_e32 v1, v4
	v_min_u32_e32 v1, 32, v1
	s_delay_alu instid0(VALU_DEP_1) | instskip(NEXT) | instid1(VALU_DEP_1)
	v_subrev_nc_u32_e32 v2, 28, v1
	v_lshlrev_b64_e32 v[2:3], v2, v[4:5]
	s_delay_alu instid0(VALU_DEP_1)
	v_dual_sub_nc_u32 v1, 29, v1 :: v_dual_bitop2_b32 v4, 7, v2 bitop3:0x40
; %bb.247:                              ;   in Loop: Header=BB228_10 Depth=1
	s_or_b32 exec_lo, exec_lo, s16
	v_lshlrev_b32_e32 v2, 16, v0
	s_delay_alu instid0(VALU_DEP_2) | instskip(NEXT) | instid1(VALU_DEP_3)
	v_lshlrev_b32_e32 v3, 20, v4
	v_lshl_add_u32 v1, v1, 23, 0x3c000000
	s_delay_alu instid0(VALU_DEP_3) | instskip(NEXT) | instid1(VALU_DEP_1)
	v_and_b32_e32 v2, 0x80000000, v2
	v_or3_b32 v3, v3, v2, v1
	v_dual_mov_b32 v1, v5 :: v_dual_mov_b32 v2, v5
	s_clause 0x1
	scratch_store_b64 off, v[0:1], s32 offset:192
	scratch_store_b64 off, v[2:3], s32 offset:428
.LBB228_248:                            ;   in Loop: Header=BB228_10 Depth=1
	s_wait_xcnt 0x0
	s_or_b32 exec_lo, exec_lo, s11
.LBB228_249:                            ;   in Loop: Header=BB228_10 Depth=1
	s_delay_alu instid0(SALU_CYCLE_1)
	s_or_b32 exec_lo, exec_lo, s9
.LBB228_250:                            ;   in Loop: Header=BB228_10 Depth=1
	s_delay_alu instid0(SALU_CYCLE_1) | instskip(SKIP_3) | instid1(VALU_DEP_1)
	s_or_b32 exec_lo, exec_lo, s8
	v_mov_b64_e32 v[4:5], 0
	v_lshrrev_b32_e32 v1, 16, v0
	s_mov_b32 s8, exec_lo
	v_and_b32_e32 v2, 0xff, v1
	scratch_store_b64 off, v[4:5], s32 offset:444 ; 8-byte Folded Spill
	s_wait_xcnt 0x0
	v_mov_b64_e32 v[4:5], 0
	scratch_store_b64 off, v[4:5], s32 offset:452 ; 8-byte Folded Spill
	s_wait_xcnt 0x0
	v_cmpx_ne_u16_e32 0, v2
	s_cbranch_execz .LBB228_258
; %bb.251:                              ;   in Loop: Header=BB228_10 Depth=1
	v_cmp_ne_u16_e64 s1, 0x80, v2
	v_mov_b64_e32 v[2:3], 0x80000000
	scratch_store_b64 off, v[2:3], s32 offset:452 ; 8-byte Folded Spill
	s_wait_xcnt 0x0
	s_and_saveexec_b32 s9, s1
	s_cbranch_execz .LBB228_257
; %bb.252:                              ;   in Loop: Header=BB228_10 Depth=1
	v_mov_b64_e32 v[4:5], 0x7f800001
	v_bfe_u32 v3, v0, 16, 7
	s_mov_b32 s11, exec_lo
	scratch_store_b64 off, v[4:5], s32 offset:452 ; 8-byte Folded Spill
	s_wait_xcnt 0x0
	v_cmpx_ne_u32_e32 0x7f, v3
	s_cbranch_execz .LBB228_256
; %bb.253:                              ;   in Loop: Header=BB228_10 Depth=1
	scratch_load_b64 v[6:7], off, s32 offset:192 th:TH_LOAD_LU ; 8-byte Folded Reload
	s_wait_loadcnt 0x0
	v_dual_lshrrev_b32 v2, 3, v3 :: v_dual_bitop2_b32 v6, 7, v1 bitop3:0x40
	s_mov_b32 s16, exec_lo
	s_wait_xcnt 0x0
	v_cmpx_gt_u32_e32 8, v3
; %bb.254:                              ;   in Loop: Header=BB228_10 Depth=1
	s_delay_alu instid0(VALU_DEP_2) | instskip(NEXT) | instid1(VALU_DEP_1)
	v_clz_i32_u32_e32 v2, v6
	v_min_u32_e32 v2, 32, v2
	s_delay_alu instid0(VALU_DEP_1) | instskip(NEXT) | instid1(VALU_DEP_1)
	v_subrev_nc_u32_e32 v3, 28, v2
	v_lshlrev_b64_e32 v[4:5], v3, v[6:7]
	s_delay_alu instid0(VALU_DEP_1)
	v_dual_sub_nc_u32 v2, 29, v2 :: v_dual_bitop2_b32 v6, 7, v4 bitop3:0x40
; %bb.255:                              ;   in Loop: Header=BB228_10 Depth=1
	s_or_b32 exec_lo, exec_lo, s16
	s_delay_alu instid0(VALU_DEP_1) | instskip(NEXT) | instid1(VALU_DEP_2)
	v_dual_lshlrev_b32 v1, 24, v1 :: v_dual_lshlrev_b32 v3, 20, v6
	v_lshl_add_u32 v2, v2, 23, 0x3c000000
	s_delay_alu instid0(VALU_DEP_2) | instskip(NEXT) | instid1(VALU_DEP_1)
	v_and_b32_e32 v1, 0x80000000, v1
	v_or3_b32 v6, v3, v1, v2
	v_mov_b32_e32 v1, v7
	s_clause 0x1
	scratch_store_b64 off, v[0:1], s32 offset:192
	scratch_store_b64 off, v[6:7], s32 offset:452
.LBB228_256:                            ;   in Loop: Header=BB228_10 Depth=1
	s_wait_xcnt 0x0
	s_or_b32 exec_lo, exec_lo, s11
.LBB228_257:                            ;   in Loop: Header=BB228_10 Depth=1
	s_delay_alu instid0(SALU_CYCLE_1)
	s_or_b32 exec_lo, exec_lo, s9
.LBB228_258:                            ;   in Loop: Header=BB228_10 Depth=1
	s_delay_alu instid0(SALU_CYCLE_1) | instskip(NEXT) | instid1(SALU_CYCLE_1)
	s_or_b32 exec_lo, exec_lo, s8
	s_mov_b32 s8, exec_lo
	v_cmpx_lt_u32_e32 0xffffff, v0
	s_cbranch_execz .LBB228_266
; %bb.259:                              ;   in Loop: Header=BB228_10 Depth=1
	v_mov_b64_e32 v[2:3], 0x8000000000000000
	v_lshrrev_b32_e32 v1, 24, v0
	s_mov_b32 s9, exec_lo
	scratch_store_b64 off, v[2:3], s32 offset:444 ; 8-byte Folded Spill
	s_wait_xcnt 0x0
	v_cmpx_ne_u32_e32 0x80, v1
	s_cbranch_execz .LBB228_265
; %bb.260:                              ;   in Loop: Header=BB228_10 Depth=1
	v_mov_b64_e32 v[4:5], 0x7f80000100000000
	v_bfe_u32 v2, v0, 24, 7
	s_mov_b32 s11, exec_lo
	scratch_store_b64 off, v[4:5], s32 offset:444 ; 8-byte Folded Spill
	s_wait_xcnt 0x0
	v_cmpx_ne_u32_e32 0x7f, v2
	s_cbranch_execz .LBB228_264
; %bb.261:                              ;   in Loop: Header=BB228_10 Depth=1
	scratch_load_b64 v[4:5], off, s32 offset:192 th:TH_LOAD_LU ; 8-byte Folded Reload
	s_wait_loadcnt 0x0
	v_dual_lshrrev_b32 v0, 3, v2 :: v_dual_bitop2_b32 v4, 7, v1 bitop3:0x40
	s_mov_b32 s16, exec_lo
	s_wait_xcnt 0x0
	v_cmpx_gt_u32_e32 8, v2
; %bb.262:                              ;   in Loop: Header=BB228_10 Depth=1
	s_delay_alu instid0(VALU_DEP_2) | instskip(NEXT) | instid1(VALU_DEP_1)
	v_clz_i32_u32_e32 v0, v4
	v_min_u32_e32 v0, 32, v0
	s_delay_alu instid0(VALU_DEP_1) | instskip(NEXT) | instid1(VALU_DEP_1)
	v_subrev_nc_u32_e32 v2, 28, v0
	v_lshlrev_b64_e32 v[2:3], v2, v[4:5]
	s_delay_alu instid0(VALU_DEP_1)
	v_dual_sub_nc_u32 v0, 29, v0 :: v_dual_bitop2_b32 v4, 7, v2 bitop3:0x40
; %bb.263:                              ;   in Loop: Header=BB228_10 Depth=1
	s_or_b32 exec_lo, exec_lo, s16
	s_delay_alu instid0(VALU_DEP_1) | instskip(NEXT) | instid1(VALU_DEP_2)
	v_dual_lshlrev_b32 v1, 24, v1 :: v_dual_lshlrev_b32 v2, 20, v4
	v_lshl_add_u32 v0, v0, 23, 0x3c000000
	s_delay_alu instid0(VALU_DEP_2) | instskip(NEXT) | instid1(VALU_DEP_1)
	v_and_b32_e32 v1, 0x80000000, v1
	v_or3_b32 v3, v2, v1, v0
	v_dual_mov_b32 v1, v5 :: v_dual_mov_b32 v2, v5
	s_clause 0x1
	scratch_store_b64 off, v[0:1], s32 offset:192
	scratch_store_b64 off, v[2:3], s32 offset:444
.LBB228_264:                            ;   in Loop: Header=BB228_10 Depth=1
	s_wait_xcnt 0x0
	s_or_b32 exec_lo, exec_lo, s11
.LBB228_265:                            ;   in Loop: Header=BB228_10 Depth=1
	s_delay_alu instid0(SALU_CYCLE_1)
	s_or_b32 exec_lo, exec_lo, s9
.LBB228_266:                            ;   in Loop: Header=BB228_10 Depth=1
	s_delay_alu instid0(SALU_CYCLE_1)
	s_or_b32 exec_lo, exec_lo, s8
	flat_load_b32 v0, v[48:49] offset:1024
	v_mov_b64_e32 v[32:33], 0
	v_mov_b64_e32 v[2:3], 0
	s_mov_b32 s8, exec_lo
	scratch_store_b64 off, v[2:3], s32 offset:460 ; 8-byte Folded Spill
	s_wait_loadcnt_dscnt 0x0
	v_and_b32_e32 v1, 0xff, v0
	s_wait_xcnt 0x0
	s_delay_alu instid0(VALU_DEP_1)
	v_cmpx_ne_u16_e32 0, v1
	s_cbranch_execz .LBB228_274
; %bb.267:                              ;   in Loop: Header=BB228_10 Depth=1
	v_mov_b64_e32 v[2:3], 0x80000000
	s_mov_b32 s9, exec_lo
	scratch_store_b64 off, v[2:3], s32 offset:460 ; 8-byte Folded Spill
	s_wait_xcnt 0x0
	v_cmpx_ne_u16_e32 0x80, v1
	s_cbranch_execz .LBB228_273
; %bb.268:                              ;   in Loop: Header=BB228_10 Depth=1
	v_mov_b64_e32 v[4:5], 0x7f800001
	v_and_b32_e32 v2, 0x7f, v0
	s_mov_b32 s11, exec_lo
	scratch_store_b64 off, v[4:5], s32 offset:460 ; 8-byte Folded Spill
	s_wait_xcnt 0x0
	v_cmpx_ne_u32_e32 0x7f, v2
	s_cbranch_execz .LBB228_272
; %bb.269:                              ;   in Loop: Header=BB228_10 Depth=1
	scratch_load_b64 v[4:5], off, s32 offset:192 th:TH_LOAD_LU ; 8-byte Folded Reload
	s_wait_loadcnt 0x0
	v_dual_lshrrev_b32 v1, 3, v2 :: v_dual_bitop2_b32 v4, 7, v0 bitop3:0x40
	s_mov_b32 s16, exec_lo
	s_wait_xcnt 0x0
	v_cmpx_gt_u32_e32 8, v2
; %bb.270:                              ;   in Loop: Header=BB228_10 Depth=1
	s_delay_alu instid0(VALU_DEP_2) | instskip(NEXT) | instid1(VALU_DEP_1)
	v_clz_i32_u32_e32 v1, v4
	v_min_u32_e32 v1, 32, v1
	s_delay_alu instid0(VALU_DEP_1) | instskip(NEXT) | instid1(VALU_DEP_1)
	v_subrev_nc_u32_e32 v2, 28, v1
	v_lshlrev_b64_e32 v[2:3], v2, v[4:5]
	s_delay_alu instid0(VALU_DEP_1)
	v_dual_sub_nc_u32 v1, 29, v1 :: v_dual_bitop2_b32 v4, 7, v2 bitop3:0x40
; %bb.271:                              ;   in Loop: Header=BB228_10 Depth=1
	s_or_b32 exec_lo, exec_lo, s16
	v_lshlrev_b32_e32 v2, 24, v0
	s_delay_alu instid0(VALU_DEP_2) | instskip(NEXT) | instid1(VALU_DEP_3)
	v_lshlrev_b32_e32 v3, 20, v4
	v_lshl_add_u32 v1, v1, 23, 0x3c000000
	s_delay_alu instid0(VALU_DEP_3) | instskip(NEXT) | instid1(VALU_DEP_1)
	v_and_b32_e32 v2, 0x80000000, v2
	v_or3_b32 v4, v3, v2, v1
	v_mov_b32_e32 v1, v5
	s_clause 0x1
	scratch_store_b64 off, v[0:1], s32 offset:192
	scratch_store_b64 off, v[4:5], s32 offset:460
.LBB228_272:                            ;   in Loop: Header=BB228_10 Depth=1
	s_wait_xcnt 0x0
	s_or_b32 exec_lo, exec_lo, s11
.LBB228_273:                            ;   in Loop: Header=BB228_10 Depth=1
	s_delay_alu instid0(SALU_CYCLE_1)
	s_or_b32 exec_lo, exec_lo, s9
.LBB228_274:                            ;   in Loop: Header=BB228_10 Depth=1
	s_delay_alu instid0(SALU_CYCLE_1) | instskip(SKIP_2) | instid1(VALU_DEP_1)
	s_or_b32 exec_lo, exec_lo, s8
	v_lshrrev_b16 v1, 8, v0
	s_mov_b32 s8, exec_lo
	v_cmpx_ne_u16_e32 0, v1
	s_cbranch_execz .LBB228_282
; %bb.275:                              ;   in Loop: Header=BB228_10 Depth=1
	v_mov_b64_e32 v[32:33], 0x8000000000000000
	s_mov_b32 s9, exec_lo
	v_cmpx_ne_u16_e32 0x80, v1
	s_cbranch_execz .LBB228_281
; %bb.276:                              ;   in Loop: Header=BB228_10 Depth=1
	v_and_b32_e32 v1, 0xffff, v1
	v_mov_b64_e32 v[32:33], 0x7f80000100000000
	s_mov_b32 s11, exec_lo
	s_delay_alu instid0(VALU_DEP_2) | instskip(NEXT) | instid1(VALU_DEP_1)
	v_and_b32_e32 v2, 0x7f, v1
	v_cmpx_ne_u32_e32 0x7f, v2
	s_cbranch_execz .LBB228_280
; %bb.277:                              ;   in Loop: Header=BB228_10 Depth=1
	scratch_load_b64 v[4:5], off, s32 offset:192 th:TH_LOAD_LU ; 8-byte Folded Reload
	s_wait_loadcnt 0x0
	v_dual_lshrrev_b32 v1, 3, v2 :: v_dual_bitop2_b32 v4, 7, v1 bitop3:0x40
	s_mov_b32 s16, exec_lo
	s_wait_xcnt 0x0
	v_cmpx_gt_u32_e32 8, v2
; %bb.278:                              ;   in Loop: Header=BB228_10 Depth=1
	s_delay_alu instid0(VALU_DEP_2) | instskip(NEXT) | instid1(VALU_DEP_1)
	v_clz_i32_u32_e32 v1, v4
	v_min_u32_e32 v1, 32, v1
	s_delay_alu instid0(VALU_DEP_1) | instskip(NEXT) | instid1(VALU_DEP_1)
	v_subrev_nc_u32_e32 v2, 28, v1
	v_lshlrev_b64_e32 v[2:3], v2, v[4:5]
	s_delay_alu instid0(VALU_DEP_1)
	v_dual_sub_nc_u32 v1, 29, v1 :: v_dual_bitop2_b32 v4, 7, v2 bitop3:0x40
; %bb.279:                              ;   in Loop: Header=BB228_10 Depth=1
	s_or_b32 exec_lo, exec_lo, s16
	v_lshlrev_b32_e32 v2, 16, v0
	s_delay_alu instid0(VALU_DEP_2) | instskip(NEXT) | instid1(VALU_DEP_3)
	v_dual_mov_b32 v32, v5 :: v_dual_lshlrev_b32 v3, 20, v4
	v_lshl_add_u32 v1, v1, 23, 0x3c000000
	s_delay_alu instid0(VALU_DEP_3) | instskip(NEXT) | instid1(VALU_DEP_1)
	v_and_b32_e32 v2, 0x80000000, v2
	v_or3_b32 v33, v3, v2, v1
	v_mov_b32_e32 v1, v5
	scratch_store_b64 off, v[0:1], s32 offset:192 ; 8-byte Folded Spill
.LBB228_280:                            ;   in Loop: Header=BB228_10 Depth=1
	s_wait_xcnt 0x0
	s_or_b32 exec_lo, exec_lo, s11
.LBB228_281:                            ;   in Loop: Header=BB228_10 Depth=1
	s_delay_alu instid0(SALU_CYCLE_1)
	s_or_b32 exec_lo, exec_lo, s9
.LBB228_282:                            ;   in Loop: Header=BB228_10 Depth=1
	s_delay_alu instid0(SALU_CYCLE_1) | instskip(SKIP_3) | instid1(VALU_DEP_1)
	s_or_b32 exec_lo, exec_lo, s8
	v_mov_b64_e32 v[4:5], 0
	v_lshrrev_b32_e32 v1, 16, v0
	s_mov_b32 s8, exec_lo
	v_and_b32_e32 v2, 0xff, v1
	scratch_store_b64 off, v[4:5], s32 offset:468 ; 8-byte Folded Spill
	s_wait_xcnt 0x0
	v_mov_b64_e32 v[4:5], 0
	scratch_store_b64 off, v[4:5], s32 offset:476 ; 8-byte Folded Spill
	s_wait_xcnt 0x0
	v_cmpx_ne_u16_e32 0, v2
	s_cbranch_execz .LBB228_290
; %bb.283:                              ;   in Loop: Header=BB228_10 Depth=1
	v_cmp_ne_u16_e64 s1, 0x80, v2
	v_mov_b64_e32 v[2:3], 0x80000000
	scratch_store_b64 off, v[2:3], s32 offset:476 ; 8-byte Folded Spill
	s_wait_xcnt 0x0
	s_and_saveexec_b32 s9, s1
	s_cbranch_execz .LBB228_289
; %bb.284:                              ;   in Loop: Header=BB228_10 Depth=1
	v_mov_b64_e32 v[4:5], 0x7f800001
	v_bfe_u32 v3, v0, 16, 7
	s_mov_b32 s11, exec_lo
	scratch_store_b64 off, v[4:5], s32 offset:476 ; 8-byte Folded Spill
	s_wait_xcnt 0x0
	v_cmpx_ne_u32_e32 0x7f, v3
	s_cbranch_execz .LBB228_288
; %bb.285:                              ;   in Loop: Header=BB228_10 Depth=1
	scratch_load_b64 v[6:7], off, s32 offset:192 th:TH_LOAD_LU ; 8-byte Folded Reload
	s_wait_loadcnt 0x0
	v_dual_lshrrev_b32 v2, 3, v3 :: v_dual_bitop2_b32 v6, 7, v1 bitop3:0x40
	s_mov_b32 s16, exec_lo
	s_wait_xcnt 0x0
	v_cmpx_gt_u32_e32 8, v3
; %bb.286:                              ;   in Loop: Header=BB228_10 Depth=1
	s_delay_alu instid0(VALU_DEP_2) | instskip(NEXT) | instid1(VALU_DEP_1)
	v_clz_i32_u32_e32 v2, v6
	v_min_u32_e32 v2, 32, v2
	s_delay_alu instid0(VALU_DEP_1) | instskip(NEXT) | instid1(VALU_DEP_1)
	v_subrev_nc_u32_e32 v3, 28, v2
	v_lshlrev_b64_e32 v[4:5], v3, v[6:7]
	s_delay_alu instid0(VALU_DEP_1)
	v_dual_sub_nc_u32 v2, 29, v2 :: v_dual_bitop2_b32 v6, 7, v4 bitop3:0x40
; %bb.287:                              ;   in Loop: Header=BB228_10 Depth=1
	s_or_b32 exec_lo, exec_lo, s16
	s_delay_alu instid0(VALU_DEP_1) | instskip(NEXT) | instid1(VALU_DEP_2)
	v_dual_lshlrev_b32 v1, 24, v1 :: v_dual_lshlrev_b32 v3, 20, v6
	v_lshl_add_u32 v2, v2, 23, 0x3c000000
	s_delay_alu instid0(VALU_DEP_2) | instskip(NEXT) | instid1(VALU_DEP_1)
	v_and_b32_e32 v1, 0x80000000, v1
	v_or3_b32 v6, v3, v1, v2
	v_mov_b32_e32 v1, v7
	s_clause 0x1
	scratch_store_b64 off, v[0:1], s32 offset:192
	scratch_store_b64 off, v[6:7], s32 offset:476
.LBB228_288:                            ;   in Loop: Header=BB228_10 Depth=1
	s_wait_xcnt 0x0
	s_or_b32 exec_lo, exec_lo, s11
.LBB228_289:                            ;   in Loop: Header=BB228_10 Depth=1
	s_delay_alu instid0(SALU_CYCLE_1)
	s_or_b32 exec_lo, exec_lo, s9
.LBB228_290:                            ;   in Loop: Header=BB228_10 Depth=1
	s_delay_alu instid0(SALU_CYCLE_1) | instskip(NEXT) | instid1(SALU_CYCLE_1)
	s_or_b32 exec_lo, exec_lo, s8
	s_mov_b32 s8, exec_lo
	v_cmpx_lt_u32_e32 0xffffff, v0
	s_cbranch_execz .LBB228_298
; %bb.291:                              ;   in Loop: Header=BB228_10 Depth=1
	v_mov_b64_e32 v[2:3], 0x8000000000000000
	v_lshrrev_b32_e32 v1, 24, v0
	s_mov_b32 s9, exec_lo
	scratch_store_b64 off, v[2:3], s32 offset:468 ; 8-byte Folded Spill
	s_wait_xcnt 0x0
	v_cmpx_ne_u32_e32 0x80, v1
	s_cbranch_execz .LBB228_297
; %bb.292:                              ;   in Loop: Header=BB228_10 Depth=1
	v_mov_b64_e32 v[4:5], 0x7f80000100000000
	v_bfe_u32 v2, v0, 24, 7
	s_mov_b32 s11, exec_lo
	scratch_store_b64 off, v[4:5], s32 offset:468 ; 8-byte Folded Spill
	s_wait_xcnt 0x0
	v_cmpx_ne_u32_e32 0x7f, v2
	s_cbranch_execz .LBB228_296
; %bb.293:                              ;   in Loop: Header=BB228_10 Depth=1
	scratch_load_b64 v[4:5], off, s32 offset:192 th:TH_LOAD_LU ; 8-byte Folded Reload
	s_wait_loadcnt 0x0
	v_dual_lshrrev_b32 v0, 3, v2 :: v_dual_bitop2_b32 v4, 7, v1 bitop3:0x40
	s_mov_b32 s16, exec_lo
	s_wait_xcnt 0x0
	v_cmpx_gt_u32_e32 8, v2
; %bb.294:                              ;   in Loop: Header=BB228_10 Depth=1
	s_delay_alu instid0(VALU_DEP_2) | instskip(NEXT) | instid1(VALU_DEP_1)
	v_clz_i32_u32_e32 v0, v4
	v_min_u32_e32 v0, 32, v0
	s_delay_alu instid0(VALU_DEP_1) | instskip(NEXT) | instid1(VALU_DEP_1)
	v_subrev_nc_u32_e32 v2, 28, v0
	v_lshlrev_b64_e32 v[2:3], v2, v[4:5]
	s_delay_alu instid0(VALU_DEP_1)
	v_dual_sub_nc_u32 v0, 29, v0 :: v_dual_bitop2_b32 v4, 7, v2 bitop3:0x40
; %bb.295:                              ;   in Loop: Header=BB228_10 Depth=1
	s_or_b32 exec_lo, exec_lo, s16
	s_delay_alu instid0(VALU_DEP_1) | instskip(NEXT) | instid1(VALU_DEP_2)
	v_dual_lshlrev_b32 v1, 24, v1 :: v_dual_lshlrev_b32 v2, 20, v4
	v_lshl_add_u32 v0, v0, 23, 0x3c000000
	s_delay_alu instid0(VALU_DEP_2) | instskip(NEXT) | instid1(VALU_DEP_1)
	v_and_b32_e32 v1, 0x80000000, v1
	v_or3_b32 v3, v2, v1, v0
	v_dual_mov_b32 v1, v5 :: v_dual_mov_b32 v2, v5
	s_clause 0x1
	scratch_store_b64 off, v[0:1], s32 offset:192
	scratch_store_b64 off, v[2:3], s32 offset:468
.LBB228_296:                            ;   in Loop: Header=BB228_10 Depth=1
	s_wait_xcnt 0x0
	s_or_b32 exec_lo, exec_lo, s11
.LBB228_297:                            ;   in Loop: Header=BB228_10 Depth=1
	s_delay_alu instid0(SALU_CYCLE_1)
	s_or_b32 exec_lo, exec_lo, s9
.LBB228_298:                            ;   in Loop: Header=BB228_10 Depth=1
	s_delay_alu instid0(SALU_CYCLE_1)
	s_or_b32 exec_lo, exec_lo, s8
	flat_load_b32 v0, v[48:49] offset:1028
	v_mov_b64_e32 v[2:3], 0
	s_mov_b32 s8, exec_lo
	scratch_store_b64 off, v[2:3], s32 offset:484 ; 8-byte Folded Spill
	s_wait_xcnt 0x0
	v_mov_b64_e32 v[2:3], 0
	scratch_store_b64 off, v[2:3], s32 offset:492 ; 8-byte Folded Spill
	s_wait_loadcnt_dscnt 0x0
	v_and_b32_e32 v1, 0xff, v0
	s_wait_xcnt 0x0
	s_delay_alu instid0(VALU_DEP_1)
	v_cmpx_ne_u16_e32 0, v1
	s_cbranch_execz .LBB228_306
; %bb.299:                              ;   in Loop: Header=BB228_10 Depth=1
	v_mov_b64_e32 v[2:3], 0x80000000
	s_mov_b32 s9, exec_lo
	scratch_store_b64 off, v[2:3], s32 offset:492 ; 8-byte Folded Spill
	s_wait_xcnt 0x0
	v_cmpx_ne_u16_e32 0x80, v1
	s_cbranch_execz .LBB228_305
; %bb.300:                              ;   in Loop: Header=BB228_10 Depth=1
	v_mov_b64_e32 v[4:5], 0x7f800001
	v_and_b32_e32 v2, 0x7f, v0
	s_mov_b32 s11, exec_lo
	scratch_store_b64 off, v[4:5], s32 offset:492 ; 8-byte Folded Spill
	s_wait_xcnt 0x0
	v_cmpx_ne_u32_e32 0x7f, v2
	s_cbranch_execz .LBB228_304
; %bb.301:                              ;   in Loop: Header=BB228_10 Depth=1
	scratch_load_b64 v[4:5], off, s32 offset:192 th:TH_LOAD_LU ; 8-byte Folded Reload
	s_wait_loadcnt 0x0
	v_dual_lshrrev_b32 v1, 3, v2 :: v_dual_bitop2_b32 v4, 7, v0 bitop3:0x40
	s_mov_b32 s16, exec_lo
	s_wait_xcnt 0x0
	v_cmpx_gt_u32_e32 8, v2
; %bb.302:                              ;   in Loop: Header=BB228_10 Depth=1
	s_delay_alu instid0(VALU_DEP_2) | instskip(NEXT) | instid1(VALU_DEP_1)
	v_clz_i32_u32_e32 v1, v4
	v_min_u32_e32 v1, 32, v1
	s_delay_alu instid0(VALU_DEP_1) | instskip(NEXT) | instid1(VALU_DEP_1)
	v_subrev_nc_u32_e32 v2, 28, v1
	v_lshlrev_b64_e32 v[2:3], v2, v[4:5]
	s_delay_alu instid0(VALU_DEP_1)
	v_dual_sub_nc_u32 v1, 29, v1 :: v_dual_bitop2_b32 v4, 7, v2 bitop3:0x40
; %bb.303:                              ;   in Loop: Header=BB228_10 Depth=1
	s_or_b32 exec_lo, exec_lo, s16
	v_lshlrev_b32_e32 v2, 24, v0
	s_delay_alu instid0(VALU_DEP_2) | instskip(NEXT) | instid1(VALU_DEP_3)
	v_lshlrev_b32_e32 v3, 20, v4
	v_lshl_add_u32 v1, v1, 23, 0x3c000000
	s_delay_alu instid0(VALU_DEP_3) | instskip(NEXT) | instid1(VALU_DEP_1)
	v_and_b32_e32 v2, 0x80000000, v2
	v_or3_b32 v4, v3, v2, v1
	v_mov_b32_e32 v1, v5
	s_clause 0x1
	scratch_store_b64 off, v[0:1], s32 offset:192
	scratch_store_b64 off, v[4:5], s32 offset:492
.LBB228_304:                            ;   in Loop: Header=BB228_10 Depth=1
	s_wait_xcnt 0x0
	s_or_b32 exec_lo, exec_lo, s11
.LBB228_305:                            ;   in Loop: Header=BB228_10 Depth=1
	s_delay_alu instid0(SALU_CYCLE_1)
	s_or_b32 exec_lo, exec_lo, s9
.LBB228_306:                            ;   in Loop: Header=BB228_10 Depth=1
	s_delay_alu instid0(SALU_CYCLE_1) | instskip(SKIP_2) | instid1(VALU_DEP_1)
	s_or_b32 exec_lo, exec_lo, s8
	v_lshrrev_b16 v1, 8, v0
	s_mov_b32 s8, exec_lo
	v_cmpx_ne_u16_e32 0, v1
	s_cbranch_execz .LBB228_314
; %bb.307:                              ;   in Loop: Header=BB228_10 Depth=1
	v_mov_b64_e32 v[2:3], 0x8000000000000000
	s_mov_b32 s9, exec_lo
	scratch_store_b64 off, v[2:3], s32 offset:484 ; 8-byte Folded Spill
	s_wait_xcnt 0x0
	v_cmpx_ne_u16_e32 0x80, v1
	s_cbranch_execz .LBB228_313
; %bb.308:                              ;   in Loop: Header=BB228_10 Depth=1
	v_and_b32_e32 v1, 0xffff, v1
	v_mov_b64_e32 v[4:5], 0x7f80000100000000
	s_mov_b32 s11, exec_lo
	s_delay_alu instid0(VALU_DEP_2)
	v_and_b32_e32 v2, 0x7f, v1
	scratch_store_b64 off, v[4:5], s32 offset:484 ; 8-byte Folded Spill
	s_wait_xcnt 0x0
	v_cmpx_ne_u32_e32 0x7f, v2
	s_cbranch_execz .LBB228_312
; %bb.309:                              ;   in Loop: Header=BB228_10 Depth=1
	scratch_load_b64 v[4:5], off, s32 offset:192 th:TH_LOAD_LU ; 8-byte Folded Reload
	s_wait_loadcnt 0x0
	v_dual_lshrrev_b32 v1, 3, v2 :: v_dual_bitop2_b32 v4, 7, v1 bitop3:0x40
	s_mov_b32 s16, exec_lo
	s_wait_xcnt 0x0
	v_cmpx_gt_u32_e32 8, v2
; %bb.310:                              ;   in Loop: Header=BB228_10 Depth=1
	s_delay_alu instid0(VALU_DEP_2) | instskip(NEXT) | instid1(VALU_DEP_1)
	v_clz_i32_u32_e32 v1, v4
	v_min_u32_e32 v1, 32, v1
	s_delay_alu instid0(VALU_DEP_1) | instskip(NEXT) | instid1(VALU_DEP_1)
	v_subrev_nc_u32_e32 v2, 28, v1
	v_lshlrev_b64_e32 v[2:3], v2, v[4:5]
	s_delay_alu instid0(VALU_DEP_1)
	v_dual_sub_nc_u32 v1, 29, v1 :: v_dual_bitop2_b32 v4, 7, v2 bitop3:0x40
; %bb.311:                              ;   in Loop: Header=BB228_10 Depth=1
	s_or_b32 exec_lo, exec_lo, s16
	v_lshlrev_b32_e32 v2, 16, v0
	s_delay_alu instid0(VALU_DEP_2) | instskip(NEXT) | instid1(VALU_DEP_3)
	v_lshlrev_b32_e32 v3, 20, v4
	v_lshl_add_u32 v1, v1, 23, 0x3c000000
	s_delay_alu instid0(VALU_DEP_3) | instskip(NEXT) | instid1(VALU_DEP_1)
	v_and_b32_e32 v2, 0x80000000, v2
	v_or3_b32 v3, v3, v2, v1
	v_dual_mov_b32 v1, v5 :: v_dual_mov_b32 v2, v5
	s_clause 0x1
	scratch_store_b64 off, v[0:1], s32 offset:192
	scratch_store_b64 off, v[2:3], s32 offset:484
.LBB228_312:                            ;   in Loop: Header=BB228_10 Depth=1
	s_wait_xcnt 0x0
	s_or_b32 exec_lo, exec_lo, s11
.LBB228_313:                            ;   in Loop: Header=BB228_10 Depth=1
	s_delay_alu instid0(SALU_CYCLE_1)
	s_or_b32 exec_lo, exec_lo, s9
.LBB228_314:                            ;   in Loop: Header=BB228_10 Depth=1
	s_delay_alu instid0(SALU_CYCLE_1) | instskip(SKIP_3) | instid1(VALU_DEP_1)
	s_or_b32 exec_lo, exec_lo, s8
	v_mov_b64_e32 v[4:5], 0
	v_lshrrev_b32_e32 v1, 16, v0
	s_mov_b32 s8, exec_lo
	v_and_b32_e32 v2, 0xff, v1
	scratch_store_b64 off, v[4:5], s32 offset:500 ; 8-byte Folded Spill
	s_wait_xcnt 0x0
	v_mov_b64_e32 v[4:5], 0
	scratch_store_b64 off, v[4:5], s32 offset:508 ; 8-byte Folded Spill
	s_wait_xcnt 0x0
	v_cmpx_ne_u16_e32 0, v2
	s_cbranch_execz .LBB228_322
; %bb.315:                              ;   in Loop: Header=BB228_10 Depth=1
	v_cmp_ne_u16_e64 s1, 0x80, v2
	v_mov_b64_e32 v[2:3], 0x80000000
	scratch_store_b64 off, v[2:3], s32 offset:508 ; 8-byte Folded Spill
	s_wait_xcnt 0x0
	s_and_saveexec_b32 s9, s1
	s_cbranch_execz .LBB228_321
; %bb.316:                              ;   in Loop: Header=BB228_10 Depth=1
	v_mov_b64_e32 v[4:5], 0x7f800001
	v_bfe_u32 v3, v0, 16, 7
	s_mov_b32 s11, exec_lo
	scratch_store_b64 off, v[4:5], s32 offset:508 ; 8-byte Folded Spill
	s_wait_xcnt 0x0
	v_cmpx_ne_u32_e32 0x7f, v3
	s_cbranch_execz .LBB228_320
; %bb.317:                              ;   in Loop: Header=BB228_10 Depth=1
	scratch_load_b64 v[6:7], off, s32 offset:192 th:TH_LOAD_LU ; 8-byte Folded Reload
	s_wait_loadcnt 0x0
	v_dual_lshrrev_b32 v2, 3, v3 :: v_dual_bitop2_b32 v6, 7, v1 bitop3:0x40
	s_mov_b32 s16, exec_lo
	s_wait_xcnt 0x0
	v_cmpx_gt_u32_e32 8, v3
; %bb.318:                              ;   in Loop: Header=BB228_10 Depth=1
	s_delay_alu instid0(VALU_DEP_2) | instskip(NEXT) | instid1(VALU_DEP_1)
	v_clz_i32_u32_e32 v2, v6
	v_min_u32_e32 v2, 32, v2
	s_delay_alu instid0(VALU_DEP_1) | instskip(NEXT) | instid1(VALU_DEP_1)
	v_subrev_nc_u32_e32 v3, 28, v2
	v_lshlrev_b64_e32 v[4:5], v3, v[6:7]
	s_delay_alu instid0(VALU_DEP_1)
	v_dual_sub_nc_u32 v2, 29, v2 :: v_dual_bitop2_b32 v6, 7, v4 bitop3:0x40
; %bb.319:                              ;   in Loop: Header=BB228_10 Depth=1
	s_or_b32 exec_lo, exec_lo, s16
	s_delay_alu instid0(VALU_DEP_1) | instskip(NEXT) | instid1(VALU_DEP_2)
	v_dual_lshlrev_b32 v1, 24, v1 :: v_dual_lshlrev_b32 v3, 20, v6
	v_lshl_add_u32 v2, v2, 23, 0x3c000000
	s_delay_alu instid0(VALU_DEP_2) | instskip(NEXT) | instid1(VALU_DEP_1)
	v_and_b32_e32 v1, 0x80000000, v1
	v_or3_b32 v6, v3, v1, v2
	v_mov_b32_e32 v1, v7
	s_clause 0x1
	scratch_store_b64 off, v[0:1], s32 offset:192
	scratch_store_b64 off, v[6:7], s32 offset:508
.LBB228_320:                            ;   in Loop: Header=BB228_10 Depth=1
	s_wait_xcnt 0x0
	s_or_b32 exec_lo, exec_lo, s11
.LBB228_321:                            ;   in Loop: Header=BB228_10 Depth=1
	s_delay_alu instid0(SALU_CYCLE_1)
	s_or_b32 exec_lo, exec_lo, s9
.LBB228_322:                            ;   in Loop: Header=BB228_10 Depth=1
	s_delay_alu instid0(SALU_CYCLE_1) | instskip(NEXT) | instid1(SALU_CYCLE_1)
	s_or_b32 exec_lo, exec_lo, s8
	s_mov_b32 s8, exec_lo
	v_cmpx_lt_u32_e32 0xffffff, v0
	s_cbranch_execz .LBB228_330
; %bb.323:                              ;   in Loop: Header=BB228_10 Depth=1
	v_mov_b64_e32 v[2:3], 0x8000000000000000
	v_lshrrev_b32_e32 v1, 24, v0
	s_mov_b32 s9, exec_lo
	scratch_store_b64 off, v[2:3], s32 offset:500 ; 8-byte Folded Spill
	s_wait_xcnt 0x0
	v_cmpx_ne_u32_e32 0x80, v1
	s_cbranch_execz .LBB228_329
; %bb.324:                              ;   in Loop: Header=BB228_10 Depth=1
	v_mov_b64_e32 v[4:5], 0x7f80000100000000
	v_bfe_u32 v2, v0, 24, 7
	s_mov_b32 s11, exec_lo
	scratch_store_b64 off, v[4:5], s32 offset:500 ; 8-byte Folded Spill
	s_wait_xcnt 0x0
	v_cmpx_ne_u32_e32 0x7f, v2
	s_cbranch_execz .LBB228_328
; %bb.325:                              ;   in Loop: Header=BB228_10 Depth=1
	scratch_load_b64 v[4:5], off, s32 offset:192 th:TH_LOAD_LU ; 8-byte Folded Reload
	s_wait_loadcnt 0x0
	v_dual_lshrrev_b32 v0, 3, v2 :: v_dual_bitop2_b32 v4, 7, v1 bitop3:0x40
	s_mov_b32 s16, exec_lo
	s_wait_xcnt 0x0
	v_cmpx_gt_u32_e32 8, v2
; %bb.326:                              ;   in Loop: Header=BB228_10 Depth=1
	s_delay_alu instid0(VALU_DEP_2) | instskip(NEXT) | instid1(VALU_DEP_1)
	v_clz_i32_u32_e32 v0, v4
	v_min_u32_e32 v0, 32, v0
	s_delay_alu instid0(VALU_DEP_1) | instskip(NEXT) | instid1(VALU_DEP_1)
	v_subrev_nc_u32_e32 v2, 28, v0
	v_lshlrev_b64_e32 v[2:3], v2, v[4:5]
	s_delay_alu instid0(VALU_DEP_1)
	v_dual_sub_nc_u32 v0, 29, v0 :: v_dual_bitop2_b32 v4, 7, v2 bitop3:0x40
; %bb.327:                              ;   in Loop: Header=BB228_10 Depth=1
	s_or_b32 exec_lo, exec_lo, s16
	s_delay_alu instid0(VALU_DEP_1) | instskip(NEXT) | instid1(VALU_DEP_2)
	v_dual_lshlrev_b32 v1, 24, v1 :: v_dual_lshlrev_b32 v2, 20, v4
	v_lshl_add_u32 v0, v0, 23, 0x3c000000
	s_delay_alu instid0(VALU_DEP_2) | instskip(NEXT) | instid1(VALU_DEP_1)
	v_and_b32_e32 v1, 0x80000000, v1
	v_or3_b32 v3, v2, v1, v0
	v_dual_mov_b32 v1, v5 :: v_dual_mov_b32 v2, v5
	s_clause 0x1
	scratch_store_b64 off, v[0:1], s32 offset:192
	scratch_store_b64 off, v[2:3], s32 offset:500
.LBB228_328:                            ;   in Loop: Header=BB228_10 Depth=1
	s_wait_xcnt 0x0
	s_or_b32 exec_lo, exec_lo, s11
.LBB228_329:                            ;   in Loop: Header=BB228_10 Depth=1
	s_delay_alu instid0(SALU_CYCLE_1)
	s_or_b32 exec_lo, exec_lo, s9
.LBB228_330:                            ;   in Loop: Header=BB228_10 Depth=1
	s_delay_alu instid0(SALU_CYCLE_1)
	s_or_b32 exec_lo, exec_lo, s8
	flat_load_b32 v0, v[48:49] offset:1032
	v_mov_b64_e32 v[2:3], 0
	s_mov_b32 s8, exec_lo
	scratch_store_b64 off, v[2:3], s32 offset:516 ; 8-byte Folded Spill
	s_wait_xcnt 0x0
	v_mov_b64_e32 v[2:3], 0
	scratch_store_b64 off, v[2:3], s32 offset:524 ; 8-byte Folded Spill
	s_wait_loadcnt_dscnt 0x0
	v_and_b32_e32 v1, 0xff, v0
	s_wait_xcnt 0x0
	s_delay_alu instid0(VALU_DEP_1)
	v_cmpx_ne_u16_e32 0, v1
	s_cbranch_execz .LBB228_338
; %bb.331:                              ;   in Loop: Header=BB228_10 Depth=1
	v_mov_b64_e32 v[2:3], 0x80000000
	s_mov_b32 s9, exec_lo
	scratch_store_b64 off, v[2:3], s32 offset:524 ; 8-byte Folded Spill
	s_wait_xcnt 0x0
	v_cmpx_ne_u16_e32 0x80, v1
	s_cbranch_execz .LBB228_337
; %bb.332:                              ;   in Loop: Header=BB228_10 Depth=1
	v_mov_b64_e32 v[4:5], 0x7f800001
	v_and_b32_e32 v2, 0x7f, v0
	s_mov_b32 s11, exec_lo
	scratch_store_b64 off, v[4:5], s32 offset:524 ; 8-byte Folded Spill
	s_wait_xcnt 0x0
	v_cmpx_ne_u32_e32 0x7f, v2
	s_cbranch_execz .LBB228_336
; %bb.333:                              ;   in Loop: Header=BB228_10 Depth=1
	scratch_load_b64 v[4:5], off, s32 offset:192 th:TH_LOAD_LU ; 8-byte Folded Reload
	s_wait_loadcnt 0x0
	v_dual_lshrrev_b32 v1, 3, v2 :: v_dual_bitop2_b32 v4, 7, v0 bitop3:0x40
	s_mov_b32 s16, exec_lo
	s_wait_xcnt 0x0
	v_cmpx_gt_u32_e32 8, v2
; %bb.334:                              ;   in Loop: Header=BB228_10 Depth=1
	s_delay_alu instid0(VALU_DEP_2) | instskip(NEXT) | instid1(VALU_DEP_1)
	v_clz_i32_u32_e32 v1, v4
	v_min_u32_e32 v1, 32, v1
	s_delay_alu instid0(VALU_DEP_1) | instskip(NEXT) | instid1(VALU_DEP_1)
	v_subrev_nc_u32_e32 v2, 28, v1
	v_lshlrev_b64_e32 v[2:3], v2, v[4:5]
	s_delay_alu instid0(VALU_DEP_1)
	v_dual_sub_nc_u32 v1, 29, v1 :: v_dual_bitop2_b32 v4, 7, v2 bitop3:0x40
; %bb.335:                              ;   in Loop: Header=BB228_10 Depth=1
	s_or_b32 exec_lo, exec_lo, s16
	v_lshlrev_b32_e32 v2, 24, v0
	s_delay_alu instid0(VALU_DEP_2) | instskip(NEXT) | instid1(VALU_DEP_3)
	v_lshlrev_b32_e32 v3, 20, v4
	v_lshl_add_u32 v1, v1, 23, 0x3c000000
	s_delay_alu instid0(VALU_DEP_3) | instskip(NEXT) | instid1(VALU_DEP_1)
	v_and_b32_e32 v2, 0x80000000, v2
	v_or3_b32 v4, v3, v2, v1
	v_mov_b32_e32 v1, v5
	s_clause 0x1
	scratch_store_b64 off, v[0:1], s32 offset:192
	scratch_store_b64 off, v[4:5], s32 offset:524
.LBB228_336:                            ;   in Loop: Header=BB228_10 Depth=1
	s_wait_xcnt 0x0
	s_or_b32 exec_lo, exec_lo, s11
.LBB228_337:                            ;   in Loop: Header=BB228_10 Depth=1
	s_delay_alu instid0(SALU_CYCLE_1)
	s_or_b32 exec_lo, exec_lo, s9
.LBB228_338:                            ;   in Loop: Header=BB228_10 Depth=1
	s_delay_alu instid0(SALU_CYCLE_1) | instskip(SKIP_2) | instid1(VALU_DEP_1)
	s_or_b32 exec_lo, exec_lo, s8
	v_lshrrev_b16 v1, 8, v0
	s_mov_b32 s8, exec_lo
	v_cmpx_ne_u16_e32 0, v1
	s_cbranch_execz .LBB228_346
; %bb.339:                              ;   in Loop: Header=BB228_10 Depth=1
	v_mov_b64_e32 v[2:3], 0x8000000000000000
	s_mov_b32 s9, exec_lo
	scratch_store_b64 off, v[2:3], s32 offset:516 ; 8-byte Folded Spill
	s_wait_xcnt 0x0
	v_cmpx_ne_u16_e32 0x80, v1
	s_cbranch_execz .LBB228_345
; %bb.340:                              ;   in Loop: Header=BB228_10 Depth=1
	v_and_b32_e32 v1, 0xffff, v1
	v_mov_b64_e32 v[4:5], 0x7f80000100000000
	s_mov_b32 s11, exec_lo
	s_delay_alu instid0(VALU_DEP_2)
	v_and_b32_e32 v2, 0x7f, v1
	scratch_store_b64 off, v[4:5], s32 offset:516 ; 8-byte Folded Spill
	s_wait_xcnt 0x0
	v_cmpx_ne_u32_e32 0x7f, v2
	s_cbranch_execz .LBB228_344
; %bb.341:                              ;   in Loop: Header=BB228_10 Depth=1
	scratch_load_b64 v[4:5], off, s32 offset:192 th:TH_LOAD_LU ; 8-byte Folded Reload
	s_wait_loadcnt 0x0
	v_dual_lshrrev_b32 v1, 3, v2 :: v_dual_bitop2_b32 v4, 7, v1 bitop3:0x40
	s_mov_b32 s16, exec_lo
	s_wait_xcnt 0x0
	v_cmpx_gt_u32_e32 8, v2
; %bb.342:                              ;   in Loop: Header=BB228_10 Depth=1
	s_delay_alu instid0(VALU_DEP_2) | instskip(NEXT) | instid1(VALU_DEP_1)
	v_clz_i32_u32_e32 v1, v4
	v_min_u32_e32 v1, 32, v1
	s_delay_alu instid0(VALU_DEP_1) | instskip(NEXT) | instid1(VALU_DEP_1)
	v_subrev_nc_u32_e32 v2, 28, v1
	v_lshlrev_b64_e32 v[2:3], v2, v[4:5]
	s_delay_alu instid0(VALU_DEP_1)
	v_dual_sub_nc_u32 v1, 29, v1 :: v_dual_bitop2_b32 v4, 7, v2 bitop3:0x40
; %bb.343:                              ;   in Loop: Header=BB228_10 Depth=1
	s_or_b32 exec_lo, exec_lo, s16
	v_lshlrev_b32_e32 v2, 16, v0
	s_delay_alu instid0(VALU_DEP_2) | instskip(NEXT) | instid1(VALU_DEP_3)
	v_lshlrev_b32_e32 v3, 20, v4
	v_lshl_add_u32 v1, v1, 23, 0x3c000000
	s_delay_alu instid0(VALU_DEP_3) | instskip(NEXT) | instid1(VALU_DEP_1)
	v_and_b32_e32 v2, 0x80000000, v2
	v_or3_b32 v3, v3, v2, v1
	v_dual_mov_b32 v1, v5 :: v_dual_mov_b32 v2, v5
	s_clause 0x1
	scratch_store_b64 off, v[0:1], s32 offset:192
	scratch_store_b64 off, v[2:3], s32 offset:516
.LBB228_344:                            ;   in Loop: Header=BB228_10 Depth=1
	s_wait_xcnt 0x0
	s_or_b32 exec_lo, exec_lo, s11
.LBB228_345:                            ;   in Loop: Header=BB228_10 Depth=1
	s_delay_alu instid0(SALU_CYCLE_1)
	s_or_b32 exec_lo, exec_lo, s9
.LBB228_346:                            ;   in Loop: Header=BB228_10 Depth=1
	s_delay_alu instid0(SALU_CYCLE_1) | instskip(SKIP_3) | instid1(VALU_DEP_1)
	s_or_b32 exec_lo, exec_lo, s8
	v_mov_b64_e32 v[4:5], 0
	v_lshrrev_b32_e32 v1, 16, v0
	s_mov_b32 s8, exec_lo
	v_and_b32_e32 v2, 0xff, v1
	scratch_store_b64 off, v[4:5], s32 offset:532 ; 8-byte Folded Spill
	s_wait_xcnt 0x0
	v_mov_b64_e32 v[4:5], 0
	scratch_store_b64 off, v[4:5], s32 offset:540 ; 8-byte Folded Spill
	s_wait_xcnt 0x0
	v_cmpx_ne_u16_e32 0, v2
	s_cbranch_execz .LBB228_354
; %bb.347:                              ;   in Loop: Header=BB228_10 Depth=1
	v_cmp_ne_u16_e64 s1, 0x80, v2
	v_mov_b64_e32 v[2:3], 0x80000000
	scratch_store_b64 off, v[2:3], s32 offset:540 ; 8-byte Folded Spill
	s_wait_xcnt 0x0
	s_and_saveexec_b32 s9, s1
	s_cbranch_execz .LBB228_353
; %bb.348:                              ;   in Loop: Header=BB228_10 Depth=1
	v_mov_b64_e32 v[4:5], 0x7f800001
	v_bfe_u32 v3, v0, 16, 7
	s_mov_b32 s11, exec_lo
	scratch_store_b64 off, v[4:5], s32 offset:540 ; 8-byte Folded Spill
	s_wait_xcnt 0x0
	v_cmpx_ne_u32_e32 0x7f, v3
	s_cbranch_execz .LBB228_352
; %bb.349:                              ;   in Loop: Header=BB228_10 Depth=1
	scratch_load_b64 v[6:7], off, s32 offset:192 th:TH_LOAD_LU ; 8-byte Folded Reload
	s_wait_loadcnt 0x0
	v_dual_lshrrev_b32 v2, 3, v3 :: v_dual_bitop2_b32 v6, 7, v1 bitop3:0x40
	s_mov_b32 s16, exec_lo
	s_wait_xcnt 0x0
	v_cmpx_gt_u32_e32 8, v3
; %bb.350:                              ;   in Loop: Header=BB228_10 Depth=1
	s_delay_alu instid0(VALU_DEP_2) | instskip(NEXT) | instid1(VALU_DEP_1)
	v_clz_i32_u32_e32 v2, v6
	v_min_u32_e32 v2, 32, v2
	s_delay_alu instid0(VALU_DEP_1) | instskip(NEXT) | instid1(VALU_DEP_1)
	v_subrev_nc_u32_e32 v3, 28, v2
	v_lshlrev_b64_e32 v[4:5], v3, v[6:7]
	s_delay_alu instid0(VALU_DEP_1)
	v_dual_sub_nc_u32 v2, 29, v2 :: v_dual_bitop2_b32 v6, 7, v4 bitop3:0x40
; %bb.351:                              ;   in Loop: Header=BB228_10 Depth=1
	s_or_b32 exec_lo, exec_lo, s16
	s_delay_alu instid0(VALU_DEP_1) | instskip(NEXT) | instid1(VALU_DEP_2)
	v_dual_lshlrev_b32 v1, 24, v1 :: v_dual_lshlrev_b32 v3, 20, v6
	v_lshl_add_u32 v2, v2, 23, 0x3c000000
	s_delay_alu instid0(VALU_DEP_2) | instskip(NEXT) | instid1(VALU_DEP_1)
	v_and_b32_e32 v1, 0x80000000, v1
	v_or3_b32 v6, v3, v1, v2
	v_mov_b32_e32 v1, v7
	s_clause 0x1
	scratch_store_b64 off, v[0:1], s32 offset:192
	scratch_store_b64 off, v[6:7], s32 offset:540
.LBB228_352:                            ;   in Loop: Header=BB228_10 Depth=1
	s_wait_xcnt 0x0
	s_or_b32 exec_lo, exec_lo, s11
.LBB228_353:                            ;   in Loop: Header=BB228_10 Depth=1
	s_delay_alu instid0(SALU_CYCLE_1)
	s_or_b32 exec_lo, exec_lo, s9
.LBB228_354:                            ;   in Loop: Header=BB228_10 Depth=1
	s_delay_alu instid0(SALU_CYCLE_1) | instskip(NEXT) | instid1(SALU_CYCLE_1)
	s_or_b32 exec_lo, exec_lo, s8
	s_mov_b32 s8, exec_lo
	v_cmpx_lt_u32_e32 0xffffff, v0
	s_cbranch_execz .LBB228_362
; %bb.355:                              ;   in Loop: Header=BB228_10 Depth=1
	v_mov_b64_e32 v[2:3], 0x8000000000000000
	v_lshrrev_b32_e32 v1, 24, v0
	s_mov_b32 s9, exec_lo
	scratch_store_b64 off, v[2:3], s32 offset:532 ; 8-byte Folded Spill
	s_wait_xcnt 0x0
	v_cmpx_ne_u32_e32 0x80, v1
	s_cbranch_execz .LBB228_361
; %bb.356:                              ;   in Loop: Header=BB228_10 Depth=1
	v_mov_b64_e32 v[4:5], 0x7f80000100000000
	v_bfe_u32 v2, v0, 24, 7
	s_mov_b32 s11, exec_lo
	scratch_store_b64 off, v[4:5], s32 offset:532 ; 8-byte Folded Spill
	s_wait_xcnt 0x0
	v_cmpx_ne_u32_e32 0x7f, v2
	s_cbranch_execz .LBB228_360
; %bb.357:                              ;   in Loop: Header=BB228_10 Depth=1
	scratch_load_b64 v[4:5], off, s32 offset:192 th:TH_LOAD_LU ; 8-byte Folded Reload
	s_wait_loadcnt 0x0
	v_dual_lshrrev_b32 v0, 3, v2 :: v_dual_bitop2_b32 v4, 7, v1 bitop3:0x40
	s_mov_b32 s16, exec_lo
	s_wait_xcnt 0x0
	v_cmpx_gt_u32_e32 8, v2
; %bb.358:                              ;   in Loop: Header=BB228_10 Depth=1
	s_delay_alu instid0(VALU_DEP_2) | instskip(NEXT) | instid1(VALU_DEP_1)
	v_clz_i32_u32_e32 v0, v4
	v_min_u32_e32 v0, 32, v0
	s_delay_alu instid0(VALU_DEP_1) | instskip(NEXT) | instid1(VALU_DEP_1)
	v_subrev_nc_u32_e32 v2, 28, v0
	v_lshlrev_b64_e32 v[2:3], v2, v[4:5]
	s_delay_alu instid0(VALU_DEP_1)
	v_dual_sub_nc_u32 v0, 29, v0 :: v_dual_bitop2_b32 v4, 7, v2 bitop3:0x40
; %bb.359:                              ;   in Loop: Header=BB228_10 Depth=1
	s_or_b32 exec_lo, exec_lo, s16
	s_delay_alu instid0(VALU_DEP_1) | instskip(NEXT) | instid1(VALU_DEP_2)
	v_dual_lshlrev_b32 v1, 24, v1 :: v_dual_lshlrev_b32 v2, 20, v4
	v_lshl_add_u32 v0, v0, 23, 0x3c000000
	s_delay_alu instid0(VALU_DEP_2) | instskip(NEXT) | instid1(VALU_DEP_1)
	v_and_b32_e32 v1, 0x80000000, v1
	v_or3_b32 v3, v2, v1, v0
	v_dual_mov_b32 v1, v5 :: v_dual_mov_b32 v2, v5
	s_clause 0x1
	scratch_store_b64 off, v[0:1], s32 offset:192
	scratch_store_b64 off, v[2:3], s32 offset:532
.LBB228_360:                            ;   in Loop: Header=BB228_10 Depth=1
	s_wait_xcnt 0x0
	s_or_b32 exec_lo, exec_lo, s11
.LBB228_361:                            ;   in Loop: Header=BB228_10 Depth=1
	s_delay_alu instid0(SALU_CYCLE_1)
	s_or_b32 exec_lo, exec_lo, s9
.LBB228_362:                            ;   in Loop: Header=BB228_10 Depth=1
	s_delay_alu instid0(SALU_CYCLE_1)
	s_or_b32 exec_lo, exec_lo, s8
	flat_load_b32 v0, v[48:49] offset:1036
	v_mov_b64_e32 v[2:3], 0
	s_mov_b32 s8, exec_lo
	scratch_store_b64 off, v[2:3], s32 offset:548 ; 8-byte Folded Spill
	s_wait_xcnt 0x0
	v_mov_b64_e32 v[2:3], 0
	scratch_store_b64 off, v[2:3], s32 offset:556 ; 8-byte Folded Spill
	s_wait_loadcnt_dscnt 0x0
	v_and_b32_e32 v1, 0xff, v0
	s_wait_xcnt 0x0
	s_delay_alu instid0(VALU_DEP_1)
	v_cmpx_ne_u16_e32 0, v1
	s_cbranch_execz .LBB228_370
; %bb.363:                              ;   in Loop: Header=BB228_10 Depth=1
	v_mov_b64_e32 v[2:3], 0x80000000
	s_mov_b32 s9, exec_lo
	scratch_store_b64 off, v[2:3], s32 offset:556 ; 8-byte Folded Spill
	s_wait_xcnt 0x0
	v_cmpx_ne_u16_e32 0x80, v1
	s_cbranch_execz .LBB228_369
; %bb.364:                              ;   in Loop: Header=BB228_10 Depth=1
	v_mov_b64_e32 v[4:5], 0x7f800001
	v_and_b32_e32 v2, 0x7f, v0
	s_mov_b32 s11, exec_lo
	scratch_store_b64 off, v[4:5], s32 offset:556 ; 8-byte Folded Spill
	s_wait_xcnt 0x0
	v_cmpx_ne_u32_e32 0x7f, v2
	s_cbranch_execz .LBB228_368
; %bb.365:                              ;   in Loop: Header=BB228_10 Depth=1
	scratch_load_b64 v[4:5], off, s32 offset:192 th:TH_LOAD_LU ; 8-byte Folded Reload
	s_wait_loadcnt 0x0
	v_dual_lshrrev_b32 v1, 3, v2 :: v_dual_bitop2_b32 v4, 7, v0 bitop3:0x40
	s_mov_b32 s16, exec_lo
	s_wait_xcnt 0x0
	v_cmpx_gt_u32_e32 8, v2
; %bb.366:                              ;   in Loop: Header=BB228_10 Depth=1
	s_delay_alu instid0(VALU_DEP_2) | instskip(NEXT) | instid1(VALU_DEP_1)
	v_clz_i32_u32_e32 v1, v4
	v_min_u32_e32 v1, 32, v1
	s_delay_alu instid0(VALU_DEP_1) | instskip(NEXT) | instid1(VALU_DEP_1)
	v_subrev_nc_u32_e32 v2, 28, v1
	v_lshlrev_b64_e32 v[2:3], v2, v[4:5]
	s_delay_alu instid0(VALU_DEP_1)
	v_dual_sub_nc_u32 v1, 29, v1 :: v_dual_bitop2_b32 v4, 7, v2 bitop3:0x40
; %bb.367:                              ;   in Loop: Header=BB228_10 Depth=1
	s_or_b32 exec_lo, exec_lo, s16
	v_lshlrev_b32_e32 v2, 24, v0
	s_delay_alu instid0(VALU_DEP_2) | instskip(NEXT) | instid1(VALU_DEP_3)
	v_lshlrev_b32_e32 v3, 20, v4
	v_lshl_add_u32 v1, v1, 23, 0x3c000000
	s_delay_alu instid0(VALU_DEP_3) | instskip(NEXT) | instid1(VALU_DEP_1)
	v_and_b32_e32 v2, 0x80000000, v2
	v_or3_b32 v4, v3, v2, v1
	v_mov_b32_e32 v1, v5
	s_clause 0x1
	scratch_store_b64 off, v[0:1], s32 offset:192
	scratch_store_b64 off, v[4:5], s32 offset:556
.LBB228_368:                            ;   in Loop: Header=BB228_10 Depth=1
	s_wait_xcnt 0x0
	s_or_b32 exec_lo, exec_lo, s11
.LBB228_369:                            ;   in Loop: Header=BB228_10 Depth=1
	s_delay_alu instid0(SALU_CYCLE_1)
	s_or_b32 exec_lo, exec_lo, s9
.LBB228_370:                            ;   in Loop: Header=BB228_10 Depth=1
	s_delay_alu instid0(SALU_CYCLE_1) | instskip(SKIP_2) | instid1(VALU_DEP_1)
	s_or_b32 exec_lo, exec_lo, s8
	v_lshrrev_b16 v1, 8, v0
	s_mov_b32 s8, exec_lo
	v_cmpx_ne_u16_e32 0, v1
	s_cbranch_execz .LBB228_378
; %bb.371:                              ;   in Loop: Header=BB228_10 Depth=1
	v_mov_b64_e32 v[2:3], 0x8000000000000000
	s_mov_b32 s9, exec_lo
	scratch_store_b64 off, v[2:3], s32 offset:548 ; 8-byte Folded Spill
	s_wait_xcnt 0x0
	v_cmpx_ne_u16_e32 0x80, v1
	s_cbranch_execz .LBB228_377
; %bb.372:                              ;   in Loop: Header=BB228_10 Depth=1
	v_and_b32_e32 v1, 0xffff, v1
	v_mov_b64_e32 v[4:5], 0x7f80000100000000
	s_mov_b32 s11, exec_lo
	s_delay_alu instid0(VALU_DEP_2)
	v_and_b32_e32 v2, 0x7f, v1
	scratch_store_b64 off, v[4:5], s32 offset:548 ; 8-byte Folded Spill
	s_wait_xcnt 0x0
	v_cmpx_ne_u32_e32 0x7f, v2
	s_cbranch_execz .LBB228_376
; %bb.373:                              ;   in Loop: Header=BB228_10 Depth=1
	scratch_load_b64 v[4:5], off, s32 offset:192 th:TH_LOAD_LU ; 8-byte Folded Reload
	s_wait_loadcnt 0x0
	v_dual_lshrrev_b32 v1, 3, v2 :: v_dual_bitop2_b32 v4, 7, v1 bitop3:0x40
	s_mov_b32 s16, exec_lo
	s_wait_xcnt 0x0
	v_cmpx_gt_u32_e32 8, v2
; %bb.374:                              ;   in Loop: Header=BB228_10 Depth=1
	s_delay_alu instid0(VALU_DEP_2) | instskip(NEXT) | instid1(VALU_DEP_1)
	v_clz_i32_u32_e32 v1, v4
	v_min_u32_e32 v1, 32, v1
	s_delay_alu instid0(VALU_DEP_1) | instskip(NEXT) | instid1(VALU_DEP_1)
	v_subrev_nc_u32_e32 v2, 28, v1
	v_lshlrev_b64_e32 v[2:3], v2, v[4:5]
	s_delay_alu instid0(VALU_DEP_1)
	v_dual_sub_nc_u32 v1, 29, v1 :: v_dual_bitop2_b32 v4, 7, v2 bitop3:0x40
; %bb.375:                              ;   in Loop: Header=BB228_10 Depth=1
	s_or_b32 exec_lo, exec_lo, s16
	v_lshlrev_b32_e32 v2, 16, v0
	s_delay_alu instid0(VALU_DEP_2) | instskip(NEXT) | instid1(VALU_DEP_3)
	v_lshlrev_b32_e32 v3, 20, v4
	v_lshl_add_u32 v1, v1, 23, 0x3c000000
	s_delay_alu instid0(VALU_DEP_3) | instskip(NEXT) | instid1(VALU_DEP_1)
	v_and_b32_e32 v2, 0x80000000, v2
	v_or3_b32 v3, v3, v2, v1
	v_dual_mov_b32 v1, v5 :: v_dual_mov_b32 v2, v5
	s_clause 0x1
	scratch_store_b64 off, v[0:1], s32 offset:192
	scratch_store_b64 off, v[2:3], s32 offset:548
.LBB228_376:                            ;   in Loop: Header=BB228_10 Depth=1
	s_wait_xcnt 0x0
	s_or_b32 exec_lo, exec_lo, s11
.LBB228_377:                            ;   in Loop: Header=BB228_10 Depth=1
	s_delay_alu instid0(SALU_CYCLE_1)
	s_or_b32 exec_lo, exec_lo, s9
.LBB228_378:                            ;   in Loop: Header=BB228_10 Depth=1
	s_delay_alu instid0(SALU_CYCLE_1) | instskip(SKIP_3) | instid1(VALU_DEP_1)
	s_or_b32 exec_lo, exec_lo, s8
	v_mov_b64_e32 v[4:5], 0
	v_lshrrev_b32_e32 v1, 16, v0
	s_mov_b32 s8, exec_lo
	v_and_b32_e32 v2, 0xff, v1
	scratch_store_b64 off, v[4:5], s32 offset:564 ; 8-byte Folded Spill
	s_wait_xcnt 0x0
	v_mov_b64_e32 v[4:5], 0
	scratch_store_b64 off, v[4:5], s32 offset:572 ; 8-byte Folded Spill
	s_wait_xcnt 0x0
	v_cmpx_ne_u16_e32 0, v2
	s_cbranch_execz .LBB228_386
; %bb.379:                              ;   in Loop: Header=BB228_10 Depth=1
	v_cmp_ne_u16_e64 s1, 0x80, v2
	v_mov_b64_e32 v[2:3], 0x80000000
	scratch_store_b64 off, v[2:3], s32 offset:572 ; 8-byte Folded Spill
	s_wait_xcnt 0x0
	s_and_saveexec_b32 s9, s1
	s_cbranch_execz .LBB228_385
; %bb.380:                              ;   in Loop: Header=BB228_10 Depth=1
	v_mov_b64_e32 v[4:5], 0x7f800001
	v_bfe_u32 v3, v0, 16, 7
	s_mov_b32 s11, exec_lo
	scratch_store_b64 off, v[4:5], s32 offset:572 ; 8-byte Folded Spill
	s_wait_xcnt 0x0
	v_cmpx_ne_u32_e32 0x7f, v3
	s_cbranch_execz .LBB228_384
; %bb.381:                              ;   in Loop: Header=BB228_10 Depth=1
	scratch_load_b64 v[6:7], off, s32 offset:192 th:TH_LOAD_LU ; 8-byte Folded Reload
	s_wait_loadcnt 0x0
	v_dual_lshrrev_b32 v2, 3, v3 :: v_dual_bitop2_b32 v6, 7, v1 bitop3:0x40
	s_mov_b32 s16, exec_lo
	s_wait_xcnt 0x0
	v_cmpx_gt_u32_e32 8, v3
; %bb.382:                              ;   in Loop: Header=BB228_10 Depth=1
	s_delay_alu instid0(VALU_DEP_2) | instskip(NEXT) | instid1(VALU_DEP_1)
	v_clz_i32_u32_e32 v2, v6
	v_min_u32_e32 v2, 32, v2
	s_delay_alu instid0(VALU_DEP_1) | instskip(NEXT) | instid1(VALU_DEP_1)
	v_subrev_nc_u32_e32 v3, 28, v2
	v_lshlrev_b64_e32 v[4:5], v3, v[6:7]
	s_delay_alu instid0(VALU_DEP_1)
	v_dual_sub_nc_u32 v2, 29, v2 :: v_dual_bitop2_b32 v6, 7, v4 bitop3:0x40
; %bb.383:                              ;   in Loop: Header=BB228_10 Depth=1
	s_or_b32 exec_lo, exec_lo, s16
	s_delay_alu instid0(VALU_DEP_1) | instskip(NEXT) | instid1(VALU_DEP_2)
	v_dual_lshlrev_b32 v1, 24, v1 :: v_dual_lshlrev_b32 v3, 20, v6
	v_lshl_add_u32 v2, v2, 23, 0x3c000000
	s_delay_alu instid0(VALU_DEP_2) | instskip(NEXT) | instid1(VALU_DEP_1)
	v_and_b32_e32 v1, 0x80000000, v1
	v_or3_b32 v6, v3, v1, v2
	v_mov_b32_e32 v1, v7
	s_clause 0x1
	scratch_store_b64 off, v[0:1], s32 offset:192
	scratch_store_b64 off, v[6:7], s32 offset:572
.LBB228_384:                            ;   in Loop: Header=BB228_10 Depth=1
	s_wait_xcnt 0x0
	s_or_b32 exec_lo, exec_lo, s11
.LBB228_385:                            ;   in Loop: Header=BB228_10 Depth=1
	s_delay_alu instid0(SALU_CYCLE_1)
	s_or_b32 exec_lo, exec_lo, s9
.LBB228_386:                            ;   in Loop: Header=BB228_10 Depth=1
	s_delay_alu instid0(SALU_CYCLE_1) | instskip(NEXT) | instid1(SALU_CYCLE_1)
	s_or_b32 exec_lo, exec_lo, s8
	s_mov_b32 s8, exec_lo
	v_cmpx_lt_u32_e32 0xffffff, v0
	s_cbranch_execz .LBB228_394
; %bb.387:                              ;   in Loop: Header=BB228_10 Depth=1
	v_mov_b64_e32 v[2:3], 0x8000000000000000
	v_lshrrev_b32_e32 v1, 24, v0
	s_mov_b32 s9, exec_lo
	scratch_store_b64 off, v[2:3], s32 offset:564 ; 8-byte Folded Spill
	s_wait_xcnt 0x0
	v_cmpx_ne_u32_e32 0x80, v1
	s_cbranch_execz .LBB228_393
; %bb.388:                              ;   in Loop: Header=BB228_10 Depth=1
	v_mov_b64_e32 v[4:5], 0x7f80000100000000
	v_bfe_u32 v2, v0, 24, 7
	s_mov_b32 s11, exec_lo
	scratch_store_b64 off, v[4:5], s32 offset:564 ; 8-byte Folded Spill
	s_wait_xcnt 0x0
	v_cmpx_ne_u32_e32 0x7f, v2
	s_cbranch_execz .LBB228_392
; %bb.389:                              ;   in Loop: Header=BB228_10 Depth=1
	scratch_load_b64 v[4:5], off, s32 offset:192 th:TH_LOAD_LU ; 8-byte Folded Reload
	s_wait_loadcnt 0x0
	v_dual_lshrrev_b32 v0, 3, v2 :: v_dual_bitop2_b32 v4, 7, v1 bitop3:0x40
	s_mov_b32 s16, exec_lo
	s_wait_xcnt 0x0
	v_cmpx_gt_u32_e32 8, v2
; %bb.390:                              ;   in Loop: Header=BB228_10 Depth=1
	s_delay_alu instid0(VALU_DEP_2) | instskip(NEXT) | instid1(VALU_DEP_1)
	v_clz_i32_u32_e32 v0, v4
	v_min_u32_e32 v0, 32, v0
	s_delay_alu instid0(VALU_DEP_1) | instskip(NEXT) | instid1(VALU_DEP_1)
	v_subrev_nc_u32_e32 v2, 28, v0
	v_lshlrev_b64_e32 v[2:3], v2, v[4:5]
	s_delay_alu instid0(VALU_DEP_1)
	v_dual_sub_nc_u32 v0, 29, v0 :: v_dual_bitop2_b32 v4, 7, v2 bitop3:0x40
; %bb.391:                              ;   in Loop: Header=BB228_10 Depth=1
	s_or_b32 exec_lo, exec_lo, s16
	s_delay_alu instid0(VALU_DEP_1) | instskip(NEXT) | instid1(VALU_DEP_2)
	v_dual_lshlrev_b32 v1, 24, v1 :: v_dual_lshlrev_b32 v2, 20, v4
	v_lshl_add_u32 v0, v0, 23, 0x3c000000
	s_delay_alu instid0(VALU_DEP_2) | instskip(NEXT) | instid1(VALU_DEP_1)
	v_and_b32_e32 v1, 0x80000000, v1
	v_or3_b32 v3, v2, v1, v0
	v_dual_mov_b32 v1, v5 :: v_dual_mov_b32 v2, v5
	s_clause 0x1
	scratch_store_b64 off, v[0:1], s32 offset:192
	scratch_store_b64 off, v[2:3], s32 offset:564
.LBB228_392:                            ;   in Loop: Header=BB228_10 Depth=1
	s_wait_xcnt 0x0
	s_or_b32 exec_lo, exec_lo, s11
.LBB228_393:                            ;   in Loop: Header=BB228_10 Depth=1
	s_delay_alu instid0(SALU_CYCLE_1)
	s_or_b32 exec_lo, exec_lo, s9
.LBB228_394:                            ;   in Loop: Header=BB228_10 Depth=1
	s_delay_alu instid0(SALU_CYCLE_1)
	s_or_b32 exec_lo, exec_lo, s8
	flat_load_b32 v0, v[48:49] offset:1536
	v_mov_b64_e32 v[2:3], 0
	s_mov_b32 s8, exec_lo
	scratch_store_b64 off, v[2:3], s32 offset:580 ; 8-byte Folded Spill
	s_wait_xcnt 0x0
	v_mov_b64_e32 v[2:3], 0
	scratch_store_b64 off, v[2:3], s32 offset:588 ; 8-byte Folded Spill
	s_wait_loadcnt_dscnt 0x0
	v_and_b32_e32 v1, 0xff, v0
	s_wait_xcnt 0x0
	s_delay_alu instid0(VALU_DEP_1)
	v_cmpx_ne_u16_e32 0, v1
	s_cbranch_execz .LBB228_402
; %bb.395:                              ;   in Loop: Header=BB228_10 Depth=1
	v_mov_b64_e32 v[2:3], 0x80000000
	s_mov_b32 s9, exec_lo
	scratch_store_b64 off, v[2:3], s32 offset:588 ; 8-byte Folded Spill
	s_wait_xcnt 0x0
	v_cmpx_ne_u16_e32 0x80, v1
	s_cbranch_execz .LBB228_401
; %bb.396:                              ;   in Loop: Header=BB228_10 Depth=1
	v_mov_b64_e32 v[4:5], 0x7f800001
	v_and_b32_e32 v2, 0x7f, v0
	s_mov_b32 s11, exec_lo
	scratch_store_b64 off, v[4:5], s32 offset:588 ; 8-byte Folded Spill
	s_wait_xcnt 0x0
	v_cmpx_ne_u32_e32 0x7f, v2
	s_cbranch_execz .LBB228_400
; %bb.397:                              ;   in Loop: Header=BB228_10 Depth=1
	scratch_load_b64 v[4:5], off, s32 offset:192 th:TH_LOAD_LU ; 8-byte Folded Reload
	s_wait_loadcnt 0x0
	v_dual_lshrrev_b32 v1, 3, v2 :: v_dual_bitop2_b32 v4, 7, v0 bitop3:0x40
	s_mov_b32 s16, exec_lo
	s_wait_xcnt 0x0
	v_cmpx_gt_u32_e32 8, v2
; %bb.398:                              ;   in Loop: Header=BB228_10 Depth=1
	s_delay_alu instid0(VALU_DEP_2) | instskip(NEXT) | instid1(VALU_DEP_1)
	v_clz_i32_u32_e32 v1, v4
	v_min_u32_e32 v1, 32, v1
	s_delay_alu instid0(VALU_DEP_1) | instskip(NEXT) | instid1(VALU_DEP_1)
	v_subrev_nc_u32_e32 v2, 28, v1
	v_lshlrev_b64_e32 v[2:3], v2, v[4:5]
	s_delay_alu instid0(VALU_DEP_1)
	v_dual_sub_nc_u32 v1, 29, v1 :: v_dual_bitop2_b32 v4, 7, v2 bitop3:0x40
; %bb.399:                              ;   in Loop: Header=BB228_10 Depth=1
	s_or_b32 exec_lo, exec_lo, s16
	v_lshlrev_b32_e32 v2, 24, v0
	s_delay_alu instid0(VALU_DEP_2) | instskip(NEXT) | instid1(VALU_DEP_3)
	v_lshlrev_b32_e32 v3, 20, v4
	v_lshl_add_u32 v1, v1, 23, 0x3c000000
	s_delay_alu instid0(VALU_DEP_3) | instskip(NEXT) | instid1(VALU_DEP_1)
	v_and_b32_e32 v2, 0x80000000, v2
	v_or3_b32 v4, v3, v2, v1
	v_mov_b32_e32 v1, v5
	s_clause 0x1
	scratch_store_b64 off, v[0:1], s32 offset:192
	scratch_store_b64 off, v[4:5], s32 offset:588
.LBB228_400:                            ;   in Loop: Header=BB228_10 Depth=1
	s_wait_xcnt 0x0
	s_or_b32 exec_lo, exec_lo, s11
.LBB228_401:                            ;   in Loop: Header=BB228_10 Depth=1
	s_delay_alu instid0(SALU_CYCLE_1)
	s_or_b32 exec_lo, exec_lo, s9
.LBB228_402:                            ;   in Loop: Header=BB228_10 Depth=1
	s_delay_alu instid0(SALU_CYCLE_1) | instskip(SKIP_2) | instid1(VALU_DEP_1)
	s_or_b32 exec_lo, exec_lo, s8
	v_lshrrev_b16 v1, 8, v0
	s_mov_b32 s8, exec_lo
	v_cmpx_ne_u16_e32 0, v1
	s_cbranch_execz .LBB228_410
; %bb.403:                              ;   in Loop: Header=BB228_10 Depth=1
	v_mov_b64_e32 v[2:3], 0x8000000000000000
	s_mov_b32 s9, exec_lo
	scratch_store_b64 off, v[2:3], s32 offset:580 ; 8-byte Folded Spill
	s_wait_xcnt 0x0
	v_cmpx_ne_u16_e32 0x80, v1
	s_cbranch_execz .LBB228_409
; %bb.404:                              ;   in Loop: Header=BB228_10 Depth=1
	v_and_b32_e32 v1, 0xffff, v1
	v_mov_b64_e32 v[4:5], 0x7f80000100000000
	s_mov_b32 s11, exec_lo
	s_delay_alu instid0(VALU_DEP_2)
	v_and_b32_e32 v2, 0x7f, v1
	scratch_store_b64 off, v[4:5], s32 offset:580 ; 8-byte Folded Spill
	s_wait_xcnt 0x0
	v_cmpx_ne_u32_e32 0x7f, v2
	s_cbranch_execz .LBB228_408
; %bb.405:                              ;   in Loop: Header=BB228_10 Depth=1
	scratch_load_b64 v[4:5], off, s32 offset:192 th:TH_LOAD_LU ; 8-byte Folded Reload
	s_wait_loadcnt 0x0
	v_dual_lshrrev_b32 v1, 3, v2 :: v_dual_bitop2_b32 v4, 7, v1 bitop3:0x40
	s_mov_b32 s16, exec_lo
	s_wait_xcnt 0x0
	v_cmpx_gt_u32_e32 8, v2
; %bb.406:                              ;   in Loop: Header=BB228_10 Depth=1
	s_delay_alu instid0(VALU_DEP_2) | instskip(NEXT) | instid1(VALU_DEP_1)
	v_clz_i32_u32_e32 v1, v4
	v_min_u32_e32 v1, 32, v1
	s_delay_alu instid0(VALU_DEP_1) | instskip(NEXT) | instid1(VALU_DEP_1)
	v_subrev_nc_u32_e32 v2, 28, v1
	v_lshlrev_b64_e32 v[2:3], v2, v[4:5]
	s_delay_alu instid0(VALU_DEP_1)
	v_dual_sub_nc_u32 v1, 29, v1 :: v_dual_bitop2_b32 v4, 7, v2 bitop3:0x40
; %bb.407:                              ;   in Loop: Header=BB228_10 Depth=1
	s_or_b32 exec_lo, exec_lo, s16
	v_lshlrev_b32_e32 v2, 16, v0
	s_delay_alu instid0(VALU_DEP_2) | instskip(NEXT) | instid1(VALU_DEP_3)
	v_lshlrev_b32_e32 v3, 20, v4
	v_lshl_add_u32 v1, v1, 23, 0x3c000000
	s_delay_alu instid0(VALU_DEP_3) | instskip(NEXT) | instid1(VALU_DEP_1)
	v_and_b32_e32 v2, 0x80000000, v2
	v_or3_b32 v3, v3, v2, v1
	v_dual_mov_b32 v1, v5 :: v_dual_mov_b32 v2, v5
	s_clause 0x1
	scratch_store_b64 off, v[0:1], s32 offset:192
	scratch_store_b64 off, v[2:3], s32 offset:580
.LBB228_408:                            ;   in Loop: Header=BB228_10 Depth=1
	s_wait_xcnt 0x0
	s_or_b32 exec_lo, exec_lo, s11
.LBB228_409:                            ;   in Loop: Header=BB228_10 Depth=1
	s_delay_alu instid0(SALU_CYCLE_1)
	s_or_b32 exec_lo, exec_lo, s9
.LBB228_410:                            ;   in Loop: Header=BB228_10 Depth=1
	s_delay_alu instid0(SALU_CYCLE_1) | instskip(SKIP_3) | instid1(VALU_DEP_1)
	s_or_b32 exec_lo, exec_lo, s8
	v_mov_b64_e32 v[4:5], 0
	v_lshrrev_b32_e32 v1, 16, v0
	s_mov_b32 s8, exec_lo
	v_and_b32_e32 v2, 0xff, v1
	scratch_store_b64 off, v[4:5], s32 offset:596 ; 8-byte Folded Spill
	s_wait_xcnt 0x0
	v_mov_b64_e32 v[4:5], 0
	scratch_store_b64 off, v[4:5], s32 offset:604 ; 8-byte Folded Spill
	s_wait_xcnt 0x0
	v_cmpx_ne_u16_e32 0, v2
	s_cbranch_execz .LBB228_418
; %bb.411:                              ;   in Loop: Header=BB228_10 Depth=1
	v_cmp_ne_u16_e64 s1, 0x80, v2
	v_mov_b64_e32 v[2:3], 0x80000000
	scratch_store_b64 off, v[2:3], s32 offset:604 ; 8-byte Folded Spill
	s_wait_xcnt 0x0
	s_and_saveexec_b32 s9, s1
	s_cbranch_execz .LBB228_417
; %bb.412:                              ;   in Loop: Header=BB228_10 Depth=1
	v_mov_b64_e32 v[4:5], 0x7f800001
	v_bfe_u32 v3, v0, 16, 7
	s_mov_b32 s11, exec_lo
	scratch_store_b64 off, v[4:5], s32 offset:604 ; 8-byte Folded Spill
	s_wait_xcnt 0x0
	v_cmpx_ne_u32_e32 0x7f, v3
	s_cbranch_execz .LBB228_416
; %bb.413:                              ;   in Loop: Header=BB228_10 Depth=1
	scratch_load_b64 v[6:7], off, s32 offset:192 th:TH_LOAD_LU ; 8-byte Folded Reload
	s_wait_loadcnt 0x0
	v_dual_lshrrev_b32 v2, 3, v3 :: v_dual_bitop2_b32 v6, 7, v1 bitop3:0x40
	s_mov_b32 s16, exec_lo
	s_wait_xcnt 0x0
	v_cmpx_gt_u32_e32 8, v3
; %bb.414:                              ;   in Loop: Header=BB228_10 Depth=1
	s_delay_alu instid0(VALU_DEP_2) | instskip(NEXT) | instid1(VALU_DEP_1)
	v_clz_i32_u32_e32 v2, v6
	v_min_u32_e32 v2, 32, v2
	s_delay_alu instid0(VALU_DEP_1) | instskip(NEXT) | instid1(VALU_DEP_1)
	v_subrev_nc_u32_e32 v3, 28, v2
	v_lshlrev_b64_e32 v[4:5], v3, v[6:7]
	s_delay_alu instid0(VALU_DEP_1)
	v_dual_sub_nc_u32 v2, 29, v2 :: v_dual_bitop2_b32 v6, 7, v4 bitop3:0x40
; %bb.415:                              ;   in Loop: Header=BB228_10 Depth=1
	s_or_b32 exec_lo, exec_lo, s16
	s_delay_alu instid0(VALU_DEP_1) | instskip(NEXT) | instid1(VALU_DEP_2)
	v_dual_lshlrev_b32 v1, 24, v1 :: v_dual_lshlrev_b32 v3, 20, v6
	v_lshl_add_u32 v2, v2, 23, 0x3c000000
	s_delay_alu instid0(VALU_DEP_2) | instskip(NEXT) | instid1(VALU_DEP_1)
	v_and_b32_e32 v1, 0x80000000, v1
	v_or3_b32 v6, v3, v1, v2
	v_mov_b32_e32 v1, v7
	s_clause 0x1
	scratch_store_b64 off, v[0:1], s32 offset:192
	scratch_store_b64 off, v[6:7], s32 offset:604
.LBB228_416:                            ;   in Loop: Header=BB228_10 Depth=1
	s_wait_xcnt 0x0
	s_or_b32 exec_lo, exec_lo, s11
.LBB228_417:                            ;   in Loop: Header=BB228_10 Depth=1
	s_delay_alu instid0(SALU_CYCLE_1)
	s_or_b32 exec_lo, exec_lo, s9
.LBB228_418:                            ;   in Loop: Header=BB228_10 Depth=1
	s_delay_alu instid0(SALU_CYCLE_1) | instskip(NEXT) | instid1(SALU_CYCLE_1)
	s_or_b32 exec_lo, exec_lo, s8
	s_mov_b32 s8, exec_lo
	v_cmpx_lt_u32_e32 0xffffff, v0
	s_cbranch_execz .LBB228_426
; %bb.419:                              ;   in Loop: Header=BB228_10 Depth=1
	v_mov_b64_e32 v[2:3], 0x8000000000000000
	v_lshrrev_b32_e32 v1, 24, v0
	s_mov_b32 s9, exec_lo
	scratch_store_b64 off, v[2:3], s32 offset:596 ; 8-byte Folded Spill
	s_wait_xcnt 0x0
	v_cmpx_ne_u32_e32 0x80, v1
	s_cbranch_execz .LBB228_425
; %bb.420:                              ;   in Loop: Header=BB228_10 Depth=1
	v_mov_b64_e32 v[4:5], 0x7f80000100000000
	v_bfe_u32 v2, v0, 24, 7
	s_mov_b32 s11, exec_lo
	scratch_store_b64 off, v[4:5], s32 offset:596 ; 8-byte Folded Spill
	s_wait_xcnt 0x0
	v_cmpx_ne_u32_e32 0x7f, v2
	s_cbranch_execz .LBB228_424
; %bb.421:                              ;   in Loop: Header=BB228_10 Depth=1
	scratch_load_b64 v[4:5], off, s32 offset:192 th:TH_LOAD_LU ; 8-byte Folded Reload
	s_wait_loadcnt 0x0
	v_dual_lshrrev_b32 v0, 3, v2 :: v_dual_bitop2_b32 v4, 7, v1 bitop3:0x40
	s_mov_b32 s16, exec_lo
	s_wait_xcnt 0x0
	v_cmpx_gt_u32_e32 8, v2
; %bb.422:                              ;   in Loop: Header=BB228_10 Depth=1
	s_delay_alu instid0(VALU_DEP_2) | instskip(NEXT) | instid1(VALU_DEP_1)
	v_clz_i32_u32_e32 v0, v4
	v_min_u32_e32 v0, 32, v0
	s_delay_alu instid0(VALU_DEP_1) | instskip(NEXT) | instid1(VALU_DEP_1)
	v_subrev_nc_u32_e32 v2, 28, v0
	v_lshlrev_b64_e32 v[2:3], v2, v[4:5]
	s_delay_alu instid0(VALU_DEP_1)
	v_dual_sub_nc_u32 v0, 29, v0 :: v_dual_bitop2_b32 v4, 7, v2 bitop3:0x40
; %bb.423:                              ;   in Loop: Header=BB228_10 Depth=1
	s_or_b32 exec_lo, exec_lo, s16
	s_delay_alu instid0(VALU_DEP_1) | instskip(NEXT) | instid1(VALU_DEP_2)
	v_dual_lshlrev_b32 v1, 24, v1 :: v_dual_lshlrev_b32 v2, 20, v4
	v_lshl_add_u32 v0, v0, 23, 0x3c000000
	s_delay_alu instid0(VALU_DEP_2) | instskip(NEXT) | instid1(VALU_DEP_1)
	v_and_b32_e32 v1, 0x80000000, v1
	v_or3_b32 v3, v2, v1, v0
	v_dual_mov_b32 v1, v5 :: v_dual_mov_b32 v2, v5
	s_clause 0x1
	scratch_store_b64 off, v[0:1], s32 offset:192
	scratch_store_b64 off, v[2:3], s32 offset:596
.LBB228_424:                            ;   in Loop: Header=BB228_10 Depth=1
	s_wait_xcnt 0x0
	s_or_b32 exec_lo, exec_lo, s11
.LBB228_425:                            ;   in Loop: Header=BB228_10 Depth=1
	s_delay_alu instid0(SALU_CYCLE_1)
	s_or_b32 exec_lo, exec_lo, s9
.LBB228_426:                            ;   in Loop: Header=BB228_10 Depth=1
	s_delay_alu instid0(SALU_CYCLE_1)
	s_or_b32 exec_lo, exec_lo, s8
	flat_load_b32 v0, v[48:49] offset:1540
	v_mov_b64_e32 v[2:3], 0
	s_mov_b32 s8, exec_lo
	scratch_store_b64 off, v[2:3], s32 offset:612 ; 8-byte Folded Spill
	s_wait_xcnt 0x0
	v_mov_b64_e32 v[2:3], 0
	scratch_store_b64 off, v[2:3], s32 offset:620 ; 8-byte Folded Spill
	s_wait_loadcnt_dscnt 0x0
	v_and_b32_e32 v1, 0xff, v0
	s_wait_xcnt 0x0
	s_delay_alu instid0(VALU_DEP_1)
	v_cmpx_ne_u16_e32 0, v1
	s_cbranch_execz .LBB228_434
; %bb.427:                              ;   in Loop: Header=BB228_10 Depth=1
	v_mov_b64_e32 v[2:3], 0x80000000
	s_mov_b32 s9, exec_lo
	scratch_store_b64 off, v[2:3], s32 offset:620 ; 8-byte Folded Spill
	s_wait_xcnt 0x0
	v_cmpx_ne_u16_e32 0x80, v1
	s_cbranch_execz .LBB228_433
; %bb.428:                              ;   in Loop: Header=BB228_10 Depth=1
	v_mov_b64_e32 v[4:5], 0x7f800001
	v_and_b32_e32 v2, 0x7f, v0
	s_mov_b32 s11, exec_lo
	scratch_store_b64 off, v[4:5], s32 offset:620 ; 8-byte Folded Spill
	s_wait_xcnt 0x0
	v_cmpx_ne_u32_e32 0x7f, v2
	s_cbranch_execz .LBB228_432
; %bb.429:                              ;   in Loop: Header=BB228_10 Depth=1
	scratch_load_b64 v[4:5], off, s32 offset:192 th:TH_LOAD_LU ; 8-byte Folded Reload
	s_wait_loadcnt 0x0
	v_dual_lshrrev_b32 v1, 3, v2 :: v_dual_bitop2_b32 v4, 7, v0 bitop3:0x40
	s_mov_b32 s16, exec_lo
	s_wait_xcnt 0x0
	v_cmpx_gt_u32_e32 8, v2
; %bb.430:                              ;   in Loop: Header=BB228_10 Depth=1
	s_delay_alu instid0(VALU_DEP_2) | instskip(NEXT) | instid1(VALU_DEP_1)
	v_clz_i32_u32_e32 v1, v4
	v_min_u32_e32 v1, 32, v1
	s_delay_alu instid0(VALU_DEP_1) | instskip(NEXT) | instid1(VALU_DEP_1)
	v_subrev_nc_u32_e32 v2, 28, v1
	v_lshlrev_b64_e32 v[2:3], v2, v[4:5]
	s_delay_alu instid0(VALU_DEP_1)
	v_dual_sub_nc_u32 v1, 29, v1 :: v_dual_bitop2_b32 v4, 7, v2 bitop3:0x40
; %bb.431:                              ;   in Loop: Header=BB228_10 Depth=1
	s_or_b32 exec_lo, exec_lo, s16
	v_lshlrev_b32_e32 v2, 24, v0
	s_delay_alu instid0(VALU_DEP_2) | instskip(NEXT) | instid1(VALU_DEP_3)
	v_lshlrev_b32_e32 v3, 20, v4
	v_lshl_add_u32 v1, v1, 23, 0x3c000000
	s_delay_alu instid0(VALU_DEP_3) | instskip(NEXT) | instid1(VALU_DEP_1)
	v_and_b32_e32 v2, 0x80000000, v2
	v_or3_b32 v4, v3, v2, v1
	v_mov_b32_e32 v1, v5
	s_clause 0x1
	scratch_store_b64 off, v[0:1], s32 offset:192
	scratch_store_b64 off, v[4:5], s32 offset:620
.LBB228_432:                            ;   in Loop: Header=BB228_10 Depth=1
	s_wait_xcnt 0x0
	s_or_b32 exec_lo, exec_lo, s11
.LBB228_433:                            ;   in Loop: Header=BB228_10 Depth=1
	s_delay_alu instid0(SALU_CYCLE_1)
	s_or_b32 exec_lo, exec_lo, s9
.LBB228_434:                            ;   in Loop: Header=BB228_10 Depth=1
	s_delay_alu instid0(SALU_CYCLE_1) | instskip(SKIP_2) | instid1(VALU_DEP_1)
	s_or_b32 exec_lo, exec_lo, s8
	v_lshrrev_b16 v1, 8, v0
	s_mov_b32 s8, exec_lo
	v_cmpx_ne_u16_e32 0, v1
	s_cbranch_execz .LBB228_442
; %bb.435:                              ;   in Loop: Header=BB228_10 Depth=1
	v_mov_b64_e32 v[2:3], 0x8000000000000000
	s_mov_b32 s9, exec_lo
	scratch_store_b64 off, v[2:3], s32 offset:612 ; 8-byte Folded Spill
	s_wait_xcnt 0x0
	v_cmpx_ne_u16_e32 0x80, v1
	s_cbranch_execz .LBB228_441
; %bb.436:                              ;   in Loop: Header=BB228_10 Depth=1
	v_and_b32_e32 v1, 0xffff, v1
	v_mov_b64_e32 v[4:5], 0x7f80000100000000
	s_mov_b32 s11, exec_lo
	s_delay_alu instid0(VALU_DEP_2)
	v_and_b32_e32 v2, 0x7f, v1
	scratch_store_b64 off, v[4:5], s32 offset:612 ; 8-byte Folded Spill
	s_wait_xcnt 0x0
	v_cmpx_ne_u32_e32 0x7f, v2
	s_cbranch_execz .LBB228_440
; %bb.437:                              ;   in Loop: Header=BB228_10 Depth=1
	scratch_load_b64 v[4:5], off, s32 offset:192 th:TH_LOAD_LU ; 8-byte Folded Reload
	s_wait_loadcnt 0x0
	v_dual_lshrrev_b32 v1, 3, v2 :: v_dual_bitop2_b32 v4, 7, v1 bitop3:0x40
	s_mov_b32 s16, exec_lo
	s_wait_xcnt 0x0
	v_cmpx_gt_u32_e32 8, v2
; %bb.438:                              ;   in Loop: Header=BB228_10 Depth=1
	s_delay_alu instid0(VALU_DEP_2) | instskip(NEXT) | instid1(VALU_DEP_1)
	v_clz_i32_u32_e32 v1, v4
	v_min_u32_e32 v1, 32, v1
	s_delay_alu instid0(VALU_DEP_1) | instskip(NEXT) | instid1(VALU_DEP_1)
	v_subrev_nc_u32_e32 v2, 28, v1
	v_lshlrev_b64_e32 v[2:3], v2, v[4:5]
	s_delay_alu instid0(VALU_DEP_1)
	v_dual_sub_nc_u32 v1, 29, v1 :: v_dual_bitop2_b32 v4, 7, v2 bitop3:0x40
; %bb.439:                              ;   in Loop: Header=BB228_10 Depth=1
	s_or_b32 exec_lo, exec_lo, s16
	v_lshlrev_b32_e32 v2, 16, v0
	s_delay_alu instid0(VALU_DEP_2) | instskip(NEXT) | instid1(VALU_DEP_3)
	v_lshlrev_b32_e32 v3, 20, v4
	v_lshl_add_u32 v1, v1, 23, 0x3c000000
	s_delay_alu instid0(VALU_DEP_3) | instskip(NEXT) | instid1(VALU_DEP_1)
	v_and_b32_e32 v2, 0x80000000, v2
	v_or3_b32 v3, v3, v2, v1
	v_dual_mov_b32 v1, v5 :: v_dual_mov_b32 v2, v5
	s_clause 0x1
	scratch_store_b64 off, v[0:1], s32 offset:192
	scratch_store_b64 off, v[2:3], s32 offset:612
.LBB228_440:                            ;   in Loop: Header=BB228_10 Depth=1
	s_wait_xcnt 0x0
	s_or_b32 exec_lo, exec_lo, s11
.LBB228_441:                            ;   in Loop: Header=BB228_10 Depth=1
	s_delay_alu instid0(SALU_CYCLE_1)
	s_or_b32 exec_lo, exec_lo, s9
.LBB228_442:                            ;   in Loop: Header=BB228_10 Depth=1
	s_delay_alu instid0(SALU_CYCLE_1) | instskip(SKIP_3) | instid1(VALU_DEP_1)
	s_or_b32 exec_lo, exec_lo, s8
	v_mov_b64_e32 v[4:5], 0
	v_lshrrev_b32_e32 v1, 16, v0
	s_mov_b32 s8, exec_lo
	v_and_b32_e32 v2, 0xff, v1
	scratch_store_b64 off, v[4:5], s32 offset:628 ; 8-byte Folded Spill
	s_wait_xcnt 0x0
	v_mov_b64_e32 v[4:5], 0
	scratch_store_b64 off, v[4:5], s32 offset:636 ; 8-byte Folded Spill
	s_wait_xcnt 0x0
	v_cmpx_ne_u16_e32 0, v2
	s_cbranch_execz .LBB228_450
; %bb.443:                              ;   in Loop: Header=BB228_10 Depth=1
	v_cmp_ne_u16_e64 s1, 0x80, v2
	v_mov_b64_e32 v[2:3], 0x80000000
	scratch_store_b64 off, v[2:3], s32 offset:636 ; 8-byte Folded Spill
	s_wait_xcnt 0x0
	s_and_saveexec_b32 s9, s1
	s_cbranch_execz .LBB228_449
; %bb.444:                              ;   in Loop: Header=BB228_10 Depth=1
	v_mov_b64_e32 v[4:5], 0x7f800001
	v_bfe_u32 v3, v0, 16, 7
	s_mov_b32 s11, exec_lo
	scratch_store_b64 off, v[4:5], s32 offset:636 ; 8-byte Folded Spill
	s_wait_xcnt 0x0
	v_cmpx_ne_u32_e32 0x7f, v3
	s_cbranch_execz .LBB228_448
; %bb.445:                              ;   in Loop: Header=BB228_10 Depth=1
	scratch_load_b64 v[6:7], off, s32 offset:192 th:TH_LOAD_LU ; 8-byte Folded Reload
	s_wait_loadcnt 0x0
	v_dual_lshrrev_b32 v2, 3, v3 :: v_dual_bitop2_b32 v6, 7, v1 bitop3:0x40
	s_mov_b32 s16, exec_lo
	s_wait_xcnt 0x0
	v_cmpx_gt_u32_e32 8, v3
; %bb.446:                              ;   in Loop: Header=BB228_10 Depth=1
	s_delay_alu instid0(VALU_DEP_2) | instskip(NEXT) | instid1(VALU_DEP_1)
	v_clz_i32_u32_e32 v2, v6
	v_min_u32_e32 v2, 32, v2
	s_delay_alu instid0(VALU_DEP_1) | instskip(NEXT) | instid1(VALU_DEP_1)
	v_subrev_nc_u32_e32 v3, 28, v2
	v_lshlrev_b64_e32 v[4:5], v3, v[6:7]
	s_delay_alu instid0(VALU_DEP_1)
	v_dual_sub_nc_u32 v2, 29, v2 :: v_dual_bitop2_b32 v6, 7, v4 bitop3:0x40
; %bb.447:                              ;   in Loop: Header=BB228_10 Depth=1
	s_or_b32 exec_lo, exec_lo, s16
	s_delay_alu instid0(VALU_DEP_1) | instskip(NEXT) | instid1(VALU_DEP_2)
	v_dual_lshlrev_b32 v1, 24, v1 :: v_dual_lshlrev_b32 v3, 20, v6
	v_lshl_add_u32 v2, v2, 23, 0x3c000000
	s_delay_alu instid0(VALU_DEP_2) | instskip(NEXT) | instid1(VALU_DEP_1)
	v_and_b32_e32 v1, 0x80000000, v1
	v_or3_b32 v6, v3, v1, v2
	v_mov_b32_e32 v1, v7
	s_clause 0x1
	scratch_store_b64 off, v[0:1], s32 offset:192
	scratch_store_b64 off, v[6:7], s32 offset:636
.LBB228_448:                            ;   in Loop: Header=BB228_10 Depth=1
	s_wait_xcnt 0x0
	s_or_b32 exec_lo, exec_lo, s11
.LBB228_449:                            ;   in Loop: Header=BB228_10 Depth=1
	s_delay_alu instid0(SALU_CYCLE_1)
	s_or_b32 exec_lo, exec_lo, s9
.LBB228_450:                            ;   in Loop: Header=BB228_10 Depth=1
	s_delay_alu instid0(SALU_CYCLE_1) | instskip(NEXT) | instid1(SALU_CYCLE_1)
	s_or_b32 exec_lo, exec_lo, s8
	s_mov_b32 s8, exec_lo
	v_cmpx_lt_u32_e32 0xffffff, v0
	s_cbranch_execz .LBB228_458
; %bb.451:                              ;   in Loop: Header=BB228_10 Depth=1
	v_mov_b64_e32 v[2:3], 0x8000000000000000
	v_lshrrev_b32_e32 v1, 24, v0
	s_mov_b32 s9, exec_lo
	scratch_store_b64 off, v[2:3], s32 offset:628 ; 8-byte Folded Spill
	s_wait_xcnt 0x0
	v_cmpx_ne_u32_e32 0x80, v1
	s_cbranch_execz .LBB228_457
; %bb.452:                              ;   in Loop: Header=BB228_10 Depth=1
	v_mov_b64_e32 v[4:5], 0x7f80000100000000
	v_bfe_u32 v2, v0, 24, 7
	s_mov_b32 s11, exec_lo
	scratch_store_b64 off, v[4:5], s32 offset:628 ; 8-byte Folded Spill
	s_wait_xcnt 0x0
	v_cmpx_ne_u32_e32 0x7f, v2
	s_cbranch_execz .LBB228_456
; %bb.453:                              ;   in Loop: Header=BB228_10 Depth=1
	scratch_load_b64 v[4:5], off, s32 offset:192 th:TH_LOAD_LU ; 8-byte Folded Reload
	s_wait_loadcnt 0x0
	v_dual_lshrrev_b32 v0, 3, v2 :: v_dual_bitop2_b32 v4, 7, v1 bitop3:0x40
	s_mov_b32 s16, exec_lo
	s_wait_xcnt 0x0
	v_cmpx_gt_u32_e32 8, v2
; %bb.454:                              ;   in Loop: Header=BB228_10 Depth=1
	s_delay_alu instid0(VALU_DEP_2) | instskip(NEXT) | instid1(VALU_DEP_1)
	v_clz_i32_u32_e32 v0, v4
	v_min_u32_e32 v0, 32, v0
	s_delay_alu instid0(VALU_DEP_1) | instskip(NEXT) | instid1(VALU_DEP_1)
	v_subrev_nc_u32_e32 v2, 28, v0
	v_lshlrev_b64_e32 v[2:3], v2, v[4:5]
	s_delay_alu instid0(VALU_DEP_1)
	v_dual_sub_nc_u32 v0, 29, v0 :: v_dual_bitop2_b32 v4, 7, v2 bitop3:0x40
; %bb.455:                              ;   in Loop: Header=BB228_10 Depth=1
	s_or_b32 exec_lo, exec_lo, s16
	s_delay_alu instid0(VALU_DEP_1) | instskip(NEXT) | instid1(VALU_DEP_2)
	v_dual_lshlrev_b32 v1, 24, v1 :: v_dual_lshlrev_b32 v2, 20, v4
	v_lshl_add_u32 v0, v0, 23, 0x3c000000
	s_delay_alu instid0(VALU_DEP_2) | instskip(NEXT) | instid1(VALU_DEP_1)
	v_and_b32_e32 v1, 0x80000000, v1
	v_or3_b32 v3, v2, v1, v0
	v_dual_mov_b32 v1, v5 :: v_dual_mov_b32 v2, v5
	s_clause 0x1
	scratch_store_b64 off, v[0:1], s32 offset:192
	scratch_store_b64 off, v[2:3], s32 offset:628
.LBB228_456:                            ;   in Loop: Header=BB228_10 Depth=1
	s_wait_xcnt 0x0
	s_or_b32 exec_lo, exec_lo, s11
.LBB228_457:                            ;   in Loop: Header=BB228_10 Depth=1
	s_delay_alu instid0(SALU_CYCLE_1)
	s_or_b32 exec_lo, exec_lo, s9
.LBB228_458:                            ;   in Loop: Header=BB228_10 Depth=1
	s_delay_alu instid0(SALU_CYCLE_1)
	s_or_b32 exec_lo, exec_lo, s8
	flat_load_b32 v0, v[48:49] offset:1544
	v_mov_b64_e32 v[2:3], 0
	s_mov_b32 s8, exec_lo
	scratch_store_b64 off, v[2:3], s32 offset:644 ; 8-byte Folded Spill
	s_wait_xcnt 0x0
	v_mov_b64_e32 v[2:3], 0
	scratch_store_b64 off, v[2:3], s32 offset:652 ; 8-byte Folded Spill
	s_wait_loadcnt_dscnt 0x0
	v_and_b32_e32 v1, 0xff, v0
	s_wait_xcnt 0x0
	s_delay_alu instid0(VALU_DEP_1)
	v_cmpx_ne_u16_e32 0, v1
	s_cbranch_execz .LBB228_466
; %bb.459:                              ;   in Loop: Header=BB228_10 Depth=1
	v_mov_b64_e32 v[2:3], 0x80000000
	s_mov_b32 s9, exec_lo
	scratch_store_b64 off, v[2:3], s32 offset:652 ; 8-byte Folded Spill
	s_wait_xcnt 0x0
	v_cmpx_ne_u16_e32 0x80, v1
	s_cbranch_execz .LBB228_465
; %bb.460:                              ;   in Loop: Header=BB228_10 Depth=1
	v_mov_b64_e32 v[4:5], 0x7f800001
	v_and_b32_e32 v2, 0x7f, v0
	s_mov_b32 s11, exec_lo
	scratch_store_b64 off, v[4:5], s32 offset:652 ; 8-byte Folded Spill
	s_wait_xcnt 0x0
	v_cmpx_ne_u32_e32 0x7f, v2
	s_cbranch_execz .LBB228_464
; %bb.461:                              ;   in Loop: Header=BB228_10 Depth=1
	scratch_load_b64 v[4:5], off, s32 offset:192 th:TH_LOAD_LU ; 8-byte Folded Reload
	s_wait_loadcnt 0x0
	v_dual_lshrrev_b32 v1, 3, v2 :: v_dual_bitop2_b32 v4, 7, v0 bitop3:0x40
	s_mov_b32 s16, exec_lo
	s_wait_xcnt 0x0
	v_cmpx_gt_u32_e32 8, v2
; %bb.462:                              ;   in Loop: Header=BB228_10 Depth=1
	s_delay_alu instid0(VALU_DEP_2) | instskip(NEXT) | instid1(VALU_DEP_1)
	v_clz_i32_u32_e32 v1, v4
	v_min_u32_e32 v1, 32, v1
	s_delay_alu instid0(VALU_DEP_1) | instskip(NEXT) | instid1(VALU_DEP_1)
	v_subrev_nc_u32_e32 v2, 28, v1
	v_lshlrev_b64_e32 v[2:3], v2, v[4:5]
	s_delay_alu instid0(VALU_DEP_1)
	v_dual_sub_nc_u32 v1, 29, v1 :: v_dual_bitop2_b32 v4, 7, v2 bitop3:0x40
; %bb.463:                              ;   in Loop: Header=BB228_10 Depth=1
	s_or_b32 exec_lo, exec_lo, s16
	v_lshlrev_b32_e32 v2, 24, v0
	s_delay_alu instid0(VALU_DEP_2) | instskip(NEXT) | instid1(VALU_DEP_3)
	v_lshlrev_b32_e32 v3, 20, v4
	v_lshl_add_u32 v1, v1, 23, 0x3c000000
	s_delay_alu instid0(VALU_DEP_3) | instskip(NEXT) | instid1(VALU_DEP_1)
	v_and_b32_e32 v2, 0x80000000, v2
	v_or3_b32 v4, v3, v2, v1
	v_mov_b32_e32 v1, v5
	s_clause 0x1
	scratch_store_b64 off, v[0:1], s32 offset:192
	scratch_store_b64 off, v[4:5], s32 offset:652
.LBB228_464:                            ;   in Loop: Header=BB228_10 Depth=1
	s_wait_xcnt 0x0
	s_or_b32 exec_lo, exec_lo, s11
.LBB228_465:                            ;   in Loop: Header=BB228_10 Depth=1
	s_delay_alu instid0(SALU_CYCLE_1)
	s_or_b32 exec_lo, exec_lo, s9
.LBB228_466:                            ;   in Loop: Header=BB228_10 Depth=1
	s_delay_alu instid0(SALU_CYCLE_1) | instskip(SKIP_2) | instid1(VALU_DEP_1)
	s_or_b32 exec_lo, exec_lo, s8
	v_lshrrev_b16 v1, 8, v0
	s_mov_b32 s8, exec_lo
	v_cmpx_ne_u16_e32 0, v1
	s_cbranch_execz .LBB228_474
; %bb.467:                              ;   in Loop: Header=BB228_10 Depth=1
	v_mov_b64_e32 v[2:3], 0x8000000000000000
	s_mov_b32 s9, exec_lo
	scratch_store_b64 off, v[2:3], s32 offset:644 ; 8-byte Folded Spill
	s_wait_xcnt 0x0
	v_cmpx_ne_u16_e32 0x80, v1
	s_cbranch_execz .LBB228_473
; %bb.468:                              ;   in Loop: Header=BB228_10 Depth=1
	v_and_b32_e32 v1, 0xffff, v1
	v_mov_b64_e32 v[4:5], 0x7f80000100000000
	s_mov_b32 s11, exec_lo
	s_delay_alu instid0(VALU_DEP_2)
	v_and_b32_e32 v2, 0x7f, v1
	scratch_store_b64 off, v[4:5], s32 offset:644 ; 8-byte Folded Spill
	s_wait_xcnt 0x0
	v_cmpx_ne_u32_e32 0x7f, v2
	s_cbranch_execz .LBB228_472
; %bb.469:                              ;   in Loop: Header=BB228_10 Depth=1
	scratch_load_b64 v[4:5], off, s32 offset:192 th:TH_LOAD_LU ; 8-byte Folded Reload
	s_wait_loadcnt 0x0
	v_dual_lshrrev_b32 v1, 3, v2 :: v_dual_bitop2_b32 v4, 7, v1 bitop3:0x40
	s_mov_b32 s16, exec_lo
	s_wait_xcnt 0x0
	v_cmpx_gt_u32_e32 8, v2
; %bb.470:                              ;   in Loop: Header=BB228_10 Depth=1
	s_delay_alu instid0(VALU_DEP_2) | instskip(NEXT) | instid1(VALU_DEP_1)
	v_clz_i32_u32_e32 v1, v4
	v_min_u32_e32 v1, 32, v1
	s_delay_alu instid0(VALU_DEP_1) | instskip(NEXT) | instid1(VALU_DEP_1)
	v_subrev_nc_u32_e32 v2, 28, v1
	v_lshlrev_b64_e32 v[2:3], v2, v[4:5]
	s_delay_alu instid0(VALU_DEP_1)
	v_dual_sub_nc_u32 v1, 29, v1 :: v_dual_bitop2_b32 v4, 7, v2 bitop3:0x40
; %bb.471:                              ;   in Loop: Header=BB228_10 Depth=1
	s_or_b32 exec_lo, exec_lo, s16
	v_lshlrev_b32_e32 v2, 16, v0
	s_delay_alu instid0(VALU_DEP_2) | instskip(NEXT) | instid1(VALU_DEP_3)
	v_lshlrev_b32_e32 v3, 20, v4
	v_lshl_add_u32 v1, v1, 23, 0x3c000000
	s_delay_alu instid0(VALU_DEP_3) | instskip(NEXT) | instid1(VALU_DEP_1)
	v_and_b32_e32 v2, 0x80000000, v2
	v_or3_b32 v3, v3, v2, v1
	v_dual_mov_b32 v1, v5 :: v_dual_mov_b32 v2, v5
	s_clause 0x1
	scratch_store_b64 off, v[0:1], s32 offset:192
	scratch_store_b64 off, v[2:3], s32 offset:644
.LBB228_472:                            ;   in Loop: Header=BB228_10 Depth=1
	s_wait_xcnt 0x0
	s_or_b32 exec_lo, exec_lo, s11
.LBB228_473:                            ;   in Loop: Header=BB228_10 Depth=1
	s_delay_alu instid0(SALU_CYCLE_1)
	s_or_b32 exec_lo, exec_lo, s9
.LBB228_474:                            ;   in Loop: Header=BB228_10 Depth=1
	s_delay_alu instid0(SALU_CYCLE_1) | instskip(SKIP_3) | instid1(VALU_DEP_1)
	s_or_b32 exec_lo, exec_lo, s8
	v_mov_b64_e32 v[4:5], 0
	v_lshrrev_b32_e32 v1, 16, v0
	s_mov_b32 s8, exec_lo
	v_and_b32_e32 v2, 0xff, v1
	scratch_store_b64 off, v[4:5], s32 offset:660 ; 8-byte Folded Spill
	s_wait_xcnt 0x0
	v_mov_b64_e32 v[4:5], 0
	scratch_store_b64 off, v[4:5], s32 offset:668 ; 8-byte Folded Spill
	s_wait_xcnt 0x0
	v_cmpx_ne_u16_e32 0, v2
	s_cbranch_execz .LBB228_482
; %bb.475:                              ;   in Loop: Header=BB228_10 Depth=1
	v_cmp_ne_u16_e64 s1, 0x80, v2
	v_mov_b64_e32 v[2:3], 0x80000000
	scratch_store_b64 off, v[2:3], s32 offset:668 ; 8-byte Folded Spill
	s_wait_xcnt 0x0
	s_and_saveexec_b32 s9, s1
	s_cbranch_execz .LBB228_481
; %bb.476:                              ;   in Loop: Header=BB228_10 Depth=1
	v_mov_b64_e32 v[4:5], 0x7f800001
	v_bfe_u32 v3, v0, 16, 7
	s_mov_b32 s11, exec_lo
	scratch_store_b64 off, v[4:5], s32 offset:668 ; 8-byte Folded Spill
	s_wait_xcnt 0x0
	v_cmpx_ne_u32_e32 0x7f, v3
	s_cbranch_execz .LBB228_480
; %bb.477:                              ;   in Loop: Header=BB228_10 Depth=1
	scratch_load_b64 v[6:7], off, s32 offset:192 th:TH_LOAD_LU ; 8-byte Folded Reload
	s_wait_loadcnt 0x0
	v_dual_lshrrev_b32 v2, 3, v3 :: v_dual_bitop2_b32 v6, 7, v1 bitop3:0x40
	s_mov_b32 s16, exec_lo
	s_wait_xcnt 0x0
	v_cmpx_gt_u32_e32 8, v3
; %bb.478:                              ;   in Loop: Header=BB228_10 Depth=1
	s_delay_alu instid0(VALU_DEP_2) | instskip(NEXT) | instid1(VALU_DEP_1)
	v_clz_i32_u32_e32 v2, v6
	v_min_u32_e32 v2, 32, v2
	s_delay_alu instid0(VALU_DEP_1) | instskip(NEXT) | instid1(VALU_DEP_1)
	v_subrev_nc_u32_e32 v3, 28, v2
	v_lshlrev_b64_e32 v[4:5], v3, v[6:7]
	s_delay_alu instid0(VALU_DEP_1)
	v_dual_sub_nc_u32 v2, 29, v2 :: v_dual_bitop2_b32 v6, 7, v4 bitop3:0x40
; %bb.479:                              ;   in Loop: Header=BB228_10 Depth=1
	s_or_b32 exec_lo, exec_lo, s16
	s_delay_alu instid0(VALU_DEP_1) | instskip(NEXT) | instid1(VALU_DEP_2)
	v_dual_lshlrev_b32 v1, 24, v1 :: v_dual_lshlrev_b32 v3, 20, v6
	v_lshl_add_u32 v2, v2, 23, 0x3c000000
	s_delay_alu instid0(VALU_DEP_2) | instskip(NEXT) | instid1(VALU_DEP_1)
	v_and_b32_e32 v1, 0x80000000, v1
	v_or3_b32 v6, v3, v1, v2
	v_mov_b32_e32 v1, v7
	s_clause 0x1
	scratch_store_b64 off, v[0:1], s32 offset:192
	scratch_store_b64 off, v[6:7], s32 offset:668
.LBB228_480:                            ;   in Loop: Header=BB228_10 Depth=1
	s_wait_xcnt 0x0
	s_or_b32 exec_lo, exec_lo, s11
.LBB228_481:                            ;   in Loop: Header=BB228_10 Depth=1
	s_delay_alu instid0(SALU_CYCLE_1)
	s_or_b32 exec_lo, exec_lo, s9
.LBB228_482:                            ;   in Loop: Header=BB228_10 Depth=1
	s_delay_alu instid0(SALU_CYCLE_1) | instskip(NEXT) | instid1(SALU_CYCLE_1)
	s_or_b32 exec_lo, exec_lo, s8
	s_mov_b32 s8, exec_lo
	v_cmpx_lt_u32_e32 0xffffff, v0
	s_cbranch_execz .LBB228_490
; %bb.483:                              ;   in Loop: Header=BB228_10 Depth=1
	v_mov_b64_e32 v[2:3], 0x8000000000000000
	v_lshrrev_b32_e32 v1, 24, v0
	s_mov_b32 s9, exec_lo
	scratch_store_b64 off, v[2:3], s32 offset:660 ; 8-byte Folded Spill
	s_wait_xcnt 0x0
	v_cmpx_ne_u32_e32 0x80, v1
	s_cbranch_execz .LBB228_489
; %bb.484:                              ;   in Loop: Header=BB228_10 Depth=1
	v_mov_b64_e32 v[4:5], 0x7f80000100000000
	v_bfe_u32 v2, v0, 24, 7
	s_mov_b32 s11, exec_lo
	scratch_store_b64 off, v[4:5], s32 offset:660 ; 8-byte Folded Spill
	s_wait_xcnt 0x0
	v_cmpx_ne_u32_e32 0x7f, v2
	s_cbranch_execz .LBB228_488
; %bb.485:                              ;   in Loop: Header=BB228_10 Depth=1
	scratch_load_b64 v[4:5], off, s32 offset:192 th:TH_LOAD_LU ; 8-byte Folded Reload
	s_wait_loadcnt 0x0
	v_dual_lshrrev_b32 v0, 3, v2 :: v_dual_bitop2_b32 v4, 7, v1 bitop3:0x40
	s_mov_b32 s16, exec_lo
	s_wait_xcnt 0x0
	v_cmpx_gt_u32_e32 8, v2
; %bb.486:                              ;   in Loop: Header=BB228_10 Depth=1
	s_delay_alu instid0(VALU_DEP_2) | instskip(NEXT) | instid1(VALU_DEP_1)
	v_clz_i32_u32_e32 v0, v4
	v_min_u32_e32 v0, 32, v0
	s_delay_alu instid0(VALU_DEP_1) | instskip(NEXT) | instid1(VALU_DEP_1)
	v_subrev_nc_u32_e32 v2, 28, v0
	v_lshlrev_b64_e32 v[2:3], v2, v[4:5]
	s_delay_alu instid0(VALU_DEP_1)
	v_dual_sub_nc_u32 v0, 29, v0 :: v_dual_bitop2_b32 v4, 7, v2 bitop3:0x40
; %bb.487:                              ;   in Loop: Header=BB228_10 Depth=1
	s_or_b32 exec_lo, exec_lo, s16
	s_delay_alu instid0(VALU_DEP_1) | instskip(NEXT) | instid1(VALU_DEP_2)
	v_dual_lshlrev_b32 v1, 24, v1 :: v_dual_lshlrev_b32 v2, 20, v4
	v_lshl_add_u32 v0, v0, 23, 0x3c000000
	s_delay_alu instid0(VALU_DEP_2) | instskip(NEXT) | instid1(VALU_DEP_1)
	v_and_b32_e32 v1, 0x80000000, v1
	v_or3_b32 v3, v2, v1, v0
	v_dual_mov_b32 v1, v5 :: v_dual_mov_b32 v2, v5
	s_clause 0x1
	scratch_store_b64 off, v[0:1], s32 offset:192
	scratch_store_b64 off, v[2:3], s32 offset:660
.LBB228_488:                            ;   in Loop: Header=BB228_10 Depth=1
	s_wait_xcnt 0x0
	s_or_b32 exec_lo, exec_lo, s11
.LBB228_489:                            ;   in Loop: Header=BB228_10 Depth=1
	s_delay_alu instid0(SALU_CYCLE_1)
	s_or_b32 exec_lo, exec_lo, s9
.LBB228_490:                            ;   in Loop: Header=BB228_10 Depth=1
	s_delay_alu instid0(SALU_CYCLE_1)
	s_or_b32 exec_lo, exec_lo, s8
	flat_load_b32 v0, v[48:49] offset:1548
	v_mov_b64_e32 v[2:3], 0
	s_mov_b32 s8, exec_lo
	scratch_store_b64 off, v[2:3], s32 offset:676 ; 8-byte Folded Spill
	s_wait_xcnt 0x0
	v_mov_b64_e32 v[2:3], 0
	scratch_store_b64 off, v[2:3], s32 offset:684 ; 8-byte Folded Spill
	s_wait_loadcnt_dscnt 0x0
	v_and_b32_e32 v1, 0xff, v0
	s_wait_xcnt 0x0
	s_delay_alu instid0(VALU_DEP_1)
	v_cmpx_ne_u16_e32 0, v1
	s_cbranch_execz .LBB228_498
; %bb.491:                              ;   in Loop: Header=BB228_10 Depth=1
	v_mov_b64_e32 v[2:3], 0x80000000
	s_mov_b32 s9, exec_lo
	scratch_store_b64 off, v[2:3], s32 offset:684 ; 8-byte Folded Spill
	s_wait_xcnt 0x0
	v_cmpx_ne_u16_e32 0x80, v1
	s_cbranch_execz .LBB228_497
; %bb.492:                              ;   in Loop: Header=BB228_10 Depth=1
	v_mov_b64_e32 v[4:5], 0x7f800001
	v_and_b32_e32 v2, 0x7f, v0
	s_mov_b32 s11, exec_lo
	scratch_store_b64 off, v[4:5], s32 offset:684 ; 8-byte Folded Spill
	s_wait_xcnt 0x0
	v_cmpx_ne_u32_e32 0x7f, v2
	s_cbranch_execz .LBB228_496
; %bb.493:                              ;   in Loop: Header=BB228_10 Depth=1
	scratch_load_b64 v[4:5], off, s32 offset:192 th:TH_LOAD_LU ; 8-byte Folded Reload
	s_wait_loadcnt 0x0
	v_dual_lshrrev_b32 v1, 3, v2 :: v_dual_bitop2_b32 v4, 7, v0 bitop3:0x40
	s_mov_b32 s16, exec_lo
	s_wait_xcnt 0x0
	v_cmpx_gt_u32_e32 8, v2
; %bb.494:                              ;   in Loop: Header=BB228_10 Depth=1
	s_delay_alu instid0(VALU_DEP_2) | instskip(NEXT) | instid1(VALU_DEP_1)
	v_clz_i32_u32_e32 v1, v4
	v_min_u32_e32 v1, 32, v1
	s_delay_alu instid0(VALU_DEP_1) | instskip(NEXT) | instid1(VALU_DEP_1)
	v_subrev_nc_u32_e32 v2, 28, v1
	v_lshlrev_b64_e32 v[2:3], v2, v[4:5]
	s_delay_alu instid0(VALU_DEP_1)
	v_dual_sub_nc_u32 v1, 29, v1 :: v_dual_bitop2_b32 v4, 7, v2 bitop3:0x40
; %bb.495:                              ;   in Loop: Header=BB228_10 Depth=1
	s_or_b32 exec_lo, exec_lo, s16
	v_lshlrev_b32_e32 v2, 24, v0
	s_delay_alu instid0(VALU_DEP_2) | instskip(NEXT) | instid1(VALU_DEP_3)
	v_lshlrev_b32_e32 v3, 20, v4
	v_lshl_add_u32 v1, v1, 23, 0x3c000000
	s_delay_alu instid0(VALU_DEP_3) | instskip(NEXT) | instid1(VALU_DEP_1)
	v_and_b32_e32 v2, 0x80000000, v2
	v_or3_b32 v4, v3, v2, v1
	v_mov_b32_e32 v1, v5
	s_clause 0x1
	scratch_store_b64 off, v[0:1], s32 offset:192
	scratch_store_b64 off, v[4:5], s32 offset:684
.LBB228_496:                            ;   in Loop: Header=BB228_10 Depth=1
	s_wait_xcnt 0x0
	s_or_b32 exec_lo, exec_lo, s11
.LBB228_497:                            ;   in Loop: Header=BB228_10 Depth=1
	s_delay_alu instid0(SALU_CYCLE_1)
	s_or_b32 exec_lo, exec_lo, s9
.LBB228_498:                            ;   in Loop: Header=BB228_10 Depth=1
	s_delay_alu instid0(SALU_CYCLE_1) | instskip(SKIP_2) | instid1(VALU_DEP_1)
	s_or_b32 exec_lo, exec_lo, s8
	v_lshrrev_b16 v1, 8, v0
	s_mov_b32 s8, exec_lo
	v_cmpx_ne_u16_e32 0, v1
	s_cbranch_execz .LBB228_506
; %bb.499:                              ;   in Loop: Header=BB228_10 Depth=1
	v_mov_b64_e32 v[2:3], 0x8000000000000000
	s_mov_b32 s9, exec_lo
	scratch_store_b64 off, v[2:3], s32 offset:676 ; 8-byte Folded Spill
	s_wait_xcnt 0x0
	v_cmpx_ne_u16_e32 0x80, v1
	s_cbranch_execz .LBB228_505
; %bb.500:                              ;   in Loop: Header=BB228_10 Depth=1
	v_and_b32_e32 v1, 0xffff, v1
	v_mov_b64_e32 v[4:5], 0x7f80000100000000
	s_mov_b32 s11, exec_lo
	s_delay_alu instid0(VALU_DEP_2)
	v_and_b32_e32 v2, 0x7f, v1
	scratch_store_b64 off, v[4:5], s32 offset:676 ; 8-byte Folded Spill
	s_wait_xcnt 0x0
	v_cmpx_ne_u32_e32 0x7f, v2
	s_cbranch_execz .LBB228_504
; %bb.501:                              ;   in Loop: Header=BB228_10 Depth=1
	scratch_load_b64 v[4:5], off, s32 offset:192 th:TH_LOAD_LU ; 8-byte Folded Reload
	s_wait_loadcnt 0x0
	v_dual_lshrrev_b32 v1, 3, v2 :: v_dual_bitop2_b32 v4, 7, v1 bitop3:0x40
	s_mov_b32 s16, exec_lo
	s_wait_xcnt 0x0
	v_cmpx_gt_u32_e32 8, v2
; %bb.502:                              ;   in Loop: Header=BB228_10 Depth=1
	s_delay_alu instid0(VALU_DEP_2) | instskip(NEXT) | instid1(VALU_DEP_1)
	v_clz_i32_u32_e32 v1, v4
	v_min_u32_e32 v1, 32, v1
	s_delay_alu instid0(VALU_DEP_1) | instskip(NEXT) | instid1(VALU_DEP_1)
	v_subrev_nc_u32_e32 v2, 28, v1
	v_lshlrev_b64_e32 v[2:3], v2, v[4:5]
	s_delay_alu instid0(VALU_DEP_1)
	v_dual_sub_nc_u32 v1, 29, v1 :: v_dual_bitop2_b32 v4, 7, v2 bitop3:0x40
; %bb.503:                              ;   in Loop: Header=BB228_10 Depth=1
	s_or_b32 exec_lo, exec_lo, s16
	v_lshlrev_b32_e32 v2, 16, v0
	s_delay_alu instid0(VALU_DEP_2) | instskip(NEXT) | instid1(VALU_DEP_3)
	v_lshlrev_b32_e32 v3, 20, v4
	v_lshl_add_u32 v1, v1, 23, 0x3c000000
	s_delay_alu instid0(VALU_DEP_3) | instskip(NEXT) | instid1(VALU_DEP_1)
	v_and_b32_e32 v2, 0x80000000, v2
	v_or3_b32 v3, v3, v2, v1
	v_dual_mov_b32 v1, v5 :: v_dual_mov_b32 v2, v5
	s_clause 0x1
	scratch_store_b64 off, v[0:1], s32 offset:192
	scratch_store_b64 off, v[2:3], s32 offset:676
.LBB228_504:                            ;   in Loop: Header=BB228_10 Depth=1
	s_wait_xcnt 0x0
	s_or_b32 exec_lo, exec_lo, s11
.LBB228_505:                            ;   in Loop: Header=BB228_10 Depth=1
	s_delay_alu instid0(SALU_CYCLE_1)
	s_or_b32 exec_lo, exec_lo, s9
.LBB228_506:                            ;   in Loop: Header=BB228_10 Depth=1
	s_delay_alu instid0(SALU_CYCLE_1) | instskip(SKIP_3) | instid1(VALU_DEP_1)
	s_or_b32 exec_lo, exec_lo, s8
	v_mov_b64_e32 v[4:5], 0
	v_lshrrev_b32_e32 v1, 16, v0
	s_mov_b32 s8, exec_lo
	v_and_b32_e32 v2, 0xff, v1
	scratch_store_b64 off, v[4:5], s32 offset:692 ; 8-byte Folded Spill
	s_wait_xcnt 0x0
	v_mov_b64_e32 v[4:5], 0
	scratch_store_b64 off, v[4:5], s32 offset:700 ; 8-byte Folded Spill
	s_wait_xcnt 0x0
	v_cmpx_ne_u16_e32 0, v2
	s_cbranch_execz .LBB228_514
; %bb.507:                              ;   in Loop: Header=BB228_10 Depth=1
	v_cmp_ne_u16_e64 s1, 0x80, v2
	v_mov_b64_e32 v[2:3], 0x80000000
	scratch_store_b64 off, v[2:3], s32 offset:700 ; 8-byte Folded Spill
	s_wait_xcnt 0x0
	s_and_saveexec_b32 s9, s1
	s_cbranch_execz .LBB228_513
; %bb.508:                              ;   in Loop: Header=BB228_10 Depth=1
	v_mov_b64_e32 v[4:5], 0x7f800001
	v_bfe_u32 v3, v0, 16, 7
	s_mov_b32 s11, exec_lo
	scratch_store_b64 off, v[4:5], s32 offset:700 ; 8-byte Folded Spill
	s_wait_xcnt 0x0
	v_cmpx_ne_u32_e32 0x7f, v3
	s_cbranch_execz .LBB228_512
; %bb.509:                              ;   in Loop: Header=BB228_10 Depth=1
	scratch_load_b64 v[6:7], off, s32 offset:192 th:TH_LOAD_LU ; 8-byte Folded Reload
	s_wait_loadcnt 0x0
	v_dual_lshrrev_b32 v2, 3, v3 :: v_dual_bitop2_b32 v6, 7, v1 bitop3:0x40
	s_mov_b32 s16, exec_lo
	s_wait_xcnt 0x0
	v_cmpx_gt_u32_e32 8, v3
; %bb.510:                              ;   in Loop: Header=BB228_10 Depth=1
	s_delay_alu instid0(VALU_DEP_2) | instskip(NEXT) | instid1(VALU_DEP_1)
	v_clz_i32_u32_e32 v2, v6
	v_min_u32_e32 v2, 32, v2
	s_delay_alu instid0(VALU_DEP_1) | instskip(NEXT) | instid1(VALU_DEP_1)
	v_subrev_nc_u32_e32 v3, 28, v2
	v_lshlrev_b64_e32 v[4:5], v3, v[6:7]
	s_delay_alu instid0(VALU_DEP_1)
	v_dual_sub_nc_u32 v2, 29, v2 :: v_dual_bitop2_b32 v6, 7, v4 bitop3:0x40
; %bb.511:                              ;   in Loop: Header=BB228_10 Depth=1
	s_or_b32 exec_lo, exec_lo, s16
	s_delay_alu instid0(VALU_DEP_1) | instskip(NEXT) | instid1(VALU_DEP_2)
	v_dual_lshlrev_b32 v1, 24, v1 :: v_dual_lshlrev_b32 v3, 20, v6
	v_lshl_add_u32 v2, v2, 23, 0x3c000000
	s_delay_alu instid0(VALU_DEP_2) | instskip(NEXT) | instid1(VALU_DEP_1)
	v_and_b32_e32 v1, 0x80000000, v1
	v_or3_b32 v6, v3, v1, v2
	v_mov_b32_e32 v1, v7
	s_clause 0x1
	scratch_store_b64 off, v[0:1], s32 offset:192
	scratch_store_b64 off, v[6:7], s32 offset:700
.LBB228_512:                            ;   in Loop: Header=BB228_10 Depth=1
	s_wait_xcnt 0x0
	s_or_b32 exec_lo, exec_lo, s11
.LBB228_513:                            ;   in Loop: Header=BB228_10 Depth=1
	s_delay_alu instid0(SALU_CYCLE_1)
	s_or_b32 exec_lo, exec_lo, s9
.LBB228_514:                            ;   in Loop: Header=BB228_10 Depth=1
	s_delay_alu instid0(SALU_CYCLE_1) | instskip(NEXT) | instid1(SALU_CYCLE_1)
	s_or_b32 exec_lo, exec_lo, s8
	s_mov_b32 s8, exec_lo
	v_cmpx_lt_u32_e32 0xffffff, v0
	s_cbranch_execz .LBB228_522
; %bb.515:                              ;   in Loop: Header=BB228_10 Depth=1
	v_mov_b64_e32 v[2:3], 0x8000000000000000
	v_lshrrev_b32_e32 v1, 24, v0
	s_mov_b32 s9, exec_lo
	scratch_store_b64 off, v[2:3], s32 offset:692 ; 8-byte Folded Spill
	s_wait_xcnt 0x0
	v_cmpx_ne_u32_e32 0x80, v1
	s_cbranch_execz .LBB228_521
; %bb.516:                              ;   in Loop: Header=BB228_10 Depth=1
	v_mov_b64_e32 v[4:5], 0x7f80000100000000
	v_bfe_u32 v2, v0, 24, 7
	s_mov_b32 s11, exec_lo
	scratch_store_b64 off, v[4:5], s32 offset:692 ; 8-byte Folded Spill
	s_wait_xcnt 0x0
	v_cmpx_ne_u32_e32 0x7f, v2
	s_cbranch_execz .LBB228_520
; %bb.517:                              ;   in Loop: Header=BB228_10 Depth=1
	scratch_load_b64 v[4:5], off, s32 offset:192 th:TH_LOAD_LU ; 8-byte Folded Reload
	s_wait_loadcnt 0x0
	v_dual_lshrrev_b32 v0, 3, v2 :: v_dual_bitop2_b32 v4, 7, v1 bitop3:0x40
	s_mov_b32 s16, exec_lo
	s_wait_xcnt 0x0
	v_cmpx_gt_u32_e32 8, v2
; %bb.518:                              ;   in Loop: Header=BB228_10 Depth=1
	s_delay_alu instid0(VALU_DEP_2) | instskip(NEXT) | instid1(VALU_DEP_1)
	v_clz_i32_u32_e32 v0, v4
	v_min_u32_e32 v0, 32, v0
	s_delay_alu instid0(VALU_DEP_1) | instskip(NEXT) | instid1(VALU_DEP_1)
	v_subrev_nc_u32_e32 v2, 28, v0
	v_lshlrev_b64_e32 v[2:3], v2, v[4:5]
	s_delay_alu instid0(VALU_DEP_1)
	v_dual_sub_nc_u32 v0, 29, v0 :: v_dual_bitop2_b32 v4, 7, v2 bitop3:0x40
; %bb.519:                              ;   in Loop: Header=BB228_10 Depth=1
	s_or_b32 exec_lo, exec_lo, s16
	s_delay_alu instid0(VALU_DEP_1) | instskip(NEXT) | instid1(VALU_DEP_2)
	v_dual_lshlrev_b32 v1, 24, v1 :: v_dual_lshlrev_b32 v2, 20, v4
	v_lshl_add_u32 v0, v0, 23, 0x3c000000
	s_delay_alu instid0(VALU_DEP_2) | instskip(NEXT) | instid1(VALU_DEP_1)
	v_and_b32_e32 v1, 0x80000000, v1
	v_or3_b32 v3, v2, v1, v0
	v_dual_mov_b32 v1, v5 :: v_dual_mov_b32 v2, v5
	s_clause 0x1
	scratch_store_b64 off, v[0:1], s32 offset:192
	scratch_store_b64 off, v[2:3], s32 offset:692
.LBB228_520:                            ;   in Loop: Header=BB228_10 Depth=1
	s_wait_xcnt 0x0
	s_or_b32 exec_lo, exec_lo, s11
.LBB228_521:                            ;   in Loop: Header=BB228_10 Depth=1
	s_delay_alu instid0(SALU_CYCLE_1)
	s_or_b32 exec_lo, exec_lo, s9
.LBB228_522:                            ;   in Loop: Header=BB228_10 Depth=1
	s_delay_alu instid0(SALU_CYCLE_1)
	s_or_b32 exec_lo, exec_lo, s8
	flat_load_b32 v0, v[48:49] offset:2048
	v_mov_b64_e32 v[2:3], 0
	s_mov_b32 s8, exec_lo
	scratch_store_b64 off, v[2:3], s32 offset:708 ; 8-byte Folded Spill
	s_wait_xcnt 0x0
	v_mov_b64_e32 v[2:3], 0
	scratch_store_b64 off, v[2:3], s32 offset:716 ; 8-byte Folded Spill
	s_wait_loadcnt_dscnt 0x0
	v_and_b32_e32 v1, 0xff, v0
	s_wait_xcnt 0x0
	s_delay_alu instid0(VALU_DEP_1)
	v_cmpx_ne_u16_e32 0, v1
	s_cbranch_execz .LBB228_530
; %bb.523:                              ;   in Loop: Header=BB228_10 Depth=1
	v_mov_b64_e32 v[2:3], 0x80000000
	s_mov_b32 s9, exec_lo
	scratch_store_b64 off, v[2:3], s32 offset:716 ; 8-byte Folded Spill
	s_wait_xcnt 0x0
	v_cmpx_ne_u16_e32 0x80, v1
	s_cbranch_execz .LBB228_529
; %bb.524:                              ;   in Loop: Header=BB228_10 Depth=1
	v_mov_b64_e32 v[4:5], 0x7f800001
	v_and_b32_e32 v2, 0x7f, v0
	s_mov_b32 s11, exec_lo
	scratch_store_b64 off, v[4:5], s32 offset:716 ; 8-byte Folded Spill
	s_wait_xcnt 0x0
	v_cmpx_ne_u32_e32 0x7f, v2
	s_cbranch_execz .LBB228_528
; %bb.525:                              ;   in Loop: Header=BB228_10 Depth=1
	scratch_load_b64 v[4:5], off, s32 offset:192 th:TH_LOAD_LU ; 8-byte Folded Reload
	s_wait_loadcnt 0x0
	v_dual_lshrrev_b32 v1, 3, v2 :: v_dual_bitop2_b32 v4, 7, v0 bitop3:0x40
	s_mov_b32 s16, exec_lo
	s_wait_xcnt 0x0
	v_cmpx_gt_u32_e32 8, v2
; %bb.526:                              ;   in Loop: Header=BB228_10 Depth=1
	s_delay_alu instid0(VALU_DEP_2) | instskip(NEXT) | instid1(VALU_DEP_1)
	v_clz_i32_u32_e32 v1, v4
	v_min_u32_e32 v1, 32, v1
	s_delay_alu instid0(VALU_DEP_1) | instskip(NEXT) | instid1(VALU_DEP_1)
	v_subrev_nc_u32_e32 v2, 28, v1
	v_lshlrev_b64_e32 v[2:3], v2, v[4:5]
	s_delay_alu instid0(VALU_DEP_1)
	v_dual_sub_nc_u32 v1, 29, v1 :: v_dual_bitop2_b32 v4, 7, v2 bitop3:0x40
; %bb.527:                              ;   in Loop: Header=BB228_10 Depth=1
	s_or_b32 exec_lo, exec_lo, s16
	v_lshlrev_b32_e32 v2, 24, v0
	s_delay_alu instid0(VALU_DEP_2) | instskip(NEXT) | instid1(VALU_DEP_3)
	v_lshlrev_b32_e32 v3, 20, v4
	v_lshl_add_u32 v1, v1, 23, 0x3c000000
	s_delay_alu instid0(VALU_DEP_3) | instskip(NEXT) | instid1(VALU_DEP_1)
	v_and_b32_e32 v2, 0x80000000, v2
	v_or3_b32 v4, v3, v2, v1
	v_mov_b32_e32 v1, v5
	s_clause 0x1
	scratch_store_b64 off, v[0:1], s32 offset:192
	scratch_store_b64 off, v[4:5], s32 offset:716
.LBB228_528:                            ;   in Loop: Header=BB228_10 Depth=1
	s_wait_xcnt 0x0
	s_or_b32 exec_lo, exec_lo, s11
.LBB228_529:                            ;   in Loop: Header=BB228_10 Depth=1
	s_delay_alu instid0(SALU_CYCLE_1)
	s_or_b32 exec_lo, exec_lo, s9
.LBB228_530:                            ;   in Loop: Header=BB228_10 Depth=1
	s_delay_alu instid0(SALU_CYCLE_1) | instskip(SKIP_2) | instid1(VALU_DEP_1)
	s_or_b32 exec_lo, exec_lo, s8
	v_lshrrev_b16 v1, 8, v0
	s_mov_b32 s8, exec_lo
	v_cmpx_ne_u16_e32 0, v1
	s_cbranch_execz .LBB228_538
; %bb.531:                              ;   in Loop: Header=BB228_10 Depth=1
	v_mov_b64_e32 v[2:3], 0x8000000000000000
	s_mov_b32 s9, exec_lo
	scratch_store_b64 off, v[2:3], s32 offset:708 ; 8-byte Folded Spill
	s_wait_xcnt 0x0
	v_cmpx_ne_u16_e32 0x80, v1
	s_cbranch_execz .LBB228_537
; %bb.532:                              ;   in Loop: Header=BB228_10 Depth=1
	v_and_b32_e32 v1, 0xffff, v1
	v_mov_b64_e32 v[4:5], 0x7f80000100000000
	s_mov_b32 s11, exec_lo
	s_delay_alu instid0(VALU_DEP_2)
	v_and_b32_e32 v2, 0x7f, v1
	scratch_store_b64 off, v[4:5], s32 offset:708 ; 8-byte Folded Spill
	s_wait_xcnt 0x0
	v_cmpx_ne_u32_e32 0x7f, v2
	s_cbranch_execz .LBB228_536
; %bb.533:                              ;   in Loop: Header=BB228_10 Depth=1
	scratch_load_b64 v[4:5], off, s32 offset:192 th:TH_LOAD_LU ; 8-byte Folded Reload
	s_wait_loadcnt 0x0
	v_dual_lshrrev_b32 v1, 3, v2 :: v_dual_bitop2_b32 v4, 7, v1 bitop3:0x40
	s_mov_b32 s16, exec_lo
	s_wait_xcnt 0x0
	v_cmpx_gt_u32_e32 8, v2
; %bb.534:                              ;   in Loop: Header=BB228_10 Depth=1
	s_delay_alu instid0(VALU_DEP_2) | instskip(NEXT) | instid1(VALU_DEP_1)
	v_clz_i32_u32_e32 v1, v4
	v_min_u32_e32 v1, 32, v1
	s_delay_alu instid0(VALU_DEP_1) | instskip(NEXT) | instid1(VALU_DEP_1)
	v_subrev_nc_u32_e32 v2, 28, v1
	v_lshlrev_b64_e32 v[2:3], v2, v[4:5]
	s_delay_alu instid0(VALU_DEP_1)
	v_dual_sub_nc_u32 v1, 29, v1 :: v_dual_bitop2_b32 v4, 7, v2 bitop3:0x40
; %bb.535:                              ;   in Loop: Header=BB228_10 Depth=1
	s_or_b32 exec_lo, exec_lo, s16
	v_lshlrev_b32_e32 v2, 16, v0
	s_delay_alu instid0(VALU_DEP_2) | instskip(NEXT) | instid1(VALU_DEP_3)
	v_lshlrev_b32_e32 v3, 20, v4
	v_lshl_add_u32 v1, v1, 23, 0x3c000000
	s_delay_alu instid0(VALU_DEP_3) | instskip(NEXT) | instid1(VALU_DEP_1)
	v_and_b32_e32 v2, 0x80000000, v2
	v_or3_b32 v3, v3, v2, v1
	v_dual_mov_b32 v1, v5 :: v_dual_mov_b32 v2, v5
	s_clause 0x1
	scratch_store_b64 off, v[0:1], s32 offset:192
	scratch_store_b64 off, v[2:3], s32 offset:708
.LBB228_536:                            ;   in Loop: Header=BB228_10 Depth=1
	s_wait_xcnt 0x0
	s_or_b32 exec_lo, exec_lo, s11
.LBB228_537:                            ;   in Loop: Header=BB228_10 Depth=1
	s_delay_alu instid0(SALU_CYCLE_1)
	s_or_b32 exec_lo, exec_lo, s9
.LBB228_538:                            ;   in Loop: Header=BB228_10 Depth=1
	s_delay_alu instid0(SALU_CYCLE_1) | instskip(SKIP_3) | instid1(VALU_DEP_1)
	s_or_b32 exec_lo, exec_lo, s8
	v_mov_b64_e32 v[4:5], 0
	v_lshrrev_b32_e32 v1, 16, v0
	s_mov_b32 s8, exec_lo
	v_and_b32_e32 v2, 0xff, v1
	scratch_store_b64 off, v[4:5], s32 offset:724 ; 8-byte Folded Spill
	s_wait_xcnt 0x0
	v_mov_b64_e32 v[4:5], 0
	scratch_store_b64 off, v[4:5], s32 offset:732 ; 8-byte Folded Spill
	s_wait_xcnt 0x0
	v_cmpx_ne_u16_e32 0, v2
	s_cbranch_execz .LBB228_546
; %bb.539:                              ;   in Loop: Header=BB228_10 Depth=1
	v_cmp_ne_u16_e64 s1, 0x80, v2
	v_mov_b64_e32 v[2:3], 0x80000000
	scratch_store_b64 off, v[2:3], s32 offset:732 ; 8-byte Folded Spill
	s_wait_xcnt 0x0
	s_and_saveexec_b32 s9, s1
	s_cbranch_execz .LBB228_545
; %bb.540:                              ;   in Loop: Header=BB228_10 Depth=1
	v_mov_b64_e32 v[4:5], 0x7f800001
	v_bfe_u32 v3, v0, 16, 7
	s_mov_b32 s11, exec_lo
	scratch_store_b64 off, v[4:5], s32 offset:732 ; 8-byte Folded Spill
	s_wait_xcnt 0x0
	v_cmpx_ne_u32_e32 0x7f, v3
	s_cbranch_execz .LBB228_544
; %bb.541:                              ;   in Loop: Header=BB228_10 Depth=1
	scratch_load_b64 v[6:7], off, s32 offset:192 th:TH_LOAD_LU ; 8-byte Folded Reload
	s_wait_loadcnt 0x0
	v_dual_lshrrev_b32 v2, 3, v3 :: v_dual_bitop2_b32 v6, 7, v1 bitop3:0x40
	s_mov_b32 s16, exec_lo
	s_wait_xcnt 0x0
	v_cmpx_gt_u32_e32 8, v3
; %bb.542:                              ;   in Loop: Header=BB228_10 Depth=1
	s_delay_alu instid0(VALU_DEP_2) | instskip(NEXT) | instid1(VALU_DEP_1)
	v_clz_i32_u32_e32 v2, v6
	v_min_u32_e32 v2, 32, v2
	s_delay_alu instid0(VALU_DEP_1) | instskip(NEXT) | instid1(VALU_DEP_1)
	v_subrev_nc_u32_e32 v3, 28, v2
	v_lshlrev_b64_e32 v[4:5], v3, v[6:7]
	s_delay_alu instid0(VALU_DEP_1)
	v_dual_sub_nc_u32 v2, 29, v2 :: v_dual_bitop2_b32 v6, 7, v4 bitop3:0x40
; %bb.543:                              ;   in Loop: Header=BB228_10 Depth=1
	s_or_b32 exec_lo, exec_lo, s16
	s_delay_alu instid0(VALU_DEP_1) | instskip(NEXT) | instid1(VALU_DEP_2)
	v_dual_lshlrev_b32 v1, 24, v1 :: v_dual_lshlrev_b32 v3, 20, v6
	v_lshl_add_u32 v2, v2, 23, 0x3c000000
	s_delay_alu instid0(VALU_DEP_2) | instskip(NEXT) | instid1(VALU_DEP_1)
	v_and_b32_e32 v1, 0x80000000, v1
	v_or3_b32 v6, v3, v1, v2
	v_mov_b32_e32 v1, v7
	s_clause 0x1
	scratch_store_b64 off, v[0:1], s32 offset:192
	scratch_store_b64 off, v[6:7], s32 offset:732
.LBB228_544:                            ;   in Loop: Header=BB228_10 Depth=1
	s_wait_xcnt 0x0
	s_or_b32 exec_lo, exec_lo, s11
.LBB228_545:                            ;   in Loop: Header=BB228_10 Depth=1
	s_delay_alu instid0(SALU_CYCLE_1)
	s_or_b32 exec_lo, exec_lo, s9
.LBB228_546:                            ;   in Loop: Header=BB228_10 Depth=1
	s_delay_alu instid0(SALU_CYCLE_1) | instskip(NEXT) | instid1(SALU_CYCLE_1)
	s_or_b32 exec_lo, exec_lo, s8
	s_mov_b32 s8, exec_lo
	v_cmpx_lt_u32_e32 0xffffff, v0
	s_cbranch_execz .LBB228_554
; %bb.547:                              ;   in Loop: Header=BB228_10 Depth=1
	v_mov_b64_e32 v[2:3], 0x8000000000000000
	v_lshrrev_b32_e32 v1, 24, v0
	s_mov_b32 s9, exec_lo
	scratch_store_b64 off, v[2:3], s32 offset:724 ; 8-byte Folded Spill
	s_wait_xcnt 0x0
	v_cmpx_ne_u32_e32 0x80, v1
	s_cbranch_execz .LBB228_553
; %bb.548:                              ;   in Loop: Header=BB228_10 Depth=1
	v_mov_b64_e32 v[4:5], 0x7f80000100000000
	v_bfe_u32 v2, v0, 24, 7
	s_mov_b32 s11, exec_lo
	scratch_store_b64 off, v[4:5], s32 offset:724 ; 8-byte Folded Spill
	s_wait_xcnt 0x0
	v_cmpx_ne_u32_e32 0x7f, v2
	s_cbranch_execz .LBB228_552
; %bb.549:                              ;   in Loop: Header=BB228_10 Depth=1
	scratch_load_b64 v[4:5], off, s32 offset:192 th:TH_LOAD_LU ; 8-byte Folded Reload
	s_wait_loadcnt 0x0
	v_dual_lshrrev_b32 v0, 3, v2 :: v_dual_bitop2_b32 v4, 7, v1 bitop3:0x40
	s_mov_b32 s16, exec_lo
	s_wait_xcnt 0x0
	v_cmpx_gt_u32_e32 8, v2
; %bb.550:                              ;   in Loop: Header=BB228_10 Depth=1
	s_delay_alu instid0(VALU_DEP_2) | instskip(NEXT) | instid1(VALU_DEP_1)
	v_clz_i32_u32_e32 v0, v4
	v_min_u32_e32 v0, 32, v0
	s_delay_alu instid0(VALU_DEP_1) | instskip(NEXT) | instid1(VALU_DEP_1)
	v_subrev_nc_u32_e32 v2, 28, v0
	v_lshlrev_b64_e32 v[2:3], v2, v[4:5]
	s_delay_alu instid0(VALU_DEP_1)
	v_dual_sub_nc_u32 v0, 29, v0 :: v_dual_bitop2_b32 v4, 7, v2 bitop3:0x40
; %bb.551:                              ;   in Loop: Header=BB228_10 Depth=1
	s_or_b32 exec_lo, exec_lo, s16
	s_delay_alu instid0(VALU_DEP_1) | instskip(NEXT) | instid1(VALU_DEP_2)
	v_dual_lshlrev_b32 v1, 24, v1 :: v_dual_lshlrev_b32 v2, 20, v4
	v_lshl_add_u32 v0, v0, 23, 0x3c000000
	s_delay_alu instid0(VALU_DEP_2) | instskip(NEXT) | instid1(VALU_DEP_1)
	v_and_b32_e32 v1, 0x80000000, v1
	v_or3_b32 v3, v2, v1, v0
	v_dual_mov_b32 v1, v5 :: v_dual_mov_b32 v2, v5
	s_clause 0x1
	scratch_store_b64 off, v[0:1], s32 offset:192
	scratch_store_b64 off, v[2:3], s32 offset:724
.LBB228_552:                            ;   in Loop: Header=BB228_10 Depth=1
	s_wait_xcnt 0x0
	s_or_b32 exec_lo, exec_lo, s11
.LBB228_553:                            ;   in Loop: Header=BB228_10 Depth=1
	s_delay_alu instid0(SALU_CYCLE_1)
	s_or_b32 exec_lo, exec_lo, s9
.LBB228_554:                            ;   in Loop: Header=BB228_10 Depth=1
	s_delay_alu instid0(SALU_CYCLE_1)
	s_or_b32 exec_lo, exec_lo, s8
	flat_load_b32 v0, v[48:49] offset:2052
	v_mov_b64_e32 v[2:3], 0
	s_mov_b32 s8, exec_lo
	scratch_store_b64 off, v[2:3], s32 offset:740 ; 8-byte Folded Spill
	s_wait_xcnt 0x0
	v_mov_b64_e32 v[2:3], 0
	scratch_store_b64 off, v[2:3], s32 offset:748 ; 8-byte Folded Spill
	s_wait_loadcnt_dscnt 0x0
	v_and_b32_e32 v1, 0xff, v0
	s_wait_xcnt 0x0
	s_delay_alu instid0(VALU_DEP_1)
	v_cmpx_ne_u16_e32 0, v1
	s_cbranch_execz .LBB228_562
; %bb.555:                              ;   in Loop: Header=BB228_10 Depth=1
	v_mov_b64_e32 v[2:3], 0x80000000
	s_mov_b32 s9, exec_lo
	scratch_store_b64 off, v[2:3], s32 offset:748 ; 8-byte Folded Spill
	s_wait_xcnt 0x0
	v_cmpx_ne_u16_e32 0x80, v1
	s_cbranch_execz .LBB228_561
; %bb.556:                              ;   in Loop: Header=BB228_10 Depth=1
	v_mov_b64_e32 v[4:5], 0x7f800001
	v_and_b32_e32 v2, 0x7f, v0
	s_mov_b32 s11, exec_lo
	scratch_store_b64 off, v[4:5], s32 offset:748 ; 8-byte Folded Spill
	s_wait_xcnt 0x0
	v_cmpx_ne_u32_e32 0x7f, v2
	s_cbranch_execz .LBB228_560
; %bb.557:                              ;   in Loop: Header=BB228_10 Depth=1
	scratch_load_b64 v[4:5], off, s32 offset:192 th:TH_LOAD_LU ; 8-byte Folded Reload
	s_wait_loadcnt 0x0
	v_dual_lshrrev_b32 v1, 3, v2 :: v_dual_bitop2_b32 v4, 7, v0 bitop3:0x40
	s_mov_b32 s16, exec_lo
	s_wait_xcnt 0x0
	v_cmpx_gt_u32_e32 8, v2
; %bb.558:                              ;   in Loop: Header=BB228_10 Depth=1
	s_delay_alu instid0(VALU_DEP_2) | instskip(NEXT) | instid1(VALU_DEP_1)
	v_clz_i32_u32_e32 v1, v4
	v_min_u32_e32 v1, 32, v1
	s_delay_alu instid0(VALU_DEP_1) | instskip(NEXT) | instid1(VALU_DEP_1)
	v_subrev_nc_u32_e32 v2, 28, v1
	v_lshlrev_b64_e32 v[2:3], v2, v[4:5]
	s_delay_alu instid0(VALU_DEP_1)
	v_dual_sub_nc_u32 v1, 29, v1 :: v_dual_bitop2_b32 v4, 7, v2 bitop3:0x40
; %bb.559:                              ;   in Loop: Header=BB228_10 Depth=1
	s_or_b32 exec_lo, exec_lo, s16
	v_lshlrev_b32_e32 v2, 24, v0
	s_delay_alu instid0(VALU_DEP_2) | instskip(NEXT) | instid1(VALU_DEP_3)
	v_lshlrev_b32_e32 v3, 20, v4
	v_lshl_add_u32 v1, v1, 23, 0x3c000000
	s_delay_alu instid0(VALU_DEP_3) | instskip(NEXT) | instid1(VALU_DEP_1)
	v_and_b32_e32 v2, 0x80000000, v2
	v_or3_b32 v4, v3, v2, v1
	v_mov_b32_e32 v1, v5
	s_clause 0x1
	scratch_store_b64 off, v[0:1], s32 offset:192
	scratch_store_b64 off, v[4:5], s32 offset:748
.LBB228_560:                            ;   in Loop: Header=BB228_10 Depth=1
	s_wait_xcnt 0x0
	s_or_b32 exec_lo, exec_lo, s11
.LBB228_561:                            ;   in Loop: Header=BB228_10 Depth=1
	s_delay_alu instid0(SALU_CYCLE_1)
	s_or_b32 exec_lo, exec_lo, s9
.LBB228_562:                            ;   in Loop: Header=BB228_10 Depth=1
	s_delay_alu instid0(SALU_CYCLE_1) | instskip(SKIP_2) | instid1(VALU_DEP_1)
	s_or_b32 exec_lo, exec_lo, s8
	v_lshrrev_b16 v1, 8, v0
	s_mov_b32 s8, exec_lo
	v_cmpx_ne_u16_e32 0, v1
	s_cbranch_execz .LBB228_570
; %bb.563:                              ;   in Loop: Header=BB228_10 Depth=1
	v_mov_b64_e32 v[2:3], 0x8000000000000000
	s_mov_b32 s9, exec_lo
	scratch_store_b64 off, v[2:3], s32 offset:740 ; 8-byte Folded Spill
	s_wait_xcnt 0x0
	v_cmpx_ne_u16_e32 0x80, v1
	s_cbranch_execz .LBB228_569
; %bb.564:                              ;   in Loop: Header=BB228_10 Depth=1
	v_and_b32_e32 v1, 0xffff, v1
	v_mov_b64_e32 v[4:5], 0x7f80000100000000
	s_mov_b32 s11, exec_lo
	s_delay_alu instid0(VALU_DEP_2)
	v_and_b32_e32 v2, 0x7f, v1
	scratch_store_b64 off, v[4:5], s32 offset:740 ; 8-byte Folded Spill
	s_wait_xcnt 0x0
	v_cmpx_ne_u32_e32 0x7f, v2
	s_cbranch_execz .LBB228_568
; %bb.565:                              ;   in Loop: Header=BB228_10 Depth=1
	scratch_load_b64 v[4:5], off, s32 offset:192 th:TH_LOAD_LU ; 8-byte Folded Reload
	s_wait_loadcnt 0x0
	v_dual_lshrrev_b32 v1, 3, v2 :: v_dual_bitop2_b32 v4, 7, v1 bitop3:0x40
	s_mov_b32 s16, exec_lo
	s_wait_xcnt 0x0
	v_cmpx_gt_u32_e32 8, v2
; %bb.566:                              ;   in Loop: Header=BB228_10 Depth=1
	s_delay_alu instid0(VALU_DEP_2) | instskip(NEXT) | instid1(VALU_DEP_1)
	v_clz_i32_u32_e32 v1, v4
	v_min_u32_e32 v1, 32, v1
	s_delay_alu instid0(VALU_DEP_1) | instskip(NEXT) | instid1(VALU_DEP_1)
	v_subrev_nc_u32_e32 v2, 28, v1
	v_lshlrev_b64_e32 v[2:3], v2, v[4:5]
	s_delay_alu instid0(VALU_DEP_1)
	v_dual_sub_nc_u32 v1, 29, v1 :: v_dual_bitop2_b32 v4, 7, v2 bitop3:0x40
; %bb.567:                              ;   in Loop: Header=BB228_10 Depth=1
	s_or_b32 exec_lo, exec_lo, s16
	v_lshlrev_b32_e32 v2, 16, v0
	s_delay_alu instid0(VALU_DEP_2) | instskip(NEXT) | instid1(VALU_DEP_3)
	v_lshlrev_b32_e32 v3, 20, v4
	v_lshl_add_u32 v1, v1, 23, 0x3c000000
	s_delay_alu instid0(VALU_DEP_3) | instskip(NEXT) | instid1(VALU_DEP_1)
	v_and_b32_e32 v2, 0x80000000, v2
	v_or3_b32 v3, v3, v2, v1
	v_dual_mov_b32 v1, v5 :: v_dual_mov_b32 v2, v5
	s_clause 0x1
	scratch_store_b64 off, v[0:1], s32 offset:192
	scratch_store_b64 off, v[2:3], s32 offset:740
.LBB228_568:                            ;   in Loop: Header=BB228_10 Depth=1
	s_wait_xcnt 0x0
	s_or_b32 exec_lo, exec_lo, s11
.LBB228_569:                            ;   in Loop: Header=BB228_10 Depth=1
	s_delay_alu instid0(SALU_CYCLE_1)
	s_or_b32 exec_lo, exec_lo, s9
.LBB228_570:                            ;   in Loop: Header=BB228_10 Depth=1
	s_delay_alu instid0(SALU_CYCLE_1) | instskip(SKIP_3) | instid1(VALU_DEP_1)
	s_or_b32 exec_lo, exec_lo, s8
	v_mov_b64_e32 v[4:5], 0
	v_lshrrev_b32_e32 v1, 16, v0
	s_mov_b32 s8, exec_lo
	v_and_b32_e32 v2, 0xff, v1
	scratch_store_b64 off, v[4:5], s32 offset:772 ; 8-byte Folded Spill
	s_wait_xcnt 0x0
	v_mov_b64_e32 v[4:5], 0
	scratch_store_b64 off, v[4:5], s32 offset:756 ; 8-byte Folded Spill
	s_wait_xcnt 0x0
	v_cmpx_ne_u16_e32 0, v2
	s_cbranch_execz .LBB228_578
; %bb.571:                              ;   in Loop: Header=BB228_10 Depth=1
	v_cmp_ne_u16_e64 s1, 0x80, v2
	v_mov_b64_e32 v[2:3], 0x80000000
	scratch_store_b64 off, v[2:3], s32 offset:756 ; 8-byte Folded Spill
	s_wait_xcnt 0x0
	s_and_saveexec_b32 s9, s1
	s_cbranch_execz .LBB228_577
; %bb.572:                              ;   in Loop: Header=BB228_10 Depth=1
	v_mov_b64_e32 v[4:5], 0x7f800001
	v_bfe_u32 v3, v0, 16, 7
	s_mov_b32 s11, exec_lo
	scratch_store_b64 off, v[4:5], s32 offset:756 ; 8-byte Folded Spill
	s_wait_xcnt 0x0
	v_cmpx_ne_u32_e32 0x7f, v3
	s_cbranch_execz .LBB228_576
; %bb.573:                              ;   in Loop: Header=BB228_10 Depth=1
	scratch_load_b64 v[6:7], off, s32 offset:192 th:TH_LOAD_LU ; 8-byte Folded Reload
	s_wait_loadcnt 0x0
	v_dual_lshrrev_b32 v2, 3, v3 :: v_dual_bitop2_b32 v6, 7, v1 bitop3:0x40
	s_mov_b32 s16, exec_lo
	s_wait_xcnt 0x0
	v_cmpx_gt_u32_e32 8, v3
; %bb.574:                              ;   in Loop: Header=BB228_10 Depth=1
	s_delay_alu instid0(VALU_DEP_2) | instskip(NEXT) | instid1(VALU_DEP_1)
	v_clz_i32_u32_e32 v2, v6
	v_min_u32_e32 v2, 32, v2
	s_delay_alu instid0(VALU_DEP_1) | instskip(NEXT) | instid1(VALU_DEP_1)
	v_subrev_nc_u32_e32 v3, 28, v2
	v_lshlrev_b64_e32 v[4:5], v3, v[6:7]
	s_delay_alu instid0(VALU_DEP_1)
	v_dual_sub_nc_u32 v2, 29, v2 :: v_dual_bitop2_b32 v6, 7, v4 bitop3:0x40
; %bb.575:                              ;   in Loop: Header=BB228_10 Depth=1
	s_or_b32 exec_lo, exec_lo, s16
	s_delay_alu instid0(VALU_DEP_1) | instskip(NEXT) | instid1(VALU_DEP_2)
	v_dual_lshlrev_b32 v1, 24, v1 :: v_dual_lshlrev_b32 v3, 20, v6
	v_lshl_add_u32 v2, v2, 23, 0x3c000000
	s_delay_alu instid0(VALU_DEP_2) | instskip(NEXT) | instid1(VALU_DEP_1)
	v_and_b32_e32 v1, 0x80000000, v1
	v_or3_b32 v6, v3, v1, v2
	v_mov_b32_e32 v1, v7
	s_clause 0x1
	scratch_store_b64 off, v[0:1], s32 offset:192
	scratch_store_b64 off, v[6:7], s32 offset:756
.LBB228_576:                            ;   in Loop: Header=BB228_10 Depth=1
	s_wait_xcnt 0x0
	s_or_b32 exec_lo, exec_lo, s11
.LBB228_577:                            ;   in Loop: Header=BB228_10 Depth=1
	s_delay_alu instid0(SALU_CYCLE_1)
	s_or_b32 exec_lo, exec_lo, s9
.LBB228_578:                            ;   in Loop: Header=BB228_10 Depth=1
	s_delay_alu instid0(SALU_CYCLE_1) | instskip(NEXT) | instid1(SALU_CYCLE_1)
	s_or_b32 exec_lo, exec_lo, s8
	s_mov_b32 s8, exec_lo
	v_cmpx_lt_u32_e32 0xffffff, v0
	s_cbranch_execz .LBB228_586
; %bb.579:                              ;   in Loop: Header=BB228_10 Depth=1
	v_mov_b64_e32 v[2:3], 0x8000000000000000
	v_lshrrev_b32_e32 v1, 24, v0
	s_mov_b32 s9, exec_lo
	scratch_store_b64 off, v[2:3], s32 offset:772 ; 8-byte Folded Spill
	s_wait_xcnt 0x0
	v_cmpx_ne_u32_e32 0x80, v1
	s_cbranch_execz .LBB228_585
; %bb.580:                              ;   in Loop: Header=BB228_10 Depth=1
	v_mov_b64_e32 v[4:5], 0x7f80000100000000
	v_bfe_u32 v2, v0, 24, 7
	s_mov_b32 s11, exec_lo
	scratch_store_b64 off, v[4:5], s32 offset:772 ; 8-byte Folded Spill
	s_wait_xcnt 0x0
	v_cmpx_ne_u32_e32 0x7f, v2
	s_cbranch_execz .LBB228_584
; %bb.581:                              ;   in Loop: Header=BB228_10 Depth=1
	scratch_load_b64 v[4:5], off, s32 offset:192 th:TH_LOAD_LU ; 8-byte Folded Reload
	s_wait_loadcnt 0x0
	v_dual_lshrrev_b32 v0, 3, v2 :: v_dual_bitop2_b32 v4, 7, v1 bitop3:0x40
	s_mov_b32 s16, exec_lo
	s_wait_xcnt 0x0
	v_cmpx_gt_u32_e32 8, v2
; %bb.582:                              ;   in Loop: Header=BB228_10 Depth=1
	s_delay_alu instid0(VALU_DEP_2) | instskip(NEXT) | instid1(VALU_DEP_1)
	v_clz_i32_u32_e32 v0, v4
	v_min_u32_e32 v0, 32, v0
	s_delay_alu instid0(VALU_DEP_1) | instskip(NEXT) | instid1(VALU_DEP_1)
	v_subrev_nc_u32_e32 v2, 28, v0
	v_lshlrev_b64_e32 v[2:3], v2, v[4:5]
	s_delay_alu instid0(VALU_DEP_1)
	v_dual_sub_nc_u32 v0, 29, v0 :: v_dual_bitop2_b32 v4, 7, v2 bitop3:0x40
; %bb.583:                              ;   in Loop: Header=BB228_10 Depth=1
	s_or_b32 exec_lo, exec_lo, s16
	s_delay_alu instid0(VALU_DEP_1) | instskip(NEXT) | instid1(VALU_DEP_2)
	v_dual_lshlrev_b32 v1, 24, v1 :: v_dual_lshlrev_b32 v2, 20, v4
	v_lshl_add_u32 v0, v0, 23, 0x3c000000
	s_delay_alu instid0(VALU_DEP_2) | instskip(NEXT) | instid1(VALU_DEP_1)
	v_and_b32_e32 v1, 0x80000000, v1
	v_or3_b32 v3, v2, v1, v0
	v_dual_mov_b32 v1, v5 :: v_dual_mov_b32 v2, v5
	s_clause 0x1
	scratch_store_b64 off, v[0:1], s32 offset:192
	scratch_store_b64 off, v[2:3], s32 offset:772
.LBB228_584:                            ;   in Loop: Header=BB228_10 Depth=1
	s_wait_xcnt 0x0
	s_or_b32 exec_lo, exec_lo, s11
.LBB228_585:                            ;   in Loop: Header=BB228_10 Depth=1
	s_delay_alu instid0(SALU_CYCLE_1)
	s_or_b32 exec_lo, exec_lo, s9
.LBB228_586:                            ;   in Loop: Header=BB228_10 Depth=1
	s_delay_alu instid0(SALU_CYCLE_1)
	s_or_b32 exec_lo, exec_lo, s8
	flat_load_b32 v0, v[48:49] offset:2056
	v_mov_b64_e32 v[54:55], 0
	v_mov_b64_e32 v[2:3], 0
	s_mov_b32 s8, exec_lo
	scratch_store_b64 off, v[2:3], s32 offset:764 ; 8-byte Folded Spill
	s_wait_loadcnt_dscnt 0x0
	v_and_b32_e32 v1, 0xff, v0
	s_wait_xcnt 0x0
	s_delay_alu instid0(VALU_DEP_1)
	v_cmpx_ne_u16_e32 0, v1
	s_cbranch_execz .LBB228_594
; %bb.587:                              ;   in Loop: Header=BB228_10 Depth=1
	v_mov_b64_e32 v[2:3], 0x80000000
	s_mov_b32 s9, exec_lo
	scratch_store_b64 off, v[2:3], s32 offset:764 ; 8-byte Folded Spill
	s_wait_xcnt 0x0
	v_cmpx_ne_u16_e32 0x80, v1
	s_cbranch_execz .LBB228_593
; %bb.588:                              ;   in Loop: Header=BB228_10 Depth=1
	v_mov_b64_e32 v[4:5], 0x7f800001
	v_and_b32_e32 v2, 0x7f, v0
	s_mov_b32 s11, exec_lo
	scratch_store_b64 off, v[4:5], s32 offset:764 ; 8-byte Folded Spill
	s_wait_xcnt 0x0
	v_cmpx_ne_u32_e32 0x7f, v2
	s_cbranch_execz .LBB228_592
; %bb.589:                              ;   in Loop: Header=BB228_10 Depth=1
	scratch_load_b64 v[84:85], off, s32 offset:192 th:TH_LOAD_LU ; 8-byte Folded Reload
	s_wait_loadcnt 0x0
	v_dual_lshrrev_b32 v1, 3, v2 :: v_dual_bitop2_b32 v84, 7, v0 bitop3:0x40
	s_mov_b32 s16, exec_lo
	s_wait_xcnt 0x0
	v_cmpx_gt_u32_e32 8, v2
; %bb.590:                              ;   in Loop: Header=BB228_10 Depth=1
	s_delay_alu instid0(VALU_DEP_2) | instskip(NEXT) | instid1(VALU_DEP_1)
	v_clz_i32_u32_e32 v1, v84
	v_min_u32_e32 v1, 32, v1
	s_delay_alu instid0(VALU_DEP_1) | instskip(NEXT) | instid1(VALU_DEP_1)
	v_subrev_nc_u32_e32 v2, 28, v1
	v_lshlrev_b64_e32 v[2:3], v2, v[84:85]
	s_delay_alu instid0(VALU_DEP_1)
	v_dual_sub_nc_u32 v1, 29, v1 :: v_dual_bitop2_b32 v84, 7, v2 bitop3:0x40
; %bb.591:                              ;   in Loop: Header=BB228_10 Depth=1
	s_or_b32 exec_lo, exec_lo, s16
	v_lshlrev_b32_e32 v2, 24, v0
	s_delay_alu instid0(VALU_DEP_2) | instskip(NEXT) | instid1(VALU_DEP_3)
	v_lshlrev_b32_e32 v3, 20, v84
	v_lshl_add_u32 v1, v1, 23, 0x3c000000
	s_delay_alu instid0(VALU_DEP_3) | instskip(NEXT) | instid1(VALU_DEP_1)
	v_and_b32_e32 v2, 0x80000000, v2
	v_or3_b32 v84, v3, v2, v1
	v_mov_b32_e32 v1, v85
	s_clause 0x1
	scratch_store_b64 off, v[0:1], s32 offset:192
	scratch_store_b64 off, v[84:85], s32 offset:764
.LBB228_592:                            ;   in Loop: Header=BB228_10 Depth=1
	s_wait_xcnt 0x0
	s_or_b32 exec_lo, exec_lo, s11
.LBB228_593:                            ;   in Loop: Header=BB228_10 Depth=1
	s_delay_alu instid0(SALU_CYCLE_1)
	s_or_b32 exec_lo, exec_lo, s9
.LBB228_594:                            ;   in Loop: Header=BB228_10 Depth=1
	s_delay_alu instid0(SALU_CYCLE_1) | instskip(SKIP_2) | instid1(VALU_DEP_1)
	s_or_b32 exec_lo, exec_lo, s8
	v_lshrrev_b16 v1, 8, v0
	s_mov_b32 s8, exec_lo
	v_cmpx_ne_u16_e32 0, v1
	s_cbranch_execz .LBB228_602
; %bb.595:                              ;   in Loop: Header=BB228_10 Depth=1
	v_mov_b64_e32 v[54:55], 0x8000000000000000
	s_mov_b32 s9, exec_lo
	v_cmpx_ne_u16_e32 0x80, v1
	s_cbranch_execz .LBB228_601
; %bb.596:                              ;   in Loop: Header=BB228_10 Depth=1
	v_and_b32_e32 v1, 0xffff, v1
	v_mov_b64_e32 v[54:55], 0x7f80000100000000
	s_mov_b32 s11, exec_lo
	s_delay_alu instid0(VALU_DEP_2) | instskip(NEXT) | instid1(VALU_DEP_1)
	v_and_b32_e32 v2, 0x7f, v1
	v_cmpx_ne_u32_e32 0x7f, v2
	s_cbranch_execz .LBB228_600
; %bb.597:                              ;   in Loop: Header=BB228_10 Depth=1
	scratch_load_b64 v[4:5], off, s32 offset:192 th:TH_LOAD_LU ; 8-byte Folded Reload
	s_wait_loadcnt 0x0
	v_dual_lshrrev_b32 v1, 3, v2 :: v_dual_bitop2_b32 v4, 7, v1 bitop3:0x40
	s_mov_b32 s16, exec_lo
	s_wait_xcnt 0x0
	v_cmpx_gt_u32_e32 8, v2
; %bb.598:                              ;   in Loop: Header=BB228_10 Depth=1
	s_delay_alu instid0(VALU_DEP_2) | instskip(NEXT) | instid1(VALU_DEP_1)
	v_clz_i32_u32_e32 v1, v4
	v_min_u32_e32 v1, 32, v1
	s_delay_alu instid0(VALU_DEP_1) | instskip(NEXT) | instid1(VALU_DEP_1)
	v_subrev_nc_u32_e32 v2, 28, v1
	v_lshlrev_b64_e32 v[2:3], v2, v[4:5]
	s_delay_alu instid0(VALU_DEP_1)
	v_dual_sub_nc_u32 v1, 29, v1 :: v_dual_bitop2_b32 v4, 7, v2 bitop3:0x40
; %bb.599:                              ;   in Loop: Header=BB228_10 Depth=1
	s_or_b32 exec_lo, exec_lo, s16
	v_lshlrev_b32_e32 v2, 16, v0
	s_delay_alu instid0(VALU_DEP_2) | instskip(NEXT) | instid1(VALU_DEP_3)
	v_dual_mov_b32 v54, v5 :: v_dual_lshlrev_b32 v3, 20, v4
	v_lshl_add_u32 v1, v1, 23, 0x3c000000
	s_delay_alu instid0(VALU_DEP_3) | instskip(NEXT) | instid1(VALU_DEP_1)
	v_and_b32_e32 v2, 0x80000000, v2
	v_or3_b32 v55, v3, v2, v1
	v_mov_b32_e32 v1, v5
	scratch_store_b64 off, v[0:1], s32 offset:192 ; 8-byte Folded Spill
.LBB228_600:                            ;   in Loop: Header=BB228_10 Depth=1
	s_wait_xcnt 0x0
	s_or_b32 exec_lo, exec_lo, s11
.LBB228_601:                            ;   in Loop: Header=BB228_10 Depth=1
	s_delay_alu instid0(SALU_CYCLE_1)
	s_or_b32 exec_lo, exec_lo, s9
.LBB228_602:                            ;   in Loop: Header=BB228_10 Depth=1
	s_delay_alu instid0(SALU_CYCLE_1) | instskip(SKIP_4) | instid1(VALU_DEP_3)
	s_or_b32 exec_lo, exec_lo, s8
	v_lshrrev_b32_e32 v1, 16, v0
	v_mov_b64_e32 v[66:67], 0
	v_mov_b64_e32 v[96:97], 0
	s_mov_b32 s8, exec_lo
	v_and_b32_e32 v2, 0xff, v1
	s_delay_alu instid0(VALU_DEP_1)
	v_cmpx_ne_u16_e32 0, v2
	s_cbranch_execz .LBB228_610
; %bb.603:                              ;   in Loop: Header=BB228_10 Depth=1
	v_mov_b64_e32 v[96:97], 0x80000000
	s_mov_b32 s9, exec_lo
	v_cmpx_ne_u16_e32 0x80, v2
	s_cbranch_execz .LBB228_609
; %bb.604:                              ;   in Loop: Header=BB228_10 Depth=1
	v_mov_b64_e32 v[96:97], 0x7f800001
	v_bfe_u32 v3, v0, 16, 7
	s_mov_b32 s11, exec_lo
	s_delay_alu instid0(VALU_DEP_1)
	v_cmpx_ne_u32_e32 0x7f, v3
	s_cbranch_execz .LBB228_608
; %bb.605:                              ;   in Loop: Header=BB228_10 Depth=1
	scratch_load_b64 v[96:97], off, s32 offset:192 th:TH_LOAD_LU ; 8-byte Folded Reload
	s_wait_loadcnt 0x0
	v_dual_lshrrev_b32 v2, 3, v3 :: v_dual_bitop2_b32 v96, 7, v1 bitop3:0x40
	s_mov_b32 s16, exec_lo
	s_wait_xcnt 0x0
	v_cmpx_gt_u32_e32 8, v3
; %bb.606:                              ;   in Loop: Header=BB228_10 Depth=1
	s_delay_alu instid0(VALU_DEP_2) | instskip(NEXT) | instid1(VALU_DEP_1)
	v_clz_i32_u32_e32 v2, v96
	v_min_u32_e32 v2, 32, v2
	s_delay_alu instid0(VALU_DEP_1) | instskip(NEXT) | instid1(VALU_DEP_1)
	v_subrev_nc_u32_e32 v3, 28, v2
	v_lshlrev_b64_e32 v[4:5], v3, v[96:97]
	s_delay_alu instid0(VALU_DEP_1)
	v_dual_sub_nc_u32 v2, 29, v2 :: v_dual_bitop2_b32 v96, 7, v4 bitop3:0x40
; %bb.607:                              ;   in Loop: Header=BB228_10 Depth=1
	s_or_b32 exec_lo, exec_lo, s16
	s_delay_alu instid0(VALU_DEP_1) | instskip(NEXT) | instid1(VALU_DEP_2)
	v_dual_lshlrev_b32 v1, 24, v1 :: v_dual_lshlrev_b32 v3, 20, v96
	v_lshl_add_u32 v2, v2, 23, 0x3c000000
	s_delay_alu instid0(VALU_DEP_2) | instskip(NEXT) | instid1(VALU_DEP_1)
	v_and_b32_e32 v1, 0x80000000, v1
	v_or3_b32 v96, v3, v1, v2
	v_mov_b32_e32 v1, v97
	scratch_store_b64 off, v[0:1], s32 offset:192 ; 8-byte Folded Spill
.LBB228_608:                            ;   in Loop: Header=BB228_10 Depth=1
	s_wait_xcnt 0x0
	s_or_b32 exec_lo, exec_lo, s11
.LBB228_609:                            ;   in Loop: Header=BB228_10 Depth=1
	s_delay_alu instid0(SALU_CYCLE_1)
	s_or_b32 exec_lo, exec_lo, s9
.LBB228_610:                            ;   in Loop: Header=BB228_10 Depth=1
	s_delay_alu instid0(SALU_CYCLE_1) | instskip(NEXT) | instid1(SALU_CYCLE_1)
	s_or_b32 exec_lo, exec_lo, s8
	s_mov_b32 s8, exec_lo
	v_cmpx_lt_u32_e32 0xffffff, v0
	s_cbranch_execz .LBB228_618
; %bb.611:                              ;   in Loop: Header=BB228_10 Depth=1
	v_mov_b64_e32 v[66:67], 0x8000000000000000
	v_lshrrev_b32_e32 v1, 24, v0
	s_mov_b32 s9, exec_lo
	s_delay_alu instid0(VALU_DEP_1)
	v_cmpx_ne_u32_e32 0x80, v1
	s_cbranch_execz .LBB228_617
; %bb.612:                              ;   in Loop: Header=BB228_10 Depth=1
	v_mov_b64_e32 v[66:67], 0x7f80000100000000
	v_bfe_u32 v2, v0, 24, 7
	s_mov_b32 s11, exec_lo
	s_delay_alu instid0(VALU_DEP_1)
	v_cmpx_ne_u32_e32 0x7f, v2
	s_cbranch_execz .LBB228_616
; %bb.613:                              ;   in Loop: Header=BB228_10 Depth=1
	scratch_load_b64 v[4:5], off, s32 offset:192 th:TH_LOAD_LU ; 8-byte Folded Reload
	s_wait_loadcnt 0x0
	v_dual_lshrrev_b32 v0, 3, v2 :: v_dual_bitop2_b32 v4, 7, v1 bitop3:0x40
	s_mov_b32 s16, exec_lo
	s_wait_xcnt 0x0
	v_cmpx_gt_u32_e32 8, v2
; %bb.614:                              ;   in Loop: Header=BB228_10 Depth=1
	s_delay_alu instid0(VALU_DEP_2) | instskip(NEXT) | instid1(VALU_DEP_1)
	v_clz_i32_u32_e32 v0, v4
	v_min_u32_e32 v0, 32, v0
	s_delay_alu instid0(VALU_DEP_1) | instskip(NEXT) | instid1(VALU_DEP_1)
	v_subrev_nc_u32_e32 v2, 28, v0
	v_lshlrev_b64_e32 v[2:3], v2, v[4:5]
	s_delay_alu instid0(VALU_DEP_1)
	v_dual_sub_nc_u32 v0, 29, v0 :: v_dual_bitop2_b32 v4, 7, v2 bitop3:0x40
; %bb.615:                              ;   in Loop: Header=BB228_10 Depth=1
	s_or_b32 exec_lo, exec_lo, s16
	s_delay_alu instid0(VALU_DEP_1) | instskip(NEXT) | instid1(VALU_DEP_2)
	v_dual_lshlrev_b32 v1, 24, v1 :: v_dual_lshlrev_b32 v2, 20, v4
	v_lshl_add_u32 v0, v0, 23, 0x3c000000
	v_mov_b32_e32 v66, v5
	s_delay_alu instid0(VALU_DEP_3) | instskip(NEXT) | instid1(VALU_DEP_1)
	v_and_b32_e32 v1, 0x80000000, v1
	v_or3_b32 v67, v2, v1, v0
	v_mov_b32_e32 v1, v5
	scratch_store_b64 off, v[0:1], s32 offset:192 ; 8-byte Folded Spill
.LBB228_616:                            ;   in Loop: Header=BB228_10 Depth=1
	s_wait_xcnt 0x0
	s_or_b32 exec_lo, exec_lo, s11
.LBB228_617:                            ;   in Loop: Header=BB228_10 Depth=1
	s_delay_alu instid0(SALU_CYCLE_1)
	s_or_b32 exec_lo, exec_lo, s9
.LBB228_618:                            ;   in Loop: Header=BB228_10 Depth=1
	s_delay_alu instid0(SALU_CYCLE_1)
	s_or_b32 exec_lo, exec_lo, s8
	flat_load_b32 v0, v[48:49] offset:2060
	v_mov_b64_e32 v[70:71], 0
	v_mov_b64_e32 v[100:101], 0
	s_mov_b32 s8, exec_lo
	s_wait_loadcnt_dscnt 0x0
	v_and_b32_e32 v1, 0xff, v0
	s_wait_xcnt 0x0
	s_delay_alu instid0(VALU_DEP_1)
	v_cmpx_ne_u16_e32 0, v1
	s_cbranch_execz .LBB228_626
; %bb.619:                              ;   in Loop: Header=BB228_10 Depth=1
	v_mov_b64_e32 v[100:101], 0x80000000
	s_mov_b32 s9, exec_lo
	v_cmpx_ne_u16_e32 0x80, v1
	s_cbranch_execz .LBB228_625
; %bb.620:                              ;   in Loop: Header=BB228_10 Depth=1
	v_mov_b64_e32 v[100:101], 0x7f800001
	v_and_b32_e32 v2, 0x7f, v0
	s_mov_b32 s11, exec_lo
	s_delay_alu instid0(VALU_DEP_1)
	v_cmpx_ne_u32_e32 0x7f, v2
	s_cbranch_execz .LBB228_624
; %bb.621:                              ;   in Loop: Header=BB228_10 Depth=1
	scratch_load_b64 v[100:101], off, s32 offset:192 th:TH_LOAD_LU ; 8-byte Folded Reload
	s_wait_loadcnt 0x0
	v_dual_lshrrev_b32 v1, 3, v2 :: v_dual_bitop2_b32 v100, 7, v0 bitop3:0x40
	s_mov_b32 s16, exec_lo
	s_wait_xcnt 0x0
	v_cmpx_gt_u32_e32 8, v2
; %bb.622:                              ;   in Loop: Header=BB228_10 Depth=1
	s_delay_alu instid0(VALU_DEP_2) | instskip(NEXT) | instid1(VALU_DEP_1)
	v_clz_i32_u32_e32 v1, v100
	v_min_u32_e32 v1, 32, v1
	s_delay_alu instid0(VALU_DEP_1) | instskip(NEXT) | instid1(VALU_DEP_1)
	v_subrev_nc_u32_e32 v2, 28, v1
	v_lshlrev_b64_e32 v[2:3], v2, v[100:101]
	s_delay_alu instid0(VALU_DEP_1)
	v_dual_sub_nc_u32 v1, 29, v1 :: v_dual_bitop2_b32 v100, 7, v2 bitop3:0x40
; %bb.623:                              ;   in Loop: Header=BB228_10 Depth=1
	s_or_b32 exec_lo, exec_lo, s16
	v_lshlrev_b32_e32 v2, 24, v0
	s_delay_alu instid0(VALU_DEP_2) | instskip(NEXT) | instid1(VALU_DEP_3)
	v_lshlrev_b32_e32 v3, 20, v100
	v_lshl_add_u32 v1, v1, 23, 0x3c000000
	s_delay_alu instid0(VALU_DEP_3) | instskip(NEXT) | instid1(VALU_DEP_1)
	v_and_b32_e32 v2, 0x80000000, v2
	v_or3_b32 v100, v3, v2, v1
	v_mov_b32_e32 v1, v101
	scratch_store_b64 off, v[0:1], s32 offset:192 ; 8-byte Folded Spill
.LBB228_624:                            ;   in Loop: Header=BB228_10 Depth=1
	s_wait_xcnt 0x0
	s_or_b32 exec_lo, exec_lo, s11
.LBB228_625:                            ;   in Loop: Header=BB228_10 Depth=1
	s_delay_alu instid0(SALU_CYCLE_1)
	s_or_b32 exec_lo, exec_lo, s9
.LBB228_626:                            ;   in Loop: Header=BB228_10 Depth=1
	s_delay_alu instid0(SALU_CYCLE_1) | instskip(SKIP_2) | instid1(VALU_DEP_1)
	s_or_b32 exec_lo, exec_lo, s8
	v_lshrrev_b16 v1, 8, v0
	s_mov_b32 s8, exec_lo
	v_cmpx_ne_u16_e32 0, v1
	s_cbranch_execz .LBB228_634
; %bb.627:                              ;   in Loop: Header=BB228_10 Depth=1
	v_mov_b64_e32 v[70:71], 0x8000000000000000
	s_mov_b32 s9, exec_lo
	v_cmpx_ne_u16_e32 0x80, v1
	s_cbranch_execz .LBB228_633
; %bb.628:                              ;   in Loop: Header=BB228_10 Depth=1
	v_and_b32_e32 v1, 0xffff, v1
	v_mov_b64_e32 v[70:71], 0x7f80000100000000
	s_mov_b32 s11, exec_lo
	s_delay_alu instid0(VALU_DEP_2) | instskip(NEXT) | instid1(VALU_DEP_1)
	v_and_b32_e32 v2, 0x7f, v1
	v_cmpx_ne_u32_e32 0x7f, v2
	s_cbranch_execz .LBB228_632
; %bb.629:                              ;   in Loop: Header=BB228_10 Depth=1
	scratch_load_b64 v[4:5], off, s32 offset:192 th:TH_LOAD_LU ; 8-byte Folded Reload
	s_wait_loadcnt 0x0
	v_dual_lshrrev_b32 v1, 3, v2 :: v_dual_bitop2_b32 v4, 7, v1 bitop3:0x40
	s_mov_b32 s16, exec_lo
	s_wait_xcnt 0x0
	v_cmpx_gt_u32_e32 8, v2
; %bb.630:                              ;   in Loop: Header=BB228_10 Depth=1
	s_delay_alu instid0(VALU_DEP_2) | instskip(NEXT) | instid1(VALU_DEP_1)
	v_clz_i32_u32_e32 v1, v4
	v_min_u32_e32 v1, 32, v1
	s_delay_alu instid0(VALU_DEP_1) | instskip(NEXT) | instid1(VALU_DEP_1)
	v_subrev_nc_u32_e32 v2, 28, v1
	v_lshlrev_b64_e32 v[2:3], v2, v[4:5]
	s_delay_alu instid0(VALU_DEP_1)
	v_dual_sub_nc_u32 v1, 29, v1 :: v_dual_bitop2_b32 v4, 7, v2 bitop3:0x40
; %bb.631:                              ;   in Loop: Header=BB228_10 Depth=1
	s_or_b32 exec_lo, exec_lo, s16
	v_lshlrev_b32_e32 v2, 16, v0
	s_delay_alu instid0(VALU_DEP_2) | instskip(NEXT) | instid1(VALU_DEP_3)
	v_dual_mov_b32 v70, v5 :: v_dual_lshlrev_b32 v3, 20, v4
	v_lshl_add_u32 v1, v1, 23, 0x3c000000
	s_delay_alu instid0(VALU_DEP_3) | instskip(NEXT) | instid1(VALU_DEP_1)
	v_and_b32_e32 v2, 0x80000000, v2
	v_or3_b32 v71, v3, v2, v1
	v_mov_b32_e32 v1, v5
	scratch_store_b64 off, v[0:1], s32 offset:192 ; 8-byte Folded Spill
.LBB228_632:                            ;   in Loop: Header=BB228_10 Depth=1
	s_wait_xcnt 0x0
	s_or_b32 exec_lo, exec_lo, s11
.LBB228_633:                            ;   in Loop: Header=BB228_10 Depth=1
	s_delay_alu instid0(SALU_CYCLE_1)
	s_or_b32 exec_lo, exec_lo, s9
.LBB228_634:                            ;   in Loop: Header=BB228_10 Depth=1
	s_delay_alu instid0(SALU_CYCLE_1) | instskip(SKIP_4) | instid1(VALU_DEP_3)
	s_or_b32 exec_lo, exec_lo, s8
	v_lshrrev_b32_e32 v1, 16, v0
	v_mov_b64_e32 v[82:83], 0
	v_mov_b64_e32 v[112:113], 0
	s_mov_b32 s8, exec_lo
	v_and_b32_e32 v2, 0xff, v1
	s_delay_alu instid0(VALU_DEP_1)
	v_cmpx_ne_u16_e32 0, v2
	s_cbranch_execz .LBB228_642
; %bb.635:                              ;   in Loop: Header=BB228_10 Depth=1
	v_mov_b64_e32 v[112:113], 0x80000000
	s_mov_b32 s9, exec_lo
	v_cmpx_ne_u16_e32 0x80, v2
	s_cbranch_execz .LBB228_641
; %bb.636:                              ;   in Loop: Header=BB228_10 Depth=1
	v_mov_b64_e32 v[112:113], 0x7f800001
	v_bfe_u32 v3, v0, 16, 7
	s_mov_b32 s11, exec_lo
	s_delay_alu instid0(VALU_DEP_1)
	v_cmpx_ne_u32_e32 0x7f, v3
	s_cbranch_execz .LBB228_640
; %bb.637:                              ;   in Loop: Header=BB228_10 Depth=1
	scratch_load_b64 v[112:113], off, s32 offset:192 th:TH_LOAD_LU ; 8-byte Folded Reload
	s_wait_loadcnt 0x0
	v_dual_lshrrev_b32 v2, 3, v3 :: v_dual_bitop2_b32 v112, 7, v1 bitop3:0x40
	s_mov_b32 s16, exec_lo
	s_wait_xcnt 0x0
	v_cmpx_gt_u32_e32 8, v3
; %bb.638:                              ;   in Loop: Header=BB228_10 Depth=1
	s_delay_alu instid0(VALU_DEP_2) | instskip(NEXT) | instid1(VALU_DEP_1)
	v_clz_i32_u32_e32 v2, v112
	v_min_u32_e32 v2, 32, v2
	s_delay_alu instid0(VALU_DEP_1) | instskip(NEXT) | instid1(VALU_DEP_1)
	v_subrev_nc_u32_e32 v3, 28, v2
	v_lshlrev_b64_e32 v[4:5], v3, v[112:113]
	s_delay_alu instid0(VALU_DEP_1)
	v_dual_sub_nc_u32 v2, 29, v2 :: v_dual_bitop2_b32 v112, 7, v4 bitop3:0x40
; %bb.639:                              ;   in Loop: Header=BB228_10 Depth=1
	s_or_b32 exec_lo, exec_lo, s16
	s_delay_alu instid0(VALU_DEP_1) | instskip(NEXT) | instid1(VALU_DEP_2)
	v_dual_lshlrev_b32 v1, 24, v1 :: v_dual_lshlrev_b32 v3, 20, v112
	v_lshl_add_u32 v2, v2, 23, 0x3c000000
	s_delay_alu instid0(VALU_DEP_2) | instskip(NEXT) | instid1(VALU_DEP_1)
	v_and_b32_e32 v1, 0x80000000, v1
	v_or3_b32 v112, v3, v1, v2
	v_mov_b32_e32 v1, v113
	scratch_store_b64 off, v[0:1], s32 offset:192 ; 8-byte Folded Spill
.LBB228_640:                            ;   in Loop: Header=BB228_10 Depth=1
	s_wait_xcnt 0x0
	s_or_b32 exec_lo, exec_lo, s11
.LBB228_641:                            ;   in Loop: Header=BB228_10 Depth=1
	s_delay_alu instid0(SALU_CYCLE_1)
	s_or_b32 exec_lo, exec_lo, s9
.LBB228_642:                            ;   in Loop: Header=BB228_10 Depth=1
	s_delay_alu instid0(SALU_CYCLE_1) | instskip(NEXT) | instid1(SALU_CYCLE_1)
	s_or_b32 exec_lo, exec_lo, s8
	s_mov_b32 s8, exec_lo
	v_cmpx_lt_u32_e32 0xffffff, v0
	s_cbranch_execz .LBB228_650
; %bb.643:                              ;   in Loop: Header=BB228_10 Depth=1
	v_mov_b64_e32 v[82:83], 0x8000000000000000
	v_lshrrev_b32_e32 v1, 24, v0
	s_mov_b32 s9, exec_lo
	s_delay_alu instid0(VALU_DEP_1)
	v_cmpx_ne_u32_e32 0x80, v1
	s_cbranch_execz .LBB228_649
; %bb.644:                              ;   in Loop: Header=BB228_10 Depth=1
	v_mov_b64_e32 v[82:83], 0x7f80000100000000
	v_bfe_u32 v2, v0, 24, 7
	s_mov_b32 s11, exec_lo
	s_delay_alu instid0(VALU_DEP_1)
	v_cmpx_ne_u32_e32 0x7f, v2
	s_cbranch_execz .LBB228_648
; %bb.645:                              ;   in Loop: Header=BB228_10 Depth=1
	scratch_load_b64 v[4:5], off, s32 offset:192 th:TH_LOAD_LU ; 8-byte Folded Reload
	s_wait_loadcnt 0x0
	v_dual_lshrrev_b32 v0, 3, v2 :: v_dual_bitop2_b32 v4, 7, v1 bitop3:0x40
	s_mov_b32 s16, exec_lo
	s_wait_xcnt 0x0
	v_cmpx_gt_u32_e32 8, v2
; %bb.646:                              ;   in Loop: Header=BB228_10 Depth=1
	s_delay_alu instid0(VALU_DEP_2) | instskip(NEXT) | instid1(VALU_DEP_1)
	v_clz_i32_u32_e32 v0, v4
	v_min_u32_e32 v0, 32, v0
	s_delay_alu instid0(VALU_DEP_1) | instskip(NEXT) | instid1(VALU_DEP_1)
	v_subrev_nc_u32_e32 v2, 28, v0
	v_lshlrev_b64_e32 v[2:3], v2, v[4:5]
	s_delay_alu instid0(VALU_DEP_1)
	v_dual_sub_nc_u32 v0, 29, v0 :: v_dual_bitop2_b32 v4, 7, v2 bitop3:0x40
; %bb.647:                              ;   in Loop: Header=BB228_10 Depth=1
	s_or_b32 exec_lo, exec_lo, s16
	s_delay_alu instid0(VALU_DEP_1) | instskip(NEXT) | instid1(VALU_DEP_2)
	v_dual_lshlrev_b32 v1, 24, v1 :: v_dual_lshlrev_b32 v2, 20, v4
	v_lshl_add_u32 v0, v0, 23, 0x3c000000
	v_mov_b32_e32 v82, v5
	s_delay_alu instid0(VALU_DEP_3) | instskip(NEXT) | instid1(VALU_DEP_1)
	v_and_b32_e32 v1, 0x80000000, v1
	v_or3_b32 v83, v2, v1, v0
	v_mov_b32_e32 v1, v5
	scratch_store_b64 off, v[0:1], s32 offset:192 ; 8-byte Folded Spill
.LBB228_648:                            ;   in Loop: Header=BB228_10 Depth=1
	s_wait_xcnt 0x0
	s_or_b32 exec_lo, exec_lo, s11
.LBB228_649:                            ;   in Loop: Header=BB228_10 Depth=1
	s_delay_alu instid0(SALU_CYCLE_1)
	s_or_b32 exec_lo, exec_lo, s9
.LBB228_650:                            ;   in Loop: Header=BB228_10 Depth=1
	s_delay_alu instid0(SALU_CYCLE_1)
	s_or_b32 exec_lo, exec_lo, s8
	flat_load_b32 v0, v[48:49] offset:2560
	v_mov_b64_e32 v[86:87], 0
	v_mov_b64_e32 v[116:117], 0
	s_mov_b32 s8, exec_lo
	s_wait_loadcnt_dscnt 0x0
	v_and_b32_e32 v1, 0xff, v0
	s_wait_xcnt 0x0
	s_delay_alu instid0(VALU_DEP_1)
	v_cmpx_ne_u16_e32 0, v1
	s_cbranch_execz .LBB228_658
; %bb.651:                              ;   in Loop: Header=BB228_10 Depth=1
	v_mov_b64_e32 v[116:117], 0x80000000
	s_mov_b32 s9, exec_lo
	v_cmpx_ne_u16_e32 0x80, v1
	s_cbranch_execz .LBB228_657
; %bb.652:                              ;   in Loop: Header=BB228_10 Depth=1
	v_mov_b64_e32 v[116:117], 0x7f800001
	v_and_b32_e32 v2, 0x7f, v0
	s_mov_b32 s11, exec_lo
	s_delay_alu instid0(VALU_DEP_1)
	v_cmpx_ne_u32_e32 0x7f, v2
	s_cbranch_execz .LBB228_656
; %bb.653:                              ;   in Loop: Header=BB228_10 Depth=1
	scratch_load_b64 v[116:117], off, s32 offset:192 th:TH_LOAD_LU ; 8-byte Folded Reload
	s_wait_loadcnt 0x0
	v_dual_lshrrev_b32 v1, 3, v2 :: v_dual_bitop2_b32 v116, 7, v0 bitop3:0x40
	s_mov_b32 s16, exec_lo
	s_wait_xcnt 0x0
	v_cmpx_gt_u32_e32 8, v2
; %bb.654:                              ;   in Loop: Header=BB228_10 Depth=1
	s_delay_alu instid0(VALU_DEP_2) | instskip(NEXT) | instid1(VALU_DEP_1)
	v_clz_i32_u32_e32 v1, v116
	v_min_u32_e32 v1, 32, v1
	s_delay_alu instid0(VALU_DEP_1) | instskip(NEXT) | instid1(VALU_DEP_1)
	v_subrev_nc_u32_e32 v2, 28, v1
	v_lshlrev_b64_e32 v[2:3], v2, v[116:117]
	s_delay_alu instid0(VALU_DEP_1)
	v_dual_sub_nc_u32 v1, 29, v1 :: v_dual_bitop2_b32 v116, 7, v2 bitop3:0x40
; %bb.655:                              ;   in Loop: Header=BB228_10 Depth=1
	s_or_b32 exec_lo, exec_lo, s16
	v_lshlrev_b32_e32 v2, 24, v0
	s_delay_alu instid0(VALU_DEP_2) | instskip(NEXT) | instid1(VALU_DEP_3)
	v_lshlrev_b32_e32 v3, 20, v116
	v_lshl_add_u32 v1, v1, 23, 0x3c000000
	s_delay_alu instid0(VALU_DEP_3) | instskip(NEXT) | instid1(VALU_DEP_1)
	v_and_b32_e32 v2, 0x80000000, v2
	v_or3_b32 v116, v3, v2, v1
	v_mov_b32_e32 v1, v117
	scratch_store_b64 off, v[0:1], s32 offset:192 ; 8-byte Folded Spill
.LBB228_656:                            ;   in Loop: Header=BB228_10 Depth=1
	s_wait_xcnt 0x0
	s_or_b32 exec_lo, exec_lo, s11
.LBB228_657:                            ;   in Loop: Header=BB228_10 Depth=1
	s_delay_alu instid0(SALU_CYCLE_1)
	s_or_b32 exec_lo, exec_lo, s9
.LBB228_658:                            ;   in Loop: Header=BB228_10 Depth=1
	s_delay_alu instid0(SALU_CYCLE_1) | instskip(SKIP_2) | instid1(VALU_DEP_1)
	s_or_b32 exec_lo, exec_lo, s8
	v_lshrrev_b16 v1, 8, v0
	s_mov_b32 s8, exec_lo
	v_cmpx_ne_u16_e32 0, v1
	s_cbranch_execz .LBB228_666
; %bb.659:                              ;   in Loop: Header=BB228_10 Depth=1
	v_mov_b64_e32 v[86:87], 0x8000000000000000
	s_mov_b32 s9, exec_lo
	v_cmpx_ne_u16_e32 0x80, v1
	s_cbranch_execz .LBB228_665
; %bb.660:                              ;   in Loop: Header=BB228_10 Depth=1
	v_and_b32_e32 v1, 0xffff, v1
	v_mov_b64_e32 v[86:87], 0x7f80000100000000
	s_mov_b32 s11, exec_lo
	s_delay_alu instid0(VALU_DEP_2) | instskip(NEXT) | instid1(VALU_DEP_1)
	v_and_b32_e32 v2, 0x7f, v1
	v_cmpx_ne_u32_e32 0x7f, v2
	s_cbranch_execz .LBB228_664
; %bb.661:                              ;   in Loop: Header=BB228_10 Depth=1
	scratch_load_b64 v[4:5], off, s32 offset:192 th:TH_LOAD_LU ; 8-byte Folded Reload
	s_wait_loadcnt 0x0
	v_dual_lshrrev_b32 v1, 3, v2 :: v_dual_bitop2_b32 v4, 7, v1 bitop3:0x40
	s_mov_b32 s16, exec_lo
	s_wait_xcnt 0x0
	v_cmpx_gt_u32_e32 8, v2
; %bb.662:                              ;   in Loop: Header=BB228_10 Depth=1
	s_delay_alu instid0(VALU_DEP_2) | instskip(NEXT) | instid1(VALU_DEP_1)
	v_clz_i32_u32_e32 v1, v4
	v_min_u32_e32 v1, 32, v1
	s_delay_alu instid0(VALU_DEP_1) | instskip(NEXT) | instid1(VALU_DEP_1)
	v_subrev_nc_u32_e32 v2, 28, v1
	v_lshlrev_b64_e32 v[2:3], v2, v[4:5]
	s_delay_alu instid0(VALU_DEP_1)
	v_dual_sub_nc_u32 v1, 29, v1 :: v_dual_bitop2_b32 v4, 7, v2 bitop3:0x40
; %bb.663:                              ;   in Loop: Header=BB228_10 Depth=1
	s_or_b32 exec_lo, exec_lo, s16
	v_lshlrev_b32_e32 v2, 16, v0
	s_delay_alu instid0(VALU_DEP_2) | instskip(NEXT) | instid1(VALU_DEP_3)
	v_dual_mov_b32 v86, v5 :: v_dual_lshlrev_b32 v3, 20, v4
	v_lshl_add_u32 v1, v1, 23, 0x3c000000
	s_delay_alu instid0(VALU_DEP_3) | instskip(NEXT) | instid1(VALU_DEP_1)
	v_and_b32_e32 v2, 0x80000000, v2
	v_or3_b32 v87, v3, v2, v1
	v_mov_b32_e32 v1, v5
	scratch_store_b64 off, v[0:1], s32 offset:192 ; 8-byte Folded Spill
.LBB228_664:                            ;   in Loop: Header=BB228_10 Depth=1
	s_wait_xcnt 0x0
	s_or_b32 exec_lo, exec_lo, s11
.LBB228_665:                            ;   in Loop: Header=BB228_10 Depth=1
	s_delay_alu instid0(SALU_CYCLE_1)
	s_or_b32 exec_lo, exec_lo, s9
.LBB228_666:                            ;   in Loop: Header=BB228_10 Depth=1
	s_delay_alu instid0(SALU_CYCLE_1) | instskip(SKIP_4) | instid1(VALU_DEP_3)
	s_or_b32 exec_lo, exec_lo, s8
	v_lshrrev_b32_e32 v1, 16, v0
	v_mov_b64_e32 v[98:99], 0
	v_mov_b64_e32 v[40:41], 0
	s_mov_b32 s8, exec_lo
	v_and_b32_e32 v2, 0xff, v1
	s_delay_alu instid0(VALU_DEP_1)
	v_cmpx_ne_u16_e32 0, v2
	s_cbranch_execz .LBB228_674
; %bb.667:                              ;   in Loop: Header=BB228_10 Depth=1
	v_mov_b64_e32 v[40:41], 0x80000000
	s_mov_b32 s9, exec_lo
	v_cmpx_ne_u16_e32 0x80, v2
	s_cbranch_execz .LBB228_673
; %bb.668:                              ;   in Loop: Header=BB228_10 Depth=1
	v_mov_b64_e32 v[40:41], 0x7f800001
	v_bfe_u32 v3, v0, 16, 7
	s_mov_b32 s11, exec_lo
	s_delay_alu instid0(VALU_DEP_1)
	v_cmpx_ne_u32_e32 0x7f, v3
	s_cbranch_execz .LBB228_672
; %bb.669:                              ;   in Loop: Header=BB228_10 Depth=1
	scratch_load_b64 v[40:41], off, s32 offset:192 th:TH_LOAD_LU ; 8-byte Folded Reload
	s_wait_loadcnt 0x0
	v_dual_lshrrev_b32 v2, 3, v3 :: v_dual_bitop2_b32 v40, 7, v1 bitop3:0x40
	s_mov_b32 s16, exec_lo
	s_wait_xcnt 0x0
	v_cmpx_gt_u32_e32 8, v3
; %bb.670:                              ;   in Loop: Header=BB228_10 Depth=1
	s_delay_alu instid0(VALU_DEP_2) | instskip(NEXT) | instid1(VALU_DEP_1)
	v_clz_i32_u32_e32 v2, v40
	v_min_u32_e32 v2, 32, v2
	s_delay_alu instid0(VALU_DEP_1) | instskip(NEXT) | instid1(VALU_DEP_1)
	v_subrev_nc_u32_e32 v3, 28, v2
	v_lshlrev_b64_e32 v[4:5], v3, v[40:41]
	s_delay_alu instid0(VALU_DEP_1)
	v_dual_sub_nc_u32 v2, 29, v2 :: v_dual_bitop2_b32 v40, 7, v4 bitop3:0x40
; %bb.671:                              ;   in Loop: Header=BB228_10 Depth=1
	s_or_b32 exec_lo, exec_lo, s16
	s_delay_alu instid0(VALU_DEP_1) | instskip(NEXT) | instid1(VALU_DEP_2)
	v_dual_lshlrev_b32 v1, 24, v1 :: v_dual_lshlrev_b32 v3, 20, v40
	v_lshl_add_u32 v2, v2, 23, 0x3c000000
	s_delay_alu instid0(VALU_DEP_2) | instskip(NEXT) | instid1(VALU_DEP_1)
	v_and_b32_e32 v1, 0x80000000, v1
	v_or3_b32 v40, v3, v1, v2
	v_mov_b32_e32 v1, v41
	scratch_store_b64 off, v[0:1], s32 offset:192 ; 8-byte Folded Spill
.LBB228_672:                            ;   in Loop: Header=BB228_10 Depth=1
	s_wait_xcnt 0x0
	s_or_b32 exec_lo, exec_lo, s11
.LBB228_673:                            ;   in Loop: Header=BB228_10 Depth=1
	s_delay_alu instid0(SALU_CYCLE_1)
	s_or_b32 exec_lo, exec_lo, s9
.LBB228_674:                            ;   in Loop: Header=BB228_10 Depth=1
	s_delay_alu instid0(SALU_CYCLE_1) | instskip(NEXT) | instid1(SALU_CYCLE_1)
	s_or_b32 exec_lo, exec_lo, s8
	s_mov_b32 s8, exec_lo
	v_cmpx_lt_u32_e32 0xffffff, v0
	s_cbranch_execz .LBB228_682
; %bb.675:                              ;   in Loop: Header=BB228_10 Depth=1
	v_mov_b64_e32 v[98:99], 0x8000000000000000
	v_lshrrev_b32_e32 v1, 24, v0
	s_mov_b32 s9, exec_lo
	s_delay_alu instid0(VALU_DEP_1)
	v_cmpx_ne_u32_e32 0x80, v1
	s_cbranch_execz .LBB228_681
; %bb.676:                              ;   in Loop: Header=BB228_10 Depth=1
	v_mov_b64_e32 v[98:99], 0x7f80000100000000
	v_bfe_u32 v2, v0, 24, 7
	s_mov_b32 s11, exec_lo
	s_delay_alu instid0(VALU_DEP_1)
	v_cmpx_ne_u32_e32 0x7f, v2
	s_cbranch_execz .LBB228_680
; %bb.677:                              ;   in Loop: Header=BB228_10 Depth=1
	scratch_load_b64 v[4:5], off, s32 offset:192 th:TH_LOAD_LU ; 8-byte Folded Reload
	s_wait_loadcnt 0x0
	v_dual_lshrrev_b32 v0, 3, v2 :: v_dual_bitop2_b32 v4, 7, v1 bitop3:0x40
	s_mov_b32 s16, exec_lo
	s_wait_xcnt 0x0
	v_cmpx_gt_u32_e32 8, v2
; %bb.678:                              ;   in Loop: Header=BB228_10 Depth=1
	s_delay_alu instid0(VALU_DEP_2) | instskip(NEXT) | instid1(VALU_DEP_1)
	v_clz_i32_u32_e32 v0, v4
	v_min_u32_e32 v0, 32, v0
	s_delay_alu instid0(VALU_DEP_1) | instskip(NEXT) | instid1(VALU_DEP_1)
	v_subrev_nc_u32_e32 v2, 28, v0
	v_lshlrev_b64_e32 v[2:3], v2, v[4:5]
	s_delay_alu instid0(VALU_DEP_1)
	v_dual_sub_nc_u32 v0, 29, v0 :: v_dual_bitop2_b32 v4, 7, v2 bitop3:0x40
; %bb.679:                              ;   in Loop: Header=BB228_10 Depth=1
	s_or_b32 exec_lo, exec_lo, s16
	s_delay_alu instid0(VALU_DEP_1) | instskip(NEXT) | instid1(VALU_DEP_2)
	v_dual_lshlrev_b32 v1, 24, v1 :: v_dual_lshlrev_b32 v2, 20, v4
	v_lshl_add_u32 v0, v0, 23, 0x3c000000
	v_mov_b32_e32 v98, v5
	s_delay_alu instid0(VALU_DEP_3) | instskip(NEXT) | instid1(VALU_DEP_1)
	v_and_b32_e32 v1, 0x80000000, v1
	v_or3_b32 v99, v2, v1, v0
	v_mov_b32_e32 v1, v5
	scratch_store_b64 off, v[0:1], s32 offset:192 ; 8-byte Folded Spill
.LBB228_680:                            ;   in Loop: Header=BB228_10 Depth=1
	s_wait_xcnt 0x0
	s_or_b32 exec_lo, exec_lo, s11
.LBB228_681:                            ;   in Loop: Header=BB228_10 Depth=1
	s_delay_alu instid0(SALU_CYCLE_1)
	s_or_b32 exec_lo, exec_lo, s9
.LBB228_682:                            ;   in Loop: Header=BB228_10 Depth=1
	s_delay_alu instid0(SALU_CYCLE_1)
	s_or_b32 exec_lo, exec_lo, s8
	flat_load_b32 v0, v[48:49] offset:2564
	v_mov_b64_e32 v[102:103], 0
	v_mov_b64_e32 v[44:45], 0
	s_mov_b32 s8, exec_lo
	s_wait_loadcnt_dscnt 0x0
	v_and_b32_e32 v1, 0xff, v0
	s_wait_xcnt 0x0
	s_delay_alu instid0(VALU_DEP_1)
	v_cmpx_ne_u16_e32 0, v1
	s_cbranch_execz .LBB228_690
; %bb.683:                              ;   in Loop: Header=BB228_10 Depth=1
	v_mov_b64_e32 v[44:45], 0x80000000
	s_mov_b32 s9, exec_lo
	v_cmpx_ne_u16_e32 0x80, v1
	s_cbranch_execz .LBB228_689
; %bb.684:                              ;   in Loop: Header=BB228_10 Depth=1
	v_mov_b64_e32 v[44:45], 0x7f800001
	v_and_b32_e32 v2, 0x7f, v0
	s_mov_b32 s11, exec_lo
	s_delay_alu instid0(VALU_DEP_1)
	v_cmpx_ne_u32_e32 0x7f, v2
	s_cbranch_execz .LBB228_688
; %bb.685:                              ;   in Loop: Header=BB228_10 Depth=1
	scratch_load_b64 v[44:45], off, s32 offset:192 th:TH_LOAD_LU ; 8-byte Folded Reload
	s_wait_loadcnt 0x0
	v_dual_lshrrev_b32 v1, 3, v2 :: v_dual_bitop2_b32 v44, 7, v0 bitop3:0x40
	s_mov_b32 s16, exec_lo
	s_wait_xcnt 0x0
	v_cmpx_gt_u32_e32 8, v2
; %bb.686:                              ;   in Loop: Header=BB228_10 Depth=1
	s_delay_alu instid0(VALU_DEP_2) | instskip(NEXT) | instid1(VALU_DEP_1)
	v_clz_i32_u32_e32 v1, v44
	v_min_u32_e32 v1, 32, v1
	s_delay_alu instid0(VALU_DEP_1) | instskip(NEXT) | instid1(VALU_DEP_1)
	v_subrev_nc_u32_e32 v2, 28, v1
	v_lshlrev_b64_e32 v[2:3], v2, v[44:45]
	s_delay_alu instid0(VALU_DEP_1)
	v_dual_sub_nc_u32 v1, 29, v1 :: v_dual_bitop2_b32 v44, 7, v2 bitop3:0x40
; %bb.687:                              ;   in Loop: Header=BB228_10 Depth=1
	s_or_b32 exec_lo, exec_lo, s16
	v_lshlrev_b32_e32 v2, 24, v0
	s_delay_alu instid0(VALU_DEP_2) | instskip(NEXT) | instid1(VALU_DEP_3)
	v_lshlrev_b32_e32 v3, 20, v44
	v_lshl_add_u32 v1, v1, 23, 0x3c000000
	s_delay_alu instid0(VALU_DEP_3) | instskip(NEXT) | instid1(VALU_DEP_1)
	v_and_b32_e32 v2, 0x80000000, v2
	v_or3_b32 v44, v3, v2, v1
	v_mov_b32_e32 v1, v45
	scratch_store_b64 off, v[0:1], s32 offset:192 ; 8-byte Folded Spill
.LBB228_688:                            ;   in Loop: Header=BB228_10 Depth=1
	s_wait_xcnt 0x0
	s_or_b32 exec_lo, exec_lo, s11
.LBB228_689:                            ;   in Loop: Header=BB228_10 Depth=1
	s_delay_alu instid0(SALU_CYCLE_1)
	s_or_b32 exec_lo, exec_lo, s9
.LBB228_690:                            ;   in Loop: Header=BB228_10 Depth=1
	s_delay_alu instid0(SALU_CYCLE_1) | instskip(SKIP_2) | instid1(VALU_DEP_1)
	s_or_b32 exec_lo, exec_lo, s8
	v_lshrrev_b16 v1, 8, v0
	s_mov_b32 s8, exec_lo
	v_cmpx_ne_u16_e32 0, v1
	s_cbranch_execz .LBB228_698
; %bb.691:                              ;   in Loop: Header=BB228_10 Depth=1
	v_mov_b64_e32 v[102:103], 0x8000000000000000
	s_mov_b32 s9, exec_lo
	v_cmpx_ne_u16_e32 0x80, v1
	s_cbranch_execz .LBB228_697
; %bb.692:                              ;   in Loop: Header=BB228_10 Depth=1
	v_and_b32_e32 v1, 0xffff, v1
	v_mov_b64_e32 v[102:103], 0x7f80000100000000
	s_mov_b32 s11, exec_lo
	s_delay_alu instid0(VALU_DEP_2) | instskip(NEXT) | instid1(VALU_DEP_1)
	v_and_b32_e32 v2, 0x7f, v1
	v_cmpx_ne_u32_e32 0x7f, v2
	s_cbranch_execz .LBB228_696
; %bb.693:                              ;   in Loop: Header=BB228_10 Depth=1
	scratch_load_b64 v[4:5], off, s32 offset:192 th:TH_LOAD_LU ; 8-byte Folded Reload
	s_wait_loadcnt 0x0
	v_dual_lshrrev_b32 v1, 3, v2 :: v_dual_bitop2_b32 v4, 7, v1 bitop3:0x40
	s_mov_b32 s16, exec_lo
	s_wait_xcnt 0x0
	v_cmpx_gt_u32_e32 8, v2
; %bb.694:                              ;   in Loop: Header=BB228_10 Depth=1
	s_delay_alu instid0(VALU_DEP_2) | instskip(NEXT) | instid1(VALU_DEP_1)
	v_clz_i32_u32_e32 v1, v4
	v_min_u32_e32 v1, 32, v1
	s_delay_alu instid0(VALU_DEP_1) | instskip(NEXT) | instid1(VALU_DEP_1)
	v_subrev_nc_u32_e32 v2, 28, v1
	v_lshlrev_b64_e32 v[2:3], v2, v[4:5]
	s_delay_alu instid0(VALU_DEP_1)
	v_dual_sub_nc_u32 v1, 29, v1 :: v_dual_bitop2_b32 v4, 7, v2 bitop3:0x40
; %bb.695:                              ;   in Loop: Header=BB228_10 Depth=1
	s_or_b32 exec_lo, exec_lo, s16
	v_lshlrev_b32_e32 v2, 16, v0
	s_delay_alu instid0(VALU_DEP_2) | instskip(NEXT) | instid1(VALU_DEP_3)
	v_dual_mov_b32 v102, v5 :: v_dual_lshlrev_b32 v3, 20, v4
	v_lshl_add_u32 v1, v1, 23, 0x3c000000
	s_delay_alu instid0(VALU_DEP_3) | instskip(NEXT) | instid1(VALU_DEP_1)
	v_and_b32_e32 v2, 0x80000000, v2
	v_or3_b32 v103, v3, v2, v1
	v_mov_b32_e32 v1, v5
	scratch_store_b64 off, v[0:1], s32 offset:192 ; 8-byte Folded Spill
.LBB228_696:                            ;   in Loop: Header=BB228_10 Depth=1
	s_wait_xcnt 0x0
	s_or_b32 exec_lo, exec_lo, s11
.LBB228_697:                            ;   in Loop: Header=BB228_10 Depth=1
	s_delay_alu instid0(SALU_CYCLE_1)
	s_or_b32 exec_lo, exec_lo, s9
.LBB228_698:                            ;   in Loop: Header=BB228_10 Depth=1
	s_delay_alu instid0(SALU_CYCLE_1) | instskip(SKIP_4) | instid1(VALU_DEP_3)
	s_or_b32 exec_lo, exec_lo, s8
	v_lshrrev_b32_e32 v1, 16, v0
	v_mov_b64_e32 v[114:115], 0
	v_mov_b64_e32 v[56:57], 0
	s_mov_b32 s8, exec_lo
	v_and_b32_e32 v2, 0xff, v1
	s_delay_alu instid0(VALU_DEP_1)
	v_cmpx_ne_u16_e32 0, v2
	s_cbranch_execz .LBB228_706
; %bb.699:                              ;   in Loop: Header=BB228_10 Depth=1
	v_mov_b64_e32 v[56:57], 0x80000000
	s_mov_b32 s9, exec_lo
	v_cmpx_ne_u16_e32 0x80, v2
	s_cbranch_execz .LBB228_705
; %bb.700:                              ;   in Loop: Header=BB228_10 Depth=1
	v_mov_b64_e32 v[56:57], 0x7f800001
	v_bfe_u32 v3, v0, 16, 7
	s_mov_b32 s11, exec_lo
	s_delay_alu instid0(VALU_DEP_1)
	v_cmpx_ne_u32_e32 0x7f, v3
	s_cbranch_execz .LBB228_704
; %bb.701:                              ;   in Loop: Header=BB228_10 Depth=1
	scratch_load_b64 v[56:57], off, s32 offset:192 th:TH_LOAD_LU ; 8-byte Folded Reload
	s_wait_loadcnt 0x0
	v_dual_lshrrev_b32 v2, 3, v3 :: v_dual_bitop2_b32 v56, 7, v1 bitop3:0x40
	s_mov_b32 s16, exec_lo
	s_wait_xcnt 0x0
	v_cmpx_gt_u32_e32 8, v3
; %bb.702:                              ;   in Loop: Header=BB228_10 Depth=1
	s_delay_alu instid0(VALU_DEP_2) | instskip(NEXT) | instid1(VALU_DEP_1)
	v_clz_i32_u32_e32 v2, v56
	v_min_u32_e32 v2, 32, v2
	s_delay_alu instid0(VALU_DEP_1) | instskip(NEXT) | instid1(VALU_DEP_1)
	v_subrev_nc_u32_e32 v3, 28, v2
	v_lshlrev_b64_e32 v[4:5], v3, v[56:57]
	s_delay_alu instid0(VALU_DEP_1)
	v_dual_sub_nc_u32 v2, 29, v2 :: v_dual_bitop2_b32 v56, 7, v4 bitop3:0x40
; %bb.703:                              ;   in Loop: Header=BB228_10 Depth=1
	s_or_b32 exec_lo, exec_lo, s16
	s_delay_alu instid0(VALU_DEP_1) | instskip(NEXT) | instid1(VALU_DEP_2)
	v_dual_lshlrev_b32 v1, 24, v1 :: v_dual_lshlrev_b32 v3, 20, v56
	v_lshl_add_u32 v2, v2, 23, 0x3c000000
	s_delay_alu instid0(VALU_DEP_2) | instskip(NEXT) | instid1(VALU_DEP_1)
	v_and_b32_e32 v1, 0x80000000, v1
	v_or3_b32 v56, v3, v1, v2
	v_mov_b32_e32 v1, v57
	scratch_store_b64 off, v[0:1], s32 offset:192 ; 8-byte Folded Spill
.LBB228_704:                            ;   in Loop: Header=BB228_10 Depth=1
	s_wait_xcnt 0x0
	s_or_b32 exec_lo, exec_lo, s11
.LBB228_705:                            ;   in Loop: Header=BB228_10 Depth=1
	s_delay_alu instid0(SALU_CYCLE_1)
	s_or_b32 exec_lo, exec_lo, s9
.LBB228_706:                            ;   in Loop: Header=BB228_10 Depth=1
	s_delay_alu instid0(SALU_CYCLE_1) | instskip(NEXT) | instid1(SALU_CYCLE_1)
	s_or_b32 exec_lo, exec_lo, s8
	s_mov_b32 s8, exec_lo
	v_cmpx_lt_u32_e32 0xffffff, v0
	s_cbranch_execz .LBB228_714
; %bb.707:                              ;   in Loop: Header=BB228_10 Depth=1
	v_mov_b64_e32 v[114:115], 0x8000000000000000
	v_lshrrev_b32_e32 v1, 24, v0
	s_mov_b32 s9, exec_lo
	s_delay_alu instid0(VALU_DEP_1)
	v_cmpx_ne_u32_e32 0x80, v1
	s_cbranch_execz .LBB228_713
; %bb.708:                              ;   in Loop: Header=BB228_10 Depth=1
	v_mov_b64_e32 v[114:115], 0x7f80000100000000
	v_bfe_u32 v2, v0, 24, 7
	s_mov_b32 s11, exec_lo
	s_delay_alu instid0(VALU_DEP_1)
	v_cmpx_ne_u32_e32 0x7f, v2
	s_cbranch_execz .LBB228_712
; %bb.709:                              ;   in Loop: Header=BB228_10 Depth=1
	scratch_load_b64 v[4:5], off, s32 offset:192 th:TH_LOAD_LU ; 8-byte Folded Reload
	s_wait_loadcnt 0x0
	v_dual_lshrrev_b32 v0, 3, v2 :: v_dual_bitop2_b32 v4, 7, v1 bitop3:0x40
	s_mov_b32 s16, exec_lo
	s_wait_xcnt 0x0
	v_cmpx_gt_u32_e32 8, v2
; %bb.710:                              ;   in Loop: Header=BB228_10 Depth=1
	s_delay_alu instid0(VALU_DEP_2) | instskip(NEXT) | instid1(VALU_DEP_1)
	v_clz_i32_u32_e32 v0, v4
	v_min_u32_e32 v0, 32, v0
	s_delay_alu instid0(VALU_DEP_1) | instskip(NEXT) | instid1(VALU_DEP_1)
	v_subrev_nc_u32_e32 v2, 28, v0
	v_lshlrev_b64_e32 v[2:3], v2, v[4:5]
	s_delay_alu instid0(VALU_DEP_1)
	v_dual_sub_nc_u32 v0, 29, v0 :: v_dual_bitop2_b32 v4, 7, v2 bitop3:0x40
; %bb.711:                              ;   in Loop: Header=BB228_10 Depth=1
	s_or_b32 exec_lo, exec_lo, s16
	s_delay_alu instid0(VALU_DEP_1) | instskip(NEXT) | instid1(VALU_DEP_2)
	v_dual_lshlrev_b32 v1, 24, v1 :: v_dual_lshlrev_b32 v2, 20, v4
	v_lshl_add_u32 v0, v0, 23, 0x3c000000
	v_mov_b32_e32 v114, v5
	s_delay_alu instid0(VALU_DEP_3) | instskip(NEXT) | instid1(VALU_DEP_1)
	v_and_b32_e32 v1, 0x80000000, v1
	v_or3_b32 v115, v2, v1, v0
	v_mov_b32_e32 v1, v5
	scratch_store_b64 off, v[0:1], s32 offset:192 ; 8-byte Folded Spill
.LBB228_712:                            ;   in Loop: Header=BB228_10 Depth=1
	s_wait_xcnt 0x0
	s_or_b32 exec_lo, exec_lo, s11
.LBB228_713:                            ;   in Loop: Header=BB228_10 Depth=1
	s_delay_alu instid0(SALU_CYCLE_1)
	s_or_b32 exec_lo, exec_lo, s9
.LBB228_714:                            ;   in Loop: Header=BB228_10 Depth=1
	s_delay_alu instid0(SALU_CYCLE_1)
	s_or_b32 exec_lo, exec_lo, s8
	flat_load_b32 v0, v[48:49] offset:2568
	v_mov_b64_e32 v[118:119], 0
	v_mov_b64_e32 v[60:61], 0
	s_mov_b32 s8, exec_lo
	s_wait_loadcnt_dscnt 0x0
	v_and_b32_e32 v1, 0xff, v0
	s_wait_xcnt 0x0
	s_delay_alu instid0(VALU_DEP_1)
	v_cmpx_ne_u16_e32 0, v1
	s_cbranch_execz .LBB228_722
; %bb.715:                              ;   in Loop: Header=BB228_10 Depth=1
	v_mov_b64_e32 v[60:61], 0x80000000
	s_mov_b32 s9, exec_lo
	v_cmpx_ne_u16_e32 0x80, v1
	s_cbranch_execz .LBB228_721
; %bb.716:                              ;   in Loop: Header=BB228_10 Depth=1
	v_mov_b64_e32 v[60:61], 0x7f800001
	v_and_b32_e32 v2, 0x7f, v0
	s_mov_b32 s11, exec_lo
	s_delay_alu instid0(VALU_DEP_1)
	v_cmpx_ne_u32_e32 0x7f, v2
	s_cbranch_execz .LBB228_720
; %bb.717:                              ;   in Loop: Header=BB228_10 Depth=1
	scratch_load_b64 v[60:61], off, s32 offset:192 th:TH_LOAD_LU ; 8-byte Folded Reload
	s_wait_loadcnt 0x0
	v_dual_lshrrev_b32 v1, 3, v2 :: v_dual_bitop2_b32 v60, 7, v0 bitop3:0x40
	s_mov_b32 s16, exec_lo
	s_wait_xcnt 0x0
	v_cmpx_gt_u32_e32 8, v2
; %bb.718:                              ;   in Loop: Header=BB228_10 Depth=1
	s_delay_alu instid0(VALU_DEP_2) | instskip(NEXT) | instid1(VALU_DEP_1)
	v_clz_i32_u32_e32 v1, v60
	v_min_u32_e32 v1, 32, v1
	s_delay_alu instid0(VALU_DEP_1) | instskip(NEXT) | instid1(VALU_DEP_1)
	v_subrev_nc_u32_e32 v2, 28, v1
	v_lshlrev_b64_e32 v[2:3], v2, v[60:61]
	s_delay_alu instid0(VALU_DEP_1)
	v_dual_sub_nc_u32 v1, 29, v1 :: v_dual_bitop2_b32 v60, 7, v2 bitop3:0x40
; %bb.719:                              ;   in Loop: Header=BB228_10 Depth=1
	s_or_b32 exec_lo, exec_lo, s16
	v_lshlrev_b32_e32 v2, 24, v0
	s_delay_alu instid0(VALU_DEP_2) | instskip(NEXT) | instid1(VALU_DEP_3)
	v_lshlrev_b32_e32 v3, 20, v60
	v_lshl_add_u32 v1, v1, 23, 0x3c000000
	s_delay_alu instid0(VALU_DEP_3) | instskip(NEXT) | instid1(VALU_DEP_1)
	v_and_b32_e32 v2, 0x80000000, v2
	v_or3_b32 v60, v3, v2, v1
	v_mov_b32_e32 v1, v61
	scratch_store_b64 off, v[0:1], s32 offset:192 ; 8-byte Folded Spill
.LBB228_720:                            ;   in Loop: Header=BB228_10 Depth=1
	s_wait_xcnt 0x0
	s_or_b32 exec_lo, exec_lo, s11
.LBB228_721:                            ;   in Loop: Header=BB228_10 Depth=1
	s_delay_alu instid0(SALU_CYCLE_1)
	s_or_b32 exec_lo, exec_lo, s9
.LBB228_722:                            ;   in Loop: Header=BB228_10 Depth=1
	s_delay_alu instid0(SALU_CYCLE_1) | instskip(SKIP_2) | instid1(VALU_DEP_1)
	s_or_b32 exec_lo, exec_lo, s8
	v_lshrrev_b16 v1, 8, v0
	s_mov_b32 s8, exec_lo
	v_cmpx_ne_u16_e32 0, v1
	s_cbranch_execz .LBB228_730
; %bb.723:                              ;   in Loop: Header=BB228_10 Depth=1
	v_mov_b64_e32 v[118:119], 0x8000000000000000
	s_mov_b32 s9, exec_lo
	v_cmpx_ne_u16_e32 0x80, v1
	s_cbranch_execz .LBB228_729
; %bb.724:                              ;   in Loop: Header=BB228_10 Depth=1
	v_and_b32_e32 v1, 0xffff, v1
	v_mov_b64_e32 v[118:119], 0x7f80000100000000
	s_mov_b32 s11, exec_lo
	s_delay_alu instid0(VALU_DEP_2) | instskip(NEXT) | instid1(VALU_DEP_1)
	v_and_b32_e32 v2, 0x7f, v1
	v_cmpx_ne_u32_e32 0x7f, v2
	s_cbranch_execz .LBB228_728
; %bb.725:                              ;   in Loop: Header=BB228_10 Depth=1
	scratch_load_b64 v[4:5], off, s32 offset:192 th:TH_LOAD_LU ; 8-byte Folded Reload
	s_wait_loadcnt 0x0
	v_dual_lshrrev_b32 v1, 3, v2 :: v_dual_bitop2_b32 v4, 7, v1 bitop3:0x40
	s_mov_b32 s16, exec_lo
	s_wait_xcnt 0x0
	v_cmpx_gt_u32_e32 8, v2
; %bb.726:                              ;   in Loop: Header=BB228_10 Depth=1
	s_delay_alu instid0(VALU_DEP_2) | instskip(NEXT) | instid1(VALU_DEP_1)
	v_clz_i32_u32_e32 v1, v4
	v_min_u32_e32 v1, 32, v1
	s_delay_alu instid0(VALU_DEP_1) | instskip(NEXT) | instid1(VALU_DEP_1)
	v_subrev_nc_u32_e32 v2, 28, v1
	v_lshlrev_b64_e32 v[2:3], v2, v[4:5]
	s_delay_alu instid0(VALU_DEP_1)
	v_dual_sub_nc_u32 v1, 29, v1 :: v_dual_bitop2_b32 v4, 7, v2 bitop3:0x40
; %bb.727:                              ;   in Loop: Header=BB228_10 Depth=1
	s_or_b32 exec_lo, exec_lo, s16
	v_lshlrev_b32_e32 v2, 16, v0
	s_delay_alu instid0(VALU_DEP_2) | instskip(NEXT) | instid1(VALU_DEP_3)
	v_dual_mov_b32 v118, v5 :: v_dual_lshlrev_b32 v3, 20, v4
	v_lshl_add_u32 v1, v1, 23, 0x3c000000
	s_delay_alu instid0(VALU_DEP_3) | instskip(NEXT) | instid1(VALU_DEP_1)
	v_and_b32_e32 v2, 0x80000000, v2
	v_or3_b32 v119, v3, v2, v1
	v_mov_b32_e32 v1, v5
	scratch_store_b64 off, v[0:1], s32 offset:192 ; 8-byte Folded Spill
.LBB228_728:                            ;   in Loop: Header=BB228_10 Depth=1
	s_wait_xcnt 0x0
	s_or_b32 exec_lo, exec_lo, s11
.LBB228_729:                            ;   in Loop: Header=BB228_10 Depth=1
	s_delay_alu instid0(SALU_CYCLE_1)
	s_or_b32 exec_lo, exec_lo, s9
.LBB228_730:                            ;   in Loop: Header=BB228_10 Depth=1
	s_delay_alu instid0(SALU_CYCLE_1) | instskip(SKIP_4) | instid1(VALU_DEP_3)
	s_or_b32 exec_lo, exec_lo, s8
	v_lshrrev_b32_e32 v1, 16, v0
	v_mov_b64_e32 v[42:43], 0
	v_mov_b64_e32 v[72:73], 0
	s_mov_b32 s8, exec_lo
	v_and_b32_e32 v2, 0xff, v1
	s_delay_alu instid0(VALU_DEP_1)
	v_cmpx_ne_u16_e32 0, v2
	s_cbranch_execz .LBB228_738
; %bb.731:                              ;   in Loop: Header=BB228_10 Depth=1
	v_mov_b64_e32 v[72:73], 0x80000000
	s_mov_b32 s9, exec_lo
	v_cmpx_ne_u16_e32 0x80, v2
	s_cbranch_execz .LBB228_737
; %bb.732:                              ;   in Loop: Header=BB228_10 Depth=1
	v_mov_b64_e32 v[72:73], 0x7f800001
	v_bfe_u32 v3, v0, 16, 7
	s_mov_b32 s11, exec_lo
	s_delay_alu instid0(VALU_DEP_1)
	v_cmpx_ne_u32_e32 0x7f, v3
	s_cbranch_execz .LBB228_736
; %bb.733:                              ;   in Loop: Header=BB228_10 Depth=1
	scratch_load_b64 v[72:73], off, s32 offset:192 th:TH_LOAD_LU ; 8-byte Folded Reload
	s_wait_loadcnt 0x0
	v_dual_lshrrev_b32 v2, 3, v3 :: v_dual_bitop2_b32 v72, 7, v1 bitop3:0x40
	s_mov_b32 s16, exec_lo
	s_wait_xcnt 0x0
	v_cmpx_gt_u32_e32 8, v3
; %bb.734:                              ;   in Loop: Header=BB228_10 Depth=1
	s_delay_alu instid0(VALU_DEP_2) | instskip(NEXT) | instid1(VALU_DEP_1)
	v_clz_i32_u32_e32 v2, v72
	v_min_u32_e32 v2, 32, v2
	s_delay_alu instid0(VALU_DEP_1) | instskip(NEXT) | instid1(VALU_DEP_1)
	v_subrev_nc_u32_e32 v3, 28, v2
	v_lshlrev_b64_e32 v[4:5], v3, v[72:73]
	s_delay_alu instid0(VALU_DEP_1)
	v_dual_sub_nc_u32 v2, 29, v2 :: v_dual_bitop2_b32 v72, 7, v4 bitop3:0x40
; %bb.735:                              ;   in Loop: Header=BB228_10 Depth=1
	s_or_b32 exec_lo, exec_lo, s16
	s_delay_alu instid0(VALU_DEP_1) | instskip(NEXT) | instid1(VALU_DEP_2)
	v_dual_lshlrev_b32 v1, 24, v1 :: v_dual_lshlrev_b32 v3, 20, v72
	v_lshl_add_u32 v2, v2, 23, 0x3c000000
	s_delay_alu instid0(VALU_DEP_2) | instskip(NEXT) | instid1(VALU_DEP_1)
	v_and_b32_e32 v1, 0x80000000, v1
	v_or3_b32 v72, v3, v1, v2
	v_mov_b32_e32 v1, v73
	scratch_store_b64 off, v[0:1], s32 offset:192 ; 8-byte Folded Spill
.LBB228_736:                            ;   in Loop: Header=BB228_10 Depth=1
	s_wait_xcnt 0x0
	s_or_b32 exec_lo, exec_lo, s11
.LBB228_737:                            ;   in Loop: Header=BB228_10 Depth=1
	s_delay_alu instid0(SALU_CYCLE_1)
	s_or_b32 exec_lo, exec_lo, s9
.LBB228_738:                            ;   in Loop: Header=BB228_10 Depth=1
	s_delay_alu instid0(SALU_CYCLE_1) | instskip(NEXT) | instid1(SALU_CYCLE_1)
	s_or_b32 exec_lo, exec_lo, s8
	s_mov_b32 s8, exec_lo
	v_cmpx_lt_u32_e32 0xffffff, v0
	s_cbranch_execz .LBB228_746
; %bb.739:                              ;   in Loop: Header=BB228_10 Depth=1
	v_mov_b64_e32 v[42:43], 0x8000000000000000
	v_lshrrev_b32_e32 v1, 24, v0
	s_mov_b32 s9, exec_lo
	s_delay_alu instid0(VALU_DEP_1)
	v_cmpx_ne_u32_e32 0x80, v1
	s_cbranch_execz .LBB228_745
; %bb.740:                              ;   in Loop: Header=BB228_10 Depth=1
	v_mov_b64_e32 v[42:43], 0x7f80000100000000
	v_bfe_u32 v2, v0, 24, 7
	s_mov_b32 s11, exec_lo
	s_delay_alu instid0(VALU_DEP_1)
	v_cmpx_ne_u32_e32 0x7f, v2
	s_cbranch_execz .LBB228_744
; %bb.741:                              ;   in Loop: Header=BB228_10 Depth=1
	scratch_load_b64 v[4:5], off, s32 offset:192 th:TH_LOAD_LU ; 8-byte Folded Reload
	s_wait_loadcnt 0x0
	v_dual_lshrrev_b32 v0, 3, v2 :: v_dual_bitop2_b32 v4, 7, v1 bitop3:0x40
	s_mov_b32 s16, exec_lo
	s_wait_xcnt 0x0
	v_cmpx_gt_u32_e32 8, v2
; %bb.742:                              ;   in Loop: Header=BB228_10 Depth=1
	s_delay_alu instid0(VALU_DEP_2) | instskip(NEXT) | instid1(VALU_DEP_1)
	v_clz_i32_u32_e32 v0, v4
	v_min_u32_e32 v0, 32, v0
	s_delay_alu instid0(VALU_DEP_1) | instskip(NEXT) | instid1(VALU_DEP_1)
	v_subrev_nc_u32_e32 v2, 28, v0
	v_lshlrev_b64_e32 v[2:3], v2, v[4:5]
	s_delay_alu instid0(VALU_DEP_1)
	v_dual_sub_nc_u32 v0, 29, v0 :: v_dual_bitop2_b32 v4, 7, v2 bitop3:0x40
; %bb.743:                              ;   in Loop: Header=BB228_10 Depth=1
	s_or_b32 exec_lo, exec_lo, s16
	s_delay_alu instid0(VALU_DEP_1) | instskip(NEXT) | instid1(VALU_DEP_2)
	v_dual_lshlrev_b32 v1, 24, v1 :: v_dual_lshlrev_b32 v2, 20, v4
	v_lshl_add_u32 v0, v0, 23, 0x3c000000
	v_mov_b32_e32 v42, v5
	s_delay_alu instid0(VALU_DEP_3) | instskip(NEXT) | instid1(VALU_DEP_1)
	v_and_b32_e32 v1, 0x80000000, v1
	v_or3_b32 v43, v2, v1, v0
	v_mov_b32_e32 v1, v5
	scratch_store_b64 off, v[0:1], s32 offset:192 ; 8-byte Folded Spill
.LBB228_744:                            ;   in Loop: Header=BB228_10 Depth=1
	s_wait_xcnt 0x0
	s_or_b32 exec_lo, exec_lo, s11
.LBB228_745:                            ;   in Loop: Header=BB228_10 Depth=1
	s_delay_alu instid0(SALU_CYCLE_1)
	s_or_b32 exec_lo, exec_lo, s9
.LBB228_746:                            ;   in Loop: Header=BB228_10 Depth=1
	s_delay_alu instid0(SALU_CYCLE_1)
	s_or_b32 exec_lo, exec_lo, s8
	flat_load_b32 v0, v[48:49] offset:2572
	v_mov_b64_e32 v[62:63], 0
	v_mov_b64_e32 v[76:77], 0
	s_mov_b32 s8, exec_lo
	s_wait_loadcnt_dscnt 0x0
	v_and_b32_e32 v1, 0xff, v0
	s_wait_xcnt 0x0
	s_delay_alu instid0(VALU_DEP_1)
	v_cmpx_ne_u16_e32 0, v1
	s_cbranch_execz .LBB228_754
; %bb.747:                              ;   in Loop: Header=BB228_10 Depth=1
	v_mov_b64_e32 v[76:77], 0x80000000
	s_mov_b32 s9, exec_lo
	v_cmpx_ne_u16_e32 0x80, v1
	s_cbranch_execz .LBB228_753
; %bb.748:                              ;   in Loop: Header=BB228_10 Depth=1
	v_mov_b64_e32 v[76:77], 0x7f800001
	v_and_b32_e32 v2, 0x7f, v0
	s_mov_b32 s11, exec_lo
	s_delay_alu instid0(VALU_DEP_1)
	v_cmpx_ne_u32_e32 0x7f, v2
	s_cbranch_execz .LBB228_752
; %bb.749:                              ;   in Loop: Header=BB228_10 Depth=1
	scratch_load_b64 v[76:77], off, s32 offset:192 th:TH_LOAD_LU ; 8-byte Folded Reload
	s_wait_loadcnt 0x0
	v_dual_lshrrev_b32 v1, 3, v2 :: v_dual_bitop2_b32 v76, 7, v0 bitop3:0x40
	s_mov_b32 s16, exec_lo
	s_wait_xcnt 0x0
	v_cmpx_gt_u32_e32 8, v2
; %bb.750:                              ;   in Loop: Header=BB228_10 Depth=1
	s_delay_alu instid0(VALU_DEP_2) | instskip(NEXT) | instid1(VALU_DEP_1)
	v_clz_i32_u32_e32 v1, v76
	v_min_u32_e32 v1, 32, v1
	s_delay_alu instid0(VALU_DEP_1) | instskip(NEXT) | instid1(VALU_DEP_1)
	v_subrev_nc_u32_e32 v2, 28, v1
	v_lshlrev_b64_e32 v[2:3], v2, v[76:77]
	s_delay_alu instid0(VALU_DEP_1)
	v_dual_sub_nc_u32 v1, 29, v1 :: v_dual_bitop2_b32 v76, 7, v2 bitop3:0x40
; %bb.751:                              ;   in Loop: Header=BB228_10 Depth=1
	s_or_b32 exec_lo, exec_lo, s16
	v_lshlrev_b32_e32 v2, 24, v0
	s_delay_alu instid0(VALU_DEP_2) | instskip(NEXT) | instid1(VALU_DEP_3)
	v_lshlrev_b32_e32 v3, 20, v76
	v_lshl_add_u32 v1, v1, 23, 0x3c000000
	s_delay_alu instid0(VALU_DEP_3) | instskip(NEXT) | instid1(VALU_DEP_1)
	v_and_b32_e32 v2, 0x80000000, v2
	v_or3_b32 v76, v3, v2, v1
	v_mov_b32_e32 v1, v77
	scratch_store_b64 off, v[0:1], s32 offset:192 ; 8-byte Folded Spill
.LBB228_752:                            ;   in Loop: Header=BB228_10 Depth=1
	s_wait_xcnt 0x0
	s_or_b32 exec_lo, exec_lo, s11
.LBB228_753:                            ;   in Loop: Header=BB228_10 Depth=1
	s_delay_alu instid0(SALU_CYCLE_1)
	s_or_b32 exec_lo, exec_lo, s9
.LBB228_754:                            ;   in Loop: Header=BB228_10 Depth=1
	s_delay_alu instid0(SALU_CYCLE_1) | instskip(SKIP_2) | instid1(VALU_DEP_1)
	s_or_b32 exec_lo, exec_lo, s8
	v_lshrrev_b16 v1, 8, v0
	s_mov_b32 s8, exec_lo
	v_cmpx_ne_u16_e32 0, v1
	s_cbranch_execz .LBB228_762
; %bb.755:                              ;   in Loop: Header=BB228_10 Depth=1
	v_mov_b64_e32 v[62:63], 0x8000000000000000
	s_mov_b32 s9, exec_lo
	v_cmpx_ne_u16_e32 0x80, v1
	s_cbranch_execz .LBB228_761
; %bb.756:                              ;   in Loop: Header=BB228_10 Depth=1
	v_and_b32_e32 v1, 0xffff, v1
	v_mov_b64_e32 v[62:63], 0x7f80000100000000
	s_mov_b32 s11, exec_lo
	s_delay_alu instid0(VALU_DEP_2) | instskip(NEXT) | instid1(VALU_DEP_1)
	v_and_b32_e32 v2, 0x7f, v1
	v_cmpx_ne_u32_e32 0x7f, v2
	s_cbranch_execz .LBB228_760
; %bb.757:                              ;   in Loop: Header=BB228_10 Depth=1
	scratch_load_b64 v[4:5], off, s32 offset:192 th:TH_LOAD_LU ; 8-byte Folded Reload
	s_wait_loadcnt 0x0
	v_dual_lshrrev_b32 v1, 3, v2 :: v_dual_bitop2_b32 v4, 7, v1 bitop3:0x40
	s_mov_b32 s16, exec_lo
	s_wait_xcnt 0x0
	v_cmpx_gt_u32_e32 8, v2
; %bb.758:                              ;   in Loop: Header=BB228_10 Depth=1
	s_delay_alu instid0(VALU_DEP_2) | instskip(NEXT) | instid1(VALU_DEP_1)
	v_clz_i32_u32_e32 v1, v4
	v_min_u32_e32 v1, 32, v1
	s_delay_alu instid0(VALU_DEP_1) | instskip(NEXT) | instid1(VALU_DEP_1)
	v_subrev_nc_u32_e32 v2, 28, v1
	v_lshlrev_b64_e32 v[2:3], v2, v[4:5]
	s_delay_alu instid0(VALU_DEP_1)
	v_dual_sub_nc_u32 v1, 29, v1 :: v_dual_bitop2_b32 v4, 7, v2 bitop3:0x40
; %bb.759:                              ;   in Loop: Header=BB228_10 Depth=1
	s_or_b32 exec_lo, exec_lo, s16
	v_lshlrev_b32_e32 v2, 16, v0
	s_delay_alu instid0(VALU_DEP_2) | instskip(NEXT) | instid1(VALU_DEP_3)
	v_dual_mov_b32 v62, v5 :: v_dual_lshlrev_b32 v3, 20, v4
	v_lshl_add_u32 v1, v1, 23, 0x3c000000
	s_delay_alu instid0(VALU_DEP_3) | instskip(NEXT) | instid1(VALU_DEP_1)
	v_and_b32_e32 v2, 0x80000000, v2
	v_or3_b32 v63, v3, v2, v1
	v_mov_b32_e32 v1, v5
	scratch_store_b64 off, v[0:1], s32 offset:192 ; 8-byte Folded Spill
.LBB228_760:                            ;   in Loop: Header=BB228_10 Depth=1
	s_wait_xcnt 0x0
	s_or_b32 exec_lo, exec_lo, s11
.LBB228_761:                            ;   in Loop: Header=BB228_10 Depth=1
	s_delay_alu instid0(SALU_CYCLE_1)
	s_or_b32 exec_lo, exec_lo, s9
.LBB228_762:                            ;   in Loop: Header=BB228_10 Depth=1
	s_delay_alu instid0(SALU_CYCLE_1) | instskip(SKIP_4) | instid1(VALU_DEP_3)
	s_or_b32 exec_lo, exec_lo, s8
	v_lshrrev_b32_e32 v1, 16, v0
	v_mov_b64_e32 v[58:59], 0
	v_mov_b64_e32 v[80:81], 0
	s_mov_b32 s8, exec_lo
	v_and_b32_e32 v2, 0xff, v1
	s_delay_alu instid0(VALU_DEP_1)
	v_cmpx_ne_u16_e32 0, v2
	s_cbranch_execz .LBB228_770
; %bb.763:                              ;   in Loop: Header=BB228_10 Depth=1
	v_mov_b64_e32 v[80:81], 0x80000000
	s_mov_b32 s9, exec_lo
	v_cmpx_ne_u16_e32 0x80, v2
	s_cbranch_execz .LBB228_769
; %bb.764:                              ;   in Loop: Header=BB228_10 Depth=1
	v_mov_b64_e32 v[80:81], 0x7f800001
	v_bfe_u32 v3, v0, 16, 7
	s_mov_b32 s11, exec_lo
	s_delay_alu instid0(VALU_DEP_1)
	v_cmpx_ne_u32_e32 0x7f, v3
	s_cbranch_execz .LBB228_768
; %bb.765:                              ;   in Loop: Header=BB228_10 Depth=1
	scratch_load_b64 v[80:81], off, s32 offset:192 th:TH_LOAD_LU ; 8-byte Folded Reload
	s_wait_loadcnt 0x0
	v_dual_lshrrev_b32 v2, 3, v3 :: v_dual_bitop2_b32 v80, 7, v1 bitop3:0x40
	s_mov_b32 s16, exec_lo
	s_wait_xcnt 0x0
	v_cmpx_gt_u32_e32 8, v3
; %bb.766:                              ;   in Loop: Header=BB228_10 Depth=1
	s_delay_alu instid0(VALU_DEP_2) | instskip(NEXT) | instid1(VALU_DEP_1)
	v_clz_i32_u32_e32 v2, v80
	v_min_u32_e32 v2, 32, v2
	s_delay_alu instid0(VALU_DEP_1) | instskip(NEXT) | instid1(VALU_DEP_1)
	v_subrev_nc_u32_e32 v3, 28, v2
	v_lshlrev_b64_e32 v[4:5], v3, v[80:81]
	s_delay_alu instid0(VALU_DEP_1)
	v_dual_sub_nc_u32 v2, 29, v2 :: v_dual_bitop2_b32 v80, 7, v4 bitop3:0x40
; %bb.767:                              ;   in Loop: Header=BB228_10 Depth=1
	s_or_b32 exec_lo, exec_lo, s16
	s_delay_alu instid0(VALU_DEP_1) | instskip(NEXT) | instid1(VALU_DEP_2)
	v_dual_lshlrev_b32 v1, 24, v1 :: v_dual_lshlrev_b32 v3, 20, v80
	v_lshl_add_u32 v2, v2, 23, 0x3c000000
	s_delay_alu instid0(VALU_DEP_2) | instskip(NEXT) | instid1(VALU_DEP_1)
	v_and_b32_e32 v1, 0x80000000, v1
	v_or3_b32 v80, v3, v1, v2
	v_mov_b32_e32 v1, v81
	scratch_store_b64 off, v[0:1], s32 offset:192 ; 8-byte Folded Spill
.LBB228_768:                            ;   in Loop: Header=BB228_10 Depth=1
	s_wait_xcnt 0x0
	s_or_b32 exec_lo, exec_lo, s11
.LBB228_769:                            ;   in Loop: Header=BB228_10 Depth=1
	s_delay_alu instid0(SALU_CYCLE_1)
	s_or_b32 exec_lo, exec_lo, s9
.LBB228_770:                            ;   in Loop: Header=BB228_10 Depth=1
	s_delay_alu instid0(SALU_CYCLE_1) | instskip(NEXT) | instid1(SALU_CYCLE_1)
	s_or_b32 exec_lo, exec_lo, s8
	s_mov_b32 s8, exec_lo
	v_cmpx_lt_u32_e32 0xffffff, v0
	s_cbranch_execz .LBB228_778
; %bb.771:                              ;   in Loop: Header=BB228_10 Depth=1
	v_mov_b64_e32 v[58:59], 0x8000000000000000
	v_lshrrev_b32_e32 v1, 24, v0
	s_mov_b32 s9, exec_lo
	s_delay_alu instid0(VALU_DEP_1)
	v_cmpx_ne_u32_e32 0x80, v1
	s_cbranch_execz .LBB228_777
; %bb.772:                              ;   in Loop: Header=BB228_10 Depth=1
	v_mov_b64_e32 v[58:59], 0x7f80000100000000
	v_bfe_u32 v2, v0, 24, 7
	s_mov_b32 s11, exec_lo
	s_delay_alu instid0(VALU_DEP_1)
	v_cmpx_ne_u32_e32 0x7f, v2
	s_cbranch_execz .LBB228_776
; %bb.773:                              ;   in Loop: Header=BB228_10 Depth=1
	scratch_load_b64 v[4:5], off, s32 offset:192 th:TH_LOAD_LU ; 8-byte Folded Reload
	s_wait_loadcnt 0x0
	v_dual_lshrrev_b32 v0, 3, v2 :: v_dual_bitop2_b32 v4, 7, v1 bitop3:0x40
	s_mov_b32 s16, exec_lo
	s_wait_xcnt 0x0
	v_cmpx_gt_u32_e32 8, v2
; %bb.774:                              ;   in Loop: Header=BB228_10 Depth=1
	s_delay_alu instid0(VALU_DEP_2) | instskip(NEXT) | instid1(VALU_DEP_1)
	v_clz_i32_u32_e32 v0, v4
	v_min_u32_e32 v0, 32, v0
	s_delay_alu instid0(VALU_DEP_1) | instskip(NEXT) | instid1(VALU_DEP_1)
	v_subrev_nc_u32_e32 v2, 28, v0
	v_lshlrev_b64_e32 v[2:3], v2, v[4:5]
	s_delay_alu instid0(VALU_DEP_1)
	v_dual_sub_nc_u32 v0, 29, v0 :: v_dual_bitop2_b32 v4, 7, v2 bitop3:0x40
; %bb.775:                              ;   in Loop: Header=BB228_10 Depth=1
	s_or_b32 exec_lo, exec_lo, s16
	s_delay_alu instid0(VALU_DEP_1) | instskip(NEXT) | instid1(VALU_DEP_2)
	v_dual_lshlrev_b32 v1, 24, v1 :: v_dual_lshlrev_b32 v2, 20, v4
	v_lshl_add_u32 v0, v0, 23, 0x3c000000
	v_mov_b32_e32 v58, v5
	s_delay_alu instid0(VALU_DEP_3) | instskip(NEXT) | instid1(VALU_DEP_1)
	v_and_b32_e32 v1, 0x80000000, v1
	v_or3_b32 v59, v2, v1, v0
	v_mov_b32_e32 v1, v5
	scratch_store_b64 off, v[0:1], s32 offset:192 ; 8-byte Folded Spill
.LBB228_776:                            ;   in Loop: Header=BB228_10 Depth=1
	s_wait_xcnt 0x0
	s_or_b32 exec_lo, exec_lo, s11
.LBB228_777:                            ;   in Loop: Header=BB228_10 Depth=1
	s_delay_alu instid0(SALU_CYCLE_1)
	s_or_b32 exec_lo, exec_lo, s9
.LBB228_778:                            ;   in Loop: Header=BB228_10 Depth=1
	s_delay_alu instid0(SALU_CYCLE_1)
	s_or_b32 exec_lo, exec_lo, s8
	flat_load_b32 v0, v[48:49] offset:3072
	v_mov_b64_e32 v[84:85], 0
	v_mov_b64_e32 v[92:93], 0
	s_mov_b32 s8, exec_lo
	s_wait_loadcnt_dscnt 0x0
	v_and_b32_e32 v1, 0xff, v0
	s_wait_xcnt 0x0
	s_delay_alu instid0(VALU_DEP_1)
	v_cmpx_ne_u16_e32 0, v1
	s_cbranch_execz .LBB228_786
; %bb.779:                              ;   in Loop: Header=BB228_10 Depth=1
	v_mov_b64_e32 v[92:93], 0x80000000
	s_mov_b32 s9, exec_lo
	v_cmpx_ne_u16_e32 0x80, v1
	s_cbranch_execz .LBB228_785
; %bb.780:                              ;   in Loop: Header=BB228_10 Depth=1
	v_mov_b64_e32 v[92:93], 0x7f800001
	v_and_b32_e32 v2, 0x7f, v0
	s_mov_b32 s11, exec_lo
	s_delay_alu instid0(VALU_DEP_1)
	v_cmpx_ne_u32_e32 0x7f, v2
	s_cbranch_execz .LBB228_784
; %bb.781:                              ;   in Loop: Header=BB228_10 Depth=1
	scratch_load_b64 v[92:93], off, s32 offset:192 th:TH_LOAD_LU ; 8-byte Folded Reload
	s_wait_loadcnt 0x0
	v_dual_lshrrev_b32 v1, 3, v2 :: v_dual_bitop2_b32 v92, 7, v0 bitop3:0x40
	s_mov_b32 s16, exec_lo
	s_wait_xcnt 0x0
	v_cmpx_gt_u32_e32 8, v2
; %bb.782:                              ;   in Loop: Header=BB228_10 Depth=1
	s_delay_alu instid0(VALU_DEP_2) | instskip(NEXT) | instid1(VALU_DEP_1)
	v_clz_i32_u32_e32 v1, v92
	v_min_u32_e32 v1, 32, v1
	s_delay_alu instid0(VALU_DEP_1) | instskip(NEXT) | instid1(VALU_DEP_1)
	v_subrev_nc_u32_e32 v2, 28, v1
	v_lshlrev_b64_e32 v[2:3], v2, v[92:93]
	s_delay_alu instid0(VALU_DEP_1)
	v_dual_sub_nc_u32 v1, 29, v1 :: v_dual_bitop2_b32 v92, 7, v2 bitop3:0x40
; %bb.783:                              ;   in Loop: Header=BB228_10 Depth=1
	s_or_b32 exec_lo, exec_lo, s16
	v_lshlrev_b32_e32 v2, 24, v0
	s_delay_alu instid0(VALU_DEP_2) | instskip(NEXT) | instid1(VALU_DEP_3)
	v_lshlrev_b32_e32 v3, 20, v92
	v_lshl_add_u32 v1, v1, 23, 0x3c000000
	s_delay_alu instid0(VALU_DEP_3) | instskip(NEXT) | instid1(VALU_DEP_1)
	v_and_b32_e32 v2, 0x80000000, v2
	v_or3_b32 v92, v3, v2, v1
	v_mov_b32_e32 v1, v93
	scratch_store_b64 off, v[0:1], s32 offset:192 ; 8-byte Folded Spill
.LBB228_784:                            ;   in Loop: Header=BB228_10 Depth=1
	s_wait_xcnt 0x0
	s_or_b32 exec_lo, exec_lo, s11
.LBB228_785:                            ;   in Loop: Header=BB228_10 Depth=1
	s_delay_alu instid0(SALU_CYCLE_1)
	s_or_b32 exec_lo, exec_lo, s9
.LBB228_786:                            ;   in Loop: Header=BB228_10 Depth=1
	s_delay_alu instid0(SALU_CYCLE_1) | instskip(SKIP_2) | instid1(VALU_DEP_1)
	s_or_b32 exec_lo, exec_lo, s8
	v_lshrrev_b16 v1, 8, v0
	s_mov_b32 s8, exec_lo
	v_cmpx_ne_u16_e32 0, v1
	s_cbranch_execz .LBB228_794
; %bb.787:                              ;   in Loop: Header=BB228_10 Depth=1
	v_mov_b64_e32 v[84:85], 0x8000000000000000
	s_mov_b32 s9, exec_lo
	v_cmpx_ne_u16_e32 0x80, v1
	s_cbranch_execz .LBB228_793
; %bb.788:                              ;   in Loop: Header=BB228_10 Depth=1
	v_and_b32_e32 v1, 0xffff, v1
	v_mov_b64_e32 v[84:85], 0x7f80000100000000
	s_mov_b32 s11, exec_lo
	s_delay_alu instid0(VALU_DEP_2) | instskip(NEXT) | instid1(VALU_DEP_1)
	v_and_b32_e32 v2, 0x7f, v1
	v_cmpx_ne_u32_e32 0x7f, v2
	s_cbranch_execz .LBB228_792
; %bb.789:                              ;   in Loop: Header=BB228_10 Depth=1
	scratch_load_b64 v[4:5], off, s32 offset:192 th:TH_LOAD_LU ; 8-byte Folded Reload
	s_wait_loadcnt 0x0
	v_dual_lshrrev_b32 v1, 3, v2 :: v_dual_bitop2_b32 v4, 7, v1 bitop3:0x40
	s_mov_b32 s16, exec_lo
	s_wait_xcnt 0x0
	v_cmpx_gt_u32_e32 8, v2
; %bb.790:                              ;   in Loop: Header=BB228_10 Depth=1
	s_delay_alu instid0(VALU_DEP_2) | instskip(NEXT) | instid1(VALU_DEP_1)
	v_clz_i32_u32_e32 v1, v4
	v_min_u32_e32 v1, 32, v1
	s_delay_alu instid0(VALU_DEP_1) | instskip(NEXT) | instid1(VALU_DEP_1)
	v_subrev_nc_u32_e32 v2, 28, v1
	v_lshlrev_b64_e32 v[2:3], v2, v[4:5]
	s_delay_alu instid0(VALU_DEP_1)
	v_dual_sub_nc_u32 v1, 29, v1 :: v_dual_bitop2_b32 v4, 7, v2 bitop3:0x40
; %bb.791:                              ;   in Loop: Header=BB228_10 Depth=1
	s_or_b32 exec_lo, exec_lo, s16
	v_lshlrev_b32_e32 v2, 16, v0
	s_delay_alu instid0(VALU_DEP_2) | instskip(NEXT) | instid1(VALU_DEP_3)
	v_dual_mov_b32 v84, v5 :: v_dual_lshlrev_b32 v3, 20, v4
	v_lshl_add_u32 v1, v1, 23, 0x3c000000
	s_delay_alu instid0(VALU_DEP_3) | instskip(NEXT) | instid1(VALU_DEP_1)
	v_and_b32_e32 v2, 0x80000000, v2
	v_or3_b32 v85, v3, v2, v1
	v_mov_b32_e32 v1, v5
	scratch_store_b64 off, v[0:1], s32 offset:192 ; 8-byte Folded Spill
.LBB228_792:                            ;   in Loop: Header=BB228_10 Depth=1
	s_wait_xcnt 0x0
	s_or_b32 exec_lo, exec_lo, s11
.LBB228_793:                            ;   in Loop: Header=BB228_10 Depth=1
	s_delay_alu instid0(SALU_CYCLE_1)
	s_or_b32 exec_lo, exec_lo, s9
.LBB228_794:                            ;   in Loop: Header=BB228_10 Depth=1
	s_delay_alu instid0(SALU_CYCLE_1) | instskip(SKIP_4) | instid1(VALU_DEP_3)
	s_or_b32 exec_lo, exec_lo, s8
	v_lshrrev_b32_e32 v1, 16, v0
	v_mov_b64_e32 v[74:75], 0
	v_mov_b64_e32 v[104:105], 0
	s_mov_b32 s8, exec_lo
	v_and_b32_e32 v2, 0xff, v1
	s_delay_alu instid0(VALU_DEP_1)
	v_cmpx_ne_u16_e32 0, v2
	s_cbranch_execz .LBB228_802
; %bb.795:                              ;   in Loop: Header=BB228_10 Depth=1
	v_mov_b64_e32 v[104:105], 0x80000000
	s_mov_b32 s9, exec_lo
	v_cmpx_ne_u16_e32 0x80, v2
	s_cbranch_execz .LBB228_801
; %bb.796:                              ;   in Loop: Header=BB228_10 Depth=1
	v_mov_b64_e32 v[104:105], 0x7f800001
	v_bfe_u32 v3, v0, 16, 7
	s_mov_b32 s11, exec_lo
	s_delay_alu instid0(VALU_DEP_1)
	v_cmpx_ne_u32_e32 0x7f, v3
	s_cbranch_execz .LBB228_800
; %bb.797:                              ;   in Loop: Header=BB228_10 Depth=1
	scratch_load_b64 v[104:105], off, s32 offset:192 th:TH_LOAD_LU ; 8-byte Folded Reload
	s_wait_loadcnt 0x0
	v_dual_lshrrev_b32 v2, 3, v3 :: v_dual_bitop2_b32 v104, 7, v1 bitop3:0x40
	s_mov_b32 s16, exec_lo
	s_wait_xcnt 0x0
	v_cmpx_gt_u32_e32 8, v3
; %bb.798:                              ;   in Loop: Header=BB228_10 Depth=1
	s_delay_alu instid0(VALU_DEP_2) | instskip(NEXT) | instid1(VALU_DEP_1)
	v_clz_i32_u32_e32 v2, v104
	v_min_u32_e32 v2, 32, v2
	s_delay_alu instid0(VALU_DEP_1) | instskip(NEXT) | instid1(VALU_DEP_1)
	v_subrev_nc_u32_e32 v3, 28, v2
	v_lshlrev_b64_e32 v[4:5], v3, v[104:105]
	s_delay_alu instid0(VALU_DEP_1)
	v_dual_sub_nc_u32 v2, 29, v2 :: v_dual_bitop2_b32 v104, 7, v4 bitop3:0x40
; %bb.799:                              ;   in Loop: Header=BB228_10 Depth=1
	s_or_b32 exec_lo, exec_lo, s16
	s_delay_alu instid0(VALU_DEP_1) | instskip(NEXT) | instid1(VALU_DEP_2)
	v_dual_lshlrev_b32 v1, 24, v1 :: v_dual_lshlrev_b32 v3, 20, v104
	v_lshl_add_u32 v2, v2, 23, 0x3c000000
	s_delay_alu instid0(VALU_DEP_2) | instskip(NEXT) | instid1(VALU_DEP_1)
	v_and_b32_e32 v1, 0x80000000, v1
	v_or3_b32 v104, v3, v1, v2
	v_mov_b32_e32 v1, v105
	scratch_store_b64 off, v[0:1], s32 offset:192 ; 8-byte Folded Spill
.LBB228_800:                            ;   in Loop: Header=BB228_10 Depth=1
	s_wait_xcnt 0x0
	s_or_b32 exec_lo, exec_lo, s11
.LBB228_801:                            ;   in Loop: Header=BB228_10 Depth=1
	s_delay_alu instid0(SALU_CYCLE_1)
	s_or_b32 exec_lo, exec_lo, s9
.LBB228_802:                            ;   in Loop: Header=BB228_10 Depth=1
	s_delay_alu instid0(SALU_CYCLE_1) | instskip(NEXT) | instid1(SALU_CYCLE_1)
	s_or_b32 exec_lo, exec_lo, s8
	s_mov_b32 s8, exec_lo
	v_cmpx_lt_u32_e32 0xffffff, v0
	s_cbranch_execz .LBB228_810
; %bb.803:                              ;   in Loop: Header=BB228_10 Depth=1
	v_mov_b64_e32 v[74:75], 0x8000000000000000
	v_lshrrev_b32_e32 v1, 24, v0
	s_mov_b32 s9, exec_lo
	s_delay_alu instid0(VALU_DEP_1)
	v_cmpx_ne_u32_e32 0x80, v1
	s_cbranch_execz .LBB228_809
; %bb.804:                              ;   in Loop: Header=BB228_10 Depth=1
	v_mov_b64_e32 v[74:75], 0x7f80000100000000
	v_bfe_u32 v2, v0, 24, 7
	s_mov_b32 s11, exec_lo
	s_delay_alu instid0(VALU_DEP_1)
	v_cmpx_ne_u32_e32 0x7f, v2
	s_cbranch_execz .LBB228_808
; %bb.805:                              ;   in Loop: Header=BB228_10 Depth=1
	scratch_load_b64 v[4:5], off, s32 offset:192 th:TH_LOAD_LU ; 8-byte Folded Reload
	s_wait_loadcnt 0x0
	v_dual_lshrrev_b32 v0, 3, v2 :: v_dual_bitop2_b32 v4, 7, v1 bitop3:0x40
	s_mov_b32 s16, exec_lo
	s_wait_xcnt 0x0
	v_cmpx_gt_u32_e32 8, v2
; %bb.806:                              ;   in Loop: Header=BB228_10 Depth=1
	s_delay_alu instid0(VALU_DEP_2) | instskip(NEXT) | instid1(VALU_DEP_1)
	v_clz_i32_u32_e32 v0, v4
	v_min_u32_e32 v0, 32, v0
	s_delay_alu instid0(VALU_DEP_1) | instskip(NEXT) | instid1(VALU_DEP_1)
	v_subrev_nc_u32_e32 v2, 28, v0
	v_lshlrev_b64_e32 v[2:3], v2, v[4:5]
	s_delay_alu instid0(VALU_DEP_1)
	v_dual_sub_nc_u32 v0, 29, v0 :: v_dual_bitop2_b32 v4, 7, v2 bitop3:0x40
; %bb.807:                              ;   in Loop: Header=BB228_10 Depth=1
	s_or_b32 exec_lo, exec_lo, s16
	s_delay_alu instid0(VALU_DEP_1) | instskip(NEXT) | instid1(VALU_DEP_2)
	v_dual_lshlrev_b32 v1, 24, v1 :: v_dual_lshlrev_b32 v2, 20, v4
	v_lshl_add_u32 v0, v0, 23, 0x3c000000
	v_mov_b32_e32 v74, v5
	s_delay_alu instid0(VALU_DEP_3) | instskip(NEXT) | instid1(VALU_DEP_1)
	v_and_b32_e32 v1, 0x80000000, v1
	v_or3_b32 v75, v2, v1, v0
	v_mov_b32_e32 v1, v5
	scratch_store_b64 off, v[0:1], s32 offset:192 ; 8-byte Folded Spill
.LBB228_808:                            ;   in Loop: Header=BB228_10 Depth=1
	s_wait_xcnt 0x0
	s_or_b32 exec_lo, exec_lo, s11
.LBB228_809:                            ;   in Loop: Header=BB228_10 Depth=1
	s_delay_alu instid0(SALU_CYCLE_1)
	s_or_b32 exec_lo, exec_lo, s9
.LBB228_810:                            ;   in Loop: Header=BB228_10 Depth=1
	s_delay_alu instid0(SALU_CYCLE_1)
	s_or_b32 exec_lo, exec_lo, s8
	flat_load_b32 v0, v[48:49] offset:3076
	v_mov_b64_e32 v[78:79], 0
	v_mov_b64_e32 v[108:109], 0
	s_mov_b32 s8, exec_lo
	s_wait_loadcnt_dscnt 0x0
	v_and_b32_e32 v1, 0xff, v0
	s_wait_xcnt 0x0
	s_delay_alu instid0(VALU_DEP_1)
	v_cmpx_ne_u16_e32 0, v1
	s_cbranch_execz .LBB228_818
; %bb.811:                              ;   in Loop: Header=BB228_10 Depth=1
	v_mov_b64_e32 v[108:109], 0x80000000
	s_mov_b32 s9, exec_lo
	v_cmpx_ne_u16_e32 0x80, v1
	s_cbranch_execz .LBB228_817
; %bb.812:                              ;   in Loop: Header=BB228_10 Depth=1
	v_mov_b64_e32 v[108:109], 0x7f800001
	v_and_b32_e32 v2, 0x7f, v0
	s_mov_b32 s11, exec_lo
	s_delay_alu instid0(VALU_DEP_1)
	v_cmpx_ne_u32_e32 0x7f, v2
	s_cbranch_execz .LBB228_816
; %bb.813:                              ;   in Loop: Header=BB228_10 Depth=1
	scratch_load_b64 v[108:109], off, s32 offset:192 th:TH_LOAD_LU ; 8-byte Folded Reload
	s_wait_loadcnt 0x0
	v_dual_lshrrev_b32 v1, 3, v2 :: v_dual_bitop2_b32 v108, 7, v0 bitop3:0x40
	s_mov_b32 s16, exec_lo
	s_wait_xcnt 0x0
	v_cmpx_gt_u32_e32 8, v2
; %bb.814:                              ;   in Loop: Header=BB228_10 Depth=1
	s_delay_alu instid0(VALU_DEP_2) | instskip(NEXT) | instid1(VALU_DEP_1)
	v_clz_i32_u32_e32 v1, v108
	v_min_u32_e32 v1, 32, v1
	s_delay_alu instid0(VALU_DEP_1) | instskip(NEXT) | instid1(VALU_DEP_1)
	v_subrev_nc_u32_e32 v2, 28, v1
	v_lshlrev_b64_e32 v[2:3], v2, v[108:109]
	s_delay_alu instid0(VALU_DEP_1)
	v_dual_sub_nc_u32 v1, 29, v1 :: v_dual_bitop2_b32 v108, 7, v2 bitop3:0x40
; %bb.815:                              ;   in Loop: Header=BB228_10 Depth=1
	s_or_b32 exec_lo, exec_lo, s16
	v_lshlrev_b32_e32 v2, 24, v0
	s_delay_alu instid0(VALU_DEP_2) | instskip(NEXT) | instid1(VALU_DEP_3)
	v_lshlrev_b32_e32 v3, 20, v108
	v_lshl_add_u32 v1, v1, 23, 0x3c000000
	s_delay_alu instid0(VALU_DEP_3) | instskip(NEXT) | instid1(VALU_DEP_1)
	v_and_b32_e32 v2, 0x80000000, v2
	v_or3_b32 v108, v3, v2, v1
	v_mov_b32_e32 v1, v109
	scratch_store_b64 off, v[0:1], s32 offset:192 ; 8-byte Folded Spill
.LBB228_816:                            ;   in Loop: Header=BB228_10 Depth=1
	s_wait_xcnt 0x0
	s_or_b32 exec_lo, exec_lo, s11
.LBB228_817:                            ;   in Loop: Header=BB228_10 Depth=1
	s_delay_alu instid0(SALU_CYCLE_1)
	s_or_b32 exec_lo, exec_lo, s9
.LBB228_818:                            ;   in Loop: Header=BB228_10 Depth=1
	s_delay_alu instid0(SALU_CYCLE_1) | instskip(SKIP_2) | instid1(VALU_DEP_1)
	s_or_b32 exec_lo, exec_lo, s8
	v_lshrrev_b16 v1, 8, v0
	s_mov_b32 s8, exec_lo
	v_cmpx_ne_u16_e32 0, v1
	s_cbranch_execz .LBB228_826
; %bb.819:                              ;   in Loop: Header=BB228_10 Depth=1
	v_mov_b64_e32 v[78:79], 0x8000000000000000
	s_mov_b32 s9, exec_lo
	v_cmpx_ne_u16_e32 0x80, v1
	s_cbranch_execz .LBB228_825
; %bb.820:                              ;   in Loop: Header=BB228_10 Depth=1
	v_and_b32_e32 v1, 0xffff, v1
	v_mov_b64_e32 v[78:79], 0x7f80000100000000
	s_mov_b32 s11, exec_lo
	s_delay_alu instid0(VALU_DEP_2) | instskip(NEXT) | instid1(VALU_DEP_1)
	v_and_b32_e32 v2, 0x7f, v1
	v_cmpx_ne_u32_e32 0x7f, v2
	s_cbranch_execz .LBB228_824
; %bb.821:                              ;   in Loop: Header=BB228_10 Depth=1
	scratch_load_b64 v[4:5], off, s32 offset:192 th:TH_LOAD_LU ; 8-byte Folded Reload
	s_wait_loadcnt 0x0
	v_dual_lshrrev_b32 v1, 3, v2 :: v_dual_bitop2_b32 v4, 7, v1 bitop3:0x40
	s_mov_b32 s16, exec_lo
	s_wait_xcnt 0x0
	v_cmpx_gt_u32_e32 8, v2
; %bb.822:                              ;   in Loop: Header=BB228_10 Depth=1
	s_delay_alu instid0(VALU_DEP_2) | instskip(NEXT) | instid1(VALU_DEP_1)
	v_clz_i32_u32_e32 v1, v4
	v_min_u32_e32 v1, 32, v1
	s_delay_alu instid0(VALU_DEP_1) | instskip(NEXT) | instid1(VALU_DEP_1)
	v_subrev_nc_u32_e32 v2, 28, v1
	v_lshlrev_b64_e32 v[2:3], v2, v[4:5]
	s_delay_alu instid0(VALU_DEP_1)
	v_dual_sub_nc_u32 v1, 29, v1 :: v_dual_bitop2_b32 v4, 7, v2 bitop3:0x40
; %bb.823:                              ;   in Loop: Header=BB228_10 Depth=1
	s_or_b32 exec_lo, exec_lo, s16
	v_lshlrev_b32_e32 v2, 16, v0
	s_delay_alu instid0(VALU_DEP_2) | instskip(NEXT) | instid1(VALU_DEP_3)
	v_dual_mov_b32 v78, v5 :: v_dual_lshlrev_b32 v3, 20, v4
	v_lshl_add_u32 v1, v1, 23, 0x3c000000
	s_delay_alu instid0(VALU_DEP_3) | instskip(NEXT) | instid1(VALU_DEP_1)
	v_and_b32_e32 v2, 0x80000000, v2
	v_or3_b32 v79, v3, v2, v1
	v_mov_b32_e32 v1, v5
	scratch_store_b64 off, v[0:1], s32 offset:192 ; 8-byte Folded Spill
.LBB228_824:                            ;   in Loop: Header=BB228_10 Depth=1
	s_wait_xcnt 0x0
	s_or_b32 exec_lo, exec_lo, s11
.LBB228_825:                            ;   in Loop: Header=BB228_10 Depth=1
	s_delay_alu instid0(SALU_CYCLE_1)
	s_or_b32 exec_lo, exec_lo, s9
.LBB228_826:                            ;   in Loop: Header=BB228_10 Depth=1
	s_delay_alu instid0(SALU_CYCLE_1) | instskip(SKIP_4) | instid1(VALU_DEP_3)
	s_or_b32 exec_lo, exec_lo, s8
	v_lshrrev_b32_e32 v1, 16, v0
	v_mov_b64_e32 v[90:91], 0
	v_mov_b64_e32 v[120:121], 0
	s_mov_b32 s8, exec_lo
	v_and_b32_e32 v2, 0xff, v1
	s_delay_alu instid0(VALU_DEP_1)
	v_cmpx_ne_u16_e32 0, v2
	s_cbranch_execz .LBB228_834
; %bb.827:                              ;   in Loop: Header=BB228_10 Depth=1
	v_mov_b64_e32 v[120:121], 0x80000000
	s_mov_b32 s9, exec_lo
	v_cmpx_ne_u16_e32 0x80, v2
	s_cbranch_execz .LBB228_833
; %bb.828:                              ;   in Loop: Header=BB228_10 Depth=1
	v_mov_b64_e32 v[120:121], 0x7f800001
	v_bfe_u32 v3, v0, 16, 7
	s_mov_b32 s11, exec_lo
	s_delay_alu instid0(VALU_DEP_1)
	v_cmpx_ne_u32_e32 0x7f, v3
	s_cbranch_execz .LBB228_832
; %bb.829:                              ;   in Loop: Header=BB228_10 Depth=1
	scratch_load_b64 v[120:121], off, s32 offset:192 th:TH_LOAD_LU ; 8-byte Folded Reload
	s_wait_loadcnt 0x0
	v_dual_lshrrev_b32 v2, 3, v3 :: v_dual_bitop2_b32 v120, 7, v1 bitop3:0x40
	s_mov_b32 s16, exec_lo
	s_wait_xcnt 0x0
	v_cmpx_gt_u32_e32 8, v3
; %bb.830:                              ;   in Loop: Header=BB228_10 Depth=1
	s_delay_alu instid0(VALU_DEP_2) | instskip(NEXT) | instid1(VALU_DEP_1)
	v_clz_i32_u32_e32 v2, v120
	v_min_u32_e32 v2, 32, v2
	s_delay_alu instid0(VALU_DEP_1) | instskip(NEXT) | instid1(VALU_DEP_1)
	v_subrev_nc_u32_e32 v3, 28, v2
	v_lshlrev_b64_e32 v[4:5], v3, v[120:121]
	s_delay_alu instid0(VALU_DEP_1)
	v_dual_sub_nc_u32 v2, 29, v2 :: v_dual_bitop2_b32 v120, 7, v4 bitop3:0x40
; %bb.831:                              ;   in Loop: Header=BB228_10 Depth=1
	s_or_b32 exec_lo, exec_lo, s16
	s_delay_alu instid0(VALU_DEP_1) | instskip(NEXT) | instid1(VALU_DEP_2)
	v_dual_lshlrev_b32 v1, 24, v1 :: v_dual_lshlrev_b32 v3, 20, v120
	v_lshl_add_u32 v2, v2, 23, 0x3c000000
	s_delay_alu instid0(VALU_DEP_2) | instskip(NEXT) | instid1(VALU_DEP_1)
	v_and_b32_e32 v1, 0x80000000, v1
	v_or3_b32 v120, v3, v1, v2
	v_mov_b32_e32 v1, v121
	scratch_store_b64 off, v[0:1], s32 offset:192 ; 8-byte Folded Spill
.LBB228_832:                            ;   in Loop: Header=BB228_10 Depth=1
	s_wait_xcnt 0x0
	s_or_b32 exec_lo, exec_lo, s11
.LBB228_833:                            ;   in Loop: Header=BB228_10 Depth=1
	s_delay_alu instid0(SALU_CYCLE_1)
	s_or_b32 exec_lo, exec_lo, s9
.LBB228_834:                            ;   in Loop: Header=BB228_10 Depth=1
	s_delay_alu instid0(SALU_CYCLE_1) | instskip(NEXT) | instid1(SALU_CYCLE_1)
	s_or_b32 exec_lo, exec_lo, s8
	s_mov_b32 s8, exec_lo
	v_cmpx_lt_u32_e32 0xffffff, v0
	s_cbranch_execz .LBB228_842
; %bb.835:                              ;   in Loop: Header=BB228_10 Depth=1
	v_mov_b64_e32 v[90:91], 0x8000000000000000
	v_lshrrev_b32_e32 v1, 24, v0
	s_mov_b32 s9, exec_lo
	s_delay_alu instid0(VALU_DEP_1)
	v_cmpx_ne_u32_e32 0x80, v1
	s_cbranch_execz .LBB228_841
; %bb.836:                              ;   in Loop: Header=BB228_10 Depth=1
	v_mov_b64_e32 v[90:91], 0x7f80000100000000
	v_bfe_u32 v2, v0, 24, 7
	s_mov_b32 s11, exec_lo
	s_delay_alu instid0(VALU_DEP_1)
	v_cmpx_ne_u32_e32 0x7f, v2
	s_cbranch_execz .LBB228_840
; %bb.837:                              ;   in Loop: Header=BB228_10 Depth=1
	scratch_load_b64 v[4:5], off, s32 offset:192 th:TH_LOAD_LU ; 8-byte Folded Reload
	s_wait_loadcnt 0x0
	v_dual_lshrrev_b32 v0, 3, v2 :: v_dual_bitop2_b32 v4, 7, v1 bitop3:0x40
	s_mov_b32 s16, exec_lo
	s_wait_xcnt 0x0
	v_cmpx_gt_u32_e32 8, v2
; %bb.838:                              ;   in Loop: Header=BB228_10 Depth=1
	s_delay_alu instid0(VALU_DEP_2) | instskip(NEXT) | instid1(VALU_DEP_1)
	v_clz_i32_u32_e32 v0, v4
	v_min_u32_e32 v0, 32, v0
	s_delay_alu instid0(VALU_DEP_1) | instskip(NEXT) | instid1(VALU_DEP_1)
	v_subrev_nc_u32_e32 v2, 28, v0
	v_lshlrev_b64_e32 v[2:3], v2, v[4:5]
	s_delay_alu instid0(VALU_DEP_1)
	v_dual_sub_nc_u32 v0, 29, v0 :: v_dual_bitop2_b32 v4, 7, v2 bitop3:0x40
; %bb.839:                              ;   in Loop: Header=BB228_10 Depth=1
	s_or_b32 exec_lo, exec_lo, s16
	s_delay_alu instid0(VALU_DEP_1) | instskip(NEXT) | instid1(VALU_DEP_2)
	v_dual_lshlrev_b32 v1, 24, v1 :: v_dual_lshlrev_b32 v2, 20, v4
	v_lshl_add_u32 v0, v0, 23, 0x3c000000
	v_mov_b32_e32 v90, v5
	s_delay_alu instid0(VALU_DEP_3) | instskip(NEXT) | instid1(VALU_DEP_1)
	v_and_b32_e32 v1, 0x80000000, v1
	v_or3_b32 v91, v2, v1, v0
	v_mov_b32_e32 v1, v5
	scratch_store_b64 off, v[0:1], s32 offset:192 ; 8-byte Folded Spill
.LBB228_840:                            ;   in Loop: Header=BB228_10 Depth=1
	s_wait_xcnt 0x0
	s_or_b32 exec_lo, exec_lo, s11
.LBB228_841:                            ;   in Loop: Header=BB228_10 Depth=1
	s_delay_alu instid0(SALU_CYCLE_1)
	s_or_b32 exec_lo, exec_lo, s9
.LBB228_842:                            ;   in Loop: Header=BB228_10 Depth=1
	s_delay_alu instid0(SALU_CYCLE_1)
	s_or_b32 exec_lo, exec_lo, s8
	flat_load_b32 v0, v[48:49] offset:3080
	v_mov_b64_e32 v[94:95], 0
	v_mov_b64_e32 v[124:125], 0
	s_mov_b32 s8, exec_lo
	s_wait_loadcnt_dscnt 0x0
	v_and_b32_e32 v1, 0xff, v0
	s_wait_xcnt 0x0
	s_delay_alu instid0(VALU_DEP_1)
	v_cmpx_ne_u16_e32 0, v1
	s_cbranch_execz .LBB228_850
; %bb.843:                              ;   in Loop: Header=BB228_10 Depth=1
	v_mov_b64_e32 v[124:125], 0x80000000
	s_mov_b32 s9, exec_lo
	v_cmpx_ne_u16_e32 0x80, v1
	s_cbranch_execz .LBB228_849
; %bb.844:                              ;   in Loop: Header=BB228_10 Depth=1
	v_mov_b64_e32 v[124:125], 0x7f800001
	v_and_b32_e32 v2, 0x7f, v0
	s_mov_b32 s11, exec_lo
	s_delay_alu instid0(VALU_DEP_1)
	v_cmpx_ne_u32_e32 0x7f, v2
	s_cbranch_execz .LBB228_848
; %bb.845:                              ;   in Loop: Header=BB228_10 Depth=1
	scratch_load_b64 v[124:125], off, s32 offset:192 th:TH_LOAD_LU ; 8-byte Folded Reload
	s_wait_loadcnt 0x0
	v_dual_lshrrev_b32 v1, 3, v2 :: v_dual_bitop2_b32 v124, 7, v0 bitop3:0x40
	s_mov_b32 s16, exec_lo
	s_wait_xcnt 0x0
	v_cmpx_gt_u32_e32 8, v2
; %bb.846:                              ;   in Loop: Header=BB228_10 Depth=1
	s_delay_alu instid0(VALU_DEP_2) | instskip(NEXT) | instid1(VALU_DEP_1)
	v_clz_i32_u32_e32 v1, v124
	v_min_u32_e32 v1, 32, v1
	s_delay_alu instid0(VALU_DEP_1) | instskip(NEXT) | instid1(VALU_DEP_1)
	v_subrev_nc_u32_e32 v2, 28, v1
	v_lshlrev_b64_e32 v[2:3], v2, v[124:125]
	s_delay_alu instid0(VALU_DEP_1)
	v_dual_sub_nc_u32 v1, 29, v1 :: v_dual_bitop2_b32 v124, 7, v2 bitop3:0x40
; %bb.847:                              ;   in Loop: Header=BB228_10 Depth=1
	s_or_b32 exec_lo, exec_lo, s16
	v_lshlrev_b32_e32 v2, 24, v0
	s_delay_alu instid0(VALU_DEP_2) | instskip(NEXT) | instid1(VALU_DEP_3)
	v_lshlrev_b32_e32 v3, 20, v124
	v_lshl_add_u32 v1, v1, 23, 0x3c000000
	s_delay_alu instid0(VALU_DEP_3) | instskip(NEXT) | instid1(VALU_DEP_1)
	v_and_b32_e32 v2, 0x80000000, v2
	v_or3_b32 v124, v3, v2, v1
	v_mov_b32_e32 v1, v125
	scratch_store_b64 off, v[0:1], s32 offset:192 ; 8-byte Folded Spill
.LBB228_848:                            ;   in Loop: Header=BB228_10 Depth=1
	s_wait_xcnt 0x0
	s_or_b32 exec_lo, exec_lo, s11
.LBB228_849:                            ;   in Loop: Header=BB228_10 Depth=1
	s_delay_alu instid0(SALU_CYCLE_1)
	s_or_b32 exec_lo, exec_lo, s9
.LBB228_850:                            ;   in Loop: Header=BB228_10 Depth=1
	s_delay_alu instid0(SALU_CYCLE_1) | instskip(SKIP_2) | instid1(VALU_DEP_1)
	s_or_b32 exec_lo, exec_lo, s8
	v_lshrrev_b16 v1, 8, v0
	s_mov_b32 s8, exec_lo
	v_cmpx_ne_u16_e32 0, v1
	s_cbranch_execz .LBB228_858
; %bb.851:                              ;   in Loop: Header=BB228_10 Depth=1
	v_mov_b64_e32 v[94:95], 0x8000000000000000
	s_mov_b32 s9, exec_lo
	v_cmpx_ne_u16_e32 0x80, v1
	s_cbranch_execz .LBB228_857
; %bb.852:                              ;   in Loop: Header=BB228_10 Depth=1
	v_and_b32_e32 v1, 0xffff, v1
	v_mov_b64_e32 v[94:95], 0x7f80000100000000
	s_mov_b32 s11, exec_lo
	s_delay_alu instid0(VALU_DEP_2) | instskip(NEXT) | instid1(VALU_DEP_1)
	v_and_b32_e32 v2, 0x7f, v1
	v_cmpx_ne_u32_e32 0x7f, v2
	s_cbranch_execz .LBB228_856
; %bb.853:                              ;   in Loop: Header=BB228_10 Depth=1
	scratch_load_b64 v[4:5], off, s32 offset:192 th:TH_LOAD_LU ; 8-byte Folded Reload
	s_wait_loadcnt 0x0
	v_dual_lshrrev_b32 v1, 3, v2 :: v_dual_bitop2_b32 v4, 7, v1 bitop3:0x40
	s_mov_b32 s16, exec_lo
	s_wait_xcnt 0x0
	v_cmpx_gt_u32_e32 8, v2
; %bb.854:                              ;   in Loop: Header=BB228_10 Depth=1
	s_delay_alu instid0(VALU_DEP_2) | instskip(NEXT) | instid1(VALU_DEP_1)
	v_clz_i32_u32_e32 v1, v4
	v_min_u32_e32 v1, 32, v1
	s_delay_alu instid0(VALU_DEP_1) | instskip(NEXT) | instid1(VALU_DEP_1)
	v_subrev_nc_u32_e32 v2, 28, v1
	v_lshlrev_b64_e32 v[2:3], v2, v[4:5]
	s_delay_alu instid0(VALU_DEP_1)
	v_dual_sub_nc_u32 v1, 29, v1 :: v_dual_bitop2_b32 v4, 7, v2 bitop3:0x40
; %bb.855:                              ;   in Loop: Header=BB228_10 Depth=1
	s_or_b32 exec_lo, exec_lo, s16
	v_lshlrev_b32_e32 v2, 16, v0
	s_delay_alu instid0(VALU_DEP_2) | instskip(NEXT) | instid1(VALU_DEP_3)
	v_dual_mov_b32 v94, v5 :: v_dual_lshlrev_b32 v3, 20, v4
	v_lshl_add_u32 v1, v1, 23, 0x3c000000
	s_delay_alu instid0(VALU_DEP_3) | instskip(NEXT) | instid1(VALU_DEP_1)
	v_and_b32_e32 v2, 0x80000000, v2
	v_or3_b32 v95, v3, v2, v1
	v_mov_b32_e32 v1, v5
	scratch_store_b64 off, v[0:1], s32 offset:192 ; 8-byte Folded Spill
.LBB228_856:                            ;   in Loop: Header=BB228_10 Depth=1
	s_wait_xcnt 0x0
	s_or_b32 exec_lo, exec_lo, s11
.LBB228_857:                            ;   in Loop: Header=BB228_10 Depth=1
	s_delay_alu instid0(SALU_CYCLE_1)
	s_or_b32 exec_lo, exec_lo, s9
.LBB228_858:                            ;   in Loop: Header=BB228_10 Depth=1
	s_delay_alu instid0(SALU_CYCLE_1) | instskip(SKIP_4) | instid1(VALU_DEP_3)
	s_or_b32 exec_lo, exec_lo, s8
	v_lshrrev_b32_e32 v1, 16, v0
	v_mov_b64_e32 v[106:107], 0
	v_mov_b64_e32 v[2:3], 0
	s_mov_b32 s8, exec_lo
	v_and_b32_e32 v4, 0xff, v1
	s_delay_alu instid0(VALU_DEP_1)
	v_cmpx_ne_u16_e32 0, v4
	s_cbranch_execz .LBB228_866
; %bb.859:                              ;   in Loop: Header=BB228_10 Depth=1
	v_mov_b64_e32 v[2:3], 0x80000000
	s_mov_b32 s9, exec_lo
	v_cmpx_ne_u16_e32 0x80, v4
	s_cbranch_execz .LBB228_865
; %bb.860:                              ;   in Loop: Header=BB228_10 Depth=1
	v_mov_b64_e32 v[2:3], 0x7f800001
	v_bfe_u32 v4, v0, 16, 7
	s_mov_b32 s11, exec_lo
	s_delay_alu instid0(VALU_DEP_1)
	v_cmpx_ne_u32_e32 0x7f, v4
	s_cbranch_execz .LBB228_864
; %bb.861:                              ;   in Loop: Header=BB228_10 Depth=1
	scratch_load_b64 v[6:7], off, s32 offset:192 th:TH_LOAD_LU ; 8-byte Folded Reload
	s_wait_loadcnt 0x0
	v_dual_lshrrev_b32 v2, 3, v4 :: v_dual_bitop2_b32 v6, 7, v1 bitop3:0x40
	s_mov_b32 s16, exec_lo
	s_wait_xcnt 0x0
	v_cmpx_gt_u32_e32 8, v4
; %bb.862:                              ;   in Loop: Header=BB228_10 Depth=1
	s_delay_alu instid0(VALU_DEP_2) | instskip(NEXT) | instid1(VALU_DEP_1)
	v_clz_i32_u32_e32 v2, v6
	v_min_u32_e32 v2, 32, v2
	s_delay_alu instid0(VALU_DEP_1) | instskip(NEXT) | instid1(VALU_DEP_1)
	v_subrev_nc_u32_e32 v3, 28, v2
	v_lshlrev_b64_e32 v[4:5], v3, v[6:7]
	s_delay_alu instid0(VALU_DEP_1)
	v_dual_sub_nc_u32 v2, 29, v2 :: v_dual_bitop2_b32 v6, 7, v4 bitop3:0x40
; %bb.863:                              ;   in Loop: Header=BB228_10 Depth=1
	s_or_b32 exec_lo, exec_lo, s16
	s_delay_alu instid0(VALU_DEP_1) | instskip(NEXT) | instid1(VALU_DEP_2)
	v_dual_lshlrev_b32 v1, 24, v1 :: v_dual_lshlrev_b32 v3, 20, v6
	v_lshl_add_u32 v2, v2, 23, 0x3c000000
	s_delay_alu instid0(VALU_DEP_2) | instskip(NEXT) | instid1(VALU_DEP_1)
	v_and_b32_e32 v1, 0x80000000, v1
	v_or3_b32 v6, v3, v1, v2
	v_mov_b32_e32 v1, v7
	s_delay_alu instid0(VALU_DEP_2)
	v_mov_b64_e32 v[2:3], v[6:7]
	scratch_store_b64 off, v[0:1], s32 offset:192 ; 8-byte Folded Spill
.LBB228_864:                            ;   in Loop: Header=BB228_10 Depth=1
	s_wait_xcnt 0x0
	s_or_b32 exec_lo, exec_lo, s11
.LBB228_865:                            ;   in Loop: Header=BB228_10 Depth=1
	s_delay_alu instid0(SALU_CYCLE_1)
	s_or_b32 exec_lo, exec_lo, s9
.LBB228_866:                            ;   in Loop: Header=BB228_10 Depth=1
	s_delay_alu instid0(SALU_CYCLE_1) | instskip(NEXT) | instid1(SALU_CYCLE_1)
	s_or_b32 exec_lo, exec_lo, s8
	s_mov_b32 s8, exec_lo
	v_cmpx_lt_u32_e32 0xffffff, v0
	s_cbranch_execz .LBB228_874
; %bb.867:                              ;   in Loop: Header=BB228_10 Depth=1
	v_mov_b64_e32 v[106:107], 0x8000000000000000
	v_lshrrev_b32_e32 v1, 24, v0
	s_mov_b32 s9, exec_lo
	s_delay_alu instid0(VALU_DEP_1)
	v_cmpx_ne_u32_e32 0x80, v1
	s_cbranch_execz .LBB228_873
; %bb.868:                              ;   in Loop: Header=BB228_10 Depth=1
	v_mov_b64_e32 v[106:107], 0x7f80000100000000
	v_bfe_u32 v4, v0, 24, 7
	s_mov_b32 s11, exec_lo
	s_delay_alu instid0(VALU_DEP_1)
	v_cmpx_ne_u32_e32 0x7f, v4
	s_cbranch_execz .LBB228_872
; %bb.869:                              ;   in Loop: Header=BB228_10 Depth=1
	scratch_load_b64 v[6:7], off, s32 offset:192 th:TH_LOAD_LU ; 8-byte Folded Reload
	s_wait_loadcnt 0x0
	v_dual_lshrrev_b32 v0, 3, v4 :: v_dual_bitop2_b32 v6, 7, v1 bitop3:0x40
	s_mov_b32 s16, exec_lo
	s_wait_xcnt 0x0
	v_cmpx_gt_u32_e32 8, v4
; %bb.870:                              ;   in Loop: Header=BB228_10 Depth=1
	s_delay_alu instid0(VALU_DEP_2) | instskip(NEXT) | instid1(VALU_DEP_1)
	v_clz_i32_u32_e32 v0, v6
	v_min_u32_e32 v0, 32, v0
	s_delay_alu instid0(VALU_DEP_1) | instskip(SKIP_1) | instid1(VALU_DEP_2)
	v_subrev_nc_u32_e32 v4, 28, v0
	v_sub_nc_u32_e32 v0, 29, v0
	v_lshlrev_b64_e32 v[4:5], v4, v[6:7]
	s_delay_alu instid0(VALU_DEP_1)
	v_and_b32_e32 v6, 7, v4
; %bb.871:                              ;   in Loop: Header=BB228_10 Depth=1
	s_or_b32 exec_lo, exec_lo, s16
	s_delay_alu instid0(VALU_DEP_1) | instskip(SKIP_2) | instid1(VALU_DEP_3)
	v_dual_lshlrev_b32 v1, 24, v1 :: v_dual_lshlrev_b32 v4, 20, v6
	v_lshl_add_u32 v0, v0, 23, 0x3c000000
	v_mov_b32_e32 v106, v7
	v_and_b32_e32 v1, 0x80000000, v1
	s_delay_alu instid0(VALU_DEP_1)
	v_or3_b32 v107, v4, v1, v0
	v_mov_b32_e32 v1, v7
	scratch_store_b64 off, v[0:1], s32 offset:192 ; 8-byte Folded Spill
.LBB228_872:                            ;   in Loop: Header=BB228_10 Depth=1
	s_wait_xcnt 0x0
	s_or_b32 exec_lo, exec_lo, s11
.LBB228_873:                            ;   in Loop: Header=BB228_10 Depth=1
	s_delay_alu instid0(SALU_CYCLE_1)
	s_or_b32 exec_lo, exec_lo, s9
.LBB228_874:                            ;   in Loop: Header=BB228_10 Depth=1
	s_delay_alu instid0(SALU_CYCLE_1)
	s_or_b32 exec_lo, exec_lo, s8
	flat_load_b32 v0, v[48:49] offset:3084
	v_mov_b64_e32 v[110:111], 0
	v_mov_b64_e32 v[122:123], 0
	s_mov_b32 s8, exec_lo
	s_wait_loadcnt_dscnt 0x0
	v_and_b32_e32 v1, 0xff, v0
	s_wait_xcnt 0x0
	s_delay_alu instid0(VALU_DEP_1)
	v_cmpx_ne_u16_e32 0, v1
	s_cbranch_execz .LBB228_882
; %bb.875:                              ;   in Loop: Header=BB228_10 Depth=1
	v_mov_b64_e32 v[122:123], 0x80000000
	s_mov_b32 s9, exec_lo
	v_cmpx_ne_u16_e32 0x80, v1
	s_cbranch_execz .LBB228_881
; %bb.876:                              ;   in Loop: Header=BB228_10 Depth=1
	v_mov_b64_e32 v[122:123], 0x7f800001
	v_and_b32_e32 v4, 0x7f, v0
	s_mov_b32 s11, exec_lo
	s_delay_alu instid0(VALU_DEP_1)
	v_cmpx_ne_u32_e32 0x7f, v4
	s_cbranch_execz .LBB228_880
; %bb.877:                              ;   in Loop: Header=BB228_10 Depth=1
	scratch_load_b64 v[122:123], off, s32 offset:192 th:TH_LOAD_LU ; 8-byte Folded Reload
	s_wait_loadcnt 0x0
	v_and_b32_e32 v122, 7, v0
	v_lshrrev_b32_e32 v1, 3, v4
	s_mov_b32 s16, exec_lo
	s_wait_xcnt 0x0
	v_cmpx_gt_u32_e32 8, v4
; %bb.878:                              ;   in Loop: Header=BB228_10 Depth=1
	v_clz_i32_u32_e32 v1, v122
	s_delay_alu instid0(VALU_DEP_1) | instskip(NEXT) | instid1(VALU_DEP_1)
	v_min_u32_e32 v1, 32, v1
	v_subrev_nc_u32_e32 v4, 28, v1
	s_delay_alu instid0(VALU_DEP_1) | instskip(NEXT) | instid1(VALU_DEP_1)
	v_lshlrev_b64_e32 v[4:5], v4, v[122:123]
	v_dual_sub_nc_u32 v1, 29, v1 :: v_dual_bitop2_b32 v122, 7, v4 bitop3:0x40
; %bb.879:                              ;   in Loop: Header=BB228_10 Depth=1
	s_or_b32 exec_lo, exec_lo, s16
	s_delay_alu instid0(VALU_DEP_1) | instskip(NEXT) | instid1(VALU_DEP_2)
	v_dual_lshlrev_b32 v4, 24, v0 :: v_dual_lshlrev_b32 v5, 20, v122
	v_lshl_add_u32 v1, v1, 23, 0x3c000000
	s_delay_alu instid0(VALU_DEP_2) | instskip(NEXT) | instid1(VALU_DEP_1)
	v_and_b32_e32 v4, 0x80000000, v4
	v_or3_b32 v122, v5, v4, v1
	v_mov_b32_e32 v1, v123
	scratch_store_b64 off, v[0:1], s32 offset:192 ; 8-byte Folded Spill
.LBB228_880:                            ;   in Loop: Header=BB228_10 Depth=1
	s_wait_xcnt 0x0
	s_or_b32 exec_lo, exec_lo, s11
.LBB228_881:                            ;   in Loop: Header=BB228_10 Depth=1
	s_delay_alu instid0(SALU_CYCLE_1)
	s_or_b32 exec_lo, exec_lo, s9
.LBB228_882:                            ;   in Loop: Header=BB228_10 Depth=1
	s_delay_alu instid0(SALU_CYCLE_1) | instskip(SKIP_2) | instid1(VALU_DEP_1)
	s_or_b32 exec_lo, exec_lo, s8
	v_lshrrev_b16 v1, 8, v0
	s_mov_b32 s8, exec_lo
	v_cmpx_ne_u16_e32 0, v1
	s_cbranch_execz .LBB228_890
; %bb.883:                              ;   in Loop: Header=BB228_10 Depth=1
	v_mov_b64_e32 v[110:111], 0x8000000000000000
	s_mov_b32 s9, exec_lo
	v_cmpx_ne_u16_e32 0x80, v1
	s_cbranch_execz .LBB228_889
; %bb.884:                              ;   in Loop: Header=BB228_10 Depth=1
	v_and_b32_e32 v1, 0xffff, v1
	v_mov_b64_e32 v[110:111], 0x7f80000100000000
	s_mov_b32 s11, exec_lo
	s_delay_alu instid0(VALU_DEP_2) | instskip(NEXT) | instid1(VALU_DEP_1)
	v_and_b32_e32 v4, 0x7f, v1
	v_cmpx_ne_u32_e32 0x7f, v4
	s_cbranch_execz .LBB228_888
; %bb.885:                              ;   in Loop: Header=BB228_10 Depth=1
	scratch_load_b64 v[6:7], off, s32 offset:192 th:TH_LOAD_LU ; 8-byte Folded Reload
	s_wait_loadcnt 0x0
	v_dual_lshrrev_b32 v1, 3, v4 :: v_dual_bitop2_b32 v6, 7, v1 bitop3:0x40
	s_mov_b32 s16, exec_lo
	s_wait_xcnt 0x0
	v_cmpx_gt_u32_e32 8, v4
; %bb.886:                              ;   in Loop: Header=BB228_10 Depth=1
	s_delay_alu instid0(VALU_DEP_2) | instskip(NEXT) | instid1(VALU_DEP_1)
	v_clz_i32_u32_e32 v1, v6
	v_min_u32_e32 v1, 32, v1
	s_delay_alu instid0(VALU_DEP_1) | instskip(NEXT) | instid1(VALU_DEP_1)
	v_subrev_nc_u32_e32 v4, 28, v1
	v_lshlrev_b64_e32 v[4:5], v4, v[6:7]
	s_delay_alu instid0(VALU_DEP_1)
	v_dual_sub_nc_u32 v1, 29, v1 :: v_dual_bitop2_b32 v6, 7, v4 bitop3:0x40
; %bb.887:                              ;   in Loop: Header=BB228_10 Depth=1
	s_or_b32 exec_lo, exec_lo, s16
	s_delay_alu instid0(VALU_DEP_1) | instskip(NEXT) | instid1(VALU_DEP_2)
	v_dual_lshlrev_b32 v4, 16, v0 :: v_dual_lshlrev_b32 v5, 20, v6
	v_lshl_add_u32 v1, v1, 23, 0x3c000000
	v_mov_b32_e32 v110, v7
	s_delay_alu instid0(VALU_DEP_3) | instskip(NEXT) | instid1(VALU_DEP_1)
	v_and_b32_e32 v4, 0x80000000, v4
	v_or3_b32 v111, v5, v4, v1
	v_mov_b32_e32 v1, v7
	scratch_store_b64 off, v[0:1], s32 offset:192 ; 8-byte Folded Spill
.LBB228_888:                            ;   in Loop: Header=BB228_10 Depth=1
	s_wait_xcnt 0x0
	s_or_b32 exec_lo, exec_lo, s11
.LBB228_889:                            ;   in Loop: Header=BB228_10 Depth=1
	s_delay_alu instid0(SALU_CYCLE_1)
	s_or_b32 exec_lo, exec_lo, s9
.LBB228_890:                            ;   in Loop: Header=BB228_10 Depth=1
	s_delay_alu instid0(SALU_CYCLE_1) | instskip(SKIP_4) | instid1(VALU_DEP_3)
	s_or_b32 exec_lo, exec_lo, s8
	v_lshrrev_b32_e32 v1, 16, v0
	v_mov_b64_e32 v[16:17], 0
	v_mov_b64_e32 v[126:127], 0
	s_mov_b32 s8, exec_lo
	v_and_b32_e32 v4, 0xff, v1
	s_delay_alu instid0(VALU_DEP_1)
	v_cmpx_ne_u16_e32 0, v4
	s_cbranch_execz .LBB228_898
; %bb.891:                              ;   in Loop: Header=BB228_10 Depth=1
	v_mov_b64_e32 v[126:127], 0x80000000
	s_mov_b32 s9, exec_lo
	v_cmpx_ne_u16_e32 0x80, v4
	s_cbranch_execz .LBB228_897
; %bb.892:                              ;   in Loop: Header=BB228_10 Depth=1
	v_mov_b64_e32 v[126:127], 0x7f800001
	v_bfe_u32 v5, v0, 16, 7
	s_mov_b32 s11, exec_lo
	s_delay_alu instid0(VALU_DEP_1)
	v_cmpx_ne_u32_e32 0x7f, v5
	s_cbranch_execz .LBB228_896
; %bb.893:                              ;   in Loop: Header=BB228_10 Depth=1
	scratch_load_b64 v[126:127], off, s32 offset:192 th:TH_LOAD_LU ; 8-byte Folded Reload
	s_wait_loadcnt 0x0
	v_and_b32_e32 v126, 7, v1
	v_lshrrev_b32_e32 v4, 3, v5
	s_mov_b32 s16, exec_lo
	s_wait_xcnt 0x0
	v_cmpx_gt_u32_e32 8, v5
; %bb.894:                              ;   in Loop: Header=BB228_10 Depth=1
	v_clz_i32_u32_e32 v4, v126
	s_delay_alu instid0(VALU_DEP_1) | instskip(NEXT) | instid1(VALU_DEP_1)
	v_min_u32_e32 v4, 32, v4
	v_subrev_nc_u32_e32 v5, 28, v4
	v_sub_nc_u32_e32 v4, 29, v4
	s_delay_alu instid0(VALU_DEP_2) | instskip(NEXT) | instid1(VALU_DEP_1)
	v_lshlrev_b64_e32 v[12:13], v5, v[126:127]
	v_and_b32_e32 v126, 7, v12
; %bb.895:                              ;   in Loop: Header=BB228_10 Depth=1
	s_or_b32 exec_lo, exec_lo, s16
	s_delay_alu instid0(VALU_DEP_1) | instskip(SKIP_1) | instid1(VALU_DEP_2)
	v_dual_lshlrev_b32 v1, 24, v1 :: v_dual_lshlrev_b32 v5, 20, v126
	v_lshl_add_u32 v4, v4, 23, 0x3c000000
	v_and_b32_e32 v1, 0x80000000, v1
	s_delay_alu instid0(VALU_DEP_1)
	v_or3_b32 v126, v5, v1, v4
	v_mov_b32_e32 v1, v127
	scratch_store_b64 off, v[0:1], s32 offset:192 ; 8-byte Folded Spill
.LBB228_896:                            ;   in Loop: Header=BB228_10 Depth=1
	s_wait_xcnt 0x0
	s_or_b32 exec_lo, exec_lo, s11
.LBB228_897:                            ;   in Loop: Header=BB228_10 Depth=1
	s_delay_alu instid0(SALU_CYCLE_1)
	s_or_b32 exec_lo, exec_lo, s9
.LBB228_898:                            ;   in Loop: Header=BB228_10 Depth=1
	s_delay_alu instid0(SALU_CYCLE_1) | instskip(NEXT) | instid1(SALU_CYCLE_1)
	s_or_b32 exec_lo, exec_lo, s8
	s_mov_b32 s8, exec_lo
	v_cmpx_lt_u32_e32 0xffffff, v0
	s_cbranch_execz .LBB228_906
; %bb.899:                              ;   in Loop: Header=BB228_10 Depth=1
	v_mov_b64_e32 v[16:17], 0x8000000000000000
	v_lshrrev_b32_e32 v1, 24, v0
	s_mov_b32 s9, exec_lo
	s_delay_alu instid0(VALU_DEP_1)
	v_cmpx_ne_u32_e32 0x80, v1
	s_cbranch_execz .LBB228_905
; %bb.900:                              ;   in Loop: Header=BB228_10 Depth=1
	v_mov_b64_e32 v[16:17], 0x7f80000100000000
	v_bfe_u32 v4, v0, 24, 7
	s_mov_b32 s11, exec_lo
	s_delay_alu instid0(VALU_DEP_1)
	v_cmpx_ne_u32_e32 0x7f, v4
	s_cbranch_execz .LBB228_904
; %bb.901:                              ;   in Loop: Header=BB228_10 Depth=1
	scratch_load_b64 v[6:7], off, s32 offset:192 th:TH_LOAD_LU ; 8-byte Folded Reload
	s_wait_loadcnt 0x0
	v_dual_lshrrev_b32 v0, 3, v4 :: v_dual_bitop2_b32 v6, 7, v1 bitop3:0x40
	s_mov_b32 s16, exec_lo
	s_wait_xcnt 0x0
	v_cmpx_gt_u32_e32 8, v4
; %bb.902:                              ;   in Loop: Header=BB228_10 Depth=1
	s_delay_alu instid0(VALU_DEP_2) | instskip(NEXT) | instid1(VALU_DEP_1)
	v_clz_i32_u32_e32 v0, v6
	v_min_u32_e32 v0, 32, v0
	s_delay_alu instid0(VALU_DEP_1) | instskip(SKIP_1) | instid1(VALU_DEP_2)
	v_subrev_nc_u32_e32 v4, 28, v0
	v_sub_nc_u32_e32 v0, 29, v0
	v_lshlrev_b64_e32 v[4:5], v4, v[6:7]
	s_delay_alu instid0(VALU_DEP_1)
	v_and_b32_e32 v6, 7, v4
; %bb.903:                              ;   in Loop: Header=BB228_10 Depth=1
	s_or_b32 exec_lo, exec_lo, s16
	s_delay_alu instid0(VALU_DEP_1) | instskip(SKIP_2) | instid1(VALU_DEP_3)
	v_dual_lshlrev_b32 v1, 24, v1 :: v_dual_lshlrev_b32 v4, 20, v6
	v_lshl_add_u32 v0, v0, 23, 0x3c000000
	v_mov_b32_e32 v16, v7
	v_and_b32_e32 v1, 0x80000000, v1
	s_delay_alu instid0(VALU_DEP_1)
	v_or3_b32 v17, v4, v1, v0
	v_mov_b32_e32 v1, v7
	scratch_store_b64 off, v[0:1], s32 offset:192 ; 8-byte Folded Spill
.LBB228_904:                            ;   in Loop: Header=BB228_10 Depth=1
	s_wait_xcnt 0x0
	s_or_b32 exec_lo, exec_lo, s11
.LBB228_905:                            ;   in Loop: Header=BB228_10 Depth=1
	s_delay_alu instid0(SALU_CYCLE_1)
	s_or_b32 exec_lo, exec_lo, s9
.LBB228_906:                            ;   in Loop: Header=BB228_10 Depth=1
	s_delay_alu instid0(SALU_CYCLE_1)
	s_or_b32 exec_lo, exec_lo, s8
	flat_load_b32 v14, v[48:49] offset:3584
	v_mov_b64_e32 v[20:21], 0
	v_mov_b64_e32 v[0:1], 0
	s_mov_b32 s8, exec_lo
	s_wait_loadcnt_dscnt 0x0
	v_and_b32_e32 v4, 0xff, v14
	s_wait_xcnt 0x0
	s_delay_alu instid0(VALU_DEP_1)
	v_cmpx_ne_u16_e32 0, v4
	s_cbranch_execz .LBB228_914
; %bb.907:                              ;   in Loop: Header=BB228_10 Depth=1
	v_mov_b64_e32 v[0:1], 0x80000000
	s_mov_b32 s9, exec_lo
	v_cmpx_ne_u16_e32 0x80, v4
	s_cbranch_execz .LBB228_913
; %bb.908:                              ;   in Loop: Header=BB228_10 Depth=1
	v_mov_b64_e32 v[0:1], 0x7f800001
	v_and_b32_e32 v4, 0x7f, v14
	s_mov_b32 s11, exec_lo
	s_delay_alu instid0(VALU_DEP_1)
	v_cmpx_ne_u32_e32 0x7f, v4
	s_cbranch_execz .LBB228_912
; %bb.909:                              ;   in Loop: Header=BB228_10 Depth=1
	scratch_load_b64 v[6:7], off, s32 offset:192 th:TH_LOAD_LU ; 8-byte Folded Reload
	s_wait_loadcnt 0x0
	v_dual_lshrrev_b32 v0, 3, v4 :: v_dual_bitop2_b32 v6, 7, v14 bitop3:0x40
	s_mov_b32 s16, exec_lo
	s_wait_xcnt 0x0
	v_cmpx_gt_u32_e32 8, v4
; %bb.910:                              ;   in Loop: Header=BB228_10 Depth=1
	s_delay_alu instid0(VALU_DEP_2) | instskip(NEXT) | instid1(VALU_DEP_1)
	v_clz_i32_u32_e32 v0, v6
	v_min_u32_e32 v0, 32, v0
	s_delay_alu instid0(VALU_DEP_1) | instskip(SKIP_1) | instid1(VALU_DEP_2)
	v_subrev_nc_u32_e32 v1, 28, v0
	v_sub_nc_u32_e32 v0, 29, v0
	v_lshlrev_b64_e32 v[4:5], v1, v[6:7]
	s_delay_alu instid0(VALU_DEP_1)
	v_and_b32_e32 v6, 7, v4
; %bb.911:                              ;   in Loop: Header=BB228_10 Depth=1
	s_or_b32 exec_lo, exec_lo, s16
	v_lshlrev_b32_e32 v1, 24, v14
	s_delay_alu instid0(VALU_DEP_2) | instskip(SKIP_1) | instid1(VALU_DEP_3)
	v_lshlrev_b32_e32 v4, 20, v6
	v_lshl_add_u32 v0, v0, 23, 0x3c000000
	v_and_b32_e32 v1, 0x80000000, v1
	s_delay_alu instid0(VALU_DEP_1)
	v_or3_b32 v6, v4, v1, v0
	v_mov_b32_e32 v1, v7
	scratch_store_b64 off, v[0:1], s32 offset:192 ; 8-byte Folded Spill
	s_wait_xcnt 0x0
	v_mov_b64_e32 v[0:1], v[6:7]
.LBB228_912:                            ;   in Loop: Header=BB228_10 Depth=1
	s_or_b32 exec_lo, exec_lo, s11
.LBB228_913:                            ;   in Loop: Header=BB228_10 Depth=1
	s_delay_alu instid0(SALU_CYCLE_1)
	s_or_b32 exec_lo, exec_lo, s9
.LBB228_914:                            ;   in Loop: Header=BB228_10 Depth=1
	s_delay_alu instid0(SALU_CYCLE_1) | instskip(SKIP_2) | instid1(VALU_DEP_1)
	s_or_b32 exec_lo, exec_lo, s8
	v_lshrrev_b16 v4, 8, v14
	s_mov_b32 s8, exec_lo
	v_cmpx_ne_u16_e32 0, v4
	s_cbranch_execz .LBB228_922
; %bb.915:                              ;   in Loop: Header=BB228_10 Depth=1
	v_mov_b64_e32 v[20:21], 0x8000000000000000
	s_mov_b32 s9, exec_lo
	v_cmpx_ne_u16_e32 0x80, v4
	s_cbranch_execz .LBB228_921
; %bb.916:                              ;   in Loop: Header=BB228_10 Depth=1
	v_and_b32_e32 v4, 0xffff, v4
	v_mov_b64_e32 v[20:21], 0x7f80000100000000
	s_mov_b32 s11, exec_lo
	s_delay_alu instid0(VALU_DEP_2) | instskip(NEXT) | instid1(VALU_DEP_1)
	v_and_b32_e32 v5, 0x7f, v4
	v_cmpx_ne_u32_e32 0x7f, v5
	s_cbranch_execz .LBB228_920
; %bb.917:                              ;   in Loop: Header=BB228_10 Depth=1
	scratch_load_b64 v[6:7], off, s32 offset:192 th:TH_LOAD_LU ; 8-byte Folded Reload
	s_wait_loadcnt 0x0
	v_dual_lshrrev_b32 v4, 3, v5 :: v_dual_bitop2_b32 v6, 7, v4 bitop3:0x40
	s_mov_b32 s16, exec_lo
	s_wait_xcnt 0x0
	v_cmpx_gt_u32_e32 8, v5
; %bb.918:                              ;   in Loop: Header=BB228_10 Depth=1
	s_delay_alu instid0(VALU_DEP_2) | instskip(NEXT) | instid1(VALU_DEP_1)
	v_clz_i32_u32_e32 v4, v6
	v_min_u32_e32 v4, 32, v4
	s_delay_alu instid0(VALU_DEP_1) | instskip(SKIP_1) | instid1(VALU_DEP_2)
	v_subrev_nc_u32_e32 v5, 28, v4
	v_sub_nc_u32_e32 v4, 29, v4
	v_lshlrev_b64_e32 v[12:13], v5, v[6:7]
	s_delay_alu instid0(VALU_DEP_1)
	v_and_b32_e32 v6, 7, v12
; %bb.919:                              ;   in Loop: Header=BB228_10 Depth=1
	s_or_b32 exec_lo, exec_lo, s16
	v_dual_mov_b32 v20, v7 :: v_dual_lshlrev_b32 v5, 16, v14
	s_delay_alu instid0(VALU_DEP_2) | instskip(SKIP_1) | instid1(VALU_DEP_3)
	v_lshlrev_b32_e32 v6, 20, v6
	v_lshl_add_u32 v4, v4, 23, 0x3c000000
	v_and_b32_e32 v5, 0x80000000, v5
	s_delay_alu instid0(VALU_DEP_1)
	v_or3_b32 v21, v6, v5, v4
	v_mov_b32_e32 v5, v7
	scratch_store_b64 off, v[4:5], s32 offset:192 ; 8-byte Folded Spill
.LBB228_920:                            ;   in Loop: Header=BB228_10 Depth=1
	s_wait_xcnt 0x0
	s_or_b32 exec_lo, exec_lo, s11
.LBB228_921:                            ;   in Loop: Header=BB228_10 Depth=1
	s_delay_alu instid0(SALU_CYCLE_1)
	s_or_b32 exec_lo, exec_lo, s9
.LBB228_922:                            ;   in Loop: Header=BB228_10 Depth=1
	s_delay_alu instid0(SALU_CYCLE_1) | instskip(SKIP_4) | instid1(VALU_DEP_3)
	s_or_b32 exec_lo, exec_lo, s8
	v_lshrrev_b32_e32 v11, 16, v14
	v_mov_b64_e32 v[4:5], 0
	v_mov_b64_e32 v[12:13], 0
	s_mov_b32 s8, exec_lo
	v_and_b32_e32 v6, 0xff, v11
	s_delay_alu instid0(VALU_DEP_1)
	v_cmpx_ne_u16_e32 0, v6
	s_cbranch_execz .LBB228_930
; %bb.923:                              ;   in Loop: Header=BB228_10 Depth=1
	v_mov_b64_e32 v[12:13], 0x80000000
	s_mov_b32 s9, exec_lo
	v_cmpx_ne_u16_e32 0x80, v6
	s_cbranch_execz .LBB228_929
; %bb.924:                              ;   in Loop: Header=BB228_10 Depth=1
	v_mov_b64_e32 v[12:13], 0x7f800001
	v_bfe_u32 v15, v14, 16, 7
	s_mov_b32 s11, exec_lo
	s_delay_alu instid0(VALU_DEP_1)
	v_cmpx_ne_u32_e32 0x7f, v15
	s_cbranch_execz .LBB228_928
; %bb.925:                              ;   in Loop: Header=BB228_10 Depth=1
	scratch_load_b64 v[6:7], off, s32 offset:192 th:TH_LOAD_LU ; 8-byte Folded Reload
	s_wait_loadcnt 0x0
	v_and_b32_e32 v6, 7, v11
	v_lshrrev_b32_e32 v9, 3, v15
	s_mov_b32 s16, exec_lo
	s_wait_xcnt 0x0
	v_cmpx_gt_u32_e32 8, v15
; %bb.926:                              ;   in Loop: Header=BB228_10 Depth=1
	v_clz_i32_u32_e32 v8, v6
	s_delay_alu instid0(VALU_DEP_1) | instskip(NEXT) | instid1(VALU_DEP_1)
	v_min_u32_e32 v8, 32, v8
	v_subrev_nc_u32_e32 v9, 28, v8
	s_delay_alu instid0(VALU_DEP_1) | instskip(SKIP_1) | instid1(VALU_DEP_2)
	v_lshlrev_b64_e32 v[12:13], v9, v[6:7]
	v_sub_nc_u32_e32 v9, 29, v8
	v_and_b32_e32 v6, 7, v12
; %bb.927:                              ;   in Loop: Header=BB228_10 Depth=1
	s_or_b32 exec_lo, exec_lo, s16
	s_delay_alu instid0(VALU_DEP_1) | instskip(NEXT) | instid1(VALU_DEP_3)
	v_dual_lshlrev_b32 v8, 24, v11 :: v_dual_lshlrev_b32 v6, 20, v6
	v_lshl_add_u32 v9, v9, 23, 0x3c000000
	s_delay_alu instid0(VALU_DEP_2) | instskip(NEXT) | instid1(VALU_DEP_1)
	v_and_b32_e32 v8, 0x80000000, v8
	v_or3_b32 v6, v6, v8, v9
	v_mov_b32_e32 v9, v7
	s_delay_alu instid0(VALU_DEP_2)
	v_mov_b64_e32 v[12:13], v[6:7]
	scratch_store_b64 off, v[8:9], s32 offset:192 ; 8-byte Folded Spill
.LBB228_928:                            ;   in Loop: Header=BB228_10 Depth=1
	s_wait_xcnt 0x0
	s_or_b32 exec_lo, exec_lo, s11
.LBB228_929:                            ;   in Loop: Header=BB228_10 Depth=1
	s_delay_alu instid0(SALU_CYCLE_1)
	s_or_b32 exec_lo, exec_lo, s9
.LBB228_930:                            ;   in Loop: Header=BB228_10 Depth=1
	s_delay_alu instid0(SALU_CYCLE_1) | instskip(NEXT) | instid1(SALU_CYCLE_1)
	s_or_b32 exec_lo, exec_lo, s8
	s_mov_b32 s8, exec_lo
	v_cmpx_lt_u32_e32 0xffffff, v14
	s_cbranch_execz .LBB228_938
; %bb.931:                              ;   in Loop: Header=BB228_10 Depth=1
	v_mov_b64_e32 v[4:5], 0x8000000000000000
	v_lshrrev_b32_e32 v9, 24, v14
	s_mov_b32 s9, exec_lo
	s_delay_alu instid0(VALU_DEP_1)
	v_cmpx_ne_u32_e32 0x80, v9
	s_cbranch_execz .LBB228_937
; %bb.932:                              ;   in Loop: Header=BB228_10 Depth=1
	v_mov_b64_e32 v[4:5], 0x7f80000100000000
	v_bfe_u32 v11, v14, 24, 7
	s_mov_b32 s11, exec_lo
	s_delay_alu instid0(VALU_DEP_1)
	v_cmpx_ne_u32_e32 0x7f, v11
	s_cbranch_execz .LBB228_936
; %bb.933:                              ;   in Loop: Header=BB228_10 Depth=1
	scratch_load_b64 v[6:7], off, s32 offset:192 th:TH_LOAD_LU ; 8-byte Folded Reload
	s_wait_loadcnt 0x0
	v_dual_lshrrev_b32 v4, 3, v11 :: v_dual_bitop2_b32 v6, 7, v9 bitop3:0x40
	s_mov_b32 s16, exec_lo
	s_wait_xcnt 0x0
	v_cmpx_gt_u32_e32 8, v11
; %bb.934:                              ;   in Loop: Header=BB228_10 Depth=1
	s_delay_alu instid0(VALU_DEP_2) | instskip(NEXT) | instid1(VALU_DEP_1)
	v_clz_i32_u32_e32 v4, v6
	v_min_u32_e32 v4, 32, v4
	s_delay_alu instid0(VALU_DEP_1) | instskip(NEXT) | instid1(VALU_DEP_1)
	v_subrev_nc_u32_e32 v5, 28, v4
	v_lshlrev_b64_e32 v[14:15], v5, v[6:7]
	s_delay_alu instid0(VALU_DEP_1)
	v_dual_sub_nc_u32 v4, 29, v4 :: v_dual_bitop2_b32 v6, 7, v14 bitop3:0x40
; %bb.935:                              ;   in Loop: Header=BB228_10 Depth=1
	s_or_b32 exec_lo, exec_lo, s16
	s_delay_alu instid0(VALU_DEP_1) | instskip(NEXT) | instid1(VALU_DEP_2)
	v_dual_lshlrev_b32 v5, 24, v9 :: v_dual_lshlrev_b32 v6, 20, v6
	v_lshl_add_u32 v4, v4, 23, 0x3c000000
	v_mov_b32_e32 v9, v7
	s_delay_alu instid0(VALU_DEP_3) | instskip(NEXT) | instid1(VALU_DEP_1)
	v_and_b32_e32 v5, 0x80000000, v5
	v_or3_b32 v5, v6, v5, v4
	v_mov_b32_e32 v4, v7
	scratch_store_b64 off, v[8:9], s32 offset:192 ; 8-byte Folded Spill
.LBB228_936:                            ;   in Loop: Header=BB228_10 Depth=1
	s_wait_xcnt 0x0
	s_or_b32 exec_lo, exec_lo, s11
.LBB228_937:                            ;   in Loop: Header=BB228_10 Depth=1
	s_delay_alu instid0(SALU_CYCLE_1)
	s_or_b32 exec_lo, exec_lo, s9
.LBB228_938:                            ;   in Loop: Header=BB228_10 Depth=1
	s_delay_alu instid0(SALU_CYCLE_1)
	s_or_b32 exec_lo, exec_lo, s8
	flat_load_b32 v14, v[48:49] offset:3588
	v_mov_b64_e32 v[64:65], 0
	v_mov_b64_e32 v[50:51], 0
	s_mov_b32 s8, exec_lo
	s_wait_loadcnt_dscnt 0x0
	v_and_b32_e32 v6, 0xff, v14
	s_wait_xcnt 0x0
	s_delay_alu instid0(VALU_DEP_1)
	v_cmpx_ne_u16_e32 0, v6
	s_cbranch_execz .LBB228_946
; %bb.939:                              ;   in Loop: Header=BB228_10 Depth=1
	v_mov_b64_e32 v[50:51], 0x80000000
	s_mov_b32 s9, exec_lo
	v_cmpx_ne_u16_e32 0x80, v6
	s_cbranch_execz .LBB228_945
; %bb.940:                              ;   in Loop: Header=BB228_10 Depth=1
	v_mov_b64_e32 v[50:51], 0x7f800001
	v_and_b32_e32 v11, 0x7f, v14
	s_mov_b32 s11, exec_lo
	s_delay_alu instid0(VALU_DEP_1)
	v_cmpx_ne_u32_e32 0x7f, v11
	s_cbranch_execz .LBB228_944
; %bb.941:                              ;   in Loop: Header=BB228_10 Depth=1
	scratch_load_b64 v[50:51], off, s32 offset:192 th:TH_LOAD_LU ; 8-byte Folded Reload
	s_wait_loadcnt 0x0
	v_dual_lshrrev_b32 v9, 3, v11 :: v_dual_bitop2_b32 v50, 7, v14 bitop3:0x40
	s_mov_b32 s16, exec_lo
	s_wait_xcnt 0x0
	v_cmpx_gt_u32_e32 8, v11
; %bb.942:                              ;   in Loop: Header=BB228_10 Depth=1
	s_delay_alu instid0(VALU_DEP_2) | instskip(NEXT) | instid1(VALU_DEP_1)
	v_clz_i32_u32_e32 v8, v50
	v_min_u32_e32 v8, 32, v8
	s_delay_alu instid0(VALU_DEP_1) | instskip(NEXT) | instid1(VALU_DEP_1)
	v_subrev_nc_u32_e32 v9, 28, v8
	v_lshlrev_b64_e32 v[22:23], v9, v[50:51]
	s_delay_alu instid0(VALU_DEP_1)
	v_dual_sub_nc_u32 v9, 29, v8 :: v_dual_bitop2_b32 v50, 7, v22 bitop3:0x40
; %bb.943:                              ;   in Loop: Header=BB228_10 Depth=1
	s_or_b32 exec_lo, exec_lo, s16
	v_dual_mov_b32 v7, v51 :: v_dual_lshlrev_b32 v8, 24, v14
	s_delay_alu instid0(VALU_DEP_2) | instskip(NEXT) | instid1(VALU_DEP_3)
	v_lshlrev_b32_e32 v6, 20, v50
	v_lshl_add_u32 v9, v9, 23, 0x3c000000
	s_delay_alu instid0(VALU_DEP_3)
	v_and_b32_e32 v8, 0x80000000, v8
	scratch_store_b64 off, v[6:7], s32 offset:192 ; 8-byte Folded Spill
	v_or3_b32 v50, v6, v8, v9
.LBB228_944:                            ;   in Loop: Header=BB228_10 Depth=1
	s_wait_xcnt 0x0
	s_or_b32 exec_lo, exec_lo, s11
.LBB228_945:                            ;   in Loop: Header=BB228_10 Depth=1
	s_delay_alu instid0(SALU_CYCLE_1)
	s_or_b32 exec_lo, exec_lo, s9
.LBB228_946:                            ;   in Loop: Header=BB228_10 Depth=1
	s_delay_alu instid0(SALU_CYCLE_1) | instskip(SKIP_2) | instid1(VALU_DEP_1)
	s_or_b32 exec_lo, exec_lo, s8
	v_lshrrev_b16 v6, 8, v14
	s_mov_b32 s8, exec_lo
	v_cmpx_ne_u16_e32 0, v6
	s_cbranch_execz .LBB228_954
; %bb.947:                              ;   in Loop: Header=BB228_10 Depth=1
	v_mov_b64_e32 v[64:65], 0x8000000000000000
	s_mov_b32 s9, exec_lo
	v_cmpx_ne_u16_e32 0x80, v6
	s_cbranch_execz .LBB228_953
; %bb.948:                              ;   in Loop: Header=BB228_10 Depth=1
	v_and_b32_e32 v6, 0xffff, v6
	v_mov_b64_e32 v[64:65], 0x7f80000100000000
	s_mov_b32 s11, exec_lo
	s_delay_alu instid0(VALU_DEP_2) | instskip(NEXT) | instid1(VALU_DEP_1)
	v_and_b32_e32 v11, 0x7f, v6
	v_cmpx_ne_u32_e32 0x7f, v11
	s_cbranch_execz .LBB228_952
; %bb.949:                              ;   in Loop: Header=BB228_10 Depth=1
	scratch_load_b64 v[8:9], off, s32 offset:192 th:TH_LOAD_LU ; 8-byte Folded Reload
	s_mov_b32 s16, exec_lo
	s_wait_loadcnt 0x0
	v_dual_mov_b32 v7, v9 :: v_dual_bitop2_b32 v6, 7, v6 bitop3:0x40
	v_lshrrev_b32_e32 v9, 3, v11
	s_wait_xcnt 0x0
	v_cmpx_gt_u32_e32 8, v11
; %bb.950:                              ;   in Loop: Header=BB228_10 Depth=1
	s_delay_alu instid0(VALU_DEP_3) | instskip(NEXT) | instid1(VALU_DEP_1)
	v_clz_i32_u32_e32 v8, v6
	v_min_u32_e32 v8, 32, v8
	s_delay_alu instid0(VALU_DEP_1) | instskip(NEXT) | instid1(VALU_DEP_1)
	v_subrev_nc_u32_e32 v9, 28, v8
	v_lshlrev_b64_e32 v[18:19], v9, v[6:7]
	s_delay_alu instid0(VALU_DEP_1)
	v_dual_sub_nc_u32 v9, 29, v8 :: v_dual_bitop2_b32 v6, 7, v18 bitop3:0x40
; %bb.951:                              ;   in Loop: Header=BB228_10 Depth=1
	s_or_b32 exec_lo, exec_lo, s16
	v_lshlrev_b32_e32 v8, 16, v14
	s_delay_alu instid0(VALU_DEP_2) | instskip(NEXT) | instid1(VALU_DEP_3)
	v_dual_lshlrev_b32 v6, 20, v6 :: v_dual_mov_b32 v64, v7
	v_lshl_add_u32 v9, v9, 23, 0x3c000000
	s_delay_alu instid0(VALU_DEP_3) | instskip(NEXT) | instid1(VALU_DEP_1)
	v_and_b32_e32 v8, 0x80000000, v8
	v_or3_b32 v65, v6, v8, v9
	v_mov_b32_e32 v9, v7
	scratch_store_b64 off, v[8:9], s32 offset:192 ; 8-byte Folded Spill
.LBB228_952:                            ;   in Loop: Header=BB228_10 Depth=1
	s_wait_xcnt 0x0
	s_or_b32 exec_lo, exec_lo, s11
.LBB228_953:                            ;   in Loop: Header=BB228_10 Depth=1
	s_delay_alu instid0(SALU_CYCLE_1)
	s_or_b32 exec_lo, exec_lo, s9
.LBB228_954:                            ;   in Loop: Header=BB228_10 Depth=1
	s_delay_alu instid0(SALU_CYCLE_1) | instskip(SKIP_4) | instid1(VALU_DEP_3)
	s_or_b32 exec_lo, exec_lo, s8
	v_lshrrev_b32_e32 v11, 16, v14
	v_mov_b64_e32 v[18:19], 0
	v_mov_b64_e32 v[34:35], 0
	s_mov_b32 s8, exec_lo
	v_and_b32_e32 v6, 0xff, v11
	s_delay_alu instid0(VALU_DEP_1)
	v_cmpx_ne_u16_e32 0, v6
	s_cbranch_execz .LBB228_962
; %bb.955:                              ;   in Loop: Header=BB228_10 Depth=1
	v_mov_b64_e32 v[34:35], 0x80000000
	s_mov_b32 s9, exec_lo
	v_cmpx_ne_u16_e32 0x80, v6
	s_cbranch_execz .LBB228_961
; %bb.956:                              ;   in Loop: Header=BB228_10 Depth=1
	v_mov_b64_e32 v[34:35], 0x7f800001
	v_bfe_u32 v15, v14, 16, 7
	s_mov_b32 s11, exec_lo
	s_delay_alu instid0(VALU_DEP_1)
	v_cmpx_ne_u32_e32 0x7f, v15
	s_cbranch_execz .LBB228_960
; %bb.957:                              ;   in Loop: Header=BB228_10 Depth=1
	scratch_load_b64 v[34:35], off, s32 offset:192 th:TH_LOAD_LU ; 8-byte Folded Reload
	s_wait_loadcnt 0x0
	v_and_b32_e32 v34, 7, v11
	v_lshrrev_b32_e32 v9, 3, v15
	s_mov_b32 s16, exec_lo
	s_wait_xcnt 0x0
	v_cmpx_gt_u32_e32 8, v15
; %bb.958:                              ;   in Loop: Header=BB228_10 Depth=1
	v_clz_i32_u32_e32 v8, v34
	s_delay_alu instid0(VALU_DEP_1) | instskip(NEXT) | instid1(VALU_DEP_1)
	v_min_u32_e32 v8, 32, v8
	v_subrev_nc_u32_e32 v9, 28, v8
	s_delay_alu instid0(VALU_DEP_1) | instskip(SKIP_1) | instid1(VALU_DEP_2)
	v_lshlrev_b64_e32 v[24:25], v9, v[34:35]
	v_sub_nc_u32_e32 v9, 29, v8
	v_and_b32_e32 v34, 7, v24
; %bb.959:                              ;   in Loop: Header=BB228_10 Depth=1
	s_or_b32 exec_lo, exec_lo, s16
	s_delay_alu instid0(VALU_DEP_1) | instskip(NEXT) | instid1(VALU_DEP_3)
	v_dual_lshlrev_b32 v8, 24, v11 :: v_dual_lshlrev_b32 v6, 20, v34
	v_lshl_add_u32 v9, v9, 23, 0x3c000000
	v_mov_b32_e32 v7, v35
	s_delay_alu instid0(VALU_DEP_3)
	v_and_b32_e32 v8, 0x80000000, v8
	scratch_store_b64 off, v[6:7], s32 offset:192 ; 8-byte Folded Spill
	v_or3_b32 v34, v6, v8, v9
.LBB228_960:                            ;   in Loop: Header=BB228_10 Depth=1
	s_wait_xcnt 0x0
	s_or_b32 exec_lo, exec_lo, s11
.LBB228_961:                            ;   in Loop: Header=BB228_10 Depth=1
	s_delay_alu instid0(SALU_CYCLE_1)
	s_or_b32 exec_lo, exec_lo, s9
.LBB228_962:                            ;   in Loop: Header=BB228_10 Depth=1
	s_delay_alu instid0(SALU_CYCLE_1) | instskip(NEXT) | instid1(SALU_CYCLE_1)
	s_or_b32 exec_lo, exec_lo, s8
	s_mov_b32 s8, exec_lo
	v_cmpx_lt_u32_e32 0xffffff, v14
	s_cbranch_execz .LBB228_970
; %bb.963:                              ;   in Loop: Header=BB228_10 Depth=1
	v_mov_b64_e32 v[18:19], 0x8000000000000000
	v_lshrrev_b32_e32 v9, 24, v14
	s_mov_b32 s9, exec_lo
	s_delay_alu instid0(VALU_DEP_1)
	v_cmpx_ne_u32_e32 0x80, v9
	s_cbranch_execz .LBB228_969
; %bb.964:                              ;   in Loop: Header=BB228_10 Depth=1
	v_mov_b64_e32 v[18:19], 0x7f80000100000000
	v_bfe_u32 v14, v14, 24, 7
	s_mov_b32 s11, exec_lo
	s_delay_alu instid0(VALU_DEP_1)
	v_cmpx_ne_u32_e32 0x7f, v14
	s_cbranch_execz .LBB228_968
; %bb.965:                              ;   in Loop: Header=BB228_10 Depth=1
	scratch_load_b64 v[6:7], off, s32 offset:192 th:TH_LOAD_LU ; 8-byte Folded Reload
	s_wait_loadcnt 0x0
	v_dual_lshrrev_b32 v11, 3, v14 :: v_dual_bitop2_b32 v6, 7, v9 bitop3:0x40
	s_mov_b32 s16, exec_lo
	s_wait_xcnt 0x0
	v_cmpx_gt_u32_e32 8, v14
; %bb.966:                              ;   in Loop: Header=BB228_10 Depth=1
	s_delay_alu instid0(VALU_DEP_2) | instskip(NEXT) | instid1(VALU_DEP_1)
	v_clz_i32_u32_e32 v8, v6
	v_min_u32_e32 v8, 32, v8
	s_delay_alu instid0(VALU_DEP_1) | instskip(NEXT) | instid1(VALU_DEP_1)
	v_subrev_nc_u32_e32 v10, 28, v8
	v_lshlrev_b64_e32 v[14:15], v10, v[6:7]
	s_delay_alu instid0(VALU_DEP_1)
	v_dual_sub_nc_u32 v11, 29, v8 :: v_dual_bitop2_b32 v6, 7, v14 bitop3:0x40
; %bb.967:                              ;   in Loop: Header=BB228_10 Depth=1
	s_or_b32 exec_lo, exec_lo, s16
	s_delay_alu instid0(VALU_DEP_1) | instskip(NEXT) | instid1(VALU_DEP_2)
	v_dual_lshlrev_b32 v8, 24, v9 :: v_dual_lshlrev_b32 v6, 20, v6
	v_lshl_add_u32 v9, v11, 23, 0x3c000000
	v_mov_b32_e32 v18, v7
	s_delay_alu instid0(VALU_DEP_3) | instskip(NEXT) | instid1(VALU_DEP_1)
	v_and_b32_e32 v8, 0x80000000, v8
	v_or3_b32 v19, v6, v8, v9
	v_mov_b32_e32 v9, v7
	scratch_store_b64 off, v[8:9], s32 offset:192 ; 8-byte Folded Spill
.LBB228_968:                            ;   in Loop: Header=BB228_10 Depth=1
	s_wait_xcnt 0x0
	s_or_b32 exec_lo, exec_lo, s11
.LBB228_969:                            ;   in Loop: Header=BB228_10 Depth=1
	s_delay_alu instid0(SALU_CYCLE_1)
	s_or_b32 exec_lo, exec_lo, s9
.LBB228_970:                            ;   in Loop: Header=BB228_10 Depth=1
	s_delay_alu instid0(SALU_CYCLE_1)
	s_or_b32 exec_lo, exec_lo, s8
	flat_load_b32 v30, v[48:49] offset:3592
	v_mov_b64_e32 v[14:15], 0
	v_mov_b64_e32 v[22:23], 0
	s_mov_b32 s8, exec_lo
	s_wait_loadcnt_dscnt 0x0
	v_and_b32_e32 v6, 0xff, v30
	s_wait_xcnt 0x0
	s_delay_alu instid0(VALU_DEP_1)
	v_cmpx_ne_u16_e32 0, v6
	s_cbranch_execz .LBB228_978
; %bb.971:                              ;   in Loop: Header=BB228_10 Depth=1
	v_mov_b64_e32 v[22:23], 0x80000000
	s_mov_b32 s9, exec_lo
	v_cmpx_ne_u16_e32 0x80, v6
	s_cbranch_execz .LBB228_977
; %bb.972:                              ;   in Loop: Header=BB228_10 Depth=1
	v_mov_b64_e32 v[22:23], 0x7f800001
	v_and_b32_e32 v11, 0x7f, v30
	s_mov_b32 s11, exec_lo
	s_delay_alu instid0(VALU_DEP_1)
	v_cmpx_ne_u32_e32 0x7f, v11
	s_cbranch_execz .LBB228_976
; %bb.973:                              ;   in Loop: Header=BB228_10 Depth=1
	scratch_load_b64 v[22:23], off, s32 offset:192 th:TH_LOAD_LU ; 8-byte Folded Reload
	s_wait_loadcnt 0x0
	v_dual_lshrrev_b32 v9, 3, v11 :: v_dual_bitop2_b32 v22, 7, v30 bitop3:0x40
	s_mov_b32 s16, exec_lo
	s_wait_xcnt 0x0
	v_cmpx_gt_u32_e32 8, v11
; %bb.974:                              ;   in Loop: Header=BB228_10 Depth=1
	s_delay_alu instid0(VALU_DEP_2) | instskip(NEXT) | instid1(VALU_DEP_1)
	v_clz_i32_u32_e32 v8, v22
	v_min_u32_e32 v8, 32, v8
	s_delay_alu instid0(VALU_DEP_1) | instskip(NEXT) | instid1(VALU_DEP_1)
	v_subrev_nc_u32_e32 v9, 28, v8
	v_lshlrev_b64_e32 v[24:25], v9, v[22:23]
	v_sub_nc_u32_e32 v9, 29, v8
	s_delay_alu instid0(VALU_DEP_2)
	v_and_b32_e32 v22, 7, v24
; %bb.975:                              ;   in Loop: Header=BB228_10 Depth=1
	s_or_b32 exec_lo, exec_lo, s16
	v_lshlrev_b32_e32 v8, 24, v30
	s_delay_alu instid0(VALU_DEP_2) | instskip(SKIP_1) | instid1(VALU_DEP_3)
	v_lshlrev_b32_e32 v6, 20, v22
	v_lshl_add_u32 v9, v9, 23, 0x3c000000
	v_and_b32_e32 v8, 0x80000000, v8
	s_delay_alu instid0(VALU_DEP_1)
	v_or3_b32 v22, v6, v8, v9
	v_mov_b32_e32 v9, v23
	scratch_store_b64 off, v[8:9], s32 offset:192 ; 8-byte Folded Spill
.LBB228_976:                            ;   in Loop: Header=BB228_10 Depth=1
	s_wait_xcnt 0x0
	s_or_b32 exec_lo, exec_lo, s11
.LBB228_977:                            ;   in Loop: Header=BB228_10 Depth=1
	s_delay_alu instid0(SALU_CYCLE_1)
	s_or_b32 exec_lo, exec_lo, s9
.LBB228_978:                            ;   in Loop: Header=BB228_10 Depth=1
	s_delay_alu instid0(SALU_CYCLE_1) | instskip(SKIP_2) | instid1(VALU_DEP_1)
	s_or_b32 exec_lo, exec_lo, s8
	v_lshrrev_b16 v6, 8, v30
	s_mov_b32 s8, exec_lo
	v_cmpx_ne_u16_e32 0, v6
	s_cbranch_execz .LBB228_986
; %bb.979:                              ;   in Loop: Header=BB228_10 Depth=1
	v_mov_b64_e32 v[14:15], 0x8000000000000000
	s_mov_b32 s9, exec_lo
	v_cmpx_ne_u16_e32 0x80, v6
	s_cbranch_execz .LBB228_985
; %bb.980:                              ;   in Loop: Header=BB228_10 Depth=1
	v_and_b32_e32 v6, 0xffff, v6
	v_mov_b64_e32 v[14:15], 0x7f80000100000000
	s_mov_b32 s11, exec_lo
	s_delay_alu instid0(VALU_DEP_2) | instskip(NEXT) | instid1(VALU_DEP_1)
	v_and_b32_e32 v11, 0x7f, v6
	v_cmpx_ne_u32_e32 0x7f, v11
	s_cbranch_execz .LBB228_984
; %bb.981:                              ;   in Loop: Header=BB228_10 Depth=1
	scratch_load_b64 v[8:9], off, s32 offset:192 th:TH_LOAD_LU ; 8-byte Folded Reload
	s_mov_b32 s16, exec_lo
	s_wait_loadcnt 0x0
	v_dual_mov_b32 v7, v9 :: v_dual_bitop2_b32 v6, 7, v6 bitop3:0x40
	v_lshrrev_b32_e32 v9, 3, v11
	s_wait_xcnt 0x0
	v_cmpx_gt_u32_e32 8, v11
; %bb.982:                              ;   in Loop: Header=BB228_10 Depth=1
	s_delay_alu instid0(VALU_DEP_3) | instskip(NEXT) | instid1(VALU_DEP_1)
	v_clz_i32_u32_e32 v8, v6
	v_min_u32_e32 v8, 32, v8
	s_delay_alu instid0(VALU_DEP_1) | instskip(NEXT) | instid1(VALU_DEP_1)
	v_subrev_nc_u32_e32 v9, 28, v8
	v_lshlrev_b64_e32 v[14:15], v9, v[6:7]
	s_delay_alu instid0(VALU_DEP_1)
	v_dual_sub_nc_u32 v9, 29, v8 :: v_dual_bitop2_b32 v6, 7, v14 bitop3:0x40
; %bb.983:                              ;   in Loop: Header=BB228_10 Depth=1
	s_or_b32 exec_lo, exec_lo, s16
	v_lshlrev_b32_e32 v8, 16, v30
	s_delay_alu instid0(VALU_DEP_2) | instskip(NEXT) | instid1(VALU_DEP_3)
	v_dual_lshlrev_b32 v6, 20, v6 :: v_dual_mov_b32 v14, v7
	v_lshl_add_u32 v9, v9, 23, 0x3c000000
	s_delay_alu instid0(VALU_DEP_3) | instskip(NEXT) | instid1(VALU_DEP_1)
	v_and_b32_e32 v8, 0x80000000, v8
	v_or3_b32 v15, v6, v8, v9
	v_mov_b32_e32 v9, v7
	scratch_store_b64 off, v[8:9], s32 offset:192 ; 8-byte Folded Spill
.LBB228_984:                            ;   in Loop: Header=BB228_10 Depth=1
	s_wait_xcnt 0x0
	s_or_b32 exec_lo, exec_lo, s11
.LBB228_985:                            ;   in Loop: Header=BB228_10 Depth=1
	s_delay_alu instid0(SALU_CYCLE_1)
	s_or_b32 exec_lo, exec_lo, s9
.LBB228_986:                            ;   in Loop: Header=BB228_10 Depth=1
	s_delay_alu instid0(SALU_CYCLE_1) | instskip(SKIP_4) | instid1(VALU_DEP_3)
	s_or_b32 exec_lo, exec_lo, s8
	v_lshrrev_b32_e32 v11, 16, v30
	v_mov_b64_e32 v[24:25], 0
	v_mov_b64_e32 v[68:69], 0
	s_mov_b32 s8, exec_lo
	v_and_b32_e32 v6, 0xff, v11
	s_delay_alu instid0(VALU_DEP_1)
	v_cmpx_ne_u16_e32 0, v6
	s_cbranch_execz .LBB228_994
; %bb.987:                              ;   in Loop: Header=BB228_10 Depth=1
	v_mov_b64_e32 v[68:69], 0x80000000
	s_mov_b32 s9, exec_lo
	v_cmpx_ne_u16_e32 0x80, v6
	s_cbranch_execz .LBB228_993
; %bb.988:                              ;   in Loop: Header=BB228_10 Depth=1
	v_mov_b64_e32 v[68:69], 0x7f800001
	v_bfe_u32 v31, v30, 16, 7
	s_mov_b32 s11, exec_lo
	s_delay_alu instid0(VALU_DEP_1)
	v_cmpx_ne_u32_e32 0x7f, v31
	s_cbranch_execz .LBB228_992
; %bb.989:                              ;   in Loop: Header=BB228_10 Depth=1
	scratch_load_b64 v[68:69], off, s32 offset:192 th:TH_LOAD_LU ; 8-byte Folded Reload
	s_wait_loadcnt 0x0
	v_and_b32_e32 v68, 7, v11
	v_lshrrev_b32_e32 v9, 3, v31
	s_mov_b32 s16, exec_lo
	s_wait_xcnt 0x0
	v_cmpx_gt_u32_e32 8, v31
	s_cbranch_execz .LBB228_991
; %bb.990:                              ;   in Loop: Header=BB228_10 Depth=1
	v_clz_i32_u32_e32 v8, v68
	v_mov_b64_e32 v[6:7], v[32:33]
	s_delay_alu instid0(VALU_DEP_2) | instskip(NEXT) | instid1(VALU_DEP_1)
	v_min_u32_e32 v8, 32, v8
	v_subrev_nc_u32_e32 v9, 28, v8
	s_delay_alu instid0(VALU_DEP_1) | instskip(SKIP_1) | instid1(VALU_DEP_2)
	v_lshlrev_b64_e32 v[32:33], v9, v[68:69]
	v_sub_nc_u32_e32 v9, 29, v8
	v_and_b32_e32 v68, 7, v32
	v_mov_b64_e32 v[32:33], v[6:7]
.LBB228_991:                            ;   in Loop: Header=BB228_10 Depth=1
	s_or_b32 exec_lo, exec_lo, s16
	s_delay_alu instid0(VALU_DEP_2) | instskip(SKIP_2) | instid1(VALU_DEP_3)
	v_dual_lshlrev_b32 v8, 24, v11 :: v_dual_lshlrev_b32 v6, 20, v68
	v_lshl_add_u32 v9, v9, 23, 0x3c000000
	v_mov_b32_e32 v7, v69
	v_and_b32_e32 v8, 0x80000000, v8
	scratch_store_b64 off, v[6:7], s32 offset:192 ; 8-byte Folded Spill
	v_or3_b32 v68, v6, v8, v9
.LBB228_992:                            ;   in Loop: Header=BB228_10 Depth=1
	s_wait_xcnt 0x0
	s_or_b32 exec_lo, exec_lo, s11
.LBB228_993:                            ;   in Loop: Header=BB228_10 Depth=1
	s_delay_alu instid0(SALU_CYCLE_1)
	s_or_b32 exec_lo, exec_lo, s9
.LBB228_994:                            ;   in Loop: Header=BB228_10 Depth=1
	s_delay_alu instid0(SALU_CYCLE_1) | instskip(NEXT) | instid1(SALU_CYCLE_1)
	s_or_b32 exec_lo, exec_lo, s8
	s_mov_b32 s8, exec_lo
	v_cmpx_lt_u32_e32 0xffffff, v30
	s_cbranch_execz .LBB228_1002
; %bb.995:                              ;   in Loop: Header=BB228_10 Depth=1
	v_mov_b64_e32 v[24:25], 0x8000000000000000
	v_lshrrev_b32_e32 v9, 24, v30
	s_mov_b32 s9, exec_lo
	s_delay_alu instid0(VALU_DEP_1)
	v_cmpx_ne_u32_e32 0x80, v9
	s_cbranch_execz .LBB228_1001
; %bb.996:                              ;   in Loop: Header=BB228_10 Depth=1
	v_mov_b64_e32 v[24:25], 0x7f80000100000000
	v_bfe_u32 v30, v30, 24, 7
	s_mov_b32 s11, exec_lo
	s_delay_alu instid0(VALU_DEP_1)
	v_cmpx_ne_u32_e32 0x7f, v30
	s_cbranch_execz .LBB228_1000
; %bb.997:                              ;   in Loop: Header=BB228_10 Depth=1
	scratch_load_b64 v[6:7], off, s32 offset:192 th:TH_LOAD_LU ; 8-byte Folded Reload
	s_wait_loadcnt 0x0
	v_dual_lshrrev_b32 v11, 3, v30 :: v_dual_bitop2_b32 v6, 7, v9 bitop3:0x40
	s_mov_b32 s16, exec_lo
	s_wait_xcnt 0x0
	v_cmpx_gt_u32_e32 8, v30
; %bb.998:                              ;   in Loop: Header=BB228_10 Depth=1
	s_delay_alu instid0(VALU_DEP_2) | instskip(NEXT) | instid1(VALU_DEP_1)
	v_clz_i32_u32_e32 v8, v6
	v_min_u32_e32 v8, 32, v8
	s_delay_alu instid0(VALU_DEP_1) | instskip(SKIP_1) | instid1(VALU_DEP_2)
	v_subrev_nc_u32_e32 v10, 28, v8
	v_sub_nc_u32_e32 v11, 29, v8
	v_lshlrev_b64_e32 v[28:29], v10, v[6:7]
	s_delay_alu instid0(VALU_DEP_1)
	v_and_b32_e32 v6, 7, v28
; %bb.999:                              ;   in Loop: Header=BB228_10 Depth=1
	s_or_b32 exec_lo, exec_lo, s16
	s_delay_alu instid0(VALU_DEP_1) | instskip(SKIP_2) | instid1(VALU_DEP_3)
	v_dual_lshlrev_b32 v8, 24, v9 :: v_dual_lshlrev_b32 v6, 20, v6
	v_lshl_add_u32 v9, v11, 23, 0x3c000000
	v_mov_b32_e32 v24, v7
	v_and_b32_e32 v8, 0x80000000, v8
	s_delay_alu instid0(VALU_DEP_1)
	v_or3_b32 v25, v6, v8, v9
	v_mov_b32_e32 v9, v7
	scratch_store_b64 off, v[8:9], s32 offset:192 ; 8-byte Folded Spill
.LBB228_1000:                           ;   in Loop: Header=BB228_10 Depth=1
	s_wait_xcnt 0x0
	s_or_b32 exec_lo, exec_lo, s11
.LBB228_1001:                           ;   in Loop: Header=BB228_10 Depth=1
	s_delay_alu instid0(SALU_CYCLE_1)
	s_or_b32 exec_lo, exec_lo, s9
.LBB228_1002:                           ;   in Loop: Header=BB228_10 Depth=1
	s_delay_alu instid0(SALU_CYCLE_1)
	s_or_b32 exec_lo, exec_lo, s8
	flat_load_b32 v11, v[48:49] offset:3596
	v_mov_b64_e32 v[38:39], 0
	v_mov_b64_e32 v[26:27], 0
	s_mov_b32 s8, exec_lo
	s_wait_loadcnt_dscnt 0x0
	v_and_b32_e32 v6, 0xff, v11
	s_wait_xcnt 0x0
	s_delay_alu instid0(VALU_DEP_1)
	v_cmpx_ne_u16_e32 0, v6
	s_cbranch_execz .LBB228_1010
; %bb.1003:                             ;   in Loop: Header=BB228_10 Depth=1
	v_mov_b64_e32 v[26:27], 0x80000000
	s_mov_b32 s9, exec_lo
	v_cmpx_ne_u16_e32 0x80, v6
	s_cbranch_execz .LBB228_1009
; %bb.1004:                             ;   in Loop: Header=BB228_10 Depth=1
	v_mov_b64_e32 v[28:29], v[32:33]
	v_mov_b64_e32 v[26:27], 0x7f800001
	v_and_b32_e32 v32, 0x7f, v11
	s_mov_b32 s11, exec_lo
	s_delay_alu instid0(VALU_DEP_1)
	v_cmpx_ne_u32_e32 0x7f, v32
	s_cbranch_execz .LBB228_1008
; %bb.1005:                             ;   in Loop: Header=BB228_10 Depth=1
	scratch_load_b64 v[26:27], off, s32 offset:192 th:TH_LOAD_LU ; 8-byte Folded Reload
	s_wait_loadcnt 0x0
	v_dual_lshrrev_b32 v9, 3, v32 :: v_dual_bitop2_b32 v26, 7, v11 bitop3:0x40
	s_mov_b32 s16, exec_lo
	s_wait_xcnt 0x0
	v_cmpx_gt_u32_e32 8, v32
; %bb.1006:                             ;   in Loop: Header=BB228_10 Depth=1
	s_delay_alu instid0(VALU_DEP_2) | instskip(NEXT) | instid1(VALU_DEP_1)
	v_clz_i32_u32_e32 v8, v26
	v_min_u32_e32 v8, 32, v8
	s_delay_alu instid0(VALU_DEP_1) | instskip(NEXT) | instid1(VALU_DEP_1)
	v_subrev_nc_u32_e32 v9, 28, v8
	v_lshlrev_b64_e32 v[30:31], v9, v[26:27]
	s_delay_alu instid0(VALU_DEP_1)
	v_dual_sub_nc_u32 v9, 29, v8 :: v_dual_bitop2_b32 v26, 7, v30 bitop3:0x40
; %bb.1007:                             ;   in Loop: Header=BB228_10 Depth=1
	s_or_b32 exec_lo, exec_lo, s16
	s_delay_alu instid0(VALU_DEP_1) | instskip(NEXT) | instid1(VALU_DEP_2)
	v_dual_lshlrev_b32 v8, 24, v11 :: v_dual_lshlrev_b32 v6, 20, v26
	v_lshl_add_u32 v9, v9, 23, 0x3c000000
	s_delay_alu instid0(VALU_DEP_2) | instskip(NEXT) | instid1(VALU_DEP_1)
	v_and_b32_e32 v8, 0x80000000, v8
	v_or3_b32 v26, v6, v8, v9
	v_mov_b32_e32 v9, v27
	scratch_store_b64 off, v[8:9], s32 offset:192 ; 8-byte Folded Spill
.LBB228_1008:                           ;   in Loop: Header=BB228_10 Depth=1
	s_wait_xcnt 0x0
	s_or_b32 exec_lo, exec_lo, s11
	v_mov_b64_e32 v[32:33], v[28:29]
.LBB228_1009:                           ;   in Loop: Header=BB228_10 Depth=1
	s_or_b32 exec_lo, exec_lo, s9
.LBB228_1010:                           ;   in Loop: Header=BB228_10 Depth=1
	s_delay_alu instid0(SALU_CYCLE_1) | instskip(SKIP_2) | instid1(VALU_DEP_1)
	s_or_b32 exec_lo, exec_lo, s8
	v_lshrrev_b16 v6, 8, v11
	s_mov_b32 s8, exec_lo
	v_cmpx_ne_u16_e32 0, v6
	s_cbranch_execz .LBB228_1018
; %bb.1011:                             ;   in Loop: Header=BB228_10 Depth=1
	v_mov_b64_e32 v[38:39], 0x8000000000000000
	s_mov_b32 s9, exec_lo
	v_cmpx_ne_u16_e32 0x80, v6
	s_cbranch_execz .LBB228_1017
; %bb.1012:                             ;   in Loop: Header=BB228_10 Depth=1
	v_and_b32_e32 v6, 0xffff, v6
	v_mov_b64_e32 v[28:29], v[32:33]
	v_mov_b64_e32 v[38:39], 0x7f80000100000000
	s_mov_b32 s11, exec_lo
	s_delay_alu instid0(VALU_DEP_3) | instskip(NEXT) | instid1(VALU_DEP_1)
	v_and_b32_e32 v32, 0x7f, v6
	v_cmpx_ne_u32_e32 0x7f, v32
	s_cbranch_execz .LBB228_1016
; %bb.1013:                             ;   in Loop: Header=BB228_10 Depth=1
	scratch_load_b64 v[8:9], off, s32 offset:192 th:TH_LOAD_LU ; 8-byte Folded Reload
	s_mov_b32 s16, exec_lo
	s_wait_loadcnt 0x0
	v_dual_mov_b32 v7, v9 :: v_dual_bitop2_b32 v6, 7, v6 bitop3:0x40
	v_lshrrev_b32_e32 v9, 3, v32
	s_wait_xcnt 0x0
	v_cmpx_gt_u32_e32 8, v32
; %bb.1014:                             ;   in Loop: Header=BB228_10 Depth=1
	s_delay_alu instid0(VALU_DEP_3) | instskip(NEXT) | instid1(VALU_DEP_1)
	v_clz_i32_u32_e32 v8, v6
	v_min_u32_e32 v8, 32, v8
	s_delay_alu instid0(VALU_DEP_1) | instskip(NEXT) | instid1(VALU_DEP_1)
	v_subrev_nc_u32_e32 v9, 28, v8
	v_lshlrev_b64_e32 v[32:33], v9, v[6:7]
	v_sub_nc_u32_e32 v9, 29, v8
	s_delay_alu instid0(VALU_DEP_2)
	v_and_b32_e32 v6, 7, v32
; %bb.1015:                             ;   in Loop: Header=BB228_10 Depth=1
	s_or_b32 exec_lo, exec_lo, s16
	s_delay_alu instid0(VALU_DEP_1) | instskip(NEXT) | instid1(VALU_DEP_3)
	v_dual_lshlrev_b32 v8, 16, v11 :: v_dual_lshlrev_b32 v6, 20, v6
	v_lshl_add_u32 v9, v9, 23, 0x3c000000
	v_mov_b32_e32 v38, v7
	s_delay_alu instid0(VALU_DEP_3) | instskip(NEXT) | instid1(VALU_DEP_1)
	v_and_b32_e32 v8, 0x80000000, v8
	v_or3_b32 v39, v6, v8, v9
	v_mov_b32_e32 v9, v7
	scratch_store_b64 off, v[8:9], s32 offset:192 ; 8-byte Folded Spill
.LBB228_1016:                           ;   in Loop: Header=BB228_10 Depth=1
	s_wait_xcnt 0x0
	s_or_b32 exec_lo, exec_lo, s11
	v_mov_b64_e32 v[32:33], v[28:29]
.LBB228_1017:                           ;   in Loop: Header=BB228_10 Depth=1
	s_or_b32 exec_lo, exec_lo, s9
.LBB228_1018:                           ;   in Loop: Header=BB228_10 Depth=1
	s_delay_alu instid0(SALU_CYCLE_1) | instskip(SKIP_4) | instid1(VALU_DEP_3)
	s_or_b32 exec_lo, exec_lo, s8
	v_lshrrev_b32_e32 v9, 16, v11
	v_mov_b64_e32 v[28:29], 0
	v_mov_b64_e32 v[88:89], 0
	s_mov_b32 s8, exec_lo
	v_and_b32_e32 v6, 0xff, v9
	s_delay_alu instid0(VALU_DEP_1)
	v_cmpx_ne_u16_e32 0, v6
	s_cbranch_execz .LBB228_1026
; %bb.1019:                             ;   in Loop: Header=BB228_10 Depth=1
	v_mov_b64_e32 v[88:89], 0x80000000
	s_mov_b32 s9, exec_lo
	v_cmpx_ne_u16_e32 0x80, v6
	s_cbranch_execz .LBB228_1025
; %bb.1020:                             ;   in Loop: Header=BB228_10 Depth=1
	v_mov_b64_e32 v[30:31], v[36:37]
	v_mov_b64_e32 v[88:89], 0x7f800001
	v_bfe_u32 v36, v11, 16, 7
	s_mov_b32 s11, exec_lo
	s_delay_alu instid0(VALU_DEP_1)
	v_cmpx_ne_u32_e32 0x7f, v36
	s_cbranch_execz .LBB228_1024
; %bb.1021:                             ;   in Loop: Header=BB228_10 Depth=1
	scratch_load_b64 v[88:89], off, s32 offset:192 th:TH_LOAD_LU ; 8-byte Folded Reload
	s_wait_loadcnt 0x0
	v_dual_lshrrev_b32 v52, 3, v36 :: v_dual_bitop2_b32 v88, 7, v9 bitop3:0x40
	s_mov_b32 s16, exec_lo
	s_wait_xcnt 0x0
	v_cmpx_gt_u32_e32 8, v36
; %bb.1022:                             ;   in Loop: Header=BB228_10 Depth=1
	s_delay_alu instid0(VALU_DEP_2) | instskip(NEXT) | instid1(VALU_DEP_1)
	v_clz_i32_u32_e32 v8, v88
	v_min_u32_e32 v8, 32, v8
	s_delay_alu instid0(VALU_DEP_1) | instskip(SKIP_1) | instid1(VALU_DEP_2)
	v_subrev_nc_u32_e32 v10, 28, v8
	v_sub_nc_u32_e32 v52, 29, v8
	v_lshlrev_b64_e32 v[36:37], v10, v[88:89]
	s_delay_alu instid0(VALU_DEP_1)
	v_and_b32_e32 v88, 7, v36
; %bb.1023:                             ;   in Loop: Header=BB228_10 Depth=1
	s_or_b32 exec_lo, exec_lo, s16
	s_delay_alu instid0(VALU_DEP_1) | instskip(SKIP_1) | instid1(VALU_DEP_2)
	v_dual_lshlrev_b32 v8, 24, v9 :: v_dual_lshlrev_b32 v6, 20, v88
	v_lshl_add_u32 v9, v52, 23, 0x3c000000
	v_and_b32_e32 v8, 0x80000000, v8
	s_delay_alu instid0(VALU_DEP_1)
	v_or3_b32 v88, v6, v8, v9
	v_mov_b32_e32 v9, v89
	scratch_store_b64 off, v[8:9], s32 offset:192 ; 8-byte Folded Spill
.LBB228_1024:                           ;   in Loop: Header=BB228_10 Depth=1
	s_wait_xcnt 0x0
	s_or_b32 exec_lo, exec_lo, s11
	v_mov_b64_e32 v[36:37], v[30:31]
.LBB228_1025:                           ;   in Loop: Header=BB228_10 Depth=1
	s_or_b32 exec_lo, exec_lo, s9
.LBB228_1026:                           ;   in Loop: Header=BB228_10 Depth=1
	s_delay_alu instid0(SALU_CYCLE_1)
	s_or_b32 exec_lo, exec_lo, s8
	v_cmp_lt_u32_e64 s1, 0xffffff, v11
	s_mov_b32 s8, exec_lo
	s_clause 0x1
	scratch_load_b32 v6, off, s32 offset:780
	scratch_load_b32 v47, off, s32 offset:784
	v_mov_b32_e32 v46, v53
	s_and_b32 s1, s8, s1
	s_wait_xcnt 0x0
	s_mov_b32 exec_lo, s1
	s_cbranch_execz .LBB228_9
; %bb.1027:                             ;   in Loop: Header=BB228_10 Depth=1
	v_mov_b64_e32 v[28:29], 0x8000000000000000
	v_lshrrev_b32_e32 v9, 24, v11
	s_mov_b32 s9, exec_lo
	s_delay_alu instid0(VALU_DEP_1)
	v_cmpx_ne_u32_e32 0x80, v9
	s_cbranch_execz .LBB228_8
; %bb.1028:                             ;   in Loop: Header=BB228_10 Depth=1
	v_mov_b64_e32 v[30:31], v[36:37]
	v_mov_b64_e32 v[28:29], 0x7f80000100000000
	v_bfe_u32 v36, v11, 24, 7
	s_mov_b32 s11, exec_lo
	s_delay_alu instid0(VALU_DEP_1)
	v_cmpx_ne_u32_e32 0x7f, v36
	s_cbranch_execz .LBB228_7
; %bb.1029:                             ;   in Loop: Header=BB228_10 Depth=1
	s_wait_loadcnt 0x1
	scratch_load_b64 v[6:7], off, s32 offset:192 th:TH_LOAD_LU ; 8-byte Folded Reload
	s_wait_loadcnt 0x0
	v_dual_lshrrev_b32 v11, 3, v36 :: v_dual_bitop2_b32 v6, 7, v9 bitop3:0x40
	s_mov_b32 s16, exec_lo
	s_wait_xcnt 0x0
	v_cmpx_gt_u32_e32 8, v36
	s_cbranch_execz .LBB228_6
; %bb.1030:                             ;   in Loop: Header=BB228_10 Depth=1
	v_clz_i32_u32_e32 v8, v6
	v_mov_b64_e32 v[28:29], v[32:33]
	s_delay_alu instid0(VALU_DEP_2) | instskip(NEXT) | instid1(VALU_DEP_1)
	v_min_u32_e32 v8, 32, v8
	v_subrev_nc_u32_e32 v10, 28, v8
	v_sub_nc_u32_e32 v11, 29, v8
	s_delay_alu instid0(VALU_DEP_2) | instskip(NEXT) | instid1(VALU_DEP_1)
	v_lshlrev_b64_e32 v[32:33], v10, v[6:7]
	v_and_b32_e32 v6, 7, v32
	v_mov_b64_e32 v[32:33], v[28:29]
	s_branch .LBB228_6
.LBB228_1031:
	s_or_b32 exec_lo, exec_lo, s3
	scratch_load_b32 v6, off, s32 offset:1488 ; 4-byte Folded Reload
.LBB228_1032:
	s_wait_xcnt 0x0
	s_or_b32 exec_lo, exec_lo, s2
	v_mbcnt_lo_u32_b32 v2, -1, 0
	s_delay_alu instid0(VALU_DEP_1) | instskip(SKIP_1) | instid1(VALU_DEP_2)
	v_dual_max_num_f32 v4, v11, v11 :: v_dual_bitop2_b32 v0, 16, v2 bitop3:0x14
	v_xor_b32_e32 v3, 8, v2
	v_cmp_gt_i32_e32 vcc_lo, 32, v0
	v_cndmask_b32_e32 v0, v2, v0, vcc_lo
	s_delay_alu instid0(VALU_DEP_3) | instskip(NEXT) | instid1(VALU_DEP_2)
	v_cmp_gt_i32_e32 vcc_lo, 32, v3
	v_dual_cndmask_b32 v3, v2, v3 :: v_dual_lshlrev_b32 v0, 2, v0
	ds_bpermute_b32 v1, v0, v11
	s_wait_dscnt 0x0
	v_dual_max_num_f32 v5, v1, v1 :: v_dual_lshlrev_b32 v1, 2, v3
	s_delay_alu instid0(VALU_DEP_1) | instskip(SKIP_4) | instid1(VALU_DEP_1)
	v_dual_max_num_f32 v3, v4, v5 :: v_dual_bitop2_b32 v5, 4, v2 bitop3:0x14
	ds_bpermute_b32 v4, v1, v3
	v_cmp_gt_i32_e32 vcc_lo, 32, v5
	s_wait_dscnt 0x0
	v_dual_cndmask_b32 v5, v2, v5 :: v_dual_max_num_f32 v4, v4, v4
	v_dual_lshlrev_b32 v85, 2, v5 :: v_dual_max_num_f32 v3, v3, v4
	ds_bpermute_b32 v4, v85, v3
	s_wait_dscnt 0x0
	v_dual_max_num_f32 v4, v4, v4 :: v_dual_bitop2_b32 v5, 2, v2 bitop3:0x14
	s_delay_alu instid0(VALU_DEP_1) | instskip(NEXT) | instid1(VALU_DEP_2)
	v_cmp_gt_i32_e32 vcc_lo, 32, v5
	v_dual_max_num_f32 v3, v3, v4 :: v_dual_cndmask_b32 v5, v2, v5, vcc_lo
	s_delay_alu instid0(VALU_DEP_1) | instskip(SKIP_4) | instid1(VALU_DEP_1)
	v_dual_lshlrev_b32 v100, 2, v5 :: v_dual_bitop2_b32 v5, 1, v2 bitop3:0x14
	ds_bpermute_b32 v4, v100, v3
	v_cmp_gt_i32_e32 vcc_lo, 32, v5
	v_cndmask_b32_e32 v5, v2, v5, vcc_lo
	s_wait_dscnt 0x0
	v_dual_max_num_f32 v4, v4, v4 :: v_dual_lshlrev_b32 v49, 2, v5
	s_delay_alu instid0(VALU_DEP_1)
	v_max_num_f32_e32 v2, v3, v4
	scratch_load_b32 v3, off, s32 offset:1492 ; 4-byte Folded Reload
	ds_bpermute_b32 v4, v49, v2
	s_wait_loadcnt 0x0
	v_cmp_eq_u32_e32 vcc_lo, 0, v3
	scratch_load_b32 v3, off, s32 offset:1496 ; 4-byte Folded Reload
	s_wait_loadcnt 0x0
	v_lshlrev_b32_e32 v3, 2, v3
	s_wait_xcnt 0x0
	s_and_saveexec_b32 s1, vcc_lo
	s_cbranch_execz .LBB228_1034
; %bb.1033:
	s_wait_dscnt 0x0
	v_dual_max_num_f32 v4, v4, v4 :: v_dual_max_num_f32 v2, v2, v2
	s_delay_alu instid0(VALU_DEP_1)
	v_max_num_f32_e32 v2, v2, v4
	ds_store_b32 v3, v2 offset:512
.LBB228_1034:
	s_or_b32 exec_lo, exec_lo, s1
	scratch_load_b32 v2, off, s32 offset:1492 ; 4-byte Folded Reload
	s_wait_storecnt 0x0
	s_wait_loadcnt_dscnt 0x0
	s_barrier_signal -1
	s_barrier_wait -1
	v_cmp_gt_u32_e64 s1, 4, v2
	v_mov_b32_e32 v2, 0xff7fffff
	s_and_saveexec_b32 s2, s1
	s_cbranch_execz .LBB228_1036
; %bb.1035:
	scratch_load_b32 v2, off, s32 offset:1508 ; 4-byte Folded Reload
	s_wait_loadcnt 0x0
	ds_load_b32 v2, v2 offset:512
.LBB228_1036:
	s_or_b32 exec_lo, exec_lo, s2
	s_wait_dscnt 0x0
	ds_bpermute_b32 v4, v100, v2
	v_max_num_f32_e32 v2, v2, v2
	scratch_load_b64 v[8:9], off, s32 offset:200 ; 8-byte Folded Reload
	s_wait_dscnt 0x0
	v_max_num_f32_e32 v4, v4, v4
	s_delay_alu instid0(VALU_DEP_1) | instskip(SKIP_3) | instid1(VALU_DEP_1)
	v_max_num_f32_e32 v2, v2, v4
	ds_bpermute_b32 v4, v49, v2
	s_wait_dscnt 0x0
	v_max_num_f32_e32 v4, v4, v4
	v_dual_max_num_f32 v2, v2, v4 :: v_dual_mov_b32 v4, 0
	ds_bpermute_b32 v5, v4, v2
	scratch_load_b32 v2, off, s32 offset:208 ; 4-byte Folded Reload
	s_wait_loadcnt 0x0
	v_lshlrev_b32_e32 v2, 5, v2
	s_delay_alu instid0(VALU_DEP_1) | instskip(NEXT) | instid1(VALU_DEP_1)
	v_min_i32_e32 v2, v2, v8
	v_cmp_lt_i32_e64 s2, v6, v2
	s_and_saveexec_b32 s8, s2
	s_cbranch_execz .LBB228_1040
; %bb.1037:
	s_ashr_i32 s11, s10, 31
	v_dual_mov_b32 v4, 0 :: v_dual_mov_b32 v7, v6
	s_lshl_b64 s[16:17], s[10:11], 2
	s_mov_b32 s9, 0
	s_add_nc_u64 s[16:17], s[6:7], s[16:17]
	s_load_b32 s3, s[16:17], 0x0
	s_wait_kmcnt 0x0
	v_lshl_add_u32 v6, v7, 2, s3
.LBB228_1038:                           ; =>This Inner Loop Header: Depth=1
	ds_load_b32 v8, v6
	v_add_nc_u32_e32 v7, 0x80, v7
	s_delay_alu instid0(VALU_DEP_1) | instskip(SKIP_3) | instid1(VALU_DEP_1)
	v_cmp_ge_i32_e64 s3, v7, v2
	s_or_b32 s9, s3, s9
	s_wait_dscnt 0x0
	v_sub_f32_e32 v8, v8, v5
	v_mul_f32_e32 v8, 0x3fb8aa3b, v8
	s_delay_alu instid0(VALU_DEP_1)
	v_exp_f32_e32 v8, v8
	ds_store_b32 v6, v8
	v_nop
	v_add_f32_e32 v4, v4, v8
	v_add_nc_u32_e32 v6, 0x200, v6
	s_and_not1_b32 exec_lo, exec_lo, s9
	s_cbranch_execnz .LBB228_1038
; %bb.1039:
	s_or_b32 exec_lo, exec_lo, s9
	scratch_load_b32 v6, off, s32 offset:1488 ; 4-byte Folded Reload
.LBB228_1040:
	s_wait_xcnt 0x0
	s_or_b32 exec_lo, exec_lo, s8
	ds_bpermute_b32 v0, v0, v4
	s_wait_dscnt 0x0
	v_add_f32_e32 v0, v4, v0
	ds_bpermute_b32 v1, v1, v0
	s_wait_dscnt 0x0
	v_add_f32_e32 v0, v0, v1
	;; [unrolled: 3-line block ×5, first 2 shown]
	s_and_saveexec_b32 s3, vcc_lo
; %bb.1041:
	ds_store_b32 v3, v0 offset:528
; %bb.1042:
	s_or_b32 exec_lo, exec_lo, s3
	s_wait_loadcnt_dscnt 0x0
	s_barrier_signal -1
	s_barrier_wait -1
	s_and_saveexec_b32 s3, s1
	s_cbranch_execz .LBB228_1044
; %bb.1043:
	scratch_load_b32 v0, off, s32 offset:1508 th:TH_LOAD_LU ; 4-byte Folded Reload
	s_wait_loadcnt 0x0
	ds_load_b32 v0, v0 offset:528
.LBB228_1044:
	s_or_b32 exec_lo, exec_lo, s3
	s_wait_dscnt 0x0
	ds_bpermute_b32 v1, v100, v0
	s_wait_dscnt 0x0
	v_add_f32_e32 v0, v0, v1
	ds_bpermute_b32 v1, v49, v0
	s_wait_dscnt 0x0
	v_dual_add_f32 v0, v0, v1 :: v_dual_mov_b32 v1, 0
	ds_bpermute_b32 v0, v1, v0
	s_and_saveexec_b32 s1, s2
	s_cbranch_execz .LBB228_1057
; %bb.1045:
	s_wait_dscnt 0x0
	v_add_f32_e32 v0, 0x358637bd, v0
	s_mov_b32 s3, -1
	s_mov_b32 s2, exec_lo
	s_delay_alu instid0(VALU_DEP_1) | instskip(SKIP_1) | instid1(VALU_DEP_2)
	v_div_scale_f32 v1, null, v0, v0, 1.0
	v_div_scale_f32 v5, vcc_lo, 1.0, v0, 1.0
	v_rcp_f32_e32 v4, v1
	v_nop
	s_delay_alu instid0(TRANS32_DEP_1) | instskip(NEXT) | instid1(VALU_DEP_1)
	v_fma_f32 v3, -v1, v4, 1.0
	v_fmac_f32_e32 v4, v3, v4
	s_delay_alu instid0(VALU_DEP_1) | instskip(NEXT) | instid1(VALU_DEP_1)
	v_mul_f32_e32 v6, v5, v4
	v_fma_f32 v3, -v1, v6, v5
	s_delay_alu instid0(VALU_DEP_1) | instskip(SKIP_2) | instid1(VALU_DEP_1)
	v_fmac_f32_e32 v6, v3, v4
	scratch_load_b32 v3, off, s32 offset:1488 ; 4-byte Folded Reload
	v_fma_f32 v1, -v1, v6, v5
	v_div_fmas_f32 v1, v1, v4, v6
	scratch_load_b32 v6, off, s32 offset:1488 ; 4-byte Folded Reload
	v_div_fixup_f32 v0, v1, v0, 1.0
	s_wait_loadcnt 0x1
	v_xad_u32 v3, v3, -1, v2
	s_wait_loadcnt 0x0
	v_mov_b32_e32 v1, v6
	s_delay_alu instid0(VALU_DEP_2)
	v_cmpx_lt_u32_e32 0x7f, v3
	s_cbranch_execz .LBB228_1054
; %bb.1046:
	v_dual_lshrrev_b32 v3, 7, v3 :: v_dual_mov_b32 v1, v0
	s_delay_alu instid0(VALU_DEP_1) | instskip(NEXT) | instid1(VALU_DEP_1)
	v_dual_mov_b32 v7, 0 :: v_dual_add_nc_u32 v4, -1, v3
	v_lshrrev_b32_e32 v5, 1, v4
	v_cmp_lt_u32_e32 vcc_lo, 13, v4
	s_delay_alu instid0(VALU_DEP_2)
	v_add_nc_u32_e32 v4, 1, v5
	s_and_saveexec_b32 s3, vcc_lo
	s_cbranch_execz .LBB228_1050
; %bb.1047:
	s_ashr_i32 s11, s10, 31
	s_delay_alu instid0(VALU_DEP_1) | instskip(SKIP_1) | instid1(SALU_CYCLE_1)
	v_and_b32_e32 v5, -8, v4
	s_lshl_b64 s[8:9], s[10:11], 2
	s_add_nc_u64 s[8:9], s[6:7], s[8:9]
	s_load_b32 s8, s[8:9], 0x0
	s_wait_xcnt 0x0
	s_mov_b32 s9, 0
	s_wait_kmcnt 0x0
	v_lshl_add_u32 v6, v6, 2, s8
	s_mov_b32 s8, 0
.LBB228_1048:                           ; =>This Inner Loop Header: Depth=1
	ds_load_2addr_stride64_b32 v[8:9], v6 offset1:2
	ds_load_2addr_stride64_b32 v[10:11], v6 offset0:4 offset1:6
	ds_load_2addr_stride64_b32 v[12:13], v6 offset0:8 offset1:10
	;; [unrolled: 1-line block ×7, first 2 shown]
	s_add_co_i32 s9, s9, 16
	s_delay_alu instid0(SALU_CYCLE_1) | instskip(NEXT) | instid1(VALU_DEP_1)
	v_dual_add_nc_u32 v5, -8, v5 :: v_dual_mov_b32 v7, s9
	v_cmp_eq_u32_e32 vcc_lo, 0, v5
	s_or_b32 s8, vcc_lo, s8
	s_wait_dscnt 0x7
	v_pk_mul_f32 v[8:9], v[0:1], v[8:9]
	s_wait_dscnt 0x6
	v_pk_mul_f32 v[10:11], v[0:1], v[10:11]
	;; [unrolled: 2-line block ×8, first 2 shown]
	ds_store_2addr_stride64_b32 v6, v8, v9 offset1:2
	ds_store_2addr_stride64_b32 v6, v10, v11 offset0:4 offset1:6
	ds_store_2addr_stride64_b32 v6, v12, v13 offset0:8 offset1:10
	;; [unrolled: 1-line block ×7, first 2 shown]
	v_add_nc_u32_e32 v6, 0x2000, v6
	s_and_not1_b32 exec_lo, exec_lo, s8
	s_cbranch_execnz .LBB228_1048
; %bb.1049:
	s_or_b32 exec_lo, exec_lo, s8
.LBB228_1050:
	s_delay_alu instid0(SALU_CYCLE_1) | instskip(NEXT) | instid1(VALU_DEP_1)
	s_or_b32 exec_lo, exec_lo, s3
	v_and_b32_e32 v4, 7, v4
	s_mov_b32 s8, 0
	s_mov_b32 s3, exec_lo
	s_delay_alu instid0(VALU_DEP_1)
	v_cmpx_ne_u32_e32 0, v4
	s_cbranch_execz .LBB228_1053
; %bb.1051:
	scratch_load_b32 v6, off, s32 offset:1488 ; 4-byte Folded Reload
	s_ashr_i32 s11, s10, 31
	v_lshlrev_b32_e32 v5, 9, v7
	s_lshl_b64 s[16:17], s[10:11], 2
	s_delay_alu instid0(SALU_CYCLE_1) | instskip(SKIP_4) | instid1(VALU_DEP_1)
	s_add_nc_u64 s[16:17], s[6:7], s[16:17]
	s_load_b32 s9, s[16:17], 0x0
	s_wait_loadcnt 0x0
	v_lshlrev_b32_e32 v6, 2, v6
	s_wait_kmcnt 0x0
	v_add3_u32 v5, v5, v6, s9
.LBB228_1052:                           ; =>This Inner Loop Header: Depth=1
	ds_load_2addr_stride64_b32 v[6:7], v5 offset1:2
	v_add_nc_u32_e32 v4, -1, v4
	s_delay_alu instid0(VALU_DEP_1)
	v_cmp_eq_u32_e32 vcc_lo, 0, v4
	s_or_b32 s8, vcc_lo, s8
	s_wait_dscnt 0x0
	v_pk_mul_f32 v[6:7], v[0:1], v[6:7]
	ds_store_2addr_stride64_b32 v5, v6, v7 offset1:2
	v_add_nc_u32_e32 v5, 0x400, v5
	s_and_not1_b32 exec_lo, exec_lo, s8
	s_cbranch_execnz .LBB228_1052
.LBB228_1053:
	s_or_b32 exec_lo, exec_lo, s3
	scratch_load_b32 v6, off, s32 offset:1488 ; 4-byte Folded Reload
	v_add_nc_u32_e32 v1, 1, v3
	s_delay_alu instid0(VALU_DEP_1) | instskip(NEXT) | instid1(VALU_DEP_1)
	v_and_b32_e32 v3, 0x3fffffe, v1
	v_cmp_ne_u32_e32 vcc_lo, v1, v3
	s_or_not1_b32 s3, vcc_lo, exec_lo
	s_wait_loadcnt 0x0
	v_lshl_add_u32 v1, v3, 7, v6
.LBB228_1054:
	s_or_b32 exec_lo, exec_lo, s2
	s_delay_alu instid0(SALU_CYCLE_1)
	s_and_b32 exec_lo, exec_lo, s3
	s_cbranch_execz .LBB228_1057
; %bb.1055:
	s_ashr_i32 s11, s10, 31
	s_delay_alu instid0(SALU_CYCLE_1) | instskip(NEXT) | instid1(SALU_CYCLE_1)
	s_lshl_b64 s[2:3], s[10:11], 2
	s_add_nc_u64 s[2:3], s[6:7], s[2:3]
	s_load_b32 s2, s[2:3], 0x0
	s_wait_kmcnt 0x0
	v_lshl_add_u32 v3, v1, 2, s2
	s_mov_b32 s2, 0
.LBB228_1056:                           ; =>This Inner Loop Header: Depth=1
	ds_load_b32 v4, v3
	s_wait_dscnt 0x0
	v_dual_mul_f32 v4, v0, v4 :: v_dual_add_nc_u32 v1, 0x80, v1
	s_delay_alu instid0(VALU_DEP_1) | instskip(SKIP_3) | instid1(SALU_CYCLE_1)
	v_cmp_ge_i32_e32 vcc_lo, v1, v2
	ds_store_b32 v3, v4
	v_add_nc_u32_e32 v3, 0x200, v3
	s_or_b32 s2, vcc_lo, s2
	s_and_not1_b32 exec_lo, exec_lo, s2
	s_cbranch_execnz .LBB228_1056
.LBB228_1057:
	s_or_b32 exec_lo, exec_lo, s1
	s_wait_dscnt 0x0
	s_barrier_signal -1
	s_barrier_wait -1
	s_and_saveexec_b32 s1, s0
	s_delay_alu instid0(SALU_CYCLE_1)
	s_xor_b32 s0, exec_lo, s1
	s_cbranch_execz .LBB228_1059
; %bb.1058:
	s_ashr_i32 s11, s10, 31
                                        ; implicit-def: $vgpr0
	s_clause 0x2
	scratch_store_b64 off, v[0:1], s32 offset:200
	; meta instruction
	; meta instruction
	;; [unrolled: 1-line block ×3, first 2 shown]
	scratch_store_b64 off, v[0:1], s32 offset:788
	; meta instruction
	; meta instruction
	;; [unrolled: 1-line block ×9, first 2 shown]
	scratch_store_b64 off, v[0:1], s32 offset:1500
                                        ; implicit-def: $vgpr0
                                        ; kill: killed $vgpr0
.LBB228_1059:
	s_wait_xcnt 0x0
	s_or_saveexec_b32 s1, s0
	v_mov_b64_e32 v[0:1], s[10:11]
	v_dual_mov_b32 v7, 0 :: v_dual_bitop2_b32 v56, 7, v6 bitop3:0x40
	v_dual_mov_b32 v6, 0 :: v_dual_mov_b32 v9, 0
	v_dual_mov_b32 v8, 0 :: v_dual_mov_b32 v13, 0
	;; [unrolled: 1-line block ×15, first 2 shown]
	v_mov_b32_e32 v38, 0
	s_xor_b32 exec_lo, exec_lo, s1
	s_cbranch_execz .LBB228_2151
; %bb.1060:
	s_clause 0x3
	scratch_store_b32 off, v85, s32 offset:476
	scratch_store_b32 off, v100, s32 offset:468
	;; [unrolled: 1-line block ×3, first 2 shown]
	scratch_load_b64 v[0:1], off, s32 offset:1540 th:TH_LOAD_LU
	s_ashr_i32 s11, s10, 31
	v_dual_mov_b32 v7, 0 :: v_dual_mov_b32 v6, 0
	s_lshl_b64 s[2:3], s[10:11], 2
	v_dual_mov_b32 v9, 0 :: v_dual_mov_b32 v8, 0
	s_add_nc_u64 s[2:3], s[6:7], s[2:3]
	v_dual_mov_b32 v13, 0 :: v_dual_mov_b32 v12, 0
	v_dual_mov_b32 v15, 0 :: v_dual_mov_b32 v14, 0
	;; [unrolled: 1-line block ×14, first 2 shown]
	s_wait_loadcnt 0x0
	flat_load_b32 v48, v[0:1]
	scratch_load_b32 v0, off, s32 offset:1488 ; 4-byte Folded Reload
	v_dual_mov_b32 v75, 0 :: v_dual_lshlrev_b32 v3, 4, v56
	s_wait_loadcnt_dscnt 0x100
	s_delay_alu instid0(VALU_DEP_1)
	v_dual_mov_b32 v11, v75 :: v_dual_mov_b32 v49, v48
	s_wait_loadcnt 0x0
	v_lshlrev_b32_e32 v2, 2, v0
	s_clause 0x2
	scratch_load_b64 v[0:1], off, s32 offset:1548 th:TH_LOAD_LU
	scratch_load_b64 v[4:5], off, s32 offset:1500 th:TH_LOAD_LU
	scratch_load_b32 v91, off, s32 offset:1496
	s_load_b32 s0, s[2:3], 0x0
	s_wait_xcnt 0x0
	s_mov_b32 s2, 0
	v_and_b32_e32 v10, 0x7c, v2
	scratch_store_b64 off, v[10:11], s32 offset:436 ; 8-byte Folded Spill
	s_wait_xcnt 0x0
	v_or_b32_e32 v10, 0xf80, v2
	s_clause 0x1
	scratch_store_b64 off, v[10:11], s32 offset:444
	scratch_load_b64 v[10:11], off, s32 offset:1512 th:TH_LOAD_LU
	s_wait_loadcnt 0x2
	v_add_nc_u64_e32 v[0:1], v[0:1], v[4:5]
	v_and_b32_e32 v4, 28, v2
	s_wait_loadcnt 0x1
	v_lshl_or_b32 v3, v91, 7, v3
	s_clause 0x2
	scratch_store_b64 off, v[0:1], s32 offset:428
	scratch_store_b32 off, v56, s32 offset:484
	scratch_load_b64 v[0:1], off, s32 offset:200
	s_wait_loadcnt 0x0
	s_wait_kmcnt 0x0
	v_dual_mov_b32 v1, v0 :: v_dual_add_nc_u32 v90, s0, v3
	s_clause 0x1
	scratch_store_b64 off, v[0:1], s32 offset:452
	scratch_load_b32 v0, off, s32 offset:1528 th:TH_LOAD_LU
	s_wait_loadcnt 0x0
	v_and_b32_e32 v74, 0x7c, v0
	scratch_load_b64 v[0:1], off, s32 offset:1520 th:TH_LOAD_LU ; 8-byte Folded Reload
	s_wait_loadcnt 0x0
	v_lshl_add_u64 v[0:1], v[0:1], 2, v[74:75]
	s_delay_alu instid0(VALU_DEP_1)
	v_add_nc_u64_e32 v[0:1], v[10:11], v[0:1]
	v_lshl_or_b32 v11, v91, 5, v4
	s_branch .LBB228_1062
.LBB228_1061:                           ;   in Loop: Header=BB228_1062 Depth=1
	s_wait_xcnt 0x0
	s_or_b32 exec_lo, exec_lo, s3
	v_mul_f32_e32 v52, v3, v67
	v_mul_f32_e32 v10, v3, v59
	v_add_nc_u32_e32 v11, 0x80, v11
	v_mul_f32_e32 v53, v3, v47
	s_delay_alu instid0(VALU_DEP_4) | instskip(NEXT) | instid1(VALU_DEP_4)
	v_dual_mul_f32 v67, v3, v119 :: v_dual_fmac_f32 v52, v2, v66
	v_dual_fmac_f32 v10, v2, v58 :: v_dual_mul_f32 v66, v3, v43
	s_delay_alu instid0(VALU_DEP_3) | instskip(NEXT) | instid1(VALU_DEP_3)
	v_fmac_f32_e32 v53, v2, v46
	v_dual_fmac_f32 v67, v2, v118 :: v_dual_fmac_f32 v52, v4, v56
	s_delay_alu instid0(VALU_DEP_3) | instskip(NEXT) | instid1(VALU_DEP_3)
	v_fmac_f32_e32 v10, v4, v96
	v_dual_fmac_f32 v66, v2, v42 :: v_dual_fmac_f32 v53, v4, v44
	s_delay_alu instid0(VALU_DEP_3) | instskip(NEXT) | instid1(VALU_DEP_3)
	v_dual_mul_f32 v96, v3, v115 :: v_dual_fmac_f32 v67, v4, v116
	v_fmac_f32_e32 v10, v5, v97
	s_delay_alu instid0(VALU_DEP_3) | instskip(NEXT) | instid1(VALU_DEP_3)
	v_dual_fmac_f32 v52, v5, v57 :: v_dual_fmac_f32 v66, v4, v40
	v_dual_fmac_f32 v53, v5, v45 :: v_dual_fmac_f32 v96, v2, v114
	s_delay_alu instid0(VALU_DEP_4) | instskip(NEXT) | instid1(VALU_DEP_3)
	v_dual_fmac_f32 v67, v5, v117 :: v_dual_mul_f32 v97, v3, v103
	v_dual_fmac_f32 v66, v5, v41 :: v_dual_add_f32 v6, v6, v10
	s_delay_alu instid0(VALU_DEP_4) | instskip(NEXT) | instid1(VALU_DEP_4)
	v_add_f32_e32 v9, v9, v52
	v_fmac_f32_e32 v96, v4, v112
	s_delay_alu instid0(VALU_DEP_3) | instskip(SKIP_1) | instid1(VALU_DEP_3)
	v_dual_add_f32 v8, v8, v53 :: v_dual_add_f32 v13, v13, v66
	v_dual_fmac_f32 v97, v2, v102 :: v_dual_mul_f32 v99, v3, v99
	v_dual_fmac_f32 v96, v5, v113 :: v_dual_add_f32 v12, v12, v67
	scratch_load_b64 v[66:67], off, s32 offset:404 th:TH_LOAD_LU ; 8-byte Folded Reload
	v_dual_fmac_f32 v97, v4, v100 :: v_dual_fmac_f32 v99, v2, v98
	v_add_f32_e32 v15, v15, v96
	v_mul_f32_e32 v85, v3, v85
	v_mul_f32_e32 v1, v3, v1
	s_delay_alu instid0(VALU_DEP_4) | instskip(NEXT) | instid1(VALU_DEP_3)
	v_dual_fmac_f32 v97, v5, v101 :: v_dual_fmac_f32 v99, v4, v86
	v_dual_mul_f32 v51, v3, v51 :: v_dual_fmac_f32 v85, v2, v84
	s_delay_alu instid0(VALU_DEP_3) | instskip(NEXT) | instid1(VALU_DEP_3)
	v_dual_mul_f32 v71, v3, v71 :: v_dual_fmac_f32 v1, v2, v0
	v_dual_fmac_f32 v99, v5, v87 :: v_dual_mul_f32 v0, v3, v65
	s_delay_alu instid0(VALU_DEP_2) | instskip(NEXT) | instid1(VALU_DEP_3)
	v_dual_fmac_f32 v85, v4, v80 :: v_dual_fmac_f32 v71, v2, v70
	v_dual_fmac_f32 v1, v4, v82 :: v_dual_add_f32 v14, v14, v97
	s_delay_alu instid0(VALU_DEP_3) | instskip(NEXT) | instid1(VALU_DEP_3)
	v_add_f32_e32 v17, v17, v99
	v_dual_fmac_f32 v85, v5, v81 :: v_dual_fmac_f32 v71, v4, v68
	s_delay_alu instid0(VALU_DEP_3)
	v_dual_fmac_f32 v0, v2, v64 :: v_dual_fmac_f32 v1, v5, v83
	scratch_load_b64 v[64:65], off, s32 offset:388 th:TH_LOAD_LU ; 8-byte Folded Reload
	v_fmac_f32_e32 v51, v2, v50
	v_dual_fmac_f32 v71, v5, v69 :: v_dual_fmac_f32 v0, v4, v54
	v_mul_f32_e32 v10, v3, v125
	scratch_load_b64 v[68:69], off, s32 offset:412 th:TH_LOAD_LU ; 8-byte Folded Reload
	v_dual_add_f32 v16, v16, v85 :: v_dual_add_f32 v19, v19, v71
	v_fmac_f32_e32 v0, v5, v55
	scratch_load_b64 v[54:55], off, s32 offset:380 th:TH_LOAD_LU ; 8-byte Folded Reload
	v_add_f32_e32 v18, v18, v1
	v_dual_mul_f32 v1, v3, v121 :: v_dual_fmac_f32 v51, v4, v126
	v_dual_fmac_f32 v10, v2, v124 :: v_dual_mul_f32 v50, v3, v109
	v_add_f32_e32 v21, v21, v0
	s_delay_alu instid0(VALU_DEP_3) | instskip(NEXT) | instid1(VALU_DEP_3)
	v_dual_fmac_f32 v1, v2, v120 :: v_dual_mul_f32 v52, v3, v105
	v_dual_fmac_f32 v50, v2, v108 :: v_dual_add_nc_u32 v91, 4, v91
	s_delay_alu instid0(VALU_DEP_2) | instskip(NEXT) | instid1(VALU_DEP_3)
	v_dual_fmac_f32 v51, v5, v127 :: v_dual_fmac_f32 v1, v4, v110
	v_dual_fmac_f32 v52, v2, v104 :: v_dual_fmac_f32 v10, v4, v122
	s_delay_alu instid0(VALU_DEP_3) | instskip(NEXT) | instid1(VALU_DEP_3)
	v_fmac_f32_e32 v50, v4, v106
	v_dual_fmac_f32 v1, v5, v111 :: v_dual_add_nc_u32 v90, 0x200, v90
	s_delay_alu instid0(VALU_DEP_3) | instskip(SKIP_1) | instid1(VALU_DEP_4)
	v_fmac_f32_e32 v10, v5, v123
	v_dual_add_f32 v20, v20, v51 :: v_dual_mul_f32 v51, v3, v93
	v_dual_fmac_f32 v52, v4, v94 :: v_dual_fmac_f32 v50, v5, v107
	s_delay_alu instid0(VALU_DEP_4) | instskip(SKIP_3) | instid1(VALU_DEP_2)
	v_add_f32_e32 v22, v22, v1
	scratch_load_b64 v[0:1], off, s32 offset:364 th:TH_LOAD_LU ; 8-byte Folded Reload
	v_dual_fmac_f32 v51, v2, v92 :: v_dual_fmac_f32 v52, v5, v95
	v_add_f32_e32 v25, v25, v50
	v_dual_add_f32 v23, v23, v10 :: v_dual_add_f32 v24, v24, v52
	s_wait_loadcnt 0x3
	v_dual_mul_f32 v10, v3, v67 :: v_dual_mul_f32 v50, v3, v65
	s_wait_loadcnt 0x1
	s_delay_alu instid0(VALU_DEP_1)
	v_dual_mul_f32 v52, v3, v55 :: v_dual_fmac_f32 v50, v2, v64
	scratch_load_b64 v[64:65], off, s32 offset:356 th:TH_LOAD_LU ; 8-byte Folded Reload
	v_dual_fmac_f32 v51, v4, v68 :: v_dual_fmac_f32 v52, v2, v54
	scratch_load_b64 v[54:55], off, s32 offset:372 th:TH_LOAD_LU ; 8-byte Folded Reload
	s_wait_loadcnt 0x2
	v_dual_mul_f32 v53, v3, v1 :: v_dual_fmac_f32 v10, v2, v66
	v_fmac_f32_e32 v51, v5, v69
	s_clause 0x1
	scratch_load_b64 v[66:67], off, s32 offset:396 th:TH_LOAD_LU
	scratch_load_b64 v[68:69], off, s32 offset:340 th:TH_LOAD_LU
	v_fmac_f32_e32 v53, v2, v0
	scratch_load_b64 v[0:1], off, s32 offset:192 th:TH_LOAD_LU ; 8-byte Folded Reload
	s_wait_loadcnt 0x4
	v_dual_add_f32 v27, v27, v51 :: v_dual_fmac_f32 v53, v4, v64
	s_wait_loadcnt 0x3
	s_delay_alu instid0(VALU_DEP_1)
	v_dual_fmac_f32 v52, v4, v54 :: v_dual_fmac_f32 v53, v5, v65
	scratch_load_b64 v[64:65], off, s32 offset:316 th:TH_LOAD_LU ; 8-byte Folded Reload
	v_fmac_f32_e32 v52, v5, v55
	scratch_load_b64 v[54:55], off, s32 offset:348 th:TH_LOAD_LU ; 8-byte Folded Reload
	s_wait_loadcnt 0x4
	v_fmac_f32_e32 v10, v4, v66
	s_delay_alu instid0(VALU_DEP_1)
	v_fmac_f32_e32 v10, v5, v67
	scratch_load_b64 v[66:67], off, s32 offset:332 th:TH_LOAD_LU ; 8-byte Folded Reload
	v_dual_add_f32 v26, v26, v10 :: v_dual_add_f32 v28, v28, v52
	v_add_f32_e32 v31, v31, v53
	scratch_load_b64 v[52:53], off, s32 offset:284 th:TH_LOAD_LU ; 8-byte Folded Reload
	s_wait_loadcnt 0x3
	v_mul_f32_e32 v10, v3, v65
	s_delay_alu instid0(VALU_DEP_1) | instskip(SKIP_3) | instid1(VALU_DEP_1)
	v_fmac_f32_e32 v10, v2, v64
	scratch_load_b64 v[64:65], off, s32 offset:308 th:TH_LOAD_LU ; 8-byte Folded Reload
	s_wait_loadcnt 0x1
	v_mul_f32_e32 v51, v3, v53
	v_fmac_f32_e32 v51, v2, v52
	scratch_load_b64 v[52:53], off, s32 offset:276 th:TH_LOAD_LU ; 8-byte Folded Reload
	s_wait_loadcnt 0x1
	v_fmac_f32_e32 v10, v4, v64
	s_delay_alu instid0(VALU_DEP_1) | instskip(SKIP_2) | instid1(VALU_DEP_1)
	v_fmac_f32_e32 v10, v5, v65
	scratch_load_b64 v[64:65], off, s32 offset:236 th:TH_LOAD_LU ; 8-byte Folded Reload
	v_dual_fmac_f32 v50, v4, v0 :: v_dual_mul_f32 v0, v3, v55
	v_dual_fmac_f32 v50, v5, v1 :: v_dual_fmac_f32 v0, v2, v54
	scratch_load_b64 v[54:55], off, s32 offset:300 th:TH_LOAD_LU ; 8-byte Folded Reload
	v_dual_mul_f32 v1, v3, v67 :: v_dual_add_f32 v29, v29, v50
	s_delay_alu instid0(VALU_DEP_1)
	v_dual_fmac_f32 v0, v4, v68 :: v_dual_fmac_f32 v1, v2, v66
	scratch_load_b64 v[66:67], off, s32 offset:324 th:TH_LOAD_LU ; 8-byte Folded Reload
	v_fmac_f32_e32 v0, v5, v69
	scratch_load_b64 v[68:69], off, s32 offset:260 th:TH_LOAD_LU ; 8-byte Folded Reload
	s_wait_loadcnt 0x2
	v_dual_add_f32 v30, v30, v0 :: v_dual_mul_f32 v50, v3, v55
	s_delay_alu instid0(VALU_DEP_1) | instskip(SKIP_3) | instid1(VALU_DEP_1)
	v_fmac_f32_e32 v50, v2, v54
	scratch_load_b64 v[54:55], off, s32 offset:292 th:TH_LOAD_LU ; 8-byte Folded Reload
	s_wait_loadcnt 0x2
	v_dual_fmac_f32 v1, v4, v66 :: v_dual_fmac_f32 v51, v4, v52
	v_fmac_f32_e32 v1, v5, v67
	scratch_load_b64 v[66:67], off, s32 offset:252 th:TH_LOAD_LU ; 8-byte Folded Reload
	v_fmac_f32_e32 v51, v5, v53
	s_wait_loadcnt 0x1
	s_delay_alu instid0(VALU_DEP_1) | instskip(NEXT) | instid1(VALU_DEP_1)
	v_dual_add_f32 v34, v34, v51 :: v_dual_fmac_f32 v50, v4, v54
	v_fmac_f32_e32 v50, v5, v55
	scratch_load_b64 v[54:55], off, s32 offset:268 th:TH_LOAD_LU ; 8-byte Folded Reload
	v_add_f32_e32 v35, v35, v50
	v_mul_f32_e32 v50, v3, v65
	s_delay_alu instid0(VALU_DEP_1)
	v_fmac_f32_e32 v50, v2, v64
	scratch_load_b64 v[64:65], off, s32 offset:228 th:TH_LOAD_LU ; 8-byte Folded Reload
	s_wait_loadcnt 0x1
	v_dual_mul_f32 v52, v3, v55 :: v_dual_add_f32 v33, v33, v1
	v_dual_add_f32 v32, v32, v10 :: v_dual_mul_f32 v10, v3, v67
	v_pk_mul_f32 v[0:1], v[2:3], v[62:63]
	s_delay_alu instid0(VALU_DEP_3)
	v_fmac_f32_e32 v52, v2, v54
	scratch_load_b64 v[54:55], off, s32 offset:220 th:TH_LOAD_LU ; 8-byte Folded Reload
	v_dual_fmac_f32 v10, v2, v66 :: v_dual_add_f32 v0, v0, v1
	scratch_load_b64 v[66:67], off, s32 offset:244 th:TH_LOAD_LU ; 8-byte Folded Reload
	s_wait_loadcnt 0x1
	v_dual_mul_f32 v51, v3, v55 :: v_dual_fmac_f32 v52, v4, v68
	s_delay_alu instid0(VALU_DEP_1)
	v_fmac_f32_e32 v51, v2, v54
	v_pk_mul_f32 v[2:3], v[4:5], v[60:61]
	s_wait_loadcnt 0x0
	v_fmac_f32_e32 v10, v4, v66
	scratch_load_b64 v[54:55], off, s32 offset:212 th:TH_LOAD_LU ; 8-byte Folded Reload
	v_dual_fmac_f32 v52, v5, v69 :: v_dual_add_f32 v0, v2, v0
	v_fmac_f32_e32 v10, v5, v67
	s_delay_alu instid0(VALU_DEP_2) | instskip(NEXT) | instid1(VALU_DEP_3)
	v_add_f32_e32 v37, v37, v52
	v_add_f32_e32 v0, v3, v0
	s_delay_alu instid0(VALU_DEP_1) | instskip(SKIP_3) | instid1(VALU_DEP_1)
	v_add_f32_e32 v7, v7, v0
	scratch_load_b32 v0, off, s32 offset:208 ; 4-byte Folded Reload
	s_wait_loadcnt 0x1
	v_dual_fmac_f32 v50, v4, v64 :: v_dual_fmac_f32 v51, v4, v54
	v_dual_fmac_f32 v50, v5, v65 :: v_dual_fmac_f32 v51, v5, v55
	v_add_f32_e32 v36, v36, v10
	s_delay_alu instid0(VALU_DEP_2)
	v_dual_add_f32 v39, v39, v50 :: v_dual_add_f32 v38, v38, v51
	s_wait_loadcnt 0x0
	v_cmp_ge_i32_e32 vcc_lo, v91, v0
	scratch_load_b64 v[0:1], off, s32 offset:420 th:TH_LOAD_LU ; 8-byte Folded Reload
	s_or_b32 s2, vcc_lo, s2
	s_wait_loadcnt 0x0
	v_add_nc_u64_e32 v[0:1], 16, v[0:1]
	s_wait_xcnt 0x0
	s_and_not1_b32 exec_lo, exec_lo, s2
	s_cbranch_execz .LBB228_2150
.LBB228_1062:                           ; =>This Inner Loop Header: Depth=1
	scratch_store_b64 off, v[0:1], s32 offset:420 ; 8-byte Folded Spill
	flat_load_b32 v0, v[0:1]
	s_clause 0x1
	scratch_load_b64 v[2:3], off, s32 offset:788
	scratch_load_b64 v[4:5], off, s32 offset:428
	v_mov_b64_e32 v[50:51], 0
	s_mov_b32 s0, exec_lo
	s_wait_loadcnt_dscnt 0x0
	v_mad_nc_i64_i32 v[2:3], v0, v2, v[4:5]
	scratch_load_b64 v[0:1], off, s32 offset:436 ; 8-byte Folded Reload
	v_mov_b64_e32 v[88:89], v[2:3]
	s_wait_loadcnt 0x0
	v_add_nc_u64_e32 v[96:97], v[2:3], v[0:1]
	ds_load_b128 v[2:5], v90
	v_mov_b64_e32 v[0:1], 0
	flat_load_b32 v52, v[96:97]
	s_wait_loadcnt_dscnt 0x0
	v_and_b32_e32 v53, 0xff, v52
	s_wait_xcnt 0x0
	s_delay_alu instid0(VALU_DEP_1)
	v_cmpx_ne_u16_e32 0, v53
	s_cbranch_execz .LBB228_1070
; %bb.1063:                             ;   in Loop: Header=BB228_1062 Depth=1
	v_mov_b64_e32 v[50:51], 0x80000000
	s_mov_b32 s3, exec_lo
	v_cmpx_ne_u16_e32 0x80, v53
	s_cbranch_execz .LBB228_1069
; %bb.1064:                             ;   in Loop: Header=BB228_1062 Depth=1
	v_mov_b64_e32 v[50:51], 0x7f800001
	v_and_b32_e32 v53, 0x7f, v52
	s_mov_b32 s8, exec_lo
	s_delay_alu instid0(VALU_DEP_1)
	v_cmpx_ne_u32_e32 0x7f, v53
	s_cbranch_execz .LBB228_1068
; %bb.1065:                             ;   in Loop: Header=BB228_1062 Depth=1
	v_dual_lshrrev_b32 v50, 3, v53 :: v_dual_bitop2_b32 v74, 7, v52 bitop3:0x40
	s_mov_b32 s9, exec_lo
	v_cmpx_gt_u32_e32 8, v53
; %bb.1066:                             ;   in Loop: Header=BB228_1062 Depth=1
	s_delay_alu instid0(VALU_DEP_2) | instskip(NEXT) | instid1(VALU_DEP_1)
	v_clz_i32_u32_e32 v10, v74
	v_min_u32_e32 v10, 32, v10
	s_delay_alu instid0(VALU_DEP_1) | instskip(NEXT) | instid1(VALU_DEP_1)
	v_subrev_nc_u32_e32 v50, 28, v10
	v_lshlrev_b64_e32 v[54:55], v50, v[74:75]
	v_sub_nc_u32_e32 v50, 29, v10
	s_delay_alu instid0(VALU_DEP_2)
	v_and_b32_e32 v74, 7, v54
; %bb.1067:                             ;   in Loop: Header=BB228_1062 Depth=1
	s_or_b32 exec_lo, exec_lo, s9
	s_delay_alu instid0(VALU_DEP_1) | instskip(NEXT) | instid1(VALU_DEP_3)
	v_dual_lshlrev_b32 v10, 24, v52 :: v_dual_lshlrev_b32 v51, 20, v74
	v_lshl_add_u32 v50, v50, 23, 0x3c000000
	s_delay_alu instid0(VALU_DEP_2) | instskip(NEXT) | instid1(VALU_DEP_1)
	v_and_b32_e32 v10, 0x80000000, v10
	v_or3_b32 v74, v51, v10, v50
	s_delay_alu instid0(VALU_DEP_1)
	v_mov_b64_e32 v[50:51], v[74:75]
.LBB228_1068:                           ;   in Loop: Header=BB228_1062 Depth=1
	s_or_b32 exec_lo, exec_lo, s8
.LBB228_1069:                           ;   in Loop: Header=BB228_1062 Depth=1
	s_delay_alu instid0(SALU_CYCLE_1)
	s_or_b32 exec_lo, exec_lo, s3
.LBB228_1070:                           ;   in Loop: Header=BB228_1062 Depth=1
	s_delay_alu instid0(SALU_CYCLE_1) | instskip(SKIP_2) | instid1(VALU_DEP_1)
	s_or_b32 exec_lo, exec_lo, s0
	v_lshrrev_b16 v53, 8, v52
	s_mov_b32 s0, exec_lo
	v_cmpx_ne_u16_e32 0, v53
	s_cbranch_execz .LBB228_1078
; %bb.1071:                             ;   in Loop: Header=BB228_1062 Depth=1
	v_mov_b64_e32 v[0:1], 0x8000000000000000
	s_mov_b32 s3, exec_lo
	v_cmpx_ne_u16_e32 0x80, v53
	s_cbranch_execz .LBB228_1077
; %bb.1072:                             ;   in Loop: Header=BB228_1062 Depth=1
	v_and_b32_e32 v54, 0xffff, v53
	v_mov_b64_e32 v[0:1], 0x7f80000100000000
	s_mov_b32 s8, exec_lo
	s_delay_alu instid0(VALU_DEP_2) | instskip(NEXT) | instid1(VALU_DEP_1)
	v_and_b32_e32 v53, 0x7f, v54
	v_cmpx_ne_u32_e32 0x7f, v53
	s_cbranch_execz .LBB228_1076
; %bb.1073:                             ;   in Loop: Header=BB228_1062 Depth=1
	v_dual_lshrrev_b32 v0, 3, v53 :: v_dual_bitop2_b32 v74, 7, v54 bitop3:0x40
	s_mov_b32 s9, exec_lo
	v_cmpx_gt_u32_e32 8, v53
; %bb.1074:                             ;   in Loop: Header=BB228_1062 Depth=1
	s_delay_alu instid0(VALU_DEP_2) | instskip(NEXT) | instid1(VALU_DEP_1)
	v_clz_i32_u32_e32 v0, v74
	v_min_u32_e32 v0, 32, v0
	s_delay_alu instid0(VALU_DEP_1) | instskip(NEXT) | instid1(VALU_DEP_1)
	v_subrev_nc_u32_e32 v1, 28, v0
	v_lshlrev_b64_e32 v[54:55], v1, v[74:75]
	s_delay_alu instid0(VALU_DEP_1)
	v_dual_sub_nc_u32 v0, 29, v0 :: v_dual_bitop2_b32 v74, 7, v54 bitop3:0x40
; %bb.1075:                             ;   in Loop: Header=BB228_1062 Depth=1
	s_or_b32 exec_lo, exec_lo, s9
	s_delay_alu instid0(VALU_DEP_1) | instskip(NEXT) | instid1(VALU_DEP_2)
	v_dual_lshlrev_b32 v1, 16, v52 :: v_dual_lshlrev_b32 v10, 20, v74
	v_lshl_add_u32 v0, v0, 23, 0x3c000000
	s_delay_alu instid0(VALU_DEP_2) | instskip(NEXT) | instid1(VALU_DEP_1)
	v_and_b32_e32 v1, 0x80000000, v1
	v_or3_b32 v1, v10, v1, v0
	v_mov_b32_e32 v0, v75
.LBB228_1076:                           ;   in Loop: Header=BB228_1062 Depth=1
	s_or_b32 exec_lo, exec_lo, s8
.LBB228_1077:                           ;   in Loop: Header=BB228_1062 Depth=1
	s_delay_alu instid0(SALU_CYCLE_1)
	s_or_b32 exec_lo, exec_lo, s3
.LBB228_1078:                           ;   in Loop: Header=BB228_1062 Depth=1
	s_delay_alu instid0(SALU_CYCLE_1) | instskip(SKIP_4) | instid1(VALU_DEP_3)
	s_or_b32 exec_lo, exec_lo, s0
	v_lshrrev_b32_e32 v53, 16, v52
	v_mov_b64_e32 v[54:55], 0
	v_mov_b64_e32 v[64:65], 0
	s_mov_b32 s0, exec_lo
	v_and_b32_e32 v66, 0xff, v53
	s_delay_alu instid0(VALU_DEP_1)
	v_cmpx_ne_u16_e32 0, v66
	s_cbranch_execz .LBB228_1086
; %bb.1079:                             ;   in Loop: Header=BB228_1062 Depth=1
	v_mov_b64_e32 v[64:65], 0x80000000
	s_mov_b32 s3, exec_lo
	v_cmpx_ne_u16_e32 0x80, v66
	s_cbranch_execz .LBB228_1085
; %bb.1080:                             ;   in Loop: Header=BB228_1062 Depth=1
	v_mov_b64_e32 v[64:65], 0x7f800001
	v_bfe_u32 v66, v52, 16, 7
	s_mov_b32 s8, exec_lo
	s_delay_alu instid0(VALU_DEP_1)
	v_cmpx_ne_u32_e32 0x7f, v66
	s_cbranch_execz .LBB228_1084
; %bb.1081:                             ;   in Loop: Header=BB228_1062 Depth=1
	v_dual_lshrrev_b32 v64, 3, v66 :: v_dual_bitop2_b32 v74, 7, v53 bitop3:0x40
	s_mov_b32 s9, exec_lo
	v_cmpx_gt_u32_e32 8, v66
; %bb.1082:                             ;   in Loop: Header=BB228_1062 Depth=1
	s_delay_alu instid0(VALU_DEP_2) | instskip(NEXT) | instid1(VALU_DEP_1)
	v_clz_i32_u32_e32 v10, v74
	v_min_u32_e32 v10, 32, v10
	s_delay_alu instid0(VALU_DEP_1) | instskip(NEXT) | instid1(VALU_DEP_1)
	v_subrev_nc_u32_e32 v64, 28, v10
	v_lshlrev_b64_e32 v[66:67], v64, v[74:75]
	v_sub_nc_u32_e32 v64, 29, v10
	s_delay_alu instid0(VALU_DEP_2)
	v_and_b32_e32 v74, 7, v66
; %bb.1083:                             ;   in Loop: Header=BB228_1062 Depth=1
	s_or_b32 exec_lo, exec_lo, s9
	s_delay_alu instid0(VALU_DEP_1) | instskip(NEXT) | instid1(VALU_DEP_3)
	v_dual_lshlrev_b32 v10, 24, v53 :: v_dual_lshlrev_b32 v53, 20, v74
	v_lshl_add_u32 v64, v64, 23, 0x3c000000
	s_delay_alu instid0(VALU_DEP_2) | instskip(NEXT) | instid1(VALU_DEP_1)
	v_and_b32_e32 v10, 0x80000000, v10
	v_or3_b32 v74, v53, v10, v64
	s_delay_alu instid0(VALU_DEP_1)
	v_mov_b64_e32 v[64:65], v[74:75]
.LBB228_1084:                           ;   in Loop: Header=BB228_1062 Depth=1
	s_or_b32 exec_lo, exec_lo, s8
.LBB228_1085:                           ;   in Loop: Header=BB228_1062 Depth=1
	s_delay_alu instid0(SALU_CYCLE_1)
	s_or_b32 exec_lo, exec_lo, s3
.LBB228_1086:                           ;   in Loop: Header=BB228_1062 Depth=1
	s_delay_alu instid0(SALU_CYCLE_1) | instskip(NEXT) | instid1(SALU_CYCLE_1)
	s_or_b32 exec_lo, exec_lo, s0
	s_mov_b32 s0, exec_lo
	v_cmpx_lt_u32_e32 0xffffff, v52
	s_cbranch_execz .LBB228_1094
; %bb.1087:                             ;   in Loop: Header=BB228_1062 Depth=1
	v_mov_b64_e32 v[54:55], 0x8000000000000000
	v_lshrrev_b32_e32 v53, 24, v52
	s_mov_b32 s3, exec_lo
	s_delay_alu instid0(VALU_DEP_1)
	v_cmpx_ne_u32_e32 0x80, v53
	s_cbranch_execz .LBB228_1093
; %bb.1088:                             ;   in Loop: Header=BB228_1062 Depth=1
	v_mov_b64_e32 v[54:55], 0x7f80000100000000
	v_bfe_u32 v66, v52, 24, 7
	s_mov_b32 s8, exec_lo
	s_delay_alu instid0(VALU_DEP_1)
	v_cmpx_ne_u32_e32 0x7f, v66
	s_cbranch_execz .LBB228_1092
; %bb.1089:                             ;   in Loop: Header=BB228_1062 Depth=1
	v_dual_lshrrev_b32 v52, 3, v66 :: v_dual_bitop2_b32 v74, 7, v53 bitop3:0x40
	s_mov_b32 s9, exec_lo
	v_cmpx_gt_u32_e32 8, v66
; %bb.1090:                             ;   in Loop: Header=BB228_1062 Depth=1
	s_delay_alu instid0(VALU_DEP_2) | instskip(NEXT) | instid1(VALU_DEP_1)
	v_clz_i32_u32_e32 v10, v74
	v_min_u32_e32 v10, 32, v10
	s_delay_alu instid0(VALU_DEP_1) | instskip(NEXT) | instid1(VALU_DEP_1)
	v_subrev_nc_u32_e32 v52, 28, v10
	v_lshlrev_b64_e32 v[54:55], v52, v[74:75]
	v_sub_nc_u32_e32 v52, 29, v10
	s_delay_alu instid0(VALU_DEP_2)
	v_and_b32_e32 v74, 7, v54
; %bb.1091:                             ;   in Loop: Header=BB228_1062 Depth=1
	s_or_b32 exec_lo, exec_lo, s9
	s_delay_alu instid0(VALU_DEP_1) | instskip(NEXT) | instid1(VALU_DEP_3)
	v_dual_lshlrev_b32 v10, 24, v53 :: v_dual_lshlrev_b32 v53, 20, v74
	v_lshl_add_u32 v52, v52, 23, 0x3c000000
	v_mov_b32_e32 v54, v75
	s_delay_alu instid0(VALU_DEP_3) | instskip(NEXT) | instid1(VALU_DEP_1)
	v_and_b32_e32 v10, 0x80000000, v10
	v_or3_b32 v55, v53, v10, v52
.LBB228_1092:                           ;   in Loop: Header=BB228_1062 Depth=1
	s_or_b32 exec_lo, exec_lo, s8
.LBB228_1093:                           ;   in Loop: Header=BB228_1062 Depth=1
	s_delay_alu instid0(SALU_CYCLE_1)
	s_or_b32 exec_lo, exec_lo, s3
.LBB228_1094:                           ;   in Loop: Header=BB228_1062 Depth=1
	s_delay_alu instid0(SALU_CYCLE_1)
	s_or_b32 exec_lo, exec_lo, s0
	scratch_load_b32 v10, off, s32 offset:208 ; 4-byte Folded Reload
	v_or_b32_e32 v1, v1, v51
	v_dual_add_nc_u32 v77, 1, v11 :: v_dual_bitop2_b32 v0, v0, v50 bitop3:0x54
	v_dual_add_nc_u32 v73, 2, v11 :: v_dual_bitop2_b32 v51, v55, v65 bitop3:0x54
	;; [unrolled: 1-line block ×3, first 2 shown]
	s_wait_loadcnt 0x0
	v_add_nc_u32_e32 v10, -1, v10
	v_pk_mul_f32 v[0:1], v[48:49], v[0:1]
	s_delay_alu instid0(VALU_DEP_2)
	v_cmp_eq_u32_e32 vcc_lo, v10, v91
	scratch_store_b64 off, v[0:1], s32 offset:220 ; 8-byte Folded Spill
	s_wait_xcnt 0x0
	v_pk_mul_f32 v[0:1], v[48:49], v[50:51]
	scratch_store_b64 off, v[0:1], s32 offset:212 ; 8-byte Folded Spill
	s_wait_xcnt 0x0
	s_and_saveexec_b32 s3, vcc_lo
	s_cbranch_execz .LBB228_1096
; %bb.1095:                             ;   in Loop: Header=BB228_1062 Depth=1
	s_clause 0x1
	scratch_load_b64 v[0:1], off, s32 offset:200
	scratch_load_b64 v[50:51], off, s32 offset:220 th:TH_LOAD_LU
	s_wait_loadcnt 0x1
	v_cmp_lt_i32_e64 s0, v11, v0
	s_wait_loadcnt 0x0
	s_delay_alu instid0(VALU_DEP_1) | instskip(SKIP_1) | instid1(VALU_DEP_1)
	v_cndmask_b32_e64 v50, 0, v50, s0
	v_cmp_lt_i32_e64 s0, v77, v0
	v_cndmask_b32_e64 v51, 0, v51, s0
	v_cmp_lt_i32_e64 s0, v73, v0
	s_clause 0x1
	scratch_store_b64 off, v[50:51], s32 offset:220
	scratch_load_b64 v[50:51], off, s32 offset:212 th:TH_LOAD_LU
	s_wait_loadcnt 0x0
	v_cndmask_b32_e64 v50, 0, v50, s0
	v_cmp_lt_i32_e64 s0, v72, v0
	s_delay_alu instid0(VALU_DEP_1)
	v_cndmask_b32_e64 v51, 0, v51, s0
	scratch_store_b64 off, v[50:51], s32 offset:212 ; 8-byte Folded Spill
.LBB228_1096:                           ;   in Loop: Header=BB228_1062 Depth=1
	s_wait_xcnt 0x0
	s_or_b32 exec_lo, exec_lo, s3
	flat_load_b32 v64, v[96:97] offset:128
	v_mov_b64_e32 v[0:1], 0
	v_mov_b64_e32 v[50:51], 0
	s_mov_b32 s3, exec_lo
	s_wait_loadcnt_dscnt 0x0
	v_and_b32_e32 v52, 0xff, v64
	s_wait_xcnt 0x0
	s_delay_alu instid0(VALU_DEP_1)
	v_cmpx_ne_u16_e32 0, v52
	s_cbranch_execz .LBB228_1104
; %bb.1097:                             ;   in Loop: Header=BB228_1062 Depth=1
	v_mov_b64_e32 v[50:51], 0x80000000
	s_mov_b32 s8, exec_lo
	v_cmpx_ne_u16_e32 0x80, v52
	s_cbranch_execz .LBB228_1103
; %bb.1098:                             ;   in Loop: Header=BB228_1062 Depth=1
	v_mov_b64_e32 v[50:51], 0x7f800001
	v_and_b32_e32 v52, 0x7f, v64
	s_mov_b32 s9, exec_lo
	s_delay_alu instid0(VALU_DEP_1)
	v_cmpx_ne_u32_e32 0x7f, v52
	s_cbranch_execz .LBB228_1102
; %bb.1099:                             ;   in Loop: Header=BB228_1062 Depth=1
	v_and_b32_e32 v74, 7, v64
	v_lshrrev_b32_e32 v50, 3, v52
	s_mov_b32 s16, exec_lo
	v_cmpx_gt_u32_e32 8, v52
; %bb.1100:                             ;   in Loop: Header=BB228_1062 Depth=1
	s_delay_alu instid0(VALU_DEP_3) | instskip(NEXT) | instid1(VALU_DEP_1)
	v_clz_i32_u32_e32 v10, v74
	v_min_u32_e32 v10, 32, v10
	s_delay_alu instid0(VALU_DEP_1) | instskip(NEXT) | instid1(VALU_DEP_1)
	v_subrev_nc_u32_e32 v50, 28, v10
	v_lshlrev_b64_e32 v[52:53], v50, v[74:75]
	s_delay_alu instid0(VALU_DEP_1)
	v_dual_sub_nc_u32 v50, 29, v10 :: v_dual_bitop2_b32 v74, 7, v52 bitop3:0x40
; %bb.1101:                             ;   in Loop: Header=BB228_1062 Depth=1
	s_or_b32 exec_lo, exec_lo, s16
	s_delay_alu instid0(VALU_DEP_1) | instskip(NEXT) | instid1(VALU_DEP_2)
	v_dual_lshlrev_b32 v10, 24, v64 :: v_dual_lshlrev_b32 v51, 20, v74
	v_lshl_add_u32 v50, v50, 23, 0x3c000000
	s_delay_alu instid0(VALU_DEP_2) | instskip(NEXT) | instid1(VALU_DEP_1)
	v_and_b32_e32 v10, 0x80000000, v10
	v_or3_b32 v74, v51, v10, v50
	s_delay_alu instid0(VALU_DEP_1)
	v_mov_b64_e32 v[50:51], v[74:75]
.LBB228_1102:                           ;   in Loop: Header=BB228_1062 Depth=1
	s_or_b32 exec_lo, exec_lo, s9
.LBB228_1103:                           ;   in Loop: Header=BB228_1062 Depth=1
	s_delay_alu instid0(SALU_CYCLE_1)
	s_or_b32 exec_lo, exec_lo, s8
.LBB228_1104:                           ;   in Loop: Header=BB228_1062 Depth=1
	s_delay_alu instid0(SALU_CYCLE_1) | instskip(SKIP_2) | instid1(VALU_DEP_1)
	s_or_b32 exec_lo, exec_lo, s3
	v_lshrrev_b16 v52, 8, v64
	s_mov_b32 s3, exec_lo
	v_cmpx_ne_u16_e32 0, v52
	s_cbranch_execz .LBB228_1112
; %bb.1105:                             ;   in Loop: Header=BB228_1062 Depth=1
	v_mov_b64_e32 v[0:1], 0x8000000000000000
	s_mov_b32 s8, exec_lo
	v_cmpx_ne_u16_e32 0x80, v52
	s_cbranch_execz .LBB228_1111
; %bb.1106:                             ;   in Loop: Header=BB228_1062 Depth=1
	v_and_b32_e32 v53, 0xffff, v52
	v_mov_b64_e32 v[0:1], 0x7f80000100000000
	s_mov_b32 s9, exec_lo
	s_delay_alu instid0(VALU_DEP_2) | instskip(NEXT) | instid1(VALU_DEP_1)
	v_and_b32_e32 v52, 0x7f, v53
	v_cmpx_ne_u32_e32 0x7f, v52
	s_cbranch_execz .LBB228_1110
; %bb.1107:                             ;   in Loop: Header=BB228_1062 Depth=1
	v_dual_lshrrev_b32 v0, 3, v52 :: v_dual_bitop2_b32 v74, 7, v53 bitop3:0x40
	s_mov_b32 s16, exec_lo
	v_cmpx_gt_u32_e32 8, v52
; %bb.1108:                             ;   in Loop: Header=BB228_1062 Depth=1
	s_delay_alu instid0(VALU_DEP_2) | instskip(NEXT) | instid1(VALU_DEP_1)
	v_clz_i32_u32_e32 v0, v74
	v_min_u32_e32 v0, 32, v0
	s_delay_alu instid0(VALU_DEP_1) | instskip(SKIP_1) | instid1(VALU_DEP_2)
	v_subrev_nc_u32_e32 v1, 28, v0
	v_sub_nc_u32_e32 v0, 29, v0
	v_lshlrev_b64_e32 v[52:53], v1, v[74:75]
	s_delay_alu instid0(VALU_DEP_1)
	v_and_b32_e32 v74, 7, v52
; %bb.1109:                             ;   in Loop: Header=BB228_1062 Depth=1
	s_or_b32 exec_lo, exec_lo, s16
	s_delay_alu instid0(VALU_DEP_1) | instskip(SKIP_1) | instid1(VALU_DEP_2)
	v_dual_lshlrev_b32 v1, 16, v64 :: v_dual_lshlrev_b32 v10, 20, v74
	v_lshl_add_u32 v0, v0, 23, 0x3c000000
	v_and_b32_e32 v1, 0x80000000, v1
	s_delay_alu instid0(VALU_DEP_1)
	v_or3_b32 v1, v10, v1, v0
	v_mov_b32_e32 v0, v75
.LBB228_1110:                           ;   in Loop: Header=BB228_1062 Depth=1
	s_or_b32 exec_lo, exec_lo, s9
.LBB228_1111:                           ;   in Loop: Header=BB228_1062 Depth=1
	s_delay_alu instid0(SALU_CYCLE_1)
	s_or_b32 exec_lo, exec_lo, s8
.LBB228_1112:                           ;   in Loop: Header=BB228_1062 Depth=1
	s_delay_alu instid0(SALU_CYCLE_1) | instskip(SKIP_4) | instid1(VALU_DEP_3)
	s_or_b32 exec_lo, exec_lo, s3
	v_lshrrev_b32_e32 v65, 16, v64
	v_mov_b64_e32 v[54:55], 0
	v_mov_b64_e32 v[52:53], 0
	s_mov_b32 s3, exec_lo
	v_and_b32_e32 v66, 0xff, v65
	s_delay_alu instid0(VALU_DEP_1)
	v_cmpx_ne_u16_e32 0, v66
	s_cbranch_execz .LBB228_1120
; %bb.1113:                             ;   in Loop: Header=BB228_1062 Depth=1
	v_mov_b64_e32 v[52:53], 0x80000000
	s_mov_b32 s8, exec_lo
	v_cmpx_ne_u16_e32 0x80, v66
	s_cbranch_execz .LBB228_1119
; %bb.1114:                             ;   in Loop: Header=BB228_1062 Depth=1
	v_mov_b64_e32 v[52:53], 0x7f800001
	v_bfe_u32 v66, v64, 16, 7
	s_mov_b32 s9, exec_lo
	s_delay_alu instid0(VALU_DEP_1)
	v_cmpx_ne_u32_e32 0x7f, v66
	s_cbranch_execz .LBB228_1118
; %bb.1115:                             ;   in Loop: Header=BB228_1062 Depth=1
	v_dual_lshrrev_b32 v52, 3, v66 :: v_dual_bitop2_b32 v74, 7, v65 bitop3:0x40
	s_mov_b32 s16, exec_lo
	v_cmpx_gt_u32_e32 8, v66
; %bb.1116:                             ;   in Loop: Header=BB228_1062 Depth=1
	s_delay_alu instid0(VALU_DEP_2) | instskip(NEXT) | instid1(VALU_DEP_1)
	v_clz_i32_u32_e32 v10, v74
	v_min_u32_e32 v10, 32, v10
	s_delay_alu instid0(VALU_DEP_1) | instskip(NEXT) | instid1(VALU_DEP_1)
	v_subrev_nc_u32_e32 v52, 28, v10
	v_lshlrev_b64_e32 v[66:67], v52, v[74:75]
	v_sub_nc_u32_e32 v52, 29, v10
	s_delay_alu instid0(VALU_DEP_2)
	v_and_b32_e32 v74, 7, v66
; %bb.1117:                             ;   in Loop: Header=BB228_1062 Depth=1
	s_or_b32 exec_lo, exec_lo, s16
	s_delay_alu instid0(VALU_DEP_1) | instskip(NEXT) | instid1(VALU_DEP_3)
	v_dual_lshlrev_b32 v10, 24, v65 :: v_dual_lshlrev_b32 v53, 20, v74
	v_lshl_add_u32 v52, v52, 23, 0x3c000000
	s_delay_alu instid0(VALU_DEP_2) | instskip(NEXT) | instid1(VALU_DEP_1)
	v_and_b32_e32 v10, 0x80000000, v10
	v_or3_b32 v74, v53, v10, v52
	s_delay_alu instid0(VALU_DEP_1)
	v_mov_b64_e32 v[52:53], v[74:75]
.LBB228_1118:                           ;   in Loop: Header=BB228_1062 Depth=1
	s_or_b32 exec_lo, exec_lo, s9
.LBB228_1119:                           ;   in Loop: Header=BB228_1062 Depth=1
	s_delay_alu instid0(SALU_CYCLE_1)
	s_or_b32 exec_lo, exec_lo, s8
.LBB228_1120:                           ;   in Loop: Header=BB228_1062 Depth=1
	s_delay_alu instid0(SALU_CYCLE_1) | instskip(NEXT) | instid1(SALU_CYCLE_1)
	s_or_b32 exec_lo, exec_lo, s3
	s_mov_b32 s3, exec_lo
	v_cmpx_lt_u32_e32 0xffffff, v64
	s_cbranch_execz .LBB228_1128
; %bb.1121:                             ;   in Loop: Header=BB228_1062 Depth=1
	v_mov_b64_e32 v[54:55], 0x8000000000000000
	v_lshrrev_b32_e32 v65, 24, v64
	s_mov_b32 s8, exec_lo
	s_delay_alu instid0(VALU_DEP_1)
	v_cmpx_ne_u32_e32 0x80, v65
	s_cbranch_execz .LBB228_1127
; %bb.1122:                             ;   in Loop: Header=BB228_1062 Depth=1
	v_mov_b64_e32 v[54:55], 0x7f80000100000000
	v_bfe_u32 v64, v64, 24, 7
	s_mov_b32 s9, exec_lo
	s_delay_alu instid0(VALU_DEP_1)
	v_cmpx_ne_u32_e32 0x7f, v64
	s_cbranch_execz .LBB228_1126
; %bb.1123:                             ;   in Loop: Header=BB228_1062 Depth=1
	v_dual_lshrrev_b32 v54, 3, v64 :: v_dual_bitop2_b32 v74, 7, v65 bitop3:0x40
	s_mov_b32 s16, exec_lo
	v_cmpx_gt_u32_e32 8, v64
; %bb.1124:                             ;   in Loop: Header=BB228_1062 Depth=1
	s_delay_alu instid0(VALU_DEP_2) | instskip(NEXT) | instid1(VALU_DEP_1)
	v_clz_i32_u32_e32 v10, v74
	v_min_u32_e32 v10, 32, v10
	s_delay_alu instid0(VALU_DEP_1) | instskip(NEXT) | instid1(VALU_DEP_1)
	v_subrev_nc_u32_e32 v54, 28, v10
	v_lshlrev_b64_e32 v[66:67], v54, v[74:75]
	v_sub_nc_u32_e32 v54, 29, v10
	s_delay_alu instid0(VALU_DEP_2)
	v_and_b32_e32 v74, 7, v66
; %bb.1125:                             ;   in Loop: Header=BB228_1062 Depth=1
	s_or_b32 exec_lo, exec_lo, s16
	s_delay_alu instid0(VALU_DEP_1) | instskip(NEXT) | instid1(VALU_DEP_3)
	v_dual_lshlrev_b32 v10, 24, v65 :: v_dual_lshlrev_b32 v55, 20, v74
	v_lshl_add_u32 v54, v54, 23, 0x3c000000
	s_delay_alu instid0(VALU_DEP_2) | instskip(NEXT) | instid1(VALU_DEP_1)
	v_and_b32_e32 v10, 0x80000000, v10
	v_or3_b32 v55, v55, v10, v54
	v_mov_b32_e32 v54, v75
.LBB228_1126:                           ;   in Loop: Header=BB228_1062 Depth=1
	s_or_b32 exec_lo, exec_lo, s9
.LBB228_1127:                           ;   in Loop: Header=BB228_1062 Depth=1
	s_delay_alu instid0(SALU_CYCLE_1)
	s_or_b32 exec_lo, exec_lo, s8
.LBB228_1128:                           ;   in Loop: Header=BB228_1062 Depth=1
	s_delay_alu instid0(SALU_CYCLE_1) | instskip(SKIP_4) | instid1(VALU_DEP_3)
	s_or_b32 exec_lo, exec_lo, s3
	v_or_b32_e32 v1, v1, v51
	v_or_b32_e32 v0, v0, v50
	v_or_b32_e32 v51, v55, v53
	v_or_b32_e32 v50, v54, v52
	v_pk_mul_f32 v[0:1], v[48:49], v[0:1]
	scratch_store_b64 off, v[0:1], s32 offset:236 ; 8-byte Folded Spill
	s_wait_xcnt 0x0
	v_pk_mul_f32 v[0:1], v[48:49], v[50:51]
	scratch_store_b64 off, v[0:1], s32 offset:228 ; 8-byte Folded Spill
	s_wait_xcnt 0x0
	s_and_saveexec_b32 s3, vcc_lo
	s_cbranch_execz .LBB228_1130
; %bb.1129:                             ;   in Loop: Header=BB228_1062 Depth=1
	s_clause 0x1
	scratch_load_b64 v[0:1], off, s32 offset:200
	scratch_load_b64 v[50:51], off, s32 offset:236 th:TH_LOAD_LU
	s_wait_loadcnt 0x1
	v_cmp_lt_i32_e64 s0, v11, v0
	s_wait_loadcnt 0x0
	s_delay_alu instid0(VALU_DEP_1) | instskip(SKIP_1) | instid1(VALU_DEP_1)
	v_cndmask_b32_e64 v50, 0, v50, s0
	v_cmp_lt_i32_e64 s0, v77, v0
	v_cndmask_b32_e64 v51, 0, v51, s0
	v_cmp_lt_i32_e64 s0, v73, v0
	s_clause 0x1
	scratch_store_b64 off, v[50:51], s32 offset:236
	scratch_load_b64 v[50:51], off, s32 offset:228 th:TH_LOAD_LU
	s_wait_loadcnt 0x0
	v_cndmask_b32_e64 v50, 0, v50, s0
	v_cmp_lt_i32_e64 s0, v72, v0
	s_delay_alu instid0(VALU_DEP_1)
	v_cndmask_b32_e64 v51, 0, v51, s0
	scratch_store_b64 off, v[50:51], s32 offset:228 ; 8-byte Folded Spill
.LBB228_1130:                           ;   in Loop: Header=BB228_1062 Depth=1
	s_wait_xcnt 0x0
	s_or_b32 exec_lo, exec_lo, s3
	flat_load_b32 v64, v[96:97] offset:256
	v_mov_b64_e32 v[0:1], 0
	v_mov_b64_e32 v[50:51], 0
	s_mov_b32 s3, exec_lo
	s_wait_loadcnt_dscnt 0x0
	v_and_b32_e32 v52, 0xff, v64
	s_wait_xcnt 0x0
	s_delay_alu instid0(VALU_DEP_1)
	v_cmpx_ne_u16_e32 0, v52
	s_cbranch_execz .LBB228_1138
; %bb.1131:                             ;   in Loop: Header=BB228_1062 Depth=1
	v_mov_b64_e32 v[50:51], 0x80000000
	s_mov_b32 s8, exec_lo
	v_cmpx_ne_u16_e32 0x80, v52
	s_cbranch_execz .LBB228_1137
; %bb.1132:                             ;   in Loop: Header=BB228_1062 Depth=1
	v_mov_b64_e32 v[50:51], 0x7f800001
	v_and_b32_e32 v52, 0x7f, v64
	s_mov_b32 s9, exec_lo
	s_delay_alu instid0(VALU_DEP_1)
	v_cmpx_ne_u32_e32 0x7f, v52
	s_cbranch_execz .LBB228_1136
; %bb.1133:                             ;   in Loop: Header=BB228_1062 Depth=1
	v_and_b32_e32 v74, 7, v64
	v_lshrrev_b32_e32 v50, 3, v52
	s_mov_b32 s16, exec_lo
	v_cmpx_gt_u32_e32 8, v52
; %bb.1134:                             ;   in Loop: Header=BB228_1062 Depth=1
	s_delay_alu instid0(VALU_DEP_3) | instskip(NEXT) | instid1(VALU_DEP_1)
	v_clz_i32_u32_e32 v10, v74
	v_min_u32_e32 v10, 32, v10
	s_delay_alu instid0(VALU_DEP_1) | instskip(NEXT) | instid1(VALU_DEP_1)
	v_subrev_nc_u32_e32 v50, 28, v10
	v_lshlrev_b64_e32 v[52:53], v50, v[74:75]
	s_delay_alu instid0(VALU_DEP_1)
	v_dual_sub_nc_u32 v50, 29, v10 :: v_dual_bitop2_b32 v74, 7, v52 bitop3:0x40
; %bb.1135:                             ;   in Loop: Header=BB228_1062 Depth=1
	s_or_b32 exec_lo, exec_lo, s16
	s_delay_alu instid0(VALU_DEP_1) | instskip(NEXT) | instid1(VALU_DEP_2)
	v_dual_lshlrev_b32 v10, 24, v64 :: v_dual_lshlrev_b32 v51, 20, v74
	v_lshl_add_u32 v50, v50, 23, 0x3c000000
	s_delay_alu instid0(VALU_DEP_2) | instskip(NEXT) | instid1(VALU_DEP_1)
	v_and_b32_e32 v10, 0x80000000, v10
	v_or3_b32 v74, v51, v10, v50
	s_delay_alu instid0(VALU_DEP_1)
	v_mov_b64_e32 v[50:51], v[74:75]
.LBB228_1136:                           ;   in Loop: Header=BB228_1062 Depth=1
	s_or_b32 exec_lo, exec_lo, s9
.LBB228_1137:                           ;   in Loop: Header=BB228_1062 Depth=1
	s_delay_alu instid0(SALU_CYCLE_1)
	s_or_b32 exec_lo, exec_lo, s8
.LBB228_1138:                           ;   in Loop: Header=BB228_1062 Depth=1
	s_delay_alu instid0(SALU_CYCLE_1) | instskip(SKIP_2) | instid1(VALU_DEP_1)
	s_or_b32 exec_lo, exec_lo, s3
	v_lshrrev_b16 v52, 8, v64
	s_mov_b32 s3, exec_lo
	v_cmpx_ne_u16_e32 0, v52
	s_cbranch_execz .LBB228_1146
; %bb.1139:                             ;   in Loop: Header=BB228_1062 Depth=1
	v_mov_b64_e32 v[0:1], 0x8000000000000000
	s_mov_b32 s8, exec_lo
	v_cmpx_ne_u16_e32 0x80, v52
	s_cbranch_execz .LBB228_1145
; %bb.1140:                             ;   in Loop: Header=BB228_1062 Depth=1
	v_and_b32_e32 v53, 0xffff, v52
	v_mov_b64_e32 v[0:1], 0x7f80000100000000
	s_mov_b32 s9, exec_lo
	s_delay_alu instid0(VALU_DEP_2) | instskip(NEXT) | instid1(VALU_DEP_1)
	v_and_b32_e32 v52, 0x7f, v53
	v_cmpx_ne_u32_e32 0x7f, v52
	s_cbranch_execz .LBB228_1144
; %bb.1141:                             ;   in Loop: Header=BB228_1062 Depth=1
	v_dual_lshrrev_b32 v0, 3, v52 :: v_dual_bitop2_b32 v74, 7, v53 bitop3:0x40
	s_mov_b32 s16, exec_lo
	v_cmpx_gt_u32_e32 8, v52
; %bb.1142:                             ;   in Loop: Header=BB228_1062 Depth=1
	s_delay_alu instid0(VALU_DEP_2) | instskip(NEXT) | instid1(VALU_DEP_1)
	v_clz_i32_u32_e32 v0, v74
	v_min_u32_e32 v0, 32, v0
	s_delay_alu instid0(VALU_DEP_1) | instskip(SKIP_1) | instid1(VALU_DEP_2)
	v_subrev_nc_u32_e32 v1, 28, v0
	v_sub_nc_u32_e32 v0, 29, v0
	v_lshlrev_b64_e32 v[52:53], v1, v[74:75]
	s_delay_alu instid0(VALU_DEP_1)
	v_and_b32_e32 v74, 7, v52
; %bb.1143:                             ;   in Loop: Header=BB228_1062 Depth=1
	s_or_b32 exec_lo, exec_lo, s16
	s_delay_alu instid0(VALU_DEP_1) | instskip(SKIP_1) | instid1(VALU_DEP_2)
	v_dual_lshlrev_b32 v1, 16, v64 :: v_dual_lshlrev_b32 v10, 20, v74
	v_lshl_add_u32 v0, v0, 23, 0x3c000000
	v_and_b32_e32 v1, 0x80000000, v1
	s_delay_alu instid0(VALU_DEP_1)
	v_or3_b32 v1, v10, v1, v0
	v_mov_b32_e32 v0, v75
.LBB228_1144:                           ;   in Loop: Header=BB228_1062 Depth=1
	s_or_b32 exec_lo, exec_lo, s9
.LBB228_1145:                           ;   in Loop: Header=BB228_1062 Depth=1
	s_delay_alu instid0(SALU_CYCLE_1)
	s_or_b32 exec_lo, exec_lo, s8
.LBB228_1146:                           ;   in Loop: Header=BB228_1062 Depth=1
	s_delay_alu instid0(SALU_CYCLE_1) | instskip(SKIP_4) | instid1(VALU_DEP_3)
	s_or_b32 exec_lo, exec_lo, s3
	v_lshrrev_b32_e32 v65, 16, v64
	v_mov_b64_e32 v[54:55], 0
	v_mov_b64_e32 v[52:53], 0
	s_mov_b32 s3, exec_lo
	v_and_b32_e32 v66, 0xff, v65
	s_delay_alu instid0(VALU_DEP_1)
	v_cmpx_ne_u16_e32 0, v66
	s_cbranch_execz .LBB228_1154
; %bb.1147:                             ;   in Loop: Header=BB228_1062 Depth=1
	v_mov_b64_e32 v[52:53], 0x80000000
	s_mov_b32 s8, exec_lo
	v_cmpx_ne_u16_e32 0x80, v66
	s_cbranch_execz .LBB228_1153
; %bb.1148:                             ;   in Loop: Header=BB228_1062 Depth=1
	v_mov_b64_e32 v[52:53], 0x7f800001
	v_bfe_u32 v66, v64, 16, 7
	s_mov_b32 s9, exec_lo
	s_delay_alu instid0(VALU_DEP_1)
	v_cmpx_ne_u32_e32 0x7f, v66
	s_cbranch_execz .LBB228_1152
; %bb.1149:                             ;   in Loop: Header=BB228_1062 Depth=1
	v_dual_lshrrev_b32 v52, 3, v66 :: v_dual_bitop2_b32 v74, 7, v65 bitop3:0x40
	s_mov_b32 s16, exec_lo
	v_cmpx_gt_u32_e32 8, v66
; %bb.1150:                             ;   in Loop: Header=BB228_1062 Depth=1
	s_delay_alu instid0(VALU_DEP_2) | instskip(NEXT) | instid1(VALU_DEP_1)
	v_clz_i32_u32_e32 v10, v74
	v_min_u32_e32 v10, 32, v10
	s_delay_alu instid0(VALU_DEP_1) | instskip(NEXT) | instid1(VALU_DEP_1)
	v_subrev_nc_u32_e32 v52, 28, v10
	v_lshlrev_b64_e32 v[66:67], v52, v[74:75]
	v_sub_nc_u32_e32 v52, 29, v10
	s_delay_alu instid0(VALU_DEP_2)
	v_and_b32_e32 v74, 7, v66
; %bb.1151:                             ;   in Loop: Header=BB228_1062 Depth=1
	s_or_b32 exec_lo, exec_lo, s16
	s_delay_alu instid0(VALU_DEP_1) | instskip(NEXT) | instid1(VALU_DEP_3)
	v_dual_lshlrev_b32 v10, 24, v65 :: v_dual_lshlrev_b32 v53, 20, v74
	v_lshl_add_u32 v52, v52, 23, 0x3c000000
	s_delay_alu instid0(VALU_DEP_2) | instskip(NEXT) | instid1(VALU_DEP_1)
	v_and_b32_e32 v10, 0x80000000, v10
	v_or3_b32 v74, v53, v10, v52
	s_delay_alu instid0(VALU_DEP_1)
	v_mov_b64_e32 v[52:53], v[74:75]
.LBB228_1152:                           ;   in Loop: Header=BB228_1062 Depth=1
	s_or_b32 exec_lo, exec_lo, s9
.LBB228_1153:                           ;   in Loop: Header=BB228_1062 Depth=1
	s_delay_alu instid0(SALU_CYCLE_1)
	s_or_b32 exec_lo, exec_lo, s8
.LBB228_1154:                           ;   in Loop: Header=BB228_1062 Depth=1
	s_delay_alu instid0(SALU_CYCLE_1) | instskip(NEXT) | instid1(SALU_CYCLE_1)
	s_or_b32 exec_lo, exec_lo, s3
	s_mov_b32 s3, exec_lo
	v_cmpx_lt_u32_e32 0xffffff, v64
	s_cbranch_execz .LBB228_1162
; %bb.1155:                             ;   in Loop: Header=BB228_1062 Depth=1
	v_mov_b64_e32 v[54:55], 0x8000000000000000
	v_lshrrev_b32_e32 v65, 24, v64
	s_mov_b32 s8, exec_lo
	s_delay_alu instid0(VALU_DEP_1)
	v_cmpx_ne_u32_e32 0x80, v65
	s_cbranch_execz .LBB228_1161
; %bb.1156:                             ;   in Loop: Header=BB228_1062 Depth=1
	v_mov_b64_e32 v[54:55], 0x7f80000100000000
	v_bfe_u32 v64, v64, 24, 7
	s_mov_b32 s9, exec_lo
	s_delay_alu instid0(VALU_DEP_1)
	v_cmpx_ne_u32_e32 0x7f, v64
	s_cbranch_execz .LBB228_1160
; %bb.1157:                             ;   in Loop: Header=BB228_1062 Depth=1
	v_dual_lshrrev_b32 v54, 3, v64 :: v_dual_bitop2_b32 v74, 7, v65 bitop3:0x40
	s_mov_b32 s16, exec_lo
	v_cmpx_gt_u32_e32 8, v64
; %bb.1158:                             ;   in Loop: Header=BB228_1062 Depth=1
	s_delay_alu instid0(VALU_DEP_2) | instskip(NEXT) | instid1(VALU_DEP_1)
	v_clz_i32_u32_e32 v10, v74
	v_min_u32_e32 v10, 32, v10
	s_delay_alu instid0(VALU_DEP_1) | instskip(NEXT) | instid1(VALU_DEP_1)
	v_subrev_nc_u32_e32 v54, 28, v10
	v_lshlrev_b64_e32 v[66:67], v54, v[74:75]
	v_sub_nc_u32_e32 v54, 29, v10
	s_delay_alu instid0(VALU_DEP_2)
	v_and_b32_e32 v74, 7, v66
; %bb.1159:                             ;   in Loop: Header=BB228_1062 Depth=1
	s_or_b32 exec_lo, exec_lo, s16
	s_delay_alu instid0(VALU_DEP_1) | instskip(NEXT) | instid1(VALU_DEP_3)
	v_dual_lshlrev_b32 v10, 24, v65 :: v_dual_lshlrev_b32 v55, 20, v74
	v_lshl_add_u32 v54, v54, 23, 0x3c000000
	s_delay_alu instid0(VALU_DEP_2) | instskip(NEXT) | instid1(VALU_DEP_1)
	v_and_b32_e32 v10, 0x80000000, v10
	v_or3_b32 v55, v55, v10, v54
	v_mov_b32_e32 v54, v75
.LBB228_1160:                           ;   in Loop: Header=BB228_1062 Depth=1
	s_or_b32 exec_lo, exec_lo, s9
.LBB228_1161:                           ;   in Loop: Header=BB228_1062 Depth=1
	s_delay_alu instid0(SALU_CYCLE_1)
	s_or_b32 exec_lo, exec_lo, s8
.LBB228_1162:                           ;   in Loop: Header=BB228_1062 Depth=1
	s_delay_alu instid0(SALU_CYCLE_1) | instskip(SKIP_4) | instid1(VALU_DEP_3)
	s_or_b32 exec_lo, exec_lo, s3
	v_or_b32_e32 v1, v1, v51
	v_or_b32_e32 v0, v0, v50
	;; [unrolled: 1-line block ×4, first 2 shown]
	v_pk_mul_f32 v[0:1], v[48:49], v[0:1]
	scratch_store_b64 off, v[0:1], s32 offset:252 ; 8-byte Folded Spill
	s_wait_xcnt 0x0
	v_pk_mul_f32 v[0:1], v[48:49], v[50:51]
	scratch_store_b64 off, v[0:1], s32 offset:244 ; 8-byte Folded Spill
	s_wait_xcnt 0x0
	s_and_saveexec_b32 s3, vcc_lo
	s_cbranch_execz .LBB228_1164
; %bb.1163:                             ;   in Loop: Header=BB228_1062 Depth=1
	s_clause 0x1
	scratch_load_b64 v[0:1], off, s32 offset:200
	scratch_load_b64 v[50:51], off, s32 offset:252 th:TH_LOAD_LU
	s_wait_loadcnt 0x1
	v_cmp_lt_i32_e64 s0, v11, v0
	s_wait_loadcnt 0x0
	s_delay_alu instid0(VALU_DEP_1) | instskip(SKIP_1) | instid1(VALU_DEP_1)
	v_cndmask_b32_e64 v50, 0, v50, s0
	v_cmp_lt_i32_e64 s0, v77, v0
	v_cndmask_b32_e64 v51, 0, v51, s0
	v_cmp_lt_i32_e64 s0, v73, v0
	s_clause 0x1
	scratch_store_b64 off, v[50:51], s32 offset:252
	scratch_load_b64 v[50:51], off, s32 offset:244 th:TH_LOAD_LU
	s_wait_loadcnt 0x0
	v_cndmask_b32_e64 v50, 0, v50, s0
	v_cmp_lt_i32_e64 s0, v72, v0
	s_delay_alu instid0(VALU_DEP_1)
	v_cndmask_b32_e64 v51, 0, v51, s0
	scratch_store_b64 off, v[50:51], s32 offset:244 ; 8-byte Folded Spill
.LBB228_1164:                           ;   in Loop: Header=BB228_1062 Depth=1
	s_wait_xcnt 0x0
	s_or_b32 exec_lo, exec_lo, s3
	flat_load_b32 v64, v[96:97] offset:384
	v_mov_b64_e32 v[0:1], 0
	v_mov_b64_e32 v[50:51], 0
	s_mov_b32 s3, exec_lo
	s_wait_loadcnt_dscnt 0x0
	v_and_b32_e32 v52, 0xff, v64
	s_wait_xcnt 0x0
	s_delay_alu instid0(VALU_DEP_1)
	v_cmpx_ne_u16_e32 0, v52
	s_cbranch_execz .LBB228_1172
; %bb.1165:                             ;   in Loop: Header=BB228_1062 Depth=1
	v_mov_b64_e32 v[50:51], 0x80000000
	s_mov_b32 s8, exec_lo
	v_cmpx_ne_u16_e32 0x80, v52
	s_cbranch_execz .LBB228_1171
; %bb.1166:                             ;   in Loop: Header=BB228_1062 Depth=1
	v_mov_b64_e32 v[50:51], 0x7f800001
	v_and_b32_e32 v52, 0x7f, v64
	s_mov_b32 s9, exec_lo
	s_delay_alu instid0(VALU_DEP_1)
	v_cmpx_ne_u32_e32 0x7f, v52
	s_cbranch_execz .LBB228_1170
; %bb.1167:                             ;   in Loop: Header=BB228_1062 Depth=1
	v_and_b32_e32 v74, 7, v64
	v_lshrrev_b32_e32 v50, 3, v52
	s_mov_b32 s16, exec_lo
	v_cmpx_gt_u32_e32 8, v52
; %bb.1168:                             ;   in Loop: Header=BB228_1062 Depth=1
	s_delay_alu instid0(VALU_DEP_3) | instskip(NEXT) | instid1(VALU_DEP_1)
	v_clz_i32_u32_e32 v10, v74
	v_min_u32_e32 v10, 32, v10
	s_delay_alu instid0(VALU_DEP_1) | instskip(NEXT) | instid1(VALU_DEP_1)
	v_subrev_nc_u32_e32 v50, 28, v10
	v_lshlrev_b64_e32 v[52:53], v50, v[74:75]
	s_delay_alu instid0(VALU_DEP_1)
	v_dual_sub_nc_u32 v50, 29, v10 :: v_dual_bitop2_b32 v74, 7, v52 bitop3:0x40
; %bb.1169:                             ;   in Loop: Header=BB228_1062 Depth=1
	s_or_b32 exec_lo, exec_lo, s16
	s_delay_alu instid0(VALU_DEP_1) | instskip(NEXT) | instid1(VALU_DEP_2)
	v_dual_lshlrev_b32 v10, 24, v64 :: v_dual_lshlrev_b32 v51, 20, v74
	v_lshl_add_u32 v50, v50, 23, 0x3c000000
	s_delay_alu instid0(VALU_DEP_2) | instskip(NEXT) | instid1(VALU_DEP_1)
	v_and_b32_e32 v10, 0x80000000, v10
	v_or3_b32 v74, v51, v10, v50
	s_delay_alu instid0(VALU_DEP_1)
	v_mov_b64_e32 v[50:51], v[74:75]
.LBB228_1170:                           ;   in Loop: Header=BB228_1062 Depth=1
	s_or_b32 exec_lo, exec_lo, s9
.LBB228_1171:                           ;   in Loop: Header=BB228_1062 Depth=1
	s_delay_alu instid0(SALU_CYCLE_1)
	s_or_b32 exec_lo, exec_lo, s8
.LBB228_1172:                           ;   in Loop: Header=BB228_1062 Depth=1
	s_delay_alu instid0(SALU_CYCLE_1) | instskip(SKIP_2) | instid1(VALU_DEP_1)
	s_or_b32 exec_lo, exec_lo, s3
	v_lshrrev_b16 v52, 8, v64
	s_mov_b32 s3, exec_lo
	v_cmpx_ne_u16_e32 0, v52
	s_cbranch_execz .LBB228_1180
; %bb.1173:                             ;   in Loop: Header=BB228_1062 Depth=1
	v_mov_b64_e32 v[0:1], 0x8000000000000000
	s_mov_b32 s8, exec_lo
	v_cmpx_ne_u16_e32 0x80, v52
	s_cbranch_execz .LBB228_1179
; %bb.1174:                             ;   in Loop: Header=BB228_1062 Depth=1
	v_and_b32_e32 v53, 0xffff, v52
	v_mov_b64_e32 v[0:1], 0x7f80000100000000
	s_mov_b32 s9, exec_lo
	s_delay_alu instid0(VALU_DEP_2) | instskip(NEXT) | instid1(VALU_DEP_1)
	v_and_b32_e32 v52, 0x7f, v53
	v_cmpx_ne_u32_e32 0x7f, v52
	s_cbranch_execz .LBB228_1178
; %bb.1175:                             ;   in Loop: Header=BB228_1062 Depth=1
	v_dual_lshrrev_b32 v0, 3, v52 :: v_dual_bitop2_b32 v74, 7, v53 bitop3:0x40
	s_mov_b32 s16, exec_lo
	v_cmpx_gt_u32_e32 8, v52
; %bb.1176:                             ;   in Loop: Header=BB228_1062 Depth=1
	s_delay_alu instid0(VALU_DEP_2) | instskip(NEXT) | instid1(VALU_DEP_1)
	v_clz_i32_u32_e32 v0, v74
	v_min_u32_e32 v0, 32, v0
	s_delay_alu instid0(VALU_DEP_1) | instskip(SKIP_1) | instid1(VALU_DEP_2)
	v_subrev_nc_u32_e32 v1, 28, v0
	v_sub_nc_u32_e32 v0, 29, v0
	v_lshlrev_b64_e32 v[52:53], v1, v[74:75]
	s_delay_alu instid0(VALU_DEP_1)
	v_and_b32_e32 v74, 7, v52
; %bb.1177:                             ;   in Loop: Header=BB228_1062 Depth=1
	s_or_b32 exec_lo, exec_lo, s16
	s_delay_alu instid0(VALU_DEP_1) | instskip(SKIP_1) | instid1(VALU_DEP_2)
	v_dual_lshlrev_b32 v1, 16, v64 :: v_dual_lshlrev_b32 v10, 20, v74
	v_lshl_add_u32 v0, v0, 23, 0x3c000000
	v_and_b32_e32 v1, 0x80000000, v1
	s_delay_alu instid0(VALU_DEP_1)
	v_or3_b32 v1, v10, v1, v0
	v_mov_b32_e32 v0, v75
.LBB228_1178:                           ;   in Loop: Header=BB228_1062 Depth=1
	s_or_b32 exec_lo, exec_lo, s9
.LBB228_1179:                           ;   in Loop: Header=BB228_1062 Depth=1
	s_delay_alu instid0(SALU_CYCLE_1)
	s_or_b32 exec_lo, exec_lo, s8
.LBB228_1180:                           ;   in Loop: Header=BB228_1062 Depth=1
	s_delay_alu instid0(SALU_CYCLE_1) | instskip(SKIP_4) | instid1(VALU_DEP_3)
	s_or_b32 exec_lo, exec_lo, s3
	v_lshrrev_b32_e32 v65, 16, v64
	v_mov_b64_e32 v[54:55], 0
	v_mov_b64_e32 v[52:53], 0
	s_mov_b32 s3, exec_lo
	v_and_b32_e32 v66, 0xff, v65
	s_delay_alu instid0(VALU_DEP_1)
	v_cmpx_ne_u16_e32 0, v66
	s_cbranch_execz .LBB228_1188
; %bb.1181:                             ;   in Loop: Header=BB228_1062 Depth=1
	v_mov_b64_e32 v[52:53], 0x80000000
	s_mov_b32 s8, exec_lo
	v_cmpx_ne_u16_e32 0x80, v66
	s_cbranch_execz .LBB228_1187
; %bb.1182:                             ;   in Loop: Header=BB228_1062 Depth=1
	v_mov_b64_e32 v[52:53], 0x7f800001
	v_bfe_u32 v66, v64, 16, 7
	s_mov_b32 s9, exec_lo
	s_delay_alu instid0(VALU_DEP_1)
	v_cmpx_ne_u32_e32 0x7f, v66
	s_cbranch_execz .LBB228_1186
; %bb.1183:                             ;   in Loop: Header=BB228_1062 Depth=1
	v_dual_lshrrev_b32 v52, 3, v66 :: v_dual_bitop2_b32 v74, 7, v65 bitop3:0x40
	s_mov_b32 s16, exec_lo
	v_cmpx_gt_u32_e32 8, v66
; %bb.1184:                             ;   in Loop: Header=BB228_1062 Depth=1
	s_delay_alu instid0(VALU_DEP_2) | instskip(NEXT) | instid1(VALU_DEP_1)
	v_clz_i32_u32_e32 v10, v74
	v_min_u32_e32 v10, 32, v10
	s_delay_alu instid0(VALU_DEP_1) | instskip(NEXT) | instid1(VALU_DEP_1)
	v_subrev_nc_u32_e32 v52, 28, v10
	v_lshlrev_b64_e32 v[66:67], v52, v[74:75]
	v_sub_nc_u32_e32 v52, 29, v10
	s_delay_alu instid0(VALU_DEP_2)
	v_and_b32_e32 v74, 7, v66
; %bb.1185:                             ;   in Loop: Header=BB228_1062 Depth=1
	s_or_b32 exec_lo, exec_lo, s16
	s_delay_alu instid0(VALU_DEP_1) | instskip(NEXT) | instid1(VALU_DEP_3)
	v_dual_lshlrev_b32 v10, 24, v65 :: v_dual_lshlrev_b32 v53, 20, v74
	v_lshl_add_u32 v52, v52, 23, 0x3c000000
	s_delay_alu instid0(VALU_DEP_2) | instskip(NEXT) | instid1(VALU_DEP_1)
	v_and_b32_e32 v10, 0x80000000, v10
	v_or3_b32 v74, v53, v10, v52
	s_delay_alu instid0(VALU_DEP_1)
	v_mov_b64_e32 v[52:53], v[74:75]
.LBB228_1186:                           ;   in Loop: Header=BB228_1062 Depth=1
	s_or_b32 exec_lo, exec_lo, s9
.LBB228_1187:                           ;   in Loop: Header=BB228_1062 Depth=1
	s_delay_alu instid0(SALU_CYCLE_1)
	s_or_b32 exec_lo, exec_lo, s8
.LBB228_1188:                           ;   in Loop: Header=BB228_1062 Depth=1
	s_delay_alu instid0(SALU_CYCLE_1) | instskip(NEXT) | instid1(SALU_CYCLE_1)
	s_or_b32 exec_lo, exec_lo, s3
	s_mov_b32 s3, exec_lo
	v_cmpx_lt_u32_e32 0xffffff, v64
	s_cbranch_execz .LBB228_1196
; %bb.1189:                             ;   in Loop: Header=BB228_1062 Depth=1
	v_mov_b64_e32 v[54:55], 0x8000000000000000
	v_lshrrev_b32_e32 v65, 24, v64
	s_mov_b32 s8, exec_lo
	s_delay_alu instid0(VALU_DEP_1)
	v_cmpx_ne_u32_e32 0x80, v65
	s_cbranch_execz .LBB228_1195
; %bb.1190:                             ;   in Loop: Header=BB228_1062 Depth=1
	v_mov_b64_e32 v[54:55], 0x7f80000100000000
	v_bfe_u32 v64, v64, 24, 7
	s_mov_b32 s9, exec_lo
	s_delay_alu instid0(VALU_DEP_1)
	v_cmpx_ne_u32_e32 0x7f, v64
	s_cbranch_execz .LBB228_1194
; %bb.1191:                             ;   in Loop: Header=BB228_1062 Depth=1
	v_dual_lshrrev_b32 v54, 3, v64 :: v_dual_bitop2_b32 v74, 7, v65 bitop3:0x40
	s_mov_b32 s16, exec_lo
	v_cmpx_gt_u32_e32 8, v64
; %bb.1192:                             ;   in Loop: Header=BB228_1062 Depth=1
	s_delay_alu instid0(VALU_DEP_2) | instskip(NEXT) | instid1(VALU_DEP_1)
	v_clz_i32_u32_e32 v10, v74
	v_min_u32_e32 v10, 32, v10
	s_delay_alu instid0(VALU_DEP_1) | instskip(NEXT) | instid1(VALU_DEP_1)
	v_subrev_nc_u32_e32 v54, 28, v10
	v_lshlrev_b64_e32 v[66:67], v54, v[74:75]
	v_sub_nc_u32_e32 v54, 29, v10
	s_delay_alu instid0(VALU_DEP_2)
	v_and_b32_e32 v74, 7, v66
; %bb.1193:                             ;   in Loop: Header=BB228_1062 Depth=1
	s_or_b32 exec_lo, exec_lo, s16
	s_delay_alu instid0(VALU_DEP_1) | instskip(NEXT) | instid1(VALU_DEP_3)
	v_dual_lshlrev_b32 v10, 24, v65 :: v_dual_lshlrev_b32 v55, 20, v74
	v_lshl_add_u32 v54, v54, 23, 0x3c000000
	s_delay_alu instid0(VALU_DEP_2) | instskip(NEXT) | instid1(VALU_DEP_1)
	v_and_b32_e32 v10, 0x80000000, v10
	v_or3_b32 v55, v55, v10, v54
	v_mov_b32_e32 v54, v75
.LBB228_1194:                           ;   in Loop: Header=BB228_1062 Depth=1
	s_or_b32 exec_lo, exec_lo, s9
.LBB228_1195:                           ;   in Loop: Header=BB228_1062 Depth=1
	s_delay_alu instid0(SALU_CYCLE_1)
	s_or_b32 exec_lo, exec_lo, s8
.LBB228_1196:                           ;   in Loop: Header=BB228_1062 Depth=1
	s_delay_alu instid0(SALU_CYCLE_1) | instskip(SKIP_4) | instid1(VALU_DEP_3)
	s_or_b32 exec_lo, exec_lo, s3
	v_or_b32_e32 v1, v1, v51
	v_or_b32_e32 v0, v0, v50
	;; [unrolled: 1-line block ×4, first 2 shown]
	v_pk_mul_f32 v[0:1], v[48:49], v[0:1]
	scratch_store_b64 off, v[0:1], s32 offset:268 ; 8-byte Folded Spill
	s_wait_xcnt 0x0
	v_pk_mul_f32 v[0:1], v[48:49], v[50:51]
	scratch_store_b64 off, v[0:1], s32 offset:260 ; 8-byte Folded Spill
	s_wait_xcnt 0x0
	s_and_saveexec_b32 s3, vcc_lo
	s_cbranch_execz .LBB228_1198
; %bb.1197:                             ;   in Loop: Header=BB228_1062 Depth=1
	s_clause 0x1
	scratch_load_b64 v[0:1], off, s32 offset:200
	scratch_load_b64 v[50:51], off, s32 offset:268 th:TH_LOAD_LU
	s_wait_loadcnt 0x1
	v_cmp_lt_i32_e64 s0, v11, v0
	s_wait_loadcnt 0x0
	s_delay_alu instid0(VALU_DEP_1) | instskip(SKIP_1) | instid1(VALU_DEP_1)
	v_cndmask_b32_e64 v50, 0, v50, s0
	v_cmp_lt_i32_e64 s0, v77, v0
	v_cndmask_b32_e64 v51, 0, v51, s0
	v_cmp_lt_i32_e64 s0, v73, v0
	s_clause 0x1
	scratch_store_b64 off, v[50:51], s32 offset:268
	scratch_load_b64 v[50:51], off, s32 offset:260 th:TH_LOAD_LU
	s_wait_loadcnt 0x0
	v_cndmask_b32_e64 v50, 0, v50, s0
	v_cmp_lt_i32_e64 s0, v72, v0
	s_delay_alu instid0(VALU_DEP_1)
	v_cndmask_b32_e64 v51, 0, v51, s0
	scratch_store_b64 off, v[50:51], s32 offset:260 ; 8-byte Folded Spill
.LBB228_1198:                           ;   in Loop: Header=BB228_1062 Depth=1
	s_wait_xcnt 0x0
	s_or_b32 exec_lo, exec_lo, s3
	flat_load_b32 v64, v[96:97] offset:512
	v_mov_b64_e32 v[0:1], 0
	v_mov_b64_e32 v[50:51], 0
	s_mov_b32 s3, exec_lo
	s_wait_loadcnt_dscnt 0x0
	v_and_b32_e32 v52, 0xff, v64
	s_wait_xcnt 0x0
	s_delay_alu instid0(VALU_DEP_1)
	v_cmpx_ne_u16_e32 0, v52
	s_cbranch_execz .LBB228_1206
; %bb.1199:                             ;   in Loop: Header=BB228_1062 Depth=1
	v_mov_b64_e32 v[50:51], 0x80000000
	s_mov_b32 s8, exec_lo
	v_cmpx_ne_u16_e32 0x80, v52
	s_cbranch_execz .LBB228_1205
; %bb.1200:                             ;   in Loop: Header=BB228_1062 Depth=1
	v_mov_b64_e32 v[50:51], 0x7f800001
	v_and_b32_e32 v52, 0x7f, v64
	s_mov_b32 s9, exec_lo
	s_delay_alu instid0(VALU_DEP_1)
	v_cmpx_ne_u32_e32 0x7f, v52
	s_cbranch_execz .LBB228_1204
; %bb.1201:                             ;   in Loop: Header=BB228_1062 Depth=1
	v_and_b32_e32 v74, 7, v64
	v_lshrrev_b32_e32 v50, 3, v52
	s_mov_b32 s16, exec_lo
	v_cmpx_gt_u32_e32 8, v52
; %bb.1202:                             ;   in Loop: Header=BB228_1062 Depth=1
	s_delay_alu instid0(VALU_DEP_3) | instskip(NEXT) | instid1(VALU_DEP_1)
	v_clz_i32_u32_e32 v10, v74
	v_min_u32_e32 v10, 32, v10
	s_delay_alu instid0(VALU_DEP_1) | instskip(NEXT) | instid1(VALU_DEP_1)
	v_subrev_nc_u32_e32 v50, 28, v10
	v_lshlrev_b64_e32 v[52:53], v50, v[74:75]
	s_delay_alu instid0(VALU_DEP_1)
	v_dual_sub_nc_u32 v50, 29, v10 :: v_dual_bitop2_b32 v74, 7, v52 bitop3:0x40
; %bb.1203:                             ;   in Loop: Header=BB228_1062 Depth=1
	s_or_b32 exec_lo, exec_lo, s16
	s_delay_alu instid0(VALU_DEP_1) | instskip(NEXT) | instid1(VALU_DEP_2)
	v_dual_lshlrev_b32 v10, 24, v64 :: v_dual_lshlrev_b32 v51, 20, v74
	v_lshl_add_u32 v50, v50, 23, 0x3c000000
	s_delay_alu instid0(VALU_DEP_2) | instskip(NEXT) | instid1(VALU_DEP_1)
	v_and_b32_e32 v10, 0x80000000, v10
	v_or3_b32 v74, v51, v10, v50
	s_delay_alu instid0(VALU_DEP_1)
	v_mov_b64_e32 v[50:51], v[74:75]
.LBB228_1204:                           ;   in Loop: Header=BB228_1062 Depth=1
	s_or_b32 exec_lo, exec_lo, s9
.LBB228_1205:                           ;   in Loop: Header=BB228_1062 Depth=1
	s_delay_alu instid0(SALU_CYCLE_1)
	s_or_b32 exec_lo, exec_lo, s8
.LBB228_1206:                           ;   in Loop: Header=BB228_1062 Depth=1
	s_delay_alu instid0(SALU_CYCLE_1) | instskip(SKIP_2) | instid1(VALU_DEP_1)
	s_or_b32 exec_lo, exec_lo, s3
	v_lshrrev_b16 v52, 8, v64
	s_mov_b32 s3, exec_lo
	v_cmpx_ne_u16_e32 0, v52
	s_cbranch_execz .LBB228_1214
; %bb.1207:                             ;   in Loop: Header=BB228_1062 Depth=1
	v_mov_b64_e32 v[0:1], 0x8000000000000000
	s_mov_b32 s8, exec_lo
	v_cmpx_ne_u16_e32 0x80, v52
	s_cbranch_execz .LBB228_1213
; %bb.1208:                             ;   in Loop: Header=BB228_1062 Depth=1
	v_and_b32_e32 v53, 0xffff, v52
	v_mov_b64_e32 v[0:1], 0x7f80000100000000
	s_mov_b32 s9, exec_lo
	s_delay_alu instid0(VALU_DEP_2) | instskip(NEXT) | instid1(VALU_DEP_1)
	v_and_b32_e32 v52, 0x7f, v53
	v_cmpx_ne_u32_e32 0x7f, v52
	s_cbranch_execz .LBB228_1212
; %bb.1209:                             ;   in Loop: Header=BB228_1062 Depth=1
	v_dual_lshrrev_b32 v0, 3, v52 :: v_dual_bitop2_b32 v74, 7, v53 bitop3:0x40
	s_mov_b32 s16, exec_lo
	v_cmpx_gt_u32_e32 8, v52
; %bb.1210:                             ;   in Loop: Header=BB228_1062 Depth=1
	s_delay_alu instid0(VALU_DEP_2) | instskip(NEXT) | instid1(VALU_DEP_1)
	v_clz_i32_u32_e32 v0, v74
	v_min_u32_e32 v0, 32, v0
	s_delay_alu instid0(VALU_DEP_1) | instskip(SKIP_1) | instid1(VALU_DEP_2)
	v_subrev_nc_u32_e32 v1, 28, v0
	v_sub_nc_u32_e32 v0, 29, v0
	v_lshlrev_b64_e32 v[52:53], v1, v[74:75]
	s_delay_alu instid0(VALU_DEP_1)
	v_and_b32_e32 v74, 7, v52
; %bb.1211:                             ;   in Loop: Header=BB228_1062 Depth=1
	s_or_b32 exec_lo, exec_lo, s16
	s_delay_alu instid0(VALU_DEP_1) | instskip(SKIP_1) | instid1(VALU_DEP_2)
	v_dual_lshlrev_b32 v1, 16, v64 :: v_dual_lshlrev_b32 v10, 20, v74
	v_lshl_add_u32 v0, v0, 23, 0x3c000000
	v_and_b32_e32 v1, 0x80000000, v1
	s_delay_alu instid0(VALU_DEP_1)
	v_or3_b32 v1, v10, v1, v0
	v_mov_b32_e32 v0, v75
.LBB228_1212:                           ;   in Loop: Header=BB228_1062 Depth=1
	s_or_b32 exec_lo, exec_lo, s9
.LBB228_1213:                           ;   in Loop: Header=BB228_1062 Depth=1
	s_delay_alu instid0(SALU_CYCLE_1)
	s_or_b32 exec_lo, exec_lo, s8
.LBB228_1214:                           ;   in Loop: Header=BB228_1062 Depth=1
	s_delay_alu instid0(SALU_CYCLE_1) | instskip(SKIP_4) | instid1(VALU_DEP_3)
	s_or_b32 exec_lo, exec_lo, s3
	v_lshrrev_b32_e32 v65, 16, v64
	v_mov_b64_e32 v[54:55], 0
	v_mov_b64_e32 v[52:53], 0
	s_mov_b32 s3, exec_lo
	v_and_b32_e32 v66, 0xff, v65
	s_delay_alu instid0(VALU_DEP_1)
	v_cmpx_ne_u16_e32 0, v66
	s_cbranch_execz .LBB228_1222
; %bb.1215:                             ;   in Loop: Header=BB228_1062 Depth=1
	v_mov_b64_e32 v[52:53], 0x80000000
	s_mov_b32 s8, exec_lo
	v_cmpx_ne_u16_e32 0x80, v66
	s_cbranch_execz .LBB228_1221
; %bb.1216:                             ;   in Loop: Header=BB228_1062 Depth=1
	v_mov_b64_e32 v[52:53], 0x7f800001
	v_bfe_u32 v66, v64, 16, 7
	s_mov_b32 s9, exec_lo
	s_delay_alu instid0(VALU_DEP_1)
	v_cmpx_ne_u32_e32 0x7f, v66
	s_cbranch_execz .LBB228_1220
; %bb.1217:                             ;   in Loop: Header=BB228_1062 Depth=1
	v_dual_lshrrev_b32 v52, 3, v66 :: v_dual_bitop2_b32 v74, 7, v65 bitop3:0x40
	s_mov_b32 s16, exec_lo
	v_cmpx_gt_u32_e32 8, v66
; %bb.1218:                             ;   in Loop: Header=BB228_1062 Depth=1
	s_delay_alu instid0(VALU_DEP_2) | instskip(NEXT) | instid1(VALU_DEP_1)
	v_clz_i32_u32_e32 v10, v74
	v_min_u32_e32 v10, 32, v10
	s_delay_alu instid0(VALU_DEP_1) | instskip(NEXT) | instid1(VALU_DEP_1)
	v_subrev_nc_u32_e32 v52, 28, v10
	v_lshlrev_b64_e32 v[66:67], v52, v[74:75]
	v_sub_nc_u32_e32 v52, 29, v10
	s_delay_alu instid0(VALU_DEP_2)
	v_and_b32_e32 v74, 7, v66
; %bb.1219:                             ;   in Loop: Header=BB228_1062 Depth=1
	s_or_b32 exec_lo, exec_lo, s16
	s_delay_alu instid0(VALU_DEP_1) | instskip(NEXT) | instid1(VALU_DEP_3)
	v_dual_lshlrev_b32 v10, 24, v65 :: v_dual_lshlrev_b32 v53, 20, v74
	v_lshl_add_u32 v52, v52, 23, 0x3c000000
	s_delay_alu instid0(VALU_DEP_2) | instskip(NEXT) | instid1(VALU_DEP_1)
	v_and_b32_e32 v10, 0x80000000, v10
	v_or3_b32 v74, v53, v10, v52
	s_delay_alu instid0(VALU_DEP_1)
	v_mov_b64_e32 v[52:53], v[74:75]
.LBB228_1220:                           ;   in Loop: Header=BB228_1062 Depth=1
	s_or_b32 exec_lo, exec_lo, s9
.LBB228_1221:                           ;   in Loop: Header=BB228_1062 Depth=1
	s_delay_alu instid0(SALU_CYCLE_1)
	s_or_b32 exec_lo, exec_lo, s8
.LBB228_1222:                           ;   in Loop: Header=BB228_1062 Depth=1
	s_delay_alu instid0(SALU_CYCLE_1) | instskip(NEXT) | instid1(SALU_CYCLE_1)
	s_or_b32 exec_lo, exec_lo, s3
	s_mov_b32 s3, exec_lo
	v_cmpx_lt_u32_e32 0xffffff, v64
	s_cbranch_execz .LBB228_1230
; %bb.1223:                             ;   in Loop: Header=BB228_1062 Depth=1
	v_mov_b64_e32 v[54:55], 0x8000000000000000
	v_lshrrev_b32_e32 v65, 24, v64
	s_mov_b32 s8, exec_lo
	s_delay_alu instid0(VALU_DEP_1)
	v_cmpx_ne_u32_e32 0x80, v65
	s_cbranch_execz .LBB228_1229
; %bb.1224:                             ;   in Loop: Header=BB228_1062 Depth=1
	v_mov_b64_e32 v[54:55], 0x7f80000100000000
	v_bfe_u32 v64, v64, 24, 7
	s_mov_b32 s9, exec_lo
	s_delay_alu instid0(VALU_DEP_1)
	v_cmpx_ne_u32_e32 0x7f, v64
	s_cbranch_execz .LBB228_1228
; %bb.1225:                             ;   in Loop: Header=BB228_1062 Depth=1
	v_dual_lshrrev_b32 v54, 3, v64 :: v_dual_bitop2_b32 v74, 7, v65 bitop3:0x40
	s_mov_b32 s16, exec_lo
	v_cmpx_gt_u32_e32 8, v64
; %bb.1226:                             ;   in Loop: Header=BB228_1062 Depth=1
	s_delay_alu instid0(VALU_DEP_2) | instskip(NEXT) | instid1(VALU_DEP_1)
	v_clz_i32_u32_e32 v10, v74
	v_min_u32_e32 v10, 32, v10
	s_delay_alu instid0(VALU_DEP_1) | instskip(NEXT) | instid1(VALU_DEP_1)
	v_subrev_nc_u32_e32 v54, 28, v10
	v_lshlrev_b64_e32 v[66:67], v54, v[74:75]
	v_sub_nc_u32_e32 v54, 29, v10
	s_delay_alu instid0(VALU_DEP_2)
	v_and_b32_e32 v74, 7, v66
; %bb.1227:                             ;   in Loop: Header=BB228_1062 Depth=1
	s_or_b32 exec_lo, exec_lo, s16
	s_delay_alu instid0(VALU_DEP_1) | instskip(NEXT) | instid1(VALU_DEP_3)
	v_dual_lshlrev_b32 v10, 24, v65 :: v_dual_lshlrev_b32 v55, 20, v74
	v_lshl_add_u32 v54, v54, 23, 0x3c000000
	s_delay_alu instid0(VALU_DEP_2) | instskip(NEXT) | instid1(VALU_DEP_1)
	v_and_b32_e32 v10, 0x80000000, v10
	v_or3_b32 v55, v55, v10, v54
	v_mov_b32_e32 v54, v75
.LBB228_1228:                           ;   in Loop: Header=BB228_1062 Depth=1
	s_or_b32 exec_lo, exec_lo, s9
.LBB228_1229:                           ;   in Loop: Header=BB228_1062 Depth=1
	s_delay_alu instid0(SALU_CYCLE_1)
	s_or_b32 exec_lo, exec_lo, s8
.LBB228_1230:                           ;   in Loop: Header=BB228_1062 Depth=1
	s_delay_alu instid0(SALU_CYCLE_1) | instskip(SKIP_4) | instid1(VALU_DEP_3)
	s_or_b32 exec_lo, exec_lo, s3
	v_or_b32_e32 v1, v1, v51
	v_or_b32_e32 v0, v0, v50
	v_or_b32_e32 v51, v55, v53
	v_or_b32_e32 v50, v54, v52
	v_pk_mul_f32 v[0:1], v[48:49], v[0:1]
	scratch_store_b64 off, v[0:1], s32 offset:284 ; 8-byte Folded Spill
	s_wait_xcnt 0x0
	v_pk_mul_f32 v[0:1], v[48:49], v[50:51]
	scratch_store_b64 off, v[0:1], s32 offset:276 ; 8-byte Folded Spill
	s_wait_xcnt 0x0
	s_and_saveexec_b32 s3, vcc_lo
	s_cbranch_execz .LBB228_1232
; %bb.1231:                             ;   in Loop: Header=BB228_1062 Depth=1
	s_clause 0x1
	scratch_load_b64 v[0:1], off, s32 offset:200
	scratch_load_b64 v[50:51], off, s32 offset:284 th:TH_LOAD_LU
	s_wait_loadcnt 0x1
	v_cmp_lt_i32_e64 s0, v11, v0
	s_wait_loadcnt 0x0
	s_delay_alu instid0(VALU_DEP_1) | instskip(SKIP_1) | instid1(VALU_DEP_1)
	v_cndmask_b32_e64 v50, 0, v50, s0
	v_cmp_lt_i32_e64 s0, v77, v0
	v_cndmask_b32_e64 v51, 0, v51, s0
	v_cmp_lt_i32_e64 s0, v73, v0
	s_clause 0x1
	scratch_store_b64 off, v[50:51], s32 offset:284
	scratch_load_b64 v[50:51], off, s32 offset:276 th:TH_LOAD_LU
	s_wait_loadcnt 0x0
	v_cndmask_b32_e64 v50, 0, v50, s0
	v_cmp_lt_i32_e64 s0, v72, v0
	s_delay_alu instid0(VALU_DEP_1)
	v_cndmask_b32_e64 v51, 0, v51, s0
	scratch_store_b64 off, v[50:51], s32 offset:276 ; 8-byte Folded Spill
.LBB228_1232:                           ;   in Loop: Header=BB228_1062 Depth=1
	s_wait_xcnt 0x0
	s_or_b32 exec_lo, exec_lo, s3
	flat_load_b32 v64, v[96:97] offset:640
	v_mov_b64_e32 v[0:1], 0
	v_mov_b64_e32 v[50:51], 0
	s_mov_b32 s3, exec_lo
	s_wait_loadcnt_dscnt 0x0
	v_and_b32_e32 v52, 0xff, v64
	s_wait_xcnt 0x0
	s_delay_alu instid0(VALU_DEP_1)
	v_cmpx_ne_u16_e32 0, v52
	s_cbranch_execz .LBB228_1240
; %bb.1233:                             ;   in Loop: Header=BB228_1062 Depth=1
	v_mov_b64_e32 v[50:51], 0x80000000
	s_mov_b32 s8, exec_lo
	v_cmpx_ne_u16_e32 0x80, v52
	s_cbranch_execz .LBB228_1239
; %bb.1234:                             ;   in Loop: Header=BB228_1062 Depth=1
	v_mov_b64_e32 v[50:51], 0x7f800001
	v_and_b32_e32 v52, 0x7f, v64
	s_mov_b32 s9, exec_lo
	s_delay_alu instid0(VALU_DEP_1)
	v_cmpx_ne_u32_e32 0x7f, v52
	s_cbranch_execz .LBB228_1238
; %bb.1235:                             ;   in Loop: Header=BB228_1062 Depth=1
	v_and_b32_e32 v74, 7, v64
	v_lshrrev_b32_e32 v50, 3, v52
	s_mov_b32 s16, exec_lo
	v_cmpx_gt_u32_e32 8, v52
; %bb.1236:                             ;   in Loop: Header=BB228_1062 Depth=1
	s_delay_alu instid0(VALU_DEP_3) | instskip(NEXT) | instid1(VALU_DEP_1)
	v_clz_i32_u32_e32 v10, v74
	v_min_u32_e32 v10, 32, v10
	s_delay_alu instid0(VALU_DEP_1) | instskip(NEXT) | instid1(VALU_DEP_1)
	v_subrev_nc_u32_e32 v50, 28, v10
	v_lshlrev_b64_e32 v[52:53], v50, v[74:75]
	s_delay_alu instid0(VALU_DEP_1)
	v_dual_sub_nc_u32 v50, 29, v10 :: v_dual_bitop2_b32 v74, 7, v52 bitop3:0x40
; %bb.1237:                             ;   in Loop: Header=BB228_1062 Depth=1
	s_or_b32 exec_lo, exec_lo, s16
	s_delay_alu instid0(VALU_DEP_1) | instskip(NEXT) | instid1(VALU_DEP_2)
	v_dual_lshlrev_b32 v10, 24, v64 :: v_dual_lshlrev_b32 v51, 20, v74
	v_lshl_add_u32 v50, v50, 23, 0x3c000000
	s_delay_alu instid0(VALU_DEP_2) | instskip(NEXT) | instid1(VALU_DEP_1)
	v_and_b32_e32 v10, 0x80000000, v10
	v_or3_b32 v74, v51, v10, v50
	s_delay_alu instid0(VALU_DEP_1)
	v_mov_b64_e32 v[50:51], v[74:75]
.LBB228_1238:                           ;   in Loop: Header=BB228_1062 Depth=1
	s_or_b32 exec_lo, exec_lo, s9
.LBB228_1239:                           ;   in Loop: Header=BB228_1062 Depth=1
	s_delay_alu instid0(SALU_CYCLE_1)
	s_or_b32 exec_lo, exec_lo, s8
.LBB228_1240:                           ;   in Loop: Header=BB228_1062 Depth=1
	s_delay_alu instid0(SALU_CYCLE_1) | instskip(SKIP_2) | instid1(VALU_DEP_1)
	s_or_b32 exec_lo, exec_lo, s3
	v_lshrrev_b16 v52, 8, v64
	s_mov_b32 s3, exec_lo
	v_cmpx_ne_u16_e32 0, v52
	s_cbranch_execz .LBB228_1248
; %bb.1241:                             ;   in Loop: Header=BB228_1062 Depth=1
	v_mov_b64_e32 v[0:1], 0x8000000000000000
	s_mov_b32 s8, exec_lo
	v_cmpx_ne_u16_e32 0x80, v52
	s_cbranch_execz .LBB228_1247
; %bb.1242:                             ;   in Loop: Header=BB228_1062 Depth=1
	v_and_b32_e32 v53, 0xffff, v52
	v_mov_b64_e32 v[0:1], 0x7f80000100000000
	s_mov_b32 s9, exec_lo
	s_delay_alu instid0(VALU_DEP_2) | instskip(NEXT) | instid1(VALU_DEP_1)
	v_and_b32_e32 v52, 0x7f, v53
	v_cmpx_ne_u32_e32 0x7f, v52
	s_cbranch_execz .LBB228_1246
; %bb.1243:                             ;   in Loop: Header=BB228_1062 Depth=1
	v_dual_lshrrev_b32 v0, 3, v52 :: v_dual_bitop2_b32 v74, 7, v53 bitop3:0x40
	s_mov_b32 s16, exec_lo
	v_cmpx_gt_u32_e32 8, v52
; %bb.1244:                             ;   in Loop: Header=BB228_1062 Depth=1
	s_delay_alu instid0(VALU_DEP_2) | instskip(NEXT) | instid1(VALU_DEP_1)
	v_clz_i32_u32_e32 v0, v74
	v_min_u32_e32 v0, 32, v0
	s_delay_alu instid0(VALU_DEP_1) | instskip(SKIP_1) | instid1(VALU_DEP_2)
	v_subrev_nc_u32_e32 v1, 28, v0
	v_sub_nc_u32_e32 v0, 29, v0
	v_lshlrev_b64_e32 v[52:53], v1, v[74:75]
	s_delay_alu instid0(VALU_DEP_1)
	v_and_b32_e32 v74, 7, v52
; %bb.1245:                             ;   in Loop: Header=BB228_1062 Depth=1
	s_or_b32 exec_lo, exec_lo, s16
	s_delay_alu instid0(VALU_DEP_1) | instskip(SKIP_1) | instid1(VALU_DEP_2)
	v_dual_lshlrev_b32 v1, 16, v64 :: v_dual_lshlrev_b32 v10, 20, v74
	v_lshl_add_u32 v0, v0, 23, 0x3c000000
	v_and_b32_e32 v1, 0x80000000, v1
	s_delay_alu instid0(VALU_DEP_1)
	v_or3_b32 v1, v10, v1, v0
	v_mov_b32_e32 v0, v75
.LBB228_1246:                           ;   in Loop: Header=BB228_1062 Depth=1
	s_or_b32 exec_lo, exec_lo, s9
.LBB228_1247:                           ;   in Loop: Header=BB228_1062 Depth=1
	s_delay_alu instid0(SALU_CYCLE_1)
	s_or_b32 exec_lo, exec_lo, s8
.LBB228_1248:                           ;   in Loop: Header=BB228_1062 Depth=1
	s_delay_alu instid0(SALU_CYCLE_1) | instskip(SKIP_4) | instid1(VALU_DEP_3)
	s_or_b32 exec_lo, exec_lo, s3
	v_lshrrev_b32_e32 v65, 16, v64
	v_mov_b64_e32 v[54:55], 0
	v_mov_b64_e32 v[52:53], 0
	s_mov_b32 s3, exec_lo
	v_and_b32_e32 v66, 0xff, v65
	s_delay_alu instid0(VALU_DEP_1)
	v_cmpx_ne_u16_e32 0, v66
	s_cbranch_execz .LBB228_1256
; %bb.1249:                             ;   in Loop: Header=BB228_1062 Depth=1
	v_mov_b64_e32 v[52:53], 0x80000000
	s_mov_b32 s8, exec_lo
	v_cmpx_ne_u16_e32 0x80, v66
	s_cbranch_execz .LBB228_1255
; %bb.1250:                             ;   in Loop: Header=BB228_1062 Depth=1
	v_mov_b64_e32 v[52:53], 0x7f800001
	v_bfe_u32 v66, v64, 16, 7
	s_mov_b32 s9, exec_lo
	s_delay_alu instid0(VALU_DEP_1)
	v_cmpx_ne_u32_e32 0x7f, v66
	s_cbranch_execz .LBB228_1254
; %bb.1251:                             ;   in Loop: Header=BB228_1062 Depth=1
	v_dual_lshrrev_b32 v52, 3, v66 :: v_dual_bitop2_b32 v74, 7, v65 bitop3:0x40
	s_mov_b32 s16, exec_lo
	v_cmpx_gt_u32_e32 8, v66
; %bb.1252:                             ;   in Loop: Header=BB228_1062 Depth=1
	s_delay_alu instid0(VALU_DEP_2) | instskip(NEXT) | instid1(VALU_DEP_1)
	v_clz_i32_u32_e32 v10, v74
	v_min_u32_e32 v10, 32, v10
	s_delay_alu instid0(VALU_DEP_1) | instskip(NEXT) | instid1(VALU_DEP_1)
	v_subrev_nc_u32_e32 v52, 28, v10
	v_lshlrev_b64_e32 v[66:67], v52, v[74:75]
	v_sub_nc_u32_e32 v52, 29, v10
	s_delay_alu instid0(VALU_DEP_2)
	v_and_b32_e32 v74, 7, v66
; %bb.1253:                             ;   in Loop: Header=BB228_1062 Depth=1
	s_or_b32 exec_lo, exec_lo, s16
	s_delay_alu instid0(VALU_DEP_1) | instskip(NEXT) | instid1(VALU_DEP_3)
	v_dual_lshlrev_b32 v10, 24, v65 :: v_dual_lshlrev_b32 v53, 20, v74
	v_lshl_add_u32 v52, v52, 23, 0x3c000000
	s_delay_alu instid0(VALU_DEP_2) | instskip(NEXT) | instid1(VALU_DEP_1)
	v_and_b32_e32 v10, 0x80000000, v10
	v_or3_b32 v74, v53, v10, v52
	s_delay_alu instid0(VALU_DEP_1)
	v_mov_b64_e32 v[52:53], v[74:75]
.LBB228_1254:                           ;   in Loop: Header=BB228_1062 Depth=1
	s_or_b32 exec_lo, exec_lo, s9
.LBB228_1255:                           ;   in Loop: Header=BB228_1062 Depth=1
	s_delay_alu instid0(SALU_CYCLE_1)
	s_or_b32 exec_lo, exec_lo, s8
.LBB228_1256:                           ;   in Loop: Header=BB228_1062 Depth=1
	s_delay_alu instid0(SALU_CYCLE_1) | instskip(NEXT) | instid1(SALU_CYCLE_1)
	s_or_b32 exec_lo, exec_lo, s3
	s_mov_b32 s3, exec_lo
	v_cmpx_lt_u32_e32 0xffffff, v64
	s_cbranch_execz .LBB228_1264
; %bb.1257:                             ;   in Loop: Header=BB228_1062 Depth=1
	v_mov_b64_e32 v[54:55], 0x8000000000000000
	v_lshrrev_b32_e32 v65, 24, v64
	s_mov_b32 s8, exec_lo
	s_delay_alu instid0(VALU_DEP_1)
	v_cmpx_ne_u32_e32 0x80, v65
	s_cbranch_execz .LBB228_1263
; %bb.1258:                             ;   in Loop: Header=BB228_1062 Depth=1
	v_mov_b64_e32 v[54:55], 0x7f80000100000000
	v_bfe_u32 v64, v64, 24, 7
	s_mov_b32 s9, exec_lo
	s_delay_alu instid0(VALU_DEP_1)
	v_cmpx_ne_u32_e32 0x7f, v64
	s_cbranch_execz .LBB228_1262
; %bb.1259:                             ;   in Loop: Header=BB228_1062 Depth=1
	v_dual_lshrrev_b32 v54, 3, v64 :: v_dual_bitop2_b32 v74, 7, v65 bitop3:0x40
	s_mov_b32 s16, exec_lo
	v_cmpx_gt_u32_e32 8, v64
; %bb.1260:                             ;   in Loop: Header=BB228_1062 Depth=1
	s_delay_alu instid0(VALU_DEP_2) | instskip(NEXT) | instid1(VALU_DEP_1)
	v_clz_i32_u32_e32 v10, v74
	v_min_u32_e32 v10, 32, v10
	s_delay_alu instid0(VALU_DEP_1) | instskip(NEXT) | instid1(VALU_DEP_1)
	v_subrev_nc_u32_e32 v54, 28, v10
	v_lshlrev_b64_e32 v[66:67], v54, v[74:75]
	v_sub_nc_u32_e32 v54, 29, v10
	s_delay_alu instid0(VALU_DEP_2)
	v_and_b32_e32 v74, 7, v66
; %bb.1261:                             ;   in Loop: Header=BB228_1062 Depth=1
	s_or_b32 exec_lo, exec_lo, s16
	s_delay_alu instid0(VALU_DEP_1) | instskip(NEXT) | instid1(VALU_DEP_3)
	v_dual_lshlrev_b32 v10, 24, v65 :: v_dual_lshlrev_b32 v55, 20, v74
	v_lshl_add_u32 v54, v54, 23, 0x3c000000
	s_delay_alu instid0(VALU_DEP_2) | instskip(NEXT) | instid1(VALU_DEP_1)
	v_and_b32_e32 v10, 0x80000000, v10
	v_or3_b32 v55, v55, v10, v54
	v_mov_b32_e32 v54, v75
.LBB228_1262:                           ;   in Loop: Header=BB228_1062 Depth=1
	s_or_b32 exec_lo, exec_lo, s9
.LBB228_1263:                           ;   in Loop: Header=BB228_1062 Depth=1
	s_delay_alu instid0(SALU_CYCLE_1)
	s_or_b32 exec_lo, exec_lo, s8
.LBB228_1264:                           ;   in Loop: Header=BB228_1062 Depth=1
	s_delay_alu instid0(SALU_CYCLE_1) | instskip(SKIP_4) | instid1(VALU_DEP_3)
	s_or_b32 exec_lo, exec_lo, s3
	v_or_b32_e32 v1, v1, v51
	v_or_b32_e32 v0, v0, v50
	;; [unrolled: 1-line block ×4, first 2 shown]
	v_pk_mul_f32 v[0:1], v[48:49], v[0:1]
	scratch_store_b64 off, v[0:1], s32 offset:300 ; 8-byte Folded Spill
	s_wait_xcnt 0x0
	v_pk_mul_f32 v[0:1], v[48:49], v[50:51]
	scratch_store_b64 off, v[0:1], s32 offset:292 ; 8-byte Folded Spill
	s_wait_xcnt 0x0
	s_and_saveexec_b32 s3, vcc_lo
	s_cbranch_execz .LBB228_1266
; %bb.1265:                             ;   in Loop: Header=BB228_1062 Depth=1
	s_clause 0x1
	scratch_load_b64 v[0:1], off, s32 offset:200
	scratch_load_b64 v[50:51], off, s32 offset:300 th:TH_LOAD_LU
	s_wait_loadcnt 0x1
	v_cmp_lt_i32_e64 s0, v11, v0
	s_wait_loadcnt 0x0
	s_delay_alu instid0(VALU_DEP_1) | instskip(SKIP_1) | instid1(VALU_DEP_1)
	v_cndmask_b32_e64 v50, 0, v50, s0
	v_cmp_lt_i32_e64 s0, v77, v0
	v_cndmask_b32_e64 v51, 0, v51, s0
	v_cmp_lt_i32_e64 s0, v73, v0
	s_clause 0x1
	scratch_store_b64 off, v[50:51], s32 offset:300
	scratch_load_b64 v[50:51], off, s32 offset:292 th:TH_LOAD_LU
	s_wait_loadcnt 0x0
	v_cndmask_b32_e64 v50, 0, v50, s0
	v_cmp_lt_i32_e64 s0, v72, v0
	s_delay_alu instid0(VALU_DEP_1)
	v_cndmask_b32_e64 v51, 0, v51, s0
	scratch_store_b64 off, v[50:51], s32 offset:292 ; 8-byte Folded Spill
.LBB228_1266:                           ;   in Loop: Header=BB228_1062 Depth=1
	s_wait_xcnt 0x0
	s_or_b32 exec_lo, exec_lo, s3
	flat_load_b32 v64, v[96:97] offset:768
	v_mov_b64_e32 v[0:1], 0
	v_mov_b64_e32 v[50:51], 0
	s_mov_b32 s3, exec_lo
	s_wait_loadcnt_dscnt 0x0
	v_and_b32_e32 v52, 0xff, v64
	s_wait_xcnt 0x0
	s_delay_alu instid0(VALU_DEP_1)
	v_cmpx_ne_u16_e32 0, v52
	s_cbranch_execz .LBB228_1274
; %bb.1267:                             ;   in Loop: Header=BB228_1062 Depth=1
	v_mov_b64_e32 v[50:51], 0x80000000
	s_mov_b32 s8, exec_lo
	v_cmpx_ne_u16_e32 0x80, v52
	s_cbranch_execz .LBB228_1273
; %bb.1268:                             ;   in Loop: Header=BB228_1062 Depth=1
	v_mov_b64_e32 v[50:51], 0x7f800001
	v_and_b32_e32 v52, 0x7f, v64
	s_mov_b32 s9, exec_lo
	s_delay_alu instid0(VALU_DEP_1)
	v_cmpx_ne_u32_e32 0x7f, v52
	s_cbranch_execz .LBB228_1272
; %bb.1269:                             ;   in Loop: Header=BB228_1062 Depth=1
	v_and_b32_e32 v74, 7, v64
	v_lshrrev_b32_e32 v50, 3, v52
	s_mov_b32 s16, exec_lo
	v_cmpx_gt_u32_e32 8, v52
; %bb.1270:                             ;   in Loop: Header=BB228_1062 Depth=1
	s_delay_alu instid0(VALU_DEP_3) | instskip(NEXT) | instid1(VALU_DEP_1)
	v_clz_i32_u32_e32 v10, v74
	v_min_u32_e32 v10, 32, v10
	s_delay_alu instid0(VALU_DEP_1) | instskip(NEXT) | instid1(VALU_DEP_1)
	v_subrev_nc_u32_e32 v50, 28, v10
	v_lshlrev_b64_e32 v[52:53], v50, v[74:75]
	s_delay_alu instid0(VALU_DEP_1)
	v_dual_sub_nc_u32 v50, 29, v10 :: v_dual_bitop2_b32 v74, 7, v52 bitop3:0x40
; %bb.1271:                             ;   in Loop: Header=BB228_1062 Depth=1
	s_or_b32 exec_lo, exec_lo, s16
	s_delay_alu instid0(VALU_DEP_1) | instskip(NEXT) | instid1(VALU_DEP_2)
	v_dual_lshlrev_b32 v10, 24, v64 :: v_dual_lshlrev_b32 v51, 20, v74
	v_lshl_add_u32 v50, v50, 23, 0x3c000000
	s_delay_alu instid0(VALU_DEP_2) | instskip(NEXT) | instid1(VALU_DEP_1)
	v_and_b32_e32 v10, 0x80000000, v10
	v_or3_b32 v74, v51, v10, v50
	s_delay_alu instid0(VALU_DEP_1)
	v_mov_b64_e32 v[50:51], v[74:75]
.LBB228_1272:                           ;   in Loop: Header=BB228_1062 Depth=1
	s_or_b32 exec_lo, exec_lo, s9
.LBB228_1273:                           ;   in Loop: Header=BB228_1062 Depth=1
	s_delay_alu instid0(SALU_CYCLE_1)
	s_or_b32 exec_lo, exec_lo, s8
.LBB228_1274:                           ;   in Loop: Header=BB228_1062 Depth=1
	s_delay_alu instid0(SALU_CYCLE_1) | instskip(SKIP_2) | instid1(VALU_DEP_1)
	s_or_b32 exec_lo, exec_lo, s3
	v_lshrrev_b16 v52, 8, v64
	s_mov_b32 s3, exec_lo
	v_cmpx_ne_u16_e32 0, v52
	s_cbranch_execz .LBB228_1282
; %bb.1275:                             ;   in Loop: Header=BB228_1062 Depth=1
	v_mov_b64_e32 v[0:1], 0x8000000000000000
	s_mov_b32 s8, exec_lo
	v_cmpx_ne_u16_e32 0x80, v52
	s_cbranch_execz .LBB228_1281
; %bb.1276:                             ;   in Loop: Header=BB228_1062 Depth=1
	v_and_b32_e32 v53, 0xffff, v52
	v_mov_b64_e32 v[0:1], 0x7f80000100000000
	s_mov_b32 s9, exec_lo
	s_delay_alu instid0(VALU_DEP_2) | instskip(NEXT) | instid1(VALU_DEP_1)
	v_and_b32_e32 v52, 0x7f, v53
	v_cmpx_ne_u32_e32 0x7f, v52
	s_cbranch_execz .LBB228_1280
; %bb.1277:                             ;   in Loop: Header=BB228_1062 Depth=1
	v_dual_lshrrev_b32 v0, 3, v52 :: v_dual_bitop2_b32 v74, 7, v53 bitop3:0x40
	s_mov_b32 s16, exec_lo
	v_cmpx_gt_u32_e32 8, v52
; %bb.1278:                             ;   in Loop: Header=BB228_1062 Depth=1
	s_delay_alu instid0(VALU_DEP_2) | instskip(NEXT) | instid1(VALU_DEP_1)
	v_clz_i32_u32_e32 v0, v74
	v_min_u32_e32 v0, 32, v0
	s_delay_alu instid0(VALU_DEP_1) | instskip(SKIP_1) | instid1(VALU_DEP_2)
	v_subrev_nc_u32_e32 v1, 28, v0
	v_sub_nc_u32_e32 v0, 29, v0
	v_lshlrev_b64_e32 v[52:53], v1, v[74:75]
	s_delay_alu instid0(VALU_DEP_1)
	v_and_b32_e32 v74, 7, v52
; %bb.1279:                             ;   in Loop: Header=BB228_1062 Depth=1
	s_or_b32 exec_lo, exec_lo, s16
	s_delay_alu instid0(VALU_DEP_1) | instskip(SKIP_1) | instid1(VALU_DEP_2)
	v_dual_lshlrev_b32 v1, 16, v64 :: v_dual_lshlrev_b32 v10, 20, v74
	v_lshl_add_u32 v0, v0, 23, 0x3c000000
	v_and_b32_e32 v1, 0x80000000, v1
	s_delay_alu instid0(VALU_DEP_1)
	v_or3_b32 v1, v10, v1, v0
	v_mov_b32_e32 v0, v75
.LBB228_1280:                           ;   in Loop: Header=BB228_1062 Depth=1
	s_or_b32 exec_lo, exec_lo, s9
.LBB228_1281:                           ;   in Loop: Header=BB228_1062 Depth=1
	s_delay_alu instid0(SALU_CYCLE_1)
	s_or_b32 exec_lo, exec_lo, s8
.LBB228_1282:                           ;   in Loop: Header=BB228_1062 Depth=1
	s_delay_alu instid0(SALU_CYCLE_1) | instskip(SKIP_4) | instid1(VALU_DEP_3)
	s_or_b32 exec_lo, exec_lo, s3
	v_lshrrev_b32_e32 v65, 16, v64
	v_mov_b64_e32 v[54:55], 0
	v_mov_b64_e32 v[52:53], 0
	s_mov_b32 s3, exec_lo
	v_and_b32_e32 v66, 0xff, v65
	s_delay_alu instid0(VALU_DEP_1)
	v_cmpx_ne_u16_e32 0, v66
	s_cbranch_execz .LBB228_1290
; %bb.1283:                             ;   in Loop: Header=BB228_1062 Depth=1
	v_mov_b64_e32 v[52:53], 0x80000000
	s_mov_b32 s8, exec_lo
	v_cmpx_ne_u16_e32 0x80, v66
	s_cbranch_execz .LBB228_1289
; %bb.1284:                             ;   in Loop: Header=BB228_1062 Depth=1
	v_mov_b64_e32 v[52:53], 0x7f800001
	v_bfe_u32 v66, v64, 16, 7
	s_mov_b32 s9, exec_lo
	s_delay_alu instid0(VALU_DEP_1)
	v_cmpx_ne_u32_e32 0x7f, v66
	s_cbranch_execz .LBB228_1288
; %bb.1285:                             ;   in Loop: Header=BB228_1062 Depth=1
	v_dual_lshrrev_b32 v52, 3, v66 :: v_dual_bitop2_b32 v74, 7, v65 bitop3:0x40
	s_mov_b32 s16, exec_lo
	v_cmpx_gt_u32_e32 8, v66
; %bb.1286:                             ;   in Loop: Header=BB228_1062 Depth=1
	s_delay_alu instid0(VALU_DEP_2) | instskip(NEXT) | instid1(VALU_DEP_1)
	v_clz_i32_u32_e32 v10, v74
	v_min_u32_e32 v10, 32, v10
	s_delay_alu instid0(VALU_DEP_1) | instskip(NEXT) | instid1(VALU_DEP_1)
	v_subrev_nc_u32_e32 v52, 28, v10
	v_lshlrev_b64_e32 v[66:67], v52, v[74:75]
	v_sub_nc_u32_e32 v52, 29, v10
	s_delay_alu instid0(VALU_DEP_2)
	v_and_b32_e32 v74, 7, v66
; %bb.1287:                             ;   in Loop: Header=BB228_1062 Depth=1
	s_or_b32 exec_lo, exec_lo, s16
	s_delay_alu instid0(VALU_DEP_1) | instskip(NEXT) | instid1(VALU_DEP_3)
	v_dual_lshlrev_b32 v10, 24, v65 :: v_dual_lshlrev_b32 v53, 20, v74
	v_lshl_add_u32 v52, v52, 23, 0x3c000000
	s_delay_alu instid0(VALU_DEP_2) | instskip(NEXT) | instid1(VALU_DEP_1)
	v_and_b32_e32 v10, 0x80000000, v10
	v_or3_b32 v74, v53, v10, v52
	s_delay_alu instid0(VALU_DEP_1)
	v_mov_b64_e32 v[52:53], v[74:75]
.LBB228_1288:                           ;   in Loop: Header=BB228_1062 Depth=1
	s_or_b32 exec_lo, exec_lo, s9
.LBB228_1289:                           ;   in Loop: Header=BB228_1062 Depth=1
	s_delay_alu instid0(SALU_CYCLE_1)
	s_or_b32 exec_lo, exec_lo, s8
.LBB228_1290:                           ;   in Loop: Header=BB228_1062 Depth=1
	s_delay_alu instid0(SALU_CYCLE_1) | instskip(NEXT) | instid1(SALU_CYCLE_1)
	s_or_b32 exec_lo, exec_lo, s3
	s_mov_b32 s3, exec_lo
	v_cmpx_lt_u32_e32 0xffffff, v64
	s_cbranch_execz .LBB228_1298
; %bb.1291:                             ;   in Loop: Header=BB228_1062 Depth=1
	v_mov_b64_e32 v[54:55], 0x8000000000000000
	v_lshrrev_b32_e32 v65, 24, v64
	s_mov_b32 s8, exec_lo
	s_delay_alu instid0(VALU_DEP_1)
	v_cmpx_ne_u32_e32 0x80, v65
	s_cbranch_execz .LBB228_1297
; %bb.1292:                             ;   in Loop: Header=BB228_1062 Depth=1
	v_mov_b64_e32 v[54:55], 0x7f80000100000000
	v_bfe_u32 v64, v64, 24, 7
	s_mov_b32 s9, exec_lo
	s_delay_alu instid0(VALU_DEP_1)
	v_cmpx_ne_u32_e32 0x7f, v64
	s_cbranch_execz .LBB228_1296
; %bb.1293:                             ;   in Loop: Header=BB228_1062 Depth=1
	v_dual_lshrrev_b32 v54, 3, v64 :: v_dual_bitop2_b32 v74, 7, v65 bitop3:0x40
	s_mov_b32 s16, exec_lo
	v_cmpx_gt_u32_e32 8, v64
; %bb.1294:                             ;   in Loop: Header=BB228_1062 Depth=1
	s_delay_alu instid0(VALU_DEP_2) | instskip(NEXT) | instid1(VALU_DEP_1)
	v_clz_i32_u32_e32 v10, v74
	v_min_u32_e32 v10, 32, v10
	s_delay_alu instid0(VALU_DEP_1) | instskip(NEXT) | instid1(VALU_DEP_1)
	v_subrev_nc_u32_e32 v54, 28, v10
	v_lshlrev_b64_e32 v[66:67], v54, v[74:75]
	v_sub_nc_u32_e32 v54, 29, v10
	s_delay_alu instid0(VALU_DEP_2)
	v_and_b32_e32 v74, 7, v66
; %bb.1295:                             ;   in Loop: Header=BB228_1062 Depth=1
	s_or_b32 exec_lo, exec_lo, s16
	s_delay_alu instid0(VALU_DEP_1) | instskip(NEXT) | instid1(VALU_DEP_3)
	v_dual_lshlrev_b32 v10, 24, v65 :: v_dual_lshlrev_b32 v55, 20, v74
	v_lshl_add_u32 v54, v54, 23, 0x3c000000
	s_delay_alu instid0(VALU_DEP_2) | instskip(NEXT) | instid1(VALU_DEP_1)
	v_and_b32_e32 v10, 0x80000000, v10
	v_or3_b32 v55, v55, v10, v54
	v_mov_b32_e32 v54, v75
.LBB228_1296:                           ;   in Loop: Header=BB228_1062 Depth=1
	s_or_b32 exec_lo, exec_lo, s9
.LBB228_1297:                           ;   in Loop: Header=BB228_1062 Depth=1
	s_delay_alu instid0(SALU_CYCLE_1)
	s_or_b32 exec_lo, exec_lo, s8
.LBB228_1298:                           ;   in Loop: Header=BB228_1062 Depth=1
	s_delay_alu instid0(SALU_CYCLE_1) | instskip(SKIP_4) | instid1(VALU_DEP_3)
	s_or_b32 exec_lo, exec_lo, s3
	v_or_b32_e32 v1, v1, v51
	v_or_b32_e32 v0, v0, v50
	;; [unrolled: 1-line block ×4, first 2 shown]
	v_pk_mul_f32 v[0:1], v[48:49], v[0:1]
	scratch_store_b64 off, v[0:1], s32 offset:316 ; 8-byte Folded Spill
	s_wait_xcnt 0x0
	v_pk_mul_f32 v[0:1], v[48:49], v[50:51]
	scratch_store_b64 off, v[0:1], s32 offset:308 ; 8-byte Folded Spill
	s_wait_xcnt 0x0
	s_and_saveexec_b32 s3, vcc_lo
	s_cbranch_execz .LBB228_1300
; %bb.1299:                             ;   in Loop: Header=BB228_1062 Depth=1
	s_clause 0x1
	scratch_load_b64 v[0:1], off, s32 offset:200
	scratch_load_b64 v[50:51], off, s32 offset:316 th:TH_LOAD_LU
	s_wait_loadcnt 0x1
	v_cmp_lt_i32_e64 s0, v11, v0
	s_wait_loadcnt 0x0
	s_delay_alu instid0(VALU_DEP_1) | instskip(SKIP_1) | instid1(VALU_DEP_1)
	v_cndmask_b32_e64 v50, 0, v50, s0
	v_cmp_lt_i32_e64 s0, v77, v0
	v_cndmask_b32_e64 v51, 0, v51, s0
	v_cmp_lt_i32_e64 s0, v73, v0
	s_clause 0x1
	scratch_store_b64 off, v[50:51], s32 offset:316
	scratch_load_b64 v[50:51], off, s32 offset:308 th:TH_LOAD_LU
	s_wait_loadcnt 0x0
	v_cndmask_b32_e64 v50, 0, v50, s0
	v_cmp_lt_i32_e64 s0, v72, v0
	s_delay_alu instid0(VALU_DEP_1)
	v_cndmask_b32_e64 v51, 0, v51, s0
	scratch_store_b64 off, v[50:51], s32 offset:308 ; 8-byte Folded Spill
.LBB228_1300:                           ;   in Loop: Header=BB228_1062 Depth=1
	s_wait_xcnt 0x0
	s_or_b32 exec_lo, exec_lo, s3
	flat_load_b32 v64, v[96:97] offset:896
	v_mov_b64_e32 v[0:1], 0
	v_mov_b64_e32 v[50:51], 0
	s_mov_b32 s3, exec_lo
	s_wait_loadcnt_dscnt 0x0
	v_and_b32_e32 v52, 0xff, v64
	s_wait_xcnt 0x0
	s_delay_alu instid0(VALU_DEP_1)
	v_cmpx_ne_u16_e32 0, v52
	s_cbranch_execz .LBB228_1308
; %bb.1301:                             ;   in Loop: Header=BB228_1062 Depth=1
	v_mov_b64_e32 v[50:51], 0x80000000
	s_mov_b32 s8, exec_lo
	v_cmpx_ne_u16_e32 0x80, v52
	s_cbranch_execz .LBB228_1307
; %bb.1302:                             ;   in Loop: Header=BB228_1062 Depth=1
	v_mov_b64_e32 v[50:51], 0x7f800001
	v_and_b32_e32 v52, 0x7f, v64
	s_mov_b32 s9, exec_lo
	s_delay_alu instid0(VALU_DEP_1)
	v_cmpx_ne_u32_e32 0x7f, v52
	s_cbranch_execz .LBB228_1306
; %bb.1303:                             ;   in Loop: Header=BB228_1062 Depth=1
	v_and_b32_e32 v74, 7, v64
	v_lshrrev_b32_e32 v50, 3, v52
	s_mov_b32 s16, exec_lo
	v_cmpx_gt_u32_e32 8, v52
; %bb.1304:                             ;   in Loop: Header=BB228_1062 Depth=1
	s_delay_alu instid0(VALU_DEP_3) | instskip(NEXT) | instid1(VALU_DEP_1)
	v_clz_i32_u32_e32 v10, v74
	v_min_u32_e32 v10, 32, v10
	s_delay_alu instid0(VALU_DEP_1) | instskip(NEXT) | instid1(VALU_DEP_1)
	v_subrev_nc_u32_e32 v50, 28, v10
	v_lshlrev_b64_e32 v[52:53], v50, v[74:75]
	s_delay_alu instid0(VALU_DEP_1)
	v_dual_sub_nc_u32 v50, 29, v10 :: v_dual_bitop2_b32 v74, 7, v52 bitop3:0x40
; %bb.1305:                             ;   in Loop: Header=BB228_1062 Depth=1
	s_or_b32 exec_lo, exec_lo, s16
	s_delay_alu instid0(VALU_DEP_1) | instskip(NEXT) | instid1(VALU_DEP_2)
	v_dual_lshlrev_b32 v10, 24, v64 :: v_dual_lshlrev_b32 v51, 20, v74
	v_lshl_add_u32 v50, v50, 23, 0x3c000000
	s_delay_alu instid0(VALU_DEP_2) | instskip(NEXT) | instid1(VALU_DEP_1)
	v_and_b32_e32 v10, 0x80000000, v10
	v_or3_b32 v74, v51, v10, v50
	s_delay_alu instid0(VALU_DEP_1)
	v_mov_b64_e32 v[50:51], v[74:75]
.LBB228_1306:                           ;   in Loop: Header=BB228_1062 Depth=1
	s_or_b32 exec_lo, exec_lo, s9
.LBB228_1307:                           ;   in Loop: Header=BB228_1062 Depth=1
	s_delay_alu instid0(SALU_CYCLE_1)
	s_or_b32 exec_lo, exec_lo, s8
.LBB228_1308:                           ;   in Loop: Header=BB228_1062 Depth=1
	s_delay_alu instid0(SALU_CYCLE_1) | instskip(SKIP_2) | instid1(VALU_DEP_1)
	s_or_b32 exec_lo, exec_lo, s3
	v_lshrrev_b16 v52, 8, v64
	s_mov_b32 s3, exec_lo
	v_cmpx_ne_u16_e32 0, v52
	s_cbranch_execz .LBB228_1316
; %bb.1309:                             ;   in Loop: Header=BB228_1062 Depth=1
	v_mov_b64_e32 v[0:1], 0x8000000000000000
	s_mov_b32 s8, exec_lo
	v_cmpx_ne_u16_e32 0x80, v52
	s_cbranch_execz .LBB228_1315
; %bb.1310:                             ;   in Loop: Header=BB228_1062 Depth=1
	v_and_b32_e32 v53, 0xffff, v52
	v_mov_b64_e32 v[0:1], 0x7f80000100000000
	s_mov_b32 s9, exec_lo
	s_delay_alu instid0(VALU_DEP_2) | instskip(NEXT) | instid1(VALU_DEP_1)
	v_and_b32_e32 v52, 0x7f, v53
	v_cmpx_ne_u32_e32 0x7f, v52
	s_cbranch_execz .LBB228_1314
; %bb.1311:                             ;   in Loop: Header=BB228_1062 Depth=1
	v_dual_lshrrev_b32 v0, 3, v52 :: v_dual_bitop2_b32 v74, 7, v53 bitop3:0x40
	s_mov_b32 s16, exec_lo
	v_cmpx_gt_u32_e32 8, v52
; %bb.1312:                             ;   in Loop: Header=BB228_1062 Depth=1
	s_delay_alu instid0(VALU_DEP_2) | instskip(NEXT) | instid1(VALU_DEP_1)
	v_clz_i32_u32_e32 v0, v74
	v_min_u32_e32 v0, 32, v0
	s_delay_alu instid0(VALU_DEP_1) | instskip(SKIP_1) | instid1(VALU_DEP_2)
	v_subrev_nc_u32_e32 v1, 28, v0
	v_sub_nc_u32_e32 v0, 29, v0
	v_lshlrev_b64_e32 v[52:53], v1, v[74:75]
	s_delay_alu instid0(VALU_DEP_1)
	v_and_b32_e32 v74, 7, v52
; %bb.1313:                             ;   in Loop: Header=BB228_1062 Depth=1
	s_or_b32 exec_lo, exec_lo, s16
	s_delay_alu instid0(VALU_DEP_1) | instskip(SKIP_1) | instid1(VALU_DEP_2)
	v_dual_lshlrev_b32 v1, 16, v64 :: v_dual_lshlrev_b32 v10, 20, v74
	v_lshl_add_u32 v0, v0, 23, 0x3c000000
	v_and_b32_e32 v1, 0x80000000, v1
	s_delay_alu instid0(VALU_DEP_1)
	v_or3_b32 v1, v10, v1, v0
	v_mov_b32_e32 v0, v75
.LBB228_1314:                           ;   in Loop: Header=BB228_1062 Depth=1
	s_or_b32 exec_lo, exec_lo, s9
.LBB228_1315:                           ;   in Loop: Header=BB228_1062 Depth=1
	s_delay_alu instid0(SALU_CYCLE_1)
	s_or_b32 exec_lo, exec_lo, s8
.LBB228_1316:                           ;   in Loop: Header=BB228_1062 Depth=1
	s_delay_alu instid0(SALU_CYCLE_1) | instskip(SKIP_4) | instid1(VALU_DEP_3)
	s_or_b32 exec_lo, exec_lo, s3
	v_lshrrev_b32_e32 v65, 16, v64
	v_mov_b64_e32 v[54:55], 0
	v_mov_b64_e32 v[52:53], 0
	s_mov_b32 s3, exec_lo
	v_and_b32_e32 v66, 0xff, v65
	s_delay_alu instid0(VALU_DEP_1)
	v_cmpx_ne_u16_e32 0, v66
	s_cbranch_execz .LBB228_1324
; %bb.1317:                             ;   in Loop: Header=BB228_1062 Depth=1
	v_mov_b64_e32 v[52:53], 0x80000000
	s_mov_b32 s8, exec_lo
	v_cmpx_ne_u16_e32 0x80, v66
	s_cbranch_execz .LBB228_1323
; %bb.1318:                             ;   in Loop: Header=BB228_1062 Depth=1
	v_mov_b64_e32 v[52:53], 0x7f800001
	v_bfe_u32 v66, v64, 16, 7
	s_mov_b32 s9, exec_lo
	s_delay_alu instid0(VALU_DEP_1)
	v_cmpx_ne_u32_e32 0x7f, v66
	s_cbranch_execz .LBB228_1322
; %bb.1319:                             ;   in Loop: Header=BB228_1062 Depth=1
	v_dual_lshrrev_b32 v52, 3, v66 :: v_dual_bitop2_b32 v74, 7, v65 bitop3:0x40
	s_mov_b32 s16, exec_lo
	v_cmpx_gt_u32_e32 8, v66
; %bb.1320:                             ;   in Loop: Header=BB228_1062 Depth=1
	s_delay_alu instid0(VALU_DEP_2) | instskip(NEXT) | instid1(VALU_DEP_1)
	v_clz_i32_u32_e32 v10, v74
	v_min_u32_e32 v10, 32, v10
	s_delay_alu instid0(VALU_DEP_1) | instskip(NEXT) | instid1(VALU_DEP_1)
	v_subrev_nc_u32_e32 v52, 28, v10
	v_lshlrev_b64_e32 v[66:67], v52, v[74:75]
	v_sub_nc_u32_e32 v52, 29, v10
	s_delay_alu instid0(VALU_DEP_2)
	v_and_b32_e32 v74, 7, v66
; %bb.1321:                             ;   in Loop: Header=BB228_1062 Depth=1
	s_or_b32 exec_lo, exec_lo, s16
	s_delay_alu instid0(VALU_DEP_1) | instskip(NEXT) | instid1(VALU_DEP_3)
	v_dual_lshlrev_b32 v10, 24, v65 :: v_dual_lshlrev_b32 v53, 20, v74
	v_lshl_add_u32 v52, v52, 23, 0x3c000000
	s_delay_alu instid0(VALU_DEP_2) | instskip(NEXT) | instid1(VALU_DEP_1)
	v_and_b32_e32 v10, 0x80000000, v10
	v_or3_b32 v74, v53, v10, v52
	s_delay_alu instid0(VALU_DEP_1)
	v_mov_b64_e32 v[52:53], v[74:75]
.LBB228_1322:                           ;   in Loop: Header=BB228_1062 Depth=1
	s_or_b32 exec_lo, exec_lo, s9
.LBB228_1323:                           ;   in Loop: Header=BB228_1062 Depth=1
	s_delay_alu instid0(SALU_CYCLE_1)
	s_or_b32 exec_lo, exec_lo, s8
.LBB228_1324:                           ;   in Loop: Header=BB228_1062 Depth=1
	s_delay_alu instid0(SALU_CYCLE_1) | instskip(NEXT) | instid1(SALU_CYCLE_1)
	s_or_b32 exec_lo, exec_lo, s3
	s_mov_b32 s3, exec_lo
	v_cmpx_lt_u32_e32 0xffffff, v64
	s_cbranch_execz .LBB228_1332
; %bb.1325:                             ;   in Loop: Header=BB228_1062 Depth=1
	v_mov_b64_e32 v[54:55], 0x8000000000000000
	v_lshrrev_b32_e32 v65, 24, v64
	s_mov_b32 s8, exec_lo
	s_delay_alu instid0(VALU_DEP_1)
	v_cmpx_ne_u32_e32 0x80, v65
	s_cbranch_execz .LBB228_1331
; %bb.1326:                             ;   in Loop: Header=BB228_1062 Depth=1
	v_mov_b64_e32 v[54:55], 0x7f80000100000000
	v_bfe_u32 v64, v64, 24, 7
	s_mov_b32 s9, exec_lo
	s_delay_alu instid0(VALU_DEP_1)
	v_cmpx_ne_u32_e32 0x7f, v64
	s_cbranch_execz .LBB228_1330
; %bb.1327:                             ;   in Loop: Header=BB228_1062 Depth=1
	v_dual_lshrrev_b32 v54, 3, v64 :: v_dual_bitop2_b32 v74, 7, v65 bitop3:0x40
	s_mov_b32 s16, exec_lo
	v_cmpx_gt_u32_e32 8, v64
; %bb.1328:                             ;   in Loop: Header=BB228_1062 Depth=1
	s_delay_alu instid0(VALU_DEP_2) | instskip(NEXT) | instid1(VALU_DEP_1)
	v_clz_i32_u32_e32 v10, v74
	v_min_u32_e32 v10, 32, v10
	s_delay_alu instid0(VALU_DEP_1) | instskip(NEXT) | instid1(VALU_DEP_1)
	v_subrev_nc_u32_e32 v54, 28, v10
	v_lshlrev_b64_e32 v[66:67], v54, v[74:75]
	v_sub_nc_u32_e32 v54, 29, v10
	s_delay_alu instid0(VALU_DEP_2)
	v_and_b32_e32 v74, 7, v66
; %bb.1329:                             ;   in Loop: Header=BB228_1062 Depth=1
	s_or_b32 exec_lo, exec_lo, s16
	s_delay_alu instid0(VALU_DEP_1) | instskip(NEXT) | instid1(VALU_DEP_3)
	v_dual_lshlrev_b32 v10, 24, v65 :: v_dual_lshlrev_b32 v55, 20, v74
	v_lshl_add_u32 v54, v54, 23, 0x3c000000
	s_delay_alu instid0(VALU_DEP_2) | instskip(NEXT) | instid1(VALU_DEP_1)
	v_and_b32_e32 v10, 0x80000000, v10
	v_or3_b32 v55, v55, v10, v54
	v_mov_b32_e32 v54, v75
.LBB228_1330:                           ;   in Loop: Header=BB228_1062 Depth=1
	s_or_b32 exec_lo, exec_lo, s9
.LBB228_1331:                           ;   in Loop: Header=BB228_1062 Depth=1
	s_delay_alu instid0(SALU_CYCLE_1)
	s_or_b32 exec_lo, exec_lo, s8
.LBB228_1332:                           ;   in Loop: Header=BB228_1062 Depth=1
	s_delay_alu instid0(SALU_CYCLE_1) | instskip(SKIP_4) | instid1(VALU_DEP_3)
	s_or_b32 exec_lo, exec_lo, s3
	v_or_b32_e32 v1, v1, v51
	v_or_b32_e32 v0, v0, v50
	;; [unrolled: 1-line block ×4, first 2 shown]
	v_pk_mul_f32 v[0:1], v[48:49], v[0:1]
	scratch_store_b64 off, v[0:1], s32 offset:332 ; 8-byte Folded Spill
	s_wait_xcnt 0x0
	v_pk_mul_f32 v[0:1], v[48:49], v[50:51]
	scratch_store_b64 off, v[0:1], s32 offset:324 ; 8-byte Folded Spill
	s_wait_xcnt 0x0
	s_and_saveexec_b32 s3, vcc_lo
	s_cbranch_execz .LBB228_1334
; %bb.1333:                             ;   in Loop: Header=BB228_1062 Depth=1
	s_clause 0x1
	scratch_load_b64 v[0:1], off, s32 offset:200
	scratch_load_b64 v[50:51], off, s32 offset:332 th:TH_LOAD_LU
	s_wait_loadcnt 0x1
	v_cmp_lt_i32_e64 s0, v11, v0
	s_wait_loadcnt 0x0
	s_delay_alu instid0(VALU_DEP_1) | instskip(SKIP_1) | instid1(VALU_DEP_1)
	v_cndmask_b32_e64 v50, 0, v50, s0
	v_cmp_lt_i32_e64 s0, v77, v0
	v_cndmask_b32_e64 v51, 0, v51, s0
	v_cmp_lt_i32_e64 s0, v73, v0
	s_clause 0x1
	scratch_store_b64 off, v[50:51], s32 offset:332
	scratch_load_b64 v[50:51], off, s32 offset:324 th:TH_LOAD_LU
	s_wait_loadcnt 0x0
	v_cndmask_b32_e64 v50, 0, v50, s0
	v_cmp_lt_i32_e64 s0, v72, v0
	s_delay_alu instid0(VALU_DEP_1)
	v_cndmask_b32_e64 v51, 0, v51, s0
	scratch_store_b64 off, v[50:51], s32 offset:324 ; 8-byte Folded Spill
.LBB228_1334:                           ;   in Loop: Header=BB228_1062 Depth=1
	s_wait_xcnt 0x0
	s_or_b32 exec_lo, exec_lo, s3
	flat_load_b32 v64, v[96:97] offset:1024
	v_mov_b64_e32 v[0:1], 0
	v_mov_b64_e32 v[50:51], 0
	s_mov_b32 s3, exec_lo
	s_wait_loadcnt_dscnt 0x0
	v_and_b32_e32 v52, 0xff, v64
	s_wait_xcnt 0x0
	s_delay_alu instid0(VALU_DEP_1)
	v_cmpx_ne_u16_e32 0, v52
	s_cbranch_execz .LBB228_1342
; %bb.1335:                             ;   in Loop: Header=BB228_1062 Depth=1
	v_mov_b64_e32 v[50:51], 0x80000000
	s_mov_b32 s8, exec_lo
	v_cmpx_ne_u16_e32 0x80, v52
	s_cbranch_execz .LBB228_1341
; %bb.1336:                             ;   in Loop: Header=BB228_1062 Depth=1
	v_mov_b64_e32 v[50:51], 0x7f800001
	v_and_b32_e32 v52, 0x7f, v64
	s_mov_b32 s9, exec_lo
	s_delay_alu instid0(VALU_DEP_1)
	v_cmpx_ne_u32_e32 0x7f, v52
	s_cbranch_execz .LBB228_1340
; %bb.1337:                             ;   in Loop: Header=BB228_1062 Depth=1
	v_and_b32_e32 v74, 7, v64
	v_lshrrev_b32_e32 v50, 3, v52
	s_mov_b32 s16, exec_lo
	v_cmpx_gt_u32_e32 8, v52
; %bb.1338:                             ;   in Loop: Header=BB228_1062 Depth=1
	s_delay_alu instid0(VALU_DEP_3) | instskip(NEXT) | instid1(VALU_DEP_1)
	v_clz_i32_u32_e32 v10, v74
	v_min_u32_e32 v10, 32, v10
	s_delay_alu instid0(VALU_DEP_1) | instskip(NEXT) | instid1(VALU_DEP_1)
	v_subrev_nc_u32_e32 v50, 28, v10
	v_lshlrev_b64_e32 v[52:53], v50, v[74:75]
	s_delay_alu instid0(VALU_DEP_1)
	v_dual_sub_nc_u32 v50, 29, v10 :: v_dual_bitop2_b32 v74, 7, v52 bitop3:0x40
; %bb.1339:                             ;   in Loop: Header=BB228_1062 Depth=1
	s_or_b32 exec_lo, exec_lo, s16
	s_delay_alu instid0(VALU_DEP_1) | instskip(NEXT) | instid1(VALU_DEP_2)
	v_dual_lshlrev_b32 v10, 24, v64 :: v_dual_lshlrev_b32 v51, 20, v74
	v_lshl_add_u32 v50, v50, 23, 0x3c000000
	s_delay_alu instid0(VALU_DEP_2) | instskip(NEXT) | instid1(VALU_DEP_1)
	v_and_b32_e32 v10, 0x80000000, v10
	v_or3_b32 v74, v51, v10, v50
	s_delay_alu instid0(VALU_DEP_1)
	v_mov_b64_e32 v[50:51], v[74:75]
.LBB228_1340:                           ;   in Loop: Header=BB228_1062 Depth=1
	s_or_b32 exec_lo, exec_lo, s9
.LBB228_1341:                           ;   in Loop: Header=BB228_1062 Depth=1
	s_delay_alu instid0(SALU_CYCLE_1)
	s_or_b32 exec_lo, exec_lo, s8
.LBB228_1342:                           ;   in Loop: Header=BB228_1062 Depth=1
	s_delay_alu instid0(SALU_CYCLE_1) | instskip(SKIP_2) | instid1(VALU_DEP_1)
	s_or_b32 exec_lo, exec_lo, s3
	v_lshrrev_b16 v52, 8, v64
	s_mov_b32 s3, exec_lo
	v_cmpx_ne_u16_e32 0, v52
	s_cbranch_execz .LBB228_1350
; %bb.1343:                             ;   in Loop: Header=BB228_1062 Depth=1
	v_mov_b64_e32 v[0:1], 0x8000000000000000
	s_mov_b32 s8, exec_lo
	v_cmpx_ne_u16_e32 0x80, v52
	s_cbranch_execz .LBB228_1349
; %bb.1344:                             ;   in Loop: Header=BB228_1062 Depth=1
	v_and_b32_e32 v53, 0xffff, v52
	v_mov_b64_e32 v[0:1], 0x7f80000100000000
	s_mov_b32 s9, exec_lo
	s_delay_alu instid0(VALU_DEP_2) | instskip(NEXT) | instid1(VALU_DEP_1)
	v_and_b32_e32 v52, 0x7f, v53
	v_cmpx_ne_u32_e32 0x7f, v52
	s_cbranch_execz .LBB228_1348
; %bb.1345:                             ;   in Loop: Header=BB228_1062 Depth=1
	v_dual_lshrrev_b32 v0, 3, v52 :: v_dual_bitop2_b32 v74, 7, v53 bitop3:0x40
	s_mov_b32 s16, exec_lo
	v_cmpx_gt_u32_e32 8, v52
; %bb.1346:                             ;   in Loop: Header=BB228_1062 Depth=1
	s_delay_alu instid0(VALU_DEP_2) | instskip(NEXT) | instid1(VALU_DEP_1)
	v_clz_i32_u32_e32 v0, v74
	v_min_u32_e32 v0, 32, v0
	s_delay_alu instid0(VALU_DEP_1) | instskip(SKIP_1) | instid1(VALU_DEP_2)
	v_subrev_nc_u32_e32 v1, 28, v0
	v_sub_nc_u32_e32 v0, 29, v0
	v_lshlrev_b64_e32 v[52:53], v1, v[74:75]
	s_delay_alu instid0(VALU_DEP_1)
	v_and_b32_e32 v74, 7, v52
; %bb.1347:                             ;   in Loop: Header=BB228_1062 Depth=1
	s_or_b32 exec_lo, exec_lo, s16
	s_delay_alu instid0(VALU_DEP_1) | instskip(SKIP_1) | instid1(VALU_DEP_2)
	v_dual_lshlrev_b32 v1, 16, v64 :: v_dual_lshlrev_b32 v10, 20, v74
	v_lshl_add_u32 v0, v0, 23, 0x3c000000
	v_and_b32_e32 v1, 0x80000000, v1
	s_delay_alu instid0(VALU_DEP_1)
	v_or3_b32 v1, v10, v1, v0
	v_mov_b32_e32 v0, v75
.LBB228_1348:                           ;   in Loop: Header=BB228_1062 Depth=1
	s_or_b32 exec_lo, exec_lo, s9
.LBB228_1349:                           ;   in Loop: Header=BB228_1062 Depth=1
	s_delay_alu instid0(SALU_CYCLE_1)
	s_or_b32 exec_lo, exec_lo, s8
.LBB228_1350:                           ;   in Loop: Header=BB228_1062 Depth=1
	s_delay_alu instid0(SALU_CYCLE_1) | instskip(SKIP_4) | instid1(VALU_DEP_3)
	s_or_b32 exec_lo, exec_lo, s3
	v_lshrrev_b32_e32 v65, 16, v64
	v_mov_b64_e32 v[54:55], 0
	v_mov_b64_e32 v[52:53], 0
	s_mov_b32 s3, exec_lo
	v_and_b32_e32 v66, 0xff, v65
	s_delay_alu instid0(VALU_DEP_1)
	v_cmpx_ne_u16_e32 0, v66
	s_cbranch_execz .LBB228_1358
; %bb.1351:                             ;   in Loop: Header=BB228_1062 Depth=1
	v_mov_b64_e32 v[52:53], 0x80000000
	s_mov_b32 s8, exec_lo
	v_cmpx_ne_u16_e32 0x80, v66
	s_cbranch_execz .LBB228_1357
; %bb.1352:                             ;   in Loop: Header=BB228_1062 Depth=1
	v_mov_b64_e32 v[52:53], 0x7f800001
	v_bfe_u32 v66, v64, 16, 7
	s_mov_b32 s9, exec_lo
	s_delay_alu instid0(VALU_DEP_1)
	v_cmpx_ne_u32_e32 0x7f, v66
	s_cbranch_execz .LBB228_1356
; %bb.1353:                             ;   in Loop: Header=BB228_1062 Depth=1
	v_dual_lshrrev_b32 v52, 3, v66 :: v_dual_bitop2_b32 v74, 7, v65 bitop3:0x40
	s_mov_b32 s16, exec_lo
	v_cmpx_gt_u32_e32 8, v66
; %bb.1354:                             ;   in Loop: Header=BB228_1062 Depth=1
	s_delay_alu instid0(VALU_DEP_2) | instskip(NEXT) | instid1(VALU_DEP_1)
	v_clz_i32_u32_e32 v10, v74
	v_min_u32_e32 v10, 32, v10
	s_delay_alu instid0(VALU_DEP_1) | instskip(NEXT) | instid1(VALU_DEP_1)
	v_subrev_nc_u32_e32 v52, 28, v10
	v_lshlrev_b64_e32 v[66:67], v52, v[74:75]
	v_sub_nc_u32_e32 v52, 29, v10
	s_delay_alu instid0(VALU_DEP_2)
	v_and_b32_e32 v74, 7, v66
; %bb.1355:                             ;   in Loop: Header=BB228_1062 Depth=1
	s_or_b32 exec_lo, exec_lo, s16
	s_delay_alu instid0(VALU_DEP_1) | instskip(NEXT) | instid1(VALU_DEP_3)
	v_dual_lshlrev_b32 v10, 24, v65 :: v_dual_lshlrev_b32 v53, 20, v74
	v_lshl_add_u32 v52, v52, 23, 0x3c000000
	s_delay_alu instid0(VALU_DEP_2) | instskip(NEXT) | instid1(VALU_DEP_1)
	v_and_b32_e32 v10, 0x80000000, v10
	v_or3_b32 v74, v53, v10, v52
	s_delay_alu instid0(VALU_DEP_1)
	v_mov_b64_e32 v[52:53], v[74:75]
.LBB228_1356:                           ;   in Loop: Header=BB228_1062 Depth=1
	s_or_b32 exec_lo, exec_lo, s9
.LBB228_1357:                           ;   in Loop: Header=BB228_1062 Depth=1
	s_delay_alu instid0(SALU_CYCLE_1)
	s_or_b32 exec_lo, exec_lo, s8
.LBB228_1358:                           ;   in Loop: Header=BB228_1062 Depth=1
	s_delay_alu instid0(SALU_CYCLE_1) | instskip(NEXT) | instid1(SALU_CYCLE_1)
	s_or_b32 exec_lo, exec_lo, s3
	s_mov_b32 s3, exec_lo
	v_cmpx_lt_u32_e32 0xffffff, v64
	s_cbranch_execz .LBB228_1366
; %bb.1359:                             ;   in Loop: Header=BB228_1062 Depth=1
	v_mov_b64_e32 v[54:55], 0x8000000000000000
	v_lshrrev_b32_e32 v65, 24, v64
	s_mov_b32 s8, exec_lo
	s_delay_alu instid0(VALU_DEP_1)
	v_cmpx_ne_u32_e32 0x80, v65
	s_cbranch_execz .LBB228_1365
; %bb.1360:                             ;   in Loop: Header=BB228_1062 Depth=1
	v_mov_b64_e32 v[54:55], 0x7f80000100000000
	v_bfe_u32 v64, v64, 24, 7
	s_mov_b32 s9, exec_lo
	s_delay_alu instid0(VALU_DEP_1)
	v_cmpx_ne_u32_e32 0x7f, v64
	s_cbranch_execz .LBB228_1364
; %bb.1361:                             ;   in Loop: Header=BB228_1062 Depth=1
	v_dual_lshrrev_b32 v54, 3, v64 :: v_dual_bitop2_b32 v74, 7, v65 bitop3:0x40
	s_mov_b32 s16, exec_lo
	v_cmpx_gt_u32_e32 8, v64
; %bb.1362:                             ;   in Loop: Header=BB228_1062 Depth=1
	s_delay_alu instid0(VALU_DEP_2) | instskip(NEXT) | instid1(VALU_DEP_1)
	v_clz_i32_u32_e32 v10, v74
	v_min_u32_e32 v10, 32, v10
	s_delay_alu instid0(VALU_DEP_1) | instskip(NEXT) | instid1(VALU_DEP_1)
	v_subrev_nc_u32_e32 v54, 28, v10
	v_lshlrev_b64_e32 v[66:67], v54, v[74:75]
	v_sub_nc_u32_e32 v54, 29, v10
	s_delay_alu instid0(VALU_DEP_2)
	v_and_b32_e32 v74, 7, v66
; %bb.1363:                             ;   in Loop: Header=BB228_1062 Depth=1
	s_or_b32 exec_lo, exec_lo, s16
	s_delay_alu instid0(VALU_DEP_1) | instskip(NEXT) | instid1(VALU_DEP_3)
	v_dual_lshlrev_b32 v10, 24, v65 :: v_dual_lshlrev_b32 v55, 20, v74
	v_lshl_add_u32 v54, v54, 23, 0x3c000000
	s_delay_alu instid0(VALU_DEP_2) | instskip(NEXT) | instid1(VALU_DEP_1)
	v_and_b32_e32 v10, 0x80000000, v10
	v_or3_b32 v55, v55, v10, v54
	v_mov_b32_e32 v54, v75
.LBB228_1364:                           ;   in Loop: Header=BB228_1062 Depth=1
	s_or_b32 exec_lo, exec_lo, s9
.LBB228_1365:                           ;   in Loop: Header=BB228_1062 Depth=1
	s_delay_alu instid0(SALU_CYCLE_1)
	s_or_b32 exec_lo, exec_lo, s8
.LBB228_1366:                           ;   in Loop: Header=BB228_1062 Depth=1
	s_delay_alu instid0(SALU_CYCLE_1) | instskip(SKIP_4) | instid1(VALU_DEP_3)
	s_or_b32 exec_lo, exec_lo, s3
	v_or_b32_e32 v1, v1, v51
	v_or_b32_e32 v0, v0, v50
	;; [unrolled: 1-line block ×4, first 2 shown]
	v_pk_mul_f32 v[0:1], v[48:49], v[0:1]
	scratch_store_b64 off, v[0:1], s32 offset:348 ; 8-byte Folded Spill
	s_wait_xcnt 0x0
	v_pk_mul_f32 v[0:1], v[48:49], v[50:51]
	scratch_store_b64 off, v[0:1], s32 offset:340 ; 8-byte Folded Spill
	s_wait_xcnt 0x0
	s_and_saveexec_b32 s3, vcc_lo
	s_cbranch_execz .LBB228_1368
; %bb.1367:                             ;   in Loop: Header=BB228_1062 Depth=1
	s_clause 0x1
	scratch_load_b64 v[0:1], off, s32 offset:200
	scratch_load_b64 v[50:51], off, s32 offset:348 th:TH_LOAD_LU
	s_wait_loadcnt 0x1
	v_cmp_lt_i32_e64 s0, v11, v0
	s_wait_loadcnt 0x0
	s_delay_alu instid0(VALU_DEP_1) | instskip(SKIP_1) | instid1(VALU_DEP_1)
	v_cndmask_b32_e64 v50, 0, v50, s0
	v_cmp_lt_i32_e64 s0, v77, v0
	v_cndmask_b32_e64 v51, 0, v51, s0
	v_cmp_lt_i32_e64 s0, v73, v0
	s_clause 0x1
	scratch_store_b64 off, v[50:51], s32 offset:348
	scratch_load_b64 v[50:51], off, s32 offset:340 th:TH_LOAD_LU
	s_wait_loadcnt 0x0
	v_cndmask_b32_e64 v50, 0, v50, s0
	v_cmp_lt_i32_e64 s0, v72, v0
	s_delay_alu instid0(VALU_DEP_1)
	v_cndmask_b32_e64 v51, 0, v51, s0
	scratch_store_b64 off, v[50:51], s32 offset:340 ; 8-byte Folded Spill
.LBB228_1368:                           ;   in Loop: Header=BB228_1062 Depth=1
	s_wait_xcnt 0x0
	s_or_b32 exec_lo, exec_lo, s3
	flat_load_b32 v64, v[96:97] offset:1152
	v_mov_b64_e32 v[0:1], 0
	v_mov_b64_e32 v[50:51], 0
	s_mov_b32 s3, exec_lo
	s_wait_loadcnt_dscnt 0x0
	v_and_b32_e32 v52, 0xff, v64
	s_wait_xcnt 0x0
	s_delay_alu instid0(VALU_DEP_1)
	v_cmpx_ne_u16_e32 0, v52
	s_cbranch_execz .LBB228_1376
; %bb.1369:                             ;   in Loop: Header=BB228_1062 Depth=1
	v_mov_b64_e32 v[50:51], 0x80000000
	s_mov_b32 s8, exec_lo
	v_cmpx_ne_u16_e32 0x80, v52
	s_cbranch_execz .LBB228_1375
; %bb.1370:                             ;   in Loop: Header=BB228_1062 Depth=1
	v_mov_b64_e32 v[50:51], 0x7f800001
	v_and_b32_e32 v52, 0x7f, v64
	s_mov_b32 s9, exec_lo
	s_delay_alu instid0(VALU_DEP_1)
	v_cmpx_ne_u32_e32 0x7f, v52
	s_cbranch_execz .LBB228_1374
; %bb.1371:                             ;   in Loop: Header=BB228_1062 Depth=1
	v_and_b32_e32 v74, 7, v64
	v_lshrrev_b32_e32 v50, 3, v52
	s_mov_b32 s16, exec_lo
	v_cmpx_gt_u32_e32 8, v52
; %bb.1372:                             ;   in Loop: Header=BB228_1062 Depth=1
	s_delay_alu instid0(VALU_DEP_3) | instskip(NEXT) | instid1(VALU_DEP_1)
	v_clz_i32_u32_e32 v10, v74
	v_min_u32_e32 v10, 32, v10
	s_delay_alu instid0(VALU_DEP_1) | instskip(NEXT) | instid1(VALU_DEP_1)
	v_subrev_nc_u32_e32 v50, 28, v10
	v_lshlrev_b64_e32 v[52:53], v50, v[74:75]
	s_delay_alu instid0(VALU_DEP_1)
	v_dual_sub_nc_u32 v50, 29, v10 :: v_dual_bitop2_b32 v74, 7, v52 bitop3:0x40
; %bb.1373:                             ;   in Loop: Header=BB228_1062 Depth=1
	s_or_b32 exec_lo, exec_lo, s16
	s_delay_alu instid0(VALU_DEP_1) | instskip(NEXT) | instid1(VALU_DEP_2)
	v_dual_lshlrev_b32 v10, 24, v64 :: v_dual_lshlrev_b32 v51, 20, v74
	v_lshl_add_u32 v50, v50, 23, 0x3c000000
	s_delay_alu instid0(VALU_DEP_2) | instskip(NEXT) | instid1(VALU_DEP_1)
	v_and_b32_e32 v10, 0x80000000, v10
	v_or3_b32 v74, v51, v10, v50
	s_delay_alu instid0(VALU_DEP_1)
	v_mov_b64_e32 v[50:51], v[74:75]
.LBB228_1374:                           ;   in Loop: Header=BB228_1062 Depth=1
	s_or_b32 exec_lo, exec_lo, s9
.LBB228_1375:                           ;   in Loop: Header=BB228_1062 Depth=1
	s_delay_alu instid0(SALU_CYCLE_1)
	s_or_b32 exec_lo, exec_lo, s8
.LBB228_1376:                           ;   in Loop: Header=BB228_1062 Depth=1
	s_delay_alu instid0(SALU_CYCLE_1) | instskip(SKIP_2) | instid1(VALU_DEP_1)
	s_or_b32 exec_lo, exec_lo, s3
	v_lshrrev_b16 v52, 8, v64
	s_mov_b32 s3, exec_lo
	v_cmpx_ne_u16_e32 0, v52
	s_cbranch_execz .LBB228_1384
; %bb.1377:                             ;   in Loop: Header=BB228_1062 Depth=1
	v_mov_b64_e32 v[0:1], 0x8000000000000000
	s_mov_b32 s8, exec_lo
	v_cmpx_ne_u16_e32 0x80, v52
	s_cbranch_execz .LBB228_1383
; %bb.1378:                             ;   in Loop: Header=BB228_1062 Depth=1
	v_and_b32_e32 v53, 0xffff, v52
	v_mov_b64_e32 v[0:1], 0x7f80000100000000
	s_mov_b32 s9, exec_lo
	s_delay_alu instid0(VALU_DEP_2) | instskip(NEXT) | instid1(VALU_DEP_1)
	v_and_b32_e32 v52, 0x7f, v53
	v_cmpx_ne_u32_e32 0x7f, v52
	s_cbranch_execz .LBB228_1382
; %bb.1379:                             ;   in Loop: Header=BB228_1062 Depth=1
	v_dual_lshrrev_b32 v0, 3, v52 :: v_dual_bitop2_b32 v74, 7, v53 bitop3:0x40
	s_mov_b32 s16, exec_lo
	v_cmpx_gt_u32_e32 8, v52
; %bb.1380:                             ;   in Loop: Header=BB228_1062 Depth=1
	s_delay_alu instid0(VALU_DEP_2) | instskip(NEXT) | instid1(VALU_DEP_1)
	v_clz_i32_u32_e32 v0, v74
	v_min_u32_e32 v0, 32, v0
	s_delay_alu instid0(VALU_DEP_1) | instskip(SKIP_1) | instid1(VALU_DEP_2)
	v_subrev_nc_u32_e32 v1, 28, v0
	v_sub_nc_u32_e32 v0, 29, v0
	v_lshlrev_b64_e32 v[52:53], v1, v[74:75]
	s_delay_alu instid0(VALU_DEP_1)
	v_and_b32_e32 v74, 7, v52
; %bb.1381:                             ;   in Loop: Header=BB228_1062 Depth=1
	s_or_b32 exec_lo, exec_lo, s16
	s_delay_alu instid0(VALU_DEP_1) | instskip(SKIP_1) | instid1(VALU_DEP_2)
	v_dual_lshlrev_b32 v1, 16, v64 :: v_dual_lshlrev_b32 v10, 20, v74
	v_lshl_add_u32 v0, v0, 23, 0x3c000000
	v_and_b32_e32 v1, 0x80000000, v1
	s_delay_alu instid0(VALU_DEP_1)
	v_or3_b32 v1, v10, v1, v0
	v_mov_b32_e32 v0, v75
.LBB228_1382:                           ;   in Loop: Header=BB228_1062 Depth=1
	s_or_b32 exec_lo, exec_lo, s9
.LBB228_1383:                           ;   in Loop: Header=BB228_1062 Depth=1
	s_delay_alu instid0(SALU_CYCLE_1)
	s_or_b32 exec_lo, exec_lo, s8
.LBB228_1384:                           ;   in Loop: Header=BB228_1062 Depth=1
	s_delay_alu instid0(SALU_CYCLE_1) | instskip(SKIP_4) | instid1(VALU_DEP_3)
	s_or_b32 exec_lo, exec_lo, s3
	v_lshrrev_b32_e32 v65, 16, v64
	v_mov_b64_e32 v[54:55], 0
	v_mov_b64_e32 v[52:53], 0
	s_mov_b32 s3, exec_lo
	v_and_b32_e32 v66, 0xff, v65
	s_delay_alu instid0(VALU_DEP_1)
	v_cmpx_ne_u16_e32 0, v66
	s_cbranch_execz .LBB228_1392
; %bb.1385:                             ;   in Loop: Header=BB228_1062 Depth=1
	v_mov_b64_e32 v[52:53], 0x80000000
	s_mov_b32 s8, exec_lo
	v_cmpx_ne_u16_e32 0x80, v66
	s_cbranch_execz .LBB228_1391
; %bb.1386:                             ;   in Loop: Header=BB228_1062 Depth=1
	v_mov_b64_e32 v[52:53], 0x7f800001
	v_bfe_u32 v66, v64, 16, 7
	s_mov_b32 s9, exec_lo
	s_delay_alu instid0(VALU_DEP_1)
	v_cmpx_ne_u32_e32 0x7f, v66
	s_cbranch_execz .LBB228_1390
; %bb.1387:                             ;   in Loop: Header=BB228_1062 Depth=1
	v_dual_lshrrev_b32 v52, 3, v66 :: v_dual_bitop2_b32 v74, 7, v65 bitop3:0x40
	s_mov_b32 s16, exec_lo
	v_cmpx_gt_u32_e32 8, v66
; %bb.1388:                             ;   in Loop: Header=BB228_1062 Depth=1
	s_delay_alu instid0(VALU_DEP_2) | instskip(NEXT) | instid1(VALU_DEP_1)
	v_clz_i32_u32_e32 v10, v74
	v_min_u32_e32 v10, 32, v10
	s_delay_alu instid0(VALU_DEP_1) | instskip(NEXT) | instid1(VALU_DEP_1)
	v_subrev_nc_u32_e32 v52, 28, v10
	v_lshlrev_b64_e32 v[66:67], v52, v[74:75]
	v_sub_nc_u32_e32 v52, 29, v10
	s_delay_alu instid0(VALU_DEP_2)
	v_and_b32_e32 v74, 7, v66
; %bb.1389:                             ;   in Loop: Header=BB228_1062 Depth=1
	s_or_b32 exec_lo, exec_lo, s16
	s_delay_alu instid0(VALU_DEP_1) | instskip(NEXT) | instid1(VALU_DEP_3)
	v_dual_lshlrev_b32 v10, 24, v65 :: v_dual_lshlrev_b32 v53, 20, v74
	v_lshl_add_u32 v52, v52, 23, 0x3c000000
	s_delay_alu instid0(VALU_DEP_2) | instskip(NEXT) | instid1(VALU_DEP_1)
	v_and_b32_e32 v10, 0x80000000, v10
	v_or3_b32 v74, v53, v10, v52
	s_delay_alu instid0(VALU_DEP_1)
	v_mov_b64_e32 v[52:53], v[74:75]
.LBB228_1390:                           ;   in Loop: Header=BB228_1062 Depth=1
	s_or_b32 exec_lo, exec_lo, s9
.LBB228_1391:                           ;   in Loop: Header=BB228_1062 Depth=1
	s_delay_alu instid0(SALU_CYCLE_1)
	s_or_b32 exec_lo, exec_lo, s8
.LBB228_1392:                           ;   in Loop: Header=BB228_1062 Depth=1
	s_delay_alu instid0(SALU_CYCLE_1) | instskip(NEXT) | instid1(SALU_CYCLE_1)
	s_or_b32 exec_lo, exec_lo, s3
	s_mov_b32 s3, exec_lo
	v_cmpx_lt_u32_e32 0xffffff, v64
	s_cbranch_execz .LBB228_1400
; %bb.1393:                             ;   in Loop: Header=BB228_1062 Depth=1
	v_mov_b64_e32 v[54:55], 0x8000000000000000
	v_lshrrev_b32_e32 v65, 24, v64
	s_mov_b32 s8, exec_lo
	s_delay_alu instid0(VALU_DEP_1)
	v_cmpx_ne_u32_e32 0x80, v65
	s_cbranch_execz .LBB228_1399
; %bb.1394:                             ;   in Loop: Header=BB228_1062 Depth=1
	v_mov_b64_e32 v[54:55], 0x7f80000100000000
	v_bfe_u32 v64, v64, 24, 7
	s_mov_b32 s9, exec_lo
	s_delay_alu instid0(VALU_DEP_1)
	v_cmpx_ne_u32_e32 0x7f, v64
	s_cbranch_execz .LBB228_1398
; %bb.1395:                             ;   in Loop: Header=BB228_1062 Depth=1
	v_dual_lshrrev_b32 v54, 3, v64 :: v_dual_bitop2_b32 v74, 7, v65 bitop3:0x40
	s_mov_b32 s16, exec_lo
	v_cmpx_gt_u32_e32 8, v64
; %bb.1396:                             ;   in Loop: Header=BB228_1062 Depth=1
	s_delay_alu instid0(VALU_DEP_2) | instskip(NEXT) | instid1(VALU_DEP_1)
	v_clz_i32_u32_e32 v10, v74
	v_min_u32_e32 v10, 32, v10
	s_delay_alu instid0(VALU_DEP_1) | instskip(NEXT) | instid1(VALU_DEP_1)
	v_subrev_nc_u32_e32 v54, 28, v10
	v_lshlrev_b64_e32 v[66:67], v54, v[74:75]
	v_sub_nc_u32_e32 v54, 29, v10
	s_delay_alu instid0(VALU_DEP_2)
	v_and_b32_e32 v74, 7, v66
; %bb.1397:                             ;   in Loop: Header=BB228_1062 Depth=1
	s_or_b32 exec_lo, exec_lo, s16
	s_delay_alu instid0(VALU_DEP_1) | instskip(NEXT) | instid1(VALU_DEP_3)
	v_dual_lshlrev_b32 v10, 24, v65 :: v_dual_lshlrev_b32 v55, 20, v74
	v_lshl_add_u32 v54, v54, 23, 0x3c000000
	s_delay_alu instid0(VALU_DEP_2) | instskip(NEXT) | instid1(VALU_DEP_1)
	v_and_b32_e32 v10, 0x80000000, v10
	v_or3_b32 v55, v55, v10, v54
	v_mov_b32_e32 v54, v75
.LBB228_1398:                           ;   in Loop: Header=BB228_1062 Depth=1
	s_or_b32 exec_lo, exec_lo, s9
.LBB228_1399:                           ;   in Loop: Header=BB228_1062 Depth=1
	s_delay_alu instid0(SALU_CYCLE_1)
	s_or_b32 exec_lo, exec_lo, s8
.LBB228_1400:                           ;   in Loop: Header=BB228_1062 Depth=1
	s_delay_alu instid0(SALU_CYCLE_1) | instskip(SKIP_4) | instid1(VALU_DEP_3)
	s_or_b32 exec_lo, exec_lo, s3
	v_or_b32_e32 v1, v1, v51
	v_or_b32_e32 v0, v0, v50
	;; [unrolled: 1-line block ×4, first 2 shown]
	v_pk_mul_f32 v[0:1], v[48:49], v[0:1]
	scratch_store_b64 off, v[0:1], s32 offset:364 ; 8-byte Folded Spill
	s_wait_xcnt 0x0
	v_pk_mul_f32 v[0:1], v[48:49], v[50:51]
	scratch_store_b64 off, v[0:1], s32 offset:356 ; 8-byte Folded Spill
	s_wait_xcnt 0x0
	s_and_saveexec_b32 s3, vcc_lo
	s_cbranch_execz .LBB228_1402
; %bb.1401:                             ;   in Loop: Header=BB228_1062 Depth=1
	s_clause 0x1
	scratch_load_b64 v[0:1], off, s32 offset:200
	scratch_load_b64 v[50:51], off, s32 offset:364 th:TH_LOAD_LU
	s_wait_loadcnt 0x1
	v_cmp_lt_i32_e64 s0, v11, v0
	s_wait_loadcnt 0x0
	s_delay_alu instid0(VALU_DEP_1) | instskip(SKIP_1) | instid1(VALU_DEP_1)
	v_cndmask_b32_e64 v50, 0, v50, s0
	v_cmp_lt_i32_e64 s0, v77, v0
	v_cndmask_b32_e64 v51, 0, v51, s0
	v_cmp_lt_i32_e64 s0, v73, v0
	s_clause 0x1
	scratch_store_b64 off, v[50:51], s32 offset:364
	scratch_load_b64 v[50:51], off, s32 offset:356 th:TH_LOAD_LU
	s_wait_loadcnt 0x0
	v_cndmask_b32_e64 v50, 0, v50, s0
	v_cmp_lt_i32_e64 s0, v72, v0
	s_delay_alu instid0(VALU_DEP_1)
	v_cndmask_b32_e64 v51, 0, v51, s0
	scratch_store_b64 off, v[50:51], s32 offset:356 ; 8-byte Folded Spill
.LBB228_1402:                           ;   in Loop: Header=BB228_1062 Depth=1
	s_wait_xcnt 0x0
	s_or_b32 exec_lo, exec_lo, s3
	flat_load_b32 v64, v[96:97] offset:1280
	v_mov_b64_e32 v[0:1], 0
	v_mov_b64_e32 v[50:51], 0
	s_mov_b32 s3, exec_lo
	s_wait_loadcnt_dscnt 0x0
	v_and_b32_e32 v52, 0xff, v64
	s_wait_xcnt 0x0
	s_delay_alu instid0(VALU_DEP_1)
	v_cmpx_ne_u16_e32 0, v52
	s_cbranch_execz .LBB228_1410
; %bb.1403:                             ;   in Loop: Header=BB228_1062 Depth=1
	v_mov_b64_e32 v[50:51], 0x80000000
	s_mov_b32 s8, exec_lo
	v_cmpx_ne_u16_e32 0x80, v52
	s_cbranch_execz .LBB228_1409
; %bb.1404:                             ;   in Loop: Header=BB228_1062 Depth=1
	v_mov_b64_e32 v[50:51], 0x7f800001
	v_and_b32_e32 v52, 0x7f, v64
	s_mov_b32 s9, exec_lo
	s_delay_alu instid0(VALU_DEP_1)
	v_cmpx_ne_u32_e32 0x7f, v52
	s_cbranch_execz .LBB228_1408
; %bb.1405:                             ;   in Loop: Header=BB228_1062 Depth=1
	v_and_b32_e32 v74, 7, v64
	v_lshrrev_b32_e32 v50, 3, v52
	s_mov_b32 s16, exec_lo
	v_cmpx_gt_u32_e32 8, v52
; %bb.1406:                             ;   in Loop: Header=BB228_1062 Depth=1
	s_delay_alu instid0(VALU_DEP_3) | instskip(NEXT) | instid1(VALU_DEP_1)
	v_clz_i32_u32_e32 v10, v74
	v_min_u32_e32 v10, 32, v10
	s_delay_alu instid0(VALU_DEP_1) | instskip(NEXT) | instid1(VALU_DEP_1)
	v_subrev_nc_u32_e32 v50, 28, v10
	v_lshlrev_b64_e32 v[52:53], v50, v[74:75]
	s_delay_alu instid0(VALU_DEP_1)
	v_dual_sub_nc_u32 v50, 29, v10 :: v_dual_bitop2_b32 v74, 7, v52 bitop3:0x40
; %bb.1407:                             ;   in Loop: Header=BB228_1062 Depth=1
	s_or_b32 exec_lo, exec_lo, s16
	s_delay_alu instid0(VALU_DEP_1) | instskip(NEXT) | instid1(VALU_DEP_2)
	v_dual_lshlrev_b32 v10, 24, v64 :: v_dual_lshlrev_b32 v51, 20, v74
	v_lshl_add_u32 v50, v50, 23, 0x3c000000
	s_delay_alu instid0(VALU_DEP_2) | instskip(NEXT) | instid1(VALU_DEP_1)
	v_and_b32_e32 v10, 0x80000000, v10
	v_or3_b32 v74, v51, v10, v50
	s_delay_alu instid0(VALU_DEP_1)
	v_mov_b64_e32 v[50:51], v[74:75]
.LBB228_1408:                           ;   in Loop: Header=BB228_1062 Depth=1
	s_or_b32 exec_lo, exec_lo, s9
.LBB228_1409:                           ;   in Loop: Header=BB228_1062 Depth=1
	s_delay_alu instid0(SALU_CYCLE_1)
	s_or_b32 exec_lo, exec_lo, s8
.LBB228_1410:                           ;   in Loop: Header=BB228_1062 Depth=1
	s_delay_alu instid0(SALU_CYCLE_1) | instskip(SKIP_2) | instid1(VALU_DEP_1)
	s_or_b32 exec_lo, exec_lo, s3
	v_lshrrev_b16 v52, 8, v64
	s_mov_b32 s3, exec_lo
	v_cmpx_ne_u16_e32 0, v52
	s_cbranch_execz .LBB228_1418
; %bb.1411:                             ;   in Loop: Header=BB228_1062 Depth=1
	v_mov_b64_e32 v[0:1], 0x8000000000000000
	s_mov_b32 s8, exec_lo
	v_cmpx_ne_u16_e32 0x80, v52
	s_cbranch_execz .LBB228_1417
; %bb.1412:                             ;   in Loop: Header=BB228_1062 Depth=1
	v_and_b32_e32 v53, 0xffff, v52
	v_mov_b64_e32 v[0:1], 0x7f80000100000000
	s_mov_b32 s9, exec_lo
	s_delay_alu instid0(VALU_DEP_2) | instskip(NEXT) | instid1(VALU_DEP_1)
	v_and_b32_e32 v52, 0x7f, v53
	v_cmpx_ne_u32_e32 0x7f, v52
	s_cbranch_execz .LBB228_1416
; %bb.1413:                             ;   in Loop: Header=BB228_1062 Depth=1
	v_dual_lshrrev_b32 v0, 3, v52 :: v_dual_bitop2_b32 v74, 7, v53 bitop3:0x40
	s_mov_b32 s16, exec_lo
	v_cmpx_gt_u32_e32 8, v52
; %bb.1414:                             ;   in Loop: Header=BB228_1062 Depth=1
	s_delay_alu instid0(VALU_DEP_2) | instskip(NEXT) | instid1(VALU_DEP_1)
	v_clz_i32_u32_e32 v0, v74
	v_min_u32_e32 v0, 32, v0
	s_delay_alu instid0(VALU_DEP_1) | instskip(SKIP_1) | instid1(VALU_DEP_2)
	v_subrev_nc_u32_e32 v1, 28, v0
	v_sub_nc_u32_e32 v0, 29, v0
	v_lshlrev_b64_e32 v[52:53], v1, v[74:75]
	s_delay_alu instid0(VALU_DEP_1)
	v_and_b32_e32 v74, 7, v52
; %bb.1415:                             ;   in Loop: Header=BB228_1062 Depth=1
	s_or_b32 exec_lo, exec_lo, s16
	s_delay_alu instid0(VALU_DEP_1) | instskip(SKIP_1) | instid1(VALU_DEP_2)
	v_dual_lshlrev_b32 v1, 16, v64 :: v_dual_lshlrev_b32 v10, 20, v74
	v_lshl_add_u32 v0, v0, 23, 0x3c000000
	v_and_b32_e32 v1, 0x80000000, v1
	s_delay_alu instid0(VALU_DEP_1)
	v_or3_b32 v1, v10, v1, v0
	v_mov_b32_e32 v0, v75
.LBB228_1416:                           ;   in Loop: Header=BB228_1062 Depth=1
	s_or_b32 exec_lo, exec_lo, s9
.LBB228_1417:                           ;   in Loop: Header=BB228_1062 Depth=1
	s_delay_alu instid0(SALU_CYCLE_1)
	s_or_b32 exec_lo, exec_lo, s8
.LBB228_1418:                           ;   in Loop: Header=BB228_1062 Depth=1
	s_delay_alu instid0(SALU_CYCLE_1) | instskip(SKIP_4) | instid1(VALU_DEP_3)
	s_or_b32 exec_lo, exec_lo, s3
	v_lshrrev_b32_e32 v65, 16, v64
	v_mov_b64_e32 v[54:55], 0
	v_mov_b64_e32 v[52:53], 0
	s_mov_b32 s3, exec_lo
	v_and_b32_e32 v66, 0xff, v65
	s_delay_alu instid0(VALU_DEP_1)
	v_cmpx_ne_u16_e32 0, v66
	s_cbranch_execz .LBB228_1426
; %bb.1419:                             ;   in Loop: Header=BB228_1062 Depth=1
	v_mov_b64_e32 v[52:53], 0x80000000
	s_mov_b32 s8, exec_lo
	v_cmpx_ne_u16_e32 0x80, v66
	s_cbranch_execz .LBB228_1425
; %bb.1420:                             ;   in Loop: Header=BB228_1062 Depth=1
	v_mov_b64_e32 v[52:53], 0x7f800001
	v_bfe_u32 v66, v64, 16, 7
	s_mov_b32 s9, exec_lo
	s_delay_alu instid0(VALU_DEP_1)
	v_cmpx_ne_u32_e32 0x7f, v66
	s_cbranch_execz .LBB228_1424
; %bb.1421:                             ;   in Loop: Header=BB228_1062 Depth=1
	v_dual_lshrrev_b32 v52, 3, v66 :: v_dual_bitop2_b32 v74, 7, v65 bitop3:0x40
	s_mov_b32 s16, exec_lo
	v_cmpx_gt_u32_e32 8, v66
; %bb.1422:                             ;   in Loop: Header=BB228_1062 Depth=1
	s_delay_alu instid0(VALU_DEP_2) | instskip(NEXT) | instid1(VALU_DEP_1)
	v_clz_i32_u32_e32 v10, v74
	v_min_u32_e32 v10, 32, v10
	s_delay_alu instid0(VALU_DEP_1) | instskip(NEXT) | instid1(VALU_DEP_1)
	v_subrev_nc_u32_e32 v52, 28, v10
	v_lshlrev_b64_e32 v[66:67], v52, v[74:75]
	v_sub_nc_u32_e32 v52, 29, v10
	s_delay_alu instid0(VALU_DEP_2)
	v_and_b32_e32 v74, 7, v66
; %bb.1423:                             ;   in Loop: Header=BB228_1062 Depth=1
	s_or_b32 exec_lo, exec_lo, s16
	s_delay_alu instid0(VALU_DEP_1) | instskip(NEXT) | instid1(VALU_DEP_3)
	v_dual_lshlrev_b32 v10, 24, v65 :: v_dual_lshlrev_b32 v53, 20, v74
	v_lshl_add_u32 v52, v52, 23, 0x3c000000
	s_delay_alu instid0(VALU_DEP_2) | instskip(NEXT) | instid1(VALU_DEP_1)
	v_and_b32_e32 v10, 0x80000000, v10
	v_or3_b32 v74, v53, v10, v52
	s_delay_alu instid0(VALU_DEP_1)
	v_mov_b64_e32 v[52:53], v[74:75]
.LBB228_1424:                           ;   in Loop: Header=BB228_1062 Depth=1
	s_or_b32 exec_lo, exec_lo, s9
.LBB228_1425:                           ;   in Loop: Header=BB228_1062 Depth=1
	s_delay_alu instid0(SALU_CYCLE_1)
	s_or_b32 exec_lo, exec_lo, s8
.LBB228_1426:                           ;   in Loop: Header=BB228_1062 Depth=1
	s_delay_alu instid0(SALU_CYCLE_1) | instskip(NEXT) | instid1(SALU_CYCLE_1)
	s_or_b32 exec_lo, exec_lo, s3
	s_mov_b32 s3, exec_lo
	v_cmpx_lt_u32_e32 0xffffff, v64
	s_cbranch_execz .LBB228_1434
; %bb.1427:                             ;   in Loop: Header=BB228_1062 Depth=1
	v_mov_b64_e32 v[54:55], 0x8000000000000000
	v_lshrrev_b32_e32 v65, 24, v64
	s_mov_b32 s8, exec_lo
	s_delay_alu instid0(VALU_DEP_1)
	v_cmpx_ne_u32_e32 0x80, v65
	s_cbranch_execz .LBB228_1433
; %bb.1428:                             ;   in Loop: Header=BB228_1062 Depth=1
	v_mov_b64_e32 v[54:55], 0x7f80000100000000
	v_bfe_u32 v64, v64, 24, 7
	s_mov_b32 s9, exec_lo
	s_delay_alu instid0(VALU_DEP_1)
	v_cmpx_ne_u32_e32 0x7f, v64
	s_cbranch_execz .LBB228_1432
; %bb.1429:                             ;   in Loop: Header=BB228_1062 Depth=1
	v_dual_lshrrev_b32 v54, 3, v64 :: v_dual_bitop2_b32 v74, 7, v65 bitop3:0x40
	s_mov_b32 s16, exec_lo
	v_cmpx_gt_u32_e32 8, v64
; %bb.1430:                             ;   in Loop: Header=BB228_1062 Depth=1
	s_delay_alu instid0(VALU_DEP_2) | instskip(NEXT) | instid1(VALU_DEP_1)
	v_clz_i32_u32_e32 v10, v74
	v_min_u32_e32 v10, 32, v10
	s_delay_alu instid0(VALU_DEP_1) | instskip(NEXT) | instid1(VALU_DEP_1)
	v_subrev_nc_u32_e32 v54, 28, v10
	v_lshlrev_b64_e32 v[66:67], v54, v[74:75]
	v_sub_nc_u32_e32 v54, 29, v10
	s_delay_alu instid0(VALU_DEP_2)
	v_and_b32_e32 v74, 7, v66
; %bb.1431:                             ;   in Loop: Header=BB228_1062 Depth=1
	s_or_b32 exec_lo, exec_lo, s16
	s_delay_alu instid0(VALU_DEP_1) | instskip(NEXT) | instid1(VALU_DEP_3)
	v_dual_lshlrev_b32 v10, 24, v65 :: v_dual_lshlrev_b32 v55, 20, v74
	v_lshl_add_u32 v54, v54, 23, 0x3c000000
	s_delay_alu instid0(VALU_DEP_2) | instskip(NEXT) | instid1(VALU_DEP_1)
	v_and_b32_e32 v10, 0x80000000, v10
	v_or3_b32 v55, v55, v10, v54
	v_mov_b32_e32 v54, v75
.LBB228_1432:                           ;   in Loop: Header=BB228_1062 Depth=1
	s_or_b32 exec_lo, exec_lo, s9
.LBB228_1433:                           ;   in Loop: Header=BB228_1062 Depth=1
	s_delay_alu instid0(SALU_CYCLE_1)
	s_or_b32 exec_lo, exec_lo, s8
.LBB228_1434:                           ;   in Loop: Header=BB228_1062 Depth=1
	s_delay_alu instid0(SALU_CYCLE_1) | instskip(SKIP_4) | instid1(VALU_DEP_3)
	s_or_b32 exec_lo, exec_lo, s3
	v_or_b32_e32 v1, v1, v51
	v_or_b32_e32 v0, v0, v50
	;; [unrolled: 1-line block ×4, first 2 shown]
	v_pk_mul_f32 v[0:1], v[48:49], v[0:1]
	scratch_store_b64 off, v[0:1], s32 offset:380 ; 8-byte Folded Spill
	s_wait_xcnt 0x0
	v_pk_mul_f32 v[0:1], v[48:49], v[50:51]
	scratch_store_b64 off, v[0:1], s32 offset:372 ; 8-byte Folded Spill
	s_wait_xcnt 0x0
	s_and_saveexec_b32 s3, vcc_lo
	s_cbranch_execz .LBB228_1436
; %bb.1435:                             ;   in Loop: Header=BB228_1062 Depth=1
	s_clause 0x1
	scratch_load_b64 v[0:1], off, s32 offset:200
	scratch_load_b64 v[50:51], off, s32 offset:380 th:TH_LOAD_LU
	s_wait_loadcnt 0x1
	v_cmp_lt_i32_e64 s0, v11, v0
	s_wait_loadcnt 0x0
	s_delay_alu instid0(VALU_DEP_1) | instskip(SKIP_1) | instid1(VALU_DEP_1)
	v_cndmask_b32_e64 v50, 0, v50, s0
	v_cmp_lt_i32_e64 s0, v77, v0
	v_cndmask_b32_e64 v51, 0, v51, s0
	v_cmp_lt_i32_e64 s0, v73, v0
	s_clause 0x1
	scratch_store_b64 off, v[50:51], s32 offset:380
	scratch_load_b64 v[50:51], off, s32 offset:372 th:TH_LOAD_LU
	s_wait_loadcnt 0x0
	v_cndmask_b32_e64 v50, 0, v50, s0
	v_cmp_lt_i32_e64 s0, v72, v0
	s_delay_alu instid0(VALU_DEP_1)
	v_cndmask_b32_e64 v51, 0, v51, s0
	scratch_store_b64 off, v[50:51], s32 offset:372 ; 8-byte Folded Spill
.LBB228_1436:                           ;   in Loop: Header=BB228_1062 Depth=1
	s_wait_xcnt 0x0
	s_or_b32 exec_lo, exec_lo, s3
	flat_load_b32 v64, v[96:97] offset:1408
	v_mov_b64_e32 v[0:1], 0
	v_mov_b64_e32 v[50:51], 0
	s_mov_b32 s3, exec_lo
	s_wait_loadcnt_dscnt 0x0
	v_and_b32_e32 v52, 0xff, v64
	s_wait_xcnt 0x0
	s_delay_alu instid0(VALU_DEP_1)
	v_cmpx_ne_u16_e32 0, v52
	s_cbranch_execz .LBB228_1444
; %bb.1437:                             ;   in Loop: Header=BB228_1062 Depth=1
	v_mov_b64_e32 v[50:51], 0x80000000
	s_mov_b32 s8, exec_lo
	v_cmpx_ne_u16_e32 0x80, v52
	s_cbranch_execz .LBB228_1443
; %bb.1438:                             ;   in Loop: Header=BB228_1062 Depth=1
	v_mov_b64_e32 v[50:51], 0x7f800001
	v_and_b32_e32 v52, 0x7f, v64
	s_mov_b32 s9, exec_lo
	s_delay_alu instid0(VALU_DEP_1)
	v_cmpx_ne_u32_e32 0x7f, v52
	s_cbranch_execz .LBB228_1442
; %bb.1439:                             ;   in Loop: Header=BB228_1062 Depth=1
	v_and_b32_e32 v74, 7, v64
	v_lshrrev_b32_e32 v50, 3, v52
	s_mov_b32 s16, exec_lo
	v_cmpx_gt_u32_e32 8, v52
; %bb.1440:                             ;   in Loop: Header=BB228_1062 Depth=1
	s_delay_alu instid0(VALU_DEP_3) | instskip(NEXT) | instid1(VALU_DEP_1)
	v_clz_i32_u32_e32 v10, v74
	v_min_u32_e32 v10, 32, v10
	s_delay_alu instid0(VALU_DEP_1) | instskip(NEXT) | instid1(VALU_DEP_1)
	v_subrev_nc_u32_e32 v50, 28, v10
	v_lshlrev_b64_e32 v[52:53], v50, v[74:75]
	s_delay_alu instid0(VALU_DEP_1)
	v_dual_sub_nc_u32 v50, 29, v10 :: v_dual_bitop2_b32 v74, 7, v52 bitop3:0x40
; %bb.1441:                             ;   in Loop: Header=BB228_1062 Depth=1
	s_or_b32 exec_lo, exec_lo, s16
	s_delay_alu instid0(VALU_DEP_1) | instskip(NEXT) | instid1(VALU_DEP_2)
	v_dual_lshlrev_b32 v10, 24, v64 :: v_dual_lshlrev_b32 v51, 20, v74
	v_lshl_add_u32 v50, v50, 23, 0x3c000000
	s_delay_alu instid0(VALU_DEP_2) | instskip(NEXT) | instid1(VALU_DEP_1)
	v_and_b32_e32 v10, 0x80000000, v10
	v_or3_b32 v74, v51, v10, v50
	s_delay_alu instid0(VALU_DEP_1)
	v_mov_b64_e32 v[50:51], v[74:75]
.LBB228_1442:                           ;   in Loop: Header=BB228_1062 Depth=1
	s_or_b32 exec_lo, exec_lo, s9
.LBB228_1443:                           ;   in Loop: Header=BB228_1062 Depth=1
	s_delay_alu instid0(SALU_CYCLE_1)
	s_or_b32 exec_lo, exec_lo, s8
.LBB228_1444:                           ;   in Loop: Header=BB228_1062 Depth=1
	s_delay_alu instid0(SALU_CYCLE_1) | instskip(SKIP_2) | instid1(VALU_DEP_1)
	s_or_b32 exec_lo, exec_lo, s3
	v_lshrrev_b16 v52, 8, v64
	s_mov_b32 s3, exec_lo
	v_cmpx_ne_u16_e32 0, v52
	s_cbranch_execz .LBB228_1452
; %bb.1445:                             ;   in Loop: Header=BB228_1062 Depth=1
	v_mov_b64_e32 v[0:1], 0x8000000000000000
	s_mov_b32 s8, exec_lo
	v_cmpx_ne_u16_e32 0x80, v52
	s_cbranch_execz .LBB228_1451
; %bb.1446:                             ;   in Loop: Header=BB228_1062 Depth=1
	v_and_b32_e32 v53, 0xffff, v52
	v_mov_b64_e32 v[0:1], 0x7f80000100000000
	s_mov_b32 s9, exec_lo
	s_delay_alu instid0(VALU_DEP_2) | instskip(NEXT) | instid1(VALU_DEP_1)
	v_and_b32_e32 v52, 0x7f, v53
	v_cmpx_ne_u32_e32 0x7f, v52
	s_cbranch_execz .LBB228_1450
; %bb.1447:                             ;   in Loop: Header=BB228_1062 Depth=1
	v_dual_lshrrev_b32 v0, 3, v52 :: v_dual_bitop2_b32 v74, 7, v53 bitop3:0x40
	s_mov_b32 s16, exec_lo
	v_cmpx_gt_u32_e32 8, v52
; %bb.1448:                             ;   in Loop: Header=BB228_1062 Depth=1
	s_delay_alu instid0(VALU_DEP_2) | instskip(NEXT) | instid1(VALU_DEP_1)
	v_clz_i32_u32_e32 v0, v74
	v_min_u32_e32 v0, 32, v0
	s_delay_alu instid0(VALU_DEP_1) | instskip(SKIP_1) | instid1(VALU_DEP_2)
	v_subrev_nc_u32_e32 v1, 28, v0
	v_sub_nc_u32_e32 v0, 29, v0
	v_lshlrev_b64_e32 v[52:53], v1, v[74:75]
	s_delay_alu instid0(VALU_DEP_1)
	v_and_b32_e32 v74, 7, v52
; %bb.1449:                             ;   in Loop: Header=BB228_1062 Depth=1
	s_or_b32 exec_lo, exec_lo, s16
	s_delay_alu instid0(VALU_DEP_1) | instskip(SKIP_1) | instid1(VALU_DEP_2)
	v_dual_lshlrev_b32 v1, 16, v64 :: v_dual_lshlrev_b32 v10, 20, v74
	v_lshl_add_u32 v0, v0, 23, 0x3c000000
	v_and_b32_e32 v1, 0x80000000, v1
	s_delay_alu instid0(VALU_DEP_1)
	v_or3_b32 v1, v10, v1, v0
	v_mov_b32_e32 v0, v75
.LBB228_1450:                           ;   in Loop: Header=BB228_1062 Depth=1
	s_or_b32 exec_lo, exec_lo, s9
.LBB228_1451:                           ;   in Loop: Header=BB228_1062 Depth=1
	s_delay_alu instid0(SALU_CYCLE_1)
	s_or_b32 exec_lo, exec_lo, s8
.LBB228_1452:                           ;   in Loop: Header=BB228_1062 Depth=1
	s_delay_alu instid0(SALU_CYCLE_1) | instskip(SKIP_4) | instid1(VALU_DEP_3)
	s_or_b32 exec_lo, exec_lo, s3
	v_lshrrev_b32_e32 v65, 16, v64
	v_mov_b64_e32 v[54:55], 0
	v_mov_b64_e32 v[52:53], 0
	s_mov_b32 s3, exec_lo
	v_and_b32_e32 v66, 0xff, v65
	s_delay_alu instid0(VALU_DEP_1)
	v_cmpx_ne_u16_e32 0, v66
	s_cbranch_execz .LBB228_1460
; %bb.1453:                             ;   in Loop: Header=BB228_1062 Depth=1
	v_mov_b64_e32 v[52:53], 0x80000000
	s_mov_b32 s8, exec_lo
	v_cmpx_ne_u16_e32 0x80, v66
	s_cbranch_execz .LBB228_1459
; %bb.1454:                             ;   in Loop: Header=BB228_1062 Depth=1
	v_mov_b64_e32 v[52:53], 0x7f800001
	v_bfe_u32 v66, v64, 16, 7
	s_mov_b32 s9, exec_lo
	s_delay_alu instid0(VALU_DEP_1)
	v_cmpx_ne_u32_e32 0x7f, v66
	s_cbranch_execz .LBB228_1458
; %bb.1455:                             ;   in Loop: Header=BB228_1062 Depth=1
	v_dual_lshrrev_b32 v52, 3, v66 :: v_dual_bitop2_b32 v74, 7, v65 bitop3:0x40
	s_mov_b32 s16, exec_lo
	v_cmpx_gt_u32_e32 8, v66
; %bb.1456:                             ;   in Loop: Header=BB228_1062 Depth=1
	s_delay_alu instid0(VALU_DEP_2) | instskip(NEXT) | instid1(VALU_DEP_1)
	v_clz_i32_u32_e32 v10, v74
	v_min_u32_e32 v10, 32, v10
	s_delay_alu instid0(VALU_DEP_1) | instskip(NEXT) | instid1(VALU_DEP_1)
	v_subrev_nc_u32_e32 v52, 28, v10
	v_lshlrev_b64_e32 v[66:67], v52, v[74:75]
	v_sub_nc_u32_e32 v52, 29, v10
	s_delay_alu instid0(VALU_DEP_2)
	v_and_b32_e32 v74, 7, v66
; %bb.1457:                             ;   in Loop: Header=BB228_1062 Depth=1
	s_or_b32 exec_lo, exec_lo, s16
	s_delay_alu instid0(VALU_DEP_1) | instskip(NEXT) | instid1(VALU_DEP_3)
	v_dual_lshlrev_b32 v10, 24, v65 :: v_dual_lshlrev_b32 v53, 20, v74
	v_lshl_add_u32 v52, v52, 23, 0x3c000000
	s_delay_alu instid0(VALU_DEP_2) | instskip(NEXT) | instid1(VALU_DEP_1)
	v_and_b32_e32 v10, 0x80000000, v10
	v_or3_b32 v74, v53, v10, v52
	s_delay_alu instid0(VALU_DEP_1)
	v_mov_b64_e32 v[52:53], v[74:75]
.LBB228_1458:                           ;   in Loop: Header=BB228_1062 Depth=1
	s_or_b32 exec_lo, exec_lo, s9
.LBB228_1459:                           ;   in Loop: Header=BB228_1062 Depth=1
	s_delay_alu instid0(SALU_CYCLE_1)
	s_or_b32 exec_lo, exec_lo, s8
.LBB228_1460:                           ;   in Loop: Header=BB228_1062 Depth=1
	s_delay_alu instid0(SALU_CYCLE_1) | instskip(NEXT) | instid1(SALU_CYCLE_1)
	s_or_b32 exec_lo, exec_lo, s3
	s_mov_b32 s3, exec_lo
	v_cmpx_lt_u32_e32 0xffffff, v64
	s_cbranch_execz .LBB228_1468
; %bb.1461:                             ;   in Loop: Header=BB228_1062 Depth=1
	v_mov_b64_e32 v[54:55], 0x8000000000000000
	v_lshrrev_b32_e32 v65, 24, v64
	s_mov_b32 s8, exec_lo
	s_delay_alu instid0(VALU_DEP_1)
	v_cmpx_ne_u32_e32 0x80, v65
	s_cbranch_execz .LBB228_1467
; %bb.1462:                             ;   in Loop: Header=BB228_1062 Depth=1
	v_mov_b64_e32 v[54:55], 0x7f80000100000000
	v_bfe_u32 v64, v64, 24, 7
	s_mov_b32 s9, exec_lo
	s_delay_alu instid0(VALU_DEP_1)
	v_cmpx_ne_u32_e32 0x7f, v64
	s_cbranch_execz .LBB228_1466
; %bb.1463:                             ;   in Loop: Header=BB228_1062 Depth=1
	v_dual_lshrrev_b32 v54, 3, v64 :: v_dual_bitop2_b32 v74, 7, v65 bitop3:0x40
	s_mov_b32 s16, exec_lo
	v_cmpx_gt_u32_e32 8, v64
; %bb.1464:                             ;   in Loop: Header=BB228_1062 Depth=1
	s_delay_alu instid0(VALU_DEP_2) | instskip(NEXT) | instid1(VALU_DEP_1)
	v_clz_i32_u32_e32 v10, v74
	v_min_u32_e32 v10, 32, v10
	s_delay_alu instid0(VALU_DEP_1) | instskip(NEXT) | instid1(VALU_DEP_1)
	v_subrev_nc_u32_e32 v54, 28, v10
	v_lshlrev_b64_e32 v[66:67], v54, v[74:75]
	v_sub_nc_u32_e32 v54, 29, v10
	s_delay_alu instid0(VALU_DEP_2)
	v_and_b32_e32 v74, 7, v66
; %bb.1465:                             ;   in Loop: Header=BB228_1062 Depth=1
	s_or_b32 exec_lo, exec_lo, s16
	s_delay_alu instid0(VALU_DEP_1) | instskip(NEXT) | instid1(VALU_DEP_3)
	v_dual_lshlrev_b32 v10, 24, v65 :: v_dual_lshlrev_b32 v55, 20, v74
	v_lshl_add_u32 v54, v54, 23, 0x3c000000
	s_delay_alu instid0(VALU_DEP_2) | instskip(NEXT) | instid1(VALU_DEP_1)
	v_and_b32_e32 v10, 0x80000000, v10
	v_or3_b32 v55, v55, v10, v54
	v_mov_b32_e32 v54, v75
.LBB228_1466:                           ;   in Loop: Header=BB228_1062 Depth=1
	s_or_b32 exec_lo, exec_lo, s9
.LBB228_1467:                           ;   in Loop: Header=BB228_1062 Depth=1
	s_delay_alu instid0(SALU_CYCLE_1)
	s_or_b32 exec_lo, exec_lo, s8
.LBB228_1468:                           ;   in Loop: Header=BB228_1062 Depth=1
	s_delay_alu instid0(SALU_CYCLE_1) | instskip(SKIP_4) | instid1(VALU_DEP_3)
	s_or_b32 exec_lo, exec_lo, s3
	v_or_b32_e32 v1, v1, v51
	v_or_b32_e32 v0, v0, v50
	;; [unrolled: 1-line block ×4, first 2 shown]
	v_pk_mul_f32 v[0:1], v[48:49], v[0:1]
	scratch_store_b64 off, v[0:1], s32 offset:388 ; 8-byte Folded Spill
	s_wait_xcnt 0x0
	v_pk_mul_f32 v[0:1], v[48:49], v[50:51]
	scratch_store_b64 off, v[0:1], s32 offset:192 ; 8-byte Folded Spill
	s_wait_xcnt 0x0
	s_and_saveexec_b32 s3, vcc_lo
	s_cbranch_execz .LBB228_1470
; %bb.1469:                             ;   in Loop: Header=BB228_1062 Depth=1
	scratch_load_b64 v[0:1], off, s32 offset:200 ; 8-byte Folded Reload
	s_wait_loadcnt 0x0
	v_mov_b32_e32 v10, v0
	scratch_load_b64 v[0:1], off, s32 offset:388 th:TH_LOAD_LU ; 8-byte Folded Reload
	v_cmp_lt_i32_e64 s0, v11, v10
	s_wait_loadcnt 0x0
	s_delay_alu instid0(VALU_DEP_1) | instskip(SKIP_1) | instid1(VALU_DEP_1)
	v_cndmask_b32_e64 v0, 0, v0, s0
	v_cmp_lt_i32_e64 s0, v77, v10
	v_cndmask_b32_e64 v1, 0, v1, s0
	v_cmp_lt_i32_e64 s0, v73, v10
	s_clause 0x1
	scratch_store_b64 off, v[0:1], s32 offset:388
	scratch_load_b64 v[0:1], off, s32 offset:192 th:TH_LOAD_LU
	s_wait_loadcnt 0x0
	v_cndmask_b32_e64 v0, 0, v0, s0
	v_cmp_lt_i32_e64 s0, v72, v10
	s_delay_alu instid0(VALU_DEP_1)
	v_cndmask_b32_e64 v1, 0, v1, s0
	scratch_store_b64 off, v[0:1], s32 offset:192 ; 8-byte Folded Spill
.LBB228_1470:                           ;   in Loop: Header=BB228_1062 Depth=1
	s_wait_xcnt 0x0
	s_or_b32 exec_lo, exec_lo, s3
	flat_load_b32 v52, v[96:97] offset:1536
	v_mov_b64_e32 v[0:1], 0
	v_mov_b64_e32 v[50:51], 0
	s_mov_b32 s3, exec_lo
	s_wait_loadcnt_dscnt 0x0
	v_and_b32_e32 v53, 0xff, v52
	s_wait_xcnt 0x0
	s_delay_alu instid0(VALU_DEP_1)
	v_cmpx_ne_u16_e32 0, v53
	s_cbranch_execz .LBB228_1478
; %bb.1471:                             ;   in Loop: Header=BB228_1062 Depth=1
	v_mov_b64_e32 v[50:51], 0x80000000
	s_mov_b32 s8, exec_lo
	v_cmpx_ne_u16_e32 0x80, v53
	s_cbranch_execz .LBB228_1477
; %bb.1472:                             ;   in Loop: Header=BB228_1062 Depth=1
	v_mov_b64_e32 v[50:51], 0x7f800001
	v_and_b32_e32 v53, 0x7f, v52
	s_mov_b32 s9, exec_lo
	s_delay_alu instid0(VALU_DEP_1)
	v_cmpx_ne_u32_e32 0x7f, v53
	s_cbranch_execz .LBB228_1476
; %bb.1473:                             ;   in Loop: Header=BB228_1062 Depth=1
	v_dual_lshrrev_b32 v50, 3, v53 :: v_dual_bitop2_b32 v74, 7, v52 bitop3:0x40
	s_mov_b32 s16, exec_lo
	v_cmpx_gt_u32_e32 8, v53
; %bb.1474:                             ;   in Loop: Header=BB228_1062 Depth=1
	s_delay_alu instid0(VALU_DEP_2) | instskip(NEXT) | instid1(VALU_DEP_1)
	v_clz_i32_u32_e32 v10, v74
	v_min_u32_e32 v10, 32, v10
	s_delay_alu instid0(VALU_DEP_1) | instskip(NEXT) | instid1(VALU_DEP_1)
	v_subrev_nc_u32_e32 v50, 28, v10
	v_lshlrev_b64_e32 v[54:55], v50, v[74:75]
	v_sub_nc_u32_e32 v50, 29, v10
	s_delay_alu instid0(VALU_DEP_2)
	v_and_b32_e32 v74, 7, v54
; %bb.1475:                             ;   in Loop: Header=BB228_1062 Depth=1
	s_or_b32 exec_lo, exec_lo, s16
	s_delay_alu instid0(VALU_DEP_1) | instskip(NEXT) | instid1(VALU_DEP_3)
	v_dual_lshlrev_b32 v10, 24, v52 :: v_dual_lshlrev_b32 v51, 20, v74
	v_lshl_add_u32 v50, v50, 23, 0x3c000000
	s_delay_alu instid0(VALU_DEP_2) | instskip(NEXT) | instid1(VALU_DEP_1)
	v_and_b32_e32 v10, 0x80000000, v10
	v_or3_b32 v74, v51, v10, v50
	s_delay_alu instid0(VALU_DEP_1)
	v_mov_b64_e32 v[50:51], v[74:75]
.LBB228_1476:                           ;   in Loop: Header=BB228_1062 Depth=1
	s_or_b32 exec_lo, exec_lo, s9
.LBB228_1477:                           ;   in Loop: Header=BB228_1062 Depth=1
	s_delay_alu instid0(SALU_CYCLE_1)
	s_or_b32 exec_lo, exec_lo, s8
.LBB228_1478:                           ;   in Loop: Header=BB228_1062 Depth=1
	s_delay_alu instid0(SALU_CYCLE_1) | instskip(SKIP_2) | instid1(VALU_DEP_1)
	s_or_b32 exec_lo, exec_lo, s3
	v_lshrrev_b16 v53, 8, v52
	s_mov_b32 s3, exec_lo
	v_cmpx_ne_u16_e32 0, v53
	s_cbranch_execz .LBB228_1486
; %bb.1479:                             ;   in Loop: Header=BB228_1062 Depth=1
	v_mov_b64_e32 v[0:1], 0x8000000000000000
	s_mov_b32 s8, exec_lo
	v_cmpx_ne_u16_e32 0x80, v53
	s_cbranch_execz .LBB228_1485
; %bb.1480:                             ;   in Loop: Header=BB228_1062 Depth=1
	v_and_b32_e32 v54, 0xffff, v53
	v_mov_b64_e32 v[0:1], 0x7f80000100000000
	s_mov_b32 s9, exec_lo
	s_delay_alu instid0(VALU_DEP_2) | instskip(NEXT) | instid1(VALU_DEP_1)
	v_and_b32_e32 v53, 0x7f, v54
	v_cmpx_ne_u32_e32 0x7f, v53
	s_cbranch_execz .LBB228_1484
; %bb.1481:                             ;   in Loop: Header=BB228_1062 Depth=1
	v_dual_lshrrev_b32 v0, 3, v53 :: v_dual_bitop2_b32 v74, 7, v54 bitop3:0x40
	s_mov_b32 s16, exec_lo
	v_cmpx_gt_u32_e32 8, v53
; %bb.1482:                             ;   in Loop: Header=BB228_1062 Depth=1
	s_delay_alu instid0(VALU_DEP_2) | instskip(NEXT) | instid1(VALU_DEP_1)
	v_clz_i32_u32_e32 v0, v74
	v_min_u32_e32 v0, 32, v0
	s_delay_alu instid0(VALU_DEP_1) | instskip(NEXT) | instid1(VALU_DEP_1)
	v_subrev_nc_u32_e32 v1, 28, v0
	v_lshlrev_b64_e32 v[54:55], v1, v[74:75]
	s_delay_alu instid0(VALU_DEP_1)
	v_dual_sub_nc_u32 v0, 29, v0 :: v_dual_bitop2_b32 v74, 7, v54 bitop3:0x40
; %bb.1483:                             ;   in Loop: Header=BB228_1062 Depth=1
	s_or_b32 exec_lo, exec_lo, s16
	s_delay_alu instid0(VALU_DEP_1) | instskip(NEXT) | instid1(VALU_DEP_2)
	v_dual_lshlrev_b32 v1, 16, v52 :: v_dual_lshlrev_b32 v10, 20, v74
	v_lshl_add_u32 v0, v0, 23, 0x3c000000
	s_delay_alu instid0(VALU_DEP_2) | instskip(NEXT) | instid1(VALU_DEP_1)
	v_and_b32_e32 v1, 0x80000000, v1
	v_or3_b32 v1, v10, v1, v0
	v_mov_b32_e32 v0, v75
.LBB228_1484:                           ;   in Loop: Header=BB228_1062 Depth=1
	s_or_b32 exec_lo, exec_lo, s9
.LBB228_1485:                           ;   in Loop: Header=BB228_1062 Depth=1
	s_delay_alu instid0(SALU_CYCLE_1)
	s_or_b32 exec_lo, exec_lo, s8
.LBB228_1486:                           ;   in Loop: Header=BB228_1062 Depth=1
	s_delay_alu instid0(SALU_CYCLE_1) | instskip(SKIP_4) | instid1(VALU_DEP_3)
	s_or_b32 exec_lo, exec_lo, s3
	v_lshrrev_b32_e32 v53, 16, v52
	v_mov_b64_e32 v[54:55], 0
	v_mov_b64_e32 v[64:65], 0
	s_mov_b32 s3, exec_lo
	v_and_b32_e32 v66, 0xff, v53
	s_delay_alu instid0(VALU_DEP_1)
	v_cmpx_ne_u16_e32 0, v66
	s_cbranch_execz .LBB228_1494
; %bb.1487:                             ;   in Loop: Header=BB228_1062 Depth=1
	v_mov_b64_e32 v[64:65], 0x80000000
	s_mov_b32 s8, exec_lo
	v_cmpx_ne_u16_e32 0x80, v66
	s_cbranch_execz .LBB228_1493
; %bb.1488:                             ;   in Loop: Header=BB228_1062 Depth=1
	v_mov_b64_e32 v[64:65], 0x7f800001
	v_bfe_u32 v66, v52, 16, 7
	s_mov_b32 s9, exec_lo
	s_delay_alu instid0(VALU_DEP_1)
	v_cmpx_ne_u32_e32 0x7f, v66
	s_cbranch_execz .LBB228_1492
; %bb.1489:                             ;   in Loop: Header=BB228_1062 Depth=1
	v_dual_lshrrev_b32 v64, 3, v66 :: v_dual_bitop2_b32 v74, 7, v53 bitop3:0x40
	s_mov_b32 s16, exec_lo
	v_cmpx_gt_u32_e32 8, v66
; %bb.1490:                             ;   in Loop: Header=BB228_1062 Depth=1
	s_delay_alu instid0(VALU_DEP_2) | instskip(NEXT) | instid1(VALU_DEP_1)
	v_clz_i32_u32_e32 v10, v74
	v_min_u32_e32 v10, 32, v10
	s_delay_alu instid0(VALU_DEP_1) | instskip(NEXT) | instid1(VALU_DEP_1)
	v_subrev_nc_u32_e32 v64, 28, v10
	v_lshlrev_b64_e32 v[66:67], v64, v[74:75]
	v_sub_nc_u32_e32 v64, 29, v10
	s_delay_alu instid0(VALU_DEP_2)
	v_and_b32_e32 v74, 7, v66
; %bb.1491:                             ;   in Loop: Header=BB228_1062 Depth=1
	s_or_b32 exec_lo, exec_lo, s16
	s_delay_alu instid0(VALU_DEP_1) | instskip(NEXT) | instid1(VALU_DEP_3)
	v_dual_lshlrev_b32 v10, 24, v53 :: v_dual_lshlrev_b32 v53, 20, v74
	v_lshl_add_u32 v64, v64, 23, 0x3c000000
	s_delay_alu instid0(VALU_DEP_2) | instskip(NEXT) | instid1(VALU_DEP_1)
	v_and_b32_e32 v10, 0x80000000, v10
	v_or3_b32 v74, v53, v10, v64
	s_delay_alu instid0(VALU_DEP_1)
	v_mov_b64_e32 v[64:65], v[74:75]
.LBB228_1492:                           ;   in Loop: Header=BB228_1062 Depth=1
	s_or_b32 exec_lo, exec_lo, s9
.LBB228_1493:                           ;   in Loop: Header=BB228_1062 Depth=1
	s_delay_alu instid0(SALU_CYCLE_1)
	s_or_b32 exec_lo, exec_lo, s8
.LBB228_1494:                           ;   in Loop: Header=BB228_1062 Depth=1
	s_delay_alu instid0(SALU_CYCLE_1) | instskip(NEXT) | instid1(SALU_CYCLE_1)
	s_or_b32 exec_lo, exec_lo, s3
	s_mov_b32 s3, exec_lo
	v_cmpx_lt_u32_e32 0xffffff, v52
	s_cbranch_execz .LBB228_1502
; %bb.1495:                             ;   in Loop: Header=BB228_1062 Depth=1
	v_mov_b64_e32 v[54:55], 0x8000000000000000
	v_lshrrev_b32_e32 v53, 24, v52
	s_mov_b32 s8, exec_lo
	s_delay_alu instid0(VALU_DEP_1)
	v_cmpx_ne_u32_e32 0x80, v53
	s_cbranch_execz .LBB228_1501
; %bb.1496:                             ;   in Loop: Header=BB228_1062 Depth=1
	v_mov_b64_e32 v[54:55], 0x7f80000100000000
	v_bfe_u32 v66, v52, 24, 7
	s_mov_b32 s9, exec_lo
	s_delay_alu instid0(VALU_DEP_1)
	v_cmpx_ne_u32_e32 0x7f, v66
	s_cbranch_execz .LBB228_1500
; %bb.1497:                             ;   in Loop: Header=BB228_1062 Depth=1
	v_dual_lshrrev_b32 v52, 3, v66 :: v_dual_bitop2_b32 v74, 7, v53 bitop3:0x40
	s_mov_b32 s16, exec_lo
	v_cmpx_gt_u32_e32 8, v66
; %bb.1498:                             ;   in Loop: Header=BB228_1062 Depth=1
	s_delay_alu instid0(VALU_DEP_2) | instskip(NEXT) | instid1(VALU_DEP_1)
	v_clz_i32_u32_e32 v10, v74
	v_min_u32_e32 v10, 32, v10
	s_delay_alu instid0(VALU_DEP_1) | instskip(NEXT) | instid1(VALU_DEP_1)
	v_subrev_nc_u32_e32 v52, 28, v10
	v_lshlrev_b64_e32 v[54:55], v52, v[74:75]
	v_sub_nc_u32_e32 v52, 29, v10
	s_delay_alu instid0(VALU_DEP_2)
	v_and_b32_e32 v74, 7, v54
; %bb.1499:                             ;   in Loop: Header=BB228_1062 Depth=1
	s_or_b32 exec_lo, exec_lo, s16
	s_delay_alu instid0(VALU_DEP_1) | instskip(NEXT) | instid1(VALU_DEP_3)
	v_dual_lshlrev_b32 v10, 24, v53 :: v_dual_lshlrev_b32 v53, 20, v74
	v_lshl_add_u32 v52, v52, 23, 0x3c000000
	v_mov_b32_e32 v54, v75
	s_delay_alu instid0(VALU_DEP_3) | instskip(NEXT) | instid1(VALU_DEP_1)
	v_and_b32_e32 v10, 0x80000000, v10
	v_or3_b32 v55, v53, v10, v52
.LBB228_1500:                           ;   in Loop: Header=BB228_1062 Depth=1
	s_or_b32 exec_lo, exec_lo, s9
.LBB228_1501:                           ;   in Loop: Header=BB228_1062 Depth=1
	s_delay_alu instid0(SALU_CYCLE_1)
	s_or_b32 exec_lo, exec_lo, s8
.LBB228_1502:                           ;   in Loop: Header=BB228_1062 Depth=1
	s_delay_alu instid0(SALU_CYCLE_1) | instskip(SKIP_4) | instid1(VALU_DEP_3)
	s_or_b32 exec_lo, exec_lo, s3
	v_or_b32_e32 v1, v1, v51
	v_or_b32_e32 v0, v0, v50
	;; [unrolled: 1-line block ×4, first 2 shown]
	v_pk_mul_f32 v[0:1], v[48:49], v[0:1]
	scratch_store_b64 off, v[0:1], s32 offset:404 ; 8-byte Folded Spill
	s_wait_xcnt 0x0
	v_pk_mul_f32 v[0:1], v[48:49], v[50:51]
	scratch_store_b64 off, v[0:1], s32 offset:396 ; 8-byte Folded Spill
	s_wait_xcnt 0x0
	s_and_saveexec_b32 s3, vcc_lo
	s_cbranch_execz .LBB228_1504
; %bb.1503:                             ;   in Loop: Header=BB228_1062 Depth=1
	s_clause 0x1
	scratch_load_b64 v[0:1], off, s32 offset:200
	scratch_load_b64 v[50:51], off, s32 offset:404 th:TH_LOAD_LU
	s_wait_loadcnt 0x1
	v_cmp_lt_i32_e64 s0, v11, v0
	s_wait_loadcnt 0x0
	s_delay_alu instid0(VALU_DEP_1) | instskip(SKIP_1) | instid1(VALU_DEP_1)
	v_cndmask_b32_e64 v50, 0, v50, s0
	v_cmp_lt_i32_e64 s0, v77, v0
	v_cndmask_b32_e64 v51, 0, v51, s0
	v_cmp_lt_i32_e64 s0, v73, v0
	s_clause 0x1
	scratch_store_b64 off, v[50:51], s32 offset:404
	scratch_load_b64 v[50:51], off, s32 offset:396 th:TH_LOAD_LU
	s_wait_loadcnt 0x0
	v_cndmask_b32_e64 v50, 0, v50, s0
	v_cmp_lt_i32_e64 s0, v72, v0
	s_delay_alu instid0(VALU_DEP_1)
	v_cndmask_b32_e64 v51, 0, v51, s0
	scratch_store_b64 off, v[50:51], s32 offset:396 ; 8-byte Folded Spill
.LBB228_1504:                           ;   in Loop: Header=BB228_1062 Depth=1
	s_wait_xcnt 0x0
	s_or_b32 exec_lo, exec_lo, s3
	flat_load_b32 v52, v[96:97] offset:1664
	v_mov_b64_e32 v[0:1], 0
	v_mov_b64_e32 v[50:51], 0
	s_mov_b32 s3, exec_lo
	s_wait_loadcnt_dscnt 0x0
	v_and_b32_e32 v53, 0xff, v52
	s_wait_xcnt 0x0
	s_delay_alu instid0(VALU_DEP_1)
	v_cmpx_ne_u16_e32 0, v53
	s_cbranch_execz .LBB228_1512
; %bb.1505:                             ;   in Loop: Header=BB228_1062 Depth=1
	v_mov_b64_e32 v[50:51], 0x80000000
	s_mov_b32 s8, exec_lo
	v_cmpx_ne_u16_e32 0x80, v53
	s_cbranch_execz .LBB228_1511
; %bb.1506:                             ;   in Loop: Header=BB228_1062 Depth=1
	v_mov_b64_e32 v[50:51], 0x7f800001
	v_and_b32_e32 v53, 0x7f, v52
	s_mov_b32 s9, exec_lo
	s_delay_alu instid0(VALU_DEP_1)
	v_cmpx_ne_u32_e32 0x7f, v53
	s_cbranch_execz .LBB228_1510
; %bb.1507:                             ;   in Loop: Header=BB228_1062 Depth=1
	v_dual_lshrrev_b32 v50, 3, v53 :: v_dual_bitop2_b32 v74, 7, v52 bitop3:0x40
	s_mov_b32 s16, exec_lo
	v_cmpx_gt_u32_e32 8, v53
; %bb.1508:                             ;   in Loop: Header=BB228_1062 Depth=1
	s_delay_alu instid0(VALU_DEP_2) | instskip(NEXT) | instid1(VALU_DEP_1)
	v_clz_i32_u32_e32 v10, v74
	v_min_u32_e32 v10, 32, v10
	s_delay_alu instid0(VALU_DEP_1) | instskip(NEXT) | instid1(VALU_DEP_1)
	v_subrev_nc_u32_e32 v50, 28, v10
	v_lshlrev_b64_e32 v[54:55], v50, v[74:75]
	v_sub_nc_u32_e32 v50, 29, v10
	s_delay_alu instid0(VALU_DEP_2)
	v_and_b32_e32 v74, 7, v54
; %bb.1509:                             ;   in Loop: Header=BB228_1062 Depth=1
	s_or_b32 exec_lo, exec_lo, s16
	s_delay_alu instid0(VALU_DEP_1) | instskip(NEXT) | instid1(VALU_DEP_3)
	v_dual_lshlrev_b32 v10, 24, v52 :: v_dual_lshlrev_b32 v51, 20, v74
	v_lshl_add_u32 v50, v50, 23, 0x3c000000
	s_delay_alu instid0(VALU_DEP_2) | instskip(NEXT) | instid1(VALU_DEP_1)
	v_and_b32_e32 v10, 0x80000000, v10
	v_or3_b32 v74, v51, v10, v50
	s_delay_alu instid0(VALU_DEP_1)
	v_mov_b64_e32 v[50:51], v[74:75]
.LBB228_1510:                           ;   in Loop: Header=BB228_1062 Depth=1
	s_or_b32 exec_lo, exec_lo, s9
.LBB228_1511:                           ;   in Loop: Header=BB228_1062 Depth=1
	s_delay_alu instid0(SALU_CYCLE_1)
	s_or_b32 exec_lo, exec_lo, s8
.LBB228_1512:                           ;   in Loop: Header=BB228_1062 Depth=1
	s_delay_alu instid0(SALU_CYCLE_1) | instskip(SKIP_2) | instid1(VALU_DEP_1)
	s_or_b32 exec_lo, exec_lo, s3
	v_lshrrev_b16 v53, 8, v52
	s_mov_b32 s3, exec_lo
	v_cmpx_ne_u16_e32 0, v53
	s_cbranch_execz .LBB228_1520
; %bb.1513:                             ;   in Loop: Header=BB228_1062 Depth=1
	v_mov_b64_e32 v[0:1], 0x8000000000000000
	s_mov_b32 s8, exec_lo
	v_cmpx_ne_u16_e32 0x80, v53
	s_cbranch_execz .LBB228_1519
; %bb.1514:                             ;   in Loop: Header=BB228_1062 Depth=1
	v_and_b32_e32 v54, 0xffff, v53
	v_mov_b64_e32 v[0:1], 0x7f80000100000000
	s_mov_b32 s9, exec_lo
	s_delay_alu instid0(VALU_DEP_2) | instskip(NEXT) | instid1(VALU_DEP_1)
	v_and_b32_e32 v53, 0x7f, v54
	v_cmpx_ne_u32_e32 0x7f, v53
	s_cbranch_execz .LBB228_1518
; %bb.1515:                             ;   in Loop: Header=BB228_1062 Depth=1
	v_dual_lshrrev_b32 v0, 3, v53 :: v_dual_bitop2_b32 v74, 7, v54 bitop3:0x40
	s_mov_b32 s16, exec_lo
	v_cmpx_gt_u32_e32 8, v53
; %bb.1516:                             ;   in Loop: Header=BB228_1062 Depth=1
	s_delay_alu instid0(VALU_DEP_2) | instskip(NEXT) | instid1(VALU_DEP_1)
	v_clz_i32_u32_e32 v0, v74
	v_min_u32_e32 v0, 32, v0
	s_delay_alu instid0(VALU_DEP_1) | instskip(NEXT) | instid1(VALU_DEP_1)
	v_subrev_nc_u32_e32 v1, 28, v0
	v_lshlrev_b64_e32 v[54:55], v1, v[74:75]
	s_delay_alu instid0(VALU_DEP_1)
	v_dual_sub_nc_u32 v0, 29, v0 :: v_dual_bitop2_b32 v74, 7, v54 bitop3:0x40
; %bb.1517:                             ;   in Loop: Header=BB228_1062 Depth=1
	s_or_b32 exec_lo, exec_lo, s16
	s_delay_alu instid0(VALU_DEP_1) | instskip(NEXT) | instid1(VALU_DEP_2)
	v_dual_lshlrev_b32 v1, 16, v52 :: v_dual_lshlrev_b32 v10, 20, v74
	v_lshl_add_u32 v0, v0, 23, 0x3c000000
	s_delay_alu instid0(VALU_DEP_2) | instskip(NEXT) | instid1(VALU_DEP_1)
	v_and_b32_e32 v1, 0x80000000, v1
	v_or3_b32 v1, v10, v1, v0
	v_mov_b32_e32 v0, v75
.LBB228_1518:                           ;   in Loop: Header=BB228_1062 Depth=1
	s_or_b32 exec_lo, exec_lo, s9
.LBB228_1519:                           ;   in Loop: Header=BB228_1062 Depth=1
	s_delay_alu instid0(SALU_CYCLE_1)
	s_or_b32 exec_lo, exec_lo, s8
.LBB228_1520:                           ;   in Loop: Header=BB228_1062 Depth=1
	s_delay_alu instid0(SALU_CYCLE_1) | instskip(SKIP_4) | instid1(VALU_DEP_3)
	s_or_b32 exec_lo, exec_lo, s3
	v_lshrrev_b32_e32 v53, 16, v52
	v_mov_b64_e32 v[54:55], 0
	v_mov_b64_e32 v[64:65], 0
	s_mov_b32 s3, exec_lo
	v_and_b32_e32 v66, 0xff, v53
	s_delay_alu instid0(VALU_DEP_1)
	v_cmpx_ne_u16_e32 0, v66
	s_cbranch_execz .LBB228_1528
; %bb.1521:                             ;   in Loop: Header=BB228_1062 Depth=1
	v_mov_b64_e32 v[64:65], 0x80000000
	s_mov_b32 s8, exec_lo
	v_cmpx_ne_u16_e32 0x80, v66
	s_cbranch_execz .LBB228_1527
; %bb.1522:                             ;   in Loop: Header=BB228_1062 Depth=1
	v_mov_b64_e32 v[64:65], 0x7f800001
	v_bfe_u32 v66, v52, 16, 7
	s_mov_b32 s9, exec_lo
	s_delay_alu instid0(VALU_DEP_1)
	v_cmpx_ne_u32_e32 0x7f, v66
	s_cbranch_execz .LBB228_1526
; %bb.1523:                             ;   in Loop: Header=BB228_1062 Depth=1
	v_dual_lshrrev_b32 v64, 3, v66 :: v_dual_bitop2_b32 v74, 7, v53 bitop3:0x40
	s_mov_b32 s16, exec_lo
	v_cmpx_gt_u32_e32 8, v66
; %bb.1524:                             ;   in Loop: Header=BB228_1062 Depth=1
	s_delay_alu instid0(VALU_DEP_2) | instskip(NEXT) | instid1(VALU_DEP_1)
	v_clz_i32_u32_e32 v10, v74
	v_min_u32_e32 v10, 32, v10
	s_delay_alu instid0(VALU_DEP_1) | instskip(NEXT) | instid1(VALU_DEP_1)
	v_subrev_nc_u32_e32 v64, 28, v10
	v_lshlrev_b64_e32 v[66:67], v64, v[74:75]
	v_sub_nc_u32_e32 v64, 29, v10
	s_delay_alu instid0(VALU_DEP_2)
	v_and_b32_e32 v74, 7, v66
; %bb.1525:                             ;   in Loop: Header=BB228_1062 Depth=1
	s_or_b32 exec_lo, exec_lo, s16
	s_delay_alu instid0(VALU_DEP_1) | instskip(NEXT) | instid1(VALU_DEP_3)
	v_dual_lshlrev_b32 v10, 24, v53 :: v_dual_lshlrev_b32 v53, 20, v74
	v_lshl_add_u32 v64, v64, 23, 0x3c000000
	s_delay_alu instid0(VALU_DEP_2) | instskip(NEXT) | instid1(VALU_DEP_1)
	v_and_b32_e32 v10, 0x80000000, v10
	v_or3_b32 v74, v53, v10, v64
	s_delay_alu instid0(VALU_DEP_1)
	v_mov_b64_e32 v[64:65], v[74:75]
.LBB228_1526:                           ;   in Loop: Header=BB228_1062 Depth=1
	s_or_b32 exec_lo, exec_lo, s9
.LBB228_1527:                           ;   in Loop: Header=BB228_1062 Depth=1
	s_delay_alu instid0(SALU_CYCLE_1)
	s_or_b32 exec_lo, exec_lo, s8
.LBB228_1528:                           ;   in Loop: Header=BB228_1062 Depth=1
	s_delay_alu instid0(SALU_CYCLE_1) | instskip(NEXT) | instid1(SALU_CYCLE_1)
	s_or_b32 exec_lo, exec_lo, s3
	s_mov_b32 s3, exec_lo
	v_cmpx_lt_u32_e32 0xffffff, v52
	s_cbranch_execz .LBB228_1536
; %bb.1529:                             ;   in Loop: Header=BB228_1062 Depth=1
	v_mov_b64_e32 v[54:55], 0x8000000000000000
	v_lshrrev_b32_e32 v53, 24, v52
	s_mov_b32 s8, exec_lo
	s_delay_alu instid0(VALU_DEP_1)
	v_cmpx_ne_u32_e32 0x80, v53
	s_cbranch_execz .LBB228_1535
; %bb.1530:                             ;   in Loop: Header=BB228_1062 Depth=1
	v_mov_b64_e32 v[54:55], 0x7f80000100000000
	v_bfe_u32 v66, v52, 24, 7
	s_mov_b32 s9, exec_lo
	s_delay_alu instid0(VALU_DEP_1)
	v_cmpx_ne_u32_e32 0x7f, v66
	s_cbranch_execz .LBB228_1534
; %bb.1531:                             ;   in Loop: Header=BB228_1062 Depth=1
	v_dual_lshrrev_b32 v52, 3, v66 :: v_dual_bitop2_b32 v74, 7, v53 bitop3:0x40
	s_mov_b32 s16, exec_lo
	v_cmpx_gt_u32_e32 8, v66
; %bb.1532:                             ;   in Loop: Header=BB228_1062 Depth=1
	s_delay_alu instid0(VALU_DEP_2) | instskip(NEXT) | instid1(VALU_DEP_1)
	v_clz_i32_u32_e32 v10, v74
	v_min_u32_e32 v10, 32, v10
	s_delay_alu instid0(VALU_DEP_1) | instskip(NEXT) | instid1(VALU_DEP_1)
	v_subrev_nc_u32_e32 v52, 28, v10
	v_lshlrev_b64_e32 v[54:55], v52, v[74:75]
	v_sub_nc_u32_e32 v52, 29, v10
	s_delay_alu instid0(VALU_DEP_2)
	v_and_b32_e32 v74, 7, v54
; %bb.1533:                             ;   in Loop: Header=BB228_1062 Depth=1
	s_or_b32 exec_lo, exec_lo, s16
	s_delay_alu instid0(VALU_DEP_1) | instskip(NEXT) | instid1(VALU_DEP_3)
	v_dual_lshlrev_b32 v10, 24, v53 :: v_dual_lshlrev_b32 v53, 20, v74
	v_lshl_add_u32 v52, v52, 23, 0x3c000000
	v_mov_b32_e32 v54, v75
	s_delay_alu instid0(VALU_DEP_3) | instskip(NEXT) | instid1(VALU_DEP_1)
	v_and_b32_e32 v10, 0x80000000, v10
	v_or3_b32 v55, v53, v10, v52
.LBB228_1534:                           ;   in Loop: Header=BB228_1062 Depth=1
	s_or_b32 exec_lo, exec_lo, s9
.LBB228_1535:                           ;   in Loop: Header=BB228_1062 Depth=1
	s_delay_alu instid0(SALU_CYCLE_1)
	s_or_b32 exec_lo, exec_lo, s8
.LBB228_1536:                           ;   in Loop: Header=BB228_1062 Depth=1
	s_delay_alu instid0(SALU_CYCLE_1) | instskip(SKIP_4) | instid1(VALU_DEP_3)
	s_or_b32 exec_lo, exec_lo, s3
	v_or_b32_e32 v1, v1, v51
	v_or_b32_e32 v0, v0, v50
	;; [unrolled: 1-line block ×4, first 2 shown]
	v_pk_mul_f32 v[92:93], v[48:49], v[0:1]
	s_delay_alu instid0(VALU_DEP_2)
	v_pk_mul_f32 v[0:1], v[48:49], v[50:51]
	scratch_store_b64 off, v[0:1], s32 offset:412 ; 8-byte Folded Spill
	s_wait_xcnt 0x0
	s_and_saveexec_b32 s3, vcc_lo
	s_cbranch_execz .LBB228_1538
; %bb.1537:                             ;   in Loop: Header=BB228_1062 Depth=1
	s_clause 0x1
	scratch_load_b64 v[0:1], off, s32 offset:200
	scratch_load_b64 v[50:51], off, s32 offset:412 th:TH_LOAD_LU
	s_wait_loadcnt 0x1
	v_cmp_lt_i32_e64 s0, v11, v0
	s_delay_alu instid0(VALU_DEP_1) | instskip(SKIP_1) | instid1(VALU_DEP_1)
	v_cndmask_b32_e64 v92, 0, v92, s0
	v_cmp_lt_i32_e64 s0, v77, v0
	v_cndmask_b32_e64 v93, 0, v93, s0
	v_cmp_lt_i32_e64 s0, v73, v0
	s_wait_loadcnt 0x0
	s_delay_alu instid0(VALU_DEP_1) | instskip(SKIP_1) | instid1(VALU_DEP_1)
	v_cndmask_b32_e64 v50, 0, v50, s0
	v_cmp_lt_i32_e64 s0, v72, v0
	v_cndmask_b32_e64 v51, 0, v51, s0
	scratch_store_b64 off, v[50:51], s32 offset:412 ; 8-byte Folded Spill
.LBB228_1538:                           ;   in Loop: Header=BB228_1062 Depth=1
	s_wait_xcnt 0x0
	s_or_b32 exec_lo, exec_lo, s3
	flat_load_b32 v52, v[96:97] offset:1792
	v_mov_b64_e32 v[0:1], 0
	v_mov_b64_e32 v[50:51], 0
	s_mov_b32 s3, exec_lo
	s_wait_loadcnt_dscnt 0x0
	v_and_b32_e32 v53, 0xff, v52
	s_wait_xcnt 0x0
	s_delay_alu instid0(VALU_DEP_1)
	v_cmpx_ne_u16_e32 0, v53
	s_cbranch_execz .LBB228_1546
; %bb.1539:                             ;   in Loop: Header=BB228_1062 Depth=1
	v_mov_b64_e32 v[50:51], 0x80000000
	s_mov_b32 s8, exec_lo
	v_cmpx_ne_u16_e32 0x80, v53
	s_cbranch_execz .LBB228_1545
; %bb.1540:                             ;   in Loop: Header=BB228_1062 Depth=1
	v_mov_b64_e32 v[50:51], 0x7f800001
	v_and_b32_e32 v53, 0x7f, v52
	s_mov_b32 s9, exec_lo
	s_delay_alu instid0(VALU_DEP_1)
	v_cmpx_ne_u32_e32 0x7f, v53
	s_cbranch_execz .LBB228_1544
; %bb.1541:                             ;   in Loop: Header=BB228_1062 Depth=1
	v_dual_lshrrev_b32 v50, 3, v53 :: v_dual_bitop2_b32 v74, 7, v52 bitop3:0x40
	s_mov_b32 s16, exec_lo
	v_cmpx_gt_u32_e32 8, v53
; %bb.1542:                             ;   in Loop: Header=BB228_1062 Depth=1
	s_delay_alu instid0(VALU_DEP_2) | instskip(NEXT) | instid1(VALU_DEP_1)
	v_clz_i32_u32_e32 v10, v74
	v_min_u32_e32 v10, 32, v10
	s_delay_alu instid0(VALU_DEP_1) | instskip(NEXT) | instid1(VALU_DEP_1)
	v_subrev_nc_u32_e32 v50, 28, v10
	v_lshlrev_b64_e32 v[54:55], v50, v[74:75]
	v_sub_nc_u32_e32 v50, 29, v10
	s_delay_alu instid0(VALU_DEP_2)
	v_and_b32_e32 v74, 7, v54
; %bb.1543:                             ;   in Loop: Header=BB228_1062 Depth=1
	s_or_b32 exec_lo, exec_lo, s16
	s_delay_alu instid0(VALU_DEP_1) | instskip(NEXT) | instid1(VALU_DEP_3)
	v_dual_lshlrev_b32 v10, 24, v52 :: v_dual_lshlrev_b32 v51, 20, v74
	v_lshl_add_u32 v50, v50, 23, 0x3c000000
	s_delay_alu instid0(VALU_DEP_2) | instskip(NEXT) | instid1(VALU_DEP_1)
	v_and_b32_e32 v10, 0x80000000, v10
	v_or3_b32 v74, v51, v10, v50
	s_delay_alu instid0(VALU_DEP_1)
	v_mov_b64_e32 v[50:51], v[74:75]
.LBB228_1544:                           ;   in Loop: Header=BB228_1062 Depth=1
	s_or_b32 exec_lo, exec_lo, s9
.LBB228_1545:                           ;   in Loop: Header=BB228_1062 Depth=1
	s_delay_alu instid0(SALU_CYCLE_1)
	s_or_b32 exec_lo, exec_lo, s8
.LBB228_1546:                           ;   in Loop: Header=BB228_1062 Depth=1
	s_delay_alu instid0(SALU_CYCLE_1) | instskip(SKIP_2) | instid1(VALU_DEP_1)
	s_or_b32 exec_lo, exec_lo, s3
	v_lshrrev_b16 v53, 8, v52
	s_mov_b32 s3, exec_lo
	v_cmpx_ne_u16_e32 0, v53
	s_cbranch_execz .LBB228_1554
; %bb.1547:                             ;   in Loop: Header=BB228_1062 Depth=1
	v_mov_b64_e32 v[0:1], 0x8000000000000000
	s_mov_b32 s8, exec_lo
	v_cmpx_ne_u16_e32 0x80, v53
	s_cbranch_execz .LBB228_1553
; %bb.1548:                             ;   in Loop: Header=BB228_1062 Depth=1
	v_and_b32_e32 v54, 0xffff, v53
	v_mov_b64_e32 v[0:1], 0x7f80000100000000
	s_mov_b32 s9, exec_lo
	s_delay_alu instid0(VALU_DEP_2) | instskip(NEXT) | instid1(VALU_DEP_1)
	v_and_b32_e32 v53, 0x7f, v54
	v_cmpx_ne_u32_e32 0x7f, v53
	s_cbranch_execz .LBB228_1552
; %bb.1549:                             ;   in Loop: Header=BB228_1062 Depth=1
	v_dual_lshrrev_b32 v0, 3, v53 :: v_dual_bitop2_b32 v74, 7, v54 bitop3:0x40
	s_mov_b32 s16, exec_lo
	v_cmpx_gt_u32_e32 8, v53
; %bb.1550:                             ;   in Loop: Header=BB228_1062 Depth=1
	s_delay_alu instid0(VALU_DEP_2) | instskip(NEXT) | instid1(VALU_DEP_1)
	v_clz_i32_u32_e32 v0, v74
	v_min_u32_e32 v0, 32, v0
	s_delay_alu instid0(VALU_DEP_1) | instskip(NEXT) | instid1(VALU_DEP_1)
	v_subrev_nc_u32_e32 v1, 28, v0
	v_lshlrev_b64_e32 v[54:55], v1, v[74:75]
	s_delay_alu instid0(VALU_DEP_1)
	v_dual_sub_nc_u32 v0, 29, v0 :: v_dual_bitop2_b32 v74, 7, v54 bitop3:0x40
; %bb.1551:                             ;   in Loop: Header=BB228_1062 Depth=1
	s_or_b32 exec_lo, exec_lo, s16
	s_delay_alu instid0(VALU_DEP_1) | instskip(NEXT) | instid1(VALU_DEP_2)
	v_dual_lshlrev_b32 v1, 16, v52 :: v_dual_lshlrev_b32 v10, 20, v74
	v_lshl_add_u32 v0, v0, 23, 0x3c000000
	s_delay_alu instid0(VALU_DEP_2) | instskip(NEXT) | instid1(VALU_DEP_1)
	v_and_b32_e32 v1, 0x80000000, v1
	v_or3_b32 v1, v10, v1, v0
	v_mov_b32_e32 v0, v75
.LBB228_1552:                           ;   in Loop: Header=BB228_1062 Depth=1
	s_or_b32 exec_lo, exec_lo, s9
.LBB228_1553:                           ;   in Loop: Header=BB228_1062 Depth=1
	s_delay_alu instid0(SALU_CYCLE_1)
	s_or_b32 exec_lo, exec_lo, s8
.LBB228_1554:                           ;   in Loop: Header=BB228_1062 Depth=1
	s_delay_alu instid0(SALU_CYCLE_1) | instskip(SKIP_4) | instid1(VALU_DEP_3)
	s_or_b32 exec_lo, exec_lo, s3
	v_lshrrev_b32_e32 v53, 16, v52
	v_mov_b64_e32 v[54:55], 0
	v_mov_b64_e32 v[64:65], 0
	s_mov_b32 s3, exec_lo
	v_and_b32_e32 v66, 0xff, v53
	s_delay_alu instid0(VALU_DEP_1)
	v_cmpx_ne_u16_e32 0, v66
	s_cbranch_execz .LBB228_1562
; %bb.1555:                             ;   in Loop: Header=BB228_1062 Depth=1
	v_mov_b64_e32 v[64:65], 0x80000000
	s_mov_b32 s8, exec_lo
	v_cmpx_ne_u16_e32 0x80, v66
	s_cbranch_execz .LBB228_1561
; %bb.1556:                             ;   in Loop: Header=BB228_1062 Depth=1
	v_mov_b64_e32 v[64:65], 0x7f800001
	v_bfe_u32 v66, v52, 16, 7
	s_mov_b32 s9, exec_lo
	s_delay_alu instid0(VALU_DEP_1)
	v_cmpx_ne_u32_e32 0x7f, v66
	s_cbranch_execz .LBB228_1560
; %bb.1557:                             ;   in Loop: Header=BB228_1062 Depth=1
	v_dual_lshrrev_b32 v64, 3, v66 :: v_dual_bitop2_b32 v74, 7, v53 bitop3:0x40
	s_mov_b32 s16, exec_lo
	v_cmpx_gt_u32_e32 8, v66
; %bb.1558:                             ;   in Loop: Header=BB228_1062 Depth=1
	s_delay_alu instid0(VALU_DEP_2) | instskip(NEXT) | instid1(VALU_DEP_1)
	v_clz_i32_u32_e32 v10, v74
	v_min_u32_e32 v10, 32, v10
	s_delay_alu instid0(VALU_DEP_1) | instskip(NEXT) | instid1(VALU_DEP_1)
	v_subrev_nc_u32_e32 v64, 28, v10
	v_lshlrev_b64_e32 v[66:67], v64, v[74:75]
	v_sub_nc_u32_e32 v64, 29, v10
	s_delay_alu instid0(VALU_DEP_2)
	v_and_b32_e32 v74, 7, v66
; %bb.1559:                             ;   in Loop: Header=BB228_1062 Depth=1
	s_or_b32 exec_lo, exec_lo, s16
	s_delay_alu instid0(VALU_DEP_1) | instskip(NEXT) | instid1(VALU_DEP_3)
	v_dual_lshlrev_b32 v10, 24, v53 :: v_dual_lshlrev_b32 v53, 20, v74
	v_lshl_add_u32 v64, v64, 23, 0x3c000000
	s_delay_alu instid0(VALU_DEP_2) | instskip(NEXT) | instid1(VALU_DEP_1)
	v_and_b32_e32 v10, 0x80000000, v10
	v_or3_b32 v74, v53, v10, v64
	s_delay_alu instid0(VALU_DEP_1)
	v_mov_b64_e32 v[64:65], v[74:75]
.LBB228_1560:                           ;   in Loop: Header=BB228_1062 Depth=1
	s_or_b32 exec_lo, exec_lo, s9
.LBB228_1561:                           ;   in Loop: Header=BB228_1062 Depth=1
	s_delay_alu instid0(SALU_CYCLE_1)
	s_or_b32 exec_lo, exec_lo, s8
.LBB228_1562:                           ;   in Loop: Header=BB228_1062 Depth=1
	s_delay_alu instid0(SALU_CYCLE_1) | instskip(NEXT) | instid1(SALU_CYCLE_1)
	s_or_b32 exec_lo, exec_lo, s3
	s_mov_b32 s3, exec_lo
	v_cmpx_lt_u32_e32 0xffffff, v52
	s_cbranch_execz .LBB228_1570
; %bb.1563:                             ;   in Loop: Header=BB228_1062 Depth=1
	v_mov_b64_e32 v[54:55], 0x8000000000000000
	v_lshrrev_b32_e32 v53, 24, v52
	s_mov_b32 s8, exec_lo
	s_delay_alu instid0(VALU_DEP_1)
	v_cmpx_ne_u32_e32 0x80, v53
	s_cbranch_execz .LBB228_1569
; %bb.1564:                             ;   in Loop: Header=BB228_1062 Depth=1
	v_mov_b64_e32 v[54:55], 0x7f80000100000000
	v_bfe_u32 v66, v52, 24, 7
	s_mov_b32 s9, exec_lo
	s_delay_alu instid0(VALU_DEP_1)
	v_cmpx_ne_u32_e32 0x7f, v66
	s_cbranch_execz .LBB228_1568
; %bb.1565:                             ;   in Loop: Header=BB228_1062 Depth=1
	v_dual_lshrrev_b32 v52, 3, v66 :: v_dual_bitop2_b32 v74, 7, v53 bitop3:0x40
	s_mov_b32 s16, exec_lo
	v_cmpx_gt_u32_e32 8, v66
; %bb.1566:                             ;   in Loop: Header=BB228_1062 Depth=1
	s_delay_alu instid0(VALU_DEP_2) | instskip(NEXT) | instid1(VALU_DEP_1)
	v_clz_i32_u32_e32 v10, v74
	v_min_u32_e32 v10, 32, v10
	s_delay_alu instid0(VALU_DEP_1) | instskip(NEXT) | instid1(VALU_DEP_1)
	v_subrev_nc_u32_e32 v52, 28, v10
	v_lshlrev_b64_e32 v[54:55], v52, v[74:75]
	v_sub_nc_u32_e32 v52, 29, v10
	s_delay_alu instid0(VALU_DEP_2)
	v_and_b32_e32 v74, 7, v54
; %bb.1567:                             ;   in Loop: Header=BB228_1062 Depth=1
	s_or_b32 exec_lo, exec_lo, s16
	s_delay_alu instid0(VALU_DEP_1) | instskip(NEXT) | instid1(VALU_DEP_3)
	v_dual_lshlrev_b32 v10, 24, v53 :: v_dual_lshlrev_b32 v53, 20, v74
	v_lshl_add_u32 v52, v52, 23, 0x3c000000
	v_mov_b32_e32 v54, v75
	s_delay_alu instid0(VALU_DEP_3) | instskip(NEXT) | instid1(VALU_DEP_1)
	v_and_b32_e32 v10, 0x80000000, v10
	v_or3_b32 v55, v53, v10, v52
.LBB228_1568:                           ;   in Loop: Header=BB228_1062 Depth=1
	s_or_b32 exec_lo, exec_lo, s9
.LBB228_1569:                           ;   in Loop: Header=BB228_1062 Depth=1
	s_delay_alu instid0(SALU_CYCLE_1)
	s_or_b32 exec_lo, exec_lo, s8
.LBB228_1570:                           ;   in Loop: Header=BB228_1062 Depth=1
	s_delay_alu instid0(SALU_CYCLE_1) | instskip(SKIP_4) | instid1(VALU_DEP_3)
	s_or_b32 exec_lo, exec_lo, s3
	v_or_b32_e32 v1, v1, v51
	v_or_b32_e32 v0, v0, v50
	;; [unrolled: 1-line block ×4, first 2 shown]
	v_pk_mul_f32 v[104:105], v[48:49], v[0:1]
	s_delay_alu instid0(VALU_DEP_2)
	v_pk_mul_f32 v[94:95], v[48:49], v[50:51]
	s_and_saveexec_b32 s3, vcc_lo
	s_cbranch_execz .LBB228_1572
; %bb.1571:                             ;   in Loop: Header=BB228_1062 Depth=1
	scratch_load_b64 v[0:1], off, s32 offset:200 ; 8-byte Folded Reload
	s_wait_loadcnt 0x0
	v_cmp_lt_i32_e64 s0, v11, v0
	s_delay_alu instid0(VALU_DEP_1) | instskip(SKIP_1) | instid1(VALU_DEP_1)
	v_cndmask_b32_e64 v104, 0, v104, s0
	v_cmp_lt_i32_e64 s0, v77, v0
	v_cndmask_b32_e64 v105, 0, v105, s0
	v_cmp_lt_i32_e64 s0, v73, v0
	s_delay_alu instid0(VALU_DEP_1) | instskip(SKIP_1) | instid1(VALU_DEP_1)
	v_cndmask_b32_e64 v94, 0, v94, s0
	v_cmp_lt_i32_e64 s0, v72, v0
	v_cndmask_b32_e64 v95, 0, v95, s0
.LBB228_1572:                           ;   in Loop: Header=BB228_1062 Depth=1
	s_wait_xcnt 0x0
	s_or_b32 exec_lo, exec_lo, s3
	flat_load_b32 v52, v[96:97] offset:1920
	v_mov_b64_e32 v[0:1], 0
	v_mov_b64_e32 v[50:51], 0
	s_mov_b32 s3, exec_lo
	s_wait_loadcnt_dscnt 0x0
	v_and_b32_e32 v53, 0xff, v52
	s_wait_xcnt 0x0
	s_delay_alu instid0(VALU_DEP_1)
	v_cmpx_ne_u16_e32 0, v53
	s_cbranch_execz .LBB228_1580
; %bb.1573:                             ;   in Loop: Header=BB228_1062 Depth=1
	v_mov_b64_e32 v[50:51], 0x80000000
	s_mov_b32 s8, exec_lo
	v_cmpx_ne_u16_e32 0x80, v53
	s_cbranch_execz .LBB228_1579
; %bb.1574:                             ;   in Loop: Header=BB228_1062 Depth=1
	v_mov_b64_e32 v[50:51], 0x7f800001
	v_and_b32_e32 v53, 0x7f, v52
	s_mov_b32 s9, exec_lo
	s_delay_alu instid0(VALU_DEP_1)
	v_cmpx_ne_u32_e32 0x7f, v53
	s_cbranch_execz .LBB228_1578
; %bb.1575:                             ;   in Loop: Header=BB228_1062 Depth=1
	v_dual_lshrrev_b32 v50, 3, v53 :: v_dual_bitop2_b32 v74, 7, v52 bitop3:0x40
	s_mov_b32 s16, exec_lo
	v_cmpx_gt_u32_e32 8, v53
; %bb.1576:                             ;   in Loop: Header=BB228_1062 Depth=1
	s_delay_alu instid0(VALU_DEP_2) | instskip(NEXT) | instid1(VALU_DEP_1)
	v_clz_i32_u32_e32 v10, v74
	v_min_u32_e32 v10, 32, v10
	s_delay_alu instid0(VALU_DEP_1) | instskip(NEXT) | instid1(VALU_DEP_1)
	v_subrev_nc_u32_e32 v50, 28, v10
	v_lshlrev_b64_e32 v[54:55], v50, v[74:75]
	v_sub_nc_u32_e32 v50, 29, v10
	s_delay_alu instid0(VALU_DEP_2)
	v_and_b32_e32 v74, 7, v54
; %bb.1577:                             ;   in Loop: Header=BB228_1062 Depth=1
	s_or_b32 exec_lo, exec_lo, s16
	s_delay_alu instid0(VALU_DEP_1) | instskip(NEXT) | instid1(VALU_DEP_3)
	v_dual_lshlrev_b32 v10, 24, v52 :: v_dual_lshlrev_b32 v51, 20, v74
	v_lshl_add_u32 v50, v50, 23, 0x3c000000
	s_delay_alu instid0(VALU_DEP_2) | instskip(NEXT) | instid1(VALU_DEP_1)
	v_and_b32_e32 v10, 0x80000000, v10
	v_or3_b32 v74, v51, v10, v50
	s_delay_alu instid0(VALU_DEP_1)
	v_mov_b64_e32 v[50:51], v[74:75]
.LBB228_1578:                           ;   in Loop: Header=BB228_1062 Depth=1
	s_or_b32 exec_lo, exec_lo, s9
.LBB228_1579:                           ;   in Loop: Header=BB228_1062 Depth=1
	s_delay_alu instid0(SALU_CYCLE_1)
	s_or_b32 exec_lo, exec_lo, s8
.LBB228_1580:                           ;   in Loop: Header=BB228_1062 Depth=1
	s_delay_alu instid0(SALU_CYCLE_1) | instskip(SKIP_2) | instid1(VALU_DEP_1)
	s_or_b32 exec_lo, exec_lo, s3
	v_lshrrev_b16 v53, 8, v52
	s_mov_b32 s3, exec_lo
	v_cmpx_ne_u16_e32 0, v53
	s_cbranch_execz .LBB228_1588
; %bb.1581:                             ;   in Loop: Header=BB228_1062 Depth=1
	v_mov_b64_e32 v[0:1], 0x8000000000000000
	s_mov_b32 s8, exec_lo
	v_cmpx_ne_u16_e32 0x80, v53
	s_cbranch_execz .LBB228_1587
; %bb.1582:                             ;   in Loop: Header=BB228_1062 Depth=1
	v_and_b32_e32 v54, 0xffff, v53
	v_mov_b64_e32 v[0:1], 0x7f80000100000000
	s_mov_b32 s9, exec_lo
	s_delay_alu instid0(VALU_DEP_2) | instskip(NEXT) | instid1(VALU_DEP_1)
	v_and_b32_e32 v53, 0x7f, v54
	v_cmpx_ne_u32_e32 0x7f, v53
	s_cbranch_execz .LBB228_1586
; %bb.1583:                             ;   in Loop: Header=BB228_1062 Depth=1
	v_dual_lshrrev_b32 v0, 3, v53 :: v_dual_bitop2_b32 v74, 7, v54 bitop3:0x40
	s_mov_b32 s16, exec_lo
	v_cmpx_gt_u32_e32 8, v53
; %bb.1584:                             ;   in Loop: Header=BB228_1062 Depth=1
	s_delay_alu instid0(VALU_DEP_2) | instskip(NEXT) | instid1(VALU_DEP_1)
	v_clz_i32_u32_e32 v0, v74
	v_min_u32_e32 v0, 32, v0
	s_delay_alu instid0(VALU_DEP_1) | instskip(NEXT) | instid1(VALU_DEP_1)
	v_subrev_nc_u32_e32 v1, 28, v0
	v_lshlrev_b64_e32 v[54:55], v1, v[74:75]
	s_delay_alu instid0(VALU_DEP_1)
	v_dual_sub_nc_u32 v0, 29, v0 :: v_dual_bitop2_b32 v74, 7, v54 bitop3:0x40
; %bb.1585:                             ;   in Loop: Header=BB228_1062 Depth=1
	s_or_b32 exec_lo, exec_lo, s16
	s_delay_alu instid0(VALU_DEP_1) | instskip(NEXT) | instid1(VALU_DEP_2)
	v_dual_lshlrev_b32 v1, 16, v52 :: v_dual_lshlrev_b32 v10, 20, v74
	v_lshl_add_u32 v0, v0, 23, 0x3c000000
	s_delay_alu instid0(VALU_DEP_2) | instskip(NEXT) | instid1(VALU_DEP_1)
	v_and_b32_e32 v1, 0x80000000, v1
	v_or3_b32 v1, v10, v1, v0
	v_mov_b32_e32 v0, v75
.LBB228_1586:                           ;   in Loop: Header=BB228_1062 Depth=1
	s_or_b32 exec_lo, exec_lo, s9
.LBB228_1587:                           ;   in Loop: Header=BB228_1062 Depth=1
	s_delay_alu instid0(SALU_CYCLE_1)
	s_or_b32 exec_lo, exec_lo, s8
.LBB228_1588:                           ;   in Loop: Header=BB228_1062 Depth=1
	s_delay_alu instid0(SALU_CYCLE_1) | instskip(SKIP_4) | instid1(VALU_DEP_3)
	s_or_b32 exec_lo, exec_lo, s3
	v_lshrrev_b32_e32 v53, 16, v52
	v_mov_b64_e32 v[54:55], 0
	v_mov_b64_e32 v[64:65], 0
	s_mov_b32 s3, exec_lo
	v_and_b32_e32 v66, 0xff, v53
	s_delay_alu instid0(VALU_DEP_1)
	v_cmpx_ne_u16_e32 0, v66
	s_cbranch_execz .LBB228_1596
; %bb.1589:                             ;   in Loop: Header=BB228_1062 Depth=1
	v_mov_b64_e32 v[64:65], 0x80000000
	s_mov_b32 s8, exec_lo
	v_cmpx_ne_u16_e32 0x80, v66
	s_cbranch_execz .LBB228_1595
; %bb.1590:                             ;   in Loop: Header=BB228_1062 Depth=1
	v_mov_b64_e32 v[64:65], 0x7f800001
	v_bfe_u32 v66, v52, 16, 7
	s_mov_b32 s9, exec_lo
	s_delay_alu instid0(VALU_DEP_1)
	v_cmpx_ne_u32_e32 0x7f, v66
	s_cbranch_execz .LBB228_1594
; %bb.1591:                             ;   in Loop: Header=BB228_1062 Depth=1
	v_dual_lshrrev_b32 v64, 3, v66 :: v_dual_bitop2_b32 v74, 7, v53 bitop3:0x40
	s_mov_b32 s16, exec_lo
	v_cmpx_gt_u32_e32 8, v66
; %bb.1592:                             ;   in Loop: Header=BB228_1062 Depth=1
	s_delay_alu instid0(VALU_DEP_2) | instskip(NEXT) | instid1(VALU_DEP_1)
	v_clz_i32_u32_e32 v10, v74
	v_min_u32_e32 v10, 32, v10
	s_delay_alu instid0(VALU_DEP_1) | instskip(NEXT) | instid1(VALU_DEP_1)
	v_subrev_nc_u32_e32 v64, 28, v10
	v_lshlrev_b64_e32 v[66:67], v64, v[74:75]
	v_sub_nc_u32_e32 v64, 29, v10
	s_delay_alu instid0(VALU_DEP_2)
	v_and_b32_e32 v74, 7, v66
; %bb.1593:                             ;   in Loop: Header=BB228_1062 Depth=1
	s_or_b32 exec_lo, exec_lo, s16
	s_delay_alu instid0(VALU_DEP_1) | instskip(NEXT) | instid1(VALU_DEP_3)
	v_dual_lshlrev_b32 v10, 24, v53 :: v_dual_lshlrev_b32 v53, 20, v74
	v_lshl_add_u32 v64, v64, 23, 0x3c000000
	s_delay_alu instid0(VALU_DEP_2) | instskip(NEXT) | instid1(VALU_DEP_1)
	v_and_b32_e32 v10, 0x80000000, v10
	v_or3_b32 v74, v53, v10, v64
	s_delay_alu instid0(VALU_DEP_1)
	v_mov_b64_e32 v[64:65], v[74:75]
.LBB228_1594:                           ;   in Loop: Header=BB228_1062 Depth=1
	s_or_b32 exec_lo, exec_lo, s9
.LBB228_1595:                           ;   in Loop: Header=BB228_1062 Depth=1
	s_delay_alu instid0(SALU_CYCLE_1)
	s_or_b32 exec_lo, exec_lo, s8
.LBB228_1596:                           ;   in Loop: Header=BB228_1062 Depth=1
	s_delay_alu instid0(SALU_CYCLE_1) | instskip(NEXT) | instid1(SALU_CYCLE_1)
	s_or_b32 exec_lo, exec_lo, s3
	s_mov_b32 s3, exec_lo
	v_cmpx_lt_u32_e32 0xffffff, v52
	s_cbranch_execz .LBB228_1604
; %bb.1597:                             ;   in Loop: Header=BB228_1062 Depth=1
	v_mov_b64_e32 v[54:55], 0x8000000000000000
	v_lshrrev_b32_e32 v53, 24, v52
	s_mov_b32 s8, exec_lo
	s_delay_alu instid0(VALU_DEP_1)
	v_cmpx_ne_u32_e32 0x80, v53
	s_cbranch_execz .LBB228_1603
; %bb.1598:                             ;   in Loop: Header=BB228_1062 Depth=1
	v_mov_b64_e32 v[54:55], 0x7f80000100000000
	v_bfe_u32 v66, v52, 24, 7
	s_mov_b32 s9, exec_lo
	s_delay_alu instid0(VALU_DEP_1)
	v_cmpx_ne_u32_e32 0x7f, v66
	s_cbranch_execz .LBB228_1602
; %bb.1599:                             ;   in Loop: Header=BB228_1062 Depth=1
	v_dual_lshrrev_b32 v52, 3, v66 :: v_dual_bitop2_b32 v74, 7, v53 bitop3:0x40
	s_mov_b32 s16, exec_lo
	v_cmpx_gt_u32_e32 8, v66
; %bb.1600:                             ;   in Loop: Header=BB228_1062 Depth=1
	s_delay_alu instid0(VALU_DEP_2) | instskip(NEXT) | instid1(VALU_DEP_1)
	v_clz_i32_u32_e32 v10, v74
	v_min_u32_e32 v10, 32, v10
	s_delay_alu instid0(VALU_DEP_1) | instskip(NEXT) | instid1(VALU_DEP_1)
	v_subrev_nc_u32_e32 v52, 28, v10
	v_lshlrev_b64_e32 v[54:55], v52, v[74:75]
	v_sub_nc_u32_e32 v52, 29, v10
	s_delay_alu instid0(VALU_DEP_2)
	v_and_b32_e32 v74, 7, v54
; %bb.1601:                             ;   in Loop: Header=BB228_1062 Depth=1
	s_or_b32 exec_lo, exec_lo, s16
	s_delay_alu instid0(VALU_DEP_1) | instskip(NEXT) | instid1(VALU_DEP_3)
	v_dual_lshlrev_b32 v10, 24, v53 :: v_dual_lshlrev_b32 v53, 20, v74
	v_lshl_add_u32 v52, v52, 23, 0x3c000000
	v_mov_b32_e32 v54, v75
	s_delay_alu instid0(VALU_DEP_3) | instskip(NEXT) | instid1(VALU_DEP_1)
	v_and_b32_e32 v10, 0x80000000, v10
	v_or3_b32 v55, v53, v10, v52
.LBB228_1602:                           ;   in Loop: Header=BB228_1062 Depth=1
	s_or_b32 exec_lo, exec_lo, s9
.LBB228_1603:                           ;   in Loop: Header=BB228_1062 Depth=1
	s_delay_alu instid0(SALU_CYCLE_1)
	s_or_b32 exec_lo, exec_lo, s8
.LBB228_1604:                           ;   in Loop: Header=BB228_1062 Depth=1
	s_delay_alu instid0(SALU_CYCLE_1) | instskip(SKIP_4) | instid1(VALU_DEP_3)
	s_or_b32 exec_lo, exec_lo, s3
	v_or_b32_e32 v1, v1, v51
	v_or_b32_e32 v0, v0, v50
	;; [unrolled: 1-line block ×4, first 2 shown]
	v_pk_mul_f32 v[108:109], v[48:49], v[0:1]
	s_delay_alu instid0(VALU_DEP_2)
	v_pk_mul_f32 v[106:107], v[48:49], v[50:51]
	s_and_saveexec_b32 s3, vcc_lo
	s_cbranch_execz .LBB228_1606
; %bb.1605:                             ;   in Loop: Header=BB228_1062 Depth=1
	scratch_load_b64 v[0:1], off, s32 offset:200 ; 8-byte Folded Reload
	s_wait_loadcnt 0x0
	v_cmp_lt_i32_e64 s0, v11, v0
	s_delay_alu instid0(VALU_DEP_1) | instskip(SKIP_1) | instid1(VALU_DEP_1)
	v_cndmask_b32_e64 v108, 0, v108, s0
	v_cmp_lt_i32_e64 s0, v77, v0
	v_cndmask_b32_e64 v109, 0, v109, s0
	v_cmp_lt_i32_e64 s0, v73, v0
	s_delay_alu instid0(VALU_DEP_1) | instskip(SKIP_1) | instid1(VALU_DEP_1)
	v_cndmask_b32_e64 v106, 0, v106, s0
	v_cmp_lt_i32_e64 s0, v72, v0
	v_cndmask_b32_e64 v107, 0, v107, s0
.LBB228_1606:                           ;   in Loop: Header=BB228_1062 Depth=1
	s_wait_xcnt 0x0
	s_or_b32 exec_lo, exec_lo, s3
	flat_load_b32 v52, v[96:97] offset:2048
	v_mov_b64_e32 v[0:1], 0
	v_mov_b64_e32 v[50:51], 0
	s_mov_b32 s3, exec_lo
	s_wait_loadcnt_dscnt 0x0
	v_and_b32_e32 v53, 0xff, v52
	s_wait_xcnt 0x0
	s_delay_alu instid0(VALU_DEP_1)
	v_cmpx_ne_u16_e32 0, v53
	s_cbranch_execz .LBB228_1614
; %bb.1607:                             ;   in Loop: Header=BB228_1062 Depth=1
	v_mov_b64_e32 v[50:51], 0x80000000
	s_mov_b32 s8, exec_lo
	v_cmpx_ne_u16_e32 0x80, v53
	s_cbranch_execz .LBB228_1613
; %bb.1608:                             ;   in Loop: Header=BB228_1062 Depth=1
	v_mov_b64_e32 v[50:51], 0x7f800001
	v_and_b32_e32 v53, 0x7f, v52
	s_mov_b32 s9, exec_lo
	s_delay_alu instid0(VALU_DEP_1)
	v_cmpx_ne_u32_e32 0x7f, v53
	s_cbranch_execz .LBB228_1612
; %bb.1609:                             ;   in Loop: Header=BB228_1062 Depth=1
	v_dual_lshrrev_b32 v50, 3, v53 :: v_dual_bitop2_b32 v74, 7, v52 bitop3:0x40
	s_mov_b32 s16, exec_lo
	v_cmpx_gt_u32_e32 8, v53
; %bb.1610:                             ;   in Loop: Header=BB228_1062 Depth=1
	s_delay_alu instid0(VALU_DEP_2) | instskip(NEXT) | instid1(VALU_DEP_1)
	v_clz_i32_u32_e32 v10, v74
	v_min_u32_e32 v10, 32, v10
	s_delay_alu instid0(VALU_DEP_1) | instskip(NEXT) | instid1(VALU_DEP_1)
	v_subrev_nc_u32_e32 v50, 28, v10
	v_lshlrev_b64_e32 v[54:55], v50, v[74:75]
	v_sub_nc_u32_e32 v50, 29, v10
	s_delay_alu instid0(VALU_DEP_2)
	v_and_b32_e32 v74, 7, v54
; %bb.1611:                             ;   in Loop: Header=BB228_1062 Depth=1
	s_or_b32 exec_lo, exec_lo, s16
	s_delay_alu instid0(VALU_DEP_1) | instskip(NEXT) | instid1(VALU_DEP_3)
	v_dual_lshlrev_b32 v10, 24, v52 :: v_dual_lshlrev_b32 v51, 20, v74
	v_lshl_add_u32 v50, v50, 23, 0x3c000000
	s_delay_alu instid0(VALU_DEP_2) | instskip(NEXT) | instid1(VALU_DEP_1)
	v_and_b32_e32 v10, 0x80000000, v10
	v_or3_b32 v74, v51, v10, v50
	s_delay_alu instid0(VALU_DEP_1)
	v_mov_b64_e32 v[50:51], v[74:75]
.LBB228_1612:                           ;   in Loop: Header=BB228_1062 Depth=1
	s_or_b32 exec_lo, exec_lo, s9
.LBB228_1613:                           ;   in Loop: Header=BB228_1062 Depth=1
	s_delay_alu instid0(SALU_CYCLE_1)
	s_or_b32 exec_lo, exec_lo, s8
.LBB228_1614:                           ;   in Loop: Header=BB228_1062 Depth=1
	s_delay_alu instid0(SALU_CYCLE_1) | instskip(SKIP_2) | instid1(VALU_DEP_1)
	s_or_b32 exec_lo, exec_lo, s3
	v_lshrrev_b16 v53, 8, v52
	s_mov_b32 s3, exec_lo
	v_cmpx_ne_u16_e32 0, v53
	s_cbranch_execz .LBB228_1622
; %bb.1615:                             ;   in Loop: Header=BB228_1062 Depth=1
	v_mov_b64_e32 v[0:1], 0x8000000000000000
	s_mov_b32 s8, exec_lo
	v_cmpx_ne_u16_e32 0x80, v53
	s_cbranch_execz .LBB228_1621
; %bb.1616:                             ;   in Loop: Header=BB228_1062 Depth=1
	v_and_b32_e32 v54, 0xffff, v53
	v_mov_b64_e32 v[0:1], 0x7f80000100000000
	s_mov_b32 s9, exec_lo
	s_delay_alu instid0(VALU_DEP_2) | instskip(NEXT) | instid1(VALU_DEP_1)
	v_and_b32_e32 v53, 0x7f, v54
	v_cmpx_ne_u32_e32 0x7f, v53
	s_cbranch_execz .LBB228_1620
; %bb.1617:                             ;   in Loop: Header=BB228_1062 Depth=1
	v_dual_lshrrev_b32 v0, 3, v53 :: v_dual_bitop2_b32 v74, 7, v54 bitop3:0x40
	s_mov_b32 s16, exec_lo
	v_cmpx_gt_u32_e32 8, v53
; %bb.1618:                             ;   in Loop: Header=BB228_1062 Depth=1
	s_delay_alu instid0(VALU_DEP_2) | instskip(NEXT) | instid1(VALU_DEP_1)
	v_clz_i32_u32_e32 v0, v74
	v_min_u32_e32 v0, 32, v0
	s_delay_alu instid0(VALU_DEP_1) | instskip(NEXT) | instid1(VALU_DEP_1)
	v_subrev_nc_u32_e32 v1, 28, v0
	v_lshlrev_b64_e32 v[54:55], v1, v[74:75]
	s_delay_alu instid0(VALU_DEP_1)
	v_dual_sub_nc_u32 v0, 29, v0 :: v_dual_bitop2_b32 v74, 7, v54 bitop3:0x40
; %bb.1619:                             ;   in Loop: Header=BB228_1062 Depth=1
	s_or_b32 exec_lo, exec_lo, s16
	s_delay_alu instid0(VALU_DEP_1) | instskip(NEXT) | instid1(VALU_DEP_2)
	v_dual_lshlrev_b32 v1, 16, v52 :: v_dual_lshlrev_b32 v10, 20, v74
	v_lshl_add_u32 v0, v0, 23, 0x3c000000
	s_delay_alu instid0(VALU_DEP_2) | instskip(NEXT) | instid1(VALU_DEP_1)
	v_and_b32_e32 v1, 0x80000000, v1
	v_or3_b32 v1, v10, v1, v0
	v_mov_b32_e32 v0, v75
.LBB228_1620:                           ;   in Loop: Header=BB228_1062 Depth=1
	s_or_b32 exec_lo, exec_lo, s9
.LBB228_1621:                           ;   in Loop: Header=BB228_1062 Depth=1
	s_delay_alu instid0(SALU_CYCLE_1)
	s_or_b32 exec_lo, exec_lo, s8
.LBB228_1622:                           ;   in Loop: Header=BB228_1062 Depth=1
	s_delay_alu instid0(SALU_CYCLE_1) | instskip(SKIP_4) | instid1(VALU_DEP_3)
	s_or_b32 exec_lo, exec_lo, s3
	v_lshrrev_b32_e32 v53, 16, v52
	v_mov_b64_e32 v[54:55], 0
	v_mov_b64_e32 v[64:65], 0
	s_mov_b32 s3, exec_lo
	v_and_b32_e32 v66, 0xff, v53
	s_delay_alu instid0(VALU_DEP_1)
	v_cmpx_ne_u16_e32 0, v66
	s_cbranch_execz .LBB228_1630
; %bb.1623:                             ;   in Loop: Header=BB228_1062 Depth=1
	v_mov_b64_e32 v[64:65], 0x80000000
	s_mov_b32 s8, exec_lo
	v_cmpx_ne_u16_e32 0x80, v66
	s_cbranch_execz .LBB228_1629
; %bb.1624:                             ;   in Loop: Header=BB228_1062 Depth=1
	v_mov_b64_e32 v[64:65], 0x7f800001
	v_bfe_u32 v66, v52, 16, 7
	s_mov_b32 s9, exec_lo
	s_delay_alu instid0(VALU_DEP_1)
	v_cmpx_ne_u32_e32 0x7f, v66
	s_cbranch_execz .LBB228_1628
; %bb.1625:                             ;   in Loop: Header=BB228_1062 Depth=1
	v_dual_lshrrev_b32 v64, 3, v66 :: v_dual_bitop2_b32 v74, 7, v53 bitop3:0x40
	s_mov_b32 s16, exec_lo
	v_cmpx_gt_u32_e32 8, v66
; %bb.1626:                             ;   in Loop: Header=BB228_1062 Depth=1
	s_delay_alu instid0(VALU_DEP_2) | instskip(NEXT) | instid1(VALU_DEP_1)
	v_clz_i32_u32_e32 v10, v74
	v_min_u32_e32 v10, 32, v10
	s_delay_alu instid0(VALU_DEP_1) | instskip(NEXT) | instid1(VALU_DEP_1)
	v_subrev_nc_u32_e32 v64, 28, v10
	v_lshlrev_b64_e32 v[66:67], v64, v[74:75]
	v_sub_nc_u32_e32 v64, 29, v10
	s_delay_alu instid0(VALU_DEP_2)
	v_and_b32_e32 v74, 7, v66
; %bb.1627:                             ;   in Loop: Header=BB228_1062 Depth=1
	s_or_b32 exec_lo, exec_lo, s16
	s_delay_alu instid0(VALU_DEP_1) | instskip(NEXT) | instid1(VALU_DEP_3)
	v_dual_lshlrev_b32 v10, 24, v53 :: v_dual_lshlrev_b32 v53, 20, v74
	v_lshl_add_u32 v64, v64, 23, 0x3c000000
	s_delay_alu instid0(VALU_DEP_2) | instskip(NEXT) | instid1(VALU_DEP_1)
	v_and_b32_e32 v10, 0x80000000, v10
	v_or3_b32 v74, v53, v10, v64
	s_delay_alu instid0(VALU_DEP_1)
	v_mov_b64_e32 v[64:65], v[74:75]
.LBB228_1628:                           ;   in Loop: Header=BB228_1062 Depth=1
	s_or_b32 exec_lo, exec_lo, s9
.LBB228_1629:                           ;   in Loop: Header=BB228_1062 Depth=1
	s_delay_alu instid0(SALU_CYCLE_1)
	s_or_b32 exec_lo, exec_lo, s8
.LBB228_1630:                           ;   in Loop: Header=BB228_1062 Depth=1
	s_delay_alu instid0(SALU_CYCLE_1) | instskip(NEXT) | instid1(SALU_CYCLE_1)
	s_or_b32 exec_lo, exec_lo, s3
	s_mov_b32 s3, exec_lo
	v_cmpx_lt_u32_e32 0xffffff, v52
	s_cbranch_execz .LBB228_1638
; %bb.1631:                             ;   in Loop: Header=BB228_1062 Depth=1
	v_mov_b64_e32 v[54:55], 0x8000000000000000
	v_lshrrev_b32_e32 v53, 24, v52
	s_mov_b32 s8, exec_lo
	s_delay_alu instid0(VALU_DEP_1)
	v_cmpx_ne_u32_e32 0x80, v53
	s_cbranch_execz .LBB228_1637
; %bb.1632:                             ;   in Loop: Header=BB228_1062 Depth=1
	v_mov_b64_e32 v[54:55], 0x7f80000100000000
	v_bfe_u32 v66, v52, 24, 7
	s_mov_b32 s9, exec_lo
	s_delay_alu instid0(VALU_DEP_1)
	v_cmpx_ne_u32_e32 0x7f, v66
	s_cbranch_execz .LBB228_1636
; %bb.1633:                             ;   in Loop: Header=BB228_1062 Depth=1
	v_dual_lshrrev_b32 v52, 3, v66 :: v_dual_bitop2_b32 v74, 7, v53 bitop3:0x40
	s_mov_b32 s16, exec_lo
	v_cmpx_gt_u32_e32 8, v66
; %bb.1634:                             ;   in Loop: Header=BB228_1062 Depth=1
	s_delay_alu instid0(VALU_DEP_2) | instskip(NEXT) | instid1(VALU_DEP_1)
	v_clz_i32_u32_e32 v10, v74
	v_min_u32_e32 v10, 32, v10
	s_delay_alu instid0(VALU_DEP_1) | instskip(NEXT) | instid1(VALU_DEP_1)
	v_subrev_nc_u32_e32 v52, 28, v10
	v_lshlrev_b64_e32 v[54:55], v52, v[74:75]
	v_sub_nc_u32_e32 v52, 29, v10
	s_delay_alu instid0(VALU_DEP_2)
	v_and_b32_e32 v74, 7, v54
; %bb.1635:                             ;   in Loop: Header=BB228_1062 Depth=1
	s_or_b32 exec_lo, exec_lo, s16
	s_delay_alu instid0(VALU_DEP_1) | instskip(NEXT) | instid1(VALU_DEP_3)
	v_dual_lshlrev_b32 v10, 24, v53 :: v_dual_lshlrev_b32 v53, 20, v74
	v_lshl_add_u32 v52, v52, 23, 0x3c000000
	v_mov_b32_e32 v54, v75
	s_delay_alu instid0(VALU_DEP_3) | instskip(NEXT) | instid1(VALU_DEP_1)
	v_and_b32_e32 v10, 0x80000000, v10
	v_or3_b32 v55, v53, v10, v52
.LBB228_1636:                           ;   in Loop: Header=BB228_1062 Depth=1
	s_or_b32 exec_lo, exec_lo, s9
.LBB228_1637:                           ;   in Loop: Header=BB228_1062 Depth=1
	s_delay_alu instid0(SALU_CYCLE_1)
	s_or_b32 exec_lo, exec_lo, s8
.LBB228_1638:                           ;   in Loop: Header=BB228_1062 Depth=1
	s_delay_alu instid0(SALU_CYCLE_1) | instskip(SKIP_4) | instid1(VALU_DEP_3)
	s_or_b32 exec_lo, exec_lo, s3
	v_or_b32_e32 v1, v1, v51
	v_or_b32_e32 v0, v0, v50
	;; [unrolled: 1-line block ×4, first 2 shown]
	v_pk_mul_f32 v[120:121], v[48:49], v[0:1]
	s_delay_alu instid0(VALU_DEP_2)
	v_pk_mul_f32 v[110:111], v[48:49], v[50:51]
	s_and_saveexec_b32 s3, vcc_lo
	s_cbranch_execz .LBB228_1640
; %bb.1639:                             ;   in Loop: Header=BB228_1062 Depth=1
	scratch_load_b64 v[0:1], off, s32 offset:200 ; 8-byte Folded Reload
	s_wait_loadcnt 0x0
	v_cmp_lt_i32_e64 s0, v11, v0
	s_delay_alu instid0(VALU_DEP_1) | instskip(SKIP_1) | instid1(VALU_DEP_1)
	v_cndmask_b32_e64 v120, 0, v120, s0
	v_cmp_lt_i32_e64 s0, v77, v0
	v_cndmask_b32_e64 v121, 0, v121, s0
	v_cmp_lt_i32_e64 s0, v73, v0
	s_delay_alu instid0(VALU_DEP_1) | instskip(SKIP_1) | instid1(VALU_DEP_1)
	v_cndmask_b32_e64 v110, 0, v110, s0
	v_cmp_lt_i32_e64 s0, v72, v0
	v_cndmask_b32_e64 v111, 0, v111, s0
.LBB228_1640:                           ;   in Loop: Header=BB228_1062 Depth=1
	s_wait_xcnt 0x0
	s_or_b32 exec_lo, exec_lo, s3
	flat_load_b32 v52, v[96:97] offset:2176
	v_mov_b64_e32 v[0:1], 0
	v_mov_b64_e32 v[50:51], 0
	s_mov_b32 s3, exec_lo
	s_wait_loadcnt_dscnt 0x0
	v_and_b32_e32 v53, 0xff, v52
	s_wait_xcnt 0x0
	s_delay_alu instid0(VALU_DEP_1)
	v_cmpx_ne_u16_e32 0, v53
	s_cbranch_execz .LBB228_1648
; %bb.1641:                             ;   in Loop: Header=BB228_1062 Depth=1
	v_mov_b64_e32 v[50:51], 0x80000000
	s_mov_b32 s8, exec_lo
	v_cmpx_ne_u16_e32 0x80, v53
	s_cbranch_execz .LBB228_1647
; %bb.1642:                             ;   in Loop: Header=BB228_1062 Depth=1
	v_mov_b64_e32 v[50:51], 0x7f800001
	v_and_b32_e32 v53, 0x7f, v52
	s_mov_b32 s9, exec_lo
	s_delay_alu instid0(VALU_DEP_1)
	v_cmpx_ne_u32_e32 0x7f, v53
	s_cbranch_execz .LBB228_1646
; %bb.1643:                             ;   in Loop: Header=BB228_1062 Depth=1
	v_dual_lshrrev_b32 v50, 3, v53 :: v_dual_bitop2_b32 v74, 7, v52 bitop3:0x40
	s_mov_b32 s16, exec_lo
	v_cmpx_gt_u32_e32 8, v53
; %bb.1644:                             ;   in Loop: Header=BB228_1062 Depth=1
	s_delay_alu instid0(VALU_DEP_2) | instskip(NEXT) | instid1(VALU_DEP_1)
	v_clz_i32_u32_e32 v10, v74
	v_min_u32_e32 v10, 32, v10
	s_delay_alu instid0(VALU_DEP_1) | instskip(NEXT) | instid1(VALU_DEP_1)
	v_subrev_nc_u32_e32 v50, 28, v10
	v_lshlrev_b64_e32 v[54:55], v50, v[74:75]
	v_sub_nc_u32_e32 v50, 29, v10
	s_delay_alu instid0(VALU_DEP_2)
	v_and_b32_e32 v74, 7, v54
; %bb.1645:                             ;   in Loop: Header=BB228_1062 Depth=1
	s_or_b32 exec_lo, exec_lo, s16
	s_delay_alu instid0(VALU_DEP_1) | instskip(NEXT) | instid1(VALU_DEP_3)
	v_dual_lshlrev_b32 v10, 24, v52 :: v_dual_lshlrev_b32 v51, 20, v74
	v_lshl_add_u32 v50, v50, 23, 0x3c000000
	s_delay_alu instid0(VALU_DEP_2) | instskip(NEXT) | instid1(VALU_DEP_1)
	v_and_b32_e32 v10, 0x80000000, v10
	v_or3_b32 v74, v51, v10, v50
	s_delay_alu instid0(VALU_DEP_1)
	v_mov_b64_e32 v[50:51], v[74:75]
.LBB228_1646:                           ;   in Loop: Header=BB228_1062 Depth=1
	s_or_b32 exec_lo, exec_lo, s9
.LBB228_1647:                           ;   in Loop: Header=BB228_1062 Depth=1
	s_delay_alu instid0(SALU_CYCLE_1)
	s_or_b32 exec_lo, exec_lo, s8
.LBB228_1648:                           ;   in Loop: Header=BB228_1062 Depth=1
	s_delay_alu instid0(SALU_CYCLE_1) | instskip(SKIP_2) | instid1(VALU_DEP_1)
	s_or_b32 exec_lo, exec_lo, s3
	v_lshrrev_b16 v53, 8, v52
	s_mov_b32 s3, exec_lo
	v_cmpx_ne_u16_e32 0, v53
	s_cbranch_execz .LBB228_1656
; %bb.1649:                             ;   in Loop: Header=BB228_1062 Depth=1
	v_mov_b64_e32 v[0:1], 0x8000000000000000
	s_mov_b32 s8, exec_lo
	v_cmpx_ne_u16_e32 0x80, v53
	s_cbranch_execz .LBB228_1655
; %bb.1650:                             ;   in Loop: Header=BB228_1062 Depth=1
	v_and_b32_e32 v54, 0xffff, v53
	v_mov_b64_e32 v[0:1], 0x7f80000100000000
	s_mov_b32 s9, exec_lo
	s_delay_alu instid0(VALU_DEP_2) | instskip(NEXT) | instid1(VALU_DEP_1)
	v_and_b32_e32 v53, 0x7f, v54
	v_cmpx_ne_u32_e32 0x7f, v53
	s_cbranch_execz .LBB228_1654
; %bb.1651:                             ;   in Loop: Header=BB228_1062 Depth=1
	v_dual_lshrrev_b32 v0, 3, v53 :: v_dual_bitop2_b32 v74, 7, v54 bitop3:0x40
	s_mov_b32 s16, exec_lo
	v_cmpx_gt_u32_e32 8, v53
; %bb.1652:                             ;   in Loop: Header=BB228_1062 Depth=1
	s_delay_alu instid0(VALU_DEP_2) | instskip(NEXT) | instid1(VALU_DEP_1)
	v_clz_i32_u32_e32 v0, v74
	v_min_u32_e32 v0, 32, v0
	s_delay_alu instid0(VALU_DEP_1) | instskip(NEXT) | instid1(VALU_DEP_1)
	v_subrev_nc_u32_e32 v1, 28, v0
	v_lshlrev_b64_e32 v[54:55], v1, v[74:75]
	s_delay_alu instid0(VALU_DEP_1)
	v_dual_sub_nc_u32 v0, 29, v0 :: v_dual_bitop2_b32 v74, 7, v54 bitop3:0x40
; %bb.1653:                             ;   in Loop: Header=BB228_1062 Depth=1
	s_or_b32 exec_lo, exec_lo, s16
	s_delay_alu instid0(VALU_DEP_1) | instskip(NEXT) | instid1(VALU_DEP_2)
	v_dual_lshlrev_b32 v1, 16, v52 :: v_dual_lshlrev_b32 v10, 20, v74
	v_lshl_add_u32 v0, v0, 23, 0x3c000000
	s_delay_alu instid0(VALU_DEP_2) | instskip(NEXT) | instid1(VALU_DEP_1)
	v_and_b32_e32 v1, 0x80000000, v1
	v_or3_b32 v1, v10, v1, v0
	v_mov_b32_e32 v0, v75
.LBB228_1654:                           ;   in Loop: Header=BB228_1062 Depth=1
	s_or_b32 exec_lo, exec_lo, s9
.LBB228_1655:                           ;   in Loop: Header=BB228_1062 Depth=1
	s_delay_alu instid0(SALU_CYCLE_1)
	s_or_b32 exec_lo, exec_lo, s8
.LBB228_1656:                           ;   in Loop: Header=BB228_1062 Depth=1
	s_delay_alu instid0(SALU_CYCLE_1) | instskip(SKIP_4) | instid1(VALU_DEP_3)
	s_or_b32 exec_lo, exec_lo, s3
	v_lshrrev_b32_e32 v53, 16, v52
	v_mov_b64_e32 v[54:55], 0
	v_mov_b64_e32 v[64:65], 0
	s_mov_b32 s3, exec_lo
	v_and_b32_e32 v66, 0xff, v53
	s_delay_alu instid0(VALU_DEP_1)
	v_cmpx_ne_u16_e32 0, v66
	s_cbranch_execz .LBB228_1664
; %bb.1657:                             ;   in Loop: Header=BB228_1062 Depth=1
	v_mov_b64_e32 v[64:65], 0x80000000
	s_mov_b32 s8, exec_lo
	v_cmpx_ne_u16_e32 0x80, v66
	s_cbranch_execz .LBB228_1663
; %bb.1658:                             ;   in Loop: Header=BB228_1062 Depth=1
	v_mov_b64_e32 v[64:65], 0x7f800001
	v_bfe_u32 v66, v52, 16, 7
	s_mov_b32 s9, exec_lo
	s_delay_alu instid0(VALU_DEP_1)
	v_cmpx_ne_u32_e32 0x7f, v66
	s_cbranch_execz .LBB228_1662
; %bb.1659:                             ;   in Loop: Header=BB228_1062 Depth=1
	v_dual_lshrrev_b32 v64, 3, v66 :: v_dual_bitop2_b32 v74, 7, v53 bitop3:0x40
	s_mov_b32 s16, exec_lo
	v_cmpx_gt_u32_e32 8, v66
; %bb.1660:                             ;   in Loop: Header=BB228_1062 Depth=1
	s_delay_alu instid0(VALU_DEP_2) | instskip(NEXT) | instid1(VALU_DEP_1)
	v_clz_i32_u32_e32 v10, v74
	v_min_u32_e32 v10, 32, v10
	s_delay_alu instid0(VALU_DEP_1) | instskip(NEXT) | instid1(VALU_DEP_1)
	v_subrev_nc_u32_e32 v64, 28, v10
	v_lshlrev_b64_e32 v[66:67], v64, v[74:75]
	v_sub_nc_u32_e32 v64, 29, v10
	s_delay_alu instid0(VALU_DEP_2)
	v_and_b32_e32 v74, 7, v66
; %bb.1661:                             ;   in Loop: Header=BB228_1062 Depth=1
	s_or_b32 exec_lo, exec_lo, s16
	s_delay_alu instid0(VALU_DEP_1) | instskip(NEXT) | instid1(VALU_DEP_3)
	v_dual_lshlrev_b32 v10, 24, v53 :: v_dual_lshlrev_b32 v53, 20, v74
	v_lshl_add_u32 v64, v64, 23, 0x3c000000
	s_delay_alu instid0(VALU_DEP_2) | instskip(NEXT) | instid1(VALU_DEP_1)
	v_and_b32_e32 v10, 0x80000000, v10
	v_or3_b32 v74, v53, v10, v64
	s_delay_alu instid0(VALU_DEP_1)
	v_mov_b64_e32 v[64:65], v[74:75]
.LBB228_1662:                           ;   in Loop: Header=BB228_1062 Depth=1
	s_or_b32 exec_lo, exec_lo, s9
.LBB228_1663:                           ;   in Loop: Header=BB228_1062 Depth=1
	s_delay_alu instid0(SALU_CYCLE_1)
	s_or_b32 exec_lo, exec_lo, s8
.LBB228_1664:                           ;   in Loop: Header=BB228_1062 Depth=1
	s_delay_alu instid0(SALU_CYCLE_1) | instskip(NEXT) | instid1(SALU_CYCLE_1)
	s_or_b32 exec_lo, exec_lo, s3
	s_mov_b32 s3, exec_lo
	v_cmpx_lt_u32_e32 0xffffff, v52
	s_cbranch_execz .LBB228_1672
; %bb.1665:                             ;   in Loop: Header=BB228_1062 Depth=1
	v_mov_b64_e32 v[54:55], 0x8000000000000000
	v_lshrrev_b32_e32 v53, 24, v52
	s_mov_b32 s8, exec_lo
	s_delay_alu instid0(VALU_DEP_1)
	v_cmpx_ne_u32_e32 0x80, v53
	s_cbranch_execz .LBB228_1671
; %bb.1666:                             ;   in Loop: Header=BB228_1062 Depth=1
	v_mov_b64_e32 v[54:55], 0x7f80000100000000
	v_bfe_u32 v66, v52, 24, 7
	s_mov_b32 s9, exec_lo
	s_delay_alu instid0(VALU_DEP_1)
	v_cmpx_ne_u32_e32 0x7f, v66
	s_cbranch_execz .LBB228_1670
; %bb.1667:                             ;   in Loop: Header=BB228_1062 Depth=1
	v_dual_lshrrev_b32 v52, 3, v66 :: v_dual_bitop2_b32 v74, 7, v53 bitop3:0x40
	s_mov_b32 s16, exec_lo
	v_cmpx_gt_u32_e32 8, v66
; %bb.1668:                             ;   in Loop: Header=BB228_1062 Depth=1
	s_delay_alu instid0(VALU_DEP_2) | instskip(NEXT) | instid1(VALU_DEP_1)
	v_clz_i32_u32_e32 v10, v74
	v_min_u32_e32 v10, 32, v10
	s_delay_alu instid0(VALU_DEP_1) | instskip(NEXT) | instid1(VALU_DEP_1)
	v_subrev_nc_u32_e32 v52, 28, v10
	v_lshlrev_b64_e32 v[54:55], v52, v[74:75]
	v_sub_nc_u32_e32 v52, 29, v10
	s_delay_alu instid0(VALU_DEP_2)
	v_and_b32_e32 v74, 7, v54
; %bb.1669:                             ;   in Loop: Header=BB228_1062 Depth=1
	s_or_b32 exec_lo, exec_lo, s16
	s_delay_alu instid0(VALU_DEP_1) | instskip(NEXT) | instid1(VALU_DEP_3)
	v_dual_lshlrev_b32 v10, 24, v53 :: v_dual_lshlrev_b32 v53, 20, v74
	v_lshl_add_u32 v52, v52, 23, 0x3c000000
	v_mov_b32_e32 v54, v75
	s_delay_alu instid0(VALU_DEP_3) | instskip(NEXT) | instid1(VALU_DEP_1)
	v_and_b32_e32 v10, 0x80000000, v10
	v_or3_b32 v55, v53, v10, v52
.LBB228_1670:                           ;   in Loop: Header=BB228_1062 Depth=1
	s_or_b32 exec_lo, exec_lo, s9
.LBB228_1671:                           ;   in Loop: Header=BB228_1062 Depth=1
	s_delay_alu instid0(SALU_CYCLE_1)
	s_or_b32 exec_lo, exec_lo, s8
.LBB228_1672:                           ;   in Loop: Header=BB228_1062 Depth=1
	s_delay_alu instid0(SALU_CYCLE_1) | instskip(SKIP_4) | instid1(VALU_DEP_3)
	s_or_b32 exec_lo, exec_lo, s3
	v_or_b32_e32 v1, v1, v51
	v_or_b32_e32 v0, v0, v50
	;; [unrolled: 1-line block ×4, first 2 shown]
	v_pk_mul_f32 v[124:125], v[48:49], v[0:1]
	s_delay_alu instid0(VALU_DEP_2)
	v_pk_mul_f32 v[122:123], v[48:49], v[50:51]
	s_and_saveexec_b32 s3, vcc_lo
	s_cbranch_execz .LBB228_1674
; %bb.1673:                             ;   in Loop: Header=BB228_1062 Depth=1
	scratch_load_b64 v[0:1], off, s32 offset:200 ; 8-byte Folded Reload
	s_wait_loadcnt 0x0
	v_cmp_lt_i32_e64 s0, v11, v0
	s_delay_alu instid0(VALU_DEP_1) | instskip(SKIP_1) | instid1(VALU_DEP_1)
	v_cndmask_b32_e64 v124, 0, v124, s0
	v_cmp_lt_i32_e64 s0, v77, v0
	v_cndmask_b32_e64 v125, 0, v125, s0
	v_cmp_lt_i32_e64 s0, v73, v0
	s_delay_alu instid0(VALU_DEP_1) | instskip(SKIP_1) | instid1(VALU_DEP_1)
	v_cndmask_b32_e64 v122, 0, v122, s0
	v_cmp_lt_i32_e64 s0, v72, v0
	v_cndmask_b32_e64 v123, 0, v123, s0
.LBB228_1674:                           ;   in Loop: Header=BB228_1062 Depth=1
	s_wait_xcnt 0x0
	s_or_b32 exec_lo, exec_lo, s3
	flat_load_b32 v52, v[96:97] offset:2304
	v_mov_b64_e32 v[0:1], 0
	v_mov_b64_e32 v[50:51], 0
	s_mov_b32 s3, exec_lo
	s_wait_loadcnt_dscnt 0x0
	v_and_b32_e32 v53, 0xff, v52
	s_wait_xcnt 0x0
	s_delay_alu instid0(VALU_DEP_1)
	v_cmpx_ne_u16_e32 0, v53
	s_cbranch_execz .LBB228_1682
; %bb.1675:                             ;   in Loop: Header=BB228_1062 Depth=1
	v_mov_b64_e32 v[50:51], 0x80000000
	s_mov_b32 s8, exec_lo
	v_cmpx_ne_u16_e32 0x80, v53
	s_cbranch_execz .LBB228_1681
; %bb.1676:                             ;   in Loop: Header=BB228_1062 Depth=1
	v_mov_b64_e32 v[50:51], 0x7f800001
	v_and_b32_e32 v53, 0x7f, v52
	s_mov_b32 s9, exec_lo
	s_delay_alu instid0(VALU_DEP_1)
	v_cmpx_ne_u32_e32 0x7f, v53
	s_cbranch_execz .LBB228_1680
; %bb.1677:                             ;   in Loop: Header=BB228_1062 Depth=1
	v_dual_lshrrev_b32 v50, 3, v53 :: v_dual_bitop2_b32 v74, 7, v52 bitop3:0x40
	s_mov_b32 s16, exec_lo
	v_cmpx_gt_u32_e32 8, v53
; %bb.1678:                             ;   in Loop: Header=BB228_1062 Depth=1
	s_delay_alu instid0(VALU_DEP_2) | instskip(NEXT) | instid1(VALU_DEP_1)
	v_clz_i32_u32_e32 v10, v74
	v_min_u32_e32 v10, 32, v10
	s_delay_alu instid0(VALU_DEP_1) | instskip(NEXT) | instid1(VALU_DEP_1)
	v_subrev_nc_u32_e32 v50, 28, v10
	v_lshlrev_b64_e32 v[54:55], v50, v[74:75]
	v_sub_nc_u32_e32 v50, 29, v10
	s_delay_alu instid0(VALU_DEP_2)
	v_and_b32_e32 v74, 7, v54
; %bb.1679:                             ;   in Loop: Header=BB228_1062 Depth=1
	s_or_b32 exec_lo, exec_lo, s16
	s_delay_alu instid0(VALU_DEP_1) | instskip(NEXT) | instid1(VALU_DEP_3)
	v_dual_lshlrev_b32 v10, 24, v52 :: v_dual_lshlrev_b32 v51, 20, v74
	v_lshl_add_u32 v50, v50, 23, 0x3c000000
	s_delay_alu instid0(VALU_DEP_2) | instskip(NEXT) | instid1(VALU_DEP_1)
	v_and_b32_e32 v10, 0x80000000, v10
	v_or3_b32 v74, v51, v10, v50
	s_delay_alu instid0(VALU_DEP_1)
	v_mov_b64_e32 v[50:51], v[74:75]
.LBB228_1680:                           ;   in Loop: Header=BB228_1062 Depth=1
	s_or_b32 exec_lo, exec_lo, s9
.LBB228_1681:                           ;   in Loop: Header=BB228_1062 Depth=1
	s_delay_alu instid0(SALU_CYCLE_1)
	s_or_b32 exec_lo, exec_lo, s8
.LBB228_1682:                           ;   in Loop: Header=BB228_1062 Depth=1
	s_delay_alu instid0(SALU_CYCLE_1) | instskip(SKIP_2) | instid1(VALU_DEP_1)
	s_or_b32 exec_lo, exec_lo, s3
	v_lshrrev_b16 v53, 8, v52
	s_mov_b32 s3, exec_lo
	v_cmpx_ne_u16_e32 0, v53
	s_cbranch_execz .LBB228_1690
; %bb.1683:                             ;   in Loop: Header=BB228_1062 Depth=1
	v_mov_b64_e32 v[0:1], 0x8000000000000000
	s_mov_b32 s8, exec_lo
	v_cmpx_ne_u16_e32 0x80, v53
	s_cbranch_execz .LBB228_1689
; %bb.1684:                             ;   in Loop: Header=BB228_1062 Depth=1
	v_and_b32_e32 v54, 0xffff, v53
	v_mov_b64_e32 v[0:1], 0x7f80000100000000
	s_mov_b32 s9, exec_lo
	s_delay_alu instid0(VALU_DEP_2) | instskip(NEXT) | instid1(VALU_DEP_1)
	v_and_b32_e32 v53, 0x7f, v54
	v_cmpx_ne_u32_e32 0x7f, v53
	s_cbranch_execz .LBB228_1688
; %bb.1685:                             ;   in Loop: Header=BB228_1062 Depth=1
	v_dual_lshrrev_b32 v0, 3, v53 :: v_dual_bitop2_b32 v74, 7, v54 bitop3:0x40
	s_mov_b32 s16, exec_lo
	v_cmpx_gt_u32_e32 8, v53
; %bb.1686:                             ;   in Loop: Header=BB228_1062 Depth=1
	s_delay_alu instid0(VALU_DEP_2) | instskip(NEXT) | instid1(VALU_DEP_1)
	v_clz_i32_u32_e32 v0, v74
	v_min_u32_e32 v0, 32, v0
	s_delay_alu instid0(VALU_DEP_1) | instskip(NEXT) | instid1(VALU_DEP_1)
	v_subrev_nc_u32_e32 v1, 28, v0
	v_lshlrev_b64_e32 v[54:55], v1, v[74:75]
	s_delay_alu instid0(VALU_DEP_1)
	v_dual_sub_nc_u32 v0, 29, v0 :: v_dual_bitop2_b32 v74, 7, v54 bitop3:0x40
; %bb.1687:                             ;   in Loop: Header=BB228_1062 Depth=1
	s_or_b32 exec_lo, exec_lo, s16
	s_delay_alu instid0(VALU_DEP_1) | instskip(NEXT) | instid1(VALU_DEP_2)
	v_dual_lshlrev_b32 v1, 16, v52 :: v_dual_lshlrev_b32 v10, 20, v74
	v_lshl_add_u32 v0, v0, 23, 0x3c000000
	s_delay_alu instid0(VALU_DEP_2) | instskip(NEXT) | instid1(VALU_DEP_1)
	v_and_b32_e32 v1, 0x80000000, v1
	v_or3_b32 v1, v10, v1, v0
	v_mov_b32_e32 v0, v75
.LBB228_1688:                           ;   in Loop: Header=BB228_1062 Depth=1
	s_or_b32 exec_lo, exec_lo, s9
.LBB228_1689:                           ;   in Loop: Header=BB228_1062 Depth=1
	s_delay_alu instid0(SALU_CYCLE_1)
	s_or_b32 exec_lo, exec_lo, s8
.LBB228_1690:                           ;   in Loop: Header=BB228_1062 Depth=1
	s_delay_alu instid0(SALU_CYCLE_1) | instskip(SKIP_4) | instid1(VALU_DEP_3)
	s_or_b32 exec_lo, exec_lo, s3
	v_lshrrev_b32_e32 v53, 16, v52
	v_mov_b64_e32 v[54:55], 0
	v_mov_b64_e32 v[64:65], 0
	s_mov_b32 s3, exec_lo
	v_and_b32_e32 v66, 0xff, v53
	s_delay_alu instid0(VALU_DEP_1)
	v_cmpx_ne_u16_e32 0, v66
	s_cbranch_execz .LBB228_1698
; %bb.1691:                             ;   in Loop: Header=BB228_1062 Depth=1
	v_mov_b64_e32 v[64:65], 0x80000000
	s_mov_b32 s8, exec_lo
	v_cmpx_ne_u16_e32 0x80, v66
	s_cbranch_execz .LBB228_1697
; %bb.1692:                             ;   in Loop: Header=BB228_1062 Depth=1
	v_mov_b64_e32 v[64:65], 0x7f800001
	v_bfe_u32 v66, v52, 16, 7
	s_mov_b32 s9, exec_lo
	s_delay_alu instid0(VALU_DEP_1)
	v_cmpx_ne_u32_e32 0x7f, v66
	s_cbranch_execz .LBB228_1696
; %bb.1693:                             ;   in Loop: Header=BB228_1062 Depth=1
	v_dual_lshrrev_b32 v64, 3, v66 :: v_dual_bitop2_b32 v74, 7, v53 bitop3:0x40
	s_mov_b32 s16, exec_lo
	v_cmpx_gt_u32_e32 8, v66
; %bb.1694:                             ;   in Loop: Header=BB228_1062 Depth=1
	s_delay_alu instid0(VALU_DEP_2) | instskip(NEXT) | instid1(VALU_DEP_1)
	v_clz_i32_u32_e32 v10, v74
	v_min_u32_e32 v10, 32, v10
	s_delay_alu instid0(VALU_DEP_1) | instskip(NEXT) | instid1(VALU_DEP_1)
	v_subrev_nc_u32_e32 v64, 28, v10
	v_lshlrev_b64_e32 v[66:67], v64, v[74:75]
	v_sub_nc_u32_e32 v64, 29, v10
	s_delay_alu instid0(VALU_DEP_2)
	v_and_b32_e32 v74, 7, v66
; %bb.1695:                             ;   in Loop: Header=BB228_1062 Depth=1
	s_or_b32 exec_lo, exec_lo, s16
	s_delay_alu instid0(VALU_DEP_1) | instskip(NEXT) | instid1(VALU_DEP_3)
	v_dual_lshlrev_b32 v10, 24, v53 :: v_dual_lshlrev_b32 v53, 20, v74
	v_lshl_add_u32 v64, v64, 23, 0x3c000000
	s_delay_alu instid0(VALU_DEP_2) | instskip(NEXT) | instid1(VALU_DEP_1)
	v_and_b32_e32 v10, 0x80000000, v10
	v_or3_b32 v74, v53, v10, v64
	s_delay_alu instid0(VALU_DEP_1)
	v_mov_b64_e32 v[64:65], v[74:75]
.LBB228_1696:                           ;   in Loop: Header=BB228_1062 Depth=1
	s_or_b32 exec_lo, exec_lo, s9
.LBB228_1697:                           ;   in Loop: Header=BB228_1062 Depth=1
	s_delay_alu instid0(SALU_CYCLE_1)
	s_or_b32 exec_lo, exec_lo, s8
.LBB228_1698:                           ;   in Loop: Header=BB228_1062 Depth=1
	s_delay_alu instid0(SALU_CYCLE_1) | instskip(NEXT) | instid1(SALU_CYCLE_1)
	s_or_b32 exec_lo, exec_lo, s3
	s_mov_b32 s3, exec_lo
	v_cmpx_lt_u32_e32 0xffffff, v52
	s_cbranch_execz .LBB228_1706
; %bb.1699:                             ;   in Loop: Header=BB228_1062 Depth=1
	v_mov_b64_e32 v[54:55], 0x8000000000000000
	v_lshrrev_b32_e32 v53, 24, v52
	s_mov_b32 s8, exec_lo
	s_delay_alu instid0(VALU_DEP_1)
	v_cmpx_ne_u32_e32 0x80, v53
	s_cbranch_execz .LBB228_1705
; %bb.1700:                             ;   in Loop: Header=BB228_1062 Depth=1
	v_mov_b64_e32 v[54:55], 0x7f80000100000000
	v_bfe_u32 v66, v52, 24, 7
	s_mov_b32 s9, exec_lo
	s_delay_alu instid0(VALU_DEP_1)
	v_cmpx_ne_u32_e32 0x7f, v66
	s_cbranch_execz .LBB228_1704
; %bb.1701:                             ;   in Loop: Header=BB228_1062 Depth=1
	v_dual_lshrrev_b32 v52, 3, v66 :: v_dual_bitop2_b32 v74, 7, v53 bitop3:0x40
	s_mov_b32 s16, exec_lo
	v_cmpx_gt_u32_e32 8, v66
; %bb.1702:                             ;   in Loop: Header=BB228_1062 Depth=1
	s_delay_alu instid0(VALU_DEP_2) | instskip(NEXT) | instid1(VALU_DEP_1)
	v_clz_i32_u32_e32 v10, v74
	v_min_u32_e32 v10, 32, v10
	s_delay_alu instid0(VALU_DEP_1) | instskip(NEXT) | instid1(VALU_DEP_1)
	v_subrev_nc_u32_e32 v52, 28, v10
	v_lshlrev_b64_e32 v[54:55], v52, v[74:75]
	v_sub_nc_u32_e32 v52, 29, v10
	s_delay_alu instid0(VALU_DEP_2)
	v_and_b32_e32 v74, 7, v54
; %bb.1703:                             ;   in Loop: Header=BB228_1062 Depth=1
	s_or_b32 exec_lo, exec_lo, s16
	s_delay_alu instid0(VALU_DEP_1) | instskip(NEXT) | instid1(VALU_DEP_3)
	v_dual_lshlrev_b32 v10, 24, v53 :: v_dual_lshlrev_b32 v53, 20, v74
	v_lshl_add_u32 v52, v52, 23, 0x3c000000
	v_mov_b32_e32 v54, v75
	s_delay_alu instid0(VALU_DEP_3) | instskip(NEXT) | instid1(VALU_DEP_1)
	v_and_b32_e32 v10, 0x80000000, v10
	v_or3_b32 v55, v53, v10, v52
.LBB228_1704:                           ;   in Loop: Header=BB228_1062 Depth=1
	s_or_b32 exec_lo, exec_lo, s9
.LBB228_1705:                           ;   in Loop: Header=BB228_1062 Depth=1
	s_delay_alu instid0(SALU_CYCLE_1)
	s_or_b32 exec_lo, exec_lo, s8
.LBB228_1706:                           ;   in Loop: Header=BB228_1062 Depth=1
	s_delay_alu instid0(SALU_CYCLE_1) | instskip(SKIP_4) | instid1(VALU_DEP_3)
	s_or_b32 exec_lo, exec_lo, s3
	v_or_b32_e32 v1, v1, v51
	v_or_b32_e32 v0, v0, v50
	;; [unrolled: 1-line block ×4, first 2 shown]
	v_pk_mul_f32 v[50:51], v[48:49], v[0:1]
	s_delay_alu instid0(VALU_DEP_2)
	v_pk_mul_f32 v[126:127], v[48:49], v[52:53]
	s_and_saveexec_b32 s3, vcc_lo
	s_cbranch_execz .LBB228_1708
; %bb.1707:                             ;   in Loop: Header=BB228_1062 Depth=1
	scratch_load_b64 v[0:1], off, s32 offset:200 ; 8-byte Folded Reload
	s_wait_loadcnt 0x0
	v_cmp_lt_i32_e64 s0, v11, v0
	s_delay_alu instid0(VALU_DEP_1) | instskip(SKIP_1) | instid1(VALU_DEP_1)
	v_cndmask_b32_e64 v50, 0, v50, s0
	v_cmp_lt_i32_e64 s0, v77, v0
	v_cndmask_b32_e64 v51, 0, v51, s0
	v_cmp_lt_i32_e64 s0, v73, v0
	s_delay_alu instid0(VALU_DEP_1) | instskip(SKIP_1) | instid1(VALU_DEP_1)
	v_cndmask_b32_e64 v126, 0, v126, s0
	v_cmp_lt_i32_e64 s0, v72, v0
	v_cndmask_b32_e64 v127, 0, v127, s0
.LBB228_1708:                           ;   in Loop: Header=BB228_1062 Depth=1
	s_wait_xcnt 0x0
	s_or_b32 exec_lo, exec_lo, s3
	flat_load_b32 v52, v[96:97] offset:2432
	v_mov_b64_e32 v[0:1], 0
	v_mov_b64_e32 v[54:55], 0
	s_mov_b32 s3, exec_lo
	s_wait_loadcnt_dscnt 0x0
	v_and_b32_e32 v53, 0xff, v52
	s_wait_xcnt 0x0
	s_delay_alu instid0(VALU_DEP_1)
	v_cmpx_ne_u16_e32 0, v53
	s_cbranch_execz .LBB228_1716
; %bb.1709:                             ;   in Loop: Header=BB228_1062 Depth=1
	v_mov_b64_e32 v[54:55], 0x80000000
	s_mov_b32 s8, exec_lo
	v_cmpx_ne_u16_e32 0x80, v53
	s_cbranch_execz .LBB228_1715
; %bb.1710:                             ;   in Loop: Header=BB228_1062 Depth=1
	v_mov_b64_e32 v[54:55], 0x7f800001
	v_and_b32_e32 v64, 0x7f, v52
	s_mov_b32 s9, exec_lo
	s_delay_alu instid0(VALU_DEP_1)
	v_cmpx_ne_u32_e32 0x7f, v64
	s_cbranch_execz .LBB228_1714
; %bb.1711:                             ;   in Loop: Header=BB228_1062 Depth=1
	v_and_b32_e32 v74, 7, v52
	v_lshrrev_b32_e32 v53, 3, v64
	s_mov_b32 s16, exec_lo
	v_cmpx_gt_u32_e32 8, v64
; %bb.1712:                             ;   in Loop: Header=BB228_1062 Depth=1
	s_delay_alu instid0(VALU_DEP_3) | instskip(NEXT) | instid1(VALU_DEP_1)
	v_clz_i32_u32_e32 v10, v74
	v_min_u32_e32 v10, 32, v10
	s_delay_alu instid0(VALU_DEP_1) | instskip(NEXT) | instid1(VALU_DEP_1)
	v_subrev_nc_u32_e32 v53, 28, v10
	v_lshlrev_b64_e32 v[54:55], v53, v[74:75]
	v_sub_nc_u32_e32 v53, 29, v10
	s_delay_alu instid0(VALU_DEP_2)
	v_and_b32_e32 v74, 7, v54
; %bb.1713:                             ;   in Loop: Header=BB228_1062 Depth=1
	s_or_b32 exec_lo, exec_lo, s16
	s_delay_alu instid0(VALU_DEP_1) | instskip(NEXT) | instid1(VALU_DEP_3)
	v_dual_lshlrev_b32 v10, 24, v52 :: v_dual_lshlrev_b32 v54, 20, v74
	v_lshl_add_u32 v53, v53, 23, 0x3c000000
	s_delay_alu instid0(VALU_DEP_2) | instskip(NEXT) | instid1(VALU_DEP_1)
	v_and_b32_e32 v10, 0x80000000, v10
	v_or3_b32 v74, v54, v10, v53
	s_delay_alu instid0(VALU_DEP_1)
	v_mov_b64_e32 v[54:55], v[74:75]
.LBB228_1714:                           ;   in Loop: Header=BB228_1062 Depth=1
	s_or_b32 exec_lo, exec_lo, s9
.LBB228_1715:                           ;   in Loop: Header=BB228_1062 Depth=1
	s_delay_alu instid0(SALU_CYCLE_1)
	s_or_b32 exec_lo, exec_lo, s8
.LBB228_1716:                           ;   in Loop: Header=BB228_1062 Depth=1
	s_delay_alu instid0(SALU_CYCLE_1) | instskip(SKIP_2) | instid1(VALU_DEP_1)
	s_or_b32 exec_lo, exec_lo, s3
	v_lshrrev_b16 v53, 8, v52
	s_mov_b32 s3, exec_lo
	v_cmpx_ne_u16_e32 0, v53
	s_cbranch_execz .LBB228_1724
; %bb.1717:                             ;   in Loop: Header=BB228_1062 Depth=1
	v_mov_b64_e32 v[0:1], 0x8000000000000000
	s_mov_b32 s8, exec_lo
	v_cmpx_ne_u16_e32 0x80, v53
	s_cbranch_execz .LBB228_1723
; %bb.1718:                             ;   in Loop: Header=BB228_1062 Depth=1
	v_and_b32_e32 v64, 0xffff, v53
	v_mov_b64_e32 v[0:1], 0x7f80000100000000
	s_mov_b32 s9, exec_lo
	s_delay_alu instid0(VALU_DEP_2) | instskip(NEXT) | instid1(VALU_DEP_1)
	v_and_b32_e32 v53, 0x7f, v64
	v_cmpx_ne_u32_e32 0x7f, v53
	s_cbranch_execz .LBB228_1722
; %bb.1719:                             ;   in Loop: Header=BB228_1062 Depth=1
	v_dual_lshrrev_b32 v0, 3, v53 :: v_dual_bitop2_b32 v74, 7, v64 bitop3:0x40
	s_mov_b32 s16, exec_lo
	v_cmpx_gt_u32_e32 8, v53
; %bb.1720:                             ;   in Loop: Header=BB228_1062 Depth=1
	s_delay_alu instid0(VALU_DEP_2) | instskip(NEXT) | instid1(VALU_DEP_1)
	v_clz_i32_u32_e32 v0, v74
	v_min_u32_e32 v0, 32, v0
	s_delay_alu instid0(VALU_DEP_1) | instskip(SKIP_1) | instid1(VALU_DEP_2)
	v_subrev_nc_u32_e32 v1, 28, v0
	v_sub_nc_u32_e32 v0, 29, v0
	v_lshlrev_b64_e32 v[64:65], v1, v[74:75]
	s_delay_alu instid0(VALU_DEP_1)
	v_and_b32_e32 v74, 7, v64
; %bb.1721:                             ;   in Loop: Header=BB228_1062 Depth=1
	s_or_b32 exec_lo, exec_lo, s16
	s_delay_alu instid0(VALU_DEP_1) | instskip(SKIP_1) | instid1(VALU_DEP_2)
	v_dual_lshlrev_b32 v1, 16, v52 :: v_dual_lshlrev_b32 v10, 20, v74
	v_lshl_add_u32 v0, v0, 23, 0x3c000000
	v_and_b32_e32 v1, 0x80000000, v1
	s_delay_alu instid0(VALU_DEP_1)
	v_or3_b32 v1, v10, v1, v0
	v_mov_b32_e32 v0, v75
.LBB228_1722:                           ;   in Loop: Header=BB228_1062 Depth=1
	s_or_b32 exec_lo, exec_lo, s9
.LBB228_1723:                           ;   in Loop: Header=BB228_1062 Depth=1
	s_delay_alu instid0(SALU_CYCLE_1)
	s_or_b32 exec_lo, exec_lo, s8
.LBB228_1724:                           ;   in Loop: Header=BB228_1062 Depth=1
	s_delay_alu instid0(SALU_CYCLE_1) | instskip(SKIP_4) | instid1(VALU_DEP_3)
	s_or_b32 exec_lo, exec_lo, s3
	v_lshrrev_b32_e32 v53, 16, v52
	v_mov_b64_e32 v[64:65], 0
	v_mov_b64_e32 v[66:67], 0
	s_mov_b32 s3, exec_lo
	v_and_b32_e32 v68, 0xff, v53
	s_delay_alu instid0(VALU_DEP_1)
	v_cmpx_ne_u16_e32 0, v68
	s_cbranch_execz .LBB228_1732
; %bb.1725:                             ;   in Loop: Header=BB228_1062 Depth=1
	v_mov_b64_e32 v[66:67], 0x80000000
	s_mov_b32 s8, exec_lo
	v_cmpx_ne_u16_e32 0x80, v68
	s_cbranch_execz .LBB228_1731
; %bb.1726:                             ;   in Loop: Header=BB228_1062 Depth=1
	v_mov_b64_e32 v[66:67], 0x7f800001
	v_bfe_u32 v68, v52, 16, 7
	s_mov_b32 s9, exec_lo
	s_delay_alu instid0(VALU_DEP_1)
	v_cmpx_ne_u32_e32 0x7f, v68
	s_cbranch_execz .LBB228_1730
; %bb.1727:                             ;   in Loop: Header=BB228_1062 Depth=1
	v_dual_lshrrev_b32 v66, 3, v68 :: v_dual_bitop2_b32 v74, 7, v53 bitop3:0x40
	s_mov_b32 s16, exec_lo
	v_cmpx_gt_u32_e32 8, v68
; %bb.1728:                             ;   in Loop: Header=BB228_1062 Depth=1
	s_delay_alu instid0(VALU_DEP_2) | instskip(NEXT) | instid1(VALU_DEP_1)
	v_clz_i32_u32_e32 v10, v74
	v_min_u32_e32 v10, 32, v10
	s_delay_alu instid0(VALU_DEP_1) | instskip(NEXT) | instid1(VALU_DEP_1)
	v_subrev_nc_u32_e32 v66, 28, v10
	v_lshlrev_b64_e32 v[68:69], v66, v[74:75]
	s_delay_alu instid0(VALU_DEP_1)
	v_dual_sub_nc_u32 v66, 29, v10 :: v_dual_bitop2_b32 v74, 7, v68 bitop3:0x40
; %bb.1729:                             ;   in Loop: Header=BB228_1062 Depth=1
	s_or_b32 exec_lo, exec_lo, s16
	s_delay_alu instid0(VALU_DEP_1) | instskip(NEXT) | instid1(VALU_DEP_2)
	v_dual_lshlrev_b32 v10, 24, v53 :: v_dual_lshlrev_b32 v53, 20, v74
	v_lshl_add_u32 v66, v66, 23, 0x3c000000
	s_delay_alu instid0(VALU_DEP_2) | instskip(NEXT) | instid1(VALU_DEP_1)
	v_and_b32_e32 v10, 0x80000000, v10
	v_or3_b32 v74, v53, v10, v66
	s_delay_alu instid0(VALU_DEP_1)
	v_mov_b64_e32 v[66:67], v[74:75]
.LBB228_1730:                           ;   in Loop: Header=BB228_1062 Depth=1
	s_or_b32 exec_lo, exec_lo, s9
.LBB228_1731:                           ;   in Loop: Header=BB228_1062 Depth=1
	s_delay_alu instid0(SALU_CYCLE_1)
	s_or_b32 exec_lo, exec_lo, s8
.LBB228_1732:                           ;   in Loop: Header=BB228_1062 Depth=1
	s_delay_alu instid0(SALU_CYCLE_1) | instskip(NEXT) | instid1(SALU_CYCLE_1)
	s_or_b32 exec_lo, exec_lo, s3
	s_mov_b32 s3, exec_lo
	v_cmpx_lt_u32_e32 0xffffff, v52
	s_cbranch_execz .LBB228_1740
; %bb.1733:                             ;   in Loop: Header=BB228_1062 Depth=1
	v_mov_b64_e32 v[64:65], 0x8000000000000000
	v_lshrrev_b32_e32 v53, 24, v52
	s_mov_b32 s8, exec_lo
	s_delay_alu instid0(VALU_DEP_1)
	v_cmpx_ne_u32_e32 0x80, v53
	s_cbranch_execz .LBB228_1739
; %bb.1734:                             ;   in Loop: Header=BB228_1062 Depth=1
	v_mov_b64_e32 v[64:65], 0x7f80000100000000
	v_bfe_u32 v68, v52, 24, 7
	s_mov_b32 s9, exec_lo
	s_delay_alu instid0(VALU_DEP_1)
	v_cmpx_ne_u32_e32 0x7f, v68
	s_cbranch_execz .LBB228_1738
; %bb.1735:                             ;   in Loop: Header=BB228_1062 Depth=1
	v_dual_lshrrev_b32 v52, 3, v68 :: v_dual_bitop2_b32 v74, 7, v53 bitop3:0x40
	s_mov_b32 s16, exec_lo
	v_cmpx_gt_u32_e32 8, v68
; %bb.1736:                             ;   in Loop: Header=BB228_1062 Depth=1
	s_delay_alu instid0(VALU_DEP_2) | instskip(NEXT) | instid1(VALU_DEP_1)
	v_clz_i32_u32_e32 v10, v74
	v_min_u32_e32 v10, 32, v10
	s_delay_alu instid0(VALU_DEP_1) | instskip(NEXT) | instid1(VALU_DEP_1)
	v_subrev_nc_u32_e32 v52, 28, v10
	v_lshlrev_b64_e32 v[64:65], v52, v[74:75]
	s_delay_alu instid0(VALU_DEP_1)
	v_dual_sub_nc_u32 v52, 29, v10 :: v_dual_bitop2_b32 v74, 7, v64 bitop3:0x40
; %bb.1737:                             ;   in Loop: Header=BB228_1062 Depth=1
	s_or_b32 exec_lo, exec_lo, s16
	s_delay_alu instid0(VALU_DEP_1) | instskip(NEXT) | instid1(VALU_DEP_2)
	v_dual_lshlrev_b32 v10, 24, v53 :: v_dual_lshlrev_b32 v53, 20, v74
	v_lshl_add_u32 v52, v52, 23, 0x3c000000
	v_mov_b32_e32 v64, v75
	s_delay_alu instid0(VALU_DEP_3) | instskip(NEXT) | instid1(VALU_DEP_1)
	v_and_b32_e32 v10, 0x80000000, v10
	v_or3_b32 v65, v53, v10, v52
.LBB228_1738:                           ;   in Loop: Header=BB228_1062 Depth=1
	s_or_b32 exec_lo, exec_lo, s9
.LBB228_1739:                           ;   in Loop: Header=BB228_1062 Depth=1
	s_delay_alu instid0(SALU_CYCLE_1)
	s_or_b32 exec_lo, exec_lo, s8
.LBB228_1740:                           ;   in Loop: Header=BB228_1062 Depth=1
	s_delay_alu instid0(SALU_CYCLE_1) | instskip(SKIP_4) | instid1(VALU_DEP_3)
	s_or_b32 exec_lo, exec_lo, s3
	v_or_b32_e32 v1, v1, v55
	v_or_b32_e32 v0, v0, v54
	v_or_b32_e32 v53, v65, v67
	v_or_b32_e32 v52, v64, v66
	v_pk_mul_f32 v[64:65], v[48:49], v[0:1]
	s_delay_alu instid0(VALU_DEP_2)
	v_pk_mul_f32 v[54:55], v[48:49], v[52:53]
	s_and_saveexec_b32 s3, vcc_lo
	s_cbranch_execz .LBB228_1742
; %bb.1741:                             ;   in Loop: Header=BB228_1062 Depth=1
	scratch_load_b64 v[0:1], off, s32 offset:200 ; 8-byte Folded Reload
	s_wait_loadcnt 0x0
	v_cmp_lt_i32_e64 s0, v11, v0
	s_delay_alu instid0(VALU_DEP_1) | instskip(SKIP_1) | instid1(VALU_DEP_1)
	v_cndmask_b32_e64 v64, 0, v64, s0
	v_cmp_lt_i32_e64 s0, v77, v0
	v_cndmask_b32_e64 v65, 0, v65, s0
	v_cmp_lt_i32_e64 s0, v73, v0
	s_delay_alu instid0(VALU_DEP_1) | instskip(SKIP_1) | instid1(VALU_DEP_1)
	v_cndmask_b32_e64 v54, 0, v54, s0
	v_cmp_lt_i32_e64 s0, v72, v0
	v_cndmask_b32_e64 v55, 0, v55, s0
.LBB228_1742:                           ;   in Loop: Header=BB228_1062 Depth=1
	s_wait_xcnt 0x0
	s_or_b32 exec_lo, exec_lo, s3
	flat_load_b32 v52, v[96:97] offset:2560
	v_mov_b64_e32 v[0:1], 0
	v_mov_b64_e32 v[66:67], 0
	s_mov_b32 s3, exec_lo
	s_wait_loadcnt_dscnt 0x0
	v_and_b32_e32 v53, 0xff, v52
	s_wait_xcnt 0x0
	s_delay_alu instid0(VALU_DEP_1)
	v_cmpx_ne_u16_e32 0, v53
	s_cbranch_execz .LBB228_1750
; %bb.1743:                             ;   in Loop: Header=BB228_1062 Depth=1
	v_mov_b64_e32 v[66:67], 0x80000000
	s_mov_b32 s8, exec_lo
	v_cmpx_ne_u16_e32 0x80, v53
	s_cbranch_execz .LBB228_1749
; %bb.1744:                             ;   in Loop: Header=BB228_1062 Depth=1
	v_mov_b64_e32 v[66:67], 0x7f800001
	v_and_b32_e32 v68, 0x7f, v52
	s_mov_b32 s9, exec_lo
	s_delay_alu instid0(VALU_DEP_1)
	v_cmpx_ne_u32_e32 0x7f, v68
	s_cbranch_execz .LBB228_1748
; %bb.1745:                             ;   in Loop: Header=BB228_1062 Depth=1
	v_and_b32_e32 v74, 7, v52
	v_lshrrev_b32_e32 v53, 3, v68
	s_mov_b32 s16, exec_lo
	v_cmpx_gt_u32_e32 8, v68
; %bb.1746:                             ;   in Loop: Header=BB228_1062 Depth=1
	s_delay_alu instid0(VALU_DEP_3) | instskip(NEXT) | instid1(VALU_DEP_1)
	v_clz_i32_u32_e32 v10, v74
	v_min_u32_e32 v10, 32, v10
	s_delay_alu instid0(VALU_DEP_1) | instskip(NEXT) | instid1(VALU_DEP_1)
	v_subrev_nc_u32_e32 v53, 28, v10
	v_lshlrev_b64_e32 v[66:67], v53, v[74:75]
	v_sub_nc_u32_e32 v53, 29, v10
	s_delay_alu instid0(VALU_DEP_2)
	v_and_b32_e32 v74, 7, v66
; %bb.1747:                             ;   in Loop: Header=BB228_1062 Depth=1
	s_or_b32 exec_lo, exec_lo, s16
	s_delay_alu instid0(VALU_DEP_1) | instskip(NEXT) | instid1(VALU_DEP_3)
	v_dual_lshlrev_b32 v10, 24, v52 :: v_dual_lshlrev_b32 v66, 20, v74
	v_lshl_add_u32 v53, v53, 23, 0x3c000000
	s_delay_alu instid0(VALU_DEP_2) | instskip(NEXT) | instid1(VALU_DEP_1)
	v_and_b32_e32 v10, 0x80000000, v10
	v_or3_b32 v74, v66, v10, v53
	s_delay_alu instid0(VALU_DEP_1)
	v_mov_b64_e32 v[66:67], v[74:75]
.LBB228_1748:                           ;   in Loop: Header=BB228_1062 Depth=1
	s_or_b32 exec_lo, exec_lo, s9
.LBB228_1749:                           ;   in Loop: Header=BB228_1062 Depth=1
	s_delay_alu instid0(SALU_CYCLE_1)
	s_or_b32 exec_lo, exec_lo, s8
.LBB228_1750:                           ;   in Loop: Header=BB228_1062 Depth=1
	s_delay_alu instid0(SALU_CYCLE_1) | instskip(SKIP_2) | instid1(VALU_DEP_1)
	s_or_b32 exec_lo, exec_lo, s3
	v_lshrrev_b16 v53, 8, v52
	s_mov_b32 s3, exec_lo
	v_cmpx_ne_u16_e32 0, v53
	s_cbranch_execz .LBB228_1758
; %bb.1751:                             ;   in Loop: Header=BB228_1062 Depth=1
	v_mov_b64_e32 v[0:1], 0x8000000000000000
	s_mov_b32 s8, exec_lo
	v_cmpx_ne_u16_e32 0x80, v53
	s_cbranch_execz .LBB228_1757
; %bb.1752:                             ;   in Loop: Header=BB228_1062 Depth=1
	v_and_b32_e32 v68, 0xffff, v53
	v_mov_b64_e32 v[0:1], 0x7f80000100000000
	s_mov_b32 s9, exec_lo
	s_delay_alu instid0(VALU_DEP_2) | instskip(NEXT) | instid1(VALU_DEP_1)
	v_and_b32_e32 v53, 0x7f, v68
	v_cmpx_ne_u32_e32 0x7f, v53
	s_cbranch_execz .LBB228_1756
; %bb.1753:                             ;   in Loop: Header=BB228_1062 Depth=1
	v_dual_lshrrev_b32 v0, 3, v53 :: v_dual_bitop2_b32 v74, 7, v68 bitop3:0x40
	s_mov_b32 s16, exec_lo
	v_cmpx_gt_u32_e32 8, v53
; %bb.1754:                             ;   in Loop: Header=BB228_1062 Depth=1
	s_delay_alu instid0(VALU_DEP_2) | instskip(NEXT) | instid1(VALU_DEP_1)
	v_clz_i32_u32_e32 v0, v74
	v_min_u32_e32 v0, 32, v0
	s_delay_alu instid0(VALU_DEP_1) | instskip(SKIP_1) | instid1(VALU_DEP_2)
	v_subrev_nc_u32_e32 v1, 28, v0
	v_sub_nc_u32_e32 v0, 29, v0
	v_lshlrev_b64_e32 v[68:69], v1, v[74:75]
	s_delay_alu instid0(VALU_DEP_1)
	v_and_b32_e32 v74, 7, v68
; %bb.1755:                             ;   in Loop: Header=BB228_1062 Depth=1
	s_or_b32 exec_lo, exec_lo, s16
	s_delay_alu instid0(VALU_DEP_1) | instskip(SKIP_1) | instid1(VALU_DEP_2)
	v_dual_lshlrev_b32 v1, 16, v52 :: v_dual_lshlrev_b32 v10, 20, v74
	v_lshl_add_u32 v0, v0, 23, 0x3c000000
	v_and_b32_e32 v1, 0x80000000, v1
	s_delay_alu instid0(VALU_DEP_1)
	v_or3_b32 v1, v10, v1, v0
	v_mov_b32_e32 v0, v75
.LBB228_1756:                           ;   in Loop: Header=BB228_1062 Depth=1
	s_or_b32 exec_lo, exec_lo, s9
.LBB228_1757:                           ;   in Loop: Header=BB228_1062 Depth=1
	s_delay_alu instid0(SALU_CYCLE_1)
	s_or_b32 exec_lo, exec_lo, s8
.LBB228_1758:                           ;   in Loop: Header=BB228_1062 Depth=1
	s_delay_alu instid0(SALU_CYCLE_1) | instskip(SKIP_4) | instid1(VALU_DEP_3)
	s_or_b32 exec_lo, exec_lo, s3
	v_lshrrev_b32_e32 v53, 16, v52
	v_mov_b64_e32 v[68:69], 0
	v_mov_b64_e32 v[70:71], 0
	s_mov_b32 s3, exec_lo
	v_and_b32_e32 v80, 0xff, v53
	s_delay_alu instid0(VALU_DEP_1)
	v_cmpx_ne_u16_e32 0, v80
	s_cbranch_execz .LBB228_1766
; %bb.1759:                             ;   in Loop: Header=BB228_1062 Depth=1
	v_mov_b64_e32 v[70:71], 0x80000000
	s_mov_b32 s8, exec_lo
	v_cmpx_ne_u16_e32 0x80, v80
	s_cbranch_execz .LBB228_1765
; %bb.1760:                             ;   in Loop: Header=BB228_1062 Depth=1
	v_mov_b64_e32 v[70:71], 0x7f800001
	v_bfe_u32 v80, v52, 16, 7
	s_mov_b32 s9, exec_lo
	s_delay_alu instid0(VALU_DEP_1)
	v_cmpx_ne_u32_e32 0x7f, v80
	s_cbranch_execz .LBB228_1764
; %bb.1761:                             ;   in Loop: Header=BB228_1062 Depth=1
	v_dual_lshrrev_b32 v70, 3, v80 :: v_dual_bitop2_b32 v74, 7, v53 bitop3:0x40
	s_mov_b32 s16, exec_lo
	v_cmpx_gt_u32_e32 8, v80
; %bb.1762:                             ;   in Loop: Header=BB228_1062 Depth=1
	s_delay_alu instid0(VALU_DEP_2) | instskip(NEXT) | instid1(VALU_DEP_1)
	v_clz_i32_u32_e32 v10, v74
	v_min_u32_e32 v10, 32, v10
	s_delay_alu instid0(VALU_DEP_1) | instskip(NEXT) | instid1(VALU_DEP_1)
	v_subrev_nc_u32_e32 v70, 28, v10
	v_lshlrev_b64_e32 v[80:81], v70, v[74:75]
	s_delay_alu instid0(VALU_DEP_1)
	v_dual_sub_nc_u32 v70, 29, v10 :: v_dual_bitop2_b32 v74, 7, v80 bitop3:0x40
; %bb.1763:                             ;   in Loop: Header=BB228_1062 Depth=1
	s_or_b32 exec_lo, exec_lo, s16
	s_delay_alu instid0(VALU_DEP_1) | instskip(NEXT) | instid1(VALU_DEP_2)
	v_dual_lshlrev_b32 v10, 24, v53 :: v_dual_lshlrev_b32 v53, 20, v74
	v_lshl_add_u32 v70, v70, 23, 0x3c000000
	s_delay_alu instid0(VALU_DEP_2) | instskip(NEXT) | instid1(VALU_DEP_1)
	v_and_b32_e32 v10, 0x80000000, v10
	v_or3_b32 v74, v53, v10, v70
	s_delay_alu instid0(VALU_DEP_1)
	v_mov_b64_e32 v[70:71], v[74:75]
.LBB228_1764:                           ;   in Loop: Header=BB228_1062 Depth=1
	s_or_b32 exec_lo, exec_lo, s9
.LBB228_1765:                           ;   in Loop: Header=BB228_1062 Depth=1
	s_delay_alu instid0(SALU_CYCLE_1)
	s_or_b32 exec_lo, exec_lo, s8
.LBB228_1766:                           ;   in Loop: Header=BB228_1062 Depth=1
	s_delay_alu instid0(SALU_CYCLE_1) | instskip(NEXT) | instid1(SALU_CYCLE_1)
	s_or_b32 exec_lo, exec_lo, s3
	s_mov_b32 s3, exec_lo
	v_cmpx_lt_u32_e32 0xffffff, v52
	s_cbranch_execz .LBB228_1774
; %bb.1767:                             ;   in Loop: Header=BB228_1062 Depth=1
	v_mov_b64_e32 v[68:69], 0x8000000000000000
	v_lshrrev_b32_e32 v53, 24, v52
	s_mov_b32 s8, exec_lo
	s_delay_alu instid0(VALU_DEP_1)
	v_cmpx_ne_u32_e32 0x80, v53
	s_cbranch_execz .LBB228_1773
; %bb.1768:                             ;   in Loop: Header=BB228_1062 Depth=1
	v_mov_b64_e32 v[68:69], 0x7f80000100000000
	v_bfe_u32 v80, v52, 24, 7
	s_mov_b32 s9, exec_lo
	s_delay_alu instid0(VALU_DEP_1)
	v_cmpx_ne_u32_e32 0x7f, v80
	s_cbranch_execz .LBB228_1772
; %bb.1769:                             ;   in Loop: Header=BB228_1062 Depth=1
	v_dual_lshrrev_b32 v52, 3, v80 :: v_dual_bitop2_b32 v74, 7, v53 bitop3:0x40
	s_mov_b32 s16, exec_lo
	v_cmpx_gt_u32_e32 8, v80
; %bb.1770:                             ;   in Loop: Header=BB228_1062 Depth=1
	s_delay_alu instid0(VALU_DEP_2) | instskip(NEXT) | instid1(VALU_DEP_1)
	v_clz_i32_u32_e32 v10, v74
	v_min_u32_e32 v10, 32, v10
	s_delay_alu instid0(VALU_DEP_1) | instskip(NEXT) | instid1(VALU_DEP_1)
	v_subrev_nc_u32_e32 v52, 28, v10
	v_lshlrev_b64_e32 v[68:69], v52, v[74:75]
	s_delay_alu instid0(VALU_DEP_1)
	v_dual_sub_nc_u32 v52, 29, v10 :: v_dual_bitop2_b32 v74, 7, v68 bitop3:0x40
; %bb.1771:                             ;   in Loop: Header=BB228_1062 Depth=1
	s_or_b32 exec_lo, exec_lo, s16
	s_delay_alu instid0(VALU_DEP_1) | instskip(NEXT) | instid1(VALU_DEP_2)
	v_dual_lshlrev_b32 v10, 24, v53 :: v_dual_lshlrev_b32 v53, 20, v74
	v_lshl_add_u32 v52, v52, 23, 0x3c000000
	v_mov_b32_e32 v68, v75
	s_delay_alu instid0(VALU_DEP_3) | instskip(NEXT) | instid1(VALU_DEP_1)
	v_and_b32_e32 v10, 0x80000000, v10
	v_or3_b32 v69, v53, v10, v52
.LBB228_1772:                           ;   in Loop: Header=BB228_1062 Depth=1
	s_or_b32 exec_lo, exec_lo, s9
.LBB228_1773:                           ;   in Loop: Header=BB228_1062 Depth=1
	s_delay_alu instid0(SALU_CYCLE_1)
	s_or_b32 exec_lo, exec_lo, s8
.LBB228_1774:                           ;   in Loop: Header=BB228_1062 Depth=1
	s_delay_alu instid0(SALU_CYCLE_1) | instskip(SKIP_4) | instid1(VALU_DEP_3)
	s_or_b32 exec_lo, exec_lo, s3
	v_or_b32_e32 v1, v1, v67
	v_or_b32_e32 v0, v0, v66
	;; [unrolled: 1-line block ×4, first 2 shown]
	v_pk_mul_f32 v[0:1], v[48:49], v[0:1]
	s_delay_alu instid0(VALU_DEP_2)
	v_pk_mul_f32 v[82:83], v[48:49], v[52:53]
	s_and_saveexec_b32 s3, vcc_lo
	s_cbranch_execz .LBB228_1776
; %bb.1775:                             ;   in Loop: Header=BB228_1062 Depth=1
	scratch_load_b64 v[52:53], off, s32 offset:200 ; 8-byte Folded Reload
	s_wait_loadcnt 0x0
	v_mov_b32_e32 v10, v52
	s_delay_alu instid0(VALU_DEP_1) | instskip(NEXT) | instid1(VALU_DEP_1)
	v_cmp_lt_i32_e64 s0, v11, v10
	v_cndmask_b32_e64 v0, 0, v0, s0
	v_cmp_lt_i32_e64 s0, v77, v10
	s_delay_alu instid0(VALU_DEP_1) | instskip(SKIP_1) | instid1(VALU_DEP_1)
	v_cndmask_b32_e64 v1, 0, v1, s0
	v_cmp_lt_i32_e64 s0, v73, v10
	v_cndmask_b32_e64 v82, 0, v82, s0
	v_cmp_lt_i32_e64 s0, v72, v10
	s_delay_alu instid0(VALU_DEP_1)
	v_cndmask_b32_e64 v83, 0, v83, s0
.LBB228_1776:                           ;   in Loop: Header=BB228_1062 Depth=1
	s_wait_xcnt 0x0
	s_or_b32 exec_lo, exec_lo, s3
	flat_load_b32 v52, v[96:97] offset:2688
	v_mov_b64_e32 v[66:67], 0
	v_mov_b64_e32 v[68:69], 0
	s_mov_b32 s3, exec_lo
	s_wait_loadcnt_dscnt 0x0
	v_and_b32_e32 v53, 0xff, v52
	s_wait_xcnt 0x0
	s_delay_alu instid0(VALU_DEP_1)
	v_cmpx_ne_u16_e32 0, v53
	s_cbranch_execz .LBB228_1784
; %bb.1777:                             ;   in Loop: Header=BB228_1062 Depth=1
	v_mov_b64_e32 v[68:69], 0x80000000
	s_mov_b32 s8, exec_lo
	v_cmpx_ne_u16_e32 0x80, v53
	s_cbranch_execz .LBB228_1783
; %bb.1778:                             ;   in Loop: Header=BB228_1062 Depth=1
	v_mov_b64_e32 v[68:69], 0x7f800001
	v_and_b32_e32 v70, 0x7f, v52
	s_mov_b32 s9, exec_lo
	s_delay_alu instid0(VALU_DEP_1)
	v_cmpx_ne_u32_e32 0x7f, v70
	s_cbranch_execz .LBB228_1782
; %bb.1779:                             ;   in Loop: Header=BB228_1062 Depth=1
	v_dual_lshrrev_b32 v53, 3, v70 :: v_dual_bitop2_b32 v74, 7, v52 bitop3:0x40
	s_mov_b32 s16, exec_lo
	v_cmpx_gt_u32_e32 8, v70
; %bb.1780:                             ;   in Loop: Header=BB228_1062 Depth=1
	s_delay_alu instid0(VALU_DEP_2) | instskip(NEXT) | instid1(VALU_DEP_1)
	v_clz_i32_u32_e32 v10, v74
	v_min_u32_e32 v10, 32, v10
	s_delay_alu instid0(VALU_DEP_1) | instskip(NEXT) | instid1(VALU_DEP_1)
	v_subrev_nc_u32_e32 v53, 28, v10
	v_lshlrev_b64_e32 v[68:69], v53, v[74:75]
	s_delay_alu instid0(VALU_DEP_1)
	v_dual_sub_nc_u32 v53, 29, v10 :: v_dual_bitop2_b32 v74, 7, v68 bitop3:0x40
; %bb.1781:                             ;   in Loop: Header=BB228_1062 Depth=1
	s_or_b32 exec_lo, exec_lo, s16
	s_delay_alu instid0(VALU_DEP_1) | instskip(NEXT) | instid1(VALU_DEP_2)
	v_dual_lshlrev_b32 v10, 24, v52 :: v_dual_lshlrev_b32 v68, 20, v74
	v_lshl_add_u32 v53, v53, 23, 0x3c000000
	s_delay_alu instid0(VALU_DEP_2) | instskip(NEXT) | instid1(VALU_DEP_1)
	v_and_b32_e32 v10, 0x80000000, v10
	v_or3_b32 v74, v68, v10, v53
	s_delay_alu instid0(VALU_DEP_1)
	v_mov_b64_e32 v[68:69], v[74:75]
.LBB228_1782:                           ;   in Loop: Header=BB228_1062 Depth=1
	s_or_b32 exec_lo, exec_lo, s9
.LBB228_1783:                           ;   in Loop: Header=BB228_1062 Depth=1
	s_delay_alu instid0(SALU_CYCLE_1)
	s_or_b32 exec_lo, exec_lo, s8
.LBB228_1784:                           ;   in Loop: Header=BB228_1062 Depth=1
	s_delay_alu instid0(SALU_CYCLE_1) | instskip(SKIP_2) | instid1(VALU_DEP_1)
	s_or_b32 exec_lo, exec_lo, s3
	v_lshrrev_b16 v53, 8, v52
	s_mov_b32 s3, exec_lo
	v_cmpx_ne_u16_e32 0, v53
	s_cbranch_execz .LBB228_1792
; %bb.1785:                             ;   in Loop: Header=BB228_1062 Depth=1
	v_mov_b64_e32 v[66:67], 0x8000000000000000
	s_mov_b32 s8, exec_lo
	v_cmpx_ne_u16_e32 0x80, v53
	s_cbranch_execz .LBB228_1791
; %bb.1786:                             ;   in Loop: Header=BB228_1062 Depth=1
	v_and_b32_e32 v53, 0xffff, v53
	v_mov_b64_e32 v[66:67], 0x7f80000100000000
	s_mov_b32 s9, exec_lo
	s_delay_alu instid0(VALU_DEP_2) | instskip(NEXT) | instid1(VALU_DEP_1)
	v_and_b32_e32 v70, 0x7f, v53
	v_cmpx_ne_u32_e32 0x7f, v70
	s_cbranch_execz .LBB228_1790
; %bb.1787:                             ;   in Loop: Header=BB228_1062 Depth=1
	v_dual_lshrrev_b32 v53, 3, v70 :: v_dual_bitop2_b32 v74, 7, v53 bitop3:0x40
	s_mov_b32 s16, exec_lo
	v_cmpx_gt_u32_e32 8, v70
; %bb.1788:                             ;   in Loop: Header=BB228_1062 Depth=1
	s_delay_alu instid0(VALU_DEP_2) | instskip(NEXT) | instid1(VALU_DEP_1)
	v_clz_i32_u32_e32 v10, v74
	v_min_u32_e32 v10, 32, v10
	s_delay_alu instid0(VALU_DEP_1) | instskip(NEXT) | instid1(VALU_DEP_1)
	v_subrev_nc_u32_e32 v53, 28, v10
	v_lshlrev_b64_e32 v[66:67], v53, v[74:75]
	v_sub_nc_u32_e32 v53, 29, v10
	s_delay_alu instid0(VALU_DEP_2)
	v_and_b32_e32 v74, 7, v66
; %bb.1789:                             ;   in Loop: Header=BB228_1062 Depth=1
	s_or_b32 exec_lo, exec_lo, s16
	s_delay_alu instid0(VALU_DEP_1) | instskip(NEXT) | instid1(VALU_DEP_3)
	v_dual_lshlrev_b32 v10, 16, v52 :: v_dual_lshlrev_b32 v66, 20, v74
	v_lshl_add_u32 v53, v53, 23, 0x3c000000
	s_delay_alu instid0(VALU_DEP_2) | instskip(NEXT) | instid1(VALU_DEP_1)
	v_and_b32_e32 v10, 0x80000000, v10
	v_or3_b32 v67, v66, v10, v53
	v_mov_b32_e32 v66, v75
.LBB228_1790:                           ;   in Loop: Header=BB228_1062 Depth=1
	s_or_b32 exec_lo, exec_lo, s9
.LBB228_1791:                           ;   in Loop: Header=BB228_1062 Depth=1
	s_delay_alu instid0(SALU_CYCLE_1)
	s_or_b32 exec_lo, exec_lo, s8
.LBB228_1792:                           ;   in Loop: Header=BB228_1062 Depth=1
	s_delay_alu instid0(SALU_CYCLE_1) | instskip(SKIP_4) | instid1(VALU_DEP_3)
	s_or_b32 exec_lo, exec_lo, s3
	v_lshrrev_b32_e32 v53, 16, v52
	v_mov_b64_e32 v[70:71], 0
	v_mov_b64_e32 v[80:81], 0
	s_mov_b32 s3, exec_lo
	v_and_b32_e32 v84, 0xff, v53
	s_delay_alu instid0(VALU_DEP_1)
	v_cmpx_ne_u16_e32 0, v84
	s_cbranch_execz .LBB228_1800
; %bb.1793:                             ;   in Loop: Header=BB228_1062 Depth=1
	v_mov_b64_e32 v[80:81], 0x80000000
	s_mov_b32 s8, exec_lo
	v_cmpx_ne_u16_e32 0x80, v84
	s_cbranch_execz .LBB228_1799
; %bb.1794:                             ;   in Loop: Header=BB228_1062 Depth=1
	v_mov_b64_e32 v[80:81], 0x7f800001
	v_bfe_u32 v84, v52, 16, 7
	s_mov_b32 s9, exec_lo
	s_delay_alu instid0(VALU_DEP_1)
	v_cmpx_ne_u32_e32 0x7f, v84
	s_cbranch_execz .LBB228_1798
; %bb.1795:                             ;   in Loop: Header=BB228_1062 Depth=1
	v_dual_lshrrev_b32 v80, 3, v84 :: v_dual_bitop2_b32 v74, 7, v53 bitop3:0x40
	s_mov_b32 s16, exec_lo
	v_cmpx_gt_u32_e32 8, v84
; %bb.1796:                             ;   in Loop: Header=BB228_1062 Depth=1
	s_delay_alu instid0(VALU_DEP_2) | instskip(NEXT) | instid1(VALU_DEP_1)
	v_clz_i32_u32_e32 v10, v74
	v_min_u32_e32 v10, 32, v10
	s_delay_alu instid0(VALU_DEP_1) | instskip(NEXT) | instid1(VALU_DEP_1)
	v_subrev_nc_u32_e32 v80, 28, v10
	v_lshlrev_b64_e32 v[84:85], v80, v[74:75]
	s_delay_alu instid0(VALU_DEP_1)
	v_dual_sub_nc_u32 v80, 29, v10 :: v_dual_bitop2_b32 v74, 7, v84 bitop3:0x40
; %bb.1797:                             ;   in Loop: Header=BB228_1062 Depth=1
	s_or_b32 exec_lo, exec_lo, s16
	s_delay_alu instid0(VALU_DEP_1) | instskip(NEXT) | instid1(VALU_DEP_2)
	v_dual_lshlrev_b32 v10, 24, v53 :: v_dual_lshlrev_b32 v53, 20, v74
	v_lshl_add_u32 v80, v80, 23, 0x3c000000
	s_delay_alu instid0(VALU_DEP_2) | instskip(NEXT) | instid1(VALU_DEP_1)
	v_and_b32_e32 v10, 0x80000000, v10
	v_or3_b32 v74, v53, v10, v80
	s_delay_alu instid0(VALU_DEP_1)
	v_mov_b64_e32 v[80:81], v[74:75]
.LBB228_1798:                           ;   in Loop: Header=BB228_1062 Depth=1
	s_or_b32 exec_lo, exec_lo, s9
.LBB228_1799:                           ;   in Loop: Header=BB228_1062 Depth=1
	s_delay_alu instid0(SALU_CYCLE_1)
	s_or_b32 exec_lo, exec_lo, s8
.LBB228_1800:                           ;   in Loop: Header=BB228_1062 Depth=1
	s_delay_alu instid0(SALU_CYCLE_1) | instskip(NEXT) | instid1(SALU_CYCLE_1)
	s_or_b32 exec_lo, exec_lo, s3
	s_mov_b32 s3, exec_lo
	v_cmpx_lt_u32_e32 0xffffff, v52
	s_cbranch_execz .LBB228_1808
; %bb.1801:                             ;   in Loop: Header=BB228_1062 Depth=1
	v_mov_b64_e32 v[70:71], 0x8000000000000000
	v_lshrrev_b32_e32 v53, 24, v52
	s_mov_b32 s8, exec_lo
	s_delay_alu instid0(VALU_DEP_1)
	v_cmpx_ne_u32_e32 0x80, v53
	s_cbranch_execz .LBB228_1807
; %bb.1802:                             ;   in Loop: Header=BB228_1062 Depth=1
	v_mov_b64_e32 v[70:71], 0x7f80000100000000
	v_bfe_u32 v84, v52, 24, 7
	s_mov_b32 s9, exec_lo
	s_delay_alu instid0(VALU_DEP_1)
	v_cmpx_ne_u32_e32 0x7f, v84
	s_cbranch_execz .LBB228_1806
; %bb.1803:                             ;   in Loop: Header=BB228_1062 Depth=1
	v_dual_lshrrev_b32 v52, 3, v84 :: v_dual_bitop2_b32 v74, 7, v53 bitop3:0x40
	s_mov_b32 s16, exec_lo
	v_cmpx_gt_u32_e32 8, v84
; %bb.1804:                             ;   in Loop: Header=BB228_1062 Depth=1
	s_delay_alu instid0(VALU_DEP_2) | instskip(NEXT) | instid1(VALU_DEP_1)
	v_clz_i32_u32_e32 v10, v74
	v_min_u32_e32 v10, 32, v10
	s_delay_alu instid0(VALU_DEP_1) | instskip(NEXT) | instid1(VALU_DEP_1)
	v_subrev_nc_u32_e32 v52, 28, v10
	v_lshlrev_b64_e32 v[70:71], v52, v[74:75]
	v_sub_nc_u32_e32 v52, 29, v10
	s_delay_alu instid0(VALU_DEP_2)
	v_and_b32_e32 v74, 7, v70
; %bb.1805:                             ;   in Loop: Header=BB228_1062 Depth=1
	s_or_b32 exec_lo, exec_lo, s16
	s_delay_alu instid0(VALU_DEP_1) | instskip(NEXT) | instid1(VALU_DEP_3)
	v_dual_lshlrev_b32 v10, 24, v53 :: v_dual_lshlrev_b32 v53, 20, v74
	v_lshl_add_u32 v52, v52, 23, 0x3c000000
	v_mov_b32_e32 v70, v75
	s_delay_alu instid0(VALU_DEP_3) | instskip(NEXT) | instid1(VALU_DEP_1)
	v_and_b32_e32 v10, 0x80000000, v10
	v_or3_b32 v71, v53, v10, v52
.LBB228_1806:                           ;   in Loop: Header=BB228_1062 Depth=1
	s_or_b32 exec_lo, exec_lo, s9
.LBB228_1807:                           ;   in Loop: Header=BB228_1062 Depth=1
	s_delay_alu instid0(SALU_CYCLE_1)
	s_or_b32 exec_lo, exec_lo, s8
.LBB228_1808:                           ;   in Loop: Header=BB228_1062 Depth=1
	s_delay_alu instid0(SALU_CYCLE_1) | instskip(SKIP_4) | instid1(VALU_DEP_3)
	s_or_b32 exec_lo, exec_lo, s3
	v_or_b32_e32 v53, v67, v69
	v_or_b32_e32 v52, v66, v68
	;; [unrolled: 1-line block ×4, first 2 shown]
	v_pk_mul_f32 v[70:71], v[48:49], v[52:53]
	s_delay_alu instid0(VALU_DEP_2)
	v_pk_mul_f32 v[68:69], v[48:49], v[66:67]
	s_and_saveexec_b32 s3, vcc_lo
	s_cbranch_execz .LBB228_1810
; %bb.1809:                             ;   in Loop: Header=BB228_1062 Depth=1
	scratch_load_b64 v[52:53], off, s32 offset:200 ; 8-byte Folded Reload
	s_wait_loadcnt 0x0
	v_mov_b32_e32 v10, v52
	s_delay_alu instid0(VALU_DEP_1) | instskip(NEXT) | instid1(VALU_DEP_1)
	v_cmp_lt_i32_e64 s0, v11, v10
	v_cndmask_b32_e64 v70, 0, v70, s0
	v_cmp_lt_i32_e64 s0, v77, v10
	s_delay_alu instid0(VALU_DEP_1) | instskip(SKIP_1) | instid1(VALU_DEP_1)
	v_cndmask_b32_e64 v71, 0, v71, s0
	v_cmp_lt_i32_e64 s0, v73, v10
	v_cndmask_b32_e64 v68, 0, v68, s0
	v_cmp_lt_i32_e64 s0, v72, v10
	s_delay_alu instid0(VALU_DEP_1)
	v_cndmask_b32_e64 v69, 0, v69, s0
.LBB228_1810:                           ;   in Loop: Header=BB228_1062 Depth=1
	s_wait_xcnt 0x0
	s_or_b32 exec_lo, exec_lo, s3
	flat_load_b32 v52, v[96:97] offset:2816
	v_mov_b64_e32 v[66:67], 0
	v_mov_b64_e32 v[80:81], 0
	s_mov_b32 s3, exec_lo
	s_wait_loadcnt_dscnt 0x0
	v_and_b32_e32 v53, 0xff, v52
	s_wait_xcnt 0x0
	s_delay_alu instid0(VALU_DEP_1)
	v_cmpx_ne_u16_e32 0, v53
	s_cbranch_execz .LBB228_1818
; %bb.1811:                             ;   in Loop: Header=BB228_1062 Depth=1
	v_mov_b64_e32 v[80:81], 0x80000000
	s_mov_b32 s8, exec_lo
	v_cmpx_ne_u16_e32 0x80, v53
	s_cbranch_execz .LBB228_1817
; %bb.1812:                             ;   in Loop: Header=BB228_1062 Depth=1
	v_mov_b64_e32 v[80:81], 0x7f800001
	v_and_b32_e32 v84, 0x7f, v52
	s_mov_b32 s9, exec_lo
	s_delay_alu instid0(VALU_DEP_1)
	v_cmpx_ne_u32_e32 0x7f, v84
	s_cbranch_execz .LBB228_1816
; %bb.1813:                             ;   in Loop: Header=BB228_1062 Depth=1
	v_and_b32_e32 v74, 7, v52
	v_lshrrev_b32_e32 v53, 3, v84
	s_mov_b32 s16, exec_lo
	v_cmpx_gt_u32_e32 8, v84
; %bb.1814:                             ;   in Loop: Header=BB228_1062 Depth=1
	s_delay_alu instid0(VALU_DEP_3) | instskip(NEXT) | instid1(VALU_DEP_1)
	v_clz_i32_u32_e32 v10, v74
	v_min_u32_e32 v10, 32, v10
	s_delay_alu instid0(VALU_DEP_1) | instskip(NEXT) | instid1(VALU_DEP_1)
	v_subrev_nc_u32_e32 v53, 28, v10
	v_lshlrev_b64_e32 v[80:81], v53, v[74:75]
	s_delay_alu instid0(VALU_DEP_1)
	v_dual_sub_nc_u32 v53, 29, v10 :: v_dual_bitop2_b32 v74, 7, v80 bitop3:0x40
; %bb.1815:                             ;   in Loop: Header=BB228_1062 Depth=1
	s_or_b32 exec_lo, exec_lo, s16
	s_delay_alu instid0(VALU_DEP_1) | instskip(NEXT) | instid1(VALU_DEP_2)
	v_dual_lshlrev_b32 v10, 24, v52 :: v_dual_lshlrev_b32 v80, 20, v74
	v_lshl_add_u32 v53, v53, 23, 0x3c000000
	s_delay_alu instid0(VALU_DEP_2) | instskip(NEXT) | instid1(VALU_DEP_1)
	v_and_b32_e32 v10, 0x80000000, v10
	v_or3_b32 v74, v80, v10, v53
	s_delay_alu instid0(VALU_DEP_1)
	v_mov_b64_e32 v[80:81], v[74:75]
.LBB228_1816:                           ;   in Loop: Header=BB228_1062 Depth=1
	s_or_b32 exec_lo, exec_lo, s9
.LBB228_1817:                           ;   in Loop: Header=BB228_1062 Depth=1
	s_delay_alu instid0(SALU_CYCLE_1)
	s_or_b32 exec_lo, exec_lo, s8
.LBB228_1818:                           ;   in Loop: Header=BB228_1062 Depth=1
	s_delay_alu instid0(SALU_CYCLE_1) | instskip(SKIP_2) | instid1(VALU_DEP_1)
	s_or_b32 exec_lo, exec_lo, s3
	v_lshrrev_b16 v53, 8, v52
	s_mov_b32 s3, exec_lo
	v_cmpx_ne_u16_e32 0, v53
	s_cbranch_execz .LBB228_1826
; %bb.1819:                             ;   in Loop: Header=BB228_1062 Depth=1
	v_mov_b64_e32 v[66:67], 0x8000000000000000
	s_mov_b32 s8, exec_lo
	v_cmpx_ne_u16_e32 0x80, v53
	s_cbranch_execz .LBB228_1825
; %bb.1820:                             ;   in Loop: Header=BB228_1062 Depth=1
	v_and_b32_e32 v53, 0xffff, v53
	v_mov_b64_e32 v[66:67], 0x7f80000100000000
	s_mov_b32 s9, exec_lo
	s_delay_alu instid0(VALU_DEP_2) | instskip(NEXT) | instid1(VALU_DEP_1)
	v_and_b32_e32 v84, 0x7f, v53
	v_cmpx_ne_u32_e32 0x7f, v84
	s_cbranch_execz .LBB228_1824
; %bb.1821:                             ;   in Loop: Header=BB228_1062 Depth=1
	v_dual_lshrrev_b32 v53, 3, v84 :: v_dual_bitop2_b32 v74, 7, v53 bitop3:0x40
	s_mov_b32 s16, exec_lo
	v_cmpx_gt_u32_e32 8, v84
; %bb.1822:                             ;   in Loop: Header=BB228_1062 Depth=1
	s_delay_alu instid0(VALU_DEP_2) | instskip(NEXT) | instid1(VALU_DEP_1)
	v_clz_i32_u32_e32 v10, v74
	v_min_u32_e32 v10, 32, v10
	s_delay_alu instid0(VALU_DEP_1) | instskip(NEXT) | instid1(VALU_DEP_1)
	v_subrev_nc_u32_e32 v53, 28, v10
	v_lshlrev_b64_e32 v[66:67], v53, v[74:75]
	v_sub_nc_u32_e32 v53, 29, v10
	s_delay_alu instid0(VALU_DEP_2)
	v_and_b32_e32 v74, 7, v66
; %bb.1823:                             ;   in Loop: Header=BB228_1062 Depth=1
	s_or_b32 exec_lo, exec_lo, s16
	s_delay_alu instid0(VALU_DEP_1) | instskip(NEXT) | instid1(VALU_DEP_3)
	v_dual_lshlrev_b32 v10, 16, v52 :: v_dual_lshlrev_b32 v66, 20, v74
	v_lshl_add_u32 v53, v53, 23, 0x3c000000
	s_delay_alu instid0(VALU_DEP_2) | instskip(NEXT) | instid1(VALU_DEP_1)
	v_and_b32_e32 v10, 0x80000000, v10
	v_or3_b32 v67, v66, v10, v53
	v_mov_b32_e32 v66, v75
.LBB228_1824:                           ;   in Loop: Header=BB228_1062 Depth=1
	s_or_b32 exec_lo, exec_lo, s9
.LBB228_1825:                           ;   in Loop: Header=BB228_1062 Depth=1
	s_delay_alu instid0(SALU_CYCLE_1)
	s_or_b32 exec_lo, exec_lo, s8
.LBB228_1826:                           ;   in Loop: Header=BB228_1062 Depth=1
	s_delay_alu instid0(SALU_CYCLE_1) | instskip(SKIP_4) | instid1(VALU_DEP_3)
	s_or_b32 exec_lo, exec_lo, s3
	v_lshrrev_b32_e32 v53, 16, v52
	v_mov_b64_e32 v[84:85], 0
	v_mov_b64_e32 v[86:87], 0
	s_mov_b32 s3, exec_lo
	v_and_b32_e32 v98, 0xff, v53
	s_delay_alu instid0(VALU_DEP_1)
	v_cmpx_ne_u16_e32 0, v98
	s_cbranch_execz .LBB228_1834
; %bb.1827:                             ;   in Loop: Header=BB228_1062 Depth=1
	v_mov_b64_e32 v[86:87], 0x80000000
	s_mov_b32 s8, exec_lo
	v_cmpx_ne_u16_e32 0x80, v98
	s_cbranch_execz .LBB228_1833
; %bb.1828:                             ;   in Loop: Header=BB228_1062 Depth=1
	v_mov_b64_e32 v[86:87], 0x7f800001
	v_bfe_u32 v98, v52, 16, 7
	s_mov_b32 s9, exec_lo
	s_delay_alu instid0(VALU_DEP_1)
	v_cmpx_ne_u32_e32 0x7f, v98
	s_cbranch_execz .LBB228_1832
; %bb.1829:                             ;   in Loop: Header=BB228_1062 Depth=1
	v_dual_lshrrev_b32 v86, 3, v98 :: v_dual_bitop2_b32 v74, 7, v53 bitop3:0x40
	s_mov_b32 s16, exec_lo
	v_cmpx_gt_u32_e32 8, v98
; %bb.1830:                             ;   in Loop: Header=BB228_1062 Depth=1
	s_delay_alu instid0(VALU_DEP_2) | instskip(NEXT) | instid1(VALU_DEP_1)
	v_clz_i32_u32_e32 v10, v74
	v_min_u32_e32 v10, 32, v10
	s_delay_alu instid0(VALU_DEP_1) | instskip(NEXT) | instid1(VALU_DEP_1)
	v_subrev_nc_u32_e32 v86, 28, v10
	v_lshlrev_b64_e32 v[98:99], v86, v[74:75]
	v_sub_nc_u32_e32 v86, 29, v10
	s_delay_alu instid0(VALU_DEP_2)
	v_and_b32_e32 v74, 7, v98
; %bb.1831:                             ;   in Loop: Header=BB228_1062 Depth=1
	s_or_b32 exec_lo, exec_lo, s16
	s_delay_alu instid0(VALU_DEP_1) | instskip(NEXT) | instid1(VALU_DEP_3)
	v_dual_lshlrev_b32 v10, 24, v53 :: v_dual_lshlrev_b32 v53, 20, v74
	v_lshl_add_u32 v86, v86, 23, 0x3c000000
	s_delay_alu instid0(VALU_DEP_2) | instskip(NEXT) | instid1(VALU_DEP_1)
	v_and_b32_e32 v10, 0x80000000, v10
	v_or3_b32 v74, v53, v10, v86
	s_delay_alu instid0(VALU_DEP_1)
	v_mov_b64_e32 v[86:87], v[74:75]
.LBB228_1832:                           ;   in Loop: Header=BB228_1062 Depth=1
	s_or_b32 exec_lo, exec_lo, s9
.LBB228_1833:                           ;   in Loop: Header=BB228_1062 Depth=1
	s_delay_alu instid0(SALU_CYCLE_1)
	s_or_b32 exec_lo, exec_lo, s8
.LBB228_1834:                           ;   in Loop: Header=BB228_1062 Depth=1
	s_delay_alu instid0(SALU_CYCLE_1) | instskip(NEXT) | instid1(SALU_CYCLE_1)
	s_or_b32 exec_lo, exec_lo, s3
	s_mov_b32 s3, exec_lo
	v_cmpx_lt_u32_e32 0xffffff, v52
	s_cbranch_execz .LBB228_1842
; %bb.1835:                             ;   in Loop: Header=BB228_1062 Depth=1
	v_mov_b64_e32 v[84:85], 0x8000000000000000
	v_lshrrev_b32_e32 v53, 24, v52
	s_mov_b32 s8, exec_lo
	s_delay_alu instid0(VALU_DEP_1)
	v_cmpx_ne_u32_e32 0x80, v53
	s_cbranch_execz .LBB228_1841
; %bb.1836:                             ;   in Loop: Header=BB228_1062 Depth=1
	v_mov_b64_e32 v[84:85], 0x7f80000100000000
	v_bfe_u32 v98, v52, 24, 7
	s_mov_b32 s9, exec_lo
	s_delay_alu instid0(VALU_DEP_1)
	v_cmpx_ne_u32_e32 0x7f, v98
	s_cbranch_execz .LBB228_1840
; %bb.1837:                             ;   in Loop: Header=BB228_1062 Depth=1
	v_dual_lshrrev_b32 v52, 3, v98 :: v_dual_bitop2_b32 v74, 7, v53 bitop3:0x40
	s_mov_b32 s16, exec_lo
	v_cmpx_gt_u32_e32 8, v98
; %bb.1838:                             ;   in Loop: Header=BB228_1062 Depth=1
	s_delay_alu instid0(VALU_DEP_2) | instskip(NEXT) | instid1(VALU_DEP_1)
	v_clz_i32_u32_e32 v10, v74
	v_min_u32_e32 v10, 32, v10
	s_delay_alu instid0(VALU_DEP_1) | instskip(NEXT) | instid1(VALU_DEP_1)
	v_subrev_nc_u32_e32 v52, 28, v10
	v_lshlrev_b64_e32 v[84:85], v52, v[74:75]
	s_delay_alu instid0(VALU_DEP_1)
	v_dual_sub_nc_u32 v52, 29, v10 :: v_dual_bitop2_b32 v74, 7, v84 bitop3:0x40
; %bb.1839:                             ;   in Loop: Header=BB228_1062 Depth=1
	s_or_b32 exec_lo, exec_lo, s16
	s_delay_alu instid0(VALU_DEP_1) | instskip(NEXT) | instid1(VALU_DEP_2)
	v_dual_lshlrev_b32 v10, 24, v53 :: v_dual_lshlrev_b32 v53, 20, v74
	v_lshl_add_u32 v52, v52, 23, 0x3c000000
	v_mov_b32_e32 v84, v75
	s_delay_alu instid0(VALU_DEP_3) | instskip(NEXT) | instid1(VALU_DEP_1)
	v_and_b32_e32 v10, 0x80000000, v10
	v_or3_b32 v85, v53, v10, v52
.LBB228_1840:                           ;   in Loop: Header=BB228_1062 Depth=1
	s_or_b32 exec_lo, exec_lo, s9
.LBB228_1841:                           ;   in Loop: Header=BB228_1062 Depth=1
	s_delay_alu instid0(SALU_CYCLE_1)
	s_or_b32 exec_lo, exec_lo, s8
.LBB228_1842:                           ;   in Loop: Header=BB228_1062 Depth=1
	s_delay_alu instid0(SALU_CYCLE_1) | instskip(SKIP_4) | instid1(VALU_DEP_3)
	s_or_b32 exec_lo, exec_lo, s3
	v_or_b32_e32 v53, v67, v81
	v_or_b32_e32 v52, v66, v80
	;; [unrolled: 1-line block ×4, first 2 shown]
	v_pk_mul_f32 v[84:85], v[48:49], v[52:53]
	s_delay_alu instid0(VALU_DEP_2)
	v_pk_mul_f32 v[80:81], v[48:49], v[66:67]
	s_and_saveexec_b32 s3, vcc_lo
	s_cbranch_execz .LBB228_1844
; %bb.1843:                             ;   in Loop: Header=BB228_1062 Depth=1
	scratch_load_b64 v[52:53], off, s32 offset:200 ; 8-byte Folded Reload
	s_wait_loadcnt 0x0
	v_mov_b32_e32 v10, v52
	s_delay_alu instid0(VALU_DEP_1) | instskip(NEXT) | instid1(VALU_DEP_1)
	v_cmp_lt_i32_e64 s0, v11, v10
	v_cndmask_b32_e64 v84, 0, v84, s0
	v_cmp_lt_i32_e64 s0, v77, v10
	s_delay_alu instid0(VALU_DEP_1) | instskip(SKIP_1) | instid1(VALU_DEP_1)
	v_cndmask_b32_e64 v85, 0, v85, s0
	v_cmp_lt_i32_e64 s0, v73, v10
	v_cndmask_b32_e64 v80, 0, v80, s0
	v_cmp_lt_i32_e64 s0, v72, v10
	s_delay_alu instid0(VALU_DEP_1)
	v_cndmask_b32_e64 v81, 0, v81, s0
.LBB228_1844:                           ;   in Loop: Header=BB228_1062 Depth=1
	s_wait_xcnt 0x0
	s_or_b32 exec_lo, exec_lo, s3
	flat_load_b32 v52, v[96:97] offset:2944
	v_mov_b64_e32 v[66:67], 0
	v_mov_b64_e32 v[86:87], 0
	s_mov_b32 s3, exec_lo
	s_wait_loadcnt_dscnt 0x0
	v_and_b32_e32 v53, 0xff, v52
	s_wait_xcnt 0x0
	s_delay_alu instid0(VALU_DEP_1)
	v_cmpx_ne_u16_e32 0, v53
	s_cbranch_execz .LBB228_1852
; %bb.1845:                             ;   in Loop: Header=BB228_1062 Depth=1
	v_mov_b64_e32 v[86:87], 0x80000000
	s_mov_b32 s8, exec_lo
	v_cmpx_ne_u16_e32 0x80, v53
	s_cbranch_execz .LBB228_1851
; %bb.1846:                             ;   in Loop: Header=BB228_1062 Depth=1
	v_mov_b64_e32 v[86:87], 0x7f800001
	v_and_b32_e32 v98, 0x7f, v52
	s_mov_b32 s9, exec_lo
	s_delay_alu instid0(VALU_DEP_1)
	v_cmpx_ne_u32_e32 0x7f, v98
	s_cbranch_execz .LBB228_1850
; %bb.1847:                             ;   in Loop: Header=BB228_1062 Depth=1
	v_dual_lshrrev_b32 v53, 3, v98 :: v_dual_bitop2_b32 v74, 7, v52 bitop3:0x40
	s_mov_b32 s16, exec_lo
	v_cmpx_gt_u32_e32 8, v98
; %bb.1848:                             ;   in Loop: Header=BB228_1062 Depth=1
	s_delay_alu instid0(VALU_DEP_2) | instskip(NEXT) | instid1(VALU_DEP_1)
	v_clz_i32_u32_e32 v10, v74
	v_min_u32_e32 v10, 32, v10
	s_delay_alu instid0(VALU_DEP_1) | instskip(NEXT) | instid1(VALU_DEP_1)
	v_subrev_nc_u32_e32 v53, 28, v10
	v_lshlrev_b64_e32 v[86:87], v53, v[74:75]
	v_sub_nc_u32_e32 v53, 29, v10
	s_delay_alu instid0(VALU_DEP_2)
	v_and_b32_e32 v74, 7, v86
; %bb.1849:                             ;   in Loop: Header=BB228_1062 Depth=1
	s_or_b32 exec_lo, exec_lo, s16
	s_delay_alu instid0(VALU_DEP_1) | instskip(NEXT) | instid1(VALU_DEP_3)
	v_dual_lshlrev_b32 v10, 24, v52 :: v_dual_lshlrev_b32 v86, 20, v74
	v_lshl_add_u32 v53, v53, 23, 0x3c000000
	s_delay_alu instid0(VALU_DEP_2) | instskip(NEXT) | instid1(VALU_DEP_1)
	v_and_b32_e32 v10, 0x80000000, v10
	v_or3_b32 v74, v86, v10, v53
	s_delay_alu instid0(VALU_DEP_1)
	v_mov_b64_e32 v[86:87], v[74:75]
.LBB228_1850:                           ;   in Loop: Header=BB228_1062 Depth=1
	s_or_b32 exec_lo, exec_lo, s9
.LBB228_1851:                           ;   in Loop: Header=BB228_1062 Depth=1
	s_delay_alu instid0(SALU_CYCLE_1)
	s_or_b32 exec_lo, exec_lo, s8
.LBB228_1852:                           ;   in Loop: Header=BB228_1062 Depth=1
	s_delay_alu instid0(SALU_CYCLE_1) | instskip(SKIP_2) | instid1(VALU_DEP_1)
	s_or_b32 exec_lo, exec_lo, s3
	v_lshrrev_b16 v53, 8, v52
	s_mov_b32 s3, exec_lo
	v_cmpx_ne_u16_e32 0, v53
	s_cbranch_execz .LBB228_1860
; %bb.1853:                             ;   in Loop: Header=BB228_1062 Depth=1
	v_mov_b64_e32 v[66:67], 0x8000000000000000
	s_mov_b32 s8, exec_lo
	v_cmpx_ne_u16_e32 0x80, v53
	s_cbranch_execz .LBB228_1859
; %bb.1854:                             ;   in Loop: Header=BB228_1062 Depth=1
	v_and_b32_e32 v53, 0xffff, v53
	v_mov_b64_e32 v[66:67], 0x7f80000100000000
	s_mov_b32 s9, exec_lo
	s_delay_alu instid0(VALU_DEP_2) | instskip(NEXT) | instid1(VALU_DEP_1)
	v_and_b32_e32 v98, 0x7f, v53
	v_cmpx_ne_u32_e32 0x7f, v98
	s_cbranch_execz .LBB228_1858
; %bb.1855:                             ;   in Loop: Header=BB228_1062 Depth=1
	v_dual_lshrrev_b32 v53, 3, v98 :: v_dual_bitop2_b32 v74, 7, v53 bitop3:0x40
	s_mov_b32 s16, exec_lo
	v_cmpx_gt_u32_e32 8, v98
; %bb.1856:                             ;   in Loop: Header=BB228_1062 Depth=1
	s_delay_alu instid0(VALU_DEP_2) | instskip(NEXT) | instid1(VALU_DEP_1)
	v_clz_i32_u32_e32 v10, v74
	v_min_u32_e32 v10, 32, v10
	s_delay_alu instid0(VALU_DEP_1) | instskip(NEXT) | instid1(VALU_DEP_1)
	v_subrev_nc_u32_e32 v53, 28, v10
	v_lshlrev_b64_e32 v[66:67], v53, v[74:75]
	v_sub_nc_u32_e32 v53, 29, v10
	s_delay_alu instid0(VALU_DEP_2)
	v_and_b32_e32 v74, 7, v66
; %bb.1857:                             ;   in Loop: Header=BB228_1062 Depth=1
	s_or_b32 exec_lo, exec_lo, s16
	s_delay_alu instid0(VALU_DEP_1) | instskip(NEXT) | instid1(VALU_DEP_3)
	v_dual_lshlrev_b32 v10, 16, v52 :: v_dual_lshlrev_b32 v66, 20, v74
	v_lshl_add_u32 v53, v53, 23, 0x3c000000
	s_delay_alu instid0(VALU_DEP_2) | instskip(NEXT) | instid1(VALU_DEP_1)
	v_and_b32_e32 v10, 0x80000000, v10
	v_or3_b32 v67, v66, v10, v53
	v_mov_b32_e32 v66, v75
.LBB228_1858:                           ;   in Loop: Header=BB228_1062 Depth=1
	s_or_b32 exec_lo, exec_lo, s9
.LBB228_1859:                           ;   in Loop: Header=BB228_1062 Depth=1
	s_delay_alu instid0(SALU_CYCLE_1)
	s_or_b32 exec_lo, exec_lo, s8
.LBB228_1860:                           ;   in Loop: Header=BB228_1062 Depth=1
	s_delay_alu instid0(SALU_CYCLE_1) | instskip(SKIP_4) | instid1(VALU_DEP_3)
	s_or_b32 exec_lo, exec_lo, s3
	v_lshrrev_b32_e32 v53, 16, v52
	v_mov_b64_e32 v[98:99], 0
	v_mov_b64_e32 v[100:101], 0
	s_mov_b32 s3, exec_lo
	v_and_b32_e32 v102, 0xff, v53
	s_delay_alu instid0(VALU_DEP_1)
	v_cmpx_ne_u16_e32 0, v102
	s_cbranch_execz .LBB228_1868
; %bb.1861:                             ;   in Loop: Header=BB228_1062 Depth=1
	v_mov_b64_e32 v[100:101], 0x80000000
	s_mov_b32 s8, exec_lo
	v_cmpx_ne_u16_e32 0x80, v102
	s_cbranch_execz .LBB228_1867
; %bb.1862:                             ;   in Loop: Header=BB228_1062 Depth=1
	v_mov_b64_e32 v[100:101], 0x7f800001
	v_bfe_u32 v102, v52, 16, 7
	s_mov_b32 s9, exec_lo
	s_delay_alu instid0(VALU_DEP_1)
	v_cmpx_ne_u32_e32 0x7f, v102
	s_cbranch_execz .LBB228_1866
; %bb.1863:                             ;   in Loop: Header=BB228_1062 Depth=1
	v_dual_lshrrev_b32 v100, 3, v102 :: v_dual_bitop2_b32 v74, 7, v53 bitop3:0x40
	s_mov_b32 s16, exec_lo
	v_cmpx_gt_u32_e32 8, v102
; %bb.1864:                             ;   in Loop: Header=BB228_1062 Depth=1
	s_delay_alu instid0(VALU_DEP_2) | instskip(NEXT) | instid1(VALU_DEP_1)
	v_clz_i32_u32_e32 v10, v74
	v_min_u32_e32 v10, 32, v10
	s_delay_alu instid0(VALU_DEP_1) | instskip(NEXT) | instid1(VALU_DEP_1)
	v_subrev_nc_u32_e32 v100, 28, v10
	v_lshlrev_b64_e32 v[102:103], v100, v[74:75]
	v_sub_nc_u32_e32 v100, 29, v10
	s_delay_alu instid0(VALU_DEP_2)
	v_and_b32_e32 v74, 7, v102
; %bb.1865:                             ;   in Loop: Header=BB228_1062 Depth=1
	s_or_b32 exec_lo, exec_lo, s16
	s_delay_alu instid0(VALU_DEP_1) | instskip(NEXT) | instid1(VALU_DEP_3)
	v_dual_lshlrev_b32 v10, 24, v53 :: v_dual_lshlrev_b32 v53, 20, v74
	v_lshl_add_u32 v100, v100, 23, 0x3c000000
	s_delay_alu instid0(VALU_DEP_2) | instskip(NEXT) | instid1(VALU_DEP_1)
	v_and_b32_e32 v10, 0x80000000, v10
	v_or3_b32 v74, v53, v10, v100
	s_delay_alu instid0(VALU_DEP_1)
	v_mov_b64_e32 v[100:101], v[74:75]
.LBB228_1866:                           ;   in Loop: Header=BB228_1062 Depth=1
	s_or_b32 exec_lo, exec_lo, s9
.LBB228_1867:                           ;   in Loop: Header=BB228_1062 Depth=1
	s_delay_alu instid0(SALU_CYCLE_1)
	s_or_b32 exec_lo, exec_lo, s8
.LBB228_1868:                           ;   in Loop: Header=BB228_1062 Depth=1
	s_delay_alu instid0(SALU_CYCLE_1) | instskip(NEXT) | instid1(SALU_CYCLE_1)
	s_or_b32 exec_lo, exec_lo, s3
	s_mov_b32 s3, exec_lo
	v_cmpx_lt_u32_e32 0xffffff, v52
	s_cbranch_execz .LBB228_1876
; %bb.1869:                             ;   in Loop: Header=BB228_1062 Depth=1
	v_mov_b64_e32 v[98:99], 0x8000000000000000
	v_lshrrev_b32_e32 v53, 24, v52
	s_mov_b32 s8, exec_lo
	s_delay_alu instid0(VALU_DEP_1)
	v_cmpx_ne_u32_e32 0x80, v53
	s_cbranch_execz .LBB228_1875
; %bb.1870:                             ;   in Loop: Header=BB228_1062 Depth=1
	v_mov_b64_e32 v[98:99], 0x7f80000100000000
	v_bfe_u32 v102, v52, 24, 7
	s_mov_b32 s9, exec_lo
	s_delay_alu instid0(VALU_DEP_1)
	v_cmpx_ne_u32_e32 0x7f, v102
	s_cbranch_execz .LBB228_1874
; %bb.1871:                             ;   in Loop: Header=BB228_1062 Depth=1
	v_dual_lshrrev_b32 v52, 3, v102 :: v_dual_bitop2_b32 v74, 7, v53 bitop3:0x40
	s_mov_b32 s16, exec_lo
	v_cmpx_gt_u32_e32 8, v102
; %bb.1872:                             ;   in Loop: Header=BB228_1062 Depth=1
	s_delay_alu instid0(VALU_DEP_2) | instskip(NEXT) | instid1(VALU_DEP_1)
	v_clz_i32_u32_e32 v10, v74
	v_min_u32_e32 v10, 32, v10
	s_delay_alu instid0(VALU_DEP_1) | instskip(NEXT) | instid1(VALU_DEP_1)
	v_subrev_nc_u32_e32 v52, 28, v10
	v_lshlrev_b64_e32 v[98:99], v52, v[74:75]
	v_sub_nc_u32_e32 v52, 29, v10
	s_delay_alu instid0(VALU_DEP_2)
	v_and_b32_e32 v74, 7, v98
; %bb.1873:                             ;   in Loop: Header=BB228_1062 Depth=1
	s_or_b32 exec_lo, exec_lo, s16
	s_delay_alu instid0(VALU_DEP_1) | instskip(NEXT) | instid1(VALU_DEP_3)
	v_dual_lshlrev_b32 v10, 24, v53 :: v_dual_lshlrev_b32 v53, 20, v74
	v_lshl_add_u32 v52, v52, 23, 0x3c000000
	v_mov_b32_e32 v98, v75
	s_delay_alu instid0(VALU_DEP_3) | instskip(NEXT) | instid1(VALU_DEP_1)
	v_and_b32_e32 v10, 0x80000000, v10
	v_or3_b32 v99, v53, v10, v52
.LBB228_1874:                           ;   in Loop: Header=BB228_1062 Depth=1
	s_or_b32 exec_lo, exec_lo, s9
.LBB228_1875:                           ;   in Loop: Header=BB228_1062 Depth=1
	s_delay_alu instid0(SALU_CYCLE_1)
	s_or_b32 exec_lo, exec_lo, s8
.LBB228_1876:                           ;   in Loop: Header=BB228_1062 Depth=1
	s_delay_alu instid0(SALU_CYCLE_1) | instskip(SKIP_4) | instid1(VALU_DEP_3)
	s_or_b32 exec_lo, exec_lo, s3
	v_or_b32_e32 v53, v67, v87
	v_or_b32_e32 v52, v66, v86
	;; [unrolled: 1-line block ×4, first 2 shown]
	v_pk_mul_f32 v[98:99], v[48:49], v[52:53]
	s_delay_alu instid0(VALU_DEP_2)
	v_pk_mul_f32 v[86:87], v[48:49], v[66:67]
	s_and_saveexec_b32 s3, vcc_lo
	s_cbranch_execz .LBB228_1878
; %bb.1877:                             ;   in Loop: Header=BB228_1062 Depth=1
	scratch_load_b64 v[52:53], off, s32 offset:200 ; 8-byte Folded Reload
	s_wait_loadcnt 0x0
	v_mov_b32_e32 v10, v52
	s_delay_alu instid0(VALU_DEP_1) | instskip(NEXT) | instid1(VALU_DEP_1)
	v_cmp_lt_i32_e64 s0, v11, v10
	v_cndmask_b32_e64 v98, 0, v98, s0
	v_cmp_lt_i32_e64 s0, v77, v10
	s_delay_alu instid0(VALU_DEP_1) | instskip(SKIP_1) | instid1(VALU_DEP_1)
	v_cndmask_b32_e64 v99, 0, v99, s0
	v_cmp_lt_i32_e64 s0, v73, v10
	v_cndmask_b32_e64 v86, 0, v86, s0
	v_cmp_lt_i32_e64 s0, v72, v10
	s_delay_alu instid0(VALU_DEP_1)
	v_cndmask_b32_e64 v87, 0, v87, s0
.LBB228_1878:                           ;   in Loop: Header=BB228_1062 Depth=1
	s_wait_xcnt 0x0
	s_or_b32 exec_lo, exec_lo, s3
	flat_load_b32 v52, v[96:97] offset:3072
	v_mov_b64_e32 v[66:67], 0
	v_mov_b64_e32 v[100:101], 0
	s_mov_b32 s3, exec_lo
	s_wait_loadcnt_dscnt 0x0
	v_and_b32_e32 v53, 0xff, v52
	s_wait_xcnt 0x0
	s_delay_alu instid0(VALU_DEP_1)
	v_cmpx_ne_u16_e32 0, v53
	s_cbranch_execz .LBB228_1886
; %bb.1879:                             ;   in Loop: Header=BB228_1062 Depth=1
	v_mov_b64_e32 v[100:101], 0x80000000
	s_mov_b32 s8, exec_lo
	v_cmpx_ne_u16_e32 0x80, v53
	s_cbranch_execz .LBB228_1885
; %bb.1880:                             ;   in Loop: Header=BB228_1062 Depth=1
	v_mov_b64_e32 v[100:101], 0x7f800001
	v_and_b32_e32 v102, 0x7f, v52
	s_mov_b32 s9, exec_lo
	s_delay_alu instid0(VALU_DEP_1)
	v_cmpx_ne_u32_e32 0x7f, v102
	s_cbranch_execz .LBB228_1884
; %bb.1881:                             ;   in Loop: Header=BB228_1062 Depth=1
	v_dual_lshrrev_b32 v53, 3, v102 :: v_dual_bitop2_b32 v74, 7, v52 bitop3:0x40
	s_mov_b32 s16, exec_lo
	v_cmpx_gt_u32_e32 8, v102
; %bb.1882:                             ;   in Loop: Header=BB228_1062 Depth=1
	s_delay_alu instid0(VALU_DEP_2) | instskip(NEXT) | instid1(VALU_DEP_1)
	v_clz_i32_u32_e32 v10, v74
	v_min_u32_e32 v10, 32, v10
	s_delay_alu instid0(VALU_DEP_1) | instskip(NEXT) | instid1(VALU_DEP_1)
	v_subrev_nc_u32_e32 v53, 28, v10
	v_lshlrev_b64_e32 v[100:101], v53, v[74:75]
	s_delay_alu instid0(VALU_DEP_1)
	v_dual_sub_nc_u32 v53, 29, v10 :: v_dual_bitop2_b32 v74, 7, v100 bitop3:0x40
; %bb.1883:                             ;   in Loop: Header=BB228_1062 Depth=1
	s_or_b32 exec_lo, exec_lo, s16
	s_delay_alu instid0(VALU_DEP_1) | instskip(NEXT) | instid1(VALU_DEP_2)
	v_dual_lshlrev_b32 v10, 24, v52 :: v_dual_lshlrev_b32 v100, 20, v74
	v_lshl_add_u32 v53, v53, 23, 0x3c000000
	s_delay_alu instid0(VALU_DEP_2) | instskip(NEXT) | instid1(VALU_DEP_1)
	v_and_b32_e32 v10, 0x80000000, v10
	v_or3_b32 v74, v100, v10, v53
	s_delay_alu instid0(VALU_DEP_1)
	v_mov_b64_e32 v[100:101], v[74:75]
.LBB228_1884:                           ;   in Loop: Header=BB228_1062 Depth=1
	s_or_b32 exec_lo, exec_lo, s9
.LBB228_1885:                           ;   in Loop: Header=BB228_1062 Depth=1
	s_delay_alu instid0(SALU_CYCLE_1)
	s_or_b32 exec_lo, exec_lo, s8
.LBB228_1886:                           ;   in Loop: Header=BB228_1062 Depth=1
	s_delay_alu instid0(SALU_CYCLE_1) | instskip(SKIP_2) | instid1(VALU_DEP_1)
	s_or_b32 exec_lo, exec_lo, s3
	v_lshrrev_b16 v53, 8, v52
	s_mov_b32 s3, exec_lo
	v_cmpx_ne_u16_e32 0, v53
	s_cbranch_execz .LBB228_1894
; %bb.1887:                             ;   in Loop: Header=BB228_1062 Depth=1
	v_mov_b64_e32 v[66:67], 0x8000000000000000
	s_mov_b32 s8, exec_lo
	v_cmpx_ne_u16_e32 0x80, v53
	s_cbranch_execz .LBB228_1893
; %bb.1888:                             ;   in Loop: Header=BB228_1062 Depth=1
	v_and_b32_e32 v53, 0xffff, v53
	v_mov_b64_e32 v[66:67], 0x7f80000100000000
	s_mov_b32 s9, exec_lo
	s_delay_alu instid0(VALU_DEP_2) | instskip(NEXT) | instid1(VALU_DEP_1)
	v_and_b32_e32 v102, 0x7f, v53
	v_cmpx_ne_u32_e32 0x7f, v102
	s_cbranch_execz .LBB228_1892
; %bb.1889:                             ;   in Loop: Header=BB228_1062 Depth=1
	v_dual_lshrrev_b32 v53, 3, v102 :: v_dual_bitop2_b32 v74, 7, v53 bitop3:0x40
	s_mov_b32 s16, exec_lo
	v_cmpx_gt_u32_e32 8, v102
; %bb.1890:                             ;   in Loop: Header=BB228_1062 Depth=1
	s_delay_alu instid0(VALU_DEP_2) | instskip(NEXT) | instid1(VALU_DEP_1)
	v_clz_i32_u32_e32 v10, v74
	v_min_u32_e32 v10, 32, v10
	s_delay_alu instid0(VALU_DEP_1) | instskip(NEXT) | instid1(VALU_DEP_1)
	v_subrev_nc_u32_e32 v53, 28, v10
	v_lshlrev_b64_e32 v[66:67], v53, v[74:75]
	v_sub_nc_u32_e32 v53, 29, v10
	s_delay_alu instid0(VALU_DEP_2)
	v_and_b32_e32 v74, 7, v66
; %bb.1891:                             ;   in Loop: Header=BB228_1062 Depth=1
	s_or_b32 exec_lo, exec_lo, s16
	s_delay_alu instid0(VALU_DEP_1) | instskip(NEXT) | instid1(VALU_DEP_3)
	v_dual_lshlrev_b32 v10, 16, v52 :: v_dual_lshlrev_b32 v66, 20, v74
	v_lshl_add_u32 v53, v53, 23, 0x3c000000
	s_delay_alu instid0(VALU_DEP_2) | instskip(NEXT) | instid1(VALU_DEP_1)
	v_and_b32_e32 v10, 0x80000000, v10
	v_or3_b32 v67, v66, v10, v53
	v_mov_b32_e32 v66, v75
.LBB228_1892:                           ;   in Loop: Header=BB228_1062 Depth=1
	s_or_b32 exec_lo, exec_lo, s9
.LBB228_1893:                           ;   in Loop: Header=BB228_1062 Depth=1
	s_delay_alu instid0(SALU_CYCLE_1)
	s_or_b32 exec_lo, exec_lo, s8
.LBB228_1894:                           ;   in Loop: Header=BB228_1062 Depth=1
	s_delay_alu instid0(SALU_CYCLE_1) | instskip(SKIP_4) | instid1(VALU_DEP_3)
	s_or_b32 exec_lo, exec_lo, s3
	v_lshrrev_b32_e32 v53, 16, v52
	v_mov_b64_e32 v[102:103], 0
	v_mov_b64_e32 v[112:113], 0
	s_mov_b32 s3, exec_lo
	v_and_b32_e32 v114, 0xff, v53
	s_delay_alu instid0(VALU_DEP_1)
	v_cmpx_ne_u16_e32 0, v114
	s_cbranch_execz .LBB228_1902
; %bb.1895:                             ;   in Loop: Header=BB228_1062 Depth=1
	v_mov_b64_e32 v[112:113], 0x80000000
	s_mov_b32 s8, exec_lo
	v_cmpx_ne_u16_e32 0x80, v114
	s_cbranch_execz .LBB228_1901
; %bb.1896:                             ;   in Loop: Header=BB228_1062 Depth=1
	v_mov_b64_e32 v[112:113], 0x7f800001
	v_bfe_u32 v114, v52, 16, 7
	s_mov_b32 s9, exec_lo
	s_delay_alu instid0(VALU_DEP_1)
	v_cmpx_ne_u32_e32 0x7f, v114
	s_cbranch_execz .LBB228_1900
; %bb.1897:                             ;   in Loop: Header=BB228_1062 Depth=1
	v_dual_lshrrev_b32 v112, 3, v114 :: v_dual_bitop2_b32 v74, 7, v53 bitop3:0x40
	s_mov_b32 s16, exec_lo
	v_cmpx_gt_u32_e32 8, v114
; %bb.1898:                             ;   in Loop: Header=BB228_1062 Depth=1
	s_delay_alu instid0(VALU_DEP_2) | instskip(NEXT) | instid1(VALU_DEP_1)
	v_clz_i32_u32_e32 v10, v74
	v_min_u32_e32 v10, 32, v10
	s_delay_alu instid0(VALU_DEP_1) | instskip(NEXT) | instid1(VALU_DEP_1)
	v_subrev_nc_u32_e32 v112, 28, v10
	v_lshlrev_b64_e32 v[114:115], v112, v[74:75]
	v_sub_nc_u32_e32 v112, 29, v10
	s_delay_alu instid0(VALU_DEP_2)
	v_and_b32_e32 v74, 7, v114
; %bb.1899:                             ;   in Loop: Header=BB228_1062 Depth=1
	s_or_b32 exec_lo, exec_lo, s16
	s_delay_alu instid0(VALU_DEP_1) | instskip(NEXT) | instid1(VALU_DEP_3)
	v_dual_lshlrev_b32 v10, 24, v53 :: v_dual_lshlrev_b32 v53, 20, v74
	v_lshl_add_u32 v112, v112, 23, 0x3c000000
	s_delay_alu instid0(VALU_DEP_2) | instskip(NEXT) | instid1(VALU_DEP_1)
	v_and_b32_e32 v10, 0x80000000, v10
	v_or3_b32 v74, v53, v10, v112
	s_delay_alu instid0(VALU_DEP_1)
	v_mov_b64_e32 v[112:113], v[74:75]
.LBB228_1900:                           ;   in Loop: Header=BB228_1062 Depth=1
	s_or_b32 exec_lo, exec_lo, s9
.LBB228_1901:                           ;   in Loop: Header=BB228_1062 Depth=1
	s_delay_alu instid0(SALU_CYCLE_1)
	s_or_b32 exec_lo, exec_lo, s8
.LBB228_1902:                           ;   in Loop: Header=BB228_1062 Depth=1
	s_delay_alu instid0(SALU_CYCLE_1) | instskip(NEXT) | instid1(SALU_CYCLE_1)
	s_or_b32 exec_lo, exec_lo, s3
	s_mov_b32 s3, exec_lo
	v_cmpx_lt_u32_e32 0xffffff, v52
	s_cbranch_execz .LBB228_1910
; %bb.1903:                             ;   in Loop: Header=BB228_1062 Depth=1
	v_mov_b64_e32 v[102:103], 0x8000000000000000
	v_lshrrev_b32_e32 v53, 24, v52
	s_mov_b32 s8, exec_lo
	s_delay_alu instid0(VALU_DEP_1)
	v_cmpx_ne_u32_e32 0x80, v53
	s_cbranch_execz .LBB228_1909
; %bb.1904:                             ;   in Loop: Header=BB228_1062 Depth=1
	v_mov_b64_e32 v[102:103], 0x7f80000100000000
	v_bfe_u32 v114, v52, 24, 7
	s_mov_b32 s9, exec_lo
	s_delay_alu instid0(VALU_DEP_1)
	v_cmpx_ne_u32_e32 0x7f, v114
	s_cbranch_execz .LBB228_1908
; %bb.1905:                             ;   in Loop: Header=BB228_1062 Depth=1
	v_dual_lshrrev_b32 v52, 3, v114 :: v_dual_bitop2_b32 v74, 7, v53 bitop3:0x40
	s_mov_b32 s16, exec_lo
	v_cmpx_gt_u32_e32 8, v114
; %bb.1906:                             ;   in Loop: Header=BB228_1062 Depth=1
	s_delay_alu instid0(VALU_DEP_2) | instskip(NEXT) | instid1(VALU_DEP_1)
	v_clz_i32_u32_e32 v10, v74
	v_min_u32_e32 v10, 32, v10
	s_delay_alu instid0(VALU_DEP_1) | instskip(NEXT) | instid1(VALU_DEP_1)
	v_subrev_nc_u32_e32 v52, 28, v10
	v_lshlrev_b64_e32 v[102:103], v52, v[74:75]
	v_sub_nc_u32_e32 v52, 29, v10
	s_delay_alu instid0(VALU_DEP_2)
	v_and_b32_e32 v74, 7, v102
; %bb.1907:                             ;   in Loop: Header=BB228_1062 Depth=1
	s_or_b32 exec_lo, exec_lo, s16
	s_delay_alu instid0(VALU_DEP_1) | instskip(NEXT) | instid1(VALU_DEP_3)
	v_dual_lshlrev_b32 v10, 24, v53 :: v_dual_lshlrev_b32 v53, 20, v74
	v_lshl_add_u32 v52, v52, 23, 0x3c000000
	v_mov_b32_e32 v102, v75
	s_delay_alu instid0(VALU_DEP_3) | instskip(NEXT) | instid1(VALU_DEP_1)
	v_and_b32_e32 v10, 0x80000000, v10
	v_or3_b32 v103, v53, v10, v52
.LBB228_1908:                           ;   in Loop: Header=BB228_1062 Depth=1
	s_or_b32 exec_lo, exec_lo, s9
.LBB228_1909:                           ;   in Loop: Header=BB228_1062 Depth=1
	s_delay_alu instid0(SALU_CYCLE_1)
	s_or_b32 exec_lo, exec_lo, s8
.LBB228_1910:                           ;   in Loop: Header=BB228_1062 Depth=1
	s_delay_alu instid0(SALU_CYCLE_1) | instskip(SKIP_4) | instid1(VALU_DEP_3)
	s_or_b32 exec_lo, exec_lo, s3
	v_or_b32_e32 v53, v67, v101
	v_or_b32_e32 v52, v66, v100
	;; [unrolled: 1-line block ×4, first 2 shown]
	v_pk_mul_f32 v[102:103], v[48:49], v[52:53]
	s_delay_alu instid0(VALU_DEP_2)
	v_pk_mul_f32 v[100:101], v[48:49], v[66:67]
	s_and_saveexec_b32 s3, vcc_lo
	s_cbranch_execz .LBB228_1912
; %bb.1911:                             ;   in Loop: Header=BB228_1062 Depth=1
	scratch_load_b64 v[52:53], off, s32 offset:200 ; 8-byte Folded Reload
	s_wait_loadcnt 0x0
	v_mov_b32_e32 v10, v52
	s_delay_alu instid0(VALU_DEP_1) | instskip(NEXT) | instid1(VALU_DEP_1)
	v_cmp_lt_i32_e64 s0, v11, v10
	v_cndmask_b32_e64 v102, 0, v102, s0
	v_cmp_lt_i32_e64 s0, v77, v10
	s_delay_alu instid0(VALU_DEP_1) | instskip(SKIP_1) | instid1(VALU_DEP_1)
	v_cndmask_b32_e64 v103, 0, v103, s0
	v_cmp_lt_i32_e64 s0, v73, v10
	v_cndmask_b32_e64 v100, 0, v100, s0
	v_cmp_lt_i32_e64 s0, v72, v10
	s_delay_alu instid0(VALU_DEP_1)
	v_cndmask_b32_e64 v101, 0, v101, s0
.LBB228_1912:                           ;   in Loop: Header=BB228_1062 Depth=1
	s_wait_xcnt 0x0
	s_or_b32 exec_lo, exec_lo, s3
	flat_load_b32 v52, v[96:97] offset:3200
	v_mov_b64_e32 v[66:67], 0
	v_mov_b64_e32 v[112:113], 0
	s_mov_b32 s3, exec_lo
	s_wait_loadcnt_dscnt 0x0
	v_and_b32_e32 v53, 0xff, v52
	s_wait_xcnt 0x0
	s_delay_alu instid0(VALU_DEP_1)
	v_cmpx_ne_u16_e32 0, v53
	s_cbranch_execz .LBB228_1920
; %bb.1913:                             ;   in Loop: Header=BB228_1062 Depth=1
	v_mov_b64_e32 v[112:113], 0x80000000
	s_mov_b32 s8, exec_lo
	v_cmpx_ne_u16_e32 0x80, v53
	s_cbranch_execz .LBB228_1919
; %bb.1914:                             ;   in Loop: Header=BB228_1062 Depth=1
	v_mov_b64_e32 v[112:113], 0x7f800001
	v_and_b32_e32 v114, 0x7f, v52
	s_mov_b32 s9, exec_lo
	s_delay_alu instid0(VALU_DEP_1)
	v_cmpx_ne_u32_e32 0x7f, v114
	s_cbranch_execz .LBB228_1918
; %bb.1915:                             ;   in Loop: Header=BB228_1062 Depth=1
	v_dual_lshrrev_b32 v53, 3, v114 :: v_dual_bitop2_b32 v74, 7, v52 bitop3:0x40
	s_mov_b32 s16, exec_lo
	v_cmpx_gt_u32_e32 8, v114
; %bb.1916:                             ;   in Loop: Header=BB228_1062 Depth=1
	s_delay_alu instid0(VALU_DEP_2) | instskip(NEXT) | instid1(VALU_DEP_1)
	v_clz_i32_u32_e32 v10, v74
	v_min_u32_e32 v10, 32, v10
	s_delay_alu instid0(VALU_DEP_1) | instskip(NEXT) | instid1(VALU_DEP_1)
	v_subrev_nc_u32_e32 v53, 28, v10
	v_lshlrev_b64_e32 v[112:113], v53, v[74:75]
	s_delay_alu instid0(VALU_DEP_1)
	v_dual_sub_nc_u32 v53, 29, v10 :: v_dual_bitop2_b32 v74, 7, v112 bitop3:0x40
; %bb.1917:                             ;   in Loop: Header=BB228_1062 Depth=1
	s_or_b32 exec_lo, exec_lo, s16
	s_delay_alu instid0(VALU_DEP_1) | instskip(NEXT) | instid1(VALU_DEP_2)
	v_dual_lshlrev_b32 v10, 24, v52 :: v_dual_lshlrev_b32 v112, 20, v74
	v_lshl_add_u32 v53, v53, 23, 0x3c000000
	s_delay_alu instid0(VALU_DEP_2) | instskip(NEXT) | instid1(VALU_DEP_1)
	v_and_b32_e32 v10, 0x80000000, v10
	v_or3_b32 v74, v112, v10, v53
	s_delay_alu instid0(VALU_DEP_1)
	v_mov_b64_e32 v[112:113], v[74:75]
.LBB228_1918:                           ;   in Loop: Header=BB228_1062 Depth=1
	s_or_b32 exec_lo, exec_lo, s9
.LBB228_1919:                           ;   in Loop: Header=BB228_1062 Depth=1
	s_delay_alu instid0(SALU_CYCLE_1)
	s_or_b32 exec_lo, exec_lo, s8
.LBB228_1920:                           ;   in Loop: Header=BB228_1062 Depth=1
	s_delay_alu instid0(SALU_CYCLE_1) | instskip(SKIP_2) | instid1(VALU_DEP_1)
	s_or_b32 exec_lo, exec_lo, s3
	v_lshrrev_b16 v53, 8, v52
	s_mov_b32 s3, exec_lo
	v_cmpx_ne_u16_e32 0, v53
	s_cbranch_execz .LBB228_1928
; %bb.1921:                             ;   in Loop: Header=BB228_1062 Depth=1
	v_mov_b64_e32 v[66:67], 0x8000000000000000
	s_mov_b32 s8, exec_lo
	v_cmpx_ne_u16_e32 0x80, v53
	s_cbranch_execz .LBB228_1927
; %bb.1922:                             ;   in Loop: Header=BB228_1062 Depth=1
	v_and_b32_e32 v53, 0xffff, v53
	v_mov_b64_e32 v[66:67], 0x7f80000100000000
	s_mov_b32 s9, exec_lo
	s_delay_alu instid0(VALU_DEP_2) | instskip(NEXT) | instid1(VALU_DEP_1)
	v_and_b32_e32 v114, 0x7f, v53
	v_cmpx_ne_u32_e32 0x7f, v114
	s_cbranch_execz .LBB228_1926
; %bb.1923:                             ;   in Loop: Header=BB228_1062 Depth=1
	v_dual_lshrrev_b32 v53, 3, v114 :: v_dual_bitop2_b32 v74, 7, v53 bitop3:0x40
	s_mov_b32 s16, exec_lo
	v_cmpx_gt_u32_e32 8, v114
; %bb.1924:                             ;   in Loop: Header=BB228_1062 Depth=1
	s_delay_alu instid0(VALU_DEP_2) | instskip(NEXT) | instid1(VALU_DEP_1)
	v_clz_i32_u32_e32 v10, v74
	v_min_u32_e32 v10, 32, v10
	s_delay_alu instid0(VALU_DEP_1) | instskip(NEXT) | instid1(VALU_DEP_1)
	v_subrev_nc_u32_e32 v53, 28, v10
	v_lshlrev_b64_e32 v[66:67], v53, v[74:75]
	v_sub_nc_u32_e32 v53, 29, v10
	s_delay_alu instid0(VALU_DEP_2)
	v_and_b32_e32 v74, 7, v66
; %bb.1925:                             ;   in Loop: Header=BB228_1062 Depth=1
	s_or_b32 exec_lo, exec_lo, s16
	s_delay_alu instid0(VALU_DEP_1) | instskip(NEXT) | instid1(VALU_DEP_3)
	v_dual_lshlrev_b32 v10, 16, v52 :: v_dual_lshlrev_b32 v66, 20, v74
	v_lshl_add_u32 v53, v53, 23, 0x3c000000
	s_delay_alu instid0(VALU_DEP_2) | instskip(NEXT) | instid1(VALU_DEP_1)
	v_and_b32_e32 v10, 0x80000000, v10
	v_or3_b32 v67, v66, v10, v53
	v_mov_b32_e32 v66, v75
.LBB228_1926:                           ;   in Loop: Header=BB228_1062 Depth=1
	s_or_b32 exec_lo, exec_lo, s9
.LBB228_1927:                           ;   in Loop: Header=BB228_1062 Depth=1
	s_delay_alu instid0(SALU_CYCLE_1)
	s_or_b32 exec_lo, exec_lo, s8
.LBB228_1928:                           ;   in Loop: Header=BB228_1062 Depth=1
	s_delay_alu instid0(SALU_CYCLE_1) | instskip(SKIP_4) | instid1(VALU_DEP_3)
	s_or_b32 exec_lo, exec_lo, s3
	v_lshrrev_b32_e32 v53, 16, v52
	v_mov_b64_e32 v[114:115], 0
	v_mov_b64_e32 v[116:117], 0
	s_mov_b32 s3, exec_lo
	v_and_b32_e32 v118, 0xff, v53
	s_delay_alu instid0(VALU_DEP_1)
	v_cmpx_ne_u16_e32 0, v118
	s_cbranch_execz .LBB228_1936
; %bb.1929:                             ;   in Loop: Header=BB228_1062 Depth=1
	v_mov_b64_e32 v[116:117], 0x80000000
	s_mov_b32 s8, exec_lo
	v_cmpx_ne_u16_e32 0x80, v118
	s_cbranch_execz .LBB228_1935
; %bb.1930:                             ;   in Loop: Header=BB228_1062 Depth=1
	v_mov_b64_e32 v[116:117], 0x7f800001
	v_bfe_u32 v118, v52, 16, 7
	s_mov_b32 s9, exec_lo
	s_delay_alu instid0(VALU_DEP_1)
	v_cmpx_ne_u32_e32 0x7f, v118
	s_cbranch_execz .LBB228_1934
; %bb.1931:                             ;   in Loop: Header=BB228_1062 Depth=1
	v_dual_lshrrev_b32 v116, 3, v118 :: v_dual_bitop2_b32 v74, 7, v53 bitop3:0x40
	s_mov_b32 s16, exec_lo
	v_cmpx_gt_u32_e32 8, v118
; %bb.1932:                             ;   in Loop: Header=BB228_1062 Depth=1
	s_delay_alu instid0(VALU_DEP_2) | instskip(NEXT) | instid1(VALU_DEP_1)
	v_clz_i32_u32_e32 v10, v74
	v_min_u32_e32 v10, 32, v10
	s_delay_alu instid0(VALU_DEP_1) | instskip(NEXT) | instid1(VALU_DEP_1)
	v_subrev_nc_u32_e32 v116, 28, v10
	v_lshlrev_b64_e32 v[118:119], v116, v[74:75]
	v_sub_nc_u32_e32 v116, 29, v10
	s_delay_alu instid0(VALU_DEP_2)
	v_and_b32_e32 v74, 7, v118
; %bb.1933:                             ;   in Loop: Header=BB228_1062 Depth=1
	s_or_b32 exec_lo, exec_lo, s16
	s_delay_alu instid0(VALU_DEP_1) | instskip(NEXT) | instid1(VALU_DEP_3)
	v_dual_lshlrev_b32 v10, 24, v53 :: v_dual_lshlrev_b32 v53, 20, v74
	v_lshl_add_u32 v116, v116, 23, 0x3c000000
	s_delay_alu instid0(VALU_DEP_2) | instskip(NEXT) | instid1(VALU_DEP_1)
	v_and_b32_e32 v10, 0x80000000, v10
	v_or3_b32 v74, v53, v10, v116
	s_delay_alu instid0(VALU_DEP_1)
	v_mov_b64_e32 v[116:117], v[74:75]
.LBB228_1934:                           ;   in Loop: Header=BB228_1062 Depth=1
	s_or_b32 exec_lo, exec_lo, s9
.LBB228_1935:                           ;   in Loop: Header=BB228_1062 Depth=1
	s_delay_alu instid0(SALU_CYCLE_1)
	s_or_b32 exec_lo, exec_lo, s8
.LBB228_1936:                           ;   in Loop: Header=BB228_1062 Depth=1
	s_delay_alu instid0(SALU_CYCLE_1) | instskip(NEXT) | instid1(SALU_CYCLE_1)
	s_or_b32 exec_lo, exec_lo, s3
	s_mov_b32 s3, exec_lo
	v_cmpx_lt_u32_e32 0xffffff, v52
	s_cbranch_execz .LBB228_1944
; %bb.1937:                             ;   in Loop: Header=BB228_1062 Depth=1
	v_mov_b64_e32 v[114:115], 0x8000000000000000
	v_lshrrev_b32_e32 v53, 24, v52
	s_mov_b32 s8, exec_lo
	s_delay_alu instid0(VALU_DEP_1)
	v_cmpx_ne_u32_e32 0x80, v53
	s_cbranch_execz .LBB228_1943
; %bb.1938:                             ;   in Loop: Header=BB228_1062 Depth=1
	v_mov_b64_e32 v[114:115], 0x7f80000100000000
	v_bfe_u32 v118, v52, 24, 7
	s_mov_b32 s9, exec_lo
	s_delay_alu instid0(VALU_DEP_1)
	v_cmpx_ne_u32_e32 0x7f, v118
	s_cbranch_execz .LBB228_1942
; %bb.1939:                             ;   in Loop: Header=BB228_1062 Depth=1
	v_dual_lshrrev_b32 v52, 3, v118 :: v_dual_bitop2_b32 v74, 7, v53 bitop3:0x40
	s_mov_b32 s16, exec_lo
	v_cmpx_gt_u32_e32 8, v118
; %bb.1940:                             ;   in Loop: Header=BB228_1062 Depth=1
	s_delay_alu instid0(VALU_DEP_2) | instskip(NEXT) | instid1(VALU_DEP_1)
	v_clz_i32_u32_e32 v10, v74
	v_min_u32_e32 v10, 32, v10
	s_delay_alu instid0(VALU_DEP_1) | instskip(NEXT) | instid1(VALU_DEP_1)
	v_subrev_nc_u32_e32 v52, 28, v10
	v_lshlrev_b64_e32 v[114:115], v52, v[74:75]
	v_sub_nc_u32_e32 v52, 29, v10
	s_delay_alu instid0(VALU_DEP_2)
	v_and_b32_e32 v74, 7, v114
; %bb.1941:                             ;   in Loop: Header=BB228_1062 Depth=1
	s_or_b32 exec_lo, exec_lo, s16
	s_delay_alu instid0(VALU_DEP_1) | instskip(NEXT) | instid1(VALU_DEP_3)
	v_dual_lshlrev_b32 v10, 24, v53 :: v_dual_lshlrev_b32 v53, 20, v74
	v_lshl_add_u32 v52, v52, 23, 0x3c000000
	v_mov_b32_e32 v114, v75
	s_delay_alu instid0(VALU_DEP_3) | instskip(NEXT) | instid1(VALU_DEP_1)
	v_and_b32_e32 v10, 0x80000000, v10
	v_or3_b32 v115, v53, v10, v52
.LBB228_1942:                           ;   in Loop: Header=BB228_1062 Depth=1
	s_or_b32 exec_lo, exec_lo, s9
.LBB228_1943:                           ;   in Loop: Header=BB228_1062 Depth=1
	s_delay_alu instid0(SALU_CYCLE_1)
	s_or_b32 exec_lo, exec_lo, s8
.LBB228_1944:                           ;   in Loop: Header=BB228_1062 Depth=1
	s_delay_alu instid0(SALU_CYCLE_1) | instskip(SKIP_4) | instid1(VALU_DEP_3)
	s_or_b32 exec_lo, exec_lo, s3
	v_or_b32_e32 v53, v67, v113
	v_or_b32_e32 v52, v66, v112
	;; [unrolled: 1-line block ×4, first 2 shown]
	v_pk_mul_f32 v[114:115], v[48:49], v[52:53]
	s_delay_alu instid0(VALU_DEP_2)
	v_pk_mul_f32 v[112:113], v[48:49], v[66:67]
	s_and_saveexec_b32 s3, vcc_lo
	s_cbranch_execz .LBB228_1946
; %bb.1945:                             ;   in Loop: Header=BB228_1062 Depth=1
	scratch_load_b64 v[52:53], off, s32 offset:200 ; 8-byte Folded Reload
	s_wait_loadcnt 0x0
	v_mov_b32_e32 v10, v52
	s_delay_alu instid0(VALU_DEP_1) | instskip(NEXT) | instid1(VALU_DEP_1)
	v_cmp_lt_i32_e64 s0, v11, v10
	v_cndmask_b32_e64 v114, 0, v114, s0
	v_cmp_lt_i32_e64 s0, v77, v10
	s_delay_alu instid0(VALU_DEP_1) | instskip(SKIP_1) | instid1(VALU_DEP_1)
	v_cndmask_b32_e64 v115, 0, v115, s0
	v_cmp_lt_i32_e64 s0, v73, v10
	v_cndmask_b32_e64 v112, 0, v112, s0
	v_cmp_lt_i32_e64 s0, v72, v10
	s_delay_alu instid0(VALU_DEP_1)
	v_cndmask_b32_e64 v113, 0, v113, s0
.LBB228_1946:                           ;   in Loop: Header=BB228_1062 Depth=1
	s_wait_xcnt 0x0
	s_or_b32 exec_lo, exec_lo, s3
	flat_load_b32 v52, v[96:97] offset:3328
	v_mov_b64_e32 v[66:67], 0
	v_mov_b64_e32 v[116:117], 0
	s_mov_b32 s3, exec_lo
	s_wait_loadcnt_dscnt 0x0
	v_and_b32_e32 v53, 0xff, v52
	s_wait_xcnt 0x0
	s_delay_alu instid0(VALU_DEP_1)
	v_cmpx_ne_u16_e32 0, v53
	s_cbranch_execz .LBB228_1954
; %bb.1947:                             ;   in Loop: Header=BB228_1062 Depth=1
	v_mov_b64_e32 v[116:117], 0x80000000
	s_mov_b32 s8, exec_lo
	v_cmpx_ne_u16_e32 0x80, v53
	s_cbranch_execz .LBB228_1953
; %bb.1948:                             ;   in Loop: Header=BB228_1062 Depth=1
	v_mov_b64_e32 v[116:117], 0x7f800001
	v_and_b32_e32 v118, 0x7f, v52
	s_mov_b32 s9, exec_lo
	s_delay_alu instid0(VALU_DEP_1)
	v_cmpx_ne_u32_e32 0x7f, v118
	s_cbranch_execz .LBB228_1952
; %bb.1949:                             ;   in Loop: Header=BB228_1062 Depth=1
	v_dual_lshrrev_b32 v53, 3, v118 :: v_dual_bitop2_b32 v74, 7, v52 bitop3:0x40
	s_mov_b32 s16, exec_lo
	v_cmpx_gt_u32_e32 8, v118
; %bb.1950:                             ;   in Loop: Header=BB228_1062 Depth=1
	s_delay_alu instid0(VALU_DEP_2) | instskip(NEXT) | instid1(VALU_DEP_1)
	v_clz_i32_u32_e32 v10, v74
	v_min_u32_e32 v10, 32, v10
	s_delay_alu instid0(VALU_DEP_1) | instskip(NEXT) | instid1(VALU_DEP_1)
	v_subrev_nc_u32_e32 v53, 28, v10
	v_lshlrev_b64_e32 v[116:117], v53, v[74:75]
	s_delay_alu instid0(VALU_DEP_1)
	v_dual_sub_nc_u32 v53, 29, v10 :: v_dual_bitop2_b32 v74, 7, v116 bitop3:0x40
; %bb.1951:                             ;   in Loop: Header=BB228_1062 Depth=1
	s_or_b32 exec_lo, exec_lo, s16
	s_delay_alu instid0(VALU_DEP_1) | instskip(NEXT) | instid1(VALU_DEP_2)
	v_dual_lshlrev_b32 v10, 24, v52 :: v_dual_lshlrev_b32 v116, 20, v74
	v_lshl_add_u32 v53, v53, 23, 0x3c000000
	s_delay_alu instid0(VALU_DEP_2) | instskip(NEXT) | instid1(VALU_DEP_1)
	v_and_b32_e32 v10, 0x80000000, v10
	v_or3_b32 v74, v116, v10, v53
	s_delay_alu instid0(VALU_DEP_1)
	v_mov_b64_e32 v[116:117], v[74:75]
.LBB228_1952:                           ;   in Loop: Header=BB228_1062 Depth=1
	s_or_b32 exec_lo, exec_lo, s9
.LBB228_1953:                           ;   in Loop: Header=BB228_1062 Depth=1
	s_delay_alu instid0(SALU_CYCLE_1)
	s_or_b32 exec_lo, exec_lo, s8
.LBB228_1954:                           ;   in Loop: Header=BB228_1062 Depth=1
	s_delay_alu instid0(SALU_CYCLE_1) | instskip(SKIP_2) | instid1(VALU_DEP_1)
	s_or_b32 exec_lo, exec_lo, s3
	v_lshrrev_b16 v53, 8, v52
	s_mov_b32 s3, exec_lo
	v_cmpx_ne_u16_e32 0, v53
	s_cbranch_execz .LBB228_1962
; %bb.1955:                             ;   in Loop: Header=BB228_1062 Depth=1
	v_mov_b64_e32 v[66:67], 0x8000000000000000
	s_mov_b32 s8, exec_lo
	v_cmpx_ne_u16_e32 0x80, v53
	s_cbranch_execz .LBB228_1961
; %bb.1956:                             ;   in Loop: Header=BB228_1062 Depth=1
	v_and_b32_e32 v53, 0xffff, v53
	v_mov_b64_e32 v[66:67], 0x7f80000100000000
	s_mov_b32 s9, exec_lo
	s_delay_alu instid0(VALU_DEP_2) | instskip(NEXT) | instid1(VALU_DEP_1)
	v_and_b32_e32 v118, 0x7f, v53
	v_cmpx_ne_u32_e32 0x7f, v118
	s_cbranch_execz .LBB228_1960
; %bb.1957:                             ;   in Loop: Header=BB228_1062 Depth=1
	v_dual_lshrrev_b32 v53, 3, v118 :: v_dual_bitop2_b32 v74, 7, v53 bitop3:0x40
	s_mov_b32 s16, exec_lo
	v_cmpx_gt_u32_e32 8, v118
; %bb.1958:                             ;   in Loop: Header=BB228_1062 Depth=1
	s_delay_alu instid0(VALU_DEP_2) | instskip(NEXT) | instid1(VALU_DEP_1)
	v_clz_i32_u32_e32 v10, v74
	v_min_u32_e32 v10, 32, v10
	s_delay_alu instid0(VALU_DEP_1) | instskip(NEXT) | instid1(VALU_DEP_1)
	v_subrev_nc_u32_e32 v53, 28, v10
	v_lshlrev_b64_e32 v[66:67], v53, v[74:75]
	v_sub_nc_u32_e32 v53, 29, v10
	s_delay_alu instid0(VALU_DEP_2)
	v_and_b32_e32 v74, 7, v66
; %bb.1959:                             ;   in Loop: Header=BB228_1062 Depth=1
	s_or_b32 exec_lo, exec_lo, s16
	s_delay_alu instid0(VALU_DEP_1) | instskip(NEXT) | instid1(VALU_DEP_3)
	v_dual_lshlrev_b32 v10, 16, v52 :: v_dual_lshlrev_b32 v66, 20, v74
	v_lshl_add_u32 v53, v53, 23, 0x3c000000
	s_delay_alu instid0(VALU_DEP_2) | instskip(NEXT) | instid1(VALU_DEP_1)
	v_and_b32_e32 v10, 0x80000000, v10
	v_or3_b32 v67, v66, v10, v53
	v_mov_b32_e32 v66, v75
.LBB228_1960:                           ;   in Loop: Header=BB228_1062 Depth=1
	s_or_b32 exec_lo, exec_lo, s9
.LBB228_1961:                           ;   in Loop: Header=BB228_1062 Depth=1
	s_delay_alu instid0(SALU_CYCLE_1)
	s_or_b32 exec_lo, exec_lo, s8
.LBB228_1962:                           ;   in Loop: Header=BB228_1062 Depth=1
	s_delay_alu instid0(SALU_CYCLE_1) | instskip(SKIP_4) | instid1(VALU_DEP_3)
	s_or_b32 exec_lo, exec_lo, s3
	v_lshrrev_b32_e32 v53, 16, v52
	v_mov_b64_e32 v[118:119], 0
	v_mov_b64_e32 v[40:41], 0
	s_mov_b32 s3, exec_lo
	v_and_b32_e32 v42, 0xff, v53
	s_delay_alu instid0(VALU_DEP_1)
	v_cmpx_ne_u16_e32 0, v42
	s_cbranch_execz .LBB228_1970
; %bb.1963:                             ;   in Loop: Header=BB228_1062 Depth=1
	v_mov_b64_e32 v[40:41], 0x80000000
	s_mov_b32 s8, exec_lo
	v_cmpx_ne_u16_e32 0x80, v42
	s_cbranch_execz .LBB228_1969
; %bb.1964:                             ;   in Loop: Header=BB228_1062 Depth=1
	v_mov_b64_e32 v[40:41], 0x7f800001
	v_bfe_u32 v42, v52, 16, 7
	s_mov_b32 s9, exec_lo
	s_delay_alu instid0(VALU_DEP_1)
	v_cmpx_ne_u32_e32 0x7f, v42
	s_cbranch_execz .LBB228_1968
; %bb.1965:                             ;   in Loop: Header=BB228_1062 Depth=1
	v_dual_lshrrev_b32 v40, 3, v42 :: v_dual_bitop2_b32 v74, 7, v53 bitop3:0x40
	s_mov_b32 s16, exec_lo
	v_cmpx_gt_u32_e32 8, v42
; %bb.1966:                             ;   in Loop: Header=BB228_1062 Depth=1
	s_delay_alu instid0(VALU_DEP_2) | instskip(NEXT) | instid1(VALU_DEP_1)
	v_clz_i32_u32_e32 v10, v74
	v_min_u32_e32 v10, 32, v10
	s_delay_alu instid0(VALU_DEP_1) | instskip(NEXT) | instid1(VALU_DEP_1)
	v_subrev_nc_u32_e32 v40, 28, v10
	v_lshlrev_b64_e32 v[42:43], v40, v[74:75]
	v_sub_nc_u32_e32 v40, 29, v10
	s_delay_alu instid0(VALU_DEP_2)
	v_and_b32_e32 v74, 7, v42
; %bb.1967:                             ;   in Loop: Header=BB228_1062 Depth=1
	s_or_b32 exec_lo, exec_lo, s16
	s_delay_alu instid0(VALU_DEP_1) | instskip(NEXT) | instid1(VALU_DEP_3)
	v_dual_lshlrev_b32 v10, 24, v53 :: v_dual_lshlrev_b32 v53, 20, v74
	v_lshl_add_u32 v40, v40, 23, 0x3c000000
	s_delay_alu instid0(VALU_DEP_2) | instskip(NEXT) | instid1(VALU_DEP_1)
	v_and_b32_e32 v10, 0x80000000, v10
	v_or3_b32 v74, v53, v10, v40
	s_delay_alu instid0(VALU_DEP_1)
	v_mov_b64_e32 v[40:41], v[74:75]
.LBB228_1968:                           ;   in Loop: Header=BB228_1062 Depth=1
	s_or_b32 exec_lo, exec_lo, s9
.LBB228_1969:                           ;   in Loop: Header=BB228_1062 Depth=1
	s_delay_alu instid0(SALU_CYCLE_1)
	s_or_b32 exec_lo, exec_lo, s8
.LBB228_1970:                           ;   in Loop: Header=BB228_1062 Depth=1
	s_delay_alu instid0(SALU_CYCLE_1) | instskip(NEXT) | instid1(SALU_CYCLE_1)
	s_or_b32 exec_lo, exec_lo, s3
	s_mov_b32 s3, exec_lo
	v_cmpx_lt_u32_e32 0xffffff, v52
	s_cbranch_execz .LBB228_1978
; %bb.1971:                             ;   in Loop: Header=BB228_1062 Depth=1
	v_mov_b64_e32 v[118:119], 0x8000000000000000
	v_lshrrev_b32_e32 v53, 24, v52
	s_mov_b32 s8, exec_lo
	s_delay_alu instid0(VALU_DEP_1)
	v_cmpx_ne_u32_e32 0x80, v53
	s_cbranch_execz .LBB228_1977
; %bb.1972:                             ;   in Loop: Header=BB228_1062 Depth=1
	v_mov_b64_e32 v[118:119], 0x7f80000100000000
	v_bfe_u32 v42, v52, 24, 7
	s_mov_b32 s9, exec_lo
	s_delay_alu instid0(VALU_DEP_1)
	v_cmpx_ne_u32_e32 0x7f, v42
	s_cbranch_execz .LBB228_1976
; %bb.1973:                             ;   in Loop: Header=BB228_1062 Depth=1
	v_dual_lshrrev_b32 v52, 3, v42 :: v_dual_bitop2_b32 v74, 7, v53 bitop3:0x40
	s_mov_b32 s16, exec_lo
	v_cmpx_gt_u32_e32 8, v42
; %bb.1974:                             ;   in Loop: Header=BB228_1062 Depth=1
	s_delay_alu instid0(VALU_DEP_2) | instskip(NEXT) | instid1(VALU_DEP_1)
	v_clz_i32_u32_e32 v10, v74
	v_min_u32_e32 v10, 32, v10
	s_delay_alu instid0(VALU_DEP_1) | instskip(NEXT) | instid1(VALU_DEP_1)
	v_subrev_nc_u32_e32 v52, 28, v10
	v_lshlrev_b64_e32 v[118:119], v52, v[74:75]
	v_sub_nc_u32_e32 v52, 29, v10
	s_delay_alu instid0(VALU_DEP_2)
	v_and_b32_e32 v74, 7, v118
; %bb.1975:                             ;   in Loop: Header=BB228_1062 Depth=1
	s_or_b32 exec_lo, exec_lo, s16
	s_delay_alu instid0(VALU_DEP_1) | instskip(NEXT) | instid1(VALU_DEP_3)
	v_dual_lshlrev_b32 v10, 24, v53 :: v_dual_lshlrev_b32 v53, 20, v74
	v_lshl_add_u32 v52, v52, 23, 0x3c000000
	v_mov_b32_e32 v118, v75
	s_delay_alu instid0(VALU_DEP_3) | instskip(NEXT) | instid1(VALU_DEP_1)
	v_and_b32_e32 v10, 0x80000000, v10
	v_or3_b32 v119, v53, v10, v52
.LBB228_1976:                           ;   in Loop: Header=BB228_1062 Depth=1
	s_or_b32 exec_lo, exec_lo, s9
.LBB228_1977:                           ;   in Loop: Header=BB228_1062 Depth=1
	s_delay_alu instid0(SALU_CYCLE_1)
	s_or_b32 exec_lo, exec_lo, s8
.LBB228_1978:                           ;   in Loop: Header=BB228_1062 Depth=1
	s_delay_alu instid0(SALU_CYCLE_1) | instskip(SKIP_4) | instid1(VALU_DEP_3)
	s_or_b32 exec_lo, exec_lo, s3
	v_or_b32_e32 v53, v67, v117
	v_or_b32_e32 v52, v66, v116
	;; [unrolled: 1-line block ×4, first 2 shown]
	v_pk_mul_f32 v[118:119], v[48:49], v[52:53]
	s_delay_alu instid0(VALU_DEP_2)
	v_pk_mul_f32 v[116:117], v[48:49], v[66:67]
	s_and_saveexec_b32 s3, vcc_lo
	s_cbranch_execz .LBB228_1980
; %bb.1979:                             ;   in Loop: Header=BB228_1062 Depth=1
	scratch_load_b64 v[52:53], off, s32 offset:200 ; 8-byte Folded Reload
	s_wait_loadcnt 0x0
	v_mov_b32_e32 v10, v52
	s_delay_alu instid0(VALU_DEP_1) | instskip(NEXT) | instid1(VALU_DEP_1)
	v_cmp_lt_i32_e64 s0, v11, v10
	v_cndmask_b32_e64 v118, 0, v118, s0
	v_cmp_lt_i32_e64 s0, v77, v10
	s_delay_alu instid0(VALU_DEP_1) | instskip(SKIP_1) | instid1(VALU_DEP_1)
	v_cndmask_b32_e64 v119, 0, v119, s0
	v_cmp_lt_i32_e64 s0, v73, v10
	v_cndmask_b32_e64 v116, 0, v116, s0
	v_cmp_lt_i32_e64 s0, v72, v10
	s_delay_alu instid0(VALU_DEP_1)
	v_cndmask_b32_e64 v117, 0, v117, s0
.LBB228_1980:                           ;   in Loop: Header=BB228_1062 Depth=1
	s_wait_xcnt 0x0
	s_or_b32 exec_lo, exec_lo, s3
	flat_load_b32 v52, v[96:97] offset:3456
	v_mov_b64_e32 v[66:67], 0
	v_mov_b64_e32 v[40:41], 0
	s_mov_b32 s3, exec_lo
	s_wait_loadcnt_dscnt 0x0
	v_and_b32_e32 v53, 0xff, v52
	s_wait_xcnt 0x0
	s_delay_alu instid0(VALU_DEP_1)
	v_cmpx_ne_u16_e32 0, v53
	s_cbranch_execz .LBB228_1988
; %bb.1981:                             ;   in Loop: Header=BB228_1062 Depth=1
	v_mov_b64_e32 v[40:41], 0x80000000
	s_mov_b32 s8, exec_lo
	v_cmpx_ne_u16_e32 0x80, v53
	s_cbranch_execz .LBB228_1987
; %bb.1982:                             ;   in Loop: Header=BB228_1062 Depth=1
	v_mov_b64_e32 v[40:41], 0x7f800001
	v_and_b32_e32 v42, 0x7f, v52
	s_mov_b32 s9, exec_lo
	s_delay_alu instid0(VALU_DEP_1)
	v_cmpx_ne_u32_e32 0x7f, v42
	s_cbranch_execz .LBB228_1986
; %bb.1983:                             ;   in Loop: Header=BB228_1062 Depth=1
	v_dual_lshrrev_b32 v53, 3, v42 :: v_dual_bitop2_b32 v74, 7, v52 bitop3:0x40
	s_mov_b32 s16, exec_lo
	v_cmpx_gt_u32_e32 8, v42
; %bb.1984:                             ;   in Loop: Header=BB228_1062 Depth=1
	s_delay_alu instid0(VALU_DEP_2) | instskip(NEXT) | instid1(VALU_DEP_1)
	v_clz_i32_u32_e32 v10, v74
	v_min_u32_e32 v10, 32, v10
	s_delay_alu instid0(VALU_DEP_1) | instskip(NEXT) | instid1(VALU_DEP_1)
	v_subrev_nc_u32_e32 v53, 28, v10
	v_lshlrev_b64_e32 v[40:41], v53, v[74:75]
	s_delay_alu instid0(VALU_DEP_1)
	v_dual_sub_nc_u32 v53, 29, v10 :: v_dual_bitop2_b32 v74, 7, v40 bitop3:0x40
; %bb.1985:                             ;   in Loop: Header=BB228_1062 Depth=1
	s_or_b32 exec_lo, exec_lo, s16
	s_delay_alu instid0(VALU_DEP_1) | instskip(NEXT) | instid1(VALU_DEP_2)
	v_dual_lshlrev_b32 v10, 24, v52 :: v_dual_lshlrev_b32 v40, 20, v74
	v_lshl_add_u32 v53, v53, 23, 0x3c000000
	s_delay_alu instid0(VALU_DEP_2) | instskip(NEXT) | instid1(VALU_DEP_1)
	v_and_b32_e32 v10, 0x80000000, v10
	v_or3_b32 v74, v40, v10, v53
	s_delay_alu instid0(VALU_DEP_1)
	v_mov_b64_e32 v[40:41], v[74:75]
.LBB228_1986:                           ;   in Loop: Header=BB228_1062 Depth=1
	s_or_b32 exec_lo, exec_lo, s9
.LBB228_1987:                           ;   in Loop: Header=BB228_1062 Depth=1
	s_delay_alu instid0(SALU_CYCLE_1)
	s_or_b32 exec_lo, exec_lo, s8
.LBB228_1988:                           ;   in Loop: Header=BB228_1062 Depth=1
	s_delay_alu instid0(SALU_CYCLE_1) | instskip(SKIP_2) | instid1(VALU_DEP_1)
	s_or_b32 exec_lo, exec_lo, s3
	v_lshrrev_b16 v53, 8, v52
	s_mov_b32 s3, exec_lo
	v_cmpx_ne_u16_e32 0, v53
	s_cbranch_execz .LBB228_1996
; %bb.1989:                             ;   in Loop: Header=BB228_1062 Depth=1
	v_mov_b64_e32 v[66:67], 0x8000000000000000
	s_mov_b32 s8, exec_lo
	v_cmpx_ne_u16_e32 0x80, v53
	s_cbranch_execz .LBB228_1995
; %bb.1990:                             ;   in Loop: Header=BB228_1062 Depth=1
	v_and_b32_e32 v53, 0xffff, v53
	v_mov_b64_e32 v[66:67], 0x7f80000100000000
	s_mov_b32 s9, exec_lo
	s_delay_alu instid0(VALU_DEP_2) | instskip(NEXT) | instid1(VALU_DEP_1)
	v_and_b32_e32 v42, 0x7f, v53
	v_cmpx_ne_u32_e32 0x7f, v42
	s_cbranch_execz .LBB228_1994
; %bb.1991:                             ;   in Loop: Header=BB228_1062 Depth=1
	v_dual_lshrrev_b32 v53, 3, v42 :: v_dual_bitop2_b32 v74, 7, v53 bitop3:0x40
	s_mov_b32 s16, exec_lo
	v_cmpx_gt_u32_e32 8, v42
; %bb.1992:                             ;   in Loop: Header=BB228_1062 Depth=1
	s_delay_alu instid0(VALU_DEP_2) | instskip(NEXT) | instid1(VALU_DEP_1)
	v_clz_i32_u32_e32 v10, v74
	v_min_u32_e32 v10, 32, v10
	s_delay_alu instid0(VALU_DEP_1) | instskip(NEXT) | instid1(VALU_DEP_1)
	v_subrev_nc_u32_e32 v53, 28, v10
	v_lshlrev_b64_e32 v[66:67], v53, v[74:75]
	v_sub_nc_u32_e32 v53, 29, v10
	s_delay_alu instid0(VALU_DEP_2)
	v_and_b32_e32 v74, 7, v66
; %bb.1993:                             ;   in Loop: Header=BB228_1062 Depth=1
	s_or_b32 exec_lo, exec_lo, s16
	s_delay_alu instid0(VALU_DEP_1) | instskip(NEXT) | instid1(VALU_DEP_3)
	v_dual_lshlrev_b32 v10, 16, v52 :: v_dual_lshlrev_b32 v66, 20, v74
	v_lshl_add_u32 v53, v53, 23, 0x3c000000
	s_delay_alu instid0(VALU_DEP_2) | instskip(NEXT) | instid1(VALU_DEP_1)
	v_and_b32_e32 v10, 0x80000000, v10
	v_or3_b32 v67, v66, v10, v53
	v_mov_b32_e32 v66, v75
.LBB228_1994:                           ;   in Loop: Header=BB228_1062 Depth=1
	s_or_b32 exec_lo, exec_lo, s9
.LBB228_1995:                           ;   in Loop: Header=BB228_1062 Depth=1
	s_delay_alu instid0(SALU_CYCLE_1)
	s_or_b32 exec_lo, exec_lo, s8
.LBB228_1996:                           ;   in Loop: Header=BB228_1062 Depth=1
	s_delay_alu instid0(SALU_CYCLE_1) | instskip(SKIP_4) | instid1(VALU_DEP_3)
	s_or_b32 exec_lo, exec_lo, s3
	v_lshrrev_b32_e32 v53, 16, v52
	v_mov_b64_e32 v[42:43], 0
	v_mov_b64_e32 v[44:45], 0
	s_mov_b32 s3, exec_lo
	v_and_b32_e32 v46, 0xff, v53
	s_delay_alu instid0(VALU_DEP_1)
	v_cmpx_ne_u16_e32 0, v46
	s_cbranch_execz .LBB228_2004
; %bb.1997:                             ;   in Loop: Header=BB228_1062 Depth=1
	v_mov_b64_e32 v[44:45], 0x80000000
	s_mov_b32 s8, exec_lo
	v_cmpx_ne_u16_e32 0x80, v46
	s_cbranch_execz .LBB228_2003
; %bb.1998:                             ;   in Loop: Header=BB228_1062 Depth=1
	v_mov_b64_e32 v[44:45], 0x7f800001
	v_bfe_u32 v46, v52, 16, 7
	s_mov_b32 s9, exec_lo
	s_delay_alu instid0(VALU_DEP_1)
	v_cmpx_ne_u32_e32 0x7f, v46
	s_cbranch_execz .LBB228_2002
; %bb.1999:                             ;   in Loop: Header=BB228_1062 Depth=1
	v_dual_lshrrev_b32 v44, 3, v46 :: v_dual_bitop2_b32 v74, 7, v53 bitop3:0x40
	s_mov_b32 s16, exec_lo
	v_cmpx_gt_u32_e32 8, v46
; %bb.2000:                             ;   in Loop: Header=BB228_1062 Depth=1
	s_delay_alu instid0(VALU_DEP_2) | instskip(NEXT) | instid1(VALU_DEP_1)
	v_clz_i32_u32_e32 v10, v74
	v_min_u32_e32 v10, 32, v10
	s_delay_alu instid0(VALU_DEP_1) | instskip(NEXT) | instid1(VALU_DEP_1)
	v_subrev_nc_u32_e32 v44, 28, v10
	v_lshlrev_b64_e32 v[46:47], v44, v[74:75]
	v_sub_nc_u32_e32 v44, 29, v10
	s_delay_alu instid0(VALU_DEP_2)
	v_and_b32_e32 v74, 7, v46
; %bb.2001:                             ;   in Loop: Header=BB228_1062 Depth=1
	s_or_b32 exec_lo, exec_lo, s16
	s_delay_alu instid0(VALU_DEP_1) | instskip(NEXT) | instid1(VALU_DEP_3)
	v_dual_lshlrev_b32 v10, 24, v53 :: v_dual_lshlrev_b32 v53, 20, v74
	v_lshl_add_u32 v44, v44, 23, 0x3c000000
	s_delay_alu instid0(VALU_DEP_2) | instskip(NEXT) | instid1(VALU_DEP_1)
	v_and_b32_e32 v10, 0x80000000, v10
	v_or3_b32 v74, v53, v10, v44
	s_delay_alu instid0(VALU_DEP_1)
	v_mov_b64_e32 v[44:45], v[74:75]
.LBB228_2002:                           ;   in Loop: Header=BB228_1062 Depth=1
	s_or_b32 exec_lo, exec_lo, s9
.LBB228_2003:                           ;   in Loop: Header=BB228_1062 Depth=1
	s_delay_alu instid0(SALU_CYCLE_1)
	s_or_b32 exec_lo, exec_lo, s8
.LBB228_2004:                           ;   in Loop: Header=BB228_1062 Depth=1
	s_delay_alu instid0(SALU_CYCLE_1) | instskip(NEXT) | instid1(SALU_CYCLE_1)
	s_or_b32 exec_lo, exec_lo, s3
	s_mov_b32 s3, exec_lo
	v_cmpx_lt_u32_e32 0xffffff, v52
	s_cbranch_execz .LBB228_2012
; %bb.2005:                             ;   in Loop: Header=BB228_1062 Depth=1
	v_mov_b64_e32 v[42:43], 0x8000000000000000
	v_lshrrev_b32_e32 v53, 24, v52
	s_mov_b32 s8, exec_lo
	s_delay_alu instid0(VALU_DEP_1)
	v_cmpx_ne_u32_e32 0x80, v53
	s_cbranch_execz .LBB228_2011
; %bb.2006:                             ;   in Loop: Header=BB228_1062 Depth=1
	v_mov_b64_e32 v[42:43], 0x7f80000100000000
	v_bfe_u32 v46, v52, 24, 7
	s_mov_b32 s9, exec_lo
	s_delay_alu instid0(VALU_DEP_1)
	v_cmpx_ne_u32_e32 0x7f, v46
	s_cbranch_execz .LBB228_2010
; %bb.2007:                             ;   in Loop: Header=BB228_1062 Depth=1
	v_dual_lshrrev_b32 v52, 3, v46 :: v_dual_bitop2_b32 v74, 7, v53 bitop3:0x40
	s_mov_b32 s16, exec_lo
	v_cmpx_gt_u32_e32 8, v46
; %bb.2008:                             ;   in Loop: Header=BB228_1062 Depth=1
	s_delay_alu instid0(VALU_DEP_2) | instskip(NEXT) | instid1(VALU_DEP_1)
	v_clz_i32_u32_e32 v10, v74
	v_min_u32_e32 v10, 32, v10
	s_delay_alu instid0(VALU_DEP_1) | instskip(NEXT) | instid1(VALU_DEP_1)
	v_subrev_nc_u32_e32 v52, 28, v10
	v_lshlrev_b64_e32 v[42:43], v52, v[74:75]
	v_sub_nc_u32_e32 v52, 29, v10
	s_delay_alu instid0(VALU_DEP_2)
	v_and_b32_e32 v74, 7, v42
; %bb.2009:                             ;   in Loop: Header=BB228_1062 Depth=1
	s_or_b32 exec_lo, exec_lo, s16
	s_delay_alu instid0(VALU_DEP_1) | instskip(NEXT) | instid1(VALU_DEP_3)
	v_dual_lshlrev_b32 v10, 24, v53 :: v_dual_lshlrev_b32 v53, 20, v74
	v_lshl_add_u32 v52, v52, 23, 0x3c000000
	v_mov_b32_e32 v42, v75
	s_delay_alu instid0(VALU_DEP_3) | instskip(NEXT) | instid1(VALU_DEP_1)
	v_and_b32_e32 v10, 0x80000000, v10
	v_or3_b32 v43, v53, v10, v52
.LBB228_2010:                           ;   in Loop: Header=BB228_1062 Depth=1
	s_or_b32 exec_lo, exec_lo, s9
.LBB228_2011:                           ;   in Loop: Header=BB228_1062 Depth=1
	s_delay_alu instid0(SALU_CYCLE_1)
	s_or_b32 exec_lo, exec_lo, s8
.LBB228_2012:                           ;   in Loop: Header=BB228_1062 Depth=1
	s_delay_alu instid0(SALU_CYCLE_1) | instskip(SKIP_4) | instid1(VALU_DEP_3)
	s_or_b32 exec_lo, exec_lo, s3
	v_or_b32_e32 v53, v67, v41
	v_or_b32_e32 v52, v66, v40
	;; [unrolled: 1-line block ×4, first 2 shown]
	v_pk_mul_f32 v[42:43], v[48:49], v[52:53]
	s_delay_alu instid0(VALU_DEP_2)
	v_pk_mul_f32 v[40:41], v[48:49], v[66:67]
	s_and_saveexec_b32 s3, vcc_lo
	s_cbranch_execz .LBB228_2014
; %bb.2013:                             ;   in Loop: Header=BB228_1062 Depth=1
	scratch_load_b64 v[52:53], off, s32 offset:200 ; 8-byte Folded Reload
	s_wait_loadcnt 0x0
	v_mov_b32_e32 v10, v52
	s_delay_alu instid0(VALU_DEP_1) | instskip(NEXT) | instid1(VALU_DEP_1)
	v_cmp_lt_i32_e64 s0, v11, v10
	v_cndmask_b32_e64 v42, 0, v42, s0
	v_cmp_lt_i32_e64 s0, v77, v10
	s_delay_alu instid0(VALU_DEP_1) | instskip(SKIP_1) | instid1(VALU_DEP_1)
	v_cndmask_b32_e64 v43, 0, v43, s0
	v_cmp_lt_i32_e64 s0, v73, v10
	v_cndmask_b32_e64 v40, 0, v40, s0
	v_cmp_lt_i32_e64 s0, v72, v10
	s_delay_alu instid0(VALU_DEP_1)
	v_cndmask_b32_e64 v41, 0, v41, s0
.LBB228_2014:                           ;   in Loop: Header=BB228_1062 Depth=1
	s_wait_xcnt 0x0
	s_or_b32 exec_lo, exec_lo, s3
	flat_load_b32 v52, v[96:97] offset:3584
	v_mov_b64_e32 v[66:67], 0
	v_mov_b64_e32 v[44:45], 0
	s_mov_b32 s3, exec_lo
	s_wait_loadcnt_dscnt 0x0
	v_and_b32_e32 v53, 0xff, v52
	s_wait_xcnt 0x0
	s_delay_alu instid0(VALU_DEP_1)
	v_cmpx_ne_u16_e32 0, v53
	s_cbranch_execz .LBB228_2022
; %bb.2015:                             ;   in Loop: Header=BB228_1062 Depth=1
	v_mov_b64_e32 v[44:45], 0x80000000
	s_mov_b32 s8, exec_lo
	v_cmpx_ne_u16_e32 0x80, v53
	s_cbranch_execz .LBB228_2021
; %bb.2016:                             ;   in Loop: Header=BB228_1062 Depth=1
	v_mov_b64_e32 v[44:45], 0x7f800001
	v_and_b32_e32 v46, 0x7f, v52
	s_mov_b32 s9, exec_lo
	s_delay_alu instid0(VALU_DEP_1)
	v_cmpx_ne_u32_e32 0x7f, v46
	s_cbranch_execz .LBB228_2020
; %bb.2017:                             ;   in Loop: Header=BB228_1062 Depth=1
	v_dual_lshrrev_b32 v53, 3, v46 :: v_dual_bitop2_b32 v74, 7, v52 bitop3:0x40
	s_mov_b32 s16, exec_lo
	v_cmpx_gt_u32_e32 8, v46
; %bb.2018:                             ;   in Loop: Header=BB228_1062 Depth=1
	s_delay_alu instid0(VALU_DEP_2) | instskip(NEXT) | instid1(VALU_DEP_1)
	v_clz_i32_u32_e32 v10, v74
	v_min_u32_e32 v10, 32, v10
	s_delay_alu instid0(VALU_DEP_1) | instskip(NEXT) | instid1(VALU_DEP_1)
	v_subrev_nc_u32_e32 v53, 28, v10
	v_lshlrev_b64_e32 v[44:45], v53, v[74:75]
	s_delay_alu instid0(VALU_DEP_1)
	v_dual_sub_nc_u32 v53, 29, v10 :: v_dual_bitop2_b32 v74, 7, v44 bitop3:0x40
; %bb.2019:                             ;   in Loop: Header=BB228_1062 Depth=1
	s_or_b32 exec_lo, exec_lo, s16
	s_delay_alu instid0(VALU_DEP_1) | instskip(NEXT) | instid1(VALU_DEP_2)
	v_dual_lshlrev_b32 v10, 24, v52 :: v_dual_lshlrev_b32 v44, 20, v74
	v_lshl_add_u32 v53, v53, 23, 0x3c000000
	s_delay_alu instid0(VALU_DEP_2) | instskip(NEXT) | instid1(VALU_DEP_1)
	v_and_b32_e32 v10, 0x80000000, v10
	v_or3_b32 v74, v44, v10, v53
	s_delay_alu instid0(VALU_DEP_1)
	v_mov_b64_e32 v[44:45], v[74:75]
.LBB228_2020:                           ;   in Loop: Header=BB228_1062 Depth=1
	s_or_b32 exec_lo, exec_lo, s9
.LBB228_2021:                           ;   in Loop: Header=BB228_1062 Depth=1
	s_delay_alu instid0(SALU_CYCLE_1)
	s_or_b32 exec_lo, exec_lo, s8
.LBB228_2022:                           ;   in Loop: Header=BB228_1062 Depth=1
	s_delay_alu instid0(SALU_CYCLE_1) | instskip(SKIP_2) | instid1(VALU_DEP_1)
	s_or_b32 exec_lo, exec_lo, s3
	v_lshrrev_b16 v53, 8, v52
	s_mov_b32 s3, exec_lo
	v_cmpx_ne_u16_e32 0, v53
	s_cbranch_execz .LBB228_2030
; %bb.2023:                             ;   in Loop: Header=BB228_1062 Depth=1
	v_mov_b64_e32 v[66:67], 0x8000000000000000
	s_mov_b32 s8, exec_lo
	v_cmpx_ne_u16_e32 0x80, v53
	s_cbranch_execz .LBB228_2029
; %bb.2024:                             ;   in Loop: Header=BB228_1062 Depth=1
	v_and_b32_e32 v53, 0xffff, v53
	v_mov_b64_e32 v[66:67], 0x7f80000100000000
	s_mov_b32 s9, exec_lo
	s_delay_alu instid0(VALU_DEP_2) | instskip(NEXT) | instid1(VALU_DEP_1)
	v_and_b32_e32 v46, 0x7f, v53
	v_cmpx_ne_u32_e32 0x7f, v46
	s_cbranch_execz .LBB228_2028
; %bb.2025:                             ;   in Loop: Header=BB228_1062 Depth=1
	v_dual_lshrrev_b32 v53, 3, v46 :: v_dual_bitop2_b32 v74, 7, v53 bitop3:0x40
	s_mov_b32 s16, exec_lo
	v_cmpx_gt_u32_e32 8, v46
; %bb.2026:                             ;   in Loop: Header=BB228_1062 Depth=1
	s_delay_alu instid0(VALU_DEP_2) | instskip(NEXT) | instid1(VALU_DEP_1)
	v_clz_i32_u32_e32 v10, v74
	v_min_u32_e32 v10, 32, v10
	s_delay_alu instid0(VALU_DEP_1) | instskip(NEXT) | instid1(VALU_DEP_1)
	v_subrev_nc_u32_e32 v53, 28, v10
	v_lshlrev_b64_e32 v[66:67], v53, v[74:75]
	v_sub_nc_u32_e32 v53, 29, v10
	s_delay_alu instid0(VALU_DEP_2)
	v_and_b32_e32 v74, 7, v66
; %bb.2027:                             ;   in Loop: Header=BB228_1062 Depth=1
	s_or_b32 exec_lo, exec_lo, s16
	s_delay_alu instid0(VALU_DEP_1) | instskip(NEXT) | instid1(VALU_DEP_3)
	v_dual_lshlrev_b32 v10, 16, v52 :: v_dual_lshlrev_b32 v66, 20, v74
	v_lshl_add_u32 v53, v53, 23, 0x3c000000
	s_delay_alu instid0(VALU_DEP_2) | instskip(NEXT) | instid1(VALU_DEP_1)
	v_and_b32_e32 v10, 0x80000000, v10
	v_or3_b32 v67, v66, v10, v53
	v_mov_b32_e32 v66, v75
.LBB228_2028:                           ;   in Loop: Header=BB228_1062 Depth=1
	s_or_b32 exec_lo, exec_lo, s9
.LBB228_2029:                           ;   in Loop: Header=BB228_1062 Depth=1
	s_delay_alu instid0(SALU_CYCLE_1)
	s_or_b32 exec_lo, exec_lo, s8
.LBB228_2030:                           ;   in Loop: Header=BB228_1062 Depth=1
	s_delay_alu instid0(SALU_CYCLE_1) | instskip(SKIP_4) | instid1(VALU_DEP_3)
	s_or_b32 exec_lo, exec_lo, s3
	v_lshrrev_b32_e32 v53, 16, v52
	v_mov_b64_e32 v[46:47], 0
	v_mov_b64_e32 v[56:57], 0
	s_mov_b32 s3, exec_lo
	v_and_b32_e32 v58, 0xff, v53
	s_delay_alu instid0(VALU_DEP_1)
	v_cmpx_ne_u16_e32 0, v58
	s_cbranch_execz .LBB228_2038
; %bb.2031:                             ;   in Loop: Header=BB228_1062 Depth=1
	v_mov_b64_e32 v[56:57], 0x80000000
	s_mov_b32 s8, exec_lo
	v_cmpx_ne_u16_e32 0x80, v58
	s_cbranch_execz .LBB228_2037
; %bb.2032:                             ;   in Loop: Header=BB228_1062 Depth=1
	v_mov_b64_e32 v[56:57], 0x7f800001
	v_bfe_u32 v58, v52, 16, 7
	s_mov_b32 s9, exec_lo
	s_delay_alu instid0(VALU_DEP_1)
	v_cmpx_ne_u32_e32 0x7f, v58
	s_cbranch_execz .LBB228_2036
; %bb.2033:                             ;   in Loop: Header=BB228_1062 Depth=1
	v_dual_lshrrev_b32 v56, 3, v58 :: v_dual_bitop2_b32 v74, 7, v53 bitop3:0x40
	s_mov_b32 s16, exec_lo
	v_cmpx_gt_u32_e32 8, v58
; %bb.2034:                             ;   in Loop: Header=BB228_1062 Depth=1
	s_delay_alu instid0(VALU_DEP_2) | instskip(NEXT) | instid1(VALU_DEP_1)
	v_clz_i32_u32_e32 v10, v74
	v_min_u32_e32 v10, 32, v10
	s_delay_alu instid0(VALU_DEP_1) | instskip(NEXT) | instid1(VALU_DEP_1)
	v_subrev_nc_u32_e32 v56, 28, v10
	v_lshlrev_b64_e32 v[58:59], v56, v[74:75]
	v_sub_nc_u32_e32 v56, 29, v10
	s_delay_alu instid0(VALU_DEP_2)
	v_and_b32_e32 v74, 7, v58
; %bb.2035:                             ;   in Loop: Header=BB228_1062 Depth=1
	s_or_b32 exec_lo, exec_lo, s16
	s_delay_alu instid0(VALU_DEP_1) | instskip(NEXT) | instid1(VALU_DEP_3)
	v_dual_lshlrev_b32 v10, 24, v53 :: v_dual_lshlrev_b32 v53, 20, v74
	v_lshl_add_u32 v56, v56, 23, 0x3c000000
	s_delay_alu instid0(VALU_DEP_2) | instskip(NEXT) | instid1(VALU_DEP_1)
	v_and_b32_e32 v10, 0x80000000, v10
	v_or3_b32 v74, v53, v10, v56
	s_delay_alu instid0(VALU_DEP_1)
	v_mov_b64_e32 v[56:57], v[74:75]
.LBB228_2036:                           ;   in Loop: Header=BB228_1062 Depth=1
	s_or_b32 exec_lo, exec_lo, s9
.LBB228_2037:                           ;   in Loop: Header=BB228_1062 Depth=1
	s_delay_alu instid0(SALU_CYCLE_1)
	s_or_b32 exec_lo, exec_lo, s8
.LBB228_2038:                           ;   in Loop: Header=BB228_1062 Depth=1
	s_delay_alu instid0(SALU_CYCLE_1) | instskip(NEXT) | instid1(SALU_CYCLE_1)
	s_or_b32 exec_lo, exec_lo, s3
	s_mov_b32 s3, exec_lo
	v_cmpx_lt_u32_e32 0xffffff, v52
	s_cbranch_execz .LBB228_2046
; %bb.2039:                             ;   in Loop: Header=BB228_1062 Depth=1
	v_mov_b64_e32 v[46:47], 0x8000000000000000
	v_lshrrev_b32_e32 v53, 24, v52
	s_mov_b32 s8, exec_lo
	s_delay_alu instid0(VALU_DEP_1)
	v_cmpx_ne_u32_e32 0x80, v53
	s_cbranch_execz .LBB228_2045
; %bb.2040:                             ;   in Loop: Header=BB228_1062 Depth=1
	v_mov_b64_e32 v[46:47], 0x7f80000100000000
	v_bfe_u32 v58, v52, 24, 7
	s_mov_b32 s9, exec_lo
	s_delay_alu instid0(VALU_DEP_1)
	v_cmpx_ne_u32_e32 0x7f, v58
	s_cbranch_execz .LBB228_2044
; %bb.2041:                             ;   in Loop: Header=BB228_1062 Depth=1
	v_dual_lshrrev_b32 v52, 3, v58 :: v_dual_bitop2_b32 v74, 7, v53 bitop3:0x40
	s_mov_b32 s16, exec_lo
	v_cmpx_gt_u32_e32 8, v58
; %bb.2042:                             ;   in Loop: Header=BB228_1062 Depth=1
	s_delay_alu instid0(VALU_DEP_2) | instskip(NEXT) | instid1(VALU_DEP_1)
	v_clz_i32_u32_e32 v10, v74
	v_min_u32_e32 v10, 32, v10
	s_delay_alu instid0(VALU_DEP_1) | instskip(NEXT) | instid1(VALU_DEP_1)
	v_subrev_nc_u32_e32 v52, 28, v10
	v_lshlrev_b64_e32 v[46:47], v52, v[74:75]
	v_sub_nc_u32_e32 v52, 29, v10
	s_delay_alu instid0(VALU_DEP_2)
	v_and_b32_e32 v74, 7, v46
; %bb.2043:                             ;   in Loop: Header=BB228_1062 Depth=1
	s_or_b32 exec_lo, exec_lo, s16
	s_delay_alu instid0(VALU_DEP_1) | instskip(NEXT) | instid1(VALU_DEP_3)
	v_dual_lshlrev_b32 v10, 24, v53 :: v_dual_lshlrev_b32 v53, 20, v74
	v_lshl_add_u32 v52, v52, 23, 0x3c000000
	v_mov_b32_e32 v46, v75
	s_delay_alu instid0(VALU_DEP_3) | instskip(NEXT) | instid1(VALU_DEP_1)
	v_and_b32_e32 v10, 0x80000000, v10
	v_or3_b32 v47, v53, v10, v52
.LBB228_2044:                           ;   in Loop: Header=BB228_1062 Depth=1
	s_or_b32 exec_lo, exec_lo, s9
.LBB228_2045:                           ;   in Loop: Header=BB228_1062 Depth=1
	s_delay_alu instid0(SALU_CYCLE_1)
	s_or_b32 exec_lo, exec_lo, s8
.LBB228_2046:                           ;   in Loop: Header=BB228_1062 Depth=1
	s_delay_alu instid0(SALU_CYCLE_1) | instskip(SKIP_4) | instid1(VALU_DEP_3)
	s_or_b32 exec_lo, exec_lo, s3
	v_or_b32_e32 v53, v67, v45
	v_or_b32_e32 v52, v66, v44
	;; [unrolled: 1-line block ×4, first 2 shown]
	v_pk_mul_f32 v[46:47], v[48:49], v[52:53]
	s_delay_alu instid0(VALU_DEP_2)
	v_pk_mul_f32 v[44:45], v[48:49], v[66:67]
	s_and_saveexec_b32 s3, vcc_lo
	s_cbranch_execz .LBB228_2048
; %bb.2047:                             ;   in Loop: Header=BB228_1062 Depth=1
	scratch_load_b64 v[52:53], off, s32 offset:200 ; 8-byte Folded Reload
	s_wait_loadcnt 0x0
	v_mov_b32_e32 v10, v52
	s_delay_alu instid0(VALU_DEP_1) | instskip(NEXT) | instid1(VALU_DEP_1)
	v_cmp_lt_i32_e64 s0, v11, v10
	v_cndmask_b32_e64 v46, 0, v46, s0
	v_cmp_lt_i32_e64 s0, v77, v10
	s_delay_alu instid0(VALU_DEP_1) | instskip(SKIP_1) | instid1(VALU_DEP_1)
	v_cndmask_b32_e64 v47, 0, v47, s0
	v_cmp_lt_i32_e64 s0, v73, v10
	v_cndmask_b32_e64 v44, 0, v44, s0
	v_cmp_lt_i32_e64 s0, v72, v10
	s_delay_alu instid0(VALU_DEP_1)
	v_cndmask_b32_e64 v45, 0, v45, s0
.LBB228_2048:                           ;   in Loop: Header=BB228_1062 Depth=1
	s_wait_xcnt 0x0
	s_or_b32 exec_lo, exec_lo, s3
	flat_load_b32 v52, v[96:97] offset:3712
	v_mov_b64_e32 v[66:67], 0
	v_mov_b64_e32 v[56:57], 0
	s_mov_b32 s3, exec_lo
	s_wait_loadcnt_dscnt 0x0
	v_and_b32_e32 v53, 0xff, v52
	s_wait_xcnt 0x0
	s_delay_alu instid0(VALU_DEP_1)
	v_cmpx_ne_u16_e32 0, v53
	s_cbranch_execz .LBB228_2056
; %bb.2049:                             ;   in Loop: Header=BB228_1062 Depth=1
	v_mov_b64_e32 v[56:57], 0x80000000
	s_mov_b32 s8, exec_lo
	v_cmpx_ne_u16_e32 0x80, v53
	s_cbranch_execz .LBB228_2055
; %bb.2050:                             ;   in Loop: Header=BB228_1062 Depth=1
	v_mov_b64_e32 v[56:57], 0x7f800001
	v_and_b32_e32 v58, 0x7f, v52
	s_mov_b32 s9, exec_lo
	s_delay_alu instid0(VALU_DEP_1)
	v_cmpx_ne_u32_e32 0x7f, v58
	s_cbranch_execz .LBB228_2054
; %bb.2051:                             ;   in Loop: Header=BB228_1062 Depth=1
	v_dual_lshrrev_b32 v53, 3, v58 :: v_dual_bitop2_b32 v74, 7, v52 bitop3:0x40
	s_mov_b32 s16, exec_lo
	v_cmpx_gt_u32_e32 8, v58
; %bb.2052:                             ;   in Loop: Header=BB228_1062 Depth=1
	s_delay_alu instid0(VALU_DEP_2) | instskip(NEXT) | instid1(VALU_DEP_1)
	v_clz_i32_u32_e32 v10, v74
	v_min_u32_e32 v10, 32, v10
	s_delay_alu instid0(VALU_DEP_1) | instskip(NEXT) | instid1(VALU_DEP_1)
	v_subrev_nc_u32_e32 v53, 28, v10
	v_lshlrev_b64_e32 v[56:57], v53, v[74:75]
	s_delay_alu instid0(VALU_DEP_1)
	v_dual_sub_nc_u32 v53, 29, v10 :: v_dual_bitop2_b32 v74, 7, v56 bitop3:0x40
; %bb.2053:                             ;   in Loop: Header=BB228_1062 Depth=1
	s_or_b32 exec_lo, exec_lo, s16
	s_delay_alu instid0(VALU_DEP_1) | instskip(NEXT) | instid1(VALU_DEP_2)
	v_dual_lshlrev_b32 v10, 24, v52 :: v_dual_lshlrev_b32 v56, 20, v74
	v_lshl_add_u32 v53, v53, 23, 0x3c000000
	s_delay_alu instid0(VALU_DEP_2) | instskip(NEXT) | instid1(VALU_DEP_1)
	v_and_b32_e32 v10, 0x80000000, v10
	v_or3_b32 v74, v56, v10, v53
	s_delay_alu instid0(VALU_DEP_1)
	v_mov_b64_e32 v[56:57], v[74:75]
.LBB228_2054:                           ;   in Loop: Header=BB228_1062 Depth=1
	s_or_b32 exec_lo, exec_lo, s9
.LBB228_2055:                           ;   in Loop: Header=BB228_1062 Depth=1
	s_delay_alu instid0(SALU_CYCLE_1)
	s_or_b32 exec_lo, exec_lo, s8
.LBB228_2056:                           ;   in Loop: Header=BB228_1062 Depth=1
	s_delay_alu instid0(SALU_CYCLE_1) | instskip(SKIP_2) | instid1(VALU_DEP_1)
	s_or_b32 exec_lo, exec_lo, s3
	v_lshrrev_b16 v53, 8, v52
	s_mov_b32 s3, exec_lo
	v_cmpx_ne_u16_e32 0, v53
	s_cbranch_execz .LBB228_2064
; %bb.2057:                             ;   in Loop: Header=BB228_1062 Depth=1
	v_mov_b64_e32 v[66:67], 0x8000000000000000
	s_mov_b32 s8, exec_lo
	v_cmpx_ne_u16_e32 0x80, v53
	s_cbranch_execz .LBB228_2063
; %bb.2058:                             ;   in Loop: Header=BB228_1062 Depth=1
	v_and_b32_e32 v53, 0xffff, v53
	v_mov_b64_e32 v[66:67], 0x7f80000100000000
	s_mov_b32 s9, exec_lo
	s_delay_alu instid0(VALU_DEP_2) | instskip(NEXT) | instid1(VALU_DEP_1)
	v_and_b32_e32 v58, 0x7f, v53
	v_cmpx_ne_u32_e32 0x7f, v58
	s_cbranch_execz .LBB228_2062
; %bb.2059:                             ;   in Loop: Header=BB228_1062 Depth=1
	v_dual_lshrrev_b32 v53, 3, v58 :: v_dual_bitop2_b32 v74, 7, v53 bitop3:0x40
	s_mov_b32 s16, exec_lo
	v_cmpx_gt_u32_e32 8, v58
; %bb.2060:                             ;   in Loop: Header=BB228_1062 Depth=1
	s_delay_alu instid0(VALU_DEP_2) | instskip(NEXT) | instid1(VALU_DEP_1)
	v_clz_i32_u32_e32 v10, v74
	v_min_u32_e32 v10, 32, v10
	s_delay_alu instid0(VALU_DEP_1) | instskip(NEXT) | instid1(VALU_DEP_1)
	v_subrev_nc_u32_e32 v53, 28, v10
	v_lshlrev_b64_e32 v[66:67], v53, v[74:75]
	v_sub_nc_u32_e32 v53, 29, v10
	s_delay_alu instid0(VALU_DEP_2)
	v_and_b32_e32 v74, 7, v66
; %bb.2061:                             ;   in Loop: Header=BB228_1062 Depth=1
	s_or_b32 exec_lo, exec_lo, s16
	s_delay_alu instid0(VALU_DEP_1) | instskip(NEXT) | instid1(VALU_DEP_3)
	v_dual_lshlrev_b32 v10, 16, v52 :: v_dual_lshlrev_b32 v66, 20, v74
	v_lshl_add_u32 v53, v53, 23, 0x3c000000
	s_delay_alu instid0(VALU_DEP_2) | instskip(NEXT) | instid1(VALU_DEP_1)
	v_and_b32_e32 v10, 0x80000000, v10
	v_or3_b32 v67, v66, v10, v53
	v_mov_b32_e32 v66, v75
.LBB228_2062:                           ;   in Loop: Header=BB228_1062 Depth=1
	s_or_b32 exec_lo, exec_lo, s9
.LBB228_2063:                           ;   in Loop: Header=BB228_1062 Depth=1
	s_delay_alu instid0(SALU_CYCLE_1)
	s_or_b32 exec_lo, exec_lo, s8
.LBB228_2064:                           ;   in Loop: Header=BB228_1062 Depth=1
	s_delay_alu instid0(SALU_CYCLE_1) | instskip(SKIP_4) | instid1(VALU_DEP_3)
	s_or_b32 exec_lo, exec_lo, s3
	v_lshrrev_b32_e32 v53, 16, v52
	v_mov_b64_e32 v[58:59], 0
	v_mov_b64_e32 v[60:61], 0
	s_mov_b32 s3, exec_lo
	v_and_b32_e32 v62, 0xff, v53
	s_delay_alu instid0(VALU_DEP_1)
	v_cmpx_ne_u16_e32 0, v62
	s_cbranch_execz .LBB228_2072
; %bb.2065:                             ;   in Loop: Header=BB228_1062 Depth=1
	v_mov_b64_e32 v[60:61], 0x80000000
	s_mov_b32 s8, exec_lo
	v_cmpx_ne_u16_e32 0x80, v62
	s_cbranch_execz .LBB228_2071
; %bb.2066:                             ;   in Loop: Header=BB228_1062 Depth=1
	v_mov_b64_e32 v[60:61], 0x7f800001
	v_bfe_u32 v62, v52, 16, 7
	s_mov_b32 s9, exec_lo
	s_delay_alu instid0(VALU_DEP_1)
	v_cmpx_ne_u32_e32 0x7f, v62
	s_cbranch_execz .LBB228_2070
; %bb.2067:                             ;   in Loop: Header=BB228_1062 Depth=1
	v_dual_lshrrev_b32 v60, 3, v62 :: v_dual_bitop2_b32 v74, 7, v53 bitop3:0x40
	s_mov_b32 s16, exec_lo
	v_cmpx_gt_u32_e32 8, v62
; %bb.2068:                             ;   in Loop: Header=BB228_1062 Depth=1
	s_delay_alu instid0(VALU_DEP_2) | instskip(NEXT) | instid1(VALU_DEP_1)
	v_clz_i32_u32_e32 v10, v74
	v_min_u32_e32 v10, 32, v10
	s_delay_alu instid0(VALU_DEP_1) | instskip(NEXT) | instid1(VALU_DEP_1)
	v_subrev_nc_u32_e32 v60, 28, v10
	v_lshlrev_b64_e32 v[62:63], v60, v[74:75]
	v_sub_nc_u32_e32 v60, 29, v10
	s_delay_alu instid0(VALU_DEP_2)
	v_and_b32_e32 v74, 7, v62
; %bb.2069:                             ;   in Loop: Header=BB228_1062 Depth=1
	s_or_b32 exec_lo, exec_lo, s16
	s_delay_alu instid0(VALU_DEP_1) | instskip(NEXT) | instid1(VALU_DEP_3)
	v_dual_lshlrev_b32 v10, 24, v53 :: v_dual_lshlrev_b32 v53, 20, v74
	v_lshl_add_u32 v60, v60, 23, 0x3c000000
	s_delay_alu instid0(VALU_DEP_2) | instskip(NEXT) | instid1(VALU_DEP_1)
	v_and_b32_e32 v10, 0x80000000, v10
	v_or3_b32 v74, v53, v10, v60
	s_delay_alu instid0(VALU_DEP_1)
	v_mov_b64_e32 v[60:61], v[74:75]
.LBB228_2070:                           ;   in Loop: Header=BB228_1062 Depth=1
	s_or_b32 exec_lo, exec_lo, s9
.LBB228_2071:                           ;   in Loop: Header=BB228_1062 Depth=1
	s_delay_alu instid0(SALU_CYCLE_1)
	s_or_b32 exec_lo, exec_lo, s8
.LBB228_2072:                           ;   in Loop: Header=BB228_1062 Depth=1
	s_delay_alu instid0(SALU_CYCLE_1) | instskip(NEXT) | instid1(SALU_CYCLE_1)
	s_or_b32 exec_lo, exec_lo, s3
	s_mov_b32 s3, exec_lo
	v_cmpx_lt_u32_e32 0xffffff, v52
	s_cbranch_execz .LBB228_2080
; %bb.2073:                             ;   in Loop: Header=BB228_1062 Depth=1
	v_mov_b64_e32 v[58:59], 0x8000000000000000
	v_lshrrev_b32_e32 v53, 24, v52
	s_mov_b32 s8, exec_lo
	s_delay_alu instid0(VALU_DEP_1)
	v_cmpx_ne_u32_e32 0x80, v53
	s_cbranch_execz .LBB228_2079
; %bb.2074:                             ;   in Loop: Header=BB228_1062 Depth=1
	v_mov_b64_e32 v[58:59], 0x7f80000100000000
	v_bfe_u32 v62, v52, 24, 7
	s_mov_b32 s9, exec_lo
	s_delay_alu instid0(VALU_DEP_1)
	v_cmpx_ne_u32_e32 0x7f, v62
	s_cbranch_execz .LBB228_2078
; %bb.2075:                             ;   in Loop: Header=BB228_1062 Depth=1
	v_dual_lshrrev_b32 v52, 3, v62 :: v_dual_bitop2_b32 v74, 7, v53 bitop3:0x40
	s_mov_b32 s16, exec_lo
	v_cmpx_gt_u32_e32 8, v62
; %bb.2076:                             ;   in Loop: Header=BB228_1062 Depth=1
	s_delay_alu instid0(VALU_DEP_2) | instskip(NEXT) | instid1(VALU_DEP_1)
	v_clz_i32_u32_e32 v10, v74
	v_min_u32_e32 v10, 32, v10
	s_delay_alu instid0(VALU_DEP_1) | instskip(NEXT) | instid1(VALU_DEP_1)
	v_subrev_nc_u32_e32 v52, 28, v10
	v_lshlrev_b64_e32 v[58:59], v52, v[74:75]
	v_sub_nc_u32_e32 v52, 29, v10
	s_delay_alu instid0(VALU_DEP_2)
	v_and_b32_e32 v74, 7, v58
; %bb.2077:                             ;   in Loop: Header=BB228_1062 Depth=1
	s_or_b32 exec_lo, exec_lo, s16
	s_delay_alu instid0(VALU_DEP_1) | instskip(NEXT) | instid1(VALU_DEP_3)
	v_dual_lshlrev_b32 v10, 24, v53 :: v_dual_lshlrev_b32 v53, 20, v74
	v_lshl_add_u32 v52, v52, 23, 0x3c000000
	v_mov_b32_e32 v58, v75
	s_delay_alu instid0(VALU_DEP_3) | instskip(NEXT) | instid1(VALU_DEP_1)
	v_and_b32_e32 v10, 0x80000000, v10
	v_or3_b32 v59, v53, v10, v52
.LBB228_2078:                           ;   in Loop: Header=BB228_1062 Depth=1
	s_or_b32 exec_lo, exec_lo, s9
.LBB228_2079:                           ;   in Loop: Header=BB228_1062 Depth=1
	s_delay_alu instid0(SALU_CYCLE_1)
	s_or_b32 exec_lo, exec_lo, s8
.LBB228_2080:                           ;   in Loop: Header=BB228_1062 Depth=1
	s_delay_alu instid0(SALU_CYCLE_1) | instskip(SKIP_4) | instid1(VALU_DEP_3)
	s_or_b32 exec_lo, exec_lo, s3
	v_or_b32_e32 v53, v67, v57
	v_or_b32_e32 v52, v66, v56
	;; [unrolled: 1-line block ×4, first 2 shown]
	v_pk_mul_f32 v[66:67], v[48:49], v[52:53]
	s_delay_alu instid0(VALU_DEP_2)
	v_pk_mul_f32 v[56:57], v[48:49], v[56:57]
	s_and_saveexec_b32 s3, vcc_lo
	s_cbranch_execz .LBB228_2082
; %bb.2081:                             ;   in Loop: Header=BB228_1062 Depth=1
	scratch_load_b64 v[52:53], off, s32 offset:200 ; 8-byte Folded Reload
	s_wait_loadcnt 0x0
	v_mov_b32_e32 v10, v52
	s_delay_alu instid0(VALU_DEP_1) | instskip(NEXT) | instid1(VALU_DEP_1)
	v_cmp_lt_i32_e64 s0, v11, v10
	v_cndmask_b32_e64 v66, 0, v66, s0
	v_cmp_lt_i32_e64 s0, v77, v10
	s_delay_alu instid0(VALU_DEP_1) | instskip(SKIP_1) | instid1(VALU_DEP_1)
	v_cndmask_b32_e64 v67, 0, v67, s0
	v_cmp_lt_i32_e64 s0, v73, v10
	v_cndmask_b32_e64 v56, 0, v56, s0
	v_cmp_lt_i32_e64 s0, v72, v10
	s_delay_alu instid0(VALU_DEP_1)
	v_cndmask_b32_e64 v57, 0, v57, s0
.LBB228_2082:                           ;   in Loop: Header=BB228_1062 Depth=1
	s_wait_xcnt 0x0
	s_or_b32 exec_lo, exec_lo, s3
	flat_load_b32 v52, v[96:97] offset:3840
	s_wait_xcnt 0x0
	v_mov_b64_e32 v[96:97], 0
	v_mov_b64_e32 v[58:59], 0
	s_mov_b32 s3, exec_lo
	s_wait_loadcnt_dscnt 0x0
	v_and_b32_e32 v53, 0xff, v52
	s_delay_alu instid0(VALU_DEP_1)
	v_cmpx_ne_u16_e32 0, v53
	s_cbranch_execz .LBB228_2090
; %bb.2083:                             ;   in Loop: Header=BB228_1062 Depth=1
	v_mov_b64_e32 v[58:59], 0x80000000
	s_mov_b32 s8, exec_lo
	v_cmpx_ne_u16_e32 0x80, v53
	s_cbranch_execz .LBB228_2089
; %bb.2084:                             ;   in Loop: Header=BB228_1062 Depth=1
	v_mov_b64_e32 v[58:59], 0x7f800001
	v_and_b32_e32 v60, 0x7f, v52
	s_mov_b32 s9, exec_lo
	s_delay_alu instid0(VALU_DEP_1)
	v_cmpx_ne_u32_e32 0x7f, v60
	s_cbranch_execz .LBB228_2088
; %bb.2085:                             ;   in Loop: Header=BB228_1062 Depth=1
	v_and_b32_e32 v74, 7, v52
	v_lshrrev_b32_e32 v53, 3, v60
	s_mov_b32 s16, exec_lo
	v_cmpx_gt_u32_e32 8, v60
; %bb.2086:                             ;   in Loop: Header=BB228_1062 Depth=1
	s_delay_alu instid0(VALU_DEP_3) | instskip(NEXT) | instid1(VALU_DEP_1)
	v_clz_i32_u32_e32 v10, v74
	v_min_u32_e32 v10, 32, v10
	s_delay_alu instid0(VALU_DEP_1) | instskip(NEXT) | instid1(VALU_DEP_1)
	v_subrev_nc_u32_e32 v53, 28, v10
	v_lshlrev_b64_e32 v[58:59], v53, v[74:75]
	v_sub_nc_u32_e32 v53, 29, v10
	s_delay_alu instid0(VALU_DEP_2)
	v_and_b32_e32 v74, 7, v58
; %bb.2087:                             ;   in Loop: Header=BB228_1062 Depth=1
	s_or_b32 exec_lo, exec_lo, s16
	s_delay_alu instid0(VALU_DEP_1) | instskip(NEXT) | instid1(VALU_DEP_3)
	v_dual_lshlrev_b32 v10, 24, v52 :: v_dual_lshlrev_b32 v58, 20, v74
	v_lshl_add_u32 v53, v53, 23, 0x3c000000
	s_delay_alu instid0(VALU_DEP_2) | instskip(NEXT) | instid1(VALU_DEP_1)
	v_and_b32_e32 v10, 0x80000000, v10
	v_or3_b32 v74, v58, v10, v53
	s_delay_alu instid0(VALU_DEP_1)
	v_mov_b64_e32 v[58:59], v[74:75]
.LBB228_2088:                           ;   in Loop: Header=BB228_1062 Depth=1
	s_or_b32 exec_lo, exec_lo, s9
.LBB228_2089:                           ;   in Loop: Header=BB228_1062 Depth=1
	s_delay_alu instid0(SALU_CYCLE_1)
	s_or_b32 exec_lo, exec_lo, s8
.LBB228_2090:                           ;   in Loop: Header=BB228_1062 Depth=1
	s_delay_alu instid0(SALU_CYCLE_1) | instskip(SKIP_2) | instid1(VALU_DEP_1)
	s_or_b32 exec_lo, exec_lo, s3
	v_lshrrev_b16 v53, 8, v52
	s_mov_b32 s3, exec_lo
	v_cmpx_ne_u16_e32 0, v53
	s_cbranch_execz .LBB228_2098
; %bb.2091:                             ;   in Loop: Header=BB228_1062 Depth=1
	v_mov_b64_e32 v[96:97], 0x8000000000000000
	s_mov_b32 s8, exec_lo
	v_cmpx_ne_u16_e32 0x80, v53
	s_cbranch_execz .LBB228_2097
; %bb.2092:                             ;   in Loop: Header=BB228_1062 Depth=1
	v_and_b32_e32 v53, 0xffff, v53
	v_mov_b64_e32 v[96:97], 0x7f80000100000000
	s_mov_b32 s9, exec_lo
	s_delay_alu instid0(VALU_DEP_2) | instskip(NEXT) | instid1(VALU_DEP_1)
	v_and_b32_e32 v60, 0x7f, v53
	v_cmpx_ne_u32_e32 0x7f, v60
	s_cbranch_execz .LBB228_2096
; %bb.2093:                             ;   in Loop: Header=BB228_1062 Depth=1
	v_dual_lshrrev_b32 v53, 3, v60 :: v_dual_bitop2_b32 v74, 7, v53 bitop3:0x40
	s_mov_b32 s16, exec_lo
	v_cmpx_gt_u32_e32 8, v60
; %bb.2094:                             ;   in Loop: Header=BB228_1062 Depth=1
	s_delay_alu instid0(VALU_DEP_2) | instskip(NEXT) | instid1(VALU_DEP_1)
	v_clz_i32_u32_e32 v10, v74
	v_min_u32_e32 v10, 32, v10
	s_delay_alu instid0(VALU_DEP_1) | instskip(NEXT) | instid1(VALU_DEP_1)
	v_subrev_nc_u32_e32 v53, 28, v10
	v_lshlrev_b64_e32 v[96:97], v53, v[74:75]
	s_delay_alu instid0(VALU_DEP_1)
	v_dual_sub_nc_u32 v53, 29, v10 :: v_dual_bitop2_b32 v74, 7, v96 bitop3:0x40
; %bb.2095:                             ;   in Loop: Header=BB228_1062 Depth=1
	s_or_b32 exec_lo, exec_lo, s16
	s_delay_alu instid0(VALU_DEP_1) | instskip(NEXT) | instid1(VALU_DEP_2)
	v_dual_lshlrev_b32 v10, 16, v52 :: v_dual_lshlrev_b32 v96, 20, v74
	v_lshl_add_u32 v53, v53, 23, 0x3c000000
	s_delay_alu instid0(VALU_DEP_2) | instskip(NEXT) | instid1(VALU_DEP_1)
	v_and_b32_e32 v10, 0x80000000, v10
	v_or3_b32 v97, v96, v10, v53
	v_mov_b32_e32 v96, v75
.LBB228_2096:                           ;   in Loop: Header=BB228_1062 Depth=1
	s_or_b32 exec_lo, exec_lo, s9
.LBB228_2097:                           ;   in Loop: Header=BB228_1062 Depth=1
	s_delay_alu instid0(SALU_CYCLE_1)
	s_or_b32 exec_lo, exec_lo, s8
.LBB228_2098:                           ;   in Loop: Header=BB228_1062 Depth=1
	s_delay_alu instid0(SALU_CYCLE_1) | instskip(SKIP_4) | instid1(VALU_DEP_3)
	s_or_b32 exec_lo, exec_lo, s3
	v_lshrrev_b32_e32 v53, 16, v52
	v_mov_b64_e32 v[60:61], 0
	v_mov_b64_e32 v[62:63], 0
	s_mov_b32 s3, exec_lo
	v_and_b32_e32 v74, 0xff, v53
	s_delay_alu instid0(VALU_DEP_1)
	v_cmpx_ne_u16_e32 0, v74
	s_cbranch_execz .LBB228_2106
; %bb.2099:                             ;   in Loop: Header=BB228_1062 Depth=1
	v_mov_b64_e32 v[62:63], 0x80000000
	s_mov_b32 s8, exec_lo
	v_cmpx_ne_u16_e32 0x80, v74
	s_cbranch_execz .LBB228_2105
; %bb.2100:                             ;   in Loop: Header=BB228_1062 Depth=1
	v_mov_b64_e32 v[62:63], 0x7f800001
	v_bfe_u32 v76, v52, 16, 7
	s_mov_b32 s9, exec_lo
	s_delay_alu instid0(VALU_DEP_1)
	v_cmpx_ne_u32_e32 0x7f, v76
	s_cbranch_execz .LBB228_2104
; %bb.2101:                             ;   in Loop: Header=BB228_1062 Depth=1
	v_dual_lshrrev_b32 v62, 3, v76 :: v_dual_bitop2_b32 v74, 7, v53 bitop3:0x40
	s_mov_b32 s16, exec_lo
	v_cmpx_gt_u32_e32 8, v76
; %bb.2102:                             ;   in Loop: Header=BB228_1062 Depth=1
	s_delay_alu instid0(VALU_DEP_2) | instskip(NEXT) | instid1(VALU_DEP_1)
	v_clz_i32_u32_e32 v10, v74
	v_min_u32_e32 v10, 32, v10
	s_delay_alu instid0(VALU_DEP_1) | instskip(NEXT) | instid1(VALU_DEP_1)
	v_subrev_nc_u32_e32 v62, 28, v10
	v_lshlrev_b64_e32 v[78:79], v62, v[74:75]
	v_sub_nc_u32_e32 v62, 29, v10
	s_delay_alu instid0(VALU_DEP_2)
	v_and_b32_e32 v74, 7, v78
; %bb.2103:                             ;   in Loop: Header=BB228_1062 Depth=1
	s_or_b32 exec_lo, exec_lo, s16
	s_delay_alu instid0(VALU_DEP_1) | instskip(NEXT) | instid1(VALU_DEP_3)
	v_dual_lshlrev_b32 v10, 24, v53 :: v_dual_lshlrev_b32 v53, 20, v74
	v_lshl_add_u32 v62, v62, 23, 0x3c000000
	s_delay_alu instid0(VALU_DEP_2) | instskip(NEXT) | instid1(VALU_DEP_1)
	v_and_b32_e32 v10, 0x80000000, v10
	v_or3_b32 v74, v53, v10, v62
	s_delay_alu instid0(VALU_DEP_1)
	v_mov_b64_e32 v[62:63], v[74:75]
.LBB228_2104:                           ;   in Loop: Header=BB228_1062 Depth=1
	s_or_b32 exec_lo, exec_lo, s9
.LBB228_2105:                           ;   in Loop: Header=BB228_1062 Depth=1
	s_delay_alu instid0(SALU_CYCLE_1)
	s_or_b32 exec_lo, exec_lo, s8
.LBB228_2106:                           ;   in Loop: Header=BB228_1062 Depth=1
	s_delay_alu instid0(SALU_CYCLE_1) | instskip(NEXT) | instid1(SALU_CYCLE_1)
	s_or_b32 exec_lo, exec_lo, s3
	s_mov_b32 s3, exec_lo
	v_cmpx_lt_u32_e32 0xffffff, v52
	s_cbranch_execz .LBB228_2114
; %bb.2107:                             ;   in Loop: Header=BB228_1062 Depth=1
	v_mov_b64_e32 v[60:61], 0x8000000000000000
	v_lshrrev_b32_e32 v53, 24, v52
	s_mov_b32 s8, exec_lo
	s_delay_alu instid0(VALU_DEP_1)
	v_cmpx_ne_u32_e32 0x80, v53
	s_cbranch_execz .LBB228_2113
; %bb.2108:                             ;   in Loop: Header=BB228_1062 Depth=1
	v_mov_b64_e32 v[60:61], 0x7f80000100000000
	v_bfe_u32 v76, v52, 24, 7
	s_mov_b32 s9, exec_lo
	s_delay_alu instid0(VALU_DEP_1)
	v_cmpx_ne_u32_e32 0x7f, v76
	s_cbranch_execz .LBB228_2112
; %bb.2109:                             ;   in Loop: Header=BB228_1062 Depth=1
	v_dual_lshrrev_b32 v52, 3, v76 :: v_dual_bitop2_b32 v74, 7, v53 bitop3:0x40
	s_mov_b32 s16, exec_lo
	v_cmpx_gt_u32_e32 8, v76
; %bb.2110:                             ;   in Loop: Header=BB228_1062 Depth=1
	s_delay_alu instid0(VALU_DEP_2) | instskip(NEXT) | instid1(VALU_DEP_1)
	v_clz_i32_u32_e32 v10, v74
	v_min_u32_e32 v10, 32, v10
	s_delay_alu instid0(VALU_DEP_1) | instskip(NEXT) | instid1(VALU_DEP_1)
	v_subrev_nc_u32_e32 v52, 28, v10
	v_lshlrev_b64_e32 v[60:61], v52, v[74:75]
	s_delay_alu instid0(VALU_DEP_1)
	v_dual_sub_nc_u32 v52, 29, v10 :: v_dual_bitop2_b32 v74, 7, v60 bitop3:0x40
; %bb.2111:                             ;   in Loop: Header=BB228_1062 Depth=1
	s_or_b32 exec_lo, exec_lo, s16
	s_delay_alu instid0(VALU_DEP_1) | instskip(NEXT) | instid1(VALU_DEP_2)
	v_dual_lshlrev_b32 v10, 24, v53 :: v_dual_lshlrev_b32 v53, 20, v74
	v_lshl_add_u32 v52, v52, 23, 0x3c000000
	v_mov_b32_e32 v60, v75
	s_delay_alu instid0(VALU_DEP_3) | instskip(NEXT) | instid1(VALU_DEP_1)
	v_and_b32_e32 v10, 0x80000000, v10
	v_or3_b32 v61, v53, v10, v52
.LBB228_2112:                           ;   in Loop: Header=BB228_1062 Depth=1
	s_or_b32 exec_lo, exec_lo, s9
.LBB228_2113:                           ;   in Loop: Header=BB228_1062 Depth=1
	s_delay_alu instid0(SALU_CYCLE_1)
	s_or_b32 exec_lo, exec_lo, s8
.LBB228_2114:                           ;   in Loop: Header=BB228_1062 Depth=1
	s_delay_alu instid0(SALU_CYCLE_1) | instskip(SKIP_4) | instid1(VALU_DEP_3)
	s_or_b32 exec_lo, exec_lo, s3
	v_or_b32_e32 v53, v97, v59
	v_or_b32_e32 v52, v96, v58
	;; [unrolled: 1-line block ×4, first 2 shown]
	v_pk_mul_f32 v[58:59], v[48:49], v[52:53]
	s_delay_alu instid0(VALU_DEP_2)
	v_pk_mul_f32 v[96:97], v[48:49], v[96:97]
	s_and_saveexec_b32 s3, vcc_lo
	s_cbranch_execz .LBB228_2116
; %bb.2115:                             ;   in Loop: Header=BB228_1062 Depth=1
	scratch_load_b64 v[52:53], off, s32 offset:200 ; 8-byte Folded Reload
	s_wait_loadcnt 0x0
	v_mov_b32_e32 v10, v52
	s_delay_alu instid0(VALU_DEP_1) | instskip(NEXT) | instid1(VALU_DEP_1)
	v_cmp_lt_i32_e64 s0, v11, v10
	v_cndmask_b32_e64 v58, 0, v58, s0
	v_cmp_lt_i32_e64 s0, v77, v10
	s_delay_alu instid0(VALU_DEP_1) | instskip(SKIP_1) | instid1(VALU_DEP_1)
	v_cndmask_b32_e64 v59, 0, v59, s0
	v_cmp_lt_i32_e64 s0, v73, v10
	v_cndmask_b32_e64 v96, 0, v96, s0
	v_cmp_lt_i32_e64 s0, v72, v10
	s_delay_alu instid0(VALU_DEP_1)
	v_cndmask_b32_e64 v97, 0, v97, s0
.LBB228_2116:                           ;   in Loop: Header=BB228_1062 Depth=1
	s_wait_xcnt 0x0
	s_or_b32 exec_lo, exec_lo, s3
	scratch_load_b64 v[52:53], off, s32 offset:444 ; 8-byte Folded Reload
	v_mov_b64_e32 v[60:61], 0
	v_mov_b64_e32 v[62:63], 0
	s_mov_b32 s3, exec_lo
	s_wait_loadcnt 0x0
	v_add_nc_u64_e32 v[52:53], v[88:89], v[52:53]
	flat_load_b32 v76, v[52:53]
	s_wait_loadcnt_dscnt 0x0
	v_and_b32_e32 v52, 0xff, v76
	s_delay_alu instid0(VALU_DEP_1)
	v_cmpx_ne_u16_e32 0, v52
	s_cbranch_execz .LBB228_2124
; %bb.2117:                             ;   in Loop: Header=BB228_1062 Depth=1
	v_mov_b64_e32 v[62:63], 0x80000000
	s_mov_b32 s8, exec_lo
	v_cmpx_ne_u16_e32 0x80, v52
	s_cbranch_execz .LBB228_2123
; %bb.2118:                             ;   in Loop: Header=BB228_1062 Depth=1
	v_mov_b64_e32 v[62:63], 0x7f800001
	v_and_b32_e32 v53, 0x7f, v76
	s_mov_b32 s9, exec_lo
	s_delay_alu instid0(VALU_DEP_1)
	v_cmpx_ne_u32_e32 0x7f, v53
	s_cbranch_execz .LBB228_2122
; %bb.2119:                             ;   in Loop: Header=BB228_1062 Depth=1
	v_dual_lshrrev_b32 v52, 3, v53 :: v_dual_bitop2_b32 v74, 7, v76 bitop3:0x40
	s_mov_b32 s16, exec_lo
	v_cmpx_gt_u32_e32 8, v53
; %bb.2120:                             ;   in Loop: Header=BB228_1062 Depth=1
	s_delay_alu instid0(VALU_DEP_2) | instskip(NEXT) | instid1(VALU_DEP_1)
	v_clz_i32_u32_e32 v10, v74
	v_min_u32_e32 v10, 32, v10
	s_delay_alu instid0(VALU_DEP_1) | instskip(NEXT) | instid1(VALU_DEP_1)
	v_subrev_nc_u32_e32 v52, 28, v10
	v_lshlrev_b64_e32 v[62:63], v52, v[74:75]
	v_sub_nc_u32_e32 v52, 29, v10
	s_delay_alu instid0(VALU_DEP_2)
	v_and_b32_e32 v74, 7, v62
; %bb.2121:                             ;   in Loop: Header=BB228_1062 Depth=1
	s_or_b32 exec_lo, exec_lo, s16
	s_delay_alu instid0(VALU_DEP_1) | instskip(NEXT) | instid1(VALU_DEP_3)
	v_dual_lshlrev_b32 v10, 24, v76 :: v_dual_lshlrev_b32 v53, 20, v74
	v_lshl_add_u32 v52, v52, 23, 0x3c000000
	s_delay_alu instid0(VALU_DEP_2) | instskip(NEXT) | instid1(VALU_DEP_1)
	v_and_b32_e32 v10, 0x80000000, v10
	v_or3_b32 v74, v53, v10, v52
	s_delay_alu instid0(VALU_DEP_1)
	v_mov_b64_e32 v[62:63], v[74:75]
.LBB228_2122:                           ;   in Loop: Header=BB228_1062 Depth=1
	s_or_b32 exec_lo, exec_lo, s9
.LBB228_2123:                           ;   in Loop: Header=BB228_1062 Depth=1
	s_delay_alu instid0(SALU_CYCLE_1)
	s_or_b32 exec_lo, exec_lo, s8
.LBB228_2124:                           ;   in Loop: Header=BB228_1062 Depth=1
	s_delay_alu instid0(SALU_CYCLE_1) | instskip(SKIP_2) | instid1(VALU_DEP_1)
	s_or_b32 exec_lo, exec_lo, s3
	v_lshrrev_b16 v52, 8, v76
	s_mov_b32 s3, exec_lo
	v_cmpx_ne_u16_e32 0, v52
	s_cbranch_execz .LBB228_2132
; %bb.2125:                             ;   in Loop: Header=BB228_1062 Depth=1
	v_mov_b64_e32 v[60:61], 0x8000000000000000
	s_mov_b32 s8, exec_lo
	v_cmpx_ne_u16_e32 0x80, v52
	s_cbranch_execz .LBB228_2131
; %bb.2126:                             ;   in Loop: Header=BB228_1062 Depth=1
	v_and_b32_e32 v52, 0xffff, v52
	v_mov_b64_e32 v[60:61], 0x7f80000100000000
	s_mov_b32 s9, exec_lo
	s_delay_alu instid0(VALU_DEP_2) | instskip(NEXT) | instid1(VALU_DEP_1)
	v_and_b32_e32 v53, 0x7f, v52
	v_cmpx_ne_u32_e32 0x7f, v53
	s_cbranch_execz .LBB228_2130
; %bb.2127:                             ;   in Loop: Header=BB228_1062 Depth=1
	v_dual_lshrrev_b32 v52, 3, v53 :: v_dual_bitop2_b32 v74, 7, v52 bitop3:0x40
	s_mov_b32 s16, exec_lo
	v_cmpx_gt_u32_e32 8, v53
; %bb.2128:                             ;   in Loop: Header=BB228_1062 Depth=1
	s_delay_alu instid0(VALU_DEP_2) | instskip(NEXT) | instid1(VALU_DEP_1)
	v_clz_i32_u32_e32 v10, v74
	v_min_u32_e32 v10, 32, v10
	s_delay_alu instid0(VALU_DEP_1) | instskip(NEXT) | instid1(VALU_DEP_1)
	v_subrev_nc_u32_e32 v52, 28, v10
	v_lshlrev_b64_e32 v[60:61], v52, v[74:75]
	s_delay_alu instid0(VALU_DEP_1)
	v_dual_sub_nc_u32 v52, 29, v10 :: v_dual_bitop2_b32 v74, 7, v60 bitop3:0x40
; %bb.2129:                             ;   in Loop: Header=BB228_1062 Depth=1
	s_or_b32 exec_lo, exec_lo, s16
	s_delay_alu instid0(VALU_DEP_1) | instskip(NEXT) | instid1(VALU_DEP_2)
	v_dual_lshlrev_b32 v10, 16, v76 :: v_dual_lshlrev_b32 v53, 20, v74
	v_lshl_add_u32 v52, v52, 23, 0x3c000000
	v_mov_b32_e32 v60, v75
	s_delay_alu instid0(VALU_DEP_3) | instskip(NEXT) | instid1(VALU_DEP_1)
	v_and_b32_e32 v10, 0x80000000, v10
	v_or3_b32 v61, v53, v10, v52
.LBB228_2130:                           ;   in Loop: Header=BB228_1062 Depth=1
	s_or_b32 exec_lo, exec_lo, s9
.LBB228_2131:                           ;   in Loop: Header=BB228_1062 Depth=1
	s_delay_alu instid0(SALU_CYCLE_1)
	s_or_b32 exec_lo, exec_lo, s8
.LBB228_2132:                           ;   in Loop: Header=BB228_1062 Depth=1
	s_delay_alu instid0(SALU_CYCLE_1) | instskip(SKIP_4) | instid1(VALU_DEP_3)
	s_or_b32 exec_lo, exec_lo, s3
	v_lshrrev_b32_e32 v78, 16, v76
	v_mov_b64_e32 v[72:73], 0
	v_mov_b64_e32 v[52:53], 0
	s_mov_b32 s3, exec_lo
	v_and_b32_e32 v74, 0xff, v78
	s_delay_alu instid0(VALU_DEP_1)
	v_cmpx_ne_u16_e32 0, v74
	s_cbranch_execz .LBB228_2140
; %bb.2133:                             ;   in Loop: Header=BB228_1062 Depth=1
	v_mov_b64_e32 v[52:53], 0x80000000
	s_mov_b32 s8, exec_lo
	v_cmpx_ne_u16_e32 0x80, v74
	s_cbranch_execz .LBB228_2139
; %bb.2134:                             ;   in Loop: Header=BB228_1062 Depth=1
	v_mov_b64_e32 v[52:53], 0x7f800001
	v_bfe_u32 v79, v76, 16, 7
	s_mov_b32 s9, exec_lo
	s_delay_alu instid0(VALU_DEP_1)
	v_cmpx_ne_u32_e32 0x7f, v79
	s_cbranch_execz .LBB228_2138
; %bb.2135:                             ;   in Loop: Header=BB228_1062 Depth=1
	v_dual_lshrrev_b32 v52, 3, v79 :: v_dual_bitop2_b32 v74, 7, v78 bitop3:0x40
	s_mov_b32 s16, exec_lo
	v_cmpx_gt_u32_e32 8, v79
; %bb.2136:                             ;   in Loop: Header=BB228_1062 Depth=1
	s_delay_alu instid0(VALU_DEP_2) | instskip(NEXT) | instid1(VALU_DEP_1)
	v_clz_i32_u32_e32 v10, v74
	v_min_u32_e32 v10, 32, v10
	s_delay_alu instid0(VALU_DEP_1) | instskip(NEXT) | instid1(VALU_DEP_1)
	v_subrev_nc_u32_e32 v52, 28, v10
	v_lshlrev_b64_e32 v[88:89], v52, v[74:75]
	s_delay_alu instid0(VALU_DEP_1)
	v_dual_sub_nc_u32 v52, 29, v10 :: v_dual_bitop2_b32 v74, 7, v88 bitop3:0x40
; %bb.2137:                             ;   in Loop: Header=BB228_1062 Depth=1
	s_or_b32 exec_lo, exec_lo, s16
	v_lshlrev_b32_e32 v10, 24, v78
	s_delay_alu instid0(VALU_DEP_2) | instskip(NEXT) | instid1(VALU_DEP_3)
	v_lshlrev_b32_e32 v53, 20, v74
	v_lshl_add_u32 v52, v52, 23, 0x3c000000
	s_delay_alu instid0(VALU_DEP_3) | instskip(NEXT) | instid1(VALU_DEP_1)
	v_and_b32_e32 v10, 0x80000000, v10
	v_or3_b32 v74, v53, v10, v52
	s_delay_alu instid0(VALU_DEP_1)
	v_mov_b64_e32 v[52:53], v[74:75]
.LBB228_2138:                           ;   in Loop: Header=BB228_1062 Depth=1
	s_or_b32 exec_lo, exec_lo, s9
.LBB228_2139:                           ;   in Loop: Header=BB228_1062 Depth=1
	s_delay_alu instid0(SALU_CYCLE_1)
	s_or_b32 exec_lo, exec_lo, s8
.LBB228_2140:                           ;   in Loop: Header=BB228_1062 Depth=1
	s_delay_alu instid0(SALU_CYCLE_1) | instskip(NEXT) | instid1(SALU_CYCLE_1)
	s_or_b32 exec_lo, exec_lo, s3
	s_mov_b32 s3, exec_lo
	v_cmpx_lt_u32_e32 0xffffff, v76
	s_cbranch_execz .LBB228_2148
; %bb.2141:                             ;   in Loop: Header=BB228_1062 Depth=1
	v_mov_b64_e32 v[72:73], 0x8000000000000000
	v_lshrrev_b32_e32 v78, 24, v76
	s_mov_b32 s8, exec_lo
	s_delay_alu instid0(VALU_DEP_1)
	v_cmpx_ne_u32_e32 0x80, v78
	s_cbranch_execz .LBB228_2147
; %bb.2142:                             ;   in Loop: Header=BB228_1062 Depth=1
	v_mov_b64_e32 v[72:73], 0x7f80000100000000
	v_bfe_u32 v76, v76, 24, 7
	s_mov_b32 s9, exec_lo
	s_delay_alu instid0(VALU_DEP_1)
	v_cmpx_ne_u32_e32 0x7f, v76
	s_cbranch_execz .LBB228_2146
; %bb.2143:                             ;   in Loop: Header=BB228_1062 Depth=1
	v_dual_lshrrev_b32 v72, 3, v76 :: v_dual_bitop2_b32 v74, 7, v78 bitop3:0x40
	s_mov_b32 s16, exec_lo
	v_cmpx_gt_u32_e32 8, v76
; %bb.2144:                             ;   in Loop: Header=BB228_1062 Depth=1
	s_delay_alu instid0(VALU_DEP_2) | instskip(NEXT) | instid1(VALU_DEP_1)
	v_clz_i32_u32_e32 v10, v74
	v_min_u32_e32 v10, 32, v10
	s_delay_alu instid0(VALU_DEP_1) | instskip(NEXT) | instid1(VALU_DEP_1)
	v_subrev_nc_u32_e32 v72, 28, v10
	v_lshlrev_b64_e32 v[88:89], v72, v[74:75]
	s_delay_alu instid0(VALU_DEP_1)
	v_dual_sub_nc_u32 v72, 29, v10 :: v_dual_bitop2_b32 v74, 7, v88 bitop3:0x40
; %bb.2145:                             ;   in Loop: Header=BB228_1062 Depth=1
	s_or_b32 exec_lo, exec_lo, s16
	v_lshlrev_b32_e32 v10, 24, v78
	s_delay_alu instid0(VALU_DEP_2) | instskip(NEXT) | instid1(VALU_DEP_3)
	v_lshlrev_b32_e32 v73, 20, v74
	v_lshl_add_u32 v72, v72, 23, 0x3c000000
	s_delay_alu instid0(VALU_DEP_3) | instskip(NEXT) | instid1(VALU_DEP_1)
	v_and_b32_e32 v10, 0x80000000, v10
	v_or3_b32 v73, v73, v10, v72
	v_mov_b32_e32 v72, v75
.LBB228_2146:                           ;   in Loop: Header=BB228_1062 Depth=1
	s_or_b32 exec_lo, exec_lo, s9
.LBB228_2147:                           ;   in Loop: Header=BB228_1062 Depth=1
	s_delay_alu instid0(SALU_CYCLE_1)
	s_or_b32 exec_lo, exec_lo, s8
.LBB228_2148:                           ;   in Loop: Header=BB228_1062 Depth=1
	s_delay_alu instid0(SALU_CYCLE_1) | instskip(SKIP_4) | instid1(VALU_DEP_3)
	s_or_b32 exec_lo, exec_lo, s3
	v_or_b32_e32 v61, v61, v63
	v_or_b32_e32 v60, v60, v62
	;; [unrolled: 1-line block ×4, first 2 shown]
	v_pk_mul_f32 v[62:63], v[48:49], v[60:61]
	s_delay_alu instid0(VALU_DEP_2)
	v_pk_mul_f32 v[60:61], v[48:49], v[52:53]
	s_and_saveexec_b32 s3, vcc_lo
	s_cbranch_execz .LBB228_1061
; %bb.2149:                             ;   in Loop: Header=BB228_1062 Depth=1
	scratch_load_b64 v[52:53], off, s32 offset:200 ; 8-byte Folded Reload
	s_wait_loadcnt 0x0
	v_dual_mov_b32 v72, v52 :: v_dual_bitop2_b32 v10, 3, v11 bitop3:0x54
	scratch_load_b64 v[52:53], off, s32 offset:452 ; 8-byte Folded Reload
	s_wait_loadcnt 0x0
	v_cmp_lt_i32_e64 s0, v77, v53
	s_delay_alu instid0(VALU_DEP_1) | instskip(SKIP_3) | instid1(VALU_DEP_2)
	v_cndmask_b32_e64 v63, 0, v63, s0
	v_cmp_lt_i32_e32 vcc_lo, v11, v72
	v_cmp_lt_i32_e64 s0, v10, v53
	v_dual_cndmask_b32 v62, 0, v62, vcc_lo :: v_dual_bitop2_b32 v52, 2, v11 bitop3:0x54
	v_cndmask_b32_e64 v61, 0, v61, s0
	s_delay_alu instid0(VALU_DEP_2)
	v_cmp_lt_i32_e32 vcc_lo, v52, v72
	v_cndmask_b32_e32 v60, 0, v60, vcc_lo
	s_branch .LBB228_1061
.LBB228_2150:
	s_or_b32 exec_lo, exec_lo, s2
	s_clause 0x3
	scratch_load_b32 v49, off, s32 offset:460
	scratch_load_b32 v100, off, s32 offset:468
	;; [unrolled: 1-line block ×4, first 2 shown]
	v_mov_b64_e32 v[0:1], s[10:11]
.LBB228_2151:
	s_wait_xcnt 0x0
	s_or_b32 exec_lo, exec_lo, s1
	s_delay_alu instid0(VALU_DEP_1)
	v_lshl_add_u64 v[0:1], v[0:1], 2, s[6:7]
	s_wait_loadcnt 0x0
	s_wait_storecnt 0x0
	s_barrier_signal -1
	s_barrier_wait -1
	global_load_b32 v48, v[0:1], off
	s_wait_xcnt 0x0
	ds_bpermute_b32 v0, v85, v38
	ds_bpermute_b32 v1, v85, v39
	;; [unrolled: 1-line block ×12, first 2 shown]
	s_mov_b32 s0, exec_lo
	s_wait_dscnt 0xa
	v_pk_add_f32 v[0:1], v[38:39], v[0:1]
	ds_bpermute_b32 v38, v85, v30
	ds_bpermute_b32 v39, v85, v31
	s_wait_dscnt 0xa
	v_pk_add_f32 v[4:5], v[34:35], v[4:5]
	ds_bpermute_b32 v34, v85, v26
	ds_bpermute_b32 v50, v100, v0
	;; [unrolled: 1-line block ×4, first 2 shown]
	s_wait_dscnt 0xc
	v_pk_add_f32 v[10:11], v[32:33], v[10:11]
	ds_bpermute_b32 v32, v100, v4
	ds_bpermute_b32 v33, v100, v5
	s_wait_dscnt 0xc
	v_pk_add_f32 v[28:29], v[28:29], v[52:53]
	s_wait_dscnt 0xa
	v_pk_add_f32 v[8:9], v[8:9], v[82:83]
	;; [unrolled: 2-line block ×3, first 2 shown]
	ds_bpermute_b32 v52, v100, v28
	ds_bpermute_b32 v53, v100, v29
	;; [unrolled: 1-line block ×4, first 2 shown]
	s_wait_dscnt 0xa
	v_pk_add_f32 v[30:31], v[30:31], v[38:39]
	ds_bpermute_b32 v38, v100, v10
	ds_bpermute_b32 v39, v100, v11
	s_wait_dscnt 0x9
	v_pk_add_f32 v[0:1], v[0:1], v[50:51]
	ds_bpermute_b32 v50, v100, v30
	ds_bpermute_b32 v51, v100, v31
	;; [unrolled: 4-line block ×4, first 2 shown]
	ds_bpermute_b32 v33, v100, v27
	ds_bpermute_b32 v55, v49, v1
	s_wait_dscnt 0xc
	v_pk_add_f32 v[52:53], v[28:29], v[52:53]
	ds_bpermute_b32 v28, v85, v20
	ds_bpermute_b32 v29, v85, v21
	s_wait_dscnt 0xc
	v_pk_add_f32 v[2:3], v[2:3], v[36:37]
	ds_bpermute_b32 v64, v49, v4
	ds_bpermute_b32 v65, v49, v5
	ds_bpermute_b32 v70, v49, v52
	s_wait_dscnt 0xd
	v_pk_add_f32 v[10:11], v[10:11], v[38:39]
	ds_bpermute_b32 v38, v85, v22
	;; [unrolled: 5-line block ×3, first 2 shown]
	ds_bpermute_b32 v31, v85, v19
	s_wait_dscnt 0xe
	v_pk_add_f32 v[24:25], v[24:25], v[34:35]
	ds_bpermute_b32 v34, v85, v16
	ds_bpermute_b32 v35, v85, v17
	ds_bpermute_b32 v37, v49, v3
	s_wait_dscnt 0xe
	v_pk_add_f32 v[80:81], v[26:27], v[32:33]
	ds_bpermute_b32 v32, v85, v14
	ds_bpermute_b32 v33, v85, v15
	ds_bpermute_b32 v26, v100, v24
	s_wait_dscnt 0xe
	v_pk_add_f32 v[20:21], v[20:21], v[28:29]
	ds_bpermute_b32 v28, v85, v6
	ds_bpermute_b32 v29, v85, v7
	ds_bpermute_b32 v27, v100, v25
	ds_bpermute_b32 v66, v49, v10
	;; [unrolled: 1-line block ×4, first 2 shown]
	s_wait_dscnt 0xf
	v_pk_add_f32 v[22:23], v[22:23], v[38:39]
	ds_bpermute_b32 v38, v85, v12
	ds_bpermute_b32 v39, v85, v13
	;; [unrolled: 1-line block ×3, first 2 shown]
	s_wait_dscnt 0xf
	v_pk_add_f32 v[18:19], v[18:19], v[30:31]
	ds_bpermute_b32 v30, v100, v20
	ds_bpermute_b32 v31, v100, v21
	s_wait_dscnt 0xf
	v_pk_add_f32 v[16:17], v[16:17], v[34:35]
	ds_bpermute_b32 v86, v100, v22
	ds_bpermute_b32 v34, v100, v18
	ds_bpermute_b32 v35, v100, v19
	s_wait_dscnt 0xf
	v_pk_add_f32 v[14:15], v[14:15], v[32:33]
	ds_bpermute_b32 v32, v100, v8
	ds_bpermute_b32 v33, v100, v9
	;; [unrolled: 1-line block ×3, first 2 shown]
	s_wait_dscnt 0xf
	v_pk_add_f32 v[6:7], v[6:7], v[28:29]
	v_pk_add_f32 v[28:29], v[0:1], v[54:55]
	scratch_load_b32 v0, off, s32 offset:1488 ; 4-byte Folded Reload
	ds_bpermute_b32 v96, v100, v16
	ds_bpermute_b32 v97, v100, v17
	;; [unrolled: 1-line block ×4, first 2 shown]
	s_wait_dscnt 0xd
	v_pk_add_f32 v[12:13], v[12:13], v[38:39]
	v_pk_add_f32 v[38:39], v[24:25], v[26:27]
	ds_bpermute_b32 v24, v100, v14
	ds_bpermute_b32 v25, v100, v15
	s_wait_dscnt 0xc
	v_pk_add_f32 v[98:99], v[20:21], v[30:31]
	ds_bpermute_b32 v26, v100, v12
	ds_bpermute_b32 v27, v100, v13
	;; [unrolled: 1-line block ×3, first 2 shown]
	s_wait_dscnt 0xc
	v_pk_add_f32 v[34:35], v[18:19], v[34:35]
	ds_bpermute_b32 v21, v100, v7
	ds_bpermute_b32 v85, v49, v81
	s_wait_dscnt 0xc
	v_pk_add_f32 v[40:41], v[8:9], v[32:33]
	s_wait_dscnt 0xb
	v_pk_add_f32 v[86:87], v[22:23], v[86:87]
	ds_bpermute_b32 v112, v49, v34
	ds_bpermute_b32 v113, v49, v35
	;; [unrolled: 1-line block ×4, first 2 shown]
	s_wait_dscnt 0xd
	v_pk_add_f32 v[96:97], v[16:17], v[96:97]
	ds_bpermute_b32 v100, v49, v86
	ds_bpermute_b32 v101, v49, v87
	;; [unrolled: 1-line block ×5, first 2 shown]
	s_wait_dscnt 0xe
	v_pk_add_f32 v[114:115], v[14:15], v[24:25]
	ds_bpermute_b32 v117, v49, v97
	ds_bpermute_b32 v46, v49, v40
	s_wait_dscnt 0xe
	v_pk_add_f32 v[118:119], v[12:13], v[26:27]
	ds_bpermute_b32 v47, v49, v41
	ds_bpermute_b32 v42, v49, v114
	;; [unrolled: 1-line block ×3, first 2 shown]
	s_wait_dscnt 0xf
	v_pk_add_f32 v[30:31], v[6:7], v[20:21]
	ds_bpermute_b32 v44, v49, v118
	ds_bpermute_b32 v45, v49, v119
	v_pk_add_f32 v[24:25], v[2:3], v[36:37]
	s_wait_dscnt 0xe
	v_pk_add_f32 v[8:9], v[34:35], v[112:113]
	scratch_load_b32 v34, off, s32 offset:1492 th:TH_LOAD_LU ; 4-byte Folded Reload
	ds_bpermute_b32 v32, v49, v30
	ds_bpermute_b32 v33, v49, v31
	v_pk_add_f32 v[20:21], v[4:5], v[64:65]
	v_pk_add_f32 v[26:27], v[10:11], v[66:67]
	;; [unrolled: 1-line block ×5, first 2 shown]
	s_wait_dscnt 0xe
	v_pk_add_f32 v[14:15], v[38:39], v[82:83]
	s_wait_dscnt 0xc
	v_pk_add_f32 v[12:13], v[86:87], v[100:101]
	;; [unrolled: 2-line block ×6, first 2 shown]
	s_wait_loadcnt 0x1
	v_and_b32_e32 v35, 0x3c7, v0
	v_pk_add_f32 v[0:1], v[40:41], v[46:47]
	s_wait_loadcnt 0x0
	v_lshrrev_b32_e32 v34, 3, v34
	s_delay_alu instid0(VALU_DEP_3) | instskip(SKIP_1) | instid1(SALU_CYCLE_1)
	v_cmpx_ne_u32_e32 64, v35
	s_xor_b32 s0, exec_lo, s0
	s_or_saveexec_b32 s0, s0
	s_wait_dscnt 0x0
	v_pk_add_f32 v[30:31], v[30:31], v[32:33]
	scratch_load_b32 v32, off, s32 offset:1496 th:TH_LOAD_LU ; 4-byte Folded Reload
	v_lshl_add_u32 v33, v34, 2, v48
	s_wait_loadcnt 0x0
	v_lshlrev_b32_e32 v32, 9, v32
	s_xor_b32 exec_lo, exec_lo, s0
	s_cbranch_execz .LBB228_2153
; %bb.2152:
	s_delay_alu instid0(VALU_DEP_1) | instskip(NEXT) | instid1(VALU_DEP_1)
	v_add_nc_u32_e32 v35, v33, v32
	v_add_nc_u32_e32 v36, 0xfffffc00, v35
	;; [unrolled: 1-line block ×9, first 2 shown]
	ds_store_b32 v36, v28
	ds_store_b32 v37, v29
	ds_store_b32 v38, v24
	ds_store_b32 v39, v25
	ds_store_b32 v49, v20
	ds_store_b32 v50, v21
	ds_store_b32 v51, v26
	ds_store_b32 v52, v27
	v_add_nc_u32_e32 v36, 0xfffffc80, v35
	v_add_nc_u32_e32 v37, 0xfffffc90, v35
	v_add_nc_u32_e32 v38, 0xfffffca0, v35
	v_add_nc_u32_e32 v39, 0xfffffcb0, v35
	v_add_nc_u32_e32 v49, 0xfffffcc0, v35
	v_add_nc_u32_e32 v50, 0xfffffcd0, v35
	v_add_nc_u32_e32 v51, 0xfffffce0, v35
	v_add_nc_u32_e32 v52, 0xfffffcf0, v35
	ds_store_b32 v36, v22
	ds_store_b32 v37, v23
	ds_store_b32 v38, v18
	ds_store_b32 v39, v19
	ds_store_b32 v49, v16
	ds_store_b32 v50, v17
	ds_store_b32 v51, v14
	ds_store_b32 v52, v15
	v_add_nc_u32_e32 v36, 0xfffffd00, v35
	v_add_nc_u32_e32 v37, 0xfffffd10, v35
	v_add_nc_u32_e32 v38, 0xfffffd20, v35
	v_add_nc_u32_e32 v39, 0xfffffd30, v35
	v_add_nc_u32_e32 v49, 0xfffffd40, v35
	v_add_nc_u32_e32 v50, 0xfffffd50, v35
	v_add_nc_u32_e32 v51, 0xfffffd60, v35
	v_add_nc_u32_e32 v52, 0xfffffd70, v35
	;; [unrolled: 16-line block ×3, first 2 shown]
	ds_store_b32 v36, v6
	ds_store_b32 v37, v7
	;; [unrolled: 1-line block ×8, first 2 shown]
.LBB228_2153:
	s_or_b32 exec_lo, exec_lo, s0
	v_lshlrev_b32_e32 v34, 2, v34
	s_mov_b32 s1, exec_lo
	v_cmp_eq_u32_e32 vcc_lo, 0, v56
	s_delay_alu instid0(VALU_DEP_2)
	v_add3_u32 v32, v48, v32, v34
	scratch_load_b32 v34, off, s32 offset:1488 ; 4-byte Folded Reload
	s_wait_loadcnt_dscnt 0x0
	s_barrier_signal -1
	s_barrier_wait -1
	v_cmpx_gt_u32_e32 64, v34
	s_cbranch_execz .LBB228_2188
; %bb.2154:
	s_and_saveexec_b32 s0, vcc_lo
	s_cbranch_execnz .LBB228_2228
; %bb.2155:
	s_or_b32 exec_lo, exec_lo, s0
	s_and_saveexec_b32 s0, vcc_lo
	s_cbranch_execnz .LBB228_2229
.LBB228_2156:
	s_or_b32 exec_lo, exec_lo, s0
	s_and_saveexec_b32 s0, vcc_lo
	s_cbranch_execnz .LBB228_2230
.LBB228_2157:
	s_or_b32 exec_lo, exec_lo, s0
	s_and_saveexec_b32 s0, vcc_lo
	s_cbranch_execnz .LBB228_2231
.LBB228_2158:
	s_or_b32 exec_lo, exec_lo, s0
	s_and_saveexec_b32 s0, vcc_lo
	s_cbranch_execnz .LBB228_2232
.LBB228_2159:
	s_or_b32 exec_lo, exec_lo, s0
	s_and_saveexec_b32 s0, vcc_lo
	s_cbranch_execnz .LBB228_2233
.LBB228_2160:
	s_or_b32 exec_lo, exec_lo, s0
	s_and_saveexec_b32 s0, vcc_lo
	s_cbranch_execnz .LBB228_2234
.LBB228_2161:
	s_or_b32 exec_lo, exec_lo, s0
	s_and_saveexec_b32 s0, vcc_lo
	s_cbranch_execnz .LBB228_2235
.LBB228_2162:
	s_or_b32 exec_lo, exec_lo, s0
	s_and_saveexec_b32 s0, vcc_lo
	s_cbranch_execnz .LBB228_2236
.LBB228_2163:
	s_or_b32 exec_lo, exec_lo, s0
	s_and_saveexec_b32 s0, vcc_lo
	s_cbranch_execnz .LBB228_2237
.LBB228_2164:
	s_or_b32 exec_lo, exec_lo, s0
	s_and_saveexec_b32 s0, vcc_lo
	s_cbranch_execnz .LBB228_2238
.LBB228_2165:
	s_or_b32 exec_lo, exec_lo, s0
	s_and_saveexec_b32 s0, vcc_lo
	s_cbranch_execnz .LBB228_2239
.LBB228_2166:
	s_or_b32 exec_lo, exec_lo, s0
	s_and_saveexec_b32 s0, vcc_lo
	s_cbranch_execnz .LBB228_2240
.LBB228_2167:
	s_or_b32 exec_lo, exec_lo, s0
	s_and_saveexec_b32 s0, vcc_lo
	s_cbranch_execnz .LBB228_2241
.LBB228_2168:
	s_or_b32 exec_lo, exec_lo, s0
	s_and_saveexec_b32 s0, vcc_lo
	s_cbranch_execnz .LBB228_2242
.LBB228_2169:
	s_or_b32 exec_lo, exec_lo, s0
	s_and_saveexec_b32 s0, vcc_lo
	s_cbranch_execnz .LBB228_2243
.LBB228_2170:
	s_or_b32 exec_lo, exec_lo, s0
	s_and_saveexec_b32 s0, vcc_lo
	s_cbranch_execnz .LBB228_2244
.LBB228_2171:
	s_or_b32 exec_lo, exec_lo, s0
	s_and_saveexec_b32 s0, vcc_lo
	s_cbranch_execnz .LBB228_2245
.LBB228_2172:
	s_or_b32 exec_lo, exec_lo, s0
	s_and_saveexec_b32 s0, vcc_lo
	s_cbranch_execnz .LBB228_2246
.LBB228_2173:
	s_or_b32 exec_lo, exec_lo, s0
	s_and_saveexec_b32 s0, vcc_lo
	s_cbranch_execnz .LBB228_2247
.LBB228_2174:
	s_or_b32 exec_lo, exec_lo, s0
	s_and_saveexec_b32 s0, vcc_lo
	s_cbranch_execnz .LBB228_2248
.LBB228_2175:
	s_or_b32 exec_lo, exec_lo, s0
	s_and_saveexec_b32 s0, vcc_lo
	s_cbranch_execnz .LBB228_2249
.LBB228_2176:
	s_or_b32 exec_lo, exec_lo, s0
	s_and_saveexec_b32 s0, vcc_lo
	s_cbranch_execnz .LBB228_2250
.LBB228_2177:
	s_or_b32 exec_lo, exec_lo, s0
	s_and_saveexec_b32 s0, vcc_lo
	s_cbranch_execnz .LBB228_2251
.LBB228_2178:
	s_or_b32 exec_lo, exec_lo, s0
	s_and_saveexec_b32 s0, vcc_lo
	s_cbranch_execnz .LBB228_2252
.LBB228_2179:
	s_or_b32 exec_lo, exec_lo, s0
	s_and_saveexec_b32 s0, vcc_lo
	s_cbranch_execnz .LBB228_2253
.LBB228_2180:
	s_or_b32 exec_lo, exec_lo, s0
	s_and_saveexec_b32 s0, vcc_lo
	s_cbranch_execnz .LBB228_2254
.LBB228_2181:
	s_or_b32 exec_lo, exec_lo, s0
	s_and_saveexec_b32 s0, vcc_lo
	s_cbranch_execnz .LBB228_2255
.LBB228_2182:
	s_or_b32 exec_lo, exec_lo, s0
	s_and_saveexec_b32 s0, vcc_lo
	s_cbranch_execnz .LBB228_2256
.LBB228_2183:
	s_or_b32 exec_lo, exec_lo, s0
	s_and_saveexec_b32 s0, vcc_lo
	s_cbranch_execnz .LBB228_2257
.LBB228_2184:
	s_or_b32 exec_lo, exec_lo, s0
	s_and_saveexec_b32 s0, vcc_lo
	s_cbranch_execnz .LBB228_2258
.LBB228_2185:
	s_or_b32 exec_lo, exec_lo, s0
	s_and_saveexec_b32 s0, vcc_lo
	s_cbranch_execz .LBB228_2187
.LBB228_2186:
	ds_load_b32 v34, v32 offset:496
	s_wait_dscnt 0x0
	v_add_f32_e32 v31, v34, v31
.LBB228_2187:
	s_or_b32 exec_lo, exec_lo, s0
.LBB228_2188:
	s_delay_alu instid0(SALU_CYCLE_1)
	s_or_b32 exec_lo, exec_lo, s1
	scratch_load_b32 v34, off, s32 offset:1488 ; 4-byte Folded Reload
	s_mov_b32 s1, exec_lo
	s_wait_loadcnt 0x0
	s_barrier_signal -1
	s_barrier_wait -1
	v_and_b32_e32 v34, 0x3e7, v34
	s_wait_xcnt 0x0
	s_delay_alu instid0(VALU_DEP_1)
	v_cmpx_eq_u32_e32 32, v34
	s_cbranch_execz .LBB228_2190
; %bb.2189:
	ds_store_2addr_b32 v33, v28, v29 offset1:4
	ds_store_2addr_b32 v33, v24, v25 offset0:8 offset1:12
	ds_store_2addr_b32 v33, v20, v21 offset0:16 offset1:20
	;; [unrolled: 1-line block ×15, first 2 shown]
.LBB228_2190:
	s_or_b32 exec_lo, exec_lo, s1
	scratch_load_b32 v33, off, s32 offset:1488 ; 4-byte Folded Reload
	s_mov_b32 s1, exec_lo
	s_wait_loadcnt_dscnt 0x0
	s_barrier_signal -1
	s_barrier_wait -1
	v_cmpx_gt_u32_e32 32, v33
	s_cbranch_execz .LBB228_2225
; %bb.2191:
	s_and_saveexec_b32 s0, vcc_lo
	s_cbranch_execnz .LBB228_2259
; %bb.2192:
	s_or_b32 exec_lo, exec_lo, s0
	s_and_saveexec_b32 s0, vcc_lo
	s_cbranch_execnz .LBB228_2260
.LBB228_2193:
	s_or_b32 exec_lo, exec_lo, s0
	s_and_saveexec_b32 s0, vcc_lo
	s_cbranch_execnz .LBB228_2261
.LBB228_2194:
	s_or_b32 exec_lo, exec_lo, s0
	s_and_saveexec_b32 s0, vcc_lo
	s_cbranch_execnz .LBB228_2262
.LBB228_2195:
	s_or_b32 exec_lo, exec_lo, s0
	s_and_saveexec_b32 s0, vcc_lo
	s_cbranch_execnz .LBB228_2263
.LBB228_2196:
	s_or_b32 exec_lo, exec_lo, s0
	s_and_saveexec_b32 s0, vcc_lo
	s_cbranch_execnz .LBB228_2264
.LBB228_2197:
	s_or_b32 exec_lo, exec_lo, s0
	s_and_saveexec_b32 s0, vcc_lo
	s_cbranch_execnz .LBB228_2265
.LBB228_2198:
	s_or_b32 exec_lo, exec_lo, s0
	s_and_saveexec_b32 s0, vcc_lo
	s_cbranch_execnz .LBB228_2266
.LBB228_2199:
	s_or_b32 exec_lo, exec_lo, s0
	s_and_saveexec_b32 s0, vcc_lo
	s_cbranch_execnz .LBB228_2267
.LBB228_2200:
	s_or_b32 exec_lo, exec_lo, s0
	s_and_saveexec_b32 s0, vcc_lo
	s_cbranch_execnz .LBB228_2268
.LBB228_2201:
	s_or_b32 exec_lo, exec_lo, s0
	s_and_saveexec_b32 s0, vcc_lo
	s_cbranch_execnz .LBB228_2269
.LBB228_2202:
	s_or_b32 exec_lo, exec_lo, s0
	s_and_saveexec_b32 s0, vcc_lo
	s_cbranch_execnz .LBB228_2270
.LBB228_2203:
	s_or_b32 exec_lo, exec_lo, s0
	s_and_saveexec_b32 s0, vcc_lo
	s_cbranch_execnz .LBB228_2271
.LBB228_2204:
	s_or_b32 exec_lo, exec_lo, s0
	s_and_saveexec_b32 s0, vcc_lo
	s_cbranch_execnz .LBB228_2272
.LBB228_2205:
	s_or_b32 exec_lo, exec_lo, s0
	s_and_saveexec_b32 s0, vcc_lo
	s_cbranch_execnz .LBB228_2273
.LBB228_2206:
	s_or_b32 exec_lo, exec_lo, s0
	s_and_saveexec_b32 s0, vcc_lo
	s_cbranch_execnz .LBB228_2274
.LBB228_2207:
	s_or_b32 exec_lo, exec_lo, s0
	s_and_saveexec_b32 s0, vcc_lo
	s_cbranch_execnz .LBB228_2275
.LBB228_2208:
	s_or_b32 exec_lo, exec_lo, s0
	s_and_saveexec_b32 s0, vcc_lo
	s_cbranch_execnz .LBB228_2276
.LBB228_2209:
	s_or_b32 exec_lo, exec_lo, s0
	s_and_saveexec_b32 s0, vcc_lo
	s_cbranch_execnz .LBB228_2277
.LBB228_2210:
	s_or_b32 exec_lo, exec_lo, s0
	s_and_saveexec_b32 s0, vcc_lo
	s_cbranch_execnz .LBB228_2278
.LBB228_2211:
	s_or_b32 exec_lo, exec_lo, s0
	s_and_saveexec_b32 s0, vcc_lo
	s_cbranch_execnz .LBB228_2279
.LBB228_2212:
	s_or_b32 exec_lo, exec_lo, s0
	s_and_saveexec_b32 s0, vcc_lo
	s_cbranch_execnz .LBB228_2280
.LBB228_2213:
	s_or_b32 exec_lo, exec_lo, s0
	s_and_saveexec_b32 s0, vcc_lo
	s_cbranch_execnz .LBB228_2281
.LBB228_2214:
	s_or_b32 exec_lo, exec_lo, s0
	s_and_saveexec_b32 s0, vcc_lo
	s_cbranch_execnz .LBB228_2282
.LBB228_2215:
	s_or_b32 exec_lo, exec_lo, s0
	s_and_saveexec_b32 s0, vcc_lo
	s_cbranch_execnz .LBB228_2283
.LBB228_2216:
	s_or_b32 exec_lo, exec_lo, s0
	s_and_saveexec_b32 s0, vcc_lo
	s_cbranch_execnz .LBB228_2284
.LBB228_2217:
	s_or_b32 exec_lo, exec_lo, s0
	s_and_saveexec_b32 s0, vcc_lo
	s_cbranch_execnz .LBB228_2285
.LBB228_2218:
	s_or_b32 exec_lo, exec_lo, s0
	s_and_saveexec_b32 s0, vcc_lo
	s_cbranch_execnz .LBB228_2286
.LBB228_2219:
	s_or_b32 exec_lo, exec_lo, s0
	s_and_saveexec_b32 s0, vcc_lo
	s_cbranch_execnz .LBB228_2287
.LBB228_2220:
	s_or_b32 exec_lo, exec_lo, s0
	s_and_saveexec_b32 s0, vcc_lo
	s_cbranch_execnz .LBB228_2288
.LBB228_2221:
	s_or_b32 exec_lo, exec_lo, s0
	s_and_saveexec_b32 s0, vcc_lo
	s_cbranch_execnz .LBB228_2289
.LBB228_2222:
	s_or_b32 exec_lo, exec_lo, s0
	s_and_saveexec_b32 s0, vcc_lo
	s_cbranch_execz .LBB228_2224
.LBB228_2223:
	ds_load_b32 v32, v32 offset:496
	s_wait_dscnt 0x0
	v_add_f32_e32 v31, v32, v31
.LBB228_2224:
	s_or_b32 exec_lo, exec_lo, s0
.LBB228_2225:
	s_delay_alu instid0(SALU_CYCLE_1)
	s_or_b32 exec_lo, exec_lo, s1
	s_mov_b32 s1, 0
	s_mov_b32 s2, exec_lo
	s_barrier_signal -1
	s_barrier_wait -1
	v_cmpx_eq_u32_e32 0, v34
	s_cbranch_execz .LBB228_2227
; %bb.2226:
	s_clause 0x1
	scratch_load_b64 v[32:33], off, s32 offset:1532 th:TH_LOAD_LU
	scratch_load_b32 v34, off, s32 offset:1488 th:TH_LOAD_LU
	s_and_b32 s0, 0xffff, s15
	v_mov_b32_e32 v35, 0
	s_cmp_lg_u32 s0, 0
	s_cselect_b32 s0, -1, 0
	s_delay_alu instid0(SALU_CYCLE_1)
	s_cmp_lg_u32 s0, 0
	s_wait_kmcnt 0x0
	s_add_co_ci_u32 s0, s5, 0
	s_bfe_u32 s8, ttmp6, 0x40014
	s_mul_i32 s5, s13, s0
	s_lshr_b32 s3, ttmp7, 16
	s_mul_i32 s5, s5, s14
	s_add_co_i32 s8, s8, 1
	s_lshl_b32 s6, s5, 7
	s_bfe_u32 s9, ttmp6, 0x40008
	s_ashr_i32 s7, s6, 31
	s_mul_i32 s4, s4, s0
	s_mul_i32 s0, s3, s8
	s_ashr_i32 s5, s4, 31
	s_add_co_i32 s9, s9, s0
	s_cmp_eq_u32 s12, 0
	s_cselect_b32 s0, s3, s9
	s_delay_alu instid0(SALU_CYCLE_1) | instskip(SKIP_4) | instid1(VALU_DEP_2)
	s_lshl_b32 s0, s0, 9
	s_wait_loadcnt 0x1
	v_lshl_add_u64 v[32:33], s[6:7], 2, v[32:33]
	s_wait_loadcnt 0x0
	v_lshrrev_b32_e32 v34, 1, v34
	v_lshl_add_u64 v[32:33], s[4:5], 2, v[32:33]
	s_delay_alu instid0(VALU_DEP_1) | instskip(NEXT) | instid1(VALU_DEP_1)
	v_add_nc_u64_e32 v[32:33], s[0:1], v[32:33]
	v_add_nc_u64_e32 v[32:33], v[32:33], v[34:35]
	s_clause 0x1f
	flat_store_b32 v[32:33], v28
	flat_store_b32 v[32:33], v29 offset:16
	flat_store_b32 v[32:33], v24 offset:32
	flat_store_b32 v[32:33], v25 offset:48
	flat_store_b32 v[32:33], v20 offset:64
	flat_store_b32 v[32:33], v21 offset:80
	flat_store_b32 v[32:33], v26 offset:96
	flat_store_b32 v[32:33], v27 offset:112
	flat_store_b32 v[32:33], v22 offset:128
	flat_store_b32 v[32:33], v23 offset:144
	flat_store_b32 v[32:33], v18 offset:160
	flat_store_b32 v[32:33], v19 offset:176
	flat_store_b32 v[32:33], v16 offset:192
	flat_store_b32 v[32:33], v17 offset:208
	flat_store_b32 v[32:33], v14 offset:224
	flat_store_b32 v[32:33], v15 offset:240
	flat_store_b32 v[32:33], v12 offset:256
	flat_store_b32 v[32:33], v13 offset:272
	flat_store_b32 v[32:33], v10 offset:288
	flat_store_b32 v[32:33], v11 offset:304
	flat_store_b32 v[32:33], v8 offset:320
	flat_store_b32 v[32:33], v9 offset:336
	flat_store_b32 v[32:33], v4 offset:352
	flat_store_b32 v[32:33], v5 offset:368
	flat_store_b32 v[32:33], v6 offset:384
	flat_store_b32 v[32:33], v7 offset:400
	flat_store_b32 v[32:33], v2 offset:416
	flat_store_b32 v[32:33], v3 offset:432
	flat_store_b32 v[32:33], v0 offset:448
	flat_store_b32 v[32:33], v1 offset:464
	flat_store_b32 v[32:33], v30 offset:480
	flat_store_b32 v[32:33], v31 offset:496
.LBB228_2227:
	s_wait_xcnt 0x0
	s_or_b32 exec_lo, exec_lo, s2
	s_clause 0x2f
	scratch_load_b32 v127, off, s32
	scratch_load_b32 v126, off, s32 offset:4
	scratch_load_b32 v125, off, s32 offset:8
	;; [unrolled: 1-line block ×47, first 2 shown]
	s_wait_loadcnt_dscnt 0x0
	s_wait_kmcnt 0x0
	s_set_pc_i64 s[30:31]
.LBB228_2228:
	ds_load_b32 v34, v32
	s_wait_dscnt 0x0
	v_add_f32_e32 v28, v34, v28
	s_or_b32 exec_lo, exec_lo, s0
	s_and_saveexec_b32 s0, vcc_lo
	s_cbranch_execz .LBB228_2156
.LBB228_2229:
	ds_load_b32 v34, v32 offset:16
	s_wait_dscnt 0x0
	v_add_f32_e32 v29, v34, v29
	s_or_b32 exec_lo, exec_lo, s0
	s_and_saveexec_b32 s0, vcc_lo
	s_cbranch_execz .LBB228_2157
.LBB228_2230:
	ds_load_b32 v34, v32 offset:32
	s_wait_dscnt 0x0
	v_add_f32_e32 v24, v34, v24
	s_or_b32 exec_lo, exec_lo, s0
	s_and_saveexec_b32 s0, vcc_lo
	s_cbranch_execz .LBB228_2158
.LBB228_2231:
	ds_load_b32 v34, v32 offset:48
	s_wait_dscnt 0x0
	v_add_f32_e32 v25, v34, v25
	s_or_b32 exec_lo, exec_lo, s0
	s_and_saveexec_b32 s0, vcc_lo
	s_cbranch_execz .LBB228_2159
.LBB228_2232:
	ds_load_b32 v34, v32 offset:64
	s_wait_dscnt 0x0
	v_add_f32_e32 v20, v34, v20
	s_or_b32 exec_lo, exec_lo, s0
	s_and_saveexec_b32 s0, vcc_lo
	s_cbranch_execz .LBB228_2160
.LBB228_2233:
	ds_load_b32 v34, v32 offset:80
	s_wait_dscnt 0x0
	v_add_f32_e32 v21, v34, v21
	s_or_b32 exec_lo, exec_lo, s0
	s_and_saveexec_b32 s0, vcc_lo
	s_cbranch_execz .LBB228_2161
.LBB228_2234:
	ds_load_b32 v34, v32 offset:96
	s_wait_dscnt 0x0
	v_add_f32_e32 v26, v34, v26
	s_or_b32 exec_lo, exec_lo, s0
	s_and_saveexec_b32 s0, vcc_lo
	s_cbranch_execz .LBB228_2162
.LBB228_2235:
	ds_load_b32 v34, v32 offset:112
	s_wait_dscnt 0x0
	v_add_f32_e32 v27, v34, v27
	s_or_b32 exec_lo, exec_lo, s0
	s_and_saveexec_b32 s0, vcc_lo
	s_cbranch_execz .LBB228_2163
.LBB228_2236:
	ds_load_b32 v34, v32 offset:128
	s_wait_dscnt 0x0
	v_add_f32_e32 v22, v34, v22
	s_or_b32 exec_lo, exec_lo, s0
	s_and_saveexec_b32 s0, vcc_lo
	s_cbranch_execz .LBB228_2164
.LBB228_2237:
	ds_load_b32 v34, v32 offset:144
	s_wait_dscnt 0x0
	v_add_f32_e32 v23, v34, v23
	s_or_b32 exec_lo, exec_lo, s0
	s_and_saveexec_b32 s0, vcc_lo
	s_cbranch_execz .LBB228_2165
.LBB228_2238:
	ds_load_b32 v34, v32 offset:160
	s_wait_dscnt 0x0
	v_add_f32_e32 v18, v34, v18
	s_or_b32 exec_lo, exec_lo, s0
	s_and_saveexec_b32 s0, vcc_lo
	s_cbranch_execz .LBB228_2166
.LBB228_2239:
	ds_load_b32 v34, v32 offset:176
	s_wait_dscnt 0x0
	v_add_f32_e32 v19, v34, v19
	s_or_b32 exec_lo, exec_lo, s0
	s_and_saveexec_b32 s0, vcc_lo
	s_cbranch_execz .LBB228_2167
.LBB228_2240:
	ds_load_b32 v34, v32 offset:192
	s_wait_dscnt 0x0
	v_add_f32_e32 v16, v34, v16
	s_or_b32 exec_lo, exec_lo, s0
	s_and_saveexec_b32 s0, vcc_lo
	s_cbranch_execz .LBB228_2168
.LBB228_2241:
	ds_load_b32 v34, v32 offset:208
	s_wait_dscnt 0x0
	v_add_f32_e32 v17, v34, v17
	s_or_b32 exec_lo, exec_lo, s0
	s_and_saveexec_b32 s0, vcc_lo
	s_cbranch_execz .LBB228_2169
.LBB228_2242:
	ds_load_b32 v34, v32 offset:224
	s_wait_dscnt 0x0
	v_add_f32_e32 v14, v34, v14
	s_or_b32 exec_lo, exec_lo, s0
	s_and_saveexec_b32 s0, vcc_lo
	s_cbranch_execz .LBB228_2170
.LBB228_2243:
	ds_load_b32 v34, v32 offset:240
	s_wait_dscnt 0x0
	v_add_f32_e32 v15, v34, v15
	s_or_b32 exec_lo, exec_lo, s0
	s_and_saveexec_b32 s0, vcc_lo
	s_cbranch_execz .LBB228_2171
.LBB228_2244:
	ds_load_b32 v34, v32 offset:256
	s_wait_dscnt 0x0
	v_add_f32_e32 v12, v34, v12
	s_or_b32 exec_lo, exec_lo, s0
	s_and_saveexec_b32 s0, vcc_lo
	s_cbranch_execz .LBB228_2172
.LBB228_2245:
	ds_load_b32 v34, v32 offset:272
	s_wait_dscnt 0x0
	v_add_f32_e32 v13, v34, v13
	s_or_b32 exec_lo, exec_lo, s0
	s_and_saveexec_b32 s0, vcc_lo
	s_cbranch_execz .LBB228_2173
.LBB228_2246:
	ds_load_b32 v34, v32 offset:288
	s_wait_dscnt 0x0
	v_add_f32_e32 v10, v34, v10
	s_or_b32 exec_lo, exec_lo, s0
	s_and_saveexec_b32 s0, vcc_lo
	s_cbranch_execz .LBB228_2174
.LBB228_2247:
	ds_load_b32 v34, v32 offset:304
	s_wait_dscnt 0x0
	v_add_f32_e32 v11, v34, v11
	s_or_b32 exec_lo, exec_lo, s0
	s_and_saveexec_b32 s0, vcc_lo
	s_cbranch_execz .LBB228_2175
.LBB228_2248:
	ds_load_b32 v34, v32 offset:320
	s_wait_dscnt 0x0
	v_add_f32_e32 v8, v34, v8
	s_or_b32 exec_lo, exec_lo, s0
	s_and_saveexec_b32 s0, vcc_lo
	s_cbranch_execz .LBB228_2176
.LBB228_2249:
	ds_load_b32 v34, v32 offset:336
	s_wait_dscnt 0x0
	v_add_f32_e32 v9, v34, v9
	s_or_b32 exec_lo, exec_lo, s0
	s_and_saveexec_b32 s0, vcc_lo
	s_cbranch_execz .LBB228_2177
.LBB228_2250:
	ds_load_b32 v34, v32 offset:352
	s_wait_dscnt 0x0
	v_add_f32_e32 v4, v34, v4
	s_or_b32 exec_lo, exec_lo, s0
	s_and_saveexec_b32 s0, vcc_lo
	s_cbranch_execz .LBB228_2178
.LBB228_2251:
	ds_load_b32 v34, v32 offset:368
	s_wait_dscnt 0x0
	v_add_f32_e32 v5, v34, v5
	s_or_b32 exec_lo, exec_lo, s0
	s_and_saveexec_b32 s0, vcc_lo
	s_cbranch_execz .LBB228_2179
.LBB228_2252:
	ds_load_b32 v34, v32 offset:384
	s_wait_dscnt 0x0
	v_add_f32_e32 v6, v34, v6
	s_or_b32 exec_lo, exec_lo, s0
	s_and_saveexec_b32 s0, vcc_lo
	s_cbranch_execz .LBB228_2180
.LBB228_2253:
	ds_load_b32 v34, v32 offset:400
	s_wait_dscnt 0x0
	v_add_f32_e32 v7, v34, v7
	s_or_b32 exec_lo, exec_lo, s0
	s_and_saveexec_b32 s0, vcc_lo
	s_cbranch_execz .LBB228_2181
.LBB228_2254:
	ds_load_b32 v34, v32 offset:416
	s_wait_dscnt 0x0
	v_add_f32_e32 v2, v34, v2
	s_or_b32 exec_lo, exec_lo, s0
	s_and_saveexec_b32 s0, vcc_lo
	s_cbranch_execz .LBB228_2182
.LBB228_2255:
	ds_load_b32 v34, v32 offset:432
	s_wait_dscnt 0x0
	v_add_f32_e32 v3, v34, v3
	s_or_b32 exec_lo, exec_lo, s0
	s_and_saveexec_b32 s0, vcc_lo
	s_cbranch_execz .LBB228_2183
.LBB228_2256:
	ds_load_b32 v34, v32 offset:448
	s_wait_dscnt 0x0
	v_add_f32_e32 v0, v34, v0
	s_or_b32 exec_lo, exec_lo, s0
	s_and_saveexec_b32 s0, vcc_lo
	s_cbranch_execz .LBB228_2184
.LBB228_2257:
	ds_load_b32 v34, v32 offset:464
	s_wait_dscnt 0x0
	v_add_f32_e32 v1, v34, v1
	s_or_b32 exec_lo, exec_lo, s0
	s_and_saveexec_b32 s0, vcc_lo
	s_cbranch_execz .LBB228_2185
.LBB228_2258:
	ds_load_b32 v34, v32 offset:480
	s_wait_dscnt 0x0
	v_add_f32_e32 v30, v34, v30
	s_or_b32 exec_lo, exec_lo, s0
	s_and_saveexec_b32 s0, vcc_lo
	s_cbranch_execnz .LBB228_2186
	s_branch .LBB228_2187
.LBB228_2259:
	ds_load_b32 v33, v32
	s_wait_dscnt 0x0
	v_add_f32_e32 v28, v33, v28
	s_or_b32 exec_lo, exec_lo, s0
	s_and_saveexec_b32 s0, vcc_lo
	s_cbranch_execz .LBB228_2193
.LBB228_2260:
	ds_load_b32 v33, v32 offset:16
	s_wait_dscnt 0x0
	v_add_f32_e32 v29, v33, v29
	s_or_b32 exec_lo, exec_lo, s0
	s_and_saveexec_b32 s0, vcc_lo
	s_cbranch_execz .LBB228_2194
.LBB228_2261:
	ds_load_b32 v33, v32 offset:32
	s_wait_dscnt 0x0
	v_add_f32_e32 v24, v33, v24
	s_or_b32 exec_lo, exec_lo, s0
	s_and_saveexec_b32 s0, vcc_lo
	s_cbranch_execz .LBB228_2195
.LBB228_2262:
	ds_load_b32 v33, v32 offset:48
	s_wait_dscnt 0x0
	v_add_f32_e32 v25, v33, v25
	s_or_b32 exec_lo, exec_lo, s0
	s_and_saveexec_b32 s0, vcc_lo
	s_cbranch_execz .LBB228_2196
.LBB228_2263:
	ds_load_b32 v33, v32 offset:64
	s_wait_dscnt 0x0
	v_add_f32_e32 v20, v33, v20
	s_or_b32 exec_lo, exec_lo, s0
	s_and_saveexec_b32 s0, vcc_lo
	s_cbranch_execz .LBB228_2197
.LBB228_2264:
	ds_load_b32 v33, v32 offset:80
	s_wait_dscnt 0x0
	v_add_f32_e32 v21, v33, v21
	s_or_b32 exec_lo, exec_lo, s0
	s_and_saveexec_b32 s0, vcc_lo
	s_cbranch_execz .LBB228_2198
.LBB228_2265:
	ds_load_b32 v33, v32 offset:96
	s_wait_dscnt 0x0
	v_add_f32_e32 v26, v33, v26
	s_or_b32 exec_lo, exec_lo, s0
	s_and_saveexec_b32 s0, vcc_lo
	s_cbranch_execz .LBB228_2199
.LBB228_2266:
	ds_load_b32 v33, v32 offset:112
	s_wait_dscnt 0x0
	v_add_f32_e32 v27, v33, v27
	s_or_b32 exec_lo, exec_lo, s0
	s_and_saveexec_b32 s0, vcc_lo
	s_cbranch_execz .LBB228_2200
.LBB228_2267:
	ds_load_b32 v33, v32 offset:128
	s_wait_dscnt 0x0
	v_add_f32_e32 v22, v33, v22
	s_or_b32 exec_lo, exec_lo, s0
	s_and_saveexec_b32 s0, vcc_lo
	s_cbranch_execz .LBB228_2201
.LBB228_2268:
	ds_load_b32 v33, v32 offset:144
	s_wait_dscnt 0x0
	v_add_f32_e32 v23, v33, v23
	s_or_b32 exec_lo, exec_lo, s0
	s_and_saveexec_b32 s0, vcc_lo
	s_cbranch_execz .LBB228_2202
.LBB228_2269:
	ds_load_b32 v33, v32 offset:160
	s_wait_dscnt 0x0
	v_add_f32_e32 v18, v33, v18
	s_or_b32 exec_lo, exec_lo, s0
	s_and_saveexec_b32 s0, vcc_lo
	s_cbranch_execz .LBB228_2203
.LBB228_2270:
	ds_load_b32 v33, v32 offset:176
	s_wait_dscnt 0x0
	v_add_f32_e32 v19, v33, v19
	s_or_b32 exec_lo, exec_lo, s0
	s_and_saveexec_b32 s0, vcc_lo
	s_cbranch_execz .LBB228_2204
.LBB228_2271:
	ds_load_b32 v33, v32 offset:192
	s_wait_dscnt 0x0
	v_add_f32_e32 v16, v33, v16
	s_or_b32 exec_lo, exec_lo, s0
	s_and_saveexec_b32 s0, vcc_lo
	s_cbranch_execz .LBB228_2205
.LBB228_2272:
	ds_load_b32 v33, v32 offset:208
	s_wait_dscnt 0x0
	v_add_f32_e32 v17, v33, v17
	s_or_b32 exec_lo, exec_lo, s0
	s_and_saveexec_b32 s0, vcc_lo
	s_cbranch_execz .LBB228_2206
.LBB228_2273:
	ds_load_b32 v33, v32 offset:224
	s_wait_dscnt 0x0
	v_add_f32_e32 v14, v33, v14
	s_or_b32 exec_lo, exec_lo, s0
	s_and_saveexec_b32 s0, vcc_lo
	s_cbranch_execz .LBB228_2207
.LBB228_2274:
	ds_load_b32 v33, v32 offset:240
	s_wait_dscnt 0x0
	v_add_f32_e32 v15, v33, v15
	s_or_b32 exec_lo, exec_lo, s0
	s_and_saveexec_b32 s0, vcc_lo
	s_cbranch_execz .LBB228_2208
.LBB228_2275:
	ds_load_b32 v33, v32 offset:256
	s_wait_dscnt 0x0
	v_add_f32_e32 v12, v33, v12
	s_or_b32 exec_lo, exec_lo, s0
	s_and_saveexec_b32 s0, vcc_lo
	s_cbranch_execz .LBB228_2209
.LBB228_2276:
	ds_load_b32 v33, v32 offset:272
	s_wait_dscnt 0x0
	v_add_f32_e32 v13, v33, v13
	s_or_b32 exec_lo, exec_lo, s0
	s_and_saveexec_b32 s0, vcc_lo
	s_cbranch_execz .LBB228_2210
.LBB228_2277:
	ds_load_b32 v33, v32 offset:288
	s_wait_dscnt 0x0
	v_add_f32_e32 v10, v33, v10
	s_or_b32 exec_lo, exec_lo, s0
	s_and_saveexec_b32 s0, vcc_lo
	s_cbranch_execz .LBB228_2211
.LBB228_2278:
	ds_load_b32 v33, v32 offset:304
	s_wait_dscnt 0x0
	v_add_f32_e32 v11, v33, v11
	s_or_b32 exec_lo, exec_lo, s0
	s_and_saveexec_b32 s0, vcc_lo
	s_cbranch_execz .LBB228_2212
.LBB228_2279:
	ds_load_b32 v33, v32 offset:320
	s_wait_dscnt 0x0
	v_add_f32_e32 v8, v33, v8
	s_or_b32 exec_lo, exec_lo, s0
	s_and_saveexec_b32 s0, vcc_lo
	s_cbranch_execz .LBB228_2213
.LBB228_2280:
	ds_load_b32 v33, v32 offset:336
	s_wait_dscnt 0x0
	v_add_f32_e32 v9, v33, v9
	s_or_b32 exec_lo, exec_lo, s0
	s_and_saveexec_b32 s0, vcc_lo
	s_cbranch_execz .LBB228_2214
.LBB228_2281:
	ds_load_b32 v33, v32 offset:352
	s_wait_dscnt 0x0
	v_add_f32_e32 v4, v33, v4
	s_or_b32 exec_lo, exec_lo, s0
	s_and_saveexec_b32 s0, vcc_lo
	s_cbranch_execz .LBB228_2215
.LBB228_2282:
	ds_load_b32 v33, v32 offset:368
	s_wait_dscnt 0x0
	v_add_f32_e32 v5, v33, v5
	s_or_b32 exec_lo, exec_lo, s0
	s_and_saveexec_b32 s0, vcc_lo
	s_cbranch_execz .LBB228_2216
.LBB228_2283:
	ds_load_b32 v33, v32 offset:384
	s_wait_dscnt 0x0
	v_add_f32_e32 v6, v33, v6
	s_or_b32 exec_lo, exec_lo, s0
	s_and_saveexec_b32 s0, vcc_lo
	s_cbranch_execz .LBB228_2217
.LBB228_2284:
	ds_load_b32 v33, v32 offset:400
	s_wait_dscnt 0x0
	v_add_f32_e32 v7, v33, v7
	s_or_b32 exec_lo, exec_lo, s0
	s_and_saveexec_b32 s0, vcc_lo
	s_cbranch_execz .LBB228_2218
.LBB228_2285:
	ds_load_b32 v33, v32 offset:416
	s_wait_dscnt 0x0
	v_add_f32_e32 v2, v33, v2
	s_or_b32 exec_lo, exec_lo, s0
	s_and_saveexec_b32 s0, vcc_lo
	s_cbranch_execz .LBB228_2219
.LBB228_2286:
	ds_load_b32 v33, v32 offset:432
	s_wait_dscnt 0x0
	v_add_f32_e32 v3, v33, v3
	s_or_b32 exec_lo, exec_lo, s0
	s_and_saveexec_b32 s0, vcc_lo
	s_cbranch_execz .LBB228_2220
.LBB228_2287:
	ds_load_b32 v33, v32 offset:448
	s_wait_dscnt 0x0
	v_add_f32_e32 v0, v33, v0
	s_or_b32 exec_lo, exec_lo, s0
	s_and_saveexec_b32 s0, vcc_lo
	s_cbranch_execz .LBB228_2221
.LBB228_2288:
	ds_load_b32 v33, v32 offset:464
	s_wait_dscnt 0x0
	v_add_f32_e32 v1, v33, v1
	s_or_b32 exec_lo, exec_lo, s0
	s_and_saveexec_b32 s0, vcc_lo
	s_cbranch_execz .LBB228_2222
.LBB228_2289:
	ds_load_b32 v33, v32 offset:480
	s_wait_dscnt 0x0
	v_add_f32_e32 v30, v33, v30
	s_or_b32 exec_lo, exec_lo, s0
	s_and_saveexec_b32 s0, vcc_lo
	s_cbranch_execnz .LBB228_2223
	s_branch .LBB228_2224
.Lfunc_end228:
	.size	_ZN4vllm22paged_attention_kernelIfhLi128ELi32ELi128ELNS_18Fp8KVCacheDataTypeE1ELb0ELi0EEEvPfS2_PT_PKS3_PKT0_S9_ifPKiSB_iPKfiiiSD_SD_iiiii, .Lfunc_end228-_ZN4vllm22paged_attention_kernelIfhLi128ELi32ELi128ELNS_18Fp8KVCacheDataTypeE1ELb0ELi0EEEvPfS2_PT_PKS3_PKT0_S9_ifPKiSB_iPKfiiiSD_SD_iiiii
                                        ; -- End function
	.set .L_ZN4vllm22paged_attention_kernelIfhLi128ELi32ELi128ELNS_18Fp8KVCacheDataTypeE1ELb0ELi0EEEvPfS2_PT_PKS3_PKT0_S9_ifPKiSB_iPKfiiiSD_SD_iiiii.num_vgpr, 128
	.set .L_ZN4vllm22paged_attention_kernelIfhLi128ELi32ELi128ELNS_18Fp8KVCacheDataTypeE1ELb0ELi0EEEvPfS2_PT_PKS3_PKT0_S9_ifPKiSB_iPKfiiiSD_SD_iiiii.num_agpr, 0
	.set .L_ZN4vllm22paged_attention_kernelIfhLi128ELi32ELi128ELNS_18Fp8KVCacheDataTypeE1ELb0ELi0EEEvPfS2_PT_PKS3_PKT0_S9_ifPKiSB_iPKfiiiSD_SD_iiiii.numbered_sgpr, 33
	.set .L_ZN4vllm22paged_attention_kernelIfhLi128ELi32ELi128ELNS_18Fp8KVCacheDataTypeE1ELb0ELi0EEEvPfS2_PT_PKS3_PKT0_S9_ifPKiSB_iPKfiiiSD_SD_iiiii.num_named_barrier, 0
	.set .L_ZN4vllm22paged_attention_kernelIfhLi128ELi32ELi128ELNS_18Fp8KVCacheDataTypeE1ELb0ELi0EEEvPfS2_PT_PKS3_PKT0_S9_ifPKiSB_iPKfiiiSD_SD_iiiii.private_seg_size, 1560
	.set .L_ZN4vllm22paged_attention_kernelIfhLi128ELi32ELi128ELNS_18Fp8KVCacheDataTypeE1ELb0ELi0EEEvPfS2_PT_PKS3_PKT0_S9_ifPKiSB_iPKfiiiSD_SD_iiiii.uses_vcc, 1
	.set .L_ZN4vllm22paged_attention_kernelIfhLi128ELi32ELi128ELNS_18Fp8KVCacheDataTypeE1ELb0ELi0EEEvPfS2_PT_PKS3_PKT0_S9_ifPKiSB_iPKfiiiSD_SD_iiiii.uses_flat_scratch, 1
	.set .L_ZN4vllm22paged_attention_kernelIfhLi128ELi32ELi128ELNS_18Fp8KVCacheDataTypeE1ELb0ELi0EEEvPfS2_PT_PKS3_PKT0_S9_ifPKiSB_iPKfiiiSD_SD_iiiii.has_dyn_sized_stack, 0
	.set .L_ZN4vllm22paged_attention_kernelIfhLi128ELi32ELi128ELNS_18Fp8KVCacheDataTypeE1ELb0ELi0EEEvPfS2_PT_PKS3_PKT0_S9_ifPKiSB_iPKfiiiSD_SD_iiiii.has_recursion, 0
	.set .L_ZN4vllm22paged_attention_kernelIfhLi128ELi32ELi128ELNS_18Fp8KVCacheDataTypeE1ELb0ELi0EEEvPfS2_PT_PKS3_PKT0_S9_ifPKiSB_iPKfiiiSD_SD_iiiii.has_indirect_call, 0
	.section	.AMDGPU.csdata,"",@progbits
; Function info:
; codeLenInByte = 91852
; TotalNumSgprs: 35
; NumVgprs: 128
; ScratchSize: 1560
; MemoryBound: 0
	.section	.text._ZN4vllm25paged_attention_v1_kernelIfhLi128ELi32ELi128ELNS_18Fp8KVCacheDataTypeE1ELb0EEEvPT_PKS2_PKT0_S8_ifPKiSA_iPKfiiiSC_SC_iiiii,"axG",@progbits,_ZN4vllm25paged_attention_v1_kernelIfhLi128ELi32ELi128ELNS_18Fp8KVCacheDataTypeE1ELb0EEEvPT_PKS2_PKT0_S8_ifPKiSA_iPKfiiiSC_SC_iiiii,comdat
	.protected	_ZN4vllm25paged_attention_v1_kernelIfhLi128ELi32ELi128ELNS_18Fp8KVCacheDataTypeE1ELb0EEEvPT_PKS2_PKT0_S8_ifPKiSA_iPKfiiiSC_SC_iiiii ; -- Begin function _ZN4vllm25paged_attention_v1_kernelIfhLi128ELi32ELi128ELNS_18Fp8KVCacheDataTypeE1ELb0EEEvPT_PKS2_PKT0_S8_ifPKiSA_iPKfiiiSC_SC_iiiii
	.globl	_ZN4vllm25paged_attention_v1_kernelIfhLi128ELi32ELi128ELNS_18Fp8KVCacheDataTypeE1ELb0EEEvPT_PKS2_PKT0_S8_ifPKiSA_iPKfiiiSC_SC_iiiii
	.p2align	8
	.type	_ZN4vllm25paged_attention_v1_kernelIfhLi128ELi32ELi128ELNS_18Fp8KVCacheDataTypeE1ELb0EEEvPT_PKS2_PKT0_S8_ifPKiSA_iPKfiiiSC_SC_iiiii,@function
_ZN4vllm25paged_attention_v1_kernelIfhLi128ELi32ELi128ELNS_18Fp8KVCacheDataTypeE1ELb0EEEvPT_PKS2_PKT0_S8_ifPKiSA_iPKfiiiSC_SC_iiiii: ; @_ZN4vllm25paged_attention_v1_kernelIfhLi128ELi32ELi128ELNS_18Fp8KVCacheDataTypeE1ELb0EEEvPT_PKS2_PKT0_S8_ifPKiSA_iPKfiiiSC_SC_iiiii
; %bb.0:
	s_clause 0x5
	s_load_b256 s[12:19], s[0:1], 0x0
	s_load_b128 s[4:7], s[0:1], 0x20
	s_load_b96 s[20:22], s[0:1], 0x30
	s_load_b64 s[10:11], s[0:1], 0x40
	s_load_b96 s[28:30], s[0:1], 0x48
	s_load_b128 s[24:27], s[0:1], 0x58
	v_mov_b32_e32 v31, v0
	s_get_pc_i64 s[2:3]
	s_add_nc_u64 s[2:3], s[2:3], _ZN4vllm22paged_attention_kernelIfhLi128ELi32ELi128ELNS_18Fp8KVCacheDataTypeE1ELb0ELi0EEEvPfS2_PT_PKS3_PKT0_S9_ifPKiSB_iPKfiiiSD_SD_iiiii@rel64+4
	s_add_nc_u64 s[8:9], s[0:1], 0x80
	s_mov_b32 s32, 0
	s_wait_kmcnt 0x0
	v_dual_mov_b32 v0, s12 :: v_dual_mov_b32 v1, s13
	v_dual_mov_b32 v2, s14 :: v_dual_mov_b32 v3, s15
	;; [unrolled: 1-line block ×12, first 2 shown]
	s_mov_b32 s15, 20
	s_swap_pc_i64 s[30:31], s[2:3]
	s_endpgm
	.section	.rodata,"a",@progbits
	.p2align	6, 0x0
	.amdhsa_kernel _ZN4vllm25paged_attention_v1_kernelIfhLi128ELi32ELi128ELNS_18Fp8KVCacheDataTypeE1ELb0EEEvPT_PKS2_PKT0_S8_ifPKiSA_iPKfiiiSC_SC_iiiii
		.amdhsa_group_segment_fixed_size 544
		.amdhsa_private_segment_fixed_size 1560
		.amdhsa_kernarg_size 384
		.amdhsa_user_sgpr_count 2
		.amdhsa_user_sgpr_dispatch_ptr 0
		.amdhsa_user_sgpr_queue_ptr 0
		.amdhsa_user_sgpr_kernarg_segment_ptr 1
		.amdhsa_user_sgpr_dispatch_id 0
		.amdhsa_user_sgpr_kernarg_preload_length 0
		.amdhsa_user_sgpr_kernarg_preload_offset 0
		.amdhsa_user_sgpr_private_segment_size 0
		.amdhsa_wavefront_size32 1
		.amdhsa_uses_dynamic_stack 0
		.amdhsa_enable_private_segment 1
		.amdhsa_system_sgpr_workgroup_id_x 1
		.amdhsa_system_sgpr_workgroup_id_y 1
		.amdhsa_system_sgpr_workgroup_id_z 1
		.amdhsa_system_sgpr_workgroup_info 0
		.amdhsa_system_vgpr_workitem_id 0
		.amdhsa_next_free_vgpr 128
		.amdhsa_next_free_sgpr 33
		.amdhsa_named_barrier_count 0
		.amdhsa_reserve_vcc 1
		.amdhsa_float_round_mode_32 0
		.amdhsa_float_round_mode_16_64 0
		.amdhsa_float_denorm_mode_32 3
		.amdhsa_float_denorm_mode_16_64 3
		.amdhsa_fp16_overflow 0
		.amdhsa_memory_ordered 1
		.amdhsa_forward_progress 1
		.amdhsa_inst_pref_size 2
		.amdhsa_round_robin_scheduling 0
		.amdhsa_exception_fp_ieee_invalid_op 0
		.amdhsa_exception_fp_denorm_src 0
		.amdhsa_exception_fp_ieee_div_zero 0
		.amdhsa_exception_fp_ieee_overflow 0
		.amdhsa_exception_fp_ieee_underflow 0
		.amdhsa_exception_fp_ieee_inexact 0
		.amdhsa_exception_int_div_zero 0
	.end_amdhsa_kernel
	.section	.text._ZN4vllm25paged_attention_v1_kernelIfhLi128ELi32ELi128ELNS_18Fp8KVCacheDataTypeE1ELb0EEEvPT_PKS2_PKT0_S8_ifPKiSA_iPKfiiiSC_SC_iiiii,"axG",@progbits,_ZN4vllm25paged_attention_v1_kernelIfhLi128ELi32ELi128ELNS_18Fp8KVCacheDataTypeE1ELb0EEEvPT_PKS2_PKT0_S8_ifPKiSA_iPKfiiiSC_SC_iiiii,comdat
.Lfunc_end229:
	.size	_ZN4vllm25paged_attention_v1_kernelIfhLi128ELi32ELi128ELNS_18Fp8KVCacheDataTypeE1ELb0EEEvPT_PKS2_PKT0_S8_ifPKiSA_iPKfiiiSC_SC_iiiii, .Lfunc_end229-_ZN4vllm25paged_attention_v1_kernelIfhLi128ELi32ELi128ELNS_18Fp8KVCacheDataTypeE1ELb0EEEvPT_PKS2_PKT0_S8_ifPKiSA_iPKfiiiSC_SC_iiiii
                                        ; -- End function
	.set _ZN4vllm25paged_attention_v1_kernelIfhLi128ELi32ELi128ELNS_18Fp8KVCacheDataTypeE1ELb0EEEvPT_PKS2_PKT0_S8_ifPKiSA_iPKfiiiSC_SC_iiiii.num_vgpr, max(32, .L_ZN4vllm22paged_attention_kernelIfhLi128ELi32ELi128ELNS_18Fp8KVCacheDataTypeE1ELb0ELi0EEEvPfS2_PT_PKS3_PKT0_S9_ifPKiSB_iPKfiiiSD_SD_iiiii.num_vgpr)
	.set _ZN4vllm25paged_attention_v1_kernelIfhLi128ELi32ELi128ELNS_18Fp8KVCacheDataTypeE1ELb0EEEvPT_PKS2_PKT0_S8_ifPKiSA_iPKfiiiSC_SC_iiiii.num_agpr, max(0, .L_ZN4vllm22paged_attention_kernelIfhLi128ELi32ELi128ELNS_18Fp8KVCacheDataTypeE1ELb0ELi0EEEvPfS2_PT_PKS3_PKT0_S9_ifPKiSB_iPKfiiiSD_SD_iiiii.num_agpr)
	.set _ZN4vllm25paged_attention_v1_kernelIfhLi128ELi32ELi128ELNS_18Fp8KVCacheDataTypeE1ELb0EEEvPT_PKS2_PKT0_S8_ifPKiSA_iPKfiiiSC_SC_iiiii.numbered_sgpr, max(33, .L_ZN4vllm22paged_attention_kernelIfhLi128ELi32ELi128ELNS_18Fp8KVCacheDataTypeE1ELb0ELi0EEEvPfS2_PT_PKS3_PKT0_S9_ifPKiSB_iPKfiiiSD_SD_iiiii.numbered_sgpr)
	.set _ZN4vllm25paged_attention_v1_kernelIfhLi128ELi32ELi128ELNS_18Fp8KVCacheDataTypeE1ELb0EEEvPT_PKS2_PKT0_S8_ifPKiSA_iPKfiiiSC_SC_iiiii.num_named_barrier, max(0, .L_ZN4vllm22paged_attention_kernelIfhLi128ELi32ELi128ELNS_18Fp8KVCacheDataTypeE1ELb0ELi0EEEvPfS2_PT_PKS3_PKT0_S9_ifPKiSB_iPKfiiiSD_SD_iiiii.num_named_barrier)
	.set _ZN4vllm25paged_attention_v1_kernelIfhLi128ELi32ELi128ELNS_18Fp8KVCacheDataTypeE1ELb0EEEvPT_PKS2_PKT0_S8_ifPKiSA_iPKfiiiSC_SC_iiiii.private_seg_size, 0+max(.L_ZN4vllm22paged_attention_kernelIfhLi128ELi32ELi128ELNS_18Fp8KVCacheDataTypeE1ELb0ELi0EEEvPfS2_PT_PKS3_PKT0_S9_ifPKiSB_iPKfiiiSD_SD_iiiii.private_seg_size)
	.set _ZN4vllm25paged_attention_v1_kernelIfhLi128ELi32ELi128ELNS_18Fp8KVCacheDataTypeE1ELb0EEEvPT_PKS2_PKT0_S8_ifPKiSA_iPKfiiiSC_SC_iiiii.uses_vcc, or(1, .L_ZN4vllm22paged_attention_kernelIfhLi128ELi32ELi128ELNS_18Fp8KVCacheDataTypeE1ELb0ELi0EEEvPfS2_PT_PKS3_PKT0_S9_ifPKiSB_iPKfiiiSD_SD_iiiii.uses_vcc)
	.set _ZN4vllm25paged_attention_v1_kernelIfhLi128ELi32ELi128ELNS_18Fp8KVCacheDataTypeE1ELb0EEEvPT_PKS2_PKT0_S8_ifPKiSA_iPKfiiiSC_SC_iiiii.uses_flat_scratch, or(0, .L_ZN4vllm22paged_attention_kernelIfhLi128ELi32ELi128ELNS_18Fp8KVCacheDataTypeE1ELb0ELi0EEEvPfS2_PT_PKS3_PKT0_S9_ifPKiSB_iPKfiiiSD_SD_iiiii.uses_flat_scratch)
	.set _ZN4vllm25paged_attention_v1_kernelIfhLi128ELi32ELi128ELNS_18Fp8KVCacheDataTypeE1ELb0EEEvPT_PKS2_PKT0_S8_ifPKiSA_iPKfiiiSC_SC_iiiii.has_dyn_sized_stack, or(0, .L_ZN4vllm22paged_attention_kernelIfhLi128ELi32ELi128ELNS_18Fp8KVCacheDataTypeE1ELb0ELi0EEEvPfS2_PT_PKS3_PKT0_S9_ifPKiSB_iPKfiiiSD_SD_iiiii.has_dyn_sized_stack)
	.set _ZN4vllm25paged_attention_v1_kernelIfhLi128ELi32ELi128ELNS_18Fp8KVCacheDataTypeE1ELb0EEEvPT_PKS2_PKT0_S8_ifPKiSA_iPKfiiiSC_SC_iiiii.has_recursion, or(0, .L_ZN4vllm22paged_attention_kernelIfhLi128ELi32ELi128ELNS_18Fp8KVCacheDataTypeE1ELb0ELi0EEEvPfS2_PT_PKS3_PKT0_S9_ifPKiSB_iPKfiiiSD_SD_iiiii.has_recursion)
	.set _ZN4vllm25paged_attention_v1_kernelIfhLi128ELi32ELi128ELNS_18Fp8KVCacheDataTypeE1ELb0EEEvPT_PKS2_PKT0_S8_ifPKiSA_iPKfiiiSC_SC_iiiii.has_indirect_call, or(0, .L_ZN4vllm22paged_attention_kernelIfhLi128ELi32ELi128ELNS_18Fp8KVCacheDataTypeE1ELb0ELi0EEEvPfS2_PT_PKS3_PKT0_S9_ifPKiSB_iPKfiiiSD_SD_iiiii.has_indirect_call)
	.section	.AMDGPU.csdata,"",@progbits
; Kernel info:
; codeLenInByte = 196
; TotalNumSgprs: 35
; NumVgprs: 128
; ScratchSize: 1560
; MemoryBound: 0
; FloatMode: 240
; IeeeMode: 1
; LDSByteSize: 544 bytes/workgroup (compile time only)
; SGPRBlocks: 0
; VGPRBlocks: 7
; NumSGPRsForWavesPerEU: 35
; NumVGPRsForWavesPerEU: 128
; NamedBarCnt: 0
; Occupancy: 8
; WaveLimiterHint : 1
; COMPUTE_PGM_RSRC2:SCRATCH_EN: 1
; COMPUTE_PGM_RSRC2:USER_SGPR: 2
; COMPUTE_PGM_RSRC2:TRAP_HANDLER: 0
; COMPUTE_PGM_RSRC2:TGID_X_EN: 1
; COMPUTE_PGM_RSRC2:TGID_Y_EN: 1
; COMPUTE_PGM_RSRC2:TGID_Z_EN: 1
; COMPUTE_PGM_RSRC2:TIDIG_COMP_CNT: 0
	.text
	.p2align	2                               ; -- Begin function _ZN4vllm22paged_attention_kernelIfhLi192ELi32ELi128ELNS_18Fp8KVCacheDataTypeE1ELb0ELi0EEEvPfS2_PT_PKS3_PKT0_S9_ifPKiSB_iPKfiiiSD_SD_iiiii
	.type	_ZN4vllm22paged_attention_kernelIfhLi192ELi32ELi128ELNS_18Fp8KVCacheDataTypeE1ELb0ELi0EEEvPfS2_PT_PKS3_PKT0_S9_ifPKiSB_iPKfiiiSD_SD_iiiii,@function
_ZN4vllm22paged_attention_kernelIfhLi192ELi32ELi128ELNS_18Fp8KVCacheDataTypeE1ELb0ELi0EEEvPfS2_PT_PKS3_PKT0_S9_ifPKiSB_iPKfiiiSD_SD_iiiii: ; @_ZN4vllm22paged_attention_kernelIfhLi192ELi32ELi128ELNS_18Fp8KVCacheDataTypeE1ELb0ELi0EEEvPfS2_PT_PKS3_PKT0_S9_ifPKiSB_iPKfiiiSD_SD_iiiii
; %bb.0:
	s_wait_loadcnt_dscnt 0x0
	s_wait_kmcnt 0x0
	s_clause 0x2f
	scratch_store_b32 off, v40, s32 offset:188
	; meta instruction
	scratch_store_b32 off, v41, s32 offset:184
	; meta instruction
	;; [unrolled: 2-line block ×47, first 2 shown]
	scratch_store_b32 off, v127, s32
	s_bfe_u32 s0, ttmp6, 0x4000c
	s_bfe_u32 s2, ttmp6, 0x40010
	s_add_co_i32 s0, s0, 1
	s_and_b32 s1, ttmp6, 15
	s_mul_i32 s0, ttmp9, s0
	s_and_b32 s3, ttmp7, 0xffff
	s_add_co_i32 s2, s2, 1
	s_add_co_i32 s0, s1, s0
	s_mul_i32 s1, s3, s2
	s_bfe_u32 s2, ttmp6, 0x40004
	s_getreg_b32 s12, hwreg(HW_REG_IB_STS2, 6, 4)
	s_add_co_i32 s2, s2, s1
	s_cmp_eq_u32 s12, 0
	s_mov_b32 s1, 0
	s_cselect_b32 s13, s3, s2
	s_cselect_b32 s2, ttmp9, s0
	s_lshl_b32 s0, s13, 2
	s_clause 0x6
	scratch_store_b64 off, v[22:23], s32 offset:2360
	scratch_store_b64 off, v[20:21], s32 offset:1532
	;; [unrolled: 1-line block ×4, first 2 shown]
	scratch_store_b32 off, v9, s32 offset:1540
	scratch_store_b64 off, v[6:7], s32 offset:2368
	scratch_store_b64 off, v[0:1], s32 offset:2376
	s_wait_xcnt 0x1
	v_add_nc_u64_e32 v[6:7], s[0:1], v[12:13]
	s_wait_xcnt 0x0
	v_mov_b32_e32 v1, 0
	s_clause 0x1
	s_load_u16 s0, s[8:9], 0x12
	s_load_b32 s3, s[8:9], 0x0
	v_dual_mov_b32 v25, v16 :: v_dual_mov_b32 v24, v15
	s_mov_b32 s10, s15
	flat_load_b32 v6, v[6:7]
	s_mov_b32 s4, exec_lo
	s_wait_kmcnt 0x0
	s_cmp_lg_u32 s0, 0
	s_cselect_b32 s0, -1, 0
	s_delay_alu instid0(SALU_CYCLE_1) | instskip(SKIP_1) | instid1(SALU_CYCLE_1)
	s_cmp_lg_u32 s0, 0
	s_add_co_ci_u32 s14, s3, 0
	s_abs_i32 s0, s14
	s_wait_loadcnt_dscnt 0x0
	scratch_store_b64 off, v[6:7], s32 offset:200 ; 8-byte Folded Spill
	s_wait_xcnt 0x0
	v_sub_nc_u32_e32 v6, 0, v8
	global_load_u16 v0, v1, s[8:9] offset:22
	v_max_i32_e32 v6, v8, v6
	v_xor_b32_e32 v8, s14, v8
	s_delay_alu instid0(VALU_DEP_2) | instskip(NEXT) | instid1(VALU_DEP_2)
	v_cvt_f32_u32_e32 v7, v6
	v_ashrrev_i32_e32 v8, 31, v8
	s_delay_alu instid0(VALU_DEP_2) | instskip(SKIP_1) | instid1(TRANS32_DEP_1)
	v_rcp_iflag_f32_e32 v7, v7
	v_nop
	v_mul_f32_e32 v7, 0x4f7ffffe, v7
	v_sub_nc_u32_e32 v9, 0, v6
	s_delay_alu instid0(VALU_DEP_2) | instskip(NEXT) | instid1(VALU_DEP_1)
	v_cvt_u32_f32_e32 v7, v7
	v_mul_lo_u32 v9, v9, v7
	s_delay_alu instid0(VALU_DEP_1) | instskip(NEXT) | instid1(VALU_DEP_1)
	v_mul_hi_u32 v9, v7, v9
	v_add_nc_u32_e32 v7, v7, v9
	s_delay_alu instid0(VALU_DEP_1) | instskip(NEXT) | instid1(VALU_DEP_1)
	v_mul_hi_u32 v7, s0, v7
	v_mul_lo_u32 v9, v7, v6
	s_delay_alu instid0(VALU_DEP_1) | instskip(SKIP_1) | instid1(VALU_DEP_1)
	v_dual_add_nc_u32 v10, 1, v7 :: v_dual_sub_nc_u32 v9, s0, v9
	s_abs_i32 s0, s2
	v_sub_nc_u32_e32 v11, v9, v6
	v_cmp_ge_u32_e32 vcc_lo, v9, v6
	s_delay_alu instid0(VALU_DEP_2) | instskip(NEXT) | instid1(VALU_DEP_1)
	v_dual_cndmask_b32 v7, v7, v10, vcc_lo :: v_dual_cndmask_b32 v9, v9, v11, vcc_lo
	v_add_nc_u32_e32 v10, 1, v7
	s_delay_alu instid0(VALU_DEP_2) | instskip(NEXT) | instid1(VALU_DEP_2)
	v_cmp_ge_u32_e32 vcc_lo, v9, v6
	v_cndmask_b32_e32 v6, v7, v10, vcc_lo
	s_delay_alu instid0(VALU_DEP_1) | instskip(NEXT) | instid1(VALU_DEP_1)
	v_xor_b32_e32 v6, v6, v8
	v_sub_nc_u32_e32 v7, v6, v8
	s_delay_alu instid0(VALU_DEP_1) | instskip(NEXT) | instid1(VALU_DEP_1)
	v_sub_nc_u32_e32 v6, 0, v7
	v_max_i32_e32 v6, v7, v6
	s_delay_alu instid0(VALU_DEP_1) | instskip(SKIP_1) | instid1(VALU_DEP_2)
	v_cvt_f32_u32_e32 v8, v6
	v_sub_nc_u32_e32 v9, 0, v6
	v_rcp_iflag_f32_e32 v8, v8
	v_nop
	s_delay_alu instid0(TRANS32_DEP_1) | instskip(NEXT) | instid1(VALU_DEP_1)
	v_mul_f32_e32 v8, 0x4f7ffffe, v8
	v_cvt_u32_f32_e32 v8, v8
	s_delay_alu instid0(VALU_DEP_1) | instskip(NEXT) | instid1(VALU_DEP_1)
	v_mul_lo_u32 v9, v9, v8
	v_mul_hi_u32 v9, v8, v9
	s_wait_loadcnt 0x0
	v_readfirstlane_b32 s15, v0
	s_delay_alu instid0(VALU_DEP_2)
	v_dual_add_nc_u32 v0, v8, v9 :: v_dual_mov_b32 v8, v1
	scratch_store_b32 off, v8, s32 offset:1528 ; 4-byte Folded Spill
	s_wait_xcnt 0x0
	v_cmpx_ne_u64_e32 0, v[24:25]
	s_cbranch_execz .LBB230_2
; %bb.1:
	s_ashr_i32 s3, s2, 31
	s_delay_alu instid0(SALU_CYCLE_1)
	v_lshl_add_u64 v[8:9], s[2:3], 2, v[24:25]
	flat_load_b32 v8, v[8:9]
	s_wait_loadcnt_dscnt 0x0
	scratch_store_b32 off, v8, s32 offset:1528 ; 4-byte Folded Spill
.LBB230_2:
	s_wait_xcnt 0x0
	s_or_b32 exec_lo, exec_lo, s4
	v_mul_u64_e32 v[0:1], s[0:1], v[0:1]
	v_and_b32_e32 v24, 0x3ff, v31
	v_ashrrev_i32_e32 v0, 31, v7
	s_ashr_i32 s1, s2, 31
	s_mul_i32 s4, s2, 0xc0
	s_mov_b32 s2, exec_lo
	v_cmpx_gt_u32_e32 48, v24
	s_cbranch_execz .LBB230_4
; %bb.3:
	v_mul_lo_u32 v8, v17, s13
	s_ashr_i32 s5, s4, 31
	v_dual_mov_b32 v13, 0 :: v_dual_lshlrev_b32 v12, 4, v24
	s_delay_alu instid0(VALU_DEP_2) | instskip(NEXT) | instid1(VALU_DEP_1)
	v_ashrrev_i32_e32 v9, 31, v8
	v_lshl_add_u64 v[2:3], v[8:9], 2, v[2:3]
	s_delay_alu instid0(VALU_DEP_1) | instskip(NEXT) | instid1(VALU_DEP_1)
	v_lshl_add_u64 v[2:3], s[4:5], 2, v[2:3]
	v_add_nc_u64_e32 v[2:3], v[2:3], v[12:13]
	flat_load_b128 v[8:11], v[2:3]
	s_wait_loadcnt_dscnt 0x0
	ds_store_b128 v12, v[8:11]
.LBB230_4:
	s_wait_xcnt 0x0
	s_or_b32 exec_lo, exec_lo, s2
	scratch_load_b64 v[8:9], off, s32 offset:200 ; 8-byte Folded Reload
	v_mul_lo_u32 v2, v1, v6
	s_load_b32 s5, s[8:9], 0x8
	s_get_pc_i64 s[6:7]
	s_add_nc_u64 s[6:7], s[6:7], llvm.amdgcn.dynlds.offset.table@rel64+4
	v_dual_mov_b32 v10, 0xff7fffff :: v_dual_add_nc_u32 v3, 1, v1
	s_delay_alu instid0(VALU_DEP_2) | instskip(NEXT) | instid1(VALU_DEP_1)
	v_sub_nc_u32_e32 v2, s0, v2
	v_cmp_ge_u32_e32 vcc_lo, v2, v6
	s_delay_alu instid0(VALU_DEP_3) | instskip(NEXT) | instid1(VALU_DEP_1)
	v_dual_sub_nc_u32 v7, v2, v6 :: v_dual_cndmask_b32 v1, v1, v3, vcc_lo
	v_dual_cndmask_b32 v2, v2, v7 :: v_dual_add_nc_u32 v3, 1, v1
	s_delay_alu instid0(VALU_DEP_1) | instskip(SKIP_1) | instid1(VALU_DEP_3)
	v_cmp_ge_u32_e32 vcc_lo, v2, v6
	v_mul_lo_u32 v6, v14, s13
	v_dual_cndmask_b32 v1, v1, v3, vcc_lo :: v_dual_lshrrev_b32 v3, 3, v24
	s_wait_loadcnt 0x0
	v_add_nc_u32_e32 v7, 31, v8
	s_delay_alu instid0(VALU_DEP_1) | instskip(NEXT) | instid1(VALU_DEP_1)
	v_dual_ashrrev_i32 v2, 31, v7 :: v_dual_bitop2_b32 v0, s1, v0 bitop3:0x14
	v_dual_lshrrev_b32 v2, 27, v2 :: v_dual_bitop2_b32 v1, v1, v0 bitop3:0x14
	s_delay_alu instid0(VALU_DEP_1) | instskip(NEXT) | instid1(VALU_DEP_1)
	v_dual_sub_nc_u32 v0, v1, v0 :: v_dual_add_nc_u32 v1, v7, v2
	v_mul_lo_u32 v8, v0, v19
	v_dual_lshrrev_b32 v0, 5, v24 :: v_dual_bitop2_b32 v2, 31, v24 bitop3:0x40
	s_delay_alu instid0(VALU_DEP_3)
	v_dual_ashrrev_i32 v7, 31, v6 :: v_dual_ashrrev_i32 v1, 5, v1
	s_clause 0x1
	scratch_store_b32 off, v3, s32 offset:2356
	scratch_store_b64 off, v[6:7], s32 offset:2348
	v_cmp_ge_i32_e64 s0, v0, v1
	s_clause 0x1
	scratch_store_b32 off, v0, s32 offset:2328
	scratch_store_b32 off, v1, s32 offset:208
	v_ashrrev_i32_e32 v9, 31, v8
	v_cmp_lt_i32_e32 vcc_lo, v0, v1
	s_clause 0x1
	scratch_store_b64 off, v[8:9], s32 offset:2332
	scratch_store_b32 off, v2, s32 offset:2324
	s_wait_xcnt 0x1
	v_lshlrev_b32_e32 v9, 2, v2
	s_wait_storecnt_dscnt 0x0
	s_barrier_signal -1
	s_barrier_wait -1
	s_wait_xcnt 0x0
	s_mov_b32 s2, exec_lo
	s_delay_alu instid0(SALU_CYCLE_1)
	s_and_b32 s1, s2, vcc_lo
	scratch_store_b32 off, v24, s32 offset:2320 ; 4-byte Folded Spill
	s_wait_xcnt 0x0
	s_mov_b32 exec_lo, s1
	s_cbranch_execz .LBB230_1544
; %bb.5:
	s_clause 0x3
	scratch_load_b64 v[0:1], off, s32 offset:2332
	scratch_load_b32 v2, off, s32 offset:2324
	scratch_load_b32 v51, off, s32 offset:2328
	;; [unrolled: 1-line block ×3, first 2 shown]
	s_ashr_i32 s11, s10, 31
	s_mov_b32 s3, 0
	s_lshl_b64 s[8:9], s[10:11], 2
	v_mov_b32_e32 v13, 0
	s_add_nc_u64 s[8:9], s[6:7], s[8:9]
	v_mov_b32_e32 v10, 0xff7fffff
	s_load_b32 s1, s[8:9], 0x0
	s_wait_loadcnt 0x3
	v_add_nc_u64_e32 v[0:1], v[4:5], v[0:1]
	s_wait_loadcnt 0x2
	v_lshlrev_b32_e32 v12, 4, v2
	s_wait_loadcnt 0x1
	v_lshl_or_b32 v112, v51, 5, v2
	v_lshl_or_b32 v2, v51, 7, v9
	s_wait_loadcnt 0x0
	v_cmp_neq_f32_e32 vcc_lo, 0, v3
	ds_load_b128 v[4:7], v13
	v_add_nc_u64_e32 v[0:1], v[0:1], v[12:13]
	s_wait_kmcnt 0x0
	v_add_nc_u32_e32 v114, s1, v2
	s_clause 0x1
	scratch_store_b64 off, v[0:1], s32 offset:1544
	scratch_load_b32 v0, off, s32 offset:2356
	s_wait_dscnt 0x0
	scratch_store_b128 off, v[4:7], s32 offset:1552 ; 16-byte Folded Spill
	s_wait_xcnt 0x0
	ds_load_b128 v[4:7], v13 offset:16
	s_wait_dscnt 0x0
	scratch_store_b128 off, v[4:7], s32 offset:1568 ; 16-byte Folded Spill
	s_wait_xcnt 0x0
	ds_load_b128 v[4:7], v13 offset:32
	;; [unrolled: 4-line block ×7, first 2 shown]
	s_wait_dscnt 0x0
	s_clause 0x1
	scratch_store_b128 off, v[4:7], s32 offset:1664
	scratch_load_b64 v[4:5], off, s32 offset:2340
	s_wait_loadcnt 0x1
	v_and_b32_e32 v12, 0x7c, v0
	scratch_load_b64 v[0:1], off, s32 offset:2348 ; 8-byte Folded Reload
	s_wait_loadcnt 0x0
	v_lshl_add_u64 v[0:1], v[0:1], 2, v[12:13]
	s_delay_alu instid0(VALU_DEP_1)
	v_add_nc_u64_e32 v[0:1], v[4:5], v[0:1]
	ds_load_b128 v[2:5], v13 offset:128
	s_wait_dscnt 0x0
	scratch_store_b128 off, v[2:5], s32 offset:1680 ; 16-byte Folded Spill
	s_wait_xcnt 0x0
	ds_load_b128 v[2:5], v13 offset:144
	s_wait_dscnt 0x0
	scratch_store_b128 off, v[2:5], s32 offset:1696 ; 16-byte Folded Spill
	s_wait_xcnt 0x0
	;; [unrolled: 4-line block ×39, first 2 shown]
	v_mov_b32_e32 v3, v13
	s_clause 0x1
	scratch_store_b32 off, v9, s32 offset:2384
	scratch_store_b64 off, v[2:3], s32 offset:192
	s_wait_xcnt 0x0
	ds_load_b128 v[2:5], v13 offset:752
	s_wait_dscnt 0x0
	scratch_store_b128 off, v[2:5], s32 offset:2304 ; 16-byte Folded Spill
	s_branch .LBB230_10
.LBB230_6:                              ;   in Loop: Header=BB230_10 Depth=1
	s_or_b32 exec_lo, exec_lo, s16
	s_delay_alu instid0(VALU_DEP_1) | instskip(SKIP_2) | instid1(VALU_DEP_3)
	v_dual_lshlrev_b32 v22, 24, v93 :: v_dual_lshlrev_b32 v23, 20, v54
	v_lshl_add_u32 v50, v92, 23, 0x3c000000
	v_mov_b32_e32 v4, v99
	v_and_b32_e32 v22, 0x80000000, v22
	s_delay_alu instid0(VALU_DEP_1)
	v_or3_b32 v5, v23, v22, v50
	v_mov_b32_e32 v23, v99
	scratch_store_b64 off, v[22:23], s32 offset:192 ; 8-byte Folded Spill
.LBB230_7:                              ;   in Loop: Header=BB230_10 Depth=1
	s_wait_xcnt 0x0
	s_or_b32 exec_lo, exec_lo, s11
.LBB230_8:                              ;   in Loop: Header=BB230_10 Depth=1
	s_delay_alu instid0(SALU_CYCLE_1)
	s_or_b32 exec_lo, exec_lo, s9
	s_wait_loadcnt 0x1
	scratch_load_b32 v22, off, s32 offset:1280 ; 4-byte Folded Reload
	s_wait_loadcnt 0x1
	scratch_load_b32 v50, off, s32 offset:1276 ; 4-byte Folded Reload
	v_mov_b32_e32 v23, v51
.LBB230_9:                              ;   in Loop: Header=BB230_10 Depth=1
	s_wait_xcnt 0x0
	s_or_b32 exec_lo, exec_lo, s8
	v_or_b32_e32 v1, v95, v1
	v_or_b32_e32 v0, v94, v0
	;; [unrolled: 1-line block ×6, first 2 shown]
	scratch_store_b64 off, v[0:1], s32 offset:1512 ; 8-byte Folded Spill
	s_wait_xcnt 0x0
	v_or_b32_e32 v1, v107, v77
	v_or_b32_e32 v0, v106, v76
	;; [unrolled: 1-line block ×4, first 2 shown]
	s_clause 0x1
	scratch_store_b64 off, v[0:1], s32 offset:1496
	scratch_load_b64 v[0:1], off, s32 offset:1260 th:TH_LOAD_LU
	s_wait_loadcnt 0x0
	v_or_b32_e32 v1, v37, v1
	v_or_b32_e32 v0, v36, v0
	scratch_store_b64 off, v[0:1], s32 offset:1520 ; 8-byte Folded Spill
	s_wait_xcnt 0x0
	v_or_b32_e32 v1, v17, v89
	v_or_b32_e32 v0, v16, v88
	s_clause 0x1
	scratch_store_b64 off, v[54:55], s32 offset:1328
	scratch_store_b64 off, v[2:3], s32 offset:1312
	s_wait_xcnt 0x0
	v_or_b32_e32 v3, v119, v15
	v_or_b32_e32 v2, v118, v14
	s_clause 0x1
	scratch_store_b64 off, v[0:1], s32 offset:1260
	scratch_store_b64 off, v[2:3], s32 offset:1344
	s_wait_xcnt 0x0
	v_or_b32_e32 v3, v105, v79
	v_or_b32_e32 v2, v104, v78
	scratch_store_b64 off, v[2:3], s32 offset:1320 ; 8-byte Folded Spill
	s_wait_xcnt 0x0
	v_or_b32_e32 v3, v103, v63
	v_or_b32_e32 v2, v102, v62
	;; [unrolled: 1-line block ×4, first 2 shown]
	scratch_store_b64 off, v[2:3], s32 offset:1360 ; 8-byte Folded Spill
	s_wait_xcnt 0x0
	v_or_b32_e32 v3, v75, v43
	v_or_b32_e32 v2, v74, v42
	scratch_store_b64 off, v[2:3], s32 offset:1336 ; 8-byte Folded Spill
	s_wait_xcnt 0x0
	v_or_b32_e32 v3, v57, v87
	v_or_b32_e32 v2, v56, v86
	scratch_store_b64 off, v[2:3], s32 offset:1376 ; 8-byte Folded Spill
	s_wait_xcnt 0x0
	v_or_b32_e32 v3, v41, v115
	v_dual_mov_b32 v114, v50 :: v_dual_bitop2_b32 v2, v40, v114 bitop3:0x54
	scratch_store_b64 off, v[2:3], s32 offset:1352 ; 8-byte Folded Spill
	s_wait_xcnt 0x0
	v_or_b32_e32 v3, v61, v71
	v_or_b32_e32 v2, v60, v70
	scratch_store_b64 off, v[2:3], s32 offset:1392 ; 8-byte Folded Spill
	s_wait_xcnt 0x0
	v_or_b32_e32 v3, v65, v113
	v_dual_mov_b32 v113, v23 :: v_dual_bitop2_b32 v2, v64, v112 bitop3:0x54
	v_mov_b32_e32 v112, v22
	scratch_store_b64 off, v[2:3], s32 offset:1368 ; 8-byte Folded Spill
	s_wait_xcnt 0x0
	v_or_b32_e32 v3, v117, v81
	v_dual_add_nc_u32 v113, 4, v113 :: v_dual_bitop2_b32 v2, v116, v80 bitop3:0x54
	scratch_store_b64 off, v[2:3], s32 offset:1408 ; 8-byte Folded Spill
	s_wait_xcnt 0x0
	v_or_b32_e32 v3, v67, v85
	v_or_b32_e32 v2, v66, v84
	scratch_store_b64 off, v[2:3], s32 offset:1384 ; 8-byte Folded Spill
	s_wait_xcnt 0x0
	v_or_b32_e32 v3, v101, v31
	v_or_b32_e32 v2, v100, v30
	scratch_store_b64 off, v[2:3], s32 offset:1424 ; 8-byte Folded Spill
	s_wait_xcnt 0x0
	v_or_b32_e32 v3, v53, v69
	v_or_b32_e32 v2, v52, v68
	scratch_store_b64 off, v[2:3], s32 offset:1400 ; 8-byte Folded Spill
	s_wait_xcnt 0x0
	v_or_b32_e32 v3, v25, v13
	v_or_b32_e32 v2, v24, v12
	scratch_store_b64 off, v[2:3], s32 offset:1440 ; 8-byte Folded Spill
	s_wait_xcnt 0x0
	v_or_b32_e32 v3, v49, v9
	v_or_b32_e32 v2, v48, v8
	scratch_store_b64 off, v[2:3], s32 offset:1416 ; 8-byte Folded Spill
	s_wait_xcnt 0x0
	v_or_b32_e32 v3, v83, v109
	v_or_b32_e32 v2, v82, v108
	scratch_store_b64 off, v[2:3], s32 offset:1456 ; 8-byte Folded Spill
	s_wait_xcnt 0x0
	v_or_b32_e32 v3, v97, v27
	v_or_b32_e32 v2, v96, v26
	scratch_store_b64 off, v[2:3], s32 offset:1432 ; 8-byte Folded Spill
	s_wait_xcnt 0x0
	v_or_b32_e32 v3, v39, v21
	v_or_b32_e32 v2, v38, v20
	scratch_store_b64 off, v[2:3], s32 offset:1472 ; 8-byte Folded Spill
	s_wait_xcnt 0x0
	v_or_b32_e32 v3, v125, v19
	v_or_b32_e32 v2, v124, v18
	scratch_store_b64 off, v[2:3], s32 offset:1448 ; 8-byte Folded Spill
	s_wait_xcnt 0x0
	v_or_b32_e32 v3, v35, v127
	v_or_b32_e32 v2, v34, v126
	scratch_store_b64 off, v[2:3], s32 offset:1480 ; 8-byte Folded Spill
	s_wait_xcnt 0x0
	v_or_b32_e32 v3, v33, v29
	v_or_b32_e32 v2, v32, v28
	scratch_store_b64 off, v[2:3], s32 offset:1464 ; 8-byte Folded Spill
	s_wait_xcnt 0x0
	v_or_b32_e32 v3, v47, v111
	v_or_b32_e32 v2, v46, v110
	scratch_store_b64 off, v[2:3], s32 offset:1504 ; 8-byte Folded Spill
	s_wait_xcnt 0x0
	v_or_b32_e32 v3, v121, v123
	v_or_b32_e32 v2, v120, v122
	s_clause 0x2
	scratch_store_b64 off, v[2:3], s32 offset:1488
	scratch_load_b64 v[120:121], off, s32 offset:1252 th:TH_LOAD_LU
	scratch_load_b64 v[0:1], off, s32 offset:1236 th:TH_LOAD_LU
	s_wait_loadcnt 0x0
	v_or_b32_e32 v1, v121, v1
	v_or_b32_e32 v0, v120, v0
	s_clause 0x2
	scratch_store_b64 off, v[0:1], s32 offset:1252
	scratch_load_b64 v[0:1], off, s32 offset:1244 th:TH_LOAD_LU
	scratch_load_b64 v[2:3], off, s32 offset:1268 th:TH_LOAD_LU
	s_wait_loadcnt 0x0
	v_or_b32_e32 v1, v3, v1
	v_or_b32_e32 v0, v2, v0
	;; [unrolled: 7-line block ×15, first 2 shown]
	s_clause 0x1
	scratch_load_b64 v[0:1], off, s32 offset:1020 th:TH_LOAD_LU
	scratch_load_b64 v[2:3], off, s32 offset:1028 th:TH_LOAD_LU
	s_wait_loadcnt 0x0
	v_or_b32_e32 v1, v1, v3
	v_or_b32_e32 v0, v0, v2
	s_clause 0x2
	scratch_store_b64 off, v[0:1], s32 offset:1012
	scratch_load_b64 v[120:121], off, s32 offset:1004 th:TH_LOAD_LU
	scratch_load_b64 v[0:1], off, s32 offset:980 th:TH_LOAD_LU
	s_wait_loadcnt 0x0
	v_or_b32_e32 v73, v121, v1
	v_or_b32_e32 v72, v120, v0
	s_clause 0x1
	scratch_load_b64 v[0:1], off, s32 offset:988 th:TH_LOAD_LU
	scratch_load_b64 v[2:3], off, s32 offset:996 th:TH_LOAD_LU
	s_wait_loadcnt 0x0
	v_or_b32_e32 v43, v1, v3
	v_or_b32_e32 v42, v0, v2
	s_clause 0x1
	;; [unrolled: 6-line block ×49, first 2 shown]
	scratch_load_b64 v[0:1], off, s32 offset:228 th:TH_LOAD_LU
	scratch_load_b64 v[2:3], off, s32 offset:236 th:TH_LOAD_LU
	;; [unrolled: 1-line block ×3, first 2 shown]
	scratch_load_b128 v[8:11], off, s32 offset:1568
	scratch_load_b128 v[4:7], off, s32 offset:1584
	s_wait_loadcnt 0x3
	v_or_b32_e32 v49, v1, v3
	v_or_b32_e32 v48, v0, v2
	scratch_load_b128 v[0:3], off, s32 offset:1552 ; 16-byte Folded Reload
	s_wait_loadcnt 0x3
	v_pk_mul_f32 v[16:17], v[86:87], v[16:17] op_sel_hi:[0,1]
	v_pk_mul_f32 v[38:39], v[86:87], v[38:39] op_sel_hi:[0,1]
	;; [unrolled: 1-line block ×5, first 2 shown]
	s_wait_loadcnt 0x2
	v_pk_mul_f32 v[16:17], v[8:9], v[16:17]
	v_pk_mul_f32 v[12:13], v[86:87], v[12:13] op_sel_hi:[0,1]
	v_pk_mul_f32 v[24:25], v[10:11], v[24:25]
	v_pk_mul_f32 v[10:11], v[86:87], v[66:67] op_sel_hi:[0,1]
	s_wait_loadcnt 0x0
	v_pk_fma_f32 v[16:17], v[0:1], v[38:39], v[16:17]
	s_delay_alu instid0(VALU_DEP_1) | instskip(SKIP_1) | instid1(VALU_DEP_1)
	v_pk_fma_f32 v[16:17], v[4:5], v[36:37], v[16:17]
	v_pk_mul_f32 v[36:37], v[86:87], v[48:49] op_sel_hi:[0,1]
	v_pk_fma_f32 v[24:25], v[2:3], v[36:37], v[24:25]
	scratch_load_b128 v[0:3], off, s32 offset:1600 ; 16-byte Folded Reload
	v_pk_fma_f32 v[8:9], v[6:7], v[20:21], v[24:25]
	scratch_load_b128 v[4:7], off, s32 offset:1616 ; 16-byte Folded Reload
	v_pk_mul_f32 v[24:25], v[86:87], v[34:35] op_sel_hi:[0,1]
	scratch_load_b128 v[34:37], off, s32 offset:1632 ; 16-byte Folded Reload
	s_wait_loadcnt 0x2
	v_pk_fma_f32 v[16:17], v[0:1], v[24:25], v[16:17]
	v_pk_mul_f32 v[24:25], v[86:87], v[84:85] op_sel_hi:[0,1]
	scratch_load_b128 v[82:85], off, s32 offset:1648 ; 16-byte Folded Reload
	v_pk_mul_f32 v[0:1], v[86:87], v[50:51] op_sel_hi:[0,1]
	scratch_load_b128 v[48:51], off, s32 offset:1904 ; 16-byte Folded Reload
	s_wait_loadcnt 0x3
	v_pk_fma_f32 v[16:17], v[4:5], v[24:25], v[16:17]
	v_pk_mul_f32 v[24:25], v[86:87], v[68:69] op_sel_hi:[0,1]
	scratch_load_b128 v[66:69], off, s32 offset:1744 ; 16-byte Folded Reload
	v_pk_mul_f32 v[4:5], v[86:87], v[52:53] op_sel_hi:[0,1]
	s_wait_loadcnt 0x3
	v_pk_fma_f32 v[16:17], v[34:35], v[24:25], v[16:17]
	s_wait_loadcnt 0x2
	s_delay_alu instid0(VALU_DEP_1)
	v_pk_fma_f32 v[12:13], v[82:83], v[12:13], v[16:17]
	v_pk_mul_f32 v[16:17], v[86:87], v[26:27] op_sel_hi:[0,1]
	scratch_load_b128 v[24:27], off, s32 offset:1664 ; 16-byte Folded Reload
	s_wait_loadcnt 0x0
	v_pk_fma_f32 v[12:13], v[24:25], v[16:17], v[12:13]
	v_pk_mul_f32 v[16:17], v[86:87], v[22:23] op_sel_hi:[0,1]
	scratch_load_b128 v[22:25], off, s32 offset:1680 ; 16-byte Folded Reload
	s_wait_loadcnt 0x0
	v_pk_fma_f32 v[12:13], v[22:23], v[16:17], v[12:13]
	scratch_load_b128 v[14:17], off, s32 offset:1696 ; 16-byte Folded Reload
	s_wait_loadcnt 0x0
	v_pk_fma_f32 v[4:5], v[14:15], v[4:5], v[12:13]
	;; [unrolled: 3-line block ×3, first 2 shown]
	v_pk_mul_f32 v[10:11], v[86:87], v[54:55] op_sel_hi:[0,1]
	scratch_load_b128 v[52:55], off, s32 offset:1728 ; 16-byte Folded Reload
	v_pk_mul_f32 v[12:13], v[86:87], v[96:97] op_sel_hi:[0,1]
	s_wait_loadcnt 0x0
	v_pk_fma_f32 v[4:5], v[52:53], v[10:11], v[4:5]
	v_pk_mul_f32 v[10:11], v[86:87], v[70:71] op_sel_hi:[0,1]
	s_delay_alu instid0(VALU_DEP_1)
	v_pk_fma_f32 v[4:5], v[66:67], v[10:11], v[4:5]
	v_pk_mul_f32 v[10:11], v[86:87], v[18:19] op_sel_hi:[0,1]
	scratch_load_b128 v[18:21], off, s32 offset:1760 ; 16-byte Folded Reload
	s_wait_loadcnt 0x0
	v_pk_fma_f32 v[4:5], v[18:19], v[10:11], v[4:5]
	v_pk_mul_f32 v[10:11], v[86:87], v[32:33] op_sel_hi:[0,1]
	scratch_load_b128 v[32:35], off, s32 offset:1872 ; 16-byte Folded Reload
	v_pk_fma_f32 v[10:11], v[2:3], v[10:11], v[8:9]
	scratch_load_b64 v[2:3], off, s32 offset:1068 th:TH_LOAD_LU ; 8-byte Folded Reload
	v_pk_fma_f32 v[10:11], v[6:7], v[12:13], v[10:11]
	v_pk_mul_f32 v[12:13], v[86:87], v[80:81] op_sel_hi:[0,1]
	scratch_load_b128 v[6:9], off, s32 offset:1776 ; 16-byte Folded Reload
	v_pk_fma_f32 v[10:11], v[36:37], v[12:13], v[10:11]
	v_pk_mul_f32 v[12:13], v[86:87], v[30:31] op_sel_hi:[0,1]
	scratch_load_b128 v[36:39], off, s32 offset:1888 ; 16-byte Folded Reload
	v_pk_fma_f32 v[10:11], v[84:85], v[12:13], v[10:11]
	v_pk_mul_f32 v[12:13], v[86:87], v[98:99] op_sel_hi:[0,1]
	s_delay_alu instid0(VALU_DEP_1)
	v_pk_fma_f32 v[10:11], v[26:27], v[12:13], v[10:11]
	v_pk_mul_f32 v[12:13], v[86:87], v[28:29] op_sel_hi:[0,1]
	scratch_load_b128 v[28:31], off, s32 offset:1856 ; 16-byte Folded Reload
	v_pk_fma_f32 v[10:11], v[24:25], v[12:13], v[10:11]
	scratch_load_b128 v[24:27], off, s32 offset:1840 ; 16-byte Folded Reload
	v_pk_fma_f32 v[0:1], v[16:17], v[0:1], v[10:11]
	v_pk_mul_f32 v[10:11], v[86:87], v[100:101] op_sel_hi:[0,1]
	scratch_load_b128 v[16:19], off, s32 offset:1808 ; 16-byte Folded Reload
	v_pk_fma_f32 v[0:1], v[14:15], v[10:11], v[0:1]
	scratch_load_b128 v[12:15], off, s32 offset:1792 ; 16-byte Folded Reload
	v_pk_mul_f32 v[10:11], v[86:87], v[116:117] op_sel_hi:[0,1]
	s_delay_alu instid0(VALU_DEP_1) | instskip(SKIP_4) | instid1(VALU_DEP_1)
	v_pk_fma_f32 v[0:1], v[54:55], v[10:11], v[0:1]
	v_pk_mul_f32 v[10:11], v[86:87], v[60:61] op_sel_hi:[0,1]
	scratch_load_b128 v[52:55], off, s32 offset:1920 ; 16-byte Folded Reload
	v_pk_fma_f32 v[0:1], v[68:69], v[10:11], v[0:1]
	v_pk_mul_f32 v[10:11], v[86:87], v[56:57] op_sel_hi:[0,1]
	v_pk_fma_f32 v[0:1], v[20:21], v[10:11], v[0:1]
	scratch_load_b128 v[20:23], off, s32 offset:1824 ; 16-byte Folded Reload
	v_pk_mul_f32 v[10:11], v[86:87], v[90:91] op_sel_hi:[0,1]
	s_wait_loadcnt 0x7
	s_delay_alu instid0(VALU_DEP_1) | instskip(SKIP_2) | instid1(VALU_DEP_1)
	v_pk_fma_f32 v[4:5], v[6:7], v[10:11], v[4:5]
	v_pk_mul_f32 v[10:11], v[86:87], v[118:119] op_sel_hi:[0,1]
	s_wait_loadcnt 0x2
	v_pk_fma_f32 v[4:5], v[12:13], v[10:11], v[4:5]
	v_pk_mul_f32 v[10:11], v[86:87], v[62:63] op_sel_hi:[0,1]
	s_delay_alu instid0(VALU_DEP_1)
	v_pk_fma_f32 v[4:5], v[16:17], v[10:11], v[4:5]
	v_pk_mul_f32 v[10:11], v[86:87], v[64:65] op_sel_hi:[0,1]
	scratch_load_b128 v[64:67], off, s32 offset:1936 ; 16-byte Folded Reload
	s_wait_loadcnt 0x1
	v_pk_fma_f32 v[4:5], v[20:21], v[10:11], v[4:5]
	v_pk_mul_f32 v[10:11], v[86:87], v[108:109] op_sel_hi:[0,1]
	s_delay_alu instid0(VALU_DEP_1) | instskip(SKIP_1) | instid1(VALU_DEP_1)
	v_pk_fma_f32 v[4:5], v[24:25], v[10:11], v[4:5]
	v_pk_mul_f32 v[10:11], v[86:87], v[126:127] op_sel_hi:[0,1]
	v_pk_fma_f32 v[4:5], v[28:29], v[10:11], v[4:5]
	v_pk_mul_f32 v[10:11], v[86:87], v[110:111] op_sel_hi:[0,1]
	s_delay_alu instid0(VALU_DEP_1) | instskip(SKIP_1) | instid1(VALU_DEP_1)
	v_pk_fma_f32 v[4:5], v[32:33], v[10:11], v[4:5]
	v_pk_mul_f32 v[10:11], v[86:87], v[104:105] op_sel_hi:[0,1]
	;; [unrolled: 5-line block ×3, first 2 shown]
	v_pk_fma_f32 v[4:5], v[52:53], v[10:11], v[4:5]
	v_pk_mul_f32 v[10:11], v[86:87], v[72:73] op_sel_hi:[0,1]
	s_wait_loadcnt 0x0
	s_delay_alu instid0(VALU_DEP_1) | instskip(SKIP_1) | instid1(VALU_DEP_1)
	v_pk_fma_f32 v[4:5], v[64:65], v[10:11], v[4:5]
	v_pk_mul_f32 v[10:11], v[86:87], v[120:121] op_sel_hi:[0,1]
	v_pk_fma_f32 v[0:1], v[8:9], v[10:11], v[0:1]
	scratch_load_b128 v[6:9], off, s32 offset:1952 ; 16-byte Folded Reload
	v_pk_mul_f32 v[10:11], v[86:87], v[124:125] op_sel_hi:[0,1]
	s_delay_alu instid0(VALU_DEP_1)
	v_pk_fma_f32 v[0:1], v[14:15], v[10:11], v[0:1]
	v_pk_mul_f32 v[10:11], v[86:87], v[92:93] op_sel_hi:[0,1]
	scratch_load_b128 v[12:15], off, s32 offset:1968 ; 16-byte Folded Reload
	v_pk_fma_f32 v[0:1], v[18:19], v[10:11], v[0:1]
	v_pk_mul_f32 v[10:11], v[86:87], v[44:45] op_sel_hi:[0,1]
	scratch_load_b128 v[16:19], off, s32 offset:1984 ; 16-byte Folded Reload
	;; [unrolled: 3-line block ×10, first 2 shown]
	s_wait_loadcnt 0xa
	v_pk_fma_f32 v[4:5], v[6:7], v[10:11], v[4:5]
	v_pk_mul_f32 v[10:11], v[86:87], v[2:3] op_sel_hi:[0,1]
	scratch_load_b64 v[2:3], off, s32 offset:1100 th:TH_LOAD_LU ; 8-byte Folded Reload
	s_wait_loadcnt 0xa
	v_pk_fma_f32 v[4:5], v[12:13], v[10:11], v[4:5]
	s_wait_loadcnt 0x0
	v_pk_mul_f32 v[10:11], v[86:87], v[2:3] op_sel_hi:[0,1]
	scratch_load_b64 v[2:3], off, s32 offset:1132 th:TH_LOAD_LU ; 8-byte Folded Reload
	v_pk_fma_f32 v[4:5], v[16:17], v[10:11], v[4:5]
	s_wait_loadcnt 0x0
	v_pk_mul_f32 v[10:11], v[86:87], v[2:3] op_sel_hi:[0,1]
	scratch_load_b64 v[2:3], off, s32 offset:1164 th:TH_LOAD_LU ; 8-byte Folded Reload
	;; [unrolled: 4-line block ×10, first 2 shown]
	v_pk_fma_f32 v[0:1], v[8:9], v[10:11], v[0:1]
	s_clause 0x1
	scratch_load_b128 v[6:9], off, s32 offset:2128
	scratch_load_b128 v[10:13], off, s32 offset:2144
	s_wait_loadcnt 0x2
	v_pk_mul_f32 v[2:3], v[86:87], v[2:3] op_sel_hi:[0,1]
	s_delay_alu instid0(VALU_DEP_1)
	v_pk_fma_f32 v[0:1], v[14:15], v[2:3], v[0:1]
	s_clause 0x1
	scratch_load_b64 v[2:3], off, s32 offset:1076 th:TH_LOAD_LU
	scratch_load_b128 v[14:17], off, s32 offset:2160
	s_wait_loadcnt 0x1
	v_pk_mul_f32 v[2:3], v[86:87], v[2:3] op_sel_hi:[0,1]
	s_delay_alu instid0(VALU_DEP_1)
	v_pk_fma_f32 v[0:1], v[18:19], v[2:3], v[0:1]
	s_clause 0x1
	scratch_load_b64 v[2:3], off, s32 offset:1108 th:TH_LOAD_LU
	;; [unrolled: 7-line block ×6, first 2 shown]
	scratch_load_b128 v[34:37], off, s32 offset:2240
	s_wait_loadcnt 0x1
	v_pk_mul_f32 v[2:3], v[86:87], v[2:3] op_sel_hi:[0,1]
	s_delay_alu instid0(VALU_DEP_1) | instskip(SKIP_3) | instid1(VALU_DEP_1)
	v_pk_fma_f32 v[0:1], v[38:39], v[2:3], v[0:1]
	scratch_load_b64 v[2:3], off, s32 offset:1260 th:TH_LOAD_LU ; 8-byte Folded Reload
	s_wait_loadcnt 0x0
	v_pk_mul_f32 v[2:3], v[86:87], v[2:3] op_sel_hi:[0,1]
	v_pk_fma_f32 v[0:1], v[50:51], v[2:3], v[0:1]
	s_clause 0x1
	scratch_load_b64 v[2:3], off, s32 offset:1496 th:TH_LOAD_LU
	scratch_load_b128 v[48:51], off, s32 offset:2256
	s_wait_loadcnt 0x1
	v_pk_mul_f32 v[2:3], v[86:87], v[2:3] op_sel_hi:[0,1]
	s_delay_alu instid0(VALU_DEP_1)
	v_pk_fma_f32 v[0:1], v[54:55], v[2:3], v[0:1]
	s_clause 0x1
	scratch_load_b64 v[2:3], off, s32 offset:1488 th:TH_LOAD_LU
	scratch_load_b128 v[52:55], off, s32 offset:2272
	s_wait_loadcnt 0x1
	v_pk_mul_f32 v[2:3], v[86:87], v[2:3] op_sel_hi:[0,1]
	s_delay_alu instid0(VALU_DEP_1)
	v_pk_fma_f32 v[0:1], v[66:67], v[2:3], v[0:1]
	s_clause 0x1
	scratch_load_b64 v[2:3], off, s32 offset:1480 th:TH_LOAD_LU
	scratch_load_b128 v[64:67], off, s32 offset:2288
	s_wait_loadcnt 0x1
	v_pk_mul_f32 v[2:3], v[86:87], v[2:3] op_sel_hi:[0,1]
	s_delay_alu instid0(VALU_DEP_1) | instskip(SKIP_4) | instid1(VALU_DEP_1)
	v_pk_fma_f32 v[2:3], v[6:7], v[2:3], v[4:5]
	scratch_load_b64 v[4:5], off, s32 offset:1472 th:TH_LOAD_LU ; 8-byte Folded Reload
	v_pk_mul_f32 v[6:7], v[86:87], v[102:103] op_sel_hi:[0,1]
	s_wait_loadcnt 0x0
	v_pk_mul_f32 v[4:5], v[86:87], v[4:5] op_sel_hi:[0,1]
	v_pk_fma_f32 v[2:3], v[10:11], v[4:5], v[2:3]
	scratch_load_b64 v[4:5], off, s32 offset:1456 th:TH_LOAD_LU ; 8-byte Folded Reload
	s_wait_loadcnt 0x0
	v_pk_mul_f32 v[4:5], v[86:87], v[4:5] op_sel_hi:[0,1]
	s_delay_alu instid0(VALU_DEP_1) | instskip(SKIP_3) | instid1(VALU_DEP_1)
	v_pk_fma_f32 v[2:3], v[14:15], v[4:5], v[2:3]
	scratch_load_b64 v[4:5], off, s32 offset:1440 th:TH_LOAD_LU ; 8-byte Folded Reload
	s_wait_loadcnt 0x0
	v_pk_mul_f32 v[4:5], v[86:87], v[4:5] op_sel_hi:[0,1]
	v_pk_fma_f32 v[2:3], v[18:19], v[4:5], v[2:3]
	scratch_load_b64 v[4:5], off, s32 offset:1424 th:TH_LOAD_LU ; 8-byte Folded Reload
	s_wait_loadcnt 0x0
	v_pk_mul_f32 v[4:5], v[86:87], v[4:5] op_sel_hi:[0,1]
	s_delay_alu instid0(VALU_DEP_1) | instskip(SKIP_3) | instid1(VALU_DEP_1)
	v_pk_fma_f32 v[2:3], v[22:23], v[4:5], v[2:3]
	scratch_load_b64 v[4:5], off, s32 offset:1408 th:TH_LOAD_LU ; 8-byte Folded Reload
	;; [unrolled: 9-line block ×5, first 2 shown]
	s_wait_loadcnt 0x0
	v_pk_mul_f32 v[4:5], v[86:87], v[4:5] op_sel_hi:[0,1]
	v_pk_fma_f32 v[0:1], v[8:9], v[4:5], v[0:1]
	scratch_load_b64 v[4:5], off, s32 offset:1448 th:TH_LOAD_LU ; 8-byte Folded Reload
	v_pk_mul_f32 v[8:9], v[86:87], v[58:59] op_sel_hi:[0,1]
	s_wait_loadcnt 0x0
	v_pk_mul_f32 v[4:5], v[86:87], v[4:5] op_sel_hi:[0,1]
	s_delay_alu instid0(VALU_DEP_1)
	v_pk_fma_f32 v[0:1], v[12:13], v[4:5], v[0:1]
	s_clause 0x1
	scratch_load_b64 v[4:5], off, s32 offset:1432 th:TH_LOAD_LU
	scratch_load_b128 v[10:13], off, s32 offset:2304
	s_wait_loadcnt 0x1
	v_pk_mul_f32 v[4:5], v[86:87], v[4:5] op_sel_hi:[0,1]
	s_wait_loadcnt 0x0
	v_pk_fma_f32 v[2:3], v[10:11], v[6:7], v[2:3]
	scratch_load_b32 v10, off, s32 offset:1292 th:TH_LOAD_LU ; 4-byte Folded Reload
	v_pk_fma_f32 v[0:1], v[16:17], v[4:5], v[0:1]
	scratch_load_b64 v[4:5], off, s32 offset:1416 th:TH_LOAD_LU ; 8-byte Folded Reload
	v_add_f32_e32 v2, v2, v3
	s_wait_loadcnt 0x0
	v_pk_mul_f32 v[4:5], v[86:87], v[4:5] op_sel_hi:[0,1]
	s_delay_alu instid0(VALU_DEP_1) | instskip(SKIP_3) | instid1(VALU_DEP_1)
	v_pk_fma_f32 v[0:1], v[20:21], v[4:5], v[0:1]
	scratch_load_b64 v[4:5], off, s32 offset:1400 th:TH_LOAD_LU ; 8-byte Folded Reload
	s_wait_loadcnt 0x0
	v_pk_mul_f32 v[4:5], v[86:87], v[4:5] op_sel_hi:[0,1]
	v_pk_fma_f32 v[0:1], v[24:25], v[4:5], v[0:1]
	scratch_load_b64 v[4:5], off, s32 offset:1384 th:TH_LOAD_LU ; 8-byte Folded Reload
	s_wait_loadcnt 0x0
	v_pk_mul_f32 v[4:5], v[86:87], v[4:5] op_sel_hi:[0,1]
	s_delay_alu instid0(VALU_DEP_1) | instskip(SKIP_3) | instid1(VALU_DEP_1)
	v_pk_fma_f32 v[0:1], v[28:29], v[4:5], v[0:1]
	scratch_load_b64 v[4:5], off, s32 offset:1368 th:TH_LOAD_LU ; 8-byte Folded Reload
	s_wait_loadcnt 0x0
	v_pk_mul_f32 v[4:5], v[86:87], v[4:5] op_sel_hi:[0,1]
	v_pk_fma_f32 v[0:1], v[32:33], v[4:5], v[0:1]
	scratch_load_b64 v[4:5], off, s32 offset:1352 th:TH_LOAD_LU ; 8-byte Folded Reload
	;; [unrolled: 9-line block ×3, first 2 shown]
	v_mov_b32_e32 v51, v113
	s_wait_loadcnt 0x0
	v_pk_mul_f32 v[4:5], v[86:87], v[4:5] op_sel_hi:[0,1]
	s_delay_alu instid0(VALU_DEP_1) | instskip(SKIP_3) | instid1(VALU_DEP_1)
	v_pk_fma_f32 v[0:1], v[54:55], v[4:5], v[0:1]
	scratch_load_b64 v[4:5], off, s32 offset:1312 th:TH_LOAD_LU ; 8-byte Folded Reload
	s_wait_loadcnt 0x0
	v_pk_mul_f32 v[4:5], v[86:87], v[4:5] op_sel_hi:[0,1]
	v_pk_fma_f32 v[0:1], v[66:67], v[4:5], v[0:1]
	s_delay_alu instid0(VALU_DEP_1) | instskip(NEXT) | instid1(VALU_DEP_1)
	v_pk_fma_f32 v[0:1], v[12:13], v[8:9], v[0:1]
	v_add_f32_e32 v0, v0, v2
	scratch_load_b64 v[2:3], off, s32 offset:200 ; 8-byte Folded Reload
	s_wait_loadcnt 0x0
	scratch_load_b32 v3, off, s32 offset:1528 ; 4-byte Folded Reload
	v_dual_add_f32 v0, v1, v0 :: v_dual_sub_nc_u32 v1, 1, v2
	v_cmp_lt_i32_e64 s1, v112, v2
	s_delay_alu instid0(VALU_DEP_2) | instskip(SKIP_1) | instid1(VALU_DEP_2)
	v_add_nc_u32_e32 v1, v1, v112
	v_add_nc_u32_e32 v112, 0x80, v112
	v_cvt_f32_i32_e32 v1, v1
	s_wait_loadcnt 0x0
	s_delay_alu instid0(VALU_DEP_1) | instskip(SKIP_3) | instid1(VALU_DEP_1)
	v_mul_f32_e32 v1, v3, v1
	scratch_load_b32 v3, off, s32 offset:1540 ; 4-byte Folded Reload
	v_cndmask_b32_e32 v1, 0, v1, vcc_lo
	s_wait_loadcnt 0x0
	v_dual_fmac_f32 v1, v3, v0 :: v_dual_max_num_f32 v0, v10, v10
	s_delay_alu instid0(VALU_DEP_1) | instskip(NEXT) | instid1(VALU_DEP_1)
	v_dual_max_num_f32 v0, v0, v1 :: v_dual_cndmask_b32 v1, 0, v1, s1
	v_cndmask_b32_e64 v10, v10, v0, s1
	scratch_load_b32 v0, off, s32 offset:208 ; 4-byte Folded Reload
	ds_store_b32 v114, v1
	v_add_nc_u32_e32 v114, 0x200, v114
	s_wait_loadcnt 0x0
	v_cmp_ge_i32_e64 s1, v113, v0
	scratch_load_b64 v[0:1], off, s32 offset:1296 th:TH_LOAD_LU ; 8-byte Folded Reload
	s_or_b32 s3, s1, s3
	s_wait_loadcnt 0x0
	v_add_nc_u64_e32 v[0:1], 16, v[0:1]
	s_wait_xcnt 0x0
	s_and_not1_b32 exec_lo, exec_lo, s3
	s_cbranch_execz .LBB230_1543
.LBB230_10:                             ; =>This Inner Loop Header: Depth=1
	s_clause 0x3
	scratch_store_b32 off, v112, s32 offset:1280
	scratch_store_b32 off, v114, s32 offset:1276
	;; [unrolled: 1-line block ×3, first 2 shown]
	scratch_store_b64 off, v[0:1], s32 offset:1296
	flat_load_b32 v0, v[0:1]
	s_clause 0x1
	scratch_load_b64 v[2:3], off, s32 offset:1284
	scratch_load_b64 v[4:5], off, s32 offset:1544
	s_mov_b32 s8, exec_lo
	s_wait_loadcnt_dscnt 0x0
	v_mad_nc_i64_i32 v[92:93], v0, v2, v[4:5]
	flat_load_b32 v0, v[92:93]
	scratch_load_b64 v[2:3], off, s32 offset:1532 ; 8-byte Folded Reload
	s_wait_loadcnt_dscnt 0x100
	v_and_b32_e32 v1, 0xff, v0
	s_wait_loadcnt 0x0
	flat_load_b32 v2, v[2:3]
	s_wait_loadcnt_dscnt 0x0
	scratch_store_b64 off, v[2:3], s32 offset:1304 ; 8-byte Folded Spill
	s_wait_xcnt 0x0
	v_mov_b64_e32 v[2:3], 0
	scratch_store_b64 off, v[2:3], s32 offset:212 ; 8-byte Folded Spill
	s_wait_xcnt 0x0
	v_mov_b64_e32 v[2:3], 0
	scratch_store_b64 off, v[2:3], s32 offset:220 ; 8-byte Folded Spill
	s_wait_xcnt 0x0
	v_cmpx_ne_u16_e32 0, v1
	s_cbranch_execz .LBB230_18
; %bb.11:                               ;   in Loop: Header=BB230_10 Depth=1
	v_mov_b64_e32 v[2:3], 0x80000000
	s_mov_b32 s9, exec_lo
	scratch_store_b64 off, v[2:3], s32 offset:220 ; 8-byte Folded Spill
	s_wait_xcnt 0x0
	v_cmpx_ne_u16_e32 0x80, v1
	s_cbranch_execz .LBB230_17
; %bb.12:                               ;   in Loop: Header=BB230_10 Depth=1
	v_mov_b64_e32 v[4:5], 0x7f800001
	v_and_b32_e32 v2, 0x7f, v0
	s_mov_b32 s11, exec_lo
	scratch_store_b64 off, v[4:5], s32 offset:220 ; 8-byte Folded Spill
	s_wait_xcnt 0x0
	v_cmpx_ne_u32_e32 0x7f, v2
	s_cbranch_execz .LBB230_16
; %bb.13:                               ;   in Loop: Header=BB230_10 Depth=1
	scratch_load_b64 v[4:5], off, s32 offset:192 th:TH_LOAD_LU ; 8-byte Folded Reload
	s_wait_loadcnt 0x0
	v_dual_lshrrev_b32 v1, 3, v2 :: v_dual_bitop2_b32 v4, 7, v0 bitop3:0x40
	s_mov_b32 s16, exec_lo
	s_wait_xcnt 0x0
	v_cmpx_gt_u32_e32 8, v2
; %bb.14:                               ;   in Loop: Header=BB230_10 Depth=1
	s_delay_alu instid0(VALU_DEP_2) | instskip(NEXT) | instid1(VALU_DEP_1)
	v_clz_i32_u32_e32 v1, v4
	v_min_u32_e32 v1, 32, v1
	s_delay_alu instid0(VALU_DEP_1) | instskip(NEXT) | instid1(VALU_DEP_1)
	v_subrev_nc_u32_e32 v2, 28, v1
	v_lshlrev_b64_e32 v[2:3], v2, v[4:5]
	s_delay_alu instid0(VALU_DEP_1)
	v_dual_sub_nc_u32 v1, 29, v1 :: v_dual_bitop2_b32 v4, 7, v2 bitop3:0x40
; %bb.15:                               ;   in Loop: Header=BB230_10 Depth=1
	s_or_b32 exec_lo, exec_lo, s16
	v_lshlrev_b32_e32 v2, 24, v0
	s_delay_alu instid0(VALU_DEP_2) | instskip(NEXT) | instid1(VALU_DEP_3)
	v_lshlrev_b32_e32 v3, 20, v4
	v_lshl_add_u32 v1, v1, 23, 0x3c000000
	s_delay_alu instid0(VALU_DEP_3) | instskip(NEXT) | instid1(VALU_DEP_1)
	v_and_b32_e32 v2, 0x80000000, v2
	v_or3_b32 v4, v3, v2, v1
	v_mov_b32_e32 v1, v5
	s_clause 0x1
	scratch_store_b64 off, v[0:1], s32 offset:192
	scratch_store_b64 off, v[4:5], s32 offset:220
.LBB230_16:                             ;   in Loop: Header=BB230_10 Depth=1
	s_wait_xcnt 0x0
	s_or_b32 exec_lo, exec_lo, s11
.LBB230_17:                             ;   in Loop: Header=BB230_10 Depth=1
	s_delay_alu instid0(SALU_CYCLE_1)
	s_or_b32 exec_lo, exec_lo, s9
.LBB230_18:                             ;   in Loop: Header=BB230_10 Depth=1
	s_delay_alu instid0(SALU_CYCLE_1) | instskip(SKIP_2) | instid1(VALU_DEP_1)
	s_or_b32 exec_lo, exec_lo, s8
	v_lshrrev_b16 v1, 8, v0
	s_mov_b32 s8, exec_lo
	v_cmpx_ne_u16_e32 0, v1
	s_cbranch_execz .LBB230_26
; %bb.19:                               ;   in Loop: Header=BB230_10 Depth=1
	v_mov_b64_e32 v[2:3], 0x8000000000000000
	s_mov_b32 s9, exec_lo
	scratch_store_b64 off, v[2:3], s32 offset:212 ; 8-byte Folded Spill
	s_wait_xcnt 0x0
	v_cmpx_ne_u16_e32 0x80, v1
	s_cbranch_execz .LBB230_25
; %bb.20:                               ;   in Loop: Header=BB230_10 Depth=1
	v_and_b32_e32 v1, 0xffff, v1
	v_mov_b64_e32 v[4:5], 0x7f80000100000000
	s_mov_b32 s11, exec_lo
	s_delay_alu instid0(VALU_DEP_2)
	v_and_b32_e32 v2, 0x7f, v1
	scratch_store_b64 off, v[4:5], s32 offset:212 ; 8-byte Folded Spill
	s_wait_xcnt 0x0
	v_cmpx_ne_u32_e32 0x7f, v2
	s_cbranch_execz .LBB230_24
; %bb.21:                               ;   in Loop: Header=BB230_10 Depth=1
	scratch_load_b64 v[4:5], off, s32 offset:192 th:TH_LOAD_LU ; 8-byte Folded Reload
	s_wait_loadcnt 0x0
	v_dual_lshrrev_b32 v1, 3, v2 :: v_dual_bitop2_b32 v4, 7, v1 bitop3:0x40
	s_mov_b32 s16, exec_lo
	s_wait_xcnt 0x0
	v_cmpx_gt_u32_e32 8, v2
; %bb.22:                               ;   in Loop: Header=BB230_10 Depth=1
	s_delay_alu instid0(VALU_DEP_2) | instskip(NEXT) | instid1(VALU_DEP_1)
	v_clz_i32_u32_e32 v1, v4
	v_min_u32_e32 v1, 32, v1
	s_delay_alu instid0(VALU_DEP_1) | instskip(NEXT) | instid1(VALU_DEP_1)
	v_subrev_nc_u32_e32 v2, 28, v1
	v_lshlrev_b64_e32 v[2:3], v2, v[4:5]
	s_delay_alu instid0(VALU_DEP_1)
	v_dual_sub_nc_u32 v1, 29, v1 :: v_dual_bitop2_b32 v4, 7, v2 bitop3:0x40
; %bb.23:                               ;   in Loop: Header=BB230_10 Depth=1
	s_or_b32 exec_lo, exec_lo, s16
	v_lshlrev_b32_e32 v2, 16, v0
	s_delay_alu instid0(VALU_DEP_2) | instskip(NEXT) | instid1(VALU_DEP_3)
	v_lshlrev_b32_e32 v3, 20, v4
	v_lshl_add_u32 v1, v1, 23, 0x3c000000
	s_delay_alu instid0(VALU_DEP_3) | instskip(NEXT) | instid1(VALU_DEP_1)
	v_and_b32_e32 v2, 0x80000000, v2
	v_or3_b32 v3, v3, v2, v1
	v_dual_mov_b32 v1, v5 :: v_dual_mov_b32 v2, v5
	s_clause 0x1
	scratch_store_b64 off, v[0:1], s32 offset:192
	scratch_store_b64 off, v[2:3], s32 offset:212
.LBB230_24:                             ;   in Loop: Header=BB230_10 Depth=1
	s_wait_xcnt 0x0
	s_or_b32 exec_lo, exec_lo, s11
.LBB230_25:                             ;   in Loop: Header=BB230_10 Depth=1
	s_delay_alu instid0(SALU_CYCLE_1)
	s_or_b32 exec_lo, exec_lo, s9
.LBB230_26:                             ;   in Loop: Header=BB230_10 Depth=1
	s_delay_alu instid0(SALU_CYCLE_1) | instskip(SKIP_3) | instid1(VALU_DEP_1)
	s_or_b32 exec_lo, exec_lo, s8
	v_mov_b64_e32 v[4:5], 0
	v_lshrrev_b32_e32 v1, 16, v0
	s_mov_b32 s8, exec_lo
	v_and_b32_e32 v2, 0xff, v1
	scratch_store_b64 off, v[4:5], s32 offset:228 ; 8-byte Folded Spill
	s_wait_xcnt 0x0
	v_mov_b64_e32 v[4:5], 0
	scratch_store_b64 off, v[4:5], s32 offset:236 ; 8-byte Folded Spill
	s_wait_xcnt 0x0
	v_cmpx_ne_u16_e32 0, v2
	s_cbranch_execz .LBB230_34
; %bb.27:                               ;   in Loop: Header=BB230_10 Depth=1
	v_cmp_ne_u16_e64 s1, 0x80, v2
	v_mov_b64_e32 v[2:3], 0x80000000
	scratch_store_b64 off, v[2:3], s32 offset:236 ; 8-byte Folded Spill
	s_wait_xcnt 0x0
	s_and_saveexec_b32 s9, s1
	s_cbranch_execz .LBB230_33
; %bb.28:                               ;   in Loop: Header=BB230_10 Depth=1
	v_mov_b64_e32 v[4:5], 0x7f800001
	v_bfe_u32 v3, v0, 16, 7
	s_mov_b32 s11, exec_lo
	scratch_store_b64 off, v[4:5], s32 offset:236 ; 8-byte Folded Spill
	s_wait_xcnt 0x0
	v_cmpx_ne_u32_e32 0x7f, v3
	s_cbranch_execz .LBB230_32
; %bb.29:                               ;   in Loop: Header=BB230_10 Depth=1
	scratch_load_b64 v[6:7], off, s32 offset:192 th:TH_LOAD_LU ; 8-byte Folded Reload
	s_wait_loadcnt 0x0
	v_dual_lshrrev_b32 v2, 3, v3 :: v_dual_bitop2_b32 v6, 7, v1 bitop3:0x40
	s_mov_b32 s16, exec_lo
	s_wait_xcnt 0x0
	v_cmpx_gt_u32_e32 8, v3
; %bb.30:                               ;   in Loop: Header=BB230_10 Depth=1
	s_delay_alu instid0(VALU_DEP_2) | instskip(NEXT) | instid1(VALU_DEP_1)
	v_clz_i32_u32_e32 v2, v6
	v_min_u32_e32 v2, 32, v2
	s_delay_alu instid0(VALU_DEP_1) | instskip(NEXT) | instid1(VALU_DEP_1)
	v_subrev_nc_u32_e32 v3, 28, v2
	v_lshlrev_b64_e32 v[4:5], v3, v[6:7]
	s_delay_alu instid0(VALU_DEP_1)
	v_dual_sub_nc_u32 v2, 29, v2 :: v_dual_bitop2_b32 v6, 7, v4 bitop3:0x40
; %bb.31:                               ;   in Loop: Header=BB230_10 Depth=1
	s_or_b32 exec_lo, exec_lo, s16
	s_delay_alu instid0(VALU_DEP_1) | instskip(NEXT) | instid1(VALU_DEP_2)
	v_dual_lshlrev_b32 v1, 24, v1 :: v_dual_lshlrev_b32 v3, 20, v6
	v_lshl_add_u32 v2, v2, 23, 0x3c000000
	s_delay_alu instid0(VALU_DEP_2) | instskip(NEXT) | instid1(VALU_DEP_1)
	v_and_b32_e32 v1, 0x80000000, v1
	v_or3_b32 v6, v3, v1, v2
	v_mov_b32_e32 v1, v7
	s_clause 0x1
	scratch_store_b64 off, v[0:1], s32 offset:192
	scratch_store_b64 off, v[6:7], s32 offset:236
.LBB230_32:                             ;   in Loop: Header=BB230_10 Depth=1
	s_wait_xcnt 0x0
	s_or_b32 exec_lo, exec_lo, s11
.LBB230_33:                             ;   in Loop: Header=BB230_10 Depth=1
	s_delay_alu instid0(SALU_CYCLE_1)
	s_or_b32 exec_lo, exec_lo, s9
.LBB230_34:                             ;   in Loop: Header=BB230_10 Depth=1
	s_delay_alu instid0(SALU_CYCLE_1) | instskip(NEXT) | instid1(SALU_CYCLE_1)
	s_or_b32 exec_lo, exec_lo, s8
	s_mov_b32 s8, exec_lo
	v_cmpx_lt_u32_e32 0xffffff, v0
	s_cbranch_execz .LBB230_42
; %bb.35:                               ;   in Loop: Header=BB230_10 Depth=1
	v_mov_b64_e32 v[2:3], 0x8000000000000000
	v_lshrrev_b32_e32 v1, 24, v0
	s_mov_b32 s9, exec_lo
	scratch_store_b64 off, v[2:3], s32 offset:228 ; 8-byte Folded Spill
	s_wait_xcnt 0x0
	v_cmpx_ne_u32_e32 0x80, v1
	s_cbranch_execz .LBB230_41
; %bb.36:                               ;   in Loop: Header=BB230_10 Depth=1
	v_mov_b64_e32 v[4:5], 0x7f80000100000000
	v_bfe_u32 v2, v0, 24, 7
	s_mov_b32 s11, exec_lo
	scratch_store_b64 off, v[4:5], s32 offset:228 ; 8-byte Folded Spill
	s_wait_xcnt 0x0
	v_cmpx_ne_u32_e32 0x7f, v2
	s_cbranch_execz .LBB230_40
; %bb.37:                               ;   in Loop: Header=BB230_10 Depth=1
	scratch_load_b64 v[4:5], off, s32 offset:192 th:TH_LOAD_LU ; 8-byte Folded Reload
	s_wait_loadcnt 0x0
	v_dual_lshrrev_b32 v0, 3, v2 :: v_dual_bitop2_b32 v4, 7, v1 bitop3:0x40
	s_mov_b32 s16, exec_lo
	s_wait_xcnt 0x0
	v_cmpx_gt_u32_e32 8, v2
; %bb.38:                               ;   in Loop: Header=BB230_10 Depth=1
	s_delay_alu instid0(VALU_DEP_2) | instskip(NEXT) | instid1(VALU_DEP_1)
	v_clz_i32_u32_e32 v0, v4
	v_min_u32_e32 v0, 32, v0
	s_delay_alu instid0(VALU_DEP_1) | instskip(NEXT) | instid1(VALU_DEP_1)
	v_subrev_nc_u32_e32 v2, 28, v0
	v_lshlrev_b64_e32 v[2:3], v2, v[4:5]
	s_delay_alu instid0(VALU_DEP_1)
	v_dual_sub_nc_u32 v0, 29, v0 :: v_dual_bitop2_b32 v4, 7, v2 bitop3:0x40
; %bb.39:                               ;   in Loop: Header=BB230_10 Depth=1
	s_or_b32 exec_lo, exec_lo, s16
	s_delay_alu instid0(VALU_DEP_1) | instskip(NEXT) | instid1(VALU_DEP_2)
	v_dual_lshlrev_b32 v1, 24, v1 :: v_dual_lshlrev_b32 v2, 20, v4
	v_lshl_add_u32 v0, v0, 23, 0x3c000000
	s_delay_alu instid0(VALU_DEP_2) | instskip(NEXT) | instid1(VALU_DEP_1)
	v_and_b32_e32 v1, 0x80000000, v1
	v_or3_b32 v3, v2, v1, v0
	v_dual_mov_b32 v1, v5 :: v_dual_mov_b32 v2, v5
	s_clause 0x1
	scratch_store_b64 off, v[0:1], s32 offset:192
	scratch_store_b64 off, v[2:3], s32 offset:228
.LBB230_40:                             ;   in Loop: Header=BB230_10 Depth=1
	s_wait_xcnt 0x0
	s_or_b32 exec_lo, exec_lo, s11
.LBB230_41:                             ;   in Loop: Header=BB230_10 Depth=1
	s_delay_alu instid0(SALU_CYCLE_1)
	s_or_b32 exec_lo, exec_lo, s9
.LBB230_42:                             ;   in Loop: Header=BB230_10 Depth=1
	s_delay_alu instid0(SALU_CYCLE_1)
	s_or_b32 exec_lo, exec_lo, s8
	flat_load_b32 v0, v[92:93] offset:4
	v_mov_b64_e32 v[2:3], 0
	s_mov_b32 s8, exec_lo
	scratch_store_b64 off, v[2:3], s32 offset:244 ; 8-byte Folded Spill
	s_wait_xcnt 0x0
	v_mov_b64_e32 v[2:3], 0
	scratch_store_b64 off, v[2:3], s32 offset:252 ; 8-byte Folded Spill
	s_wait_loadcnt_dscnt 0x0
	v_and_b32_e32 v1, 0xff, v0
	s_wait_xcnt 0x0
	s_delay_alu instid0(VALU_DEP_1)
	v_cmpx_ne_u16_e32 0, v1
	s_cbranch_execz .LBB230_50
; %bb.43:                               ;   in Loop: Header=BB230_10 Depth=1
	v_mov_b64_e32 v[2:3], 0x80000000
	s_mov_b32 s9, exec_lo
	scratch_store_b64 off, v[2:3], s32 offset:252 ; 8-byte Folded Spill
	s_wait_xcnt 0x0
	v_cmpx_ne_u16_e32 0x80, v1
	s_cbranch_execz .LBB230_49
; %bb.44:                               ;   in Loop: Header=BB230_10 Depth=1
	v_mov_b64_e32 v[4:5], 0x7f800001
	v_and_b32_e32 v2, 0x7f, v0
	s_mov_b32 s11, exec_lo
	scratch_store_b64 off, v[4:5], s32 offset:252 ; 8-byte Folded Spill
	s_wait_xcnt 0x0
	v_cmpx_ne_u32_e32 0x7f, v2
	s_cbranch_execz .LBB230_48
; %bb.45:                               ;   in Loop: Header=BB230_10 Depth=1
	scratch_load_b64 v[4:5], off, s32 offset:192 th:TH_LOAD_LU ; 8-byte Folded Reload
	s_wait_loadcnt 0x0
	v_dual_lshrrev_b32 v1, 3, v2 :: v_dual_bitop2_b32 v4, 7, v0 bitop3:0x40
	s_mov_b32 s16, exec_lo
	s_wait_xcnt 0x0
	v_cmpx_gt_u32_e32 8, v2
; %bb.46:                               ;   in Loop: Header=BB230_10 Depth=1
	s_delay_alu instid0(VALU_DEP_2) | instskip(NEXT) | instid1(VALU_DEP_1)
	v_clz_i32_u32_e32 v1, v4
	v_min_u32_e32 v1, 32, v1
	s_delay_alu instid0(VALU_DEP_1) | instskip(NEXT) | instid1(VALU_DEP_1)
	v_subrev_nc_u32_e32 v2, 28, v1
	v_lshlrev_b64_e32 v[2:3], v2, v[4:5]
	s_delay_alu instid0(VALU_DEP_1)
	v_dual_sub_nc_u32 v1, 29, v1 :: v_dual_bitop2_b32 v4, 7, v2 bitop3:0x40
; %bb.47:                               ;   in Loop: Header=BB230_10 Depth=1
	s_or_b32 exec_lo, exec_lo, s16
	v_lshlrev_b32_e32 v2, 24, v0
	s_delay_alu instid0(VALU_DEP_2) | instskip(NEXT) | instid1(VALU_DEP_3)
	v_lshlrev_b32_e32 v3, 20, v4
	v_lshl_add_u32 v1, v1, 23, 0x3c000000
	s_delay_alu instid0(VALU_DEP_3) | instskip(NEXT) | instid1(VALU_DEP_1)
	v_and_b32_e32 v2, 0x80000000, v2
	v_or3_b32 v4, v3, v2, v1
	v_mov_b32_e32 v1, v5
	s_clause 0x1
	scratch_store_b64 off, v[0:1], s32 offset:192
	scratch_store_b64 off, v[4:5], s32 offset:252
.LBB230_48:                             ;   in Loop: Header=BB230_10 Depth=1
	s_wait_xcnt 0x0
	s_or_b32 exec_lo, exec_lo, s11
.LBB230_49:                             ;   in Loop: Header=BB230_10 Depth=1
	s_delay_alu instid0(SALU_CYCLE_1)
	s_or_b32 exec_lo, exec_lo, s9
.LBB230_50:                             ;   in Loop: Header=BB230_10 Depth=1
	s_delay_alu instid0(SALU_CYCLE_1) | instskip(SKIP_2) | instid1(VALU_DEP_1)
	s_or_b32 exec_lo, exec_lo, s8
	v_lshrrev_b16 v1, 8, v0
	s_mov_b32 s8, exec_lo
	v_cmpx_ne_u16_e32 0, v1
	s_cbranch_execz .LBB230_58
; %bb.51:                               ;   in Loop: Header=BB230_10 Depth=1
	v_mov_b64_e32 v[2:3], 0x8000000000000000
	s_mov_b32 s9, exec_lo
	scratch_store_b64 off, v[2:3], s32 offset:244 ; 8-byte Folded Spill
	s_wait_xcnt 0x0
	v_cmpx_ne_u16_e32 0x80, v1
	s_cbranch_execz .LBB230_57
; %bb.52:                               ;   in Loop: Header=BB230_10 Depth=1
	v_and_b32_e32 v1, 0xffff, v1
	v_mov_b64_e32 v[4:5], 0x7f80000100000000
	s_mov_b32 s11, exec_lo
	s_delay_alu instid0(VALU_DEP_2)
	v_and_b32_e32 v2, 0x7f, v1
	scratch_store_b64 off, v[4:5], s32 offset:244 ; 8-byte Folded Spill
	s_wait_xcnt 0x0
	v_cmpx_ne_u32_e32 0x7f, v2
	s_cbranch_execz .LBB230_56
; %bb.53:                               ;   in Loop: Header=BB230_10 Depth=1
	scratch_load_b64 v[4:5], off, s32 offset:192 th:TH_LOAD_LU ; 8-byte Folded Reload
	s_wait_loadcnt 0x0
	v_dual_lshrrev_b32 v1, 3, v2 :: v_dual_bitop2_b32 v4, 7, v1 bitop3:0x40
	s_mov_b32 s16, exec_lo
	s_wait_xcnt 0x0
	v_cmpx_gt_u32_e32 8, v2
; %bb.54:                               ;   in Loop: Header=BB230_10 Depth=1
	s_delay_alu instid0(VALU_DEP_2) | instskip(NEXT) | instid1(VALU_DEP_1)
	v_clz_i32_u32_e32 v1, v4
	v_min_u32_e32 v1, 32, v1
	s_delay_alu instid0(VALU_DEP_1) | instskip(NEXT) | instid1(VALU_DEP_1)
	v_subrev_nc_u32_e32 v2, 28, v1
	v_lshlrev_b64_e32 v[2:3], v2, v[4:5]
	s_delay_alu instid0(VALU_DEP_1)
	v_dual_sub_nc_u32 v1, 29, v1 :: v_dual_bitop2_b32 v4, 7, v2 bitop3:0x40
; %bb.55:                               ;   in Loop: Header=BB230_10 Depth=1
	s_or_b32 exec_lo, exec_lo, s16
	v_lshlrev_b32_e32 v2, 16, v0
	s_delay_alu instid0(VALU_DEP_2) | instskip(NEXT) | instid1(VALU_DEP_3)
	v_lshlrev_b32_e32 v3, 20, v4
	v_lshl_add_u32 v1, v1, 23, 0x3c000000
	s_delay_alu instid0(VALU_DEP_3) | instskip(NEXT) | instid1(VALU_DEP_1)
	v_and_b32_e32 v2, 0x80000000, v2
	v_or3_b32 v3, v3, v2, v1
	v_dual_mov_b32 v1, v5 :: v_dual_mov_b32 v2, v5
	s_clause 0x1
	scratch_store_b64 off, v[0:1], s32 offset:192
	scratch_store_b64 off, v[2:3], s32 offset:244
.LBB230_56:                             ;   in Loop: Header=BB230_10 Depth=1
	s_wait_xcnt 0x0
	s_or_b32 exec_lo, exec_lo, s11
.LBB230_57:                             ;   in Loop: Header=BB230_10 Depth=1
	s_delay_alu instid0(SALU_CYCLE_1)
	s_or_b32 exec_lo, exec_lo, s9
.LBB230_58:                             ;   in Loop: Header=BB230_10 Depth=1
	s_delay_alu instid0(SALU_CYCLE_1) | instskip(SKIP_3) | instid1(VALU_DEP_1)
	s_or_b32 exec_lo, exec_lo, s8
	v_mov_b64_e32 v[4:5], 0
	v_lshrrev_b32_e32 v1, 16, v0
	s_mov_b32 s8, exec_lo
	v_and_b32_e32 v2, 0xff, v1
	scratch_store_b64 off, v[4:5], s32 offset:260 ; 8-byte Folded Spill
	s_wait_xcnt 0x0
	v_mov_b64_e32 v[4:5], 0
	scratch_store_b64 off, v[4:5], s32 offset:268 ; 8-byte Folded Spill
	s_wait_xcnt 0x0
	v_cmpx_ne_u16_e32 0, v2
	s_cbranch_execz .LBB230_66
; %bb.59:                               ;   in Loop: Header=BB230_10 Depth=1
	v_cmp_ne_u16_e64 s1, 0x80, v2
	v_mov_b64_e32 v[2:3], 0x80000000
	scratch_store_b64 off, v[2:3], s32 offset:268 ; 8-byte Folded Spill
	s_wait_xcnt 0x0
	s_and_saveexec_b32 s9, s1
	s_cbranch_execz .LBB230_65
; %bb.60:                               ;   in Loop: Header=BB230_10 Depth=1
	v_mov_b64_e32 v[4:5], 0x7f800001
	v_bfe_u32 v3, v0, 16, 7
	s_mov_b32 s11, exec_lo
	scratch_store_b64 off, v[4:5], s32 offset:268 ; 8-byte Folded Spill
	s_wait_xcnt 0x0
	v_cmpx_ne_u32_e32 0x7f, v3
	s_cbranch_execz .LBB230_64
; %bb.61:                               ;   in Loop: Header=BB230_10 Depth=1
	scratch_load_b64 v[6:7], off, s32 offset:192 th:TH_LOAD_LU ; 8-byte Folded Reload
	s_wait_loadcnt 0x0
	v_dual_lshrrev_b32 v2, 3, v3 :: v_dual_bitop2_b32 v6, 7, v1 bitop3:0x40
	s_mov_b32 s16, exec_lo
	s_wait_xcnt 0x0
	v_cmpx_gt_u32_e32 8, v3
; %bb.62:                               ;   in Loop: Header=BB230_10 Depth=1
	s_delay_alu instid0(VALU_DEP_2) | instskip(NEXT) | instid1(VALU_DEP_1)
	v_clz_i32_u32_e32 v2, v6
	v_min_u32_e32 v2, 32, v2
	s_delay_alu instid0(VALU_DEP_1) | instskip(NEXT) | instid1(VALU_DEP_1)
	v_subrev_nc_u32_e32 v3, 28, v2
	v_lshlrev_b64_e32 v[4:5], v3, v[6:7]
	s_delay_alu instid0(VALU_DEP_1)
	v_dual_sub_nc_u32 v2, 29, v2 :: v_dual_bitop2_b32 v6, 7, v4 bitop3:0x40
; %bb.63:                               ;   in Loop: Header=BB230_10 Depth=1
	s_or_b32 exec_lo, exec_lo, s16
	s_delay_alu instid0(VALU_DEP_1) | instskip(NEXT) | instid1(VALU_DEP_2)
	v_dual_lshlrev_b32 v1, 24, v1 :: v_dual_lshlrev_b32 v3, 20, v6
	v_lshl_add_u32 v2, v2, 23, 0x3c000000
	s_delay_alu instid0(VALU_DEP_2) | instskip(NEXT) | instid1(VALU_DEP_1)
	v_and_b32_e32 v1, 0x80000000, v1
	v_or3_b32 v6, v3, v1, v2
	v_mov_b32_e32 v1, v7
	s_clause 0x1
	scratch_store_b64 off, v[0:1], s32 offset:192
	scratch_store_b64 off, v[6:7], s32 offset:268
.LBB230_64:                             ;   in Loop: Header=BB230_10 Depth=1
	s_wait_xcnt 0x0
	s_or_b32 exec_lo, exec_lo, s11
.LBB230_65:                             ;   in Loop: Header=BB230_10 Depth=1
	s_delay_alu instid0(SALU_CYCLE_1)
	s_or_b32 exec_lo, exec_lo, s9
.LBB230_66:                             ;   in Loop: Header=BB230_10 Depth=1
	s_delay_alu instid0(SALU_CYCLE_1) | instskip(NEXT) | instid1(SALU_CYCLE_1)
	s_or_b32 exec_lo, exec_lo, s8
	s_mov_b32 s8, exec_lo
	v_cmpx_lt_u32_e32 0xffffff, v0
	s_cbranch_execz .LBB230_74
; %bb.67:                               ;   in Loop: Header=BB230_10 Depth=1
	v_mov_b64_e32 v[2:3], 0x8000000000000000
	v_lshrrev_b32_e32 v1, 24, v0
	s_mov_b32 s9, exec_lo
	scratch_store_b64 off, v[2:3], s32 offset:260 ; 8-byte Folded Spill
	s_wait_xcnt 0x0
	v_cmpx_ne_u32_e32 0x80, v1
	s_cbranch_execz .LBB230_73
; %bb.68:                               ;   in Loop: Header=BB230_10 Depth=1
	v_mov_b64_e32 v[4:5], 0x7f80000100000000
	v_bfe_u32 v2, v0, 24, 7
	s_mov_b32 s11, exec_lo
	scratch_store_b64 off, v[4:5], s32 offset:260 ; 8-byte Folded Spill
	s_wait_xcnt 0x0
	v_cmpx_ne_u32_e32 0x7f, v2
	s_cbranch_execz .LBB230_72
; %bb.69:                               ;   in Loop: Header=BB230_10 Depth=1
	scratch_load_b64 v[4:5], off, s32 offset:192 th:TH_LOAD_LU ; 8-byte Folded Reload
	s_wait_loadcnt 0x0
	v_dual_lshrrev_b32 v0, 3, v2 :: v_dual_bitop2_b32 v4, 7, v1 bitop3:0x40
	s_mov_b32 s16, exec_lo
	s_wait_xcnt 0x0
	v_cmpx_gt_u32_e32 8, v2
; %bb.70:                               ;   in Loop: Header=BB230_10 Depth=1
	s_delay_alu instid0(VALU_DEP_2) | instskip(NEXT) | instid1(VALU_DEP_1)
	v_clz_i32_u32_e32 v0, v4
	v_min_u32_e32 v0, 32, v0
	s_delay_alu instid0(VALU_DEP_1) | instskip(NEXT) | instid1(VALU_DEP_1)
	v_subrev_nc_u32_e32 v2, 28, v0
	v_lshlrev_b64_e32 v[2:3], v2, v[4:5]
	s_delay_alu instid0(VALU_DEP_1)
	v_dual_sub_nc_u32 v0, 29, v0 :: v_dual_bitop2_b32 v4, 7, v2 bitop3:0x40
; %bb.71:                               ;   in Loop: Header=BB230_10 Depth=1
	s_or_b32 exec_lo, exec_lo, s16
	s_delay_alu instid0(VALU_DEP_1) | instskip(NEXT) | instid1(VALU_DEP_2)
	v_dual_lshlrev_b32 v1, 24, v1 :: v_dual_lshlrev_b32 v2, 20, v4
	v_lshl_add_u32 v0, v0, 23, 0x3c000000
	s_delay_alu instid0(VALU_DEP_2) | instskip(NEXT) | instid1(VALU_DEP_1)
	v_and_b32_e32 v1, 0x80000000, v1
	v_or3_b32 v3, v2, v1, v0
	v_dual_mov_b32 v1, v5 :: v_dual_mov_b32 v2, v5
	s_clause 0x1
	scratch_store_b64 off, v[0:1], s32 offset:192
	scratch_store_b64 off, v[2:3], s32 offset:260
.LBB230_72:                             ;   in Loop: Header=BB230_10 Depth=1
	s_wait_xcnt 0x0
	s_or_b32 exec_lo, exec_lo, s11
.LBB230_73:                             ;   in Loop: Header=BB230_10 Depth=1
	s_delay_alu instid0(SALU_CYCLE_1)
	s_or_b32 exec_lo, exec_lo, s9
.LBB230_74:                             ;   in Loop: Header=BB230_10 Depth=1
	s_delay_alu instid0(SALU_CYCLE_1)
	s_or_b32 exec_lo, exec_lo, s8
	flat_load_b32 v0, v[92:93] offset:8
	v_mov_b64_e32 v[2:3], 0
	s_mov_b32 s8, exec_lo
	scratch_store_b64 off, v[2:3], s32 offset:276 ; 8-byte Folded Spill
	s_wait_xcnt 0x0
	v_mov_b64_e32 v[2:3], 0
	scratch_store_b64 off, v[2:3], s32 offset:284 ; 8-byte Folded Spill
	s_wait_loadcnt_dscnt 0x0
	v_and_b32_e32 v1, 0xff, v0
	s_wait_xcnt 0x0
	s_delay_alu instid0(VALU_DEP_1)
	v_cmpx_ne_u16_e32 0, v1
	s_cbranch_execz .LBB230_82
; %bb.75:                               ;   in Loop: Header=BB230_10 Depth=1
	v_mov_b64_e32 v[2:3], 0x80000000
	s_mov_b32 s9, exec_lo
	scratch_store_b64 off, v[2:3], s32 offset:284 ; 8-byte Folded Spill
	s_wait_xcnt 0x0
	v_cmpx_ne_u16_e32 0x80, v1
	s_cbranch_execz .LBB230_81
; %bb.76:                               ;   in Loop: Header=BB230_10 Depth=1
	v_mov_b64_e32 v[4:5], 0x7f800001
	v_and_b32_e32 v2, 0x7f, v0
	s_mov_b32 s11, exec_lo
	scratch_store_b64 off, v[4:5], s32 offset:284 ; 8-byte Folded Spill
	s_wait_xcnt 0x0
	v_cmpx_ne_u32_e32 0x7f, v2
	s_cbranch_execz .LBB230_80
; %bb.77:                               ;   in Loop: Header=BB230_10 Depth=1
	scratch_load_b64 v[4:5], off, s32 offset:192 th:TH_LOAD_LU ; 8-byte Folded Reload
	s_wait_loadcnt 0x0
	v_dual_lshrrev_b32 v1, 3, v2 :: v_dual_bitop2_b32 v4, 7, v0 bitop3:0x40
	s_mov_b32 s16, exec_lo
	s_wait_xcnt 0x0
	v_cmpx_gt_u32_e32 8, v2
; %bb.78:                               ;   in Loop: Header=BB230_10 Depth=1
	s_delay_alu instid0(VALU_DEP_2) | instskip(NEXT) | instid1(VALU_DEP_1)
	v_clz_i32_u32_e32 v1, v4
	v_min_u32_e32 v1, 32, v1
	s_delay_alu instid0(VALU_DEP_1) | instskip(NEXT) | instid1(VALU_DEP_1)
	v_subrev_nc_u32_e32 v2, 28, v1
	v_lshlrev_b64_e32 v[2:3], v2, v[4:5]
	s_delay_alu instid0(VALU_DEP_1)
	v_dual_sub_nc_u32 v1, 29, v1 :: v_dual_bitop2_b32 v4, 7, v2 bitop3:0x40
; %bb.79:                               ;   in Loop: Header=BB230_10 Depth=1
	s_or_b32 exec_lo, exec_lo, s16
	v_lshlrev_b32_e32 v2, 24, v0
	s_delay_alu instid0(VALU_DEP_2) | instskip(NEXT) | instid1(VALU_DEP_3)
	v_lshlrev_b32_e32 v3, 20, v4
	v_lshl_add_u32 v1, v1, 23, 0x3c000000
	s_delay_alu instid0(VALU_DEP_3) | instskip(NEXT) | instid1(VALU_DEP_1)
	v_and_b32_e32 v2, 0x80000000, v2
	v_or3_b32 v4, v3, v2, v1
	v_mov_b32_e32 v1, v5
	s_clause 0x1
	scratch_store_b64 off, v[0:1], s32 offset:192
	scratch_store_b64 off, v[4:5], s32 offset:284
.LBB230_80:                             ;   in Loop: Header=BB230_10 Depth=1
	s_wait_xcnt 0x0
	s_or_b32 exec_lo, exec_lo, s11
.LBB230_81:                             ;   in Loop: Header=BB230_10 Depth=1
	s_delay_alu instid0(SALU_CYCLE_1)
	s_or_b32 exec_lo, exec_lo, s9
.LBB230_82:                             ;   in Loop: Header=BB230_10 Depth=1
	s_delay_alu instid0(SALU_CYCLE_1) | instskip(SKIP_2) | instid1(VALU_DEP_1)
	s_or_b32 exec_lo, exec_lo, s8
	v_lshrrev_b16 v1, 8, v0
	s_mov_b32 s8, exec_lo
	v_cmpx_ne_u16_e32 0, v1
	s_cbranch_execz .LBB230_90
; %bb.83:                               ;   in Loop: Header=BB230_10 Depth=1
	v_mov_b64_e32 v[2:3], 0x8000000000000000
	s_mov_b32 s9, exec_lo
	scratch_store_b64 off, v[2:3], s32 offset:276 ; 8-byte Folded Spill
	s_wait_xcnt 0x0
	v_cmpx_ne_u16_e32 0x80, v1
	s_cbranch_execz .LBB230_89
; %bb.84:                               ;   in Loop: Header=BB230_10 Depth=1
	v_and_b32_e32 v1, 0xffff, v1
	v_mov_b64_e32 v[4:5], 0x7f80000100000000
	s_mov_b32 s11, exec_lo
	s_delay_alu instid0(VALU_DEP_2)
	v_and_b32_e32 v2, 0x7f, v1
	scratch_store_b64 off, v[4:5], s32 offset:276 ; 8-byte Folded Spill
	s_wait_xcnt 0x0
	v_cmpx_ne_u32_e32 0x7f, v2
	s_cbranch_execz .LBB230_88
; %bb.85:                               ;   in Loop: Header=BB230_10 Depth=1
	scratch_load_b64 v[4:5], off, s32 offset:192 th:TH_LOAD_LU ; 8-byte Folded Reload
	s_wait_loadcnt 0x0
	v_dual_lshrrev_b32 v1, 3, v2 :: v_dual_bitop2_b32 v4, 7, v1 bitop3:0x40
	s_mov_b32 s16, exec_lo
	s_wait_xcnt 0x0
	v_cmpx_gt_u32_e32 8, v2
; %bb.86:                               ;   in Loop: Header=BB230_10 Depth=1
	s_delay_alu instid0(VALU_DEP_2) | instskip(NEXT) | instid1(VALU_DEP_1)
	v_clz_i32_u32_e32 v1, v4
	v_min_u32_e32 v1, 32, v1
	s_delay_alu instid0(VALU_DEP_1) | instskip(NEXT) | instid1(VALU_DEP_1)
	v_subrev_nc_u32_e32 v2, 28, v1
	v_lshlrev_b64_e32 v[2:3], v2, v[4:5]
	s_delay_alu instid0(VALU_DEP_1)
	v_dual_sub_nc_u32 v1, 29, v1 :: v_dual_bitop2_b32 v4, 7, v2 bitop3:0x40
; %bb.87:                               ;   in Loop: Header=BB230_10 Depth=1
	s_or_b32 exec_lo, exec_lo, s16
	v_lshlrev_b32_e32 v2, 16, v0
	s_delay_alu instid0(VALU_DEP_2) | instskip(NEXT) | instid1(VALU_DEP_3)
	v_lshlrev_b32_e32 v3, 20, v4
	v_lshl_add_u32 v1, v1, 23, 0x3c000000
	s_delay_alu instid0(VALU_DEP_3) | instskip(NEXT) | instid1(VALU_DEP_1)
	v_and_b32_e32 v2, 0x80000000, v2
	v_or3_b32 v3, v3, v2, v1
	v_dual_mov_b32 v1, v5 :: v_dual_mov_b32 v2, v5
	s_clause 0x1
	scratch_store_b64 off, v[0:1], s32 offset:192
	scratch_store_b64 off, v[2:3], s32 offset:276
.LBB230_88:                             ;   in Loop: Header=BB230_10 Depth=1
	s_wait_xcnt 0x0
	s_or_b32 exec_lo, exec_lo, s11
.LBB230_89:                             ;   in Loop: Header=BB230_10 Depth=1
	s_delay_alu instid0(SALU_CYCLE_1)
	s_or_b32 exec_lo, exec_lo, s9
.LBB230_90:                             ;   in Loop: Header=BB230_10 Depth=1
	s_delay_alu instid0(SALU_CYCLE_1) | instskip(SKIP_3) | instid1(VALU_DEP_1)
	s_or_b32 exec_lo, exec_lo, s8
	v_mov_b64_e32 v[4:5], 0
	v_lshrrev_b32_e32 v1, 16, v0
	s_mov_b32 s8, exec_lo
	v_and_b32_e32 v2, 0xff, v1
	scratch_store_b64 off, v[4:5], s32 offset:292 ; 8-byte Folded Spill
	s_wait_xcnt 0x0
	v_mov_b64_e32 v[4:5], 0
	scratch_store_b64 off, v[4:5], s32 offset:300 ; 8-byte Folded Spill
	s_wait_xcnt 0x0
	v_cmpx_ne_u16_e32 0, v2
	s_cbranch_execz .LBB230_98
; %bb.91:                               ;   in Loop: Header=BB230_10 Depth=1
	v_cmp_ne_u16_e64 s1, 0x80, v2
	v_mov_b64_e32 v[2:3], 0x80000000
	scratch_store_b64 off, v[2:3], s32 offset:300 ; 8-byte Folded Spill
	s_wait_xcnt 0x0
	s_and_saveexec_b32 s9, s1
	s_cbranch_execz .LBB230_97
; %bb.92:                               ;   in Loop: Header=BB230_10 Depth=1
	v_mov_b64_e32 v[4:5], 0x7f800001
	v_bfe_u32 v3, v0, 16, 7
	s_mov_b32 s11, exec_lo
	scratch_store_b64 off, v[4:5], s32 offset:300 ; 8-byte Folded Spill
	s_wait_xcnt 0x0
	v_cmpx_ne_u32_e32 0x7f, v3
	s_cbranch_execz .LBB230_96
; %bb.93:                               ;   in Loop: Header=BB230_10 Depth=1
	scratch_load_b64 v[6:7], off, s32 offset:192 th:TH_LOAD_LU ; 8-byte Folded Reload
	s_wait_loadcnt 0x0
	v_dual_lshrrev_b32 v2, 3, v3 :: v_dual_bitop2_b32 v6, 7, v1 bitop3:0x40
	s_mov_b32 s16, exec_lo
	s_wait_xcnt 0x0
	v_cmpx_gt_u32_e32 8, v3
; %bb.94:                               ;   in Loop: Header=BB230_10 Depth=1
	s_delay_alu instid0(VALU_DEP_2) | instskip(NEXT) | instid1(VALU_DEP_1)
	v_clz_i32_u32_e32 v2, v6
	v_min_u32_e32 v2, 32, v2
	s_delay_alu instid0(VALU_DEP_1) | instskip(NEXT) | instid1(VALU_DEP_1)
	v_subrev_nc_u32_e32 v3, 28, v2
	v_lshlrev_b64_e32 v[4:5], v3, v[6:7]
	s_delay_alu instid0(VALU_DEP_1)
	v_dual_sub_nc_u32 v2, 29, v2 :: v_dual_bitop2_b32 v6, 7, v4 bitop3:0x40
; %bb.95:                               ;   in Loop: Header=BB230_10 Depth=1
	s_or_b32 exec_lo, exec_lo, s16
	s_delay_alu instid0(VALU_DEP_1) | instskip(NEXT) | instid1(VALU_DEP_2)
	v_dual_lshlrev_b32 v1, 24, v1 :: v_dual_lshlrev_b32 v3, 20, v6
	v_lshl_add_u32 v2, v2, 23, 0x3c000000
	s_delay_alu instid0(VALU_DEP_2) | instskip(NEXT) | instid1(VALU_DEP_1)
	v_and_b32_e32 v1, 0x80000000, v1
	v_or3_b32 v6, v3, v1, v2
	v_mov_b32_e32 v1, v7
	s_clause 0x1
	scratch_store_b64 off, v[0:1], s32 offset:192
	scratch_store_b64 off, v[6:7], s32 offset:300
.LBB230_96:                             ;   in Loop: Header=BB230_10 Depth=1
	s_wait_xcnt 0x0
	s_or_b32 exec_lo, exec_lo, s11
.LBB230_97:                             ;   in Loop: Header=BB230_10 Depth=1
	s_delay_alu instid0(SALU_CYCLE_1)
	s_or_b32 exec_lo, exec_lo, s9
.LBB230_98:                             ;   in Loop: Header=BB230_10 Depth=1
	s_delay_alu instid0(SALU_CYCLE_1) | instskip(NEXT) | instid1(SALU_CYCLE_1)
	s_or_b32 exec_lo, exec_lo, s8
	s_mov_b32 s8, exec_lo
	v_cmpx_lt_u32_e32 0xffffff, v0
	s_cbranch_execz .LBB230_106
; %bb.99:                               ;   in Loop: Header=BB230_10 Depth=1
	v_mov_b64_e32 v[2:3], 0x8000000000000000
	v_lshrrev_b32_e32 v1, 24, v0
	s_mov_b32 s9, exec_lo
	scratch_store_b64 off, v[2:3], s32 offset:292 ; 8-byte Folded Spill
	s_wait_xcnt 0x0
	v_cmpx_ne_u32_e32 0x80, v1
	s_cbranch_execz .LBB230_105
; %bb.100:                              ;   in Loop: Header=BB230_10 Depth=1
	v_mov_b64_e32 v[4:5], 0x7f80000100000000
	v_bfe_u32 v2, v0, 24, 7
	s_mov_b32 s11, exec_lo
	scratch_store_b64 off, v[4:5], s32 offset:292 ; 8-byte Folded Spill
	s_wait_xcnt 0x0
	v_cmpx_ne_u32_e32 0x7f, v2
	s_cbranch_execz .LBB230_104
; %bb.101:                              ;   in Loop: Header=BB230_10 Depth=1
	scratch_load_b64 v[4:5], off, s32 offset:192 th:TH_LOAD_LU ; 8-byte Folded Reload
	s_wait_loadcnt 0x0
	v_dual_lshrrev_b32 v0, 3, v2 :: v_dual_bitop2_b32 v4, 7, v1 bitop3:0x40
	s_mov_b32 s16, exec_lo
	s_wait_xcnt 0x0
	v_cmpx_gt_u32_e32 8, v2
; %bb.102:                              ;   in Loop: Header=BB230_10 Depth=1
	s_delay_alu instid0(VALU_DEP_2) | instskip(NEXT) | instid1(VALU_DEP_1)
	v_clz_i32_u32_e32 v0, v4
	v_min_u32_e32 v0, 32, v0
	s_delay_alu instid0(VALU_DEP_1) | instskip(NEXT) | instid1(VALU_DEP_1)
	v_subrev_nc_u32_e32 v2, 28, v0
	v_lshlrev_b64_e32 v[2:3], v2, v[4:5]
	s_delay_alu instid0(VALU_DEP_1)
	v_dual_sub_nc_u32 v0, 29, v0 :: v_dual_bitop2_b32 v4, 7, v2 bitop3:0x40
; %bb.103:                              ;   in Loop: Header=BB230_10 Depth=1
	s_or_b32 exec_lo, exec_lo, s16
	s_delay_alu instid0(VALU_DEP_1) | instskip(NEXT) | instid1(VALU_DEP_2)
	v_dual_lshlrev_b32 v1, 24, v1 :: v_dual_lshlrev_b32 v2, 20, v4
	v_lshl_add_u32 v0, v0, 23, 0x3c000000
	s_delay_alu instid0(VALU_DEP_2) | instskip(NEXT) | instid1(VALU_DEP_1)
	v_and_b32_e32 v1, 0x80000000, v1
	v_or3_b32 v3, v2, v1, v0
	v_dual_mov_b32 v1, v5 :: v_dual_mov_b32 v2, v5
	s_clause 0x1
	scratch_store_b64 off, v[0:1], s32 offset:192
	scratch_store_b64 off, v[2:3], s32 offset:292
.LBB230_104:                            ;   in Loop: Header=BB230_10 Depth=1
	s_wait_xcnt 0x0
	s_or_b32 exec_lo, exec_lo, s11
.LBB230_105:                            ;   in Loop: Header=BB230_10 Depth=1
	s_delay_alu instid0(SALU_CYCLE_1)
	s_or_b32 exec_lo, exec_lo, s9
.LBB230_106:                            ;   in Loop: Header=BB230_10 Depth=1
	s_delay_alu instid0(SALU_CYCLE_1)
	s_or_b32 exec_lo, exec_lo, s8
	flat_load_b32 v0, v[92:93] offset:12
	v_mov_b64_e32 v[2:3], 0
	s_mov_b32 s8, exec_lo
	scratch_store_b64 off, v[2:3], s32 offset:308 ; 8-byte Folded Spill
	s_wait_xcnt 0x0
	v_mov_b64_e32 v[2:3], 0
	scratch_store_b64 off, v[2:3], s32 offset:316 ; 8-byte Folded Spill
	s_wait_loadcnt_dscnt 0x0
	v_and_b32_e32 v1, 0xff, v0
	s_wait_xcnt 0x0
	s_delay_alu instid0(VALU_DEP_1)
	v_cmpx_ne_u16_e32 0, v1
	s_cbranch_execz .LBB230_114
; %bb.107:                              ;   in Loop: Header=BB230_10 Depth=1
	v_mov_b64_e32 v[2:3], 0x80000000
	s_mov_b32 s9, exec_lo
	scratch_store_b64 off, v[2:3], s32 offset:316 ; 8-byte Folded Spill
	s_wait_xcnt 0x0
	v_cmpx_ne_u16_e32 0x80, v1
	s_cbranch_execz .LBB230_113
; %bb.108:                              ;   in Loop: Header=BB230_10 Depth=1
	v_mov_b64_e32 v[4:5], 0x7f800001
	v_and_b32_e32 v2, 0x7f, v0
	s_mov_b32 s11, exec_lo
	scratch_store_b64 off, v[4:5], s32 offset:316 ; 8-byte Folded Spill
	s_wait_xcnt 0x0
	v_cmpx_ne_u32_e32 0x7f, v2
	s_cbranch_execz .LBB230_112
; %bb.109:                              ;   in Loop: Header=BB230_10 Depth=1
	scratch_load_b64 v[4:5], off, s32 offset:192 th:TH_LOAD_LU ; 8-byte Folded Reload
	s_wait_loadcnt 0x0
	v_dual_lshrrev_b32 v1, 3, v2 :: v_dual_bitop2_b32 v4, 7, v0 bitop3:0x40
	s_mov_b32 s16, exec_lo
	s_wait_xcnt 0x0
	v_cmpx_gt_u32_e32 8, v2
; %bb.110:                              ;   in Loop: Header=BB230_10 Depth=1
	s_delay_alu instid0(VALU_DEP_2) | instskip(NEXT) | instid1(VALU_DEP_1)
	v_clz_i32_u32_e32 v1, v4
	v_min_u32_e32 v1, 32, v1
	s_delay_alu instid0(VALU_DEP_1) | instskip(NEXT) | instid1(VALU_DEP_1)
	v_subrev_nc_u32_e32 v2, 28, v1
	v_lshlrev_b64_e32 v[2:3], v2, v[4:5]
	s_delay_alu instid0(VALU_DEP_1)
	v_dual_sub_nc_u32 v1, 29, v1 :: v_dual_bitop2_b32 v4, 7, v2 bitop3:0x40
; %bb.111:                              ;   in Loop: Header=BB230_10 Depth=1
	s_or_b32 exec_lo, exec_lo, s16
	v_lshlrev_b32_e32 v2, 24, v0
	s_delay_alu instid0(VALU_DEP_2) | instskip(NEXT) | instid1(VALU_DEP_3)
	v_lshlrev_b32_e32 v3, 20, v4
	v_lshl_add_u32 v1, v1, 23, 0x3c000000
	s_delay_alu instid0(VALU_DEP_3) | instskip(NEXT) | instid1(VALU_DEP_1)
	v_and_b32_e32 v2, 0x80000000, v2
	v_or3_b32 v4, v3, v2, v1
	v_mov_b32_e32 v1, v5
	s_clause 0x1
	scratch_store_b64 off, v[0:1], s32 offset:192
	scratch_store_b64 off, v[4:5], s32 offset:316
.LBB230_112:                            ;   in Loop: Header=BB230_10 Depth=1
	s_wait_xcnt 0x0
	s_or_b32 exec_lo, exec_lo, s11
.LBB230_113:                            ;   in Loop: Header=BB230_10 Depth=1
	s_delay_alu instid0(SALU_CYCLE_1)
	s_or_b32 exec_lo, exec_lo, s9
.LBB230_114:                            ;   in Loop: Header=BB230_10 Depth=1
	s_delay_alu instid0(SALU_CYCLE_1) | instskip(SKIP_2) | instid1(VALU_DEP_1)
	s_or_b32 exec_lo, exec_lo, s8
	v_lshrrev_b16 v1, 8, v0
	s_mov_b32 s8, exec_lo
	v_cmpx_ne_u16_e32 0, v1
	s_cbranch_execz .LBB230_122
; %bb.115:                              ;   in Loop: Header=BB230_10 Depth=1
	v_mov_b64_e32 v[2:3], 0x8000000000000000
	s_mov_b32 s9, exec_lo
	scratch_store_b64 off, v[2:3], s32 offset:308 ; 8-byte Folded Spill
	s_wait_xcnt 0x0
	v_cmpx_ne_u16_e32 0x80, v1
	s_cbranch_execz .LBB230_121
; %bb.116:                              ;   in Loop: Header=BB230_10 Depth=1
	v_and_b32_e32 v1, 0xffff, v1
	v_mov_b64_e32 v[4:5], 0x7f80000100000000
	s_mov_b32 s11, exec_lo
	s_delay_alu instid0(VALU_DEP_2)
	v_and_b32_e32 v2, 0x7f, v1
	scratch_store_b64 off, v[4:5], s32 offset:308 ; 8-byte Folded Spill
	s_wait_xcnt 0x0
	v_cmpx_ne_u32_e32 0x7f, v2
	s_cbranch_execz .LBB230_120
; %bb.117:                              ;   in Loop: Header=BB230_10 Depth=1
	scratch_load_b64 v[4:5], off, s32 offset:192 th:TH_LOAD_LU ; 8-byte Folded Reload
	s_wait_loadcnt 0x0
	v_dual_lshrrev_b32 v1, 3, v2 :: v_dual_bitop2_b32 v4, 7, v1 bitop3:0x40
	s_mov_b32 s16, exec_lo
	s_wait_xcnt 0x0
	v_cmpx_gt_u32_e32 8, v2
; %bb.118:                              ;   in Loop: Header=BB230_10 Depth=1
	s_delay_alu instid0(VALU_DEP_2) | instskip(NEXT) | instid1(VALU_DEP_1)
	v_clz_i32_u32_e32 v1, v4
	v_min_u32_e32 v1, 32, v1
	s_delay_alu instid0(VALU_DEP_1) | instskip(NEXT) | instid1(VALU_DEP_1)
	v_subrev_nc_u32_e32 v2, 28, v1
	v_lshlrev_b64_e32 v[2:3], v2, v[4:5]
	s_delay_alu instid0(VALU_DEP_1)
	v_dual_sub_nc_u32 v1, 29, v1 :: v_dual_bitop2_b32 v4, 7, v2 bitop3:0x40
; %bb.119:                              ;   in Loop: Header=BB230_10 Depth=1
	s_or_b32 exec_lo, exec_lo, s16
	v_lshlrev_b32_e32 v2, 16, v0
	s_delay_alu instid0(VALU_DEP_2) | instskip(NEXT) | instid1(VALU_DEP_3)
	v_lshlrev_b32_e32 v3, 20, v4
	v_lshl_add_u32 v1, v1, 23, 0x3c000000
	s_delay_alu instid0(VALU_DEP_3) | instskip(NEXT) | instid1(VALU_DEP_1)
	v_and_b32_e32 v2, 0x80000000, v2
	v_or3_b32 v3, v3, v2, v1
	v_dual_mov_b32 v1, v5 :: v_dual_mov_b32 v2, v5
	s_clause 0x1
	scratch_store_b64 off, v[0:1], s32 offset:192
	scratch_store_b64 off, v[2:3], s32 offset:308
.LBB230_120:                            ;   in Loop: Header=BB230_10 Depth=1
	s_wait_xcnt 0x0
	s_or_b32 exec_lo, exec_lo, s11
.LBB230_121:                            ;   in Loop: Header=BB230_10 Depth=1
	s_delay_alu instid0(SALU_CYCLE_1)
	s_or_b32 exec_lo, exec_lo, s9
.LBB230_122:                            ;   in Loop: Header=BB230_10 Depth=1
	s_delay_alu instid0(SALU_CYCLE_1) | instskip(SKIP_3) | instid1(VALU_DEP_1)
	s_or_b32 exec_lo, exec_lo, s8
	v_mov_b64_e32 v[4:5], 0
	v_lshrrev_b32_e32 v1, 16, v0
	s_mov_b32 s8, exec_lo
	v_and_b32_e32 v2, 0xff, v1
	scratch_store_b64 off, v[4:5], s32 offset:324 ; 8-byte Folded Spill
	s_wait_xcnt 0x0
	v_mov_b64_e32 v[4:5], 0
	scratch_store_b64 off, v[4:5], s32 offset:332 ; 8-byte Folded Spill
	s_wait_xcnt 0x0
	v_cmpx_ne_u16_e32 0, v2
	s_cbranch_execz .LBB230_130
; %bb.123:                              ;   in Loop: Header=BB230_10 Depth=1
	v_cmp_ne_u16_e64 s1, 0x80, v2
	v_mov_b64_e32 v[2:3], 0x80000000
	scratch_store_b64 off, v[2:3], s32 offset:332 ; 8-byte Folded Spill
	s_wait_xcnt 0x0
	s_and_saveexec_b32 s9, s1
	s_cbranch_execz .LBB230_129
; %bb.124:                              ;   in Loop: Header=BB230_10 Depth=1
	v_mov_b64_e32 v[4:5], 0x7f800001
	v_bfe_u32 v3, v0, 16, 7
	s_mov_b32 s11, exec_lo
	scratch_store_b64 off, v[4:5], s32 offset:332 ; 8-byte Folded Spill
	s_wait_xcnt 0x0
	v_cmpx_ne_u32_e32 0x7f, v3
	s_cbranch_execz .LBB230_128
; %bb.125:                              ;   in Loop: Header=BB230_10 Depth=1
	scratch_load_b64 v[6:7], off, s32 offset:192 th:TH_LOAD_LU ; 8-byte Folded Reload
	s_wait_loadcnt 0x0
	v_dual_lshrrev_b32 v2, 3, v3 :: v_dual_bitop2_b32 v6, 7, v1 bitop3:0x40
	s_mov_b32 s16, exec_lo
	s_wait_xcnt 0x0
	v_cmpx_gt_u32_e32 8, v3
; %bb.126:                              ;   in Loop: Header=BB230_10 Depth=1
	s_delay_alu instid0(VALU_DEP_2) | instskip(NEXT) | instid1(VALU_DEP_1)
	v_clz_i32_u32_e32 v2, v6
	v_min_u32_e32 v2, 32, v2
	s_delay_alu instid0(VALU_DEP_1) | instskip(NEXT) | instid1(VALU_DEP_1)
	v_subrev_nc_u32_e32 v3, 28, v2
	v_lshlrev_b64_e32 v[4:5], v3, v[6:7]
	s_delay_alu instid0(VALU_DEP_1)
	v_dual_sub_nc_u32 v2, 29, v2 :: v_dual_bitop2_b32 v6, 7, v4 bitop3:0x40
; %bb.127:                              ;   in Loop: Header=BB230_10 Depth=1
	s_or_b32 exec_lo, exec_lo, s16
	s_delay_alu instid0(VALU_DEP_1) | instskip(NEXT) | instid1(VALU_DEP_2)
	v_dual_lshlrev_b32 v1, 24, v1 :: v_dual_lshlrev_b32 v3, 20, v6
	v_lshl_add_u32 v2, v2, 23, 0x3c000000
	s_delay_alu instid0(VALU_DEP_2) | instskip(NEXT) | instid1(VALU_DEP_1)
	v_and_b32_e32 v1, 0x80000000, v1
	v_or3_b32 v6, v3, v1, v2
	v_mov_b32_e32 v1, v7
	s_clause 0x1
	scratch_store_b64 off, v[0:1], s32 offset:192
	scratch_store_b64 off, v[6:7], s32 offset:332
.LBB230_128:                            ;   in Loop: Header=BB230_10 Depth=1
	s_wait_xcnt 0x0
	s_or_b32 exec_lo, exec_lo, s11
.LBB230_129:                            ;   in Loop: Header=BB230_10 Depth=1
	s_delay_alu instid0(SALU_CYCLE_1)
	s_or_b32 exec_lo, exec_lo, s9
.LBB230_130:                            ;   in Loop: Header=BB230_10 Depth=1
	s_delay_alu instid0(SALU_CYCLE_1) | instskip(NEXT) | instid1(SALU_CYCLE_1)
	s_or_b32 exec_lo, exec_lo, s8
	s_mov_b32 s8, exec_lo
	v_cmpx_lt_u32_e32 0xffffff, v0
	s_cbranch_execz .LBB230_138
; %bb.131:                              ;   in Loop: Header=BB230_10 Depth=1
	v_mov_b64_e32 v[2:3], 0x8000000000000000
	v_lshrrev_b32_e32 v1, 24, v0
	s_mov_b32 s9, exec_lo
	scratch_store_b64 off, v[2:3], s32 offset:324 ; 8-byte Folded Spill
	s_wait_xcnt 0x0
	v_cmpx_ne_u32_e32 0x80, v1
	s_cbranch_execz .LBB230_137
; %bb.132:                              ;   in Loop: Header=BB230_10 Depth=1
	v_mov_b64_e32 v[4:5], 0x7f80000100000000
	v_bfe_u32 v2, v0, 24, 7
	s_mov_b32 s11, exec_lo
	scratch_store_b64 off, v[4:5], s32 offset:324 ; 8-byte Folded Spill
	s_wait_xcnt 0x0
	v_cmpx_ne_u32_e32 0x7f, v2
	s_cbranch_execz .LBB230_136
; %bb.133:                              ;   in Loop: Header=BB230_10 Depth=1
	scratch_load_b64 v[4:5], off, s32 offset:192 th:TH_LOAD_LU ; 8-byte Folded Reload
	s_wait_loadcnt 0x0
	v_dual_lshrrev_b32 v0, 3, v2 :: v_dual_bitop2_b32 v4, 7, v1 bitop3:0x40
	s_mov_b32 s16, exec_lo
	s_wait_xcnt 0x0
	v_cmpx_gt_u32_e32 8, v2
; %bb.134:                              ;   in Loop: Header=BB230_10 Depth=1
	s_delay_alu instid0(VALU_DEP_2) | instskip(NEXT) | instid1(VALU_DEP_1)
	v_clz_i32_u32_e32 v0, v4
	v_min_u32_e32 v0, 32, v0
	s_delay_alu instid0(VALU_DEP_1) | instskip(NEXT) | instid1(VALU_DEP_1)
	v_subrev_nc_u32_e32 v2, 28, v0
	v_lshlrev_b64_e32 v[2:3], v2, v[4:5]
	s_delay_alu instid0(VALU_DEP_1)
	v_dual_sub_nc_u32 v0, 29, v0 :: v_dual_bitop2_b32 v4, 7, v2 bitop3:0x40
; %bb.135:                              ;   in Loop: Header=BB230_10 Depth=1
	s_or_b32 exec_lo, exec_lo, s16
	s_delay_alu instid0(VALU_DEP_1) | instskip(NEXT) | instid1(VALU_DEP_2)
	v_dual_lshlrev_b32 v1, 24, v1 :: v_dual_lshlrev_b32 v2, 20, v4
	v_lshl_add_u32 v0, v0, 23, 0x3c000000
	s_delay_alu instid0(VALU_DEP_2) | instskip(NEXT) | instid1(VALU_DEP_1)
	v_and_b32_e32 v1, 0x80000000, v1
	v_or3_b32 v3, v2, v1, v0
	v_dual_mov_b32 v1, v5 :: v_dual_mov_b32 v2, v5
	s_clause 0x1
	scratch_store_b64 off, v[0:1], s32 offset:192
	scratch_store_b64 off, v[2:3], s32 offset:324
.LBB230_136:                            ;   in Loop: Header=BB230_10 Depth=1
	s_wait_xcnt 0x0
	s_or_b32 exec_lo, exec_lo, s11
.LBB230_137:                            ;   in Loop: Header=BB230_10 Depth=1
	s_delay_alu instid0(SALU_CYCLE_1)
	s_or_b32 exec_lo, exec_lo, s9
.LBB230_138:                            ;   in Loop: Header=BB230_10 Depth=1
	s_delay_alu instid0(SALU_CYCLE_1)
	s_or_b32 exec_lo, exec_lo, s8
	flat_load_b32 v0, v[92:93] offset:512
	v_mov_b64_e32 v[2:3], 0
	s_mov_b32 s8, exec_lo
	scratch_store_b64 off, v[2:3], s32 offset:340 ; 8-byte Folded Spill
	s_wait_xcnt 0x0
	v_mov_b64_e32 v[2:3], 0
	scratch_store_b64 off, v[2:3], s32 offset:348 ; 8-byte Folded Spill
	s_wait_loadcnt_dscnt 0x0
	v_and_b32_e32 v1, 0xff, v0
	s_wait_xcnt 0x0
	s_delay_alu instid0(VALU_DEP_1)
	v_cmpx_ne_u16_e32 0, v1
	s_cbranch_execz .LBB230_146
; %bb.139:                              ;   in Loop: Header=BB230_10 Depth=1
	v_mov_b64_e32 v[2:3], 0x80000000
	s_mov_b32 s9, exec_lo
	scratch_store_b64 off, v[2:3], s32 offset:348 ; 8-byte Folded Spill
	s_wait_xcnt 0x0
	v_cmpx_ne_u16_e32 0x80, v1
	s_cbranch_execz .LBB230_145
; %bb.140:                              ;   in Loop: Header=BB230_10 Depth=1
	v_mov_b64_e32 v[4:5], 0x7f800001
	v_and_b32_e32 v2, 0x7f, v0
	s_mov_b32 s11, exec_lo
	scratch_store_b64 off, v[4:5], s32 offset:348 ; 8-byte Folded Spill
	s_wait_xcnt 0x0
	v_cmpx_ne_u32_e32 0x7f, v2
	s_cbranch_execz .LBB230_144
; %bb.141:                              ;   in Loop: Header=BB230_10 Depth=1
	scratch_load_b64 v[4:5], off, s32 offset:192 th:TH_LOAD_LU ; 8-byte Folded Reload
	s_wait_loadcnt 0x0
	v_dual_lshrrev_b32 v1, 3, v2 :: v_dual_bitop2_b32 v4, 7, v0 bitop3:0x40
	s_mov_b32 s16, exec_lo
	s_wait_xcnt 0x0
	v_cmpx_gt_u32_e32 8, v2
; %bb.142:                              ;   in Loop: Header=BB230_10 Depth=1
	s_delay_alu instid0(VALU_DEP_2) | instskip(NEXT) | instid1(VALU_DEP_1)
	v_clz_i32_u32_e32 v1, v4
	v_min_u32_e32 v1, 32, v1
	s_delay_alu instid0(VALU_DEP_1) | instskip(NEXT) | instid1(VALU_DEP_1)
	v_subrev_nc_u32_e32 v2, 28, v1
	v_lshlrev_b64_e32 v[2:3], v2, v[4:5]
	s_delay_alu instid0(VALU_DEP_1)
	v_dual_sub_nc_u32 v1, 29, v1 :: v_dual_bitop2_b32 v4, 7, v2 bitop3:0x40
; %bb.143:                              ;   in Loop: Header=BB230_10 Depth=1
	s_or_b32 exec_lo, exec_lo, s16
	v_lshlrev_b32_e32 v2, 24, v0
	s_delay_alu instid0(VALU_DEP_2) | instskip(NEXT) | instid1(VALU_DEP_3)
	v_lshlrev_b32_e32 v3, 20, v4
	v_lshl_add_u32 v1, v1, 23, 0x3c000000
	s_delay_alu instid0(VALU_DEP_3) | instskip(NEXT) | instid1(VALU_DEP_1)
	v_and_b32_e32 v2, 0x80000000, v2
	v_or3_b32 v4, v3, v2, v1
	v_mov_b32_e32 v1, v5
	s_clause 0x1
	scratch_store_b64 off, v[0:1], s32 offset:192
	scratch_store_b64 off, v[4:5], s32 offset:348
.LBB230_144:                            ;   in Loop: Header=BB230_10 Depth=1
	s_wait_xcnt 0x0
	s_or_b32 exec_lo, exec_lo, s11
.LBB230_145:                            ;   in Loop: Header=BB230_10 Depth=1
	s_delay_alu instid0(SALU_CYCLE_1)
	s_or_b32 exec_lo, exec_lo, s9
.LBB230_146:                            ;   in Loop: Header=BB230_10 Depth=1
	s_delay_alu instid0(SALU_CYCLE_1) | instskip(SKIP_2) | instid1(VALU_DEP_1)
	s_or_b32 exec_lo, exec_lo, s8
	v_lshrrev_b16 v1, 8, v0
	s_mov_b32 s8, exec_lo
	v_cmpx_ne_u16_e32 0, v1
	s_cbranch_execz .LBB230_154
; %bb.147:                              ;   in Loop: Header=BB230_10 Depth=1
	v_mov_b64_e32 v[2:3], 0x8000000000000000
	s_mov_b32 s9, exec_lo
	scratch_store_b64 off, v[2:3], s32 offset:340 ; 8-byte Folded Spill
	s_wait_xcnt 0x0
	v_cmpx_ne_u16_e32 0x80, v1
	s_cbranch_execz .LBB230_153
; %bb.148:                              ;   in Loop: Header=BB230_10 Depth=1
	v_and_b32_e32 v1, 0xffff, v1
	v_mov_b64_e32 v[4:5], 0x7f80000100000000
	s_mov_b32 s11, exec_lo
	s_delay_alu instid0(VALU_DEP_2)
	v_and_b32_e32 v2, 0x7f, v1
	scratch_store_b64 off, v[4:5], s32 offset:340 ; 8-byte Folded Spill
	s_wait_xcnt 0x0
	v_cmpx_ne_u32_e32 0x7f, v2
	s_cbranch_execz .LBB230_152
; %bb.149:                              ;   in Loop: Header=BB230_10 Depth=1
	scratch_load_b64 v[4:5], off, s32 offset:192 th:TH_LOAD_LU ; 8-byte Folded Reload
	s_wait_loadcnt 0x0
	v_dual_lshrrev_b32 v1, 3, v2 :: v_dual_bitop2_b32 v4, 7, v1 bitop3:0x40
	s_mov_b32 s16, exec_lo
	s_wait_xcnt 0x0
	v_cmpx_gt_u32_e32 8, v2
; %bb.150:                              ;   in Loop: Header=BB230_10 Depth=1
	s_delay_alu instid0(VALU_DEP_2) | instskip(NEXT) | instid1(VALU_DEP_1)
	v_clz_i32_u32_e32 v1, v4
	v_min_u32_e32 v1, 32, v1
	s_delay_alu instid0(VALU_DEP_1) | instskip(NEXT) | instid1(VALU_DEP_1)
	v_subrev_nc_u32_e32 v2, 28, v1
	v_lshlrev_b64_e32 v[2:3], v2, v[4:5]
	s_delay_alu instid0(VALU_DEP_1)
	v_dual_sub_nc_u32 v1, 29, v1 :: v_dual_bitop2_b32 v4, 7, v2 bitop3:0x40
; %bb.151:                              ;   in Loop: Header=BB230_10 Depth=1
	s_or_b32 exec_lo, exec_lo, s16
	v_lshlrev_b32_e32 v2, 16, v0
	s_delay_alu instid0(VALU_DEP_2) | instskip(NEXT) | instid1(VALU_DEP_3)
	v_lshlrev_b32_e32 v3, 20, v4
	v_lshl_add_u32 v1, v1, 23, 0x3c000000
	s_delay_alu instid0(VALU_DEP_3) | instskip(NEXT) | instid1(VALU_DEP_1)
	v_and_b32_e32 v2, 0x80000000, v2
	v_or3_b32 v3, v3, v2, v1
	v_dual_mov_b32 v1, v5 :: v_dual_mov_b32 v2, v5
	s_clause 0x1
	scratch_store_b64 off, v[0:1], s32 offset:192
	scratch_store_b64 off, v[2:3], s32 offset:340
.LBB230_152:                            ;   in Loop: Header=BB230_10 Depth=1
	s_wait_xcnt 0x0
	s_or_b32 exec_lo, exec_lo, s11
.LBB230_153:                            ;   in Loop: Header=BB230_10 Depth=1
	s_delay_alu instid0(SALU_CYCLE_1)
	s_or_b32 exec_lo, exec_lo, s9
.LBB230_154:                            ;   in Loop: Header=BB230_10 Depth=1
	s_delay_alu instid0(SALU_CYCLE_1) | instskip(SKIP_3) | instid1(VALU_DEP_1)
	s_or_b32 exec_lo, exec_lo, s8
	v_mov_b64_e32 v[4:5], 0
	v_lshrrev_b32_e32 v1, 16, v0
	s_mov_b32 s8, exec_lo
	v_and_b32_e32 v2, 0xff, v1
	scratch_store_b64 off, v[4:5], s32 offset:356 ; 8-byte Folded Spill
	s_wait_xcnt 0x0
	v_mov_b64_e32 v[4:5], 0
	scratch_store_b64 off, v[4:5], s32 offset:364 ; 8-byte Folded Spill
	s_wait_xcnt 0x0
	v_cmpx_ne_u16_e32 0, v2
	s_cbranch_execz .LBB230_162
; %bb.155:                              ;   in Loop: Header=BB230_10 Depth=1
	v_cmp_ne_u16_e64 s1, 0x80, v2
	v_mov_b64_e32 v[2:3], 0x80000000
	scratch_store_b64 off, v[2:3], s32 offset:364 ; 8-byte Folded Spill
	s_wait_xcnt 0x0
	s_and_saveexec_b32 s9, s1
	s_cbranch_execz .LBB230_161
; %bb.156:                              ;   in Loop: Header=BB230_10 Depth=1
	v_mov_b64_e32 v[4:5], 0x7f800001
	v_bfe_u32 v3, v0, 16, 7
	s_mov_b32 s11, exec_lo
	scratch_store_b64 off, v[4:5], s32 offset:364 ; 8-byte Folded Spill
	s_wait_xcnt 0x0
	v_cmpx_ne_u32_e32 0x7f, v3
	s_cbranch_execz .LBB230_160
; %bb.157:                              ;   in Loop: Header=BB230_10 Depth=1
	scratch_load_b64 v[6:7], off, s32 offset:192 th:TH_LOAD_LU ; 8-byte Folded Reload
	s_wait_loadcnt 0x0
	v_dual_lshrrev_b32 v2, 3, v3 :: v_dual_bitop2_b32 v6, 7, v1 bitop3:0x40
	s_mov_b32 s16, exec_lo
	s_wait_xcnt 0x0
	v_cmpx_gt_u32_e32 8, v3
; %bb.158:                              ;   in Loop: Header=BB230_10 Depth=1
	s_delay_alu instid0(VALU_DEP_2) | instskip(NEXT) | instid1(VALU_DEP_1)
	v_clz_i32_u32_e32 v2, v6
	v_min_u32_e32 v2, 32, v2
	s_delay_alu instid0(VALU_DEP_1) | instskip(NEXT) | instid1(VALU_DEP_1)
	v_subrev_nc_u32_e32 v3, 28, v2
	v_lshlrev_b64_e32 v[4:5], v3, v[6:7]
	s_delay_alu instid0(VALU_DEP_1)
	v_dual_sub_nc_u32 v2, 29, v2 :: v_dual_bitop2_b32 v6, 7, v4 bitop3:0x40
; %bb.159:                              ;   in Loop: Header=BB230_10 Depth=1
	s_or_b32 exec_lo, exec_lo, s16
	s_delay_alu instid0(VALU_DEP_1) | instskip(NEXT) | instid1(VALU_DEP_2)
	v_dual_lshlrev_b32 v1, 24, v1 :: v_dual_lshlrev_b32 v3, 20, v6
	v_lshl_add_u32 v2, v2, 23, 0x3c000000
	s_delay_alu instid0(VALU_DEP_2) | instskip(NEXT) | instid1(VALU_DEP_1)
	v_and_b32_e32 v1, 0x80000000, v1
	v_or3_b32 v6, v3, v1, v2
	v_mov_b32_e32 v1, v7
	s_clause 0x1
	scratch_store_b64 off, v[0:1], s32 offset:192
	scratch_store_b64 off, v[6:7], s32 offset:364
.LBB230_160:                            ;   in Loop: Header=BB230_10 Depth=1
	s_wait_xcnt 0x0
	s_or_b32 exec_lo, exec_lo, s11
.LBB230_161:                            ;   in Loop: Header=BB230_10 Depth=1
	s_delay_alu instid0(SALU_CYCLE_1)
	s_or_b32 exec_lo, exec_lo, s9
.LBB230_162:                            ;   in Loop: Header=BB230_10 Depth=1
	s_delay_alu instid0(SALU_CYCLE_1) | instskip(NEXT) | instid1(SALU_CYCLE_1)
	s_or_b32 exec_lo, exec_lo, s8
	s_mov_b32 s8, exec_lo
	v_cmpx_lt_u32_e32 0xffffff, v0
	s_cbranch_execz .LBB230_170
; %bb.163:                              ;   in Loop: Header=BB230_10 Depth=1
	v_mov_b64_e32 v[2:3], 0x8000000000000000
	v_lshrrev_b32_e32 v1, 24, v0
	s_mov_b32 s9, exec_lo
	scratch_store_b64 off, v[2:3], s32 offset:356 ; 8-byte Folded Spill
	s_wait_xcnt 0x0
	v_cmpx_ne_u32_e32 0x80, v1
	s_cbranch_execz .LBB230_169
; %bb.164:                              ;   in Loop: Header=BB230_10 Depth=1
	v_mov_b64_e32 v[4:5], 0x7f80000100000000
	v_bfe_u32 v2, v0, 24, 7
	s_mov_b32 s11, exec_lo
	scratch_store_b64 off, v[4:5], s32 offset:356 ; 8-byte Folded Spill
	s_wait_xcnt 0x0
	v_cmpx_ne_u32_e32 0x7f, v2
	s_cbranch_execz .LBB230_168
; %bb.165:                              ;   in Loop: Header=BB230_10 Depth=1
	scratch_load_b64 v[4:5], off, s32 offset:192 th:TH_LOAD_LU ; 8-byte Folded Reload
	s_wait_loadcnt 0x0
	v_dual_lshrrev_b32 v0, 3, v2 :: v_dual_bitop2_b32 v4, 7, v1 bitop3:0x40
	s_mov_b32 s16, exec_lo
	s_wait_xcnt 0x0
	v_cmpx_gt_u32_e32 8, v2
; %bb.166:                              ;   in Loop: Header=BB230_10 Depth=1
	s_delay_alu instid0(VALU_DEP_2) | instskip(NEXT) | instid1(VALU_DEP_1)
	v_clz_i32_u32_e32 v0, v4
	v_min_u32_e32 v0, 32, v0
	s_delay_alu instid0(VALU_DEP_1) | instskip(NEXT) | instid1(VALU_DEP_1)
	v_subrev_nc_u32_e32 v2, 28, v0
	v_lshlrev_b64_e32 v[2:3], v2, v[4:5]
	s_delay_alu instid0(VALU_DEP_1)
	v_dual_sub_nc_u32 v0, 29, v0 :: v_dual_bitop2_b32 v4, 7, v2 bitop3:0x40
; %bb.167:                              ;   in Loop: Header=BB230_10 Depth=1
	s_or_b32 exec_lo, exec_lo, s16
	s_delay_alu instid0(VALU_DEP_1) | instskip(NEXT) | instid1(VALU_DEP_2)
	v_dual_lshlrev_b32 v1, 24, v1 :: v_dual_lshlrev_b32 v2, 20, v4
	v_lshl_add_u32 v0, v0, 23, 0x3c000000
	s_delay_alu instid0(VALU_DEP_2) | instskip(NEXT) | instid1(VALU_DEP_1)
	v_and_b32_e32 v1, 0x80000000, v1
	v_or3_b32 v3, v2, v1, v0
	v_dual_mov_b32 v1, v5 :: v_dual_mov_b32 v2, v5
	s_clause 0x1
	scratch_store_b64 off, v[0:1], s32 offset:192
	scratch_store_b64 off, v[2:3], s32 offset:356
.LBB230_168:                            ;   in Loop: Header=BB230_10 Depth=1
	s_wait_xcnt 0x0
	s_or_b32 exec_lo, exec_lo, s11
.LBB230_169:                            ;   in Loop: Header=BB230_10 Depth=1
	s_delay_alu instid0(SALU_CYCLE_1)
	s_or_b32 exec_lo, exec_lo, s9
.LBB230_170:                            ;   in Loop: Header=BB230_10 Depth=1
	s_delay_alu instid0(SALU_CYCLE_1)
	s_or_b32 exec_lo, exec_lo, s8
	flat_load_b32 v0, v[92:93] offset:516
	v_mov_b64_e32 v[2:3], 0
	s_mov_b32 s8, exec_lo
	scratch_store_b64 off, v[2:3], s32 offset:372 ; 8-byte Folded Spill
	s_wait_xcnt 0x0
	v_mov_b64_e32 v[2:3], 0
	scratch_store_b64 off, v[2:3], s32 offset:380 ; 8-byte Folded Spill
	s_wait_loadcnt_dscnt 0x0
	v_and_b32_e32 v1, 0xff, v0
	s_wait_xcnt 0x0
	s_delay_alu instid0(VALU_DEP_1)
	v_cmpx_ne_u16_e32 0, v1
	s_cbranch_execz .LBB230_178
; %bb.171:                              ;   in Loop: Header=BB230_10 Depth=1
	v_mov_b64_e32 v[2:3], 0x80000000
	s_mov_b32 s9, exec_lo
	scratch_store_b64 off, v[2:3], s32 offset:380 ; 8-byte Folded Spill
	s_wait_xcnt 0x0
	v_cmpx_ne_u16_e32 0x80, v1
	s_cbranch_execz .LBB230_177
; %bb.172:                              ;   in Loop: Header=BB230_10 Depth=1
	v_mov_b64_e32 v[4:5], 0x7f800001
	v_and_b32_e32 v2, 0x7f, v0
	s_mov_b32 s11, exec_lo
	scratch_store_b64 off, v[4:5], s32 offset:380 ; 8-byte Folded Spill
	s_wait_xcnt 0x0
	v_cmpx_ne_u32_e32 0x7f, v2
	s_cbranch_execz .LBB230_176
; %bb.173:                              ;   in Loop: Header=BB230_10 Depth=1
	scratch_load_b64 v[4:5], off, s32 offset:192 th:TH_LOAD_LU ; 8-byte Folded Reload
	s_wait_loadcnt 0x0
	v_dual_lshrrev_b32 v1, 3, v2 :: v_dual_bitop2_b32 v4, 7, v0 bitop3:0x40
	s_mov_b32 s16, exec_lo
	s_wait_xcnt 0x0
	v_cmpx_gt_u32_e32 8, v2
; %bb.174:                              ;   in Loop: Header=BB230_10 Depth=1
	s_delay_alu instid0(VALU_DEP_2) | instskip(NEXT) | instid1(VALU_DEP_1)
	v_clz_i32_u32_e32 v1, v4
	v_min_u32_e32 v1, 32, v1
	s_delay_alu instid0(VALU_DEP_1) | instskip(NEXT) | instid1(VALU_DEP_1)
	v_subrev_nc_u32_e32 v2, 28, v1
	v_lshlrev_b64_e32 v[2:3], v2, v[4:5]
	s_delay_alu instid0(VALU_DEP_1)
	v_dual_sub_nc_u32 v1, 29, v1 :: v_dual_bitop2_b32 v4, 7, v2 bitop3:0x40
; %bb.175:                              ;   in Loop: Header=BB230_10 Depth=1
	s_or_b32 exec_lo, exec_lo, s16
	v_lshlrev_b32_e32 v2, 24, v0
	s_delay_alu instid0(VALU_DEP_2) | instskip(NEXT) | instid1(VALU_DEP_3)
	v_lshlrev_b32_e32 v3, 20, v4
	v_lshl_add_u32 v1, v1, 23, 0x3c000000
	s_delay_alu instid0(VALU_DEP_3) | instskip(NEXT) | instid1(VALU_DEP_1)
	v_and_b32_e32 v2, 0x80000000, v2
	v_or3_b32 v4, v3, v2, v1
	v_mov_b32_e32 v1, v5
	s_clause 0x1
	scratch_store_b64 off, v[0:1], s32 offset:192
	scratch_store_b64 off, v[4:5], s32 offset:380
.LBB230_176:                            ;   in Loop: Header=BB230_10 Depth=1
	s_wait_xcnt 0x0
	s_or_b32 exec_lo, exec_lo, s11
.LBB230_177:                            ;   in Loop: Header=BB230_10 Depth=1
	s_delay_alu instid0(SALU_CYCLE_1)
	s_or_b32 exec_lo, exec_lo, s9
.LBB230_178:                            ;   in Loop: Header=BB230_10 Depth=1
	s_delay_alu instid0(SALU_CYCLE_1) | instskip(SKIP_2) | instid1(VALU_DEP_1)
	s_or_b32 exec_lo, exec_lo, s8
	v_lshrrev_b16 v1, 8, v0
	s_mov_b32 s8, exec_lo
	v_cmpx_ne_u16_e32 0, v1
	s_cbranch_execz .LBB230_186
; %bb.179:                              ;   in Loop: Header=BB230_10 Depth=1
	v_mov_b64_e32 v[2:3], 0x8000000000000000
	s_mov_b32 s9, exec_lo
	scratch_store_b64 off, v[2:3], s32 offset:372 ; 8-byte Folded Spill
	s_wait_xcnt 0x0
	v_cmpx_ne_u16_e32 0x80, v1
	s_cbranch_execz .LBB230_185
; %bb.180:                              ;   in Loop: Header=BB230_10 Depth=1
	v_and_b32_e32 v1, 0xffff, v1
	v_mov_b64_e32 v[4:5], 0x7f80000100000000
	s_mov_b32 s11, exec_lo
	s_delay_alu instid0(VALU_DEP_2)
	v_and_b32_e32 v2, 0x7f, v1
	scratch_store_b64 off, v[4:5], s32 offset:372 ; 8-byte Folded Spill
	s_wait_xcnt 0x0
	v_cmpx_ne_u32_e32 0x7f, v2
	s_cbranch_execz .LBB230_184
; %bb.181:                              ;   in Loop: Header=BB230_10 Depth=1
	scratch_load_b64 v[4:5], off, s32 offset:192 th:TH_LOAD_LU ; 8-byte Folded Reload
	s_wait_loadcnt 0x0
	v_dual_lshrrev_b32 v1, 3, v2 :: v_dual_bitop2_b32 v4, 7, v1 bitop3:0x40
	s_mov_b32 s16, exec_lo
	s_wait_xcnt 0x0
	v_cmpx_gt_u32_e32 8, v2
; %bb.182:                              ;   in Loop: Header=BB230_10 Depth=1
	s_delay_alu instid0(VALU_DEP_2) | instskip(NEXT) | instid1(VALU_DEP_1)
	v_clz_i32_u32_e32 v1, v4
	v_min_u32_e32 v1, 32, v1
	s_delay_alu instid0(VALU_DEP_1) | instskip(NEXT) | instid1(VALU_DEP_1)
	v_subrev_nc_u32_e32 v2, 28, v1
	v_lshlrev_b64_e32 v[2:3], v2, v[4:5]
	s_delay_alu instid0(VALU_DEP_1)
	v_dual_sub_nc_u32 v1, 29, v1 :: v_dual_bitop2_b32 v4, 7, v2 bitop3:0x40
; %bb.183:                              ;   in Loop: Header=BB230_10 Depth=1
	s_or_b32 exec_lo, exec_lo, s16
	v_lshlrev_b32_e32 v2, 16, v0
	s_delay_alu instid0(VALU_DEP_2) | instskip(NEXT) | instid1(VALU_DEP_3)
	v_lshlrev_b32_e32 v3, 20, v4
	v_lshl_add_u32 v1, v1, 23, 0x3c000000
	s_delay_alu instid0(VALU_DEP_3) | instskip(NEXT) | instid1(VALU_DEP_1)
	v_and_b32_e32 v2, 0x80000000, v2
	v_or3_b32 v3, v3, v2, v1
	v_dual_mov_b32 v1, v5 :: v_dual_mov_b32 v2, v5
	s_clause 0x1
	scratch_store_b64 off, v[0:1], s32 offset:192
	scratch_store_b64 off, v[2:3], s32 offset:372
.LBB230_184:                            ;   in Loop: Header=BB230_10 Depth=1
	s_wait_xcnt 0x0
	s_or_b32 exec_lo, exec_lo, s11
.LBB230_185:                            ;   in Loop: Header=BB230_10 Depth=1
	s_delay_alu instid0(SALU_CYCLE_1)
	s_or_b32 exec_lo, exec_lo, s9
.LBB230_186:                            ;   in Loop: Header=BB230_10 Depth=1
	s_delay_alu instid0(SALU_CYCLE_1) | instskip(SKIP_3) | instid1(VALU_DEP_1)
	s_or_b32 exec_lo, exec_lo, s8
	v_mov_b64_e32 v[4:5], 0
	v_lshrrev_b32_e32 v1, 16, v0
	s_mov_b32 s8, exec_lo
	v_and_b32_e32 v2, 0xff, v1
	scratch_store_b64 off, v[4:5], s32 offset:388 ; 8-byte Folded Spill
	s_wait_xcnt 0x0
	v_mov_b64_e32 v[4:5], 0
	scratch_store_b64 off, v[4:5], s32 offset:396 ; 8-byte Folded Spill
	s_wait_xcnt 0x0
	v_cmpx_ne_u16_e32 0, v2
	s_cbranch_execz .LBB230_194
; %bb.187:                              ;   in Loop: Header=BB230_10 Depth=1
	v_cmp_ne_u16_e64 s1, 0x80, v2
	v_mov_b64_e32 v[2:3], 0x80000000
	scratch_store_b64 off, v[2:3], s32 offset:396 ; 8-byte Folded Spill
	s_wait_xcnt 0x0
	s_and_saveexec_b32 s9, s1
	s_cbranch_execz .LBB230_193
; %bb.188:                              ;   in Loop: Header=BB230_10 Depth=1
	v_mov_b64_e32 v[4:5], 0x7f800001
	v_bfe_u32 v3, v0, 16, 7
	s_mov_b32 s11, exec_lo
	scratch_store_b64 off, v[4:5], s32 offset:396 ; 8-byte Folded Spill
	s_wait_xcnt 0x0
	v_cmpx_ne_u32_e32 0x7f, v3
	s_cbranch_execz .LBB230_192
; %bb.189:                              ;   in Loop: Header=BB230_10 Depth=1
	scratch_load_b64 v[6:7], off, s32 offset:192 th:TH_LOAD_LU ; 8-byte Folded Reload
	s_wait_loadcnt 0x0
	v_dual_lshrrev_b32 v2, 3, v3 :: v_dual_bitop2_b32 v6, 7, v1 bitop3:0x40
	s_mov_b32 s16, exec_lo
	s_wait_xcnt 0x0
	v_cmpx_gt_u32_e32 8, v3
; %bb.190:                              ;   in Loop: Header=BB230_10 Depth=1
	s_delay_alu instid0(VALU_DEP_2) | instskip(NEXT) | instid1(VALU_DEP_1)
	v_clz_i32_u32_e32 v2, v6
	v_min_u32_e32 v2, 32, v2
	s_delay_alu instid0(VALU_DEP_1) | instskip(NEXT) | instid1(VALU_DEP_1)
	v_subrev_nc_u32_e32 v3, 28, v2
	v_lshlrev_b64_e32 v[4:5], v3, v[6:7]
	s_delay_alu instid0(VALU_DEP_1)
	v_dual_sub_nc_u32 v2, 29, v2 :: v_dual_bitop2_b32 v6, 7, v4 bitop3:0x40
; %bb.191:                              ;   in Loop: Header=BB230_10 Depth=1
	s_or_b32 exec_lo, exec_lo, s16
	s_delay_alu instid0(VALU_DEP_1) | instskip(NEXT) | instid1(VALU_DEP_2)
	v_dual_lshlrev_b32 v1, 24, v1 :: v_dual_lshlrev_b32 v3, 20, v6
	v_lshl_add_u32 v2, v2, 23, 0x3c000000
	s_delay_alu instid0(VALU_DEP_2) | instskip(NEXT) | instid1(VALU_DEP_1)
	v_and_b32_e32 v1, 0x80000000, v1
	v_or3_b32 v6, v3, v1, v2
	v_mov_b32_e32 v1, v7
	s_clause 0x1
	scratch_store_b64 off, v[0:1], s32 offset:192
	scratch_store_b64 off, v[6:7], s32 offset:396
.LBB230_192:                            ;   in Loop: Header=BB230_10 Depth=1
	s_wait_xcnt 0x0
	s_or_b32 exec_lo, exec_lo, s11
.LBB230_193:                            ;   in Loop: Header=BB230_10 Depth=1
	s_delay_alu instid0(SALU_CYCLE_1)
	s_or_b32 exec_lo, exec_lo, s9
.LBB230_194:                            ;   in Loop: Header=BB230_10 Depth=1
	s_delay_alu instid0(SALU_CYCLE_1) | instskip(NEXT) | instid1(SALU_CYCLE_1)
	s_or_b32 exec_lo, exec_lo, s8
	s_mov_b32 s8, exec_lo
	v_cmpx_lt_u32_e32 0xffffff, v0
	s_cbranch_execz .LBB230_202
; %bb.195:                              ;   in Loop: Header=BB230_10 Depth=1
	v_mov_b64_e32 v[2:3], 0x8000000000000000
	v_lshrrev_b32_e32 v1, 24, v0
	s_mov_b32 s9, exec_lo
	scratch_store_b64 off, v[2:3], s32 offset:388 ; 8-byte Folded Spill
	s_wait_xcnt 0x0
	v_cmpx_ne_u32_e32 0x80, v1
	s_cbranch_execz .LBB230_201
; %bb.196:                              ;   in Loop: Header=BB230_10 Depth=1
	v_mov_b64_e32 v[4:5], 0x7f80000100000000
	v_bfe_u32 v2, v0, 24, 7
	s_mov_b32 s11, exec_lo
	scratch_store_b64 off, v[4:5], s32 offset:388 ; 8-byte Folded Spill
	s_wait_xcnt 0x0
	v_cmpx_ne_u32_e32 0x7f, v2
	s_cbranch_execz .LBB230_200
; %bb.197:                              ;   in Loop: Header=BB230_10 Depth=1
	scratch_load_b64 v[4:5], off, s32 offset:192 th:TH_LOAD_LU ; 8-byte Folded Reload
	s_wait_loadcnt 0x0
	v_dual_lshrrev_b32 v0, 3, v2 :: v_dual_bitop2_b32 v4, 7, v1 bitop3:0x40
	s_mov_b32 s16, exec_lo
	s_wait_xcnt 0x0
	v_cmpx_gt_u32_e32 8, v2
; %bb.198:                              ;   in Loop: Header=BB230_10 Depth=1
	s_delay_alu instid0(VALU_DEP_2) | instskip(NEXT) | instid1(VALU_DEP_1)
	v_clz_i32_u32_e32 v0, v4
	v_min_u32_e32 v0, 32, v0
	s_delay_alu instid0(VALU_DEP_1) | instskip(NEXT) | instid1(VALU_DEP_1)
	v_subrev_nc_u32_e32 v2, 28, v0
	v_lshlrev_b64_e32 v[2:3], v2, v[4:5]
	s_delay_alu instid0(VALU_DEP_1)
	v_dual_sub_nc_u32 v0, 29, v0 :: v_dual_bitop2_b32 v4, 7, v2 bitop3:0x40
; %bb.199:                              ;   in Loop: Header=BB230_10 Depth=1
	s_or_b32 exec_lo, exec_lo, s16
	s_delay_alu instid0(VALU_DEP_1) | instskip(NEXT) | instid1(VALU_DEP_2)
	v_dual_lshlrev_b32 v1, 24, v1 :: v_dual_lshlrev_b32 v2, 20, v4
	v_lshl_add_u32 v0, v0, 23, 0x3c000000
	s_delay_alu instid0(VALU_DEP_2) | instskip(NEXT) | instid1(VALU_DEP_1)
	v_and_b32_e32 v1, 0x80000000, v1
	v_or3_b32 v3, v2, v1, v0
	v_dual_mov_b32 v1, v5 :: v_dual_mov_b32 v2, v5
	s_clause 0x1
	scratch_store_b64 off, v[0:1], s32 offset:192
	scratch_store_b64 off, v[2:3], s32 offset:388
.LBB230_200:                            ;   in Loop: Header=BB230_10 Depth=1
	s_wait_xcnt 0x0
	s_or_b32 exec_lo, exec_lo, s11
.LBB230_201:                            ;   in Loop: Header=BB230_10 Depth=1
	s_delay_alu instid0(SALU_CYCLE_1)
	s_or_b32 exec_lo, exec_lo, s9
.LBB230_202:                            ;   in Loop: Header=BB230_10 Depth=1
	s_delay_alu instid0(SALU_CYCLE_1)
	s_or_b32 exec_lo, exec_lo, s8
	flat_load_b32 v0, v[92:93] offset:520
	v_mov_b64_e32 v[2:3], 0
	s_mov_b32 s8, exec_lo
	scratch_store_b64 off, v[2:3], s32 offset:404 ; 8-byte Folded Spill
	s_wait_xcnt 0x0
	v_mov_b64_e32 v[2:3], 0
	scratch_store_b64 off, v[2:3], s32 offset:412 ; 8-byte Folded Spill
	s_wait_loadcnt_dscnt 0x0
	v_and_b32_e32 v1, 0xff, v0
	s_wait_xcnt 0x0
	s_delay_alu instid0(VALU_DEP_1)
	v_cmpx_ne_u16_e32 0, v1
	s_cbranch_execz .LBB230_210
; %bb.203:                              ;   in Loop: Header=BB230_10 Depth=1
	v_mov_b64_e32 v[2:3], 0x80000000
	s_mov_b32 s9, exec_lo
	scratch_store_b64 off, v[2:3], s32 offset:412 ; 8-byte Folded Spill
	s_wait_xcnt 0x0
	v_cmpx_ne_u16_e32 0x80, v1
	s_cbranch_execz .LBB230_209
; %bb.204:                              ;   in Loop: Header=BB230_10 Depth=1
	v_mov_b64_e32 v[4:5], 0x7f800001
	v_and_b32_e32 v2, 0x7f, v0
	s_mov_b32 s11, exec_lo
	scratch_store_b64 off, v[4:5], s32 offset:412 ; 8-byte Folded Spill
	s_wait_xcnt 0x0
	v_cmpx_ne_u32_e32 0x7f, v2
	s_cbranch_execz .LBB230_208
; %bb.205:                              ;   in Loop: Header=BB230_10 Depth=1
	scratch_load_b64 v[4:5], off, s32 offset:192 th:TH_LOAD_LU ; 8-byte Folded Reload
	s_wait_loadcnt 0x0
	v_dual_lshrrev_b32 v1, 3, v2 :: v_dual_bitop2_b32 v4, 7, v0 bitop3:0x40
	s_mov_b32 s16, exec_lo
	s_wait_xcnt 0x0
	v_cmpx_gt_u32_e32 8, v2
; %bb.206:                              ;   in Loop: Header=BB230_10 Depth=1
	s_delay_alu instid0(VALU_DEP_2) | instskip(NEXT) | instid1(VALU_DEP_1)
	v_clz_i32_u32_e32 v1, v4
	v_min_u32_e32 v1, 32, v1
	s_delay_alu instid0(VALU_DEP_1) | instskip(NEXT) | instid1(VALU_DEP_1)
	v_subrev_nc_u32_e32 v2, 28, v1
	v_lshlrev_b64_e32 v[2:3], v2, v[4:5]
	s_delay_alu instid0(VALU_DEP_1)
	v_dual_sub_nc_u32 v1, 29, v1 :: v_dual_bitop2_b32 v4, 7, v2 bitop3:0x40
; %bb.207:                              ;   in Loop: Header=BB230_10 Depth=1
	s_or_b32 exec_lo, exec_lo, s16
	v_lshlrev_b32_e32 v2, 24, v0
	s_delay_alu instid0(VALU_DEP_2) | instskip(NEXT) | instid1(VALU_DEP_3)
	v_lshlrev_b32_e32 v3, 20, v4
	v_lshl_add_u32 v1, v1, 23, 0x3c000000
	s_delay_alu instid0(VALU_DEP_3) | instskip(NEXT) | instid1(VALU_DEP_1)
	v_and_b32_e32 v2, 0x80000000, v2
	v_or3_b32 v4, v3, v2, v1
	v_mov_b32_e32 v1, v5
	s_clause 0x1
	scratch_store_b64 off, v[0:1], s32 offset:192
	scratch_store_b64 off, v[4:5], s32 offset:412
.LBB230_208:                            ;   in Loop: Header=BB230_10 Depth=1
	s_wait_xcnt 0x0
	s_or_b32 exec_lo, exec_lo, s11
.LBB230_209:                            ;   in Loop: Header=BB230_10 Depth=1
	s_delay_alu instid0(SALU_CYCLE_1)
	s_or_b32 exec_lo, exec_lo, s9
.LBB230_210:                            ;   in Loop: Header=BB230_10 Depth=1
	s_delay_alu instid0(SALU_CYCLE_1) | instskip(SKIP_2) | instid1(VALU_DEP_1)
	s_or_b32 exec_lo, exec_lo, s8
	v_lshrrev_b16 v1, 8, v0
	s_mov_b32 s8, exec_lo
	v_cmpx_ne_u16_e32 0, v1
	s_cbranch_execz .LBB230_218
; %bb.211:                              ;   in Loop: Header=BB230_10 Depth=1
	v_mov_b64_e32 v[2:3], 0x8000000000000000
	s_mov_b32 s9, exec_lo
	scratch_store_b64 off, v[2:3], s32 offset:404 ; 8-byte Folded Spill
	s_wait_xcnt 0x0
	v_cmpx_ne_u16_e32 0x80, v1
	s_cbranch_execz .LBB230_217
; %bb.212:                              ;   in Loop: Header=BB230_10 Depth=1
	v_and_b32_e32 v1, 0xffff, v1
	v_mov_b64_e32 v[4:5], 0x7f80000100000000
	s_mov_b32 s11, exec_lo
	s_delay_alu instid0(VALU_DEP_2)
	v_and_b32_e32 v2, 0x7f, v1
	scratch_store_b64 off, v[4:5], s32 offset:404 ; 8-byte Folded Spill
	s_wait_xcnt 0x0
	v_cmpx_ne_u32_e32 0x7f, v2
	s_cbranch_execz .LBB230_216
; %bb.213:                              ;   in Loop: Header=BB230_10 Depth=1
	scratch_load_b64 v[4:5], off, s32 offset:192 th:TH_LOAD_LU ; 8-byte Folded Reload
	s_wait_loadcnt 0x0
	v_dual_lshrrev_b32 v1, 3, v2 :: v_dual_bitop2_b32 v4, 7, v1 bitop3:0x40
	s_mov_b32 s16, exec_lo
	s_wait_xcnt 0x0
	v_cmpx_gt_u32_e32 8, v2
; %bb.214:                              ;   in Loop: Header=BB230_10 Depth=1
	s_delay_alu instid0(VALU_DEP_2) | instskip(NEXT) | instid1(VALU_DEP_1)
	v_clz_i32_u32_e32 v1, v4
	v_min_u32_e32 v1, 32, v1
	s_delay_alu instid0(VALU_DEP_1) | instskip(NEXT) | instid1(VALU_DEP_1)
	v_subrev_nc_u32_e32 v2, 28, v1
	v_lshlrev_b64_e32 v[2:3], v2, v[4:5]
	s_delay_alu instid0(VALU_DEP_1)
	v_dual_sub_nc_u32 v1, 29, v1 :: v_dual_bitop2_b32 v4, 7, v2 bitop3:0x40
; %bb.215:                              ;   in Loop: Header=BB230_10 Depth=1
	s_or_b32 exec_lo, exec_lo, s16
	v_lshlrev_b32_e32 v2, 16, v0
	s_delay_alu instid0(VALU_DEP_2) | instskip(NEXT) | instid1(VALU_DEP_3)
	v_lshlrev_b32_e32 v3, 20, v4
	v_lshl_add_u32 v1, v1, 23, 0x3c000000
	s_delay_alu instid0(VALU_DEP_3) | instskip(NEXT) | instid1(VALU_DEP_1)
	v_and_b32_e32 v2, 0x80000000, v2
	v_or3_b32 v3, v3, v2, v1
	v_dual_mov_b32 v1, v5 :: v_dual_mov_b32 v2, v5
	s_clause 0x1
	scratch_store_b64 off, v[0:1], s32 offset:192
	scratch_store_b64 off, v[2:3], s32 offset:404
.LBB230_216:                            ;   in Loop: Header=BB230_10 Depth=1
	s_wait_xcnt 0x0
	s_or_b32 exec_lo, exec_lo, s11
.LBB230_217:                            ;   in Loop: Header=BB230_10 Depth=1
	s_delay_alu instid0(SALU_CYCLE_1)
	s_or_b32 exec_lo, exec_lo, s9
.LBB230_218:                            ;   in Loop: Header=BB230_10 Depth=1
	s_delay_alu instid0(SALU_CYCLE_1) | instskip(SKIP_3) | instid1(VALU_DEP_1)
	s_or_b32 exec_lo, exec_lo, s8
	v_mov_b64_e32 v[4:5], 0
	v_lshrrev_b32_e32 v1, 16, v0
	s_mov_b32 s8, exec_lo
	v_and_b32_e32 v2, 0xff, v1
	scratch_store_b64 off, v[4:5], s32 offset:420 ; 8-byte Folded Spill
	s_wait_xcnt 0x0
	v_mov_b64_e32 v[4:5], 0
	scratch_store_b64 off, v[4:5], s32 offset:428 ; 8-byte Folded Spill
	s_wait_xcnt 0x0
	v_cmpx_ne_u16_e32 0, v2
	s_cbranch_execz .LBB230_226
; %bb.219:                              ;   in Loop: Header=BB230_10 Depth=1
	v_cmp_ne_u16_e64 s1, 0x80, v2
	v_mov_b64_e32 v[2:3], 0x80000000
	scratch_store_b64 off, v[2:3], s32 offset:428 ; 8-byte Folded Spill
	s_wait_xcnt 0x0
	s_and_saveexec_b32 s9, s1
	s_cbranch_execz .LBB230_225
; %bb.220:                              ;   in Loop: Header=BB230_10 Depth=1
	v_mov_b64_e32 v[4:5], 0x7f800001
	v_bfe_u32 v3, v0, 16, 7
	s_mov_b32 s11, exec_lo
	scratch_store_b64 off, v[4:5], s32 offset:428 ; 8-byte Folded Spill
	s_wait_xcnt 0x0
	v_cmpx_ne_u32_e32 0x7f, v3
	s_cbranch_execz .LBB230_224
; %bb.221:                              ;   in Loop: Header=BB230_10 Depth=1
	scratch_load_b64 v[6:7], off, s32 offset:192 th:TH_LOAD_LU ; 8-byte Folded Reload
	s_wait_loadcnt 0x0
	v_dual_lshrrev_b32 v2, 3, v3 :: v_dual_bitop2_b32 v6, 7, v1 bitop3:0x40
	s_mov_b32 s16, exec_lo
	s_wait_xcnt 0x0
	v_cmpx_gt_u32_e32 8, v3
; %bb.222:                              ;   in Loop: Header=BB230_10 Depth=1
	s_delay_alu instid0(VALU_DEP_2) | instskip(NEXT) | instid1(VALU_DEP_1)
	v_clz_i32_u32_e32 v2, v6
	v_min_u32_e32 v2, 32, v2
	s_delay_alu instid0(VALU_DEP_1) | instskip(NEXT) | instid1(VALU_DEP_1)
	v_subrev_nc_u32_e32 v3, 28, v2
	v_lshlrev_b64_e32 v[4:5], v3, v[6:7]
	s_delay_alu instid0(VALU_DEP_1)
	v_dual_sub_nc_u32 v2, 29, v2 :: v_dual_bitop2_b32 v6, 7, v4 bitop3:0x40
; %bb.223:                              ;   in Loop: Header=BB230_10 Depth=1
	s_or_b32 exec_lo, exec_lo, s16
	s_delay_alu instid0(VALU_DEP_1) | instskip(NEXT) | instid1(VALU_DEP_2)
	v_dual_lshlrev_b32 v1, 24, v1 :: v_dual_lshlrev_b32 v3, 20, v6
	v_lshl_add_u32 v2, v2, 23, 0x3c000000
	s_delay_alu instid0(VALU_DEP_2) | instskip(NEXT) | instid1(VALU_DEP_1)
	v_and_b32_e32 v1, 0x80000000, v1
	v_or3_b32 v6, v3, v1, v2
	v_mov_b32_e32 v1, v7
	s_clause 0x1
	scratch_store_b64 off, v[0:1], s32 offset:192
	scratch_store_b64 off, v[6:7], s32 offset:428
.LBB230_224:                            ;   in Loop: Header=BB230_10 Depth=1
	s_wait_xcnt 0x0
	s_or_b32 exec_lo, exec_lo, s11
.LBB230_225:                            ;   in Loop: Header=BB230_10 Depth=1
	s_delay_alu instid0(SALU_CYCLE_1)
	s_or_b32 exec_lo, exec_lo, s9
.LBB230_226:                            ;   in Loop: Header=BB230_10 Depth=1
	s_delay_alu instid0(SALU_CYCLE_1) | instskip(NEXT) | instid1(SALU_CYCLE_1)
	s_or_b32 exec_lo, exec_lo, s8
	s_mov_b32 s8, exec_lo
	v_cmpx_lt_u32_e32 0xffffff, v0
	s_cbranch_execz .LBB230_234
; %bb.227:                              ;   in Loop: Header=BB230_10 Depth=1
	v_mov_b64_e32 v[2:3], 0x8000000000000000
	v_lshrrev_b32_e32 v1, 24, v0
	s_mov_b32 s9, exec_lo
	scratch_store_b64 off, v[2:3], s32 offset:420 ; 8-byte Folded Spill
	s_wait_xcnt 0x0
	v_cmpx_ne_u32_e32 0x80, v1
	s_cbranch_execz .LBB230_233
; %bb.228:                              ;   in Loop: Header=BB230_10 Depth=1
	v_mov_b64_e32 v[4:5], 0x7f80000100000000
	v_bfe_u32 v2, v0, 24, 7
	s_mov_b32 s11, exec_lo
	scratch_store_b64 off, v[4:5], s32 offset:420 ; 8-byte Folded Spill
	s_wait_xcnt 0x0
	v_cmpx_ne_u32_e32 0x7f, v2
	s_cbranch_execz .LBB230_232
; %bb.229:                              ;   in Loop: Header=BB230_10 Depth=1
	scratch_load_b64 v[4:5], off, s32 offset:192 th:TH_LOAD_LU ; 8-byte Folded Reload
	s_wait_loadcnt 0x0
	v_dual_lshrrev_b32 v0, 3, v2 :: v_dual_bitop2_b32 v4, 7, v1 bitop3:0x40
	s_mov_b32 s16, exec_lo
	s_wait_xcnt 0x0
	v_cmpx_gt_u32_e32 8, v2
; %bb.230:                              ;   in Loop: Header=BB230_10 Depth=1
	s_delay_alu instid0(VALU_DEP_2) | instskip(NEXT) | instid1(VALU_DEP_1)
	v_clz_i32_u32_e32 v0, v4
	v_min_u32_e32 v0, 32, v0
	s_delay_alu instid0(VALU_DEP_1) | instskip(NEXT) | instid1(VALU_DEP_1)
	v_subrev_nc_u32_e32 v2, 28, v0
	v_lshlrev_b64_e32 v[2:3], v2, v[4:5]
	s_delay_alu instid0(VALU_DEP_1)
	v_dual_sub_nc_u32 v0, 29, v0 :: v_dual_bitop2_b32 v4, 7, v2 bitop3:0x40
; %bb.231:                              ;   in Loop: Header=BB230_10 Depth=1
	s_or_b32 exec_lo, exec_lo, s16
	s_delay_alu instid0(VALU_DEP_1) | instskip(NEXT) | instid1(VALU_DEP_2)
	v_dual_lshlrev_b32 v1, 24, v1 :: v_dual_lshlrev_b32 v2, 20, v4
	v_lshl_add_u32 v0, v0, 23, 0x3c000000
	s_delay_alu instid0(VALU_DEP_2) | instskip(NEXT) | instid1(VALU_DEP_1)
	v_and_b32_e32 v1, 0x80000000, v1
	v_or3_b32 v3, v2, v1, v0
	v_dual_mov_b32 v1, v5 :: v_dual_mov_b32 v2, v5
	s_clause 0x1
	scratch_store_b64 off, v[0:1], s32 offset:192
	scratch_store_b64 off, v[2:3], s32 offset:420
.LBB230_232:                            ;   in Loop: Header=BB230_10 Depth=1
	s_wait_xcnt 0x0
	s_or_b32 exec_lo, exec_lo, s11
.LBB230_233:                            ;   in Loop: Header=BB230_10 Depth=1
	s_delay_alu instid0(SALU_CYCLE_1)
	s_or_b32 exec_lo, exec_lo, s9
.LBB230_234:                            ;   in Loop: Header=BB230_10 Depth=1
	s_delay_alu instid0(SALU_CYCLE_1)
	s_or_b32 exec_lo, exec_lo, s8
	flat_load_b32 v0, v[92:93] offset:524
	v_mov_b64_e32 v[2:3], 0
	s_mov_b32 s8, exec_lo
	scratch_store_b64 off, v[2:3], s32 offset:436 ; 8-byte Folded Spill
	s_wait_xcnt 0x0
	v_mov_b64_e32 v[2:3], 0
	scratch_store_b64 off, v[2:3], s32 offset:444 ; 8-byte Folded Spill
	s_wait_loadcnt_dscnt 0x0
	v_and_b32_e32 v1, 0xff, v0
	s_wait_xcnt 0x0
	s_delay_alu instid0(VALU_DEP_1)
	v_cmpx_ne_u16_e32 0, v1
	s_cbranch_execz .LBB230_242
; %bb.235:                              ;   in Loop: Header=BB230_10 Depth=1
	v_mov_b64_e32 v[2:3], 0x80000000
	s_mov_b32 s9, exec_lo
	scratch_store_b64 off, v[2:3], s32 offset:444 ; 8-byte Folded Spill
	s_wait_xcnt 0x0
	v_cmpx_ne_u16_e32 0x80, v1
	s_cbranch_execz .LBB230_241
; %bb.236:                              ;   in Loop: Header=BB230_10 Depth=1
	v_mov_b64_e32 v[4:5], 0x7f800001
	v_and_b32_e32 v2, 0x7f, v0
	s_mov_b32 s11, exec_lo
	scratch_store_b64 off, v[4:5], s32 offset:444 ; 8-byte Folded Spill
	s_wait_xcnt 0x0
	v_cmpx_ne_u32_e32 0x7f, v2
	s_cbranch_execz .LBB230_240
; %bb.237:                              ;   in Loop: Header=BB230_10 Depth=1
	scratch_load_b64 v[4:5], off, s32 offset:192 th:TH_LOAD_LU ; 8-byte Folded Reload
	s_wait_loadcnt 0x0
	v_dual_lshrrev_b32 v1, 3, v2 :: v_dual_bitop2_b32 v4, 7, v0 bitop3:0x40
	s_mov_b32 s16, exec_lo
	s_wait_xcnt 0x0
	v_cmpx_gt_u32_e32 8, v2
; %bb.238:                              ;   in Loop: Header=BB230_10 Depth=1
	s_delay_alu instid0(VALU_DEP_2) | instskip(NEXT) | instid1(VALU_DEP_1)
	v_clz_i32_u32_e32 v1, v4
	v_min_u32_e32 v1, 32, v1
	s_delay_alu instid0(VALU_DEP_1) | instskip(NEXT) | instid1(VALU_DEP_1)
	v_subrev_nc_u32_e32 v2, 28, v1
	v_lshlrev_b64_e32 v[2:3], v2, v[4:5]
	s_delay_alu instid0(VALU_DEP_1)
	v_dual_sub_nc_u32 v1, 29, v1 :: v_dual_bitop2_b32 v4, 7, v2 bitop3:0x40
; %bb.239:                              ;   in Loop: Header=BB230_10 Depth=1
	s_or_b32 exec_lo, exec_lo, s16
	v_lshlrev_b32_e32 v2, 24, v0
	s_delay_alu instid0(VALU_DEP_2) | instskip(NEXT) | instid1(VALU_DEP_3)
	v_lshlrev_b32_e32 v3, 20, v4
	v_lshl_add_u32 v1, v1, 23, 0x3c000000
	s_delay_alu instid0(VALU_DEP_3) | instskip(NEXT) | instid1(VALU_DEP_1)
	v_and_b32_e32 v2, 0x80000000, v2
	v_or3_b32 v4, v3, v2, v1
	v_mov_b32_e32 v1, v5
	s_clause 0x1
	scratch_store_b64 off, v[0:1], s32 offset:192
	scratch_store_b64 off, v[4:5], s32 offset:444
.LBB230_240:                            ;   in Loop: Header=BB230_10 Depth=1
	s_wait_xcnt 0x0
	s_or_b32 exec_lo, exec_lo, s11
.LBB230_241:                            ;   in Loop: Header=BB230_10 Depth=1
	s_delay_alu instid0(SALU_CYCLE_1)
	s_or_b32 exec_lo, exec_lo, s9
.LBB230_242:                            ;   in Loop: Header=BB230_10 Depth=1
	s_delay_alu instid0(SALU_CYCLE_1) | instskip(SKIP_2) | instid1(VALU_DEP_1)
	s_or_b32 exec_lo, exec_lo, s8
	v_lshrrev_b16 v1, 8, v0
	s_mov_b32 s8, exec_lo
	v_cmpx_ne_u16_e32 0, v1
	s_cbranch_execz .LBB230_250
; %bb.243:                              ;   in Loop: Header=BB230_10 Depth=1
	v_mov_b64_e32 v[2:3], 0x8000000000000000
	s_mov_b32 s9, exec_lo
	scratch_store_b64 off, v[2:3], s32 offset:436 ; 8-byte Folded Spill
	s_wait_xcnt 0x0
	v_cmpx_ne_u16_e32 0x80, v1
	s_cbranch_execz .LBB230_249
; %bb.244:                              ;   in Loop: Header=BB230_10 Depth=1
	v_and_b32_e32 v1, 0xffff, v1
	v_mov_b64_e32 v[4:5], 0x7f80000100000000
	s_mov_b32 s11, exec_lo
	s_delay_alu instid0(VALU_DEP_2)
	v_and_b32_e32 v2, 0x7f, v1
	scratch_store_b64 off, v[4:5], s32 offset:436 ; 8-byte Folded Spill
	s_wait_xcnt 0x0
	v_cmpx_ne_u32_e32 0x7f, v2
	s_cbranch_execz .LBB230_248
; %bb.245:                              ;   in Loop: Header=BB230_10 Depth=1
	scratch_load_b64 v[4:5], off, s32 offset:192 th:TH_LOAD_LU ; 8-byte Folded Reload
	s_wait_loadcnt 0x0
	v_dual_lshrrev_b32 v1, 3, v2 :: v_dual_bitop2_b32 v4, 7, v1 bitop3:0x40
	s_mov_b32 s16, exec_lo
	s_wait_xcnt 0x0
	v_cmpx_gt_u32_e32 8, v2
; %bb.246:                              ;   in Loop: Header=BB230_10 Depth=1
	s_delay_alu instid0(VALU_DEP_2) | instskip(NEXT) | instid1(VALU_DEP_1)
	v_clz_i32_u32_e32 v1, v4
	v_min_u32_e32 v1, 32, v1
	s_delay_alu instid0(VALU_DEP_1) | instskip(NEXT) | instid1(VALU_DEP_1)
	v_subrev_nc_u32_e32 v2, 28, v1
	v_lshlrev_b64_e32 v[2:3], v2, v[4:5]
	s_delay_alu instid0(VALU_DEP_1)
	v_dual_sub_nc_u32 v1, 29, v1 :: v_dual_bitop2_b32 v4, 7, v2 bitop3:0x40
; %bb.247:                              ;   in Loop: Header=BB230_10 Depth=1
	s_or_b32 exec_lo, exec_lo, s16
	v_lshlrev_b32_e32 v2, 16, v0
	s_delay_alu instid0(VALU_DEP_2) | instskip(NEXT) | instid1(VALU_DEP_3)
	v_lshlrev_b32_e32 v3, 20, v4
	v_lshl_add_u32 v1, v1, 23, 0x3c000000
	s_delay_alu instid0(VALU_DEP_3) | instskip(NEXT) | instid1(VALU_DEP_1)
	v_and_b32_e32 v2, 0x80000000, v2
	v_or3_b32 v3, v3, v2, v1
	v_dual_mov_b32 v1, v5 :: v_dual_mov_b32 v2, v5
	s_clause 0x1
	scratch_store_b64 off, v[0:1], s32 offset:192
	scratch_store_b64 off, v[2:3], s32 offset:436
.LBB230_248:                            ;   in Loop: Header=BB230_10 Depth=1
	s_wait_xcnt 0x0
	s_or_b32 exec_lo, exec_lo, s11
.LBB230_249:                            ;   in Loop: Header=BB230_10 Depth=1
	s_delay_alu instid0(SALU_CYCLE_1)
	s_or_b32 exec_lo, exec_lo, s9
.LBB230_250:                            ;   in Loop: Header=BB230_10 Depth=1
	s_delay_alu instid0(SALU_CYCLE_1) | instskip(SKIP_3) | instid1(VALU_DEP_1)
	s_or_b32 exec_lo, exec_lo, s8
	v_mov_b64_e32 v[4:5], 0
	v_lshrrev_b32_e32 v1, 16, v0
	s_mov_b32 s8, exec_lo
	v_and_b32_e32 v2, 0xff, v1
	scratch_store_b64 off, v[4:5], s32 offset:452 ; 8-byte Folded Spill
	s_wait_xcnt 0x0
	v_mov_b64_e32 v[4:5], 0
	scratch_store_b64 off, v[4:5], s32 offset:460 ; 8-byte Folded Spill
	s_wait_xcnt 0x0
	v_cmpx_ne_u16_e32 0, v2
	s_cbranch_execz .LBB230_258
; %bb.251:                              ;   in Loop: Header=BB230_10 Depth=1
	v_cmp_ne_u16_e64 s1, 0x80, v2
	v_mov_b64_e32 v[2:3], 0x80000000
	scratch_store_b64 off, v[2:3], s32 offset:460 ; 8-byte Folded Spill
	s_wait_xcnt 0x0
	s_and_saveexec_b32 s9, s1
	s_cbranch_execz .LBB230_257
; %bb.252:                              ;   in Loop: Header=BB230_10 Depth=1
	v_mov_b64_e32 v[4:5], 0x7f800001
	v_bfe_u32 v3, v0, 16, 7
	s_mov_b32 s11, exec_lo
	scratch_store_b64 off, v[4:5], s32 offset:460 ; 8-byte Folded Spill
	s_wait_xcnt 0x0
	v_cmpx_ne_u32_e32 0x7f, v3
	s_cbranch_execz .LBB230_256
; %bb.253:                              ;   in Loop: Header=BB230_10 Depth=1
	scratch_load_b64 v[6:7], off, s32 offset:192 th:TH_LOAD_LU ; 8-byte Folded Reload
	s_wait_loadcnt 0x0
	v_dual_lshrrev_b32 v2, 3, v3 :: v_dual_bitop2_b32 v6, 7, v1 bitop3:0x40
	s_mov_b32 s16, exec_lo
	s_wait_xcnt 0x0
	v_cmpx_gt_u32_e32 8, v3
; %bb.254:                              ;   in Loop: Header=BB230_10 Depth=1
	s_delay_alu instid0(VALU_DEP_2) | instskip(NEXT) | instid1(VALU_DEP_1)
	v_clz_i32_u32_e32 v2, v6
	v_min_u32_e32 v2, 32, v2
	s_delay_alu instid0(VALU_DEP_1) | instskip(NEXT) | instid1(VALU_DEP_1)
	v_subrev_nc_u32_e32 v3, 28, v2
	v_lshlrev_b64_e32 v[4:5], v3, v[6:7]
	s_delay_alu instid0(VALU_DEP_1)
	v_dual_sub_nc_u32 v2, 29, v2 :: v_dual_bitop2_b32 v6, 7, v4 bitop3:0x40
; %bb.255:                              ;   in Loop: Header=BB230_10 Depth=1
	s_or_b32 exec_lo, exec_lo, s16
	s_delay_alu instid0(VALU_DEP_1) | instskip(NEXT) | instid1(VALU_DEP_2)
	v_dual_lshlrev_b32 v1, 24, v1 :: v_dual_lshlrev_b32 v3, 20, v6
	v_lshl_add_u32 v2, v2, 23, 0x3c000000
	s_delay_alu instid0(VALU_DEP_2) | instskip(NEXT) | instid1(VALU_DEP_1)
	v_and_b32_e32 v1, 0x80000000, v1
	v_or3_b32 v6, v3, v1, v2
	v_mov_b32_e32 v1, v7
	s_clause 0x1
	scratch_store_b64 off, v[0:1], s32 offset:192
	scratch_store_b64 off, v[6:7], s32 offset:460
.LBB230_256:                            ;   in Loop: Header=BB230_10 Depth=1
	s_wait_xcnt 0x0
	s_or_b32 exec_lo, exec_lo, s11
.LBB230_257:                            ;   in Loop: Header=BB230_10 Depth=1
	s_delay_alu instid0(SALU_CYCLE_1)
	s_or_b32 exec_lo, exec_lo, s9
.LBB230_258:                            ;   in Loop: Header=BB230_10 Depth=1
	s_delay_alu instid0(SALU_CYCLE_1) | instskip(NEXT) | instid1(SALU_CYCLE_1)
	s_or_b32 exec_lo, exec_lo, s8
	s_mov_b32 s8, exec_lo
	v_cmpx_lt_u32_e32 0xffffff, v0
	s_cbranch_execz .LBB230_266
; %bb.259:                              ;   in Loop: Header=BB230_10 Depth=1
	v_mov_b64_e32 v[2:3], 0x8000000000000000
	v_lshrrev_b32_e32 v1, 24, v0
	s_mov_b32 s9, exec_lo
	scratch_store_b64 off, v[2:3], s32 offset:452 ; 8-byte Folded Spill
	s_wait_xcnt 0x0
	v_cmpx_ne_u32_e32 0x80, v1
	s_cbranch_execz .LBB230_265
; %bb.260:                              ;   in Loop: Header=BB230_10 Depth=1
	v_mov_b64_e32 v[4:5], 0x7f80000100000000
	v_bfe_u32 v2, v0, 24, 7
	s_mov_b32 s11, exec_lo
	scratch_store_b64 off, v[4:5], s32 offset:452 ; 8-byte Folded Spill
	s_wait_xcnt 0x0
	v_cmpx_ne_u32_e32 0x7f, v2
	s_cbranch_execz .LBB230_264
; %bb.261:                              ;   in Loop: Header=BB230_10 Depth=1
	scratch_load_b64 v[4:5], off, s32 offset:192 th:TH_LOAD_LU ; 8-byte Folded Reload
	s_wait_loadcnt 0x0
	v_dual_lshrrev_b32 v0, 3, v2 :: v_dual_bitop2_b32 v4, 7, v1 bitop3:0x40
	s_mov_b32 s16, exec_lo
	s_wait_xcnt 0x0
	v_cmpx_gt_u32_e32 8, v2
; %bb.262:                              ;   in Loop: Header=BB230_10 Depth=1
	s_delay_alu instid0(VALU_DEP_2) | instskip(NEXT) | instid1(VALU_DEP_1)
	v_clz_i32_u32_e32 v0, v4
	v_min_u32_e32 v0, 32, v0
	s_delay_alu instid0(VALU_DEP_1) | instskip(NEXT) | instid1(VALU_DEP_1)
	v_subrev_nc_u32_e32 v2, 28, v0
	v_lshlrev_b64_e32 v[2:3], v2, v[4:5]
	s_delay_alu instid0(VALU_DEP_1)
	v_dual_sub_nc_u32 v0, 29, v0 :: v_dual_bitop2_b32 v4, 7, v2 bitop3:0x40
; %bb.263:                              ;   in Loop: Header=BB230_10 Depth=1
	s_or_b32 exec_lo, exec_lo, s16
	s_delay_alu instid0(VALU_DEP_1) | instskip(NEXT) | instid1(VALU_DEP_2)
	v_dual_lshlrev_b32 v1, 24, v1 :: v_dual_lshlrev_b32 v2, 20, v4
	v_lshl_add_u32 v0, v0, 23, 0x3c000000
	s_delay_alu instid0(VALU_DEP_2) | instskip(NEXT) | instid1(VALU_DEP_1)
	v_and_b32_e32 v1, 0x80000000, v1
	v_or3_b32 v3, v2, v1, v0
	v_dual_mov_b32 v1, v5 :: v_dual_mov_b32 v2, v5
	s_clause 0x1
	scratch_store_b64 off, v[0:1], s32 offset:192
	scratch_store_b64 off, v[2:3], s32 offset:452
.LBB230_264:                            ;   in Loop: Header=BB230_10 Depth=1
	s_wait_xcnt 0x0
	s_or_b32 exec_lo, exec_lo, s11
.LBB230_265:                            ;   in Loop: Header=BB230_10 Depth=1
	s_delay_alu instid0(SALU_CYCLE_1)
	s_or_b32 exec_lo, exec_lo, s9
.LBB230_266:                            ;   in Loop: Header=BB230_10 Depth=1
	s_delay_alu instid0(SALU_CYCLE_1)
	s_or_b32 exec_lo, exec_lo, s8
	flat_load_b32 v0, v[92:93] offset:1024
	v_mov_b64_e32 v[2:3], 0
	s_mov_b32 s8, exec_lo
	scratch_store_b64 off, v[2:3], s32 offset:468 ; 8-byte Folded Spill
	s_wait_xcnt 0x0
	v_mov_b64_e32 v[2:3], 0
	scratch_store_b64 off, v[2:3], s32 offset:476 ; 8-byte Folded Spill
	s_wait_loadcnt_dscnt 0x0
	v_and_b32_e32 v1, 0xff, v0
	s_wait_xcnt 0x0
	s_delay_alu instid0(VALU_DEP_1)
	v_cmpx_ne_u16_e32 0, v1
	s_cbranch_execz .LBB230_274
; %bb.267:                              ;   in Loop: Header=BB230_10 Depth=1
	v_mov_b64_e32 v[2:3], 0x80000000
	s_mov_b32 s9, exec_lo
	scratch_store_b64 off, v[2:3], s32 offset:476 ; 8-byte Folded Spill
	s_wait_xcnt 0x0
	v_cmpx_ne_u16_e32 0x80, v1
	s_cbranch_execz .LBB230_273
; %bb.268:                              ;   in Loop: Header=BB230_10 Depth=1
	v_mov_b64_e32 v[4:5], 0x7f800001
	v_and_b32_e32 v2, 0x7f, v0
	s_mov_b32 s11, exec_lo
	scratch_store_b64 off, v[4:5], s32 offset:476 ; 8-byte Folded Spill
	s_wait_xcnt 0x0
	v_cmpx_ne_u32_e32 0x7f, v2
	s_cbranch_execz .LBB230_272
; %bb.269:                              ;   in Loop: Header=BB230_10 Depth=1
	scratch_load_b64 v[4:5], off, s32 offset:192 th:TH_LOAD_LU ; 8-byte Folded Reload
	s_wait_loadcnt 0x0
	v_dual_lshrrev_b32 v1, 3, v2 :: v_dual_bitop2_b32 v4, 7, v0 bitop3:0x40
	s_mov_b32 s16, exec_lo
	s_wait_xcnt 0x0
	v_cmpx_gt_u32_e32 8, v2
; %bb.270:                              ;   in Loop: Header=BB230_10 Depth=1
	s_delay_alu instid0(VALU_DEP_2) | instskip(NEXT) | instid1(VALU_DEP_1)
	v_clz_i32_u32_e32 v1, v4
	v_min_u32_e32 v1, 32, v1
	s_delay_alu instid0(VALU_DEP_1) | instskip(NEXT) | instid1(VALU_DEP_1)
	v_subrev_nc_u32_e32 v2, 28, v1
	v_lshlrev_b64_e32 v[2:3], v2, v[4:5]
	s_delay_alu instid0(VALU_DEP_1)
	v_dual_sub_nc_u32 v1, 29, v1 :: v_dual_bitop2_b32 v4, 7, v2 bitop3:0x40
; %bb.271:                              ;   in Loop: Header=BB230_10 Depth=1
	s_or_b32 exec_lo, exec_lo, s16
	v_lshlrev_b32_e32 v2, 24, v0
	s_delay_alu instid0(VALU_DEP_2) | instskip(NEXT) | instid1(VALU_DEP_3)
	v_lshlrev_b32_e32 v3, 20, v4
	v_lshl_add_u32 v1, v1, 23, 0x3c000000
	s_delay_alu instid0(VALU_DEP_3) | instskip(NEXT) | instid1(VALU_DEP_1)
	v_and_b32_e32 v2, 0x80000000, v2
	v_or3_b32 v4, v3, v2, v1
	v_mov_b32_e32 v1, v5
	s_clause 0x1
	scratch_store_b64 off, v[0:1], s32 offset:192
	scratch_store_b64 off, v[4:5], s32 offset:476
.LBB230_272:                            ;   in Loop: Header=BB230_10 Depth=1
	s_wait_xcnt 0x0
	s_or_b32 exec_lo, exec_lo, s11
.LBB230_273:                            ;   in Loop: Header=BB230_10 Depth=1
	s_delay_alu instid0(SALU_CYCLE_1)
	s_or_b32 exec_lo, exec_lo, s9
.LBB230_274:                            ;   in Loop: Header=BB230_10 Depth=1
	s_delay_alu instid0(SALU_CYCLE_1) | instskip(SKIP_2) | instid1(VALU_DEP_1)
	s_or_b32 exec_lo, exec_lo, s8
	v_lshrrev_b16 v1, 8, v0
	s_mov_b32 s8, exec_lo
	v_cmpx_ne_u16_e32 0, v1
	s_cbranch_execz .LBB230_282
; %bb.275:                              ;   in Loop: Header=BB230_10 Depth=1
	v_mov_b64_e32 v[2:3], 0x8000000000000000
	s_mov_b32 s9, exec_lo
	scratch_store_b64 off, v[2:3], s32 offset:468 ; 8-byte Folded Spill
	s_wait_xcnt 0x0
	v_cmpx_ne_u16_e32 0x80, v1
	s_cbranch_execz .LBB230_281
; %bb.276:                              ;   in Loop: Header=BB230_10 Depth=1
	v_and_b32_e32 v1, 0xffff, v1
	v_mov_b64_e32 v[4:5], 0x7f80000100000000
	s_mov_b32 s11, exec_lo
	s_delay_alu instid0(VALU_DEP_2)
	v_and_b32_e32 v2, 0x7f, v1
	scratch_store_b64 off, v[4:5], s32 offset:468 ; 8-byte Folded Spill
	s_wait_xcnt 0x0
	v_cmpx_ne_u32_e32 0x7f, v2
	s_cbranch_execz .LBB230_280
; %bb.277:                              ;   in Loop: Header=BB230_10 Depth=1
	scratch_load_b64 v[4:5], off, s32 offset:192 th:TH_LOAD_LU ; 8-byte Folded Reload
	s_wait_loadcnt 0x0
	v_dual_lshrrev_b32 v1, 3, v2 :: v_dual_bitop2_b32 v4, 7, v1 bitop3:0x40
	s_mov_b32 s16, exec_lo
	s_wait_xcnt 0x0
	v_cmpx_gt_u32_e32 8, v2
; %bb.278:                              ;   in Loop: Header=BB230_10 Depth=1
	s_delay_alu instid0(VALU_DEP_2) | instskip(NEXT) | instid1(VALU_DEP_1)
	v_clz_i32_u32_e32 v1, v4
	v_min_u32_e32 v1, 32, v1
	s_delay_alu instid0(VALU_DEP_1) | instskip(NEXT) | instid1(VALU_DEP_1)
	v_subrev_nc_u32_e32 v2, 28, v1
	v_lshlrev_b64_e32 v[2:3], v2, v[4:5]
	s_delay_alu instid0(VALU_DEP_1)
	v_dual_sub_nc_u32 v1, 29, v1 :: v_dual_bitop2_b32 v4, 7, v2 bitop3:0x40
; %bb.279:                              ;   in Loop: Header=BB230_10 Depth=1
	s_or_b32 exec_lo, exec_lo, s16
	v_lshlrev_b32_e32 v2, 16, v0
	s_delay_alu instid0(VALU_DEP_2) | instskip(NEXT) | instid1(VALU_DEP_3)
	v_lshlrev_b32_e32 v3, 20, v4
	v_lshl_add_u32 v1, v1, 23, 0x3c000000
	s_delay_alu instid0(VALU_DEP_3) | instskip(NEXT) | instid1(VALU_DEP_1)
	v_and_b32_e32 v2, 0x80000000, v2
	v_or3_b32 v3, v3, v2, v1
	v_dual_mov_b32 v1, v5 :: v_dual_mov_b32 v2, v5
	s_clause 0x1
	scratch_store_b64 off, v[0:1], s32 offset:192
	scratch_store_b64 off, v[2:3], s32 offset:468
.LBB230_280:                            ;   in Loop: Header=BB230_10 Depth=1
	s_wait_xcnt 0x0
	s_or_b32 exec_lo, exec_lo, s11
.LBB230_281:                            ;   in Loop: Header=BB230_10 Depth=1
	s_delay_alu instid0(SALU_CYCLE_1)
	s_or_b32 exec_lo, exec_lo, s9
.LBB230_282:                            ;   in Loop: Header=BB230_10 Depth=1
	s_delay_alu instid0(SALU_CYCLE_1) | instskip(SKIP_3) | instid1(VALU_DEP_1)
	s_or_b32 exec_lo, exec_lo, s8
	v_mov_b64_e32 v[4:5], 0
	v_lshrrev_b32_e32 v1, 16, v0
	s_mov_b32 s8, exec_lo
	v_and_b32_e32 v2, 0xff, v1
	scratch_store_b64 off, v[4:5], s32 offset:484 ; 8-byte Folded Spill
	s_wait_xcnt 0x0
	v_mov_b64_e32 v[4:5], 0
	scratch_store_b64 off, v[4:5], s32 offset:492 ; 8-byte Folded Spill
	s_wait_xcnt 0x0
	v_cmpx_ne_u16_e32 0, v2
	s_cbranch_execz .LBB230_290
; %bb.283:                              ;   in Loop: Header=BB230_10 Depth=1
	v_cmp_ne_u16_e64 s1, 0x80, v2
	v_mov_b64_e32 v[2:3], 0x80000000
	scratch_store_b64 off, v[2:3], s32 offset:492 ; 8-byte Folded Spill
	s_wait_xcnt 0x0
	s_and_saveexec_b32 s9, s1
	s_cbranch_execz .LBB230_289
; %bb.284:                              ;   in Loop: Header=BB230_10 Depth=1
	v_mov_b64_e32 v[4:5], 0x7f800001
	v_bfe_u32 v3, v0, 16, 7
	s_mov_b32 s11, exec_lo
	scratch_store_b64 off, v[4:5], s32 offset:492 ; 8-byte Folded Spill
	s_wait_xcnt 0x0
	v_cmpx_ne_u32_e32 0x7f, v3
	s_cbranch_execz .LBB230_288
; %bb.285:                              ;   in Loop: Header=BB230_10 Depth=1
	scratch_load_b64 v[6:7], off, s32 offset:192 th:TH_LOAD_LU ; 8-byte Folded Reload
	s_wait_loadcnt 0x0
	v_dual_lshrrev_b32 v2, 3, v3 :: v_dual_bitop2_b32 v6, 7, v1 bitop3:0x40
	s_mov_b32 s16, exec_lo
	s_wait_xcnt 0x0
	v_cmpx_gt_u32_e32 8, v3
; %bb.286:                              ;   in Loop: Header=BB230_10 Depth=1
	s_delay_alu instid0(VALU_DEP_2) | instskip(NEXT) | instid1(VALU_DEP_1)
	v_clz_i32_u32_e32 v2, v6
	v_min_u32_e32 v2, 32, v2
	s_delay_alu instid0(VALU_DEP_1) | instskip(NEXT) | instid1(VALU_DEP_1)
	v_subrev_nc_u32_e32 v3, 28, v2
	v_lshlrev_b64_e32 v[4:5], v3, v[6:7]
	s_delay_alu instid0(VALU_DEP_1)
	v_dual_sub_nc_u32 v2, 29, v2 :: v_dual_bitop2_b32 v6, 7, v4 bitop3:0x40
; %bb.287:                              ;   in Loop: Header=BB230_10 Depth=1
	s_or_b32 exec_lo, exec_lo, s16
	s_delay_alu instid0(VALU_DEP_1) | instskip(NEXT) | instid1(VALU_DEP_2)
	v_dual_lshlrev_b32 v1, 24, v1 :: v_dual_lshlrev_b32 v3, 20, v6
	v_lshl_add_u32 v2, v2, 23, 0x3c000000
	s_delay_alu instid0(VALU_DEP_2) | instskip(NEXT) | instid1(VALU_DEP_1)
	v_and_b32_e32 v1, 0x80000000, v1
	v_or3_b32 v6, v3, v1, v2
	v_mov_b32_e32 v1, v7
	s_clause 0x1
	scratch_store_b64 off, v[0:1], s32 offset:192
	scratch_store_b64 off, v[6:7], s32 offset:492
.LBB230_288:                            ;   in Loop: Header=BB230_10 Depth=1
	s_wait_xcnt 0x0
	s_or_b32 exec_lo, exec_lo, s11
.LBB230_289:                            ;   in Loop: Header=BB230_10 Depth=1
	s_delay_alu instid0(SALU_CYCLE_1)
	s_or_b32 exec_lo, exec_lo, s9
.LBB230_290:                            ;   in Loop: Header=BB230_10 Depth=1
	s_delay_alu instid0(SALU_CYCLE_1) | instskip(NEXT) | instid1(SALU_CYCLE_1)
	s_or_b32 exec_lo, exec_lo, s8
	s_mov_b32 s8, exec_lo
	v_cmpx_lt_u32_e32 0xffffff, v0
	s_cbranch_execz .LBB230_298
; %bb.291:                              ;   in Loop: Header=BB230_10 Depth=1
	v_mov_b64_e32 v[2:3], 0x8000000000000000
	v_lshrrev_b32_e32 v1, 24, v0
	s_mov_b32 s9, exec_lo
	scratch_store_b64 off, v[2:3], s32 offset:484 ; 8-byte Folded Spill
	s_wait_xcnt 0x0
	v_cmpx_ne_u32_e32 0x80, v1
	s_cbranch_execz .LBB230_297
; %bb.292:                              ;   in Loop: Header=BB230_10 Depth=1
	v_mov_b64_e32 v[4:5], 0x7f80000100000000
	v_bfe_u32 v2, v0, 24, 7
	s_mov_b32 s11, exec_lo
	scratch_store_b64 off, v[4:5], s32 offset:484 ; 8-byte Folded Spill
	s_wait_xcnt 0x0
	v_cmpx_ne_u32_e32 0x7f, v2
	s_cbranch_execz .LBB230_296
; %bb.293:                              ;   in Loop: Header=BB230_10 Depth=1
	scratch_load_b64 v[4:5], off, s32 offset:192 th:TH_LOAD_LU ; 8-byte Folded Reload
	s_wait_loadcnt 0x0
	v_dual_lshrrev_b32 v0, 3, v2 :: v_dual_bitop2_b32 v4, 7, v1 bitop3:0x40
	s_mov_b32 s16, exec_lo
	s_wait_xcnt 0x0
	v_cmpx_gt_u32_e32 8, v2
; %bb.294:                              ;   in Loop: Header=BB230_10 Depth=1
	s_delay_alu instid0(VALU_DEP_2) | instskip(NEXT) | instid1(VALU_DEP_1)
	v_clz_i32_u32_e32 v0, v4
	v_min_u32_e32 v0, 32, v0
	s_delay_alu instid0(VALU_DEP_1) | instskip(NEXT) | instid1(VALU_DEP_1)
	v_subrev_nc_u32_e32 v2, 28, v0
	v_lshlrev_b64_e32 v[2:3], v2, v[4:5]
	s_delay_alu instid0(VALU_DEP_1)
	v_dual_sub_nc_u32 v0, 29, v0 :: v_dual_bitop2_b32 v4, 7, v2 bitop3:0x40
; %bb.295:                              ;   in Loop: Header=BB230_10 Depth=1
	s_or_b32 exec_lo, exec_lo, s16
	s_delay_alu instid0(VALU_DEP_1) | instskip(NEXT) | instid1(VALU_DEP_2)
	v_dual_lshlrev_b32 v1, 24, v1 :: v_dual_lshlrev_b32 v2, 20, v4
	v_lshl_add_u32 v0, v0, 23, 0x3c000000
	s_delay_alu instid0(VALU_DEP_2) | instskip(NEXT) | instid1(VALU_DEP_1)
	v_and_b32_e32 v1, 0x80000000, v1
	v_or3_b32 v3, v2, v1, v0
	v_dual_mov_b32 v1, v5 :: v_dual_mov_b32 v2, v5
	s_clause 0x1
	scratch_store_b64 off, v[0:1], s32 offset:192
	scratch_store_b64 off, v[2:3], s32 offset:484
.LBB230_296:                            ;   in Loop: Header=BB230_10 Depth=1
	s_wait_xcnt 0x0
	s_or_b32 exec_lo, exec_lo, s11
.LBB230_297:                            ;   in Loop: Header=BB230_10 Depth=1
	s_delay_alu instid0(SALU_CYCLE_1)
	s_or_b32 exec_lo, exec_lo, s9
.LBB230_298:                            ;   in Loop: Header=BB230_10 Depth=1
	s_delay_alu instid0(SALU_CYCLE_1)
	s_or_b32 exec_lo, exec_lo, s8
	flat_load_b32 v0, v[92:93] offset:1028
	v_mov_b64_e32 v[2:3], 0
	s_mov_b32 s8, exec_lo
	scratch_store_b64 off, v[2:3], s32 offset:500 ; 8-byte Folded Spill
	s_wait_xcnt 0x0
	v_mov_b64_e32 v[2:3], 0
	scratch_store_b64 off, v[2:3], s32 offset:508 ; 8-byte Folded Spill
	s_wait_loadcnt_dscnt 0x0
	v_and_b32_e32 v1, 0xff, v0
	s_wait_xcnt 0x0
	s_delay_alu instid0(VALU_DEP_1)
	v_cmpx_ne_u16_e32 0, v1
	s_cbranch_execz .LBB230_306
; %bb.299:                              ;   in Loop: Header=BB230_10 Depth=1
	v_mov_b64_e32 v[2:3], 0x80000000
	s_mov_b32 s9, exec_lo
	scratch_store_b64 off, v[2:3], s32 offset:508 ; 8-byte Folded Spill
	s_wait_xcnt 0x0
	v_cmpx_ne_u16_e32 0x80, v1
	s_cbranch_execz .LBB230_305
; %bb.300:                              ;   in Loop: Header=BB230_10 Depth=1
	v_mov_b64_e32 v[4:5], 0x7f800001
	v_and_b32_e32 v2, 0x7f, v0
	s_mov_b32 s11, exec_lo
	scratch_store_b64 off, v[4:5], s32 offset:508 ; 8-byte Folded Spill
	s_wait_xcnt 0x0
	v_cmpx_ne_u32_e32 0x7f, v2
	s_cbranch_execz .LBB230_304
; %bb.301:                              ;   in Loop: Header=BB230_10 Depth=1
	scratch_load_b64 v[4:5], off, s32 offset:192 th:TH_LOAD_LU ; 8-byte Folded Reload
	s_wait_loadcnt 0x0
	v_dual_lshrrev_b32 v1, 3, v2 :: v_dual_bitop2_b32 v4, 7, v0 bitop3:0x40
	s_mov_b32 s16, exec_lo
	s_wait_xcnt 0x0
	v_cmpx_gt_u32_e32 8, v2
; %bb.302:                              ;   in Loop: Header=BB230_10 Depth=1
	s_delay_alu instid0(VALU_DEP_2) | instskip(NEXT) | instid1(VALU_DEP_1)
	v_clz_i32_u32_e32 v1, v4
	v_min_u32_e32 v1, 32, v1
	s_delay_alu instid0(VALU_DEP_1) | instskip(NEXT) | instid1(VALU_DEP_1)
	v_subrev_nc_u32_e32 v2, 28, v1
	v_lshlrev_b64_e32 v[2:3], v2, v[4:5]
	s_delay_alu instid0(VALU_DEP_1)
	v_dual_sub_nc_u32 v1, 29, v1 :: v_dual_bitop2_b32 v4, 7, v2 bitop3:0x40
; %bb.303:                              ;   in Loop: Header=BB230_10 Depth=1
	s_or_b32 exec_lo, exec_lo, s16
	v_lshlrev_b32_e32 v2, 24, v0
	s_delay_alu instid0(VALU_DEP_2) | instskip(NEXT) | instid1(VALU_DEP_3)
	v_lshlrev_b32_e32 v3, 20, v4
	v_lshl_add_u32 v1, v1, 23, 0x3c000000
	s_delay_alu instid0(VALU_DEP_3) | instskip(NEXT) | instid1(VALU_DEP_1)
	v_and_b32_e32 v2, 0x80000000, v2
	v_or3_b32 v4, v3, v2, v1
	v_mov_b32_e32 v1, v5
	s_clause 0x1
	scratch_store_b64 off, v[0:1], s32 offset:192
	scratch_store_b64 off, v[4:5], s32 offset:508
.LBB230_304:                            ;   in Loop: Header=BB230_10 Depth=1
	s_wait_xcnt 0x0
	s_or_b32 exec_lo, exec_lo, s11
.LBB230_305:                            ;   in Loop: Header=BB230_10 Depth=1
	s_delay_alu instid0(SALU_CYCLE_1)
	s_or_b32 exec_lo, exec_lo, s9
.LBB230_306:                            ;   in Loop: Header=BB230_10 Depth=1
	s_delay_alu instid0(SALU_CYCLE_1) | instskip(SKIP_2) | instid1(VALU_DEP_1)
	s_or_b32 exec_lo, exec_lo, s8
	v_lshrrev_b16 v1, 8, v0
	s_mov_b32 s8, exec_lo
	v_cmpx_ne_u16_e32 0, v1
	s_cbranch_execz .LBB230_314
; %bb.307:                              ;   in Loop: Header=BB230_10 Depth=1
	v_mov_b64_e32 v[2:3], 0x8000000000000000
	s_mov_b32 s9, exec_lo
	scratch_store_b64 off, v[2:3], s32 offset:500 ; 8-byte Folded Spill
	s_wait_xcnt 0x0
	v_cmpx_ne_u16_e32 0x80, v1
	s_cbranch_execz .LBB230_313
; %bb.308:                              ;   in Loop: Header=BB230_10 Depth=1
	v_and_b32_e32 v1, 0xffff, v1
	v_mov_b64_e32 v[4:5], 0x7f80000100000000
	s_mov_b32 s11, exec_lo
	s_delay_alu instid0(VALU_DEP_2)
	v_and_b32_e32 v2, 0x7f, v1
	scratch_store_b64 off, v[4:5], s32 offset:500 ; 8-byte Folded Spill
	s_wait_xcnt 0x0
	v_cmpx_ne_u32_e32 0x7f, v2
	s_cbranch_execz .LBB230_312
; %bb.309:                              ;   in Loop: Header=BB230_10 Depth=1
	scratch_load_b64 v[4:5], off, s32 offset:192 th:TH_LOAD_LU ; 8-byte Folded Reload
	s_wait_loadcnt 0x0
	v_dual_lshrrev_b32 v1, 3, v2 :: v_dual_bitop2_b32 v4, 7, v1 bitop3:0x40
	s_mov_b32 s16, exec_lo
	s_wait_xcnt 0x0
	v_cmpx_gt_u32_e32 8, v2
; %bb.310:                              ;   in Loop: Header=BB230_10 Depth=1
	s_delay_alu instid0(VALU_DEP_2) | instskip(NEXT) | instid1(VALU_DEP_1)
	v_clz_i32_u32_e32 v1, v4
	v_min_u32_e32 v1, 32, v1
	s_delay_alu instid0(VALU_DEP_1) | instskip(NEXT) | instid1(VALU_DEP_1)
	v_subrev_nc_u32_e32 v2, 28, v1
	v_lshlrev_b64_e32 v[2:3], v2, v[4:5]
	s_delay_alu instid0(VALU_DEP_1)
	v_dual_sub_nc_u32 v1, 29, v1 :: v_dual_bitop2_b32 v4, 7, v2 bitop3:0x40
; %bb.311:                              ;   in Loop: Header=BB230_10 Depth=1
	s_or_b32 exec_lo, exec_lo, s16
	v_lshlrev_b32_e32 v2, 16, v0
	s_delay_alu instid0(VALU_DEP_2) | instskip(NEXT) | instid1(VALU_DEP_3)
	v_lshlrev_b32_e32 v3, 20, v4
	v_lshl_add_u32 v1, v1, 23, 0x3c000000
	s_delay_alu instid0(VALU_DEP_3) | instskip(NEXT) | instid1(VALU_DEP_1)
	v_and_b32_e32 v2, 0x80000000, v2
	v_or3_b32 v3, v3, v2, v1
	v_dual_mov_b32 v1, v5 :: v_dual_mov_b32 v2, v5
	s_clause 0x1
	scratch_store_b64 off, v[0:1], s32 offset:192
	scratch_store_b64 off, v[2:3], s32 offset:500
.LBB230_312:                            ;   in Loop: Header=BB230_10 Depth=1
	s_wait_xcnt 0x0
	s_or_b32 exec_lo, exec_lo, s11
.LBB230_313:                            ;   in Loop: Header=BB230_10 Depth=1
	s_delay_alu instid0(SALU_CYCLE_1)
	s_or_b32 exec_lo, exec_lo, s9
.LBB230_314:                            ;   in Loop: Header=BB230_10 Depth=1
	s_delay_alu instid0(SALU_CYCLE_1) | instskip(SKIP_3) | instid1(VALU_DEP_1)
	s_or_b32 exec_lo, exec_lo, s8
	v_mov_b64_e32 v[4:5], 0
	v_lshrrev_b32_e32 v1, 16, v0
	s_mov_b32 s8, exec_lo
	v_and_b32_e32 v2, 0xff, v1
	scratch_store_b64 off, v[4:5], s32 offset:516 ; 8-byte Folded Spill
	s_wait_xcnt 0x0
	v_mov_b64_e32 v[4:5], 0
	scratch_store_b64 off, v[4:5], s32 offset:524 ; 8-byte Folded Spill
	s_wait_xcnt 0x0
	v_cmpx_ne_u16_e32 0, v2
	s_cbranch_execz .LBB230_322
; %bb.315:                              ;   in Loop: Header=BB230_10 Depth=1
	v_cmp_ne_u16_e64 s1, 0x80, v2
	v_mov_b64_e32 v[2:3], 0x80000000
	scratch_store_b64 off, v[2:3], s32 offset:524 ; 8-byte Folded Spill
	s_wait_xcnt 0x0
	s_and_saveexec_b32 s9, s1
	s_cbranch_execz .LBB230_321
; %bb.316:                              ;   in Loop: Header=BB230_10 Depth=1
	v_mov_b64_e32 v[4:5], 0x7f800001
	v_bfe_u32 v3, v0, 16, 7
	s_mov_b32 s11, exec_lo
	scratch_store_b64 off, v[4:5], s32 offset:524 ; 8-byte Folded Spill
	s_wait_xcnt 0x0
	v_cmpx_ne_u32_e32 0x7f, v3
	s_cbranch_execz .LBB230_320
; %bb.317:                              ;   in Loop: Header=BB230_10 Depth=1
	scratch_load_b64 v[6:7], off, s32 offset:192 th:TH_LOAD_LU ; 8-byte Folded Reload
	s_wait_loadcnt 0x0
	v_dual_lshrrev_b32 v2, 3, v3 :: v_dual_bitop2_b32 v6, 7, v1 bitop3:0x40
	s_mov_b32 s16, exec_lo
	s_wait_xcnt 0x0
	v_cmpx_gt_u32_e32 8, v3
; %bb.318:                              ;   in Loop: Header=BB230_10 Depth=1
	s_delay_alu instid0(VALU_DEP_2) | instskip(NEXT) | instid1(VALU_DEP_1)
	v_clz_i32_u32_e32 v2, v6
	v_min_u32_e32 v2, 32, v2
	s_delay_alu instid0(VALU_DEP_1) | instskip(NEXT) | instid1(VALU_DEP_1)
	v_subrev_nc_u32_e32 v3, 28, v2
	v_lshlrev_b64_e32 v[4:5], v3, v[6:7]
	s_delay_alu instid0(VALU_DEP_1)
	v_dual_sub_nc_u32 v2, 29, v2 :: v_dual_bitop2_b32 v6, 7, v4 bitop3:0x40
; %bb.319:                              ;   in Loop: Header=BB230_10 Depth=1
	s_or_b32 exec_lo, exec_lo, s16
	s_delay_alu instid0(VALU_DEP_1) | instskip(NEXT) | instid1(VALU_DEP_2)
	v_dual_lshlrev_b32 v1, 24, v1 :: v_dual_lshlrev_b32 v3, 20, v6
	v_lshl_add_u32 v2, v2, 23, 0x3c000000
	s_delay_alu instid0(VALU_DEP_2) | instskip(NEXT) | instid1(VALU_DEP_1)
	v_and_b32_e32 v1, 0x80000000, v1
	v_or3_b32 v6, v3, v1, v2
	v_mov_b32_e32 v1, v7
	s_clause 0x1
	scratch_store_b64 off, v[0:1], s32 offset:192
	scratch_store_b64 off, v[6:7], s32 offset:524
.LBB230_320:                            ;   in Loop: Header=BB230_10 Depth=1
	s_wait_xcnt 0x0
	s_or_b32 exec_lo, exec_lo, s11
.LBB230_321:                            ;   in Loop: Header=BB230_10 Depth=1
	s_delay_alu instid0(SALU_CYCLE_1)
	s_or_b32 exec_lo, exec_lo, s9
.LBB230_322:                            ;   in Loop: Header=BB230_10 Depth=1
	s_delay_alu instid0(SALU_CYCLE_1) | instskip(NEXT) | instid1(SALU_CYCLE_1)
	s_or_b32 exec_lo, exec_lo, s8
	s_mov_b32 s8, exec_lo
	v_cmpx_lt_u32_e32 0xffffff, v0
	s_cbranch_execz .LBB230_330
; %bb.323:                              ;   in Loop: Header=BB230_10 Depth=1
	v_mov_b64_e32 v[2:3], 0x8000000000000000
	v_lshrrev_b32_e32 v1, 24, v0
	s_mov_b32 s9, exec_lo
	scratch_store_b64 off, v[2:3], s32 offset:516 ; 8-byte Folded Spill
	s_wait_xcnt 0x0
	v_cmpx_ne_u32_e32 0x80, v1
	s_cbranch_execz .LBB230_329
; %bb.324:                              ;   in Loop: Header=BB230_10 Depth=1
	v_mov_b64_e32 v[4:5], 0x7f80000100000000
	v_bfe_u32 v2, v0, 24, 7
	s_mov_b32 s11, exec_lo
	scratch_store_b64 off, v[4:5], s32 offset:516 ; 8-byte Folded Spill
	s_wait_xcnt 0x0
	v_cmpx_ne_u32_e32 0x7f, v2
	s_cbranch_execz .LBB230_328
; %bb.325:                              ;   in Loop: Header=BB230_10 Depth=1
	scratch_load_b64 v[4:5], off, s32 offset:192 th:TH_LOAD_LU ; 8-byte Folded Reload
	s_wait_loadcnt 0x0
	v_dual_lshrrev_b32 v0, 3, v2 :: v_dual_bitop2_b32 v4, 7, v1 bitop3:0x40
	s_mov_b32 s16, exec_lo
	s_wait_xcnt 0x0
	v_cmpx_gt_u32_e32 8, v2
; %bb.326:                              ;   in Loop: Header=BB230_10 Depth=1
	s_delay_alu instid0(VALU_DEP_2) | instskip(NEXT) | instid1(VALU_DEP_1)
	v_clz_i32_u32_e32 v0, v4
	v_min_u32_e32 v0, 32, v0
	s_delay_alu instid0(VALU_DEP_1) | instskip(NEXT) | instid1(VALU_DEP_1)
	v_subrev_nc_u32_e32 v2, 28, v0
	v_lshlrev_b64_e32 v[2:3], v2, v[4:5]
	s_delay_alu instid0(VALU_DEP_1)
	v_dual_sub_nc_u32 v0, 29, v0 :: v_dual_bitop2_b32 v4, 7, v2 bitop3:0x40
; %bb.327:                              ;   in Loop: Header=BB230_10 Depth=1
	s_or_b32 exec_lo, exec_lo, s16
	s_delay_alu instid0(VALU_DEP_1) | instskip(NEXT) | instid1(VALU_DEP_2)
	v_dual_lshlrev_b32 v1, 24, v1 :: v_dual_lshlrev_b32 v2, 20, v4
	v_lshl_add_u32 v0, v0, 23, 0x3c000000
	s_delay_alu instid0(VALU_DEP_2) | instskip(NEXT) | instid1(VALU_DEP_1)
	v_and_b32_e32 v1, 0x80000000, v1
	v_or3_b32 v3, v2, v1, v0
	v_dual_mov_b32 v1, v5 :: v_dual_mov_b32 v2, v5
	s_clause 0x1
	scratch_store_b64 off, v[0:1], s32 offset:192
	scratch_store_b64 off, v[2:3], s32 offset:516
.LBB230_328:                            ;   in Loop: Header=BB230_10 Depth=1
	s_wait_xcnt 0x0
	s_or_b32 exec_lo, exec_lo, s11
.LBB230_329:                            ;   in Loop: Header=BB230_10 Depth=1
	s_delay_alu instid0(SALU_CYCLE_1)
	s_or_b32 exec_lo, exec_lo, s9
.LBB230_330:                            ;   in Loop: Header=BB230_10 Depth=1
	s_delay_alu instid0(SALU_CYCLE_1)
	s_or_b32 exec_lo, exec_lo, s8
	flat_load_b32 v0, v[92:93] offset:1032
	v_mov_b64_e32 v[2:3], 0
	s_mov_b32 s8, exec_lo
	scratch_store_b64 off, v[2:3], s32 offset:532 ; 8-byte Folded Spill
	s_wait_xcnt 0x0
	v_mov_b64_e32 v[2:3], 0
	scratch_store_b64 off, v[2:3], s32 offset:540 ; 8-byte Folded Spill
	s_wait_loadcnt_dscnt 0x0
	v_and_b32_e32 v1, 0xff, v0
	s_wait_xcnt 0x0
	s_delay_alu instid0(VALU_DEP_1)
	v_cmpx_ne_u16_e32 0, v1
	s_cbranch_execz .LBB230_338
; %bb.331:                              ;   in Loop: Header=BB230_10 Depth=1
	v_mov_b64_e32 v[2:3], 0x80000000
	s_mov_b32 s9, exec_lo
	scratch_store_b64 off, v[2:3], s32 offset:540 ; 8-byte Folded Spill
	s_wait_xcnt 0x0
	v_cmpx_ne_u16_e32 0x80, v1
	s_cbranch_execz .LBB230_337
; %bb.332:                              ;   in Loop: Header=BB230_10 Depth=1
	v_mov_b64_e32 v[4:5], 0x7f800001
	v_and_b32_e32 v2, 0x7f, v0
	s_mov_b32 s11, exec_lo
	scratch_store_b64 off, v[4:5], s32 offset:540 ; 8-byte Folded Spill
	s_wait_xcnt 0x0
	v_cmpx_ne_u32_e32 0x7f, v2
	s_cbranch_execz .LBB230_336
; %bb.333:                              ;   in Loop: Header=BB230_10 Depth=1
	scratch_load_b64 v[4:5], off, s32 offset:192 th:TH_LOAD_LU ; 8-byte Folded Reload
	s_wait_loadcnt 0x0
	v_dual_lshrrev_b32 v1, 3, v2 :: v_dual_bitop2_b32 v4, 7, v0 bitop3:0x40
	s_mov_b32 s16, exec_lo
	s_wait_xcnt 0x0
	v_cmpx_gt_u32_e32 8, v2
; %bb.334:                              ;   in Loop: Header=BB230_10 Depth=1
	s_delay_alu instid0(VALU_DEP_2) | instskip(NEXT) | instid1(VALU_DEP_1)
	v_clz_i32_u32_e32 v1, v4
	v_min_u32_e32 v1, 32, v1
	s_delay_alu instid0(VALU_DEP_1) | instskip(NEXT) | instid1(VALU_DEP_1)
	v_subrev_nc_u32_e32 v2, 28, v1
	v_lshlrev_b64_e32 v[2:3], v2, v[4:5]
	s_delay_alu instid0(VALU_DEP_1)
	v_dual_sub_nc_u32 v1, 29, v1 :: v_dual_bitop2_b32 v4, 7, v2 bitop3:0x40
; %bb.335:                              ;   in Loop: Header=BB230_10 Depth=1
	s_or_b32 exec_lo, exec_lo, s16
	v_lshlrev_b32_e32 v2, 24, v0
	s_delay_alu instid0(VALU_DEP_2) | instskip(NEXT) | instid1(VALU_DEP_3)
	v_lshlrev_b32_e32 v3, 20, v4
	v_lshl_add_u32 v1, v1, 23, 0x3c000000
	s_delay_alu instid0(VALU_DEP_3) | instskip(NEXT) | instid1(VALU_DEP_1)
	v_and_b32_e32 v2, 0x80000000, v2
	v_or3_b32 v4, v3, v2, v1
	v_mov_b32_e32 v1, v5
	s_clause 0x1
	scratch_store_b64 off, v[0:1], s32 offset:192
	scratch_store_b64 off, v[4:5], s32 offset:540
.LBB230_336:                            ;   in Loop: Header=BB230_10 Depth=1
	s_wait_xcnt 0x0
	s_or_b32 exec_lo, exec_lo, s11
.LBB230_337:                            ;   in Loop: Header=BB230_10 Depth=1
	s_delay_alu instid0(SALU_CYCLE_1)
	s_or_b32 exec_lo, exec_lo, s9
.LBB230_338:                            ;   in Loop: Header=BB230_10 Depth=1
	s_delay_alu instid0(SALU_CYCLE_1) | instskip(SKIP_2) | instid1(VALU_DEP_1)
	s_or_b32 exec_lo, exec_lo, s8
	v_lshrrev_b16 v1, 8, v0
	s_mov_b32 s8, exec_lo
	v_cmpx_ne_u16_e32 0, v1
	s_cbranch_execz .LBB230_346
; %bb.339:                              ;   in Loop: Header=BB230_10 Depth=1
	v_mov_b64_e32 v[2:3], 0x8000000000000000
	s_mov_b32 s9, exec_lo
	scratch_store_b64 off, v[2:3], s32 offset:532 ; 8-byte Folded Spill
	s_wait_xcnt 0x0
	v_cmpx_ne_u16_e32 0x80, v1
	s_cbranch_execz .LBB230_345
; %bb.340:                              ;   in Loop: Header=BB230_10 Depth=1
	v_and_b32_e32 v1, 0xffff, v1
	v_mov_b64_e32 v[4:5], 0x7f80000100000000
	s_mov_b32 s11, exec_lo
	s_delay_alu instid0(VALU_DEP_2)
	v_and_b32_e32 v2, 0x7f, v1
	scratch_store_b64 off, v[4:5], s32 offset:532 ; 8-byte Folded Spill
	s_wait_xcnt 0x0
	v_cmpx_ne_u32_e32 0x7f, v2
	s_cbranch_execz .LBB230_344
; %bb.341:                              ;   in Loop: Header=BB230_10 Depth=1
	scratch_load_b64 v[4:5], off, s32 offset:192 th:TH_LOAD_LU ; 8-byte Folded Reload
	s_wait_loadcnt 0x0
	v_dual_lshrrev_b32 v1, 3, v2 :: v_dual_bitop2_b32 v4, 7, v1 bitop3:0x40
	s_mov_b32 s16, exec_lo
	s_wait_xcnt 0x0
	v_cmpx_gt_u32_e32 8, v2
; %bb.342:                              ;   in Loop: Header=BB230_10 Depth=1
	s_delay_alu instid0(VALU_DEP_2) | instskip(NEXT) | instid1(VALU_DEP_1)
	v_clz_i32_u32_e32 v1, v4
	v_min_u32_e32 v1, 32, v1
	s_delay_alu instid0(VALU_DEP_1) | instskip(NEXT) | instid1(VALU_DEP_1)
	v_subrev_nc_u32_e32 v2, 28, v1
	v_lshlrev_b64_e32 v[2:3], v2, v[4:5]
	s_delay_alu instid0(VALU_DEP_1)
	v_dual_sub_nc_u32 v1, 29, v1 :: v_dual_bitop2_b32 v4, 7, v2 bitop3:0x40
; %bb.343:                              ;   in Loop: Header=BB230_10 Depth=1
	s_or_b32 exec_lo, exec_lo, s16
	v_lshlrev_b32_e32 v2, 16, v0
	s_delay_alu instid0(VALU_DEP_2) | instskip(NEXT) | instid1(VALU_DEP_3)
	v_lshlrev_b32_e32 v3, 20, v4
	v_lshl_add_u32 v1, v1, 23, 0x3c000000
	s_delay_alu instid0(VALU_DEP_3) | instskip(NEXT) | instid1(VALU_DEP_1)
	v_and_b32_e32 v2, 0x80000000, v2
	v_or3_b32 v3, v3, v2, v1
	v_dual_mov_b32 v1, v5 :: v_dual_mov_b32 v2, v5
	s_clause 0x1
	scratch_store_b64 off, v[0:1], s32 offset:192
	scratch_store_b64 off, v[2:3], s32 offset:532
.LBB230_344:                            ;   in Loop: Header=BB230_10 Depth=1
	s_wait_xcnt 0x0
	s_or_b32 exec_lo, exec_lo, s11
.LBB230_345:                            ;   in Loop: Header=BB230_10 Depth=1
	s_delay_alu instid0(SALU_CYCLE_1)
	s_or_b32 exec_lo, exec_lo, s9
.LBB230_346:                            ;   in Loop: Header=BB230_10 Depth=1
	s_delay_alu instid0(SALU_CYCLE_1) | instskip(SKIP_3) | instid1(VALU_DEP_1)
	s_or_b32 exec_lo, exec_lo, s8
	v_mov_b64_e32 v[4:5], 0
	v_lshrrev_b32_e32 v1, 16, v0
	s_mov_b32 s8, exec_lo
	v_and_b32_e32 v2, 0xff, v1
	scratch_store_b64 off, v[4:5], s32 offset:548 ; 8-byte Folded Spill
	s_wait_xcnt 0x0
	v_mov_b64_e32 v[4:5], 0
	scratch_store_b64 off, v[4:5], s32 offset:556 ; 8-byte Folded Spill
	s_wait_xcnt 0x0
	v_cmpx_ne_u16_e32 0, v2
	s_cbranch_execz .LBB230_354
; %bb.347:                              ;   in Loop: Header=BB230_10 Depth=1
	v_cmp_ne_u16_e64 s1, 0x80, v2
	v_mov_b64_e32 v[2:3], 0x80000000
	scratch_store_b64 off, v[2:3], s32 offset:556 ; 8-byte Folded Spill
	s_wait_xcnt 0x0
	s_and_saveexec_b32 s9, s1
	s_cbranch_execz .LBB230_353
; %bb.348:                              ;   in Loop: Header=BB230_10 Depth=1
	v_mov_b64_e32 v[4:5], 0x7f800001
	v_bfe_u32 v3, v0, 16, 7
	s_mov_b32 s11, exec_lo
	scratch_store_b64 off, v[4:5], s32 offset:556 ; 8-byte Folded Spill
	s_wait_xcnt 0x0
	v_cmpx_ne_u32_e32 0x7f, v3
	s_cbranch_execz .LBB230_352
; %bb.349:                              ;   in Loop: Header=BB230_10 Depth=1
	scratch_load_b64 v[6:7], off, s32 offset:192 th:TH_LOAD_LU ; 8-byte Folded Reload
	s_wait_loadcnt 0x0
	v_dual_lshrrev_b32 v2, 3, v3 :: v_dual_bitop2_b32 v6, 7, v1 bitop3:0x40
	s_mov_b32 s16, exec_lo
	s_wait_xcnt 0x0
	v_cmpx_gt_u32_e32 8, v3
; %bb.350:                              ;   in Loop: Header=BB230_10 Depth=1
	s_delay_alu instid0(VALU_DEP_2) | instskip(NEXT) | instid1(VALU_DEP_1)
	v_clz_i32_u32_e32 v2, v6
	v_min_u32_e32 v2, 32, v2
	s_delay_alu instid0(VALU_DEP_1) | instskip(NEXT) | instid1(VALU_DEP_1)
	v_subrev_nc_u32_e32 v3, 28, v2
	v_lshlrev_b64_e32 v[4:5], v3, v[6:7]
	s_delay_alu instid0(VALU_DEP_1)
	v_dual_sub_nc_u32 v2, 29, v2 :: v_dual_bitop2_b32 v6, 7, v4 bitop3:0x40
; %bb.351:                              ;   in Loop: Header=BB230_10 Depth=1
	s_or_b32 exec_lo, exec_lo, s16
	s_delay_alu instid0(VALU_DEP_1) | instskip(NEXT) | instid1(VALU_DEP_2)
	v_dual_lshlrev_b32 v1, 24, v1 :: v_dual_lshlrev_b32 v3, 20, v6
	v_lshl_add_u32 v2, v2, 23, 0x3c000000
	s_delay_alu instid0(VALU_DEP_2) | instskip(NEXT) | instid1(VALU_DEP_1)
	v_and_b32_e32 v1, 0x80000000, v1
	v_or3_b32 v6, v3, v1, v2
	v_mov_b32_e32 v1, v7
	s_clause 0x1
	scratch_store_b64 off, v[0:1], s32 offset:192
	scratch_store_b64 off, v[6:7], s32 offset:556
.LBB230_352:                            ;   in Loop: Header=BB230_10 Depth=1
	s_wait_xcnt 0x0
	s_or_b32 exec_lo, exec_lo, s11
.LBB230_353:                            ;   in Loop: Header=BB230_10 Depth=1
	s_delay_alu instid0(SALU_CYCLE_1)
	s_or_b32 exec_lo, exec_lo, s9
.LBB230_354:                            ;   in Loop: Header=BB230_10 Depth=1
	s_delay_alu instid0(SALU_CYCLE_1) | instskip(NEXT) | instid1(SALU_CYCLE_1)
	s_or_b32 exec_lo, exec_lo, s8
	s_mov_b32 s8, exec_lo
	v_cmpx_lt_u32_e32 0xffffff, v0
	s_cbranch_execz .LBB230_362
; %bb.355:                              ;   in Loop: Header=BB230_10 Depth=1
	v_mov_b64_e32 v[2:3], 0x8000000000000000
	v_lshrrev_b32_e32 v1, 24, v0
	s_mov_b32 s9, exec_lo
	scratch_store_b64 off, v[2:3], s32 offset:548 ; 8-byte Folded Spill
	s_wait_xcnt 0x0
	v_cmpx_ne_u32_e32 0x80, v1
	s_cbranch_execz .LBB230_361
; %bb.356:                              ;   in Loop: Header=BB230_10 Depth=1
	v_mov_b64_e32 v[4:5], 0x7f80000100000000
	v_bfe_u32 v2, v0, 24, 7
	s_mov_b32 s11, exec_lo
	scratch_store_b64 off, v[4:5], s32 offset:548 ; 8-byte Folded Spill
	s_wait_xcnt 0x0
	v_cmpx_ne_u32_e32 0x7f, v2
	s_cbranch_execz .LBB230_360
; %bb.357:                              ;   in Loop: Header=BB230_10 Depth=1
	scratch_load_b64 v[4:5], off, s32 offset:192 th:TH_LOAD_LU ; 8-byte Folded Reload
	s_wait_loadcnt 0x0
	v_dual_lshrrev_b32 v0, 3, v2 :: v_dual_bitop2_b32 v4, 7, v1 bitop3:0x40
	s_mov_b32 s16, exec_lo
	s_wait_xcnt 0x0
	v_cmpx_gt_u32_e32 8, v2
; %bb.358:                              ;   in Loop: Header=BB230_10 Depth=1
	s_delay_alu instid0(VALU_DEP_2) | instskip(NEXT) | instid1(VALU_DEP_1)
	v_clz_i32_u32_e32 v0, v4
	v_min_u32_e32 v0, 32, v0
	s_delay_alu instid0(VALU_DEP_1) | instskip(NEXT) | instid1(VALU_DEP_1)
	v_subrev_nc_u32_e32 v2, 28, v0
	v_lshlrev_b64_e32 v[2:3], v2, v[4:5]
	s_delay_alu instid0(VALU_DEP_1)
	v_dual_sub_nc_u32 v0, 29, v0 :: v_dual_bitop2_b32 v4, 7, v2 bitop3:0x40
; %bb.359:                              ;   in Loop: Header=BB230_10 Depth=1
	s_or_b32 exec_lo, exec_lo, s16
	s_delay_alu instid0(VALU_DEP_1) | instskip(NEXT) | instid1(VALU_DEP_2)
	v_dual_lshlrev_b32 v1, 24, v1 :: v_dual_lshlrev_b32 v2, 20, v4
	v_lshl_add_u32 v0, v0, 23, 0x3c000000
	s_delay_alu instid0(VALU_DEP_2) | instskip(NEXT) | instid1(VALU_DEP_1)
	v_and_b32_e32 v1, 0x80000000, v1
	v_or3_b32 v3, v2, v1, v0
	v_dual_mov_b32 v1, v5 :: v_dual_mov_b32 v2, v5
	s_clause 0x1
	scratch_store_b64 off, v[0:1], s32 offset:192
	scratch_store_b64 off, v[2:3], s32 offset:548
.LBB230_360:                            ;   in Loop: Header=BB230_10 Depth=1
	s_wait_xcnt 0x0
	s_or_b32 exec_lo, exec_lo, s11
.LBB230_361:                            ;   in Loop: Header=BB230_10 Depth=1
	s_delay_alu instid0(SALU_CYCLE_1)
	s_or_b32 exec_lo, exec_lo, s9
.LBB230_362:                            ;   in Loop: Header=BB230_10 Depth=1
	s_delay_alu instid0(SALU_CYCLE_1)
	s_or_b32 exec_lo, exec_lo, s8
	flat_load_b32 v0, v[92:93] offset:1036
	v_mov_b64_e32 v[2:3], 0
	s_mov_b32 s8, exec_lo
	scratch_store_b64 off, v[2:3], s32 offset:564 ; 8-byte Folded Spill
	s_wait_xcnt 0x0
	v_mov_b64_e32 v[2:3], 0
	scratch_store_b64 off, v[2:3], s32 offset:572 ; 8-byte Folded Spill
	s_wait_loadcnt_dscnt 0x0
	v_and_b32_e32 v1, 0xff, v0
	s_wait_xcnt 0x0
	s_delay_alu instid0(VALU_DEP_1)
	v_cmpx_ne_u16_e32 0, v1
	s_cbranch_execz .LBB230_370
; %bb.363:                              ;   in Loop: Header=BB230_10 Depth=1
	v_mov_b64_e32 v[2:3], 0x80000000
	s_mov_b32 s9, exec_lo
	scratch_store_b64 off, v[2:3], s32 offset:572 ; 8-byte Folded Spill
	s_wait_xcnt 0x0
	v_cmpx_ne_u16_e32 0x80, v1
	s_cbranch_execz .LBB230_369
; %bb.364:                              ;   in Loop: Header=BB230_10 Depth=1
	v_mov_b64_e32 v[4:5], 0x7f800001
	v_and_b32_e32 v2, 0x7f, v0
	s_mov_b32 s11, exec_lo
	scratch_store_b64 off, v[4:5], s32 offset:572 ; 8-byte Folded Spill
	s_wait_xcnt 0x0
	v_cmpx_ne_u32_e32 0x7f, v2
	s_cbranch_execz .LBB230_368
; %bb.365:                              ;   in Loop: Header=BB230_10 Depth=1
	scratch_load_b64 v[4:5], off, s32 offset:192 th:TH_LOAD_LU ; 8-byte Folded Reload
	s_wait_loadcnt 0x0
	v_dual_lshrrev_b32 v1, 3, v2 :: v_dual_bitop2_b32 v4, 7, v0 bitop3:0x40
	s_mov_b32 s16, exec_lo
	s_wait_xcnt 0x0
	v_cmpx_gt_u32_e32 8, v2
; %bb.366:                              ;   in Loop: Header=BB230_10 Depth=1
	s_delay_alu instid0(VALU_DEP_2) | instskip(NEXT) | instid1(VALU_DEP_1)
	v_clz_i32_u32_e32 v1, v4
	v_min_u32_e32 v1, 32, v1
	s_delay_alu instid0(VALU_DEP_1) | instskip(NEXT) | instid1(VALU_DEP_1)
	v_subrev_nc_u32_e32 v2, 28, v1
	v_lshlrev_b64_e32 v[2:3], v2, v[4:5]
	s_delay_alu instid0(VALU_DEP_1)
	v_dual_sub_nc_u32 v1, 29, v1 :: v_dual_bitop2_b32 v4, 7, v2 bitop3:0x40
; %bb.367:                              ;   in Loop: Header=BB230_10 Depth=1
	s_or_b32 exec_lo, exec_lo, s16
	v_lshlrev_b32_e32 v2, 24, v0
	s_delay_alu instid0(VALU_DEP_2) | instskip(NEXT) | instid1(VALU_DEP_3)
	v_lshlrev_b32_e32 v3, 20, v4
	v_lshl_add_u32 v1, v1, 23, 0x3c000000
	s_delay_alu instid0(VALU_DEP_3) | instskip(NEXT) | instid1(VALU_DEP_1)
	v_and_b32_e32 v2, 0x80000000, v2
	v_or3_b32 v4, v3, v2, v1
	v_mov_b32_e32 v1, v5
	s_clause 0x1
	scratch_store_b64 off, v[0:1], s32 offset:192
	scratch_store_b64 off, v[4:5], s32 offset:572
.LBB230_368:                            ;   in Loop: Header=BB230_10 Depth=1
	s_wait_xcnt 0x0
	s_or_b32 exec_lo, exec_lo, s11
.LBB230_369:                            ;   in Loop: Header=BB230_10 Depth=1
	s_delay_alu instid0(SALU_CYCLE_1)
	s_or_b32 exec_lo, exec_lo, s9
.LBB230_370:                            ;   in Loop: Header=BB230_10 Depth=1
	s_delay_alu instid0(SALU_CYCLE_1) | instskip(SKIP_2) | instid1(VALU_DEP_1)
	s_or_b32 exec_lo, exec_lo, s8
	v_lshrrev_b16 v1, 8, v0
	s_mov_b32 s8, exec_lo
	v_cmpx_ne_u16_e32 0, v1
	s_cbranch_execz .LBB230_378
; %bb.371:                              ;   in Loop: Header=BB230_10 Depth=1
	v_mov_b64_e32 v[2:3], 0x8000000000000000
	s_mov_b32 s9, exec_lo
	scratch_store_b64 off, v[2:3], s32 offset:564 ; 8-byte Folded Spill
	s_wait_xcnt 0x0
	v_cmpx_ne_u16_e32 0x80, v1
	s_cbranch_execz .LBB230_377
; %bb.372:                              ;   in Loop: Header=BB230_10 Depth=1
	v_and_b32_e32 v1, 0xffff, v1
	v_mov_b64_e32 v[4:5], 0x7f80000100000000
	s_mov_b32 s11, exec_lo
	s_delay_alu instid0(VALU_DEP_2)
	v_and_b32_e32 v2, 0x7f, v1
	scratch_store_b64 off, v[4:5], s32 offset:564 ; 8-byte Folded Spill
	s_wait_xcnt 0x0
	v_cmpx_ne_u32_e32 0x7f, v2
	s_cbranch_execz .LBB230_376
; %bb.373:                              ;   in Loop: Header=BB230_10 Depth=1
	scratch_load_b64 v[4:5], off, s32 offset:192 th:TH_LOAD_LU ; 8-byte Folded Reload
	s_wait_loadcnt 0x0
	v_dual_lshrrev_b32 v1, 3, v2 :: v_dual_bitop2_b32 v4, 7, v1 bitop3:0x40
	s_mov_b32 s16, exec_lo
	s_wait_xcnt 0x0
	v_cmpx_gt_u32_e32 8, v2
; %bb.374:                              ;   in Loop: Header=BB230_10 Depth=1
	s_delay_alu instid0(VALU_DEP_2) | instskip(NEXT) | instid1(VALU_DEP_1)
	v_clz_i32_u32_e32 v1, v4
	v_min_u32_e32 v1, 32, v1
	s_delay_alu instid0(VALU_DEP_1) | instskip(NEXT) | instid1(VALU_DEP_1)
	v_subrev_nc_u32_e32 v2, 28, v1
	v_lshlrev_b64_e32 v[2:3], v2, v[4:5]
	s_delay_alu instid0(VALU_DEP_1)
	v_dual_sub_nc_u32 v1, 29, v1 :: v_dual_bitop2_b32 v4, 7, v2 bitop3:0x40
; %bb.375:                              ;   in Loop: Header=BB230_10 Depth=1
	s_or_b32 exec_lo, exec_lo, s16
	v_lshlrev_b32_e32 v2, 16, v0
	s_delay_alu instid0(VALU_DEP_2) | instskip(NEXT) | instid1(VALU_DEP_3)
	v_lshlrev_b32_e32 v3, 20, v4
	v_lshl_add_u32 v1, v1, 23, 0x3c000000
	s_delay_alu instid0(VALU_DEP_3) | instskip(NEXT) | instid1(VALU_DEP_1)
	v_and_b32_e32 v2, 0x80000000, v2
	v_or3_b32 v3, v3, v2, v1
	v_dual_mov_b32 v1, v5 :: v_dual_mov_b32 v2, v5
	s_clause 0x1
	scratch_store_b64 off, v[0:1], s32 offset:192
	scratch_store_b64 off, v[2:3], s32 offset:564
.LBB230_376:                            ;   in Loop: Header=BB230_10 Depth=1
	s_wait_xcnt 0x0
	s_or_b32 exec_lo, exec_lo, s11
.LBB230_377:                            ;   in Loop: Header=BB230_10 Depth=1
	s_delay_alu instid0(SALU_CYCLE_1)
	s_or_b32 exec_lo, exec_lo, s9
.LBB230_378:                            ;   in Loop: Header=BB230_10 Depth=1
	s_delay_alu instid0(SALU_CYCLE_1) | instskip(SKIP_3) | instid1(VALU_DEP_1)
	s_or_b32 exec_lo, exec_lo, s8
	v_mov_b64_e32 v[4:5], 0
	v_lshrrev_b32_e32 v1, 16, v0
	s_mov_b32 s8, exec_lo
	v_and_b32_e32 v2, 0xff, v1
	scratch_store_b64 off, v[4:5], s32 offset:580 ; 8-byte Folded Spill
	s_wait_xcnt 0x0
	v_mov_b64_e32 v[4:5], 0
	scratch_store_b64 off, v[4:5], s32 offset:588 ; 8-byte Folded Spill
	s_wait_xcnt 0x0
	v_cmpx_ne_u16_e32 0, v2
	s_cbranch_execz .LBB230_386
; %bb.379:                              ;   in Loop: Header=BB230_10 Depth=1
	v_cmp_ne_u16_e64 s1, 0x80, v2
	v_mov_b64_e32 v[2:3], 0x80000000
	scratch_store_b64 off, v[2:3], s32 offset:588 ; 8-byte Folded Spill
	s_wait_xcnt 0x0
	s_and_saveexec_b32 s9, s1
	s_cbranch_execz .LBB230_385
; %bb.380:                              ;   in Loop: Header=BB230_10 Depth=1
	v_mov_b64_e32 v[4:5], 0x7f800001
	v_bfe_u32 v3, v0, 16, 7
	s_mov_b32 s11, exec_lo
	scratch_store_b64 off, v[4:5], s32 offset:588 ; 8-byte Folded Spill
	s_wait_xcnt 0x0
	v_cmpx_ne_u32_e32 0x7f, v3
	s_cbranch_execz .LBB230_384
; %bb.381:                              ;   in Loop: Header=BB230_10 Depth=1
	scratch_load_b64 v[6:7], off, s32 offset:192 th:TH_LOAD_LU ; 8-byte Folded Reload
	s_wait_loadcnt 0x0
	v_dual_lshrrev_b32 v2, 3, v3 :: v_dual_bitop2_b32 v6, 7, v1 bitop3:0x40
	s_mov_b32 s16, exec_lo
	s_wait_xcnt 0x0
	v_cmpx_gt_u32_e32 8, v3
; %bb.382:                              ;   in Loop: Header=BB230_10 Depth=1
	s_delay_alu instid0(VALU_DEP_2) | instskip(NEXT) | instid1(VALU_DEP_1)
	v_clz_i32_u32_e32 v2, v6
	v_min_u32_e32 v2, 32, v2
	s_delay_alu instid0(VALU_DEP_1) | instskip(NEXT) | instid1(VALU_DEP_1)
	v_subrev_nc_u32_e32 v3, 28, v2
	v_lshlrev_b64_e32 v[4:5], v3, v[6:7]
	s_delay_alu instid0(VALU_DEP_1)
	v_dual_sub_nc_u32 v2, 29, v2 :: v_dual_bitop2_b32 v6, 7, v4 bitop3:0x40
; %bb.383:                              ;   in Loop: Header=BB230_10 Depth=1
	s_or_b32 exec_lo, exec_lo, s16
	s_delay_alu instid0(VALU_DEP_1) | instskip(NEXT) | instid1(VALU_DEP_2)
	v_dual_lshlrev_b32 v1, 24, v1 :: v_dual_lshlrev_b32 v3, 20, v6
	v_lshl_add_u32 v2, v2, 23, 0x3c000000
	s_delay_alu instid0(VALU_DEP_2) | instskip(NEXT) | instid1(VALU_DEP_1)
	v_and_b32_e32 v1, 0x80000000, v1
	v_or3_b32 v6, v3, v1, v2
	v_mov_b32_e32 v1, v7
	s_clause 0x1
	scratch_store_b64 off, v[0:1], s32 offset:192
	scratch_store_b64 off, v[6:7], s32 offset:588
.LBB230_384:                            ;   in Loop: Header=BB230_10 Depth=1
	s_wait_xcnt 0x0
	s_or_b32 exec_lo, exec_lo, s11
.LBB230_385:                            ;   in Loop: Header=BB230_10 Depth=1
	s_delay_alu instid0(SALU_CYCLE_1)
	s_or_b32 exec_lo, exec_lo, s9
.LBB230_386:                            ;   in Loop: Header=BB230_10 Depth=1
	s_delay_alu instid0(SALU_CYCLE_1) | instskip(NEXT) | instid1(SALU_CYCLE_1)
	s_or_b32 exec_lo, exec_lo, s8
	s_mov_b32 s8, exec_lo
	v_cmpx_lt_u32_e32 0xffffff, v0
	s_cbranch_execz .LBB230_394
; %bb.387:                              ;   in Loop: Header=BB230_10 Depth=1
	v_mov_b64_e32 v[2:3], 0x8000000000000000
	v_lshrrev_b32_e32 v1, 24, v0
	s_mov_b32 s9, exec_lo
	scratch_store_b64 off, v[2:3], s32 offset:580 ; 8-byte Folded Spill
	s_wait_xcnt 0x0
	v_cmpx_ne_u32_e32 0x80, v1
	s_cbranch_execz .LBB230_393
; %bb.388:                              ;   in Loop: Header=BB230_10 Depth=1
	v_mov_b64_e32 v[4:5], 0x7f80000100000000
	v_bfe_u32 v2, v0, 24, 7
	s_mov_b32 s11, exec_lo
	scratch_store_b64 off, v[4:5], s32 offset:580 ; 8-byte Folded Spill
	s_wait_xcnt 0x0
	v_cmpx_ne_u32_e32 0x7f, v2
	s_cbranch_execz .LBB230_392
; %bb.389:                              ;   in Loop: Header=BB230_10 Depth=1
	scratch_load_b64 v[4:5], off, s32 offset:192 th:TH_LOAD_LU ; 8-byte Folded Reload
	s_wait_loadcnt 0x0
	v_dual_lshrrev_b32 v0, 3, v2 :: v_dual_bitop2_b32 v4, 7, v1 bitop3:0x40
	s_mov_b32 s16, exec_lo
	s_wait_xcnt 0x0
	v_cmpx_gt_u32_e32 8, v2
; %bb.390:                              ;   in Loop: Header=BB230_10 Depth=1
	s_delay_alu instid0(VALU_DEP_2) | instskip(NEXT) | instid1(VALU_DEP_1)
	v_clz_i32_u32_e32 v0, v4
	v_min_u32_e32 v0, 32, v0
	s_delay_alu instid0(VALU_DEP_1) | instskip(NEXT) | instid1(VALU_DEP_1)
	v_subrev_nc_u32_e32 v2, 28, v0
	v_lshlrev_b64_e32 v[2:3], v2, v[4:5]
	s_delay_alu instid0(VALU_DEP_1)
	v_dual_sub_nc_u32 v0, 29, v0 :: v_dual_bitop2_b32 v4, 7, v2 bitop3:0x40
; %bb.391:                              ;   in Loop: Header=BB230_10 Depth=1
	s_or_b32 exec_lo, exec_lo, s16
	s_delay_alu instid0(VALU_DEP_1) | instskip(NEXT) | instid1(VALU_DEP_2)
	v_dual_lshlrev_b32 v1, 24, v1 :: v_dual_lshlrev_b32 v2, 20, v4
	v_lshl_add_u32 v0, v0, 23, 0x3c000000
	s_delay_alu instid0(VALU_DEP_2) | instskip(NEXT) | instid1(VALU_DEP_1)
	v_and_b32_e32 v1, 0x80000000, v1
	v_or3_b32 v3, v2, v1, v0
	v_dual_mov_b32 v1, v5 :: v_dual_mov_b32 v2, v5
	s_clause 0x1
	scratch_store_b64 off, v[0:1], s32 offset:192
	scratch_store_b64 off, v[2:3], s32 offset:580
.LBB230_392:                            ;   in Loop: Header=BB230_10 Depth=1
	s_wait_xcnt 0x0
	s_or_b32 exec_lo, exec_lo, s11
.LBB230_393:                            ;   in Loop: Header=BB230_10 Depth=1
	s_delay_alu instid0(SALU_CYCLE_1)
	s_or_b32 exec_lo, exec_lo, s9
.LBB230_394:                            ;   in Loop: Header=BB230_10 Depth=1
	s_delay_alu instid0(SALU_CYCLE_1)
	s_or_b32 exec_lo, exec_lo, s8
	flat_load_b32 v0, v[92:93] offset:1536
	v_mov_b64_e32 v[2:3], 0
	s_mov_b32 s8, exec_lo
	scratch_store_b64 off, v[2:3], s32 offset:596 ; 8-byte Folded Spill
	s_wait_xcnt 0x0
	v_mov_b64_e32 v[2:3], 0
	scratch_store_b64 off, v[2:3], s32 offset:604 ; 8-byte Folded Spill
	s_wait_loadcnt_dscnt 0x0
	v_and_b32_e32 v1, 0xff, v0
	s_wait_xcnt 0x0
	s_delay_alu instid0(VALU_DEP_1)
	v_cmpx_ne_u16_e32 0, v1
	s_cbranch_execz .LBB230_402
; %bb.395:                              ;   in Loop: Header=BB230_10 Depth=1
	v_mov_b64_e32 v[2:3], 0x80000000
	s_mov_b32 s9, exec_lo
	scratch_store_b64 off, v[2:3], s32 offset:604 ; 8-byte Folded Spill
	s_wait_xcnt 0x0
	v_cmpx_ne_u16_e32 0x80, v1
	s_cbranch_execz .LBB230_401
; %bb.396:                              ;   in Loop: Header=BB230_10 Depth=1
	v_mov_b64_e32 v[4:5], 0x7f800001
	v_and_b32_e32 v2, 0x7f, v0
	s_mov_b32 s11, exec_lo
	scratch_store_b64 off, v[4:5], s32 offset:604 ; 8-byte Folded Spill
	s_wait_xcnt 0x0
	v_cmpx_ne_u32_e32 0x7f, v2
	s_cbranch_execz .LBB230_400
; %bb.397:                              ;   in Loop: Header=BB230_10 Depth=1
	scratch_load_b64 v[4:5], off, s32 offset:192 th:TH_LOAD_LU ; 8-byte Folded Reload
	s_wait_loadcnt 0x0
	v_dual_lshrrev_b32 v1, 3, v2 :: v_dual_bitop2_b32 v4, 7, v0 bitop3:0x40
	s_mov_b32 s16, exec_lo
	s_wait_xcnt 0x0
	v_cmpx_gt_u32_e32 8, v2
; %bb.398:                              ;   in Loop: Header=BB230_10 Depth=1
	s_delay_alu instid0(VALU_DEP_2) | instskip(NEXT) | instid1(VALU_DEP_1)
	v_clz_i32_u32_e32 v1, v4
	v_min_u32_e32 v1, 32, v1
	s_delay_alu instid0(VALU_DEP_1) | instskip(NEXT) | instid1(VALU_DEP_1)
	v_subrev_nc_u32_e32 v2, 28, v1
	v_lshlrev_b64_e32 v[2:3], v2, v[4:5]
	s_delay_alu instid0(VALU_DEP_1)
	v_dual_sub_nc_u32 v1, 29, v1 :: v_dual_bitop2_b32 v4, 7, v2 bitop3:0x40
; %bb.399:                              ;   in Loop: Header=BB230_10 Depth=1
	s_or_b32 exec_lo, exec_lo, s16
	v_lshlrev_b32_e32 v2, 24, v0
	s_delay_alu instid0(VALU_DEP_2) | instskip(NEXT) | instid1(VALU_DEP_3)
	v_lshlrev_b32_e32 v3, 20, v4
	v_lshl_add_u32 v1, v1, 23, 0x3c000000
	s_delay_alu instid0(VALU_DEP_3) | instskip(NEXT) | instid1(VALU_DEP_1)
	v_and_b32_e32 v2, 0x80000000, v2
	v_or3_b32 v4, v3, v2, v1
	v_mov_b32_e32 v1, v5
	s_clause 0x1
	scratch_store_b64 off, v[0:1], s32 offset:192
	scratch_store_b64 off, v[4:5], s32 offset:604
.LBB230_400:                            ;   in Loop: Header=BB230_10 Depth=1
	s_wait_xcnt 0x0
	s_or_b32 exec_lo, exec_lo, s11
.LBB230_401:                            ;   in Loop: Header=BB230_10 Depth=1
	s_delay_alu instid0(SALU_CYCLE_1)
	s_or_b32 exec_lo, exec_lo, s9
.LBB230_402:                            ;   in Loop: Header=BB230_10 Depth=1
	s_delay_alu instid0(SALU_CYCLE_1) | instskip(SKIP_2) | instid1(VALU_DEP_1)
	s_or_b32 exec_lo, exec_lo, s8
	v_lshrrev_b16 v1, 8, v0
	s_mov_b32 s8, exec_lo
	v_cmpx_ne_u16_e32 0, v1
	s_cbranch_execz .LBB230_410
; %bb.403:                              ;   in Loop: Header=BB230_10 Depth=1
	v_mov_b64_e32 v[2:3], 0x8000000000000000
	s_mov_b32 s9, exec_lo
	scratch_store_b64 off, v[2:3], s32 offset:596 ; 8-byte Folded Spill
	s_wait_xcnt 0x0
	v_cmpx_ne_u16_e32 0x80, v1
	s_cbranch_execz .LBB230_409
; %bb.404:                              ;   in Loop: Header=BB230_10 Depth=1
	v_and_b32_e32 v1, 0xffff, v1
	v_mov_b64_e32 v[4:5], 0x7f80000100000000
	s_mov_b32 s11, exec_lo
	s_delay_alu instid0(VALU_DEP_2)
	v_and_b32_e32 v2, 0x7f, v1
	scratch_store_b64 off, v[4:5], s32 offset:596 ; 8-byte Folded Spill
	s_wait_xcnt 0x0
	v_cmpx_ne_u32_e32 0x7f, v2
	s_cbranch_execz .LBB230_408
; %bb.405:                              ;   in Loop: Header=BB230_10 Depth=1
	scratch_load_b64 v[4:5], off, s32 offset:192 th:TH_LOAD_LU ; 8-byte Folded Reload
	s_wait_loadcnt 0x0
	v_dual_lshrrev_b32 v1, 3, v2 :: v_dual_bitop2_b32 v4, 7, v1 bitop3:0x40
	s_mov_b32 s16, exec_lo
	s_wait_xcnt 0x0
	v_cmpx_gt_u32_e32 8, v2
; %bb.406:                              ;   in Loop: Header=BB230_10 Depth=1
	s_delay_alu instid0(VALU_DEP_2) | instskip(NEXT) | instid1(VALU_DEP_1)
	v_clz_i32_u32_e32 v1, v4
	v_min_u32_e32 v1, 32, v1
	s_delay_alu instid0(VALU_DEP_1) | instskip(NEXT) | instid1(VALU_DEP_1)
	v_subrev_nc_u32_e32 v2, 28, v1
	v_lshlrev_b64_e32 v[2:3], v2, v[4:5]
	s_delay_alu instid0(VALU_DEP_1)
	v_dual_sub_nc_u32 v1, 29, v1 :: v_dual_bitop2_b32 v4, 7, v2 bitop3:0x40
; %bb.407:                              ;   in Loop: Header=BB230_10 Depth=1
	s_or_b32 exec_lo, exec_lo, s16
	v_lshlrev_b32_e32 v2, 16, v0
	s_delay_alu instid0(VALU_DEP_2) | instskip(NEXT) | instid1(VALU_DEP_3)
	v_lshlrev_b32_e32 v3, 20, v4
	v_lshl_add_u32 v1, v1, 23, 0x3c000000
	s_delay_alu instid0(VALU_DEP_3) | instskip(NEXT) | instid1(VALU_DEP_1)
	v_and_b32_e32 v2, 0x80000000, v2
	v_or3_b32 v3, v3, v2, v1
	v_dual_mov_b32 v1, v5 :: v_dual_mov_b32 v2, v5
	s_clause 0x1
	scratch_store_b64 off, v[0:1], s32 offset:192
	scratch_store_b64 off, v[2:3], s32 offset:596
.LBB230_408:                            ;   in Loop: Header=BB230_10 Depth=1
	s_wait_xcnt 0x0
	s_or_b32 exec_lo, exec_lo, s11
.LBB230_409:                            ;   in Loop: Header=BB230_10 Depth=1
	s_delay_alu instid0(SALU_CYCLE_1)
	s_or_b32 exec_lo, exec_lo, s9
.LBB230_410:                            ;   in Loop: Header=BB230_10 Depth=1
	s_delay_alu instid0(SALU_CYCLE_1) | instskip(SKIP_3) | instid1(VALU_DEP_1)
	s_or_b32 exec_lo, exec_lo, s8
	v_mov_b64_e32 v[4:5], 0
	v_lshrrev_b32_e32 v1, 16, v0
	s_mov_b32 s8, exec_lo
	v_and_b32_e32 v2, 0xff, v1
	scratch_store_b64 off, v[4:5], s32 offset:612 ; 8-byte Folded Spill
	s_wait_xcnt 0x0
	v_mov_b64_e32 v[4:5], 0
	scratch_store_b64 off, v[4:5], s32 offset:620 ; 8-byte Folded Spill
	s_wait_xcnt 0x0
	v_cmpx_ne_u16_e32 0, v2
	s_cbranch_execz .LBB230_418
; %bb.411:                              ;   in Loop: Header=BB230_10 Depth=1
	v_cmp_ne_u16_e64 s1, 0x80, v2
	v_mov_b64_e32 v[2:3], 0x80000000
	scratch_store_b64 off, v[2:3], s32 offset:620 ; 8-byte Folded Spill
	s_wait_xcnt 0x0
	s_and_saveexec_b32 s9, s1
	s_cbranch_execz .LBB230_417
; %bb.412:                              ;   in Loop: Header=BB230_10 Depth=1
	v_mov_b64_e32 v[4:5], 0x7f800001
	v_bfe_u32 v3, v0, 16, 7
	s_mov_b32 s11, exec_lo
	scratch_store_b64 off, v[4:5], s32 offset:620 ; 8-byte Folded Spill
	s_wait_xcnt 0x0
	v_cmpx_ne_u32_e32 0x7f, v3
	s_cbranch_execz .LBB230_416
; %bb.413:                              ;   in Loop: Header=BB230_10 Depth=1
	scratch_load_b64 v[6:7], off, s32 offset:192 th:TH_LOAD_LU ; 8-byte Folded Reload
	s_wait_loadcnt 0x0
	v_dual_lshrrev_b32 v2, 3, v3 :: v_dual_bitop2_b32 v6, 7, v1 bitop3:0x40
	s_mov_b32 s16, exec_lo
	s_wait_xcnt 0x0
	v_cmpx_gt_u32_e32 8, v3
; %bb.414:                              ;   in Loop: Header=BB230_10 Depth=1
	s_delay_alu instid0(VALU_DEP_2) | instskip(NEXT) | instid1(VALU_DEP_1)
	v_clz_i32_u32_e32 v2, v6
	v_min_u32_e32 v2, 32, v2
	s_delay_alu instid0(VALU_DEP_1) | instskip(NEXT) | instid1(VALU_DEP_1)
	v_subrev_nc_u32_e32 v3, 28, v2
	v_lshlrev_b64_e32 v[4:5], v3, v[6:7]
	s_delay_alu instid0(VALU_DEP_1)
	v_dual_sub_nc_u32 v2, 29, v2 :: v_dual_bitop2_b32 v6, 7, v4 bitop3:0x40
; %bb.415:                              ;   in Loop: Header=BB230_10 Depth=1
	s_or_b32 exec_lo, exec_lo, s16
	s_delay_alu instid0(VALU_DEP_1) | instskip(NEXT) | instid1(VALU_DEP_2)
	v_dual_lshlrev_b32 v1, 24, v1 :: v_dual_lshlrev_b32 v3, 20, v6
	v_lshl_add_u32 v2, v2, 23, 0x3c000000
	s_delay_alu instid0(VALU_DEP_2) | instskip(NEXT) | instid1(VALU_DEP_1)
	v_and_b32_e32 v1, 0x80000000, v1
	v_or3_b32 v6, v3, v1, v2
	v_mov_b32_e32 v1, v7
	s_clause 0x1
	scratch_store_b64 off, v[0:1], s32 offset:192
	scratch_store_b64 off, v[6:7], s32 offset:620
.LBB230_416:                            ;   in Loop: Header=BB230_10 Depth=1
	s_wait_xcnt 0x0
	s_or_b32 exec_lo, exec_lo, s11
.LBB230_417:                            ;   in Loop: Header=BB230_10 Depth=1
	s_delay_alu instid0(SALU_CYCLE_1)
	s_or_b32 exec_lo, exec_lo, s9
.LBB230_418:                            ;   in Loop: Header=BB230_10 Depth=1
	s_delay_alu instid0(SALU_CYCLE_1) | instskip(NEXT) | instid1(SALU_CYCLE_1)
	s_or_b32 exec_lo, exec_lo, s8
	s_mov_b32 s8, exec_lo
	v_cmpx_lt_u32_e32 0xffffff, v0
	s_cbranch_execz .LBB230_426
; %bb.419:                              ;   in Loop: Header=BB230_10 Depth=1
	v_mov_b64_e32 v[2:3], 0x8000000000000000
	v_lshrrev_b32_e32 v1, 24, v0
	s_mov_b32 s9, exec_lo
	scratch_store_b64 off, v[2:3], s32 offset:612 ; 8-byte Folded Spill
	s_wait_xcnt 0x0
	v_cmpx_ne_u32_e32 0x80, v1
	s_cbranch_execz .LBB230_425
; %bb.420:                              ;   in Loop: Header=BB230_10 Depth=1
	v_mov_b64_e32 v[4:5], 0x7f80000100000000
	v_bfe_u32 v2, v0, 24, 7
	s_mov_b32 s11, exec_lo
	scratch_store_b64 off, v[4:5], s32 offset:612 ; 8-byte Folded Spill
	s_wait_xcnt 0x0
	v_cmpx_ne_u32_e32 0x7f, v2
	s_cbranch_execz .LBB230_424
; %bb.421:                              ;   in Loop: Header=BB230_10 Depth=1
	scratch_load_b64 v[4:5], off, s32 offset:192 th:TH_LOAD_LU ; 8-byte Folded Reload
	s_wait_loadcnt 0x0
	v_dual_lshrrev_b32 v0, 3, v2 :: v_dual_bitop2_b32 v4, 7, v1 bitop3:0x40
	s_mov_b32 s16, exec_lo
	s_wait_xcnt 0x0
	v_cmpx_gt_u32_e32 8, v2
; %bb.422:                              ;   in Loop: Header=BB230_10 Depth=1
	s_delay_alu instid0(VALU_DEP_2) | instskip(NEXT) | instid1(VALU_DEP_1)
	v_clz_i32_u32_e32 v0, v4
	v_min_u32_e32 v0, 32, v0
	s_delay_alu instid0(VALU_DEP_1) | instskip(NEXT) | instid1(VALU_DEP_1)
	v_subrev_nc_u32_e32 v2, 28, v0
	v_lshlrev_b64_e32 v[2:3], v2, v[4:5]
	s_delay_alu instid0(VALU_DEP_1)
	v_dual_sub_nc_u32 v0, 29, v0 :: v_dual_bitop2_b32 v4, 7, v2 bitop3:0x40
; %bb.423:                              ;   in Loop: Header=BB230_10 Depth=1
	s_or_b32 exec_lo, exec_lo, s16
	s_delay_alu instid0(VALU_DEP_1) | instskip(NEXT) | instid1(VALU_DEP_2)
	v_dual_lshlrev_b32 v1, 24, v1 :: v_dual_lshlrev_b32 v2, 20, v4
	v_lshl_add_u32 v0, v0, 23, 0x3c000000
	s_delay_alu instid0(VALU_DEP_2) | instskip(NEXT) | instid1(VALU_DEP_1)
	v_and_b32_e32 v1, 0x80000000, v1
	v_or3_b32 v3, v2, v1, v0
	v_dual_mov_b32 v1, v5 :: v_dual_mov_b32 v2, v5
	s_clause 0x1
	scratch_store_b64 off, v[0:1], s32 offset:192
	scratch_store_b64 off, v[2:3], s32 offset:612
.LBB230_424:                            ;   in Loop: Header=BB230_10 Depth=1
	s_wait_xcnt 0x0
	s_or_b32 exec_lo, exec_lo, s11
.LBB230_425:                            ;   in Loop: Header=BB230_10 Depth=1
	s_delay_alu instid0(SALU_CYCLE_1)
	s_or_b32 exec_lo, exec_lo, s9
.LBB230_426:                            ;   in Loop: Header=BB230_10 Depth=1
	s_delay_alu instid0(SALU_CYCLE_1)
	s_or_b32 exec_lo, exec_lo, s8
	flat_load_b32 v0, v[92:93] offset:1540
	v_mov_b64_e32 v[2:3], 0
	s_mov_b32 s8, exec_lo
	scratch_store_b64 off, v[2:3], s32 offset:628 ; 8-byte Folded Spill
	s_wait_xcnt 0x0
	v_mov_b64_e32 v[2:3], 0
	scratch_store_b64 off, v[2:3], s32 offset:636 ; 8-byte Folded Spill
	s_wait_loadcnt_dscnt 0x0
	v_and_b32_e32 v1, 0xff, v0
	s_wait_xcnt 0x0
	s_delay_alu instid0(VALU_DEP_1)
	v_cmpx_ne_u16_e32 0, v1
	s_cbranch_execz .LBB230_434
; %bb.427:                              ;   in Loop: Header=BB230_10 Depth=1
	v_mov_b64_e32 v[2:3], 0x80000000
	s_mov_b32 s9, exec_lo
	scratch_store_b64 off, v[2:3], s32 offset:636 ; 8-byte Folded Spill
	s_wait_xcnt 0x0
	v_cmpx_ne_u16_e32 0x80, v1
	s_cbranch_execz .LBB230_433
; %bb.428:                              ;   in Loop: Header=BB230_10 Depth=1
	v_mov_b64_e32 v[4:5], 0x7f800001
	v_and_b32_e32 v2, 0x7f, v0
	s_mov_b32 s11, exec_lo
	scratch_store_b64 off, v[4:5], s32 offset:636 ; 8-byte Folded Spill
	s_wait_xcnt 0x0
	v_cmpx_ne_u32_e32 0x7f, v2
	s_cbranch_execz .LBB230_432
; %bb.429:                              ;   in Loop: Header=BB230_10 Depth=1
	scratch_load_b64 v[4:5], off, s32 offset:192 th:TH_LOAD_LU ; 8-byte Folded Reload
	s_wait_loadcnt 0x0
	v_dual_lshrrev_b32 v1, 3, v2 :: v_dual_bitop2_b32 v4, 7, v0 bitop3:0x40
	s_mov_b32 s16, exec_lo
	s_wait_xcnt 0x0
	v_cmpx_gt_u32_e32 8, v2
; %bb.430:                              ;   in Loop: Header=BB230_10 Depth=1
	s_delay_alu instid0(VALU_DEP_2) | instskip(NEXT) | instid1(VALU_DEP_1)
	v_clz_i32_u32_e32 v1, v4
	v_min_u32_e32 v1, 32, v1
	s_delay_alu instid0(VALU_DEP_1) | instskip(NEXT) | instid1(VALU_DEP_1)
	v_subrev_nc_u32_e32 v2, 28, v1
	v_lshlrev_b64_e32 v[2:3], v2, v[4:5]
	s_delay_alu instid0(VALU_DEP_1)
	v_dual_sub_nc_u32 v1, 29, v1 :: v_dual_bitop2_b32 v4, 7, v2 bitop3:0x40
; %bb.431:                              ;   in Loop: Header=BB230_10 Depth=1
	s_or_b32 exec_lo, exec_lo, s16
	v_lshlrev_b32_e32 v2, 24, v0
	s_delay_alu instid0(VALU_DEP_2) | instskip(NEXT) | instid1(VALU_DEP_3)
	v_lshlrev_b32_e32 v3, 20, v4
	v_lshl_add_u32 v1, v1, 23, 0x3c000000
	s_delay_alu instid0(VALU_DEP_3) | instskip(NEXT) | instid1(VALU_DEP_1)
	v_and_b32_e32 v2, 0x80000000, v2
	v_or3_b32 v4, v3, v2, v1
	v_mov_b32_e32 v1, v5
	s_clause 0x1
	scratch_store_b64 off, v[0:1], s32 offset:192
	scratch_store_b64 off, v[4:5], s32 offset:636
.LBB230_432:                            ;   in Loop: Header=BB230_10 Depth=1
	s_wait_xcnt 0x0
	s_or_b32 exec_lo, exec_lo, s11
.LBB230_433:                            ;   in Loop: Header=BB230_10 Depth=1
	s_delay_alu instid0(SALU_CYCLE_1)
	s_or_b32 exec_lo, exec_lo, s9
.LBB230_434:                            ;   in Loop: Header=BB230_10 Depth=1
	s_delay_alu instid0(SALU_CYCLE_1) | instskip(SKIP_2) | instid1(VALU_DEP_1)
	s_or_b32 exec_lo, exec_lo, s8
	v_lshrrev_b16 v1, 8, v0
	s_mov_b32 s8, exec_lo
	v_cmpx_ne_u16_e32 0, v1
	s_cbranch_execz .LBB230_442
; %bb.435:                              ;   in Loop: Header=BB230_10 Depth=1
	v_mov_b64_e32 v[2:3], 0x8000000000000000
	s_mov_b32 s9, exec_lo
	scratch_store_b64 off, v[2:3], s32 offset:628 ; 8-byte Folded Spill
	s_wait_xcnt 0x0
	v_cmpx_ne_u16_e32 0x80, v1
	s_cbranch_execz .LBB230_441
; %bb.436:                              ;   in Loop: Header=BB230_10 Depth=1
	v_and_b32_e32 v1, 0xffff, v1
	v_mov_b64_e32 v[4:5], 0x7f80000100000000
	s_mov_b32 s11, exec_lo
	s_delay_alu instid0(VALU_DEP_2)
	v_and_b32_e32 v2, 0x7f, v1
	scratch_store_b64 off, v[4:5], s32 offset:628 ; 8-byte Folded Spill
	s_wait_xcnt 0x0
	v_cmpx_ne_u32_e32 0x7f, v2
	s_cbranch_execz .LBB230_440
; %bb.437:                              ;   in Loop: Header=BB230_10 Depth=1
	scratch_load_b64 v[4:5], off, s32 offset:192 th:TH_LOAD_LU ; 8-byte Folded Reload
	s_wait_loadcnt 0x0
	v_dual_lshrrev_b32 v1, 3, v2 :: v_dual_bitop2_b32 v4, 7, v1 bitop3:0x40
	s_mov_b32 s16, exec_lo
	s_wait_xcnt 0x0
	v_cmpx_gt_u32_e32 8, v2
; %bb.438:                              ;   in Loop: Header=BB230_10 Depth=1
	s_delay_alu instid0(VALU_DEP_2) | instskip(NEXT) | instid1(VALU_DEP_1)
	v_clz_i32_u32_e32 v1, v4
	v_min_u32_e32 v1, 32, v1
	s_delay_alu instid0(VALU_DEP_1) | instskip(NEXT) | instid1(VALU_DEP_1)
	v_subrev_nc_u32_e32 v2, 28, v1
	v_lshlrev_b64_e32 v[2:3], v2, v[4:5]
	s_delay_alu instid0(VALU_DEP_1)
	v_dual_sub_nc_u32 v1, 29, v1 :: v_dual_bitop2_b32 v4, 7, v2 bitop3:0x40
; %bb.439:                              ;   in Loop: Header=BB230_10 Depth=1
	s_or_b32 exec_lo, exec_lo, s16
	v_lshlrev_b32_e32 v2, 16, v0
	s_delay_alu instid0(VALU_DEP_2) | instskip(NEXT) | instid1(VALU_DEP_3)
	v_lshlrev_b32_e32 v3, 20, v4
	v_lshl_add_u32 v1, v1, 23, 0x3c000000
	s_delay_alu instid0(VALU_DEP_3) | instskip(NEXT) | instid1(VALU_DEP_1)
	v_and_b32_e32 v2, 0x80000000, v2
	v_or3_b32 v3, v3, v2, v1
	v_dual_mov_b32 v1, v5 :: v_dual_mov_b32 v2, v5
	s_clause 0x1
	scratch_store_b64 off, v[0:1], s32 offset:192
	scratch_store_b64 off, v[2:3], s32 offset:628
.LBB230_440:                            ;   in Loop: Header=BB230_10 Depth=1
	s_wait_xcnt 0x0
	s_or_b32 exec_lo, exec_lo, s11
.LBB230_441:                            ;   in Loop: Header=BB230_10 Depth=1
	s_delay_alu instid0(SALU_CYCLE_1)
	s_or_b32 exec_lo, exec_lo, s9
.LBB230_442:                            ;   in Loop: Header=BB230_10 Depth=1
	s_delay_alu instid0(SALU_CYCLE_1) | instskip(SKIP_3) | instid1(VALU_DEP_1)
	s_or_b32 exec_lo, exec_lo, s8
	v_mov_b64_e32 v[4:5], 0
	v_lshrrev_b32_e32 v1, 16, v0
	s_mov_b32 s8, exec_lo
	v_and_b32_e32 v2, 0xff, v1
	scratch_store_b64 off, v[4:5], s32 offset:644 ; 8-byte Folded Spill
	s_wait_xcnt 0x0
	v_mov_b64_e32 v[4:5], 0
	scratch_store_b64 off, v[4:5], s32 offset:652 ; 8-byte Folded Spill
	s_wait_xcnt 0x0
	v_cmpx_ne_u16_e32 0, v2
	s_cbranch_execz .LBB230_450
; %bb.443:                              ;   in Loop: Header=BB230_10 Depth=1
	v_cmp_ne_u16_e64 s1, 0x80, v2
	v_mov_b64_e32 v[2:3], 0x80000000
	scratch_store_b64 off, v[2:3], s32 offset:652 ; 8-byte Folded Spill
	s_wait_xcnt 0x0
	s_and_saveexec_b32 s9, s1
	s_cbranch_execz .LBB230_449
; %bb.444:                              ;   in Loop: Header=BB230_10 Depth=1
	v_mov_b64_e32 v[4:5], 0x7f800001
	v_bfe_u32 v3, v0, 16, 7
	s_mov_b32 s11, exec_lo
	scratch_store_b64 off, v[4:5], s32 offset:652 ; 8-byte Folded Spill
	s_wait_xcnt 0x0
	v_cmpx_ne_u32_e32 0x7f, v3
	s_cbranch_execz .LBB230_448
; %bb.445:                              ;   in Loop: Header=BB230_10 Depth=1
	scratch_load_b64 v[6:7], off, s32 offset:192 th:TH_LOAD_LU ; 8-byte Folded Reload
	s_wait_loadcnt 0x0
	v_dual_lshrrev_b32 v2, 3, v3 :: v_dual_bitop2_b32 v6, 7, v1 bitop3:0x40
	s_mov_b32 s16, exec_lo
	s_wait_xcnt 0x0
	v_cmpx_gt_u32_e32 8, v3
; %bb.446:                              ;   in Loop: Header=BB230_10 Depth=1
	s_delay_alu instid0(VALU_DEP_2) | instskip(NEXT) | instid1(VALU_DEP_1)
	v_clz_i32_u32_e32 v2, v6
	v_min_u32_e32 v2, 32, v2
	s_delay_alu instid0(VALU_DEP_1) | instskip(NEXT) | instid1(VALU_DEP_1)
	v_subrev_nc_u32_e32 v3, 28, v2
	v_lshlrev_b64_e32 v[4:5], v3, v[6:7]
	s_delay_alu instid0(VALU_DEP_1)
	v_dual_sub_nc_u32 v2, 29, v2 :: v_dual_bitop2_b32 v6, 7, v4 bitop3:0x40
; %bb.447:                              ;   in Loop: Header=BB230_10 Depth=1
	s_or_b32 exec_lo, exec_lo, s16
	s_delay_alu instid0(VALU_DEP_1) | instskip(NEXT) | instid1(VALU_DEP_2)
	v_dual_lshlrev_b32 v1, 24, v1 :: v_dual_lshlrev_b32 v3, 20, v6
	v_lshl_add_u32 v2, v2, 23, 0x3c000000
	s_delay_alu instid0(VALU_DEP_2) | instskip(NEXT) | instid1(VALU_DEP_1)
	v_and_b32_e32 v1, 0x80000000, v1
	v_or3_b32 v6, v3, v1, v2
	v_mov_b32_e32 v1, v7
	s_clause 0x1
	scratch_store_b64 off, v[0:1], s32 offset:192
	scratch_store_b64 off, v[6:7], s32 offset:652
.LBB230_448:                            ;   in Loop: Header=BB230_10 Depth=1
	s_wait_xcnt 0x0
	s_or_b32 exec_lo, exec_lo, s11
.LBB230_449:                            ;   in Loop: Header=BB230_10 Depth=1
	s_delay_alu instid0(SALU_CYCLE_1)
	s_or_b32 exec_lo, exec_lo, s9
.LBB230_450:                            ;   in Loop: Header=BB230_10 Depth=1
	s_delay_alu instid0(SALU_CYCLE_1) | instskip(NEXT) | instid1(SALU_CYCLE_1)
	s_or_b32 exec_lo, exec_lo, s8
	s_mov_b32 s8, exec_lo
	v_cmpx_lt_u32_e32 0xffffff, v0
	s_cbranch_execz .LBB230_458
; %bb.451:                              ;   in Loop: Header=BB230_10 Depth=1
	v_mov_b64_e32 v[2:3], 0x8000000000000000
	v_lshrrev_b32_e32 v1, 24, v0
	s_mov_b32 s9, exec_lo
	scratch_store_b64 off, v[2:3], s32 offset:644 ; 8-byte Folded Spill
	s_wait_xcnt 0x0
	v_cmpx_ne_u32_e32 0x80, v1
	s_cbranch_execz .LBB230_457
; %bb.452:                              ;   in Loop: Header=BB230_10 Depth=1
	v_mov_b64_e32 v[4:5], 0x7f80000100000000
	v_bfe_u32 v2, v0, 24, 7
	s_mov_b32 s11, exec_lo
	scratch_store_b64 off, v[4:5], s32 offset:644 ; 8-byte Folded Spill
	s_wait_xcnt 0x0
	v_cmpx_ne_u32_e32 0x7f, v2
	s_cbranch_execz .LBB230_456
; %bb.453:                              ;   in Loop: Header=BB230_10 Depth=1
	scratch_load_b64 v[4:5], off, s32 offset:192 th:TH_LOAD_LU ; 8-byte Folded Reload
	s_wait_loadcnt 0x0
	v_dual_lshrrev_b32 v0, 3, v2 :: v_dual_bitop2_b32 v4, 7, v1 bitop3:0x40
	s_mov_b32 s16, exec_lo
	s_wait_xcnt 0x0
	v_cmpx_gt_u32_e32 8, v2
; %bb.454:                              ;   in Loop: Header=BB230_10 Depth=1
	s_delay_alu instid0(VALU_DEP_2) | instskip(NEXT) | instid1(VALU_DEP_1)
	v_clz_i32_u32_e32 v0, v4
	v_min_u32_e32 v0, 32, v0
	s_delay_alu instid0(VALU_DEP_1) | instskip(NEXT) | instid1(VALU_DEP_1)
	v_subrev_nc_u32_e32 v2, 28, v0
	v_lshlrev_b64_e32 v[2:3], v2, v[4:5]
	s_delay_alu instid0(VALU_DEP_1)
	v_dual_sub_nc_u32 v0, 29, v0 :: v_dual_bitop2_b32 v4, 7, v2 bitop3:0x40
; %bb.455:                              ;   in Loop: Header=BB230_10 Depth=1
	s_or_b32 exec_lo, exec_lo, s16
	s_delay_alu instid0(VALU_DEP_1) | instskip(NEXT) | instid1(VALU_DEP_2)
	v_dual_lshlrev_b32 v1, 24, v1 :: v_dual_lshlrev_b32 v2, 20, v4
	v_lshl_add_u32 v0, v0, 23, 0x3c000000
	s_delay_alu instid0(VALU_DEP_2) | instskip(NEXT) | instid1(VALU_DEP_1)
	v_and_b32_e32 v1, 0x80000000, v1
	v_or3_b32 v3, v2, v1, v0
	v_dual_mov_b32 v1, v5 :: v_dual_mov_b32 v2, v5
	s_clause 0x1
	scratch_store_b64 off, v[0:1], s32 offset:192
	scratch_store_b64 off, v[2:3], s32 offset:644
.LBB230_456:                            ;   in Loop: Header=BB230_10 Depth=1
	s_wait_xcnt 0x0
	s_or_b32 exec_lo, exec_lo, s11
.LBB230_457:                            ;   in Loop: Header=BB230_10 Depth=1
	s_delay_alu instid0(SALU_CYCLE_1)
	s_or_b32 exec_lo, exec_lo, s9
.LBB230_458:                            ;   in Loop: Header=BB230_10 Depth=1
	s_delay_alu instid0(SALU_CYCLE_1)
	s_or_b32 exec_lo, exec_lo, s8
	flat_load_b32 v0, v[92:93] offset:1544
	v_mov_b64_e32 v[2:3], 0
	s_mov_b32 s8, exec_lo
	scratch_store_b64 off, v[2:3], s32 offset:684 ; 8-byte Folded Spill
	s_wait_xcnt 0x0
	v_mov_b64_e32 v[2:3], 0
	scratch_store_b64 off, v[2:3], s32 offset:660 ; 8-byte Folded Spill
	s_wait_loadcnt_dscnt 0x0
	v_and_b32_e32 v1, 0xff, v0
	s_wait_xcnt 0x0
	s_delay_alu instid0(VALU_DEP_1)
	v_cmpx_ne_u16_e32 0, v1
	s_cbranch_execz .LBB230_466
; %bb.459:                              ;   in Loop: Header=BB230_10 Depth=1
	v_mov_b64_e32 v[2:3], 0x80000000
	s_mov_b32 s9, exec_lo
	scratch_store_b64 off, v[2:3], s32 offset:660 ; 8-byte Folded Spill
	s_wait_xcnt 0x0
	v_cmpx_ne_u16_e32 0x80, v1
	s_cbranch_execz .LBB230_465
; %bb.460:                              ;   in Loop: Header=BB230_10 Depth=1
	v_mov_b64_e32 v[4:5], 0x7f800001
	v_and_b32_e32 v2, 0x7f, v0
	s_mov_b32 s11, exec_lo
	scratch_store_b64 off, v[4:5], s32 offset:660 ; 8-byte Folded Spill
	s_wait_xcnt 0x0
	v_cmpx_ne_u32_e32 0x7f, v2
	s_cbranch_execz .LBB230_464
; %bb.461:                              ;   in Loop: Header=BB230_10 Depth=1
	scratch_load_b64 v[4:5], off, s32 offset:192 th:TH_LOAD_LU ; 8-byte Folded Reload
	s_wait_loadcnt 0x0
	v_dual_lshrrev_b32 v1, 3, v2 :: v_dual_bitop2_b32 v4, 7, v0 bitop3:0x40
	s_mov_b32 s16, exec_lo
	s_wait_xcnt 0x0
	v_cmpx_gt_u32_e32 8, v2
; %bb.462:                              ;   in Loop: Header=BB230_10 Depth=1
	s_delay_alu instid0(VALU_DEP_2) | instskip(NEXT) | instid1(VALU_DEP_1)
	v_clz_i32_u32_e32 v1, v4
	v_min_u32_e32 v1, 32, v1
	s_delay_alu instid0(VALU_DEP_1) | instskip(NEXT) | instid1(VALU_DEP_1)
	v_subrev_nc_u32_e32 v2, 28, v1
	v_lshlrev_b64_e32 v[2:3], v2, v[4:5]
	s_delay_alu instid0(VALU_DEP_1)
	v_dual_sub_nc_u32 v1, 29, v1 :: v_dual_bitop2_b32 v4, 7, v2 bitop3:0x40
; %bb.463:                              ;   in Loop: Header=BB230_10 Depth=1
	s_or_b32 exec_lo, exec_lo, s16
	v_lshlrev_b32_e32 v2, 24, v0
	s_delay_alu instid0(VALU_DEP_2) | instskip(NEXT) | instid1(VALU_DEP_3)
	v_lshlrev_b32_e32 v3, 20, v4
	v_lshl_add_u32 v1, v1, 23, 0x3c000000
	s_delay_alu instid0(VALU_DEP_3) | instskip(NEXT) | instid1(VALU_DEP_1)
	v_and_b32_e32 v2, 0x80000000, v2
	v_or3_b32 v4, v3, v2, v1
	v_mov_b32_e32 v1, v5
	s_clause 0x1
	scratch_store_b64 off, v[0:1], s32 offset:192
	scratch_store_b64 off, v[4:5], s32 offset:660
.LBB230_464:                            ;   in Loop: Header=BB230_10 Depth=1
	s_wait_xcnt 0x0
	s_or_b32 exec_lo, exec_lo, s11
.LBB230_465:                            ;   in Loop: Header=BB230_10 Depth=1
	s_delay_alu instid0(SALU_CYCLE_1)
	s_or_b32 exec_lo, exec_lo, s9
.LBB230_466:                            ;   in Loop: Header=BB230_10 Depth=1
	s_delay_alu instid0(SALU_CYCLE_1) | instskip(SKIP_2) | instid1(VALU_DEP_1)
	s_or_b32 exec_lo, exec_lo, s8
	v_lshrrev_b16 v1, 8, v0
	s_mov_b32 s8, exec_lo
	v_cmpx_ne_u16_e32 0, v1
	s_cbranch_execz .LBB230_474
; %bb.467:                              ;   in Loop: Header=BB230_10 Depth=1
	v_mov_b64_e32 v[2:3], 0x8000000000000000
	s_mov_b32 s9, exec_lo
	scratch_store_b64 off, v[2:3], s32 offset:684 ; 8-byte Folded Spill
	s_wait_xcnt 0x0
	v_cmpx_ne_u16_e32 0x80, v1
	s_cbranch_execz .LBB230_473
; %bb.468:                              ;   in Loop: Header=BB230_10 Depth=1
	v_and_b32_e32 v1, 0xffff, v1
	v_mov_b64_e32 v[4:5], 0x7f80000100000000
	s_mov_b32 s11, exec_lo
	s_delay_alu instid0(VALU_DEP_2)
	v_and_b32_e32 v2, 0x7f, v1
	scratch_store_b64 off, v[4:5], s32 offset:684 ; 8-byte Folded Spill
	s_wait_xcnt 0x0
	v_cmpx_ne_u32_e32 0x7f, v2
	s_cbranch_execz .LBB230_472
; %bb.469:                              ;   in Loop: Header=BB230_10 Depth=1
	scratch_load_b64 v[4:5], off, s32 offset:192 th:TH_LOAD_LU ; 8-byte Folded Reload
	s_wait_loadcnt 0x0
	v_dual_lshrrev_b32 v1, 3, v2 :: v_dual_bitop2_b32 v4, 7, v1 bitop3:0x40
	s_mov_b32 s16, exec_lo
	s_wait_xcnt 0x0
	v_cmpx_gt_u32_e32 8, v2
; %bb.470:                              ;   in Loop: Header=BB230_10 Depth=1
	s_delay_alu instid0(VALU_DEP_2) | instskip(NEXT) | instid1(VALU_DEP_1)
	v_clz_i32_u32_e32 v1, v4
	v_min_u32_e32 v1, 32, v1
	s_delay_alu instid0(VALU_DEP_1) | instskip(NEXT) | instid1(VALU_DEP_1)
	v_subrev_nc_u32_e32 v2, 28, v1
	v_lshlrev_b64_e32 v[2:3], v2, v[4:5]
	s_delay_alu instid0(VALU_DEP_1)
	v_dual_sub_nc_u32 v1, 29, v1 :: v_dual_bitop2_b32 v4, 7, v2 bitop3:0x40
; %bb.471:                              ;   in Loop: Header=BB230_10 Depth=1
	s_or_b32 exec_lo, exec_lo, s16
	v_lshlrev_b32_e32 v2, 16, v0
	s_delay_alu instid0(VALU_DEP_2) | instskip(NEXT) | instid1(VALU_DEP_3)
	v_lshlrev_b32_e32 v3, 20, v4
	v_lshl_add_u32 v1, v1, 23, 0x3c000000
	s_delay_alu instid0(VALU_DEP_3) | instskip(NEXT) | instid1(VALU_DEP_1)
	v_and_b32_e32 v2, 0x80000000, v2
	v_or3_b32 v3, v3, v2, v1
	v_dual_mov_b32 v1, v5 :: v_dual_mov_b32 v2, v5
	s_clause 0x1
	scratch_store_b64 off, v[0:1], s32 offset:192
	scratch_store_b64 off, v[2:3], s32 offset:684
.LBB230_472:                            ;   in Loop: Header=BB230_10 Depth=1
	s_wait_xcnt 0x0
	s_or_b32 exec_lo, exec_lo, s11
.LBB230_473:                            ;   in Loop: Header=BB230_10 Depth=1
	s_delay_alu instid0(SALU_CYCLE_1)
	s_or_b32 exec_lo, exec_lo, s9
.LBB230_474:                            ;   in Loop: Header=BB230_10 Depth=1
	s_delay_alu instid0(SALU_CYCLE_1) | instskip(SKIP_3) | instid1(VALU_DEP_1)
	s_or_b32 exec_lo, exec_lo, s8
	v_mov_b64_e32 v[4:5], 0
	v_lshrrev_b32_e32 v1, 16, v0
	s_mov_b32 s8, exec_lo
	v_and_b32_e32 v2, 0xff, v1
	scratch_store_b64 off, v[4:5], s32 offset:668 ; 8-byte Folded Spill
	s_wait_xcnt 0x0
	v_mov_b64_e32 v[4:5], 0
	scratch_store_b64 off, v[4:5], s32 offset:676 ; 8-byte Folded Spill
	s_wait_xcnt 0x0
	v_cmpx_ne_u16_e32 0, v2
	s_cbranch_execz .LBB230_482
; %bb.475:                              ;   in Loop: Header=BB230_10 Depth=1
	v_cmp_ne_u16_e64 s1, 0x80, v2
	v_mov_b64_e32 v[2:3], 0x80000000
	scratch_store_b64 off, v[2:3], s32 offset:676 ; 8-byte Folded Spill
	s_wait_xcnt 0x0
	s_and_saveexec_b32 s9, s1
	s_cbranch_execz .LBB230_481
; %bb.476:                              ;   in Loop: Header=BB230_10 Depth=1
	v_mov_b64_e32 v[4:5], 0x7f800001
	v_bfe_u32 v3, v0, 16, 7
	s_mov_b32 s11, exec_lo
	scratch_store_b64 off, v[4:5], s32 offset:676 ; 8-byte Folded Spill
	s_wait_xcnt 0x0
	v_cmpx_ne_u32_e32 0x7f, v3
	s_cbranch_execz .LBB230_480
; %bb.477:                              ;   in Loop: Header=BB230_10 Depth=1
	scratch_load_b64 v[6:7], off, s32 offset:192 th:TH_LOAD_LU ; 8-byte Folded Reload
	s_wait_loadcnt 0x0
	v_dual_lshrrev_b32 v2, 3, v3 :: v_dual_bitop2_b32 v6, 7, v1 bitop3:0x40
	s_mov_b32 s16, exec_lo
	s_wait_xcnt 0x0
	v_cmpx_gt_u32_e32 8, v3
; %bb.478:                              ;   in Loop: Header=BB230_10 Depth=1
	s_delay_alu instid0(VALU_DEP_2) | instskip(NEXT) | instid1(VALU_DEP_1)
	v_clz_i32_u32_e32 v2, v6
	v_min_u32_e32 v2, 32, v2
	s_delay_alu instid0(VALU_DEP_1) | instskip(NEXT) | instid1(VALU_DEP_1)
	v_subrev_nc_u32_e32 v3, 28, v2
	v_lshlrev_b64_e32 v[4:5], v3, v[6:7]
	s_delay_alu instid0(VALU_DEP_1)
	v_dual_sub_nc_u32 v2, 29, v2 :: v_dual_bitop2_b32 v6, 7, v4 bitop3:0x40
; %bb.479:                              ;   in Loop: Header=BB230_10 Depth=1
	s_or_b32 exec_lo, exec_lo, s16
	s_delay_alu instid0(VALU_DEP_1) | instskip(NEXT) | instid1(VALU_DEP_2)
	v_dual_lshlrev_b32 v1, 24, v1 :: v_dual_lshlrev_b32 v3, 20, v6
	v_lshl_add_u32 v2, v2, 23, 0x3c000000
	s_delay_alu instid0(VALU_DEP_2) | instskip(NEXT) | instid1(VALU_DEP_1)
	v_and_b32_e32 v1, 0x80000000, v1
	v_or3_b32 v6, v3, v1, v2
	v_mov_b32_e32 v1, v7
	s_clause 0x1
	scratch_store_b64 off, v[0:1], s32 offset:192
	scratch_store_b64 off, v[6:7], s32 offset:676
.LBB230_480:                            ;   in Loop: Header=BB230_10 Depth=1
	s_wait_xcnt 0x0
	s_or_b32 exec_lo, exec_lo, s11
.LBB230_481:                            ;   in Loop: Header=BB230_10 Depth=1
	s_delay_alu instid0(SALU_CYCLE_1)
	s_or_b32 exec_lo, exec_lo, s9
.LBB230_482:                            ;   in Loop: Header=BB230_10 Depth=1
	s_delay_alu instid0(SALU_CYCLE_1) | instskip(NEXT) | instid1(SALU_CYCLE_1)
	s_or_b32 exec_lo, exec_lo, s8
	s_mov_b32 s8, exec_lo
	v_cmpx_lt_u32_e32 0xffffff, v0
	s_cbranch_execz .LBB230_490
; %bb.483:                              ;   in Loop: Header=BB230_10 Depth=1
	v_mov_b64_e32 v[2:3], 0x8000000000000000
	v_lshrrev_b32_e32 v1, 24, v0
	s_mov_b32 s9, exec_lo
	scratch_store_b64 off, v[2:3], s32 offset:668 ; 8-byte Folded Spill
	s_wait_xcnt 0x0
	v_cmpx_ne_u32_e32 0x80, v1
	s_cbranch_execz .LBB230_489
; %bb.484:                              ;   in Loop: Header=BB230_10 Depth=1
	v_mov_b64_e32 v[4:5], 0x7f80000100000000
	v_bfe_u32 v2, v0, 24, 7
	s_mov_b32 s11, exec_lo
	scratch_store_b64 off, v[4:5], s32 offset:668 ; 8-byte Folded Spill
	s_wait_xcnt 0x0
	v_cmpx_ne_u32_e32 0x7f, v2
	s_cbranch_execz .LBB230_488
; %bb.485:                              ;   in Loop: Header=BB230_10 Depth=1
	scratch_load_b64 v[4:5], off, s32 offset:192 th:TH_LOAD_LU ; 8-byte Folded Reload
	s_wait_loadcnt 0x0
	v_dual_lshrrev_b32 v0, 3, v2 :: v_dual_bitop2_b32 v4, 7, v1 bitop3:0x40
	s_mov_b32 s16, exec_lo
	s_wait_xcnt 0x0
	v_cmpx_gt_u32_e32 8, v2
; %bb.486:                              ;   in Loop: Header=BB230_10 Depth=1
	s_delay_alu instid0(VALU_DEP_2) | instskip(NEXT) | instid1(VALU_DEP_1)
	v_clz_i32_u32_e32 v0, v4
	v_min_u32_e32 v0, 32, v0
	s_delay_alu instid0(VALU_DEP_1) | instskip(NEXT) | instid1(VALU_DEP_1)
	v_subrev_nc_u32_e32 v2, 28, v0
	v_lshlrev_b64_e32 v[2:3], v2, v[4:5]
	s_delay_alu instid0(VALU_DEP_1)
	v_dual_sub_nc_u32 v0, 29, v0 :: v_dual_bitop2_b32 v4, 7, v2 bitop3:0x40
; %bb.487:                              ;   in Loop: Header=BB230_10 Depth=1
	s_or_b32 exec_lo, exec_lo, s16
	s_delay_alu instid0(VALU_DEP_1) | instskip(NEXT) | instid1(VALU_DEP_2)
	v_dual_lshlrev_b32 v1, 24, v1 :: v_dual_lshlrev_b32 v2, 20, v4
	v_lshl_add_u32 v0, v0, 23, 0x3c000000
	s_delay_alu instid0(VALU_DEP_2) | instskip(NEXT) | instid1(VALU_DEP_1)
	v_and_b32_e32 v1, 0x80000000, v1
	v_or3_b32 v3, v2, v1, v0
	v_dual_mov_b32 v1, v5 :: v_dual_mov_b32 v2, v5
	s_clause 0x1
	scratch_store_b64 off, v[0:1], s32 offset:192
	scratch_store_b64 off, v[2:3], s32 offset:668
.LBB230_488:                            ;   in Loop: Header=BB230_10 Depth=1
	s_wait_xcnt 0x0
	s_or_b32 exec_lo, exec_lo, s11
.LBB230_489:                            ;   in Loop: Header=BB230_10 Depth=1
	s_delay_alu instid0(SALU_CYCLE_1)
	s_or_b32 exec_lo, exec_lo, s9
.LBB230_490:                            ;   in Loop: Header=BB230_10 Depth=1
	s_delay_alu instid0(SALU_CYCLE_1)
	s_or_b32 exec_lo, exec_lo, s8
	flat_load_b32 v0, v[92:93] offset:1548
	v_mov_b64_e32 v[2:3], 0
	s_mov_b32 s8, exec_lo
	scratch_store_b64 off, v[2:3], s32 offset:716 ; 8-byte Folded Spill
	s_wait_xcnt 0x0
	v_mov_b64_e32 v[2:3], 0
	scratch_store_b64 off, v[2:3], s32 offset:692 ; 8-byte Folded Spill
	s_wait_loadcnt_dscnt 0x0
	v_and_b32_e32 v1, 0xff, v0
	s_wait_xcnt 0x0
	s_delay_alu instid0(VALU_DEP_1)
	v_cmpx_ne_u16_e32 0, v1
	s_cbranch_execz .LBB230_498
; %bb.491:                              ;   in Loop: Header=BB230_10 Depth=1
	v_mov_b64_e32 v[2:3], 0x80000000
	s_mov_b32 s9, exec_lo
	scratch_store_b64 off, v[2:3], s32 offset:692 ; 8-byte Folded Spill
	s_wait_xcnt 0x0
	v_cmpx_ne_u16_e32 0x80, v1
	s_cbranch_execz .LBB230_497
; %bb.492:                              ;   in Loop: Header=BB230_10 Depth=1
	v_mov_b64_e32 v[4:5], 0x7f800001
	v_and_b32_e32 v2, 0x7f, v0
	s_mov_b32 s11, exec_lo
	scratch_store_b64 off, v[4:5], s32 offset:692 ; 8-byte Folded Spill
	s_wait_xcnt 0x0
	v_cmpx_ne_u32_e32 0x7f, v2
	s_cbranch_execz .LBB230_496
; %bb.493:                              ;   in Loop: Header=BB230_10 Depth=1
	scratch_load_b64 v[4:5], off, s32 offset:192 th:TH_LOAD_LU ; 8-byte Folded Reload
	s_wait_loadcnt 0x0
	v_dual_lshrrev_b32 v1, 3, v2 :: v_dual_bitop2_b32 v4, 7, v0 bitop3:0x40
	s_mov_b32 s16, exec_lo
	s_wait_xcnt 0x0
	v_cmpx_gt_u32_e32 8, v2
; %bb.494:                              ;   in Loop: Header=BB230_10 Depth=1
	s_delay_alu instid0(VALU_DEP_2) | instskip(NEXT) | instid1(VALU_DEP_1)
	v_clz_i32_u32_e32 v1, v4
	v_min_u32_e32 v1, 32, v1
	s_delay_alu instid0(VALU_DEP_1) | instskip(NEXT) | instid1(VALU_DEP_1)
	v_subrev_nc_u32_e32 v2, 28, v1
	v_lshlrev_b64_e32 v[2:3], v2, v[4:5]
	s_delay_alu instid0(VALU_DEP_1)
	v_dual_sub_nc_u32 v1, 29, v1 :: v_dual_bitop2_b32 v4, 7, v2 bitop3:0x40
; %bb.495:                              ;   in Loop: Header=BB230_10 Depth=1
	s_or_b32 exec_lo, exec_lo, s16
	v_lshlrev_b32_e32 v2, 24, v0
	s_delay_alu instid0(VALU_DEP_2) | instskip(NEXT) | instid1(VALU_DEP_3)
	v_lshlrev_b32_e32 v3, 20, v4
	v_lshl_add_u32 v1, v1, 23, 0x3c000000
	s_delay_alu instid0(VALU_DEP_3) | instskip(NEXT) | instid1(VALU_DEP_1)
	v_and_b32_e32 v2, 0x80000000, v2
	v_or3_b32 v4, v3, v2, v1
	v_mov_b32_e32 v1, v5
	s_clause 0x1
	scratch_store_b64 off, v[0:1], s32 offset:192
	scratch_store_b64 off, v[4:5], s32 offset:692
.LBB230_496:                            ;   in Loop: Header=BB230_10 Depth=1
	s_wait_xcnt 0x0
	s_or_b32 exec_lo, exec_lo, s11
.LBB230_497:                            ;   in Loop: Header=BB230_10 Depth=1
	s_delay_alu instid0(SALU_CYCLE_1)
	s_or_b32 exec_lo, exec_lo, s9
.LBB230_498:                            ;   in Loop: Header=BB230_10 Depth=1
	s_delay_alu instid0(SALU_CYCLE_1) | instskip(SKIP_2) | instid1(VALU_DEP_1)
	s_or_b32 exec_lo, exec_lo, s8
	v_lshrrev_b16 v1, 8, v0
	s_mov_b32 s8, exec_lo
	v_cmpx_ne_u16_e32 0, v1
	s_cbranch_execz .LBB230_506
; %bb.499:                              ;   in Loop: Header=BB230_10 Depth=1
	v_mov_b64_e32 v[2:3], 0x8000000000000000
	s_mov_b32 s9, exec_lo
	scratch_store_b64 off, v[2:3], s32 offset:716 ; 8-byte Folded Spill
	s_wait_xcnt 0x0
	v_cmpx_ne_u16_e32 0x80, v1
	s_cbranch_execz .LBB230_505
; %bb.500:                              ;   in Loop: Header=BB230_10 Depth=1
	v_and_b32_e32 v1, 0xffff, v1
	v_mov_b64_e32 v[4:5], 0x7f80000100000000
	s_mov_b32 s11, exec_lo
	s_delay_alu instid0(VALU_DEP_2)
	v_and_b32_e32 v2, 0x7f, v1
	scratch_store_b64 off, v[4:5], s32 offset:716 ; 8-byte Folded Spill
	s_wait_xcnt 0x0
	v_cmpx_ne_u32_e32 0x7f, v2
	s_cbranch_execz .LBB230_504
; %bb.501:                              ;   in Loop: Header=BB230_10 Depth=1
	scratch_load_b64 v[4:5], off, s32 offset:192 th:TH_LOAD_LU ; 8-byte Folded Reload
	s_wait_loadcnt 0x0
	v_dual_lshrrev_b32 v1, 3, v2 :: v_dual_bitop2_b32 v4, 7, v1 bitop3:0x40
	s_mov_b32 s16, exec_lo
	s_wait_xcnt 0x0
	v_cmpx_gt_u32_e32 8, v2
; %bb.502:                              ;   in Loop: Header=BB230_10 Depth=1
	s_delay_alu instid0(VALU_DEP_2) | instskip(NEXT) | instid1(VALU_DEP_1)
	v_clz_i32_u32_e32 v1, v4
	v_min_u32_e32 v1, 32, v1
	s_delay_alu instid0(VALU_DEP_1) | instskip(NEXT) | instid1(VALU_DEP_1)
	v_subrev_nc_u32_e32 v2, 28, v1
	v_lshlrev_b64_e32 v[2:3], v2, v[4:5]
	s_delay_alu instid0(VALU_DEP_1)
	v_dual_sub_nc_u32 v1, 29, v1 :: v_dual_bitop2_b32 v4, 7, v2 bitop3:0x40
; %bb.503:                              ;   in Loop: Header=BB230_10 Depth=1
	s_or_b32 exec_lo, exec_lo, s16
	v_lshlrev_b32_e32 v2, 16, v0
	s_delay_alu instid0(VALU_DEP_2) | instskip(NEXT) | instid1(VALU_DEP_3)
	v_lshlrev_b32_e32 v3, 20, v4
	v_lshl_add_u32 v1, v1, 23, 0x3c000000
	s_delay_alu instid0(VALU_DEP_3) | instskip(NEXT) | instid1(VALU_DEP_1)
	v_and_b32_e32 v2, 0x80000000, v2
	v_or3_b32 v3, v3, v2, v1
	v_dual_mov_b32 v1, v5 :: v_dual_mov_b32 v2, v5
	s_clause 0x1
	scratch_store_b64 off, v[0:1], s32 offset:192
	scratch_store_b64 off, v[2:3], s32 offset:716
.LBB230_504:                            ;   in Loop: Header=BB230_10 Depth=1
	s_wait_xcnt 0x0
	s_or_b32 exec_lo, exec_lo, s11
.LBB230_505:                            ;   in Loop: Header=BB230_10 Depth=1
	s_delay_alu instid0(SALU_CYCLE_1)
	s_or_b32 exec_lo, exec_lo, s9
.LBB230_506:                            ;   in Loop: Header=BB230_10 Depth=1
	s_delay_alu instid0(SALU_CYCLE_1) | instskip(SKIP_3) | instid1(VALU_DEP_1)
	s_or_b32 exec_lo, exec_lo, s8
	v_mov_b64_e32 v[4:5], 0
	v_lshrrev_b32_e32 v1, 16, v0
	s_mov_b32 s8, exec_lo
	v_and_b32_e32 v2, 0xff, v1
	scratch_store_b64 off, v[4:5], s32 offset:700 ; 8-byte Folded Spill
	s_wait_xcnt 0x0
	v_mov_b64_e32 v[4:5], 0
	scratch_store_b64 off, v[4:5], s32 offset:708 ; 8-byte Folded Spill
	s_wait_xcnt 0x0
	v_cmpx_ne_u16_e32 0, v2
	s_cbranch_execz .LBB230_514
; %bb.507:                              ;   in Loop: Header=BB230_10 Depth=1
	v_cmp_ne_u16_e64 s1, 0x80, v2
	v_mov_b64_e32 v[2:3], 0x80000000
	scratch_store_b64 off, v[2:3], s32 offset:708 ; 8-byte Folded Spill
	s_wait_xcnt 0x0
	s_and_saveexec_b32 s9, s1
	s_cbranch_execz .LBB230_513
; %bb.508:                              ;   in Loop: Header=BB230_10 Depth=1
	v_mov_b64_e32 v[4:5], 0x7f800001
	v_bfe_u32 v3, v0, 16, 7
	s_mov_b32 s11, exec_lo
	scratch_store_b64 off, v[4:5], s32 offset:708 ; 8-byte Folded Spill
	s_wait_xcnt 0x0
	v_cmpx_ne_u32_e32 0x7f, v3
	s_cbranch_execz .LBB230_512
; %bb.509:                              ;   in Loop: Header=BB230_10 Depth=1
	scratch_load_b64 v[6:7], off, s32 offset:192 th:TH_LOAD_LU ; 8-byte Folded Reload
	s_wait_loadcnt 0x0
	v_dual_lshrrev_b32 v2, 3, v3 :: v_dual_bitop2_b32 v6, 7, v1 bitop3:0x40
	s_mov_b32 s16, exec_lo
	s_wait_xcnt 0x0
	v_cmpx_gt_u32_e32 8, v3
; %bb.510:                              ;   in Loop: Header=BB230_10 Depth=1
	s_delay_alu instid0(VALU_DEP_2) | instskip(NEXT) | instid1(VALU_DEP_1)
	v_clz_i32_u32_e32 v2, v6
	v_min_u32_e32 v2, 32, v2
	s_delay_alu instid0(VALU_DEP_1) | instskip(NEXT) | instid1(VALU_DEP_1)
	v_subrev_nc_u32_e32 v3, 28, v2
	v_lshlrev_b64_e32 v[4:5], v3, v[6:7]
	s_delay_alu instid0(VALU_DEP_1)
	v_dual_sub_nc_u32 v2, 29, v2 :: v_dual_bitop2_b32 v6, 7, v4 bitop3:0x40
; %bb.511:                              ;   in Loop: Header=BB230_10 Depth=1
	s_or_b32 exec_lo, exec_lo, s16
	s_delay_alu instid0(VALU_DEP_1) | instskip(NEXT) | instid1(VALU_DEP_2)
	v_dual_lshlrev_b32 v1, 24, v1 :: v_dual_lshlrev_b32 v3, 20, v6
	v_lshl_add_u32 v2, v2, 23, 0x3c000000
	s_delay_alu instid0(VALU_DEP_2) | instskip(NEXT) | instid1(VALU_DEP_1)
	v_and_b32_e32 v1, 0x80000000, v1
	v_or3_b32 v6, v3, v1, v2
	v_mov_b32_e32 v1, v7
	s_clause 0x1
	scratch_store_b64 off, v[0:1], s32 offset:192
	scratch_store_b64 off, v[6:7], s32 offset:708
.LBB230_512:                            ;   in Loop: Header=BB230_10 Depth=1
	s_wait_xcnt 0x0
	s_or_b32 exec_lo, exec_lo, s11
.LBB230_513:                            ;   in Loop: Header=BB230_10 Depth=1
	s_delay_alu instid0(SALU_CYCLE_1)
	s_or_b32 exec_lo, exec_lo, s9
.LBB230_514:                            ;   in Loop: Header=BB230_10 Depth=1
	s_delay_alu instid0(SALU_CYCLE_1) | instskip(NEXT) | instid1(SALU_CYCLE_1)
	s_or_b32 exec_lo, exec_lo, s8
	s_mov_b32 s8, exec_lo
	v_cmpx_lt_u32_e32 0xffffff, v0
	s_cbranch_execz .LBB230_522
; %bb.515:                              ;   in Loop: Header=BB230_10 Depth=1
	v_mov_b64_e32 v[2:3], 0x8000000000000000
	v_lshrrev_b32_e32 v1, 24, v0
	s_mov_b32 s9, exec_lo
	scratch_store_b64 off, v[2:3], s32 offset:700 ; 8-byte Folded Spill
	s_wait_xcnt 0x0
	v_cmpx_ne_u32_e32 0x80, v1
	s_cbranch_execz .LBB230_521
; %bb.516:                              ;   in Loop: Header=BB230_10 Depth=1
	v_mov_b64_e32 v[4:5], 0x7f80000100000000
	v_bfe_u32 v2, v0, 24, 7
	s_mov_b32 s11, exec_lo
	scratch_store_b64 off, v[4:5], s32 offset:700 ; 8-byte Folded Spill
	s_wait_xcnt 0x0
	v_cmpx_ne_u32_e32 0x7f, v2
	s_cbranch_execz .LBB230_520
; %bb.517:                              ;   in Loop: Header=BB230_10 Depth=1
	scratch_load_b64 v[4:5], off, s32 offset:192 th:TH_LOAD_LU ; 8-byte Folded Reload
	s_wait_loadcnt 0x0
	v_dual_lshrrev_b32 v0, 3, v2 :: v_dual_bitop2_b32 v4, 7, v1 bitop3:0x40
	s_mov_b32 s16, exec_lo
	s_wait_xcnt 0x0
	v_cmpx_gt_u32_e32 8, v2
; %bb.518:                              ;   in Loop: Header=BB230_10 Depth=1
	s_delay_alu instid0(VALU_DEP_2) | instskip(NEXT) | instid1(VALU_DEP_1)
	v_clz_i32_u32_e32 v0, v4
	v_min_u32_e32 v0, 32, v0
	s_delay_alu instid0(VALU_DEP_1) | instskip(NEXT) | instid1(VALU_DEP_1)
	v_subrev_nc_u32_e32 v2, 28, v0
	v_lshlrev_b64_e32 v[2:3], v2, v[4:5]
	s_delay_alu instid0(VALU_DEP_1)
	v_dual_sub_nc_u32 v0, 29, v0 :: v_dual_bitop2_b32 v4, 7, v2 bitop3:0x40
; %bb.519:                              ;   in Loop: Header=BB230_10 Depth=1
	s_or_b32 exec_lo, exec_lo, s16
	s_delay_alu instid0(VALU_DEP_1) | instskip(NEXT) | instid1(VALU_DEP_2)
	v_dual_lshlrev_b32 v1, 24, v1 :: v_dual_lshlrev_b32 v2, 20, v4
	v_lshl_add_u32 v0, v0, 23, 0x3c000000
	s_delay_alu instid0(VALU_DEP_2) | instskip(NEXT) | instid1(VALU_DEP_1)
	v_and_b32_e32 v1, 0x80000000, v1
	v_or3_b32 v3, v2, v1, v0
	v_dual_mov_b32 v1, v5 :: v_dual_mov_b32 v2, v5
	s_clause 0x1
	scratch_store_b64 off, v[0:1], s32 offset:192
	scratch_store_b64 off, v[2:3], s32 offset:700
.LBB230_520:                            ;   in Loop: Header=BB230_10 Depth=1
	s_wait_xcnt 0x0
	s_or_b32 exec_lo, exec_lo, s11
.LBB230_521:                            ;   in Loop: Header=BB230_10 Depth=1
	s_delay_alu instid0(SALU_CYCLE_1)
	s_or_b32 exec_lo, exec_lo, s9
.LBB230_522:                            ;   in Loop: Header=BB230_10 Depth=1
	s_delay_alu instid0(SALU_CYCLE_1)
	s_or_b32 exec_lo, exec_lo, s8
	flat_load_b32 v0, v[92:93] offset:2048
	v_mov_b64_e32 v[2:3], 0
	s_mov_b32 s8, exec_lo
	scratch_store_b64 off, v[2:3], s32 offset:748 ; 8-byte Folded Spill
	s_wait_xcnt 0x0
	v_mov_b64_e32 v[2:3], 0
	scratch_store_b64 off, v[2:3], s32 offset:724 ; 8-byte Folded Spill
	s_wait_loadcnt_dscnt 0x0
	v_and_b32_e32 v1, 0xff, v0
	s_wait_xcnt 0x0
	s_delay_alu instid0(VALU_DEP_1)
	v_cmpx_ne_u16_e32 0, v1
	s_cbranch_execz .LBB230_530
; %bb.523:                              ;   in Loop: Header=BB230_10 Depth=1
	v_mov_b64_e32 v[2:3], 0x80000000
	s_mov_b32 s9, exec_lo
	scratch_store_b64 off, v[2:3], s32 offset:724 ; 8-byte Folded Spill
	s_wait_xcnt 0x0
	v_cmpx_ne_u16_e32 0x80, v1
	s_cbranch_execz .LBB230_529
; %bb.524:                              ;   in Loop: Header=BB230_10 Depth=1
	v_mov_b64_e32 v[4:5], 0x7f800001
	v_and_b32_e32 v2, 0x7f, v0
	s_mov_b32 s11, exec_lo
	scratch_store_b64 off, v[4:5], s32 offset:724 ; 8-byte Folded Spill
	s_wait_xcnt 0x0
	v_cmpx_ne_u32_e32 0x7f, v2
	s_cbranch_execz .LBB230_528
; %bb.525:                              ;   in Loop: Header=BB230_10 Depth=1
	scratch_load_b64 v[4:5], off, s32 offset:192 th:TH_LOAD_LU ; 8-byte Folded Reload
	s_wait_loadcnt 0x0
	v_dual_lshrrev_b32 v1, 3, v2 :: v_dual_bitop2_b32 v4, 7, v0 bitop3:0x40
	s_mov_b32 s16, exec_lo
	s_wait_xcnt 0x0
	v_cmpx_gt_u32_e32 8, v2
; %bb.526:                              ;   in Loop: Header=BB230_10 Depth=1
	s_delay_alu instid0(VALU_DEP_2) | instskip(NEXT) | instid1(VALU_DEP_1)
	v_clz_i32_u32_e32 v1, v4
	v_min_u32_e32 v1, 32, v1
	s_delay_alu instid0(VALU_DEP_1) | instskip(NEXT) | instid1(VALU_DEP_1)
	v_subrev_nc_u32_e32 v2, 28, v1
	v_lshlrev_b64_e32 v[2:3], v2, v[4:5]
	s_delay_alu instid0(VALU_DEP_1)
	v_dual_sub_nc_u32 v1, 29, v1 :: v_dual_bitop2_b32 v4, 7, v2 bitop3:0x40
; %bb.527:                              ;   in Loop: Header=BB230_10 Depth=1
	s_or_b32 exec_lo, exec_lo, s16
	v_lshlrev_b32_e32 v2, 24, v0
	s_delay_alu instid0(VALU_DEP_2) | instskip(NEXT) | instid1(VALU_DEP_3)
	v_lshlrev_b32_e32 v3, 20, v4
	v_lshl_add_u32 v1, v1, 23, 0x3c000000
	s_delay_alu instid0(VALU_DEP_3) | instskip(NEXT) | instid1(VALU_DEP_1)
	v_and_b32_e32 v2, 0x80000000, v2
	v_or3_b32 v4, v3, v2, v1
	v_mov_b32_e32 v1, v5
	s_clause 0x1
	scratch_store_b64 off, v[0:1], s32 offset:192
	scratch_store_b64 off, v[4:5], s32 offset:724
.LBB230_528:                            ;   in Loop: Header=BB230_10 Depth=1
	s_wait_xcnt 0x0
	s_or_b32 exec_lo, exec_lo, s11
.LBB230_529:                            ;   in Loop: Header=BB230_10 Depth=1
	s_delay_alu instid0(SALU_CYCLE_1)
	s_or_b32 exec_lo, exec_lo, s9
.LBB230_530:                            ;   in Loop: Header=BB230_10 Depth=1
	s_delay_alu instid0(SALU_CYCLE_1) | instskip(SKIP_2) | instid1(VALU_DEP_1)
	s_or_b32 exec_lo, exec_lo, s8
	v_lshrrev_b16 v1, 8, v0
	s_mov_b32 s8, exec_lo
	v_cmpx_ne_u16_e32 0, v1
	s_cbranch_execz .LBB230_538
; %bb.531:                              ;   in Loop: Header=BB230_10 Depth=1
	v_mov_b64_e32 v[2:3], 0x8000000000000000
	s_mov_b32 s9, exec_lo
	scratch_store_b64 off, v[2:3], s32 offset:748 ; 8-byte Folded Spill
	s_wait_xcnt 0x0
	v_cmpx_ne_u16_e32 0x80, v1
	s_cbranch_execz .LBB230_537
; %bb.532:                              ;   in Loop: Header=BB230_10 Depth=1
	v_and_b32_e32 v1, 0xffff, v1
	v_mov_b64_e32 v[4:5], 0x7f80000100000000
	s_mov_b32 s11, exec_lo
	s_delay_alu instid0(VALU_DEP_2)
	v_and_b32_e32 v2, 0x7f, v1
	scratch_store_b64 off, v[4:5], s32 offset:748 ; 8-byte Folded Spill
	s_wait_xcnt 0x0
	v_cmpx_ne_u32_e32 0x7f, v2
	s_cbranch_execz .LBB230_536
; %bb.533:                              ;   in Loop: Header=BB230_10 Depth=1
	scratch_load_b64 v[4:5], off, s32 offset:192 th:TH_LOAD_LU ; 8-byte Folded Reload
	s_wait_loadcnt 0x0
	v_dual_lshrrev_b32 v1, 3, v2 :: v_dual_bitop2_b32 v4, 7, v1 bitop3:0x40
	s_mov_b32 s16, exec_lo
	s_wait_xcnt 0x0
	v_cmpx_gt_u32_e32 8, v2
; %bb.534:                              ;   in Loop: Header=BB230_10 Depth=1
	s_delay_alu instid0(VALU_DEP_2) | instskip(NEXT) | instid1(VALU_DEP_1)
	v_clz_i32_u32_e32 v1, v4
	v_min_u32_e32 v1, 32, v1
	s_delay_alu instid0(VALU_DEP_1) | instskip(NEXT) | instid1(VALU_DEP_1)
	v_subrev_nc_u32_e32 v2, 28, v1
	v_lshlrev_b64_e32 v[2:3], v2, v[4:5]
	s_delay_alu instid0(VALU_DEP_1)
	v_dual_sub_nc_u32 v1, 29, v1 :: v_dual_bitop2_b32 v4, 7, v2 bitop3:0x40
; %bb.535:                              ;   in Loop: Header=BB230_10 Depth=1
	s_or_b32 exec_lo, exec_lo, s16
	v_lshlrev_b32_e32 v2, 16, v0
	s_delay_alu instid0(VALU_DEP_2) | instskip(NEXT) | instid1(VALU_DEP_3)
	v_lshlrev_b32_e32 v3, 20, v4
	v_lshl_add_u32 v1, v1, 23, 0x3c000000
	s_delay_alu instid0(VALU_DEP_3) | instskip(NEXT) | instid1(VALU_DEP_1)
	v_and_b32_e32 v2, 0x80000000, v2
	v_or3_b32 v3, v3, v2, v1
	v_dual_mov_b32 v1, v5 :: v_dual_mov_b32 v2, v5
	s_clause 0x1
	scratch_store_b64 off, v[0:1], s32 offset:192
	scratch_store_b64 off, v[2:3], s32 offset:748
.LBB230_536:                            ;   in Loop: Header=BB230_10 Depth=1
	s_wait_xcnt 0x0
	s_or_b32 exec_lo, exec_lo, s11
.LBB230_537:                            ;   in Loop: Header=BB230_10 Depth=1
	s_delay_alu instid0(SALU_CYCLE_1)
	s_or_b32 exec_lo, exec_lo, s9
.LBB230_538:                            ;   in Loop: Header=BB230_10 Depth=1
	s_delay_alu instid0(SALU_CYCLE_1) | instskip(SKIP_3) | instid1(VALU_DEP_1)
	s_or_b32 exec_lo, exec_lo, s8
	v_mov_b64_e32 v[4:5], 0
	v_lshrrev_b32_e32 v1, 16, v0
	s_mov_b32 s8, exec_lo
	v_and_b32_e32 v2, 0xff, v1
	scratch_store_b64 off, v[4:5], s32 offset:732 ; 8-byte Folded Spill
	s_wait_xcnt 0x0
	v_mov_b64_e32 v[4:5], 0
	scratch_store_b64 off, v[4:5], s32 offset:740 ; 8-byte Folded Spill
	s_wait_xcnt 0x0
	v_cmpx_ne_u16_e32 0, v2
	s_cbranch_execz .LBB230_546
; %bb.539:                              ;   in Loop: Header=BB230_10 Depth=1
	v_cmp_ne_u16_e64 s1, 0x80, v2
	v_mov_b64_e32 v[2:3], 0x80000000
	scratch_store_b64 off, v[2:3], s32 offset:740 ; 8-byte Folded Spill
	s_wait_xcnt 0x0
	s_and_saveexec_b32 s9, s1
	s_cbranch_execz .LBB230_545
; %bb.540:                              ;   in Loop: Header=BB230_10 Depth=1
	v_mov_b64_e32 v[4:5], 0x7f800001
	v_bfe_u32 v3, v0, 16, 7
	s_mov_b32 s11, exec_lo
	scratch_store_b64 off, v[4:5], s32 offset:740 ; 8-byte Folded Spill
	s_wait_xcnt 0x0
	v_cmpx_ne_u32_e32 0x7f, v3
	s_cbranch_execz .LBB230_544
; %bb.541:                              ;   in Loop: Header=BB230_10 Depth=1
	scratch_load_b64 v[6:7], off, s32 offset:192 th:TH_LOAD_LU ; 8-byte Folded Reload
	s_wait_loadcnt 0x0
	v_dual_lshrrev_b32 v2, 3, v3 :: v_dual_bitop2_b32 v6, 7, v1 bitop3:0x40
	s_mov_b32 s16, exec_lo
	s_wait_xcnt 0x0
	v_cmpx_gt_u32_e32 8, v3
; %bb.542:                              ;   in Loop: Header=BB230_10 Depth=1
	s_delay_alu instid0(VALU_DEP_2) | instskip(NEXT) | instid1(VALU_DEP_1)
	v_clz_i32_u32_e32 v2, v6
	v_min_u32_e32 v2, 32, v2
	s_delay_alu instid0(VALU_DEP_1) | instskip(NEXT) | instid1(VALU_DEP_1)
	v_subrev_nc_u32_e32 v3, 28, v2
	v_lshlrev_b64_e32 v[4:5], v3, v[6:7]
	s_delay_alu instid0(VALU_DEP_1)
	v_dual_sub_nc_u32 v2, 29, v2 :: v_dual_bitop2_b32 v6, 7, v4 bitop3:0x40
; %bb.543:                              ;   in Loop: Header=BB230_10 Depth=1
	s_or_b32 exec_lo, exec_lo, s16
	s_delay_alu instid0(VALU_DEP_1) | instskip(NEXT) | instid1(VALU_DEP_2)
	v_dual_lshlrev_b32 v1, 24, v1 :: v_dual_lshlrev_b32 v3, 20, v6
	v_lshl_add_u32 v2, v2, 23, 0x3c000000
	s_delay_alu instid0(VALU_DEP_2) | instskip(NEXT) | instid1(VALU_DEP_1)
	v_and_b32_e32 v1, 0x80000000, v1
	v_or3_b32 v6, v3, v1, v2
	v_mov_b32_e32 v1, v7
	s_clause 0x1
	scratch_store_b64 off, v[0:1], s32 offset:192
	scratch_store_b64 off, v[6:7], s32 offset:740
.LBB230_544:                            ;   in Loop: Header=BB230_10 Depth=1
	s_wait_xcnt 0x0
	s_or_b32 exec_lo, exec_lo, s11
.LBB230_545:                            ;   in Loop: Header=BB230_10 Depth=1
	s_delay_alu instid0(SALU_CYCLE_1)
	s_or_b32 exec_lo, exec_lo, s9
.LBB230_546:                            ;   in Loop: Header=BB230_10 Depth=1
	s_delay_alu instid0(SALU_CYCLE_1) | instskip(NEXT) | instid1(SALU_CYCLE_1)
	s_or_b32 exec_lo, exec_lo, s8
	s_mov_b32 s8, exec_lo
	v_cmpx_lt_u32_e32 0xffffff, v0
	s_cbranch_execz .LBB230_554
; %bb.547:                              ;   in Loop: Header=BB230_10 Depth=1
	v_mov_b64_e32 v[2:3], 0x8000000000000000
	v_lshrrev_b32_e32 v1, 24, v0
	s_mov_b32 s9, exec_lo
	scratch_store_b64 off, v[2:3], s32 offset:732 ; 8-byte Folded Spill
	s_wait_xcnt 0x0
	v_cmpx_ne_u32_e32 0x80, v1
	s_cbranch_execz .LBB230_553
; %bb.548:                              ;   in Loop: Header=BB230_10 Depth=1
	v_mov_b64_e32 v[4:5], 0x7f80000100000000
	v_bfe_u32 v2, v0, 24, 7
	s_mov_b32 s11, exec_lo
	scratch_store_b64 off, v[4:5], s32 offset:732 ; 8-byte Folded Spill
	s_wait_xcnt 0x0
	v_cmpx_ne_u32_e32 0x7f, v2
	s_cbranch_execz .LBB230_552
; %bb.549:                              ;   in Loop: Header=BB230_10 Depth=1
	scratch_load_b64 v[4:5], off, s32 offset:192 th:TH_LOAD_LU ; 8-byte Folded Reload
	s_wait_loadcnt 0x0
	v_dual_lshrrev_b32 v0, 3, v2 :: v_dual_bitop2_b32 v4, 7, v1 bitop3:0x40
	s_mov_b32 s16, exec_lo
	s_wait_xcnt 0x0
	v_cmpx_gt_u32_e32 8, v2
; %bb.550:                              ;   in Loop: Header=BB230_10 Depth=1
	s_delay_alu instid0(VALU_DEP_2) | instskip(NEXT) | instid1(VALU_DEP_1)
	v_clz_i32_u32_e32 v0, v4
	v_min_u32_e32 v0, 32, v0
	s_delay_alu instid0(VALU_DEP_1) | instskip(NEXT) | instid1(VALU_DEP_1)
	v_subrev_nc_u32_e32 v2, 28, v0
	v_lshlrev_b64_e32 v[2:3], v2, v[4:5]
	s_delay_alu instid0(VALU_DEP_1)
	v_dual_sub_nc_u32 v0, 29, v0 :: v_dual_bitop2_b32 v4, 7, v2 bitop3:0x40
; %bb.551:                              ;   in Loop: Header=BB230_10 Depth=1
	s_or_b32 exec_lo, exec_lo, s16
	s_delay_alu instid0(VALU_DEP_1) | instskip(NEXT) | instid1(VALU_DEP_2)
	v_dual_lshlrev_b32 v1, 24, v1 :: v_dual_lshlrev_b32 v2, 20, v4
	v_lshl_add_u32 v0, v0, 23, 0x3c000000
	s_delay_alu instid0(VALU_DEP_2) | instskip(NEXT) | instid1(VALU_DEP_1)
	v_and_b32_e32 v1, 0x80000000, v1
	v_or3_b32 v3, v2, v1, v0
	v_dual_mov_b32 v1, v5 :: v_dual_mov_b32 v2, v5
	s_clause 0x1
	scratch_store_b64 off, v[0:1], s32 offset:192
	scratch_store_b64 off, v[2:3], s32 offset:732
.LBB230_552:                            ;   in Loop: Header=BB230_10 Depth=1
	s_wait_xcnt 0x0
	s_or_b32 exec_lo, exec_lo, s11
.LBB230_553:                            ;   in Loop: Header=BB230_10 Depth=1
	s_delay_alu instid0(SALU_CYCLE_1)
	s_or_b32 exec_lo, exec_lo, s9
.LBB230_554:                            ;   in Loop: Header=BB230_10 Depth=1
	s_delay_alu instid0(SALU_CYCLE_1)
	s_or_b32 exec_lo, exec_lo, s8
	flat_load_b32 v0, v[92:93] offset:2052
	v_mov_b64_e32 v[2:3], 0
	s_mov_b32 s8, exec_lo
	scratch_store_b64 off, v[2:3], s32 offset:780 ; 8-byte Folded Spill
	s_wait_xcnt 0x0
	v_mov_b64_e32 v[2:3], 0
	scratch_store_b64 off, v[2:3], s32 offset:756 ; 8-byte Folded Spill
	s_wait_loadcnt_dscnt 0x0
	v_and_b32_e32 v1, 0xff, v0
	s_wait_xcnt 0x0
	s_delay_alu instid0(VALU_DEP_1)
	v_cmpx_ne_u16_e32 0, v1
	s_cbranch_execz .LBB230_562
; %bb.555:                              ;   in Loop: Header=BB230_10 Depth=1
	v_mov_b64_e32 v[2:3], 0x80000000
	s_mov_b32 s9, exec_lo
	scratch_store_b64 off, v[2:3], s32 offset:756 ; 8-byte Folded Spill
	s_wait_xcnt 0x0
	v_cmpx_ne_u16_e32 0x80, v1
	s_cbranch_execz .LBB230_561
; %bb.556:                              ;   in Loop: Header=BB230_10 Depth=1
	v_mov_b64_e32 v[4:5], 0x7f800001
	v_and_b32_e32 v2, 0x7f, v0
	s_mov_b32 s11, exec_lo
	scratch_store_b64 off, v[4:5], s32 offset:756 ; 8-byte Folded Spill
	s_wait_xcnt 0x0
	v_cmpx_ne_u32_e32 0x7f, v2
	s_cbranch_execz .LBB230_560
; %bb.557:                              ;   in Loop: Header=BB230_10 Depth=1
	scratch_load_b64 v[4:5], off, s32 offset:192 th:TH_LOAD_LU ; 8-byte Folded Reload
	s_wait_loadcnt 0x0
	v_dual_lshrrev_b32 v1, 3, v2 :: v_dual_bitop2_b32 v4, 7, v0 bitop3:0x40
	s_mov_b32 s16, exec_lo
	s_wait_xcnt 0x0
	v_cmpx_gt_u32_e32 8, v2
; %bb.558:                              ;   in Loop: Header=BB230_10 Depth=1
	s_delay_alu instid0(VALU_DEP_2) | instskip(NEXT) | instid1(VALU_DEP_1)
	v_clz_i32_u32_e32 v1, v4
	v_min_u32_e32 v1, 32, v1
	s_delay_alu instid0(VALU_DEP_1) | instskip(NEXT) | instid1(VALU_DEP_1)
	v_subrev_nc_u32_e32 v2, 28, v1
	v_lshlrev_b64_e32 v[2:3], v2, v[4:5]
	s_delay_alu instid0(VALU_DEP_1)
	v_dual_sub_nc_u32 v1, 29, v1 :: v_dual_bitop2_b32 v4, 7, v2 bitop3:0x40
; %bb.559:                              ;   in Loop: Header=BB230_10 Depth=1
	s_or_b32 exec_lo, exec_lo, s16
	v_lshlrev_b32_e32 v2, 24, v0
	s_delay_alu instid0(VALU_DEP_2) | instskip(NEXT) | instid1(VALU_DEP_3)
	v_lshlrev_b32_e32 v3, 20, v4
	v_lshl_add_u32 v1, v1, 23, 0x3c000000
	s_delay_alu instid0(VALU_DEP_3) | instskip(NEXT) | instid1(VALU_DEP_1)
	v_and_b32_e32 v2, 0x80000000, v2
	v_or3_b32 v4, v3, v2, v1
	v_mov_b32_e32 v1, v5
	s_clause 0x1
	scratch_store_b64 off, v[0:1], s32 offset:192
	scratch_store_b64 off, v[4:5], s32 offset:756
.LBB230_560:                            ;   in Loop: Header=BB230_10 Depth=1
	s_wait_xcnt 0x0
	s_or_b32 exec_lo, exec_lo, s11
.LBB230_561:                            ;   in Loop: Header=BB230_10 Depth=1
	s_delay_alu instid0(SALU_CYCLE_1)
	s_or_b32 exec_lo, exec_lo, s9
.LBB230_562:                            ;   in Loop: Header=BB230_10 Depth=1
	s_delay_alu instid0(SALU_CYCLE_1) | instskip(SKIP_2) | instid1(VALU_DEP_1)
	s_or_b32 exec_lo, exec_lo, s8
	v_lshrrev_b16 v1, 8, v0
	s_mov_b32 s8, exec_lo
	v_cmpx_ne_u16_e32 0, v1
	s_cbranch_execz .LBB230_570
; %bb.563:                              ;   in Loop: Header=BB230_10 Depth=1
	v_mov_b64_e32 v[2:3], 0x8000000000000000
	s_mov_b32 s9, exec_lo
	scratch_store_b64 off, v[2:3], s32 offset:780 ; 8-byte Folded Spill
	s_wait_xcnt 0x0
	v_cmpx_ne_u16_e32 0x80, v1
	s_cbranch_execz .LBB230_569
; %bb.564:                              ;   in Loop: Header=BB230_10 Depth=1
	v_and_b32_e32 v1, 0xffff, v1
	v_mov_b64_e32 v[4:5], 0x7f80000100000000
	s_mov_b32 s11, exec_lo
	s_delay_alu instid0(VALU_DEP_2)
	v_and_b32_e32 v2, 0x7f, v1
	scratch_store_b64 off, v[4:5], s32 offset:780 ; 8-byte Folded Spill
	s_wait_xcnt 0x0
	v_cmpx_ne_u32_e32 0x7f, v2
	s_cbranch_execz .LBB230_568
; %bb.565:                              ;   in Loop: Header=BB230_10 Depth=1
	scratch_load_b64 v[4:5], off, s32 offset:192 th:TH_LOAD_LU ; 8-byte Folded Reload
	s_wait_loadcnt 0x0
	v_dual_lshrrev_b32 v1, 3, v2 :: v_dual_bitop2_b32 v4, 7, v1 bitop3:0x40
	s_mov_b32 s16, exec_lo
	s_wait_xcnt 0x0
	v_cmpx_gt_u32_e32 8, v2
; %bb.566:                              ;   in Loop: Header=BB230_10 Depth=1
	s_delay_alu instid0(VALU_DEP_2) | instskip(NEXT) | instid1(VALU_DEP_1)
	v_clz_i32_u32_e32 v1, v4
	v_min_u32_e32 v1, 32, v1
	s_delay_alu instid0(VALU_DEP_1) | instskip(NEXT) | instid1(VALU_DEP_1)
	v_subrev_nc_u32_e32 v2, 28, v1
	v_lshlrev_b64_e32 v[2:3], v2, v[4:5]
	s_delay_alu instid0(VALU_DEP_1)
	v_dual_sub_nc_u32 v1, 29, v1 :: v_dual_bitop2_b32 v4, 7, v2 bitop3:0x40
; %bb.567:                              ;   in Loop: Header=BB230_10 Depth=1
	s_or_b32 exec_lo, exec_lo, s16
	v_lshlrev_b32_e32 v2, 16, v0
	s_delay_alu instid0(VALU_DEP_2) | instskip(NEXT) | instid1(VALU_DEP_3)
	v_lshlrev_b32_e32 v3, 20, v4
	v_lshl_add_u32 v1, v1, 23, 0x3c000000
	s_delay_alu instid0(VALU_DEP_3) | instskip(NEXT) | instid1(VALU_DEP_1)
	v_and_b32_e32 v2, 0x80000000, v2
	v_or3_b32 v3, v3, v2, v1
	v_dual_mov_b32 v1, v5 :: v_dual_mov_b32 v2, v5
	s_clause 0x1
	scratch_store_b64 off, v[0:1], s32 offset:192
	scratch_store_b64 off, v[2:3], s32 offset:780
.LBB230_568:                            ;   in Loop: Header=BB230_10 Depth=1
	s_wait_xcnt 0x0
	s_or_b32 exec_lo, exec_lo, s11
.LBB230_569:                            ;   in Loop: Header=BB230_10 Depth=1
	s_delay_alu instid0(SALU_CYCLE_1)
	s_or_b32 exec_lo, exec_lo, s9
.LBB230_570:                            ;   in Loop: Header=BB230_10 Depth=1
	s_delay_alu instid0(SALU_CYCLE_1) | instskip(SKIP_3) | instid1(VALU_DEP_1)
	s_or_b32 exec_lo, exec_lo, s8
	v_mov_b64_e32 v[4:5], 0
	v_lshrrev_b32_e32 v1, 16, v0
	s_mov_b32 s8, exec_lo
	v_and_b32_e32 v2, 0xff, v1
	scratch_store_b64 off, v[4:5], s32 offset:764 ; 8-byte Folded Spill
	s_wait_xcnt 0x0
	v_mov_b64_e32 v[4:5], 0
	scratch_store_b64 off, v[4:5], s32 offset:772 ; 8-byte Folded Spill
	s_wait_xcnt 0x0
	v_cmpx_ne_u16_e32 0, v2
	s_cbranch_execz .LBB230_578
; %bb.571:                              ;   in Loop: Header=BB230_10 Depth=1
	v_cmp_ne_u16_e64 s1, 0x80, v2
	v_mov_b64_e32 v[2:3], 0x80000000
	scratch_store_b64 off, v[2:3], s32 offset:772 ; 8-byte Folded Spill
	s_wait_xcnt 0x0
	s_and_saveexec_b32 s9, s1
	s_cbranch_execz .LBB230_577
; %bb.572:                              ;   in Loop: Header=BB230_10 Depth=1
	v_mov_b64_e32 v[4:5], 0x7f800001
	v_bfe_u32 v3, v0, 16, 7
	s_mov_b32 s11, exec_lo
	scratch_store_b64 off, v[4:5], s32 offset:772 ; 8-byte Folded Spill
	s_wait_xcnt 0x0
	v_cmpx_ne_u32_e32 0x7f, v3
	s_cbranch_execz .LBB230_576
; %bb.573:                              ;   in Loop: Header=BB230_10 Depth=1
	scratch_load_b64 v[6:7], off, s32 offset:192 th:TH_LOAD_LU ; 8-byte Folded Reload
	s_wait_loadcnt 0x0
	v_dual_lshrrev_b32 v2, 3, v3 :: v_dual_bitop2_b32 v6, 7, v1 bitop3:0x40
	s_mov_b32 s16, exec_lo
	s_wait_xcnt 0x0
	v_cmpx_gt_u32_e32 8, v3
; %bb.574:                              ;   in Loop: Header=BB230_10 Depth=1
	s_delay_alu instid0(VALU_DEP_2) | instskip(NEXT) | instid1(VALU_DEP_1)
	v_clz_i32_u32_e32 v2, v6
	v_min_u32_e32 v2, 32, v2
	s_delay_alu instid0(VALU_DEP_1) | instskip(NEXT) | instid1(VALU_DEP_1)
	v_subrev_nc_u32_e32 v3, 28, v2
	v_lshlrev_b64_e32 v[4:5], v3, v[6:7]
	s_delay_alu instid0(VALU_DEP_1)
	v_dual_sub_nc_u32 v2, 29, v2 :: v_dual_bitop2_b32 v6, 7, v4 bitop3:0x40
; %bb.575:                              ;   in Loop: Header=BB230_10 Depth=1
	s_or_b32 exec_lo, exec_lo, s16
	s_delay_alu instid0(VALU_DEP_1) | instskip(NEXT) | instid1(VALU_DEP_2)
	v_dual_lshlrev_b32 v1, 24, v1 :: v_dual_lshlrev_b32 v3, 20, v6
	v_lshl_add_u32 v2, v2, 23, 0x3c000000
	s_delay_alu instid0(VALU_DEP_2) | instskip(NEXT) | instid1(VALU_DEP_1)
	v_and_b32_e32 v1, 0x80000000, v1
	v_or3_b32 v6, v3, v1, v2
	v_mov_b32_e32 v1, v7
	s_clause 0x1
	scratch_store_b64 off, v[0:1], s32 offset:192
	scratch_store_b64 off, v[6:7], s32 offset:772
.LBB230_576:                            ;   in Loop: Header=BB230_10 Depth=1
	s_wait_xcnt 0x0
	s_or_b32 exec_lo, exec_lo, s11
.LBB230_577:                            ;   in Loop: Header=BB230_10 Depth=1
	s_delay_alu instid0(SALU_CYCLE_1)
	s_or_b32 exec_lo, exec_lo, s9
.LBB230_578:                            ;   in Loop: Header=BB230_10 Depth=1
	s_delay_alu instid0(SALU_CYCLE_1) | instskip(NEXT) | instid1(SALU_CYCLE_1)
	s_or_b32 exec_lo, exec_lo, s8
	s_mov_b32 s8, exec_lo
	v_cmpx_lt_u32_e32 0xffffff, v0
	s_cbranch_execz .LBB230_586
; %bb.579:                              ;   in Loop: Header=BB230_10 Depth=1
	v_mov_b64_e32 v[2:3], 0x8000000000000000
	v_lshrrev_b32_e32 v1, 24, v0
	s_mov_b32 s9, exec_lo
	scratch_store_b64 off, v[2:3], s32 offset:764 ; 8-byte Folded Spill
	s_wait_xcnt 0x0
	v_cmpx_ne_u32_e32 0x80, v1
	s_cbranch_execz .LBB230_585
; %bb.580:                              ;   in Loop: Header=BB230_10 Depth=1
	v_mov_b64_e32 v[4:5], 0x7f80000100000000
	v_bfe_u32 v2, v0, 24, 7
	s_mov_b32 s11, exec_lo
	scratch_store_b64 off, v[4:5], s32 offset:764 ; 8-byte Folded Spill
	s_wait_xcnt 0x0
	v_cmpx_ne_u32_e32 0x7f, v2
	s_cbranch_execz .LBB230_584
; %bb.581:                              ;   in Loop: Header=BB230_10 Depth=1
	scratch_load_b64 v[4:5], off, s32 offset:192 th:TH_LOAD_LU ; 8-byte Folded Reload
	s_wait_loadcnt 0x0
	v_dual_lshrrev_b32 v0, 3, v2 :: v_dual_bitop2_b32 v4, 7, v1 bitop3:0x40
	s_mov_b32 s16, exec_lo
	s_wait_xcnt 0x0
	v_cmpx_gt_u32_e32 8, v2
; %bb.582:                              ;   in Loop: Header=BB230_10 Depth=1
	s_delay_alu instid0(VALU_DEP_2) | instskip(NEXT) | instid1(VALU_DEP_1)
	v_clz_i32_u32_e32 v0, v4
	v_min_u32_e32 v0, 32, v0
	s_delay_alu instid0(VALU_DEP_1) | instskip(NEXT) | instid1(VALU_DEP_1)
	v_subrev_nc_u32_e32 v2, 28, v0
	v_lshlrev_b64_e32 v[2:3], v2, v[4:5]
	s_delay_alu instid0(VALU_DEP_1)
	v_dual_sub_nc_u32 v0, 29, v0 :: v_dual_bitop2_b32 v4, 7, v2 bitop3:0x40
; %bb.583:                              ;   in Loop: Header=BB230_10 Depth=1
	s_or_b32 exec_lo, exec_lo, s16
	s_delay_alu instid0(VALU_DEP_1) | instskip(NEXT) | instid1(VALU_DEP_2)
	v_dual_lshlrev_b32 v1, 24, v1 :: v_dual_lshlrev_b32 v2, 20, v4
	v_lshl_add_u32 v0, v0, 23, 0x3c000000
	s_delay_alu instid0(VALU_DEP_2) | instskip(NEXT) | instid1(VALU_DEP_1)
	v_and_b32_e32 v1, 0x80000000, v1
	v_or3_b32 v3, v2, v1, v0
	v_dual_mov_b32 v1, v5 :: v_dual_mov_b32 v2, v5
	s_clause 0x1
	scratch_store_b64 off, v[0:1], s32 offset:192
	scratch_store_b64 off, v[2:3], s32 offset:764
.LBB230_584:                            ;   in Loop: Header=BB230_10 Depth=1
	s_wait_xcnt 0x0
	s_or_b32 exec_lo, exec_lo, s11
.LBB230_585:                            ;   in Loop: Header=BB230_10 Depth=1
	s_delay_alu instid0(SALU_CYCLE_1)
	s_or_b32 exec_lo, exec_lo, s9
.LBB230_586:                            ;   in Loop: Header=BB230_10 Depth=1
	s_delay_alu instid0(SALU_CYCLE_1)
	s_or_b32 exec_lo, exec_lo, s8
	flat_load_b32 v0, v[92:93] offset:2056
	v_mov_b64_e32 v[2:3], 0
	s_mov_b32 s8, exec_lo
	scratch_store_b64 off, v[2:3], s32 offset:812 ; 8-byte Folded Spill
	s_wait_xcnt 0x0
	v_mov_b64_e32 v[2:3], 0
	scratch_store_b64 off, v[2:3], s32 offset:788 ; 8-byte Folded Spill
	s_wait_loadcnt_dscnt 0x0
	v_and_b32_e32 v1, 0xff, v0
	s_wait_xcnt 0x0
	s_delay_alu instid0(VALU_DEP_1)
	v_cmpx_ne_u16_e32 0, v1
	s_cbranch_execz .LBB230_594
; %bb.587:                              ;   in Loop: Header=BB230_10 Depth=1
	v_mov_b64_e32 v[2:3], 0x80000000
	s_mov_b32 s9, exec_lo
	scratch_store_b64 off, v[2:3], s32 offset:788 ; 8-byte Folded Spill
	s_wait_xcnt 0x0
	v_cmpx_ne_u16_e32 0x80, v1
	s_cbranch_execz .LBB230_593
; %bb.588:                              ;   in Loop: Header=BB230_10 Depth=1
	v_mov_b64_e32 v[4:5], 0x7f800001
	v_and_b32_e32 v2, 0x7f, v0
	s_mov_b32 s11, exec_lo
	scratch_store_b64 off, v[4:5], s32 offset:788 ; 8-byte Folded Spill
	s_wait_xcnt 0x0
	v_cmpx_ne_u32_e32 0x7f, v2
	s_cbranch_execz .LBB230_592
; %bb.589:                              ;   in Loop: Header=BB230_10 Depth=1
	scratch_load_b64 v[4:5], off, s32 offset:192 th:TH_LOAD_LU ; 8-byte Folded Reload
	s_wait_loadcnt 0x0
	v_dual_lshrrev_b32 v1, 3, v2 :: v_dual_bitop2_b32 v4, 7, v0 bitop3:0x40
	s_mov_b32 s16, exec_lo
	s_wait_xcnt 0x0
	v_cmpx_gt_u32_e32 8, v2
; %bb.590:                              ;   in Loop: Header=BB230_10 Depth=1
	s_delay_alu instid0(VALU_DEP_2) | instskip(NEXT) | instid1(VALU_DEP_1)
	v_clz_i32_u32_e32 v1, v4
	v_min_u32_e32 v1, 32, v1
	s_delay_alu instid0(VALU_DEP_1) | instskip(NEXT) | instid1(VALU_DEP_1)
	v_subrev_nc_u32_e32 v2, 28, v1
	v_lshlrev_b64_e32 v[2:3], v2, v[4:5]
	s_delay_alu instid0(VALU_DEP_1)
	v_dual_sub_nc_u32 v1, 29, v1 :: v_dual_bitop2_b32 v4, 7, v2 bitop3:0x40
; %bb.591:                              ;   in Loop: Header=BB230_10 Depth=1
	s_or_b32 exec_lo, exec_lo, s16
	v_lshlrev_b32_e32 v2, 24, v0
	s_delay_alu instid0(VALU_DEP_2) | instskip(NEXT) | instid1(VALU_DEP_3)
	v_lshlrev_b32_e32 v3, 20, v4
	v_lshl_add_u32 v1, v1, 23, 0x3c000000
	s_delay_alu instid0(VALU_DEP_3) | instskip(NEXT) | instid1(VALU_DEP_1)
	v_and_b32_e32 v2, 0x80000000, v2
	v_or3_b32 v4, v3, v2, v1
	v_mov_b32_e32 v1, v5
	s_clause 0x1
	scratch_store_b64 off, v[0:1], s32 offset:192
	scratch_store_b64 off, v[4:5], s32 offset:788
.LBB230_592:                            ;   in Loop: Header=BB230_10 Depth=1
	s_wait_xcnt 0x0
	s_or_b32 exec_lo, exec_lo, s11
.LBB230_593:                            ;   in Loop: Header=BB230_10 Depth=1
	s_delay_alu instid0(SALU_CYCLE_1)
	s_or_b32 exec_lo, exec_lo, s9
.LBB230_594:                            ;   in Loop: Header=BB230_10 Depth=1
	s_delay_alu instid0(SALU_CYCLE_1) | instskip(SKIP_2) | instid1(VALU_DEP_1)
	s_or_b32 exec_lo, exec_lo, s8
	v_lshrrev_b16 v1, 8, v0
	s_mov_b32 s8, exec_lo
	v_cmpx_ne_u16_e32 0, v1
	s_cbranch_execz .LBB230_602
; %bb.595:                              ;   in Loop: Header=BB230_10 Depth=1
	v_mov_b64_e32 v[2:3], 0x8000000000000000
	s_mov_b32 s9, exec_lo
	scratch_store_b64 off, v[2:3], s32 offset:812 ; 8-byte Folded Spill
	s_wait_xcnt 0x0
	v_cmpx_ne_u16_e32 0x80, v1
	s_cbranch_execz .LBB230_601
; %bb.596:                              ;   in Loop: Header=BB230_10 Depth=1
	v_and_b32_e32 v1, 0xffff, v1
	v_mov_b64_e32 v[4:5], 0x7f80000100000000
	s_mov_b32 s11, exec_lo
	s_delay_alu instid0(VALU_DEP_2)
	v_and_b32_e32 v2, 0x7f, v1
	scratch_store_b64 off, v[4:5], s32 offset:812 ; 8-byte Folded Spill
	s_wait_xcnt 0x0
	v_cmpx_ne_u32_e32 0x7f, v2
	s_cbranch_execz .LBB230_600
; %bb.597:                              ;   in Loop: Header=BB230_10 Depth=1
	scratch_load_b64 v[4:5], off, s32 offset:192 th:TH_LOAD_LU ; 8-byte Folded Reload
	s_wait_loadcnt 0x0
	v_dual_lshrrev_b32 v1, 3, v2 :: v_dual_bitop2_b32 v4, 7, v1 bitop3:0x40
	s_mov_b32 s16, exec_lo
	s_wait_xcnt 0x0
	v_cmpx_gt_u32_e32 8, v2
; %bb.598:                              ;   in Loop: Header=BB230_10 Depth=1
	s_delay_alu instid0(VALU_DEP_2) | instskip(NEXT) | instid1(VALU_DEP_1)
	v_clz_i32_u32_e32 v1, v4
	v_min_u32_e32 v1, 32, v1
	s_delay_alu instid0(VALU_DEP_1) | instskip(NEXT) | instid1(VALU_DEP_1)
	v_subrev_nc_u32_e32 v2, 28, v1
	v_lshlrev_b64_e32 v[2:3], v2, v[4:5]
	s_delay_alu instid0(VALU_DEP_1)
	v_dual_sub_nc_u32 v1, 29, v1 :: v_dual_bitop2_b32 v4, 7, v2 bitop3:0x40
; %bb.599:                              ;   in Loop: Header=BB230_10 Depth=1
	s_or_b32 exec_lo, exec_lo, s16
	v_lshlrev_b32_e32 v2, 16, v0
	s_delay_alu instid0(VALU_DEP_2) | instskip(NEXT) | instid1(VALU_DEP_3)
	v_lshlrev_b32_e32 v3, 20, v4
	v_lshl_add_u32 v1, v1, 23, 0x3c000000
	s_delay_alu instid0(VALU_DEP_3) | instskip(NEXT) | instid1(VALU_DEP_1)
	v_and_b32_e32 v2, 0x80000000, v2
	v_or3_b32 v3, v3, v2, v1
	v_dual_mov_b32 v1, v5 :: v_dual_mov_b32 v2, v5
	s_clause 0x1
	scratch_store_b64 off, v[0:1], s32 offset:192
	scratch_store_b64 off, v[2:3], s32 offset:812
.LBB230_600:                            ;   in Loop: Header=BB230_10 Depth=1
	s_wait_xcnt 0x0
	s_or_b32 exec_lo, exec_lo, s11
.LBB230_601:                            ;   in Loop: Header=BB230_10 Depth=1
	s_delay_alu instid0(SALU_CYCLE_1)
	s_or_b32 exec_lo, exec_lo, s9
.LBB230_602:                            ;   in Loop: Header=BB230_10 Depth=1
	s_delay_alu instid0(SALU_CYCLE_1) | instskip(SKIP_3) | instid1(VALU_DEP_1)
	s_or_b32 exec_lo, exec_lo, s8
	v_mov_b64_e32 v[4:5], 0
	v_lshrrev_b32_e32 v1, 16, v0
	s_mov_b32 s8, exec_lo
	v_and_b32_e32 v2, 0xff, v1
	scratch_store_b64 off, v[4:5], s32 offset:796 ; 8-byte Folded Spill
	s_wait_xcnt 0x0
	v_mov_b64_e32 v[4:5], 0
	scratch_store_b64 off, v[4:5], s32 offset:804 ; 8-byte Folded Spill
	s_wait_xcnt 0x0
	v_cmpx_ne_u16_e32 0, v2
	s_cbranch_execz .LBB230_610
; %bb.603:                              ;   in Loop: Header=BB230_10 Depth=1
	v_cmp_ne_u16_e64 s1, 0x80, v2
	v_mov_b64_e32 v[2:3], 0x80000000
	scratch_store_b64 off, v[2:3], s32 offset:804 ; 8-byte Folded Spill
	s_wait_xcnt 0x0
	s_and_saveexec_b32 s9, s1
	s_cbranch_execz .LBB230_609
; %bb.604:                              ;   in Loop: Header=BB230_10 Depth=1
	v_mov_b64_e32 v[4:5], 0x7f800001
	v_bfe_u32 v3, v0, 16, 7
	s_mov_b32 s11, exec_lo
	scratch_store_b64 off, v[4:5], s32 offset:804 ; 8-byte Folded Spill
	s_wait_xcnt 0x0
	v_cmpx_ne_u32_e32 0x7f, v3
	s_cbranch_execz .LBB230_608
; %bb.605:                              ;   in Loop: Header=BB230_10 Depth=1
	scratch_load_b64 v[6:7], off, s32 offset:192 th:TH_LOAD_LU ; 8-byte Folded Reload
	s_wait_loadcnt 0x0
	v_dual_lshrrev_b32 v2, 3, v3 :: v_dual_bitop2_b32 v6, 7, v1 bitop3:0x40
	s_mov_b32 s16, exec_lo
	s_wait_xcnt 0x0
	v_cmpx_gt_u32_e32 8, v3
; %bb.606:                              ;   in Loop: Header=BB230_10 Depth=1
	s_delay_alu instid0(VALU_DEP_2) | instskip(NEXT) | instid1(VALU_DEP_1)
	v_clz_i32_u32_e32 v2, v6
	v_min_u32_e32 v2, 32, v2
	s_delay_alu instid0(VALU_DEP_1) | instskip(NEXT) | instid1(VALU_DEP_1)
	v_subrev_nc_u32_e32 v3, 28, v2
	v_lshlrev_b64_e32 v[4:5], v3, v[6:7]
	s_delay_alu instid0(VALU_DEP_1)
	v_dual_sub_nc_u32 v2, 29, v2 :: v_dual_bitop2_b32 v6, 7, v4 bitop3:0x40
; %bb.607:                              ;   in Loop: Header=BB230_10 Depth=1
	s_or_b32 exec_lo, exec_lo, s16
	s_delay_alu instid0(VALU_DEP_1) | instskip(NEXT) | instid1(VALU_DEP_2)
	v_dual_lshlrev_b32 v1, 24, v1 :: v_dual_lshlrev_b32 v3, 20, v6
	v_lshl_add_u32 v2, v2, 23, 0x3c000000
	s_delay_alu instid0(VALU_DEP_2) | instskip(NEXT) | instid1(VALU_DEP_1)
	v_and_b32_e32 v1, 0x80000000, v1
	v_or3_b32 v6, v3, v1, v2
	v_mov_b32_e32 v1, v7
	s_clause 0x1
	scratch_store_b64 off, v[0:1], s32 offset:192
	scratch_store_b64 off, v[6:7], s32 offset:804
.LBB230_608:                            ;   in Loop: Header=BB230_10 Depth=1
	s_wait_xcnt 0x0
	s_or_b32 exec_lo, exec_lo, s11
.LBB230_609:                            ;   in Loop: Header=BB230_10 Depth=1
	s_delay_alu instid0(SALU_CYCLE_1)
	s_or_b32 exec_lo, exec_lo, s9
.LBB230_610:                            ;   in Loop: Header=BB230_10 Depth=1
	s_delay_alu instid0(SALU_CYCLE_1) | instskip(NEXT) | instid1(SALU_CYCLE_1)
	s_or_b32 exec_lo, exec_lo, s8
	s_mov_b32 s8, exec_lo
	v_cmpx_lt_u32_e32 0xffffff, v0
	s_cbranch_execz .LBB230_618
; %bb.611:                              ;   in Loop: Header=BB230_10 Depth=1
	v_mov_b64_e32 v[2:3], 0x8000000000000000
	v_lshrrev_b32_e32 v1, 24, v0
	s_mov_b32 s9, exec_lo
	scratch_store_b64 off, v[2:3], s32 offset:796 ; 8-byte Folded Spill
	s_wait_xcnt 0x0
	v_cmpx_ne_u32_e32 0x80, v1
	s_cbranch_execz .LBB230_617
; %bb.612:                              ;   in Loop: Header=BB230_10 Depth=1
	v_mov_b64_e32 v[4:5], 0x7f80000100000000
	v_bfe_u32 v2, v0, 24, 7
	s_mov_b32 s11, exec_lo
	scratch_store_b64 off, v[4:5], s32 offset:796 ; 8-byte Folded Spill
	s_wait_xcnt 0x0
	v_cmpx_ne_u32_e32 0x7f, v2
	s_cbranch_execz .LBB230_616
; %bb.613:                              ;   in Loop: Header=BB230_10 Depth=1
	scratch_load_b64 v[4:5], off, s32 offset:192 th:TH_LOAD_LU ; 8-byte Folded Reload
	s_wait_loadcnt 0x0
	v_dual_lshrrev_b32 v0, 3, v2 :: v_dual_bitop2_b32 v4, 7, v1 bitop3:0x40
	s_mov_b32 s16, exec_lo
	s_wait_xcnt 0x0
	v_cmpx_gt_u32_e32 8, v2
; %bb.614:                              ;   in Loop: Header=BB230_10 Depth=1
	s_delay_alu instid0(VALU_DEP_2) | instskip(NEXT) | instid1(VALU_DEP_1)
	v_clz_i32_u32_e32 v0, v4
	v_min_u32_e32 v0, 32, v0
	s_delay_alu instid0(VALU_DEP_1) | instskip(NEXT) | instid1(VALU_DEP_1)
	v_subrev_nc_u32_e32 v2, 28, v0
	v_lshlrev_b64_e32 v[2:3], v2, v[4:5]
	s_delay_alu instid0(VALU_DEP_1)
	v_dual_sub_nc_u32 v0, 29, v0 :: v_dual_bitop2_b32 v4, 7, v2 bitop3:0x40
; %bb.615:                              ;   in Loop: Header=BB230_10 Depth=1
	s_or_b32 exec_lo, exec_lo, s16
	s_delay_alu instid0(VALU_DEP_1) | instskip(NEXT) | instid1(VALU_DEP_2)
	v_dual_lshlrev_b32 v1, 24, v1 :: v_dual_lshlrev_b32 v2, 20, v4
	v_lshl_add_u32 v0, v0, 23, 0x3c000000
	s_delay_alu instid0(VALU_DEP_2) | instskip(NEXT) | instid1(VALU_DEP_1)
	v_and_b32_e32 v1, 0x80000000, v1
	v_or3_b32 v3, v2, v1, v0
	v_dual_mov_b32 v1, v5 :: v_dual_mov_b32 v2, v5
	s_clause 0x1
	scratch_store_b64 off, v[0:1], s32 offset:192
	scratch_store_b64 off, v[2:3], s32 offset:796
.LBB230_616:                            ;   in Loop: Header=BB230_10 Depth=1
	s_wait_xcnt 0x0
	s_or_b32 exec_lo, exec_lo, s11
.LBB230_617:                            ;   in Loop: Header=BB230_10 Depth=1
	s_delay_alu instid0(SALU_CYCLE_1)
	s_or_b32 exec_lo, exec_lo, s9
.LBB230_618:                            ;   in Loop: Header=BB230_10 Depth=1
	s_delay_alu instid0(SALU_CYCLE_1)
	s_or_b32 exec_lo, exec_lo, s8
	flat_load_b32 v0, v[92:93] offset:2060
	v_mov_b64_e32 v[2:3], 0
	s_mov_b32 s8, exec_lo
	scratch_store_b64 off, v[2:3], s32 offset:844 ; 8-byte Folded Spill
	s_wait_xcnt 0x0
	v_mov_b64_e32 v[2:3], 0
	scratch_store_b64 off, v[2:3], s32 offset:820 ; 8-byte Folded Spill
	s_wait_loadcnt_dscnt 0x0
	v_and_b32_e32 v1, 0xff, v0
	s_wait_xcnt 0x0
	s_delay_alu instid0(VALU_DEP_1)
	v_cmpx_ne_u16_e32 0, v1
	s_cbranch_execz .LBB230_626
; %bb.619:                              ;   in Loop: Header=BB230_10 Depth=1
	v_mov_b64_e32 v[2:3], 0x80000000
	s_mov_b32 s9, exec_lo
	scratch_store_b64 off, v[2:3], s32 offset:820 ; 8-byte Folded Spill
	s_wait_xcnt 0x0
	v_cmpx_ne_u16_e32 0x80, v1
	s_cbranch_execz .LBB230_625
; %bb.620:                              ;   in Loop: Header=BB230_10 Depth=1
	v_mov_b64_e32 v[4:5], 0x7f800001
	v_and_b32_e32 v2, 0x7f, v0
	s_mov_b32 s11, exec_lo
	scratch_store_b64 off, v[4:5], s32 offset:820 ; 8-byte Folded Spill
	s_wait_xcnt 0x0
	v_cmpx_ne_u32_e32 0x7f, v2
	s_cbranch_execz .LBB230_624
; %bb.621:                              ;   in Loop: Header=BB230_10 Depth=1
	scratch_load_b64 v[4:5], off, s32 offset:192 th:TH_LOAD_LU ; 8-byte Folded Reload
	s_wait_loadcnt 0x0
	v_dual_lshrrev_b32 v1, 3, v2 :: v_dual_bitop2_b32 v4, 7, v0 bitop3:0x40
	s_mov_b32 s16, exec_lo
	s_wait_xcnt 0x0
	v_cmpx_gt_u32_e32 8, v2
; %bb.622:                              ;   in Loop: Header=BB230_10 Depth=1
	s_delay_alu instid0(VALU_DEP_2) | instskip(NEXT) | instid1(VALU_DEP_1)
	v_clz_i32_u32_e32 v1, v4
	v_min_u32_e32 v1, 32, v1
	s_delay_alu instid0(VALU_DEP_1) | instskip(NEXT) | instid1(VALU_DEP_1)
	v_subrev_nc_u32_e32 v2, 28, v1
	v_lshlrev_b64_e32 v[2:3], v2, v[4:5]
	s_delay_alu instid0(VALU_DEP_1)
	v_dual_sub_nc_u32 v1, 29, v1 :: v_dual_bitop2_b32 v4, 7, v2 bitop3:0x40
; %bb.623:                              ;   in Loop: Header=BB230_10 Depth=1
	s_or_b32 exec_lo, exec_lo, s16
	v_lshlrev_b32_e32 v2, 24, v0
	s_delay_alu instid0(VALU_DEP_2) | instskip(NEXT) | instid1(VALU_DEP_3)
	v_lshlrev_b32_e32 v3, 20, v4
	v_lshl_add_u32 v1, v1, 23, 0x3c000000
	s_delay_alu instid0(VALU_DEP_3) | instskip(NEXT) | instid1(VALU_DEP_1)
	v_and_b32_e32 v2, 0x80000000, v2
	v_or3_b32 v4, v3, v2, v1
	v_mov_b32_e32 v1, v5
	s_clause 0x1
	scratch_store_b64 off, v[0:1], s32 offset:192
	scratch_store_b64 off, v[4:5], s32 offset:820
.LBB230_624:                            ;   in Loop: Header=BB230_10 Depth=1
	s_wait_xcnt 0x0
	s_or_b32 exec_lo, exec_lo, s11
.LBB230_625:                            ;   in Loop: Header=BB230_10 Depth=1
	s_delay_alu instid0(SALU_CYCLE_1)
	s_or_b32 exec_lo, exec_lo, s9
.LBB230_626:                            ;   in Loop: Header=BB230_10 Depth=1
	s_delay_alu instid0(SALU_CYCLE_1) | instskip(SKIP_2) | instid1(VALU_DEP_1)
	s_or_b32 exec_lo, exec_lo, s8
	v_lshrrev_b16 v1, 8, v0
	s_mov_b32 s8, exec_lo
	v_cmpx_ne_u16_e32 0, v1
	s_cbranch_execz .LBB230_634
; %bb.627:                              ;   in Loop: Header=BB230_10 Depth=1
	v_mov_b64_e32 v[2:3], 0x8000000000000000
	s_mov_b32 s9, exec_lo
	scratch_store_b64 off, v[2:3], s32 offset:844 ; 8-byte Folded Spill
	s_wait_xcnt 0x0
	v_cmpx_ne_u16_e32 0x80, v1
	s_cbranch_execz .LBB230_633
; %bb.628:                              ;   in Loop: Header=BB230_10 Depth=1
	v_and_b32_e32 v1, 0xffff, v1
	v_mov_b64_e32 v[4:5], 0x7f80000100000000
	s_mov_b32 s11, exec_lo
	s_delay_alu instid0(VALU_DEP_2)
	v_and_b32_e32 v2, 0x7f, v1
	scratch_store_b64 off, v[4:5], s32 offset:844 ; 8-byte Folded Spill
	s_wait_xcnt 0x0
	v_cmpx_ne_u32_e32 0x7f, v2
	s_cbranch_execz .LBB230_632
; %bb.629:                              ;   in Loop: Header=BB230_10 Depth=1
	scratch_load_b64 v[4:5], off, s32 offset:192 th:TH_LOAD_LU ; 8-byte Folded Reload
	s_wait_loadcnt 0x0
	v_dual_lshrrev_b32 v1, 3, v2 :: v_dual_bitop2_b32 v4, 7, v1 bitop3:0x40
	s_mov_b32 s16, exec_lo
	s_wait_xcnt 0x0
	v_cmpx_gt_u32_e32 8, v2
; %bb.630:                              ;   in Loop: Header=BB230_10 Depth=1
	s_delay_alu instid0(VALU_DEP_2) | instskip(NEXT) | instid1(VALU_DEP_1)
	v_clz_i32_u32_e32 v1, v4
	v_min_u32_e32 v1, 32, v1
	s_delay_alu instid0(VALU_DEP_1) | instskip(NEXT) | instid1(VALU_DEP_1)
	v_subrev_nc_u32_e32 v2, 28, v1
	v_lshlrev_b64_e32 v[2:3], v2, v[4:5]
	s_delay_alu instid0(VALU_DEP_1)
	v_dual_sub_nc_u32 v1, 29, v1 :: v_dual_bitop2_b32 v4, 7, v2 bitop3:0x40
; %bb.631:                              ;   in Loop: Header=BB230_10 Depth=1
	s_or_b32 exec_lo, exec_lo, s16
	v_lshlrev_b32_e32 v2, 16, v0
	s_delay_alu instid0(VALU_DEP_2) | instskip(NEXT) | instid1(VALU_DEP_3)
	v_lshlrev_b32_e32 v3, 20, v4
	v_lshl_add_u32 v1, v1, 23, 0x3c000000
	s_delay_alu instid0(VALU_DEP_3) | instskip(NEXT) | instid1(VALU_DEP_1)
	v_and_b32_e32 v2, 0x80000000, v2
	v_or3_b32 v3, v3, v2, v1
	v_dual_mov_b32 v1, v5 :: v_dual_mov_b32 v2, v5
	s_clause 0x1
	scratch_store_b64 off, v[0:1], s32 offset:192
	scratch_store_b64 off, v[2:3], s32 offset:844
.LBB230_632:                            ;   in Loop: Header=BB230_10 Depth=1
	s_wait_xcnt 0x0
	s_or_b32 exec_lo, exec_lo, s11
.LBB230_633:                            ;   in Loop: Header=BB230_10 Depth=1
	s_delay_alu instid0(SALU_CYCLE_1)
	s_or_b32 exec_lo, exec_lo, s9
.LBB230_634:                            ;   in Loop: Header=BB230_10 Depth=1
	s_delay_alu instid0(SALU_CYCLE_1) | instskip(SKIP_3) | instid1(VALU_DEP_1)
	s_or_b32 exec_lo, exec_lo, s8
	v_mov_b64_e32 v[4:5], 0
	v_lshrrev_b32_e32 v1, 16, v0
	s_mov_b32 s8, exec_lo
	v_and_b32_e32 v2, 0xff, v1
	scratch_store_b64 off, v[4:5], s32 offset:828 ; 8-byte Folded Spill
	s_wait_xcnt 0x0
	v_mov_b64_e32 v[4:5], 0
	scratch_store_b64 off, v[4:5], s32 offset:836 ; 8-byte Folded Spill
	s_wait_xcnt 0x0
	v_cmpx_ne_u16_e32 0, v2
	s_cbranch_execz .LBB230_642
; %bb.635:                              ;   in Loop: Header=BB230_10 Depth=1
	v_cmp_ne_u16_e64 s1, 0x80, v2
	v_mov_b64_e32 v[2:3], 0x80000000
	scratch_store_b64 off, v[2:3], s32 offset:836 ; 8-byte Folded Spill
	s_wait_xcnt 0x0
	s_and_saveexec_b32 s9, s1
	s_cbranch_execz .LBB230_641
; %bb.636:                              ;   in Loop: Header=BB230_10 Depth=1
	v_mov_b64_e32 v[4:5], 0x7f800001
	v_bfe_u32 v3, v0, 16, 7
	s_mov_b32 s11, exec_lo
	scratch_store_b64 off, v[4:5], s32 offset:836 ; 8-byte Folded Spill
	s_wait_xcnt 0x0
	v_cmpx_ne_u32_e32 0x7f, v3
	s_cbranch_execz .LBB230_640
; %bb.637:                              ;   in Loop: Header=BB230_10 Depth=1
	scratch_load_b64 v[6:7], off, s32 offset:192 th:TH_LOAD_LU ; 8-byte Folded Reload
	s_wait_loadcnt 0x0
	v_dual_lshrrev_b32 v2, 3, v3 :: v_dual_bitop2_b32 v6, 7, v1 bitop3:0x40
	s_mov_b32 s16, exec_lo
	s_wait_xcnt 0x0
	v_cmpx_gt_u32_e32 8, v3
; %bb.638:                              ;   in Loop: Header=BB230_10 Depth=1
	s_delay_alu instid0(VALU_DEP_2) | instskip(NEXT) | instid1(VALU_DEP_1)
	v_clz_i32_u32_e32 v2, v6
	v_min_u32_e32 v2, 32, v2
	s_delay_alu instid0(VALU_DEP_1) | instskip(NEXT) | instid1(VALU_DEP_1)
	v_subrev_nc_u32_e32 v3, 28, v2
	v_lshlrev_b64_e32 v[4:5], v3, v[6:7]
	s_delay_alu instid0(VALU_DEP_1)
	v_dual_sub_nc_u32 v2, 29, v2 :: v_dual_bitop2_b32 v6, 7, v4 bitop3:0x40
; %bb.639:                              ;   in Loop: Header=BB230_10 Depth=1
	s_or_b32 exec_lo, exec_lo, s16
	s_delay_alu instid0(VALU_DEP_1) | instskip(NEXT) | instid1(VALU_DEP_2)
	v_dual_lshlrev_b32 v1, 24, v1 :: v_dual_lshlrev_b32 v3, 20, v6
	v_lshl_add_u32 v2, v2, 23, 0x3c000000
	s_delay_alu instid0(VALU_DEP_2) | instskip(NEXT) | instid1(VALU_DEP_1)
	v_and_b32_e32 v1, 0x80000000, v1
	v_or3_b32 v6, v3, v1, v2
	v_mov_b32_e32 v1, v7
	s_clause 0x1
	scratch_store_b64 off, v[0:1], s32 offset:192
	scratch_store_b64 off, v[6:7], s32 offset:836
.LBB230_640:                            ;   in Loop: Header=BB230_10 Depth=1
	s_wait_xcnt 0x0
	s_or_b32 exec_lo, exec_lo, s11
.LBB230_641:                            ;   in Loop: Header=BB230_10 Depth=1
	s_delay_alu instid0(SALU_CYCLE_1)
	s_or_b32 exec_lo, exec_lo, s9
.LBB230_642:                            ;   in Loop: Header=BB230_10 Depth=1
	s_delay_alu instid0(SALU_CYCLE_1) | instskip(NEXT) | instid1(SALU_CYCLE_1)
	s_or_b32 exec_lo, exec_lo, s8
	s_mov_b32 s8, exec_lo
	v_cmpx_lt_u32_e32 0xffffff, v0
	s_cbranch_execz .LBB230_650
; %bb.643:                              ;   in Loop: Header=BB230_10 Depth=1
	v_mov_b64_e32 v[2:3], 0x8000000000000000
	v_lshrrev_b32_e32 v1, 24, v0
	s_mov_b32 s9, exec_lo
	scratch_store_b64 off, v[2:3], s32 offset:828 ; 8-byte Folded Spill
	s_wait_xcnt 0x0
	v_cmpx_ne_u32_e32 0x80, v1
	s_cbranch_execz .LBB230_649
; %bb.644:                              ;   in Loop: Header=BB230_10 Depth=1
	v_mov_b64_e32 v[4:5], 0x7f80000100000000
	v_bfe_u32 v2, v0, 24, 7
	s_mov_b32 s11, exec_lo
	scratch_store_b64 off, v[4:5], s32 offset:828 ; 8-byte Folded Spill
	s_wait_xcnt 0x0
	v_cmpx_ne_u32_e32 0x7f, v2
	s_cbranch_execz .LBB230_648
; %bb.645:                              ;   in Loop: Header=BB230_10 Depth=1
	scratch_load_b64 v[4:5], off, s32 offset:192 th:TH_LOAD_LU ; 8-byte Folded Reload
	s_wait_loadcnt 0x0
	v_dual_lshrrev_b32 v0, 3, v2 :: v_dual_bitop2_b32 v4, 7, v1 bitop3:0x40
	s_mov_b32 s16, exec_lo
	s_wait_xcnt 0x0
	v_cmpx_gt_u32_e32 8, v2
; %bb.646:                              ;   in Loop: Header=BB230_10 Depth=1
	s_delay_alu instid0(VALU_DEP_2) | instskip(NEXT) | instid1(VALU_DEP_1)
	v_clz_i32_u32_e32 v0, v4
	v_min_u32_e32 v0, 32, v0
	s_delay_alu instid0(VALU_DEP_1) | instskip(NEXT) | instid1(VALU_DEP_1)
	v_subrev_nc_u32_e32 v2, 28, v0
	v_lshlrev_b64_e32 v[2:3], v2, v[4:5]
	s_delay_alu instid0(VALU_DEP_1)
	v_dual_sub_nc_u32 v0, 29, v0 :: v_dual_bitop2_b32 v4, 7, v2 bitop3:0x40
; %bb.647:                              ;   in Loop: Header=BB230_10 Depth=1
	s_or_b32 exec_lo, exec_lo, s16
	s_delay_alu instid0(VALU_DEP_1) | instskip(NEXT) | instid1(VALU_DEP_2)
	v_dual_lshlrev_b32 v1, 24, v1 :: v_dual_lshlrev_b32 v2, 20, v4
	v_lshl_add_u32 v0, v0, 23, 0x3c000000
	s_delay_alu instid0(VALU_DEP_2) | instskip(NEXT) | instid1(VALU_DEP_1)
	v_and_b32_e32 v1, 0x80000000, v1
	v_or3_b32 v3, v2, v1, v0
	v_dual_mov_b32 v1, v5 :: v_dual_mov_b32 v2, v5
	s_clause 0x1
	scratch_store_b64 off, v[0:1], s32 offset:192
	scratch_store_b64 off, v[2:3], s32 offset:828
.LBB230_648:                            ;   in Loop: Header=BB230_10 Depth=1
	s_wait_xcnt 0x0
	s_or_b32 exec_lo, exec_lo, s11
.LBB230_649:                            ;   in Loop: Header=BB230_10 Depth=1
	s_delay_alu instid0(SALU_CYCLE_1)
	s_or_b32 exec_lo, exec_lo, s9
.LBB230_650:                            ;   in Loop: Header=BB230_10 Depth=1
	s_delay_alu instid0(SALU_CYCLE_1)
	s_or_b32 exec_lo, exec_lo, s8
	flat_load_b32 v0, v[92:93] offset:2560
	v_mov_b64_e32 v[2:3], 0
	s_mov_b32 s8, exec_lo
	scratch_store_b64 off, v[2:3], s32 offset:876 ; 8-byte Folded Spill
	s_wait_xcnt 0x0
	v_mov_b64_e32 v[2:3], 0
	scratch_store_b64 off, v[2:3], s32 offset:852 ; 8-byte Folded Spill
	s_wait_loadcnt_dscnt 0x0
	v_and_b32_e32 v1, 0xff, v0
	s_wait_xcnt 0x0
	s_delay_alu instid0(VALU_DEP_1)
	v_cmpx_ne_u16_e32 0, v1
	s_cbranch_execz .LBB230_658
; %bb.651:                              ;   in Loop: Header=BB230_10 Depth=1
	v_mov_b64_e32 v[2:3], 0x80000000
	s_mov_b32 s9, exec_lo
	scratch_store_b64 off, v[2:3], s32 offset:852 ; 8-byte Folded Spill
	s_wait_xcnt 0x0
	v_cmpx_ne_u16_e32 0x80, v1
	s_cbranch_execz .LBB230_657
; %bb.652:                              ;   in Loop: Header=BB230_10 Depth=1
	v_mov_b64_e32 v[4:5], 0x7f800001
	v_and_b32_e32 v2, 0x7f, v0
	s_mov_b32 s11, exec_lo
	scratch_store_b64 off, v[4:5], s32 offset:852 ; 8-byte Folded Spill
	s_wait_xcnt 0x0
	v_cmpx_ne_u32_e32 0x7f, v2
	s_cbranch_execz .LBB230_656
; %bb.653:                              ;   in Loop: Header=BB230_10 Depth=1
	scratch_load_b64 v[4:5], off, s32 offset:192 th:TH_LOAD_LU ; 8-byte Folded Reload
	s_wait_loadcnt 0x0
	v_dual_lshrrev_b32 v1, 3, v2 :: v_dual_bitop2_b32 v4, 7, v0 bitop3:0x40
	s_mov_b32 s16, exec_lo
	s_wait_xcnt 0x0
	v_cmpx_gt_u32_e32 8, v2
; %bb.654:                              ;   in Loop: Header=BB230_10 Depth=1
	s_delay_alu instid0(VALU_DEP_2) | instskip(NEXT) | instid1(VALU_DEP_1)
	v_clz_i32_u32_e32 v1, v4
	v_min_u32_e32 v1, 32, v1
	s_delay_alu instid0(VALU_DEP_1) | instskip(NEXT) | instid1(VALU_DEP_1)
	v_subrev_nc_u32_e32 v2, 28, v1
	v_lshlrev_b64_e32 v[2:3], v2, v[4:5]
	s_delay_alu instid0(VALU_DEP_1)
	v_dual_sub_nc_u32 v1, 29, v1 :: v_dual_bitop2_b32 v4, 7, v2 bitop3:0x40
; %bb.655:                              ;   in Loop: Header=BB230_10 Depth=1
	s_or_b32 exec_lo, exec_lo, s16
	v_lshlrev_b32_e32 v2, 24, v0
	s_delay_alu instid0(VALU_DEP_2) | instskip(NEXT) | instid1(VALU_DEP_3)
	v_lshlrev_b32_e32 v3, 20, v4
	v_lshl_add_u32 v1, v1, 23, 0x3c000000
	s_delay_alu instid0(VALU_DEP_3) | instskip(NEXT) | instid1(VALU_DEP_1)
	v_and_b32_e32 v2, 0x80000000, v2
	v_or3_b32 v4, v3, v2, v1
	v_mov_b32_e32 v1, v5
	s_clause 0x1
	scratch_store_b64 off, v[0:1], s32 offset:192
	scratch_store_b64 off, v[4:5], s32 offset:852
.LBB230_656:                            ;   in Loop: Header=BB230_10 Depth=1
	s_wait_xcnt 0x0
	s_or_b32 exec_lo, exec_lo, s11
.LBB230_657:                            ;   in Loop: Header=BB230_10 Depth=1
	s_delay_alu instid0(SALU_CYCLE_1)
	s_or_b32 exec_lo, exec_lo, s9
.LBB230_658:                            ;   in Loop: Header=BB230_10 Depth=1
	s_delay_alu instid0(SALU_CYCLE_1) | instskip(SKIP_2) | instid1(VALU_DEP_1)
	s_or_b32 exec_lo, exec_lo, s8
	v_lshrrev_b16 v1, 8, v0
	s_mov_b32 s8, exec_lo
	v_cmpx_ne_u16_e32 0, v1
	s_cbranch_execz .LBB230_666
; %bb.659:                              ;   in Loop: Header=BB230_10 Depth=1
	v_mov_b64_e32 v[2:3], 0x8000000000000000
	s_mov_b32 s9, exec_lo
	scratch_store_b64 off, v[2:3], s32 offset:876 ; 8-byte Folded Spill
	s_wait_xcnt 0x0
	v_cmpx_ne_u16_e32 0x80, v1
	s_cbranch_execz .LBB230_665
; %bb.660:                              ;   in Loop: Header=BB230_10 Depth=1
	v_and_b32_e32 v1, 0xffff, v1
	v_mov_b64_e32 v[4:5], 0x7f80000100000000
	s_mov_b32 s11, exec_lo
	s_delay_alu instid0(VALU_DEP_2)
	v_and_b32_e32 v2, 0x7f, v1
	scratch_store_b64 off, v[4:5], s32 offset:876 ; 8-byte Folded Spill
	s_wait_xcnt 0x0
	v_cmpx_ne_u32_e32 0x7f, v2
	s_cbranch_execz .LBB230_664
; %bb.661:                              ;   in Loop: Header=BB230_10 Depth=1
	scratch_load_b64 v[4:5], off, s32 offset:192 th:TH_LOAD_LU ; 8-byte Folded Reload
	s_wait_loadcnt 0x0
	v_dual_lshrrev_b32 v1, 3, v2 :: v_dual_bitop2_b32 v4, 7, v1 bitop3:0x40
	s_mov_b32 s16, exec_lo
	s_wait_xcnt 0x0
	v_cmpx_gt_u32_e32 8, v2
; %bb.662:                              ;   in Loop: Header=BB230_10 Depth=1
	s_delay_alu instid0(VALU_DEP_2) | instskip(NEXT) | instid1(VALU_DEP_1)
	v_clz_i32_u32_e32 v1, v4
	v_min_u32_e32 v1, 32, v1
	s_delay_alu instid0(VALU_DEP_1) | instskip(NEXT) | instid1(VALU_DEP_1)
	v_subrev_nc_u32_e32 v2, 28, v1
	v_lshlrev_b64_e32 v[2:3], v2, v[4:5]
	s_delay_alu instid0(VALU_DEP_1)
	v_dual_sub_nc_u32 v1, 29, v1 :: v_dual_bitop2_b32 v4, 7, v2 bitop3:0x40
; %bb.663:                              ;   in Loop: Header=BB230_10 Depth=1
	s_or_b32 exec_lo, exec_lo, s16
	v_lshlrev_b32_e32 v2, 16, v0
	s_delay_alu instid0(VALU_DEP_2) | instskip(NEXT) | instid1(VALU_DEP_3)
	v_lshlrev_b32_e32 v3, 20, v4
	v_lshl_add_u32 v1, v1, 23, 0x3c000000
	s_delay_alu instid0(VALU_DEP_3) | instskip(NEXT) | instid1(VALU_DEP_1)
	v_and_b32_e32 v2, 0x80000000, v2
	v_or3_b32 v3, v3, v2, v1
	v_dual_mov_b32 v1, v5 :: v_dual_mov_b32 v2, v5
	s_clause 0x1
	scratch_store_b64 off, v[0:1], s32 offset:192
	scratch_store_b64 off, v[2:3], s32 offset:876
.LBB230_664:                            ;   in Loop: Header=BB230_10 Depth=1
	s_wait_xcnt 0x0
	s_or_b32 exec_lo, exec_lo, s11
.LBB230_665:                            ;   in Loop: Header=BB230_10 Depth=1
	s_delay_alu instid0(SALU_CYCLE_1)
	s_or_b32 exec_lo, exec_lo, s9
.LBB230_666:                            ;   in Loop: Header=BB230_10 Depth=1
	s_delay_alu instid0(SALU_CYCLE_1) | instskip(SKIP_3) | instid1(VALU_DEP_1)
	s_or_b32 exec_lo, exec_lo, s8
	v_mov_b64_e32 v[4:5], 0
	v_lshrrev_b32_e32 v1, 16, v0
	s_mov_b32 s8, exec_lo
	v_and_b32_e32 v2, 0xff, v1
	scratch_store_b64 off, v[4:5], s32 offset:860 ; 8-byte Folded Spill
	s_wait_xcnt 0x0
	v_mov_b64_e32 v[4:5], 0
	scratch_store_b64 off, v[4:5], s32 offset:868 ; 8-byte Folded Spill
	s_wait_xcnt 0x0
	v_cmpx_ne_u16_e32 0, v2
	s_cbranch_execz .LBB230_674
; %bb.667:                              ;   in Loop: Header=BB230_10 Depth=1
	v_cmp_ne_u16_e64 s1, 0x80, v2
	v_mov_b64_e32 v[2:3], 0x80000000
	scratch_store_b64 off, v[2:3], s32 offset:868 ; 8-byte Folded Spill
	s_wait_xcnt 0x0
	s_and_saveexec_b32 s9, s1
	s_cbranch_execz .LBB230_673
; %bb.668:                              ;   in Loop: Header=BB230_10 Depth=1
	v_mov_b64_e32 v[4:5], 0x7f800001
	v_bfe_u32 v3, v0, 16, 7
	s_mov_b32 s11, exec_lo
	scratch_store_b64 off, v[4:5], s32 offset:868 ; 8-byte Folded Spill
	s_wait_xcnt 0x0
	v_cmpx_ne_u32_e32 0x7f, v3
	s_cbranch_execz .LBB230_672
; %bb.669:                              ;   in Loop: Header=BB230_10 Depth=1
	scratch_load_b64 v[6:7], off, s32 offset:192 th:TH_LOAD_LU ; 8-byte Folded Reload
	s_wait_loadcnt 0x0
	v_dual_lshrrev_b32 v2, 3, v3 :: v_dual_bitop2_b32 v6, 7, v1 bitop3:0x40
	s_mov_b32 s16, exec_lo
	s_wait_xcnt 0x0
	v_cmpx_gt_u32_e32 8, v3
; %bb.670:                              ;   in Loop: Header=BB230_10 Depth=1
	s_delay_alu instid0(VALU_DEP_2) | instskip(NEXT) | instid1(VALU_DEP_1)
	v_clz_i32_u32_e32 v2, v6
	v_min_u32_e32 v2, 32, v2
	s_delay_alu instid0(VALU_DEP_1) | instskip(NEXT) | instid1(VALU_DEP_1)
	v_subrev_nc_u32_e32 v3, 28, v2
	v_lshlrev_b64_e32 v[4:5], v3, v[6:7]
	s_delay_alu instid0(VALU_DEP_1)
	v_dual_sub_nc_u32 v2, 29, v2 :: v_dual_bitop2_b32 v6, 7, v4 bitop3:0x40
; %bb.671:                              ;   in Loop: Header=BB230_10 Depth=1
	s_or_b32 exec_lo, exec_lo, s16
	s_delay_alu instid0(VALU_DEP_1) | instskip(NEXT) | instid1(VALU_DEP_2)
	v_dual_lshlrev_b32 v1, 24, v1 :: v_dual_lshlrev_b32 v3, 20, v6
	v_lshl_add_u32 v2, v2, 23, 0x3c000000
	s_delay_alu instid0(VALU_DEP_2) | instskip(NEXT) | instid1(VALU_DEP_1)
	v_and_b32_e32 v1, 0x80000000, v1
	v_or3_b32 v6, v3, v1, v2
	v_mov_b32_e32 v1, v7
	s_clause 0x1
	scratch_store_b64 off, v[0:1], s32 offset:192
	scratch_store_b64 off, v[6:7], s32 offset:868
.LBB230_672:                            ;   in Loop: Header=BB230_10 Depth=1
	s_wait_xcnt 0x0
	s_or_b32 exec_lo, exec_lo, s11
.LBB230_673:                            ;   in Loop: Header=BB230_10 Depth=1
	s_delay_alu instid0(SALU_CYCLE_1)
	s_or_b32 exec_lo, exec_lo, s9
.LBB230_674:                            ;   in Loop: Header=BB230_10 Depth=1
	s_delay_alu instid0(SALU_CYCLE_1) | instskip(NEXT) | instid1(SALU_CYCLE_1)
	s_or_b32 exec_lo, exec_lo, s8
	s_mov_b32 s8, exec_lo
	v_cmpx_lt_u32_e32 0xffffff, v0
	s_cbranch_execz .LBB230_682
; %bb.675:                              ;   in Loop: Header=BB230_10 Depth=1
	v_mov_b64_e32 v[2:3], 0x8000000000000000
	v_lshrrev_b32_e32 v1, 24, v0
	s_mov_b32 s9, exec_lo
	scratch_store_b64 off, v[2:3], s32 offset:860 ; 8-byte Folded Spill
	s_wait_xcnt 0x0
	v_cmpx_ne_u32_e32 0x80, v1
	s_cbranch_execz .LBB230_681
; %bb.676:                              ;   in Loop: Header=BB230_10 Depth=1
	v_mov_b64_e32 v[4:5], 0x7f80000100000000
	v_bfe_u32 v2, v0, 24, 7
	s_mov_b32 s11, exec_lo
	scratch_store_b64 off, v[4:5], s32 offset:860 ; 8-byte Folded Spill
	s_wait_xcnt 0x0
	v_cmpx_ne_u32_e32 0x7f, v2
	s_cbranch_execz .LBB230_680
; %bb.677:                              ;   in Loop: Header=BB230_10 Depth=1
	scratch_load_b64 v[4:5], off, s32 offset:192 th:TH_LOAD_LU ; 8-byte Folded Reload
	s_wait_loadcnt 0x0
	v_dual_lshrrev_b32 v0, 3, v2 :: v_dual_bitop2_b32 v4, 7, v1 bitop3:0x40
	s_mov_b32 s16, exec_lo
	s_wait_xcnt 0x0
	v_cmpx_gt_u32_e32 8, v2
; %bb.678:                              ;   in Loop: Header=BB230_10 Depth=1
	s_delay_alu instid0(VALU_DEP_2) | instskip(NEXT) | instid1(VALU_DEP_1)
	v_clz_i32_u32_e32 v0, v4
	v_min_u32_e32 v0, 32, v0
	s_delay_alu instid0(VALU_DEP_1) | instskip(NEXT) | instid1(VALU_DEP_1)
	v_subrev_nc_u32_e32 v2, 28, v0
	v_lshlrev_b64_e32 v[2:3], v2, v[4:5]
	s_delay_alu instid0(VALU_DEP_1)
	v_dual_sub_nc_u32 v0, 29, v0 :: v_dual_bitop2_b32 v4, 7, v2 bitop3:0x40
; %bb.679:                              ;   in Loop: Header=BB230_10 Depth=1
	s_or_b32 exec_lo, exec_lo, s16
	s_delay_alu instid0(VALU_DEP_1) | instskip(NEXT) | instid1(VALU_DEP_2)
	v_dual_lshlrev_b32 v1, 24, v1 :: v_dual_lshlrev_b32 v2, 20, v4
	v_lshl_add_u32 v0, v0, 23, 0x3c000000
	s_delay_alu instid0(VALU_DEP_2) | instskip(NEXT) | instid1(VALU_DEP_1)
	v_and_b32_e32 v1, 0x80000000, v1
	v_or3_b32 v3, v2, v1, v0
	v_dual_mov_b32 v1, v5 :: v_dual_mov_b32 v2, v5
	s_clause 0x1
	scratch_store_b64 off, v[0:1], s32 offset:192
	scratch_store_b64 off, v[2:3], s32 offset:860
.LBB230_680:                            ;   in Loop: Header=BB230_10 Depth=1
	s_wait_xcnt 0x0
	s_or_b32 exec_lo, exec_lo, s11
.LBB230_681:                            ;   in Loop: Header=BB230_10 Depth=1
	s_delay_alu instid0(SALU_CYCLE_1)
	s_or_b32 exec_lo, exec_lo, s9
.LBB230_682:                            ;   in Loop: Header=BB230_10 Depth=1
	s_delay_alu instid0(SALU_CYCLE_1)
	s_or_b32 exec_lo, exec_lo, s8
	flat_load_b32 v0, v[92:93] offset:2564
	v_mov_b64_e32 v[2:3], 0
	s_mov_b32 s8, exec_lo
	scratch_store_b64 off, v[2:3], s32 offset:908 ; 8-byte Folded Spill
	s_wait_xcnt 0x0
	v_mov_b64_e32 v[2:3], 0
	scratch_store_b64 off, v[2:3], s32 offset:884 ; 8-byte Folded Spill
	s_wait_loadcnt_dscnt 0x0
	v_and_b32_e32 v1, 0xff, v0
	s_wait_xcnt 0x0
	s_delay_alu instid0(VALU_DEP_1)
	v_cmpx_ne_u16_e32 0, v1
	s_cbranch_execz .LBB230_690
; %bb.683:                              ;   in Loop: Header=BB230_10 Depth=1
	v_mov_b64_e32 v[2:3], 0x80000000
	s_mov_b32 s9, exec_lo
	scratch_store_b64 off, v[2:3], s32 offset:884 ; 8-byte Folded Spill
	s_wait_xcnt 0x0
	v_cmpx_ne_u16_e32 0x80, v1
	s_cbranch_execz .LBB230_689
; %bb.684:                              ;   in Loop: Header=BB230_10 Depth=1
	v_mov_b64_e32 v[4:5], 0x7f800001
	v_and_b32_e32 v2, 0x7f, v0
	s_mov_b32 s11, exec_lo
	scratch_store_b64 off, v[4:5], s32 offset:884 ; 8-byte Folded Spill
	s_wait_xcnt 0x0
	v_cmpx_ne_u32_e32 0x7f, v2
	s_cbranch_execz .LBB230_688
; %bb.685:                              ;   in Loop: Header=BB230_10 Depth=1
	scratch_load_b64 v[4:5], off, s32 offset:192 th:TH_LOAD_LU ; 8-byte Folded Reload
	s_wait_loadcnt 0x0
	v_dual_lshrrev_b32 v1, 3, v2 :: v_dual_bitop2_b32 v4, 7, v0 bitop3:0x40
	s_mov_b32 s16, exec_lo
	s_wait_xcnt 0x0
	v_cmpx_gt_u32_e32 8, v2
; %bb.686:                              ;   in Loop: Header=BB230_10 Depth=1
	s_delay_alu instid0(VALU_DEP_2) | instskip(NEXT) | instid1(VALU_DEP_1)
	v_clz_i32_u32_e32 v1, v4
	v_min_u32_e32 v1, 32, v1
	s_delay_alu instid0(VALU_DEP_1) | instskip(NEXT) | instid1(VALU_DEP_1)
	v_subrev_nc_u32_e32 v2, 28, v1
	v_lshlrev_b64_e32 v[2:3], v2, v[4:5]
	s_delay_alu instid0(VALU_DEP_1)
	v_dual_sub_nc_u32 v1, 29, v1 :: v_dual_bitop2_b32 v4, 7, v2 bitop3:0x40
; %bb.687:                              ;   in Loop: Header=BB230_10 Depth=1
	s_or_b32 exec_lo, exec_lo, s16
	v_lshlrev_b32_e32 v2, 24, v0
	s_delay_alu instid0(VALU_DEP_2) | instskip(NEXT) | instid1(VALU_DEP_3)
	v_lshlrev_b32_e32 v3, 20, v4
	v_lshl_add_u32 v1, v1, 23, 0x3c000000
	s_delay_alu instid0(VALU_DEP_3) | instskip(NEXT) | instid1(VALU_DEP_1)
	v_and_b32_e32 v2, 0x80000000, v2
	v_or3_b32 v4, v3, v2, v1
	v_mov_b32_e32 v1, v5
	s_clause 0x1
	scratch_store_b64 off, v[0:1], s32 offset:192
	scratch_store_b64 off, v[4:5], s32 offset:884
.LBB230_688:                            ;   in Loop: Header=BB230_10 Depth=1
	s_wait_xcnt 0x0
	s_or_b32 exec_lo, exec_lo, s11
.LBB230_689:                            ;   in Loop: Header=BB230_10 Depth=1
	s_delay_alu instid0(SALU_CYCLE_1)
	s_or_b32 exec_lo, exec_lo, s9
.LBB230_690:                            ;   in Loop: Header=BB230_10 Depth=1
	s_delay_alu instid0(SALU_CYCLE_1) | instskip(SKIP_2) | instid1(VALU_DEP_1)
	s_or_b32 exec_lo, exec_lo, s8
	v_lshrrev_b16 v1, 8, v0
	s_mov_b32 s8, exec_lo
	v_cmpx_ne_u16_e32 0, v1
	s_cbranch_execz .LBB230_698
; %bb.691:                              ;   in Loop: Header=BB230_10 Depth=1
	v_mov_b64_e32 v[2:3], 0x8000000000000000
	s_mov_b32 s9, exec_lo
	scratch_store_b64 off, v[2:3], s32 offset:908 ; 8-byte Folded Spill
	s_wait_xcnt 0x0
	v_cmpx_ne_u16_e32 0x80, v1
	s_cbranch_execz .LBB230_697
; %bb.692:                              ;   in Loop: Header=BB230_10 Depth=1
	v_and_b32_e32 v1, 0xffff, v1
	v_mov_b64_e32 v[4:5], 0x7f80000100000000
	s_mov_b32 s11, exec_lo
	s_delay_alu instid0(VALU_DEP_2)
	v_and_b32_e32 v2, 0x7f, v1
	scratch_store_b64 off, v[4:5], s32 offset:908 ; 8-byte Folded Spill
	s_wait_xcnt 0x0
	v_cmpx_ne_u32_e32 0x7f, v2
	s_cbranch_execz .LBB230_696
; %bb.693:                              ;   in Loop: Header=BB230_10 Depth=1
	scratch_load_b64 v[4:5], off, s32 offset:192 th:TH_LOAD_LU ; 8-byte Folded Reload
	s_wait_loadcnt 0x0
	v_dual_lshrrev_b32 v1, 3, v2 :: v_dual_bitop2_b32 v4, 7, v1 bitop3:0x40
	s_mov_b32 s16, exec_lo
	s_wait_xcnt 0x0
	v_cmpx_gt_u32_e32 8, v2
; %bb.694:                              ;   in Loop: Header=BB230_10 Depth=1
	s_delay_alu instid0(VALU_DEP_2) | instskip(NEXT) | instid1(VALU_DEP_1)
	v_clz_i32_u32_e32 v1, v4
	v_min_u32_e32 v1, 32, v1
	s_delay_alu instid0(VALU_DEP_1) | instskip(NEXT) | instid1(VALU_DEP_1)
	v_subrev_nc_u32_e32 v2, 28, v1
	v_lshlrev_b64_e32 v[2:3], v2, v[4:5]
	s_delay_alu instid0(VALU_DEP_1)
	v_dual_sub_nc_u32 v1, 29, v1 :: v_dual_bitop2_b32 v4, 7, v2 bitop3:0x40
; %bb.695:                              ;   in Loop: Header=BB230_10 Depth=1
	s_or_b32 exec_lo, exec_lo, s16
	v_lshlrev_b32_e32 v2, 16, v0
	s_delay_alu instid0(VALU_DEP_2) | instskip(NEXT) | instid1(VALU_DEP_3)
	v_lshlrev_b32_e32 v3, 20, v4
	v_lshl_add_u32 v1, v1, 23, 0x3c000000
	s_delay_alu instid0(VALU_DEP_3) | instskip(NEXT) | instid1(VALU_DEP_1)
	v_and_b32_e32 v2, 0x80000000, v2
	v_or3_b32 v3, v3, v2, v1
	v_dual_mov_b32 v1, v5 :: v_dual_mov_b32 v2, v5
	s_clause 0x1
	scratch_store_b64 off, v[0:1], s32 offset:192
	scratch_store_b64 off, v[2:3], s32 offset:908
.LBB230_696:                            ;   in Loop: Header=BB230_10 Depth=1
	s_wait_xcnt 0x0
	s_or_b32 exec_lo, exec_lo, s11
.LBB230_697:                            ;   in Loop: Header=BB230_10 Depth=1
	s_delay_alu instid0(SALU_CYCLE_1)
	s_or_b32 exec_lo, exec_lo, s9
.LBB230_698:                            ;   in Loop: Header=BB230_10 Depth=1
	s_delay_alu instid0(SALU_CYCLE_1) | instskip(SKIP_3) | instid1(VALU_DEP_1)
	s_or_b32 exec_lo, exec_lo, s8
	v_mov_b64_e32 v[4:5], 0
	v_lshrrev_b32_e32 v1, 16, v0
	s_mov_b32 s8, exec_lo
	v_and_b32_e32 v2, 0xff, v1
	scratch_store_b64 off, v[4:5], s32 offset:892 ; 8-byte Folded Spill
	s_wait_xcnt 0x0
	v_mov_b64_e32 v[4:5], 0
	scratch_store_b64 off, v[4:5], s32 offset:900 ; 8-byte Folded Spill
	s_wait_xcnt 0x0
	v_cmpx_ne_u16_e32 0, v2
	s_cbranch_execz .LBB230_706
; %bb.699:                              ;   in Loop: Header=BB230_10 Depth=1
	v_cmp_ne_u16_e64 s1, 0x80, v2
	v_mov_b64_e32 v[2:3], 0x80000000
	scratch_store_b64 off, v[2:3], s32 offset:900 ; 8-byte Folded Spill
	s_wait_xcnt 0x0
	s_and_saveexec_b32 s9, s1
	s_cbranch_execz .LBB230_705
; %bb.700:                              ;   in Loop: Header=BB230_10 Depth=1
	v_mov_b64_e32 v[4:5], 0x7f800001
	v_bfe_u32 v3, v0, 16, 7
	s_mov_b32 s11, exec_lo
	scratch_store_b64 off, v[4:5], s32 offset:900 ; 8-byte Folded Spill
	s_wait_xcnt 0x0
	v_cmpx_ne_u32_e32 0x7f, v3
	s_cbranch_execz .LBB230_704
; %bb.701:                              ;   in Loop: Header=BB230_10 Depth=1
	scratch_load_b64 v[6:7], off, s32 offset:192 th:TH_LOAD_LU ; 8-byte Folded Reload
	s_wait_loadcnt 0x0
	v_dual_lshrrev_b32 v2, 3, v3 :: v_dual_bitop2_b32 v6, 7, v1 bitop3:0x40
	s_mov_b32 s16, exec_lo
	s_wait_xcnt 0x0
	v_cmpx_gt_u32_e32 8, v3
; %bb.702:                              ;   in Loop: Header=BB230_10 Depth=1
	s_delay_alu instid0(VALU_DEP_2) | instskip(NEXT) | instid1(VALU_DEP_1)
	v_clz_i32_u32_e32 v2, v6
	v_min_u32_e32 v2, 32, v2
	s_delay_alu instid0(VALU_DEP_1) | instskip(NEXT) | instid1(VALU_DEP_1)
	v_subrev_nc_u32_e32 v3, 28, v2
	v_lshlrev_b64_e32 v[4:5], v3, v[6:7]
	s_delay_alu instid0(VALU_DEP_1)
	v_dual_sub_nc_u32 v2, 29, v2 :: v_dual_bitop2_b32 v6, 7, v4 bitop3:0x40
; %bb.703:                              ;   in Loop: Header=BB230_10 Depth=1
	s_or_b32 exec_lo, exec_lo, s16
	s_delay_alu instid0(VALU_DEP_1) | instskip(NEXT) | instid1(VALU_DEP_2)
	v_dual_lshlrev_b32 v1, 24, v1 :: v_dual_lshlrev_b32 v3, 20, v6
	v_lshl_add_u32 v2, v2, 23, 0x3c000000
	s_delay_alu instid0(VALU_DEP_2) | instskip(NEXT) | instid1(VALU_DEP_1)
	v_and_b32_e32 v1, 0x80000000, v1
	v_or3_b32 v6, v3, v1, v2
	v_mov_b32_e32 v1, v7
	s_clause 0x1
	scratch_store_b64 off, v[0:1], s32 offset:192
	scratch_store_b64 off, v[6:7], s32 offset:900
.LBB230_704:                            ;   in Loop: Header=BB230_10 Depth=1
	s_wait_xcnt 0x0
	s_or_b32 exec_lo, exec_lo, s11
.LBB230_705:                            ;   in Loop: Header=BB230_10 Depth=1
	s_delay_alu instid0(SALU_CYCLE_1)
	s_or_b32 exec_lo, exec_lo, s9
.LBB230_706:                            ;   in Loop: Header=BB230_10 Depth=1
	s_delay_alu instid0(SALU_CYCLE_1) | instskip(NEXT) | instid1(SALU_CYCLE_1)
	s_or_b32 exec_lo, exec_lo, s8
	s_mov_b32 s8, exec_lo
	v_cmpx_lt_u32_e32 0xffffff, v0
	s_cbranch_execz .LBB230_714
; %bb.707:                              ;   in Loop: Header=BB230_10 Depth=1
	v_mov_b64_e32 v[2:3], 0x8000000000000000
	v_lshrrev_b32_e32 v1, 24, v0
	s_mov_b32 s9, exec_lo
	scratch_store_b64 off, v[2:3], s32 offset:892 ; 8-byte Folded Spill
	s_wait_xcnt 0x0
	v_cmpx_ne_u32_e32 0x80, v1
	s_cbranch_execz .LBB230_713
; %bb.708:                              ;   in Loop: Header=BB230_10 Depth=1
	v_mov_b64_e32 v[4:5], 0x7f80000100000000
	v_bfe_u32 v2, v0, 24, 7
	s_mov_b32 s11, exec_lo
	scratch_store_b64 off, v[4:5], s32 offset:892 ; 8-byte Folded Spill
	s_wait_xcnt 0x0
	v_cmpx_ne_u32_e32 0x7f, v2
	s_cbranch_execz .LBB230_712
; %bb.709:                              ;   in Loop: Header=BB230_10 Depth=1
	scratch_load_b64 v[4:5], off, s32 offset:192 th:TH_LOAD_LU ; 8-byte Folded Reload
	s_wait_loadcnt 0x0
	v_dual_lshrrev_b32 v0, 3, v2 :: v_dual_bitop2_b32 v4, 7, v1 bitop3:0x40
	s_mov_b32 s16, exec_lo
	s_wait_xcnt 0x0
	v_cmpx_gt_u32_e32 8, v2
; %bb.710:                              ;   in Loop: Header=BB230_10 Depth=1
	s_delay_alu instid0(VALU_DEP_2) | instskip(NEXT) | instid1(VALU_DEP_1)
	v_clz_i32_u32_e32 v0, v4
	v_min_u32_e32 v0, 32, v0
	s_delay_alu instid0(VALU_DEP_1) | instskip(NEXT) | instid1(VALU_DEP_1)
	v_subrev_nc_u32_e32 v2, 28, v0
	v_lshlrev_b64_e32 v[2:3], v2, v[4:5]
	s_delay_alu instid0(VALU_DEP_1)
	v_dual_sub_nc_u32 v0, 29, v0 :: v_dual_bitop2_b32 v4, 7, v2 bitop3:0x40
; %bb.711:                              ;   in Loop: Header=BB230_10 Depth=1
	s_or_b32 exec_lo, exec_lo, s16
	s_delay_alu instid0(VALU_DEP_1) | instskip(NEXT) | instid1(VALU_DEP_2)
	v_dual_lshlrev_b32 v1, 24, v1 :: v_dual_lshlrev_b32 v2, 20, v4
	v_lshl_add_u32 v0, v0, 23, 0x3c000000
	s_delay_alu instid0(VALU_DEP_2) | instskip(NEXT) | instid1(VALU_DEP_1)
	v_and_b32_e32 v1, 0x80000000, v1
	v_or3_b32 v3, v2, v1, v0
	v_dual_mov_b32 v1, v5 :: v_dual_mov_b32 v2, v5
	s_clause 0x1
	scratch_store_b64 off, v[0:1], s32 offset:192
	scratch_store_b64 off, v[2:3], s32 offset:892
.LBB230_712:                            ;   in Loop: Header=BB230_10 Depth=1
	s_wait_xcnt 0x0
	s_or_b32 exec_lo, exec_lo, s11
.LBB230_713:                            ;   in Loop: Header=BB230_10 Depth=1
	s_delay_alu instid0(SALU_CYCLE_1)
	s_or_b32 exec_lo, exec_lo, s9
.LBB230_714:                            ;   in Loop: Header=BB230_10 Depth=1
	s_delay_alu instid0(SALU_CYCLE_1)
	s_or_b32 exec_lo, exec_lo, s8
	flat_load_b32 v0, v[92:93] offset:2568
	v_mov_b64_e32 v[2:3], 0
	s_mov_b32 s8, exec_lo
	scratch_store_b64 off, v[2:3], s32 offset:940 ; 8-byte Folded Spill
	s_wait_xcnt 0x0
	v_mov_b64_e32 v[2:3], 0
	scratch_store_b64 off, v[2:3], s32 offset:916 ; 8-byte Folded Spill
	s_wait_loadcnt_dscnt 0x0
	v_and_b32_e32 v1, 0xff, v0
	s_wait_xcnt 0x0
	s_delay_alu instid0(VALU_DEP_1)
	v_cmpx_ne_u16_e32 0, v1
	s_cbranch_execz .LBB230_722
; %bb.715:                              ;   in Loop: Header=BB230_10 Depth=1
	v_mov_b64_e32 v[2:3], 0x80000000
	s_mov_b32 s9, exec_lo
	scratch_store_b64 off, v[2:3], s32 offset:916 ; 8-byte Folded Spill
	s_wait_xcnt 0x0
	v_cmpx_ne_u16_e32 0x80, v1
	s_cbranch_execz .LBB230_721
; %bb.716:                              ;   in Loop: Header=BB230_10 Depth=1
	v_mov_b64_e32 v[4:5], 0x7f800001
	v_and_b32_e32 v2, 0x7f, v0
	s_mov_b32 s11, exec_lo
	scratch_store_b64 off, v[4:5], s32 offset:916 ; 8-byte Folded Spill
	s_wait_xcnt 0x0
	v_cmpx_ne_u32_e32 0x7f, v2
	s_cbranch_execz .LBB230_720
; %bb.717:                              ;   in Loop: Header=BB230_10 Depth=1
	scratch_load_b64 v[4:5], off, s32 offset:192 th:TH_LOAD_LU ; 8-byte Folded Reload
	s_wait_loadcnt 0x0
	v_dual_lshrrev_b32 v1, 3, v2 :: v_dual_bitop2_b32 v4, 7, v0 bitop3:0x40
	s_mov_b32 s16, exec_lo
	s_wait_xcnt 0x0
	v_cmpx_gt_u32_e32 8, v2
; %bb.718:                              ;   in Loop: Header=BB230_10 Depth=1
	s_delay_alu instid0(VALU_DEP_2) | instskip(NEXT) | instid1(VALU_DEP_1)
	v_clz_i32_u32_e32 v1, v4
	v_min_u32_e32 v1, 32, v1
	s_delay_alu instid0(VALU_DEP_1) | instskip(NEXT) | instid1(VALU_DEP_1)
	v_subrev_nc_u32_e32 v2, 28, v1
	v_lshlrev_b64_e32 v[2:3], v2, v[4:5]
	s_delay_alu instid0(VALU_DEP_1)
	v_dual_sub_nc_u32 v1, 29, v1 :: v_dual_bitop2_b32 v4, 7, v2 bitop3:0x40
; %bb.719:                              ;   in Loop: Header=BB230_10 Depth=1
	s_or_b32 exec_lo, exec_lo, s16
	v_lshlrev_b32_e32 v2, 24, v0
	s_delay_alu instid0(VALU_DEP_2) | instskip(NEXT) | instid1(VALU_DEP_3)
	v_lshlrev_b32_e32 v3, 20, v4
	v_lshl_add_u32 v1, v1, 23, 0x3c000000
	s_delay_alu instid0(VALU_DEP_3) | instskip(NEXT) | instid1(VALU_DEP_1)
	v_and_b32_e32 v2, 0x80000000, v2
	v_or3_b32 v4, v3, v2, v1
	v_mov_b32_e32 v1, v5
	s_clause 0x1
	scratch_store_b64 off, v[0:1], s32 offset:192
	scratch_store_b64 off, v[4:5], s32 offset:916
.LBB230_720:                            ;   in Loop: Header=BB230_10 Depth=1
	s_wait_xcnt 0x0
	s_or_b32 exec_lo, exec_lo, s11
.LBB230_721:                            ;   in Loop: Header=BB230_10 Depth=1
	s_delay_alu instid0(SALU_CYCLE_1)
	s_or_b32 exec_lo, exec_lo, s9
.LBB230_722:                            ;   in Loop: Header=BB230_10 Depth=1
	s_delay_alu instid0(SALU_CYCLE_1) | instskip(SKIP_2) | instid1(VALU_DEP_1)
	s_or_b32 exec_lo, exec_lo, s8
	v_lshrrev_b16 v1, 8, v0
	s_mov_b32 s8, exec_lo
	v_cmpx_ne_u16_e32 0, v1
	s_cbranch_execz .LBB230_730
; %bb.723:                              ;   in Loop: Header=BB230_10 Depth=1
	v_mov_b64_e32 v[2:3], 0x8000000000000000
	s_mov_b32 s9, exec_lo
	scratch_store_b64 off, v[2:3], s32 offset:940 ; 8-byte Folded Spill
	s_wait_xcnt 0x0
	v_cmpx_ne_u16_e32 0x80, v1
	s_cbranch_execz .LBB230_729
; %bb.724:                              ;   in Loop: Header=BB230_10 Depth=1
	v_and_b32_e32 v1, 0xffff, v1
	v_mov_b64_e32 v[4:5], 0x7f80000100000000
	s_mov_b32 s11, exec_lo
	s_delay_alu instid0(VALU_DEP_2)
	v_and_b32_e32 v2, 0x7f, v1
	scratch_store_b64 off, v[4:5], s32 offset:940 ; 8-byte Folded Spill
	s_wait_xcnt 0x0
	v_cmpx_ne_u32_e32 0x7f, v2
	s_cbranch_execz .LBB230_728
; %bb.725:                              ;   in Loop: Header=BB230_10 Depth=1
	scratch_load_b64 v[4:5], off, s32 offset:192 th:TH_LOAD_LU ; 8-byte Folded Reload
	s_wait_loadcnt 0x0
	v_dual_lshrrev_b32 v1, 3, v2 :: v_dual_bitop2_b32 v4, 7, v1 bitop3:0x40
	s_mov_b32 s16, exec_lo
	s_wait_xcnt 0x0
	v_cmpx_gt_u32_e32 8, v2
; %bb.726:                              ;   in Loop: Header=BB230_10 Depth=1
	s_delay_alu instid0(VALU_DEP_2) | instskip(NEXT) | instid1(VALU_DEP_1)
	v_clz_i32_u32_e32 v1, v4
	v_min_u32_e32 v1, 32, v1
	s_delay_alu instid0(VALU_DEP_1) | instskip(NEXT) | instid1(VALU_DEP_1)
	v_subrev_nc_u32_e32 v2, 28, v1
	v_lshlrev_b64_e32 v[2:3], v2, v[4:5]
	s_delay_alu instid0(VALU_DEP_1)
	v_dual_sub_nc_u32 v1, 29, v1 :: v_dual_bitop2_b32 v4, 7, v2 bitop3:0x40
; %bb.727:                              ;   in Loop: Header=BB230_10 Depth=1
	s_or_b32 exec_lo, exec_lo, s16
	v_lshlrev_b32_e32 v2, 16, v0
	s_delay_alu instid0(VALU_DEP_2) | instskip(NEXT) | instid1(VALU_DEP_3)
	v_lshlrev_b32_e32 v3, 20, v4
	v_lshl_add_u32 v1, v1, 23, 0x3c000000
	s_delay_alu instid0(VALU_DEP_3) | instskip(NEXT) | instid1(VALU_DEP_1)
	v_and_b32_e32 v2, 0x80000000, v2
	v_or3_b32 v3, v3, v2, v1
	v_dual_mov_b32 v1, v5 :: v_dual_mov_b32 v2, v5
	s_clause 0x1
	scratch_store_b64 off, v[0:1], s32 offset:192
	scratch_store_b64 off, v[2:3], s32 offset:940
.LBB230_728:                            ;   in Loop: Header=BB230_10 Depth=1
	s_wait_xcnt 0x0
	s_or_b32 exec_lo, exec_lo, s11
.LBB230_729:                            ;   in Loop: Header=BB230_10 Depth=1
	s_delay_alu instid0(SALU_CYCLE_1)
	s_or_b32 exec_lo, exec_lo, s9
.LBB230_730:                            ;   in Loop: Header=BB230_10 Depth=1
	s_delay_alu instid0(SALU_CYCLE_1) | instskip(SKIP_3) | instid1(VALU_DEP_1)
	s_or_b32 exec_lo, exec_lo, s8
	v_mov_b64_e32 v[4:5], 0
	v_lshrrev_b32_e32 v1, 16, v0
	s_mov_b32 s8, exec_lo
	v_and_b32_e32 v2, 0xff, v1
	scratch_store_b64 off, v[4:5], s32 offset:924 ; 8-byte Folded Spill
	s_wait_xcnt 0x0
	v_mov_b64_e32 v[4:5], 0
	scratch_store_b64 off, v[4:5], s32 offset:932 ; 8-byte Folded Spill
	s_wait_xcnt 0x0
	v_cmpx_ne_u16_e32 0, v2
	s_cbranch_execz .LBB230_738
; %bb.731:                              ;   in Loop: Header=BB230_10 Depth=1
	v_cmp_ne_u16_e64 s1, 0x80, v2
	v_mov_b64_e32 v[2:3], 0x80000000
	scratch_store_b64 off, v[2:3], s32 offset:932 ; 8-byte Folded Spill
	s_wait_xcnt 0x0
	s_and_saveexec_b32 s9, s1
	s_cbranch_execz .LBB230_737
; %bb.732:                              ;   in Loop: Header=BB230_10 Depth=1
	v_mov_b64_e32 v[4:5], 0x7f800001
	v_bfe_u32 v3, v0, 16, 7
	s_mov_b32 s11, exec_lo
	scratch_store_b64 off, v[4:5], s32 offset:932 ; 8-byte Folded Spill
	s_wait_xcnt 0x0
	v_cmpx_ne_u32_e32 0x7f, v3
	s_cbranch_execz .LBB230_736
; %bb.733:                              ;   in Loop: Header=BB230_10 Depth=1
	scratch_load_b64 v[6:7], off, s32 offset:192 th:TH_LOAD_LU ; 8-byte Folded Reload
	s_wait_loadcnt 0x0
	v_dual_lshrrev_b32 v2, 3, v3 :: v_dual_bitop2_b32 v6, 7, v1 bitop3:0x40
	s_mov_b32 s16, exec_lo
	s_wait_xcnt 0x0
	v_cmpx_gt_u32_e32 8, v3
; %bb.734:                              ;   in Loop: Header=BB230_10 Depth=1
	s_delay_alu instid0(VALU_DEP_2) | instskip(NEXT) | instid1(VALU_DEP_1)
	v_clz_i32_u32_e32 v2, v6
	v_min_u32_e32 v2, 32, v2
	s_delay_alu instid0(VALU_DEP_1) | instskip(NEXT) | instid1(VALU_DEP_1)
	v_subrev_nc_u32_e32 v3, 28, v2
	v_lshlrev_b64_e32 v[4:5], v3, v[6:7]
	s_delay_alu instid0(VALU_DEP_1)
	v_dual_sub_nc_u32 v2, 29, v2 :: v_dual_bitop2_b32 v6, 7, v4 bitop3:0x40
; %bb.735:                              ;   in Loop: Header=BB230_10 Depth=1
	s_or_b32 exec_lo, exec_lo, s16
	s_delay_alu instid0(VALU_DEP_1) | instskip(NEXT) | instid1(VALU_DEP_2)
	v_dual_lshlrev_b32 v1, 24, v1 :: v_dual_lshlrev_b32 v3, 20, v6
	v_lshl_add_u32 v2, v2, 23, 0x3c000000
	s_delay_alu instid0(VALU_DEP_2) | instskip(NEXT) | instid1(VALU_DEP_1)
	v_and_b32_e32 v1, 0x80000000, v1
	v_or3_b32 v6, v3, v1, v2
	v_mov_b32_e32 v1, v7
	s_clause 0x1
	scratch_store_b64 off, v[0:1], s32 offset:192
	scratch_store_b64 off, v[6:7], s32 offset:932
.LBB230_736:                            ;   in Loop: Header=BB230_10 Depth=1
	s_wait_xcnt 0x0
	s_or_b32 exec_lo, exec_lo, s11
.LBB230_737:                            ;   in Loop: Header=BB230_10 Depth=1
	s_delay_alu instid0(SALU_CYCLE_1)
	s_or_b32 exec_lo, exec_lo, s9
.LBB230_738:                            ;   in Loop: Header=BB230_10 Depth=1
	s_delay_alu instid0(SALU_CYCLE_1) | instskip(NEXT) | instid1(SALU_CYCLE_1)
	s_or_b32 exec_lo, exec_lo, s8
	s_mov_b32 s8, exec_lo
	v_cmpx_lt_u32_e32 0xffffff, v0
	s_cbranch_execz .LBB230_746
; %bb.739:                              ;   in Loop: Header=BB230_10 Depth=1
	v_mov_b64_e32 v[2:3], 0x8000000000000000
	v_lshrrev_b32_e32 v1, 24, v0
	s_mov_b32 s9, exec_lo
	scratch_store_b64 off, v[2:3], s32 offset:924 ; 8-byte Folded Spill
	s_wait_xcnt 0x0
	v_cmpx_ne_u32_e32 0x80, v1
	s_cbranch_execz .LBB230_745
; %bb.740:                              ;   in Loop: Header=BB230_10 Depth=1
	v_mov_b64_e32 v[4:5], 0x7f80000100000000
	v_bfe_u32 v2, v0, 24, 7
	s_mov_b32 s11, exec_lo
	scratch_store_b64 off, v[4:5], s32 offset:924 ; 8-byte Folded Spill
	s_wait_xcnt 0x0
	v_cmpx_ne_u32_e32 0x7f, v2
	s_cbranch_execz .LBB230_744
; %bb.741:                              ;   in Loop: Header=BB230_10 Depth=1
	scratch_load_b64 v[4:5], off, s32 offset:192 th:TH_LOAD_LU ; 8-byte Folded Reload
	s_wait_loadcnt 0x0
	v_dual_lshrrev_b32 v0, 3, v2 :: v_dual_bitop2_b32 v4, 7, v1 bitop3:0x40
	s_mov_b32 s16, exec_lo
	s_wait_xcnt 0x0
	v_cmpx_gt_u32_e32 8, v2
; %bb.742:                              ;   in Loop: Header=BB230_10 Depth=1
	s_delay_alu instid0(VALU_DEP_2) | instskip(NEXT) | instid1(VALU_DEP_1)
	v_clz_i32_u32_e32 v0, v4
	v_min_u32_e32 v0, 32, v0
	s_delay_alu instid0(VALU_DEP_1) | instskip(NEXT) | instid1(VALU_DEP_1)
	v_subrev_nc_u32_e32 v2, 28, v0
	v_lshlrev_b64_e32 v[2:3], v2, v[4:5]
	s_delay_alu instid0(VALU_DEP_1)
	v_dual_sub_nc_u32 v0, 29, v0 :: v_dual_bitop2_b32 v4, 7, v2 bitop3:0x40
; %bb.743:                              ;   in Loop: Header=BB230_10 Depth=1
	s_or_b32 exec_lo, exec_lo, s16
	s_delay_alu instid0(VALU_DEP_1) | instskip(NEXT) | instid1(VALU_DEP_2)
	v_dual_lshlrev_b32 v1, 24, v1 :: v_dual_lshlrev_b32 v2, 20, v4
	v_lshl_add_u32 v0, v0, 23, 0x3c000000
	s_delay_alu instid0(VALU_DEP_2) | instskip(NEXT) | instid1(VALU_DEP_1)
	v_and_b32_e32 v1, 0x80000000, v1
	v_or3_b32 v3, v2, v1, v0
	v_dual_mov_b32 v1, v5 :: v_dual_mov_b32 v2, v5
	s_clause 0x1
	scratch_store_b64 off, v[0:1], s32 offset:192
	scratch_store_b64 off, v[2:3], s32 offset:924
.LBB230_744:                            ;   in Loop: Header=BB230_10 Depth=1
	s_wait_xcnt 0x0
	s_or_b32 exec_lo, exec_lo, s11
.LBB230_745:                            ;   in Loop: Header=BB230_10 Depth=1
	s_delay_alu instid0(SALU_CYCLE_1)
	s_or_b32 exec_lo, exec_lo, s9
.LBB230_746:                            ;   in Loop: Header=BB230_10 Depth=1
	s_delay_alu instid0(SALU_CYCLE_1)
	s_or_b32 exec_lo, exec_lo, s8
	flat_load_b32 v0, v[92:93] offset:2572
	v_mov_b64_e32 v[2:3], 0
	s_mov_b32 s8, exec_lo
	scratch_store_b64 off, v[2:3], s32 offset:972 ; 8-byte Folded Spill
	s_wait_xcnt 0x0
	v_mov_b64_e32 v[2:3], 0
	scratch_store_b64 off, v[2:3], s32 offset:948 ; 8-byte Folded Spill
	s_wait_loadcnt_dscnt 0x0
	v_and_b32_e32 v1, 0xff, v0
	s_wait_xcnt 0x0
	s_delay_alu instid0(VALU_DEP_1)
	v_cmpx_ne_u16_e32 0, v1
	s_cbranch_execz .LBB230_754
; %bb.747:                              ;   in Loop: Header=BB230_10 Depth=1
	v_mov_b64_e32 v[2:3], 0x80000000
	s_mov_b32 s9, exec_lo
	scratch_store_b64 off, v[2:3], s32 offset:948 ; 8-byte Folded Spill
	s_wait_xcnt 0x0
	v_cmpx_ne_u16_e32 0x80, v1
	s_cbranch_execz .LBB230_753
; %bb.748:                              ;   in Loop: Header=BB230_10 Depth=1
	v_mov_b64_e32 v[4:5], 0x7f800001
	v_and_b32_e32 v2, 0x7f, v0
	s_mov_b32 s11, exec_lo
	scratch_store_b64 off, v[4:5], s32 offset:948 ; 8-byte Folded Spill
	s_wait_xcnt 0x0
	v_cmpx_ne_u32_e32 0x7f, v2
	s_cbranch_execz .LBB230_752
; %bb.749:                              ;   in Loop: Header=BB230_10 Depth=1
	scratch_load_b64 v[4:5], off, s32 offset:192 th:TH_LOAD_LU ; 8-byte Folded Reload
	s_wait_loadcnt 0x0
	v_dual_lshrrev_b32 v1, 3, v2 :: v_dual_bitop2_b32 v4, 7, v0 bitop3:0x40
	s_mov_b32 s16, exec_lo
	s_wait_xcnt 0x0
	v_cmpx_gt_u32_e32 8, v2
; %bb.750:                              ;   in Loop: Header=BB230_10 Depth=1
	s_delay_alu instid0(VALU_DEP_2) | instskip(NEXT) | instid1(VALU_DEP_1)
	v_clz_i32_u32_e32 v1, v4
	v_min_u32_e32 v1, 32, v1
	s_delay_alu instid0(VALU_DEP_1) | instskip(NEXT) | instid1(VALU_DEP_1)
	v_subrev_nc_u32_e32 v2, 28, v1
	v_lshlrev_b64_e32 v[2:3], v2, v[4:5]
	s_delay_alu instid0(VALU_DEP_1)
	v_dual_sub_nc_u32 v1, 29, v1 :: v_dual_bitop2_b32 v4, 7, v2 bitop3:0x40
; %bb.751:                              ;   in Loop: Header=BB230_10 Depth=1
	s_or_b32 exec_lo, exec_lo, s16
	v_lshlrev_b32_e32 v2, 24, v0
	s_delay_alu instid0(VALU_DEP_2) | instskip(NEXT) | instid1(VALU_DEP_3)
	v_lshlrev_b32_e32 v3, 20, v4
	v_lshl_add_u32 v1, v1, 23, 0x3c000000
	s_delay_alu instid0(VALU_DEP_3) | instskip(NEXT) | instid1(VALU_DEP_1)
	v_and_b32_e32 v2, 0x80000000, v2
	v_or3_b32 v4, v3, v2, v1
	v_mov_b32_e32 v1, v5
	s_clause 0x1
	scratch_store_b64 off, v[0:1], s32 offset:192
	scratch_store_b64 off, v[4:5], s32 offset:948
.LBB230_752:                            ;   in Loop: Header=BB230_10 Depth=1
	s_wait_xcnt 0x0
	s_or_b32 exec_lo, exec_lo, s11
.LBB230_753:                            ;   in Loop: Header=BB230_10 Depth=1
	s_delay_alu instid0(SALU_CYCLE_1)
	s_or_b32 exec_lo, exec_lo, s9
.LBB230_754:                            ;   in Loop: Header=BB230_10 Depth=1
	s_delay_alu instid0(SALU_CYCLE_1) | instskip(SKIP_2) | instid1(VALU_DEP_1)
	s_or_b32 exec_lo, exec_lo, s8
	v_lshrrev_b16 v1, 8, v0
	s_mov_b32 s8, exec_lo
	v_cmpx_ne_u16_e32 0, v1
	s_cbranch_execz .LBB230_762
; %bb.755:                              ;   in Loop: Header=BB230_10 Depth=1
	v_mov_b64_e32 v[2:3], 0x8000000000000000
	s_mov_b32 s9, exec_lo
	scratch_store_b64 off, v[2:3], s32 offset:972 ; 8-byte Folded Spill
	s_wait_xcnt 0x0
	v_cmpx_ne_u16_e32 0x80, v1
	s_cbranch_execz .LBB230_761
; %bb.756:                              ;   in Loop: Header=BB230_10 Depth=1
	v_and_b32_e32 v1, 0xffff, v1
	v_mov_b64_e32 v[4:5], 0x7f80000100000000
	s_mov_b32 s11, exec_lo
	s_delay_alu instid0(VALU_DEP_2)
	v_and_b32_e32 v2, 0x7f, v1
	scratch_store_b64 off, v[4:5], s32 offset:972 ; 8-byte Folded Spill
	s_wait_xcnt 0x0
	v_cmpx_ne_u32_e32 0x7f, v2
	s_cbranch_execz .LBB230_760
; %bb.757:                              ;   in Loop: Header=BB230_10 Depth=1
	scratch_load_b64 v[4:5], off, s32 offset:192 th:TH_LOAD_LU ; 8-byte Folded Reload
	s_wait_loadcnt 0x0
	v_dual_lshrrev_b32 v1, 3, v2 :: v_dual_bitop2_b32 v4, 7, v1 bitop3:0x40
	s_mov_b32 s16, exec_lo
	s_wait_xcnt 0x0
	v_cmpx_gt_u32_e32 8, v2
; %bb.758:                              ;   in Loop: Header=BB230_10 Depth=1
	s_delay_alu instid0(VALU_DEP_2) | instskip(NEXT) | instid1(VALU_DEP_1)
	v_clz_i32_u32_e32 v1, v4
	v_min_u32_e32 v1, 32, v1
	s_delay_alu instid0(VALU_DEP_1) | instskip(NEXT) | instid1(VALU_DEP_1)
	v_subrev_nc_u32_e32 v2, 28, v1
	v_lshlrev_b64_e32 v[2:3], v2, v[4:5]
	s_delay_alu instid0(VALU_DEP_1)
	v_dual_sub_nc_u32 v1, 29, v1 :: v_dual_bitop2_b32 v4, 7, v2 bitop3:0x40
; %bb.759:                              ;   in Loop: Header=BB230_10 Depth=1
	s_or_b32 exec_lo, exec_lo, s16
	v_lshlrev_b32_e32 v2, 16, v0
	s_delay_alu instid0(VALU_DEP_2) | instskip(NEXT) | instid1(VALU_DEP_3)
	v_lshlrev_b32_e32 v3, 20, v4
	v_lshl_add_u32 v1, v1, 23, 0x3c000000
	s_delay_alu instid0(VALU_DEP_3) | instskip(NEXT) | instid1(VALU_DEP_1)
	v_and_b32_e32 v2, 0x80000000, v2
	v_or3_b32 v3, v3, v2, v1
	v_dual_mov_b32 v1, v5 :: v_dual_mov_b32 v2, v5
	s_clause 0x1
	scratch_store_b64 off, v[0:1], s32 offset:192
	scratch_store_b64 off, v[2:3], s32 offset:972
.LBB230_760:                            ;   in Loop: Header=BB230_10 Depth=1
	s_wait_xcnt 0x0
	s_or_b32 exec_lo, exec_lo, s11
.LBB230_761:                            ;   in Loop: Header=BB230_10 Depth=1
	s_delay_alu instid0(SALU_CYCLE_1)
	s_or_b32 exec_lo, exec_lo, s9
.LBB230_762:                            ;   in Loop: Header=BB230_10 Depth=1
	s_delay_alu instid0(SALU_CYCLE_1) | instskip(SKIP_3) | instid1(VALU_DEP_1)
	s_or_b32 exec_lo, exec_lo, s8
	v_mov_b64_e32 v[4:5], 0
	v_lshrrev_b32_e32 v1, 16, v0
	s_mov_b32 s8, exec_lo
	v_and_b32_e32 v2, 0xff, v1
	scratch_store_b64 off, v[4:5], s32 offset:956 ; 8-byte Folded Spill
	s_wait_xcnt 0x0
	v_mov_b64_e32 v[4:5], 0
	scratch_store_b64 off, v[4:5], s32 offset:964 ; 8-byte Folded Spill
	s_wait_xcnt 0x0
	v_cmpx_ne_u16_e32 0, v2
	s_cbranch_execz .LBB230_770
; %bb.763:                              ;   in Loop: Header=BB230_10 Depth=1
	v_cmp_ne_u16_e64 s1, 0x80, v2
	v_mov_b64_e32 v[2:3], 0x80000000
	scratch_store_b64 off, v[2:3], s32 offset:964 ; 8-byte Folded Spill
	s_wait_xcnt 0x0
	s_and_saveexec_b32 s9, s1
	s_cbranch_execz .LBB230_769
; %bb.764:                              ;   in Loop: Header=BB230_10 Depth=1
	v_mov_b64_e32 v[4:5], 0x7f800001
	v_bfe_u32 v3, v0, 16, 7
	s_mov_b32 s11, exec_lo
	scratch_store_b64 off, v[4:5], s32 offset:964 ; 8-byte Folded Spill
	s_wait_xcnt 0x0
	v_cmpx_ne_u32_e32 0x7f, v3
	s_cbranch_execz .LBB230_768
; %bb.765:                              ;   in Loop: Header=BB230_10 Depth=1
	scratch_load_b64 v[6:7], off, s32 offset:192 th:TH_LOAD_LU ; 8-byte Folded Reload
	s_wait_loadcnt 0x0
	v_dual_lshrrev_b32 v2, 3, v3 :: v_dual_bitop2_b32 v6, 7, v1 bitop3:0x40
	s_mov_b32 s16, exec_lo
	s_wait_xcnt 0x0
	v_cmpx_gt_u32_e32 8, v3
; %bb.766:                              ;   in Loop: Header=BB230_10 Depth=1
	s_delay_alu instid0(VALU_DEP_2) | instskip(NEXT) | instid1(VALU_DEP_1)
	v_clz_i32_u32_e32 v2, v6
	v_min_u32_e32 v2, 32, v2
	s_delay_alu instid0(VALU_DEP_1) | instskip(NEXT) | instid1(VALU_DEP_1)
	v_subrev_nc_u32_e32 v3, 28, v2
	v_lshlrev_b64_e32 v[4:5], v3, v[6:7]
	s_delay_alu instid0(VALU_DEP_1)
	v_dual_sub_nc_u32 v2, 29, v2 :: v_dual_bitop2_b32 v6, 7, v4 bitop3:0x40
; %bb.767:                              ;   in Loop: Header=BB230_10 Depth=1
	s_or_b32 exec_lo, exec_lo, s16
	s_delay_alu instid0(VALU_DEP_1) | instskip(NEXT) | instid1(VALU_DEP_2)
	v_dual_lshlrev_b32 v1, 24, v1 :: v_dual_lshlrev_b32 v3, 20, v6
	v_lshl_add_u32 v2, v2, 23, 0x3c000000
	s_delay_alu instid0(VALU_DEP_2) | instskip(NEXT) | instid1(VALU_DEP_1)
	v_and_b32_e32 v1, 0x80000000, v1
	v_or3_b32 v6, v3, v1, v2
	v_mov_b32_e32 v1, v7
	s_clause 0x1
	scratch_store_b64 off, v[0:1], s32 offset:192
	scratch_store_b64 off, v[6:7], s32 offset:964
.LBB230_768:                            ;   in Loop: Header=BB230_10 Depth=1
	s_wait_xcnt 0x0
	s_or_b32 exec_lo, exec_lo, s11
.LBB230_769:                            ;   in Loop: Header=BB230_10 Depth=1
	s_delay_alu instid0(SALU_CYCLE_1)
	s_or_b32 exec_lo, exec_lo, s9
.LBB230_770:                            ;   in Loop: Header=BB230_10 Depth=1
	s_delay_alu instid0(SALU_CYCLE_1) | instskip(NEXT) | instid1(SALU_CYCLE_1)
	s_or_b32 exec_lo, exec_lo, s8
	s_mov_b32 s8, exec_lo
	v_cmpx_lt_u32_e32 0xffffff, v0
	s_cbranch_execz .LBB230_778
; %bb.771:                              ;   in Loop: Header=BB230_10 Depth=1
	v_mov_b64_e32 v[2:3], 0x8000000000000000
	v_lshrrev_b32_e32 v1, 24, v0
	s_mov_b32 s9, exec_lo
	scratch_store_b64 off, v[2:3], s32 offset:956 ; 8-byte Folded Spill
	s_wait_xcnt 0x0
	v_cmpx_ne_u32_e32 0x80, v1
	s_cbranch_execz .LBB230_777
; %bb.772:                              ;   in Loop: Header=BB230_10 Depth=1
	v_mov_b64_e32 v[4:5], 0x7f80000100000000
	v_bfe_u32 v2, v0, 24, 7
	s_mov_b32 s11, exec_lo
	scratch_store_b64 off, v[4:5], s32 offset:956 ; 8-byte Folded Spill
	s_wait_xcnt 0x0
	v_cmpx_ne_u32_e32 0x7f, v2
	s_cbranch_execz .LBB230_776
; %bb.773:                              ;   in Loop: Header=BB230_10 Depth=1
	scratch_load_b64 v[4:5], off, s32 offset:192 th:TH_LOAD_LU ; 8-byte Folded Reload
	s_wait_loadcnt 0x0
	v_dual_lshrrev_b32 v0, 3, v2 :: v_dual_bitop2_b32 v4, 7, v1 bitop3:0x40
	s_mov_b32 s16, exec_lo
	s_wait_xcnt 0x0
	v_cmpx_gt_u32_e32 8, v2
; %bb.774:                              ;   in Loop: Header=BB230_10 Depth=1
	s_delay_alu instid0(VALU_DEP_2) | instskip(NEXT) | instid1(VALU_DEP_1)
	v_clz_i32_u32_e32 v0, v4
	v_min_u32_e32 v0, 32, v0
	s_delay_alu instid0(VALU_DEP_1) | instskip(NEXT) | instid1(VALU_DEP_1)
	v_subrev_nc_u32_e32 v2, 28, v0
	v_lshlrev_b64_e32 v[2:3], v2, v[4:5]
	s_delay_alu instid0(VALU_DEP_1)
	v_dual_sub_nc_u32 v0, 29, v0 :: v_dual_bitop2_b32 v4, 7, v2 bitop3:0x40
; %bb.775:                              ;   in Loop: Header=BB230_10 Depth=1
	s_or_b32 exec_lo, exec_lo, s16
	s_delay_alu instid0(VALU_DEP_1) | instskip(NEXT) | instid1(VALU_DEP_2)
	v_dual_lshlrev_b32 v1, 24, v1 :: v_dual_lshlrev_b32 v2, 20, v4
	v_lshl_add_u32 v0, v0, 23, 0x3c000000
	s_delay_alu instid0(VALU_DEP_2) | instskip(NEXT) | instid1(VALU_DEP_1)
	v_and_b32_e32 v1, 0x80000000, v1
	v_or3_b32 v3, v2, v1, v0
	v_dual_mov_b32 v1, v5 :: v_dual_mov_b32 v2, v5
	s_clause 0x1
	scratch_store_b64 off, v[0:1], s32 offset:192
	scratch_store_b64 off, v[2:3], s32 offset:956
.LBB230_776:                            ;   in Loop: Header=BB230_10 Depth=1
	s_wait_xcnt 0x0
	s_or_b32 exec_lo, exec_lo, s11
.LBB230_777:                            ;   in Loop: Header=BB230_10 Depth=1
	s_delay_alu instid0(SALU_CYCLE_1)
	s_or_b32 exec_lo, exec_lo, s9
.LBB230_778:                            ;   in Loop: Header=BB230_10 Depth=1
	s_delay_alu instid0(SALU_CYCLE_1)
	s_or_b32 exec_lo, exec_lo, s8
	flat_load_b32 v0, v[92:93] offset:3072
	v_mov_b64_e32 v[2:3], 0
	s_mov_b32 s8, exec_lo
	scratch_store_b64 off, v[2:3], s32 offset:1004 ; 8-byte Folded Spill
	s_wait_xcnt 0x0
	v_mov_b64_e32 v[2:3], 0
	scratch_store_b64 off, v[2:3], s32 offset:980 ; 8-byte Folded Spill
	s_wait_loadcnt_dscnt 0x0
	v_and_b32_e32 v1, 0xff, v0
	s_wait_xcnt 0x0
	s_delay_alu instid0(VALU_DEP_1)
	v_cmpx_ne_u16_e32 0, v1
	s_cbranch_execz .LBB230_786
; %bb.779:                              ;   in Loop: Header=BB230_10 Depth=1
	v_mov_b64_e32 v[2:3], 0x80000000
	s_mov_b32 s9, exec_lo
	scratch_store_b64 off, v[2:3], s32 offset:980 ; 8-byte Folded Spill
	s_wait_xcnt 0x0
	v_cmpx_ne_u16_e32 0x80, v1
	s_cbranch_execz .LBB230_785
; %bb.780:                              ;   in Loop: Header=BB230_10 Depth=1
	v_mov_b64_e32 v[4:5], 0x7f800001
	v_and_b32_e32 v2, 0x7f, v0
	s_mov_b32 s11, exec_lo
	scratch_store_b64 off, v[4:5], s32 offset:980 ; 8-byte Folded Spill
	s_wait_xcnt 0x0
	v_cmpx_ne_u32_e32 0x7f, v2
	s_cbranch_execz .LBB230_784
; %bb.781:                              ;   in Loop: Header=BB230_10 Depth=1
	scratch_load_b64 v[4:5], off, s32 offset:192 th:TH_LOAD_LU ; 8-byte Folded Reload
	s_wait_loadcnt 0x0
	v_dual_lshrrev_b32 v1, 3, v2 :: v_dual_bitop2_b32 v4, 7, v0 bitop3:0x40
	s_mov_b32 s16, exec_lo
	s_wait_xcnt 0x0
	v_cmpx_gt_u32_e32 8, v2
; %bb.782:                              ;   in Loop: Header=BB230_10 Depth=1
	s_delay_alu instid0(VALU_DEP_2) | instskip(NEXT) | instid1(VALU_DEP_1)
	v_clz_i32_u32_e32 v1, v4
	v_min_u32_e32 v1, 32, v1
	s_delay_alu instid0(VALU_DEP_1) | instskip(NEXT) | instid1(VALU_DEP_1)
	v_subrev_nc_u32_e32 v2, 28, v1
	v_lshlrev_b64_e32 v[2:3], v2, v[4:5]
	s_delay_alu instid0(VALU_DEP_1)
	v_dual_sub_nc_u32 v1, 29, v1 :: v_dual_bitop2_b32 v4, 7, v2 bitop3:0x40
; %bb.783:                              ;   in Loop: Header=BB230_10 Depth=1
	s_or_b32 exec_lo, exec_lo, s16
	v_lshlrev_b32_e32 v2, 24, v0
	s_delay_alu instid0(VALU_DEP_2) | instskip(NEXT) | instid1(VALU_DEP_3)
	v_lshlrev_b32_e32 v3, 20, v4
	v_lshl_add_u32 v1, v1, 23, 0x3c000000
	s_delay_alu instid0(VALU_DEP_3) | instskip(NEXT) | instid1(VALU_DEP_1)
	v_and_b32_e32 v2, 0x80000000, v2
	v_or3_b32 v4, v3, v2, v1
	v_mov_b32_e32 v1, v5
	s_clause 0x1
	scratch_store_b64 off, v[0:1], s32 offset:192
	scratch_store_b64 off, v[4:5], s32 offset:980
.LBB230_784:                            ;   in Loop: Header=BB230_10 Depth=1
	s_wait_xcnt 0x0
	s_or_b32 exec_lo, exec_lo, s11
.LBB230_785:                            ;   in Loop: Header=BB230_10 Depth=1
	s_delay_alu instid0(SALU_CYCLE_1)
	s_or_b32 exec_lo, exec_lo, s9
.LBB230_786:                            ;   in Loop: Header=BB230_10 Depth=1
	s_delay_alu instid0(SALU_CYCLE_1) | instskip(SKIP_2) | instid1(VALU_DEP_1)
	s_or_b32 exec_lo, exec_lo, s8
	v_lshrrev_b16 v1, 8, v0
	s_mov_b32 s8, exec_lo
	v_cmpx_ne_u16_e32 0, v1
	s_cbranch_execz .LBB230_794
; %bb.787:                              ;   in Loop: Header=BB230_10 Depth=1
	v_mov_b64_e32 v[2:3], 0x8000000000000000
	s_mov_b32 s9, exec_lo
	scratch_store_b64 off, v[2:3], s32 offset:1004 ; 8-byte Folded Spill
	s_wait_xcnt 0x0
	v_cmpx_ne_u16_e32 0x80, v1
	s_cbranch_execz .LBB230_793
; %bb.788:                              ;   in Loop: Header=BB230_10 Depth=1
	v_and_b32_e32 v1, 0xffff, v1
	v_mov_b64_e32 v[4:5], 0x7f80000100000000
	s_mov_b32 s11, exec_lo
	s_delay_alu instid0(VALU_DEP_2)
	v_and_b32_e32 v2, 0x7f, v1
	scratch_store_b64 off, v[4:5], s32 offset:1004 ; 8-byte Folded Spill
	s_wait_xcnt 0x0
	v_cmpx_ne_u32_e32 0x7f, v2
	s_cbranch_execz .LBB230_792
; %bb.789:                              ;   in Loop: Header=BB230_10 Depth=1
	scratch_load_b64 v[4:5], off, s32 offset:192 th:TH_LOAD_LU ; 8-byte Folded Reload
	s_wait_loadcnt 0x0
	v_dual_lshrrev_b32 v1, 3, v2 :: v_dual_bitop2_b32 v4, 7, v1 bitop3:0x40
	s_mov_b32 s16, exec_lo
	s_wait_xcnt 0x0
	v_cmpx_gt_u32_e32 8, v2
; %bb.790:                              ;   in Loop: Header=BB230_10 Depth=1
	s_delay_alu instid0(VALU_DEP_2) | instskip(NEXT) | instid1(VALU_DEP_1)
	v_clz_i32_u32_e32 v1, v4
	v_min_u32_e32 v1, 32, v1
	s_delay_alu instid0(VALU_DEP_1) | instskip(NEXT) | instid1(VALU_DEP_1)
	v_subrev_nc_u32_e32 v2, 28, v1
	v_lshlrev_b64_e32 v[2:3], v2, v[4:5]
	s_delay_alu instid0(VALU_DEP_1)
	v_dual_sub_nc_u32 v1, 29, v1 :: v_dual_bitop2_b32 v4, 7, v2 bitop3:0x40
; %bb.791:                              ;   in Loop: Header=BB230_10 Depth=1
	s_or_b32 exec_lo, exec_lo, s16
	v_lshlrev_b32_e32 v2, 16, v0
	s_delay_alu instid0(VALU_DEP_2) | instskip(NEXT) | instid1(VALU_DEP_3)
	v_lshlrev_b32_e32 v3, 20, v4
	v_lshl_add_u32 v1, v1, 23, 0x3c000000
	s_delay_alu instid0(VALU_DEP_3) | instskip(NEXT) | instid1(VALU_DEP_1)
	v_and_b32_e32 v2, 0x80000000, v2
	v_or3_b32 v3, v3, v2, v1
	v_dual_mov_b32 v1, v5 :: v_dual_mov_b32 v2, v5
	s_clause 0x1
	scratch_store_b64 off, v[0:1], s32 offset:192
	scratch_store_b64 off, v[2:3], s32 offset:1004
.LBB230_792:                            ;   in Loop: Header=BB230_10 Depth=1
	s_wait_xcnt 0x0
	s_or_b32 exec_lo, exec_lo, s11
.LBB230_793:                            ;   in Loop: Header=BB230_10 Depth=1
	s_delay_alu instid0(SALU_CYCLE_1)
	s_or_b32 exec_lo, exec_lo, s9
.LBB230_794:                            ;   in Loop: Header=BB230_10 Depth=1
	s_delay_alu instid0(SALU_CYCLE_1) | instskip(SKIP_3) | instid1(VALU_DEP_1)
	s_or_b32 exec_lo, exec_lo, s8
	v_mov_b64_e32 v[4:5], 0
	v_lshrrev_b32_e32 v1, 16, v0
	s_mov_b32 s8, exec_lo
	v_and_b32_e32 v2, 0xff, v1
	scratch_store_b64 off, v[4:5], s32 offset:988 ; 8-byte Folded Spill
	s_wait_xcnt 0x0
	v_mov_b64_e32 v[4:5], 0
	scratch_store_b64 off, v[4:5], s32 offset:996 ; 8-byte Folded Spill
	s_wait_xcnt 0x0
	v_cmpx_ne_u16_e32 0, v2
	s_cbranch_execz .LBB230_802
; %bb.795:                              ;   in Loop: Header=BB230_10 Depth=1
	v_cmp_ne_u16_e64 s1, 0x80, v2
	v_mov_b64_e32 v[2:3], 0x80000000
	scratch_store_b64 off, v[2:3], s32 offset:996 ; 8-byte Folded Spill
	s_wait_xcnt 0x0
	s_and_saveexec_b32 s9, s1
	s_cbranch_execz .LBB230_801
; %bb.796:                              ;   in Loop: Header=BB230_10 Depth=1
	v_mov_b64_e32 v[4:5], 0x7f800001
	v_bfe_u32 v3, v0, 16, 7
	s_mov_b32 s11, exec_lo
	scratch_store_b64 off, v[4:5], s32 offset:996 ; 8-byte Folded Spill
	s_wait_xcnt 0x0
	v_cmpx_ne_u32_e32 0x7f, v3
	s_cbranch_execz .LBB230_800
; %bb.797:                              ;   in Loop: Header=BB230_10 Depth=1
	scratch_load_b64 v[6:7], off, s32 offset:192 th:TH_LOAD_LU ; 8-byte Folded Reload
	s_wait_loadcnt 0x0
	v_dual_lshrrev_b32 v2, 3, v3 :: v_dual_bitop2_b32 v6, 7, v1 bitop3:0x40
	s_mov_b32 s16, exec_lo
	s_wait_xcnt 0x0
	v_cmpx_gt_u32_e32 8, v3
; %bb.798:                              ;   in Loop: Header=BB230_10 Depth=1
	s_delay_alu instid0(VALU_DEP_2) | instskip(NEXT) | instid1(VALU_DEP_1)
	v_clz_i32_u32_e32 v2, v6
	v_min_u32_e32 v2, 32, v2
	s_delay_alu instid0(VALU_DEP_1) | instskip(NEXT) | instid1(VALU_DEP_1)
	v_subrev_nc_u32_e32 v3, 28, v2
	v_lshlrev_b64_e32 v[4:5], v3, v[6:7]
	s_delay_alu instid0(VALU_DEP_1)
	v_dual_sub_nc_u32 v2, 29, v2 :: v_dual_bitop2_b32 v6, 7, v4 bitop3:0x40
; %bb.799:                              ;   in Loop: Header=BB230_10 Depth=1
	s_or_b32 exec_lo, exec_lo, s16
	s_delay_alu instid0(VALU_DEP_1) | instskip(NEXT) | instid1(VALU_DEP_2)
	v_dual_lshlrev_b32 v1, 24, v1 :: v_dual_lshlrev_b32 v3, 20, v6
	v_lshl_add_u32 v2, v2, 23, 0x3c000000
	s_delay_alu instid0(VALU_DEP_2) | instskip(NEXT) | instid1(VALU_DEP_1)
	v_and_b32_e32 v1, 0x80000000, v1
	v_or3_b32 v6, v3, v1, v2
	v_mov_b32_e32 v1, v7
	s_clause 0x1
	scratch_store_b64 off, v[0:1], s32 offset:192
	scratch_store_b64 off, v[6:7], s32 offset:996
.LBB230_800:                            ;   in Loop: Header=BB230_10 Depth=1
	s_wait_xcnt 0x0
	s_or_b32 exec_lo, exec_lo, s11
.LBB230_801:                            ;   in Loop: Header=BB230_10 Depth=1
	s_delay_alu instid0(SALU_CYCLE_1)
	s_or_b32 exec_lo, exec_lo, s9
.LBB230_802:                            ;   in Loop: Header=BB230_10 Depth=1
	s_delay_alu instid0(SALU_CYCLE_1) | instskip(NEXT) | instid1(SALU_CYCLE_1)
	s_or_b32 exec_lo, exec_lo, s8
	s_mov_b32 s8, exec_lo
	v_cmpx_lt_u32_e32 0xffffff, v0
	s_cbranch_execz .LBB230_810
; %bb.803:                              ;   in Loop: Header=BB230_10 Depth=1
	v_mov_b64_e32 v[2:3], 0x8000000000000000
	v_lshrrev_b32_e32 v1, 24, v0
	s_mov_b32 s9, exec_lo
	scratch_store_b64 off, v[2:3], s32 offset:988 ; 8-byte Folded Spill
	s_wait_xcnt 0x0
	v_cmpx_ne_u32_e32 0x80, v1
	s_cbranch_execz .LBB230_809
; %bb.804:                              ;   in Loop: Header=BB230_10 Depth=1
	v_mov_b64_e32 v[4:5], 0x7f80000100000000
	v_bfe_u32 v2, v0, 24, 7
	s_mov_b32 s11, exec_lo
	scratch_store_b64 off, v[4:5], s32 offset:988 ; 8-byte Folded Spill
	s_wait_xcnt 0x0
	v_cmpx_ne_u32_e32 0x7f, v2
	s_cbranch_execz .LBB230_808
; %bb.805:                              ;   in Loop: Header=BB230_10 Depth=1
	scratch_load_b64 v[4:5], off, s32 offset:192 th:TH_LOAD_LU ; 8-byte Folded Reload
	s_wait_loadcnt 0x0
	v_dual_lshrrev_b32 v0, 3, v2 :: v_dual_bitop2_b32 v4, 7, v1 bitop3:0x40
	s_mov_b32 s16, exec_lo
	s_wait_xcnt 0x0
	v_cmpx_gt_u32_e32 8, v2
; %bb.806:                              ;   in Loop: Header=BB230_10 Depth=1
	s_delay_alu instid0(VALU_DEP_2) | instskip(NEXT) | instid1(VALU_DEP_1)
	v_clz_i32_u32_e32 v0, v4
	v_min_u32_e32 v0, 32, v0
	s_delay_alu instid0(VALU_DEP_1) | instskip(NEXT) | instid1(VALU_DEP_1)
	v_subrev_nc_u32_e32 v2, 28, v0
	v_lshlrev_b64_e32 v[2:3], v2, v[4:5]
	s_delay_alu instid0(VALU_DEP_1)
	v_dual_sub_nc_u32 v0, 29, v0 :: v_dual_bitop2_b32 v4, 7, v2 bitop3:0x40
; %bb.807:                              ;   in Loop: Header=BB230_10 Depth=1
	s_or_b32 exec_lo, exec_lo, s16
	s_delay_alu instid0(VALU_DEP_1) | instskip(NEXT) | instid1(VALU_DEP_2)
	v_dual_lshlrev_b32 v1, 24, v1 :: v_dual_lshlrev_b32 v2, 20, v4
	v_lshl_add_u32 v0, v0, 23, 0x3c000000
	s_delay_alu instid0(VALU_DEP_2) | instskip(NEXT) | instid1(VALU_DEP_1)
	v_and_b32_e32 v1, 0x80000000, v1
	v_or3_b32 v3, v2, v1, v0
	v_dual_mov_b32 v1, v5 :: v_dual_mov_b32 v2, v5
	s_clause 0x1
	scratch_store_b64 off, v[0:1], s32 offset:192
	scratch_store_b64 off, v[2:3], s32 offset:988
.LBB230_808:                            ;   in Loop: Header=BB230_10 Depth=1
	s_wait_xcnt 0x0
	s_or_b32 exec_lo, exec_lo, s11
.LBB230_809:                            ;   in Loop: Header=BB230_10 Depth=1
	s_delay_alu instid0(SALU_CYCLE_1)
	s_or_b32 exec_lo, exec_lo, s9
.LBB230_810:                            ;   in Loop: Header=BB230_10 Depth=1
	s_delay_alu instid0(SALU_CYCLE_1)
	s_or_b32 exec_lo, exec_lo, s8
	flat_load_b32 v0, v[92:93] offset:3076
	v_mov_b64_e32 v[2:3], 0
	s_mov_b32 s8, exec_lo
	scratch_store_b64 off, v[2:3], s32 offset:1036 ; 8-byte Folded Spill
	s_wait_xcnt 0x0
	v_mov_b64_e32 v[2:3], 0
	scratch_store_b64 off, v[2:3], s32 offset:1012 ; 8-byte Folded Spill
	s_wait_loadcnt_dscnt 0x0
	v_and_b32_e32 v1, 0xff, v0
	s_wait_xcnt 0x0
	s_delay_alu instid0(VALU_DEP_1)
	v_cmpx_ne_u16_e32 0, v1
	s_cbranch_execz .LBB230_818
; %bb.811:                              ;   in Loop: Header=BB230_10 Depth=1
	v_mov_b64_e32 v[2:3], 0x80000000
	s_mov_b32 s9, exec_lo
	scratch_store_b64 off, v[2:3], s32 offset:1012 ; 8-byte Folded Spill
	s_wait_xcnt 0x0
	v_cmpx_ne_u16_e32 0x80, v1
	s_cbranch_execz .LBB230_817
; %bb.812:                              ;   in Loop: Header=BB230_10 Depth=1
	v_mov_b64_e32 v[4:5], 0x7f800001
	v_and_b32_e32 v2, 0x7f, v0
	s_mov_b32 s11, exec_lo
	scratch_store_b64 off, v[4:5], s32 offset:1012 ; 8-byte Folded Spill
	s_wait_xcnt 0x0
	v_cmpx_ne_u32_e32 0x7f, v2
	s_cbranch_execz .LBB230_816
; %bb.813:                              ;   in Loop: Header=BB230_10 Depth=1
	scratch_load_b64 v[4:5], off, s32 offset:192 th:TH_LOAD_LU ; 8-byte Folded Reload
	s_wait_loadcnt 0x0
	v_dual_lshrrev_b32 v1, 3, v2 :: v_dual_bitop2_b32 v4, 7, v0 bitop3:0x40
	s_mov_b32 s16, exec_lo
	s_wait_xcnt 0x0
	v_cmpx_gt_u32_e32 8, v2
; %bb.814:                              ;   in Loop: Header=BB230_10 Depth=1
	s_delay_alu instid0(VALU_DEP_2) | instskip(NEXT) | instid1(VALU_DEP_1)
	v_clz_i32_u32_e32 v1, v4
	v_min_u32_e32 v1, 32, v1
	s_delay_alu instid0(VALU_DEP_1) | instskip(NEXT) | instid1(VALU_DEP_1)
	v_subrev_nc_u32_e32 v2, 28, v1
	v_lshlrev_b64_e32 v[2:3], v2, v[4:5]
	s_delay_alu instid0(VALU_DEP_1)
	v_dual_sub_nc_u32 v1, 29, v1 :: v_dual_bitop2_b32 v4, 7, v2 bitop3:0x40
; %bb.815:                              ;   in Loop: Header=BB230_10 Depth=1
	s_or_b32 exec_lo, exec_lo, s16
	v_lshlrev_b32_e32 v2, 24, v0
	s_delay_alu instid0(VALU_DEP_2) | instskip(NEXT) | instid1(VALU_DEP_3)
	v_lshlrev_b32_e32 v3, 20, v4
	v_lshl_add_u32 v1, v1, 23, 0x3c000000
	s_delay_alu instid0(VALU_DEP_3) | instskip(NEXT) | instid1(VALU_DEP_1)
	v_and_b32_e32 v2, 0x80000000, v2
	v_or3_b32 v4, v3, v2, v1
	v_mov_b32_e32 v1, v5
	s_clause 0x1
	scratch_store_b64 off, v[0:1], s32 offset:192
	scratch_store_b64 off, v[4:5], s32 offset:1012
.LBB230_816:                            ;   in Loop: Header=BB230_10 Depth=1
	s_wait_xcnt 0x0
	s_or_b32 exec_lo, exec_lo, s11
.LBB230_817:                            ;   in Loop: Header=BB230_10 Depth=1
	s_delay_alu instid0(SALU_CYCLE_1)
	s_or_b32 exec_lo, exec_lo, s9
.LBB230_818:                            ;   in Loop: Header=BB230_10 Depth=1
	s_delay_alu instid0(SALU_CYCLE_1) | instskip(SKIP_2) | instid1(VALU_DEP_1)
	s_or_b32 exec_lo, exec_lo, s8
	v_lshrrev_b16 v1, 8, v0
	s_mov_b32 s8, exec_lo
	v_cmpx_ne_u16_e32 0, v1
	s_cbranch_execz .LBB230_826
; %bb.819:                              ;   in Loop: Header=BB230_10 Depth=1
	v_mov_b64_e32 v[2:3], 0x8000000000000000
	s_mov_b32 s9, exec_lo
	scratch_store_b64 off, v[2:3], s32 offset:1036 ; 8-byte Folded Spill
	s_wait_xcnt 0x0
	v_cmpx_ne_u16_e32 0x80, v1
	s_cbranch_execz .LBB230_825
; %bb.820:                              ;   in Loop: Header=BB230_10 Depth=1
	v_and_b32_e32 v1, 0xffff, v1
	v_mov_b64_e32 v[4:5], 0x7f80000100000000
	s_mov_b32 s11, exec_lo
	s_delay_alu instid0(VALU_DEP_2)
	v_and_b32_e32 v2, 0x7f, v1
	scratch_store_b64 off, v[4:5], s32 offset:1036 ; 8-byte Folded Spill
	s_wait_xcnt 0x0
	v_cmpx_ne_u32_e32 0x7f, v2
	s_cbranch_execz .LBB230_824
; %bb.821:                              ;   in Loop: Header=BB230_10 Depth=1
	scratch_load_b64 v[4:5], off, s32 offset:192 th:TH_LOAD_LU ; 8-byte Folded Reload
	s_wait_loadcnt 0x0
	v_dual_lshrrev_b32 v1, 3, v2 :: v_dual_bitop2_b32 v4, 7, v1 bitop3:0x40
	s_mov_b32 s16, exec_lo
	s_wait_xcnt 0x0
	v_cmpx_gt_u32_e32 8, v2
; %bb.822:                              ;   in Loop: Header=BB230_10 Depth=1
	s_delay_alu instid0(VALU_DEP_2) | instskip(NEXT) | instid1(VALU_DEP_1)
	v_clz_i32_u32_e32 v1, v4
	v_min_u32_e32 v1, 32, v1
	s_delay_alu instid0(VALU_DEP_1) | instskip(NEXT) | instid1(VALU_DEP_1)
	v_subrev_nc_u32_e32 v2, 28, v1
	v_lshlrev_b64_e32 v[2:3], v2, v[4:5]
	s_delay_alu instid0(VALU_DEP_1)
	v_dual_sub_nc_u32 v1, 29, v1 :: v_dual_bitop2_b32 v4, 7, v2 bitop3:0x40
; %bb.823:                              ;   in Loop: Header=BB230_10 Depth=1
	s_or_b32 exec_lo, exec_lo, s16
	v_lshlrev_b32_e32 v2, 16, v0
	s_delay_alu instid0(VALU_DEP_2) | instskip(NEXT) | instid1(VALU_DEP_3)
	v_lshlrev_b32_e32 v3, 20, v4
	v_lshl_add_u32 v1, v1, 23, 0x3c000000
	s_delay_alu instid0(VALU_DEP_3) | instskip(NEXT) | instid1(VALU_DEP_1)
	v_and_b32_e32 v2, 0x80000000, v2
	v_or3_b32 v3, v3, v2, v1
	v_dual_mov_b32 v1, v5 :: v_dual_mov_b32 v2, v5
	s_clause 0x1
	scratch_store_b64 off, v[0:1], s32 offset:192
	scratch_store_b64 off, v[2:3], s32 offset:1036
.LBB230_824:                            ;   in Loop: Header=BB230_10 Depth=1
	s_wait_xcnt 0x0
	s_or_b32 exec_lo, exec_lo, s11
.LBB230_825:                            ;   in Loop: Header=BB230_10 Depth=1
	s_delay_alu instid0(SALU_CYCLE_1)
	s_or_b32 exec_lo, exec_lo, s9
.LBB230_826:                            ;   in Loop: Header=BB230_10 Depth=1
	s_delay_alu instid0(SALU_CYCLE_1) | instskip(SKIP_3) | instid1(VALU_DEP_1)
	s_or_b32 exec_lo, exec_lo, s8
	v_mov_b64_e32 v[4:5], 0
	v_lshrrev_b32_e32 v1, 16, v0
	s_mov_b32 s8, exec_lo
	v_and_b32_e32 v2, 0xff, v1
	scratch_store_b64 off, v[4:5], s32 offset:1020 ; 8-byte Folded Spill
	s_wait_xcnt 0x0
	v_mov_b64_e32 v[4:5], 0
	scratch_store_b64 off, v[4:5], s32 offset:1028 ; 8-byte Folded Spill
	s_wait_xcnt 0x0
	v_cmpx_ne_u16_e32 0, v2
	s_cbranch_execz .LBB230_834
; %bb.827:                              ;   in Loop: Header=BB230_10 Depth=1
	v_cmp_ne_u16_e64 s1, 0x80, v2
	v_mov_b64_e32 v[2:3], 0x80000000
	scratch_store_b64 off, v[2:3], s32 offset:1028 ; 8-byte Folded Spill
	s_wait_xcnt 0x0
	s_and_saveexec_b32 s9, s1
	s_cbranch_execz .LBB230_833
; %bb.828:                              ;   in Loop: Header=BB230_10 Depth=1
	v_mov_b64_e32 v[4:5], 0x7f800001
	v_bfe_u32 v3, v0, 16, 7
	s_mov_b32 s11, exec_lo
	scratch_store_b64 off, v[4:5], s32 offset:1028 ; 8-byte Folded Spill
	s_wait_xcnt 0x0
	v_cmpx_ne_u32_e32 0x7f, v3
	s_cbranch_execz .LBB230_832
; %bb.829:                              ;   in Loop: Header=BB230_10 Depth=1
	scratch_load_b64 v[6:7], off, s32 offset:192 th:TH_LOAD_LU ; 8-byte Folded Reload
	s_wait_loadcnt 0x0
	v_dual_lshrrev_b32 v2, 3, v3 :: v_dual_bitop2_b32 v6, 7, v1 bitop3:0x40
	s_mov_b32 s16, exec_lo
	s_wait_xcnt 0x0
	v_cmpx_gt_u32_e32 8, v3
; %bb.830:                              ;   in Loop: Header=BB230_10 Depth=1
	s_delay_alu instid0(VALU_DEP_2) | instskip(NEXT) | instid1(VALU_DEP_1)
	v_clz_i32_u32_e32 v2, v6
	v_min_u32_e32 v2, 32, v2
	s_delay_alu instid0(VALU_DEP_1) | instskip(NEXT) | instid1(VALU_DEP_1)
	v_subrev_nc_u32_e32 v3, 28, v2
	v_lshlrev_b64_e32 v[4:5], v3, v[6:7]
	s_delay_alu instid0(VALU_DEP_1)
	v_dual_sub_nc_u32 v2, 29, v2 :: v_dual_bitop2_b32 v6, 7, v4 bitop3:0x40
; %bb.831:                              ;   in Loop: Header=BB230_10 Depth=1
	s_or_b32 exec_lo, exec_lo, s16
	s_delay_alu instid0(VALU_DEP_1) | instskip(NEXT) | instid1(VALU_DEP_2)
	v_dual_lshlrev_b32 v1, 24, v1 :: v_dual_lshlrev_b32 v3, 20, v6
	v_lshl_add_u32 v2, v2, 23, 0x3c000000
	s_delay_alu instid0(VALU_DEP_2) | instskip(NEXT) | instid1(VALU_DEP_1)
	v_and_b32_e32 v1, 0x80000000, v1
	v_or3_b32 v6, v3, v1, v2
	v_mov_b32_e32 v1, v7
	s_clause 0x1
	scratch_store_b64 off, v[0:1], s32 offset:192
	scratch_store_b64 off, v[6:7], s32 offset:1028
.LBB230_832:                            ;   in Loop: Header=BB230_10 Depth=1
	s_wait_xcnt 0x0
	s_or_b32 exec_lo, exec_lo, s11
.LBB230_833:                            ;   in Loop: Header=BB230_10 Depth=1
	s_delay_alu instid0(SALU_CYCLE_1)
	s_or_b32 exec_lo, exec_lo, s9
.LBB230_834:                            ;   in Loop: Header=BB230_10 Depth=1
	s_delay_alu instid0(SALU_CYCLE_1) | instskip(NEXT) | instid1(SALU_CYCLE_1)
	s_or_b32 exec_lo, exec_lo, s8
	s_mov_b32 s8, exec_lo
	v_cmpx_lt_u32_e32 0xffffff, v0
	s_cbranch_execz .LBB230_842
; %bb.835:                              ;   in Loop: Header=BB230_10 Depth=1
	v_mov_b64_e32 v[2:3], 0x8000000000000000
	v_lshrrev_b32_e32 v1, 24, v0
	s_mov_b32 s9, exec_lo
	scratch_store_b64 off, v[2:3], s32 offset:1020 ; 8-byte Folded Spill
	s_wait_xcnt 0x0
	v_cmpx_ne_u32_e32 0x80, v1
	s_cbranch_execz .LBB230_841
; %bb.836:                              ;   in Loop: Header=BB230_10 Depth=1
	v_mov_b64_e32 v[4:5], 0x7f80000100000000
	v_bfe_u32 v2, v0, 24, 7
	s_mov_b32 s11, exec_lo
	scratch_store_b64 off, v[4:5], s32 offset:1020 ; 8-byte Folded Spill
	s_wait_xcnt 0x0
	v_cmpx_ne_u32_e32 0x7f, v2
	s_cbranch_execz .LBB230_840
; %bb.837:                              ;   in Loop: Header=BB230_10 Depth=1
	scratch_load_b64 v[4:5], off, s32 offset:192 th:TH_LOAD_LU ; 8-byte Folded Reload
	s_wait_loadcnt 0x0
	v_dual_lshrrev_b32 v0, 3, v2 :: v_dual_bitop2_b32 v4, 7, v1 bitop3:0x40
	s_mov_b32 s16, exec_lo
	s_wait_xcnt 0x0
	v_cmpx_gt_u32_e32 8, v2
; %bb.838:                              ;   in Loop: Header=BB230_10 Depth=1
	s_delay_alu instid0(VALU_DEP_2) | instskip(NEXT) | instid1(VALU_DEP_1)
	v_clz_i32_u32_e32 v0, v4
	v_min_u32_e32 v0, 32, v0
	s_delay_alu instid0(VALU_DEP_1) | instskip(NEXT) | instid1(VALU_DEP_1)
	v_subrev_nc_u32_e32 v2, 28, v0
	v_lshlrev_b64_e32 v[2:3], v2, v[4:5]
	s_delay_alu instid0(VALU_DEP_1)
	v_dual_sub_nc_u32 v0, 29, v0 :: v_dual_bitop2_b32 v4, 7, v2 bitop3:0x40
; %bb.839:                              ;   in Loop: Header=BB230_10 Depth=1
	s_or_b32 exec_lo, exec_lo, s16
	s_delay_alu instid0(VALU_DEP_1) | instskip(NEXT) | instid1(VALU_DEP_2)
	v_dual_lshlrev_b32 v1, 24, v1 :: v_dual_lshlrev_b32 v2, 20, v4
	v_lshl_add_u32 v0, v0, 23, 0x3c000000
	s_delay_alu instid0(VALU_DEP_2) | instskip(NEXT) | instid1(VALU_DEP_1)
	v_and_b32_e32 v1, 0x80000000, v1
	v_or3_b32 v3, v2, v1, v0
	v_dual_mov_b32 v1, v5 :: v_dual_mov_b32 v2, v5
	s_clause 0x1
	scratch_store_b64 off, v[0:1], s32 offset:192
	scratch_store_b64 off, v[2:3], s32 offset:1020
.LBB230_840:                            ;   in Loop: Header=BB230_10 Depth=1
	s_wait_xcnt 0x0
	s_or_b32 exec_lo, exec_lo, s11
.LBB230_841:                            ;   in Loop: Header=BB230_10 Depth=1
	s_delay_alu instid0(SALU_CYCLE_1)
	s_or_b32 exec_lo, exec_lo, s9
.LBB230_842:                            ;   in Loop: Header=BB230_10 Depth=1
	s_delay_alu instid0(SALU_CYCLE_1)
	s_or_b32 exec_lo, exec_lo, s8
	flat_load_b32 v0, v[92:93] offset:3080
	v_mov_b64_e32 v[2:3], 0
	s_mov_b32 s8, exec_lo
	scratch_store_b64 off, v[2:3], s32 offset:1068 ; 8-byte Folded Spill
	s_wait_xcnt 0x0
	v_mov_b64_e32 v[2:3], 0
	scratch_store_b64 off, v[2:3], s32 offset:1044 ; 8-byte Folded Spill
	s_wait_loadcnt_dscnt 0x0
	v_and_b32_e32 v1, 0xff, v0
	s_wait_xcnt 0x0
	s_delay_alu instid0(VALU_DEP_1)
	v_cmpx_ne_u16_e32 0, v1
	s_cbranch_execz .LBB230_850
; %bb.843:                              ;   in Loop: Header=BB230_10 Depth=1
	v_mov_b64_e32 v[2:3], 0x80000000
	s_mov_b32 s9, exec_lo
	scratch_store_b64 off, v[2:3], s32 offset:1044 ; 8-byte Folded Spill
	s_wait_xcnt 0x0
	v_cmpx_ne_u16_e32 0x80, v1
	s_cbranch_execz .LBB230_849
; %bb.844:                              ;   in Loop: Header=BB230_10 Depth=1
	v_mov_b64_e32 v[4:5], 0x7f800001
	v_and_b32_e32 v2, 0x7f, v0
	s_mov_b32 s11, exec_lo
	scratch_store_b64 off, v[4:5], s32 offset:1044 ; 8-byte Folded Spill
	s_wait_xcnt 0x0
	v_cmpx_ne_u32_e32 0x7f, v2
	s_cbranch_execz .LBB230_848
; %bb.845:                              ;   in Loop: Header=BB230_10 Depth=1
	scratch_load_b64 v[4:5], off, s32 offset:192 th:TH_LOAD_LU ; 8-byte Folded Reload
	s_wait_loadcnt 0x0
	v_dual_lshrrev_b32 v1, 3, v2 :: v_dual_bitop2_b32 v4, 7, v0 bitop3:0x40
	s_mov_b32 s16, exec_lo
	s_wait_xcnt 0x0
	v_cmpx_gt_u32_e32 8, v2
; %bb.846:                              ;   in Loop: Header=BB230_10 Depth=1
	s_delay_alu instid0(VALU_DEP_2) | instskip(NEXT) | instid1(VALU_DEP_1)
	v_clz_i32_u32_e32 v1, v4
	v_min_u32_e32 v1, 32, v1
	s_delay_alu instid0(VALU_DEP_1) | instskip(NEXT) | instid1(VALU_DEP_1)
	v_subrev_nc_u32_e32 v2, 28, v1
	v_lshlrev_b64_e32 v[2:3], v2, v[4:5]
	s_delay_alu instid0(VALU_DEP_1)
	v_dual_sub_nc_u32 v1, 29, v1 :: v_dual_bitop2_b32 v4, 7, v2 bitop3:0x40
; %bb.847:                              ;   in Loop: Header=BB230_10 Depth=1
	s_or_b32 exec_lo, exec_lo, s16
	v_lshlrev_b32_e32 v2, 24, v0
	s_delay_alu instid0(VALU_DEP_2) | instskip(NEXT) | instid1(VALU_DEP_3)
	v_lshlrev_b32_e32 v3, 20, v4
	v_lshl_add_u32 v1, v1, 23, 0x3c000000
	s_delay_alu instid0(VALU_DEP_3) | instskip(NEXT) | instid1(VALU_DEP_1)
	v_and_b32_e32 v2, 0x80000000, v2
	v_or3_b32 v4, v3, v2, v1
	v_mov_b32_e32 v1, v5
	s_clause 0x1
	scratch_store_b64 off, v[0:1], s32 offset:192
	scratch_store_b64 off, v[4:5], s32 offset:1044
.LBB230_848:                            ;   in Loop: Header=BB230_10 Depth=1
	s_wait_xcnt 0x0
	s_or_b32 exec_lo, exec_lo, s11
.LBB230_849:                            ;   in Loop: Header=BB230_10 Depth=1
	s_delay_alu instid0(SALU_CYCLE_1)
	s_or_b32 exec_lo, exec_lo, s9
.LBB230_850:                            ;   in Loop: Header=BB230_10 Depth=1
	s_delay_alu instid0(SALU_CYCLE_1) | instskip(SKIP_2) | instid1(VALU_DEP_1)
	s_or_b32 exec_lo, exec_lo, s8
	v_lshrrev_b16 v1, 8, v0
	s_mov_b32 s8, exec_lo
	v_cmpx_ne_u16_e32 0, v1
	s_cbranch_execz .LBB230_858
; %bb.851:                              ;   in Loop: Header=BB230_10 Depth=1
	v_mov_b64_e32 v[2:3], 0x8000000000000000
	s_mov_b32 s9, exec_lo
	scratch_store_b64 off, v[2:3], s32 offset:1068 ; 8-byte Folded Spill
	s_wait_xcnt 0x0
	v_cmpx_ne_u16_e32 0x80, v1
	s_cbranch_execz .LBB230_857
; %bb.852:                              ;   in Loop: Header=BB230_10 Depth=1
	v_and_b32_e32 v1, 0xffff, v1
	v_mov_b64_e32 v[4:5], 0x7f80000100000000
	s_mov_b32 s11, exec_lo
	s_delay_alu instid0(VALU_DEP_2)
	v_and_b32_e32 v2, 0x7f, v1
	scratch_store_b64 off, v[4:5], s32 offset:1068 ; 8-byte Folded Spill
	s_wait_xcnt 0x0
	v_cmpx_ne_u32_e32 0x7f, v2
	s_cbranch_execz .LBB230_856
; %bb.853:                              ;   in Loop: Header=BB230_10 Depth=1
	scratch_load_b64 v[4:5], off, s32 offset:192 th:TH_LOAD_LU ; 8-byte Folded Reload
	s_wait_loadcnt 0x0
	v_dual_lshrrev_b32 v1, 3, v2 :: v_dual_bitop2_b32 v4, 7, v1 bitop3:0x40
	s_mov_b32 s16, exec_lo
	s_wait_xcnt 0x0
	v_cmpx_gt_u32_e32 8, v2
; %bb.854:                              ;   in Loop: Header=BB230_10 Depth=1
	s_delay_alu instid0(VALU_DEP_2) | instskip(NEXT) | instid1(VALU_DEP_1)
	v_clz_i32_u32_e32 v1, v4
	v_min_u32_e32 v1, 32, v1
	s_delay_alu instid0(VALU_DEP_1) | instskip(NEXT) | instid1(VALU_DEP_1)
	v_subrev_nc_u32_e32 v2, 28, v1
	v_lshlrev_b64_e32 v[2:3], v2, v[4:5]
	s_delay_alu instid0(VALU_DEP_1)
	v_dual_sub_nc_u32 v1, 29, v1 :: v_dual_bitop2_b32 v4, 7, v2 bitop3:0x40
; %bb.855:                              ;   in Loop: Header=BB230_10 Depth=1
	s_or_b32 exec_lo, exec_lo, s16
	v_lshlrev_b32_e32 v2, 16, v0
	s_delay_alu instid0(VALU_DEP_2) | instskip(NEXT) | instid1(VALU_DEP_3)
	v_lshlrev_b32_e32 v3, 20, v4
	v_lshl_add_u32 v1, v1, 23, 0x3c000000
	s_delay_alu instid0(VALU_DEP_3) | instskip(NEXT) | instid1(VALU_DEP_1)
	v_and_b32_e32 v2, 0x80000000, v2
	v_or3_b32 v3, v3, v2, v1
	v_dual_mov_b32 v1, v5 :: v_dual_mov_b32 v2, v5
	s_clause 0x1
	scratch_store_b64 off, v[0:1], s32 offset:192
	scratch_store_b64 off, v[2:3], s32 offset:1068
.LBB230_856:                            ;   in Loop: Header=BB230_10 Depth=1
	s_wait_xcnt 0x0
	s_or_b32 exec_lo, exec_lo, s11
.LBB230_857:                            ;   in Loop: Header=BB230_10 Depth=1
	s_delay_alu instid0(SALU_CYCLE_1)
	s_or_b32 exec_lo, exec_lo, s9
.LBB230_858:                            ;   in Loop: Header=BB230_10 Depth=1
	s_delay_alu instid0(SALU_CYCLE_1) | instskip(SKIP_3) | instid1(VALU_DEP_1)
	s_or_b32 exec_lo, exec_lo, s8
	v_mov_b64_e32 v[4:5], 0
	v_lshrrev_b32_e32 v1, 16, v0
	s_mov_b32 s8, exec_lo
	v_and_b32_e32 v2, 0xff, v1
	scratch_store_b64 off, v[4:5], s32 offset:1052 ; 8-byte Folded Spill
	s_wait_xcnt 0x0
	v_mov_b64_e32 v[4:5], 0
	scratch_store_b64 off, v[4:5], s32 offset:1060 ; 8-byte Folded Spill
	s_wait_xcnt 0x0
	v_cmpx_ne_u16_e32 0, v2
	s_cbranch_execz .LBB230_866
; %bb.859:                              ;   in Loop: Header=BB230_10 Depth=1
	v_cmp_ne_u16_e64 s1, 0x80, v2
	v_mov_b64_e32 v[2:3], 0x80000000
	scratch_store_b64 off, v[2:3], s32 offset:1060 ; 8-byte Folded Spill
	s_wait_xcnt 0x0
	s_and_saveexec_b32 s9, s1
	s_cbranch_execz .LBB230_865
; %bb.860:                              ;   in Loop: Header=BB230_10 Depth=1
	v_mov_b64_e32 v[4:5], 0x7f800001
	v_bfe_u32 v3, v0, 16, 7
	s_mov_b32 s11, exec_lo
	scratch_store_b64 off, v[4:5], s32 offset:1060 ; 8-byte Folded Spill
	s_wait_xcnt 0x0
	v_cmpx_ne_u32_e32 0x7f, v3
	s_cbranch_execz .LBB230_864
; %bb.861:                              ;   in Loop: Header=BB230_10 Depth=1
	scratch_load_b64 v[6:7], off, s32 offset:192 th:TH_LOAD_LU ; 8-byte Folded Reload
	s_wait_loadcnt 0x0
	v_dual_lshrrev_b32 v2, 3, v3 :: v_dual_bitop2_b32 v6, 7, v1 bitop3:0x40
	s_mov_b32 s16, exec_lo
	s_wait_xcnt 0x0
	v_cmpx_gt_u32_e32 8, v3
; %bb.862:                              ;   in Loop: Header=BB230_10 Depth=1
	s_delay_alu instid0(VALU_DEP_2) | instskip(NEXT) | instid1(VALU_DEP_1)
	v_clz_i32_u32_e32 v2, v6
	v_min_u32_e32 v2, 32, v2
	s_delay_alu instid0(VALU_DEP_1) | instskip(NEXT) | instid1(VALU_DEP_1)
	v_subrev_nc_u32_e32 v3, 28, v2
	v_lshlrev_b64_e32 v[4:5], v3, v[6:7]
	s_delay_alu instid0(VALU_DEP_1)
	v_dual_sub_nc_u32 v2, 29, v2 :: v_dual_bitop2_b32 v6, 7, v4 bitop3:0x40
; %bb.863:                              ;   in Loop: Header=BB230_10 Depth=1
	s_or_b32 exec_lo, exec_lo, s16
	s_delay_alu instid0(VALU_DEP_1) | instskip(NEXT) | instid1(VALU_DEP_2)
	v_dual_lshlrev_b32 v1, 24, v1 :: v_dual_lshlrev_b32 v3, 20, v6
	v_lshl_add_u32 v2, v2, 23, 0x3c000000
	s_delay_alu instid0(VALU_DEP_2) | instskip(NEXT) | instid1(VALU_DEP_1)
	v_and_b32_e32 v1, 0x80000000, v1
	v_or3_b32 v6, v3, v1, v2
	v_mov_b32_e32 v1, v7
	s_clause 0x1
	scratch_store_b64 off, v[0:1], s32 offset:192
	scratch_store_b64 off, v[6:7], s32 offset:1060
.LBB230_864:                            ;   in Loop: Header=BB230_10 Depth=1
	s_wait_xcnt 0x0
	s_or_b32 exec_lo, exec_lo, s11
.LBB230_865:                            ;   in Loop: Header=BB230_10 Depth=1
	s_delay_alu instid0(SALU_CYCLE_1)
	s_or_b32 exec_lo, exec_lo, s9
.LBB230_866:                            ;   in Loop: Header=BB230_10 Depth=1
	s_delay_alu instid0(SALU_CYCLE_1) | instskip(NEXT) | instid1(SALU_CYCLE_1)
	s_or_b32 exec_lo, exec_lo, s8
	s_mov_b32 s8, exec_lo
	v_cmpx_lt_u32_e32 0xffffff, v0
	s_cbranch_execz .LBB230_874
; %bb.867:                              ;   in Loop: Header=BB230_10 Depth=1
	v_mov_b64_e32 v[2:3], 0x8000000000000000
	v_lshrrev_b32_e32 v1, 24, v0
	s_mov_b32 s9, exec_lo
	scratch_store_b64 off, v[2:3], s32 offset:1052 ; 8-byte Folded Spill
	s_wait_xcnt 0x0
	v_cmpx_ne_u32_e32 0x80, v1
	s_cbranch_execz .LBB230_873
; %bb.868:                              ;   in Loop: Header=BB230_10 Depth=1
	v_mov_b64_e32 v[4:5], 0x7f80000100000000
	v_bfe_u32 v2, v0, 24, 7
	s_mov_b32 s11, exec_lo
	scratch_store_b64 off, v[4:5], s32 offset:1052 ; 8-byte Folded Spill
	s_wait_xcnt 0x0
	v_cmpx_ne_u32_e32 0x7f, v2
	s_cbranch_execz .LBB230_872
; %bb.869:                              ;   in Loop: Header=BB230_10 Depth=1
	scratch_load_b64 v[4:5], off, s32 offset:192 th:TH_LOAD_LU ; 8-byte Folded Reload
	s_wait_loadcnt 0x0
	v_dual_lshrrev_b32 v0, 3, v2 :: v_dual_bitop2_b32 v4, 7, v1 bitop3:0x40
	s_mov_b32 s16, exec_lo
	s_wait_xcnt 0x0
	v_cmpx_gt_u32_e32 8, v2
; %bb.870:                              ;   in Loop: Header=BB230_10 Depth=1
	s_delay_alu instid0(VALU_DEP_2) | instskip(NEXT) | instid1(VALU_DEP_1)
	v_clz_i32_u32_e32 v0, v4
	v_min_u32_e32 v0, 32, v0
	s_delay_alu instid0(VALU_DEP_1) | instskip(NEXT) | instid1(VALU_DEP_1)
	v_subrev_nc_u32_e32 v2, 28, v0
	v_lshlrev_b64_e32 v[2:3], v2, v[4:5]
	s_delay_alu instid0(VALU_DEP_1)
	v_dual_sub_nc_u32 v0, 29, v0 :: v_dual_bitop2_b32 v4, 7, v2 bitop3:0x40
; %bb.871:                              ;   in Loop: Header=BB230_10 Depth=1
	s_or_b32 exec_lo, exec_lo, s16
	s_delay_alu instid0(VALU_DEP_1) | instskip(NEXT) | instid1(VALU_DEP_2)
	v_dual_lshlrev_b32 v1, 24, v1 :: v_dual_lshlrev_b32 v2, 20, v4
	v_lshl_add_u32 v0, v0, 23, 0x3c000000
	s_delay_alu instid0(VALU_DEP_2) | instskip(NEXT) | instid1(VALU_DEP_1)
	v_and_b32_e32 v1, 0x80000000, v1
	v_or3_b32 v3, v2, v1, v0
	v_dual_mov_b32 v1, v5 :: v_dual_mov_b32 v2, v5
	s_clause 0x1
	scratch_store_b64 off, v[0:1], s32 offset:192
	scratch_store_b64 off, v[2:3], s32 offset:1052
.LBB230_872:                            ;   in Loop: Header=BB230_10 Depth=1
	s_wait_xcnt 0x0
	s_or_b32 exec_lo, exec_lo, s11
.LBB230_873:                            ;   in Loop: Header=BB230_10 Depth=1
	s_delay_alu instid0(SALU_CYCLE_1)
	s_or_b32 exec_lo, exec_lo, s9
.LBB230_874:                            ;   in Loop: Header=BB230_10 Depth=1
	s_delay_alu instid0(SALU_CYCLE_1)
	s_or_b32 exec_lo, exec_lo, s8
	flat_load_b32 v0, v[92:93] offset:3084
	v_mov_b64_e32 v[2:3], 0
	s_mov_b32 s8, exec_lo
	scratch_store_b64 off, v[2:3], s32 offset:1100 ; 8-byte Folded Spill
	s_wait_xcnt 0x0
	v_mov_b64_e32 v[2:3], 0
	scratch_store_b64 off, v[2:3], s32 offset:1076 ; 8-byte Folded Spill
	s_wait_loadcnt_dscnt 0x0
	v_and_b32_e32 v1, 0xff, v0
	s_wait_xcnt 0x0
	s_delay_alu instid0(VALU_DEP_1)
	v_cmpx_ne_u16_e32 0, v1
	s_cbranch_execz .LBB230_882
; %bb.875:                              ;   in Loop: Header=BB230_10 Depth=1
	v_mov_b64_e32 v[2:3], 0x80000000
	s_mov_b32 s9, exec_lo
	scratch_store_b64 off, v[2:3], s32 offset:1076 ; 8-byte Folded Spill
	s_wait_xcnt 0x0
	v_cmpx_ne_u16_e32 0x80, v1
	s_cbranch_execz .LBB230_881
; %bb.876:                              ;   in Loop: Header=BB230_10 Depth=1
	v_mov_b64_e32 v[4:5], 0x7f800001
	v_and_b32_e32 v2, 0x7f, v0
	s_mov_b32 s11, exec_lo
	scratch_store_b64 off, v[4:5], s32 offset:1076 ; 8-byte Folded Spill
	s_wait_xcnt 0x0
	v_cmpx_ne_u32_e32 0x7f, v2
	s_cbranch_execz .LBB230_880
; %bb.877:                              ;   in Loop: Header=BB230_10 Depth=1
	scratch_load_b64 v[4:5], off, s32 offset:192 th:TH_LOAD_LU ; 8-byte Folded Reload
	s_wait_loadcnt 0x0
	v_dual_lshrrev_b32 v1, 3, v2 :: v_dual_bitop2_b32 v4, 7, v0 bitop3:0x40
	s_mov_b32 s16, exec_lo
	s_wait_xcnt 0x0
	v_cmpx_gt_u32_e32 8, v2
; %bb.878:                              ;   in Loop: Header=BB230_10 Depth=1
	s_delay_alu instid0(VALU_DEP_2) | instskip(NEXT) | instid1(VALU_DEP_1)
	v_clz_i32_u32_e32 v1, v4
	v_min_u32_e32 v1, 32, v1
	s_delay_alu instid0(VALU_DEP_1) | instskip(NEXT) | instid1(VALU_DEP_1)
	v_subrev_nc_u32_e32 v2, 28, v1
	v_lshlrev_b64_e32 v[2:3], v2, v[4:5]
	s_delay_alu instid0(VALU_DEP_1)
	v_dual_sub_nc_u32 v1, 29, v1 :: v_dual_bitop2_b32 v4, 7, v2 bitop3:0x40
; %bb.879:                              ;   in Loop: Header=BB230_10 Depth=1
	s_or_b32 exec_lo, exec_lo, s16
	v_lshlrev_b32_e32 v2, 24, v0
	s_delay_alu instid0(VALU_DEP_2) | instskip(NEXT) | instid1(VALU_DEP_3)
	v_lshlrev_b32_e32 v3, 20, v4
	v_lshl_add_u32 v1, v1, 23, 0x3c000000
	s_delay_alu instid0(VALU_DEP_3) | instskip(NEXT) | instid1(VALU_DEP_1)
	v_and_b32_e32 v2, 0x80000000, v2
	v_or3_b32 v4, v3, v2, v1
	v_mov_b32_e32 v1, v5
	s_clause 0x1
	scratch_store_b64 off, v[0:1], s32 offset:192
	scratch_store_b64 off, v[4:5], s32 offset:1076
.LBB230_880:                            ;   in Loop: Header=BB230_10 Depth=1
	s_wait_xcnt 0x0
	s_or_b32 exec_lo, exec_lo, s11
.LBB230_881:                            ;   in Loop: Header=BB230_10 Depth=1
	s_delay_alu instid0(SALU_CYCLE_1)
	s_or_b32 exec_lo, exec_lo, s9
.LBB230_882:                            ;   in Loop: Header=BB230_10 Depth=1
	s_delay_alu instid0(SALU_CYCLE_1) | instskip(SKIP_2) | instid1(VALU_DEP_1)
	s_or_b32 exec_lo, exec_lo, s8
	v_lshrrev_b16 v1, 8, v0
	s_mov_b32 s8, exec_lo
	v_cmpx_ne_u16_e32 0, v1
	s_cbranch_execz .LBB230_890
; %bb.883:                              ;   in Loop: Header=BB230_10 Depth=1
	v_mov_b64_e32 v[2:3], 0x8000000000000000
	s_mov_b32 s9, exec_lo
	scratch_store_b64 off, v[2:3], s32 offset:1100 ; 8-byte Folded Spill
	s_wait_xcnt 0x0
	v_cmpx_ne_u16_e32 0x80, v1
	s_cbranch_execz .LBB230_889
; %bb.884:                              ;   in Loop: Header=BB230_10 Depth=1
	v_and_b32_e32 v1, 0xffff, v1
	v_mov_b64_e32 v[4:5], 0x7f80000100000000
	s_mov_b32 s11, exec_lo
	s_delay_alu instid0(VALU_DEP_2)
	v_and_b32_e32 v2, 0x7f, v1
	scratch_store_b64 off, v[4:5], s32 offset:1100 ; 8-byte Folded Spill
	s_wait_xcnt 0x0
	v_cmpx_ne_u32_e32 0x7f, v2
	s_cbranch_execz .LBB230_888
; %bb.885:                              ;   in Loop: Header=BB230_10 Depth=1
	scratch_load_b64 v[4:5], off, s32 offset:192 th:TH_LOAD_LU ; 8-byte Folded Reload
	s_wait_loadcnt 0x0
	v_dual_lshrrev_b32 v1, 3, v2 :: v_dual_bitop2_b32 v4, 7, v1 bitop3:0x40
	s_mov_b32 s16, exec_lo
	s_wait_xcnt 0x0
	v_cmpx_gt_u32_e32 8, v2
; %bb.886:                              ;   in Loop: Header=BB230_10 Depth=1
	s_delay_alu instid0(VALU_DEP_2) | instskip(NEXT) | instid1(VALU_DEP_1)
	v_clz_i32_u32_e32 v1, v4
	v_min_u32_e32 v1, 32, v1
	s_delay_alu instid0(VALU_DEP_1) | instskip(NEXT) | instid1(VALU_DEP_1)
	v_subrev_nc_u32_e32 v2, 28, v1
	v_lshlrev_b64_e32 v[2:3], v2, v[4:5]
	s_delay_alu instid0(VALU_DEP_1)
	v_dual_sub_nc_u32 v1, 29, v1 :: v_dual_bitop2_b32 v4, 7, v2 bitop3:0x40
; %bb.887:                              ;   in Loop: Header=BB230_10 Depth=1
	s_or_b32 exec_lo, exec_lo, s16
	v_lshlrev_b32_e32 v2, 16, v0
	s_delay_alu instid0(VALU_DEP_2) | instskip(NEXT) | instid1(VALU_DEP_3)
	v_lshlrev_b32_e32 v3, 20, v4
	v_lshl_add_u32 v1, v1, 23, 0x3c000000
	s_delay_alu instid0(VALU_DEP_3) | instskip(NEXT) | instid1(VALU_DEP_1)
	v_and_b32_e32 v2, 0x80000000, v2
	v_or3_b32 v3, v3, v2, v1
	v_dual_mov_b32 v1, v5 :: v_dual_mov_b32 v2, v5
	s_clause 0x1
	scratch_store_b64 off, v[0:1], s32 offset:192
	scratch_store_b64 off, v[2:3], s32 offset:1100
.LBB230_888:                            ;   in Loop: Header=BB230_10 Depth=1
	s_wait_xcnt 0x0
	s_or_b32 exec_lo, exec_lo, s11
.LBB230_889:                            ;   in Loop: Header=BB230_10 Depth=1
	s_delay_alu instid0(SALU_CYCLE_1)
	s_or_b32 exec_lo, exec_lo, s9
.LBB230_890:                            ;   in Loop: Header=BB230_10 Depth=1
	s_delay_alu instid0(SALU_CYCLE_1) | instskip(SKIP_3) | instid1(VALU_DEP_1)
	s_or_b32 exec_lo, exec_lo, s8
	v_mov_b64_e32 v[4:5], 0
	v_lshrrev_b32_e32 v1, 16, v0
	s_mov_b32 s8, exec_lo
	v_and_b32_e32 v2, 0xff, v1
	scratch_store_b64 off, v[4:5], s32 offset:1084 ; 8-byte Folded Spill
	s_wait_xcnt 0x0
	v_mov_b64_e32 v[4:5], 0
	scratch_store_b64 off, v[4:5], s32 offset:1092 ; 8-byte Folded Spill
	s_wait_xcnt 0x0
	v_cmpx_ne_u16_e32 0, v2
	s_cbranch_execz .LBB230_898
; %bb.891:                              ;   in Loop: Header=BB230_10 Depth=1
	v_cmp_ne_u16_e64 s1, 0x80, v2
	v_mov_b64_e32 v[2:3], 0x80000000
	scratch_store_b64 off, v[2:3], s32 offset:1092 ; 8-byte Folded Spill
	s_wait_xcnt 0x0
	s_and_saveexec_b32 s9, s1
	s_cbranch_execz .LBB230_897
; %bb.892:                              ;   in Loop: Header=BB230_10 Depth=1
	v_mov_b64_e32 v[4:5], 0x7f800001
	v_bfe_u32 v3, v0, 16, 7
	s_mov_b32 s11, exec_lo
	scratch_store_b64 off, v[4:5], s32 offset:1092 ; 8-byte Folded Spill
	s_wait_xcnt 0x0
	v_cmpx_ne_u32_e32 0x7f, v3
	s_cbranch_execz .LBB230_896
; %bb.893:                              ;   in Loop: Header=BB230_10 Depth=1
	scratch_load_b64 v[6:7], off, s32 offset:192 th:TH_LOAD_LU ; 8-byte Folded Reload
	s_wait_loadcnt 0x0
	v_dual_lshrrev_b32 v2, 3, v3 :: v_dual_bitop2_b32 v6, 7, v1 bitop3:0x40
	s_mov_b32 s16, exec_lo
	s_wait_xcnt 0x0
	v_cmpx_gt_u32_e32 8, v3
; %bb.894:                              ;   in Loop: Header=BB230_10 Depth=1
	s_delay_alu instid0(VALU_DEP_2) | instskip(NEXT) | instid1(VALU_DEP_1)
	v_clz_i32_u32_e32 v2, v6
	v_min_u32_e32 v2, 32, v2
	s_delay_alu instid0(VALU_DEP_1) | instskip(NEXT) | instid1(VALU_DEP_1)
	v_subrev_nc_u32_e32 v3, 28, v2
	v_lshlrev_b64_e32 v[4:5], v3, v[6:7]
	s_delay_alu instid0(VALU_DEP_1)
	v_dual_sub_nc_u32 v2, 29, v2 :: v_dual_bitop2_b32 v6, 7, v4 bitop3:0x40
; %bb.895:                              ;   in Loop: Header=BB230_10 Depth=1
	s_or_b32 exec_lo, exec_lo, s16
	s_delay_alu instid0(VALU_DEP_1) | instskip(NEXT) | instid1(VALU_DEP_2)
	v_dual_lshlrev_b32 v1, 24, v1 :: v_dual_lshlrev_b32 v3, 20, v6
	v_lshl_add_u32 v2, v2, 23, 0x3c000000
	s_delay_alu instid0(VALU_DEP_2) | instskip(NEXT) | instid1(VALU_DEP_1)
	v_and_b32_e32 v1, 0x80000000, v1
	v_or3_b32 v6, v3, v1, v2
	v_mov_b32_e32 v1, v7
	s_clause 0x1
	scratch_store_b64 off, v[0:1], s32 offset:192
	scratch_store_b64 off, v[6:7], s32 offset:1092
.LBB230_896:                            ;   in Loop: Header=BB230_10 Depth=1
	s_wait_xcnt 0x0
	s_or_b32 exec_lo, exec_lo, s11
.LBB230_897:                            ;   in Loop: Header=BB230_10 Depth=1
	s_delay_alu instid0(SALU_CYCLE_1)
	s_or_b32 exec_lo, exec_lo, s9
.LBB230_898:                            ;   in Loop: Header=BB230_10 Depth=1
	s_delay_alu instid0(SALU_CYCLE_1) | instskip(NEXT) | instid1(SALU_CYCLE_1)
	s_or_b32 exec_lo, exec_lo, s8
	s_mov_b32 s8, exec_lo
	v_cmpx_lt_u32_e32 0xffffff, v0
	s_cbranch_execz .LBB230_906
; %bb.899:                              ;   in Loop: Header=BB230_10 Depth=1
	v_mov_b64_e32 v[2:3], 0x8000000000000000
	v_lshrrev_b32_e32 v1, 24, v0
	s_mov_b32 s9, exec_lo
	scratch_store_b64 off, v[2:3], s32 offset:1084 ; 8-byte Folded Spill
	s_wait_xcnt 0x0
	v_cmpx_ne_u32_e32 0x80, v1
	s_cbranch_execz .LBB230_905
; %bb.900:                              ;   in Loop: Header=BB230_10 Depth=1
	v_mov_b64_e32 v[4:5], 0x7f80000100000000
	v_bfe_u32 v2, v0, 24, 7
	s_mov_b32 s11, exec_lo
	scratch_store_b64 off, v[4:5], s32 offset:1084 ; 8-byte Folded Spill
	s_wait_xcnt 0x0
	v_cmpx_ne_u32_e32 0x7f, v2
	s_cbranch_execz .LBB230_904
; %bb.901:                              ;   in Loop: Header=BB230_10 Depth=1
	scratch_load_b64 v[4:5], off, s32 offset:192 th:TH_LOAD_LU ; 8-byte Folded Reload
	s_wait_loadcnt 0x0
	v_dual_lshrrev_b32 v0, 3, v2 :: v_dual_bitop2_b32 v4, 7, v1 bitop3:0x40
	s_mov_b32 s16, exec_lo
	s_wait_xcnt 0x0
	v_cmpx_gt_u32_e32 8, v2
; %bb.902:                              ;   in Loop: Header=BB230_10 Depth=1
	s_delay_alu instid0(VALU_DEP_2) | instskip(NEXT) | instid1(VALU_DEP_1)
	v_clz_i32_u32_e32 v0, v4
	v_min_u32_e32 v0, 32, v0
	s_delay_alu instid0(VALU_DEP_1) | instskip(NEXT) | instid1(VALU_DEP_1)
	v_subrev_nc_u32_e32 v2, 28, v0
	v_lshlrev_b64_e32 v[2:3], v2, v[4:5]
	s_delay_alu instid0(VALU_DEP_1)
	v_dual_sub_nc_u32 v0, 29, v0 :: v_dual_bitop2_b32 v4, 7, v2 bitop3:0x40
; %bb.903:                              ;   in Loop: Header=BB230_10 Depth=1
	s_or_b32 exec_lo, exec_lo, s16
	s_delay_alu instid0(VALU_DEP_1) | instskip(NEXT) | instid1(VALU_DEP_2)
	v_dual_lshlrev_b32 v1, 24, v1 :: v_dual_lshlrev_b32 v2, 20, v4
	v_lshl_add_u32 v0, v0, 23, 0x3c000000
	s_delay_alu instid0(VALU_DEP_2) | instskip(NEXT) | instid1(VALU_DEP_1)
	v_and_b32_e32 v1, 0x80000000, v1
	v_or3_b32 v3, v2, v1, v0
	v_dual_mov_b32 v1, v5 :: v_dual_mov_b32 v2, v5
	s_clause 0x1
	scratch_store_b64 off, v[0:1], s32 offset:192
	scratch_store_b64 off, v[2:3], s32 offset:1084
.LBB230_904:                            ;   in Loop: Header=BB230_10 Depth=1
	s_wait_xcnt 0x0
	s_or_b32 exec_lo, exec_lo, s11
.LBB230_905:                            ;   in Loop: Header=BB230_10 Depth=1
	s_delay_alu instid0(SALU_CYCLE_1)
	s_or_b32 exec_lo, exec_lo, s9
.LBB230_906:                            ;   in Loop: Header=BB230_10 Depth=1
	s_delay_alu instid0(SALU_CYCLE_1)
	s_or_b32 exec_lo, exec_lo, s8
	flat_load_b32 v0, v[92:93] offset:3584
	v_mov_b64_e32 v[2:3], 0
	s_mov_b32 s8, exec_lo
	scratch_store_b64 off, v[2:3], s32 offset:1132 ; 8-byte Folded Spill
	s_wait_xcnt 0x0
	v_mov_b64_e32 v[2:3], 0
	scratch_store_b64 off, v[2:3], s32 offset:1108 ; 8-byte Folded Spill
	s_wait_loadcnt_dscnt 0x0
	v_and_b32_e32 v1, 0xff, v0
	s_wait_xcnt 0x0
	s_delay_alu instid0(VALU_DEP_1)
	v_cmpx_ne_u16_e32 0, v1
	s_cbranch_execz .LBB230_914
; %bb.907:                              ;   in Loop: Header=BB230_10 Depth=1
	v_mov_b64_e32 v[2:3], 0x80000000
	s_mov_b32 s9, exec_lo
	scratch_store_b64 off, v[2:3], s32 offset:1108 ; 8-byte Folded Spill
	s_wait_xcnt 0x0
	v_cmpx_ne_u16_e32 0x80, v1
	s_cbranch_execz .LBB230_913
; %bb.908:                              ;   in Loop: Header=BB230_10 Depth=1
	v_mov_b64_e32 v[4:5], 0x7f800001
	v_and_b32_e32 v2, 0x7f, v0
	s_mov_b32 s11, exec_lo
	scratch_store_b64 off, v[4:5], s32 offset:1108 ; 8-byte Folded Spill
	s_wait_xcnt 0x0
	v_cmpx_ne_u32_e32 0x7f, v2
	s_cbranch_execz .LBB230_912
; %bb.909:                              ;   in Loop: Header=BB230_10 Depth=1
	scratch_load_b64 v[4:5], off, s32 offset:192 th:TH_LOAD_LU ; 8-byte Folded Reload
	s_wait_loadcnt 0x0
	v_dual_lshrrev_b32 v1, 3, v2 :: v_dual_bitop2_b32 v4, 7, v0 bitop3:0x40
	s_mov_b32 s16, exec_lo
	s_wait_xcnt 0x0
	v_cmpx_gt_u32_e32 8, v2
; %bb.910:                              ;   in Loop: Header=BB230_10 Depth=1
	s_delay_alu instid0(VALU_DEP_2) | instskip(NEXT) | instid1(VALU_DEP_1)
	v_clz_i32_u32_e32 v1, v4
	v_min_u32_e32 v1, 32, v1
	s_delay_alu instid0(VALU_DEP_1) | instskip(NEXT) | instid1(VALU_DEP_1)
	v_subrev_nc_u32_e32 v2, 28, v1
	v_lshlrev_b64_e32 v[2:3], v2, v[4:5]
	s_delay_alu instid0(VALU_DEP_1)
	v_dual_sub_nc_u32 v1, 29, v1 :: v_dual_bitop2_b32 v4, 7, v2 bitop3:0x40
; %bb.911:                              ;   in Loop: Header=BB230_10 Depth=1
	s_or_b32 exec_lo, exec_lo, s16
	v_lshlrev_b32_e32 v2, 24, v0
	s_delay_alu instid0(VALU_DEP_2) | instskip(NEXT) | instid1(VALU_DEP_3)
	v_lshlrev_b32_e32 v3, 20, v4
	v_lshl_add_u32 v1, v1, 23, 0x3c000000
	s_delay_alu instid0(VALU_DEP_3) | instskip(NEXT) | instid1(VALU_DEP_1)
	v_and_b32_e32 v2, 0x80000000, v2
	v_or3_b32 v4, v3, v2, v1
	v_mov_b32_e32 v1, v5
	s_clause 0x1
	scratch_store_b64 off, v[0:1], s32 offset:192
	scratch_store_b64 off, v[4:5], s32 offset:1108
.LBB230_912:                            ;   in Loop: Header=BB230_10 Depth=1
	s_wait_xcnt 0x0
	s_or_b32 exec_lo, exec_lo, s11
.LBB230_913:                            ;   in Loop: Header=BB230_10 Depth=1
	s_delay_alu instid0(SALU_CYCLE_1)
	s_or_b32 exec_lo, exec_lo, s9
.LBB230_914:                            ;   in Loop: Header=BB230_10 Depth=1
	s_delay_alu instid0(SALU_CYCLE_1) | instskip(SKIP_2) | instid1(VALU_DEP_1)
	s_or_b32 exec_lo, exec_lo, s8
	v_lshrrev_b16 v1, 8, v0
	s_mov_b32 s8, exec_lo
	v_cmpx_ne_u16_e32 0, v1
	s_cbranch_execz .LBB230_922
; %bb.915:                              ;   in Loop: Header=BB230_10 Depth=1
	v_mov_b64_e32 v[2:3], 0x8000000000000000
	s_mov_b32 s9, exec_lo
	scratch_store_b64 off, v[2:3], s32 offset:1132 ; 8-byte Folded Spill
	s_wait_xcnt 0x0
	v_cmpx_ne_u16_e32 0x80, v1
	s_cbranch_execz .LBB230_921
; %bb.916:                              ;   in Loop: Header=BB230_10 Depth=1
	v_and_b32_e32 v1, 0xffff, v1
	v_mov_b64_e32 v[4:5], 0x7f80000100000000
	s_mov_b32 s11, exec_lo
	s_delay_alu instid0(VALU_DEP_2)
	v_and_b32_e32 v2, 0x7f, v1
	scratch_store_b64 off, v[4:5], s32 offset:1132 ; 8-byte Folded Spill
	s_wait_xcnt 0x0
	v_cmpx_ne_u32_e32 0x7f, v2
	s_cbranch_execz .LBB230_920
; %bb.917:                              ;   in Loop: Header=BB230_10 Depth=1
	scratch_load_b64 v[4:5], off, s32 offset:192 th:TH_LOAD_LU ; 8-byte Folded Reload
	s_wait_loadcnt 0x0
	v_dual_lshrrev_b32 v1, 3, v2 :: v_dual_bitop2_b32 v4, 7, v1 bitop3:0x40
	s_mov_b32 s16, exec_lo
	s_wait_xcnt 0x0
	v_cmpx_gt_u32_e32 8, v2
; %bb.918:                              ;   in Loop: Header=BB230_10 Depth=1
	s_delay_alu instid0(VALU_DEP_2) | instskip(NEXT) | instid1(VALU_DEP_1)
	v_clz_i32_u32_e32 v1, v4
	v_min_u32_e32 v1, 32, v1
	s_delay_alu instid0(VALU_DEP_1) | instskip(NEXT) | instid1(VALU_DEP_1)
	v_subrev_nc_u32_e32 v2, 28, v1
	v_lshlrev_b64_e32 v[2:3], v2, v[4:5]
	s_delay_alu instid0(VALU_DEP_1)
	v_dual_sub_nc_u32 v1, 29, v1 :: v_dual_bitop2_b32 v4, 7, v2 bitop3:0x40
; %bb.919:                              ;   in Loop: Header=BB230_10 Depth=1
	s_or_b32 exec_lo, exec_lo, s16
	v_lshlrev_b32_e32 v2, 16, v0
	s_delay_alu instid0(VALU_DEP_2) | instskip(NEXT) | instid1(VALU_DEP_3)
	v_lshlrev_b32_e32 v3, 20, v4
	v_lshl_add_u32 v1, v1, 23, 0x3c000000
	s_delay_alu instid0(VALU_DEP_3) | instskip(NEXT) | instid1(VALU_DEP_1)
	v_and_b32_e32 v2, 0x80000000, v2
	v_or3_b32 v3, v3, v2, v1
	v_dual_mov_b32 v1, v5 :: v_dual_mov_b32 v2, v5
	s_clause 0x1
	scratch_store_b64 off, v[0:1], s32 offset:192
	scratch_store_b64 off, v[2:3], s32 offset:1132
.LBB230_920:                            ;   in Loop: Header=BB230_10 Depth=1
	s_wait_xcnt 0x0
	s_or_b32 exec_lo, exec_lo, s11
.LBB230_921:                            ;   in Loop: Header=BB230_10 Depth=1
	s_delay_alu instid0(SALU_CYCLE_1)
	s_or_b32 exec_lo, exec_lo, s9
.LBB230_922:                            ;   in Loop: Header=BB230_10 Depth=1
	s_delay_alu instid0(SALU_CYCLE_1) | instskip(SKIP_3) | instid1(VALU_DEP_1)
	s_or_b32 exec_lo, exec_lo, s8
	v_mov_b64_e32 v[4:5], 0
	v_lshrrev_b32_e32 v1, 16, v0
	s_mov_b32 s8, exec_lo
	v_and_b32_e32 v2, 0xff, v1
	scratch_store_b64 off, v[4:5], s32 offset:1116 ; 8-byte Folded Spill
	s_wait_xcnt 0x0
	v_mov_b64_e32 v[4:5], 0
	scratch_store_b64 off, v[4:5], s32 offset:1124 ; 8-byte Folded Spill
	s_wait_xcnt 0x0
	v_cmpx_ne_u16_e32 0, v2
	s_cbranch_execz .LBB230_930
; %bb.923:                              ;   in Loop: Header=BB230_10 Depth=1
	v_cmp_ne_u16_e64 s1, 0x80, v2
	v_mov_b64_e32 v[2:3], 0x80000000
	scratch_store_b64 off, v[2:3], s32 offset:1124 ; 8-byte Folded Spill
	s_wait_xcnt 0x0
	s_and_saveexec_b32 s9, s1
	s_cbranch_execz .LBB230_929
; %bb.924:                              ;   in Loop: Header=BB230_10 Depth=1
	v_mov_b64_e32 v[4:5], 0x7f800001
	v_bfe_u32 v3, v0, 16, 7
	s_mov_b32 s11, exec_lo
	scratch_store_b64 off, v[4:5], s32 offset:1124 ; 8-byte Folded Spill
	s_wait_xcnt 0x0
	v_cmpx_ne_u32_e32 0x7f, v3
	s_cbranch_execz .LBB230_928
; %bb.925:                              ;   in Loop: Header=BB230_10 Depth=1
	scratch_load_b64 v[6:7], off, s32 offset:192 th:TH_LOAD_LU ; 8-byte Folded Reload
	s_wait_loadcnt 0x0
	v_dual_lshrrev_b32 v2, 3, v3 :: v_dual_bitop2_b32 v6, 7, v1 bitop3:0x40
	s_mov_b32 s16, exec_lo
	s_wait_xcnt 0x0
	v_cmpx_gt_u32_e32 8, v3
; %bb.926:                              ;   in Loop: Header=BB230_10 Depth=1
	s_delay_alu instid0(VALU_DEP_2) | instskip(NEXT) | instid1(VALU_DEP_1)
	v_clz_i32_u32_e32 v2, v6
	v_min_u32_e32 v2, 32, v2
	s_delay_alu instid0(VALU_DEP_1) | instskip(NEXT) | instid1(VALU_DEP_1)
	v_subrev_nc_u32_e32 v3, 28, v2
	v_lshlrev_b64_e32 v[4:5], v3, v[6:7]
	s_delay_alu instid0(VALU_DEP_1)
	v_dual_sub_nc_u32 v2, 29, v2 :: v_dual_bitop2_b32 v6, 7, v4 bitop3:0x40
; %bb.927:                              ;   in Loop: Header=BB230_10 Depth=1
	s_or_b32 exec_lo, exec_lo, s16
	s_delay_alu instid0(VALU_DEP_1) | instskip(NEXT) | instid1(VALU_DEP_2)
	v_dual_lshlrev_b32 v1, 24, v1 :: v_dual_lshlrev_b32 v3, 20, v6
	v_lshl_add_u32 v2, v2, 23, 0x3c000000
	s_delay_alu instid0(VALU_DEP_2) | instskip(NEXT) | instid1(VALU_DEP_1)
	v_and_b32_e32 v1, 0x80000000, v1
	v_or3_b32 v6, v3, v1, v2
	v_mov_b32_e32 v1, v7
	s_clause 0x1
	scratch_store_b64 off, v[0:1], s32 offset:192
	scratch_store_b64 off, v[6:7], s32 offset:1124
.LBB230_928:                            ;   in Loop: Header=BB230_10 Depth=1
	s_wait_xcnt 0x0
	s_or_b32 exec_lo, exec_lo, s11
.LBB230_929:                            ;   in Loop: Header=BB230_10 Depth=1
	s_delay_alu instid0(SALU_CYCLE_1)
	s_or_b32 exec_lo, exec_lo, s9
.LBB230_930:                            ;   in Loop: Header=BB230_10 Depth=1
	s_delay_alu instid0(SALU_CYCLE_1) | instskip(NEXT) | instid1(SALU_CYCLE_1)
	s_or_b32 exec_lo, exec_lo, s8
	s_mov_b32 s8, exec_lo
	v_cmpx_lt_u32_e32 0xffffff, v0
	s_cbranch_execz .LBB230_938
; %bb.931:                              ;   in Loop: Header=BB230_10 Depth=1
	v_mov_b64_e32 v[2:3], 0x8000000000000000
	v_lshrrev_b32_e32 v1, 24, v0
	s_mov_b32 s9, exec_lo
	scratch_store_b64 off, v[2:3], s32 offset:1116 ; 8-byte Folded Spill
	s_wait_xcnt 0x0
	v_cmpx_ne_u32_e32 0x80, v1
	s_cbranch_execz .LBB230_937
; %bb.932:                              ;   in Loop: Header=BB230_10 Depth=1
	v_mov_b64_e32 v[4:5], 0x7f80000100000000
	v_bfe_u32 v2, v0, 24, 7
	s_mov_b32 s11, exec_lo
	scratch_store_b64 off, v[4:5], s32 offset:1116 ; 8-byte Folded Spill
	s_wait_xcnt 0x0
	v_cmpx_ne_u32_e32 0x7f, v2
	s_cbranch_execz .LBB230_936
; %bb.933:                              ;   in Loop: Header=BB230_10 Depth=1
	scratch_load_b64 v[4:5], off, s32 offset:192 th:TH_LOAD_LU ; 8-byte Folded Reload
	s_wait_loadcnt 0x0
	v_dual_lshrrev_b32 v0, 3, v2 :: v_dual_bitop2_b32 v4, 7, v1 bitop3:0x40
	s_mov_b32 s16, exec_lo
	s_wait_xcnt 0x0
	v_cmpx_gt_u32_e32 8, v2
; %bb.934:                              ;   in Loop: Header=BB230_10 Depth=1
	s_delay_alu instid0(VALU_DEP_2) | instskip(NEXT) | instid1(VALU_DEP_1)
	v_clz_i32_u32_e32 v0, v4
	v_min_u32_e32 v0, 32, v0
	s_delay_alu instid0(VALU_DEP_1) | instskip(NEXT) | instid1(VALU_DEP_1)
	v_subrev_nc_u32_e32 v2, 28, v0
	v_lshlrev_b64_e32 v[2:3], v2, v[4:5]
	s_delay_alu instid0(VALU_DEP_1)
	v_dual_sub_nc_u32 v0, 29, v0 :: v_dual_bitop2_b32 v4, 7, v2 bitop3:0x40
; %bb.935:                              ;   in Loop: Header=BB230_10 Depth=1
	s_or_b32 exec_lo, exec_lo, s16
	s_delay_alu instid0(VALU_DEP_1) | instskip(NEXT) | instid1(VALU_DEP_2)
	v_dual_lshlrev_b32 v1, 24, v1 :: v_dual_lshlrev_b32 v2, 20, v4
	v_lshl_add_u32 v0, v0, 23, 0x3c000000
	s_delay_alu instid0(VALU_DEP_2) | instskip(NEXT) | instid1(VALU_DEP_1)
	v_and_b32_e32 v1, 0x80000000, v1
	v_or3_b32 v3, v2, v1, v0
	v_dual_mov_b32 v1, v5 :: v_dual_mov_b32 v2, v5
	s_clause 0x1
	scratch_store_b64 off, v[0:1], s32 offset:192
	scratch_store_b64 off, v[2:3], s32 offset:1116
.LBB230_936:                            ;   in Loop: Header=BB230_10 Depth=1
	s_wait_xcnt 0x0
	s_or_b32 exec_lo, exec_lo, s11
.LBB230_937:                            ;   in Loop: Header=BB230_10 Depth=1
	s_delay_alu instid0(SALU_CYCLE_1)
	s_or_b32 exec_lo, exec_lo, s9
.LBB230_938:                            ;   in Loop: Header=BB230_10 Depth=1
	s_delay_alu instid0(SALU_CYCLE_1)
	s_or_b32 exec_lo, exec_lo, s8
	flat_load_b32 v0, v[92:93] offset:3588
	v_mov_b64_e32 v[2:3], 0
	s_mov_b32 s8, exec_lo
	scratch_store_b64 off, v[2:3], s32 offset:1164 ; 8-byte Folded Spill
	s_wait_xcnt 0x0
	v_mov_b64_e32 v[2:3], 0
	scratch_store_b64 off, v[2:3], s32 offset:1140 ; 8-byte Folded Spill
	s_wait_loadcnt_dscnt 0x0
	v_and_b32_e32 v1, 0xff, v0
	s_wait_xcnt 0x0
	s_delay_alu instid0(VALU_DEP_1)
	v_cmpx_ne_u16_e32 0, v1
	s_cbranch_execz .LBB230_946
; %bb.939:                              ;   in Loop: Header=BB230_10 Depth=1
	v_mov_b64_e32 v[2:3], 0x80000000
	s_mov_b32 s9, exec_lo
	scratch_store_b64 off, v[2:3], s32 offset:1140 ; 8-byte Folded Spill
	s_wait_xcnt 0x0
	v_cmpx_ne_u16_e32 0x80, v1
	s_cbranch_execz .LBB230_945
; %bb.940:                              ;   in Loop: Header=BB230_10 Depth=1
	v_mov_b64_e32 v[4:5], 0x7f800001
	v_and_b32_e32 v2, 0x7f, v0
	s_mov_b32 s11, exec_lo
	scratch_store_b64 off, v[4:5], s32 offset:1140 ; 8-byte Folded Spill
	s_wait_xcnt 0x0
	v_cmpx_ne_u32_e32 0x7f, v2
	s_cbranch_execz .LBB230_944
; %bb.941:                              ;   in Loop: Header=BB230_10 Depth=1
	scratch_load_b64 v[4:5], off, s32 offset:192 th:TH_LOAD_LU ; 8-byte Folded Reload
	s_wait_loadcnt 0x0
	v_dual_lshrrev_b32 v1, 3, v2 :: v_dual_bitop2_b32 v4, 7, v0 bitop3:0x40
	s_mov_b32 s16, exec_lo
	s_wait_xcnt 0x0
	v_cmpx_gt_u32_e32 8, v2
; %bb.942:                              ;   in Loop: Header=BB230_10 Depth=1
	s_delay_alu instid0(VALU_DEP_2) | instskip(NEXT) | instid1(VALU_DEP_1)
	v_clz_i32_u32_e32 v1, v4
	v_min_u32_e32 v1, 32, v1
	s_delay_alu instid0(VALU_DEP_1) | instskip(NEXT) | instid1(VALU_DEP_1)
	v_subrev_nc_u32_e32 v2, 28, v1
	v_lshlrev_b64_e32 v[2:3], v2, v[4:5]
	s_delay_alu instid0(VALU_DEP_1)
	v_dual_sub_nc_u32 v1, 29, v1 :: v_dual_bitop2_b32 v4, 7, v2 bitop3:0x40
; %bb.943:                              ;   in Loop: Header=BB230_10 Depth=1
	s_or_b32 exec_lo, exec_lo, s16
	v_lshlrev_b32_e32 v2, 24, v0
	s_delay_alu instid0(VALU_DEP_2) | instskip(NEXT) | instid1(VALU_DEP_3)
	v_lshlrev_b32_e32 v3, 20, v4
	v_lshl_add_u32 v1, v1, 23, 0x3c000000
	s_delay_alu instid0(VALU_DEP_3) | instskip(NEXT) | instid1(VALU_DEP_1)
	v_and_b32_e32 v2, 0x80000000, v2
	v_or3_b32 v4, v3, v2, v1
	v_mov_b32_e32 v1, v5
	s_clause 0x1
	scratch_store_b64 off, v[0:1], s32 offset:192
	scratch_store_b64 off, v[4:5], s32 offset:1140
.LBB230_944:                            ;   in Loop: Header=BB230_10 Depth=1
	s_wait_xcnt 0x0
	s_or_b32 exec_lo, exec_lo, s11
.LBB230_945:                            ;   in Loop: Header=BB230_10 Depth=1
	s_delay_alu instid0(SALU_CYCLE_1)
	s_or_b32 exec_lo, exec_lo, s9
.LBB230_946:                            ;   in Loop: Header=BB230_10 Depth=1
	s_delay_alu instid0(SALU_CYCLE_1) | instskip(SKIP_2) | instid1(VALU_DEP_1)
	s_or_b32 exec_lo, exec_lo, s8
	v_lshrrev_b16 v1, 8, v0
	s_mov_b32 s8, exec_lo
	v_cmpx_ne_u16_e32 0, v1
	s_cbranch_execz .LBB230_954
; %bb.947:                              ;   in Loop: Header=BB230_10 Depth=1
	v_mov_b64_e32 v[2:3], 0x8000000000000000
	s_mov_b32 s9, exec_lo
	scratch_store_b64 off, v[2:3], s32 offset:1164 ; 8-byte Folded Spill
	s_wait_xcnt 0x0
	v_cmpx_ne_u16_e32 0x80, v1
	s_cbranch_execz .LBB230_953
; %bb.948:                              ;   in Loop: Header=BB230_10 Depth=1
	v_and_b32_e32 v1, 0xffff, v1
	v_mov_b64_e32 v[4:5], 0x7f80000100000000
	s_mov_b32 s11, exec_lo
	s_delay_alu instid0(VALU_DEP_2)
	v_and_b32_e32 v2, 0x7f, v1
	scratch_store_b64 off, v[4:5], s32 offset:1164 ; 8-byte Folded Spill
	s_wait_xcnt 0x0
	v_cmpx_ne_u32_e32 0x7f, v2
	s_cbranch_execz .LBB230_952
; %bb.949:                              ;   in Loop: Header=BB230_10 Depth=1
	scratch_load_b64 v[4:5], off, s32 offset:192 th:TH_LOAD_LU ; 8-byte Folded Reload
	s_wait_loadcnt 0x0
	v_dual_lshrrev_b32 v1, 3, v2 :: v_dual_bitop2_b32 v4, 7, v1 bitop3:0x40
	s_mov_b32 s16, exec_lo
	s_wait_xcnt 0x0
	v_cmpx_gt_u32_e32 8, v2
; %bb.950:                              ;   in Loop: Header=BB230_10 Depth=1
	s_delay_alu instid0(VALU_DEP_2) | instskip(NEXT) | instid1(VALU_DEP_1)
	v_clz_i32_u32_e32 v1, v4
	v_min_u32_e32 v1, 32, v1
	s_delay_alu instid0(VALU_DEP_1) | instskip(NEXT) | instid1(VALU_DEP_1)
	v_subrev_nc_u32_e32 v2, 28, v1
	v_lshlrev_b64_e32 v[2:3], v2, v[4:5]
	s_delay_alu instid0(VALU_DEP_1)
	v_dual_sub_nc_u32 v1, 29, v1 :: v_dual_bitop2_b32 v4, 7, v2 bitop3:0x40
; %bb.951:                              ;   in Loop: Header=BB230_10 Depth=1
	s_or_b32 exec_lo, exec_lo, s16
	v_lshlrev_b32_e32 v2, 16, v0
	s_delay_alu instid0(VALU_DEP_2) | instskip(NEXT) | instid1(VALU_DEP_3)
	v_lshlrev_b32_e32 v3, 20, v4
	v_lshl_add_u32 v1, v1, 23, 0x3c000000
	s_delay_alu instid0(VALU_DEP_3) | instskip(NEXT) | instid1(VALU_DEP_1)
	v_and_b32_e32 v2, 0x80000000, v2
	v_or3_b32 v3, v3, v2, v1
	v_dual_mov_b32 v1, v5 :: v_dual_mov_b32 v2, v5
	s_clause 0x1
	scratch_store_b64 off, v[0:1], s32 offset:192
	scratch_store_b64 off, v[2:3], s32 offset:1164
.LBB230_952:                            ;   in Loop: Header=BB230_10 Depth=1
	s_wait_xcnt 0x0
	s_or_b32 exec_lo, exec_lo, s11
.LBB230_953:                            ;   in Loop: Header=BB230_10 Depth=1
	s_delay_alu instid0(SALU_CYCLE_1)
	s_or_b32 exec_lo, exec_lo, s9
.LBB230_954:                            ;   in Loop: Header=BB230_10 Depth=1
	s_delay_alu instid0(SALU_CYCLE_1) | instskip(SKIP_3) | instid1(VALU_DEP_1)
	s_or_b32 exec_lo, exec_lo, s8
	v_mov_b64_e32 v[4:5], 0
	v_lshrrev_b32_e32 v1, 16, v0
	s_mov_b32 s8, exec_lo
	v_and_b32_e32 v2, 0xff, v1
	scratch_store_b64 off, v[4:5], s32 offset:1148 ; 8-byte Folded Spill
	s_wait_xcnt 0x0
	v_mov_b64_e32 v[4:5], 0
	scratch_store_b64 off, v[4:5], s32 offset:1156 ; 8-byte Folded Spill
	s_wait_xcnt 0x0
	v_cmpx_ne_u16_e32 0, v2
	s_cbranch_execz .LBB230_962
; %bb.955:                              ;   in Loop: Header=BB230_10 Depth=1
	v_cmp_ne_u16_e64 s1, 0x80, v2
	v_mov_b64_e32 v[2:3], 0x80000000
	scratch_store_b64 off, v[2:3], s32 offset:1156 ; 8-byte Folded Spill
	s_wait_xcnt 0x0
	s_and_saveexec_b32 s9, s1
	s_cbranch_execz .LBB230_961
; %bb.956:                              ;   in Loop: Header=BB230_10 Depth=1
	v_mov_b64_e32 v[4:5], 0x7f800001
	v_bfe_u32 v3, v0, 16, 7
	s_mov_b32 s11, exec_lo
	scratch_store_b64 off, v[4:5], s32 offset:1156 ; 8-byte Folded Spill
	s_wait_xcnt 0x0
	v_cmpx_ne_u32_e32 0x7f, v3
	s_cbranch_execz .LBB230_960
; %bb.957:                              ;   in Loop: Header=BB230_10 Depth=1
	scratch_load_b64 v[6:7], off, s32 offset:192 th:TH_LOAD_LU ; 8-byte Folded Reload
	s_wait_loadcnt 0x0
	v_dual_lshrrev_b32 v2, 3, v3 :: v_dual_bitop2_b32 v6, 7, v1 bitop3:0x40
	s_mov_b32 s16, exec_lo
	s_wait_xcnt 0x0
	v_cmpx_gt_u32_e32 8, v3
; %bb.958:                              ;   in Loop: Header=BB230_10 Depth=1
	s_delay_alu instid0(VALU_DEP_2) | instskip(NEXT) | instid1(VALU_DEP_1)
	v_clz_i32_u32_e32 v2, v6
	v_min_u32_e32 v2, 32, v2
	s_delay_alu instid0(VALU_DEP_1) | instskip(NEXT) | instid1(VALU_DEP_1)
	v_subrev_nc_u32_e32 v3, 28, v2
	v_lshlrev_b64_e32 v[4:5], v3, v[6:7]
	s_delay_alu instid0(VALU_DEP_1)
	v_dual_sub_nc_u32 v2, 29, v2 :: v_dual_bitop2_b32 v6, 7, v4 bitop3:0x40
; %bb.959:                              ;   in Loop: Header=BB230_10 Depth=1
	s_or_b32 exec_lo, exec_lo, s16
	s_delay_alu instid0(VALU_DEP_1) | instskip(NEXT) | instid1(VALU_DEP_2)
	v_dual_lshlrev_b32 v1, 24, v1 :: v_dual_lshlrev_b32 v3, 20, v6
	v_lshl_add_u32 v2, v2, 23, 0x3c000000
	s_delay_alu instid0(VALU_DEP_2) | instskip(NEXT) | instid1(VALU_DEP_1)
	v_and_b32_e32 v1, 0x80000000, v1
	v_or3_b32 v6, v3, v1, v2
	v_mov_b32_e32 v1, v7
	s_clause 0x1
	scratch_store_b64 off, v[0:1], s32 offset:192
	scratch_store_b64 off, v[6:7], s32 offset:1156
.LBB230_960:                            ;   in Loop: Header=BB230_10 Depth=1
	s_wait_xcnt 0x0
	s_or_b32 exec_lo, exec_lo, s11
.LBB230_961:                            ;   in Loop: Header=BB230_10 Depth=1
	s_delay_alu instid0(SALU_CYCLE_1)
	s_or_b32 exec_lo, exec_lo, s9
.LBB230_962:                            ;   in Loop: Header=BB230_10 Depth=1
	s_delay_alu instid0(SALU_CYCLE_1) | instskip(NEXT) | instid1(SALU_CYCLE_1)
	s_or_b32 exec_lo, exec_lo, s8
	s_mov_b32 s8, exec_lo
	v_cmpx_lt_u32_e32 0xffffff, v0
	s_cbranch_execz .LBB230_970
; %bb.963:                              ;   in Loop: Header=BB230_10 Depth=1
	v_mov_b64_e32 v[2:3], 0x8000000000000000
	v_lshrrev_b32_e32 v1, 24, v0
	s_mov_b32 s9, exec_lo
	scratch_store_b64 off, v[2:3], s32 offset:1148 ; 8-byte Folded Spill
	s_wait_xcnt 0x0
	v_cmpx_ne_u32_e32 0x80, v1
	s_cbranch_execz .LBB230_969
; %bb.964:                              ;   in Loop: Header=BB230_10 Depth=1
	v_mov_b64_e32 v[4:5], 0x7f80000100000000
	v_bfe_u32 v2, v0, 24, 7
	s_mov_b32 s11, exec_lo
	scratch_store_b64 off, v[4:5], s32 offset:1148 ; 8-byte Folded Spill
	s_wait_xcnt 0x0
	v_cmpx_ne_u32_e32 0x7f, v2
	s_cbranch_execz .LBB230_968
; %bb.965:                              ;   in Loop: Header=BB230_10 Depth=1
	scratch_load_b64 v[4:5], off, s32 offset:192 th:TH_LOAD_LU ; 8-byte Folded Reload
	s_wait_loadcnt 0x0
	v_dual_lshrrev_b32 v0, 3, v2 :: v_dual_bitop2_b32 v4, 7, v1 bitop3:0x40
	s_mov_b32 s16, exec_lo
	s_wait_xcnt 0x0
	v_cmpx_gt_u32_e32 8, v2
; %bb.966:                              ;   in Loop: Header=BB230_10 Depth=1
	s_delay_alu instid0(VALU_DEP_2) | instskip(NEXT) | instid1(VALU_DEP_1)
	v_clz_i32_u32_e32 v0, v4
	v_min_u32_e32 v0, 32, v0
	s_delay_alu instid0(VALU_DEP_1) | instskip(NEXT) | instid1(VALU_DEP_1)
	v_subrev_nc_u32_e32 v2, 28, v0
	v_lshlrev_b64_e32 v[2:3], v2, v[4:5]
	s_delay_alu instid0(VALU_DEP_1)
	v_dual_sub_nc_u32 v0, 29, v0 :: v_dual_bitop2_b32 v4, 7, v2 bitop3:0x40
; %bb.967:                              ;   in Loop: Header=BB230_10 Depth=1
	s_or_b32 exec_lo, exec_lo, s16
	s_delay_alu instid0(VALU_DEP_1) | instskip(NEXT) | instid1(VALU_DEP_2)
	v_dual_lshlrev_b32 v1, 24, v1 :: v_dual_lshlrev_b32 v2, 20, v4
	v_lshl_add_u32 v0, v0, 23, 0x3c000000
	s_delay_alu instid0(VALU_DEP_2) | instskip(NEXT) | instid1(VALU_DEP_1)
	v_and_b32_e32 v1, 0x80000000, v1
	v_or3_b32 v3, v2, v1, v0
	v_dual_mov_b32 v1, v5 :: v_dual_mov_b32 v2, v5
	s_clause 0x1
	scratch_store_b64 off, v[0:1], s32 offset:192
	scratch_store_b64 off, v[2:3], s32 offset:1148
.LBB230_968:                            ;   in Loop: Header=BB230_10 Depth=1
	s_wait_xcnt 0x0
	s_or_b32 exec_lo, exec_lo, s11
.LBB230_969:                            ;   in Loop: Header=BB230_10 Depth=1
	s_delay_alu instid0(SALU_CYCLE_1)
	s_or_b32 exec_lo, exec_lo, s9
.LBB230_970:                            ;   in Loop: Header=BB230_10 Depth=1
	s_delay_alu instid0(SALU_CYCLE_1)
	s_or_b32 exec_lo, exec_lo, s8
	flat_load_b32 v0, v[92:93] offset:3592
	v_mov_b64_e32 v[2:3], 0
	s_mov_b32 s8, exec_lo
	scratch_store_b64 off, v[2:3], s32 offset:1196 ; 8-byte Folded Spill
	s_wait_xcnt 0x0
	v_mov_b64_e32 v[2:3], 0
	scratch_store_b64 off, v[2:3], s32 offset:1172 ; 8-byte Folded Spill
	s_wait_loadcnt_dscnt 0x0
	v_and_b32_e32 v1, 0xff, v0
	s_wait_xcnt 0x0
	s_delay_alu instid0(VALU_DEP_1)
	v_cmpx_ne_u16_e32 0, v1
	s_cbranch_execz .LBB230_978
; %bb.971:                              ;   in Loop: Header=BB230_10 Depth=1
	v_mov_b64_e32 v[2:3], 0x80000000
	s_mov_b32 s9, exec_lo
	scratch_store_b64 off, v[2:3], s32 offset:1172 ; 8-byte Folded Spill
	s_wait_xcnt 0x0
	v_cmpx_ne_u16_e32 0x80, v1
	s_cbranch_execz .LBB230_977
; %bb.972:                              ;   in Loop: Header=BB230_10 Depth=1
	v_mov_b64_e32 v[4:5], 0x7f800001
	v_and_b32_e32 v2, 0x7f, v0
	s_mov_b32 s11, exec_lo
	scratch_store_b64 off, v[4:5], s32 offset:1172 ; 8-byte Folded Spill
	s_wait_xcnt 0x0
	v_cmpx_ne_u32_e32 0x7f, v2
	s_cbranch_execz .LBB230_976
; %bb.973:                              ;   in Loop: Header=BB230_10 Depth=1
	scratch_load_b64 v[4:5], off, s32 offset:192 th:TH_LOAD_LU ; 8-byte Folded Reload
	s_wait_loadcnt 0x0
	v_dual_lshrrev_b32 v1, 3, v2 :: v_dual_bitop2_b32 v4, 7, v0 bitop3:0x40
	s_mov_b32 s16, exec_lo
	s_wait_xcnt 0x0
	v_cmpx_gt_u32_e32 8, v2
; %bb.974:                              ;   in Loop: Header=BB230_10 Depth=1
	s_delay_alu instid0(VALU_DEP_2) | instskip(NEXT) | instid1(VALU_DEP_1)
	v_clz_i32_u32_e32 v1, v4
	v_min_u32_e32 v1, 32, v1
	s_delay_alu instid0(VALU_DEP_1) | instskip(NEXT) | instid1(VALU_DEP_1)
	v_subrev_nc_u32_e32 v2, 28, v1
	v_lshlrev_b64_e32 v[2:3], v2, v[4:5]
	s_delay_alu instid0(VALU_DEP_1)
	v_dual_sub_nc_u32 v1, 29, v1 :: v_dual_bitop2_b32 v4, 7, v2 bitop3:0x40
; %bb.975:                              ;   in Loop: Header=BB230_10 Depth=1
	s_or_b32 exec_lo, exec_lo, s16
	v_lshlrev_b32_e32 v2, 24, v0
	s_delay_alu instid0(VALU_DEP_2) | instskip(NEXT) | instid1(VALU_DEP_3)
	v_lshlrev_b32_e32 v3, 20, v4
	v_lshl_add_u32 v1, v1, 23, 0x3c000000
	s_delay_alu instid0(VALU_DEP_3) | instskip(NEXT) | instid1(VALU_DEP_1)
	v_and_b32_e32 v2, 0x80000000, v2
	v_or3_b32 v4, v3, v2, v1
	v_mov_b32_e32 v1, v5
	s_clause 0x1
	scratch_store_b64 off, v[0:1], s32 offset:192
	scratch_store_b64 off, v[4:5], s32 offset:1172
.LBB230_976:                            ;   in Loop: Header=BB230_10 Depth=1
	s_wait_xcnt 0x0
	s_or_b32 exec_lo, exec_lo, s11
.LBB230_977:                            ;   in Loop: Header=BB230_10 Depth=1
	s_delay_alu instid0(SALU_CYCLE_1)
	s_or_b32 exec_lo, exec_lo, s9
.LBB230_978:                            ;   in Loop: Header=BB230_10 Depth=1
	s_delay_alu instid0(SALU_CYCLE_1) | instskip(SKIP_2) | instid1(VALU_DEP_1)
	s_or_b32 exec_lo, exec_lo, s8
	v_lshrrev_b16 v1, 8, v0
	s_mov_b32 s8, exec_lo
	v_cmpx_ne_u16_e32 0, v1
	s_cbranch_execz .LBB230_986
; %bb.979:                              ;   in Loop: Header=BB230_10 Depth=1
	v_mov_b64_e32 v[2:3], 0x8000000000000000
	s_mov_b32 s9, exec_lo
	scratch_store_b64 off, v[2:3], s32 offset:1196 ; 8-byte Folded Spill
	s_wait_xcnt 0x0
	v_cmpx_ne_u16_e32 0x80, v1
	s_cbranch_execz .LBB230_985
; %bb.980:                              ;   in Loop: Header=BB230_10 Depth=1
	v_and_b32_e32 v1, 0xffff, v1
	v_mov_b64_e32 v[4:5], 0x7f80000100000000
	s_mov_b32 s11, exec_lo
	s_delay_alu instid0(VALU_DEP_2)
	v_and_b32_e32 v2, 0x7f, v1
	scratch_store_b64 off, v[4:5], s32 offset:1196 ; 8-byte Folded Spill
	s_wait_xcnt 0x0
	v_cmpx_ne_u32_e32 0x7f, v2
	s_cbranch_execz .LBB230_984
; %bb.981:                              ;   in Loop: Header=BB230_10 Depth=1
	scratch_load_b64 v[4:5], off, s32 offset:192 th:TH_LOAD_LU ; 8-byte Folded Reload
	s_wait_loadcnt 0x0
	v_dual_lshrrev_b32 v1, 3, v2 :: v_dual_bitop2_b32 v4, 7, v1 bitop3:0x40
	s_mov_b32 s16, exec_lo
	s_wait_xcnt 0x0
	v_cmpx_gt_u32_e32 8, v2
; %bb.982:                              ;   in Loop: Header=BB230_10 Depth=1
	s_delay_alu instid0(VALU_DEP_2) | instskip(NEXT) | instid1(VALU_DEP_1)
	v_clz_i32_u32_e32 v1, v4
	v_min_u32_e32 v1, 32, v1
	s_delay_alu instid0(VALU_DEP_1) | instskip(NEXT) | instid1(VALU_DEP_1)
	v_subrev_nc_u32_e32 v2, 28, v1
	v_lshlrev_b64_e32 v[2:3], v2, v[4:5]
	s_delay_alu instid0(VALU_DEP_1)
	v_dual_sub_nc_u32 v1, 29, v1 :: v_dual_bitop2_b32 v4, 7, v2 bitop3:0x40
; %bb.983:                              ;   in Loop: Header=BB230_10 Depth=1
	s_or_b32 exec_lo, exec_lo, s16
	v_lshlrev_b32_e32 v2, 16, v0
	s_delay_alu instid0(VALU_DEP_2) | instskip(NEXT) | instid1(VALU_DEP_3)
	v_lshlrev_b32_e32 v3, 20, v4
	v_lshl_add_u32 v1, v1, 23, 0x3c000000
	s_delay_alu instid0(VALU_DEP_3) | instskip(NEXT) | instid1(VALU_DEP_1)
	v_and_b32_e32 v2, 0x80000000, v2
	v_or3_b32 v3, v3, v2, v1
	v_dual_mov_b32 v1, v5 :: v_dual_mov_b32 v2, v5
	s_clause 0x1
	scratch_store_b64 off, v[0:1], s32 offset:192
	scratch_store_b64 off, v[2:3], s32 offset:1196
.LBB230_984:                            ;   in Loop: Header=BB230_10 Depth=1
	s_wait_xcnt 0x0
	s_or_b32 exec_lo, exec_lo, s11
.LBB230_985:                            ;   in Loop: Header=BB230_10 Depth=1
	s_delay_alu instid0(SALU_CYCLE_1)
	s_or_b32 exec_lo, exec_lo, s9
.LBB230_986:                            ;   in Loop: Header=BB230_10 Depth=1
	s_delay_alu instid0(SALU_CYCLE_1) | instskip(SKIP_3) | instid1(VALU_DEP_1)
	s_or_b32 exec_lo, exec_lo, s8
	v_mov_b64_e32 v[4:5], 0
	v_lshrrev_b32_e32 v1, 16, v0
	s_mov_b32 s8, exec_lo
	v_and_b32_e32 v2, 0xff, v1
	scratch_store_b64 off, v[4:5], s32 offset:1180 ; 8-byte Folded Spill
	s_wait_xcnt 0x0
	v_mov_b64_e32 v[4:5], 0
	scratch_store_b64 off, v[4:5], s32 offset:1188 ; 8-byte Folded Spill
	s_wait_xcnt 0x0
	v_cmpx_ne_u16_e32 0, v2
	s_cbranch_execz .LBB230_994
; %bb.987:                              ;   in Loop: Header=BB230_10 Depth=1
	v_cmp_ne_u16_e64 s1, 0x80, v2
	v_mov_b64_e32 v[2:3], 0x80000000
	scratch_store_b64 off, v[2:3], s32 offset:1188 ; 8-byte Folded Spill
	s_wait_xcnt 0x0
	s_and_saveexec_b32 s9, s1
	s_cbranch_execz .LBB230_993
; %bb.988:                              ;   in Loop: Header=BB230_10 Depth=1
	v_mov_b64_e32 v[4:5], 0x7f800001
	v_bfe_u32 v3, v0, 16, 7
	s_mov_b32 s11, exec_lo
	scratch_store_b64 off, v[4:5], s32 offset:1188 ; 8-byte Folded Spill
	s_wait_xcnt 0x0
	v_cmpx_ne_u32_e32 0x7f, v3
	s_cbranch_execz .LBB230_992
; %bb.989:                              ;   in Loop: Header=BB230_10 Depth=1
	scratch_load_b64 v[6:7], off, s32 offset:192 th:TH_LOAD_LU ; 8-byte Folded Reload
	s_wait_loadcnt 0x0
	v_dual_lshrrev_b32 v2, 3, v3 :: v_dual_bitop2_b32 v6, 7, v1 bitop3:0x40
	s_mov_b32 s16, exec_lo
	s_wait_xcnt 0x0
	v_cmpx_gt_u32_e32 8, v3
; %bb.990:                              ;   in Loop: Header=BB230_10 Depth=1
	s_delay_alu instid0(VALU_DEP_2) | instskip(NEXT) | instid1(VALU_DEP_1)
	v_clz_i32_u32_e32 v2, v6
	v_min_u32_e32 v2, 32, v2
	s_delay_alu instid0(VALU_DEP_1) | instskip(NEXT) | instid1(VALU_DEP_1)
	v_subrev_nc_u32_e32 v3, 28, v2
	v_lshlrev_b64_e32 v[4:5], v3, v[6:7]
	s_delay_alu instid0(VALU_DEP_1)
	v_dual_sub_nc_u32 v2, 29, v2 :: v_dual_bitop2_b32 v6, 7, v4 bitop3:0x40
; %bb.991:                              ;   in Loop: Header=BB230_10 Depth=1
	s_or_b32 exec_lo, exec_lo, s16
	s_delay_alu instid0(VALU_DEP_1) | instskip(NEXT) | instid1(VALU_DEP_2)
	v_dual_lshlrev_b32 v1, 24, v1 :: v_dual_lshlrev_b32 v3, 20, v6
	v_lshl_add_u32 v2, v2, 23, 0x3c000000
	s_delay_alu instid0(VALU_DEP_2) | instskip(NEXT) | instid1(VALU_DEP_1)
	v_and_b32_e32 v1, 0x80000000, v1
	v_or3_b32 v6, v3, v1, v2
	v_mov_b32_e32 v1, v7
	s_clause 0x1
	scratch_store_b64 off, v[0:1], s32 offset:192
	scratch_store_b64 off, v[6:7], s32 offset:1188
.LBB230_992:                            ;   in Loop: Header=BB230_10 Depth=1
	s_wait_xcnt 0x0
	s_or_b32 exec_lo, exec_lo, s11
.LBB230_993:                            ;   in Loop: Header=BB230_10 Depth=1
	s_delay_alu instid0(SALU_CYCLE_1)
	s_or_b32 exec_lo, exec_lo, s9
.LBB230_994:                            ;   in Loop: Header=BB230_10 Depth=1
	s_delay_alu instid0(SALU_CYCLE_1) | instskip(NEXT) | instid1(SALU_CYCLE_1)
	s_or_b32 exec_lo, exec_lo, s8
	s_mov_b32 s8, exec_lo
	v_cmpx_lt_u32_e32 0xffffff, v0
	s_cbranch_execz .LBB230_1002
; %bb.995:                              ;   in Loop: Header=BB230_10 Depth=1
	v_mov_b64_e32 v[2:3], 0x8000000000000000
	v_lshrrev_b32_e32 v1, 24, v0
	s_mov_b32 s9, exec_lo
	scratch_store_b64 off, v[2:3], s32 offset:1180 ; 8-byte Folded Spill
	s_wait_xcnt 0x0
	v_cmpx_ne_u32_e32 0x80, v1
	s_cbranch_execz .LBB230_1001
; %bb.996:                              ;   in Loop: Header=BB230_10 Depth=1
	v_mov_b64_e32 v[4:5], 0x7f80000100000000
	v_bfe_u32 v2, v0, 24, 7
	s_mov_b32 s11, exec_lo
	scratch_store_b64 off, v[4:5], s32 offset:1180 ; 8-byte Folded Spill
	s_wait_xcnt 0x0
	v_cmpx_ne_u32_e32 0x7f, v2
	s_cbranch_execz .LBB230_1000
; %bb.997:                              ;   in Loop: Header=BB230_10 Depth=1
	scratch_load_b64 v[4:5], off, s32 offset:192 th:TH_LOAD_LU ; 8-byte Folded Reload
	s_wait_loadcnt 0x0
	v_dual_lshrrev_b32 v0, 3, v2 :: v_dual_bitop2_b32 v4, 7, v1 bitop3:0x40
	s_mov_b32 s16, exec_lo
	s_wait_xcnt 0x0
	v_cmpx_gt_u32_e32 8, v2
; %bb.998:                              ;   in Loop: Header=BB230_10 Depth=1
	s_delay_alu instid0(VALU_DEP_2) | instskip(NEXT) | instid1(VALU_DEP_1)
	v_clz_i32_u32_e32 v0, v4
	v_min_u32_e32 v0, 32, v0
	s_delay_alu instid0(VALU_DEP_1) | instskip(NEXT) | instid1(VALU_DEP_1)
	v_subrev_nc_u32_e32 v2, 28, v0
	v_lshlrev_b64_e32 v[2:3], v2, v[4:5]
	s_delay_alu instid0(VALU_DEP_1)
	v_dual_sub_nc_u32 v0, 29, v0 :: v_dual_bitop2_b32 v4, 7, v2 bitop3:0x40
; %bb.999:                              ;   in Loop: Header=BB230_10 Depth=1
	s_or_b32 exec_lo, exec_lo, s16
	s_delay_alu instid0(VALU_DEP_1) | instskip(NEXT) | instid1(VALU_DEP_2)
	v_dual_lshlrev_b32 v1, 24, v1 :: v_dual_lshlrev_b32 v2, 20, v4
	v_lshl_add_u32 v0, v0, 23, 0x3c000000
	s_delay_alu instid0(VALU_DEP_2) | instskip(NEXT) | instid1(VALU_DEP_1)
	v_and_b32_e32 v1, 0x80000000, v1
	v_or3_b32 v3, v2, v1, v0
	v_dual_mov_b32 v1, v5 :: v_dual_mov_b32 v2, v5
	s_clause 0x1
	scratch_store_b64 off, v[0:1], s32 offset:192
	scratch_store_b64 off, v[2:3], s32 offset:1180
.LBB230_1000:                           ;   in Loop: Header=BB230_10 Depth=1
	s_wait_xcnt 0x0
	s_or_b32 exec_lo, exec_lo, s11
.LBB230_1001:                           ;   in Loop: Header=BB230_10 Depth=1
	s_delay_alu instid0(SALU_CYCLE_1)
	s_or_b32 exec_lo, exec_lo, s9
.LBB230_1002:                           ;   in Loop: Header=BB230_10 Depth=1
	s_delay_alu instid0(SALU_CYCLE_1)
	s_or_b32 exec_lo, exec_lo, s8
	flat_load_b32 v0, v[92:93] offset:3596
	v_mov_b64_e32 v[2:3], 0
	s_mov_b32 s8, exec_lo
	scratch_store_b64 off, v[2:3], s32 offset:1228 ; 8-byte Folded Spill
	s_wait_xcnt 0x0
	v_mov_b64_e32 v[2:3], 0
	scratch_store_b64 off, v[2:3], s32 offset:1204 ; 8-byte Folded Spill
	s_wait_loadcnt_dscnt 0x0
	v_and_b32_e32 v1, 0xff, v0
	s_wait_xcnt 0x0
	s_delay_alu instid0(VALU_DEP_1)
	v_cmpx_ne_u16_e32 0, v1
	s_cbranch_execz .LBB230_1010
; %bb.1003:                             ;   in Loop: Header=BB230_10 Depth=1
	v_mov_b64_e32 v[2:3], 0x80000000
	s_mov_b32 s9, exec_lo
	scratch_store_b64 off, v[2:3], s32 offset:1204 ; 8-byte Folded Spill
	s_wait_xcnt 0x0
	v_cmpx_ne_u16_e32 0x80, v1
	s_cbranch_execz .LBB230_1009
; %bb.1004:                             ;   in Loop: Header=BB230_10 Depth=1
	v_mov_b64_e32 v[4:5], 0x7f800001
	v_and_b32_e32 v2, 0x7f, v0
	s_mov_b32 s11, exec_lo
	scratch_store_b64 off, v[4:5], s32 offset:1204 ; 8-byte Folded Spill
	s_wait_xcnt 0x0
	v_cmpx_ne_u32_e32 0x7f, v2
	s_cbranch_execz .LBB230_1008
; %bb.1005:                             ;   in Loop: Header=BB230_10 Depth=1
	scratch_load_b64 v[4:5], off, s32 offset:192 th:TH_LOAD_LU ; 8-byte Folded Reload
	s_wait_loadcnt 0x0
	v_dual_lshrrev_b32 v1, 3, v2 :: v_dual_bitop2_b32 v4, 7, v0 bitop3:0x40
	s_mov_b32 s16, exec_lo
	s_wait_xcnt 0x0
	v_cmpx_gt_u32_e32 8, v2
; %bb.1006:                             ;   in Loop: Header=BB230_10 Depth=1
	s_delay_alu instid0(VALU_DEP_2) | instskip(NEXT) | instid1(VALU_DEP_1)
	v_clz_i32_u32_e32 v1, v4
	v_min_u32_e32 v1, 32, v1
	s_delay_alu instid0(VALU_DEP_1) | instskip(NEXT) | instid1(VALU_DEP_1)
	v_subrev_nc_u32_e32 v2, 28, v1
	v_lshlrev_b64_e32 v[2:3], v2, v[4:5]
	s_delay_alu instid0(VALU_DEP_1)
	v_dual_sub_nc_u32 v1, 29, v1 :: v_dual_bitop2_b32 v4, 7, v2 bitop3:0x40
; %bb.1007:                             ;   in Loop: Header=BB230_10 Depth=1
	s_or_b32 exec_lo, exec_lo, s16
	v_lshlrev_b32_e32 v2, 24, v0
	s_delay_alu instid0(VALU_DEP_2) | instskip(NEXT) | instid1(VALU_DEP_3)
	v_lshlrev_b32_e32 v3, 20, v4
	v_lshl_add_u32 v1, v1, 23, 0x3c000000
	s_delay_alu instid0(VALU_DEP_3) | instskip(NEXT) | instid1(VALU_DEP_1)
	v_and_b32_e32 v2, 0x80000000, v2
	v_or3_b32 v4, v3, v2, v1
	v_mov_b32_e32 v1, v5
	s_clause 0x1
	scratch_store_b64 off, v[0:1], s32 offset:192
	scratch_store_b64 off, v[4:5], s32 offset:1204
.LBB230_1008:                           ;   in Loop: Header=BB230_10 Depth=1
	s_wait_xcnt 0x0
	s_or_b32 exec_lo, exec_lo, s11
.LBB230_1009:                           ;   in Loop: Header=BB230_10 Depth=1
	s_delay_alu instid0(SALU_CYCLE_1)
	s_or_b32 exec_lo, exec_lo, s9
.LBB230_1010:                           ;   in Loop: Header=BB230_10 Depth=1
	s_delay_alu instid0(SALU_CYCLE_1) | instskip(SKIP_2) | instid1(VALU_DEP_1)
	s_or_b32 exec_lo, exec_lo, s8
	v_lshrrev_b16 v1, 8, v0
	s_mov_b32 s8, exec_lo
	v_cmpx_ne_u16_e32 0, v1
	s_cbranch_execz .LBB230_1018
; %bb.1011:                             ;   in Loop: Header=BB230_10 Depth=1
	v_mov_b64_e32 v[2:3], 0x8000000000000000
	s_mov_b32 s9, exec_lo
	scratch_store_b64 off, v[2:3], s32 offset:1228 ; 8-byte Folded Spill
	s_wait_xcnt 0x0
	v_cmpx_ne_u16_e32 0x80, v1
	s_cbranch_execz .LBB230_1017
; %bb.1012:                             ;   in Loop: Header=BB230_10 Depth=1
	v_and_b32_e32 v1, 0xffff, v1
	v_mov_b64_e32 v[4:5], 0x7f80000100000000
	s_mov_b32 s11, exec_lo
	s_delay_alu instid0(VALU_DEP_2)
	v_and_b32_e32 v2, 0x7f, v1
	scratch_store_b64 off, v[4:5], s32 offset:1228 ; 8-byte Folded Spill
	s_wait_xcnt 0x0
	v_cmpx_ne_u32_e32 0x7f, v2
	s_cbranch_execz .LBB230_1016
; %bb.1013:                             ;   in Loop: Header=BB230_10 Depth=1
	scratch_load_b64 v[4:5], off, s32 offset:192 th:TH_LOAD_LU ; 8-byte Folded Reload
	s_wait_loadcnt 0x0
	v_dual_lshrrev_b32 v1, 3, v2 :: v_dual_bitop2_b32 v4, 7, v1 bitop3:0x40
	s_mov_b32 s16, exec_lo
	s_wait_xcnt 0x0
	v_cmpx_gt_u32_e32 8, v2
; %bb.1014:                             ;   in Loop: Header=BB230_10 Depth=1
	s_delay_alu instid0(VALU_DEP_2) | instskip(NEXT) | instid1(VALU_DEP_1)
	v_clz_i32_u32_e32 v1, v4
	v_min_u32_e32 v1, 32, v1
	s_delay_alu instid0(VALU_DEP_1) | instskip(NEXT) | instid1(VALU_DEP_1)
	v_subrev_nc_u32_e32 v2, 28, v1
	v_lshlrev_b64_e32 v[2:3], v2, v[4:5]
	s_delay_alu instid0(VALU_DEP_1)
	v_dual_sub_nc_u32 v1, 29, v1 :: v_dual_bitop2_b32 v4, 7, v2 bitop3:0x40
; %bb.1015:                             ;   in Loop: Header=BB230_10 Depth=1
	s_or_b32 exec_lo, exec_lo, s16
	v_lshlrev_b32_e32 v2, 16, v0
	s_delay_alu instid0(VALU_DEP_2) | instskip(NEXT) | instid1(VALU_DEP_3)
	v_lshlrev_b32_e32 v3, 20, v4
	v_lshl_add_u32 v1, v1, 23, 0x3c000000
	s_delay_alu instid0(VALU_DEP_3) | instskip(NEXT) | instid1(VALU_DEP_1)
	v_and_b32_e32 v2, 0x80000000, v2
	v_or3_b32 v3, v3, v2, v1
	v_dual_mov_b32 v1, v5 :: v_dual_mov_b32 v2, v5
	s_clause 0x1
	scratch_store_b64 off, v[0:1], s32 offset:192
	scratch_store_b64 off, v[2:3], s32 offset:1228
.LBB230_1016:                           ;   in Loop: Header=BB230_10 Depth=1
	s_wait_xcnt 0x0
	s_or_b32 exec_lo, exec_lo, s11
.LBB230_1017:                           ;   in Loop: Header=BB230_10 Depth=1
	s_delay_alu instid0(SALU_CYCLE_1)
	s_or_b32 exec_lo, exec_lo, s9
.LBB230_1018:                           ;   in Loop: Header=BB230_10 Depth=1
	s_delay_alu instid0(SALU_CYCLE_1) | instskip(SKIP_3) | instid1(VALU_DEP_1)
	s_or_b32 exec_lo, exec_lo, s8
	v_mov_b64_e32 v[4:5], 0
	v_lshrrev_b32_e32 v1, 16, v0
	s_mov_b32 s8, exec_lo
	v_and_b32_e32 v2, 0xff, v1
	scratch_store_b64 off, v[4:5], s32 offset:1212 ; 8-byte Folded Spill
	s_wait_xcnt 0x0
	v_mov_b64_e32 v[4:5], 0
	scratch_store_b64 off, v[4:5], s32 offset:1220 ; 8-byte Folded Spill
	s_wait_xcnt 0x0
	v_cmpx_ne_u16_e32 0, v2
	s_cbranch_execz .LBB230_1026
; %bb.1019:                             ;   in Loop: Header=BB230_10 Depth=1
	v_cmp_ne_u16_e64 s1, 0x80, v2
	v_mov_b64_e32 v[2:3], 0x80000000
	scratch_store_b64 off, v[2:3], s32 offset:1220 ; 8-byte Folded Spill
	s_wait_xcnt 0x0
	s_and_saveexec_b32 s9, s1
	s_cbranch_execz .LBB230_1025
; %bb.1020:                             ;   in Loop: Header=BB230_10 Depth=1
	v_mov_b64_e32 v[4:5], 0x7f800001
	v_bfe_u32 v3, v0, 16, 7
	s_mov_b32 s11, exec_lo
	scratch_store_b64 off, v[4:5], s32 offset:1220 ; 8-byte Folded Spill
	s_wait_xcnt 0x0
	v_cmpx_ne_u32_e32 0x7f, v3
	s_cbranch_execz .LBB230_1024
; %bb.1021:                             ;   in Loop: Header=BB230_10 Depth=1
	scratch_load_b64 v[6:7], off, s32 offset:192 th:TH_LOAD_LU ; 8-byte Folded Reload
	s_wait_loadcnt 0x0
	v_dual_lshrrev_b32 v2, 3, v3 :: v_dual_bitop2_b32 v6, 7, v1 bitop3:0x40
	s_mov_b32 s16, exec_lo
	s_wait_xcnt 0x0
	v_cmpx_gt_u32_e32 8, v3
; %bb.1022:                             ;   in Loop: Header=BB230_10 Depth=1
	s_delay_alu instid0(VALU_DEP_2) | instskip(NEXT) | instid1(VALU_DEP_1)
	v_clz_i32_u32_e32 v2, v6
	v_min_u32_e32 v2, 32, v2
	s_delay_alu instid0(VALU_DEP_1) | instskip(NEXT) | instid1(VALU_DEP_1)
	v_subrev_nc_u32_e32 v3, 28, v2
	v_lshlrev_b64_e32 v[4:5], v3, v[6:7]
	s_delay_alu instid0(VALU_DEP_1)
	v_dual_sub_nc_u32 v2, 29, v2 :: v_dual_bitop2_b32 v6, 7, v4 bitop3:0x40
; %bb.1023:                             ;   in Loop: Header=BB230_10 Depth=1
	s_or_b32 exec_lo, exec_lo, s16
	s_delay_alu instid0(VALU_DEP_1) | instskip(NEXT) | instid1(VALU_DEP_2)
	v_dual_lshlrev_b32 v1, 24, v1 :: v_dual_lshlrev_b32 v3, 20, v6
	v_lshl_add_u32 v2, v2, 23, 0x3c000000
	s_delay_alu instid0(VALU_DEP_2) | instskip(NEXT) | instid1(VALU_DEP_1)
	v_and_b32_e32 v1, 0x80000000, v1
	v_or3_b32 v6, v3, v1, v2
	v_mov_b32_e32 v1, v7
	s_clause 0x1
	scratch_store_b64 off, v[0:1], s32 offset:192
	scratch_store_b64 off, v[6:7], s32 offset:1220
.LBB230_1024:                           ;   in Loop: Header=BB230_10 Depth=1
	s_wait_xcnt 0x0
	s_or_b32 exec_lo, exec_lo, s11
.LBB230_1025:                           ;   in Loop: Header=BB230_10 Depth=1
	s_delay_alu instid0(SALU_CYCLE_1)
	s_or_b32 exec_lo, exec_lo, s9
.LBB230_1026:                           ;   in Loop: Header=BB230_10 Depth=1
	s_delay_alu instid0(SALU_CYCLE_1) | instskip(NEXT) | instid1(SALU_CYCLE_1)
	s_or_b32 exec_lo, exec_lo, s8
	s_mov_b32 s8, exec_lo
	v_cmpx_lt_u32_e32 0xffffff, v0
	s_cbranch_execz .LBB230_1034
; %bb.1027:                             ;   in Loop: Header=BB230_10 Depth=1
	v_mov_b64_e32 v[2:3], 0x8000000000000000
	v_lshrrev_b32_e32 v1, 24, v0
	s_mov_b32 s9, exec_lo
	scratch_store_b64 off, v[2:3], s32 offset:1212 ; 8-byte Folded Spill
	s_wait_xcnt 0x0
	v_cmpx_ne_u32_e32 0x80, v1
	s_cbranch_execz .LBB230_1033
; %bb.1028:                             ;   in Loop: Header=BB230_10 Depth=1
	v_mov_b64_e32 v[4:5], 0x7f80000100000000
	v_bfe_u32 v2, v0, 24, 7
	s_mov_b32 s11, exec_lo
	scratch_store_b64 off, v[4:5], s32 offset:1212 ; 8-byte Folded Spill
	s_wait_xcnt 0x0
	v_cmpx_ne_u32_e32 0x7f, v2
	s_cbranch_execz .LBB230_1032
; %bb.1029:                             ;   in Loop: Header=BB230_10 Depth=1
	scratch_load_b64 v[4:5], off, s32 offset:192 th:TH_LOAD_LU ; 8-byte Folded Reload
	s_wait_loadcnt 0x0
	v_dual_lshrrev_b32 v0, 3, v2 :: v_dual_bitop2_b32 v4, 7, v1 bitop3:0x40
	s_mov_b32 s16, exec_lo
	s_wait_xcnt 0x0
	v_cmpx_gt_u32_e32 8, v2
; %bb.1030:                             ;   in Loop: Header=BB230_10 Depth=1
	s_delay_alu instid0(VALU_DEP_2) | instskip(NEXT) | instid1(VALU_DEP_1)
	v_clz_i32_u32_e32 v0, v4
	v_min_u32_e32 v0, 32, v0
	s_delay_alu instid0(VALU_DEP_1) | instskip(NEXT) | instid1(VALU_DEP_1)
	v_subrev_nc_u32_e32 v2, 28, v0
	v_lshlrev_b64_e32 v[2:3], v2, v[4:5]
	s_delay_alu instid0(VALU_DEP_1)
	v_dual_sub_nc_u32 v0, 29, v0 :: v_dual_bitop2_b32 v4, 7, v2 bitop3:0x40
; %bb.1031:                             ;   in Loop: Header=BB230_10 Depth=1
	s_or_b32 exec_lo, exec_lo, s16
	s_delay_alu instid0(VALU_DEP_1) | instskip(NEXT) | instid1(VALU_DEP_2)
	v_dual_lshlrev_b32 v1, 24, v1 :: v_dual_lshlrev_b32 v2, 20, v4
	v_lshl_add_u32 v0, v0, 23, 0x3c000000
	s_delay_alu instid0(VALU_DEP_2) | instskip(NEXT) | instid1(VALU_DEP_1)
	v_and_b32_e32 v1, 0x80000000, v1
	v_or3_b32 v3, v2, v1, v0
	v_dual_mov_b32 v1, v5 :: v_dual_mov_b32 v2, v5
	s_clause 0x1
	scratch_store_b64 off, v[0:1], s32 offset:192
	scratch_store_b64 off, v[2:3], s32 offset:1212
.LBB230_1032:                           ;   in Loop: Header=BB230_10 Depth=1
	s_wait_xcnt 0x0
	s_or_b32 exec_lo, exec_lo, s11
.LBB230_1033:                           ;   in Loop: Header=BB230_10 Depth=1
	s_delay_alu instid0(SALU_CYCLE_1)
	s_or_b32 exec_lo, exec_lo, s9
.LBB230_1034:                           ;   in Loop: Header=BB230_10 Depth=1
	s_delay_alu instid0(SALU_CYCLE_1)
	s_or_b32 exec_lo, exec_lo, s8
	flat_load_b32 v0, v[92:93] offset:4096
	v_mov_b64_e32 v[2:3], 0
	s_mov_b32 s8, exec_lo
	scratch_store_b64 off, v[2:3], s32 offset:1252 ; 8-byte Folded Spill
	s_wait_xcnt 0x0
	v_mov_b64_e32 v[2:3], 0
	scratch_store_b64 off, v[2:3], s32 offset:1236 ; 8-byte Folded Spill
	s_wait_loadcnt_dscnt 0x0
	v_and_b32_e32 v1, 0xff, v0
	s_wait_xcnt 0x0
	s_delay_alu instid0(VALU_DEP_1)
	v_cmpx_ne_u16_e32 0, v1
	s_cbranch_execz .LBB230_1042
; %bb.1035:                             ;   in Loop: Header=BB230_10 Depth=1
	v_mov_b64_e32 v[2:3], 0x80000000
	s_mov_b32 s9, exec_lo
	scratch_store_b64 off, v[2:3], s32 offset:1236 ; 8-byte Folded Spill
	s_wait_xcnt 0x0
	v_cmpx_ne_u16_e32 0x80, v1
	s_cbranch_execz .LBB230_1041
; %bb.1036:                             ;   in Loop: Header=BB230_10 Depth=1
	v_mov_b64_e32 v[4:5], 0x7f800001
	v_and_b32_e32 v2, 0x7f, v0
	s_mov_b32 s11, exec_lo
	scratch_store_b64 off, v[4:5], s32 offset:1236 ; 8-byte Folded Spill
	s_wait_xcnt 0x0
	v_cmpx_ne_u32_e32 0x7f, v2
	s_cbranch_execz .LBB230_1040
; %bb.1037:                             ;   in Loop: Header=BB230_10 Depth=1
	scratch_load_b64 v[4:5], off, s32 offset:192 th:TH_LOAD_LU ; 8-byte Folded Reload
	s_wait_loadcnt 0x0
	v_dual_lshrrev_b32 v1, 3, v2 :: v_dual_bitop2_b32 v4, 7, v0 bitop3:0x40
	s_mov_b32 s16, exec_lo
	s_wait_xcnt 0x0
	v_cmpx_gt_u32_e32 8, v2
; %bb.1038:                             ;   in Loop: Header=BB230_10 Depth=1
	s_delay_alu instid0(VALU_DEP_2) | instskip(NEXT) | instid1(VALU_DEP_1)
	v_clz_i32_u32_e32 v1, v4
	v_min_u32_e32 v1, 32, v1
	s_delay_alu instid0(VALU_DEP_1) | instskip(NEXT) | instid1(VALU_DEP_1)
	v_subrev_nc_u32_e32 v2, 28, v1
	v_lshlrev_b64_e32 v[2:3], v2, v[4:5]
	s_delay_alu instid0(VALU_DEP_1)
	v_dual_sub_nc_u32 v1, 29, v1 :: v_dual_bitop2_b32 v4, 7, v2 bitop3:0x40
; %bb.1039:                             ;   in Loop: Header=BB230_10 Depth=1
	s_or_b32 exec_lo, exec_lo, s16
	v_lshlrev_b32_e32 v2, 24, v0
	s_delay_alu instid0(VALU_DEP_2) | instskip(NEXT) | instid1(VALU_DEP_3)
	v_lshlrev_b32_e32 v3, 20, v4
	v_lshl_add_u32 v1, v1, 23, 0x3c000000
	s_delay_alu instid0(VALU_DEP_3) | instskip(NEXT) | instid1(VALU_DEP_1)
	v_and_b32_e32 v2, 0x80000000, v2
	v_or3_b32 v4, v3, v2, v1
	v_mov_b32_e32 v1, v5
	s_clause 0x1
	scratch_store_b64 off, v[0:1], s32 offset:192
	scratch_store_b64 off, v[4:5], s32 offset:1236
.LBB230_1040:                           ;   in Loop: Header=BB230_10 Depth=1
	s_wait_xcnt 0x0
	s_or_b32 exec_lo, exec_lo, s11
.LBB230_1041:                           ;   in Loop: Header=BB230_10 Depth=1
	s_delay_alu instid0(SALU_CYCLE_1)
	s_or_b32 exec_lo, exec_lo, s9
.LBB230_1042:                           ;   in Loop: Header=BB230_10 Depth=1
	s_delay_alu instid0(SALU_CYCLE_1) | instskip(SKIP_2) | instid1(VALU_DEP_1)
	s_or_b32 exec_lo, exec_lo, s8
	v_lshrrev_b16 v1, 8, v0
	s_mov_b32 s8, exec_lo
	v_cmpx_ne_u16_e32 0, v1
	s_cbranch_execz .LBB230_1050
; %bb.1043:                             ;   in Loop: Header=BB230_10 Depth=1
	v_mov_b64_e32 v[2:3], 0x8000000000000000
	s_mov_b32 s9, exec_lo
	scratch_store_b64 off, v[2:3], s32 offset:1252 ; 8-byte Folded Spill
	s_wait_xcnt 0x0
	v_cmpx_ne_u16_e32 0x80, v1
	s_cbranch_execz .LBB230_1049
; %bb.1044:                             ;   in Loop: Header=BB230_10 Depth=1
	v_and_b32_e32 v1, 0xffff, v1
	v_mov_b64_e32 v[4:5], 0x7f80000100000000
	s_mov_b32 s11, exec_lo
	s_delay_alu instid0(VALU_DEP_2)
	v_and_b32_e32 v2, 0x7f, v1
	scratch_store_b64 off, v[4:5], s32 offset:1252 ; 8-byte Folded Spill
	s_wait_xcnt 0x0
	v_cmpx_ne_u32_e32 0x7f, v2
	s_cbranch_execz .LBB230_1048
; %bb.1045:                             ;   in Loop: Header=BB230_10 Depth=1
	scratch_load_b64 v[4:5], off, s32 offset:192 th:TH_LOAD_LU ; 8-byte Folded Reload
	s_wait_loadcnt 0x0
	v_dual_lshrrev_b32 v1, 3, v2 :: v_dual_bitop2_b32 v4, 7, v1 bitop3:0x40
	s_mov_b32 s16, exec_lo
	s_wait_xcnt 0x0
	v_cmpx_gt_u32_e32 8, v2
; %bb.1046:                             ;   in Loop: Header=BB230_10 Depth=1
	s_delay_alu instid0(VALU_DEP_2) | instskip(NEXT) | instid1(VALU_DEP_1)
	v_clz_i32_u32_e32 v1, v4
	v_min_u32_e32 v1, 32, v1
	s_delay_alu instid0(VALU_DEP_1) | instskip(NEXT) | instid1(VALU_DEP_1)
	v_subrev_nc_u32_e32 v2, 28, v1
	v_lshlrev_b64_e32 v[2:3], v2, v[4:5]
	s_delay_alu instid0(VALU_DEP_1)
	v_dual_sub_nc_u32 v1, 29, v1 :: v_dual_bitop2_b32 v4, 7, v2 bitop3:0x40
; %bb.1047:                             ;   in Loop: Header=BB230_10 Depth=1
	s_or_b32 exec_lo, exec_lo, s16
	v_lshlrev_b32_e32 v2, 16, v0
	s_delay_alu instid0(VALU_DEP_2) | instskip(NEXT) | instid1(VALU_DEP_3)
	v_lshlrev_b32_e32 v3, 20, v4
	v_lshl_add_u32 v1, v1, 23, 0x3c000000
	s_delay_alu instid0(VALU_DEP_3) | instskip(NEXT) | instid1(VALU_DEP_1)
	v_and_b32_e32 v2, 0x80000000, v2
	v_or3_b32 v3, v3, v2, v1
	v_dual_mov_b32 v1, v5 :: v_dual_mov_b32 v2, v5
	s_clause 0x1
	scratch_store_b64 off, v[0:1], s32 offset:192
	scratch_store_b64 off, v[2:3], s32 offset:1252
.LBB230_1048:                           ;   in Loop: Header=BB230_10 Depth=1
	s_wait_xcnt 0x0
	s_or_b32 exec_lo, exec_lo, s11
.LBB230_1049:                           ;   in Loop: Header=BB230_10 Depth=1
	s_delay_alu instid0(SALU_CYCLE_1)
	s_or_b32 exec_lo, exec_lo, s9
.LBB230_1050:                           ;   in Loop: Header=BB230_10 Depth=1
	s_delay_alu instid0(SALU_CYCLE_1) | instskip(SKIP_3) | instid1(VALU_DEP_1)
	s_or_b32 exec_lo, exec_lo, s8
	v_mov_b64_e32 v[4:5], 0
	v_lshrrev_b32_e32 v1, 16, v0
	s_mov_b32 s8, exec_lo
	v_and_b32_e32 v2, 0xff, v1
	scratch_store_b64 off, v[4:5], s32 offset:1268 ; 8-byte Folded Spill
	s_wait_xcnt 0x0
	v_mov_b64_e32 v[4:5], 0
	scratch_store_b64 off, v[4:5], s32 offset:1244 ; 8-byte Folded Spill
	s_wait_xcnt 0x0
	v_cmpx_ne_u16_e32 0, v2
	s_cbranch_execz .LBB230_1058
; %bb.1051:                             ;   in Loop: Header=BB230_10 Depth=1
	v_cmp_ne_u16_e64 s1, 0x80, v2
	v_mov_b64_e32 v[2:3], 0x80000000
	scratch_store_b64 off, v[2:3], s32 offset:1244 ; 8-byte Folded Spill
	s_wait_xcnt 0x0
	s_and_saveexec_b32 s9, s1
	s_cbranch_execz .LBB230_1057
; %bb.1052:                             ;   in Loop: Header=BB230_10 Depth=1
	v_mov_b64_e32 v[4:5], 0x7f800001
	v_bfe_u32 v3, v0, 16, 7
	s_mov_b32 s11, exec_lo
	scratch_store_b64 off, v[4:5], s32 offset:1244 ; 8-byte Folded Spill
	s_wait_xcnt 0x0
	v_cmpx_ne_u32_e32 0x7f, v3
	s_cbranch_execz .LBB230_1056
; %bb.1053:                             ;   in Loop: Header=BB230_10 Depth=1
	scratch_load_b64 v[6:7], off, s32 offset:192 th:TH_LOAD_LU ; 8-byte Folded Reload
	s_wait_loadcnt 0x0
	v_dual_lshrrev_b32 v2, 3, v3 :: v_dual_bitop2_b32 v6, 7, v1 bitop3:0x40
	s_mov_b32 s16, exec_lo
	s_wait_xcnt 0x0
	v_cmpx_gt_u32_e32 8, v3
; %bb.1054:                             ;   in Loop: Header=BB230_10 Depth=1
	s_delay_alu instid0(VALU_DEP_2) | instskip(NEXT) | instid1(VALU_DEP_1)
	v_clz_i32_u32_e32 v2, v6
	v_min_u32_e32 v2, 32, v2
	s_delay_alu instid0(VALU_DEP_1) | instskip(NEXT) | instid1(VALU_DEP_1)
	v_subrev_nc_u32_e32 v3, 28, v2
	v_lshlrev_b64_e32 v[4:5], v3, v[6:7]
	s_delay_alu instid0(VALU_DEP_1)
	v_dual_sub_nc_u32 v2, 29, v2 :: v_dual_bitop2_b32 v6, 7, v4 bitop3:0x40
; %bb.1055:                             ;   in Loop: Header=BB230_10 Depth=1
	s_or_b32 exec_lo, exec_lo, s16
	s_delay_alu instid0(VALU_DEP_1) | instskip(NEXT) | instid1(VALU_DEP_2)
	v_dual_lshlrev_b32 v1, 24, v1 :: v_dual_lshlrev_b32 v3, 20, v6
	v_lshl_add_u32 v2, v2, 23, 0x3c000000
	s_delay_alu instid0(VALU_DEP_2) | instskip(NEXT) | instid1(VALU_DEP_1)
	v_and_b32_e32 v1, 0x80000000, v1
	v_or3_b32 v6, v3, v1, v2
	v_mov_b32_e32 v1, v7
	s_clause 0x1
	scratch_store_b64 off, v[0:1], s32 offset:192
	scratch_store_b64 off, v[6:7], s32 offset:1244
.LBB230_1056:                           ;   in Loop: Header=BB230_10 Depth=1
	s_wait_xcnt 0x0
	s_or_b32 exec_lo, exec_lo, s11
.LBB230_1057:                           ;   in Loop: Header=BB230_10 Depth=1
	s_delay_alu instid0(SALU_CYCLE_1)
	s_or_b32 exec_lo, exec_lo, s9
.LBB230_1058:                           ;   in Loop: Header=BB230_10 Depth=1
	s_delay_alu instid0(SALU_CYCLE_1) | instskip(NEXT) | instid1(SALU_CYCLE_1)
	s_or_b32 exec_lo, exec_lo, s8
	s_mov_b32 s8, exec_lo
	v_cmpx_lt_u32_e32 0xffffff, v0
	s_cbranch_execz .LBB230_1066
; %bb.1059:                             ;   in Loop: Header=BB230_10 Depth=1
	v_mov_b64_e32 v[2:3], 0x8000000000000000
	v_lshrrev_b32_e32 v1, 24, v0
	s_mov_b32 s9, exec_lo
	scratch_store_b64 off, v[2:3], s32 offset:1268 ; 8-byte Folded Spill
	s_wait_xcnt 0x0
	v_cmpx_ne_u32_e32 0x80, v1
	s_cbranch_execz .LBB230_1065
; %bb.1060:                             ;   in Loop: Header=BB230_10 Depth=1
	v_mov_b64_e32 v[4:5], 0x7f80000100000000
	v_bfe_u32 v2, v0, 24, 7
	s_mov_b32 s11, exec_lo
	scratch_store_b64 off, v[4:5], s32 offset:1268 ; 8-byte Folded Spill
	s_wait_xcnt 0x0
	v_cmpx_ne_u32_e32 0x7f, v2
	s_cbranch_execz .LBB230_1064
; %bb.1061:                             ;   in Loop: Header=BB230_10 Depth=1
	scratch_load_b64 v[4:5], off, s32 offset:192 th:TH_LOAD_LU ; 8-byte Folded Reload
	s_wait_loadcnt 0x0
	v_dual_lshrrev_b32 v0, 3, v2 :: v_dual_bitop2_b32 v4, 7, v1 bitop3:0x40
	s_mov_b32 s16, exec_lo
	s_wait_xcnt 0x0
	v_cmpx_gt_u32_e32 8, v2
; %bb.1062:                             ;   in Loop: Header=BB230_10 Depth=1
	s_delay_alu instid0(VALU_DEP_2) | instskip(NEXT) | instid1(VALU_DEP_1)
	v_clz_i32_u32_e32 v0, v4
	v_min_u32_e32 v0, 32, v0
	s_delay_alu instid0(VALU_DEP_1) | instskip(NEXT) | instid1(VALU_DEP_1)
	v_subrev_nc_u32_e32 v2, 28, v0
	v_lshlrev_b64_e32 v[2:3], v2, v[4:5]
	s_delay_alu instid0(VALU_DEP_1)
	v_dual_sub_nc_u32 v0, 29, v0 :: v_dual_bitop2_b32 v4, 7, v2 bitop3:0x40
; %bb.1063:                             ;   in Loop: Header=BB230_10 Depth=1
	s_or_b32 exec_lo, exec_lo, s16
	s_delay_alu instid0(VALU_DEP_1) | instskip(NEXT) | instid1(VALU_DEP_2)
	v_dual_lshlrev_b32 v1, 24, v1 :: v_dual_lshlrev_b32 v2, 20, v4
	v_lshl_add_u32 v0, v0, 23, 0x3c000000
	s_delay_alu instid0(VALU_DEP_2) | instskip(NEXT) | instid1(VALU_DEP_1)
	v_and_b32_e32 v1, 0x80000000, v1
	v_or3_b32 v3, v2, v1, v0
	v_dual_mov_b32 v1, v5 :: v_dual_mov_b32 v2, v5
	s_clause 0x1
	scratch_store_b64 off, v[0:1], s32 offset:192
	scratch_store_b64 off, v[2:3], s32 offset:1268
.LBB230_1064:                           ;   in Loop: Header=BB230_10 Depth=1
	s_wait_xcnt 0x0
	s_or_b32 exec_lo, exec_lo, s11
.LBB230_1065:                           ;   in Loop: Header=BB230_10 Depth=1
	s_delay_alu instid0(SALU_CYCLE_1)
	s_or_b32 exec_lo, exec_lo, s9
.LBB230_1066:                           ;   in Loop: Header=BB230_10 Depth=1
	s_delay_alu instid0(SALU_CYCLE_1)
	s_or_b32 exec_lo, exec_lo, s8
	flat_load_b32 v0, v[92:93] offset:4100
	v_mov_b64_e32 v[36:37], 0
	v_mov_b64_e32 v[2:3], 0
	s_mov_b32 s8, exec_lo
	scratch_store_b64 off, v[2:3], s32 offset:1260 ; 8-byte Folded Spill
	s_wait_loadcnt_dscnt 0x0
	v_and_b32_e32 v1, 0xff, v0
	s_wait_xcnt 0x0
	s_delay_alu instid0(VALU_DEP_1)
	v_cmpx_ne_u16_e32 0, v1
	s_cbranch_execz .LBB230_1074
; %bb.1067:                             ;   in Loop: Header=BB230_10 Depth=1
	v_mov_b64_e32 v[2:3], 0x80000000
	s_mov_b32 s9, exec_lo
	scratch_store_b64 off, v[2:3], s32 offset:1260 ; 8-byte Folded Spill
	s_wait_xcnt 0x0
	v_cmpx_ne_u16_e32 0x80, v1
	s_cbranch_execz .LBB230_1073
; %bb.1068:                             ;   in Loop: Header=BB230_10 Depth=1
	v_mov_b64_e32 v[4:5], 0x7f800001
	v_and_b32_e32 v2, 0x7f, v0
	s_mov_b32 s11, exec_lo
	scratch_store_b64 off, v[4:5], s32 offset:1260 ; 8-byte Folded Spill
	s_wait_xcnt 0x0
	v_cmpx_ne_u32_e32 0x7f, v2
	s_cbranch_execz .LBB230_1072
; %bb.1069:                             ;   in Loop: Header=BB230_10 Depth=1
	scratch_load_b64 v[76:77], off, s32 offset:192 th:TH_LOAD_LU ; 8-byte Folded Reload
	s_wait_loadcnt 0x0
	v_dual_lshrrev_b32 v1, 3, v2 :: v_dual_bitop2_b32 v76, 7, v0 bitop3:0x40
	s_mov_b32 s16, exec_lo
	s_wait_xcnt 0x0
	v_cmpx_gt_u32_e32 8, v2
; %bb.1070:                             ;   in Loop: Header=BB230_10 Depth=1
	s_delay_alu instid0(VALU_DEP_2) | instskip(NEXT) | instid1(VALU_DEP_1)
	v_clz_i32_u32_e32 v1, v76
	v_min_u32_e32 v1, 32, v1
	s_delay_alu instid0(VALU_DEP_1) | instskip(NEXT) | instid1(VALU_DEP_1)
	v_subrev_nc_u32_e32 v2, 28, v1
	v_lshlrev_b64_e32 v[2:3], v2, v[76:77]
	s_delay_alu instid0(VALU_DEP_1)
	v_dual_sub_nc_u32 v1, 29, v1 :: v_dual_bitop2_b32 v76, 7, v2 bitop3:0x40
; %bb.1071:                             ;   in Loop: Header=BB230_10 Depth=1
	s_or_b32 exec_lo, exec_lo, s16
	v_lshlrev_b32_e32 v2, 24, v0
	s_delay_alu instid0(VALU_DEP_2) | instskip(NEXT) | instid1(VALU_DEP_3)
	v_lshlrev_b32_e32 v3, 20, v76
	v_lshl_add_u32 v1, v1, 23, 0x3c000000
	s_delay_alu instid0(VALU_DEP_3) | instskip(NEXT) | instid1(VALU_DEP_1)
	v_and_b32_e32 v2, 0x80000000, v2
	v_or3_b32 v76, v3, v2, v1
	v_mov_b32_e32 v1, v77
	s_clause 0x1
	scratch_store_b64 off, v[0:1], s32 offset:192
	scratch_store_b64 off, v[76:77], s32 offset:1260
.LBB230_1072:                           ;   in Loop: Header=BB230_10 Depth=1
	s_wait_xcnt 0x0
	s_or_b32 exec_lo, exec_lo, s11
.LBB230_1073:                           ;   in Loop: Header=BB230_10 Depth=1
	s_delay_alu instid0(SALU_CYCLE_1)
	s_or_b32 exec_lo, exec_lo, s9
.LBB230_1074:                           ;   in Loop: Header=BB230_10 Depth=1
	s_delay_alu instid0(SALU_CYCLE_1) | instskip(SKIP_2) | instid1(VALU_DEP_1)
	s_or_b32 exec_lo, exec_lo, s8
	v_lshrrev_b16 v1, 8, v0
	s_mov_b32 s8, exec_lo
	v_cmpx_ne_u16_e32 0, v1
	s_cbranch_execz .LBB230_1082
; %bb.1075:                             ;   in Loop: Header=BB230_10 Depth=1
	v_mov_b64_e32 v[36:37], 0x8000000000000000
	s_mov_b32 s9, exec_lo
	v_cmpx_ne_u16_e32 0x80, v1
	s_cbranch_execz .LBB230_1081
; %bb.1076:                             ;   in Loop: Header=BB230_10 Depth=1
	v_and_b32_e32 v1, 0xffff, v1
	v_mov_b64_e32 v[36:37], 0x7f80000100000000
	s_mov_b32 s11, exec_lo
	s_delay_alu instid0(VALU_DEP_2) | instskip(NEXT) | instid1(VALU_DEP_1)
	v_and_b32_e32 v2, 0x7f, v1
	v_cmpx_ne_u32_e32 0x7f, v2
	s_cbranch_execz .LBB230_1080
; %bb.1077:                             ;   in Loop: Header=BB230_10 Depth=1
	scratch_load_b64 v[4:5], off, s32 offset:192 th:TH_LOAD_LU ; 8-byte Folded Reload
	s_wait_loadcnt 0x0
	v_dual_lshrrev_b32 v1, 3, v2 :: v_dual_bitop2_b32 v4, 7, v1 bitop3:0x40
	s_mov_b32 s16, exec_lo
	s_wait_xcnt 0x0
	v_cmpx_gt_u32_e32 8, v2
; %bb.1078:                             ;   in Loop: Header=BB230_10 Depth=1
	s_delay_alu instid0(VALU_DEP_2) | instskip(NEXT) | instid1(VALU_DEP_1)
	v_clz_i32_u32_e32 v1, v4
	v_min_u32_e32 v1, 32, v1
	s_delay_alu instid0(VALU_DEP_1) | instskip(NEXT) | instid1(VALU_DEP_1)
	v_subrev_nc_u32_e32 v2, 28, v1
	v_lshlrev_b64_e32 v[2:3], v2, v[4:5]
	s_delay_alu instid0(VALU_DEP_1)
	v_dual_sub_nc_u32 v1, 29, v1 :: v_dual_bitop2_b32 v4, 7, v2 bitop3:0x40
; %bb.1079:                             ;   in Loop: Header=BB230_10 Depth=1
	s_or_b32 exec_lo, exec_lo, s16
	v_lshlrev_b32_e32 v2, 16, v0
	s_delay_alu instid0(VALU_DEP_2) | instskip(NEXT) | instid1(VALU_DEP_3)
	v_dual_mov_b32 v36, v5 :: v_dual_lshlrev_b32 v3, 20, v4
	v_lshl_add_u32 v1, v1, 23, 0x3c000000
	s_delay_alu instid0(VALU_DEP_3) | instskip(NEXT) | instid1(VALU_DEP_1)
	v_and_b32_e32 v2, 0x80000000, v2
	v_or3_b32 v37, v3, v2, v1
	v_mov_b32_e32 v1, v5
	scratch_store_b64 off, v[0:1], s32 offset:192 ; 8-byte Folded Spill
.LBB230_1080:                           ;   in Loop: Header=BB230_10 Depth=1
	s_wait_xcnt 0x0
	s_or_b32 exec_lo, exec_lo, s11
.LBB230_1081:                           ;   in Loop: Header=BB230_10 Depth=1
	s_delay_alu instid0(SALU_CYCLE_1)
	s_or_b32 exec_lo, exec_lo, s9
.LBB230_1082:                           ;   in Loop: Header=BB230_10 Depth=1
	s_delay_alu instid0(SALU_CYCLE_1) | instskip(SKIP_4) | instid1(VALU_DEP_3)
	s_or_b32 exec_lo, exec_lo, s8
	v_lshrrev_b32_e32 v1, 16, v0
	v_mov_b64_e32 v[16:17], 0
	v_mov_b64_e32 v[88:89], 0
	s_mov_b32 s8, exec_lo
	v_and_b32_e32 v2, 0xff, v1
	s_delay_alu instid0(VALU_DEP_1)
	v_cmpx_ne_u16_e32 0, v2
	s_cbranch_execz .LBB230_1090
; %bb.1083:                             ;   in Loop: Header=BB230_10 Depth=1
	v_mov_b64_e32 v[88:89], 0x80000000
	s_mov_b32 s9, exec_lo
	v_cmpx_ne_u16_e32 0x80, v2
	s_cbranch_execz .LBB230_1089
; %bb.1084:                             ;   in Loop: Header=BB230_10 Depth=1
	v_mov_b64_e32 v[88:89], 0x7f800001
	v_bfe_u32 v3, v0, 16, 7
	s_mov_b32 s11, exec_lo
	s_delay_alu instid0(VALU_DEP_1)
	v_cmpx_ne_u32_e32 0x7f, v3
	s_cbranch_execz .LBB230_1088
; %bb.1085:                             ;   in Loop: Header=BB230_10 Depth=1
	scratch_load_b64 v[88:89], off, s32 offset:192 th:TH_LOAD_LU ; 8-byte Folded Reload
	s_wait_loadcnt 0x0
	v_dual_lshrrev_b32 v2, 3, v3 :: v_dual_bitop2_b32 v88, 7, v1 bitop3:0x40
	s_mov_b32 s16, exec_lo
	s_wait_xcnt 0x0
	v_cmpx_gt_u32_e32 8, v3
; %bb.1086:                             ;   in Loop: Header=BB230_10 Depth=1
	s_delay_alu instid0(VALU_DEP_2) | instskip(NEXT) | instid1(VALU_DEP_1)
	v_clz_i32_u32_e32 v2, v88
	v_min_u32_e32 v2, 32, v2
	s_delay_alu instid0(VALU_DEP_1) | instskip(NEXT) | instid1(VALU_DEP_1)
	v_subrev_nc_u32_e32 v3, 28, v2
	v_lshlrev_b64_e32 v[4:5], v3, v[88:89]
	s_delay_alu instid0(VALU_DEP_1)
	v_dual_sub_nc_u32 v2, 29, v2 :: v_dual_bitop2_b32 v88, 7, v4 bitop3:0x40
; %bb.1087:                             ;   in Loop: Header=BB230_10 Depth=1
	s_or_b32 exec_lo, exec_lo, s16
	s_delay_alu instid0(VALU_DEP_1) | instskip(NEXT) | instid1(VALU_DEP_2)
	v_dual_lshlrev_b32 v1, 24, v1 :: v_dual_lshlrev_b32 v3, 20, v88
	v_lshl_add_u32 v2, v2, 23, 0x3c000000
	s_delay_alu instid0(VALU_DEP_2) | instskip(NEXT) | instid1(VALU_DEP_1)
	v_and_b32_e32 v1, 0x80000000, v1
	v_or3_b32 v88, v3, v1, v2
	v_mov_b32_e32 v1, v89
	scratch_store_b64 off, v[0:1], s32 offset:192 ; 8-byte Folded Spill
.LBB230_1088:                           ;   in Loop: Header=BB230_10 Depth=1
	s_wait_xcnt 0x0
	s_or_b32 exec_lo, exec_lo, s11
.LBB230_1089:                           ;   in Loop: Header=BB230_10 Depth=1
	s_delay_alu instid0(SALU_CYCLE_1)
	s_or_b32 exec_lo, exec_lo, s9
.LBB230_1090:                           ;   in Loop: Header=BB230_10 Depth=1
	s_delay_alu instid0(SALU_CYCLE_1) | instskip(NEXT) | instid1(SALU_CYCLE_1)
	s_or_b32 exec_lo, exec_lo, s8
	s_mov_b32 s8, exec_lo
	v_cmpx_lt_u32_e32 0xffffff, v0
	s_cbranch_execz .LBB230_1098
; %bb.1091:                             ;   in Loop: Header=BB230_10 Depth=1
	v_mov_b64_e32 v[16:17], 0x8000000000000000
	v_lshrrev_b32_e32 v1, 24, v0
	s_mov_b32 s9, exec_lo
	s_delay_alu instid0(VALU_DEP_1)
	v_cmpx_ne_u32_e32 0x80, v1
	s_cbranch_execz .LBB230_1097
; %bb.1092:                             ;   in Loop: Header=BB230_10 Depth=1
	v_mov_b64_e32 v[16:17], 0x7f80000100000000
	v_bfe_u32 v2, v0, 24, 7
	s_mov_b32 s11, exec_lo
	s_delay_alu instid0(VALU_DEP_1)
	v_cmpx_ne_u32_e32 0x7f, v2
	s_cbranch_execz .LBB230_1096
; %bb.1093:                             ;   in Loop: Header=BB230_10 Depth=1
	scratch_load_b64 v[4:5], off, s32 offset:192 th:TH_LOAD_LU ; 8-byte Folded Reload
	s_wait_loadcnt 0x0
	v_dual_lshrrev_b32 v0, 3, v2 :: v_dual_bitop2_b32 v4, 7, v1 bitop3:0x40
	s_mov_b32 s16, exec_lo
	s_wait_xcnt 0x0
	v_cmpx_gt_u32_e32 8, v2
; %bb.1094:                             ;   in Loop: Header=BB230_10 Depth=1
	s_delay_alu instid0(VALU_DEP_2) | instskip(NEXT) | instid1(VALU_DEP_1)
	v_clz_i32_u32_e32 v0, v4
	v_min_u32_e32 v0, 32, v0
	s_delay_alu instid0(VALU_DEP_1) | instskip(NEXT) | instid1(VALU_DEP_1)
	v_subrev_nc_u32_e32 v2, 28, v0
	v_lshlrev_b64_e32 v[2:3], v2, v[4:5]
	s_delay_alu instid0(VALU_DEP_1)
	v_dual_sub_nc_u32 v0, 29, v0 :: v_dual_bitop2_b32 v4, 7, v2 bitop3:0x40
; %bb.1095:                             ;   in Loop: Header=BB230_10 Depth=1
	s_or_b32 exec_lo, exec_lo, s16
	s_delay_alu instid0(VALU_DEP_1) | instskip(NEXT) | instid1(VALU_DEP_2)
	v_dual_lshlrev_b32 v1, 24, v1 :: v_dual_lshlrev_b32 v2, 20, v4
	v_lshl_add_u32 v0, v0, 23, 0x3c000000
	v_mov_b32_e32 v16, v5
	s_delay_alu instid0(VALU_DEP_3) | instskip(NEXT) | instid1(VALU_DEP_1)
	v_and_b32_e32 v1, 0x80000000, v1
	v_or3_b32 v17, v2, v1, v0
	v_mov_b32_e32 v1, v5
	scratch_store_b64 off, v[0:1], s32 offset:192 ; 8-byte Folded Spill
.LBB230_1096:                           ;   in Loop: Header=BB230_10 Depth=1
	s_wait_xcnt 0x0
	s_or_b32 exec_lo, exec_lo, s11
.LBB230_1097:                           ;   in Loop: Header=BB230_10 Depth=1
	s_delay_alu instid0(SALU_CYCLE_1)
	s_or_b32 exec_lo, exec_lo, s9
.LBB230_1098:                           ;   in Loop: Header=BB230_10 Depth=1
	s_delay_alu instid0(SALU_CYCLE_1)
	s_or_b32 exec_lo, exec_lo, s8
	flat_load_b32 v2, v[92:93] offset:4104
	v_mov_b64_e32 v[94:95], 0
	v_mov_b64_e32 v[0:1], 0
	s_mov_b32 s8, exec_lo
	s_wait_loadcnt_dscnt 0x0
	v_and_b32_e32 v3, 0xff, v2
	s_wait_xcnt 0x0
	s_delay_alu instid0(VALU_DEP_1)
	v_cmpx_ne_u16_e32 0, v3
	s_cbranch_execz .LBB230_1106
; %bb.1099:                             ;   in Loop: Header=BB230_10 Depth=1
	v_mov_b64_e32 v[0:1], 0x80000000
	s_mov_b32 s9, exec_lo
	v_cmpx_ne_u16_e32 0x80, v3
	s_cbranch_execz .LBB230_1105
; %bb.1100:                             ;   in Loop: Header=BB230_10 Depth=1
	v_mov_b64_e32 v[0:1], 0x7f800001
	v_and_b32_e32 v3, 0x7f, v2
	s_mov_b32 s11, exec_lo
	s_delay_alu instid0(VALU_DEP_1)
	v_cmpx_ne_u32_e32 0x7f, v3
	s_cbranch_execz .LBB230_1104
; %bb.1101:                             ;   in Loop: Header=BB230_10 Depth=1
	scratch_load_b64 v[6:7], off, s32 offset:192 th:TH_LOAD_LU ; 8-byte Folded Reload
	s_wait_loadcnt 0x0
	v_dual_lshrrev_b32 v0, 3, v3 :: v_dual_bitop2_b32 v6, 7, v2 bitop3:0x40
	s_mov_b32 s16, exec_lo
	s_wait_xcnt 0x0
	v_cmpx_gt_u32_e32 8, v3
; %bb.1102:                             ;   in Loop: Header=BB230_10 Depth=1
	s_delay_alu instid0(VALU_DEP_2) | instskip(NEXT) | instid1(VALU_DEP_1)
	v_clz_i32_u32_e32 v0, v6
	v_min_u32_e32 v0, 32, v0
	s_delay_alu instid0(VALU_DEP_1) | instskip(SKIP_1) | instid1(VALU_DEP_2)
	v_subrev_nc_u32_e32 v1, 28, v0
	v_sub_nc_u32_e32 v0, 29, v0
	v_lshlrev_b64_e32 v[4:5], v1, v[6:7]
	s_delay_alu instid0(VALU_DEP_1)
	v_and_b32_e32 v6, 7, v4
; %bb.1103:                             ;   in Loop: Header=BB230_10 Depth=1
	s_or_b32 exec_lo, exec_lo, s16
	v_lshlrev_b32_e32 v1, 24, v2
	s_delay_alu instid0(VALU_DEP_2) | instskip(SKIP_1) | instid1(VALU_DEP_3)
	v_lshlrev_b32_e32 v3, 20, v6
	v_lshl_add_u32 v0, v0, 23, 0x3c000000
	v_and_b32_e32 v1, 0x80000000, v1
	s_delay_alu instid0(VALU_DEP_1)
	v_or3_b32 v6, v3, v1, v0
	v_mov_b32_e32 v1, v7
	scratch_store_b64 off, v[0:1], s32 offset:192 ; 8-byte Folded Spill
	s_wait_xcnt 0x0
	v_mov_b64_e32 v[0:1], v[6:7]
.LBB230_1104:                           ;   in Loop: Header=BB230_10 Depth=1
	s_or_b32 exec_lo, exec_lo, s11
.LBB230_1105:                           ;   in Loop: Header=BB230_10 Depth=1
	s_delay_alu instid0(SALU_CYCLE_1)
	s_or_b32 exec_lo, exec_lo, s9
.LBB230_1106:                           ;   in Loop: Header=BB230_10 Depth=1
	s_delay_alu instid0(SALU_CYCLE_1) | instskip(SKIP_2) | instid1(VALU_DEP_1)
	s_or_b32 exec_lo, exec_lo, s8
	v_lshrrev_b16 v3, 8, v2
	s_mov_b32 s8, exec_lo
	v_cmpx_ne_u16_e32 0, v3
	s_cbranch_execz .LBB230_1114
; %bb.1107:                             ;   in Loop: Header=BB230_10 Depth=1
	v_mov_b64_e32 v[94:95], 0x8000000000000000
	s_mov_b32 s9, exec_lo
	v_cmpx_ne_u16_e32 0x80, v3
	s_cbranch_execz .LBB230_1113
; %bb.1108:                             ;   in Loop: Header=BB230_10 Depth=1
	v_and_b32_e32 v3, 0xffff, v3
	v_mov_b64_e32 v[94:95], 0x7f80000100000000
	s_mov_b32 s11, exec_lo
	s_delay_alu instid0(VALU_DEP_2) | instskip(NEXT) | instid1(VALU_DEP_1)
	v_and_b32_e32 v4, 0x7f, v3
	v_cmpx_ne_u32_e32 0x7f, v4
	s_cbranch_execz .LBB230_1112
; %bb.1109:                             ;   in Loop: Header=BB230_10 Depth=1
	scratch_load_b64 v[6:7], off, s32 offset:192 th:TH_LOAD_LU ; 8-byte Folded Reload
	s_wait_loadcnt 0x0
	v_dual_lshrrev_b32 v3, 3, v4 :: v_dual_bitop2_b32 v6, 7, v3 bitop3:0x40
	s_mov_b32 s16, exec_lo
	s_wait_xcnt 0x0
	v_cmpx_gt_u32_e32 8, v4
; %bb.1110:                             ;   in Loop: Header=BB230_10 Depth=1
	s_delay_alu instid0(VALU_DEP_2) | instskip(NEXT) | instid1(VALU_DEP_1)
	v_clz_i32_u32_e32 v3, v6
	v_min_u32_e32 v3, 32, v3
	s_delay_alu instid0(VALU_DEP_1) | instskip(NEXT) | instid1(VALU_DEP_1)
	v_subrev_nc_u32_e32 v4, 28, v3
	v_lshlrev_b64_e32 v[4:5], v4, v[6:7]
	s_delay_alu instid0(VALU_DEP_1)
	v_dual_sub_nc_u32 v3, 29, v3 :: v_dual_bitop2_b32 v6, 7, v4 bitop3:0x40
; %bb.1111:                             ;   in Loop: Header=BB230_10 Depth=1
	s_or_b32 exec_lo, exec_lo, s16
	v_lshlrev_b32_e32 v4, 16, v2
	s_delay_alu instid0(VALU_DEP_2) | instskip(NEXT) | instid1(VALU_DEP_3)
	v_dual_mov_b32 v94, v7 :: v_dual_lshlrev_b32 v5, 20, v6
	v_lshl_add_u32 v3, v3, 23, 0x3c000000
	s_delay_alu instid0(VALU_DEP_3) | instskip(NEXT) | instid1(VALU_DEP_1)
	v_and_b32_e32 v4, 0x80000000, v4
	v_or3_b32 v95, v5, v4, v3
	v_mov_b32_e32 v3, v7
	scratch_store_b64 off, v[2:3], s32 offset:192 ; 8-byte Folded Spill
.LBB230_1112:                           ;   in Loop: Header=BB230_10 Depth=1
	s_wait_xcnt 0x0
	s_or_b32 exec_lo, exec_lo, s11
.LBB230_1113:                           ;   in Loop: Header=BB230_10 Depth=1
	s_delay_alu instid0(SALU_CYCLE_1)
	s_or_b32 exec_lo, exec_lo, s9
.LBB230_1114:                           ;   in Loop: Header=BB230_10 Depth=1
	s_delay_alu instid0(SALU_CYCLE_1) | instskip(SKIP_4) | instid1(VALU_DEP_3)
	s_or_b32 exec_lo, exec_lo, s8
	v_lshrrev_b32_e32 v3, 16, v2
	v_mov_b64_e32 v[106:107], 0
	v_mov_b64_e32 v[76:77], 0
	s_mov_b32 s8, exec_lo
	v_and_b32_e32 v4, 0xff, v3
	s_delay_alu instid0(VALU_DEP_1)
	v_cmpx_ne_u16_e32 0, v4
	s_cbranch_execz .LBB230_1122
; %bb.1115:                             ;   in Loop: Header=BB230_10 Depth=1
	v_mov_b64_e32 v[76:77], 0x80000000
	s_mov_b32 s9, exec_lo
	v_cmpx_ne_u16_e32 0x80, v4
	s_cbranch_execz .LBB230_1121
; %bb.1116:                             ;   in Loop: Header=BB230_10 Depth=1
	v_mov_b64_e32 v[76:77], 0x7f800001
	v_bfe_u32 v5, v2, 16, 7
	s_mov_b32 s11, exec_lo
	s_delay_alu instid0(VALU_DEP_1)
	v_cmpx_ne_u32_e32 0x7f, v5
	s_cbranch_execz .LBB230_1120
; %bb.1117:                             ;   in Loop: Header=BB230_10 Depth=1
	scratch_load_b64 v[76:77], off, s32 offset:192 th:TH_LOAD_LU ; 8-byte Folded Reload
	s_wait_loadcnt 0x0
	v_dual_lshrrev_b32 v4, 3, v5 :: v_dual_bitop2_b32 v76, 7, v3 bitop3:0x40
	s_mov_b32 s16, exec_lo
	s_wait_xcnt 0x0
	v_cmpx_gt_u32_e32 8, v5
; %bb.1118:                             ;   in Loop: Header=BB230_10 Depth=1
	s_delay_alu instid0(VALU_DEP_2) | instskip(NEXT) | instid1(VALU_DEP_1)
	v_clz_i32_u32_e32 v4, v76
	v_min_u32_e32 v4, 32, v4
	s_delay_alu instid0(VALU_DEP_1) | instskip(NEXT) | instid1(VALU_DEP_1)
	v_subrev_nc_u32_e32 v5, 28, v4
	v_lshlrev_b64_e32 v[6:7], v5, v[76:77]
	s_delay_alu instid0(VALU_DEP_1)
	v_dual_sub_nc_u32 v4, 29, v4 :: v_dual_bitop2_b32 v76, 7, v6 bitop3:0x40
; %bb.1119:                             ;   in Loop: Header=BB230_10 Depth=1
	s_or_b32 exec_lo, exec_lo, s16
	s_delay_alu instid0(VALU_DEP_1) | instskip(NEXT) | instid1(VALU_DEP_2)
	v_dual_lshlrev_b32 v3, 24, v3 :: v_dual_lshlrev_b32 v5, 20, v76
	v_lshl_add_u32 v4, v4, 23, 0x3c000000
	s_delay_alu instid0(VALU_DEP_2) | instskip(NEXT) | instid1(VALU_DEP_1)
	v_and_b32_e32 v3, 0x80000000, v3
	v_or3_b32 v76, v5, v3, v4
	v_mov_b32_e32 v3, v77
	scratch_store_b64 off, v[2:3], s32 offset:192 ; 8-byte Folded Spill
.LBB230_1120:                           ;   in Loop: Header=BB230_10 Depth=1
	s_wait_xcnt 0x0
	s_or_b32 exec_lo, exec_lo, s11
.LBB230_1121:                           ;   in Loop: Header=BB230_10 Depth=1
	s_delay_alu instid0(SALU_CYCLE_1)
	s_or_b32 exec_lo, exec_lo, s9
.LBB230_1122:                           ;   in Loop: Header=BB230_10 Depth=1
	s_delay_alu instid0(SALU_CYCLE_1) | instskip(NEXT) | instid1(SALU_CYCLE_1)
	s_or_b32 exec_lo, exec_lo, s8
	s_mov_b32 s8, exec_lo
	v_cmpx_lt_u32_e32 0xffffff, v2
	s_cbranch_execz .LBB230_1130
; %bb.1123:                             ;   in Loop: Header=BB230_10 Depth=1
	v_mov_b64_e32 v[106:107], 0x8000000000000000
	v_lshrrev_b32_e32 v3, 24, v2
	s_mov_b32 s9, exec_lo
	s_delay_alu instid0(VALU_DEP_1)
	v_cmpx_ne_u32_e32 0x80, v3
	s_cbranch_execz .LBB230_1129
; %bb.1124:                             ;   in Loop: Header=BB230_10 Depth=1
	v_mov_b64_e32 v[106:107], 0x7f80000100000000
	v_bfe_u32 v4, v2, 24, 7
	s_mov_b32 s11, exec_lo
	s_delay_alu instid0(VALU_DEP_1)
	v_cmpx_ne_u32_e32 0x7f, v4
	s_cbranch_execz .LBB230_1128
; %bb.1125:                             ;   in Loop: Header=BB230_10 Depth=1
	scratch_load_b64 v[6:7], off, s32 offset:192 th:TH_LOAD_LU ; 8-byte Folded Reload
	s_wait_loadcnt 0x0
	v_dual_lshrrev_b32 v2, 3, v4 :: v_dual_bitop2_b32 v6, 7, v3 bitop3:0x40
	s_mov_b32 s16, exec_lo
	s_wait_xcnt 0x0
	v_cmpx_gt_u32_e32 8, v4
; %bb.1126:                             ;   in Loop: Header=BB230_10 Depth=1
	s_delay_alu instid0(VALU_DEP_2) | instskip(NEXT) | instid1(VALU_DEP_1)
	v_clz_i32_u32_e32 v2, v6
	v_min_u32_e32 v2, 32, v2
	s_delay_alu instid0(VALU_DEP_1) | instskip(NEXT) | instid1(VALU_DEP_1)
	v_subrev_nc_u32_e32 v4, 28, v2
	v_lshlrev_b64_e32 v[4:5], v4, v[6:7]
	s_delay_alu instid0(VALU_DEP_1)
	v_dual_sub_nc_u32 v2, 29, v2 :: v_dual_bitop2_b32 v6, 7, v4 bitop3:0x40
; %bb.1127:                             ;   in Loop: Header=BB230_10 Depth=1
	s_or_b32 exec_lo, exec_lo, s16
	s_delay_alu instid0(VALU_DEP_1) | instskip(NEXT) | instid1(VALU_DEP_2)
	v_dual_lshlrev_b32 v3, 24, v3 :: v_dual_lshlrev_b32 v4, 20, v6
	v_lshl_add_u32 v2, v2, 23, 0x3c000000
	v_mov_b32_e32 v106, v7
	s_delay_alu instid0(VALU_DEP_3) | instskip(NEXT) | instid1(VALU_DEP_1)
	v_and_b32_e32 v3, 0x80000000, v3
	v_or3_b32 v107, v4, v3, v2
	v_mov_b32_e32 v3, v7
	scratch_store_b64 off, v[2:3], s32 offset:192 ; 8-byte Folded Spill
.LBB230_1128:                           ;   in Loop: Header=BB230_10 Depth=1
	s_wait_xcnt 0x0
	s_or_b32 exec_lo, exec_lo, s11
.LBB230_1129:                           ;   in Loop: Header=BB230_10 Depth=1
	s_delay_alu instid0(SALU_CYCLE_1)
	s_or_b32 exec_lo, exec_lo, s9
.LBB230_1130:                           ;   in Loop: Header=BB230_10 Depth=1
	s_delay_alu instid0(SALU_CYCLE_1)
	s_or_b32 exec_lo, exec_lo, s8
	flat_load_b32 v2, v[92:93] offset:4108
	v_mov_b64_e32 v[46:47], 0
	v_mov_b64_e32 v[110:111], 0
	s_mov_b32 s8, exec_lo
	s_wait_loadcnt_dscnt 0x0
	v_and_b32_e32 v3, 0xff, v2
	s_wait_xcnt 0x0
	s_delay_alu instid0(VALU_DEP_1)
	v_cmpx_ne_u16_e32 0, v3
	s_cbranch_execz .LBB230_1138
; %bb.1131:                             ;   in Loop: Header=BB230_10 Depth=1
	v_mov_b64_e32 v[110:111], 0x80000000
	s_mov_b32 s9, exec_lo
	v_cmpx_ne_u16_e32 0x80, v3
	s_cbranch_execz .LBB230_1137
; %bb.1132:                             ;   in Loop: Header=BB230_10 Depth=1
	v_mov_b64_e32 v[110:111], 0x7f800001
	v_and_b32_e32 v4, 0x7f, v2
	s_mov_b32 s11, exec_lo
	s_delay_alu instid0(VALU_DEP_1)
	v_cmpx_ne_u32_e32 0x7f, v4
	s_cbranch_execz .LBB230_1136
; %bb.1133:                             ;   in Loop: Header=BB230_10 Depth=1
	scratch_load_b64 v[110:111], off, s32 offset:192 th:TH_LOAD_LU ; 8-byte Folded Reload
	s_wait_loadcnt 0x0
	v_dual_lshrrev_b32 v3, 3, v4 :: v_dual_bitop2_b32 v110, 7, v2 bitop3:0x40
	s_mov_b32 s16, exec_lo
	s_wait_xcnt 0x0
	v_cmpx_gt_u32_e32 8, v4
; %bb.1134:                             ;   in Loop: Header=BB230_10 Depth=1
	s_delay_alu instid0(VALU_DEP_2) | instskip(NEXT) | instid1(VALU_DEP_1)
	v_clz_i32_u32_e32 v3, v110
	v_min_u32_e32 v3, 32, v3
	s_delay_alu instid0(VALU_DEP_1) | instskip(NEXT) | instid1(VALU_DEP_1)
	v_subrev_nc_u32_e32 v4, 28, v3
	v_lshlrev_b64_e32 v[4:5], v4, v[110:111]
	s_delay_alu instid0(VALU_DEP_1)
	v_dual_sub_nc_u32 v3, 29, v3 :: v_dual_bitop2_b32 v110, 7, v4 bitop3:0x40
; %bb.1135:                             ;   in Loop: Header=BB230_10 Depth=1
	s_or_b32 exec_lo, exec_lo, s16
	v_lshlrev_b32_e32 v4, 24, v2
	s_delay_alu instid0(VALU_DEP_2) | instskip(NEXT) | instid1(VALU_DEP_3)
	v_lshlrev_b32_e32 v5, 20, v110
	v_lshl_add_u32 v3, v3, 23, 0x3c000000
	s_delay_alu instid0(VALU_DEP_3) | instskip(NEXT) | instid1(VALU_DEP_1)
	v_and_b32_e32 v4, 0x80000000, v4
	v_or3_b32 v110, v5, v4, v3
	v_mov_b32_e32 v3, v111
	scratch_store_b64 off, v[2:3], s32 offset:192 ; 8-byte Folded Spill
.LBB230_1136:                           ;   in Loop: Header=BB230_10 Depth=1
	s_wait_xcnt 0x0
	s_or_b32 exec_lo, exec_lo, s11
.LBB230_1137:                           ;   in Loop: Header=BB230_10 Depth=1
	s_delay_alu instid0(SALU_CYCLE_1)
	s_or_b32 exec_lo, exec_lo, s9
.LBB230_1138:                           ;   in Loop: Header=BB230_10 Depth=1
	s_delay_alu instid0(SALU_CYCLE_1) | instskip(SKIP_2) | instid1(VALU_DEP_1)
	s_or_b32 exec_lo, exec_lo, s8
	v_lshrrev_b16 v3, 8, v2
	s_mov_b32 s8, exec_lo
	v_cmpx_ne_u16_e32 0, v3
	s_cbranch_execz .LBB230_1146
; %bb.1139:                             ;   in Loop: Header=BB230_10 Depth=1
	v_mov_b64_e32 v[46:47], 0x8000000000000000
	s_mov_b32 s9, exec_lo
	v_cmpx_ne_u16_e32 0x80, v3
	s_cbranch_execz .LBB230_1145
; %bb.1140:                             ;   in Loop: Header=BB230_10 Depth=1
	v_and_b32_e32 v3, 0xffff, v3
	v_mov_b64_e32 v[46:47], 0x7f80000100000000
	s_mov_b32 s11, exec_lo
	s_delay_alu instid0(VALU_DEP_2) | instskip(NEXT) | instid1(VALU_DEP_1)
	v_and_b32_e32 v4, 0x7f, v3
	v_cmpx_ne_u32_e32 0x7f, v4
	s_cbranch_execz .LBB230_1144
; %bb.1141:                             ;   in Loop: Header=BB230_10 Depth=1
	scratch_load_b64 v[6:7], off, s32 offset:192 th:TH_LOAD_LU ; 8-byte Folded Reload
	s_wait_loadcnt 0x0
	v_dual_lshrrev_b32 v3, 3, v4 :: v_dual_bitop2_b32 v6, 7, v3 bitop3:0x40
	s_mov_b32 s16, exec_lo
	s_wait_xcnt 0x0
	v_cmpx_gt_u32_e32 8, v4
; %bb.1142:                             ;   in Loop: Header=BB230_10 Depth=1
	s_delay_alu instid0(VALU_DEP_2) | instskip(NEXT) | instid1(VALU_DEP_1)
	v_clz_i32_u32_e32 v3, v6
	v_min_u32_e32 v3, 32, v3
	s_delay_alu instid0(VALU_DEP_1) | instskip(NEXT) | instid1(VALU_DEP_1)
	v_subrev_nc_u32_e32 v4, 28, v3
	v_lshlrev_b64_e32 v[4:5], v4, v[6:7]
	s_delay_alu instid0(VALU_DEP_1)
	v_dual_sub_nc_u32 v3, 29, v3 :: v_dual_bitop2_b32 v6, 7, v4 bitop3:0x40
; %bb.1143:                             ;   in Loop: Header=BB230_10 Depth=1
	s_or_b32 exec_lo, exec_lo, s16
	v_lshlrev_b32_e32 v4, 16, v2
	s_delay_alu instid0(VALU_DEP_2) | instskip(NEXT) | instid1(VALU_DEP_3)
	v_dual_mov_b32 v46, v7 :: v_dual_lshlrev_b32 v5, 20, v6
	v_lshl_add_u32 v3, v3, 23, 0x3c000000
	s_delay_alu instid0(VALU_DEP_3) | instskip(NEXT) | instid1(VALU_DEP_1)
	v_and_b32_e32 v4, 0x80000000, v4
	v_or3_b32 v47, v5, v4, v3
	v_mov_b32_e32 v3, v7
	scratch_store_b64 off, v[2:3], s32 offset:192 ; 8-byte Folded Spill
.LBB230_1144:                           ;   in Loop: Header=BB230_10 Depth=1
	s_wait_xcnt 0x0
	s_or_b32 exec_lo, exec_lo, s11
.LBB230_1145:                           ;   in Loop: Header=BB230_10 Depth=1
	s_delay_alu instid0(SALU_CYCLE_1)
	s_or_b32 exec_lo, exec_lo, s9
.LBB230_1146:                           ;   in Loop: Header=BB230_10 Depth=1
	s_delay_alu instid0(SALU_CYCLE_1) | instskip(SKIP_4) | instid1(VALU_DEP_3)
	s_or_b32 exec_lo, exec_lo, s8
	v_lshrrev_b32_e32 v3, 16, v2
	v_mov_b64_e32 v[120:121], 0
	v_mov_b64_e32 v[122:123], 0
	s_mov_b32 s8, exec_lo
	v_and_b32_e32 v4, 0xff, v3
	s_delay_alu instid0(VALU_DEP_1)
	v_cmpx_ne_u16_e32 0, v4
	s_cbranch_execz .LBB230_1154
; %bb.1147:                             ;   in Loop: Header=BB230_10 Depth=1
	v_mov_b64_e32 v[122:123], 0x80000000
	s_mov_b32 s9, exec_lo
	v_cmpx_ne_u16_e32 0x80, v4
	s_cbranch_execz .LBB230_1153
; %bb.1148:                             ;   in Loop: Header=BB230_10 Depth=1
	v_mov_b64_e32 v[122:123], 0x7f800001
	v_bfe_u32 v5, v2, 16, 7
	s_mov_b32 s11, exec_lo
	s_delay_alu instid0(VALU_DEP_1)
	v_cmpx_ne_u32_e32 0x7f, v5
	s_cbranch_execz .LBB230_1152
; %bb.1149:                             ;   in Loop: Header=BB230_10 Depth=1
	scratch_load_b64 v[122:123], off, s32 offset:192 th:TH_LOAD_LU ; 8-byte Folded Reload
	s_wait_loadcnt 0x0
	v_dual_lshrrev_b32 v4, 3, v5 :: v_dual_bitop2_b32 v122, 7, v3 bitop3:0x40
	s_mov_b32 s16, exec_lo
	s_wait_xcnt 0x0
	v_cmpx_gt_u32_e32 8, v5
; %bb.1150:                             ;   in Loop: Header=BB230_10 Depth=1
	s_delay_alu instid0(VALU_DEP_2) | instskip(NEXT) | instid1(VALU_DEP_1)
	v_clz_i32_u32_e32 v4, v122
	v_min_u32_e32 v4, 32, v4
	s_delay_alu instid0(VALU_DEP_1) | instskip(SKIP_1) | instid1(VALU_DEP_2)
	v_subrev_nc_u32_e32 v5, 28, v4
	v_sub_nc_u32_e32 v4, 29, v4
	v_lshlrev_b64_e32 v[8:9], v5, v[122:123]
	s_delay_alu instid0(VALU_DEP_1)
	v_and_b32_e32 v122, 7, v8
; %bb.1151:                             ;   in Loop: Header=BB230_10 Depth=1
	s_or_b32 exec_lo, exec_lo, s16
	s_delay_alu instid0(VALU_DEP_1) | instskip(SKIP_1) | instid1(VALU_DEP_2)
	v_dual_lshlrev_b32 v3, 24, v3 :: v_dual_lshlrev_b32 v5, 20, v122
	v_lshl_add_u32 v4, v4, 23, 0x3c000000
	v_and_b32_e32 v3, 0x80000000, v3
	s_delay_alu instid0(VALU_DEP_1)
	v_or3_b32 v122, v5, v3, v4
	v_mov_b32_e32 v3, v123
	scratch_store_b64 off, v[2:3], s32 offset:192 ; 8-byte Folded Spill
.LBB230_1152:                           ;   in Loop: Header=BB230_10 Depth=1
	s_wait_xcnt 0x0
	s_or_b32 exec_lo, exec_lo, s11
.LBB230_1153:                           ;   in Loop: Header=BB230_10 Depth=1
	s_delay_alu instid0(SALU_CYCLE_1)
	s_or_b32 exec_lo, exec_lo, s9
.LBB230_1154:                           ;   in Loop: Header=BB230_10 Depth=1
	s_delay_alu instid0(SALU_CYCLE_1) | instskip(NEXT) | instid1(SALU_CYCLE_1)
	s_or_b32 exec_lo, exec_lo, s8
	s_mov_b32 s8, exec_lo
	v_cmpx_lt_u32_e32 0xffffff, v2
	s_cbranch_execz .LBB230_1162
; %bb.1155:                             ;   in Loop: Header=BB230_10 Depth=1
	v_mov_b64_e32 v[120:121], 0x8000000000000000
	v_lshrrev_b32_e32 v3, 24, v2
	s_mov_b32 s9, exec_lo
	s_delay_alu instid0(VALU_DEP_1)
	v_cmpx_ne_u32_e32 0x80, v3
	s_cbranch_execz .LBB230_1161
; %bb.1156:                             ;   in Loop: Header=BB230_10 Depth=1
	v_mov_b64_e32 v[120:121], 0x7f80000100000000
	v_bfe_u32 v4, v2, 24, 7
	s_mov_b32 s11, exec_lo
	s_delay_alu instid0(VALU_DEP_1)
	v_cmpx_ne_u32_e32 0x7f, v4
	s_cbranch_execz .LBB230_1160
; %bb.1157:                             ;   in Loop: Header=BB230_10 Depth=1
	scratch_load_b64 v[8:9], off, s32 offset:192 th:TH_LOAD_LU ; 8-byte Folded Reload
	s_wait_loadcnt 0x0
	v_dual_lshrrev_b32 v2, 3, v4 :: v_dual_bitop2_b32 v8, 7, v3 bitop3:0x40
	s_mov_b32 s16, exec_lo
	s_wait_xcnt 0x0
	v_cmpx_gt_u32_e32 8, v4
; %bb.1158:                             ;   in Loop: Header=BB230_10 Depth=1
	s_delay_alu instid0(VALU_DEP_2) | instskip(NEXT) | instid1(VALU_DEP_1)
	v_clz_i32_u32_e32 v2, v8
	v_min_u32_e32 v2, 32, v2
	s_delay_alu instid0(VALU_DEP_1) | instskip(NEXT) | instid1(VALU_DEP_1)
	v_subrev_nc_u32_e32 v4, 28, v2
	v_lshlrev_b64_e32 v[4:5], v4, v[8:9]
	s_delay_alu instid0(VALU_DEP_1)
	v_dual_sub_nc_u32 v2, 29, v2 :: v_dual_bitop2_b32 v8, 7, v4 bitop3:0x40
; %bb.1159:                             ;   in Loop: Header=BB230_10 Depth=1
	s_or_b32 exec_lo, exec_lo, s16
	s_delay_alu instid0(VALU_DEP_1) | instskip(NEXT) | instid1(VALU_DEP_2)
	v_dual_lshlrev_b32 v3, 24, v3 :: v_dual_lshlrev_b32 v4, 20, v8
	v_lshl_add_u32 v2, v2, 23, 0x3c000000
	v_mov_b32_e32 v120, v9
	s_delay_alu instid0(VALU_DEP_3) | instskip(NEXT) | instid1(VALU_DEP_1)
	v_and_b32_e32 v3, 0x80000000, v3
	v_or3_b32 v121, v4, v3, v2
	v_mov_b32_e32 v3, v9
	scratch_store_b64 off, v[2:3], s32 offset:192 ; 8-byte Folded Spill
.LBB230_1160:                           ;   in Loop: Header=BB230_10 Depth=1
	s_wait_xcnt 0x0
	s_or_b32 exec_lo, exec_lo, s11
.LBB230_1161:                           ;   in Loop: Header=BB230_10 Depth=1
	s_delay_alu instid0(SALU_CYCLE_1)
	s_or_b32 exec_lo, exec_lo, s9
.LBB230_1162:                           ;   in Loop: Header=BB230_10 Depth=1
	s_delay_alu instid0(SALU_CYCLE_1)
	s_or_b32 exec_lo, exec_lo, s8
	flat_load_b32 v2, v[92:93] offset:4608
	v_mov_b64_e32 v[34:35], 0
	v_mov_b64_e32 v[126:127], 0
	s_mov_b32 s8, exec_lo
	s_wait_loadcnt_dscnt 0x0
	v_and_b32_e32 v3, 0xff, v2
	s_wait_xcnt 0x0
	s_delay_alu instid0(VALU_DEP_1)
	v_cmpx_ne_u16_e32 0, v3
	s_cbranch_execz .LBB230_1170
; %bb.1163:                             ;   in Loop: Header=BB230_10 Depth=1
	v_mov_b64_e32 v[126:127], 0x80000000
	s_mov_b32 s9, exec_lo
	v_cmpx_ne_u16_e32 0x80, v3
	s_cbranch_execz .LBB230_1169
; %bb.1164:                             ;   in Loop: Header=BB230_10 Depth=1
	v_mov_b64_e32 v[126:127], 0x7f800001
	v_and_b32_e32 v4, 0x7f, v2
	s_mov_b32 s11, exec_lo
	s_delay_alu instid0(VALU_DEP_1)
	v_cmpx_ne_u32_e32 0x7f, v4
	s_cbranch_execz .LBB230_1168
; %bb.1165:                             ;   in Loop: Header=BB230_10 Depth=1
	scratch_load_b64 v[126:127], off, s32 offset:192 th:TH_LOAD_LU ; 8-byte Folded Reload
	s_wait_loadcnt 0x0
	v_dual_lshrrev_b32 v3, 3, v4 :: v_dual_bitop2_b32 v126, 7, v2 bitop3:0x40
	s_mov_b32 s16, exec_lo
	s_wait_xcnt 0x0
	v_cmpx_gt_u32_e32 8, v4
; %bb.1166:                             ;   in Loop: Header=BB230_10 Depth=1
	s_delay_alu instid0(VALU_DEP_2) | instskip(NEXT) | instid1(VALU_DEP_1)
	v_clz_i32_u32_e32 v3, v126
	v_min_u32_e32 v3, 32, v3
	s_delay_alu instid0(VALU_DEP_1) | instskip(NEXT) | instid1(VALU_DEP_1)
	v_subrev_nc_u32_e32 v4, 28, v3
	v_lshlrev_b64_e32 v[4:5], v4, v[126:127]
	s_delay_alu instid0(VALU_DEP_1)
	v_dual_sub_nc_u32 v3, 29, v3 :: v_dual_bitop2_b32 v126, 7, v4 bitop3:0x40
; %bb.1167:                             ;   in Loop: Header=BB230_10 Depth=1
	s_or_b32 exec_lo, exec_lo, s16
	v_lshlrev_b32_e32 v4, 24, v2
	s_delay_alu instid0(VALU_DEP_2) | instskip(NEXT) | instid1(VALU_DEP_3)
	v_lshlrev_b32_e32 v5, 20, v126
	v_lshl_add_u32 v3, v3, 23, 0x3c000000
	s_delay_alu instid0(VALU_DEP_3) | instskip(NEXT) | instid1(VALU_DEP_1)
	v_and_b32_e32 v4, 0x80000000, v4
	v_or3_b32 v126, v5, v4, v3
	v_mov_b32_e32 v3, v127
	scratch_store_b64 off, v[2:3], s32 offset:192 ; 8-byte Folded Spill
.LBB230_1168:                           ;   in Loop: Header=BB230_10 Depth=1
	s_wait_xcnt 0x0
	s_or_b32 exec_lo, exec_lo, s11
.LBB230_1169:                           ;   in Loop: Header=BB230_10 Depth=1
	s_delay_alu instid0(SALU_CYCLE_1)
	s_or_b32 exec_lo, exec_lo, s9
.LBB230_1170:                           ;   in Loop: Header=BB230_10 Depth=1
	s_delay_alu instid0(SALU_CYCLE_1) | instskip(SKIP_2) | instid1(VALU_DEP_1)
	s_or_b32 exec_lo, exec_lo, s8
	v_lshrrev_b16 v3, 8, v2
	s_mov_b32 s8, exec_lo
	v_cmpx_ne_u16_e32 0, v3
	s_cbranch_execz .LBB230_1178
; %bb.1171:                             ;   in Loop: Header=BB230_10 Depth=1
	v_mov_b64_e32 v[34:35], 0x8000000000000000
	s_mov_b32 s9, exec_lo
	v_cmpx_ne_u16_e32 0x80, v3
	s_cbranch_execz .LBB230_1177
; %bb.1172:                             ;   in Loop: Header=BB230_10 Depth=1
	v_and_b32_e32 v3, 0xffff, v3
	v_mov_b64_e32 v[34:35], 0x7f80000100000000
	s_mov_b32 s11, exec_lo
	s_delay_alu instid0(VALU_DEP_2) | instskip(NEXT) | instid1(VALU_DEP_1)
	v_and_b32_e32 v4, 0x7f, v3
	v_cmpx_ne_u32_e32 0x7f, v4
	s_cbranch_execz .LBB230_1176
; %bb.1173:                             ;   in Loop: Header=BB230_10 Depth=1
	scratch_load_b64 v[8:9], off, s32 offset:192 th:TH_LOAD_LU ; 8-byte Folded Reload
	s_wait_loadcnt 0x0
	v_dual_lshrrev_b32 v3, 3, v4 :: v_dual_bitop2_b32 v8, 7, v3 bitop3:0x40
	s_mov_b32 s16, exec_lo
	s_wait_xcnt 0x0
	v_cmpx_gt_u32_e32 8, v4
; %bb.1174:                             ;   in Loop: Header=BB230_10 Depth=1
	s_delay_alu instid0(VALU_DEP_2) | instskip(NEXT) | instid1(VALU_DEP_1)
	v_clz_i32_u32_e32 v3, v8
	v_min_u32_e32 v3, 32, v3
	s_delay_alu instid0(VALU_DEP_1) | instskip(NEXT) | instid1(VALU_DEP_1)
	v_subrev_nc_u32_e32 v4, 28, v3
	v_lshlrev_b64_e32 v[4:5], v4, v[8:9]
	s_delay_alu instid0(VALU_DEP_1)
	v_dual_sub_nc_u32 v3, 29, v3 :: v_dual_bitop2_b32 v8, 7, v4 bitop3:0x40
; %bb.1175:                             ;   in Loop: Header=BB230_10 Depth=1
	s_or_b32 exec_lo, exec_lo, s16
	s_delay_alu instid0(VALU_DEP_1) | instskip(NEXT) | instid1(VALU_DEP_2)
	v_dual_lshlrev_b32 v4, 16, v2 :: v_dual_lshlrev_b32 v5, 20, v8
	v_lshl_add_u32 v3, v3, 23, 0x3c000000
	v_mov_b32_e32 v34, v9
	s_delay_alu instid0(VALU_DEP_3) | instskip(NEXT) | instid1(VALU_DEP_1)
	v_and_b32_e32 v4, 0x80000000, v4
	v_or3_b32 v35, v5, v4, v3
	v_mov_b32_e32 v3, v9
	scratch_store_b64 off, v[2:3], s32 offset:192 ; 8-byte Folded Spill
.LBB230_1176:                           ;   in Loop: Header=BB230_10 Depth=1
	s_wait_xcnt 0x0
	s_or_b32 exec_lo, exec_lo, s11
.LBB230_1177:                           ;   in Loop: Header=BB230_10 Depth=1
	s_delay_alu instid0(SALU_CYCLE_1)
	s_or_b32 exec_lo, exec_lo, s9
.LBB230_1178:                           ;   in Loop: Header=BB230_10 Depth=1
	s_delay_alu instid0(SALU_CYCLE_1) | instskip(SKIP_4) | instid1(VALU_DEP_3)
	s_or_b32 exec_lo, exec_lo, s8
	v_lshrrev_b32_e32 v3, 16, v2
	v_mov_b64_e32 v[32:33], 0
	v_mov_b64_e32 v[28:29], 0
	s_mov_b32 s8, exec_lo
	v_and_b32_e32 v4, 0xff, v3
	s_delay_alu instid0(VALU_DEP_1)
	v_cmpx_ne_u16_e32 0, v4
	s_cbranch_execz .LBB230_1186
; %bb.1179:                             ;   in Loop: Header=BB230_10 Depth=1
	v_mov_b64_e32 v[28:29], 0x80000000
	s_mov_b32 s9, exec_lo
	v_cmpx_ne_u16_e32 0x80, v4
	s_cbranch_execz .LBB230_1185
; %bb.1180:                             ;   in Loop: Header=BB230_10 Depth=1
	v_mov_b64_e32 v[28:29], 0x7f800001
	v_bfe_u32 v5, v2, 16, 7
	s_mov_b32 s11, exec_lo
	s_delay_alu instid0(VALU_DEP_1)
	v_cmpx_ne_u32_e32 0x7f, v5
	s_cbranch_execz .LBB230_1184
; %bb.1181:                             ;   in Loop: Header=BB230_10 Depth=1
	scratch_load_b64 v[28:29], off, s32 offset:192 th:TH_LOAD_LU ; 8-byte Folded Reload
	s_wait_loadcnt 0x0
	v_dual_lshrrev_b32 v4, 3, v5 :: v_dual_bitop2_b32 v28, 7, v3 bitop3:0x40
	s_mov_b32 s16, exec_lo
	s_wait_xcnt 0x0
	v_cmpx_gt_u32_e32 8, v5
; %bb.1182:                             ;   in Loop: Header=BB230_10 Depth=1
	s_delay_alu instid0(VALU_DEP_2) | instskip(NEXT) | instid1(VALU_DEP_1)
	v_clz_i32_u32_e32 v4, v28
	v_min_u32_e32 v4, 32, v4
	s_delay_alu instid0(VALU_DEP_1) | instskip(SKIP_1) | instid1(VALU_DEP_2)
	v_subrev_nc_u32_e32 v5, 28, v4
	v_sub_nc_u32_e32 v4, 29, v4
	v_lshlrev_b64_e32 v[8:9], v5, v[28:29]
	s_delay_alu instid0(VALU_DEP_1)
	v_and_b32_e32 v28, 7, v8
; %bb.1183:                             ;   in Loop: Header=BB230_10 Depth=1
	s_or_b32 exec_lo, exec_lo, s16
	s_delay_alu instid0(VALU_DEP_1) | instskip(SKIP_1) | instid1(VALU_DEP_2)
	v_dual_lshlrev_b32 v3, 24, v3 :: v_dual_lshlrev_b32 v5, 20, v28
	v_lshl_add_u32 v4, v4, 23, 0x3c000000
	v_and_b32_e32 v3, 0x80000000, v3
	s_delay_alu instid0(VALU_DEP_1)
	v_or3_b32 v28, v5, v3, v4
	v_mov_b32_e32 v3, v29
	scratch_store_b64 off, v[2:3], s32 offset:192 ; 8-byte Folded Spill
.LBB230_1184:                           ;   in Loop: Header=BB230_10 Depth=1
	s_wait_xcnt 0x0
	s_or_b32 exec_lo, exec_lo, s11
.LBB230_1185:                           ;   in Loop: Header=BB230_10 Depth=1
	s_delay_alu instid0(SALU_CYCLE_1)
	s_or_b32 exec_lo, exec_lo, s9
.LBB230_1186:                           ;   in Loop: Header=BB230_10 Depth=1
	s_delay_alu instid0(SALU_CYCLE_1) | instskip(NEXT) | instid1(SALU_CYCLE_1)
	s_or_b32 exec_lo, exec_lo, s8
	s_mov_b32 s8, exec_lo
	v_cmpx_lt_u32_e32 0xffffff, v2
	s_cbranch_execz .LBB230_1194
; %bb.1187:                             ;   in Loop: Header=BB230_10 Depth=1
	v_mov_b64_e32 v[32:33], 0x8000000000000000
	v_lshrrev_b32_e32 v3, 24, v2
	s_mov_b32 s9, exec_lo
	s_delay_alu instid0(VALU_DEP_1)
	v_cmpx_ne_u32_e32 0x80, v3
	s_cbranch_execz .LBB230_1193
; %bb.1188:                             ;   in Loop: Header=BB230_10 Depth=1
	v_mov_b64_e32 v[32:33], 0x7f80000100000000
	v_bfe_u32 v4, v2, 24, 7
	s_mov_b32 s11, exec_lo
	s_delay_alu instid0(VALU_DEP_1)
	v_cmpx_ne_u32_e32 0x7f, v4
	s_cbranch_execz .LBB230_1192
; %bb.1189:                             ;   in Loop: Header=BB230_10 Depth=1
	scratch_load_b64 v[8:9], off, s32 offset:192 th:TH_LOAD_LU ; 8-byte Folded Reload
	s_wait_loadcnt 0x0
	v_dual_lshrrev_b32 v2, 3, v4 :: v_dual_bitop2_b32 v8, 7, v3 bitop3:0x40
	s_mov_b32 s16, exec_lo
	s_wait_xcnt 0x0
	v_cmpx_gt_u32_e32 8, v4
; %bb.1190:                             ;   in Loop: Header=BB230_10 Depth=1
	s_delay_alu instid0(VALU_DEP_2) | instskip(NEXT) | instid1(VALU_DEP_1)
	v_clz_i32_u32_e32 v2, v8
	v_min_u32_e32 v2, 32, v2
	s_delay_alu instid0(VALU_DEP_1) | instskip(NEXT) | instid1(VALU_DEP_1)
	v_subrev_nc_u32_e32 v4, 28, v2
	v_lshlrev_b64_e32 v[4:5], v4, v[8:9]
	s_delay_alu instid0(VALU_DEP_1)
	v_dual_sub_nc_u32 v2, 29, v2 :: v_dual_bitop2_b32 v8, 7, v4 bitop3:0x40
; %bb.1191:                             ;   in Loop: Header=BB230_10 Depth=1
	s_or_b32 exec_lo, exec_lo, s16
	s_delay_alu instid0(VALU_DEP_1) | instskip(NEXT) | instid1(VALU_DEP_2)
	v_dual_lshlrev_b32 v3, 24, v3 :: v_dual_lshlrev_b32 v4, 20, v8
	v_lshl_add_u32 v2, v2, 23, 0x3c000000
	v_mov_b32_e32 v32, v9
	s_delay_alu instid0(VALU_DEP_3) | instskip(NEXT) | instid1(VALU_DEP_1)
	v_and_b32_e32 v3, 0x80000000, v3
	v_or3_b32 v33, v4, v3, v2
	v_mov_b32_e32 v3, v9
	scratch_store_b64 off, v[2:3], s32 offset:192 ; 8-byte Folded Spill
.LBB230_1192:                           ;   in Loop: Header=BB230_10 Depth=1
	s_wait_xcnt 0x0
	s_or_b32 exec_lo, exec_lo, s11
.LBB230_1193:                           ;   in Loop: Header=BB230_10 Depth=1
	s_delay_alu instid0(SALU_CYCLE_1)
	s_or_b32 exec_lo, exec_lo, s9
.LBB230_1194:                           ;   in Loop: Header=BB230_10 Depth=1
	s_delay_alu instid0(SALU_CYCLE_1)
	s_or_b32 exec_lo, exec_lo, s8
	flat_load_b32 v2, v[92:93] offset:4612
	v_mov_b64_e32 v[38:39], 0
	v_mov_b64_e32 v[20:21], 0
	s_mov_b32 s8, exec_lo
	s_wait_loadcnt_dscnt 0x0
	v_and_b32_e32 v3, 0xff, v2
	s_wait_xcnt 0x0
	s_delay_alu instid0(VALU_DEP_1)
	v_cmpx_ne_u16_e32 0, v3
	s_cbranch_execz .LBB230_1202
; %bb.1195:                             ;   in Loop: Header=BB230_10 Depth=1
	v_mov_b64_e32 v[20:21], 0x80000000
	s_mov_b32 s9, exec_lo
	v_cmpx_ne_u16_e32 0x80, v3
	s_cbranch_execz .LBB230_1201
; %bb.1196:                             ;   in Loop: Header=BB230_10 Depth=1
	v_mov_b64_e32 v[20:21], 0x7f800001
	v_and_b32_e32 v8, 0x7f, v2
	s_mov_b32 s11, exec_lo
	s_delay_alu instid0(VALU_DEP_1)
	v_cmpx_ne_u32_e32 0x7f, v8
	s_cbranch_execz .LBB230_1200
; %bb.1197:                             ;   in Loop: Header=BB230_10 Depth=1
	scratch_load_b64 v[20:21], off, s32 offset:192 th:TH_LOAD_LU ; 8-byte Folded Reload
	s_wait_loadcnt 0x0
	v_dual_lshrrev_b32 v3, 3, v8 :: v_dual_bitop2_b32 v20, 7, v2 bitop3:0x40
	s_mov_b32 s16, exec_lo
	s_wait_xcnt 0x0
	v_cmpx_gt_u32_e32 8, v8
; %bb.1198:                             ;   in Loop: Header=BB230_10 Depth=1
	s_delay_alu instid0(VALU_DEP_2) | instskip(NEXT) | instid1(VALU_DEP_1)
	v_clz_i32_u32_e32 v3, v20
	v_min_u32_e32 v3, 32, v3
	s_delay_alu instid0(VALU_DEP_1) | instskip(NEXT) | instid1(VALU_DEP_1)
	v_subrev_nc_u32_e32 v4, 28, v3
	v_lshlrev_b64_e32 v[4:5], v4, v[20:21]
	s_delay_alu instid0(VALU_DEP_1)
	v_dual_sub_nc_u32 v3, 29, v3 :: v_dual_bitop2_b32 v20, 7, v4 bitop3:0x40
; %bb.1199:                             ;   in Loop: Header=BB230_10 Depth=1
	s_or_b32 exec_lo, exec_lo, s16
	s_delay_alu instid0(VALU_DEP_1) | instskip(NEXT) | instid1(VALU_DEP_2)
	v_dual_lshlrev_b32 v4, 24, v2 :: v_dual_lshlrev_b32 v5, 20, v20
	v_lshl_add_u32 v3, v3, 23, 0x3c000000
	s_delay_alu instid0(VALU_DEP_2) | instskip(NEXT) | instid1(VALU_DEP_1)
	v_and_b32_e32 v4, 0x80000000, v4
	v_or3_b32 v20, v5, v4, v3
	v_mov_b32_e32 v3, v21
	scratch_store_b64 off, v[2:3], s32 offset:192 ; 8-byte Folded Spill
.LBB230_1200:                           ;   in Loop: Header=BB230_10 Depth=1
	s_wait_xcnt 0x0
	s_or_b32 exec_lo, exec_lo, s11
.LBB230_1201:                           ;   in Loop: Header=BB230_10 Depth=1
	s_delay_alu instid0(SALU_CYCLE_1)
	s_or_b32 exec_lo, exec_lo, s9
.LBB230_1202:                           ;   in Loop: Header=BB230_10 Depth=1
	s_delay_alu instid0(SALU_CYCLE_1) | instskip(SKIP_2) | instid1(VALU_DEP_1)
	s_or_b32 exec_lo, exec_lo, s8
	v_lshrrev_b16 v3, 8, v2
	s_mov_b32 s8, exec_lo
	v_cmpx_ne_u16_e32 0, v3
	s_cbranch_execz .LBB230_1210
; %bb.1203:                             ;   in Loop: Header=BB230_10 Depth=1
	v_mov_b64_e32 v[38:39], 0x8000000000000000
	s_mov_b32 s9, exec_lo
	v_cmpx_ne_u16_e32 0x80, v3
	s_cbranch_execz .LBB230_1209
; %bb.1204:                             ;   in Loop: Header=BB230_10 Depth=1
	v_and_b32_e32 v3, 0xffff, v3
	v_mov_b64_e32 v[38:39], 0x7f80000100000000
	s_mov_b32 s11, exec_lo
	s_delay_alu instid0(VALU_DEP_2) | instskip(NEXT) | instid1(VALU_DEP_1)
	v_and_b32_e32 v8, 0x7f, v3
	v_cmpx_ne_u32_e32 0x7f, v8
	s_cbranch_execz .LBB230_1208
; %bb.1205:                             ;   in Loop: Header=BB230_10 Depth=1
	scratch_load_b64 v[12:13], off, s32 offset:192 th:TH_LOAD_LU ; 8-byte Folded Reload
	s_wait_loadcnt 0x0
	v_dual_lshrrev_b32 v3, 3, v8 :: v_dual_bitop2_b32 v12, 7, v3 bitop3:0x40
	s_mov_b32 s16, exec_lo
	s_wait_xcnt 0x0
	v_cmpx_gt_u32_e32 8, v8
; %bb.1206:                             ;   in Loop: Header=BB230_10 Depth=1
	s_delay_alu instid0(VALU_DEP_2) | instskip(NEXT) | instid1(VALU_DEP_1)
	v_clz_i32_u32_e32 v3, v12
	v_min_u32_e32 v3, 32, v3
	s_delay_alu instid0(VALU_DEP_1) | instskip(NEXT) | instid1(VALU_DEP_1)
	v_subrev_nc_u32_e32 v8, 28, v3
	v_lshlrev_b64_e32 v[8:9], v8, v[12:13]
	s_delay_alu instid0(VALU_DEP_1)
	v_dual_sub_nc_u32 v3, 29, v3 :: v_dual_bitop2_b32 v12, 7, v8 bitop3:0x40
; %bb.1207:                             ;   in Loop: Header=BB230_10 Depth=1
	s_or_b32 exec_lo, exec_lo, s16
	s_delay_alu instid0(VALU_DEP_1) | instskip(NEXT) | instid1(VALU_DEP_2)
	v_dual_lshlrev_b32 v8, 16, v2 :: v_dual_lshlrev_b32 v9, 20, v12
	v_lshl_add_u32 v3, v3, 23, 0x3c000000
	v_mov_b32_e32 v38, v13
	s_delay_alu instid0(VALU_DEP_3) | instskip(NEXT) | instid1(VALU_DEP_1)
	v_and_b32_e32 v8, 0x80000000, v8
	v_or3_b32 v39, v9, v8, v3
	v_mov_b32_e32 v3, v13
	scratch_store_b64 off, v[2:3], s32 offset:192 ; 8-byte Folded Spill
.LBB230_1208:                           ;   in Loop: Header=BB230_10 Depth=1
	s_wait_xcnt 0x0
	s_or_b32 exec_lo, exec_lo, s11
.LBB230_1209:                           ;   in Loop: Header=BB230_10 Depth=1
	s_delay_alu instid0(SALU_CYCLE_1)
	s_or_b32 exec_lo, exec_lo, s9
.LBB230_1210:                           ;   in Loop: Header=BB230_10 Depth=1
	s_delay_alu instid0(SALU_CYCLE_1) | instskip(SKIP_4) | instid1(VALU_DEP_3)
	s_or_b32 exec_lo, exec_lo, s8
	v_lshrrev_b32_e32 v3, 16, v2
	v_mov_b64_e32 v[124:125], 0
	v_mov_b64_e32 v[18:19], 0
	s_mov_b32 s8, exec_lo
	v_and_b32_e32 v8, 0xff, v3
	s_delay_alu instid0(VALU_DEP_1)
	v_cmpx_ne_u16_e32 0, v8
	s_cbranch_execz .LBB230_1218
; %bb.1211:                             ;   in Loop: Header=BB230_10 Depth=1
	v_mov_b64_e32 v[18:19], 0x80000000
	s_mov_b32 s9, exec_lo
	v_cmpx_ne_u16_e32 0x80, v8
	s_cbranch_execz .LBB230_1217
; %bb.1212:                             ;   in Loop: Header=BB230_10 Depth=1
	v_mov_b64_e32 v[18:19], 0x7f800001
	v_bfe_u32 v9, v2, 16, 7
	s_mov_b32 s11, exec_lo
	s_delay_alu instid0(VALU_DEP_1)
	v_cmpx_ne_u32_e32 0x7f, v9
	s_cbranch_execz .LBB230_1216
; %bb.1213:                             ;   in Loop: Header=BB230_10 Depth=1
	scratch_load_b64 v[18:19], off, s32 offset:192 th:TH_LOAD_LU ; 8-byte Folded Reload
	s_wait_loadcnt 0x0
	v_dual_lshrrev_b32 v8, 3, v9 :: v_dual_bitop2_b32 v18, 7, v3 bitop3:0x40
	s_mov_b32 s16, exec_lo
	s_wait_xcnt 0x0
	v_cmpx_gt_u32_e32 8, v9
; %bb.1214:                             ;   in Loop: Header=BB230_10 Depth=1
	s_delay_alu instid0(VALU_DEP_2) | instskip(NEXT) | instid1(VALU_DEP_1)
	v_clz_i32_u32_e32 v8, v18
	v_min_u32_e32 v8, 32, v8
	s_delay_alu instid0(VALU_DEP_1) | instskip(NEXT) | instid1(VALU_DEP_1)
	v_subrev_nc_u32_e32 v9, 28, v8
	v_lshlrev_b64_e32 v[14:15], v9, v[18:19]
	s_delay_alu instid0(VALU_DEP_1)
	v_dual_sub_nc_u32 v8, 29, v8 :: v_dual_bitop2_b32 v18, 7, v14 bitop3:0x40
; %bb.1215:                             ;   in Loop: Header=BB230_10 Depth=1
	s_or_b32 exec_lo, exec_lo, s16
	s_delay_alu instid0(VALU_DEP_1) | instskip(NEXT) | instid1(VALU_DEP_2)
	v_dual_lshlrev_b32 v3, 24, v3 :: v_dual_lshlrev_b32 v9, 20, v18
	v_lshl_add_u32 v8, v8, 23, 0x3c000000
	s_delay_alu instid0(VALU_DEP_2) | instskip(NEXT) | instid1(VALU_DEP_1)
	v_and_b32_e32 v3, 0x80000000, v3
	v_or3_b32 v18, v9, v3, v8
	v_mov_b32_e32 v3, v19
	scratch_store_b64 off, v[2:3], s32 offset:192 ; 8-byte Folded Spill
.LBB230_1216:                           ;   in Loop: Header=BB230_10 Depth=1
	s_wait_xcnt 0x0
	s_or_b32 exec_lo, exec_lo, s11
.LBB230_1217:                           ;   in Loop: Header=BB230_10 Depth=1
	s_delay_alu instid0(SALU_CYCLE_1)
	s_or_b32 exec_lo, exec_lo, s9
.LBB230_1218:                           ;   in Loop: Header=BB230_10 Depth=1
	s_delay_alu instid0(SALU_CYCLE_1) | instskip(NEXT) | instid1(SALU_CYCLE_1)
	s_or_b32 exec_lo, exec_lo, s8
	s_mov_b32 s8, exec_lo
	v_cmpx_lt_u32_e32 0xffffff, v2
	s_cbranch_execz .LBB230_1226
; %bb.1219:                             ;   in Loop: Header=BB230_10 Depth=1
	v_mov_b64_e32 v[124:125], 0x8000000000000000
	v_lshrrev_b32_e32 v3, 24, v2
	s_mov_b32 s9, exec_lo
	s_delay_alu instid0(VALU_DEP_1)
	v_cmpx_ne_u32_e32 0x80, v3
	s_cbranch_execz .LBB230_1225
; %bb.1220:                             ;   in Loop: Header=BB230_10 Depth=1
	v_mov_b64_e32 v[124:125], 0x7f80000100000000
	v_bfe_u32 v8, v2, 24, 7
	s_mov_b32 s11, exec_lo
	s_delay_alu instid0(VALU_DEP_1)
	v_cmpx_ne_u32_e32 0x7f, v8
	s_cbranch_execz .LBB230_1224
; %bb.1221:                             ;   in Loop: Header=BB230_10 Depth=1
	scratch_load_b64 v[12:13], off, s32 offset:192 th:TH_LOAD_LU ; 8-byte Folded Reload
	s_wait_loadcnt 0x0
	v_dual_lshrrev_b32 v2, 3, v8 :: v_dual_bitop2_b32 v12, 7, v3 bitop3:0x40
	s_mov_b32 s16, exec_lo
	s_wait_xcnt 0x0
	v_cmpx_gt_u32_e32 8, v8
; %bb.1222:                             ;   in Loop: Header=BB230_10 Depth=1
	s_delay_alu instid0(VALU_DEP_2) | instskip(NEXT) | instid1(VALU_DEP_1)
	v_clz_i32_u32_e32 v2, v12
	v_min_u32_e32 v2, 32, v2
	s_delay_alu instid0(VALU_DEP_1) | instskip(NEXT) | instid1(VALU_DEP_1)
	v_subrev_nc_u32_e32 v8, 28, v2
	v_lshlrev_b64_e32 v[8:9], v8, v[12:13]
	s_delay_alu instid0(VALU_DEP_1)
	v_dual_sub_nc_u32 v2, 29, v2 :: v_dual_bitop2_b32 v12, 7, v8 bitop3:0x40
; %bb.1223:                             ;   in Loop: Header=BB230_10 Depth=1
	s_or_b32 exec_lo, exec_lo, s16
	s_delay_alu instid0(VALU_DEP_1) | instskip(NEXT) | instid1(VALU_DEP_2)
	v_dual_lshlrev_b32 v3, 24, v3 :: v_dual_lshlrev_b32 v8, 20, v12
	v_lshl_add_u32 v2, v2, 23, 0x3c000000
	v_mov_b32_e32 v124, v13
	s_delay_alu instid0(VALU_DEP_3) | instskip(NEXT) | instid1(VALU_DEP_1)
	v_and_b32_e32 v3, 0x80000000, v3
	v_or3_b32 v125, v8, v3, v2
	v_mov_b32_e32 v3, v13
	scratch_store_b64 off, v[2:3], s32 offset:192 ; 8-byte Folded Spill
.LBB230_1224:                           ;   in Loop: Header=BB230_10 Depth=1
	s_wait_xcnt 0x0
	s_or_b32 exec_lo, exec_lo, s11
.LBB230_1225:                           ;   in Loop: Header=BB230_10 Depth=1
	s_delay_alu instid0(SALU_CYCLE_1)
	s_or_b32 exec_lo, exec_lo, s9
.LBB230_1226:                           ;   in Loop: Header=BB230_10 Depth=1
	s_delay_alu instid0(SALU_CYCLE_1)
	s_or_b32 exec_lo, exec_lo, s8
	flat_load_b32 v2, v[92:93] offset:4616
	v_mov_b64_e32 v[82:83], 0
	v_mov_b64_e32 v[108:109], 0
	s_mov_b32 s8, exec_lo
	s_wait_loadcnt_dscnt 0x0
	v_and_b32_e32 v3, 0xff, v2
	s_wait_xcnt 0x0
	s_delay_alu instid0(VALU_DEP_1)
	v_cmpx_ne_u16_e32 0, v3
	s_cbranch_execz .LBB230_1234
; %bb.1227:                             ;   in Loop: Header=BB230_10 Depth=1
	v_mov_b64_e32 v[108:109], 0x80000000
	s_mov_b32 s9, exec_lo
	v_cmpx_ne_u16_e32 0x80, v3
	s_cbranch_execz .LBB230_1233
; %bb.1228:                             ;   in Loop: Header=BB230_10 Depth=1
	v_mov_b64_e32 v[108:109], 0x7f800001
	v_and_b32_e32 v8, 0x7f, v2
	s_mov_b32 s11, exec_lo
	s_delay_alu instid0(VALU_DEP_1)
	v_cmpx_ne_u32_e32 0x7f, v8
	s_cbranch_execz .LBB230_1232
; %bb.1229:                             ;   in Loop: Header=BB230_10 Depth=1
	scratch_load_b64 v[108:109], off, s32 offset:192 th:TH_LOAD_LU ; 8-byte Folded Reload
	s_wait_loadcnt 0x0
	v_dual_lshrrev_b32 v3, 3, v8 :: v_dual_bitop2_b32 v108, 7, v2 bitop3:0x40
	s_mov_b32 s16, exec_lo
	s_wait_xcnt 0x0
	v_cmpx_gt_u32_e32 8, v8
; %bb.1230:                             ;   in Loop: Header=BB230_10 Depth=1
	s_delay_alu instid0(VALU_DEP_2) | instskip(NEXT) | instid1(VALU_DEP_1)
	v_clz_i32_u32_e32 v3, v108
	v_min_u32_e32 v3, 32, v3
	s_delay_alu instid0(VALU_DEP_1) | instskip(NEXT) | instid1(VALU_DEP_1)
	v_subrev_nc_u32_e32 v8, 28, v3
	v_lshlrev_b64_e32 v[8:9], v8, v[108:109]
	s_delay_alu instid0(VALU_DEP_1)
	v_dual_sub_nc_u32 v3, 29, v3 :: v_dual_bitop2_b32 v108, 7, v8 bitop3:0x40
; %bb.1231:                             ;   in Loop: Header=BB230_10 Depth=1
	s_or_b32 exec_lo, exec_lo, s16
	s_delay_alu instid0(VALU_DEP_1) | instskip(NEXT) | instid1(VALU_DEP_2)
	v_dual_lshlrev_b32 v8, 24, v2 :: v_dual_lshlrev_b32 v9, 20, v108
	v_lshl_add_u32 v3, v3, 23, 0x3c000000
	s_delay_alu instid0(VALU_DEP_2) | instskip(NEXT) | instid1(VALU_DEP_1)
	v_and_b32_e32 v8, 0x80000000, v8
	v_or3_b32 v108, v9, v8, v3
	v_mov_b32_e32 v3, v109
	scratch_store_b64 off, v[2:3], s32 offset:192 ; 8-byte Folded Spill
.LBB230_1232:                           ;   in Loop: Header=BB230_10 Depth=1
	s_wait_xcnt 0x0
	s_or_b32 exec_lo, exec_lo, s11
.LBB230_1233:                           ;   in Loop: Header=BB230_10 Depth=1
	s_delay_alu instid0(SALU_CYCLE_1)
	s_or_b32 exec_lo, exec_lo, s9
.LBB230_1234:                           ;   in Loop: Header=BB230_10 Depth=1
	s_delay_alu instid0(SALU_CYCLE_1) | instskip(SKIP_2) | instid1(VALU_DEP_1)
	s_or_b32 exec_lo, exec_lo, s8
	v_lshrrev_b16 v3, 8, v2
	s_mov_b32 s8, exec_lo
	v_cmpx_ne_u16_e32 0, v3
	s_cbranch_execz .LBB230_1242
; %bb.1235:                             ;   in Loop: Header=BB230_10 Depth=1
	v_mov_b64_e32 v[82:83], 0x8000000000000000
	s_mov_b32 s9, exec_lo
	v_cmpx_ne_u16_e32 0x80, v3
	s_cbranch_execz .LBB230_1241
; %bb.1236:                             ;   in Loop: Header=BB230_10 Depth=1
	v_and_b32_e32 v3, 0xffff, v3
	v_mov_b64_e32 v[82:83], 0x7f80000100000000
	s_mov_b32 s11, exec_lo
	s_delay_alu instid0(VALU_DEP_2) | instskip(NEXT) | instid1(VALU_DEP_1)
	v_and_b32_e32 v8, 0x7f, v3
	v_cmpx_ne_u32_e32 0x7f, v8
	s_cbranch_execz .LBB230_1240
; %bb.1237:                             ;   in Loop: Header=BB230_10 Depth=1
	scratch_load_b64 v[12:13], off, s32 offset:192 th:TH_LOAD_LU ; 8-byte Folded Reload
	s_wait_loadcnt 0x0
	v_dual_lshrrev_b32 v3, 3, v8 :: v_dual_bitop2_b32 v12, 7, v3 bitop3:0x40
	s_mov_b32 s16, exec_lo
	s_wait_xcnt 0x0
	v_cmpx_gt_u32_e32 8, v8
; %bb.1238:                             ;   in Loop: Header=BB230_10 Depth=1
	s_delay_alu instid0(VALU_DEP_2) | instskip(NEXT) | instid1(VALU_DEP_1)
	v_clz_i32_u32_e32 v3, v12
	v_min_u32_e32 v3, 32, v3
	s_delay_alu instid0(VALU_DEP_1) | instskip(NEXT) | instid1(VALU_DEP_1)
	v_subrev_nc_u32_e32 v8, 28, v3
	v_lshlrev_b64_e32 v[8:9], v8, v[12:13]
	s_delay_alu instid0(VALU_DEP_1)
	v_dual_sub_nc_u32 v3, 29, v3 :: v_dual_bitop2_b32 v12, 7, v8 bitop3:0x40
; %bb.1239:                             ;   in Loop: Header=BB230_10 Depth=1
	s_or_b32 exec_lo, exec_lo, s16
	s_delay_alu instid0(VALU_DEP_1) | instskip(NEXT) | instid1(VALU_DEP_2)
	v_dual_lshlrev_b32 v8, 16, v2 :: v_dual_lshlrev_b32 v9, 20, v12
	v_lshl_add_u32 v3, v3, 23, 0x3c000000
	v_mov_b32_e32 v82, v13
	s_delay_alu instid0(VALU_DEP_3) | instskip(NEXT) | instid1(VALU_DEP_1)
	v_and_b32_e32 v8, 0x80000000, v8
	v_or3_b32 v83, v9, v8, v3
	v_mov_b32_e32 v3, v13
	scratch_store_b64 off, v[2:3], s32 offset:192 ; 8-byte Folded Spill
.LBB230_1240:                           ;   in Loop: Header=BB230_10 Depth=1
	s_wait_xcnt 0x0
	s_or_b32 exec_lo, exec_lo, s11
.LBB230_1241:                           ;   in Loop: Header=BB230_10 Depth=1
	s_delay_alu instid0(SALU_CYCLE_1)
	s_or_b32 exec_lo, exec_lo, s9
.LBB230_1242:                           ;   in Loop: Header=BB230_10 Depth=1
	s_delay_alu instid0(SALU_CYCLE_1) | instskip(SKIP_4) | instid1(VALU_DEP_3)
	s_or_b32 exec_lo, exec_lo, s8
	v_lshrrev_b32_e32 v3, 16, v2
	v_mov_b64_e32 v[96:97], 0
	v_mov_b64_e32 v[26:27], 0
	s_mov_b32 s8, exec_lo
	v_and_b32_e32 v8, 0xff, v3
	s_delay_alu instid0(VALU_DEP_1)
	v_cmpx_ne_u16_e32 0, v8
	s_cbranch_execz .LBB230_1250
; %bb.1243:                             ;   in Loop: Header=BB230_10 Depth=1
	v_mov_b64_e32 v[26:27], 0x80000000
	s_mov_b32 s9, exec_lo
	v_cmpx_ne_u16_e32 0x80, v8
	s_cbranch_execz .LBB230_1249
; %bb.1244:                             ;   in Loop: Header=BB230_10 Depth=1
	v_mov_b64_e32 v[26:27], 0x7f800001
	v_bfe_u32 v9, v2, 16, 7
	s_mov_b32 s11, exec_lo
	s_delay_alu instid0(VALU_DEP_1)
	v_cmpx_ne_u32_e32 0x7f, v9
	s_cbranch_execz .LBB230_1248
; %bb.1245:                             ;   in Loop: Header=BB230_10 Depth=1
	scratch_load_b64 v[26:27], off, s32 offset:192 th:TH_LOAD_LU ; 8-byte Folded Reload
	s_wait_loadcnt 0x0
	v_dual_lshrrev_b32 v8, 3, v9 :: v_dual_bitop2_b32 v26, 7, v3 bitop3:0x40
	s_mov_b32 s16, exec_lo
	s_wait_xcnt 0x0
	v_cmpx_gt_u32_e32 8, v9
; %bb.1246:                             ;   in Loop: Header=BB230_10 Depth=1
	s_delay_alu instid0(VALU_DEP_2) | instskip(NEXT) | instid1(VALU_DEP_1)
	v_clz_i32_u32_e32 v8, v26
	v_min_u32_e32 v8, 32, v8
	s_delay_alu instid0(VALU_DEP_1) | instskip(NEXT) | instid1(VALU_DEP_1)
	v_subrev_nc_u32_e32 v9, 28, v8
	v_lshlrev_b64_e32 v[14:15], v9, v[26:27]
	s_delay_alu instid0(VALU_DEP_1)
	v_dual_sub_nc_u32 v8, 29, v8 :: v_dual_bitop2_b32 v26, 7, v14 bitop3:0x40
; %bb.1247:                             ;   in Loop: Header=BB230_10 Depth=1
	s_or_b32 exec_lo, exec_lo, s16
	s_delay_alu instid0(VALU_DEP_1) | instskip(NEXT) | instid1(VALU_DEP_2)
	v_dual_lshlrev_b32 v3, 24, v3 :: v_dual_lshlrev_b32 v9, 20, v26
	v_lshl_add_u32 v8, v8, 23, 0x3c000000
	s_delay_alu instid0(VALU_DEP_2) | instskip(NEXT) | instid1(VALU_DEP_1)
	v_and_b32_e32 v3, 0x80000000, v3
	v_or3_b32 v26, v9, v3, v8
	v_mov_b32_e32 v3, v27
	scratch_store_b64 off, v[2:3], s32 offset:192 ; 8-byte Folded Spill
.LBB230_1248:                           ;   in Loop: Header=BB230_10 Depth=1
	s_wait_xcnt 0x0
	s_or_b32 exec_lo, exec_lo, s11
.LBB230_1249:                           ;   in Loop: Header=BB230_10 Depth=1
	s_delay_alu instid0(SALU_CYCLE_1)
	s_or_b32 exec_lo, exec_lo, s9
.LBB230_1250:                           ;   in Loop: Header=BB230_10 Depth=1
	s_delay_alu instid0(SALU_CYCLE_1) | instskip(NEXT) | instid1(SALU_CYCLE_1)
	s_or_b32 exec_lo, exec_lo, s8
	s_mov_b32 s8, exec_lo
	v_cmpx_lt_u32_e32 0xffffff, v2
	s_cbranch_execz .LBB230_1258
; %bb.1251:                             ;   in Loop: Header=BB230_10 Depth=1
	v_mov_b64_e32 v[96:97], 0x8000000000000000
	v_lshrrev_b32_e32 v3, 24, v2
	s_mov_b32 s9, exec_lo
	s_delay_alu instid0(VALU_DEP_1)
	v_cmpx_ne_u32_e32 0x80, v3
	s_cbranch_execz .LBB230_1257
; %bb.1252:                             ;   in Loop: Header=BB230_10 Depth=1
	v_mov_b64_e32 v[96:97], 0x7f80000100000000
	v_bfe_u32 v8, v2, 24, 7
	s_mov_b32 s11, exec_lo
	s_delay_alu instid0(VALU_DEP_1)
	v_cmpx_ne_u32_e32 0x7f, v8
	s_cbranch_execz .LBB230_1256
; %bb.1253:                             ;   in Loop: Header=BB230_10 Depth=1
	scratch_load_b64 v[12:13], off, s32 offset:192 th:TH_LOAD_LU ; 8-byte Folded Reload
	s_wait_loadcnt 0x0
	v_dual_lshrrev_b32 v2, 3, v8 :: v_dual_bitop2_b32 v12, 7, v3 bitop3:0x40
	s_mov_b32 s16, exec_lo
	s_wait_xcnt 0x0
	v_cmpx_gt_u32_e32 8, v8
; %bb.1254:                             ;   in Loop: Header=BB230_10 Depth=1
	s_delay_alu instid0(VALU_DEP_2) | instskip(NEXT) | instid1(VALU_DEP_1)
	v_clz_i32_u32_e32 v2, v12
	v_min_u32_e32 v2, 32, v2
	s_delay_alu instid0(VALU_DEP_1) | instskip(NEXT) | instid1(VALU_DEP_1)
	v_subrev_nc_u32_e32 v8, 28, v2
	v_lshlrev_b64_e32 v[8:9], v8, v[12:13]
	s_delay_alu instid0(VALU_DEP_1)
	v_dual_sub_nc_u32 v2, 29, v2 :: v_dual_bitop2_b32 v12, 7, v8 bitop3:0x40
; %bb.1255:                             ;   in Loop: Header=BB230_10 Depth=1
	s_or_b32 exec_lo, exec_lo, s16
	s_delay_alu instid0(VALU_DEP_1) | instskip(NEXT) | instid1(VALU_DEP_2)
	v_dual_lshlrev_b32 v3, 24, v3 :: v_dual_lshlrev_b32 v8, 20, v12
	v_lshl_add_u32 v2, v2, 23, 0x3c000000
	v_mov_b32_e32 v96, v13
	s_delay_alu instid0(VALU_DEP_3) | instskip(NEXT) | instid1(VALU_DEP_1)
	v_and_b32_e32 v3, 0x80000000, v3
	v_or3_b32 v97, v8, v3, v2
	v_mov_b32_e32 v3, v13
	scratch_store_b64 off, v[2:3], s32 offset:192 ; 8-byte Folded Spill
.LBB230_1256:                           ;   in Loop: Header=BB230_10 Depth=1
	s_wait_xcnt 0x0
	s_or_b32 exec_lo, exec_lo, s11
.LBB230_1257:                           ;   in Loop: Header=BB230_10 Depth=1
	s_delay_alu instid0(SALU_CYCLE_1)
	s_or_b32 exec_lo, exec_lo, s9
.LBB230_1258:                           ;   in Loop: Header=BB230_10 Depth=1
	s_delay_alu instid0(SALU_CYCLE_1)
	s_or_b32 exec_lo, exec_lo, s8
	flat_load_b32 v2, v[92:93] offset:4620
	v_mov_b64_e32 v[24:25], 0
	v_mov_b64_e32 v[12:13], 0
	s_mov_b32 s8, exec_lo
	s_wait_loadcnt_dscnt 0x0
	v_and_b32_e32 v3, 0xff, v2
	s_wait_xcnt 0x0
	s_delay_alu instid0(VALU_DEP_1)
	v_cmpx_ne_u16_e32 0, v3
	s_cbranch_execz .LBB230_1266
; %bb.1259:                             ;   in Loop: Header=BB230_10 Depth=1
	v_mov_b64_e32 v[12:13], 0x80000000
	s_mov_b32 s9, exec_lo
	v_cmpx_ne_u16_e32 0x80, v3
	s_cbranch_execz .LBB230_1265
; %bb.1260:                             ;   in Loop: Header=BB230_10 Depth=1
	v_mov_b64_e32 v[12:13], 0x7f800001
	v_and_b32_e32 v8, 0x7f, v2
	s_mov_b32 s11, exec_lo
	s_delay_alu instid0(VALU_DEP_1)
	v_cmpx_ne_u32_e32 0x7f, v8
	s_cbranch_execz .LBB230_1264
; %bb.1261:                             ;   in Loop: Header=BB230_10 Depth=1
	scratch_load_b64 v[12:13], off, s32 offset:192 th:TH_LOAD_LU ; 8-byte Folded Reload
	s_wait_loadcnt 0x0
	v_dual_lshrrev_b32 v3, 3, v8 :: v_dual_bitop2_b32 v12, 7, v2 bitop3:0x40
	s_mov_b32 s16, exec_lo
	s_wait_xcnt 0x0
	v_cmpx_gt_u32_e32 8, v8
; %bb.1262:                             ;   in Loop: Header=BB230_10 Depth=1
	s_delay_alu instid0(VALU_DEP_2) | instskip(NEXT) | instid1(VALU_DEP_1)
	v_clz_i32_u32_e32 v3, v12
	v_min_u32_e32 v3, 32, v3
	s_delay_alu instid0(VALU_DEP_1) | instskip(NEXT) | instid1(VALU_DEP_1)
	v_subrev_nc_u32_e32 v8, 28, v3
	v_lshlrev_b64_e32 v[8:9], v8, v[12:13]
	s_delay_alu instid0(VALU_DEP_1)
	v_dual_sub_nc_u32 v3, 29, v3 :: v_dual_bitop2_b32 v12, 7, v8 bitop3:0x40
; %bb.1263:                             ;   in Loop: Header=BB230_10 Depth=1
	s_or_b32 exec_lo, exec_lo, s16
	s_delay_alu instid0(VALU_DEP_1) | instskip(NEXT) | instid1(VALU_DEP_2)
	v_dual_lshlrev_b32 v8, 24, v2 :: v_dual_lshlrev_b32 v9, 20, v12
	v_lshl_add_u32 v3, v3, 23, 0x3c000000
	s_delay_alu instid0(VALU_DEP_2) | instskip(NEXT) | instid1(VALU_DEP_1)
	v_and_b32_e32 v8, 0x80000000, v8
	v_or3_b32 v12, v9, v8, v3
	v_mov_b32_e32 v3, v13
	scratch_store_b64 off, v[2:3], s32 offset:192 ; 8-byte Folded Spill
.LBB230_1264:                           ;   in Loop: Header=BB230_10 Depth=1
	s_wait_xcnt 0x0
	s_or_b32 exec_lo, exec_lo, s11
.LBB230_1265:                           ;   in Loop: Header=BB230_10 Depth=1
	s_delay_alu instid0(SALU_CYCLE_1)
	s_or_b32 exec_lo, exec_lo, s9
.LBB230_1266:                           ;   in Loop: Header=BB230_10 Depth=1
	s_delay_alu instid0(SALU_CYCLE_1) | instskip(SKIP_2) | instid1(VALU_DEP_1)
	s_or_b32 exec_lo, exec_lo, s8
	v_lshrrev_b16 v3, 8, v2
	s_mov_b32 s8, exec_lo
	v_cmpx_ne_u16_e32 0, v3
	s_cbranch_execz .LBB230_1274
; %bb.1267:                             ;   in Loop: Header=BB230_10 Depth=1
	v_mov_b64_e32 v[24:25], 0x8000000000000000
	s_mov_b32 s9, exec_lo
	v_cmpx_ne_u16_e32 0x80, v3
	s_cbranch_execz .LBB230_1273
; %bb.1268:                             ;   in Loop: Header=BB230_10 Depth=1
	v_and_b32_e32 v3, 0xffff, v3
	v_mov_b64_e32 v[24:25], 0x7f80000100000000
	s_mov_b32 s11, exec_lo
	s_delay_alu instid0(VALU_DEP_2) | instskip(NEXT) | instid1(VALU_DEP_1)
	v_and_b32_e32 v8, 0x7f, v3
	v_cmpx_ne_u32_e32 0x7f, v8
	s_cbranch_execz .LBB230_1272
; %bb.1269:                             ;   in Loop: Header=BB230_10 Depth=1
	scratch_load_b64 v[14:15], off, s32 offset:192 th:TH_LOAD_LU ; 8-byte Folded Reload
	s_wait_loadcnt 0x0
	v_dual_lshrrev_b32 v3, 3, v8 :: v_dual_bitop2_b32 v14, 7, v3 bitop3:0x40
	s_mov_b32 s16, exec_lo
	s_wait_xcnt 0x0
	v_cmpx_gt_u32_e32 8, v8
; %bb.1270:                             ;   in Loop: Header=BB230_10 Depth=1
	s_delay_alu instid0(VALU_DEP_2) | instskip(NEXT) | instid1(VALU_DEP_1)
	v_clz_i32_u32_e32 v3, v14
	v_min_u32_e32 v3, 32, v3
	s_delay_alu instid0(VALU_DEP_1) | instskip(NEXT) | instid1(VALU_DEP_1)
	v_subrev_nc_u32_e32 v8, 28, v3
	v_lshlrev_b64_e32 v[8:9], v8, v[14:15]
	s_delay_alu instid0(VALU_DEP_1)
	v_dual_sub_nc_u32 v3, 29, v3 :: v_dual_bitop2_b32 v14, 7, v8 bitop3:0x40
; %bb.1271:                             ;   in Loop: Header=BB230_10 Depth=1
	s_or_b32 exec_lo, exec_lo, s16
	v_lshlrev_b32_e32 v8, 16, v2
	s_delay_alu instid0(VALU_DEP_2) | instskip(NEXT) | instid1(VALU_DEP_3)
	v_dual_mov_b32 v24, v15 :: v_dual_lshlrev_b32 v9, 20, v14
	v_lshl_add_u32 v3, v3, 23, 0x3c000000
	s_delay_alu instid0(VALU_DEP_3) | instskip(NEXT) | instid1(VALU_DEP_1)
	v_and_b32_e32 v8, 0x80000000, v8
	v_or3_b32 v25, v9, v8, v3
	v_mov_b32_e32 v3, v15
	scratch_store_b64 off, v[2:3], s32 offset:192 ; 8-byte Folded Spill
.LBB230_1272:                           ;   in Loop: Header=BB230_10 Depth=1
	s_wait_xcnt 0x0
	s_or_b32 exec_lo, exec_lo, s11
.LBB230_1273:                           ;   in Loop: Header=BB230_10 Depth=1
	s_delay_alu instid0(SALU_CYCLE_1)
	s_or_b32 exec_lo, exec_lo, s9
.LBB230_1274:                           ;   in Loop: Header=BB230_10 Depth=1
	s_delay_alu instid0(SALU_CYCLE_1) | instskip(SKIP_4) | instid1(VALU_DEP_3)
	s_or_b32 exec_lo, exec_lo, s8
	v_lshrrev_b32_e32 v3, 16, v2
	v_mov_b64_e32 v[48:49], 0
	v_mov_b64_e32 v[8:9], 0
	s_mov_b32 s8, exec_lo
	v_and_b32_e32 v14, 0xff, v3
	s_delay_alu instid0(VALU_DEP_1)
	v_cmpx_ne_u16_e32 0, v14
	s_cbranch_execz .LBB230_1282
; %bb.1275:                             ;   in Loop: Header=BB230_10 Depth=1
	v_mov_b64_e32 v[8:9], 0x80000000
	s_mov_b32 s9, exec_lo
	v_cmpx_ne_u16_e32 0x80, v14
	s_cbranch_execz .LBB230_1281
; %bb.1276:                             ;   in Loop: Header=BB230_10 Depth=1
	v_mov_b64_e32 v[8:9], 0x7f800001
	v_bfe_u32 v14, v2, 16, 7
	s_mov_b32 s11, exec_lo
	s_delay_alu instid0(VALU_DEP_1)
	v_cmpx_ne_u32_e32 0x7f, v14
	s_cbranch_execz .LBB230_1280
; %bb.1277:                             ;   in Loop: Header=BB230_10 Depth=1
	scratch_load_b64 v[22:23], off, s32 offset:192 th:TH_LOAD_LU ; 8-byte Folded Reload
	s_wait_loadcnt 0x0
	v_dual_lshrrev_b32 v8, 3, v14 :: v_dual_bitop2_b32 v22, 7, v3 bitop3:0x40
	s_mov_b32 s16, exec_lo
	s_wait_xcnt 0x0
	v_cmpx_gt_u32_e32 8, v14
; %bb.1278:                             ;   in Loop: Header=BB230_10 Depth=1
	s_delay_alu instid0(VALU_DEP_2) | instskip(NEXT) | instid1(VALU_DEP_1)
	v_clz_i32_u32_e32 v8, v22
	v_min_u32_e32 v8, 32, v8
	s_delay_alu instid0(VALU_DEP_1) | instskip(NEXT) | instid1(VALU_DEP_1)
	v_subrev_nc_u32_e32 v9, 28, v8
	v_lshlrev_b64_e32 v[14:15], v9, v[22:23]
	s_delay_alu instid0(VALU_DEP_1)
	v_dual_sub_nc_u32 v8, 29, v8 :: v_dual_bitop2_b32 v22, 7, v14 bitop3:0x40
; %bb.1279:                             ;   in Loop: Header=BB230_10 Depth=1
	s_or_b32 exec_lo, exec_lo, s16
	s_delay_alu instid0(VALU_DEP_1) | instskip(NEXT) | instid1(VALU_DEP_2)
	v_dual_lshlrev_b32 v3, 24, v3 :: v_dual_lshlrev_b32 v9, 20, v22
	v_lshl_add_u32 v8, v8, 23, 0x3c000000
	s_delay_alu instid0(VALU_DEP_2) | instskip(NEXT) | instid1(VALU_DEP_1)
	v_and_b32_e32 v3, 0x80000000, v3
	v_or3_b32 v22, v9, v3, v8
	v_mov_b32_e32 v3, v23
	s_delay_alu instid0(VALU_DEP_2)
	v_mov_b64_e32 v[8:9], v[22:23]
	scratch_store_b64 off, v[2:3], s32 offset:192 ; 8-byte Folded Spill
.LBB230_1280:                           ;   in Loop: Header=BB230_10 Depth=1
	s_wait_xcnt 0x0
	s_or_b32 exec_lo, exec_lo, s11
.LBB230_1281:                           ;   in Loop: Header=BB230_10 Depth=1
	s_delay_alu instid0(SALU_CYCLE_1)
	s_or_b32 exec_lo, exec_lo, s9
.LBB230_1282:                           ;   in Loop: Header=BB230_10 Depth=1
	s_delay_alu instid0(SALU_CYCLE_1) | instskip(NEXT) | instid1(SALU_CYCLE_1)
	s_or_b32 exec_lo, exec_lo, s8
	s_mov_b32 s8, exec_lo
	v_cmpx_lt_u32_e32 0xffffff, v2
	s_cbranch_execz .LBB230_1290
; %bb.1283:                             ;   in Loop: Header=BB230_10 Depth=1
	v_mov_b64_e32 v[48:49], 0x8000000000000000
	v_lshrrev_b32_e32 v3, 24, v2
	s_mov_b32 s9, exec_lo
	s_delay_alu instid0(VALU_DEP_1)
	v_cmpx_ne_u32_e32 0x80, v3
	s_cbranch_execz .LBB230_1289
; %bb.1284:                             ;   in Loop: Header=BB230_10 Depth=1
	v_mov_b64_e32 v[48:49], 0x7f80000100000000
	v_bfe_u32 v14, v2, 24, 7
	s_mov_b32 s11, exec_lo
	s_delay_alu instid0(VALU_DEP_1)
	v_cmpx_ne_u32_e32 0x7f, v14
	s_cbranch_execz .LBB230_1288
; %bb.1285:                             ;   in Loop: Header=BB230_10 Depth=1
	scratch_load_b64 v[22:23], off, s32 offset:192 th:TH_LOAD_LU ; 8-byte Folded Reload
	s_wait_loadcnt 0x0
	v_dual_lshrrev_b32 v2, 3, v14 :: v_dual_bitop2_b32 v22, 7, v3 bitop3:0x40
	s_mov_b32 s16, exec_lo
	s_wait_xcnt 0x0
	v_cmpx_gt_u32_e32 8, v14
; %bb.1286:                             ;   in Loop: Header=BB230_10 Depth=1
	s_delay_alu instid0(VALU_DEP_2) | instskip(NEXT) | instid1(VALU_DEP_1)
	v_clz_i32_u32_e32 v2, v22
	v_min_u32_e32 v2, 32, v2
	s_delay_alu instid0(VALU_DEP_1) | instskip(SKIP_1) | instid1(VALU_DEP_2)
	v_subrev_nc_u32_e32 v14, 28, v2
	v_sub_nc_u32_e32 v2, 29, v2
	v_lshlrev_b64_e32 v[14:15], v14, v[22:23]
	s_delay_alu instid0(VALU_DEP_1)
	v_and_b32_e32 v22, 7, v14
; %bb.1287:                             ;   in Loop: Header=BB230_10 Depth=1
	s_or_b32 exec_lo, exec_lo, s16
	s_delay_alu instid0(VALU_DEP_1) | instskip(SKIP_2) | instid1(VALU_DEP_3)
	v_dual_lshlrev_b32 v3, 24, v3 :: v_dual_lshlrev_b32 v14, 20, v22
	v_lshl_add_u32 v2, v2, 23, 0x3c000000
	v_mov_b32_e32 v48, v23
	v_and_b32_e32 v3, 0x80000000, v3
	s_delay_alu instid0(VALU_DEP_1)
	v_or3_b32 v49, v14, v3, v2
	v_mov_b32_e32 v3, v23
	scratch_store_b64 off, v[2:3], s32 offset:192 ; 8-byte Folded Spill
.LBB230_1288:                           ;   in Loop: Header=BB230_10 Depth=1
	s_wait_xcnt 0x0
	s_or_b32 exec_lo, exec_lo, s11
.LBB230_1289:                           ;   in Loop: Header=BB230_10 Depth=1
	s_delay_alu instid0(SALU_CYCLE_1)
	s_or_b32 exec_lo, exec_lo, s9
.LBB230_1290:                           ;   in Loop: Header=BB230_10 Depth=1
	s_delay_alu instid0(SALU_CYCLE_1)
	s_or_b32 exec_lo, exec_lo, s8
	flat_load_b32 v2, v[92:93] offset:5120
	v_mov_b64_e32 v[100:101], 0
	v_mov_b64_e32 v[30:31], 0
	s_mov_b32 s8, exec_lo
	s_wait_loadcnt_dscnt 0x0
	v_and_b32_e32 v3, 0xff, v2
	s_wait_xcnt 0x0
	s_delay_alu instid0(VALU_DEP_1)
	v_cmpx_ne_u16_e32 0, v3
	s_cbranch_execz .LBB230_1298
; %bb.1291:                             ;   in Loop: Header=BB230_10 Depth=1
	v_mov_b64_e32 v[30:31], 0x80000000
	s_mov_b32 s9, exec_lo
	v_cmpx_ne_u16_e32 0x80, v3
	s_cbranch_execz .LBB230_1297
; %bb.1292:                             ;   in Loop: Header=BB230_10 Depth=1
	v_mov_b64_e32 v[30:31], 0x7f800001
	v_and_b32_e32 v14, 0x7f, v2
	s_mov_b32 s11, exec_lo
	s_delay_alu instid0(VALU_DEP_1)
	v_cmpx_ne_u32_e32 0x7f, v14
	s_cbranch_execz .LBB230_1296
; %bb.1293:                             ;   in Loop: Header=BB230_10 Depth=1
	scratch_load_b64 v[30:31], off, s32 offset:192 th:TH_LOAD_LU ; 8-byte Folded Reload
	s_wait_loadcnt 0x0
	v_and_b32_e32 v30, 7, v2
	v_lshrrev_b32_e32 v3, 3, v14
	s_mov_b32 s16, exec_lo
	s_wait_xcnt 0x0
	v_cmpx_gt_u32_e32 8, v14
; %bb.1294:                             ;   in Loop: Header=BB230_10 Depth=1
	v_clz_i32_u32_e32 v3, v30
	s_delay_alu instid0(VALU_DEP_1) | instskip(NEXT) | instid1(VALU_DEP_1)
	v_min_u32_e32 v3, 32, v3
	v_subrev_nc_u32_e32 v14, 28, v3
	s_delay_alu instid0(VALU_DEP_1) | instskip(NEXT) | instid1(VALU_DEP_1)
	v_lshlrev_b64_e32 v[14:15], v14, v[30:31]
	v_dual_sub_nc_u32 v3, 29, v3 :: v_dual_bitop2_b32 v30, 7, v14 bitop3:0x40
; %bb.1295:                             ;   in Loop: Header=BB230_10 Depth=1
	s_or_b32 exec_lo, exec_lo, s16
	v_lshlrev_b32_e32 v14, 24, v2
	s_delay_alu instid0(VALU_DEP_2) | instskip(NEXT) | instid1(VALU_DEP_3)
	v_lshlrev_b32_e32 v15, 20, v30
	v_lshl_add_u32 v3, v3, 23, 0x3c000000
	s_delay_alu instid0(VALU_DEP_3) | instskip(NEXT) | instid1(VALU_DEP_1)
	v_and_b32_e32 v14, 0x80000000, v14
	v_or3_b32 v30, v15, v14, v3
	v_mov_b32_e32 v3, v31
	scratch_store_b64 off, v[2:3], s32 offset:192 ; 8-byte Folded Spill
.LBB230_1296:                           ;   in Loop: Header=BB230_10 Depth=1
	s_wait_xcnt 0x0
	s_or_b32 exec_lo, exec_lo, s11
.LBB230_1297:                           ;   in Loop: Header=BB230_10 Depth=1
	s_delay_alu instid0(SALU_CYCLE_1)
	s_or_b32 exec_lo, exec_lo, s9
.LBB230_1298:                           ;   in Loop: Header=BB230_10 Depth=1
	s_delay_alu instid0(SALU_CYCLE_1) | instskip(SKIP_2) | instid1(VALU_DEP_1)
	s_or_b32 exec_lo, exec_lo, s8
	v_lshrrev_b16 v3, 8, v2
	s_mov_b32 s8, exec_lo
	v_cmpx_ne_u16_e32 0, v3
	s_cbranch_execz .LBB230_1306
; %bb.1299:                             ;   in Loop: Header=BB230_10 Depth=1
	v_mov_b64_e32 v[100:101], 0x8000000000000000
	s_mov_b32 s9, exec_lo
	v_cmpx_ne_u16_e32 0x80, v3
	s_cbranch_execz .LBB230_1305
; %bb.1300:                             ;   in Loop: Header=BB230_10 Depth=1
	v_and_b32_e32 v3, 0xffff, v3
	v_mov_b64_e32 v[100:101], 0x7f80000100000000
	s_mov_b32 s11, exec_lo
	s_delay_alu instid0(VALU_DEP_2) | instskip(NEXT) | instid1(VALU_DEP_1)
	v_and_b32_e32 v14, 0x7f, v3
	v_cmpx_ne_u32_e32 0x7f, v14
	s_cbranch_execz .LBB230_1304
; %bb.1301:                             ;   in Loop: Header=BB230_10 Depth=1
	scratch_load_b64 v[22:23], off, s32 offset:192 th:TH_LOAD_LU ; 8-byte Folded Reload
	s_wait_loadcnt 0x0
	v_dual_lshrrev_b32 v3, 3, v14 :: v_dual_bitop2_b32 v22, 7, v3 bitop3:0x40
	s_mov_b32 s16, exec_lo
	s_wait_xcnt 0x0
	v_cmpx_gt_u32_e32 8, v14
; %bb.1302:                             ;   in Loop: Header=BB230_10 Depth=1
	s_delay_alu instid0(VALU_DEP_2) | instskip(NEXT) | instid1(VALU_DEP_1)
	v_clz_i32_u32_e32 v3, v22
	v_min_u32_e32 v3, 32, v3
	s_delay_alu instid0(VALU_DEP_1) | instskip(NEXT) | instid1(VALU_DEP_1)
	v_subrev_nc_u32_e32 v14, 28, v3
	v_lshlrev_b64_e32 v[14:15], v14, v[22:23]
	s_delay_alu instid0(VALU_DEP_1)
	v_dual_sub_nc_u32 v3, 29, v3 :: v_dual_bitop2_b32 v22, 7, v14 bitop3:0x40
; %bb.1303:                             ;   in Loop: Header=BB230_10 Depth=1
	s_or_b32 exec_lo, exec_lo, s16
	v_lshlrev_b32_e32 v14, 16, v2
	s_delay_alu instid0(VALU_DEP_2) | instskip(NEXT) | instid1(VALU_DEP_3)
	v_dual_mov_b32 v100, v23 :: v_dual_lshlrev_b32 v15, 20, v22
	v_lshl_add_u32 v3, v3, 23, 0x3c000000
	s_delay_alu instid0(VALU_DEP_3) | instskip(NEXT) | instid1(VALU_DEP_1)
	v_and_b32_e32 v14, 0x80000000, v14
	v_or3_b32 v101, v15, v14, v3
	v_mov_b32_e32 v3, v23
	scratch_store_b64 off, v[2:3], s32 offset:192 ; 8-byte Folded Spill
.LBB230_1304:                           ;   in Loop: Header=BB230_10 Depth=1
	s_wait_xcnt 0x0
	s_or_b32 exec_lo, exec_lo, s11
.LBB230_1305:                           ;   in Loop: Header=BB230_10 Depth=1
	s_delay_alu instid0(SALU_CYCLE_1)
	s_or_b32 exec_lo, exec_lo, s9
.LBB230_1306:                           ;   in Loop: Header=BB230_10 Depth=1
	s_delay_alu instid0(SALU_CYCLE_1) | instskip(SKIP_4) | instid1(VALU_DEP_3)
	s_or_b32 exec_lo, exec_lo, s8
	v_lshrrev_b32_e32 v3, 16, v2
	v_mov_b64_e32 v[52:53], 0
	v_mov_b64_e32 v[68:69], 0
	s_mov_b32 s8, exec_lo
	v_and_b32_e32 v14, 0xff, v3
	s_delay_alu instid0(VALU_DEP_1)
	v_cmpx_ne_u16_e32 0, v14
	s_cbranch_execz .LBB230_1314
; %bb.1307:                             ;   in Loop: Header=BB230_10 Depth=1
	v_mov_b64_e32 v[68:69], 0x80000000
	s_mov_b32 s9, exec_lo
	v_cmpx_ne_u16_e32 0x80, v14
	s_cbranch_execz .LBB230_1313
; %bb.1308:                             ;   in Loop: Header=BB230_10 Depth=1
	v_mov_b64_e32 v[68:69], 0x7f800001
	v_bfe_u32 v15, v2, 16, 7
	s_mov_b32 s11, exec_lo
	s_delay_alu instid0(VALU_DEP_1)
	v_cmpx_ne_u32_e32 0x7f, v15
	s_cbranch_execz .LBB230_1312
; %bb.1309:                             ;   in Loop: Header=BB230_10 Depth=1
	scratch_load_b64 v[68:69], off, s32 offset:192 th:TH_LOAD_LU ; 8-byte Folded Reload
	s_wait_loadcnt 0x0
	v_and_b32_e32 v68, 7, v3
	v_lshrrev_b32_e32 v14, 3, v15
	s_mov_b32 s16, exec_lo
	s_wait_xcnt 0x0
	v_cmpx_gt_u32_e32 8, v15
; %bb.1310:                             ;   in Loop: Header=BB230_10 Depth=1
	v_clz_i32_u32_e32 v14, v68
	s_delay_alu instid0(VALU_DEP_1) | instskip(NEXT) | instid1(VALU_DEP_1)
	v_min_u32_e32 v14, 32, v14
	v_subrev_nc_u32_e32 v15, 28, v14
	v_sub_nc_u32_e32 v14, 29, v14
	s_delay_alu instid0(VALU_DEP_2) | instskip(NEXT) | instid1(VALU_DEP_1)
	v_lshlrev_b64_e32 v[54:55], v15, v[68:69]
	v_and_b32_e32 v68, 7, v54
; %bb.1311:                             ;   in Loop: Header=BB230_10 Depth=1
	s_or_b32 exec_lo, exec_lo, s16
	s_delay_alu instid0(VALU_DEP_1) | instskip(SKIP_1) | instid1(VALU_DEP_2)
	v_dual_lshlrev_b32 v3, 24, v3 :: v_dual_lshlrev_b32 v15, 20, v68
	v_lshl_add_u32 v14, v14, 23, 0x3c000000
	v_and_b32_e32 v3, 0x80000000, v3
	s_delay_alu instid0(VALU_DEP_1)
	v_or3_b32 v68, v15, v3, v14
	v_mov_b32_e32 v3, v69
	scratch_store_b64 off, v[2:3], s32 offset:192 ; 8-byte Folded Spill
.LBB230_1312:                           ;   in Loop: Header=BB230_10 Depth=1
	s_wait_xcnt 0x0
	s_or_b32 exec_lo, exec_lo, s11
.LBB230_1313:                           ;   in Loop: Header=BB230_10 Depth=1
	s_delay_alu instid0(SALU_CYCLE_1)
	s_or_b32 exec_lo, exec_lo, s9
.LBB230_1314:                           ;   in Loop: Header=BB230_10 Depth=1
	s_delay_alu instid0(SALU_CYCLE_1) | instskip(NEXT) | instid1(SALU_CYCLE_1)
	s_or_b32 exec_lo, exec_lo, s8
	s_mov_b32 s8, exec_lo
	v_cmpx_lt_u32_e32 0xffffff, v2
	s_cbranch_execz .LBB230_1322
; %bb.1315:                             ;   in Loop: Header=BB230_10 Depth=1
	v_mov_b64_e32 v[52:53], 0x8000000000000000
	v_lshrrev_b32_e32 v3, 24, v2
	s_mov_b32 s9, exec_lo
	s_delay_alu instid0(VALU_DEP_1)
	v_cmpx_ne_u32_e32 0x80, v3
	s_cbranch_execz .LBB230_1321
; %bb.1316:                             ;   in Loop: Header=BB230_10 Depth=1
	v_mov_b64_e32 v[52:53], 0x7f80000100000000
	v_bfe_u32 v14, v2, 24, 7
	s_mov_b32 s11, exec_lo
	s_delay_alu instid0(VALU_DEP_1)
	v_cmpx_ne_u32_e32 0x7f, v14
	s_cbranch_execz .LBB230_1320
; %bb.1317:                             ;   in Loop: Header=BB230_10 Depth=1
	scratch_load_b64 v[22:23], off, s32 offset:192 th:TH_LOAD_LU ; 8-byte Folded Reload
	s_wait_loadcnt 0x0
	v_dual_lshrrev_b32 v2, 3, v14 :: v_dual_bitop2_b32 v22, 7, v3 bitop3:0x40
	s_mov_b32 s16, exec_lo
	s_wait_xcnt 0x0
	v_cmpx_gt_u32_e32 8, v14
; %bb.1318:                             ;   in Loop: Header=BB230_10 Depth=1
	s_delay_alu instid0(VALU_DEP_2) | instskip(NEXT) | instid1(VALU_DEP_1)
	v_clz_i32_u32_e32 v2, v22
	v_min_u32_e32 v2, 32, v2
	s_delay_alu instid0(VALU_DEP_1) | instskip(SKIP_1) | instid1(VALU_DEP_2)
	v_subrev_nc_u32_e32 v14, 28, v2
	v_sub_nc_u32_e32 v2, 29, v2
	v_lshlrev_b64_e32 v[14:15], v14, v[22:23]
	s_delay_alu instid0(VALU_DEP_1)
	v_and_b32_e32 v22, 7, v14
; %bb.1319:                             ;   in Loop: Header=BB230_10 Depth=1
	s_or_b32 exec_lo, exec_lo, s16
	s_delay_alu instid0(VALU_DEP_1) | instskip(SKIP_2) | instid1(VALU_DEP_3)
	v_dual_lshlrev_b32 v3, 24, v3 :: v_dual_lshlrev_b32 v14, 20, v22
	v_lshl_add_u32 v2, v2, 23, 0x3c000000
	v_mov_b32_e32 v52, v23
	v_and_b32_e32 v3, 0x80000000, v3
	s_delay_alu instid0(VALU_DEP_1)
	v_or3_b32 v53, v14, v3, v2
	v_mov_b32_e32 v3, v23
	scratch_store_b64 off, v[2:3], s32 offset:192 ; 8-byte Folded Spill
.LBB230_1320:                           ;   in Loop: Header=BB230_10 Depth=1
	s_wait_xcnt 0x0
	s_or_b32 exec_lo, exec_lo, s11
.LBB230_1321:                           ;   in Loop: Header=BB230_10 Depth=1
	s_delay_alu instid0(SALU_CYCLE_1)
	s_or_b32 exec_lo, exec_lo, s9
.LBB230_1322:                           ;   in Loop: Header=BB230_10 Depth=1
	s_delay_alu instid0(SALU_CYCLE_1)
	s_or_b32 exec_lo, exec_lo, s8
	flat_load_b32 v2, v[92:93] offset:5124
	v_mov_b64_e32 v[116:117], 0
	v_mov_b64_e32 v[80:81], 0
	s_mov_b32 s8, exec_lo
	s_wait_loadcnt_dscnt 0x0
	v_and_b32_e32 v3, 0xff, v2
	s_wait_xcnt 0x0
	s_delay_alu instid0(VALU_DEP_1)
	v_cmpx_ne_u16_e32 0, v3
	s_cbranch_execz .LBB230_1330
; %bb.1323:                             ;   in Loop: Header=BB230_10 Depth=1
	v_mov_b64_e32 v[80:81], 0x80000000
	s_mov_b32 s9, exec_lo
	v_cmpx_ne_u16_e32 0x80, v3
	s_cbranch_execz .LBB230_1329
; %bb.1324:                             ;   in Loop: Header=BB230_10 Depth=1
	v_mov_b64_e32 v[80:81], 0x7f800001
	v_and_b32_e32 v14, 0x7f, v2
	s_mov_b32 s11, exec_lo
	s_delay_alu instid0(VALU_DEP_1)
	v_cmpx_ne_u32_e32 0x7f, v14
	s_cbranch_execz .LBB230_1328
; %bb.1325:                             ;   in Loop: Header=BB230_10 Depth=1
	scratch_load_b64 v[80:81], off, s32 offset:192 th:TH_LOAD_LU ; 8-byte Folded Reload
	s_wait_loadcnt 0x0
	v_and_b32_e32 v80, 7, v2
	v_lshrrev_b32_e32 v3, 3, v14
	s_mov_b32 s16, exec_lo
	s_wait_xcnt 0x0
	v_cmpx_gt_u32_e32 8, v14
; %bb.1326:                             ;   in Loop: Header=BB230_10 Depth=1
	v_clz_i32_u32_e32 v3, v80
	s_delay_alu instid0(VALU_DEP_1) | instskip(NEXT) | instid1(VALU_DEP_1)
	v_min_u32_e32 v3, 32, v3
	v_subrev_nc_u32_e32 v14, 28, v3
	s_delay_alu instid0(VALU_DEP_1) | instskip(NEXT) | instid1(VALU_DEP_1)
	v_lshlrev_b64_e32 v[14:15], v14, v[80:81]
	v_dual_sub_nc_u32 v3, 29, v3 :: v_dual_bitop2_b32 v80, 7, v14 bitop3:0x40
; %bb.1327:                             ;   in Loop: Header=BB230_10 Depth=1
	s_or_b32 exec_lo, exec_lo, s16
	s_delay_alu instid0(VALU_DEP_1) | instskip(NEXT) | instid1(VALU_DEP_2)
	v_dual_lshlrev_b32 v14, 24, v2 :: v_dual_lshlrev_b32 v15, 20, v80
	v_lshl_add_u32 v3, v3, 23, 0x3c000000
	s_delay_alu instid0(VALU_DEP_2) | instskip(NEXT) | instid1(VALU_DEP_1)
	v_and_b32_e32 v14, 0x80000000, v14
	v_or3_b32 v80, v15, v14, v3
	v_mov_b32_e32 v3, v81
	scratch_store_b64 off, v[2:3], s32 offset:192 ; 8-byte Folded Spill
.LBB230_1328:                           ;   in Loop: Header=BB230_10 Depth=1
	s_wait_xcnt 0x0
	s_or_b32 exec_lo, exec_lo, s11
.LBB230_1329:                           ;   in Loop: Header=BB230_10 Depth=1
	s_delay_alu instid0(SALU_CYCLE_1)
	s_or_b32 exec_lo, exec_lo, s9
.LBB230_1330:                           ;   in Loop: Header=BB230_10 Depth=1
	s_delay_alu instid0(SALU_CYCLE_1) | instskip(SKIP_2) | instid1(VALU_DEP_1)
	s_or_b32 exec_lo, exec_lo, s8
	v_lshrrev_b16 v3, 8, v2
	s_mov_b32 s8, exec_lo
	v_cmpx_ne_u16_e32 0, v3
	s_cbranch_execz .LBB230_1338
; %bb.1331:                             ;   in Loop: Header=BB230_10 Depth=1
	v_mov_b64_e32 v[116:117], 0x8000000000000000
	s_mov_b32 s9, exec_lo
	v_cmpx_ne_u16_e32 0x80, v3
	s_cbranch_execz .LBB230_1337
; %bb.1332:                             ;   in Loop: Header=BB230_10 Depth=1
	v_and_b32_e32 v3, 0xffff, v3
	v_mov_b64_e32 v[116:117], 0x7f80000100000000
	s_mov_b32 s11, exec_lo
	s_delay_alu instid0(VALU_DEP_2) | instskip(NEXT) | instid1(VALU_DEP_1)
	v_and_b32_e32 v14, 0x7f, v3
	v_cmpx_ne_u32_e32 0x7f, v14
	s_cbranch_execz .LBB230_1336
; %bb.1333:                             ;   in Loop: Header=BB230_10 Depth=1
	scratch_load_b64 v[22:23], off, s32 offset:192 th:TH_LOAD_LU ; 8-byte Folded Reload
	s_wait_loadcnt 0x0
	v_dual_lshrrev_b32 v3, 3, v14 :: v_dual_bitop2_b32 v22, 7, v3 bitop3:0x40
	s_mov_b32 s16, exec_lo
	s_wait_xcnt 0x0
	v_cmpx_gt_u32_e32 8, v14
; %bb.1334:                             ;   in Loop: Header=BB230_10 Depth=1
	s_delay_alu instid0(VALU_DEP_2) | instskip(NEXT) | instid1(VALU_DEP_1)
	v_clz_i32_u32_e32 v3, v22
	v_min_u32_e32 v3, 32, v3
	s_delay_alu instid0(VALU_DEP_1) | instskip(NEXT) | instid1(VALU_DEP_1)
	v_subrev_nc_u32_e32 v14, 28, v3
	v_lshlrev_b64_e32 v[14:15], v14, v[22:23]
	s_delay_alu instid0(VALU_DEP_1)
	v_dual_sub_nc_u32 v3, 29, v3 :: v_dual_bitop2_b32 v22, 7, v14 bitop3:0x40
; %bb.1335:                             ;   in Loop: Header=BB230_10 Depth=1
	s_or_b32 exec_lo, exec_lo, s16
	v_lshlrev_b32_e32 v14, 16, v2
	s_delay_alu instid0(VALU_DEP_2) | instskip(NEXT) | instid1(VALU_DEP_3)
	v_dual_mov_b32 v116, v23 :: v_dual_lshlrev_b32 v15, 20, v22
	v_lshl_add_u32 v3, v3, 23, 0x3c000000
	s_delay_alu instid0(VALU_DEP_3) | instskip(NEXT) | instid1(VALU_DEP_1)
	v_and_b32_e32 v14, 0x80000000, v14
	v_or3_b32 v117, v15, v14, v3
	v_mov_b32_e32 v3, v23
	scratch_store_b64 off, v[2:3], s32 offset:192 ; 8-byte Folded Spill
.LBB230_1336:                           ;   in Loop: Header=BB230_10 Depth=1
	s_wait_xcnt 0x0
	s_or_b32 exec_lo, exec_lo, s11
.LBB230_1337:                           ;   in Loop: Header=BB230_10 Depth=1
	s_delay_alu instid0(SALU_CYCLE_1)
	s_or_b32 exec_lo, exec_lo, s9
.LBB230_1338:                           ;   in Loop: Header=BB230_10 Depth=1
	s_delay_alu instid0(SALU_CYCLE_1) | instskip(SKIP_4) | instid1(VALU_DEP_3)
	s_or_b32 exec_lo, exec_lo, s8
	v_lshrrev_b32_e32 v3, 16, v2
	v_mov_b64_e32 v[66:67], 0
	v_mov_b64_e32 v[84:85], 0
	s_mov_b32 s8, exec_lo
	v_and_b32_e32 v14, 0xff, v3
	s_delay_alu instid0(VALU_DEP_1)
	v_cmpx_ne_u16_e32 0, v14
	s_cbranch_execz .LBB230_1346
; %bb.1339:                             ;   in Loop: Header=BB230_10 Depth=1
	v_mov_b64_e32 v[84:85], 0x80000000
	s_mov_b32 s9, exec_lo
	v_cmpx_ne_u16_e32 0x80, v14
	s_cbranch_execz .LBB230_1345
; %bb.1340:                             ;   in Loop: Header=BB230_10 Depth=1
	v_mov_b64_e32 v[84:85], 0x7f800001
	v_bfe_u32 v15, v2, 16, 7
	s_mov_b32 s11, exec_lo
	s_delay_alu instid0(VALU_DEP_1)
	v_cmpx_ne_u32_e32 0x7f, v15
	s_cbranch_execz .LBB230_1344
; %bb.1341:                             ;   in Loop: Header=BB230_10 Depth=1
	scratch_load_b64 v[84:85], off, s32 offset:192 th:TH_LOAD_LU ; 8-byte Folded Reload
	s_wait_loadcnt 0x0
	v_and_b32_e32 v84, 7, v3
	v_lshrrev_b32_e32 v14, 3, v15
	s_mov_b32 s16, exec_lo
	s_wait_xcnt 0x0
	v_cmpx_gt_u32_e32 8, v15
; %bb.1342:                             ;   in Loop: Header=BB230_10 Depth=1
	v_clz_i32_u32_e32 v14, v84
	s_delay_alu instid0(VALU_DEP_1) | instskip(NEXT) | instid1(VALU_DEP_1)
	v_min_u32_e32 v14, 32, v14
	v_subrev_nc_u32_e32 v15, 28, v14
	v_sub_nc_u32_e32 v14, 29, v14
	s_delay_alu instid0(VALU_DEP_2) | instskip(NEXT) | instid1(VALU_DEP_1)
	v_lshlrev_b64_e32 v[54:55], v15, v[84:85]
	v_and_b32_e32 v84, 7, v54
; %bb.1343:                             ;   in Loop: Header=BB230_10 Depth=1
	s_or_b32 exec_lo, exec_lo, s16
	s_delay_alu instid0(VALU_DEP_1) | instskip(SKIP_1) | instid1(VALU_DEP_2)
	v_dual_lshlrev_b32 v3, 24, v3 :: v_dual_lshlrev_b32 v15, 20, v84
	v_lshl_add_u32 v14, v14, 23, 0x3c000000
	v_and_b32_e32 v3, 0x80000000, v3
	s_delay_alu instid0(VALU_DEP_1)
	v_or3_b32 v84, v15, v3, v14
	v_mov_b32_e32 v3, v85
	scratch_store_b64 off, v[2:3], s32 offset:192 ; 8-byte Folded Spill
.LBB230_1344:                           ;   in Loop: Header=BB230_10 Depth=1
	s_wait_xcnt 0x0
	s_or_b32 exec_lo, exec_lo, s11
.LBB230_1345:                           ;   in Loop: Header=BB230_10 Depth=1
	s_delay_alu instid0(SALU_CYCLE_1)
	s_or_b32 exec_lo, exec_lo, s9
.LBB230_1346:                           ;   in Loop: Header=BB230_10 Depth=1
	s_delay_alu instid0(SALU_CYCLE_1) | instskip(NEXT) | instid1(SALU_CYCLE_1)
	s_or_b32 exec_lo, exec_lo, s8
	s_mov_b32 s8, exec_lo
	v_cmpx_lt_u32_e32 0xffffff, v2
	s_cbranch_execz .LBB230_1354
; %bb.1347:                             ;   in Loop: Header=BB230_10 Depth=1
	v_mov_b64_e32 v[66:67], 0x8000000000000000
	v_lshrrev_b32_e32 v3, 24, v2
	s_mov_b32 s9, exec_lo
	s_delay_alu instid0(VALU_DEP_1)
	v_cmpx_ne_u32_e32 0x80, v3
	s_cbranch_execz .LBB230_1353
; %bb.1348:                             ;   in Loop: Header=BB230_10 Depth=1
	v_mov_b64_e32 v[66:67], 0x7f80000100000000
	v_bfe_u32 v14, v2, 24, 7
	s_mov_b32 s11, exec_lo
	s_delay_alu instid0(VALU_DEP_1)
	v_cmpx_ne_u32_e32 0x7f, v14
	s_cbranch_execz .LBB230_1352
; %bb.1349:                             ;   in Loop: Header=BB230_10 Depth=1
	scratch_load_b64 v[22:23], off, s32 offset:192 th:TH_LOAD_LU ; 8-byte Folded Reload
	s_wait_loadcnt 0x0
	v_dual_lshrrev_b32 v2, 3, v14 :: v_dual_bitop2_b32 v22, 7, v3 bitop3:0x40
	s_mov_b32 s16, exec_lo
	s_wait_xcnt 0x0
	v_cmpx_gt_u32_e32 8, v14
; %bb.1350:                             ;   in Loop: Header=BB230_10 Depth=1
	s_delay_alu instid0(VALU_DEP_2) | instskip(NEXT) | instid1(VALU_DEP_1)
	v_clz_i32_u32_e32 v2, v22
	v_min_u32_e32 v2, 32, v2
	s_delay_alu instid0(VALU_DEP_1) | instskip(SKIP_1) | instid1(VALU_DEP_2)
	v_subrev_nc_u32_e32 v14, 28, v2
	v_sub_nc_u32_e32 v2, 29, v2
	v_lshlrev_b64_e32 v[14:15], v14, v[22:23]
	s_delay_alu instid0(VALU_DEP_1)
	v_and_b32_e32 v22, 7, v14
; %bb.1351:                             ;   in Loop: Header=BB230_10 Depth=1
	s_or_b32 exec_lo, exec_lo, s16
	s_delay_alu instid0(VALU_DEP_1) | instskip(SKIP_2) | instid1(VALU_DEP_3)
	v_dual_lshlrev_b32 v3, 24, v3 :: v_dual_lshlrev_b32 v14, 20, v22
	v_lshl_add_u32 v2, v2, 23, 0x3c000000
	v_mov_b32_e32 v66, v23
	v_and_b32_e32 v3, 0x80000000, v3
	s_delay_alu instid0(VALU_DEP_1)
	v_or3_b32 v67, v14, v3, v2
	v_mov_b32_e32 v3, v23
	scratch_store_b64 off, v[2:3], s32 offset:192 ; 8-byte Folded Spill
.LBB230_1352:                           ;   in Loop: Header=BB230_10 Depth=1
	s_wait_xcnt 0x0
	s_or_b32 exec_lo, exec_lo, s11
.LBB230_1353:                           ;   in Loop: Header=BB230_10 Depth=1
	s_delay_alu instid0(SALU_CYCLE_1)
	s_or_b32 exec_lo, exec_lo, s9
.LBB230_1354:                           ;   in Loop: Header=BB230_10 Depth=1
	s_delay_alu instid0(SALU_CYCLE_1)
	s_or_b32 exec_lo, exec_lo, s8
	flat_load_b32 v2, v[92:93] offset:5128
	v_mov_b64_e32 v[60:61], 0
	v_mov_b64_e32 v[70:71], 0
	s_mov_b32 s8, exec_lo
	s_wait_loadcnt_dscnt 0x0
	v_and_b32_e32 v3, 0xff, v2
	s_wait_xcnt 0x0
	s_delay_alu instid0(VALU_DEP_1)
	v_cmpx_ne_u16_e32 0, v3
	s_cbranch_execz .LBB230_1362
; %bb.1355:                             ;   in Loop: Header=BB230_10 Depth=1
	v_mov_b64_e32 v[70:71], 0x80000000
	s_mov_b32 s9, exec_lo
	v_cmpx_ne_u16_e32 0x80, v3
	s_cbranch_execz .LBB230_1361
; %bb.1356:                             ;   in Loop: Header=BB230_10 Depth=1
	v_mov_b64_e32 v[70:71], 0x7f800001
	v_and_b32_e32 v14, 0x7f, v2
	s_mov_b32 s11, exec_lo
	s_delay_alu instid0(VALU_DEP_1)
	v_cmpx_ne_u32_e32 0x7f, v14
	s_cbranch_execz .LBB230_1360
; %bb.1357:                             ;   in Loop: Header=BB230_10 Depth=1
	scratch_load_b64 v[70:71], off, s32 offset:192 th:TH_LOAD_LU ; 8-byte Folded Reload
	s_wait_loadcnt 0x0
	v_and_b32_e32 v70, 7, v2
	v_lshrrev_b32_e32 v3, 3, v14
	s_mov_b32 s16, exec_lo
	s_wait_xcnt 0x0
	v_cmpx_gt_u32_e32 8, v14
; %bb.1358:                             ;   in Loop: Header=BB230_10 Depth=1
	v_clz_i32_u32_e32 v3, v70
	s_delay_alu instid0(VALU_DEP_1) | instskip(NEXT) | instid1(VALU_DEP_1)
	v_min_u32_e32 v3, 32, v3
	v_subrev_nc_u32_e32 v14, 28, v3
	s_delay_alu instid0(VALU_DEP_1) | instskip(NEXT) | instid1(VALU_DEP_1)
	v_lshlrev_b64_e32 v[14:15], v14, v[70:71]
	v_dual_sub_nc_u32 v3, 29, v3 :: v_dual_bitop2_b32 v70, 7, v14 bitop3:0x40
; %bb.1359:                             ;   in Loop: Header=BB230_10 Depth=1
	s_or_b32 exec_lo, exec_lo, s16
	v_lshlrev_b32_e32 v14, 24, v2
	s_delay_alu instid0(VALU_DEP_2) | instskip(NEXT) | instid1(VALU_DEP_3)
	v_lshlrev_b32_e32 v15, 20, v70
	v_lshl_add_u32 v3, v3, 23, 0x3c000000
	s_delay_alu instid0(VALU_DEP_3) | instskip(NEXT) | instid1(VALU_DEP_1)
	v_and_b32_e32 v14, 0x80000000, v14
	v_or3_b32 v70, v15, v14, v3
	v_mov_b32_e32 v3, v71
	scratch_store_b64 off, v[2:3], s32 offset:192 ; 8-byte Folded Spill
.LBB230_1360:                           ;   in Loop: Header=BB230_10 Depth=1
	s_wait_xcnt 0x0
	s_or_b32 exec_lo, exec_lo, s11
.LBB230_1361:                           ;   in Loop: Header=BB230_10 Depth=1
	s_delay_alu instid0(SALU_CYCLE_1)
	s_or_b32 exec_lo, exec_lo, s9
.LBB230_1362:                           ;   in Loop: Header=BB230_10 Depth=1
	s_delay_alu instid0(SALU_CYCLE_1) | instskip(SKIP_2) | instid1(VALU_DEP_1)
	s_or_b32 exec_lo, exec_lo, s8
	v_lshrrev_b16 v3, 8, v2
	s_mov_b32 s8, exec_lo
	v_cmpx_ne_u16_e32 0, v3
	s_cbranch_execz .LBB230_1370
; %bb.1363:                             ;   in Loop: Header=BB230_10 Depth=1
	v_mov_b64_e32 v[60:61], 0x8000000000000000
	s_mov_b32 s9, exec_lo
	v_cmpx_ne_u16_e32 0x80, v3
	s_cbranch_execz .LBB230_1369
; %bb.1364:                             ;   in Loop: Header=BB230_10 Depth=1
	v_and_b32_e32 v3, 0xffff, v3
	v_mov_b64_e32 v[60:61], 0x7f80000100000000
	s_mov_b32 s11, exec_lo
	s_delay_alu instid0(VALU_DEP_2) | instskip(NEXT) | instid1(VALU_DEP_1)
	v_and_b32_e32 v14, 0x7f, v3
	v_cmpx_ne_u32_e32 0x7f, v14
	s_cbranch_execz .LBB230_1368
; %bb.1365:                             ;   in Loop: Header=BB230_10 Depth=1
	scratch_load_b64 v[22:23], off, s32 offset:192 th:TH_LOAD_LU ; 8-byte Folded Reload
	s_wait_loadcnt 0x0
	v_dual_lshrrev_b32 v3, 3, v14 :: v_dual_bitop2_b32 v22, 7, v3 bitop3:0x40
	s_mov_b32 s16, exec_lo
	s_wait_xcnt 0x0
	v_cmpx_gt_u32_e32 8, v14
; %bb.1366:                             ;   in Loop: Header=BB230_10 Depth=1
	s_delay_alu instid0(VALU_DEP_2) | instskip(NEXT) | instid1(VALU_DEP_1)
	v_clz_i32_u32_e32 v3, v22
	v_min_u32_e32 v3, 32, v3
	s_delay_alu instid0(VALU_DEP_1) | instskip(NEXT) | instid1(VALU_DEP_1)
	v_subrev_nc_u32_e32 v14, 28, v3
	v_lshlrev_b64_e32 v[14:15], v14, v[22:23]
	s_delay_alu instid0(VALU_DEP_1)
	v_dual_sub_nc_u32 v3, 29, v3 :: v_dual_bitop2_b32 v22, 7, v14 bitop3:0x40
; %bb.1367:                             ;   in Loop: Header=BB230_10 Depth=1
	s_or_b32 exec_lo, exec_lo, s16
	v_lshlrev_b32_e32 v14, 16, v2
	s_delay_alu instid0(VALU_DEP_2) | instskip(NEXT) | instid1(VALU_DEP_3)
	v_dual_mov_b32 v60, v23 :: v_dual_lshlrev_b32 v15, 20, v22
	v_lshl_add_u32 v3, v3, 23, 0x3c000000
	s_delay_alu instid0(VALU_DEP_3) | instskip(NEXT) | instid1(VALU_DEP_1)
	v_and_b32_e32 v14, 0x80000000, v14
	v_or3_b32 v61, v15, v14, v3
	v_mov_b32_e32 v3, v23
	scratch_store_b64 off, v[2:3], s32 offset:192 ; 8-byte Folded Spill
.LBB230_1368:                           ;   in Loop: Header=BB230_10 Depth=1
	s_wait_xcnt 0x0
	s_or_b32 exec_lo, exec_lo, s11
.LBB230_1369:                           ;   in Loop: Header=BB230_10 Depth=1
	s_delay_alu instid0(SALU_CYCLE_1)
	s_or_b32 exec_lo, exec_lo, s9
.LBB230_1370:                           ;   in Loop: Header=BB230_10 Depth=1
	s_delay_alu instid0(SALU_CYCLE_1) | instskip(SKIP_4) | instid1(VALU_DEP_3)
	s_or_b32 exec_lo, exec_lo, s8
	v_lshrrev_b32_e32 v3, 16, v2
	v_mov_b64_e32 v[64:65], 0
	v_mov_b64_e32 v[112:113], 0
	s_mov_b32 s8, exec_lo
	v_and_b32_e32 v14, 0xff, v3
	s_delay_alu instid0(VALU_DEP_1)
	v_cmpx_ne_u16_e32 0, v14
	s_cbranch_execz .LBB230_1378
; %bb.1371:                             ;   in Loop: Header=BB230_10 Depth=1
	v_mov_b64_e32 v[112:113], 0x80000000
	s_mov_b32 s9, exec_lo
	v_cmpx_ne_u16_e32 0x80, v14
	s_cbranch_execz .LBB230_1377
; %bb.1372:                             ;   in Loop: Header=BB230_10 Depth=1
	v_mov_b64_e32 v[112:113], 0x7f800001
	v_bfe_u32 v15, v2, 16, 7
	s_mov_b32 s11, exec_lo
	s_delay_alu instid0(VALU_DEP_1)
	v_cmpx_ne_u32_e32 0x7f, v15
	s_cbranch_execz .LBB230_1376
; %bb.1373:                             ;   in Loop: Header=BB230_10 Depth=1
	scratch_load_b64 v[112:113], off, s32 offset:192 th:TH_LOAD_LU ; 8-byte Folded Reload
	s_wait_loadcnt 0x0
	v_and_b32_e32 v112, 7, v3
	v_lshrrev_b32_e32 v14, 3, v15
	s_mov_b32 s16, exec_lo
	s_wait_xcnt 0x0
	v_cmpx_gt_u32_e32 8, v15
; %bb.1374:                             ;   in Loop: Header=BB230_10 Depth=1
	v_clz_i32_u32_e32 v14, v112
	s_delay_alu instid0(VALU_DEP_1) | instskip(NEXT) | instid1(VALU_DEP_1)
	v_min_u32_e32 v14, 32, v14
	v_subrev_nc_u32_e32 v15, 28, v14
	v_sub_nc_u32_e32 v14, 29, v14
	s_delay_alu instid0(VALU_DEP_2) | instskip(NEXT) | instid1(VALU_DEP_1)
	v_lshlrev_b64_e32 v[54:55], v15, v[112:113]
	v_and_b32_e32 v112, 7, v54
; %bb.1375:                             ;   in Loop: Header=BB230_10 Depth=1
	s_or_b32 exec_lo, exec_lo, s16
	s_delay_alu instid0(VALU_DEP_1) | instskip(SKIP_1) | instid1(VALU_DEP_2)
	v_dual_lshlrev_b32 v3, 24, v3 :: v_dual_lshlrev_b32 v15, 20, v112
	v_lshl_add_u32 v14, v14, 23, 0x3c000000
	v_and_b32_e32 v3, 0x80000000, v3
	s_delay_alu instid0(VALU_DEP_1)
	v_or3_b32 v112, v15, v3, v14
	v_mov_b32_e32 v3, v113
	scratch_store_b64 off, v[2:3], s32 offset:192 ; 8-byte Folded Spill
.LBB230_1376:                           ;   in Loop: Header=BB230_10 Depth=1
	s_wait_xcnt 0x0
	s_or_b32 exec_lo, exec_lo, s11
.LBB230_1377:                           ;   in Loop: Header=BB230_10 Depth=1
	s_delay_alu instid0(SALU_CYCLE_1)
	s_or_b32 exec_lo, exec_lo, s9
.LBB230_1378:                           ;   in Loop: Header=BB230_10 Depth=1
	s_delay_alu instid0(SALU_CYCLE_1) | instskip(NEXT) | instid1(SALU_CYCLE_1)
	s_or_b32 exec_lo, exec_lo, s8
	s_mov_b32 s8, exec_lo
	v_cmpx_lt_u32_e32 0xffffff, v2
	s_cbranch_execz .LBB230_1386
; %bb.1379:                             ;   in Loop: Header=BB230_10 Depth=1
	v_mov_b64_e32 v[64:65], 0x8000000000000000
	v_lshrrev_b32_e32 v14, 24, v2
	s_mov_b32 s9, exec_lo
	s_delay_alu instid0(VALU_DEP_1)
	v_cmpx_ne_u32_e32 0x80, v14
	s_cbranch_execz .LBB230_1385
; %bb.1380:                             ;   in Loop: Header=BB230_10 Depth=1
	v_mov_b64_e32 v[64:65], 0x7f80000100000000
	v_bfe_u32 v2, v2, 24, 7
	s_mov_b32 s11, exec_lo
	s_delay_alu instid0(VALU_DEP_1)
	v_cmpx_ne_u32_e32 0x7f, v2
	s_cbranch_execz .LBB230_1384
; %bb.1381:                             ;   in Loop: Header=BB230_10 Depth=1
	scratch_load_b64 v[22:23], off, s32 offset:192 th:TH_LOAD_LU ; 8-byte Folded Reload
	s_wait_loadcnt 0x0
	v_and_b32_e32 v22, 7, v14
	v_lshrrev_b32_e32 v15, 3, v2
	v_cmp_gt_u32_e64 s1, 8, v2
	s_delay_alu instid0(VALU_DEP_3)
	v_mov_b64_e32 v[2:3], v[22:23]
	s_wait_xcnt 0x0
	s_and_saveexec_b32 s16, s1
; %bb.1382:                             ;   in Loop: Header=BB230_10 Depth=1
	v_clz_i32_u32_e32 v2, v22
	s_delay_alu instid0(VALU_DEP_1) | instskip(NEXT) | instid1(VALU_DEP_1)
	v_min_u32_e32 v15, 32, v2
	v_subrev_nc_u32_e32 v2, 28, v15
	s_delay_alu instid0(VALU_DEP_1) | instskip(NEXT) | instid1(VALU_DEP_1)
	v_lshlrev_b64_e32 v[2:3], v2, v[22:23]
	v_dual_sub_nc_u32 v15, 29, v15 :: v_dual_bitop2_b32 v2, 7, v2 bitop3:0x40
; %bb.1383:                             ;   in Loop: Header=BB230_10 Depth=1
	s_or_b32 exec_lo, exec_lo, s16
	v_dual_mov_b32 v64, v23 :: v_dual_lshlrev_b32 v3, 24, v14
	s_delay_alu instid0(VALU_DEP_2) | instskip(NEXT) | instid1(VALU_DEP_3)
	v_lshlrev_b32_e32 v2, 20, v2
	v_lshl_add_u32 v14, v15, 23, 0x3c000000
	s_delay_alu instid0(VALU_DEP_3) | instskip(NEXT) | instid1(VALU_DEP_1)
	v_and_b32_e32 v3, 0x80000000, v3
	v_or3_b32 v65, v2, v3, v14
	v_mov_b32_e32 v3, v23
	scratch_store_b64 off, v[2:3], s32 offset:192 ; 8-byte Folded Spill
.LBB230_1384:                           ;   in Loop: Header=BB230_10 Depth=1
	s_wait_xcnt 0x0
	s_or_b32 exec_lo, exec_lo, s11
.LBB230_1385:                           ;   in Loop: Header=BB230_10 Depth=1
	s_delay_alu instid0(SALU_CYCLE_1)
	s_or_b32 exec_lo, exec_lo, s9
.LBB230_1386:                           ;   in Loop: Header=BB230_10 Depth=1
	s_delay_alu instid0(SALU_CYCLE_1)
	s_or_b32 exec_lo, exec_lo, s8
	flat_load_b32 v14, v[92:93] offset:5132
	v_mov_b64_e32 v[56:57], 0
	v_mov_b64_e32 v[86:87], 0
	s_mov_b32 s8, exec_lo
	s_wait_loadcnt_dscnt 0x0
	v_and_b32_e32 v2, 0xff, v14
	s_wait_xcnt 0x0
	s_delay_alu instid0(VALU_DEP_1)
	v_cmpx_ne_u16_e32 0, v2
	s_cbranch_execz .LBB230_1394
; %bb.1387:                             ;   in Loop: Header=BB230_10 Depth=1
	v_mov_b64_e32 v[86:87], 0x80000000
	s_mov_b32 s9, exec_lo
	v_cmpx_ne_u16_e32 0x80, v2
	s_cbranch_execz .LBB230_1393
; %bb.1388:                             ;   in Loop: Header=BB230_10 Depth=1
	v_mov_b64_e32 v[86:87], 0x7f800001
	v_and_b32_e32 v2, 0x7f, v14
	s_mov_b32 s11, exec_lo
	s_delay_alu instid0(VALU_DEP_1)
	v_cmpx_ne_u32_e32 0x7f, v2
	s_cbranch_execz .LBB230_1392
; %bb.1389:                             ;   in Loop: Header=BB230_10 Depth=1
	scratch_load_b64 v[86:87], off, s32 offset:192 th:TH_LOAD_LU ; 8-byte Folded Reload
	s_wait_loadcnt 0x0
	v_and_b32_e32 v86, 7, v14
	v_lshrrev_b32_e32 v15, 3, v2
	v_cmp_gt_u32_e64 s1, 8, v2
	s_delay_alu instid0(VALU_DEP_3)
	v_mov_b64_e32 v[2:3], v[86:87]
	s_wait_xcnt 0x0
	s_and_saveexec_b32 s16, s1
; %bb.1390:                             ;   in Loop: Header=BB230_10 Depth=1
	v_clz_i32_u32_e32 v2, v86
	s_delay_alu instid0(VALU_DEP_1) | instskip(NEXT) | instid1(VALU_DEP_1)
	v_min_u32_e32 v15, 32, v2
	v_subrev_nc_u32_e32 v2, 28, v15
	s_delay_alu instid0(VALU_DEP_1) | instskip(NEXT) | instid1(VALU_DEP_1)
	v_lshlrev_b64_e32 v[2:3], v2, v[86:87]
	v_dual_sub_nc_u32 v15, 29, v15 :: v_dual_bitop2_b32 v2, 7, v2 bitop3:0x40
; %bb.1391:                             ;   in Loop: Header=BB230_10 Depth=1
	s_or_b32 exec_lo, exec_lo, s16
	v_lshlrev_b32_e32 v3, 24, v14
	s_delay_alu instid0(VALU_DEP_2) | instskip(NEXT) | instid1(VALU_DEP_3)
	v_lshlrev_b32_e32 v2, 20, v2
	v_lshl_add_u32 v15, v15, 23, 0x3c000000
	s_delay_alu instid0(VALU_DEP_3) | instskip(NEXT) | instid1(VALU_DEP_1)
	v_and_b32_e32 v3, 0x80000000, v3
	v_or3_b32 v86, v2, v3, v15
	v_mov_b32_e32 v3, v87
	scratch_store_b64 off, v[2:3], s32 offset:192 ; 8-byte Folded Spill
.LBB230_1392:                           ;   in Loop: Header=BB230_10 Depth=1
	s_wait_xcnt 0x0
	s_or_b32 exec_lo, exec_lo, s11
.LBB230_1393:                           ;   in Loop: Header=BB230_10 Depth=1
	s_delay_alu instid0(SALU_CYCLE_1)
	s_or_b32 exec_lo, exec_lo, s9
.LBB230_1394:                           ;   in Loop: Header=BB230_10 Depth=1
	s_delay_alu instid0(SALU_CYCLE_1) | instskip(SKIP_2) | instid1(VALU_DEP_1)
	s_or_b32 exec_lo, exec_lo, s8
	v_lshrrev_b16 v2, 8, v14
	s_mov_b32 s8, exec_lo
	v_cmpx_ne_u16_e32 0, v2
	s_cbranch_execz .LBB230_1402
; %bb.1395:                             ;   in Loop: Header=BB230_10 Depth=1
	v_mov_b64_e32 v[56:57], 0x8000000000000000
	s_mov_b32 s9, exec_lo
	v_cmpx_ne_u16_e32 0x80, v2
	s_cbranch_execz .LBB230_1401
; %bb.1396:                             ;   in Loop: Header=BB230_10 Depth=1
	v_and_b32_e32 v3, 0xffff, v2
	v_mov_b64_e32 v[56:57], 0x7f80000100000000
	s_mov_b32 s11, exec_lo
	s_delay_alu instid0(VALU_DEP_2) | instskip(NEXT) | instid1(VALU_DEP_1)
	v_and_b32_e32 v2, 0x7f, v3
	v_cmpx_ne_u32_e32 0x7f, v2
	s_cbranch_execz .LBB230_1400
; %bb.1397:                             ;   in Loop: Header=BB230_10 Depth=1
	scratch_load_b64 v[22:23], off, s32 offset:192 th:TH_LOAD_LU ; 8-byte Folded Reload
	s_wait_loadcnt 0x0
	v_dual_lshrrev_b32 v15, 3, v2 :: v_dual_bitop2_b32 v22, 7, v3 bitop3:0x40
	v_cmp_gt_u32_e64 s1, 8, v2
	s_delay_alu instid0(VALU_DEP_2)
	v_mov_b64_e32 v[2:3], v[22:23]
	s_wait_xcnt 0x0
	s_and_saveexec_b32 s16, s1
; %bb.1398:                             ;   in Loop: Header=BB230_10 Depth=1
	v_clz_i32_u32_e32 v2, v22
	s_delay_alu instid0(VALU_DEP_1) | instskip(NEXT) | instid1(VALU_DEP_1)
	v_min_u32_e32 v15, 32, v2
	v_subrev_nc_u32_e32 v2, 28, v15
	s_delay_alu instid0(VALU_DEP_1) | instskip(NEXT) | instid1(VALU_DEP_1)
	v_lshlrev_b64_e32 v[2:3], v2, v[22:23]
	v_dual_sub_nc_u32 v15, 29, v15 :: v_dual_bitop2_b32 v2, 7, v2 bitop3:0x40
; %bb.1399:                             ;   in Loop: Header=BB230_10 Depth=1
	s_or_b32 exec_lo, exec_lo, s16
	v_dual_mov_b32 v56, v23 :: v_dual_lshlrev_b32 v3, 16, v14
	s_delay_alu instid0(VALU_DEP_2) | instskip(NEXT) | instid1(VALU_DEP_3)
	v_lshlrev_b32_e32 v2, 20, v2
	v_lshl_add_u32 v15, v15, 23, 0x3c000000
	s_delay_alu instid0(VALU_DEP_3) | instskip(NEXT) | instid1(VALU_DEP_1)
	v_and_b32_e32 v3, 0x80000000, v3
	v_or3_b32 v57, v2, v3, v15
	v_mov_b32_e32 v3, v23
	scratch_store_b64 off, v[2:3], s32 offset:192 ; 8-byte Folded Spill
.LBB230_1400:                           ;   in Loop: Header=BB230_10 Depth=1
	s_wait_xcnt 0x0
	s_or_b32 exec_lo, exec_lo, s11
.LBB230_1401:                           ;   in Loop: Header=BB230_10 Depth=1
	s_delay_alu instid0(SALU_CYCLE_1)
	s_or_b32 exec_lo, exec_lo, s9
.LBB230_1402:                           ;   in Loop: Header=BB230_10 Depth=1
	s_delay_alu instid0(SALU_CYCLE_1) | instskip(SKIP_4) | instid1(VALU_DEP_3)
	s_or_b32 exec_lo, exec_lo, s8
	v_lshrrev_b32_e32 v15, 16, v14
	v_mov_b64_e32 v[40:41], 0
	v_mov_b64_e32 v[114:115], 0
	s_mov_b32 s8, exec_lo
	v_and_b32_e32 v2, 0xff, v15
	s_delay_alu instid0(VALU_DEP_1)
	v_cmpx_ne_u16_e32 0, v2
	s_cbranch_execz .LBB230_1410
; %bb.1403:                             ;   in Loop: Header=BB230_10 Depth=1
	v_mov_b64_e32 v[114:115], 0x80000000
	s_mov_b32 s9, exec_lo
	v_cmpx_ne_u16_e32 0x80, v2
	s_cbranch_execz .LBB230_1409
; %bb.1404:                             ;   in Loop: Header=BB230_10 Depth=1
	v_mov_b64_e32 v[114:115], 0x7f800001
	v_bfe_u32 v2, v14, 16, 7
	s_mov_b32 s11, exec_lo
	s_delay_alu instid0(VALU_DEP_1)
	v_cmpx_ne_u32_e32 0x7f, v2
	s_cbranch_execz .LBB230_1408
; %bb.1405:                             ;   in Loop: Header=BB230_10 Depth=1
	scratch_load_b64 v[114:115], off, s32 offset:192 th:TH_LOAD_LU ; 8-byte Folded Reload
	s_wait_loadcnt 0x0
	v_dual_lshrrev_b32 v54, 3, v2 :: v_dual_bitop2_b32 v114, 7, v15 bitop3:0x40
	v_cmp_gt_u32_e64 s1, 8, v2
	s_delay_alu instid0(VALU_DEP_2)
	v_mov_b64_e32 v[2:3], v[114:115]
	s_wait_xcnt 0x0
	s_and_saveexec_b32 s16, s1
; %bb.1406:                             ;   in Loop: Header=BB230_10 Depth=1
	v_clz_i32_u32_e32 v2, v114
	s_delay_alu instid0(VALU_DEP_1) | instskip(NEXT) | instid1(VALU_DEP_1)
	v_min_u32_e32 v22, 32, v2
	v_subrev_nc_u32_e32 v2, 28, v22
	v_sub_nc_u32_e32 v54, 29, v22
	s_delay_alu instid0(VALU_DEP_2) | instskip(NEXT) | instid1(VALU_DEP_1)
	v_lshlrev_b64_e32 v[2:3], v2, v[114:115]
	v_and_b32_e32 v2, 7, v2
; %bb.1407:                             ;   in Loop: Header=BB230_10 Depth=1
	s_or_b32 exec_lo, exec_lo, s16
	s_delay_alu instid0(VALU_DEP_1) | instskip(SKIP_1) | instid1(VALU_DEP_2)
	v_dual_lshlrev_b32 v3, 24, v15 :: v_dual_lshlrev_b32 v2, 20, v2
	v_lshl_add_u32 v15, v54, 23, 0x3c000000
	v_and_b32_e32 v3, 0x80000000, v3
	s_delay_alu instid0(VALU_DEP_1)
	v_or3_b32 v114, v2, v3, v15
	v_mov_b32_e32 v3, v115
	scratch_store_b64 off, v[2:3], s32 offset:192 ; 8-byte Folded Spill
.LBB230_1408:                           ;   in Loop: Header=BB230_10 Depth=1
	s_wait_xcnt 0x0
	s_or_b32 exec_lo, exec_lo, s11
.LBB230_1409:                           ;   in Loop: Header=BB230_10 Depth=1
	s_delay_alu instid0(SALU_CYCLE_1)
	s_or_b32 exec_lo, exec_lo, s9
.LBB230_1410:                           ;   in Loop: Header=BB230_10 Depth=1
	s_delay_alu instid0(SALU_CYCLE_1) | instskip(NEXT) | instid1(SALU_CYCLE_1)
	s_or_b32 exec_lo, exec_lo, s8
	s_mov_b32 s8, exec_lo
	v_cmpx_lt_u32_e32 0xffffff, v14
	s_cbranch_execz .LBB230_1418
; %bb.1411:                             ;   in Loop: Header=BB230_10 Depth=1
	v_mov_b64_e32 v[40:41], 0x8000000000000000
	v_lshrrev_b32_e32 v15, 24, v14
	s_mov_b32 s9, exec_lo
	s_delay_alu instid0(VALU_DEP_1)
	v_cmpx_ne_u32_e32 0x80, v15
	s_cbranch_execz .LBB230_1417
; %bb.1412:                             ;   in Loop: Header=BB230_10 Depth=1
	v_mov_b64_e32 v[40:41], 0x7f80000100000000
	v_bfe_u32 v2, v14, 24, 7
	s_mov_b32 s11, exec_lo
	s_delay_alu instid0(VALU_DEP_1)
	v_cmpx_ne_u32_e32 0x7f, v2
	s_cbranch_execz .LBB230_1416
; %bb.1413:                             ;   in Loop: Header=BB230_10 Depth=1
	scratch_load_b64 v[22:23], off, s32 offset:192 th:TH_LOAD_LU ; 8-byte Folded Reload
	s_wait_loadcnt 0x0
	v_dual_lshrrev_b32 v14, 3, v2 :: v_dual_bitop2_b32 v22, 7, v15 bitop3:0x40
	v_cmp_gt_u32_e64 s1, 8, v2
	s_delay_alu instid0(VALU_DEP_2)
	v_mov_b64_e32 v[2:3], v[22:23]
	s_wait_xcnt 0x0
	s_and_saveexec_b32 s16, s1
; %bb.1414:                             ;   in Loop: Header=BB230_10 Depth=1
	v_clz_i32_u32_e32 v2, v22
	s_delay_alu instid0(VALU_DEP_1) | instskip(NEXT) | instid1(VALU_DEP_1)
	v_min_u32_e32 v14, 32, v2
	v_subrev_nc_u32_e32 v2, 28, v14
	v_sub_nc_u32_e32 v14, 29, v14
	s_delay_alu instid0(VALU_DEP_2) | instskip(NEXT) | instid1(VALU_DEP_1)
	v_lshlrev_b64_e32 v[2:3], v2, v[22:23]
	v_and_b32_e32 v2, 7, v2
; %bb.1415:                             ;   in Loop: Header=BB230_10 Depth=1
	s_or_b32 exec_lo, exec_lo, s16
	s_delay_alu instid0(VALU_DEP_1) | instskip(SKIP_2) | instid1(VALU_DEP_3)
	v_dual_lshlrev_b32 v3, 24, v15 :: v_dual_lshlrev_b32 v2, 20, v2
	v_lshl_add_u32 v14, v14, 23, 0x3c000000
	v_mov_b32_e32 v40, v23
	v_and_b32_e32 v3, 0x80000000, v3
	s_delay_alu instid0(VALU_DEP_1)
	v_or3_b32 v41, v2, v3, v14
	v_mov_b32_e32 v3, v23
	scratch_store_b64 off, v[2:3], s32 offset:192 ; 8-byte Folded Spill
.LBB230_1416:                           ;   in Loop: Header=BB230_10 Depth=1
	s_wait_xcnt 0x0
	s_or_b32 exec_lo, exec_lo, s11
.LBB230_1417:                           ;   in Loop: Header=BB230_10 Depth=1
	s_delay_alu instid0(SALU_CYCLE_1)
	s_or_b32 exec_lo, exec_lo, s9
.LBB230_1418:                           ;   in Loop: Header=BB230_10 Depth=1
	s_delay_alu instid0(SALU_CYCLE_1)
	s_or_b32 exec_lo, exec_lo, s8
	flat_load_b32 v14, v[92:93] offset:5632
	v_mov_b64_e32 v[102:103], 0
	v_mov_b64_e32 v[62:63], 0
	s_mov_b32 s8, exec_lo
	s_wait_loadcnt_dscnt 0x0
	v_and_b32_e32 v2, 0xff, v14
	s_wait_xcnt 0x0
	s_delay_alu instid0(VALU_DEP_1)
	v_cmpx_ne_u16_e32 0, v2
	s_cbranch_execz .LBB230_1426
; %bb.1419:                             ;   in Loop: Header=BB230_10 Depth=1
	v_mov_b64_e32 v[62:63], 0x80000000
	s_mov_b32 s9, exec_lo
	v_cmpx_ne_u16_e32 0x80, v2
	s_cbranch_execz .LBB230_1425
; %bb.1420:                             ;   in Loop: Header=BB230_10 Depth=1
	v_mov_b64_e32 v[62:63], 0x7f800001
	v_and_b32_e32 v2, 0x7f, v14
	s_mov_b32 s11, exec_lo
	s_delay_alu instid0(VALU_DEP_1)
	v_cmpx_ne_u32_e32 0x7f, v2
	s_cbranch_execz .LBB230_1424
; %bb.1421:                             ;   in Loop: Header=BB230_10 Depth=1
	scratch_load_b64 v[62:63], off, s32 offset:192 th:TH_LOAD_LU ; 8-byte Folded Reload
	s_wait_loadcnt 0x0
	v_and_b32_e32 v62, 7, v14
	v_lshrrev_b32_e32 v15, 3, v2
	v_cmp_gt_u32_e64 s1, 8, v2
	s_delay_alu instid0(VALU_DEP_3)
	v_mov_b64_e32 v[2:3], v[62:63]
	s_wait_xcnt 0x0
	s_and_saveexec_b32 s16, s1
; %bb.1422:                             ;   in Loop: Header=BB230_10 Depth=1
	v_clz_i32_u32_e32 v2, v62
	s_delay_alu instid0(VALU_DEP_1) | instskip(NEXT) | instid1(VALU_DEP_1)
	v_min_u32_e32 v15, 32, v2
	v_subrev_nc_u32_e32 v2, 28, v15
	s_delay_alu instid0(VALU_DEP_1) | instskip(NEXT) | instid1(VALU_DEP_1)
	v_lshlrev_b64_e32 v[2:3], v2, v[62:63]
	v_dual_sub_nc_u32 v15, 29, v15 :: v_dual_bitop2_b32 v2, 7, v2 bitop3:0x40
; %bb.1423:                             ;   in Loop: Header=BB230_10 Depth=1
	s_or_b32 exec_lo, exec_lo, s16
	v_lshlrev_b32_e32 v3, 24, v14
	s_delay_alu instid0(VALU_DEP_2) | instskip(NEXT) | instid1(VALU_DEP_3)
	v_lshlrev_b32_e32 v2, 20, v2
	v_lshl_add_u32 v15, v15, 23, 0x3c000000
	s_delay_alu instid0(VALU_DEP_3) | instskip(NEXT) | instid1(VALU_DEP_1)
	v_and_b32_e32 v3, 0x80000000, v3
	v_or3_b32 v62, v2, v3, v15
	v_mov_b32_e32 v3, v63
	scratch_store_b64 off, v[2:3], s32 offset:192 ; 8-byte Folded Spill
.LBB230_1424:                           ;   in Loop: Header=BB230_10 Depth=1
	s_wait_xcnt 0x0
	s_or_b32 exec_lo, exec_lo, s11
.LBB230_1425:                           ;   in Loop: Header=BB230_10 Depth=1
	s_delay_alu instid0(SALU_CYCLE_1)
	s_or_b32 exec_lo, exec_lo, s9
.LBB230_1426:                           ;   in Loop: Header=BB230_10 Depth=1
	s_delay_alu instid0(SALU_CYCLE_1) | instskip(SKIP_2) | instid1(VALU_DEP_1)
	s_or_b32 exec_lo, exec_lo, s8
	v_lshrrev_b16 v2, 8, v14
	s_mov_b32 s8, exec_lo
	v_cmpx_ne_u16_e32 0, v2
	s_cbranch_execz .LBB230_1434
; %bb.1427:                             ;   in Loop: Header=BB230_10 Depth=1
	v_mov_b64_e32 v[102:103], 0x8000000000000000
	s_mov_b32 s9, exec_lo
	v_cmpx_ne_u16_e32 0x80, v2
	s_cbranch_execz .LBB230_1433
; %bb.1428:                             ;   in Loop: Header=BB230_10 Depth=1
	v_and_b32_e32 v3, 0xffff, v2
	v_mov_b64_e32 v[102:103], 0x7f80000100000000
	s_mov_b32 s11, exec_lo
	s_delay_alu instid0(VALU_DEP_2) | instskip(NEXT) | instid1(VALU_DEP_1)
	v_and_b32_e32 v2, 0x7f, v3
	v_cmpx_ne_u32_e32 0x7f, v2
	s_cbranch_execz .LBB230_1432
; %bb.1429:                             ;   in Loop: Header=BB230_10 Depth=1
	scratch_load_b64 v[22:23], off, s32 offset:192 th:TH_LOAD_LU ; 8-byte Folded Reload
	s_wait_loadcnt 0x0
	v_dual_lshrrev_b32 v15, 3, v2 :: v_dual_bitop2_b32 v22, 7, v3 bitop3:0x40
	v_cmp_gt_u32_e64 s1, 8, v2
	s_delay_alu instid0(VALU_DEP_2)
	v_mov_b64_e32 v[2:3], v[22:23]
	s_wait_xcnt 0x0
	s_and_saveexec_b32 s16, s1
; %bb.1430:                             ;   in Loop: Header=BB230_10 Depth=1
	v_clz_i32_u32_e32 v2, v22
	s_delay_alu instid0(VALU_DEP_1) | instskip(NEXT) | instid1(VALU_DEP_1)
	v_min_u32_e32 v15, 32, v2
	v_subrev_nc_u32_e32 v2, 28, v15
	s_delay_alu instid0(VALU_DEP_1) | instskip(NEXT) | instid1(VALU_DEP_1)
	v_lshlrev_b64_e32 v[2:3], v2, v[22:23]
	v_dual_sub_nc_u32 v15, 29, v15 :: v_dual_bitop2_b32 v2, 7, v2 bitop3:0x40
; %bb.1431:                             ;   in Loop: Header=BB230_10 Depth=1
	s_or_b32 exec_lo, exec_lo, s16
	v_dual_mov_b32 v102, v23 :: v_dual_lshlrev_b32 v3, 16, v14
	s_delay_alu instid0(VALU_DEP_2) | instskip(NEXT) | instid1(VALU_DEP_3)
	v_lshlrev_b32_e32 v2, 20, v2
	v_lshl_add_u32 v15, v15, 23, 0x3c000000
	s_delay_alu instid0(VALU_DEP_3) | instskip(NEXT) | instid1(VALU_DEP_1)
	v_and_b32_e32 v3, 0x80000000, v3
	v_or3_b32 v103, v2, v3, v15
	v_mov_b32_e32 v3, v23
	scratch_store_b64 off, v[2:3], s32 offset:192 ; 8-byte Folded Spill
.LBB230_1432:                           ;   in Loop: Header=BB230_10 Depth=1
	s_wait_xcnt 0x0
	s_or_b32 exec_lo, exec_lo, s11
.LBB230_1433:                           ;   in Loop: Header=BB230_10 Depth=1
	s_delay_alu instid0(SALU_CYCLE_1)
	s_or_b32 exec_lo, exec_lo, s9
.LBB230_1434:                           ;   in Loop: Header=BB230_10 Depth=1
	s_delay_alu instid0(SALU_CYCLE_1) | instskip(SKIP_4) | instid1(VALU_DEP_3)
	s_or_b32 exec_lo, exec_lo, s8
	v_lshrrev_b32_e32 v15, 16, v14
	v_mov_b64_e32 v[74:75], 0
	v_mov_b64_e32 v[42:43], 0
	s_mov_b32 s8, exec_lo
	v_and_b32_e32 v2, 0xff, v15
	s_delay_alu instid0(VALU_DEP_1)
	v_cmpx_ne_u16_e32 0, v2
	s_cbranch_execz .LBB230_1442
; %bb.1435:                             ;   in Loop: Header=BB230_10 Depth=1
	v_mov_b64_e32 v[42:43], 0x80000000
	s_mov_b32 s9, exec_lo
	v_cmpx_ne_u16_e32 0x80, v2
	s_cbranch_execz .LBB230_1441
; %bb.1436:                             ;   in Loop: Header=BB230_10 Depth=1
	v_mov_b64_e32 v[42:43], 0x7f800001
	v_bfe_u32 v2, v14, 16, 7
	s_mov_b32 s11, exec_lo
	s_delay_alu instid0(VALU_DEP_1)
	v_cmpx_ne_u32_e32 0x7f, v2
	s_cbranch_execz .LBB230_1440
; %bb.1437:                             ;   in Loop: Header=BB230_10 Depth=1
	scratch_load_b64 v[42:43], off, s32 offset:192 th:TH_LOAD_LU ; 8-byte Folded Reload
	s_wait_loadcnt 0x0
	v_dual_lshrrev_b32 v54, 3, v2 :: v_dual_bitop2_b32 v42, 7, v15 bitop3:0x40
	v_cmp_gt_u32_e64 s1, 8, v2
	s_delay_alu instid0(VALU_DEP_2)
	v_mov_b64_e32 v[2:3], v[42:43]
	s_wait_xcnt 0x0
	s_and_saveexec_b32 s16, s1
; %bb.1438:                             ;   in Loop: Header=BB230_10 Depth=1
	v_clz_i32_u32_e32 v2, v42
	s_delay_alu instid0(VALU_DEP_1) | instskip(NEXT) | instid1(VALU_DEP_1)
	v_min_u32_e32 v22, 32, v2
	v_subrev_nc_u32_e32 v2, 28, v22
	v_sub_nc_u32_e32 v54, 29, v22
	s_delay_alu instid0(VALU_DEP_2) | instskip(NEXT) | instid1(VALU_DEP_1)
	v_lshlrev_b64_e32 v[2:3], v2, v[42:43]
	v_and_b32_e32 v2, 7, v2
; %bb.1439:                             ;   in Loop: Header=BB230_10 Depth=1
	s_or_b32 exec_lo, exec_lo, s16
	s_delay_alu instid0(VALU_DEP_1) | instskip(SKIP_1) | instid1(VALU_DEP_2)
	v_dual_lshlrev_b32 v3, 24, v15 :: v_dual_lshlrev_b32 v2, 20, v2
	v_lshl_add_u32 v15, v54, 23, 0x3c000000
	v_and_b32_e32 v3, 0x80000000, v3
	s_delay_alu instid0(VALU_DEP_1)
	v_or3_b32 v42, v2, v3, v15
	v_mov_b32_e32 v3, v43
	scratch_store_b64 off, v[2:3], s32 offset:192 ; 8-byte Folded Spill
.LBB230_1440:                           ;   in Loop: Header=BB230_10 Depth=1
	s_wait_xcnt 0x0
	s_or_b32 exec_lo, exec_lo, s11
.LBB230_1441:                           ;   in Loop: Header=BB230_10 Depth=1
	s_delay_alu instid0(SALU_CYCLE_1)
	s_or_b32 exec_lo, exec_lo, s9
.LBB230_1442:                           ;   in Loop: Header=BB230_10 Depth=1
	s_delay_alu instid0(SALU_CYCLE_1) | instskip(NEXT) | instid1(SALU_CYCLE_1)
	s_or_b32 exec_lo, exec_lo, s8
	s_mov_b32 s8, exec_lo
	v_cmpx_lt_u32_e32 0xffffff, v14
	s_cbranch_execz .LBB230_1450
; %bb.1443:                             ;   in Loop: Header=BB230_10 Depth=1
	v_mov_b64_e32 v[74:75], 0x8000000000000000
	v_lshrrev_b32_e32 v15, 24, v14
	s_mov_b32 s9, exec_lo
	s_delay_alu instid0(VALU_DEP_1)
	v_cmpx_ne_u32_e32 0x80, v15
	s_cbranch_execz .LBB230_1449
; %bb.1444:                             ;   in Loop: Header=BB230_10 Depth=1
	v_mov_b64_e32 v[74:75], 0x7f80000100000000
	v_bfe_u32 v2, v14, 24, 7
	s_mov_b32 s11, exec_lo
	s_delay_alu instid0(VALU_DEP_1)
	v_cmpx_ne_u32_e32 0x7f, v2
	s_cbranch_execz .LBB230_1448
; %bb.1445:                             ;   in Loop: Header=BB230_10 Depth=1
	scratch_load_b64 v[22:23], off, s32 offset:192 th:TH_LOAD_LU ; 8-byte Folded Reload
	s_wait_loadcnt 0x0
	v_dual_lshrrev_b32 v14, 3, v2 :: v_dual_bitop2_b32 v22, 7, v15 bitop3:0x40
	v_cmp_gt_u32_e64 s1, 8, v2
	s_delay_alu instid0(VALU_DEP_2)
	v_mov_b64_e32 v[2:3], v[22:23]
	s_wait_xcnt 0x0
	s_and_saveexec_b32 s16, s1
; %bb.1446:                             ;   in Loop: Header=BB230_10 Depth=1
	v_clz_i32_u32_e32 v2, v22
	s_delay_alu instid0(VALU_DEP_1) | instskip(NEXT) | instid1(VALU_DEP_1)
	v_min_u32_e32 v14, 32, v2
	v_subrev_nc_u32_e32 v2, 28, v14
	v_sub_nc_u32_e32 v14, 29, v14
	s_delay_alu instid0(VALU_DEP_2) | instskip(NEXT) | instid1(VALU_DEP_1)
	v_lshlrev_b64_e32 v[2:3], v2, v[22:23]
	v_and_b32_e32 v2, 7, v2
; %bb.1447:                             ;   in Loop: Header=BB230_10 Depth=1
	s_or_b32 exec_lo, exec_lo, s16
	s_delay_alu instid0(VALU_DEP_1) | instskip(SKIP_2) | instid1(VALU_DEP_3)
	v_dual_lshlrev_b32 v3, 24, v15 :: v_dual_lshlrev_b32 v2, 20, v2
	v_lshl_add_u32 v14, v14, 23, 0x3c000000
	v_mov_b32_e32 v74, v23
	v_and_b32_e32 v3, 0x80000000, v3
	s_delay_alu instid0(VALU_DEP_1)
	v_or3_b32 v75, v2, v3, v14
	v_mov_b32_e32 v3, v23
	scratch_store_b64 off, v[2:3], s32 offset:192 ; 8-byte Folded Spill
.LBB230_1448:                           ;   in Loop: Header=BB230_10 Depth=1
	s_wait_xcnt 0x0
	s_or_b32 exec_lo, exec_lo, s11
.LBB230_1449:                           ;   in Loop: Header=BB230_10 Depth=1
	s_delay_alu instid0(SALU_CYCLE_1)
	s_or_b32 exec_lo, exec_lo, s9
.LBB230_1450:                           ;   in Loop: Header=BB230_10 Depth=1
	s_delay_alu instid0(SALU_CYCLE_1)
	s_or_b32 exec_lo, exec_lo, s8
	flat_load_b32 v54, v[92:93] offset:5636
	v_mov_b64_e32 v[118:119], 0
	v_mov_b64_e32 v[14:15], 0
	s_mov_b32 s8, exec_lo
	s_wait_loadcnt_dscnt 0x0
	v_and_b32_e32 v2, 0xff, v54
	s_wait_xcnt 0x0
	s_delay_alu instid0(VALU_DEP_1)
	v_cmpx_ne_u16_e32 0, v2
	s_cbranch_execz .LBB230_1458
; %bb.1451:                             ;   in Loop: Header=BB230_10 Depth=1
	v_mov_b64_e32 v[14:15], 0x80000000
	s_mov_b32 s9, exec_lo
	v_cmpx_ne_u16_e32 0x80, v2
	s_cbranch_execz .LBB230_1457
; %bb.1452:                             ;   in Loop: Header=BB230_10 Depth=1
	v_mov_b64_e32 v[14:15], 0x7f800001
	v_and_b32_e32 v2, 0x7f, v54
	s_mov_b32 s11, exec_lo
	s_delay_alu instid0(VALU_DEP_1)
	v_cmpx_ne_u32_e32 0x7f, v2
	s_cbranch_execz .LBB230_1456
; %bb.1453:                             ;   in Loop: Header=BB230_10 Depth=1
	scratch_load_b64 v[22:23], off, s32 offset:192 th:TH_LOAD_LU ; 8-byte Folded Reload
	s_wait_loadcnt 0x0
	v_and_b32_e32 v22, 7, v54
	v_lshrrev_b32_e32 v14, 3, v2
	v_cmp_gt_u32_e64 s1, 8, v2
	s_delay_alu instid0(VALU_DEP_3)
	v_mov_b64_e32 v[2:3], v[22:23]
	s_wait_xcnt 0x0
	s_and_saveexec_b32 s16, s1
; %bb.1454:                             ;   in Loop: Header=BB230_10 Depth=1
	v_clz_i32_u32_e32 v2, v22
	s_delay_alu instid0(VALU_DEP_1) | instskip(NEXT) | instid1(VALU_DEP_1)
	v_min_u32_e32 v14, 32, v2
	v_subrev_nc_u32_e32 v2, 28, v14
	v_sub_nc_u32_e32 v14, 29, v14
	s_delay_alu instid0(VALU_DEP_2) | instskip(NEXT) | instid1(VALU_DEP_1)
	v_lshlrev_b64_e32 v[2:3], v2, v[22:23]
	v_and_b32_e32 v2, 7, v2
; %bb.1455:                             ;   in Loop: Header=BB230_10 Depth=1
	s_or_b32 exec_lo, exec_lo, s16
	v_lshlrev_b32_e32 v3, 24, v54
	s_delay_alu instid0(VALU_DEP_2) | instskip(SKIP_1) | instid1(VALU_DEP_3)
	v_lshlrev_b32_e32 v2, 20, v2
	v_lshl_add_u32 v14, v14, 23, 0x3c000000
	v_and_b32_e32 v3, 0x80000000, v3
	s_delay_alu instid0(VALU_DEP_1) | instskip(SKIP_1) | instid1(VALU_DEP_2)
	v_or3_b32 v22, v2, v3, v14
	v_mov_b32_e32 v3, v23
	v_mov_b64_e32 v[14:15], v[22:23]
	scratch_store_b64 off, v[2:3], s32 offset:192 ; 8-byte Folded Spill
.LBB230_1456:                           ;   in Loop: Header=BB230_10 Depth=1
	s_wait_xcnt 0x0
	s_or_b32 exec_lo, exec_lo, s11
.LBB230_1457:                           ;   in Loop: Header=BB230_10 Depth=1
	s_delay_alu instid0(SALU_CYCLE_1)
	s_or_b32 exec_lo, exec_lo, s9
.LBB230_1458:                           ;   in Loop: Header=BB230_10 Depth=1
	s_delay_alu instid0(SALU_CYCLE_1) | instskip(SKIP_2) | instid1(VALU_DEP_1)
	s_or_b32 exec_lo, exec_lo, s8
	v_lshrrev_b16 v2, 8, v54
	s_mov_b32 s8, exec_lo
	v_cmpx_ne_u16_e32 0, v2
	s_cbranch_execz .LBB230_1466
; %bb.1459:                             ;   in Loop: Header=BB230_10 Depth=1
	v_mov_b64_e32 v[118:119], 0x8000000000000000
	s_mov_b32 s9, exec_lo
	v_cmpx_ne_u16_e32 0x80, v2
	s_cbranch_execz .LBB230_1465
; %bb.1460:                             ;   in Loop: Header=BB230_10 Depth=1
	v_and_b32_e32 v3, 0xffff, v2
	v_mov_b64_e32 v[118:119], 0x7f80000100000000
	s_mov_b32 s11, exec_lo
	s_delay_alu instid0(VALU_DEP_2) | instskip(NEXT) | instid1(VALU_DEP_1)
	v_and_b32_e32 v2, 0x7f, v3
	v_cmpx_ne_u32_e32 0x7f, v2
	s_cbranch_execz .LBB230_1464
; %bb.1461:                             ;   in Loop: Header=BB230_10 Depth=1
	scratch_load_b64 v[98:99], off, s32 offset:192 th:TH_LOAD_LU ; 8-byte Folded Reload
	s_wait_loadcnt 0x0
	v_dual_lshrrev_b32 v55, 3, v2 :: v_dual_bitop2_b32 v98, 7, v3 bitop3:0x40
	v_cmp_gt_u32_e64 s1, 8, v2
	s_delay_alu instid0(VALU_DEP_2)
	v_mov_b64_e32 v[2:3], v[98:99]
	s_wait_xcnt 0x0
	s_and_saveexec_b32 s16, s1
; %bb.1462:                             ;   in Loop: Header=BB230_10 Depth=1
	v_clz_i32_u32_e32 v2, v98
	s_delay_alu instid0(VALU_DEP_1) | instskip(NEXT) | instid1(VALU_DEP_1)
	v_min_u32_e32 v22, 32, v2
	v_subrev_nc_u32_e32 v2, 28, v22
	v_sub_nc_u32_e32 v55, 29, v22
	s_delay_alu instid0(VALU_DEP_2) | instskip(NEXT) | instid1(VALU_DEP_1)
	v_lshlrev_b64_e32 v[2:3], v2, v[98:99]
	v_and_b32_e32 v2, 7, v2
; %bb.1463:                             ;   in Loop: Header=BB230_10 Depth=1
	s_or_b32 exec_lo, exec_lo, s16
	v_dual_mov_b32 v118, v99 :: v_dual_lshlrev_b32 v3, 16, v54
	s_delay_alu instid0(VALU_DEP_2) | instskip(SKIP_1) | instid1(VALU_DEP_3)
	v_lshlrev_b32_e32 v2, 20, v2
	v_lshl_add_u32 v22, v55, 23, 0x3c000000
	v_and_b32_e32 v3, 0x80000000, v3
	s_delay_alu instid0(VALU_DEP_1)
	v_or3_b32 v119, v2, v3, v22
	v_mov_b32_e32 v3, v99
	scratch_store_b64 off, v[2:3], s32 offset:192 ; 8-byte Folded Spill
.LBB230_1464:                           ;   in Loop: Header=BB230_10 Depth=1
	s_wait_xcnt 0x0
	s_or_b32 exec_lo, exec_lo, s11
.LBB230_1465:                           ;   in Loop: Header=BB230_10 Depth=1
	s_delay_alu instid0(SALU_CYCLE_1)
	s_or_b32 exec_lo, exec_lo, s9
.LBB230_1466:                           ;   in Loop: Header=BB230_10 Depth=1
	s_delay_alu instid0(SALU_CYCLE_1) | instskip(SKIP_4) | instid1(VALU_DEP_3)
	s_or_b32 exec_lo, exec_lo, s8
	v_lshrrev_b32_e32 v55, 16, v54
	v_mov_b64_e32 v[104:105], 0
	v_mov_b64_e32 v[78:79], 0
	s_mov_b32 s8, exec_lo
	v_and_b32_e32 v2, 0xff, v55
	s_delay_alu instid0(VALU_DEP_1)
	v_cmpx_ne_u16_e32 0, v2
	s_cbranch_execz .LBB230_1474
; %bb.1467:                             ;   in Loop: Header=BB230_10 Depth=1
	v_mov_b64_e32 v[78:79], 0x80000000
	s_mov_b32 s9, exec_lo
	v_cmpx_ne_u16_e32 0x80, v2
	s_cbranch_execz .LBB230_1473
; %bb.1468:                             ;   in Loop: Header=BB230_10 Depth=1
	v_mov_b64_e32 v[78:79], 0x7f800001
	v_bfe_u32 v2, v54, 16, 7
	s_mov_b32 s11, exec_lo
	s_delay_alu instid0(VALU_DEP_1)
	v_cmpx_ne_u32_e32 0x7f, v2
	s_cbranch_execz .LBB230_1472
; %bb.1469:                             ;   in Loop: Header=BB230_10 Depth=1
	scratch_load_b64 v[78:79], off, s32 offset:192 th:TH_LOAD_LU ; 8-byte Folded Reload
	s_wait_loadcnt 0x0
	v_dual_lshrrev_b32 v44, 3, v2 :: v_dual_bitop2_b32 v78, 7, v55 bitop3:0x40
	v_cmp_gt_u32_e64 s1, 8, v2
	s_delay_alu instid0(VALU_DEP_2)
	v_mov_b64_e32 v[2:3], v[78:79]
	s_wait_xcnt 0x0
	s_and_saveexec_b32 s16, s1
; %bb.1470:                             ;   in Loop: Header=BB230_10 Depth=1
	v_clz_i32_u32_e32 v2, v78
	s_delay_alu instid0(VALU_DEP_1) | instskip(NEXT) | instid1(VALU_DEP_1)
	v_min_u32_e32 v22, 32, v2
	v_subrev_nc_u32_e32 v2, 28, v22
	v_sub_nc_u32_e32 v44, 29, v22
	s_delay_alu instid0(VALU_DEP_2) | instskip(NEXT) | instid1(VALU_DEP_1)
	v_lshlrev_b64_e32 v[2:3], v2, v[78:79]
	v_and_b32_e32 v2, 7, v2
; %bb.1471:                             ;   in Loop: Header=BB230_10 Depth=1
	s_or_b32 exec_lo, exec_lo, s16
	s_delay_alu instid0(VALU_DEP_1) | instskip(SKIP_1) | instid1(VALU_DEP_2)
	v_dual_lshlrev_b32 v3, 24, v55 :: v_dual_lshlrev_b32 v2, 20, v2
	v_lshl_add_u32 v22, v44, 23, 0x3c000000
	v_and_b32_e32 v3, 0x80000000, v3
	s_delay_alu instid0(VALU_DEP_1)
	v_or3_b32 v78, v2, v3, v22
	v_mov_b32_e32 v3, v79
	scratch_store_b64 off, v[2:3], s32 offset:192 ; 8-byte Folded Spill
.LBB230_1472:                           ;   in Loop: Header=BB230_10 Depth=1
	s_wait_xcnt 0x0
	s_or_b32 exec_lo, exec_lo, s11
.LBB230_1473:                           ;   in Loop: Header=BB230_10 Depth=1
	s_delay_alu instid0(SALU_CYCLE_1)
	s_or_b32 exec_lo, exec_lo, s9
.LBB230_1474:                           ;   in Loop: Header=BB230_10 Depth=1
	s_delay_alu instid0(SALU_CYCLE_1) | instskip(NEXT) | instid1(SALU_CYCLE_1)
	s_or_b32 exec_lo, exec_lo, s8
	s_mov_b32 s8, exec_lo
	v_cmpx_lt_u32_e32 0xffffff, v54
	s_cbranch_execz .LBB230_1482
; %bb.1475:                             ;   in Loop: Header=BB230_10 Depth=1
	v_mov_b64_e32 v[104:105], 0x8000000000000000
	v_lshrrev_b32_e32 v55, 24, v54
	s_mov_b32 s9, exec_lo
	s_delay_alu instid0(VALU_DEP_1)
	v_cmpx_ne_u32_e32 0x80, v55
	s_cbranch_execz .LBB230_1481
; %bb.1476:                             ;   in Loop: Header=BB230_10 Depth=1
	v_mov_b64_e32 v[104:105], 0x7f80000100000000
	v_bfe_u32 v2, v54, 24, 7
	s_mov_b32 s11, exec_lo
	s_delay_alu instid0(VALU_DEP_1)
	v_cmpx_ne_u32_e32 0x7f, v2
	s_cbranch_execz .LBB230_1480
; %bb.1477:                             ;   in Loop: Header=BB230_10 Depth=1
	scratch_load_b64 v[98:99], off, s32 offset:192 th:TH_LOAD_LU ; 8-byte Folded Reload
	s_wait_loadcnt 0x0
	v_dual_lshrrev_b32 v54, 3, v2 :: v_dual_bitop2_b32 v98, 7, v55 bitop3:0x40
	v_cmp_gt_u32_e64 s1, 8, v2
	s_delay_alu instid0(VALU_DEP_2)
	v_mov_b64_e32 v[2:3], v[98:99]
	s_wait_xcnt 0x0
	s_and_saveexec_b32 s16, s1
; %bb.1478:                             ;   in Loop: Header=BB230_10 Depth=1
	v_clz_i32_u32_e32 v2, v98
	s_delay_alu instid0(VALU_DEP_1) | instskip(NEXT) | instid1(VALU_DEP_1)
	v_min_u32_e32 v22, 32, v2
	v_subrev_nc_u32_e32 v2, 28, v22
	v_sub_nc_u32_e32 v54, 29, v22
	s_delay_alu instid0(VALU_DEP_2) | instskip(NEXT) | instid1(VALU_DEP_1)
	v_lshlrev_b64_e32 v[2:3], v2, v[98:99]
	v_and_b32_e32 v2, 7, v2
; %bb.1479:                             ;   in Loop: Header=BB230_10 Depth=1
	s_or_b32 exec_lo, exec_lo, s16
	s_delay_alu instid0(VALU_DEP_1) | instskip(SKIP_2) | instid1(VALU_DEP_3)
	v_dual_lshlrev_b32 v3, 24, v55 :: v_dual_lshlrev_b32 v2, 20, v2
	v_lshl_add_u32 v22, v54, 23, 0x3c000000
	v_mov_b32_e32 v104, v99
	v_and_b32_e32 v3, 0x80000000, v3
	s_delay_alu instid0(VALU_DEP_1)
	v_or3_b32 v105, v2, v3, v22
	v_mov_b32_e32 v3, v99
	scratch_store_b64 off, v[2:3], s32 offset:192 ; 8-byte Folded Spill
.LBB230_1480:                           ;   in Loop: Header=BB230_10 Depth=1
	s_wait_xcnt 0x0
	s_or_b32 exec_lo, exec_lo, s11
.LBB230_1481:                           ;   in Loop: Header=BB230_10 Depth=1
	s_delay_alu instid0(SALU_CYCLE_1)
	s_or_b32 exec_lo, exec_lo, s9
.LBB230_1482:                           ;   in Loop: Header=BB230_10 Depth=1
	s_delay_alu instid0(SALU_CYCLE_1)
	s_or_b32 exec_lo, exec_lo, s8
	flat_load_b32 v54, v[92:93] offset:5640
	v_mov_b64_e32 v[90:91], 0
	v_mov_b64_e32 v[44:45], 0
	s_mov_b32 s8, exec_lo
	s_wait_loadcnt_dscnt 0x0
	v_and_b32_e32 v2, 0xff, v54
	s_wait_xcnt 0x0
	s_delay_alu instid0(VALU_DEP_1)
	v_cmpx_ne_u16_e32 0, v2
	s_cbranch_execz .LBB230_1490
; %bb.1483:                             ;   in Loop: Header=BB230_10 Depth=1
	v_mov_b64_e32 v[44:45], 0x80000000
	s_mov_b32 s9, exec_lo
	v_cmpx_ne_u16_e32 0x80, v2
	s_cbranch_execz .LBB230_1489
; %bb.1484:                             ;   in Loop: Header=BB230_10 Depth=1
	v_mov_b64_e32 v[44:45], 0x7f800001
	v_and_b32_e32 v2, 0x7f, v54
	s_mov_b32 s11, exec_lo
	s_delay_alu instid0(VALU_DEP_1)
	v_cmpx_ne_u32_e32 0x7f, v2
	s_cbranch_execz .LBB230_1488
; %bb.1485:                             ;   in Loop: Header=BB230_10 Depth=1
	scratch_load_b64 v[44:45], off, s32 offset:192 th:TH_LOAD_LU ; 8-byte Folded Reload
	s_wait_loadcnt 0x0
	v_and_b32_e32 v44, 7, v54
	v_lshrrev_b32_e32 v55, 3, v2
	v_cmp_gt_u32_e64 s1, 8, v2
	s_delay_alu instid0(VALU_DEP_3)
	v_mov_b64_e32 v[2:3], v[44:45]
	s_wait_xcnt 0x0
	s_and_saveexec_b32 s16, s1
; %bb.1486:                             ;   in Loop: Header=BB230_10 Depth=1
	v_clz_i32_u32_e32 v2, v44
	s_delay_alu instid0(VALU_DEP_1) | instskip(NEXT) | instid1(VALU_DEP_1)
	v_min_u32_e32 v22, 32, v2
	v_subrev_nc_u32_e32 v2, 28, v22
	v_sub_nc_u32_e32 v55, 29, v22
	s_delay_alu instid0(VALU_DEP_2) | instskip(NEXT) | instid1(VALU_DEP_1)
	v_lshlrev_b64_e32 v[2:3], v2, v[44:45]
	v_and_b32_e32 v2, 7, v2
; %bb.1487:                             ;   in Loop: Header=BB230_10 Depth=1
	s_or_b32 exec_lo, exec_lo, s16
	v_lshlrev_b32_e32 v3, 24, v54
	s_delay_alu instid0(VALU_DEP_2) | instskip(SKIP_1) | instid1(VALU_DEP_3)
	v_lshlrev_b32_e32 v2, 20, v2
	v_lshl_add_u32 v22, v55, 23, 0x3c000000
	v_and_b32_e32 v3, 0x80000000, v3
	s_delay_alu instid0(VALU_DEP_1)
	v_or3_b32 v44, v2, v3, v22
	v_mov_b32_e32 v3, v45
	scratch_store_b64 off, v[2:3], s32 offset:192 ; 8-byte Folded Spill
.LBB230_1488:                           ;   in Loop: Header=BB230_10 Depth=1
	s_wait_xcnt 0x0
	s_or_b32 exec_lo, exec_lo, s11
.LBB230_1489:                           ;   in Loop: Header=BB230_10 Depth=1
	s_delay_alu instid0(SALU_CYCLE_1)
	s_or_b32 exec_lo, exec_lo, s9
.LBB230_1490:                           ;   in Loop: Header=BB230_10 Depth=1
	s_delay_alu instid0(SALU_CYCLE_1) | instskip(SKIP_2) | instid1(VALU_DEP_1)
	s_or_b32 exec_lo, exec_lo, s8
	v_lshrrev_b16 v2, 8, v54
	s_mov_b32 s8, exec_lo
	v_cmpx_ne_u16_e32 0, v2
	s_cbranch_execz .LBB230_1498
; %bb.1491:                             ;   in Loop: Header=BB230_10 Depth=1
	v_mov_b64_e32 v[90:91], 0x8000000000000000
	s_mov_b32 s9, exec_lo
	v_cmpx_ne_u16_e32 0x80, v2
	s_cbranch_execz .LBB230_1497
; %bb.1492:                             ;   in Loop: Header=BB230_10 Depth=1
	v_and_b32_e32 v3, 0xffff, v2
	v_mov_b64_e32 v[90:91], 0x7f80000100000000
	s_mov_b32 s11, exec_lo
	s_delay_alu instid0(VALU_DEP_2) | instskip(NEXT) | instid1(VALU_DEP_1)
	v_and_b32_e32 v2, 0x7f, v3
	v_cmpx_ne_u32_e32 0x7f, v2
	s_cbranch_execz .LBB230_1496
; %bb.1493:                             ;   in Loop: Header=BB230_10 Depth=1
	scratch_load_b64 v[98:99], off, s32 offset:192 th:TH_LOAD_LU ; 8-byte Folded Reload
	s_wait_loadcnt 0x0
	v_dual_lshrrev_b32 v55, 3, v2 :: v_dual_bitop2_b32 v98, 7, v3 bitop3:0x40
	v_cmp_gt_u32_e64 s1, 8, v2
	s_delay_alu instid0(VALU_DEP_2)
	v_mov_b64_e32 v[2:3], v[98:99]
	s_wait_xcnt 0x0
	s_and_saveexec_b32 s16, s1
; %bb.1494:                             ;   in Loop: Header=BB230_10 Depth=1
	v_clz_i32_u32_e32 v2, v98
	s_delay_alu instid0(VALU_DEP_1) | instskip(NEXT) | instid1(VALU_DEP_1)
	v_min_u32_e32 v22, 32, v2
	v_subrev_nc_u32_e32 v2, 28, v22
	v_sub_nc_u32_e32 v55, 29, v22
	s_delay_alu instid0(VALU_DEP_2) | instskip(NEXT) | instid1(VALU_DEP_1)
	v_lshlrev_b64_e32 v[2:3], v2, v[98:99]
	v_and_b32_e32 v2, 7, v2
; %bb.1495:                             ;   in Loop: Header=BB230_10 Depth=1
	s_or_b32 exec_lo, exec_lo, s16
	v_dual_mov_b32 v90, v99 :: v_dual_lshlrev_b32 v3, 16, v54
	s_delay_alu instid0(VALU_DEP_2) | instskip(SKIP_1) | instid1(VALU_DEP_3)
	v_lshlrev_b32_e32 v2, 20, v2
	v_lshl_add_u32 v22, v55, 23, 0x3c000000
	v_and_b32_e32 v3, 0x80000000, v3
	s_delay_alu instid0(VALU_DEP_1)
	v_or3_b32 v91, v2, v3, v22
	v_mov_b32_e32 v3, v99
	scratch_store_b64 off, v[2:3], s32 offset:192 ; 8-byte Folded Spill
.LBB230_1496:                           ;   in Loop: Header=BB230_10 Depth=1
	s_wait_xcnt 0x0
	s_or_b32 exec_lo, exec_lo, s11
.LBB230_1497:                           ;   in Loop: Header=BB230_10 Depth=1
	s_delay_alu instid0(SALU_CYCLE_1)
	s_or_b32 exec_lo, exec_lo, s9
.LBB230_1498:                           ;   in Loop: Header=BB230_10 Depth=1
	s_delay_alu instid0(SALU_CYCLE_1) | instskip(SKIP_4) | instid1(VALU_DEP_3)
	s_or_b32 exec_lo, exec_lo, s8
	v_lshrrev_b32_e32 v55, 16, v54
	v_mov_b64_e32 v[72:73], 0
	v_mov_b64_e32 v[2:3], 0
	s_mov_b32 s8, exec_lo
	v_and_b32_e32 v22, 0xff, v55
	s_delay_alu instid0(VALU_DEP_1)
	v_cmpx_ne_u16_e32 0, v22
	s_cbranch_execz .LBB230_1506
; %bb.1499:                             ;   in Loop: Header=BB230_10 Depth=1
	v_mov_b64_e32 v[2:3], 0x80000000
	s_mov_b32 s9, exec_lo
	v_cmpx_ne_u16_e32 0x80, v22
	s_cbranch_execz .LBB230_1505
; %bb.1500:                             ;   in Loop: Header=BB230_10 Depth=1
	v_mov_b64_e32 v[2:3], 0x7f800001
	v_bfe_u32 v59, v54, 16, 7
	s_mov_b32 s11, exec_lo
	s_delay_alu instid0(VALU_DEP_1)
	v_cmpx_ne_u32_e32 0x7f, v59
	s_cbranch_execz .LBB230_1504
; %bb.1501:                             ;   in Loop: Header=BB230_10 Depth=1
	scratch_load_b64 v[98:99], off, s32 offset:192 th:TH_LOAD_LU ; 8-byte Folded Reload
	s_wait_loadcnt 0x0
	v_and_b32_e32 v98, 7, v55
	v_lshrrev_b32_e32 v58, 3, v59
	s_mov_b32 s16, exec_lo
	s_delay_alu instid0(VALU_DEP_2)
	v_mov_b64_e32 v[2:3], v[98:99]
	s_wait_xcnt 0x0
	v_cmpx_gt_u32_e32 8, v59
; %bb.1502:                             ;   in Loop: Header=BB230_10 Depth=1
	v_clz_i32_u32_e32 v2, v98
	s_delay_alu instid0(VALU_DEP_1) | instskip(NEXT) | instid1(VALU_DEP_1)
	v_min_u32_e32 v22, 32, v2
	v_subrev_nc_u32_e32 v2, 28, v22
	v_sub_nc_u32_e32 v58, 29, v22
	s_delay_alu instid0(VALU_DEP_2) | instskip(NEXT) | instid1(VALU_DEP_1)
	v_lshlrev_b64_e32 v[2:3], v2, v[98:99]
	v_and_b32_e32 v2, 7, v2
; %bb.1503:                             ;   in Loop: Header=BB230_10 Depth=1
	s_or_b32 exec_lo, exec_lo, s16
	s_delay_alu instid0(VALU_DEP_1) | instskip(SKIP_1) | instid1(VALU_DEP_2)
	v_dual_lshlrev_b32 v3, 24, v55 :: v_dual_lshlrev_b32 v2, 20, v2
	v_lshl_add_u32 v22, v58, 23, 0x3c000000
	v_and_b32_e32 v3, 0x80000000, v3
	s_delay_alu instid0(VALU_DEP_1)
	v_or3_b32 v98, v2, v3, v22
	v_mov_b32_e32 v3, v99
	scratch_store_b64 off, v[2:3], s32 offset:192 ; 8-byte Folded Spill
	s_wait_xcnt 0x0
	v_mov_b64_e32 v[2:3], v[98:99]
.LBB230_1504:                           ;   in Loop: Header=BB230_10 Depth=1
	s_or_b32 exec_lo, exec_lo, s11
.LBB230_1505:                           ;   in Loop: Header=BB230_10 Depth=1
	s_delay_alu instid0(SALU_CYCLE_1)
	s_or_b32 exec_lo, exec_lo, s9
.LBB230_1506:                           ;   in Loop: Header=BB230_10 Depth=1
	s_delay_alu instid0(SALU_CYCLE_1) | instskip(NEXT) | instid1(SALU_CYCLE_1)
	s_or_b32 exec_lo, exec_lo, s8
	s_mov_b32 s8, exec_lo
	v_cmpx_lt_u32_e32 0xffffff, v54
	s_cbranch_execz .LBB230_1514
; %bb.1507:                             ;   in Loop: Header=BB230_10 Depth=1
	v_mov_b64_e32 v[72:73], 0x8000000000000000
	v_lshrrev_b32_e32 v58, 24, v54
	s_mov_b32 s9, exec_lo
	s_delay_alu instid0(VALU_DEP_1)
	v_cmpx_ne_u32_e32 0x80, v58
	s_cbranch_execz .LBB230_1513
; %bb.1508:                             ;   in Loop: Header=BB230_10 Depth=1
	v_mov_b64_e32 v[72:73], 0x7f80000100000000
	v_bfe_u32 v54, v54, 24, 7
	s_mov_b32 s11, exec_lo
	s_delay_alu instid0(VALU_DEP_1)
	v_cmpx_ne_u32_e32 0x7f, v54
	s_cbranch_execz .LBB230_1512
; %bb.1509:                             ;   in Loop: Header=BB230_10 Depth=1
	scratch_load_b64 v[98:99], off, s32 offset:192 th:TH_LOAD_LU ; 8-byte Folded Reload
	s_wait_loadcnt 0x0
	v_and_b32_e32 v98, 7, v58
	v_lshrrev_b32_e32 v59, 3, v54
	v_cmp_gt_u32_e64 s1, 8, v54
	s_delay_alu instid0(VALU_DEP_3)
	v_mov_b64_e32 v[54:55], v[98:99]
	s_wait_xcnt 0x0
	s_and_saveexec_b32 s16, s1
; %bb.1510:                             ;   in Loop: Header=BB230_10 Depth=1
	v_clz_i32_u32_e32 v22, v98
	s_delay_alu instid0(VALU_DEP_1) | instskip(NEXT) | instid1(VALU_DEP_1)
	v_min_u32_e32 v22, 32, v22
	v_subrev_nc_u32_e32 v23, 28, v22
	v_sub_nc_u32_e32 v59, 29, v22
	s_delay_alu instid0(VALU_DEP_2) | instskip(NEXT) | instid1(VALU_DEP_1)
	v_lshlrev_b64_e32 v[54:55], v23, v[98:99]
	v_and_b32_e32 v54, 7, v54
; %bb.1511:                             ;   in Loop: Header=BB230_10 Depth=1
	s_or_b32 exec_lo, exec_lo, s16
	v_lshlrev_b32_e32 v22, 24, v58
	s_delay_alu instid0(VALU_DEP_2) | instskip(SKIP_1) | instid1(VALU_DEP_3)
	v_dual_mov_b32 v72, v99 :: v_dual_lshlrev_b32 v23, 20, v54
	v_lshl_add_u32 v50, v59, 23, 0x3c000000
	v_and_b32_e32 v22, 0x80000000, v22
	s_delay_alu instid0(VALU_DEP_1)
	v_or3_b32 v73, v23, v22, v50
	v_mov_b32_e32 v23, v99
	scratch_store_b64 off, v[22:23], s32 offset:192 ; 8-byte Folded Spill
.LBB230_1512:                           ;   in Loop: Header=BB230_10 Depth=1
	s_wait_xcnt 0x0
	s_or_b32 exec_lo, exec_lo, s11
.LBB230_1513:                           ;   in Loop: Header=BB230_10 Depth=1
	s_delay_alu instid0(SALU_CYCLE_1)
	s_or_b32 exec_lo, exec_lo, s9
.LBB230_1514:                           ;   in Loop: Header=BB230_10 Depth=1
	s_delay_alu instid0(SALU_CYCLE_1)
	s_or_b32 exec_lo, exec_lo, s8
	flat_load_b32 v92, v[92:93] offset:5644
	v_mov_b64_e32 v[10:11], 0
	v_mov_b64_e32 v[6:7], 0
	s_mov_b32 s8, exec_lo
	s_wait_loadcnt_dscnt 0x0
	v_and_b32_e32 v22, 0xff, v92
	s_wait_xcnt 0x0
	s_delay_alu instid0(VALU_DEP_1)
	v_cmpx_ne_u16_e32 0, v22
	s_cbranch_execz .LBB230_1522
; %bb.1515:                             ;   in Loop: Header=BB230_10 Depth=1
	v_mov_b64_e32 v[6:7], 0x80000000
	s_mov_b32 s9, exec_lo
	v_cmpx_ne_u16_e32 0x80, v22
	s_cbranch_execz .LBB230_1521
; %bb.1516:                             ;   in Loop: Header=BB230_10 Depth=1
	v_mov_b64_e32 v[6:7], 0x7f800001
	v_and_b32_e32 v54, 0x7f, v92
	s_mov_b32 s11, exec_lo
	s_delay_alu instid0(VALU_DEP_1)
	v_cmpx_ne_u32_e32 0x7f, v54
	s_cbranch_execz .LBB230_1520
; %bb.1517:                             ;   in Loop: Header=BB230_10 Depth=1
	scratch_load_b64 v[6:7], off, s32 offset:192 th:TH_LOAD_LU ; 8-byte Folded Reload
	s_wait_loadcnt 0x0
	v_dual_lshrrev_b32 v58, 3, v54 :: v_dual_bitop2_b32 v6, 7, v92 bitop3:0x40
	v_cmp_gt_u32_e64 s1, 8, v54
	s_delay_alu instid0(VALU_DEP_2)
	v_mov_b64_e32 v[54:55], v[6:7]
	s_wait_xcnt 0x0
	s_and_saveexec_b32 s16, s1
; %bb.1518:                             ;   in Loop: Header=BB230_10 Depth=1
	v_clz_i32_u32_e32 v22, v6
	s_delay_alu instid0(VALU_DEP_1) | instskip(NEXT) | instid1(VALU_DEP_1)
	v_min_u32_e32 v22, 32, v22
	v_subrev_nc_u32_e32 v23, 28, v22
	v_sub_nc_u32_e32 v58, 29, v22
	s_delay_alu instid0(VALU_DEP_2) | instskip(NEXT) | instid1(VALU_DEP_1)
	v_lshlrev_b64_e32 v[54:55], v23, v[6:7]
	v_and_b32_e32 v54, 7, v54
; %bb.1519:                             ;   in Loop: Header=BB230_10 Depth=1
	s_or_b32 exec_lo, exec_lo, s16
	s_delay_alu instid0(VALU_DEP_1) | instskip(SKIP_1) | instid1(VALU_DEP_2)
	v_dual_lshlrev_b32 v22, 24, v92 :: v_dual_lshlrev_b32 v23, 20, v54
	v_lshl_add_u32 v50, v58, 23, 0x3c000000
	v_and_b32_e32 v22, 0x80000000, v22
	s_delay_alu instid0(VALU_DEP_1)
	v_or3_b32 v6, v23, v22, v50
	v_mov_b32_e32 v23, v7
	scratch_store_b64 off, v[22:23], s32 offset:192 ; 8-byte Folded Spill
.LBB230_1520:                           ;   in Loop: Header=BB230_10 Depth=1
	s_wait_xcnt 0x0
	s_or_b32 exec_lo, exec_lo, s11
.LBB230_1521:                           ;   in Loop: Header=BB230_10 Depth=1
	s_delay_alu instid0(SALU_CYCLE_1)
	s_or_b32 exec_lo, exec_lo, s9
.LBB230_1522:                           ;   in Loop: Header=BB230_10 Depth=1
	s_delay_alu instid0(SALU_CYCLE_1) | instskip(SKIP_2) | instid1(VALU_DEP_1)
	s_or_b32 exec_lo, exec_lo, s8
	v_lshrrev_b16 v22, 8, v92
	s_mov_b32 s8, exec_lo
	v_cmpx_ne_u16_e32 0, v22
	s_cbranch_execz .LBB230_1530
; %bb.1523:                             ;   in Loop: Header=BB230_10 Depth=1
	v_mov_b64_e32 v[10:11], 0x8000000000000000
	s_mov_b32 s9, exec_lo
	v_cmpx_ne_u16_e32 0x80, v22
	s_cbranch_execz .LBB230_1529
; %bb.1524:                             ;   in Loop: Header=BB230_10 Depth=1
	v_and_b32_e32 v22, 0xffff, v22
	v_mov_b64_e32 v[10:11], 0x7f80000100000000
	s_mov_b32 s11, exec_lo
	s_delay_alu instid0(VALU_DEP_2) | instskip(NEXT) | instid1(VALU_DEP_1)
	v_and_b32_e32 v54, 0x7f, v22
	v_cmpx_ne_u32_e32 0x7f, v54
	s_cbranch_execz .LBB230_1528
; %bb.1525:                             ;   in Loop: Header=BB230_10 Depth=1
	scratch_load_b64 v[98:99], off, s32 offset:192 th:TH_LOAD_LU ; 8-byte Folded Reload
	s_wait_loadcnt 0x0
	v_and_b32_e32 v98, 7, v22
	v_lshrrev_b32_e32 v58, 3, v54
	v_cmp_gt_u32_e64 s1, 8, v54
	s_delay_alu instid0(VALU_DEP_3)
	v_mov_b64_e32 v[54:55], v[98:99]
	s_wait_xcnt 0x0
	s_and_saveexec_b32 s16, s1
; %bb.1526:                             ;   in Loop: Header=BB230_10 Depth=1
	v_clz_i32_u32_e32 v22, v98
	s_delay_alu instid0(VALU_DEP_1) | instskip(NEXT) | instid1(VALU_DEP_1)
	v_min_u32_e32 v22, 32, v22
	v_subrev_nc_u32_e32 v23, 28, v22
	v_sub_nc_u32_e32 v58, 29, v22
	s_delay_alu instid0(VALU_DEP_2) | instskip(NEXT) | instid1(VALU_DEP_1)
	v_lshlrev_b64_e32 v[54:55], v23, v[98:99]
	v_and_b32_e32 v54, 7, v54
; %bb.1527:                             ;   in Loop: Header=BB230_10 Depth=1
	s_or_b32 exec_lo, exec_lo, s16
	s_delay_alu instid0(VALU_DEP_1) | instskip(SKIP_2) | instid1(VALU_DEP_3)
	v_dual_lshlrev_b32 v22, 16, v92 :: v_dual_lshlrev_b32 v23, 20, v54
	v_lshl_add_u32 v50, v58, 23, 0x3c000000
	v_mov_b32_e32 v10, v99
	v_and_b32_e32 v22, 0x80000000, v22
	s_delay_alu instid0(VALU_DEP_1)
	v_or3_b32 v11, v23, v22, v50
	v_mov_b32_e32 v23, v99
	scratch_store_b64 off, v[22:23], s32 offset:192 ; 8-byte Folded Spill
.LBB230_1528:                           ;   in Loop: Header=BB230_10 Depth=1
	s_wait_xcnt 0x0
	s_or_b32 exec_lo, exec_lo, s11
.LBB230_1529:                           ;   in Loop: Header=BB230_10 Depth=1
	s_delay_alu instid0(SALU_CYCLE_1)
	s_or_b32 exec_lo, exec_lo, s9
.LBB230_1530:                           ;   in Loop: Header=BB230_10 Depth=1
	s_delay_alu instid0(SALU_CYCLE_1) | instskip(SKIP_4) | instid1(VALU_DEP_3)
	s_or_b32 exec_lo, exec_lo, s8
	v_lshrrev_b32_e32 v93, 16, v92
	v_mov_b64_e32 v[4:5], 0
	v_mov_b64_e32 v[58:59], 0
	s_mov_b32 s8, exec_lo
	v_and_b32_e32 v22, 0xff, v93
	s_delay_alu instid0(VALU_DEP_1)
	v_cmpx_ne_u16_e32 0, v22
	s_cbranch_execz .LBB230_1538
; %bb.1531:                             ;   in Loop: Header=BB230_10 Depth=1
	v_mov_b64_e32 v[58:59], 0x80000000
	s_mov_b32 s9, exec_lo
	v_cmpx_ne_u16_e32 0x80, v22
	s_cbranch_execz .LBB230_1537
; %bb.1532:                             ;   in Loop: Header=BB230_10 Depth=1
	v_mov_b64_e32 v[58:59], 0x7f800001
	v_bfe_u32 v54, v92, 16, 7
	s_mov_b32 s11, exec_lo
	s_delay_alu instid0(VALU_DEP_1)
	v_cmpx_ne_u32_e32 0x7f, v54
	s_cbranch_execz .LBB230_1536
; %bb.1533:                             ;   in Loop: Header=BB230_10 Depth=1
	scratch_load_b64 v[98:99], off, s32 offset:192 th:TH_LOAD_LU ; 8-byte Folded Reload
	s_wait_loadcnt 0x0
	v_dual_lshrrev_b32 v58, 3, v54 :: v_dual_bitop2_b32 v98, 7, v93 bitop3:0x40
	v_cmp_gt_u32_e64 s1, 8, v54
	s_delay_alu instid0(VALU_DEP_2)
	v_mov_b64_e32 v[54:55], v[98:99]
	s_wait_xcnt 0x0
	s_and_saveexec_b32 s16, s1
; %bb.1534:                             ;   in Loop: Header=BB230_10 Depth=1
	v_clz_i32_u32_e32 v22, v98
	s_delay_alu instid0(VALU_DEP_1) | instskip(NEXT) | instid1(VALU_DEP_1)
	v_min_u32_e32 v22, 32, v22
	v_subrev_nc_u32_e32 v23, 28, v22
	v_sub_nc_u32_e32 v58, 29, v22
	s_delay_alu instid0(VALU_DEP_2) | instskip(NEXT) | instid1(VALU_DEP_1)
	v_lshlrev_b64_e32 v[54:55], v23, v[98:99]
	v_and_b32_e32 v54, 7, v54
; %bb.1535:                             ;   in Loop: Header=BB230_10 Depth=1
	s_or_b32 exec_lo, exec_lo, s16
	s_delay_alu instid0(VALU_DEP_1) | instskip(SKIP_1) | instid1(VALU_DEP_2)
	v_dual_lshlrev_b32 v22, 24, v93 :: v_dual_lshlrev_b32 v23, 20, v54
	v_lshl_add_u32 v50, v58, 23, 0x3c000000
	v_and_b32_e32 v22, 0x80000000, v22
	s_delay_alu instid0(VALU_DEP_1) | instskip(SKIP_1) | instid1(VALU_DEP_2)
	v_or3_b32 v98, v23, v22, v50
	v_mov_b32_e32 v23, v99
	v_mov_b64_e32 v[58:59], v[98:99]
	scratch_store_b64 off, v[22:23], s32 offset:192 ; 8-byte Folded Spill
.LBB230_1536:                           ;   in Loop: Header=BB230_10 Depth=1
	s_wait_xcnt 0x0
	s_or_b32 exec_lo, exec_lo, s11
.LBB230_1537:                           ;   in Loop: Header=BB230_10 Depth=1
	s_delay_alu instid0(SALU_CYCLE_1)
	s_or_b32 exec_lo, exec_lo, s9
.LBB230_1538:                           ;   in Loop: Header=BB230_10 Depth=1
	s_delay_alu instid0(SALU_CYCLE_1)
	s_or_b32 exec_lo, exec_lo, s8
	v_cmp_lt_u32_e64 s1, 0xffffff, v92
	s_mov_b32 s8, exec_lo
	s_clause 0x1
	scratch_load_b32 v22, off, s32 offset:1280
	scratch_load_b32 v50, off, s32 offset:1276
	v_mov_b32_e32 v23, v51
	s_and_b32 s1, s8, s1
	s_wait_xcnt 0x0
	s_mov_b32 exec_lo, s1
	s_cbranch_execz .LBB230_9
; %bb.1539:                             ;   in Loop: Header=BB230_10 Depth=1
	v_mov_b64_e32 v[4:5], 0x8000000000000000
	v_lshrrev_b32_e32 v93, 24, v92
	s_mov_b32 s9, exec_lo
	s_delay_alu instid0(VALU_DEP_1)
	v_cmpx_ne_u32_e32 0x80, v93
	s_cbranch_execz .LBB230_8
; %bb.1540:                             ;   in Loop: Header=BB230_10 Depth=1
	v_mov_b64_e32 v[4:5], 0x7f80000100000000
	v_bfe_u32 v54, v92, 24, 7
	s_mov_b32 s11, exec_lo
	s_delay_alu instid0(VALU_DEP_1)
	v_cmpx_ne_u32_e32 0x7f, v54
	s_cbranch_execz .LBB230_7
; %bb.1541:                             ;   in Loop: Header=BB230_10 Depth=1
	scratch_load_b64 v[98:99], off, s32 offset:192 th:TH_LOAD_LU ; 8-byte Folded Reload
	s_wait_loadcnt 0x0
	v_dual_lshrrev_b32 v92, 3, v54 :: v_dual_bitop2_b32 v98, 7, v93 bitop3:0x40
	v_cmp_gt_u32_e64 s1, 8, v54
	s_delay_alu instid0(VALU_DEP_2)
	v_mov_b64_e32 v[54:55], v[98:99]
	s_wait_xcnt 0x0
	s_and_saveexec_b32 s16, s1
	s_cbranch_execz .LBB230_6
; %bb.1542:                             ;   in Loop: Header=BB230_10 Depth=1
	v_clz_i32_u32_e32 v22, v98
	s_delay_alu instid0(VALU_DEP_1) | instskip(NEXT) | instid1(VALU_DEP_1)
	v_min_u32_e32 v22, 32, v22
	v_subrev_nc_u32_e32 v23, 28, v22
	v_sub_nc_u32_e32 v92, 29, v22
	s_delay_alu instid0(VALU_DEP_2) | instskip(NEXT) | instid1(VALU_DEP_1)
	v_lshlrev_b64_e32 v[54:55], v23, v[98:99]
	v_and_b32_e32 v54, 7, v54
	s_branch .LBB230_6
.LBB230_1543:
	s_or_b32 exec_lo, exec_lo, s3
	s_clause 0x1
	scratch_load_b32 v24, off, s32 offset:2320
	scratch_load_b32 v9, off, s32 offset:2384
.LBB230_1544:
	s_wait_xcnt 0x0
	s_or_b32 exec_lo, exec_lo, s2
	v_mbcnt_lo_u32_b32 v2, -1, 0
	v_max_num_f32_e32 v4, v10, v10
	s_delay_alu instid0(VALU_DEP_2) | instskip(SKIP_1) | instid1(VALU_DEP_1)
	v_xor_b32_e32 v3, 8, v2
	v_xor_b32_e32 v0, 16, v2
	v_cmp_gt_i32_e32 vcc_lo, 32, v0
	v_cndmask_b32_e32 v0, v2, v0, vcc_lo
	s_delay_alu instid0(VALU_DEP_4) | instskip(NEXT) | instid1(VALU_DEP_2)
	v_cmp_gt_i32_e32 vcc_lo, 32, v3
	v_dual_cndmask_b32 v3, v2, v3 :: v_dual_lshlrev_b32 v0, 2, v0
	ds_bpermute_b32 v1, v0, v10
	s_wait_dscnt 0x0
	v_dual_max_num_f32 v5, v1, v1 :: v_dual_lshlrev_b32 v1, 2, v3
	s_delay_alu instid0(VALU_DEP_1) | instskip(SKIP_3) | instid1(VALU_DEP_1)
	v_max_num_f32_e32 v3, v4, v5
	ds_bpermute_b32 v4, v1, v3
	s_wait_dscnt 0x0
	v_dual_max_num_f32 v4, v4, v4 :: v_dual_bitop2_b32 v5, 4, v2 bitop3:0x14
	v_cmp_gt_i32_e32 vcc_lo, 32, v5
	s_delay_alu instid0(VALU_DEP_2) | instskip(NEXT) | instid1(VALU_DEP_1)
	v_dual_max_num_f32 v3, v3, v4 :: v_dual_cndmask_b32 v5, v2, v5, vcc_lo
	v_lshlrev_b32_e32 v71, 2, v5
	ds_bpermute_b32 v4, v71, v3
	s_wait_dscnt 0x0
	v_dual_max_num_f32 v4, v4, v4 :: v_dual_bitop2_b32 v5, 2, v2 bitop3:0x14
	s_delay_alu instid0(VALU_DEP_1) | instskip(NEXT) | instid1(VALU_DEP_2)
	v_cmp_gt_i32_e32 vcc_lo, 32, v5
	v_dual_max_num_f32 v3, v3, v4 :: v_dual_cndmask_b32 v5, v2, v5, vcc_lo
	s_delay_alu instid0(VALU_DEP_1) | instskip(SKIP_4) | instid1(VALU_DEP_1)
	v_dual_lshlrev_b32 v26, 2, v5 :: v_dual_bitop2_b32 v5, 1, v2 bitop3:0x14
	ds_bpermute_b32 v4, v26, v3
	v_cmp_gt_i32_e32 vcc_lo, 32, v5
	v_cndmask_b32_e32 v5, v2, v5, vcc_lo
	s_wait_dscnt 0x0
	v_dual_max_num_f32 v4, v4, v4 :: v_dual_lshlrev_b32 v25, 2, v5
	s_delay_alu instid0(VALU_DEP_1)
	v_max_num_f32_e32 v2, v3, v4
	scratch_load_b32 v3, off, s32 offset:2324 ; 4-byte Folded Reload
	ds_bpermute_b32 v4, v25, v2
	s_wait_loadcnt 0x0
	v_cmp_eq_u32_e32 vcc_lo, 0, v3
	scratch_load_b32 v3, off, s32 offset:2328 ; 4-byte Folded Reload
	s_wait_loadcnt 0x0
	v_lshlrev_b32_e32 v3, 2, v3
	s_wait_xcnt 0x0
	s_and_saveexec_b32 s1, vcc_lo
	s_cbranch_execz .LBB230_1546
; %bb.1545:
	s_wait_dscnt 0x0
	v_dual_max_num_f32 v4, v4, v4 :: v_dual_max_num_f32 v2, v2, v2
	s_delay_alu instid0(VALU_DEP_1)
	v_max_num_f32_e32 v2, v2, v4
	ds_store_b32 v3, v2 offset:768
.LBB230_1546:
	s_or_b32 exec_lo, exec_lo, s1
	scratch_load_b32 v2, off, s32 offset:2324 ; 4-byte Folded Reload
	s_wait_storecnt 0x0
	s_wait_loadcnt_dscnt 0x0
	s_barrier_signal -1
	s_barrier_wait -1
	v_cmp_gt_u32_e64 s1, 4, v2
	v_mov_b32_e32 v2, 0xff7fffff
	s_and_saveexec_b32 s2, s1
; %bb.1547:
	ds_load_b32 v2, v9 offset:768
; %bb.1548:
	s_or_b32 exec_lo, exec_lo, s2
	s_wait_dscnt 0x0
	ds_bpermute_b32 v4, v26, v2
	v_max_num_f32_e32 v2, v2, v2
	scratch_load_b64 v[6:7], off, s32 offset:200 ; 8-byte Folded Reload
	s_wait_dscnt 0x0
	v_max_num_f32_e32 v4, v4, v4
	s_delay_alu instid0(VALU_DEP_1) | instskip(SKIP_3) | instid1(VALU_DEP_1)
	v_max_num_f32_e32 v2, v2, v4
	ds_bpermute_b32 v4, v25, v2
	s_wait_dscnt 0x0
	v_max_num_f32_e32 v4, v4, v4
	v_dual_max_num_f32 v2, v2, v4 :: v_dual_mov_b32 v4, 0
	ds_bpermute_b32 v5, v4, v2
	scratch_load_b32 v2, off, s32 offset:208 ; 4-byte Folded Reload
	s_wait_loadcnt 0x0
	v_lshlrev_b32_e32 v2, 5, v2
	s_delay_alu instid0(VALU_DEP_1) | instskip(NEXT) | instid1(VALU_DEP_1)
	v_min_i32_e32 v2, v2, v6
	v_cmp_lt_i32_e64 s2, v24, v2
	s_and_saveexec_b32 s8, s2
	s_cbranch_execz .LBB230_1552
; %bb.1549:
	s_ashr_i32 s11, s10, 31
	v_dual_mov_b32 v4, 0 :: v_dual_mov_b32 v7, v24
	s_lshl_b64 s[16:17], s[10:11], 2
	s_mov_b32 s9, 0
	s_add_nc_u64 s[16:17], s[6:7], s[16:17]
	s_load_b32 s3, s[16:17], 0x0
	s_wait_kmcnt 0x0
	v_lshl_add_u32 v6, v24, 2, s3
.LBB230_1550:                           ; =>This Inner Loop Header: Depth=1
	ds_load_b32 v8, v6
	v_add_nc_u32_e32 v7, 0x80, v7
	s_delay_alu instid0(VALU_DEP_1) | instskip(SKIP_3) | instid1(VALU_DEP_1)
	v_cmp_ge_i32_e64 s3, v7, v2
	s_or_b32 s9, s3, s9
	s_wait_dscnt 0x0
	v_sub_f32_e32 v8, v8, v5
	v_mul_f32_e32 v8, 0x3fb8aa3b, v8
	s_delay_alu instid0(VALU_DEP_1)
	v_exp_f32_e32 v8, v8
	ds_store_b32 v6, v8
	v_nop
	v_add_f32_e32 v4, v4, v8
	v_add_nc_u32_e32 v6, 0x200, v6
	s_and_not1_b32 exec_lo, exec_lo, s9
	s_cbranch_execnz .LBB230_1550
; %bb.1551:
	s_or_b32 exec_lo, exec_lo, s9
.LBB230_1552:
	s_delay_alu instid0(SALU_CYCLE_1)
	s_or_b32 exec_lo, exec_lo, s8
	ds_bpermute_b32 v0, v0, v4
	s_wait_dscnt 0x0
	v_add_f32_e32 v0, v4, v0
	ds_bpermute_b32 v1, v1, v0
	s_wait_dscnt 0x0
	v_add_f32_e32 v0, v0, v1
	;; [unrolled: 3-line block ×5, first 2 shown]
	s_and_saveexec_b32 s3, vcc_lo
; %bb.1553:
	ds_store_b32 v3, v0 offset:784
; %bb.1554:
	s_or_b32 exec_lo, exec_lo, s3
	s_wait_dscnt 0x0
	s_barrier_signal -1
	s_barrier_wait -1
	s_and_saveexec_b32 s3, s1
; %bb.1555:
	ds_load_b32 v0, v9 offset:784
; %bb.1556:
	s_or_b32 exec_lo, exec_lo, s3
	s_wait_dscnt 0x0
	ds_bpermute_b32 v1, v26, v0
	s_wait_dscnt 0x0
	v_add_f32_e32 v0, v0, v1
	ds_bpermute_b32 v1, v25, v0
	s_wait_dscnt 0x0
	v_dual_add_f32 v0, v0, v1 :: v_dual_mov_b32 v1, 0
	ds_bpermute_b32 v0, v1, v0
	s_and_saveexec_b32 s1, s2
	s_cbranch_execz .LBB230_1569
; %bb.1557:
	s_wait_dscnt 0x0
	v_add_f32_e32 v0, 0x358637bd, v0
	s_mov_b32 s3, -1
	s_mov_b32 s2, exec_lo
	s_delay_alu instid0(VALU_DEP_1) | instskip(SKIP_1) | instid1(VALU_DEP_2)
	v_div_scale_f32 v1, null, v0, v0, 1.0
	v_div_scale_f32 v5, vcc_lo, 1.0, v0, 1.0
	v_rcp_f32_e32 v4, v1
	v_nop
	s_delay_alu instid0(TRANS32_DEP_1) | instskip(NEXT) | instid1(VALU_DEP_1)
	v_fma_f32 v3, -v1, v4, 1.0
	v_fmac_f32_e32 v4, v3, v4
	s_delay_alu instid0(VALU_DEP_1) | instskip(NEXT) | instid1(VALU_DEP_1)
	v_mul_f32_e32 v6, v5, v4
	v_fma_f32 v3, -v1, v6, v5
	s_delay_alu instid0(VALU_DEP_1) | instskip(SKIP_1) | instid1(VALU_DEP_2)
	v_fmac_f32_e32 v6, v3, v4
	v_xad_u32 v3, v24, -1, v2
	v_fma_f32 v1, -v1, v6, v5
	s_delay_alu instid0(VALU_DEP_1) | instskip(NEXT) | instid1(VALU_DEP_1)
	v_div_fmas_f32 v1, v1, v4, v6
	v_div_fixup_f32 v0, v1, v0, 1.0
	v_mov_b32_e32 v1, v24
	v_cmpx_lt_u32_e32 0x7f, v3
	s_cbranch_execz .LBB230_1566
; %bb.1558:
	s_delay_alu instid0(VALU_DEP_3) | instskip(NEXT) | instid1(VALU_DEP_1)
	v_dual_lshrrev_b32 v3, 7, v3 :: v_dual_mov_b32 v1, v0
	v_dual_mov_b32 v7, 0 :: v_dual_add_nc_u32 v4, -1, v3
	s_delay_alu instid0(VALU_DEP_1) | instskip(SKIP_1) | instid1(VALU_DEP_2)
	v_lshrrev_b32_e32 v5, 1, v4
	v_cmp_lt_u32_e32 vcc_lo, 13, v4
	v_add_nc_u32_e32 v4, 1, v5
	s_and_saveexec_b32 s3, vcc_lo
	s_cbranch_execz .LBB230_1562
; %bb.1559:
	s_ashr_i32 s11, s10, 31
	s_delay_alu instid0(VALU_DEP_1) | instskip(SKIP_1) | instid1(SALU_CYCLE_1)
	v_and_b32_e32 v5, -8, v4
	s_lshl_b64 s[8:9], s[10:11], 2
	s_add_nc_u64 s[8:9], s[6:7], s[8:9]
	s_load_b32 s8, s[8:9], 0x0
	s_wait_xcnt 0x0
	s_mov_b32 s9, 0
	s_wait_kmcnt 0x0
	v_lshl_add_u32 v6, v24, 2, s8
	s_mov_b32 s8, 0
.LBB230_1560:                           ; =>This Inner Loop Header: Depth=1
	ds_load_2addr_stride64_b32 v[8:9], v6 offset1:2
	ds_load_2addr_stride64_b32 v[10:11], v6 offset0:4 offset1:6
	ds_load_2addr_stride64_b32 v[12:13], v6 offset0:8 offset1:10
	;; [unrolled: 1-line block ×7, first 2 shown]
	s_add_co_i32 s9, s9, 16
	s_delay_alu instid0(SALU_CYCLE_1) | instskip(NEXT) | instid1(VALU_DEP_1)
	v_dual_add_nc_u32 v5, -8, v5 :: v_dual_mov_b32 v7, s9
	v_cmp_eq_u32_e32 vcc_lo, 0, v5
	s_or_b32 s8, vcc_lo, s8
	s_wait_dscnt 0x7
	v_pk_mul_f32 v[8:9], v[0:1], v[8:9]
	s_wait_dscnt 0x6
	v_pk_mul_f32 v[10:11], v[0:1], v[10:11]
	;; [unrolled: 2-line block ×8, first 2 shown]
	ds_store_2addr_stride64_b32 v6, v8, v9 offset1:2
	ds_store_2addr_stride64_b32 v6, v10, v11 offset0:4 offset1:6
	ds_store_2addr_stride64_b32 v6, v12, v13 offset0:8 offset1:10
	;; [unrolled: 1-line block ×7, first 2 shown]
	v_add_nc_u32_e32 v6, 0x2000, v6
	s_and_not1_b32 exec_lo, exec_lo, s8
	s_cbranch_execnz .LBB230_1560
; %bb.1561:
	s_or_b32 exec_lo, exec_lo, s8
.LBB230_1562:
	s_delay_alu instid0(SALU_CYCLE_1) | instskip(NEXT) | instid1(VALU_DEP_1)
	s_or_b32 exec_lo, exec_lo, s3
	v_and_b32_e32 v4, 7, v4
	s_mov_b32 s8, 0
	s_mov_b32 s3, exec_lo
	s_delay_alu instid0(VALU_DEP_1)
	v_cmpx_ne_u32_e32 0, v4
	s_cbranch_execz .LBB230_1565
; %bb.1563:
	s_ashr_i32 s11, s10, 31
	v_dual_lshlrev_b32 v5, 9, v7 :: v_dual_lshlrev_b32 v6, 2, v24
	s_lshl_b64 s[16:17], s[10:11], 2
	s_delay_alu instid0(SALU_CYCLE_1)
	s_add_nc_u64 s[16:17], s[6:7], s[16:17]
	s_load_b32 s9, s[16:17], 0x0
	s_wait_kmcnt 0x0
	v_add3_u32 v5, v5, v6, s9
.LBB230_1564:                           ; =>This Inner Loop Header: Depth=1
	ds_load_2addr_stride64_b32 v[6:7], v5 offset1:2
	v_add_nc_u32_e32 v4, -1, v4
	s_delay_alu instid0(VALU_DEP_1)
	v_cmp_eq_u32_e32 vcc_lo, 0, v4
	s_or_b32 s8, vcc_lo, s8
	s_wait_dscnt 0x0
	v_pk_mul_f32 v[6:7], v[0:1], v[6:7]
	ds_store_2addr_stride64_b32 v5, v6, v7 offset1:2
	v_add_nc_u32_e32 v5, 0x400, v5
	s_and_not1_b32 exec_lo, exec_lo, s8
	s_cbranch_execnz .LBB230_1564
.LBB230_1565:
	s_or_b32 exec_lo, exec_lo, s3
	v_add_nc_u32_e32 v1, 1, v3
	s_delay_alu instid0(VALU_DEP_1) | instskip(NEXT) | instid1(VALU_DEP_1)
	v_and_b32_e32 v3, 0x3fffffe, v1
	v_cmp_ne_u32_e32 vcc_lo, v1, v3
	v_lshl_add_u32 v1, v3, 7, v24
	s_or_not1_b32 s3, vcc_lo, exec_lo
.LBB230_1566:
	s_or_b32 exec_lo, exec_lo, s2
	s_delay_alu instid0(SALU_CYCLE_1)
	s_and_b32 exec_lo, exec_lo, s3
	s_cbranch_execz .LBB230_1569
; %bb.1567:
	s_ashr_i32 s11, s10, 31
	s_delay_alu instid0(SALU_CYCLE_1) | instskip(NEXT) | instid1(SALU_CYCLE_1)
	s_lshl_b64 s[2:3], s[10:11], 2
	s_add_nc_u64 s[2:3], s[6:7], s[2:3]
	s_load_b32 s2, s[2:3], 0x0
	s_wait_kmcnt 0x0
	v_lshl_add_u32 v3, v1, 2, s2
	s_mov_b32 s2, 0
.LBB230_1568:                           ; =>This Inner Loop Header: Depth=1
	ds_load_b32 v4, v3
	s_wait_dscnt 0x0
	v_dual_mul_f32 v4, v0, v4 :: v_dual_add_nc_u32 v1, 0x80, v1
	s_delay_alu instid0(VALU_DEP_1) | instskip(SKIP_3) | instid1(SALU_CYCLE_1)
	v_cmp_ge_i32_e32 vcc_lo, v1, v2
	ds_store_b32 v3, v4
	v_add_nc_u32_e32 v3, 0x200, v3
	s_or_b32 s2, vcc_lo, s2
	s_and_not1_b32 exec_lo, exec_lo, s2
	s_cbranch_execnz .LBB230_1568
.LBB230_1569:
	s_or_b32 exec_lo, exec_lo, s1
	s_wait_dscnt 0x0
	s_barrier_signal -1
	s_barrier_wait -1
	s_and_saveexec_b32 s1, s0
	s_delay_alu instid0(SALU_CYCLE_1)
	s_xor_b32 s0, exec_lo, s1
	s_cbranch_execz .LBB230_1571
; %bb.1570:
	s_ashr_i32 s11, s10, 31
                                        ; implicit-def: $vgpr0
	s_clause 0x2
	scratch_store_b64 off, v[0:1], s32 offset:200
	; meta instruction
	; meta instruction
	;; [unrolled: 1-line block ×3, first 2 shown]
	scratch_store_b64 off, v[0:1], s32 offset:1284
	; meta instruction
	; meta instruction
	;; [unrolled: 1-line block ×9, first 2 shown]
	scratch_store_b64 off, v[0:1], s32 offset:2332
                                        ; implicit-def: $vgpr0
                                        ; kill: killed $vgpr0
.LBB230_1571:
	s_wait_xcnt 0x0
	s_or_saveexec_b32 s1, s0
	v_dual_mov_b32 v3, 0 :: v_dual_bitop2_b32 v2, 7, v24 bitop3:0x40
	v_mov_b64_e32 v[0:1], s[10:11]
	s_clause 0x1
	scratch_store_b32 off, v26, s32 offset:796
	scratch_store_b32 off, v25, s32 offset:788
	v_dual_mov_b32 v80, 0 :: v_dual_mov_b32 v117, 0
	scratch_store_b32 off, v2, s32 offset:780 ; 4-byte Folded Spill
	s_wait_xcnt 0x0
	v_dual_mov_b32 v2, 0 :: v_dual_mov_b32 v81, 0
	v_dual_mov_b32 v116, 0 :: v_dual_mov_b32 v115, 0
	;; [unrolled: 1-line block ×22, first 2 shown]
	v_mov_b32_e32 v68, 0
	scratch_store_b64 off, v[2:3], s32 offset:652 ; 8-byte Folded Spill
	s_wait_xcnt 0x0
	s_xor_b32 exec_lo, exec_lo, s1
	s_cbranch_execz .LBB230_3207
; %bb.1572:
	s_clause 0x1
	scratch_load_b64 v[0:1], off, s32 offset:2360 th:TH_LOAD_LU
	scratch_store_b32 off, v71, s32 offset:804
	s_ashr_i32 s11, s10, 31
	v_dual_mov_b32 v13, 0 :: v_dual_mov_b32 v12, 0
	s_lshl_b64 s[2:3], s[10:11], 2
	v_dual_mov_b32 v25, 0 :: v_dual_mov_b32 v24, 0
	s_add_nc_u64 s[2:3], s[6:7], s[2:3]
	v_dual_mov_b32 v27, 0 :: v_dual_mov_b32 v26, 0
	v_dual_mov_b32 v29, 0 :: v_dual_mov_b32 v28, 0
	;; [unrolled: 1-line block ×14, first 2 shown]
	s_wait_loadcnt 0x0
	flat_load_b32 v70, v[0:1]
	scratch_load_b32 v0, off, s32 offset:2320 ; 4-byte Folded Reload
	v_mov_b32_e32 v17, 0
	s_wait_loadcnt_dscnt 0x100
	s_delay_alu instid0(VALU_DEP_1)
	v_dual_mov_b32 v7, v17 :: v_dual_mov_b32 v71, v70
	s_wait_loadcnt 0x0
	v_lshlrev_b32_e32 v2, 2, v0
	s_clause 0x1
	scratch_load_b64 v[0:1], off, s32 offset:2368 th:TH_LOAD_LU
	scratch_load_b64 v[4:5], off, s32 offset:2332 th:TH_LOAD_LU
	s_load_b32 s0, s[2:3], 0x0
	s_wait_xcnt 0x0
	s_mov_b32 s2, 0
	v_and_b32_e32 v6, 0x7c, v2
	scratch_store_b64 off, v[6:7], s32 offset:756 ; 8-byte Folded Spill
	s_wait_xcnt 0x0
	v_or_b32_e32 v6, 0xf80, v2
	s_clause 0x1
	scratch_store_b64 off, v[6:7], s32 offset:764
	scratch_load_b64 v[6:7], off, s32 offset:2340 th:TH_LOAD_LU
	s_wait_loadcnt 0x1
	v_add_nc_u64_e32 v[0:1], v[0:1], v[4:5]
	v_and_b32_e32 v4, 28, v2
	s_clause 0x2
	scratch_load_b32 v5, off, s32 offset:2328
	scratch_store_b64 off, v[0:1], s32 offset:748
	scratch_load_b64 v[0:1], off, s32 offset:200
	s_wait_loadcnt 0x1
	v_lshl_or_b32 v18, v5, 5, v4
	s_wait_loadcnt 0x0
	v_dual_mov_b32 v19, v5 :: v_dual_mov_b32 v1, v0
	s_clause 0x1
	scratch_store_b64 off, v[0:1], s32 offset:772
	scratch_load_b32 v0, off, s32 offset:2356 th:TH_LOAD_LU
	v_mov_b32_e32 v1, 0
	s_wait_loadcnt 0x0
	v_and_b32_e32 v16, 0x7c, v0
	scratch_load_b32 v0, off, s32 offset:780 ; 4-byte Folded Reload
	s_wait_loadcnt 0x0
	v_dual_mov_b32 v0, 0 :: v_dual_lshlrev_b32 v3, 4, v0
	s_delay_alu instid0(VALU_DEP_1)
	v_lshl_or_b32 v3, v5, 7, v3
	scratch_store_b64 off, v[0:1], s32 offset:652 ; 8-byte Folded Spill
	s_wait_xcnt 0x0
	v_dual_mov_b32 v1, 0 :: v_dual_mov_b32 v0, 0
	scratch_store_b64 off, v[0:1], s32 offset:660 ; 8-byte Folded Spill
	s_wait_xcnt 0x0
	v_dual_mov_b32 v1, 0 :: v_dual_mov_b32 v0, 0
	;; [unrolled: 3-line block ×7, first 2 shown]
	s_clause 0x1
	scratch_store_b64 off, v[0:1], s32 offset:708
	scratch_load_b64 v[0:1], off, s32 offset:2348 th:TH_LOAD_LU
	s_wait_loadcnt 0x0
	v_lshl_add_u64 v[0:1], v[0:1], 2, v[16:17]
	s_delay_alu instid0(VALU_DEP_1)
	v_add_nc_u64_e32 v[0:1], v[6:7], v[0:1]
	s_wait_kmcnt 0x0
	v_add_nc_u32_e32 v6, s0, v3
	s_branch .LBB230_1574
.LBB230_1573:                           ;   in Loop: Header=BB230_1574 Depth=1
	s_wait_xcnt 0x0
	s_or_b32 exec_lo, exec_lo, s3
	v_dual_mul_f32 v15, v3, v15 :: v_dual_mul_f32 v9, v3, v9
	v_mul_f32_e32 v16, v3, v91
	v_dual_mul_f32 v19, v3, v47 :: v_dual_mul_f32 v1, v3, v1
	s_delay_alu instid0(VALU_DEP_3) | instskip(NEXT) | instid1(VALU_DEP_3)
	v_dual_fmac_f32 v15, v2, v14 :: v_dual_fmac_f32 v9, v2, v8
	v_dual_mul_f32 v14, v3, v95 :: v_dual_fmac_f32 v16, v2, v90
	s_delay_alu instid0(VALU_DEP_2) | instskip(NEXT) | instid1(VALU_DEP_3)
	v_dual_mul_f32 v8, v3, v107 :: v_dual_fmac_f32 v15, v4, v12
	v_fmac_f32_e32 v9, v4, v6
	s_delay_alu instid0(VALU_DEP_3) | instskip(NEXT) | instid1(VALU_DEP_3)
	v_dual_fmac_f32 v14, v2, v94 :: v_dual_fmac_f32 v16, v4, v88
	v_dual_fmac_f32 v8, v2, v106 :: v_dual_mul_f32 v6, v3, v79
	s_delay_alu instid0(VALU_DEP_3) | instskip(NEXT) | instid1(VALU_DEP_3)
	v_dual_fmac_f32 v15, v5, v13 :: v_dual_fmac_f32 v9, v5, v7
	v_dual_fmac_f32 v14, v4, v92 :: v_dual_fmac_f32 v16, v5, v89
	s_delay_alu instid0(VALU_DEP_3) | instskip(NEXT) | instid1(VALU_DEP_2)
	v_dual_fmac_f32 v8, v4, v104 :: v_dual_fmac_f32 v6, v2, v78
	v_dual_mul_f32 v7, v3, v75 :: v_dual_fmac_f32 v14, v5, v93
	s_delay_alu instid0(VALU_DEP_2) | instskip(NEXT) | instid1(VALU_DEP_2)
	v_dual_mul_f32 v12, v3, v63 :: v_dual_fmac_f32 v8, v5, v105
	v_dual_fmac_f32 v6, v4, v76 :: v_dual_fmac_f32 v7, v2, v74
	v_fmac_f32_e32 v19, v2, v46
	s_delay_alu instid0(VALU_DEP_3) | instskip(NEXT) | instid1(VALU_DEP_3)
	v_dual_fmac_f32 v12, v2, v62 :: v_dual_mul_f32 v13, v3, v59
	v_dual_fmac_f32 v6, v5, v77 :: v_dual_fmac_f32 v7, v4, v72
	s_delay_alu instid0(VALU_DEP_3) | instskip(NEXT) | instid1(VALU_DEP_3)
	v_dual_mul_f32 v20, v3, v41 :: v_dual_fmac_f32 v19, v4, v42
	v_dual_fmac_f32 v12, v4, v60 :: v_dual_fmac_f32 v13, v2, v58
	s_delay_alu instid0(VALU_DEP_2) | instskip(NEXT) | instid1(VALU_DEP_2)
	v_dual_fmac_f32 v7, v5, v73 :: v_dual_fmac_f32 v20, v2, v40
	v_dual_fmac_f32 v19, v5, v43 :: v_dual_fmac_f32 v12, v5, v61
	s_delay_alu instid0(VALU_DEP_3) | instskip(NEXT) | instid1(VALU_DEP_3)
	v_fmac_f32_e32 v13, v4, v56
	v_dual_fmac_f32 v1, v2, v0 :: v_dual_fmac_f32 v20, v4, v118
	v_mul_f32_e32 v0, v3, v113
	v_mul_f32_e32 v21, v3, v101
	s_delay_alu instid0(VALU_DEP_4) | instskip(NEXT) | instid1(VALU_DEP_4)
	v_fmac_f32_e32 v13, v5, v57
	v_dual_fmac_f32 v1, v4, v114 :: v_dual_fmac_f32 v20, v5, v119
	s_delay_alu instid0(VALU_DEP_4) | instskip(NEXT) | instid1(VALU_DEP_4)
	v_fmac_f32_e32 v0, v2, v112
	v_dual_fmac_f32 v21, v2, v100 :: v_dual_mul_f32 v22, v3, v87
	s_delay_alu instid0(VALU_DEP_3) | instskip(NEXT) | instid1(VALU_DEP_2)
	v_dual_fmac_f32 v1, v5, v115 :: v_dual_mul_f32 v23, v3, v81
	v_dual_fmac_f32 v0, v4, v102 :: v_dual_fmac_f32 v21, v4, v96
	s_delay_alu instid0(VALU_DEP_3) | instskip(SKIP_3) | instid1(VALU_DEP_2)
	v_fmac_f32_e32 v22, v2, v86
	scratch_load_b64 v[86:87], off, s32 offset:628 th:TH_LOAD_LU ; 8-byte Folded Reload
	v_dual_fmac_f32 v23, v2, v80 :: v_dual_fmac_f32 v0, v5, v103
	v_dual_fmac_f32 v21, v5, v97 :: v_dual_fmac_f32 v22, v4, v84
	v_dual_mul_f32 v80, v3, v125 :: v_dual_fmac_f32 v23, v4, v126
	v_mul_f32_e32 v81, v3, v123
	scratch_load_b64 v[96:97], off, s32 offset:596 th:TH_LOAD_LU ; 8-byte Folded Reload
	v_fmac_f32_e32 v22, v5, v85
	scratch_load_b64 v[84:85], off, s32 offset:644 th:TH_LOAD_LU ; 8-byte Folded Reload
	v_dual_fmac_f32 v80, v2, v124 :: v_dual_fmac_f32 v23, v5, v127
	v_dual_fmac_f32 v81, v2, v122 :: v_dual_mul_f32 v82, v3, v111
	scratch_load_b64 v[100:101], off, s32 offset:532 th:TH_LOAD_LU ; 8-byte Folded Reload
	v_fmac_f32_e32 v80, v4, v98
	scratch_load_b64 v[102:103], off, s32 offset:500 th:TH_LOAD_LU ; 8-byte Folded Reload
	v_dual_fmac_f32 v81, v4, v120 :: v_dual_fmac_f32 v82, v2, v110
	scratch_load_b64 v[112:113], off, s32 offset:468 th:TH_LOAD_LU ; 8-byte Folded Reload
	v_fmac_f32_e32 v80, v5, v99
	scratch_load_b64 v[98:99], off, s32 offset:564 th:TH_LOAD_LU ; 8-byte Folded Reload
	v_dual_fmac_f32 v81, v5, v121 :: v_dual_fmac_f32 v82, v4, v108
	s_clause 0x1
	scratch_load_b64 v[114:115], off, s32 offset:436 th:TH_LOAD_LU
	scratch_load_b64 v[118:119], off, s32 offset:660 th:TH_LOAD_LU
	v_dual_add_f32 v25, v25, v81 :: v_dual_add_nc_u32 v18, 0x80, v18
	s_wait_loadcnt 0x6
	v_mul_f32_e32 v83, v3, v85
	s_delay_alu instid0(VALU_DEP_1) | instskip(SKIP_1) | instid1(VALU_DEP_1)
	v_dual_fmac_f32 v82, v5, v109 :: v_dual_fmac_f32 v83, v2, v84
	v_mul_f32_e32 v84, v3, v87
	v_fmac_f32_e32 v84, v2, v86
	scratch_load_b64 v[86:87], off, s32 offset:636 th:TH_LOAD_LU ; 8-byte Folded Reload
	s_wait_loadcnt 0x1
	v_dual_add_f32 v119, v119, v9 :: v_dual_add_f32 v118, v118, v8
	scratch_load_b64 v[8:9], off, s32 offset:668 th:TH_LOAD_LU ; 8-byte Folded Reload
	s_wait_loadcnt 0x1
	v_fmac_f32_e32 v83, v4, v86
	s_delay_alu instid0(VALU_DEP_1)
	v_fmac_f32_e32 v83, v5, v87
	scratch_load_b64 v[86:87], off, s32 offset:620 th:TH_LOAD_LU ; 8-byte Folded Reload
	s_wait_loadcnt 0x1
	v_dual_add_f32 v9, v9, v14 :: v_dual_add_f32 v8, v8, v16
	v_dual_add_f32 v24, v24, v82 :: v_dual_add_f32 v27, v27, v83
	s_clause 0x1
	scratch_store_b64 off, v[8:9], s32 offset:668
	scratch_load_b64 v[8:9], off, s32 offset:676 th:TH_LOAD_LU
	s_wait_loadcnt 0x1
	v_fmac_f32_e32 v84, v4, v86
	s_delay_alu instid0(VALU_DEP_1)
	v_fmac_f32_e32 v84, v5, v87
	scratch_load_b64 v[86:87], off, s32 offset:612 th:TH_LOAD_LU ; 8-byte Folded Reload
	s_wait_loadcnt 0x1
	v_dual_add_f32 v9, v9, v6 :: v_dual_add_f32 v8, v8, v7
	scratch_load_b64 v[6:7], off, s32 offset:684 th:TH_LOAD_LU ; 8-byte Folded Reload
	s_wait_loadcnt 0x1
	v_mul_f32_e32 v85, v3, v87
	s_wait_loadcnt 0x0
	v_dual_add_f32 v7, v7, v12 :: v_dual_add_f32 v6, v6, v13
	s_delay_alu instid0(VALU_DEP_2)
	v_dual_fmac_f32 v85, v2, v86 :: v_dual_mul_f32 v86, v3, v97
	s_clause 0x3
	scratch_store_b64 off, v[8:9], s32 offset:676
	scratch_load_b64 v[12:13], off, s32 offset:716 th:TH_LOAD_LU
	scratch_store_b64 off, v[6:7], s32 offset:684
	scratch_load_b64 v[6:7], off, s32 offset:692 th:TH_LOAD_LU
	v_fmac_f32_e32 v86, v2, v96
	s_clause 0x1
	scratch_load_b64 v[96:97], off, s32 offset:604 th:TH_LOAD_LU
	scratch_load_b64 v[8:9], off, s32 offset:412 th:TH_LOAD_LU
	s_wait_loadcnt 0x3
	v_add_f32_e32 v13, v13, v19
	scratch_load_b32 v19, off, s32 offset:740 th:TH_LOAD_LU ; 4-byte Folded Reload
	s_wait_loadcnt 0x3
	v_dual_add_f32 v7, v7, v1 :: v_dual_add_f32 v6, v6, v0
	s_wait_loadcnt 0x2
	v_fmac_f32_e32 v85, v4, v96
	scratch_load_b64 v[0:1], off, s32 offset:700 th:TH_LOAD_LU ; 8-byte Folded Reload
	v_add_f32_e32 v12, v12, v20
	scratch_store_b64 off, v[6:7], s32 offset:692 ; 8-byte Folded Spill
	v_fmac_f32_e32 v85, v5, v97
	s_clause 0x1
	scratch_load_b64 v[96:97], off, s32 offset:588 th:TH_LOAD_LU
	scratch_load_b64 v[6:7], off, s32 offset:420 th:TH_LOAD_LU
	v_dual_add_f32 v26, v26, v84 :: v_dual_add_f32 v29, v29, v85
	s_wait_loadcnt 0x2
	v_dual_add_nc_u32 v19, 4, v19 :: v_dual_add_f32 v1, v1, v21
	v_add_f32_e32 v0, v0, v22
	scratch_load_b64 v[20:21], off, s32 offset:372 th:TH_LOAD_LU ; 8-byte Folded Reload
	s_wait_loadcnt 0x2
	v_fmac_f32_e32 v86, v4, v96
	s_clause 0x1
	scratch_store_b64 off, v[0:1], s32 offset:700
	scratch_load_b64 v[0:1], off, s32 offset:708 th:TH_LOAD_LU
	v_fmac_f32_e32 v86, v5, v97
	scratch_load_b64 v[96:97], off, s32 offset:580 th:TH_LOAD_LU ; 8-byte Folded Reload
	s_wait_loadcnt 0x1
	v_add_f32_e32 v0, v0, v80
	scratch_load_b64 v[80:81], off, s32 offset:404 th:TH_LOAD_LU ; 8-byte Folded Reload
	v_add_f32_e32 v1, v1, v23
	scratch_load_b64 v[22:23], off, s32 offset:388 th:TH_LOAD_LU ; 8-byte Folded Reload
	s_wait_loadcnt 0x2
	v_mul_f32_e32 v87, v3, v97
	scratch_store_b64 off, v[0:1], s32 offset:708 ; 8-byte Folded Spill
	v_dual_fmac_f32 v87, v2, v96 :: v_dual_mul_f32 v96, v3, v99
	s_delay_alu instid0(VALU_DEP_1) | instskip(SKIP_4) | instid1(VALU_DEP_1)
	v_fmac_f32_e32 v96, v2, v98
	scratch_load_b64 v[98:99], off, s32 offset:572 th:TH_LOAD_LU ; 8-byte Folded Reload
	s_wait_loadcnt 0x0
	s_wait_xcnt 0x1
	v_dual_mul_f32 v1, v3, v81 :: v_dual_fmac_f32 v87, v4, v98
	v_fmac_f32_e32 v87, v5, v99
	scratch_load_b64 v[98:99], off, s32 offset:556 th:TH_LOAD_LU ; 8-byte Folded Reload
	v_dual_add_f32 v28, v28, v86 :: v_dual_add_f32 v31, v31, v87
	s_wait_loadcnt 0x0
	v_fmac_f32_e32 v96, v4, v98
	s_delay_alu instid0(VALU_DEP_1) | instskip(SKIP_3) | instid1(VALU_DEP_1)
	v_fmac_f32_e32 v96, v5, v99
	scratch_load_b64 v[98:99], off, s32 offset:548 th:TH_LOAD_LU ; 8-byte Folded Reload
	s_wait_loadcnt 0x0
	v_mul_f32_e32 v97, v3, v99
	v_dual_fmac_f32 v97, v2, v98 :: v_dual_mul_f32 v98, v3, v101
	s_delay_alu instid0(VALU_DEP_1) | instskip(SKIP_3) | instid1(VALU_DEP_1)
	v_fmac_f32_e32 v98, v2, v100
	scratch_load_b64 v[100:101], off, s32 offset:540 th:TH_LOAD_LU ; 8-byte Folded Reload
	s_wait_loadcnt 0x0
	v_fmac_f32_e32 v97, v4, v100
	v_fmac_f32_e32 v97, v5, v101
	scratch_load_b64 v[100:101], off, s32 offset:524 th:TH_LOAD_LU ; 8-byte Folded Reload
	v_dual_add_f32 v30, v30, v96 :: v_dual_add_f32 v33, v33, v97
	s_wait_loadcnt 0x0
	v_fmac_f32_e32 v98, v4, v100
	s_delay_alu instid0(VALU_DEP_1) | instskip(SKIP_3) | instid1(VALU_DEP_1)
	v_fmac_f32_e32 v98, v5, v101
	scratch_load_b64 v[100:101], off, s32 offset:516 th:TH_LOAD_LU ; 8-byte Folded Reload
	s_wait_loadcnt 0x0
	v_mul_f32_e32 v99, v3, v101
	v_dual_fmac_f32 v99, v2, v100 :: v_dual_mul_f32 v100, v3, v103
	s_delay_alu instid0(VALU_DEP_1) | instskip(SKIP_3) | instid1(VALU_DEP_1)
	v_fmac_f32_e32 v100, v2, v102
	scratch_load_b64 v[102:103], off, s32 offset:508 th:TH_LOAD_LU ; 8-byte Folded Reload
	s_wait_loadcnt 0x0
	v_fmac_f32_e32 v99, v4, v102
	v_fmac_f32_e32 v99, v5, v103
	scratch_load_b64 v[102:103], off, s32 offset:492 th:TH_LOAD_LU ; 8-byte Folded Reload
	v_dual_add_f32 v32, v32, v98 :: v_dual_add_f32 v35, v35, v99
	s_wait_loadcnt 0x0
	v_fmac_f32_e32 v100, v4, v102
	s_delay_alu instid0(VALU_DEP_1) | instskip(SKIP_3) | instid1(VALU_DEP_1)
	v_fmac_f32_e32 v100, v5, v103
	scratch_load_b64 v[102:103], off, s32 offset:484 th:TH_LOAD_LU ; 8-byte Folded Reload
	s_wait_loadcnt 0x0
	v_mul_f32_e32 v101, v3, v103
	v_dual_fmac_f32 v101, v2, v102 :: v_dual_mul_f32 v102, v3, v113
	v_dual_mul_f32 v0, v3, v7 :: v_dual_add_f32 v34, v34, v100
	s_delay_alu instid0(VALU_DEP_2) | instskip(SKIP_3) | instid1(VALU_DEP_1)
	v_fmac_f32_e32 v102, v2, v112
	scratch_load_b64 v[112:113], off, s32 offset:476 th:TH_LOAD_LU ; 8-byte Folded Reload
	s_wait_loadcnt 0x0
	v_dual_fmac_f32 v0, v2, v6 :: v_dual_fmac_f32 v101, v4, v112
	v_fmac_f32_e32 v101, v5, v113
	scratch_load_b64 v[112:113], off, s32 offset:460 th:TH_LOAD_LU ; 8-byte Folded Reload
	s_wait_loadcnt 0x0
	v_fmac_f32_e32 v102, v4, v112
	s_delay_alu instid0(VALU_DEP_1) | instskip(SKIP_3) | instid1(VALU_DEP_1)
	v_fmac_f32_e32 v102, v5, v113
	scratch_load_b64 v[112:113], off, s32 offset:452 th:TH_LOAD_LU ; 8-byte Folded Reload
	s_wait_loadcnt 0x0
	v_mul_f32_e32 v103, v3, v113
	v_dual_fmac_f32 v103, v2, v112 :: v_dual_mul_f32 v112, v3, v115
	v_dual_add_f32 v37, v37, v101 :: v_dual_add_f32 v36, v36, v102
	s_delay_alu instid0(VALU_DEP_2) | instskip(SKIP_3) | instid1(VALU_DEP_1)
	v_fmac_f32_e32 v112, v2, v114
	scratch_load_b64 v[114:115], off, s32 offset:444 th:TH_LOAD_LU ; 8-byte Folded Reload
	s_wait_loadcnt 0x0
	v_fmac_f32_e32 v103, v4, v114
	v_fmac_f32_e32 v103, v5, v115
	scratch_load_b64 v[114:115], off, s32 offset:428 th:TH_LOAD_LU ; 8-byte Folded Reload
	s_wait_loadcnt 0x0
	v_dual_add_f32 v39, v39, v103 :: v_dual_fmac_f32 v112, v4, v114
	s_delay_alu instid0(VALU_DEP_1)
	v_fmac_f32_e32 v112, v5, v115
	scratch_load_b64 v[114:115], off, s32 offset:652 th:TH_LOAD_LU ; 8-byte Folded Reload
	v_add_f32_e32 v38, v38, v112
	s_wait_loadcnt 0x0
	v_add_f32_e32 v114, v114, v15
	scratch_load_b64 v[14:15], off, s32 offset:356 th:TH_LOAD_LU ; 8-byte Folded Reload
	v_dual_mul_f32 v6, v3, v23 :: v_dual_mul_f32 v7, v3, v21
	v_fmac_f32_e32 v1, v2, v80
	scratch_load_b64 v[80:81], off, s32 offset:396 th:TH_LOAD_LU ; 8-byte Folded Reload
	v_dual_fmac_f32 v0, v4, v8 :: v_dual_fmac_f32 v6, v2, v22
	scratch_load_b64 v[22:23], off, s32 offset:380 th:TH_LOAD_LU ; 8-byte Folded Reload
	s_wait_loadcnt 0x2
	v_dual_mul_f32 v8, v3, v15 :: v_dual_fmac_f32 v7, v2, v20
	v_fmac_f32_e32 v0, v5, v9
	scratch_load_b64 v[20:21], off, s32 offset:348 th:TH_LOAD_LU ; 8-byte Folded Reload
	s_wait_loadcnt 0x2
	v_dual_fmac_f32 v1, v4, v80 :: v_dual_fmac_f32 v8, v2, v14
	scratch_load_b64 v[14:15], off, s32 offset:364 th:TH_LOAD_LU ; 8-byte Folded Reload
	s_wait_loadcnt 0x2
	v_dual_fmac_f32 v6, v4, v22 :: v_dual_add_f32 v49, v49, v0
	v_fmac_f32_e32 v1, v5, v81
	scratch_load_b64 v[80:81], off, s32 offset:324 th:TH_LOAD_LU ; 8-byte Folded Reload
	v_fmac_f32_e32 v6, v5, v23
	scratch_load_b64 v[22:23], off, s32 offset:308 th:TH_LOAD_LU ; 8-byte Folded Reload
	v_add_f32_e32 v51, v51, v6
	s_wait_loadcnt 0x2
	v_fmac_f32_e32 v7, v4, v14
	s_delay_alu instid0(VALU_DEP_1) | instskip(SKIP_3) | instid1(VALU_DEP_1)
	v_fmac_f32_e32 v7, v5, v15
	scratch_load_b64 v[14:15], off, s32 offset:340 th:TH_LOAD_LU ; 8-byte Folded Reload
	s_wait_loadcnt 0x1
	v_dual_fmac_f32 v8, v4, v20 :: v_dual_mul_f32 v6, v3, v23
	v_fmac_f32_e32 v8, v5, v21
	scratch_load_b64 v[20:21], off, s32 offset:292 th:TH_LOAD_LU ; 8-byte Folded Reload
	v_fmac_f32_e32 v6, v2, v22
	scratch_load_b64 v[22:23], off, s32 offset:300 th:TH_LOAD_LU ; 8-byte Folded Reload
	v_add_f32_e32 v53, v53, v8
	scratch_load_b64 v[8:9], off, s32 offset:332 th:TH_LOAD_LU ; 8-byte Folded Reload
	s_wait_loadcnt 0x3
	v_dual_mul_f32 v0, v3, v15 :: v_dual_add_f32 v48, v48, v1
	v_dual_add_f32 v50, v50, v7 :: v_dual_mul_f32 v1, v3, v81
	s_delay_alu instid0(VALU_DEP_2)
	v_fmac_f32_e32 v0, v2, v14
	scratch_load_b64 v[14:15], off, s32 offset:276 th:TH_LOAD_LU ; 8-byte Folded Reload
	v_fmac_f32_e32 v1, v2, v80
	scratch_load_b64 v[80:81], off, s32 offset:316 th:TH_LOAD_LU ; 8-byte Folded Reload
	s_wait_loadcnt 0x2
	v_dual_mul_f32 v7, v3, v21 :: v_dual_fmac_f32 v0, v4, v8
	s_delay_alu instid0(VALU_DEP_1) | instskip(SKIP_3) | instid1(VALU_DEP_1)
	v_fmac_f32_e32 v7, v2, v20
	scratch_load_b64 v[20:21], off, s32 offset:268 th:TH_LOAD_LU ; 8-byte Folded Reload
	s_wait_loadcnt 0x2
	v_dual_fmac_f32 v0, v5, v9 :: v_dual_mul_f32 v8, v3, v15
	v_fmac_f32_e32 v8, v2, v14
	scratch_load_b64 v[14:15], off, s32 offset:284 th:TH_LOAD_LU ; 8-byte Folded Reload
	s_wait_loadcnt 0x2
	v_dual_fmac_f32 v1, v4, v80 :: v_dual_fmac_f32 v6, v4, v22
	s_delay_alu instid0(VALU_DEP_1) | instskip(SKIP_3) | instid1(VALU_DEP_1)
	v_dual_add_f32 v52, v52, v0 :: v_dual_fmac_f32 v1, v5, v81
	scratch_load_b64 v[80:81], off, s32 offset:252 th:TH_LOAD_LU ; 8-byte Folded Reload
	s_wait_loadcnt 0x1
	v_fmac_f32_e32 v7, v4, v14
	v_fmac_f32_e32 v7, v5, v15
	scratch_load_b64 v[14:15], off, s32 offset:260 th:TH_LOAD_LU ; 8-byte Folded Reload
	v_dual_fmac_f32 v8, v4, v20 :: v_dual_fmac_f32 v6, v5, v23
	scratch_load_b64 v[22:23], off, s32 offset:244 th:TH_LOAD_LU ; 8-byte Folded Reload
	v_fmac_f32_e32 v8, v5, v21
	scratch_load_b64 v[20:21], off, s32 offset:228 th:TH_LOAD_LU ; 8-byte Folded Reload
	v_dual_add_f32 v55, v55, v1 :: v_dual_add_f32 v54, v54, v6
	v_pk_mul_f32 v[0:1], v[2:3], v[10:11]
	v_add_f32_e32 v64, v64, v8
	scratch_load_b64 v[10:11], off, s32 offset:192 th:TH_LOAD_LU ; 8-byte Folded Reload
	s_wait_loadcnt 0x3
	v_mul_f32_e32 v9, v3, v15
	v_add_f32_e32 v65, v65, v7
	s_wait_loadcnt 0x2
	s_delay_alu instid0(VALU_DEP_2)
	v_dual_mul_f32 v6, v3, v23 :: v_dual_fmac_f32 v9, v2, v14
	scratch_load_b64 v[14:15], off, s32 offset:212 th:TH_LOAD_LU ; 8-byte Folded Reload
	s_wait_loadcnt 0x2
	v_dual_mul_f32 v7, v3, v21 :: v_dual_fmac_f32 v6, v2, v22
	s_wait_loadcnt 0x0
	v_dual_fmac_f32 v9, v4, v80 :: v_dual_mul_f32 v8, v3, v15
	s_delay_alu instid0(VALU_DEP_2)
	v_fmac_f32_e32 v7, v2, v20
	scratch_load_b64 v[20:21], off, s32 offset:236 th:TH_LOAD_LU ; 8-byte Folded Reload
	v_fmac_f32_e32 v8, v2, v14
	v_pk_mul_f32 v[2:3], v[4:5], v[116:117]
	scratch_load_b64 v[14:15], off, s32 offset:220 th:TH_LOAD_LU ; 8-byte Folded Reload
	v_add_f32_e32 v0, v0, v1
	s_delay_alu instid0(VALU_DEP_1) | instskip(NEXT) | instid1(VALU_DEP_1)
	v_dual_fmac_f32 v9, v5, v81 :: v_dual_add_f32 v0, v2, v0
	v_add_f32_e32 v0, v3, v0
	s_delay_alu instid0(VALU_DEP_1)
	v_add_f32_e32 v115, v115, v0
	s_clause 0x2
	scratch_load_b32 v0, off, s32 offset:208
	scratch_store_b64 off, v[118:119], s32 offset:660
	scratch_store_b64 off, v[114:115], s32 offset:652
	s_wait_loadcnt 0x2
	v_dual_fmac_f32 v6, v4, v20 :: v_dual_fmac_f32 v8, v4, v10
	s_wait_loadcnt 0x1
	v_dual_add_f32 v67, v67, v9 :: v_dual_fmac_f32 v7, v4, v14
	s_delay_alu instid0(VALU_DEP_2) | instskip(NEXT) | instid1(VALU_DEP_1)
	v_dual_fmac_f32 v6, v5, v21 :: v_dual_fmac_f32 v8, v5, v11
	v_dual_fmac_f32 v7, v5, v15 :: v_dual_add_f32 v66, v66, v6
	s_delay_alu instid0(VALU_DEP_2)
	v_add_f32_e32 v68, v68, v8
	scratch_load_b32 v6, off, s32 offset:732 th:TH_LOAD_LU ; 4-byte Folded Reload
	v_add_f32_e32 v69, v69, v7
	s_wait_loadcnt 0x1
	v_cmp_ge_i32_e32 vcc_lo, v19, v0
	scratch_load_b64 v[0:1], off, s32 offset:724 th:TH_LOAD_LU ; 8-byte Folded Reload
	s_or_b32 s2, vcc_lo, s2
	s_wait_loadcnt 0x1
	v_add_nc_u32_e32 v6, 0x200, v6
	s_wait_loadcnt 0x0
	v_add_nc_u64_e32 v[0:1], 16, v[0:1]
	s_wait_xcnt 0x0
	s_and_not1_b32 exec_lo, exec_lo, s2
	s_cbranch_execz .LBB230_3206
.LBB230_1574:                           ; =>This Inner Loop Header: Depth=1
	s_clause 0x1
	scratch_store_b64 off, v[12:13], s32 offset:716
	scratch_store_b64 off, v[0:1], s32 offset:724
	flat_load_b32 v0, v[0:1]
	s_clause 0x2
	scratch_load_b64 v[2:3], off, s32 offset:1284
	scratch_load_b64 v[4:5], off, s32 offset:748
	scratch_store_b32 off, v6, s32 offset:732
	s_mov_b32 s0, exec_lo
	s_wait_loadcnt_dscnt 0x0
	v_mad_nc_i64_i32 v[22:23], v0, v2, v[4:5]
	scratch_load_b64 v[0:1], off, s32 offset:756 ; 8-byte Folded Reload
	ds_load_b128 v[2:5], v6
	s_wait_xcnt 0x1
	v_mov_b64_e32 v[6:7], 0
	s_wait_loadcnt 0x0
	v_add_nc_u64_e32 v[116:117], v[22:23], v[0:1]
	v_mov_b64_e32 v[0:1], 0
	flat_load_b32 v12, v[116:117]
	s_wait_loadcnt_dscnt 0x0
	v_and_b32_e32 v8, 0xff, v12
	s_wait_xcnt 0x0
	s_delay_alu instid0(VALU_DEP_1)
	v_cmpx_ne_u16_e32 0, v8
	s_cbranch_execz .LBB230_1582
; %bb.1575:                             ;   in Loop: Header=BB230_1574 Depth=1
	v_mov_b64_e32 v[6:7], 0x80000000
	s_mov_b32 s3, exec_lo
	v_cmpx_ne_u16_e32 0x80, v8
	s_cbranch_execz .LBB230_1581
; %bb.1576:                             ;   in Loop: Header=BB230_1574 Depth=1
	v_mov_b64_e32 v[6:7], 0x7f800001
	v_and_b32_e32 v8, 0x7f, v12
	s_mov_b32 s8, exec_lo
	s_delay_alu instid0(VALU_DEP_1)
	v_cmpx_ne_u32_e32 0x7f, v8
	s_cbranch_execz .LBB230_1580
; %bb.1577:                             ;   in Loop: Header=BB230_1574 Depth=1
	v_and_b32_e32 v16, 7, v12
	v_lshrrev_b32_e32 v6, 3, v8
	s_mov_b32 s9, exec_lo
	v_cmpx_gt_u32_e32 8, v8
; %bb.1578:                             ;   in Loop: Header=BB230_1574 Depth=1
	s_delay_alu instid0(VALU_DEP_3) | instskip(NEXT) | instid1(VALU_DEP_1)
	v_clz_i32_u32_e32 v6, v16
	v_min_u32_e32 v6, 32, v6
	s_delay_alu instid0(VALU_DEP_1) | instskip(NEXT) | instid1(VALU_DEP_1)
	v_subrev_nc_u32_e32 v7, 28, v6
	v_lshlrev_b64_e32 v[8:9], v7, v[16:17]
	s_delay_alu instid0(VALU_DEP_1)
	v_dual_sub_nc_u32 v6, 29, v6 :: v_dual_bitop2_b32 v16, 7, v8 bitop3:0x40
; %bb.1579:                             ;   in Loop: Header=BB230_1574 Depth=1
	s_or_b32 exec_lo, exec_lo, s9
	v_lshlrev_b32_e32 v7, 24, v12
	s_delay_alu instid0(VALU_DEP_2) | instskip(NEXT) | instid1(VALU_DEP_3)
	v_lshlrev_b32_e32 v8, 20, v16
	v_lshl_add_u32 v6, v6, 23, 0x3c000000
	s_delay_alu instid0(VALU_DEP_3) | instskip(NEXT) | instid1(VALU_DEP_1)
	v_and_b32_e32 v7, 0x80000000, v7
	v_or3_b32 v16, v8, v7, v6
	s_delay_alu instid0(VALU_DEP_1)
	v_mov_b64_e32 v[6:7], v[16:17]
.LBB230_1580:                           ;   in Loop: Header=BB230_1574 Depth=1
	s_or_b32 exec_lo, exec_lo, s8
.LBB230_1581:                           ;   in Loop: Header=BB230_1574 Depth=1
	s_delay_alu instid0(SALU_CYCLE_1)
	s_or_b32 exec_lo, exec_lo, s3
.LBB230_1582:                           ;   in Loop: Header=BB230_1574 Depth=1
	s_delay_alu instid0(SALU_CYCLE_1) | instskip(SKIP_2) | instid1(VALU_DEP_1)
	s_or_b32 exec_lo, exec_lo, s0
	v_lshrrev_b16 v8, 8, v12
	s_mov_b32 s0, exec_lo
	v_cmpx_ne_u16_e32 0, v8
	s_cbranch_execz .LBB230_1590
; %bb.1583:                             ;   in Loop: Header=BB230_1574 Depth=1
	v_mov_b64_e32 v[0:1], 0x8000000000000000
	s_mov_b32 s3, exec_lo
	v_cmpx_ne_u16_e32 0x80, v8
	s_cbranch_execz .LBB230_1589
; %bb.1584:                             ;   in Loop: Header=BB230_1574 Depth=1
	v_and_b32_e32 v9, 0xffff, v8
	v_mov_b64_e32 v[0:1], 0x7f80000100000000
	s_mov_b32 s8, exec_lo
	s_delay_alu instid0(VALU_DEP_2) | instskip(NEXT) | instid1(VALU_DEP_1)
	v_and_b32_e32 v8, 0x7f, v9
	v_cmpx_ne_u32_e32 0x7f, v8
	s_cbranch_execz .LBB230_1588
; %bb.1585:                             ;   in Loop: Header=BB230_1574 Depth=1
	v_dual_lshrrev_b32 v0, 3, v8 :: v_dual_bitop2_b32 v16, 7, v9 bitop3:0x40
	s_mov_b32 s9, exec_lo
	v_cmpx_gt_u32_e32 8, v8
; %bb.1586:                             ;   in Loop: Header=BB230_1574 Depth=1
	s_delay_alu instid0(VALU_DEP_2) | instskip(NEXT) | instid1(VALU_DEP_1)
	v_clz_i32_u32_e32 v0, v16
	v_min_u32_e32 v0, 32, v0
	s_delay_alu instid0(VALU_DEP_1) | instskip(SKIP_1) | instid1(VALU_DEP_2)
	v_subrev_nc_u32_e32 v1, 28, v0
	v_sub_nc_u32_e32 v0, 29, v0
	v_lshlrev_b64_e32 v[8:9], v1, v[16:17]
	s_delay_alu instid0(VALU_DEP_1)
	v_and_b32_e32 v16, 7, v8
; %bb.1587:                             ;   in Loop: Header=BB230_1574 Depth=1
	s_or_b32 exec_lo, exec_lo, s9
	v_lshlrev_b32_e32 v1, 16, v12
	s_delay_alu instid0(VALU_DEP_2) | instskip(SKIP_1) | instid1(VALU_DEP_3)
	v_lshlrev_b32_e32 v8, 20, v16
	v_lshl_add_u32 v0, v0, 23, 0x3c000000
	v_and_b32_e32 v1, 0x80000000, v1
	s_delay_alu instid0(VALU_DEP_1)
	v_or3_b32 v1, v8, v1, v0
	v_mov_b32_e32 v0, v17
.LBB230_1588:                           ;   in Loop: Header=BB230_1574 Depth=1
	s_or_b32 exec_lo, exec_lo, s8
.LBB230_1589:                           ;   in Loop: Header=BB230_1574 Depth=1
	s_delay_alu instid0(SALU_CYCLE_1)
	s_or_b32 exec_lo, exec_lo, s3
.LBB230_1590:                           ;   in Loop: Header=BB230_1574 Depth=1
	s_delay_alu instid0(SALU_CYCLE_1) | instskip(SKIP_4) | instid1(VALU_DEP_3)
	s_or_b32 exec_lo, exec_lo, s0
	v_lshrrev_b32_e32 v13, 16, v12
	v_mov_b64_e32 v[8:9], 0
	v_mov_b64_e32 v[10:11], 0
	s_mov_b32 s0, exec_lo
	v_and_b32_e32 v14, 0xff, v13
	s_delay_alu instid0(VALU_DEP_1)
	v_cmpx_ne_u16_e32 0, v14
	s_cbranch_execz .LBB230_1598
; %bb.1591:                             ;   in Loop: Header=BB230_1574 Depth=1
	v_mov_b64_e32 v[10:11], 0x80000000
	s_mov_b32 s3, exec_lo
	v_cmpx_ne_u16_e32 0x80, v14
	s_cbranch_execz .LBB230_1597
; %bb.1592:                             ;   in Loop: Header=BB230_1574 Depth=1
	v_mov_b64_e32 v[10:11], 0x7f800001
	v_bfe_u32 v14, v12, 16, 7
	s_mov_b32 s8, exec_lo
	s_delay_alu instid0(VALU_DEP_1)
	v_cmpx_ne_u32_e32 0x7f, v14
	s_cbranch_execz .LBB230_1596
; %bb.1593:                             ;   in Loop: Header=BB230_1574 Depth=1
	v_dual_lshrrev_b32 v10, 3, v14 :: v_dual_bitop2_b32 v16, 7, v13 bitop3:0x40
	s_mov_b32 s9, exec_lo
	v_cmpx_gt_u32_e32 8, v14
; %bb.1594:                             ;   in Loop: Header=BB230_1574 Depth=1
	s_delay_alu instid0(VALU_DEP_2) | instskip(NEXT) | instid1(VALU_DEP_1)
	v_clz_i32_u32_e32 v10, v16
	v_min_u32_e32 v10, 32, v10
	s_delay_alu instid0(VALU_DEP_1) | instskip(SKIP_1) | instid1(VALU_DEP_2)
	v_subrev_nc_u32_e32 v11, 28, v10
	v_sub_nc_u32_e32 v10, 29, v10
	v_lshlrev_b64_e32 v[14:15], v11, v[16:17]
	s_delay_alu instid0(VALU_DEP_1)
	v_and_b32_e32 v16, 7, v14
; %bb.1595:                             ;   in Loop: Header=BB230_1574 Depth=1
	s_or_b32 exec_lo, exec_lo, s9
	s_delay_alu instid0(VALU_DEP_1) | instskip(SKIP_1) | instid1(VALU_DEP_2)
	v_dual_lshlrev_b32 v11, 24, v13 :: v_dual_lshlrev_b32 v13, 20, v16
	v_lshl_add_u32 v10, v10, 23, 0x3c000000
	v_and_b32_e32 v11, 0x80000000, v11
	s_delay_alu instid0(VALU_DEP_1) | instskip(NEXT) | instid1(VALU_DEP_1)
	v_or3_b32 v16, v13, v11, v10
	v_mov_b64_e32 v[10:11], v[16:17]
.LBB230_1596:                           ;   in Loop: Header=BB230_1574 Depth=1
	s_or_b32 exec_lo, exec_lo, s8
.LBB230_1597:                           ;   in Loop: Header=BB230_1574 Depth=1
	s_delay_alu instid0(SALU_CYCLE_1)
	s_or_b32 exec_lo, exec_lo, s3
.LBB230_1598:                           ;   in Loop: Header=BB230_1574 Depth=1
	s_delay_alu instid0(SALU_CYCLE_1) | instskip(NEXT) | instid1(SALU_CYCLE_1)
	s_or_b32 exec_lo, exec_lo, s0
	s_mov_b32 s0, exec_lo
	v_cmpx_lt_u32_e32 0xffffff, v12
	s_cbranch_execz .LBB230_1606
; %bb.1599:                             ;   in Loop: Header=BB230_1574 Depth=1
	v_mov_b64_e32 v[8:9], 0x8000000000000000
	v_lshrrev_b32_e32 v13, 24, v12
	s_mov_b32 s3, exec_lo
	s_delay_alu instid0(VALU_DEP_1)
	v_cmpx_ne_u32_e32 0x80, v13
	s_cbranch_execz .LBB230_1605
; %bb.1600:                             ;   in Loop: Header=BB230_1574 Depth=1
	v_mov_b64_e32 v[8:9], 0x7f80000100000000
	v_bfe_u32 v12, v12, 24, 7
	s_mov_b32 s8, exec_lo
	s_delay_alu instid0(VALU_DEP_1)
	v_cmpx_ne_u32_e32 0x7f, v12
	s_cbranch_execz .LBB230_1604
; %bb.1601:                             ;   in Loop: Header=BB230_1574 Depth=1
	v_dual_lshrrev_b32 v8, 3, v12 :: v_dual_bitop2_b32 v16, 7, v13 bitop3:0x40
	s_mov_b32 s9, exec_lo
	v_cmpx_gt_u32_e32 8, v12
; %bb.1602:                             ;   in Loop: Header=BB230_1574 Depth=1
	s_delay_alu instid0(VALU_DEP_2) | instskip(NEXT) | instid1(VALU_DEP_1)
	v_clz_i32_u32_e32 v8, v16
	v_min_u32_e32 v8, 32, v8
	s_delay_alu instid0(VALU_DEP_1) | instskip(NEXT) | instid1(VALU_DEP_1)
	v_subrev_nc_u32_e32 v9, 28, v8
	v_lshlrev_b64_e32 v[14:15], v9, v[16:17]
	s_delay_alu instid0(VALU_DEP_1)
	v_dual_sub_nc_u32 v8, 29, v8 :: v_dual_bitop2_b32 v16, 7, v14 bitop3:0x40
; %bb.1603:                             ;   in Loop: Header=BB230_1574 Depth=1
	s_or_b32 exec_lo, exec_lo, s9
	s_delay_alu instid0(VALU_DEP_1) | instskip(NEXT) | instid1(VALU_DEP_2)
	v_dual_lshlrev_b32 v9, 24, v13 :: v_dual_lshlrev_b32 v12, 20, v16
	v_lshl_add_u32 v8, v8, 23, 0x3c000000
	s_delay_alu instid0(VALU_DEP_2) | instskip(NEXT) | instid1(VALU_DEP_1)
	v_and_b32_e32 v9, 0x80000000, v9
	v_or3_b32 v9, v12, v9, v8
	v_mov_b32_e32 v8, v17
.LBB230_1604:                           ;   in Loop: Header=BB230_1574 Depth=1
	s_or_b32 exec_lo, exec_lo, s8
.LBB230_1605:                           ;   in Loop: Header=BB230_1574 Depth=1
	s_delay_alu instid0(SALU_CYCLE_1)
	s_or_b32 exec_lo, exec_lo, s3
.LBB230_1606:                           ;   in Loop: Header=BB230_1574 Depth=1
	s_delay_alu instid0(SALU_CYCLE_1)
	s_or_b32 exec_lo, exec_lo, s0
	v_or_b32_e32 v0, v0, v6
	scratch_load_b32 v6, off, s32 offset:208 ; 4-byte Folded Reload
	v_or_b32_e32 v1, v1, v7
	v_dual_add_nc_u32 v21, 2, v18 :: v_dual_bitop2_b32 v7, v9, v11 bitop3:0x54
	v_add_nc_u32_e32 v20, 3, v18
	s_wait_loadcnt 0x0
	v_add_nc_u32_e32 v12, -1, v6
	v_or_b32_e32 v6, v8, v10
	v_pk_mul_f32 v[0:1], v[70:71], v[0:1]
	s_delay_alu instid0(VALU_DEP_3)
	v_cmp_eq_u32_e32 vcc_lo, v12, v19
	scratch_store_b64 off, v[0:1], s32 offset:212 ; 8-byte Folded Spill
	s_wait_xcnt 0x0
	v_pk_mul_f32 v[0:1], v[70:71], v[6:7]
	scratch_store_b32 off, v19, s32 offset:740 ; 4-byte Folded Spill
	s_wait_xcnt 0x0
	v_add_nc_u32_e32 v19, 1, v18
	scratch_store_b64 off, v[0:1], s32 offset:192 ; 8-byte Folded Spill
	s_wait_xcnt 0x0
	s_and_saveexec_b32 s3, vcc_lo
	s_cbranch_execz .LBB230_1608
; %bb.1607:                             ;   in Loop: Header=BB230_1574 Depth=1
	s_clause 0x1
	scratch_load_b64 v[0:1], off, s32 offset:200
	scratch_load_b64 v[6:7], off, s32 offset:212 th:TH_LOAD_LU
	s_wait_loadcnt 0x1
	v_cmp_lt_i32_e64 s0, v18, v0
	s_wait_loadcnt 0x0
	s_delay_alu instid0(VALU_DEP_1) | instskip(SKIP_1) | instid1(VALU_DEP_1)
	v_cndmask_b32_e64 v6, 0, v6, s0
	v_cmp_lt_i32_e64 s0, v19, v0
	v_cndmask_b32_e64 v7, 0, v7, s0
	v_cmp_lt_i32_e64 s0, v21, v0
	s_clause 0x1
	scratch_store_b64 off, v[6:7], s32 offset:212
	scratch_load_b64 v[6:7], off, s32 offset:192 th:TH_LOAD_LU
	s_wait_loadcnt 0x0
	v_cndmask_b32_e64 v6, 0, v6, s0
	v_cmp_lt_i32_e64 s0, v20, v0
	s_delay_alu instid0(VALU_DEP_1)
	v_cndmask_b32_e64 v7, 0, v7, s0
	scratch_store_b64 off, v[6:7], s32 offset:192 ; 8-byte Folded Spill
.LBB230_1608:                           ;   in Loop: Header=BB230_1574 Depth=1
	s_wait_xcnt 0x0
	s_or_b32 exec_lo, exec_lo, s3
	flat_load_b32 v12, v[116:117] offset:128
	v_mov_b64_e32 v[0:1], 0
	v_mov_b64_e32 v[6:7], 0
	s_mov_b32 s3, exec_lo
	s_wait_loadcnt_dscnt 0x0
	v_and_b32_e32 v8, 0xff, v12
	s_wait_xcnt 0x0
	s_delay_alu instid0(VALU_DEP_1)
	v_cmpx_ne_u16_e32 0, v8
	s_cbranch_execz .LBB230_1616
; %bb.1609:                             ;   in Loop: Header=BB230_1574 Depth=1
	v_mov_b64_e32 v[6:7], 0x80000000
	s_mov_b32 s8, exec_lo
	v_cmpx_ne_u16_e32 0x80, v8
	s_cbranch_execz .LBB230_1615
; %bb.1610:                             ;   in Loop: Header=BB230_1574 Depth=1
	v_mov_b64_e32 v[6:7], 0x7f800001
	v_and_b32_e32 v8, 0x7f, v12
	s_mov_b32 s9, exec_lo
	s_delay_alu instid0(VALU_DEP_1)
	v_cmpx_ne_u32_e32 0x7f, v8
	s_cbranch_execz .LBB230_1614
; %bb.1611:                             ;   in Loop: Header=BB230_1574 Depth=1
	v_and_b32_e32 v16, 7, v12
	v_lshrrev_b32_e32 v6, 3, v8
	s_mov_b32 s16, exec_lo
	v_cmpx_gt_u32_e32 8, v8
; %bb.1612:                             ;   in Loop: Header=BB230_1574 Depth=1
	s_delay_alu instid0(VALU_DEP_3) | instskip(NEXT) | instid1(VALU_DEP_1)
	v_clz_i32_u32_e32 v6, v16
	v_min_u32_e32 v6, 32, v6
	s_delay_alu instid0(VALU_DEP_1) | instskip(NEXT) | instid1(VALU_DEP_1)
	v_subrev_nc_u32_e32 v7, 28, v6
	v_lshlrev_b64_e32 v[8:9], v7, v[16:17]
	s_delay_alu instid0(VALU_DEP_1)
	v_dual_sub_nc_u32 v6, 29, v6 :: v_dual_bitop2_b32 v16, 7, v8 bitop3:0x40
; %bb.1613:                             ;   in Loop: Header=BB230_1574 Depth=1
	s_or_b32 exec_lo, exec_lo, s16
	v_lshlrev_b32_e32 v7, 24, v12
	s_delay_alu instid0(VALU_DEP_2) | instskip(NEXT) | instid1(VALU_DEP_3)
	v_lshlrev_b32_e32 v8, 20, v16
	v_lshl_add_u32 v6, v6, 23, 0x3c000000
	s_delay_alu instid0(VALU_DEP_3) | instskip(NEXT) | instid1(VALU_DEP_1)
	v_and_b32_e32 v7, 0x80000000, v7
	v_or3_b32 v16, v8, v7, v6
	s_delay_alu instid0(VALU_DEP_1)
	v_mov_b64_e32 v[6:7], v[16:17]
.LBB230_1614:                           ;   in Loop: Header=BB230_1574 Depth=1
	s_or_b32 exec_lo, exec_lo, s9
.LBB230_1615:                           ;   in Loop: Header=BB230_1574 Depth=1
	s_delay_alu instid0(SALU_CYCLE_1)
	s_or_b32 exec_lo, exec_lo, s8
.LBB230_1616:                           ;   in Loop: Header=BB230_1574 Depth=1
	s_delay_alu instid0(SALU_CYCLE_1) | instskip(SKIP_2) | instid1(VALU_DEP_1)
	s_or_b32 exec_lo, exec_lo, s3
	v_lshrrev_b16 v8, 8, v12
	s_mov_b32 s3, exec_lo
	v_cmpx_ne_u16_e32 0, v8
	s_cbranch_execz .LBB230_1624
; %bb.1617:                             ;   in Loop: Header=BB230_1574 Depth=1
	v_mov_b64_e32 v[0:1], 0x8000000000000000
	s_mov_b32 s8, exec_lo
	v_cmpx_ne_u16_e32 0x80, v8
	s_cbranch_execz .LBB230_1623
; %bb.1618:                             ;   in Loop: Header=BB230_1574 Depth=1
	v_and_b32_e32 v9, 0xffff, v8
	v_mov_b64_e32 v[0:1], 0x7f80000100000000
	s_mov_b32 s9, exec_lo
	s_delay_alu instid0(VALU_DEP_2) | instskip(NEXT) | instid1(VALU_DEP_1)
	v_and_b32_e32 v8, 0x7f, v9
	v_cmpx_ne_u32_e32 0x7f, v8
	s_cbranch_execz .LBB230_1622
; %bb.1619:                             ;   in Loop: Header=BB230_1574 Depth=1
	v_dual_lshrrev_b32 v0, 3, v8 :: v_dual_bitop2_b32 v16, 7, v9 bitop3:0x40
	s_mov_b32 s16, exec_lo
	v_cmpx_gt_u32_e32 8, v8
; %bb.1620:                             ;   in Loop: Header=BB230_1574 Depth=1
	s_delay_alu instid0(VALU_DEP_2) | instskip(NEXT) | instid1(VALU_DEP_1)
	v_clz_i32_u32_e32 v0, v16
	v_min_u32_e32 v0, 32, v0
	s_delay_alu instid0(VALU_DEP_1) | instskip(SKIP_1) | instid1(VALU_DEP_2)
	v_subrev_nc_u32_e32 v1, 28, v0
	v_sub_nc_u32_e32 v0, 29, v0
	v_lshlrev_b64_e32 v[8:9], v1, v[16:17]
	s_delay_alu instid0(VALU_DEP_1)
	v_and_b32_e32 v16, 7, v8
; %bb.1621:                             ;   in Loop: Header=BB230_1574 Depth=1
	s_or_b32 exec_lo, exec_lo, s16
	v_lshlrev_b32_e32 v1, 16, v12
	s_delay_alu instid0(VALU_DEP_2) | instskip(SKIP_1) | instid1(VALU_DEP_3)
	v_lshlrev_b32_e32 v8, 20, v16
	v_lshl_add_u32 v0, v0, 23, 0x3c000000
	v_and_b32_e32 v1, 0x80000000, v1
	s_delay_alu instid0(VALU_DEP_1)
	v_or3_b32 v1, v8, v1, v0
	v_mov_b32_e32 v0, v17
.LBB230_1622:                           ;   in Loop: Header=BB230_1574 Depth=1
	s_or_b32 exec_lo, exec_lo, s9
.LBB230_1623:                           ;   in Loop: Header=BB230_1574 Depth=1
	s_delay_alu instid0(SALU_CYCLE_1)
	s_or_b32 exec_lo, exec_lo, s8
.LBB230_1624:                           ;   in Loop: Header=BB230_1574 Depth=1
	s_delay_alu instid0(SALU_CYCLE_1) | instskip(SKIP_4) | instid1(VALU_DEP_3)
	s_or_b32 exec_lo, exec_lo, s3
	v_lshrrev_b32_e32 v13, 16, v12
	v_mov_b64_e32 v[8:9], 0
	v_mov_b64_e32 v[10:11], 0
	s_mov_b32 s3, exec_lo
	v_and_b32_e32 v14, 0xff, v13
	s_delay_alu instid0(VALU_DEP_1)
	v_cmpx_ne_u16_e32 0, v14
	s_cbranch_execz .LBB230_1632
; %bb.1625:                             ;   in Loop: Header=BB230_1574 Depth=1
	v_mov_b64_e32 v[10:11], 0x80000000
	s_mov_b32 s8, exec_lo
	v_cmpx_ne_u16_e32 0x80, v14
	s_cbranch_execz .LBB230_1631
; %bb.1626:                             ;   in Loop: Header=BB230_1574 Depth=1
	v_mov_b64_e32 v[10:11], 0x7f800001
	v_bfe_u32 v14, v12, 16, 7
	s_mov_b32 s9, exec_lo
	s_delay_alu instid0(VALU_DEP_1)
	v_cmpx_ne_u32_e32 0x7f, v14
	s_cbranch_execz .LBB230_1630
; %bb.1627:                             ;   in Loop: Header=BB230_1574 Depth=1
	v_dual_lshrrev_b32 v10, 3, v14 :: v_dual_bitop2_b32 v16, 7, v13 bitop3:0x40
	s_mov_b32 s16, exec_lo
	v_cmpx_gt_u32_e32 8, v14
; %bb.1628:                             ;   in Loop: Header=BB230_1574 Depth=1
	s_delay_alu instid0(VALU_DEP_2) | instskip(NEXT) | instid1(VALU_DEP_1)
	v_clz_i32_u32_e32 v10, v16
	v_min_u32_e32 v10, 32, v10
	s_delay_alu instid0(VALU_DEP_1) | instskip(SKIP_1) | instid1(VALU_DEP_2)
	v_subrev_nc_u32_e32 v11, 28, v10
	v_sub_nc_u32_e32 v10, 29, v10
	v_lshlrev_b64_e32 v[14:15], v11, v[16:17]
	s_delay_alu instid0(VALU_DEP_1)
	v_and_b32_e32 v16, 7, v14
; %bb.1629:                             ;   in Loop: Header=BB230_1574 Depth=1
	s_or_b32 exec_lo, exec_lo, s16
	s_delay_alu instid0(VALU_DEP_1) | instskip(SKIP_1) | instid1(VALU_DEP_2)
	v_dual_lshlrev_b32 v11, 24, v13 :: v_dual_lshlrev_b32 v13, 20, v16
	v_lshl_add_u32 v10, v10, 23, 0x3c000000
	v_and_b32_e32 v11, 0x80000000, v11
	s_delay_alu instid0(VALU_DEP_1) | instskip(NEXT) | instid1(VALU_DEP_1)
	v_or3_b32 v16, v13, v11, v10
	v_mov_b64_e32 v[10:11], v[16:17]
.LBB230_1630:                           ;   in Loop: Header=BB230_1574 Depth=1
	s_or_b32 exec_lo, exec_lo, s9
.LBB230_1631:                           ;   in Loop: Header=BB230_1574 Depth=1
	s_delay_alu instid0(SALU_CYCLE_1)
	s_or_b32 exec_lo, exec_lo, s8
.LBB230_1632:                           ;   in Loop: Header=BB230_1574 Depth=1
	s_delay_alu instid0(SALU_CYCLE_1) | instskip(NEXT) | instid1(SALU_CYCLE_1)
	s_or_b32 exec_lo, exec_lo, s3
	s_mov_b32 s3, exec_lo
	v_cmpx_lt_u32_e32 0xffffff, v12
	s_cbranch_execz .LBB230_1640
; %bb.1633:                             ;   in Loop: Header=BB230_1574 Depth=1
	v_mov_b64_e32 v[8:9], 0x8000000000000000
	v_lshrrev_b32_e32 v13, 24, v12
	s_mov_b32 s8, exec_lo
	s_delay_alu instid0(VALU_DEP_1)
	v_cmpx_ne_u32_e32 0x80, v13
	s_cbranch_execz .LBB230_1639
; %bb.1634:                             ;   in Loop: Header=BB230_1574 Depth=1
	v_mov_b64_e32 v[8:9], 0x7f80000100000000
	v_bfe_u32 v12, v12, 24, 7
	s_mov_b32 s9, exec_lo
	s_delay_alu instid0(VALU_DEP_1)
	v_cmpx_ne_u32_e32 0x7f, v12
	s_cbranch_execz .LBB230_1638
; %bb.1635:                             ;   in Loop: Header=BB230_1574 Depth=1
	v_dual_lshrrev_b32 v8, 3, v12 :: v_dual_bitop2_b32 v16, 7, v13 bitop3:0x40
	s_mov_b32 s16, exec_lo
	v_cmpx_gt_u32_e32 8, v12
; %bb.1636:                             ;   in Loop: Header=BB230_1574 Depth=1
	s_delay_alu instid0(VALU_DEP_2) | instskip(NEXT) | instid1(VALU_DEP_1)
	v_clz_i32_u32_e32 v8, v16
	v_min_u32_e32 v8, 32, v8
	s_delay_alu instid0(VALU_DEP_1) | instskip(NEXT) | instid1(VALU_DEP_1)
	v_subrev_nc_u32_e32 v9, 28, v8
	v_lshlrev_b64_e32 v[14:15], v9, v[16:17]
	s_delay_alu instid0(VALU_DEP_1)
	v_dual_sub_nc_u32 v8, 29, v8 :: v_dual_bitop2_b32 v16, 7, v14 bitop3:0x40
; %bb.1637:                             ;   in Loop: Header=BB230_1574 Depth=1
	s_or_b32 exec_lo, exec_lo, s16
	s_delay_alu instid0(VALU_DEP_1) | instskip(NEXT) | instid1(VALU_DEP_2)
	v_dual_lshlrev_b32 v9, 24, v13 :: v_dual_lshlrev_b32 v12, 20, v16
	v_lshl_add_u32 v8, v8, 23, 0x3c000000
	s_delay_alu instid0(VALU_DEP_2) | instskip(NEXT) | instid1(VALU_DEP_1)
	v_and_b32_e32 v9, 0x80000000, v9
	v_or3_b32 v9, v12, v9, v8
	v_mov_b32_e32 v8, v17
.LBB230_1638:                           ;   in Loop: Header=BB230_1574 Depth=1
	s_or_b32 exec_lo, exec_lo, s9
.LBB230_1639:                           ;   in Loop: Header=BB230_1574 Depth=1
	s_delay_alu instid0(SALU_CYCLE_1)
	s_or_b32 exec_lo, exec_lo, s8
.LBB230_1640:                           ;   in Loop: Header=BB230_1574 Depth=1
	s_delay_alu instid0(SALU_CYCLE_1) | instskip(SKIP_4) | instid1(VALU_DEP_3)
	s_or_b32 exec_lo, exec_lo, s3
	v_or_b32_e32 v1, v1, v7
	v_or_b32_e32 v0, v0, v6
	;; [unrolled: 1-line block ×4, first 2 shown]
	v_pk_mul_f32 v[0:1], v[70:71], v[0:1]
	scratch_store_b64 off, v[0:1], s32 offset:228 ; 8-byte Folded Spill
	s_wait_xcnt 0x0
	v_pk_mul_f32 v[0:1], v[70:71], v[6:7]
	scratch_store_b64 off, v[0:1], s32 offset:220 ; 8-byte Folded Spill
	s_wait_xcnt 0x0
	s_and_saveexec_b32 s3, vcc_lo
	s_cbranch_execz .LBB230_1642
; %bb.1641:                             ;   in Loop: Header=BB230_1574 Depth=1
	s_clause 0x1
	scratch_load_b64 v[0:1], off, s32 offset:200
	scratch_load_b64 v[6:7], off, s32 offset:228 th:TH_LOAD_LU
	s_wait_loadcnt 0x1
	v_cmp_lt_i32_e64 s0, v18, v0
	s_wait_loadcnt 0x0
	s_delay_alu instid0(VALU_DEP_1) | instskip(SKIP_1) | instid1(VALU_DEP_1)
	v_cndmask_b32_e64 v6, 0, v6, s0
	v_cmp_lt_i32_e64 s0, v19, v0
	v_cndmask_b32_e64 v7, 0, v7, s0
	v_cmp_lt_i32_e64 s0, v21, v0
	s_clause 0x1
	scratch_store_b64 off, v[6:7], s32 offset:228
	scratch_load_b64 v[6:7], off, s32 offset:220 th:TH_LOAD_LU
	s_wait_loadcnt 0x0
	v_cndmask_b32_e64 v6, 0, v6, s0
	v_cmp_lt_i32_e64 s0, v20, v0
	s_delay_alu instid0(VALU_DEP_1)
	v_cndmask_b32_e64 v7, 0, v7, s0
	scratch_store_b64 off, v[6:7], s32 offset:220 ; 8-byte Folded Spill
.LBB230_1642:                           ;   in Loop: Header=BB230_1574 Depth=1
	s_wait_xcnt 0x0
	s_or_b32 exec_lo, exec_lo, s3
	flat_load_b32 v12, v[116:117] offset:256
	v_mov_b64_e32 v[0:1], 0
	v_mov_b64_e32 v[6:7], 0
	s_mov_b32 s3, exec_lo
	s_wait_loadcnt_dscnt 0x0
	v_and_b32_e32 v8, 0xff, v12
	s_wait_xcnt 0x0
	s_delay_alu instid0(VALU_DEP_1)
	v_cmpx_ne_u16_e32 0, v8
	s_cbranch_execz .LBB230_1650
; %bb.1643:                             ;   in Loop: Header=BB230_1574 Depth=1
	v_mov_b64_e32 v[6:7], 0x80000000
	s_mov_b32 s8, exec_lo
	v_cmpx_ne_u16_e32 0x80, v8
	s_cbranch_execz .LBB230_1649
; %bb.1644:                             ;   in Loop: Header=BB230_1574 Depth=1
	v_mov_b64_e32 v[6:7], 0x7f800001
	v_and_b32_e32 v8, 0x7f, v12
	s_mov_b32 s9, exec_lo
	s_delay_alu instid0(VALU_DEP_1)
	v_cmpx_ne_u32_e32 0x7f, v8
	s_cbranch_execz .LBB230_1648
; %bb.1645:                             ;   in Loop: Header=BB230_1574 Depth=1
	v_and_b32_e32 v16, 7, v12
	v_lshrrev_b32_e32 v6, 3, v8
	s_mov_b32 s16, exec_lo
	v_cmpx_gt_u32_e32 8, v8
; %bb.1646:                             ;   in Loop: Header=BB230_1574 Depth=1
	s_delay_alu instid0(VALU_DEP_3) | instskip(NEXT) | instid1(VALU_DEP_1)
	v_clz_i32_u32_e32 v6, v16
	v_min_u32_e32 v6, 32, v6
	s_delay_alu instid0(VALU_DEP_1) | instskip(NEXT) | instid1(VALU_DEP_1)
	v_subrev_nc_u32_e32 v7, 28, v6
	v_lshlrev_b64_e32 v[8:9], v7, v[16:17]
	s_delay_alu instid0(VALU_DEP_1)
	v_dual_sub_nc_u32 v6, 29, v6 :: v_dual_bitop2_b32 v16, 7, v8 bitop3:0x40
; %bb.1647:                             ;   in Loop: Header=BB230_1574 Depth=1
	s_or_b32 exec_lo, exec_lo, s16
	v_lshlrev_b32_e32 v7, 24, v12
	s_delay_alu instid0(VALU_DEP_2) | instskip(NEXT) | instid1(VALU_DEP_3)
	v_lshlrev_b32_e32 v8, 20, v16
	v_lshl_add_u32 v6, v6, 23, 0x3c000000
	s_delay_alu instid0(VALU_DEP_3) | instskip(NEXT) | instid1(VALU_DEP_1)
	v_and_b32_e32 v7, 0x80000000, v7
	v_or3_b32 v16, v8, v7, v6
	s_delay_alu instid0(VALU_DEP_1)
	v_mov_b64_e32 v[6:7], v[16:17]
.LBB230_1648:                           ;   in Loop: Header=BB230_1574 Depth=1
	s_or_b32 exec_lo, exec_lo, s9
.LBB230_1649:                           ;   in Loop: Header=BB230_1574 Depth=1
	s_delay_alu instid0(SALU_CYCLE_1)
	s_or_b32 exec_lo, exec_lo, s8
.LBB230_1650:                           ;   in Loop: Header=BB230_1574 Depth=1
	s_delay_alu instid0(SALU_CYCLE_1) | instskip(SKIP_2) | instid1(VALU_DEP_1)
	s_or_b32 exec_lo, exec_lo, s3
	v_lshrrev_b16 v8, 8, v12
	s_mov_b32 s3, exec_lo
	v_cmpx_ne_u16_e32 0, v8
	s_cbranch_execz .LBB230_1658
; %bb.1651:                             ;   in Loop: Header=BB230_1574 Depth=1
	v_mov_b64_e32 v[0:1], 0x8000000000000000
	s_mov_b32 s8, exec_lo
	v_cmpx_ne_u16_e32 0x80, v8
	s_cbranch_execz .LBB230_1657
; %bb.1652:                             ;   in Loop: Header=BB230_1574 Depth=1
	v_and_b32_e32 v9, 0xffff, v8
	v_mov_b64_e32 v[0:1], 0x7f80000100000000
	s_mov_b32 s9, exec_lo
	s_delay_alu instid0(VALU_DEP_2) | instskip(NEXT) | instid1(VALU_DEP_1)
	v_and_b32_e32 v8, 0x7f, v9
	v_cmpx_ne_u32_e32 0x7f, v8
	s_cbranch_execz .LBB230_1656
; %bb.1653:                             ;   in Loop: Header=BB230_1574 Depth=1
	v_dual_lshrrev_b32 v0, 3, v8 :: v_dual_bitop2_b32 v16, 7, v9 bitop3:0x40
	s_mov_b32 s16, exec_lo
	v_cmpx_gt_u32_e32 8, v8
; %bb.1654:                             ;   in Loop: Header=BB230_1574 Depth=1
	s_delay_alu instid0(VALU_DEP_2) | instskip(NEXT) | instid1(VALU_DEP_1)
	v_clz_i32_u32_e32 v0, v16
	v_min_u32_e32 v0, 32, v0
	s_delay_alu instid0(VALU_DEP_1) | instskip(SKIP_1) | instid1(VALU_DEP_2)
	v_subrev_nc_u32_e32 v1, 28, v0
	v_sub_nc_u32_e32 v0, 29, v0
	v_lshlrev_b64_e32 v[8:9], v1, v[16:17]
	s_delay_alu instid0(VALU_DEP_1)
	v_and_b32_e32 v16, 7, v8
; %bb.1655:                             ;   in Loop: Header=BB230_1574 Depth=1
	s_or_b32 exec_lo, exec_lo, s16
	v_lshlrev_b32_e32 v1, 16, v12
	s_delay_alu instid0(VALU_DEP_2) | instskip(SKIP_1) | instid1(VALU_DEP_3)
	v_lshlrev_b32_e32 v8, 20, v16
	v_lshl_add_u32 v0, v0, 23, 0x3c000000
	v_and_b32_e32 v1, 0x80000000, v1
	s_delay_alu instid0(VALU_DEP_1)
	v_or3_b32 v1, v8, v1, v0
	v_mov_b32_e32 v0, v17
.LBB230_1656:                           ;   in Loop: Header=BB230_1574 Depth=1
	s_or_b32 exec_lo, exec_lo, s9
.LBB230_1657:                           ;   in Loop: Header=BB230_1574 Depth=1
	s_delay_alu instid0(SALU_CYCLE_1)
	s_or_b32 exec_lo, exec_lo, s8
.LBB230_1658:                           ;   in Loop: Header=BB230_1574 Depth=1
	s_delay_alu instid0(SALU_CYCLE_1) | instskip(SKIP_4) | instid1(VALU_DEP_3)
	s_or_b32 exec_lo, exec_lo, s3
	v_lshrrev_b32_e32 v13, 16, v12
	v_mov_b64_e32 v[8:9], 0
	v_mov_b64_e32 v[10:11], 0
	s_mov_b32 s3, exec_lo
	v_and_b32_e32 v14, 0xff, v13
	s_delay_alu instid0(VALU_DEP_1)
	v_cmpx_ne_u16_e32 0, v14
	s_cbranch_execz .LBB230_1666
; %bb.1659:                             ;   in Loop: Header=BB230_1574 Depth=1
	v_mov_b64_e32 v[10:11], 0x80000000
	s_mov_b32 s8, exec_lo
	v_cmpx_ne_u16_e32 0x80, v14
	s_cbranch_execz .LBB230_1665
; %bb.1660:                             ;   in Loop: Header=BB230_1574 Depth=1
	v_mov_b64_e32 v[10:11], 0x7f800001
	v_bfe_u32 v14, v12, 16, 7
	s_mov_b32 s9, exec_lo
	s_delay_alu instid0(VALU_DEP_1)
	v_cmpx_ne_u32_e32 0x7f, v14
	s_cbranch_execz .LBB230_1664
; %bb.1661:                             ;   in Loop: Header=BB230_1574 Depth=1
	v_dual_lshrrev_b32 v10, 3, v14 :: v_dual_bitop2_b32 v16, 7, v13 bitop3:0x40
	s_mov_b32 s16, exec_lo
	v_cmpx_gt_u32_e32 8, v14
; %bb.1662:                             ;   in Loop: Header=BB230_1574 Depth=1
	s_delay_alu instid0(VALU_DEP_2) | instskip(NEXT) | instid1(VALU_DEP_1)
	v_clz_i32_u32_e32 v10, v16
	v_min_u32_e32 v10, 32, v10
	s_delay_alu instid0(VALU_DEP_1) | instskip(SKIP_1) | instid1(VALU_DEP_2)
	v_subrev_nc_u32_e32 v11, 28, v10
	v_sub_nc_u32_e32 v10, 29, v10
	v_lshlrev_b64_e32 v[14:15], v11, v[16:17]
	s_delay_alu instid0(VALU_DEP_1)
	v_and_b32_e32 v16, 7, v14
; %bb.1663:                             ;   in Loop: Header=BB230_1574 Depth=1
	s_or_b32 exec_lo, exec_lo, s16
	s_delay_alu instid0(VALU_DEP_1) | instskip(SKIP_1) | instid1(VALU_DEP_2)
	v_dual_lshlrev_b32 v11, 24, v13 :: v_dual_lshlrev_b32 v13, 20, v16
	v_lshl_add_u32 v10, v10, 23, 0x3c000000
	v_and_b32_e32 v11, 0x80000000, v11
	s_delay_alu instid0(VALU_DEP_1) | instskip(NEXT) | instid1(VALU_DEP_1)
	v_or3_b32 v16, v13, v11, v10
	v_mov_b64_e32 v[10:11], v[16:17]
.LBB230_1664:                           ;   in Loop: Header=BB230_1574 Depth=1
	s_or_b32 exec_lo, exec_lo, s9
.LBB230_1665:                           ;   in Loop: Header=BB230_1574 Depth=1
	s_delay_alu instid0(SALU_CYCLE_1)
	s_or_b32 exec_lo, exec_lo, s8
.LBB230_1666:                           ;   in Loop: Header=BB230_1574 Depth=1
	s_delay_alu instid0(SALU_CYCLE_1) | instskip(NEXT) | instid1(SALU_CYCLE_1)
	s_or_b32 exec_lo, exec_lo, s3
	s_mov_b32 s3, exec_lo
	v_cmpx_lt_u32_e32 0xffffff, v12
	s_cbranch_execz .LBB230_1674
; %bb.1667:                             ;   in Loop: Header=BB230_1574 Depth=1
	v_mov_b64_e32 v[8:9], 0x8000000000000000
	v_lshrrev_b32_e32 v13, 24, v12
	s_mov_b32 s8, exec_lo
	s_delay_alu instid0(VALU_DEP_1)
	v_cmpx_ne_u32_e32 0x80, v13
	s_cbranch_execz .LBB230_1673
; %bb.1668:                             ;   in Loop: Header=BB230_1574 Depth=1
	v_mov_b64_e32 v[8:9], 0x7f80000100000000
	v_bfe_u32 v12, v12, 24, 7
	s_mov_b32 s9, exec_lo
	s_delay_alu instid0(VALU_DEP_1)
	v_cmpx_ne_u32_e32 0x7f, v12
	s_cbranch_execz .LBB230_1672
; %bb.1669:                             ;   in Loop: Header=BB230_1574 Depth=1
	v_dual_lshrrev_b32 v8, 3, v12 :: v_dual_bitop2_b32 v16, 7, v13 bitop3:0x40
	s_mov_b32 s16, exec_lo
	v_cmpx_gt_u32_e32 8, v12
; %bb.1670:                             ;   in Loop: Header=BB230_1574 Depth=1
	s_delay_alu instid0(VALU_DEP_2) | instskip(NEXT) | instid1(VALU_DEP_1)
	v_clz_i32_u32_e32 v8, v16
	v_min_u32_e32 v8, 32, v8
	s_delay_alu instid0(VALU_DEP_1) | instskip(NEXT) | instid1(VALU_DEP_1)
	v_subrev_nc_u32_e32 v9, 28, v8
	v_lshlrev_b64_e32 v[14:15], v9, v[16:17]
	s_delay_alu instid0(VALU_DEP_1)
	v_dual_sub_nc_u32 v8, 29, v8 :: v_dual_bitop2_b32 v16, 7, v14 bitop3:0x40
; %bb.1671:                             ;   in Loop: Header=BB230_1574 Depth=1
	s_or_b32 exec_lo, exec_lo, s16
	s_delay_alu instid0(VALU_DEP_1) | instskip(NEXT) | instid1(VALU_DEP_2)
	v_dual_lshlrev_b32 v9, 24, v13 :: v_dual_lshlrev_b32 v12, 20, v16
	v_lshl_add_u32 v8, v8, 23, 0x3c000000
	s_delay_alu instid0(VALU_DEP_2) | instskip(NEXT) | instid1(VALU_DEP_1)
	v_and_b32_e32 v9, 0x80000000, v9
	v_or3_b32 v9, v12, v9, v8
	v_mov_b32_e32 v8, v17
.LBB230_1672:                           ;   in Loop: Header=BB230_1574 Depth=1
	s_or_b32 exec_lo, exec_lo, s9
.LBB230_1673:                           ;   in Loop: Header=BB230_1574 Depth=1
	s_delay_alu instid0(SALU_CYCLE_1)
	s_or_b32 exec_lo, exec_lo, s8
.LBB230_1674:                           ;   in Loop: Header=BB230_1574 Depth=1
	s_delay_alu instid0(SALU_CYCLE_1) | instskip(SKIP_4) | instid1(VALU_DEP_3)
	s_or_b32 exec_lo, exec_lo, s3
	v_or_b32_e32 v1, v1, v7
	v_or_b32_e32 v0, v0, v6
	;; [unrolled: 1-line block ×4, first 2 shown]
	v_pk_mul_f32 v[0:1], v[70:71], v[0:1]
	scratch_store_b64 off, v[0:1], s32 offset:244 ; 8-byte Folded Spill
	s_wait_xcnt 0x0
	v_pk_mul_f32 v[0:1], v[70:71], v[6:7]
	scratch_store_b64 off, v[0:1], s32 offset:236 ; 8-byte Folded Spill
	s_wait_xcnt 0x0
	s_and_saveexec_b32 s3, vcc_lo
	s_cbranch_execz .LBB230_1676
; %bb.1675:                             ;   in Loop: Header=BB230_1574 Depth=1
	s_clause 0x1
	scratch_load_b64 v[0:1], off, s32 offset:200
	scratch_load_b64 v[6:7], off, s32 offset:244 th:TH_LOAD_LU
	s_wait_loadcnt 0x1
	v_cmp_lt_i32_e64 s0, v18, v0
	s_wait_loadcnt 0x0
	s_delay_alu instid0(VALU_DEP_1) | instskip(SKIP_1) | instid1(VALU_DEP_1)
	v_cndmask_b32_e64 v6, 0, v6, s0
	v_cmp_lt_i32_e64 s0, v19, v0
	v_cndmask_b32_e64 v7, 0, v7, s0
	v_cmp_lt_i32_e64 s0, v21, v0
	s_clause 0x1
	scratch_store_b64 off, v[6:7], s32 offset:244
	scratch_load_b64 v[6:7], off, s32 offset:236 th:TH_LOAD_LU
	s_wait_loadcnt 0x0
	v_cndmask_b32_e64 v6, 0, v6, s0
	v_cmp_lt_i32_e64 s0, v20, v0
	s_delay_alu instid0(VALU_DEP_1)
	v_cndmask_b32_e64 v7, 0, v7, s0
	scratch_store_b64 off, v[6:7], s32 offset:236 ; 8-byte Folded Spill
.LBB230_1676:                           ;   in Loop: Header=BB230_1574 Depth=1
	s_wait_xcnt 0x0
	s_or_b32 exec_lo, exec_lo, s3
	flat_load_b32 v12, v[116:117] offset:384
	v_mov_b64_e32 v[0:1], 0
	v_mov_b64_e32 v[6:7], 0
	s_mov_b32 s3, exec_lo
	s_wait_loadcnt_dscnt 0x0
	v_and_b32_e32 v8, 0xff, v12
	s_wait_xcnt 0x0
	s_delay_alu instid0(VALU_DEP_1)
	v_cmpx_ne_u16_e32 0, v8
	s_cbranch_execz .LBB230_1684
; %bb.1677:                             ;   in Loop: Header=BB230_1574 Depth=1
	v_mov_b64_e32 v[6:7], 0x80000000
	s_mov_b32 s8, exec_lo
	v_cmpx_ne_u16_e32 0x80, v8
	s_cbranch_execz .LBB230_1683
; %bb.1678:                             ;   in Loop: Header=BB230_1574 Depth=1
	v_mov_b64_e32 v[6:7], 0x7f800001
	v_and_b32_e32 v8, 0x7f, v12
	s_mov_b32 s9, exec_lo
	s_delay_alu instid0(VALU_DEP_1)
	v_cmpx_ne_u32_e32 0x7f, v8
	s_cbranch_execz .LBB230_1682
; %bb.1679:                             ;   in Loop: Header=BB230_1574 Depth=1
	v_and_b32_e32 v16, 7, v12
	v_lshrrev_b32_e32 v6, 3, v8
	s_mov_b32 s16, exec_lo
	v_cmpx_gt_u32_e32 8, v8
; %bb.1680:                             ;   in Loop: Header=BB230_1574 Depth=1
	s_delay_alu instid0(VALU_DEP_3) | instskip(NEXT) | instid1(VALU_DEP_1)
	v_clz_i32_u32_e32 v6, v16
	v_min_u32_e32 v6, 32, v6
	s_delay_alu instid0(VALU_DEP_1) | instskip(NEXT) | instid1(VALU_DEP_1)
	v_subrev_nc_u32_e32 v7, 28, v6
	v_lshlrev_b64_e32 v[8:9], v7, v[16:17]
	s_delay_alu instid0(VALU_DEP_1)
	v_dual_sub_nc_u32 v6, 29, v6 :: v_dual_bitop2_b32 v16, 7, v8 bitop3:0x40
; %bb.1681:                             ;   in Loop: Header=BB230_1574 Depth=1
	s_or_b32 exec_lo, exec_lo, s16
	v_lshlrev_b32_e32 v7, 24, v12
	s_delay_alu instid0(VALU_DEP_2) | instskip(NEXT) | instid1(VALU_DEP_3)
	v_lshlrev_b32_e32 v8, 20, v16
	v_lshl_add_u32 v6, v6, 23, 0x3c000000
	s_delay_alu instid0(VALU_DEP_3) | instskip(NEXT) | instid1(VALU_DEP_1)
	v_and_b32_e32 v7, 0x80000000, v7
	v_or3_b32 v16, v8, v7, v6
	s_delay_alu instid0(VALU_DEP_1)
	v_mov_b64_e32 v[6:7], v[16:17]
.LBB230_1682:                           ;   in Loop: Header=BB230_1574 Depth=1
	s_or_b32 exec_lo, exec_lo, s9
.LBB230_1683:                           ;   in Loop: Header=BB230_1574 Depth=1
	s_delay_alu instid0(SALU_CYCLE_1)
	s_or_b32 exec_lo, exec_lo, s8
.LBB230_1684:                           ;   in Loop: Header=BB230_1574 Depth=1
	s_delay_alu instid0(SALU_CYCLE_1) | instskip(SKIP_2) | instid1(VALU_DEP_1)
	s_or_b32 exec_lo, exec_lo, s3
	v_lshrrev_b16 v8, 8, v12
	s_mov_b32 s3, exec_lo
	v_cmpx_ne_u16_e32 0, v8
	s_cbranch_execz .LBB230_1692
; %bb.1685:                             ;   in Loop: Header=BB230_1574 Depth=1
	v_mov_b64_e32 v[0:1], 0x8000000000000000
	s_mov_b32 s8, exec_lo
	v_cmpx_ne_u16_e32 0x80, v8
	s_cbranch_execz .LBB230_1691
; %bb.1686:                             ;   in Loop: Header=BB230_1574 Depth=1
	v_and_b32_e32 v9, 0xffff, v8
	v_mov_b64_e32 v[0:1], 0x7f80000100000000
	s_mov_b32 s9, exec_lo
	s_delay_alu instid0(VALU_DEP_2) | instskip(NEXT) | instid1(VALU_DEP_1)
	v_and_b32_e32 v8, 0x7f, v9
	v_cmpx_ne_u32_e32 0x7f, v8
	s_cbranch_execz .LBB230_1690
; %bb.1687:                             ;   in Loop: Header=BB230_1574 Depth=1
	v_dual_lshrrev_b32 v0, 3, v8 :: v_dual_bitop2_b32 v16, 7, v9 bitop3:0x40
	s_mov_b32 s16, exec_lo
	v_cmpx_gt_u32_e32 8, v8
; %bb.1688:                             ;   in Loop: Header=BB230_1574 Depth=1
	s_delay_alu instid0(VALU_DEP_2) | instskip(NEXT) | instid1(VALU_DEP_1)
	v_clz_i32_u32_e32 v0, v16
	v_min_u32_e32 v0, 32, v0
	s_delay_alu instid0(VALU_DEP_1) | instskip(SKIP_1) | instid1(VALU_DEP_2)
	v_subrev_nc_u32_e32 v1, 28, v0
	v_sub_nc_u32_e32 v0, 29, v0
	v_lshlrev_b64_e32 v[8:9], v1, v[16:17]
	s_delay_alu instid0(VALU_DEP_1)
	v_and_b32_e32 v16, 7, v8
; %bb.1689:                             ;   in Loop: Header=BB230_1574 Depth=1
	s_or_b32 exec_lo, exec_lo, s16
	v_lshlrev_b32_e32 v1, 16, v12
	s_delay_alu instid0(VALU_DEP_2) | instskip(SKIP_1) | instid1(VALU_DEP_3)
	v_lshlrev_b32_e32 v8, 20, v16
	v_lshl_add_u32 v0, v0, 23, 0x3c000000
	v_and_b32_e32 v1, 0x80000000, v1
	s_delay_alu instid0(VALU_DEP_1)
	v_or3_b32 v1, v8, v1, v0
	v_mov_b32_e32 v0, v17
.LBB230_1690:                           ;   in Loop: Header=BB230_1574 Depth=1
	s_or_b32 exec_lo, exec_lo, s9
.LBB230_1691:                           ;   in Loop: Header=BB230_1574 Depth=1
	s_delay_alu instid0(SALU_CYCLE_1)
	s_or_b32 exec_lo, exec_lo, s8
.LBB230_1692:                           ;   in Loop: Header=BB230_1574 Depth=1
	s_delay_alu instid0(SALU_CYCLE_1) | instskip(SKIP_4) | instid1(VALU_DEP_3)
	s_or_b32 exec_lo, exec_lo, s3
	v_lshrrev_b32_e32 v13, 16, v12
	v_mov_b64_e32 v[8:9], 0
	v_mov_b64_e32 v[10:11], 0
	s_mov_b32 s3, exec_lo
	v_and_b32_e32 v14, 0xff, v13
	s_delay_alu instid0(VALU_DEP_1)
	v_cmpx_ne_u16_e32 0, v14
	s_cbranch_execz .LBB230_1700
; %bb.1693:                             ;   in Loop: Header=BB230_1574 Depth=1
	v_mov_b64_e32 v[10:11], 0x80000000
	s_mov_b32 s8, exec_lo
	v_cmpx_ne_u16_e32 0x80, v14
	s_cbranch_execz .LBB230_1699
; %bb.1694:                             ;   in Loop: Header=BB230_1574 Depth=1
	v_mov_b64_e32 v[10:11], 0x7f800001
	v_bfe_u32 v14, v12, 16, 7
	s_mov_b32 s9, exec_lo
	s_delay_alu instid0(VALU_DEP_1)
	v_cmpx_ne_u32_e32 0x7f, v14
	s_cbranch_execz .LBB230_1698
; %bb.1695:                             ;   in Loop: Header=BB230_1574 Depth=1
	v_dual_lshrrev_b32 v10, 3, v14 :: v_dual_bitop2_b32 v16, 7, v13 bitop3:0x40
	s_mov_b32 s16, exec_lo
	v_cmpx_gt_u32_e32 8, v14
; %bb.1696:                             ;   in Loop: Header=BB230_1574 Depth=1
	s_delay_alu instid0(VALU_DEP_2) | instskip(NEXT) | instid1(VALU_DEP_1)
	v_clz_i32_u32_e32 v10, v16
	v_min_u32_e32 v10, 32, v10
	s_delay_alu instid0(VALU_DEP_1) | instskip(SKIP_1) | instid1(VALU_DEP_2)
	v_subrev_nc_u32_e32 v11, 28, v10
	v_sub_nc_u32_e32 v10, 29, v10
	v_lshlrev_b64_e32 v[14:15], v11, v[16:17]
	s_delay_alu instid0(VALU_DEP_1)
	v_and_b32_e32 v16, 7, v14
; %bb.1697:                             ;   in Loop: Header=BB230_1574 Depth=1
	s_or_b32 exec_lo, exec_lo, s16
	s_delay_alu instid0(VALU_DEP_1) | instskip(SKIP_1) | instid1(VALU_DEP_2)
	v_dual_lshlrev_b32 v11, 24, v13 :: v_dual_lshlrev_b32 v13, 20, v16
	v_lshl_add_u32 v10, v10, 23, 0x3c000000
	v_and_b32_e32 v11, 0x80000000, v11
	s_delay_alu instid0(VALU_DEP_1) | instskip(NEXT) | instid1(VALU_DEP_1)
	v_or3_b32 v16, v13, v11, v10
	v_mov_b64_e32 v[10:11], v[16:17]
.LBB230_1698:                           ;   in Loop: Header=BB230_1574 Depth=1
	s_or_b32 exec_lo, exec_lo, s9
.LBB230_1699:                           ;   in Loop: Header=BB230_1574 Depth=1
	s_delay_alu instid0(SALU_CYCLE_1)
	s_or_b32 exec_lo, exec_lo, s8
.LBB230_1700:                           ;   in Loop: Header=BB230_1574 Depth=1
	s_delay_alu instid0(SALU_CYCLE_1) | instskip(NEXT) | instid1(SALU_CYCLE_1)
	s_or_b32 exec_lo, exec_lo, s3
	s_mov_b32 s3, exec_lo
	v_cmpx_lt_u32_e32 0xffffff, v12
	s_cbranch_execz .LBB230_1708
; %bb.1701:                             ;   in Loop: Header=BB230_1574 Depth=1
	v_mov_b64_e32 v[8:9], 0x8000000000000000
	v_lshrrev_b32_e32 v13, 24, v12
	s_mov_b32 s8, exec_lo
	s_delay_alu instid0(VALU_DEP_1)
	v_cmpx_ne_u32_e32 0x80, v13
	s_cbranch_execz .LBB230_1707
; %bb.1702:                             ;   in Loop: Header=BB230_1574 Depth=1
	v_mov_b64_e32 v[8:9], 0x7f80000100000000
	v_bfe_u32 v12, v12, 24, 7
	s_mov_b32 s9, exec_lo
	s_delay_alu instid0(VALU_DEP_1)
	v_cmpx_ne_u32_e32 0x7f, v12
	s_cbranch_execz .LBB230_1706
; %bb.1703:                             ;   in Loop: Header=BB230_1574 Depth=1
	v_dual_lshrrev_b32 v8, 3, v12 :: v_dual_bitop2_b32 v16, 7, v13 bitop3:0x40
	s_mov_b32 s16, exec_lo
	v_cmpx_gt_u32_e32 8, v12
; %bb.1704:                             ;   in Loop: Header=BB230_1574 Depth=1
	s_delay_alu instid0(VALU_DEP_2) | instskip(NEXT) | instid1(VALU_DEP_1)
	v_clz_i32_u32_e32 v8, v16
	v_min_u32_e32 v8, 32, v8
	s_delay_alu instid0(VALU_DEP_1) | instskip(NEXT) | instid1(VALU_DEP_1)
	v_subrev_nc_u32_e32 v9, 28, v8
	v_lshlrev_b64_e32 v[14:15], v9, v[16:17]
	s_delay_alu instid0(VALU_DEP_1)
	v_dual_sub_nc_u32 v8, 29, v8 :: v_dual_bitop2_b32 v16, 7, v14 bitop3:0x40
; %bb.1705:                             ;   in Loop: Header=BB230_1574 Depth=1
	s_or_b32 exec_lo, exec_lo, s16
	s_delay_alu instid0(VALU_DEP_1) | instskip(NEXT) | instid1(VALU_DEP_2)
	v_dual_lshlrev_b32 v9, 24, v13 :: v_dual_lshlrev_b32 v12, 20, v16
	v_lshl_add_u32 v8, v8, 23, 0x3c000000
	s_delay_alu instid0(VALU_DEP_2) | instskip(NEXT) | instid1(VALU_DEP_1)
	v_and_b32_e32 v9, 0x80000000, v9
	v_or3_b32 v9, v12, v9, v8
	v_mov_b32_e32 v8, v17
.LBB230_1706:                           ;   in Loop: Header=BB230_1574 Depth=1
	s_or_b32 exec_lo, exec_lo, s9
.LBB230_1707:                           ;   in Loop: Header=BB230_1574 Depth=1
	s_delay_alu instid0(SALU_CYCLE_1)
	s_or_b32 exec_lo, exec_lo, s8
.LBB230_1708:                           ;   in Loop: Header=BB230_1574 Depth=1
	s_delay_alu instid0(SALU_CYCLE_1) | instskip(SKIP_4) | instid1(VALU_DEP_3)
	s_or_b32 exec_lo, exec_lo, s3
	v_or_b32_e32 v1, v1, v7
	v_or_b32_e32 v0, v0, v6
	;; [unrolled: 1-line block ×4, first 2 shown]
	v_pk_mul_f32 v[0:1], v[70:71], v[0:1]
	scratch_store_b64 off, v[0:1], s32 offset:260 ; 8-byte Folded Spill
	s_wait_xcnt 0x0
	v_pk_mul_f32 v[0:1], v[70:71], v[6:7]
	scratch_store_b64 off, v[0:1], s32 offset:252 ; 8-byte Folded Spill
	s_wait_xcnt 0x0
	s_and_saveexec_b32 s3, vcc_lo
	s_cbranch_execz .LBB230_1710
; %bb.1709:                             ;   in Loop: Header=BB230_1574 Depth=1
	s_clause 0x1
	scratch_load_b64 v[0:1], off, s32 offset:200
	scratch_load_b64 v[6:7], off, s32 offset:260 th:TH_LOAD_LU
	s_wait_loadcnt 0x1
	v_cmp_lt_i32_e64 s0, v18, v0
	s_wait_loadcnt 0x0
	s_delay_alu instid0(VALU_DEP_1) | instskip(SKIP_1) | instid1(VALU_DEP_1)
	v_cndmask_b32_e64 v6, 0, v6, s0
	v_cmp_lt_i32_e64 s0, v19, v0
	v_cndmask_b32_e64 v7, 0, v7, s0
	v_cmp_lt_i32_e64 s0, v21, v0
	s_clause 0x1
	scratch_store_b64 off, v[6:7], s32 offset:260
	scratch_load_b64 v[6:7], off, s32 offset:252 th:TH_LOAD_LU
	s_wait_loadcnt 0x0
	v_cndmask_b32_e64 v6, 0, v6, s0
	v_cmp_lt_i32_e64 s0, v20, v0
	s_delay_alu instid0(VALU_DEP_1)
	v_cndmask_b32_e64 v7, 0, v7, s0
	scratch_store_b64 off, v[6:7], s32 offset:252 ; 8-byte Folded Spill
.LBB230_1710:                           ;   in Loop: Header=BB230_1574 Depth=1
	s_wait_xcnt 0x0
	s_or_b32 exec_lo, exec_lo, s3
	flat_load_b32 v12, v[116:117] offset:512
	v_mov_b64_e32 v[0:1], 0
	v_mov_b64_e32 v[6:7], 0
	s_mov_b32 s3, exec_lo
	s_wait_loadcnt_dscnt 0x0
	v_and_b32_e32 v8, 0xff, v12
	s_wait_xcnt 0x0
	s_delay_alu instid0(VALU_DEP_1)
	v_cmpx_ne_u16_e32 0, v8
	s_cbranch_execz .LBB230_1718
; %bb.1711:                             ;   in Loop: Header=BB230_1574 Depth=1
	v_mov_b64_e32 v[6:7], 0x80000000
	s_mov_b32 s8, exec_lo
	v_cmpx_ne_u16_e32 0x80, v8
	s_cbranch_execz .LBB230_1717
; %bb.1712:                             ;   in Loop: Header=BB230_1574 Depth=1
	v_mov_b64_e32 v[6:7], 0x7f800001
	v_and_b32_e32 v8, 0x7f, v12
	s_mov_b32 s9, exec_lo
	s_delay_alu instid0(VALU_DEP_1)
	v_cmpx_ne_u32_e32 0x7f, v8
	s_cbranch_execz .LBB230_1716
; %bb.1713:                             ;   in Loop: Header=BB230_1574 Depth=1
	v_and_b32_e32 v16, 7, v12
	v_lshrrev_b32_e32 v6, 3, v8
	s_mov_b32 s16, exec_lo
	v_cmpx_gt_u32_e32 8, v8
; %bb.1714:                             ;   in Loop: Header=BB230_1574 Depth=1
	s_delay_alu instid0(VALU_DEP_3) | instskip(NEXT) | instid1(VALU_DEP_1)
	v_clz_i32_u32_e32 v6, v16
	v_min_u32_e32 v6, 32, v6
	s_delay_alu instid0(VALU_DEP_1) | instskip(NEXT) | instid1(VALU_DEP_1)
	v_subrev_nc_u32_e32 v7, 28, v6
	v_lshlrev_b64_e32 v[8:9], v7, v[16:17]
	s_delay_alu instid0(VALU_DEP_1)
	v_dual_sub_nc_u32 v6, 29, v6 :: v_dual_bitop2_b32 v16, 7, v8 bitop3:0x40
; %bb.1715:                             ;   in Loop: Header=BB230_1574 Depth=1
	s_or_b32 exec_lo, exec_lo, s16
	v_lshlrev_b32_e32 v7, 24, v12
	s_delay_alu instid0(VALU_DEP_2) | instskip(NEXT) | instid1(VALU_DEP_3)
	v_lshlrev_b32_e32 v8, 20, v16
	v_lshl_add_u32 v6, v6, 23, 0x3c000000
	s_delay_alu instid0(VALU_DEP_3) | instskip(NEXT) | instid1(VALU_DEP_1)
	v_and_b32_e32 v7, 0x80000000, v7
	v_or3_b32 v16, v8, v7, v6
	s_delay_alu instid0(VALU_DEP_1)
	v_mov_b64_e32 v[6:7], v[16:17]
.LBB230_1716:                           ;   in Loop: Header=BB230_1574 Depth=1
	s_or_b32 exec_lo, exec_lo, s9
.LBB230_1717:                           ;   in Loop: Header=BB230_1574 Depth=1
	s_delay_alu instid0(SALU_CYCLE_1)
	s_or_b32 exec_lo, exec_lo, s8
.LBB230_1718:                           ;   in Loop: Header=BB230_1574 Depth=1
	s_delay_alu instid0(SALU_CYCLE_1) | instskip(SKIP_2) | instid1(VALU_DEP_1)
	s_or_b32 exec_lo, exec_lo, s3
	v_lshrrev_b16 v8, 8, v12
	s_mov_b32 s3, exec_lo
	v_cmpx_ne_u16_e32 0, v8
	s_cbranch_execz .LBB230_1726
; %bb.1719:                             ;   in Loop: Header=BB230_1574 Depth=1
	v_mov_b64_e32 v[0:1], 0x8000000000000000
	s_mov_b32 s8, exec_lo
	v_cmpx_ne_u16_e32 0x80, v8
	s_cbranch_execz .LBB230_1725
; %bb.1720:                             ;   in Loop: Header=BB230_1574 Depth=1
	v_and_b32_e32 v9, 0xffff, v8
	v_mov_b64_e32 v[0:1], 0x7f80000100000000
	s_mov_b32 s9, exec_lo
	s_delay_alu instid0(VALU_DEP_2) | instskip(NEXT) | instid1(VALU_DEP_1)
	v_and_b32_e32 v8, 0x7f, v9
	v_cmpx_ne_u32_e32 0x7f, v8
	s_cbranch_execz .LBB230_1724
; %bb.1721:                             ;   in Loop: Header=BB230_1574 Depth=1
	v_dual_lshrrev_b32 v0, 3, v8 :: v_dual_bitop2_b32 v16, 7, v9 bitop3:0x40
	s_mov_b32 s16, exec_lo
	v_cmpx_gt_u32_e32 8, v8
; %bb.1722:                             ;   in Loop: Header=BB230_1574 Depth=1
	s_delay_alu instid0(VALU_DEP_2) | instskip(NEXT) | instid1(VALU_DEP_1)
	v_clz_i32_u32_e32 v0, v16
	v_min_u32_e32 v0, 32, v0
	s_delay_alu instid0(VALU_DEP_1) | instskip(SKIP_1) | instid1(VALU_DEP_2)
	v_subrev_nc_u32_e32 v1, 28, v0
	v_sub_nc_u32_e32 v0, 29, v0
	v_lshlrev_b64_e32 v[8:9], v1, v[16:17]
	s_delay_alu instid0(VALU_DEP_1)
	v_and_b32_e32 v16, 7, v8
; %bb.1723:                             ;   in Loop: Header=BB230_1574 Depth=1
	s_or_b32 exec_lo, exec_lo, s16
	v_lshlrev_b32_e32 v1, 16, v12
	s_delay_alu instid0(VALU_DEP_2) | instskip(SKIP_1) | instid1(VALU_DEP_3)
	v_lshlrev_b32_e32 v8, 20, v16
	v_lshl_add_u32 v0, v0, 23, 0x3c000000
	v_and_b32_e32 v1, 0x80000000, v1
	s_delay_alu instid0(VALU_DEP_1)
	v_or3_b32 v1, v8, v1, v0
	v_mov_b32_e32 v0, v17
.LBB230_1724:                           ;   in Loop: Header=BB230_1574 Depth=1
	s_or_b32 exec_lo, exec_lo, s9
.LBB230_1725:                           ;   in Loop: Header=BB230_1574 Depth=1
	s_delay_alu instid0(SALU_CYCLE_1)
	s_or_b32 exec_lo, exec_lo, s8
.LBB230_1726:                           ;   in Loop: Header=BB230_1574 Depth=1
	s_delay_alu instid0(SALU_CYCLE_1) | instskip(SKIP_4) | instid1(VALU_DEP_3)
	s_or_b32 exec_lo, exec_lo, s3
	v_lshrrev_b32_e32 v13, 16, v12
	v_mov_b64_e32 v[8:9], 0
	v_mov_b64_e32 v[10:11], 0
	s_mov_b32 s3, exec_lo
	v_and_b32_e32 v14, 0xff, v13
	s_delay_alu instid0(VALU_DEP_1)
	v_cmpx_ne_u16_e32 0, v14
	s_cbranch_execz .LBB230_1734
; %bb.1727:                             ;   in Loop: Header=BB230_1574 Depth=1
	v_mov_b64_e32 v[10:11], 0x80000000
	s_mov_b32 s8, exec_lo
	v_cmpx_ne_u16_e32 0x80, v14
	s_cbranch_execz .LBB230_1733
; %bb.1728:                             ;   in Loop: Header=BB230_1574 Depth=1
	v_mov_b64_e32 v[10:11], 0x7f800001
	v_bfe_u32 v14, v12, 16, 7
	s_mov_b32 s9, exec_lo
	s_delay_alu instid0(VALU_DEP_1)
	v_cmpx_ne_u32_e32 0x7f, v14
	s_cbranch_execz .LBB230_1732
; %bb.1729:                             ;   in Loop: Header=BB230_1574 Depth=1
	v_dual_lshrrev_b32 v10, 3, v14 :: v_dual_bitop2_b32 v16, 7, v13 bitop3:0x40
	s_mov_b32 s16, exec_lo
	v_cmpx_gt_u32_e32 8, v14
; %bb.1730:                             ;   in Loop: Header=BB230_1574 Depth=1
	s_delay_alu instid0(VALU_DEP_2) | instskip(NEXT) | instid1(VALU_DEP_1)
	v_clz_i32_u32_e32 v10, v16
	v_min_u32_e32 v10, 32, v10
	s_delay_alu instid0(VALU_DEP_1) | instskip(SKIP_1) | instid1(VALU_DEP_2)
	v_subrev_nc_u32_e32 v11, 28, v10
	v_sub_nc_u32_e32 v10, 29, v10
	v_lshlrev_b64_e32 v[14:15], v11, v[16:17]
	s_delay_alu instid0(VALU_DEP_1)
	v_and_b32_e32 v16, 7, v14
; %bb.1731:                             ;   in Loop: Header=BB230_1574 Depth=1
	s_or_b32 exec_lo, exec_lo, s16
	s_delay_alu instid0(VALU_DEP_1) | instskip(SKIP_1) | instid1(VALU_DEP_2)
	v_dual_lshlrev_b32 v11, 24, v13 :: v_dual_lshlrev_b32 v13, 20, v16
	v_lshl_add_u32 v10, v10, 23, 0x3c000000
	v_and_b32_e32 v11, 0x80000000, v11
	s_delay_alu instid0(VALU_DEP_1) | instskip(NEXT) | instid1(VALU_DEP_1)
	v_or3_b32 v16, v13, v11, v10
	v_mov_b64_e32 v[10:11], v[16:17]
.LBB230_1732:                           ;   in Loop: Header=BB230_1574 Depth=1
	s_or_b32 exec_lo, exec_lo, s9
.LBB230_1733:                           ;   in Loop: Header=BB230_1574 Depth=1
	s_delay_alu instid0(SALU_CYCLE_1)
	s_or_b32 exec_lo, exec_lo, s8
.LBB230_1734:                           ;   in Loop: Header=BB230_1574 Depth=1
	s_delay_alu instid0(SALU_CYCLE_1) | instskip(NEXT) | instid1(SALU_CYCLE_1)
	s_or_b32 exec_lo, exec_lo, s3
	s_mov_b32 s3, exec_lo
	v_cmpx_lt_u32_e32 0xffffff, v12
	s_cbranch_execz .LBB230_1742
; %bb.1735:                             ;   in Loop: Header=BB230_1574 Depth=1
	v_mov_b64_e32 v[8:9], 0x8000000000000000
	v_lshrrev_b32_e32 v13, 24, v12
	s_mov_b32 s8, exec_lo
	s_delay_alu instid0(VALU_DEP_1)
	v_cmpx_ne_u32_e32 0x80, v13
	s_cbranch_execz .LBB230_1741
; %bb.1736:                             ;   in Loop: Header=BB230_1574 Depth=1
	v_mov_b64_e32 v[8:9], 0x7f80000100000000
	v_bfe_u32 v12, v12, 24, 7
	s_mov_b32 s9, exec_lo
	s_delay_alu instid0(VALU_DEP_1)
	v_cmpx_ne_u32_e32 0x7f, v12
	s_cbranch_execz .LBB230_1740
; %bb.1737:                             ;   in Loop: Header=BB230_1574 Depth=1
	v_dual_lshrrev_b32 v8, 3, v12 :: v_dual_bitop2_b32 v16, 7, v13 bitop3:0x40
	s_mov_b32 s16, exec_lo
	v_cmpx_gt_u32_e32 8, v12
; %bb.1738:                             ;   in Loop: Header=BB230_1574 Depth=1
	s_delay_alu instid0(VALU_DEP_2) | instskip(NEXT) | instid1(VALU_DEP_1)
	v_clz_i32_u32_e32 v8, v16
	v_min_u32_e32 v8, 32, v8
	s_delay_alu instid0(VALU_DEP_1) | instskip(NEXT) | instid1(VALU_DEP_1)
	v_subrev_nc_u32_e32 v9, 28, v8
	v_lshlrev_b64_e32 v[14:15], v9, v[16:17]
	s_delay_alu instid0(VALU_DEP_1)
	v_dual_sub_nc_u32 v8, 29, v8 :: v_dual_bitop2_b32 v16, 7, v14 bitop3:0x40
; %bb.1739:                             ;   in Loop: Header=BB230_1574 Depth=1
	s_or_b32 exec_lo, exec_lo, s16
	s_delay_alu instid0(VALU_DEP_1) | instskip(NEXT) | instid1(VALU_DEP_2)
	v_dual_lshlrev_b32 v9, 24, v13 :: v_dual_lshlrev_b32 v12, 20, v16
	v_lshl_add_u32 v8, v8, 23, 0x3c000000
	s_delay_alu instid0(VALU_DEP_2) | instskip(NEXT) | instid1(VALU_DEP_1)
	v_and_b32_e32 v9, 0x80000000, v9
	v_or3_b32 v9, v12, v9, v8
	v_mov_b32_e32 v8, v17
.LBB230_1740:                           ;   in Loop: Header=BB230_1574 Depth=1
	s_or_b32 exec_lo, exec_lo, s9
.LBB230_1741:                           ;   in Loop: Header=BB230_1574 Depth=1
	s_delay_alu instid0(SALU_CYCLE_1)
	s_or_b32 exec_lo, exec_lo, s8
.LBB230_1742:                           ;   in Loop: Header=BB230_1574 Depth=1
	s_delay_alu instid0(SALU_CYCLE_1) | instskip(SKIP_4) | instid1(VALU_DEP_3)
	s_or_b32 exec_lo, exec_lo, s3
	v_or_b32_e32 v1, v1, v7
	v_or_b32_e32 v0, v0, v6
	;; [unrolled: 1-line block ×4, first 2 shown]
	v_pk_mul_f32 v[0:1], v[70:71], v[0:1]
	scratch_store_b64 off, v[0:1], s32 offset:276 ; 8-byte Folded Spill
	s_wait_xcnt 0x0
	v_pk_mul_f32 v[0:1], v[70:71], v[6:7]
	scratch_store_b64 off, v[0:1], s32 offset:268 ; 8-byte Folded Spill
	s_wait_xcnt 0x0
	s_and_saveexec_b32 s3, vcc_lo
	s_cbranch_execz .LBB230_1744
; %bb.1743:                             ;   in Loop: Header=BB230_1574 Depth=1
	s_clause 0x1
	scratch_load_b64 v[0:1], off, s32 offset:200
	scratch_load_b64 v[6:7], off, s32 offset:276 th:TH_LOAD_LU
	s_wait_loadcnt 0x1
	v_cmp_lt_i32_e64 s0, v18, v0
	s_wait_loadcnt 0x0
	s_delay_alu instid0(VALU_DEP_1) | instskip(SKIP_1) | instid1(VALU_DEP_1)
	v_cndmask_b32_e64 v6, 0, v6, s0
	v_cmp_lt_i32_e64 s0, v19, v0
	v_cndmask_b32_e64 v7, 0, v7, s0
	v_cmp_lt_i32_e64 s0, v21, v0
	s_clause 0x1
	scratch_store_b64 off, v[6:7], s32 offset:276
	scratch_load_b64 v[6:7], off, s32 offset:268 th:TH_LOAD_LU
	s_wait_loadcnt 0x0
	v_cndmask_b32_e64 v6, 0, v6, s0
	v_cmp_lt_i32_e64 s0, v20, v0
	s_delay_alu instid0(VALU_DEP_1)
	v_cndmask_b32_e64 v7, 0, v7, s0
	scratch_store_b64 off, v[6:7], s32 offset:268 ; 8-byte Folded Spill
.LBB230_1744:                           ;   in Loop: Header=BB230_1574 Depth=1
	s_wait_xcnt 0x0
	s_or_b32 exec_lo, exec_lo, s3
	flat_load_b32 v12, v[116:117] offset:640
	v_mov_b64_e32 v[0:1], 0
	v_mov_b64_e32 v[6:7], 0
	s_mov_b32 s3, exec_lo
	s_wait_loadcnt_dscnt 0x0
	v_and_b32_e32 v8, 0xff, v12
	s_wait_xcnt 0x0
	s_delay_alu instid0(VALU_DEP_1)
	v_cmpx_ne_u16_e32 0, v8
	s_cbranch_execz .LBB230_1752
; %bb.1745:                             ;   in Loop: Header=BB230_1574 Depth=1
	v_mov_b64_e32 v[6:7], 0x80000000
	s_mov_b32 s8, exec_lo
	v_cmpx_ne_u16_e32 0x80, v8
	s_cbranch_execz .LBB230_1751
; %bb.1746:                             ;   in Loop: Header=BB230_1574 Depth=1
	v_mov_b64_e32 v[6:7], 0x7f800001
	v_and_b32_e32 v8, 0x7f, v12
	s_mov_b32 s9, exec_lo
	s_delay_alu instid0(VALU_DEP_1)
	v_cmpx_ne_u32_e32 0x7f, v8
	s_cbranch_execz .LBB230_1750
; %bb.1747:                             ;   in Loop: Header=BB230_1574 Depth=1
	v_and_b32_e32 v16, 7, v12
	v_lshrrev_b32_e32 v6, 3, v8
	s_mov_b32 s16, exec_lo
	v_cmpx_gt_u32_e32 8, v8
; %bb.1748:                             ;   in Loop: Header=BB230_1574 Depth=1
	s_delay_alu instid0(VALU_DEP_3) | instskip(NEXT) | instid1(VALU_DEP_1)
	v_clz_i32_u32_e32 v6, v16
	v_min_u32_e32 v6, 32, v6
	s_delay_alu instid0(VALU_DEP_1) | instskip(NEXT) | instid1(VALU_DEP_1)
	v_subrev_nc_u32_e32 v7, 28, v6
	v_lshlrev_b64_e32 v[8:9], v7, v[16:17]
	s_delay_alu instid0(VALU_DEP_1)
	v_dual_sub_nc_u32 v6, 29, v6 :: v_dual_bitop2_b32 v16, 7, v8 bitop3:0x40
; %bb.1749:                             ;   in Loop: Header=BB230_1574 Depth=1
	s_or_b32 exec_lo, exec_lo, s16
	v_lshlrev_b32_e32 v7, 24, v12
	s_delay_alu instid0(VALU_DEP_2) | instskip(NEXT) | instid1(VALU_DEP_3)
	v_lshlrev_b32_e32 v8, 20, v16
	v_lshl_add_u32 v6, v6, 23, 0x3c000000
	s_delay_alu instid0(VALU_DEP_3) | instskip(NEXT) | instid1(VALU_DEP_1)
	v_and_b32_e32 v7, 0x80000000, v7
	v_or3_b32 v16, v8, v7, v6
	s_delay_alu instid0(VALU_DEP_1)
	v_mov_b64_e32 v[6:7], v[16:17]
.LBB230_1750:                           ;   in Loop: Header=BB230_1574 Depth=1
	s_or_b32 exec_lo, exec_lo, s9
.LBB230_1751:                           ;   in Loop: Header=BB230_1574 Depth=1
	s_delay_alu instid0(SALU_CYCLE_1)
	s_or_b32 exec_lo, exec_lo, s8
.LBB230_1752:                           ;   in Loop: Header=BB230_1574 Depth=1
	s_delay_alu instid0(SALU_CYCLE_1) | instskip(SKIP_2) | instid1(VALU_DEP_1)
	s_or_b32 exec_lo, exec_lo, s3
	v_lshrrev_b16 v8, 8, v12
	s_mov_b32 s3, exec_lo
	v_cmpx_ne_u16_e32 0, v8
	s_cbranch_execz .LBB230_1760
; %bb.1753:                             ;   in Loop: Header=BB230_1574 Depth=1
	v_mov_b64_e32 v[0:1], 0x8000000000000000
	s_mov_b32 s8, exec_lo
	v_cmpx_ne_u16_e32 0x80, v8
	s_cbranch_execz .LBB230_1759
; %bb.1754:                             ;   in Loop: Header=BB230_1574 Depth=1
	v_and_b32_e32 v9, 0xffff, v8
	v_mov_b64_e32 v[0:1], 0x7f80000100000000
	s_mov_b32 s9, exec_lo
	s_delay_alu instid0(VALU_DEP_2) | instskip(NEXT) | instid1(VALU_DEP_1)
	v_and_b32_e32 v8, 0x7f, v9
	v_cmpx_ne_u32_e32 0x7f, v8
	s_cbranch_execz .LBB230_1758
; %bb.1755:                             ;   in Loop: Header=BB230_1574 Depth=1
	v_dual_lshrrev_b32 v0, 3, v8 :: v_dual_bitop2_b32 v16, 7, v9 bitop3:0x40
	s_mov_b32 s16, exec_lo
	v_cmpx_gt_u32_e32 8, v8
; %bb.1756:                             ;   in Loop: Header=BB230_1574 Depth=1
	s_delay_alu instid0(VALU_DEP_2) | instskip(NEXT) | instid1(VALU_DEP_1)
	v_clz_i32_u32_e32 v0, v16
	v_min_u32_e32 v0, 32, v0
	s_delay_alu instid0(VALU_DEP_1) | instskip(SKIP_1) | instid1(VALU_DEP_2)
	v_subrev_nc_u32_e32 v1, 28, v0
	v_sub_nc_u32_e32 v0, 29, v0
	v_lshlrev_b64_e32 v[8:9], v1, v[16:17]
	s_delay_alu instid0(VALU_DEP_1)
	v_and_b32_e32 v16, 7, v8
; %bb.1757:                             ;   in Loop: Header=BB230_1574 Depth=1
	s_or_b32 exec_lo, exec_lo, s16
	v_lshlrev_b32_e32 v1, 16, v12
	s_delay_alu instid0(VALU_DEP_2) | instskip(SKIP_1) | instid1(VALU_DEP_3)
	v_lshlrev_b32_e32 v8, 20, v16
	v_lshl_add_u32 v0, v0, 23, 0x3c000000
	v_and_b32_e32 v1, 0x80000000, v1
	s_delay_alu instid0(VALU_DEP_1)
	v_or3_b32 v1, v8, v1, v0
	v_mov_b32_e32 v0, v17
.LBB230_1758:                           ;   in Loop: Header=BB230_1574 Depth=1
	s_or_b32 exec_lo, exec_lo, s9
.LBB230_1759:                           ;   in Loop: Header=BB230_1574 Depth=1
	s_delay_alu instid0(SALU_CYCLE_1)
	s_or_b32 exec_lo, exec_lo, s8
.LBB230_1760:                           ;   in Loop: Header=BB230_1574 Depth=1
	s_delay_alu instid0(SALU_CYCLE_1) | instskip(SKIP_4) | instid1(VALU_DEP_3)
	s_or_b32 exec_lo, exec_lo, s3
	v_lshrrev_b32_e32 v13, 16, v12
	v_mov_b64_e32 v[8:9], 0
	v_mov_b64_e32 v[10:11], 0
	s_mov_b32 s3, exec_lo
	v_and_b32_e32 v14, 0xff, v13
	s_delay_alu instid0(VALU_DEP_1)
	v_cmpx_ne_u16_e32 0, v14
	s_cbranch_execz .LBB230_1768
; %bb.1761:                             ;   in Loop: Header=BB230_1574 Depth=1
	v_mov_b64_e32 v[10:11], 0x80000000
	s_mov_b32 s8, exec_lo
	v_cmpx_ne_u16_e32 0x80, v14
	s_cbranch_execz .LBB230_1767
; %bb.1762:                             ;   in Loop: Header=BB230_1574 Depth=1
	v_mov_b64_e32 v[10:11], 0x7f800001
	v_bfe_u32 v14, v12, 16, 7
	s_mov_b32 s9, exec_lo
	s_delay_alu instid0(VALU_DEP_1)
	v_cmpx_ne_u32_e32 0x7f, v14
	s_cbranch_execz .LBB230_1766
; %bb.1763:                             ;   in Loop: Header=BB230_1574 Depth=1
	v_dual_lshrrev_b32 v10, 3, v14 :: v_dual_bitop2_b32 v16, 7, v13 bitop3:0x40
	s_mov_b32 s16, exec_lo
	v_cmpx_gt_u32_e32 8, v14
; %bb.1764:                             ;   in Loop: Header=BB230_1574 Depth=1
	s_delay_alu instid0(VALU_DEP_2) | instskip(NEXT) | instid1(VALU_DEP_1)
	v_clz_i32_u32_e32 v10, v16
	v_min_u32_e32 v10, 32, v10
	s_delay_alu instid0(VALU_DEP_1) | instskip(SKIP_1) | instid1(VALU_DEP_2)
	v_subrev_nc_u32_e32 v11, 28, v10
	v_sub_nc_u32_e32 v10, 29, v10
	v_lshlrev_b64_e32 v[14:15], v11, v[16:17]
	s_delay_alu instid0(VALU_DEP_1)
	v_and_b32_e32 v16, 7, v14
; %bb.1765:                             ;   in Loop: Header=BB230_1574 Depth=1
	s_or_b32 exec_lo, exec_lo, s16
	s_delay_alu instid0(VALU_DEP_1) | instskip(SKIP_1) | instid1(VALU_DEP_2)
	v_dual_lshlrev_b32 v11, 24, v13 :: v_dual_lshlrev_b32 v13, 20, v16
	v_lshl_add_u32 v10, v10, 23, 0x3c000000
	v_and_b32_e32 v11, 0x80000000, v11
	s_delay_alu instid0(VALU_DEP_1) | instskip(NEXT) | instid1(VALU_DEP_1)
	v_or3_b32 v16, v13, v11, v10
	v_mov_b64_e32 v[10:11], v[16:17]
.LBB230_1766:                           ;   in Loop: Header=BB230_1574 Depth=1
	s_or_b32 exec_lo, exec_lo, s9
.LBB230_1767:                           ;   in Loop: Header=BB230_1574 Depth=1
	s_delay_alu instid0(SALU_CYCLE_1)
	s_or_b32 exec_lo, exec_lo, s8
.LBB230_1768:                           ;   in Loop: Header=BB230_1574 Depth=1
	s_delay_alu instid0(SALU_CYCLE_1) | instskip(NEXT) | instid1(SALU_CYCLE_1)
	s_or_b32 exec_lo, exec_lo, s3
	s_mov_b32 s3, exec_lo
	v_cmpx_lt_u32_e32 0xffffff, v12
	s_cbranch_execz .LBB230_1776
; %bb.1769:                             ;   in Loop: Header=BB230_1574 Depth=1
	v_mov_b64_e32 v[8:9], 0x8000000000000000
	v_lshrrev_b32_e32 v13, 24, v12
	s_mov_b32 s8, exec_lo
	s_delay_alu instid0(VALU_DEP_1)
	v_cmpx_ne_u32_e32 0x80, v13
	s_cbranch_execz .LBB230_1775
; %bb.1770:                             ;   in Loop: Header=BB230_1574 Depth=1
	v_mov_b64_e32 v[8:9], 0x7f80000100000000
	v_bfe_u32 v12, v12, 24, 7
	s_mov_b32 s9, exec_lo
	s_delay_alu instid0(VALU_DEP_1)
	v_cmpx_ne_u32_e32 0x7f, v12
	s_cbranch_execz .LBB230_1774
; %bb.1771:                             ;   in Loop: Header=BB230_1574 Depth=1
	v_dual_lshrrev_b32 v8, 3, v12 :: v_dual_bitop2_b32 v16, 7, v13 bitop3:0x40
	s_mov_b32 s16, exec_lo
	v_cmpx_gt_u32_e32 8, v12
; %bb.1772:                             ;   in Loop: Header=BB230_1574 Depth=1
	s_delay_alu instid0(VALU_DEP_2) | instskip(NEXT) | instid1(VALU_DEP_1)
	v_clz_i32_u32_e32 v8, v16
	v_min_u32_e32 v8, 32, v8
	s_delay_alu instid0(VALU_DEP_1) | instskip(NEXT) | instid1(VALU_DEP_1)
	v_subrev_nc_u32_e32 v9, 28, v8
	v_lshlrev_b64_e32 v[14:15], v9, v[16:17]
	s_delay_alu instid0(VALU_DEP_1)
	v_dual_sub_nc_u32 v8, 29, v8 :: v_dual_bitop2_b32 v16, 7, v14 bitop3:0x40
; %bb.1773:                             ;   in Loop: Header=BB230_1574 Depth=1
	s_or_b32 exec_lo, exec_lo, s16
	s_delay_alu instid0(VALU_DEP_1) | instskip(NEXT) | instid1(VALU_DEP_2)
	v_dual_lshlrev_b32 v9, 24, v13 :: v_dual_lshlrev_b32 v12, 20, v16
	v_lshl_add_u32 v8, v8, 23, 0x3c000000
	s_delay_alu instid0(VALU_DEP_2) | instskip(NEXT) | instid1(VALU_DEP_1)
	v_and_b32_e32 v9, 0x80000000, v9
	v_or3_b32 v9, v12, v9, v8
	v_mov_b32_e32 v8, v17
.LBB230_1774:                           ;   in Loop: Header=BB230_1574 Depth=1
	s_or_b32 exec_lo, exec_lo, s9
.LBB230_1775:                           ;   in Loop: Header=BB230_1574 Depth=1
	s_delay_alu instid0(SALU_CYCLE_1)
	s_or_b32 exec_lo, exec_lo, s8
.LBB230_1776:                           ;   in Loop: Header=BB230_1574 Depth=1
	s_delay_alu instid0(SALU_CYCLE_1) | instskip(SKIP_4) | instid1(VALU_DEP_3)
	s_or_b32 exec_lo, exec_lo, s3
	v_or_b32_e32 v1, v1, v7
	v_or_b32_e32 v0, v0, v6
	;; [unrolled: 1-line block ×4, first 2 shown]
	v_pk_mul_f32 v[0:1], v[70:71], v[0:1]
	scratch_store_b64 off, v[0:1], s32 offset:292 ; 8-byte Folded Spill
	s_wait_xcnt 0x0
	v_pk_mul_f32 v[0:1], v[70:71], v[6:7]
	scratch_store_b64 off, v[0:1], s32 offset:284 ; 8-byte Folded Spill
	s_wait_xcnt 0x0
	s_and_saveexec_b32 s3, vcc_lo
	s_cbranch_execz .LBB230_1778
; %bb.1777:                             ;   in Loop: Header=BB230_1574 Depth=1
	s_clause 0x1
	scratch_load_b64 v[0:1], off, s32 offset:200
	scratch_load_b64 v[6:7], off, s32 offset:292 th:TH_LOAD_LU
	s_wait_loadcnt 0x1
	v_cmp_lt_i32_e64 s0, v18, v0
	s_wait_loadcnt 0x0
	s_delay_alu instid0(VALU_DEP_1) | instskip(SKIP_1) | instid1(VALU_DEP_1)
	v_cndmask_b32_e64 v6, 0, v6, s0
	v_cmp_lt_i32_e64 s0, v19, v0
	v_cndmask_b32_e64 v7, 0, v7, s0
	v_cmp_lt_i32_e64 s0, v21, v0
	s_clause 0x1
	scratch_store_b64 off, v[6:7], s32 offset:292
	scratch_load_b64 v[6:7], off, s32 offset:284 th:TH_LOAD_LU
	s_wait_loadcnt 0x0
	v_cndmask_b32_e64 v6, 0, v6, s0
	v_cmp_lt_i32_e64 s0, v20, v0
	s_delay_alu instid0(VALU_DEP_1)
	v_cndmask_b32_e64 v7, 0, v7, s0
	scratch_store_b64 off, v[6:7], s32 offset:284 ; 8-byte Folded Spill
.LBB230_1778:                           ;   in Loop: Header=BB230_1574 Depth=1
	s_wait_xcnt 0x0
	s_or_b32 exec_lo, exec_lo, s3
	flat_load_b32 v12, v[116:117] offset:768
	v_mov_b64_e32 v[0:1], 0
	v_mov_b64_e32 v[6:7], 0
	s_mov_b32 s3, exec_lo
	s_wait_loadcnt_dscnt 0x0
	v_and_b32_e32 v8, 0xff, v12
	s_wait_xcnt 0x0
	s_delay_alu instid0(VALU_DEP_1)
	v_cmpx_ne_u16_e32 0, v8
	s_cbranch_execz .LBB230_1786
; %bb.1779:                             ;   in Loop: Header=BB230_1574 Depth=1
	v_mov_b64_e32 v[6:7], 0x80000000
	s_mov_b32 s8, exec_lo
	v_cmpx_ne_u16_e32 0x80, v8
	s_cbranch_execz .LBB230_1785
; %bb.1780:                             ;   in Loop: Header=BB230_1574 Depth=1
	v_mov_b64_e32 v[6:7], 0x7f800001
	v_and_b32_e32 v8, 0x7f, v12
	s_mov_b32 s9, exec_lo
	s_delay_alu instid0(VALU_DEP_1)
	v_cmpx_ne_u32_e32 0x7f, v8
	s_cbranch_execz .LBB230_1784
; %bb.1781:                             ;   in Loop: Header=BB230_1574 Depth=1
	v_and_b32_e32 v16, 7, v12
	v_lshrrev_b32_e32 v6, 3, v8
	s_mov_b32 s16, exec_lo
	v_cmpx_gt_u32_e32 8, v8
; %bb.1782:                             ;   in Loop: Header=BB230_1574 Depth=1
	s_delay_alu instid0(VALU_DEP_3) | instskip(NEXT) | instid1(VALU_DEP_1)
	v_clz_i32_u32_e32 v6, v16
	v_min_u32_e32 v6, 32, v6
	s_delay_alu instid0(VALU_DEP_1) | instskip(NEXT) | instid1(VALU_DEP_1)
	v_subrev_nc_u32_e32 v7, 28, v6
	v_lshlrev_b64_e32 v[8:9], v7, v[16:17]
	s_delay_alu instid0(VALU_DEP_1)
	v_dual_sub_nc_u32 v6, 29, v6 :: v_dual_bitop2_b32 v16, 7, v8 bitop3:0x40
; %bb.1783:                             ;   in Loop: Header=BB230_1574 Depth=1
	s_or_b32 exec_lo, exec_lo, s16
	v_lshlrev_b32_e32 v7, 24, v12
	s_delay_alu instid0(VALU_DEP_2) | instskip(NEXT) | instid1(VALU_DEP_3)
	v_lshlrev_b32_e32 v8, 20, v16
	v_lshl_add_u32 v6, v6, 23, 0x3c000000
	s_delay_alu instid0(VALU_DEP_3) | instskip(NEXT) | instid1(VALU_DEP_1)
	v_and_b32_e32 v7, 0x80000000, v7
	v_or3_b32 v16, v8, v7, v6
	s_delay_alu instid0(VALU_DEP_1)
	v_mov_b64_e32 v[6:7], v[16:17]
.LBB230_1784:                           ;   in Loop: Header=BB230_1574 Depth=1
	s_or_b32 exec_lo, exec_lo, s9
.LBB230_1785:                           ;   in Loop: Header=BB230_1574 Depth=1
	s_delay_alu instid0(SALU_CYCLE_1)
	s_or_b32 exec_lo, exec_lo, s8
.LBB230_1786:                           ;   in Loop: Header=BB230_1574 Depth=1
	s_delay_alu instid0(SALU_CYCLE_1) | instskip(SKIP_2) | instid1(VALU_DEP_1)
	s_or_b32 exec_lo, exec_lo, s3
	v_lshrrev_b16 v8, 8, v12
	s_mov_b32 s3, exec_lo
	v_cmpx_ne_u16_e32 0, v8
	s_cbranch_execz .LBB230_1794
; %bb.1787:                             ;   in Loop: Header=BB230_1574 Depth=1
	v_mov_b64_e32 v[0:1], 0x8000000000000000
	s_mov_b32 s8, exec_lo
	v_cmpx_ne_u16_e32 0x80, v8
	s_cbranch_execz .LBB230_1793
; %bb.1788:                             ;   in Loop: Header=BB230_1574 Depth=1
	v_and_b32_e32 v9, 0xffff, v8
	v_mov_b64_e32 v[0:1], 0x7f80000100000000
	s_mov_b32 s9, exec_lo
	s_delay_alu instid0(VALU_DEP_2) | instskip(NEXT) | instid1(VALU_DEP_1)
	v_and_b32_e32 v8, 0x7f, v9
	v_cmpx_ne_u32_e32 0x7f, v8
	s_cbranch_execz .LBB230_1792
; %bb.1789:                             ;   in Loop: Header=BB230_1574 Depth=1
	v_dual_lshrrev_b32 v0, 3, v8 :: v_dual_bitop2_b32 v16, 7, v9 bitop3:0x40
	s_mov_b32 s16, exec_lo
	v_cmpx_gt_u32_e32 8, v8
; %bb.1790:                             ;   in Loop: Header=BB230_1574 Depth=1
	s_delay_alu instid0(VALU_DEP_2) | instskip(NEXT) | instid1(VALU_DEP_1)
	v_clz_i32_u32_e32 v0, v16
	v_min_u32_e32 v0, 32, v0
	s_delay_alu instid0(VALU_DEP_1) | instskip(SKIP_1) | instid1(VALU_DEP_2)
	v_subrev_nc_u32_e32 v1, 28, v0
	v_sub_nc_u32_e32 v0, 29, v0
	v_lshlrev_b64_e32 v[8:9], v1, v[16:17]
	s_delay_alu instid0(VALU_DEP_1)
	v_and_b32_e32 v16, 7, v8
; %bb.1791:                             ;   in Loop: Header=BB230_1574 Depth=1
	s_or_b32 exec_lo, exec_lo, s16
	v_lshlrev_b32_e32 v1, 16, v12
	s_delay_alu instid0(VALU_DEP_2) | instskip(SKIP_1) | instid1(VALU_DEP_3)
	v_lshlrev_b32_e32 v8, 20, v16
	v_lshl_add_u32 v0, v0, 23, 0x3c000000
	v_and_b32_e32 v1, 0x80000000, v1
	s_delay_alu instid0(VALU_DEP_1)
	v_or3_b32 v1, v8, v1, v0
	v_mov_b32_e32 v0, v17
.LBB230_1792:                           ;   in Loop: Header=BB230_1574 Depth=1
	s_or_b32 exec_lo, exec_lo, s9
.LBB230_1793:                           ;   in Loop: Header=BB230_1574 Depth=1
	s_delay_alu instid0(SALU_CYCLE_1)
	s_or_b32 exec_lo, exec_lo, s8
.LBB230_1794:                           ;   in Loop: Header=BB230_1574 Depth=1
	s_delay_alu instid0(SALU_CYCLE_1) | instskip(SKIP_4) | instid1(VALU_DEP_3)
	s_or_b32 exec_lo, exec_lo, s3
	v_lshrrev_b32_e32 v13, 16, v12
	v_mov_b64_e32 v[8:9], 0
	v_mov_b64_e32 v[10:11], 0
	s_mov_b32 s3, exec_lo
	v_and_b32_e32 v14, 0xff, v13
	s_delay_alu instid0(VALU_DEP_1)
	v_cmpx_ne_u16_e32 0, v14
	s_cbranch_execz .LBB230_1802
; %bb.1795:                             ;   in Loop: Header=BB230_1574 Depth=1
	v_mov_b64_e32 v[10:11], 0x80000000
	s_mov_b32 s8, exec_lo
	v_cmpx_ne_u16_e32 0x80, v14
	s_cbranch_execz .LBB230_1801
; %bb.1796:                             ;   in Loop: Header=BB230_1574 Depth=1
	v_mov_b64_e32 v[10:11], 0x7f800001
	v_bfe_u32 v14, v12, 16, 7
	s_mov_b32 s9, exec_lo
	s_delay_alu instid0(VALU_DEP_1)
	v_cmpx_ne_u32_e32 0x7f, v14
	s_cbranch_execz .LBB230_1800
; %bb.1797:                             ;   in Loop: Header=BB230_1574 Depth=1
	v_dual_lshrrev_b32 v10, 3, v14 :: v_dual_bitop2_b32 v16, 7, v13 bitop3:0x40
	s_mov_b32 s16, exec_lo
	v_cmpx_gt_u32_e32 8, v14
; %bb.1798:                             ;   in Loop: Header=BB230_1574 Depth=1
	s_delay_alu instid0(VALU_DEP_2) | instskip(NEXT) | instid1(VALU_DEP_1)
	v_clz_i32_u32_e32 v10, v16
	v_min_u32_e32 v10, 32, v10
	s_delay_alu instid0(VALU_DEP_1) | instskip(SKIP_1) | instid1(VALU_DEP_2)
	v_subrev_nc_u32_e32 v11, 28, v10
	v_sub_nc_u32_e32 v10, 29, v10
	v_lshlrev_b64_e32 v[14:15], v11, v[16:17]
	s_delay_alu instid0(VALU_DEP_1)
	v_and_b32_e32 v16, 7, v14
; %bb.1799:                             ;   in Loop: Header=BB230_1574 Depth=1
	s_or_b32 exec_lo, exec_lo, s16
	s_delay_alu instid0(VALU_DEP_1) | instskip(SKIP_1) | instid1(VALU_DEP_2)
	v_dual_lshlrev_b32 v11, 24, v13 :: v_dual_lshlrev_b32 v13, 20, v16
	v_lshl_add_u32 v10, v10, 23, 0x3c000000
	v_and_b32_e32 v11, 0x80000000, v11
	s_delay_alu instid0(VALU_DEP_1) | instskip(NEXT) | instid1(VALU_DEP_1)
	v_or3_b32 v16, v13, v11, v10
	v_mov_b64_e32 v[10:11], v[16:17]
.LBB230_1800:                           ;   in Loop: Header=BB230_1574 Depth=1
	s_or_b32 exec_lo, exec_lo, s9
.LBB230_1801:                           ;   in Loop: Header=BB230_1574 Depth=1
	s_delay_alu instid0(SALU_CYCLE_1)
	s_or_b32 exec_lo, exec_lo, s8
.LBB230_1802:                           ;   in Loop: Header=BB230_1574 Depth=1
	s_delay_alu instid0(SALU_CYCLE_1) | instskip(NEXT) | instid1(SALU_CYCLE_1)
	s_or_b32 exec_lo, exec_lo, s3
	s_mov_b32 s3, exec_lo
	v_cmpx_lt_u32_e32 0xffffff, v12
	s_cbranch_execz .LBB230_1810
; %bb.1803:                             ;   in Loop: Header=BB230_1574 Depth=1
	v_mov_b64_e32 v[8:9], 0x8000000000000000
	v_lshrrev_b32_e32 v13, 24, v12
	s_mov_b32 s8, exec_lo
	s_delay_alu instid0(VALU_DEP_1)
	v_cmpx_ne_u32_e32 0x80, v13
	s_cbranch_execz .LBB230_1809
; %bb.1804:                             ;   in Loop: Header=BB230_1574 Depth=1
	v_mov_b64_e32 v[8:9], 0x7f80000100000000
	v_bfe_u32 v12, v12, 24, 7
	s_mov_b32 s9, exec_lo
	s_delay_alu instid0(VALU_DEP_1)
	v_cmpx_ne_u32_e32 0x7f, v12
	s_cbranch_execz .LBB230_1808
; %bb.1805:                             ;   in Loop: Header=BB230_1574 Depth=1
	v_dual_lshrrev_b32 v8, 3, v12 :: v_dual_bitop2_b32 v16, 7, v13 bitop3:0x40
	s_mov_b32 s16, exec_lo
	v_cmpx_gt_u32_e32 8, v12
; %bb.1806:                             ;   in Loop: Header=BB230_1574 Depth=1
	s_delay_alu instid0(VALU_DEP_2) | instskip(NEXT) | instid1(VALU_DEP_1)
	v_clz_i32_u32_e32 v8, v16
	v_min_u32_e32 v8, 32, v8
	s_delay_alu instid0(VALU_DEP_1) | instskip(NEXT) | instid1(VALU_DEP_1)
	v_subrev_nc_u32_e32 v9, 28, v8
	v_lshlrev_b64_e32 v[14:15], v9, v[16:17]
	s_delay_alu instid0(VALU_DEP_1)
	v_dual_sub_nc_u32 v8, 29, v8 :: v_dual_bitop2_b32 v16, 7, v14 bitop3:0x40
; %bb.1807:                             ;   in Loop: Header=BB230_1574 Depth=1
	s_or_b32 exec_lo, exec_lo, s16
	s_delay_alu instid0(VALU_DEP_1) | instskip(NEXT) | instid1(VALU_DEP_2)
	v_dual_lshlrev_b32 v9, 24, v13 :: v_dual_lshlrev_b32 v12, 20, v16
	v_lshl_add_u32 v8, v8, 23, 0x3c000000
	s_delay_alu instid0(VALU_DEP_2) | instskip(NEXT) | instid1(VALU_DEP_1)
	v_and_b32_e32 v9, 0x80000000, v9
	v_or3_b32 v9, v12, v9, v8
	v_mov_b32_e32 v8, v17
.LBB230_1808:                           ;   in Loop: Header=BB230_1574 Depth=1
	s_or_b32 exec_lo, exec_lo, s9
.LBB230_1809:                           ;   in Loop: Header=BB230_1574 Depth=1
	s_delay_alu instid0(SALU_CYCLE_1)
	s_or_b32 exec_lo, exec_lo, s8
.LBB230_1810:                           ;   in Loop: Header=BB230_1574 Depth=1
	s_delay_alu instid0(SALU_CYCLE_1) | instskip(SKIP_4) | instid1(VALU_DEP_3)
	s_or_b32 exec_lo, exec_lo, s3
	v_or_b32_e32 v1, v1, v7
	v_or_b32_e32 v0, v0, v6
	v_or_b32_e32 v7, v9, v11
	v_or_b32_e32 v6, v8, v10
	v_pk_mul_f32 v[0:1], v[70:71], v[0:1]
	scratch_store_b64 off, v[0:1], s32 offset:308 ; 8-byte Folded Spill
	s_wait_xcnt 0x0
	v_pk_mul_f32 v[0:1], v[70:71], v[6:7]
	scratch_store_b64 off, v[0:1], s32 offset:300 ; 8-byte Folded Spill
	s_wait_xcnt 0x0
	s_and_saveexec_b32 s3, vcc_lo
	s_cbranch_execz .LBB230_1812
; %bb.1811:                             ;   in Loop: Header=BB230_1574 Depth=1
	s_clause 0x1
	scratch_load_b64 v[0:1], off, s32 offset:200
	scratch_load_b64 v[6:7], off, s32 offset:308 th:TH_LOAD_LU
	s_wait_loadcnt 0x1
	v_cmp_lt_i32_e64 s0, v18, v0
	s_wait_loadcnt 0x0
	s_delay_alu instid0(VALU_DEP_1) | instskip(SKIP_1) | instid1(VALU_DEP_1)
	v_cndmask_b32_e64 v6, 0, v6, s0
	v_cmp_lt_i32_e64 s0, v19, v0
	v_cndmask_b32_e64 v7, 0, v7, s0
	v_cmp_lt_i32_e64 s0, v21, v0
	s_clause 0x1
	scratch_store_b64 off, v[6:7], s32 offset:308
	scratch_load_b64 v[6:7], off, s32 offset:300 th:TH_LOAD_LU
	s_wait_loadcnt 0x0
	v_cndmask_b32_e64 v6, 0, v6, s0
	v_cmp_lt_i32_e64 s0, v20, v0
	s_delay_alu instid0(VALU_DEP_1)
	v_cndmask_b32_e64 v7, 0, v7, s0
	scratch_store_b64 off, v[6:7], s32 offset:300 ; 8-byte Folded Spill
.LBB230_1812:                           ;   in Loop: Header=BB230_1574 Depth=1
	s_wait_xcnt 0x0
	s_or_b32 exec_lo, exec_lo, s3
	flat_load_b32 v12, v[116:117] offset:896
	v_mov_b64_e32 v[0:1], 0
	v_mov_b64_e32 v[6:7], 0
	s_mov_b32 s3, exec_lo
	s_wait_loadcnt_dscnt 0x0
	v_and_b32_e32 v8, 0xff, v12
	s_wait_xcnt 0x0
	s_delay_alu instid0(VALU_DEP_1)
	v_cmpx_ne_u16_e32 0, v8
	s_cbranch_execz .LBB230_1820
; %bb.1813:                             ;   in Loop: Header=BB230_1574 Depth=1
	v_mov_b64_e32 v[6:7], 0x80000000
	s_mov_b32 s8, exec_lo
	v_cmpx_ne_u16_e32 0x80, v8
	s_cbranch_execz .LBB230_1819
; %bb.1814:                             ;   in Loop: Header=BB230_1574 Depth=1
	v_mov_b64_e32 v[6:7], 0x7f800001
	v_and_b32_e32 v8, 0x7f, v12
	s_mov_b32 s9, exec_lo
	s_delay_alu instid0(VALU_DEP_1)
	v_cmpx_ne_u32_e32 0x7f, v8
	s_cbranch_execz .LBB230_1818
; %bb.1815:                             ;   in Loop: Header=BB230_1574 Depth=1
	v_and_b32_e32 v16, 7, v12
	v_lshrrev_b32_e32 v6, 3, v8
	s_mov_b32 s16, exec_lo
	v_cmpx_gt_u32_e32 8, v8
; %bb.1816:                             ;   in Loop: Header=BB230_1574 Depth=1
	s_delay_alu instid0(VALU_DEP_3) | instskip(NEXT) | instid1(VALU_DEP_1)
	v_clz_i32_u32_e32 v6, v16
	v_min_u32_e32 v6, 32, v6
	s_delay_alu instid0(VALU_DEP_1) | instskip(NEXT) | instid1(VALU_DEP_1)
	v_subrev_nc_u32_e32 v7, 28, v6
	v_lshlrev_b64_e32 v[8:9], v7, v[16:17]
	s_delay_alu instid0(VALU_DEP_1)
	v_dual_sub_nc_u32 v6, 29, v6 :: v_dual_bitop2_b32 v16, 7, v8 bitop3:0x40
; %bb.1817:                             ;   in Loop: Header=BB230_1574 Depth=1
	s_or_b32 exec_lo, exec_lo, s16
	v_lshlrev_b32_e32 v7, 24, v12
	s_delay_alu instid0(VALU_DEP_2) | instskip(NEXT) | instid1(VALU_DEP_3)
	v_lshlrev_b32_e32 v8, 20, v16
	v_lshl_add_u32 v6, v6, 23, 0x3c000000
	s_delay_alu instid0(VALU_DEP_3) | instskip(NEXT) | instid1(VALU_DEP_1)
	v_and_b32_e32 v7, 0x80000000, v7
	v_or3_b32 v16, v8, v7, v6
	s_delay_alu instid0(VALU_DEP_1)
	v_mov_b64_e32 v[6:7], v[16:17]
.LBB230_1818:                           ;   in Loop: Header=BB230_1574 Depth=1
	s_or_b32 exec_lo, exec_lo, s9
.LBB230_1819:                           ;   in Loop: Header=BB230_1574 Depth=1
	s_delay_alu instid0(SALU_CYCLE_1)
	s_or_b32 exec_lo, exec_lo, s8
.LBB230_1820:                           ;   in Loop: Header=BB230_1574 Depth=1
	s_delay_alu instid0(SALU_CYCLE_1) | instskip(SKIP_2) | instid1(VALU_DEP_1)
	s_or_b32 exec_lo, exec_lo, s3
	v_lshrrev_b16 v8, 8, v12
	s_mov_b32 s3, exec_lo
	v_cmpx_ne_u16_e32 0, v8
	s_cbranch_execz .LBB230_1828
; %bb.1821:                             ;   in Loop: Header=BB230_1574 Depth=1
	v_mov_b64_e32 v[0:1], 0x8000000000000000
	s_mov_b32 s8, exec_lo
	v_cmpx_ne_u16_e32 0x80, v8
	s_cbranch_execz .LBB230_1827
; %bb.1822:                             ;   in Loop: Header=BB230_1574 Depth=1
	v_and_b32_e32 v9, 0xffff, v8
	v_mov_b64_e32 v[0:1], 0x7f80000100000000
	s_mov_b32 s9, exec_lo
	s_delay_alu instid0(VALU_DEP_2) | instskip(NEXT) | instid1(VALU_DEP_1)
	v_and_b32_e32 v8, 0x7f, v9
	v_cmpx_ne_u32_e32 0x7f, v8
	s_cbranch_execz .LBB230_1826
; %bb.1823:                             ;   in Loop: Header=BB230_1574 Depth=1
	v_dual_lshrrev_b32 v0, 3, v8 :: v_dual_bitop2_b32 v16, 7, v9 bitop3:0x40
	s_mov_b32 s16, exec_lo
	v_cmpx_gt_u32_e32 8, v8
; %bb.1824:                             ;   in Loop: Header=BB230_1574 Depth=1
	s_delay_alu instid0(VALU_DEP_2) | instskip(NEXT) | instid1(VALU_DEP_1)
	v_clz_i32_u32_e32 v0, v16
	v_min_u32_e32 v0, 32, v0
	s_delay_alu instid0(VALU_DEP_1) | instskip(SKIP_1) | instid1(VALU_DEP_2)
	v_subrev_nc_u32_e32 v1, 28, v0
	v_sub_nc_u32_e32 v0, 29, v0
	v_lshlrev_b64_e32 v[8:9], v1, v[16:17]
	s_delay_alu instid0(VALU_DEP_1)
	v_and_b32_e32 v16, 7, v8
; %bb.1825:                             ;   in Loop: Header=BB230_1574 Depth=1
	s_or_b32 exec_lo, exec_lo, s16
	v_lshlrev_b32_e32 v1, 16, v12
	s_delay_alu instid0(VALU_DEP_2) | instskip(SKIP_1) | instid1(VALU_DEP_3)
	v_lshlrev_b32_e32 v8, 20, v16
	v_lshl_add_u32 v0, v0, 23, 0x3c000000
	v_and_b32_e32 v1, 0x80000000, v1
	s_delay_alu instid0(VALU_DEP_1)
	v_or3_b32 v1, v8, v1, v0
	v_mov_b32_e32 v0, v17
.LBB230_1826:                           ;   in Loop: Header=BB230_1574 Depth=1
	s_or_b32 exec_lo, exec_lo, s9
.LBB230_1827:                           ;   in Loop: Header=BB230_1574 Depth=1
	s_delay_alu instid0(SALU_CYCLE_1)
	s_or_b32 exec_lo, exec_lo, s8
.LBB230_1828:                           ;   in Loop: Header=BB230_1574 Depth=1
	s_delay_alu instid0(SALU_CYCLE_1) | instskip(SKIP_4) | instid1(VALU_DEP_3)
	s_or_b32 exec_lo, exec_lo, s3
	v_lshrrev_b32_e32 v13, 16, v12
	v_mov_b64_e32 v[8:9], 0
	v_mov_b64_e32 v[10:11], 0
	s_mov_b32 s3, exec_lo
	v_and_b32_e32 v14, 0xff, v13
	s_delay_alu instid0(VALU_DEP_1)
	v_cmpx_ne_u16_e32 0, v14
	s_cbranch_execz .LBB230_1836
; %bb.1829:                             ;   in Loop: Header=BB230_1574 Depth=1
	v_mov_b64_e32 v[10:11], 0x80000000
	s_mov_b32 s8, exec_lo
	v_cmpx_ne_u16_e32 0x80, v14
	s_cbranch_execz .LBB230_1835
; %bb.1830:                             ;   in Loop: Header=BB230_1574 Depth=1
	v_mov_b64_e32 v[10:11], 0x7f800001
	v_bfe_u32 v14, v12, 16, 7
	s_mov_b32 s9, exec_lo
	s_delay_alu instid0(VALU_DEP_1)
	v_cmpx_ne_u32_e32 0x7f, v14
	s_cbranch_execz .LBB230_1834
; %bb.1831:                             ;   in Loop: Header=BB230_1574 Depth=1
	v_dual_lshrrev_b32 v10, 3, v14 :: v_dual_bitop2_b32 v16, 7, v13 bitop3:0x40
	s_mov_b32 s16, exec_lo
	v_cmpx_gt_u32_e32 8, v14
; %bb.1832:                             ;   in Loop: Header=BB230_1574 Depth=1
	s_delay_alu instid0(VALU_DEP_2) | instskip(NEXT) | instid1(VALU_DEP_1)
	v_clz_i32_u32_e32 v10, v16
	v_min_u32_e32 v10, 32, v10
	s_delay_alu instid0(VALU_DEP_1) | instskip(SKIP_1) | instid1(VALU_DEP_2)
	v_subrev_nc_u32_e32 v11, 28, v10
	v_sub_nc_u32_e32 v10, 29, v10
	v_lshlrev_b64_e32 v[14:15], v11, v[16:17]
	s_delay_alu instid0(VALU_DEP_1)
	v_and_b32_e32 v16, 7, v14
; %bb.1833:                             ;   in Loop: Header=BB230_1574 Depth=1
	s_or_b32 exec_lo, exec_lo, s16
	s_delay_alu instid0(VALU_DEP_1) | instskip(SKIP_1) | instid1(VALU_DEP_2)
	v_dual_lshlrev_b32 v11, 24, v13 :: v_dual_lshlrev_b32 v13, 20, v16
	v_lshl_add_u32 v10, v10, 23, 0x3c000000
	v_and_b32_e32 v11, 0x80000000, v11
	s_delay_alu instid0(VALU_DEP_1) | instskip(NEXT) | instid1(VALU_DEP_1)
	v_or3_b32 v16, v13, v11, v10
	v_mov_b64_e32 v[10:11], v[16:17]
.LBB230_1834:                           ;   in Loop: Header=BB230_1574 Depth=1
	s_or_b32 exec_lo, exec_lo, s9
.LBB230_1835:                           ;   in Loop: Header=BB230_1574 Depth=1
	s_delay_alu instid0(SALU_CYCLE_1)
	s_or_b32 exec_lo, exec_lo, s8
.LBB230_1836:                           ;   in Loop: Header=BB230_1574 Depth=1
	s_delay_alu instid0(SALU_CYCLE_1) | instskip(NEXT) | instid1(SALU_CYCLE_1)
	s_or_b32 exec_lo, exec_lo, s3
	s_mov_b32 s3, exec_lo
	v_cmpx_lt_u32_e32 0xffffff, v12
	s_cbranch_execz .LBB230_1844
; %bb.1837:                             ;   in Loop: Header=BB230_1574 Depth=1
	v_mov_b64_e32 v[8:9], 0x8000000000000000
	v_lshrrev_b32_e32 v13, 24, v12
	s_mov_b32 s8, exec_lo
	s_delay_alu instid0(VALU_DEP_1)
	v_cmpx_ne_u32_e32 0x80, v13
	s_cbranch_execz .LBB230_1843
; %bb.1838:                             ;   in Loop: Header=BB230_1574 Depth=1
	v_mov_b64_e32 v[8:9], 0x7f80000100000000
	v_bfe_u32 v12, v12, 24, 7
	s_mov_b32 s9, exec_lo
	s_delay_alu instid0(VALU_DEP_1)
	v_cmpx_ne_u32_e32 0x7f, v12
	s_cbranch_execz .LBB230_1842
; %bb.1839:                             ;   in Loop: Header=BB230_1574 Depth=1
	v_dual_lshrrev_b32 v8, 3, v12 :: v_dual_bitop2_b32 v16, 7, v13 bitop3:0x40
	s_mov_b32 s16, exec_lo
	v_cmpx_gt_u32_e32 8, v12
; %bb.1840:                             ;   in Loop: Header=BB230_1574 Depth=1
	s_delay_alu instid0(VALU_DEP_2) | instskip(NEXT) | instid1(VALU_DEP_1)
	v_clz_i32_u32_e32 v8, v16
	v_min_u32_e32 v8, 32, v8
	s_delay_alu instid0(VALU_DEP_1) | instskip(NEXT) | instid1(VALU_DEP_1)
	v_subrev_nc_u32_e32 v9, 28, v8
	v_lshlrev_b64_e32 v[14:15], v9, v[16:17]
	s_delay_alu instid0(VALU_DEP_1)
	v_dual_sub_nc_u32 v8, 29, v8 :: v_dual_bitop2_b32 v16, 7, v14 bitop3:0x40
; %bb.1841:                             ;   in Loop: Header=BB230_1574 Depth=1
	s_or_b32 exec_lo, exec_lo, s16
	s_delay_alu instid0(VALU_DEP_1) | instskip(NEXT) | instid1(VALU_DEP_2)
	v_dual_lshlrev_b32 v9, 24, v13 :: v_dual_lshlrev_b32 v12, 20, v16
	v_lshl_add_u32 v8, v8, 23, 0x3c000000
	s_delay_alu instid0(VALU_DEP_2) | instskip(NEXT) | instid1(VALU_DEP_1)
	v_and_b32_e32 v9, 0x80000000, v9
	v_or3_b32 v9, v12, v9, v8
	v_mov_b32_e32 v8, v17
.LBB230_1842:                           ;   in Loop: Header=BB230_1574 Depth=1
	s_or_b32 exec_lo, exec_lo, s9
.LBB230_1843:                           ;   in Loop: Header=BB230_1574 Depth=1
	s_delay_alu instid0(SALU_CYCLE_1)
	s_or_b32 exec_lo, exec_lo, s8
.LBB230_1844:                           ;   in Loop: Header=BB230_1574 Depth=1
	s_delay_alu instid0(SALU_CYCLE_1) | instskip(SKIP_4) | instid1(VALU_DEP_3)
	s_or_b32 exec_lo, exec_lo, s3
	v_or_b32_e32 v1, v1, v7
	v_or_b32_e32 v0, v0, v6
	;; [unrolled: 1-line block ×4, first 2 shown]
	v_pk_mul_f32 v[0:1], v[70:71], v[0:1]
	scratch_store_b64 off, v[0:1], s32 offset:324 ; 8-byte Folded Spill
	s_wait_xcnt 0x0
	v_pk_mul_f32 v[0:1], v[70:71], v[6:7]
	scratch_store_b64 off, v[0:1], s32 offset:316 ; 8-byte Folded Spill
	s_wait_xcnt 0x0
	s_and_saveexec_b32 s3, vcc_lo
	s_cbranch_execz .LBB230_1846
; %bb.1845:                             ;   in Loop: Header=BB230_1574 Depth=1
	s_clause 0x1
	scratch_load_b64 v[0:1], off, s32 offset:200
	scratch_load_b64 v[6:7], off, s32 offset:324 th:TH_LOAD_LU
	s_wait_loadcnt 0x1
	v_cmp_lt_i32_e64 s0, v18, v0
	s_wait_loadcnt 0x0
	s_delay_alu instid0(VALU_DEP_1) | instskip(SKIP_1) | instid1(VALU_DEP_1)
	v_cndmask_b32_e64 v6, 0, v6, s0
	v_cmp_lt_i32_e64 s0, v19, v0
	v_cndmask_b32_e64 v7, 0, v7, s0
	v_cmp_lt_i32_e64 s0, v21, v0
	s_clause 0x1
	scratch_store_b64 off, v[6:7], s32 offset:324
	scratch_load_b64 v[6:7], off, s32 offset:316 th:TH_LOAD_LU
	s_wait_loadcnt 0x0
	v_cndmask_b32_e64 v6, 0, v6, s0
	v_cmp_lt_i32_e64 s0, v20, v0
	s_delay_alu instid0(VALU_DEP_1)
	v_cndmask_b32_e64 v7, 0, v7, s0
	scratch_store_b64 off, v[6:7], s32 offset:316 ; 8-byte Folded Spill
.LBB230_1846:                           ;   in Loop: Header=BB230_1574 Depth=1
	s_wait_xcnt 0x0
	s_or_b32 exec_lo, exec_lo, s3
	flat_load_b32 v12, v[116:117] offset:1024
	v_mov_b64_e32 v[0:1], 0
	v_mov_b64_e32 v[6:7], 0
	s_mov_b32 s3, exec_lo
	s_wait_loadcnt_dscnt 0x0
	v_and_b32_e32 v8, 0xff, v12
	s_wait_xcnt 0x0
	s_delay_alu instid0(VALU_DEP_1)
	v_cmpx_ne_u16_e32 0, v8
	s_cbranch_execz .LBB230_1854
; %bb.1847:                             ;   in Loop: Header=BB230_1574 Depth=1
	v_mov_b64_e32 v[6:7], 0x80000000
	s_mov_b32 s8, exec_lo
	v_cmpx_ne_u16_e32 0x80, v8
	s_cbranch_execz .LBB230_1853
; %bb.1848:                             ;   in Loop: Header=BB230_1574 Depth=1
	v_mov_b64_e32 v[6:7], 0x7f800001
	v_and_b32_e32 v8, 0x7f, v12
	s_mov_b32 s9, exec_lo
	s_delay_alu instid0(VALU_DEP_1)
	v_cmpx_ne_u32_e32 0x7f, v8
	s_cbranch_execz .LBB230_1852
; %bb.1849:                             ;   in Loop: Header=BB230_1574 Depth=1
	v_and_b32_e32 v16, 7, v12
	v_lshrrev_b32_e32 v6, 3, v8
	s_mov_b32 s16, exec_lo
	v_cmpx_gt_u32_e32 8, v8
; %bb.1850:                             ;   in Loop: Header=BB230_1574 Depth=1
	s_delay_alu instid0(VALU_DEP_3) | instskip(NEXT) | instid1(VALU_DEP_1)
	v_clz_i32_u32_e32 v6, v16
	v_min_u32_e32 v6, 32, v6
	s_delay_alu instid0(VALU_DEP_1) | instskip(NEXT) | instid1(VALU_DEP_1)
	v_subrev_nc_u32_e32 v7, 28, v6
	v_lshlrev_b64_e32 v[8:9], v7, v[16:17]
	s_delay_alu instid0(VALU_DEP_1)
	v_dual_sub_nc_u32 v6, 29, v6 :: v_dual_bitop2_b32 v16, 7, v8 bitop3:0x40
; %bb.1851:                             ;   in Loop: Header=BB230_1574 Depth=1
	s_or_b32 exec_lo, exec_lo, s16
	v_lshlrev_b32_e32 v7, 24, v12
	s_delay_alu instid0(VALU_DEP_2) | instskip(NEXT) | instid1(VALU_DEP_3)
	v_lshlrev_b32_e32 v8, 20, v16
	v_lshl_add_u32 v6, v6, 23, 0x3c000000
	s_delay_alu instid0(VALU_DEP_3) | instskip(NEXT) | instid1(VALU_DEP_1)
	v_and_b32_e32 v7, 0x80000000, v7
	v_or3_b32 v16, v8, v7, v6
	s_delay_alu instid0(VALU_DEP_1)
	v_mov_b64_e32 v[6:7], v[16:17]
.LBB230_1852:                           ;   in Loop: Header=BB230_1574 Depth=1
	s_or_b32 exec_lo, exec_lo, s9
.LBB230_1853:                           ;   in Loop: Header=BB230_1574 Depth=1
	s_delay_alu instid0(SALU_CYCLE_1)
	s_or_b32 exec_lo, exec_lo, s8
.LBB230_1854:                           ;   in Loop: Header=BB230_1574 Depth=1
	s_delay_alu instid0(SALU_CYCLE_1) | instskip(SKIP_2) | instid1(VALU_DEP_1)
	s_or_b32 exec_lo, exec_lo, s3
	v_lshrrev_b16 v8, 8, v12
	s_mov_b32 s3, exec_lo
	v_cmpx_ne_u16_e32 0, v8
	s_cbranch_execz .LBB230_1862
; %bb.1855:                             ;   in Loop: Header=BB230_1574 Depth=1
	v_mov_b64_e32 v[0:1], 0x8000000000000000
	s_mov_b32 s8, exec_lo
	v_cmpx_ne_u16_e32 0x80, v8
	s_cbranch_execz .LBB230_1861
; %bb.1856:                             ;   in Loop: Header=BB230_1574 Depth=1
	v_and_b32_e32 v9, 0xffff, v8
	v_mov_b64_e32 v[0:1], 0x7f80000100000000
	s_mov_b32 s9, exec_lo
	s_delay_alu instid0(VALU_DEP_2) | instskip(NEXT) | instid1(VALU_DEP_1)
	v_and_b32_e32 v8, 0x7f, v9
	v_cmpx_ne_u32_e32 0x7f, v8
	s_cbranch_execz .LBB230_1860
; %bb.1857:                             ;   in Loop: Header=BB230_1574 Depth=1
	v_dual_lshrrev_b32 v0, 3, v8 :: v_dual_bitop2_b32 v16, 7, v9 bitop3:0x40
	s_mov_b32 s16, exec_lo
	v_cmpx_gt_u32_e32 8, v8
; %bb.1858:                             ;   in Loop: Header=BB230_1574 Depth=1
	s_delay_alu instid0(VALU_DEP_2) | instskip(NEXT) | instid1(VALU_DEP_1)
	v_clz_i32_u32_e32 v0, v16
	v_min_u32_e32 v0, 32, v0
	s_delay_alu instid0(VALU_DEP_1) | instskip(SKIP_1) | instid1(VALU_DEP_2)
	v_subrev_nc_u32_e32 v1, 28, v0
	v_sub_nc_u32_e32 v0, 29, v0
	v_lshlrev_b64_e32 v[8:9], v1, v[16:17]
	s_delay_alu instid0(VALU_DEP_1)
	v_and_b32_e32 v16, 7, v8
; %bb.1859:                             ;   in Loop: Header=BB230_1574 Depth=1
	s_or_b32 exec_lo, exec_lo, s16
	v_lshlrev_b32_e32 v1, 16, v12
	s_delay_alu instid0(VALU_DEP_2) | instskip(SKIP_1) | instid1(VALU_DEP_3)
	v_lshlrev_b32_e32 v8, 20, v16
	v_lshl_add_u32 v0, v0, 23, 0x3c000000
	v_and_b32_e32 v1, 0x80000000, v1
	s_delay_alu instid0(VALU_DEP_1)
	v_or3_b32 v1, v8, v1, v0
	v_mov_b32_e32 v0, v17
.LBB230_1860:                           ;   in Loop: Header=BB230_1574 Depth=1
	s_or_b32 exec_lo, exec_lo, s9
.LBB230_1861:                           ;   in Loop: Header=BB230_1574 Depth=1
	s_delay_alu instid0(SALU_CYCLE_1)
	s_or_b32 exec_lo, exec_lo, s8
.LBB230_1862:                           ;   in Loop: Header=BB230_1574 Depth=1
	s_delay_alu instid0(SALU_CYCLE_1) | instskip(SKIP_4) | instid1(VALU_DEP_3)
	s_or_b32 exec_lo, exec_lo, s3
	v_lshrrev_b32_e32 v13, 16, v12
	v_mov_b64_e32 v[8:9], 0
	v_mov_b64_e32 v[10:11], 0
	s_mov_b32 s3, exec_lo
	v_and_b32_e32 v14, 0xff, v13
	s_delay_alu instid0(VALU_DEP_1)
	v_cmpx_ne_u16_e32 0, v14
	s_cbranch_execz .LBB230_1870
; %bb.1863:                             ;   in Loop: Header=BB230_1574 Depth=1
	v_mov_b64_e32 v[10:11], 0x80000000
	s_mov_b32 s8, exec_lo
	v_cmpx_ne_u16_e32 0x80, v14
	s_cbranch_execz .LBB230_1869
; %bb.1864:                             ;   in Loop: Header=BB230_1574 Depth=1
	v_mov_b64_e32 v[10:11], 0x7f800001
	v_bfe_u32 v14, v12, 16, 7
	s_mov_b32 s9, exec_lo
	s_delay_alu instid0(VALU_DEP_1)
	v_cmpx_ne_u32_e32 0x7f, v14
	s_cbranch_execz .LBB230_1868
; %bb.1865:                             ;   in Loop: Header=BB230_1574 Depth=1
	v_dual_lshrrev_b32 v10, 3, v14 :: v_dual_bitop2_b32 v16, 7, v13 bitop3:0x40
	s_mov_b32 s16, exec_lo
	v_cmpx_gt_u32_e32 8, v14
; %bb.1866:                             ;   in Loop: Header=BB230_1574 Depth=1
	s_delay_alu instid0(VALU_DEP_2) | instskip(NEXT) | instid1(VALU_DEP_1)
	v_clz_i32_u32_e32 v10, v16
	v_min_u32_e32 v10, 32, v10
	s_delay_alu instid0(VALU_DEP_1) | instskip(SKIP_1) | instid1(VALU_DEP_2)
	v_subrev_nc_u32_e32 v11, 28, v10
	v_sub_nc_u32_e32 v10, 29, v10
	v_lshlrev_b64_e32 v[14:15], v11, v[16:17]
	s_delay_alu instid0(VALU_DEP_1)
	v_and_b32_e32 v16, 7, v14
; %bb.1867:                             ;   in Loop: Header=BB230_1574 Depth=1
	s_or_b32 exec_lo, exec_lo, s16
	s_delay_alu instid0(VALU_DEP_1) | instskip(SKIP_1) | instid1(VALU_DEP_2)
	v_dual_lshlrev_b32 v11, 24, v13 :: v_dual_lshlrev_b32 v13, 20, v16
	v_lshl_add_u32 v10, v10, 23, 0x3c000000
	v_and_b32_e32 v11, 0x80000000, v11
	s_delay_alu instid0(VALU_DEP_1) | instskip(NEXT) | instid1(VALU_DEP_1)
	v_or3_b32 v16, v13, v11, v10
	v_mov_b64_e32 v[10:11], v[16:17]
.LBB230_1868:                           ;   in Loop: Header=BB230_1574 Depth=1
	s_or_b32 exec_lo, exec_lo, s9
.LBB230_1869:                           ;   in Loop: Header=BB230_1574 Depth=1
	s_delay_alu instid0(SALU_CYCLE_1)
	s_or_b32 exec_lo, exec_lo, s8
.LBB230_1870:                           ;   in Loop: Header=BB230_1574 Depth=1
	s_delay_alu instid0(SALU_CYCLE_1) | instskip(NEXT) | instid1(SALU_CYCLE_1)
	s_or_b32 exec_lo, exec_lo, s3
	s_mov_b32 s3, exec_lo
	v_cmpx_lt_u32_e32 0xffffff, v12
	s_cbranch_execz .LBB230_1878
; %bb.1871:                             ;   in Loop: Header=BB230_1574 Depth=1
	v_mov_b64_e32 v[8:9], 0x8000000000000000
	v_lshrrev_b32_e32 v13, 24, v12
	s_mov_b32 s8, exec_lo
	s_delay_alu instid0(VALU_DEP_1)
	v_cmpx_ne_u32_e32 0x80, v13
	s_cbranch_execz .LBB230_1877
; %bb.1872:                             ;   in Loop: Header=BB230_1574 Depth=1
	v_mov_b64_e32 v[8:9], 0x7f80000100000000
	v_bfe_u32 v12, v12, 24, 7
	s_mov_b32 s9, exec_lo
	s_delay_alu instid0(VALU_DEP_1)
	v_cmpx_ne_u32_e32 0x7f, v12
	s_cbranch_execz .LBB230_1876
; %bb.1873:                             ;   in Loop: Header=BB230_1574 Depth=1
	v_dual_lshrrev_b32 v8, 3, v12 :: v_dual_bitop2_b32 v16, 7, v13 bitop3:0x40
	s_mov_b32 s16, exec_lo
	v_cmpx_gt_u32_e32 8, v12
; %bb.1874:                             ;   in Loop: Header=BB230_1574 Depth=1
	s_delay_alu instid0(VALU_DEP_2) | instskip(NEXT) | instid1(VALU_DEP_1)
	v_clz_i32_u32_e32 v8, v16
	v_min_u32_e32 v8, 32, v8
	s_delay_alu instid0(VALU_DEP_1) | instskip(NEXT) | instid1(VALU_DEP_1)
	v_subrev_nc_u32_e32 v9, 28, v8
	v_lshlrev_b64_e32 v[14:15], v9, v[16:17]
	s_delay_alu instid0(VALU_DEP_1)
	v_dual_sub_nc_u32 v8, 29, v8 :: v_dual_bitop2_b32 v16, 7, v14 bitop3:0x40
; %bb.1875:                             ;   in Loop: Header=BB230_1574 Depth=1
	s_or_b32 exec_lo, exec_lo, s16
	s_delay_alu instid0(VALU_DEP_1) | instskip(NEXT) | instid1(VALU_DEP_2)
	v_dual_lshlrev_b32 v9, 24, v13 :: v_dual_lshlrev_b32 v12, 20, v16
	v_lshl_add_u32 v8, v8, 23, 0x3c000000
	s_delay_alu instid0(VALU_DEP_2) | instskip(NEXT) | instid1(VALU_DEP_1)
	v_and_b32_e32 v9, 0x80000000, v9
	v_or3_b32 v9, v12, v9, v8
	v_mov_b32_e32 v8, v17
.LBB230_1876:                           ;   in Loop: Header=BB230_1574 Depth=1
	s_or_b32 exec_lo, exec_lo, s9
.LBB230_1877:                           ;   in Loop: Header=BB230_1574 Depth=1
	s_delay_alu instid0(SALU_CYCLE_1)
	s_or_b32 exec_lo, exec_lo, s8
.LBB230_1878:                           ;   in Loop: Header=BB230_1574 Depth=1
	s_delay_alu instid0(SALU_CYCLE_1) | instskip(SKIP_4) | instid1(VALU_DEP_3)
	s_or_b32 exec_lo, exec_lo, s3
	v_or_b32_e32 v1, v1, v7
	v_or_b32_e32 v0, v0, v6
	;; [unrolled: 1-line block ×4, first 2 shown]
	v_pk_mul_f32 v[0:1], v[70:71], v[0:1]
	scratch_store_b64 off, v[0:1], s32 offset:340 ; 8-byte Folded Spill
	s_wait_xcnt 0x0
	v_pk_mul_f32 v[0:1], v[70:71], v[6:7]
	scratch_store_b64 off, v[0:1], s32 offset:332 ; 8-byte Folded Spill
	s_wait_xcnt 0x0
	s_and_saveexec_b32 s3, vcc_lo
	s_cbranch_execz .LBB230_1880
; %bb.1879:                             ;   in Loop: Header=BB230_1574 Depth=1
	s_clause 0x1
	scratch_load_b64 v[0:1], off, s32 offset:200
	scratch_load_b64 v[6:7], off, s32 offset:340 th:TH_LOAD_LU
	s_wait_loadcnt 0x1
	v_cmp_lt_i32_e64 s0, v18, v0
	s_wait_loadcnt 0x0
	s_delay_alu instid0(VALU_DEP_1) | instskip(SKIP_1) | instid1(VALU_DEP_1)
	v_cndmask_b32_e64 v6, 0, v6, s0
	v_cmp_lt_i32_e64 s0, v19, v0
	v_cndmask_b32_e64 v7, 0, v7, s0
	v_cmp_lt_i32_e64 s0, v21, v0
	s_clause 0x1
	scratch_store_b64 off, v[6:7], s32 offset:340
	scratch_load_b64 v[6:7], off, s32 offset:332 th:TH_LOAD_LU
	s_wait_loadcnt 0x0
	v_cndmask_b32_e64 v6, 0, v6, s0
	v_cmp_lt_i32_e64 s0, v20, v0
	s_delay_alu instid0(VALU_DEP_1)
	v_cndmask_b32_e64 v7, 0, v7, s0
	scratch_store_b64 off, v[6:7], s32 offset:332 ; 8-byte Folded Spill
.LBB230_1880:                           ;   in Loop: Header=BB230_1574 Depth=1
	s_wait_xcnt 0x0
	s_or_b32 exec_lo, exec_lo, s3
	flat_load_b32 v12, v[116:117] offset:1152
	v_mov_b64_e32 v[0:1], 0
	v_mov_b64_e32 v[6:7], 0
	s_mov_b32 s3, exec_lo
	s_wait_loadcnt_dscnt 0x0
	v_and_b32_e32 v8, 0xff, v12
	s_wait_xcnt 0x0
	s_delay_alu instid0(VALU_DEP_1)
	v_cmpx_ne_u16_e32 0, v8
	s_cbranch_execz .LBB230_1888
; %bb.1881:                             ;   in Loop: Header=BB230_1574 Depth=1
	v_mov_b64_e32 v[6:7], 0x80000000
	s_mov_b32 s8, exec_lo
	v_cmpx_ne_u16_e32 0x80, v8
	s_cbranch_execz .LBB230_1887
; %bb.1882:                             ;   in Loop: Header=BB230_1574 Depth=1
	v_mov_b64_e32 v[6:7], 0x7f800001
	v_and_b32_e32 v8, 0x7f, v12
	s_mov_b32 s9, exec_lo
	s_delay_alu instid0(VALU_DEP_1)
	v_cmpx_ne_u32_e32 0x7f, v8
	s_cbranch_execz .LBB230_1886
; %bb.1883:                             ;   in Loop: Header=BB230_1574 Depth=1
	v_and_b32_e32 v16, 7, v12
	v_lshrrev_b32_e32 v6, 3, v8
	s_mov_b32 s16, exec_lo
	v_cmpx_gt_u32_e32 8, v8
; %bb.1884:                             ;   in Loop: Header=BB230_1574 Depth=1
	s_delay_alu instid0(VALU_DEP_3) | instskip(NEXT) | instid1(VALU_DEP_1)
	v_clz_i32_u32_e32 v6, v16
	v_min_u32_e32 v6, 32, v6
	s_delay_alu instid0(VALU_DEP_1) | instskip(NEXT) | instid1(VALU_DEP_1)
	v_subrev_nc_u32_e32 v7, 28, v6
	v_lshlrev_b64_e32 v[8:9], v7, v[16:17]
	s_delay_alu instid0(VALU_DEP_1)
	v_dual_sub_nc_u32 v6, 29, v6 :: v_dual_bitop2_b32 v16, 7, v8 bitop3:0x40
; %bb.1885:                             ;   in Loop: Header=BB230_1574 Depth=1
	s_or_b32 exec_lo, exec_lo, s16
	v_lshlrev_b32_e32 v7, 24, v12
	s_delay_alu instid0(VALU_DEP_2) | instskip(NEXT) | instid1(VALU_DEP_3)
	v_lshlrev_b32_e32 v8, 20, v16
	v_lshl_add_u32 v6, v6, 23, 0x3c000000
	s_delay_alu instid0(VALU_DEP_3) | instskip(NEXT) | instid1(VALU_DEP_1)
	v_and_b32_e32 v7, 0x80000000, v7
	v_or3_b32 v16, v8, v7, v6
	s_delay_alu instid0(VALU_DEP_1)
	v_mov_b64_e32 v[6:7], v[16:17]
.LBB230_1886:                           ;   in Loop: Header=BB230_1574 Depth=1
	s_or_b32 exec_lo, exec_lo, s9
.LBB230_1887:                           ;   in Loop: Header=BB230_1574 Depth=1
	s_delay_alu instid0(SALU_CYCLE_1)
	s_or_b32 exec_lo, exec_lo, s8
.LBB230_1888:                           ;   in Loop: Header=BB230_1574 Depth=1
	s_delay_alu instid0(SALU_CYCLE_1) | instskip(SKIP_2) | instid1(VALU_DEP_1)
	s_or_b32 exec_lo, exec_lo, s3
	v_lshrrev_b16 v8, 8, v12
	s_mov_b32 s3, exec_lo
	v_cmpx_ne_u16_e32 0, v8
	s_cbranch_execz .LBB230_1896
; %bb.1889:                             ;   in Loop: Header=BB230_1574 Depth=1
	v_mov_b64_e32 v[0:1], 0x8000000000000000
	s_mov_b32 s8, exec_lo
	v_cmpx_ne_u16_e32 0x80, v8
	s_cbranch_execz .LBB230_1895
; %bb.1890:                             ;   in Loop: Header=BB230_1574 Depth=1
	v_and_b32_e32 v9, 0xffff, v8
	v_mov_b64_e32 v[0:1], 0x7f80000100000000
	s_mov_b32 s9, exec_lo
	s_delay_alu instid0(VALU_DEP_2) | instskip(NEXT) | instid1(VALU_DEP_1)
	v_and_b32_e32 v8, 0x7f, v9
	v_cmpx_ne_u32_e32 0x7f, v8
	s_cbranch_execz .LBB230_1894
; %bb.1891:                             ;   in Loop: Header=BB230_1574 Depth=1
	v_dual_lshrrev_b32 v0, 3, v8 :: v_dual_bitop2_b32 v16, 7, v9 bitop3:0x40
	s_mov_b32 s16, exec_lo
	v_cmpx_gt_u32_e32 8, v8
; %bb.1892:                             ;   in Loop: Header=BB230_1574 Depth=1
	s_delay_alu instid0(VALU_DEP_2) | instskip(NEXT) | instid1(VALU_DEP_1)
	v_clz_i32_u32_e32 v0, v16
	v_min_u32_e32 v0, 32, v0
	s_delay_alu instid0(VALU_DEP_1) | instskip(SKIP_1) | instid1(VALU_DEP_2)
	v_subrev_nc_u32_e32 v1, 28, v0
	v_sub_nc_u32_e32 v0, 29, v0
	v_lshlrev_b64_e32 v[8:9], v1, v[16:17]
	s_delay_alu instid0(VALU_DEP_1)
	v_and_b32_e32 v16, 7, v8
; %bb.1893:                             ;   in Loop: Header=BB230_1574 Depth=1
	s_or_b32 exec_lo, exec_lo, s16
	v_lshlrev_b32_e32 v1, 16, v12
	s_delay_alu instid0(VALU_DEP_2) | instskip(SKIP_1) | instid1(VALU_DEP_3)
	v_lshlrev_b32_e32 v8, 20, v16
	v_lshl_add_u32 v0, v0, 23, 0x3c000000
	v_and_b32_e32 v1, 0x80000000, v1
	s_delay_alu instid0(VALU_DEP_1)
	v_or3_b32 v1, v8, v1, v0
	v_mov_b32_e32 v0, v17
.LBB230_1894:                           ;   in Loop: Header=BB230_1574 Depth=1
	s_or_b32 exec_lo, exec_lo, s9
.LBB230_1895:                           ;   in Loop: Header=BB230_1574 Depth=1
	s_delay_alu instid0(SALU_CYCLE_1)
	s_or_b32 exec_lo, exec_lo, s8
.LBB230_1896:                           ;   in Loop: Header=BB230_1574 Depth=1
	s_delay_alu instid0(SALU_CYCLE_1) | instskip(SKIP_4) | instid1(VALU_DEP_3)
	s_or_b32 exec_lo, exec_lo, s3
	v_lshrrev_b32_e32 v13, 16, v12
	v_mov_b64_e32 v[8:9], 0
	v_mov_b64_e32 v[10:11], 0
	s_mov_b32 s3, exec_lo
	v_and_b32_e32 v14, 0xff, v13
	s_delay_alu instid0(VALU_DEP_1)
	v_cmpx_ne_u16_e32 0, v14
	s_cbranch_execz .LBB230_1904
; %bb.1897:                             ;   in Loop: Header=BB230_1574 Depth=1
	v_mov_b64_e32 v[10:11], 0x80000000
	s_mov_b32 s8, exec_lo
	v_cmpx_ne_u16_e32 0x80, v14
	s_cbranch_execz .LBB230_1903
; %bb.1898:                             ;   in Loop: Header=BB230_1574 Depth=1
	v_mov_b64_e32 v[10:11], 0x7f800001
	v_bfe_u32 v14, v12, 16, 7
	s_mov_b32 s9, exec_lo
	s_delay_alu instid0(VALU_DEP_1)
	v_cmpx_ne_u32_e32 0x7f, v14
	s_cbranch_execz .LBB230_1902
; %bb.1899:                             ;   in Loop: Header=BB230_1574 Depth=1
	v_dual_lshrrev_b32 v10, 3, v14 :: v_dual_bitop2_b32 v16, 7, v13 bitop3:0x40
	s_mov_b32 s16, exec_lo
	v_cmpx_gt_u32_e32 8, v14
; %bb.1900:                             ;   in Loop: Header=BB230_1574 Depth=1
	s_delay_alu instid0(VALU_DEP_2) | instskip(NEXT) | instid1(VALU_DEP_1)
	v_clz_i32_u32_e32 v10, v16
	v_min_u32_e32 v10, 32, v10
	s_delay_alu instid0(VALU_DEP_1) | instskip(SKIP_1) | instid1(VALU_DEP_2)
	v_subrev_nc_u32_e32 v11, 28, v10
	v_sub_nc_u32_e32 v10, 29, v10
	v_lshlrev_b64_e32 v[14:15], v11, v[16:17]
	s_delay_alu instid0(VALU_DEP_1)
	v_and_b32_e32 v16, 7, v14
; %bb.1901:                             ;   in Loop: Header=BB230_1574 Depth=1
	s_or_b32 exec_lo, exec_lo, s16
	s_delay_alu instid0(VALU_DEP_1) | instskip(SKIP_1) | instid1(VALU_DEP_2)
	v_dual_lshlrev_b32 v11, 24, v13 :: v_dual_lshlrev_b32 v13, 20, v16
	v_lshl_add_u32 v10, v10, 23, 0x3c000000
	v_and_b32_e32 v11, 0x80000000, v11
	s_delay_alu instid0(VALU_DEP_1) | instskip(NEXT) | instid1(VALU_DEP_1)
	v_or3_b32 v16, v13, v11, v10
	v_mov_b64_e32 v[10:11], v[16:17]
.LBB230_1902:                           ;   in Loop: Header=BB230_1574 Depth=1
	s_or_b32 exec_lo, exec_lo, s9
.LBB230_1903:                           ;   in Loop: Header=BB230_1574 Depth=1
	s_delay_alu instid0(SALU_CYCLE_1)
	s_or_b32 exec_lo, exec_lo, s8
.LBB230_1904:                           ;   in Loop: Header=BB230_1574 Depth=1
	s_delay_alu instid0(SALU_CYCLE_1) | instskip(NEXT) | instid1(SALU_CYCLE_1)
	s_or_b32 exec_lo, exec_lo, s3
	s_mov_b32 s3, exec_lo
	v_cmpx_lt_u32_e32 0xffffff, v12
	s_cbranch_execz .LBB230_1912
; %bb.1905:                             ;   in Loop: Header=BB230_1574 Depth=1
	v_mov_b64_e32 v[8:9], 0x8000000000000000
	v_lshrrev_b32_e32 v13, 24, v12
	s_mov_b32 s8, exec_lo
	s_delay_alu instid0(VALU_DEP_1)
	v_cmpx_ne_u32_e32 0x80, v13
	s_cbranch_execz .LBB230_1911
; %bb.1906:                             ;   in Loop: Header=BB230_1574 Depth=1
	v_mov_b64_e32 v[8:9], 0x7f80000100000000
	v_bfe_u32 v12, v12, 24, 7
	s_mov_b32 s9, exec_lo
	s_delay_alu instid0(VALU_DEP_1)
	v_cmpx_ne_u32_e32 0x7f, v12
	s_cbranch_execz .LBB230_1910
; %bb.1907:                             ;   in Loop: Header=BB230_1574 Depth=1
	v_dual_lshrrev_b32 v8, 3, v12 :: v_dual_bitop2_b32 v16, 7, v13 bitop3:0x40
	s_mov_b32 s16, exec_lo
	v_cmpx_gt_u32_e32 8, v12
; %bb.1908:                             ;   in Loop: Header=BB230_1574 Depth=1
	s_delay_alu instid0(VALU_DEP_2) | instskip(NEXT) | instid1(VALU_DEP_1)
	v_clz_i32_u32_e32 v8, v16
	v_min_u32_e32 v8, 32, v8
	s_delay_alu instid0(VALU_DEP_1) | instskip(NEXT) | instid1(VALU_DEP_1)
	v_subrev_nc_u32_e32 v9, 28, v8
	v_lshlrev_b64_e32 v[14:15], v9, v[16:17]
	s_delay_alu instid0(VALU_DEP_1)
	v_dual_sub_nc_u32 v8, 29, v8 :: v_dual_bitop2_b32 v16, 7, v14 bitop3:0x40
; %bb.1909:                             ;   in Loop: Header=BB230_1574 Depth=1
	s_or_b32 exec_lo, exec_lo, s16
	s_delay_alu instid0(VALU_DEP_1) | instskip(NEXT) | instid1(VALU_DEP_2)
	v_dual_lshlrev_b32 v9, 24, v13 :: v_dual_lshlrev_b32 v12, 20, v16
	v_lshl_add_u32 v8, v8, 23, 0x3c000000
	s_delay_alu instid0(VALU_DEP_2) | instskip(NEXT) | instid1(VALU_DEP_1)
	v_and_b32_e32 v9, 0x80000000, v9
	v_or3_b32 v9, v12, v9, v8
	v_mov_b32_e32 v8, v17
.LBB230_1910:                           ;   in Loop: Header=BB230_1574 Depth=1
	s_or_b32 exec_lo, exec_lo, s9
.LBB230_1911:                           ;   in Loop: Header=BB230_1574 Depth=1
	s_delay_alu instid0(SALU_CYCLE_1)
	s_or_b32 exec_lo, exec_lo, s8
.LBB230_1912:                           ;   in Loop: Header=BB230_1574 Depth=1
	s_delay_alu instid0(SALU_CYCLE_1) | instskip(SKIP_4) | instid1(VALU_DEP_3)
	s_or_b32 exec_lo, exec_lo, s3
	v_or_b32_e32 v1, v1, v7
	v_or_b32_e32 v0, v0, v6
	;; [unrolled: 1-line block ×4, first 2 shown]
	v_pk_mul_f32 v[0:1], v[70:71], v[0:1]
	scratch_store_b64 off, v[0:1], s32 offset:356 ; 8-byte Folded Spill
	s_wait_xcnt 0x0
	v_pk_mul_f32 v[0:1], v[70:71], v[6:7]
	scratch_store_b64 off, v[0:1], s32 offset:348 ; 8-byte Folded Spill
	s_wait_xcnt 0x0
	s_and_saveexec_b32 s3, vcc_lo
	s_cbranch_execz .LBB230_1914
; %bb.1913:                             ;   in Loop: Header=BB230_1574 Depth=1
	s_clause 0x1
	scratch_load_b64 v[0:1], off, s32 offset:200
	scratch_load_b64 v[6:7], off, s32 offset:356 th:TH_LOAD_LU
	s_wait_loadcnt 0x1
	v_cmp_lt_i32_e64 s0, v18, v0
	s_wait_loadcnt 0x0
	s_delay_alu instid0(VALU_DEP_1) | instskip(SKIP_1) | instid1(VALU_DEP_1)
	v_cndmask_b32_e64 v6, 0, v6, s0
	v_cmp_lt_i32_e64 s0, v19, v0
	v_cndmask_b32_e64 v7, 0, v7, s0
	v_cmp_lt_i32_e64 s0, v21, v0
	s_clause 0x1
	scratch_store_b64 off, v[6:7], s32 offset:356
	scratch_load_b64 v[6:7], off, s32 offset:348 th:TH_LOAD_LU
	s_wait_loadcnt 0x0
	v_cndmask_b32_e64 v6, 0, v6, s0
	v_cmp_lt_i32_e64 s0, v20, v0
	s_delay_alu instid0(VALU_DEP_1)
	v_cndmask_b32_e64 v7, 0, v7, s0
	scratch_store_b64 off, v[6:7], s32 offset:348 ; 8-byte Folded Spill
.LBB230_1914:                           ;   in Loop: Header=BB230_1574 Depth=1
	s_wait_xcnt 0x0
	s_or_b32 exec_lo, exec_lo, s3
	flat_load_b32 v12, v[116:117] offset:1280
	v_mov_b64_e32 v[0:1], 0
	v_mov_b64_e32 v[6:7], 0
	s_mov_b32 s3, exec_lo
	s_wait_loadcnt_dscnt 0x0
	v_and_b32_e32 v8, 0xff, v12
	s_wait_xcnt 0x0
	s_delay_alu instid0(VALU_DEP_1)
	v_cmpx_ne_u16_e32 0, v8
	s_cbranch_execz .LBB230_1922
; %bb.1915:                             ;   in Loop: Header=BB230_1574 Depth=1
	v_mov_b64_e32 v[6:7], 0x80000000
	s_mov_b32 s8, exec_lo
	v_cmpx_ne_u16_e32 0x80, v8
	s_cbranch_execz .LBB230_1921
; %bb.1916:                             ;   in Loop: Header=BB230_1574 Depth=1
	v_mov_b64_e32 v[6:7], 0x7f800001
	v_and_b32_e32 v8, 0x7f, v12
	s_mov_b32 s9, exec_lo
	s_delay_alu instid0(VALU_DEP_1)
	v_cmpx_ne_u32_e32 0x7f, v8
	s_cbranch_execz .LBB230_1920
; %bb.1917:                             ;   in Loop: Header=BB230_1574 Depth=1
	v_and_b32_e32 v16, 7, v12
	v_lshrrev_b32_e32 v6, 3, v8
	s_mov_b32 s16, exec_lo
	v_cmpx_gt_u32_e32 8, v8
; %bb.1918:                             ;   in Loop: Header=BB230_1574 Depth=1
	s_delay_alu instid0(VALU_DEP_3) | instskip(NEXT) | instid1(VALU_DEP_1)
	v_clz_i32_u32_e32 v6, v16
	v_min_u32_e32 v6, 32, v6
	s_delay_alu instid0(VALU_DEP_1) | instskip(NEXT) | instid1(VALU_DEP_1)
	v_subrev_nc_u32_e32 v7, 28, v6
	v_lshlrev_b64_e32 v[8:9], v7, v[16:17]
	s_delay_alu instid0(VALU_DEP_1)
	v_dual_sub_nc_u32 v6, 29, v6 :: v_dual_bitop2_b32 v16, 7, v8 bitop3:0x40
; %bb.1919:                             ;   in Loop: Header=BB230_1574 Depth=1
	s_or_b32 exec_lo, exec_lo, s16
	v_lshlrev_b32_e32 v7, 24, v12
	s_delay_alu instid0(VALU_DEP_2) | instskip(NEXT) | instid1(VALU_DEP_3)
	v_lshlrev_b32_e32 v8, 20, v16
	v_lshl_add_u32 v6, v6, 23, 0x3c000000
	s_delay_alu instid0(VALU_DEP_3) | instskip(NEXT) | instid1(VALU_DEP_1)
	v_and_b32_e32 v7, 0x80000000, v7
	v_or3_b32 v16, v8, v7, v6
	s_delay_alu instid0(VALU_DEP_1)
	v_mov_b64_e32 v[6:7], v[16:17]
.LBB230_1920:                           ;   in Loop: Header=BB230_1574 Depth=1
	s_or_b32 exec_lo, exec_lo, s9
.LBB230_1921:                           ;   in Loop: Header=BB230_1574 Depth=1
	s_delay_alu instid0(SALU_CYCLE_1)
	s_or_b32 exec_lo, exec_lo, s8
.LBB230_1922:                           ;   in Loop: Header=BB230_1574 Depth=1
	s_delay_alu instid0(SALU_CYCLE_1) | instskip(SKIP_2) | instid1(VALU_DEP_1)
	s_or_b32 exec_lo, exec_lo, s3
	v_lshrrev_b16 v8, 8, v12
	s_mov_b32 s3, exec_lo
	v_cmpx_ne_u16_e32 0, v8
	s_cbranch_execz .LBB230_1930
; %bb.1923:                             ;   in Loop: Header=BB230_1574 Depth=1
	v_mov_b64_e32 v[0:1], 0x8000000000000000
	s_mov_b32 s8, exec_lo
	v_cmpx_ne_u16_e32 0x80, v8
	s_cbranch_execz .LBB230_1929
; %bb.1924:                             ;   in Loop: Header=BB230_1574 Depth=1
	v_and_b32_e32 v9, 0xffff, v8
	v_mov_b64_e32 v[0:1], 0x7f80000100000000
	s_mov_b32 s9, exec_lo
	s_delay_alu instid0(VALU_DEP_2) | instskip(NEXT) | instid1(VALU_DEP_1)
	v_and_b32_e32 v8, 0x7f, v9
	v_cmpx_ne_u32_e32 0x7f, v8
	s_cbranch_execz .LBB230_1928
; %bb.1925:                             ;   in Loop: Header=BB230_1574 Depth=1
	v_dual_lshrrev_b32 v0, 3, v8 :: v_dual_bitop2_b32 v16, 7, v9 bitop3:0x40
	s_mov_b32 s16, exec_lo
	v_cmpx_gt_u32_e32 8, v8
; %bb.1926:                             ;   in Loop: Header=BB230_1574 Depth=1
	s_delay_alu instid0(VALU_DEP_2) | instskip(NEXT) | instid1(VALU_DEP_1)
	v_clz_i32_u32_e32 v0, v16
	v_min_u32_e32 v0, 32, v0
	s_delay_alu instid0(VALU_DEP_1) | instskip(SKIP_1) | instid1(VALU_DEP_2)
	v_subrev_nc_u32_e32 v1, 28, v0
	v_sub_nc_u32_e32 v0, 29, v0
	v_lshlrev_b64_e32 v[8:9], v1, v[16:17]
	s_delay_alu instid0(VALU_DEP_1)
	v_and_b32_e32 v16, 7, v8
; %bb.1927:                             ;   in Loop: Header=BB230_1574 Depth=1
	s_or_b32 exec_lo, exec_lo, s16
	v_lshlrev_b32_e32 v1, 16, v12
	s_delay_alu instid0(VALU_DEP_2) | instskip(SKIP_1) | instid1(VALU_DEP_3)
	v_lshlrev_b32_e32 v8, 20, v16
	v_lshl_add_u32 v0, v0, 23, 0x3c000000
	v_and_b32_e32 v1, 0x80000000, v1
	s_delay_alu instid0(VALU_DEP_1)
	v_or3_b32 v1, v8, v1, v0
	v_mov_b32_e32 v0, v17
.LBB230_1928:                           ;   in Loop: Header=BB230_1574 Depth=1
	s_or_b32 exec_lo, exec_lo, s9
.LBB230_1929:                           ;   in Loop: Header=BB230_1574 Depth=1
	s_delay_alu instid0(SALU_CYCLE_1)
	s_or_b32 exec_lo, exec_lo, s8
.LBB230_1930:                           ;   in Loop: Header=BB230_1574 Depth=1
	s_delay_alu instid0(SALU_CYCLE_1) | instskip(SKIP_4) | instid1(VALU_DEP_3)
	s_or_b32 exec_lo, exec_lo, s3
	v_lshrrev_b32_e32 v13, 16, v12
	v_mov_b64_e32 v[8:9], 0
	v_mov_b64_e32 v[10:11], 0
	s_mov_b32 s3, exec_lo
	v_and_b32_e32 v14, 0xff, v13
	s_delay_alu instid0(VALU_DEP_1)
	v_cmpx_ne_u16_e32 0, v14
	s_cbranch_execz .LBB230_1938
; %bb.1931:                             ;   in Loop: Header=BB230_1574 Depth=1
	v_mov_b64_e32 v[10:11], 0x80000000
	s_mov_b32 s8, exec_lo
	v_cmpx_ne_u16_e32 0x80, v14
	s_cbranch_execz .LBB230_1937
; %bb.1932:                             ;   in Loop: Header=BB230_1574 Depth=1
	v_mov_b64_e32 v[10:11], 0x7f800001
	v_bfe_u32 v14, v12, 16, 7
	s_mov_b32 s9, exec_lo
	s_delay_alu instid0(VALU_DEP_1)
	v_cmpx_ne_u32_e32 0x7f, v14
	s_cbranch_execz .LBB230_1936
; %bb.1933:                             ;   in Loop: Header=BB230_1574 Depth=1
	v_dual_lshrrev_b32 v10, 3, v14 :: v_dual_bitop2_b32 v16, 7, v13 bitop3:0x40
	s_mov_b32 s16, exec_lo
	v_cmpx_gt_u32_e32 8, v14
; %bb.1934:                             ;   in Loop: Header=BB230_1574 Depth=1
	s_delay_alu instid0(VALU_DEP_2) | instskip(NEXT) | instid1(VALU_DEP_1)
	v_clz_i32_u32_e32 v10, v16
	v_min_u32_e32 v10, 32, v10
	s_delay_alu instid0(VALU_DEP_1) | instskip(SKIP_1) | instid1(VALU_DEP_2)
	v_subrev_nc_u32_e32 v11, 28, v10
	v_sub_nc_u32_e32 v10, 29, v10
	v_lshlrev_b64_e32 v[14:15], v11, v[16:17]
	s_delay_alu instid0(VALU_DEP_1)
	v_and_b32_e32 v16, 7, v14
; %bb.1935:                             ;   in Loop: Header=BB230_1574 Depth=1
	s_or_b32 exec_lo, exec_lo, s16
	s_delay_alu instid0(VALU_DEP_1) | instskip(SKIP_1) | instid1(VALU_DEP_2)
	v_dual_lshlrev_b32 v11, 24, v13 :: v_dual_lshlrev_b32 v13, 20, v16
	v_lshl_add_u32 v10, v10, 23, 0x3c000000
	v_and_b32_e32 v11, 0x80000000, v11
	s_delay_alu instid0(VALU_DEP_1) | instskip(NEXT) | instid1(VALU_DEP_1)
	v_or3_b32 v16, v13, v11, v10
	v_mov_b64_e32 v[10:11], v[16:17]
.LBB230_1936:                           ;   in Loop: Header=BB230_1574 Depth=1
	s_or_b32 exec_lo, exec_lo, s9
.LBB230_1937:                           ;   in Loop: Header=BB230_1574 Depth=1
	s_delay_alu instid0(SALU_CYCLE_1)
	s_or_b32 exec_lo, exec_lo, s8
.LBB230_1938:                           ;   in Loop: Header=BB230_1574 Depth=1
	s_delay_alu instid0(SALU_CYCLE_1) | instskip(NEXT) | instid1(SALU_CYCLE_1)
	s_or_b32 exec_lo, exec_lo, s3
	s_mov_b32 s3, exec_lo
	v_cmpx_lt_u32_e32 0xffffff, v12
	s_cbranch_execz .LBB230_1946
; %bb.1939:                             ;   in Loop: Header=BB230_1574 Depth=1
	v_mov_b64_e32 v[8:9], 0x8000000000000000
	v_lshrrev_b32_e32 v13, 24, v12
	s_mov_b32 s8, exec_lo
	s_delay_alu instid0(VALU_DEP_1)
	v_cmpx_ne_u32_e32 0x80, v13
	s_cbranch_execz .LBB230_1945
; %bb.1940:                             ;   in Loop: Header=BB230_1574 Depth=1
	v_mov_b64_e32 v[8:9], 0x7f80000100000000
	v_bfe_u32 v12, v12, 24, 7
	s_mov_b32 s9, exec_lo
	s_delay_alu instid0(VALU_DEP_1)
	v_cmpx_ne_u32_e32 0x7f, v12
	s_cbranch_execz .LBB230_1944
; %bb.1941:                             ;   in Loop: Header=BB230_1574 Depth=1
	v_dual_lshrrev_b32 v8, 3, v12 :: v_dual_bitop2_b32 v16, 7, v13 bitop3:0x40
	s_mov_b32 s16, exec_lo
	v_cmpx_gt_u32_e32 8, v12
; %bb.1942:                             ;   in Loop: Header=BB230_1574 Depth=1
	s_delay_alu instid0(VALU_DEP_2) | instskip(NEXT) | instid1(VALU_DEP_1)
	v_clz_i32_u32_e32 v8, v16
	v_min_u32_e32 v8, 32, v8
	s_delay_alu instid0(VALU_DEP_1) | instskip(NEXT) | instid1(VALU_DEP_1)
	v_subrev_nc_u32_e32 v9, 28, v8
	v_lshlrev_b64_e32 v[14:15], v9, v[16:17]
	s_delay_alu instid0(VALU_DEP_1)
	v_dual_sub_nc_u32 v8, 29, v8 :: v_dual_bitop2_b32 v16, 7, v14 bitop3:0x40
; %bb.1943:                             ;   in Loop: Header=BB230_1574 Depth=1
	s_or_b32 exec_lo, exec_lo, s16
	s_delay_alu instid0(VALU_DEP_1) | instskip(NEXT) | instid1(VALU_DEP_2)
	v_dual_lshlrev_b32 v9, 24, v13 :: v_dual_lshlrev_b32 v12, 20, v16
	v_lshl_add_u32 v8, v8, 23, 0x3c000000
	s_delay_alu instid0(VALU_DEP_2) | instskip(NEXT) | instid1(VALU_DEP_1)
	v_and_b32_e32 v9, 0x80000000, v9
	v_or3_b32 v9, v12, v9, v8
	v_mov_b32_e32 v8, v17
.LBB230_1944:                           ;   in Loop: Header=BB230_1574 Depth=1
	s_or_b32 exec_lo, exec_lo, s9
.LBB230_1945:                           ;   in Loop: Header=BB230_1574 Depth=1
	s_delay_alu instid0(SALU_CYCLE_1)
	s_or_b32 exec_lo, exec_lo, s8
.LBB230_1946:                           ;   in Loop: Header=BB230_1574 Depth=1
	s_delay_alu instid0(SALU_CYCLE_1) | instskip(SKIP_4) | instid1(VALU_DEP_3)
	s_or_b32 exec_lo, exec_lo, s3
	v_or_b32_e32 v1, v1, v7
	v_or_b32_e32 v0, v0, v6
	;; [unrolled: 1-line block ×4, first 2 shown]
	v_pk_mul_f32 v[0:1], v[70:71], v[0:1]
	scratch_store_b64 off, v[0:1], s32 offset:372 ; 8-byte Folded Spill
	s_wait_xcnt 0x0
	v_pk_mul_f32 v[0:1], v[70:71], v[6:7]
	scratch_store_b64 off, v[0:1], s32 offset:364 ; 8-byte Folded Spill
	s_wait_xcnt 0x0
	s_and_saveexec_b32 s3, vcc_lo
	s_cbranch_execz .LBB230_1948
; %bb.1947:                             ;   in Loop: Header=BB230_1574 Depth=1
	s_clause 0x1
	scratch_load_b64 v[0:1], off, s32 offset:200
	scratch_load_b64 v[6:7], off, s32 offset:372 th:TH_LOAD_LU
	s_wait_loadcnt 0x1
	v_cmp_lt_i32_e64 s0, v18, v0
	s_wait_loadcnt 0x0
	s_delay_alu instid0(VALU_DEP_1) | instskip(SKIP_1) | instid1(VALU_DEP_1)
	v_cndmask_b32_e64 v6, 0, v6, s0
	v_cmp_lt_i32_e64 s0, v19, v0
	v_cndmask_b32_e64 v7, 0, v7, s0
	v_cmp_lt_i32_e64 s0, v21, v0
	s_clause 0x1
	scratch_store_b64 off, v[6:7], s32 offset:372
	scratch_load_b64 v[6:7], off, s32 offset:364 th:TH_LOAD_LU
	s_wait_loadcnt 0x0
	v_cndmask_b32_e64 v6, 0, v6, s0
	v_cmp_lt_i32_e64 s0, v20, v0
	s_delay_alu instid0(VALU_DEP_1)
	v_cndmask_b32_e64 v7, 0, v7, s0
	scratch_store_b64 off, v[6:7], s32 offset:364 ; 8-byte Folded Spill
.LBB230_1948:                           ;   in Loop: Header=BB230_1574 Depth=1
	s_wait_xcnt 0x0
	s_or_b32 exec_lo, exec_lo, s3
	flat_load_b32 v12, v[116:117] offset:1408
	v_mov_b64_e32 v[0:1], 0
	v_mov_b64_e32 v[6:7], 0
	s_mov_b32 s3, exec_lo
	s_wait_loadcnt_dscnt 0x0
	v_and_b32_e32 v8, 0xff, v12
	s_wait_xcnt 0x0
	s_delay_alu instid0(VALU_DEP_1)
	v_cmpx_ne_u16_e32 0, v8
	s_cbranch_execz .LBB230_1956
; %bb.1949:                             ;   in Loop: Header=BB230_1574 Depth=1
	v_mov_b64_e32 v[6:7], 0x80000000
	s_mov_b32 s8, exec_lo
	v_cmpx_ne_u16_e32 0x80, v8
	s_cbranch_execz .LBB230_1955
; %bb.1950:                             ;   in Loop: Header=BB230_1574 Depth=1
	v_mov_b64_e32 v[6:7], 0x7f800001
	v_and_b32_e32 v8, 0x7f, v12
	s_mov_b32 s9, exec_lo
	s_delay_alu instid0(VALU_DEP_1)
	v_cmpx_ne_u32_e32 0x7f, v8
	s_cbranch_execz .LBB230_1954
; %bb.1951:                             ;   in Loop: Header=BB230_1574 Depth=1
	v_and_b32_e32 v16, 7, v12
	v_lshrrev_b32_e32 v6, 3, v8
	s_mov_b32 s16, exec_lo
	v_cmpx_gt_u32_e32 8, v8
; %bb.1952:                             ;   in Loop: Header=BB230_1574 Depth=1
	s_delay_alu instid0(VALU_DEP_3) | instskip(NEXT) | instid1(VALU_DEP_1)
	v_clz_i32_u32_e32 v6, v16
	v_min_u32_e32 v6, 32, v6
	s_delay_alu instid0(VALU_DEP_1) | instskip(NEXT) | instid1(VALU_DEP_1)
	v_subrev_nc_u32_e32 v7, 28, v6
	v_lshlrev_b64_e32 v[8:9], v7, v[16:17]
	s_delay_alu instid0(VALU_DEP_1)
	v_dual_sub_nc_u32 v6, 29, v6 :: v_dual_bitop2_b32 v16, 7, v8 bitop3:0x40
; %bb.1953:                             ;   in Loop: Header=BB230_1574 Depth=1
	s_or_b32 exec_lo, exec_lo, s16
	v_lshlrev_b32_e32 v7, 24, v12
	s_delay_alu instid0(VALU_DEP_2) | instskip(NEXT) | instid1(VALU_DEP_3)
	v_lshlrev_b32_e32 v8, 20, v16
	v_lshl_add_u32 v6, v6, 23, 0x3c000000
	s_delay_alu instid0(VALU_DEP_3) | instskip(NEXT) | instid1(VALU_DEP_1)
	v_and_b32_e32 v7, 0x80000000, v7
	v_or3_b32 v16, v8, v7, v6
	s_delay_alu instid0(VALU_DEP_1)
	v_mov_b64_e32 v[6:7], v[16:17]
.LBB230_1954:                           ;   in Loop: Header=BB230_1574 Depth=1
	s_or_b32 exec_lo, exec_lo, s9
.LBB230_1955:                           ;   in Loop: Header=BB230_1574 Depth=1
	s_delay_alu instid0(SALU_CYCLE_1)
	s_or_b32 exec_lo, exec_lo, s8
.LBB230_1956:                           ;   in Loop: Header=BB230_1574 Depth=1
	s_delay_alu instid0(SALU_CYCLE_1) | instskip(SKIP_2) | instid1(VALU_DEP_1)
	s_or_b32 exec_lo, exec_lo, s3
	v_lshrrev_b16 v8, 8, v12
	s_mov_b32 s3, exec_lo
	v_cmpx_ne_u16_e32 0, v8
	s_cbranch_execz .LBB230_1964
; %bb.1957:                             ;   in Loop: Header=BB230_1574 Depth=1
	v_mov_b64_e32 v[0:1], 0x8000000000000000
	s_mov_b32 s8, exec_lo
	v_cmpx_ne_u16_e32 0x80, v8
	s_cbranch_execz .LBB230_1963
; %bb.1958:                             ;   in Loop: Header=BB230_1574 Depth=1
	v_and_b32_e32 v9, 0xffff, v8
	v_mov_b64_e32 v[0:1], 0x7f80000100000000
	s_mov_b32 s9, exec_lo
	s_delay_alu instid0(VALU_DEP_2) | instskip(NEXT) | instid1(VALU_DEP_1)
	v_and_b32_e32 v8, 0x7f, v9
	v_cmpx_ne_u32_e32 0x7f, v8
	s_cbranch_execz .LBB230_1962
; %bb.1959:                             ;   in Loop: Header=BB230_1574 Depth=1
	v_dual_lshrrev_b32 v0, 3, v8 :: v_dual_bitop2_b32 v16, 7, v9 bitop3:0x40
	s_mov_b32 s16, exec_lo
	v_cmpx_gt_u32_e32 8, v8
; %bb.1960:                             ;   in Loop: Header=BB230_1574 Depth=1
	s_delay_alu instid0(VALU_DEP_2) | instskip(NEXT) | instid1(VALU_DEP_1)
	v_clz_i32_u32_e32 v0, v16
	v_min_u32_e32 v0, 32, v0
	s_delay_alu instid0(VALU_DEP_1) | instskip(SKIP_1) | instid1(VALU_DEP_2)
	v_subrev_nc_u32_e32 v1, 28, v0
	v_sub_nc_u32_e32 v0, 29, v0
	v_lshlrev_b64_e32 v[8:9], v1, v[16:17]
	s_delay_alu instid0(VALU_DEP_1)
	v_and_b32_e32 v16, 7, v8
; %bb.1961:                             ;   in Loop: Header=BB230_1574 Depth=1
	s_or_b32 exec_lo, exec_lo, s16
	v_lshlrev_b32_e32 v1, 16, v12
	s_delay_alu instid0(VALU_DEP_2) | instskip(SKIP_1) | instid1(VALU_DEP_3)
	v_lshlrev_b32_e32 v8, 20, v16
	v_lshl_add_u32 v0, v0, 23, 0x3c000000
	v_and_b32_e32 v1, 0x80000000, v1
	s_delay_alu instid0(VALU_DEP_1)
	v_or3_b32 v1, v8, v1, v0
	v_mov_b32_e32 v0, v17
.LBB230_1962:                           ;   in Loop: Header=BB230_1574 Depth=1
	s_or_b32 exec_lo, exec_lo, s9
.LBB230_1963:                           ;   in Loop: Header=BB230_1574 Depth=1
	s_delay_alu instid0(SALU_CYCLE_1)
	s_or_b32 exec_lo, exec_lo, s8
.LBB230_1964:                           ;   in Loop: Header=BB230_1574 Depth=1
	s_delay_alu instid0(SALU_CYCLE_1) | instskip(SKIP_4) | instid1(VALU_DEP_3)
	s_or_b32 exec_lo, exec_lo, s3
	v_lshrrev_b32_e32 v13, 16, v12
	v_mov_b64_e32 v[8:9], 0
	v_mov_b64_e32 v[10:11], 0
	s_mov_b32 s3, exec_lo
	v_and_b32_e32 v14, 0xff, v13
	s_delay_alu instid0(VALU_DEP_1)
	v_cmpx_ne_u16_e32 0, v14
	s_cbranch_execz .LBB230_1972
; %bb.1965:                             ;   in Loop: Header=BB230_1574 Depth=1
	v_mov_b64_e32 v[10:11], 0x80000000
	s_mov_b32 s8, exec_lo
	v_cmpx_ne_u16_e32 0x80, v14
	s_cbranch_execz .LBB230_1971
; %bb.1966:                             ;   in Loop: Header=BB230_1574 Depth=1
	v_mov_b64_e32 v[10:11], 0x7f800001
	v_bfe_u32 v14, v12, 16, 7
	s_mov_b32 s9, exec_lo
	s_delay_alu instid0(VALU_DEP_1)
	v_cmpx_ne_u32_e32 0x7f, v14
	s_cbranch_execz .LBB230_1970
; %bb.1967:                             ;   in Loop: Header=BB230_1574 Depth=1
	v_dual_lshrrev_b32 v10, 3, v14 :: v_dual_bitop2_b32 v16, 7, v13 bitop3:0x40
	s_mov_b32 s16, exec_lo
	v_cmpx_gt_u32_e32 8, v14
; %bb.1968:                             ;   in Loop: Header=BB230_1574 Depth=1
	s_delay_alu instid0(VALU_DEP_2) | instskip(NEXT) | instid1(VALU_DEP_1)
	v_clz_i32_u32_e32 v10, v16
	v_min_u32_e32 v10, 32, v10
	s_delay_alu instid0(VALU_DEP_1) | instskip(SKIP_1) | instid1(VALU_DEP_2)
	v_subrev_nc_u32_e32 v11, 28, v10
	v_sub_nc_u32_e32 v10, 29, v10
	v_lshlrev_b64_e32 v[14:15], v11, v[16:17]
	s_delay_alu instid0(VALU_DEP_1)
	v_and_b32_e32 v16, 7, v14
; %bb.1969:                             ;   in Loop: Header=BB230_1574 Depth=1
	s_or_b32 exec_lo, exec_lo, s16
	s_delay_alu instid0(VALU_DEP_1) | instskip(SKIP_1) | instid1(VALU_DEP_2)
	v_dual_lshlrev_b32 v11, 24, v13 :: v_dual_lshlrev_b32 v13, 20, v16
	v_lshl_add_u32 v10, v10, 23, 0x3c000000
	v_and_b32_e32 v11, 0x80000000, v11
	s_delay_alu instid0(VALU_DEP_1) | instskip(NEXT) | instid1(VALU_DEP_1)
	v_or3_b32 v16, v13, v11, v10
	v_mov_b64_e32 v[10:11], v[16:17]
.LBB230_1970:                           ;   in Loop: Header=BB230_1574 Depth=1
	s_or_b32 exec_lo, exec_lo, s9
.LBB230_1971:                           ;   in Loop: Header=BB230_1574 Depth=1
	s_delay_alu instid0(SALU_CYCLE_1)
	s_or_b32 exec_lo, exec_lo, s8
.LBB230_1972:                           ;   in Loop: Header=BB230_1574 Depth=1
	s_delay_alu instid0(SALU_CYCLE_1) | instskip(NEXT) | instid1(SALU_CYCLE_1)
	s_or_b32 exec_lo, exec_lo, s3
	s_mov_b32 s3, exec_lo
	v_cmpx_lt_u32_e32 0xffffff, v12
	s_cbranch_execz .LBB230_1980
; %bb.1973:                             ;   in Loop: Header=BB230_1574 Depth=1
	v_mov_b64_e32 v[8:9], 0x8000000000000000
	v_lshrrev_b32_e32 v13, 24, v12
	s_mov_b32 s8, exec_lo
	s_delay_alu instid0(VALU_DEP_1)
	v_cmpx_ne_u32_e32 0x80, v13
	s_cbranch_execz .LBB230_1979
; %bb.1974:                             ;   in Loop: Header=BB230_1574 Depth=1
	v_mov_b64_e32 v[8:9], 0x7f80000100000000
	v_bfe_u32 v12, v12, 24, 7
	s_mov_b32 s9, exec_lo
	s_delay_alu instid0(VALU_DEP_1)
	v_cmpx_ne_u32_e32 0x7f, v12
	s_cbranch_execz .LBB230_1978
; %bb.1975:                             ;   in Loop: Header=BB230_1574 Depth=1
	v_dual_lshrrev_b32 v8, 3, v12 :: v_dual_bitop2_b32 v16, 7, v13 bitop3:0x40
	s_mov_b32 s16, exec_lo
	v_cmpx_gt_u32_e32 8, v12
; %bb.1976:                             ;   in Loop: Header=BB230_1574 Depth=1
	s_delay_alu instid0(VALU_DEP_2) | instskip(NEXT) | instid1(VALU_DEP_1)
	v_clz_i32_u32_e32 v8, v16
	v_min_u32_e32 v8, 32, v8
	s_delay_alu instid0(VALU_DEP_1) | instskip(NEXT) | instid1(VALU_DEP_1)
	v_subrev_nc_u32_e32 v9, 28, v8
	v_lshlrev_b64_e32 v[14:15], v9, v[16:17]
	s_delay_alu instid0(VALU_DEP_1)
	v_dual_sub_nc_u32 v8, 29, v8 :: v_dual_bitop2_b32 v16, 7, v14 bitop3:0x40
; %bb.1977:                             ;   in Loop: Header=BB230_1574 Depth=1
	s_or_b32 exec_lo, exec_lo, s16
	s_delay_alu instid0(VALU_DEP_1) | instskip(NEXT) | instid1(VALU_DEP_2)
	v_dual_lshlrev_b32 v9, 24, v13 :: v_dual_lshlrev_b32 v12, 20, v16
	v_lshl_add_u32 v8, v8, 23, 0x3c000000
	s_delay_alu instid0(VALU_DEP_2) | instskip(NEXT) | instid1(VALU_DEP_1)
	v_and_b32_e32 v9, 0x80000000, v9
	v_or3_b32 v9, v12, v9, v8
	v_mov_b32_e32 v8, v17
.LBB230_1978:                           ;   in Loop: Header=BB230_1574 Depth=1
	s_or_b32 exec_lo, exec_lo, s9
.LBB230_1979:                           ;   in Loop: Header=BB230_1574 Depth=1
	s_delay_alu instid0(SALU_CYCLE_1)
	s_or_b32 exec_lo, exec_lo, s8
.LBB230_1980:                           ;   in Loop: Header=BB230_1574 Depth=1
	s_delay_alu instid0(SALU_CYCLE_1) | instskip(SKIP_4) | instid1(VALU_DEP_3)
	s_or_b32 exec_lo, exec_lo, s3
	v_or_b32_e32 v1, v1, v7
	v_or_b32_e32 v0, v0, v6
	;; [unrolled: 1-line block ×4, first 2 shown]
	v_pk_mul_f32 v[0:1], v[70:71], v[0:1]
	scratch_store_b64 off, v[0:1], s32 offset:388 ; 8-byte Folded Spill
	s_wait_xcnt 0x0
	v_pk_mul_f32 v[0:1], v[70:71], v[6:7]
	scratch_store_b64 off, v[0:1], s32 offset:380 ; 8-byte Folded Spill
	s_wait_xcnt 0x0
	s_and_saveexec_b32 s3, vcc_lo
	s_cbranch_execz .LBB230_1982
; %bb.1981:                             ;   in Loop: Header=BB230_1574 Depth=1
	s_clause 0x1
	scratch_load_b64 v[0:1], off, s32 offset:200
	scratch_load_b64 v[6:7], off, s32 offset:388 th:TH_LOAD_LU
	s_wait_loadcnt 0x1
	v_cmp_lt_i32_e64 s0, v18, v0
	s_wait_loadcnt 0x0
	s_delay_alu instid0(VALU_DEP_1) | instskip(SKIP_1) | instid1(VALU_DEP_1)
	v_cndmask_b32_e64 v6, 0, v6, s0
	v_cmp_lt_i32_e64 s0, v19, v0
	v_cndmask_b32_e64 v7, 0, v7, s0
	v_cmp_lt_i32_e64 s0, v21, v0
	s_clause 0x1
	scratch_store_b64 off, v[6:7], s32 offset:388
	scratch_load_b64 v[6:7], off, s32 offset:380 th:TH_LOAD_LU
	s_wait_loadcnt 0x0
	v_cndmask_b32_e64 v6, 0, v6, s0
	v_cmp_lt_i32_e64 s0, v20, v0
	s_delay_alu instid0(VALU_DEP_1)
	v_cndmask_b32_e64 v7, 0, v7, s0
	scratch_store_b64 off, v[6:7], s32 offset:380 ; 8-byte Folded Spill
.LBB230_1982:                           ;   in Loop: Header=BB230_1574 Depth=1
	s_wait_xcnt 0x0
	s_or_b32 exec_lo, exec_lo, s3
	flat_load_b32 v12, v[116:117] offset:1536
	v_mov_b64_e32 v[0:1], 0
	v_mov_b64_e32 v[6:7], 0
	s_mov_b32 s3, exec_lo
	s_wait_loadcnt_dscnt 0x0
	v_and_b32_e32 v8, 0xff, v12
	s_wait_xcnt 0x0
	s_delay_alu instid0(VALU_DEP_1)
	v_cmpx_ne_u16_e32 0, v8
	s_cbranch_execz .LBB230_1990
; %bb.1983:                             ;   in Loop: Header=BB230_1574 Depth=1
	v_mov_b64_e32 v[6:7], 0x80000000
	s_mov_b32 s8, exec_lo
	v_cmpx_ne_u16_e32 0x80, v8
	s_cbranch_execz .LBB230_1989
; %bb.1984:                             ;   in Loop: Header=BB230_1574 Depth=1
	v_mov_b64_e32 v[6:7], 0x7f800001
	v_and_b32_e32 v8, 0x7f, v12
	s_mov_b32 s9, exec_lo
	s_delay_alu instid0(VALU_DEP_1)
	v_cmpx_ne_u32_e32 0x7f, v8
	s_cbranch_execz .LBB230_1988
; %bb.1985:                             ;   in Loop: Header=BB230_1574 Depth=1
	v_and_b32_e32 v16, 7, v12
	v_lshrrev_b32_e32 v6, 3, v8
	s_mov_b32 s16, exec_lo
	v_cmpx_gt_u32_e32 8, v8
; %bb.1986:                             ;   in Loop: Header=BB230_1574 Depth=1
	s_delay_alu instid0(VALU_DEP_3) | instskip(NEXT) | instid1(VALU_DEP_1)
	v_clz_i32_u32_e32 v6, v16
	v_min_u32_e32 v6, 32, v6
	s_delay_alu instid0(VALU_DEP_1) | instskip(NEXT) | instid1(VALU_DEP_1)
	v_subrev_nc_u32_e32 v7, 28, v6
	v_lshlrev_b64_e32 v[8:9], v7, v[16:17]
	s_delay_alu instid0(VALU_DEP_1)
	v_dual_sub_nc_u32 v6, 29, v6 :: v_dual_bitop2_b32 v16, 7, v8 bitop3:0x40
; %bb.1987:                             ;   in Loop: Header=BB230_1574 Depth=1
	s_or_b32 exec_lo, exec_lo, s16
	v_lshlrev_b32_e32 v7, 24, v12
	s_delay_alu instid0(VALU_DEP_2) | instskip(NEXT) | instid1(VALU_DEP_3)
	v_lshlrev_b32_e32 v8, 20, v16
	v_lshl_add_u32 v6, v6, 23, 0x3c000000
	s_delay_alu instid0(VALU_DEP_3) | instskip(NEXT) | instid1(VALU_DEP_1)
	v_and_b32_e32 v7, 0x80000000, v7
	v_or3_b32 v16, v8, v7, v6
	s_delay_alu instid0(VALU_DEP_1)
	v_mov_b64_e32 v[6:7], v[16:17]
.LBB230_1988:                           ;   in Loop: Header=BB230_1574 Depth=1
	s_or_b32 exec_lo, exec_lo, s9
.LBB230_1989:                           ;   in Loop: Header=BB230_1574 Depth=1
	s_delay_alu instid0(SALU_CYCLE_1)
	s_or_b32 exec_lo, exec_lo, s8
.LBB230_1990:                           ;   in Loop: Header=BB230_1574 Depth=1
	s_delay_alu instid0(SALU_CYCLE_1) | instskip(SKIP_2) | instid1(VALU_DEP_1)
	s_or_b32 exec_lo, exec_lo, s3
	v_lshrrev_b16 v8, 8, v12
	s_mov_b32 s3, exec_lo
	v_cmpx_ne_u16_e32 0, v8
	s_cbranch_execz .LBB230_1998
; %bb.1991:                             ;   in Loop: Header=BB230_1574 Depth=1
	v_mov_b64_e32 v[0:1], 0x8000000000000000
	s_mov_b32 s8, exec_lo
	v_cmpx_ne_u16_e32 0x80, v8
	s_cbranch_execz .LBB230_1997
; %bb.1992:                             ;   in Loop: Header=BB230_1574 Depth=1
	v_and_b32_e32 v9, 0xffff, v8
	v_mov_b64_e32 v[0:1], 0x7f80000100000000
	s_mov_b32 s9, exec_lo
	s_delay_alu instid0(VALU_DEP_2) | instskip(NEXT) | instid1(VALU_DEP_1)
	v_and_b32_e32 v8, 0x7f, v9
	v_cmpx_ne_u32_e32 0x7f, v8
	s_cbranch_execz .LBB230_1996
; %bb.1993:                             ;   in Loop: Header=BB230_1574 Depth=1
	v_dual_lshrrev_b32 v0, 3, v8 :: v_dual_bitop2_b32 v16, 7, v9 bitop3:0x40
	s_mov_b32 s16, exec_lo
	v_cmpx_gt_u32_e32 8, v8
; %bb.1994:                             ;   in Loop: Header=BB230_1574 Depth=1
	s_delay_alu instid0(VALU_DEP_2) | instskip(NEXT) | instid1(VALU_DEP_1)
	v_clz_i32_u32_e32 v0, v16
	v_min_u32_e32 v0, 32, v0
	s_delay_alu instid0(VALU_DEP_1) | instskip(SKIP_1) | instid1(VALU_DEP_2)
	v_subrev_nc_u32_e32 v1, 28, v0
	v_sub_nc_u32_e32 v0, 29, v0
	v_lshlrev_b64_e32 v[8:9], v1, v[16:17]
	s_delay_alu instid0(VALU_DEP_1)
	v_and_b32_e32 v16, 7, v8
; %bb.1995:                             ;   in Loop: Header=BB230_1574 Depth=1
	s_or_b32 exec_lo, exec_lo, s16
	v_lshlrev_b32_e32 v1, 16, v12
	s_delay_alu instid0(VALU_DEP_2) | instskip(SKIP_1) | instid1(VALU_DEP_3)
	v_lshlrev_b32_e32 v8, 20, v16
	v_lshl_add_u32 v0, v0, 23, 0x3c000000
	v_and_b32_e32 v1, 0x80000000, v1
	s_delay_alu instid0(VALU_DEP_1)
	v_or3_b32 v1, v8, v1, v0
	v_mov_b32_e32 v0, v17
.LBB230_1996:                           ;   in Loop: Header=BB230_1574 Depth=1
	s_or_b32 exec_lo, exec_lo, s9
.LBB230_1997:                           ;   in Loop: Header=BB230_1574 Depth=1
	s_delay_alu instid0(SALU_CYCLE_1)
	s_or_b32 exec_lo, exec_lo, s8
.LBB230_1998:                           ;   in Loop: Header=BB230_1574 Depth=1
	s_delay_alu instid0(SALU_CYCLE_1) | instskip(SKIP_4) | instid1(VALU_DEP_3)
	s_or_b32 exec_lo, exec_lo, s3
	v_lshrrev_b32_e32 v13, 16, v12
	v_mov_b64_e32 v[8:9], 0
	v_mov_b64_e32 v[10:11], 0
	s_mov_b32 s3, exec_lo
	v_and_b32_e32 v14, 0xff, v13
	s_delay_alu instid0(VALU_DEP_1)
	v_cmpx_ne_u16_e32 0, v14
	s_cbranch_execz .LBB230_2006
; %bb.1999:                             ;   in Loop: Header=BB230_1574 Depth=1
	v_mov_b64_e32 v[10:11], 0x80000000
	s_mov_b32 s8, exec_lo
	v_cmpx_ne_u16_e32 0x80, v14
	s_cbranch_execz .LBB230_2005
; %bb.2000:                             ;   in Loop: Header=BB230_1574 Depth=1
	v_mov_b64_e32 v[10:11], 0x7f800001
	v_bfe_u32 v14, v12, 16, 7
	s_mov_b32 s9, exec_lo
	s_delay_alu instid0(VALU_DEP_1)
	v_cmpx_ne_u32_e32 0x7f, v14
	s_cbranch_execz .LBB230_2004
; %bb.2001:                             ;   in Loop: Header=BB230_1574 Depth=1
	v_dual_lshrrev_b32 v10, 3, v14 :: v_dual_bitop2_b32 v16, 7, v13 bitop3:0x40
	s_mov_b32 s16, exec_lo
	v_cmpx_gt_u32_e32 8, v14
; %bb.2002:                             ;   in Loop: Header=BB230_1574 Depth=1
	s_delay_alu instid0(VALU_DEP_2) | instskip(NEXT) | instid1(VALU_DEP_1)
	v_clz_i32_u32_e32 v10, v16
	v_min_u32_e32 v10, 32, v10
	s_delay_alu instid0(VALU_DEP_1) | instskip(SKIP_1) | instid1(VALU_DEP_2)
	v_subrev_nc_u32_e32 v11, 28, v10
	v_sub_nc_u32_e32 v10, 29, v10
	v_lshlrev_b64_e32 v[14:15], v11, v[16:17]
	s_delay_alu instid0(VALU_DEP_1)
	v_and_b32_e32 v16, 7, v14
; %bb.2003:                             ;   in Loop: Header=BB230_1574 Depth=1
	s_or_b32 exec_lo, exec_lo, s16
	s_delay_alu instid0(VALU_DEP_1) | instskip(SKIP_1) | instid1(VALU_DEP_2)
	v_dual_lshlrev_b32 v11, 24, v13 :: v_dual_lshlrev_b32 v13, 20, v16
	v_lshl_add_u32 v10, v10, 23, 0x3c000000
	v_and_b32_e32 v11, 0x80000000, v11
	s_delay_alu instid0(VALU_DEP_1) | instskip(NEXT) | instid1(VALU_DEP_1)
	v_or3_b32 v16, v13, v11, v10
	v_mov_b64_e32 v[10:11], v[16:17]
.LBB230_2004:                           ;   in Loop: Header=BB230_1574 Depth=1
	s_or_b32 exec_lo, exec_lo, s9
.LBB230_2005:                           ;   in Loop: Header=BB230_1574 Depth=1
	s_delay_alu instid0(SALU_CYCLE_1)
	s_or_b32 exec_lo, exec_lo, s8
.LBB230_2006:                           ;   in Loop: Header=BB230_1574 Depth=1
	s_delay_alu instid0(SALU_CYCLE_1) | instskip(NEXT) | instid1(SALU_CYCLE_1)
	s_or_b32 exec_lo, exec_lo, s3
	s_mov_b32 s3, exec_lo
	v_cmpx_lt_u32_e32 0xffffff, v12
	s_cbranch_execz .LBB230_2014
; %bb.2007:                             ;   in Loop: Header=BB230_1574 Depth=1
	v_mov_b64_e32 v[8:9], 0x8000000000000000
	v_lshrrev_b32_e32 v13, 24, v12
	s_mov_b32 s8, exec_lo
	s_delay_alu instid0(VALU_DEP_1)
	v_cmpx_ne_u32_e32 0x80, v13
	s_cbranch_execz .LBB230_2013
; %bb.2008:                             ;   in Loop: Header=BB230_1574 Depth=1
	v_mov_b64_e32 v[8:9], 0x7f80000100000000
	v_bfe_u32 v12, v12, 24, 7
	s_mov_b32 s9, exec_lo
	s_delay_alu instid0(VALU_DEP_1)
	v_cmpx_ne_u32_e32 0x7f, v12
	s_cbranch_execz .LBB230_2012
; %bb.2009:                             ;   in Loop: Header=BB230_1574 Depth=1
	v_dual_lshrrev_b32 v8, 3, v12 :: v_dual_bitop2_b32 v16, 7, v13 bitop3:0x40
	s_mov_b32 s16, exec_lo
	v_cmpx_gt_u32_e32 8, v12
; %bb.2010:                             ;   in Loop: Header=BB230_1574 Depth=1
	s_delay_alu instid0(VALU_DEP_2) | instskip(NEXT) | instid1(VALU_DEP_1)
	v_clz_i32_u32_e32 v8, v16
	v_min_u32_e32 v8, 32, v8
	s_delay_alu instid0(VALU_DEP_1) | instskip(NEXT) | instid1(VALU_DEP_1)
	v_subrev_nc_u32_e32 v9, 28, v8
	v_lshlrev_b64_e32 v[14:15], v9, v[16:17]
	s_delay_alu instid0(VALU_DEP_1)
	v_dual_sub_nc_u32 v8, 29, v8 :: v_dual_bitop2_b32 v16, 7, v14 bitop3:0x40
; %bb.2011:                             ;   in Loop: Header=BB230_1574 Depth=1
	s_or_b32 exec_lo, exec_lo, s16
	s_delay_alu instid0(VALU_DEP_1) | instskip(NEXT) | instid1(VALU_DEP_2)
	v_dual_lshlrev_b32 v9, 24, v13 :: v_dual_lshlrev_b32 v12, 20, v16
	v_lshl_add_u32 v8, v8, 23, 0x3c000000
	s_delay_alu instid0(VALU_DEP_2) | instskip(NEXT) | instid1(VALU_DEP_1)
	v_and_b32_e32 v9, 0x80000000, v9
	v_or3_b32 v9, v12, v9, v8
	v_mov_b32_e32 v8, v17
.LBB230_2012:                           ;   in Loop: Header=BB230_1574 Depth=1
	s_or_b32 exec_lo, exec_lo, s9
.LBB230_2013:                           ;   in Loop: Header=BB230_1574 Depth=1
	s_delay_alu instid0(SALU_CYCLE_1)
	s_or_b32 exec_lo, exec_lo, s8
.LBB230_2014:                           ;   in Loop: Header=BB230_1574 Depth=1
	s_delay_alu instid0(SALU_CYCLE_1) | instskip(SKIP_4) | instid1(VALU_DEP_3)
	s_or_b32 exec_lo, exec_lo, s3
	v_or_b32_e32 v1, v1, v7
	v_or_b32_e32 v0, v0, v6
	;; [unrolled: 1-line block ×4, first 2 shown]
	v_pk_mul_f32 v[0:1], v[70:71], v[0:1]
	scratch_store_b64 off, v[0:1], s32 offset:404 ; 8-byte Folded Spill
	s_wait_xcnt 0x0
	v_pk_mul_f32 v[0:1], v[70:71], v[6:7]
	scratch_store_b64 off, v[0:1], s32 offset:396 ; 8-byte Folded Spill
	s_wait_xcnt 0x0
	s_and_saveexec_b32 s3, vcc_lo
	s_cbranch_execz .LBB230_2016
; %bb.2015:                             ;   in Loop: Header=BB230_1574 Depth=1
	s_clause 0x1
	scratch_load_b64 v[0:1], off, s32 offset:200
	scratch_load_b64 v[6:7], off, s32 offset:404 th:TH_LOAD_LU
	s_wait_loadcnt 0x1
	v_cmp_lt_i32_e64 s0, v18, v0
	s_wait_loadcnt 0x0
	s_delay_alu instid0(VALU_DEP_1) | instskip(SKIP_1) | instid1(VALU_DEP_1)
	v_cndmask_b32_e64 v6, 0, v6, s0
	v_cmp_lt_i32_e64 s0, v19, v0
	v_cndmask_b32_e64 v7, 0, v7, s0
	v_cmp_lt_i32_e64 s0, v21, v0
	s_clause 0x1
	scratch_store_b64 off, v[6:7], s32 offset:404
	scratch_load_b64 v[6:7], off, s32 offset:396 th:TH_LOAD_LU
	s_wait_loadcnt 0x0
	v_cndmask_b32_e64 v6, 0, v6, s0
	v_cmp_lt_i32_e64 s0, v20, v0
	s_delay_alu instid0(VALU_DEP_1)
	v_cndmask_b32_e64 v7, 0, v7, s0
	scratch_store_b64 off, v[6:7], s32 offset:396 ; 8-byte Folded Spill
.LBB230_2016:                           ;   in Loop: Header=BB230_1574 Depth=1
	s_wait_xcnt 0x0
	s_or_b32 exec_lo, exec_lo, s3
	flat_load_b32 v12, v[116:117] offset:1664
	v_mov_b64_e32 v[0:1], 0
	v_mov_b64_e32 v[6:7], 0
	s_mov_b32 s3, exec_lo
	s_wait_loadcnt_dscnt 0x0
	v_and_b32_e32 v8, 0xff, v12
	s_wait_xcnt 0x0
	s_delay_alu instid0(VALU_DEP_1)
	v_cmpx_ne_u16_e32 0, v8
	s_cbranch_execz .LBB230_2024
; %bb.2017:                             ;   in Loop: Header=BB230_1574 Depth=1
	v_mov_b64_e32 v[6:7], 0x80000000
	s_mov_b32 s8, exec_lo
	v_cmpx_ne_u16_e32 0x80, v8
	s_cbranch_execz .LBB230_2023
; %bb.2018:                             ;   in Loop: Header=BB230_1574 Depth=1
	v_mov_b64_e32 v[6:7], 0x7f800001
	v_and_b32_e32 v8, 0x7f, v12
	s_mov_b32 s9, exec_lo
	s_delay_alu instid0(VALU_DEP_1)
	v_cmpx_ne_u32_e32 0x7f, v8
	s_cbranch_execz .LBB230_2022
; %bb.2019:                             ;   in Loop: Header=BB230_1574 Depth=1
	v_and_b32_e32 v16, 7, v12
	v_lshrrev_b32_e32 v6, 3, v8
	s_mov_b32 s16, exec_lo
	v_cmpx_gt_u32_e32 8, v8
; %bb.2020:                             ;   in Loop: Header=BB230_1574 Depth=1
	s_delay_alu instid0(VALU_DEP_3) | instskip(NEXT) | instid1(VALU_DEP_1)
	v_clz_i32_u32_e32 v6, v16
	v_min_u32_e32 v6, 32, v6
	s_delay_alu instid0(VALU_DEP_1) | instskip(NEXT) | instid1(VALU_DEP_1)
	v_subrev_nc_u32_e32 v7, 28, v6
	v_lshlrev_b64_e32 v[8:9], v7, v[16:17]
	s_delay_alu instid0(VALU_DEP_1)
	v_dual_sub_nc_u32 v6, 29, v6 :: v_dual_bitop2_b32 v16, 7, v8 bitop3:0x40
; %bb.2021:                             ;   in Loop: Header=BB230_1574 Depth=1
	s_or_b32 exec_lo, exec_lo, s16
	v_lshlrev_b32_e32 v7, 24, v12
	s_delay_alu instid0(VALU_DEP_2) | instskip(NEXT) | instid1(VALU_DEP_3)
	v_lshlrev_b32_e32 v8, 20, v16
	v_lshl_add_u32 v6, v6, 23, 0x3c000000
	s_delay_alu instid0(VALU_DEP_3) | instskip(NEXT) | instid1(VALU_DEP_1)
	v_and_b32_e32 v7, 0x80000000, v7
	v_or3_b32 v16, v8, v7, v6
	s_delay_alu instid0(VALU_DEP_1)
	v_mov_b64_e32 v[6:7], v[16:17]
.LBB230_2022:                           ;   in Loop: Header=BB230_1574 Depth=1
	s_or_b32 exec_lo, exec_lo, s9
.LBB230_2023:                           ;   in Loop: Header=BB230_1574 Depth=1
	s_delay_alu instid0(SALU_CYCLE_1)
	s_or_b32 exec_lo, exec_lo, s8
.LBB230_2024:                           ;   in Loop: Header=BB230_1574 Depth=1
	s_delay_alu instid0(SALU_CYCLE_1) | instskip(SKIP_2) | instid1(VALU_DEP_1)
	s_or_b32 exec_lo, exec_lo, s3
	v_lshrrev_b16 v8, 8, v12
	s_mov_b32 s3, exec_lo
	v_cmpx_ne_u16_e32 0, v8
	s_cbranch_execz .LBB230_2032
; %bb.2025:                             ;   in Loop: Header=BB230_1574 Depth=1
	v_mov_b64_e32 v[0:1], 0x8000000000000000
	s_mov_b32 s8, exec_lo
	v_cmpx_ne_u16_e32 0x80, v8
	s_cbranch_execz .LBB230_2031
; %bb.2026:                             ;   in Loop: Header=BB230_1574 Depth=1
	v_and_b32_e32 v9, 0xffff, v8
	v_mov_b64_e32 v[0:1], 0x7f80000100000000
	s_mov_b32 s9, exec_lo
	s_delay_alu instid0(VALU_DEP_2) | instskip(NEXT) | instid1(VALU_DEP_1)
	v_and_b32_e32 v8, 0x7f, v9
	v_cmpx_ne_u32_e32 0x7f, v8
	s_cbranch_execz .LBB230_2030
; %bb.2027:                             ;   in Loop: Header=BB230_1574 Depth=1
	v_dual_lshrrev_b32 v0, 3, v8 :: v_dual_bitop2_b32 v16, 7, v9 bitop3:0x40
	s_mov_b32 s16, exec_lo
	v_cmpx_gt_u32_e32 8, v8
; %bb.2028:                             ;   in Loop: Header=BB230_1574 Depth=1
	s_delay_alu instid0(VALU_DEP_2) | instskip(NEXT) | instid1(VALU_DEP_1)
	v_clz_i32_u32_e32 v0, v16
	v_min_u32_e32 v0, 32, v0
	s_delay_alu instid0(VALU_DEP_1) | instskip(SKIP_1) | instid1(VALU_DEP_2)
	v_subrev_nc_u32_e32 v1, 28, v0
	v_sub_nc_u32_e32 v0, 29, v0
	v_lshlrev_b64_e32 v[8:9], v1, v[16:17]
	s_delay_alu instid0(VALU_DEP_1)
	v_and_b32_e32 v16, 7, v8
; %bb.2029:                             ;   in Loop: Header=BB230_1574 Depth=1
	s_or_b32 exec_lo, exec_lo, s16
	v_lshlrev_b32_e32 v1, 16, v12
	s_delay_alu instid0(VALU_DEP_2) | instskip(SKIP_1) | instid1(VALU_DEP_3)
	v_lshlrev_b32_e32 v8, 20, v16
	v_lshl_add_u32 v0, v0, 23, 0x3c000000
	v_and_b32_e32 v1, 0x80000000, v1
	s_delay_alu instid0(VALU_DEP_1)
	v_or3_b32 v1, v8, v1, v0
	v_mov_b32_e32 v0, v17
.LBB230_2030:                           ;   in Loop: Header=BB230_1574 Depth=1
	s_or_b32 exec_lo, exec_lo, s9
.LBB230_2031:                           ;   in Loop: Header=BB230_1574 Depth=1
	s_delay_alu instid0(SALU_CYCLE_1)
	s_or_b32 exec_lo, exec_lo, s8
.LBB230_2032:                           ;   in Loop: Header=BB230_1574 Depth=1
	s_delay_alu instid0(SALU_CYCLE_1) | instskip(SKIP_4) | instid1(VALU_DEP_3)
	s_or_b32 exec_lo, exec_lo, s3
	v_lshrrev_b32_e32 v13, 16, v12
	v_mov_b64_e32 v[8:9], 0
	v_mov_b64_e32 v[10:11], 0
	s_mov_b32 s3, exec_lo
	v_and_b32_e32 v14, 0xff, v13
	s_delay_alu instid0(VALU_DEP_1)
	v_cmpx_ne_u16_e32 0, v14
	s_cbranch_execz .LBB230_2040
; %bb.2033:                             ;   in Loop: Header=BB230_1574 Depth=1
	v_mov_b64_e32 v[10:11], 0x80000000
	s_mov_b32 s8, exec_lo
	v_cmpx_ne_u16_e32 0x80, v14
	s_cbranch_execz .LBB230_2039
; %bb.2034:                             ;   in Loop: Header=BB230_1574 Depth=1
	v_mov_b64_e32 v[10:11], 0x7f800001
	v_bfe_u32 v14, v12, 16, 7
	s_mov_b32 s9, exec_lo
	s_delay_alu instid0(VALU_DEP_1)
	v_cmpx_ne_u32_e32 0x7f, v14
	s_cbranch_execz .LBB230_2038
; %bb.2035:                             ;   in Loop: Header=BB230_1574 Depth=1
	v_dual_lshrrev_b32 v10, 3, v14 :: v_dual_bitop2_b32 v16, 7, v13 bitop3:0x40
	s_mov_b32 s16, exec_lo
	v_cmpx_gt_u32_e32 8, v14
; %bb.2036:                             ;   in Loop: Header=BB230_1574 Depth=1
	s_delay_alu instid0(VALU_DEP_2) | instskip(NEXT) | instid1(VALU_DEP_1)
	v_clz_i32_u32_e32 v10, v16
	v_min_u32_e32 v10, 32, v10
	s_delay_alu instid0(VALU_DEP_1) | instskip(SKIP_1) | instid1(VALU_DEP_2)
	v_subrev_nc_u32_e32 v11, 28, v10
	v_sub_nc_u32_e32 v10, 29, v10
	v_lshlrev_b64_e32 v[14:15], v11, v[16:17]
	s_delay_alu instid0(VALU_DEP_1)
	v_and_b32_e32 v16, 7, v14
; %bb.2037:                             ;   in Loop: Header=BB230_1574 Depth=1
	s_or_b32 exec_lo, exec_lo, s16
	s_delay_alu instid0(VALU_DEP_1) | instskip(SKIP_1) | instid1(VALU_DEP_2)
	v_dual_lshlrev_b32 v11, 24, v13 :: v_dual_lshlrev_b32 v13, 20, v16
	v_lshl_add_u32 v10, v10, 23, 0x3c000000
	v_and_b32_e32 v11, 0x80000000, v11
	s_delay_alu instid0(VALU_DEP_1) | instskip(NEXT) | instid1(VALU_DEP_1)
	v_or3_b32 v16, v13, v11, v10
	v_mov_b64_e32 v[10:11], v[16:17]
.LBB230_2038:                           ;   in Loop: Header=BB230_1574 Depth=1
	s_or_b32 exec_lo, exec_lo, s9
.LBB230_2039:                           ;   in Loop: Header=BB230_1574 Depth=1
	s_delay_alu instid0(SALU_CYCLE_1)
	s_or_b32 exec_lo, exec_lo, s8
.LBB230_2040:                           ;   in Loop: Header=BB230_1574 Depth=1
	s_delay_alu instid0(SALU_CYCLE_1) | instskip(NEXT) | instid1(SALU_CYCLE_1)
	s_or_b32 exec_lo, exec_lo, s3
	s_mov_b32 s3, exec_lo
	v_cmpx_lt_u32_e32 0xffffff, v12
	s_cbranch_execz .LBB230_2048
; %bb.2041:                             ;   in Loop: Header=BB230_1574 Depth=1
	v_mov_b64_e32 v[8:9], 0x8000000000000000
	v_lshrrev_b32_e32 v13, 24, v12
	s_mov_b32 s8, exec_lo
	s_delay_alu instid0(VALU_DEP_1)
	v_cmpx_ne_u32_e32 0x80, v13
	s_cbranch_execz .LBB230_2047
; %bb.2042:                             ;   in Loop: Header=BB230_1574 Depth=1
	v_mov_b64_e32 v[8:9], 0x7f80000100000000
	v_bfe_u32 v12, v12, 24, 7
	s_mov_b32 s9, exec_lo
	s_delay_alu instid0(VALU_DEP_1)
	v_cmpx_ne_u32_e32 0x7f, v12
	s_cbranch_execz .LBB230_2046
; %bb.2043:                             ;   in Loop: Header=BB230_1574 Depth=1
	v_dual_lshrrev_b32 v8, 3, v12 :: v_dual_bitop2_b32 v16, 7, v13 bitop3:0x40
	s_mov_b32 s16, exec_lo
	v_cmpx_gt_u32_e32 8, v12
; %bb.2044:                             ;   in Loop: Header=BB230_1574 Depth=1
	s_delay_alu instid0(VALU_DEP_2) | instskip(NEXT) | instid1(VALU_DEP_1)
	v_clz_i32_u32_e32 v8, v16
	v_min_u32_e32 v8, 32, v8
	s_delay_alu instid0(VALU_DEP_1) | instskip(NEXT) | instid1(VALU_DEP_1)
	v_subrev_nc_u32_e32 v9, 28, v8
	v_lshlrev_b64_e32 v[14:15], v9, v[16:17]
	s_delay_alu instid0(VALU_DEP_1)
	v_dual_sub_nc_u32 v8, 29, v8 :: v_dual_bitop2_b32 v16, 7, v14 bitop3:0x40
; %bb.2045:                             ;   in Loop: Header=BB230_1574 Depth=1
	s_or_b32 exec_lo, exec_lo, s16
	s_delay_alu instid0(VALU_DEP_1) | instskip(NEXT) | instid1(VALU_DEP_2)
	v_dual_lshlrev_b32 v9, 24, v13 :: v_dual_lshlrev_b32 v12, 20, v16
	v_lshl_add_u32 v8, v8, 23, 0x3c000000
	s_delay_alu instid0(VALU_DEP_2) | instskip(NEXT) | instid1(VALU_DEP_1)
	v_and_b32_e32 v9, 0x80000000, v9
	v_or3_b32 v9, v12, v9, v8
	v_mov_b32_e32 v8, v17
.LBB230_2046:                           ;   in Loop: Header=BB230_1574 Depth=1
	s_or_b32 exec_lo, exec_lo, s9
.LBB230_2047:                           ;   in Loop: Header=BB230_1574 Depth=1
	s_delay_alu instid0(SALU_CYCLE_1)
	s_or_b32 exec_lo, exec_lo, s8
.LBB230_2048:                           ;   in Loop: Header=BB230_1574 Depth=1
	s_delay_alu instid0(SALU_CYCLE_1) | instskip(SKIP_4) | instid1(VALU_DEP_3)
	s_or_b32 exec_lo, exec_lo, s3
	v_or_b32_e32 v1, v1, v7
	v_or_b32_e32 v0, v0, v6
	;; [unrolled: 1-line block ×4, first 2 shown]
	v_pk_mul_f32 v[0:1], v[70:71], v[0:1]
	scratch_store_b64 off, v[0:1], s32 offset:420 ; 8-byte Folded Spill
	s_wait_xcnt 0x0
	v_pk_mul_f32 v[0:1], v[70:71], v[6:7]
	scratch_store_b64 off, v[0:1], s32 offset:412 ; 8-byte Folded Spill
	s_wait_xcnt 0x0
	s_and_saveexec_b32 s3, vcc_lo
	s_cbranch_execz .LBB230_2050
; %bb.2049:                             ;   in Loop: Header=BB230_1574 Depth=1
	s_clause 0x1
	scratch_load_b64 v[0:1], off, s32 offset:200
	scratch_load_b64 v[6:7], off, s32 offset:420 th:TH_LOAD_LU
	s_wait_loadcnt 0x1
	v_cmp_lt_i32_e64 s0, v18, v0
	s_wait_loadcnt 0x0
	s_delay_alu instid0(VALU_DEP_1) | instskip(SKIP_1) | instid1(VALU_DEP_1)
	v_cndmask_b32_e64 v6, 0, v6, s0
	v_cmp_lt_i32_e64 s0, v19, v0
	v_cndmask_b32_e64 v7, 0, v7, s0
	v_cmp_lt_i32_e64 s0, v21, v0
	s_clause 0x1
	scratch_store_b64 off, v[6:7], s32 offset:420
	scratch_load_b64 v[6:7], off, s32 offset:412 th:TH_LOAD_LU
	s_wait_loadcnt 0x0
	v_cndmask_b32_e64 v6, 0, v6, s0
	v_cmp_lt_i32_e64 s0, v20, v0
	s_delay_alu instid0(VALU_DEP_1)
	v_cndmask_b32_e64 v7, 0, v7, s0
	scratch_store_b64 off, v[6:7], s32 offset:412 ; 8-byte Folded Spill
.LBB230_2050:                           ;   in Loop: Header=BB230_1574 Depth=1
	s_wait_xcnt 0x0
	s_or_b32 exec_lo, exec_lo, s3
	flat_load_b32 v12, v[116:117] offset:1792
	v_mov_b64_e32 v[0:1], 0
	v_mov_b64_e32 v[6:7], 0
	s_mov_b32 s3, exec_lo
	s_wait_loadcnt_dscnt 0x0
	v_and_b32_e32 v8, 0xff, v12
	s_wait_xcnt 0x0
	s_delay_alu instid0(VALU_DEP_1)
	v_cmpx_ne_u16_e32 0, v8
	s_cbranch_execz .LBB230_2058
; %bb.2051:                             ;   in Loop: Header=BB230_1574 Depth=1
	v_mov_b64_e32 v[6:7], 0x80000000
	s_mov_b32 s8, exec_lo
	v_cmpx_ne_u16_e32 0x80, v8
	s_cbranch_execz .LBB230_2057
; %bb.2052:                             ;   in Loop: Header=BB230_1574 Depth=1
	v_mov_b64_e32 v[6:7], 0x7f800001
	v_and_b32_e32 v8, 0x7f, v12
	s_mov_b32 s9, exec_lo
	s_delay_alu instid0(VALU_DEP_1)
	v_cmpx_ne_u32_e32 0x7f, v8
	s_cbranch_execz .LBB230_2056
; %bb.2053:                             ;   in Loop: Header=BB230_1574 Depth=1
	v_and_b32_e32 v16, 7, v12
	v_lshrrev_b32_e32 v6, 3, v8
	s_mov_b32 s16, exec_lo
	v_cmpx_gt_u32_e32 8, v8
; %bb.2054:                             ;   in Loop: Header=BB230_1574 Depth=1
	s_delay_alu instid0(VALU_DEP_3) | instskip(NEXT) | instid1(VALU_DEP_1)
	v_clz_i32_u32_e32 v6, v16
	v_min_u32_e32 v6, 32, v6
	s_delay_alu instid0(VALU_DEP_1) | instskip(NEXT) | instid1(VALU_DEP_1)
	v_subrev_nc_u32_e32 v7, 28, v6
	v_lshlrev_b64_e32 v[8:9], v7, v[16:17]
	s_delay_alu instid0(VALU_DEP_1)
	v_dual_sub_nc_u32 v6, 29, v6 :: v_dual_bitop2_b32 v16, 7, v8 bitop3:0x40
; %bb.2055:                             ;   in Loop: Header=BB230_1574 Depth=1
	s_or_b32 exec_lo, exec_lo, s16
	v_lshlrev_b32_e32 v7, 24, v12
	s_delay_alu instid0(VALU_DEP_2) | instskip(NEXT) | instid1(VALU_DEP_3)
	v_lshlrev_b32_e32 v8, 20, v16
	v_lshl_add_u32 v6, v6, 23, 0x3c000000
	s_delay_alu instid0(VALU_DEP_3) | instskip(NEXT) | instid1(VALU_DEP_1)
	v_and_b32_e32 v7, 0x80000000, v7
	v_or3_b32 v16, v8, v7, v6
	s_delay_alu instid0(VALU_DEP_1)
	v_mov_b64_e32 v[6:7], v[16:17]
.LBB230_2056:                           ;   in Loop: Header=BB230_1574 Depth=1
	s_or_b32 exec_lo, exec_lo, s9
.LBB230_2057:                           ;   in Loop: Header=BB230_1574 Depth=1
	s_delay_alu instid0(SALU_CYCLE_1)
	s_or_b32 exec_lo, exec_lo, s8
.LBB230_2058:                           ;   in Loop: Header=BB230_1574 Depth=1
	s_delay_alu instid0(SALU_CYCLE_1) | instskip(SKIP_2) | instid1(VALU_DEP_1)
	s_or_b32 exec_lo, exec_lo, s3
	v_lshrrev_b16 v8, 8, v12
	s_mov_b32 s3, exec_lo
	v_cmpx_ne_u16_e32 0, v8
	s_cbranch_execz .LBB230_2066
; %bb.2059:                             ;   in Loop: Header=BB230_1574 Depth=1
	v_mov_b64_e32 v[0:1], 0x8000000000000000
	s_mov_b32 s8, exec_lo
	v_cmpx_ne_u16_e32 0x80, v8
	s_cbranch_execz .LBB230_2065
; %bb.2060:                             ;   in Loop: Header=BB230_1574 Depth=1
	v_and_b32_e32 v9, 0xffff, v8
	v_mov_b64_e32 v[0:1], 0x7f80000100000000
	s_mov_b32 s9, exec_lo
	s_delay_alu instid0(VALU_DEP_2) | instskip(NEXT) | instid1(VALU_DEP_1)
	v_and_b32_e32 v8, 0x7f, v9
	v_cmpx_ne_u32_e32 0x7f, v8
	s_cbranch_execz .LBB230_2064
; %bb.2061:                             ;   in Loop: Header=BB230_1574 Depth=1
	v_dual_lshrrev_b32 v0, 3, v8 :: v_dual_bitop2_b32 v16, 7, v9 bitop3:0x40
	s_mov_b32 s16, exec_lo
	v_cmpx_gt_u32_e32 8, v8
; %bb.2062:                             ;   in Loop: Header=BB230_1574 Depth=1
	s_delay_alu instid0(VALU_DEP_2) | instskip(NEXT) | instid1(VALU_DEP_1)
	v_clz_i32_u32_e32 v0, v16
	v_min_u32_e32 v0, 32, v0
	s_delay_alu instid0(VALU_DEP_1) | instskip(SKIP_1) | instid1(VALU_DEP_2)
	v_subrev_nc_u32_e32 v1, 28, v0
	v_sub_nc_u32_e32 v0, 29, v0
	v_lshlrev_b64_e32 v[8:9], v1, v[16:17]
	s_delay_alu instid0(VALU_DEP_1)
	v_and_b32_e32 v16, 7, v8
; %bb.2063:                             ;   in Loop: Header=BB230_1574 Depth=1
	s_or_b32 exec_lo, exec_lo, s16
	v_lshlrev_b32_e32 v1, 16, v12
	s_delay_alu instid0(VALU_DEP_2) | instskip(SKIP_1) | instid1(VALU_DEP_3)
	v_lshlrev_b32_e32 v8, 20, v16
	v_lshl_add_u32 v0, v0, 23, 0x3c000000
	v_and_b32_e32 v1, 0x80000000, v1
	s_delay_alu instid0(VALU_DEP_1)
	v_or3_b32 v1, v8, v1, v0
	v_mov_b32_e32 v0, v17
.LBB230_2064:                           ;   in Loop: Header=BB230_1574 Depth=1
	s_or_b32 exec_lo, exec_lo, s9
.LBB230_2065:                           ;   in Loop: Header=BB230_1574 Depth=1
	s_delay_alu instid0(SALU_CYCLE_1)
	s_or_b32 exec_lo, exec_lo, s8
.LBB230_2066:                           ;   in Loop: Header=BB230_1574 Depth=1
	s_delay_alu instid0(SALU_CYCLE_1) | instskip(SKIP_4) | instid1(VALU_DEP_3)
	s_or_b32 exec_lo, exec_lo, s3
	v_lshrrev_b32_e32 v13, 16, v12
	v_mov_b64_e32 v[8:9], 0
	v_mov_b64_e32 v[10:11], 0
	s_mov_b32 s3, exec_lo
	v_and_b32_e32 v14, 0xff, v13
	s_delay_alu instid0(VALU_DEP_1)
	v_cmpx_ne_u16_e32 0, v14
	s_cbranch_execz .LBB230_2074
; %bb.2067:                             ;   in Loop: Header=BB230_1574 Depth=1
	v_mov_b64_e32 v[10:11], 0x80000000
	s_mov_b32 s8, exec_lo
	v_cmpx_ne_u16_e32 0x80, v14
	s_cbranch_execz .LBB230_2073
; %bb.2068:                             ;   in Loop: Header=BB230_1574 Depth=1
	v_mov_b64_e32 v[10:11], 0x7f800001
	v_bfe_u32 v14, v12, 16, 7
	s_mov_b32 s9, exec_lo
	s_delay_alu instid0(VALU_DEP_1)
	v_cmpx_ne_u32_e32 0x7f, v14
	s_cbranch_execz .LBB230_2072
; %bb.2069:                             ;   in Loop: Header=BB230_1574 Depth=1
	v_dual_lshrrev_b32 v10, 3, v14 :: v_dual_bitop2_b32 v16, 7, v13 bitop3:0x40
	s_mov_b32 s16, exec_lo
	v_cmpx_gt_u32_e32 8, v14
; %bb.2070:                             ;   in Loop: Header=BB230_1574 Depth=1
	s_delay_alu instid0(VALU_DEP_2) | instskip(NEXT) | instid1(VALU_DEP_1)
	v_clz_i32_u32_e32 v10, v16
	v_min_u32_e32 v10, 32, v10
	s_delay_alu instid0(VALU_DEP_1) | instskip(SKIP_1) | instid1(VALU_DEP_2)
	v_subrev_nc_u32_e32 v11, 28, v10
	v_sub_nc_u32_e32 v10, 29, v10
	v_lshlrev_b64_e32 v[14:15], v11, v[16:17]
	s_delay_alu instid0(VALU_DEP_1)
	v_and_b32_e32 v16, 7, v14
; %bb.2071:                             ;   in Loop: Header=BB230_1574 Depth=1
	s_or_b32 exec_lo, exec_lo, s16
	s_delay_alu instid0(VALU_DEP_1) | instskip(SKIP_1) | instid1(VALU_DEP_2)
	v_dual_lshlrev_b32 v11, 24, v13 :: v_dual_lshlrev_b32 v13, 20, v16
	v_lshl_add_u32 v10, v10, 23, 0x3c000000
	v_and_b32_e32 v11, 0x80000000, v11
	s_delay_alu instid0(VALU_DEP_1) | instskip(NEXT) | instid1(VALU_DEP_1)
	v_or3_b32 v16, v13, v11, v10
	v_mov_b64_e32 v[10:11], v[16:17]
.LBB230_2072:                           ;   in Loop: Header=BB230_1574 Depth=1
	s_or_b32 exec_lo, exec_lo, s9
.LBB230_2073:                           ;   in Loop: Header=BB230_1574 Depth=1
	s_delay_alu instid0(SALU_CYCLE_1)
	s_or_b32 exec_lo, exec_lo, s8
.LBB230_2074:                           ;   in Loop: Header=BB230_1574 Depth=1
	s_delay_alu instid0(SALU_CYCLE_1) | instskip(NEXT) | instid1(SALU_CYCLE_1)
	s_or_b32 exec_lo, exec_lo, s3
	s_mov_b32 s3, exec_lo
	v_cmpx_lt_u32_e32 0xffffff, v12
	s_cbranch_execz .LBB230_2082
; %bb.2075:                             ;   in Loop: Header=BB230_1574 Depth=1
	v_mov_b64_e32 v[8:9], 0x8000000000000000
	v_lshrrev_b32_e32 v13, 24, v12
	s_mov_b32 s8, exec_lo
	s_delay_alu instid0(VALU_DEP_1)
	v_cmpx_ne_u32_e32 0x80, v13
	s_cbranch_execz .LBB230_2081
; %bb.2076:                             ;   in Loop: Header=BB230_1574 Depth=1
	v_mov_b64_e32 v[8:9], 0x7f80000100000000
	v_bfe_u32 v12, v12, 24, 7
	s_mov_b32 s9, exec_lo
	s_delay_alu instid0(VALU_DEP_1)
	v_cmpx_ne_u32_e32 0x7f, v12
	s_cbranch_execz .LBB230_2080
; %bb.2077:                             ;   in Loop: Header=BB230_1574 Depth=1
	v_dual_lshrrev_b32 v8, 3, v12 :: v_dual_bitop2_b32 v16, 7, v13 bitop3:0x40
	s_mov_b32 s16, exec_lo
	v_cmpx_gt_u32_e32 8, v12
; %bb.2078:                             ;   in Loop: Header=BB230_1574 Depth=1
	s_delay_alu instid0(VALU_DEP_2) | instskip(NEXT) | instid1(VALU_DEP_1)
	v_clz_i32_u32_e32 v8, v16
	v_min_u32_e32 v8, 32, v8
	s_delay_alu instid0(VALU_DEP_1) | instskip(NEXT) | instid1(VALU_DEP_1)
	v_subrev_nc_u32_e32 v9, 28, v8
	v_lshlrev_b64_e32 v[14:15], v9, v[16:17]
	s_delay_alu instid0(VALU_DEP_1)
	v_dual_sub_nc_u32 v8, 29, v8 :: v_dual_bitop2_b32 v16, 7, v14 bitop3:0x40
; %bb.2079:                             ;   in Loop: Header=BB230_1574 Depth=1
	s_or_b32 exec_lo, exec_lo, s16
	s_delay_alu instid0(VALU_DEP_1) | instskip(NEXT) | instid1(VALU_DEP_2)
	v_dual_lshlrev_b32 v9, 24, v13 :: v_dual_lshlrev_b32 v12, 20, v16
	v_lshl_add_u32 v8, v8, 23, 0x3c000000
	s_delay_alu instid0(VALU_DEP_2) | instskip(NEXT) | instid1(VALU_DEP_1)
	v_and_b32_e32 v9, 0x80000000, v9
	v_or3_b32 v9, v12, v9, v8
	v_mov_b32_e32 v8, v17
.LBB230_2080:                           ;   in Loop: Header=BB230_1574 Depth=1
	s_or_b32 exec_lo, exec_lo, s9
.LBB230_2081:                           ;   in Loop: Header=BB230_1574 Depth=1
	s_delay_alu instid0(SALU_CYCLE_1)
	s_or_b32 exec_lo, exec_lo, s8
.LBB230_2082:                           ;   in Loop: Header=BB230_1574 Depth=1
	s_delay_alu instid0(SALU_CYCLE_1) | instskip(SKIP_4) | instid1(VALU_DEP_3)
	s_or_b32 exec_lo, exec_lo, s3
	v_or_b32_e32 v1, v1, v7
	v_or_b32_e32 v0, v0, v6
	;; [unrolled: 1-line block ×4, first 2 shown]
	v_pk_mul_f32 v[0:1], v[70:71], v[0:1]
	scratch_store_b64 off, v[0:1], s32 offset:436 ; 8-byte Folded Spill
	s_wait_xcnt 0x0
	v_pk_mul_f32 v[0:1], v[70:71], v[6:7]
	scratch_store_b64 off, v[0:1], s32 offset:428 ; 8-byte Folded Spill
	s_wait_xcnt 0x0
	s_and_saveexec_b32 s3, vcc_lo
	s_cbranch_execz .LBB230_2084
; %bb.2083:                             ;   in Loop: Header=BB230_1574 Depth=1
	s_clause 0x1
	scratch_load_b64 v[0:1], off, s32 offset:200
	scratch_load_b64 v[6:7], off, s32 offset:436 th:TH_LOAD_LU
	s_wait_loadcnt 0x1
	v_cmp_lt_i32_e64 s0, v18, v0
	s_wait_loadcnt 0x0
	s_delay_alu instid0(VALU_DEP_1) | instskip(SKIP_1) | instid1(VALU_DEP_1)
	v_cndmask_b32_e64 v6, 0, v6, s0
	v_cmp_lt_i32_e64 s0, v19, v0
	v_cndmask_b32_e64 v7, 0, v7, s0
	v_cmp_lt_i32_e64 s0, v21, v0
	s_clause 0x1
	scratch_store_b64 off, v[6:7], s32 offset:436
	scratch_load_b64 v[6:7], off, s32 offset:428 th:TH_LOAD_LU
	s_wait_loadcnt 0x0
	v_cndmask_b32_e64 v6, 0, v6, s0
	v_cmp_lt_i32_e64 s0, v20, v0
	s_delay_alu instid0(VALU_DEP_1)
	v_cndmask_b32_e64 v7, 0, v7, s0
	scratch_store_b64 off, v[6:7], s32 offset:428 ; 8-byte Folded Spill
.LBB230_2084:                           ;   in Loop: Header=BB230_1574 Depth=1
	s_wait_xcnt 0x0
	s_or_b32 exec_lo, exec_lo, s3
	flat_load_b32 v12, v[116:117] offset:1920
	v_mov_b64_e32 v[0:1], 0
	v_mov_b64_e32 v[6:7], 0
	s_mov_b32 s3, exec_lo
	s_wait_loadcnt_dscnt 0x0
	v_and_b32_e32 v8, 0xff, v12
	s_wait_xcnt 0x0
	s_delay_alu instid0(VALU_DEP_1)
	v_cmpx_ne_u16_e32 0, v8
	s_cbranch_execz .LBB230_2092
; %bb.2085:                             ;   in Loop: Header=BB230_1574 Depth=1
	v_mov_b64_e32 v[6:7], 0x80000000
	s_mov_b32 s8, exec_lo
	v_cmpx_ne_u16_e32 0x80, v8
	s_cbranch_execz .LBB230_2091
; %bb.2086:                             ;   in Loop: Header=BB230_1574 Depth=1
	v_mov_b64_e32 v[6:7], 0x7f800001
	v_and_b32_e32 v8, 0x7f, v12
	s_mov_b32 s9, exec_lo
	s_delay_alu instid0(VALU_DEP_1)
	v_cmpx_ne_u32_e32 0x7f, v8
	s_cbranch_execz .LBB230_2090
; %bb.2087:                             ;   in Loop: Header=BB230_1574 Depth=1
	v_and_b32_e32 v16, 7, v12
	v_lshrrev_b32_e32 v6, 3, v8
	s_mov_b32 s16, exec_lo
	v_cmpx_gt_u32_e32 8, v8
; %bb.2088:                             ;   in Loop: Header=BB230_1574 Depth=1
	s_delay_alu instid0(VALU_DEP_3) | instskip(NEXT) | instid1(VALU_DEP_1)
	v_clz_i32_u32_e32 v6, v16
	v_min_u32_e32 v6, 32, v6
	s_delay_alu instid0(VALU_DEP_1) | instskip(NEXT) | instid1(VALU_DEP_1)
	v_subrev_nc_u32_e32 v7, 28, v6
	v_lshlrev_b64_e32 v[8:9], v7, v[16:17]
	s_delay_alu instid0(VALU_DEP_1)
	v_dual_sub_nc_u32 v6, 29, v6 :: v_dual_bitop2_b32 v16, 7, v8 bitop3:0x40
; %bb.2089:                             ;   in Loop: Header=BB230_1574 Depth=1
	s_or_b32 exec_lo, exec_lo, s16
	v_lshlrev_b32_e32 v7, 24, v12
	s_delay_alu instid0(VALU_DEP_2) | instskip(NEXT) | instid1(VALU_DEP_3)
	v_lshlrev_b32_e32 v8, 20, v16
	v_lshl_add_u32 v6, v6, 23, 0x3c000000
	s_delay_alu instid0(VALU_DEP_3) | instskip(NEXT) | instid1(VALU_DEP_1)
	v_and_b32_e32 v7, 0x80000000, v7
	v_or3_b32 v16, v8, v7, v6
	s_delay_alu instid0(VALU_DEP_1)
	v_mov_b64_e32 v[6:7], v[16:17]
.LBB230_2090:                           ;   in Loop: Header=BB230_1574 Depth=1
	s_or_b32 exec_lo, exec_lo, s9
.LBB230_2091:                           ;   in Loop: Header=BB230_1574 Depth=1
	s_delay_alu instid0(SALU_CYCLE_1)
	s_or_b32 exec_lo, exec_lo, s8
.LBB230_2092:                           ;   in Loop: Header=BB230_1574 Depth=1
	s_delay_alu instid0(SALU_CYCLE_1) | instskip(SKIP_2) | instid1(VALU_DEP_1)
	s_or_b32 exec_lo, exec_lo, s3
	v_lshrrev_b16 v8, 8, v12
	s_mov_b32 s3, exec_lo
	v_cmpx_ne_u16_e32 0, v8
	s_cbranch_execz .LBB230_2100
; %bb.2093:                             ;   in Loop: Header=BB230_1574 Depth=1
	v_mov_b64_e32 v[0:1], 0x8000000000000000
	s_mov_b32 s8, exec_lo
	v_cmpx_ne_u16_e32 0x80, v8
	s_cbranch_execz .LBB230_2099
; %bb.2094:                             ;   in Loop: Header=BB230_1574 Depth=1
	v_and_b32_e32 v9, 0xffff, v8
	v_mov_b64_e32 v[0:1], 0x7f80000100000000
	s_mov_b32 s9, exec_lo
	s_delay_alu instid0(VALU_DEP_2) | instskip(NEXT) | instid1(VALU_DEP_1)
	v_and_b32_e32 v8, 0x7f, v9
	v_cmpx_ne_u32_e32 0x7f, v8
	s_cbranch_execz .LBB230_2098
; %bb.2095:                             ;   in Loop: Header=BB230_1574 Depth=1
	v_dual_lshrrev_b32 v0, 3, v8 :: v_dual_bitop2_b32 v16, 7, v9 bitop3:0x40
	s_mov_b32 s16, exec_lo
	v_cmpx_gt_u32_e32 8, v8
; %bb.2096:                             ;   in Loop: Header=BB230_1574 Depth=1
	s_delay_alu instid0(VALU_DEP_2) | instskip(NEXT) | instid1(VALU_DEP_1)
	v_clz_i32_u32_e32 v0, v16
	v_min_u32_e32 v0, 32, v0
	s_delay_alu instid0(VALU_DEP_1) | instskip(SKIP_1) | instid1(VALU_DEP_2)
	v_subrev_nc_u32_e32 v1, 28, v0
	v_sub_nc_u32_e32 v0, 29, v0
	v_lshlrev_b64_e32 v[8:9], v1, v[16:17]
	s_delay_alu instid0(VALU_DEP_1)
	v_and_b32_e32 v16, 7, v8
; %bb.2097:                             ;   in Loop: Header=BB230_1574 Depth=1
	s_or_b32 exec_lo, exec_lo, s16
	v_lshlrev_b32_e32 v1, 16, v12
	s_delay_alu instid0(VALU_DEP_2) | instskip(SKIP_1) | instid1(VALU_DEP_3)
	v_lshlrev_b32_e32 v8, 20, v16
	v_lshl_add_u32 v0, v0, 23, 0x3c000000
	v_and_b32_e32 v1, 0x80000000, v1
	s_delay_alu instid0(VALU_DEP_1)
	v_or3_b32 v1, v8, v1, v0
	v_mov_b32_e32 v0, v17
.LBB230_2098:                           ;   in Loop: Header=BB230_1574 Depth=1
	s_or_b32 exec_lo, exec_lo, s9
.LBB230_2099:                           ;   in Loop: Header=BB230_1574 Depth=1
	s_delay_alu instid0(SALU_CYCLE_1)
	s_or_b32 exec_lo, exec_lo, s8
.LBB230_2100:                           ;   in Loop: Header=BB230_1574 Depth=1
	s_delay_alu instid0(SALU_CYCLE_1) | instskip(SKIP_4) | instid1(VALU_DEP_3)
	s_or_b32 exec_lo, exec_lo, s3
	v_lshrrev_b32_e32 v13, 16, v12
	v_mov_b64_e32 v[8:9], 0
	v_mov_b64_e32 v[10:11], 0
	s_mov_b32 s3, exec_lo
	v_and_b32_e32 v14, 0xff, v13
	s_delay_alu instid0(VALU_DEP_1)
	v_cmpx_ne_u16_e32 0, v14
	s_cbranch_execz .LBB230_2108
; %bb.2101:                             ;   in Loop: Header=BB230_1574 Depth=1
	v_mov_b64_e32 v[10:11], 0x80000000
	s_mov_b32 s8, exec_lo
	v_cmpx_ne_u16_e32 0x80, v14
	s_cbranch_execz .LBB230_2107
; %bb.2102:                             ;   in Loop: Header=BB230_1574 Depth=1
	v_mov_b64_e32 v[10:11], 0x7f800001
	v_bfe_u32 v14, v12, 16, 7
	s_mov_b32 s9, exec_lo
	s_delay_alu instid0(VALU_DEP_1)
	v_cmpx_ne_u32_e32 0x7f, v14
	s_cbranch_execz .LBB230_2106
; %bb.2103:                             ;   in Loop: Header=BB230_1574 Depth=1
	v_dual_lshrrev_b32 v10, 3, v14 :: v_dual_bitop2_b32 v16, 7, v13 bitop3:0x40
	s_mov_b32 s16, exec_lo
	v_cmpx_gt_u32_e32 8, v14
; %bb.2104:                             ;   in Loop: Header=BB230_1574 Depth=1
	s_delay_alu instid0(VALU_DEP_2) | instskip(NEXT) | instid1(VALU_DEP_1)
	v_clz_i32_u32_e32 v10, v16
	v_min_u32_e32 v10, 32, v10
	s_delay_alu instid0(VALU_DEP_1) | instskip(SKIP_1) | instid1(VALU_DEP_2)
	v_subrev_nc_u32_e32 v11, 28, v10
	v_sub_nc_u32_e32 v10, 29, v10
	v_lshlrev_b64_e32 v[14:15], v11, v[16:17]
	s_delay_alu instid0(VALU_DEP_1)
	v_and_b32_e32 v16, 7, v14
; %bb.2105:                             ;   in Loop: Header=BB230_1574 Depth=1
	s_or_b32 exec_lo, exec_lo, s16
	s_delay_alu instid0(VALU_DEP_1) | instskip(SKIP_1) | instid1(VALU_DEP_2)
	v_dual_lshlrev_b32 v11, 24, v13 :: v_dual_lshlrev_b32 v13, 20, v16
	v_lshl_add_u32 v10, v10, 23, 0x3c000000
	v_and_b32_e32 v11, 0x80000000, v11
	s_delay_alu instid0(VALU_DEP_1) | instskip(NEXT) | instid1(VALU_DEP_1)
	v_or3_b32 v16, v13, v11, v10
	v_mov_b64_e32 v[10:11], v[16:17]
.LBB230_2106:                           ;   in Loop: Header=BB230_1574 Depth=1
	s_or_b32 exec_lo, exec_lo, s9
.LBB230_2107:                           ;   in Loop: Header=BB230_1574 Depth=1
	s_delay_alu instid0(SALU_CYCLE_1)
	s_or_b32 exec_lo, exec_lo, s8
.LBB230_2108:                           ;   in Loop: Header=BB230_1574 Depth=1
	s_delay_alu instid0(SALU_CYCLE_1) | instskip(NEXT) | instid1(SALU_CYCLE_1)
	s_or_b32 exec_lo, exec_lo, s3
	s_mov_b32 s3, exec_lo
	v_cmpx_lt_u32_e32 0xffffff, v12
	s_cbranch_execz .LBB230_2116
; %bb.2109:                             ;   in Loop: Header=BB230_1574 Depth=1
	v_mov_b64_e32 v[8:9], 0x8000000000000000
	v_lshrrev_b32_e32 v13, 24, v12
	s_mov_b32 s8, exec_lo
	s_delay_alu instid0(VALU_DEP_1)
	v_cmpx_ne_u32_e32 0x80, v13
	s_cbranch_execz .LBB230_2115
; %bb.2110:                             ;   in Loop: Header=BB230_1574 Depth=1
	v_mov_b64_e32 v[8:9], 0x7f80000100000000
	v_bfe_u32 v12, v12, 24, 7
	s_mov_b32 s9, exec_lo
	s_delay_alu instid0(VALU_DEP_1)
	v_cmpx_ne_u32_e32 0x7f, v12
	s_cbranch_execz .LBB230_2114
; %bb.2111:                             ;   in Loop: Header=BB230_1574 Depth=1
	v_dual_lshrrev_b32 v8, 3, v12 :: v_dual_bitop2_b32 v16, 7, v13 bitop3:0x40
	s_mov_b32 s16, exec_lo
	v_cmpx_gt_u32_e32 8, v12
; %bb.2112:                             ;   in Loop: Header=BB230_1574 Depth=1
	s_delay_alu instid0(VALU_DEP_2) | instskip(NEXT) | instid1(VALU_DEP_1)
	v_clz_i32_u32_e32 v8, v16
	v_min_u32_e32 v8, 32, v8
	s_delay_alu instid0(VALU_DEP_1) | instskip(NEXT) | instid1(VALU_DEP_1)
	v_subrev_nc_u32_e32 v9, 28, v8
	v_lshlrev_b64_e32 v[14:15], v9, v[16:17]
	s_delay_alu instid0(VALU_DEP_1)
	v_dual_sub_nc_u32 v8, 29, v8 :: v_dual_bitop2_b32 v16, 7, v14 bitop3:0x40
; %bb.2113:                             ;   in Loop: Header=BB230_1574 Depth=1
	s_or_b32 exec_lo, exec_lo, s16
	s_delay_alu instid0(VALU_DEP_1) | instskip(NEXT) | instid1(VALU_DEP_2)
	v_dual_lshlrev_b32 v9, 24, v13 :: v_dual_lshlrev_b32 v12, 20, v16
	v_lshl_add_u32 v8, v8, 23, 0x3c000000
	s_delay_alu instid0(VALU_DEP_2) | instskip(NEXT) | instid1(VALU_DEP_1)
	v_and_b32_e32 v9, 0x80000000, v9
	v_or3_b32 v9, v12, v9, v8
	v_mov_b32_e32 v8, v17
.LBB230_2114:                           ;   in Loop: Header=BB230_1574 Depth=1
	s_or_b32 exec_lo, exec_lo, s9
.LBB230_2115:                           ;   in Loop: Header=BB230_1574 Depth=1
	s_delay_alu instid0(SALU_CYCLE_1)
	s_or_b32 exec_lo, exec_lo, s8
.LBB230_2116:                           ;   in Loop: Header=BB230_1574 Depth=1
	s_delay_alu instid0(SALU_CYCLE_1) | instskip(SKIP_4) | instid1(VALU_DEP_3)
	s_or_b32 exec_lo, exec_lo, s3
	v_or_b32_e32 v1, v1, v7
	v_or_b32_e32 v0, v0, v6
	;; [unrolled: 1-line block ×4, first 2 shown]
	v_pk_mul_f32 v[0:1], v[70:71], v[0:1]
	scratch_store_b64 off, v[0:1], s32 offset:452 ; 8-byte Folded Spill
	s_wait_xcnt 0x0
	v_pk_mul_f32 v[0:1], v[70:71], v[6:7]
	scratch_store_b64 off, v[0:1], s32 offset:444 ; 8-byte Folded Spill
	s_wait_xcnt 0x0
	s_and_saveexec_b32 s3, vcc_lo
	s_cbranch_execz .LBB230_2118
; %bb.2117:                             ;   in Loop: Header=BB230_1574 Depth=1
	s_clause 0x1
	scratch_load_b64 v[0:1], off, s32 offset:200
	scratch_load_b64 v[6:7], off, s32 offset:452 th:TH_LOAD_LU
	s_wait_loadcnt 0x1
	v_cmp_lt_i32_e64 s0, v18, v0
	s_wait_loadcnt 0x0
	s_delay_alu instid0(VALU_DEP_1) | instskip(SKIP_1) | instid1(VALU_DEP_1)
	v_cndmask_b32_e64 v6, 0, v6, s0
	v_cmp_lt_i32_e64 s0, v19, v0
	v_cndmask_b32_e64 v7, 0, v7, s0
	v_cmp_lt_i32_e64 s0, v21, v0
	s_clause 0x1
	scratch_store_b64 off, v[6:7], s32 offset:452
	scratch_load_b64 v[6:7], off, s32 offset:444 th:TH_LOAD_LU
	s_wait_loadcnt 0x0
	v_cndmask_b32_e64 v6, 0, v6, s0
	v_cmp_lt_i32_e64 s0, v20, v0
	s_delay_alu instid0(VALU_DEP_1)
	v_cndmask_b32_e64 v7, 0, v7, s0
	scratch_store_b64 off, v[6:7], s32 offset:444 ; 8-byte Folded Spill
.LBB230_2118:                           ;   in Loop: Header=BB230_1574 Depth=1
	s_wait_xcnt 0x0
	s_or_b32 exec_lo, exec_lo, s3
	flat_load_b32 v12, v[116:117] offset:2048
	v_mov_b64_e32 v[0:1], 0
	v_mov_b64_e32 v[6:7], 0
	s_mov_b32 s3, exec_lo
	s_wait_loadcnt_dscnt 0x0
	v_and_b32_e32 v8, 0xff, v12
	s_wait_xcnt 0x0
	s_delay_alu instid0(VALU_DEP_1)
	v_cmpx_ne_u16_e32 0, v8
	s_cbranch_execz .LBB230_2126
; %bb.2119:                             ;   in Loop: Header=BB230_1574 Depth=1
	v_mov_b64_e32 v[6:7], 0x80000000
	s_mov_b32 s8, exec_lo
	v_cmpx_ne_u16_e32 0x80, v8
	s_cbranch_execz .LBB230_2125
; %bb.2120:                             ;   in Loop: Header=BB230_1574 Depth=1
	v_mov_b64_e32 v[6:7], 0x7f800001
	v_and_b32_e32 v8, 0x7f, v12
	s_mov_b32 s9, exec_lo
	s_delay_alu instid0(VALU_DEP_1)
	v_cmpx_ne_u32_e32 0x7f, v8
	s_cbranch_execz .LBB230_2124
; %bb.2121:                             ;   in Loop: Header=BB230_1574 Depth=1
	v_and_b32_e32 v16, 7, v12
	v_lshrrev_b32_e32 v6, 3, v8
	s_mov_b32 s16, exec_lo
	v_cmpx_gt_u32_e32 8, v8
; %bb.2122:                             ;   in Loop: Header=BB230_1574 Depth=1
	s_delay_alu instid0(VALU_DEP_3) | instskip(NEXT) | instid1(VALU_DEP_1)
	v_clz_i32_u32_e32 v6, v16
	v_min_u32_e32 v6, 32, v6
	s_delay_alu instid0(VALU_DEP_1) | instskip(NEXT) | instid1(VALU_DEP_1)
	v_subrev_nc_u32_e32 v7, 28, v6
	v_lshlrev_b64_e32 v[8:9], v7, v[16:17]
	s_delay_alu instid0(VALU_DEP_1)
	v_dual_sub_nc_u32 v6, 29, v6 :: v_dual_bitop2_b32 v16, 7, v8 bitop3:0x40
; %bb.2123:                             ;   in Loop: Header=BB230_1574 Depth=1
	s_or_b32 exec_lo, exec_lo, s16
	v_lshlrev_b32_e32 v7, 24, v12
	s_delay_alu instid0(VALU_DEP_2) | instskip(NEXT) | instid1(VALU_DEP_3)
	v_lshlrev_b32_e32 v8, 20, v16
	v_lshl_add_u32 v6, v6, 23, 0x3c000000
	s_delay_alu instid0(VALU_DEP_3) | instskip(NEXT) | instid1(VALU_DEP_1)
	v_and_b32_e32 v7, 0x80000000, v7
	v_or3_b32 v16, v8, v7, v6
	s_delay_alu instid0(VALU_DEP_1)
	v_mov_b64_e32 v[6:7], v[16:17]
.LBB230_2124:                           ;   in Loop: Header=BB230_1574 Depth=1
	s_or_b32 exec_lo, exec_lo, s9
.LBB230_2125:                           ;   in Loop: Header=BB230_1574 Depth=1
	s_delay_alu instid0(SALU_CYCLE_1)
	s_or_b32 exec_lo, exec_lo, s8
.LBB230_2126:                           ;   in Loop: Header=BB230_1574 Depth=1
	s_delay_alu instid0(SALU_CYCLE_1) | instskip(SKIP_2) | instid1(VALU_DEP_1)
	s_or_b32 exec_lo, exec_lo, s3
	v_lshrrev_b16 v8, 8, v12
	s_mov_b32 s3, exec_lo
	v_cmpx_ne_u16_e32 0, v8
	s_cbranch_execz .LBB230_2134
; %bb.2127:                             ;   in Loop: Header=BB230_1574 Depth=1
	v_mov_b64_e32 v[0:1], 0x8000000000000000
	s_mov_b32 s8, exec_lo
	v_cmpx_ne_u16_e32 0x80, v8
	s_cbranch_execz .LBB230_2133
; %bb.2128:                             ;   in Loop: Header=BB230_1574 Depth=1
	v_and_b32_e32 v9, 0xffff, v8
	v_mov_b64_e32 v[0:1], 0x7f80000100000000
	s_mov_b32 s9, exec_lo
	s_delay_alu instid0(VALU_DEP_2) | instskip(NEXT) | instid1(VALU_DEP_1)
	v_and_b32_e32 v8, 0x7f, v9
	v_cmpx_ne_u32_e32 0x7f, v8
	s_cbranch_execz .LBB230_2132
; %bb.2129:                             ;   in Loop: Header=BB230_1574 Depth=1
	v_dual_lshrrev_b32 v0, 3, v8 :: v_dual_bitop2_b32 v16, 7, v9 bitop3:0x40
	s_mov_b32 s16, exec_lo
	v_cmpx_gt_u32_e32 8, v8
; %bb.2130:                             ;   in Loop: Header=BB230_1574 Depth=1
	s_delay_alu instid0(VALU_DEP_2) | instskip(NEXT) | instid1(VALU_DEP_1)
	v_clz_i32_u32_e32 v0, v16
	v_min_u32_e32 v0, 32, v0
	s_delay_alu instid0(VALU_DEP_1) | instskip(SKIP_1) | instid1(VALU_DEP_2)
	v_subrev_nc_u32_e32 v1, 28, v0
	v_sub_nc_u32_e32 v0, 29, v0
	v_lshlrev_b64_e32 v[8:9], v1, v[16:17]
	s_delay_alu instid0(VALU_DEP_1)
	v_and_b32_e32 v16, 7, v8
; %bb.2131:                             ;   in Loop: Header=BB230_1574 Depth=1
	s_or_b32 exec_lo, exec_lo, s16
	v_lshlrev_b32_e32 v1, 16, v12
	s_delay_alu instid0(VALU_DEP_2) | instskip(SKIP_1) | instid1(VALU_DEP_3)
	v_lshlrev_b32_e32 v8, 20, v16
	v_lshl_add_u32 v0, v0, 23, 0x3c000000
	v_and_b32_e32 v1, 0x80000000, v1
	s_delay_alu instid0(VALU_DEP_1)
	v_or3_b32 v1, v8, v1, v0
	v_mov_b32_e32 v0, v17
.LBB230_2132:                           ;   in Loop: Header=BB230_1574 Depth=1
	s_or_b32 exec_lo, exec_lo, s9
.LBB230_2133:                           ;   in Loop: Header=BB230_1574 Depth=1
	s_delay_alu instid0(SALU_CYCLE_1)
	s_or_b32 exec_lo, exec_lo, s8
.LBB230_2134:                           ;   in Loop: Header=BB230_1574 Depth=1
	s_delay_alu instid0(SALU_CYCLE_1) | instskip(SKIP_4) | instid1(VALU_DEP_3)
	s_or_b32 exec_lo, exec_lo, s3
	v_lshrrev_b32_e32 v13, 16, v12
	v_mov_b64_e32 v[8:9], 0
	v_mov_b64_e32 v[10:11], 0
	s_mov_b32 s3, exec_lo
	v_and_b32_e32 v14, 0xff, v13
	s_delay_alu instid0(VALU_DEP_1)
	v_cmpx_ne_u16_e32 0, v14
	s_cbranch_execz .LBB230_2142
; %bb.2135:                             ;   in Loop: Header=BB230_1574 Depth=1
	v_mov_b64_e32 v[10:11], 0x80000000
	s_mov_b32 s8, exec_lo
	v_cmpx_ne_u16_e32 0x80, v14
	s_cbranch_execz .LBB230_2141
; %bb.2136:                             ;   in Loop: Header=BB230_1574 Depth=1
	v_mov_b64_e32 v[10:11], 0x7f800001
	v_bfe_u32 v14, v12, 16, 7
	s_mov_b32 s9, exec_lo
	s_delay_alu instid0(VALU_DEP_1)
	v_cmpx_ne_u32_e32 0x7f, v14
	s_cbranch_execz .LBB230_2140
; %bb.2137:                             ;   in Loop: Header=BB230_1574 Depth=1
	v_dual_lshrrev_b32 v10, 3, v14 :: v_dual_bitop2_b32 v16, 7, v13 bitop3:0x40
	s_mov_b32 s16, exec_lo
	v_cmpx_gt_u32_e32 8, v14
; %bb.2138:                             ;   in Loop: Header=BB230_1574 Depth=1
	s_delay_alu instid0(VALU_DEP_2) | instskip(NEXT) | instid1(VALU_DEP_1)
	v_clz_i32_u32_e32 v10, v16
	v_min_u32_e32 v10, 32, v10
	s_delay_alu instid0(VALU_DEP_1) | instskip(SKIP_1) | instid1(VALU_DEP_2)
	v_subrev_nc_u32_e32 v11, 28, v10
	v_sub_nc_u32_e32 v10, 29, v10
	v_lshlrev_b64_e32 v[14:15], v11, v[16:17]
	s_delay_alu instid0(VALU_DEP_1)
	v_and_b32_e32 v16, 7, v14
; %bb.2139:                             ;   in Loop: Header=BB230_1574 Depth=1
	s_or_b32 exec_lo, exec_lo, s16
	s_delay_alu instid0(VALU_DEP_1) | instskip(SKIP_1) | instid1(VALU_DEP_2)
	v_dual_lshlrev_b32 v11, 24, v13 :: v_dual_lshlrev_b32 v13, 20, v16
	v_lshl_add_u32 v10, v10, 23, 0x3c000000
	v_and_b32_e32 v11, 0x80000000, v11
	s_delay_alu instid0(VALU_DEP_1) | instskip(NEXT) | instid1(VALU_DEP_1)
	v_or3_b32 v16, v13, v11, v10
	v_mov_b64_e32 v[10:11], v[16:17]
.LBB230_2140:                           ;   in Loop: Header=BB230_1574 Depth=1
	s_or_b32 exec_lo, exec_lo, s9
.LBB230_2141:                           ;   in Loop: Header=BB230_1574 Depth=1
	s_delay_alu instid0(SALU_CYCLE_1)
	s_or_b32 exec_lo, exec_lo, s8
.LBB230_2142:                           ;   in Loop: Header=BB230_1574 Depth=1
	s_delay_alu instid0(SALU_CYCLE_1) | instskip(NEXT) | instid1(SALU_CYCLE_1)
	s_or_b32 exec_lo, exec_lo, s3
	s_mov_b32 s3, exec_lo
	v_cmpx_lt_u32_e32 0xffffff, v12
	s_cbranch_execz .LBB230_2150
; %bb.2143:                             ;   in Loop: Header=BB230_1574 Depth=1
	v_mov_b64_e32 v[8:9], 0x8000000000000000
	v_lshrrev_b32_e32 v13, 24, v12
	s_mov_b32 s8, exec_lo
	s_delay_alu instid0(VALU_DEP_1)
	v_cmpx_ne_u32_e32 0x80, v13
	s_cbranch_execz .LBB230_2149
; %bb.2144:                             ;   in Loop: Header=BB230_1574 Depth=1
	v_mov_b64_e32 v[8:9], 0x7f80000100000000
	v_bfe_u32 v12, v12, 24, 7
	s_mov_b32 s9, exec_lo
	s_delay_alu instid0(VALU_DEP_1)
	v_cmpx_ne_u32_e32 0x7f, v12
	s_cbranch_execz .LBB230_2148
; %bb.2145:                             ;   in Loop: Header=BB230_1574 Depth=1
	v_dual_lshrrev_b32 v8, 3, v12 :: v_dual_bitop2_b32 v16, 7, v13 bitop3:0x40
	s_mov_b32 s16, exec_lo
	v_cmpx_gt_u32_e32 8, v12
; %bb.2146:                             ;   in Loop: Header=BB230_1574 Depth=1
	s_delay_alu instid0(VALU_DEP_2) | instskip(NEXT) | instid1(VALU_DEP_1)
	v_clz_i32_u32_e32 v8, v16
	v_min_u32_e32 v8, 32, v8
	s_delay_alu instid0(VALU_DEP_1) | instskip(NEXT) | instid1(VALU_DEP_1)
	v_subrev_nc_u32_e32 v9, 28, v8
	v_lshlrev_b64_e32 v[14:15], v9, v[16:17]
	s_delay_alu instid0(VALU_DEP_1)
	v_dual_sub_nc_u32 v8, 29, v8 :: v_dual_bitop2_b32 v16, 7, v14 bitop3:0x40
; %bb.2147:                             ;   in Loop: Header=BB230_1574 Depth=1
	s_or_b32 exec_lo, exec_lo, s16
	s_delay_alu instid0(VALU_DEP_1) | instskip(NEXT) | instid1(VALU_DEP_2)
	v_dual_lshlrev_b32 v9, 24, v13 :: v_dual_lshlrev_b32 v12, 20, v16
	v_lshl_add_u32 v8, v8, 23, 0x3c000000
	s_delay_alu instid0(VALU_DEP_2) | instskip(NEXT) | instid1(VALU_DEP_1)
	v_and_b32_e32 v9, 0x80000000, v9
	v_or3_b32 v9, v12, v9, v8
	v_mov_b32_e32 v8, v17
.LBB230_2148:                           ;   in Loop: Header=BB230_1574 Depth=1
	s_or_b32 exec_lo, exec_lo, s9
.LBB230_2149:                           ;   in Loop: Header=BB230_1574 Depth=1
	s_delay_alu instid0(SALU_CYCLE_1)
	s_or_b32 exec_lo, exec_lo, s8
.LBB230_2150:                           ;   in Loop: Header=BB230_1574 Depth=1
	s_delay_alu instid0(SALU_CYCLE_1) | instskip(SKIP_4) | instid1(VALU_DEP_3)
	s_or_b32 exec_lo, exec_lo, s3
	v_or_b32_e32 v1, v1, v7
	v_or_b32_e32 v0, v0, v6
	;; [unrolled: 1-line block ×4, first 2 shown]
	v_pk_mul_f32 v[0:1], v[70:71], v[0:1]
	scratch_store_b64 off, v[0:1], s32 offset:468 ; 8-byte Folded Spill
	s_wait_xcnt 0x0
	v_pk_mul_f32 v[0:1], v[70:71], v[6:7]
	scratch_store_b64 off, v[0:1], s32 offset:460 ; 8-byte Folded Spill
	s_wait_xcnt 0x0
	s_and_saveexec_b32 s3, vcc_lo
	s_cbranch_execz .LBB230_2152
; %bb.2151:                             ;   in Loop: Header=BB230_1574 Depth=1
	s_clause 0x1
	scratch_load_b64 v[0:1], off, s32 offset:200
	scratch_load_b64 v[6:7], off, s32 offset:468 th:TH_LOAD_LU
	s_wait_loadcnt 0x1
	v_cmp_lt_i32_e64 s0, v18, v0
	s_wait_loadcnt 0x0
	s_delay_alu instid0(VALU_DEP_1) | instskip(SKIP_1) | instid1(VALU_DEP_1)
	v_cndmask_b32_e64 v6, 0, v6, s0
	v_cmp_lt_i32_e64 s0, v19, v0
	v_cndmask_b32_e64 v7, 0, v7, s0
	v_cmp_lt_i32_e64 s0, v21, v0
	s_clause 0x1
	scratch_store_b64 off, v[6:7], s32 offset:468
	scratch_load_b64 v[6:7], off, s32 offset:460 th:TH_LOAD_LU
	s_wait_loadcnt 0x0
	v_cndmask_b32_e64 v6, 0, v6, s0
	v_cmp_lt_i32_e64 s0, v20, v0
	s_delay_alu instid0(VALU_DEP_1)
	v_cndmask_b32_e64 v7, 0, v7, s0
	scratch_store_b64 off, v[6:7], s32 offset:460 ; 8-byte Folded Spill
.LBB230_2152:                           ;   in Loop: Header=BB230_1574 Depth=1
	s_wait_xcnt 0x0
	s_or_b32 exec_lo, exec_lo, s3
	flat_load_b32 v12, v[116:117] offset:2176
	v_mov_b64_e32 v[0:1], 0
	v_mov_b64_e32 v[6:7], 0
	s_mov_b32 s3, exec_lo
	s_wait_loadcnt_dscnt 0x0
	v_and_b32_e32 v8, 0xff, v12
	s_wait_xcnt 0x0
	s_delay_alu instid0(VALU_DEP_1)
	v_cmpx_ne_u16_e32 0, v8
	s_cbranch_execz .LBB230_2160
; %bb.2153:                             ;   in Loop: Header=BB230_1574 Depth=1
	v_mov_b64_e32 v[6:7], 0x80000000
	s_mov_b32 s8, exec_lo
	v_cmpx_ne_u16_e32 0x80, v8
	s_cbranch_execz .LBB230_2159
; %bb.2154:                             ;   in Loop: Header=BB230_1574 Depth=1
	v_mov_b64_e32 v[6:7], 0x7f800001
	v_and_b32_e32 v8, 0x7f, v12
	s_mov_b32 s9, exec_lo
	s_delay_alu instid0(VALU_DEP_1)
	v_cmpx_ne_u32_e32 0x7f, v8
	s_cbranch_execz .LBB230_2158
; %bb.2155:                             ;   in Loop: Header=BB230_1574 Depth=1
	v_and_b32_e32 v16, 7, v12
	v_lshrrev_b32_e32 v6, 3, v8
	s_mov_b32 s16, exec_lo
	v_cmpx_gt_u32_e32 8, v8
; %bb.2156:                             ;   in Loop: Header=BB230_1574 Depth=1
	s_delay_alu instid0(VALU_DEP_3) | instskip(NEXT) | instid1(VALU_DEP_1)
	v_clz_i32_u32_e32 v6, v16
	v_min_u32_e32 v6, 32, v6
	s_delay_alu instid0(VALU_DEP_1) | instskip(NEXT) | instid1(VALU_DEP_1)
	v_subrev_nc_u32_e32 v7, 28, v6
	v_lshlrev_b64_e32 v[8:9], v7, v[16:17]
	s_delay_alu instid0(VALU_DEP_1)
	v_dual_sub_nc_u32 v6, 29, v6 :: v_dual_bitop2_b32 v16, 7, v8 bitop3:0x40
; %bb.2157:                             ;   in Loop: Header=BB230_1574 Depth=1
	s_or_b32 exec_lo, exec_lo, s16
	v_lshlrev_b32_e32 v7, 24, v12
	s_delay_alu instid0(VALU_DEP_2) | instskip(NEXT) | instid1(VALU_DEP_3)
	v_lshlrev_b32_e32 v8, 20, v16
	v_lshl_add_u32 v6, v6, 23, 0x3c000000
	s_delay_alu instid0(VALU_DEP_3) | instskip(NEXT) | instid1(VALU_DEP_1)
	v_and_b32_e32 v7, 0x80000000, v7
	v_or3_b32 v16, v8, v7, v6
	s_delay_alu instid0(VALU_DEP_1)
	v_mov_b64_e32 v[6:7], v[16:17]
.LBB230_2158:                           ;   in Loop: Header=BB230_1574 Depth=1
	s_or_b32 exec_lo, exec_lo, s9
.LBB230_2159:                           ;   in Loop: Header=BB230_1574 Depth=1
	s_delay_alu instid0(SALU_CYCLE_1)
	s_or_b32 exec_lo, exec_lo, s8
.LBB230_2160:                           ;   in Loop: Header=BB230_1574 Depth=1
	s_delay_alu instid0(SALU_CYCLE_1) | instskip(SKIP_2) | instid1(VALU_DEP_1)
	s_or_b32 exec_lo, exec_lo, s3
	v_lshrrev_b16 v8, 8, v12
	s_mov_b32 s3, exec_lo
	v_cmpx_ne_u16_e32 0, v8
	s_cbranch_execz .LBB230_2168
; %bb.2161:                             ;   in Loop: Header=BB230_1574 Depth=1
	v_mov_b64_e32 v[0:1], 0x8000000000000000
	s_mov_b32 s8, exec_lo
	v_cmpx_ne_u16_e32 0x80, v8
	s_cbranch_execz .LBB230_2167
; %bb.2162:                             ;   in Loop: Header=BB230_1574 Depth=1
	v_and_b32_e32 v9, 0xffff, v8
	v_mov_b64_e32 v[0:1], 0x7f80000100000000
	s_mov_b32 s9, exec_lo
	s_delay_alu instid0(VALU_DEP_2) | instskip(NEXT) | instid1(VALU_DEP_1)
	v_and_b32_e32 v8, 0x7f, v9
	v_cmpx_ne_u32_e32 0x7f, v8
	s_cbranch_execz .LBB230_2166
; %bb.2163:                             ;   in Loop: Header=BB230_1574 Depth=1
	v_dual_lshrrev_b32 v0, 3, v8 :: v_dual_bitop2_b32 v16, 7, v9 bitop3:0x40
	s_mov_b32 s16, exec_lo
	v_cmpx_gt_u32_e32 8, v8
; %bb.2164:                             ;   in Loop: Header=BB230_1574 Depth=1
	s_delay_alu instid0(VALU_DEP_2) | instskip(NEXT) | instid1(VALU_DEP_1)
	v_clz_i32_u32_e32 v0, v16
	v_min_u32_e32 v0, 32, v0
	s_delay_alu instid0(VALU_DEP_1) | instskip(SKIP_1) | instid1(VALU_DEP_2)
	v_subrev_nc_u32_e32 v1, 28, v0
	v_sub_nc_u32_e32 v0, 29, v0
	v_lshlrev_b64_e32 v[8:9], v1, v[16:17]
	s_delay_alu instid0(VALU_DEP_1)
	v_and_b32_e32 v16, 7, v8
; %bb.2165:                             ;   in Loop: Header=BB230_1574 Depth=1
	s_or_b32 exec_lo, exec_lo, s16
	v_lshlrev_b32_e32 v1, 16, v12
	s_delay_alu instid0(VALU_DEP_2) | instskip(SKIP_1) | instid1(VALU_DEP_3)
	v_lshlrev_b32_e32 v8, 20, v16
	v_lshl_add_u32 v0, v0, 23, 0x3c000000
	v_and_b32_e32 v1, 0x80000000, v1
	s_delay_alu instid0(VALU_DEP_1)
	v_or3_b32 v1, v8, v1, v0
	v_mov_b32_e32 v0, v17
.LBB230_2166:                           ;   in Loop: Header=BB230_1574 Depth=1
	s_or_b32 exec_lo, exec_lo, s9
.LBB230_2167:                           ;   in Loop: Header=BB230_1574 Depth=1
	s_delay_alu instid0(SALU_CYCLE_1)
	s_or_b32 exec_lo, exec_lo, s8
.LBB230_2168:                           ;   in Loop: Header=BB230_1574 Depth=1
	s_delay_alu instid0(SALU_CYCLE_1) | instskip(SKIP_4) | instid1(VALU_DEP_3)
	s_or_b32 exec_lo, exec_lo, s3
	v_lshrrev_b32_e32 v13, 16, v12
	v_mov_b64_e32 v[8:9], 0
	v_mov_b64_e32 v[10:11], 0
	s_mov_b32 s3, exec_lo
	v_and_b32_e32 v14, 0xff, v13
	s_delay_alu instid0(VALU_DEP_1)
	v_cmpx_ne_u16_e32 0, v14
	s_cbranch_execz .LBB230_2176
; %bb.2169:                             ;   in Loop: Header=BB230_1574 Depth=1
	v_mov_b64_e32 v[10:11], 0x80000000
	s_mov_b32 s8, exec_lo
	v_cmpx_ne_u16_e32 0x80, v14
	s_cbranch_execz .LBB230_2175
; %bb.2170:                             ;   in Loop: Header=BB230_1574 Depth=1
	v_mov_b64_e32 v[10:11], 0x7f800001
	v_bfe_u32 v14, v12, 16, 7
	s_mov_b32 s9, exec_lo
	s_delay_alu instid0(VALU_DEP_1)
	v_cmpx_ne_u32_e32 0x7f, v14
	s_cbranch_execz .LBB230_2174
; %bb.2171:                             ;   in Loop: Header=BB230_1574 Depth=1
	v_dual_lshrrev_b32 v10, 3, v14 :: v_dual_bitop2_b32 v16, 7, v13 bitop3:0x40
	s_mov_b32 s16, exec_lo
	v_cmpx_gt_u32_e32 8, v14
; %bb.2172:                             ;   in Loop: Header=BB230_1574 Depth=1
	s_delay_alu instid0(VALU_DEP_2) | instskip(NEXT) | instid1(VALU_DEP_1)
	v_clz_i32_u32_e32 v10, v16
	v_min_u32_e32 v10, 32, v10
	s_delay_alu instid0(VALU_DEP_1) | instskip(SKIP_1) | instid1(VALU_DEP_2)
	v_subrev_nc_u32_e32 v11, 28, v10
	v_sub_nc_u32_e32 v10, 29, v10
	v_lshlrev_b64_e32 v[14:15], v11, v[16:17]
	s_delay_alu instid0(VALU_DEP_1)
	v_and_b32_e32 v16, 7, v14
; %bb.2173:                             ;   in Loop: Header=BB230_1574 Depth=1
	s_or_b32 exec_lo, exec_lo, s16
	s_delay_alu instid0(VALU_DEP_1) | instskip(SKIP_1) | instid1(VALU_DEP_2)
	v_dual_lshlrev_b32 v11, 24, v13 :: v_dual_lshlrev_b32 v13, 20, v16
	v_lshl_add_u32 v10, v10, 23, 0x3c000000
	v_and_b32_e32 v11, 0x80000000, v11
	s_delay_alu instid0(VALU_DEP_1) | instskip(NEXT) | instid1(VALU_DEP_1)
	v_or3_b32 v16, v13, v11, v10
	v_mov_b64_e32 v[10:11], v[16:17]
.LBB230_2174:                           ;   in Loop: Header=BB230_1574 Depth=1
	s_or_b32 exec_lo, exec_lo, s9
.LBB230_2175:                           ;   in Loop: Header=BB230_1574 Depth=1
	s_delay_alu instid0(SALU_CYCLE_1)
	s_or_b32 exec_lo, exec_lo, s8
.LBB230_2176:                           ;   in Loop: Header=BB230_1574 Depth=1
	s_delay_alu instid0(SALU_CYCLE_1) | instskip(NEXT) | instid1(SALU_CYCLE_1)
	s_or_b32 exec_lo, exec_lo, s3
	s_mov_b32 s3, exec_lo
	v_cmpx_lt_u32_e32 0xffffff, v12
	s_cbranch_execz .LBB230_2184
; %bb.2177:                             ;   in Loop: Header=BB230_1574 Depth=1
	v_mov_b64_e32 v[8:9], 0x8000000000000000
	v_lshrrev_b32_e32 v13, 24, v12
	s_mov_b32 s8, exec_lo
	s_delay_alu instid0(VALU_DEP_1)
	v_cmpx_ne_u32_e32 0x80, v13
	s_cbranch_execz .LBB230_2183
; %bb.2178:                             ;   in Loop: Header=BB230_1574 Depth=1
	v_mov_b64_e32 v[8:9], 0x7f80000100000000
	v_bfe_u32 v12, v12, 24, 7
	s_mov_b32 s9, exec_lo
	s_delay_alu instid0(VALU_DEP_1)
	v_cmpx_ne_u32_e32 0x7f, v12
	s_cbranch_execz .LBB230_2182
; %bb.2179:                             ;   in Loop: Header=BB230_1574 Depth=1
	v_dual_lshrrev_b32 v8, 3, v12 :: v_dual_bitop2_b32 v16, 7, v13 bitop3:0x40
	s_mov_b32 s16, exec_lo
	v_cmpx_gt_u32_e32 8, v12
; %bb.2180:                             ;   in Loop: Header=BB230_1574 Depth=1
	s_delay_alu instid0(VALU_DEP_2) | instskip(NEXT) | instid1(VALU_DEP_1)
	v_clz_i32_u32_e32 v8, v16
	v_min_u32_e32 v8, 32, v8
	s_delay_alu instid0(VALU_DEP_1) | instskip(NEXT) | instid1(VALU_DEP_1)
	v_subrev_nc_u32_e32 v9, 28, v8
	v_lshlrev_b64_e32 v[14:15], v9, v[16:17]
	s_delay_alu instid0(VALU_DEP_1)
	v_dual_sub_nc_u32 v8, 29, v8 :: v_dual_bitop2_b32 v16, 7, v14 bitop3:0x40
; %bb.2181:                             ;   in Loop: Header=BB230_1574 Depth=1
	s_or_b32 exec_lo, exec_lo, s16
	s_delay_alu instid0(VALU_DEP_1) | instskip(NEXT) | instid1(VALU_DEP_2)
	v_dual_lshlrev_b32 v9, 24, v13 :: v_dual_lshlrev_b32 v12, 20, v16
	v_lshl_add_u32 v8, v8, 23, 0x3c000000
	s_delay_alu instid0(VALU_DEP_2) | instskip(NEXT) | instid1(VALU_DEP_1)
	v_and_b32_e32 v9, 0x80000000, v9
	v_or3_b32 v9, v12, v9, v8
	v_mov_b32_e32 v8, v17
.LBB230_2182:                           ;   in Loop: Header=BB230_1574 Depth=1
	s_or_b32 exec_lo, exec_lo, s9
.LBB230_2183:                           ;   in Loop: Header=BB230_1574 Depth=1
	s_delay_alu instid0(SALU_CYCLE_1)
	s_or_b32 exec_lo, exec_lo, s8
.LBB230_2184:                           ;   in Loop: Header=BB230_1574 Depth=1
	s_delay_alu instid0(SALU_CYCLE_1) | instskip(SKIP_4) | instid1(VALU_DEP_3)
	s_or_b32 exec_lo, exec_lo, s3
	v_or_b32_e32 v1, v1, v7
	v_or_b32_e32 v0, v0, v6
	;; [unrolled: 1-line block ×4, first 2 shown]
	v_pk_mul_f32 v[0:1], v[70:71], v[0:1]
	scratch_store_b64 off, v[0:1], s32 offset:484 ; 8-byte Folded Spill
	s_wait_xcnt 0x0
	v_pk_mul_f32 v[0:1], v[70:71], v[6:7]
	scratch_store_b64 off, v[0:1], s32 offset:476 ; 8-byte Folded Spill
	s_wait_xcnt 0x0
	s_and_saveexec_b32 s3, vcc_lo
	s_cbranch_execz .LBB230_2186
; %bb.2185:                             ;   in Loop: Header=BB230_1574 Depth=1
	s_clause 0x1
	scratch_load_b64 v[0:1], off, s32 offset:200
	scratch_load_b64 v[6:7], off, s32 offset:484 th:TH_LOAD_LU
	s_wait_loadcnt 0x1
	v_cmp_lt_i32_e64 s0, v18, v0
	s_wait_loadcnt 0x0
	s_delay_alu instid0(VALU_DEP_1) | instskip(SKIP_1) | instid1(VALU_DEP_1)
	v_cndmask_b32_e64 v6, 0, v6, s0
	v_cmp_lt_i32_e64 s0, v19, v0
	v_cndmask_b32_e64 v7, 0, v7, s0
	v_cmp_lt_i32_e64 s0, v21, v0
	s_clause 0x1
	scratch_store_b64 off, v[6:7], s32 offset:484
	scratch_load_b64 v[6:7], off, s32 offset:476 th:TH_LOAD_LU
	s_wait_loadcnt 0x0
	v_cndmask_b32_e64 v6, 0, v6, s0
	v_cmp_lt_i32_e64 s0, v20, v0
	s_delay_alu instid0(VALU_DEP_1)
	v_cndmask_b32_e64 v7, 0, v7, s0
	scratch_store_b64 off, v[6:7], s32 offset:476 ; 8-byte Folded Spill
.LBB230_2186:                           ;   in Loop: Header=BB230_1574 Depth=1
	s_wait_xcnt 0x0
	s_or_b32 exec_lo, exec_lo, s3
	flat_load_b32 v12, v[116:117] offset:2304
	v_mov_b64_e32 v[0:1], 0
	v_mov_b64_e32 v[6:7], 0
	s_mov_b32 s3, exec_lo
	s_wait_loadcnt_dscnt 0x0
	v_and_b32_e32 v8, 0xff, v12
	s_wait_xcnt 0x0
	s_delay_alu instid0(VALU_DEP_1)
	v_cmpx_ne_u16_e32 0, v8
	s_cbranch_execz .LBB230_2194
; %bb.2187:                             ;   in Loop: Header=BB230_1574 Depth=1
	v_mov_b64_e32 v[6:7], 0x80000000
	s_mov_b32 s8, exec_lo
	v_cmpx_ne_u16_e32 0x80, v8
	s_cbranch_execz .LBB230_2193
; %bb.2188:                             ;   in Loop: Header=BB230_1574 Depth=1
	v_mov_b64_e32 v[6:7], 0x7f800001
	v_and_b32_e32 v8, 0x7f, v12
	s_mov_b32 s9, exec_lo
	s_delay_alu instid0(VALU_DEP_1)
	v_cmpx_ne_u32_e32 0x7f, v8
	s_cbranch_execz .LBB230_2192
; %bb.2189:                             ;   in Loop: Header=BB230_1574 Depth=1
	v_and_b32_e32 v16, 7, v12
	v_lshrrev_b32_e32 v6, 3, v8
	s_mov_b32 s16, exec_lo
	v_cmpx_gt_u32_e32 8, v8
; %bb.2190:                             ;   in Loop: Header=BB230_1574 Depth=1
	s_delay_alu instid0(VALU_DEP_3) | instskip(NEXT) | instid1(VALU_DEP_1)
	v_clz_i32_u32_e32 v6, v16
	v_min_u32_e32 v6, 32, v6
	s_delay_alu instid0(VALU_DEP_1) | instskip(NEXT) | instid1(VALU_DEP_1)
	v_subrev_nc_u32_e32 v7, 28, v6
	v_lshlrev_b64_e32 v[8:9], v7, v[16:17]
	s_delay_alu instid0(VALU_DEP_1)
	v_dual_sub_nc_u32 v6, 29, v6 :: v_dual_bitop2_b32 v16, 7, v8 bitop3:0x40
; %bb.2191:                             ;   in Loop: Header=BB230_1574 Depth=1
	s_or_b32 exec_lo, exec_lo, s16
	v_lshlrev_b32_e32 v7, 24, v12
	s_delay_alu instid0(VALU_DEP_2) | instskip(NEXT) | instid1(VALU_DEP_3)
	v_lshlrev_b32_e32 v8, 20, v16
	v_lshl_add_u32 v6, v6, 23, 0x3c000000
	s_delay_alu instid0(VALU_DEP_3) | instskip(NEXT) | instid1(VALU_DEP_1)
	v_and_b32_e32 v7, 0x80000000, v7
	v_or3_b32 v16, v8, v7, v6
	s_delay_alu instid0(VALU_DEP_1)
	v_mov_b64_e32 v[6:7], v[16:17]
.LBB230_2192:                           ;   in Loop: Header=BB230_1574 Depth=1
	s_or_b32 exec_lo, exec_lo, s9
.LBB230_2193:                           ;   in Loop: Header=BB230_1574 Depth=1
	s_delay_alu instid0(SALU_CYCLE_1)
	s_or_b32 exec_lo, exec_lo, s8
.LBB230_2194:                           ;   in Loop: Header=BB230_1574 Depth=1
	s_delay_alu instid0(SALU_CYCLE_1) | instskip(SKIP_2) | instid1(VALU_DEP_1)
	s_or_b32 exec_lo, exec_lo, s3
	v_lshrrev_b16 v8, 8, v12
	s_mov_b32 s3, exec_lo
	v_cmpx_ne_u16_e32 0, v8
	s_cbranch_execz .LBB230_2202
; %bb.2195:                             ;   in Loop: Header=BB230_1574 Depth=1
	v_mov_b64_e32 v[0:1], 0x8000000000000000
	s_mov_b32 s8, exec_lo
	v_cmpx_ne_u16_e32 0x80, v8
	s_cbranch_execz .LBB230_2201
; %bb.2196:                             ;   in Loop: Header=BB230_1574 Depth=1
	v_and_b32_e32 v9, 0xffff, v8
	v_mov_b64_e32 v[0:1], 0x7f80000100000000
	s_mov_b32 s9, exec_lo
	s_delay_alu instid0(VALU_DEP_2) | instskip(NEXT) | instid1(VALU_DEP_1)
	v_and_b32_e32 v8, 0x7f, v9
	v_cmpx_ne_u32_e32 0x7f, v8
	s_cbranch_execz .LBB230_2200
; %bb.2197:                             ;   in Loop: Header=BB230_1574 Depth=1
	v_dual_lshrrev_b32 v0, 3, v8 :: v_dual_bitop2_b32 v16, 7, v9 bitop3:0x40
	s_mov_b32 s16, exec_lo
	v_cmpx_gt_u32_e32 8, v8
; %bb.2198:                             ;   in Loop: Header=BB230_1574 Depth=1
	s_delay_alu instid0(VALU_DEP_2) | instskip(NEXT) | instid1(VALU_DEP_1)
	v_clz_i32_u32_e32 v0, v16
	v_min_u32_e32 v0, 32, v0
	s_delay_alu instid0(VALU_DEP_1) | instskip(SKIP_1) | instid1(VALU_DEP_2)
	v_subrev_nc_u32_e32 v1, 28, v0
	v_sub_nc_u32_e32 v0, 29, v0
	v_lshlrev_b64_e32 v[8:9], v1, v[16:17]
	s_delay_alu instid0(VALU_DEP_1)
	v_and_b32_e32 v16, 7, v8
; %bb.2199:                             ;   in Loop: Header=BB230_1574 Depth=1
	s_or_b32 exec_lo, exec_lo, s16
	v_lshlrev_b32_e32 v1, 16, v12
	s_delay_alu instid0(VALU_DEP_2) | instskip(SKIP_1) | instid1(VALU_DEP_3)
	v_lshlrev_b32_e32 v8, 20, v16
	v_lshl_add_u32 v0, v0, 23, 0x3c000000
	v_and_b32_e32 v1, 0x80000000, v1
	s_delay_alu instid0(VALU_DEP_1)
	v_or3_b32 v1, v8, v1, v0
	v_mov_b32_e32 v0, v17
.LBB230_2200:                           ;   in Loop: Header=BB230_1574 Depth=1
	s_or_b32 exec_lo, exec_lo, s9
.LBB230_2201:                           ;   in Loop: Header=BB230_1574 Depth=1
	s_delay_alu instid0(SALU_CYCLE_1)
	s_or_b32 exec_lo, exec_lo, s8
.LBB230_2202:                           ;   in Loop: Header=BB230_1574 Depth=1
	s_delay_alu instid0(SALU_CYCLE_1) | instskip(SKIP_4) | instid1(VALU_DEP_3)
	s_or_b32 exec_lo, exec_lo, s3
	v_lshrrev_b32_e32 v13, 16, v12
	v_mov_b64_e32 v[8:9], 0
	v_mov_b64_e32 v[10:11], 0
	s_mov_b32 s3, exec_lo
	v_and_b32_e32 v14, 0xff, v13
	s_delay_alu instid0(VALU_DEP_1)
	v_cmpx_ne_u16_e32 0, v14
	s_cbranch_execz .LBB230_2210
; %bb.2203:                             ;   in Loop: Header=BB230_1574 Depth=1
	v_mov_b64_e32 v[10:11], 0x80000000
	s_mov_b32 s8, exec_lo
	v_cmpx_ne_u16_e32 0x80, v14
	s_cbranch_execz .LBB230_2209
; %bb.2204:                             ;   in Loop: Header=BB230_1574 Depth=1
	v_mov_b64_e32 v[10:11], 0x7f800001
	v_bfe_u32 v14, v12, 16, 7
	s_mov_b32 s9, exec_lo
	s_delay_alu instid0(VALU_DEP_1)
	v_cmpx_ne_u32_e32 0x7f, v14
	s_cbranch_execz .LBB230_2208
; %bb.2205:                             ;   in Loop: Header=BB230_1574 Depth=1
	v_dual_lshrrev_b32 v10, 3, v14 :: v_dual_bitop2_b32 v16, 7, v13 bitop3:0x40
	s_mov_b32 s16, exec_lo
	v_cmpx_gt_u32_e32 8, v14
; %bb.2206:                             ;   in Loop: Header=BB230_1574 Depth=1
	s_delay_alu instid0(VALU_DEP_2) | instskip(NEXT) | instid1(VALU_DEP_1)
	v_clz_i32_u32_e32 v10, v16
	v_min_u32_e32 v10, 32, v10
	s_delay_alu instid0(VALU_DEP_1) | instskip(SKIP_1) | instid1(VALU_DEP_2)
	v_subrev_nc_u32_e32 v11, 28, v10
	v_sub_nc_u32_e32 v10, 29, v10
	v_lshlrev_b64_e32 v[14:15], v11, v[16:17]
	s_delay_alu instid0(VALU_DEP_1)
	v_and_b32_e32 v16, 7, v14
; %bb.2207:                             ;   in Loop: Header=BB230_1574 Depth=1
	s_or_b32 exec_lo, exec_lo, s16
	s_delay_alu instid0(VALU_DEP_1) | instskip(SKIP_1) | instid1(VALU_DEP_2)
	v_dual_lshlrev_b32 v11, 24, v13 :: v_dual_lshlrev_b32 v13, 20, v16
	v_lshl_add_u32 v10, v10, 23, 0x3c000000
	v_and_b32_e32 v11, 0x80000000, v11
	s_delay_alu instid0(VALU_DEP_1) | instskip(NEXT) | instid1(VALU_DEP_1)
	v_or3_b32 v16, v13, v11, v10
	v_mov_b64_e32 v[10:11], v[16:17]
.LBB230_2208:                           ;   in Loop: Header=BB230_1574 Depth=1
	s_or_b32 exec_lo, exec_lo, s9
.LBB230_2209:                           ;   in Loop: Header=BB230_1574 Depth=1
	s_delay_alu instid0(SALU_CYCLE_1)
	s_or_b32 exec_lo, exec_lo, s8
.LBB230_2210:                           ;   in Loop: Header=BB230_1574 Depth=1
	s_delay_alu instid0(SALU_CYCLE_1) | instskip(NEXT) | instid1(SALU_CYCLE_1)
	s_or_b32 exec_lo, exec_lo, s3
	s_mov_b32 s3, exec_lo
	v_cmpx_lt_u32_e32 0xffffff, v12
	s_cbranch_execz .LBB230_2218
; %bb.2211:                             ;   in Loop: Header=BB230_1574 Depth=1
	v_mov_b64_e32 v[8:9], 0x8000000000000000
	v_lshrrev_b32_e32 v13, 24, v12
	s_mov_b32 s8, exec_lo
	s_delay_alu instid0(VALU_DEP_1)
	v_cmpx_ne_u32_e32 0x80, v13
	s_cbranch_execz .LBB230_2217
; %bb.2212:                             ;   in Loop: Header=BB230_1574 Depth=1
	v_mov_b64_e32 v[8:9], 0x7f80000100000000
	v_bfe_u32 v12, v12, 24, 7
	s_mov_b32 s9, exec_lo
	s_delay_alu instid0(VALU_DEP_1)
	v_cmpx_ne_u32_e32 0x7f, v12
	s_cbranch_execz .LBB230_2216
; %bb.2213:                             ;   in Loop: Header=BB230_1574 Depth=1
	v_dual_lshrrev_b32 v8, 3, v12 :: v_dual_bitop2_b32 v16, 7, v13 bitop3:0x40
	s_mov_b32 s16, exec_lo
	v_cmpx_gt_u32_e32 8, v12
; %bb.2214:                             ;   in Loop: Header=BB230_1574 Depth=1
	s_delay_alu instid0(VALU_DEP_2) | instskip(NEXT) | instid1(VALU_DEP_1)
	v_clz_i32_u32_e32 v8, v16
	v_min_u32_e32 v8, 32, v8
	s_delay_alu instid0(VALU_DEP_1) | instskip(NEXT) | instid1(VALU_DEP_1)
	v_subrev_nc_u32_e32 v9, 28, v8
	v_lshlrev_b64_e32 v[14:15], v9, v[16:17]
	s_delay_alu instid0(VALU_DEP_1)
	v_dual_sub_nc_u32 v8, 29, v8 :: v_dual_bitop2_b32 v16, 7, v14 bitop3:0x40
; %bb.2215:                             ;   in Loop: Header=BB230_1574 Depth=1
	s_or_b32 exec_lo, exec_lo, s16
	s_delay_alu instid0(VALU_DEP_1) | instskip(NEXT) | instid1(VALU_DEP_2)
	v_dual_lshlrev_b32 v9, 24, v13 :: v_dual_lshlrev_b32 v12, 20, v16
	v_lshl_add_u32 v8, v8, 23, 0x3c000000
	s_delay_alu instid0(VALU_DEP_2) | instskip(NEXT) | instid1(VALU_DEP_1)
	v_and_b32_e32 v9, 0x80000000, v9
	v_or3_b32 v9, v12, v9, v8
	v_mov_b32_e32 v8, v17
.LBB230_2216:                           ;   in Loop: Header=BB230_1574 Depth=1
	s_or_b32 exec_lo, exec_lo, s9
.LBB230_2217:                           ;   in Loop: Header=BB230_1574 Depth=1
	s_delay_alu instid0(SALU_CYCLE_1)
	s_or_b32 exec_lo, exec_lo, s8
.LBB230_2218:                           ;   in Loop: Header=BB230_1574 Depth=1
	s_delay_alu instid0(SALU_CYCLE_1) | instskip(SKIP_4) | instid1(VALU_DEP_3)
	s_or_b32 exec_lo, exec_lo, s3
	v_or_b32_e32 v1, v1, v7
	v_or_b32_e32 v0, v0, v6
	;; [unrolled: 1-line block ×4, first 2 shown]
	v_pk_mul_f32 v[0:1], v[70:71], v[0:1]
	scratch_store_b64 off, v[0:1], s32 offset:500 ; 8-byte Folded Spill
	s_wait_xcnt 0x0
	v_pk_mul_f32 v[0:1], v[70:71], v[6:7]
	scratch_store_b64 off, v[0:1], s32 offset:492 ; 8-byte Folded Spill
	s_wait_xcnt 0x0
	s_and_saveexec_b32 s3, vcc_lo
	s_cbranch_execz .LBB230_2220
; %bb.2219:                             ;   in Loop: Header=BB230_1574 Depth=1
	s_clause 0x1
	scratch_load_b64 v[0:1], off, s32 offset:200
	scratch_load_b64 v[6:7], off, s32 offset:500 th:TH_LOAD_LU
	s_wait_loadcnt 0x1
	v_cmp_lt_i32_e64 s0, v18, v0
	s_wait_loadcnt 0x0
	s_delay_alu instid0(VALU_DEP_1) | instskip(SKIP_1) | instid1(VALU_DEP_1)
	v_cndmask_b32_e64 v6, 0, v6, s0
	v_cmp_lt_i32_e64 s0, v19, v0
	v_cndmask_b32_e64 v7, 0, v7, s0
	v_cmp_lt_i32_e64 s0, v21, v0
	s_clause 0x1
	scratch_store_b64 off, v[6:7], s32 offset:500
	scratch_load_b64 v[6:7], off, s32 offset:492 th:TH_LOAD_LU
	s_wait_loadcnt 0x0
	v_cndmask_b32_e64 v6, 0, v6, s0
	v_cmp_lt_i32_e64 s0, v20, v0
	s_delay_alu instid0(VALU_DEP_1)
	v_cndmask_b32_e64 v7, 0, v7, s0
	scratch_store_b64 off, v[6:7], s32 offset:492 ; 8-byte Folded Spill
.LBB230_2220:                           ;   in Loop: Header=BB230_1574 Depth=1
	s_wait_xcnt 0x0
	s_or_b32 exec_lo, exec_lo, s3
	flat_load_b32 v12, v[116:117] offset:2432
	v_mov_b64_e32 v[0:1], 0
	v_mov_b64_e32 v[6:7], 0
	s_mov_b32 s3, exec_lo
	s_wait_loadcnt_dscnt 0x0
	v_and_b32_e32 v8, 0xff, v12
	s_wait_xcnt 0x0
	s_delay_alu instid0(VALU_DEP_1)
	v_cmpx_ne_u16_e32 0, v8
	s_cbranch_execz .LBB230_2228
; %bb.2221:                             ;   in Loop: Header=BB230_1574 Depth=1
	v_mov_b64_e32 v[6:7], 0x80000000
	s_mov_b32 s8, exec_lo
	v_cmpx_ne_u16_e32 0x80, v8
	s_cbranch_execz .LBB230_2227
; %bb.2222:                             ;   in Loop: Header=BB230_1574 Depth=1
	v_mov_b64_e32 v[6:7], 0x7f800001
	v_and_b32_e32 v8, 0x7f, v12
	s_mov_b32 s9, exec_lo
	s_delay_alu instid0(VALU_DEP_1)
	v_cmpx_ne_u32_e32 0x7f, v8
	s_cbranch_execz .LBB230_2226
; %bb.2223:                             ;   in Loop: Header=BB230_1574 Depth=1
	v_and_b32_e32 v16, 7, v12
	v_lshrrev_b32_e32 v6, 3, v8
	s_mov_b32 s16, exec_lo
	v_cmpx_gt_u32_e32 8, v8
; %bb.2224:                             ;   in Loop: Header=BB230_1574 Depth=1
	s_delay_alu instid0(VALU_DEP_3) | instskip(NEXT) | instid1(VALU_DEP_1)
	v_clz_i32_u32_e32 v6, v16
	v_min_u32_e32 v6, 32, v6
	s_delay_alu instid0(VALU_DEP_1) | instskip(NEXT) | instid1(VALU_DEP_1)
	v_subrev_nc_u32_e32 v7, 28, v6
	v_lshlrev_b64_e32 v[8:9], v7, v[16:17]
	s_delay_alu instid0(VALU_DEP_1)
	v_dual_sub_nc_u32 v6, 29, v6 :: v_dual_bitop2_b32 v16, 7, v8 bitop3:0x40
; %bb.2225:                             ;   in Loop: Header=BB230_1574 Depth=1
	s_or_b32 exec_lo, exec_lo, s16
	v_lshlrev_b32_e32 v7, 24, v12
	s_delay_alu instid0(VALU_DEP_2) | instskip(NEXT) | instid1(VALU_DEP_3)
	v_lshlrev_b32_e32 v8, 20, v16
	v_lshl_add_u32 v6, v6, 23, 0x3c000000
	s_delay_alu instid0(VALU_DEP_3) | instskip(NEXT) | instid1(VALU_DEP_1)
	v_and_b32_e32 v7, 0x80000000, v7
	v_or3_b32 v16, v8, v7, v6
	s_delay_alu instid0(VALU_DEP_1)
	v_mov_b64_e32 v[6:7], v[16:17]
.LBB230_2226:                           ;   in Loop: Header=BB230_1574 Depth=1
	s_or_b32 exec_lo, exec_lo, s9
.LBB230_2227:                           ;   in Loop: Header=BB230_1574 Depth=1
	s_delay_alu instid0(SALU_CYCLE_1)
	s_or_b32 exec_lo, exec_lo, s8
.LBB230_2228:                           ;   in Loop: Header=BB230_1574 Depth=1
	s_delay_alu instid0(SALU_CYCLE_1) | instskip(SKIP_2) | instid1(VALU_DEP_1)
	s_or_b32 exec_lo, exec_lo, s3
	v_lshrrev_b16 v8, 8, v12
	s_mov_b32 s3, exec_lo
	v_cmpx_ne_u16_e32 0, v8
	s_cbranch_execz .LBB230_2236
; %bb.2229:                             ;   in Loop: Header=BB230_1574 Depth=1
	v_mov_b64_e32 v[0:1], 0x8000000000000000
	s_mov_b32 s8, exec_lo
	v_cmpx_ne_u16_e32 0x80, v8
	s_cbranch_execz .LBB230_2235
; %bb.2230:                             ;   in Loop: Header=BB230_1574 Depth=1
	v_and_b32_e32 v9, 0xffff, v8
	v_mov_b64_e32 v[0:1], 0x7f80000100000000
	s_mov_b32 s9, exec_lo
	s_delay_alu instid0(VALU_DEP_2) | instskip(NEXT) | instid1(VALU_DEP_1)
	v_and_b32_e32 v8, 0x7f, v9
	v_cmpx_ne_u32_e32 0x7f, v8
	s_cbranch_execz .LBB230_2234
; %bb.2231:                             ;   in Loop: Header=BB230_1574 Depth=1
	v_dual_lshrrev_b32 v0, 3, v8 :: v_dual_bitop2_b32 v16, 7, v9 bitop3:0x40
	s_mov_b32 s16, exec_lo
	v_cmpx_gt_u32_e32 8, v8
; %bb.2232:                             ;   in Loop: Header=BB230_1574 Depth=1
	s_delay_alu instid0(VALU_DEP_2) | instskip(NEXT) | instid1(VALU_DEP_1)
	v_clz_i32_u32_e32 v0, v16
	v_min_u32_e32 v0, 32, v0
	s_delay_alu instid0(VALU_DEP_1) | instskip(SKIP_1) | instid1(VALU_DEP_2)
	v_subrev_nc_u32_e32 v1, 28, v0
	v_sub_nc_u32_e32 v0, 29, v0
	v_lshlrev_b64_e32 v[8:9], v1, v[16:17]
	s_delay_alu instid0(VALU_DEP_1)
	v_and_b32_e32 v16, 7, v8
; %bb.2233:                             ;   in Loop: Header=BB230_1574 Depth=1
	s_or_b32 exec_lo, exec_lo, s16
	v_lshlrev_b32_e32 v1, 16, v12
	s_delay_alu instid0(VALU_DEP_2) | instskip(SKIP_1) | instid1(VALU_DEP_3)
	v_lshlrev_b32_e32 v8, 20, v16
	v_lshl_add_u32 v0, v0, 23, 0x3c000000
	v_and_b32_e32 v1, 0x80000000, v1
	s_delay_alu instid0(VALU_DEP_1)
	v_or3_b32 v1, v8, v1, v0
	v_mov_b32_e32 v0, v17
.LBB230_2234:                           ;   in Loop: Header=BB230_1574 Depth=1
	s_or_b32 exec_lo, exec_lo, s9
.LBB230_2235:                           ;   in Loop: Header=BB230_1574 Depth=1
	s_delay_alu instid0(SALU_CYCLE_1)
	s_or_b32 exec_lo, exec_lo, s8
.LBB230_2236:                           ;   in Loop: Header=BB230_1574 Depth=1
	s_delay_alu instid0(SALU_CYCLE_1) | instskip(SKIP_4) | instid1(VALU_DEP_3)
	s_or_b32 exec_lo, exec_lo, s3
	v_lshrrev_b32_e32 v13, 16, v12
	v_mov_b64_e32 v[8:9], 0
	v_mov_b64_e32 v[10:11], 0
	s_mov_b32 s3, exec_lo
	v_and_b32_e32 v14, 0xff, v13
	s_delay_alu instid0(VALU_DEP_1)
	v_cmpx_ne_u16_e32 0, v14
	s_cbranch_execz .LBB230_2244
; %bb.2237:                             ;   in Loop: Header=BB230_1574 Depth=1
	v_mov_b64_e32 v[10:11], 0x80000000
	s_mov_b32 s8, exec_lo
	v_cmpx_ne_u16_e32 0x80, v14
	s_cbranch_execz .LBB230_2243
; %bb.2238:                             ;   in Loop: Header=BB230_1574 Depth=1
	v_mov_b64_e32 v[10:11], 0x7f800001
	v_bfe_u32 v14, v12, 16, 7
	s_mov_b32 s9, exec_lo
	s_delay_alu instid0(VALU_DEP_1)
	v_cmpx_ne_u32_e32 0x7f, v14
	s_cbranch_execz .LBB230_2242
; %bb.2239:                             ;   in Loop: Header=BB230_1574 Depth=1
	v_dual_lshrrev_b32 v10, 3, v14 :: v_dual_bitop2_b32 v16, 7, v13 bitop3:0x40
	s_mov_b32 s16, exec_lo
	v_cmpx_gt_u32_e32 8, v14
; %bb.2240:                             ;   in Loop: Header=BB230_1574 Depth=1
	s_delay_alu instid0(VALU_DEP_2) | instskip(NEXT) | instid1(VALU_DEP_1)
	v_clz_i32_u32_e32 v10, v16
	v_min_u32_e32 v10, 32, v10
	s_delay_alu instid0(VALU_DEP_1) | instskip(SKIP_1) | instid1(VALU_DEP_2)
	v_subrev_nc_u32_e32 v11, 28, v10
	v_sub_nc_u32_e32 v10, 29, v10
	v_lshlrev_b64_e32 v[14:15], v11, v[16:17]
	s_delay_alu instid0(VALU_DEP_1)
	v_and_b32_e32 v16, 7, v14
; %bb.2241:                             ;   in Loop: Header=BB230_1574 Depth=1
	s_or_b32 exec_lo, exec_lo, s16
	s_delay_alu instid0(VALU_DEP_1) | instskip(SKIP_1) | instid1(VALU_DEP_2)
	v_dual_lshlrev_b32 v11, 24, v13 :: v_dual_lshlrev_b32 v13, 20, v16
	v_lshl_add_u32 v10, v10, 23, 0x3c000000
	v_and_b32_e32 v11, 0x80000000, v11
	s_delay_alu instid0(VALU_DEP_1) | instskip(NEXT) | instid1(VALU_DEP_1)
	v_or3_b32 v16, v13, v11, v10
	v_mov_b64_e32 v[10:11], v[16:17]
.LBB230_2242:                           ;   in Loop: Header=BB230_1574 Depth=1
	s_or_b32 exec_lo, exec_lo, s9
.LBB230_2243:                           ;   in Loop: Header=BB230_1574 Depth=1
	s_delay_alu instid0(SALU_CYCLE_1)
	s_or_b32 exec_lo, exec_lo, s8
.LBB230_2244:                           ;   in Loop: Header=BB230_1574 Depth=1
	s_delay_alu instid0(SALU_CYCLE_1) | instskip(NEXT) | instid1(SALU_CYCLE_1)
	s_or_b32 exec_lo, exec_lo, s3
	s_mov_b32 s3, exec_lo
	v_cmpx_lt_u32_e32 0xffffff, v12
	s_cbranch_execz .LBB230_2252
; %bb.2245:                             ;   in Loop: Header=BB230_1574 Depth=1
	v_mov_b64_e32 v[8:9], 0x8000000000000000
	v_lshrrev_b32_e32 v13, 24, v12
	s_mov_b32 s8, exec_lo
	s_delay_alu instid0(VALU_DEP_1)
	v_cmpx_ne_u32_e32 0x80, v13
	s_cbranch_execz .LBB230_2251
; %bb.2246:                             ;   in Loop: Header=BB230_1574 Depth=1
	v_mov_b64_e32 v[8:9], 0x7f80000100000000
	v_bfe_u32 v12, v12, 24, 7
	s_mov_b32 s9, exec_lo
	s_delay_alu instid0(VALU_DEP_1)
	v_cmpx_ne_u32_e32 0x7f, v12
	s_cbranch_execz .LBB230_2250
; %bb.2247:                             ;   in Loop: Header=BB230_1574 Depth=1
	v_dual_lshrrev_b32 v8, 3, v12 :: v_dual_bitop2_b32 v16, 7, v13 bitop3:0x40
	s_mov_b32 s16, exec_lo
	v_cmpx_gt_u32_e32 8, v12
; %bb.2248:                             ;   in Loop: Header=BB230_1574 Depth=1
	s_delay_alu instid0(VALU_DEP_2) | instskip(NEXT) | instid1(VALU_DEP_1)
	v_clz_i32_u32_e32 v8, v16
	v_min_u32_e32 v8, 32, v8
	s_delay_alu instid0(VALU_DEP_1) | instskip(NEXT) | instid1(VALU_DEP_1)
	v_subrev_nc_u32_e32 v9, 28, v8
	v_lshlrev_b64_e32 v[14:15], v9, v[16:17]
	s_delay_alu instid0(VALU_DEP_1)
	v_dual_sub_nc_u32 v8, 29, v8 :: v_dual_bitop2_b32 v16, 7, v14 bitop3:0x40
; %bb.2249:                             ;   in Loop: Header=BB230_1574 Depth=1
	s_or_b32 exec_lo, exec_lo, s16
	s_delay_alu instid0(VALU_DEP_1) | instskip(NEXT) | instid1(VALU_DEP_2)
	v_dual_lshlrev_b32 v9, 24, v13 :: v_dual_lshlrev_b32 v12, 20, v16
	v_lshl_add_u32 v8, v8, 23, 0x3c000000
	s_delay_alu instid0(VALU_DEP_2) | instskip(NEXT) | instid1(VALU_DEP_1)
	v_and_b32_e32 v9, 0x80000000, v9
	v_or3_b32 v9, v12, v9, v8
	v_mov_b32_e32 v8, v17
.LBB230_2250:                           ;   in Loop: Header=BB230_1574 Depth=1
	s_or_b32 exec_lo, exec_lo, s9
.LBB230_2251:                           ;   in Loop: Header=BB230_1574 Depth=1
	s_delay_alu instid0(SALU_CYCLE_1)
	s_or_b32 exec_lo, exec_lo, s8
.LBB230_2252:                           ;   in Loop: Header=BB230_1574 Depth=1
	s_delay_alu instid0(SALU_CYCLE_1) | instskip(SKIP_4) | instid1(VALU_DEP_3)
	s_or_b32 exec_lo, exec_lo, s3
	v_or_b32_e32 v1, v1, v7
	v_or_b32_e32 v0, v0, v6
	;; [unrolled: 1-line block ×4, first 2 shown]
	v_pk_mul_f32 v[0:1], v[70:71], v[0:1]
	scratch_store_b64 off, v[0:1], s32 offset:516 ; 8-byte Folded Spill
	s_wait_xcnt 0x0
	v_pk_mul_f32 v[0:1], v[70:71], v[6:7]
	scratch_store_b64 off, v[0:1], s32 offset:508 ; 8-byte Folded Spill
	s_wait_xcnt 0x0
	s_and_saveexec_b32 s3, vcc_lo
	s_cbranch_execz .LBB230_2254
; %bb.2253:                             ;   in Loop: Header=BB230_1574 Depth=1
	s_clause 0x1
	scratch_load_b64 v[0:1], off, s32 offset:200
	scratch_load_b64 v[6:7], off, s32 offset:516 th:TH_LOAD_LU
	s_wait_loadcnt 0x1
	v_cmp_lt_i32_e64 s0, v18, v0
	s_wait_loadcnt 0x0
	s_delay_alu instid0(VALU_DEP_1) | instskip(SKIP_1) | instid1(VALU_DEP_1)
	v_cndmask_b32_e64 v6, 0, v6, s0
	v_cmp_lt_i32_e64 s0, v19, v0
	v_cndmask_b32_e64 v7, 0, v7, s0
	v_cmp_lt_i32_e64 s0, v21, v0
	s_clause 0x1
	scratch_store_b64 off, v[6:7], s32 offset:516
	scratch_load_b64 v[6:7], off, s32 offset:508 th:TH_LOAD_LU
	s_wait_loadcnt 0x0
	v_cndmask_b32_e64 v6, 0, v6, s0
	v_cmp_lt_i32_e64 s0, v20, v0
	s_delay_alu instid0(VALU_DEP_1)
	v_cndmask_b32_e64 v7, 0, v7, s0
	scratch_store_b64 off, v[6:7], s32 offset:508 ; 8-byte Folded Spill
.LBB230_2254:                           ;   in Loop: Header=BB230_1574 Depth=1
	s_wait_xcnt 0x0
	s_or_b32 exec_lo, exec_lo, s3
	flat_load_b32 v12, v[116:117] offset:2560
	v_mov_b64_e32 v[0:1], 0
	v_mov_b64_e32 v[6:7], 0
	s_mov_b32 s3, exec_lo
	s_wait_loadcnt_dscnt 0x0
	v_and_b32_e32 v8, 0xff, v12
	s_wait_xcnt 0x0
	s_delay_alu instid0(VALU_DEP_1)
	v_cmpx_ne_u16_e32 0, v8
	s_cbranch_execz .LBB230_2262
; %bb.2255:                             ;   in Loop: Header=BB230_1574 Depth=1
	v_mov_b64_e32 v[6:7], 0x80000000
	s_mov_b32 s8, exec_lo
	v_cmpx_ne_u16_e32 0x80, v8
	s_cbranch_execz .LBB230_2261
; %bb.2256:                             ;   in Loop: Header=BB230_1574 Depth=1
	v_mov_b64_e32 v[6:7], 0x7f800001
	v_and_b32_e32 v8, 0x7f, v12
	s_mov_b32 s9, exec_lo
	s_delay_alu instid0(VALU_DEP_1)
	v_cmpx_ne_u32_e32 0x7f, v8
	s_cbranch_execz .LBB230_2260
; %bb.2257:                             ;   in Loop: Header=BB230_1574 Depth=1
	v_and_b32_e32 v16, 7, v12
	v_lshrrev_b32_e32 v6, 3, v8
	s_mov_b32 s16, exec_lo
	v_cmpx_gt_u32_e32 8, v8
; %bb.2258:                             ;   in Loop: Header=BB230_1574 Depth=1
	s_delay_alu instid0(VALU_DEP_3) | instskip(NEXT) | instid1(VALU_DEP_1)
	v_clz_i32_u32_e32 v6, v16
	v_min_u32_e32 v6, 32, v6
	s_delay_alu instid0(VALU_DEP_1) | instskip(NEXT) | instid1(VALU_DEP_1)
	v_subrev_nc_u32_e32 v7, 28, v6
	v_lshlrev_b64_e32 v[8:9], v7, v[16:17]
	s_delay_alu instid0(VALU_DEP_1)
	v_dual_sub_nc_u32 v6, 29, v6 :: v_dual_bitop2_b32 v16, 7, v8 bitop3:0x40
; %bb.2259:                             ;   in Loop: Header=BB230_1574 Depth=1
	s_or_b32 exec_lo, exec_lo, s16
	v_lshlrev_b32_e32 v7, 24, v12
	s_delay_alu instid0(VALU_DEP_2) | instskip(NEXT) | instid1(VALU_DEP_3)
	v_lshlrev_b32_e32 v8, 20, v16
	v_lshl_add_u32 v6, v6, 23, 0x3c000000
	s_delay_alu instid0(VALU_DEP_3) | instskip(NEXT) | instid1(VALU_DEP_1)
	v_and_b32_e32 v7, 0x80000000, v7
	v_or3_b32 v16, v8, v7, v6
	s_delay_alu instid0(VALU_DEP_1)
	v_mov_b64_e32 v[6:7], v[16:17]
.LBB230_2260:                           ;   in Loop: Header=BB230_1574 Depth=1
	s_or_b32 exec_lo, exec_lo, s9
.LBB230_2261:                           ;   in Loop: Header=BB230_1574 Depth=1
	s_delay_alu instid0(SALU_CYCLE_1)
	s_or_b32 exec_lo, exec_lo, s8
.LBB230_2262:                           ;   in Loop: Header=BB230_1574 Depth=1
	s_delay_alu instid0(SALU_CYCLE_1) | instskip(SKIP_2) | instid1(VALU_DEP_1)
	s_or_b32 exec_lo, exec_lo, s3
	v_lshrrev_b16 v8, 8, v12
	s_mov_b32 s3, exec_lo
	v_cmpx_ne_u16_e32 0, v8
	s_cbranch_execz .LBB230_2270
; %bb.2263:                             ;   in Loop: Header=BB230_1574 Depth=1
	v_mov_b64_e32 v[0:1], 0x8000000000000000
	s_mov_b32 s8, exec_lo
	v_cmpx_ne_u16_e32 0x80, v8
	s_cbranch_execz .LBB230_2269
; %bb.2264:                             ;   in Loop: Header=BB230_1574 Depth=1
	v_and_b32_e32 v9, 0xffff, v8
	v_mov_b64_e32 v[0:1], 0x7f80000100000000
	s_mov_b32 s9, exec_lo
	s_delay_alu instid0(VALU_DEP_2) | instskip(NEXT) | instid1(VALU_DEP_1)
	v_and_b32_e32 v8, 0x7f, v9
	v_cmpx_ne_u32_e32 0x7f, v8
	s_cbranch_execz .LBB230_2268
; %bb.2265:                             ;   in Loop: Header=BB230_1574 Depth=1
	v_dual_lshrrev_b32 v0, 3, v8 :: v_dual_bitop2_b32 v16, 7, v9 bitop3:0x40
	s_mov_b32 s16, exec_lo
	v_cmpx_gt_u32_e32 8, v8
; %bb.2266:                             ;   in Loop: Header=BB230_1574 Depth=1
	s_delay_alu instid0(VALU_DEP_2) | instskip(NEXT) | instid1(VALU_DEP_1)
	v_clz_i32_u32_e32 v0, v16
	v_min_u32_e32 v0, 32, v0
	s_delay_alu instid0(VALU_DEP_1) | instskip(SKIP_1) | instid1(VALU_DEP_2)
	v_subrev_nc_u32_e32 v1, 28, v0
	v_sub_nc_u32_e32 v0, 29, v0
	v_lshlrev_b64_e32 v[8:9], v1, v[16:17]
	s_delay_alu instid0(VALU_DEP_1)
	v_and_b32_e32 v16, 7, v8
; %bb.2267:                             ;   in Loop: Header=BB230_1574 Depth=1
	s_or_b32 exec_lo, exec_lo, s16
	v_lshlrev_b32_e32 v1, 16, v12
	s_delay_alu instid0(VALU_DEP_2) | instskip(SKIP_1) | instid1(VALU_DEP_3)
	v_lshlrev_b32_e32 v8, 20, v16
	v_lshl_add_u32 v0, v0, 23, 0x3c000000
	v_and_b32_e32 v1, 0x80000000, v1
	s_delay_alu instid0(VALU_DEP_1)
	v_or3_b32 v1, v8, v1, v0
	v_mov_b32_e32 v0, v17
.LBB230_2268:                           ;   in Loop: Header=BB230_1574 Depth=1
	s_or_b32 exec_lo, exec_lo, s9
.LBB230_2269:                           ;   in Loop: Header=BB230_1574 Depth=1
	s_delay_alu instid0(SALU_CYCLE_1)
	s_or_b32 exec_lo, exec_lo, s8
.LBB230_2270:                           ;   in Loop: Header=BB230_1574 Depth=1
	s_delay_alu instid0(SALU_CYCLE_1) | instskip(SKIP_4) | instid1(VALU_DEP_3)
	s_or_b32 exec_lo, exec_lo, s3
	v_lshrrev_b32_e32 v13, 16, v12
	v_mov_b64_e32 v[8:9], 0
	v_mov_b64_e32 v[10:11], 0
	s_mov_b32 s3, exec_lo
	v_and_b32_e32 v14, 0xff, v13
	s_delay_alu instid0(VALU_DEP_1)
	v_cmpx_ne_u16_e32 0, v14
	s_cbranch_execz .LBB230_2278
; %bb.2271:                             ;   in Loop: Header=BB230_1574 Depth=1
	v_mov_b64_e32 v[10:11], 0x80000000
	s_mov_b32 s8, exec_lo
	v_cmpx_ne_u16_e32 0x80, v14
	s_cbranch_execz .LBB230_2277
; %bb.2272:                             ;   in Loop: Header=BB230_1574 Depth=1
	v_mov_b64_e32 v[10:11], 0x7f800001
	v_bfe_u32 v14, v12, 16, 7
	s_mov_b32 s9, exec_lo
	s_delay_alu instid0(VALU_DEP_1)
	v_cmpx_ne_u32_e32 0x7f, v14
	s_cbranch_execz .LBB230_2276
; %bb.2273:                             ;   in Loop: Header=BB230_1574 Depth=1
	v_dual_lshrrev_b32 v10, 3, v14 :: v_dual_bitop2_b32 v16, 7, v13 bitop3:0x40
	s_mov_b32 s16, exec_lo
	v_cmpx_gt_u32_e32 8, v14
; %bb.2274:                             ;   in Loop: Header=BB230_1574 Depth=1
	s_delay_alu instid0(VALU_DEP_2) | instskip(NEXT) | instid1(VALU_DEP_1)
	v_clz_i32_u32_e32 v10, v16
	v_min_u32_e32 v10, 32, v10
	s_delay_alu instid0(VALU_DEP_1) | instskip(SKIP_1) | instid1(VALU_DEP_2)
	v_subrev_nc_u32_e32 v11, 28, v10
	v_sub_nc_u32_e32 v10, 29, v10
	v_lshlrev_b64_e32 v[14:15], v11, v[16:17]
	s_delay_alu instid0(VALU_DEP_1)
	v_and_b32_e32 v16, 7, v14
; %bb.2275:                             ;   in Loop: Header=BB230_1574 Depth=1
	s_or_b32 exec_lo, exec_lo, s16
	s_delay_alu instid0(VALU_DEP_1) | instskip(SKIP_1) | instid1(VALU_DEP_2)
	v_dual_lshlrev_b32 v11, 24, v13 :: v_dual_lshlrev_b32 v13, 20, v16
	v_lshl_add_u32 v10, v10, 23, 0x3c000000
	v_and_b32_e32 v11, 0x80000000, v11
	s_delay_alu instid0(VALU_DEP_1) | instskip(NEXT) | instid1(VALU_DEP_1)
	v_or3_b32 v16, v13, v11, v10
	v_mov_b64_e32 v[10:11], v[16:17]
.LBB230_2276:                           ;   in Loop: Header=BB230_1574 Depth=1
	s_or_b32 exec_lo, exec_lo, s9
.LBB230_2277:                           ;   in Loop: Header=BB230_1574 Depth=1
	s_delay_alu instid0(SALU_CYCLE_1)
	s_or_b32 exec_lo, exec_lo, s8
.LBB230_2278:                           ;   in Loop: Header=BB230_1574 Depth=1
	s_delay_alu instid0(SALU_CYCLE_1) | instskip(NEXT) | instid1(SALU_CYCLE_1)
	s_or_b32 exec_lo, exec_lo, s3
	s_mov_b32 s3, exec_lo
	v_cmpx_lt_u32_e32 0xffffff, v12
	s_cbranch_execz .LBB230_2286
; %bb.2279:                             ;   in Loop: Header=BB230_1574 Depth=1
	v_mov_b64_e32 v[8:9], 0x8000000000000000
	v_lshrrev_b32_e32 v13, 24, v12
	s_mov_b32 s8, exec_lo
	s_delay_alu instid0(VALU_DEP_1)
	v_cmpx_ne_u32_e32 0x80, v13
	s_cbranch_execz .LBB230_2285
; %bb.2280:                             ;   in Loop: Header=BB230_1574 Depth=1
	v_mov_b64_e32 v[8:9], 0x7f80000100000000
	v_bfe_u32 v12, v12, 24, 7
	s_mov_b32 s9, exec_lo
	s_delay_alu instid0(VALU_DEP_1)
	v_cmpx_ne_u32_e32 0x7f, v12
	s_cbranch_execz .LBB230_2284
; %bb.2281:                             ;   in Loop: Header=BB230_1574 Depth=1
	v_dual_lshrrev_b32 v8, 3, v12 :: v_dual_bitop2_b32 v16, 7, v13 bitop3:0x40
	s_mov_b32 s16, exec_lo
	v_cmpx_gt_u32_e32 8, v12
; %bb.2282:                             ;   in Loop: Header=BB230_1574 Depth=1
	s_delay_alu instid0(VALU_DEP_2) | instskip(NEXT) | instid1(VALU_DEP_1)
	v_clz_i32_u32_e32 v8, v16
	v_min_u32_e32 v8, 32, v8
	s_delay_alu instid0(VALU_DEP_1) | instskip(NEXT) | instid1(VALU_DEP_1)
	v_subrev_nc_u32_e32 v9, 28, v8
	v_lshlrev_b64_e32 v[14:15], v9, v[16:17]
	s_delay_alu instid0(VALU_DEP_1)
	v_dual_sub_nc_u32 v8, 29, v8 :: v_dual_bitop2_b32 v16, 7, v14 bitop3:0x40
; %bb.2283:                             ;   in Loop: Header=BB230_1574 Depth=1
	s_or_b32 exec_lo, exec_lo, s16
	s_delay_alu instid0(VALU_DEP_1) | instskip(NEXT) | instid1(VALU_DEP_2)
	v_dual_lshlrev_b32 v9, 24, v13 :: v_dual_lshlrev_b32 v12, 20, v16
	v_lshl_add_u32 v8, v8, 23, 0x3c000000
	s_delay_alu instid0(VALU_DEP_2) | instskip(NEXT) | instid1(VALU_DEP_1)
	v_and_b32_e32 v9, 0x80000000, v9
	v_or3_b32 v9, v12, v9, v8
	v_mov_b32_e32 v8, v17
.LBB230_2284:                           ;   in Loop: Header=BB230_1574 Depth=1
	s_or_b32 exec_lo, exec_lo, s9
.LBB230_2285:                           ;   in Loop: Header=BB230_1574 Depth=1
	s_delay_alu instid0(SALU_CYCLE_1)
	s_or_b32 exec_lo, exec_lo, s8
.LBB230_2286:                           ;   in Loop: Header=BB230_1574 Depth=1
	s_delay_alu instid0(SALU_CYCLE_1) | instskip(SKIP_4) | instid1(VALU_DEP_3)
	s_or_b32 exec_lo, exec_lo, s3
	v_or_b32_e32 v1, v1, v7
	v_or_b32_e32 v0, v0, v6
	;; [unrolled: 1-line block ×4, first 2 shown]
	v_pk_mul_f32 v[0:1], v[70:71], v[0:1]
	scratch_store_b64 off, v[0:1], s32 offset:532 ; 8-byte Folded Spill
	s_wait_xcnt 0x0
	v_pk_mul_f32 v[0:1], v[70:71], v[6:7]
	scratch_store_b64 off, v[0:1], s32 offset:524 ; 8-byte Folded Spill
	s_wait_xcnt 0x0
	s_and_saveexec_b32 s3, vcc_lo
	s_cbranch_execz .LBB230_2288
; %bb.2287:                             ;   in Loop: Header=BB230_1574 Depth=1
	s_clause 0x1
	scratch_load_b64 v[0:1], off, s32 offset:200
	scratch_load_b64 v[6:7], off, s32 offset:532 th:TH_LOAD_LU
	s_wait_loadcnt 0x1
	v_cmp_lt_i32_e64 s0, v18, v0
	s_wait_loadcnt 0x0
	s_delay_alu instid0(VALU_DEP_1) | instskip(SKIP_1) | instid1(VALU_DEP_1)
	v_cndmask_b32_e64 v6, 0, v6, s0
	v_cmp_lt_i32_e64 s0, v19, v0
	v_cndmask_b32_e64 v7, 0, v7, s0
	v_cmp_lt_i32_e64 s0, v21, v0
	s_clause 0x1
	scratch_store_b64 off, v[6:7], s32 offset:532
	scratch_load_b64 v[6:7], off, s32 offset:524 th:TH_LOAD_LU
	s_wait_loadcnt 0x0
	v_cndmask_b32_e64 v6, 0, v6, s0
	v_cmp_lt_i32_e64 s0, v20, v0
	s_delay_alu instid0(VALU_DEP_1)
	v_cndmask_b32_e64 v7, 0, v7, s0
	scratch_store_b64 off, v[6:7], s32 offset:524 ; 8-byte Folded Spill
.LBB230_2288:                           ;   in Loop: Header=BB230_1574 Depth=1
	s_wait_xcnt 0x0
	s_or_b32 exec_lo, exec_lo, s3
	flat_load_b32 v12, v[116:117] offset:2688
	v_mov_b64_e32 v[0:1], 0
	v_mov_b64_e32 v[6:7], 0
	s_mov_b32 s3, exec_lo
	s_wait_loadcnt_dscnt 0x0
	v_and_b32_e32 v8, 0xff, v12
	s_wait_xcnt 0x0
	s_delay_alu instid0(VALU_DEP_1)
	v_cmpx_ne_u16_e32 0, v8
	s_cbranch_execz .LBB230_2296
; %bb.2289:                             ;   in Loop: Header=BB230_1574 Depth=1
	v_mov_b64_e32 v[6:7], 0x80000000
	s_mov_b32 s8, exec_lo
	v_cmpx_ne_u16_e32 0x80, v8
	s_cbranch_execz .LBB230_2295
; %bb.2290:                             ;   in Loop: Header=BB230_1574 Depth=1
	v_mov_b64_e32 v[6:7], 0x7f800001
	v_and_b32_e32 v8, 0x7f, v12
	s_mov_b32 s9, exec_lo
	s_delay_alu instid0(VALU_DEP_1)
	v_cmpx_ne_u32_e32 0x7f, v8
	s_cbranch_execz .LBB230_2294
; %bb.2291:                             ;   in Loop: Header=BB230_1574 Depth=1
	v_and_b32_e32 v16, 7, v12
	v_lshrrev_b32_e32 v6, 3, v8
	s_mov_b32 s16, exec_lo
	v_cmpx_gt_u32_e32 8, v8
; %bb.2292:                             ;   in Loop: Header=BB230_1574 Depth=1
	s_delay_alu instid0(VALU_DEP_3) | instskip(NEXT) | instid1(VALU_DEP_1)
	v_clz_i32_u32_e32 v6, v16
	v_min_u32_e32 v6, 32, v6
	s_delay_alu instid0(VALU_DEP_1) | instskip(NEXT) | instid1(VALU_DEP_1)
	v_subrev_nc_u32_e32 v7, 28, v6
	v_lshlrev_b64_e32 v[8:9], v7, v[16:17]
	s_delay_alu instid0(VALU_DEP_1)
	v_dual_sub_nc_u32 v6, 29, v6 :: v_dual_bitop2_b32 v16, 7, v8 bitop3:0x40
; %bb.2293:                             ;   in Loop: Header=BB230_1574 Depth=1
	s_or_b32 exec_lo, exec_lo, s16
	v_lshlrev_b32_e32 v7, 24, v12
	s_delay_alu instid0(VALU_DEP_2) | instskip(NEXT) | instid1(VALU_DEP_3)
	v_lshlrev_b32_e32 v8, 20, v16
	v_lshl_add_u32 v6, v6, 23, 0x3c000000
	s_delay_alu instid0(VALU_DEP_3) | instskip(NEXT) | instid1(VALU_DEP_1)
	v_and_b32_e32 v7, 0x80000000, v7
	v_or3_b32 v16, v8, v7, v6
	s_delay_alu instid0(VALU_DEP_1)
	v_mov_b64_e32 v[6:7], v[16:17]
.LBB230_2294:                           ;   in Loop: Header=BB230_1574 Depth=1
	s_or_b32 exec_lo, exec_lo, s9
.LBB230_2295:                           ;   in Loop: Header=BB230_1574 Depth=1
	s_delay_alu instid0(SALU_CYCLE_1)
	s_or_b32 exec_lo, exec_lo, s8
.LBB230_2296:                           ;   in Loop: Header=BB230_1574 Depth=1
	s_delay_alu instid0(SALU_CYCLE_1) | instskip(SKIP_2) | instid1(VALU_DEP_1)
	s_or_b32 exec_lo, exec_lo, s3
	v_lshrrev_b16 v8, 8, v12
	s_mov_b32 s3, exec_lo
	v_cmpx_ne_u16_e32 0, v8
	s_cbranch_execz .LBB230_2304
; %bb.2297:                             ;   in Loop: Header=BB230_1574 Depth=1
	v_mov_b64_e32 v[0:1], 0x8000000000000000
	s_mov_b32 s8, exec_lo
	v_cmpx_ne_u16_e32 0x80, v8
	s_cbranch_execz .LBB230_2303
; %bb.2298:                             ;   in Loop: Header=BB230_1574 Depth=1
	v_and_b32_e32 v9, 0xffff, v8
	v_mov_b64_e32 v[0:1], 0x7f80000100000000
	s_mov_b32 s9, exec_lo
	s_delay_alu instid0(VALU_DEP_2) | instskip(NEXT) | instid1(VALU_DEP_1)
	v_and_b32_e32 v8, 0x7f, v9
	v_cmpx_ne_u32_e32 0x7f, v8
	s_cbranch_execz .LBB230_2302
; %bb.2299:                             ;   in Loop: Header=BB230_1574 Depth=1
	v_dual_lshrrev_b32 v0, 3, v8 :: v_dual_bitop2_b32 v16, 7, v9 bitop3:0x40
	s_mov_b32 s16, exec_lo
	v_cmpx_gt_u32_e32 8, v8
; %bb.2300:                             ;   in Loop: Header=BB230_1574 Depth=1
	s_delay_alu instid0(VALU_DEP_2) | instskip(NEXT) | instid1(VALU_DEP_1)
	v_clz_i32_u32_e32 v0, v16
	v_min_u32_e32 v0, 32, v0
	s_delay_alu instid0(VALU_DEP_1) | instskip(SKIP_1) | instid1(VALU_DEP_2)
	v_subrev_nc_u32_e32 v1, 28, v0
	v_sub_nc_u32_e32 v0, 29, v0
	v_lshlrev_b64_e32 v[8:9], v1, v[16:17]
	s_delay_alu instid0(VALU_DEP_1)
	v_and_b32_e32 v16, 7, v8
; %bb.2301:                             ;   in Loop: Header=BB230_1574 Depth=1
	s_or_b32 exec_lo, exec_lo, s16
	v_lshlrev_b32_e32 v1, 16, v12
	s_delay_alu instid0(VALU_DEP_2) | instskip(SKIP_1) | instid1(VALU_DEP_3)
	v_lshlrev_b32_e32 v8, 20, v16
	v_lshl_add_u32 v0, v0, 23, 0x3c000000
	v_and_b32_e32 v1, 0x80000000, v1
	s_delay_alu instid0(VALU_DEP_1)
	v_or3_b32 v1, v8, v1, v0
	v_mov_b32_e32 v0, v17
.LBB230_2302:                           ;   in Loop: Header=BB230_1574 Depth=1
	s_or_b32 exec_lo, exec_lo, s9
.LBB230_2303:                           ;   in Loop: Header=BB230_1574 Depth=1
	s_delay_alu instid0(SALU_CYCLE_1)
	s_or_b32 exec_lo, exec_lo, s8
.LBB230_2304:                           ;   in Loop: Header=BB230_1574 Depth=1
	s_delay_alu instid0(SALU_CYCLE_1) | instskip(SKIP_4) | instid1(VALU_DEP_3)
	s_or_b32 exec_lo, exec_lo, s3
	v_lshrrev_b32_e32 v13, 16, v12
	v_mov_b64_e32 v[8:9], 0
	v_mov_b64_e32 v[10:11], 0
	s_mov_b32 s3, exec_lo
	v_and_b32_e32 v14, 0xff, v13
	s_delay_alu instid0(VALU_DEP_1)
	v_cmpx_ne_u16_e32 0, v14
	s_cbranch_execz .LBB230_2312
; %bb.2305:                             ;   in Loop: Header=BB230_1574 Depth=1
	v_mov_b64_e32 v[10:11], 0x80000000
	s_mov_b32 s8, exec_lo
	v_cmpx_ne_u16_e32 0x80, v14
	s_cbranch_execz .LBB230_2311
; %bb.2306:                             ;   in Loop: Header=BB230_1574 Depth=1
	v_mov_b64_e32 v[10:11], 0x7f800001
	v_bfe_u32 v14, v12, 16, 7
	s_mov_b32 s9, exec_lo
	s_delay_alu instid0(VALU_DEP_1)
	v_cmpx_ne_u32_e32 0x7f, v14
	s_cbranch_execz .LBB230_2310
; %bb.2307:                             ;   in Loop: Header=BB230_1574 Depth=1
	v_dual_lshrrev_b32 v10, 3, v14 :: v_dual_bitop2_b32 v16, 7, v13 bitop3:0x40
	s_mov_b32 s16, exec_lo
	v_cmpx_gt_u32_e32 8, v14
; %bb.2308:                             ;   in Loop: Header=BB230_1574 Depth=1
	s_delay_alu instid0(VALU_DEP_2) | instskip(NEXT) | instid1(VALU_DEP_1)
	v_clz_i32_u32_e32 v10, v16
	v_min_u32_e32 v10, 32, v10
	s_delay_alu instid0(VALU_DEP_1) | instskip(SKIP_1) | instid1(VALU_DEP_2)
	v_subrev_nc_u32_e32 v11, 28, v10
	v_sub_nc_u32_e32 v10, 29, v10
	v_lshlrev_b64_e32 v[14:15], v11, v[16:17]
	s_delay_alu instid0(VALU_DEP_1)
	v_and_b32_e32 v16, 7, v14
; %bb.2309:                             ;   in Loop: Header=BB230_1574 Depth=1
	s_or_b32 exec_lo, exec_lo, s16
	s_delay_alu instid0(VALU_DEP_1) | instskip(SKIP_1) | instid1(VALU_DEP_2)
	v_dual_lshlrev_b32 v11, 24, v13 :: v_dual_lshlrev_b32 v13, 20, v16
	v_lshl_add_u32 v10, v10, 23, 0x3c000000
	v_and_b32_e32 v11, 0x80000000, v11
	s_delay_alu instid0(VALU_DEP_1) | instskip(NEXT) | instid1(VALU_DEP_1)
	v_or3_b32 v16, v13, v11, v10
	v_mov_b64_e32 v[10:11], v[16:17]
.LBB230_2310:                           ;   in Loop: Header=BB230_1574 Depth=1
	s_or_b32 exec_lo, exec_lo, s9
.LBB230_2311:                           ;   in Loop: Header=BB230_1574 Depth=1
	s_delay_alu instid0(SALU_CYCLE_1)
	s_or_b32 exec_lo, exec_lo, s8
.LBB230_2312:                           ;   in Loop: Header=BB230_1574 Depth=1
	s_delay_alu instid0(SALU_CYCLE_1) | instskip(NEXT) | instid1(SALU_CYCLE_1)
	s_or_b32 exec_lo, exec_lo, s3
	s_mov_b32 s3, exec_lo
	v_cmpx_lt_u32_e32 0xffffff, v12
	s_cbranch_execz .LBB230_2320
; %bb.2313:                             ;   in Loop: Header=BB230_1574 Depth=1
	v_mov_b64_e32 v[8:9], 0x8000000000000000
	v_lshrrev_b32_e32 v13, 24, v12
	s_mov_b32 s8, exec_lo
	s_delay_alu instid0(VALU_DEP_1)
	v_cmpx_ne_u32_e32 0x80, v13
	s_cbranch_execz .LBB230_2319
; %bb.2314:                             ;   in Loop: Header=BB230_1574 Depth=1
	v_mov_b64_e32 v[8:9], 0x7f80000100000000
	v_bfe_u32 v12, v12, 24, 7
	s_mov_b32 s9, exec_lo
	s_delay_alu instid0(VALU_DEP_1)
	v_cmpx_ne_u32_e32 0x7f, v12
	s_cbranch_execz .LBB230_2318
; %bb.2315:                             ;   in Loop: Header=BB230_1574 Depth=1
	v_dual_lshrrev_b32 v8, 3, v12 :: v_dual_bitop2_b32 v16, 7, v13 bitop3:0x40
	s_mov_b32 s16, exec_lo
	v_cmpx_gt_u32_e32 8, v12
; %bb.2316:                             ;   in Loop: Header=BB230_1574 Depth=1
	s_delay_alu instid0(VALU_DEP_2) | instskip(NEXT) | instid1(VALU_DEP_1)
	v_clz_i32_u32_e32 v8, v16
	v_min_u32_e32 v8, 32, v8
	s_delay_alu instid0(VALU_DEP_1) | instskip(NEXT) | instid1(VALU_DEP_1)
	v_subrev_nc_u32_e32 v9, 28, v8
	v_lshlrev_b64_e32 v[14:15], v9, v[16:17]
	s_delay_alu instid0(VALU_DEP_1)
	v_dual_sub_nc_u32 v8, 29, v8 :: v_dual_bitop2_b32 v16, 7, v14 bitop3:0x40
; %bb.2317:                             ;   in Loop: Header=BB230_1574 Depth=1
	s_or_b32 exec_lo, exec_lo, s16
	s_delay_alu instid0(VALU_DEP_1) | instskip(NEXT) | instid1(VALU_DEP_2)
	v_dual_lshlrev_b32 v9, 24, v13 :: v_dual_lshlrev_b32 v12, 20, v16
	v_lshl_add_u32 v8, v8, 23, 0x3c000000
	s_delay_alu instid0(VALU_DEP_2) | instskip(NEXT) | instid1(VALU_DEP_1)
	v_and_b32_e32 v9, 0x80000000, v9
	v_or3_b32 v9, v12, v9, v8
	v_mov_b32_e32 v8, v17
.LBB230_2318:                           ;   in Loop: Header=BB230_1574 Depth=1
	s_or_b32 exec_lo, exec_lo, s9
.LBB230_2319:                           ;   in Loop: Header=BB230_1574 Depth=1
	s_delay_alu instid0(SALU_CYCLE_1)
	s_or_b32 exec_lo, exec_lo, s8
.LBB230_2320:                           ;   in Loop: Header=BB230_1574 Depth=1
	s_delay_alu instid0(SALU_CYCLE_1) | instskip(SKIP_4) | instid1(VALU_DEP_3)
	s_or_b32 exec_lo, exec_lo, s3
	v_or_b32_e32 v1, v1, v7
	v_or_b32_e32 v0, v0, v6
	;; [unrolled: 1-line block ×4, first 2 shown]
	v_pk_mul_f32 v[0:1], v[70:71], v[0:1]
	scratch_store_b64 off, v[0:1], s32 offset:548 ; 8-byte Folded Spill
	s_wait_xcnt 0x0
	v_pk_mul_f32 v[0:1], v[70:71], v[6:7]
	scratch_store_b64 off, v[0:1], s32 offset:540 ; 8-byte Folded Spill
	s_wait_xcnt 0x0
	s_and_saveexec_b32 s3, vcc_lo
	s_cbranch_execz .LBB230_2322
; %bb.2321:                             ;   in Loop: Header=BB230_1574 Depth=1
	s_clause 0x1
	scratch_load_b64 v[0:1], off, s32 offset:200
	scratch_load_b64 v[6:7], off, s32 offset:548 th:TH_LOAD_LU
	s_wait_loadcnt 0x1
	v_cmp_lt_i32_e64 s0, v18, v0
	s_wait_loadcnt 0x0
	s_delay_alu instid0(VALU_DEP_1) | instskip(SKIP_1) | instid1(VALU_DEP_1)
	v_cndmask_b32_e64 v6, 0, v6, s0
	v_cmp_lt_i32_e64 s0, v19, v0
	v_cndmask_b32_e64 v7, 0, v7, s0
	v_cmp_lt_i32_e64 s0, v21, v0
	s_clause 0x1
	scratch_store_b64 off, v[6:7], s32 offset:548
	scratch_load_b64 v[6:7], off, s32 offset:540 th:TH_LOAD_LU
	s_wait_loadcnt 0x0
	v_cndmask_b32_e64 v6, 0, v6, s0
	v_cmp_lt_i32_e64 s0, v20, v0
	s_delay_alu instid0(VALU_DEP_1)
	v_cndmask_b32_e64 v7, 0, v7, s0
	scratch_store_b64 off, v[6:7], s32 offset:540 ; 8-byte Folded Spill
.LBB230_2322:                           ;   in Loop: Header=BB230_1574 Depth=1
	s_wait_xcnt 0x0
	s_or_b32 exec_lo, exec_lo, s3
	flat_load_b32 v12, v[116:117] offset:2816
	v_mov_b64_e32 v[0:1], 0
	v_mov_b64_e32 v[6:7], 0
	s_mov_b32 s3, exec_lo
	s_wait_loadcnt_dscnt 0x0
	v_and_b32_e32 v8, 0xff, v12
	s_wait_xcnt 0x0
	s_delay_alu instid0(VALU_DEP_1)
	v_cmpx_ne_u16_e32 0, v8
	s_cbranch_execz .LBB230_2330
; %bb.2323:                             ;   in Loop: Header=BB230_1574 Depth=1
	v_mov_b64_e32 v[6:7], 0x80000000
	s_mov_b32 s8, exec_lo
	v_cmpx_ne_u16_e32 0x80, v8
	s_cbranch_execz .LBB230_2329
; %bb.2324:                             ;   in Loop: Header=BB230_1574 Depth=1
	v_mov_b64_e32 v[6:7], 0x7f800001
	v_and_b32_e32 v8, 0x7f, v12
	s_mov_b32 s9, exec_lo
	s_delay_alu instid0(VALU_DEP_1)
	v_cmpx_ne_u32_e32 0x7f, v8
	s_cbranch_execz .LBB230_2328
; %bb.2325:                             ;   in Loop: Header=BB230_1574 Depth=1
	v_and_b32_e32 v16, 7, v12
	v_lshrrev_b32_e32 v6, 3, v8
	s_mov_b32 s16, exec_lo
	v_cmpx_gt_u32_e32 8, v8
; %bb.2326:                             ;   in Loop: Header=BB230_1574 Depth=1
	s_delay_alu instid0(VALU_DEP_3) | instskip(NEXT) | instid1(VALU_DEP_1)
	v_clz_i32_u32_e32 v6, v16
	v_min_u32_e32 v6, 32, v6
	s_delay_alu instid0(VALU_DEP_1) | instskip(NEXT) | instid1(VALU_DEP_1)
	v_subrev_nc_u32_e32 v7, 28, v6
	v_lshlrev_b64_e32 v[8:9], v7, v[16:17]
	s_delay_alu instid0(VALU_DEP_1)
	v_dual_sub_nc_u32 v6, 29, v6 :: v_dual_bitop2_b32 v16, 7, v8 bitop3:0x40
; %bb.2327:                             ;   in Loop: Header=BB230_1574 Depth=1
	s_or_b32 exec_lo, exec_lo, s16
	v_lshlrev_b32_e32 v7, 24, v12
	s_delay_alu instid0(VALU_DEP_2) | instskip(NEXT) | instid1(VALU_DEP_3)
	v_lshlrev_b32_e32 v8, 20, v16
	v_lshl_add_u32 v6, v6, 23, 0x3c000000
	s_delay_alu instid0(VALU_DEP_3) | instskip(NEXT) | instid1(VALU_DEP_1)
	v_and_b32_e32 v7, 0x80000000, v7
	v_or3_b32 v16, v8, v7, v6
	s_delay_alu instid0(VALU_DEP_1)
	v_mov_b64_e32 v[6:7], v[16:17]
.LBB230_2328:                           ;   in Loop: Header=BB230_1574 Depth=1
	s_or_b32 exec_lo, exec_lo, s9
.LBB230_2329:                           ;   in Loop: Header=BB230_1574 Depth=1
	s_delay_alu instid0(SALU_CYCLE_1)
	s_or_b32 exec_lo, exec_lo, s8
.LBB230_2330:                           ;   in Loop: Header=BB230_1574 Depth=1
	s_delay_alu instid0(SALU_CYCLE_1) | instskip(SKIP_2) | instid1(VALU_DEP_1)
	s_or_b32 exec_lo, exec_lo, s3
	v_lshrrev_b16 v8, 8, v12
	s_mov_b32 s3, exec_lo
	v_cmpx_ne_u16_e32 0, v8
	s_cbranch_execz .LBB230_2338
; %bb.2331:                             ;   in Loop: Header=BB230_1574 Depth=1
	v_mov_b64_e32 v[0:1], 0x8000000000000000
	s_mov_b32 s8, exec_lo
	v_cmpx_ne_u16_e32 0x80, v8
	s_cbranch_execz .LBB230_2337
; %bb.2332:                             ;   in Loop: Header=BB230_1574 Depth=1
	v_and_b32_e32 v9, 0xffff, v8
	v_mov_b64_e32 v[0:1], 0x7f80000100000000
	s_mov_b32 s9, exec_lo
	s_delay_alu instid0(VALU_DEP_2) | instskip(NEXT) | instid1(VALU_DEP_1)
	v_and_b32_e32 v8, 0x7f, v9
	v_cmpx_ne_u32_e32 0x7f, v8
	s_cbranch_execz .LBB230_2336
; %bb.2333:                             ;   in Loop: Header=BB230_1574 Depth=1
	v_dual_lshrrev_b32 v0, 3, v8 :: v_dual_bitop2_b32 v16, 7, v9 bitop3:0x40
	s_mov_b32 s16, exec_lo
	v_cmpx_gt_u32_e32 8, v8
; %bb.2334:                             ;   in Loop: Header=BB230_1574 Depth=1
	s_delay_alu instid0(VALU_DEP_2) | instskip(NEXT) | instid1(VALU_DEP_1)
	v_clz_i32_u32_e32 v0, v16
	v_min_u32_e32 v0, 32, v0
	s_delay_alu instid0(VALU_DEP_1) | instskip(SKIP_1) | instid1(VALU_DEP_2)
	v_subrev_nc_u32_e32 v1, 28, v0
	v_sub_nc_u32_e32 v0, 29, v0
	v_lshlrev_b64_e32 v[8:9], v1, v[16:17]
	s_delay_alu instid0(VALU_DEP_1)
	v_and_b32_e32 v16, 7, v8
; %bb.2335:                             ;   in Loop: Header=BB230_1574 Depth=1
	s_or_b32 exec_lo, exec_lo, s16
	v_lshlrev_b32_e32 v1, 16, v12
	s_delay_alu instid0(VALU_DEP_2) | instskip(SKIP_1) | instid1(VALU_DEP_3)
	v_lshlrev_b32_e32 v8, 20, v16
	v_lshl_add_u32 v0, v0, 23, 0x3c000000
	v_and_b32_e32 v1, 0x80000000, v1
	s_delay_alu instid0(VALU_DEP_1)
	v_or3_b32 v1, v8, v1, v0
	v_mov_b32_e32 v0, v17
.LBB230_2336:                           ;   in Loop: Header=BB230_1574 Depth=1
	s_or_b32 exec_lo, exec_lo, s9
.LBB230_2337:                           ;   in Loop: Header=BB230_1574 Depth=1
	s_delay_alu instid0(SALU_CYCLE_1)
	s_or_b32 exec_lo, exec_lo, s8
.LBB230_2338:                           ;   in Loop: Header=BB230_1574 Depth=1
	s_delay_alu instid0(SALU_CYCLE_1) | instskip(SKIP_4) | instid1(VALU_DEP_3)
	s_or_b32 exec_lo, exec_lo, s3
	v_lshrrev_b32_e32 v13, 16, v12
	v_mov_b64_e32 v[8:9], 0
	v_mov_b64_e32 v[10:11], 0
	s_mov_b32 s3, exec_lo
	v_and_b32_e32 v14, 0xff, v13
	s_delay_alu instid0(VALU_DEP_1)
	v_cmpx_ne_u16_e32 0, v14
	s_cbranch_execz .LBB230_2346
; %bb.2339:                             ;   in Loop: Header=BB230_1574 Depth=1
	v_mov_b64_e32 v[10:11], 0x80000000
	s_mov_b32 s8, exec_lo
	v_cmpx_ne_u16_e32 0x80, v14
	s_cbranch_execz .LBB230_2345
; %bb.2340:                             ;   in Loop: Header=BB230_1574 Depth=1
	v_mov_b64_e32 v[10:11], 0x7f800001
	v_bfe_u32 v14, v12, 16, 7
	s_mov_b32 s9, exec_lo
	s_delay_alu instid0(VALU_DEP_1)
	v_cmpx_ne_u32_e32 0x7f, v14
	s_cbranch_execz .LBB230_2344
; %bb.2341:                             ;   in Loop: Header=BB230_1574 Depth=1
	v_dual_lshrrev_b32 v10, 3, v14 :: v_dual_bitop2_b32 v16, 7, v13 bitop3:0x40
	s_mov_b32 s16, exec_lo
	v_cmpx_gt_u32_e32 8, v14
; %bb.2342:                             ;   in Loop: Header=BB230_1574 Depth=1
	s_delay_alu instid0(VALU_DEP_2) | instskip(NEXT) | instid1(VALU_DEP_1)
	v_clz_i32_u32_e32 v10, v16
	v_min_u32_e32 v10, 32, v10
	s_delay_alu instid0(VALU_DEP_1) | instskip(SKIP_1) | instid1(VALU_DEP_2)
	v_subrev_nc_u32_e32 v11, 28, v10
	v_sub_nc_u32_e32 v10, 29, v10
	v_lshlrev_b64_e32 v[14:15], v11, v[16:17]
	s_delay_alu instid0(VALU_DEP_1)
	v_and_b32_e32 v16, 7, v14
; %bb.2343:                             ;   in Loop: Header=BB230_1574 Depth=1
	s_or_b32 exec_lo, exec_lo, s16
	s_delay_alu instid0(VALU_DEP_1) | instskip(SKIP_1) | instid1(VALU_DEP_2)
	v_dual_lshlrev_b32 v11, 24, v13 :: v_dual_lshlrev_b32 v13, 20, v16
	v_lshl_add_u32 v10, v10, 23, 0x3c000000
	v_and_b32_e32 v11, 0x80000000, v11
	s_delay_alu instid0(VALU_DEP_1) | instskip(NEXT) | instid1(VALU_DEP_1)
	v_or3_b32 v16, v13, v11, v10
	v_mov_b64_e32 v[10:11], v[16:17]
.LBB230_2344:                           ;   in Loop: Header=BB230_1574 Depth=1
	s_or_b32 exec_lo, exec_lo, s9
.LBB230_2345:                           ;   in Loop: Header=BB230_1574 Depth=1
	s_delay_alu instid0(SALU_CYCLE_1)
	s_or_b32 exec_lo, exec_lo, s8
.LBB230_2346:                           ;   in Loop: Header=BB230_1574 Depth=1
	s_delay_alu instid0(SALU_CYCLE_1) | instskip(NEXT) | instid1(SALU_CYCLE_1)
	s_or_b32 exec_lo, exec_lo, s3
	s_mov_b32 s3, exec_lo
	v_cmpx_lt_u32_e32 0xffffff, v12
	s_cbranch_execz .LBB230_2354
; %bb.2347:                             ;   in Loop: Header=BB230_1574 Depth=1
	v_mov_b64_e32 v[8:9], 0x8000000000000000
	v_lshrrev_b32_e32 v13, 24, v12
	s_mov_b32 s8, exec_lo
	s_delay_alu instid0(VALU_DEP_1)
	v_cmpx_ne_u32_e32 0x80, v13
	s_cbranch_execz .LBB230_2353
; %bb.2348:                             ;   in Loop: Header=BB230_1574 Depth=1
	v_mov_b64_e32 v[8:9], 0x7f80000100000000
	v_bfe_u32 v12, v12, 24, 7
	s_mov_b32 s9, exec_lo
	s_delay_alu instid0(VALU_DEP_1)
	v_cmpx_ne_u32_e32 0x7f, v12
	s_cbranch_execz .LBB230_2352
; %bb.2349:                             ;   in Loop: Header=BB230_1574 Depth=1
	v_dual_lshrrev_b32 v8, 3, v12 :: v_dual_bitop2_b32 v16, 7, v13 bitop3:0x40
	s_mov_b32 s16, exec_lo
	v_cmpx_gt_u32_e32 8, v12
; %bb.2350:                             ;   in Loop: Header=BB230_1574 Depth=1
	s_delay_alu instid0(VALU_DEP_2) | instskip(NEXT) | instid1(VALU_DEP_1)
	v_clz_i32_u32_e32 v8, v16
	v_min_u32_e32 v8, 32, v8
	s_delay_alu instid0(VALU_DEP_1) | instskip(NEXT) | instid1(VALU_DEP_1)
	v_subrev_nc_u32_e32 v9, 28, v8
	v_lshlrev_b64_e32 v[14:15], v9, v[16:17]
	s_delay_alu instid0(VALU_DEP_1)
	v_dual_sub_nc_u32 v8, 29, v8 :: v_dual_bitop2_b32 v16, 7, v14 bitop3:0x40
; %bb.2351:                             ;   in Loop: Header=BB230_1574 Depth=1
	s_or_b32 exec_lo, exec_lo, s16
	s_delay_alu instid0(VALU_DEP_1) | instskip(NEXT) | instid1(VALU_DEP_2)
	v_dual_lshlrev_b32 v9, 24, v13 :: v_dual_lshlrev_b32 v12, 20, v16
	v_lshl_add_u32 v8, v8, 23, 0x3c000000
	s_delay_alu instid0(VALU_DEP_2) | instskip(NEXT) | instid1(VALU_DEP_1)
	v_and_b32_e32 v9, 0x80000000, v9
	v_or3_b32 v9, v12, v9, v8
	v_mov_b32_e32 v8, v17
.LBB230_2352:                           ;   in Loop: Header=BB230_1574 Depth=1
	s_or_b32 exec_lo, exec_lo, s9
.LBB230_2353:                           ;   in Loop: Header=BB230_1574 Depth=1
	s_delay_alu instid0(SALU_CYCLE_1)
	s_or_b32 exec_lo, exec_lo, s8
.LBB230_2354:                           ;   in Loop: Header=BB230_1574 Depth=1
	s_delay_alu instid0(SALU_CYCLE_1) | instskip(SKIP_4) | instid1(VALU_DEP_3)
	s_or_b32 exec_lo, exec_lo, s3
	v_or_b32_e32 v1, v1, v7
	v_or_b32_e32 v0, v0, v6
	;; [unrolled: 1-line block ×4, first 2 shown]
	v_pk_mul_f32 v[0:1], v[70:71], v[0:1]
	scratch_store_b64 off, v[0:1], s32 offset:564 ; 8-byte Folded Spill
	s_wait_xcnt 0x0
	v_pk_mul_f32 v[0:1], v[70:71], v[6:7]
	scratch_store_b64 off, v[0:1], s32 offset:556 ; 8-byte Folded Spill
	s_wait_xcnt 0x0
	s_and_saveexec_b32 s3, vcc_lo
	s_cbranch_execz .LBB230_2356
; %bb.2355:                             ;   in Loop: Header=BB230_1574 Depth=1
	s_clause 0x1
	scratch_load_b64 v[0:1], off, s32 offset:200
	scratch_load_b64 v[6:7], off, s32 offset:564 th:TH_LOAD_LU
	s_wait_loadcnt 0x1
	v_cmp_lt_i32_e64 s0, v18, v0
	s_wait_loadcnt 0x0
	s_delay_alu instid0(VALU_DEP_1) | instskip(SKIP_1) | instid1(VALU_DEP_1)
	v_cndmask_b32_e64 v6, 0, v6, s0
	v_cmp_lt_i32_e64 s0, v19, v0
	v_cndmask_b32_e64 v7, 0, v7, s0
	v_cmp_lt_i32_e64 s0, v21, v0
	s_clause 0x1
	scratch_store_b64 off, v[6:7], s32 offset:564
	scratch_load_b64 v[6:7], off, s32 offset:556 th:TH_LOAD_LU
	s_wait_loadcnt 0x0
	v_cndmask_b32_e64 v6, 0, v6, s0
	v_cmp_lt_i32_e64 s0, v20, v0
	s_delay_alu instid0(VALU_DEP_1)
	v_cndmask_b32_e64 v7, 0, v7, s0
	scratch_store_b64 off, v[6:7], s32 offset:556 ; 8-byte Folded Spill
.LBB230_2356:                           ;   in Loop: Header=BB230_1574 Depth=1
	s_wait_xcnt 0x0
	s_or_b32 exec_lo, exec_lo, s3
	flat_load_b32 v12, v[116:117] offset:2944
	v_mov_b64_e32 v[0:1], 0
	v_mov_b64_e32 v[6:7], 0
	s_mov_b32 s3, exec_lo
	s_wait_loadcnt_dscnt 0x0
	v_and_b32_e32 v8, 0xff, v12
	s_wait_xcnt 0x0
	s_delay_alu instid0(VALU_DEP_1)
	v_cmpx_ne_u16_e32 0, v8
	s_cbranch_execz .LBB230_2364
; %bb.2357:                             ;   in Loop: Header=BB230_1574 Depth=1
	v_mov_b64_e32 v[6:7], 0x80000000
	s_mov_b32 s8, exec_lo
	v_cmpx_ne_u16_e32 0x80, v8
	s_cbranch_execz .LBB230_2363
; %bb.2358:                             ;   in Loop: Header=BB230_1574 Depth=1
	v_mov_b64_e32 v[6:7], 0x7f800001
	v_and_b32_e32 v8, 0x7f, v12
	s_mov_b32 s9, exec_lo
	s_delay_alu instid0(VALU_DEP_1)
	v_cmpx_ne_u32_e32 0x7f, v8
	s_cbranch_execz .LBB230_2362
; %bb.2359:                             ;   in Loop: Header=BB230_1574 Depth=1
	v_and_b32_e32 v16, 7, v12
	v_lshrrev_b32_e32 v6, 3, v8
	s_mov_b32 s16, exec_lo
	v_cmpx_gt_u32_e32 8, v8
; %bb.2360:                             ;   in Loop: Header=BB230_1574 Depth=1
	s_delay_alu instid0(VALU_DEP_3) | instskip(NEXT) | instid1(VALU_DEP_1)
	v_clz_i32_u32_e32 v6, v16
	v_min_u32_e32 v6, 32, v6
	s_delay_alu instid0(VALU_DEP_1) | instskip(NEXT) | instid1(VALU_DEP_1)
	v_subrev_nc_u32_e32 v7, 28, v6
	v_lshlrev_b64_e32 v[8:9], v7, v[16:17]
	s_delay_alu instid0(VALU_DEP_1)
	v_dual_sub_nc_u32 v6, 29, v6 :: v_dual_bitop2_b32 v16, 7, v8 bitop3:0x40
; %bb.2361:                             ;   in Loop: Header=BB230_1574 Depth=1
	s_or_b32 exec_lo, exec_lo, s16
	v_lshlrev_b32_e32 v7, 24, v12
	s_delay_alu instid0(VALU_DEP_2) | instskip(NEXT) | instid1(VALU_DEP_3)
	v_lshlrev_b32_e32 v8, 20, v16
	v_lshl_add_u32 v6, v6, 23, 0x3c000000
	s_delay_alu instid0(VALU_DEP_3) | instskip(NEXT) | instid1(VALU_DEP_1)
	v_and_b32_e32 v7, 0x80000000, v7
	v_or3_b32 v16, v8, v7, v6
	s_delay_alu instid0(VALU_DEP_1)
	v_mov_b64_e32 v[6:7], v[16:17]
.LBB230_2362:                           ;   in Loop: Header=BB230_1574 Depth=1
	s_or_b32 exec_lo, exec_lo, s9
.LBB230_2363:                           ;   in Loop: Header=BB230_1574 Depth=1
	s_delay_alu instid0(SALU_CYCLE_1)
	s_or_b32 exec_lo, exec_lo, s8
.LBB230_2364:                           ;   in Loop: Header=BB230_1574 Depth=1
	s_delay_alu instid0(SALU_CYCLE_1) | instskip(SKIP_2) | instid1(VALU_DEP_1)
	s_or_b32 exec_lo, exec_lo, s3
	v_lshrrev_b16 v8, 8, v12
	s_mov_b32 s3, exec_lo
	v_cmpx_ne_u16_e32 0, v8
	s_cbranch_execz .LBB230_2372
; %bb.2365:                             ;   in Loop: Header=BB230_1574 Depth=1
	v_mov_b64_e32 v[0:1], 0x8000000000000000
	s_mov_b32 s8, exec_lo
	v_cmpx_ne_u16_e32 0x80, v8
	s_cbranch_execz .LBB230_2371
; %bb.2366:                             ;   in Loop: Header=BB230_1574 Depth=1
	v_and_b32_e32 v9, 0xffff, v8
	v_mov_b64_e32 v[0:1], 0x7f80000100000000
	s_mov_b32 s9, exec_lo
	s_delay_alu instid0(VALU_DEP_2) | instskip(NEXT) | instid1(VALU_DEP_1)
	v_and_b32_e32 v8, 0x7f, v9
	v_cmpx_ne_u32_e32 0x7f, v8
	s_cbranch_execz .LBB230_2370
; %bb.2367:                             ;   in Loop: Header=BB230_1574 Depth=1
	v_dual_lshrrev_b32 v0, 3, v8 :: v_dual_bitop2_b32 v16, 7, v9 bitop3:0x40
	s_mov_b32 s16, exec_lo
	v_cmpx_gt_u32_e32 8, v8
; %bb.2368:                             ;   in Loop: Header=BB230_1574 Depth=1
	s_delay_alu instid0(VALU_DEP_2) | instskip(NEXT) | instid1(VALU_DEP_1)
	v_clz_i32_u32_e32 v0, v16
	v_min_u32_e32 v0, 32, v0
	s_delay_alu instid0(VALU_DEP_1) | instskip(SKIP_1) | instid1(VALU_DEP_2)
	v_subrev_nc_u32_e32 v1, 28, v0
	v_sub_nc_u32_e32 v0, 29, v0
	v_lshlrev_b64_e32 v[8:9], v1, v[16:17]
	s_delay_alu instid0(VALU_DEP_1)
	v_and_b32_e32 v16, 7, v8
; %bb.2369:                             ;   in Loop: Header=BB230_1574 Depth=1
	s_or_b32 exec_lo, exec_lo, s16
	v_lshlrev_b32_e32 v1, 16, v12
	s_delay_alu instid0(VALU_DEP_2) | instskip(SKIP_1) | instid1(VALU_DEP_3)
	v_lshlrev_b32_e32 v8, 20, v16
	v_lshl_add_u32 v0, v0, 23, 0x3c000000
	v_and_b32_e32 v1, 0x80000000, v1
	s_delay_alu instid0(VALU_DEP_1)
	v_or3_b32 v1, v8, v1, v0
	v_mov_b32_e32 v0, v17
.LBB230_2370:                           ;   in Loop: Header=BB230_1574 Depth=1
	s_or_b32 exec_lo, exec_lo, s9
.LBB230_2371:                           ;   in Loop: Header=BB230_1574 Depth=1
	s_delay_alu instid0(SALU_CYCLE_1)
	s_or_b32 exec_lo, exec_lo, s8
.LBB230_2372:                           ;   in Loop: Header=BB230_1574 Depth=1
	s_delay_alu instid0(SALU_CYCLE_1) | instskip(SKIP_4) | instid1(VALU_DEP_3)
	s_or_b32 exec_lo, exec_lo, s3
	v_lshrrev_b32_e32 v13, 16, v12
	v_mov_b64_e32 v[8:9], 0
	v_mov_b64_e32 v[10:11], 0
	s_mov_b32 s3, exec_lo
	v_and_b32_e32 v14, 0xff, v13
	s_delay_alu instid0(VALU_DEP_1)
	v_cmpx_ne_u16_e32 0, v14
	s_cbranch_execz .LBB230_2380
; %bb.2373:                             ;   in Loop: Header=BB230_1574 Depth=1
	v_mov_b64_e32 v[10:11], 0x80000000
	s_mov_b32 s8, exec_lo
	v_cmpx_ne_u16_e32 0x80, v14
	s_cbranch_execz .LBB230_2379
; %bb.2374:                             ;   in Loop: Header=BB230_1574 Depth=1
	v_mov_b64_e32 v[10:11], 0x7f800001
	v_bfe_u32 v14, v12, 16, 7
	s_mov_b32 s9, exec_lo
	s_delay_alu instid0(VALU_DEP_1)
	v_cmpx_ne_u32_e32 0x7f, v14
	s_cbranch_execz .LBB230_2378
; %bb.2375:                             ;   in Loop: Header=BB230_1574 Depth=1
	v_dual_lshrrev_b32 v10, 3, v14 :: v_dual_bitop2_b32 v16, 7, v13 bitop3:0x40
	s_mov_b32 s16, exec_lo
	v_cmpx_gt_u32_e32 8, v14
; %bb.2376:                             ;   in Loop: Header=BB230_1574 Depth=1
	s_delay_alu instid0(VALU_DEP_2) | instskip(NEXT) | instid1(VALU_DEP_1)
	v_clz_i32_u32_e32 v10, v16
	v_min_u32_e32 v10, 32, v10
	s_delay_alu instid0(VALU_DEP_1) | instskip(SKIP_1) | instid1(VALU_DEP_2)
	v_subrev_nc_u32_e32 v11, 28, v10
	v_sub_nc_u32_e32 v10, 29, v10
	v_lshlrev_b64_e32 v[14:15], v11, v[16:17]
	s_delay_alu instid0(VALU_DEP_1)
	v_and_b32_e32 v16, 7, v14
; %bb.2377:                             ;   in Loop: Header=BB230_1574 Depth=1
	s_or_b32 exec_lo, exec_lo, s16
	s_delay_alu instid0(VALU_DEP_1) | instskip(SKIP_1) | instid1(VALU_DEP_2)
	v_dual_lshlrev_b32 v11, 24, v13 :: v_dual_lshlrev_b32 v13, 20, v16
	v_lshl_add_u32 v10, v10, 23, 0x3c000000
	v_and_b32_e32 v11, 0x80000000, v11
	s_delay_alu instid0(VALU_DEP_1) | instskip(NEXT) | instid1(VALU_DEP_1)
	v_or3_b32 v16, v13, v11, v10
	v_mov_b64_e32 v[10:11], v[16:17]
.LBB230_2378:                           ;   in Loop: Header=BB230_1574 Depth=1
	s_or_b32 exec_lo, exec_lo, s9
.LBB230_2379:                           ;   in Loop: Header=BB230_1574 Depth=1
	s_delay_alu instid0(SALU_CYCLE_1)
	s_or_b32 exec_lo, exec_lo, s8
.LBB230_2380:                           ;   in Loop: Header=BB230_1574 Depth=1
	s_delay_alu instid0(SALU_CYCLE_1) | instskip(NEXT) | instid1(SALU_CYCLE_1)
	s_or_b32 exec_lo, exec_lo, s3
	s_mov_b32 s3, exec_lo
	v_cmpx_lt_u32_e32 0xffffff, v12
	s_cbranch_execz .LBB230_2388
; %bb.2381:                             ;   in Loop: Header=BB230_1574 Depth=1
	v_mov_b64_e32 v[8:9], 0x8000000000000000
	v_lshrrev_b32_e32 v13, 24, v12
	s_mov_b32 s8, exec_lo
	s_delay_alu instid0(VALU_DEP_1)
	v_cmpx_ne_u32_e32 0x80, v13
	s_cbranch_execz .LBB230_2387
; %bb.2382:                             ;   in Loop: Header=BB230_1574 Depth=1
	v_mov_b64_e32 v[8:9], 0x7f80000100000000
	v_bfe_u32 v12, v12, 24, 7
	s_mov_b32 s9, exec_lo
	s_delay_alu instid0(VALU_DEP_1)
	v_cmpx_ne_u32_e32 0x7f, v12
	s_cbranch_execz .LBB230_2386
; %bb.2383:                             ;   in Loop: Header=BB230_1574 Depth=1
	v_dual_lshrrev_b32 v8, 3, v12 :: v_dual_bitop2_b32 v16, 7, v13 bitop3:0x40
	s_mov_b32 s16, exec_lo
	v_cmpx_gt_u32_e32 8, v12
; %bb.2384:                             ;   in Loop: Header=BB230_1574 Depth=1
	s_delay_alu instid0(VALU_DEP_2) | instskip(NEXT) | instid1(VALU_DEP_1)
	v_clz_i32_u32_e32 v8, v16
	v_min_u32_e32 v8, 32, v8
	s_delay_alu instid0(VALU_DEP_1) | instskip(NEXT) | instid1(VALU_DEP_1)
	v_subrev_nc_u32_e32 v9, 28, v8
	v_lshlrev_b64_e32 v[14:15], v9, v[16:17]
	s_delay_alu instid0(VALU_DEP_1)
	v_dual_sub_nc_u32 v8, 29, v8 :: v_dual_bitop2_b32 v16, 7, v14 bitop3:0x40
; %bb.2385:                             ;   in Loop: Header=BB230_1574 Depth=1
	s_or_b32 exec_lo, exec_lo, s16
	s_delay_alu instid0(VALU_DEP_1) | instskip(NEXT) | instid1(VALU_DEP_2)
	v_dual_lshlrev_b32 v9, 24, v13 :: v_dual_lshlrev_b32 v12, 20, v16
	v_lshl_add_u32 v8, v8, 23, 0x3c000000
	s_delay_alu instid0(VALU_DEP_2) | instskip(NEXT) | instid1(VALU_DEP_1)
	v_and_b32_e32 v9, 0x80000000, v9
	v_or3_b32 v9, v12, v9, v8
	v_mov_b32_e32 v8, v17
.LBB230_2386:                           ;   in Loop: Header=BB230_1574 Depth=1
	s_or_b32 exec_lo, exec_lo, s9
.LBB230_2387:                           ;   in Loop: Header=BB230_1574 Depth=1
	s_delay_alu instid0(SALU_CYCLE_1)
	s_or_b32 exec_lo, exec_lo, s8
.LBB230_2388:                           ;   in Loop: Header=BB230_1574 Depth=1
	s_delay_alu instid0(SALU_CYCLE_1) | instskip(SKIP_4) | instid1(VALU_DEP_3)
	s_or_b32 exec_lo, exec_lo, s3
	v_or_b32_e32 v1, v1, v7
	v_or_b32_e32 v0, v0, v6
	;; [unrolled: 1-line block ×4, first 2 shown]
	v_pk_mul_f32 v[0:1], v[70:71], v[0:1]
	scratch_store_b64 off, v[0:1], s32 offset:580 ; 8-byte Folded Spill
	s_wait_xcnt 0x0
	v_pk_mul_f32 v[0:1], v[70:71], v[6:7]
	scratch_store_b64 off, v[0:1], s32 offset:572 ; 8-byte Folded Spill
	s_wait_xcnt 0x0
	s_and_saveexec_b32 s3, vcc_lo
	s_cbranch_execz .LBB230_2390
; %bb.2389:                             ;   in Loop: Header=BB230_1574 Depth=1
	s_clause 0x1
	scratch_load_b64 v[0:1], off, s32 offset:200
	scratch_load_b64 v[6:7], off, s32 offset:580 th:TH_LOAD_LU
	s_wait_loadcnt 0x1
	v_cmp_lt_i32_e64 s0, v18, v0
	s_wait_loadcnt 0x0
	s_delay_alu instid0(VALU_DEP_1) | instskip(SKIP_1) | instid1(VALU_DEP_1)
	v_cndmask_b32_e64 v6, 0, v6, s0
	v_cmp_lt_i32_e64 s0, v19, v0
	v_cndmask_b32_e64 v7, 0, v7, s0
	v_cmp_lt_i32_e64 s0, v21, v0
	s_clause 0x1
	scratch_store_b64 off, v[6:7], s32 offset:580
	scratch_load_b64 v[6:7], off, s32 offset:572 th:TH_LOAD_LU
	s_wait_loadcnt 0x0
	v_cndmask_b32_e64 v6, 0, v6, s0
	v_cmp_lt_i32_e64 s0, v20, v0
	s_delay_alu instid0(VALU_DEP_1)
	v_cndmask_b32_e64 v7, 0, v7, s0
	scratch_store_b64 off, v[6:7], s32 offset:572 ; 8-byte Folded Spill
.LBB230_2390:                           ;   in Loop: Header=BB230_1574 Depth=1
	s_wait_xcnt 0x0
	s_or_b32 exec_lo, exec_lo, s3
	flat_load_b32 v12, v[116:117] offset:3072
	v_mov_b64_e32 v[0:1], 0
	v_mov_b64_e32 v[6:7], 0
	s_mov_b32 s3, exec_lo
	s_wait_loadcnt_dscnt 0x0
	v_and_b32_e32 v8, 0xff, v12
	s_wait_xcnt 0x0
	s_delay_alu instid0(VALU_DEP_1)
	v_cmpx_ne_u16_e32 0, v8
	s_cbranch_execz .LBB230_2398
; %bb.2391:                             ;   in Loop: Header=BB230_1574 Depth=1
	v_mov_b64_e32 v[6:7], 0x80000000
	s_mov_b32 s8, exec_lo
	v_cmpx_ne_u16_e32 0x80, v8
	s_cbranch_execz .LBB230_2397
; %bb.2392:                             ;   in Loop: Header=BB230_1574 Depth=1
	v_mov_b64_e32 v[6:7], 0x7f800001
	v_and_b32_e32 v8, 0x7f, v12
	s_mov_b32 s9, exec_lo
	s_delay_alu instid0(VALU_DEP_1)
	v_cmpx_ne_u32_e32 0x7f, v8
	s_cbranch_execz .LBB230_2396
; %bb.2393:                             ;   in Loop: Header=BB230_1574 Depth=1
	v_and_b32_e32 v16, 7, v12
	v_lshrrev_b32_e32 v6, 3, v8
	s_mov_b32 s16, exec_lo
	v_cmpx_gt_u32_e32 8, v8
; %bb.2394:                             ;   in Loop: Header=BB230_1574 Depth=1
	s_delay_alu instid0(VALU_DEP_3) | instskip(NEXT) | instid1(VALU_DEP_1)
	v_clz_i32_u32_e32 v6, v16
	v_min_u32_e32 v6, 32, v6
	s_delay_alu instid0(VALU_DEP_1) | instskip(NEXT) | instid1(VALU_DEP_1)
	v_subrev_nc_u32_e32 v7, 28, v6
	v_lshlrev_b64_e32 v[8:9], v7, v[16:17]
	s_delay_alu instid0(VALU_DEP_1)
	v_dual_sub_nc_u32 v6, 29, v6 :: v_dual_bitop2_b32 v16, 7, v8 bitop3:0x40
; %bb.2395:                             ;   in Loop: Header=BB230_1574 Depth=1
	s_or_b32 exec_lo, exec_lo, s16
	v_lshlrev_b32_e32 v7, 24, v12
	s_delay_alu instid0(VALU_DEP_2) | instskip(NEXT) | instid1(VALU_DEP_3)
	v_lshlrev_b32_e32 v8, 20, v16
	v_lshl_add_u32 v6, v6, 23, 0x3c000000
	s_delay_alu instid0(VALU_DEP_3) | instskip(NEXT) | instid1(VALU_DEP_1)
	v_and_b32_e32 v7, 0x80000000, v7
	v_or3_b32 v16, v8, v7, v6
	s_delay_alu instid0(VALU_DEP_1)
	v_mov_b64_e32 v[6:7], v[16:17]
.LBB230_2396:                           ;   in Loop: Header=BB230_1574 Depth=1
	s_or_b32 exec_lo, exec_lo, s9
.LBB230_2397:                           ;   in Loop: Header=BB230_1574 Depth=1
	s_delay_alu instid0(SALU_CYCLE_1)
	s_or_b32 exec_lo, exec_lo, s8
.LBB230_2398:                           ;   in Loop: Header=BB230_1574 Depth=1
	s_delay_alu instid0(SALU_CYCLE_1) | instskip(SKIP_2) | instid1(VALU_DEP_1)
	s_or_b32 exec_lo, exec_lo, s3
	v_lshrrev_b16 v8, 8, v12
	s_mov_b32 s3, exec_lo
	v_cmpx_ne_u16_e32 0, v8
	s_cbranch_execz .LBB230_2406
; %bb.2399:                             ;   in Loop: Header=BB230_1574 Depth=1
	v_mov_b64_e32 v[0:1], 0x8000000000000000
	s_mov_b32 s8, exec_lo
	v_cmpx_ne_u16_e32 0x80, v8
	s_cbranch_execz .LBB230_2405
; %bb.2400:                             ;   in Loop: Header=BB230_1574 Depth=1
	v_and_b32_e32 v9, 0xffff, v8
	v_mov_b64_e32 v[0:1], 0x7f80000100000000
	s_mov_b32 s9, exec_lo
	s_delay_alu instid0(VALU_DEP_2) | instskip(NEXT) | instid1(VALU_DEP_1)
	v_and_b32_e32 v8, 0x7f, v9
	v_cmpx_ne_u32_e32 0x7f, v8
	s_cbranch_execz .LBB230_2404
; %bb.2401:                             ;   in Loop: Header=BB230_1574 Depth=1
	v_dual_lshrrev_b32 v0, 3, v8 :: v_dual_bitop2_b32 v16, 7, v9 bitop3:0x40
	s_mov_b32 s16, exec_lo
	v_cmpx_gt_u32_e32 8, v8
; %bb.2402:                             ;   in Loop: Header=BB230_1574 Depth=1
	s_delay_alu instid0(VALU_DEP_2) | instskip(NEXT) | instid1(VALU_DEP_1)
	v_clz_i32_u32_e32 v0, v16
	v_min_u32_e32 v0, 32, v0
	s_delay_alu instid0(VALU_DEP_1) | instskip(SKIP_1) | instid1(VALU_DEP_2)
	v_subrev_nc_u32_e32 v1, 28, v0
	v_sub_nc_u32_e32 v0, 29, v0
	v_lshlrev_b64_e32 v[8:9], v1, v[16:17]
	s_delay_alu instid0(VALU_DEP_1)
	v_and_b32_e32 v16, 7, v8
; %bb.2403:                             ;   in Loop: Header=BB230_1574 Depth=1
	s_or_b32 exec_lo, exec_lo, s16
	v_lshlrev_b32_e32 v1, 16, v12
	s_delay_alu instid0(VALU_DEP_2) | instskip(SKIP_1) | instid1(VALU_DEP_3)
	v_lshlrev_b32_e32 v8, 20, v16
	v_lshl_add_u32 v0, v0, 23, 0x3c000000
	v_and_b32_e32 v1, 0x80000000, v1
	s_delay_alu instid0(VALU_DEP_1)
	v_or3_b32 v1, v8, v1, v0
	v_mov_b32_e32 v0, v17
.LBB230_2404:                           ;   in Loop: Header=BB230_1574 Depth=1
	s_or_b32 exec_lo, exec_lo, s9
.LBB230_2405:                           ;   in Loop: Header=BB230_1574 Depth=1
	s_delay_alu instid0(SALU_CYCLE_1)
	s_or_b32 exec_lo, exec_lo, s8
.LBB230_2406:                           ;   in Loop: Header=BB230_1574 Depth=1
	s_delay_alu instid0(SALU_CYCLE_1) | instskip(SKIP_4) | instid1(VALU_DEP_3)
	s_or_b32 exec_lo, exec_lo, s3
	v_lshrrev_b32_e32 v13, 16, v12
	v_mov_b64_e32 v[8:9], 0
	v_mov_b64_e32 v[10:11], 0
	s_mov_b32 s3, exec_lo
	v_and_b32_e32 v14, 0xff, v13
	s_delay_alu instid0(VALU_DEP_1)
	v_cmpx_ne_u16_e32 0, v14
	s_cbranch_execz .LBB230_2414
; %bb.2407:                             ;   in Loop: Header=BB230_1574 Depth=1
	v_mov_b64_e32 v[10:11], 0x80000000
	s_mov_b32 s8, exec_lo
	v_cmpx_ne_u16_e32 0x80, v14
	s_cbranch_execz .LBB230_2413
; %bb.2408:                             ;   in Loop: Header=BB230_1574 Depth=1
	v_mov_b64_e32 v[10:11], 0x7f800001
	v_bfe_u32 v14, v12, 16, 7
	s_mov_b32 s9, exec_lo
	s_delay_alu instid0(VALU_DEP_1)
	v_cmpx_ne_u32_e32 0x7f, v14
	s_cbranch_execz .LBB230_2412
; %bb.2409:                             ;   in Loop: Header=BB230_1574 Depth=1
	v_dual_lshrrev_b32 v10, 3, v14 :: v_dual_bitop2_b32 v16, 7, v13 bitop3:0x40
	s_mov_b32 s16, exec_lo
	v_cmpx_gt_u32_e32 8, v14
; %bb.2410:                             ;   in Loop: Header=BB230_1574 Depth=1
	s_delay_alu instid0(VALU_DEP_2) | instskip(NEXT) | instid1(VALU_DEP_1)
	v_clz_i32_u32_e32 v10, v16
	v_min_u32_e32 v10, 32, v10
	s_delay_alu instid0(VALU_DEP_1) | instskip(SKIP_1) | instid1(VALU_DEP_2)
	v_subrev_nc_u32_e32 v11, 28, v10
	v_sub_nc_u32_e32 v10, 29, v10
	v_lshlrev_b64_e32 v[14:15], v11, v[16:17]
	s_delay_alu instid0(VALU_DEP_1)
	v_and_b32_e32 v16, 7, v14
; %bb.2411:                             ;   in Loop: Header=BB230_1574 Depth=1
	s_or_b32 exec_lo, exec_lo, s16
	s_delay_alu instid0(VALU_DEP_1) | instskip(SKIP_1) | instid1(VALU_DEP_2)
	v_dual_lshlrev_b32 v11, 24, v13 :: v_dual_lshlrev_b32 v13, 20, v16
	v_lshl_add_u32 v10, v10, 23, 0x3c000000
	v_and_b32_e32 v11, 0x80000000, v11
	s_delay_alu instid0(VALU_DEP_1) | instskip(NEXT) | instid1(VALU_DEP_1)
	v_or3_b32 v16, v13, v11, v10
	v_mov_b64_e32 v[10:11], v[16:17]
.LBB230_2412:                           ;   in Loop: Header=BB230_1574 Depth=1
	s_or_b32 exec_lo, exec_lo, s9
.LBB230_2413:                           ;   in Loop: Header=BB230_1574 Depth=1
	s_delay_alu instid0(SALU_CYCLE_1)
	s_or_b32 exec_lo, exec_lo, s8
.LBB230_2414:                           ;   in Loop: Header=BB230_1574 Depth=1
	s_delay_alu instid0(SALU_CYCLE_1) | instskip(NEXT) | instid1(SALU_CYCLE_1)
	s_or_b32 exec_lo, exec_lo, s3
	s_mov_b32 s3, exec_lo
	v_cmpx_lt_u32_e32 0xffffff, v12
	s_cbranch_execz .LBB230_2422
; %bb.2415:                             ;   in Loop: Header=BB230_1574 Depth=1
	v_mov_b64_e32 v[8:9], 0x8000000000000000
	v_lshrrev_b32_e32 v13, 24, v12
	s_mov_b32 s8, exec_lo
	s_delay_alu instid0(VALU_DEP_1)
	v_cmpx_ne_u32_e32 0x80, v13
	s_cbranch_execz .LBB230_2421
; %bb.2416:                             ;   in Loop: Header=BB230_1574 Depth=1
	v_mov_b64_e32 v[8:9], 0x7f80000100000000
	v_bfe_u32 v12, v12, 24, 7
	s_mov_b32 s9, exec_lo
	s_delay_alu instid0(VALU_DEP_1)
	v_cmpx_ne_u32_e32 0x7f, v12
	s_cbranch_execz .LBB230_2420
; %bb.2417:                             ;   in Loop: Header=BB230_1574 Depth=1
	v_dual_lshrrev_b32 v8, 3, v12 :: v_dual_bitop2_b32 v16, 7, v13 bitop3:0x40
	s_mov_b32 s16, exec_lo
	v_cmpx_gt_u32_e32 8, v12
; %bb.2418:                             ;   in Loop: Header=BB230_1574 Depth=1
	s_delay_alu instid0(VALU_DEP_2) | instskip(NEXT) | instid1(VALU_DEP_1)
	v_clz_i32_u32_e32 v8, v16
	v_min_u32_e32 v8, 32, v8
	s_delay_alu instid0(VALU_DEP_1) | instskip(NEXT) | instid1(VALU_DEP_1)
	v_subrev_nc_u32_e32 v9, 28, v8
	v_lshlrev_b64_e32 v[14:15], v9, v[16:17]
	s_delay_alu instid0(VALU_DEP_1)
	v_dual_sub_nc_u32 v8, 29, v8 :: v_dual_bitop2_b32 v16, 7, v14 bitop3:0x40
; %bb.2419:                             ;   in Loop: Header=BB230_1574 Depth=1
	s_or_b32 exec_lo, exec_lo, s16
	s_delay_alu instid0(VALU_DEP_1) | instskip(NEXT) | instid1(VALU_DEP_2)
	v_dual_lshlrev_b32 v9, 24, v13 :: v_dual_lshlrev_b32 v12, 20, v16
	v_lshl_add_u32 v8, v8, 23, 0x3c000000
	s_delay_alu instid0(VALU_DEP_2) | instskip(NEXT) | instid1(VALU_DEP_1)
	v_and_b32_e32 v9, 0x80000000, v9
	v_or3_b32 v9, v12, v9, v8
	v_mov_b32_e32 v8, v17
.LBB230_2420:                           ;   in Loop: Header=BB230_1574 Depth=1
	s_or_b32 exec_lo, exec_lo, s9
.LBB230_2421:                           ;   in Loop: Header=BB230_1574 Depth=1
	s_delay_alu instid0(SALU_CYCLE_1)
	s_or_b32 exec_lo, exec_lo, s8
.LBB230_2422:                           ;   in Loop: Header=BB230_1574 Depth=1
	s_delay_alu instid0(SALU_CYCLE_1) | instskip(SKIP_4) | instid1(VALU_DEP_3)
	s_or_b32 exec_lo, exec_lo, s3
	v_or_b32_e32 v1, v1, v7
	v_or_b32_e32 v0, v0, v6
	;; [unrolled: 1-line block ×4, first 2 shown]
	v_pk_mul_f32 v[0:1], v[70:71], v[0:1]
	scratch_store_b64 off, v[0:1], s32 offset:596 ; 8-byte Folded Spill
	s_wait_xcnt 0x0
	v_pk_mul_f32 v[0:1], v[70:71], v[6:7]
	scratch_store_b64 off, v[0:1], s32 offset:588 ; 8-byte Folded Spill
	s_wait_xcnt 0x0
	s_and_saveexec_b32 s3, vcc_lo
	s_cbranch_execz .LBB230_2424
; %bb.2423:                             ;   in Loop: Header=BB230_1574 Depth=1
	s_clause 0x1
	scratch_load_b64 v[0:1], off, s32 offset:200
	scratch_load_b64 v[6:7], off, s32 offset:596 th:TH_LOAD_LU
	s_wait_loadcnt 0x1
	v_cmp_lt_i32_e64 s0, v18, v0
	s_wait_loadcnt 0x0
	s_delay_alu instid0(VALU_DEP_1) | instskip(SKIP_1) | instid1(VALU_DEP_1)
	v_cndmask_b32_e64 v6, 0, v6, s0
	v_cmp_lt_i32_e64 s0, v19, v0
	v_cndmask_b32_e64 v7, 0, v7, s0
	v_cmp_lt_i32_e64 s0, v21, v0
	s_clause 0x1
	scratch_store_b64 off, v[6:7], s32 offset:596
	scratch_load_b64 v[6:7], off, s32 offset:588 th:TH_LOAD_LU
	s_wait_loadcnt 0x0
	v_cndmask_b32_e64 v6, 0, v6, s0
	v_cmp_lt_i32_e64 s0, v20, v0
	s_delay_alu instid0(VALU_DEP_1)
	v_cndmask_b32_e64 v7, 0, v7, s0
	scratch_store_b64 off, v[6:7], s32 offset:588 ; 8-byte Folded Spill
.LBB230_2424:                           ;   in Loop: Header=BB230_1574 Depth=1
	s_wait_xcnt 0x0
	s_or_b32 exec_lo, exec_lo, s3
	flat_load_b32 v12, v[116:117] offset:3200
	v_mov_b64_e32 v[0:1], 0
	v_mov_b64_e32 v[6:7], 0
	s_mov_b32 s3, exec_lo
	s_wait_loadcnt_dscnt 0x0
	v_and_b32_e32 v8, 0xff, v12
	s_wait_xcnt 0x0
	s_delay_alu instid0(VALU_DEP_1)
	v_cmpx_ne_u16_e32 0, v8
	s_cbranch_execz .LBB230_2432
; %bb.2425:                             ;   in Loop: Header=BB230_1574 Depth=1
	v_mov_b64_e32 v[6:7], 0x80000000
	s_mov_b32 s8, exec_lo
	v_cmpx_ne_u16_e32 0x80, v8
	s_cbranch_execz .LBB230_2431
; %bb.2426:                             ;   in Loop: Header=BB230_1574 Depth=1
	v_mov_b64_e32 v[6:7], 0x7f800001
	v_and_b32_e32 v8, 0x7f, v12
	s_mov_b32 s9, exec_lo
	s_delay_alu instid0(VALU_DEP_1)
	v_cmpx_ne_u32_e32 0x7f, v8
	s_cbranch_execz .LBB230_2430
; %bb.2427:                             ;   in Loop: Header=BB230_1574 Depth=1
	v_and_b32_e32 v16, 7, v12
	v_lshrrev_b32_e32 v6, 3, v8
	s_mov_b32 s16, exec_lo
	v_cmpx_gt_u32_e32 8, v8
; %bb.2428:                             ;   in Loop: Header=BB230_1574 Depth=1
	s_delay_alu instid0(VALU_DEP_3) | instskip(NEXT) | instid1(VALU_DEP_1)
	v_clz_i32_u32_e32 v6, v16
	v_min_u32_e32 v6, 32, v6
	s_delay_alu instid0(VALU_DEP_1) | instskip(NEXT) | instid1(VALU_DEP_1)
	v_subrev_nc_u32_e32 v7, 28, v6
	v_lshlrev_b64_e32 v[8:9], v7, v[16:17]
	s_delay_alu instid0(VALU_DEP_1)
	v_dual_sub_nc_u32 v6, 29, v6 :: v_dual_bitop2_b32 v16, 7, v8 bitop3:0x40
; %bb.2429:                             ;   in Loop: Header=BB230_1574 Depth=1
	s_or_b32 exec_lo, exec_lo, s16
	v_lshlrev_b32_e32 v7, 24, v12
	s_delay_alu instid0(VALU_DEP_2) | instskip(NEXT) | instid1(VALU_DEP_3)
	v_lshlrev_b32_e32 v8, 20, v16
	v_lshl_add_u32 v6, v6, 23, 0x3c000000
	s_delay_alu instid0(VALU_DEP_3) | instskip(NEXT) | instid1(VALU_DEP_1)
	v_and_b32_e32 v7, 0x80000000, v7
	v_or3_b32 v16, v8, v7, v6
	s_delay_alu instid0(VALU_DEP_1)
	v_mov_b64_e32 v[6:7], v[16:17]
.LBB230_2430:                           ;   in Loop: Header=BB230_1574 Depth=1
	s_or_b32 exec_lo, exec_lo, s9
.LBB230_2431:                           ;   in Loop: Header=BB230_1574 Depth=1
	s_delay_alu instid0(SALU_CYCLE_1)
	s_or_b32 exec_lo, exec_lo, s8
.LBB230_2432:                           ;   in Loop: Header=BB230_1574 Depth=1
	s_delay_alu instid0(SALU_CYCLE_1) | instskip(SKIP_2) | instid1(VALU_DEP_1)
	s_or_b32 exec_lo, exec_lo, s3
	v_lshrrev_b16 v8, 8, v12
	s_mov_b32 s3, exec_lo
	v_cmpx_ne_u16_e32 0, v8
	s_cbranch_execz .LBB230_2440
; %bb.2433:                             ;   in Loop: Header=BB230_1574 Depth=1
	v_mov_b64_e32 v[0:1], 0x8000000000000000
	s_mov_b32 s8, exec_lo
	v_cmpx_ne_u16_e32 0x80, v8
	s_cbranch_execz .LBB230_2439
; %bb.2434:                             ;   in Loop: Header=BB230_1574 Depth=1
	v_and_b32_e32 v9, 0xffff, v8
	v_mov_b64_e32 v[0:1], 0x7f80000100000000
	s_mov_b32 s9, exec_lo
	s_delay_alu instid0(VALU_DEP_2) | instskip(NEXT) | instid1(VALU_DEP_1)
	v_and_b32_e32 v8, 0x7f, v9
	v_cmpx_ne_u32_e32 0x7f, v8
	s_cbranch_execz .LBB230_2438
; %bb.2435:                             ;   in Loop: Header=BB230_1574 Depth=1
	v_dual_lshrrev_b32 v0, 3, v8 :: v_dual_bitop2_b32 v16, 7, v9 bitop3:0x40
	s_mov_b32 s16, exec_lo
	v_cmpx_gt_u32_e32 8, v8
; %bb.2436:                             ;   in Loop: Header=BB230_1574 Depth=1
	s_delay_alu instid0(VALU_DEP_2) | instskip(NEXT) | instid1(VALU_DEP_1)
	v_clz_i32_u32_e32 v0, v16
	v_min_u32_e32 v0, 32, v0
	s_delay_alu instid0(VALU_DEP_1) | instskip(SKIP_1) | instid1(VALU_DEP_2)
	v_subrev_nc_u32_e32 v1, 28, v0
	v_sub_nc_u32_e32 v0, 29, v0
	v_lshlrev_b64_e32 v[8:9], v1, v[16:17]
	s_delay_alu instid0(VALU_DEP_1)
	v_and_b32_e32 v16, 7, v8
; %bb.2437:                             ;   in Loop: Header=BB230_1574 Depth=1
	s_or_b32 exec_lo, exec_lo, s16
	v_lshlrev_b32_e32 v1, 16, v12
	s_delay_alu instid0(VALU_DEP_2) | instskip(SKIP_1) | instid1(VALU_DEP_3)
	v_lshlrev_b32_e32 v8, 20, v16
	v_lshl_add_u32 v0, v0, 23, 0x3c000000
	v_and_b32_e32 v1, 0x80000000, v1
	s_delay_alu instid0(VALU_DEP_1)
	v_or3_b32 v1, v8, v1, v0
	v_mov_b32_e32 v0, v17
.LBB230_2438:                           ;   in Loop: Header=BB230_1574 Depth=1
	s_or_b32 exec_lo, exec_lo, s9
.LBB230_2439:                           ;   in Loop: Header=BB230_1574 Depth=1
	s_delay_alu instid0(SALU_CYCLE_1)
	s_or_b32 exec_lo, exec_lo, s8
.LBB230_2440:                           ;   in Loop: Header=BB230_1574 Depth=1
	s_delay_alu instid0(SALU_CYCLE_1) | instskip(SKIP_4) | instid1(VALU_DEP_3)
	s_or_b32 exec_lo, exec_lo, s3
	v_lshrrev_b32_e32 v13, 16, v12
	v_mov_b64_e32 v[8:9], 0
	v_mov_b64_e32 v[10:11], 0
	s_mov_b32 s3, exec_lo
	v_and_b32_e32 v14, 0xff, v13
	s_delay_alu instid0(VALU_DEP_1)
	v_cmpx_ne_u16_e32 0, v14
	s_cbranch_execz .LBB230_2448
; %bb.2441:                             ;   in Loop: Header=BB230_1574 Depth=1
	v_mov_b64_e32 v[10:11], 0x80000000
	s_mov_b32 s8, exec_lo
	v_cmpx_ne_u16_e32 0x80, v14
	s_cbranch_execz .LBB230_2447
; %bb.2442:                             ;   in Loop: Header=BB230_1574 Depth=1
	v_mov_b64_e32 v[10:11], 0x7f800001
	v_bfe_u32 v14, v12, 16, 7
	s_mov_b32 s9, exec_lo
	s_delay_alu instid0(VALU_DEP_1)
	v_cmpx_ne_u32_e32 0x7f, v14
	s_cbranch_execz .LBB230_2446
; %bb.2443:                             ;   in Loop: Header=BB230_1574 Depth=1
	v_dual_lshrrev_b32 v10, 3, v14 :: v_dual_bitop2_b32 v16, 7, v13 bitop3:0x40
	s_mov_b32 s16, exec_lo
	v_cmpx_gt_u32_e32 8, v14
; %bb.2444:                             ;   in Loop: Header=BB230_1574 Depth=1
	s_delay_alu instid0(VALU_DEP_2) | instskip(NEXT) | instid1(VALU_DEP_1)
	v_clz_i32_u32_e32 v10, v16
	v_min_u32_e32 v10, 32, v10
	s_delay_alu instid0(VALU_DEP_1) | instskip(SKIP_1) | instid1(VALU_DEP_2)
	v_subrev_nc_u32_e32 v11, 28, v10
	v_sub_nc_u32_e32 v10, 29, v10
	v_lshlrev_b64_e32 v[14:15], v11, v[16:17]
	s_delay_alu instid0(VALU_DEP_1)
	v_and_b32_e32 v16, 7, v14
; %bb.2445:                             ;   in Loop: Header=BB230_1574 Depth=1
	s_or_b32 exec_lo, exec_lo, s16
	s_delay_alu instid0(VALU_DEP_1) | instskip(SKIP_1) | instid1(VALU_DEP_2)
	v_dual_lshlrev_b32 v11, 24, v13 :: v_dual_lshlrev_b32 v13, 20, v16
	v_lshl_add_u32 v10, v10, 23, 0x3c000000
	v_and_b32_e32 v11, 0x80000000, v11
	s_delay_alu instid0(VALU_DEP_1) | instskip(NEXT) | instid1(VALU_DEP_1)
	v_or3_b32 v16, v13, v11, v10
	v_mov_b64_e32 v[10:11], v[16:17]
.LBB230_2446:                           ;   in Loop: Header=BB230_1574 Depth=1
	s_or_b32 exec_lo, exec_lo, s9
.LBB230_2447:                           ;   in Loop: Header=BB230_1574 Depth=1
	s_delay_alu instid0(SALU_CYCLE_1)
	s_or_b32 exec_lo, exec_lo, s8
.LBB230_2448:                           ;   in Loop: Header=BB230_1574 Depth=1
	s_delay_alu instid0(SALU_CYCLE_1) | instskip(NEXT) | instid1(SALU_CYCLE_1)
	s_or_b32 exec_lo, exec_lo, s3
	s_mov_b32 s3, exec_lo
	v_cmpx_lt_u32_e32 0xffffff, v12
	s_cbranch_execz .LBB230_2456
; %bb.2449:                             ;   in Loop: Header=BB230_1574 Depth=1
	v_mov_b64_e32 v[8:9], 0x8000000000000000
	v_lshrrev_b32_e32 v13, 24, v12
	s_mov_b32 s8, exec_lo
	s_delay_alu instid0(VALU_DEP_1)
	v_cmpx_ne_u32_e32 0x80, v13
	s_cbranch_execz .LBB230_2455
; %bb.2450:                             ;   in Loop: Header=BB230_1574 Depth=1
	v_mov_b64_e32 v[8:9], 0x7f80000100000000
	v_bfe_u32 v12, v12, 24, 7
	s_mov_b32 s9, exec_lo
	s_delay_alu instid0(VALU_DEP_1)
	v_cmpx_ne_u32_e32 0x7f, v12
	s_cbranch_execz .LBB230_2454
; %bb.2451:                             ;   in Loop: Header=BB230_1574 Depth=1
	v_dual_lshrrev_b32 v8, 3, v12 :: v_dual_bitop2_b32 v16, 7, v13 bitop3:0x40
	s_mov_b32 s16, exec_lo
	v_cmpx_gt_u32_e32 8, v12
; %bb.2452:                             ;   in Loop: Header=BB230_1574 Depth=1
	s_delay_alu instid0(VALU_DEP_2) | instskip(NEXT) | instid1(VALU_DEP_1)
	v_clz_i32_u32_e32 v8, v16
	v_min_u32_e32 v8, 32, v8
	s_delay_alu instid0(VALU_DEP_1) | instskip(NEXT) | instid1(VALU_DEP_1)
	v_subrev_nc_u32_e32 v9, 28, v8
	v_lshlrev_b64_e32 v[14:15], v9, v[16:17]
	s_delay_alu instid0(VALU_DEP_1)
	v_dual_sub_nc_u32 v8, 29, v8 :: v_dual_bitop2_b32 v16, 7, v14 bitop3:0x40
; %bb.2453:                             ;   in Loop: Header=BB230_1574 Depth=1
	s_or_b32 exec_lo, exec_lo, s16
	s_delay_alu instid0(VALU_DEP_1) | instskip(NEXT) | instid1(VALU_DEP_2)
	v_dual_lshlrev_b32 v9, 24, v13 :: v_dual_lshlrev_b32 v12, 20, v16
	v_lshl_add_u32 v8, v8, 23, 0x3c000000
	s_delay_alu instid0(VALU_DEP_2) | instskip(NEXT) | instid1(VALU_DEP_1)
	v_and_b32_e32 v9, 0x80000000, v9
	v_or3_b32 v9, v12, v9, v8
	v_mov_b32_e32 v8, v17
.LBB230_2454:                           ;   in Loop: Header=BB230_1574 Depth=1
	s_or_b32 exec_lo, exec_lo, s9
.LBB230_2455:                           ;   in Loop: Header=BB230_1574 Depth=1
	s_delay_alu instid0(SALU_CYCLE_1)
	s_or_b32 exec_lo, exec_lo, s8
.LBB230_2456:                           ;   in Loop: Header=BB230_1574 Depth=1
	s_delay_alu instid0(SALU_CYCLE_1) | instskip(SKIP_4) | instid1(VALU_DEP_3)
	s_or_b32 exec_lo, exec_lo, s3
	v_or_b32_e32 v1, v1, v7
	v_or_b32_e32 v0, v0, v6
	;; [unrolled: 1-line block ×4, first 2 shown]
	v_pk_mul_f32 v[0:1], v[70:71], v[0:1]
	scratch_store_b64 off, v[0:1], s32 offset:612 ; 8-byte Folded Spill
	s_wait_xcnt 0x0
	v_pk_mul_f32 v[0:1], v[70:71], v[6:7]
	scratch_store_b64 off, v[0:1], s32 offset:604 ; 8-byte Folded Spill
	s_wait_xcnt 0x0
	s_and_saveexec_b32 s3, vcc_lo
	s_cbranch_execz .LBB230_2458
; %bb.2457:                             ;   in Loop: Header=BB230_1574 Depth=1
	s_clause 0x1
	scratch_load_b64 v[0:1], off, s32 offset:200
	scratch_load_b64 v[6:7], off, s32 offset:612 th:TH_LOAD_LU
	s_wait_loadcnt 0x1
	v_cmp_lt_i32_e64 s0, v18, v0
	s_wait_loadcnt 0x0
	s_delay_alu instid0(VALU_DEP_1) | instskip(SKIP_1) | instid1(VALU_DEP_1)
	v_cndmask_b32_e64 v6, 0, v6, s0
	v_cmp_lt_i32_e64 s0, v19, v0
	v_cndmask_b32_e64 v7, 0, v7, s0
	v_cmp_lt_i32_e64 s0, v21, v0
	s_clause 0x1
	scratch_store_b64 off, v[6:7], s32 offset:612
	scratch_load_b64 v[6:7], off, s32 offset:604 th:TH_LOAD_LU
	s_wait_loadcnt 0x0
	v_cndmask_b32_e64 v6, 0, v6, s0
	v_cmp_lt_i32_e64 s0, v20, v0
	s_delay_alu instid0(VALU_DEP_1)
	v_cndmask_b32_e64 v7, 0, v7, s0
	scratch_store_b64 off, v[6:7], s32 offset:604 ; 8-byte Folded Spill
.LBB230_2458:                           ;   in Loop: Header=BB230_1574 Depth=1
	s_wait_xcnt 0x0
	s_or_b32 exec_lo, exec_lo, s3
	flat_load_b32 v12, v[116:117] offset:3328
	v_mov_b64_e32 v[0:1], 0
	v_mov_b64_e32 v[6:7], 0
	s_mov_b32 s3, exec_lo
	s_wait_loadcnt_dscnt 0x0
	v_and_b32_e32 v8, 0xff, v12
	s_wait_xcnt 0x0
	s_delay_alu instid0(VALU_DEP_1)
	v_cmpx_ne_u16_e32 0, v8
	s_cbranch_execz .LBB230_2466
; %bb.2459:                             ;   in Loop: Header=BB230_1574 Depth=1
	v_mov_b64_e32 v[6:7], 0x80000000
	s_mov_b32 s8, exec_lo
	v_cmpx_ne_u16_e32 0x80, v8
	s_cbranch_execz .LBB230_2465
; %bb.2460:                             ;   in Loop: Header=BB230_1574 Depth=1
	v_mov_b64_e32 v[6:7], 0x7f800001
	v_and_b32_e32 v8, 0x7f, v12
	s_mov_b32 s9, exec_lo
	s_delay_alu instid0(VALU_DEP_1)
	v_cmpx_ne_u32_e32 0x7f, v8
	s_cbranch_execz .LBB230_2464
; %bb.2461:                             ;   in Loop: Header=BB230_1574 Depth=1
	v_and_b32_e32 v16, 7, v12
	v_lshrrev_b32_e32 v6, 3, v8
	s_mov_b32 s16, exec_lo
	v_cmpx_gt_u32_e32 8, v8
; %bb.2462:                             ;   in Loop: Header=BB230_1574 Depth=1
	s_delay_alu instid0(VALU_DEP_3) | instskip(NEXT) | instid1(VALU_DEP_1)
	v_clz_i32_u32_e32 v6, v16
	v_min_u32_e32 v6, 32, v6
	s_delay_alu instid0(VALU_DEP_1) | instskip(NEXT) | instid1(VALU_DEP_1)
	v_subrev_nc_u32_e32 v7, 28, v6
	v_lshlrev_b64_e32 v[8:9], v7, v[16:17]
	s_delay_alu instid0(VALU_DEP_1)
	v_dual_sub_nc_u32 v6, 29, v6 :: v_dual_bitop2_b32 v16, 7, v8 bitop3:0x40
; %bb.2463:                             ;   in Loop: Header=BB230_1574 Depth=1
	s_or_b32 exec_lo, exec_lo, s16
	v_lshlrev_b32_e32 v7, 24, v12
	s_delay_alu instid0(VALU_DEP_2) | instskip(NEXT) | instid1(VALU_DEP_3)
	v_lshlrev_b32_e32 v8, 20, v16
	v_lshl_add_u32 v6, v6, 23, 0x3c000000
	s_delay_alu instid0(VALU_DEP_3) | instskip(NEXT) | instid1(VALU_DEP_1)
	v_and_b32_e32 v7, 0x80000000, v7
	v_or3_b32 v16, v8, v7, v6
	s_delay_alu instid0(VALU_DEP_1)
	v_mov_b64_e32 v[6:7], v[16:17]
.LBB230_2464:                           ;   in Loop: Header=BB230_1574 Depth=1
	s_or_b32 exec_lo, exec_lo, s9
.LBB230_2465:                           ;   in Loop: Header=BB230_1574 Depth=1
	s_delay_alu instid0(SALU_CYCLE_1)
	s_or_b32 exec_lo, exec_lo, s8
.LBB230_2466:                           ;   in Loop: Header=BB230_1574 Depth=1
	s_delay_alu instid0(SALU_CYCLE_1) | instskip(SKIP_2) | instid1(VALU_DEP_1)
	s_or_b32 exec_lo, exec_lo, s3
	v_lshrrev_b16 v8, 8, v12
	s_mov_b32 s3, exec_lo
	v_cmpx_ne_u16_e32 0, v8
	s_cbranch_execz .LBB230_2474
; %bb.2467:                             ;   in Loop: Header=BB230_1574 Depth=1
	v_mov_b64_e32 v[0:1], 0x8000000000000000
	s_mov_b32 s8, exec_lo
	v_cmpx_ne_u16_e32 0x80, v8
	s_cbranch_execz .LBB230_2473
; %bb.2468:                             ;   in Loop: Header=BB230_1574 Depth=1
	v_and_b32_e32 v9, 0xffff, v8
	v_mov_b64_e32 v[0:1], 0x7f80000100000000
	s_mov_b32 s9, exec_lo
	s_delay_alu instid0(VALU_DEP_2) | instskip(NEXT) | instid1(VALU_DEP_1)
	v_and_b32_e32 v8, 0x7f, v9
	v_cmpx_ne_u32_e32 0x7f, v8
	s_cbranch_execz .LBB230_2472
; %bb.2469:                             ;   in Loop: Header=BB230_1574 Depth=1
	v_dual_lshrrev_b32 v0, 3, v8 :: v_dual_bitop2_b32 v16, 7, v9 bitop3:0x40
	s_mov_b32 s16, exec_lo
	v_cmpx_gt_u32_e32 8, v8
; %bb.2470:                             ;   in Loop: Header=BB230_1574 Depth=1
	s_delay_alu instid0(VALU_DEP_2) | instskip(NEXT) | instid1(VALU_DEP_1)
	v_clz_i32_u32_e32 v0, v16
	v_min_u32_e32 v0, 32, v0
	s_delay_alu instid0(VALU_DEP_1) | instskip(SKIP_1) | instid1(VALU_DEP_2)
	v_subrev_nc_u32_e32 v1, 28, v0
	v_sub_nc_u32_e32 v0, 29, v0
	v_lshlrev_b64_e32 v[8:9], v1, v[16:17]
	s_delay_alu instid0(VALU_DEP_1)
	v_and_b32_e32 v16, 7, v8
; %bb.2471:                             ;   in Loop: Header=BB230_1574 Depth=1
	s_or_b32 exec_lo, exec_lo, s16
	v_lshlrev_b32_e32 v1, 16, v12
	s_delay_alu instid0(VALU_DEP_2) | instskip(SKIP_1) | instid1(VALU_DEP_3)
	v_lshlrev_b32_e32 v8, 20, v16
	v_lshl_add_u32 v0, v0, 23, 0x3c000000
	v_and_b32_e32 v1, 0x80000000, v1
	s_delay_alu instid0(VALU_DEP_1)
	v_or3_b32 v1, v8, v1, v0
	v_mov_b32_e32 v0, v17
.LBB230_2472:                           ;   in Loop: Header=BB230_1574 Depth=1
	s_or_b32 exec_lo, exec_lo, s9
.LBB230_2473:                           ;   in Loop: Header=BB230_1574 Depth=1
	s_delay_alu instid0(SALU_CYCLE_1)
	s_or_b32 exec_lo, exec_lo, s8
.LBB230_2474:                           ;   in Loop: Header=BB230_1574 Depth=1
	s_delay_alu instid0(SALU_CYCLE_1) | instskip(SKIP_4) | instid1(VALU_DEP_3)
	s_or_b32 exec_lo, exec_lo, s3
	v_lshrrev_b32_e32 v13, 16, v12
	v_mov_b64_e32 v[8:9], 0
	v_mov_b64_e32 v[10:11], 0
	s_mov_b32 s3, exec_lo
	v_and_b32_e32 v14, 0xff, v13
	s_delay_alu instid0(VALU_DEP_1)
	v_cmpx_ne_u16_e32 0, v14
	s_cbranch_execz .LBB230_2482
; %bb.2475:                             ;   in Loop: Header=BB230_1574 Depth=1
	v_mov_b64_e32 v[10:11], 0x80000000
	s_mov_b32 s8, exec_lo
	v_cmpx_ne_u16_e32 0x80, v14
	s_cbranch_execz .LBB230_2481
; %bb.2476:                             ;   in Loop: Header=BB230_1574 Depth=1
	v_mov_b64_e32 v[10:11], 0x7f800001
	v_bfe_u32 v14, v12, 16, 7
	s_mov_b32 s9, exec_lo
	s_delay_alu instid0(VALU_DEP_1)
	v_cmpx_ne_u32_e32 0x7f, v14
	s_cbranch_execz .LBB230_2480
; %bb.2477:                             ;   in Loop: Header=BB230_1574 Depth=1
	v_dual_lshrrev_b32 v10, 3, v14 :: v_dual_bitop2_b32 v16, 7, v13 bitop3:0x40
	s_mov_b32 s16, exec_lo
	v_cmpx_gt_u32_e32 8, v14
; %bb.2478:                             ;   in Loop: Header=BB230_1574 Depth=1
	s_delay_alu instid0(VALU_DEP_2) | instskip(NEXT) | instid1(VALU_DEP_1)
	v_clz_i32_u32_e32 v10, v16
	v_min_u32_e32 v10, 32, v10
	s_delay_alu instid0(VALU_DEP_1) | instskip(SKIP_1) | instid1(VALU_DEP_2)
	v_subrev_nc_u32_e32 v11, 28, v10
	v_sub_nc_u32_e32 v10, 29, v10
	v_lshlrev_b64_e32 v[14:15], v11, v[16:17]
	s_delay_alu instid0(VALU_DEP_1)
	v_and_b32_e32 v16, 7, v14
; %bb.2479:                             ;   in Loop: Header=BB230_1574 Depth=1
	s_or_b32 exec_lo, exec_lo, s16
	s_delay_alu instid0(VALU_DEP_1) | instskip(SKIP_1) | instid1(VALU_DEP_2)
	v_dual_lshlrev_b32 v11, 24, v13 :: v_dual_lshlrev_b32 v13, 20, v16
	v_lshl_add_u32 v10, v10, 23, 0x3c000000
	v_and_b32_e32 v11, 0x80000000, v11
	s_delay_alu instid0(VALU_DEP_1) | instskip(NEXT) | instid1(VALU_DEP_1)
	v_or3_b32 v16, v13, v11, v10
	v_mov_b64_e32 v[10:11], v[16:17]
.LBB230_2480:                           ;   in Loop: Header=BB230_1574 Depth=1
	s_or_b32 exec_lo, exec_lo, s9
.LBB230_2481:                           ;   in Loop: Header=BB230_1574 Depth=1
	s_delay_alu instid0(SALU_CYCLE_1)
	s_or_b32 exec_lo, exec_lo, s8
.LBB230_2482:                           ;   in Loop: Header=BB230_1574 Depth=1
	s_delay_alu instid0(SALU_CYCLE_1) | instskip(NEXT) | instid1(SALU_CYCLE_1)
	s_or_b32 exec_lo, exec_lo, s3
	s_mov_b32 s3, exec_lo
	v_cmpx_lt_u32_e32 0xffffff, v12
	s_cbranch_execz .LBB230_2490
; %bb.2483:                             ;   in Loop: Header=BB230_1574 Depth=1
	v_mov_b64_e32 v[8:9], 0x8000000000000000
	v_lshrrev_b32_e32 v13, 24, v12
	s_mov_b32 s8, exec_lo
	s_delay_alu instid0(VALU_DEP_1)
	v_cmpx_ne_u32_e32 0x80, v13
	s_cbranch_execz .LBB230_2489
; %bb.2484:                             ;   in Loop: Header=BB230_1574 Depth=1
	v_mov_b64_e32 v[8:9], 0x7f80000100000000
	v_bfe_u32 v12, v12, 24, 7
	s_mov_b32 s9, exec_lo
	s_delay_alu instid0(VALU_DEP_1)
	v_cmpx_ne_u32_e32 0x7f, v12
	s_cbranch_execz .LBB230_2488
; %bb.2485:                             ;   in Loop: Header=BB230_1574 Depth=1
	v_dual_lshrrev_b32 v8, 3, v12 :: v_dual_bitop2_b32 v16, 7, v13 bitop3:0x40
	s_mov_b32 s16, exec_lo
	v_cmpx_gt_u32_e32 8, v12
; %bb.2486:                             ;   in Loop: Header=BB230_1574 Depth=1
	s_delay_alu instid0(VALU_DEP_2) | instskip(NEXT) | instid1(VALU_DEP_1)
	v_clz_i32_u32_e32 v8, v16
	v_min_u32_e32 v8, 32, v8
	s_delay_alu instid0(VALU_DEP_1) | instskip(NEXT) | instid1(VALU_DEP_1)
	v_subrev_nc_u32_e32 v9, 28, v8
	v_lshlrev_b64_e32 v[14:15], v9, v[16:17]
	s_delay_alu instid0(VALU_DEP_1)
	v_dual_sub_nc_u32 v8, 29, v8 :: v_dual_bitop2_b32 v16, 7, v14 bitop3:0x40
; %bb.2487:                             ;   in Loop: Header=BB230_1574 Depth=1
	s_or_b32 exec_lo, exec_lo, s16
	s_delay_alu instid0(VALU_DEP_1) | instskip(NEXT) | instid1(VALU_DEP_2)
	v_dual_lshlrev_b32 v9, 24, v13 :: v_dual_lshlrev_b32 v12, 20, v16
	v_lshl_add_u32 v8, v8, 23, 0x3c000000
	s_delay_alu instid0(VALU_DEP_2) | instskip(NEXT) | instid1(VALU_DEP_1)
	v_and_b32_e32 v9, 0x80000000, v9
	v_or3_b32 v9, v12, v9, v8
	v_mov_b32_e32 v8, v17
.LBB230_2488:                           ;   in Loop: Header=BB230_1574 Depth=1
	s_or_b32 exec_lo, exec_lo, s9
.LBB230_2489:                           ;   in Loop: Header=BB230_1574 Depth=1
	s_delay_alu instid0(SALU_CYCLE_1)
	s_or_b32 exec_lo, exec_lo, s8
.LBB230_2490:                           ;   in Loop: Header=BB230_1574 Depth=1
	s_delay_alu instid0(SALU_CYCLE_1) | instskip(SKIP_4) | instid1(VALU_DEP_3)
	s_or_b32 exec_lo, exec_lo, s3
	v_or_b32_e32 v1, v1, v7
	v_or_b32_e32 v0, v0, v6
	;; [unrolled: 1-line block ×4, first 2 shown]
	v_pk_mul_f32 v[0:1], v[70:71], v[0:1]
	scratch_store_b64 off, v[0:1], s32 offset:628 ; 8-byte Folded Spill
	s_wait_xcnt 0x0
	v_pk_mul_f32 v[0:1], v[70:71], v[6:7]
	scratch_store_b64 off, v[0:1], s32 offset:620 ; 8-byte Folded Spill
	s_wait_xcnt 0x0
	s_and_saveexec_b32 s3, vcc_lo
	s_cbranch_execz .LBB230_2492
; %bb.2491:                             ;   in Loop: Header=BB230_1574 Depth=1
	s_clause 0x1
	scratch_load_b64 v[0:1], off, s32 offset:200
	scratch_load_b64 v[6:7], off, s32 offset:628 th:TH_LOAD_LU
	s_wait_loadcnt 0x1
	v_cmp_lt_i32_e64 s0, v18, v0
	s_wait_loadcnt 0x0
	s_delay_alu instid0(VALU_DEP_1) | instskip(SKIP_1) | instid1(VALU_DEP_1)
	v_cndmask_b32_e64 v6, 0, v6, s0
	v_cmp_lt_i32_e64 s0, v19, v0
	v_cndmask_b32_e64 v7, 0, v7, s0
	v_cmp_lt_i32_e64 s0, v21, v0
	s_clause 0x1
	scratch_store_b64 off, v[6:7], s32 offset:628
	scratch_load_b64 v[6:7], off, s32 offset:620 th:TH_LOAD_LU
	s_wait_loadcnt 0x0
	v_cndmask_b32_e64 v6, 0, v6, s0
	v_cmp_lt_i32_e64 s0, v20, v0
	s_delay_alu instid0(VALU_DEP_1)
	v_cndmask_b32_e64 v7, 0, v7, s0
	scratch_store_b64 off, v[6:7], s32 offset:620 ; 8-byte Folded Spill
.LBB230_2492:                           ;   in Loop: Header=BB230_1574 Depth=1
	s_wait_xcnt 0x0
	s_or_b32 exec_lo, exec_lo, s3
	flat_load_b32 v12, v[116:117] offset:3456
	v_mov_b64_e32 v[0:1], 0
	v_mov_b64_e32 v[6:7], 0
	s_mov_b32 s3, exec_lo
	s_wait_loadcnt_dscnt 0x0
	v_and_b32_e32 v8, 0xff, v12
	s_wait_xcnt 0x0
	s_delay_alu instid0(VALU_DEP_1)
	v_cmpx_ne_u16_e32 0, v8
	s_cbranch_execz .LBB230_2500
; %bb.2493:                             ;   in Loop: Header=BB230_1574 Depth=1
	v_mov_b64_e32 v[6:7], 0x80000000
	s_mov_b32 s8, exec_lo
	v_cmpx_ne_u16_e32 0x80, v8
	s_cbranch_execz .LBB230_2499
; %bb.2494:                             ;   in Loop: Header=BB230_1574 Depth=1
	v_mov_b64_e32 v[6:7], 0x7f800001
	v_and_b32_e32 v8, 0x7f, v12
	s_mov_b32 s9, exec_lo
	s_delay_alu instid0(VALU_DEP_1)
	v_cmpx_ne_u32_e32 0x7f, v8
	s_cbranch_execz .LBB230_2498
; %bb.2495:                             ;   in Loop: Header=BB230_1574 Depth=1
	v_and_b32_e32 v16, 7, v12
	v_lshrrev_b32_e32 v6, 3, v8
	s_mov_b32 s16, exec_lo
	v_cmpx_gt_u32_e32 8, v8
; %bb.2496:                             ;   in Loop: Header=BB230_1574 Depth=1
	s_delay_alu instid0(VALU_DEP_3) | instskip(NEXT) | instid1(VALU_DEP_1)
	v_clz_i32_u32_e32 v6, v16
	v_min_u32_e32 v6, 32, v6
	s_delay_alu instid0(VALU_DEP_1) | instskip(NEXT) | instid1(VALU_DEP_1)
	v_subrev_nc_u32_e32 v7, 28, v6
	v_lshlrev_b64_e32 v[8:9], v7, v[16:17]
	s_delay_alu instid0(VALU_DEP_1)
	v_dual_sub_nc_u32 v6, 29, v6 :: v_dual_bitop2_b32 v16, 7, v8 bitop3:0x40
; %bb.2497:                             ;   in Loop: Header=BB230_1574 Depth=1
	s_or_b32 exec_lo, exec_lo, s16
	v_lshlrev_b32_e32 v7, 24, v12
	s_delay_alu instid0(VALU_DEP_2) | instskip(NEXT) | instid1(VALU_DEP_3)
	v_lshlrev_b32_e32 v8, 20, v16
	v_lshl_add_u32 v6, v6, 23, 0x3c000000
	s_delay_alu instid0(VALU_DEP_3) | instskip(NEXT) | instid1(VALU_DEP_1)
	v_and_b32_e32 v7, 0x80000000, v7
	v_or3_b32 v16, v8, v7, v6
	s_delay_alu instid0(VALU_DEP_1)
	v_mov_b64_e32 v[6:7], v[16:17]
.LBB230_2498:                           ;   in Loop: Header=BB230_1574 Depth=1
	s_or_b32 exec_lo, exec_lo, s9
.LBB230_2499:                           ;   in Loop: Header=BB230_1574 Depth=1
	s_delay_alu instid0(SALU_CYCLE_1)
	s_or_b32 exec_lo, exec_lo, s8
.LBB230_2500:                           ;   in Loop: Header=BB230_1574 Depth=1
	s_delay_alu instid0(SALU_CYCLE_1) | instskip(SKIP_2) | instid1(VALU_DEP_1)
	s_or_b32 exec_lo, exec_lo, s3
	v_lshrrev_b16 v8, 8, v12
	s_mov_b32 s3, exec_lo
	v_cmpx_ne_u16_e32 0, v8
	s_cbranch_execz .LBB230_2508
; %bb.2501:                             ;   in Loop: Header=BB230_1574 Depth=1
	v_mov_b64_e32 v[0:1], 0x8000000000000000
	s_mov_b32 s8, exec_lo
	v_cmpx_ne_u16_e32 0x80, v8
	s_cbranch_execz .LBB230_2507
; %bb.2502:                             ;   in Loop: Header=BB230_1574 Depth=1
	v_and_b32_e32 v9, 0xffff, v8
	v_mov_b64_e32 v[0:1], 0x7f80000100000000
	s_mov_b32 s9, exec_lo
	s_delay_alu instid0(VALU_DEP_2) | instskip(NEXT) | instid1(VALU_DEP_1)
	v_and_b32_e32 v8, 0x7f, v9
	v_cmpx_ne_u32_e32 0x7f, v8
	s_cbranch_execz .LBB230_2506
; %bb.2503:                             ;   in Loop: Header=BB230_1574 Depth=1
	v_dual_lshrrev_b32 v0, 3, v8 :: v_dual_bitop2_b32 v16, 7, v9 bitop3:0x40
	s_mov_b32 s16, exec_lo
	v_cmpx_gt_u32_e32 8, v8
; %bb.2504:                             ;   in Loop: Header=BB230_1574 Depth=1
	s_delay_alu instid0(VALU_DEP_2) | instskip(NEXT) | instid1(VALU_DEP_1)
	v_clz_i32_u32_e32 v0, v16
	v_min_u32_e32 v0, 32, v0
	s_delay_alu instid0(VALU_DEP_1) | instskip(SKIP_1) | instid1(VALU_DEP_2)
	v_subrev_nc_u32_e32 v1, 28, v0
	v_sub_nc_u32_e32 v0, 29, v0
	v_lshlrev_b64_e32 v[8:9], v1, v[16:17]
	s_delay_alu instid0(VALU_DEP_1)
	v_and_b32_e32 v16, 7, v8
; %bb.2505:                             ;   in Loop: Header=BB230_1574 Depth=1
	s_or_b32 exec_lo, exec_lo, s16
	v_lshlrev_b32_e32 v1, 16, v12
	s_delay_alu instid0(VALU_DEP_2) | instskip(SKIP_1) | instid1(VALU_DEP_3)
	v_lshlrev_b32_e32 v8, 20, v16
	v_lshl_add_u32 v0, v0, 23, 0x3c000000
	v_and_b32_e32 v1, 0x80000000, v1
	s_delay_alu instid0(VALU_DEP_1)
	v_or3_b32 v1, v8, v1, v0
	v_mov_b32_e32 v0, v17
.LBB230_2506:                           ;   in Loop: Header=BB230_1574 Depth=1
	s_or_b32 exec_lo, exec_lo, s9
.LBB230_2507:                           ;   in Loop: Header=BB230_1574 Depth=1
	s_delay_alu instid0(SALU_CYCLE_1)
	s_or_b32 exec_lo, exec_lo, s8
.LBB230_2508:                           ;   in Loop: Header=BB230_1574 Depth=1
	s_delay_alu instid0(SALU_CYCLE_1) | instskip(SKIP_4) | instid1(VALU_DEP_3)
	s_or_b32 exec_lo, exec_lo, s3
	v_lshrrev_b32_e32 v13, 16, v12
	v_mov_b64_e32 v[8:9], 0
	v_mov_b64_e32 v[10:11], 0
	s_mov_b32 s3, exec_lo
	v_and_b32_e32 v14, 0xff, v13
	s_delay_alu instid0(VALU_DEP_1)
	v_cmpx_ne_u16_e32 0, v14
	s_cbranch_execz .LBB230_2516
; %bb.2509:                             ;   in Loop: Header=BB230_1574 Depth=1
	v_mov_b64_e32 v[10:11], 0x80000000
	s_mov_b32 s8, exec_lo
	v_cmpx_ne_u16_e32 0x80, v14
	s_cbranch_execz .LBB230_2515
; %bb.2510:                             ;   in Loop: Header=BB230_1574 Depth=1
	v_mov_b64_e32 v[10:11], 0x7f800001
	v_bfe_u32 v14, v12, 16, 7
	s_mov_b32 s9, exec_lo
	s_delay_alu instid0(VALU_DEP_1)
	v_cmpx_ne_u32_e32 0x7f, v14
	s_cbranch_execz .LBB230_2514
; %bb.2511:                             ;   in Loop: Header=BB230_1574 Depth=1
	v_dual_lshrrev_b32 v10, 3, v14 :: v_dual_bitop2_b32 v16, 7, v13 bitop3:0x40
	s_mov_b32 s16, exec_lo
	v_cmpx_gt_u32_e32 8, v14
; %bb.2512:                             ;   in Loop: Header=BB230_1574 Depth=1
	s_delay_alu instid0(VALU_DEP_2) | instskip(NEXT) | instid1(VALU_DEP_1)
	v_clz_i32_u32_e32 v10, v16
	v_min_u32_e32 v10, 32, v10
	s_delay_alu instid0(VALU_DEP_1) | instskip(SKIP_1) | instid1(VALU_DEP_2)
	v_subrev_nc_u32_e32 v11, 28, v10
	v_sub_nc_u32_e32 v10, 29, v10
	v_lshlrev_b64_e32 v[14:15], v11, v[16:17]
	s_delay_alu instid0(VALU_DEP_1)
	v_and_b32_e32 v16, 7, v14
; %bb.2513:                             ;   in Loop: Header=BB230_1574 Depth=1
	s_or_b32 exec_lo, exec_lo, s16
	s_delay_alu instid0(VALU_DEP_1) | instskip(SKIP_1) | instid1(VALU_DEP_2)
	v_dual_lshlrev_b32 v11, 24, v13 :: v_dual_lshlrev_b32 v13, 20, v16
	v_lshl_add_u32 v10, v10, 23, 0x3c000000
	v_and_b32_e32 v11, 0x80000000, v11
	s_delay_alu instid0(VALU_DEP_1) | instskip(NEXT) | instid1(VALU_DEP_1)
	v_or3_b32 v16, v13, v11, v10
	v_mov_b64_e32 v[10:11], v[16:17]
.LBB230_2514:                           ;   in Loop: Header=BB230_1574 Depth=1
	s_or_b32 exec_lo, exec_lo, s9
.LBB230_2515:                           ;   in Loop: Header=BB230_1574 Depth=1
	s_delay_alu instid0(SALU_CYCLE_1)
	s_or_b32 exec_lo, exec_lo, s8
.LBB230_2516:                           ;   in Loop: Header=BB230_1574 Depth=1
	s_delay_alu instid0(SALU_CYCLE_1) | instskip(NEXT) | instid1(SALU_CYCLE_1)
	s_or_b32 exec_lo, exec_lo, s3
	s_mov_b32 s3, exec_lo
	v_cmpx_lt_u32_e32 0xffffff, v12
	s_cbranch_execz .LBB230_2524
; %bb.2517:                             ;   in Loop: Header=BB230_1574 Depth=1
	v_mov_b64_e32 v[8:9], 0x8000000000000000
	v_lshrrev_b32_e32 v13, 24, v12
	s_mov_b32 s8, exec_lo
	s_delay_alu instid0(VALU_DEP_1)
	v_cmpx_ne_u32_e32 0x80, v13
	s_cbranch_execz .LBB230_2523
; %bb.2518:                             ;   in Loop: Header=BB230_1574 Depth=1
	v_mov_b64_e32 v[8:9], 0x7f80000100000000
	v_bfe_u32 v12, v12, 24, 7
	s_mov_b32 s9, exec_lo
	s_delay_alu instid0(VALU_DEP_1)
	v_cmpx_ne_u32_e32 0x7f, v12
	s_cbranch_execz .LBB230_2522
; %bb.2519:                             ;   in Loop: Header=BB230_1574 Depth=1
	v_dual_lshrrev_b32 v8, 3, v12 :: v_dual_bitop2_b32 v16, 7, v13 bitop3:0x40
	s_mov_b32 s16, exec_lo
	v_cmpx_gt_u32_e32 8, v12
; %bb.2520:                             ;   in Loop: Header=BB230_1574 Depth=1
	s_delay_alu instid0(VALU_DEP_2) | instskip(NEXT) | instid1(VALU_DEP_1)
	v_clz_i32_u32_e32 v8, v16
	v_min_u32_e32 v8, 32, v8
	s_delay_alu instid0(VALU_DEP_1) | instskip(NEXT) | instid1(VALU_DEP_1)
	v_subrev_nc_u32_e32 v9, 28, v8
	v_lshlrev_b64_e32 v[14:15], v9, v[16:17]
	s_delay_alu instid0(VALU_DEP_1)
	v_dual_sub_nc_u32 v8, 29, v8 :: v_dual_bitop2_b32 v16, 7, v14 bitop3:0x40
; %bb.2521:                             ;   in Loop: Header=BB230_1574 Depth=1
	s_or_b32 exec_lo, exec_lo, s16
	s_delay_alu instid0(VALU_DEP_1) | instskip(NEXT) | instid1(VALU_DEP_2)
	v_dual_lshlrev_b32 v9, 24, v13 :: v_dual_lshlrev_b32 v12, 20, v16
	v_lshl_add_u32 v8, v8, 23, 0x3c000000
	s_delay_alu instid0(VALU_DEP_2) | instskip(NEXT) | instid1(VALU_DEP_1)
	v_and_b32_e32 v9, 0x80000000, v9
	v_or3_b32 v9, v12, v9, v8
	v_mov_b32_e32 v8, v17
.LBB230_2522:                           ;   in Loop: Header=BB230_1574 Depth=1
	s_or_b32 exec_lo, exec_lo, s9
.LBB230_2523:                           ;   in Loop: Header=BB230_1574 Depth=1
	s_delay_alu instid0(SALU_CYCLE_1)
	s_or_b32 exec_lo, exec_lo, s8
.LBB230_2524:                           ;   in Loop: Header=BB230_1574 Depth=1
	s_delay_alu instid0(SALU_CYCLE_1) | instskip(SKIP_4) | instid1(VALU_DEP_3)
	s_or_b32 exec_lo, exec_lo, s3
	v_or_b32_e32 v1, v1, v7
	v_or_b32_e32 v0, v0, v6
	;; [unrolled: 1-line block ×4, first 2 shown]
	v_pk_mul_f32 v[0:1], v[70:71], v[0:1]
	scratch_store_b64 off, v[0:1], s32 offset:644 ; 8-byte Folded Spill
	s_wait_xcnt 0x0
	v_pk_mul_f32 v[0:1], v[70:71], v[6:7]
	scratch_store_b64 off, v[0:1], s32 offset:636 ; 8-byte Folded Spill
	s_wait_xcnt 0x0
	s_and_saveexec_b32 s3, vcc_lo
	s_cbranch_execz .LBB230_2526
; %bb.2525:                             ;   in Loop: Header=BB230_1574 Depth=1
	s_clause 0x1
	scratch_load_b64 v[0:1], off, s32 offset:200
	scratch_load_b64 v[6:7], off, s32 offset:644 th:TH_LOAD_LU
	s_wait_loadcnt 0x1
	v_cmp_lt_i32_e64 s0, v18, v0
	s_wait_loadcnt 0x0
	s_delay_alu instid0(VALU_DEP_1) | instskip(SKIP_1) | instid1(VALU_DEP_1)
	v_cndmask_b32_e64 v6, 0, v6, s0
	v_cmp_lt_i32_e64 s0, v19, v0
	v_cndmask_b32_e64 v7, 0, v7, s0
	v_cmp_lt_i32_e64 s0, v21, v0
	s_clause 0x1
	scratch_store_b64 off, v[6:7], s32 offset:644
	scratch_load_b64 v[6:7], off, s32 offset:636 th:TH_LOAD_LU
	s_wait_loadcnt 0x0
	v_cndmask_b32_e64 v6, 0, v6, s0
	v_cmp_lt_i32_e64 s0, v20, v0
	s_delay_alu instid0(VALU_DEP_1)
	v_cndmask_b32_e64 v7, 0, v7, s0
	scratch_store_b64 off, v[6:7], s32 offset:636 ; 8-byte Folded Spill
.LBB230_2526:                           ;   in Loop: Header=BB230_1574 Depth=1
	s_wait_xcnt 0x0
	s_or_b32 exec_lo, exec_lo, s3
	flat_load_b32 v12, v[116:117] offset:3584
	v_mov_b64_e32 v[0:1], 0
	v_mov_b64_e32 v[6:7], 0
	s_mov_b32 s3, exec_lo
	s_wait_loadcnt_dscnt 0x0
	v_and_b32_e32 v8, 0xff, v12
	s_wait_xcnt 0x0
	s_delay_alu instid0(VALU_DEP_1)
	v_cmpx_ne_u16_e32 0, v8
	s_cbranch_execz .LBB230_2534
; %bb.2527:                             ;   in Loop: Header=BB230_1574 Depth=1
	v_mov_b64_e32 v[6:7], 0x80000000
	s_mov_b32 s8, exec_lo
	v_cmpx_ne_u16_e32 0x80, v8
	s_cbranch_execz .LBB230_2533
; %bb.2528:                             ;   in Loop: Header=BB230_1574 Depth=1
	v_mov_b64_e32 v[6:7], 0x7f800001
	v_and_b32_e32 v8, 0x7f, v12
	s_mov_b32 s9, exec_lo
	s_delay_alu instid0(VALU_DEP_1)
	v_cmpx_ne_u32_e32 0x7f, v8
	s_cbranch_execz .LBB230_2532
; %bb.2529:                             ;   in Loop: Header=BB230_1574 Depth=1
	v_and_b32_e32 v16, 7, v12
	v_lshrrev_b32_e32 v6, 3, v8
	s_mov_b32 s16, exec_lo
	v_cmpx_gt_u32_e32 8, v8
; %bb.2530:                             ;   in Loop: Header=BB230_1574 Depth=1
	s_delay_alu instid0(VALU_DEP_3) | instskip(NEXT) | instid1(VALU_DEP_1)
	v_clz_i32_u32_e32 v6, v16
	v_min_u32_e32 v6, 32, v6
	s_delay_alu instid0(VALU_DEP_1) | instskip(NEXT) | instid1(VALU_DEP_1)
	v_subrev_nc_u32_e32 v7, 28, v6
	v_lshlrev_b64_e32 v[8:9], v7, v[16:17]
	s_delay_alu instid0(VALU_DEP_1)
	v_dual_sub_nc_u32 v6, 29, v6 :: v_dual_bitop2_b32 v16, 7, v8 bitop3:0x40
; %bb.2531:                             ;   in Loop: Header=BB230_1574 Depth=1
	s_or_b32 exec_lo, exec_lo, s16
	v_lshlrev_b32_e32 v7, 24, v12
	s_delay_alu instid0(VALU_DEP_2) | instskip(NEXT) | instid1(VALU_DEP_3)
	v_lshlrev_b32_e32 v8, 20, v16
	v_lshl_add_u32 v6, v6, 23, 0x3c000000
	s_delay_alu instid0(VALU_DEP_3) | instskip(NEXT) | instid1(VALU_DEP_1)
	v_and_b32_e32 v7, 0x80000000, v7
	v_or3_b32 v16, v8, v7, v6
	s_delay_alu instid0(VALU_DEP_1)
	v_mov_b64_e32 v[6:7], v[16:17]
.LBB230_2532:                           ;   in Loop: Header=BB230_1574 Depth=1
	s_or_b32 exec_lo, exec_lo, s9
.LBB230_2533:                           ;   in Loop: Header=BB230_1574 Depth=1
	s_delay_alu instid0(SALU_CYCLE_1)
	s_or_b32 exec_lo, exec_lo, s8
.LBB230_2534:                           ;   in Loop: Header=BB230_1574 Depth=1
	s_delay_alu instid0(SALU_CYCLE_1) | instskip(SKIP_2) | instid1(VALU_DEP_1)
	s_or_b32 exec_lo, exec_lo, s3
	v_lshrrev_b16 v8, 8, v12
	s_mov_b32 s3, exec_lo
	v_cmpx_ne_u16_e32 0, v8
	s_cbranch_execz .LBB230_2542
; %bb.2535:                             ;   in Loop: Header=BB230_1574 Depth=1
	v_mov_b64_e32 v[0:1], 0x8000000000000000
	s_mov_b32 s8, exec_lo
	v_cmpx_ne_u16_e32 0x80, v8
	s_cbranch_execz .LBB230_2541
; %bb.2536:                             ;   in Loop: Header=BB230_1574 Depth=1
	v_and_b32_e32 v9, 0xffff, v8
	v_mov_b64_e32 v[0:1], 0x7f80000100000000
	s_mov_b32 s9, exec_lo
	s_delay_alu instid0(VALU_DEP_2) | instskip(NEXT) | instid1(VALU_DEP_1)
	v_and_b32_e32 v8, 0x7f, v9
	v_cmpx_ne_u32_e32 0x7f, v8
	s_cbranch_execz .LBB230_2540
; %bb.2537:                             ;   in Loop: Header=BB230_1574 Depth=1
	v_dual_lshrrev_b32 v0, 3, v8 :: v_dual_bitop2_b32 v16, 7, v9 bitop3:0x40
	s_mov_b32 s16, exec_lo
	v_cmpx_gt_u32_e32 8, v8
; %bb.2538:                             ;   in Loop: Header=BB230_1574 Depth=1
	s_delay_alu instid0(VALU_DEP_2) | instskip(NEXT) | instid1(VALU_DEP_1)
	v_clz_i32_u32_e32 v0, v16
	v_min_u32_e32 v0, 32, v0
	s_delay_alu instid0(VALU_DEP_1) | instskip(SKIP_1) | instid1(VALU_DEP_2)
	v_subrev_nc_u32_e32 v1, 28, v0
	v_sub_nc_u32_e32 v0, 29, v0
	v_lshlrev_b64_e32 v[8:9], v1, v[16:17]
	s_delay_alu instid0(VALU_DEP_1)
	v_and_b32_e32 v16, 7, v8
; %bb.2539:                             ;   in Loop: Header=BB230_1574 Depth=1
	s_or_b32 exec_lo, exec_lo, s16
	v_lshlrev_b32_e32 v1, 16, v12
	s_delay_alu instid0(VALU_DEP_2) | instskip(SKIP_1) | instid1(VALU_DEP_3)
	v_lshlrev_b32_e32 v8, 20, v16
	v_lshl_add_u32 v0, v0, 23, 0x3c000000
	v_and_b32_e32 v1, 0x80000000, v1
	s_delay_alu instid0(VALU_DEP_1)
	v_or3_b32 v1, v8, v1, v0
	v_mov_b32_e32 v0, v17
.LBB230_2540:                           ;   in Loop: Header=BB230_1574 Depth=1
	s_or_b32 exec_lo, exec_lo, s9
.LBB230_2541:                           ;   in Loop: Header=BB230_1574 Depth=1
	s_delay_alu instid0(SALU_CYCLE_1)
	s_or_b32 exec_lo, exec_lo, s8
.LBB230_2542:                           ;   in Loop: Header=BB230_1574 Depth=1
	s_delay_alu instid0(SALU_CYCLE_1) | instskip(SKIP_4) | instid1(VALU_DEP_3)
	s_or_b32 exec_lo, exec_lo, s3
	v_lshrrev_b32_e32 v13, 16, v12
	v_mov_b64_e32 v[8:9], 0
	v_mov_b64_e32 v[10:11], 0
	s_mov_b32 s3, exec_lo
	v_and_b32_e32 v14, 0xff, v13
	s_delay_alu instid0(VALU_DEP_1)
	v_cmpx_ne_u16_e32 0, v14
	s_cbranch_execz .LBB230_2550
; %bb.2543:                             ;   in Loop: Header=BB230_1574 Depth=1
	v_mov_b64_e32 v[10:11], 0x80000000
	s_mov_b32 s8, exec_lo
	v_cmpx_ne_u16_e32 0x80, v14
	s_cbranch_execz .LBB230_2549
; %bb.2544:                             ;   in Loop: Header=BB230_1574 Depth=1
	v_mov_b64_e32 v[10:11], 0x7f800001
	v_bfe_u32 v14, v12, 16, 7
	s_mov_b32 s9, exec_lo
	s_delay_alu instid0(VALU_DEP_1)
	v_cmpx_ne_u32_e32 0x7f, v14
	s_cbranch_execz .LBB230_2548
; %bb.2545:                             ;   in Loop: Header=BB230_1574 Depth=1
	v_dual_lshrrev_b32 v10, 3, v14 :: v_dual_bitop2_b32 v16, 7, v13 bitop3:0x40
	s_mov_b32 s16, exec_lo
	v_cmpx_gt_u32_e32 8, v14
; %bb.2546:                             ;   in Loop: Header=BB230_1574 Depth=1
	s_delay_alu instid0(VALU_DEP_2) | instskip(NEXT) | instid1(VALU_DEP_1)
	v_clz_i32_u32_e32 v10, v16
	v_min_u32_e32 v10, 32, v10
	s_delay_alu instid0(VALU_DEP_1) | instskip(SKIP_1) | instid1(VALU_DEP_2)
	v_subrev_nc_u32_e32 v11, 28, v10
	v_sub_nc_u32_e32 v10, 29, v10
	v_lshlrev_b64_e32 v[14:15], v11, v[16:17]
	s_delay_alu instid0(VALU_DEP_1)
	v_and_b32_e32 v16, 7, v14
; %bb.2547:                             ;   in Loop: Header=BB230_1574 Depth=1
	s_or_b32 exec_lo, exec_lo, s16
	s_delay_alu instid0(VALU_DEP_1) | instskip(SKIP_1) | instid1(VALU_DEP_2)
	v_dual_lshlrev_b32 v11, 24, v13 :: v_dual_lshlrev_b32 v13, 20, v16
	v_lshl_add_u32 v10, v10, 23, 0x3c000000
	v_and_b32_e32 v11, 0x80000000, v11
	s_delay_alu instid0(VALU_DEP_1) | instskip(NEXT) | instid1(VALU_DEP_1)
	v_or3_b32 v16, v13, v11, v10
	v_mov_b64_e32 v[10:11], v[16:17]
.LBB230_2548:                           ;   in Loop: Header=BB230_1574 Depth=1
	s_or_b32 exec_lo, exec_lo, s9
.LBB230_2549:                           ;   in Loop: Header=BB230_1574 Depth=1
	s_delay_alu instid0(SALU_CYCLE_1)
	s_or_b32 exec_lo, exec_lo, s8
.LBB230_2550:                           ;   in Loop: Header=BB230_1574 Depth=1
	s_delay_alu instid0(SALU_CYCLE_1) | instskip(NEXT) | instid1(SALU_CYCLE_1)
	s_or_b32 exec_lo, exec_lo, s3
	s_mov_b32 s3, exec_lo
	v_cmpx_lt_u32_e32 0xffffff, v12
	s_cbranch_execz .LBB230_2558
; %bb.2551:                             ;   in Loop: Header=BB230_1574 Depth=1
	v_mov_b64_e32 v[8:9], 0x8000000000000000
	v_lshrrev_b32_e32 v13, 24, v12
	s_mov_b32 s8, exec_lo
	s_delay_alu instid0(VALU_DEP_1)
	v_cmpx_ne_u32_e32 0x80, v13
	s_cbranch_execz .LBB230_2557
; %bb.2552:                             ;   in Loop: Header=BB230_1574 Depth=1
	v_mov_b64_e32 v[8:9], 0x7f80000100000000
	v_bfe_u32 v12, v12, 24, 7
	s_mov_b32 s9, exec_lo
	s_delay_alu instid0(VALU_DEP_1)
	v_cmpx_ne_u32_e32 0x7f, v12
	s_cbranch_execz .LBB230_2556
; %bb.2553:                             ;   in Loop: Header=BB230_1574 Depth=1
	v_dual_lshrrev_b32 v8, 3, v12 :: v_dual_bitop2_b32 v16, 7, v13 bitop3:0x40
	s_mov_b32 s16, exec_lo
	v_cmpx_gt_u32_e32 8, v12
; %bb.2554:                             ;   in Loop: Header=BB230_1574 Depth=1
	s_delay_alu instid0(VALU_DEP_2) | instskip(NEXT) | instid1(VALU_DEP_1)
	v_clz_i32_u32_e32 v8, v16
	v_min_u32_e32 v8, 32, v8
	s_delay_alu instid0(VALU_DEP_1) | instskip(NEXT) | instid1(VALU_DEP_1)
	v_subrev_nc_u32_e32 v9, 28, v8
	v_lshlrev_b64_e32 v[14:15], v9, v[16:17]
	s_delay_alu instid0(VALU_DEP_1)
	v_dual_sub_nc_u32 v8, 29, v8 :: v_dual_bitop2_b32 v16, 7, v14 bitop3:0x40
; %bb.2555:                             ;   in Loop: Header=BB230_1574 Depth=1
	s_or_b32 exec_lo, exec_lo, s16
	s_delay_alu instid0(VALU_DEP_1) | instskip(NEXT) | instid1(VALU_DEP_2)
	v_dual_lshlrev_b32 v9, 24, v13 :: v_dual_lshlrev_b32 v12, 20, v16
	v_lshl_add_u32 v8, v8, 23, 0x3c000000
	s_delay_alu instid0(VALU_DEP_2) | instskip(NEXT) | instid1(VALU_DEP_1)
	v_and_b32_e32 v9, 0x80000000, v9
	v_or3_b32 v9, v12, v9, v8
	v_mov_b32_e32 v8, v17
.LBB230_2556:                           ;   in Loop: Header=BB230_1574 Depth=1
	s_or_b32 exec_lo, exec_lo, s9
.LBB230_2557:                           ;   in Loop: Header=BB230_1574 Depth=1
	s_delay_alu instid0(SALU_CYCLE_1)
	s_or_b32 exec_lo, exec_lo, s8
.LBB230_2558:                           ;   in Loop: Header=BB230_1574 Depth=1
	s_delay_alu instid0(SALU_CYCLE_1) | instskip(SKIP_4) | instid1(VALU_DEP_3)
	s_or_b32 exec_lo, exec_lo, s3
	v_or_b32_e32 v1, v1, v7
	v_or_b32_e32 v0, v0, v6
	;; [unrolled: 1-line block ×4, first 2 shown]
	v_pk_mul_f32 v[110:111], v[70:71], v[0:1]
	s_delay_alu instid0(VALU_DEP_2)
	v_pk_mul_f32 v[108:109], v[70:71], v[6:7]
	s_and_saveexec_b32 s3, vcc_lo
	s_cbranch_execz .LBB230_2560
; %bb.2559:                             ;   in Loop: Header=BB230_1574 Depth=1
	scratch_load_b64 v[0:1], off, s32 offset:200 ; 8-byte Folded Reload
	s_wait_loadcnt 0x0
	v_cmp_lt_i32_e64 s0, v18, v0
	s_delay_alu instid0(VALU_DEP_1) | instskip(SKIP_1) | instid1(VALU_DEP_1)
	v_cndmask_b32_e64 v110, 0, v110, s0
	v_cmp_lt_i32_e64 s0, v19, v0
	v_cndmask_b32_e64 v111, 0, v111, s0
	v_cmp_lt_i32_e64 s0, v21, v0
	s_delay_alu instid0(VALU_DEP_1) | instskip(SKIP_1) | instid1(VALU_DEP_1)
	v_cndmask_b32_e64 v108, 0, v108, s0
	v_cmp_lt_i32_e64 s0, v20, v0
	v_cndmask_b32_e64 v109, 0, v109, s0
.LBB230_2560:                           ;   in Loop: Header=BB230_1574 Depth=1
	s_wait_xcnt 0x0
	s_or_b32 exec_lo, exec_lo, s3
	flat_load_b32 v12, v[116:117] offset:3712
	v_mov_b64_e32 v[0:1], 0
	v_mov_b64_e32 v[6:7], 0
	s_mov_b32 s3, exec_lo
	s_wait_loadcnt_dscnt 0x0
	v_and_b32_e32 v8, 0xff, v12
	s_wait_xcnt 0x0
	s_delay_alu instid0(VALU_DEP_1)
	v_cmpx_ne_u16_e32 0, v8
	s_cbranch_execz .LBB230_2568
; %bb.2561:                             ;   in Loop: Header=BB230_1574 Depth=1
	v_mov_b64_e32 v[6:7], 0x80000000
	s_mov_b32 s8, exec_lo
	v_cmpx_ne_u16_e32 0x80, v8
	s_cbranch_execz .LBB230_2567
; %bb.2562:                             ;   in Loop: Header=BB230_1574 Depth=1
	v_mov_b64_e32 v[6:7], 0x7f800001
	v_and_b32_e32 v8, 0x7f, v12
	s_mov_b32 s9, exec_lo
	s_delay_alu instid0(VALU_DEP_1)
	v_cmpx_ne_u32_e32 0x7f, v8
	s_cbranch_execz .LBB230_2566
; %bb.2563:                             ;   in Loop: Header=BB230_1574 Depth=1
	v_and_b32_e32 v16, 7, v12
	v_lshrrev_b32_e32 v6, 3, v8
	s_mov_b32 s16, exec_lo
	v_cmpx_gt_u32_e32 8, v8
; %bb.2564:                             ;   in Loop: Header=BB230_1574 Depth=1
	s_delay_alu instid0(VALU_DEP_3) | instskip(NEXT) | instid1(VALU_DEP_1)
	v_clz_i32_u32_e32 v6, v16
	v_min_u32_e32 v6, 32, v6
	s_delay_alu instid0(VALU_DEP_1) | instskip(NEXT) | instid1(VALU_DEP_1)
	v_subrev_nc_u32_e32 v7, 28, v6
	v_lshlrev_b64_e32 v[8:9], v7, v[16:17]
	s_delay_alu instid0(VALU_DEP_1)
	v_dual_sub_nc_u32 v6, 29, v6 :: v_dual_bitop2_b32 v16, 7, v8 bitop3:0x40
; %bb.2565:                             ;   in Loop: Header=BB230_1574 Depth=1
	s_or_b32 exec_lo, exec_lo, s16
	v_lshlrev_b32_e32 v7, 24, v12
	s_delay_alu instid0(VALU_DEP_2) | instskip(NEXT) | instid1(VALU_DEP_3)
	v_lshlrev_b32_e32 v8, 20, v16
	v_lshl_add_u32 v6, v6, 23, 0x3c000000
	s_delay_alu instid0(VALU_DEP_3) | instskip(NEXT) | instid1(VALU_DEP_1)
	v_and_b32_e32 v7, 0x80000000, v7
	v_or3_b32 v16, v8, v7, v6
	s_delay_alu instid0(VALU_DEP_1)
	v_mov_b64_e32 v[6:7], v[16:17]
.LBB230_2566:                           ;   in Loop: Header=BB230_1574 Depth=1
	s_or_b32 exec_lo, exec_lo, s9
.LBB230_2567:                           ;   in Loop: Header=BB230_1574 Depth=1
	s_delay_alu instid0(SALU_CYCLE_1)
	s_or_b32 exec_lo, exec_lo, s8
.LBB230_2568:                           ;   in Loop: Header=BB230_1574 Depth=1
	s_delay_alu instid0(SALU_CYCLE_1) | instskip(SKIP_2) | instid1(VALU_DEP_1)
	s_or_b32 exec_lo, exec_lo, s3
	v_lshrrev_b16 v8, 8, v12
	s_mov_b32 s3, exec_lo
	v_cmpx_ne_u16_e32 0, v8
	s_cbranch_execz .LBB230_2576
; %bb.2569:                             ;   in Loop: Header=BB230_1574 Depth=1
	v_mov_b64_e32 v[0:1], 0x8000000000000000
	s_mov_b32 s8, exec_lo
	v_cmpx_ne_u16_e32 0x80, v8
	s_cbranch_execz .LBB230_2575
; %bb.2570:                             ;   in Loop: Header=BB230_1574 Depth=1
	v_and_b32_e32 v9, 0xffff, v8
	v_mov_b64_e32 v[0:1], 0x7f80000100000000
	s_mov_b32 s9, exec_lo
	s_delay_alu instid0(VALU_DEP_2) | instskip(NEXT) | instid1(VALU_DEP_1)
	v_and_b32_e32 v8, 0x7f, v9
	v_cmpx_ne_u32_e32 0x7f, v8
	s_cbranch_execz .LBB230_2574
; %bb.2571:                             ;   in Loop: Header=BB230_1574 Depth=1
	v_dual_lshrrev_b32 v0, 3, v8 :: v_dual_bitop2_b32 v16, 7, v9 bitop3:0x40
	s_mov_b32 s16, exec_lo
	v_cmpx_gt_u32_e32 8, v8
; %bb.2572:                             ;   in Loop: Header=BB230_1574 Depth=1
	s_delay_alu instid0(VALU_DEP_2) | instskip(NEXT) | instid1(VALU_DEP_1)
	v_clz_i32_u32_e32 v0, v16
	v_min_u32_e32 v0, 32, v0
	s_delay_alu instid0(VALU_DEP_1) | instskip(SKIP_1) | instid1(VALU_DEP_2)
	v_subrev_nc_u32_e32 v1, 28, v0
	v_sub_nc_u32_e32 v0, 29, v0
	v_lshlrev_b64_e32 v[8:9], v1, v[16:17]
	s_delay_alu instid0(VALU_DEP_1)
	v_and_b32_e32 v16, 7, v8
; %bb.2573:                             ;   in Loop: Header=BB230_1574 Depth=1
	s_or_b32 exec_lo, exec_lo, s16
	v_lshlrev_b32_e32 v1, 16, v12
	s_delay_alu instid0(VALU_DEP_2) | instskip(SKIP_1) | instid1(VALU_DEP_3)
	v_lshlrev_b32_e32 v8, 20, v16
	v_lshl_add_u32 v0, v0, 23, 0x3c000000
	v_and_b32_e32 v1, 0x80000000, v1
	s_delay_alu instid0(VALU_DEP_1)
	v_or3_b32 v1, v8, v1, v0
	v_mov_b32_e32 v0, v17
.LBB230_2574:                           ;   in Loop: Header=BB230_1574 Depth=1
	s_or_b32 exec_lo, exec_lo, s9
.LBB230_2575:                           ;   in Loop: Header=BB230_1574 Depth=1
	s_delay_alu instid0(SALU_CYCLE_1)
	s_or_b32 exec_lo, exec_lo, s8
.LBB230_2576:                           ;   in Loop: Header=BB230_1574 Depth=1
	s_delay_alu instid0(SALU_CYCLE_1) | instskip(SKIP_4) | instid1(VALU_DEP_3)
	s_or_b32 exec_lo, exec_lo, s3
	v_lshrrev_b32_e32 v13, 16, v12
	v_mov_b64_e32 v[8:9], 0
	v_mov_b64_e32 v[10:11], 0
	s_mov_b32 s3, exec_lo
	v_and_b32_e32 v14, 0xff, v13
	s_delay_alu instid0(VALU_DEP_1)
	v_cmpx_ne_u16_e32 0, v14
	s_cbranch_execz .LBB230_2584
; %bb.2577:                             ;   in Loop: Header=BB230_1574 Depth=1
	v_mov_b64_e32 v[10:11], 0x80000000
	s_mov_b32 s8, exec_lo
	v_cmpx_ne_u16_e32 0x80, v14
	s_cbranch_execz .LBB230_2583
; %bb.2578:                             ;   in Loop: Header=BB230_1574 Depth=1
	v_mov_b64_e32 v[10:11], 0x7f800001
	v_bfe_u32 v14, v12, 16, 7
	s_mov_b32 s9, exec_lo
	s_delay_alu instid0(VALU_DEP_1)
	v_cmpx_ne_u32_e32 0x7f, v14
	s_cbranch_execz .LBB230_2582
; %bb.2579:                             ;   in Loop: Header=BB230_1574 Depth=1
	v_dual_lshrrev_b32 v10, 3, v14 :: v_dual_bitop2_b32 v16, 7, v13 bitop3:0x40
	s_mov_b32 s16, exec_lo
	v_cmpx_gt_u32_e32 8, v14
; %bb.2580:                             ;   in Loop: Header=BB230_1574 Depth=1
	s_delay_alu instid0(VALU_DEP_2) | instskip(NEXT) | instid1(VALU_DEP_1)
	v_clz_i32_u32_e32 v10, v16
	v_min_u32_e32 v10, 32, v10
	s_delay_alu instid0(VALU_DEP_1) | instskip(SKIP_1) | instid1(VALU_DEP_2)
	v_subrev_nc_u32_e32 v11, 28, v10
	v_sub_nc_u32_e32 v10, 29, v10
	v_lshlrev_b64_e32 v[14:15], v11, v[16:17]
	s_delay_alu instid0(VALU_DEP_1)
	v_and_b32_e32 v16, 7, v14
; %bb.2581:                             ;   in Loop: Header=BB230_1574 Depth=1
	s_or_b32 exec_lo, exec_lo, s16
	s_delay_alu instid0(VALU_DEP_1) | instskip(SKIP_1) | instid1(VALU_DEP_2)
	v_dual_lshlrev_b32 v11, 24, v13 :: v_dual_lshlrev_b32 v13, 20, v16
	v_lshl_add_u32 v10, v10, 23, 0x3c000000
	v_and_b32_e32 v11, 0x80000000, v11
	s_delay_alu instid0(VALU_DEP_1) | instskip(NEXT) | instid1(VALU_DEP_1)
	v_or3_b32 v16, v13, v11, v10
	v_mov_b64_e32 v[10:11], v[16:17]
.LBB230_2582:                           ;   in Loop: Header=BB230_1574 Depth=1
	s_or_b32 exec_lo, exec_lo, s9
.LBB230_2583:                           ;   in Loop: Header=BB230_1574 Depth=1
	s_delay_alu instid0(SALU_CYCLE_1)
	s_or_b32 exec_lo, exec_lo, s8
.LBB230_2584:                           ;   in Loop: Header=BB230_1574 Depth=1
	s_delay_alu instid0(SALU_CYCLE_1) | instskip(NEXT) | instid1(SALU_CYCLE_1)
	s_or_b32 exec_lo, exec_lo, s3
	s_mov_b32 s3, exec_lo
	v_cmpx_lt_u32_e32 0xffffff, v12
	s_cbranch_execz .LBB230_2592
; %bb.2585:                             ;   in Loop: Header=BB230_1574 Depth=1
	v_mov_b64_e32 v[8:9], 0x8000000000000000
	v_lshrrev_b32_e32 v13, 24, v12
	s_mov_b32 s8, exec_lo
	s_delay_alu instid0(VALU_DEP_1)
	v_cmpx_ne_u32_e32 0x80, v13
	s_cbranch_execz .LBB230_2591
; %bb.2586:                             ;   in Loop: Header=BB230_1574 Depth=1
	v_mov_b64_e32 v[8:9], 0x7f80000100000000
	v_bfe_u32 v12, v12, 24, 7
	s_mov_b32 s9, exec_lo
	s_delay_alu instid0(VALU_DEP_1)
	v_cmpx_ne_u32_e32 0x7f, v12
	s_cbranch_execz .LBB230_2590
; %bb.2587:                             ;   in Loop: Header=BB230_1574 Depth=1
	v_dual_lshrrev_b32 v8, 3, v12 :: v_dual_bitop2_b32 v16, 7, v13 bitop3:0x40
	s_mov_b32 s16, exec_lo
	v_cmpx_gt_u32_e32 8, v12
; %bb.2588:                             ;   in Loop: Header=BB230_1574 Depth=1
	s_delay_alu instid0(VALU_DEP_2) | instskip(NEXT) | instid1(VALU_DEP_1)
	v_clz_i32_u32_e32 v8, v16
	v_min_u32_e32 v8, 32, v8
	s_delay_alu instid0(VALU_DEP_1) | instskip(NEXT) | instid1(VALU_DEP_1)
	v_subrev_nc_u32_e32 v9, 28, v8
	v_lshlrev_b64_e32 v[14:15], v9, v[16:17]
	s_delay_alu instid0(VALU_DEP_1)
	v_dual_sub_nc_u32 v8, 29, v8 :: v_dual_bitop2_b32 v16, 7, v14 bitop3:0x40
; %bb.2589:                             ;   in Loop: Header=BB230_1574 Depth=1
	s_or_b32 exec_lo, exec_lo, s16
	s_delay_alu instid0(VALU_DEP_1) | instskip(NEXT) | instid1(VALU_DEP_2)
	v_dual_lshlrev_b32 v9, 24, v13 :: v_dual_lshlrev_b32 v12, 20, v16
	v_lshl_add_u32 v8, v8, 23, 0x3c000000
	s_delay_alu instid0(VALU_DEP_2) | instskip(NEXT) | instid1(VALU_DEP_1)
	v_and_b32_e32 v9, 0x80000000, v9
	v_or3_b32 v9, v12, v9, v8
	v_mov_b32_e32 v8, v17
.LBB230_2590:                           ;   in Loop: Header=BB230_1574 Depth=1
	s_or_b32 exec_lo, exec_lo, s9
.LBB230_2591:                           ;   in Loop: Header=BB230_1574 Depth=1
	s_delay_alu instid0(SALU_CYCLE_1)
	s_or_b32 exec_lo, exec_lo, s8
.LBB230_2592:                           ;   in Loop: Header=BB230_1574 Depth=1
	s_delay_alu instid0(SALU_CYCLE_1) | instskip(SKIP_4) | instid1(VALU_DEP_3)
	s_or_b32 exec_lo, exec_lo, s3
	v_or_b32_e32 v1, v1, v7
	v_or_b32_e32 v0, v0, v6
	;; [unrolled: 1-line block ×4, first 2 shown]
	v_pk_mul_f32 v[122:123], v[70:71], v[0:1]
	s_delay_alu instid0(VALU_DEP_2)
	v_pk_mul_f32 v[120:121], v[70:71], v[6:7]
	s_and_saveexec_b32 s3, vcc_lo
	s_cbranch_execz .LBB230_2594
; %bb.2593:                             ;   in Loop: Header=BB230_1574 Depth=1
	scratch_load_b64 v[0:1], off, s32 offset:200 ; 8-byte Folded Reload
	s_wait_loadcnt 0x0
	v_cmp_lt_i32_e64 s0, v18, v0
	s_delay_alu instid0(VALU_DEP_1) | instskip(SKIP_1) | instid1(VALU_DEP_1)
	v_cndmask_b32_e64 v122, 0, v122, s0
	v_cmp_lt_i32_e64 s0, v19, v0
	v_cndmask_b32_e64 v123, 0, v123, s0
	v_cmp_lt_i32_e64 s0, v21, v0
	s_delay_alu instid0(VALU_DEP_1) | instskip(SKIP_1) | instid1(VALU_DEP_1)
	v_cndmask_b32_e64 v120, 0, v120, s0
	v_cmp_lt_i32_e64 s0, v20, v0
	v_cndmask_b32_e64 v121, 0, v121, s0
.LBB230_2594:                           ;   in Loop: Header=BB230_1574 Depth=1
	s_wait_xcnt 0x0
	s_or_b32 exec_lo, exec_lo, s3
	flat_load_b32 v12, v[116:117] offset:3840
	v_mov_b64_e32 v[0:1], 0
	v_mov_b64_e32 v[6:7], 0
	s_mov_b32 s3, exec_lo
	s_wait_loadcnt_dscnt 0x0
	v_and_b32_e32 v8, 0xff, v12
	s_wait_xcnt 0x0
	s_delay_alu instid0(VALU_DEP_1)
	v_cmpx_ne_u16_e32 0, v8
	s_cbranch_execz .LBB230_2602
; %bb.2595:                             ;   in Loop: Header=BB230_1574 Depth=1
	v_mov_b64_e32 v[6:7], 0x80000000
	s_mov_b32 s8, exec_lo
	v_cmpx_ne_u16_e32 0x80, v8
	s_cbranch_execz .LBB230_2601
; %bb.2596:                             ;   in Loop: Header=BB230_1574 Depth=1
	v_mov_b64_e32 v[6:7], 0x7f800001
	v_and_b32_e32 v8, 0x7f, v12
	s_mov_b32 s9, exec_lo
	s_delay_alu instid0(VALU_DEP_1)
	v_cmpx_ne_u32_e32 0x7f, v8
	s_cbranch_execz .LBB230_2600
; %bb.2597:                             ;   in Loop: Header=BB230_1574 Depth=1
	v_and_b32_e32 v16, 7, v12
	v_lshrrev_b32_e32 v6, 3, v8
	s_mov_b32 s16, exec_lo
	v_cmpx_gt_u32_e32 8, v8
; %bb.2598:                             ;   in Loop: Header=BB230_1574 Depth=1
	s_delay_alu instid0(VALU_DEP_3) | instskip(NEXT) | instid1(VALU_DEP_1)
	v_clz_i32_u32_e32 v6, v16
	v_min_u32_e32 v6, 32, v6
	s_delay_alu instid0(VALU_DEP_1) | instskip(NEXT) | instid1(VALU_DEP_1)
	v_subrev_nc_u32_e32 v7, 28, v6
	v_lshlrev_b64_e32 v[8:9], v7, v[16:17]
	s_delay_alu instid0(VALU_DEP_1)
	v_dual_sub_nc_u32 v6, 29, v6 :: v_dual_bitop2_b32 v16, 7, v8 bitop3:0x40
; %bb.2599:                             ;   in Loop: Header=BB230_1574 Depth=1
	s_or_b32 exec_lo, exec_lo, s16
	v_lshlrev_b32_e32 v7, 24, v12
	s_delay_alu instid0(VALU_DEP_2) | instskip(NEXT) | instid1(VALU_DEP_3)
	v_lshlrev_b32_e32 v8, 20, v16
	v_lshl_add_u32 v6, v6, 23, 0x3c000000
	s_delay_alu instid0(VALU_DEP_3) | instskip(NEXT) | instid1(VALU_DEP_1)
	v_and_b32_e32 v7, 0x80000000, v7
	v_or3_b32 v16, v8, v7, v6
	s_delay_alu instid0(VALU_DEP_1)
	v_mov_b64_e32 v[6:7], v[16:17]
.LBB230_2600:                           ;   in Loop: Header=BB230_1574 Depth=1
	s_or_b32 exec_lo, exec_lo, s9
.LBB230_2601:                           ;   in Loop: Header=BB230_1574 Depth=1
	s_delay_alu instid0(SALU_CYCLE_1)
	s_or_b32 exec_lo, exec_lo, s8
.LBB230_2602:                           ;   in Loop: Header=BB230_1574 Depth=1
	s_delay_alu instid0(SALU_CYCLE_1) | instskip(SKIP_2) | instid1(VALU_DEP_1)
	s_or_b32 exec_lo, exec_lo, s3
	v_lshrrev_b16 v8, 8, v12
	s_mov_b32 s3, exec_lo
	v_cmpx_ne_u16_e32 0, v8
	s_cbranch_execz .LBB230_2610
; %bb.2603:                             ;   in Loop: Header=BB230_1574 Depth=1
	v_mov_b64_e32 v[0:1], 0x8000000000000000
	s_mov_b32 s8, exec_lo
	v_cmpx_ne_u16_e32 0x80, v8
	s_cbranch_execz .LBB230_2609
; %bb.2604:                             ;   in Loop: Header=BB230_1574 Depth=1
	v_and_b32_e32 v9, 0xffff, v8
	v_mov_b64_e32 v[0:1], 0x7f80000100000000
	s_mov_b32 s9, exec_lo
	s_delay_alu instid0(VALU_DEP_2) | instskip(NEXT) | instid1(VALU_DEP_1)
	v_and_b32_e32 v8, 0x7f, v9
	v_cmpx_ne_u32_e32 0x7f, v8
	s_cbranch_execz .LBB230_2608
; %bb.2605:                             ;   in Loop: Header=BB230_1574 Depth=1
	v_dual_lshrrev_b32 v0, 3, v8 :: v_dual_bitop2_b32 v16, 7, v9 bitop3:0x40
	s_mov_b32 s16, exec_lo
	v_cmpx_gt_u32_e32 8, v8
; %bb.2606:                             ;   in Loop: Header=BB230_1574 Depth=1
	s_delay_alu instid0(VALU_DEP_2) | instskip(NEXT) | instid1(VALU_DEP_1)
	v_clz_i32_u32_e32 v0, v16
	v_min_u32_e32 v0, 32, v0
	s_delay_alu instid0(VALU_DEP_1) | instskip(SKIP_1) | instid1(VALU_DEP_2)
	v_subrev_nc_u32_e32 v1, 28, v0
	v_sub_nc_u32_e32 v0, 29, v0
	v_lshlrev_b64_e32 v[8:9], v1, v[16:17]
	s_delay_alu instid0(VALU_DEP_1)
	v_and_b32_e32 v16, 7, v8
; %bb.2607:                             ;   in Loop: Header=BB230_1574 Depth=1
	s_or_b32 exec_lo, exec_lo, s16
	v_lshlrev_b32_e32 v1, 16, v12
	s_delay_alu instid0(VALU_DEP_2) | instskip(SKIP_1) | instid1(VALU_DEP_3)
	v_lshlrev_b32_e32 v8, 20, v16
	v_lshl_add_u32 v0, v0, 23, 0x3c000000
	v_and_b32_e32 v1, 0x80000000, v1
	s_delay_alu instid0(VALU_DEP_1)
	v_or3_b32 v1, v8, v1, v0
	v_mov_b32_e32 v0, v17
.LBB230_2608:                           ;   in Loop: Header=BB230_1574 Depth=1
	s_or_b32 exec_lo, exec_lo, s9
.LBB230_2609:                           ;   in Loop: Header=BB230_1574 Depth=1
	s_delay_alu instid0(SALU_CYCLE_1)
	s_or_b32 exec_lo, exec_lo, s8
.LBB230_2610:                           ;   in Loop: Header=BB230_1574 Depth=1
	s_delay_alu instid0(SALU_CYCLE_1) | instskip(SKIP_4) | instid1(VALU_DEP_3)
	s_or_b32 exec_lo, exec_lo, s3
	v_lshrrev_b32_e32 v13, 16, v12
	v_mov_b64_e32 v[8:9], 0
	v_mov_b64_e32 v[10:11], 0
	s_mov_b32 s3, exec_lo
	v_and_b32_e32 v14, 0xff, v13
	s_delay_alu instid0(VALU_DEP_1)
	v_cmpx_ne_u16_e32 0, v14
	s_cbranch_execz .LBB230_2618
; %bb.2611:                             ;   in Loop: Header=BB230_1574 Depth=1
	v_mov_b64_e32 v[10:11], 0x80000000
	s_mov_b32 s8, exec_lo
	v_cmpx_ne_u16_e32 0x80, v14
	s_cbranch_execz .LBB230_2617
; %bb.2612:                             ;   in Loop: Header=BB230_1574 Depth=1
	v_mov_b64_e32 v[10:11], 0x7f800001
	v_bfe_u32 v14, v12, 16, 7
	s_mov_b32 s9, exec_lo
	s_delay_alu instid0(VALU_DEP_1)
	v_cmpx_ne_u32_e32 0x7f, v14
	s_cbranch_execz .LBB230_2616
; %bb.2613:                             ;   in Loop: Header=BB230_1574 Depth=1
	v_dual_lshrrev_b32 v10, 3, v14 :: v_dual_bitop2_b32 v16, 7, v13 bitop3:0x40
	s_mov_b32 s16, exec_lo
	v_cmpx_gt_u32_e32 8, v14
; %bb.2614:                             ;   in Loop: Header=BB230_1574 Depth=1
	s_delay_alu instid0(VALU_DEP_2) | instskip(NEXT) | instid1(VALU_DEP_1)
	v_clz_i32_u32_e32 v10, v16
	v_min_u32_e32 v10, 32, v10
	s_delay_alu instid0(VALU_DEP_1) | instskip(SKIP_1) | instid1(VALU_DEP_2)
	v_subrev_nc_u32_e32 v11, 28, v10
	v_sub_nc_u32_e32 v10, 29, v10
	v_lshlrev_b64_e32 v[14:15], v11, v[16:17]
	s_delay_alu instid0(VALU_DEP_1)
	v_and_b32_e32 v16, 7, v14
; %bb.2615:                             ;   in Loop: Header=BB230_1574 Depth=1
	s_or_b32 exec_lo, exec_lo, s16
	s_delay_alu instid0(VALU_DEP_1) | instskip(SKIP_1) | instid1(VALU_DEP_2)
	v_dual_lshlrev_b32 v11, 24, v13 :: v_dual_lshlrev_b32 v13, 20, v16
	v_lshl_add_u32 v10, v10, 23, 0x3c000000
	v_and_b32_e32 v11, 0x80000000, v11
	s_delay_alu instid0(VALU_DEP_1) | instskip(NEXT) | instid1(VALU_DEP_1)
	v_or3_b32 v16, v13, v11, v10
	v_mov_b64_e32 v[10:11], v[16:17]
.LBB230_2616:                           ;   in Loop: Header=BB230_1574 Depth=1
	s_or_b32 exec_lo, exec_lo, s9
.LBB230_2617:                           ;   in Loop: Header=BB230_1574 Depth=1
	s_delay_alu instid0(SALU_CYCLE_1)
	s_or_b32 exec_lo, exec_lo, s8
.LBB230_2618:                           ;   in Loop: Header=BB230_1574 Depth=1
	s_delay_alu instid0(SALU_CYCLE_1) | instskip(NEXT) | instid1(SALU_CYCLE_1)
	s_or_b32 exec_lo, exec_lo, s3
	s_mov_b32 s3, exec_lo
	v_cmpx_lt_u32_e32 0xffffff, v12
	s_cbranch_execz .LBB230_2626
; %bb.2619:                             ;   in Loop: Header=BB230_1574 Depth=1
	v_mov_b64_e32 v[8:9], 0x8000000000000000
	v_lshrrev_b32_e32 v13, 24, v12
	s_mov_b32 s8, exec_lo
	s_delay_alu instid0(VALU_DEP_1)
	v_cmpx_ne_u32_e32 0x80, v13
	s_cbranch_execz .LBB230_2625
; %bb.2620:                             ;   in Loop: Header=BB230_1574 Depth=1
	v_mov_b64_e32 v[8:9], 0x7f80000100000000
	v_bfe_u32 v12, v12, 24, 7
	s_mov_b32 s9, exec_lo
	s_delay_alu instid0(VALU_DEP_1)
	v_cmpx_ne_u32_e32 0x7f, v12
	s_cbranch_execz .LBB230_2624
; %bb.2621:                             ;   in Loop: Header=BB230_1574 Depth=1
	v_dual_lshrrev_b32 v8, 3, v12 :: v_dual_bitop2_b32 v16, 7, v13 bitop3:0x40
	s_mov_b32 s16, exec_lo
	v_cmpx_gt_u32_e32 8, v12
; %bb.2622:                             ;   in Loop: Header=BB230_1574 Depth=1
	s_delay_alu instid0(VALU_DEP_2) | instskip(NEXT) | instid1(VALU_DEP_1)
	v_clz_i32_u32_e32 v8, v16
	v_min_u32_e32 v8, 32, v8
	s_delay_alu instid0(VALU_DEP_1) | instskip(NEXT) | instid1(VALU_DEP_1)
	v_subrev_nc_u32_e32 v9, 28, v8
	v_lshlrev_b64_e32 v[14:15], v9, v[16:17]
	s_delay_alu instid0(VALU_DEP_1)
	v_dual_sub_nc_u32 v8, 29, v8 :: v_dual_bitop2_b32 v16, 7, v14 bitop3:0x40
; %bb.2623:                             ;   in Loop: Header=BB230_1574 Depth=1
	s_or_b32 exec_lo, exec_lo, s16
	s_delay_alu instid0(VALU_DEP_1) | instskip(NEXT) | instid1(VALU_DEP_2)
	v_dual_lshlrev_b32 v9, 24, v13 :: v_dual_lshlrev_b32 v12, 20, v16
	v_lshl_add_u32 v8, v8, 23, 0x3c000000
	s_delay_alu instid0(VALU_DEP_2) | instskip(NEXT) | instid1(VALU_DEP_1)
	v_and_b32_e32 v9, 0x80000000, v9
	v_or3_b32 v9, v12, v9, v8
	v_mov_b32_e32 v8, v17
.LBB230_2624:                           ;   in Loop: Header=BB230_1574 Depth=1
	s_or_b32 exec_lo, exec_lo, s9
.LBB230_2625:                           ;   in Loop: Header=BB230_1574 Depth=1
	s_delay_alu instid0(SALU_CYCLE_1)
	s_or_b32 exec_lo, exec_lo, s8
.LBB230_2626:                           ;   in Loop: Header=BB230_1574 Depth=1
	s_delay_alu instid0(SALU_CYCLE_1) | instskip(SKIP_4) | instid1(VALU_DEP_3)
	s_or_b32 exec_lo, exec_lo, s3
	v_or_b32_e32 v1, v1, v7
	v_or_b32_e32 v0, v0, v6
	;; [unrolled: 1-line block ×4, first 2 shown]
	v_pk_mul_f32 v[124:125], v[70:71], v[0:1]
	s_delay_alu instid0(VALU_DEP_2)
	v_pk_mul_f32 v[98:99], v[70:71], v[6:7]
	s_and_saveexec_b32 s3, vcc_lo
	s_cbranch_execz .LBB230_2628
; %bb.2627:                             ;   in Loop: Header=BB230_1574 Depth=1
	scratch_load_b64 v[0:1], off, s32 offset:200 ; 8-byte Folded Reload
	s_wait_loadcnt 0x0
	v_cmp_lt_i32_e64 s0, v18, v0
	s_delay_alu instid0(VALU_DEP_1) | instskip(SKIP_1) | instid1(VALU_DEP_1)
	v_cndmask_b32_e64 v124, 0, v124, s0
	v_cmp_lt_i32_e64 s0, v19, v0
	v_cndmask_b32_e64 v125, 0, v125, s0
	v_cmp_lt_i32_e64 s0, v21, v0
	s_delay_alu instid0(VALU_DEP_1) | instskip(SKIP_1) | instid1(VALU_DEP_1)
	v_cndmask_b32_e64 v98, 0, v98, s0
	v_cmp_lt_i32_e64 s0, v20, v0
	v_cndmask_b32_e64 v99, 0, v99, s0
.LBB230_2628:                           ;   in Loop: Header=BB230_1574 Depth=1
	s_wait_xcnt 0x0
	s_or_b32 exec_lo, exec_lo, s3
	scratch_load_b64 v[0:1], off, s32 offset:764 ; 8-byte Folded Reload
	v_mov_b64_e32 v[6:7], 0
	s_mov_b32 s3, exec_lo
	s_wait_loadcnt 0x0
	v_add_nc_u64_e32 v[0:1], v[22:23], v[0:1]
	flat_load_b32 v12, v[0:1]
	s_wait_xcnt 0x0
	v_mov_b64_e32 v[0:1], 0
	s_wait_loadcnt_dscnt 0x0
	v_and_b32_e32 v8, 0xff, v12
	s_delay_alu instid0(VALU_DEP_1)
	v_cmpx_ne_u16_e32 0, v8
	s_cbranch_execz .LBB230_2636
; %bb.2629:                             ;   in Loop: Header=BB230_1574 Depth=1
	v_mov_b64_e32 v[6:7], 0x80000000
	s_mov_b32 s8, exec_lo
	v_cmpx_ne_u16_e32 0x80, v8
	s_cbranch_execz .LBB230_2635
; %bb.2630:                             ;   in Loop: Header=BB230_1574 Depth=1
	v_mov_b64_e32 v[6:7], 0x7f800001
	v_and_b32_e32 v8, 0x7f, v12
	s_mov_b32 s9, exec_lo
	s_delay_alu instid0(VALU_DEP_1)
	v_cmpx_ne_u32_e32 0x7f, v8
	s_cbranch_execz .LBB230_2634
; %bb.2631:                             ;   in Loop: Header=BB230_1574 Depth=1
	v_and_b32_e32 v16, 7, v12
	v_lshrrev_b32_e32 v6, 3, v8
	s_mov_b32 s16, exec_lo
	v_cmpx_gt_u32_e32 8, v8
; %bb.2632:                             ;   in Loop: Header=BB230_1574 Depth=1
	s_delay_alu instid0(VALU_DEP_3) | instskip(NEXT) | instid1(VALU_DEP_1)
	v_clz_i32_u32_e32 v6, v16
	v_min_u32_e32 v6, 32, v6
	s_delay_alu instid0(VALU_DEP_1) | instskip(NEXT) | instid1(VALU_DEP_1)
	v_subrev_nc_u32_e32 v7, 28, v6
	v_lshlrev_b64_e32 v[8:9], v7, v[16:17]
	s_delay_alu instid0(VALU_DEP_1)
	v_dual_sub_nc_u32 v6, 29, v6 :: v_dual_bitop2_b32 v16, 7, v8 bitop3:0x40
; %bb.2633:                             ;   in Loop: Header=BB230_1574 Depth=1
	s_or_b32 exec_lo, exec_lo, s16
	v_lshlrev_b32_e32 v7, 24, v12
	s_delay_alu instid0(VALU_DEP_2) | instskip(NEXT) | instid1(VALU_DEP_3)
	v_lshlrev_b32_e32 v8, 20, v16
	v_lshl_add_u32 v6, v6, 23, 0x3c000000
	s_delay_alu instid0(VALU_DEP_3) | instskip(NEXT) | instid1(VALU_DEP_1)
	v_and_b32_e32 v7, 0x80000000, v7
	v_or3_b32 v16, v8, v7, v6
	s_delay_alu instid0(VALU_DEP_1)
	v_mov_b64_e32 v[6:7], v[16:17]
.LBB230_2634:                           ;   in Loop: Header=BB230_1574 Depth=1
	s_or_b32 exec_lo, exec_lo, s9
.LBB230_2635:                           ;   in Loop: Header=BB230_1574 Depth=1
	s_delay_alu instid0(SALU_CYCLE_1)
	s_or_b32 exec_lo, exec_lo, s8
.LBB230_2636:                           ;   in Loop: Header=BB230_1574 Depth=1
	s_delay_alu instid0(SALU_CYCLE_1) | instskip(SKIP_2) | instid1(VALU_DEP_1)
	s_or_b32 exec_lo, exec_lo, s3
	v_lshrrev_b16 v8, 8, v12
	s_mov_b32 s3, exec_lo
	v_cmpx_ne_u16_e32 0, v8
	s_cbranch_execz .LBB230_2644
; %bb.2637:                             ;   in Loop: Header=BB230_1574 Depth=1
	v_mov_b64_e32 v[0:1], 0x8000000000000000
	s_mov_b32 s8, exec_lo
	v_cmpx_ne_u16_e32 0x80, v8
	s_cbranch_execz .LBB230_2643
; %bb.2638:                             ;   in Loop: Header=BB230_1574 Depth=1
	v_and_b32_e32 v9, 0xffff, v8
	v_mov_b64_e32 v[0:1], 0x7f80000100000000
	s_mov_b32 s9, exec_lo
	s_delay_alu instid0(VALU_DEP_2) | instskip(NEXT) | instid1(VALU_DEP_1)
	v_and_b32_e32 v8, 0x7f, v9
	v_cmpx_ne_u32_e32 0x7f, v8
	s_cbranch_execz .LBB230_2642
; %bb.2639:                             ;   in Loop: Header=BB230_1574 Depth=1
	v_dual_lshrrev_b32 v0, 3, v8 :: v_dual_bitop2_b32 v16, 7, v9 bitop3:0x40
	s_mov_b32 s16, exec_lo
	v_cmpx_gt_u32_e32 8, v8
; %bb.2640:                             ;   in Loop: Header=BB230_1574 Depth=1
	s_delay_alu instid0(VALU_DEP_2) | instskip(NEXT) | instid1(VALU_DEP_1)
	v_clz_i32_u32_e32 v0, v16
	v_min_u32_e32 v0, 32, v0
	s_delay_alu instid0(VALU_DEP_1) | instskip(SKIP_1) | instid1(VALU_DEP_2)
	v_subrev_nc_u32_e32 v1, 28, v0
	v_sub_nc_u32_e32 v0, 29, v0
	v_lshlrev_b64_e32 v[8:9], v1, v[16:17]
	s_delay_alu instid0(VALU_DEP_1)
	v_and_b32_e32 v16, 7, v8
; %bb.2641:                             ;   in Loop: Header=BB230_1574 Depth=1
	s_or_b32 exec_lo, exec_lo, s16
	v_lshlrev_b32_e32 v1, 16, v12
	s_delay_alu instid0(VALU_DEP_2) | instskip(SKIP_1) | instid1(VALU_DEP_3)
	v_lshlrev_b32_e32 v8, 20, v16
	v_lshl_add_u32 v0, v0, 23, 0x3c000000
	v_and_b32_e32 v1, 0x80000000, v1
	s_delay_alu instid0(VALU_DEP_1)
	v_or3_b32 v1, v8, v1, v0
	v_mov_b32_e32 v0, v17
.LBB230_2642:                           ;   in Loop: Header=BB230_1574 Depth=1
	s_or_b32 exec_lo, exec_lo, s9
.LBB230_2643:                           ;   in Loop: Header=BB230_1574 Depth=1
	s_delay_alu instid0(SALU_CYCLE_1)
	s_or_b32 exec_lo, exec_lo, s8
.LBB230_2644:                           ;   in Loop: Header=BB230_1574 Depth=1
	s_delay_alu instid0(SALU_CYCLE_1) | instskip(SKIP_4) | instid1(VALU_DEP_3)
	s_or_b32 exec_lo, exec_lo, s3
	v_lshrrev_b32_e32 v13, 16, v12
	v_mov_b64_e32 v[8:9], 0
	v_mov_b64_e32 v[10:11], 0
	s_mov_b32 s3, exec_lo
	v_and_b32_e32 v14, 0xff, v13
	s_delay_alu instid0(VALU_DEP_1)
	v_cmpx_ne_u16_e32 0, v14
	s_cbranch_execz .LBB230_2652
; %bb.2645:                             ;   in Loop: Header=BB230_1574 Depth=1
	v_mov_b64_e32 v[10:11], 0x80000000
	s_mov_b32 s8, exec_lo
	v_cmpx_ne_u16_e32 0x80, v14
	s_cbranch_execz .LBB230_2651
; %bb.2646:                             ;   in Loop: Header=BB230_1574 Depth=1
	v_mov_b64_e32 v[10:11], 0x7f800001
	v_bfe_u32 v14, v12, 16, 7
	s_mov_b32 s9, exec_lo
	s_delay_alu instid0(VALU_DEP_1)
	v_cmpx_ne_u32_e32 0x7f, v14
	s_cbranch_execz .LBB230_2650
; %bb.2647:                             ;   in Loop: Header=BB230_1574 Depth=1
	v_dual_lshrrev_b32 v10, 3, v14 :: v_dual_bitop2_b32 v16, 7, v13 bitop3:0x40
	s_mov_b32 s16, exec_lo
	v_cmpx_gt_u32_e32 8, v14
; %bb.2648:                             ;   in Loop: Header=BB230_1574 Depth=1
	s_delay_alu instid0(VALU_DEP_2) | instskip(NEXT) | instid1(VALU_DEP_1)
	v_clz_i32_u32_e32 v10, v16
	v_min_u32_e32 v10, 32, v10
	s_delay_alu instid0(VALU_DEP_1) | instskip(SKIP_1) | instid1(VALU_DEP_2)
	v_subrev_nc_u32_e32 v11, 28, v10
	v_sub_nc_u32_e32 v10, 29, v10
	v_lshlrev_b64_e32 v[14:15], v11, v[16:17]
	s_delay_alu instid0(VALU_DEP_1)
	v_and_b32_e32 v16, 7, v14
; %bb.2649:                             ;   in Loop: Header=BB230_1574 Depth=1
	s_or_b32 exec_lo, exec_lo, s16
	s_delay_alu instid0(VALU_DEP_1) | instskip(SKIP_1) | instid1(VALU_DEP_2)
	v_dual_lshlrev_b32 v11, 24, v13 :: v_dual_lshlrev_b32 v13, 20, v16
	v_lshl_add_u32 v10, v10, 23, 0x3c000000
	v_and_b32_e32 v11, 0x80000000, v11
	s_delay_alu instid0(VALU_DEP_1) | instskip(NEXT) | instid1(VALU_DEP_1)
	v_or3_b32 v16, v13, v11, v10
	v_mov_b64_e32 v[10:11], v[16:17]
.LBB230_2650:                           ;   in Loop: Header=BB230_1574 Depth=1
	s_or_b32 exec_lo, exec_lo, s9
.LBB230_2651:                           ;   in Loop: Header=BB230_1574 Depth=1
	s_delay_alu instid0(SALU_CYCLE_1)
	s_or_b32 exec_lo, exec_lo, s8
.LBB230_2652:                           ;   in Loop: Header=BB230_1574 Depth=1
	s_delay_alu instid0(SALU_CYCLE_1) | instskip(NEXT) | instid1(SALU_CYCLE_1)
	s_or_b32 exec_lo, exec_lo, s3
	s_mov_b32 s3, exec_lo
	v_cmpx_lt_u32_e32 0xffffff, v12
	s_cbranch_execz .LBB230_2660
; %bb.2653:                             ;   in Loop: Header=BB230_1574 Depth=1
	v_mov_b64_e32 v[8:9], 0x8000000000000000
	v_lshrrev_b32_e32 v13, 24, v12
	s_mov_b32 s8, exec_lo
	s_delay_alu instid0(VALU_DEP_1)
	v_cmpx_ne_u32_e32 0x80, v13
	s_cbranch_execz .LBB230_2659
; %bb.2654:                             ;   in Loop: Header=BB230_1574 Depth=1
	v_mov_b64_e32 v[8:9], 0x7f80000100000000
	v_bfe_u32 v12, v12, 24, 7
	s_mov_b32 s9, exec_lo
	s_delay_alu instid0(VALU_DEP_1)
	v_cmpx_ne_u32_e32 0x7f, v12
	s_cbranch_execz .LBB230_2658
; %bb.2655:                             ;   in Loop: Header=BB230_1574 Depth=1
	v_dual_lshrrev_b32 v8, 3, v12 :: v_dual_bitop2_b32 v16, 7, v13 bitop3:0x40
	s_mov_b32 s16, exec_lo
	v_cmpx_gt_u32_e32 8, v12
; %bb.2656:                             ;   in Loop: Header=BB230_1574 Depth=1
	s_delay_alu instid0(VALU_DEP_2) | instskip(NEXT) | instid1(VALU_DEP_1)
	v_clz_i32_u32_e32 v8, v16
	v_min_u32_e32 v8, 32, v8
	s_delay_alu instid0(VALU_DEP_1) | instskip(NEXT) | instid1(VALU_DEP_1)
	v_subrev_nc_u32_e32 v9, 28, v8
	v_lshlrev_b64_e32 v[14:15], v9, v[16:17]
	s_delay_alu instid0(VALU_DEP_1)
	v_dual_sub_nc_u32 v8, 29, v8 :: v_dual_bitop2_b32 v16, 7, v14 bitop3:0x40
; %bb.2657:                             ;   in Loop: Header=BB230_1574 Depth=1
	s_or_b32 exec_lo, exec_lo, s16
	s_delay_alu instid0(VALU_DEP_1) | instskip(NEXT) | instid1(VALU_DEP_2)
	v_dual_lshlrev_b32 v9, 24, v13 :: v_dual_lshlrev_b32 v12, 20, v16
	v_lshl_add_u32 v8, v8, 23, 0x3c000000
	s_delay_alu instid0(VALU_DEP_2) | instskip(NEXT) | instid1(VALU_DEP_1)
	v_and_b32_e32 v9, 0x80000000, v9
	v_or3_b32 v9, v12, v9, v8
	v_mov_b32_e32 v8, v17
.LBB230_2658:                           ;   in Loop: Header=BB230_1574 Depth=1
	s_or_b32 exec_lo, exec_lo, s9
.LBB230_2659:                           ;   in Loop: Header=BB230_1574 Depth=1
	s_delay_alu instid0(SALU_CYCLE_1)
	s_or_b32 exec_lo, exec_lo, s8
.LBB230_2660:                           ;   in Loop: Header=BB230_1574 Depth=1
	s_delay_alu instid0(SALU_CYCLE_1) | instskip(SKIP_4) | instid1(VALU_DEP_3)
	s_or_b32 exec_lo, exec_lo, s3
	v_or_b32_e32 v1, v1, v7
	v_or_b32_e32 v0, v0, v6
	v_or_b32_e32 v7, v9, v11
	v_or_b32_e32 v6, v8, v10
	v_pk_mul_f32 v[80:81], v[70:71], v[0:1]
	s_delay_alu instid0(VALU_DEP_2)
	v_pk_mul_f32 v[126:127], v[70:71], v[6:7]
	s_and_saveexec_b32 s3, vcc_lo
	s_cbranch_execz .LBB230_2662
; %bb.2661:                             ;   in Loop: Header=BB230_1574 Depth=1
	scratch_load_b64 v[0:1], off, s32 offset:200 ; 8-byte Folded Reload
	s_wait_loadcnt 0x0
	v_cmp_lt_i32_e64 s0, v18, v0
	s_delay_alu instid0(VALU_DEP_1) | instskip(SKIP_1) | instid1(VALU_DEP_1)
	v_cndmask_b32_e64 v80, 0, v80, s0
	v_cmp_lt_i32_e64 s0, v19, v0
	v_cndmask_b32_e64 v81, 0, v81, s0
	v_cmp_lt_i32_e64 s0, v21, v0
	s_delay_alu instid0(VALU_DEP_1) | instskip(SKIP_1) | instid1(VALU_DEP_1)
	v_cndmask_b32_e64 v126, 0, v126, s0
	v_cmp_lt_i32_e64 s0, v20, v0
	v_cndmask_b32_e64 v127, 0, v127, s0
.LBB230_2662:                           ;   in Loop: Header=BB230_1574 Depth=1
	s_wait_xcnt 0x0
	s_or_b32 exec_lo, exec_lo, s3
	flat_load_b32 v12, v[116:117] offset:4096
	v_mov_b64_e32 v[0:1], 0
	v_mov_b64_e32 v[6:7], 0
	s_mov_b32 s3, exec_lo
	s_wait_loadcnt_dscnt 0x0
	v_and_b32_e32 v8, 0xff, v12
	s_wait_xcnt 0x0
	s_delay_alu instid0(VALU_DEP_1)
	v_cmpx_ne_u16_e32 0, v8
	s_cbranch_execz .LBB230_2670
; %bb.2663:                             ;   in Loop: Header=BB230_1574 Depth=1
	v_mov_b64_e32 v[6:7], 0x80000000
	s_mov_b32 s8, exec_lo
	v_cmpx_ne_u16_e32 0x80, v8
	s_cbranch_execz .LBB230_2669
; %bb.2664:                             ;   in Loop: Header=BB230_1574 Depth=1
	v_mov_b64_e32 v[6:7], 0x7f800001
	v_and_b32_e32 v8, 0x7f, v12
	s_mov_b32 s9, exec_lo
	s_delay_alu instid0(VALU_DEP_1)
	v_cmpx_ne_u32_e32 0x7f, v8
	s_cbranch_execz .LBB230_2668
; %bb.2665:                             ;   in Loop: Header=BB230_1574 Depth=1
	v_and_b32_e32 v16, 7, v12
	v_lshrrev_b32_e32 v6, 3, v8
	s_mov_b32 s16, exec_lo
	v_cmpx_gt_u32_e32 8, v8
; %bb.2666:                             ;   in Loop: Header=BB230_1574 Depth=1
	s_delay_alu instid0(VALU_DEP_3) | instskip(NEXT) | instid1(VALU_DEP_1)
	v_clz_i32_u32_e32 v6, v16
	v_min_u32_e32 v6, 32, v6
	s_delay_alu instid0(VALU_DEP_1) | instskip(NEXT) | instid1(VALU_DEP_1)
	v_subrev_nc_u32_e32 v7, 28, v6
	v_lshlrev_b64_e32 v[8:9], v7, v[16:17]
	s_delay_alu instid0(VALU_DEP_1)
	v_dual_sub_nc_u32 v6, 29, v6 :: v_dual_bitop2_b32 v16, 7, v8 bitop3:0x40
; %bb.2667:                             ;   in Loop: Header=BB230_1574 Depth=1
	s_or_b32 exec_lo, exec_lo, s16
	v_lshlrev_b32_e32 v7, 24, v12
	s_delay_alu instid0(VALU_DEP_2) | instskip(NEXT) | instid1(VALU_DEP_3)
	v_lshlrev_b32_e32 v8, 20, v16
	v_lshl_add_u32 v6, v6, 23, 0x3c000000
	s_delay_alu instid0(VALU_DEP_3) | instskip(NEXT) | instid1(VALU_DEP_1)
	v_and_b32_e32 v7, 0x80000000, v7
	v_or3_b32 v16, v8, v7, v6
	s_delay_alu instid0(VALU_DEP_1)
	v_mov_b64_e32 v[6:7], v[16:17]
.LBB230_2668:                           ;   in Loop: Header=BB230_1574 Depth=1
	s_or_b32 exec_lo, exec_lo, s9
.LBB230_2669:                           ;   in Loop: Header=BB230_1574 Depth=1
	s_delay_alu instid0(SALU_CYCLE_1)
	s_or_b32 exec_lo, exec_lo, s8
.LBB230_2670:                           ;   in Loop: Header=BB230_1574 Depth=1
	s_delay_alu instid0(SALU_CYCLE_1) | instskip(SKIP_2) | instid1(VALU_DEP_1)
	s_or_b32 exec_lo, exec_lo, s3
	v_lshrrev_b16 v8, 8, v12
	s_mov_b32 s3, exec_lo
	v_cmpx_ne_u16_e32 0, v8
	s_cbranch_execz .LBB230_2678
; %bb.2671:                             ;   in Loop: Header=BB230_1574 Depth=1
	v_mov_b64_e32 v[0:1], 0x8000000000000000
	s_mov_b32 s8, exec_lo
	v_cmpx_ne_u16_e32 0x80, v8
	s_cbranch_execz .LBB230_2677
; %bb.2672:                             ;   in Loop: Header=BB230_1574 Depth=1
	v_and_b32_e32 v9, 0xffff, v8
	v_mov_b64_e32 v[0:1], 0x7f80000100000000
	s_mov_b32 s9, exec_lo
	s_delay_alu instid0(VALU_DEP_2) | instskip(NEXT) | instid1(VALU_DEP_1)
	v_and_b32_e32 v8, 0x7f, v9
	v_cmpx_ne_u32_e32 0x7f, v8
	s_cbranch_execz .LBB230_2676
; %bb.2673:                             ;   in Loop: Header=BB230_1574 Depth=1
	v_dual_lshrrev_b32 v0, 3, v8 :: v_dual_bitop2_b32 v16, 7, v9 bitop3:0x40
	s_mov_b32 s16, exec_lo
	v_cmpx_gt_u32_e32 8, v8
; %bb.2674:                             ;   in Loop: Header=BB230_1574 Depth=1
	s_delay_alu instid0(VALU_DEP_2) | instskip(NEXT) | instid1(VALU_DEP_1)
	v_clz_i32_u32_e32 v0, v16
	v_min_u32_e32 v0, 32, v0
	s_delay_alu instid0(VALU_DEP_1) | instskip(SKIP_1) | instid1(VALU_DEP_2)
	v_subrev_nc_u32_e32 v1, 28, v0
	v_sub_nc_u32_e32 v0, 29, v0
	v_lshlrev_b64_e32 v[8:9], v1, v[16:17]
	s_delay_alu instid0(VALU_DEP_1)
	v_and_b32_e32 v16, 7, v8
; %bb.2675:                             ;   in Loop: Header=BB230_1574 Depth=1
	s_or_b32 exec_lo, exec_lo, s16
	v_lshlrev_b32_e32 v1, 16, v12
	s_delay_alu instid0(VALU_DEP_2) | instskip(SKIP_1) | instid1(VALU_DEP_3)
	v_lshlrev_b32_e32 v8, 20, v16
	v_lshl_add_u32 v0, v0, 23, 0x3c000000
	v_and_b32_e32 v1, 0x80000000, v1
	s_delay_alu instid0(VALU_DEP_1)
	v_or3_b32 v1, v8, v1, v0
	v_mov_b32_e32 v0, v17
.LBB230_2676:                           ;   in Loop: Header=BB230_1574 Depth=1
	s_or_b32 exec_lo, exec_lo, s9
.LBB230_2677:                           ;   in Loop: Header=BB230_1574 Depth=1
	s_delay_alu instid0(SALU_CYCLE_1)
	s_or_b32 exec_lo, exec_lo, s8
.LBB230_2678:                           ;   in Loop: Header=BB230_1574 Depth=1
	s_delay_alu instid0(SALU_CYCLE_1) | instskip(SKIP_4) | instid1(VALU_DEP_3)
	s_or_b32 exec_lo, exec_lo, s3
	v_lshrrev_b32_e32 v13, 16, v12
	v_mov_b64_e32 v[8:9], 0
	v_mov_b64_e32 v[10:11], 0
	s_mov_b32 s3, exec_lo
	v_and_b32_e32 v14, 0xff, v13
	s_delay_alu instid0(VALU_DEP_1)
	v_cmpx_ne_u16_e32 0, v14
	s_cbranch_execz .LBB230_2686
; %bb.2679:                             ;   in Loop: Header=BB230_1574 Depth=1
	v_mov_b64_e32 v[10:11], 0x80000000
	s_mov_b32 s8, exec_lo
	v_cmpx_ne_u16_e32 0x80, v14
	s_cbranch_execz .LBB230_2685
; %bb.2680:                             ;   in Loop: Header=BB230_1574 Depth=1
	v_mov_b64_e32 v[10:11], 0x7f800001
	v_bfe_u32 v14, v12, 16, 7
	s_mov_b32 s9, exec_lo
	s_delay_alu instid0(VALU_DEP_1)
	v_cmpx_ne_u32_e32 0x7f, v14
	s_cbranch_execz .LBB230_2684
; %bb.2681:                             ;   in Loop: Header=BB230_1574 Depth=1
	v_dual_lshrrev_b32 v10, 3, v14 :: v_dual_bitop2_b32 v16, 7, v13 bitop3:0x40
	s_mov_b32 s16, exec_lo
	v_cmpx_gt_u32_e32 8, v14
; %bb.2682:                             ;   in Loop: Header=BB230_1574 Depth=1
	s_delay_alu instid0(VALU_DEP_2) | instskip(NEXT) | instid1(VALU_DEP_1)
	v_clz_i32_u32_e32 v10, v16
	v_min_u32_e32 v10, 32, v10
	s_delay_alu instid0(VALU_DEP_1) | instskip(SKIP_1) | instid1(VALU_DEP_2)
	v_subrev_nc_u32_e32 v11, 28, v10
	v_sub_nc_u32_e32 v10, 29, v10
	v_lshlrev_b64_e32 v[14:15], v11, v[16:17]
	s_delay_alu instid0(VALU_DEP_1)
	v_and_b32_e32 v16, 7, v14
; %bb.2683:                             ;   in Loop: Header=BB230_1574 Depth=1
	s_or_b32 exec_lo, exec_lo, s16
	s_delay_alu instid0(VALU_DEP_1) | instskip(SKIP_1) | instid1(VALU_DEP_2)
	v_dual_lshlrev_b32 v11, 24, v13 :: v_dual_lshlrev_b32 v13, 20, v16
	v_lshl_add_u32 v10, v10, 23, 0x3c000000
	v_and_b32_e32 v11, 0x80000000, v11
	s_delay_alu instid0(VALU_DEP_1) | instskip(NEXT) | instid1(VALU_DEP_1)
	v_or3_b32 v16, v13, v11, v10
	v_mov_b64_e32 v[10:11], v[16:17]
.LBB230_2684:                           ;   in Loop: Header=BB230_1574 Depth=1
	s_or_b32 exec_lo, exec_lo, s9
.LBB230_2685:                           ;   in Loop: Header=BB230_1574 Depth=1
	s_delay_alu instid0(SALU_CYCLE_1)
	s_or_b32 exec_lo, exec_lo, s8
.LBB230_2686:                           ;   in Loop: Header=BB230_1574 Depth=1
	s_delay_alu instid0(SALU_CYCLE_1) | instskip(NEXT) | instid1(SALU_CYCLE_1)
	s_or_b32 exec_lo, exec_lo, s3
	s_mov_b32 s3, exec_lo
	v_cmpx_lt_u32_e32 0xffffff, v12
	s_cbranch_execz .LBB230_2694
; %bb.2687:                             ;   in Loop: Header=BB230_1574 Depth=1
	v_mov_b64_e32 v[8:9], 0x8000000000000000
	v_lshrrev_b32_e32 v13, 24, v12
	s_mov_b32 s8, exec_lo
	s_delay_alu instid0(VALU_DEP_1)
	v_cmpx_ne_u32_e32 0x80, v13
	s_cbranch_execz .LBB230_2693
; %bb.2688:                             ;   in Loop: Header=BB230_1574 Depth=1
	v_mov_b64_e32 v[8:9], 0x7f80000100000000
	v_bfe_u32 v12, v12, 24, 7
	s_mov_b32 s9, exec_lo
	s_delay_alu instid0(VALU_DEP_1)
	v_cmpx_ne_u32_e32 0x7f, v12
	s_cbranch_execz .LBB230_2692
; %bb.2689:                             ;   in Loop: Header=BB230_1574 Depth=1
	v_dual_lshrrev_b32 v8, 3, v12 :: v_dual_bitop2_b32 v16, 7, v13 bitop3:0x40
	s_mov_b32 s16, exec_lo
	v_cmpx_gt_u32_e32 8, v12
; %bb.2690:                             ;   in Loop: Header=BB230_1574 Depth=1
	s_delay_alu instid0(VALU_DEP_2) | instskip(NEXT) | instid1(VALU_DEP_1)
	v_clz_i32_u32_e32 v8, v16
	v_min_u32_e32 v8, 32, v8
	s_delay_alu instid0(VALU_DEP_1) | instskip(NEXT) | instid1(VALU_DEP_1)
	v_subrev_nc_u32_e32 v9, 28, v8
	v_lshlrev_b64_e32 v[14:15], v9, v[16:17]
	s_delay_alu instid0(VALU_DEP_1)
	v_dual_sub_nc_u32 v8, 29, v8 :: v_dual_bitop2_b32 v16, 7, v14 bitop3:0x40
; %bb.2691:                             ;   in Loop: Header=BB230_1574 Depth=1
	s_or_b32 exec_lo, exec_lo, s16
	s_delay_alu instid0(VALU_DEP_1) | instskip(NEXT) | instid1(VALU_DEP_2)
	v_dual_lshlrev_b32 v9, 24, v13 :: v_dual_lshlrev_b32 v12, 20, v16
	v_lshl_add_u32 v8, v8, 23, 0x3c000000
	s_delay_alu instid0(VALU_DEP_2) | instskip(NEXT) | instid1(VALU_DEP_1)
	v_and_b32_e32 v9, 0x80000000, v9
	v_or3_b32 v9, v12, v9, v8
	v_mov_b32_e32 v8, v17
.LBB230_2692:                           ;   in Loop: Header=BB230_1574 Depth=1
	s_or_b32 exec_lo, exec_lo, s9
.LBB230_2693:                           ;   in Loop: Header=BB230_1574 Depth=1
	s_delay_alu instid0(SALU_CYCLE_1)
	s_or_b32 exec_lo, exec_lo, s8
.LBB230_2694:                           ;   in Loop: Header=BB230_1574 Depth=1
	s_delay_alu instid0(SALU_CYCLE_1) | instskip(SKIP_4) | instid1(VALU_DEP_3)
	s_or_b32 exec_lo, exec_lo, s3
	v_or_b32_e32 v1, v1, v7
	v_or_b32_e32 v0, v0, v6
	;; [unrolled: 1-line block ×4, first 2 shown]
	v_pk_mul_f32 v[86:87], v[70:71], v[0:1]
	s_delay_alu instid0(VALU_DEP_2)
	v_pk_mul_f32 v[84:85], v[70:71], v[6:7]
	s_and_saveexec_b32 s3, vcc_lo
	s_cbranch_execz .LBB230_2696
; %bb.2695:                             ;   in Loop: Header=BB230_1574 Depth=1
	scratch_load_b64 v[0:1], off, s32 offset:200 ; 8-byte Folded Reload
	s_wait_loadcnt 0x0
	v_cmp_lt_i32_e64 s0, v18, v0
	s_delay_alu instid0(VALU_DEP_1) | instskip(SKIP_1) | instid1(VALU_DEP_1)
	v_cndmask_b32_e64 v86, 0, v86, s0
	v_cmp_lt_i32_e64 s0, v19, v0
	v_cndmask_b32_e64 v87, 0, v87, s0
	v_cmp_lt_i32_e64 s0, v21, v0
	s_delay_alu instid0(VALU_DEP_1) | instskip(SKIP_1) | instid1(VALU_DEP_1)
	v_cndmask_b32_e64 v84, 0, v84, s0
	v_cmp_lt_i32_e64 s0, v20, v0
	v_cndmask_b32_e64 v85, 0, v85, s0
.LBB230_2696:                           ;   in Loop: Header=BB230_1574 Depth=1
	s_wait_xcnt 0x0
	s_or_b32 exec_lo, exec_lo, s3
	flat_load_b32 v12, v[116:117] offset:4224
	v_mov_b64_e32 v[0:1], 0
	v_mov_b64_e32 v[6:7], 0
	s_mov_b32 s3, exec_lo
	s_wait_loadcnt_dscnt 0x0
	v_and_b32_e32 v8, 0xff, v12
	s_wait_xcnt 0x0
	s_delay_alu instid0(VALU_DEP_1)
	v_cmpx_ne_u16_e32 0, v8
	s_cbranch_execz .LBB230_2704
; %bb.2697:                             ;   in Loop: Header=BB230_1574 Depth=1
	v_mov_b64_e32 v[6:7], 0x80000000
	s_mov_b32 s8, exec_lo
	v_cmpx_ne_u16_e32 0x80, v8
	s_cbranch_execz .LBB230_2703
; %bb.2698:                             ;   in Loop: Header=BB230_1574 Depth=1
	v_mov_b64_e32 v[6:7], 0x7f800001
	v_and_b32_e32 v8, 0x7f, v12
	s_mov_b32 s9, exec_lo
	s_delay_alu instid0(VALU_DEP_1)
	v_cmpx_ne_u32_e32 0x7f, v8
	s_cbranch_execz .LBB230_2702
; %bb.2699:                             ;   in Loop: Header=BB230_1574 Depth=1
	v_and_b32_e32 v16, 7, v12
	v_lshrrev_b32_e32 v6, 3, v8
	s_mov_b32 s16, exec_lo
	v_cmpx_gt_u32_e32 8, v8
; %bb.2700:                             ;   in Loop: Header=BB230_1574 Depth=1
	s_delay_alu instid0(VALU_DEP_3) | instskip(NEXT) | instid1(VALU_DEP_1)
	v_clz_i32_u32_e32 v6, v16
	v_min_u32_e32 v6, 32, v6
	s_delay_alu instid0(VALU_DEP_1) | instskip(NEXT) | instid1(VALU_DEP_1)
	v_subrev_nc_u32_e32 v7, 28, v6
	v_lshlrev_b64_e32 v[8:9], v7, v[16:17]
	s_delay_alu instid0(VALU_DEP_1)
	v_dual_sub_nc_u32 v6, 29, v6 :: v_dual_bitop2_b32 v16, 7, v8 bitop3:0x40
; %bb.2701:                             ;   in Loop: Header=BB230_1574 Depth=1
	s_or_b32 exec_lo, exec_lo, s16
	v_lshlrev_b32_e32 v7, 24, v12
	s_delay_alu instid0(VALU_DEP_2) | instskip(NEXT) | instid1(VALU_DEP_3)
	v_lshlrev_b32_e32 v8, 20, v16
	v_lshl_add_u32 v6, v6, 23, 0x3c000000
	s_delay_alu instid0(VALU_DEP_3) | instskip(NEXT) | instid1(VALU_DEP_1)
	v_and_b32_e32 v7, 0x80000000, v7
	v_or3_b32 v16, v8, v7, v6
	s_delay_alu instid0(VALU_DEP_1)
	v_mov_b64_e32 v[6:7], v[16:17]
.LBB230_2702:                           ;   in Loop: Header=BB230_1574 Depth=1
	s_or_b32 exec_lo, exec_lo, s9
.LBB230_2703:                           ;   in Loop: Header=BB230_1574 Depth=1
	s_delay_alu instid0(SALU_CYCLE_1)
	s_or_b32 exec_lo, exec_lo, s8
.LBB230_2704:                           ;   in Loop: Header=BB230_1574 Depth=1
	s_delay_alu instid0(SALU_CYCLE_1) | instskip(SKIP_2) | instid1(VALU_DEP_1)
	s_or_b32 exec_lo, exec_lo, s3
	v_lshrrev_b16 v8, 8, v12
	s_mov_b32 s3, exec_lo
	v_cmpx_ne_u16_e32 0, v8
	s_cbranch_execz .LBB230_2712
; %bb.2705:                             ;   in Loop: Header=BB230_1574 Depth=1
	v_mov_b64_e32 v[0:1], 0x8000000000000000
	s_mov_b32 s8, exec_lo
	v_cmpx_ne_u16_e32 0x80, v8
	s_cbranch_execz .LBB230_2711
; %bb.2706:                             ;   in Loop: Header=BB230_1574 Depth=1
	v_and_b32_e32 v9, 0xffff, v8
	v_mov_b64_e32 v[0:1], 0x7f80000100000000
	s_mov_b32 s9, exec_lo
	s_delay_alu instid0(VALU_DEP_2) | instskip(NEXT) | instid1(VALU_DEP_1)
	v_and_b32_e32 v8, 0x7f, v9
	v_cmpx_ne_u32_e32 0x7f, v8
	s_cbranch_execz .LBB230_2710
; %bb.2707:                             ;   in Loop: Header=BB230_1574 Depth=1
	v_dual_lshrrev_b32 v0, 3, v8 :: v_dual_bitop2_b32 v16, 7, v9 bitop3:0x40
	s_mov_b32 s16, exec_lo
	v_cmpx_gt_u32_e32 8, v8
; %bb.2708:                             ;   in Loop: Header=BB230_1574 Depth=1
	s_delay_alu instid0(VALU_DEP_2) | instskip(NEXT) | instid1(VALU_DEP_1)
	v_clz_i32_u32_e32 v0, v16
	v_min_u32_e32 v0, 32, v0
	s_delay_alu instid0(VALU_DEP_1) | instskip(SKIP_1) | instid1(VALU_DEP_2)
	v_subrev_nc_u32_e32 v1, 28, v0
	v_sub_nc_u32_e32 v0, 29, v0
	v_lshlrev_b64_e32 v[8:9], v1, v[16:17]
	s_delay_alu instid0(VALU_DEP_1)
	v_and_b32_e32 v16, 7, v8
; %bb.2709:                             ;   in Loop: Header=BB230_1574 Depth=1
	s_or_b32 exec_lo, exec_lo, s16
	v_lshlrev_b32_e32 v1, 16, v12
	s_delay_alu instid0(VALU_DEP_2) | instskip(SKIP_1) | instid1(VALU_DEP_3)
	v_lshlrev_b32_e32 v8, 20, v16
	v_lshl_add_u32 v0, v0, 23, 0x3c000000
	v_and_b32_e32 v1, 0x80000000, v1
	s_delay_alu instid0(VALU_DEP_1)
	v_or3_b32 v1, v8, v1, v0
	v_mov_b32_e32 v0, v17
.LBB230_2710:                           ;   in Loop: Header=BB230_1574 Depth=1
	s_or_b32 exec_lo, exec_lo, s9
.LBB230_2711:                           ;   in Loop: Header=BB230_1574 Depth=1
	s_delay_alu instid0(SALU_CYCLE_1)
	s_or_b32 exec_lo, exec_lo, s8
.LBB230_2712:                           ;   in Loop: Header=BB230_1574 Depth=1
	s_delay_alu instid0(SALU_CYCLE_1) | instskip(SKIP_4) | instid1(VALU_DEP_3)
	s_or_b32 exec_lo, exec_lo, s3
	v_lshrrev_b32_e32 v13, 16, v12
	v_mov_b64_e32 v[8:9], 0
	v_mov_b64_e32 v[10:11], 0
	s_mov_b32 s3, exec_lo
	v_and_b32_e32 v14, 0xff, v13
	s_delay_alu instid0(VALU_DEP_1)
	v_cmpx_ne_u16_e32 0, v14
	s_cbranch_execz .LBB230_2720
; %bb.2713:                             ;   in Loop: Header=BB230_1574 Depth=1
	v_mov_b64_e32 v[10:11], 0x80000000
	s_mov_b32 s8, exec_lo
	v_cmpx_ne_u16_e32 0x80, v14
	s_cbranch_execz .LBB230_2719
; %bb.2714:                             ;   in Loop: Header=BB230_1574 Depth=1
	v_mov_b64_e32 v[10:11], 0x7f800001
	v_bfe_u32 v14, v12, 16, 7
	s_mov_b32 s9, exec_lo
	s_delay_alu instid0(VALU_DEP_1)
	v_cmpx_ne_u32_e32 0x7f, v14
	s_cbranch_execz .LBB230_2718
; %bb.2715:                             ;   in Loop: Header=BB230_1574 Depth=1
	v_dual_lshrrev_b32 v10, 3, v14 :: v_dual_bitop2_b32 v16, 7, v13 bitop3:0x40
	s_mov_b32 s16, exec_lo
	v_cmpx_gt_u32_e32 8, v14
; %bb.2716:                             ;   in Loop: Header=BB230_1574 Depth=1
	s_delay_alu instid0(VALU_DEP_2) | instskip(NEXT) | instid1(VALU_DEP_1)
	v_clz_i32_u32_e32 v10, v16
	v_min_u32_e32 v10, 32, v10
	s_delay_alu instid0(VALU_DEP_1) | instskip(SKIP_1) | instid1(VALU_DEP_2)
	v_subrev_nc_u32_e32 v11, 28, v10
	v_sub_nc_u32_e32 v10, 29, v10
	v_lshlrev_b64_e32 v[14:15], v11, v[16:17]
	s_delay_alu instid0(VALU_DEP_1)
	v_and_b32_e32 v16, 7, v14
; %bb.2717:                             ;   in Loop: Header=BB230_1574 Depth=1
	s_or_b32 exec_lo, exec_lo, s16
	s_delay_alu instid0(VALU_DEP_1) | instskip(SKIP_1) | instid1(VALU_DEP_2)
	v_dual_lshlrev_b32 v11, 24, v13 :: v_dual_lshlrev_b32 v13, 20, v16
	v_lshl_add_u32 v10, v10, 23, 0x3c000000
	v_and_b32_e32 v11, 0x80000000, v11
	s_delay_alu instid0(VALU_DEP_1) | instskip(NEXT) | instid1(VALU_DEP_1)
	v_or3_b32 v16, v13, v11, v10
	v_mov_b64_e32 v[10:11], v[16:17]
.LBB230_2718:                           ;   in Loop: Header=BB230_1574 Depth=1
	s_or_b32 exec_lo, exec_lo, s9
.LBB230_2719:                           ;   in Loop: Header=BB230_1574 Depth=1
	s_delay_alu instid0(SALU_CYCLE_1)
	s_or_b32 exec_lo, exec_lo, s8
.LBB230_2720:                           ;   in Loop: Header=BB230_1574 Depth=1
	s_delay_alu instid0(SALU_CYCLE_1) | instskip(NEXT) | instid1(SALU_CYCLE_1)
	s_or_b32 exec_lo, exec_lo, s3
	s_mov_b32 s3, exec_lo
	v_cmpx_lt_u32_e32 0xffffff, v12
	s_cbranch_execz .LBB230_2728
; %bb.2721:                             ;   in Loop: Header=BB230_1574 Depth=1
	v_mov_b64_e32 v[8:9], 0x8000000000000000
	v_lshrrev_b32_e32 v13, 24, v12
	s_mov_b32 s8, exec_lo
	s_delay_alu instid0(VALU_DEP_1)
	v_cmpx_ne_u32_e32 0x80, v13
	s_cbranch_execz .LBB230_2727
; %bb.2722:                             ;   in Loop: Header=BB230_1574 Depth=1
	v_mov_b64_e32 v[8:9], 0x7f80000100000000
	v_bfe_u32 v12, v12, 24, 7
	s_mov_b32 s9, exec_lo
	s_delay_alu instid0(VALU_DEP_1)
	v_cmpx_ne_u32_e32 0x7f, v12
	s_cbranch_execz .LBB230_2726
; %bb.2723:                             ;   in Loop: Header=BB230_1574 Depth=1
	v_dual_lshrrev_b32 v8, 3, v12 :: v_dual_bitop2_b32 v16, 7, v13 bitop3:0x40
	s_mov_b32 s16, exec_lo
	v_cmpx_gt_u32_e32 8, v12
; %bb.2724:                             ;   in Loop: Header=BB230_1574 Depth=1
	s_delay_alu instid0(VALU_DEP_2) | instskip(NEXT) | instid1(VALU_DEP_1)
	v_clz_i32_u32_e32 v8, v16
	v_min_u32_e32 v8, 32, v8
	s_delay_alu instid0(VALU_DEP_1) | instskip(NEXT) | instid1(VALU_DEP_1)
	v_subrev_nc_u32_e32 v9, 28, v8
	v_lshlrev_b64_e32 v[14:15], v9, v[16:17]
	s_delay_alu instid0(VALU_DEP_1)
	v_dual_sub_nc_u32 v8, 29, v8 :: v_dual_bitop2_b32 v16, 7, v14 bitop3:0x40
; %bb.2725:                             ;   in Loop: Header=BB230_1574 Depth=1
	s_or_b32 exec_lo, exec_lo, s16
	s_delay_alu instid0(VALU_DEP_1) | instskip(NEXT) | instid1(VALU_DEP_2)
	v_dual_lshlrev_b32 v9, 24, v13 :: v_dual_lshlrev_b32 v12, 20, v16
	v_lshl_add_u32 v8, v8, 23, 0x3c000000
	s_delay_alu instid0(VALU_DEP_2) | instskip(NEXT) | instid1(VALU_DEP_1)
	v_and_b32_e32 v9, 0x80000000, v9
	v_or3_b32 v9, v12, v9, v8
	v_mov_b32_e32 v8, v17
.LBB230_2726:                           ;   in Loop: Header=BB230_1574 Depth=1
	s_or_b32 exec_lo, exec_lo, s9
.LBB230_2727:                           ;   in Loop: Header=BB230_1574 Depth=1
	s_delay_alu instid0(SALU_CYCLE_1)
	s_or_b32 exec_lo, exec_lo, s8
.LBB230_2728:                           ;   in Loop: Header=BB230_1574 Depth=1
	s_delay_alu instid0(SALU_CYCLE_1) | instskip(SKIP_4) | instid1(VALU_DEP_3)
	s_or_b32 exec_lo, exec_lo, s3
	v_or_b32_e32 v1, v1, v7
	v_or_b32_e32 v0, v0, v6
	;; [unrolled: 1-line block ×4, first 2 shown]
	v_pk_mul_f32 v[100:101], v[70:71], v[0:1]
	s_delay_alu instid0(VALU_DEP_2)
	v_pk_mul_f32 v[96:97], v[70:71], v[6:7]
	s_and_saveexec_b32 s3, vcc_lo
	s_cbranch_execz .LBB230_2730
; %bb.2729:                             ;   in Loop: Header=BB230_1574 Depth=1
	scratch_load_b64 v[0:1], off, s32 offset:200 ; 8-byte Folded Reload
	s_wait_loadcnt 0x0
	v_cmp_lt_i32_e64 s0, v18, v0
	s_delay_alu instid0(VALU_DEP_1) | instskip(SKIP_1) | instid1(VALU_DEP_1)
	v_cndmask_b32_e64 v100, 0, v100, s0
	v_cmp_lt_i32_e64 s0, v19, v0
	v_cndmask_b32_e64 v101, 0, v101, s0
	v_cmp_lt_i32_e64 s0, v21, v0
	s_delay_alu instid0(VALU_DEP_1) | instskip(SKIP_1) | instid1(VALU_DEP_1)
	v_cndmask_b32_e64 v96, 0, v96, s0
	v_cmp_lt_i32_e64 s0, v20, v0
	v_cndmask_b32_e64 v97, 0, v97, s0
.LBB230_2730:                           ;   in Loop: Header=BB230_1574 Depth=1
	s_wait_xcnt 0x0
	s_or_b32 exec_lo, exec_lo, s3
	flat_load_b32 v12, v[116:117] offset:4352
	v_mov_b64_e32 v[0:1], 0
	v_mov_b64_e32 v[6:7], 0
	s_mov_b32 s3, exec_lo
	s_wait_loadcnt_dscnt 0x0
	v_and_b32_e32 v8, 0xff, v12
	s_wait_xcnt 0x0
	s_delay_alu instid0(VALU_DEP_1)
	v_cmpx_ne_u16_e32 0, v8
	s_cbranch_execz .LBB230_2738
; %bb.2731:                             ;   in Loop: Header=BB230_1574 Depth=1
	v_mov_b64_e32 v[6:7], 0x80000000
	s_mov_b32 s8, exec_lo
	v_cmpx_ne_u16_e32 0x80, v8
	s_cbranch_execz .LBB230_2737
; %bb.2732:                             ;   in Loop: Header=BB230_1574 Depth=1
	v_mov_b64_e32 v[6:7], 0x7f800001
	v_and_b32_e32 v8, 0x7f, v12
	s_mov_b32 s9, exec_lo
	s_delay_alu instid0(VALU_DEP_1)
	v_cmpx_ne_u32_e32 0x7f, v8
	s_cbranch_execz .LBB230_2736
; %bb.2733:                             ;   in Loop: Header=BB230_1574 Depth=1
	v_and_b32_e32 v16, 7, v12
	v_lshrrev_b32_e32 v6, 3, v8
	s_mov_b32 s16, exec_lo
	v_cmpx_gt_u32_e32 8, v8
; %bb.2734:                             ;   in Loop: Header=BB230_1574 Depth=1
	s_delay_alu instid0(VALU_DEP_3) | instskip(NEXT) | instid1(VALU_DEP_1)
	v_clz_i32_u32_e32 v6, v16
	v_min_u32_e32 v6, 32, v6
	s_delay_alu instid0(VALU_DEP_1) | instskip(NEXT) | instid1(VALU_DEP_1)
	v_subrev_nc_u32_e32 v7, 28, v6
	v_lshlrev_b64_e32 v[8:9], v7, v[16:17]
	s_delay_alu instid0(VALU_DEP_1)
	v_dual_sub_nc_u32 v6, 29, v6 :: v_dual_bitop2_b32 v16, 7, v8 bitop3:0x40
; %bb.2735:                             ;   in Loop: Header=BB230_1574 Depth=1
	s_or_b32 exec_lo, exec_lo, s16
	v_lshlrev_b32_e32 v7, 24, v12
	s_delay_alu instid0(VALU_DEP_2) | instskip(NEXT) | instid1(VALU_DEP_3)
	v_lshlrev_b32_e32 v8, 20, v16
	v_lshl_add_u32 v6, v6, 23, 0x3c000000
	s_delay_alu instid0(VALU_DEP_3) | instskip(NEXT) | instid1(VALU_DEP_1)
	v_and_b32_e32 v7, 0x80000000, v7
	v_or3_b32 v16, v8, v7, v6
	s_delay_alu instid0(VALU_DEP_1)
	v_mov_b64_e32 v[6:7], v[16:17]
.LBB230_2736:                           ;   in Loop: Header=BB230_1574 Depth=1
	s_or_b32 exec_lo, exec_lo, s9
.LBB230_2737:                           ;   in Loop: Header=BB230_1574 Depth=1
	s_delay_alu instid0(SALU_CYCLE_1)
	s_or_b32 exec_lo, exec_lo, s8
.LBB230_2738:                           ;   in Loop: Header=BB230_1574 Depth=1
	s_delay_alu instid0(SALU_CYCLE_1) | instskip(SKIP_2) | instid1(VALU_DEP_1)
	s_or_b32 exec_lo, exec_lo, s3
	v_lshrrev_b16 v8, 8, v12
	s_mov_b32 s3, exec_lo
	v_cmpx_ne_u16_e32 0, v8
	s_cbranch_execz .LBB230_2746
; %bb.2739:                             ;   in Loop: Header=BB230_1574 Depth=1
	v_mov_b64_e32 v[0:1], 0x8000000000000000
	s_mov_b32 s8, exec_lo
	v_cmpx_ne_u16_e32 0x80, v8
	s_cbranch_execz .LBB230_2745
; %bb.2740:                             ;   in Loop: Header=BB230_1574 Depth=1
	v_and_b32_e32 v9, 0xffff, v8
	v_mov_b64_e32 v[0:1], 0x7f80000100000000
	s_mov_b32 s9, exec_lo
	s_delay_alu instid0(VALU_DEP_2) | instskip(NEXT) | instid1(VALU_DEP_1)
	v_and_b32_e32 v8, 0x7f, v9
	v_cmpx_ne_u32_e32 0x7f, v8
	s_cbranch_execz .LBB230_2744
; %bb.2741:                             ;   in Loop: Header=BB230_1574 Depth=1
	v_dual_lshrrev_b32 v0, 3, v8 :: v_dual_bitop2_b32 v16, 7, v9 bitop3:0x40
	s_mov_b32 s16, exec_lo
	v_cmpx_gt_u32_e32 8, v8
; %bb.2742:                             ;   in Loop: Header=BB230_1574 Depth=1
	s_delay_alu instid0(VALU_DEP_2) | instskip(NEXT) | instid1(VALU_DEP_1)
	v_clz_i32_u32_e32 v0, v16
	v_min_u32_e32 v0, 32, v0
	s_delay_alu instid0(VALU_DEP_1) | instskip(SKIP_1) | instid1(VALU_DEP_2)
	v_subrev_nc_u32_e32 v1, 28, v0
	v_sub_nc_u32_e32 v0, 29, v0
	v_lshlrev_b64_e32 v[8:9], v1, v[16:17]
	s_delay_alu instid0(VALU_DEP_1)
	v_and_b32_e32 v16, 7, v8
; %bb.2743:                             ;   in Loop: Header=BB230_1574 Depth=1
	s_or_b32 exec_lo, exec_lo, s16
	v_lshlrev_b32_e32 v1, 16, v12
	s_delay_alu instid0(VALU_DEP_2) | instskip(SKIP_1) | instid1(VALU_DEP_3)
	v_lshlrev_b32_e32 v8, 20, v16
	v_lshl_add_u32 v0, v0, 23, 0x3c000000
	v_and_b32_e32 v1, 0x80000000, v1
	s_delay_alu instid0(VALU_DEP_1)
	v_or3_b32 v1, v8, v1, v0
	v_mov_b32_e32 v0, v17
.LBB230_2744:                           ;   in Loop: Header=BB230_1574 Depth=1
	s_or_b32 exec_lo, exec_lo, s9
.LBB230_2745:                           ;   in Loop: Header=BB230_1574 Depth=1
	s_delay_alu instid0(SALU_CYCLE_1)
	s_or_b32 exec_lo, exec_lo, s8
.LBB230_2746:                           ;   in Loop: Header=BB230_1574 Depth=1
	s_delay_alu instid0(SALU_CYCLE_1) | instskip(SKIP_4) | instid1(VALU_DEP_3)
	s_or_b32 exec_lo, exec_lo, s3
	v_lshrrev_b32_e32 v13, 16, v12
	v_mov_b64_e32 v[8:9], 0
	v_mov_b64_e32 v[10:11], 0
	s_mov_b32 s3, exec_lo
	v_and_b32_e32 v14, 0xff, v13
	s_delay_alu instid0(VALU_DEP_1)
	v_cmpx_ne_u16_e32 0, v14
	s_cbranch_execz .LBB230_2754
; %bb.2747:                             ;   in Loop: Header=BB230_1574 Depth=1
	v_mov_b64_e32 v[10:11], 0x80000000
	s_mov_b32 s8, exec_lo
	v_cmpx_ne_u16_e32 0x80, v14
	s_cbranch_execz .LBB230_2753
; %bb.2748:                             ;   in Loop: Header=BB230_1574 Depth=1
	v_mov_b64_e32 v[10:11], 0x7f800001
	v_bfe_u32 v14, v12, 16, 7
	s_mov_b32 s9, exec_lo
	s_delay_alu instid0(VALU_DEP_1)
	v_cmpx_ne_u32_e32 0x7f, v14
	s_cbranch_execz .LBB230_2752
; %bb.2749:                             ;   in Loop: Header=BB230_1574 Depth=1
	v_dual_lshrrev_b32 v10, 3, v14 :: v_dual_bitop2_b32 v16, 7, v13 bitop3:0x40
	s_mov_b32 s16, exec_lo
	v_cmpx_gt_u32_e32 8, v14
; %bb.2750:                             ;   in Loop: Header=BB230_1574 Depth=1
	s_delay_alu instid0(VALU_DEP_2) | instskip(NEXT) | instid1(VALU_DEP_1)
	v_clz_i32_u32_e32 v10, v16
	v_min_u32_e32 v10, 32, v10
	s_delay_alu instid0(VALU_DEP_1) | instskip(SKIP_1) | instid1(VALU_DEP_2)
	v_subrev_nc_u32_e32 v11, 28, v10
	v_sub_nc_u32_e32 v10, 29, v10
	v_lshlrev_b64_e32 v[14:15], v11, v[16:17]
	s_delay_alu instid0(VALU_DEP_1)
	v_and_b32_e32 v16, 7, v14
; %bb.2751:                             ;   in Loop: Header=BB230_1574 Depth=1
	s_or_b32 exec_lo, exec_lo, s16
	s_delay_alu instid0(VALU_DEP_1) | instskip(SKIP_1) | instid1(VALU_DEP_2)
	v_dual_lshlrev_b32 v11, 24, v13 :: v_dual_lshlrev_b32 v13, 20, v16
	v_lshl_add_u32 v10, v10, 23, 0x3c000000
	v_and_b32_e32 v11, 0x80000000, v11
	s_delay_alu instid0(VALU_DEP_1) | instskip(NEXT) | instid1(VALU_DEP_1)
	v_or3_b32 v16, v13, v11, v10
	v_mov_b64_e32 v[10:11], v[16:17]
.LBB230_2752:                           ;   in Loop: Header=BB230_1574 Depth=1
	s_or_b32 exec_lo, exec_lo, s9
.LBB230_2753:                           ;   in Loop: Header=BB230_1574 Depth=1
	s_delay_alu instid0(SALU_CYCLE_1)
	s_or_b32 exec_lo, exec_lo, s8
.LBB230_2754:                           ;   in Loop: Header=BB230_1574 Depth=1
	s_delay_alu instid0(SALU_CYCLE_1) | instskip(NEXT) | instid1(SALU_CYCLE_1)
	s_or_b32 exec_lo, exec_lo, s3
	s_mov_b32 s3, exec_lo
	v_cmpx_lt_u32_e32 0xffffff, v12
	s_cbranch_execz .LBB230_2762
; %bb.2755:                             ;   in Loop: Header=BB230_1574 Depth=1
	v_mov_b64_e32 v[8:9], 0x8000000000000000
	v_lshrrev_b32_e32 v13, 24, v12
	s_mov_b32 s8, exec_lo
	s_delay_alu instid0(VALU_DEP_1)
	v_cmpx_ne_u32_e32 0x80, v13
	s_cbranch_execz .LBB230_2761
; %bb.2756:                             ;   in Loop: Header=BB230_1574 Depth=1
	v_mov_b64_e32 v[8:9], 0x7f80000100000000
	v_bfe_u32 v12, v12, 24, 7
	s_mov_b32 s9, exec_lo
	s_delay_alu instid0(VALU_DEP_1)
	v_cmpx_ne_u32_e32 0x7f, v12
	s_cbranch_execz .LBB230_2760
; %bb.2757:                             ;   in Loop: Header=BB230_1574 Depth=1
	v_dual_lshrrev_b32 v8, 3, v12 :: v_dual_bitop2_b32 v16, 7, v13 bitop3:0x40
	s_mov_b32 s16, exec_lo
	v_cmpx_gt_u32_e32 8, v12
; %bb.2758:                             ;   in Loop: Header=BB230_1574 Depth=1
	s_delay_alu instid0(VALU_DEP_2) | instskip(NEXT) | instid1(VALU_DEP_1)
	v_clz_i32_u32_e32 v8, v16
	v_min_u32_e32 v8, 32, v8
	s_delay_alu instid0(VALU_DEP_1) | instskip(NEXT) | instid1(VALU_DEP_1)
	v_subrev_nc_u32_e32 v9, 28, v8
	v_lshlrev_b64_e32 v[14:15], v9, v[16:17]
	s_delay_alu instid0(VALU_DEP_1)
	v_dual_sub_nc_u32 v8, 29, v8 :: v_dual_bitop2_b32 v16, 7, v14 bitop3:0x40
; %bb.2759:                             ;   in Loop: Header=BB230_1574 Depth=1
	s_or_b32 exec_lo, exec_lo, s16
	s_delay_alu instid0(VALU_DEP_1) | instskip(NEXT) | instid1(VALU_DEP_2)
	v_dual_lshlrev_b32 v9, 24, v13 :: v_dual_lshlrev_b32 v12, 20, v16
	v_lshl_add_u32 v8, v8, 23, 0x3c000000
	s_delay_alu instid0(VALU_DEP_2) | instskip(NEXT) | instid1(VALU_DEP_1)
	v_and_b32_e32 v9, 0x80000000, v9
	v_or3_b32 v9, v12, v9, v8
	v_mov_b32_e32 v8, v17
.LBB230_2760:                           ;   in Loop: Header=BB230_1574 Depth=1
	s_or_b32 exec_lo, exec_lo, s9
.LBB230_2761:                           ;   in Loop: Header=BB230_1574 Depth=1
	s_delay_alu instid0(SALU_CYCLE_1)
	s_or_b32 exec_lo, exec_lo, s8
.LBB230_2762:                           ;   in Loop: Header=BB230_1574 Depth=1
	s_delay_alu instid0(SALU_CYCLE_1) | instskip(SKIP_4) | instid1(VALU_DEP_3)
	s_or_b32 exec_lo, exec_lo, s3
	v_or_b32_e32 v1, v1, v7
	v_or_b32_e32 v0, v0, v6
	;; [unrolled: 1-line block ×4, first 2 shown]
	v_pk_mul_f32 v[112:113], v[70:71], v[0:1]
	s_delay_alu instid0(VALU_DEP_2)
	v_pk_mul_f32 v[102:103], v[70:71], v[6:7]
	s_and_saveexec_b32 s3, vcc_lo
	s_cbranch_execz .LBB230_2764
; %bb.2763:                             ;   in Loop: Header=BB230_1574 Depth=1
	scratch_load_b64 v[0:1], off, s32 offset:200 ; 8-byte Folded Reload
	s_wait_loadcnt 0x0
	v_cmp_lt_i32_e64 s0, v18, v0
	s_delay_alu instid0(VALU_DEP_1) | instskip(SKIP_1) | instid1(VALU_DEP_1)
	v_cndmask_b32_e64 v112, 0, v112, s0
	v_cmp_lt_i32_e64 s0, v19, v0
	v_cndmask_b32_e64 v113, 0, v113, s0
	v_cmp_lt_i32_e64 s0, v21, v0
	s_delay_alu instid0(VALU_DEP_1) | instskip(SKIP_1) | instid1(VALU_DEP_1)
	v_cndmask_b32_e64 v102, 0, v102, s0
	v_cmp_lt_i32_e64 s0, v20, v0
	v_cndmask_b32_e64 v103, 0, v103, s0
.LBB230_2764:                           ;   in Loop: Header=BB230_1574 Depth=1
	s_wait_xcnt 0x0
	s_or_b32 exec_lo, exec_lo, s3
	flat_load_b32 v12, v[116:117] offset:4480
	v_mov_b64_e32 v[0:1], 0
	v_mov_b64_e32 v[6:7], 0
	s_mov_b32 s3, exec_lo
	s_wait_loadcnt_dscnt 0x0
	v_and_b32_e32 v8, 0xff, v12
	s_wait_xcnt 0x0
	s_delay_alu instid0(VALU_DEP_1)
	v_cmpx_ne_u16_e32 0, v8
	s_cbranch_execz .LBB230_2772
; %bb.2765:                             ;   in Loop: Header=BB230_1574 Depth=1
	v_mov_b64_e32 v[6:7], 0x80000000
	s_mov_b32 s8, exec_lo
	v_cmpx_ne_u16_e32 0x80, v8
	s_cbranch_execz .LBB230_2771
; %bb.2766:                             ;   in Loop: Header=BB230_1574 Depth=1
	v_mov_b64_e32 v[6:7], 0x7f800001
	v_and_b32_e32 v8, 0x7f, v12
	s_mov_b32 s9, exec_lo
	s_delay_alu instid0(VALU_DEP_1)
	v_cmpx_ne_u32_e32 0x7f, v8
	s_cbranch_execz .LBB230_2770
; %bb.2767:                             ;   in Loop: Header=BB230_1574 Depth=1
	v_and_b32_e32 v16, 7, v12
	v_lshrrev_b32_e32 v6, 3, v8
	s_mov_b32 s16, exec_lo
	v_cmpx_gt_u32_e32 8, v8
; %bb.2768:                             ;   in Loop: Header=BB230_1574 Depth=1
	s_delay_alu instid0(VALU_DEP_3) | instskip(NEXT) | instid1(VALU_DEP_1)
	v_clz_i32_u32_e32 v6, v16
	v_min_u32_e32 v6, 32, v6
	s_delay_alu instid0(VALU_DEP_1) | instskip(NEXT) | instid1(VALU_DEP_1)
	v_subrev_nc_u32_e32 v7, 28, v6
	v_lshlrev_b64_e32 v[8:9], v7, v[16:17]
	s_delay_alu instid0(VALU_DEP_1)
	v_dual_sub_nc_u32 v6, 29, v6 :: v_dual_bitop2_b32 v16, 7, v8 bitop3:0x40
; %bb.2769:                             ;   in Loop: Header=BB230_1574 Depth=1
	s_or_b32 exec_lo, exec_lo, s16
	v_lshlrev_b32_e32 v7, 24, v12
	s_delay_alu instid0(VALU_DEP_2) | instskip(NEXT) | instid1(VALU_DEP_3)
	v_lshlrev_b32_e32 v8, 20, v16
	v_lshl_add_u32 v6, v6, 23, 0x3c000000
	s_delay_alu instid0(VALU_DEP_3) | instskip(NEXT) | instid1(VALU_DEP_1)
	v_and_b32_e32 v7, 0x80000000, v7
	v_or3_b32 v16, v8, v7, v6
	s_delay_alu instid0(VALU_DEP_1)
	v_mov_b64_e32 v[6:7], v[16:17]
.LBB230_2770:                           ;   in Loop: Header=BB230_1574 Depth=1
	s_or_b32 exec_lo, exec_lo, s9
.LBB230_2771:                           ;   in Loop: Header=BB230_1574 Depth=1
	s_delay_alu instid0(SALU_CYCLE_1)
	s_or_b32 exec_lo, exec_lo, s8
.LBB230_2772:                           ;   in Loop: Header=BB230_1574 Depth=1
	s_delay_alu instid0(SALU_CYCLE_1) | instskip(SKIP_2) | instid1(VALU_DEP_1)
	s_or_b32 exec_lo, exec_lo, s3
	v_lshrrev_b16 v8, 8, v12
	s_mov_b32 s3, exec_lo
	v_cmpx_ne_u16_e32 0, v8
	s_cbranch_execz .LBB230_2780
; %bb.2773:                             ;   in Loop: Header=BB230_1574 Depth=1
	v_mov_b64_e32 v[0:1], 0x8000000000000000
	s_mov_b32 s8, exec_lo
	v_cmpx_ne_u16_e32 0x80, v8
	s_cbranch_execz .LBB230_2779
; %bb.2774:                             ;   in Loop: Header=BB230_1574 Depth=1
	v_and_b32_e32 v9, 0xffff, v8
	v_mov_b64_e32 v[0:1], 0x7f80000100000000
	s_mov_b32 s9, exec_lo
	s_delay_alu instid0(VALU_DEP_2) | instskip(NEXT) | instid1(VALU_DEP_1)
	v_and_b32_e32 v8, 0x7f, v9
	v_cmpx_ne_u32_e32 0x7f, v8
	s_cbranch_execz .LBB230_2778
; %bb.2775:                             ;   in Loop: Header=BB230_1574 Depth=1
	v_dual_lshrrev_b32 v0, 3, v8 :: v_dual_bitop2_b32 v16, 7, v9 bitop3:0x40
	s_mov_b32 s16, exec_lo
	v_cmpx_gt_u32_e32 8, v8
; %bb.2776:                             ;   in Loop: Header=BB230_1574 Depth=1
	s_delay_alu instid0(VALU_DEP_2) | instskip(NEXT) | instid1(VALU_DEP_1)
	v_clz_i32_u32_e32 v0, v16
	v_min_u32_e32 v0, 32, v0
	s_delay_alu instid0(VALU_DEP_1) | instskip(SKIP_1) | instid1(VALU_DEP_2)
	v_subrev_nc_u32_e32 v1, 28, v0
	v_sub_nc_u32_e32 v0, 29, v0
	v_lshlrev_b64_e32 v[8:9], v1, v[16:17]
	s_delay_alu instid0(VALU_DEP_1)
	v_and_b32_e32 v16, 7, v8
; %bb.2777:                             ;   in Loop: Header=BB230_1574 Depth=1
	s_or_b32 exec_lo, exec_lo, s16
	v_lshlrev_b32_e32 v1, 16, v12
	s_delay_alu instid0(VALU_DEP_2) | instskip(SKIP_1) | instid1(VALU_DEP_3)
	v_lshlrev_b32_e32 v8, 20, v16
	v_lshl_add_u32 v0, v0, 23, 0x3c000000
	v_and_b32_e32 v1, 0x80000000, v1
	s_delay_alu instid0(VALU_DEP_1)
	v_or3_b32 v1, v8, v1, v0
	v_mov_b32_e32 v0, v17
.LBB230_2778:                           ;   in Loop: Header=BB230_1574 Depth=1
	s_or_b32 exec_lo, exec_lo, s9
.LBB230_2779:                           ;   in Loop: Header=BB230_1574 Depth=1
	s_delay_alu instid0(SALU_CYCLE_1)
	s_or_b32 exec_lo, exec_lo, s8
.LBB230_2780:                           ;   in Loop: Header=BB230_1574 Depth=1
	s_delay_alu instid0(SALU_CYCLE_1) | instskip(SKIP_4) | instid1(VALU_DEP_3)
	s_or_b32 exec_lo, exec_lo, s3
	v_lshrrev_b32_e32 v13, 16, v12
	v_mov_b64_e32 v[8:9], 0
	v_mov_b64_e32 v[10:11], 0
	s_mov_b32 s3, exec_lo
	v_and_b32_e32 v14, 0xff, v13
	s_delay_alu instid0(VALU_DEP_1)
	v_cmpx_ne_u16_e32 0, v14
	s_cbranch_execz .LBB230_2788
; %bb.2781:                             ;   in Loop: Header=BB230_1574 Depth=1
	v_mov_b64_e32 v[10:11], 0x80000000
	s_mov_b32 s8, exec_lo
	v_cmpx_ne_u16_e32 0x80, v14
	s_cbranch_execz .LBB230_2787
; %bb.2782:                             ;   in Loop: Header=BB230_1574 Depth=1
	v_mov_b64_e32 v[10:11], 0x7f800001
	v_bfe_u32 v14, v12, 16, 7
	s_mov_b32 s9, exec_lo
	s_delay_alu instid0(VALU_DEP_1)
	v_cmpx_ne_u32_e32 0x7f, v14
	s_cbranch_execz .LBB230_2786
; %bb.2783:                             ;   in Loop: Header=BB230_1574 Depth=1
	v_dual_lshrrev_b32 v10, 3, v14 :: v_dual_bitop2_b32 v16, 7, v13 bitop3:0x40
	s_mov_b32 s16, exec_lo
	v_cmpx_gt_u32_e32 8, v14
; %bb.2784:                             ;   in Loop: Header=BB230_1574 Depth=1
	s_delay_alu instid0(VALU_DEP_2) | instskip(NEXT) | instid1(VALU_DEP_1)
	v_clz_i32_u32_e32 v10, v16
	v_min_u32_e32 v10, 32, v10
	s_delay_alu instid0(VALU_DEP_1) | instskip(SKIP_1) | instid1(VALU_DEP_2)
	v_subrev_nc_u32_e32 v11, 28, v10
	v_sub_nc_u32_e32 v10, 29, v10
	v_lshlrev_b64_e32 v[14:15], v11, v[16:17]
	s_delay_alu instid0(VALU_DEP_1)
	v_and_b32_e32 v16, 7, v14
; %bb.2785:                             ;   in Loop: Header=BB230_1574 Depth=1
	s_or_b32 exec_lo, exec_lo, s16
	s_delay_alu instid0(VALU_DEP_1) | instskip(SKIP_1) | instid1(VALU_DEP_2)
	v_dual_lshlrev_b32 v11, 24, v13 :: v_dual_lshlrev_b32 v13, 20, v16
	v_lshl_add_u32 v10, v10, 23, 0x3c000000
	v_and_b32_e32 v11, 0x80000000, v11
	s_delay_alu instid0(VALU_DEP_1) | instskip(NEXT) | instid1(VALU_DEP_1)
	v_or3_b32 v16, v13, v11, v10
	v_mov_b64_e32 v[10:11], v[16:17]
.LBB230_2786:                           ;   in Loop: Header=BB230_1574 Depth=1
	s_or_b32 exec_lo, exec_lo, s9
.LBB230_2787:                           ;   in Loop: Header=BB230_1574 Depth=1
	s_delay_alu instid0(SALU_CYCLE_1)
	s_or_b32 exec_lo, exec_lo, s8
.LBB230_2788:                           ;   in Loop: Header=BB230_1574 Depth=1
	s_delay_alu instid0(SALU_CYCLE_1) | instskip(NEXT) | instid1(SALU_CYCLE_1)
	s_or_b32 exec_lo, exec_lo, s3
	s_mov_b32 s3, exec_lo
	v_cmpx_lt_u32_e32 0xffffff, v12
	s_cbranch_execz .LBB230_2796
; %bb.2789:                             ;   in Loop: Header=BB230_1574 Depth=1
	v_mov_b64_e32 v[8:9], 0x8000000000000000
	v_lshrrev_b32_e32 v13, 24, v12
	s_mov_b32 s8, exec_lo
	s_delay_alu instid0(VALU_DEP_1)
	v_cmpx_ne_u32_e32 0x80, v13
	s_cbranch_execz .LBB230_2795
; %bb.2790:                             ;   in Loop: Header=BB230_1574 Depth=1
	v_mov_b64_e32 v[8:9], 0x7f80000100000000
	v_bfe_u32 v12, v12, 24, 7
	s_mov_b32 s9, exec_lo
	s_delay_alu instid0(VALU_DEP_1)
	v_cmpx_ne_u32_e32 0x7f, v12
	s_cbranch_execz .LBB230_2794
; %bb.2791:                             ;   in Loop: Header=BB230_1574 Depth=1
	v_dual_lshrrev_b32 v8, 3, v12 :: v_dual_bitop2_b32 v16, 7, v13 bitop3:0x40
	s_mov_b32 s16, exec_lo
	v_cmpx_gt_u32_e32 8, v12
; %bb.2792:                             ;   in Loop: Header=BB230_1574 Depth=1
	s_delay_alu instid0(VALU_DEP_2) | instskip(NEXT) | instid1(VALU_DEP_1)
	v_clz_i32_u32_e32 v8, v16
	v_min_u32_e32 v8, 32, v8
	s_delay_alu instid0(VALU_DEP_1) | instskip(NEXT) | instid1(VALU_DEP_1)
	v_subrev_nc_u32_e32 v9, 28, v8
	v_lshlrev_b64_e32 v[14:15], v9, v[16:17]
	s_delay_alu instid0(VALU_DEP_1)
	v_dual_sub_nc_u32 v8, 29, v8 :: v_dual_bitop2_b32 v16, 7, v14 bitop3:0x40
; %bb.2793:                             ;   in Loop: Header=BB230_1574 Depth=1
	s_or_b32 exec_lo, exec_lo, s16
	s_delay_alu instid0(VALU_DEP_1) | instskip(NEXT) | instid1(VALU_DEP_2)
	v_dual_lshlrev_b32 v9, 24, v13 :: v_dual_lshlrev_b32 v12, 20, v16
	v_lshl_add_u32 v8, v8, 23, 0x3c000000
	s_delay_alu instid0(VALU_DEP_2) | instskip(NEXT) | instid1(VALU_DEP_1)
	v_and_b32_e32 v9, 0x80000000, v9
	v_or3_b32 v9, v12, v9, v8
	v_mov_b32_e32 v8, v17
.LBB230_2794:                           ;   in Loop: Header=BB230_1574 Depth=1
	s_or_b32 exec_lo, exec_lo, s9
.LBB230_2795:                           ;   in Loop: Header=BB230_1574 Depth=1
	s_delay_alu instid0(SALU_CYCLE_1)
	s_or_b32 exec_lo, exec_lo, s8
.LBB230_2796:                           ;   in Loop: Header=BB230_1574 Depth=1
	s_delay_alu instid0(SALU_CYCLE_1) | instskip(SKIP_4) | instid1(VALU_DEP_3)
	s_or_b32 exec_lo, exec_lo, s3
	v_or_b32_e32 v1, v1, v7
	v_or_b32_e32 v0, v0, v6
	;; [unrolled: 1-line block ×4, first 2 shown]
	v_pk_mul_f32 v[0:1], v[70:71], v[0:1]
	s_delay_alu instid0(VALU_DEP_2)
	v_pk_mul_f32 v[114:115], v[70:71], v[6:7]
	s_and_saveexec_b32 s3, vcc_lo
	s_cbranch_execz .LBB230_2798
; %bb.2797:                             ;   in Loop: Header=BB230_1574 Depth=1
	scratch_load_b64 v[6:7], off, s32 offset:200 ; 8-byte Folded Reload
	s_wait_loadcnt 0x0
	v_cmp_lt_i32_e64 s0, v18, v6
	s_delay_alu instid0(VALU_DEP_1) | instskip(SKIP_1) | instid1(VALU_DEP_1)
	v_cndmask_b32_e64 v0, 0, v0, s0
	v_cmp_lt_i32_e64 s0, v19, v6
	v_cndmask_b32_e64 v1, 0, v1, s0
	v_cmp_lt_i32_e64 s0, v21, v6
	s_delay_alu instid0(VALU_DEP_1) | instskip(SKIP_1) | instid1(VALU_DEP_1)
	v_cndmask_b32_e64 v114, 0, v114, s0
	v_cmp_lt_i32_e64 s0, v20, v6
	v_cndmask_b32_e64 v115, 0, v115, s0
.LBB230_2798:                           ;   in Loop: Header=BB230_1574 Depth=1
	s_wait_xcnt 0x0
	s_or_b32 exec_lo, exec_lo, s3
	flat_load_b32 v14, v[116:117] offset:4608
	v_mov_b64_e32 v[6:7], 0
	v_mov_b64_e32 v[8:9], 0
	s_mov_b32 s3, exec_lo
	s_wait_loadcnt_dscnt 0x0
	v_and_b32_e32 v10, 0xff, v14
	s_wait_xcnt 0x0
	s_delay_alu instid0(VALU_DEP_1)
	v_cmpx_ne_u16_e32 0, v10
	s_cbranch_execz .LBB230_2806
; %bb.2799:                             ;   in Loop: Header=BB230_1574 Depth=1
	v_mov_b64_e32 v[8:9], 0x80000000
	s_mov_b32 s8, exec_lo
	v_cmpx_ne_u16_e32 0x80, v10
	s_cbranch_execz .LBB230_2805
; %bb.2800:                             ;   in Loop: Header=BB230_1574 Depth=1
	v_mov_b64_e32 v[8:9], 0x7f800001
	v_and_b32_e32 v10, 0x7f, v14
	s_mov_b32 s9, exec_lo
	s_delay_alu instid0(VALU_DEP_1)
	v_cmpx_ne_u32_e32 0x7f, v10
	s_cbranch_execz .LBB230_2804
; %bb.2801:                             ;   in Loop: Header=BB230_1574 Depth=1
	v_and_b32_e32 v16, 7, v14
	v_lshrrev_b32_e32 v8, 3, v10
	s_mov_b32 s16, exec_lo
	v_cmpx_gt_u32_e32 8, v10
; %bb.2802:                             ;   in Loop: Header=BB230_1574 Depth=1
	s_delay_alu instid0(VALU_DEP_3) | instskip(NEXT) | instid1(VALU_DEP_1)
	v_clz_i32_u32_e32 v8, v16
	v_min_u32_e32 v8, 32, v8
	s_delay_alu instid0(VALU_DEP_1) | instskip(NEXT) | instid1(VALU_DEP_1)
	v_subrev_nc_u32_e32 v9, 28, v8
	v_lshlrev_b64_e32 v[10:11], v9, v[16:17]
	s_delay_alu instid0(VALU_DEP_1)
	v_dual_sub_nc_u32 v8, 29, v8 :: v_dual_bitop2_b32 v16, 7, v10 bitop3:0x40
; %bb.2803:                             ;   in Loop: Header=BB230_1574 Depth=1
	s_or_b32 exec_lo, exec_lo, s16
	s_delay_alu instid0(VALU_DEP_1) | instskip(NEXT) | instid1(VALU_DEP_2)
	v_dual_lshlrev_b32 v9, 24, v14 :: v_dual_lshlrev_b32 v10, 20, v16
	v_lshl_add_u32 v8, v8, 23, 0x3c000000
	s_delay_alu instid0(VALU_DEP_2) | instskip(NEXT) | instid1(VALU_DEP_1)
	v_and_b32_e32 v9, 0x80000000, v9
	v_or3_b32 v16, v10, v9, v8
	s_delay_alu instid0(VALU_DEP_1)
	v_mov_b64_e32 v[8:9], v[16:17]
.LBB230_2804:                           ;   in Loop: Header=BB230_1574 Depth=1
	s_or_b32 exec_lo, exec_lo, s9
.LBB230_2805:                           ;   in Loop: Header=BB230_1574 Depth=1
	s_delay_alu instid0(SALU_CYCLE_1)
	s_or_b32 exec_lo, exec_lo, s8
.LBB230_2806:                           ;   in Loop: Header=BB230_1574 Depth=1
	s_delay_alu instid0(SALU_CYCLE_1) | instskip(SKIP_2) | instid1(VALU_DEP_1)
	s_or_b32 exec_lo, exec_lo, s3
	v_lshrrev_b16 v10, 8, v14
	s_mov_b32 s3, exec_lo
	v_cmpx_ne_u16_e32 0, v10
	s_cbranch_execz .LBB230_2814
; %bb.2807:                             ;   in Loop: Header=BB230_1574 Depth=1
	v_mov_b64_e32 v[6:7], 0x8000000000000000
	s_mov_b32 s8, exec_lo
	v_cmpx_ne_u16_e32 0x80, v10
	s_cbranch_execz .LBB230_2813
; %bb.2808:                             ;   in Loop: Header=BB230_1574 Depth=1
	v_and_b32_e32 v11, 0xffff, v10
	v_mov_b64_e32 v[6:7], 0x7f80000100000000
	s_mov_b32 s9, exec_lo
	s_delay_alu instid0(VALU_DEP_2) | instskip(NEXT) | instid1(VALU_DEP_1)
	v_and_b32_e32 v10, 0x7f, v11
	v_cmpx_ne_u32_e32 0x7f, v10
	s_cbranch_execz .LBB230_2812
; %bb.2809:                             ;   in Loop: Header=BB230_1574 Depth=1
	v_dual_lshrrev_b32 v6, 3, v10 :: v_dual_bitop2_b32 v16, 7, v11 bitop3:0x40
	s_mov_b32 s16, exec_lo
	v_cmpx_gt_u32_e32 8, v10
; %bb.2810:                             ;   in Loop: Header=BB230_1574 Depth=1
	s_delay_alu instid0(VALU_DEP_2) | instskip(NEXT) | instid1(VALU_DEP_1)
	v_clz_i32_u32_e32 v6, v16
	v_min_u32_e32 v6, 32, v6
	s_delay_alu instid0(VALU_DEP_1) | instskip(SKIP_1) | instid1(VALU_DEP_2)
	v_subrev_nc_u32_e32 v7, 28, v6
	v_sub_nc_u32_e32 v6, 29, v6
	v_lshlrev_b64_e32 v[10:11], v7, v[16:17]
	s_delay_alu instid0(VALU_DEP_1)
	v_and_b32_e32 v16, 7, v10
; %bb.2811:                             ;   in Loop: Header=BB230_1574 Depth=1
	s_or_b32 exec_lo, exec_lo, s16
	s_delay_alu instid0(VALU_DEP_1) | instskip(SKIP_1) | instid1(VALU_DEP_2)
	v_dual_lshlrev_b32 v7, 16, v14 :: v_dual_lshlrev_b32 v10, 20, v16
	v_lshl_add_u32 v6, v6, 23, 0x3c000000
	v_and_b32_e32 v7, 0x80000000, v7
	s_delay_alu instid0(VALU_DEP_1)
	v_or3_b32 v7, v10, v7, v6
	v_mov_b32_e32 v6, v17
.LBB230_2812:                           ;   in Loop: Header=BB230_1574 Depth=1
	s_or_b32 exec_lo, exec_lo, s9
.LBB230_2813:                           ;   in Loop: Header=BB230_1574 Depth=1
	s_delay_alu instid0(SALU_CYCLE_1)
	s_or_b32 exec_lo, exec_lo, s8
.LBB230_2814:                           ;   in Loop: Header=BB230_1574 Depth=1
	s_delay_alu instid0(SALU_CYCLE_1) | instskip(SKIP_4) | instid1(VALU_DEP_3)
	s_or_b32 exec_lo, exec_lo, s3
	v_lshrrev_b32_e32 v15, 16, v14
	v_mov_b64_e32 v[10:11], 0
	v_mov_b64_e32 v[12:13], 0
	s_mov_b32 s3, exec_lo
	v_and_b32_e32 v16, 0xff, v15
	s_delay_alu instid0(VALU_DEP_1)
	v_cmpx_ne_u16_e32 0, v16
	s_cbranch_execz .LBB230_2822
; %bb.2815:                             ;   in Loop: Header=BB230_1574 Depth=1
	v_mov_b64_e32 v[12:13], 0x80000000
	s_mov_b32 s8, exec_lo
	v_cmpx_ne_u16_e32 0x80, v16
	s_cbranch_execz .LBB230_2821
; %bb.2816:                             ;   in Loop: Header=BB230_1574 Depth=1
	v_mov_b64_e32 v[12:13], 0x7f800001
	v_bfe_u32 v22, v14, 16, 7
	s_mov_b32 s9, exec_lo
	s_delay_alu instid0(VALU_DEP_1)
	v_cmpx_ne_u32_e32 0x7f, v22
	s_cbranch_execz .LBB230_2820
; %bb.2817:                             ;   in Loop: Header=BB230_1574 Depth=1
	v_dual_lshrrev_b32 v12, 3, v22 :: v_dual_bitop2_b32 v16, 7, v15 bitop3:0x40
	s_mov_b32 s16, exec_lo
	v_cmpx_gt_u32_e32 8, v22
; %bb.2818:                             ;   in Loop: Header=BB230_1574 Depth=1
	s_delay_alu instid0(VALU_DEP_2) | instskip(NEXT) | instid1(VALU_DEP_1)
	v_clz_i32_u32_e32 v12, v16
	v_min_u32_e32 v12, 32, v12
	s_delay_alu instid0(VALU_DEP_1) | instskip(NEXT) | instid1(VALU_DEP_1)
	v_subrev_nc_u32_e32 v13, 28, v12
	v_lshlrev_b64_e32 v[22:23], v13, v[16:17]
	s_delay_alu instid0(VALU_DEP_1)
	v_dual_sub_nc_u32 v12, 29, v12 :: v_dual_bitop2_b32 v16, 7, v22 bitop3:0x40
; %bb.2819:                             ;   in Loop: Header=BB230_1574 Depth=1
	s_or_b32 exec_lo, exec_lo, s16
	s_delay_alu instid0(VALU_DEP_1) | instskip(NEXT) | instid1(VALU_DEP_2)
	v_dual_lshlrev_b32 v13, 24, v15 :: v_dual_lshlrev_b32 v15, 20, v16
	v_lshl_add_u32 v12, v12, 23, 0x3c000000
	s_delay_alu instid0(VALU_DEP_2) | instskip(NEXT) | instid1(VALU_DEP_1)
	v_and_b32_e32 v13, 0x80000000, v13
	v_or3_b32 v16, v15, v13, v12
	s_delay_alu instid0(VALU_DEP_1)
	v_mov_b64_e32 v[12:13], v[16:17]
.LBB230_2820:                           ;   in Loop: Header=BB230_1574 Depth=1
	s_or_b32 exec_lo, exec_lo, s9
.LBB230_2821:                           ;   in Loop: Header=BB230_1574 Depth=1
	s_delay_alu instid0(SALU_CYCLE_1)
	s_or_b32 exec_lo, exec_lo, s8
.LBB230_2822:                           ;   in Loop: Header=BB230_1574 Depth=1
	s_delay_alu instid0(SALU_CYCLE_1) | instskip(NEXT) | instid1(SALU_CYCLE_1)
	s_or_b32 exec_lo, exec_lo, s3
	s_mov_b32 s3, exec_lo
	v_cmpx_lt_u32_e32 0xffffff, v14
	s_cbranch_execz .LBB230_2830
; %bb.2823:                             ;   in Loop: Header=BB230_1574 Depth=1
	v_mov_b64_e32 v[10:11], 0x8000000000000000
	v_lshrrev_b32_e32 v15, 24, v14
	s_mov_b32 s8, exec_lo
	s_delay_alu instid0(VALU_DEP_1)
	v_cmpx_ne_u32_e32 0x80, v15
	s_cbranch_execz .LBB230_2829
; %bb.2824:                             ;   in Loop: Header=BB230_1574 Depth=1
	v_mov_b64_e32 v[10:11], 0x7f80000100000000
	v_bfe_u32 v14, v14, 24, 7
	s_mov_b32 s9, exec_lo
	s_delay_alu instid0(VALU_DEP_1)
	v_cmpx_ne_u32_e32 0x7f, v14
	s_cbranch_execz .LBB230_2828
; %bb.2825:                             ;   in Loop: Header=BB230_1574 Depth=1
	v_dual_lshrrev_b32 v10, 3, v14 :: v_dual_bitop2_b32 v16, 7, v15 bitop3:0x40
	s_mov_b32 s16, exec_lo
	v_cmpx_gt_u32_e32 8, v14
; %bb.2826:                             ;   in Loop: Header=BB230_1574 Depth=1
	s_delay_alu instid0(VALU_DEP_2) | instskip(NEXT) | instid1(VALU_DEP_1)
	v_clz_i32_u32_e32 v10, v16
	v_min_u32_e32 v10, 32, v10
	s_delay_alu instid0(VALU_DEP_1) | instskip(SKIP_1) | instid1(VALU_DEP_2)
	v_subrev_nc_u32_e32 v11, 28, v10
	v_sub_nc_u32_e32 v10, 29, v10
	v_lshlrev_b64_e32 v[22:23], v11, v[16:17]
	s_delay_alu instid0(VALU_DEP_1)
	v_and_b32_e32 v16, 7, v22
; %bb.2827:                             ;   in Loop: Header=BB230_1574 Depth=1
	s_or_b32 exec_lo, exec_lo, s16
	s_delay_alu instid0(VALU_DEP_1) | instskip(SKIP_1) | instid1(VALU_DEP_2)
	v_dual_lshlrev_b32 v11, 24, v15 :: v_dual_lshlrev_b32 v14, 20, v16
	v_lshl_add_u32 v10, v10, 23, 0x3c000000
	v_and_b32_e32 v11, 0x80000000, v11
	s_delay_alu instid0(VALU_DEP_1)
	v_or3_b32 v11, v14, v11, v10
	v_mov_b32_e32 v10, v17
.LBB230_2828:                           ;   in Loop: Header=BB230_1574 Depth=1
	s_or_b32 exec_lo, exec_lo, s9
.LBB230_2829:                           ;   in Loop: Header=BB230_1574 Depth=1
	s_delay_alu instid0(SALU_CYCLE_1)
	s_or_b32 exec_lo, exec_lo, s8
.LBB230_2830:                           ;   in Loop: Header=BB230_1574 Depth=1
	s_delay_alu instid0(SALU_CYCLE_1) | instskip(SKIP_4) | instid1(VALU_DEP_3)
	s_or_b32 exec_lo, exec_lo, s3
	v_or_b32_e32 v7, v7, v9
	v_or_b32_e32 v6, v6, v8
	;; [unrolled: 1-line block ×4, first 2 shown]
	v_pk_mul_f32 v[40:41], v[70:71], v[6:7]
	s_delay_alu instid0(VALU_DEP_2)
	v_pk_mul_f32 v[118:119], v[70:71], v[8:9]
	s_and_saveexec_b32 s3, vcc_lo
	s_cbranch_execz .LBB230_2832
; %bb.2831:                             ;   in Loop: Header=BB230_1574 Depth=1
	scratch_load_b64 v[6:7], off, s32 offset:200 ; 8-byte Folded Reload
	s_wait_loadcnt 0x0
	v_cmp_lt_i32_e64 s0, v18, v6
	s_delay_alu instid0(VALU_DEP_1) | instskip(SKIP_1) | instid1(VALU_DEP_1)
	v_cndmask_b32_e64 v40, 0, v40, s0
	v_cmp_lt_i32_e64 s0, v19, v6
	v_cndmask_b32_e64 v41, 0, v41, s0
	v_cmp_lt_i32_e64 s0, v21, v6
	s_delay_alu instid0(VALU_DEP_1) | instskip(SKIP_1) | instid1(VALU_DEP_1)
	v_cndmask_b32_e64 v118, 0, v118, s0
	v_cmp_lt_i32_e64 s0, v20, v6
	v_cndmask_b32_e64 v119, 0, v119, s0
.LBB230_2832:                           ;   in Loop: Header=BB230_1574 Depth=1
	s_wait_xcnt 0x0
	s_or_b32 exec_lo, exec_lo, s3
	flat_load_b32 v14, v[116:117] offset:4736
	v_mov_b64_e32 v[6:7], 0
	v_mov_b64_e32 v[8:9], 0
	s_mov_b32 s3, exec_lo
	s_wait_loadcnt_dscnt 0x0
	v_and_b32_e32 v10, 0xff, v14
	s_wait_xcnt 0x0
	s_delay_alu instid0(VALU_DEP_1)
	v_cmpx_ne_u16_e32 0, v10
	s_cbranch_execz .LBB230_2840
; %bb.2833:                             ;   in Loop: Header=BB230_1574 Depth=1
	v_mov_b64_e32 v[8:9], 0x80000000
	s_mov_b32 s8, exec_lo
	v_cmpx_ne_u16_e32 0x80, v10
	s_cbranch_execz .LBB230_2839
; %bb.2834:                             ;   in Loop: Header=BB230_1574 Depth=1
	v_mov_b64_e32 v[8:9], 0x7f800001
	v_and_b32_e32 v10, 0x7f, v14
	s_mov_b32 s9, exec_lo
	s_delay_alu instid0(VALU_DEP_1)
	v_cmpx_ne_u32_e32 0x7f, v10
	s_cbranch_execz .LBB230_2838
; %bb.2835:                             ;   in Loop: Header=BB230_1574 Depth=1
	v_and_b32_e32 v16, 7, v14
	v_lshrrev_b32_e32 v8, 3, v10
	s_mov_b32 s16, exec_lo
	v_cmpx_gt_u32_e32 8, v10
; %bb.2836:                             ;   in Loop: Header=BB230_1574 Depth=1
	s_delay_alu instid0(VALU_DEP_3) | instskip(NEXT) | instid1(VALU_DEP_1)
	v_clz_i32_u32_e32 v8, v16
	v_min_u32_e32 v8, 32, v8
	s_delay_alu instid0(VALU_DEP_1) | instskip(NEXT) | instid1(VALU_DEP_1)
	v_subrev_nc_u32_e32 v9, 28, v8
	v_lshlrev_b64_e32 v[10:11], v9, v[16:17]
	s_delay_alu instid0(VALU_DEP_1)
	v_dual_sub_nc_u32 v8, 29, v8 :: v_dual_bitop2_b32 v16, 7, v10 bitop3:0x40
; %bb.2837:                             ;   in Loop: Header=BB230_1574 Depth=1
	s_or_b32 exec_lo, exec_lo, s16
	s_delay_alu instid0(VALU_DEP_1) | instskip(NEXT) | instid1(VALU_DEP_2)
	v_dual_lshlrev_b32 v9, 24, v14 :: v_dual_lshlrev_b32 v10, 20, v16
	v_lshl_add_u32 v8, v8, 23, 0x3c000000
	s_delay_alu instid0(VALU_DEP_2) | instskip(NEXT) | instid1(VALU_DEP_1)
	v_and_b32_e32 v9, 0x80000000, v9
	v_or3_b32 v16, v10, v9, v8
	s_delay_alu instid0(VALU_DEP_1)
	v_mov_b64_e32 v[8:9], v[16:17]
.LBB230_2838:                           ;   in Loop: Header=BB230_1574 Depth=1
	s_or_b32 exec_lo, exec_lo, s9
.LBB230_2839:                           ;   in Loop: Header=BB230_1574 Depth=1
	s_delay_alu instid0(SALU_CYCLE_1)
	s_or_b32 exec_lo, exec_lo, s8
.LBB230_2840:                           ;   in Loop: Header=BB230_1574 Depth=1
	s_delay_alu instid0(SALU_CYCLE_1) | instskip(SKIP_2) | instid1(VALU_DEP_1)
	s_or_b32 exec_lo, exec_lo, s3
	v_lshrrev_b16 v10, 8, v14
	s_mov_b32 s3, exec_lo
	v_cmpx_ne_u16_e32 0, v10
	s_cbranch_execz .LBB230_2848
; %bb.2841:                             ;   in Loop: Header=BB230_1574 Depth=1
	v_mov_b64_e32 v[6:7], 0x8000000000000000
	s_mov_b32 s8, exec_lo
	v_cmpx_ne_u16_e32 0x80, v10
	s_cbranch_execz .LBB230_2847
; %bb.2842:                             ;   in Loop: Header=BB230_1574 Depth=1
	v_and_b32_e32 v11, 0xffff, v10
	v_mov_b64_e32 v[6:7], 0x7f80000100000000
	s_mov_b32 s9, exec_lo
	s_delay_alu instid0(VALU_DEP_2) | instskip(NEXT) | instid1(VALU_DEP_1)
	v_and_b32_e32 v10, 0x7f, v11
	v_cmpx_ne_u32_e32 0x7f, v10
	s_cbranch_execz .LBB230_2846
; %bb.2843:                             ;   in Loop: Header=BB230_1574 Depth=1
	v_dual_lshrrev_b32 v6, 3, v10 :: v_dual_bitop2_b32 v16, 7, v11 bitop3:0x40
	s_mov_b32 s16, exec_lo
	v_cmpx_gt_u32_e32 8, v10
; %bb.2844:                             ;   in Loop: Header=BB230_1574 Depth=1
	s_delay_alu instid0(VALU_DEP_2) | instskip(NEXT) | instid1(VALU_DEP_1)
	v_clz_i32_u32_e32 v6, v16
	v_min_u32_e32 v6, 32, v6
	s_delay_alu instid0(VALU_DEP_1) | instskip(SKIP_1) | instid1(VALU_DEP_2)
	v_subrev_nc_u32_e32 v7, 28, v6
	v_sub_nc_u32_e32 v6, 29, v6
	v_lshlrev_b64_e32 v[10:11], v7, v[16:17]
	s_delay_alu instid0(VALU_DEP_1)
	v_and_b32_e32 v16, 7, v10
; %bb.2845:                             ;   in Loop: Header=BB230_1574 Depth=1
	s_or_b32 exec_lo, exec_lo, s16
	s_delay_alu instid0(VALU_DEP_1) | instskip(SKIP_1) | instid1(VALU_DEP_2)
	v_dual_lshlrev_b32 v7, 16, v14 :: v_dual_lshlrev_b32 v10, 20, v16
	v_lshl_add_u32 v6, v6, 23, 0x3c000000
	v_and_b32_e32 v7, 0x80000000, v7
	s_delay_alu instid0(VALU_DEP_1)
	v_or3_b32 v7, v10, v7, v6
	v_mov_b32_e32 v6, v17
.LBB230_2846:                           ;   in Loop: Header=BB230_1574 Depth=1
	s_or_b32 exec_lo, exec_lo, s9
.LBB230_2847:                           ;   in Loop: Header=BB230_1574 Depth=1
	s_delay_alu instid0(SALU_CYCLE_1)
	s_or_b32 exec_lo, exec_lo, s8
.LBB230_2848:                           ;   in Loop: Header=BB230_1574 Depth=1
	s_delay_alu instid0(SALU_CYCLE_1) | instskip(SKIP_4) | instid1(VALU_DEP_3)
	s_or_b32 exec_lo, exec_lo, s3
	v_lshrrev_b32_e32 v15, 16, v14
	v_mov_b64_e32 v[10:11], 0
	v_mov_b64_e32 v[12:13], 0
	s_mov_b32 s3, exec_lo
	v_and_b32_e32 v16, 0xff, v15
	s_delay_alu instid0(VALU_DEP_1)
	v_cmpx_ne_u16_e32 0, v16
	s_cbranch_execz .LBB230_2856
; %bb.2849:                             ;   in Loop: Header=BB230_1574 Depth=1
	v_mov_b64_e32 v[12:13], 0x80000000
	s_mov_b32 s8, exec_lo
	v_cmpx_ne_u16_e32 0x80, v16
	s_cbranch_execz .LBB230_2855
; %bb.2850:                             ;   in Loop: Header=BB230_1574 Depth=1
	v_mov_b64_e32 v[12:13], 0x7f800001
	v_bfe_u32 v22, v14, 16, 7
	s_mov_b32 s9, exec_lo
	s_delay_alu instid0(VALU_DEP_1)
	v_cmpx_ne_u32_e32 0x7f, v22
	s_cbranch_execz .LBB230_2854
; %bb.2851:                             ;   in Loop: Header=BB230_1574 Depth=1
	v_dual_lshrrev_b32 v12, 3, v22 :: v_dual_bitop2_b32 v16, 7, v15 bitop3:0x40
	s_mov_b32 s16, exec_lo
	v_cmpx_gt_u32_e32 8, v22
; %bb.2852:                             ;   in Loop: Header=BB230_1574 Depth=1
	s_delay_alu instid0(VALU_DEP_2) | instskip(NEXT) | instid1(VALU_DEP_1)
	v_clz_i32_u32_e32 v12, v16
	v_min_u32_e32 v12, 32, v12
	s_delay_alu instid0(VALU_DEP_1) | instskip(NEXT) | instid1(VALU_DEP_1)
	v_subrev_nc_u32_e32 v13, 28, v12
	v_lshlrev_b64_e32 v[22:23], v13, v[16:17]
	s_delay_alu instid0(VALU_DEP_1)
	v_dual_sub_nc_u32 v12, 29, v12 :: v_dual_bitop2_b32 v16, 7, v22 bitop3:0x40
; %bb.2853:                             ;   in Loop: Header=BB230_1574 Depth=1
	s_or_b32 exec_lo, exec_lo, s16
	s_delay_alu instid0(VALU_DEP_1) | instskip(NEXT) | instid1(VALU_DEP_2)
	v_dual_lshlrev_b32 v13, 24, v15 :: v_dual_lshlrev_b32 v15, 20, v16
	v_lshl_add_u32 v12, v12, 23, 0x3c000000
	s_delay_alu instid0(VALU_DEP_2) | instskip(NEXT) | instid1(VALU_DEP_1)
	v_and_b32_e32 v13, 0x80000000, v13
	v_or3_b32 v16, v15, v13, v12
	s_delay_alu instid0(VALU_DEP_1)
	v_mov_b64_e32 v[12:13], v[16:17]
.LBB230_2854:                           ;   in Loop: Header=BB230_1574 Depth=1
	s_or_b32 exec_lo, exec_lo, s9
.LBB230_2855:                           ;   in Loop: Header=BB230_1574 Depth=1
	s_delay_alu instid0(SALU_CYCLE_1)
	s_or_b32 exec_lo, exec_lo, s8
.LBB230_2856:                           ;   in Loop: Header=BB230_1574 Depth=1
	s_delay_alu instid0(SALU_CYCLE_1) | instskip(NEXT) | instid1(SALU_CYCLE_1)
	s_or_b32 exec_lo, exec_lo, s3
	s_mov_b32 s3, exec_lo
	v_cmpx_lt_u32_e32 0xffffff, v14
	s_cbranch_execz .LBB230_2864
; %bb.2857:                             ;   in Loop: Header=BB230_1574 Depth=1
	v_mov_b64_e32 v[10:11], 0x8000000000000000
	v_lshrrev_b32_e32 v15, 24, v14
	s_mov_b32 s8, exec_lo
	s_delay_alu instid0(VALU_DEP_1)
	v_cmpx_ne_u32_e32 0x80, v15
	s_cbranch_execz .LBB230_2863
; %bb.2858:                             ;   in Loop: Header=BB230_1574 Depth=1
	v_mov_b64_e32 v[10:11], 0x7f80000100000000
	v_bfe_u32 v14, v14, 24, 7
	s_mov_b32 s9, exec_lo
	s_delay_alu instid0(VALU_DEP_1)
	v_cmpx_ne_u32_e32 0x7f, v14
	s_cbranch_execz .LBB230_2862
; %bb.2859:                             ;   in Loop: Header=BB230_1574 Depth=1
	v_dual_lshrrev_b32 v10, 3, v14 :: v_dual_bitop2_b32 v16, 7, v15 bitop3:0x40
	s_mov_b32 s16, exec_lo
	v_cmpx_gt_u32_e32 8, v14
; %bb.2860:                             ;   in Loop: Header=BB230_1574 Depth=1
	s_delay_alu instid0(VALU_DEP_2) | instskip(NEXT) | instid1(VALU_DEP_1)
	v_clz_i32_u32_e32 v10, v16
	v_min_u32_e32 v10, 32, v10
	s_delay_alu instid0(VALU_DEP_1) | instskip(SKIP_1) | instid1(VALU_DEP_2)
	v_subrev_nc_u32_e32 v11, 28, v10
	v_sub_nc_u32_e32 v10, 29, v10
	v_lshlrev_b64_e32 v[22:23], v11, v[16:17]
	s_delay_alu instid0(VALU_DEP_1)
	v_and_b32_e32 v16, 7, v22
; %bb.2861:                             ;   in Loop: Header=BB230_1574 Depth=1
	s_or_b32 exec_lo, exec_lo, s16
	s_delay_alu instid0(VALU_DEP_1) | instskip(SKIP_1) | instid1(VALU_DEP_2)
	v_dual_lshlrev_b32 v11, 24, v15 :: v_dual_lshlrev_b32 v14, 20, v16
	v_lshl_add_u32 v10, v10, 23, 0x3c000000
	v_and_b32_e32 v11, 0x80000000, v11
	s_delay_alu instid0(VALU_DEP_1)
	v_or3_b32 v11, v14, v11, v10
	v_mov_b32_e32 v10, v17
.LBB230_2862:                           ;   in Loop: Header=BB230_1574 Depth=1
	s_or_b32 exec_lo, exec_lo, s9
.LBB230_2863:                           ;   in Loop: Header=BB230_1574 Depth=1
	s_delay_alu instid0(SALU_CYCLE_1)
	s_or_b32 exec_lo, exec_lo, s8
.LBB230_2864:                           ;   in Loop: Header=BB230_1574 Depth=1
	s_delay_alu instid0(SALU_CYCLE_1) | instskip(SKIP_4) | instid1(VALU_DEP_3)
	s_or_b32 exec_lo, exec_lo, s3
	v_or_b32_e32 v7, v7, v9
	v_or_b32_e32 v6, v6, v8
	;; [unrolled: 1-line block ×4, first 2 shown]
	v_pk_mul_f32 v[46:47], v[70:71], v[6:7]
	s_delay_alu instid0(VALU_DEP_2)
	v_pk_mul_f32 v[42:43], v[70:71], v[8:9]
	s_and_saveexec_b32 s3, vcc_lo
	s_cbranch_execz .LBB230_2866
; %bb.2865:                             ;   in Loop: Header=BB230_1574 Depth=1
	scratch_load_b64 v[6:7], off, s32 offset:200 ; 8-byte Folded Reload
	s_wait_loadcnt 0x0
	v_cmp_lt_i32_e64 s0, v18, v6
	s_delay_alu instid0(VALU_DEP_1) | instskip(SKIP_1) | instid1(VALU_DEP_1)
	v_cndmask_b32_e64 v46, 0, v46, s0
	v_cmp_lt_i32_e64 s0, v19, v6
	v_cndmask_b32_e64 v47, 0, v47, s0
	v_cmp_lt_i32_e64 s0, v21, v6
	s_delay_alu instid0(VALU_DEP_1) | instskip(SKIP_1) | instid1(VALU_DEP_1)
	v_cndmask_b32_e64 v42, 0, v42, s0
	v_cmp_lt_i32_e64 s0, v20, v6
	v_cndmask_b32_e64 v43, 0, v43, s0
.LBB230_2866:                           ;   in Loop: Header=BB230_1574 Depth=1
	s_wait_xcnt 0x0
	s_or_b32 exec_lo, exec_lo, s3
	flat_load_b32 v14, v[116:117] offset:4864
	v_mov_b64_e32 v[6:7], 0
	v_mov_b64_e32 v[8:9], 0
	s_mov_b32 s3, exec_lo
	s_wait_loadcnt_dscnt 0x0
	v_and_b32_e32 v10, 0xff, v14
	s_wait_xcnt 0x0
	s_delay_alu instid0(VALU_DEP_1)
	v_cmpx_ne_u16_e32 0, v10
	s_cbranch_execz .LBB230_2874
; %bb.2867:                             ;   in Loop: Header=BB230_1574 Depth=1
	v_mov_b64_e32 v[8:9], 0x80000000
	s_mov_b32 s8, exec_lo
	v_cmpx_ne_u16_e32 0x80, v10
	s_cbranch_execz .LBB230_2873
; %bb.2868:                             ;   in Loop: Header=BB230_1574 Depth=1
	v_mov_b64_e32 v[8:9], 0x7f800001
	v_and_b32_e32 v10, 0x7f, v14
	s_mov_b32 s9, exec_lo
	s_delay_alu instid0(VALU_DEP_1)
	v_cmpx_ne_u32_e32 0x7f, v10
	s_cbranch_execz .LBB230_2872
; %bb.2869:                             ;   in Loop: Header=BB230_1574 Depth=1
	v_and_b32_e32 v16, 7, v14
	v_lshrrev_b32_e32 v8, 3, v10
	s_mov_b32 s16, exec_lo
	v_cmpx_gt_u32_e32 8, v10
; %bb.2870:                             ;   in Loop: Header=BB230_1574 Depth=1
	s_delay_alu instid0(VALU_DEP_3) | instskip(NEXT) | instid1(VALU_DEP_1)
	v_clz_i32_u32_e32 v8, v16
	v_min_u32_e32 v8, 32, v8
	s_delay_alu instid0(VALU_DEP_1) | instskip(NEXT) | instid1(VALU_DEP_1)
	v_subrev_nc_u32_e32 v9, 28, v8
	v_lshlrev_b64_e32 v[10:11], v9, v[16:17]
	s_delay_alu instid0(VALU_DEP_1)
	v_dual_sub_nc_u32 v8, 29, v8 :: v_dual_bitop2_b32 v16, 7, v10 bitop3:0x40
; %bb.2871:                             ;   in Loop: Header=BB230_1574 Depth=1
	s_or_b32 exec_lo, exec_lo, s16
	s_delay_alu instid0(VALU_DEP_1) | instskip(NEXT) | instid1(VALU_DEP_2)
	v_dual_lshlrev_b32 v9, 24, v14 :: v_dual_lshlrev_b32 v10, 20, v16
	v_lshl_add_u32 v8, v8, 23, 0x3c000000
	s_delay_alu instid0(VALU_DEP_2) | instskip(NEXT) | instid1(VALU_DEP_1)
	v_and_b32_e32 v9, 0x80000000, v9
	v_or3_b32 v16, v10, v9, v8
	s_delay_alu instid0(VALU_DEP_1)
	v_mov_b64_e32 v[8:9], v[16:17]
.LBB230_2872:                           ;   in Loop: Header=BB230_1574 Depth=1
	s_or_b32 exec_lo, exec_lo, s9
.LBB230_2873:                           ;   in Loop: Header=BB230_1574 Depth=1
	s_delay_alu instid0(SALU_CYCLE_1)
	s_or_b32 exec_lo, exec_lo, s8
.LBB230_2874:                           ;   in Loop: Header=BB230_1574 Depth=1
	s_delay_alu instid0(SALU_CYCLE_1) | instskip(SKIP_2) | instid1(VALU_DEP_1)
	s_or_b32 exec_lo, exec_lo, s3
	v_lshrrev_b16 v10, 8, v14
	s_mov_b32 s3, exec_lo
	v_cmpx_ne_u16_e32 0, v10
	s_cbranch_execz .LBB230_2882
; %bb.2875:                             ;   in Loop: Header=BB230_1574 Depth=1
	v_mov_b64_e32 v[6:7], 0x8000000000000000
	s_mov_b32 s8, exec_lo
	v_cmpx_ne_u16_e32 0x80, v10
	s_cbranch_execz .LBB230_2881
; %bb.2876:                             ;   in Loop: Header=BB230_1574 Depth=1
	v_and_b32_e32 v11, 0xffff, v10
	v_mov_b64_e32 v[6:7], 0x7f80000100000000
	s_mov_b32 s9, exec_lo
	s_delay_alu instid0(VALU_DEP_2) | instskip(NEXT) | instid1(VALU_DEP_1)
	v_and_b32_e32 v10, 0x7f, v11
	v_cmpx_ne_u32_e32 0x7f, v10
	s_cbranch_execz .LBB230_2880
; %bb.2877:                             ;   in Loop: Header=BB230_1574 Depth=1
	v_dual_lshrrev_b32 v6, 3, v10 :: v_dual_bitop2_b32 v16, 7, v11 bitop3:0x40
	s_mov_b32 s16, exec_lo
	v_cmpx_gt_u32_e32 8, v10
; %bb.2878:                             ;   in Loop: Header=BB230_1574 Depth=1
	s_delay_alu instid0(VALU_DEP_2) | instskip(NEXT) | instid1(VALU_DEP_1)
	v_clz_i32_u32_e32 v6, v16
	v_min_u32_e32 v6, 32, v6
	s_delay_alu instid0(VALU_DEP_1) | instskip(SKIP_1) | instid1(VALU_DEP_2)
	v_subrev_nc_u32_e32 v7, 28, v6
	v_sub_nc_u32_e32 v6, 29, v6
	v_lshlrev_b64_e32 v[10:11], v7, v[16:17]
	s_delay_alu instid0(VALU_DEP_1)
	v_and_b32_e32 v16, 7, v10
; %bb.2879:                             ;   in Loop: Header=BB230_1574 Depth=1
	s_or_b32 exec_lo, exec_lo, s16
	s_delay_alu instid0(VALU_DEP_1) | instskip(SKIP_1) | instid1(VALU_DEP_2)
	v_dual_lshlrev_b32 v7, 16, v14 :: v_dual_lshlrev_b32 v10, 20, v16
	v_lshl_add_u32 v6, v6, 23, 0x3c000000
	v_and_b32_e32 v7, 0x80000000, v7
	s_delay_alu instid0(VALU_DEP_1)
	v_or3_b32 v7, v10, v7, v6
	v_mov_b32_e32 v6, v17
.LBB230_2880:                           ;   in Loop: Header=BB230_1574 Depth=1
	s_or_b32 exec_lo, exec_lo, s9
.LBB230_2881:                           ;   in Loop: Header=BB230_1574 Depth=1
	s_delay_alu instid0(SALU_CYCLE_1)
	s_or_b32 exec_lo, exec_lo, s8
.LBB230_2882:                           ;   in Loop: Header=BB230_1574 Depth=1
	s_delay_alu instid0(SALU_CYCLE_1) | instskip(SKIP_4) | instid1(VALU_DEP_3)
	s_or_b32 exec_lo, exec_lo, s3
	v_lshrrev_b32_e32 v15, 16, v14
	v_mov_b64_e32 v[10:11], 0
	v_mov_b64_e32 v[12:13], 0
	s_mov_b32 s3, exec_lo
	v_and_b32_e32 v16, 0xff, v15
	s_delay_alu instid0(VALU_DEP_1)
	v_cmpx_ne_u16_e32 0, v16
	s_cbranch_execz .LBB230_2890
; %bb.2883:                             ;   in Loop: Header=BB230_1574 Depth=1
	v_mov_b64_e32 v[12:13], 0x80000000
	s_mov_b32 s8, exec_lo
	v_cmpx_ne_u16_e32 0x80, v16
	s_cbranch_execz .LBB230_2889
; %bb.2884:                             ;   in Loop: Header=BB230_1574 Depth=1
	v_mov_b64_e32 v[12:13], 0x7f800001
	v_bfe_u32 v22, v14, 16, 7
	s_mov_b32 s9, exec_lo
	s_delay_alu instid0(VALU_DEP_1)
	v_cmpx_ne_u32_e32 0x7f, v22
	s_cbranch_execz .LBB230_2888
; %bb.2885:                             ;   in Loop: Header=BB230_1574 Depth=1
	v_dual_lshrrev_b32 v12, 3, v22 :: v_dual_bitop2_b32 v16, 7, v15 bitop3:0x40
	s_mov_b32 s16, exec_lo
	v_cmpx_gt_u32_e32 8, v22
; %bb.2886:                             ;   in Loop: Header=BB230_1574 Depth=1
	s_delay_alu instid0(VALU_DEP_2) | instskip(NEXT) | instid1(VALU_DEP_1)
	v_clz_i32_u32_e32 v12, v16
	v_min_u32_e32 v12, 32, v12
	s_delay_alu instid0(VALU_DEP_1) | instskip(NEXT) | instid1(VALU_DEP_1)
	v_subrev_nc_u32_e32 v13, 28, v12
	v_lshlrev_b64_e32 v[22:23], v13, v[16:17]
	s_delay_alu instid0(VALU_DEP_1)
	v_dual_sub_nc_u32 v12, 29, v12 :: v_dual_bitop2_b32 v16, 7, v22 bitop3:0x40
; %bb.2887:                             ;   in Loop: Header=BB230_1574 Depth=1
	s_or_b32 exec_lo, exec_lo, s16
	s_delay_alu instid0(VALU_DEP_1) | instskip(NEXT) | instid1(VALU_DEP_2)
	v_dual_lshlrev_b32 v13, 24, v15 :: v_dual_lshlrev_b32 v15, 20, v16
	v_lshl_add_u32 v12, v12, 23, 0x3c000000
	s_delay_alu instid0(VALU_DEP_2) | instskip(NEXT) | instid1(VALU_DEP_1)
	v_and_b32_e32 v13, 0x80000000, v13
	v_or3_b32 v16, v15, v13, v12
	s_delay_alu instid0(VALU_DEP_1)
	v_mov_b64_e32 v[12:13], v[16:17]
.LBB230_2888:                           ;   in Loop: Header=BB230_1574 Depth=1
	s_or_b32 exec_lo, exec_lo, s9
.LBB230_2889:                           ;   in Loop: Header=BB230_1574 Depth=1
	s_delay_alu instid0(SALU_CYCLE_1)
	s_or_b32 exec_lo, exec_lo, s8
.LBB230_2890:                           ;   in Loop: Header=BB230_1574 Depth=1
	s_delay_alu instid0(SALU_CYCLE_1) | instskip(NEXT) | instid1(SALU_CYCLE_1)
	s_or_b32 exec_lo, exec_lo, s3
	s_mov_b32 s3, exec_lo
	v_cmpx_lt_u32_e32 0xffffff, v14
	s_cbranch_execz .LBB230_2898
; %bb.2891:                             ;   in Loop: Header=BB230_1574 Depth=1
	v_mov_b64_e32 v[10:11], 0x8000000000000000
	v_lshrrev_b32_e32 v15, 24, v14
	s_mov_b32 s8, exec_lo
	s_delay_alu instid0(VALU_DEP_1)
	v_cmpx_ne_u32_e32 0x80, v15
	s_cbranch_execz .LBB230_2897
; %bb.2892:                             ;   in Loop: Header=BB230_1574 Depth=1
	v_mov_b64_e32 v[10:11], 0x7f80000100000000
	v_bfe_u32 v14, v14, 24, 7
	s_mov_b32 s9, exec_lo
	s_delay_alu instid0(VALU_DEP_1)
	v_cmpx_ne_u32_e32 0x7f, v14
	s_cbranch_execz .LBB230_2896
; %bb.2893:                             ;   in Loop: Header=BB230_1574 Depth=1
	v_dual_lshrrev_b32 v10, 3, v14 :: v_dual_bitop2_b32 v16, 7, v15 bitop3:0x40
	s_mov_b32 s16, exec_lo
	v_cmpx_gt_u32_e32 8, v14
; %bb.2894:                             ;   in Loop: Header=BB230_1574 Depth=1
	s_delay_alu instid0(VALU_DEP_2) | instskip(NEXT) | instid1(VALU_DEP_1)
	v_clz_i32_u32_e32 v10, v16
	v_min_u32_e32 v10, 32, v10
	s_delay_alu instid0(VALU_DEP_1) | instskip(SKIP_1) | instid1(VALU_DEP_2)
	v_subrev_nc_u32_e32 v11, 28, v10
	v_sub_nc_u32_e32 v10, 29, v10
	v_lshlrev_b64_e32 v[22:23], v11, v[16:17]
	s_delay_alu instid0(VALU_DEP_1)
	v_and_b32_e32 v16, 7, v22
; %bb.2895:                             ;   in Loop: Header=BB230_1574 Depth=1
	s_or_b32 exec_lo, exec_lo, s16
	s_delay_alu instid0(VALU_DEP_1) | instskip(SKIP_1) | instid1(VALU_DEP_2)
	v_dual_lshlrev_b32 v11, 24, v15 :: v_dual_lshlrev_b32 v14, 20, v16
	v_lshl_add_u32 v10, v10, 23, 0x3c000000
	v_and_b32_e32 v11, 0x80000000, v11
	s_delay_alu instid0(VALU_DEP_1)
	v_or3_b32 v11, v14, v11, v10
	v_mov_b32_e32 v10, v17
.LBB230_2896:                           ;   in Loop: Header=BB230_1574 Depth=1
	s_or_b32 exec_lo, exec_lo, s9
.LBB230_2897:                           ;   in Loop: Header=BB230_1574 Depth=1
	s_delay_alu instid0(SALU_CYCLE_1)
	s_or_b32 exec_lo, exec_lo, s8
.LBB230_2898:                           ;   in Loop: Header=BB230_1574 Depth=1
	s_delay_alu instid0(SALU_CYCLE_1) | instskip(SKIP_4) | instid1(VALU_DEP_3)
	s_or_b32 exec_lo, exec_lo, s3
	v_or_b32_e32 v7, v7, v9
	v_or_b32_e32 v6, v6, v8
	;; [unrolled: 1-line block ×4, first 2 shown]
	v_pk_mul_f32 v[58:59], v[70:71], v[6:7]
	s_delay_alu instid0(VALU_DEP_2)
	v_pk_mul_f32 v[56:57], v[70:71], v[8:9]
	s_and_saveexec_b32 s3, vcc_lo
	s_cbranch_execz .LBB230_2900
; %bb.2899:                             ;   in Loop: Header=BB230_1574 Depth=1
	scratch_load_b64 v[6:7], off, s32 offset:200 ; 8-byte Folded Reload
	s_wait_loadcnt 0x0
	v_cmp_lt_i32_e64 s0, v18, v6
	s_delay_alu instid0(VALU_DEP_1) | instskip(SKIP_1) | instid1(VALU_DEP_1)
	v_cndmask_b32_e64 v58, 0, v58, s0
	v_cmp_lt_i32_e64 s0, v19, v6
	v_cndmask_b32_e64 v59, 0, v59, s0
	v_cmp_lt_i32_e64 s0, v21, v6
	s_delay_alu instid0(VALU_DEP_1) | instskip(SKIP_1) | instid1(VALU_DEP_1)
	v_cndmask_b32_e64 v56, 0, v56, s0
	v_cmp_lt_i32_e64 s0, v20, v6
	v_cndmask_b32_e64 v57, 0, v57, s0
.LBB230_2900:                           ;   in Loop: Header=BB230_1574 Depth=1
	s_wait_xcnt 0x0
	s_or_b32 exec_lo, exec_lo, s3
	flat_load_b32 v14, v[116:117] offset:4992
	v_mov_b64_e32 v[6:7], 0
	v_mov_b64_e32 v[8:9], 0
	s_mov_b32 s3, exec_lo
	s_wait_loadcnt_dscnt 0x0
	v_and_b32_e32 v10, 0xff, v14
	s_wait_xcnt 0x0
	s_delay_alu instid0(VALU_DEP_1)
	v_cmpx_ne_u16_e32 0, v10
	s_cbranch_execz .LBB230_2908
; %bb.2901:                             ;   in Loop: Header=BB230_1574 Depth=1
	v_mov_b64_e32 v[8:9], 0x80000000
	s_mov_b32 s8, exec_lo
	v_cmpx_ne_u16_e32 0x80, v10
	s_cbranch_execz .LBB230_2907
; %bb.2902:                             ;   in Loop: Header=BB230_1574 Depth=1
	v_mov_b64_e32 v[8:9], 0x7f800001
	v_and_b32_e32 v10, 0x7f, v14
	s_mov_b32 s9, exec_lo
	s_delay_alu instid0(VALU_DEP_1)
	v_cmpx_ne_u32_e32 0x7f, v10
	s_cbranch_execz .LBB230_2906
; %bb.2903:                             ;   in Loop: Header=BB230_1574 Depth=1
	v_and_b32_e32 v16, 7, v14
	v_lshrrev_b32_e32 v8, 3, v10
	s_mov_b32 s16, exec_lo
	v_cmpx_gt_u32_e32 8, v10
; %bb.2904:                             ;   in Loop: Header=BB230_1574 Depth=1
	s_delay_alu instid0(VALU_DEP_3) | instskip(NEXT) | instid1(VALU_DEP_1)
	v_clz_i32_u32_e32 v8, v16
	v_min_u32_e32 v8, 32, v8
	s_delay_alu instid0(VALU_DEP_1) | instskip(NEXT) | instid1(VALU_DEP_1)
	v_subrev_nc_u32_e32 v9, 28, v8
	v_lshlrev_b64_e32 v[10:11], v9, v[16:17]
	s_delay_alu instid0(VALU_DEP_1)
	v_dual_sub_nc_u32 v8, 29, v8 :: v_dual_bitop2_b32 v16, 7, v10 bitop3:0x40
; %bb.2905:                             ;   in Loop: Header=BB230_1574 Depth=1
	s_or_b32 exec_lo, exec_lo, s16
	s_delay_alu instid0(VALU_DEP_1) | instskip(NEXT) | instid1(VALU_DEP_2)
	v_dual_lshlrev_b32 v9, 24, v14 :: v_dual_lshlrev_b32 v10, 20, v16
	v_lshl_add_u32 v8, v8, 23, 0x3c000000
	s_delay_alu instid0(VALU_DEP_2) | instskip(NEXT) | instid1(VALU_DEP_1)
	v_and_b32_e32 v9, 0x80000000, v9
	v_or3_b32 v16, v10, v9, v8
	s_delay_alu instid0(VALU_DEP_1)
	v_mov_b64_e32 v[8:9], v[16:17]
.LBB230_2906:                           ;   in Loop: Header=BB230_1574 Depth=1
	s_or_b32 exec_lo, exec_lo, s9
.LBB230_2907:                           ;   in Loop: Header=BB230_1574 Depth=1
	s_delay_alu instid0(SALU_CYCLE_1)
	s_or_b32 exec_lo, exec_lo, s8
.LBB230_2908:                           ;   in Loop: Header=BB230_1574 Depth=1
	s_delay_alu instid0(SALU_CYCLE_1) | instskip(SKIP_2) | instid1(VALU_DEP_1)
	s_or_b32 exec_lo, exec_lo, s3
	v_lshrrev_b16 v10, 8, v14
	s_mov_b32 s3, exec_lo
	v_cmpx_ne_u16_e32 0, v10
	s_cbranch_execz .LBB230_2916
; %bb.2909:                             ;   in Loop: Header=BB230_1574 Depth=1
	v_mov_b64_e32 v[6:7], 0x8000000000000000
	s_mov_b32 s8, exec_lo
	v_cmpx_ne_u16_e32 0x80, v10
	s_cbranch_execz .LBB230_2915
; %bb.2910:                             ;   in Loop: Header=BB230_1574 Depth=1
	v_and_b32_e32 v11, 0xffff, v10
	v_mov_b64_e32 v[6:7], 0x7f80000100000000
	s_mov_b32 s9, exec_lo
	s_delay_alu instid0(VALU_DEP_2) | instskip(NEXT) | instid1(VALU_DEP_1)
	v_and_b32_e32 v10, 0x7f, v11
	v_cmpx_ne_u32_e32 0x7f, v10
	s_cbranch_execz .LBB230_2914
; %bb.2911:                             ;   in Loop: Header=BB230_1574 Depth=1
	v_dual_lshrrev_b32 v6, 3, v10 :: v_dual_bitop2_b32 v16, 7, v11 bitop3:0x40
	s_mov_b32 s16, exec_lo
	v_cmpx_gt_u32_e32 8, v10
; %bb.2912:                             ;   in Loop: Header=BB230_1574 Depth=1
	s_delay_alu instid0(VALU_DEP_2) | instskip(NEXT) | instid1(VALU_DEP_1)
	v_clz_i32_u32_e32 v6, v16
	v_min_u32_e32 v6, 32, v6
	s_delay_alu instid0(VALU_DEP_1) | instskip(SKIP_1) | instid1(VALU_DEP_2)
	v_subrev_nc_u32_e32 v7, 28, v6
	v_sub_nc_u32_e32 v6, 29, v6
	v_lshlrev_b64_e32 v[10:11], v7, v[16:17]
	s_delay_alu instid0(VALU_DEP_1)
	v_and_b32_e32 v16, 7, v10
; %bb.2913:                             ;   in Loop: Header=BB230_1574 Depth=1
	s_or_b32 exec_lo, exec_lo, s16
	s_delay_alu instid0(VALU_DEP_1) | instskip(SKIP_1) | instid1(VALU_DEP_2)
	v_dual_lshlrev_b32 v7, 16, v14 :: v_dual_lshlrev_b32 v10, 20, v16
	v_lshl_add_u32 v6, v6, 23, 0x3c000000
	v_and_b32_e32 v7, 0x80000000, v7
	s_delay_alu instid0(VALU_DEP_1)
	v_or3_b32 v7, v10, v7, v6
	v_mov_b32_e32 v6, v17
.LBB230_2914:                           ;   in Loop: Header=BB230_1574 Depth=1
	s_or_b32 exec_lo, exec_lo, s9
.LBB230_2915:                           ;   in Loop: Header=BB230_1574 Depth=1
	s_delay_alu instid0(SALU_CYCLE_1)
	s_or_b32 exec_lo, exec_lo, s8
.LBB230_2916:                           ;   in Loop: Header=BB230_1574 Depth=1
	s_delay_alu instid0(SALU_CYCLE_1) | instskip(SKIP_4) | instid1(VALU_DEP_3)
	s_or_b32 exec_lo, exec_lo, s3
	v_lshrrev_b32_e32 v15, 16, v14
	v_mov_b64_e32 v[10:11], 0
	v_mov_b64_e32 v[12:13], 0
	s_mov_b32 s3, exec_lo
	v_and_b32_e32 v16, 0xff, v15
	s_delay_alu instid0(VALU_DEP_1)
	v_cmpx_ne_u16_e32 0, v16
	s_cbranch_execz .LBB230_2924
; %bb.2917:                             ;   in Loop: Header=BB230_1574 Depth=1
	v_mov_b64_e32 v[12:13], 0x80000000
	s_mov_b32 s8, exec_lo
	v_cmpx_ne_u16_e32 0x80, v16
	s_cbranch_execz .LBB230_2923
; %bb.2918:                             ;   in Loop: Header=BB230_1574 Depth=1
	v_mov_b64_e32 v[12:13], 0x7f800001
	v_bfe_u32 v22, v14, 16, 7
	s_mov_b32 s9, exec_lo
	s_delay_alu instid0(VALU_DEP_1)
	v_cmpx_ne_u32_e32 0x7f, v22
	s_cbranch_execz .LBB230_2922
; %bb.2919:                             ;   in Loop: Header=BB230_1574 Depth=1
	v_dual_lshrrev_b32 v12, 3, v22 :: v_dual_bitop2_b32 v16, 7, v15 bitop3:0x40
	s_mov_b32 s16, exec_lo
	v_cmpx_gt_u32_e32 8, v22
; %bb.2920:                             ;   in Loop: Header=BB230_1574 Depth=1
	s_delay_alu instid0(VALU_DEP_2) | instskip(NEXT) | instid1(VALU_DEP_1)
	v_clz_i32_u32_e32 v12, v16
	v_min_u32_e32 v12, 32, v12
	s_delay_alu instid0(VALU_DEP_1) | instskip(NEXT) | instid1(VALU_DEP_1)
	v_subrev_nc_u32_e32 v13, 28, v12
	v_lshlrev_b64_e32 v[22:23], v13, v[16:17]
	s_delay_alu instid0(VALU_DEP_1)
	v_dual_sub_nc_u32 v12, 29, v12 :: v_dual_bitop2_b32 v16, 7, v22 bitop3:0x40
; %bb.2921:                             ;   in Loop: Header=BB230_1574 Depth=1
	s_or_b32 exec_lo, exec_lo, s16
	s_delay_alu instid0(VALU_DEP_1) | instskip(NEXT) | instid1(VALU_DEP_2)
	v_dual_lshlrev_b32 v13, 24, v15 :: v_dual_lshlrev_b32 v15, 20, v16
	v_lshl_add_u32 v12, v12, 23, 0x3c000000
	s_delay_alu instid0(VALU_DEP_2) | instskip(NEXT) | instid1(VALU_DEP_1)
	v_and_b32_e32 v13, 0x80000000, v13
	v_or3_b32 v16, v15, v13, v12
	s_delay_alu instid0(VALU_DEP_1)
	v_mov_b64_e32 v[12:13], v[16:17]
.LBB230_2922:                           ;   in Loop: Header=BB230_1574 Depth=1
	s_or_b32 exec_lo, exec_lo, s9
.LBB230_2923:                           ;   in Loop: Header=BB230_1574 Depth=1
	s_delay_alu instid0(SALU_CYCLE_1)
	s_or_b32 exec_lo, exec_lo, s8
.LBB230_2924:                           ;   in Loop: Header=BB230_1574 Depth=1
	s_delay_alu instid0(SALU_CYCLE_1) | instskip(NEXT) | instid1(SALU_CYCLE_1)
	s_or_b32 exec_lo, exec_lo, s3
	s_mov_b32 s3, exec_lo
	v_cmpx_lt_u32_e32 0xffffff, v14
	s_cbranch_execz .LBB230_2932
; %bb.2925:                             ;   in Loop: Header=BB230_1574 Depth=1
	v_mov_b64_e32 v[10:11], 0x8000000000000000
	v_lshrrev_b32_e32 v15, 24, v14
	s_mov_b32 s8, exec_lo
	s_delay_alu instid0(VALU_DEP_1)
	v_cmpx_ne_u32_e32 0x80, v15
	s_cbranch_execz .LBB230_2931
; %bb.2926:                             ;   in Loop: Header=BB230_1574 Depth=1
	v_mov_b64_e32 v[10:11], 0x7f80000100000000
	v_bfe_u32 v14, v14, 24, 7
	s_mov_b32 s9, exec_lo
	s_delay_alu instid0(VALU_DEP_1)
	v_cmpx_ne_u32_e32 0x7f, v14
	s_cbranch_execz .LBB230_2930
; %bb.2927:                             ;   in Loop: Header=BB230_1574 Depth=1
	v_dual_lshrrev_b32 v10, 3, v14 :: v_dual_bitop2_b32 v16, 7, v15 bitop3:0x40
	s_mov_b32 s16, exec_lo
	v_cmpx_gt_u32_e32 8, v14
; %bb.2928:                             ;   in Loop: Header=BB230_1574 Depth=1
	s_delay_alu instid0(VALU_DEP_2) | instskip(NEXT) | instid1(VALU_DEP_1)
	v_clz_i32_u32_e32 v10, v16
	v_min_u32_e32 v10, 32, v10
	s_delay_alu instid0(VALU_DEP_1) | instskip(SKIP_1) | instid1(VALU_DEP_2)
	v_subrev_nc_u32_e32 v11, 28, v10
	v_sub_nc_u32_e32 v10, 29, v10
	v_lshlrev_b64_e32 v[22:23], v11, v[16:17]
	s_delay_alu instid0(VALU_DEP_1)
	v_and_b32_e32 v16, 7, v22
; %bb.2929:                             ;   in Loop: Header=BB230_1574 Depth=1
	s_or_b32 exec_lo, exec_lo, s16
	s_delay_alu instid0(VALU_DEP_1) | instskip(SKIP_1) | instid1(VALU_DEP_2)
	v_dual_lshlrev_b32 v11, 24, v15 :: v_dual_lshlrev_b32 v14, 20, v16
	v_lshl_add_u32 v10, v10, 23, 0x3c000000
	v_and_b32_e32 v11, 0x80000000, v11
	s_delay_alu instid0(VALU_DEP_1)
	v_or3_b32 v11, v14, v11, v10
	v_mov_b32_e32 v10, v17
.LBB230_2930:                           ;   in Loop: Header=BB230_1574 Depth=1
	s_or_b32 exec_lo, exec_lo, s9
.LBB230_2931:                           ;   in Loop: Header=BB230_1574 Depth=1
	s_delay_alu instid0(SALU_CYCLE_1)
	s_or_b32 exec_lo, exec_lo, s8
.LBB230_2932:                           ;   in Loop: Header=BB230_1574 Depth=1
	s_delay_alu instid0(SALU_CYCLE_1) | instskip(SKIP_4) | instid1(VALU_DEP_3)
	s_or_b32 exec_lo, exec_lo, s3
	v_or_b32_e32 v7, v7, v9
	v_or_b32_e32 v6, v6, v8
	v_or_b32_e32 v9, v11, v13
	v_or_b32_e32 v8, v10, v12
	v_pk_mul_f32 v[62:63], v[70:71], v[6:7]
	s_delay_alu instid0(VALU_DEP_2)
	v_pk_mul_f32 v[60:61], v[70:71], v[8:9]
	s_and_saveexec_b32 s3, vcc_lo
	s_cbranch_execz .LBB230_2934
; %bb.2933:                             ;   in Loop: Header=BB230_1574 Depth=1
	scratch_load_b64 v[6:7], off, s32 offset:200 ; 8-byte Folded Reload
	s_wait_loadcnt 0x0
	v_cmp_lt_i32_e64 s0, v18, v6
	s_delay_alu instid0(VALU_DEP_1) | instskip(SKIP_1) | instid1(VALU_DEP_1)
	v_cndmask_b32_e64 v62, 0, v62, s0
	v_cmp_lt_i32_e64 s0, v19, v6
	v_cndmask_b32_e64 v63, 0, v63, s0
	v_cmp_lt_i32_e64 s0, v21, v6
	s_delay_alu instid0(VALU_DEP_1) | instskip(SKIP_1) | instid1(VALU_DEP_1)
	v_cndmask_b32_e64 v60, 0, v60, s0
	v_cmp_lt_i32_e64 s0, v20, v6
	v_cndmask_b32_e64 v61, 0, v61, s0
.LBB230_2934:                           ;   in Loop: Header=BB230_1574 Depth=1
	s_wait_xcnt 0x0
	s_or_b32 exec_lo, exec_lo, s3
	flat_load_b32 v14, v[116:117] offset:5120
	v_mov_b64_e32 v[6:7], 0
	v_mov_b64_e32 v[8:9], 0
	s_mov_b32 s3, exec_lo
	s_wait_loadcnt_dscnt 0x0
	v_and_b32_e32 v10, 0xff, v14
	s_wait_xcnt 0x0
	s_delay_alu instid0(VALU_DEP_1)
	v_cmpx_ne_u16_e32 0, v10
	s_cbranch_execz .LBB230_2942
; %bb.2935:                             ;   in Loop: Header=BB230_1574 Depth=1
	v_mov_b64_e32 v[8:9], 0x80000000
	s_mov_b32 s8, exec_lo
	v_cmpx_ne_u16_e32 0x80, v10
	s_cbranch_execz .LBB230_2941
; %bb.2936:                             ;   in Loop: Header=BB230_1574 Depth=1
	v_mov_b64_e32 v[8:9], 0x7f800001
	v_and_b32_e32 v10, 0x7f, v14
	s_mov_b32 s9, exec_lo
	s_delay_alu instid0(VALU_DEP_1)
	v_cmpx_ne_u32_e32 0x7f, v10
	s_cbranch_execz .LBB230_2940
; %bb.2937:                             ;   in Loop: Header=BB230_1574 Depth=1
	v_and_b32_e32 v16, 7, v14
	v_lshrrev_b32_e32 v8, 3, v10
	s_mov_b32 s16, exec_lo
	v_cmpx_gt_u32_e32 8, v10
; %bb.2938:                             ;   in Loop: Header=BB230_1574 Depth=1
	s_delay_alu instid0(VALU_DEP_3) | instskip(NEXT) | instid1(VALU_DEP_1)
	v_clz_i32_u32_e32 v8, v16
	v_min_u32_e32 v8, 32, v8
	s_delay_alu instid0(VALU_DEP_1) | instskip(NEXT) | instid1(VALU_DEP_1)
	v_subrev_nc_u32_e32 v9, 28, v8
	v_lshlrev_b64_e32 v[10:11], v9, v[16:17]
	s_delay_alu instid0(VALU_DEP_1)
	v_dual_sub_nc_u32 v8, 29, v8 :: v_dual_bitop2_b32 v16, 7, v10 bitop3:0x40
; %bb.2939:                             ;   in Loop: Header=BB230_1574 Depth=1
	s_or_b32 exec_lo, exec_lo, s16
	s_delay_alu instid0(VALU_DEP_1) | instskip(NEXT) | instid1(VALU_DEP_2)
	v_dual_lshlrev_b32 v9, 24, v14 :: v_dual_lshlrev_b32 v10, 20, v16
	v_lshl_add_u32 v8, v8, 23, 0x3c000000
	s_delay_alu instid0(VALU_DEP_2) | instskip(NEXT) | instid1(VALU_DEP_1)
	v_and_b32_e32 v9, 0x80000000, v9
	v_or3_b32 v16, v10, v9, v8
	s_delay_alu instid0(VALU_DEP_1)
	v_mov_b64_e32 v[8:9], v[16:17]
.LBB230_2940:                           ;   in Loop: Header=BB230_1574 Depth=1
	s_or_b32 exec_lo, exec_lo, s9
.LBB230_2941:                           ;   in Loop: Header=BB230_1574 Depth=1
	s_delay_alu instid0(SALU_CYCLE_1)
	s_or_b32 exec_lo, exec_lo, s8
.LBB230_2942:                           ;   in Loop: Header=BB230_1574 Depth=1
	s_delay_alu instid0(SALU_CYCLE_1) | instskip(SKIP_2) | instid1(VALU_DEP_1)
	s_or_b32 exec_lo, exec_lo, s3
	v_lshrrev_b16 v10, 8, v14
	s_mov_b32 s3, exec_lo
	v_cmpx_ne_u16_e32 0, v10
	s_cbranch_execz .LBB230_2950
; %bb.2943:                             ;   in Loop: Header=BB230_1574 Depth=1
	v_mov_b64_e32 v[6:7], 0x8000000000000000
	s_mov_b32 s8, exec_lo
	v_cmpx_ne_u16_e32 0x80, v10
	s_cbranch_execz .LBB230_2949
; %bb.2944:                             ;   in Loop: Header=BB230_1574 Depth=1
	v_and_b32_e32 v11, 0xffff, v10
	v_mov_b64_e32 v[6:7], 0x7f80000100000000
	s_mov_b32 s9, exec_lo
	s_delay_alu instid0(VALU_DEP_2) | instskip(NEXT) | instid1(VALU_DEP_1)
	v_and_b32_e32 v10, 0x7f, v11
	v_cmpx_ne_u32_e32 0x7f, v10
	s_cbranch_execz .LBB230_2948
; %bb.2945:                             ;   in Loop: Header=BB230_1574 Depth=1
	v_dual_lshrrev_b32 v6, 3, v10 :: v_dual_bitop2_b32 v16, 7, v11 bitop3:0x40
	s_mov_b32 s16, exec_lo
	v_cmpx_gt_u32_e32 8, v10
; %bb.2946:                             ;   in Loop: Header=BB230_1574 Depth=1
	s_delay_alu instid0(VALU_DEP_2) | instskip(NEXT) | instid1(VALU_DEP_1)
	v_clz_i32_u32_e32 v6, v16
	v_min_u32_e32 v6, 32, v6
	s_delay_alu instid0(VALU_DEP_1) | instskip(SKIP_1) | instid1(VALU_DEP_2)
	v_subrev_nc_u32_e32 v7, 28, v6
	v_sub_nc_u32_e32 v6, 29, v6
	v_lshlrev_b64_e32 v[10:11], v7, v[16:17]
	s_delay_alu instid0(VALU_DEP_1)
	v_and_b32_e32 v16, 7, v10
; %bb.2947:                             ;   in Loop: Header=BB230_1574 Depth=1
	s_or_b32 exec_lo, exec_lo, s16
	s_delay_alu instid0(VALU_DEP_1) | instskip(SKIP_1) | instid1(VALU_DEP_2)
	v_dual_lshlrev_b32 v7, 16, v14 :: v_dual_lshlrev_b32 v10, 20, v16
	v_lshl_add_u32 v6, v6, 23, 0x3c000000
	v_and_b32_e32 v7, 0x80000000, v7
	s_delay_alu instid0(VALU_DEP_1)
	v_or3_b32 v7, v10, v7, v6
	v_mov_b32_e32 v6, v17
.LBB230_2948:                           ;   in Loop: Header=BB230_1574 Depth=1
	s_or_b32 exec_lo, exec_lo, s9
.LBB230_2949:                           ;   in Loop: Header=BB230_1574 Depth=1
	s_delay_alu instid0(SALU_CYCLE_1)
	s_or_b32 exec_lo, exec_lo, s8
.LBB230_2950:                           ;   in Loop: Header=BB230_1574 Depth=1
	s_delay_alu instid0(SALU_CYCLE_1) | instskip(SKIP_4) | instid1(VALU_DEP_3)
	s_or_b32 exec_lo, exec_lo, s3
	v_lshrrev_b32_e32 v15, 16, v14
	v_mov_b64_e32 v[10:11], 0
	v_mov_b64_e32 v[12:13], 0
	s_mov_b32 s3, exec_lo
	v_and_b32_e32 v16, 0xff, v15
	s_delay_alu instid0(VALU_DEP_1)
	v_cmpx_ne_u16_e32 0, v16
	s_cbranch_execz .LBB230_2958
; %bb.2951:                             ;   in Loop: Header=BB230_1574 Depth=1
	v_mov_b64_e32 v[12:13], 0x80000000
	s_mov_b32 s8, exec_lo
	v_cmpx_ne_u16_e32 0x80, v16
	s_cbranch_execz .LBB230_2957
; %bb.2952:                             ;   in Loop: Header=BB230_1574 Depth=1
	v_mov_b64_e32 v[12:13], 0x7f800001
	v_bfe_u32 v22, v14, 16, 7
	s_mov_b32 s9, exec_lo
	s_delay_alu instid0(VALU_DEP_1)
	v_cmpx_ne_u32_e32 0x7f, v22
	s_cbranch_execz .LBB230_2956
; %bb.2953:                             ;   in Loop: Header=BB230_1574 Depth=1
	v_dual_lshrrev_b32 v12, 3, v22 :: v_dual_bitop2_b32 v16, 7, v15 bitop3:0x40
	s_mov_b32 s16, exec_lo
	v_cmpx_gt_u32_e32 8, v22
; %bb.2954:                             ;   in Loop: Header=BB230_1574 Depth=1
	s_delay_alu instid0(VALU_DEP_2) | instskip(NEXT) | instid1(VALU_DEP_1)
	v_clz_i32_u32_e32 v12, v16
	v_min_u32_e32 v12, 32, v12
	s_delay_alu instid0(VALU_DEP_1) | instskip(NEXT) | instid1(VALU_DEP_1)
	v_subrev_nc_u32_e32 v13, 28, v12
	v_lshlrev_b64_e32 v[22:23], v13, v[16:17]
	s_delay_alu instid0(VALU_DEP_1)
	v_dual_sub_nc_u32 v12, 29, v12 :: v_dual_bitop2_b32 v16, 7, v22 bitop3:0x40
; %bb.2955:                             ;   in Loop: Header=BB230_1574 Depth=1
	s_or_b32 exec_lo, exec_lo, s16
	s_delay_alu instid0(VALU_DEP_1) | instskip(NEXT) | instid1(VALU_DEP_2)
	v_dual_lshlrev_b32 v13, 24, v15 :: v_dual_lshlrev_b32 v15, 20, v16
	v_lshl_add_u32 v12, v12, 23, 0x3c000000
	s_delay_alu instid0(VALU_DEP_2) | instskip(NEXT) | instid1(VALU_DEP_1)
	v_and_b32_e32 v13, 0x80000000, v13
	v_or3_b32 v16, v15, v13, v12
	s_delay_alu instid0(VALU_DEP_1)
	v_mov_b64_e32 v[12:13], v[16:17]
.LBB230_2956:                           ;   in Loop: Header=BB230_1574 Depth=1
	s_or_b32 exec_lo, exec_lo, s9
.LBB230_2957:                           ;   in Loop: Header=BB230_1574 Depth=1
	s_delay_alu instid0(SALU_CYCLE_1)
	s_or_b32 exec_lo, exec_lo, s8
.LBB230_2958:                           ;   in Loop: Header=BB230_1574 Depth=1
	s_delay_alu instid0(SALU_CYCLE_1) | instskip(NEXT) | instid1(SALU_CYCLE_1)
	s_or_b32 exec_lo, exec_lo, s3
	s_mov_b32 s3, exec_lo
	v_cmpx_lt_u32_e32 0xffffff, v14
	s_cbranch_execz .LBB230_2966
; %bb.2959:                             ;   in Loop: Header=BB230_1574 Depth=1
	v_mov_b64_e32 v[10:11], 0x8000000000000000
	v_lshrrev_b32_e32 v15, 24, v14
	s_mov_b32 s8, exec_lo
	s_delay_alu instid0(VALU_DEP_1)
	v_cmpx_ne_u32_e32 0x80, v15
	s_cbranch_execz .LBB230_2965
; %bb.2960:                             ;   in Loop: Header=BB230_1574 Depth=1
	v_mov_b64_e32 v[10:11], 0x7f80000100000000
	v_bfe_u32 v14, v14, 24, 7
	s_mov_b32 s9, exec_lo
	s_delay_alu instid0(VALU_DEP_1)
	v_cmpx_ne_u32_e32 0x7f, v14
	s_cbranch_execz .LBB230_2964
; %bb.2961:                             ;   in Loop: Header=BB230_1574 Depth=1
	v_dual_lshrrev_b32 v10, 3, v14 :: v_dual_bitop2_b32 v16, 7, v15 bitop3:0x40
	s_mov_b32 s16, exec_lo
	v_cmpx_gt_u32_e32 8, v14
; %bb.2962:                             ;   in Loop: Header=BB230_1574 Depth=1
	s_delay_alu instid0(VALU_DEP_2) | instskip(NEXT) | instid1(VALU_DEP_1)
	v_clz_i32_u32_e32 v10, v16
	v_min_u32_e32 v10, 32, v10
	s_delay_alu instid0(VALU_DEP_1) | instskip(SKIP_1) | instid1(VALU_DEP_2)
	v_subrev_nc_u32_e32 v11, 28, v10
	v_sub_nc_u32_e32 v10, 29, v10
	v_lshlrev_b64_e32 v[22:23], v11, v[16:17]
	s_delay_alu instid0(VALU_DEP_1)
	v_and_b32_e32 v16, 7, v22
; %bb.2963:                             ;   in Loop: Header=BB230_1574 Depth=1
	s_or_b32 exec_lo, exec_lo, s16
	s_delay_alu instid0(VALU_DEP_1) | instskip(SKIP_1) | instid1(VALU_DEP_2)
	v_dual_lshlrev_b32 v11, 24, v15 :: v_dual_lshlrev_b32 v14, 20, v16
	v_lshl_add_u32 v10, v10, 23, 0x3c000000
	v_and_b32_e32 v11, 0x80000000, v11
	s_delay_alu instid0(VALU_DEP_1)
	v_or3_b32 v11, v14, v11, v10
	v_mov_b32_e32 v10, v17
.LBB230_2964:                           ;   in Loop: Header=BB230_1574 Depth=1
	s_or_b32 exec_lo, exec_lo, s9
.LBB230_2965:                           ;   in Loop: Header=BB230_1574 Depth=1
	s_delay_alu instid0(SALU_CYCLE_1)
	s_or_b32 exec_lo, exec_lo, s8
.LBB230_2966:                           ;   in Loop: Header=BB230_1574 Depth=1
	s_delay_alu instid0(SALU_CYCLE_1) | instskip(SKIP_4) | instid1(VALU_DEP_3)
	s_or_b32 exec_lo, exec_lo, s3
	v_or_b32_e32 v7, v7, v9
	v_or_b32_e32 v6, v6, v8
	;; [unrolled: 1-line block ×4, first 2 shown]
	v_pk_mul_f32 v[74:75], v[70:71], v[6:7]
	s_delay_alu instid0(VALU_DEP_2)
	v_pk_mul_f32 v[72:73], v[70:71], v[8:9]
	s_and_saveexec_b32 s3, vcc_lo
	s_cbranch_execz .LBB230_2968
; %bb.2967:                             ;   in Loop: Header=BB230_1574 Depth=1
	scratch_load_b64 v[6:7], off, s32 offset:200 ; 8-byte Folded Reload
	s_wait_loadcnt 0x0
	v_cmp_lt_i32_e64 s0, v18, v6
	s_delay_alu instid0(VALU_DEP_1) | instskip(SKIP_1) | instid1(VALU_DEP_1)
	v_cndmask_b32_e64 v74, 0, v74, s0
	v_cmp_lt_i32_e64 s0, v19, v6
	v_cndmask_b32_e64 v75, 0, v75, s0
	v_cmp_lt_i32_e64 s0, v21, v6
	s_delay_alu instid0(VALU_DEP_1) | instskip(SKIP_1) | instid1(VALU_DEP_1)
	v_cndmask_b32_e64 v72, 0, v72, s0
	v_cmp_lt_i32_e64 s0, v20, v6
	v_cndmask_b32_e64 v73, 0, v73, s0
.LBB230_2968:                           ;   in Loop: Header=BB230_1574 Depth=1
	s_wait_xcnt 0x0
	s_or_b32 exec_lo, exec_lo, s3
	flat_load_b32 v14, v[116:117] offset:5248
	v_mov_b64_e32 v[6:7], 0
	v_mov_b64_e32 v[8:9], 0
	s_mov_b32 s3, exec_lo
	s_wait_loadcnt_dscnt 0x0
	v_and_b32_e32 v10, 0xff, v14
	s_wait_xcnt 0x0
	s_delay_alu instid0(VALU_DEP_1)
	v_cmpx_ne_u16_e32 0, v10
	s_cbranch_execz .LBB230_2976
; %bb.2969:                             ;   in Loop: Header=BB230_1574 Depth=1
	v_mov_b64_e32 v[8:9], 0x80000000
	s_mov_b32 s8, exec_lo
	v_cmpx_ne_u16_e32 0x80, v10
	s_cbranch_execz .LBB230_2975
; %bb.2970:                             ;   in Loop: Header=BB230_1574 Depth=1
	v_mov_b64_e32 v[8:9], 0x7f800001
	v_and_b32_e32 v10, 0x7f, v14
	s_mov_b32 s9, exec_lo
	s_delay_alu instid0(VALU_DEP_1)
	v_cmpx_ne_u32_e32 0x7f, v10
	s_cbranch_execz .LBB230_2974
; %bb.2971:                             ;   in Loop: Header=BB230_1574 Depth=1
	v_and_b32_e32 v16, 7, v14
	v_lshrrev_b32_e32 v8, 3, v10
	s_mov_b32 s16, exec_lo
	v_cmpx_gt_u32_e32 8, v10
; %bb.2972:                             ;   in Loop: Header=BB230_1574 Depth=1
	s_delay_alu instid0(VALU_DEP_3) | instskip(NEXT) | instid1(VALU_DEP_1)
	v_clz_i32_u32_e32 v8, v16
	v_min_u32_e32 v8, 32, v8
	s_delay_alu instid0(VALU_DEP_1) | instskip(NEXT) | instid1(VALU_DEP_1)
	v_subrev_nc_u32_e32 v9, 28, v8
	v_lshlrev_b64_e32 v[10:11], v9, v[16:17]
	s_delay_alu instid0(VALU_DEP_1)
	v_dual_sub_nc_u32 v8, 29, v8 :: v_dual_bitop2_b32 v16, 7, v10 bitop3:0x40
; %bb.2973:                             ;   in Loop: Header=BB230_1574 Depth=1
	s_or_b32 exec_lo, exec_lo, s16
	s_delay_alu instid0(VALU_DEP_1) | instskip(NEXT) | instid1(VALU_DEP_2)
	v_dual_lshlrev_b32 v9, 24, v14 :: v_dual_lshlrev_b32 v10, 20, v16
	v_lshl_add_u32 v8, v8, 23, 0x3c000000
	s_delay_alu instid0(VALU_DEP_2) | instskip(NEXT) | instid1(VALU_DEP_1)
	v_and_b32_e32 v9, 0x80000000, v9
	v_or3_b32 v16, v10, v9, v8
	s_delay_alu instid0(VALU_DEP_1)
	v_mov_b64_e32 v[8:9], v[16:17]
.LBB230_2974:                           ;   in Loop: Header=BB230_1574 Depth=1
	s_or_b32 exec_lo, exec_lo, s9
.LBB230_2975:                           ;   in Loop: Header=BB230_1574 Depth=1
	s_delay_alu instid0(SALU_CYCLE_1)
	s_or_b32 exec_lo, exec_lo, s8
.LBB230_2976:                           ;   in Loop: Header=BB230_1574 Depth=1
	s_delay_alu instid0(SALU_CYCLE_1) | instskip(SKIP_2) | instid1(VALU_DEP_1)
	s_or_b32 exec_lo, exec_lo, s3
	v_lshrrev_b16 v10, 8, v14
	s_mov_b32 s3, exec_lo
	v_cmpx_ne_u16_e32 0, v10
	s_cbranch_execz .LBB230_2984
; %bb.2977:                             ;   in Loop: Header=BB230_1574 Depth=1
	v_mov_b64_e32 v[6:7], 0x8000000000000000
	s_mov_b32 s8, exec_lo
	v_cmpx_ne_u16_e32 0x80, v10
	s_cbranch_execz .LBB230_2983
; %bb.2978:                             ;   in Loop: Header=BB230_1574 Depth=1
	v_and_b32_e32 v11, 0xffff, v10
	v_mov_b64_e32 v[6:7], 0x7f80000100000000
	s_mov_b32 s9, exec_lo
	s_delay_alu instid0(VALU_DEP_2) | instskip(NEXT) | instid1(VALU_DEP_1)
	v_and_b32_e32 v10, 0x7f, v11
	v_cmpx_ne_u32_e32 0x7f, v10
	s_cbranch_execz .LBB230_2982
; %bb.2979:                             ;   in Loop: Header=BB230_1574 Depth=1
	v_dual_lshrrev_b32 v6, 3, v10 :: v_dual_bitop2_b32 v16, 7, v11 bitop3:0x40
	s_mov_b32 s16, exec_lo
	v_cmpx_gt_u32_e32 8, v10
; %bb.2980:                             ;   in Loop: Header=BB230_1574 Depth=1
	s_delay_alu instid0(VALU_DEP_2) | instskip(NEXT) | instid1(VALU_DEP_1)
	v_clz_i32_u32_e32 v6, v16
	v_min_u32_e32 v6, 32, v6
	s_delay_alu instid0(VALU_DEP_1) | instskip(SKIP_1) | instid1(VALU_DEP_2)
	v_subrev_nc_u32_e32 v7, 28, v6
	v_sub_nc_u32_e32 v6, 29, v6
	v_lshlrev_b64_e32 v[10:11], v7, v[16:17]
	s_delay_alu instid0(VALU_DEP_1)
	v_and_b32_e32 v16, 7, v10
; %bb.2981:                             ;   in Loop: Header=BB230_1574 Depth=1
	s_or_b32 exec_lo, exec_lo, s16
	s_delay_alu instid0(VALU_DEP_1) | instskip(SKIP_1) | instid1(VALU_DEP_2)
	v_dual_lshlrev_b32 v7, 16, v14 :: v_dual_lshlrev_b32 v10, 20, v16
	v_lshl_add_u32 v6, v6, 23, 0x3c000000
	v_and_b32_e32 v7, 0x80000000, v7
	s_delay_alu instid0(VALU_DEP_1)
	v_or3_b32 v7, v10, v7, v6
	v_mov_b32_e32 v6, v17
.LBB230_2982:                           ;   in Loop: Header=BB230_1574 Depth=1
	s_or_b32 exec_lo, exec_lo, s9
.LBB230_2983:                           ;   in Loop: Header=BB230_1574 Depth=1
	s_delay_alu instid0(SALU_CYCLE_1)
	s_or_b32 exec_lo, exec_lo, s8
.LBB230_2984:                           ;   in Loop: Header=BB230_1574 Depth=1
	s_delay_alu instid0(SALU_CYCLE_1) | instskip(SKIP_4) | instid1(VALU_DEP_3)
	s_or_b32 exec_lo, exec_lo, s3
	v_lshrrev_b32_e32 v15, 16, v14
	v_mov_b64_e32 v[10:11], 0
	v_mov_b64_e32 v[12:13], 0
	s_mov_b32 s3, exec_lo
	v_and_b32_e32 v16, 0xff, v15
	s_delay_alu instid0(VALU_DEP_1)
	v_cmpx_ne_u16_e32 0, v16
	s_cbranch_execz .LBB230_2992
; %bb.2985:                             ;   in Loop: Header=BB230_1574 Depth=1
	v_mov_b64_e32 v[12:13], 0x80000000
	s_mov_b32 s8, exec_lo
	v_cmpx_ne_u16_e32 0x80, v16
	s_cbranch_execz .LBB230_2991
; %bb.2986:                             ;   in Loop: Header=BB230_1574 Depth=1
	v_mov_b64_e32 v[12:13], 0x7f800001
	v_bfe_u32 v22, v14, 16, 7
	s_mov_b32 s9, exec_lo
	s_delay_alu instid0(VALU_DEP_1)
	v_cmpx_ne_u32_e32 0x7f, v22
	s_cbranch_execz .LBB230_2990
; %bb.2987:                             ;   in Loop: Header=BB230_1574 Depth=1
	v_dual_lshrrev_b32 v12, 3, v22 :: v_dual_bitop2_b32 v16, 7, v15 bitop3:0x40
	s_mov_b32 s16, exec_lo
	v_cmpx_gt_u32_e32 8, v22
; %bb.2988:                             ;   in Loop: Header=BB230_1574 Depth=1
	s_delay_alu instid0(VALU_DEP_2) | instskip(NEXT) | instid1(VALU_DEP_1)
	v_clz_i32_u32_e32 v12, v16
	v_min_u32_e32 v12, 32, v12
	s_delay_alu instid0(VALU_DEP_1) | instskip(NEXT) | instid1(VALU_DEP_1)
	v_subrev_nc_u32_e32 v13, 28, v12
	v_lshlrev_b64_e32 v[22:23], v13, v[16:17]
	s_delay_alu instid0(VALU_DEP_1)
	v_dual_sub_nc_u32 v12, 29, v12 :: v_dual_bitop2_b32 v16, 7, v22 bitop3:0x40
; %bb.2989:                             ;   in Loop: Header=BB230_1574 Depth=1
	s_or_b32 exec_lo, exec_lo, s16
	s_delay_alu instid0(VALU_DEP_1) | instskip(NEXT) | instid1(VALU_DEP_2)
	v_dual_lshlrev_b32 v13, 24, v15 :: v_dual_lshlrev_b32 v15, 20, v16
	v_lshl_add_u32 v12, v12, 23, 0x3c000000
	s_delay_alu instid0(VALU_DEP_2) | instskip(NEXT) | instid1(VALU_DEP_1)
	v_and_b32_e32 v13, 0x80000000, v13
	v_or3_b32 v16, v15, v13, v12
	s_delay_alu instid0(VALU_DEP_1)
	v_mov_b64_e32 v[12:13], v[16:17]
.LBB230_2990:                           ;   in Loop: Header=BB230_1574 Depth=1
	s_or_b32 exec_lo, exec_lo, s9
.LBB230_2991:                           ;   in Loop: Header=BB230_1574 Depth=1
	s_delay_alu instid0(SALU_CYCLE_1)
	s_or_b32 exec_lo, exec_lo, s8
.LBB230_2992:                           ;   in Loop: Header=BB230_1574 Depth=1
	s_delay_alu instid0(SALU_CYCLE_1) | instskip(NEXT) | instid1(SALU_CYCLE_1)
	s_or_b32 exec_lo, exec_lo, s3
	s_mov_b32 s3, exec_lo
	v_cmpx_lt_u32_e32 0xffffff, v14
	s_cbranch_execz .LBB230_3000
; %bb.2993:                             ;   in Loop: Header=BB230_1574 Depth=1
	v_mov_b64_e32 v[10:11], 0x8000000000000000
	v_lshrrev_b32_e32 v15, 24, v14
	s_mov_b32 s8, exec_lo
	s_delay_alu instid0(VALU_DEP_1)
	v_cmpx_ne_u32_e32 0x80, v15
	s_cbranch_execz .LBB230_2999
; %bb.2994:                             ;   in Loop: Header=BB230_1574 Depth=1
	v_mov_b64_e32 v[10:11], 0x7f80000100000000
	v_bfe_u32 v14, v14, 24, 7
	s_mov_b32 s9, exec_lo
	s_delay_alu instid0(VALU_DEP_1)
	v_cmpx_ne_u32_e32 0x7f, v14
	s_cbranch_execz .LBB230_2998
; %bb.2995:                             ;   in Loop: Header=BB230_1574 Depth=1
	v_dual_lshrrev_b32 v10, 3, v14 :: v_dual_bitop2_b32 v16, 7, v15 bitop3:0x40
	s_mov_b32 s16, exec_lo
	v_cmpx_gt_u32_e32 8, v14
; %bb.2996:                             ;   in Loop: Header=BB230_1574 Depth=1
	s_delay_alu instid0(VALU_DEP_2) | instskip(NEXT) | instid1(VALU_DEP_1)
	v_clz_i32_u32_e32 v10, v16
	v_min_u32_e32 v10, 32, v10
	s_delay_alu instid0(VALU_DEP_1) | instskip(SKIP_1) | instid1(VALU_DEP_2)
	v_subrev_nc_u32_e32 v11, 28, v10
	v_sub_nc_u32_e32 v10, 29, v10
	v_lshlrev_b64_e32 v[22:23], v11, v[16:17]
	s_delay_alu instid0(VALU_DEP_1)
	v_and_b32_e32 v16, 7, v22
; %bb.2997:                             ;   in Loop: Header=BB230_1574 Depth=1
	s_or_b32 exec_lo, exec_lo, s16
	s_delay_alu instid0(VALU_DEP_1) | instskip(SKIP_1) | instid1(VALU_DEP_2)
	v_dual_lshlrev_b32 v11, 24, v15 :: v_dual_lshlrev_b32 v14, 20, v16
	v_lshl_add_u32 v10, v10, 23, 0x3c000000
	v_and_b32_e32 v11, 0x80000000, v11
	s_delay_alu instid0(VALU_DEP_1)
	v_or3_b32 v11, v14, v11, v10
	v_mov_b32_e32 v10, v17
.LBB230_2998:                           ;   in Loop: Header=BB230_1574 Depth=1
	s_or_b32 exec_lo, exec_lo, s9
.LBB230_2999:                           ;   in Loop: Header=BB230_1574 Depth=1
	s_delay_alu instid0(SALU_CYCLE_1)
	s_or_b32 exec_lo, exec_lo, s8
.LBB230_3000:                           ;   in Loop: Header=BB230_1574 Depth=1
	s_delay_alu instid0(SALU_CYCLE_1) | instskip(SKIP_4) | instid1(VALU_DEP_3)
	s_or_b32 exec_lo, exec_lo, s3
	v_or_b32_e32 v7, v7, v9
	v_or_b32_e32 v6, v6, v8
	;; [unrolled: 1-line block ×4, first 2 shown]
	v_pk_mul_f32 v[78:79], v[70:71], v[6:7]
	s_delay_alu instid0(VALU_DEP_2)
	v_pk_mul_f32 v[76:77], v[70:71], v[8:9]
	s_and_saveexec_b32 s3, vcc_lo
	s_cbranch_execz .LBB230_3002
; %bb.3001:                             ;   in Loop: Header=BB230_1574 Depth=1
	scratch_load_b64 v[6:7], off, s32 offset:200 ; 8-byte Folded Reload
	s_wait_loadcnt 0x0
	v_cmp_lt_i32_e64 s0, v18, v6
	s_delay_alu instid0(VALU_DEP_1) | instskip(SKIP_1) | instid1(VALU_DEP_1)
	v_cndmask_b32_e64 v78, 0, v78, s0
	v_cmp_lt_i32_e64 s0, v19, v6
	v_cndmask_b32_e64 v79, 0, v79, s0
	v_cmp_lt_i32_e64 s0, v21, v6
	s_delay_alu instid0(VALU_DEP_1) | instskip(SKIP_1) | instid1(VALU_DEP_1)
	v_cndmask_b32_e64 v76, 0, v76, s0
	v_cmp_lt_i32_e64 s0, v20, v6
	v_cndmask_b32_e64 v77, 0, v77, s0
.LBB230_3002:                           ;   in Loop: Header=BB230_1574 Depth=1
	s_wait_xcnt 0x0
	s_or_b32 exec_lo, exec_lo, s3
	flat_load_b32 v14, v[116:117] offset:5376
	v_mov_b64_e32 v[6:7], 0
	v_mov_b64_e32 v[8:9], 0
	s_mov_b32 s3, exec_lo
	s_wait_loadcnt_dscnt 0x0
	v_and_b32_e32 v10, 0xff, v14
	s_wait_xcnt 0x0
	s_delay_alu instid0(VALU_DEP_1)
	v_cmpx_ne_u16_e32 0, v10
	s_cbranch_execz .LBB230_3010
; %bb.3003:                             ;   in Loop: Header=BB230_1574 Depth=1
	v_mov_b64_e32 v[8:9], 0x80000000
	s_mov_b32 s8, exec_lo
	v_cmpx_ne_u16_e32 0x80, v10
	s_cbranch_execz .LBB230_3009
; %bb.3004:                             ;   in Loop: Header=BB230_1574 Depth=1
	v_mov_b64_e32 v[8:9], 0x7f800001
	v_and_b32_e32 v10, 0x7f, v14
	s_mov_b32 s9, exec_lo
	s_delay_alu instid0(VALU_DEP_1)
	v_cmpx_ne_u32_e32 0x7f, v10
	s_cbranch_execz .LBB230_3008
; %bb.3005:                             ;   in Loop: Header=BB230_1574 Depth=1
	v_and_b32_e32 v16, 7, v14
	v_lshrrev_b32_e32 v8, 3, v10
	s_mov_b32 s16, exec_lo
	v_cmpx_gt_u32_e32 8, v10
; %bb.3006:                             ;   in Loop: Header=BB230_1574 Depth=1
	s_delay_alu instid0(VALU_DEP_3) | instskip(NEXT) | instid1(VALU_DEP_1)
	v_clz_i32_u32_e32 v8, v16
	v_min_u32_e32 v8, 32, v8
	s_delay_alu instid0(VALU_DEP_1) | instskip(NEXT) | instid1(VALU_DEP_1)
	v_subrev_nc_u32_e32 v9, 28, v8
	v_lshlrev_b64_e32 v[10:11], v9, v[16:17]
	s_delay_alu instid0(VALU_DEP_1)
	v_dual_sub_nc_u32 v8, 29, v8 :: v_dual_bitop2_b32 v16, 7, v10 bitop3:0x40
; %bb.3007:                             ;   in Loop: Header=BB230_1574 Depth=1
	s_or_b32 exec_lo, exec_lo, s16
	s_delay_alu instid0(VALU_DEP_1) | instskip(NEXT) | instid1(VALU_DEP_2)
	v_dual_lshlrev_b32 v9, 24, v14 :: v_dual_lshlrev_b32 v10, 20, v16
	v_lshl_add_u32 v8, v8, 23, 0x3c000000
	s_delay_alu instid0(VALU_DEP_2) | instskip(NEXT) | instid1(VALU_DEP_1)
	v_and_b32_e32 v9, 0x80000000, v9
	v_or3_b32 v16, v10, v9, v8
	s_delay_alu instid0(VALU_DEP_1)
	v_mov_b64_e32 v[8:9], v[16:17]
.LBB230_3008:                           ;   in Loop: Header=BB230_1574 Depth=1
	s_or_b32 exec_lo, exec_lo, s9
.LBB230_3009:                           ;   in Loop: Header=BB230_1574 Depth=1
	s_delay_alu instid0(SALU_CYCLE_1)
	s_or_b32 exec_lo, exec_lo, s8
.LBB230_3010:                           ;   in Loop: Header=BB230_1574 Depth=1
	s_delay_alu instid0(SALU_CYCLE_1) | instskip(SKIP_2) | instid1(VALU_DEP_1)
	s_or_b32 exec_lo, exec_lo, s3
	v_lshrrev_b16 v10, 8, v14
	s_mov_b32 s3, exec_lo
	v_cmpx_ne_u16_e32 0, v10
	s_cbranch_execz .LBB230_3018
; %bb.3011:                             ;   in Loop: Header=BB230_1574 Depth=1
	v_mov_b64_e32 v[6:7], 0x8000000000000000
	s_mov_b32 s8, exec_lo
	v_cmpx_ne_u16_e32 0x80, v10
	s_cbranch_execz .LBB230_3017
; %bb.3012:                             ;   in Loop: Header=BB230_1574 Depth=1
	v_and_b32_e32 v11, 0xffff, v10
	v_mov_b64_e32 v[6:7], 0x7f80000100000000
	s_mov_b32 s9, exec_lo
	s_delay_alu instid0(VALU_DEP_2) | instskip(NEXT) | instid1(VALU_DEP_1)
	v_and_b32_e32 v10, 0x7f, v11
	v_cmpx_ne_u32_e32 0x7f, v10
	s_cbranch_execz .LBB230_3016
; %bb.3013:                             ;   in Loop: Header=BB230_1574 Depth=1
	v_dual_lshrrev_b32 v6, 3, v10 :: v_dual_bitop2_b32 v16, 7, v11 bitop3:0x40
	s_mov_b32 s16, exec_lo
	v_cmpx_gt_u32_e32 8, v10
; %bb.3014:                             ;   in Loop: Header=BB230_1574 Depth=1
	s_delay_alu instid0(VALU_DEP_2) | instskip(NEXT) | instid1(VALU_DEP_1)
	v_clz_i32_u32_e32 v6, v16
	v_min_u32_e32 v6, 32, v6
	s_delay_alu instid0(VALU_DEP_1) | instskip(SKIP_1) | instid1(VALU_DEP_2)
	v_subrev_nc_u32_e32 v7, 28, v6
	v_sub_nc_u32_e32 v6, 29, v6
	v_lshlrev_b64_e32 v[10:11], v7, v[16:17]
	s_delay_alu instid0(VALU_DEP_1)
	v_and_b32_e32 v16, 7, v10
; %bb.3015:                             ;   in Loop: Header=BB230_1574 Depth=1
	s_or_b32 exec_lo, exec_lo, s16
	s_delay_alu instid0(VALU_DEP_1) | instskip(SKIP_1) | instid1(VALU_DEP_2)
	v_dual_lshlrev_b32 v7, 16, v14 :: v_dual_lshlrev_b32 v10, 20, v16
	v_lshl_add_u32 v6, v6, 23, 0x3c000000
	v_and_b32_e32 v7, 0x80000000, v7
	s_delay_alu instid0(VALU_DEP_1)
	v_or3_b32 v7, v10, v7, v6
	v_mov_b32_e32 v6, v17
.LBB230_3016:                           ;   in Loop: Header=BB230_1574 Depth=1
	s_or_b32 exec_lo, exec_lo, s9
.LBB230_3017:                           ;   in Loop: Header=BB230_1574 Depth=1
	s_delay_alu instid0(SALU_CYCLE_1)
	s_or_b32 exec_lo, exec_lo, s8
.LBB230_3018:                           ;   in Loop: Header=BB230_1574 Depth=1
	s_delay_alu instid0(SALU_CYCLE_1) | instskip(SKIP_4) | instid1(VALU_DEP_3)
	s_or_b32 exec_lo, exec_lo, s3
	v_lshrrev_b32_e32 v15, 16, v14
	v_mov_b64_e32 v[10:11], 0
	v_mov_b64_e32 v[12:13], 0
	s_mov_b32 s3, exec_lo
	v_and_b32_e32 v16, 0xff, v15
	s_delay_alu instid0(VALU_DEP_1)
	v_cmpx_ne_u16_e32 0, v16
	s_cbranch_execz .LBB230_3026
; %bb.3019:                             ;   in Loop: Header=BB230_1574 Depth=1
	v_mov_b64_e32 v[12:13], 0x80000000
	s_mov_b32 s8, exec_lo
	v_cmpx_ne_u16_e32 0x80, v16
	s_cbranch_execz .LBB230_3025
; %bb.3020:                             ;   in Loop: Header=BB230_1574 Depth=1
	v_mov_b64_e32 v[12:13], 0x7f800001
	v_bfe_u32 v22, v14, 16, 7
	s_mov_b32 s9, exec_lo
	s_delay_alu instid0(VALU_DEP_1)
	v_cmpx_ne_u32_e32 0x7f, v22
	s_cbranch_execz .LBB230_3024
; %bb.3021:                             ;   in Loop: Header=BB230_1574 Depth=1
	v_dual_lshrrev_b32 v12, 3, v22 :: v_dual_bitop2_b32 v16, 7, v15 bitop3:0x40
	s_mov_b32 s16, exec_lo
	v_cmpx_gt_u32_e32 8, v22
; %bb.3022:                             ;   in Loop: Header=BB230_1574 Depth=1
	s_delay_alu instid0(VALU_DEP_2) | instskip(NEXT) | instid1(VALU_DEP_1)
	v_clz_i32_u32_e32 v12, v16
	v_min_u32_e32 v12, 32, v12
	s_delay_alu instid0(VALU_DEP_1) | instskip(NEXT) | instid1(VALU_DEP_1)
	v_subrev_nc_u32_e32 v13, 28, v12
	v_lshlrev_b64_e32 v[22:23], v13, v[16:17]
	s_delay_alu instid0(VALU_DEP_1)
	v_dual_sub_nc_u32 v12, 29, v12 :: v_dual_bitop2_b32 v16, 7, v22 bitop3:0x40
; %bb.3023:                             ;   in Loop: Header=BB230_1574 Depth=1
	s_or_b32 exec_lo, exec_lo, s16
	s_delay_alu instid0(VALU_DEP_1) | instskip(NEXT) | instid1(VALU_DEP_2)
	v_dual_lshlrev_b32 v13, 24, v15 :: v_dual_lshlrev_b32 v15, 20, v16
	v_lshl_add_u32 v12, v12, 23, 0x3c000000
	s_delay_alu instid0(VALU_DEP_2) | instskip(NEXT) | instid1(VALU_DEP_1)
	v_and_b32_e32 v13, 0x80000000, v13
	v_or3_b32 v16, v15, v13, v12
	s_delay_alu instid0(VALU_DEP_1)
	v_mov_b64_e32 v[12:13], v[16:17]
.LBB230_3024:                           ;   in Loop: Header=BB230_1574 Depth=1
	s_or_b32 exec_lo, exec_lo, s9
.LBB230_3025:                           ;   in Loop: Header=BB230_1574 Depth=1
	s_delay_alu instid0(SALU_CYCLE_1)
	s_or_b32 exec_lo, exec_lo, s8
.LBB230_3026:                           ;   in Loop: Header=BB230_1574 Depth=1
	s_delay_alu instid0(SALU_CYCLE_1) | instskip(NEXT) | instid1(SALU_CYCLE_1)
	s_or_b32 exec_lo, exec_lo, s3
	s_mov_b32 s3, exec_lo
	v_cmpx_lt_u32_e32 0xffffff, v14
	s_cbranch_execz .LBB230_3034
; %bb.3027:                             ;   in Loop: Header=BB230_1574 Depth=1
	v_mov_b64_e32 v[10:11], 0x8000000000000000
	v_lshrrev_b32_e32 v15, 24, v14
	s_mov_b32 s8, exec_lo
	s_delay_alu instid0(VALU_DEP_1)
	v_cmpx_ne_u32_e32 0x80, v15
	s_cbranch_execz .LBB230_3033
; %bb.3028:                             ;   in Loop: Header=BB230_1574 Depth=1
	v_mov_b64_e32 v[10:11], 0x7f80000100000000
	v_bfe_u32 v22, v14, 24, 7
	s_mov_b32 s9, exec_lo
	s_delay_alu instid0(VALU_DEP_1)
	v_cmpx_ne_u32_e32 0x7f, v22
	s_cbranch_execz .LBB230_3032
; %bb.3029:                             ;   in Loop: Header=BB230_1574 Depth=1
	v_dual_lshrrev_b32 v14, 3, v22 :: v_dual_bitop2_b32 v16, 7, v15 bitop3:0x40
	s_mov_b32 s16, exec_lo
	s_delay_alu instid0(VALU_DEP_1)
	v_mov_b64_e32 v[10:11], v[16:17]
	v_cmpx_gt_u32_e32 8, v22
; %bb.3030:                             ;   in Loop: Header=BB230_1574 Depth=1
	v_clz_i32_u32_e32 v10, v16
	s_delay_alu instid0(VALU_DEP_1) | instskip(NEXT) | instid1(VALU_DEP_1)
	v_min_u32_e32 v14, 32, v10
	v_subrev_nc_u32_e32 v10, 28, v14
	v_sub_nc_u32_e32 v14, 29, v14
	s_delay_alu instid0(VALU_DEP_2) | instskip(NEXT) | instid1(VALU_DEP_1)
	v_lshlrev_b64_e32 v[10:11], v10, v[16:17]
	v_and_b32_e32 v10, 7, v10
; %bb.3031:                             ;   in Loop: Header=BB230_1574 Depth=1
	s_or_b32 exec_lo, exec_lo, s16
	s_delay_alu instid0(VALU_DEP_1) | instskip(SKIP_1) | instid1(VALU_DEP_2)
	v_dual_lshlrev_b32 v11, 24, v15 :: v_dual_lshlrev_b32 v10, 20, v10
	v_lshl_add_u32 v14, v14, 23, 0x3c000000
	v_and_b32_e32 v11, 0x80000000, v11
	s_delay_alu instid0(VALU_DEP_1)
	v_or3_b32 v11, v10, v11, v14
	v_mov_b32_e32 v10, v17
.LBB230_3032:                           ;   in Loop: Header=BB230_1574 Depth=1
	s_or_b32 exec_lo, exec_lo, s9
.LBB230_3033:                           ;   in Loop: Header=BB230_1574 Depth=1
	s_delay_alu instid0(SALU_CYCLE_1)
	s_or_b32 exec_lo, exec_lo, s8
.LBB230_3034:                           ;   in Loop: Header=BB230_1574 Depth=1
	s_delay_alu instid0(SALU_CYCLE_1) | instskip(SKIP_4) | instid1(VALU_DEP_3)
	s_or_b32 exec_lo, exec_lo, s3
	v_or_b32_e32 v7, v7, v9
	v_or_b32_e32 v6, v6, v8
	;; [unrolled: 1-line block ×4, first 2 shown]
	v_pk_mul_f32 v[90:91], v[70:71], v[6:7]
	s_delay_alu instid0(VALU_DEP_2)
	v_pk_mul_f32 v[88:89], v[70:71], v[8:9]
	s_and_saveexec_b32 s3, vcc_lo
	s_cbranch_execz .LBB230_3036
; %bb.3035:                             ;   in Loop: Header=BB230_1574 Depth=1
	scratch_load_b64 v[6:7], off, s32 offset:200 ; 8-byte Folded Reload
	s_wait_loadcnt 0x0
	v_cmp_lt_i32_e64 s0, v18, v6
	s_delay_alu instid0(VALU_DEP_1) | instskip(SKIP_1) | instid1(VALU_DEP_1)
	v_cndmask_b32_e64 v90, 0, v90, s0
	v_cmp_lt_i32_e64 s0, v19, v6
	v_cndmask_b32_e64 v91, 0, v91, s0
	v_cmp_lt_i32_e64 s0, v21, v6
	s_delay_alu instid0(VALU_DEP_1) | instskip(SKIP_1) | instid1(VALU_DEP_1)
	v_cndmask_b32_e64 v88, 0, v88, s0
	v_cmp_lt_i32_e64 s0, v20, v6
	v_cndmask_b32_e64 v89, 0, v89, s0
.LBB230_3036:                           ;   in Loop: Header=BB230_1574 Depth=1
	s_wait_xcnt 0x0
	s_or_b32 exec_lo, exec_lo, s3
	flat_load_b32 v14, v[116:117] offset:5504
	v_mov_b64_e32 v[6:7], 0
	v_mov_b64_e32 v[8:9], 0
	s_mov_b32 s3, exec_lo
	s_wait_loadcnt_dscnt 0x0
	v_and_b32_e32 v10, 0xff, v14
	s_wait_xcnt 0x0
	s_delay_alu instid0(VALU_DEP_1)
	v_cmpx_ne_u16_e32 0, v10
	s_cbranch_execz .LBB230_3044
; %bb.3037:                             ;   in Loop: Header=BB230_1574 Depth=1
	v_mov_b64_e32 v[8:9], 0x80000000
	s_mov_b32 s8, exec_lo
	v_cmpx_ne_u16_e32 0x80, v10
	s_cbranch_execz .LBB230_3043
; %bb.3038:                             ;   in Loop: Header=BB230_1574 Depth=1
	v_mov_b64_e32 v[8:9], 0x7f800001
	v_and_b32_e32 v11, 0x7f, v14
	s_mov_b32 s9, exec_lo
	s_delay_alu instid0(VALU_DEP_1)
	v_cmpx_ne_u32_e32 0x7f, v11
	s_cbranch_execz .LBB230_3042
; %bb.3039:                             ;   in Loop: Header=BB230_1574 Depth=1
	v_dual_lshrrev_b32 v10, 3, v11 :: v_dual_bitop2_b32 v16, 7, v14 bitop3:0x40
	s_mov_b32 s16, exec_lo
	s_delay_alu instid0(VALU_DEP_1)
	v_mov_b64_e32 v[8:9], v[16:17]
	v_cmpx_gt_u32_e32 8, v11
; %bb.3040:                             ;   in Loop: Header=BB230_1574 Depth=1
	v_clz_i32_u32_e32 v8, v16
	s_delay_alu instid0(VALU_DEP_1) | instskip(NEXT) | instid1(VALU_DEP_1)
	v_min_u32_e32 v10, 32, v8
	v_subrev_nc_u32_e32 v8, 28, v10
	s_delay_alu instid0(VALU_DEP_1) | instskip(NEXT) | instid1(VALU_DEP_1)
	v_lshlrev_b64_e32 v[8:9], v8, v[16:17]
	v_dual_sub_nc_u32 v10, 29, v10 :: v_dual_bitop2_b32 v8, 7, v8 bitop3:0x40
; %bb.3041:                             ;   in Loop: Header=BB230_1574 Depth=1
	s_or_b32 exec_lo, exec_lo, s16
	s_delay_alu instid0(VALU_DEP_1) | instskip(NEXT) | instid1(VALU_DEP_2)
	v_dual_lshlrev_b32 v9, 24, v14 :: v_dual_lshlrev_b32 v8, 20, v8
	v_lshl_add_u32 v10, v10, 23, 0x3c000000
	s_delay_alu instid0(VALU_DEP_2) | instskip(NEXT) | instid1(VALU_DEP_1)
	v_and_b32_e32 v9, 0x80000000, v9
	v_or3_b32 v16, v8, v9, v10
	s_delay_alu instid0(VALU_DEP_1)
	v_mov_b64_e32 v[8:9], v[16:17]
.LBB230_3042:                           ;   in Loop: Header=BB230_1574 Depth=1
	s_or_b32 exec_lo, exec_lo, s9
.LBB230_3043:                           ;   in Loop: Header=BB230_1574 Depth=1
	s_delay_alu instid0(SALU_CYCLE_1)
	s_or_b32 exec_lo, exec_lo, s8
.LBB230_3044:                           ;   in Loop: Header=BB230_1574 Depth=1
	s_delay_alu instid0(SALU_CYCLE_1) | instskip(SKIP_2) | instid1(VALU_DEP_1)
	s_or_b32 exec_lo, exec_lo, s3
	v_lshrrev_b16 v10, 8, v14
	s_mov_b32 s3, exec_lo
	v_cmpx_ne_u16_e32 0, v10
	s_cbranch_execz .LBB230_3052
; %bb.3045:                             ;   in Loop: Header=BB230_1574 Depth=1
	v_mov_b64_e32 v[6:7], 0x8000000000000000
	s_mov_b32 s8, exec_lo
	v_cmpx_ne_u16_e32 0x80, v10
	s_cbranch_execz .LBB230_3051
; %bb.3046:                             ;   in Loop: Header=BB230_1574 Depth=1
	v_and_b32_e32 v10, 0xffff, v10
	v_mov_b64_e32 v[6:7], 0x7f80000100000000
	s_mov_b32 s9, exec_lo
	s_delay_alu instid0(VALU_DEP_2) | instskip(NEXT) | instid1(VALU_DEP_1)
	v_and_b32_e32 v11, 0x7f, v10
	v_cmpx_ne_u32_e32 0x7f, v11
	s_cbranch_execz .LBB230_3050
; %bb.3047:                             ;   in Loop: Header=BB230_1574 Depth=1
	v_dual_lshrrev_b32 v10, 3, v11 :: v_dual_bitop2_b32 v16, 7, v10 bitop3:0x40
	s_mov_b32 s16, exec_lo
	s_delay_alu instid0(VALU_DEP_1)
	v_mov_b64_e32 v[6:7], v[16:17]
	v_cmpx_gt_u32_e32 8, v11
; %bb.3048:                             ;   in Loop: Header=BB230_1574 Depth=1
	v_clz_i32_u32_e32 v6, v16
	s_delay_alu instid0(VALU_DEP_1) | instskip(NEXT) | instid1(VALU_DEP_1)
	v_min_u32_e32 v10, 32, v6
	v_subrev_nc_u32_e32 v6, 28, v10
	v_sub_nc_u32_e32 v10, 29, v10
	s_delay_alu instid0(VALU_DEP_2) | instskip(NEXT) | instid1(VALU_DEP_1)
	v_lshlrev_b64_e32 v[6:7], v6, v[16:17]
	v_and_b32_e32 v6, 7, v6
; %bb.3049:                             ;   in Loop: Header=BB230_1574 Depth=1
	s_or_b32 exec_lo, exec_lo, s16
	v_lshlrev_b32_e32 v7, 16, v14
	s_delay_alu instid0(VALU_DEP_2) | instskip(SKIP_1) | instid1(VALU_DEP_3)
	v_lshlrev_b32_e32 v6, 20, v6
	v_lshl_add_u32 v10, v10, 23, 0x3c000000
	v_and_b32_e32 v7, 0x80000000, v7
	s_delay_alu instid0(VALU_DEP_1)
	v_or3_b32 v7, v6, v7, v10
	v_mov_b32_e32 v6, v17
.LBB230_3050:                           ;   in Loop: Header=BB230_1574 Depth=1
	s_or_b32 exec_lo, exec_lo, s9
.LBB230_3051:                           ;   in Loop: Header=BB230_1574 Depth=1
	s_delay_alu instid0(SALU_CYCLE_1)
	s_or_b32 exec_lo, exec_lo, s8
.LBB230_3052:                           ;   in Loop: Header=BB230_1574 Depth=1
	s_delay_alu instid0(SALU_CYCLE_1) | instskip(SKIP_4) | instid1(VALU_DEP_3)
	s_or_b32 exec_lo, exec_lo, s3
	v_lshrrev_b32_e32 v15, 16, v14
	v_mov_b64_e32 v[10:11], 0
	v_mov_b64_e32 v[12:13], 0
	s_mov_b32 s3, exec_lo
	v_and_b32_e32 v16, 0xff, v15
	s_delay_alu instid0(VALU_DEP_1)
	v_cmpx_ne_u16_e32 0, v16
	s_cbranch_execz .LBB230_3060
; %bb.3053:                             ;   in Loop: Header=BB230_1574 Depth=1
	v_mov_b64_e32 v[12:13], 0x80000000
	s_mov_b32 s8, exec_lo
	v_cmpx_ne_u16_e32 0x80, v16
	s_cbranch_execz .LBB230_3059
; %bb.3054:                             ;   in Loop: Header=BB230_1574 Depth=1
	v_mov_b64_e32 v[12:13], 0x7f800001
	v_bfe_u32 v23, v14, 16, 7
	s_mov_b32 s9, exec_lo
	s_delay_alu instid0(VALU_DEP_1)
	v_cmpx_ne_u32_e32 0x7f, v23
	s_cbranch_execz .LBB230_3058
; %bb.3055:                             ;   in Loop: Header=BB230_1574 Depth=1
	v_and_b32_e32 v16, 7, v15
	v_lshrrev_b32_e32 v22, 3, v23
	s_mov_b32 s16, exec_lo
	s_delay_alu instid0(VALU_DEP_2)
	v_mov_b64_e32 v[12:13], v[16:17]
	v_cmpx_gt_u32_e32 8, v23
; %bb.3056:                             ;   in Loop: Header=BB230_1574 Depth=1
	v_clz_i32_u32_e32 v12, v16
	s_delay_alu instid0(VALU_DEP_1) | instskip(NEXT) | instid1(VALU_DEP_1)
	v_min_u32_e32 v22, 32, v12
	v_subrev_nc_u32_e32 v12, 28, v22
	s_delay_alu instid0(VALU_DEP_1) | instskip(NEXT) | instid1(VALU_DEP_1)
	v_lshlrev_b64_e32 v[12:13], v12, v[16:17]
	v_dual_sub_nc_u32 v22, 29, v22 :: v_dual_bitop2_b32 v12, 7, v12 bitop3:0x40
; %bb.3057:                             ;   in Loop: Header=BB230_1574 Depth=1
	s_or_b32 exec_lo, exec_lo, s16
	s_delay_alu instid0(VALU_DEP_1) | instskip(NEXT) | instid1(VALU_DEP_2)
	v_dual_lshlrev_b32 v13, 24, v15 :: v_dual_lshlrev_b32 v12, 20, v12
	v_lshl_add_u32 v15, v22, 23, 0x3c000000
	s_delay_alu instid0(VALU_DEP_2) | instskip(NEXT) | instid1(VALU_DEP_1)
	v_and_b32_e32 v13, 0x80000000, v13
	v_or3_b32 v16, v12, v13, v15
	s_delay_alu instid0(VALU_DEP_1)
	v_mov_b64_e32 v[12:13], v[16:17]
.LBB230_3058:                           ;   in Loop: Header=BB230_1574 Depth=1
	s_or_b32 exec_lo, exec_lo, s9
.LBB230_3059:                           ;   in Loop: Header=BB230_1574 Depth=1
	s_delay_alu instid0(SALU_CYCLE_1)
	s_or_b32 exec_lo, exec_lo, s8
.LBB230_3060:                           ;   in Loop: Header=BB230_1574 Depth=1
	s_delay_alu instid0(SALU_CYCLE_1) | instskip(NEXT) | instid1(SALU_CYCLE_1)
	s_or_b32 exec_lo, exec_lo, s3
	s_mov_b32 s3, exec_lo
	v_cmpx_lt_u32_e32 0xffffff, v14
	s_cbranch_execz .LBB230_3068
; %bb.3061:                             ;   in Loop: Header=BB230_1574 Depth=1
	v_mov_b64_e32 v[10:11], 0x8000000000000000
	v_lshrrev_b32_e32 v15, 24, v14
	s_mov_b32 s8, exec_lo
	s_delay_alu instid0(VALU_DEP_1)
	v_cmpx_ne_u32_e32 0x80, v15
	s_cbranch_execz .LBB230_3067
; %bb.3062:                             ;   in Loop: Header=BB230_1574 Depth=1
	v_mov_b64_e32 v[10:11], 0x7f80000100000000
	v_bfe_u32 v22, v14, 24, 7
	s_mov_b32 s9, exec_lo
	s_delay_alu instid0(VALU_DEP_1)
	v_cmpx_ne_u32_e32 0x7f, v22
	s_cbranch_execz .LBB230_3066
; %bb.3063:                             ;   in Loop: Header=BB230_1574 Depth=1
	v_dual_lshrrev_b32 v14, 3, v22 :: v_dual_bitop2_b32 v16, 7, v15 bitop3:0x40
	s_mov_b32 s16, exec_lo
	s_delay_alu instid0(VALU_DEP_1)
	v_mov_b64_e32 v[10:11], v[16:17]
	v_cmpx_gt_u32_e32 8, v22
; %bb.3064:                             ;   in Loop: Header=BB230_1574 Depth=1
	v_clz_i32_u32_e32 v10, v16
	s_delay_alu instid0(VALU_DEP_1) | instskip(NEXT) | instid1(VALU_DEP_1)
	v_min_u32_e32 v14, 32, v10
	v_subrev_nc_u32_e32 v10, 28, v14
	v_sub_nc_u32_e32 v14, 29, v14
	s_delay_alu instid0(VALU_DEP_2) | instskip(NEXT) | instid1(VALU_DEP_1)
	v_lshlrev_b64_e32 v[10:11], v10, v[16:17]
	v_and_b32_e32 v10, 7, v10
; %bb.3065:                             ;   in Loop: Header=BB230_1574 Depth=1
	s_or_b32 exec_lo, exec_lo, s16
	s_delay_alu instid0(VALU_DEP_1) | instskip(SKIP_1) | instid1(VALU_DEP_2)
	v_dual_lshlrev_b32 v11, 24, v15 :: v_dual_lshlrev_b32 v10, 20, v10
	v_lshl_add_u32 v14, v14, 23, 0x3c000000
	v_and_b32_e32 v11, 0x80000000, v11
	s_delay_alu instid0(VALU_DEP_1)
	v_or3_b32 v11, v10, v11, v14
	v_mov_b32_e32 v10, v17
.LBB230_3066:                           ;   in Loop: Header=BB230_1574 Depth=1
	s_or_b32 exec_lo, exec_lo, s9
.LBB230_3067:                           ;   in Loop: Header=BB230_1574 Depth=1
	s_delay_alu instid0(SALU_CYCLE_1)
	s_or_b32 exec_lo, exec_lo, s8
.LBB230_3068:                           ;   in Loop: Header=BB230_1574 Depth=1
	s_delay_alu instid0(SALU_CYCLE_1) | instskip(SKIP_4) | instid1(VALU_DEP_3)
	s_or_b32 exec_lo, exec_lo, s3
	v_or_b32_e32 v7, v7, v9
	v_or_b32_e32 v6, v6, v8
	;; [unrolled: 1-line block ×4, first 2 shown]
	v_pk_mul_f32 v[94:95], v[70:71], v[6:7]
	s_delay_alu instid0(VALU_DEP_2)
	v_pk_mul_f32 v[92:93], v[70:71], v[8:9]
	s_and_saveexec_b32 s3, vcc_lo
	s_cbranch_execz .LBB230_3070
; %bb.3069:                             ;   in Loop: Header=BB230_1574 Depth=1
	scratch_load_b64 v[6:7], off, s32 offset:200 ; 8-byte Folded Reload
	s_wait_loadcnt 0x0
	v_cmp_lt_i32_e64 s0, v18, v6
	s_delay_alu instid0(VALU_DEP_1) | instskip(SKIP_1) | instid1(VALU_DEP_1)
	v_cndmask_b32_e64 v94, 0, v94, s0
	v_cmp_lt_i32_e64 s0, v19, v6
	v_cndmask_b32_e64 v95, 0, v95, s0
	v_cmp_lt_i32_e64 s0, v21, v6
	s_delay_alu instid0(VALU_DEP_1) | instskip(SKIP_1) | instid1(VALU_DEP_1)
	v_cndmask_b32_e64 v92, 0, v92, s0
	v_cmp_lt_i32_e64 s0, v20, v6
	v_cndmask_b32_e64 v93, 0, v93, s0
.LBB230_3070:                           ;   in Loop: Header=BB230_1574 Depth=1
	s_wait_xcnt 0x0
	s_or_b32 exec_lo, exec_lo, s3
	flat_load_b32 v14, v[116:117] offset:5632
	v_mov_b64_e32 v[6:7], 0
	v_mov_b64_e32 v[8:9], 0
	s_mov_b32 s3, exec_lo
	s_wait_loadcnt_dscnt 0x0
	v_and_b32_e32 v10, 0xff, v14
	s_wait_xcnt 0x0
	s_delay_alu instid0(VALU_DEP_1)
	v_cmpx_ne_u16_e32 0, v10
	s_cbranch_execz .LBB230_3078
; %bb.3071:                             ;   in Loop: Header=BB230_1574 Depth=1
	v_mov_b64_e32 v[8:9], 0x80000000
	s_mov_b32 s8, exec_lo
	v_cmpx_ne_u16_e32 0x80, v10
	s_cbranch_execz .LBB230_3077
; %bb.3072:                             ;   in Loop: Header=BB230_1574 Depth=1
	v_mov_b64_e32 v[8:9], 0x7f800001
	v_and_b32_e32 v11, 0x7f, v14
	s_mov_b32 s9, exec_lo
	s_delay_alu instid0(VALU_DEP_1)
	v_cmpx_ne_u32_e32 0x7f, v11
	s_cbranch_execz .LBB230_3076
; %bb.3073:                             ;   in Loop: Header=BB230_1574 Depth=1
	v_dual_lshrrev_b32 v10, 3, v11 :: v_dual_bitop2_b32 v16, 7, v14 bitop3:0x40
	s_mov_b32 s16, exec_lo
	s_delay_alu instid0(VALU_DEP_1)
	v_mov_b64_e32 v[8:9], v[16:17]
	v_cmpx_gt_u32_e32 8, v11
; %bb.3074:                             ;   in Loop: Header=BB230_1574 Depth=1
	v_clz_i32_u32_e32 v8, v16
	s_delay_alu instid0(VALU_DEP_1) | instskip(NEXT) | instid1(VALU_DEP_1)
	v_min_u32_e32 v10, 32, v8
	v_subrev_nc_u32_e32 v8, 28, v10
	s_delay_alu instid0(VALU_DEP_1) | instskip(NEXT) | instid1(VALU_DEP_1)
	v_lshlrev_b64_e32 v[8:9], v8, v[16:17]
	v_dual_sub_nc_u32 v10, 29, v10 :: v_dual_bitop2_b32 v8, 7, v8 bitop3:0x40
; %bb.3075:                             ;   in Loop: Header=BB230_1574 Depth=1
	s_or_b32 exec_lo, exec_lo, s16
	s_delay_alu instid0(VALU_DEP_1) | instskip(NEXT) | instid1(VALU_DEP_2)
	v_dual_lshlrev_b32 v9, 24, v14 :: v_dual_lshlrev_b32 v8, 20, v8
	v_lshl_add_u32 v10, v10, 23, 0x3c000000
	s_delay_alu instid0(VALU_DEP_2) | instskip(NEXT) | instid1(VALU_DEP_1)
	v_and_b32_e32 v9, 0x80000000, v9
	v_or3_b32 v16, v8, v9, v10
	s_delay_alu instid0(VALU_DEP_1)
	v_mov_b64_e32 v[8:9], v[16:17]
.LBB230_3076:                           ;   in Loop: Header=BB230_1574 Depth=1
	s_or_b32 exec_lo, exec_lo, s9
.LBB230_3077:                           ;   in Loop: Header=BB230_1574 Depth=1
	s_delay_alu instid0(SALU_CYCLE_1)
	s_or_b32 exec_lo, exec_lo, s8
.LBB230_3078:                           ;   in Loop: Header=BB230_1574 Depth=1
	s_delay_alu instid0(SALU_CYCLE_1) | instskip(SKIP_2) | instid1(VALU_DEP_1)
	s_or_b32 exec_lo, exec_lo, s3
	v_lshrrev_b16 v10, 8, v14
	s_mov_b32 s3, exec_lo
	v_cmpx_ne_u16_e32 0, v10
	s_cbranch_execz .LBB230_3086
; %bb.3079:                             ;   in Loop: Header=BB230_1574 Depth=1
	v_mov_b64_e32 v[6:7], 0x8000000000000000
	s_mov_b32 s8, exec_lo
	v_cmpx_ne_u16_e32 0x80, v10
	s_cbranch_execz .LBB230_3085
; %bb.3080:                             ;   in Loop: Header=BB230_1574 Depth=1
	v_and_b32_e32 v10, 0xffff, v10
	v_mov_b64_e32 v[6:7], 0x7f80000100000000
	s_mov_b32 s9, exec_lo
	s_delay_alu instid0(VALU_DEP_2) | instskip(NEXT) | instid1(VALU_DEP_1)
	v_and_b32_e32 v11, 0x7f, v10
	v_cmpx_ne_u32_e32 0x7f, v11
	s_cbranch_execz .LBB230_3084
; %bb.3081:                             ;   in Loop: Header=BB230_1574 Depth=1
	v_dual_lshrrev_b32 v10, 3, v11 :: v_dual_bitop2_b32 v16, 7, v10 bitop3:0x40
	s_mov_b32 s16, exec_lo
	s_delay_alu instid0(VALU_DEP_1)
	v_mov_b64_e32 v[6:7], v[16:17]
	v_cmpx_gt_u32_e32 8, v11
; %bb.3082:                             ;   in Loop: Header=BB230_1574 Depth=1
	v_clz_i32_u32_e32 v6, v16
	s_delay_alu instid0(VALU_DEP_1) | instskip(NEXT) | instid1(VALU_DEP_1)
	v_min_u32_e32 v10, 32, v6
	v_subrev_nc_u32_e32 v6, 28, v10
	v_sub_nc_u32_e32 v10, 29, v10
	s_delay_alu instid0(VALU_DEP_2) | instskip(NEXT) | instid1(VALU_DEP_1)
	v_lshlrev_b64_e32 v[6:7], v6, v[16:17]
	v_and_b32_e32 v6, 7, v6
; %bb.3083:                             ;   in Loop: Header=BB230_1574 Depth=1
	s_or_b32 exec_lo, exec_lo, s16
	v_lshlrev_b32_e32 v7, 16, v14
	s_delay_alu instid0(VALU_DEP_2) | instskip(SKIP_1) | instid1(VALU_DEP_3)
	v_lshlrev_b32_e32 v6, 20, v6
	v_lshl_add_u32 v10, v10, 23, 0x3c000000
	v_and_b32_e32 v7, 0x80000000, v7
	s_delay_alu instid0(VALU_DEP_1)
	v_or3_b32 v7, v6, v7, v10
	v_mov_b32_e32 v6, v17
.LBB230_3084:                           ;   in Loop: Header=BB230_1574 Depth=1
	s_or_b32 exec_lo, exec_lo, s9
.LBB230_3085:                           ;   in Loop: Header=BB230_1574 Depth=1
	s_delay_alu instid0(SALU_CYCLE_1)
	s_or_b32 exec_lo, exec_lo, s8
.LBB230_3086:                           ;   in Loop: Header=BB230_1574 Depth=1
	s_delay_alu instid0(SALU_CYCLE_1) | instskip(SKIP_4) | instid1(VALU_DEP_3)
	s_or_b32 exec_lo, exec_lo, s3
	v_lshrrev_b32_e32 v15, 16, v14
	v_mov_b64_e32 v[10:11], 0
	v_mov_b64_e32 v[12:13], 0
	s_mov_b32 s3, exec_lo
	v_and_b32_e32 v16, 0xff, v15
	s_delay_alu instid0(VALU_DEP_1)
	v_cmpx_ne_u16_e32 0, v16
	s_cbranch_execz .LBB230_3094
; %bb.3087:                             ;   in Loop: Header=BB230_1574 Depth=1
	v_mov_b64_e32 v[12:13], 0x80000000
	s_mov_b32 s8, exec_lo
	v_cmpx_ne_u16_e32 0x80, v16
	s_cbranch_execz .LBB230_3093
; %bb.3088:                             ;   in Loop: Header=BB230_1574 Depth=1
	v_mov_b64_e32 v[12:13], 0x7f800001
	v_bfe_u32 v23, v14, 16, 7
	s_mov_b32 s9, exec_lo
	s_delay_alu instid0(VALU_DEP_1)
	v_cmpx_ne_u32_e32 0x7f, v23
	s_cbranch_execz .LBB230_3092
; %bb.3089:                             ;   in Loop: Header=BB230_1574 Depth=1
	v_and_b32_e32 v16, 7, v15
	v_lshrrev_b32_e32 v22, 3, v23
	s_mov_b32 s16, exec_lo
	s_delay_alu instid0(VALU_DEP_2)
	v_mov_b64_e32 v[12:13], v[16:17]
	v_cmpx_gt_u32_e32 8, v23
; %bb.3090:                             ;   in Loop: Header=BB230_1574 Depth=1
	v_clz_i32_u32_e32 v12, v16
	s_delay_alu instid0(VALU_DEP_1) | instskip(NEXT) | instid1(VALU_DEP_1)
	v_min_u32_e32 v22, 32, v12
	v_subrev_nc_u32_e32 v12, 28, v22
	s_delay_alu instid0(VALU_DEP_1) | instskip(NEXT) | instid1(VALU_DEP_1)
	v_lshlrev_b64_e32 v[12:13], v12, v[16:17]
	v_dual_sub_nc_u32 v22, 29, v22 :: v_dual_bitop2_b32 v12, 7, v12 bitop3:0x40
; %bb.3091:                             ;   in Loop: Header=BB230_1574 Depth=1
	s_or_b32 exec_lo, exec_lo, s16
	s_delay_alu instid0(VALU_DEP_1) | instskip(NEXT) | instid1(VALU_DEP_2)
	v_dual_lshlrev_b32 v13, 24, v15 :: v_dual_lshlrev_b32 v12, 20, v12
	v_lshl_add_u32 v15, v22, 23, 0x3c000000
	s_delay_alu instid0(VALU_DEP_2) | instskip(NEXT) | instid1(VALU_DEP_1)
	v_and_b32_e32 v13, 0x80000000, v13
	v_or3_b32 v16, v12, v13, v15
	s_delay_alu instid0(VALU_DEP_1)
	v_mov_b64_e32 v[12:13], v[16:17]
.LBB230_3092:                           ;   in Loop: Header=BB230_1574 Depth=1
	s_or_b32 exec_lo, exec_lo, s9
.LBB230_3093:                           ;   in Loop: Header=BB230_1574 Depth=1
	s_delay_alu instid0(SALU_CYCLE_1)
	s_or_b32 exec_lo, exec_lo, s8
.LBB230_3094:                           ;   in Loop: Header=BB230_1574 Depth=1
	s_delay_alu instid0(SALU_CYCLE_1) | instskip(NEXT) | instid1(SALU_CYCLE_1)
	s_or_b32 exec_lo, exec_lo, s3
	s_mov_b32 s3, exec_lo
	v_cmpx_lt_u32_e32 0xffffff, v14
	s_cbranch_execz .LBB230_3102
; %bb.3095:                             ;   in Loop: Header=BB230_1574 Depth=1
	v_mov_b64_e32 v[10:11], 0x8000000000000000
	v_lshrrev_b32_e32 v15, 24, v14
	s_mov_b32 s8, exec_lo
	s_delay_alu instid0(VALU_DEP_1)
	v_cmpx_ne_u32_e32 0x80, v15
	s_cbranch_execz .LBB230_3101
; %bb.3096:                             ;   in Loop: Header=BB230_1574 Depth=1
	v_mov_b64_e32 v[10:11], 0x7f80000100000000
	v_bfe_u32 v22, v14, 24, 7
	s_mov_b32 s9, exec_lo
	s_delay_alu instid0(VALU_DEP_1)
	v_cmpx_ne_u32_e32 0x7f, v22
	s_cbranch_execz .LBB230_3100
; %bb.3097:                             ;   in Loop: Header=BB230_1574 Depth=1
	v_dual_lshrrev_b32 v14, 3, v22 :: v_dual_bitop2_b32 v16, 7, v15 bitop3:0x40
	s_mov_b32 s16, exec_lo
	s_delay_alu instid0(VALU_DEP_1)
	v_mov_b64_e32 v[10:11], v[16:17]
	v_cmpx_gt_u32_e32 8, v22
; %bb.3098:                             ;   in Loop: Header=BB230_1574 Depth=1
	v_clz_i32_u32_e32 v10, v16
	s_delay_alu instid0(VALU_DEP_1) | instskip(NEXT) | instid1(VALU_DEP_1)
	v_min_u32_e32 v14, 32, v10
	v_subrev_nc_u32_e32 v10, 28, v14
	v_sub_nc_u32_e32 v14, 29, v14
	s_delay_alu instid0(VALU_DEP_2) | instskip(NEXT) | instid1(VALU_DEP_1)
	v_lshlrev_b64_e32 v[10:11], v10, v[16:17]
	v_and_b32_e32 v10, 7, v10
; %bb.3099:                             ;   in Loop: Header=BB230_1574 Depth=1
	s_or_b32 exec_lo, exec_lo, s16
	s_delay_alu instid0(VALU_DEP_1) | instskip(SKIP_1) | instid1(VALU_DEP_2)
	v_dual_lshlrev_b32 v11, 24, v15 :: v_dual_lshlrev_b32 v10, 20, v10
	v_lshl_add_u32 v14, v14, 23, 0x3c000000
	v_and_b32_e32 v11, 0x80000000, v11
	s_delay_alu instid0(VALU_DEP_1)
	v_or3_b32 v11, v10, v11, v14
	v_mov_b32_e32 v10, v17
.LBB230_3100:                           ;   in Loop: Header=BB230_1574 Depth=1
	s_or_b32 exec_lo, exec_lo, s9
.LBB230_3101:                           ;   in Loop: Header=BB230_1574 Depth=1
	s_delay_alu instid0(SALU_CYCLE_1)
	s_or_b32 exec_lo, exec_lo, s8
.LBB230_3102:                           ;   in Loop: Header=BB230_1574 Depth=1
	s_delay_alu instid0(SALU_CYCLE_1) | instskip(SKIP_4) | instid1(VALU_DEP_3)
	s_or_b32 exec_lo, exec_lo, s3
	v_or_b32_e32 v7, v7, v9
	v_or_b32_e32 v6, v6, v8
	;; [unrolled: 1-line block ×4, first 2 shown]
	v_pk_mul_f32 v[106:107], v[70:71], v[6:7]
	s_delay_alu instid0(VALU_DEP_2)
	v_pk_mul_f32 v[104:105], v[70:71], v[8:9]
	s_and_saveexec_b32 s3, vcc_lo
	s_cbranch_execz .LBB230_3104
; %bb.3103:                             ;   in Loop: Header=BB230_1574 Depth=1
	scratch_load_b64 v[6:7], off, s32 offset:200 ; 8-byte Folded Reload
	s_wait_loadcnt 0x0
	v_cmp_lt_i32_e64 s0, v18, v6
	s_delay_alu instid0(VALU_DEP_1) | instskip(SKIP_1) | instid1(VALU_DEP_1)
	v_cndmask_b32_e64 v106, 0, v106, s0
	v_cmp_lt_i32_e64 s0, v19, v6
	v_cndmask_b32_e64 v107, 0, v107, s0
	v_cmp_lt_i32_e64 s0, v21, v6
	s_delay_alu instid0(VALU_DEP_1) | instskip(SKIP_1) | instid1(VALU_DEP_1)
	v_cndmask_b32_e64 v104, 0, v104, s0
	v_cmp_lt_i32_e64 s0, v20, v6
	v_cndmask_b32_e64 v105, 0, v105, s0
.LBB230_3104:                           ;   in Loop: Header=BB230_1574 Depth=1
	s_wait_xcnt 0x0
	s_or_b32 exec_lo, exec_lo, s3
	flat_load_b32 v14, v[116:117] offset:5760
	v_mov_b64_e32 v[6:7], 0
	v_mov_b64_e32 v[8:9], 0
	s_mov_b32 s3, exec_lo
	s_wait_loadcnt_dscnt 0x0
	v_and_b32_e32 v10, 0xff, v14
	s_wait_xcnt 0x0
	s_delay_alu instid0(VALU_DEP_1)
	v_cmpx_ne_u16_e32 0, v10
	s_cbranch_execz .LBB230_3112
; %bb.3105:                             ;   in Loop: Header=BB230_1574 Depth=1
	v_mov_b64_e32 v[8:9], 0x80000000
	s_mov_b32 s8, exec_lo
	v_cmpx_ne_u16_e32 0x80, v10
	s_cbranch_execz .LBB230_3111
; %bb.3106:                             ;   in Loop: Header=BB230_1574 Depth=1
	v_mov_b64_e32 v[8:9], 0x7f800001
	v_and_b32_e32 v11, 0x7f, v14
	s_mov_b32 s9, exec_lo
	s_delay_alu instid0(VALU_DEP_1)
	v_cmpx_ne_u32_e32 0x7f, v11
	s_cbranch_execz .LBB230_3110
; %bb.3107:                             ;   in Loop: Header=BB230_1574 Depth=1
	v_dual_lshrrev_b32 v10, 3, v11 :: v_dual_bitop2_b32 v16, 7, v14 bitop3:0x40
	s_mov_b32 s16, exec_lo
	s_delay_alu instid0(VALU_DEP_1)
	v_mov_b64_e32 v[8:9], v[16:17]
	v_cmpx_gt_u32_e32 8, v11
; %bb.3108:                             ;   in Loop: Header=BB230_1574 Depth=1
	v_clz_i32_u32_e32 v8, v16
	s_delay_alu instid0(VALU_DEP_1) | instskip(NEXT) | instid1(VALU_DEP_1)
	v_min_u32_e32 v10, 32, v8
	v_subrev_nc_u32_e32 v8, 28, v10
	s_delay_alu instid0(VALU_DEP_1) | instskip(NEXT) | instid1(VALU_DEP_1)
	v_lshlrev_b64_e32 v[8:9], v8, v[16:17]
	v_dual_sub_nc_u32 v10, 29, v10 :: v_dual_bitop2_b32 v8, 7, v8 bitop3:0x40
; %bb.3109:                             ;   in Loop: Header=BB230_1574 Depth=1
	s_or_b32 exec_lo, exec_lo, s16
	s_delay_alu instid0(VALU_DEP_1) | instskip(NEXT) | instid1(VALU_DEP_2)
	v_dual_lshlrev_b32 v9, 24, v14 :: v_dual_lshlrev_b32 v8, 20, v8
	v_lshl_add_u32 v10, v10, 23, 0x3c000000
	s_delay_alu instid0(VALU_DEP_2) | instskip(NEXT) | instid1(VALU_DEP_1)
	v_and_b32_e32 v9, 0x80000000, v9
	v_or3_b32 v16, v8, v9, v10
	s_delay_alu instid0(VALU_DEP_1)
	v_mov_b64_e32 v[8:9], v[16:17]
.LBB230_3110:                           ;   in Loop: Header=BB230_1574 Depth=1
	s_or_b32 exec_lo, exec_lo, s9
.LBB230_3111:                           ;   in Loop: Header=BB230_1574 Depth=1
	s_delay_alu instid0(SALU_CYCLE_1)
	s_or_b32 exec_lo, exec_lo, s8
.LBB230_3112:                           ;   in Loop: Header=BB230_1574 Depth=1
	s_delay_alu instid0(SALU_CYCLE_1) | instskip(SKIP_2) | instid1(VALU_DEP_1)
	s_or_b32 exec_lo, exec_lo, s3
	v_lshrrev_b16 v10, 8, v14
	s_mov_b32 s3, exec_lo
	v_cmpx_ne_u16_e32 0, v10
	s_cbranch_execz .LBB230_3120
; %bb.3113:                             ;   in Loop: Header=BB230_1574 Depth=1
	v_mov_b64_e32 v[6:7], 0x8000000000000000
	s_mov_b32 s8, exec_lo
	v_cmpx_ne_u16_e32 0x80, v10
	s_cbranch_execz .LBB230_3119
; %bb.3114:                             ;   in Loop: Header=BB230_1574 Depth=1
	v_and_b32_e32 v10, 0xffff, v10
	v_mov_b64_e32 v[6:7], 0x7f80000100000000
	s_mov_b32 s9, exec_lo
	s_delay_alu instid0(VALU_DEP_2) | instskip(NEXT) | instid1(VALU_DEP_1)
	v_and_b32_e32 v11, 0x7f, v10
	v_cmpx_ne_u32_e32 0x7f, v11
	s_cbranch_execz .LBB230_3118
; %bb.3115:                             ;   in Loop: Header=BB230_1574 Depth=1
	v_dual_lshrrev_b32 v10, 3, v11 :: v_dual_bitop2_b32 v16, 7, v10 bitop3:0x40
	s_mov_b32 s16, exec_lo
	s_delay_alu instid0(VALU_DEP_1)
	v_mov_b64_e32 v[6:7], v[16:17]
	v_cmpx_gt_u32_e32 8, v11
; %bb.3116:                             ;   in Loop: Header=BB230_1574 Depth=1
	v_clz_i32_u32_e32 v6, v16
	s_delay_alu instid0(VALU_DEP_1) | instskip(NEXT) | instid1(VALU_DEP_1)
	v_min_u32_e32 v10, 32, v6
	v_subrev_nc_u32_e32 v6, 28, v10
	v_sub_nc_u32_e32 v10, 29, v10
	s_delay_alu instid0(VALU_DEP_2) | instskip(NEXT) | instid1(VALU_DEP_1)
	v_lshlrev_b64_e32 v[6:7], v6, v[16:17]
	v_and_b32_e32 v6, 7, v6
; %bb.3117:                             ;   in Loop: Header=BB230_1574 Depth=1
	s_or_b32 exec_lo, exec_lo, s16
	v_lshlrev_b32_e32 v7, 16, v14
	s_delay_alu instid0(VALU_DEP_2) | instskip(SKIP_1) | instid1(VALU_DEP_3)
	v_lshlrev_b32_e32 v6, 20, v6
	v_lshl_add_u32 v10, v10, 23, 0x3c000000
	v_and_b32_e32 v7, 0x80000000, v7
	s_delay_alu instid0(VALU_DEP_1)
	v_or3_b32 v7, v6, v7, v10
	v_mov_b32_e32 v6, v17
.LBB230_3118:                           ;   in Loop: Header=BB230_1574 Depth=1
	s_or_b32 exec_lo, exec_lo, s9
.LBB230_3119:                           ;   in Loop: Header=BB230_1574 Depth=1
	s_delay_alu instid0(SALU_CYCLE_1)
	s_or_b32 exec_lo, exec_lo, s8
.LBB230_3120:                           ;   in Loop: Header=BB230_1574 Depth=1
	s_delay_alu instid0(SALU_CYCLE_1) | instskip(SKIP_4) | instid1(VALU_DEP_3)
	s_or_b32 exec_lo, exec_lo, s3
	v_lshrrev_b32_e32 v15, 16, v14
	v_mov_b64_e32 v[10:11], 0
	v_mov_b64_e32 v[12:13], 0
	s_mov_b32 s3, exec_lo
	v_and_b32_e32 v16, 0xff, v15
	s_delay_alu instid0(VALU_DEP_1)
	v_cmpx_ne_u16_e32 0, v16
	s_cbranch_execz .LBB230_3128
; %bb.3121:                             ;   in Loop: Header=BB230_1574 Depth=1
	v_mov_b64_e32 v[12:13], 0x80000000
	s_mov_b32 s8, exec_lo
	v_cmpx_ne_u16_e32 0x80, v16
	s_cbranch_execz .LBB230_3127
; %bb.3122:                             ;   in Loop: Header=BB230_1574 Depth=1
	v_mov_b64_e32 v[12:13], 0x7f800001
	v_bfe_u32 v23, v14, 16, 7
	s_mov_b32 s9, exec_lo
	s_delay_alu instid0(VALU_DEP_1)
	v_cmpx_ne_u32_e32 0x7f, v23
	s_cbranch_execz .LBB230_3126
; %bb.3123:                             ;   in Loop: Header=BB230_1574 Depth=1
	v_and_b32_e32 v16, 7, v15
	v_lshrrev_b32_e32 v22, 3, v23
	s_mov_b32 s16, exec_lo
	s_delay_alu instid0(VALU_DEP_2)
	v_mov_b64_e32 v[12:13], v[16:17]
	v_cmpx_gt_u32_e32 8, v23
; %bb.3124:                             ;   in Loop: Header=BB230_1574 Depth=1
	v_clz_i32_u32_e32 v12, v16
	s_delay_alu instid0(VALU_DEP_1) | instskip(NEXT) | instid1(VALU_DEP_1)
	v_min_u32_e32 v22, 32, v12
	v_subrev_nc_u32_e32 v12, 28, v22
	s_delay_alu instid0(VALU_DEP_1) | instskip(NEXT) | instid1(VALU_DEP_1)
	v_lshlrev_b64_e32 v[12:13], v12, v[16:17]
	v_dual_sub_nc_u32 v22, 29, v22 :: v_dual_bitop2_b32 v12, 7, v12 bitop3:0x40
; %bb.3125:                             ;   in Loop: Header=BB230_1574 Depth=1
	s_or_b32 exec_lo, exec_lo, s16
	s_delay_alu instid0(VALU_DEP_1) | instskip(NEXT) | instid1(VALU_DEP_2)
	v_dual_lshlrev_b32 v13, 24, v15 :: v_dual_lshlrev_b32 v12, 20, v12
	v_lshl_add_u32 v15, v22, 23, 0x3c000000
	s_delay_alu instid0(VALU_DEP_2) | instskip(NEXT) | instid1(VALU_DEP_1)
	v_and_b32_e32 v13, 0x80000000, v13
	v_or3_b32 v16, v12, v13, v15
	s_delay_alu instid0(VALU_DEP_1)
	v_mov_b64_e32 v[12:13], v[16:17]
.LBB230_3126:                           ;   in Loop: Header=BB230_1574 Depth=1
	s_or_b32 exec_lo, exec_lo, s9
.LBB230_3127:                           ;   in Loop: Header=BB230_1574 Depth=1
	s_delay_alu instid0(SALU_CYCLE_1)
	s_or_b32 exec_lo, exec_lo, s8
.LBB230_3128:                           ;   in Loop: Header=BB230_1574 Depth=1
	s_delay_alu instid0(SALU_CYCLE_1) | instskip(NEXT) | instid1(SALU_CYCLE_1)
	s_or_b32 exec_lo, exec_lo, s3
	s_mov_b32 s3, exec_lo
	v_cmpx_lt_u32_e32 0xffffff, v14
	s_cbranch_execz .LBB230_3136
; %bb.3129:                             ;   in Loop: Header=BB230_1574 Depth=1
	v_mov_b64_e32 v[10:11], 0x8000000000000000
	v_lshrrev_b32_e32 v15, 24, v14
	s_mov_b32 s8, exec_lo
	s_delay_alu instid0(VALU_DEP_1)
	v_cmpx_ne_u32_e32 0x80, v15
	s_cbranch_execz .LBB230_3135
; %bb.3130:                             ;   in Loop: Header=BB230_1574 Depth=1
	v_mov_b64_e32 v[10:11], 0x7f80000100000000
	v_bfe_u32 v22, v14, 24, 7
	s_mov_b32 s9, exec_lo
	s_delay_alu instid0(VALU_DEP_1)
	v_cmpx_ne_u32_e32 0x7f, v22
	s_cbranch_execz .LBB230_3134
; %bb.3131:                             ;   in Loop: Header=BB230_1574 Depth=1
	v_dual_lshrrev_b32 v14, 3, v22 :: v_dual_bitop2_b32 v16, 7, v15 bitop3:0x40
	s_mov_b32 s16, exec_lo
	s_delay_alu instid0(VALU_DEP_1)
	v_mov_b64_e32 v[10:11], v[16:17]
	v_cmpx_gt_u32_e32 8, v22
; %bb.3132:                             ;   in Loop: Header=BB230_1574 Depth=1
	v_clz_i32_u32_e32 v10, v16
	s_delay_alu instid0(VALU_DEP_1) | instskip(NEXT) | instid1(VALU_DEP_1)
	v_min_u32_e32 v14, 32, v10
	v_subrev_nc_u32_e32 v10, 28, v14
	v_sub_nc_u32_e32 v14, 29, v14
	s_delay_alu instid0(VALU_DEP_2) | instskip(NEXT) | instid1(VALU_DEP_1)
	v_lshlrev_b64_e32 v[10:11], v10, v[16:17]
	v_and_b32_e32 v10, 7, v10
; %bb.3133:                             ;   in Loop: Header=BB230_1574 Depth=1
	s_or_b32 exec_lo, exec_lo, s16
	s_delay_alu instid0(VALU_DEP_1) | instskip(SKIP_1) | instid1(VALU_DEP_2)
	v_dual_lshlrev_b32 v11, 24, v15 :: v_dual_lshlrev_b32 v10, 20, v10
	v_lshl_add_u32 v14, v14, 23, 0x3c000000
	v_and_b32_e32 v11, 0x80000000, v11
	s_delay_alu instid0(VALU_DEP_1)
	v_or3_b32 v11, v10, v11, v14
	v_mov_b32_e32 v10, v17
.LBB230_3134:                           ;   in Loop: Header=BB230_1574 Depth=1
	s_or_b32 exec_lo, exec_lo, s9
.LBB230_3135:                           ;   in Loop: Header=BB230_1574 Depth=1
	s_delay_alu instid0(SALU_CYCLE_1)
	s_or_b32 exec_lo, exec_lo, s8
.LBB230_3136:                           ;   in Loop: Header=BB230_1574 Depth=1
	s_delay_alu instid0(SALU_CYCLE_1) | instskip(SKIP_4) | instid1(VALU_DEP_3)
	s_or_b32 exec_lo, exec_lo, s3
	v_or_b32_e32 v7, v7, v9
	v_or_b32_e32 v6, v6, v8
	;; [unrolled: 1-line block ×4, first 2 shown]
	v_pk_mul_f32 v[8:9], v[70:71], v[6:7]
	s_delay_alu instid0(VALU_DEP_2)
	v_pk_mul_f32 v[6:7], v[70:71], v[10:11]
	s_and_saveexec_b32 s3, vcc_lo
	s_cbranch_execz .LBB230_3138
; %bb.3137:                             ;   in Loop: Header=BB230_1574 Depth=1
	scratch_load_b64 v[10:11], off, s32 offset:200 ; 8-byte Folded Reload
	s_wait_loadcnt 0x0
	v_cmp_lt_i32_e64 s0, v18, v10
	s_delay_alu instid0(VALU_DEP_1) | instskip(SKIP_1) | instid1(VALU_DEP_1)
	v_cndmask_b32_e64 v8, 0, v8, s0
	v_cmp_lt_i32_e64 s0, v19, v10
	v_cndmask_b32_e64 v9, 0, v9, s0
	v_cmp_lt_i32_e64 s0, v21, v10
	s_delay_alu instid0(VALU_DEP_1) | instskip(SKIP_1) | instid1(VALU_DEP_1)
	v_cndmask_b32_e64 v6, 0, v6, s0
	v_cmp_lt_i32_e64 s0, v20, v10
	v_cndmask_b32_e64 v7, 0, v7, s0
.LBB230_3138:                           ;   in Loop: Header=BB230_1574 Depth=1
	s_wait_xcnt 0x0
	s_or_b32 exec_lo, exec_lo, s3
	flat_load_b32 v22, v[116:117] offset:5888
	v_mov_b64_e32 v[10:11], 0
	v_mov_b64_e32 v[12:13], 0
	s_mov_b32 s3, exec_lo
	s_wait_loadcnt_dscnt 0x0
	v_and_b32_e32 v14, 0xff, v22
	s_wait_xcnt 0x0
	s_delay_alu instid0(VALU_DEP_1)
	v_cmpx_ne_u16_e32 0, v14
	s_cbranch_execz .LBB230_3146
; %bb.3139:                             ;   in Loop: Header=BB230_1574 Depth=1
	v_mov_b64_e32 v[12:13], 0x80000000
	s_mov_b32 s8, exec_lo
	v_cmpx_ne_u16_e32 0x80, v14
	s_cbranch_execz .LBB230_3145
; %bb.3140:                             ;   in Loop: Header=BB230_1574 Depth=1
	v_mov_b64_e32 v[12:13], 0x7f800001
	v_and_b32_e32 v15, 0x7f, v22
	s_mov_b32 s9, exec_lo
	s_delay_alu instid0(VALU_DEP_1)
	v_cmpx_ne_u32_e32 0x7f, v15
	s_cbranch_execz .LBB230_3144
; %bb.3141:                             ;   in Loop: Header=BB230_1574 Depth=1
	v_dual_lshrrev_b32 v14, 3, v15 :: v_dual_bitop2_b32 v16, 7, v22 bitop3:0x40
	s_mov_b32 s16, exec_lo
	s_delay_alu instid0(VALU_DEP_1)
	v_mov_b64_e32 v[12:13], v[16:17]
	v_cmpx_gt_u32_e32 8, v15
; %bb.3142:                             ;   in Loop: Header=BB230_1574 Depth=1
	v_clz_i32_u32_e32 v12, v16
	s_delay_alu instid0(VALU_DEP_1) | instskip(NEXT) | instid1(VALU_DEP_1)
	v_min_u32_e32 v14, 32, v12
	v_subrev_nc_u32_e32 v12, 28, v14
	s_delay_alu instid0(VALU_DEP_1) | instskip(NEXT) | instid1(VALU_DEP_1)
	v_lshlrev_b64_e32 v[12:13], v12, v[16:17]
	v_dual_sub_nc_u32 v14, 29, v14 :: v_dual_bitop2_b32 v12, 7, v12 bitop3:0x40
; %bb.3143:                             ;   in Loop: Header=BB230_1574 Depth=1
	s_or_b32 exec_lo, exec_lo, s16
	s_delay_alu instid0(VALU_DEP_1) | instskip(NEXT) | instid1(VALU_DEP_2)
	v_dual_lshlrev_b32 v13, 24, v22 :: v_dual_lshlrev_b32 v12, 20, v12
	v_lshl_add_u32 v14, v14, 23, 0x3c000000
	s_delay_alu instid0(VALU_DEP_2) | instskip(NEXT) | instid1(VALU_DEP_1)
	v_and_b32_e32 v13, 0x80000000, v13
	v_or3_b32 v16, v12, v13, v14
	s_delay_alu instid0(VALU_DEP_1)
	v_mov_b64_e32 v[12:13], v[16:17]
.LBB230_3144:                           ;   in Loop: Header=BB230_1574 Depth=1
	s_or_b32 exec_lo, exec_lo, s9
.LBB230_3145:                           ;   in Loop: Header=BB230_1574 Depth=1
	s_delay_alu instid0(SALU_CYCLE_1)
	s_or_b32 exec_lo, exec_lo, s8
.LBB230_3146:                           ;   in Loop: Header=BB230_1574 Depth=1
	s_delay_alu instid0(SALU_CYCLE_1) | instskip(SKIP_2) | instid1(VALU_DEP_1)
	s_or_b32 exec_lo, exec_lo, s3
	v_lshrrev_b16 v14, 8, v22
	s_mov_b32 s3, exec_lo
	v_cmpx_ne_u16_e32 0, v14
	s_cbranch_execz .LBB230_3154
; %bb.3147:                             ;   in Loop: Header=BB230_1574 Depth=1
	v_mov_b64_e32 v[10:11], 0x8000000000000000
	s_mov_b32 s8, exec_lo
	v_cmpx_ne_u16_e32 0x80, v14
	s_cbranch_execz .LBB230_3153
; %bb.3148:                             ;   in Loop: Header=BB230_1574 Depth=1
	v_and_b32_e32 v14, 0xffff, v14
	v_mov_b64_e32 v[10:11], 0x7f80000100000000
	s_mov_b32 s9, exec_lo
	s_delay_alu instid0(VALU_DEP_2) | instskip(NEXT) | instid1(VALU_DEP_1)
	v_and_b32_e32 v15, 0x7f, v14
	v_cmpx_ne_u32_e32 0x7f, v15
	s_cbranch_execz .LBB230_3152
; %bb.3149:                             ;   in Loop: Header=BB230_1574 Depth=1
	v_dual_lshrrev_b32 v14, 3, v15 :: v_dual_bitop2_b32 v16, 7, v14 bitop3:0x40
	s_mov_b32 s16, exec_lo
	s_delay_alu instid0(VALU_DEP_1)
	v_mov_b64_e32 v[10:11], v[16:17]
	v_cmpx_gt_u32_e32 8, v15
; %bb.3150:                             ;   in Loop: Header=BB230_1574 Depth=1
	v_clz_i32_u32_e32 v10, v16
	s_delay_alu instid0(VALU_DEP_1) | instskip(NEXT) | instid1(VALU_DEP_1)
	v_min_u32_e32 v14, 32, v10
	v_subrev_nc_u32_e32 v10, 28, v14
	v_sub_nc_u32_e32 v14, 29, v14
	s_delay_alu instid0(VALU_DEP_2) | instskip(NEXT) | instid1(VALU_DEP_1)
	v_lshlrev_b64_e32 v[10:11], v10, v[16:17]
	v_and_b32_e32 v10, 7, v10
; %bb.3151:                             ;   in Loop: Header=BB230_1574 Depth=1
	s_or_b32 exec_lo, exec_lo, s16
	v_lshlrev_b32_e32 v11, 16, v22
	s_delay_alu instid0(VALU_DEP_2) | instskip(SKIP_1) | instid1(VALU_DEP_3)
	v_lshlrev_b32_e32 v10, 20, v10
	v_lshl_add_u32 v14, v14, 23, 0x3c000000
	v_and_b32_e32 v11, 0x80000000, v11
	s_delay_alu instid0(VALU_DEP_1)
	v_or3_b32 v11, v10, v11, v14
	v_mov_b32_e32 v10, v17
.LBB230_3152:                           ;   in Loop: Header=BB230_1574 Depth=1
	s_or_b32 exec_lo, exec_lo, s9
.LBB230_3153:                           ;   in Loop: Header=BB230_1574 Depth=1
	s_delay_alu instid0(SALU_CYCLE_1)
	s_or_b32 exec_lo, exec_lo, s8
.LBB230_3154:                           ;   in Loop: Header=BB230_1574 Depth=1
	s_delay_alu instid0(SALU_CYCLE_1) | instskip(SKIP_4) | instid1(VALU_DEP_3)
	s_or_b32 exec_lo, exec_lo, s3
	v_lshrrev_b32_e32 v23, 16, v22
	v_mov_b64_e32 v[14:15], 0
	v_mov_b64_e32 v[44:45], 0
	s_mov_b32 s3, exec_lo
	v_and_b32_e32 v16, 0xff, v23
	s_delay_alu instid0(VALU_DEP_1)
	v_cmpx_ne_u16_e32 0, v16
	s_cbranch_execz .LBB230_3162
; %bb.3155:                             ;   in Loop: Header=BB230_1574 Depth=1
	v_mov_b64_e32 v[44:45], 0x80000000
	s_mov_b32 s8, exec_lo
	v_cmpx_ne_u16_e32 0x80, v16
	s_cbranch_execz .LBB230_3161
; %bb.3156:                             ;   in Loop: Header=BB230_1574 Depth=1
	v_mov_b64_e32 v[44:45], 0x7f800001
	v_bfe_u32 v82, v22, 16, 7
	s_mov_b32 s9, exec_lo
	s_delay_alu instid0(VALU_DEP_1)
	v_cmpx_ne_u32_e32 0x7f, v82
	s_cbranch_execz .LBB230_3160
; %bb.3157:                             ;   in Loop: Header=BB230_1574 Depth=1
	v_dual_lshrrev_b32 v44, 3, v82 :: v_dual_bitop2_b32 v16, 7, v23 bitop3:0x40
	v_cmp_gt_u32_e64 s0, 8, v82
	s_delay_alu instid0(VALU_DEP_2)
	v_mov_b64_e32 v[82:83], v[16:17]
	s_and_saveexec_b32 s16, s0
; %bb.3158:                             ;   in Loop: Header=BB230_1574 Depth=1
	v_clz_i32_u32_e32 v82, v16
	s_delay_alu instid0(VALU_DEP_1) | instskip(NEXT) | instid1(VALU_DEP_1)
	v_min_u32_e32 v44, 32, v82
	v_subrev_nc_u32_e32 v82, 28, v44
	s_delay_alu instid0(VALU_DEP_1) | instskip(NEXT) | instid1(VALU_DEP_1)
	v_lshlrev_b64_e32 v[82:83], v82, v[16:17]
	v_dual_sub_nc_u32 v44, 29, v44 :: v_dual_bitop2_b32 v82, 7, v82 bitop3:0x40
; %bb.3159:                             ;   in Loop: Header=BB230_1574 Depth=1
	s_or_b32 exec_lo, exec_lo, s16
	s_delay_alu instid0(VALU_DEP_1) | instskip(NEXT) | instid1(VALU_DEP_2)
	v_dual_lshlrev_b32 v16, 24, v23 :: v_dual_lshlrev_b32 v23, 20, v82
	v_lshl_add_u32 v82, v44, 23, 0x3c000000
	s_delay_alu instid0(VALU_DEP_2) | instskip(NEXT) | instid1(VALU_DEP_1)
	v_and_b32_e32 v16, 0x80000000, v16
	v_or3_b32 v16, v23, v16, v82
	s_delay_alu instid0(VALU_DEP_1)
	v_mov_b64_e32 v[44:45], v[16:17]
.LBB230_3160:                           ;   in Loop: Header=BB230_1574 Depth=1
	s_or_b32 exec_lo, exec_lo, s9
.LBB230_3161:                           ;   in Loop: Header=BB230_1574 Depth=1
	s_delay_alu instid0(SALU_CYCLE_1)
	s_or_b32 exec_lo, exec_lo, s8
.LBB230_3162:                           ;   in Loop: Header=BB230_1574 Depth=1
	s_delay_alu instid0(SALU_CYCLE_1) | instskip(NEXT) | instid1(SALU_CYCLE_1)
	s_or_b32 exec_lo, exec_lo, s3
	s_mov_b32 s3, exec_lo
	v_cmpx_lt_u32_e32 0xffffff, v22
	s_cbranch_execz .LBB230_3170
; %bb.3163:                             ;   in Loop: Header=BB230_1574 Depth=1
	v_mov_b64_e32 v[14:15], 0x8000000000000000
	v_lshrrev_b32_e32 v23, 24, v22
	s_mov_b32 s8, exec_lo
	s_delay_alu instid0(VALU_DEP_1)
	v_cmpx_ne_u32_e32 0x80, v23
	s_cbranch_execz .LBB230_3169
; %bb.3164:                             ;   in Loop: Header=BB230_1574 Depth=1
	v_mov_b64_e32 v[14:15], 0x7f80000100000000
	v_bfe_u32 v82, v22, 24, 7
	s_mov_b32 s9, exec_lo
	s_delay_alu instid0(VALU_DEP_1)
	v_cmpx_ne_u32_e32 0x7f, v82
	s_cbranch_execz .LBB230_3168
; %bb.3165:                             ;   in Loop: Header=BB230_1574 Depth=1
	v_dual_lshrrev_b32 v22, 3, v82 :: v_dual_bitop2_b32 v16, 7, v23 bitop3:0x40
	s_mov_b32 s16, exec_lo
	s_delay_alu instid0(VALU_DEP_1)
	v_mov_b64_e32 v[14:15], v[16:17]
	v_cmpx_gt_u32_e32 8, v82
; %bb.3166:                             ;   in Loop: Header=BB230_1574 Depth=1
	v_clz_i32_u32_e32 v14, v16
	s_delay_alu instid0(VALU_DEP_1) | instskip(NEXT) | instid1(VALU_DEP_1)
	v_min_u32_e32 v22, 32, v14
	v_subrev_nc_u32_e32 v14, 28, v22
	v_sub_nc_u32_e32 v22, 29, v22
	s_delay_alu instid0(VALU_DEP_2) | instskip(NEXT) | instid1(VALU_DEP_1)
	v_lshlrev_b64_e32 v[14:15], v14, v[16:17]
	v_and_b32_e32 v14, 7, v14
; %bb.3167:                             ;   in Loop: Header=BB230_1574 Depth=1
	s_or_b32 exec_lo, exec_lo, s16
	s_delay_alu instid0(VALU_DEP_1) | instskip(SKIP_1) | instid1(VALU_DEP_2)
	v_dual_lshlrev_b32 v15, 24, v23 :: v_dual_lshlrev_b32 v14, 20, v14
	v_lshl_add_u32 v16, v22, 23, 0x3c000000
	v_and_b32_e32 v15, 0x80000000, v15
	s_delay_alu instid0(VALU_DEP_1)
	v_or3_b32 v15, v14, v15, v16
	v_mov_b32_e32 v14, v17
.LBB230_3168:                           ;   in Loop: Header=BB230_1574 Depth=1
	s_or_b32 exec_lo, exec_lo, s9
.LBB230_3169:                           ;   in Loop: Header=BB230_1574 Depth=1
	s_delay_alu instid0(SALU_CYCLE_1)
	s_or_b32 exec_lo, exec_lo, s8
.LBB230_3170:                           ;   in Loop: Header=BB230_1574 Depth=1
	s_delay_alu instid0(SALU_CYCLE_1) | instskip(SKIP_4) | instid1(VALU_DEP_3)
	s_or_b32 exec_lo, exec_lo, s3
	v_or_b32_e32 v11, v11, v13
	v_or_b32_e32 v10, v10, v12
	;; [unrolled: 1-line block ×4, first 2 shown]
	v_pk_mul_f32 v[14:15], v[70:71], v[10:11]
	s_delay_alu instid0(VALU_DEP_2)
	v_pk_mul_f32 v[12:13], v[70:71], v[12:13]
	s_and_saveexec_b32 s3, vcc_lo
	s_cbranch_execz .LBB230_3172
; %bb.3171:                             ;   in Loop: Header=BB230_1574 Depth=1
	scratch_load_b64 v[10:11], off, s32 offset:200 ; 8-byte Folded Reload
	s_wait_loadcnt 0x0
	v_cmp_lt_i32_e64 s0, v18, v10
	s_delay_alu instid0(VALU_DEP_1) | instskip(SKIP_1) | instid1(VALU_DEP_1)
	v_cndmask_b32_e64 v14, 0, v14, s0
	v_cmp_lt_i32_e64 s0, v19, v10
	v_cndmask_b32_e64 v15, 0, v15, s0
	v_cmp_lt_i32_e64 s0, v21, v10
	s_delay_alu instid0(VALU_DEP_1) | instskip(SKIP_1) | instid1(VALU_DEP_1)
	v_cndmask_b32_e64 v12, 0, v12, s0
	v_cmp_lt_i32_e64 s0, v20, v10
	v_cndmask_b32_e64 v13, 0, v13, s0
.LBB230_3172:                           ;   in Loop: Header=BB230_1574 Depth=1
	s_wait_xcnt 0x0
	s_or_b32 exec_lo, exec_lo, s3
	flat_load_b32 v20, v[116:117] offset:6016
	v_mov_b64_e32 v[10:11], 0
	s_wait_xcnt 0x0
	v_mov_b64_e32 v[116:117], 0
	s_mov_b32 s3, exec_lo
	s_wait_loadcnt_dscnt 0x0
	v_and_b32_e32 v16, 0xff, v20
	s_delay_alu instid0(VALU_DEP_1)
	v_cmpx_ne_u16_e32 0, v16
	s_cbranch_execz .LBB230_3180
; %bb.3173:                             ;   in Loop: Header=BB230_1574 Depth=1
	v_mov_b64_e32 v[116:117], 0x80000000
	s_mov_b32 s8, exec_lo
	v_cmpx_ne_u16_e32 0x80, v16
	s_cbranch_execz .LBB230_3179
; %bb.3174:                             ;   in Loop: Header=BB230_1574 Depth=1
	v_mov_b64_e32 v[116:117], 0x7f800001
	v_and_b32_e32 v22, 0x7f, v20
	s_mov_b32 s9, exec_lo
	s_delay_alu instid0(VALU_DEP_1)
	v_cmpx_ne_u32_e32 0x7f, v22
	s_cbranch_execz .LBB230_3178
; %bb.3175:                             ;   in Loop: Header=BB230_1574 Depth=1
	v_dual_lshrrev_b32 v21, 3, v22 :: v_dual_bitop2_b32 v16, 7, v20 bitop3:0x40
	s_mov_b32 s16, exec_lo
	s_delay_alu instid0(VALU_DEP_1)
	v_mov_b64_e32 v[82:83], v[16:17]
	v_cmpx_gt_u32_e32 8, v22
; %bb.3176:                             ;   in Loop: Header=BB230_1574 Depth=1
	v_clz_i32_u32_e32 v21, v16
	s_delay_alu instid0(VALU_DEP_1) | instskip(NEXT) | instid1(VALU_DEP_1)
	v_min_u32_e32 v21, 32, v21
	v_subrev_nc_u32_e32 v22, 28, v21
	s_delay_alu instid0(VALU_DEP_1) | instskip(NEXT) | instid1(VALU_DEP_1)
	v_lshlrev_b64_e32 v[22:23], v22, v[16:17]
	v_dual_sub_nc_u32 v21, 29, v21 :: v_dual_bitop2_b32 v82, 7, v22 bitop3:0x40
; %bb.3177:                             ;   in Loop: Header=BB230_1574 Depth=1
	s_or_b32 exec_lo, exec_lo, s16
	s_delay_alu instid0(VALU_DEP_1) | instskip(NEXT) | instid1(VALU_DEP_2)
	v_dual_lshlrev_b32 v16, 24, v20 :: v_dual_lshlrev_b32 v22, 20, v82
	v_lshl_add_u32 v21, v21, 23, 0x3c000000
	s_delay_alu instid0(VALU_DEP_2) | instskip(NEXT) | instid1(VALU_DEP_1)
	v_and_b32_e32 v16, 0x80000000, v16
	v_or3_b32 v16, v22, v16, v21
	s_delay_alu instid0(VALU_DEP_1)
	v_mov_b64_e32 v[116:117], v[16:17]
.LBB230_3178:                           ;   in Loop: Header=BB230_1574 Depth=1
	s_or_b32 exec_lo, exec_lo, s9
.LBB230_3179:                           ;   in Loop: Header=BB230_1574 Depth=1
	s_delay_alu instid0(SALU_CYCLE_1)
	s_or_b32 exec_lo, exec_lo, s8
.LBB230_3180:                           ;   in Loop: Header=BB230_1574 Depth=1
	s_delay_alu instid0(SALU_CYCLE_1) | instskip(SKIP_2) | instid1(VALU_DEP_1)
	s_or_b32 exec_lo, exec_lo, s3
	v_lshrrev_b16 v16, 8, v20
	s_mov_b32 s3, exec_lo
	v_cmpx_ne_u16_e32 0, v16
	s_cbranch_execz .LBB230_3188
; %bb.3181:                             ;   in Loop: Header=BB230_1574 Depth=1
	v_mov_b64_e32 v[10:11], 0x8000000000000000
	s_mov_b32 s8, exec_lo
	v_cmpx_ne_u16_e32 0x80, v16
	s_cbranch_execz .LBB230_3187
; %bb.3182:                             ;   in Loop: Header=BB230_1574 Depth=1
	v_and_b32_e32 v16, 0xffff, v16
	v_mov_b64_e32 v[10:11], 0x7f80000100000000
	s_mov_b32 s9, exec_lo
	s_delay_alu instid0(VALU_DEP_2) | instskip(NEXT) | instid1(VALU_DEP_1)
	v_and_b32_e32 v22, 0x7f, v16
	v_cmpx_ne_u32_e32 0x7f, v22
	s_cbranch_execz .LBB230_3186
; %bb.3183:                             ;   in Loop: Header=BB230_1574 Depth=1
	v_dual_lshrrev_b32 v21, 3, v22 :: v_dual_bitop2_b32 v16, 7, v16 bitop3:0x40
	s_mov_b32 s16, exec_lo
	s_delay_alu instid0(VALU_DEP_1)
	v_mov_b64_e32 v[10:11], v[16:17]
	v_cmpx_gt_u32_e32 8, v22
; %bb.3184:                             ;   in Loop: Header=BB230_1574 Depth=1
	v_clz_i32_u32_e32 v10, v16
	s_delay_alu instid0(VALU_DEP_1) | instskip(NEXT) | instid1(VALU_DEP_1)
	v_min_u32_e32 v21, 32, v10
	v_subrev_nc_u32_e32 v10, 28, v21
	s_delay_alu instid0(VALU_DEP_1) | instskip(NEXT) | instid1(VALU_DEP_1)
	v_lshlrev_b64_e32 v[10:11], v10, v[16:17]
	v_dual_sub_nc_u32 v21, 29, v21 :: v_dual_bitop2_b32 v10, 7, v10 bitop3:0x40
; %bb.3185:                             ;   in Loop: Header=BB230_1574 Depth=1
	s_or_b32 exec_lo, exec_lo, s16
	s_delay_alu instid0(VALU_DEP_1) | instskip(NEXT) | instid1(VALU_DEP_2)
	v_dual_lshlrev_b32 v11, 16, v20 :: v_dual_lshlrev_b32 v10, 20, v10
	v_lshl_add_u32 v16, v21, 23, 0x3c000000
	s_delay_alu instid0(VALU_DEP_2) | instskip(NEXT) | instid1(VALU_DEP_1)
	v_and_b32_e32 v11, 0x80000000, v11
	v_or3_b32 v11, v10, v11, v16
	v_mov_b32_e32 v10, v17
.LBB230_3186:                           ;   in Loop: Header=BB230_1574 Depth=1
	s_or_b32 exec_lo, exec_lo, s9
.LBB230_3187:                           ;   in Loop: Header=BB230_1574 Depth=1
	s_delay_alu instid0(SALU_CYCLE_1)
	s_or_b32 exec_lo, exec_lo, s8
.LBB230_3188:                           ;   in Loop: Header=BB230_1574 Depth=1
	s_delay_alu instid0(SALU_CYCLE_1) | instskip(SKIP_4) | instid1(VALU_DEP_3)
	s_or_b32 exec_lo, exec_lo, s3
	v_lshrrev_b32_e32 v21, 16, v20
	v_mov_b64_e32 v[44:45], 0
	v_mov_b64_e32 v[82:83], 0
	s_mov_b32 s3, exec_lo
	v_and_b32_e32 v16, 0xff, v21
	s_delay_alu instid0(VALU_DEP_1)
	v_cmpx_ne_u16_e32 0, v16
	s_cbranch_execz .LBB230_3196
; %bb.3189:                             ;   in Loop: Header=BB230_1574 Depth=1
	v_mov_b64_e32 v[82:83], 0x80000000
	s_mov_b32 s8, exec_lo
	v_cmpx_ne_u16_e32 0x80, v16
	s_cbranch_execz .LBB230_3195
; %bb.3190:                             ;   in Loop: Header=BB230_1574 Depth=1
	v_mov_b64_e32 v[82:83], 0x7f800001
	v_bfe_u32 v23, v20, 16, 7
	s_mov_b32 s9, exec_lo
	s_delay_alu instid0(VALU_DEP_1)
	v_cmpx_ne_u32_e32 0x7f, v23
	s_cbranch_execz .LBB230_3194
; %bb.3191:                             ;   in Loop: Header=BB230_1574 Depth=1
	v_dual_lshrrev_b32 v22, 3, v23 :: v_dual_bitop2_b32 v16, 7, v21 bitop3:0x40
	s_mov_b32 s16, exec_lo
	s_delay_alu instid0(VALU_DEP_1)
	v_mov_b64_e32 v[82:83], v[16:17]
	v_cmpx_gt_u32_e32 8, v23
; %bb.3192:                             ;   in Loop: Header=BB230_1574 Depth=1
	v_clz_i32_u32_e32 v22, v16
	s_delay_alu instid0(VALU_DEP_1) | instskip(NEXT) | instid1(VALU_DEP_1)
	v_min_u32_e32 v22, 32, v22
	v_subrev_nc_u32_e32 v23, 28, v22
	v_sub_nc_u32_e32 v22, 29, v22
	s_delay_alu instid0(VALU_DEP_2) | instskip(NEXT) | instid1(VALU_DEP_1)
	v_lshlrev_b64_e32 v[82:83], v23, v[16:17]
	v_and_b32_e32 v82, 7, v82
; %bb.3193:                             ;   in Loop: Header=BB230_1574 Depth=1
	s_or_b32 exec_lo, exec_lo, s16
	s_delay_alu instid0(VALU_DEP_1) | instskip(SKIP_1) | instid1(VALU_DEP_2)
	v_dual_lshlrev_b32 v16, 24, v21 :: v_dual_lshlrev_b32 v21, 20, v82
	v_lshl_add_u32 v22, v22, 23, 0x3c000000
	v_and_b32_e32 v16, 0x80000000, v16
	s_delay_alu instid0(VALU_DEP_1) | instskip(NEXT) | instid1(VALU_DEP_1)
	v_or3_b32 v16, v21, v16, v22
	v_mov_b64_e32 v[82:83], v[16:17]
.LBB230_3194:                           ;   in Loop: Header=BB230_1574 Depth=1
	s_or_b32 exec_lo, exec_lo, s9
.LBB230_3195:                           ;   in Loop: Header=BB230_1574 Depth=1
	s_delay_alu instid0(SALU_CYCLE_1)
	s_or_b32 exec_lo, exec_lo, s8
.LBB230_3196:                           ;   in Loop: Header=BB230_1574 Depth=1
	s_delay_alu instid0(SALU_CYCLE_1) | instskip(NEXT) | instid1(SALU_CYCLE_1)
	s_or_b32 exec_lo, exec_lo, s3
	s_mov_b32 s3, exec_lo
	v_cmpx_lt_u32_e32 0xffffff, v20
	s_cbranch_execz .LBB230_3204
; %bb.3197:                             ;   in Loop: Header=BB230_1574 Depth=1
	v_mov_b64_e32 v[44:45], 0x8000000000000000
	v_lshrrev_b32_e32 v21, 24, v20
	s_mov_b32 s8, exec_lo
	s_delay_alu instid0(VALU_DEP_1)
	v_cmpx_ne_u32_e32 0x80, v21
	s_cbranch_execz .LBB230_3203
; %bb.3198:                             ;   in Loop: Header=BB230_1574 Depth=1
	v_mov_b64_e32 v[44:45], 0x7f80000100000000
	v_bfe_u32 v22, v20, 24, 7
	s_mov_b32 s9, exec_lo
	s_delay_alu instid0(VALU_DEP_1)
	v_cmpx_ne_u32_e32 0x7f, v22
	s_cbranch_execz .LBB230_3202
; %bb.3199:                             ;   in Loop: Header=BB230_1574 Depth=1
	v_dual_lshrrev_b32 v20, 3, v22 :: v_dual_bitop2_b32 v16, 7, v21 bitop3:0x40
	s_mov_b32 s16, exec_lo
	s_delay_alu instid0(VALU_DEP_1)
	v_mov_b64_e32 v[44:45], v[16:17]
	v_cmpx_gt_u32_e32 8, v22
; %bb.3200:                             ;   in Loop: Header=BB230_1574 Depth=1
	v_clz_i32_u32_e32 v20, v16
	s_delay_alu instid0(VALU_DEP_1) | instskip(NEXT) | instid1(VALU_DEP_1)
	v_min_u32_e32 v20, 32, v20
	v_subrev_nc_u32_e32 v22, 28, v20
	s_delay_alu instid0(VALU_DEP_1) | instskip(NEXT) | instid1(VALU_DEP_1)
	v_lshlrev_b64_e32 v[22:23], v22, v[16:17]
	v_dual_sub_nc_u32 v20, 29, v20 :: v_dual_bitop2_b32 v44, 7, v22 bitop3:0x40
; %bb.3201:                             ;   in Loop: Header=BB230_1574 Depth=1
	s_or_b32 exec_lo, exec_lo, s16
	s_delay_alu instid0(VALU_DEP_1) | instskip(NEXT) | instid1(VALU_DEP_2)
	v_dual_lshlrev_b32 v16, 24, v21 :: v_dual_lshlrev_b32 v21, 20, v44
	v_lshl_add_u32 v20, v20, 23, 0x3c000000
	v_mov_b32_e32 v44, v17
	s_delay_alu instid0(VALU_DEP_3) | instskip(NEXT) | instid1(VALU_DEP_1)
	v_and_b32_e32 v16, 0x80000000, v16
	v_or3_b32 v45, v21, v16, v20
.LBB230_3202:                           ;   in Loop: Header=BB230_1574 Depth=1
	s_or_b32 exec_lo, exec_lo, s9
.LBB230_3203:                           ;   in Loop: Header=BB230_1574 Depth=1
	s_delay_alu instid0(SALU_CYCLE_1)
	s_or_b32 exec_lo, exec_lo, s8
.LBB230_3204:                           ;   in Loop: Header=BB230_1574 Depth=1
	s_delay_alu instid0(SALU_CYCLE_1) | instskip(SKIP_4) | instid1(VALU_DEP_3)
	s_or_b32 exec_lo, exec_lo, s3
	v_or_b32_e32 v11, v11, v117
	v_or_b32_e32 v10, v10, v116
	;; [unrolled: 1-line block ×4, first 2 shown]
	v_pk_mul_f32 v[10:11], v[70:71], v[10:11]
	s_delay_alu instid0(VALU_DEP_2)
	v_pk_mul_f32 v[116:117], v[70:71], v[20:21]
	s_and_saveexec_b32 s3, vcc_lo
	s_cbranch_execz .LBB230_1573
; %bb.3205:                             ;   in Loop: Header=BB230_1574 Depth=1
	s_clause 0x1
	scratch_load_b64 v[20:21], off, s32 offset:200
	scratch_load_b64 v[22:23], off, s32 offset:772
	v_or_b32_e32 v16, 3, v18
	s_wait_loadcnt 0x1
	v_cmp_lt_i32_e32 vcc_lo, v18, v20
	s_wait_loadcnt 0x0
	v_mov_b32_e32 v21, v23
	s_delay_alu instid0(VALU_DEP_1) | instskip(NEXT) | instid1(VALU_DEP_1)
	v_cmp_lt_i32_e64 s0, v19, v21
	v_dual_cndmask_b32 v11, 0, v11, s0 :: v_dual_bitop2_b32 v19, 2, v18 bitop3:0x54
	v_cmp_lt_i32_e64 s0, v16, v21
	v_cndmask_b32_e32 v10, 0, v10, vcc_lo
	s_delay_alu instid0(VALU_DEP_3) | instskip(NEXT) | instid1(VALU_DEP_3)
	v_cmp_lt_i32_e32 vcc_lo, v19, v20
	v_dual_cndmask_b32 v117, 0, v117, s0 :: v_dual_cndmask_b32 v116, 0, v116, vcc_lo
	s_branch .LBB230_1573
.LBB230_3206:
	s_or_b32 exec_lo, exec_lo, s2
	s_clause 0x7
	scratch_load_b32 v71, off, s32 offset:804
	scratch_load_b64 v[80:81], off, s32 offset:660
	scratch_load_b64 v[116:117], off, s32 offset:668
	;; [unrolled: 1-line block ×7, first 2 shown]
	v_mov_b64_e32 v[0:1], s[10:11]
.LBB230_3207:
	s_wait_xcnt 0x0
	s_or_b32 exec_lo, exec_lo, s1
	s_wait_loadcnt 0x0
	v_mov_b64_e32 v[74:75], v[96:97]
	ds_bpermute_b32 v22, v71, v30
	ds_bpermute_b32 v23, v71, v31
	s_wait_storecnt_dscnt 0x0
	s_barrier_signal -1
	s_barrier_wait -1
	ds_bpermute_b32 v96, v71, v74
	ds_bpermute_b32 v97, v71, v75
	scratch_load_b64 v[42:43], off, s32 offset:652 th:TH_LOAD_LU ; 8-byte Folded Reload
	v_mov_b64_e32 v[102:103], v[12:13]
	v_mov_b64_e32 v[56:57], v[114:115]
	ds_bpermute_b32 v12, v71, v48
	ds_bpermute_b32 v13, v71, v49
	;; [unrolled: 1-line block ×4, first 2 shown]
	v_mov_b64_e32 v[72:73], v[98:99]
	v_mov_b64_e32 v[60:61], v[102:103]
	ds_bpermute_b32 v114, v71, v56
	ds_bpermute_b32 v115, v71, v57
	v_mov_b64_e32 v[62:63], v[100:101]
	v_mov_b64_e32 v[58:59], v[112:113]
	v_pk_add_f32 v[22:23], v[30:31], v[22:23]
	v_mov_b64_e32 v[46:47], v[116:117]
	ds_bpermute_b32 v102, v71, v60
	ds_bpermute_b32 v103, v71, v61
	v_lshl_add_u64 v[0:1], v[0:1], 2, s[6:7]
	ds_bpermute_b32 v2, v71, v66
	s_wait_dscnt 0x9
	v_pk_add_f32 v[30:31], v[74:75], v[96:97]
	scratch_load_b32 v75, off, s32 offset:796 th:TH_LOAD_LU ; 4-byte Folded Reload
	ds_bpermute_b32 v3, v71, v67
	global_load_b32 v70, v[0:1], off
	s_wait_xcnt 0x0
	ds_bpermute_b32 v0, v71, v68
	s_wait_dscnt 0x9
	v_pk_add_f32 v[12:13], v[48:49], v[12:13]
	ds_bpermute_b32 v1, v71, v69
	s_wait_dscnt 0x8
	v_pk_add_f32 v[16:17], v[36:37], v[16:17]
	ds_bpermute_b32 v4, v71, v64
	ds_bpermute_b32 v5, v71, v65
	;; [unrolled: 1-line block ×3, first 2 shown]
	s_wait_dscnt 0x9
	v_pk_add_f32 v[48:49], v[56:57], v[114:115]
	ds_bpermute_b32 v7, v71, v55
	ds_bpermute_b32 v8, v71, v52
	;; [unrolled: 1-line block ×5, first 2 shown]
	s_wait_dscnt 0xc
	v_pk_add_f32 v[36:37], v[60:61], v[102:103]
	ds_bpermute_b32 v14, v71, v38
	ds_bpermute_b32 v15, v71, v39
	;; [unrolled: 1-line block ×22, first 2 shown]
	v_mov_b64_e32 v[44:45], v[80:81]
	scratch_load_b32 v80, off, s32 offset:2328 th:TH_LOAD_LU ; 4-byte Folded Reload
	s_wait_dscnt 0x1e
	v_pk_add_f32 v[0:1], v[68:69], v[0:1]
	v_pk_add_f32 v[2:3], v[66:67], v[2:3]
	s_wait_dscnt 0x1c
	v_pk_add_f32 v[4:5], v[64:65], v[4:5]
	s_wait_dscnt 0x1a
	;; [unrolled: 2-line block ×14, first 2 shown]
	v_pk_add_f32 v[50:51], v[46:47], v[116:117]
	s_mov_b32 s1, exec_lo
	s_wait_dscnt 0x0
	v_pk_add_f32 v[52:53], v[44:45], v[118:119]
	scratch_load_b32 v81, off, s32 offset:2320 ; 4-byte Folded Reload
	s_wait_loadcnt 0x3
	ds_bpermute_b32 v96, v75, v12
	ds_bpermute_b32 v97, v75, v13
	;; [unrolled: 1-line block ×21, first 2 shown]
	s_wait_dscnt 0x13
	v_pk_add_f32 v[12:13], v[12:13], v[96:97]
	ds_bpermute_b32 v103, v75, v19
	s_wait_dscnt 0x12
	v_pk_add_f32 v[96:97], v[36:37], v[56:57]
	scratch_load_b32 v36, off, s32 offset:788 th:TH_LOAD_LU ; 4-byte Folded Reload
	ds_bpermute_b32 v40, v71, v42
	ds_bpermute_b32 v41, v71, v43
	scratch_load_b32 v71, off, s32 offset:780 th:TH_LOAD_LU ; 4-byte Folded Reload
	ds_bpermute_b32 v112, v75, v20
	ds_bpermute_b32 v113, v75, v21
	;; [unrolled: 1-line block ×18, first 2 shown]
	s_wait_dscnt 0x12
	v_pk_add_f32 v[54:55], v[42:43], v[40:41]
	ds_bpermute_b32 v40, v75, v24
	ds_bpermute_b32 v41, v75, v25
	;; [unrolled: 1-line block ×8, first 2 shown]
	v_pk_add_f32 v[0:1], v[0:1], v[64:65]
	v_pk_add_f32 v[2:3], v[2:3], v[66:67]
	;; [unrolled: 1-line block ×9, first 2 shown]
	s_wait_dscnt 0x18
	v_pk_add_f32 v[20:21], v[20:21], v[112:113]
	s_wait_dscnt 0x16
	v_pk_add_f32 v[22:23], v[22:23], v[114:115]
	;; [unrolled: 2-line block ×5, first 2 shown]
	v_pk_add_f32 v[84:85], v[32:33], v[44:45]
	s_wait_dscnt 0x4
	v_pk_add_f32 v[82:83], v[30:31], v[42:43]
	v_pk_add_f32 v[86:87], v[34:35], v[46:47]
	v_pk_add_f32 v[98:99], v[38:39], v[58:59]
	v_pk_add_f32 v[100:101], v[48:49], v[60:61]
	v_pk_add_f32 v[102:103], v[50:51], v[62:63]
	s_wait_dscnt 0x2
	v_pk_add_f32 v[112:113], v[52:53], v[72:73]
	s_wait_dscnt 0x0
	v_pk_add_f32 v[114:115], v[54:55], v[74:75]
	s_wait_loadcnt 0x3
	v_mul_u32_u24_e32 v80, 0x300, v80
	s_wait_loadcnt 0x2
	v_and_b32_e32 v81, 0x3c0, v81
	s_wait_loadcnt 0x1
	ds_bpermute_b32 v24, v36, v0
	ds_bpermute_b32 v25, v36, v1
	;; [unrolled: 1-line block ×3, first 2 shown]
	s_wait_loadcnt 0x0
	v_cmp_eq_u32_e32 vcc_lo, 0, v71
	scratch_load_b32 v71, off, s32 offset:2324 th:TH_LOAD_LU ; 4-byte Folded Reload
	ds_bpermute_b32 v27, v36, v3
	ds_bpermute_b32 v28, v36, v4
	;; [unrolled: 1-line block ×45, first 2 shown]
	s_wait_dscnt 0x2e
	v_pk_add_f32 v[54:55], v[0:1], v[24:25]
	s_wait_dscnt 0x2c
	v_pk_add_f32 v[52:53], v[2:3], v[26:27]
	;; [unrolled: 2-line block ×24, first 2 shown]
	s_wait_loadcnt 0x0
	v_lshrrev_b32_e32 v71, 3, v71
	s_delay_alu instid0(VALU_DEP_1)
	v_lshl_add_u32 v65, v71, 2, v70
	v_cmpx_eq_u32_e32 64, v81
	s_cbranch_execz .LBB230_3210
; %bb.3208:
	s_and_b32 exec_lo, exec_lo, vcc_lo
	s_cbranch_execz .LBB230_3210
; %bb.3209:
	v_add_nc_u32_e32 v64, v65, v80
	s_delay_alu instid0(VALU_DEP_1)
	v_add_nc_u32_e32 v66, 0xfffffa00, v64
	v_add_nc_u32_e32 v67, 0xfffffa10, v64
	v_add_nc_u32_e32 v68, 0xfffffa20, v64
	v_add_nc_u32_e32 v69, 0xfffffa30, v64
	v_add_nc_u32_e32 v81, 0xfffffa40, v64
	v_add_nc_u32_e32 v82, 0xfffffa50, v64
	v_add_nc_u32_e32 v83, 0xfffffa60, v64
	v_add_nc_u32_e32 v84, 0xfffffa70, v64
	ds_store_b32 v66, v54
	ds_store_b32 v67, v55
	ds_store_b32 v68, v52
	ds_store_b32 v69, v53
	ds_store_b32 v81, v50
	ds_store_b32 v82, v51
	ds_store_b32 v83, v48
	ds_store_b32 v84, v49
	v_add_nc_u32_e32 v66, 0xfffffa80, v64
	v_add_nc_u32_e32 v67, 0xfffffa90, v64
	v_add_nc_u32_e32 v68, 0xfffffaa0, v64
	v_add_nc_u32_e32 v69, 0xfffffab0, v64
	v_add_nc_u32_e32 v81, 0xfffffac0, v64
	v_add_nc_u32_e32 v82, 0xfffffad0, v64
	v_add_nc_u32_e32 v83, 0xfffffae0, v64
	v_add_nc_u32_e32 v84, 0xfffffaf0, v64
	ds_store_b32 v66, v38
	ds_store_b32 v67, v39
	ds_store_b32 v68, v36
	ds_store_b32 v69, v37
	ds_store_b32 v81, v34
	ds_store_b32 v82, v35
	ds_store_b32 v83, v32
	ds_store_b32 v84, v33
	;; [unrolled: 16-line block ×6, first 2 shown]
.LBB230_3210:
	s_or_b32 exec_lo, exec_lo, s1
	scratch_load_b32 v66, off, s32 offset:2320 ; 4-byte Folded Reload
	v_lshlrev_b32_e32 v64, 2, v71
	s_mov_b32 s1, exec_lo
	s_wait_loadcnt_dscnt 0x0
	s_barrier_signal -1
	s_barrier_wait -1
	v_add3_u32 v64, v70, v80, v64
	v_cmpx_gt_u32_e32 64, v66
	s_cbranch_execz .LBB230_3261
; %bb.3211:
	s_and_saveexec_b32 s0, vcc_lo
	s_cbranch_execnz .LBB230_3318
; %bb.3212:
	s_or_b32 exec_lo, exec_lo, s0
	s_and_saveexec_b32 s0, vcc_lo
	s_cbranch_execnz .LBB230_3319
.LBB230_3213:
	s_or_b32 exec_lo, exec_lo, s0
	s_and_saveexec_b32 s0, vcc_lo
	s_cbranch_execnz .LBB230_3320
.LBB230_3214:
	s_or_b32 exec_lo, exec_lo, s0
	s_and_saveexec_b32 s0, vcc_lo
	s_cbranch_execnz .LBB230_3321
.LBB230_3215:
	s_or_b32 exec_lo, exec_lo, s0
	s_and_saveexec_b32 s0, vcc_lo
	s_cbranch_execnz .LBB230_3322
.LBB230_3216:
	s_or_b32 exec_lo, exec_lo, s0
	s_and_saveexec_b32 s0, vcc_lo
	s_cbranch_execnz .LBB230_3323
.LBB230_3217:
	s_or_b32 exec_lo, exec_lo, s0
	s_and_saveexec_b32 s0, vcc_lo
	s_cbranch_execnz .LBB230_3324
.LBB230_3218:
	s_or_b32 exec_lo, exec_lo, s0
	s_and_saveexec_b32 s0, vcc_lo
	s_cbranch_execnz .LBB230_3325
.LBB230_3219:
	s_or_b32 exec_lo, exec_lo, s0
	s_and_saveexec_b32 s0, vcc_lo
	s_cbranch_execnz .LBB230_3326
.LBB230_3220:
	s_or_b32 exec_lo, exec_lo, s0
	s_and_saveexec_b32 s0, vcc_lo
	s_cbranch_execnz .LBB230_3327
.LBB230_3221:
	s_or_b32 exec_lo, exec_lo, s0
	s_and_saveexec_b32 s0, vcc_lo
	s_cbranch_execnz .LBB230_3328
.LBB230_3222:
	s_or_b32 exec_lo, exec_lo, s0
	s_and_saveexec_b32 s0, vcc_lo
	s_cbranch_execnz .LBB230_3329
.LBB230_3223:
	s_or_b32 exec_lo, exec_lo, s0
	s_and_saveexec_b32 s0, vcc_lo
	s_cbranch_execnz .LBB230_3330
.LBB230_3224:
	s_or_b32 exec_lo, exec_lo, s0
	s_and_saveexec_b32 s0, vcc_lo
	s_cbranch_execnz .LBB230_3331
.LBB230_3225:
	s_or_b32 exec_lo, exec_lo, s0
	s_and_saveexec_b32 s0, vcc_lo
	s_cbranch_execnz .LBB230_3332
.LBB230_3226:
	s_or_b32 exec_lo, exec_lo, s0
	s_and_saveexec_b32 s0, vcc_lo
	s_cbranch_execnz .LBB230_3333
.LBB230_3227:
	s_or_b32 exec_lo, exec_lo, s0
	s_and_saveexec_b32 s0, vcc_lo
	s_cbranch_execnz .LBB230_3334
.LBB230_3228:
	s_or_b32 exec_lo, exec_lo, s0
	s_and_saveexec_b32 s0, vcc_lo
	s_cbranch_execnz .LBB230_3335
.LBB230_3229:
	s_or_b32 exec_lo, exec_lo, s0
	s_and_saveexec_b32 s0, vcc_lo
	s_cbranch_execnz .LBB230_3336
.LBB230_3230:
	s_or_b32 exec_lo, exec_lo, s0
	s_and_saveexec_b32 s0, vcc_lo
	s_cbranch_execnz .LBB230_3337
.LBB230_3231:
	s_or_b32 exec_lo, exec_lo, s0
	s_and_saveexec_b32 s0, vcc_lo
	s_cbranch_execnz .LBB230_3338
.LBB230_3232:
	s_or_b32 exec_lo, exec_lo, s0
	s_and_saveexec_b32 s0, vcc_lo
	s_cbranch_execnz .LBB230_3339
.LBB230_3233:
	s_or_b32 exec_lo, exec_lo, s0
	s_and_saveexec_b32 s0, vcc_lo
	s_cbranch_execnz .LBB230_3340
.LBB230_3234:
	s_or_b32 exec_lo, exec_lo, s0
	s_and_saveexec_b32 s0, vcc_lo
	s_cbranch_execnz .LBB230_3341
.LBB230_3235:
	s_or_b32 exec_lo, exec_lo, s0
	s_and_saveexec_b32 s0, vcc_lo
	s_cbranch_execnz .LBB230_3342
.LBB230_3236:
	s_or_b32 exec_lo, exec_lo, s0
	s_and_saveexec_b32 s0, vcc_lo
	s_cbranch_execnz .LBB230_3343
.LBB230_3237:
	s_or_b32 exec_lo, exec_lo, s0
	s_and_saveexec_b32 s0, vcc_lo
	s_cbranch_execnz .LBB230_3344
.LBB230_3238:
	s_or_b32 exec_lo, exec_lo, s0
	s_and_saveexec_b32 s0, vcc_lo
	s_cbranch_execnz .LBB230_3345
.LBB230_3239:
	s_or_b32 exec_lo, exec_lo, s0
	s_and_saveexec_b32 s0, vcc_lo
	s_cbranch_execnz .LBB230_3346
.LBB230_3240:
	s_or_b32 exec_lo, exec_lo, s0
	s_and_saveexec_b32 s0, vcc_lo
	s_cbranch_execnz .LBB230_3347
.LBB230_3241:
	s_or_b32 exec_lo, exec_lo, s0
	s_and_saveexec_b32 s0, vcc_lo
	s_cbranch_execnz .LBB230_3348
.LBB230_3242:
	s_or_b32 exec_lo, exec_lo, s0
	s_and_saveexec_b32 s0, vcc_lo
	s_cbranch_execnz .LBB230_3349
.LBB230_3243:
	s_or_b32 exec_lo, exec_lo, s0
	s_and_saveexec_b32 s0, vcc_lo
	s_cbranch_execnz .LBB230_3350
.LBB230_3244:
	s_or_b32 exec_lo, exec_lo, s0
	s_and_saveexec_b32 s0, vcc_lo
	s_cbranch_execnz .LBB230_3351
.LBB230_3245:
	s_or_b32 exec_lo, exec_lo, s0
	s_and_saveexec_b32 s0, vcc_lo
	s_cbranch_execnz .LBB230_3352
.LBB230_3246:
	s_or_b32 exec_lo, exec_lo, s0
	s_and_saveexec_b32 s0, vcc_lo
	s_cbranch_execnz .LBB230_3353
.LBB230_3247:
	s_or_b32 exec_lo, exec_lo, s0
	s_and_saveexec_b32 s0, vcc_lo
	s_cbranch_execnz .LBB230_3354
.LBB230_3248:
	s_or_b32 exec_lo, exec_lo, s0
	s_and_saveexec_b32 s0, vcc_lo
	s_cbranch_execnz .LBB230_3355
.LBB230_3249:
	s_or_b32 exec_lo, exec_lo, s0
	s_and_saveexec_b32 s0, vcc_lo
	s_cbranch_execnz .LBB230_3356
.LBB230_3250:
	s_or_b32 exec_lo, exec_lo, s0
	s_and_saveexec_b32 s0, vcc_lo
	s_cbranch_execnz .LBB230_3357
.LBB230_3251:
	s_or_b32 exec_lo, exec_lo, s0
	s_and_saveexec_b32 s0, vcc_lo
	s_cbranch_execnz .LBB230_3358
.LBB230_3252:
	s_or_b32 exec_lo, exec_lo, s0
	s_and_saveexec_b32 s0, vcc_lo
	s_cbranch_execnz .LBB230_3359
.LBB230_3253:
	s_or_b32 exec_lo, exec_lo, s0
	s_and_saveexec_b32 s0, vcc_lo
	s_cbranch_execnz .LBB230_3360
.LBB230_3254:
	s_or_b32 exec_lo, exec_lo, s0
	s_and_saveexec_b32 s0, vcc_lo
	s_cbranch_execnz .LBB230_3361
.LBB230_3255:
	s_or_b32 exec_lo, exec_lo, s0
	s_and_saveexec_b32 s0, vcc_lo
	s_cbranch_execnz .LBB230_3362
.LBB230_3256:
	s_or_b32 exec_lo, exec_lo, s0
	s_and_saveexec_b32 s0, vcc_lo
	s_cbranch_execnz .LBB230_3363
.LBB230_3257:
	s_or_b32 exec_lo, exec_lo, s0
	s_and_saveexec_b32 s0, vcc_lo
	s_cbranch_execnz .LBB230_3364
.LBB230_3258:
	s_or_b32 exec_lo, exec_lo, s0
	s_and_saveexec_b32 s0, vcc_lo
	s_cbranch_execz .LBB230_3260
.LBB230_3259:
	ds_load_b32 v66, v64 offset:752
	s_wait_dscnt 0x0
	v_add_f32_e32 v1, v66, v1
.LBB230_3260:
	s_or_b32 exec_lo, exec_lo, s0
.LBB230_3261:
	s_delay_alu instid0(SALU_CYCLE_1)
	s_or_b32 exec_lo, exec_lo, s1
	scratch_load_b32 v66, off, s32 offset:2320 ; 4-byte Folded Reload
	s_mov_b32 s1, exec_lo
	s_wait_loadcnt 0x0
	s_barrier_signal -1
	s_barrier_wait -1
	v_and_b32_e32 v66, 0x3e7, v66
	s_wait_xcnt 0x0
	s_delay_alu instid0(VALU_DEP_1)
	v_cmpx_eq_u32_e32 32, v66
	s_cbranch_execz .LBB230_3263
; %bb.3262:
	ds_store_2addr_b32 v65, v54, v55 offset1:4
	ds_store_2addr_b32 v65, v52, v53 offset0:8 offset1:12
	ds_store_2addr_b32 v65, v50, v51 offset0:16 offset1:20
	;; [unrolled: 1-line block ×23, first 2 shown]
.LBB230_3263:
	s_or_b32 exec_lo, exec_lo, s1
	scratch_load_b32 v65, off, s32 offset:2320 ; 4-byte Folded Reload
	s_wait_loadcnt_dscnt 0x0
	s_barrier_signal -1
	s_barrier_wait -1
	v_cmp_gt_u32_e64 s0, 32, v65
	s_and_saveexec_b32 s1, s0
	s_cbranch_execz .LBB230_3314
; %bb.3264:
	s_and_saveexec_b32 s2, vcc_lo
	s_cbranch_execnz .LBB230_3365
; %bb.3265:
	s_or_b32 exec_lo, exec_lo, s2
	s_and_saveexec_b32 s2, vcc_lo
	s_cbranch_execnz .LBB230_3366
.LBB230_3266:
	s_or_b32 exec_lo, exec_lo, s2
	s_and_saveexec_b32 s2, vcc_lo
	s_cbranch_execnz .LBB230_3367
.LBB230_3267:
	s_or_b32 exec_lo, exec_lo, s2
	s_and_saveexec_b32 s2, vcc_lo
	s_cbranch_execnz .LBB230_3368
.LBB230_3268:
	s_or_b32 exec_lo, exec_lo, s2
	s_and_saveexec_b32 s2, vcc_lo
	s_cbranch_execnz .LBB230_3369
.LBB230_3269:
	s_or_b32 exec_lo, exec_lo, s2
	s_and_saveexec_b32 s2, vcc_lo
	s_cbranch_execnz .LBB230_3370
.LBB230_3270:
	s_or_b32 exec_lo, exec_lo, s2
	s_and_saveexec_b32 s2, vcc_lo
	s_cbranch_execnz .LBB230_3371
.LBB230_3271:
	s_or_b32 exec_lo, exec_lo, s2
	s_and_saveexec_b32 s2, vcc_lo
	s_cbranch_execnz .LBB230_3372
.LBB230_3272:
	s_or_b32 exec_lo, exec_lo, s2
	s_and_saveexec_b32 s2, vcc_lo
	s_cbranch_execnz .LBB230_3373
.LBB230_3273:
	s_or_b32 exec_lo, exec_lo, s2
	s_and_saveexec_b32 s2, vcc_lo
	s_cbranch_execnz .LBB230_3374
.LBB230_3274:
	s_or_b32 exec_lo, exec_lo, s2
	s_and_saveexec_b32 s2, vcc_lo
	s_cbranch_execnz .LBB230_3375
.LBB230_3275:
	s_or_b32 exec_lo, exec_lo, s2
	s_and_saveexec_b32 s2, vcc_lo
	s_cbranch_execnz .LBB230_3376
.LBB230_3276:
	s_or_b32 exec_lo, exec_lo, s2
	s_and_saveexec_b32 s2, vcc_lo
	s_cbranch_execnz .LBB230_3377
.LBB230_3277:
	s_or_b32 exec_lo, exec_lo, s2
	s_and_saveexec_b32 s2, vcc_lo
	s_cbranch_execnz .LBB230_3378
.LBB230_3278:
	s_or_b32 exec_lo, exec_lo, s2
	s_and_saveexec_b32 s2, vcc_lo
	s_cbranch_execnz .LBB230_3379
.LBB230_3279:
	s_or_b32 exec_lo, exec_lo, s2
	s_and_saveexec_b32 s2, vcc_lo
	s_cbranch_execnz .LBB230_3380
.LBB230_3280:
	s_or_b32 exec_lo, exec_lo, s2
	s_and_saveexec_b32 s2, vcc_lo
	s_cbranch_execnz .LBB230_3381
.LBB230_3281:
	s_or_b32 exec_lo, exec_lo, s2
	s_and_saveexec_b32 s2, vcc_lo
	s_cbranch_execnz .LBB230_3382
.LBB230_3282:
	s_or_b32 exec_lo, exec_lo, s2
	s_and_saveexec_b32 s2, vcc_lo
	s_cbranch_execnz .LBB230_3383
.LBB230_3283:
	s_or_b32 exec_lo, exec_lo, s2
	s_and_saveexec_b32 s2, vcc_lo
	s_cbranch_execnz .LBB230_3384
.LBB230_3284:
	s_or_b32 exec_lo, exec_lo, s2
	s_and_saveexec_b32 s2, vcc_lo
	s_cbranch_execnz .LBB230_3385
.LBB230_3285:
	s_or_b32 exec_lo, exec_lo, s2
	s_and_saveexec_b32 s2, vcc_lo
	s_cbranch_execnz .LBB230_3386
.LBB230_3286:
	s_or_b32 exec_lo, exec_lo, s2
	s_and_saveexec_b32 s2, vcc_lo
	s_cbranch_execnz .LBB230_3387
.LBB230_3287:
	s_or_b32 exec_lo, exec_lo, s2
	s_and_saveexec_b32 s2, vcc_lo
	s_cbranch_execnz .LBB230_3388
.LBB230_3288:
	s_or_b32 exec_lo, exec_lo, s2
	s_and_saveexec_b32 s2, vcc_lo
	s_cbranch_execnz .LBB230_3389
.LBB230_3289:
	s_or_b32 exec_lo, exec_lo, s2
	s_and_saveexec_b32 s2, vcc_lo
	s_cbranch_execnz .LBB230_3390
.LBB230_3290:
	s_or_b32 exec_lo, exec_lo, s2
	s_and_saveexec_b32 s2, vcc_lo
	s_cbranch_execnz .LBB230_3391
.LBB230_3291:
	s_or_b32 exec_lo, exec_lo, s2
	s_and_saveexec_b32 s2, vcc_lo
	s_cbranch_execnz .LBB230_3392
.LBB230_3292:
	s_or_b32 exec_lo, exec_lo, s2
	s_and_saveexec_b32 s2, vcc_lo
	s_cbranch_execnz .LBB230_3393
.LBB230_3293:
	s_or_b32 exec_lo, exec_lo, s2
	s_and_saveexec_b32 s2, vcc_lo
	s_cbranch_execnz .LBB230_3394
.LBB230_3294:
	s_or_b32 exec_lo, exec_lo, s2
	s_and_saveexec_b32 s2, vcc_lo
	s_cbranch_execnz .LBB230_3395
.LBB230_3295:
	s_or_b32 exec_lo, exec_lo, s2
	s_and_saveexec_b32 s2, vcc_lo
	s_cbranch_execnz .LBB230_3396
.LBB230_3296:
	s_or_b32 exec_lo, exec_lo, s2
	s_and_saveexec_b32 s2, vcc_lo
	s_cbranch_execnz .LBB230_3397
.LBB230_3297:
	s_or_b32 exec_lo, exec_lo, s2
	s_and_saveexec_b32 s2, vcc_lo
	s_cbranch_execnz .LBB230_3398
.LBB230_3298:
	s_or_b32 exec_lo, exec_lo, s2
	s_and_saveexec_b32 s2, vcc_lo
	s_cbranch_execnz .LBB230_3399
.LBB230_3299:
	s_or_b32 exec_lo, exec_lo, s2
	s_and_saveexec_b32 s2, vcc_lo
	s_cbranch_execnz .LBB230_3400
.LBB230_3300:
	s_or_b32 exec_lo, exec_lo, s2
	s_and_saveexec_b32 s2, vcc_lo
	s_cbranch_execnz .LBB230_3401
.LBB230_3301:
	s_or_b32 exec_lo, exec_lo, s2
	s_and_saveexec_b32 s2, vcc_lo
	s_cbranch_execnz .LBB230_3402
.LBB230_3302:
	s_or_b32 exec_lo, exec_lo, s2
	s_and_saveexec_b32 s2, vcc_lo
	s_cbranch_execnz .LBB230_3403
.LBB230_3303:
	s_or_b32 exec_lo, exec_lo, s2
	s_and_saveexec_b32 s2, vcc_lo
	s_cbranch_execnz .LBB230_3404
.LBB230_3304:
	s_or_b32 exec_lo, exec_lo, s2
	s_and_saveexec_b32 s2, vcc_lo
	s_cbranch_execnz .LBB230_3405
.LBB230_3305:
	s_or_b32 exec_lo, exec_lo, s2
	s_and_saveexec_b32 s2, vcc_lo
	s_cbranch_execnz .LBB230_3406
.LBB230_3306:
	s_or_b32 exec_lo, exec_lo, s2
	s_and_saveexec_b32 s2, vcc_lo
	s_cbranch_execnz .LBB230_3407
.LBB230_3307:
	s_or_b32 exec_lo, exec_lo, s2
	s_and_saveexec_b32 s2, vcc_lo
	s_cbranch_execnz .LBB230_3408
.LBB230_3308:
	s_or_b32 exec_lo, exec_lo, s2
	s_and_saveexec_b32 s2, vcc_lo
	s_cbranch_execnz .LBB230_3409
.LBB230_3309:
	s_or_b32 exec_lo, exec_lo, s2
	s_and_saveexec_b32 s2, vcc_lo
	s_cbranch_execnz .LBB230_3410
.LBB230_3310:
	s_or_b32 exec_lo, exec_lo, s2
	s_and_saveexec_b32 s2, vcc_lo
	s_cbranch_execnz .LBB230_3411
.LBB230_3311:
	s_or_b32 exec_lo, exec_lo, s2
	s_and_saveexec_b32 s2, vcc_lo
	s_cbranch_execz .LBB230_3313
.LBB230_3312:
	ds_load_b32 v64, v64 offset:752
	s_wait_dscnt 0x0
	v_add_f32_e32 v1, v64, v1
.LBB230_3313:
	s_or_b32 exec_lo, exec_lo, s2
.LBB230_3314:
	s_delay_alu instid0(SALU_CYCLE_1)
	s_or_b32 exec_lo, exec_lo, s1
	s_barrier_signal -1
	s_barrier_wait -1
	s_and_saveexec_b32 s1, s0
	s_cbranch_execz .LBB230_3317
; %bb.3315:
	s_and_b32 exec_lo, exec_lo, vcc_lo
	s_cbranch_execz .LBB230_3317
; %bb.3316:
	s_clause 0x1
	scratch_load_b64 v[64:65], off, s32 offset:2376 th:TH_LOAD_LU
	scratch_load_b32 v66, off, s32 offset:2320 th:TH_LOAD_LU
	s_and_b32 s0, 0xffff, s15
	s_mov_b32 s3, 0
	s_cmp_lg_u32 s0, 0
	v_mov_b32_e32 v67, 0
	s_cselect_b32 s0, -1, 0
	s_delay_alu instid0(SALU_CYCLE_1)
	s_cmp_lg_u32 s0, 0
	s_wait_kmcnt 0x0
	s_add_co_ci_u32 s0, s5, 0
	s_bfe_u32 s8, ttmp6, 0x40014
	s_mul_i32 s5, s0, s13
	s_lshr_b32 s2, ttmp7, 16
	s_mul_i32 s5, s5, s14
	s_add_co_i32 s8, s8, 1
	s_mul_i32 s6, s5, 0xc0
	s_bfe_u32 s9, ttmp6, 0x40008
	s_ashr_i32 s7, s6, 31
	s_mul_i32 s4, s4, s0
	s_mul_i32 s0, s2, s8
	s_ashr_i32 s5, s4, 31
	s_add_co_i32 s9, s9, s0
	s_cmp_eq_u32 s12, 0
	s_cselect_b32 s0, s2, s9
	s_delay_alu instid0(SALU_CYCLE_1) | instskip(SKIP_4) | instid1(VALU_DEP_2)
	s_mul_i32 s2, s0, 0x300
	s_wait_loadcnt 0x1
	v_lshl_add_u64 v[64:65], s[6:7], 2, v[64:65]
	s_wait_loadcnt 0x0
	v_lshrrev_b32_e32 v66, 1, v66
	v_lshl_add_u64 v[64:65], s[4:5], 2, v[64:65]
	s_delay_alu instid0(VALU_DEP_2) | instskip(NEXT) | instid1(VALU_DEP_2)
	v_and_b32_e32 v66, 0x1fc, v66
	v_add_nc_u64_e32 v[64:65], s[2:3], v[64:65]
	s_delay_alu instid0(VALU_DEP_1)
	v_add_nc_u64_e32 v[64:65], v[64:65], v[66:67]
	s_clause 0x2f
	flat_store_b32 v[64:65], v54
	flat_store_b32 v[64:65], v55 offset:16
	flat_store_b32 v[64:65], v52 offset:32
	;; [unrolled: 1-line block ×47, first 2 shown]
.LBB230_3317:
	s_wait_xcnt 0x0
	s_or_b32 exec_lo, exec_lo, s1
	s_clause 0x2f
	scratch_load_b32 v127, off, s32
	scratch_load_b32 v126, off, s32 offset:4
	scratch_load_b32 v125, off, s32 offset:8
	;; [unrolled: 1-line block ×47, first 2 shown]
	s_wait_loadcnt_dscnt 0x0
	s_wait_kmcnt 0x0
	s_set_pc_i64 s[30:31]
.LBB230_3318:
	ds_load_b32 v66, v64
	s_wait_dscnt 0x0
	v_add_f32_e32 v54, v66, v54
	s_or_b32 exec_lo, exec_lo, s0
	s_and_saveexec_b32 s0, vcc_lo
	s_cbranch_execz .LBB230_3213
.LBB230_3319:
	ds_load_b32 v66, v64 offset:16
	s_wait_dscnt 0x0
	v_add_f32_e32 v55, v66, v55
	s_or_b32 exec_lo, exec_lo, s0
	s_and_saveexec_b32 s0, vcc_lo
	s_cbranch_execz .LBB230_3214
.LBB230_3320:
	ds_load_b32 v66, v64 offset:32
	s_wait_dscnt 0x0
	v_add_f32_e32 v52, v66, v52
	s_or_b32 exec_lo, exec_lo, s0
	s_and_saveexec_b32 s0, vcc_lo
	s_cbranch_execz .LBB230_3215
.LBB230_3321:
	ds_load_b32 v66, v64 offset:48
	s_wait_dscnt 0x0
	v_add_f32_e32 v53, v66, v53
	s_or_b32 exec_lo, exec_lo, s0
	s_and_saveexec_b32 s0, vcc_lo
	s_cbranch_execz .LBB230_3216
.LBB230_3322:
	ds_load_b32 v66, v64 offset:64
	s_wait_dscnt 0x0
	v_add_f32_e32 v50, v66, v50
	s_or_b32 exec_lo, exec_lo, s0
	s_and_saveexec_b32 s0, vcc_lo
	s_cbranch_execz .LBB230_3217
.LBB230_3323:
	ds_load_b32 v66, v64 offset:80
	s_wait_dscnt 0x0
	v_add_f32_e32 v51, v66, v51
	s_or_b32 exec_lo, exec_lo, s0
	s_and_saveexec_b32 s0, vcc_lo
	s_cbranch_execz .LBB230_3218
.LBB230_3324:
	ds_load_b32 v66, v64 offset:96
	s_wait_dscnt 0x0
	v_add_f32_e32 v48, v66, v48
	s_or_b32 exec_lo, exec_lo, s0
	s_and_saveexec_b32 s0, vcc_lo
	s_cbranch_execz .LBB230_3219
.LBB230_3325:
	ds_load_b32 v66, v64 offset:112
	s_wait_dscnt 0x0
	v_add_f32_e32 v49, v66, v49
	s_or_b32 exec_lo, exec_lo, s0
	s_and_saveexec_b32 s0, vcc_lo
	s_cbranch_execz .LBB230_3220
.LBB230_3326:
	ds_load_b32 v66, v64 offset:128
	s_wait_dscnt 0x0
	v_add_f32_e32 v38, v66, v38
	s_or_b32 exec_lo, exec_lo, s0
	s_and_saveexec_b32 s0, vcc_lo
	s_cbranch_execz .LBB230_3221
.LBB230_3327:
	ds_load_b32 v66, v64 offset:144
	s_wait_dscnt 0x0
	v_add_f32_e32 v39, v66, v39
	s_or_b32 exec_lo, exec_lo, s0
	s_and_saveexec_b32 s0, vcc_lo
	s_cbranch_execz .LBB230_3222
.LBB230_3328:
	ds_load_b32 v66, v64 offset:160
	s_wait_dscnt 0x0
	v_add_f32_e32 v36, v66, v36
	s_or_b32 exec_lo, exec_lo, s0
	s_and_saveexec_b32 s0, vcc_lo
	s_cbranch_execz .LBB230_3223
.LBB230_3329:
	ds_load_b32 v66, v64 offset:176
	s_wait_dscnt 0x0
	v_add_f32_e32 v37, v66, v37
	s_or_b32 exec_lo, exec_lo, s0
	s_and_saveexec_b32 s0, vcc_lo
	s_cbranch_execz .LBB230_3224
.LBB230_3330:
	ds_load_b32 v66, v64 offset:192
	s_wait_dscnt 0x0
	v_add_f32_e32 v34, v66, v34
	s_or_b32 exec_lo, exec_lo, s0
	s_and_saveexec_b32 s0, vcc_lo
	s_cbranch_execz .LBB230_3225
.LBB230_3331:
	ds_load_b32 v66, v64 offset:208
	s_wait_dscnt 0x0
	v_add_f32_e32 v35, v66, v35
	s_or_b32 exec_lo, exec_lo, s0
	s_and_saveexec_b32 s0, vcc_lo
	s_cbranch_execz .LBB230_3226
.LBB230_3332:
	ds_load_b32 v66, v64 offset:224
	s_wait_dscnt 0x0
	v_add_f32_e32 v32, v66, v32
	s_or_b32 exec_lo, exec_lo, s0
	s_and_saveexec_b32 s0, vcc_lo
	s_cbranch_execz .LBB230_3227
.LBB230_3333:
	ds_load_b32 v66, v64 offset:240
	s_wait_dscnt 0x0
	v_add_f32_e32 v33, v66, v33
	s_or_b32 exec_lo, exec_lo, s0
	s_and_saveexec_b32 s0, vcc_lo
	s_cbranch_execz .LBB230_3228
.LBB230_3334:
	ds_load_b32 v66, v64 offset:256
	s_wait_dscnt 0x0
	v_add_f32_e32 v30, v66, v30
	s_or_b32 exec_lo, exec_lo, s0
	s_and_saveexec_b32 s0, vcc_lo
	s_cbranch_execz .LBB230_3229
.LBB230_3335:
	ds_load_b32 v66, v64 offset:272
	s_wait_dscnt 0x0
	v_add_f32_e32 v31, v66, v31
	s_or_b32 exec_lo, exec_lo, s0
	s_and_saveexec_b32 s0, vcc_lo
	s_cbranch_execz .LBB230_3230
.LBB230_3336:
	ds_load_b32 v66, v64 offset:288
	s_wait_dscnt 0x0
	v_add_f32_e32 v28, v66, v28
	s_or_b32 exec_lo, exec_lo, s0
	s_and_saveexec_b32 s0, vcc_lo
	s_cbranch_execz .LBB230_3231
.LBB230_3337:
	ds_load_b32 v66, v64 offset:304
	s_wait_dscnt 0x0
	v_add_f32_e32 v29, v66, v29
	s_or_b32 exec_lo, exec_lo, s0
	s_and_saveexec_b32 s0, vcc_lo
	s_cbranch_execz .LBB230_3232
.LBB230_3338:
	ds_load_b32 v66, v64 offset:320
	s_wait_dscnt 0x0
	v_add_f32_e32 v26, v66, v26
	s_or_b32 exec_lo, exec_lo, s0
	s_and_saveexec_b32 s0, vcc_lo
	s_cbranch_execz .LBB230_3233
.LBB230_3339:
	ds_load_b32 v66, v64 offset:336
	s_wait_dscnt 0x0
	v_add_f32_e32 v27, v66, v27
	s_or_b32 exec_lo, exec_lo, s0
	s_and_saveexec_b32 s0, vcc_lo
	s_cbranch_execz .LBB230_3234
.LBB230_3340:
	ds_load_b32 v66, v64 offset:352
	s_wait_dscnt 0x0
	v_add_f32_e32 v24, v66, v24
	s_or_b32 exec_lo, exec_lo, s0
	s_and_saveexec_b32 s0, vcc_lo
	s_cbranch_execz .LBB230_3235
.LBB230_3341:
	ds_load_b32 v66, v64 offset:368
	s_wait_dscnt 0x0
	v_add_f32_e32 v25, v66, v25
	s_or_b32 exec_lo, exec_lo, s0
	s_and_saveexec_b32 s0, vcc_lo
	s_cbranch_execz .LBB230_3236
.LBB230_3342:
	ds_load_b32 v66, v64 offset:384
	s_wait_dscnt 0x0
	v_add_f32_e32 v22, v66, v22
	s_or_b32 exec_lo, exec_lo, s0
	s_and_saveexec_b32 s0, vcc_lo
	s_cbranch_execz .LBB230_3237
.LBB230_3343:
	ds_load_b32 v66, v64 offset:400
	s_wait_dscnt 0x0
	v_add_f32_e32 v23, v66, v23
	s_or_b32 exec_lo, exec_lo, s0
	s_and_saveexec_b32 s0, vcc_lo
	s_cbranch_execz .LBB230_3238
.LBB230_3344:
	ds_load_b32 v66, v64 offset:416
	s_wait_dscnt 0x0
	v_add_f32_e32 v20, v66, v20
	s_or_b32 exec_lo, exec_lo, s0
	s_and_saveexec_b32 s0, vcc_lo
	s_cbranch_execz .LBB230_3239
.LBB230_3345:
	ds_load_b32 v66, v64 offset:432
	s_wait_dscnt 0x0
	v_add_f32_e32 v21, v66, v21
	s_or_b32 exec_lo, exec_lo, s0
	s_and_saveexec_b32 s0, vcc_lo
	s_cbranch_execz .LBB230_3240
.LBB230_3346:
	ds_load_b32 v66, v64 offset:448
	s_wait_dscnt 0x0
	v_add_f32_e32 v18, v66, v18
	s_or_b32 exec_lo, exec_lo, s0
	s_and_saveexec_b32 s0, vcc_lo
	s_cbranch_execz .LBB230_3241
.LBB230_3347:
	ds_load_b32 v66, v64 offset:464
	s_wait_dscnt 0x0
	v_add_f32_e32 v19, v66, v19
	s_or_b32 exec_lo, exec_lo, s0
	s_and_saveexec_b32 s0, vcc_lo
	s_cbranch_execz .LBB230_3242
.LBB230_3348:
	ds_load_b32 v66, v64 offset:480
	s_wait_dscnt 0x0
	v_add_f32_e32 v16, v66, v16
	s_or_b32 exec_lo, exec_lo, s0
	s_and_saveexec_b32 s0, vcc_lo
	s_cbranch_execz .LBB230_3243
.LBB230_3349:
	ds_load_b32 v66, v64 offset:496
	s_wait_dscnt 0x0
	v_add_f32_e32 v17, v66, v17
	s_or_b32 exec_lo, exec_lo, s0
	s_and_saveexec_b32 s0, vcc_lo
	s_cbranch_execz .LBB230_3244
.LBB230_3350:
	ds_load_b32 v66, v64 offset:512
	s_wait_dscnt 0x0
	v_add_f32_e32 v14, v66, v14
	s_or_b32 exec_lo, exec_lo, s0
	s_and_saveexec_b32 s0, vcc_lo
	s_cbranch_execz .LBB230_3245
.LBB230_3351:
	ds_load_b32 v66, v64 offset:528
	s_wait_dscnt 0x0
	v_add_f32_e32 v15, v66, v15
	s_or_b32 exec_lo, exec_lo, s0
	s_and_saveexec_b32 s0, vcc_lo
	s_cbranch_execz .LBB230_3246
.LBB230_3352:
	ds_load_b32 v66, v64 offset:544
	s_wait_dscnt 0x0
	v_add_f32_e32 v12, v66, v12
	s_or_b32 exec_lo, exec_lo, s0
	s_and_saveexec_b32 s0, vcc_lo
	s_cbranch_execz .LBB230_3247
.LBB230_3353:
	ds_load_b32 v66, v64 offset:560
	s_wait_dscnt 0x0
	v_add_f32_e32 v13, v66, v13
	s_or_b32 exec_lo, exec_lo, s0
	s_and_saveexec_b32 s0, vcc_lo
	s_cbranch_execz .LBB230_3248
.LBB230_3354:
	ds_load_b32 v66, v64 offset:576
	s_wait_dscnt 0x0
	v_add_f32_e32 v10, v66, v10
	s_or_b32 exec_lo, exec_lo, s0
	s_and_saveexec_b32 s0, vcc_lo
	s_cbranch_execz .LBB230_3249
.LBB230_3355:
	ds_load_b32 v66, v64 offset:592
	s_wait_dscnt 0x0
	v_add_f32_e32 v11, v66, v11
	s_or_b32 exec_lo, exec_lo, s0
	s_and_saveexec_b32 s0, vcc_lo
	s_cbranch_execz .LBB230_3250
.LBB230_3356:
	ds_load_b32 v66, v64 offset:608
	s_wait_dscnt 0x0
	v_add_f32_e32 v8, v66, v8
	s_or_b32 exec_lo, exec_lo, s0
	s_and_saveexec_b32 s0, vcc_lo
	s_cbranch_execz .LBB230_3251
.LBB230_3357:
	ds_load_b32 v66, v64 offset:624
	s_wait_dscnt 0x0
	v_add_f32_e32 v9, v66, v9
	s_or_b32 exec_lo, exec_lo, s0
	s_and_saveexec_b32 s0, vcc_lo
	s_cbranch_execz .LBB230_3252
.LBB230_3358:
	ds_load_b32 v66, v64 offset:640
	s_wait_dscnt 0x0
	v_add_f32_e32 v6, v66, v6
	s_or_b32 exec_lo, exec_lo, s0
	s_and_saveexec_b32 s0, vcc_lo
	s_cbranch_execz .LBB230_3253
.LBB230_3359:
	ds_load_b32 v66, v64 offset:656
	s_wait_dscnt 0x0
	v_add_f32_e32 v7, v66, v7
	s_or_b32 exec_lo, exec_lo, s0
	s_and_saveexec_b32 s0, vcc_lo
	s_cbranch_execz .LBB230_3254
.LBB230_3360:
	ds_load_b32 v66, v64 offset:672
	s_wait_dscnt 0x0
	v_add_f32_e32 v4, v66, v4
	s_or_b32 exec_lo, exec_lo, s0
	s_and_saveexec_b32 s0, vcc_lo
	s_cbranch_execz .LBB230_3255
.LBB230_3361:
	ds_load_b32 v66, v64 offset:688
	s_wait_dscnt 0x0
	v_add_f32_e32 v5, v66, v5
	s_or_b32 exec_lo, exec_lo, s0
	s_and_saveexec_b32 s0, vcc_lo
	s_cbranch_execz .LBB230_3256
.LBB230_3362:
	ds_load_b32 v66, v64 offset:704
	s_wait_dscnt 0x0
	v_add_f32_e32 v2, v66, v2
	s_or_b32 exec_lo, exec_lo, s0
	s_and_saveexec_b32 s0, vcc_lo
	s_cbranch_execz .LBB230_3257
.LBB230_3363:
	ds_load_b32 v66, v64 offset:720
	s_wait_dscnt 0x0
	v_add_f32_e32 v3, v66, v3
	s_or_b32 exec_lo, exec_lo, s0
	s_and_saveexec_b32 s0, vcc_lo
	s_cbranch_execz .LBB230_3258
.LBB230_3364:
	ds_load_b32 v66, v64 offset:736
	s_wait_dscnt 0x0
	v_add_f32_e32 v0, v66, v0
	s_or_b32 exec_lo, exec_lo, s0
	s_and_saveexec_b32 s0, vcc_lo
	s_cbranch_execnz .LBB230_3259
	s_branch .LBB230_3260
.LBB230_3365:
	ds_load_b32 v65, v64
	s_wait_dscnt 0x0
	v_add_f32_e32 v54, v65, v54
	s_or_b32 exec_lo, exec_lo, s2
	s_and_saveexec_b32 s2, vcc_lo
	s_cbranch_execz .LBB230_3266
.LBB230_3366:
	ds_load_b32 v65, v64 offset:16
	s_wait_dscnt 0x0
	v_add_f32_e32 v55, v65, v55
	s_or_b32 exec_lo, exec_lo, s2
	s_and_saveexec_b32 s2, vcc_lo
	s_cbranch_execz .LBB230_3267
.LBB230_3367:
	ds_load_b32 v65, v64 offset:32
	s_wait_dscnt 0x0
	v_add_f32_e32 v52, v65, v52
	s_or_b32 exec_lo, exec_lo, s2
	s_and_saveexec_b32 s2, vcc_lo
	s_cbranch_execz .LBB230_3268
.LBB230_3368:
	ds_load_b32 v65, v64 offset:48
	s_wait_dscnt 0x0
	v_add_f32_e32 v53, v65, v53
	s_or_b32 exec_lo, exec_lo, s2
	s_and_saveexec_b32 s2, vcc_lo
	s_cbranch_execz .LBB230_3269
.LBB230_3369:
	ds_load_b32 v65, v64 offset:64
	s_wait_dscnt 0x0
	v_add_f32_e32 v50, v65, v50
	s_or_b32 exec_lo, exec_lo, s2
	s_and_saveexec_b32 s2, vcc_lo
	s_cbranch_execz .LBB230_3270
.LBB230_3370:
	ds_load_b32 v65, v64 offset:80
	s_wait_dscnt 0x0
	v_add_f32_e32 v51, v65, v51
	s_or_b32 exec_lo, exec_lo, s2
	s_and_saveexec_b32 s2, vcc_lo
	s_cbranch_execz .LBB230_3271
.LBB230_3371:
	ds_load_b32 v65, v64 offset:96
	s_wait_dscnt 0x0
	v_add_f32_e32 v48, v65, v48
	s_or_b32 exec_lo, exec_lo, s2
	s_and_saveexec_b32 s2, vcc_lo
	s_cbranch_execz .LBB230_3272
.LBB230_3372:
	ds_load_b32 v65, v64 offset:112
	s_wait_dscnt 0x0
	v_add_f32_e32 v49, v65, v49
	s_or_b32 exec_lo, exec_lo, s2
	s_and_saveexec_b32 s2, vcc_lo
	s_cbranch_execz .LBB230_3273
.LBB230_3373:
	ds_load_b32 v65, v64 offset:128
	s_wait_dscnt 0x0
	v_add_f32_e32 v38, v65, v38
	s_or_b32 exec_lo, exec_lo, s2
	s_and_saveexec_b32 s2, vcc_lo
	s_cbranch_execz .LBB230_3274
.LBB230_3374:
	ds_load_b32 v65, v64 offset:144
	s_wait_dscnt 0x0
	v_add_f32_e32 v39, v65, v39
	s_or_b32 exec_lo, exec_lo, s2
	s_and_saveexec_b32 s2, vcc_lo
	s_cbranch_execz .LBB230_3275
.LBB230_3375:
	ds_load_b32 v65, v64 offset:160
	s_wait_dscnt 0x0
	v_add_f32_e32 v36, v65, v36
	s_or_b32 exec_lo, exec_lo, s2
	s_and_saveexec_b32 s2, vcc_lo
	s_cbranch_execz .LBB230_3276
.LBB230_3376:
	ds_load_b32 v65, v64 offset:176
	s_wait_dscnt 0x0
	v_add_f32_e32 v37, v65, v37
	s_or_b32 exec_lo, exec_lo, s2
	s_and_saveexec_b32 s2, vcc_lo
	s_cbranch_execz .LBB230_3277
.LBB230_3377:
	ds_load_b32 v65, v64 offset:192
	s_wait_dscnt 0x0
	v_add_f32_e32 v34, v65, v34
	s_or_b32 exec_lo, exec_lo, s2
	s_and_saveexec_b32 s2, vcc_lo
	s_cbranch_execz .LBB230_3278
.LBB230_3378:
	ds_load_b32 v65, v64 offset:208
	s_wait_dscnt 0x0
	v_add_f32_e32 v35, v65, v35
	s_or_b32 exec_lo, exec_lo, s2
	s_and_saveexec_b32 s2, vcc_lo
	s_cbranch_execz .LBB230_3279
.LBB230_3379:
	ds_load_b32 v65, v64 offset:224
	s_wait_dscnt 0x0
	v_add_f32_e32 v32, v65, v32
	s_or_b32 exec_lo, exec_lo, s2
	s_and_saveexec_b32 s2, vcc_lo
	s_cbranch_execz .LBB230_3280
.LBB230_3380:
	ds_load_b32 v65, v64 offset:240
	s_wait_dscnt 0x0
	v_add_f32_e32 v33, v65, v33
	s_or_b32 exec_lo, exec_lo, s2
	s_and_saveexec_b32 s2, vcc_lo
	s_cbranch_execz .LBB230_3281
.LBB230_3381:
	ds_load_b32 v65, v64 offset:256
	s_wait_dscnt 0x0
	v_add_f32_e32 v30, v65, v30
	s_or_b32 exec_lo, exec_lo, s2
	s_and_saveexec_b32 s2, vcc_lo
	s_cbranch_execz .LBB230_3282
.LBB230_3382:
	ds_load_b32 v65, v64 offset:272
	s_wait_dscnt 0x0
	v_add_f32_e32 v31, v65, v31
	s_or_b32 exec_lo, exec_lo, s2
	s_and_saveexec_b32 s2, vcc_lo
	s_cbranch_execz .LBB230_3283
.LBB230_3383:
	ds_load_b32 v65, v64 offset:288
	s_wait_dscnt 0x0
	v_add_f32_e32 v28, v65, v28
	s_or_b32 exec_lo, exec_lo, s2
	s_and_saveexec_b32 s2, vcc_lo
	s_cbranch_execz .LBB230_3284
.LBB230_3384:
	ds_load_b32 v65, v64 offset:304
	s_wait_dscnt 0x0
	v_add_f32_e32 v29, v65, v29
	s_or_b32 exec_lo, exec_lo, s2
	s_and_saveexec_b32 s2, vcc_lo
	s_cbranch_execz .LBB230_3285
.LBB230_3385:
	ds_load_b32 v65, v64 offset:320
	s_wait_dscnt 0x0
	v_add_f32_e32 v26, v65, v26
	s_or_b32 exec_lo, exec_lo, s2
	s_and_saveexec_b32 s2, vcc_lo
	s_cbranch_execz .LBB230_3286
.LBB230_3386:
	ds_load_b32 v65, v64 offset:336
	s_wait_dscnt 0x0
	v_add_f32_e32 v27, v65, v27
	s_or_b32 exec_lo, exec_lo, s2
	s_and_saveexec_b32 s2, vcc_lo
	s_cbranch_execz .LBB230_3287
.LBB230_3387:
	ds_load_b32 v65, v64 offset:352
	s_wait_dscnt 0x0
	v_add_f32_e32 v24, v65, v24
	s_or_b32 exec_lo, exec_lo, s2
	s_and_saveexec_b32 s2, vcc_lo
	s_cbranch_execz .LBB230_3288
.LBB230_3388:
	ds_load_b32 v65, v64 offset:368
	s_wait_dscnt 0x0
	v_add_f32_e32 v25, v65, v25
	s_or_b32 exec_lo, exec_lo, s2
	s_and_saveexec_b32 s2, vcc_lo
	s_cbranch_execz .LBB230_3289
.LBB230_3389:
	ds_load_b32 v65, v64 offset:384
	s_wait_dscnt 0x0
	v_add_f32_e32 v22, v65, v22
	s_or_b32 exec_lo, exec_lo, s2
	s_and_saveexec_b32 s2, vcc_lo
	s_cbranch_execz .LBB230_3290
.LBB230_3390:
	ds_load_b32 v65, v64 offset:400
	s_wait_dscnt 0x0
	v_add_f32_e32 v23, v65, v23
	s_or_b32 exec_lo, exec_lo, s2
	s_and_saveexec_b32 s2, vcc_lo
	s_cbranch_execz .LBB230_3291
.LBB230_3391:
	ds_load_b32 v65, v64 offset:416
	s_wait_dscnt 0x0
	v_add_f32_e32 v20, v65, v20
	s_or_b32 exec_lo, exec_lo, s2
	s_and_saveexec_b32 s2, vcc_lo
	s_cbranch_execz .LBB230_3292
.LBB230_3392:
	ds_load_b32 v65, v64 offset:432
	s_wait_dscnt 0x0
	v_add_f32_e32 v21, v65, v21
	s_or_b32 exec_lo, exec_lo, s2
	s_and_saveexec_b32 s2, vcc_lo
	s_cbranch_execz .LBB230_3293
.LBB230_3393:
	ds_load_b32 v65, v64 offset:448
	s_wait_dscnt 0x0
	v_add_f32_e32 v18, v65, v18
	s_or_b32 exec_lo, exec_lo, s2
	s_and_saveexec_b32 s2, vcc_lo
	s_cbranch_execz .LBB230_3294
.LBB230_3394:
	ds_load_b32 v65, v64 offset:464
	s_wait_dscnt 0x0
	v_add_f32_e32 v19, v65, v19
	s_or_b32 exec_lo, exec_lo, s2
	s_and_saveexec_b32 s2, vcc_lo
	s_cbranch_execz .LBB230_3295
.LBB230_3395:
	ds_load_b32 v65, v64 offset:480
	s_wait_dscnt 0x0
	v_add_f32_e32 v16, v65, v16
	s_or_b32 exec_lo, exec_lo, s2
	s_and_saveexec_b32 s2, vcc_lo
	s_cbranch_execz .LBB230_3296
.LBB230_3396:
	ds_load_b32 v65, v64 offset:496
	s_wait_dscnt 0x0
	v_add_f32_e32 v17, v65, v17
	s_or_b32 exec_lo, exec_lo, s2
	s_and_saveexec_b32 s2, vcc_lo
	s_cbranch_execz .LBB230_3297
.LBB230_3397:
	ds_load_b32 v65, v64 offset:512
	s_wait_dscnt 0x0
	v_add_f32_e32 v14, v65, v14
	s_or_b32 exec_lo, exec_lo, s2
	s_and_saveexec_b32 s2, vcc_lo
	s_cbranch_execz .LBB230_3298
.LBB230_3398:
	ds_load_b32 v65, v64 offset:528
	s_wait_dscnt 0x0
	v_add_f32_e32 v15, v65, v15
	s_or_b32 exec_lo, exec_lo, s2
	s_and_saveexec_b32 s2, vcc_lo
	s_cbranch_execz .LBB230_3299
.LBB230_3399:
	ds_load_b32 v65, v64 offset:544
	s_wait_dscnt 0x0
	v_add_f32_e32 v12, v65, v12
	s_or_b32 exec_lo, exec_lo, s2
	s_and_saveexec_b32 s2, vcc_lo
	s_cbranch_execz .LBB230_3300
.LBB230_3400:
	ds_load_b32 v65, v64 offset:560
	s_wait_dscnt 0x0
	v_add_f32_e32 v13, v65, v13
	s_or_b32 exec_lo, exec_lo, s2
	s_and_saveexec_b32 s2, vcc_lo
	s_cbranch_execz .LBB230_3301
.LBB230_3401:
	ds_load_b32 v65, v64 offset:576
	s_wait_dscnt 0x0
	v_add_f32_e32 v10, v65, v10
	s_or_b32 exec_lo, exec_lo, s2
	s_and_saveexec_b32 s2, vcc_lo
	s_cbranch_execz .LBB230_3302
.LBB230_3402:
	ds_load_b32 v65, v64 offset:592
	s_wait_dscnt 0x0
	v_add_f32_e32 v11, v65, v11
	s_or_b32 exec_lo, exec_lo, s2
	s_and_saveexec_b32 s2, vcc_lo
	s_cbranch_execz .LBB230_3303
.LBB230_3403:
	ds_load_b32 v65, v64 offset:608
	s_wait_dscnt 0x0
	v_add_f32_e32 v8, v65, v8
	s_or_b32 exec_lo, exec_lo, s2
	s_and_saveexec_b32 s2, vcc_lo
	s_cbranch_execz .LBB230_3304
.LBB230_3404:
	ds_load_b32 v65, v64 offset:624
	s_wait_dscnt 0x0
	v_add_f32_e32 v9, v65, v9
	s_or_b32 exec_lo, exec_lo, s2
	s_and_saveexec_b32 s2, vcc_lo
	s_cbranch_execz .LBB230_3305
.LBB230_3405:
	ds_load_b32 v65, v64 offset:640
	s_wait_dscnt 0x0
	v_add_f32_e32 v6, v65, v6
	s_or_b32 exec_lo, exec_lo, s2
	s_and_saveexec_b32 s2, vcc_lo
	s_cbranch_execz .LBB230_3306
.LBB230_3406:
	ds_load_b32 v65, v64 offset:656
	s_wait_dscnt 0x0
	v_add_f32_e32 v7, v65, v7
	s_or_b32 exec_lo, exec_lo, s2
	s_and_saveexec_b32 s2, vcc_lo
	s_cbranch_execz .LBB230_3307
.LBB230_3407:
	ds_load_b32 v65, v64 offset:672
	s_wait_dscnt 0x0
	v_add_f32_e32 v4, v65, v4
	s_or_b32 exec_lo, exec_lo, s2
	s_and_saveexec_b32 s2, vcc_lo
	s_cbranch_execz .LBB230_3308
.LBB230_3408:
	ds_load_b32 v65, v64 offset:688
	s_wait_dscnt 0x0
	v_add_f32_e32 v5, v65, v5
	s_or_b32 exec_lo, exec_lo, s2
	s_and_saveexec_b32 s2, vcc_lo
	s_cbranch_execz .LBB230_3309
.LBB230_3409:
	ds_load_b32 v65, v64 offset:704
	s_wait_dscnt 0x0
	v_add_f32_e32 v2, v65, v2
	s_or_b32 exec_lo, exec_lo, s2
	s_and_saveexec_b32 s2, vcc_lo
	s_cbranch_execz .LBB230_3310
.LBB230_3410:
	ds_load_b32 v65, v64 offset:720
	s_wait_dscnt 0x0
	v_add_f32_e32 v3, v65, v3
	s_or_b32 exec_lo, exec_lo, s2
	s_and_saveexec_b32 s2, vcc_lo
	s_cbranch_execz .LBB230_3311
.LBB230_3411:
	ds_load_b32 v65, v64 offset:736
	s_wait_dscnt 0x0
	v_add_f32_e32 v0, v65, v0
	s_or_b32 exec_lo, exec_lo, s2
	s_and_saveexec_b32 s2, vcc_lo
	s_cbranch_execnz .LBB230_3312
	s_branch .LBB230_3313
.Lfunc_end230:
	.size	_ZN4vllm22paged_attention_kernelIfhLi192ELi32ELi128ELNS_18Fp8KVCacheDataTypeE1ELb0ELi0EEEvPfS2_PT_PKS3_PKT0_S9_ifPKiSB_iPKfiiiSD_SD_iiiii, .Lfunc_end230-_ZN4vllm22paged_attention_kernelIfhLi192ELi32ELi128ELNS_18Fp8KVCacheDataTypeE1ELb0ELi0EEEvPfS2_PT_PKS3_PKT0_S9_ifPKiSB_iPKfiiiSD_SD_iiiii
                                        ; -- End function
	.set .L_ZN4vllm22paged_attention_kernelIfhLi192ELi32ELi128ELNS_18Fp8KVCacheDataTypeE1ELb0ELi0EEEvPfS2_PT_PKS3_PKT0_S9_ifPKiSB_iPKfiiiSD_SD_iiiii.num_vgpr, 128
	.set .L_ZN4vllm22paged_attention_kernelIfhLi192ELi32ELi128ELNS_18Fp8KVCacheDataTypeE1ELb0ELi0EEEvPfS2_PT_PKS3_PKT0_S9_ifPKiSB_iPKfiiiSD_SD_iiiii.num_agpr, 0
	.set .L_ZN4vllm22paged_attention_kernelIfhLi192ELi32ELi128ELNS_18Fp8KVCacheDataTypeE1ELb0ELi0EEEvPfS2_PT_PKS3_PKT0_S9_ifPKiSB_iPKfiiiSD_SD_iiiii.numbered_sgpr, 33
	.set .L_ZN4vllm22paged_attention_kernelIfhLi192ELi32ELi128ELNS_18Fp8KVCacheDataTypeE1ELb0ELi0EEEvPfS2_PT_PKS3_PKT0_S9_ifPKiSB_iPKfiiiSD_SD_iiiii.num_named_barrier, 0
	.set .L_ZN4vllm22paged_attention_kernelIfhLi192ELi32ELi128ELNS_18Fp8KVCacheDataTypeE1ELb0ELi0EEEvPfS2_PT_PKS3_PKT0_S9_ifPKiSB_iPKfiiiSD_SD_iiiii.private_seg_size, 2392
	.set .L_ZN4vllm22paged_attention_kernelIfhLi192ELi32ELi128ELNS_18Fp8KVCacheDataTypeE1ELb0ELi0EEEvPfS2_PT_PKS3_PKT0_S9_ifPKiSB_iPKfiiiSD_SD_iiiii.uses_vcc, 1
	.set .L_ZN4vllm22paged_attention_kernelIfhLi192ELi32ELi128ELNS_18Fp8KVCacheDataTypeE1ELb0ELi0EEEvPfS2_PT_PKS3_PKT0_S9_ifPKiSB_iPKfiiiSD_SD_iiiii.uses_flat_scratch, 1
	.set .L_ZN4vllm22paged_attention_kernelIfhLi192ELi32ELi128ELNS_18Fp8KVCacheDataTypeE1ELb0ELi0EEEvPfS2_PT_PKS3_PKT0_S9_ifPKiSB_iPKfiiiSD_SD_iiiii.has_dyn_sized_stack, 0
	.set .L_ZN4vllm22paged_attention_kernelIfhLi192ELi32ELi128ELNS_18Fp8KVCacheDataTypeE1ELb0ELi0EEEvPfS2_PT_PKS3_PKT0_S9_ifPKiSB_iPKfiiiSD_SD_iiiii.has_recursion, 0
	.set .L_ZN4vllm22paged_attention_kernelIfhLi192ELi32ELi128ELNS_18Fp8KVCacheDataTypeE1ELb0ELi0EEEvPfS2_PT_PKS3_PKT0_S9_ifPKiSB_iPKfiiiSD_SD_iiiii.has_indirect_call, 0
	.section	.AMDGPU.csdata,"",@progbits
; Function info:
; codeLenInByte = 138236
; TotalNumSgprs: 35
; NumVgprs: 128
; ScratchSize: 2392
; MemoryBound: 0
	.section	.text._ZN4vllm25paged_attention_v1_kernelIfhLi192ELi32ELi128ELNS_18Fp8KVCacheDataTypeE1ELb0EEEvPT_PKS2_PKT0_S8_ifPKiSA_iPKfiiiSC_SC_iiiii,"axG",@progbits,_ZN4vllm25paged_attention_v1_kernelIfhLi192ELi32ELi128ELNS_18Fp8KVCacheDataTypeE1ELb0EEEvPT_PKS2_PKT0_S8_ifPKiSA_iPKfiiiSC_SC_iiiii,comdat
	.protected	_ZN4vllm25paged_attention_v1_kernelIfhLi192ELi32ELi128ELNS_18Fp8KVCacheDataTypeE1ELb0EEEvPT_PKS2_PKT0_S8_ifPKiSA_iPKfiiiSC_SC_iiiii ; -- Begin function _ZN4vllm25paged_attention_v1_kernelIfhLi192ELi32ELi128ELNS_18Fp8KVCacheDataTypeE1ELb0EEEvPT_PKS2_PKT0_S8_ifPKiSA_iPKfiiiSC_SC_iiiii
	.globl	_ZN4vllm25paged_attention_v1_kernelIfhLi192ELi32ELi128ELNS_18Fp8KVCacheDataTypeE1ELb0EEEvPT_PKS2_PKT0_S8_ifPKiSA_iPKfiiiSC_SC_iiiii
	.p2align	8
	.type	_ZN4vllm25paged_attention_v1_kernelIfhLi192ELi32ELi128ELNS_18Fp8KVCacheDataTypeE1ELb0EEEvPT_PKS2_PKT0_S8_ifPKiSA_iPKfiiiSC_SC_iiiii,@function
_ZN4vllm25paged_attention_v1_kernelIfhLi192ELi32ELi128ELNS_18Fp8KVCacheDataTypeE1ELb0EEEvPT_PKS2_PKT0_S8_ifPKiSA_iPKfiiiSC_SC_iiiii: ; @_ZN4vllm25paged_attention_v1_kernelIfhLi192ELi32ELi128ELNS_18Fp8KVCacheDataTypeE1ELb0EEEvPT_PKS2_PKT0_S8_ifPKiSA_iPKfiiiSC_SC_iiiii
; %bb.0:
	s_clause 0x5
	s_load_b256 s[12:19], s[0:1], 0x0
	s_load_b128 s[4:7], s[0:1], 0x20
	s_load_b96 s[20:22], s[0:1], 0x30
	s_load_b64 s[10:11], s[0:1], 0x40
	s_load_b96 s[28:30], s[0:1], 0x48
	s_load_b128 s[24:27], s[0:1], 0x58
	v_mov_b32_e32 v31, v0
	s_get_pc_i64 s[2:3]
	s_add_nc_u64 s[2:3], s[2:3], _ZN4vllm22paged_attention_kernelIfhLi192ELi32ELi128ELNS_18Fp8KVCacheDataTypeE1ELb0ELi0EEEvPfS2_PT_PKS3_PKT0_S9_ifPKiSB_iPKfiiiSD_SD_iiiii@rel64+4
	s_add_nc_u64 s[8:9], s[0:1], 0x80
	s_mov_b32 s32, 0
	s_wait_kmcnt 0x0
	v_dual_mov_b32 v0, s12 :: v_dual_mov_b32 v1, s13
	v_dual_mov_b32 v2, s14 :: v_dual_mov_b32 v3, s15
	;; [unrolled: 1-line block ×12, first 2 shown]
	s_mov_b32 s15, 24
	s_swap_pc_i64 s[30:31], s[2:3]
	s_endpgm
	.section	.rodata,"a",@progbits
	.p2align	6, 0x0
	.amdhsa_kernel _ZN4vllm25paged_attention_v1_kernelIfhLi192ELi32ELi128ELNS_18Fp8KVCacheDataTypeE1ELb0EEEvPT_PKS2_PKT0_S8_ifPKiSA_iPKfiiiSC_SC_iiiii
		.amdhsa_group_segment_fixed_size 800
		.amdhsa_private_segment_fixed_size 2392
		.amdhsa_kernarg_size 384
		.amdhsa_user_sgpr_count 2
		.amdhsa_user_sgpr_dispatch_ptr 0
		.amdhsa_user_sgpr_queue_ptr 0
		.amdhsa_user_sgpr_kernarg_segment_ptr 1
		.amdhsa_user_sgpr_dispatch_id 0
		.amdhsa_user_sgpr_kernarg_preload_length 0
		.amdhsa_user_sgpr_kernarg_preload_offset 0
		.amdhsa_user_sgpr_private_segment_size 0
		.amdhsa_wavefront_size32 1
		.amdhsa_uses_dynamic_stack 0
		.amdhsa_enable_private_segment 1
		.amdhsa_system_sgpr_workgroup_id_x 1
		.amdhsa_system_sgpr_workgroup_id_y 1
		.amdhsa_system_sgpr_workgroup_id_z 1
		.amdhsa_system_sgpr_workgroup_info 0
		.amdhsa_system_vgpr_workitem_id 0
		.amdhsa_next_free_vgpr 128
		.amdhsa_next_free_sgpr 33
		.amdhsa_named_barrier_count 0
		.amdhsa_reserve_vcc 1
		.amdhsa_float_round_mode_32 0
		.amdhsa_float_round_mode_16_64 0
		.amdhsa_float_denorm_mode_32 3
		.amdhsa_float_denorm_mode_16_64 3
		.amdhsa_fp16_overflow 0
		.amdhsa_memory_ordered 1
		.amdhsa_forward_progress 1
		.amdhsa_inst_pref_size 2
		.amdhsa_round_robin_scheduling 0
		.amdhsa_exception_fp_ieee_invalid_op 0
		.amdhsa_exception_fp_denorm_src 0
		.amdhsa_exception_fp_ieee_div_zero 0
		.amdhsa_exception_fp_ieee_overflow 0
		.amdhsa_exception_fp_ieee_underflow 0
		.amdhsa_exception_fp_ieee_inexact 0
		.amdhsa_exception_int_div_zero 0
	.end_amdhsa_kernel
	.section	.text._ZN4vllm25paged_attention_v1_kernelIfhLi192ELi32ELi128ELNS_18Fp8KVCacheDataTypeE1ELb0EEEvPT_PKS2_PKT0_S8_ifPKiSA_iPKfiiiSC_SC_iiiii,"axG",@progbits,_ZN4vllm25paged_attention_v1_kernelIfhLi192ELi32ELi128ELNS_18Fp8KVCacheDataTypeE1ELb0EEEvPT_PKS2_PKT0_S8_ifPKiSA_iPKfiiiSC_SC_iiiii,comdat
.Lfunc_end231:
	.size	_ZN4vllm25paged_attention_v1_kernelIfhLi192ELi32ELi128ELNS_18Fp8KVCacheDataTypeE1ELb0EEEvPT_PKS2_PKT0_S8_ifPKiSA_iPKfiiiSC_SC_iiiii, .Lfunc_end231-_ZN4vllm25paged_attention_v1_kernelIfhLi192ELi32ELi128ELNS_18Fp8KVCacheDataTypeE1ELb0EEEvPT_PKS2_PKT0_S8_ifPKiSA_iPKfiiiSC_SC_iiiii
                                        ; -- End function
	.set _ZN4vllm25paged_attention_v1_kernelIfhLi192ELi32ELi128ELNS_18Fp8KVCacheDataTypeE1ELb0EEEvPT_PKS2_PKT0_S8_ifPKiSA_iPKfiiiSC_SC_iiiii.num_vgpr, max(32, .L_ZN4vllm22paged_attention_kernelIfhLi192ELi32ELi128ELNS_18Fp8KVCacheDataTypeE1ELb0ELi0EEEvPfS2_PT_PKS3_PKT0_S9_ifPKiSB_iPKfiiiSD_SD_iiiii.num_vgpr)
	.set _ZN4vllm25paged_attention_v1_kernelIfhLi192ELi32ELi128ELNS_18Fp8KVCacheDataTypeE1ELb0EEEvPT_PKS2_PKT0_S8_ifPKiSA_iPKfiiiSC_SC_iiiii.num_agpr, max(0, .L_ZN4vllm22paged_attention_kernelIfhLi192ELi32ELi128ELNS_18Fp8KVCacheDataTypeE1ELb0ELi0EEEvPfS2_PT_PKS3_PKT0_S9_ifPKiSB_iPKfiiiSD_SD_iiiii.num_agpr)
	.set _ZN4vllm25paged_attention_v1_kernelIfhLi192ELi32ELi128ELNS_18Fp8KVCacheDataTypeE1ELb0EEEvPT_PKS2_PKT0_S8_ifPKiSA_iPKfiiiSC_SC_iiiii.numbered_sgpr, max(33, .L_ZN4vllm22paged_attention_kernelIfhLi192ELi32ELi128ELNS_18Fp8KVCacheDataTypeE1ELb0ELi0EEEvPfS2_PT_PKS3_PKT0_S9_ifPKiSB_iPKfiiiSD_SD_iiiii.numbered_sgpr)
	.set _ZN4vllm25paged_attention_v1_kernelIfhLi192ELi32ELi128ELNS_18Fp8KVCacheDataTypeE1ELb0EEEvPT_PKS2_PKT0_S8_ifPKiSA_iPKfiiiSC_SC_iiiii.num_named_barrier, max(0, .L_ZN4vllm22paged_attention_kernelIfhLi192ELi32ELi128ELNS_18Fp8KVCacheDataTypeE1ELb0ELi0EEEvPfS2_PT_PKS3_PKT0_S9_ifPKiSB_iPKfiiiSD_SD_iiiii.num_named_barrier)
	.set _ZN4vllm25paged_attention_v1_kernelIfhLi192ELi32ELi128ELNS_18Fp8KVCacheDataTypeE1ELb0EEEvPT_PKS2_PKT0_S8_ifPKiSA_iPKfiiiSC_SC_iiiii.private_seg_size, 0+max(.L_ZN4vllm22paged_attention_kernelIfhLi192ELi32ELi128ELNS_18Fp8KVCacheDataTypeE1ELb0ELi0EEEvPfS2_PT_PKS3_PKT0_S9_ifPKiSB_iPKfiiiSD_SD_iiiii.private_seg_size)
	.set _ZN4vllm25paged_attention_v1_kernelIfhLi192ELi32ELi128ELNS_18Fp8KVCacheDataTypeE1ELb0EEEvPT_PKS2_PKT0_S8_ifPKiSA_iPKfiiiSC_SC_iiiii.uses_vcc, or(1, .L_ZN4vllm22paged_attention_kernelIfhLi192ELi32ELi128ELNS_18Fp8KVCacheDataTypeE1ELb0ELi0EEEvPfS2_PT_PKS3_PKT0_S9_ifPKiSB_iPKfiiiSD_SD_iiiii.uses_vcc)
	.set _ZN4vllm25paged_attention_v1_kernelIfhLi192ELi32ELi128ELNS_18Fp8KVCacheDataTypeE1ELb0EEEvPT_PKS2_PKT0_S8_ifPKiSA_iPKfiiiSC_SC_iiiii.uses_flat_scratch, or(0, .L_ZN4vllm22paged_attention_kernelIfhLi192ELi32ELi128ELNS_18Fp8KVCacheDataTypeE1ELb0ELi0EEEvPfS2_PT_PKS3_PKT0_S9_ifPKiSB_iPKfiiiSD_SD_iiiii.uses_flat_scratch)
	.set _ZN4vllm25paged_attention_v1_kernelIfhLi192ELi32ELi128ELNS_18Fp8KVCacheDataTypeE1ELb0EEEvPT_PKS2_PKT0_S8_ifPKiSA_iPKfiiiSC_SC_iiiii.has_dyn_sized_stack, or(0, .L_ZN4vllm22paged_attention_kernelIfhLi192ELi32ELi128ELNS_18Fp8KVCacheDataTypeE1ELb0ELi0EEEvPfS2_PT_PKS3_PKT0_S9_ifPKiSB_iPKfiiiSD_SD_iiiii.has_dyn_sized_stack)
	.set _ZN4vllm25paged_attention_v1_kernelIfhLi192ELi32ELi128ELNS_18Fp8KVCacheDataTypeE1ELb0EEEvPT_PKS2_PKT0_S8_ifPKiSA_iPKfiiiSC_SC_iiiii.has_recursion, or(0, .L_ZN4vllm22paged_attention_kernelIfhLi192ELi32ELi128ELNS_18Fp8KVCacheDataTypeE1ELb0ELi0EEEvPfS2_PT_PKS3_PKT0_S9_ifPKiSB_iPKfiiiSD_SD_iiiii.has_recursion)
	.set _ZN4vllm25paged_attention_v1_kernelIfhLi192ELi32ELi128ELNS_18Fp8KVCacheDataTypeE1ELb0EEEvPT_PKS2_PKT0_S8_ifPKiSA_iPKfiiiSC_SC_iiiii.has_indirect_call, or(0, .L_ZN4vllm22paged_attention_kernelIfhLi192ELi32ELi128ELNS_18Fp8KVCacheDataTypeE1ELb0ELi0EEEvPfS2_PT_PKS3_PKT0_S9_ifPKiSB_iPKfiiiSD_SD_iiiii.has_indirect_call)
	.section	.AMDGPU.csdata,"",@progbits
; Kernel info:
; codeLenInByte = 196
; TotalNumSgprs: 35
; NumVgprs: 128
; ScratchSize: 2392
; MemoryBound: 0
; FloatMode: 240
; IeeeMode: 1
; LDSByteSize: 800 bytes/workgroup (compile time only)
; SGPRBlocks: 0
; VGPRBlocks: 7
; NumSGPRsForWavesPerEU: 35
; NumVGPRsForWavesPerEU: 128
; NamedBarCnt: 0
; Occupancy: 8
; WaveLimiterHint : 1
; COMPUTE_PGM_RSRC2:SCRATCH_EN: 1
; COMPUTE_PGM_RSRC2:USER_SGPR: 2
; COMPUTE_PGM_RSRC2:TRAP_HANDLER: 0
; COMPUTE_PGM_RSRC2:TGID_X_EN: 1
; COMPUTE_PGM_RSRC2:TGID_Y_EN: 1
; COMPUTE_PGM_RSRC2:TGID_Z_EN: 1
; COMPUTE_PGM_RSRC2:TIDIG_COMP_CNT: 0
	.text
	.p2align	2                               ; -- Begin function _ZN4vllm22paged_attention_kernelIfhLi256ELi32ELi128ELNS_18Fp8KVCacheDataTypeE1ELb0ELi0EEEvPfS2_PT_PKS3_PKT0_S9_ifPKiSB_iPKfiiiSD_SD_iiiii
	.type	_ZN4vllm22paged_attention_kernelIfhLi256ELi32ELi128ELNS_18Fp8KVCacheDataTypeE1ELb0ELi0EEEvPfS2_PT_PKS3_PKT0_S9_ifPKiSB_iPKfiiiSD_SD_iiiii,@function
_ZN4vllm22paged_attention_kernelIfhLi256ELi32ELi128ELNS_18Fp8KVCacheDataTypeE1ELb0ELi0EEEvPfS2_PT_PKS3_PKT0_S9_ifPKiSB_iPKfiiiSD_SD_iiiii: ; @_ZN4vllm22paged_attention_kernelIfhLi256ELi32ELi128ELNS_18Fp8KVCacheDataTypeE1ELb0ELi0EEEvPfS2_PT_PKS3_PKT0_S9_ifPKiSB_iPKfiiiSD_SD_iiiii
; %bb.0:
	s_wait_loadcnt_dscnt 0x0
	s_wait_kmcnt 0x0
	s_clause 0x2f
	scratch_store_b32 off, v40, s32 offset:188
	; meta instruction
	scratch_store_b32 off, v41, s32 offset:184
	; meta instruction
	;; [unrolled: 2-line block ×47, first 2 shown]
	scratch_store_b32 off, v127, s32
	s_bfe_u32 s0, ttmp6, 0x4000c
	s_bfe_u32 s2, ttmp6, 0x40010
	s_add_co_i32 s0, s0, 1
	s_and_b32 s1, ttmp6, 15
	s_mul_i32 s0, ttmp9, s0
	s_and_b32 s3, ttmp7, 0xffff
	s_add_co_i32 s2, s2, 1
	s_add_co_i32 s0, s1, s0
	s_mul_i32 s1, s3, s2
	s_bfe_u32 s2, ttmp6, 0x40004
	s_getreg_b32 s5, hwreg(HW_REG_IB_STS2, 6, 4)
	s_add_co_i32 s2, s2, s1
	s_cmp_eq_u32 s5, 0
	s_mov_b32 s1, 0
	s_cselect_b32 s12, s3, s2
	s_cselect_b32 s2, ttmp9, s0
	s_lshl_b32 s0, s12, 2
	s_clause 0x6
	scratch_store_b64 off, v[22:23], s32 offset:3148
	scratch_store_b64 off, v[20:21], s32 offset:2060
	;; [unrolled: 1-line block ×4, first 2 shown]
	scratch_store_b32 off, v9, s32 offset:2068
	scratch_store_b64 off, v[6:7], s32 offset:3156
	scratch_store_b64 off, v[0:1], s32 offset:3164
	s_wait_xcnt 0x1
	v_add_nc_u64_e32 v[6:7], s[0:1], v[12:13]
	s_wait_xcnt 0x0
	v_mov_b32_e32 v1, 0
	s_clause 0x1
	s_load_u16 s0, s[8:9], 0x12
	s_load_b32 s3, s[8:9], 0x0
	v_dual_mov_b32 v25, v16 :: v_dual_mov_b32 v24, v15
	s_mov_b32 s10, s15
	flat_load_b32 v6, v[6:7]
	s_mov_b32 s4, exec_lo
	s_wait_kmcnt 0x0
	s_cmp_lg_u32 s0, 0
	s_cselect_b32 s0, -1, 0
	s_delay_alu instid0(SALU_CYCLE_1) | instskip(SKIP_1) | instid1(SALU_CYCLE_1)
	s_cmp_lg_u32 s0, 0
	s_add_co_ci_u32 s13, s3, 0
	s_abs_i32 s0, s13
	s_wait_loadcnt_dscnt 0x0
	scratch_store_b64 off, v[6:7], s32 offset:1916 ; 8-byte Folded Spill
	s_wait_xcnt 0x0
	v_sub_nc_u32_e32 v6, 0, v8
	global_load_u16 v0, v1, s[8:9] offset:22
	v_max_i32_e32 v6, v8, v6
	v_xor_b32_e32 v8, s13, v8
	s_delay_alu instid0(VALU_DEP_2) | instskip(NEXT) | instid1(VALU_DEP_2)
	v_cvt_f32_u32_e32 v7, v6
	v_ashrrev_i32_e32 v8, 31, v8
	s_delay_alu instid0(VALU_DEP_2) | instskip(SKIP_1) | instid1(TRANS32_DEP_1)
	v_rcp_iflag_f32_e32 v7, v7
	v_nop
	v_mul_f32_e32 v7, 0x4f7ffffe, v7
	v_sub_nc_u32_e32 v9, 0, v6
	s_delay_alu instid0(VALU_DEP_2) | instskip(NEXT) | instid1(VALU_DEP_1)
	v_cvt_u32_f32_e32 v7, v7
	v_mul_lo_u32 v9, v9, v7
	s_delay_alu instid0(VALU_DEP_1) | instskip(NEXT) | instid1(VALU_DEP_1)
	v_mul_hi_u32 v9, v7, v9
	v_add_nc_u32_e32 v7, v7, v9
	s_delay_alu instid0(VALU_DEP_1) | instskip(NEXT) | instid1(VALU_DEP_1)
	v_mul_hi_u32 v7, s0, v7
	v_mul_lo_u32 v9, v7, v6
	s_delay_alu instid0(VALU_DEP_1) | instskip(SKIP_1) | instid1(VALU_DEP_1)
	v_dual_add_nc_u32 v10, 1, v7 :: v_dual_sub_nc_u32 v9, s0, v9
	s_abs_i32 s0, s2
	v_sub_nc_u32_e32 v11, v9, v6
	v_cmp_ge_u32_e32 vcc_lo, v9, v6
	s_delay_alu instid0(VALU_DEP_2) | instskip(NEXT) | instid1(VALU_DEP_1)
	v_dual_cndmask_b32 v7, v7, v10, vcc_lo :: v_dual_cndmask_b32 v9, v9, v11, vcc_lo
	v_add_nc_u32_e32 v10, 1, v7
	s_delay_alu instid0(VALU_DEP_2) | instskip(NEXT) | instid1(VALU_DEP_2)
	v_cmp_ge_u32_e32 vcc_lo, v9, v6
	v_cndmask_b32_e32 v6, v7, v10, vcc_lo
	s_delay_alu instid0(VALU_DEP_1) | instskip(NEXT) | instid1(VALU_DEP_1)
	v_xor_b32_e32 v6, v6, v8
	v_sub_nc_u32_e32 v7, v6, v8
	s_delay_alu instid0(VALU_DEP_1) | instskip(NEXT) | instid1(VALU_DEP_1)
	v_sub_nc_u32_e32 v6, 0, v7
	v_max_i32_e32 v6, v7, v6
	s_delay_alu instid0(VALU_DEP_1) | instskip(SKIP_1) | instid1(VALU_DEP_2)
	v_cvt_f32_u32_e32 v8, v6
	v_sub_nc_u32_e32 v9, 0, v6
	v_rcp_iflag_f32_e32 v8, v8
	v_nop
	s_delay_alu instid0(TRANS32_DEP_1) | instskip(NEXT) | instid1(VALU_DEP_1)
	v_mul_f32_e32 v8, 0x4f7ffffe, v8
	v_cvt_u32_f32_e32 v8, v8
	s_delay_alu instid0(VALU_DEP_1) | instskip(NEXT) | instid1(VALU_DEP_1)
	v_mul_lo_u32 v9, v9, v8
	v_mul_hi_u32 v9, v8, v9
	s_wait_loadcnt 0x0
	v_readfirstlane_b32 s14, v0
	s_delay_alu instid0(VALU_DEP_2)
	v_dual_add_nc_u32 v0, v8, v9 :: v_dual_mov_b32 v8, v1
	scratch_store_b32 off, v8, s32 offset:2052 ; 4-byte Folded Spill
	s_wait_xcnt 0x0
	v_cmpx_ne_u64_e32 0, v[24:25]
	s_cbranch_execz .LBB232_2
; %bb.1:
	s_ashr_i32 s3, s2, 31
	s_delay_alu instid0(SALU_CYCLE_1)
	v_lshl_add_u64 v[8:9], s[2:3], 2, v[24:25]
	flat_load_b32 v8, v[8:9]
	s_wait_loadcnt_dscnt 0x0
	scratch_store_b32 off, v8, s32 offset:2052 ; 4-byte Folded Spill
.LBB232_2:
	s_wait_xcnt 0x0
	s_or_b32 exec_lo, exec_lo, s4
	v_mul_u64_e32 v[0:1], s[0:1], v[0:1]
	v_and_b32_e32 v15, 0x3ff, v31
	v_ashrrev_i32_e32 v0, 31, v7
	s_ashr_i32 s1, s2, 31
	s_lshl_b32 s6, s2, 8
	s_mov_b32 s2, exec_lo
	v_cmpx_gt_u32_e32 64, v15
	s_cbranch_execz .LBB232_4
; %bb.3:
	v_mul_lo_u32 v8, v17, s12
	s_ashr_i32 s7, s6, 31
	v_dual_mov_b32 v13, 0 :: v_dual_lshlrev_b32 v12, 4, v15
	s_delay_alu instid0(VALU_DEP_2) | instskip(NEXT) | instid1(VALU_DEP_1)
	v_ashrrev_i32_e32 v9, 31, v8
	v_lshl_add_u64 v[2:3], v[8:9], 2, v[2:3]
	s_delay_alu instid0(VALU_DEP_1) | instskip(NEXT) | instid1(VALU_DEP_1)
	v_lshl_add_u64 v[2:3], s[6:7], 2, v[2:3]
	v_add_nc_u64_e32 v[2:3], v[2:3], v[12:13]
	flat_load_b128 v[8:11], v[2:3]
	s_wait_loadcnt_dscnt 0x0
	ds_store_b128 v12, v[8:11]
.LBB232_4:
	s_wait_xcnt 0x0
	s_or_b32 exec_lo, exec_lo, s2
	scratch_load_b64 v[8:9], off, s32 offset:1916 ; 8-byte Folded Reload
	v_mul_lo_u32 v2, v1, v6
	s_load_b32 s7, s[8:9], 0x8
	s_mov_b32 s2, exec_lo
	s_wait_xcnt 0x0
	s_get_pc_i64 s[8:9]
	s_add_nc_u64 s[8:9], s[8:9], llvm.amdgcn.dynlds.offset.table@rel64+4
	v_dual_mov_b32 v10, 0xff7fffff :: v_dual_add_nc_u32 v3, 1, v1
	s_delay_alu instid0(VALU_DEP_2) | instskip(NEXT) | instid1(VALU_DEP_1)
	v_sub_nc_u32_e32 v2, s0, v2
	v_cmp_ge_u32_e32 vcc_lo, v2, v6
	s_delay_alu instid0(VALU_DEP_3) | instskip(NEXT) | instid1(VALU_DEP_1)
	v_dual_sub_nc_u32 v7, v2, v6 :: v_dual_cndmask_b32 v1, v1, v3, vcc_lo
	v_dual_cndmask_b32 v2, v2, v7 :: v_dual_add_nc_u32 v3, 1, v1
	s_delay_alu instid0(VALU_DEP_1) | instskip(SKIP_1) | instid1(VALU_DEP_3)
	v_cmp_ge_u32_e32 vcc_lo, v2, v6
	v_mul_lo_u32 v6, v14, s12
	v_cndmask_b32_e32 v1, v1, v3, vcc_lo
	s_wait_loadcnt 0x0
	v_dual_lshrrev_b32 v3, 3, v15 :: v_dual_add_nc_u32 v7, 31, v8
	s_delay_alu instid0(VALU_DEP_1) | instskip(NEXT) | instid1(VALU_DEP_1)
	v_dual_ashrrev_i32 v2, 31, v7 :: v_dual_bitop2_b32 v0, s1, v0 bitop3:0x14
	v_dual_lshrrev_b32 v2, 27, v2 :: v_dual_bitop2_b32 v1, v1, v0 bitop3:0x14
	s_delay_alu instid0(VALU_DEP_1) | instskip(NEXT) | instid1(VALU_DEP_1)
	v_dual_sub_nc_u32 v0, v1, v0 :: v_dual_add_nc_u32 v1, v7, v2
	v_mul_lo_u32 v8, v0, v19
	v_dual_lshrrev_b32 v0, 5, v15 :: v_dual_bitop2_b32 v2, 31, v15 bitop3:0x40
	s_delay_alu instid0(VALU_DEP_3)
	v_dual_ashrrev_i32 v7, 31, v6 :: v_dual_ashrrev_i32 v1, 5, v1
	s_clause 0x2
	scratch_store_b32 off, v15, s32 offset:3108
	scratch_store_b32 off, v3, s32 offset:3144
	scratch_store_b64 off, v[6:7], s32 offset:3136
	v_cmp_ge_i32_e64 s0, v0, v1
	s_clause 0x1
	scratch_store_b32 off, v0, s32 offset:3116
	scratch_store_b32 off, v1, s32 offset:208
	v_ashrrev_i32_e32 v9, 31, v8
	s_clause 0x1
	scratch_store_b64 off, v[8:9], s32 offset:3120
	scratch_store_b32 off, v2, s32 offset:3112
	s_wait_xcnt 0x1
	v_lshlrev_b32_e32 v9, 2, v2
	s_wait_storecnt_dscnt 0x0
	s_barrier_signal -1
	s_barrier_wait -1
	s_wait_xcnt 0x0
	v_cmpx_lt_i32_e64 v0, v1
	s_cbranch_execz .LBB232_2056
; %bb.5:
	s_clause 0x2
	scratch_load_b64 v[0:1], off, s32 offset:3120
	scratch_load_b32 v2, off, s32 offset:3112
	scratch_load_b32 v3, off, s32 offset:2052
	s_ashr_i32 s11, s10, 31
	s_mov_b32 s3, 0
	s_lshl_b64 s[16:17], s[10:11], 2
	v_mov_b32_e32 v13, 0
	s_add_nc_u64 s[16:17], s[8:9], s[16:17]
	v_mov_b32_e32 v10, 0xff7fffff
	s_load_b32 s1, s[16:17], 0x0
	s_wait_loadcnt 0x2
	v_add_nc_u64_e32 v[0:1], v[4:5], v[0:1]
	s_wait_loadcnt 0x1
	v_lshlrev_b32_e32 v12, 4, v2
	s_wait_loadcnt 0x0
	v_cmp_neq_f32_e32 vcc_lo, 0, v3
	scratch_load_b32 v3, off, s32 offset:3116 ; 4-byte Folded Reload
	ds_load_b128 v[4:7], v13
	v_add_nc_u64_e32 v[0:1], v[0:1], v[12:13]
	s_clause 0x1
	scratch_store_b64 off, v[0:1], s32 offset:2076
	scratch_load_b32 v0, off, s32 offset:3144
	s_wait_dscnt 0x0
	scratch_store_b128 off, v[4:7], s32 offset:2084 ; 16-byte Folded Spill
	s_wait_xcnt 0x0
	ds_load_b128 v[4:7], v13 offset:16
	s_wait_dscnt 0x0
	scratch_store_b128 off, v[4:7], s32 offset:2100 ; 16-byte Folded Spill
	s_wait_xcnt 0x0
	ds_load_b128 v[4:7], v13 offset:32
	;; [unrolled: 4-line block ×7, first 2 shown]
	s_wait_dscnt 0x0
	s_clause 0x1
	scratch_store_b128 off, v[4:7], s32 offset:2196
	scratch_load_b64 v[4:5], off, s32 offset:3128
	s_wait_loadcnt 0x2
	v_lshl_or_b32 v63, v3, 5, v2
	v_lshl_or_b32 v2, v3, 7, v9
	s_wait_kmcnt 0x0
	s_delay_alu instid0(VALU_DEP_1)
	v_dual_mov_b32 v8, v3 :: v_dual_add_nc_u32 v6, s1, v2
	s_wait_loadcnt 0x1
	v_and_b32_e32 v12, 0x7c, v0
	scratch_load_b64 v[0:1], off, s32 offset:3136 ; 8-byte Folded Reload
	s_wait_loadcnt 0x0
	v_lshl_add_u64 v[0:1], v[0:1], 2, v[12:13]
	s_delay_alu instid0(VALU_DEP_1)
	v_add_nc_u64_e32 v[4:5], v[4:5], v[0:1]
	ds_load_b128 v[0:3], v13 offset:128
	s_wait_dscnt 0x0
	scratch_store_b128 off, v[0:3], s32 offset:2212 ; 16-byte Folded Spill
	s_wait_xcnt 0x0
	ds_load_b128 v[0:3], v13 offset:144
	s_wait_dscnt 0x0
	scratch_store_b128 off, v[0:3], s32 offset:2228 ; 16-byte Folded Spill
	s_wait_xcnt 0x0
	;; [unrolled: 4-line block ×55, first 2 shown]
	v_mov_b32_e32 v1, v13
	s_clause 0x1
	scratch_store_b32 off, v9, s32 offset:3172
	scratch_store_b64 off, v[0:1], s32 offset:192
	s_wait_xcnt 0x0
	ds_load_b128 v[0:3], v13 offset:1008
	s_wait_dscnt 0x0
	scratch_store_b128 off, v[0:3], s32 offset:3092 ; 16-byte Folded Spill
	s_branch .LBB232_10
.LBB232_6:                              ;   in Loop: Header=BB232_10 Depth=1
	s_or_b32 exec_lo, exec_lo, s16
	s_delay_alu instid0(VALU_DEP_1) | instskip(SKIP_2) | instid1(VALU_DEP_3)
	v_dual_lshlrev_b32 v14, 24, v105 :: v_dual_lshlrev_b32 v66, 20, v66
	v_lshl_add_u32 v67, v104, 23, 0x3c000000
	v_mov_b32_e32 v114, v15
	v_and_b32_e32 v14, 0x80000000, v14
	s_delay_alu instid0(VALU_DEP_1)
	v_or3_b32 v115, v66, v14, v67
	v_mov_b32_e32 v67, v15
	scratch_store_b64 off, v[66:67], s32 offset:192 ; 8-byte Folded Spill
.LBB232_7:                              ;   in Loop: Header=BB232_10 Depth=1
	s_wait_xcnt 0x0
	s_or_b32 exec_lo, exec_lo, s15
.LBB232_8:                              ;   in Loop: Header=BB232_10 Depth=1
	s_delay_alu instid0(SALU_CYCLE_1)
	s_or_b32 exec_lo, exec_lo, s11
	s_wait_loadcnt 0x1
	scratch_load_b32 v15, off, s32 offset:1788 ; 4-byte Folded Reload
	s_wait_loadcnt 0x1
	scratch_load_b32 v66, off, s32 offset:200 ; 4-byte Folded Reload
	v_mov_b32_e32 v14, v63
.LBB232_9:                              ;   in Loop: Header=BB232_10 Depth=1
	s_wait_xcnt 0x0
	s_or_b32 exec_lo, exec_lo, s4
	v_or_b32_e32 v1, v1, v57
	v_or_b32_e32 v0, v0, v56
	;; [unrolled: 1-line block ×6, first 2 shown]
	scratch_store_b64 off, v[0:1], s32 offset:1900 ; 8-byte Folded Spill
	s_wait_xcnt 0x0
	v_or_b32_e32 v1, v9, v59
	v_or_b32_e32 v0, v8, v58
	scratch_store_b64 off, v[12:13], s32 offset:1836 ; 8-byte Folded Spill
	s_wait_xcnt 0x0
	v_or_b32_e32 v13, v29, v37
	v_or_b32_e32 v12, v28, v36
	v_or_b32_e32 v69, v7, v69
	scratch_store_b64 off, v[0:1], s32 offset:1876 ; 8-byte Folded Spill
	s_wait_xcnt 0x0
	v_or_b32_e32 v1, v79, v45
	;; [unrolled: 5-line block ×3, first 2 shown]
	v_or_b32_e32 v2, v4, v88
	scratch_store_b64 off, v[0:1], s32 offset:1924 ; 8-byte Folded Spill
	s_wait_xcnt 0x0
	v_or_b32_e32 v1, v75, v47
	v_or_b32_e32 v0, v74, v46
	;; [unrolled: 1-line block ×4, first 2 shown]
	scratch_store_b64 off, v[2:3], s32 offset:1884 ; 8-byte Folded Spill
	s_wait_xcnt 0x0
	v_or_b32_e32 v3, v25, v49
	scratch_store_b64 off, v[0:1], s32 offset:1892 ; 8-byte Folded Spill
	s_wait_xcnt 0x0
	v_or_b32_e32 v1, v19, v17
	v_or_b32_e32 v0, v18, v16
	;; [unrolled: 1-line block ×3, first 2 shown]
	scratch_store_b64 off, v[0:1], s32 offset:1948 ; 8-byte Folded Spill
	s_wait_xcnt 0x0
	v_or_b32_e32 v1, v95, v43
	v_or_b32_e32 v0, v94, v42
	s_clause 0x1
	scratch_store_b64 off, v[2:3], s32 offset:1860
	scratch_store_b64 off, v[0:1], s32 offset:1908
	s_wait_xcnt 0x0
	v_or_b32_e32 v1, v103, v33
	v_or_b32_e32 v0, v102, v32
	scratch_store_b64 off, v[0:1], s32 offset:1964 ; 8-byte Folded Spill
	s_wait_xcnt 0x0
	v_or_b32_e32 v1, v99, v123
	v_or_b32_e32 v0, v98, v122
	scratch_store_b64 off, v[0:1], s32 offset:1940 ; 8-byte Folded Spill
	;; [unrolled: 4-line block ×11, first 2 shown]
	s_wait_xcnt 0x0
	v_or_b32_e32 v1, v87, v101
	v_or_b32_e32 v0, v86, v100
	s_clause 0x1
	scratch_store_b64 off, v[0:1], s32 offset:2020
	scratch_load_b64 v[0:1], off, s32 offset:1772 th:TH_LOAD_LU
	s_wait_loadcnt 0x0
	v_or_b32_e32 v1, v111, v1
	v_or_b32_e32 v0, v110, v0
	scratch_store_b64 off, v[0:1], s32 offset:2044 ; 8-byte Folded Spill
	s_wait_xcnt 0x0
	v_or_b32_e32 v1, v107, v125
	v_or_b32_e32 v0, v106, v124
	scratch_store_b64 off, v[12:13], s32 offset:1820 ; 8-byte Folded Spill
	s_wait_xcnt 0x0
	v_or_b32_e32 v13, v85, v35
	v_or_b32_e32 v12, v84, v34
	s_clause 0x1
	scratch_store_b64 off, v[0:1], s32 offset:1772
	scratch_store_b64 off, v[12:13], s32 offset:1852
	s_wait_xcnt 0x0
	v_or_b32_e32 v13, v83, v23
	v_or_b32_e32 v12, v82, v22
	scratch_store_b64 off, v[12:13], s32 offset:1828 ; 8-byte Folded Spill
	s_wait_xcnt 0x0
	v_or_b32_e32 v13, v39, v93
	v_or_b32_e32 v12, v38, v92
	s_clause 0x2
	scratch_store_b64 off, v[12:13], s32 offset:1868
	scratch_load_b64 v[126:127], off, s32 offset:1764 th:TH_LOAD_LU
	scratch_load_b64 v[0:1], off, s32 offset:1756 th:TH_LOAD_LU
	s_wait_loadcnt 0x0
	v_or_b32_e32 v1, v1, v127
	v_or_b32_e32 v0, v0, v126
	s_clause 0x2
	scratch_store_b64 off, v[0:1], s32 offset:1756
	scratch_load_b64 v[0:1], off, s32 offset:1748 th:TH_LOAD_LU
	scratch_load_b64 v[2:3], off, s32 offset:1780 th:TH_LOAD_LU
	s_wait_loadcnt 0x0
	;; [unrolled: 7-line block ×49, first 2 shown]
	v_or_b32_e32 v67, v127, v1
	v_or_b32_e32 v66, v126, v0
	s_clause 0x1
	scratch_load_b64 v[0:1], off, s32 offset:988 th:TH_LOAD_LU
	scratch_load_b64 v[2:3], off, s32 offset:996 th:TH_LOAD_LU
	s_wait_loadcnt 0x0
	v_or_b32_e32 v1, v1, v3
	v_or_b32_e32 v0, v0, v2
	s_clause 0x2
	scratch_store_b64 off, v[0:1], s32 offset:980
	scratch_load_b64 v[126:127], off, s32 offset:972 th:TH_LOAD_LU
	scratch_load_b64 v[0:1], off, s32 offset:948 th:TH_LOAD_LU
	s_wait_loadcnt 0x0
	v_or_b32_e32 v117, v127, v1
	v_or_b32_e32 v116, v126, v0
	s_clause 0x1
	scratch_load_b64 v[0:1], off, s32 offset:956 th:TH_LOAD_LU
	scratch_load_b64 v[2:3], off, s32 offset:964 th:TH_LOAD_LU
	s_wait_loadcnt 0x0
	v_or_b32_e32 v1, v1, v3
	v_or_b32_e32 v0, v0, v2
	s_clause 0x2
	scratch_store_b64 off, v[0:1], s32 offset:948
	scratch_load_b64 v[126:127], off, s32 offset:940 th:TH_LOAD_LU
	scratch_load_b64 v[0:1], off, s32 offset:916 th:TH_LOAD_LU
	s_wait_loadcnt 0x0
	v_or_b32_e32 v65, v127, v1
	v_or_b32_e32 v64, v126, v0
	s_clause 0x1
	scratch_load_b64 v[0:1], off, s32 offset:924 th:TH_LOAD_LU
	scratch_load_b64 v[2:3], off, s32 offset:932 th:TH_LOAD_LU
	s_wait_loadcnt 0x0
	v_or_b32_e32 v101, v1, v3
	v_or_b32_e32 v100, v0, v2
	s_clause 0x1
	;; [unrolled: 6-line block ×45, first 2 shown]
	scratch_load_b64 v[0:1], off, s32 offset:228 th:TH_LOAD_LU
	scratch_load_b64 v[2:3], off, s32 offset:236 th:TH_LOAD_LU
	;; [unrolled: 1-line block ×3, first 2 shown]
	scratch_load_b128 v[28:31], off, s32 offset:2100
	scratch_load_b128 v[4:7], off, s32 offset:2116
	;; [unrolled: 1-line block ×4, first 2 shown]
	s_wait_loadcnt 0x5
	v_or_b32_e32 v9, v1, v3
	v_or_b32_e32 v8, v0, v2
	scratch_load_b128 v[0:3], off, s32 offset:2084 ; 16-byte Folded Reload
	s_wait_loadcnt 0x5
	v_pk_mul_f32 v[82:83], v[114:115], v[82:83] op_sel_hi:[0,1]
	v_pk_mul_f32 v[26:27], v[114:115], v[26:27] op_sel_hi:[0,1]
	;; [unrolled: 1-line block ×4, first 2 shown]
	s_wait_loadcnt 0x4
	v_pk_mul_f32 v[82:83], v[28:29], v[82:83]
	s_delay_alu instid0(VALU_DEP_3)
	v_pk_mul_f32 v[38:39], v[30:31], v[38:39]
	scratch_load_b128 v[28:31], off, s32 offset:2292 ; 16-byte Folded Reload
	s_wait_loadcnt 0x1
	v_pk_fma_f32 v[26:27], v[0:1], v[26:27], v[82:83]
	v_pk_mul_f32 v[82:83], v[114:115], v[86:87] op_sel_hi:[0,1]
	v_dual_mov_b32 v86, v14 :: v_dual_mov_b32 v87, v15
	scratch_load_b128 v[14:17], off, s32 offset:2148 ; 16-byte Folded Reload
	v_pk_fma_f32 v[8:9], v[2:3], v[8:9], v[38:39]
	v_pk_fma_f32 v[26:27], v[4:5], v[82:83], v[26:27]
	v_pk_mul_f32 v[82:83], v[114:115], v[98:99] op_sel_hi:[0,1]
	v_pk_mul_f32 v[38:39], v[114:115], v[84:85] op_sel_hi:[0,1]
	v_add_nc_u32_e32 v87, 4, v87
	scratch_load_b128 v[0:3], off, s32 offset:2212 ; 16-byte Folded Reload
	v_pk_fma_f32 v[26:27], v[10:11], v[82:83], v[26:27]
	v_pk_mul_f32 v[82:83], v[114:115], v[102:103] op_sel_hi:[0,1]
	v_pk_fma_f32 v[8:9], v[6:7], v[38:39], v[8:9]
	v_pk_mul_f32 v[38:39], v[114:115], v[126:127] op_sel_hi:[0,1]
	scratch_load_b128 v[4:7], off, s32 offset:2228 ; 16-byte Folded Reload
	v_pk_mul_f32 v[10:11], v[114:115], v[48:49] op_sel_hi:[0,1]
	v_pk_fma_f32 v[8:9], v[12:13], v[38:39], v[8:9]
	v_pk_mul_f32 v[38:39], v[114:115], v[122:123] op_sel_hi:[0,1]
	s_wait_loadcnt 0x2
	v_pk_fma_f32 v[26:27], v[14:15], v[82:83], v[26:27]
	v_pk_mul_f32 v[82:83], v[114:115], v[18:19] op_sel_hi:[0,1]
	scratch_load_b128 v[18:21], off, s32 offset:2164 ; 16-byte Folded Reload
	v_pk_fma_f32 v[8:9], v[16:17], v[38:39], v[8:9]
	v_pk_mul_f32 v[38:39], v[114:115], v[110:111] op_sel_hi:[0,1]
	scratch_load_b128 v[12:15], off, s32 offset:2244 ; 16-byte Folded Reload
	s_wait_loadcnt 0x1
	v_pk_fma_f32 v[26:27], v[18:19], v[82:83], v[26:27]
	v_pk_mul_f32 v[82:83], v[114:115], v[60:61] op_sel_hi:[0,1]
	v_pk_fma_f32 v[8:9], v[20:21], v[38:39], v[8:9]
	v_pk_mul_f32 v[38:39], v[114:115], v[106:107] op_sel_hi:[0,1]
	scratch_load_b128 v[16:19], off, s32 offset:2260 ; 16-byte Folded Reload
	v_pk_fma_f32 v[26:27], v[22:23], v[82:83], v[26:27]
	v_pk_mul_f32 v[82:83], v[114:115], v[62:63] op_sel_hi:[0,1]
	scratch_load_b128 v[60:63], off, s32 offset:2196 ; 16-byte Folded Reload
	v_pk_fma_f32 v[8:9], v[24:25], v[38:39], v[8:9]
	scratch_load_b128 v[22:25], off, s32 offset:2276 ; 16-byte Folded Reload
	v_pk_mul_f32 v[38:39], v[114:115], v[94:95] op_sel_hi:[0,1]
	s_wait_loadcnt 0x1
	v_pk_fma_f32 v[26:27], v[60:61], v[82:83], v[26:27]
	s_delay_alu instid0(VALU_DEP_2)
	v_pk_fma_f32 v[8:9], v[62:63], v[38:39], v[8:9]
	v_pk_mul_f32 v[38:39], v[114:115], v[90:91] op_sel_hi:[0,1]
	s_clause 0x1
	scratch_load_b128 v[82:85], off, s32 offset:2324
	scratch_load_b128 v[60:63], off, s32 offset:2340
	v_pk_fma_f32 v[26:27], v[0:1], v[38:39], v[26:27]
	v_pk_mul_f32 v[38:39], v[114:115], v[72:73] op_sel_hi:[0,1]
	v_pk_mul_f32 v[0:1], v[114:115], v[64:65] op_sel_hi:[0,1]
	s_delay_alu instid0(VALU_DEP_2) | instskip(SKIP_1) | instid1(VALU_DEP_1)
	v_pk_fma_f32 v[26:27], v[4:5], v[38:39], v[26:27]
	v_pk_mul_f32 v[38:39], v[114:115], v[76:77] op_sel_hi:[0,1]
	v_pk_fma_f32 v[26:27], v[12:13], v[38:39], v[26:27]
	v_pk_mul_f32 v[38:39], v[114:115], v[50:51] op_sel_hi:[0,1]
	v_pk_mul_f32 v[12:13], v[114:115], v[34:35] op_sel_hi:[0,1]
	s_delay_alu instid0(VALU_DEP_2) | instskip(SKIP_1) | instid1(VALU_DEP_1)
	v_pk_fma_f32 v[26:27], v[16:17], v[38:39], v[26:27]
	s_wait_loadcnt 0x2
	v_pk_fma_f32 v[12:13], v[22:23], v[12:13], v[26:27]
	v_pk_mul_f32 v[26:27], v[114:115], v[52:53] op_sel_hi:[0,1]
	scratch_load_b128 v[50:53], off, s32 offset:2308 ; 16-byte Folded Reload
	v_pk_mul_f32 v[22:23], v[114:115], v[32:33] op_sel_hi:[0,1]
	v_pk_fma_f32 v[12:13], v[28:29], v[26:27], v[12:13]
	v_pk_mul_f32 v[26:27], v[114:115], v[124:125] op_sel_hi:[0,1]
	s_wait_loadcnt 0x0
	s_delay_alu instid0(VALU_DEP_1)
	v_pk_fma_f32 v[12:13], v[50:51], v[26:27], v[12:13]
	v_pk_mul_f32 v[26:27], v[114:115], v[108:109] op_sel_hi:[0,1]
	scratch_load_b128 v[48:51], off, s32 offset:2516 ; 16-byte Folded Reload
	v_pk_fma_f32 v[12:13], v[82:83], v[26:27], v[12:13]
	v_pk_mul_f32 v[26:27], v[114:115], v[92:93] op_sel_hi:[0,1]
	scratch_load_b128 v[90:93], off, s32 offset:2356 ; 16-byte Folded Reload
	v_pk_fma_f32 v[12:13], v[60:61], v[26:27], v[12:13]
	v_pk_mul_f32 v[26:27], v[114:115], v[56:57] op_sel_hi:[0,1]
	s_wait_loadcnt 0x0
	s_delay_alu instid0(VALU_DEP_1)
	v_pk_fma_f32 v[12:13], v[90:91], v[26:27], v[12:13]
	v_pk_mul_f32 v[26:27], v[114:115], v[58:59] op_sel_hi:[0,1]
	scratch_load_b128 v[56:59], off, s32 offset:2372 ; 16-byte Folded Reload
	s_wait_loadcnt 0x0
	v_pk_fma_f32 v[12:13], v[56:57], v[26:27], v[12:13]
	v_pk_mul_f32 v[26:27], v[114:115], v[78:79] op_sel_hi:[0,1]
	s_delay_alu instid0(VALU_DEP_1)
	v_pk_fma_f32 v[8:9], v[2:3], v[26:27], v[8:9]
	v_pk_mul_f32 v[26:27], v[114:115], v[74:75] op_sel_hi:[0,1]
	scratch_load_b64 v[2:3], off, s32 offset:1036 th:TH_LOAD_LU ; 8-byte Folded Reload
	v_pk_fma_f32 v[8:9], v[6:7], v[26:27], v[8:9]
	v_pk_mul_f32 v[26:27], v[114:115], v[36:37] op_sel_hi:[0,1]
	v_pk_mul_f32 v[6:7], v[114:115], v[54:55] op_sel_hi:[0,1]
	scratch_load_b128 v[34:37], off, s32 offset:2500 ; 16-byte Folded Reload
	v_pk_fma_f32 v[8:9], v[14:15], v[26:27], v[8:9]
	s_clause 0x1
	scratch_load_b128 v[14:17], off, s32 offset:2388
	scratch_load_b128 v[26:29], off, s32 offset:2468
	v_pk_fma_f32 v[8:9], v[18:19], v[22:23], v[8:9]
	scratch_load_b128 v[18:21], off, s32 offset:2420 ; 16-byte Folded Reload
	v_pk_fma_f32 v[8:9], v[24:25], v[10:11], v[8:9]
	v_pk_mul_f32 v[10:11], v[114:115], v[120:121] op_sel_hi:[0,1]
	scratch_load_b128 v[22:25], off, s32 offset:2452 ; 16-byte Folded Reload
	v_pk_fma_f32 v[8:9], v[30:31], v[10:11], v[8:9]
	v_pk_mul_f32 v[10:11], v[114:115], v[104:105] op_sel_hi:[0,1]
	;; [unrolled: 3-line block ×4, first 2 shown]
	s_delay_alu instid0(VALU_DEP_1) | instskip(SKIP_2) | instid1(VALU_DEP_2)
	v_pk_fma_f32 v[8:9], v[62:63], v[10:11], v[8:9]
	v_pk_mul_f32 v[10:11], v[114:115], v[42:43] op_sel_hi:[0,1]
	v_add_nc_u32_e32 v63, 0x80, v86
	v_pk_fma_f32 v[8:9], v[92:93], v[10:11], v[8:9]
	v_pk_mul_f32 v[10:11], v[114:115], v[70:71] op_sel_hi:[0,1]
	s_delay_alu instid0(VALU_DEP_2) | instskip(SKIP_2) | instid1(VALU_DEP_1)
	v_pk_fma_f32 v[6:7], v[58:59], v[6:7], v[8:9]
	v_pk_mul_f32 v[8:9], v[114:115], v[118:119] op_sel_hi:[0,1]
	s_wait_loadcnt 0x5
	v_pk_fma_f32 v[8:9], v[14:15], v[8:9], v[12:13]
	scratch_load_b128 v[12:15], off, s32 offset:2404 ; 16-byte Folded Reload
	s_wait_loadcnt 0x0
	v_pk_fma_f32 v[8:9], v[12:13], v[10:11], v[8:9]
	v_pk_mul_f32 v[10:11], v[114:115], v[80:81] op_sel_hi:[0,1]
	s_delay_alu instid0(VALU_DEP_1) | instskip(SKIP_4) | instid1(VALU_DEP_1)
	v_pk_fma_f32 v[8:9], v[18:19], v[10:11], v[8:9]
	scratch_load_b128 v[10:13], off, s32 offset:2436 ; 16-byte Folded Reload
	s_wait_loadcnt 0x0
	v_pk_fma_f32 v[0:1], v[10:11], v[0:1], v[8:9]
	v_pk_mul_f32 v[8:9], v[114:115], v[116:117] op_sel_hi:[0,1]
	v_pk_fma_f32 v[0:1], v[22:23], v[8:9], v[0:1]
	v_pk_mul_f32 v[8:9], v[114:115], v[66:67] op_sel_hi:[0,1]
	scratch_load_b128 v[64:67], off, s32 offset:2724 ; 16-byte Folded Reload
	v_pk_fma_f32 v[0:1], v[26:27], v[8:9], v[0:1]
	v_pk_mul_f32 v[8:9], v[114:115], v[2:3] op_sel_hi:[0,1]
	scratch_load_b64 v[2:3], off, s32 offset:1068 th:TH_LOAD_LU ; 8-byte Folded Reload
	v_pk_fma_f32 v[0:1], v[30:31], v[8:9], v[0:1]
	s_wait_loadcnt 0x0
	v_pk_mul_f32 v[8:9], v[114:115], v[2:3] op_sel_hi:[0,1]
	scratch_load_b64 v[2:3], off, s32 offset:1100 th:TH_LOAD_LU ; 8-byte Folded Reload
	v_pk_fma_f32 v[0:1], v[34:35], v[8:9], v[0:1]
	s_wait_loadcnt 0x0
	v_pk_mul_f32 v[8:9], v[114:115], v[2:3] op_sel_hi:[0,1]
	scratch_load_b64 v[2:3], off, s32 offset:1132 th:TH_LOAD_LU ; 8-byte Folded Reload
	v_pk_fma_f32 v[0:1], v[48:49], v[8:9], v[0:1]
	scratch_load_b128 v[8:11], off, s32 offset:2532 ; 16-byte Folded Reload
	s_wait_loadcnt 0x1
	v_pk_mul_f32 v[4:5], v[114:115], v[2:3] op_sel_hi:[0,1]
	scratch_load_b64 v[2:3], off, s32 offset:1164 th:TH_LOAD_LU ; 8-byte Folded Reload
	s_wait_loadcnt 0x1
	v_pk_fma_f32 v[0:1], v[8:9], v[4:5], v[0:1]
	v_pk_mul_f32 v[4:5], v[114:115], v[96:97] op_sel_hi:[0,1]
	s_wait_loadcnt 0x0
	v_pk_mul_f32 v[2:3], v[114:115], v[2:3] op_sel_hi:[0,1]
	s_delay_alu instid0(VALU_DEP_1) | instskip(SKIP_1) | instid1(VALU_DEP_1)
	v_pk_fma_f32 v[0:1], v[52:53], v[2:3], v[0:1]
	v_pk_mul_f32 v[2:3], v[114:115], v[112:113] op_sel_hi:[0,1]
	v_pk_fma_f32 v[2:3], v[16:17], v[2:3], v[6:7]
	scratch_load_b128 v[6:9], off, s32 offset:2564 ; 16-byte Folded Reload
	v_pk_fma_f32 v[2:3], v[14:15], v[4:5], v[2:3]
	v_pk_mul_f32 v[4:5], v[114:115], v[40:41] op_sel_hi:[0,1]
	scratch_load_b128 v[14:17], off, s32 offset:2596 ; 16-byte Folded Reload
	v_pk_fma_f32 v[2:3], v[20:21], v[4:5], v[2:3]
	v_pk_mul_f32 v[4:5], v[114:115], v[100:101] op_sel_hi:[0,1]
	scratch_load_b128 v[18:21], off, s32 offset:2612 ; 16-byte Folded Reload
	v_pk_fma_f32 v[2:3], v[12:13], v[4:5], v[2:3]
	scratch_load_b64 v[4:5], off, s32 offset:948 th:TH_LOAD_LU ; 8-byte Folded Reload
	s_wait_loadcnt 0x0
	v_pk_mul_f32 v[4:5], v[114:115], v[4:5] op_sel_hi:[0,1]
	s_delay_alu instid0(VALU_DEP_1)
	v_pk_fma_f32 v[2:3], v[24:25], v[4:5], v[2:3]
	s_clause 0x1
	scratch_load_b64 v[4:5], off, s32 offset:980 th:TH_LOAD_LU
	scratch_load_b128 v[22:25], off, s32 offset:2628
	s_wait_loadcnt 0x1
	v_pk_mul_f32 v[4:5], v[114:115], v[4:5] op_sel_hi:[0,1]
	s_delay_alu instid0(VALU_DEP_1)
	v_pk_fma_f32 v[2:3], v[28:29], v[4:5], v[2:3]
	s_clause 0x1
	scratch_load_b64 v[4:5], off, s32 offset:1012 th:TH_LOAD_LU
	scratch_load_b128 v[26:29], off, s32 offset:2644
	;; [unrolled: 7-line block ×7, first 2 shown]
	s_wait_loadcnt 0x1
	v_pk_mul_f32 v[4:5], v[114:115], v[4:5] op_sel_hi:[0,1]
	s_delay_alu instid0(VALU_DEP_1) | instskip(SKIP_3) | instid1(VALU_DEP_1)
	v_pk_fma_f32 v[0:1], v[6:7], v[4:5], v[0:1]
	scratch_load_b64 v[4:5], off, s32 offset:1228 th:TH_LOAD_LU ; 8-byte Folded Reload
	s_wait_loadcnt 0x0
	v_pk_mul_f32 v[4:5], v[114:115], v[4:5] op_sel_hi:[0,1]
	v_pk_fma_f32 v[0:1], v[10:11], v[4:5], v[0:1]
	scratch_load_b64 v[4:5], off, s32 offset:1260 th:TH_LOAD_LU ; 8-byte Folded Reload
	s_wait_loadcnt 0x0
	v_pk_mul_f32 v[4:5], v[114:115], v[4:5] op_sel_hi:[0,1]
	s_delay_alu instid0(VALU_DEP_1) | instskip(SKIP_3) | instid1(VALU_DEP_1)
	v_pk_fma_f32 v[0:1], v[14:15], v[4:5], v[0:1]
	scratch_load_b64 v[4:5], off, s32 offset:1292 th:TH_LOAD_LU ; 8-byte Folded Reload
	s_wait_loadcnt 0x0
	v_pk_mul_f32 v[4:5], v[114:115], v[4:5] op_sel_hi:[0,1]
	v_pk_fma_f32 v[0:1], v[18:19], v[4:5], v[0:1]
	scratch_load_b64 v[4:5], off, s32 offset:1324 th:TH_LOAD_LU ; 8-byte Folded Reload
	;; [unrolled: 9-line block ×5, first 2 shown]
	s_wait_loadcnt 0x0
	v_pk_mul_f32 v[4:5], v[114:115], v[4:5] op_sel_hi:[0,1]
	s_delay_alu instid0(VALU_DEP_1) | instskip(SKIP_3) | instid1(VALU_DEP_1)
	v_pk_fma_f32 v[0:1], v[64:65], v[4:5], v[0:1]
	scratch_load_b64 v[4:5], off, s32 offset:1172 th:TH_LOAD_LU ; 8-byte Folded Reload
	s_wait_loadcnt 0x0
	v_pk_mul_f32 v[4:5], v[114:115], v[4:5] op_sel_hi:[0,1]
	v_pk_fma_f32 v[2:3], v[8:9], v[4:5], v[2:3]
	s_clause 0x1
	scratch_load_b64 v[4:5], off, s32 offset:1204 th:TH_LOAD_LU
	scratch_load_b128 v[6:9], off, s32 offset:2740
	s_wait_loadcnt 0x1
	v_pk_mul_f32 v[4:5], v[114:115], v[4:5] op_sel_hi:[0,1]
	s_delay_alu instid0(VALU_DEP_1)
	v_pk_fma_f32 v[2:3], v[12:13], v[4:5], v[2:3]
	s_clause 0x1
	scratch_load_b64 v[4:5], off, s32 offset:1236 th:TH_LOAD_LU
	scratch_load_b128 v[10:13], off, s32 offset:2756
	s_wait_loadcnt 0x1
	v_pk_mul_f32 v[4:5], v[114:115], v[4:5] op_sel_hi:[0,1]
	s_delay_alu instid0(VALU_DEP_1)
	;; [unrolled: 7-line block ×10, first 2 shown]
	v_pk_fma_f32 v[2:3], v[66:67], v[4:5], v[2:3]
	s_clause 0x1
	scratch_load_b64 v[4:5], off, s32 offset:1548 th:TH_LOAD_LU
	scratch_load_b128 v[64:67], off, s32 offset:2900
	s_wait_loadcnt 0x1
	v_pk_mul_f32 v[4:5], v[114:115], v[4:5] op_sel_hi:[0,1]
	s_delay_alu instid0(VALU_DEP_1) | instskip(SKIP_3) | instid1(VALU_DEP_1)
	v_pk_fma_f32 v[0:1], v[6:7], v[4:5], v[0:1]
	scratch_load_b64 v[4:5], off, s32 offset:1580 th:TH_LOAD_LU ; 8-byte Folded Reload
	s_wait_loadcnt 0x0
	v_pk_mul_f32 v[4:5], v[114:115], v[4:5] op_sel_hi:[0,1]
	v_pk_fma_f32 v[0:1], v[10:11], v[4:5], v[0:1]
	scratch_load_b64 v[4:5], off, s32 offset:1612 th:TH_LOAD_LU ; 8-byte Folded Reload
	s_wait_loadcnt 0x0
	v_pk_mul_f32 v[4:5], v[114:115], v[4:5] op_sel_hi:[0,1]
	s_delay_alu instid0(VALU_DEP_1) | instskip(SKIP_3) | instid1(VALU_DEP_1)
	v_pk_fma_f32 v[0:1], v[14:15], v[4:5], v[0:1]
	scratch_load_b64 v[4:5], off, s32 offset:1644 th:TH_LOAD_LU ; 8-byte Folded Reload
	s_wait_loadcnt 0x0
	v_pk_mul_f32 v[4:5], v[114:115], v[4:5] op_sel_hi:[0,1]
	v_pk_fma_f32 v[0:1], v[18:19], v[4:5], v[0:1]
	scratch_load_b64 v[4:5], off, s32 offset:1676 th:TH_LOAD_LU ; 8-byte Folded Reload
	;; [unrolled: 9-line block ×5, first 2 shown]
	s_wait_loadcnt 0x0
	v_pk_mul_f32 v[4:5], v[114:115], v[4:5] op_sel_hi:[0,1]
	s_delay_alu instid0(VALU_DEP_1) | instskip(SKIP_3) | instid1(VALU_DEP_1)
	v_pk_fma_f32 v[0:1], v[64:65], v[4:5], v[0:1]
	scratch_load_b64 v[4:5], off, s32 offset:1524 th:TH_LOAD_LU ; 8-byte Folded Reload
	s_wait_loadcnt 0x0
	v_pk_mul_f32 v[4:5], v[114:115], v[4:5] op_sel_hi:[0,1]
	v_pk_fma_f32 v[2:3], v[8:9], v[4:5], v[2:3]
	s_clause 0x1
	scratch_load_b64 v[4:5], off, s32 offset:1556 th:TH_LOAD_LU
	scratch_load_b128 v[6:9], off, s32 offset:2916
	s_wait_loadcnt 0x1
	v_pk_mul_f32 v[4:5], v[114:115], v[4:5] op_sel_hi:[0,1]
	s_delay_alu instid0(VALU_DEP_1)
	v_pk_fma_f32 v[2:3], v[12:13], v[4:5], v[2:3]
	s_clause 0x1
	scratch_load_b64 v[4:5], off, s32 offset:1588 th:TH_LOAD_LU
	scratch_load_b128 v[10:13], off, s32 offset:2932
	s_wait_loadcnt 0x1
	v_pk_mul_f32 v[4:5], v[114:115], v[4:5] op_sel_hi:[0,1]
	s_delay_alu instid0(VALU_DEP_1)
	v_pk_fma_f32 v[2:3], v[16:17], v[4:5], v[2:3]
	s_clause 0x1
	scratch_load_b64 v[4:5], off, s32 offset:1620 th:TH_LOAD_LU
	scratch_load_b128 v[14:17], off, s32 offset:2948
	s_wait_loadcnt 0x1
	v_pk_mul_f32 v[4:5], v[114:115], v[4:5] op_sel_hi:[0,1]
	s_delay_alu instid0(VALU_DEP_1)
	v_pk_fma_f32 v[2:3], v[20:21], v[4:5], v[2:3]
	s_clause 0x1
	scratch_load_b64 v[4:5], off, s32 offset:1652 th:TH_LOAD_LU
	scratch_load_b128 v[18:21], off, s32 offset:2964
	s_wait_loadcnt 0x1
	v_pk_mul_f32 v[4:5], v[114:115], v[4:5] op_sel_hi:[0,1]
	s_delay_alu instid0(VALU_DEP_1)
	v_pk_fma_f32 v[2:3], v[24:25], v[4:5], v[2:3]
	s_clause 0x1
	scratch_load_b64 v[4:5], off, s32 offset:1684 th:TH_LOAD_LU
	scratch_load_b128 v[22:25], off, s32 offset:2980
	s_wait_loadcnt 0x1
	v_pk_mul_f32 v[4:5], v[114:115], v[4:5] op_sel_hi:[0,1]
	s_delay_alu instid0(VALU_DEP_1)
	v_pk_fma_f32 v[2:3], v[28:29], v[4:5], v[2:3]
	s_clause 0x1
	scratch_load_b64 v[4:5], off, s32 offset:1716 th:TH_LOAD_LU
	scratch_load_b128 v[26:29], off, s32 offset:2996
	s_wait_loadcnt 0x1
	v_pk_mul_f32 v[4:5], v[114:115], v[4:5] op_sel_hi:[0,1]
	s_delay_alu instid0(VALU_DEP_1)
	v_pk_fma_f32 v[2:3], v[32:33], v[4:5], v[2:3]
	s_clause 0x1
	scratch_load_b64 v[4:5], off, s32 offset:1748 th:TH_LOAD_LU
	scratch_load_b128 v[30:33], off, s32 offset:3012
	s_wait_loadcnt 0x1
	v_pk_mul_f32 v[4:5], v[114:115], v[4:5] op_sel_hi:[0,1]
	s_delay_alu instid0(VALU_DEP_1)
	v_pk_fma_f32 v[2:3], v[36:37], v[4:5], v[2:3]
	s_clause 0x1
	scratch_load_b64 v[4:5], off, s32 offset:1772 th:TH_LOAD_LU
	scratch_load_b128 v[34:37], off, s32 offset:3028
	s_wait_loadcnt 0x1
	v_pk_mul_f32 v[4:5], v[114:115], v[4:5] op_sel_hi:[0,1]
	s_delay_alu instid0(VALU_DEP_1)
	v_pk_fma_f32 v[2:3], v[50:51], v[4:5], v[2:3]
	s_clause 0x1
	scratch_load_b64 v[4:5], off, s32 offset:2020 th:TH_LOAD_LU
	scratch_load_b128 v[48:51], off, s32 offset:3044
	s_wait_loadcnt 0x1
	v_pk_mul_f32 v[4:5], v[114:115], v[4:5] op_sel_hi:[0,1]
	s_delay_alu instid0(VALU_DEP_1)
	v_pk_fma_f32 v[2:3], v[54:55], v[4:5], v[2:3]
	s_clause 0x1
	scratch_load_b64 v[4:5], off, s32 offset:2012 th:TH_LOAD_LU
	scratch_load_b128 v[52:55], off, s32 offset:3060
	s_wait_loadcnt 0x1
	v_pk_mul_f32 v[4:5], v[114:115], v[4:5] op_sel_hi:[0,1]
	s_delay_alu instid0(VALU_DEP_1)
	v_pk_fma_f32 v[2:3], v[66:67], v[4:5], v[2:3]
	s_clause 0x1
	scratch_load_b64 v[4:5], off, s32 offset:2004 th:TH_LOAD_LU
	scratch_load_b128 v[64:67], off, s32 offset:3076
	s_wait_loadcnt 0x1
	v_pk_mul_f32 v[4:5], v[114:115], v[4:5] op_sel_hi:[0,1]
	s_delay_alu instid0(VALU_DEP_1) | instskip(SKIP_4) | instid1(VALU_DEP_1)
	v_pk_fma_f32 v[0:1], v[6:7], v[4:5], v[0:1]
	scratch_load_b64 v[4:5], off, s32 offset:1996 th:TH_LOAD_LU ; 8-byte Folded Reload
	v_pk_mul_f32 v[6:7], v[114:115], v[68:69] op_sel_hi:[0,1]
	s_wait_loadcnt 0x0
	v_pk_mul_f32 v[4:5], v[114:115], v[4:5] op_sel_hi:[0,1]
	v_pk_fma_f32 v[0:1], v[10:11], v[4:5], v[0:1]
	scratch_load_b64 v[4:5], off, s32 offset:1980 th:TH_LOAD_LU ; 8-byte Folded Reload
	s_wait_loadcnt 0x0
	v_pk_mul_f32 v[4:5], v[114:115], v[4:5] op_sel_hi:[0,1]
	s_delay_alu instid0(VALU_DEP_1) | instskip(SKIP_3) | instid1(VALU_DEP_1)
	v_pk_fma_f32 v[0:1], v[14:15], v[4:5], v[0:1]
	scratch_load_b64 v[4:5], off, s32 offset:1964 th:TH_LOAD_LU ; 8-byte Folded Reload
	s_wait_loadcnt 0x0
	v_pk_mul_f32 v[4:5], v[114:115], v[4:5] op_sel_hi:[0,1]
	v_pk_fma_f32 v[0:1], v[18:19], v[4:5], v[0:1]
	scratch_load_b64 v[4:5], off, s32 offset:1948 th:TH_LOAD_LU ; 8-byte Folded Reload
	s_wait_loadcnt 0x0
	v_pk_mul_f32 v[4:5], v[114:115], v[4:5] op_sel_hi:[0,1]
	s_delay_alu instid0(VALU_DEP_1) | instskip(SKIP_3) | instid1(VALU_DEP_1)
	v_pk_fma_f32 v[0:1], v[22:23], v[4:5], v[0:1]
	scratch_load_b64 v[4:5], off, s32 offset:1924 th:TH_LOAD_LU ; 8-byte Folded Reload
	;; [unrolled: 9-line block ×5, first 2 shown]
	s_wait_loadcnt 0x0
	v_pk_mul_f32 v[4:5], v[114:115], v[4:5] op_sel_hi:[0,1]
	v_pk_fma_f32 v[2:3], v[8:9], v[4:5], v[2:3]
	scratch_load_b64 v[4:5], off, s32 offset:1972 th:TH_LOAD_LU ; 8-byte Folded Reload
	v_pk_mul_f32 v[8:9], v[114:115], v[46:47] op_sel_hi:[0,1]
	s_wait_loadcnt 0x0
	v_pk_mul_f32 v[4:5], v[114:115], v[4:5] op_sel_hi:[0,1]
	s_delay_alu instid0(VALU_DEP_1)
	v_pk_fma_f32 v[2:3], v[12:13], v[4:5], v[2:3]
	s_clause 0x1
	scratch_load_b64 v[4:5], off, s32 offset:1956 th:TH_LOAD_LU
	scratch_load_b128 v[10:13], off, s32 offset:3092
	s_wait_loadcnt 0x1
	v_pk_mul_f32 v[4:5], v[114:115], v[4:5] op_sel_hi:[0,1]
	s_wait_loadcnt 0x0
	v_pk_fma_f32 v[0:1], v[10:11], v[6:7], v[0:1]
	s_clause 0x1
	scratch_load_b32 v6, off, s32 offset:200 th:TH_LOAD_LU
	scratch_load_b32 v10, off, s32 offset:1796 th:TH_LOAD_LU
	v_pk_fma_f32 v[2:3], v[16:17], v[4:5], v[2:3]
	scratch_load_b64 v[4:5], off, s32 offset:1940 th:TH_LOAD_LU ; 8-byte Folded Reload
	v_add_f32_e32 v0, v0, v1
	s_wait_loadcnt 0x0
	v_pk_mul_f32 v[4:5], v[114:115], v[4:5] op_sel_hi:[0,1]
	s_delay_alu instid0(VALU_DEP_1) | instskip(SKIP_3) | instid1(VALU_DEP_1)
	v_pk_fma_f32 v[2:3], v[20:21], v[4:5], v[2:3]
	scratch_load_b64 v[4:5], off, s32 offset:1908 th:TH_LOAD_LU ; 8-byte Folded Reload
	s_wait_loadcnt 0x0
	v_pk_mul_f32 v[4:5], v[114:115], v[4:5] op_sel_hi:[0,1]
	v_pk_fma_f32 v[2:3], v[24:25], v[4:5], v[2:3]
	scratch_load_b64 v[4:5], off, s32 offset:1892 th:TH_LOAD_LU ; 8-byte Folded Reload
	s_wait_loadcnt 0x0
	v_pk_mul_f32 v[4:5], v[114:115], v[4:5] op_sel_hi:[0,1]
	s_delay_alu instid0(VALU_DEP_1) | instskip(SKIP_3) | instid1(VALU_DEP_1)
	v_pk_fma_f32 v[2:3], v[28:29], v[4:5], v[2:3]
	scratch_load_b64 v[4:5], off, s32 offset:1876 th:TH_LOAD_LU ; 8-byte Folded Reload
	s_wait_loadcnt 0x0
	v_pk_mul_f32 v[4:5], v[114:115], v[4:5] op_sel_hi:[0,1]
	v_pk_fma_f32 v[2:3], v[32:33], v[4:5], v[2:3]
	scratch_load_b64 v[4:5], off, s32 offset:1860 th:TH_LOAD_LU ; 8-byte Folded Reload
	;; [unrolled: 9-line block ×4, first 2 shown]
	v_pk_fma_f32 v[2:3], v[12:13], v[8:9], v[2:3]
	s_delay_alu instid0(VALU_DEP_1) | instskip(NEXT) | instid1(VALU_DEP_1)
	v_dual_mov_b32 v8, v87 :: v_dual_add_f32 v0, v2, v0
	v_add_f32_e32 v0, v3, v0
	scratch_load_b64 v[2:3], off, s32 offset:1916 ; 8-byte Folded Reload
	s_wait_loadcnt 0x0
	scratch_load_b32 v3, off, s32 offset:2052 ; 4-byte Folded Reload
	v_add_nc_u64_e32 v[4:5], 16, v[4:5]
	v_sub_nc_u32_e32 v1, 1, v2
	v_cmp_lt_i32_e64 s1, v86, v2
	s_delay_alu instid0(VALU_DEP_2) | instskip(NEXT) | instid1(VALU_DEP_1)
	v_add_nc_u32_e32 v1, v1, v86
	v_cvt_f32_i32_e32 v1, v1
	s_wait_loadcnt 0x0
	s_delay_alu instid0(VALU_DEP_1) | instskip(SKIP_3) | instid1(VALU_DEP_1)
	v_mul_f32_e32 v1, v3, v1
	scratch_load_b32 v3, off, s32 offset:2068 ; 4-byte Folded Reload
	v_cndmask_b32_e32 v1, 0, v1, vcc_lo
	s_wait_loadcnt 0x0
	v_dual_fmac_f32 v1, v3, v0 :: v_dual_max_num_f32 v0, v10, v10
	s_delay_alu instid0(VALU_DEP_1) | instskip(NEXT) | instid1(VALU_DEP_1)
	v_dual_max_num_f32 v0, v0, v1 :: v_dual_cndmask_b32 v1, 0, v1, s1
	v_cndmask_b32_e64 v10, v10, v0, s1
	scratch_load_b32 v0, off, s32 offset:208 ; 4-byte Folded Reload
	ds_store_b32 v6, v1
	v_add_nc_u32_e32 v6, 0x200, v6
	s_wait_loadcnt 0x0
	v_cmp_ge_i32_e64 s1, v87, v0
	s_or_b32 s3, s1, s3
	s_wait_xcnt 0x0
	s_and_not1_b32 exec_lo, exec_lo, s3
	s_cbranch_execz .LBB232_2055
.LBB232_10:                             ; =>This Inner Loop Header: Depth=1
	s_clause 0x3
	scratch_store_b32 off, v8, s32 offset:1788
	scratch_store_b32 off, v6, s32 offset:200
	scratch_store_b32 off, v10, s32 offset:1796
	scratch_store_b64 off, v[4:5], s32 offset:1804
	flat_load_b32 v0, v[4:5]
	s_clause 0x1
	scratch_load_b64 v[2:3], off, s32 offset:1932
	scratch_load_b64 v[4:5], off, s32 offset:2076
	s_mov_b32 s4, exec_lo
	s_wait_loadcnt_dscnt 0x0
	v_mad_nc_i64_i32 v[66:67], v0, v2, v[4:5]
	flat_load_b32 v0, v[66:67]
	scratch_load_b64 v[2:3], off, s32 offset:2060 ; 8-byte Folded Reload
	s_wait_loadcnt_dscnt 0x100
	v_and_b32_e32 v1, 0xff, v0
	s_wait_loadcnt 0x0
	flat_load_b32 v2, v[2:3]
	s_wait_loadcnt_dscnt 0x0
	scratch_store_b64 off, v[2:3], s32 offset:1812 ; 8-byte Folded Spill
	s_wait_xcnt 0x0
	v_mov_b64_e32 v[2:3], 0
	scratch_store_b64 off, v[2:3], s32 offset:212 ; 8-byte Folded Spill
	s_wait_xcnt 0x0
	v_mov_b64_e32 v[2:3], 0
	scratch_store_b64 off, v[2:3], s32 offset:220 ; 8-byte Folded Spill
	s_wait_xcnt 0x0
	v_cmpx_ne_u16_e32 0, v1
	s_cbranch_execz .LBB232_18
; %bb.11:                               ;   in Loop: Header=BB232_10 Depth=1
	v_mov_b64_e32 v[2:3], 0x80000000
	s_mov_b32 s11, exec_lo
	scratch_store_b64 off, v[2:3], s32 offset:220 ; 8-byte Folded Spill
	s_wait_xcnt 0x0
	v_cmpx_ne_u16_e32 0x80, v1
	s_cbranch_execz .LBB232_17
; %bb.12:                               ;   in Loop: Header=BB232_10 Depth=1
	v_mov_b64_e32 v[4:5], 0x7f800001
	v_and_b32_e32 v2, 0x7f, v0
	s_mov_b32 s15, exec_lo
	scratch_store_b64 off, v[4:5], s32 offset:220 ; 8-byte Folded Spill
	s_wait_xcnt 0x0
	v_cmpx_ne_u32_e32 0x7f, v2
	s_cbranch_execz .LBB232_16
; %bb.13:                               ;   in Loop: Header=BB232_10 Depth=1
	scratch_load_b64 v[4:5], off, s32 offset:192 th:TH_LOAD_LU ; 8-byte Folded Reload
	s_wait_loadcnt 0x0
	v_dual_lshrrev_b32 v1, 3, v2 :: v_dual_bitop2_b32 v4, 7, v0 bitop3:0x40
	s_mov_b32 s16, exec_lo
	s_wait_xcnt 0x0
	v_cmpx_gt_u32_e32 8, v2
; %bb.14:                               ;   in Loop: Header=BB232_10 Depth=1
	s_delay_alu instid0(VALU_DEP_2) | instskip(NEXT) | instid1(VALU_DEP_1)
	v_clz_i32_u32_e32 v1, v4
	v_min_u32_e32 v1, 32, v1
	s_delay_alu instid0(VALU_DEP_1) | instskip(NEXT) | instid1(VALU_DEP_1)
	v_subrev_nc_u32_e32 v2, 28, v1
	v_lshlrev_b64_e32 v[2:3], v2, v[4:5]
	s_delay_alu instid0(VALU_DEP_1)
	v_dual_sub_nc_u32 v1, 29, v1 :: v_dual_bitop2_b32 v4, 7, v2 bitop3:0x40
; %bb.15:                               ;   in Loop: Header=BB232_10 Depth=1
	s_or_b32 exec_lo, exec_lo, s16
	v_lshlrev_b32_e32 v2, 24, v0
	s_delay_alu instid0(VALU_DEP_2) | instskip(NEXT) | instid1(VALU_DEP_3)
	v_lshlrev_b32_e32 v3, 20, v4
	v_lshl_add_u32 v1, v1, 23, 0x3c000000
	s_delay_alu instid0(VALU_DEP_3) | instskip(NEXT) | instid1(VALU_DEP_1)
	v_and_b32_e32 v2, 0x80000000, v2
	v_or3_b32 v4, v3, v2, v1
	v_mov_b32_e32 v1, v5
	s_clause 0x1
	scratch_store_b64 off, v[0:1], s32 offset:192
	scratch_store_b64 off, v[4:5], s32 offset:220
.LBB232_16:                             ;   in Loop: Header=BB232_10 Depth=1
	s_wait_xcnt 0x0
	s_or_b32 exec_lo, exec_lo, s15
.LBB232_17:                             ;   in Loop: Header=BB232_10 Depth=1
	s_delay_alu instid0(SALU_CYCLE_1)
	s_or_b32 exec_lo, exec_lo, s11
.LBB232_18:                             ;   in Loop: Header=BB232_10 Depth=1
	s_delay_alu instid0(SALU_CYCLE_1) | instskip(SKIP_2) | instid1(VALU_DEP_1)
	s_or_b32 exec_lo, exec_lo, s4
	v_lshrrev_b16 v1, 8, v0
	s_mov_b32 s4, exec_lo
	v_cmpx_ne_u16_e32 0, v1
	s_cbranch_execz .LBB232_26
; %bb.19:                               ;   in Loop: Header=BB232_10 Depth=1
	v_mov_b64_e32 v[2:3], 0x8000000000000000
	s_mov_b32 s11, exec_lo
	scratch_store_b64 off, v[2:3], s32 offset:212 ; 8-byte Folded Spill
	s_wait_xcnt 0x0
	v_cmpx_ne_u16_e32 0x80, v1
	s_cbranch_execz .LBB232_25
; %bb.20:                               ;   in Loop: Header=BB232_10 Depth=1
	v_and_b32_e32 v1, 0xffff, v1
	v_mov_b64_e32 v[4:5], 0x7f80000100000000
	s_mov_b32 s15, exec_lo
	s_delay_alu instid0(VALU_DEP_2)
	v_and_b32_e32 v2, 0x7f, v1
	scratch_store_b64 off, v[4:5], s32 offset:212 ; 8-byte Folded Spill
	s_wait_xcnt 0x0
	v_cmpx_ne_u32_e32 0x7f, v2
	s_cbranch_execz .LBB232_24
; %bb.21:                               ;   in Loop: Header=BB232_10 Depth=1
	scratch_load_b64 v[4:5], off, s32 offset:192 th:TH_LOAD_LU ; 8-byte Folded Reload
	s_wait_loadcnt 0x0
	v_dual_lshrrev_b32 v1, 3, v2 :: v_dual_bitop2_b32 v4, 7, v1 bitop3:0x40
	s_mov_b32 s16, exec_lo
	s_wait_xcnt 0x0
	v_cmpx_gt_u32_e32 8, v2
; %bb.22:                               ;   in Loop: Header=BB232_10 Depth=1
	s_delay_alu instid0(VALU_DEP_2) | instskip(NEXT) | instid1(VALU_DEP_1)
	v_clz_i32_u32_e32 v1, v4
	v_min_u32_e32 v1, 32, v1
	s_delay_alu instid0(VALU_DEP_1) | instskip(NEXT) | instid1(VALU_DEP_1)
	v_subrev_nc_u32_e32 v2, 28, v1
	v_lshlrev_b64_e32 v[2:3], v2, v[4:5]
	s_delay_alu instid0(VALU_DEP_1)
	v_dual_sub_nc_u32 v1, 29, v1 :: v_dual_bitop2_b32 v4, 7, v2 bitop3:0x40
; %bb.23:                               ;   in Loop: Header=BB232_10 Depth=1
	s_or_b32 exec_lo, exec_lo, s16
	v_lshlrev_b32_e32 v2, 16, v0
	s_delay_alu instid0(VALU_DEP_2) | instskip(NEXT) | instid1(VALU_DEP_3)
	v_lshlrev_b32_e32 v3, 20, v4
	v_lshl_add_u32 v1, v1, 23, 0x3c000000
	s_delay_alu instid0(VALU_DEP_3) | instskip(NEXT) | instid1(VALU_DEP_1)
	v_and_b32_e32 v2, 0x80000000, v2
	v_or3_b32 v3, v3, v2, v1
	v_dual_mov_b32 v1, v5 :: v_dual_mov_b32 v2, v5
	s_clause 0x1
	scratch_store_b64 off, v[0:1], s32 offset:192
	scratch_store_b64 off, v[2:3], s32 offset:212
.LBB232_24:                             ;   in Loop: Header=BB232_10 Depth=1
	s_wait_xcnt 0x0
	s_or_b32 exec_lo, exec_lo, s15
.LBB232_25:                             ;   in Loop: Header=BB232_10 Depth=1
	s_delay_alu instid0(SALU_CYCLE_1)
	s_or_b32 exec_lo, exec_lo, s11
.LBB232_26:                             ;   in Loop: Header=BB232_10 Depth=1
	s_delay_alu instid0(SALU_CYCLE_1) | instskip(SKIP_3) | instid1(VALU_DEP_1)
	s_or_b32 exec_lo, exec_lo, s4
	v_mov_b64_e32 v[4:5], 0
	v_lshrrev_b32_e32 v1, 16, v0
	s_mov_b32 s4, exec_lo
	v_and_b32_e32 v2, 0xff, v1
	scratch_store_b64 off, v[4:5], s32 offset:228 ; 8-byte Folded Spill
	s_wait_xcnt 0x0
	v_mov_b64_e32 v[4:5], 0
	scratch_store_b64 off, v[4:5], s32 offset:236 ; 8-byte Folded Spill
	s_wait_xcnt 0x0
	v_cmpx_ne_u16_e32 0, v2
	s_cbranch_execz .LBB232_34
; %bb.27:                               ;   in Loop: Header=BB232_10 Depth=1
	v_cmp_ne_u16_e64 s1, 0x80, v2
	v_mov_b64_e32 v[2:3], 0x80000000
	scratch_store_b64 off, v[2:3], s32 offset:236 ; 8-byte Folded Spill
	s_wait_xcnt 0x0
	s_and_saveexec_b32 s11, s1
	s_cbranch_execz .LBB232_33
; %bb.28:                               ;   in Loop: Header=BB232_10 Depth=1
	v_mov_b64_e32 v[4:5], 0x7f800001
	v_bfe_u32 v3, v0, 16, 7
	s_mov_b32 s15, exec_lo
	scratch_store_b64 off, v[4:5], s32 offset:236 ; 8-byte Folded Spill
	s_wait_xcnt 0x0
	v_cmpx_ne_u32_e32 0x7f, v3
	s_cbranch_execz .LBB232_32
; %bb.29:                               ;   in Loop: Header=BB232_10 Depth=1
	scratch_load_b64 v[6:7], off, s32 offset:192 th:TH_LOAD_LU ; 8-byte Folded Reload
	s_wait_loadcnt 0x0
	v_dual_lshrrev_b32 v2, 3, v3 :: v_dual_bitop2_b32 v6, 7, v1 bitop3:0x40
	s_mov_b32 s16, exec_lo
	s_wait_xcnt 0x0
	v_cmpx_gt_u32_e32 8, v3
; %bb.30:                               ;   in Loop: Header=BB232_10 Depth=1
	s_delay_alu instid0(VALU_DEP_2) | instskip(NEXT) | instid1(VALU_DEP_1)
	v_clz_i32_u32_e32 v2, v6
	v_min_u32_e32 v2, 32, v2
	s_delay_alu instid0(VALU_DEP_1) | instskip(NEXT) | instid1(VALU_DEP_1)
	v_subrev_nc_u32_e32 v3, 28, v2
	v_lshlrev_b64_e32 v[4:5], v3, v[6:7]
	s_delay_alu instid0(VALU_DEP_1)
	v_dual_sub_nc_u32 v2, 29, v2 :: v_dual_bitop2_b32 v6, 7, v4 bitop3:0x40
; %bb.31:                               ;   in Loop: Header=BB232_10 Depth=1
	s_or_b32 exec_lo, exec_lo, s16
	s_delay_alu instid0(VALU_DEP_1) | instskip(NEXT) | instid1(VALU_DEP_2)
	v_dual_lshlrev_b32 v1, 24, v1 :: v_dual_lshlrev_b32 v3, 20, v6
	v_lshl_add_u32 v2, v2, 23, 0x3c000000
	s_delay_alu instid0(VALU_DEP_2) | instskip(NEXT) | instid1(VALU_DEP_1)
	v_and_b32_e32 v1, 0x80000000, v1
	v_or3_b32 v6, v3, v1, v2
	v_mov_b32_e32 v1, v7
	s_clause 0x1
	scratch_store_b64 off, v[0:1], s32 offset:192
	scratch_store_b64 off, v[6:7], s32 offset:236
.LBB232_32:                             ;   in Loop: Header=BB232_10 Depth=1
	s_wait_xcnt 0x0
	s_or_b32 exec_lo, exec_lo, s15
.LBB232_33:                             ;   in Loop: Header=BB232_10 Depth=1
	s_delay_alu instid0(SALU_CYCLE_1)
	s_or_b32 exec_lo, exec_lo, s11
.LBB232_34:                             ;   in Loop: Header=BB232_10 Depth=1
	s_delay_alu instid0(SALU_CYCLE_1) | instskip(NEXT) | instid1(SALU_CYCLE_1)
	s_or_b32 exec_lo, exec_lo, s4
	s_mov_b32 s4, exec_lo
	v_cmpx_lt_u32_e32 0xffffff, v0
	s_cbranch_execz .LBB232_42
; %bb.35:                               ;   in Loop: Header=BB232_10 Depth=1
	v_mov_b64_e32 v[2:3], 0x8000000000000000
	v_lshrrev_b32_e32 v1, 24, v0
	s_mov_b32 s11, exec_lo
	scratch_store_b64 off, v[2:3], s32 offset:228 ; 8-byte Folded Spill
	s_wait_xcnt 0x0
	v_cmpx_ne_u32_e32 0x80, v1
	s_cbranch_execz .LBB232_41
; %bb.36:                               ;   in Loop: Header=BB232_10 Depth=1
	v_mov_b64_e32 v[4:5], 0x7f80000100000000
	v_bfe_u32 v2, v0, 24, 7
	s_mov_b32 s15, exec_lo
	scratch_store_b64 off, v[4:5], s32 offset:228 ; 8-byte Folded Spill
	s_wait_xcnt 0x0
	v_cmpx_ne_u32_e32 0x7f, v2
	s_cbranch_execz .LBB232_40
; %bb.37:                               ;   in Loop: Header=BB232_10 Depth=1
	scratch_load_b64 v[4:5], off, s32 offset:192 th:TH_LOAD_LU ; 8-byte Folded Reload
	s_wait_loadcnt 0x0
	v_dual_lshrrev_b32 v0, 3, v2 :: v_dual_bitop2_b32 v4, 7, v1 bitop3:0x40
	s_mov_b32 s16, exec_lo
	s_wait_xcnt 0x0
	v_cmpx_gt_u32_e32 8, v2
; %bb.38:                               ;   in Loop: Header=BB232_10 Depth=1
	s_delay_alu instid0(VALU_DEP_2) | instskip(NEXT) | instid1(VALU_DEP_1)
	v_clz_i32_u32_e32 v0, v4
	v_min_u32_e32 v0, 32, v0
	s_delay_alu instid0(VALU_DEP_1) | instskip(NEXT) | instid1(VALU_DEP_1)
	v_subrev_nc_u32_e32 v2, 28, v0
	v_lshlrev_b64_e32 v[2:3], v2, v[4:5]
	s_delay_alu instid0(VALU_DEP_1)
	v_dual_sub_nc_u32 v0, 29, v0 :: v_dual_bitop2_b32 v4, 7, v2 bitop3:0x40
; %bb.39:                               ;   in Loop: Header=BB232_10 Depth=1
	s_or_b32 exec_lo, exec_lo, s16
	s_delay_alu instid0(VALU_DEP_1) | instskip(NEXT) | instid1(VALU_DEP_2)
	v_dual_lshlrev_b32 v1, 24, v1 :: v_dual_lshlrev_b32 v2, 20, v4
	v_lshl_add_u32 v0, v0, 23, 0x3c000000
	s_delay_alu instid0(VALU_DEP_2) | instskip(NEXT) | instid1(VALU_DEP_1)
	v_and_b32_e32 v1, 0x80000000, v1
	v_or3_b32 v3, v2, v1, v0
	v_dual_mov_b32 v1, v5 :: v_dual_mov_b32 v2, v5
	s_clause 0x1
	scratch_store_b64 off, v[0:1], s32 offset:192
	scratch_store_b64 off, v[2:3], s32 offset:228
.LBB232_40:                             ;   in Loop: Header=BB232_10 Depth=1
	s_wait_xcnt 0x0
	s_or_b32 exec_lo, exec_lo, s15
.LBB232_41:                             ;   in Loop: Header=BB232_10 Depth=1
	s_delay_alu instid0(SALU_CYCLE_1)
	s_or_b32 exec_lo, exec_lo, s11
.LBB232_42:                             ;   in Loop: Header=BB232_10 Depth=1
	s_delay_alu instid0(SALU_CYCLE_1)
	s_or_b32 exec_lo, exec_lo, s4
	flat_load_b32 v0, v[66:67] offset:4
	v_mov_b64_e32 v[2:3], 0
	s_mov_b32 s4, exec_lo
	scratch_store_b64 off, v[2:3], s32 offset:244 ; 8-byte Folded Spill
	s_wait_xcnt 0x0
	v_mov_b64_e32 v[2:3], 0
	scratch_store_b64 off, v[2:3], s32 offset:252 ; 8-byte Folded Spill
	s_wait_loadcnt_dscnt 0x0
	v_and_b32_e32 v1, 0xff, v0
	s_wait_xcnt 0x0
	s_delay_alu instid0(VALU_DEP_1)
	v_cmpx_ne_u16_e32 0, v1
	s_cbranch_execz .LBB232_50
; %bb.43:                               ;   in Loop: Header=BB232_10 Depth=1
	v_mov_b64_e32 v[2:3], 0x80000000
	s_mov_b32 s11, exec_lo
	scratch_store_b64 off, v[2:3], s32 offset:252 ; 8-byte Folded Spill
	s_wait_xcnt 0x0
	v_cmpx_ne_u16_e32 0x80, v1
	s_cbranch_execz .LBB232_49
; %bb.44:                               ;   in Loop: Header=BB232_10 Depth=1
	v_mov_b64_e32 v[4:5], 0x7f800001
	v_and_b32_e32 v2, 0x7f, v0
	s_mov_b32 s15, exec_lo
	scratch_store_b64 off, v[4:5], s32 offset:252 ; 8-byte Folded Spill
	s_wait_xcnt 0x0
	v_cmpx_ne_u32_e32 0x7f, v2
	s_cbranch_execz .LBB232_48
; %bb.45:                               ;   in Loop: Header=BB232_10 Depth=1
	scratch_load_b64 v[4:5], off, s32 offset:192 th:TH_LOAD_LU ; 8-byte Folded Reload
	s_wait_loadcnt 0x0
	v_dual_lshrrev_b32 v1, 3, v2 :: v_dual_bitop2_b32 v4, 7, v0 bitop3:0x40
	s_mov_b32 s16, exec_lo
	s_wait_xcnt 0x0
	v_cmpx_gt_u32_e32 8, v2
; %bb.46:                               ;   in Loop: Header=BB232_10 Depth=1
	s_delay_alu instid0(VALU_DEP_2) | instskip(NEXT) | instid1(VALU_DEP_1)
	v_clz_i32_u32_e32 v1, v4
	v_min_u32_e32 v1, 32, v1
	s_delay_alu instid0(VALU_DEP_1) | instskip(NEXT) | instid1(VALU_DEP_1)
	v_subrev_nc_u32_e32 v2, 28, v1
	v_lshlrev_b64_e32 v[2:3], v2, v[4:5]
	s_delay_alu instid0(VALU_DEP_1)
	v_dual_sub_nc_u32 v1, 29, v1 :: v_dual_bitop2_b32 v4, 7, v2 bitop3:0x40
; %bb.47:                               ;   in Loop: Header=BB232_10 Depth=1
	s_or_b32 exec_lo, exec_lo, s16
	v_lshlrev_b32_e32 v2, 24, v0
	s_delay_alu instid0(VALU_DEP_2) | instskip(NEXT) | instid1(VALU_DEP_3)
	v_lshlrev_b32_e32 v3, 20, v4
	v_lshl_add_u32 v1, v1, 23, 0x3c000000
	s_delay_alu instid0(VALU_DEP_3) | instskip(NEXT) | instid1(VALU_DEP_1)
	v_and_b32_e32 v2, 0x80000000, v2
	v_or3_b32 v4, v3, v2, v1
	v_mov_b32_e32 v1, v5
	s_clause 0x1
	scratch_store_b64 off, v[0:1], s32 offset:192
	scratch_store_b64 off, v[4:5], s32 offset:252
.LBB232_48:                             ;   in Loop: Header=BB232_10 Depth=1
	s_wait_xcnt 0x0
	s_or_b32 exec_lo, exec_lo, s15
.LBB232_49:                             ;   in Loop: Header=BB232_10 Depth=1
	s_delay_alu instid0(SALU_CYCLE_1)
	s_or_b32 exec_lo, exec_lo, s11
.LBB232_50:                             ;   in Loop: Header=BB232_10 Depth=1
	s_delay_alu instid0(SALU_CYCLE_1) | instskip(SKIP_2) | instid1(VALU_DEP_1)
	s_or_b32 exec_lo, exec_lo, s4
	v_lshrrev_b16 v1, 8, v0
	s_mov_b32 s4, exec_lo
	v_cmpx_ne_u16_e32 0, v1
	s_cbranch_execz .LBB232_58
; %bb.51:                               ;   in Loop: Header=BB232_10 Depth=1
	v_mov_b64_e32 v[2:3], 0x8000000000000000
	s_mov_b32 s11, exec_lo
	scratch_store_b64 off, v[2:3], s32 offset:244 ; 8-byte Folded Spill
	s_wait_xcnt 0x0
	v_cmpx_ne_u16_e32 0x80, v1
	s_cbranch_execz .LBB232_57
; %bb.52:                               ;   in Loop: Header=BB232_10 Depth=1
	v_and_b32_e32 v1, 0xffff, v1
	v_mov_b64_e32 v[4:5], 0x7f80000100000000
	s_mov_b32 s15, exec_lo
	s_delay_alu instid0(VALU_DEP_2)
	v_and_b32_e32 v2, 0x7f, v1
	scratch_store_b64 off, v[4:5], s32 offset:244 ; 8-byte Folded Spill
	s_wait_xcnt 0x0
	v_cmpx_ne_u32_e32 0x7f, v2
	s_cbranch_execz .LBB232_56
; %bb.53:                               ;   in Loop: Header=BB232_10 Depth=1
	scratch_load_b64 v[4:5], off, s32 offset:192 th:TH_LOAD_LU ; 8-byte Folded Reload
	s_wait_loadcnt 0x0
	v_dual_lshrrev_b32 v1, 3, v2 :: v_dual_bitop2_b32 v4, 7, v1 bitop3:0x40
	s_mov_b32 s16, exec_lo
	s_wait_xcnt 0x0
	v_cmpx_gt_u32_e32 8, v2
; %bb.54:                               ;   in Loop: Header=BB232_10 Depth=1
	s_delay_alu instid0(VALU_DEP_2) | instskip(NEXT) | instid1(VALU_DEP_1)
	v_clz_i32_u32_e32 v1, v4
	v_min_u32_e32 v1, 32, v1
	s_delay_alu instid0(VALU_DEP_1) | instskip(NEXT) | instid1(VALU_DEP_1)
	v_subrev_nc_u32_e32 v2, 28, v1
	v_lshlrev_b64_e32 v[2:3], v2, v[4:5]
	s_delay_alu instid0(VALU_DEP_1)
	v_dual_sub_nc_u32 v1, 29, v1 :: v_dual_bitop2_b32 v4, 7, v2 bitop3:0x40
; %bb.55:                               ;   in Loop: Header=BB232_10 Depth=1
	s_or_b32 exec_lo, exec_lo, s16
	v_lshlrev_b32_e32 v2, 16, v0
	s_delay_alu instid0(VALU_DEP_2) | instskip(NEXT) | instid1(VALU_DEP_3)
	v_lshlrev_b32_e32 v3, 20, v4
	v_lshl_add_u32 v1, v1, 23, 0x3c000000
	s_delay_alu instid0(VALU_DEP_3) | instskip(NEXT) | instid1(VALU_DEP_1)
	v_and_b32_e32 v2, 0x80000000, v2
	v_or3_b32 v3, v3, v2, v1
	v_dual_mov_b32 v1, v5 :: v_dual_mov_b32 v2, v5
	s_clause 0x1
	scratch_store_b64 off, v[0:1], s32 offset:192
	scratch_store_b64 off, v[2:3], s32 offset:244
.LBB232_56:                             ;   in Loop: Header=BB232_10 Depth=1
	s_wait_xcnt 0x0
	s_or_b32 exec_lo, exec_lo, s15
.LBB232_57:                             ;   in Loop: Header=BB232_10 Depth=1
	s_delay_alu instid0(SALU_CYCLE_1)
	s_or_b32 exec_lo, exec_lo, s11
.LBB232_58:                             ;   in Loop: Header=BB232_10 Depth=1
	s_delay_alu instid0(SALU_CYCLE_1) | instskip(SKIP_3) | instid1(VALU_DEP_1)
	s_or_b32 exec_lo, exec_lo, s4
	v_mov_b64_e32 v[4:5], 0
	v_lshrrev_b32_e32 v1, 16, v0
	s_mov_b32 s4, exec_lo
	v_and_b32_e32 v2, 0xff, v1
	scratch_store_b64 off, v[4:5], s32 offset:260 ; 8-byte Folded Spill
	s_wait_xcnt 0x0
	v_mov_b64_e32 v[4:5], 0
	scratch_store_b64 off, v[4:5], s32 offset:268 ; 8-byte Folded Spill
	s_wait_xcnt 0x0
	v_cmpx_ne_u16_e32 0, v2
	s_cbranch_execz .LBB232_66
; %bb.59:                               ;   in Loop: Header=BB232_10 Depth=1
	v_cmp_ne_u16_e64 s1, 0x80, v2
	v_mov_b64_e32 v[2:3], 0x80000000
	scratch_store_b64 off, v[2:3], s32 offset:268 ; 8-byte Folded Spill
	s_wait_xcnt 0x0
	s_and_saveexec_b32 s11, s1
	s_cbranch_execz .LBB232_65
; %bb.60:                               ;   in Loop: Header=BB232_10 Depth=1
	v_mov_b64_e32 v[4:5], 0x7f800001
	v_bfe_u32 v3, v0, 16, 7
	s_mov_b32 s15, exec_lo
	scratch_store_b64 off, v[4:5], s32 offset:268 ; 8-byte Folded Spill
	s_wait_xcnt 0x0
	v_cmpx_ne_u32_e32 0x7f, v3
	s_cbranch_execz .LBB232_64
; %bb.61:                               ;   in Loop: Header=BB232_10 Depth=1
	scratch_load_b64 v[6:7], off, s32 offset:192 th:TH_LOAD_LU ; 8-byte Folded Reload
	s_wait_loadcnt 0x0
	v_dual_lshrrev_b32 v2, 3, v3 :: v_dual_bitop2_b32 v6, 7, v1 bitop3:0x40
	s_mov_b32 s16, exec_lo
	s_wait_xcnt 0x0
	v_cmpx_gt_u32_e32 8, v3
; %bb.62:                               ;   in Loop: Header=BB232_10 Depth=1
	s_delay_alu instid0(VALU_DEP_2) | instskip(NEXT) | instid1(VALU_DEP_1)
	v_clz_i32_u32_e32 v2, v6
	v_min_u32_e32 v2, 32, v2
	s_delay_alu instid0(VALU_DEP_1) | instskip(NEXT) | instid1(VALU_DEP_1)
	v_subrev_nc_u32_e32 v3, 28, v2
	v_lshlrev_b64_e32 v[4:5], v3, v[6:7]
	s_delay_alu instid0(VALU_DEP_1)
	v_dual_sub_nc_u32 v2, 29, v2 :: v_dual_bitop2_b32 v6, 7, v4 bitop3:0x40
; %bb.63:                               ;   in Loop: Header=BB232_10 Depth=1
	s_or_b32 exec_lo, exec_lo, s16
	s_delay_alu instid0(VALU_DEP_1) | instskip(NEXT) | instid1(VALU_DEP_2)
	v_dual_lshlrev_b32 v1, 24, v1 :: v_dual_lshlrev_b32 v3, 20, v6
	v_lshl_add_u32 v2, v2, 23, 0x3c000000
	s_delay_alu instid0(VALU_DEP_2) | instskip(NEXT) | instid1(VALU_DEP_1)
	v_and_b32_e32 v1, 0x80000000, v1
	v_or3_b32 v6, v3, v1, v2
	v_mov_b32_e32 v1, v7
	s_clause 0x1
	scratch_store_b64 off, v[0:1], s32 offset:192
	scratch_store_b64 off, v[6:7], s32 offset:268
.LBB232_64:                             ;   in Loop: Header=BB232_10 Depth=1
	s_wait_xcnt 0x0
	s_or_b32 exec_lo, exec_lo, s15
.LBB232_65:                             ;   in Loop: Header=BB232_10 Depth=1
	s_delay_alu instid0(SALU_CYCLE_1)
	s_or_b32 exec_lo, exec_lo, s11
.LBB232_66:                             ;   in Loop: Header=BB232_10 Depth=1
	s_delay_alu instid0(SALU_CYCLE_1) | instskip(NEXT) | instid1(SALU_CYCLE_1)
	s_or_b32 exec_lo, exec_lo, s4
	s_mov_b32 s4, exec_lo
	v_cmpx_lt_u32_e32 0xffffff, v0
	s_cbranch_execz .LBB232_74
; %bb.67:                               ;   in Loop: Header=BB232_10 Depth=1
	v_mov_b64_e32 v[2:3], 0x8000000000000000
	v_lshrrev_b32_e32 v1, 24, v0
	s_mov_b32 s11, exec_lo
	scratch_store_b64 off, v[2:3], s32 offset:260 ; 8-byte Folded Spill
	s_wait_xcnt 0x0
	v_cmpx_ne_u32_e32 0x80, v1
	s_cbranch_execz .LBB232_73
; %bb.68:                               ;   in Loop: Header=BB232_10 Depth=1
	v_mov_b64_e32 v[4:5], 0x7f80000100000000
	v_bfe_u32 v2, v0, 24, 7
	s_mov_b32 s15, exec_lo
	scratch_store_b64 off, v[4:5], s32 offset:260 ; 8-byte Folded Spill
	s_wait_xcnt 0x0
	v_cmpx_ne_u32_e32 0x7f, v2
	s_cbranch_execz .LBB232_72
; %bb.69:                               ;   in Loop: Header=BB232_10 Depth=1
	scratch_load_b64 v[4:5], off, s32 offset:192 th:TH_LOAD_LU ; 8-byte Folded Reload
	s_wait_loadcnt 0x0
	v_dual_lshrrev_b32 v0, 3, v2 :: v_dual_bitop2_b32 v4, 7, v1 bitop3:0x40
	s_mov_b32 s16, exec_lo
	s_wait_xcnt 0x0
	v_cmpx_gt_u32_e32 8, v2
; %bb.70:                               ;   in Loop: Header=BB232_10 Depth=1
	s_delay_alu instid0(VALU_DEP_2) | instskip(NEXT) | instid1(VALU_DEP_1)
	v_clz_i32_u32_e32 v0, v4
	v_min_u32_e32 v0, 32, v0
	s_delay_alu instid0(VALU_DEP_1) | instskip(NEXT) | instid1(VALU_DEP_1)
	v_subrev_nc_u32_e32 v2, 28, v0
	v_lshlrev_b64_e32 v[2:3], v2, v[4:5]
	s_delay_alu instid0(VALU_DEP_1)
	v_dual_sub_nc_u32 v0, 29, v0 :: v_dual_bitop2_b32 v4, 7, v2 bitop3:0x40
; %bb.71:                               ;   in Loop: Header=BB232_10 Depth=1
	s_or_b32 exec_lo, exec_lo, s16
	s_delay_alu instid0(VALU_DEP_1) | instskip(NEXT) | instid1(VALU_DEP_2)
	v_dual_lshlrev_b32 v1, 24, v1 :: v_dual_lshlrev_b32 v2, 20, v4
	v_lshl_add_u32 v0, v0, 23, 0x3c000000
	s_delay_alu instid0(VALU_DEP_2) | instskip(NEXT) | instid1(VALU_DEP_1)
	v_and_b32_e32 v1, 0x80000000, v1
	v_or3_b32 v3, v2, v1, v0
	v_dual_mov_b32 v1, v5 :: v_dual_mov_b32 v2, v5
	s_clause 0x1
	scratch_store_b64 off, v[0:1], s32 offset:192
	scratch_store_b64 off, v[2:3], s32 offset:260
.LBB232_72:                             ;   in Loop: Header=BB232_10 Depth=1
	s_wait_xcnt 0x0
	s_or_b32 exec_lo, exec_lo, s15
.LBB232_73:                             ;   in Loop: Header=BB232_10 Depth=1
	s_delay_alu instid0(SALU_CYCLE_1)
	s_or_b32 exec_lo, exec_lo, s11
.LBB232_74:                             ;   in Loop: Header=BB232_10 Depth=1
	s_delay_alu instid0(SALU_CYCLE_1)
	s_or_b32 exec_lo, exec_lo, s4
	flat_load_b32 v0, v[66:67] offset:8
	v_mov_b64_e32 v[2:3], 0
	s_mov_b32 s4, exec_lo
	scratch_store_b64 off, v[2:3], s32 offset:276 ; 8-byte Folded Spill
	s_wait_xcnt 0x0
	v_mov_b64_e32 v[2:3], 0
	scratch_store_b64 off, v[2:3], s32 offset:284 ; 8-byte Folded Spill
	s_wait_loadcnt_dscnt 0x0
	v_and_b32_e32 v1, 0xff, v0
	s_wait_xcnt 0x0
	s_delay_alu instid0(VALU_DEP_1)
	v_cmpx_ne_u16_e32 0, v1
	s_cbranch_execz .LBB232_82
; %bb.75:                               ;   in Loop: Header=BB232_10 Depth=1
	v_mov_b64_e32 v[2:3], 0x80000000
	s_mov_b32 s11, exec_lo
	scratch_store_b64 off, v[2:3], s32 offset:284 ; 8-byte Folded Spill
	s_wait_xcnt 0x0
	v_cmpx_ne_u16_e32 0x80, v1
	s_cbranch_execz .LBB232_81
; %bb.76:                               ;   in Loop: Header=BB232_10 Depth=1
	v_mov_b64_e32 v[4:5], 0x7f800001
	v_and_b32_e32 v2, 0x7f, v0
	s_mov_b32 s15, exec_lo
	scratch_store_b64 off, v[4:5], s32 offset:284 ; 8-byte Folded Spill
	s_wait_xcnt 0x0
	v_cmpx_ne_u32_e32 0x7f, v2
	s_cbranch_execz .LBB232_80
; %bb.77:                               ;   in Loop: Header=BB232_10 Depth=1
	scratch_load_b64 v[4:5], off, s32 offset:192 th:TH_LOAD_LU ; 8-byte Folded Reload
	s_wait_loadcnt 0x0
	v_dual_lshrrev_b32 v1, 3, v2 :: v_dual_bitop2_b32 v4, 7, v0 bitop3:0x40
	s_mov_b32 s16, exec_lo
	s_wait_xcnt 0x0
	v_cmpx_gt_u32_e32 8, v2
; %bb.78:                               ;   in Loop: Header=BB232_10 Depth=1
	s_delay_alu instid0(VALU_DEP_2) | instskip(NEXT) | instid1(VALU_DEP_1)
	v_clz_i32_u32_e32 v1, v4
	v_min_u32_e32 v1, 32, v1
	s_delay_alu instid0(VALU_DEP_1) | instskip(NEXT) | instid1(VALU_DEP_1)
	v_subrev_nc_u32_e32 v2, 28, v1
	v_lshlrev_b64_e32 v[2:3], v2, v[4:5]
	s_delay_alu instid0(VALU_DEP_1)
	v_dual_sub_nc_u32 v1, 29, v1 :: v_dual_bitop2_b32 v4, 7, v2 bitop3:0x40
; %bb.79:                               ;   in Loop: Header=BB232_10 Depth=1
	s_or_b32 exec_lo, exec_lo, s16
	v_lshlrev_b32_e32 v2, 24, v0
	s_delay_alu instid0(VALU_DEP_2) | instskip(NEXT) | instid1(VALU_DEP_3)
	v_lshlrev_b32_e32 v3, 20, v4
	v_lshl_add_u32 v1, v1, 23, 0x3c000000
	s_delay_alu instid0(VALU_DEP_3) | instskip(NEXT) | instid1(VALU_DEP_1)
	v_and_b32_e32 v2, 0x80000000, v2
	v_or3_b32 v4, v3, v2, v1
	v_mov_b32_e32 v1, v5
	s_clause 0x1
	scratch_store_b64 off, v[0:1], s32 offset:192
	scratch_store_b64 off, v[4:5], s32 offset:284
.LBB232_80:                             ;   in Loop: Header=BB232_10 Depth=1
	s_wait_xcnt 0x0
	s_or_b32 exec_lo, exec_lo, s15
.LBB232_81:                             ;   in Loop: Header=BB232_10 Depth=1
	s_delay_alu instid0(SALU_CYCLE_1)
	s_or_b32 exec_lo, exec_lo, s11
.LBB232_82:                             ;   in Loop: Header=BB232_10 Depth=1
	s_delay_alu instid0(SALU_CYCLE_1) | instskip(SKIP_2) | instid1(VALU_DEP_1)
	s_or_b32 exec_lo, exec_lo, s4
	v_lshrrev_b16 v1, 8, v0
	s_mov_b32 s4, exec_lo
	v_cmpx_ne_u16_e32 0, v1
	s_cbranch_execz .LBB232_90
; %bb.83:                               ;   in Loop: Header=BB232_10 Depth=1
	v_mov_b64_e32 v[2:3], 0x8000000000000000
	s_mov_b32 s11, exec_lo
	scratch_store_b64 off, v[2:3], s32 offset:276 ; 8-byte Folded Spill
	s_wait_xcnt 0x0
	v_cmpx_ne_u16_e32 0x80, v1
	s_cbranch_execz .LBB232_89
; %bb.84:                               ;   in Loop: Header=BB232_10 Depth=1
	v_and_b32_e32 v1, 0xffff, v1
	v_mov_b64_e32 v[4:5], 0x7f80000100000000
	s_mov_b32 s15, exec_lo
	s_delay_alu instid0(VALU_DEP_2)
	v_and_b32_e32 v2, 0x7f, v1
	scratch_store_b64 off, v[4:5], s32 offset:276 ; 8-byte Folded Spill
	s_wait_xcnt 0x0
	v_cmpx_ne_u32_e32 0x7f, v2
	s_cbranch_execz .LBB232_88
; %bb.85:                               ;   in Loop: Header=BB232_10 Depth=1
	scratch_load_b64 v[4:5], off, s32 offset:192 th:TH_LOAD_LU ; 8-byte Folded Reload
	s_wait_loadcnt 0x0
	v_dual_lshrrev_b32 v1, 3, v2 :: v_dual_bitop2_b32 v4, 7, v1 bitop3:0x40
	s_mov_b32 s16, exec_lo
	s_wait_xcnt 0x0
	v_cmpx_gt_u32_e32 8, v2
; %bb.86:                               ;   in Loop: Header=BB232_10 Depth=1
	s_delay_alu instid0(VALU_DEP_2) | instskip(NEXT) | instid1(VALU_DEP_1)
	v_clz_i32_u32_e32 v1, v4
	v_min_u32_e32 v1, 32, v1
	s_delay_alu instid0(VALU_DEP_1) | instskip(NEXT) | instid1(VALU_DEP_1)
	v_subrev_nc_u32_e32 v2, 28, v1
	v_lshlrev_b64_e32 v[2:3], v2, v[4:5]
	s_delay_alu instid0(VALU_DEP_1)
	v_dual_sub_nc_u32 v1, 29, v1 :: v_dual_bitop2_b32 v4, 7, v2 bitop3:0x40
; %bb.87:                               ;   in Loop: Header=BB232_10 Depth=1
	s_or_b32 exec_lo, exec_lo, s16
	v_lshlrev_b32_e32 v2, 16, v0
	s_delay_alu instid0(VALU_DEP_2) | instskip(NEXT) | instid1(VALU_DEP_3)
	v_lshlrev_b32_e32 v3, 20, v4
	v_lshl_add_u32 v1, v1, 23, 0x3c000000
	s_delay_alu instid0(VALU_DEP_3) | instskip(NEXT) | instid1(VALU_DEP_1)
	v_and_b32_e32 v2, 0x80000000, v2
	v_or3_b32 v3, v3, v2, v1
	v_dual_mov_b32 v1, v5 :: v_dual_mov_b32 v2, v5
	s_clause 0x1
	scratch_store_b64 off, v[0:1], s32 offset:192
	scratch_store_b64 off, v[2:3], s32 offset:276
.LBB232_88:                             ;   in Loop: Header=BB232_10 Depth=1
	s_wait_xcnt 0x0
	s_or_b32 exec_lo, exec_lo, s15
.LBB232_89:                             ;   in Loop: Header=BB232_10 Depth=1
	s_delay_alu instid0(SALU_CYCLE_1)
	s_or_b32 exec_lo, exec_lo, s11
.LBB232_90:                             ;   in Loop: Header=BB232_10 Depth=1
	s_delay_alu instid0(SALU_CYCLE_1) | instskip(SKIP_3) | instid1(VALU_DEP_1)
	s_or_b32 exec_lo, exec_lo, s4
	v_mov_b64_e32 v[4:5], 0
	v_lshrrev_b32_e32 v1, 16, v0
	s_mov_b32 s4, exec_lo
	v_and_b32_e32 v2, 0xff, v1
	scratch_store_b64 off, v[4:5], s32 offset:292 ; 8-byte Folded Spill
	s_wait_xcnt 0x0
	v_mov_b64_e32 v[4:5], 0
	scratch_store_b64 off, v[4:5], s32 offset:300 ; 8-byte Folded Spill
	s_wait_xcnt 0x0
	v_cmpx_ne_u16_e32 0, v2
	s_cbranch_execz .LBB232_98
; %bb.91:                               ;   in Loop: Header=BB232_10 Depth=1
	v_cmp_ne_u16_e64 s1, 0x80, v2
	v_mov_b64_e32 v[2:3], 0x80000000
	scratch_store_b64 off, v[2:3], s32 offset:300 ; 8-byte Folded Spill
	s_wait_xcnt 0x0
	s_and_saveexec_b32 s11, s1
	s_cbranch_execz .LBB232_97
; %bb.92:                               ;   in Loop: Header=BB232_10 Depth=1
	v_mov_b64_e32 v[4:5], 0x7f800001
	v_bfe_u32 v3, v0, 16, 7
	s_mov_b32 s15, exec_lo
	scratch_store_b64 off, v[4:5], s32 offset:300 ; 8-byte Folded Spill
	s_wait_xcnt 0x0
	v_cmpx_ne_u32_e32 0x7f, v3
	s_cbranch_execz .LBB232_96
; %bb.93:                               ;   in Loop: Header=BB232_10 Depth=1
	scratch_load_b64 v[6:7], off, s32 offset:192 th:TH_LOAD_LU ; 8-byte Folded Reload
	s_wait_loadcnt 0x0
	v_dual_lshrrev_b32 v2, 3, v3 :: v_dual_bitop2_b32 v6, 7, v1 bitop3:0x40
	s_mov_b32 s16, exec_lo
	s_wait_xcnt 0x0
	v_cmpx_gt_u32_e32 8, v3
; %bb.94:                               ;   in Loop: Header=BB232_10 Depth=1
	s_delay_alu instid0(VALU_DEP_2) | instskip(NEXT) | instid1(VALU_DEP_1)
	v_clz_i32_u32_e32 v2, v6
	v_min_u32_e32 v2, 32, v2
	s_delay_alu instid0(VALU_DEP_1) | instskip(NEXT) | instid1(VALU_DEP_1)
	v_subrev_nc_u32_e32 v3, 28, v2
	v_lshlrev_b64_e32 v[4:5], v3, v[6:7]
	s_delay_alu instid0(VALU_DEP_1)
	v_dual_sub_nc_u32 v2, 29, v2 :: v_dual_bitop2_b32 v6, 7, v4 bitop3:0x40
; %bb.95:                               ;   in Loop: Header=BB232_10 Depth=1
	s_or_b32 exec_lo, exec_lo, s16
	s_delay_alu instid0(VALU_DEP_1) | instskip(NEXT) | instid1(VALU_DEP_2)
	v_dual_lshlrev_b32 v1, 24, v1 :: v_dual_lshlrev_b32 v3, 20, v6
	v_lshl_add_u32 v2, v2, 23, 0x3c000000
	s_delay_alu instid0(VALU_DEP_2) | instskip(NEXT) | instid1(VALU_DEP_1)
	v_and_b32_e32 v1, 0x80000000, v1
	v_or3_b32 v6, v3, v1, v2
	v_mov_b32_e32 v1, v7
	s_clause 0x1
	scratch_store_b64 off, v[0:1], s32 offset:192
	scratch_store_b64 off, v[6:7], s32 offset:300
.LBB232_96:                             ;   in Loop: Header=BB232_10 Depth=1
	s_wait_xcnt 0x0
	s_or_b32 exec_lo, exec_lo, s15
.LBB232_97:                             ;   in Loop: Header=BB232_10 Depth=1
	s_delay_alu instid0(SALU_CYCLE_1)
	s_or_b32 exec_lo, exec_lo, s11
.LBB232_98:                             ;   in Loop: Header=BB232_10 Depth=1
	s_delay_alu instid0(SALU_CYCLE_1) | instskip(NEXT) | instid1(SALU_CYCLE_1)
	s_or_b32 exec_lo, exec_lo, s4
	s_mov_b32 s4, exec_lo
	v_cmpx_lt_u32_e32 0xffffff, v0
	s_cbranch_execz .LBB232_106
; %bb.99:                               ;   in Loop: Header=BB232_10 Depth=1
	v_mov_b64_e32 v[2:3], 0x8000000000000000
	v_lshrrev_b32_e32 v1, 24, v0
	s_mov_b32 s11, exec_lo
	scratch_store_b64 off, v[2:3], s32 offset:292 ; 8-byte Folded Spill
	s_wait_xcnt 0x0
	v_cmpx_ne_u32_e32 0x80, v1
	s_cbranch_execz .LBB232_105
; %bb.100:                              ;   in Loop: Header=BB232_10 Depth=1
	v_mov_b64_e32 v[4:5], 0x7f80000100000000
	v_bfe_u32 v2, v0, 24, 7
	s_mov_b32 s15, exec_lo
	scratch_store_b64 off, v[4:5], s32 offset:292 ; 8-byte Folded Spill
	s_wait_xcnt 0x0
	v_cmpx_ne_u32_e32 0x7f, v2
	s_cbranch_execz .LBB232_104
; %bb.101:                              ;   in Loop: Header=BB232_10 Depth=1
	scratch_load_b64 v[4:5], off, s32 offset:192 th:TH_LOAD_LU ; 8-byte Folded Reload
	s_wait_loadcnt 0x0
	v_dual_lshrrev_b32 v0, 3, v2 :: v_dual_bitop2_b32 v4, 7, v1 bitop3:0x40
	s_mov_b32 s16, exec_lo
	s_wait_xcnt 0x0
	v_cmpx_gt_u32_e32 8, v2
; %bb.102:                              ;   in Loop: Header=BB232_10 Depth=1
	s_delay_alu instid0(VALU_DEP_2) | instskip(NEXT) | instid1(VALU_DEP_1)
	v_clz_i32_u32_e32 v0, v4
	v_min_u32_e32 v0, 32, v0
	s_delay_alu instid0(VALU_DEP_1) | instskip(NEXT) | instid1(VALU_DEP_1)
	v_subrev_nc_u32_e32 v2, 28, v0
	v_lshlrev_b64_e32 v[2:3], v2, v[4:5]
	s_delay_alu instid0(VALU_DEP_1)
	v_dual_sub_nc_u32 v0, 29, v0 :: v_dual_bitop2_b32 v4, 7, v2 bitop3:0x40
; %bb.103:                              ;   in Loop: Header=BB232_10 Depth=1
	s_or_b32 exec_lo, exec_lo, s16
	s_delay_alu instid0(VALU_DEP_1) | instskip(NEXT) | instid1(VALU_DEP_2)
	v_dual_lshlrev_b32 v1, 24, v1 :: v_dual_lshlrev_b32 v2, 20, v4
	v_lshl_add_u32 v0, v0, 23, 0x3c000000
	s_delay_alu instid0(VALU_DEP_2) | instskip(NEXT) | instid1(VALU_DEP_1)
	v_and_b32_e32 v1, 0x80000000, v1
	v_or3_b32 v3, v2, v1, v0
	v_dual_mov_b32 v1, v5 :: v_dual_mov_b32 v2, v5
	s_clause 0x1
	scratch_store_b64 off, v[0:1], s32 offset:192
	scratch_store_b64 off, v[2:3], s32 offset:292
.LBB232_104:                            ;   in Loop: Header=BB232_10 Depth=1
	s_wait_xcnt 0x0
	s_or_b32 exec_lo, exec_lo, s15
.LBB232_105:                            ;   in Loop: Header=BB232_10 Depth=1
	s_delay_alu instid0(SALU_CYCLE_1)
	s_or_b32 exec_lo, exec_lo, s11
.LBB232_106:                            ;   in Loop: Header=BB232_10 Depth=1
	s_delay_alu instid0(SALU_CYCLE_1)
	s_or_b32 exec_lo, exec_lo, s4
	flat_load_b32 v0, v[66:67] offset:12
	v_mov_b64_e32 v[2:3], 0
	s_mov_b32 s4, exec_lo
	scratch_store_b64 off, v[2:3], s32 offset:332 ; 8-byte Folded Spill
	s_wait_xcnt 0x0
	v_mov_b64_e32 v[2:3], 0
	scratch_store_b64 off, v[2:3], s32 offset:308 ; 8-byte Folded Spill
	s_wait_loadcnt_dscnt 0x0
	v_and_b32_e32 v1, 0xff, v0
	s_wait_xcnt 0x0
	s_delay_alu instid0(VALU_DEP_1)
	v_cmpx_ne_u16_e32 0, v1
	s_cbranch_execz .LBB232_114
; %bb.107:                              ;   in Loop: Header=BB232_10 Depth=1
	v_mov_b64_e32 v[2:3], 0x80000000
	s_mov_b32 s11, exec_lo
	scratch_store_b64 off, v[2:3], s32 offset:308 ; 8-byte Folded Spill
	s_wait_xcnt 0x0
	v_cmpx_ne_u16_e32 0x80, v1
	s_cbranch_execz .LBB232_113
; %bb.108:                              ;   in Loop: Header=BB232_10 Depth=1
	v_mov_b64_e32 v[4:5], 0x7f800001
	v_and_b32_e32 v2, 0x7f, v0
	s_mov_b32 s15, exec_lo
	scratch_store_b64 off, v[4:5], s32 offset:308 ; 8-byte Folded Spill
	s_wait_xcnt 0x0
	v_cmpx_ne_u32_e32 0x7f, v2
	s_cbranch_execz .LBB232_112
; %bb.109:                              ;   in Loop: Header=BB232_10 Depth=1
	scratch_load_b64 v[4:5], off, s32 offset:192 th:TH_LOAD_LU ; 8-byte Folded Reload
	s_wait_loadcnt 0x0
	v_dual_lshrrev_b32 v1, 3, v2 :: v_dual_bitop2_b32 v4, 7, v0 bitop3:0x40
	s_mov_b32 s16, exec_lo
	s_wait_xcnt 0x0
	v_cmpx_gt_u32_e32 8, v2
; %bb.110:                              ;   in Loop: Header=BB232_10 Depth=1
	s_delay_alu instid0(VALU_DEP_2) | instskip(NEXT) | instid1(VALU_DEP_1)
	v_clz_i32_u32_e32 v1, v4
	v_min_u32_e32 v1, 32, v1
	s_delay_alu instid0(VALU_DEP_1) | instskip(NEXT) | instid1(VALU_DEP_1)
	v_subrev_nc_u32_e32 v2, 28, v1
	v_lshlrev_b64_e32 v[2:3], v2, v[4:5]
	s_delay_alu instid0(VALU_DEP_1)
	v_dual_sub_nc_u32 v1, 29, v1 :: v_dual_bitop2_b32 v4, 7, v2 bitop3:0x40
; %bb.111:                              ;   in Loop: Header=BB232_10 Depth=1
	s_or_b32 exec_lo, exec_lo, s16
	v_lshlrev_b32_e32 v2, 24, v0
	s_delay_alu instid0(VALU_DEP_2) | instskip(NEXT) | instid1(VALU_DEP_3)
	v_lshlrev_b32_e32 v3, 20, v4
	v_lshl_add_u32 v1, v1, 23, 0x3c000000
	s_delay_alu instid0(VALU_DEP_3) | instskip(NEXT) | instid1(VALU_DEP_1)
	v_and_b32_e32 v2, 0x80000000, v2
	v_or3_b32 v4, v3, v2, v1
	v_mov_b32_e32 v1, v5
	s_clause 0x1
	scratch_store_b64 off, v[0:1], s32 offset:192
	scratch_store_b64 off, v[4:5], s32 offset:308
.LBB232_112:                            ;   in Loop: Header=BB232_10 Depth=1
	s_wait_xcnt 0x0
	s_or_b32 exec_lo, exec_lo, s15
.LBB232_113:                            ;   in Loop: Header=BB232_10 Depth=1
	s_delay_alu instid0(SALU_CYCLE_1)
	s_or_b32 exec_lo, exec_lo, s11
.LBB232_114:                            ;   in Loop: Header=BB232_10 Depth=1
	s_delay_alu instid0(SALU_CYCLE_1) | instskip(SKIP_2) | instid1(VALU_DEP_1)
	s_or_b32 exec_lo, exec_lo, s4
	v_lshrrev_b16 v1, 8, v0
	s_mov_b32 s4, exec_lo
	v_cmpx_ne_u16_e32 0, v1
	s_cbranch_execz .LBB232_122
; %bb.115:                              ;   in Loop: Header=BB232_10 Depth=1
	v_mov_b64_e32 v[2:3], 0x8000000000000000
	s_mov_b32 s11, exec_lo
	scratch_store_b64 off, v[2:3], s32 offset:332 ; 8-byte Folded Spill
	s_wait_xcnt 0x0
	v_cmpx_ne_u16_e32 0x80, v1
	s_cbranch_execz .LBB232_121
; %bb.116:                              ;   in Loop: Header=BB232_10 Depth=1
	v_and_b32_e32 v1, 0xffff, v1
	v_mov_b64_e32 v[4:5], 0x7f80000100000000
	s_mov_b32 s15, exec_lo
	s_delay_alu instid0(VALU_DEP_2)
	v_and_b32_e32 v2, 0x7f, v1
	scratch_store_b64 off, v[4:5], s32 offset:332 ; 8-byte Folded Spill
	s_wait_xcnt 0x0
	v_cmpx_ne_u32_e32 0x7f, v2
	s_cbranch_execz .LBB232_120
; %bb.117:                              ;   in Loop: Header=BB232_10 Depth=1
	scratch_load_b64 v[4:5], off, s32 offset:192 th:TH_LOAD_LU ; 8-byte Folded Reload
	s_wait_loadcnt 0x0
	v_dual_lshrrev_b32 v1, 3, v2 :: v_dual_bitop2_b32 v4, 7, v1 bitop3:0x40
	s_mov_b32 s16, exec_lo
	s_wait_xcnt 0x0
	v_cmpx_gt_u32_e32 8, v2
; %bb.118:                              ;   in Loop: Header=BB232_10 Depth=1
	s_delay_alu instid0(VALU_DEP_2) | instskip(NEXT) | instid1(VALU_DEP_1)
	v_clz_i32_u32_e32 v1, v4
	v_min_u32_e32 v1, 32, v1
	s_delay_alu instid0(VALU_DEP_1) | instskip(NEXT) | instid1(VALU_DEP_1)
	v_subrev_nc_u32_e32 v2, 28, v1
	v_lshlrev_b64_e32 v[2:3], v2, v[4:5]
	s_delay_alu instid0(VALU_DEP_1)
	v_dual_sub_nc_u32 v1, 29, v1 :: v_dual_bitop2_b32 v4, 7, v2 bitop3:0x40
; %bb.119:                              ;   in Loop: Header=BB232_10 Depth=1
	s_or_b32 exec_lo, exec_lo, s16
	v_lshlrev_b32_e32 v2, 16, v0
	s_delay_alu instid0(VALU_DEP_2) | instskip(NEXT) | instid1(VALU_DEP_3)
	v_lshlrev_b32_e32 v3, 20, v4
	v_lshl_add_u32 v1, v1, 23, 0x3c000000
	s_delay_alu instid0(VALU_DEP_3) | instskip(NEXT) | instid1(VALU_DEP_1)
	v_and_b32_e32 v2, 0x80000000, v2
	v_or3_b32 v3, v3, v2, v1
	v_dual_mov_b32 v1, v5 :: v_dual_mov_b32 v2, v5
	s_clause 0x1
	scratch_store_b64 off, v[0:1], s32 offset:192
	scratch_store_b64 off, v[2:3], s32 offset:332
.LBB232_120:                            ;   in Loop: Header=BB232_10 Depth=1
	s_wait_xcnt 0x0
	s_or_b32 exec_lo, exec_lo, s15
.LBB232_121:                            ;   in Loop: Header=BB232_10 Depth=1
	s_delay_alu instid0(SALU_CYCLE_1)
	s_or_b32 exec_lo, exec_lo, s11
.LBB232_122:                            ;   in Loop: Header=BB232_10 Depth=1
	s_delay_alu instid0(SALU_CYCLE_1) | instskip(SKIP_3) | instid1(VALU_DEP_1)
	s_or_b32 exec_lo, exec_lo, s4
	v_mov_b64_e32 v[4:5], 0
	v_lshrrev_b32_e32 v1, 16, v0
	s_mov_b32 s4, exec_lo
	v_and_b32_e32 v2, 0xff, v1
	scratch_store_b64 off, v[4:5], s32 offset:316 ; 8-byte Folded Spill
	s_wait_xcnt 0x0
	v_mov_b64_e32 v[4:5], 0
	scratch_store_b64 off, v[4:5], s32 offset:324 ; 8-byte Folded Spill
	s_wait_xcnt 0x0
	v_cmpx_ne_u16_e32 0, v2
	s_cbranch_execz .LBB232_130
; %bb.123:                              ;   in Loop: Header=BB232_10 Depth=1
	v_cmp_ne_u16_e64 s1, 0x80, v2
	v_mov_b64_e32 v[2:3], 0x80000000
	scratch_store_b64 off, v[2:3], s32 offset:324 ; 8-byte Folded Spill
	s_wait_xcnt 0x0
	s_and_saveexec_b32 s11, s1
	s_cbranch_execz .LBB232_129
; %bb.124:                              ;   in Loop: Header=BB232_10 Depth=1
	v_mov_b64_e32 v[4:5], 0x7f800001
	v_bfe_u32 v3, v0, 16, 7
	s_mov_b32 s15, exec_lo
	scratch_store_b64 off, v[4:5], s32 offset:324 ; 8-byte Folded Spill
	s_wait_xcnt 0x0
	v_cmpx_ne_u32_e32 0x7f, v3
	s_cbranch_execz .LBB232_128
; %bb.125:                              ;   in Loop: Header=BB232_10 Depth=1
	scratch_load_b64 v[6:7], off, s32 offset:192 th:TH_LOAD_LU ; 8-byte Folded Reload
	s_wait_loadcnt 0x0
	v_dual_lshrrev_b32 v2, 3, v3 :: v_dual_bitop2_b32 v6, 7, v1 bitop3:0x40
	s_mov_b32 s16, exec_lo
	s_wait_xcnt 0x0
	v_cmpx_gt_u32_e32 8, v3
; %bb.126:                              ;   in Loop: Header=BB232_10 Depth=1
	s_delay_alu instid0(VALU_DEP_2) | instskip(NEXT) | instid1(VALU_DEP_1)
	v_clz_i32_u32_e32 v2, v6
	v_min_u32_e32 v2, 32, v2
	s_delay_alu instid0(VALU_DEP_1) | instskip(NEXT) | instid1(VALU_DEP_1)
	v_subrev_nc_u32_e32 v3, 28, v2
	v_lshlrev_b64_e32 v[4:5], v3, v[6:7]
	s_delay_alu instid0(VALU_DEP_1)
	v_dual_sub_nc_u32 v2, 29, v2 :: v_dual_bitop2_b32 v6, 7, v4 bitop3:0x40
; %bb.127:                              ;   in Loop: Header=BB232_10 Depth=1
	s_or_b32 exec_lo, exec_lo, s16
	s_delay_alu instid0(VALU_DEP_1) | instskip(NEXT) | instid1(VALU_DEP_2)
	v_dual_lshlrev_b32 v1, 24, v1 :: v_dual_lshlrev_b32 v3, 20, v6
	v_lshl_add_u32 v2, v2, 23, 0x3c000000
	s_delay_alu instid0(VALU_DEP_2) | instskip(NEXT) | instid1(VALU_DEP_1)
	v_and_b32_e32 v1, 0x80000000, v1
	v_or3_b32 v6, v3, v1, v2
	v_mov_b32_e32 v1, v7
	s_clause 0x1
	scratch_store_b64 off, v[0:1], s32 offset:192
	scratch_store_b64 off, v[6:7], s32 offset:324
.LBB232_128:                            ;   in Loop: Header=BB232_10 Depth=1
	s_wait_xcnt 0x0
	s_or_b32 exec_lo, exec_lo, s15
.LBB232_129:                            ;   in Loop: Header=BB232_10 Depth=1
	s_delay_alu instid0(SALU_CYCLE_1)
	s_or_b32 exec_lo, exec_lo, s11
.LBB232_130:                            ;   in Loop: Header=BB232_10 Depth=1
	s_delay_alu instid0(SALU_CYCLE_1) | instskip(NEXT) | instid1(SALU_CYCLE_1)
	s_or_b32 exec_lo, exec_lo, s4
	s_mov_b32 s4, exec_lo
	v_cmpx_lt_u32_e32 0xffffff, v0
	s_cbranch_execz .LBB232_138
; %bb.131:                              ;   in Loop: Header=BB232_10 Depth=1
	v_mov_b64_e32 v[2:3], 0x8000000000000000
	v_lshrrev_b32_e32 v1, 24, v0
	s_mov_b32 s11, exec_lo
	scratch_store_b64 off, v[2:3], s32 offset:316 ; 8-byte Folded Spill
	s_wait_xcnt 0x0
	v_cmpx_ne_u32_e32 0x80, v1
	s_cbranch_execz .LBB232_137
; %bb.132:                              ;   in Loop: Header=BB232_10 Depth=1
	v_mov_b64_e32 v[4:5], 0x7f80000100000000
	v_bfe_u32 v2, v0, 24, 7
	s_mov_b32 s15, exec_lo
	scratch_store_b64 off, v[4:5], s32 offset:316 ; 8-byte Folded Spill
	s_wait_xcnt 0x0
	v_cmpx_ne_u32_e32 0x7f, v2
	s_cbranch_execz .LBB232_136
; %bb.133:                              ;   in Loop: Header=BB232_10 Depth=1
	scratch_load_b64 v[4:5], off, s32 offset:192 th:TH_LOAD_LU ; 8-byte Folded Reload
	s_wait_loadcnt 0x0
	v_dual_lshrrev_b32 v0, 3, v2 :: v_dual_bitop2_b32 v4, 7, v1 bitop3:0x40
	s_mov_b32 s16, exec_lo
	s_wait_xcnt 0x0
	v_cmpx_gt_u32_e32 8, v2
; %bb.134:                              ;   in Loop: Header=BB232_10 Depth=1
	s_delay_alu instid0(VALU_DEP_2) | instskip(NEXT) | instid1(VALU_DEP_1)
	v_clz_i32_u32_e32 v0, v4
	v_min_u32_e32 v0, 32, v0
	s_delay_alu instid0(VALU_DEP_1) | instskip(NEXT) | instid1(VALU_DEP_1)
	v_subrev_nc_u32_e32 v2, 28, v0
	v_lshlrev_b64_e32 v[2:3], v2, v[4:5]
	s_delay_alu instid0(VALU_DEP_1)
	v_dual_sub_nc_u32 v0, 29, v0 :: v_dual_bitop2_b32 v4, 7, v2 bitop3:0x40
; %bb.135:                              ;   in Loop: Header=BB232_10 Depth=1
	s_or_b32 exec_lo, exec_lo, s16
	s_delay_alu instid0(VALU_DEP_1) | instskip(NEXT) | instid1(VALU_DEP_2)
	v_dual_lshlrev_b32 v1, 24, v1 :: v_dual_lshlrev_b32 v2, 20, v4
	v_lshl_add_u32 v0, v0, 23, 0x3c000000
	s_delay_alu instid0(VALU_DEP_2) | instskip(NEXT) | instid1(VALU_DEP_1)
	v_and_b32_e32 v1, 0x80000000, v1
	v_or3_b32 v3, v2, v1, v0
	v_dual_mov_b32 v1, v5 :: v_dual_mov_b32 v2, v5
	s_clause 0x1
	scratch_store_b64 off, v[0:1], s32 offset:192
	scratch_store_b64 off, v[2:3], s32 offset:316
.LBB232_136:                            ;   in Loop: Header=BB232_10 Depth=1
	s_wait_xcnt 0x0
	s_or_b32 exec_lo, exec_lo, s15
.LBB232_137:                            ;   in Loop: Header=BB232_10 Depth=1
	s_delay_alu instid0(SALU_CYCLE_1)
	s_or_b32 exec_lo, exec_lo, s11
.LBB232_138:                            ;   in Loop: Header=BB232_10 Depth=1
	s_delay_alu instid0(SALU_CYCLE_1)
	s_or_b32 exec_lo, exec_lo, s4
	flat_load_b32 v0, v[66:67] offset:512
	v_mov_b64_e32 v[2:3], 0
	s_mov_b32 s4, exec_lo
	scratch_store_b64 off, v[2:3], s32 offset:364 ; 8-byte Folded Spill
	s_wait_xcnt 0x0
	v_mov_b64_e32 v[2:3], 0
	scratch_store_b64 off, v[2:3], s32 offset:340 ; 8-byte Folded Spill
	s_wait_loadcnt_dscnt 0x0
	v_and_b32_e32 v1, 0xff, v0
	s_wait_xcnt 0x0
	s_delay_alu instid0(VALU_DEP_1)
	v_cmpx_ne_u16_e32 0, v1
	s_cbranch_execz .LBB232_146
; %bb.139:                              ;   in Loop: Header=BB232_10 Depth=1
	v_mov_b64_e32 v[2:3], 0x80000000
	s_mov_b32 s11, exec_lo
	scratch_store_b64 off, v[2:3], s32 offset:340 ; 8-byte Folded Spill
	s_wait_xcnt 0x0
	v_cmpx_ne_u16_e32 0x80, v1
	s_cbranch_execz .LBB232_145
; %bb.140:                              ;   in Loop: Header=BB232_10 Depth=1
	v_mov_b64_e32 v[4:5], 0x7f800001
	v_and_b32_e32 v2, 0x7f, v0
	s_mov_b32 s15, exec_lo
	scratch_store_b64 off, v[4:5], s32 offset:340 ; 8-byte Folded Spill
	s_wait_xcnt 0x0
	v_cmpx_ne_u32_e32 0x7f, v2
	s_cbranch_execz .LBB232_144
; %bb.141:                              ;   in Loop: Header=BB232_10 Depth=1
	scratch_load_b64 v[4:5], off, s32 offset:192 th:TH_LOAD_LU ; 8-byte Folded Reload
	s_wait_loadcnt 0x0
	v_dual_lshrrev_b32 v1, 3, v2 :: v_dual_bitop2_b32 v4, 7, v0 bitop3:0x40
	s_mov_b32 s16, exec_lo
	s_wait_xcnt 0x0
	v_cmpx_gt_u32_e32 8, v2
; %bb.142:                              ;   in Loop: Header=BB232_10 Depth=1
	s_delay_alu instid0(VALU_DEP_2) | instskip(NEXT) | instid1(VALU_DEP_1)
	v_clz_i32_u32_e32 v1, v4
	v_min_u32_e32 v1, 32, v1
	s_delay_alu instid0(VALU_DEP_1) | instskip(NEXT) | instid1(VALU_DEP_1)
	v_subrev_nc_u32_e32 v2, 28, v1
	v_lshlrev_b64_e32 v[2:3], v2, v[4:5]
	s_delay_alu instid0(VALU_DEP_1)
	v_dual_sub_nc_u32 v1, 29, v1 :: v_dual_bitop2_b32 v4, 7, v2 bitop3:0x40
; %bb.143:                              ;   in Loop: Header=BB232_10 Depth=1
	s_or_b32 exec_lo, exec_lo, s16
	v_lshlrev_b32_e32 v2, 24, v0
	s_delay_alu instid0(VALU_DEP_2) | instskip(NEXT) | instid1(VALU_DEP_3)
	v_lshlrev_b32_e32 v3, 20, v4
	v_lshl_add_u32 v1, v1, 23, 0x3c000000
	s_delay_alu instid0(VALU_DEP_3) | instskip(NEXT) | instid1(VALU_DEP_1)
	v_and_b32_e32 v2, 0x80000000, v2
	v_or3_b32 v4, v3, v2, v1
	v_mov_b32_e32 v1, v5
	s_clause 0x1
	scratch_store_b64 off, v[0:1], s32 offset:192
	scratch_store_b64 off, v[4:5], s32 offset:340
.LBB232_144:                            ;   in Loop: Header=BB232_10 Depth=1
	s_wait_xcnt 0x0
	s_or_b32 exec_lo, exec_lo, s15
.LBB232_145:                            ;   in Loop: Header=BB232_10 Depth=1
	s_delay_alu instid0(SALU_CYCLE_1)
	s_or_b32 exec_lo, exec_lo, s11
.LBB232_146:                            ;   in Loop: Header=BB232_10 Depth=1
	s_delay_alu instid0(SALU_CYCLE_1) | instskip(SKIP_2) | instid1(VALU_DEP_1)
	s_or_b32 exec_lo, exec_lo, s4
	v_lshrrev_b16 v1, 8, v0
	s_mov_b32 s4, exec_lo
	v_cmpx_ne_u16_e32 0, v1
	s_cbranch_execz .LBB232_154
; %bb.147:                              ;   in Loop: Header=BB232_10 Depth=1
	v_mov_b64_e32 v[2:3], 0x8000000000000000
	s_mov_b32 s11, exec_lo
	scratch_store_b64 off, v[2:3], s32 offset:364 ; 8-byte Folded Spill
	s_wait_xcnt 0x0
	v_cmpx_ne_u16_e32 0x80, v1
	s_cbranch_execz .LBB232_153
; %bb.148:                              ;   in Loop: Header=BB232_10 Depth=1
	v_and_b32_e32 v1, 0xffff, v1
	v_mov_b64_e32 v[4:5], 0x7f80000100000000
	s_mov_b32 s15, exec_lo
	s_delay_alu instid0(VALU_DEP_2)
	v_and_b32_e32 v2, 0x7f, v1
	scratch_store_b64 off, v[4:5], s32 offset:364 ; 8-byte Folded Spill
	s_wait_xcnt 0x0
	v_cmpx_ne_u32_e32 0x7f, v2
	s_cbranch_execz .LBB232_152
; %bb.149:                              ;   in Loop: Header=BB232_10 Depth=1
	scratch_load_b64 v[4:5], off, s32 offset:192 th:TH_LOAD_LU ; 8-byte Folded Reload
	s_wait_loadcnt 0x0
	v_dual_lshrrev_b32 v1, 3, v2 :: v_dual_bitop2_b32 v4, 7, v1 bitop3:0x40
	s_mov_b32 s16, exec_lo
	s_wait_xcnt 0x0
	v_cmpx_gt_u32_e32 8, v2
; %bb.150:                              ;   in Loop: Header=BB232_10 Depth=1
	s_delay_alu instid0(VALU_DEP_2) | instskip(NEXT) | instid1(VALU_DEP_1)
	v_clz_i32_u32_e32 v1, v4
	v_min_u32_e32 v1, 32, v1
	s_delay_alu instid0(VALU_DEP_1) | instskip(NEXT) | instid1(VALU_DEP_1)
	v_subrev_nc_u32_e32 v2, 28, v1
	v_lshlrev_b64_e32 v[2:3], v2, v[4:5]
	s_delay_alu instid0(VALU_DEP_1)
	v_dual_sub_nc_u32 v1, 29, v1 :: v_dual_bitop2_b32 v4, 7, v2 bitop3:0x40
; %bb.151:                              ;   in Loop: Header=BB232_10 Depth=1
	s_or_b32 exec_lo, exec_lo, s16
	v_lshlrev_b32_e32 v2, 16, v0
	s_delay_alu instid0(VALU_DEP_2) | instskip(NEXT) | instid1(VALU_DEP_3)
	v_lshlrev_b32_e32 v3, 20, v4
	v_lshl_add_u32 v1, v1, 23, 0x3c000000
	s_delay_alu instid0(VALU_DEP_3) | instskip(NEXT) | instid1(VALU_DEP_1)
	v_and_b32_e32 v2, 0x80000000, v2
	v_or3_b32 v3, v3, v2, v1
	v_dual_mov_b32 v1, v5 :: v_dual_mov_b32 v2, v5
	s_clause 0x1
	scratch_store_b64 off, v[0:1], s32 offset:192
	scratch_store_b64 off, v[2:3], s32 offset:364
.LBB232_152:                            ;   in Loop: Header=BB232_10 Depth=1
	s_wait_xcnt 0x0
	s_or_b32 exec_lo, exec_lo, s15
.LBB232_153:                            ;   in Loop: Header=BB232_10 Depth=1
	s_delay_alu instid0(SALU_CYCLE_1)
	s_or_b32 exec_lo, exec_lo, s11
.LBB232_154:                            ;   in Loop: Header=BB232_10 Depth=1
	s_delay_alu instid0(SALU_CYCLE_1) | instskip(SKIP_3) | instid1(VALU_DEP_1)
	s_or_b32 exec_lo, exec_lo, s4
	v_mov_b64_e32 v[4:5], 0
	v_lshrrev_b32_e32 v1, 16, v0
	s_mov_b32 s4, exec_lo
	v_and_b32_e32 v2, 0xff, v1
	scratch_store_b64 off, v[4:5], s32 offset:348 ; 8-byte Folded Spill
	s_wait_xcnt 0x0
	v_mov_b64_e32 v[4:5], 0
	scratch_store_b64 off, v[4:5], s32 offset:356 ; 8-byte Folded Spill
	s_wait_xcnt 0x0
	v_cmpx_ne_u16_e32 0, v2
	s_cbranch_execz .LBB232_162
; %bb.155:                              ;   in Loop: Header=BB232_10 Depth=1
	v_cmp_ne_u16_e64 s1, 0x80, v2
	v_mov_b64_e32 v[2:3], 0x80000000
	scratch_store_b64 off, v[2:3], s32 offset:356 ; 8-byte Folded Spill
	s_wait_xcnt 0x0
	s_and_saveexec_b32 s11, s1
	s_cbranch_execz .LBB232_161
; %bb.156:                              ;   in Loop: Header=BB232_10 Depth=1
	v_mov_b64_e32 v[4:5], 0x7f800001
	v_bfe_u32 v3, v0, 16, 7
	s_mov_b32 s15, exec_lo
	scratch_store_b64 off, v[4:5], s32 offset:356 ; 8-byte Folded Spill
	s_wait_xcnt 0x0
	v_cmpx_ne_u32_e32 0x7f, v3
	s_cbranch_execz .LBB232_160
; %bb.157:                              ;   in Loop: Header=BB232_10 Depth=1
	scratch_load_b64 v[6:7], off, s32 offset:192 th:TH_LOAD_LU ; 8-byte Folded Reload
	s_wait_loadcnt 0x0
	v_dual_lshrrev_b32 v2, 3, v3 :: v_dual_bitop2_b32 v6, 7, v1 bitop3:0x40
	s_mov_b32 s16, exec_lo
	s_wait_xcnt 0x0
	v_cmpx_gt_u32_e32 8, v3
; %bb.158:                              ;   in Loop: Header=BB232_10 Depth=1
	s_delay_alu instid0(VALU_DEP_2) | instskip(NEXT) | instid1(VALU_DEP_1)
	v_clz_i32_u32_e32 v2, v6
	v_min_u32_e32 v2, 32, v2
	s_delay_alu instid0(VALU_DEP_1) | instskip(NEXT) | instid1(VALU_DEP_1)
	v_subrev_nc_u32_e32 v3, 28, v2
	v_lshlrev_b64_e32 v[4:5], v3, v[6:7]
	s_delay_alu instid0(VALU_DEP_1)
	v_dual_sub_nc_u32 v2, 29, v2 :: v_dual_bitop2_b32 v6, 7, v4 bitop3:0x40
; %bb.159:                              ;   in Loop: Header=BB232_10 Depth=1
	s_or_b32 exec_lo, exec_lo, s16
	s_delay_alu instid0(VALU_DEP_1) | instskip(NEXT) | instid1(VALU_DEP_2)
	v_dual_lshlrev_b32 v1, 24, v1 :: v_dual_lshlrev_b32 v3, 20, v6
	v_lshl_add_u32 v2, v2, 23, 0x3c000000
	s_delay_alu instid0(VALU_DEP_2) | instskip(NEXT) | instid1(VALU_DEP_1)
	v_and_b32_e32 v1, 0x80000000, v1
	v_or3_b32 v6, v3, v1, v2
	v_mov_b32_e32 v1, v7
	s_clause 0x1
	scratch_store_b64 off, v[0:1], s32 offset:192
	scratch_store_b64 off, v[6:7], s32 offset:356
.LBB232_160:                            ;   in Loop: Header=BB232_10 Depth=1
	s_wait_xcnt 0x0
	s_or_b32 exec_lo, exec_lo, s15
.LBB232_161:                            ;   in Loop: Header=BB232_10 Depth=1
	s_delay_alu instid0(SALU_CYCLE_1)
	s_or_b32 exec_lo, exec_lo, s11
.LBB232_162:                            ;   in Loop: Header=BB232_10 Depth=1
	s_delay_alu instid0(SALU_CYCLE_1) | instskip(NEXT) | instid1(SALU_CYCLE_1)
	s_or_b32 exec_lo, exec_lo, s4
	s_mov_b32 s4, exec_lo
	v_cmpx_lt_u32_e32 0xffffff, v0
	s_cbranch_execz .LBB232_170
; %bb.163:                              ;   in Loop: Header=BB232_10 Depth=1
	v_mov_b64_e32 v[2:3], 0x8000000000000000
	v_lshrrev_b32_e32 v1, 24, v0
	s_mov_b32 s11, exec_lo
	scratch_store_b64 off, v[2:3], s32 offset:348 ; 8-byte Folded Spill
	s_wait_xcnt 0x0
	v_cmpx_ne_u32_e32 0x80, v1
	s_cbranch_execz .LBB232_169
; %bb.164:                              ;   in Loop: Header=BB232_10 Depth=1
	v_mov_b64_e32 v[4:5], 0x7f80000100000000
	v_bfe_u32 v2, v0, 24, 7
	s_mov_b32 s15, exec_lo
	scratch_store_b64 off, v[4:5], s32 offset:348 ; 8-byte Folded Spill
	s_wait_xcnt 0x0
	v_cmpx_ne_u32_e32 0x7f, v2
	s_cbranch_execz .LBB232_168
; %bb.165:                              ;   in Loop: Header=BB232_10 Depth=1
	scratch_load_b64 v[4:5], off, s32 offset:192 th:TH_LOAD_LU ; 8-byte Folded Reload
	s_wait_loadcnt 0x0
	v_dual_lshrrev_b32 v0, 3, v2 :: v_dual_bitop2_b32 v4, 7, v1 bitop3:0x40
	s_mov_b32 s16, exec_lo
	s_wait_xcnt 0x0
	v_cmpx_gt_u32_e32 8, v2
; %bb.166:                              ;   in Loop: Header=BB232_10 Depth=1
	s_delay_alu instid0(VALU_DEP_2) | instskip(NEXT) | instid1(VALU_DEP_1)
	v_clz_i32_u32_e32 v0, v4
	v_min_u32_e32 v0, 32, v0
	s_delay_alu instid0(VALU_DEP_1) | instskip(NEXT) | instid1(VALU_DEP_1)
	v_subrev_nc_u32_e32 v2, 28, v0
	v_lshlrev_b64_e32 v[2:3], v2, v[4:5]
	s_delay_alu instid0(VALU_DEP_1)
	v_dual_sub_nc_u32 v0, 29, v0 :: v_dual_bitop2_b32 v4, 7, v2 bitop3:0x40
; %bb.167:                              ;   in Loop: Header=BB232_10 Depth=1
	s_or_b32 exec_lo, exec_lo, s16
	s_delay_alu instid0(VALU_DEP_1) | instskip(NEXT) | instid1(VALU_DEP_2)
	v_dual_lshlrev_b32 v1, 24, v1 :: v_dual_lshlrev_b32 v2, 20, v4
	v_lshl_add_u32 v0, v0, 23, 0x3c000000
	s_delay_alu instid0(VALU_DEP_2) | instskip(NEXT) | instid1(VALU_DEP_1)
	v_and_b32_e32 v1, 0x80000000, v1
	v_or3_b32 v3, v2, v1, v0
	v_dual_mov_b32 v1, v5 :: v_dual_mov_b32 v2, v5
	s_clause 0x1
	scratch_store_b64 off, v[0:1], s32 offset:192
	scratch_store_b64 off, v[2:3], s32 offset:348
.LBB232_168:                            ;   in Loop: Header=BB232_10 Depth=1
	s_wait_xcnt 0x0
	s_or_b32 exec_lo, exec_lo, s15
.LBB232_169:                            ;   in Loop: Header=BB232_10 Depth=1
	s_delay_alu instid0(SALU_CYCLE_1)
	s_or_b32 exec_lo, exec_lo, s11
.LBB232_170:                            ;   in Loop: Header=BB232_10 Depth=1
	s_delay_alu instid0(SALU_CYCLE_1)
	s_or_b32 exec_lo, exec_lo, s4
	flat_load_b32 v0, v[66:67] offset:516
	v_mov_b64_e32 v[2:3], 0
	s_mov_b32 s4, exec_lo
	scratch_store_b64 off, v[2:3], s32 offset:396 ; 8-byte Folded Spill
	s_wait_xcnt 0x0
	v_mov_b64_e32 v[2:3], 0
	scratch_store_b64 off, v[2:3], s32 offset:372 ; 8-byte Folded Spill
	s_wait_loadcnt_dscnt 0x0
	v_and_b32_e32 v1, 0xff, v0
	s_wait_xcnt 0x0
	s_delay_alu instid0(VALU_DEP_1)
	v_cmpx_ne_u16_e32 0, v1
	s_cbranch_execz .LBB232_178
; %bb.171:                              ;   in Loop: Header=BB232_10 Depth=1
	v_mov_b64_e32 v[2:3], 0x80000000
	s_mov_b32 s11, exec_lo
	scratch_store_b64 off, v[2:3], s32 offset:372 ; 8-byte Folded Spill
	s_wait_xcnt 0x0
	v_cmpx_ne_u16_e32 0x80, v1
	s_cbranch_execz .LBB232_177
; %bb.172:                              ;   in Loop: Header=BB232_10 Depth=1
	v_mov_b64_e32 v[4:5], 0x7f800001
	v_and_b32_e32 v2, 0x7f, v0
	s_mov_b32 s15, exec_lo
	scratch_store_b64 off, v[4:5], s32 offset:372 ; 8-byte Folded Spill
	s_wait_xcnt 0x0
	v_cmpx_ne_u32_e32 0x7f, v2
	s_cbranch_execz .LBB232_176
; %bb.173:                              ;   in Loop: Header=BB232_10 Depth=1
	scratch_load_b64 v[4:5], off, s32 offset:192 th:TH_LOAD_LU ; 8-byte Folded Reload
	s_wait_loadcnt 0x0
	v_dual_lshrrev_b32 v1, 3, v2 :: v_dual_bitop2_b32 v4, 7, v0 bitop3:0x40
	s_mov_b32 s16, exec_lo
	s_wait_xcnt 0x0
	v_cmpx_gt_u32_e32 8, v2
; %bb.174:                              ;   in Loop: Header=BB232_10 Depth=1
	s_delay_alu instid0(VALU_DEP_2) | instskip(NEXT) | instid1(VALU_DEP_1)
	v_clz_i32_u32_e32 v1, v4
	v_min_u32_e32 v1, 32, v1
	s_delay_alu instid0(VALU_DEP_1) | instskip(NEXT) | instid1(VALU_DEP_1)
	v_subrev_nc_u32_e32 v2, 28, v1
	v_lshlrev_b64_e32 v[2:3], v2, v[4:5]
	s_delay_alu instid0(VALU_DEP_1)
	v_dual_sub_nc_u32 v1, 29, v1 :: v_dual_bitop2_b32 v4, 7, v2 bitop3:0x40
; %bb.175:                              ;   in Loop: Header=BB232_10 Depth=1
	s_or_b32 exec_lo, exec_lo, s16
	v_lshlrev_b32_e32 v2, 24, v0
	s_delay_alu instid0(VALU_DEP_2) | instskip(NEXT) | instid1(VALU_DEP_3)
	v_lshlrev_b32_e32 v3, 20, v4
	v_lshl_add_u32 v1, v1, 23, 0x3c000000
	s_delay_alu instid0(VALU_DEP_3) | instskip(NEXT) | instid1(VALU_DEP_1)
	v_and_b32_e32 v2, 0x80000000, v2
	v_or3_b32 v4, v3, v2, v1
	v_mov_b32_e32 v1, v5
	s_clause 0x1
	scratch_store_b64 off, v[0:1], s32 offset:192
	scratch_store_b64 off, v[4:5], s32 offset:372
.LBB232_176:                            ;   in Loop: Header=BB232_10 Depth=1
	s_wait_xcnt 0x0
	s_or_b32 exec_lo, exec_lo, s15
.LBB232_177:                            ;   in Loop: Header=BB232_10 Depth=1
	s_delay_alu instid0(SALU_CYCLE_1)
	s_or_b32 exec_lo, exec_lo, s11
.LBB232_178:                            ;   in Loop: Header=BB232_10 Depth=1
	s_delay_alu instid0(SALU_CYCLE_1) | instskip(SKIP_2) | instid1(VALU_DEP_1)
	s_or_b32 exec_lo, exec_lo, s4
	v_lshrrev_b16 v1, 8, v0
	s_mov_b32 s4, exec_lo
	v_cmpx_ne_u16_e32 0, v1
	s_cbranch_execz .LBB232_186
; %bb.179:                              ;   in Loop: Header=BB232_10 Depth=1
	v_mov_b64_e32 v[2:3], 0x8000000000000000
	s_mov_b32 s11, exec_lo
	scratch_store_b64 off, v[2:3], s32 offset:396 ; 8-byte Folded Spill
	s_wait_xcnt 0x0
	v_cmpx_ne_u16_e32 0x80, v1
	s_cbranch_execz .LBB232_185
; %bb.180:                              ;   in Loop: Header=BB232_10 Depth=1
	v_and_b32_e32 v1, 0xffff, v1
	v_mov_b64_e32 v[4:5], 0x7f80000100000000
	s_mov_b32 s15, exec_lo
	s_delay_alu instid0(VALU_DEP_2)
	v_and_b32_e32 v2, 0x7f, v1
	scratch_store_b64 off, v[4:5], s32 offset:396 ; 8-byte Folded Spill
	s_wait_xcnt 0x0
	v_cmpx_ne_u32_e32 0x7f, v2
	s_cbranch_execz .LBB232_184
; %bb.181:                              ;   in Loop: Header=BB232_10 Depth=1
	scratch_load_b64 v[4:5], off, s32 offset:192 th:TH_LOAD_LU ; 8-byte Folded Reload
	s_wait_loadcnt 0x0
	v_dual_lshrrev_b32 v1, 3, v2 :: v_dual_bitop2_b32 v4, 7, v1 bitop3:0x40
	s_mov_b32 s16, exec_lo
	s_wait_xcnt 0x0
	v_cmpx_gt_u32_e32 8, v2
; %bb.182:                              ;   in Loop: Header=BB232_10 Depth=1
	s_delay_alu instid0(VALU_DEP_2) | instskip(NEXT) | instid1(VALU_DEP_1)
	v_clz_i32_u32_e32 v1, v4
	v_min_u32_e32 v1, 32, v1
	s_delay_alu instid0(VALU_DEP_1) | instskip(NEXT) | instid1(VALU_DEP_1)
	v_subrev_nc_u32_e32 v2, 28, v1
	v_lshlrev_b64_e32 v[2:3], v2, v[4:5]
	s_delay_alu instid0(VALU_DEP_1)
	v_dual_sub_nc_u32 v1, 29, v1 :: v_dual_bitop2_b32 v4, 7, v2 bitop3:0x40
; %bb.183:                              ;   in Loop: Header=BB232_10 Depth=1
	s_or_b32 exec_lo, exec_lo, s16
	v_lshlrev_b32_e32 v2, 16, v0
	s_delay_alu instid0(VALU_DEP_2) | instskip(NEXT) | instid1(VALU_DEP_3)
	v_lshlrev_b32_e32 v3, 20, v4
	v_lshl_add_u32 v1, v1, 23, 0x3c000000
	s_delay_alu instid0(VALU_DEP_3) | instskip(NEXT) | instid1(VALU_DEP_1)
	v_and_b32_e32 v2, 0x80000000, v2
	v_or3_b32 v3, v3, v2, v1
	v_dual_mov_b32 v1, v5 :: v_dual_mov_b32 v2, v5
	s_clause 0x1
	scratch_store_b64 off, v[0:1], s32 offset:192
	scratch_store_b64 off, v[2:3], s32 offset:396
.LBB232_184:                            ;   in Loop: Header=BB232_10 Depth=1
	s_wait_xcnt 0x0
	s_or_b32 exec_lo, exec_lo, s15
.LBB232_185:                            ;   in Loop: Header=BB232_10 Depth=1
	s_delay_alu instid0(SALU_CYCLE_1)
	s_or_b32 exec_lo, exec_lo, s11
.LBB232_186:                            ;   in Loop: Header=BB232_10 Depth=1
	s_delay_alu instid0(SALU_CYCLE_1) | instskip(SKIP_3) | instid1(VALU_DEP_1)
	s_or_b32 exec_lo, exec_lo, s4
	v_mov_b64_e32 v[4:5], 0
	v_lshrrev_b32_e32 v1, 16, v0
	s_mov_b32 s4, exec_lo
	v_and_b32_e32 v2, 0xff, v1
	scratch_store_b64 off, v[4:5], s32 offset:380 ; 8-byte Folded Spill
	s_wait_xcnt 0x0
	v_mov_b64_e32 v[4:5], 0
	scratch_store_b64 off, v[4:5], s32 offset:388 ; 8-byte Folded Spill
	s_wait_xcnt 0x0
	v_cmpx_ne_u16_e32 0, v2
	s_cbranch_execz .LBB232_194
; %bb.187:                              ;   in Loop: Header=BB232_10 Depth=1
	v_cmp_ne_u16_e64 s1, 0x80, v2
	v_mov_b64_e32 v[2:3], 0x80000000
	scratch_store_b64 off, v[2:3], s32 offset:388 ; 8-byte Folded Spill
	s_wait_xcnt 0x0
	s_and_saveexec_b32 s11, s1
	s_cbranch_execz .LBB232_193
; %bb.188:                              ;   in Loop: Header=BB232_10 Depth=1
	v_mov_b64_e32 v[4:5], 0x7f800001
	v_bfe_u32 v3, v0, 16, 7
	s_mov_b32 s15, exec_lo
	scratch_store_b64 off, v[4:5], s32 offset:388 ; 8-byte Folded Spill
	s_wait_xcnt 0x0
	v_cmpx_ne_u32_e32 0x7f, v3
	s_cbranch_execz .LBB232_192
; %bb.189:                              ;   in Loop: Header=BB232_10 Depth=1
	scratch_load_b64 v[6:7], off, s32 offset:192 th:TH_LOAD_LU ; 8-byte Folded Reload
	s_wait_loadcnt 0x0
	v_dual_lshrrev_b32 v2, 3, v3 :: v_dual_bitop2_b32 v6, 7, v1 bitop3:0x40
	s_mov_b32 s16, exec_lo
	s_wait_xcnt 0x0
	v_cmpx_gt_u32_e32 8, v3
; %bb.190:                              ;   in Loop: Header=BB232_10 Depth=1
	s_delay_alu instid0(VALU_DEP_2) | instskip(NEXT) | instid1(VALU_DEP_1)
	v_clz_i32_u32_e32 v2, v6
	v_min_u32_e32 v2, 32, v2
	s_delay_alu instid0(VALU_DEP_1) | instskip(NEXT) | instid1(VALU_DEP_1)
	v_subrev_nc_u32_e32 v3, 28, v2
	v_lshlrev_b64_e32 v[4:5], v3, v[6:7]
	s_delay_alu instid0(VALU_DEP_1)
	v_dual_sub_nc_u32 v2, 29, v2 :: v_dual_bitop2_b32 v6, 7, v4 bitop3:0x40
; %bb.191:                              ;   in Loop: Header=BB232_10 Depth=1
	s_or_b32 exec_lo, exec_lo, s16
	s_delay_alu instid0(VALU_DEP_1) | instskip(NEXT) | instid1(VALU_DEP_2)
	v_dual_lshlrev_b32 v1, 24, v1 :: v_dual_lshlrev_b32 v3, 20, v6
	v_lshl_add_u32 v2, v2, 23, 0x3c000000
	s_delay_alu instid0(VALU_DEP_2) | instskip(NEXT) | instid1(VALU_DEP_1)
	v_and_b32_e32 v1, 0x80000000, v1
	v_or3_b32 v6, v3, v1, v2
	v_mov_b32_e32 v1, v7
	s_clause 0x1
	scratch_store_b64 off, v[0:1], s32 offset:192
	scratch_store_b64 off, v[6:7], s32 offset:388
.LBB232_192:                            ;   in Loop: Header=BB232_10 Depth=1
	s_wait_xcnt 0x0
	s_or_b32 exec_lo, exec_lo, s15
.LBB232_193:                            ;   in Loop: Header=BB232_10 Depth=1
	s_delay_alu instid0(SALU_CYCLE_1)
	s_or_b32 exec_lo, exec_lo, s11
.LBB232_194:                            ;   in Loop: Header=BB232_10 Depth=1
	s_delay_alu instid0(SALU_CYCLE_1) | instskip(NEXT) | instid1(SALU_CYCLE_1)
	s_or_b32 exec_lo, exec_lo, s4
	s_mov_b32 s4, exec_lo
	v_cmpx_lt_u32_e32 0xffffff, v0
	s_cbranch_execz .LBB232_202
; %bb.195:                              ;   in Loop: Header=BB232_10 Depth=1
	v_mov_b64_e32 v[2:3], 0x8000000000000000
	v_lshrrev_b32_e32 v1, 24, v0
	s_mov_b32 s11, exec_lo
	scratch_store_b64 off, v[2:3], s32 offset:380 ; 8-byte Folded Spill
	s_wait_xcnt 0x0
	v_cmpx_ne_u32_e32 0x80, v1
	s_cbranch_execz .LBB232_201
; %bb.196:                              ;   in Loop: Header=BB232_10 Depth=1
	v_mov_b64_e32 v[4:5], 0x7f80000100000000
	v_bfe_u32 v2, v0, 24, 7
	s_mov_b32 s15, exec_lo
	scratch_store_b64 off, v[4:5], s32 offset:380 ; 8-byte Folded Spill
	s_wait_xcnt 0x0
	v_cmpx_ne_u32_e32 0x7f, v2
	s_cbranch_execz .LBB232_200
; %bb.197:                              ;   in Loop: Header=BB232_10 Depth=1
	scratch_load_b64 v[4:5], off, s32 offset:192 th:TH_LOAD_LU ; 8-byte Folded Reload
	s_wait_loadcnt 0x0
	v_dual_lshrrev_b32 v0, 3, v2 :: v_dual_bitop2_b32 v4, 7, v1 bitop3:0x40
	s_mov_b32 s16, exec_lo
	s_wait_xcnt 0x0
	v_cmpx_gt_u32_e32 8, v2
; %bb.198:                              ;   in Loop: Header=BB232_10 Depth=1
	s_delay_alu instid0(VALU_DEP_2) | instskip(NEXT) | instid1(VALU_DEP_1)
	v_clz_i32_u32_e32 v0, v4
	v_min_u32_e32 v0, 32, v0
	s_delay_alu instid0(VALU_DEP_1) | instskip(NEXT) | instid1(VALU_DEP_1)
	v_subrev_nc_u32_e32 v2, 28, v0
	v_lshlrev_b64_e32 v[2:3], v2, v[4:5]
	s_delay_alu instid0(VALU_DEP_1)
	v_dual_sub_nc_u32 v0, 29, v0 :: v_dual_bitop2_b32 v4, 7, v2 bitop3:0x40
; %bb.199:                              ;   in Loop: Header=BB232_10 Depth=1
	s_or_b32 exec_lo, exec_lo, s16
	s_delay_alu instid0(VALU_DEP_1) | instskip(NEXT) | instid1(VALU_DEP_2)
	v_dual_lshlrev_b32 v1, 24, v1 :: v_dual_lshlrev_b32 v2, 20, v4
	v_lshl_add_u32 v0, v0, 23, 0x3c000000
	s_delay_alu instid0(VALU_DEP_2) | instskip(NEXT) | instid1(VALU_DEP_1)
	v_and_b32_e32 v1, 0x80000000, v1
	v_or3_b32 v3, v2, v1, v0
	v_dual_mov_b32 v1, v5 :: v_dual_mov_b32 v2, v5
	s_clause 0x1
	scratch_store_b64 off, v[0:1], s32 offset:192
	scratch_store_b64 off, v[2:3], s32 offset:380
.LBB232_200:                            ;   in Loop: Header=BB232_10 Depth=1
	s_wait_xcnt 0x0
	s_or_b32 exec_lo, exec_lo, s15
.LBB232_201:                            ;   in Loop: Header=BB232_10 Depth=1
	s_delay_alu instid0(SALU_CYCLE_1)
	s_or_b32 exec_lo, exec_lo, s11
.LBB232_202:                            ;   in Loop: Header=BB232_10 Depth=1
	s_delay_alu instid0(SALU_CYCLE_1)
	s_or_b32 exec_lo, exec_lo, s4
	flat_load_b32 v0, v[66:67] offset:520
	v_mov_b64_e32 v[2:3], 0
	s_mov_b32 s4, exec_lo
	scratch_store_b64 off, v[2:3], s32 offset:428 ; 8-byte Folded Spill
	s_wait_xcnt 0x0
	v_mov_b64_e32 v[2:3], 0
	scratch_store_b64 off, v[2:3], s32 offset:404 ; 8-byte Folded Spill
	s_wait_loadcnt_dscnt 0x0
	v_and_b32_e32 v1, 0xff, v0
	s_wait_xcnt 0x0
	s_delay_alu instid0(VALU_DEP_1)
	v_cmpx_ne_u16_e32 0, v1
	s_cbranch_execz .LBB232_210
; %bb.203:                              ;   in Loop: Header=BB232_10 Depth=1
	v_mov_b64_e32 v[2:3], 0x80000000
	s_mov_b32 s11, exec_lo
	scratch_store_b64 off, v[2:3], s32 offset:404 ; 8-byte Folded Spill
	s_wait_xcnt 0x0
	v_cmpx_ne_u16_e32 0x80, v1
	s_cbranch_execz .LBB232_209
; %bb.204:                              ;   in Loop: Header=BB232_10 Depth=1
	v_mov_b64_e32 v[4:5], 0x7f800001
	v_and_b32_e32 v2, 0x7f, v0
	s_mov_b32 s15, exec_lo
	scratch_store_b64 off, v[4:5], s32 offset:404 ; 8-byte Folded Spill
	s_wait_xcnt 0x0
	v_cmpx_ne_u32_e32 0x7f, v2
	s_cbranch_execz .LBB232_208
; %bb.205:                              ;   in Loop: Header=BB232_10 Depth=1
	scratch_load_b64 v[4:5], off, s32 offset:192 th:TH_LOAD_LU ; 8-byte Folded Reload
	s_wait_loadcnt 0x0
	v_dual_lshrrev_b32 v1, 3, v2 :: v_dual_bitop2_b32 v4, 7, v0 bitop3:0x40
	s_mov_b32 s16, exec_lo
	s_wait_xcnt 0x0
	v_cmpx_gt_u32_e32 8, v2
; %bb.206:                              ;   in Loop: Header=BB232_10 Depth=1
	s_delay_alu instid0(VALU_DEP_2) | instskip(NEXT) | instid1(VALU_DEP_1)
	v_clz_i32_u32_e32 v1, v4
	v_min_u32_e32 v1, 32, v1
	s_delay_alu instid0(VALU_DEP_1) | instskip(NEXT) | instid1(VALU_DEP_1)
	v_subrev_nc_u32_e32 v2, 28, v1
	v_lshlrev_b64_e32 v[2:3], v2, v[4:5]
	s_delay_alu instid0(VALU_DEP_1)
	v_dual_sub_nc_u32 v1, 29, v1 :: v_dual_bitop2_b32 v4, 7, v2 bitop3:0x40
; %bb.207:                              ;   in Loop: Header=BB232_10 Depth=1
	s_or_b32 exec_lo, exec_lo, s16
	v_lshlrev_b32_e32 v2, 24, v0
	s_delay_alu instid0(VALU_DEP_2) | instskip(NEXT) | instid1(VALU_DEP_3)
	v_lshlrev_b32_e32 v3, 20, v4
	v_lshl_add_u32 v1, v1, 23, 0x3c000000
	s_delay_alu instid0(VALU_DEP_3) | instskip(NEXT) | instid1(VALU_DEP_1)
	v_and_b32_e32 v2, 0x80000000, v2
	v_or3_b32 v4, v3, v2, v1
	v_mov_b32_e32 v1, v5
	s_clause 0x1
	scratch_store_b64 off, v[0:1], s32 offset:192
	scratch_store_b64 off, v[4:5], s32 offset:404
.LBB232_208:                            ;   in Loop: Header=BB232_10 Depth=1
	s_wait_xcnt 0x0
	s_or_b32 exec_lo, exec_lo, s15
.LBB232_209:                            ;   in Loop: Header=BB232_10 Depth=1
	s_delay_alu instid0(SALU_CYCLE_1)
	s_or_b32 exec_lo, exec_lo, s11
.LBB232_210:                            ;   in Loop: Header=BB232_10 Depth=1
	s_delay_alu instid0(SALU_CYCLE_1) | instskip(SKIP_2) | instid1(VALU_DEP_1)
	s_or_b32 exec_lo, exec_lo, s4
	v_lshrrev_b16 v1, 8, v0
	s_mov_b32 s4, exec_lo
	v_cmpx_ne_u16_e32 0, v1
	s_cbranch_execz .LBB232_218
; %bb.211:                              ;   in Loop: Header=BB232_10 Depth=1
	v_mov_b64_e32 v[2:3], 0x8000000000000000
	s_mov_b32 s11, exec_lo
	scratch_store_b64 off, v[2:3], s32 offset:428 ; 8-byte Folded Spill
	s_wait_xcnt 0x0
	v_cmpx_ne_u16_e32 0x80, v1
	s_cbranch_execz .LBB232_217
; %bb.212:                              ;   in Loop: Header=BB232_10 Depth=1
	v_and_b32_e32 v1, 0xffff, v1
	v_mov_b64_e32 v[4:5], 0x7f80000100000000
	s_mov_b32 s15, exec_lo
	s_delay_alu instid0(VALU_DEP_2)
	v_and_b32_e32 v2, 0x7f, v1
	scratch_store_b64 off, v[4:5], s32 offset:428 ; 8-byte Folded Spill
	s_wait_xcnt 0x0
	v_cmpx_ne_u32_e32 0x7f, v2
	s_cbranch_execz .LBB232_216
; %bb.213:                              ;   in Loop: Header=BB232_10 Depth=1
	scratch_load_b64 v[4:5], off, s32 offset:192 th:TH_LOAD_LU ; 8-byte Folded Reload
	s_wait_loadcnt 0x0
	v_dual_lshrrev_b32 v1, 3, v2 :: v_dual_bitop2_b32 v4, 7, v1 bitop3:0x40
	s_mov_b32 s16, exec_lo
	s_wait_xcnt 0x0
	v_cmpx_gt_u32_e32 8, v2
; %bb.214:                              ;   in Loop: Header=BB232_10 Depth=1
	s_delay_alu instid0(VALU_DEP_2) | instskip(NEXT) | instid1(VALU_DEP_1)
	v_clz_i32_u32_e32 v1, v4
	v_min_u32_e32 v1, 32, v1
	s_delay_alu instid0(VALU_DEP_1) | instskip(NEXT) | instid1(VALU_DEP_1)
	v_subrev_nc_u32_e32 v2, 28, v1
	v_lshlrev_b64_e32 v[2:3], v2, v[4:5]
	s_delay_alu instid0(VALU_DEP_1)
	v_dual_sub_nc_u32 v1, 29, v1 :: v_dual_bitop2_b32 v4, 7, v2 bitop3:0x40
; %bb.215:                              ;   in Loop: Header=BB232_10 Depth=1
	s_or_b32 exec_lo, exec_lo, s16
	v_lshlrev_b32_e32 v2, 16, v0
	s_delay_alu instid0(VALU_DEP_2) | instskip(NEXT) | instid1(VALU_DEP_3)
	v_lshlrev_b32_e32 v3, 20, v4
	v_lshl_add_u32 v1, v1, 23, 0x3c000000
	s_delay_alu instid0(VALU_DEP_3) | instskip(NEXT) | instid1(VALU_DEP_1)
	v_and_b32_e32 v2, 0x80000000, v2
	v_or3_b32 v3, v3, v2, v1
	v_dual_mov_b32 v1, v5 :: v_dual_mov_b32 v2, v5
	s_clause 0x1
	scratch_store_b64 off, v[0:1], s32 offset:192
	scratch_store_b64 off, v[2:3], s32 offset:428
.LBB232_216:                            ;   in Loop: Header=BB232_10 Depth=1
	s_wait_xcnt 0x0
	s_or_b32 exec_lo, exec_lo, s15
.LBB232_217:                            ;   in Loop: Header=BB232_10 Depth=1
	s_delay_alu instid0(SALU_CYCLE_1)
	s_or_b32 exec_lo, exec_lo, s11
.LBB232_218:                            ;   in Loop: Header=BB232_10 Depth=1
	s_delay_alu instid0(SALU_CYCLE_1) | instskip(SKIP_3) | instid1(VALU_DEP_1)
	s_or_b32 exec_lo, exec_lo, s4
	v_mov_b64_e32 v[4:5], 0
	v_lshrrev_b32_e32 v1, 16, v0
	s_mov_b32 s4, exec_lo
	v_and_b32_e32 v2, 0xff, v1
	scratch_store_b64 off, v[4:5], s32 offset:412 ; 8-byte Folded Spill
	s_wait_xcnt 0x0
	v_mov_b64_e32 v[4:5], 0
	scratch_store_b64 off, v[4:5], s32 offset:420 ; 8-byte Folded Spill
	s_wait_xcnt 0x0
	v_cmpx_ne_u16_e32 0, v2
	s_cbranch_execz .LBB232_226
; %bb.219:                              ;   in Loop: Header=BB232_10 Depth=1
	v_cmp_ne_u16_e64 s1, 0x80, v2
	v_mov_b64_e32 v[2:3], 0x80000000
	scratch_store_b64 off, v[2:3], s32 offset:420 ; 8-byte Folded Spill
	s_wait_xcnt 0x0
	s_and_saveexec_b32 s11, s1
	s_cbranch_execz .LBB232_225
; %bb.220:                              ;   in Loop: Header=BB232_10 Depth=1
	v_mov_b64_e32 v[4:5], 0x7f800001
	v_bfe_u32 v3, v0, 16, 7
	s_mov_b32 s15, exec_lo
	scratch_store_b64 off, v[4:5], s32 offset:420 ; 8-byte Folded Spill
	s_wait_xcnt 0x0
	v_cmpx_ne_u32_e32 0x7f, v3
	s_cbranch_execz .LBB232_224
; %bb.221:                              ;   in Loop: Header=BB232_10 Depth=1
	scratch_load_b64 v[6:7], off, s32 offset:192 th:TH_LOAD_LU ; 8-byte Folded Reload
	s_wait_loadcnt 0x0
	v_dual_lshrrev_b32 v2, 3, v3 :: v_dual_bitop2_b32 v6, 7, v1 bitop3:0x40
	s_mov_b32 s16, exec_lo
	s_wait_xcnt 0x0
	v_cmpx_gt_u32_e32 8, v3
; %bb.222:                              ;   in Loop: Header=BB232_10 Depth=1
	s_delay_alu instid0(VALU_DEP_2) | instskip(NEXT) | instid1(VALU_DEP_1)
	v_clz_i32_u32_e32 v2, v6
	v_min_u32_e32 v2, 32, v2
	s_delay_alu instid0(VALU_DEP_1) | instskip(NEXT) | instid1(VALU_DEP_1)
	v_subrev_nc_u32_e32 v3, 28, v2
	v_lshlrev_b64_e32 v[4:5], v3, v[6:7]
	s_delay_alu instid0(VALU_DEP_1)
	v_dual_sub_nc_u32 v2, 29, v2 :: v_dual_bitop2_b32 v6, 7, v4 bitop3:0x40
; %bb.223:                              ;   in Loop: Header=BB232_10 Depth=1
	s_or_b32 exec_lo, exec_lo, s16
	s_delay_alu instid0(VALU_DEP_1) | instskip(NEXT) | instid1(VALU_DEP_2)
	v_dual_lshlrev_b32 v1, 24, v1 :: v_dual_lshlrev_b32 v3, 20, v6
	v_lshl_add_u32 v2, v2, 23, 0x3c000000
	s_delay_alu instid0(VALU_DEP_2) | instskip(NEXT) | instid1(VALU_DEP_1)
	v_and_b32_e32 v1, 0x80000000, v1
	v_or3_b32 v6, v3, v1, v2
	v_mov_b32_e32 v1, v7
	s_clause 0x1
	scratch_store_b64 off, v[0:1], s32 offset:192
	scratch_store_b64 off, v[6:7], s32 offset:420
.LBB232_224:                            ;   in Loop: Header=BB232_10 Depth=1
	s_wait_xcnt 0x0
	s_or_b32 exec_lo, exec_lo, s15
.LBB232_225:                            ;   in Loop: Header=BB232_10 Depth=1
	s_delay_alu instid0(SALU_CYCLE_1)
	s_or_b32 exec_lo, exec_lo, s11
.LBB232_226:                            ;   in Loop: Header=BB232_10 Depth=1
	s_delay_alu instid0(SALU_CYCLE_1) | instskip(NEXT) | instid1(SALU_CYCLE_1)
	s_or_b32 exec_lo, exec_lo, s4
	s_mov_b32 s4, exec_lo
	v_cmpx_lt_u32_e32 0xffffff, v0
	s_cbranch_execz .LBB232_234
; %bb.227:                              ;   in Loop: Header=BB232_10 Depth=1
	v_mov_b64_e32 v[2:3], 0x8000000000000000
	v_lshrrev_b32_e32 v1, 24, v0
	s_mov_b32 s11, exec_lo
	scratch_store_b64 off, v[2:3], s32 offset:412 ; 8-byte Folded Spill
	s_wait_xcnt 0x0
	v_cmpx_ne_u32_e32 0x80, v1
	s_cbranch_execz .LBB232_233
; %bb.228:                              ;   in Loop: Header=BB232_10 Depth=1
	v_mov_b64_e32 v[4:5], 0x7f80000100000000
	v_bfe_u32 v2, v0, 24, 7
	s_mov_b32 s15, exec_lo
	scratch_store_b64 off, v[4:5], s32 offset:412 ; 8-byte Folded Spill
	s_wait_xcnt 0x0
	v_cmpx_ne_u32_e32 0x7f, v2
	s_cbranch_execz .LBB232_232
; %bb.229:                              ;   in Loop: Header=BB232_10 Depth=1
	scratch_load_b64 v[4:5], off, s32 offset:192 th:TH_LOAD_LU ; 8-byte Folded Reload
	s_wait_loadcnt 0x0
	v_dual_lshrrev_b32 v0, 3, v2 :: v_dual_bitop2_b32 v4, 7, v1 bitop3:0x40
	s_mov_b32 s16, exec_lo
	s_wait_xcnt 0x0
	v_cmpx_gt_u32_e32 8, v2
; %bb.230:                              ;   in Loop: Header=BB232_10 Depth=1
	s_delay_alu instid0(VALU_DEP_2) | instskip(NEXT) | instid1(VALU_DEP_1)
	v_clz_i32_u32_e32 v0, v4
	v_min_u32_e32 v0, 32, v0
	s_delay_alu instid0(VALU_DEP_1) | instskip(NEXT) | instid1(VALU_DEP_1)
	v_subrev_nc_u32_e32 v2, 28, v0
	v_lshlrev_b64_e32 v[2:3], v2, v[4:5]
	s_delay_alu instid0(VALU_DEP_1)
	v_dual_sub_nc_u32 v0, 29, v0 :: v_dual_bitop2_b32 v4, 7, v2 bitop3:0x40
; %bb.231:                              ;   in Loop: Header=BB232_10 Depth=1
	s_or_b32 exec_lo, exec_lo, s16
	s_delay_alu instid0(VALU_DEP_1) | instskip(NEXT) | instid1(VALU_DEP_2)
	v_dual_lshlrev_b32 v1, 24, v1 :: v_dual_lshlrev_b32 v2, 20, v4
	v_lshl_add_u32 v0, v0, 23, 0x3c000000
	s_delay_alu instid0(VALU_DEP_2) | instskip(NEXT) | instid1(VALU_DEP_1)
	v_and_b32_e32 v1, 0x80000000, v1
	v_or3_b32 v3, v2, v1, v0
	v_dual_mov_b32 v1, v5 :: v_dual_mov_b32 v2, v5
	s_clause 0x1
	scratch_store_b64 off, v[0:1], s32 offset:192
	scratch_store_b64 off, v[2:3], s32 offset:412
.LBB232_232:                            ;   in Loop: Header=BB232_10 Depth=1
	s_wait_xcnt 0x0
	s_or_b32 exec_lo, exec_lo, s15
.LBB232_233:                            ;   in Loop: Header=BB232_10 Depth=1
	s_delay_alu instid0(SALU_CYCLE_1)
	s_or_b32 exec_lo, exec_lo, s11
.LBB232_234:                            ;   in Loop: Header=BB232_10 Depth=1
	s_delay_alu instid0(SALU_CYCLE_1)
	s_or_b32 exec_lo, exec_lo, s4
	flat_load_b32 v0, v[66:67] offset:524
	v_mov_b64_e32 v[2:3], 0
	s_mov_b32 s4, exec_lo
	scratch_store_b64 off, v[2:3], s32 offset:460 ; 8-byte Folded Spill
	s_wait_xcnt 0x0
	v_mov_b64_e32 v[2:3], 0
	scratch_store_b64 off, v[2:3], s32 offset:436 ; 8-byte Folded Spill
	s_wait_loadcnt_dscnt 0x0
	v_and_b32_e32 v1, 0xff, v0
	s_wait_xcnt 0x0
	s_delay_alu instid0(VALU_DEP_1)
	v_cmpx_ne_u16_e32 0, v1
	s_cbranch_execz .LBB232_242
; %bb.235:                              ;   in Loop: Header=BB232_10 Depth=1
	v_mov_b64_e32 v[2:3], 0x80000000
	s_mov_b32 s11, exec_lo
	scratch_store_b64 off, v[2:3], s32 offset:436 ; 8-byte Folded Spill
	s_wait_xcnt 0x0
	v_cmpx_ne_u16_e32 0x80, v1
	s_cbranch_execz .LBB232_241
; %bb.236:                              ;   in Loop: Header=BB232_10 Depth=1
	v_mov_b64_e32 v[4:5], 0x7f800001
	v_and_b32_e32 v2, 0x7f, v0
	s_mov_b32 s15, exec_lo
	scratch_store_b64 off, v[4:5], s32 offset:436 ; 8-byte Folded Spill
	s_wait_xcnt 0x0
	v_cmpx_ne_u32_e32 0x7f, v2
	s_cbranch_execz .LBB232_240
; %bb.237:                              ;   in Loop: Header=BB232_10 Depth=1
	scratch_load_b64 v[4:5], off, s32 offset:192 th:TH_LOAD_LU ; 8-byte Folded Reload
	s_wait_loadcnt 0x0
	v_dual_lshrrev_b32 v1, 3, v2 :: v_dual_bitop2_b32 v4, 7, v0 bitop3:0x40
	s_mov_b32 s16, exec_lo
	s_wait_xcnt 0x0
	v_cmpx_gt_u32_e32 8, v2
; %bb.238:                              ;   in Loop: Header=BB232_10 Depth=1
	s_delay_alu instid0(VALU_DEP_2) | instskip(NEXT) | instid1(VALU_DEP_1)
	v_clz_i32_u32_e32 v1, v4
	v_min_u32_e32 v1, 32, v1
	s_delay_alu instid0(VALU_DEP_1) | instskip(NEXT) | instid1(VALU_DEP_1)
	v_subrev_nc_u32_e32 v2, 28, v1
	v_lshlrev_b64_e32 v[2:3], v2, v[4:5]
	s_delay_alu instid0(VALU_DEP_1)
	v_dual_sub_nc_u32 v1, 29, v1 :: v_dual_bitop2_b32 v4, 7, v2 bitop3:0x40
; %bb.239:                              ;   in Loop: Header=BB232_10 Depth=1
	s_or_b32 exec_lo, exec_lo, s16
	v_lshlrev_b32_e32 v2, 24, v0
	s_delay_alu instid0(VALU_DEP_2) | instskip(NEXT) | instid1(VALU_DEP_3)
	v_lshlrev_b32_e32 v3, 20, v4
	v_lshl_add_u32 v1, v1, 23, 0x3c000000
	s_delay_alu instid0(VALU_DEP_3) | instskip(NEXT) | instid1(VALU_DEP_1)
	v_and_b32_e32 v2, 0x80000000, v2
	v_or3_b32 v4, v3, v2, v1
	v_mov_b32_e32 v1, v5
	s_clause 0x1
	scratch_store_b64 off, v[0:1], s32 offset:192
	scratch_store_b64 off, v[4:5], s32 offset:436
.LBB232_240:                            ;   in Loop: Header=BB232_10 Depth=1
	s_wait_xcnt 0x0
	s_or_b32 exec_lo, exec_lo, s15
.LBB232_241:                            ;   in Loop: Header=BB232_10 Depth=1
	s_delay_alu instid0(SALU_CYCLE_1)
	s_or_b32 exec_lo, exec_lo, s11
.LBB232_242:                            ;   in Loop: Header=BB232_10 Depth=1
	s_delay_alu instid0(SALU_CYCLE_1) | instskip(SKIP_2) | instid1(VALU_DEP_1)
	s_or_b32 exec_lo, exec_lo, s4
	v_lshrrev_b16 v1, 8, v0
	s_mov_b32 s4, exec_lo
	v_cmpx_ne_u16_e32 0, v1
	s_cbranch_execz .LBB232_250
; %bb.243:                              ;   in Loop: Header=BB232_10 Depth=1
	v_mov_b64_e32 v[2:3], 0x8000000000000000
	s_mov_b32 s11, exec_lo
	scratch_store_b64 off, v[2:3], s32 offset:460 ; 8-byte Folded Spill
	s_wait_xcnt 0x0
	v_cmpx_ne_u16_e32 0x80, v1
	s_cbranch_execz .LBB232_249
; %bb.244:                              ;   in Loop: Header=BB232_10 Depth=1
	v_and_b32_e32 v1, 0xffff, v1
	v_mov_b64_e32 v[4:5], 0x7f80000100000000
	s_mov_b32 s15, exec_lo
	s_delay_alu instid0(VALU_DEP_2)
	v_and_b32_e32 v2, 0x7f, v1
	scratch_store_b64 off, v[4:5], s32 offset:460 ; 8-byte Folded Spill
	s_wait_xcnt 0x0
	v_cmpx_ne_u32_e32 0x7f, v2
	s_cbranch_execz .LBB232_248
; %bb.245:                              ;   in Loop: Header=BB232_10 Depth=1
	scratch_load_b64 v[4:5], off, s32 offset:192 th:TH_LOAD_LU ; 8-byte Folded Reload
	s_wait_loadcnt 0x0
	v_dual_lshrrev_b32 v1, 3, v2 :: v_dual_bitop2_b32 v4, 7, v1 bitop3:0x40
	s_mov_b32 s16, exec_lo
	s_wait_xcnt 0x0
	v_cmpx_gt_u32_e32 8, v2
; %bb.246:                              ;   in Loop: Header=BB232_10 Depth=1
	s_delay_alu instid0(VALU_DEP_2) | instskip(NEXT) | instid1(VALU_DEP_1)
	v_clz_i32_u32_e32 v1, v4
	v_min_u32_e32 v1, 32, v1
	s_delay_alu instid0(VALU_DEP_1) | instskip(NEXT) | instid1(VALU_DEP_1)
	v_subrev_nc_u32_e32 v2, 28, v1
	v_lshlrev_b64_e32 v[2:3], v2, v[4:5]
	s_delay_alu instid0(VALU_DEP_1)
	v_dual_sub_nc_u32 v1, 29, v1 :: v_dual_bitop2_b32 v4, 7, v2 bitop3:0x40
; %bb.247:                              ;   in Loop: Header=BB232_10 Depth=1
	s_or_b32 exec_lo, exec_lo, s16
	v_lshlrev_b32_e32 v2, 16, v0
	s_delay_alu instid0(VALU_DEP_2) | instskip(NEXT) | instid1(VALU_DEP_3)
	v_lshlrev_b32_e32 v3, 20, v4
	v_lshl_add_u32 v1, v1, 23, 0x3c000000
	s_delay_alu instid0(VALU_DEP_3) | instskip(NEXT) | instid1(VALU_DEP_1)
	v_and_b32_e32 v2, 0x80000000, v2
	v_or3_b32 v3, v3, v2, v1
	v_dual_mov_b32 v1, v5 :: v_dual_mov_b32 v2, v5
	s_clause 0x1
	scratch_store_b64 off, v[0:1], s32 offset:192
	scratch_store_b64 off, v[2:3], s32 offset:460
.LBB232_248:                            ;   in Loop: Header=BB232_10 Depth=1
	s_wait_xcnt 0x0
	s_or_b32 exec_lo, exec_lo, s15
.LBB232_249:                            ;   in Loop: Header=BB232_10 Depth=1
	s_delay_alu instid0(SALU_CYCLE_1)
	s_or_b32 exec_lo, exec_lo, s11
.LBB232_250:                            ;   in Loop: Header=BB232_10 Depth=1
	s_delay_alu instid0(SALU_CYCLE_1) | instskip(SKIP_3) | instid1(VALU_DEP_1)
	s_or_b32 exec_lo, exec_lo, s4
	v_mov_b64_e32 v[4:5], 0
	v_lshrrev_b32_e32 v1, 16, v0
	s_mov_b32 s4, exec_lo
	v_and_b32_e32 v2, 0xff, v1
	scratch_store_b64 off, v[4:5], s32 offset:444 ; 8-byte Folded Spill
	s_wait_xcnt 0x0
	v_mov_b64_e32 v[4:5], 0
	scratch_store_b64 off, v[4:5], s32 offset:452 ; 8-byte Folded Spill
	s_wait_xcnt 0x0
	v_cmpx_ne_u16_e32 0, v2
	s_cbranch_execz .LBB232_258
; %bb.251:                              ;   in Loop: Header=BB232_10 Depth=1
	v_cmp_ne_u16_e64 s1, 0x80, v2
	v_mov_b64_e32 v[2:3], 0x80000000
	scratch_store_b64 off, v[2:3], s32 offset:452 ; 8-byte Folded Spill
	s_wait_xcnt 0x0
	s_and_saveexec_b32 s11, s1
	s_cbranch_execz .LBB232_257
; %bb.252:                              ;   in Loop: Header=BB232_10 Depth=1
	v_mov_b64_e32 v[4:5], 0x7f800001
	v_bfe_u32 v3, v0, 16, 7
	s_mov_b32 s15, exec_lo
	scratch_store_b64 off, v[4:5], s32 offset:452 ; 8-byte Folded Spill
	s_wait_xcnt 0x0
	v_cmpx_ne_u32_e32 0x7f, v3
	s_cbranch_execz .LBB232_256
; %bb.253:                              ;   in Loop: Header=BB232_10 Depth=1
	scratch_load_b64 v[6:7], off, s32 offset:192 th:TH_LOAD_LU ; 8-byte Folded Reload
	s_wait_loadcnt 0x0
	v_dual_lshrrev_b32 v2, 3, v3 :: v_dual_bitop2_b32 v6, 7, v1 bitop3:0x40
	s_mov_b32 s16, exec_lo
	s_wait_xcnt 0x0
	v_cmpx_gt_u32_e32 8, v3
; %bb.254:                              ;   in Loop: Header=BB232_10 Depth=1
	s_delay_alu instid0(VALU_DEP_2) | instskip(NEXT) | instid1(VALU_DEP_1)
	v_clz_i32_u32_e32 v2, v6
	v_min_u32_e32 v2, 32, v2
	s_delay_alu instid0(VALU_DEP_1) | instskip(NEXT) | instid1(VALU_DEP_1)
	v_subrev_nc_u32_e32 v3, 28, v2
	v_lshlrev_b64_e32 v[4:5], v3, v[6:7]
	s_delay_alu instid0(VALU_DEP_1)
	v_dual_sub_nc_u32 v2, 29, v2 :: v_dual_bitop2_b32 v6, 7, v4 bitop3:0x40
; %bb.255:                              ;   in Loop: Header=BB232_10 Depth=1
	s_or_b32 exec_lo, exec_lo, s16
	s_delay_alu instid0(VALU_DEP_1) | instskip(NEXT) | instid1(VALU_DEP_2)
	v_dual_lshlrev_b32 v1, 24, v1 :: v_dual_lshlrev_b32 v3, 20, v6
	v_lshl_add_u32 v2, v2, 23, 0x3c000000
	s_delay_alu instid0(VALU_DEP_2) | instskip(NEXT) | instid1(VALU_DEP_1)
	v_and_b32_e32 v1, 0x80000000, v1
	v_or3_b32 v6, v3, v1, v2
	v_mov_b32_e32 v1, v7
	s_clause 0x1
	scratch_store_b64 off, v[0:1], s32 offset:192
	scratch_store_b64 off, v[6:7], s32 offset:452
.LBB232_256:                            ;   in Loop: Header=BB232_10 Depth=1
	s_wait_xcnt 0x0
	s_or_b32 exec_lo, exec_lo, s15
.LBB232_257:                            ;   in Loop: Header=BB232_10 Depth=1
	s_delay_alu instid0(SALU_CYCLE_1)
	s_or_b32 exec_lo, exec_lo, s11
.LBB232_258:                            ;   in Loop: Header=BB232_10 Depth=1
	s_delay_alu instid0(SALU_CYCLE_1) | instskip(NEXT) | instid1(SALU_CYCLE_1)
	s_or_b32 exec_lo, exec_lo, s4
	s_mov_b32 s4, exec_lo
	v_cmpx_lt_u32_e32 0xffffff, v0
	s_cbranch_execz .LBB232_266
; %bb.259:                              ;   in Loop: Header=BB232_10 Depth=1
	v_mov_b64_e32 v[2:3], 0x8000000000000000
	v_lshrrev_b32_e32 v1, 24, v0
	s_mov_b32 s11, exec_lo
	scratch_store_b64 off, v[2:3], s32 offset:444 ; 8-byte Folded Spill
	s_wait_xcnt 0x0
	v_cmpx_ne_u32_e32 0x80, v1
	s_cbranch_execz .LBB232_265
; %bb.260:                              ;   in Loop: Header=BB232_10 Depth=1
	v_mov_b64_e32 v[4:5], 0x7f80000100000000
	v_bfe_u32 v2, v0, 24, 7
	s_mov_b32 s15, exec_lo
	scratch_store_b64 off, v[4:5], s32 offset:444 ; 8-byte Folded Spill
	s_wait_xcnt 0x0
	v_cmpx_ne_u32_e32 0x7f, v2
	s_cbranch_execz .LBB232_264
; %bb.261:                              ;   in Loop: Header=BB232_10 Depth=1
	scratch_load_b64 v[4:5], off, s32 offset:192 th:TH_LOAD_LU ; 8-byte Folded Reload
	s_wait_loadcnt 0x0
	v_dual_lshrrev_b32 v0, 3, v2 :: v_dual_bitop2_b32 v4, 7, v1 bitop3:0x40
	s_mov_b32 s16, exec_lo
	s_wait_xcnt 0x0
	v_cmpx_gt_u32_e32 8, v2
; %bb.262:                              ;   in Loop: Header=BB232_10 Depth=1
	s_delay_alu instid0(VALU_DEP_2) | instskip(NEXT) | instid1(VALU_DEP_1)
	v_clz_i32_u32_e32 v0, v4
	v_min_u32_e32 v0, 32, v0
	s_delay_alu instid0(VALU_DEP_1) | instskip(NEXT) | instid1(VALU_DEP_1)
	v_subrev_nc_u32_e32 v2, 28, v0
	v_lshlrev_b64_e32 v[2:3], v2, v[4:5]
	s_delay_alu instid0(VALU_DEP_1)
	v_dual_sub_nc_u32 v0, 29, v0 :: v_dual_bitop2_b32 v4, 7, v2 bitop3:0x40
; %bb.263:                              ;   in Loop: Header=BB232_10 Depth=1
	s_or_b32 exec_lo, exec_lo, s16
	s_delay_alu instid0(VALU_DEP_1) | instskip(NEXT) | instid1(VALU_DEP_2)
	v_dual_lshlrev_b32 v1, 24, v1 :: v_dual_lshlrev_b32 v2, 20, v4
	v_lshl_add_u32 v0, v0, 23, 0x3c000000
	s_delay_alu instid0(VALU_DEP_2) | instskip(NEXT) | instid1(VALU_DEP_1)
	v_and_b32_e32 v1, 0x80000000, v1
	v_or3_b32 v3, v2, v1, v0
	v_dual_mov_b32 v1, v5 :: v_dual_mov_b32 v2, v5
	s_clause 0x1
	scratch_store_b64 off, v[0:1], s32 offset:192
	scratch_store_b64 off, v[2:3], s32 offset:444
.LBB232_264:                            ;   in Loop: Header=BB232_10 Depth=1
	s_wait_xcnt 0x0
	s_or_b32 exec_lo, exec_lo, s15
.LBB232_265:                            ;   in Loop: Header=BB232_10 Depth=1
	s_delay_alu instid0(SALU_CYCLE_1)
	s_or_b32 exec_lo, exec_lo, s11
.LBB232_266:                            ;   in Loop: Header=BB232_10 Depth=1
	s_delay_alu instid0(SALU_CYCLE_1)
	s_or_b32 exec_lo, exec_lo, s4
	flat_load_b32 v0, v[66:67] offset:1024
	v_mov_b64_e32 v[2:3], 0
	s_mov_b32 s4, exec_lo
	scratch_store_b64 off, v[2:3], s32 offset:492 ; 8-byte Folded Spill
	s_wait_xcnt 0x0
	v_mov_b64_e32 v[2:3], 0
	scratch_store_b64 off, v[2:3], s32 offset:468 ; 8-byte Folded Spill
	s_wait_loadcnt_dscnt 0x0
	v_and_b32_e32 v1, 0xff, v0
	s_wait_xcnt 0x0
	s_delay_alu instid0(VALU_DEP_1)
	v_cmpx_ne_u16_e32 0, v1
	s_cbranch_execz .LBB232_274
; %bb.267:                              ;   in Loop: Header=BB232_10 Depth=1
	v_mov_b64_e32 v[2:3], 0x80000000
	s_mov_b32 s11, exec_lo
	scratch_store_b64 off, v[2:3], s32 offset:468 ; 8-byte Folded Spill
	s_wait_xcnt 0x0
	v_cmpx_ne_u16_e32 0x80, v1
	s_cbranch_execz .LBB232_273
; %bb.268:                              ;   in Loop: Header=BB232_10 Depth=1
	v_mov_b64_e32 v[4:5], 0x7f800001
	v_and_b32_e32 v2, 0x7f, v0
	s_mov_b32 s15, exec_lo
	scratch_store_b64 off, v[4:5], s32 offset:468 ; 8-byte Folded Spill
	s_wait_xcnt 0x0
	v_cmpx_ne_u32_e32 0x7f, v2
	s_cbranch_execz .LBB232_272
; %bb.269:                              ;   in Loop: Header=BB232_10 Depth=1
	scratch_load_b64 v[4:5], off, s32 offset:192 th:TH_LOAD_LU ; 8-byte Folded Reload
	s_wait_loadcnt 0x0
	v_dual_lshrrev_b32 v1, 3, v2 :: v_dual_bitop2_b32 v4, 7, v0 bitop3:0x40
	s_mov_b32 s16, exec_lo
	s_wait_xcnt 0x0
	v_cmpx_gt_u32_e32 8, v2
; %bb.270:                              ;   in Loop: Header=BB232_10 Depth=1
	s_delay_alu instid0(VALU_DEP_2) | instskip(NEXT) | instid1(VALU_DEP_1)
	v_clz_i32_u32_e32 v1, v4
	v_min_u32_e32 v1, 32, v1
	s_delay_alu instid0(VALU_DEP_1) | instskip(NEXT) | instid1(VALU_DEP_1)
	v_subrev_nc_u32_e32 v2, 28, v1
	v_lshlrev_b64_e32 v[2:3], v2, v[4:5]
	s_delay_alu instid0(VALU_DEP_1)
	v_dual_sub_nc_u32 v1, 29, v1 :: v_dual_bitop2_b32 v4, 7, v2 bitop3:0x40
; %bb.271:                              ;   in Loop: Header=BB232_10 Depth=1
	s_or_b32 exec_lo, exec_lo, s16
	v_lshlrev_b32_e32 v2, 24, v0
	s_delay_alu instid0(VALU_DEP_2) | instskip(NEXT) | instid1(VALU_DEP_3)
	v_lshlrev_b32_e32 v3, 20, v4
	v_lshl_add_u32 v1, v1, 23, 0x3c000000
	s_delay_alu instid0(VALU_DEP_3) | instskip(NEXT) | instid1(VALU_DEP_1)
	v_and_b32_e32 v2, 0x80000000, v2
	v_or3_b32 v4, v3, v2, v1
	v_mov_b32_e32 v1, v5
	s_clause 0x1
	scratch_store_b64 off, v[0:1], s32 offset:192
	scratch_store_b64 off, v[4:5], s32 offset:468
.LBB232_272:                            ;   in Loop: Header=BB232_10 Depth=1
	s_wait_xcnt 0x0
	s_or_b32 exec_lo, exec_lo, s15
.LBB232_273:                            ;   in Loop: Header=BB232_10 Depth=1
	s_delay_alu instid0(SALU_CYCLE_1)
	s_or_b32 exec_lo, exec_lo, s11
.LBB232_274:                            ;   in Loop: Header=BB232_10 Depth=1
	s_delay_alu instid0(SALU_CYCLE_1) | instskip(SKIP_2) | instid1(VALU_DEP_1)
	s_or_b32 exec_lo, exec_lo, s4
	v_lshrrev_b16 v1, 8, v0
	s_mov_b32 s4, exec_lo
	v_cmpx_ne_u16_e32 0, v1
	s_cbranch_execz .LBB232_282
; %bb.275:                              ;   in Loop: Header=BB232_10 Depth=1
	v_mov_b64_e32 v[2:3], 0x8000000000000000
	s_mov_b32 s11, exec_lo
	scratch_store_b64 off, v[2:3], s32 offset:492 ; 8-byte Folded Spill
	s_wait_xcnt 0x0
	v_cmpx_ne_u16_e32 0x80, v1
	s_cbranch_execz .LBB232_281
; %bb.276:                              ;   in Loop: Header=BB232_10 Depth=1
	v_and_b32_e32 v1, 0xffff, v1
	v_mov_b64_e32 v[4:5], 0x7f80000100000000
	s_mov_b32 s15, exec_lo
	s_delay_alu instid0(VALU_DEP_2)
	v_and_b32_e32 v2, 0x7f, v1
	scratch_store_b64 off, v[4:5], s32 offset:492 ; 8-byte Folded Spill
	s_wait_xcnt 0x0
	v_cmpx_ne_u32_e32 0x7f, v2
	s_cbranch_execz .LBB232_280
; %bb.277:                              ;   in Loop: Header=BB232_10 Depth=1
	scratch_load_b64 v[4:5], off, s32 offset:192 th:TH_LOAD_LU ; 8-byte Folded Reload
	s_wait_loadcnt 0x0
	v_dual_lshrrev_b32 v1, 3, v2 :: v_dual_bitop2_b32 v4, 7, v1 bitop3:0x40
	s_mov_b32 s16, exec_lo
	s_wait_xcnt 0x0
	v_cmpx_gt_u32_e32 8, v2
; %bb.278:                              ;   in Loop: Header=BB232_10 Depth=1
	s_delay_alu instid0(VALU_DEP_2) | instskip(NEXT) | instid1(VALU_DEP_1)
	v_clz_i32_u32_e32 v1, v4
	v_min_u32_e32 v1, 32, v1
	s_delay_alu instid0(VALU_DEP_1) | instskip(NEXT) | instid1(VALU_DEP_1)
	v_subrev_nc_u32_e32 v2, 28, v1
	v_lshlrev_b64_e32 v[2:3], v2, v[4:5]
	s_delay_alu instid0(VALU_DEP_1)
	v_dual_sub_nc_u32 v1, 29, v1 :: v_dual_bitop2_b32 v4, 7, v2 bitop3:0x40
; %bb.279:                              ;   in Loop: Header=BB232_10 Depth=1
	s_or_b32 exec_lo, exec_lo, s16
	v_lshlrev_b32_e32 v2, 16, v0
	s_delay_alu instid0(VALU_DEP_2) | instskip(NEXT) | instid1(VALU_DEP_3)
	v_lshlrev_b32_e32 v3, 20, v4
	v_lshl_add_u32 v1, v1, 23, 0x3c000000
	s_delay_alu instid0(VALU_DEP_3) | instskip(NEXT) | instid1(VALU_DEP_1)
	v_and_b32_e32 v2, 0x80000000, v2
	v_or3_b32 v3, v3, v2, v1
	v_dual_mov_b32 v1, v5 :: v_dual_mov_b32 v2, v5
	s_clause 0x1
	scratch_store_b64 off, v[0:1], s32 offset:192
	scratch_store_b64 off, v[2:3], s32 offset:492
.LBB232_280:                            ;   in Loop: Header=BB232_10 Depth=1
	s_wait_xcnt 0x0
	s_or_b32 exec_lo, exec_lo, s15
.LBB232_281:                            ;   in Loop: Header=BB232_10 Depth=1
	s_delay_alu instid0(SALU_CYCLE_1)
	s_or_b32 exec_lo, exec_lo, s11
.LBB232_282:                            ;   in Loop: Header=BB232_10 Depth=1
	s_delay_alu instid0(SALU_CYCLE_1) | instskip(SKIP_3) | instid1(VALU_DEP_1)
	s_or_b32 exec_lo, exec_lo, s4
	v_mov_b64_e32 v[4:5], 0
	v_lshrrev_b32_e32 v1, 16, v0
	s_mov_b32 s4, exec_lo
	v_and_b32_e32 v2, 0xff, v1
	scratch_store_b64 off, v[4:5], s32 offset:476 ; 8-byte Folded Spill
	s_wait_xcnt 0x0
	v_mov_b64_e32 v[4:5], 0
	scratch_store_b64 off, v[4:5], s32 offset:484 ; 8-byte Folded Spill
	s_wait_xcnt 0x0
	v_cmpx_ne_u16_e32 0, v2
	s_cbranch_execz .LBB232_290
; %bb.283:                              ;   in Loop: Header=BB232_10 Depth=1
	v_cmp_ne_u16_e64 s1, 0x80, v2
	v_mov_b64_e32 v[2:3], 0x80000000
	scratch_store_b64 off, v[2:3], s32 offset:484 ; 8-byte Folded Spill
	s_wait_xcnt 0x0
	s_and_saveexec_b32 s11, s1
	s_cbranch_execz .LBB232_289
; %bb.284:                              ;   in Loop: Header=BB232_10 Depth=1
	v_mov_b64_e32 v[4:5], 0x7f800001
	v_bfe_u32 v3, v0, 16, 7
	s_mov_b32 s15, exec_lo
	scratch_store_b64 off, v[4:5], s32 offset:484 ; 8-byte Folded Spill
	s_wait_xcnt 0x0
	v_cmpx_ne_u32_e32 0x7f, v3
	s_cbranch_execz .LBB232_288
; %bb.285:                              ;   in Loop: Header=BB232_10 Depth=1
	scratch_load_b64 v[6:7], off, s32 offset:192 th:TH_LOAD_LU ; 8-byte Folded Reload
	s_wait_loadcnt 0x0
	v_dual_lshrrev_b32 v2, 3, v3 :: v_dual_bitop2_b32 v6, 7, v1 bitop3:0x40
	s_mov_b32 s16, exec_lo
	s_wait_xcnt 0x0
	v_cmpx_gt_u32_e32 8, v3
; %bb.286:                              ;   in Loop: Header=BB232_10 Depth=1
	s_delay_alu instid0(VALU_DEP_2) | instskip(NEXT) | instid1(VALU_DEP_1)
	v_clz_i32_u32_e32 v2, v6
	v_min_u32_e32 v2, 32, v2
	s_delay_alu instid0(VALU_DEP_1) | instskip(NEXT) | instid1(VALU_DEP_1)
	v_subrev_nc_u32_e32 v3, 28, v2
	v_lshlrev_b64_e32 v[4:5], v3, v[6:7]
	s_delay_alu instid0(VALU_DEP_1)
	v_dual_sub_nc_u32 v2, 29, v2 :: v_dual_bitop2_b32 v6, 7, v4 bitop3:0x40
; %bb.287:                              ;   in Loop: Header=BB232_10 Depth=1
	s_or_b32 exec_lo, exec_lo, s16
	s_delay_alu instid0(VALU_DEP_1) | instskip(NEXT) | instid1(VALU_DEP_2)
	v_dual_lshlrev_b32 v1, 24, v1 :: v_dual_lshlrev_b32 v3, 20, v6
	v_lshl_add_u32 v2, v2, 23, 0x3c000000
	s_delay_alu instid0(VALU_DEP_2) | instskip(NEXT) | instid1(VALU_DEP_1)
	v_and_b32_e32 v1, 0x80000000, v1
	v_or3_b32 v6, v3, v1, v2
	v_mov_b32_e32 v1, v7
	s_clause 0x1
	scratch_store_b64 off, v[0:1], s32 offset:192
	scratch_store_b64 off, v[6:7], s32 offset:484
.LBB232_288:                            ;   in Loop: Header=BB232_10 Depth=1
	s_wait_xcnt 0x0
	s_or_b32 exec_lo, exec_lo, s15
.LBB232_289:                            ;   in Loop: Header=BB232_10 Depth=1
	s_delay_alu instid0(SALU_CYCLE_1)
	s_or_b32 exec_lo, exec_lo, s11
.LBB232_290:                            ;   in Loop: Header=BB232_10 Depth=1
	s_delay_alu instid0(SALU_CYCLE_1) | instskip(NEXT) | instid1(SALU_CYCLE_1)
	s_or_b32 exec_lo, exec_lo, s4
	s_mov_b32 s4, exec_lo
	v_cmpx_lt_u32_e32 0xffffff, v0
	s_cbranch_execz .LBB232_298
; %bb.291:                              ;   in Loop: Header=BB232_10 Depth=1
	v_mov_b64_e32 v[2:3], 0x8000000000000000
	v_lshrrev_b32_e32 v1, 24, v0
	s_mov_b32 s11, exec_lo
	scratch_store_b64 off, v[2:3], s32 offset:476 ; 8-byte Folded Spill
	s_wait_xcnt 0x0
	v_cmpx_ne_u32_e32 0x80, v1
	s_cbranch_execz .LBB232_297
; %bb.292:                              ;   in Loop: Header=BB232_10 Depth=1
	v_mov_b64_e32 v[4:5], 0x7f80000100000000
	v_bfe_u32 v2, v0, 24, 7
	s_mov_b32 s15, exec_lo
	scratch_store_b64 off, v[4:5], s32 offset:476 ; 8-byte Folded Spill
	s_wait_xcnt 0x0
	v_cmpx_ne_u32_e32 0x7f, v2
	s_cbranch_execz .LBB232_296
; %bb.293:                              ;   in Loop: Header=BB232_10 Depth=1
	scratch_load_b64 v[4:5], off, s32 offset:192 th:TH_LOAD_LU ; 8-byte Folded Reload
	s_wait_loadcnt 0x0
	v_dual_lshrrev_b32 v0, 3, v2 :: v_dual_bitop2_b32 v4, 7, v1 bitop3:0x40
	s_mov_b32 s16, exec_lo
	s_wait_xcnt 0x0
	v_cmpx_gt_u32_e32 8, v2
; %bb.294:                              ;   in Loop: Header=BB232_10 Depth=1
	s_delay_alu instid0(VALU_DEP_2) | instskip(NEXT) | instid1(VALU_DEP_1)
	v_clz_i32_u32_e32 v0, v4
	v_min_u32_e32 v0, 32, v0
	s_delay_alu instid0(VALU_DEP_1) | instskip(NEXT) | instid1(VALU_DEP_1)
	v_subrev_nc_u32_e32 v2, 28, v0
	v_lshlrev_b64_e32 v[2:3], v2, v[4:5]
	s_delay_alu instid0(VALU_DEP_1)
	v_dual_sub_nc_u32 v0, 29, v0 :: v_dual_bitop2_b32 v4, 7, v2 bitop3:0x40
; %bb.295:                              ;   in Loop: Header=BB232_10 Depth=1
	s_or_b32 exec_lo, exec_lo, s16
	s_delay_alu instid0(VALU_DEP_1) | instskip(NEXT) | instid1(VALU_DEP_2)
	v_dual_lshlrev_b32 v1, 24, v1 :: v_dual_lshlrev_b32 v2, 20, v4
	v_lshl_add_u32 v0, v0, 23, 0x3c000000
	s_delay_alu instid0(VALU_DEP_2) | instskip(NEXT) | instid1(VALU_DEP_1)
	v_and_b32_e32 v1, 0x80000000, v1
	v_or3_b32 v3, v2, v1, v0
	v_dual_mov_b32 v1, v5 :: v_dual_mov_b32 v2, v5
	s_clause 0x1
	scratch_store_b64 off, v[0:1], s32 offset:192
	scratch_store_b64 off, v[2:3], s32 offset:476
.LBB232_296:                            ;   in Loop: Header=BB232_10 Depth=1
	s_wait_xcnt 0x0
	s_or_b32 exec_lo, exec_lo, s15
.LBB232_297:                            ;   in Loop: Header=BB232_10 Depth=1
	s_delay_alu instid0(SALU_CYCLE_1)
	s_or_b32 exec_lo, exec_lo, s11
.LBB232_298:                            ;   in Loop: Header=BB232_10 Depth=1
	s_delay_alu instid0(SALU_CYCLE_1)
	s_or_b32 exec_lo, exec_lo, s4
	flat_load_b32 v0, v[66:67] offset:1028
	v_mov_b64_e32 v[2:3], 0
	s_mov_b32 s4, exec_lo
	scratch_store_b64 off, v[2:3], s32 offset:524 ; 8-byte Folded Spill
	s_wait_xcnt 0x0
	v_mov_b64_e32 v[2:3], 0
	scratch_store_b64 off, v[2:3], s32 offset:500 ; 8-byte Folded Spill
	s_wait_loadcnt_dscnt 0x0
	v_and_b32_e32 v1, 0xff, v0
	s_wait_xcnt 0x0
	s_delay_alu instid0(VALU_DEP_1)
	v_cmpx_ne_u16_e32 0, v1
	s_cbranch_execz .LBB232_306
; %bb.299:                              ;   in Loop: Header=BB232_10 Depth=1
	v_mov_b64_e32 v[2:3], 0x80000000
	s_mov_b32 s11, exec_lo
	scratch_store_b64 off, v[2:3], s32 offset:500 ; 8-byte Folded Spill
	s_wait_xcnt 0x0
	v_cmpx_ne_u16_e32 0x80, v1
	s_cbranch_execz .LBB232_305
; %bb.300:                              ;   in Loop: Header=BB232_10 Depth=1
	v_mov_b64_e32 v[4:5], 0x7f800001
	v_and_b32_e32 v2, 0x7f, v0
	s_mov_b32 s15, exec_lo
	scratch_store_b64 off, v[4:5], s32 offset:500 ; 8-byte Folded Spill
	s_wait_xcnt 0x0
	v_cmpx_ne_u32_e32 0x7f, v2
	s_cbranch_execz .LBB232_304
; %bb.301:                              ;   in Loop: Header=BB232_10 Depth=1
	scratch_load_b64 v[4:5], off, s32 offset:192 th:TH_LOAD_LU ; 8-byte Folded Reload
	s_wait_loadcnt 0x0
	v_dual_lshrrev_b32 v1, 3, v2 :: v_dual_bitop2_b32 v4, 7, v0 bitop3:0x40
	s_mov_b32 s16, exec_lo
	s_wait_xcnt 0x0
	v_cmpx_gt_u32_e32 8, v2
; %bb.302:                              ;   in Loop: Header=BB232_10 Depth=1
	s_delay_alu instid0(VALU_DEP_2) | instskip(NEXT) | instid1(VALU_DEP_1)
	v_clz_i32_u32_e32 v1, v4
	v_min_u32_e32 v1, 32, v1
	s_delay_alu instid0(VALU_DEP_1) | instskip(NEXT) | instid1(VALU_DEP_1)
	v_subrev_nc_u32_e32 v2, 28, v1
	v_lshlrev_b64_e32 v[2:3], v2, v[4:5]
	s_delay_alu instid0(VALU_DEP_1)
	v_dual_sub_nc_u32 v1, 29, v1 :: v_dual_bitop2_b32 v4, 7, v2 bitop3:0x40
; %bb.303:                              ;   in Loop: Header=BB232_10 Depth=1
	s_or_b32 exec_lo, exec_lo, s16
	v_lshlrev_b32_e32 v2, 24, v0
	s_delay_alu instid0(VALU_DEP_2) | instskip(NEXT) | instid1(VALU_DEP_3)
	v_lshlrev_b32_e32 v3, 20, v4
	v_lshl_add_u32 v1, v1, 23, 0x3c000000
	s_delay_alu instid0(VALU_DEP_3) | instskip(NEXT) | instid1(VALU_DEP_1)
	v_and_b32_e32 v2, 0x80000000, v2
	v_or3_b32 v4, v3, v2, v1
	v_mov_b32_e32 v1, v5
	s_clause 0x1
	scratch_store_b64 off, v[0:1], s32 offset:192
	scratch_store_b64 off, v[4:5], s32 offset:500
.LBB232_304:                            ;   in Loop: Header=BB232_10 Depth=1
	s_wait_xcnt 0x0
	s_or_b32 exec_lo, exec_lo, s15
.LBB232_305:                            ;   in Loop: Header=BB232_10 Depth=1
	s_delay_alu instid0(SALU_CYCLE_1)
	s_or_b32 exec_lo, exec_lo, s11
.LBB232_306:                            ;   in Loop: Header=BB232_10 Depth=1
	s_delay_alu instid0(SALU_CYCLE_1) | instskip(SKIP_2) | instid1(VALU_DEP_1)
	s_or_b32 exec_lo, exec_lo, s4
	v_lshrrev_b16 v1, 8, v0
	s_mov_b32 s4, exec_lo
	v_cmpx_ne_u16_e32 0, v1
	s_cbranch_execz .LBB232_314
; %bb.307:                              ;   in Loop: Header=BB232_10 Depth=1
	v_mov_b64_e32 v[2:3], 0x8000000000000000
	s_mov_b32 s11, exec_lo
	scratch_store_b64 off, v[2:3], s32 offset:524 ; 8-byte Folded Spill
	s_wait_xcnt 0x0
	v_cmpx_ne_u16_e32 0x80, v1
	s_cbranch_execz .LBB232_313
; %bb.308:                              ;   in Loop: Header=BB232_10 Depth=1
	v_and_b32_e32 v1, 0xffff, v1
	v_mov_b64_e32 v[4:5], 0x7f80000100000000
	s_mov_b32 s15, exec_lo
	s_delay_alu instid0(VALU_DEP_2)
	v_and_b32_e32 v2, 0x7f, v1
	scratch_store_b64 off, v[4:5], s32 offset:524 ; 8-byte Folded Spill
	s_wait_xcnt 0x0
	v_cmpx_ne_u32_e32 0x7f, v2
	s_cbranch_execz .LBB232_312
; %bb.309:                              ;   in Loop: Header=BB232_10 Depth=1
	scratch_load_b64 v[4:5], off, s32 offset:192 th:TH_LOAD_LU ; 8-byte Folded Reload
	s_wait_loadcnt 0x0
	v_dual_lshrrev_b32 v1, 3, v2 :: v_dual_bitop2_b32 v4, 7, v1 bitop3:0x40
	s_mov_b32 s16, exec_lo
	s_wait_xcnt 0x0
	v_cmpx_gt_u32_e32 8, v2
; %bb.310:                              ;   in Loop: Header=BB232_10 Depth=1
	s_delay_alu instid0(VALU_DEP_2) | instskip(NEXT) | instid1(VALU_DEP_1)
	v_clz_i32_u32_e32 v1, v4
	v_min_u32_e32 v1, 32, v1
	s_delay_alu instid0(VALU_DEP_1) | instskip(NEXT) | instid1(VALU_DEP_1)
	v_subrev_nc_u32_e32 v2, 28, v1
	v_lshlrev_b64_e32 v[2:3], v2, v[4:5]
	s_delay_alu instid0(VALU_DEP_1)
	v_dual_sub_nc_u32 v1, 29, v1 :: v_dual_bitop2_b32 v4, 7, v2 bitop3:0x40
; %bb.311:                              ;   in Loop: Header=BB232_10 Depth=1
	s_or_b32 exec_lo, exec_lo, s16
	v_lshlrev_b32_e32 v2, 16, v0
	s_delay_alu instid0(VALU_DEP_2) | instskip(NEXT) | instid1(VALU_DEP_3)
	v_lshlrev_b32_e32 v3, 20, v4
	v_lshl_add_u32 v1, v1, 23, 0x3c000000
	s_delay_alu instid0(VALU_DEP_3) | instskip(NEXT) | instid1(VALU_DEP_1)
	v_and_b32_e32 v2, 0x80000000, v2
	v_or3_b32 v3, v3, v2, v1
	v_dual_mov_b32 v1, v5 :: v_dual_mov_b32 v2, v5
	s_clause 0x1
	scratch_store_b64 off, v[0:1], s32 offset:192
	scratch_store_b64 off, v[2:3], s32 offset:524
.LBB232_312:                            ;   in Loop: Header=BB232_10 Depth=1
	s_wait_xcnt 0x0
	s_or_b32 exec_lo, exec_lo, s15
.LBB232_313:                            ;   in Loop: Header=BB232_10 Depth=1
	s_delay_alu instid0(SALU_CYCLE_1)
	s_or_b32 exec_lo, exec_lo, s11
.LBB232_314:                            ;   in Loop: Header=BB232_10 Depth=1
	s_delay_alu instid0(SALU_CYCLE_1) | instskip(SKIP_3) | instid1(VALU_DEP_1)
	s_or_b32 exec_lo, exec_lo, s4
	v_mov_b64_e32 v[4:5], 0
	v_lshrrev_b32_e32 v1, 16, v0
	s_mov_b32 s4, exec_lo
	v_and_b32_e32 v2, 0xff, v1
	scratch_store_b64 off, v[4:5], s32 offset:508 ; 8-byte Folded Spill
	s_wait_xcnt 0x0
	v_mov_b64_e32 v[4:5], 0
	scratch_store_b64 off, v[4:5], s32 offset:516 ; 8-byte Folded Spill
	s_wait_xcnt 0x0
	v_cmpx_ne_u16_e32 0, v2
	s_cbranch_execz .LBB232_322
; %bb.315:                              ;   in Loop: Header=BB232_10 Depth=1
	v_cmp_ne_u16_e64 s1, 0x80, v2
	v_mov_b64_e32 v[2:3], 0x80000000
	scratch_store_b64 off, v[2:3], s32 offset:516 ; 8-byte Folded Spill
	s_wait_xcnt 0x0
	s_and_saveexec_b32 s11, s1
	s_cbranch_execz .LBB232_321
; %bb.316:                              ;   in Loop: Header=BB232_10 Depth=1
	v_mov_b64_e32 v[4:5], 0x7f800001
	v_bfe_u32 v3, v0, 16, 7
	s_mov_b32 s15, exec_lo
	scratch_store_b64 off, v[4:5], s32 offset:516 ; 8-byte Folded Spill
	s_wait_xcnt 0x0
	v_cmpx_ne_u32_e32 0x7f, v3
	s_cbranch_execz .LBB232_320
; %bb.317:                              ;   in Loop: Header=BB232_10 Depth=1
	scratch_load_b64 v[6:7], off, s32 offset:192 th:TH_LOAD_LU ; 8-byte Folded Reload
	s_wait_loadcnt 0x0
	v_dual_lshrrev_b32 v2, 3, v3 :: v_dual_bitop2_b32 v6, 7, v1 bitop3:0x40
	s_mov_b32 s16, exec_lo
	s_wait_xcnt 0x0
	v_cmpx_gt_u32_e32 8, v3
; %bb.318:                              ;   in Loop: Header=BB232_10 Depth=1
	s_delay_alu instid0(VALU_DEP_2) | instskip(NEXT) | instid1(VALU_DEP_1)
	v_clz_i32_u32_e32 v2, v6
	v_min_u32_e32 v2, 32, v2
	s_delay_alu instid0(VALU_DEP_1) | instskip(NEXT) | instid1(VALU_DEP_1)
	v_subrev_nc_u32_e32 v3, 28, v2
	v_lshlrev_b64_e32 v[4:5], v3, v[6:7]
	s_delay_alu instid0(VALU_DEP_1)
	v_dual_sub_nc_u32 v2, 29, v2 :: v_dual_bitop2_b32 v6, 7, v4 bitop3:0x40
; %bb.319:                              ;   in Loop: Header=BB232_10 Depth=1
	s_or_b32 exec_lo, exec_lo, s16
	s_delay_alu instid0(VALU_DEP_1) | instskip(NEXT) | instid1(VALU_DEP_2)
	v_dual_lshlrev_b32 v1, 24, v1 :: v_dual_lshlrev_b32 v3, 20, v6
	v_lshl_add_u32 v2, v2, 23, 0x3c000000
	s_delay_alu instid0(VALU_DEP_2) | instskip(NEXT) | instid1(VALU_DEP_1)
	v_and_b32_e32 v1, 0x80000000, v1
	v_or3_b32 v6, v3, v1, v2
	v_mov_b32_e32 v1, v7
	s_clause 0x1
	scratch_store_b64 off, v[0:1], s32 offset:192
	scratch_store_b64 off, v[6:7], s32 offset:516
.LBB232_320:                            ;   in Loop: Header=BB232_10 Depth=1
	s_wait_xcnt 0x0
	s_or_b32 exec_lo, exec_lo, s15
.LBB232_321:                            ;   in Loop: Header=BB232_10 Depth=1
	s_delay_alu instid0(SALU_CYCLE_1)
	s_or_b32 exec_lo, exec_lo, s11
.LBB232_322:                            ;   in Loop: Header=BB232_10 Depth=1
	s_delay_alu instid0(SALU_CYCLE_1) | instskip(NEXT) | instid1(SALU_CYCLE_1)
	s_or_b32 exec_lo, exec_lo, s4
	s_mov_b32 s4, exec_lo
	v_cmpx_lt_u32_e32 0xffffff, v0
	s_cbranch_execz .LBB232_330
; %bb.323:                              ;   in Loop: Header=BB232_10 Depth=1
	v_mov_b64_e32 v[2:3], 0x8000000000000000
	v_lshrrev_b32_e32 v1, 24, v0
	s_mov_b32 s11, exec_lo
	scratch_store_b64 off, v[2:3], s32 offset:508 ; 8-byte Folded Spill
	s_wait_xcnt 0x0
	v_cmpx_ne_u32_e32 0x80, v1
	s_cbranch_execz .LBB232_329
; %bb.324:                              ;   in Loop: Header=BB232_10 Depth=1
	v_mov_b64_e32 v[4:5], 0x7f80000100000000
	v_bfe_u32 v2, v0, 24, 7
	s_mov_b32 s15, exec_lo
	scratch_store_b64 off, v[4:5], s32 offset:508 ; 8-byte Folded Spill
	s_wait_xcnt 0x0
	v_cmpx_ne_u32_e32 0x7f, v2
	s_cbranch_execz .LBB232_328
; %bb.325:                              ;   in Loop: Header=BB232_10 Depth=1
	scratch_load_b64 v[4:5], off, s32 offset:192 th:TH_LOAD_LU ; 8-byte Folded Reload
	s_wait_loadcnt 0x0
	v_dual_lshrrev_b32 v0, 3, v2 :: v_dual_bitop2_b32 v4, 7, v1 bitop3:0x40
	s_mov_b32 s16, exec_lo
	s_wait_xcnt 0x0
	v_cmpx_gt_u32_e32 8, v2
; %bb.326:                              ;   in Loop: Header=BB232_10 Depth=1
	s_delay_alu instid0(VALU_DEP_2) | instskip(NEXT) | instid1(VALU_DEP_1)
	v_clz_i32_u32_e32 v0, v4
	v_min_u32_e32 v0, 32, v0
	s_delay_alu instid0(VALU_DEP_1) | instskip(NEXT) | instid1(VALU_DEP_1)
	v_subrev_nc_u32_e32 v2, 28, v0
	v_lshlrev_b64_e32 v[2:3], v2, v[4:5]
	s_delay_alu instid0(VALU_DEP_1)
	v_dual_sub_nc_u32 v0, 29, v0 :: v_dual_bitop2_b32 v4, 7, v2 bitop3:0x40
; %bb.327:                              ;   in Loop: Header=BB232_10 Depth=1
	s_or_b32 exec_lo, exec_lo, s16
	s_delay_alu instid0(VALU_DEP_1) | instskip(NEXT) | instid1(VALU_DEP_2)
	v_dual_lshlrev_b32 v1, 24, v1 :: v_dual_lshlrev_b32 v2, 20, v4
	v_lshl_add_u32 v0, v0, 23, 0x3c000000
	s_delay_alu instid0(VALU_DEP_2) | instskip(NEXT) | instid1(VALU_DEP_1)
	v_and_b32_e32 v1, 0x80000000, v1
	v_or3_b32 v3, v2, v1, v0
	v_dual_mov_b32 v1, v5 :: v_dual_mov_b32 v2, v5
	s_clause 0x1
	scratch_store_b64 off, v[0:1], s32 offset:192
	scratch_store_b64 off, v[2:3], s32 offset:508
.LBB232_328:                            ;   in Loop: Header=BB232_10 Depth=1
	s_wait_xcnt 0x0
	s_or_b32 exec_lo, exec_lo, s15
.LBB232_329:                            ;   in Loop: Header=BB232_10 Depth=1
	s_delay_alu instid0(SALU_CYCLE_1)
	s_or_b32 exec_lo, exec_lo, s11
.LBB232_330:                            ;   in Loop: Header=BB232_10 Depth=1
	s_delay_alu instid0(SALU_CYCLE_1)
	s_or_b32 exec_lo, exec_lo, s4
	flat_load_b32 v0, v[66:67] offset:1032
	v_mov_b64_e32 v[2:3], 0
	s_mov_b32 s4, exec_lo
	scratch_store_b64 off, v[2:3], s32 offset:556 ; 8-byte Folded Spill
	s_wait_xcnt 0x0
	v_mov_b64_e32 v[2:3], 0
	scratch_store_b64 off, v[2:3], s32 offset:532 ; 8-byte Folded Spill
	s_wait_loadcnt_dscnt 0x0
	v_and_b32_e32 v1, 0xff, v0
	s_wait_xcnt 0x0
	s_delay_alu instid0(VALU_DEP_1)
	v_cmpx_ne_u16_e32 0, v1
	s_cbranch_execz .LBB232_338
; %bb.331:                              ;   in Loop: Header=BB232_10 Depth=1
	v_mov_b64_e32 v[2:3], 0x80000000
	s_mov_b32 s11, exec_lo
	scratch_store_b64 off, v[2:3], s32 offset:532 ; 8-byte Folded Spill
	s_wait_xcnt 0x0
	v_cmpx_ne_u16_e32 0x80, v1
	s_cbranch_execz .LBB232_337
; %bb.332:                              ;   in Loop: Header=BB232_10 Depth=1
	v_mov_b64_e32 v[4:5], 0x7f800001
	v_and_b32_e32 v2, 0x7f, v0
	s_mov_b32 s15, exec_lo
	scratch_store_b64 off, v[4:5], s32 offset:532 ; 8-byte Folded Spill
	s_wait_xcnt 0x0
	v_cmpx_ne_u32_e32 0x7f, v2
	s_cbranch_execz .LBB232_336
; %bb.333:                              ;   in Loop: Header=BB232_10 Depth=1
	scratch_load_b64 v[4:5], off, s32 offset:192 th:TH_LOAD_LU ; 8-byte Folded Reload
	s_wait_loadcnt 0x0
	v_dual_lshrrev_b32 v1, 3, v2 :: v_dual_bitop2_b32 v4, 7, v0 bitop3:0x40
	s_mov_b32 s16, exec_lo
	s_wait_xcnt 0x0
	v_cmpx_gt_u32_e32 8, v2
; %bb.334:                              ;   in Loop: Header=BB232_10 Depth=1
	s_delay_alu instid0(VALU_DEP_2) | instskip(NEXT) | instid1(VALU_DEP_1)
	v_clz_i32_u32_e32 v1, v4
	v_min_u32_e32 v1, 32, v1
	s_delay_alu instid0(VALU_DEP_1) | instskip(NEXT) | instid1(VALU_DEP_1)
	v_subrev_nc_u32_e32 v2, 28, v1
	v_lshlrev_b64_e32 v[2:3], v2, v[4:5]
	s_delay_alu instid0(VALU_DEP_1)
	v_dual_sub_nc_u32 v1, 29, v1 :: v_dual_bitop2_b32 v4, 7, v2 bitop3:0x40
; %bb.335:                              ;   in Loop: Header=BB232_10 Depth=1
	s_or_b32 exec_lo, exec_lo, s16
	v_lshlrev_b32_e32 v2, 24, v0
	s_delay_alu instid0(VALU_DEP_2) | instskip(NEXT) | instid1(VALU_DEP_3)
	v_lshlrev_b32_e32 v3, 20, v4
	v_lshl_add_u32 v1, v1, 23, 0x3c000000
	s_delay_alu instid0(VALU_DEP_3) | instskip(NEXT) | instid1(VALU_DEP_1)
	v_and_b32_e32 v2, 0x80000000, v2
	v_or3_b32 v4, v3, v2, v1
	v_mov_b32_e32 v1, v5
	s_clause 0x1
	scratch_store_b64 off, v[0:1], s32 offset:192
	scratch_store_b64 off, v[4:5], s32 offset:532
.LBB232_336:                            ;   in Loop: Header=BB232_10 Depth=1
	s_wait_xcnt 0x0
	s_or_b32 exec_lo, exec_lo, s15
.LBB232_337:                            ;   in Loop: Header=BB232_10 Depth=1
	s_delay_alu instid0(SALU_CYCLE_1)
	s_or_b32 exec_lo, exec_lo, s11
.LBB232_338:                            ;   in Loop: Header=BB232_10 Depth=1
	s_delay_alu instid0(SALU_CYCLE_1) | instskip(SKIP_2) | instid1(VALU_DEP_1)
	s_or_b32 exec_lo, exec_lo, s4
	v_lshrrev_b16 v1, 8, v0
	s_mov_b32 s4, exec_lo
	v_cmpx_ne_u16_e32 0, v1
	s_cbranch_execz .LBB232_346
; %bb.339:                              ;   in Loop: Header=BB232_10 Depth=1
	v_mov_b64_e32 v[2:3], 0x8000000000000000
	s_mov_b32 s11, exec_lo
	scratch_store_b64 off, v[2:3], s32 offset:556 ; 8-byte Folded Spill
	s_wait_xcnt 0x0
	v_cmpx_ne_u16_e32 0x80, v1
	s_cbranch_execz .LBB232_345
; %bb.340:                              ;   in Loop: Header=BB232_10 Depth=1
	v_and_b32_e32 v1, 0xffff, v1
	v_mov_b64_e32 v[4:5], 0x7f80000100000000
	s_mov_b32 s15, exec_lo
	s_delay_alu instid0(VALU_DEP_2)
	v_and_b32_e32 v2, 0x7f, v1
	scratch_store_b64 off, v[4:5], s32 offset:556 ; 8-byte Folded Spill
	s_wait_xcnt 0x0
	v_cmpx_ne_u32_e32 0x7f, v2
	s_cbranch_execz .LBB232_344
; %bb.341:                              ;   in Loop: Header=BB232_10 Depth=1
	scratch_load_b64 v[4:5], off, s32 offset:192 th:TH_LOAD_LU ; 8-byte Folded Reload
	s_wait_loadcnt 0x0
	v_dual_lshrrev_b32 v1, 3, v2 :: v_dual_bitop2_b32 v4, 7, v1 bitop3:0x40
	s_mov_b32 s16, exec_lo
	s_wait_xcnt 0x0
	v_cmpx_gt_u32_e32 8, v2
; %bb.342:                              ;   in Loop: Header=BB232_10 Depth=1
	s_delay_alu instid0(VALU_DEP_2) | instskip(NEXT) | instid1(VALU_DEP_1)
	v_clz_i32_u32_e32 v1, v4
	v_min_u32_e32 v1, 32, v1
	s_delay_alu instid0(VALU_DEP_1) | instskip(NEXT) | instid1(VALU_DEP_1)
	v_subrev_nc_u32_e32 v2, 28, v1
	v_lshlrev_b64_e32 v[2:3], v2, v[4:5]
	s_delay_alu instid0(VALU_DEP_1)
	v_dual_sub_nc_u32 v1, 29, v1 :: v_dual_bitop2_b32 v4, 7, v2 bitop3:0x40
; %bb.343:                              ;   in Loop: Header=BB232_10 Depth=1
	s_or_b32 exec_lo, exec_lo, s16
	v_lshlrev_b32_e32 v2, 16, v0
	s_delay_alu instid0(VALU_DEP_2) | instskip(NEXT) | instid1(VALU_DEP_3)
	v_lshlrev_b32_e32 v3, 20, v4
	v_lshl_add_u32 v1, v1, 23, 0x3c000000
	s_delay_alu instid0(VALU_DEP_3) | instskip(NEXT) | instid1(VALU_DEP_1)
	v_and_b32_e32 v2, 0x80000000, v2
	v_or3_b32 v3, v3, v2, v1
	v_dual_mov_b32 v1, v5 :: v_dual_mov_b32 v2, v5
	s_clause 0x1
	scratch_store_b64 off, v[0:1], s32 offset:192
	scratch_store_b64 off, v[2:3], s32 offset:556
.LBB232_344:                            ;   in Loop: Header=BB232_10 Depth=1
	s_wait_xcnt 0x0
	s_or_b32 exec_lo, exec_lo, s15
.LBB232_345:                            ;   in Loop: Header=BB232_10 Depth=1
	s_delay_alu instid0(SALU_CYCLE_1)
	s_or_b32 exec_lo, exec_lo, s11
.LBB232_346:                            ;   in Loop: Header=BB232_10 Depth=1
	s_delay_alu instid0(SALU_CYCLE_1) | instskip(SKIP_3) | instid1(VALU_DEP_1)
	s_or_b32 exec_lo, exec_lo, s4
	v_mov_b64_e32 v[4:5], 0
	v_lshrrev_b32_e32 v1, 16, v0
	s_mov_b32 s4, exec_lo
	v_and_b32_e32 v2, 0xff, v1
	scratch_store_b64 off, v[4:5], s32 offset:540 ; 8-byte Folded Spill
	s_wait_xcnt 0x0
	v_mov_b64_e32 v[4:5], 0
	scratch_store_b64 off, v[4:5], s32 offset:548 ; 8-byte Folded Spill
	s_wait_xcnt 0x0
	v_cmpx_ne_u16_e32 0, v2
	s_cbranch_execz .LBB232_354
; %bb.347:                              ;   in Loop: Header=BB232_10 Depth=1
	v_cmp_ne_u16_e64 s1, 0x80, v2
	v_mov_b64_e32 v[2:3], 0x80000000
	scratch_store_b64 off, v[2:3], s32 offset:548 ; 8-byte Folded Spill
	s_wait_xcnt 0x0
	s_and_saveexec_b32 s11, s1
	s_cbranch_execz .LBB232_353
; %bb.348:                              ;   in Loop: Header=BB232_10 Depth=1
	v_mov_b64_e32 v[4:5], 0x7f800001
	v_bfe_u32 v3, v0, 16, 7
	s_mov_b32 s15, exec_lo
	scratch_store_b64 off, v[4:5], s32 offset:548 ; 8-byte Folded Spill
	s_wait_xcnt 0x0
	v_cmpx_ne_u32_e32 0x7f, v3
	s_cbranch_execz .LBB232_352
; %bb.349:                              ;   in Loop: Header=BB232_10 Depth=1
	scratch_load_b64 v[6:7], off, s32 offset:192 th:TH_LOAD_LU ; 8-byte Folded Reload
	s_wait_loadcnt 0x0
	v_dual_lshrrev_b32 v2, 3, v3 :: v_dual_bitop2_b32 v6, 7, v1 bitop3:0x40
	s_mov_b32 s16, exec_lo
	s_wait_xcnt 0x0
	v_cmpx_gt_u32_e32 8, v3
; %bb.350:                              ;   in Loop: Header=BB232_10 Depth=1
	s_delay_alu instid0(VALU_DEP_2) | instskip(NEXT) | instid1(VALU_DEP_1)
	v_clz_i32_u32_e32 v2, v6
	v_min_u32_e32 v2, 32, v2
	s_delay_alu instid0(VALU_DEP_1) | instskip(NEXT) | instid1(VALU_DEP_1)
	v_subrev_nc_u32_e32 v3, 28, v2
	v_lshlrev_b64_e32 v[4:5], v3, v[6:7]
	s_delay_alu instid0(VALU_DEP_1)
	v_dual_sub_nc_u32 v2, 29, v2 :: v_dual_bitop2_b32 v6, 7, v4 bitop3:0x40
; %bb.351:                              ;   in Loop: Header=BB232_10 Depth=1
	s_or_b32 exec_lo, exec_lo, s16
	s_delay_alu instid0(VALU_DEP_1) | instskip(NEXT) | instid1(VALU_DEP_2)
	v_dual_lshlrev_b32 v1, 24, v1 :: v_dual_lshlrev_b32 v3, 20, v6
	v_lshl_add_u32 v2, v2, 23, 0x3c000000
	s_delay_alu instid0(VALU_DEP_2) | instskip(NEXT) | instid1(VALU_DEP_1)
	v_and_b32_e32 v1, 0x80000000, v1
	v_or3_b32 v6, v3, v1, v2
	v_mov_b32_e32 v1, v7
	s_clause 0x1
	scratch_store_b64 off, v[0:1], s32 offset:192
	scratch_store_b64 off, v[6:7], s32 offset:548
.LBB232_352:                            ;   in Loop: Header=BB232_10 Depth=1
	s_wait_xcnt 0x0
	s_or_b32 exec_lo, exec_lo, s15
.LBB232_353:                            ;   in Loop: Header=BB232_10 Depth=1
	s_delay_alu instid0(SALU_CYCLE_1)
	s_or_b32 exec_lo, exec_lo, s11
.LBB232_354:                            ;   in Loop: Header=BB232_10 Depth=1
	s_delay_alu instid0(SALU_CYCLE_1) | instskip(NEXT) | instid1(SALU_CYCLE_1)
	s_or_b32 exec_lo, exec_lo, s4
	s_mov_b32 s4, exec_lo
	v_cmpx_lt_u32_e32 0xffffff, v0
	s_cbranch_execz .LBB232_362
; %bb.355:                              ;   in Loop: Header=BB232_10 Depth=1
	v_mov_b64_e32 v[2:3], 0x8000000000000000
	v_lshrrev_b32_e32 v1, 24, v0
	s_mov_b32 s11, exec_lo
	scratch_store_b64 off, v[2:3], s32 offset:540 ; 8-byte Folded Spill
	s_wait_xcnt 0x0
	v_cmpx_ne_u32_e32 0x80, v1
	s_cbranch_execz .LBB232_361
; %bb.356:                              ;   in Loop: Header=BB232_10 Depth=1
	v_mov_b64_e32 v[4:5], 0x7f80000100000000
	v_bfe_u32 v2, v0, 24, 7
	s_mov_b32 s15, exec_lo
	scratch_store_b64 off, v[4:5], s32 offset:540 ; 8-byte Folded Spill
	s_wait_xcnt 0x0
	v_cmpx_ne_u32_e32 0x7f, v2
	s_cbranch_execz .LBB232_360
; %bb.357:                              ;   in Loop: Header=BB232_10 Depth=1
	scratch_load_b64 v[4:5], off, s32 offset:192 th:TH_LOAD_LU ; 8-byte Folded Reload
	s_wait_loadcnt 0x0
	v_dual_lshrrev_b32 v0, 3, v2 :: v_dual_bitop2_b32 v4, 7, v1 bitop3:0x40
	s_mov_b32 s16, exec_lo
	s_wait_xcnt 0x0
	v_cmpx_gt_u32_e32 8, v2
; %bb.358:                              ;   in Loop: Header=BB232_10 Depth=1
	s_delay_alu instid0(VALU_DEP_2) | instskip(NEXT) | instid1(VALU_DEP_1)
	v_clz_i32_u32_e32 v0, v4
	v_min_u32_e32 v0, 32, v0
	s_delay_alu instid0(VALU_DEP_1) | instskip(NEXT) | instid1(VALU_DEP_1)
	v_subrev_nc_u32_e32 v2, 28, v0
	v_lshlrev_b64_e32 v[2:3], v2, v[4:5]
	s_delay_alu instid0(VALU_DEP_1)
	v_dual_sub_nc_u32 v0, 29, v0 :: v_dual_bitop2_b32 v4, 7, v2 bitop3:0x40
; %bb.359:                              ;   in Loop: Header=BB232_10 Depth=1
	s_or_b32 exec_lo, exec_lo, s16
	s_delay_alu instid0(VALU_DEP_1) | instskip(NEXT) | instid1(VALU_DEP_2)
	v_dual_lshlrev_b32 v1, 24, v1 :: v_dual_lshlrev_b32 v2, 20, v4
	v_lshl_add_u32 v0, v0, 23, 0x3c000000
	s_delay_alu instid0(VALU_DEP_2) | instskip(NEXT) | instid1(VALU_DEP_1)
	v_and_b32_e32 v1, 0x80000000, v1
	v_or3_b32 v3, v2, v1, v0
	v_dual_mov_b32 v1, v5 :: v_dual_mov_b32 v2, v5
	s_clause 0x1
	scratch_store_b64 off, v[0:1], s32 offset:192
	scratch_store_b64 off, v[2:3], s32 offset:540
.LBB232_360:                            ;   in Loop: Header=BB232_10 Depth=1
	s_wait_xcnt 0x0
	s_or_b32 exec_lo, exec_lo, s15
.LBB232_361:                            ;   in Loop: Header=BB232_10 Depth=1
	s_delay_alu instid0(SALU_CYCLE_1)
	s_or_b32 exec_lo, exec_lo, s11
.LBB232_362:                            ;   in Loop: Header=BB232_10 Depth=1
	s_delay_alu instid0(SALU_CYCLE_1)
	s_or_b32 exec_lo, exec_lo, s4
	flat_load_b32 v0, v[66:67] offset:1036
	v_mov_b64_e32 v[2:3], 0
	s_mov_b32 s4, exec_lo
	scratch_store_b64 off, v[2:3], s32 offset:588 ; 8-byte Folded Spill
	s_wait_xcnt 0x0
	v_mov_b64_e32 v[2:3], 0
	scratch_store_b64 off, v[2:3], s32 offset:564 ; 8-byte Folded Spill
	s_wait_loadcnt_dscnt 0x0
	v_and_b32_e32 v1, 0xff, v0
	s_wait_xcnt 0x0
	s_delay_alu instid0(VALU_DEP_1)
	v_cmpx_ne_u16_e32 0, v1
	s_cbranch_execz .LBB232_370
; %bb.363:                              ;   in Loop: Header=BB232_10 Depth=1
	v_mov_b64_e32 v[2:3], 0x80000000
	s_mov_b32 s11, exec_lo
	scratch_store_b64 off, v[2:3], s32 offset:564 ; 8-byte Folded Spill
	s_wait_xcnt 0x0
	v_cmpx_ne_u16_e32 0x80, v1
	s_cbranch_execz .LBB232_369
; %bb.364:                              ;   in Loop: Header=BB232_10 Depth=1
	v_mov_b64_e32 v[4:5], 0x7f800001
	v_and_b32_e32 v2, 0x7f, v0
	s_mov_b32 s15, exec_lo
	scratch_store_b64 off, v[4:5], s32 offset:564 ; 8-byte Folded Spill
	s_wait_xcnt 0x0
	v_cmpx_ne_u32_e32 0x7f, v2
	s_cbranch_execz .LBB232_368
; %bb.365:                              ;   in Loop: Header=BB232_10 Depth=1
	scratch_load_b64 v[4:5], off, s32 offset:192 th:TH_LOAD_LU ; 8-byte Folded Reload
	s_wait_loadcnt 0x0
	v_dual_lshrrev_b32 v1, 3, v2 :: v_dual_bitop2_b32 v4, 7, v0 bitop3:0x40
	s_mov_b32 s16, exec_lo
	s_wait_xcnt 0x0
	v_cmpx_gt_u32_e32 8, v2
; %bb.366:                              ;   in Loop: Header=BB232_10 Depth=1
	s_delay_alu instid0(VALU_DEP_2) | instskip(NEXT) | instid1(VALU_DEP_1)
	v_clz_i32_u32_e32 v1, v4
	v_min_u32_e32 v1, 32, v1
	s_delay_alu instid0(VALU_DEP_1) | instskip(NEXT) | instid1(VALU_DEP_1)
	v_subrev_nc_u32_e32 v2, 28, v1
	v_lshlrev_b64_e32 v[2:3], v2, v[4:5]
	s_delay_alu instid0(VALU_DEP_1)
	v_dual_sub_nc_u32 v1, 29, v1 :: v_dual_bitop2_b32 v4, 7, v2 bitop3:0x40
; %bb.367:                              ;   in Loop: Header=BB232_10 Depth=1
	s_or_b32 exec_lo, exec_lo, s16
	v_lshlrev_b32_e32 v2, 24, v0
	s_delay_alu instid0(VALU_DEP_2) | instskip(NEXT) | instid1(VALU_DEP_3)
	v_lshlrev_b32_e32 v3, 20, v4
	v_lshl_add_u32 v1, v1, 23, 0x3c000000
	s_delay_alu instid0(VALU_DEP_3) | instskip(NEXT) | instid1(VALU_DEP_1)
	v_and_b32_e32 v2, 0x80000000, v2
	v_or3_b32 v4, v3, v2, v1
	v_mov_b32_e32 v1, v5
	s_clause 0x1
	scratch_store_b64 off, v[0:1], s32 offset:192
	scratch_store_b64 off, v[4:5], s32 offset:564
.LBB232_368:                            ;   in Loop: Header=BB232_10 Depth=1
	s_wait_xcnt 0x0
	s_or_b32 exec_lo, exec_lo, s15
.LBB232_369:                            ;   in Loop: Header=BB232_10 Depth=1
	s_delay_alu instid0(SALU_CYCLE_1)
	s_or_b32 exec_lo, exec_lo, s11
.LBB232_370:                            ;   in Loop: Header=BB232_10 Depth=1
	s_delay_alu instid0(SALU_CYCLE_1) | instskip(SKIP_2) | instid1(VALU_DEP_1)
	s_or_b32 exec_lo, exec_lo, s4
	v_lshrrev_b16 v1, 8, v0
	s_mov_b32 s4, exec_lo
	v_cmpx_ne_u16_e32 0, v1
	s_cbranch_execz .LBB232_378
; %bb.371:                              ;   in Loop: Header=BB232_10 Depth=1
	v_mov_b64_e32 v[2:3], 0x8000000000000000
	s_mov_b32 s11, exec_lo
	scratch_store_b64 off, v[2:3], s32 offset:588 ; 8-byte Folded Spill
	s_wait_xcnt 0x0
	v_cmpx_ne_u16_e32 0x80, v1
	s_cbranch_execz .LBB232_377
; %bb.372:                              ;   in Loop: Header=BB232_10 Depth=1
	v_and_b32_e32 v1, 0xffff, v1
	v_mov_b64_e32 v[4:5], 0x7f80000100000000
	s_mov_b32 s15, exec_lo
	s_delay_alu instid0(VALU_DEP_2)
	v_and_b32_e32 v2, 0x7f, v1
	scratch_store_b64 off, v[4:5], s32 offset:588 ; 8-byte Folded Spill
	s_wait_xcnt 0x0
	v_cmpx_ne_u32_e32 0x7f, v2
	s_cbranch_execz .LBB232_376
; %bb.373:                              ;   in Loop: Header=BB232_10 Depth=1
	scratch_load_b64 v[4:5], off, s32 offset:192 th:TH_LOAD_LU ; 8-byte Folded Reload
	s_wait_loadcnt 0x0
	v_dual_lshrrev_b32 v1, 3, v2 :: v_dual_bitop2_b32 v4, 7, v1 bitop3:0x40
	s_mov_b32 s16, exec_lo
	s_wait_xcnt 0x0
	v_cmpx_gt_u32_e32 8, v2
; %bb.374:                              ;   in Loop: Header=BB232_10 Depth=1
	s_delay_alu instid0(VALU_DEP_2) | instskip(NEXT) | instid1(VALU_DEP_1)
	v_clz_i32_u32_e32 v1, v4
	v_min_u32_e32 v1, 32, v1
	s_delay_alu instid0(VALU_DEP_1) | instskip(NEXT) | instid1(VALU_DEP_1)
	v_subrev_nc_u32_e32 v2, 28, v1
	v_lshlrev_b64_e32 v[2:3], v2, v[4:5]
	s_delay_alu instid0(VALU_DEP_1)
	v_dual_sub_nc_u32 v1, 29, v1 :: v_dual_bitop2_b32 v4, 7, v2 bitop3:0x40
; %bb.375:                              ;   in Loop: Header=BB232_10 Depth=1
	s_or_b32 exec_lo, exec_lo, s16
	v_lshlrev_b32_e32 v2, 16, v0
	s_delay_alu instid0(VALU_DEP_2) | instskip(NEXT) | instid1(VALU_DEP_3)
	v_lshlrev_b32_e32 v3, 20, v4
	v_lshl_add_u32 v1, v1, 23, 0x3c000000
	s_delay_alu instid0(VALU_DEP_3) | instskip(NEXT) | instid1(VALU_DEP_1)
	v_and_b32_e32 v2, 0x80000000, v2
	v_or3_b32 v3, v3, v2, v1
	v_dual_mov_b32 v1, v5 :: v_dual_mov_b32 v2, v5
	s_clause 0x1
	scratch_store_b64 off, v[0:1], s32 offset:192
	scratch_store_b64 off, v[2:3], s32 offset:588
.LBB232_376:                            ;   in Loop: Header=BB232_10 Depth=1
	s_wait_xcnt 0x0
	s_or_b32 exec_lo, exec_lo, s15
.LBB232_377:                            ;   in Loop: Header=BB232_10 Depth=1
	s_delay_alu instid0(SALU_CYCLE_1)
	s_or_b32 exec_lo, exec_lo, s11
.LBB232_378:                            ;   in Loop: Header=BB232_10 Depth=1
	s_delay_alu instid0(SALU_CYCLE_1) | instskip(SKIP_3) | instid1(VALU_DEP_1)
	s_or_b32 exec_lo, exec_lo, s4
	v_mov_b64_e32 v[4:5], 0
	v_lshrrev_b32_e32 v1, 16, v0
	s_mov_b32 s4, exec_lo
	v_and_b32_e32 v2, 0xff, v1
	scratch_store_b64 off, v[4:5], s32 offset:572 ; 8-byte Folded Spill
	s_wait_xcnt 0x0
	v_mov_b64_e32 v[4:5], 0
	scratch_store_b64 off, v[4:5], s32 offset:580 ; 8-byte Folded Spill
	s_wait_xcnt 0x0
	v_cmpx_ne_u16_e32 0, v2
	s_cbranch_execz .LBB232_386
; %bb.379:                              ;   in Loop: Header=BB232_10 Depth=1
	v_cmp_ne_u16_e64 s1, 0x80, v2
	v_mov_b64_e32 v[2:3], 0x80000000
	scratch_store_b64 off, v[2:3], s32 offset:580 ; 8-byte Folded Spill
	s_wait_xcnt 0x0
	s_and_saveexec_b32 s11, s1
	s_cbranch_execz .LBB232_385
; %bb.380:                              ;   in Loop: Header=BB232_10 Depth=1
	v_mov_b64_e32 v[4:5], 0x7f800001
	v_bfe_u32 v3, v0, 16, 7
	s_mov_b32 s15, exec_lo
	scratch_store_b64 off, v[4:5], s32 offset:580 ; 8-byte Folded Spill
	s_wait_xcnt 0x0
	v_cmpx_ne_u32_e32 0x7f, v3
	s_cbranch_execz .LBB232_384
; %bb.381:                              ;   in Loop: Header=BB232_10 Depth=1
	scratch_load_b64 v[6:7], off, s32 offset:192 th:TH_LOAD_LU ; 8-byte Folded Reload
	s_wait_loadcnt 0x0
	v_dual_lshrrev_b32 v2, 3, v3 :: v_dual_bitop2_b32 v6, 7, v1 bitop3:0x40
	s_mov_b32 s16, exec_lo
	s_wait_xcnt 0x0
	v_cmpx_gt_u32_e32 8, v3
; %bb.382:                              ;   in Loop: Header=BB232_10 Depth=1
	s_delay_alu instid0(VALU_DEP_2) | instskip(NEXT) | instid1(VALU_DEP_1)
	v_clz_i32_u32_e32 v2, v6
	v_min_u32_e32 v2, 32, v2
	s_delay_alu instid0(VALU_DEP_1) | instskip(NEXT) | instid1(VALU_DEP_1)
	v_subrev_nc_u32_e32 v3, 28, v2
	v_lshlrev_b64_e32 v[4:5], v3, v[6:7]
	s_delay_alu instid0(VALU_DEP_1)
	v_dual_sub_nc_u32 v2, 29, v2 :: v_dual_bitop2_b32 v6, 7, v4 bitop3:0x40
; %bb.383:                              ;   in Loop: Header=BB232_10 Depth=1
	s_or_b32 exec_lo, exec_lo, s16
	s_delay_alu instid0(VALU_DEP_1) | instskip(NEXT) | instid1(VALU_DEP_2)
	v_dual_lshlrev_b32 v1, 24, v1 :: v_dual_lshlrev_b32 v3, 20, v6
	v_lshl_add_u32 v2, v2, 23, 0x3c000000
	s_delay_alu instid0(VALU_DEP_2) | instskip(NEXT) | instid1(VALU_DEP_1)
	v_and_b32_e32 v1, 0x80000000, v1
	v_or3_b32 v6, v3, v1, v2
	v_mov_b32_e32 v1, v7
	s_clause 0x1
	scratch_store_b64 off, v[0:1], s32 offset:192
	scratch_store_b64 off, v[6:7], s32 offset:580
.LBB232_384:                            ;   in Loop: Header=BB232_10 Depth=1
	s_wait_xcnt 0x0
	s_or_b32 exec_lo, exec_lo, s15
.LBB232_385:                            ;   in Loop: Header=BB232_10 Depth=1
	s_delay_alu instid0(SALU_CYCLE_1)
	s_or_b32 exec_lo, exec_lo, s11
.LBB232_386:                            ;   in Loop: Header=BB232_10 Depth=1
	s_delay_alu instid0(SALU_CYCLE_1) | instskip(NEXT) | instid1(SALU_CYCLE_1)
	s_or_b32 exec_lo, exec_lo, s4
	s_mov_b32 s4, exec_lo
	v_cmpx_lt_u32_e32 0xffffff, v0
	s_cbranch_execz .LBB232_394
; %bb.387:                              ;   in Loop: Header=BB232_10 Depth=1
	v_mov_b64_e32 v[2:3], 0x8000000000000000
	v_lshrrev_b32_e32 v1, 24, v0
	s_mov_b32 s11, exec_lo
	scratch_store_b64 off, v[2:3], s32 offset:572 ; 8-byte Folded Spill
	s_wait_xcnt 0x0
	v_cmpx_ne_u32_e32 0x80, v1
	s_cbranch_execz .LBB232_393
; %bb.388:                              ;   in Loop: Header=BB232_10 Depth=1
	v_mov_b64_e32 v[4:5], 0x7f80000100000000
	v_bfe_u32 v2, v0, 24, 7
	s_mov_b32 s15, exec_lo
	scratch_store_b64 off, v[4:5], s32 offset:572 ; 8-byte Folded Spill
	s_wait_xcnt 0x0
	v_cmpx_ne_u32_e32 0x7f, v2
	s_cbranch_execz .LBB232_392
; %bb.389:                              ;   in Loop: Header=BB232_10 Depth=1
	scratch_load_b64 v[4:5], off, s32 offset:192 th:TH_LOAD_LU ; 8-byte Folded Reload
	s_wait_loadcnt 0x0
	v_dual_lshrrev_b32 v0, 3, v2 :: v_dual_bitop2_b32 v4, 7, v1 bitop3:0x40
	s_mov_b32 s16, exec_lo
	s_wait_xcnt 0x0
	v_cmpx_gt_u32_e32 8, v2
; %bb.390:                              ;   in Loop: Header=BB232_10 Depth=1
	s_delay_alu instid0(VALU_DEP_2) | instskip(NEXT) | instid1(VALU_DEP_1)
	v_clz_i32_u32_e32 v0, v4
	v_min_u32_e32 v0, 32, v0
	s_delay_alu instid0(VALU_DEP_1) | instskip(NEXT) | instid1(VALU_DEP_1)
	v_subrev_nc_u32_e32 v2, 28, v0
	v_lshlrev_b64_e32 v[2:3], v2, v[4:5]
	s_delay_alu instid0(VALU_DEP_1)
	v_dual_sub_nc_u32 v0, 29, v0 :: v_dual_bitop2_b32 v4, 7, v2 bitop3:0x40
; %bb.391:                              ;   in Loop: Header=BB232_10 Depth=1
	s_or_b32 exec_lo, exec_lo, s16
	s_delay_alu instid0(VALU_DEP_1) | instskip(NEXT) | instid1(VALU_DEP_2)
	v_dual_lshlrev_b32 v1, 24, v1 :: v_dual_lshlrev_b32 v2, 20, v4
	v_lshl_add_u32 v0, v0, 23, 0x3c000000
	s_delay_alu instid0(VALU_DEP_2) | instskip(NEXT) | instid1(VALU_DEP_1)
	v_and_b32_e32 v1, 0x80000000, v1
	v_or3_b32 v3, v2, v1, v0
	v_dual_mov_b32 v1, v5 :: v_dual_mov_b32 v2, v5
	s_clause 0x1
	scratch_store_b64 off, v[0:1], s32 offset:192
	scratch_store_b64 off, v[2:3], s32 offset:572
.LBB232_392:                            ;   in Loop: Header=BB232_10 Depth=1
	s_wait_xcnt 0x0
	s_or_b32 exec_lo, exec_lo, s15
.LBB232_393:                            ;   in Loop: Header=BB232_10 Depth=1
	s_delay_alu instid0(SALU_CYCLE_1)
	s_or_b32 exec_lo, exec_lo, s11
.LBB232_394:                            ;   in Loop: Header=BB232_10 Depth=1
	s_delay_alu instid0(SALU_CYCLE_1)
	s_or_b32 exec_lo, exec_lo, s4
	flat_load_b32 v0, v[66:67] offset:1536
	v_mov_b64_e32 v[2:3], 0
	s_mov_b32 s4, exec_lo
	scratch_store_b64 off, v[2:3], s32 offset:620 ; 8-byte Folded Spill
	s_wait_xcnt 0x0
	v_mov_b64_e32 v[2:3], 0
	scratch_store_b64 off, v[2:3], s32 offset:596 ; 8-byte Folded Spill
	s_wait_loadcnt_dscnt 0x0
	v_and_b32_e32 v1, 0xff, v0
	s_wait_xcnt 0x0
	s_delay_alu instid0(VALU_DEP_1)
	v_cmpx_ne_u16_e32 0, v1
	s_cbranch_execz .LBB232_402
; %bb.395:                              ;   in Loop: Header=BB232_10 Depth=1
	v_mov_b64_e32 v[2:3], 0x80000000
	s_mov_b32 s11, exec_lo
	scratch_store_b64 off, v[2:3], s32 offset:596 ; 8-byte Folded Spill
	s_wait_xcnt 0x0
	v_cmpx_ne_u16_e32 0x80, v1
	s_cbranch_execz .LBB232_401
; %bb.396:                              ;   in Loop: Header=BB232_10 Depth=1
	v_mov_b64_e32 v[4:5], 0x7f800001
	v_and_b32_e32 v2, 0x7f, v0
	s_mov_b32 s15, exec_lo
	scratch_store_b64 off, v[4:5], s32 offset:596 ; 8-byte Folded Spill
	s_wait_xcnt 0x0
	v_cmpx_ne_u32_e32 0x7f, v2
	s_cbranch_execz .LBB232_400
; %bb.397:                              ;   in Loop: Header=BB232_10 Depth=1
	scratch_load_b64 v[4:5], off, s32 offset:192 th:TH_LOAD_LU ; 8-byte Folded Reload
	s_wait_loadcnt 0x0
	v_dual_lshrrev_b32 v1, 3, v2 :: v_dual_bitop2_b32 v4, 7, v0 bitop3:0x40
	s_mov_b32 s16, exec_lo
	s_wait_xcnt 0x0
	v_cmpx_gt_u32_e32 8, v2
; %bb.398:                              ;   in Loop: Header=BB232_10 Depth=1
	s_delay_alu instid0(VALU_DEP_2) | instskip(NEXT) | instid1(VALU_DEP_1)
	v_clz_i32_u32_e32 v1, v4
	v_min_u32_e32 v1, 32, v1
	s_delay_alu instid0(VALU_DEP_1) | instskip(NEXT) | instid1(VALU_DEP_1)
	v_subrev_nc_u32_e32 v2, 28, v1
	v_lshlrev_b64_e32 v[2:3], v2, v[4:5]
	s_delay_alu instid0(VALU_DEP_1)
	v_dual_sub_nc_u32 v1, 29, v1 :: v_dual_bitop2_b32 v4, 7, v2 bitop3:0x40
; %bb.399:                              ;   in Loop: Header=BB232_10 Depth=1
	s_or_b32 exec_lo, exec_lo, s16
	v_lshlrev_b32_e32 v2, 24, v0
	s_delay_alu instid0(VALU_DEP_2) | instskip(NEXT) | instid1(VALU_DEP_3)
	v_lshlrev_b32_e32 v3, 20, v4
	v_lshl_add_u32 v1, v1, 23, 0x3c000000
	s_delay_alu instid0(VALU_DEP_3) | instskip(NEXT) | instid1(VALU_DEP_1)
	v_and_b32_e32 v2, 0x80000000, v2
	v_or3_b32 v4, v3, v2, v1
	v_mov_b32_e32 v1, v5
	s_clause 0x1
	scratch_store_b64 off, v[0:1], s32 offset:192
	scratch_store_b64 off, v[4:5], s32 offset:596
.LBB232_400:                            ;   in Loop: Header=BB232_10 Depth=1
	s_wait_xcnt 0x0
	s_or_b32 exec_lo, exec_lo, s15
.LBB232_401:                            ;   in Loop: Header=BB232_10 Depth=1
	s_delay_alu instid0(SALU_CYCLE_1)
	s_or_b32 exec_lo, exec_lo, s11
.LBB232_402:                            ;   in Loop: Header=BB232_10 Depth=1
	s_delay_alu instid0(SALU_CYCLE_1) | instskip(SKIP_2) | instid1(VALU_DEP_1)
	s_or_b32 exec_lo, exec_lo, s4
	v_lshrrev_b16 v1, 8, v0
	s_mov_b32 s4, exec_lo
	v_cmpx_ne_u16_e32 0, v1
	s_cbranch_execz .LBB232_410
; %bb.403:                              ;   in Loop: Header=BB232_10 Depth=1
	v_mov_b64_e32 v[2:3], 0x8000000000000000
	s_mov_b32 s11, exec_lo
	scratch_store_b64 off, v[2:3], s32 offset:620 ; 8-byte Folded Spill
	s_wait_xcnt 0x0
	v_cmpx_ne_u16_e32 0x80, v1
	s_cbranch_execz .LBB232_409
; %bb.404:                              ;   in Loop: Header=BB232_10 Depth=1
	v_and_b32_e32 v1, 0xffff, v1
	v_mov_b64_e32 v[4:5], 0x7f80000100000000
	s_mov_b32 s15, exec_lo
	s_delay_alu instid0(VALU_DEP_2)
	v_and_b32_e32 v2, 0x7f, v1
	scratch_store_b64 off, v[4:5], s32 offset:620 ; 8-byte Folded Spill
	s_wait_xcnt 0x0
	v_cmpx_ne_u32_e32 0x7f, v2
	s_cbranch_execz .LBB232_408
; %bb.405:                              ;   in Loop: Header=BB232_10 Depth=1
	scratch_load_b64 v[4:5], off, s32 offset:192 th:TH_LOAD_LU ; 8-byte Folded Reload
	s_wait_loadcnt 0x0
	v_dual_lshrrev_b32 v1, 3, v2 :: v_dual_bitop2_b32 v4, 7, v1 bitop3:0x40
	s_mov_b32 s16, exec_lo
	s_wait_xcnt 0x0
	v_cmpx_gt_u32_e32 8, v2
; %bb.406:                              ;   in Loop: Header=BB232_10 Depth=1
	s_delay_alu instid0(VALU_DEP_2) | instskip(NEXT) | instid1(VALU_DEP_1)
	v_clz_i32_u32_e32 v1, v4
	v_min_u32_e32 v1, 32, v1
	s_delay_alu instid0(VALU_DEP_1) | instskip(NEXT) | instid1(VALU_DEP_1)
	v_subrev_nc_u32_e32 v2, 28, v1
	v_lshlrev_b64_e32 v[2:3], v2, v[4:5]
	s_delay_alu instid0(VALU_DEP_1)
	v_dual_sub_nc_u32 v1, 29, v1 :: v_dual_bitop2_b32 v4, 7, v2 bitop3:0x40
; %bb.407:                              ;   in Loop: Header=BB232_10 Depth=1
	s_or_b32 exec_lo, exec_lo, s16
	v_lshlrev_b32_e32 v2, 16, v0
	s_delay_alu instid0(VALU_DEP_2) | instskip(NEXT) | instid1(VALU_DEP_3)
	v_lshlrev_b32_e32 v3, 20, v4
	v_lshl_add_u32 v1, v1, 23, 0x3c000000
	s_delay_alu instid0(VALU_DEP_3) | instskip(NEXT) | instid1(VALU_DEP_1)
	v_and_b32_e32 v2, 0x80000000, v2
	v_or3_b32 v3, v3, v2, v1
	v_dual_mov_b32 v1, v5 :: v_dual_mov_b32 v2, v5
	s_clause 0x1
	scratch_store_b64 off, v[0:1], s32 offset:192
	scratch_store_b64 off, v[2:3], s32 offset:620
.LBB232_408:                            ;   in Loop: Header=BB232_10 Depth=1
	s_wait_xcnt 0x0
	s_or_b32 exec_lo, exec_lo, s15
.LBB232_409:                            ;   in Loop: Header=BB232_10 Depth=1
	s_delay_alu instid0(SALU_CYCLE_1)
	s_or_b32 exec_lo, exec_lo, s11
.LBB232_410:                            ;   in Loop: Header=BB232_10 Depth=1
	s_delay_alu instid0(SALU_CYCLE_1) | instskip(SKIP_3) | instid1(VALU_DEP_1)
	s_or_b32 exec_lo, exec_lo, s4
	v_mov_b64_e32 v[4:5], 0
	v_lshrrev_b32_e32 v1, 16, v0
	s_mov_b32 s4, exec_lo
	v_and_b32_e32 v2, 0xff, v1
	scratch_store_b64 off, v[4:5], s32 offset:604 ; 8-byte Folded Spill
	s_wait_xcnt 0x0
	v_mov_b64_e32 v[4:5], 0
	scratch_store_b64 off, v[4:5], s32 offset:612 ; 8-byte Folded Spill
	s_wait_xcnt 0x0
	v_cmpx_ne_u16_e32 0, v2
	s_cbranch_execz .LBB232_418
; %bb.411:                              ;   in Loop: Header=BB232_10 Depth=1
	v_cmp_ne_u16_e64 s1, 0x80, v2
	v_mov_b64_e32 v[2:3], 0x80000000
	scratch_store_b64 off, v[2:3], s32 offset:612 ; 8-byte Folded Spill
	s_wait_xcnt 0x0
	s_and_saveexec_b32 s11, s1
	s_cbranch_execz .LBB232_417
; %bb.412:                              ;   in Loop: Header=BB232_10 Depth=1
	v_mov_b64_e32 v[4:5], 0x7f800001
	v_bfe_u32 v3, v0, 16, 7
	s_mov_b32 s15, exec_lo
	scratch_store_b64 off, v[4:5], s32 offset:612 ; 8-byte Folded Spill
	s_wait_xcnt 0x0
	v_cmpx_ne_u32_e32 0x7f, v3
	s_cbranch_execz .LBB232_416
; %bb.413:                              ;   in Loop: Header=BB232_10 Depth=1
	scratch_load_b64 v[6:7], off, s32 offset:192 th:TH_LOAD_LU ; 8-byte Folded Reload
	s_wait_loadcnt 0x0
	v_dual_lshrrev_b32 v2, 3, v3 :: v_dual_bitop2_b32 v6, 7, v1 bitop3:0x40
	s_mov_b32 s16, exec_lo
	s_wait_xcnt 0x0
	v_cmpx_gt_u32_e32 8, v3
; %bb.414:                              ;   in Loop: Header=BB232_10 Depth=1
	s_delay_alu instid0(VALU_DEP_2) | instskip(NEXT) | instid1(VALU_DEP_1)
	v_clz_i32_u32_e32 v2, v6
	v_min_u32_e32 v2, 32, v2
	s_delay_alu instid0(VALU_DEP_1) | instskip(NEXT) | instid1(VALU_DEP_1)
	v_subrev_nc_u32_e32 v3, 28, v2
	v_lshlrev_b64_e32 v[4:5], v3, v[6:7]
	s_delay_alu instid0(VALU_DEP_1)
	v_dual_sub_nc_u32 v2, 29, v2 :: v_dual_bitop2_b32 v6, 7, v4 bitop3:0x40
; %bb.415:                              ;   in Loop: Header=BB232_10 Depth=1
	s_or_b32 exec_lo, exec_lo, s16
	s_delay_alu instid0(VALU_DEP_1) | instskip(NEXT) | instid1(VALU_DEP_2)
	v_dual_lshlrev_b32 v1, 24, v1 :: v_dual_lshlrev_b32 v3, 20, v6
	v_lshl_add_u32 v2, v2, 23, 0x3c000000
	s_delay_alu instid0(VALU_DEP_2) | instskip(NEXT) | instid1(VALU_DEP_1)
	v_and_b32_e32 v1, 0x80000000, v1
	v_or3_b32 v6, v3, v1, v2
	v_mov_b32_e32 v1, v7
	s_clause 0x1
	scratch_store_b64 off, v[0:1], s32 offset:192
	scratch_store_b64 off, v[6:7], s32 offset:612
.LBB232_416:                            ;   in Loop: Header=BB232_10 Depth=1
	s_wait_xcnt 0x0
	s_or_b32 exec_lo, exec_lo, s15
.LBB232_417:                            ;   in Loop: Header=BB232_10 Depth=1
	s_delay_alu instid0(SALU_CYCLE_1)
	s_or_b32 exec_lo, exec_lo, s11
.LBB232_418:                            ;   in Loop: Header=BB232_10 Depth=1
	s_delay_alu instid0(SALU_CYCLE_1) | instskip(NEXT) | instid1(SALU_CYCLE_1)
	s_or_b32 exec_lo, exec_lo, s4
	s_mov_b32 s4, exec_lo
	v_cmpx_lt_u32_e32 0xffffff, v0
	s_cbranch_execz .LBB232_426
; %bb.419:                              ;   in Loop: Header=BB232_10 Depth=1
	v_mov_b64_e32 v[2:3], 0x8000000000000000
	v_lshrrev_b32_e32 v1, 24, v0
	s_mov_b32 s11, exec_lo
	scratch_store_b64 off, v[2:3], s32 offset:604 ; 8-byte Folded Spill
	s_wait_xcnt 0x0
	v_cmpx_ne_u32_e32 0x80, v1
	s_cbranch_execz .LBB232_425
; %bb.420:                              ;   in Loop: Header=BB232_10 Depth=1
	v_mov_b64_e32 v[4:5], 0x7f80000100000000
	v_bfe_u32 v2, v0, 24, 7
	s_mov_b32 s15, exec_lo
	scratch_store_b64 off, v[4:5], s32 offset:604 ; 8-byte Folded Spill
	s_wait_xcnt 0x0
	v_cmpx_ne_u32_e32 0x7f, v2
	s_cbranch_execz .LBB232_424
; %bb.421:                              ;   in Loop: Header=BB232_10 Depth=1
	scratch_load_b64 v[4:5], off, s32 offset:192 th:TH_LOAD_LU ; 8-byte Folded Reload
	s_wait_loadcnt 0x0
	v_dual_lshrrev_b32 v0, 3, v2 :: v_dual_bitop2_b32 v4, 7, v1 bitop3:0x40
	s_mov_b32 s16, exec_lo
	s_wait_xcnt 0x0
	v_cmpx_gt_u32_e32 8, v2
; %bb.422:                              ;   in Loop: Header=BB232_10 Depth=1
	s_delay_alu instid0(VALU_DEP_2) | instskip(NEXT) | instid1(VALU_DEP_1)
	v_clz_i32_u32_e32 v0, v4
	v_min_u32_e32 v0, 32, v0
	s_delay_alu instid0(VALU_DEP_1) | instskip(NEXT) | instid1(VALU_DEP_1)
	v_subrev_nc_u32_e32 v2, 28, v0
	v_lshlrev_b64_e32 v[2:3], v2, v[4:5]
	s_delay_alu instid0(VALU_DEP_1)
	v_dual_sub_nc_u32 v0, 29, v0 :: v_dual_bitop2_b32 v4, 7, v2 bitop3:0x40
; %bb.423:                              ;   in Loop: Header=BB232_10 Depth=1
	s_or_b32 exec_lo, exec_lo, s16
	s_delay_alu instid0(VALU_DEP_1) | instskip(NEXT) | instid1(VALU_DEP_2)
	v_dual_lshlrev_b32 v1, 24, v1 :: v_dual_lshlrev_b32 v2, 20, v4
	v_lshl_add_u32 v0, v0, 23, 0x3c000000
	s_delay_alu instid0(VALU_DEP_2) | instskip(NEXT) | instid1(VALU_DEP_1)
	v_and_b32_e32 v1, 0x80000000, v1
	v_or3_b32 v3, v2, v1, v0
	v_dual_mov_b32 v1, v5 :: v_dual_mov_b32 v2, v5
	s_clause 0x1
	scratch_store_b64 off, v[0:1], s32 offset:192
	scratch_store_b64 off, v[2:3], s32 offset:604
.LBB232_424:                            ;   in Loop: Header=BB232_10 Depth=1
	s_wait_xcnt 0x0
	s_or_b32 exec_lo, exec_lo, s15
.LBB232_425:                            ;   in Loop: Header=BB232_10 Depth=1
	s_delay_alu instid0(SALU_CYCLE_1)
	s_or_b32 exec_lo, exec_lo, s11
.LBB232_426:                            ;   in Loop: Header=BB232_10 Depth=1
	s_delay_alu instid0(SALU_CYCLE_1)
	s_or_b32 exec_lo, exec_lo, s4
	flat_load_b32 v0, v[66:67] offset:1540
	v_mov_b64_e32 v[2:3], 0
	s_mov_b32 s4, exec_lo
	scratch_store_b64 off, v[2:3], s32 offset:652 ; 8-byte Folded Spill
	s_wait_xcnt 0x0
	v_mov_b64_e32 v[2:3], 0
	scratch_store_b64 off, v[2:3], s32 offset:628 ; 8-byte Folded Spill
	s_wait_loadcnt_dscnt 0x0
	v_and_b32_e32 v1, 0xff, v0
	s_wait_xcnt 0x0
	s_delay_alu instid0(VALU_DEP_1)
	v_cmpx_ne_u16_e32 0, v1
	s_cbranch_execz .LBB232_434
; %bb.427:                              ;   in Loop: Header=BB232_10 Depth=1
	v_mov_b64_e32 v[2:3], 0x80000000
	s_mov_b32 s11, exec_lo
	scratch_store_b64 off, v[2:3], s32 offset:628 ; 8-byte Folded Spill
	s_wait_xcnt 0x0
	v_cmpx_ne_u16_e32 0x80, v1
	s_cbranch_execz .LBB232_433
; %bb.428:                              ;   in Loop: Header=BB232_10 Depth=1
	v_mov_b64_e32 v[4:5], 0x7f800001
	v_and_b32_e32 v2, 0x7f, v0
	s_mov_b32 s15, exec_lo
	scratch_store_b64 off, v[4:5], s32 offset:628 ; 8-byte Folded Spill
	s_wait_xcnt 0x0
	v_cmpx_ne_u32_e32 0x7f, v2
	s_cbranch_execz .LBB232_432
; %bb.429:                              ;   in Loop: Header=BB232_10 Depth=1
	scratch_load_b64 v[4:5], off, s32 offset:192 th:TH_LOAD_LU ; 8-byte Folded Reload
	s_wait_loadcnt 0x0
	v_dual_lshrrev_b32 v1, 3, v2 :: v_dual_bitop2_b32 v4, 7, v0 bitop3:0x40
	s_mov_b32 s16, exec_lo
	s_wait_xcnt 0x0
	v_cmpx_gt_u32_e32 8, v2
; %bb.430:                              ;   in Loop: Header=BB232_10 Depth=1
	s_delay_alu instid0(VALU_DEP_2) | instskip(NEXT) | instid1(VALU_DEP_1)
	v_clz_i32_u32_e32 v1, v4
	v_min_u32_e32 v1, 32, v1
	s_delay_alu instid0(VALU_DEP_1) | instskip(NEXT) | instid1(VALU_DEP_1)
	v_subrev_nc_u32_e32 v2, 28, v1
	v_lshlrev_b64_e32 v[2:3], v2, v[4:5]
	s_delay_alu instid0(VALU_DEP_1)
	v_dual_sub_nc_u32 v1, 29, v1 :: v_dual_bitop2_b32 v4, 7, v2 bitop3:0x40
; %bb.431:                              ;   in Loop: Header=BB232_10 Depth=1
	s_or_b32 exec_lo, exec_lo, s16
	v_lshlrev_b32_e32 v2, 24, v0
	s_delay_alu instid0(VALU_DEP_2) | instskip(NEXT) | instid1(VALU_DEP_3)
	v_lshlrev_b32_e32 v3, 20, v4
	v_lshl_add_u32 v1, v1, 23, 0x3c000000
	s_delay_alu instid0(VALU_DEP_3) | instskip(NEXT) | instid1(VALU_DEP_1)
	v_and_b32_e32 v2, 0x80000000, v2
	v_or3_b32 v4, v3, v2, v1
	v_mov_b32_e32 v1, v5
	s_clause 0x1
	scratch_store_b64 off, v[0:1], s32 offset:192
	scratch_store_b64 off, v[4:5], s32 offset:628
.LBB232_432:                            ;   in Loop: Header=BB232_10 Depth=1
	s_wait_xcnt 0x0
	s_or_b32 exec_lo, exec_lo, s15
.LBB232_433:                            ;   in Loop: Header=BB232_10 Depth=1
	s_delay_alu instid0(SALU_CYCLE_1)
	s_or_b32 exec_lo, exec_lo, s11
.LBB232_434:                            ;   in Loop: Header=BB232_10 Depth=1
	s_delay_alu instid0(SALU_CYCLE_1) | instskip(SKIP_2) | instid1(VALU_DEP_1)
	s_or_b32 exec_lo, exec_lo, s4
	v_lshrrev_b16 v1, 8, v0
	s_mov_b32 s4, exec_lo
	v_cmpx_ne_u16_e32 0, v1
	s_cbranch_execz .LBB232_442
; %bb.435:                              ;   in Loop: Header=BB232_10 Depth=1
	v_mov_b64_e32 v[2:3], 0x8000000000000000
	s_mov_b32 s11, exec_lo
	scratch_store_b64 off, v[2:3], s32 offset:652 ; 8-byte Folded Spill
	s_wait_xcnt 0x0
	v_cmpx_ne_u16_e32 0x80, v1
	s_cbranch_execz .LBB232_441
; %bb.436:                              ;   in Loop: Header=BB232_10 Depth=1
	v_and_b32_e32 v1, 0xffff, v1
	v_mov_b64_e32 v[4:5], 0x7f80000100000000
	s_mov_b32 s15, exec_lo
	s_delay_alu instid0(VALU_DEP_2)
	v_and_b32_e32 v2, 0x7f, v1
	scratch_store_b64 off, v[4:5], s32 offset:652 ; 8-byte Folded Spill
	s_wait_xcnt 0x0
	v_cmpx_ne_u32_e32 0x7f, v2
	s_cbranch_execz .LBB232_440
; %bb.437:                              ;   in Loop: Header=BB232_10 Depth=1
	scratch_load_b64 v[4:5], off, s32 offset:192 th:TH_LOAD_LU ; 8-byte Folded Reload
	s_wait_loadcnt 0x0
	v_dual_lshrrev_b32 v1, 3, v2 :: v_dual_bitop2_b32 v4, 7, v1 bitop3:0x40
	s_mov_b32 s16, exec_lo
	s_wait_xcnt 0x0
	v_cmpx_gt_u32_e32 8, v2
; %bb.438:                              ;   in Loop: Header=BB232_10 Depth=1
	s_delay_alu instid0(VALU_DEP_2) | instskip(NEXT) | instid1(VALU_DEP_1)
	v_clz_i32_u32_e32 v1, v4
	v_min_u32_e32 v1, 32, v1
	s_delay_alu instid0(VALU_DEP_1) | instskip(NEXT) | instid1(VALU_DEP_1)
	v_subrev_nc_u32_e32 v2, 28, v1
	v_lshlrev_b64_e32 v[2:3], v2, v[4:5]
	s_delay_alu instid0(VALU_DEP_1)
	v_dual_sub_nc_u32 v1, 29, v1 :: v_dual_bitop2_b32 v4, 7, v2 bitop3:0x40
; %bb.439:                              ;   in Loop: Header=BB232_10 Depth=1
	s_or_b32 exec_lo, exec_lo, s16
	v_lshlrev_b32_e32 v2, 16, v0
	s_delay_alu instid0(VALU_DEP_2) | instskip(NEXT) | instid1(VALU_DEP_3)
	v_lshlrev_b32_e32 v3, 20, v4
	v_lshl_add_u32 v1, v1, 23, 0x3c000000
	s_delay_alu instid0(VALU_DEP_3) | instskip(NEXT) | instid1(VALU_DEP_1)
	v_and_b32_e32 v2, 0x80000000, v2
	v_or3_b32 v3, v3, v2, v1
	v_dual_mov_b32 v1, v5 :: v_dual_mov_b32 v2, v5
	s_clause 0x1
	scratch_store_b64 off, v[0:1], s32 offset:192
	scratch_store_b64 off, v[2:3], s32 offset:652
.LBB232_440:                            ;   in Loop: Header=BB232_10 Depth=1
	s_wait_xcnt 0x0
	s_or_b32 exec_lo, exec_lo, s15
.LBB232_441:                            ;   in Loop: Header=BB232_10 Depth=1
	s_delay_alu instid0(SALU_CYCLE_1)
	s_or_b32 exec_lo, exec_lo, s11
.LBB232_442:                            ;   in Loop: Header=BB232_10 Depth=1
	s_delay_alu instid0(SALU_CYCLE_1) | instskip(SKIP_3) | instid1(VALU_DEP_1)
	s_or_b32 exec_lo, exec_lo, s4
	v_mov_b64_e32 v[4:5], 0
	v_lshrrev_b32_e32 v1, 16, v0
	s_mov_b32 s4, exec_lo
	v_and_b32_e32 v2, 0xff, v1
	scratch_store_b64 off, v[4:5], s32 offset:636 ; 8-byte Folded Spill
	s_wait_xcnt 0x0
	v_mov_b64_e32 v[4:5], 0
	scratch_store_b64 off, v[4:5], s32 offset:644 ; 8-byte Folded Spill
	s_wait_xcnt 0x0
	v_cmpx_ne_u16_e32 0, v2
	s_cbranch_execz .LBB232_450
; %bb.443:                              ;   in Loop: Header=BB232_10 Depth=1
	v_cmp_ne_u16_e64 s1, 0x80, v2
	v_mov_b64_e32 v[2:3], 0x80000000
	scratch_store_b64 off, v[2:3], s32 offset:644 ; 8-byte Folded Spill
	s_wait_xcnt 0x0
	s_and_saveexec_b32 s11, s1
	s_cbranch_execz .LBB232_449
; %bb.444:                              ;   in Loop: Header=BB232_10 Depth=1
	v_mov_b64_e32 v[4:5], 0x7f800001
	v_bfe_u32 v3, v0, 16, 7
	s_mov_b32 s15, exec_lo
	scratch_store_b64 off, v[4:5], s32 offset:644 ; 8-byte Folded Spill
	s_wait_xcnt 0x0
	v_cmpx_ne_u32_e32 0x7f, v3
	s_cbranch_execz .LBB232_448
; %bb.445:                              ;   in Loop: Header=BB232_10 Depth=1
	scratch_load_b64 v[6:7], off, s32 offset:192 th:TH_LOAD_LU ; 8-byte Folded Reload
	s_wait_loadcnt 0x0
	v_dual_lshrrev_b32 v2, 3, v3 :: v_dual_bitop2_b32 v6, 7, v1 bitop3:0x40
	s_mov_b32 s16, exec_lo
	s_wait_xcnt 0x0
	v_cmpx_gt_u32_e32 8, v3
; %bb.446:                              ;   in Loop: Header=BB232_10 Depth=1
	s_delay_alu instid0(VALU_DEP_2) | instskip(NEXT) | instid1(VALU_DEP_1)
	v_clz_i32_u32_e32 v2, v6
	v_min_u32_e32 v2, 32, v2
	s_delay_alu instid0(VALU_DEP_1) | instskip(NEXT) | instid1(VALU_DEP_1)
	v_subrev_nc_u32_e32 v3, 28, v2
	v_lshlrev_b64_e32 v[4:5], v3, v[6:7]
	s_delay_alu instid0(VALU_DEP_1)
	v_dual_sub_nc_u32 v2, 29, v2 :: v_dual_bitop2_b32 v6, 7, v4 bitop3:0x40
; %bb.447:                              ;   in Loop: Header=BB232_10 Depth=1
	s_or_b32 exec_lo, exec_lo, s16
	s_delay_alu instid0(VALU_DEP_1) | instskip(NEXT) | instid1(VALU_DEP_2)
	v_dual_lshlrev_b32 v1, 24, v1 :: v_dual_lshlrev_b32 v3, 20, v6
	v_lshl_add_u32 v2, v2, 23, 0x3c000000
	s_delay_alu instid0(VALU_DEP_2) | instskip(NEXT) | instid1(VALU_DEP_1)
	v_and_b32_e32 v1, 0x80000000, v1
	v_or3_b32 v6, v3, v1, v2
	v_mov_b32_e32 v1, v7
	s_clause 0x1
	scratch_store_b64 off, v[0:1], s32 offset:192
	scratch_store_b64 off, v[6:7], s32 offset:644
.LBB232_448:                            ;   in Loop: Header=BB232_10 Depth=1
	s_wait_xcnt 0x0
	s_or_b32 exec_lo, exec_lo, s15
.LBB232_449:                            ;   in Loop: Header=BB232_10 Depth=1
	s_delay_alu instid0(SALU_CYCLE_1)
	s_or_b32 exec_lo, exec_lo, s11
.LBB232_450:                            ;   in Loop: Header=BB232_10 Depth=1
	s_delay_alu instid0(SALU_CYCLE_1) | instskip(NEXT) | instid1(SALU_CYCLE_1)
	s_or_b32 exec_lo, exec_lo, s4
	s_mov_b32 s4, exec_lo
	v_cmpx_lt_u32_e32 0xffffff, v0
	s_cbranch_execz .LBB232_458
; %bb.451:                              ;   in Loop: Header=BB232_10 Depth=1
	v_mov_b64_e32 v[2:3], 0x8000000000000000
	v_lshrrev_b32_e32 v1, 24, v0
	s_mov_b32 s11, exec_lo
	scratch_store_b64 off, v[2:3], s32 offset:636 ; 8-byte Folded Spill
	s_wait_xcnt 0x0
	v_cmpx_ne_u32_e32 0x80, v1
	s_cbranch_execz .LBB232_457
; %bb.452:                              ;   in Loop: Header=BB232_10 Depth=1
	v_mov_b64_e32 v[4:5], 0x7f80000100000000
	v_bfe_u32 v2, v0, 24, 7
	s_mov_b32 s15, exec_lo
	scratch_store_b64 off, v[4:5], s32 offset:636 ; 8-byte Folded Spill
	s_wait_xcnt 0x0
	v_cmpx_ne_u32_e32 0x7f, v2
	s_cbranch_execz .LBB232_456
; %bb.453:                              ;   in Loop: Header=BB232_10 Depth=1
	scratch_load_b64 v[4:5], off, s32 offset:192 th:TH_LOAD_LU ; 8-byte Folded Reload
	s_wait_loadcnt 0x0
	v_dual_lshrrev_b32 v0, 3, v2 :: v_dual_bitop2_b32 v4, 7, v1 bitop3:0x40
	s_mov_b32 s16, exec_lo
	s_wait_xcnt 0x0
	v_cmpx_gt_u32_e32 8, v2
; %bb.454:                              ;   in Loop: Header=BB232_10 Depth=1
	s_delay_alu instid0(VALU_DEP_2) | instskip(NEXT) | instid1(VALU_DEP_1)
	v_clz_i32_u32_e32 v0, v4
	v_min_u32_e32 v0, 32, v0
	s_delay_alu instid0(VALU_DEP_1) | instskip(NEXT) | instid1(VALU_DEP_1)
	v_subrev_nc_u32_e32 v2, 28, v0
	v_lshlrev_b64_e32 v[2:3], v2, v[4:5]
	s_delay_alu instid0(VALU_DEP_1)
	v_dual_sub_nc_u32 v0, 29, v0 :: v_dual_bitop2_b32 v4, 7, v2 bitop3:0x40
; %bb.455:                              ;   in Loop: Header=BB232_10 Depth=1
	s_or_b32 exec_lo, exec_lo, s16
	s_delay_alu instid0(VALU_DEP_1) | instskip(NEXT) | instid1(VALU_DEP_2)
	v_dual_lshlrev_b32 v1, 24, v1 :: v_dual_lshlrev_b32 v2, 20, v4
	v_lshl_add_u32 v0, v0, 23, 0x3c000000
	s_delay_alu instid0(VALU_DEP_2) | instskip(NEXT) | instid1(VALU_DEP_1)
	v_and_b32_e32 v1, 0x80000000, v1
	v_or3_b32 v3, v2, v1, v0
	v_dual_mov_b32 v1, v5 :: v_dual_mov_b32 v2, v5
	s_clause 0x1
	scratch_store_b64 off, v[0:1], s32 offset:192
	scratch_store_b64 off, v[2:3], s32 offset:636
.LBB232_456:                            ;   in Loop: Header=BB232_10 Depth=1
	s_wait_xcnt 0x0
	s_or_b32 exec_lo, exec_lo, s15
.LBB232_457:                            ;   in Loop: Header=BB232_10 Depth=1
	s_delay_alu instid0(SALU_CYCLE_1)
	s_or_b32 exec_lo, exec_lo, s11
.LBB232_458:                            ;   in Loop: Header=BB232_10 Depth=1
	s_delay_alu instid0(SALU_CYCLE_1)
	s_or_b32 exec_lo, exec_lo, s4
	flat_load_b32 v0, v[66:67] offset:1544
	v_mov_b64_e32 v[2:3], 0
	s_mov_b32 s4, exec_lo
	scratch_store_b64 off, v[2:3], s32 offset:684 ; 8-byte Folded Spill
	s_wait_xcnt 0x0
	v_mov_b64_e32 v[2:3], 0
	scratch_store_b64 off, v[2:3], s32 offset:660 ; 8-byte Folded Spill
	s_wait_loadcnt_dscnt 0x0
	v_and_b32_e32 v1, 0xff, v0
	s_wait_xcnt 0x0
	s_delay_alu instid0(VALU_DEP_1)
	v_cmpx_ne_u16_e32 0, v1
	s_cbranch_execz .LBB232_466
; %bb.459:                              ;   in Loop: Header=BB232_10 Depth=1
	v_mov_b64_e32 v[2:3], 0x80000000
	s_mov_b32 s11, exec_lo
	scratch_store_b64 off, v[2:3], s32 offset:660 ; 8-byte Folded Spill
	s_wait_xcnt 0x0
	v_cmpx_ne_u16_e32 0x80, v1
	s_cbranch_execz .LBB232_465
; %bb.460:                              ;   in Loop: Header=BB232_10 Depth=1
	v_mov_b64_e32 v[4:5], 0x7f800001
	v_and_b32_e32 v2, 0x7f, v0
	s_mov_b32 s15, exec_lo
	scratch_store_b64 off, v[4:5], s32 offset:660 ; 8-byte Folded Spill
	s_wait_xcnt 0x0
	v_cmpx_ne_u32_e32 0x7f, v2
	s_cbranch_execz .LBB232_464
; %bb.461:                              ;   in Loop: Header=BB232_10 Depth=1
	scratch_load_b64 v[4:5], off, s32 offset:192 th:TH_LOAD_LU ; 8-byte Folded Reload
	s_wait_loadcnt 0x0
	v_dual_lshrrev_b32 v1, 3, v2 :: v_dual_bitop2_b32 v4, 7, v0 bitop3:0x40
	s_mov_b32 s16, exec_lo
	s_wait_xcnt 0x0
	v_cmpx_gt_u32_e32 8, v2
; %bb.462:                              ;   in Loop: Header=BB232_10 Depth=1
	s_delay_alu instid0(VALU_DEP_2) | instskip(NEXT) | instid1(VALU_DEP_1)
	v_clz_i32_u32_e32 v1, v4
	v_min_u32_e32 v1, 32, v1
	s_delay_alu instid0(VALU_DEP_1) | instskip(NEXT) | instid1(VALU_DEP_1)
	v_subrev_nc_u32_e32 v2, 28, v1
	v_lshlrev_b64_e32 v[2:3], v2, v[4:5]
	s_delay_alu instid0(VALU_DEP_1)
	v_dual_sub_nc_u32 v1, 29, v1 :: v_dual_bitop2_b32 v4, 7, v2 bitop3:0x40
; %bb.463:                              ;   in Loop: Header=BB232_10 Depth=1
	s_or_b32 exec_lo, exec_lo, s16
	v_lshlrev_b32_e32 v2, 24, v0
	s_delay_alu instid0(VALU_DEP_2) | instskip(NEXT) | instid1(VALU_DEP_3)
	v_lshlrev_b32_e32 v3, 20, v4
	v_lshl_add_u32 v1, v1, 23, 0x3c000000
	s_delay_alu instid0(VALU_DEP_3) | instskip(NEXT) | instid1(VALU_DEP_1)
	v_and_b32_e32 v2, 0x80000000, v2
	v_or3_b32 v4, v3, v2, v1
	v_mov_b32_e32 v1, v5
	s_clause 0x1
	scratch_store_b64 off, v[0:1], s32 offset:192
	scratch_store_b64 off, v[4:5], s32 offset:660
.LBB232_464:                            ;   in Loop: Header=BB232_10 Depth=1
	s_wait_xcnt 0x0
	s_or_b32 exec_lo, exec_lo, s15
.LBB232_465:                            ;   in Loop: Header=BB232_10 Depth=1
	s_delay_alu instid0(SALU_CYCLE_1)
	s_or_b32 exec_lo, exec_lo, s11
.LBB232_466:                            ;   in Loop: Header=BB232_10 Depth=1
	s_delay_alu instid0(SALU_CYCLE_1) | instskip(SKIP_2) | instid1(VALU_DEP_1)
	s_or_b32 exec_lo, exec_lo, s4
	v_lshrrev_b16 v1, 8, v0
	s_mov_b32 s4, exec_lo
	v_cmpx_ne_u16_e32 0, v1
	s_cbranch_execz .LBB232_474
; %bb.467:                              ;   in Loop: Header=BB232_10 Depth=1
	v_mov_b64_e32 v[2:3], 0x8000000000000000
	s_mov_b32 s11, exec_lo
	scratch_store_b64 off, v[2:3], s32 offset:684 ; 8-byte Folded Spill
	s_wait_xcnt 0x0
	v_cmpx_ne_u16_e32 0x80, v1
	s_cbranch_execz .LBB232_473
; %bb.468:                              ;   in Loop: Header=BB232_10 Depth=1
	v_and_b32_e32 v1, 0xffff, v1
	v_mov_b64_e32 v[4:5], 0x7f80000100000000
	s_mov_b32 s15, exec_lo
	s_delay_alu instid0(VALU_DEP_2)
	v_and_b32_e32 v2, 0x7f, v1
	scratch_store_b64 off, v[4:5], s32 offset:684 ; 8-byte Folded Spill
	s_wait_xcnt 0x0
	v_cmpx_ne_u32_e32 0x7f, v2
	s_cbranch_execz .LBB232_472
; %bb.469:                              ;   in Loop: Header=BB232_10 Depth=1
	scratch_load_b64 v[4:5], off, s32 offset:192 th:TH_LOAD_LU ; 8-byte Folded Reload
	s_wait_loadcnt 0x0
	v_dual_lshrrev_b32 v1, 3, v2 :: v_dual_bitop2_b32 v4, 7, v1 bitop3:0x40
	s_mov_b32 s16, exec_lo
	s_wait_xcnt 0x0
	v_cmpx_gt_u32_e32 8, v2
; %bb.470:                              ;   in Loop: Header=BB232_10 Depth=1
	s_delay_alu instid0(VALU_DEP_2) | instskip(NEXT) | instid1(VALU_DEP_1)
	v_clz_i32_u32_e32 v1, v4
	v_min_u32_e32 v1, 32, v1
	s_delay_alu instid0(VALU_DEP_1) | instskip(NEXT) | instid1(VALU_DEP_1)
	v_subrev_nc_u32_e32 v2, 28, v1
	v_lshlrev_b64_e32 v[2:3], v2, v[4:5]
	s_delay_alu instid0(VALU_DEP_1)
	v_dual_sub_nc_u32 v1, 29, v1 :: v_dual_bitop2_b32 v4, 7, v2 bitop3:0x40
; %bb.471:                              ;   in Loop: Header=BB232_10 Depth=1
	s_or_b32 exec_lo, exec_lo, s16
	v_lshlrev_b32_e32 v2, 16, v0
	s_delay_alu instid0(VALU_DEP_2) | instskip(NEXT) | instid1(VALU_DEP_3)
	v_lshlrev_b32_e32 v3, 20, v4
	v_lshl_add_u32 v1, v1, 23, 0x3c000000
	s_delay_alu instid0(VALU_DEP_3) | instskip(NEXT) | instid1(VALU_DEP_1)
	v_and_b32_e32 v2, 0x80000000, v2
	v_or3_b32 v3, v3, v2, v1
	v_dual_mov_b32 v1, v5 :: v_dual_mov_b32 v2, v5
	s_clause 0x1
	scratch_store_b64 off, v[0:1], s32 offset:192
	scratch_store_b64 off, v[2:3], s32 offset:684
.LBB232_472:                            ;   in Loop: Header=BB232_10 Depth=1
	s_wait_xcnt 0x0
	s_or_b32 exec_lo, exec_lo, s15
.LBB232_473:                            ;   in Loop: Header=BB232_10 Depth=1
	s_delay_alu instid0(SALU_CYCLE_1)
	s_or_b32 exec_lo, exec_lo, s11
.LBB232_474:                            ;   in Loop: Header=BB232_10 Depth=1
	s_delay_alu instid0(SALU_CYCLE_1) | instskip(SKIP_3) | instid1(VALU_DEP_1)
	s_or_b32 exec_lo, exec_lo, s4
	v_mov_b64_e32 v[4:5], 0
	v_lshrrev_b32_e32 v1, 16, v0
	s_mov_b32 s4, exec_lo
	v_and_b32_e32 v2, 0xff, v1
	scratch_store_b64 off, v[4:5], s32 offset:668 ; 8-byte Folded Spill
	s_wait_xcnt 0x0
	v_mov_b64_e32 v[4:5], 0
	scratch_store_b64 off, v[4:5], s32 offset:676 ; 8-byte Folded Spill
	s_wait_xcnt 0x0
	v_cmpx_ne_u16_e32 0, v2
	s_cbranch_execz .LBB232_482
; %bb.475:                              ;   in Loop: Header=BB232_10 Depth=1
	v_cmp_ne_u16_e64 s1, 0x80, v2
	v_mov_b64_e32 v[2:3], 0x80000000
	scratch_store_b64 off, v[2:3], s32 offset:676 ; 8-byte Folded Spill
	s_wait_xcnt 0x0
	s_and_saveexec_b32 s11, s1
	s_cbranch_execz .LBB232_481
; %bb.476:                              ;   in Loop: Header=BB232_10 Depth=1
	v_mov_b64_e32 v[4:5], 0x7f800001
	v_bfe_u32 v3, v0, 16, 7
	s_mov_b32 s15, exec_lo
	scratch_store_b64 off, v[4:5], s32 offset:676 ; 8-byte Folded Spill
	s_wait_xcnt 0x0
	v_cmpx_ne_u32_e32 0x7f, v3
	s_cbranch_execz .LBB232_480
; %bb.477:                              ;   in Loop: Header=BB232_10 Depth=1
	scratch_load_b64 v[6:7], off, s32 offset:192 th:TH_LOAD_LU ; 8-byte Folded Reload
	s_wait_loadcnt 0x0
	v_dual_lshrrev_b32 v2, 3, v3 :: v_dual_bitop2_b32 v6, 7, v1 bitop3:0x40
	s_mov_b32 s16, exec_lo
	s_wait_xcnt 0x0
	v_cmpx_gt_u32_e32 8, v3
; %bb.478:                              ;   in Loop: Header=BB232_10 Depth=1
	s_delay_alu instid0(VALU_DEP_2) | instskip(NEXT) | instid1(VALU_DEP_1)
	v_clz_i32_u32_e32 v2, v6
	v_min_u32_e32 v2, 32, v2
	s_delay_alu instid0(VALU_DEP_1) | instskip(NEXT) | instid1(VALU_DEP_1)
	v_subrev_nc_u32_e32 v3, 28, v2
	v_lshlrev_b64_e32 v[4:5], v3, v[6:7]
	s_delay_alu instid0(VALU_DEP_1)
	v_dual_sub_nc_u32 v2, 29, v2 :: v_dual_bitop2_b32 v6, 7, v4 bitop3:0x40
; %bb.479:                              ;   in Loop: Header=BB232_10 Depth=1
	s_or_b32 exec_lo, exec_lo, s16
	s_delay_alu instid0(VALU_DEP_1) | instskip(NEXT) | instid1(VALU_DEP_2)
	v_dual_lshlrev_b32 v1, 24, v1 :: v_dual_lshlrev_b32 v3, 20, v6
	v_lshl_add_u32 v2, v2, 23, 0x3c000000
	s_delay_alu instid0(VALU_DEP_2) | instskip(NEXT) | instid1(VALU_DEP_1)
	v_and_b32_e32 v1, 0x80000000, v1
	v_or3_b32 v6, v3, v1, v2
	v_mov_b32_e32 v1, v7
	s_clause 0x1
	scratch_store_b64 off, v[0:1], s32 offset:192
	scratch_store_b64 off, v[6:7], s32 offset:676
.LBB232_480:                            ;   in Loop: Header=BB232_10 Depth=1
	s_wait_xcnt 0x0
	s_or_b32 exec_lo, exec_lo, s15
.LBB232_481:                            ;   in Loop: Header=BB232_10 Depth=1
	s_delay_alu instid0(SALU_CYCLE_1)
	s_or_b32 exec_lo, exec_lo, s11
.LBB232_482:                            ;   in Loop: Header=BB232_10 Depth=1
	s_delay_alu instid0(SALU_CYCLE_1) | instskip(NEXT) | instid1(SALU_CYCLE_1)
	s_or_b32 exec_lo, exec_lo, s4
	s_mov_b32 s4, exec_lo
	v_cmpx_lt_u32_e32 0xffffff, v0
	s_cbranch_execz .LBB232_490
; %bb.483:                              ;   in Loop: Header=BB232_10 Depth=1
	v_mov_b64_e32 v[2:3], 0x8000000000000000
	v_lshrrev_b32_e32 v1, 24, v0
	s_mov_b32 s11, exec_lo
	scratch_store_b64 off, v[2:3], s32 offset:668 ; 8-byte Folded Spill
	s_wait_xcnt 0x0
	v_cmpx_ne_u32_e32 0x80, v1
	s_cbranch_execz .LBB232_489
; %bb.484:                              ;   in Loop: Header=BB232_10 Depth=1
	v_mov_b64_e32 v[4:5], 0x7f80000100000000
	v_bfe_u32 v2, v0, 24, 7
	s_mov_b32 s15, exec_lo
	scratch_store_b64 off, v[4:5], s32 offset:668 ; 8-byte Folded Spill
	s_wait_xcnt 0x0
	v_cmpx_ne_u32_e32 0x7f, v2
	s_cbranch_execz .LBB232_488
; %bb.485:                              ;   in Loop: Header=BB232_10 Depth=1
	scratch_load_b64 v[4:5], off, s32 offset:192 th:TH_LOAD_LU ; 8-byte Folded Reload
	s_wait_loadcnt 0x0
	v_dual_lshrrev_b32 v0, 3, v2 :: v_dual_bitop2_b32 v4, 7, v1 bitop3:0x40
	s_mov_b32 s16, exec_lo
	s_wait_xcnt 0x0
	v_cmpx_gt_u32_e32 8, v2
; %bb.486:                              ;   in Loop: Header=BB232_10 Depth=1
	s_delay_alu instid0(VALU_DEP_2) | instskip(NEXT) | instid1(VALU_DEP_1)
	v_clz_i32_u32_e32 v0, v4
	v_min_u32_e32 v0, 32, v0
	s_delay_alu instid0(VALU_DEP_1) | instskip(NEXT) | instid1(VALU_DEP_1)
	v_subrev_nc_u32_e32 v2, 28, v0
	v_lshlrev_b64_e32 v[2:3], v2, v[4:5]
	s_delay_alu instid0(VALU_DEP_1)
	v_dual_sub_nc_u32 v0, 29, v0 :: v_dual_bitop2_b32 v4, 7, v2 bitop3:0x40
; %bb.487:                              ;   in Loop: Header=BB232_10 Depth=1
	s_or_b32 exec_lo, exec_lo, s16
	s_delay_alu instid0(VALU_DEP_1) | instskip(NEXT) | instid1(VALU_DEP_2)
	v_dual_lshlrev_b32 v1, 24, v1 :: v_dual_lshlrev_b32 v2, 20, v4
	v_lshl_add_u32 v0, v0, 23, 0x3c000000
	s_delay_alu instid0(VALU_DEP_2) | instskip(NEXT) | instid1(VALU_DEP_1)
	v_and_b32_e32 v1, 0x80000000, v1
	v_or3_b32 v3, v2, v1, v0
	v_dual_mov_b32 v1, v5 :: v_dual_mov_b32 v2, v5
	s_clause 0x1
	scratch_store_b64 off, v[0:1], s32 offset:192
	scratch_store_b64 off, v[2:3], s32 offset:668
.LBB232_488:                            ;   in Loop: Header=BB232_10 Depth=1
	s_wait_xcnt 0x0
	s_or_b32 exec_lo, exec_lo, s15
.LBB232_489:                            ;   in Loop: Header=BB232_10 Depth=1
	s_delay_alu instid0(SALU_CYCLE_1)
	s_or_b32 exec_lo, exec_lo, s11
.LBB232_490:                            ;   in Loop: Header=BB232_10 Depth=1
	s_delay_alu instid0(SALU_CYCLE_1)
	s_or_b32 exec_lo, exec_lo, s4
	flat_load_b32 v0, v[66:67] offset:1548
	v_mov_b64_e32 v[2:3], 0
	s_mov_b32 s4, exec_lo
	scratch_store_b64 off, v[2:3], s32 offset:716 ; 8-byte Folded Spill
	s_wait_xcnt 0x0
	v_mov_b64_e32 v[2:3], 0
	scratch_store_b64 off, v[2:3], s32 offset:692 ; 8-byte Folded Spill
	s_wait_loadcnt_dscnt 0x0
	v_and_b32_e32 v1, 0xff, v0
	s_wait_xcnt 0x0
	s_delay_alu instid0(VALU_DEP_1)
	v_cmpx_ne_u16_e32 0, v1
	s_cbranch_execz .LBB232_498
; %bb.491:                              ;   in Loop: Header=BB232_10 Depth=1
	v_mov_b64_e32 v[2:3], 0x80000000
	s_mov_b32 s11, exec_lo
	scratch_store_b64 off, v[2:3], s32 offset:692 ; 8-byte Folded Spill
	s_wait_xcnt 0x0
	v_cmpx_ne_u16_e32 0x80, v1
	s_cbranch_execz .LBB232_497
; %bb.492:                              ;   in Loop: Header=BB232_10 Depth=1
	v_mov_b64_e32 v[4:5], 0x7f800001
	v_and_b32_e32 v2, 0x7f, v0
	s_mov_b32 s15, exec_lo
	scratch_store_b64 off, v[4:5], s32 offset:692 ; 8-byte Folded Spill
	s_wait_xcnt 0x0
	v_cmpx_ne_u32_e32 0x7f, v2
	s_cbranch_execz .LBB232_496
; %bb.493:                              ;   in Loop: Header=BB232_10 Depth=1
	scratch_load_b64 v[4:5], off, s32 offset:192 th:TH_LOAD_LU ; 8-byte Folded Reload
	s_wait_loadcnt 0x0
	v_dual_lshrrev_b32 v1, 3, v2 :: v_dual_bitop2_b32 v4, 7, v0 bitop3:0x40
	s_mov_b32 s16, exec_lo
	s_wait_xcnt 0x0
	v_cmpx_gt_u32_e32 8, v2
; %bb.494:                              ;   in Loop: Header=BB232_10 Depth=1
	s_delay_alu instid0(VALU_DEP_2) | instskip(NEXT) | instid1(VALU_DEP_1)
	v_clz_i32_u32_e32 v1, v4
	v_min_u32_e32 v1, 32, v1
	s_delay_alu instid0(VALU_DEP_1) | instskip(NEXT) | instid1(VALU_DEP_1)
	v_subrev_nc_u32_e32 v2, 28, v1
	v_lshlrev_b64_e32 v[2:3], v2, v[4:5]
	s_delay_alu instid0(VALU_DEP_1)
	v_dual_sub_nc_u32 v1, 29, v1 :: v_dual_bitop2_b32 v4, 7, v2 bitop3:0x40
; %bb.495:                              ;   in Loop: Header=BB232_10 Depth=1
	s_or_b32 exec_lo, exec_lo, s16
	v_lshlrev_b32_e32 v2, 24, v0
	s_delay_alu instid0(VALU_DEP_2) | instskip(NEXT) | instid1(VALU_DEP_3)
	v_lshlrev_b32_e32 v3, 20, v4
	v_lshl_add_u32 v1, v1, 23, 0x3c000000
	s_delay_alu instid0(VALU_DEP_3) | instskip(NEXT) | instid1(VALU_DEP_1)
	v_and_b32_e32 v2, 0x80000000, v2
	v_or3_b32 v4, v3, v2, v1
	v_mov_b32_e32 v1, v5
	s_clause 0x1
	scratch_store_b64 off, v[0:1], s32 offset:192
	scratch_store_b64 off, v[4:5], s32 offset:692
.LBB232_496:                            ;   in Loop: Header=BB232_10 Depth=1
	s_wait_xcnt 0x0
	s_or_b32 exec_lo, exec_lo, s15
.LBB232_497:                            ;   in Loop: Header=BB232_10 Depth=1
	s_delay_alu instid0(SALU_CYCLE_1)
	s_or_b32 exec_lo, exec_lo, s11
.LBB232_498:                            ;   in Loop: Header=BB232_10 Depth=1
	s_delay_alu instid0(SALU_CYCLE_1) | instskip(SKIP_2) | instid1(VALU_DEP_1)
	s_or_b32 exec_lo, exec_lo, s4
	v_lshrrev_b16 v1, 8, v0
	s_mov_b32 s4, exec_lo
	v_cmpx_ne_u16_e32 0, v1
	s_cbranch_execz .LBB232_506
; %bb.499:                              ;   in Loop: Header=BB232_10 Depth=1
	v_mov_b64_e32 v[2:3], 0x8000000000000000
	s_mov_b32 s11, exec_lo
	scratch_store_b64 off, v[2:3], s32 offset:716 ; 8-byte Folded Spill
	s_wait_xcnt 0x0
	v_cmpx_ne_u16_e32 0x80, v1
	s_cbranch_execz .LBB232_505
; %bb.500:                              ;   in Loop: Header=BB232_10 Depth=1
	v_and_b32_e32 v1, 0xffff, v1
	v_mov_b64_e32 v[4:5], 0x7f80000100000000
	s_mov_b32 s15, exec_lo
	s_delay_alu instid0(VALU_DEP_2)
	v_and_b32_e32 v2, 0x7f, v1
	scratch_store_b64 off, v[4:5], s32 offset:716 ; 8-byte Folded Spill
	s_wait_xcnt 0x0
	v_cmpx_ne_u32_e32 0x7f, v2
	s_cbranch_execz .LBB232_504
; %bb.501:                              ;   in Loop: Header=BB232_10 Depth=1
	scratch_load_b64 v[4:5], off, s32 offset:192 th:TH_LOAD_LU ; 8-byte Folded Reload
	s_wait_loadcnt 0x0
	v_dual_lshrrev_b32 v1, 3, v2 :: v_dual_bitop2_b32 v4, 7, v1 bitop3:0x40
	s_mov_b32 s16, exec_lo
	s_wait_xcnt 0x0
	v_cmpx_gt_u32_e32 8, v2
; %bb.502:                              ;   in Loop: Header=BB232_10 Depth=1
	s_delay_alu instid0(VALU_DEP_2) | instskip(NEXT) | instid1(VALU_DEP_1)
	v_clz_i32_u32_e32 v1, v4
	v_min_u32_e32 v1, 32, v1
	s_delay_alu instid0(VALU_DEP_1) | instskip(NEXT) | instid1(VALU_DEP_1)
	v_subrev_nc_u32_e32 v2, 28, v1
	v_lshlrev_b64_e32 v[2:3], v2, v[4:5]
	s_delay_alu instid0(VALU_DEP_1)
	v_dual_sub_nc_u32 v1, 29, v1 :: v_dual_bitop2_b32 v4, 7, v2 bitop3:0x40
; %bb.503:                              ;   in Loop: Header=BB232_10 Depth=1
	s_or_b32 exec_lo, exec_lo, s16
	v_lshlrev_b32_e32 v2, 16, v0
	s_delay_alu instid0(VALU_DEP_2) | instskip(NEXT) | instid1(VALU_DEP_3)
	v_lshlrev_b32_e32 v3, 20, v4
	v_lshl_add_u32 v1, v1, 23, 0x3c000000
	s_delay_alu instid0(VALU_DEP_3) | instskip(NEXT) | instid1(VALU_DEP_1)
	v_and_b32_e32 v2, 0x80000000, v2
	v_or3_b32 v3, v3, v2, v1
	v_dual_mov_b32 v1, v5 :: v_dual_mov_b32 v2, v5
	s_clause 0x1
	scratch_store_b64 off, v[0:1], s32 offset:192
	scratch_store_b64 off, v[2:3], s32 offset:716
.LBB232_504:                            ;   in Loop: Header=BB232_10 Depth=1
	s_wait_xcnt 0x0
	s_or_b32 exec_lo, exec_lo, s15
.LBB232_505:                            ;   in Loop: Header=BB232_10 Depth=1
	s_delay_alu instid0(SALU_CYCLE_1)
	s_or_b32 exec_lo, exec_lo, s11
.LBB232_506:                            ;   in Loop: Header=BB232_10 Depth=1
	s_delay_alu instid0(SALU_CYCLE_1) | instskip(SKIP_3) | instid1(VALU_DEP_1)
	s_or_b32 exec_lo, exec_lo, s4
	v_mov_b64_e32 v[4:5], 0
	v_lshrrev_b32_e32 v1, 16, v0
	s_mov_b32 s4, exec_lo
	v_and_b32_e32 v2, 0xff, v1
	scratch_store_b64 off, v[4:5], s32 offset:700 ; 8-byte Folded Spill
	s_wait_xcnt 0x0
	v_mov_b64_e32 v[4:5], 0
	scratch_store_b64 off, v[4:5], s32 offset:708 ; 8-byte Folded Spill
	s_wait_xcnt 0x0
	v_cmpx_ne_u16_e32 0, v2
	s_cbranch_execz .LBB232_514
; %bb.507:                              ;   in Loop: Header=BB232_10 Depth=1
	v_cmp_ne_u16_e64 s1, 0x80, v2
	v_mov_b64_e32 v[2:3], 0x80000000
	scratch_store_b64 off, v[2:3], s32 offset:708 ; 8-byte Folded Spill
	s_wait_xcnt 0x0
	s_and_saveexec_b32 s11, s1
	s_cbranch_execz .LBB232_513
; %bb.508:                              ;   in Loop: Header=BB232_10 Depth=1
	v_mov_b64_e32 v[4:5], 0x7f800001
	v_bfe_u32 v3, v0, 16, 7
	s_mov_b32 s15, exec_lo
	scratch_store_b64 off, v[4:5], s32 offset:708 ; 8-byte Folded Spill
	s_wait_xcnt 0x0
	v_cmpx_ne_u32_e32 0x7f, v3
	s_cbranch_execz .LBB232_512
; %bb.509:                              ;   in Loop: Header=BB232_10 Depth=1
	scratch_load_b64 v[6:7], off, s32 offset:192 th:TH_LOAD_LU ; 8-byte Folded Reload
	s_wait_loadcnt 0x0
	v_dual_lshrrev_b32 v2, 3, v3 :: v_dual_bitop2_b32 v6, 7, v1 bitop3:0x40
	s_mov_b32 s16, exec_lo
	s_wait_xcnt 0x0
	v_cmpx_gt_u32_e32 8, v3
; %bb.510:                              ;   in Loop: Header=BB232_10 Depth=1
	s_delay_alu instid0(VALU_DEP_2) | instskip(NEXT) | instid1(VALU_DEP_1)
	v_clz_i32_u32_e32 v2, v6
	v_min_u32_e32 v2, 32, v2
	s_delay_alu instid0(VALU_DEP_1) | instskip(NEXT) | instid1(VALU_DEP_1)
	v_subrev_nc_u32_e32 v3, 28, v2
	v_lshlrev_b64_e32 v[4:5], v3, v[6:7]
	s_delay_alu instid0(VALU_DEP_1)
	v_dual_sub_nc_u32 v2, 29, v2 :: v_dual_bitop2_b32 v6, 7, v4 bitop3:0x40
; %bb.511:                              ;   in Loop: Header=BB232_10 Depth=1
	s_or_b32 exec_lo, exec_lo, s16
	s_delay_alu instid0(VALU_DEP_1) | instskip(NEXT) | instid1(VALU_DEP_2)
	v_dual_lshlrev_b32 v1, 24, v1 :: v_dual_lshlrev_b32 v3, 20, v6
	v_lshl_add_u32 v2, v2, 23, 0x3c000000
	s_delay_alu instid0(VALU_DEP_2) | instskip(NEXT) | instid1(VALU_DEP_1)
	v_and_b32_e32 v1, 0x80000000, v1
	v_or3_b32 v6, v3, v1, v2
	v_mov_b32_e32 v1, v7
	s_clause 0x1
	scratch_store_b64 off, v[0:1], s32 offset:192
	scratch_store_b64 off, v[6:7], s32 offset:708
.LBB232_512:                            ;   in Loop: Header=BB232_10 Depth=1
	s_wait_xcnt 0x0
	s_or_b32 exec_lo, exec_lo, s15
.LBB232_513:                            ;   in Loop: Header=BB232_10 Depth=1
	s_delay_alu instid0(SALU_CYCLE_1)
	s_or_b32 exec_lo, exec_lo, s11
.LBB232_514:                            ;   in Loop: Header=BB232_10 Depth=1
	s_delay_alu instid0(SALU_CYCLE_1) | instskip(NEXT) | instid1(SALU_CYCLE_1)
	s_or_b32 exec_lo, exec_lo, s4
	s_mov_b32 s4, exec_lo
	v_cmpx_lt_u32_e32 0xffffff, v0
	s_cbranch_execz .LBB232_522
; %bb.515:                              ;   in Loop: Header=BB232_10 Depth=1
	v_mov_b64_e32 v[2:3], 0x8000000000000000
	v_lshrrev_b32_e32 v1, 24, v0
	s_mov_b32 s11, exec_lo
	scratch_store_b64 off, v[2:3], s32 offset:700 ; 8-byte Folded Spill
	s_wait_xcnt 0x0
	v_cmpx_ne_u32_e32 0x80, v1
	s_cbranch_execz .LBB232_521
; %bb.516:                              ;   in Loop: Header=BB232_10 Depth=1
	v_mov_b64_e32 v[4:5], 0x7f80000100000000
	v_bfe_u32 v2, v0, 24, 7
	s_mov_b32 s15, exec_lo
	scratch_store_b64 off, v[4:5], s32 offset:700 ; 8-byte Folded Spill
	s_wait_xcnt 0x0
	v_cmpx_ne_u32_e32 0x7f, v2
	s_cbranch_execz .LBB232_520
; %bb.517:                              ;   in Loop: Header=BB232_10 Depth=1
	scratch_load_b64 v[4:5], off, s32 offset:192 th:TH_LOAD_LU ; 8-byte Folded Reload
	s_wait_loadcnt 0x0
	v_dual_lshrrev_b32 v0, 3, v2 :: v_dual_bitop2_b32 v4, 7, v1 bitop3:0x40
	s_mov_b32 s16, exec_lo
	s_wait_xcnt 0x0
	v_cmpx_gt_u32_e32 8, v2
; %bb.518:                              ;   in Loop: Header=BB232_10 Depth=1
	s_delay_alu instid0(VALU_DEP_2) | instskip(NEXT) | instid1(VALU_DEP_1)
	v_clz_i32_u32_e32 v0, v4
	v_min_u32_e32 v0, 32, v0
	s_delay_alu instid0(VALU_DEP_1) | instskip(NEXT) | instid1(VALU_DEP_1)
	v_subrev_nc_u32_e32 v2, 28, v0
	v_lshlrev_b64_e32 v[2:3], v2, v[4:5]
	s_delay_alu instid0(VALU_DEP_1)
	v_dual_sub_nc_u32 v0, 29, v0 :: v_dual_bitop2_b32 v4, 7, v2 bitop3:0x40
; %bb.519:                              ;   in Loop: Header=BB232_10 Depth=1
	s_or_b32 exec_lo, exec_lo, s16
	s_delay_alu instid0(VALU_DEP_1) | instskip(NEXT) | instid1(VALU_DEP_2)
	v_dual_lshlrev_b32 v1, 24, v1 :: v_dual_lshlrev_b32 v2, 20, v4
	v_lshl_add_u32 v0, v0, 23, 0x3c000000
	s_delay_alu instid0(VALU_DEP_2) | instskip(NEXT) | instid1(VALU_DEP_1)
	v_and_b32_e32 v1, 0x80000000, v1
	v_or3_b32 v3, v2, v1, v0
	v_dual_mov_b32 v1, v5 :: v_dual_mov_b32 v2, v5
	s_clause 0x1
	scratch_store_b64 off, v[0:1], s32 offset:192
	scratch_store_b64 off, v[2:3], s32 offset:700
.LBB232_520:                            ;   in Loop: Header=BB232_10 Depth=1
	s_wait_xcnt 0x0
	s_or_b32 exec_lo, exec_lo, s15
.LBB232_521:                            ;   in Loop: Header=BB232_10 Depth=1
	s_delay_alu instid0(SALU_CYCLE_1)
	s_or_b32 exec_lo, exec_lo, s11
.LBB232_522:                            ;   in Loop: Header=BB232_10 Depth=1
	s_delay_alu instid0(SALU_CYCLE_1)
	s_or_b32 exec_lo, exec_lo, s4
	flat_load_b32 v0, v[66:67] offset:2048
	v_mov_b64_e32 v[2:3], 0
	s_mov_b32 s4, exec_lo
	scratch_store_b64 off, v[2:3], s32 offset:748 ; 8-byte Folded Spill
	s_wait_xcnt 0x0
	v_mov_b64_e32 v[2:3], 0
	scratch_store_b64 off, v[2:3], s32 offset:724 ; 8-byte Folded Spill
	s_wait_loadcnt_dscnt 0x0
	v_and_b32_e32 v1, 0xff, v0
	s_wait_xcnt 0x0
	s_delay_alu instid0(VALU_DEP_1)
	v_cmpx_ne_u16_e32 0, v1
	s_cbranch_execz .LBB232_530
; %bb.523:                              ;   in Loop: Header=BB232_10 Depth=1
	v_mov_b64_e32 v[2:3], 0x80000000
	s_mov_b32 s11, exec_lo
	scratch_store_b64 off, v[2:3], s32 offset:724 ; 8-byte Folded Spill
	s_wait_xcnt 0x0
	v_cmpx_ne_u16_e32 0x80, v1
	s_cbranch_execz .LBB232_529
; %bb.524:                              ;   in Loop: Header=BB232_10 Depth=1
	v_mov_b64_e32 v[4:5], 0x7f800001
	v_and_b32_e32 v2, 0x7f, v0
	s_mov_b32 s15, exec_lo
	scratch_store_b64 off, v[4:5], s32 offset:724 ; 8-byte Folded Spill
	s_wait_xcnt 0x0
	v_cmpx_ne_u32_e32 0x7f, v2
	s_cbranch_execz .LBB232_528
; %bb.525:                              ;   in Loop: Header=BB232_10 Depth=1
	scratch_load_b64 v[4:5], off, s32 offset:192 th:TH_LOAD_LU ; 8-byte Folded Reload
	s_wait_loadcnt 0x0
	v_dual_lshrrev_b32 v1, 3, v2 :: v_dual_bitop2_b32 v4, 7, v0 bitop3:0x40
	s_mov_b32 s16, exec_lo
	s_wait_xcnt 0x0
	v_cmpx_gt_u32_e32 8, v2
; %bb.526:                              ;   in Loop: Header=BB232_10 Depth=1
	s_delay_alu instid0(VALU_DEP_2) | instskip(NEXT) | instid1(VALU_DEP_1)
	v_clz_i32_u32_e32 v1, v4
	v_min_u32_e32 v1, 32, v1
	s_delay_alu instid0(VALU_DEP_1) | instskip(NEXT) | instid1(VALU_DEP_1)
	v_subrev_nc_u32_e32 v2, 28, v1
	v_lshlrev_b64_e32 v[2:3], v2, v[4:5]
	s_delay_alu instid0(VALU_DEP_1)
	v_dual_sub_nc_u32 v1, 29, v1 :: v_dual_bitop2_b32 v4, 7, v2 bitop3:0x40
; %bb.527:                              ;   in Loop: Header=BB232_10 Depth=1
	s_or_b32 exec_lo, exec_lo, s16
	v_lshlrev_b32_e32 v2, 24, v0
	s_delay_alu instid0(VALU_DEP_2) | instskip(NEXT) | instid1(VALU_DEP_3)
	v_lshlrev_b32_e32 v3, 20, v4
	v_lshl_add_u32 v1, v1, 23, 0x3c000000
	s_delay_alu instid0(VALU_DEP_3) | instskip(NEXT) | instid1(VALU_DEP_1)
	v_and_b32_e32 v2, 0x80000000, v2
	v_or3_b32 v4, v3, v2, v1
	v_mov_b32_e32 v1, v5
	s_clause 0x1
	scratch_store_b64 off, v[0:1], s32 offset:192
	scratch_store_b64 off, v[4:5], s32 offset:724
.LBB232_528:                            ;   in Loop: Header=BB232_10 Depth=1
	s_wait_xcnt 0x0
	s_or_b32 exec_lo, exec_lo, s15
.LBB232_529:                            ;   in Loop: Header=BB232_10 Depth=1
	s_delay_alu instid0(SALU_CYCLE_1)
	s_or_b32 exec_lo, exec_lo, s11
.LBB232_530:                            ;   in Loop: Header=BB232_10 Depth=1
	s_delay_alu instid0(SALU_CYCLE_1) | instskip(SKIP_2) | instid1(VALU_DEP_1)
	s_or_b32 exec_lo, exec_lo, s4
	v_lshrrev_b16 v1, 8, v0
	s_mov_b32 s4, exec_lo
	v_cmpx_ne_u16_e32 0, v1
	s_cbranch_execz .LBB232_538
; %bb.531:                              ;   in Loop: Header=BB232_10 Depth=1
	v_mov_b64_e32 v[2:3], 0x8000000000000000
	s_mov_b32 s11, exec_lo
	scratch_store_b64 off, v[2:3], s32 offset:748 ; 8-byte Folded Spill
	s_wait_xcnt 0x0
	v_cmpx_ne_u16_e32 0x80, v1
	s_cbranch_execz .LBB232_537
; %bb.532:                              ;   in Loop: Header=BB232_10 Depth=1
	v_and_b32_e32 v1, 0xffff, v1
	v_mov_b64_e32 v[4:5], 0x7f80000100000000
	s_mov_b32 s15, exec_lo
	s_delay_alu instid0(VALU_DEP_2)
	v_and_b32_e32 v2, 0x7f, v1
	scratch_store_b64 off, v[4:5], s32 offset:748 ; 8-byte Folded Spill
	s_wait_xcnt 0x0
	v_cmpx_ne_u32_e32 0x7f, v2
	s_cbranch_execz .LBB232_536
; %bb.533:                              ;   in Loop: Header=BB232_10 Depth=1
	scratch_load_b64 v[4:5], off, s32 offset:192 th:TH_LOAD_LU ; 8-byte Folded Reload
	s_wait_loadcnt 0x0
	v_dual_lshrrev_b32 v1, 3, v2 :: v_dual_bitop2_b32 v4, 7, v1 bitop3:0x40
	s_mov_b32 s16, exec_lo
	s_wait_xcnt 0x0
	v_cmpx_gt_u32_e32 8, v2
; %bb.534:                              ;   in Loop: Header=BB232_10 Depth=1
	s_delay_alu instid0(VALU_DEP_2) | instskip(NEXT) | instid1(VALU_DEP_1)
	v_clz_i32_u32_e32 v1, v4
	v_min_u32_e32 v1, 32, v1
	s_delay_alu instid0(VALU_DEP_1) | instskip(NEXT) | instid1(VALU_DEP_1)
	v_subrev_nc_u32_e32 v2, 28, v1
	v_lshlrev_b64_e32 v[2:3], v2, v[4:5]
	s_delay_alu instid0(VALU_DEP_1)
	v_dual_sub_nc_u32 v1, 29, v1 :: v_dual_bitop2_b32 v4, 7, v2 bitop3:0x40
; %bb.535:                              ;   in Loop: Header=BB232_10 Depth=1
	s_or_b32 exec_lo, exec_lo, s16
	v_lshlrev_b32_e32 v2, 16, v0
	s_delay_alu instid0(VALU_DEP_2) | instskip(NEXT) | instid1(VALU_DEP_3)
	v_lshlrev_b32_e32 v3, 20, v4
	v_lshl_add_u32 v1, v1, 23, 0x3c000000
	s_delay_alu instid0(VALU_DEP_3) | instskip(NEXT) | instid1(VALU_DEP_1)
	v_and_b32_e32 v2, 0x80000000, v2
	v_or3_b32 v3, v3, v2, v1
	v_dual_mov_b32 v1, v5 :: v_dual_mov_b32 v2, v5
	s_clause 0x1
	scratch_store_b64 off, v[0:1], s32 offset:192
	scratch_store_b64 off, v[2:3], s32 offset:748
.LBB232_536:                            ;   in Loop: Header=BB232_10 Depth=1
	s_wait_xcnt 0x0
	s_or_b32 exec_lo, exec_lo, s15
.LBB232_537:                            ;   in Loop: Header=BB232_10 Depth=1
	s_delay_alu instid0(SALU_CYCLE_1)
	s_or_b32 exec_lo, exec_lo, s11
.LBB232_538:                            ;   in Loop: Header=BB232_10 Depth=1
	s_delay_alu instid0(SALU_CYCLE_1) | instskip(SKIP_3) | instid1(VALU_DEP_1)
	s_or_b32 exec_lo, exec_lo, s4
	v_mov_b64_e32 v[4:5], 0
	v_lshrrev_b32_e32 v1, 16, v0
	s_mov_b32 s4, exec_lo
	v_and_b32_e32 v2, 0xff, v1
	scratch_store_b64 off, v[4:5], s32 offset:732 ; 8-byte Folded Spill
	s_wait_xcnt 0x0
	v_mov_b64_e32 v[4:5], 0
	scratch_store_b64 off, v[4:5], s32 offset:740 ; 8-byte Folded Spill
	s_wait_xcnt 0x0
	v_cmpx_ne_u16_e32 0, v2
	s_cbranch_execz .LBB232_546
; %bb.539:                              ;   in Loop: Header=BB232_10 Depth=1
	v_cmp_ne_u16_e64 s1, 0x80, v2
	v_mov_b64_e32 v[2:3], 0x80000000
	scratch_store_b64 off, v[2:3], s32 offset:740 ; 8-byte Folded Spill
	s_wait_xcnt 0x0
	s_and_saveexec_b32 s11, s1
	s_cbranch_execz .LBB232_545
; %bb.540:                              ;   in Loop: Header=BB232_10 Depth=1
	v_mov_b64_e32 v[4:5], 0x7f800001
	v_bfe_u32 v3, v0, 16, 7
	s_mov_b32 s15, exec_lo
	scratch_store_b64 off, v[4:5], s32 offset:740 ; 8-byte Folded Spill
	s_wait_xcnt 0x0
	v_cmpx_ne_u32_e32 0x7f, v3
	s_cbranch_execz .LBB232_544
; %bb.541:                              ;   in Loop: Header=BB232_10 Depth=1
	scratch_load_b64 v[6:7], off, s32 offset:192 th:TH_LOAD_LU ; 8-byte Folded Reload
	s_wait_loadcnt 0x0
	v_dual_lshrrev_b32 v2, 3, v3 :: v_dual_bitop2_b32 v6, 7, v1 bitop3:0x40
	s_mov_b32 s16, exec_lo
	s_wait_xcnt 0x0
	v_cmpx_gt_u32_e32 8, v3
; %bb.542:                              ;   in Loop: Header=BB232_10 Depth=1
	s_delay_alu instid0(VALU_DEP_2) | instskip(NEXT) | instid1(VALU_DEP_1)
	v_clz_i32_u32_e32 v2, v6
	v_min_u32_e32 v2, 32, v2
	s_delay_alu instid0(VALU_DEP_1) | instskip(NEXT) | instid1(VALU_DEP_1)
	v_subrev_nc_u32_e32 v3, 28, v2
	v_lshlrev_b64_e32 v[4:5], v3, v[6:7]
	s_delay_alu instid0(VALU_DEP_1)
	v_dual_sub_nc_u32 v2, 29, v2 :: v_dual_bitop2_b32 v6, 7, v4 bitop3:0x40
; %bb.543:                              ;   in Loop: Header=BB232_10 Depth=1
	s_or_b32 exec_lo, exec_lo, s16
	s_delay_alu instid0(VALU_DEP_1) | instskip(NEXT) | instid1(VALU_DEP_2)
	v_dual_lshlrev_b32 v1, 24, v1 :: v_dual_lshlrev_b32 v3, 20, v6
	v_lshl_add_u32 v2, v2, 23, 0x3c000000
	s_delay_alu instid0(VALU_DEP_2) | instskip(NEXT) | instid1(VALU_DEP_1)
	v_and_b32_e32 v1, 0x80000000, v1
	v_or3_b32 v6, v3, v1, v2
	v_mov_b32_e32 v1, v7
	s_clause 0x1
	scratch_store_b64 off, v[0:1], s32 offset:192
	scratch_store_b64 off, v[6:7], s32 offset:740
.LBB232_544:                            ;   in Loop: Header=BB232_10 Depth=1
	s_wait_xcnt 0x0
	s_or_b32 exec_lo, exec_lo, s15
.LBB232_545:                            ;   in Loop: Header=BB232_10 Depth=1
	s_delay_alu instid0(SALU_CYCLE_1)
	s_or_b32 exec_lo, exec_lo, s11
.LBB232_546:                            ;   in Loop: Header=BB232_10 Depth=1
	s_delay_alu instid0(SALU_CYCLE_1) | instskip(NEXT) | instid1(SALU_CYCLE_1)
	s_or_b32 exec_lo, exec_lo, s4
	s_mov_b32 s4, exec_lo
	v_cmpx_lt_u32_e32 0xffffff, v0
	s_cbranch_execz .LBB232_554
; %bb.547:                              ;   in Loop: Header=BB232_10 Depth=1
	v_mov_b64_e32 v[2:3], 0x8000000000000000
	v_lshrrev_b32_e32 v1, 24, v0
	s_mov_b32 s11, exec_lo
	scratch_store_b64 off, v[2:3], s32 offset:732 ; 8-byte Folded Spill
	s_wait_xcnt 0x0
	v_cmpx_ne_u32_e32 0x80, v1
	s_cbranch_execz .LBB232_553
; %bb.548:                              ;   in Loop: Header=BB232_10 Depth=1
	v_mov_b64_e32 v[4:5], 0x7f80000100000000
	v_bfe_u32 v2, v0, 24, 7
	s_mov_b32 s15, exec_lo
	scratch_store_b64 off, v[4:5], s32 offset:732 ; 8-byte Folded Spill
	s_wait_xcnt 0x0
	v_cmpx_ne_u32_e32 0x7f, v2
	s_cbranch_execz .LBB232_552
; %bb.549:                              ;   in Loop: Header=BB232_10 Depth=1
	scratch_load_b64 v[4:5], off, s32 offset:192 th:TH_LOAD_LU ; 8-byte Folded Reload
	s_wait_loadcnt 0x0
	v_dual_lshrrev_b32 v0, 3, v2 :: v_dual_bitop2_b32 v4, 7, v1 bitop3:0x40
	s_mov_b32 s16, exec_lo
	s_wait_xcnt 0x0
	v_cmpx_gt_u32_e32 8, v2
; %bb.550:                              ;   in Loop: Header=BB232_10 Depth=1
	s_delay_alu instid0(VALU_DEP_2) | instskip(NEXT) | instid1(VALU_DEP_1)
	v_clz_i32_u32_e32 v0, v4
	v_min_u32_e32 v0, 32, v0
	s_delay_alu instid0(VALU_DEP_1) | instskip(NEXT) | instid1(VALU_DEP_1)
	v_subrev_nc_u32_e32 v2, 28, v0
	v_lshlrev_b64_e32 v[2:3], v2, v[4:5]
	s_delay_alu instid0(VALU_DEP_1)
	v_dual_sub_nc_u32 v0, 29, v0 :: v_dual_bitop2_b32 v4, 7, v2 bitop3:0x40
; %bb.551:                              ;   in Loop: Header=BB232_10 Depth=1
	s_or_b32 exec_lo, exec_lo, s16
	s_delay_alu instid0(VALU_DEP_1) | instskip(NEXT) | instid1(VALU_DEP_2)
	v_dual_lshlrev_b32 v1, 24, v1 :: v_dual_lshlrev_b32 v2, 20, v4
	v_lshl_add_u32 v0, v0, 23, 0x3c000000
	s_delay_alu instid0(VALU_DEP_2) | instskip(NEXT) | instid1(VALU_DEP_1)
	v_and_b32_e32 v1, 0x80000000, v1
	v_or3_b32 v3, v2, v1, v0
	v_dual_mov_b32 v1, v5 :: v_dual_mov_b32 v2, v5
	s_clause 0x1
	scratch_store_b64 off, v[0:1], s32 offset:192
	scratch_store_b64 off, v[2:3], s32 offset:732
.LBB232_552:                            ;   in Loop: Header=BB232_10 Depth=1
	s_wait_xcnt 0x0
	s_or_b32 exec_lo, exec_lo, s15
.LBB232_553:                            ;   in Loop: Header=BB232_10 Depth=1
	s_delay_alu instid0(SALU_CYCLE_1)
	s_or_b32 exec_lo, exec_lo, s11
.LBB232_554:                            ;   in Loop: Header=BB232_10 Depth=1
	s_delay_alu instid0(SALU_CYCLE_1)
	s_or_b32 exec_lo, exec_lo, s4
	flat_load_b32 v0, v[66:67] offset:2052
	v_mov_b64_e32 v[2:3], 0
	s_mov_b32 s4, exec_lo
	scratch_store_b64 off, v[2:3], s32 offset:780 ; 8-byte Folded Spill
	s_wait_xcnt 0x0
	v_mov_b64_e32 v[2:3], 0
	scratch_store_b64 off, v[2:3], s32 offset:756 ; 8-byte Folded Spill
	s_wait_loadcnt_dscnt 0x0
	v_and_b32_e32 v1, 0xff, v0
	s_wait_xcnt 0x0
	s_delay_alu instid0(VALU_DEP_1)
	v_cmpx_ne_u16_e32 0, v1
	s_cbranch_execz .LBB232_562
; %bb.555:                              ;   in Loop: Header=BB232_10 Depth=1
	v_mov_b64_e32 v[2:3], 0x80000000
	s_mov_b32 s11, exec_lo
	scratch_store_b64 off, v[2:3], s32 offset:756 ; 8-byte Folded Spill
	s_wait_xcnt 0x0
	v_cmpx_ne_u16_e32 0x80, v1
	s_cbranch_execz .LBB232_561
; %bb.556:                              ;   in Loop: Header=BB232_10 Depth=1
	v_mov_b64_e32 v[4:5], 0x7f800001
	v_and_b32_e32 v2, 0x7f, v0
	s_mov_b32 s15, exec_lo
	scratch_store_b64 off, v[4:5], s32 offset:756 ; 8-byte Folded Spill
	s_wait_xcnt 0x0
	v_cmpx_ne_u32_e32 0x7f, v2
	s_cbranch_execz .LBB232_560
; %bb.557:                              ;   in Loop: Header=BB232_10 Depth=1
	scratch_load_b64 v[4:5], off, s32 offset:192 th:TH_LOAD_LU ; 8-byte Folded Reload
	s_wait_loadcnt 0x0
	v_dual_lshrrev_b32 v1, 3, v2 :: v_dual_bitop2_b32 v4, 7, v0 bitop3:0x40
	s_mov_b32 s16, exec_lo
	s_wait_xcnt 0x0
	v_cmpx_gt_u32_e32 8, v2
; %bb.558:                              ;   in Loop: Header=BB232_10 Depth=1
	s_delay_alu instid0(VALU_DEP_2) | instskip(NEXT) | instid1(VALU_DEP_1)
	v_clz_i32_u32_e32 v1, v4
	v_min_u32_e32 v1, 32, v1
	s_delay_alu instid0(VALU_DEP_1) | instskip(NEXT) | instid1(VALU_DEP_1)
	v_subrev_nc_u32_e32 v2, 28, v1
	v_lshlrev_b64_e32 v[2:3], v2, v[4:5]
	s_delay_alu instid0(VALU_DEP_1)
	v_dual_sub_nc_u32 v1, 29, v1 :: v_dual_bitop2_b32 v4, 7, v2 bitop3:0x40
; %bb.559:                              ;   in Loop: Header=BB232_10 Depth=1
	s_or_b32 exec_lo, exec_lo, s16
	v_lshlrev_b32_e32 v2, 24, v0
	s_delay_alu instid0(VALU_DEP_2) | instskip(NEXT) | instid1(VALU_DEP_3)
	v_lshlrev_b32_e32 v3, 20, v4
	v_lshl_add_u32 v1, v1, 23, 0x3c000000
	s_delay_alu instid0(VALU_DEP_3) | instskip(NEXT) | instid1(VALU_DEP_1)
	v_and_b32_e32 v2, 0x80000000, v2
	v_or3_b32 v4, v3, v2, v1
	v_mov_b32_e32 v1, v5
	s_clause 0x1
	scratch_store_b64 off, v[0:1], s32 offset:192
	scratch_store_b64 off, v[4:5], s32 offset:756
.LBB232_560:                            ;   in Loop: Header=BB232_10 Depth=1
	s_wait_xcnt 0x0
	s_or_b32 exec_lo, exec_lo, s15
.LBB232_561:                            ;   in Loop: Header=BB232_10 Depth=1
	s_delay_alu instid0(SALU_CYCLE_1)
	s_or_b32 exec_lo, exec_lo, s11
.LBB232_562:                            ;   in Loop: Header=BB232_10 Depth=1
	s_delay_alu instid0(SALU_CYCLE_1) | instskip(SKIP_2) | instid1(VALU_DEP_1)
	s_or_b32 exec_lo, exec_lo, s4
	v_lshrrev_b16 v1, 8, v0
	s_mov_b32 s4, exec_lo
	v_cmpx_ne_u16_e32 0, v1
	s_cbranch_execz .LBB232_570
; %bb.563:                              ;   in Loop: Header=BB232_10 Depth=1
	v_mov_b64_e32 v[2:3], 0x8000000000000000
	s_mov_b32 s11, exec_lo
	scratch_store_b64 off, v[2:3], s32 offset:780 ; 8-byte Folded Spill
	s_wait_xcnt 0x0
	v_cmpx_ne_u16_e32 0x80, v1
	s_cbranch_execz .LBB232_569
; %bb.564:                              ;   in Loop: Header=BB232_10 Depth=1
	v_and_b32_e32 v1, 0xffff, v1
	v_mov_b64_e32 v[4:5], 0x7f80000100000000
	s_mov_b32 s15, exec_lo
	s_delay_alu instid0(VALU_DEP_2)
	v_and_b32_e32 v2, 0x7f, v1
	scratch_store_b64 off, v[4:5], s32 offset:780 ; 8-byte Folded Spill
	s_wait_xcnt 0x0
	v_cmpx_ne_u32_e32 0x7f, v2
	s_cbranch_execz .LBB232_568
; %bb.565:                              ;   in Loop: Header=BB232_10 Depth=1
	scratch_load_b64 v[4:5], off, s32 offset:192 th:TH_LOAD_LU ; 8-byte Folded Reload
	s_wait_loadcnt 0x0
	v_dual_lshrrev_b32 v1, 3, v2 :: v_dual_bitop2_b32 v4, 7, v1 bitop3:0x40
	s_mov_b32 s16, exec_lo
	s_wait_xcnt 0x0
	v_cmpx_gt_u32_e32 8, v2
; %bb.566:                              ;   in Loop: Header=BB232_10 Depth=1
	s_delay_alu instid0(VALU_DEP_2) | instskip(NEXT) | instid1(VALU_DEP_1)
	v_clz_i32_u32_e32 v1, v4
	v_min_u32_e32 v1, 32, v1
	s_delay_alu instid0(VALU_DEP_1) | instskip(NEXT) | instid1(VALU_DEP_1)
	v_subrev_nc_u32_e32 v2, 28, v1
	v_lshlrev_b64_e32 v[2:3], v2, v[4:5]
	s_delay_alu instid0(VALU_DEP_1)
	v_dual_sub_nc_u32 v1, 29, v1 :: v_dual_bitop2_b32 v4, 7, v2 bitop3:0x40
; %bb.567:                              ;   in Loop: Header=BB232_10 Depth=1
	s_or_b32 exec_lo, exec_lo, s16
	v_lshlrev_b32_e32 v2, 16, v0
	s_delay_alu instid0(VALU_DEP_2) | instskip(NEXT) | instid1(VALU_DEP_3)
	v_lshlrev_b32_e32 v3, 20, v4
	v_lshl_add_u32 v1, v1, 23, 0x3c000000
	s_delay_alu instid0(VALU_DEP_3) | instskip(NEXT) | instid1(VALU_DEP_1)
	v_and_b32_e32 v2, 0x80000000, v2
	v_or3_b32 v3, v3, v2, v1
	v_dual_mov_b32 v1, v5 :: v_dual_mov_b32 v2, v5
	s_clause 0x1
	scratch_store_b64 off, v[0:1], s32 offset:192
	scratch_store_b64 off, v[2:3], s32 offset:780
.LBB232_568:                            ;   in Loop: Header=BB232_10 Depth=1
	s_wait_xcnt 0x0
	s_or_b32 exec_lo, exec_lo, s15
.LBB232_569:                            ;   in Loop: Header=BB232_10 Depth=1
	s_delay_alu instid0(SALU_CYCLE_1)
	s_or_b32 exec_lo, exec_lo, s11
.LBB232_570:                            ;   in Loop: Header=BB232_10 Depth=1
	s_delay_alu instid0(SALU_CYCLE_1) | instskip(SKIP_3) | instid1(VALU_DEP_1)
	s_or_b32 exec_lo, exec_lo, s4
	v_mov_b64_e32 v[4:5], 0
	v_lshrrev_b32_e32 v1, 16, v0
	s_mov_b32 s4, exec_lo
	v_and_b32_e32 v2, 0xff, v1
	scratch_store_b64 off, v[4:5], s32 offset:764 ; 8-byte Folded Spill
	s_wait_xcnt 0x0
	v_mov_b64_e32 v[4:5], 0
	scratch_store_b64 off, v[4:5], s32 offset:772 ; 8-byte Folded Spill
	s_wait_xcnt 0x0
	v_cmpx_ne_u16_e32 0, v2
	s_cbranch_execz .LBB232_578
; %bb.571:                              ;   in Loop: Header=BB232_10 Depth=1
	v_cmp_ne_u16_e64 s1, 0x80, v2
	v_mov_b64_e32 v[2:3], 0x80000000
	scratch_store_b64 off, v[2:3], s32 offset:772 ; 8-byte Folded Spill
	s_wait_xcnt 0x0
	s_and_saveexec_b32 s11, s1
	s_cbranch_execz .LBB232_577
; %bb.572:                              ;   in Loop: Header=BB232_10 Depth=1
	v_mov_b64_e32 v[4:5], 0x7f800001
	v_bfe_u32 v3, v0, 16, 7
	s_mov_b32 s15, exec_lo
	scratch_store_b64 off, v[4:5], s32 offset:772 ; 8-byte Folded Spill
	s_wait_xcnt 0x0
	v_cmpx_ne_u32_e32 0x7f, v3
	s_cbranch_execz .LBB232_576
; %bb.573:                              ;   in Loop: Header=BB232_10 Depth=1
	scratch_load_b64 v[6:7], off, s32 offset:192 th:TH_LOAD_LU ; 8-byte Folded Reload
	s_wait_loadcnt 0x0
	v_dual_lshrrev_b32 v2, 3, v3 :: v_dual_bitop2_b32 v6, 7, v1 bitop3:0x40
	s_mov_b32 s16, exec_lo
	s_wait_xcnt 0x0
	v_cmpx_gt_u32_e32 8, v3
; %bb.574:                              ;   in Loop: Header=BB232_10 Depth=1
	s_delay_alu instid0(VALU_DEP_2) | instskip(NEXT) | instid1(VALU_DEP_1)
	v_clz_i32_u32_e32 v2, v6
	v_min_u32_e32 v2, 32, v2
	s_delay_alu instid0(VALU_DEP_1) | instskip(NEXT) | instid1(VALU_DEP_1)
	v_subrev_nc_u32_e32 v3, 28, v2
	v_lshlrev_b64_e32 v[4:5], v3, v[6:7]
	s_delay_alu instid0(VALU_DEP_1)
	v_dual_sub_nc_u32 v2, 29, v2 :: v_dual_bitop2_b32 v6, 7, v4 bitop3:0x40
; %bb.575:                              ;   in Loop: Header=BB232_10 Depth=1
	s_or_b32 exec_lo, exec_lo, s16
	s_delay_alu instid0(VALU_DEP_1) | instskip(NEXT) | instid1(VALU_DEP_2)
	v_dual_lshlrev_b32 v1, 24, v1 :: v_dual_lshlrev_b32 v3, 20, v6
	v_lshl_add_u32 v2, v2, 23, 0x3c000000
	s_delay_alu instid0(VALU_DEP_2) | instskip(NEXT) | instid1(VALU_DEP_1)
	v_and_b32_e32 v1, 0x80000000, v1
	v_or3_b32 v6, v3, v1, v2
	v_mov_b32_e32 v1, v7
	s_clause 0x1
	scratch_store_b64 off, v[0:1], s32 offset:192
	scratch_store_b64 off, v[6:7], s32 offset:772
.LBB232_576:                            ;   in Loop: Header=BB232_10 Depth=1
	s_wait_xcnt 0x0
	s_or_b32 exec_lo, exec_lo, s15
.LBB232_577:                            ;   in Loop: Header=BB232_10 Depth=1
	s_delay_alu instid0(SALU_CYCLE_1)
	s_or_b32 exec_lo, exec_lo, s11
.LBB232_578:                            ;   in Loop: Header=BB232_10 Depth=1
	s_delay_alu instid0(SALU_CYCLE_1) | instskip(NEXT) | instid1(SALU_CYCLE_1)
	s_or_b32 exec_lo, exec_lo, s4
	s_mov_b32 s4, exec_lo
	v_cmpx_lt_u32_e32 0xffffff, v0
	s_cbranch_execz .LBB232_586
; %bb.579:                              ;   in Loop: Header=BB232_10 Depth=1
	v_mov_b64_e32 v[2:3], 0x8000000000000000
	v_lshrrev_b32_e32 v1, 24, v0
	s_mov_b32 s11, exec_lo
	scratch_store_b64 off, v[2:3], s32 offset:764 ; 8-byte Folded Spill
	s_wait_xcnt 0x0
	v_cmpx_ne_u32_e32 0x80, v1
	s_cbranch_execz .LBB232_585
; %bb.580:                              ;   in Loop: Header=BB232_10 Depth=1
	v_mov_b64_e32 v[4:5], 0x7f80000100000000
	v_bfe_u32 v2, v0, 24, 7
	s_mov_b32 s15, exec_lo
	scratch_store_b64 off, v[4:5], s32 offset:764 ; 8-byte Folded Spill
	s_wait_xcnt 0x0
	v_cmpx_ne_u32_e32 0x7f, v2
	s_cbranch_execz .LBB232_584
; %bb.581:                              ;   in Loop: Header=BB232_10 Depth=1
	scratch_load_b64 v[4:5], off, s32 offset:192 th:TH_LOAD_LU ; 8-byte Folded Reload
	s_wait_loadcnt 0x0
	v_dual_lshrrev_b32 v0, 3, v2 :: v_dual_bitop2_b32 v4, 7, v1 bitop3:0x40
	s_mov_b32 s16, exec_lo
	s_wait_xcnt 0x0
	v_cmpx_gt_u32_e32 8, v2
; %bb.582:                              ;   in Loop: Header=BB232_10 Depth=1
	s_delay_alu instid0(VALU_DEP_2) | instskip(NEXT) | instid1(VALU_DEP_1)
	v_clz_i32_u32_e32 v0, v4
	v_min_u32_e32 v0, 32, v0
	s_delay_alu instid0(VALU_DEP_1) | instskip(NEXT) | instid1(VALU_DEP_1)
	v_subrev_nc_u32_e32 v2, 28, v0
	v_lshlrev_b64_e32 v[2:3], v2, v[4:5]
	s_delay_alu instid0(VALU_DEP_1)
	v_dual_sub_nc_u32 v0, 29, v0 :: v_dual_bitop2_b32 v4, 7, v2 bitop3:0x40
; %bb.583:                              ;   in Loop: Header=BB232_10 Depth=1
	s_or_b32 exec_lo, exec_lo, s16
	s_delay_alu instid0(VALU_DEP_1) | instskip(NEXT) | instid1(VALU_DEP_2)
	v_dual_lshlrev_b32 v1, 24, v1 :: v_dual_lshlrev_b32 v2, 20, v4
	v_lshl_add_u32 v0, v0, 23, 0x3c000000
	s_delay_alu instid0(VALU_DEP_2) | instskip(NEXT) | instid1(VALU_DEP_1)
	v_and_b32_e32 v1, 0x80000000, v1
	v_or3_b32 v3, v2, v1, v0
	v_dual_mov_b32 v1, v5 :: v_dual_mov_b32 v2, v5
	s_clause 0x1
	scratch_store_b64 off, v[0:1], s32 offset:192
	scratch_store_b64 off, v[2:3], s32 offset:764
.LBB232_584:                            ;   in Loop: Header=BB232_10 Depth=1
	s_wait_xcnt 0x0
	s_or_b32 exec_lo, exec_lo, s15
.LBB232_585:                            ;   in Loop: Header=BB232_10 Depth=1
	s_delay_alu instid0(SALU_CYCLE_1)
	s_or_b32 exec_lo, exec_lo, s11
.LBB232_586:                            ;   in Loop: Header=BB232_10 Depth=1
	s_delay_alu instid0(SALU_CYCLE_1)
	s_or_b32 exec_lo, exec_lo, s4
	flat_load_b32 v0, v[66:67] offset:2056
	v_mov_b64_e32 v[2:3], 0
	s_mov_b32 s4, exec_lo
	scratch_store_b64 off, v[2:3], s32 offset:812 ; 8-byte Folded Spill
	s_wait_xcnt 0x0
	v_mov_b64_e32 v[2:3], 0
	scratch_store_b64 off, v[2:3], s32 offset:788 ; 8-byte Folded Spill
	s_wait_loadcnt_dscnt 0x0
	v_and_b32_e32 v1, 0xff, v0
	s_wait_xcnt 0x0
	s_delay_alu instid0(VALU_DEP_1)
	v_cmpx_ne_u16_e32 0, v1
	s_cbranch_execz .LBB232_594
; %bb.587:                              ;   in Loop: Header=BB232_10 Depth=1
	v_mov_b64_e32 v[2:3], 0x80000000
	s_mov_b32 s11, exec_lo
	scratch_store_b64 off, v[2:3], s32 offset:788 ; 8-byte Folded Spill
	s_wait_xcnt 0x0
	v_cmpx_ne_u16_e32 0x80, v1
	s_cbranch_execz .LBB232_593
; %bb.588:                              ;   in Loop: Header=BB232_10 Depth=1
	v_mov_b64_e32 v[4:5], 0x7f800001
	v_and_b32_e32 v2, 0x7f, v0
	s_mov_b32 s15, exec_lo
	scratch_store_b64 off, v[4:5], s32 offset:788 ; 8-byte Folded Spill
	s_wait_xcnt 0x0
	v_cmpx_ne_u32_e32 0x7f, v2
	s_cbranch_execz .LBB232_592
; %bb.589:                              ;   in Loop: Header=BB232_10 Depth=1
	scratch_load_b64 v[4:5], off, s32 offset:192 th:TH_LOAD_LU ; 8-byte Folded Reload
	s_wait_loadcnt 0x0
	v_dual_lshrrev_b32 v1, 3, v2 :: v_dual_bitop2_b32 v4, 7, v0 bitop3:0x40
	s_mov_b32 s16, exec_lo
	s_wait_xcnt 0x0
	v_cmpx_gt_u32_e32 8, v2
; %bb.590:                              ;   in Loop: Header=BB232_10 Depth=1
	s_delay_alu instid0(VALU_DEP_2) | instskip(NEXT) | instid1(VALU_DEP_1)
	v_clz_i32_u32_e32 v1, v4
	v_min_u32_e32 v1, 32, v1
	s_delay_alu instid0(VALU_DEP_1) | instskip(NEXT) | instid1(VALU_DEP_1)
	v_subrev_nc_u32_e32 v2, 28, v1
	v_lshlrev_b64_e32 v[2:3], v2, v[4:5]
	s_delay_alu instid0(VALU_DEP_1)
	v_dual_sub_nc_u32 v1, 29, v1 :: v_dual_bitop2_b32 v4, 7, v2 bitop3:0x40
; %bb.591:                              ;   in Loop: Header=BB232_10 Depth=1
	s_or_b32 exec_lo, exec_lo, s16
	v_lshlrev_b32_e32 v2, 24, v0
	s_delay_alu instid0(VALU_DEP_2) | instskip(NEXT) | instid1(VALU_DEP_3)
	v_lshlrev_b32_e32 v3, 20, v4
	v_lshl_add_u32 v1, v1, 23, 0x3c000000
	s_delay_alu instid0(VALU_DEP_3) | instskip(NEXT) | instid1(VALU_DEP_1)
	v_and_b32_e32 v2, 0x80000000, v2
	v_or3_b32 v4, v3, v2, v1
	v_mov_b32_e32 v1, v5
	s_clause 0x1
	scratch_store_b64 off, v[0:1], s32 offset:192
	scratch_store_b64 off, v[4:5], s32 offset:788
.LBB232_592:                            ;   in Loop: Header=BB232_10 Depth=1
	s_wait_xcnt 0x0
	s_or_b32 exec_lo, exec_lo, s15
.LBB232_593:                            ;   in Loop: Header=BB232_10 Depth=1
	s_delay_alu instid0(SALU_CYCLE_1)
	s_or_b32 exec_lo, exec_lo, s11
.LBB232_594:                            ;   in Loop: Header=BB232_10 Depth=1
	s_delay_alu instid0(SALU_CYCLE_1) | instskip(SKIP_2) | instid1(VALU_DEP_1)
	s_or_b32 exec_lo, exec_lo, s4
	v_lshrrev_b16 v1, 8, v0
	s_mov_b32 s4, exec_lo
	v_cmpx_ne_u16_e32 0, v1
	s_cbranch_execz .LBB232_602
; %bb.595:                              ;   in Loop: Header=BB232_10 Depth=1
	v_mov_b64_e32 v[2:3], 0x8000000000000000
	s_mov_b32 s11, exec_lo
	scratch_store_b64 off, v[2:3], s32 offset:812 ; 8-byte Folded Spill
	s_wait_xcnt 0x0
	v_cmpx_ne_u16_e32 0x80, v1
	s_cbranch_execz .LBB232_601
; %bb.596:                              ;   in Loop: Header=BB232_10 Depth=1
	v_and_b32_e32 v1, 0xffff, v1
	v_mov_b64_e32 v[4:5], 0x7f80000100000000
	s_mov_b32 s15, exec_lo
	s_delay_alu instid0(VALU_DEP_2)
	v_and_b32_e32 v2, 0x7f, v1
	scratch_store_b64 off, v[4:5], s32 offset:812 ; 8-byte Folded Spill
	s_wait_xcnt 0x0
	v_cmpx_ne_u32_e32 0x7f, v2
	s_cbranch_execz .LBB232_600
; %bb.597:                              ;   in Loop: Header=BB232_10 Depth=1
	scratch_load_b64 v[4:5], off, s32 offset:192 th:TH_LOAD_LU ; 8-byte Folded Reload
	s_wait_loadcnt 0x0
	v_dual_lshrrev_b32 v1, 3, v2 :: v_dual_bitop2_b32 v4, 7, v1 bitop3:0x40
	s_mov_b32 s16, exec_lo
	s_wait_xcnt 0x0
	v_cmpx_gt_u32_e32 8, v2
; %bb.598:                              ;   in Loop: Header=BB232_10 Depth=1
	s_delay_alu instid0(VALU_DEP_2) | instskip(NEXT) | instid1(VALU_DEP_1)
	v_clz_i32_u32_e32 v1, v4
	v_min_u32_e32 v1, 32, v1
	s_delay_alu instid0(VALU_DEP_1) | instskip(NEXT) | instid1(VALU_DEP_1)
	v_subrev_nc_u32_e32 v2, 28, v1
	v_lshlrev_b64_e32 v[2:3], v2, v[4:5]
	s_delay_alu instid0(VALU_DEP_1)
	v_dual_sub_nc_u32 v1, 29, v1 :: v_dual_bitop2_b32 v4, 7, v2 bitop3:0x40
; %bb.599:                              ;   in Loop: Header=BB232_10 Depth=1
	s_or_b32 exec_lo, exec_lo, s16
	v_lshlrev_b32_e32 v2, 16, v0
	s_delay_alu instid0(VALU_DEP_2) | instskip(NEXT) | instid1(VALU_DEP_3)
	v_lshlrev_b32_e32 v3, 20, v4
	v_lshl_add_u32 v1, v1, 23, 0x3c000000
	s_delay_alu instid0(VALU_DEP_3) | instskip(NEXT) | instid1(VALU_DEP_1)
	v_and_b32_e32 v2, 0x80000000, v2
	v_or3_b32 v3, v3, v2, v1
	v_dual_mov_b32 v1, v5 :: v_dual_mov_b32 v2, v5
	s_clause 0x1
	scratch_store_b64 off, v[0:1], s32 offset:192
	scratch_store_b64 off, v[2:3], s32 offset:812
.LBB232_600:                            ;   in Loop: Header=BB232_10 Depth=1
	s_wait_xcnt 0x0
	s_or_b32 exec_lo, exec_lo, s15
.LBB232_601:                            ;   in Loop: Header=BB232_10 Depth=1
	s_delay_alu instid0(SALU_CYCLE_1)
	s_or_b32 exec_lo, exec_lo, s11
.LBB232_602:                            ;   in Loop: Header=BB232_10 Depth=1
	s_delay_alu instid0(SALU_CYCLE_1) | instskip(SKIP_3) | instid1(VALU_DEP_1)
	s_or_b32 exec_lo, exec_lo, s4
	v_mov_b64_e32 v[4:5], 0
	v_lshrrev_b32_e32 v1, 16, v0
	s_mov_b32 s4, exec_lo
	v_and_b32_e32 v2, 0xff, v1
	scratch_store_b64 off, v[4:5], s32 offset:796 ; 8-byte Folded Spill
	s_wait_xcnt 0x0
	v_mov_b64_e32 v[4:5], 0
	scratch_store_b64 off, v[4:5], s32 offset:804 ; 8-byte Folded Spill
	s_wait_xcnt 0x0
	v_cmpx_ne_u16_e32 0, v2
	s_cbranch_execz .LBB232_610
; %bb.603:                              ;   in Loop: Header=BB232_10 Depth=1
	v_cmp_ne_u16_e64 s1, 0x80, v2
	v_mov_b64_e32 v[2:3], 0x80000000
	scratch_store_b64 off, v[2:3], s32 offset:804 ; 8-byte Folded Spill
	s_wait_xcnt 0x0
	s_and_saveexec_b32 s11, s1
	s_cbranch_execz .LBB232_609
; %bb.604:                              ;   in Loop: Header=BB232_10 Depth=1
	v_mov_b64_e32 v[4:5], 0x7f800001
	v_bfe_u32 v3, v0, 16, 7
	s_mov_b32 s15, exec_lo
	scratch_store_b64 off, v[4:5], s32 offset:804 ; 8-byte Folded Spill
	s_wait_xcnt 0x0
	v_cmpx_ne_u32_e32 0x7f, v3
	s_cbranch_execz .LBB232_608
; %bb.605:                              ;   in Loop: Header=BB232_10 Depth=1
	scratch_load_b64 v[6:7], off, s32 offset:192 th:TH_LOAD_LU ; 8-byte Folded Reload
	s_wait_loadcnt 0x0
	v_dual_lshrrev_b32 v2, 3, v3 :: v_dual_bitop2_b32 v6, 7, v1 bitop3:0x40
	s_mov_b32 s16, exec_lo
	s_wait_xcnt 0x0
	v_cmpx_gt_u32_e32 8, v3
; %bb.606:                              ;   in Loop: Header=BB232_10 Depth=1
	s_delay_alu instid0(VALU_DEP_2) | instskip(NEXT) | instid1(VALU_DEP_1)
	v_clz_i32_u32_e32 v2, v6
	v_min_u32_e32 v2, 32, v2
	s_delay_alu instid0(VALU_DEP_1) | instskip(NEXT) | instid1(VALU_DEP_1)
	v_subrev_nc_u32_e32 v3, 28, v2
	v_lshlrev_b64_e32 v[4:5], v3, v[6:7]
	s_delay_alu instid0(VALU_DEP_1)
	v_dual_sub_nc_u32 v2, 29, v2 :: v_dual_bitop2_b32 v6, 7, v4 bitop3:0x40
; %bb.607:                              ;   in Loop: Header=BB232_10 Depth=1
	s_or_b32 exec_lo, exec_lo, s16
	s_delay_alu instid0(VALU_DEP_1) | instskip(NEXT) | instid1(VALU_DEP_2)
	v_dual_lshlrev_b32 v1, 24, v1 :: v_dual_lshlrev_b32 v3, 20, v6
	v_lshl_add_u32 v2, v2, 23, 0x3c000000
	s_delay_alu instid0(VALU_DEP_2) | instskip(NEXT) | instid1(VALU_DEP_1)
	v_and_b32_e32 v1, 0x80000000, v1
	v_or3_b32 v6, v3, v1, v2
	v_mov_b32_e32 v1, v7
	s_clause 0x1
	scratch_store_b64 off, v[0:1], s32 offset:192
	scratch_store_b64 off, v[6:7], s32 offset:804
.LBB232_608:                            ;   in Loop: Header=BB232_10 Depth=1
	s_wait_xcnt 0x0
	s_or_b32 exec_lo, exec_lo, s15
.LBB232_609:                            ;   in Loop: Header=BB232_10 Depth=1
	s_delay_alu instid0(SALU_CYCLE_1)
	s_or_b32 exec_lo, exec_lo, s11
.LBB232_610:                            ;   in Loop: Header=BB232_10 Depth=1
	s_delay_alu instid0(SALU_CYCLE_1) | instskip(NEXT) | instid1(SALU_CYCLE_1)
	s_or_b32 exec_lo, exec_lo, s4
	s_mov_b32 s4, exec_lo
	v_cmpx_lt_u32_e32 0xffffff, v0
	s_cbranch_execz .LBB232_618
; %bb.611:                              ;   in Loop: Header=BB232_10 Depth=1
	v_mov_b64_e32 v[2:3], 0x8000000000000000
	v_lshrrev_b32_e32 v1, 24, v0
	s_mov_b32 s11, exec_lo
	scratch_store_b64 off, v[2:3], s32 offset:796 ; 8-byte Folded Spill
	s_wait_xcnt 0x0
	v_cmpx_ne_u32_e32 0x80, v1
	s_cbranch_execz .LBB232_617
; %bb.612:                              ;   in Loop: Header=BB232_10 Depth=1
	v_mov_b64_e32 v[4:5], 0x7f80000100000000
	v_bfe_u32 v2, v0, 24, 7
	s_mov_b32 s15, exec_lo
	scratch_store_b64 off, v[4:5], s32 offset:796 ; 8-byte Folded Spill
	s_wait_xcnt 0x0
	v_cmpx_ne_u32_e32 0x7f, v2
	s_cbranch_execz .LBB232_616
; %bb.613:                              ;   in Loop: Header=BB232_10 Depth=1
	scratch_load_b64 v[4:5], off, s32 offset:192 th:TH_LOAD_LU ; 8-byte Folded Reload
	s_wait_loadcnt 0x0
	v_dual_lshrrev_b32 v0, 3, v2 :: v_dual_bitop2_b32 v4, 7, v1 bitop3:0x40
	s_mov_b32 s16, exec_lo
	s_wait_xcnt 0x0
	v_cmpx_gt_u32_e32 8, v2
; %bb.614:                              ;   in Loop: Header=BB232_10 Depth=1
	s_delay_alu instid0(VALU_DEP_2) | instskip(NEXT) | instid1(VALU_DEP_1)
	v_clz_i32_u32_e32 v0, v4
	v_min_u32_e32 v0, 32, v0
	s_delay_alu instid0(VALU_DEP_1) | instskip(NEXT) | instid1(VALU_DEP_1)
	v_subrev_nc_u32_e32 v2, 28, v0
	v_lshlrev_b64_e32 v[2:3], v2, v[4:5]
	s_delay_alu instid0(VALU_DEP_1)
	v_dual_sub_nc_u32 v0, 29, v0 :: v_dual_bitop2_b32 v4, 7, v2 bitop3:0x40
; %bb.615:                              ;   in Loop: Header=BB232_10 Depth=1
	s_or_b32 exec_lo, exec_lo, s16
	s_delay_alu instid0(VALU_DEP_1) | instskip(NEXT) | instid1(VALU_DEP_2)
	v_dual_lshlrev_b32 v1, 24, v1 :: v_dual_lshlrev_b32 v2, 20, v4
	v_lshl_add_u32 v0, v0, 23, 0x3c000000
	s_delay_alu instid0(VALU_DEP_2) | instskip(NEXT) | instid1(VALU_DEP_1)
	v_and_b32_e32 v1, 0x80000000, v1
	v_or3_b32 v3, v2, v1, v0
	v_dual_mov_b32 v1, v5 :: v_dual_mov_b32 v2, v5
	s_clause 0x1
	scratch_store_b64 off, v[0:1], s32 offset:192
	scratch_store_b64 off, v[2:3], s32 offset:796
.LBB232_616:                            ;   in Loop: Header=BB232_10 Depth=1
	s_wait_xcnt 0x0
	s_or_b32 exec_lo, exec_lo, s15
.LBB232_617:                            ;   in Loop: Header=BB232_10 Depth=1
	s_delay_alu instid0(SALU_CYCLE_1)
	s_or_b32 exec_lo, exec_lo, s11
.LBB232_618:                            ;   in Loop: Header=BB232_10 Depth=1
	s_delay_alu instid0(SALU_CYCLE_1)
	s_or_b32 exec_lo, exec_lo, s4
	flat_load_b32 v0, v[66:67] offset:2060
	v_mov_b64_e32 v[2:3], 0
	s_mov_b32 s4, exec_lo
	scratch_store_b64 off, v[2:3], s32 offset:844 ; 8-byte Folded Spill
	s_wait_xcnt 0x0
	v_mov_b64_e32 v[2:3], 0
	scratch_store_b64 off, v[2:3], s32 offset:820 ; 8-byte Folded Spill
	s_wait_loadcnt_dscnt 0x0
	v_and_b32_e32 v1, 0xff, v0
	s_wait_xcnt 0x0
	s_delay_alu instid0(VALU_DEP_1)
	v_cmpx_ne_u16_e32 0, v1
	s_cbranch_execz .LBB232_626
; %bb.619:                              ;   in Loop: Header=BB232_10 Depth=1
	v_mov_b64_e32 v[2:3], 0x80000000
	s_mov_b32 s11, exec_lo
	scratch_store_b64 off, v[2:3], s32 offset:820 ; 8-byte Folded Spill
	s_wait_xcnt 0x0
	v_cmpx_ne_u16_e32 0x80, v1
	s_cbranch_execz .LBB232_625
; %bb.620:                              ;   in Loop: Header=BB232_10 Depth=1
	v_mov_b64_e32 v[4:5], 0x7f800001
	v_and_b32_e32 v2, 0x7f, v0
	s_mov_b32 s15, exec_lo
	scratch_store_b64 off, v[4:5], s32 offset:820 ; 8-byte Folded Spill
	s_wait_xcnt 0x0
	v_cmpx_ne_u32_e32 0x7f, v2
	s_cbranch_execz .LBB232_624
; %bb.621:                              ;   in Loop: Header=BB232_10 Depth=1
	scratch_load_b64 v[4:5], off, s32 offset:192 th:TH_LOAD_LU ; 8-byte Folded Reload
	s_wait_loadcnt 0x0
	v_dual_lshrrev_b32 v1, 3, v2 :: v_dual_bitop2_b32 v4, 7, v0 bitop3:0x40
	s_mov_b32 s16, exec_lo
	s_wait_xcnt 0x0
	v_cmpx_gt_u32_e32 8, v2
; %bb.622:                              ;   in Loop: Header=BB232_10 Depth=1
	s_delay_alu instid0(VALU_DEP_2) | instskip(NEXT) | instid1(VALU_DEP_1)
	v_clz_i32_u32_e32 v1, v4
	v_min_u32_e32 v1, 32, v1
	s_delay_alu instid0(VALU_DEP_1) | instskip(NEXT) | instid1(VALU_DEP_1)
	v_subrev_nc_u32_e32 v2, 28, v1
	v_lshlrev_b64_e32 v[2:3], v2, v[4:5]
	s_delay_alu instid0(VALU_DEP_1)
	v_dual_sub_nc_u32 v1, 29, v1 :: v_dual_bitop2_b32 v4, 7, v2 bitop3:0x40
; %bb.623:                              ;   in Loop: Header=BB232_10 Depth=1
	s_or_b32 exec_lo, exec_lo, s16
	v_lshlrev_b32_e32 v2, 24, v0
	s_delay_alu instid0(VALU_DEP_2) | instskip(NEXT) | instid1(VALU_DEP_3)
	v_lshlrev_b32_e32 v3, 20, v4
	v_lshl_add_u32 v1, v1, 23, 0x3c000000
	s_delay_alu instid0(VALU_DEP_3) | instskip(NEXT) | instid1(VALU_DEP_1)
	v_and_b32_e32 v2, 0x80000000, v2
	v_or3_b32 v4, v3, v2, v1
	v_mov_b32_e32 v1, v5
	s_clause 0x1
	scratch_store_b64 off, v[0:1], s32 offset:192
	scratch_store_b64 off, v[4:5], s32 offset:820
.LBB232_624:                            ;   in Loop: Header=BB232_10 Depth=1
	s_wait_xcnt 0x0
	s_or_b32 exec_lo, exec_lo, s15
.LBB232_625:                            ;   in Loop: Header=BB232_10 Depth=1
	s_delay_alu instid0(SALU_CYCLE_1)
	s_or_b32 exec_lo, exec_lo, s11
.LBB232_626:                            ;   in Loop: Header=BB232_10 Depth=1
	s_delay_alu instid0(SALU_CYCLE_1) | instskip(SKIP_2) | instid1(VALU_DEP_1)
	s_or_b32 exec_lo, exec_lo, s4
	v_lshrrev_b16 v1, 8, v0
	s_mov_b32 s4, exec_lo
	v_cmpx_ne_u16_e32 0, v1
	s_cbranch_execz .LBB232_634
; %bb.627:                              ;   in Loop: Header=BB232_10 Depth=1
	v_mov_b64_e32 v[2:3], 0x8000000000000000
	s_mov_b32 s11, exec_lo
	scratch_store_b64 off, v[2:3], s32 offset:844 ; 8-byte Folded Spill
	s_wait_xcnt 0x0
	v_cmpx_ne_u16_e32 0x80, v1
	s_cbranch_execz .LBB232_633
; %bb.628:                              ;   in Loop: Header=BB232_10 Depth=1
	v_and_b32_e32 v1, 0xffff, v1
	v_mov_b64_e32 v[4:5], 0x7f80000100000000
	s_mov_b32 s15, exec_lo
	s_delay_alu instid0(VALU_DEP_2)
	v_and_b32_e32 v2, 0x7f, v1
	scratch_store_b64 off, v[4:5], s32 offset:844 ; 8-byte Folded Spill
	s_wait_xcnt 0x0
	v_cmpx_ne_u32_e32 0x7f, v2
	s_cbranch_execz .LBB232_632
; %bb.629:                              ;   in Loop: Header=BB232_10 Depth=1
	scratch_load_b64 v[4:5], off, s32 offset:192 th:TH_LOAD_LU ; 8-byte Folded Reload
	s_wait_loadcnt 0x0
	v_dual_lshrrev_b32 v1, 3, v2 :: v_dual_bitop2_b32 v4, 7, v1 bitop3:0x40
	s_mov_b32 s16, exec_lo
	s_wait_xcnt 0x0
	v_cmpx_gt_u32_e32 8, v2
; %bb.630:                              ;   in Loop: Header=BB232_10 Depth=1
	s_delay_alu instid0(VALU_DEP_2) | instskip(NEXT) | instid1(VALU_DEP_1)
	v_clz_i32_u32_e32 v1, v4
	v_min_u32_e32 v1, 32, v1
	s_delay_alu instid0(VALU_DEP_1) | instskip(NEXT) | instid1(VALU_DEP_1)
	v_subrev_nc_u32_e32 v2, 28, v1
	v_lshlrev_b64_e32 v[2:3], v2, v[4:5]
	s_delay_alu instid0(VALU_DEP_1)
	v_dual_sub_nc_u32 v1, 29, v1 :: v_dual_bitop2_b32 v4, 7, v2 bitop3:0x40
; %bb.631:                              ;   in Loop: Header=BB232_10 Depth=1
	s_or_b32 exec_lo, exec_lo, s16
	v_lshlrev_b32_e32 v2, 16, v0
	s_delay_alu instid0(VALU_DEP_2) | instskip(NEXT) | instid1(VALU_DEP_3)
	v_lshlrev_b32_e32 v3, 20, v4
	v_lshl_add_u32 v1, v1, 23, 0x3c000000
	s_delay_alu instid0(VALU_DEP_3) | instskip(NEXT) | instid1(VALU_DEP_1)
	v_and_b32_e32 v2, 0x80000000, v2
	v_or3_b32 v3, v3, v2, v1
	v_dual_mov_b32 v1, v5 :: v_dual_mov_b32 v2, v5
	s_clause 0x1
	scratch_store_b64 off, v[0:1], s32 offset:192
	scratch_store_b64 off, v[2:3], s32 offset:844
.LBB232_632:                            ;   in Loop: Header=BB232_10 Depth=1
	s_wait_xcnt 0x0
	s_or_b32 exec_lo, exec_lo, s15
.LBB232_633:                            ;   in Loop: Header=BB232_10 Depth=1
	s_delay_alu instid0(SALU_CYCLE_1)
	s_or_b32 exec_lo, exec_lo, s11
.LBB232_634:                            ;   in Loop: Header=BB232_10 Depth=1
	s_delay_alu instid0(SALU_CYCLE_1) | instskip(SKIP_3) | instid1(VALU_DEP_1)
	s_or_b32 exec_lo, exec_lo, s4
	v_mov_b64_e32 v[4:5], 0
	v_lshrrev_b32_e32 v1, 16, v0
	s_mov_b32 s4, exec_lo
	v_and_b32_e32 v2, 0xff, v1
	scratch_store_b64 off, v[4:5], s32 offset:828 ; 8-byte Folded Spill
	s_wait_xcnt 0x0
	v_mov_b64_e32 v[4:5], 0
	scratch_store_b64 off, v[4:5], s32 offset:836 ; 8-byte Folded Spill
	s_wait_xcnt 0x0
	v_cmpx_ne_u16_e32 0, v2
	s_cbranch_execz .LBB232_642
; %bb.635:                              ;   in Loop: Header=BB232_10 Depth=1
	v_cmp_ne_u16_e64 s1, 0x80, v2
	v_mov_b64_e32 v[2:3], 0x80000000
	scratch_store_b64 off, v[2:3], s32 offset:836 ; 8-byte Folded Spill
	s_wait_xcnt 0x0
	s_and_saveexec_b32 s11, s1
	s_cbranch_execz .LBB232_641
; %bb.636:                              ;   in Loop: Header=BB232_10 Depth=1
	v_mov_b64_e32 v[4:5], 0x7f800001
	v_bfe_u32 v3, v0, 16, 7
	s_mov_b32 s15, exec_lo
	scratch_store_b64 off, v[4:5], s32 offset:836 ; 8-byte Folded Spill
	s_wait_xcnt 0x0
	v_cmpx_ne_u32_e32 0x7f, v3
	s_cbranch_execz .LBB232_640
; %bb.637:                              ;   in Loop: Header=BB232_10 Depth=1
	scratch_load_b64 v[6:7], off, s32 offset:192 th:TH_LOAD_LU ; 8-byte Folded Reload
	s_wait_loadcnt 0x0
	v_dual_lshrrev_b32 v2, 3, v3 :: v_dual_bitop2_b32 v6, 7, v1 bitop3:0x40
	s_mov_b32 s16, exec_lo
	s_wait_xcnt 0x0
	v_cmpx_gt_u32_e32 8, v3
; %bb.638:                              ;   in Loop: Header=BB232_10 Depth=1
	s_delay_alu instid0(VALU_DEP_2) | instskip(NEXT) | instid1(VALU_DEP_1)
	v_clz_i32_u32_e32 v2, v6
	v_min_u32_e32 v2, 32, v2
	s_delay_alu instid0(VALU_DEP_1) | instskip(NEXT) | instid1(VALU_DEP_1)
	v_subrev_nc_u32_e32 v3, 28, v2
	v_lshlrev_b64_e32 v[4:5], v3, v[6:7]
	s_delay_alu instid0(VALU_DEP_1)
	v_dual_sub_nc_u32 v2, 29, v2 :: v_dual_bitop2_b32 v6, 7, v4 bitop3:0x40
; %bb.639:                              ;   in Loop: Header=BB232_10 Depth=1
	s_or_b32 exec_lo, exec_lo, s16
	s_delay_alu instid0(VALU_DEP_1) | instskip(NEXT) | instid1(VALU_DEP_2)
	v_dual_lshlrev_b32 v1, 24, v1 :: v_dual_lshlrev_b32 v3, 20, v6
	v_lshl_add_u32 v2, v2, 23, 0x3c000000
	s_delay_alu instid0(VALU_DEP_2) | instskip(NEXT) | instid1(VALU_DEP_1)
	v_and_b32_e32 v1, 0x80000000, v1
	v_or3_b32 v6, v3, v1, v2
	v_mov_b32_e32 v1, v7
	s_clause 0x1
	scratch_store_b64 off, v[0:1], s32 offset:192
	scratch_store_b64 off, v[6:7], s32 offset:836
.LBB232_640:                            ;   in Loop: Header=BB232_10 Depth=1
	s_wait_xcnt 0x0
	s_or_b32 exec_lo, exec_lo, s15
.LBB232_641:                            ;   in Loop: Header=BB232_10 Depth=1
	s_delay_alu instid0(SALU_CYCLE_1)
	s_or_b32 exec_lo, exec_lo, s11
.LBB232_642:                            ;   in Loop: Header=BB232_10 Depth=1
	s_delay_alu instid0(SALU_CYCLE_1) | instskip(NEXT) | instid1(SALU_CYCLE_1)
	s_or_b32 exec_lo, exec_lo, s4
	s_mov_b32 s4, exec_lo
	v_cmpx_lt_u32_e32 0xffffff, v0
	s_cbranch_execz .LBB232_650
; %bb.643:                              ;   in Loop: Header=BB232_10 Depth=1
	v_mov_b64_e32 v[2:3], 0x8000000000000000
	v_lshrrev_b32_e32 v1, 24, v0
	s_mov_b32 s11, exec_lo
	scratch_store_b64 off, v[2:3], s32 offset:828 ; 8-byte Folded Spill
	s_wait_xcnt 0x0
	v_cmpx_ne_u32_e32 0x80, v1
	s_cbranch_execz .LBB232_649
; %bb.644:                              ;   in Loop: Header=BB232_10 Depth=1
	v_mov_b64_e32 v[4:5], 0x7f80000100000000
	v_bfe_u32 v2, v0, 24, 7
	s_mov_b32 s15, exec_lo
	scratch_store_b64 off, v[4:5], s32 offset:828 ; 8-byte Folded Spill
	s_wait_xcnt 0x0
	v_cmpx_ne_u32_e32 0x7f, v2
	s_cbranch_execz .LBB232_648
; %bb.645:                              ;   in Loop: Header=BB232_10 Depth=1
	scratch_load_b64 v[4:5], off, s32 offset:192 th:TH_LOAD_LU ; 8-byte Folded Reload
	s_wait_loadcnt 0x0
	v_dual_lshrrev_b32 v0, 3, v2 :: v_dual_bitop2_b32 v4, 7, v1 bitop3:0x40
	s_mov_b32 s16, exec_lo
	s_wait_xcnt 0x0
	v_cmpx_gt_u32_e32 8, v2
; %bb.646:                              ;   in Loop: Header=BB232_10 Depth=1
	s_delay_alu instid0(VALU_DEP_2) | instskip(NEXT) | instid1(VALU_DEP_1)
	v_clz_i32_u32_e32 v0, v4
	v_min_u32_e32 v0, 32, v0
	s_delay_alu instid0(VALU_DEP_1) | instskip(NEXT) | instid1(VALU_DEP_1)
	v_subrev_nc_u32_e32 v2, 28, v0
	v_lshlrev_b64_e32 v[2:3], v2, v[4:5]
	s_delay_alu instid0(VALU_DEP_1)
	v_dual_sub_nc_u32 v0, 29, v0 :: v_dual_bitop2_b32 v4, 7, v2 bitop3:0x40
; %bb.647:                              ;   in Loop: Header=BB232_10 Depth=1
	s_or_b32 exec_lo, exec_lo, s16
	s_delay_alu instid0(VALU_DEP_1) | instskip(NEXT) | instid1(VALU_DEP_2)
	v_dual_lshlrev_b32 v1, 24, v1 :: v_dual_lshlrev_b32 v2, 20, v4
	v_lshl_add_u32 v0, v0, 23, 0x3c000000
	s_delay_alu instid0(VALU_DEP_2) | instskip(NEXT) | instid1(VALU_DEP_1)
	v_and_b32_e32 v1, 0x80000000, v1
	v_or3_b32 v3, v2, v1, v0
	v_dual_mov_b32 v1, v5 :: v_dual_mov_b32 v2, v5
	s_clause 0x1
	scratch_store_b64 off, v[0:1], s32 offset:192
	scratch_store_b64 off, v[2:3], s32 offset:828
.LBB232_648:                            ;   in Loop: Header=BB232_10 Depth=1
	s_wait_xcnt 0x0
	s_or_b32 exec_lo, exec_lo, s15
.LBB232_649:                            ;   in Loop: Header=BB232_10 Depth=1
	s_delay_alu instid0(SALU_CYCLE_1)
	s_or_b32 exec_lo, exec_lo, s11
.LBB232_650:                            ;   in Loop: Header=BB232_10 Depth=1
	s_delay_alu instid0(SALU_CYCLE_1)
	s_or_b32 exec_lo, exec_lo, s4
	flat_load_b32 v0, v[66:67] offset:2560
	v_mov_b64_e32 v[2:3], 0
	s_mov_b32 s4, exec_lo
	scratch_store_b64 off, v[2:3], s32 offset:876 ; 8-byte Folded Spill
	s_wait_xcnt 0x0
	v_mov_b64_e32 v[2:3], 0
	scratch_store_b64 off, v[2:3], s32 offset:852 ; 8-byte Folded Spill
	s_wait_loadcnt_dscnt 0x0
	v_and_b32_e32 v1, 0xff, v0
	s_wait_xcnt 0x0
	s_delay_alu instid0(VALU_DEP_1)
	v_cmpx_ne_u16_e32 0, v1
	s_cbranch_execz .LBB232_658
; %bb.651:                              ;   in Loop: Header=BB232_10 Depth=1
	v_mov_b64_e32 v[2:3], 0x80000000
	s_mov_b32 s11, exec_lo
	scratch_store_b64 off, v[2:3], s32 offset:852 ; 8-byte Folded Spill
	s_wait_xcnt 0x0
	v_cmpx_ne_u16_e32 0x80, v1
	s_cbranch_execz .LBB232_657
; %bb.652:                              ;   in Loop: Header=BB232_10 Depth=1
	v_mov_b64_e32 v[4:5], 0x7f800001
	v_and_b32_e32 v2, 0x7f, v0
	s_mov_b32 s15, exec_lo
	scratch_store_b64 off, v[4:5], s32 offset:852 ; 8-byte Folded Spill
	s_wait_xcnt 0x0
	v_cmpx_ne_u32_e32 0x7f, v2
	s_cbranch_execz .LBB232_656
; %bb.653:                              ;   in Loop: Header=BB232_10 Depth=1
	scratch_load_b64 v[4:5], off, s32 offset:192 th:TH_LOAD_LU ; 8-byte Folded Reload
	s_wait_loadcnt 0x0
	v_dual_lshrrev_b32 v1, 3, v2 :: v_dual_bitop2_b32 v4, 7, v0 bitop3:0x40
	s_mov_b32 s16, exec_lo
	s_wait_xcnt 0x0
	v_cmpx_gt_u32_e32 8, v2
; %bb.654:                              ;   in Loop: Header=BB232_10 Depth=1
	s_delay_alu instid0(VALU_DEP_2) | instskip(NEXT) | instid1(VALU_DEP_1)
	v_clz_i32_u32_e32 v1, v4
	v_min_u32_e32 v1, 32, v1
	s_delay_alu instid0(VALU_DEP_1) | instskip(NEXT) | instid1(VALU_DEP_1)
	v_subrev_nc_u32_e32 v2, 28, v1
	v_lshlrev_b64_e32 v[2:3], v2, v[4:5]
	s_delay_alu instid0(VALU_DEP_1)
	v_dual_sub_nc_u32 v1, 29, v1 :: v_dual_bitop2_b32 v4, 7, v2 bitop3:0x40
; %bb.655:                              ;   in Loop: Header=BB232_10 Depth=1
	s_or_b32 exec_lo, exec_lo, s16
	v_lshlrev_b32_e32 v2, 24, v0
	s_delay_alu instid0(VALU_DEP_2) | instskip(NEXT) | instid1(VALU_DEP_3)
	v_lshlrev_b32_e32 v3, 20, v4
	v_lshl_add_u32 v1, v1, 23, 0x3c000000
	s_delay_alu instid0(VALU_DEP_3) | instskip(NEXT) | instid1(VALU_DEP_1)
	v_and_b32_e32 v2, 0x80000000, v2
	v_or3_b32 v4, v3, v2, v1
	v_mov_b32_e32 v1, v5
	s_clause 0x1
	scratch_store_b64 off, v[0:1], s32 offset:192
	scratch_store_b64 off, v[4:5], s32 offset:852
.LBB232_656:                            ;   in Loop: Header=BB232_10 Depth=1
	s_wait_xcnt 0x0
	s_or_b32 exec_lo, exec_lo, s15
.LBB232_657:                            ;   in Loop: Header=BB232_10 Depth=1
	s_delay_alu instid0(SALU_CYCLE_1)
	s_or_b32 exec_lo, exec_lo, s11
.LBB232_658:                            ;   in Loop: Header=BB232_10 Depth=1
	s_delay_alu instid0(SALU_CYCLE_1) | instskip(SKIP_2) | instid1(VALU_DEP_1)
	s_or_b32 exec_lo, exec_lo, s4
	v_lshrrev_b16 v1, 8, v0
	s_mov_b32 s4, exec_lo
	v_cmpx_ne_u16_e32 0, v1
	s_cbranch_execz .LBB232_666
; %bb.659:                              ;   in Loop: Header=BB232_10 Depth=1
	v_mov_b64_e32 v[2:3], 0x8000000000000000
	s_mov_b32 s11, exec_lo
	scratch_store_b64 off, v[2:3], s32 offset:876 ; 8-byte Folded Spill
	s_wait_xcnt 0x0
	v_cmpx_ne_u16_e32 0x80, v1
	s_cbranch_execz .LBB232_665
; %bb.660:                              ;   in Loop: Header=BB232_10 Depth=1
	v_and_b32_e32 v1, 0xffff, v1
	v_mov_b64_e32 v[4:5], 0x7f80000100000000
	s_mov_b32 s15, exec_lo
	s_delay_alu instid0(VALU_DEP_2)
	v_and_b32_e32 v2, 0x7f, v1
	scratch_store_b64 off, v[4:5], s32 offset:876 ; 8-byte Folded Spill
	s_wait_xcnt 0x0
	v_cmpx_ne_u32_e32 0x7f, v2
	s_cbranch_execz .LBB232_664
; %bb.661:                              ;   in Loop: Header=BB232_10 Depth=1
	scratch_load_b64 v[4:5], off, s32 offset:192 th:TH_LOAD_LU ; 8-byte Folded Reload
	s_wait_loadcnt 0x0
	v_dual_lshrrev_b32 v1, 3, v2 :: v_dual_bitop2_b32 v4, 7, v1 bitop3:0x40
	s_mov_b32 s16, exec_lo
	s_wait_xcnt 0x0
	v_cmpx_gt_u32_e32 8, v2
; %bb.662:                              ;   in Loop: Header=BB232_10 Depth=1
	s_delay_alu instid0(VALU_DEP_2) | instskip(NEXT) | instid1(VALU_DEP_1)
	v_clz_i32_u32_e32 v1, v4
	v_min_u32_e32 v1, 32, v1
	s_delay_alu instid0(VALU_DEP_1) | instskip(NEXT) | instid1(VALU_DEP_1)
	v_subrev_nc_u32_e32 v2, 28, v1
	v_lshlrev_b64_e32 v[2:3], v2, v[4:5]
	s_delay_alu instid0(VALU_DEP_1)
	v_dual_sub_nc_u32 v1, 29, v1 :: v_dual_bitop2_b32 v4, 7, v2 bitop3:0x40
; %bb.663:                              ;   in Loop: Header=BB232_10 Depth=1
	s_or_b32 exec_lo, exec_lo, s16
	v_lshlrev_b32_e32 v2, 16, v0
	s_delay_alu instid0(VALU_DEP_2) | instskip(NEXT) | instid1(VALU_DEP_3)
	v_lshlrev_b32_e32 v3, 20, v4
	v_lshl_add_u32 v1, v1, 23, 0x3c000000
	s_delay_alu instid0(VALU_DEP_3) | instskip(NEXT) | instid1(VALU_DEP_1)
	v_and_b32_e32 v2, 0x80000000, v2
	v_or3_b32 v3, v3, v2, v1
	v_dual_mov_b32 v1, v5 :: v_dual_mov_b32 v2, v5
	s_clause 0x1
	scratch_store_b64 off, v[0:1], s32 offset:192
	scratch_store_b64 off, v[2:3], s32 offset:876
.LBB232_664:                            ;   in Loop: Header=BB232_10 Depth=1
	s_wait_xcnt 0x0
	s_or_b32 exec_lo, exec_lo, s15
.LBB232_665:                            ;   in Loop: Header=BB232_10 Depth=1
	s_delay_alu instid0(SALU_CYCLE_1)
	s_or_b32 exec_lo, exec_lo, s11
.LBB232_666:                            ;   in Loop: Header=BB232_10 Depth=1
	s_delay_alu instid0(SALU_CYCLE_1) | instskip(SKIP_3) | instid1(VALU_DEP_1)
	s_or_b32 exec_lo, exec_lo, s4
	v_mov_b64_e32 v[4:5], 0
	v_lshrrev_b32_e32 v1, 16, v0
	s_mov_b32 s4, exec_lo
	v_and_b32_e32 v2, 0xff, v1
	scratch_store_b64 off, v[4:5], s32 offset:860 ; 8-byte Folded Spill
	s_wait_xcnt 0x0
	v_mov_b64_e32 v[4:5], 0
	scratch_store_b64 off, v[4:5], s32 offset:868 ; 8-byte Folded Spill
	s_wait_xcnt 0x0
	v_cmpx_ne_u16_e32 0, v2
	s_cbranch_execz .LBB232_674
; %bb.667:                              ;   in Loop: Header=BB232_10 Depth=1
	v_cmp_ne_u16_e64 s1, 0x80, v2
	v_mov_b64_e32 v[2:3], 0x80000000
	scratch_store_b64 off, v[2:3], s32 offset:868 ; 8-byte Folded Spill
	s_wait_xcnt 0x0
	s_and_saveexec_b32 s11, s1
	s_cbranch_execz .LBB232_673
; %bb.668:                              ;   in Loop: Header=BB232_10 Depth=1
	v_mov_b64_e32 v[4:5], 0x7f800001
	v_bfe_u32 v3, v0, 16, 7
	s_mov_b32 s15, exec_lo
	scratch_store_b64 off, v[4:5], s32 offset:868 ; 8-byte Folded Spill
	s_wait_xcnt 0x0
	v_cmpx_ne_u32_e32 0x7f, v3
	s_cbranch_execz .LBB232_672
; %bb.669:                              ;   in Loop: Header=BB232_10 Depth=1
	scratch_load_b64 v[6:7], off, s32 offset:192 th:TH_LOAD_LU ; 8-byte Folded Reload
	s_wait_loadcnt 0x0
	v_dual_lshrrev_b32 v2, 3, v3 :: v_dual_bitop2_b32 v6, 7, v1 bitop3:0x40
	s_mov_b32 s16, exec_lo
	s_wait_xcnt 0x0
	v_cmpx_gt_u32_e32 8, v3
; %bb.670:                              ;   in Loop: Header=BB232_10 Depth=1
	s_delay_alu instid0(VALU_DEP_2) | instskip(NEXT) | instid1(VALU_DEP_1)
	v_clz_i32_u32_e32 v2, v6
	v_min_u32_e32 v2, 32, v2
	s_delay_alu instid0(VALU_DEP_1) | instskip(NEXT) | instid1(VALU_DEP_1)
	v_subrev_nc_u32_e32 v3, 28, v2
	v_lshlrev_b64_e32 v[4:5], v3, v[6:7]
	s_delay_alu instid0(VALU_DEP_1)
	v_dual_sub_nc_u32 v2, 29, v2 :: v_dual_bitop2_b32 v6, 7, v4 bitop3:0x40
; %bb.671:                              ;   in Loop: Header=BB232_10 Depth=1
	s_or_b32 exec_lo, exec_lo, s16
	s_delay_alu instid0(VALU_DEP_1) | instskip(NEXT) | instid1(VALU_DEP_2)
	v_dual_lshlrev_b32 v1, 24, v1 :: v_dual_lshlrev_b32 v3, 20, v6
	v_lshl_add_u32 v2, v2, 23, 0x3c000000
	s_delay_alu instid0(VALU_DEP_2) | instskip(NEXT) | instid1(VALU_DEP_1)
	v_and_b32_e32 v1, 0x80000000, v1
	v_or3_b32 v6, v3, v1, v2
	v_mov_b32_e32 v1, v7
	s_clause 0x1
	scratch_store_b64 off, v[0:1], s32 offset:192
	scratch_store_b64 off, v[6:7], s32 offset:868
.LBB232_672:                            ;   in Loop: Header=BB232_10 Depth=1
	s_wait_xcnt 0x0
	s_or_b32 exec_lo, exec_lo, s15
.LBB232_673:                            ;   in Loop: Header=BB232_10 Depth=1
	s_delay_alu instid0(SALU_CYCLE_1)
	s_or_b32 exec_lo, exec_lo, s11
.LBB232_674:                            ;   in Loop: Header=BB232_10 Depth=1
	s_delay_alu instid0(SALU_CYCLE_1) | instskip(NEXT) | instid1(SALU_CYCLE_1)
	s_or_b32 exec_lo, exec_lo, s4
	s_mov_b32 s4, exec_lo
	v_cmpx_lt_u32_e32 0xffffff, v0
	s_cbranch_execz .LBB232_682
; %bb.675:                              ;   in Loop: Header=BB232_10 Depth=1
	v_mov_b64_e32 v[2:3], 0x8000000000000000
	v_lshrrev_b32_e32 v1, 24, v0
	s_mov_b32 s11, exec_lo
	scratch_store_b64 off, v[2:3], s32 offset:860 ; 8-byte Folded Spill
	s_wait_xcnt 0x0
	v_cmpx_ne_u32_e32 0x80, v1
	s_cbranch_execz .LBB232_681
; %bb.676:                              ;   in Loop: Header=BB232_10 Depth=1
	v_mov_b64_e32 v[4:5], 0x7f80000100000000
	v_bfe_u32 v2, v0, 24, 7
	s_mov_b32 s15, exec_lo
	scratch_store_b64 off, v[4:5], s32 offset:860 ; 8-byte Folded Spill
	s_wait_xcnt 0x0
	v_cmpx_ne_u32_e32 0x7f, v2
	s_cbranch_execz .LBB232_680
; %bb.677:                              ;   in Loop: Header=BB232_10 Depth=1
	scratch_load_b64 v[4:5], off, s32 offset:192 th:TH_LOAD_LU ; 8-byte Folded Reload
	s_wait_loadcnt 0x0
	v_dual_lshrrev_b32 v0, 3, v2 :: v_dual_bitop2_b32 v4, 7, v1 bitop3:0x40
	s_mov_b32 s16, exec_lo
	s_wait_xcnt 0x0
	v_cmpx_gt_u32_e32 8, v2
; %bb.678:                              ;   in Loop: Header=BB232_10 Depth=1
	s_delay_alu instid0(VALU_DEP_2) | instskip(NEXT) | instid1(VALU_DEP_1)
	v_clz_i32_u32_e32 v0, v4
	v_min_u32_e32 v0, 32, v0
	s_delay_alu instid0(VALU_DEP_1) | instskip(NEXT) | instid1(VALU_DEP_1)
	v_subrev_nc_u32_e32 v2, 28, v0
	v_lshlrev_b64_e32 v[2:3], v2, v[4:5]
	s_delay_alu instid0(VALU_DEP_1)
	v_dual_sub_nc_u32 v0, 29, v0 :: v_dual_bitop2_b32 v4, 7, v2 bitop3:0x40
; %bb.679:                              ;   in Loop: Header=BB232_10 Depth=1
	s_or_b32 exec_lo, exec_lo, s16
	s_delay_alu instid0(VALU_DEP_1) | instskip(NEXT) | instid1(VALU_DEP_2)
	v_dual_lshlrev_b32 v1, 24, v1 :: v_dual_lshlrev_b32 v2, 20, v4
	v_lshl_add_u32 v0, v0, 23, 0x3c000000
	s_delay_alu instid0(VALU_DEP_2) | instskip(NEXT) | instid1(VALU_DEP_1)
	v_and_b32_e32 v1, 0x80000000, v1
	v_or3_b32 v3, v2, v1, v0
	v_dual_mov_b32 v1, v5 :: v_dual_mov_b32 v2, v5
	s_clause 0x1
	scratch_store_b64 off, v[0:1], s32 offset:192
	scratch_store_b64 off, v[2:3], s32 offset:860
.LBB232_680:                            ;   in Loop: Header=BB232_10 Depth=1
	s_wait_xcnt 0x0
	s_or_b32 exec_lo, exec_lo, s15
.LBB232_681:                            ;   in Loop: Header=BB232_10 Depth=1
	s_delay_alu instid0(SALU_CYCLE_1)
	s_or_b32 exec_lo, exec_lo, s11
.LBB232_682:                            ;   in Loop: Header=BB232_10 Depth=1
	s_delay_alu instid0(SALU_CYCLE_1)
	s_or_b32 exec_lo, exec_lo, s4
	flat_load_b32 v0, v[66:67] offset:2564
	v_mov_b64_e32 v[2:3], 0
	s_mov_b32 s4, exec_lo
	scratch_store_b64 off, v[2:3], s32 offset:908 ; 8-byte Folded Spill
	s_wait_xcnt 0x0
	v_mov_b64_e32 v[2:3], 0
	scratch_store_b64 off, v[2:3], s32 offset:884 ; 8-byte Folded Spill
	s_wait_loadcnt_dscnt 0x0
	v_and_b32_e32 v1, 0xff, v0
	s_wait_xcnt 0x0
	s_delay_alu instid0(VALU_DEP_1)
	v_cmpx_ne_u16_e32 0, v1
	s_cbranch_execz .LBB232_690
; %bb.683:                              ;   in Loop: Header=BB232_10 Depth=1
	v_mov_b64_e32 v[2:3], 0x80000000
	s_mov_b32 s11, exec_lo
	scratch_store_b64 off, v[2:3], s32 offset:884 ; 8-byte Folded Spill
	s_wait_xcnt 0x0
	v_cmpx_ne_u16_e32 0x80, v1
	s_cbranch_execz .LBB232_689
; %bb.684:                              ;   in Loop: Header=BB232_10 Depth=1
	v_mov_b64_e32 v[4:5], 0x7f800001
	v_and_b32_e32 v2, 0x7f, v0
	s_mov_b32 s15, exec_lo
	scratch_store_b64 off, v[4:5], s32 offset:884 ; 8-byte Folded Spill
	s_wait_xcnt 0x0
	v_cmpx_ne_u32_e32 0x7f, v2
	s_cbranch_execz .LBB232_688
; %bb.685:                              ;   in Loop: Header=BB232_10 Depth=1
	scratch_load_b64 v[4:5], off, s32 offset:192 th:TH_LOAD_LU ; 8-byte Folded Reload
	s_wait_loadcnt 0x0
	v_dual_lshrrev_b32 v1, 3, v2 :: v_dual_bitop2_b32 v4, 7, v0 bitop3:0x40
	s_mov_b32 s16, exec_lo
	s_wait_xcnt 0x0
	v_cmpx_gt_u32_e32 8, v2
; %bb.686:                              ;   in Loop: Header=BB232_10 Depth=1
	s_delay_alu instid0(VALU_DEP_2) | instskip(NEXT) | instid1(VALU_DEP_1)
	v_clz_i32_u32_e32 v1, v4
	v_min_u32_e32 v1, 32, v1
	s_delay_alu instid0(VALU_DEP_1) | instskip(NEXT) | instid1(VALU_DEP_1)
	v_subrev_nc_u32_e32 v2, 28, v1
	v_lshlrev_b64_e32 v[2:3], v2, v[4:5]
	s_delay_alu instid0(VALU_DEP_1)
	v_dual_sub_nc_u32 v1, 29, v1 :: v_dual_bitop2_b32 v4, 7, v2 bitop3:0x40
; %bb.687:                              ;   in Loop: Header=BB232_10 Depth=1
	s_or_b32 exec_lo, exec_lo, s16
	v_lshlrev_b32_e32 v2, 24, v0
	s_delay_alu instid0(VALU_DEP_2) | instskip(NEXT) | instid1(VALU_DEP_3)
	v_lshlrev_b32_e32 v3, 20, v4
	v_lshl_add_u32 v1, v1, 23, 0x3c000000
	s_delay_alu instid0(VALU_DEP_3) | instskip(NEXT) | instid1(VALU_DEP_1)
	v_and_b32_e32 v2, 0x80000000, v2
	v_or3_b32 v4, v3, v2, v1
	v_mov_b32_e32 v1, v5
	s_clause 0x1
	scratch_store_b64 off, v[0:1], s32 offset:192
	scratch_store_b64 off, v[4:5], s32 offset:884
.LBB232_688:                            ;   in Loop: Header=BB232_10 Depth=1
	s_wait_xcnt 0x0
	s_or_b32 exec_lo, exec_lo, s15
.LBB232_689:                            ;   in Loop: Header=BB232_10 Depth=1
	s_delay_alu instid0(SALU_CYCLE_1)
	s_or_b32 exec_lo, exec_lo, s11
.LBB232_690:                            ;   in Loop: Header=BB232_10 Depth=1
	s_delay_alu instid0(SALU_CYCLE_1) | instskip(SKIP_2) | instid1(VALU_DEP_1)
	s_or_b32 exec_lo, exec_lo, s4
	v_lshrrev_b16 v1, 8, v0
	s_mov_b32 s4, exec_lo
	v_cmpx_ne_u16_e32 0, v1
	s_cbranch_execz .LBB232_698
; %bb.691:                              ;   in Loop: Header=BB232_10 Depth=1
	v_mov_b64_e32 v[2:3], 0x8000000000000000
	s_mov_b32 s11, exec_lo
	scratch_store_b64 off, v[2:3], s32 offset:908 ; 8-byte Folded Spill
	s_wait_xcnt 0x0
	v_cmpx_ne_u16_e32 0x80, v1
	s_cbranch_execz .LBB232_697
; %bb.692:                              ;   in Loop: Header=BB232_10 Depth=1
	v_and_b32_e32 v1, 0xffff, v1
	v_mov_b64_e32 v[4:5], 0x7f80000100000000
	s_mov_b32 s15, exec_lo
	s_delay_alu instid0(VALU_DEP_2)
	v_and_b32_e32 v2, 0x7f, v1
	scratch_store_b64 off, v[4:5], s32 offset:908 ; 8-byte Folded Spill
	s_wait_xcnt 0x0
	v_cmpx_ne_u32_e32 0x7f, v2
	s_cbranch_execz .LBB232_696
; %bb.693:                              ;   in Loop: Header=BB232_10 Depth=1
	scratch_load_b64 v[4:5], off, s32 offset:192 th:TH_LOAD_LU ; 8-byte Folded Reload
	s_wait_loadcnt 0x0
	v_dual_lshrrev_b32 v1, 3, v2 :: v_dual_bitop2_b32 v4, 7, v1 bitop3:0x40
	s_mov_b32 s16, exec_lo
	s_wait_xcnt 0x0
	v_cmpx_gt_u32_e32 8, v2
; %bb.694:                              ;   in Loop: Header=BB232_10 Depth=1
	s_delay_alu instid0(VALU_DEP_2) | instskip(NEXT) | instid1(VALU_DEP_1)
	v_clz_i32_u32_e32 v1, v4
	v_min_u32_e32 v1, 32, v1
	s_delay_alu instid0(VALU_DEP_1) | instskip(NEXT) | instid1(VALU_DEP_1)
	v_subrev_nc_u32_e32 v2, 28, v1
	v_lshlrev_b64_e32 v[2:3], v2, v[4:5]
	s_delay_alu instid0(VALU_DEP_1)
	v_dual_sub_nc_u32 v1, 29, v1 :: v_dual_bitop2_b32 v4, 7, v2 bitop3:0x40
; %bb.695:                              ;   in Loop: Header=BB232_10 Depth=1
	s_or_b32 exec_lo, exec_lo, s16
	v_lshlrev_b32_e32 v2, 16, v0
	s_delay_alu instid0(VALU_DEP_2) | instskip(NEXT) | instid1(VALU_DEP_3)
	v_lshlrev_b32_e32 v3, 20, v4
	v_lshl_add_u32 v1, v1, 23, 0x3c000000
	s_delay_alu instid0(VALU_DEP_3) | instskip(NEXT) | instid1(VALU_DEP_1)
	v_and_b32_e32 v2, 0x80000000, v2
	v_or3_b32 v3, v3, v2, v1
	v_dual_mov_b32 v1, v5 :: v_dual_mov_b32 v2, v5
	s_clause 0x1
	scratch_store_b64 off, v[0:1], s32 offset:192
	scratch_store_b64 off, v[2:3], s32 offset:908
.LBB232_696:                            ;   in Loop: Header=BB232_10 Depth=1
	s_wait_xcnt 0x0
	s_or_b32 exec_lo, exec_lo, s15
.LBB232_697:                            ;   in Loop: Header=BB232_10 Depth=1
	s_delay_alu instid0(SALU_CYCLE_1)
	s_or_b32 exec_lo, exec_lo, s11
.LBB232_698:                            ;   in Loop: Header=BB232_10 Depth=1
	s_delay_alu instid0(SALU_CYCLE_1) | instskip(SKIP_3) | instid1(VALU_DEP_1)
	s_or_b32 exec_lo, exec_lo, s4
	v_mov_b64_e32 v[4:5], 0
	v_lshrrev_b32_e32 v1, 16, v0
	s_mov_b32 s4, exec_lo
	v_and_b32_e32 v2, 0xff, v1
	scratch_store_b64 off, v[4:5], s32 offset:892 ; 8-byte Folded Spill
	s_wait_xcnt 0x0
	v_mov_b64_e32 v[4:5], 0
	scratch_store_b64 off, v[4:5], s32 offset:900 ; 8-byte Folded Spill
	s_wait_xcnt 0x0
	v_cmpx_ne_u16_e32 0, v2
	s_cbranch_execz .LBB232_706
; %bb.699:                              ;   in Loop: Header=BB232_10 Depth=1
	v_cmp_ne_u16_e64 s1, 0x80, v2
	v_mov_b64_e32 v[2:3], 0x80000000
	scratch_store_b64 off, v[2:3], s32 offset:900 ; 8-byte Folded Spill
	s_wait_xcnt 0x0
	s_and_saveexec_b32 s11, s1
	s_cbranch_execz .LBB232_705
; %bb.700:                              ;   in Loop: Header=BB232_10 Depth=1
	v_mov_b64_e32 v[4:5], 0x7f800001
	v_bfe_u32 v3, v0, 16, 7
	s_mov_b32 s15, exec_lo
	scratch_store_b64 off, v[4:5], s32 offset:900 ; 8-byte Folded Spill
	s_wait_xcnt 0x0
	v_cmpx_ne_u32_e32 0x7f, v3
	s_cbranch_execz .LBB232_704
; %bb.701:                              ;   in Loop: Header=BB232_10 Depth=1
	scratch_load_b64 v[6:7], off, s32 offset:192 th:TH_LOAD_LU ; 8-byte Folded Reload
	s_wait_loadcnt 0x0
	v_dual_lshrrev_b32 v2, 3, v3 :: v_dual_bitop2_b32 v6, 7, v1 bitop3:0x40
	s_mov_b32 s16, exec_lo
	s_wait_xcnt 0x0
	v_cmpx_gt_u32_e32 8, v3
; %bb.702:                              ;   in Loop: Header=BB232_10 Depth=1
	s_delay_alu instid0(VALU_DEP_2) | instskip(NEXT) | instid1(VALU_DEP_1)
	v_clz_i32_u32_e32 v2, v6
	v_min_u32_e32 v2, 32, v2
	s_delay_alu instid0(VALU_DEP_1) | instskip(NEXT) | instid1(VALU_DEP_1)
	v_subrev_nc_u32_e32 v3, 28, v2
	v_lshlrev_b64_e32 v[4:5], v3, v[6:7]
	s_delay_alu instid0(VALU_DEP_1)
	v_dual_sub_nc_u32 v2, 29, v2 :: v_dual_bitop2_b32 v6, 7, v4 bitop3:0x40
; %bb.703:                              ;   in Loop: Header=BB232_10 Depth=1
	s_or_b32 exec_lo, exec_lo, s16
	s_delay_alu instid0(VALU_DEP_1) | instskip(NEXT) | instid1(VALU_DEP_2)
	v_dual_lshlrev_b32 v1, 24, v1 :: v_dual_lshlrev_b32 v3, 20, v6
	v_lshl_add_u32 v2, v2, 23, 0x3c000000
	s_delay_alu instid0(VALU_DEP_2) | instskip(NEXT) | instid1(VALU_DEP_1)
	v_and_b32_e32 v1, 0x80000000, v1
	v_or3_b32 v6, v3, v1, v2
	v_mov_b32_e32 v1, v7
	s_clause 0x1
	scratch_store_b64 off, v[0:1], s32 offset:192
	scratch_store_b64 off, v[6:7], s32 offset:900
.LBB232_704:                            ;   in Loop: Header=BB232_10 Depth=1
	s_wait_xcnt 0x0
	s_or_b32 exec_lo, exec_lo, s15
.LBB232_705:                            ;   in Loop: Header=BB232_10 Depth=1
	s_delay_alu instid0(SALU_CYCLE_1)
	s_or_b32 exec_lo, exec_lo, s11
.LBB232_706:                            ;   in Loop: Header=BB232_10 Depth=1
	s_delay_alu instid0(SALU_CYCLE_1) | instskip(NEXT) | instid1(SALU_CYCLE_1)
	s_or_b32 exec_lo, exec_lo, s4
	s_mov_b32 s4, exec_lo
	v_cmpx_lt_u32_e32 0xffffff, v0
	s_cbranch_execz .LBB232_714
; %bb.707:                              ;   in Loop: Header=BB232_10 Depth=1
	v_mov_b64_e32 v[2:3], 0x8000000000000000
	v_lshrrev_b32_e32 v1, 24, v0
	s_mov_b32 s11, exec_lo
	scratch_store_b64 off, v[2:3], s32 offset:892 ; 8-byte Folded Spill
	s_wait_xcnt 0x0
	v_cmpx_ne_u32_e32 0x80, v1
	s_cbranch_execz .LBB232_713
; %bb.708:                              ;   in Loop: Header=BB232_10 Depth=1
	v_mov_b64_e32 v[4:5], 0x7f80000100000000
	v_bfe_u32 v2, v0, 24, 7
	s_mov_b32 s15, exec_lo
	scratch_store_b64 off, v[4:5], s32 offset:892 ; 8-byte Folded Spill
	s_wait_xcnt 0x0
	v_cmpx_ne_u32_e32 0x7f, v2
	s_cbranch_execz .LBB232_712
; %bb.709:                              ;   in Loop: Header=BB232_10 Depth=1
	scratch_load_b64 v[4:5], off, s32 offset:192 th:TH_LOAD_LU ; 8-byte Folded Reload
	s_wait_loadcnt 0x0
	v_dual_lshrrev_b32 v0, 3, v2 :: v_dual_bitop2_b32 v4, 7, v1 bitop3:0x40
	s_mov_b32 s16, exec_lo
	s_wait_xcnt 0x0
	v_cmpx_gt_u32_e32 8, v2
; %bb.710:                              ;   in Loop: Header=BB232_10 Depth=1
	s_delay_alu instid0(VALU_DEP_2) | instskip(NEXT) | instid1(VALU_DEP_1)
	v_clz_i32_u32_e32 v0, v4
	v_min_u32_e32 v0, 32, v0
	s_delay_alu instid0(VALU_DEP_1) | instskip(NEXT) | instid1(VALU_DEP_1)
	v_subrev_nc_u32_e32 v2, 28, v0
	v_lshlrev_b64_e32 v[2:3], v2, v[4:5]
	s_delay_alu instid0(VALU_DEP_1)
	v_dual_sub_nc_u32 v0, 29, v0 :: v_dual_bitop2_b32 v4, 7, v2 bitop3:0x40
; %bb.711:                              ;   in Loop: Header=BB232_10 Depth=1
	s_or_b32 exec_lo, exec_lo, s16
	s_delay_alu instid0(VALU_DEP_1) | instskip(NEXT) | instid1(VALU_DEP_2)
	v_dual_lshlrev_b32 v1, 24, v1 :: v_dual_lshlrev_b32 v2, 20, v4
	v_lshl_add_u32 v0, v0, 23, 0x3c000000
	s_delay_alu instid0(VALU_DEP_2) | instskip(NEXT) | instid1(VALU_DEP_1)
	v_and_b32_e32 v1, 0x80000000, v1
	v_or3_b32 v3, v2, v1, v0
	v_dual_mov_b32 v1, v5 :: v_dual_mov_b32 v2, v5
	s_clause 0x1
	scratch_store_b64 off, v[0:1], s32 offset:192
	scratch_store_b64 off, v[2:3], s32 offset:892
.LBB232_712:                            ;   in Loop: Header=BB232_10 Depth=1
	s_wait_xcnt 0x0
	s_or_b32 exec_lo, exec_lo, s15
.LBB232_713:                            ;   in Loop: Header=BB232_10 Depth=1
	s_delay_alu instid0(SALU_CYCLE_1)
	s_or_b32 exec_lo, exec_lo, s11
.LBB232_714:                            ;   in Loop: Header=BB232_10 Depth=1
	s_delay_alu instid0(SALU_CYCLE_1)
	s_or_b32 exec_lo, exec_lo, s4
	flat_load_b32 v0, v[66:67] offset:2568
	v_mov_b64_e32 v[2:3], 0
	s_mov_b32 s4, exec_lo
	scratch_store_b64 off, v[2:3], s32 offset:940 ; 8-byte Folded Spill
	s_wait_xcnt 0x0
	v_mov_b64_e32 v[2:3], 0
	scratch_store_b64 off, v[2:3], s32 offset:916 ; 8-byte Folded Spill
	s_wait_loadcnt_dscnt 0x0
	v_and_b32_e32 v1, 0xff, v0
	s_wait_xcnt 0x0
	s_delay_alu instid0(VALU_DEP_1)
	v_cmpx_ne_u16_e32 0, v1
	s_cbranch_execz .LBB232_722
; %bb.715:                              ;   in Loop: Header=BB232_10 Depth=1
	v_mov_b64_e32 v[2:3], 0x80000000
	s_mov_b32 s11, exec_lo
	scratch_store_b64 off, v[2:3], s32 offset:916 ; 8-byte Folded Spill
	s_wait_xcnt 0x0
	v_cmpx_ne_u16_e32 0x80, v1
	s_cbranch_execz .LBB232_721
; %bb.716:                              ;   in Loop: Header=BB232_10 Depth=1
	v_mov_b64_e32 v[4:5], 0x7f800001
	v_and_b32_e32 v2, 0x7f, v0
	s_mov_b32 s15, exec_lo
	scratch_store_b64 off, v[4:5], s32 offset:916 ; 8-byte Folded Spill
	s_wait_xcnt 0x0
	v_cmpx_ne_u32_e32 0x7f, v2
	s_cbranch_execz .LBB232_720
; %bb.717:                              ;   in Loop: Header=BB232_10 Depth=1
	scratch_load_b64 v[4:5], off, s32 offset:192 th:TH_LOAD_LU ; 8-byte Folded Reload
	s_wait_loadcnt 0x0
	v_dual_lshrrev_b32 v1, 3, v2 :: v_dual_bitop2_b32 v4, 7, v0 bitop3:0x40
	s_mov_b32 s16, exec_lo
	s_wait_xcnt 0x0
	v_cmpx_gt_u32_e32 8, v2
; %bb.718:                              ;   in Loop: Header=BB232_10 Depth=1
	s_delay_alu instid0(VALU_DEP_2) | instskip(NEXT) | instid1(VALU_DEP_1)
	v_clz_i32_u32_e32 v1, v4
	v_min_u32_e32 v1, 32, v1
	s_delay_alu instid0(VALU_DEP_1) | instskip(NEXT) | instid1(VALU_DEP_1)
	v_subrev_nc_u32_e32 v2, 28, v1
	v_lshlrev_b64_e32 v[2:3], v2, v[4:5]
	s_delay_alu instid0(VALU_DEP_1)
	v_dual_sub_nc_u32 v1, 29, v1 :: v_dual_bitop2_b32 v4, 7, v2 bitop3:0x40
; %bb.719:                              ;   in Loop: Header=BB232_10 Depth=1
	s_or_b32 exec_lo, exec_lo, s16
	v_lshlrev_b32_e32 v2, 24, v0
	s_delay_alu instid0(VALU_DEP_2) | instskip(NEXT) | instid1(VALU_DEP_3)
	v_lshlrev_b32_e32 v3, 20, v4
	v_lshl_add_u32 v1, v1, 23, 0x3c000000
	s_delay_alu instid0(VALU_DEP_3) | instskip(NEXT) | instid1(VALU_DEP_1)
	v_and_b32_e32 v2, 0x80000000, v2
	v_or3_b32 v4, v3, v2, v1
	v_mov_b32_e32 v1, v5
	s_clause 0x1
	scratch_store_b64 off, v[0:1], s32 offset:192
	scratch_store_b64 off, v[4:5], s32 offset:916
.LBB232_720:                            ;   in Loop: Header=BB232_10 Depth=1
	s_wait_xcnt 0x0
	s_or_b32 exec_lo, exec_lo, s15
.LBB232_721:                            ;   in Loop: Header=BB232_10 Depth=1
	s_delay_alu instid0(SALU_CYCLE_1)
	s_or_b32 exec_lo, exec_lo, s11
.LBB232_722:                            ;   in Loop: Header=BB232_10 Depth=1
	s_delay_alu instid0(SALU_CYCLE_1) | instskip(SKIP_2) | instid1(VALU_DEP_1)
	s_or_b32 exec_lo, exec_lo, s4
	v_lshrrev_b16 v1, 8, v0
	s_mov_b32 s4, exec_lo
	v_cmpx_ne_u16_e32 0, v1
	s_cbranch_execz .LBB232_730
; %bb.723:                              ;   in Loop: Header=BB232_10 Depth=1
	v_mov_b64_e32 v[2:3], 0x8000000000000000
	s_mov_b32 s11, exec_lo
	scratch_store_b64 off, v[2:3], s32 offset:940 ; 8-byte Folded Spill
	s_wait_xcnt 0x0
	v_cmpx_ne_u16_e32 0x80, v1
	s_cbranch_execz .LBB232_729
; %bb.724:                              ;   in Loop: Header=BB232_10 Depth=1
	v_and_b32_e32 v1, 0xffff, v1
	v_mov_b64_e32 v[4:5], 0x7f80000100000000
	s_mov_b32 s15, exec_lo
	s_delay_alu instid0(VALU_DEP_2)
	v_and_b32_e32 v2, 0x7f, v1
	scratch_store_b64 off, v[4:5], s32 offset:940 ; 8-byte Folded Spill
	s_wait_xcnt 0x0
	v_cmpx_ne_u32_e32 0x7f, v2
	s_cbranch_execz .LBB232_728
; %bb.725:                              ;   in Loop: Header=BB232_10 Depth=1
	scratch_load_b64 v[4:5], off, s32 offset:192 th:TH_LOAD_LU ; 8-byte Folded Reload
	s_wait_loadcnt 0x0
	v_dual_lshrrev_b32 v1, 3, v2 :: v_dual_bitop2_b32 v4, 7, v1 bitop3:0x40
	s_mov_b32 s16, exec_lo
	s_wait_xcnt 0x0
	v_cmpx_gt_u32_e32 8, v2
; %bb.726:                              ;   in Loop: Header=BB232_10 Depth=1
	s_delay_alu instid0(VALU_DEP_2) | instskip(NEXT) | instid1(VALU_DEP_1)
	v_clz_i32_u32_e32 v1, v4
	v_min_u32_e32 v1, 32, v1
	s_delay_alu instid0(VALU_DEP_1) | instskip(NEXT) | instid1(VALU_DEP_1)
	v_subrev_nc_u32_e32 v2, 28, v1
	v_lshlrev_b64_e32 v[2:3], v2, v[4:5]
	s_delay_alu instid0(VALU_DEP_1)
	v_dual_sub_nc_u32 v1, 29, v1 :: v_dual_bitop2_b32 v4, 7, v2 bitop3:0x40
; %bb.727:                              ;   in Loop: Header=BB232_10 Depth=1
	s_or_b32 exec_lo, exec_lo, s16
	v_lshlrev_b32_e32 v2, 16, v0
	s_delay_alu instid0(VALU_DEP_2) | instskip(NEXT) | instid1(VALU_DEP_3)
	v_lshlrev_b32_e32 v3, 20, v4
	v_lshl_add_u32 v1, v1, 23, 0x3c000000
	s_delay_alu instid0(VALU_DEP_3) | instskip(NEXT) | instid1(VALU_DEP_1)
	v_and_b32_e32 v2, 0x80000000, v2
	v_or3_b32 v3, v3, v2, v1
	v_dual_mov_b32 v1, v5 :: v_dual_mov_b32 v2, v5
	s_clause 0x1
	scratch_store_b64 off, v[0:1], s32 offset:192
	scratch_store_b64 off, v[2:3], s32 offset:940
.LBB232_728:                            ;   in Loop: Header=BB232_10 Depth=1
	s_wait_xcnt 0x0
	s_or_b32 exec_lo, exec_lo, s15
.LBB232_729:                            ;   in Loop: Header=BB232_10 Depth=1
	s_delay_alu instid0(SALU_CYCLE_1)
	s_or_b32 exec_lo, exec_lo, s11
.LBB232_730:                            ;   in Loop: Header=BB232_10 Depth=1
	s_delay_alu instid0(SALU_CYCLE_1) | instskip(SKIP_3) | instid1(VALU_DEP_1)
	s_or_b32 exec_lo, exec_lo, s4
	v_mov_b64_e32 v[4:5], 0
	v_lshrrev_b32_e32 v1, 16, v0
	s_mov_b32 s4, exec_lo
	v_and_b32_e32 v2, 0xff, v1
	scratch_store_b64 off, v[4:5], s32 offset:924 ; 8-byte Folded Spill
	s_wait_xcnt 0x0
	v_mov_b64_e32 v[4:5], 0
	scratch_store_b64 off, v[4:5], s32 offset:932 ; 8-byte Folded Spill
	s_wait_xcnt 0x0
	v_cmpx_ne_u16_e32 0, v2
	s_cbranch_execz .LBB232_738
; %bb.731:                              ;   in Loop: Header=BB232_10 Depth=1
	v_cmp_ne_u16_e64 s1, 0x80, v2
	v_mov_b64_e32 v[2:3], 0x80000000
	scratch_store_b64 off, v[2:3], s32 offset:932 ; 8-byte Folded Spill
	s_wait_xcnt 0x0
	s_and_saveexec_b32 s11, s1
	s_cbranch_execz .LBB232_737
; %bb.732:                              ;   in Loop: Header=BB232_10 Depth=1
	v_mov_b64_e32 v[4:5], 0x7f800001
	v_bfe_u32 v3, v0, 16, 7
	s_mov_b32 s15, exec_lo
	scratch_store_b64 off, v[4:5], s32 offset:932 ; 8-byte Folded Spill
	s_wait_xcnt 0x0
	v_cmpx_ne_u32_e32 0x7f, v3
	s_cbranch_execz .LBB232_736
; %bb.733:                              ;   in Loop: Header=BB232_10 Depth=1
	scratch_load_b64 v[6:7], off, s32 offset:192 th:TH_LOAD_LU ; 8-byte Folded Reload
	s_wait_loadcnt 0x0
	v_dual_lshrrev_b32 v2, 3, v3 :: v_dual_bitop2_b32 v6, 7, v1 bitop3:0x40
	s_mov_b32 s16, exec_lo
	s_wait_xcnt 0x0
	v_cmpx_gt_u32_e32 8, v3
; %bb.734:                              ;   in Loop: Header=BB232_10 Depth=1
	s_delay_alu instid0(VALU_DEP_2) | instskip(NEXT) | instid1(VALU_DEP_1)
	v_clz_i32_u32_e32 v2, v6
	v_min_u32_e32 v2, 32, v2
	s_delay_alu instid0(VALU_DEP_1) | instskip(NEXT) | instid1(VALU_DEP_1)
	v_subrev_nc_u32_e32 v3, 28, v2
	v_lshlrev_b64_e32 v[4:5], v3, v[6:7]
	s_delay_alu instid0(VALU_DEP_1)
	v_dual_sub_nc_u32 v2, 29, v2 :: v_dual_bitop2_b32 v6, 7, v4 bitop3:0x40
; %bb.735:                              ;   in Loop: Header=BB232_10 Depth=1
	s_or_b32 exec_lo, exec_lo, s16
	s_delay_alu instid0(VALU_DEP_1) | instskip(NEXT) | instid1(VALU_DEP_2)
	v_dual_lshlrev_b32 v1, 24, v1 :: v_dual_lshlrev_b32 v3, 20, v6
	v_lshl_add_u32 v2, v2, 23, 0x3c000000
	s_delay_alu instid0(VALU_DEP_2) | instskip(NEXT) | instid1(VALU_DEP_1)
	v_and_b32_e32 v1, 0x80000000, v1
	v_or3_b32 v6, v3, v1, v2
	v_mov_b32_e32 v1, v7
	s_clause 0x1
	scratch_store_b64 off, v[0:1], s32 offset:192
	scratch_store_b64 off, v[6:7], s32 offset:932
.LBB232_736:                            ;   in Loop: Header=BB232_10 Depth=1
	s_wait_xcnt 0x0
	s_or_b32 exec_lo, exec_lo, s15
.LBB232_737:                            ;   in Loop: Header=BB232_10 Depth=1
	s_delay_alu instid0(SALU_CYCLE_1)
	s_or_b32 exec_lo, exec_lo, s11
.LBB232_738:                            ;   in Loop: Header=BB232_10 Depth=1
	s_delay_alu instid0(SALU_CYCLE_1) | instskip(NEXT) | instid1(SALU_CYCLE_1)
	s_or_b32 exec_lo, exec_lo, s4
	s_mov_b32 s4, exec_lo
	v_cmpx_lt_u32_e32 0xffffff, v0
	s_cbranch_execz .LBB232_746
; %bb.739:                              ;   in Loop: Header=BB232_10 Depth=1
	v_mov_b64_e32 v[2:3], 0x8000000000000000
	v_lshrrev_b32_e32 v1, 24, v0
	s_mov_b32 s11, exec_lo
	scratch_store_b64 off, v[2:3], s32 offset:924 ; 8-byte Folded Spill
	s_wait_xcnt 0x0
	v_cmpx_ne_u32_e32 0x80, v1
	s_cbranch_execz .LBB232_745
; %bb.740:                              ;   in Loop: Header=BB232_10 Depth=1
	v_mov_b64_e32 v[4:5], 0x7f80000100000000
	v_bfe_u32 v2, v0, 24, 7
	s_mov_b32 s15, exec_lo
	scratch_store_b64 off, v[4:5], s32 offset:924 ; 8-byte Folded Spill
	s_wait_xcnt 0x0
	v_cmpx_ne_u32_e32 0x7f, v2
	s_cbranch_execz .LBB232_744
; %bb.741:                              ;   in Loop: Header=BB232_10 Depth=1
	scratch_load_b64 v[4:5], off, s32 offset:192 th:TH_LOAD_LU ; 8-byte Folded Reload
	s_wait_loadcnt 0x0
	v_dual_lshrrev_b32 v0, 3, v2 :: v_dual_bitop2_b32 v4, 7, v1 bitop3:0x40
	s_mov_b32 s16, exec_lo
	s_wait_xcnt 0x0
	v_cmpx_gt_u32_e32 8, v2
; %bb.742:                              ;   in Loop: Header=BB232_10 Depth=1
	s_delay_alu instid0(VALU_DEP_2) | instskip(NEXT) | instid1(VALU_DEP_1)
	v_clz_i32_u32_e32 v0, v4
	v_min_u32_e32 v0, 32, v0
	s_delay_alu instid0(VALU_DEP_1) | instskip(NEXT) | instid1(VALU_DEP_1)
	v_subrev_nc_u32_e32 v2, 28, v0
	v_lshlrev_b64_e32 v[2:3], v2, v[4:5]
	s_delay_alu instid0(VALU_DEP_1)
	v_dual_sub_nc_u32 v0, 29, v0 :: v_dual_bitop2_b32 v4, 7, v2 bitop3:0x40
; %bb.743:                              ;   in Loop: Header=BB232_10 Depth=1
	s_or_b32 exec_lo, exec_lo, s16
	s_delay_alu instid0(VALU_DEP_1) | instskip(NEXT) | instid1(VALU_DEP_2)
	v_dual_lshlrev_b32 v1, 24, v1 :: v_dual_lshlrev_b32 v2, 20, v4
	v_lshl_add_u32 v0, v0, 23, 0x3c000000
	s_delay_alu instid0(VALU_DEP_2) | instskip(NEXT) | instid1(VALU_DEP_1)
	v_and_b32_e32 v1, 0x80000000, v1
	v_or3_b32 v3, v2, v1, v0
	v_dual_mov_b32 v1, v5 :: v_dual_mov_b32 v2, v5
	s_clause 0x1
	scratch_store_b64 off, v[0:1], s32 offset:192
	scratch_store_b64 off, v[2:3], s32 offset:924
.LBB232_744:                            ;   in Loop: Header=BB232_10 Depth=1
	s_wait_xcnt 0x0
	s_or_b32 exec_lo, exec_lo, s15
.LBB232_745:                            ;   in Loop: Header=BB232_10 Depth=1
	s_delay_alu instid0(SALU_CYCLE_1)
	s_or_b32 exec_lo, exec_lo, s11
.LBB232_746:                            ;   in Loop: Header=BB232_10 Depth=1
	s_delay_alu instid0(SALU_CYCLE_1)
	s_or_b32 exec_lo, exec_lo, s4
	flat_load_b32 v0, v[66:67] offset:2572
	v_mov_b64_e32 v[2:3], 0
	s_mov_b32 s4, exec_lo
	scratch_store_b64 off, v[2:3], s32 offset:972 ; 8-byte Folded Spill
	s_wait_xcnt 0x0
	v_mov_b64_e32 v[2:3], 0
	scratch_store_b64 off, v[2:3], s32 offset:948 ; 8-byte Folded Spill
	s_wait_loadcnt_dscnt 0x0
	v_and_b32_e32 v1, 0xff, v0
	s_wait_xcnt 0x0
	s_delay_alu instid0(VALU_DEP_1)
	v_cmpx_ne_u16_e32 0, v1
	s_cbranch_execz .LBB232_754
; %bb.747:                              ;   in Loop: Header=BB232_10 Depth=1
	v_mov_b64_e32 v[2:3], 0x80000000
	s_mov_b32 s11, exec_lo
	scratch_store_b64 off, v[2:3], s32 offset:948 ; 8-byte Folded Spill
	s_wait_xcnt 0x0
	v_cmpx_ne_u16_e32 0x80, v1
	s_cbranch_execz .LBB232_753
; %bb.748:                              ;   in Loop: Header=BB232_10 Depth=1
	v_mov_b64_e32 v[4:5], 0x7f800001
	v_and_b32_e32 v2, 0x7f, v0
	s_mov_b32 s15, exec_lo
	scratch_store_b64 off, v[4:5], s32 offset:948 ; 8-byte Folded Spill
	s_wait_xcnt 0x0
	v_cmpx_ne_u32_e32 0x7f, v2
	s_cbranch_execz .LBB232_752
; %bb.749:                              ;   in Loop: Header=BB232_10 Depth=1
	scratch_load_b64 v[4:5], off, s32 offset:192 th:TH_LOAD_LU ; 8-byte Folded Reload
	s_wait_loadcnt 0x0
	v_dual_lshrrev_b32 v1, 3, v2 :: v_dual_bitop2_b32 v4, 7, v0 bitop3:0x40
	s_mov_b32 s16, exec_lo
	s_wait_xcnt 0x0
	v_cmpx_gt_u32_e32 8, v2
; %bb.750:                              ;   in Loop: Header=BB232_10 Depth=1
	s_delay_alu instid0(VALU_DEP_2) | instskip(NEXT) | instid1(VALU_DEP_1)
	v_clz_i32_u32_e32 v1, v4
	v_min_u32_e32 v1, 32, v1
	s_delay_alu instid0(VALU_DEP_1) | instskip(NEXT) | instid1(VALU_DEP_1)
	v_subrev_nc_u32_e32 v2, 28, v1
	v_lshlrev_b64_e32 v[2:3], v2, v[4:5]
	s_delay_alu instid0(VALU_DEP_1)
	v_dual_sub_nc_u32 v1, 29, v1 :: v_dual_bitop2_b32 v4, 7, v2 bitop3:0x40
; %bb.751:                              ;   in Loop: Header=BB232_10 Depth=1
	s_or_b32 exec_lo, exec_lo, s16
	v_lshlrev_b32_e32 v2, 24, v0
	s_delay_alu instid0(VALU_DEP_2) | instskip(NEXT) | instid1(VALU_DEP_3)
	v_lshlrev_b32_e32 v3, 20, v4
	v_lshl_add_u32 v1, v1, 23, 0x3c000000
	s_delay_alu instid0(VALU_DEP_3) | instskip(NEXT) | instid1(VALU_DEP_1)
	v_and_b32_e32 v2, 0x80000000, v2
	v_or3_b32 v4, v3, v2, v1
	v_mov_b32_e32 v1, v5
	s_clause 0x1
	scratch_store_b64 off, v[0:1], s32 offset:192
	scratch_store_b64 off, v[4:5], s32 offset:948
.LBB232_752:                            ;   in Loop: Header=BB232_10 Depth=1
	s_wait_xcnt 0x0
	s_or_b32 exec_lo, exec_lo, s15
.LBB232_753:                            ;   in Loop: Header=BB232_10 Depth=1
	s_delay_alu instid0(SALU_CYCLE_1)
	s_or_b32 exec_lo, exec_lo, s11
.LBB232_754:                            ;   in Loop: Header=BB232_10 Depth=1
	s_delay_alu instid0(SALU_CYCLE_1) | instskip(SKIP_2) | instid1(VALU_DEP_1)
	s_or_b32 exec_lo, exec_lo, s4
	v_lshrrev_b16 v1, 8, v0
	s_mov_b32 s4, exec_lo
	v_cmpx_ne_u16_e32 0, v1
	s_cbranch_execz .LBB232_762
; %bb.755:                              ;   in Loop: Header=BB232_10 Depth=1
	v_mov_b64_e32 v[2:3], 0x8000000000000000
	s_mov_b32 s11, exec_lo
	scratch_store_b64 off, v[2:3], s32 offset:972 ; 8-byte Folded Spill
	s_wait_xcnt 0x0
	v_cmpx_ne_u16_e32 0x80, v1
	s_cbranch_execz .LBB232_761
; %bb.756:                              ;   in Loop: Header=BB232_10 Depth=1
	v_and_b32_e32 v1, 0xffff, v1
	v_mov_b64_e32 v[4:5], 0x7f80000100000000
	s_mov_b32 s15, exec_lo
	s_delay_alu instid0(VALU_DEP_2)
	v_and_b32_e32 v2, 0x7f, v1
	scratch_store_b64 off, v[4:5], s32 offset:972 ; 8-byte Folded Spill
	s_wait_xcnt 0x0
	v_cmpx_ne_u32_e32 0x7f, v2
	s_cbranch_execz .LBB232_760
; %bb.757:                              ;   in Loop: Header=BB232_10 Depth=1
	scratch_load_b64 v[4:5], off, s32 offset:192 th:TH_LOAD_LU ; 8-byte Folded Reload
	s_wait_loadcnt 0x0
	v_dual_lshrrev_b32 v1, 3, v2 :: v_dual_bitop2_b32 v4, 7, v1 bitop3:0x40
	s_mov_b32 s16, exec_lo
	s_wait_xcnt 0x0
	v_cmpx_gt_u32_e32 8, v2
; %bb.758:                              ;   in Loop: Header=BB232_10 Depth=1
	s_delay_alu instid0(VALU_DEP_2) | instskip(NEXT) | instid1(VALU_DEP_1)
	v_clz_i32_u32_e32 v1, v4
	v_min_u32_e32 v1, 32, v1
	s_delay_alu instid0(VALU_DEP_1) | instskip(NEXT) | instid1(VALU_DEP_1)
	v_subrev_nc_u32_e32 v2, 28, v1
	v_lshlrev_b64_e32 v[2:3], v2, v[4:5]
	s_delay_alu instid0(VALU_DEP_1)
	v_dual_sub_nc_u32 v1, 29, v1 :: v_dual_bitop2_b32 v4, 7, v2 bitop3:0x40
; %bb.759:                              ;   in Loop: Header=BB232_10 Depth=1
	s_or_b32 exec_lo, exec_lo, s16
	v_lshlrev_b32_e32 v2, 16, v0
	s_delay_alu instid0(VALU_DEP_2) | instskip(NEXT) | instid1(VALU_DEP_3)
	v_lshlrev_b32_e32 v3, 20, v4
	v_lshl_add_u32 v1, v1, 23, 0x3c000000
	s_delay_alu instid0(VALU_DEP_3) | instskip(NEXT) | instid1(VALU_DEP_1)
	v_and_b32_e32 v2, 0x80000000, v2
	v_or3_b32 v3, v3, v2, v1
	v_dual_mov_b32 v1, v5 :: v_dual_mov_b32 v2, v5
	s_clause 0x1
	scratch_store_b64 off, v[0:1], s32 offset:192
	scratch_store_b64 off, v[2:3], s32 offset:972
.LBB232_760:                            ;   in Loop: Header=BB232_10 Depth=1
	s_wait_xcnt 0x0
	s_or_b32 exec_lo, exec_lo, s15
.LBB232_761:                            ;   in Loop: Header=BB232_10 Depth=1
	s_delay_alu instid0(SALU_CYCLE_1)
	s_or_b32 exec_lo, exec_lo, s11
.LBB232_762:                            ;   in Loop: Header=BB232_10 Depth=1
	s_delay_alu instid0(SALU_CYCLE_1) | instskip(SKIP_3) | instid1(VALU_DEP_1)
	s_or_b32 exec_lo, exec_lo, s4
	v_mov_b64_e32 v[4:5], 0
	v_lshrrev_b32_e32 v1, 16, v0
	s_mov_b32 s4, exec_lo
	v_and_b32_e32 v2, 0xff, v1
	scratch_store_b64 off, v[4:5], s32 offset:956 ; 8-byte Folded Spill
	s_wait_xcnt 0x0
	v_mov_b64_e32 v[4:5], 0
	scratch_store_b64 off, v[4:5], s32 offset:964 ; 8-byte Folded Spill
	s_wait_xcnt 0x0
	v_cmpx_ne_u16_e32 0, v2
	s_cbranch_execz .LBB232_770
; %bb.763:                              ;   in Loop: Header=BB232_10 Depth=1
	v_cmp_ne_u16_e64 s1, 0x80, v2
	v_mov_b64_e32 v[2:3], 0x80000000
	scratch_store_b64 off, v[2:3], s32 offset:964 ; 8-byte Folded Spill
	s_wait_xcnt 0x0
	s_and_saveexec_b32 s11, s1
	s_cbranch_execz .LBB232_769
; %bb.764:                              ;   in Loop: Header=BB232_10 Depth=1
	v_mov_b64_e32 v[4:5], 0x7f800001
	v_bfe_u32 v3, v0, 16, 7
	s_mov_b32 s15, exec_lo
	scratch_store_b64 off, v[4:5], s32 offset:964 ; 8-byte Folded Spill
	s_wait_xcnt 0x0
	v_cmpx_ne_u32_e32 0x7f, v3
	s_cbranch_execz .LBB232_768
; %bb.765:                              ;   in Loop: Header=BB232_10 Depth=1
	scratch_load_b64 v[6:7], off, s32 offset:192 th:TH_LOAD_LU ; 8-byte Folded Reload
	s_wait_loadcnt 0x0
	v_dual_lshrrev_b32 v2, 3, v3 :: v_dual_bitop2_b32 v6, 7, v1 bitop3:0x40
	s_mov_b32 s16, exec_lo
	s_wait_xcnt 0x0
	v_cmpx_gt_u32_e32 8, v3
; %bb.766:                              ;   in Loop: Header=BB232_10 Depth=1
	s_delay_alu instid0(VALU_DEP_2) | instskip(NEXT) | instid1(VALU_DEP_1)
	v_clz_i32_u32_e32 v2, v6
	v_min_u32_e32 v2, 32, v2
	s_delay_alu instid0(VALU_DEP_1) | instskip(NEXT) | instid1(VALU_DEP_1)
	v_subrev_nc_u32_e32 v3, 28, v2
	v_lshlrev_b64_e32 v[4:5], v3, v[6:7]
	s_delay_alu instid0(VALU_DEP_1)
	v_dual_sub_nc_u32 v2, 29, v2 :: v_dual_bitop2_b32 v6, 7, v4 bitop3:0x40
; %bb.767:                              ;   in Loop: Header=BB232_10 Depth=1
	s_or_b32 exec_lo, exec_lo, s16
	s_delay_alu instid0(VALU_DEP_1) | instskip(NEXT) | instid1(VALU_DEP_2)
	v_dual_lshlrev_b32 v1, 24, v1 :: v_dual_lshlrev_b32 v3, 20, v6
	v_lshl_add_u32 v2, v2, 23, 0x3c000000
	s_delay_alu instid0(VALU_DEP_2) | instskip(NEXT) | instid1(VALU_DEP_1)
	v_and_b32_e32 v1, 0x80000000, v1
	v_or3_b32 v6, v3, v1, v2
	v_mov_b32_e32 v1, v7
	s_clause 0x1
	scratch_store_b64 off, v[0:1], s32 offset:192
	scratch_store_b64 off, v[6:7], s32 offset:964
.LBB232_768:                            ;   in Loop: Header=BB232_10 Depth=1
	s_wait_xcnt 0x0
	s_or_b32 exec_lo, exec_lo, s15
.LBB232_769:                            ;   in Loop: Header=BB232_10 Depth=1
	s_delay_alu instid0(SALU_CYCLE_1)
	s_or_b32 exec_lo, exec_lo, s11
.LBB232_770:                            ;   in Loop: Header=BB232_10 Depth=1
	s_delay_alu instid0(SALU_CYCLE_1) | instskip(NEXT) | instid1(SALU_CYCLE_1)
	s_or_b32 exec_lo, exec_lo, s4
	s_mov_b32 s4, exec_lo
	v_cmpx_lt_u32_e32 0xffffff, v0
	s_cbranch_execz .LBB232_778
; %bb.771:                              ;   in Loop: Header=BB232_10 Depth=1
	v_mov_b64_e32 v[2:3], 0x8000000000000000
	v_lshrrev_b32_e32 v1, 24, v0
	s_mov_b32 s11, exec_lo
	scratch_store_b64 off, v[2:3], s32 offset:956 ; 8-byte Folded Spill
	s_wait_xcnt 0x0
	v_cmpx_ne_u32_e32 0x80, v1
	s_cbranch_execz .LBB232_777
; %bb.772:                              ;   in Loop: Header=BB232_10 Depth=1
	v_mov_b64_e32 v[4:5], 0x7f80000100000000
	v_bfe_u32 v2, v0, 24, 7
	s_mov_b32 s15, exec_lo
	scratch_store_b64 off, v[4:5], s32 offset:956 ; 8-byte Folded Spill
	s_wait_xcnt 0x0
	v_cmpx_ne_u32_e32 0x7f, v2
	s_cbranch_execz .LBB232_776
; %bb.773:                              ;   in Loop: Header=BB232_10 Depth=1
	scratch_load_b64 v[4:5], off, s32 offset:192 th:TH_LOAD_LU ; 8-byte Folded Reload
	s_wait_loadcnt 0x0
	v_dual_lshrrev_b32 v0, 3, v2 :: v_dual_bitop2_b32 v4, 7, v1 bitop3:0x40
	s_mov_b32 s16, exec_lo
	s_wait_xcnt 0x0
	v_cmpx_gt_u32_e32 8, v2
; %bb.774:                              ;   in Loop: Header=BB232_10 Depth=1
	s_delay_alu instid0(VALU_DEP_2) | instskip(NEXT) | instid1(VALU_DEP_1)
	v_clz_i32_u32_e32 v0, v4
	v_min_u32_e32 v0, 32, v0
	s_delay_alu instid0(VALU_DEP_1) | instskip(NEXT) | instid1(VALU_DEP_1)
	v_subrev_nc_u32_e32 v2, 28, v0
	v_lshlrev_b64_e32 v[2:3], v2, v[4:5]
	s_delay_alu instid0(VALU_DEP_1)
	v_dual_sub_nc_u32 v0, 29, v0 :: v_dual_bitop2_b32 v4, 7, v2 bitop3:0x40
; %bb.775:                              ;   in Loop: Header=BB232_10 Depth=1
	s_or_b32 exec_lo, exec_lo, s16
	s_delay_alu instid0(VALU_DEP_1) | instskip(NEXT) | instid1(VALU_DEP_2)
	v_dual_lshlrev_b32 v1, 24, v1 :: v_dual_lshlrev_b32 v2, 20, v4
	v_lshl_add_u32 v0, v0, 23, 0x3c000000
	s_delay_alu instid0(VALU_DEP_2) | instskip(NEXT) | instid1(VALU_DEP_1)
	v_and_b32_e32 v1, 0x80000000, v1
	v_or3_b32 v3, v2, v1, v0
	v_dual_mov_b32 v1, v5 :: v_dual_mov_b32 v2, v5
	s_clause 0x1
	scratch_store_b64 off, v[0:1], s32 offset:192
	scratch_store_b64 off, v[2:3], s32 offset:956
.LBB232_776:                            ;   in Loop: Header=BB232_10 Depth=1
	s_wait_xcnt 0x0
	s_or_b32 exec_lo, exec_lo, s15
.LBB232_777:                            ;   in Loop: Header=BB232_10 Depth=1
	s_delay_alu instid0(SALU_CYCLE_1)
	s_or_b32 exec_lo, exec_lo, s11
.LBB232_778:                            ;   in Loop: Header=BB232_10 Depth=1
	s_delay_alu instid0(SALU_CYCLE_1)
	s_or_b32 exec_lo, exec_lo, s4
	flat_load_b32 v0, v[66:67] offset:3072
	v_mov_b64_e32 v[2:3], 0
	s_mov_b32 s4, exec_lo
	scratch_store_b64 off, v[2:3], s32 offset:1004 ; 8-byte Folded Spill
	s_wait_xcnt 0x0
	v_mov_b64_e32 v[2:3], 0
	scratch_store_b64 off, v[2:3], s32 offset:980 ; 8-byte Folded Spill
	s_wait_loadcnt_dscnt 0x0
	v_and_b32_e32 v1, 0xff, v0
	s_wait_xcnt 0x0
	s_delay_alu instid0(VALU_DEP_1)
	v_cmpx_ne_u16_e32 0, v1
	s_cbranch_execz .LBB232_786
; %bb.779:                              ;   in Loop: Header=BB232_10 Depth=1
	v_mov_b64_e32 v[2:3], 0x80000000
	s_mov_b32 s11, exec_lo
	scratch_store_b64 off, v[2:3], s32 offset:980 ; 8-byte Folded Spill
	s_wait_xcnt 0x0
	v_cmpx_ne_u16_e32 0x80, v1
	s_cbranch_execz .LBB232_785
; %bb.780:                              ;   in Loop: Header=BB232_10 Depth=1
	v_mov_b64_e32 v[4:5], 0x7f800001
	v_and_b32_e32 v2, 0x7f, v0
	s_mov_b32 s15, exec_lo
	scratch_store_b64 off, v[4:5], s32 offset:980 ; 8-byte Folded Spill
	s_wait_xcnt 0x0
	v_cmpx_ne_u32_e32 0x7f, v2
	s_cbranch_execz .LBB232_784
; %bb.781:                              ;   in Loop: Header=BB232_10 Depth=1
	scratch_load_b64 v[4:5], off, s32 offset:192 th:TH_LOAD_LU ; 8-byte Folded Reload
	s_wait_loadcnt 0x0
	v_dual_lshrrev_b32 v1, 3, v2 :: v_dual_bitop2_b32 v4, 7, v0 bitop3:0x40
	s_mov_b32 s16, exec_lo
	s_wait_xcnt 0x0
	v_cmpx_gt_u32_e32 8, v2
; %bb.782:                              ;   in Loop: Header=BB232_10 Depth=1
	s_delay_alu instid0(VALU_DEP_2) | instskip(NEXT) | instid1(VALU_DEP_1)
	v_clz_i32_u32_e32 v1, v4
	v_min_u32_e32 v1, 32, v1
	s_delay_alu instid0(VALU_DEP_1) | instskip(NEXT) | instid1(VALU_DEP_1)
	v_subrev_nc_u32_e32 v2, 28, v1
	v_lshlrev_b64_e32 v[2:3], v2, v[4:5]
	s_delay_alu instid0(VALU_DEP_1)
	v_dual_sub_nc_u32 v1, 29, v1 :: v_dual_bitop2_b32 v4, 7, v2 bitop3:0x40
; %bb.783:                              ;   in Loop: Header=BB232_10 Depth=1
	s_or_b32 exec_lo, exec_lo, s16
	v_lshlrev_b32_e32 v2, 24, v0
	s_delay_alu instid0(VALU_DEP_2) | instskip(NEXT) | instid1(VALU_DEP_3)
	v_lshlrev_b32_e32 v3, 20, v4
	v_lshl_add_u32 v1, v1, 23, 0x3c000000
	s_delay_alu instid0(VALU_DEP_3) | instskip(NEXT) | instid1(VALU_DEP_1)
	v_and_b32_e32 v2, 0x80000000, v2
	v_or3_b32 v4, v3, v2, v1
	v_mov_b32_e32 v1, v5
	s_clause 0x1
	scratch_store_b64 off, v[0:1], s32 offset:192
	scratch_store_b64 off, v[4:5], s32 offset:980
.LBB232_784:                            ;   in Loop: Header=BB232_10 Depth=1
	s_wait_xcnt 0x0
	s_or_b32 exec_lo, exec_lo, s15
.LBB232_785:                            ;   in Loop: Header=BB232_10 Depth=1
	s_delay_alu instid0(SALU_CYCLE_1)
	s_or_b32 exec_lo, exec_lo, s11
.LBB232_786:                            ;   in Loop: Header=BB232_10 Depth=1
	s_delay_alu instid0(SALU_CYCLE_1) | instskip(SKIP_2) | instid1(VALU_DEP_1)
	s_or_b32 exec_lo, exec_lo, s4
	v_lshrrev_b16 v1, 8, v0
	s_mov_b32 s4, exec_lo
	v_cmpx_ne_u16_e32 0, v1
	s_cbranch_execz .LBB232_794
; %bb.787:                              ;   in Loop: Header=BB232_10 Depth=1
	v_mov_b64_e32 v[2:3], 0x8000000000000000
	s_mov_b32 s11, exec_lo
	scratch_store_b64 off, v[2:3], s32 offset:1004 ; 8-byte Folded Spill
	s_wait_xcnt 0x0
	v_cmpx_ne_u16_e32 0x80, v1
	s_cbranch_execz .LBB232_793
; %bb.788:                              ;   in Loop: Header=BB232_10 Depth=1
	v_and_b32_e32 v1, 0xffff, v1
	v_mov_b64_e32 v[4:5], 0x7f80000100000000
	s_mov_b32 s15, exec_lo
	s_delay_alu instid0(VALU_DEP_2)
	v_and_b32_e32 v2, 0x7f, v1
	scratch_store_b64 off, v[4:5], s32 offset:1004 ; 8-byte Folded Spill
	s_wait_xcnt 0x0
	v_cmpx_ne_u32_e32 0x7f, v2
	s_cbranch_execz .LBB232_792
; %bb.789:                              ;   in Loop: Header=BB232_10 Depth=1
	scratch_load_b64 v[4:5], off, s32 offset:192 th:TH_LOAD_LU ; 8-byte Folded Reload
	s_wait_loadcnt 0x0
	v_dual_lshrrev_b32 v1, 3, v2 :: v_dual_bitop2_b32 v4, 7, v1 bitop3:0x40
	s_mov_b32 s16, exec_lo
	s_wait_xcnt 0x0
	v_cmpx_gt_u32_e32 8, v2
; %bb.790:                              ;   in Loop: Header=BB232_10 Depth=1
	s_delay_alu instid0(VALU_DEP_2) | instskip(NEXT) | instid1(VALU_DEP_1)
	v_clz_i32_u32_e32 v1, v4
	v_min_u32_e32 v1, 32, v1
	s_delay_alu instid0(VALU_DEP_1) | instskip(NEXT) | instid1(VALU_DEP_1)
	v_subrev_nc_u32_e32 v2, 28, v1
	v_lshlrev_b64_e32 v[2:3], v2, v[4:5]
	s_delay_alu instid0(VALU_DEP_1)
	v_dual_sub_nc_u32 v1, 29, v1 :: v_dual_bitop2_b32 v4, 7, v2 bitop3:0x40
; %bb.791:                              ;   in Loop: Header=BB232_10 Depth=1
	s_or_b32 exec_lo, exec_lo, s16
	v_lshlrev_b32_e32 v2, 16, v0
	s_delay_alu instid0(VALU_DEP_2) | instskip(NEXT) | instid1(VALU_DEP_3)
	v_lshlrev_b32_e32 v3, 20, v4
	v_lshl_add_u32 v1, v1, 23, 0x3c000000
	s_delay_alu instid0(VALU_DEP_3) | instskip(NEXT) | instid1(VALU_DEP_1)
	v_and_b32_e32 v2, 0x80000000, v2
	v_or3_b32 v3, v3, v2, v1
	v_dual_mov_b32 v1, v5 :: v_dual_mov_b32 v2, v5
	s_clause 0x1
	scratch_store_b64 off, v[0:1], s32 offset:192
	scratch_store_b64 off, v[2:3], s32 offset:1004
.LBB232_792:                            ;   in Loop: Header=BB232_10 Depth=1
	s_wait_xcnt 0x0
	s_or_b32 exec_lo, exec_lo, s15
.LBB232_793:                            ;   in Loop: Header=BB232_10 Depth=1
	s_delay_alu instid0(SALU_CYCLE_1)
	s_or_b32 exec_lo, exec_lo, s11
.LBB232_794:                            ;   in Loop: Header=BB232_10 Depth=1
	s_delay_alu instid0(SALU_CYCLE_1) | instskip(SKIP_3) | instid1(VALU_DEP_1)
	s_or_b32 exec_lo, exec_lo, s4
	v_mov_b64_e32 v[4:5], 0
	v_lshrrev_b32_e32 v1, 16, v0
	s_mov_b32 s4, exec_lo
	v_and_b32_e32 v2, 0xff, v1
	scratch_store_b64 off, v[4:5], s32 offset:988 ; 8-byte Folded Spill
	s_wait_xcnt 0x0
	v_mov_b64_e32 v[4:5], 0
	scratch_store_b64 off, v[4:5], s32 offset:996 ; 8-byte Folded Spill
	s_wait_xcnt 0x0
	v_cmpx_ne_u16_e32 0, v2
	s_cbranch_execz .LBB232_802
; %bb.795:                              ;   in Loop: Header=BB232_10 Depth=1
	v_cmp_ne_u16_e64 s1, 0x80, v2
	v_mov_b64_e32 v[2:3], 0x80000000
	scratch_store_b64 off, v[2:3], s32 offset:996 ; 8-byte Folded Spill
	s_wait_xcnt 0x0
	s_and_saveexec_b32 s11, s1
	s_cbranch_execz .LBB232_801
; %bb.796:                              ;   in Loop: Header=BB232_10 Depth=1
	v_mov_b64_e32 v[4:5], 0x7f800001
	v_bfe_u32 v3, v0, 16, 7
	s_mov_b32 s15, exec_lo
	scratch_store_b64 off, v[4:5], s32 offset:996 ; 8-byte Folded Spill
	s_wait_xcnt 0x0
	v_cmpx_ne_u32_e32 0x7f, v3
	s_cbranch_execz .LBB232_800
; %bb.797:                              ;   in Loop: Header=BB232_10 Depth=1
	scratch_load_b64 v[6:7], off, s32 offset:192 th:TH_LOAD_LU ; 8-byte Folded Reload
	s_wait_loadcnt 0x0
	v_dual_lshrrev_b32 v2, 3, v3 :: v_dual_bitop2_b32 v6, 7, v1 bitop3:0x40
	s_mov_b32 s16, exec_lo
	s_wait_xcnt 0x0
	v_cmpx_gt_u32_e32 8, v3
; %bb.798:                              ;   in Loop: Header=BB232_10 Depth=1
	s_delay_alu instid0(VALU_DEP_2) | instskip(NEXT) | instid1(VALU_DEP_1)
	v_clz_i32_u32_e32 v2, v6
	v_min_u32_e32 v2, 32, v2
	s_delay_alu instid0(VALU_DEP_1) | instskip(NEXT) | instid1(VALU_DEP_1)
	v_subrev_nc_u32_e32 v3, 28, v2
	v_lshlrev_b64_e32 v[4:5], v3, v[6:7]
	s_delay_alu instid0(VALU_DEP_1)
	v_dual_sub_nc_u32 v2, 29, v2 :: v_dual_bitop2_b32 v6, 7, v4 bitop3:0x40
; %bb.799:                              ;   in Loop: Header=BB232_10 Depth=1
	s_or_b32 exec_lo, exec_lo, s16
	s_delay_alu instid0(VALU_DEP_1) | instskip(NEXT) | instid1(VALU_DEP_2)
	v_dual_lshlrev_b32 v1, 24, v1 :: v_dual_lshlrev_b32 v3, 20, v6
	v_lshl_add_u32 v2, v2, 23, 0x3c000000
	s_delay_alu instid0(VALU_DEP_2) | instskip(NEXT) | instid1(VALU_DEP_1)
	v_and_b32_e32 v1, 0x80000000, v1
	v_or3_b32 v6, v3, v1, v2
	v_mov_b32_e32 v1, v7
	s_clause 0x1
	scratch_store_b64 off, v[0:1], s32 offset:192
	scratch_store_b64 off, v[6:7], s32 offset:996
.LBB232_800:                            ;   in Loop: Header=BB232_10 Depth=1
	s_wait_xcnt 0x0
	s_or_b32 exec_lo, exec_lo, s15
.LBB232_801:                            ;   in Loop: Header=BB232_10 Depth=1
	s_delay_alu instid0(SALU_CYCLE_1)
	s_or_b32 exec_lo, exec_lo, s11
.LBB232_802:                            ;   in Loop: Header=BB232_10 Depth=1
	s_delay_alu instid0(SALU_CYCLE_1) | instskip(NEXT) | instid1(SALU_CYCLE_1)
	s_or_b32 exec_lo, exec_lo, s4
	s_mov_b32 s4, exec_lo
	v_cmpx_lt_u32_e32 0xffffff, v0
	s_cbranch_execz .LBB232_810
; %bb.803:                              ;   in Loop: Header=BB232_10 Depth=1
	v_mov_b64_e32 v[2:3], 0x8000000000000000
	v_lshrrev_b32_e32 v1, 24, v0
	s_mov_b32 s11, exec_lo
	scratch_store_b64 off, v[2:3], s32 offset:988 ; 8-byte Folded Spill
	s_wait_xcnt 0x0
	v_cmpx_ne_u32_e32 0x80, v1
	s_cbranch_execz .LBB232_809
; %bb.804:                              ;   in Loop: Header=BB232_10 Depth=1
	v_mov_b64_e32 v[4:5], 0x7f80000100000000
	v_bfe_u32 v2, v0, 24, 7
	s_mov_b32 s15, exec_lo
	scratch_store_b64 off, v[4:5], s32 offset:988 ; 8-byte Folded Spill
	s_wait_xcnt 0x0
	v_cmpx_ne_u32_e32 0x7f, v2
	s_cbranch_execz .LBB232_808
; %bb.805:                              ;   in Loop: Header=BB232_10 Depth=1
	scratch_load_b64 v[4:5], off, s32 offset:192 th:TH_LOAD_LU ; 8-byte Folded Reload
	s_wait_loadcnt 0x0
	v_dual_lshrrev_b32 v0, 3, v2 :: v_dual_bitop2_b32 v4, 7, v1 bitop3:0x40
	s_mov_b32 s16, exec_lo
	s_wait_xcnt 0x0
	v_cmpx_gt_u32_e32 8, v2
; %bb.806:                              ;   in Loop: Header=BB232_10 Depth=1
	s_delay_alu instid0(VALU_DEP_2) | instskip(NEXT) | instid1(VALU_DEP_1)
	v_clz_i32_u32_e32 v0, v4
	v_min_u32_e32 v0, 32, v0
	s_delay_alu instid0(VALU_DEP_1) | instskip(NEXT) | instid1(VALU_DEP_1)
	v_subrev_nc_u32_e32 v2, 28, v0
	v_lshlrev_b64_e32 v[2:3], v2, v[4:5]
	s_delay_alu instid0(VALU_DEP_1)
	v_dual_sub_nc_u32 v0, 29, v0 :: v_dual_bitop2_b32 v4, 7, v2 bitop3:0x40
; %bb.807:                              ;   in Loop: Header=BB232_10 Depth=1
	s_or_b32 exec_lo, exec_lo, s16
	s_delay_alu instid0(VALU_DEP_1) | instskip(NEXT) | instid1(VALU_DEP_2)
	v_dual_lshlrev_b32 v1, 24, v1 :: v_dual_lshlrev_b32 v2, 20, v4
	v_lshl_add_u32 v0, v0, 23, 0x3c000000
	s_delay_alu instid0(VALU_DEP_2) | instskip(NEXT) | instid1(VALU_DEP_1)
	v_and_b32_e32 v1, 0x80000000, v1
	v_or3_b32 v3, v2, v1, v0
	v_dual_mov_b32 v1, v5 :: v_dual_mov_b32 v2, v5
	s_clause 0x1
	scratch_store_b64 off, v[0:1], s32 offset:192
	scratch_store_b64 off, v[2:3], s32 offset:988
.LBB232_808:                            ;   in Loop: Header=BB232_10 Depth=1
	s_wait_xcnt 0x0
	s_or_b32 exec_lo, exec_lo, s15
.LBB232_809:                            ;   in Loop: Header=BB232_10 Depth=1
	s_delay_alu instid0(SALU_CYCLE_1)
	s_or_b32 exec_lo, exec_lo, s11
.LBB232_810:                            ;   in Loop: Header=BB232_10 Depth=1
	s_delay_alu instid0(SALU_CYCLE_1)
	s_or_b32 exec_lo, exec_lo, s4
	flat_load_b32 v0, v[66:67] offset:3076
	v_mov_b64_e32 v[2:3], 0
	s_mov_b32 s4, exec_lo
	scratch_store_b64 off, v[2:3], s32 offset:1036 ; 8-byte Folded Spill
	s_wait_xcnt 0x0
	v_mov_b64_e32 v[2:3], 0
	scratch_store_b64 off, v[2:3], s32 offset:1012 ; 8-byte Folded Spill
	s_wait_loadcnt_dscnt 0x0
	v_and_b32_e32 v1, 0xff, v0
	s_wait_xcnt 0x0
	s_delay_alu instid0(VALU_DEP_1)
	v_cmpx_ne_u16_e32 0, v1
	s_cbranch_execz .LBB232_818
; %bb.811:                              ;   in Loop: Header=BB232_10 Depth=1
	v_mov_b64_e32 v[2:3], 0x80000000
	s_mov_b32 s11, exec_lo
	scratch_store_b64 off, v[2:3], s32 offset:1012 ; 8-byte Folded Spill
	s_wait_xcnt 0x0
	v_cmpx_ne_u16_e32 0x80, v1
	s_cbranch_execz .LBB232_817
; %bb.812:                              ;   in Loop: Header=BB232_10 Depth=1
	v_mov_b64_e32 v[4:5], 0x7f800001
	v_and_b32_e32 v2, 0x7f, v0
	s_mov_b32 s15, exec_lo
	scratch_store_b64 off, v[4:5], s32 offset:1012 ; 8-byte Folded Spill
	s_wait_xcnt 0x0
	v_cmpx_ne_u32_e32 0x7f, v2
	s_cbranch_execz .LBB232_816
; %bb.813:                              ;   in Loop: Header=BB232_10 Depth=1
	scratch_load_b64 v[4:5], off, s32 offset:192 th:TH_LOAD_LU ; 8-byte Folded Reload
	s_wait_loadcnt 0x0
	v_dual_lshrrev_b32 v1, 3, v2 :: v_dual_bitop2_b32 v4, 7, v0 bitop3:0x40
	s_mov_b32 s16, exec_lo
	s_wait_xcnt 0x0
	v_cmpx_gt_u32_e32 8, v2
; %bb.814:                              ;   in Loop: Header=BB232_10 Depth=1
	s_delay_alu instid0(VALU_DEP_2) | instskip(NEXT) | instid1(VALU_DEP_1)
	v_clz_i32_u32_e32 v1, v4
	v_min_u32_e32 v1, 32, v1
	s_delay_alu instid0(VALU_DEP_1) | instskip(NEXT) | instid1(VALU_DEP_1)
	v_subrev_nc_u32_e32 v2, 28, v1
	v_lshlrev_b64_e32 v[2:3], v2, v[4:5]
	s_delay_alu instid0(VALU_DEP_1)
	v_dual_sub_nc_u32 v1, 29, v1 :: v_dual_bitop2_b32 v4, 7, v2 bitop3:0x40
; %bb.815:                              ;   in Loop: Header=BB232_10 Depth=1
	s_or_b32 exec_lo, exec_lo, s16
	v_lshlrev_b32_e32 v2, 24, v0
	s_delay_alu instid0(VALU_DEP_2) | instskip(NEXT) | instid1(VALU_DEP_3)
	v_lshlrev_b32_e32 v3, 20, v4
	v_lshl_add_u32 v1, v1, 23, 0x3c000000
	s_delay_alu instid0(VALU_DEP_3) | instskip(NEXT) | instid1(VALU_DEP_1)
	v_and_b32_e32 v2, 0x80000000, v2
	v_or3_b32 v4, v3, v2, v1
	v_mov_b32_e32 v1, v5
	s_clause 0x1
	scratch_store_b64 off, v[0:1], s32 offset:192
	scratch_store_b64 off, v[4:5], s32 offset:1012
.LBB232_816:                            ;   in Loop: Header=BB232_10 Depth=1
	s_wait_xcnt 0x0
	s_or_b32 exec_lo, exec_lo, s15
.LBB232_817:                            ;   in Loop: Header=BB232_10 Depth=1
	s_delay_alu instid0(SALU_CYCLE_1)
	s_or_b32 exec_lo, exec_lo, s11
.LBB232_818:                            ;   in Loop: Header=BB232_10 Depth=1
	s_delay_alu instid0(SALU_CYCLE_1) | instskip(SKIP_2) | instid1(VALU_DEP_1)
	s_or_b32 exec_lo, exec_lo, s4
	v_lshrrev_b16 v1, 8, v0
	s_mov_b32 s4, exec_lo
	v_cmpx_ne_u16_e32 0, v1
	s_cbranch_execz .LBB232_826
; %bb.819:                              ;   in Loop: Header=BB232_10 Depth=1
	v_mov_b64_e32 v[2:3], 0x8000000000000000
	s_mov_b32 s11, exec_lo
	scratch_store_b64 off, v[2:3], s32 offset:1036 ; 8-byte Folded Spill
	s_wait_xcnt 0x0
	v_cmpx_ne_u16_e32 0x80, v1
	s_cbranch_execz .LBB232_825
; %bb.820:                              ;   in Loop: Header=BB232_10 Depth=1
	v_and_b32_e32 v1, 0xffff, v1
	v_mov_b64_e32 v[4:5], 0x7f80000100000000
	s_mov_b32 s15, exec_lo
	s_delay_alu instid0(VALU_DEP_2)
	v_and_b32_e32 v2, 0x7f, v1
	scratch_store_b64 off, v[4:5], s32 offset:1036 ; 8-byte Folded Spill
	s_wait_xcnt 0x0
	v_cmpx_ne_u32_e32 0x7f, v2
	s_cbranch_execz .LBB232_824
; %bb.821:                              ;   in Loop: Header=BB232_10 Depth=1
	scratch_load_b64 v[4:5], off, s32 offset:192 th:TH_LOAD_LU ; 8-byte Folded Reload
	s_wait_loadcnt 0x0
	v_dual_lshrrev_b32 v1, 3, v2 :: v_dual_bitop2_b32 v4, 7, v1 bitop3:0x40
	s_mov_b32 s16, exec_lo
	s_wait_xcnt 0x0
	v_cmpx_gt_u32_e32 8, v2
; %bb.822:                              ;   in Loop: Header=BB232_10 Depth=1
	s_delay_alu instid0(VALU_DEP_2) | instskip(NEXT) | instid1(VALU_DEP_1)
	v_clz_i32_u32_e32 v1, v4
	v_min_u32_e32 v1, 32, v1
	s_delay_alu instid0(VALU_DEP_1) | instskip(NEXT) | instid1(VALU_DEP_1)
	v_subrev_nc_u32_e32 v2, 28, v1
	v_lshlrev_b64_e32 v[2:3], v2, v[4:5]
	s_delay_alu instid0(VALU_DEP_1)
	v_dual_sub_nc_u32 v1, 29, v1 :: v_dual_bitop2_b32 v4, 7, v2 bitop3:0x40
; %bb.823:                              ;   in Loop: Header=BB232_10 Depth=1
	s_or_b32 exec_lo, exec_lo, s16
	v_lshlrev_b32_e32 v2, 16, v0
	s_delay_alu instid0(VALU_DEP_2) | instskip(NEXT) | instid1(VALU_DEP_3)
	v_lshlrev_b32_e32 v3, 20, v4
	v_lshl_add_u32 v1, v1, 23, 0x3c000000
	s_delay_alu instid0(VALU_DEP_3) | instskip(NEXT) | instid1(VALU_DEP_1)
	v_and_b32_e32 v2, 0x80000000, v2
	v_or3_b32 v3, v3, v2, v1
	v_dual_mov_b32 v1, v5 :: v_dual_mov_b32 v2, v5
	s_clause 0x1
	scratch_store_b64 off, v[0:1], s32 offset:192
	scratch_store_b64 off, v[2:3], s32 offset:1036
.LBB232_824:                            ;   in Loop: Header=BB232_10 Depth=1
	s_wait_xcnt 0x0
	s_or_b32 exec_lo, exec_lo, s15
.LBB232_825:                            ;   in Loop: Header=BB232_10 Depth=1
	s_delay_alu instid0(SALU_CYCLE_1)
	s_or_b32 exec_lo, exec_lo, s11
.LBB232_826:                            ;   in Loop: Header=BB232_10 Depth=1
	s_delay_alu instid0(SALU_CYCLE_1) | instskip(SKIP_3) | instid1(VALU_DEP_1)
	s_or_b32 exec_lo, exec_lo, s4
	v_mov_b64_e32 v[4:5], 0
	v_lshrrev_b32_e32 v1, 16, v0
	s_mov_b32 s4, exec_lo
	v_and_b32_e32 v2, 0xff, v1
	scratch_store_b64 off, v[4:5], s32 offset:1020 ; 8-byte Folded Spill
	s_wait_xcnt 0x0
	v_mov_b64_e32 v[4:5], 0
	scratch_store_b64 off, v[4:5], s32 offset:1028 ; 8-byte Folded Spill
	s_wait_xcnt 0x0
	v_cmpx_ne_u16_e32 0, v2
	s_cbranch_execz .LBB232_834
; %bb.827:                              ;   in Loop: Header=BB232_10 Depth=1
	v_cmp_ne_u16_e64 s1, 0x80, v2
	v_mov_b64_e32 v[2:3], 0x80000000
	scratch_store_b64 off, v[2:3], s32 offset:1028 ; 8-byte Folded Spill
	s_wait_xcnt 0x0
	s_and_saveexec_b32 s11, s1
	s_cbranch_execz .LBB232_833
; %bb.828:                              ;   in Loop: Header=BB232_10 Depth=1
	v_mov_b64_e32 v[4:5], 0x7f800001
	v_bfe_u32 v3, v0, 16, 7
	s_mov_b32 s15, exec_lo
	scratch_store_b64 off, v[4:5], s32 offset:1028 ; 8-byte Folded Spill
	s_wait_xcnt 0x0
	v_cmpx_ne_u32_e32 0x7f, v3
	s_cbranch_execz .LBB232_832
; %bb.829:                              ;   in Loop: Header=BB232_10 Depth=1
	scratch_load_b64 v[6:7], off, s32 offset:192 th:TH_LOAD_LU ; 8-byte Folded Reload
	s_wait_loadcnt 0x0
	v_dual_lshrrev_b32 v2, 3, v3 :: v_dual_bitop2_b32 v6, 7, v1 bitop3:0x40
	s_mov_b32 s16, exec_lo
	s_wait_xcnt 0x0
	v_cmpx_gt_u32_e32 8, v3
; %bb.830:                              ;   in Loop: Header=BB232_10 Depth=1
	s_delay_alu instid0(VALU_DEP_2) | instskip(NEXT) | instid1(VALU_DEP_1)
	v_clz_i32_u32_e32 v2, v6
	v_min_u32_e32 v2, 32, v2
	s_delay_alu instid0(VALU_DEP_1) | instskip(NEXT) | instid1(VALU_DEP_1)
	v_subrev_nc_u32_e32 v3, 28, v2
	v_lshlrev_b64_e32 v[4:5], v3, v[6:7]
	s_delay_alu instid0(VALU_DEP_1)
	v_dual_sub_nc_u32 v2, 29, v2 :: v_dual_bitop2_b32 v6, 7, v4 bitop3:0x40
; %bb.831:                              ;   in Loop: Header=BB232_10 Depth=1
	s_or_b32 exec_lo, exec_lo, s16
	s_delay_alu instid0(VALU_DEP_1) | instskip(NEXT) | instid1(VALU_DEP_2)
	v_dual_lshlrev_b32 v1, 24, v1 :: v_dual_lshlrev_b32 v3, 20, v6
	v_lshl_add_u32 v2, v2, 23, 0x3c000000
	s_delay_alu instid0(VALU_DEP_2) | instskip(NEXT) | instid1(VALU_DEP_1)
	v_and_b32_e32 v1, 0x80000000, v1
	v_or3_b32 v6, v3, v1, v2
	v_mov_b32_e32 v1, v7
	s_clause 0x1
	scratch_store_b64 off, v[0:1], s32 offset:192
	scratch_store_b64 off, v[6:7], s32 offset:1028
.LBB232_832:                            ;   in Loop: Header=BB232_10 Depth=1
	s_wait_xcnt 0x0
	s_or_b32 exec_lo, exec_lo, s15
.LBB232_833:                            ;   in Loop: Header=BB232_10 Depth=1
	s_delay_alu instid0(SALU_CYCLE_1)
	s_or_b32 exec_lo, exec_lo, s11
.LBB232_834:                            ;   in Loop: Header=BB232_10 Depth=1
	s_delay_alu instid0(SALU_CYCLE_1) | instskip(NEXT) | instid1(SALU_CYCLE_1)
	s_or_b32 exec_lo, exec_lo, s4
	s_mov_b32 s4, exec_lo
	v_cmpx_lt_u32_e32 0xffffff, v0
	s_cbranch_execz .LBB232_842
; %bb.835:                              ;   in Loop: Header=BB232_10 Depth=1
	v_mov_b64_e32 v[2:3], 0x8000000000000000
	v_lshrrev_b32_e32 v1, 24, v0
	s_mov_b32 s11, exec_lo
	scratch_store_b64 off, v[2:3], s32 offset:1020 ; 8-byte Folded Spill
	s_wait_xcnt 0x0
	v_cmpx_ne_u32_e32 0x80, v1
	s_cbranch_execz .LBB232_841
; %bb.836:                              ;   in Loop: Header=BB232_10 Depth=1
	v_mov_b64_e32 v[4:5], 0x7f80000100000000
	v_bfe_u32 v2, v0, 24, 7
	s_mov_b32 s15, exec_lo
	scratch_store_b64 off, v[4:5], s32 offset:1020 ; 8-byte Folded Spill
	s_wait_xcnt 0x0
	v_cmpx_ne_u32_e32 0x7f, v2
	s_cbranch_execz .LBB232_840
; %bb.837:                              ;   in Loop: Header=BB232_10 Depth=1
	scratch_load_b64 v[4:5], off, s32 offset:192 th:TH_LOAD_LU ; 8-byte Folded Reload
	s_wait_loadcnt 0x0
	v_dual_lshrrev_b32 v0, 3, v2 :: v_dual_bitop2_b32 v4, 7, v1 bitop3:0x40
	s_mov_b32 s16, exec_lo
	s_wait_xcnt 0x0
	v_cmpx_gt_u32_e32 8, v2
; %bb.838:                              ;   in Loop: Header=BB232_10 Depth=1
	s_delay_alu instid0(VALU_DEP_2) | instskip(NEXT) | instid1(VALU_DEP_1)
	v_clz_i32_u32_e32 v0, v4
	v_min_u32_e32 v0, 32, v0
	s_delay_alu instid0(VALU_DEP_1) | instskip(NEXT) | instid1(VALU_DEP_1)
	v_subrev_nc_u32_e32 v2, 28, v0
	v_lshlrev_b64_e32 v[2:3], v2, v[4:5]
	s_delay_alu instid0(VALU_DEP_1)
	v_dual_sub_nc_u32 v0, 29, v0 :: v_dual_bitop2_b32 v4, 7, v2 bitop3:0x40
; %bb.839:                              ;   in Loop: Header=BB232_10 Depth=1
	s_or_b32 exec_lo, exec_lo, s16
	s_delay_alu instid0(VALU_DEP_1) | instskip(NEXT) | instid1(VALU_DEP_2)
	v_dual_lshlrev_b32 v1, 24, v1 :: v_dual_lshlrev_b32 v2, 20, v4
	v_lshl_add_u32 v0, v0, 23, 0x3c000000
	s_delay_alu instid0(VALU_DEP_2) | instskip(NEXT) | instid1(VALU_DEP_1)
	v_and_b32_e32 v1, 0x80000000, v1
	v_or3_b32 v3, v2, v1, v0
	v_dual_mov_b32 v1, v5 :: v_dual_mov_b32 v2, v5
	s_clause 0x1
	scratch_store_b64 off, v[0:1], s32 offset:192
	scratch_store_b64 off, v[2:3], s32 offset:1020
.LBB232_840:                            ;   in Loop: Header=BB232_10 Depth=1
	s_wait_xcnt 0x0
	s_or_b32 exec_lo, exec_lo, s15
.LBB232_841:                            ;   in Loop: Header=BB232_10 Depth=1
	s_delay_alu instid0(SALU_CYCLE_1)
	s_or_b32 exec_lo, exec_lo, s11
.LBB232_842:                            ;   in Loop: Header=BB232_10 Depth=1
	s_delay_alu instid0(SALU_CYCLE_1)
	s_or_b32 exec_lo, exec_lo, s4
	flat_load_b32 v0, v[66:67] offset:3080
	v_mov_b64_e32 v[2:3], 0
	s_mov_b32 s4, exec_lo
	scratch_store_b64 off, v[2:3], s32 offset:1068 ; 8-byte Folded Spill
	s_wait_xcnt 0x0
	v_mov_b64_e32 v[2:3], 0
	scratch_store_b64 off, v[2:3], s32 offset:1044 ; 8-byte Folded Spill
	s_wait_loadcnt_dscnt 0x0
	v_and_b32_e32 v1, 0xff, v0
	s_wait_xcnt 0x0
	s_delay_alu instid0(VALU_DEP_1)
	v_cmpx_ne_u16_e32 0, v1
	s_cbranch_execz .LBB232_850
; %bb.843:                              ;   in Loop: Header=BB232_10 Depth=1
	v_mov_b64_e32 v[2:3], 0x80000000
	s_mov_b32 s11, exec_lo
	scratch_store_b64 off, v[2:3], s32 offset:1044 ; 8-byte Folded Spill
	s_wait_xcnt 0x0
	v_cmpx_ne_u16_e32 0x80, v1
	s_cbranch_execz .LBB232_849
; %bb.844:                              ;   in Loop: Header=BB232_10 Depth=1
	v_mov_b64_e32 v[4:5], 0x7f800001
	v_and_b32_e32 v2, 0x7f, v0
	s_mov_b32 s15, exec_lo
	scratch_store_b64 off, v[4:5], s32 offset:1044 ; 8-byte Folded Spill
	s_wait_xcnt 0x0
	v_cmpx_ne_u32_e32 0x7f, v2
	s_cbranch_execz .LBB232_848
; %bb.845:                              ;   in Loop: Header=BB232_10 Depth=1
	scratch_load_b64 v[4:5], off, s32 offset:192 th:TH_LOAD_LU ; 8-byte Folded Reload
	s_wait_loadcnt 0x0
	v_dual_lshrrev_b32 v1, 3, v2 :: v_dual_bitop2_b32 v4, 7, v0 bitop3:0x40
	s_mov_b32 s16, exec_lo
	s_wait_xcnt 0x0
	v_cmpx_gt_u32_e32 8, v2
; %bb.846:                              ;   in Loop: Header=BB232_10 Depth=1
	s_delay_alu instid0(VALU_DEP_2) | instskip(NEXT) | instid1(VALU_DEP_1)
	v_clz_i32_u32_e32 v1, v4
	v_min_u32_e32 v1, 32, v1
	s_delay_alu instid0(VALU_DEP_1) | instskip(NEXT) | instid1(VALU_DEP_1)
	v_subrev_nc_u32_e32 v2, 28, v1
	v_lshlrev_b64_e32 v[2:3], v2, v[4:5]
	s_delay_alu instid0(VALU_DEP_1)
	v_dual_sub_nc_u32 v1, 29, v1 :: v_dual_bitop2_b32 v4, 7, v2 bitop3:0x40
; %bb.847:                              ;   in Loop: Header=BB232_10 Depth=1
	s_or_b32 exec_lo, exec_lo, s16
	v_lshlrev_b32_e32 v2, 24, v0
	s_delay_alu instid0(VALU_DEP_2) | instskip(NEXT) | instid1(VALU_DEP_3)
	v_lshlrev_b32_e32 v3, 20, v4
	v_lshl_add_u32 v1, v1, 23, 0x3c000000
	s_delay_alu instid0(VALU_DEP_3) | instskip(NEXT) | instid1(VALU_DEP_1)
	v_and_b32_e32 v2, 0x80000000, v2
	v_or3_b32 v4, v3, v2, v1
	v_mov_b32_e32 v1, v5
	s_clause 0x1
	scratch_store_b64 off, v[0:1], s32 offset:192
	scratch_store_b64 off, v[4:5], s32 offset:1044
.LBB232_848:                            ;   in Loop: Header=BB232_10 Depth=1
	s_wait_xcnt 0x0
	s_or_b32 exec_lo, exec_lo, s15
.LBB232_849:                            ;   in Loop: Header=BB232_10 Depth=1
	s_delay_alu instid0(SALU_CYCLE_1)
	s_or_b32 exec_lo, exec_lo, s11
.LBB232_850:                            ;   in Loop: Header=BB232_10 Depth=1
	s_delay_alu instid0(SALU_CYCLE_1) | instskip(SKIP_2) | instid1(VALU_DEP_1)
	s_or_b32 exec_lo, exec_lo, s4
	v_lshrrev_b16 v1, 8, v0
	s_mov_b32 s4, exec_lo
	v_cmpx_ne_u16_e32 0, v1
	s_cbranch_execz .LBB232_858
; %bb.851:                              ;   in Loop: Header=BB232_10 Depth=1
	v_mov_b64_e32 v[2:3], 0x8000000000000000
	s_mov_b32 s11, exec_lo
	scratch_store_b64 off, v[2:3], s32 offset:1068 ; 8-byte Folded Spill
	s_wait_xcnt 0x0
	v_cmpx_ne_u16_e32 0x80, v1
	s_cbranch_execz .LBB232_857
; %bb.852:                              ;   in Loop: Header=BB232_10 Depth=1
	v_and_b32_e32 v1, 0xffff, v1
	v_mov_b64_e32 v[4:5], 0x7f80000100000000
	s_mov_b32 s15, exec_lo
	s_delay_alu instid0(VALU_DEP_2)
	v_and_b32_e32 v2, 0x7f, v1
	scratch_store_b64 off, v[4:5], s32 offset:1068 ; 8-byte Folded Spill
	s_wait_xcnt 0x0
	v_cmpx_ne_u32_e32 0x7f, v2
	s_cbranch_execz .LBB232_856
; %bb.853:                              ;   in Loop: Header=BB232_10 Depth=1
	scratch_load_b64 v[4:5], off, s32 offset:192 th:TH_LOAD_LU ; 8-byte Folded Reload
	s_wait_loadcnt 0x0
	v_dual_lshrrev_b32 v1, 3, v2 :: v_dual_bitop2_b32 v4, 7, v1 bitop3:0x40
	s_mov_b32 s16, exec_lo
	s_wait_xcnt 0x0
	v_cmpx_gt_u32_e32 8, v2
; %bb.854:                              ;   in Loop: Header=BB232_10 Depth=1
	s_delay_alu instid0(VALU_DEP_2) | instskip(NEXT) | instid1(VALU_DEP_1)
	v_clz_i32_u32_e32 v1, v4
	v_min_u32_e32 v1, 32, v1
	s_delay_alu instid0(VALU_DEP_1) | instskip(NEXT) | instid1(VALU_DEP_1)
	v_subrev_nc_u32_e32 v2, 28, v1
	v_lshlrev_b64_e32 v[2:3], v2, v[4:5]
	s_delay_alu instid0(VALU_DEP_1)
	v_dual_sub_nc_u32 v1, 29, v1 :: v_dual_bitop2_b32 v4, 7, v2 bitop3:0x40
; %bb.855:                              ;   in Loop: Header=BB232_10 Depth=1
	s_or_b32 exec_lo, exec_lo, s16
	v_lshlrev_b32_e32 v2, 16, v0
	s_delay_alu instid0(VALU_DEP_2) | instskip(NEXT) | instid1(VALU_DEP_3)
	v_lshlrev_b32_e32 v3, 20, v4
	v_lshl_add_u32 v1, v1, 23, 0x3c000000
	s_delay_alu instid0(VALU_DEP_3) | instskip(NEXT) | instid1(VALU_DEP_1)
	v_and_b32_e32 v2, 0x80000000, v2
	v_or3_b32 v3, v3, v2, v1
	v_dual_mov_b32 v1, v5 :: v_dual_mov_b32 v2, v5
	s_clause 0x1
	scratch_store_b64 off, v[0:1], s32 offset:192
	scratch_store_b64 off, v[2:3], s32 offset:1068
.LBB232_856:                            ;   in Loop: Header=BB232_10 Depth=1
	s_wait_xcnt 0x0
	s_or_b32 exec_lo, exec_lo, s15
.LBB232_857:                            ;   in Loop: Header=BB232_10 Depth=1
	s_delay_alu instid0(SALU_CYCLE_1)
	s_or_b32 exec_lo, exec_lo, s11
.LBB232_858:                            ;   in Loop: Header=BB232_10 Depth=1
	s_delay_alu instid0(SALU_CYCLE_1) | instskip(SKIP_3) | instid1(VALU_DEP_1)
	s_or_b32 exec_lo, exec_lo, s4
	v_mov_b64_e32 v[4:5], 0
	v_lshrrev_b32_e32 v1, 16, v0
	s_mov_b32 s4, exec_lo
	v_and_b32_e32 v2, 0xff, v1
	scratch_store_b64 off, v[4:5], s32 offset:1052 ; 8-byte Folded Spill
	s_wait_xcnt 0x0
	v_mov_b64_e32 v[4:5], 0
	scratch_store_b64 off, v[4:5], s32 offset:1060 ; 8-byte Folded Spill
	s_wait_xcnt 0x0
	v_cmpx_ne_u16_e32 0, v2
	s_cbranch_execz .LBB232_866
; %bb.859:                              ;   in Loop: Header=BB232_10 Depth=1
	v_cmp_ne_u16_e64 s1, 0x80, v2
	v_mov_b64_e32 v[2:3], 0x80000000
	scratch_store_b64 off, v[2:3], s32 offset:1060 ; 8-byte Folded Spill
	s_wait_xcnt 0x0
	s_and_saveexec_b32 s11, s1
	s_cbranch_execz .LBB232_865
; %bb.860:                              ;   in Loop: Header=BB232_10 Depth=1
	v_mov_b64_e32 v[4:5], 0x7f800001
	v_bfe_u32 v3, v0, 16, 7
	s_mov_b32 s15, exec_lo
	scratch_store_b64 off, v[4:5], s32 offset:1060 ; 8-byte Folded Spill
	s_wait_xcnt 0x0
	v_cmpx_ne_u32_e32 0x7f, v3
	s_cbranch_execz .LBB232_864
; %bb.861:                              ;   in Loop: Header=BB232_10 Depth=1
	scratch_load_b64 v[6:7], off, s32 offset:192 th:TH_LOAD_LU ; 8-byte Folded Reload
	s_wait_loadcnt 0x0
	v_dual_lshrrev_b32 v2, 3, v3 :: v_dual_bitop2_b32 v6, 7, v1 bitop3:0x40
	s_mov_b32 s16, exec_lo
	s_wait_xcnt 0x0
	v_cmpx_gt_u32_e32 8, v3
; %bb.862:                              ;   in Loop: Header=BB232_10 Depth=1
	s_delay_alu instid0(VALU_DEP_2) | instskip(NEXT) | instid1(VALU_DEP_1)
	v_clz_i32_u32_e32 v2, v6
	v_min_u32_e32 v2, 32, v2
	s_delay_alu instid0(VALU_DEP_1) | instskip(NEXT) | instid1(VALU_DEP_1)
	v_subrev_nc_u32_e32 v3, 28, v2
	v_lshlrev_b64_e32 v[4:5], v3, v[6:7]
	s_delay_alu instid0(VALU_DEP_1)
	v_dual_sub_nc_u32 v2, 29, v2 :: v_dual_bitop2_b32 v6, 7, v4 bitop3:0x40
; %bb.863:                              ;   in Loop: Header=BB232_10 Depth=1
	s_or_b32 exec_lo, exec_lo, s16
	s_delay_alu instid0(VALU_DEP_1) | instskip(NEXT) | instid1(VALU_DEP_2)
	v_dual_lshlrev_b32 v1, 24, v1 :: v_dual_lshlrev_b32 v3, 20, v6
	v_lshl_add_u32 v2, v2, 23, 0x3c000000
	s_delay_alu instid0(VALU_DEP_2) | instskip(NEXT) | instid1(VALU_DEP_1)
	v_and_b32_e32 v1, 0x80000000, v1
	v_or3_b32 v6, v3, v1, v2
	v_mov_b32_e32 v1, v7
	s_clause 0x1
	scratch_store_b64 off, v[0:1], s32 offset:192
	scratch_store_b64 off, v[6:7], s32 offset:1060
.LBB232_864:                            ;   in Loop: Header=BB232_10 Depth=1
	s_wait_xcnt 0x0
	s_or_b32 exec_lo, exec_lo, s15
.LBB232_865:                            ;   in Loop: Header=BB232_10 Depth=1
	s_delay_alu instid0(SALU_CYCLE_1)
	s_or_b32 exec_lo, exec_lo, s11
.LBB232_866:                            ;   in Loop: Header=BB232_10 Depth=1
	s_delay_alu instid0(SALU_CYCLE_1) | instskip(NEXT) | instid1(SALU_CYCLE_1)
	s_or_b32 exec_lo, exec_lo, s4
	s_mov_b32 s4, exec_lo
	v_cmpx_lt_u32_e32 0xffffff, v0
	s_cbranch_execz .LBB232_874
; %bb.867:                              ;   in Loop: Header=BB232_10 Depth=1
	v_mov_b64_e32 v[2:3], 0x8000000000000000
	v_lshrrev_b32_e32 v1, 24, v0
	s_mov_b32 s11, exec_lo
	scratch_store_b64 off, v[2:3], s32 offset:1052 ; 8-byte Folded Spill
	s_wait_xcnt 0x0
	v_cmpx_ne_u32_e32 0x80, v1
	s_cbranch_execz .LBB232_873
; %bb.868:                              ;   in Loop: Header=BB232_10 Depth=1
	v_mov_b64_e32 v[4:5], 0x7f80000100000000
	v_bfe_u32 v2, v0, 24, 7
	s_mov_b32 s15, exec_lo
	scratch_store_b64 off, v[4:5], s32 offset:1052 ; 8-byte Folded Spill
	s_wait_xcnt 0x0
	v_cmpx_ne_u32_e32 0x7f, v2
	s_cbranch_execz .LBB232_872
; %bb.869:                              ;   in Loop: Header=BB232_10 Depth=1
	scratch_load_b64 v[4:5], off, s32 offset:192 th:TH_LOAD_LU ; 8-byte Folded Reload
	s_wait_loadcnt 0x0
	v_dual_lshrrev_b32 v0, 3, v2 :: v_dual_bitop2_b32 v4, 7, v1 bitop3:0x40
	s_mov_b32 s16, exec_lo
	s_wait_xcnt 0x0
	v_cmpx_gt_u32_e32 8, v2
; %bb.870:                              ;   in Loop: Header=BB232_10 Depth=1
	s_delay_alu instid0(VALU_DEP_2) | instskip(NEXT) | instid1(VALU_DEP_1)
	v_clz_i32_u32_e32 v0, v4
	v_min_u32_e32 v0, 32, v0
	s_delay_alu instid0(VALU_DEP_1) | instskip(NEXT) | instid1(VALU_DEP_1)
	v_subrev_nc_u32_e32 v2, 28, v0
	v_lshlrev_b64_e32 v[2:3], v2, v[4:5]
	s_delay_alu instid0(VALU_DEP_1)
	v_dual_sub_nc_u32 v0, 29, v0 :: v_dual_bitop2_b32 v4, 7, v2 bitop3:0x40
; %bb.871:                              ;   in Loop: Header=BB232_10 Depth=1
	s_or_b32 exec_lo, exec_lo, s16
	s_delay_alu instid0(VALU_DEP_1) | instskip(NEXT) | instid1(VALU_DEP_2)
	v_dual_lshlrev_b32 v1, 24, v1 :: v_dual_lshlrev_b32 v2, 20, v4
	v_lshl_add_u32 v0, v0, 23, 0x3c000000
	s_delay_alu instid0(VALU_DEP_2) | instskip(NEXT) | instid1(VALU_DEP_1)
	v_and_b32_e32 v1, 0x80000000, v1
	v_or3_b32 v3, v2, v1, v0
	v_dual_mov_b32 v1, v5 :: v_dual_mov_b32 v2, v5
	s_clause 0x1
	scratch_store_b64 off, v[0:1], s32 offset:192
	scratch_store_b64 off, v[2:3], s32 offset:1052
.LBB232_872:                            ;   in Loop: Header=BB232_10 Depth=1
	s_wait_xcnt 0x0
	s_or_b32 exec_lo, exec_lo, s15
.LBB232_873:                            ;   in Loop: Header=BB232_10 Depth=1
	s_delay_alu instid0(SALU_CYCLE_1)
	s_or_b32 exec_lo, exec_lo, s11
.LBB232_874:                            ;   in Loop: Header=BB232_10 Depth=1
	s_delay_alu instid0(SALU_CYCLE_1)
	s_or_b32 exec_lo, exec_lo, s4
	flat_load_b32 v0, v[66:67] offset:3084
	v_mov_b64_e32 v[2:3], 0
	s_mov_b32 s4, exec_lo
	scratch_store_b64 off, v[2:3], s32 offset:1100 ; 8-byte Folded Spill
	s_wait_xcnt 0x0
	v_mov_b64_e32 v[2:3], 0
	scratch_store_b64 off, v[2:3], s32 offset:1076 ; 8-byte Folded Spill
	s_wait_loadcnt_dscnt 0x0
	v_and_b32_e32 v1, 0xff, v0
	s_wait_xcnt 0x0
	s_delay_alu instid0(VALU_DEP_1)
	v_cmpx_ne_u16_e32 0, v1
	s_cbranch_execz .LBB232_882
; %bb.875:                              ;   in Loop: Header=BB232_10 Depth=1
	v_mov_b64_e32 v[2:3], 0x80000000
	s_mov_b32 s11, exec_lo
	scratch_store_b64 off, v[2:3], s32 offset:1076 ; 8-byte Folded Spill
	s_wait_xcnt 0x0
	v_cmpx_ne_u16_e32 0x80, v1
	s_cbranch_execz .LBB232_881
; %bb.876:                              ;   in Loop: Header=BB232_10 Depth=1
	v_mov_b64_e32 v[4:5], 0x7f800001
	v_and_b32_e32 v2, 0x7f, v0
	s_mov_b32 s15, exec_lo
	scratch_store_b64 off, v[4:5], s32 offset:1076 ; 8-byte Folded Spill
	s_wait_xcnt 0x0
	v_cmpx_ne_u32_e32 0x7f, v2
	s_cbranch_execz .LBB232_880
; %bb.877:                              ;   in Loop: Header=BB232_10 Depth=1
	scratch_load_b64 v[4:5], off, s32 offset:192 th:TH_LOAD_LU ; 8-byte Folded Reload
	s_wait_loadcnt 0x0
	v_dual_lshrrev_b32 v1, 3, v2 :: v_dual_bitop2_b32 v4, 7, v0 bitop3:0x40
	s_mov_b32 s16, exec_lo
	s_wait_xcnt 0x0
	v_cmpx_gt_u32_e32 8, v2
; %bb.878:                              ;   in Loop: Header=BB232_10 Depth=1
	s_delay_alu instid0(VALU_DEP_2) | instskip(NEXT) | instid1(VALU_DEP_1)
	v_clz_i32_u32_e32 v1, v4
	v_min_u32_e32 v1, 32, v1
	s_delay_alu instid0(VALU_DEP_1) | instskip(NEXT) | instid1(VALU_DEP_1)
	v_subrev_nc_u32_e32 v2, 28, v1
	v_lshlrev_b64_e32 v[2:3], v2, v[4:5]
	s_delay_alu instid0(VALU_DEP_1)
	v_dual_sub_nc_u32 v1, 29, v1 :: v_dual_bitop2_b32 v4, 7, v2 bitop3:0x40
; %bb.879:                              ;   in Loop: Header=BB232_10 Depth=1
	s_or_b32 exec_lo, exec_lo, s16
	v_lshlrev_b32_e32 v2, 24, v0
	s_delay_alu instid0(VALU_DEP_2) | instskip(NEXT) | instid1(VALU_DEP_3)
	v_lshlrev_b32_e32 v3, 20, v4
	v_lshl_add_u32 v1, v1, 23, 0x3c000000
	s_delay_alu instid0(VALU_DEP_3) | instskip(NEXT) | instid1(VALU_DEP_1)
	v_and_b32_e32 v2, 0x80000000, v2
	v_or3_b32 v4, v3, v2, v1
	v_mov_b32_e32 v1, v5
	s_clause 0x1
	scratch_store_b64 off, v[0:1], s32 offset:192
	scratch_store_b64 off, v[4:5], s32 offset:1076
.LBB232_880:                            ;   in Loop: Header=BB232_10 Depth=1
	s_wait_xcnt 0x0
	s_or_b32 exec_lo, exec_lo, s15
.LBB232_881:                            ;   in Loop: Header=BB232_10 Depth=1
	s_delay_alu instid0(SALU_CYCLE_1)
	s_or_b32 exec_lo, exec_lo, s11
.LBB232_882:                            ;   in Loop: Header=BB232_10 Depth=1
	s_delay_alu instid0(SALU_CYCLE_1) | instskip(SKIP_2) | instid1(VALU_DEP_1)
	s_or_b32 exec_lo, exec_lo, s4
	v_lshrrev_b16 v1, 8, v0
	s_mov_b32 s4, exec_lo
	v_cmpx_ne_u16_e32 0, v1
	s_cbranch_execz .LBB232_890
; %bb.883:                              ;   in Loop: Header=BB232_10 Depth=1
	v_mov_b64_e32 v[2:3], 0x8000000000000000
	s_mov_b32 s11, exec_lo
	scratch_store_b64 off, v[2:3], s32 offset:1100 ; 8-byte Folded Spill
	s_wait_xcnt 0x0
	v_cmpx_ne_u16_e32 0x80, v1
	s_cbranch_execz .LBB232_889
; %bb.884:                              ;   in Loop: Header=BB232_10 Depth=1
	v_and_b32_e32 v1, 0xffff, v1
	v_mov_b64_e32 v[4:5], 0x7f80000100000000
	s_mov_b32 s15, exec_lo
	s_delay_alu instid0(VALU_DEP_2)
	v_and_b32_e32 v2, 0x7f, v1
	scratch_store_b64 off, v[4:5], s32 offset:1100 ; 8-byte Folded Spill
	s_wait_xcnt 0x0
	v_cmpx_ne_u32_e32 0x7f, v2
	s_cbranch_execz .LBB232_888
; %bb.885:                              ;   in Loop: Header=BB232_10 Depth=1
	scratch_load_b64 v[4:5], off, s32 offset:192 th:TH_LOAD_LU ; 8-byte Folded Reload
	s_wait_loadcnt 0x0
	v_dual_lshrrev_b32 v1, 3, v2 :: v_dual_bitop2_b32 v4, 7, v1 bitop3:0x40
	s_mov_b32 s16, exec_lo
	s_wait_xcnt 0x0
	v_cmpx_gt_u32_e32 8, v2
; %bb.886:                              ;   in Loop: Header=BB232_10 Depth=1
	s_delay_alu instid0(VALU_DEP_2) | instskip(NEXT) | instid1(VALU_DEP_1)
	v_clz_i32_u32_e32 v1, v4
	v_min_u32_e32 v1, 32, v1
	s_delay_alu instid0(VALU_DEP_1) | instskip(NEXT) | instid1(VALU_DEP_1)
	v_subrev_nc_u32_e32 v2, 28, v1
	v_lshlrev_b64_e32 v[2:3], v2, v[4:5]
	s_delay_alu instid0(VALU_DEP_1)
	v_dual_sub_nc_u32 v1, 29, v1 :: v_dual_bitop2_b32 v4, 7, v2 bitop3:0x40
; %bb.887:                              ;   in Loop: Header=BB232_10 Depth=1
	s_or_b32 exec_lo, exec_lo, s16
	v_lshlrev_b32_e32 v2, 16, v0
	s_delay_alu instid0(VALU_DEP_2) | instskip(NEXT) | instid1(VALU_DEP_3)
	v_lshlrev_b32_e32 v3, 20, v4
	v_lshl_add_u32 v1, v1, 23, 0x3c000000
	s_delay_alu instid0(VALU_DEP_3) | instskip(NEXT) | instid1(VALU_DEP_1)
	v_and_b32_e32 v2, 0x80000000, v2
	v_or3_b32 v3, v3, v2, v1
	v_dual_mov_b32 v1, v5 :: v_dual_mov_b32 v2, v5
	s_clause 0x1
	scratch_store_b64 off, v[0:1], s32 offset:192
	scratch_store_b64 off, v[2:3], s32 offset:1100
.LBB232_888:                            ;   in Loop: Header=BB232_10 Depth=1
	s_wait_xcnt 0x0
	s_or_b32 exec_lo, exec_lo, s15
.LBB232_889:                            ;   in Loop: Header=BB232_10 Depth=1
	s_delay_alu instid0(SALU_CYCLE_1)
	s_or_b32 exec_lo, exec_lo, s11
.LBB232_890:                            ;   in Loop: Header=BB232_10 Depth=1
	s_delay_alu instid0(SALU_CYCLE_1) | instskip(SKIP_3) | instid1(VALU_DEP_1)
	s_or_b32 exec_lo, exec_lo, s4
	v_mov_b64_e32 v[4:5], 0
	v_lshrrev_b32_e32 v1, 16, v0
	s_mov_b32 s4, exec_lo
	v_and_b32_e32 v2, 0xff, v1
	scratch_store_b64 off, v[4:5], s32 offset:1084 ; 8-byte Folded Spill
	s_wait_xcnt 0x0
	v_mov_b64_e32 v[4:5], 0
	scratch_store_b64 off, v[4:5], s32 offset:1092 ; 8-byte Folded Spill
	s_wait_xcnt 0x0
	v_cmpx_ne_u16_e32 0, v2
	s_cbranch_execz .LBB232_898
; %bb.891:                              ;   in Loop: Header=BB232_10 Depth=1
	v_cmp_ne_u16_e64 s1, 0x80, v2
	v_mov_b64_e32 v[2:3], 0x80000000
	scratch_store_b64 off, v[2:3], s32 offset:1092 ; 8-byte Folded Spill
	s_wait_xcnt 0x0
	s_and_saveexec_b32 s11, s1
	s_cbranch_execz .LBB232_897
; %bb.892:                              ;   in Loop: Header=BB232_10 Depth=1
	v_mov_b64_e32 v[4:5], 0x7f800001
	v_bfe_u32 v3, v0, 16, 7
	s_mov_b32 s15, exec_lo
	scratch_store_b64 off, v[4:5], s32 offset:1092 ; 8-byte Folded Spill
	s_wait_xcnt 0x0
	v_cmpx_ne_u32_e32 0x7f, v3
	s_cbranch_execz .LBB232_896
; %bb.893:                              ;   in Loop: Header=BB232_10 Depth=1
	scratch_load_b64 v[6:7], off, s32 offset:192 th:TH_LOAD_LU ; 8-byte Folded Reload
	s_wait_loadcnt 0x0
	v_dual_lshrrev_b32 v2, 3, v3 :: v_dual_bitop2_b32 v6, 7, v1 bitop3:0x40
	s_mov_b32 s16, exec_lo
	s_wait_xcnt 0x0
	v_cmpx_gt_u32_e32 8, v3
; %bb.894:                              ;   in Loop: Header=BB232_10 Depth=1
	s_delay_alu instid0(VALU_DEP_2) | instskip(NEXT) | instid1(VALU_DEP_1)
	v_clz_i32_u32_e32 v2, v6
	v_min_u32_e32 v2, 32, v2
	s_delay_alu instid0(VALU_DEP_1) | instskip(NEXT) | instid1(VALU_DEP_1)
	v_subrev_nc_u32_e32 v3, 28, v2
	v_lshlrev_b64_e32 v[4:5], v3, v[6:7]
	s_delay_alu instid0(VALU_DEP_1)
	v_dual_sub_nc_u32 v2, 29, v2 :: v_dual_bitop2_b32 v6, 7, v4 bitop3:0x40
; %bb.895:                              ;   in Loop: Header=BB232_10 Depth=1
	s_or_b32 exec_lo, exec_lo, s16
	s_delay_alu instid0(VALU_DEP_1) | instskip(NEXT) | instid1(VALU_DEP_2)
	v_dual_lshlrev_b32 v1, 24, v1 :: v_dual_lshlrev_b32 v3, 20, v6
	v_lshl_add_u32 v2, v2, 23, 0x3c000000
	s_delay_alu instid0(VALU_DEP_2) | instskip(NEXT) | instid1(VALU_DEP_1)
	v_and_b32_e32 v1, 0x80000000, v1
	v_or3_b32 v6, v3, v1, v2
	v_mov_b32_e32 v1, v7
	s_clause 0x1
	scratch_store_b64 off, v[0:1], s32 offset:192
	scratch_store_b64 off, v[6:7], s32 offset:1092
.LBB232_896:                            ;   in Loop: Header=BB232_10 Depth=1
	s_wait_xcnt 0x0
	s_or_b32 exec_lo, exec_lo, s15
.LBB232_897:                            ;   in Loop: Header=BB232_10 Depth=1
	s_delay_alu instid0(SALU_CYCLE_1)
	s_or_b32 exec_lo, exec_lo, s11
.LBB232_898:                            ;   in Loop: Header=BB232_10 Depth=1
	s_delay_alu instid0(SALU_CYCLE_1) | instskip(NEXT) | instid1(SALU_CYCLE_1)
	s_or_b32 exec_lo, exec_lo, s4
	s_mov_b32 s4, exec_lo
	v_cmpx_lt_u32_e32 0xffffff, v0
	s_cbranch_execz .LBB232_906
; %bb.899:                              ;   in Loop: Header=BB232_10 Depth=1
	v_mov_b64_e32 v[2:3], 0x8000000000000000
	v_lshrrev_b32_e32 v1, 24, v0
	s_mov_b32 s11, exec_lo
	scratch_store_b64 off, v[2:3], s32 offset:1084 ; 8-byte Folded Spill
	s_wait_xcnt 0x0
	v_cmpx_ne_u32_e32 0x80, v1
	s_cbranch_execz .LBB232_905
; %bb.900:                              ;   in Loop: Header=BB232_10 Depth=1
	v_mov_b64_e32 v[4:5], 0x7f80000100000000
	v_bfe_u32 v2, v0, 24, 7
	s_mov_b32 s15, exec_lo
	scratch_store_b64 off, v[4:5], s32 offset:1084 ; 8-byte Folded Spill
	s_wait_xcnt 0x0
	v_cmpx_ne_u32_e32 0x7f, v2
	s_cbranch_execz .LBB232_904
; %bb.901:                              ;   in Loop: Header=BB232_10 Depth=1
	scratch_load_b64 v[4:5], off, s32 offset:192 th:TH_LOAD_LU ; 8-byte Folded Reload
	s_wait_loadcnt 0x0
	v_dual_lshrrev_b32 v0, 3, v2 :: v_dual_bitop2_b32 v4, 7, v1 bitop3:0x40
	s_mov_b32 s16, exec_lo
	s_wait_xcnt 0x0
	v_cmpx_gt_u32_e32 8, v2
; %bb.902:                              ;   in Loop: Header=BB232_10 Depth=1
	s_delay_alu instid0(VALU_DEP_2) | instskip(NEXT) | instid1(VALU_DEP_1)
	v_clz_i32_u32_e32 v0, v4
	v_min_u32_e32 v0, 32, v0
	s_delay_alu instid0(VALU_DEP_1) | instskip(NEXT) | instid1(VALU_DEP_1)
	v_subrev_nc_u32_e32 v2, 28, v0
	v_lshlrev_b64_e32 v[2:3], v2, v[4:5]
	s_delay_alu instid0(VALU_DEP_1)
	v_dual_sub_nc_u32 v0, 29, v0 :: v_dual_bitop2_b32 v4, 7, v2 bitop3:0x40
; %bb.903:                              ;   in Loop: Header=BB232_10 Depth=1
	s_or_b32 exec_lo, exec_lo, s16
	s_delay_alu instid0(VALU_DEP_1) | instskip(NEXT) | instid1(VALU_DEP_2)
	v_dual_lshlrev_b32 v1, 24, v1 :: v_dual_lshlrev_b32 v2, 20, v4
	v_lshl_add_u32 v0, v0, 23, 0x3c000000
	s_delay_alu instid0(VALU_DEP_2) | instskip(NEXT) | instid1(VALU_DEP_1)
	v_and_b32_e32 v1, 0x80000000, v1
	v_or3_b32 v3, v2, v1, v0
	v_dual_mov_b32 v1, v5 :: v_dual_mov_b32 v2, v5
	s_clause 0x1
	scratch_store_b64 off, v[0:1], s32 offset:192
	scratch_store_b64 off, v[2:3], s32 offset:1084
.LBB232_904:                            ;   in Loop: Header=BB232_10 Depth=1
	s_wait_xcnt 0x0
	s_or_b32 exec_lo, exec_lo, s15
.LBB232_905:                            ;   in Loop: Header=BB232_10 Depth=1
	s_delay_alu instid0(SALU_CYCLE_1)
	s_or_b32 exec_lo, exec_lo, s11
.LBB232_906:                            ;   in Loop: Header=BB232_10 Depth=1
	s_delay_alu instid0(SALU_CYCLE_1)
	s_or_b32 exec_lo, exec_lo, s4
	flat_load_b32 v0, v[66:67] offset:3584
	v_mov_b64_e32 v[2:3], 0
	s_mov_b32 s4, exec_lo
	scratch_store_b64 off, v[2:3], s32 offset:1132 ; 8-byte Folded Spill
	s_wait_xcnt 0x0
	v_mov_b64_e32 v[2:3], 0
	scratch_store_b64 off, v[2:3], s32 offset:1108 ; 8-byte Folded Spill
	s_wait_loadcnt_dscnt 0x0
	v_and_b32_e32 v1, 0xff, v0
	s_wait_xcnt 0x0
	s_delay_alu instid0(VALU_DEP_1)
	v_cmpx_ne_u16_e32 0, v1
	s_cbranch_execz .LBB232_914
; %bb.907:                              ;   in Loop: Header=BB232_10 Depth=1
	v_mov_b64_e32 v[2:3], 0x80000000
	s_mov_b32 s11, exec_lo
	scratch_store_b64 off, v[2:3], s32 offset:1108 ; 8-byte Folded Spill
	s_wait_xcnt 0x0
	v_cmpx_ne_u16_e32 0x80, v1
	s_cbranch_execz .LBB232_913
; %bb.908:                              ;   in Loop: Header=BB232_10 Depth=1
	v_mov_b64_e32 v[4:5], 0x7f800001
	v_and_b32_e32 v2, 0x7f, v0
	s_mov_b32 s15, exec_lo
	scratch_store_b64 off, v[4:5], s32 offset:1108 ; 8-byte Folded Spill
	s_wait_xcnt 0x0
	v_cmpx_ne_u32_e32 0x7f, v2
	s_cbranch_execz .LBB232_912
; %bb.909:                              ;   in Loop: Header=BB232_10 Depth=1
	scratch_load_b64 v[4:5], off, s32 offset:192 th:TH_LOAD_LU ; 8-byte Folded Reload
	s_wait_loadcnt 0x0
	v_dual_lshrrev_b32 v1, 3, v2 :: v_dual_bitop2_b32 v4, 7, v0 bitop3:0x40
	s_mov_b32 s16, exec_lo
	s_wait_xcnt 0x0
	v_cmpx_gt_u32_e32 8, v2
; %bb.910:                              ;   in Loop: Header=BB232_10 Depth=1
	s_delay_alu instid0(VALU_DEP_2) | instskip(NEXT) | instid1(VALU_DEP_1)
	v_clz_i32_u32_e32 v1, v4
	v_min_u32_e32 v1, 32, v1
	s_delay_alu instid0(VALU_DEP_1) | instskip(NEXT) | instid1(VALU_DEP_1)
	v_subrev_nc_u32_e32 v2, 28, v1
	v_lshlrev_b64_e32 v[2:3], v2, v[4:5]
	s_delay_alu instid0(VALU_DEP_1)
	v_dual_sub_nc_u32 v1, 29, v1 :: v_dual_bitop2_b32 v4, 7, v2 bitop3:0x40
; %bb.911:                              ;   in Loop: Header=BB232_10 Depth=1
	s_or_b32 exec_lo, exec_lo, s16
	v_lshlrev_b32_e32 v2, 24, v0
	s_delay_alu instid0(VALU_DEP_2) | instskip(NEXT) | instid1(VALU_DEP_3)
	v_lshlrev_b32_e32 v3, 20, v4
	v_lshl_add_u32 v1, v1, 23, 0x3c000000
	s_delay_alu instid0(VALU_DEP_3) | instskip(NEXT) | instid1(VALU_DEP_1)
	v_and_b32_e32 v2, 0x80000000, v2
	v_or3_b32 v4, v3, v2, v1
	v_mov_b32_e32 v1, v5
	s_clause 0x1
	scratch_store_b64 off, v[0:1], s32 offset:192
	scratch_store_b64 off, v[4:5], s32 offset:1108
.LBB232_912:                            ;   in Loop: Header=BB232_10 Depth=1
	s_wait_xcnt 0x0
	s_or_b32 exec_lo, exec_lo, s15
.LBB232_913:                            ;   in Loop: Header=BB232_10 Depth=1
	s_delay_alu instid0(SALU_CYCLE_1)
	s_or_b32 exec_lo, exec_lo, s11
.LBB232_914:                            ;   in Loop: Header=BB232_10 Depth=1
	s_delay_alu instid0(SALU_CYCLE_1) | instskip(SKIP_2) | instid1(VALU_DEP_1)
	s_or_b32 exec_lo, exec_lo, s4
	v_lshrrev_b16 v1, 8, v0
	s_mov_b32 s4, exec_lo
	v_cmpx_ne_u16_e32 0, v1
	s_cbranch_execz .LBB232_922
; %bb.915:                              ;   in Loop: Header=BB232_10 Depth=1
	v_mov_b64_e32 v[2:3], 0x8000000000000000
	s_mov_b32 s11, exec_lo
	scratch_store_b64 off, v[2:3], s32 offset:1132 ; 8-byte Folded Spill
	s_wait_xcnt 0x0
	v_cmpx_ne_u16_e32 0x80, v1
	s_cbranch_execz .LBB232_921
; %bb.916:                              ;   in Loop: Header=BB232_10 Depth=1
	v_and_b32_e32 v1, 0xffff, v1
	v_mov_b64_e32 v[4:5], 0x7f80000100000000
	s_mov_b32 s15, exec_lo
	s_delay_alu instid0(VALU_DEP_2)
	v_and_b32_e32 v2, 0x7f, v1
	scratch_store_b64 off, v[4:5], s32 offset:1132 ; 8-byte Folded Spill
	s_wait_xcnt 0x0
	v_cmpx_ne_u32_e32 0x7f, v2
	s_cbranch_execz .LBB232_920
; %bb.917:                              ;   in Loop: Header=BB232_10 Depth=1
	scratch_load_b64 v[4:5], off, s32 offset:192 th:TH_LOAD_LU ; 8-byte Folded Reload
	s_wait_loadcnt 0x0
	v_dual_lshrrev_b32 v1, 3, v2 :: v_dual_bitop2_b32 v4, 7, v1 bitop3:0x40
	s_mov_b32 s16, exec_lo
	s_wait_xcnt 0x0
	v_cmpx_gt_u32_e32 8, v2
; %bb.918:                              ;   in Loop: Header=BB232_10 Depth=1
	s_delay_alu instid0(VALU_DEP_2) | instskip(NEXT) | instid1(VALU_DEP_1)
	v_clz_i32_u32_e32 v1, v4
	v_min_u32_e32 v1, 32, v1
	s_delay_alu instid0(VALU_DEP_1) | instskip(NEXT) | instid1(VALU_DEP_1)
	v_subrev_nc_u32_e32 v2, 28, v1
	v_lshlrev_b64_e32 v[2:3], v2, v[4:5]
	s_delay_alu instid0(VALU_DEP_1)
	v_dual_sub_nc_u32 v1, 29, v1 :: v_dual_bitop2_b32 v4, 7, v2 bitop3:0x40
; %bb.919:                              ;   in Loop: Header=BB232_10 Depth=1
	s_or_b32 exec_lo, exec_lo, s16
	v_lshlrev_b32_e32 v2, 16, v0
	s_delay_alu instid0(VALU_DEP_2) | instskip(NEXT) | instid1(VALU_DEP_3)
	v_lshlrev_b32_e32 v3, 20, v4
	v_lshl_add_u32 v1, v1, 23, 0x3c000000
	s_delay_alu instid0(VALU_DEP_3) | instskip(NEXT) | instid1(VALU_DEP_1)
	v_and_b32_e32 v2, 0x80000000, v2
	v_or3_b32 v3, v3, v2, v1
	v_dual_mov_b32 v1, v5 :: v_dual_mov_b32 v2, v5
	s_clause 0x1
	scratch_store_b64 off, v[0:1], s32 offset:192
	scratch_store_b64 off, v[2:3], s32 offset:1132
.LBB232_920:                            ;   in Loop: Header=BB232_10 Depth=1
	s_wait_xcnt 0x0
	s_or_b32 exec_lo, exec_lo, s15
.LBB232_921:                            ;   in Loop: Header=BB232_10 Depth=1
	s_delay_alu instid0(SALU_CYCLE_1)
	s_or_b32 exec_lo, exec_lo, s11
.LBB232_922:                            ;   in Loop: Header=BB232_10 Depth=1
	s_delay_alu instid0(SALU_CYCLE_1) | instskip(SKIP_3) | instid1(VALU_DEP_1)
	s_or_b32 exec_lo, exec_lo, s4
	v_mov_b64_e32 v[4:5], 0
	v_lshrrev_b32_e32 v1, 16, v0
	s_mov_b32 s4, exec_lo
	v_and_b32_e32 v2, 0xff, v1
	scratch_store_b64 off, v[4:5], s32 offset:1116 ; 8-byte Folded Spill
	s_wait_xcnt 0x0
	v_mov_b64_e32 v[4:5], 0
	scratch_store_b64 off, v[4:5], s32 offset:1124 ; 8-byte Folded Spill
	s_wait_xcnt 0x0
	v_cmpx_ne_u16_e32 0, v2
	s_cbranch_execz .LBB232_930
; %bb.923:                              ;   in Loop: Header=BB232_10 Depth=1
	v_cmp_ne_u16_e64 s1, 0x80, v2
	v_mov_b64_e32 v[2:3], 0x80000000
	scratch_store_b64 off, v[2:3], s32 offset:1124 ; 8-byte Folded Spill
	s_wait_xcnt 0x0
	s_and_saveexec_b32 s11, s1
	s_cbranch_execz .LBB232_929
; %bb.924:                              ;   in Loop: Header=BB232_10 Depth=1
	v_mov_b64_e32 v[4:5], 0x7f800001
	v_bfe_u32 v3, v0, 16, 7
	s_mov_b32 s15, exec_lo
	scratch_store_b64 off, v[4:5], s32 offset:1124 ; 8-byte Folded Spill
	s_wait_xcnt 0x0
	v_cmpx_ne_u32_e32 0x7f, v3
	s_cbranch_execz .LBB232_928
; %bb.925:                              ;   in Loop: Header=BB232_10 Depth=1
	scratch_load_b64 v[6:7], off, s32 offset:192 th:TH_LOAD_LU ; 8-byte Folded Reload
	s_wait_loadcnt 0x0
	v_dual_lshrrev_b32 v2, 3, v3 :: v_dual_bitop2_b32 v6, 7, v1 bitop3:0x40
	s_mov_b32 s16, exec_lo
	s_wait_xcnt 0x0
	v_cmpx_gt_u32_e32 8, v3
; %bb.926:                              ;   in Loop: Header=BB232_10 Depth=1
	s_delay_alu instid0(VALU_DEP_2) | instskip(NEXT) | instid1(VALU_DEP_1)
	v_clz_i32_u32_e32 v2, v6
	v_min_u32_e32 v2, 32, v2
	s_delay_alu instid0(VALU_DEP_1) | instskip(NEXT) | instid1(VALU_DEP_1)
	v_subrev_nc_u32_e32 v3, 28, v2
	v_lshlrev_b64_e32 v[4:5], v3, v[6:7]
	s_delay_alu instid0(VALU_DEP_1)
	v_dual_sub_nc_u32 v2, 29, v2 :: v_dual_bitop2_b32 v6, 7, v4 bitop3:0x40
; %bb.927:                              ;   in Loop: Header=BB232_10 Depth=1
	s_or_b32 exec_lo, exec_lo, s16
	s_delay_alu instid0(VALU_DEP_1) | instskip(NEXT) | instid1(VALU_DEP_2)
	v_dual_lshlrev_b32 v1, 24, v1 :: v_dual_lshlrev_b32 v3, 20, v6
	v_lshl_add_u32 v2, v2, 23, 0x3c000000
	s_delay_alu instid0(VALU_DEP_2) | instskip(NEXT) | instid1(VALU_DEP_1)
	v_and_b32_e32 v1, 0x80000000, v1
	v_or3_b32 v6, v3, v1, v2
	v_mov_b32_e32 v1, v7
	s_clause 0x1
	scratch_store_b64 off, v[0:1], s32 offset:192
	scratch_store_b64 off, v[6:7], s32 offset:1124
.LBB232_928:                            ;   in Loop: Header=BB232_10 Depth=1
	s_wait_xcnt 0x0
	s_or_b32 exec_lo, exec_lo, s15
.LBB232_929:                            ;   in Loop: Header=BB232_10 Depth=1
	s_delay_alu instid0(SALU_CYCLE_1)
	s_or_b32 exec_lo, exec_lo, s11
.LBB232_930:                            ;   in Loop: Header=BB232_10 Depth=1
	s_delay_alu instid0(SALU_CYCLE_1) | instskip(NEXT) | instid1(SALU_CYCLE_1)
	s_or_b32 exec_lo, exec_lo, s4
	s_mov_b32 s4, exec_lo
	v_cmpx_lt_u32_e32 0xffffff, v0
	s_cbranch_execz .LBB232_938
; %bb.931:                              ;   in Loop: Header=BB232_10 Depth=1
	v_mov_b64_e32 v[2:3], 0x8000000000000000
	v_lshrrev_b32_e32 v1, 24, v0
	s_mov_b32 s11, exec_lo
	scratch_store_b64 off, v[2:3], s32 offset:1116 ; 8-byte Folded Spill
	s_wait_xcnt 0x0
	v_cmpx_ne_u32_e32 0x80, v1
	s_cbranch_execz .LBB232_937
; %bb.932:                              ;   in Loop: Header=BB232_10 Depth=1
	v_mov_b64_e32 v[4:5], 0x7f80000100000000
	v_bfe_u32 v2, v0, 24, 7
	s_mov_b32 s15, exec_lo
	scratch_store_b64 off, v[4:5], s32 offset:1116 ; 8-byte Folded Spill
	s_wait_xcnt 0x0
	v_cmpx_ne_u32_e32 0x7f, v2
	s_cbranch_execz .LBB232_936
; %bb.933:                              ;   in Loop: Header=BB232_10 Depth=1
	scratch_load_b64 v[4:5], off, s32 offset:192 th:TH_LOAD_LU ; 8-byte Folded Reload
	s_wait_loadcnt 0x0
	v_dual_lshrrev_b32 v0, 3, v2 :: v_dual_bitop2_b32 v4, 7, v1 bitop3:0x40
	s_mov_b32 s16, exec_lo
	s_wait_xcnt 0x0
	v_cmpx_gt_u32_e32 8, v2
; %bb.934:                              ;   in Loop: Header=BB232_10 Depth=1
	s_delay_alu instid0(VALU_DEP_2) | instskip(NEXT) | instid1(VALU_DEP_1)
	v_clz_i32_u32_e32 v0, v4
	v_min_u32_e32 v0, 32, v0
	s_delay_alu instid0(VALU_DEP_1) | instskip(NEXT) | instid1(VALU_DEP_1)
	v_subrev_nc_u32_e32 v2, 28, v0
	v_lshlrev_b64_e32 v[2:3], v2, v[4:5]
	s_delay_alu instid0(VALU_DEP_1)
	v_dual_sub_nc_u32 v0, 29, v0 :: v_dual_bitop2_b32 v4, 7, v2 bitop3:0x40
; %bb.935:                              ;   in Loop: Header=BB232_10 Depth=1
	s_or_b32 exec_lo, exec_lo, s16
	s_delay_alu instid0(VALU_DEP_1) | instskip(NEXT) | instid1(VALU_DEP_2)
	v_dual_lshlrev_b32 v1, 24, v1 :: v_dual_lshlrev_b32 v2, 20, v4
	v_lshl_add_u32 v0, v0, 23, 0x3c000000
	s_delay_alu instid0(VALU_DEP_2) | instskip(NEXT) | instid1(VALU_DEP_1)
	v_and_b32_e32 v1, 0x80000000, v1
	v_or3_b32 v3, v2, v1, v0
	v_dual_mov_b32 v1, v5 :: v_dual_mov_b32 v2, v5
	s_clause 0x1
	scratch_store_b64 off, v[0:1], s32 offset:192
	scratch_store_b64 off, v[2:3], s32 offset:1116
.LBB232_936:                            ;   in Loop: Header=BB232_10 Depth=1
	s_wait_xcnt 0x0
	s_or_b32 exec_lo, exec_lo, s15
.LBB232_937:                            ;   in Loop: Header=BB232_10 Depth=1
	s_delay_alu instid0(SALU_CYCLE_1)
	s_or_b32 exec_lo, exec_lo, s11
.LBB232_938:                            ;   in Loop: Header=BB232_10 Depth=1
	s_delay_alu instid0(SALU_CYCLE_1)
	s_or_b32 exec_lo, exec_lo, s4
	flat_load_b32 v0, v[66:67] offset:3588
	v_mov_b64_e32 v[2:3], 0
	s_mov_b32 s4, exec_lo
	scratch_store_b64 off, v[2:3], s32 offset:1164 ; 8-byte Folded Spill
	s_wait_xcnt 0x0
	v_mov_b64_e32 v[2:3], 0
	scratch_store_b64 off, v[2:3], s32 offset:1140 ; 8-byte Folded Spill
	s_wait_loadcnt_dscnt 0x0
	v_and_b32_e32 v1, 0xff, v0
	s_wait_xcnt 0x0
	s_delay_alu instid0(VALU_DEP_1)
	v_cmpx_ne_u16_e32 0, v1
	s_cbranch_execz .LBB232_946
; %bb.939:                              ;   in Loop: Header=BB232_10 Depth=1
	v_mov_b64_e32 v[2:3], 0x80000000
	s_mov_b32 s11, exec_lo
	scratch_store_b64 off, v[2:3], s32 offset:1140 ; 8-byte Folded Spill
	s_wait_xcnt 0x0
	v_cmpx_ne_u16_e32 0x80, v1
	s_cbranch_execz .LBB232_945
; %bb.940:                              ;   in Loop: Header=BB232_10 Depth=1
	v_mov_b64_e32 v[4:5], 0x7f800001
	v_and_b32_e32 v2, 0x7f, v0
	s_mov_b32 s15, exec_lo
	scratch_store_b64 off, v[4:5], s32 offset:1140 ; 8-byte Folded Spill
	s_wait_xcnt 0x0
	v_cmpx_ne_u32_e32 0x7f, v2
	s_cbranch_execz .LBB232_944
; %bb.941:                              ;   in Loop: Header=BB232_10 Depth=1
	scratch_load_b64 v[4:5], off, s32 offset:192 th:TH_LOAD_LU ; 8-byte Folded Reload
	s_wait_loadcnt 0x0
	v_dual_lshrrev_b32 v1, 3, v2 :: v_dual_bitop2_b32 v4, 7, v0 bitop3:0x40
	s_mov_b32 s16, exec_lo
	s_wait_xcnt 0x0
	v_cmpx_gt_u32_e32 8, v2
; %bb.942:                              ;   in Loop: Header=BB232_10 Depth=1
	s_delay_alu instid0(VALU_DEP_2) | instskip(NEXT) | instid1(VALU_DEP_1)
	v_clz_i32_u32_e32 v1, v4
	v_min_u32_e32 v1, 32, v1
	s_delay_alu instid0(VALU_DEP_1) | instskip(NEXT) | instid1(VALU_DEP_1)
	v_subrev_nc_u32_e32 v2, 28, v1
	v_lshlrev_b64_e32 v[2:3], v2, v[4:5]
	s_delay_alu instid0(VALU_DEP_1)
	v_dual_sub_nc_u32 v1, 29, v1 :: v_dual_bitop2_b32 v4, 7, v2 bitop3:0x40
; %bb.943:                              ;   in Loop: Header=BB232_10 Depth=1
	s_or_b32 exec_lo, exec_lo, s16
	v_lshlrev_b32_e32 v2, 24, v0
	s_delay_alu instid0(VALU_DEP_2) | instskip(NEXT) | instid1(VALU_DEP_3)
	v_lshlrev_b32_e32 v3, 20, v4
	v_lshl_add_u32 v1, v1, 23, 0x3c000000
	s_delay_alu instid0(VALU_DEP_3) | instskip(NEXT) | instid1(VALU_DEP_1)
	v_and_b32_e32 v2, 0x80000000, v2
	v_or3_b32 v4, v3, v2, v1
	v_mov_b32_e32 v1, v5
	s_clause 0x1
	scratch_store_b64 off, v[0:1], s32 offset:192
	scratch_store_b64 off, v[4:5], s32 offset:1140
.LBB232_944:                            ;   in Loop: Header=BB232_10 Depth=1
	s_wait_xcnt 0x0
	s_or_b32 exec_lo, exec_lo, s15
.LBB232_945:                            ;   in Loop: Header=BB232_10 Depth=1
	s_delay_alu instid0(SALU_CYCLE_1)
	s_or_b32 exec_lo, exec_lo, s11
.LBB232_946:                            ;   in Loop: Header=BB232_10 Depth=1
	s_delay_alu instid0(SALU_CYCLE_1) | instskip(SKIP_2) | instid1(VALU_DEP_1)
	s_or_b32 exec_lo, exec_lo, s4
	v_lshrrev_b16 v1, 8, v0
	s_mov_b32 s4, exec_lo
	v_cmpx_ne_u16_e32 0, v1
	s_cbranch_execz .LBB232_954
; %bb.947:                              ;   in Loop: Header=BB232_10 Depth=1
	v_mov_b64_e32 v[2:3], 0x8000000000000000
	s_mov_b32 s11, exec_lo
	scratch_store_b64 off, v[2:3], s32 offset:1164 ; 8-byte Folded Spill
	s_wait_xcnt 0x0
	v_cmpx_ne_u16_e32 0x80, v1
	s_cbranch_execz .LBB232_953
; %bb.948:                              ;   in Loop: Header=BB232_10 Depth=1
	v_and_b32_e32 v1, 0xffff, v1
	v_mov_b64_e32 v[4:5], 0x7f80000100000000
	s_mov_b32 s15, exec_lo
	s_delay_alu instid0(VALU_DEP_2)
	v_and_b32_e32 v2, 0x7f, v1
	scratch_store_b64 off, v[4:5], s32 offset:1164 ; 8-byte Folded Spill
	s_wait_xcnt 0x0
	v_cmpx_ne_u32_e32 0x7f, v2
	s_cbranch_execz .LBB232_952
; %bb.949:                              ;   in Loop: Header=BB232_10 Depth=1
	scratch_load_b64 v[4:5], off, s32 offset:192 th:TH_LOAD_LU ; 8-byte Folded Reload
	s_wait_loadcnt 0x0
	v_dual_lshrrev_b32 v1, 3, v2 :: v_dual_bitop2_b32 v4, 7, v1 bitop3:0x40
	s_mov_b32 s16, exec_lo
	s_wait_xcnt 0x0
	v_cmpx_gt_u32_e32 8, v2
; %bb.950:                              ;   in Loop: Header=BB232_10 Depth=1
	s_delay_alu instid0(VALU_DEP_2) | instskip(NEXT) | instid1(VALU_DEP_1)
	v_clz_i32_u32_e32 v1, v4
	v_min_u32_e32 v1, 32, v1
	s_delay_alu instid0(VALU_DEP_1) | instskip(NEXT) | instid1(VALU_DEP_1)
	v_subrev_nc_u32_e32 v2, 28, v1
	v_lshlrev_b64_e32 v[2:3], v2, v[4:5]
	s_delay_alu instid0(VALU_DEP_1)
	v_dual_sub_nc_u32 v1, 29, v1 :: v_dual_bitop2_b32 v4, 7, v2 bitop3:0x40
; %bb.951:                              ;   in Loop: Header=BB232_10 Depth=1
	s_or_b32 exec_lo, exec_lo, s16
	v_lshlrev_b32_e32 v2, 16, v0
	s_delay_alu instid0(VALU_DEP_2) | instskip(NEXT) | instid1(VALU_DEP_3)
	v_lshlrev_b32_e32 v3, 20, v4
	v_lshl_add_u32 v1, v1, 23, 0x3c000000
	s_delay_alu instid0(VALU_DEP_3) | instskip(NEXT) | instid1(VALU_DEP_1)
	v_and_b32_e32 v2, 0x80000000, v2
	v_or3_b32 v3, v3, v2, v1
	v_dual_mov_b32 v1, v5 :: v_dual_mov_b32 v2, v5
	s_clause 0x1
	scratch_store_b64 off, v[0:1], s32 offset:192
	scratch_store_b64 off, v[2:3], s32 offset:1164
.LBB232_952:                            ;   in Loop: Header=BB232_10 Depth=1
	s_wait_xcnt 0x0
	s_or_b32 exec_lo, exec_lo, s15
.LBB232_953:                            ;   in Loop: Header=BB232_10 Depth=1
	s_delay_alu instid0(SALU_CYCLE_1)
	s_or_b32 exec_lo, exec_lo, s11
.LBB232_954:                            ;   in Loop: Header=BB232_10 Depth=1
	s_delay_alu instid0(SALU_CYCLE_1) | instskip(SKIP_3) | instid1(VALU_DEP_1)
	s_or_b32 exec_lo, exec_lo, s4
	v_mov_b64_e32 v[4:5], 0
	v_lshrrev_b32_e32 v1, 16, v0
	s_mov_b32 s4, exec_lo
	v_and_b32_e32 v2, 0xff, v1
	scratch_store_b64 off, v[4:5], s32 offset:1148 ; 8-byte Folded Spill
	s_wait_xcnt 0x0
	v_mov_b64_e32 v[4:5], 0
	scratch_store_b64 off, v[4:5], s32 offset:1156 ; 8-byte Folded Spill
	s_wait_xcnt 0x0
	v_cmpx_ne_u16_e32 0, v2
	s_cbranch_execz .LBB232_962
; %bb.955:                              ;   in Loop: Header=BB232_10 Depth=1
	v_cmp_ne_u16_e64 s1, 0x80, v2
	v_mov_b64_e32 v[2:3], 0x80000000
	scratch_store_b64 off, v[2:3], s32 offset:1156 ; 8-byte Folded Spill
	s_wait_xcnt 0x0
	s_and_saveexec_b32 s11, s1
	s_cbranch_execz .LBB232_961
; %bb.956:                              ;   in Loop: Header=BB232_10 Depth=1
	v_mov_b64_e32 v[4:5], 0x7f800001
	v_bfe_u32 v3, v0, 16, 7
	s_mov_b32 s15, exec_lo
	scratch_store_b64 off, v[4:5], s32 offset:1156 ; 8-byte Folded Spill
	s_wait_xcnt 0x0
	v_cmpx_ne_u32_e32 0x7f, v3
	s_cbranch_execz .LBB232_960
; %bb.957:                              ;   in Loop: Header=BB232_10 Depth=1
	scratch_load_b64 v[6:7], off, s32 offset:192 th:TH_LOAD_LU ; 8-byte Folded Reload
	s_wait_loadcnt 0x0
	v_dual_lshrrev_b32 v2, 3, v3 :: v_dual_bitop2_b32 v6, 7, v1 bitop3:0x40
	s_mov_b32 s16, exec_lo
	s_wait_xcnt 0x0
	v_cmpx_gt_u32_e32 8, v3
; %bb.958:                              ;   in Loop: Header=BB232_10 Depth=1
	s_delay_alu instid0(VALU_DEP_2) | instskip(NEXT) | instid1(VALU_DEP_1)
	v_clz_i32_u32_e32 v2, v6
	v_min_u32_e32 v2, 32, v2
	s_delay_alu instid0(VALU_DEP_1) | instskip(NEXT) | instid1(VALU_DEP_1)
	v_subrev_nc_u32_e32 v3, 28, v2
	v_lshlrev_b64_e32 v[4:5], v3, v[6:7]
	s_delay_alu instid0(VALU_DEP_1)
	v_dual_sub_nc_u32 v2, 29, v2 :: v_dual_bitop2_b32 v6, 7, v4 bitop3:0x40
; %bb.959:                              ;   in Loop: Header=BB232_10 Depth=1
	s_or_b32 exec_lo, exec_lo, s16
	s_delay_alu instid0(VALU_DEP_1) | instskip(NEXT) | instid1(VALU_DEP_2)
	v_dual_lshlrev_b32 v1, 24, v1 :: v_dual_lshlrev_b32 v3, 20, v6
	v_lshl_add_u32 v2, v2, 23, 0x3c000000
	s_delay_alu instid0(VALU_DEP_2) | instskip(NEXT) | instid1(VALU_DEP_1)
	v_and_b32_e32 v1, 0x80000000, v1
	v_or3_b32 v6, v3, v1, v2
	v_mov_b32_e32 v1, v7
	s_clause 0x1
	scratch_store_b64 off, v[0:1], s32 offset:192
	scratch_store_b64 off, v[6:7], s32 offset:1156
.LBB232_960:                            ;   in Loop: Header=BB232_10 Depth=1
	s_wait_xcnt 0x0
	s_or_b32 exec_lo, exec_lo, s15
.LBB232_961:                            ;   in Loop: Header=BB232_10 Depth=1
	s_delay_alu instid0(SALU_CYCLE_1)
	s_or_b32 exec_lo, exec_lo, s11
.LBB232_962:                            ;   in Loop: Header=BB232_10 Depth=1
	s_delay_alu instid0(SALU_CYCLE_1) | instskip(NEXT) | instid1(SALU_CYCLE_1)
	s_or_b32 exec_lo, exec_lo, s4
	s_mov_b32 s4, exec_lo
	v_cmpx_lt_u32_e32 0xffffff, v0
	s_cbranch_execz .LBB232_970
; %bb.963:                              ;   in Loop: Header=BB232_10 Depth=1
	v_mov_b64_e32 v[2:3], 0x8000000000000000
	v_lshrrev_b32_e32 v1, 24, v0
	s_mov_b32 s11, exec_lo
	scratch_store_b64 off, v[2:3], s32 offset:1148 ; 8-byte Folded Spill
	s_wait_xcnt 0x0
	v_cmpx_ne_u32_e32 0x80, v1
	s_cbranch_execz .LBB232_969
; %bb.964:                              ;   in Loop: Header=BB232_10 Depth=1
	v_mov_b64_e32 v[4:5], 0x7f80000100000000
	v_bfe_u32 v2, v0, 24, 7
	s_mov_b32 s15, exec_lo
	scratch_store_b64 off, v[4:5], s32 offset:1148 ; 8-byte Folded Spill
	s_wait_xcnt 0x0
	v_cmpx_ne_u32_e32 0x7f, v2
	s_cbranch_execz .LBB232_968
; %bb.965:                              ;   in Loop: Header=BB232_10 Depth=1
	scratch_load_b64 v[4:5], off, s32 offset:192 th:TH_LOAD_LU ; 8-byte Folded Reload
	s_wait_loadcnt 0x0
	v_dual_lshrrev_b32 v0, 3, v2 :: v_dual_bitop2_b32 v4, 7, v1 bitop3:0x40
	s_mov_b32 s16, exec_lo
	s_wait_xcnt 0x0
	v_cmpx_gt_u32_e32 8, v2
; %bb.966:                              ;   in Loop: Header=BB232_10 Depth=1
	s_delay_alu instid0(VALU_DEP_2) | instskip(NEXT) | instid1(VALU_DEP_1)
	v_clz_i32_u32_e32 v0, v4
	v_min_u32_e32 v0, 32, v0
	s_delay_alu instid0(VALU_DEP_1) | instskip(NEXT) | instid1(VALU_DEP_1)
	v_subrev_nc_u32_e32 v2, 28, v0
	v_lshlrev_b64_e32 v[2:3], v2, v[4:5]
	s_delay_alu instid0(VALU_DEP_1)
	v_dual_sub_nc_u32 v0, 29, v0 :: v_dual_bitop2_b32 v4, 7, v2 bitop3:0x40
; %bb.967:                              ;   in Loop: Header=BB232_10 Depth=1
	s_or_b32 exec_lo, exec_lo, s16
	s_delay_alu instid0(VALU_DEP_1) | instskip(NEXT) | instid1(VALU_DEP_2)
	v_dual_lshlrev_b32 v1, 24, v1 :: v_dual_lshlrev_b32 v2, 20, v4
	v_lshl_add_u32 v0, v0, 23, 0x3c000000
	s_delay_alu instid0(VALU_DEP_2) | instskip(NEXT) | instid1(VALU_DEP_1)
	v_and_b32_e32 v1, 0x80000000, v1
	v_or3_b32 v3, v2, v1, v0
	v_dual_mov_b32 v1, v5 :: v_dual_mov_b32 v2, v5
	s_clause 0x1
	scratch_store_b64 off, v[0:1], s32 offset:192
	scratch_store_b64 off, v[2:3], s32 offset:1148
.LBB232_968:                            ;   in Loop: Header=BB232_10 Depth=1
	s_wait_xcnt 0x0
	s_or_b32 exec_lo, exec_lo, s15
.LBB232_969:                            ;   in Loop: Header=BB232_10 Depth=1
	s_delay_alu instid0(SALU_CYCLE_1)
	s_or_b32 exec_lo, exec_lo, s11
.LBB232_970:                            ;   in Loop: Header=BB232_10 Depth=1
	s_delay_alu instid0(SALU_CYCLE_1)
	s_or_b32 exec_lo, exec_lo, s4
	flat_load_b32 v0, v[66:67] offset:3592
	v_mov_b64_e32 v[2:3], 0
	s_mov_b32 s4, exec_lo
	scratch_store_b64 off, v[2:3], s32 offset:1196 ; 8-byte Folded Spill
	s_wait_xcnt 0x0
	v_mov_b64_e32 v[2:3], 0
	scratch_store_b64 off, v[2:3], s32 offset:1172 ; 8-byte Folded Spill
	s_wait_loadcnt_dscnt 0x0
	v_and_b32_e32 v1, 0xff, v0
	s_wait_xcnt 0x0
	s_delay_alu instid0(VALU_DEP_1)
	v_cmpx_ne_u16_e32 0, v1
	s_cbranch_execz .LBB232_978
; %bb.971:                              ;   in Loop: Header=BB232_10 Depth=1
	v_mov_b64_e32 v[2:3], 0x80000000
	s_mov_b32 s11, exec_lo
	scratch_store_b64 off, v[2:3], s32 offset:1172 ; 8-byte Folded Spill
	s_wait_xcnt 0x0
	v_cmpx_ne_u16_e32 0x80, v1
	s_cbranch_execz .LBB232_977
; %bb.972:                              ;   in Loop: Header=BB232_10 Depth=1
	v_mov_b64_e32 v[4:5], 0x7f800001
	v_and_b32_e32 v2, 0x7f, v0
	s_mov_b32 s15, exec_lo
	scratch_store_b64 off, v[4:5], s32 offset:1172 ; 8-byte Folded Spill
	s_wait_xcnt 0x0
	v_cmpx_ne_u32_e32 0x7f, v2
	s_cbranch_execz .LBB232_976
; %bb.973:                              ;   in Loop: Header=BB232_10 Depth=1
	scratch_load_b64 v[4:5], off, s32 offset:192 th:TH_LOAD_LU ; 8-byte Folded Reload
	s_wait_loadcnt 0x0
	v_dual_lshrrev_b32 v1, 3, v2 :: v_dual_bitop2_b32 v4, 7, v0 bitop3:0x40
	s_mov_b32 s16, exec_lo
	s_wait_xcnt 0x0
	v_cmpx_gt_u32_e32 8, v2
; %bb.974:                              ;   in Loop: Header=BB232_10 Depth=1
	s_delay_alu instid0(VALU_DEP_2) | instskip(NEXT) | instid1(VALU_DEP_1)
	v_clz_i32_u32_e32 v1, v4
	v_min_u32_e32 v1, 32, v1
	s_delay_alu instid0(VALU_DEP_1) | instskip(NEXT) | instid1(VALU_DEP_1)
	v_subrev_nc_u32_e32 v2, 28, v1
	v_lshlrev_b64_e32 v[2:3], v2, v[4:5]
	s_delay_alu instid0(VALU_DEP_1)
	v_dual_sub_nc_u32 v1, 29, v1 :: v_dual_bitop2_b32 v4, 7, v2 bitop3:0x40
; %bb.975:                              ;   in Loop: Header=BB232_10 Depth=1
	s_or_b32 exec_lo, exec_lo, s16
	v_lshlrev_b32_e32 v2, 24, v0
	s_delay_alu instid0(VALU_DEP_2) | instskip(NEXT) | instid1(VALU_DEP_3)
	v_lshlrev_b32_e32 v3, 20, v4
	v_lshl_add_u32 v1, v1, 23, 0x3c000000
	s_delay_alu instid0(VALU_DEP_3) | instskip(NEXT) | instid1(VALU_DEP_1)
	v_and_b32_e32 v2, 0x80000000, v2
	v_or3_b32 v4, v3, v2, v1
	v_mov_b32_e32 v1, v5
	s_clause 0x1
	scratch_store_b64 off, v[0:1], s32 offset:192
	scratch_store_b64 off, v[4:5], s32 offset:1172
.LBB232_976:                            ;   in Loop: Header=BB232_10 Depth=1
	s_wait_xcnt 0x0
	s_or_b32 exec_lo, exec_lo, s15
.LBB232_977:                            ;   in Loop: Header=BB232_10 Depth=1
	s_delay_alu instid0(SALU_CYCLE_1)
	s_or_b32 exec_lo, exec_lo, s11
.LBB232_978:                            ;   in Loop: Header=BB232_10 Depth=1
	s_delay_alu instid0(SALU_CYCLE_1) | instskip(SKIP_2) | instid1(VALU_DEP_1)
	s_or_b32 exec_lo, exec_lo, s4
	v_lshrrev_b16 v1, 8, v0
	s_mov_b32 s4, exec_lo
	v_cmpx_ne_u16_e32 0, v1
	s_cbranch_execz .LBB232_986
; %bb.979:                              ;   in Loop: Header=BB232_10 Depth=1
	v_mov_b64_e32 v[2:3], 0x8000000000000000
	s_mov_b32 s11, exec_lo
	scratch_store_b64 off, v[2:3], s32 offset:1196 ; 8-byte Folded Spill
	s_wait_xcnt 0x0
	v_cmpx_ne_u16_e32 0x80, v1
	s_cbranch_execz .LBB232_985
; %bb.980:                              ;   in Loop: Header=BB232_10 Depth=1
	v_and_b32_e32 v1, 0xffff, v1
	v_mov_b64_e32 v[4:5], 0x7f80000100000000
	s_mov_b32 s15, exec_lo
	s_delay_alu instid0(VALU_DEP_2)
	v_and_b32_e32 v2, 0x7f, v1
	scratch_store_b64 off, v[4:5], s32 offset:1196 ; 8-byte Folded Spill
	s_wait_xcnt 0x0
	v_cmpx_ne_u32_e32 0x7f, v2
	s_cbranch_execz .LBB232_984
; %bb.981:                              ;   in Loop: Header=BB232_10 Depth=1
	scratch_load_b64 v[4:5], off, s32 offset:192 th:TH_LOAD_LU ; 8-byte Folded Reload
	s_wait_loadcnt 0x0
	v_dual_lshrrev_b32 v1, 3, v2 :: v_dual_bitop2_b32 v4, 7, v1 bitop3:0x40
	s_mov_b32 s16, exec_lo
	s_wait_xcnt 0x0
	v_cmpx_gt_u32_e32 8, v2
; %bb.982:                              ;   in Loop: Header=BB232_10 Depth=1
	s_delay_alu instid0(VALU_DEP_2) | instskip(NEXT) | instid1(VALU_DEP_1)
	v_clz_i32_u32_e32 v1, v4
	v_min_u32_e32 v1, 32, v1
	s_delay_alu instid0(VALU_DEP_1) | instskip(NEXT) | instid1(VALU_DEP_1)
	v_subrev_nc_u32_e32 v2, 28, v1
	v_lshlrev_b64_e32 v[2:3], v2, v[4:5]
	s_delay_alu instid0(VALU_DEP_1)
	v_dual_sub_nc_u32 v1, 29, v1 :: v_dual_bitop2_b32 v4, 7, v2 bitop3:0x40
; %bb.983:                              ;   in Loop: Header=BB232_10 Depth=1
	s_or_b32 exec_lo, exec_lo, s16
	v_lshlrev_b32_e32 v2, 16, v0
	s_delay_alu instid0(VALU_DEP_2) | instskip(NEXT) | instid1(VALU_DEP_3)
	v_lshlrev_b32_e32 v3, 20, v4
	v_lshl_add_u32 v1, v1, 23, 0x3c000000
	s_delay_alu instid0(VALU_DEP_3) | instskip(NEXT) | instid1(VALU_DEP_1)
	v_and_b32_e32 v2, 0x80000000, v2
	v_or3_b32 v3, v3, v2, v1
	v_dual_mov_b32 v1, v5 :: v_dual_mov_b32 v2, v5
	s_clause 0x1
	scratch_store_b64 off, v[0:1], s32 offset:192
	scratch_store_b64 off, v[2:3], s32 offset:1196
.LBB232_984:                            ;   in Loop: Header=BB232_10 Depth=1
	s_wait_xcnt 0x0
	s_or_b32 exec_lo, exec_lo, s15
.LBB232_985:                            ;   in Loop: Header=BB232_10 Depth=1
	s_delay_alu instid0(SALU_CYCLE_1)
	s_or_b32 exec_lo, exec_lo, s11
.LBB232_986:                            ;   in Loop: Header=BB232_10 Depth=1
	s_delay_alu instid0(SALU_CYCLE_1) | instskip(SKIP_3) | instid1(VALU_DEP_1)
	s_or_b32 exec_lo, exec_lo, s4
	v_mov_b64_e32 v[4:5], 0
	v_lshrrev_b32_e32 v1, 16, v0
	s_mov_b32 s4, exec_lo
	v_and_b32_e32 v2, 0xff, v1
	scratch_store_b64 off, v[4:5], s32 offset:1180 ; 8-byte Folded Spill
	s_wait_xcnt 0x0
	v_mov_b64_e32 v[4:5], 0
	scratch_store_b64 off, v[4:5], s32 offset:1188 ; 8-byte Folded Spill
	s_wait_xcnt 0x0
	v_cmpx_ne_u16_e32 0, v2
	s_cbranch_execz .LBB232_994
; %bb.987:                              ;   in Loop: Header=BB232_10 Depth=1
	v_cmp_ne_u16_e64 s1, 0x80, v2
	v_mov_b64_e32 v[2:3], 0x80000000
	scratch_store_b64 off, v[2:3], s32 offset:1188 ; 8-byte Folded Spill
	s_wait_xcnt 0x0
	s_and_saveexec_b32 s11, s1
	s_cbranch_execz .LBB232_993
; %bb.988:                              ;   in Loop: Header=BB232_10 Depth=1
	v_mov_b64_e32 v[4:5], 0x7f800001
	v_bfe_u32 v3, v0, 16, 7
	s_mov_b32 s15, exec_lo
	scratch_store_b64 off, v[4:5], s32 offset:1188 ; 8-byte Folded Spill
	s_wait_xcnt 0x0
	v_cmpx_ne_u32_e32 0x7f, v3
	s_cbranch_execz .LBB232_992
; %bb.989:                              ;   in Loop: Header=BB232_10 Depth=1
	scratch_load_b64 v[6:7], off, s32 offset:192 th:TH_LOAD_LU ; 8-byte Folded Reload
	s_wait_loadcnt 0x0
	v_dual_lshrrev_b32 v2, 3, v3 :: v_dual_bitop2_b32 v6, 7, v1 bitop3:0x40
	s_mov_b32 s16, exec_lo
	s_wait_xcnt 0x0
	v_cmpx_gt_u32_e32 8, v3
; %bb.990:                              ;   in Loop: Header=BB232_10 Depth=1
	s_delay_alu instid0(VALU_DEP_2) | instskip(NEXT) | instid1(VALU_DEP_1)
	v_clz_i32_u32_e32 v2, v6
	v_min_u32_e32 v2, 32, v2
	s_delay_alu instid0(VALU_DEP_1) | instskip(NEXT) | instid1(VALU_DEP_1)
	v_subrev_nc_u32_e32 v3, 28, v2
	v_lshlrev_b64_e32 v[4:5], v3, v[6:7]
	s_delay_alu instid0(VALU_DEP_1)
	v_dual_sub_nc_u32 v2, 29, v2 :: v_dual_bitop2_b32 v6, 7, v4 bitop3:0x40
; %bb.991:                              ;   in Loop: Header=BB232_10 Depth=1
	s_or_b32 exec_lo, exec_lo, s16
	s_delay_alu instid0(VALU_DEP_1) | instskip(NEXT) | instid1(VALU_DEP_2)
	v_dual_lshlrev_b32 v1, 24, v1 :: v_dual_lshlrev_b32 v3, 20, v6
	v_lshl_add_u32 v2, v2, 23, 0x3c000000
	s_delay_alu instid0(VALU_DEP_2) | instskip(NEXT) | instid1(VALU_DEP_1)
	v_and_b32_e32 v1, 0x80000000, v1
	v_or3_b32 v6, v3, v1, v2
	v_mov_b32_e32 v1, v7
	s_clause 0x1
	scratch_store_b64 off, v[0:1], s32 offset:192
	scratch_store_b64 off, v[6:7], s32 offset:1188
.LBB232_992:                            ;   in Loop: Header=BB232_10 Depth=1
	s_wait_xcnt 0x0
	s_or_b32 exec_lo, exec_lo, s15
.LBB232_993:                            ;   in Loop: Header=BB232_10 Depth=1
	s_delay_alu instid0(SALU_CYCLE_1)
	s_or_b32 exec_lo, exec_lo, s11
.LBB232_994:                            ;   in Loop: Header=BB232_10 Depth=1
	s_delay_alu instid0(SALU_CYCLE_1) | instskip(NEXT) | instid1(SALU_CYCLE_1)
	s_or_b32 exec_lo, exec_lo, s4
	s_mov_b32 s4, exec_lo
	v_cmpx_lt_u32_e32 0xffffff, v0
	s_cbranch_execz .LBB232_1002
; %bb.995:                              ;   in Loop: Header=BB232_10 Depth=1
	v_mov_b64_e32 v[2:3], 0x8000000000000000
	v_lshrrev_b32_e32 v1, 24, v0
	s_mov_b32 s11, exec_lo
	scratch_store_b64 off, v[2:3], s32 offset:1180 ; 8-byte Folded Spill
	s_wait_xcnt 0x0
	v_cmpx_ne_u32_e32 0x80, v1
	s_cbranch_execz .LBB232_1001
; %bb.996:                              ;   in Loop: Header=BB232_10 Depth=1
	v_mov_b64_e32 v[4:5], 0x7f80000100000000
	v_bfe_u32 v2, v0, 24, 7
	s_mov_b32 s15, exec_lo
	scratch_store_b64 off, v[4:5], s32 offset:1180 ; 8-byte Folded Spill
	s_wait_xcnt 0x0
	v_cmpx_ne_u32_e32 0x7f, v2
	s_cbranch_execz .LBB232_1000
; %bb.997:                              ;   in Loop: Header=BB232_10 Depth=1
	scratch_load_b64 v[4:5], off, s32 offset:192 th:TH_LOAD_LU ; 8-byte Folded Reload
	s_wait_loadcnt 0x0
	v_dual_lshrrev_b32 v0, 3, v2 :: v_dual_bitop2_b32 v4, 7, v1 bitop3:0x40
	s_mov_b32 s16, exec_lo
	s_wait_xcnt 0x0
	v_cmpx_gt_u32_e32 8, v2
; %bb.998:                              ;   in Loop: Header=BB232_10 Depth=1
	s_delay_alu instid0(VALU_DEP_2) | instskip(NEXT) | instid1(VALU_DEP_1)
	v_clz_i32_u32_e32 v0, v4
	v_min_u32_e32 v0, 32, v0
	s_delay_alu instid0(VALU_DEP_1) | instskip(NEXT) | instid1(VALU_DEP_1)
	v_subrev_nc_u32_e32 v2, 28, v0
	v_lshlrev_b64_e32 v[2:3], v2, v[4:5]
	s_delay_alu instid0(VALU_DEP_1)
	v_dual_sub_nc_u32 v0, 29, v0 :: v_dual_bitop2_b32 v4, 7, v2 bitop3:0x40
; %bb.999:                              ;   in Loop: Header=BB232_10 Depth=1
	s_or_b32 exec_lo, exec_lo, s16
	s_delay_alu instid0(VALU_DEP_1) | instskip(NEXT) | instid1(VALU_DEP_2)
	v_dual_lshlrev_b32 v1, 24, v1 :: v_dual_lshlrev_b32 v2, 20, v4
	v_lshl_add_u32 v0, v0, 23, 0x3c000000
	s_delay_alu instid0(VALU_DEP_2) | instskip(NEXT) | instid1(VALU_DEP_1)
	v_and_b32_e32 v1, 0x80000000, v1
	v_or3_b32 v3, v2, v1, v0
	v_dual_mov_b32 v1, v5 :: v_dual_mov_b32 v2, v5
	s_clause 0x1
	scratch_store_b64 off, v[0:1], s32 offset:192
	scratch_store_b64 off, v[2:3], s32 offset:1180
.LBB232_1000:                           ;   in Loop: Header=BB232_10 Depth=1
	s_wait_xcnt 0x0
	s_or_b32 exec_lo, exec_lo, s15
.LBB232_1001:                           ;   in Loop: Header=BB232_10 Depth=1
	s_delay_alu instid0(SALU_CYCLE_1)
	s_or_b32 exec_lo, exec_lo, s11
.LBB232_1002:                           ;   in Loop: Header=BB232_10 Depth=1
	s_delay_alu instid0(SALU_CYCLE_1)
	s_or_b32 exec_lo, exec_lo, s4
	flat_load_b32 v0, v[66:67] offset:3596
	v_mov_b64_e32 v[2:3], 0
	s_mov_b32 s4, exec_lo
	scratch_store_b64 off, v[2:3], s32 offset:1228 ; 8-byte Folded Spill
	s_wait_xcnt 0x0
	v_mov_b64_e32 v[2:3], 0
	scratch_store_b64 off, v[2:3], s32 offset:1204 ; 8-byte Folded Spill
	s_wait_loadcnt_dscnt 0x0
	v_and_b32_e32 v1, 0xff, v0
	s_wait_xcnt 0x0
	s_delay_alu instid0(VALU_DEP_1)
	v_cmpx_ne_u16_e32 0, v1
	s_cbranch_execz .LBB232_1010
; %bb.1003:                             ;   in Loop: Header=BB232_10 Depth=1
	v_mov_b64_e32 v[2:3], 0x80000000
	s_mov_b32 s11, exec_lo
	scratch_store_b64 off, v[2:3], s32 offset:1204 ; 8-byte Folded Spill
	s_wait_xcnt 0x0
	v_cmpx_ne_u16_e32 0x80, v1
	s_cbranch_execz .LBB232_1009
; %bb.1004:                             ;   in Loop: Header=BB232_10 Depth=1
	v_mov_b64_e32 v[4:5], 0x7f800001
	v_and_b32_e32 v2, 0x7f, v0
	s_mov_b32 s15, exec_lo
	scratch_store_b64 off, v[4:5], s32 offset:1204 ; 8-byte Folded Spill
	s_wait_xcnt 0x0
	v_cmpx_ne_u32_e32 0x7f, v2
	s_cbranch_execz .LBB232_1008
; %bb.1005:                             ;   in Loop: Header=BB232_10 Depth=1
	scratch_load_b64 v[4:5], off, s32 offset:192 th:TH_LOAD_LU ; 8-byte Folded Reload
	s_wait_loadcnt 0x0
	v_dual_lshrrev_b32 v1, 3, v2 :: v_dual_bitop2_b32 v4, 7, v0 bitop3:0x40
	s_mov_b32 s16, exec_lo
	s_wait_xcnt 0x0
	v_cmpx_gt_u32_e32 8, v2
; %bb.1006:                             ;   in Loop: Header=BB232_10 Depth=1
	s_delay_alu instid0(VALU_DEP_2) | instskip(NEXT) | instid1(VALU_DEP_1)
	v_clz_i32_u32_e32 v1, v4
	v_min_u32_e32 v1, 32, v1
	s_delay_alu instid0(VALU_DEP_1) | instskip(NEXT) | instid1(VALU_DEP_1)
	v_subrev_nc_u32_e32 v2, 28, v1
	v_lshlrev_b64_e32 v[2:3], v2, v[4:5]
	s_delay_alu instid0(VALU_DEP_1)
	v_dual_sub_nc_u32 v1, 29, v1 :: v_dual_bitop2_b32 v4, 7, v2 bitop3:0x40
; %bb.1007:                             ;   in Loop: Header=BB232_10 Depth=1
	s_or_b32 exec_lo, exec_lo, s16
	v_lshlrev_b32_e32 v2, 24, v0
	s_delay_alu instid0(VALU_DEP_2) | instskip(NEXT) | instid1(VALU_DEP_3)
	v_lshlrev_b32_e32 v3, 20, v4
	v_lshl_add_u32 v1, v1, 23, 0x3c000000
	s_delay_alu instid0(VALU_DEP_3) | instskip(NEXT) | instid1(VALU_DEP_1)
	v_and_b32_e32 v2, 0x80000000, v2
	v_or3_b32 v4, v3, v2, v1
	v_mov_b32_e32 v1, v5
	s_clause 0x1
	scratch_store_b64 off, v[0:1], s32 offset:192
	scratch_store_b64 off, v[4:5], s32 offset:1204
.LBB232_1008:                           ;   in Loop: Header=BB232_10 Depth=1
	s_wait_xcnt 0x0
	s_or_b32 exec_lo, exec_lo, s15
.LBB232_1009:                           ;   in Loop: Header=BB232_10 Depth=1
	s_delay_alu instid0(SALU_CYCLE_1)
	s_or_b32 exec_lo, exec_lo, s11
.LBB232_1010:                           ;   in Loop: Header=BB232_10 Depth=1
	s_delay_alu instid0(SALU_CYCLE_1) | instskip(SKIP_2) | instid1(VALU_DEP_1)
	s_or_b32 exec_lo, exec_lo, s4
	v_lshrrev_b16 v1, 8, v0
	s_mov_b32 s4, exec_lo
	v_cmpx_ne_u16_e32 0, v1
	s_cbranch_execz .LBB232_1018
; %bb.1011:                             ;   in Loop: Header=BB232_10 Depth=1
	v_mov_b64_e32 v[2:3], 0x8000000000000000
	s_mov_b32 s11, exec_lo
	scratch_store_b64 off, v[2:3], s32 offset:1228 ; 8-byte Folded Spill
	s_wait_xcnt 0x0
	v_cmpx_ne_u16_e32 0x80, v1
	s_cbranch_execz .LBB232_1017
; %bb.1012:                             ;   in Loop: Header=BB232_10 Depth=1
	v_and_b32_e32 v1, 0xffff, v1
	v_mov_b64_e32 v[4:5], 0x7f80000100000000
	s_mov_b32 s15, exec_lo
	s_delay_alu instid0(VALU_DEP_2)
	v_and_b32_e32 v2, 0x7f, v1
	scratch_store_b64 off, v[4:5], s32 offset:1228 ; 8-byte Folded Spill
	s_wait_xcnt 0x0
	v_cmpx_ne_u32_e32 0x7f, v2
	s_cbranch_execz .LBB232_1016
; %bb.1013:                             ;   in Loop: Header=BB232_10 Depth=1
	scratch_load_b64 v[4:5], off, s32 offset:192 th:TH_LOAD_LU ; 8-byte Folded Reload
	s_wait_loadcnt 0x0
	v_dual_lshrrev_b32 v1, 3, v2 :: v_dual_bitop2_b32 v4, 7, v1 bitop3:0x40
	s_mov_b32 s16, exec_lo
	s_wait_xcnt 0x0
	v_cmpx_gt_u32_e32 8, v2
; %bb.1014:                             ;   in Loop: Header=BB232_10 Depth=1
	s_delay_alu instid0(VALU_DEP_2) | instskip(NEXT) | instid1(VALU_DEP_1)
	v_clz_i32_u32_e32 v1, v4
	v_min_u32_e32 v1, 32, v1
	s_delay_alu instid0(VALU_DEP_1) | instskip(NEXT) | instid1(VALU_DEP_1)
	v_subrev_nc_u32_e32 v2, 28, v1
	v_lshlrev_b64_e32 v[2:3], v2, v[4:5]
	s_delay_alu instid0(VALU_DEP_1)
	v_dual_sub_nc_u32 v1, 29, v1 :: v_dual_bitop2_b32 v4, 7, v2 bitop3:0x40
; %bb.1015:                             ;   in Loop: Header=BB232_10 Depth=1
	s_or_b32 exec_lo, exec_lo, s16
	v_lshlrev_b32_e32 v2, 16, v0
	s_delay_alu instid0(VALU_DEP_2) | instskip(NEXT) | instid1(VALU_DEP_3)
	v_lshlrev_b32_e32 v3, 20, v4
	v_lshl_add_u32 v1, v1, 23, 0x3c000000
	s_delay_alu instid0(VALU_DEP_3) | instskip(NEXT) | instid1(VALU_DEP_1)
	v_and_b32_e32 v2, 0x80000000, v2
	v_or3_b32 v3, v3, v2, v1
	v_dual_mov_b32 v1, v5 :: v_dual_mov_b32 v2, v5
	s_clause 0x1
	scratch_store_b64 off, v[0:1], s32 offset:192
	scratch_store_b64 off, v[2:3], s32 offset:1228
.LBB232_1016:                           ;   in Loop: Header=BB232_10 Depth=1
	s_wait_xcnt 0x0
	s_or_b32 exec_lo, exec_lo, s15
.LBB232_1017:                           ;   in Loop: Header=BB232_10 Depth=1
	s_delay_alu instid0(SALU_CYCLE_1)
	s_or_b32 exec_lo, exec_lo, s11
.LBB232_1018:                           ;   in Loop: Header=BB232_10 Depth=1
	s_delay_alu instid0(SALU_CYCLE_1) | instskip(SKIP_3) | instid1(VALU_DEP_1)
	s_or_b32 exec_lo, exec_lo, s4
	v_mov_b64_e32 v[4:5], 0
	v_lshrrev_b32_e32 v1, 16, v0
	s_mov_b32 s4, exec_lo
	v_and_b32_e32 v2, 0xff, v1
	scratch_store_b64 off, v[4:5], s32 offset:1212 ; 8-byte Folded Spill
	s_wait_xcnt 0x0
	v_mov_b64_e32 v[4:5], 0
	scratch_store_b64 off, v[4:5], s32 offset:1220 ; 8-byte Folded Spill
	s_wait_xcnt 0x0
	v_cmpx_ne_u16_e32 0, v2
	s_cbranch_execz .LBB232_1026
; %bb.1019:                             ;   in Loop: Header=BB232_10 Depth=1
	v_cmp_ne_u16_e64 s1, 0x80, v2
	v_mov_b64_e32 v[2:3], 0x80000000
	scratch_store_b64 off, v[2:3], s32 offset:1220 ; 8-byte Folded Spill
	s_wait_xcnt 0x0
	s_and_saveexec_b32 s11, s1
	s_cbranch_execz .LBB232_1025
; %bb.1020:                             ;   in Loop: Header=BB232_10 Depth=1
	v_mov_b64_e32 v[4:5], 0x7f800001
	v_bfe_u32 v3, v0, 16, 7
	s_mov_b32 s15, exec_lo
	scratch_store_b64 off, v[4:5], s32 offset:1220 ; 8-byte Folded Spill
	s_wait_xcnt 0x0
	v_cmpx_ne_u32_e32 0x7f, v3
	s_cbranch_execz .LBB232_1024
; %bb.1021:                             ;   in Loop: Header=BB232_10 Depth=1
	scratch_load_b64 v[6:7], off, s32 offset:192 th:TH_LOAD_LU ; 8-byte Folded Reload
	s_wait_loadcnt 0x0
	v_dual_lshrrev_b32 v2, 3, v3 :: v_dual_bitop2_b32 v6, 7, v1 bitop3:0x40
	s_mov_b32 s16, exec_lo
	s_wait_xcnt 0x0
	v_cmpx_gt_u32_e32 8, v3
; %bb.1022:                             ;   in Loop: Header=BB232_10 Depth=1
	s_delay_alu instid0(VALU_DEP_2) | instskip(NEXT) | instid1(VALU_DEP_1)
	v_clz_i32_u32_e32 v2, v6
	v_min_u32_e32 v2, 32, v2
	s_delay_alu instid0(VALU_DEP_1) | instskip(NEXT) | instid1(VALU_DEP_1)
	v_subrev_nc_u32_e32 v3, 28, v2
	v_lshlrev_b64_e32 v[4:5], v3, v[6:7]
	s_delay_alu instid0(VALU_DEP_1)
	v_dual_sub_nc_u32 v2, 29, v2 :: v_dual_bitop2_b32 v6, 7, v4 bitop3:0x40
; %bb.1023:                             ;   in Loop: Header=BB232_10 Depth=1
	s_or_b32 exec_lo, exec_lo, s16
	s_delay_alu instid0(VALU_DEP_1) | instskip(NEXT) | instid1(VALU_DEP_2)
	v_dual_lshlrev_b32 v1, 24, v1 :: v_dual_lshlrev_b32 v3, 20, v6
	v_lshl_add_u32 v2, v2, 23, 0x3c000000
	s_delay_alu instid0(VALU_DEP_2) | instskip(NEXT) | instid1(VALU_DEP_1)
	v_and_b32_e32 v1, 0x80000000, v1
	v_or3_b32 v6, v3, v1, v2
	v_mov_b32_e32 v1, v7
	s_clause 0x1
	scratch_store_b64 off, v[0:1], s32 offset:192
	scratch_store_b64 off, v[6:7], s32 offset:1220
.LBB232_1024:                           ;   in Loop: Header=BB232_10 Depth=1
	s_wait_xcnt 0x0
	s_or_b32 exec_lo, exec_lo, s15
.LBB232_1025:                           ;   in Loop: Header=BB232_10 Depth=1
	s_delay_alu instid0(SALU_CYCLE_1)
	s_or_b32 exec_lo, exec_lo, s11
.LBB232_1026:                           ;   in Loop: Header=BB232_10 Depth=1
	s_delay_alu instid0(SALU_CYCLE_1) | instskip(NEXT) | instid1(SALU_CYCLE_1)
	s_or_b32 exec_lo, exec_lo, s4
	s_mov_b32 s4, exec_lo
	v_cmpx_lt_u32_e32 0xffffff, v0
	s_cbranch_execz .LBB232_1034
; %bb.1027:                             ;   in Loop: Header=BB232_10 Depth=1
	v_mov_b64_e32 v[2:3], 0x8000000000000000
	v_lshrrev_b32_e32 v1, 24, v0
	s_mov_b32 s11, exec_lo
	scratch_store_b64 off, v[2:3], s32 offset:1212 ; 8-byte Folded Spill
	s_wait_xcnt 0x0
	v_cmpx_ne_u32_e32 0x80, v1
	s_cbranch_execz .LBB232_1033
; %bb.1028:                             ;   in Loop: Header=BB232_10 Depth=1
	v_mov_b64_e32 v[4:5], 0x7f80000100000000
	v_bfe_u32 v2, v0, 24, 7
	s_mov_b32 s15, exec_lo
	scratch_store_b64 off, v[4:5], s32 offset:1212 ; 8-byte Folded Spill
	s_wait_xcnt 0x0
	v_cmpx_ne_u32_e32 0x7f, v2
	s_cbranch_execz .LBB232_1032
; %bb.1029:                             ;   in Loop: Header=BB232_10 Depth=1
	scratch_load_b64 v[4:5], off, s32 offset:192 th:TH_LOAD_LU ; 8-byte Folded Reload
	s_wait_loadcnt 0x0
	v_dual_lshrrev_b32 v0, 3, v2 :: v_dual_bitop2_b32 v4, 7, v1 bitop3:0x40
	s_mov_b32 s16, exec_lo
	s_wait_xcnt 0x0
	v_cmpx_gt_u32_e32 8, v2
; %bb.1030:                             ;   in Loop: Header=BB232_10 Depth=1
	s_delay_alu instid0(VALU_DEP_2) | instskip(NEXT) | instid1(VALU_DEP_1)
	v_clz_i32_u32_e32 v0, v4
	v_min_u32_e32 v0, 32, v0
	s_delay_alu instid0(VALU_DEP_1) | instskip(NEXT) | instid1(VALU_DEP_1)
	v_subrev_nc_u32_e32 v2, 28, v0
	v_lshlrev_b64_e32 v[2:3], v2, v[4:5]
	s_delay_alu instid0(VALU_DEP_1)
	v_dual_sub_nc_u32 v0, 29, v0 :: v_dual_bitop2_b32 v4, 7, v2 bitop3:0x40
; %bb.1031:                             ;   in Loop: Header=BB232_10 Depth=1
	s_or_b32 exec_lo, exec_lo, s16
	s_delay_alu instid0(VALU_DEP_1) | instskip(NEXT) | instid1(VALU_DEP_2)
	v_dual_lshlrev_b32 v1, 24, v1 :: v_dual_lshlrev_b32 v2, 20, v4
	v_lshl_add_u32 v0, v0, 23, 0x3c000000
	s_delay_alu instid0(VALU_DEP_2) | instskip(NEXT) | instid1(VALU_DEP_1)
	v_and_b32_e32 v1, 0x80000000, v1
	v_or3_b32 v3, v2, v1, v0
	v_dual_mov_b32 v1, v5 :: v_dual_mov_b32 v2, v5
	s_clause 0x1
	scratch_store_b64 off, v[0:1], s32 offset:192
	scratch_store_b64 off, v[2:3], s32 offset:1212
.LBB232_1032:                           ;   in Loop: Header=BB232_10 Depth=1
	s_wait_xcnt 0x0
	s_or_b32 exec_lo, exec_lo, s15
.LBB232_1033:                           ;   in Loop: Header=BB232_10 Depth=1
	s_delay_alu instid0(SALU_CYCLE_1)
	s_or_b32 exec_lo, exec_lo, s11
.LBB232_1034:                           ;   in Loop: Header=BB232_10 Depth=1
	s_delay_alu instid0(SALU_CYCLE_1)
	s_or_b32 exec_lo, exec_lo, s4
	flat_load_b32 v0, v[66:67] offset:4096
	v_mov_b64_e32 v[2:3], 0
	s_mov_b32 s4, exec_lo
	scratch_store_b64 off, v[2:3], s32 offset:1260 ; 8-byte Folded Spill
	s_wait_xcnt 0x0
	v_mov_b64_e32 v[2:3], 0
	scratch_store_b64 off, v[2:3], s32 offset:1236 ; 8-byte Folded Spill
	s_wait_loadcnt_dscnt 0x0
	v_and_b32_e32 v1, 0xff, v0
	s_wait_xcnt 0x0
	s_delay_alu instid0(VALU_DEP_1)
	v_cmpx_ne_u16_e32 0, v1
	s_cbranch_execz .LBB232_1042
; %bb.1035:                             ;   in Loop: Header=BB232_10 Depth=1
	v_mov_b64_e32 v[2:3], 0x80000000
	s_mov_b32 s11, exec_lo
	scratch_store_b64 off, v[2:3], s32 offset:1236 ; 8-byte Folded Spill
	s_wait_xcnt 0x0
	v_cmpx_ne_u16_e32 0x80, v1
	s_cbranch_execz .LBB232_1041
; %bb.1036:                             ;   in Loop: Header=BB232_10 Depth=1
	v_mov_b64_e32 v[4:5], 0x7f800001
	v_and_b32_e32 v2, 0x7f, v0
	s_mov_b32 s15, exec_lo
	scratch_store_b64 off, v[4:5], s32 offset:1236 ; 8-byte Folded Spill
	s_wait_xcnt 0x0
	v_cmpx_ne_u32_e32 0x7f, v2
	s_cbranch_execz .LBB232_1040
; %bb.1037:                             ;   in Loop: Header=BB232_10 Depth=1
	scratch_load_b64 v[4:5], off, s32 offset:192 th:TH_LOAD_LU ; 8-byte Folded Reload
	s_wait_loadcnt 0x0
	v_dual_lshrrev_b32 v1, 3, v2 :: v_dual_bitop2_b32 v4, 7, v0 bitop3:0x40
	s_mov_b32 s16, exec_lo
	s_wait_xcnt 0x0
	v_cmpx_gt_u32_e32 8, v2
; %bb.1038:                             ;   in Loop: Header=BB232_10 Depth=1
	s_delay_alu instid0(VALU_DEP_2) | instskip(NEXT) | instid1(VALU_DEP_1)
	v_clz_i32_u32_e32 v1, v4
	v_min_u32_e32 v1, 32, v1
	s_delay_alu instid0(VALU_DEP_1) | instskip(NEXT) | instid1(VALU_DEP_1)
	v_subrev_nc_u32_e32 v2, 28, v1
	v_lshlrev_b64_e32 v[2:3], v2, v[4:5]
	s_delay_alu instid0(VALU_DEP_1)
	v_dual_sub_nc_u32 v1, 29, v1 :: v_dual_bitop2_b32 v4, 7, v2 bitop3:0x40
; %bb.1039:                             ;   in Loop: Header=BB232_10 Depth=1
	s_or_b32 exec_lo, exec_lo, s16
	v_lshlrev_b32_e32 v2, 24, v0
	s_delay_alu instid0(VALU_DEP_2) | instskip(NEXT) | instid1(VALU_DEP_3)
	v_lshlrev_b32_e32 v3, 20, v4
	v_lshl_add_u32 v1, v1, 23, 0x3c000000
	s_delay_alu instid0(VALU_DEP_3) | instskip(NEXT) | instid1(VALU_DEP_1)
	v_and_b32_e32 v2, 0x80000000, v2
	v_or3_b32 v4, v3, v2, v1
	v_mov_b32_e32 v1, v5
	s_clause 0x1
	scratch_store_b64 off, v[0:1], s32 offset:192
	scratch_store_b64 off, v[4:5], s32 offset:1236
.LBB232_1040:                           ;   in Loop: Header=BB232_10 Depth=1
	s_wait_xcnt 0x0
	s_or_b32 exec_lo, exec_lo, s15
.LBB232_1041:                           ;   in Loop: Header=BB232_10 Depth=1
	s_delay_alu instid0(SALU_CYCLE_1)
	s_or_b32 exec_lo, exec_lo, s11
.LBB232_1042:                           ;   in Loop: Header=BB232_10 Depth=1
	s_delay_alu instid0(SALU_CYCLE_1) | instskip(SKIP_2) | instid1(VALU_DEP_1)
	s_or_b32 exec_lo, exec_lo, s4
	v_lshrrev_b16 v1, 8, v0
	s_mov_b32 s4, exec_lo
	v_cmpx_ne_u16_e32 0, v1
	s_cbranch_execz .LBB232_1050
; %bb.1043:                             ;   in Loop: Header=BB232_10 Depth=1
	v_mov_b64_e32 v[2:3], 0x8000000000000000
	s_mov_b32 s11, exec_lo
	scratch_store_b64 off, v[2:3], s32 offset:1260 ; 8-byte Folded Spill
	s_wait_xcnt 0x0
	v_cmpx_ne_u16_e32 0x80, v1
	s_cbranch_execz .LBB232_1049
; %bb.1044:                             ;   in Loop: Header=BB232_10 Depth=1
	v_and_b32_e32 v1, 0xffff, v1
	v_mov_b64_e32 v[4:5], 0x7f80000100000000
	s_mov_b32 s15, exec_lo
	s_delay_alu instid0(VALU_DEP_2)
	v_and_b32_e32 v2, 0x7f, v1
	scratch_store_b64 off, v[4:5], s32 offset:1260 ; 8-byte Folded Spill
	s_wait_xcnt 0x0
	v_cmpx_ne_u32_e32 0x7f, v2
	s_cbranch_execz .LBB232_1048
; %bb.1045:                             ;   in Loop: Header=BB232_10 Depth=1
	scratch_load_b64 v[4:5], off, s32 offset:192 th:TH_LOAD_LU ; 8-byte Folded Reload
	s_wait_loadcnt 0x0
	v_dual_lshrrev_b32 v1, 3, v2 :: v_dual_bitop2_b32 v4, 7, v1 bitop3:0x40
	s_mov_b32 s16, exec_lo
	s_wait_xcnt 0x0
	v_cmpx_gt_u32_e32 8, v2
; %bb.1046:                             ;   in Loop: Header=BB232_10 Depth=1
	s_delay_alu instid0(VALU_DEP_2) | instskip(NEXT) | instid1(VALU_DEP_1)
	v_clz_i32_u32_e32 v1, v4
	v_min_u32_e32 v1, 32, v1
	s_delay_alu instid0(VALU_DEP_1) | instskip(NEXT) | instid1(VALU_DEP_1)
	v_subrev_nc_u32_e32 v2, 28, v1
	v_lshlrev_b64_e32 v[2:3], v2, v[4:5]
	s_delay_alu instid0(VALU_DEP_1)
	v_dual_sub_nc_u32 v1, 29, v1 :: v_dual_bitop2_b32 v4, 7, v2 bitop3:0x40
; %bb.1047:                             ;   in Loop: Header=BB232_10 Depth=1
	s_or_b32 exec_lo, exec_lo, s16
	v_lshlrev_b32_e32 v2, 16, v0
	s_delay_alu instid0(VALU_DEP_2) | instskip(NEXT) | instid1(VALU_DEP_3)
	v_lshlrev_b32_e32 v3, 20, v4
	v_lshl_add_u32 v1, v1, 23, 0x3c000000
	s_delay_alu instid0(VALU_DEP_3) | instskip(NEXT) | instid1(VALU_DEP_1)
	v_and_b32_e32 v2, 0x80000000, v2
	v_or3_b32 v3, v3, v2, v1
	v_dual_mov_b32 v1, v5 :: v_dual_mov_b32 v2, v5
	s_clause 0x1
	scratch_store_b64 off, v[0:1], s32 offset:192
	scratch_store_b64 off, v[2:3], s32 offset:1260
.LBB232_1048:                           ;   in Loop: Header=BB232_10 Depth=1
	s_wait_xcnt 0x0
	s_or_b32 exec_lo, exec_lo, s15
.LBB232_1049:                           ;   in Loop: Header=BB232_10 Depth=1
	s_delay_alu instid0(SALU_CYCLE_1)
	s_or_b32 exec_lo, exec_lo, s11
.LBB232_1050:                           ;   in Loop: Header=BB232_10 Depth=1
	s_delay_alu instid0(SALU_CYCLE_1) | instskip(SKIP_3) | instid1(VALU_DEP_1)
	s_or_b32 exec_lo, exec_lo, s4
	v_mov_b64_e32 v[4:5], 0
	v_lshrrev_b32_e32 v1, 16, v0
	s_mov_b32 s4, exec_lo
	v_and_b32_e32 v2, 0xff, v1
	scratch_store_b64 off, v[4:5], s32 offset:1244 ; 8-byte Folded Spill
	s_wait_xcnt 0x0
	v_mov_b64_e32 v[4:5], 0
	scratch_store_b64 off, v[4:5], s32 offset:1252 ; 8-byte Folded Spill
	s_wait_xcnt 0x0
	v_cmpx_ne_u16_e32 0, v2
	s_cbranch_execz .LBB232_1058
; %bb.1051:                             ;   in Loop: Header=BB232_10 Depth=1
	v_cmp_ne_u16_e64 s1, 0x80, v2
	v_mov_b64_e32 v[2:3], 0x80000000
	scratch_store_b64 off, v[2:3], s32 offset:1252 ; 8-byte Folded Spill
	s_wait_xcnt 0x0
	s_and_saveexec_b32 s11, s1
	s_cbranch_execz .LBB232_1057
; %bb.1052:                             ;   in Loop: Header=BB232_10 Depth=1
	v_mov_b64_e32 v[4:5], 0x7f800001
	v_bfe_u32 v3, v0, 16, 7
	s_mov_b32 s15, exec_lo
	scratch_store_b64 off, v[4:5], s32 offset:1252 ; 8-byte Folded Spill
	s_wait_xcnt 0x0
	v_cmpx_ne_u32_e32 0x7f, v3
	s_cbranch_execz .LBB232_1056
; %bb.1053:                             ;   in Loop: Header=BB232_10 Depth=1
	scratch_load_b64 v[6:7], off, s32 offset:192 th:TH_LOAD_LU ; 8-byte Folded Reload
	s_wait_loadcnt 0x0
	v_dual_lshrrev_b32 v2, 3, v3 :: v_dual_bitop2_b32 v6, 7, v1 bitop3:0x40
	s_mov_b32 s16, exec_lo
	s_wait_xcnt 0x0
	v_cmpx_gt_u32_e32 8, v3
; %bb.1054:                             ;   in Loop: Header=BB232_10 Depth=1
	s_delay_alu instid0(VALU_DEP_2) | instskip(NEXT) | instid1(VALU_DEP_1)
	v_clz_i32_u32_e32 v2, v6
	v_min_u32_e32 v2, 32, v2
	s_delay_alu instid0(VALU_DEP_1) | instskip(NEXT) | instid1(VALU_DEP_1)
	v_subrev_nc_u32_e32 v3, 28, v2
	v_lshlrev_b64_e32 v[4:5], v3, v[6:7]
	s_delay_alu instid0(VALU_DEP_1)
	v_dual_sub_nc_u32 v2, 29, v2 :: v_dual_bitop2_b32 v6, 7, v4 bitop3:0x40
; %bb.1055:                             ;   in Loop: Header=BB232_10 Depth=1
	s_or_b32 exec_lo, exec_lo, s16
	s_delay_alu instid0(VALU_DEP_1) | instskip(NEXT) | instid1(VALU_DEP_2)
	v_dual_lshlrev_b32 v1, 24, v1 :: v_dual_lshlrev_b32 v3, 20, v6
	v_lshl_add_u32 v2, v2, 23, 0x3c000000
	s_delay_alu instid0(VALU_DEP_2) | instskip(NEXT) | instid1(VALU_DEP_1)
	v_and_b32_e32 v1, 0x80000000, v1
	v_or3_b32 v6, v3, v1, v2
	v_mov_b32_e32 v1, v7
	s_clause 0x1
	scratch_store_b64 off, v[0:1], s32 offset:192
	scratch_store_b64 off, v[6:7], s32 offset:1252
.LBB232_1056:                           ;   in Loop: Header=BB232_10 Depth=1
	s_wait_xcnt 0x0
	s_or_b32 exec_lo, exec_lo, s15
.LBB232_1057:                           ;   in Loop: Header=BB232_10 Depth=1
	s_delay_alu instid0(SALU_CYCLE_1)
	s_or_b32 exec_lo, exec_lo, s11
.LBB232_1058:                           ;   in Loop: Header=BB232_10 Depth=1
	s_delay_alu instid0(SALU_CYCLE_1) | instskip(NEXT) | instid1(SALU_CYCLE_1)
	s_or_b32 exec_lo, exec_lo, s4
	s_mov_b32 s4, exec_lo
	v_cmpx_lt_u32_e32 0xffffff, v0
	s_cbranch_execz .LBB232_1066
; %bb.1059:                             ;   in Loop: Header=BB232_10 Depth=1
	v_mov_b64_e32 v[2:3], 0x8000000000000000
	v_lshrrev_b32_e32 v1, 24, v0
	s_mov_b32 s11, exec_lo
	scratch_store_b64 off, v[2:3], s32 offset:1244 ; 8-byte Folded Spill
	s_wait_xcnt 0x0
	v_cmpx_ne_u32_e32 0x80, v1
	s_cbranch_execz .LBB232_1065
; %bb.1060:                             ;   in Loop: Header=BB232_10 Depth=1
	v_mov_b64_e32 v[4:5], 0x7f80000100000000
	v_bfe_u32 v2, v0, 24, 7
	s_mov_b32 s15, exec_lo
	scratch_store_b64 off, v[4:5], s32 offset:1244 ; 8-byte Folded Spill
	s_wait_xcnt 0x0
	v_cmpx_ne_u32_e32 0x7f, v2
	s_cbranch_execz .LBB232_1064
; %bb.1061:                             ;   in Loop: Header=BB232_10 Depth=1
	scratch_load_b64 v[4:5], off, s32 offset:192 th:TH_LOAD_LU ; 8-byte Folded Reload
	s_wait_loadcnt 0x0
	v_dual_lshrrev_b32 v0, 3, v2 :: v_dual_bitop2_b32 v4, 7, v1 bitop3:0x40
	s_mov_b32 s16, exec_lo
	s_wait_xcnt 0x0
	v_cmpx_gt_u32_e32 8, v2
; %bb.1062:                             ;   in Loop: Header=BB232_10 Depth=1
	s_delay_alu instid0(VALU_DEP_2) | instskip(NEXT) | instid1(VALU_DEP_1)
	v_clz_i32_u32_e32 v0, v4
	v_min_u32_e32 v0, 32, v0
	s_delay_alu instid0(VALU_DEP_1) | instskip(NEXT) | instid1(VALU_DEP_1)
	v_subrev_nc_u32_e32 v2, 28, v0
	v_lshlrev_b64_e32 v[2:3], v2, v[4:5]
	s_delay_alu instid0(VALU_DEP_1)
	v_dual_sub_nc_u32 v0, 29, v0 :: v_dual_bitop2_b32 v4, 7, v2 bitop3:0x40
; %bb.1063:                             ;   in Loop: Header=BB232_10 Depth=1
	s_or_b32 exec_lo, exec_lo, s16
	s_delay_alu instid0(VALU_DEP_1) | instskip(NEXT) | instid1(VALU_DEP_2)
	v_dual_lshlrev_b32 v1, 24, v1 :: v_dual_lshlrev_b32 v2, 20, v4
	v_lshl_add_u32 v0, v0, 23, 0x3c000000
	s_delay_alu instid0(VALU_DEP_2) | instskip(NEXT) | instid1(VALU_DEP_1)
	v_and_b32_e32 v1, 0x80000000, v1
	v_or3_b32 v3, v2, v1, v0
	v_dual_mov_b32 v1, v5 :: v_dual_mov_b32 v2, v5
	s_clause 0x1
	scratch_store_b64 off, v[0:1], s32 offset:192
	scratch_store_b64 off, v[2:3], s32 offset:1244
.LBB232_1064:                           ;   in Loop: Header=BB232_10 Depth=1
	s_wait_xcnt 0x0
	s_or_b32 exec_lo, exec_lo, s15
.LBB232_1065:                           ;   in Loop: Header=BB232_10 Depth=1
	s_delay_alu instid0(SALU_CYCLE_1)
	s_or_b32 exec_lo, exec_lo, s11
.LBB232_1066:                           ;   in Loop: Header=BB232_10 Depth=1
	s_delay_alu instid0(SALU_CYCLE_1)
	s_or_b32 exec_lo, exec_lo, s4
	flat_load_b32 v0, v[66:67] offset:4100
	v_mov_b64_e32 v[2:3], 0
	s_mov_b32 s4, exec_lo
	scratch_store_b64 off, v[2:3], s32 offset:1292 ; 8-byte Folded Spill
	s_wait_xcnt 0x0
	v_mov_b64_e32 v[2:3], 0
	scratch_store_b64 off, v[2:3], s32 offset:1268 ; 8-byte Folded Spill
	s_wait_loadcnt_dscnt 0x0
	v_and_b32_e32 v1, 0xff, v0
	s_wait_xcnt 0x0
	s_delay_alu instid0(VALU_DEP_1)
	v_cmpx_ne_u16_e32 0, v1
	s_cbranch_execz .LBB232_1074
; %bb.1067:                             ;   in Loop: Header=BB232_10 Depth=1
	v_mov_b64_e32 v[2:3], 0x80000000
	s_mov_b32 s11, exec_lo
	scratch_store_b64 off, v[2:3], s32 offset:1268 ; 8-byte Folded Spill
	s_wait_xcnt 0x0
	v_cmpx_ne_u16_e32 0x80, v1
	s_cbranch_execz .LBB232_1073
; %bb.1068:                             ;   in Loop: Header=BB232_10 Depth=1
	v_mov_b64_e32 v[4:5], 0x7f800001
	v_and_b32_e32 v2, 0x7f, v0
	s_mov_b32 s15, exec_lo
	scratch_store_b64 off, v[4:5], s32 offset:1268 ; 8-byte Folded Spill
	s_wait_xcnt 0x0
	v_cmpx_ne_u32_e32 0x7f, v2
	s_cbranch_execz .LBB232_1072
; %bb.1069:                             ;   in Loop: Header=BB232_10 Depth=1
	scratch_load_b64 v[4:5], off, s32 offset:192 th:TH_LOAD_LU ; 8-byte Folded Reload
	s_wait_loadcnt 0x0
	v_dual_lshrrev_b32 v1, 3, v2 :: v_dual_bitop2_b32 v4, 7, v0 bitop3:0x40
	s_mov_b32 s16, exec_lo
	s_wait_xcnt 0x0
	v_cmpx_gt_u32_e32 8, v2
; %bb.1070:                             ;   in Loop: Header=BB232_10 Depth=1
	s_delay_alu instid0(VALU_DEP_2) | instskip(NEXT) | instid1(VALU_DEP_1)
	v_clz_i32_u32_e32 v1, v4
	v_min_u32_e32 v1, 32, v1
	s_delay_alu instid0(VALU_DEP_1) | instskip(NEXT) | instid1(VALU_DEP_1)
	v_subrev_nc_u32_e32 v2, 28, v1
	v_lshlrev_b64_e32 v[2:3], v2, v[4:5]
	s_delay_alu instid0(VALU_DEP_1)
	v_dual_sub_nc_u32 v1, 29, v1 :: v_dual_bitop2_b32 v4, 7, v2 bitop3:0x40
; %bb.1071:                             ;   in Loop: Header=BB232_10 Depth=1
	s_or_b32 exec_lo, exec_lo, s16
	v_lshlrev_b32_e32 v2, 24, v0
	s_delay_alu instid0(VALU_DEP_2) | instskip(NEXT) | instid1(VALU_DEP_3)
	v_lshlrev_b32_e32 v3, 20, v4
	v_lshl_add_u32 v1, v1, 23, 0x3c000000
	s_delay_alu instid0(VALU_DEP_3) | instskip(NEXT) | instid1(VALU_DEP_1)
	v_and_b32_e32 v2, 0x80000000, v2
	v_or3_b32 v4, v3, v2, v1
	v_mov_b32_e32 v1, v5
	s_clause 0x1
	scratch_store_b64 off, v[0:1], s32 offset:192
	scratch_store_b64 off, v[4:5], s32 offset:1268
.LBB232_1072:                           ;   in Loop: Header=BB232_10 Depth=1
	s_wait_xcnt 0x0
	s_or_b32 exec_lo, exec_lo, s15
.LBB232_1073:                           ;   in Loop: Header=BB232_10 Depth=1
	s_delay_alu instid0(SALU_CYCLE_1)
	s_or_b32 exec_lo, exec_lo, s11
.LBB232_1074:                           ;   in Loop: Header=BB232_10 Depth=1
	s_delay_alu instid0(SALU_CYCLE_1) | instskip(SKIP_2) | instid1(VALU_DEP_1)
	s_or_b32 exec_lo, exec_lo, s4
	v_lshrrev_b16 v1, 8, v0
	s_mov_b32 s4, exec_lo
	v_cmpx_ne_u16_e32 0, v1
	s_cbranch_execz .LBB232_1082
; %bb.1075:                             ;   in Loop: Header=BB232_10 Depth=1
	v_mov_b64_e32 v[2:3], 0x8000000000000000
	s_mov_b32 s11, exec_lo
	scratch_store_b64 off, v[2:3], s32 offset:1292 ; 8-byte Folded Spill
	s_wait_xcnt 0x0
	v_cmpx_ne_u16_e32 0x80, v1
	s_cbranch_execz .LBB232_1081
; %bb.1076:                             ;   in Loop: Header=BB232_10 Depth=1
	v_and_b32_e32 v1, 0xffff, v1
	v_mov_b64_e32 v[4:5], 0x7f80000100000000
	s_mov_b32 s15, exec_lo
	s_delay_alu instid0(VALU_DEP_2)
	v_and_b32_e32 v2, 0x7f, v1
	scratch_store_b64 off, v[4:5], s32 offset:1292 ; 8-byte Folded Spill
	s_wait_xcnt 0x0
	v_cmpx_ne_u32_e32 0x7f, v2
	s_cbranch_execz .LBB232_1080
; %bb.1077:                             ;   in Loop: Header=BB232_10 Depth=1
	scratch_load_b64 v[4:5], off, s32 offset:192 th:TH_LOAD_LU ; 8-byte Folded Reload
	s_wait_loadcnt 0x0
	v_dual_lshrrev_b32 v1, 3, v2 :: v_dual_bitop2_b32 v4, 7, v1 bitop3:0x40
	s_mov_b32 s16, exec_lo
	s_wait_xcnt 0x0
	v_cmpx_gt_u32_e32 8, v2
; %bb.1078:                             ;   in Loop: Header=BB232_10 Depth=1
	s_delay_alu instid0(VALU_DEP_2) | instskip(NEXT) | instid1(VALU_DEP_1)
	v_clz_i32_u32_e32 v1, v4
	v_min_u32_e32 v1, 32, v1
	s_delay_alu instid0(VALU_DEP_1) | instskip(NEXT) | instid1(VALU_DEP_1)
	v_subrev_nc_u32_e32 v2, 28, v1
	v_lshlrev_b64_e32 v[2:3], v2, v[4:5]
	s_delay_alu instid0(VALU_DEP_1)
	v_dual_sub_nc_u32 v1, 29, v1 :: v_dual_bitop2_b32 v4, 7, v2 bitop3:0x40
; %bb.1079:                             ;   in Loop: Header=BB232_10 Depth=1
	s_or_b32 exec_lo, exec_lo, s16
	v_lshlrev_b32_e32 v2, 16, v0
	s_delay_alu instid0(VALU_DEP_2) | instskip(NEXT) | instid1(VALU_DEP_3)
	v_lshlrev_b32_e32 v3, 20, v4
	v_lshl_add_u32 v1, v1, 23, 0x3c000000
	s_delay_alu instid0(VALU_DEP_3) | instskip(NEXT) | instid1(VALU_DEP_1)
	v_and_b32_e32 v2, 0x80000000, v2
	v_or3_b32 v3, v3, v2, v1
	v_dual_mov_b32 v1, v5 :: v_dual_mov_b32 v2, v5
	s_clause 0x1
	scratch_store_b64 off, v[0:1], s32 offset:192
	scratch_store_b64 off, v[2:3], s32 offset:1292
.LBB232_1080:                           ;   in Loop: Header=BB232_10 Depth=1
	s_wait_xcnt 0x0
	s_or_b32 exec_lo, exec_lo, s15
.LBB232_1081:                           ;   in Loop: Header=BB232_10 Depth=1
	s_delay_alu instid0(SALU_CYCLE_1)
	s_or_b32 exec_lo, exec_lo, s11
.LBB232_1082:                           ;   in Loop: Header=BB232_10 Depth=1
	s_delay_alu instid0(SALU_CYCLE_1) | instskip(SKIP_3) | instid1(VALU_DEP_1)
	s_or_b32 exec_lo, exec_lo, s4
	v_mov_b64_e32 v[4:5], 0
	v_lshrrev_b32_e32 v1, 16, v0
	s_mov_b32 s4, exec_lo
	v_and_b32_e32 v2, 0xff, v1
	scratch_store_b64 off, v[4:5], s32 offset:1276 ; 8-byte Folded Spill
	s_wait_xcnt 0x0
	v_mov_b64_e32 v[4:5], 0
	scratch_store_b64 off, v[4:5], s32 offset:1284 ; 8-byte Folded Spill
	s_wait_xcnt 0x0
	v_cmpx_ne_u16_e32 0, v2
	s_cbranch_execz .LBB232_1090
; %bb.1083:                             ;   in Loop: Header=BB232_10 Depth=1
	v_cmp_ne_u16_e64 s1, 0x80, v2
	v_mov_b64_e32 v[2:3], 0x80000000
	scratch_store_b64 off, v[2:3], s32 offset:1284 ; 8-byte Folded Spill
	s_wait_xcnt 0x0
	s_and_saveexec_b32 s11, s1
	s_cbranch_execz .LBB232_1089
; %bb.1084:                             ;   in Loop: Header=BB232_10 Depth=1
	v_mov_b64_e32 v[4:5], 0x7f800001
	v_bfe_u32 v3, v0, 16, 7
	s_mov_b32 s15, exec_lo
	scratch_store_b64 off, v[4:5], s32 offset:1284 ; 8-byte Folded Spill
	s_wait_xcnt 0x0
	v_cmpx_ne_u32_e32 0x7f, v3
	s_cbranch_execz .LBB232_1088
; %bb.1085:                             ;   in Loop: Header=BB232_10 Depth=1
	scratch_load_b64 v[6:7], off, s32 offset:192 th:TH_LOAD_LU ; 8-byte Folded Reload
	s_wait_loadcnt 0x0
	v_dual_lshrrev_b32 v2, 3, v3 :: v_dual_bitop2_b32 v6, 7, v1 bitop3:0x40
	s_mov_b32 s16, exec_lo
	s_wait_xcnt 0x0
	v_cmpx_gt_u32_e32 8, v3
; %bb.1086:                             ;   in Loop: Header=BB232_10 Depth=1
	s_delay_alu instid0(VALU_DEP_2) | instskip(NEXT) | instid1(VALU_DEP_1)
	v_clz_i32_u32_e32 v2, v6
	v_min_u32_e32 v2, 32, v2
	s_delay_alu instid0(VALU_DEP_1) | instskip(NEXT) | instid1(VALU_DEP_1)
	v_subrev_nc_u32_e32 v3, 28, v2
	v_lshlrev_b64_e32 v[4:5], v3, v[6:7]
	s_delay_alu instid0(VALU_DEP_1)
	v_dual_sub_nc_u32 v2, 29, v2 :: v_dual_bitop2_b32 v6, 7, v4 bitop3:0x40
; %bb.1087:                             ;   in Loop: Header=BB232_10 Depth=1
	s_or_b32 exec_lo, exec_lo, s16
	s_delay_alu instid0(VALU_DEP_1) | instskip(NEXT) | instid1(VALU_DEP_2)
	v_dual_lshlrev_b32 v1, 24, v1 :: v_dual_lshlrev_b32 v3, 20, v6
	v_lshl_add_u32 v2, v2, 23, 0x3c000000
	s_delay_alu instid0(VALU_DEP_2) | instskip(NEXT) | instid1(VALU_DEP_1)
	v_and_b32_e32 v1, 0x80000000, v1
	v_or3_b32 v6, v3, v1, v2
	v_mov_b32_e32 v1, v7
	s_clause 0x1
	scratch_store_b64 off, v[0:1], s32 offset:192
	scratch_store_b64 off, v[6:7], s32 offset:1284
.LBB232_1088:                           ;   in Loop: Header=BB232_10 Depth=1
	s_wait_xcnt 0x0
	s_or_b32 exec_lo, exec_lo, s15
.LBB232_1089:                           ;   in Loop: Header=BB232_10 Depth=1
	s_delay_alu instid0(SALU_CYCLE_1)
	s_or_b32 exec_lo, exec_lo, s11
.LBB232_1090:                           ;   in Loop: Header=BB232_10 Depth=1
	s_delay_alu instid0(SALU_CYCLE_1) | instskip(NEXT) | instid1(SALU_CYCLE_1)
	s_or_b32 exec_lo, exec_lo, s4
	s_mov_b32 s4, exec_lo
	v_cmpx_lt_u32_e32 0xffffff, v0
	s_cbranch_execz .LBB232_1098
; %bb.1091:                             ;   in Loop: Header=BB232_10 Depth=1
	v_mov_b64_e32 v[2:3], 0x8000000000000000
	v_lshrrev_b32_e32 v1, 24, v0
	s_mov_b32 s11, exec_lo
	scratch_store_b64 off, v[2:3], s32 offset:1276 ; 8-byte Folded Spill
	s_wait_xcnt 0x0
	v_cmpx_ne_u32_e32 0x80, v1
	s_cbranch_execz .LBB232_1097
; %bb.1092:                             ;   in Loop: Header=BB232_10 Depth=1
	v_mov_b64_e32 v[4:5], 0x7f80000100000000
	v_bfe_u32 v2, v0, 24, 7
	s_mov_b32 s15, exec_lo
	scratch_store_b64 off, v[4:5], s32 offset:1276 ; 8-byte Folded Spill
	s_wait_xcnt 0x0
	v_cmpx_ne_u32_e32 0x7f, v2
	s_cbranch_execz .LBB232_1096
; %bb.1093:                             ;   in Loop: Header=BB232_10 Depth=1
	scratch_load_b64 v[4:5], off, s32 offset:192 th:TH_LOAD_LU ; 8-byte Folded Reload
	s_wait_loadcnt 0x0
	v_dual_lshrrev_b32 v0, 3, v2 :: v_dual_bitop2_b32 v4, 7, v1 bitop3:0x40
	s_mov_b32 s16, exec_lo
	s_wait_xcnt 0x0
	v_cmpx_gt_u32_e32 8, v2
; %bb.1094:                             ;   in Loop: Header=BB232_10 Depth=1
	s_delay_alu instid0(VALU_DEP_2) | instskip(NEXT) | instid1(VALU_DEP_1)
	v_clz_i32_u32_e32 v0, v4
	v_min_u32_e32 v0, 32, v0
	s_delay_alu instid0(VALU_DEP_1) | instskip(NEXT) | instid1(VALU_DEP_1)
	v_subrev_nc_u32_e32 v2, 28, v0
	v_lshlrev_b64_e32 v[2:3], v2, v[4:5]
	s_delay_alu instid0(VALU_DEP_1)
	v_dual_sub_nc_u32 v0, 29, v0 :: v_dual_bitop2_b32 v4, 7, v2 bitop3:0x40
; %bb.1095:                             ;   in Loop: Header=BB232_10 Depth=1
	s_or_b32 exec_lo, exec_lo, s16
	s_delay_alu instid0(VALU_DEP_1) | instskip(NEXT) | instid1(VALU_DEP_2)
	v_dual_lshlrev_b32 v1, 24, v1 :: v_dual_lshlrev_b32 v2, 20, v4
	v_lshl_add_u32 v0, v0, 23, 0x3c000000
	s_delay_alu instid0(VALU_DEP_2) | instskip(NEXT) | instid1(VALU_DEP_1)
	v_and_b32_e32 v1, 0x80000000, v1
	v_or3_b32 v3, v2, v1, v0
	v_dual_mov_b32 v1, v5 :: v_dual_mov_b32 v2, v5
	s_clause 0x1
	scratch_store_b64 off, v[0:1], s32 offset:192
	scratch_store_b64 off, v[2:3], s32 offset:1276
.LBB232_1096:                           ;   in Loop: Header=BB232_10 Depth=1
	s_wait_xcnt 0x0
	s_or_b32 exec_lo, exec_lo, s15
.LBB232_1097:                           ;   in Loop: Header=BB232_10 Depth=1
	s_delay_alu instid0(SALU_CYCLE_1)
	s_or_b32 exec_lo, exec_lo, s11
.LBB232_1098:                           ;   in Loop: Header=BB232_10 Depth=1
	s_delay_alu instid0(SALU_CYCLE_1)
	s_or_b32 exec_lo, exec_lo, s4
	flat_load_b32 v0, v[66:67] offset:4104
	v_mov_b64_e32 v[2:3], 0
	s_mov_b32 s4, exec_lo
	scratch_store_b64 off, v[2:3], s32 offset:1324 ; 8-byte Folded Spill
	s_wait_xcnt 0x0
	v_mov_b64_e32 v[2:3], 0
	scratch_store_b64 off, v[2:3], s32 offset:1300 ; 8-byte Folded Spill
	s_wait_loadcnt_dscnt 0x0
	v_and_b32_e32 v1, 0xff, v0
	s_wait_xcnt 0x0
	s_delay_alu instid0(VALU_DEP_1)
	v_cmpx_ne_u16_e32 0, v1
	s_cbranch_execz .LBB232_1106
; %bb.1099:                             ;   in Loop: Header=BB232_10 Depth=1
	v_mov_b64_e32 v[2:3], 0x80000000
	s_mov_b32 s11, exec_lo
	scratch_store_b64 off, v[2:3], s32 offset:1300 ; 8-byte Folded Spill
	s_wait_xcnt 0x0
	v_cmpx_ne_u16_e32 0x80, v1
	s_cbranch_execz .LBB232_1105
; %bb.1100:                             ;   in Loop: Header=BB232_10 Depth=1
	v_mov_b64_e32 v[4:5], 0x7f800001
	v_and_b32_e32 v2, 0x7f, v0
	s_mov_b32 s15, exec_lo
	scratch_store_b64 off, v[4:5], s32 offset:1300 ; 8-byte Folded Spill
	s_wait_xcnt 0x0
	v_cmpx_ne_u32_e32 0x7f, v2
	s_cbranch_execz .LBB232_1104
; %bb.1101:                             ;   in Loop: Header=BB232_10 Depth=1
	scratch_load_b64 v[4:5], off, s32 offset:192 th:TH_LOAD_LU ; 8-byte Folded Reload
	s_wait_loadcnt 0x0
	v_dual_lshrrev_b32 v1, 3, v2 :: v_dual_bitop2_b32 v4, 7, v0 bitop3:0x40
	s_mov_b32 s16, exec_lo
	s_wait_xcnt 0x0
	v_cmpx_gt_u32_e32 8, v2
; %bb.1102:                             ;   in Loop: Header=BB232_10 Depth=1
	s_delay_alu instid0(VALU_DEP_2) | instskip(NEXT) | instid1(VALU_DEP_1)
	v_clz_i32_u32_e32 v1, v4
	v_min_u32_e32 v1, 32, v1
	s_delay_alu instid0(VALU_DEP_1) | instskip(NEXT) | instid1(VALU_DEP_1)
	v_subrev_nc_u32_e32 v2, 28, v1
	v_lshlrev_b64_e32 v[2:3], v2, v[4:5]
	s_delay_alu instid0(VALU_DEP_1)
	v_dual_sub_nc_u32 v1, 29, v1 :: v_dual_bitop2_b32 v4, 7, v2 bitop3:0x40
; %bb.1103:                             ;   in Loop: Header=BB232_10 Depth=1
	s_or_b32 exec_lo, exec_lo, s16
	v_lshlrev_b32_e32 v2, 24, v0
	s_delay_alu instid0(VALU_DEP_2) | instskip(NEXT) | instid1(VALU_DEP_3)
	v_lshlrev_b32_e32 v3, 20, v4
	v_lshl_add_u32 v1, v1, 23, 0x3c000000
	s_delay_alu instid0(VALU_DEP_3) | instskip(NEXT) | instid1(VALU_DEP_1)
	v_and_b32_e32 v2, 0x80000000, v2
	v_or3_b32 v4, v3, v2, v1
	v_mov_b32_e32 v1, v5
	s_clause 0x1
	scratch_store_b64 off, v[0:1], s32 offset:192
	scratch_store_b64 off, v[4:5], s32 offset:1300
.LBB232_1104:                           ;   in Loop: Header=BB232_10 Depth=1
	s_wait_xcnt 0x0
	s_or_b32 exec_lo, exec_lo, s15
.LBB232_1105:                           ;   in Loop: Header=BB232_10 Depth=1
	s_delay_alu instid0(SALU_CYCLE_1)
	s_or_b32 exec_lo, exec_lo, s11
.LBB232_1106:                           ;   in Loop: Header=BB232_10 Depth=1
	s_delay_alu instid0(SALU_CYCLE_1) | instskip(SKIP_2) | instid1(VALU_DEP_1)
	s_or_b32 exec_lo, exec_lo, s4
	v_lshrrev_b16 v1, 8, v0
	s_mov_b32 s4, exec_lo
	v_cmpx_ne_u16_e32 0, v1
	s_cbranch_execz .LBB232_1114
; %bb.1107:                             ;   in Loop: Header=BB232_10 Depth=1
	v_mov_b64_e32 v[2:3], 0x8000000000000000
	s_mov_b32 s11, exec_lo
	scratch_store_b64 off, v[2:3], s32 offset:1324 ; 8-byte Folded Spill
	s_wait_xcnt 0x0
	v_cmpx_ne_u16_e32 0x80, v1
	s_cbranch_execz .LBB232_1113
; %bb.1108:                             ;   in Loop: Header=BB232_10 Depth=1
	v_and_b32_e32 v1, 0xffff, v1
	v_mov_b64_e32 v[4:5], 0x7f80000100000000
	s_mov_b32 s15, exec_lo
	s_delay_alu instid0(VALU_DEP_2)
	v_and_b32_e32 v2, 0x7f, v1
	scratch_store_b64 off, v[4:5], s32 offset:1324 ; 8-byte Folded Spill
	s_wait_xcnt 0x0
	v_cmpx_ne_u32_e32 0x7f, v2
	s_cbranch_execz .LBB232_1112
; %bb.1109:                             ;   in Loop: Header=BB232_10 Depth=1
	scratch_load_b64 v[4:5], off, s32 offset:192 th:TH_LOAD_LU ; 8-byte Folded Reload
	s_wait_loadcnt 0x0
	v_dual_lshrrev_b32 v1, 3, v2 :: v_dual_bitop2_b32 v4, 7, v1 bitop3:0x40
	s_mov_b32 s16, exec_lo
	s_wait_xcnt 0x0
	v_cmpx_gt_u32_e32 8, v2
; %bb.1110:                             ;   in Loop: Header=BB232_10 Depth=1
	s_delay_alu instid0(VALU_DEP_2) | instskip(NEXT) | instid1(VALU_DEP_1)
	v_clz_i32_u32_e32 v1, v4
	v_min_u32_e32 v1, 32, v1
	s_delay_alu instid0(VALU_DEP_1) | instskip(NEXT) | instid1(VALU_DEP_1)
	v_subrev_nc_u32_e32 v2, 28, v1
	v_lshlrev_b64_e32 v[2:3], v2, v[4:5]
	s_delay_alu instid0(VALU_DEP_1)
	v_dual_sub_nc_u32 v1, 29, v1 :: v_dual_bitop2_b32 v4, 7, v2 bitop3:0x40
; %bb.1111:                             ;   in Loop: Header=BB232_10 Depth=1
	s_or_b32 exec_lo, exec_lo, s16
	v_lshlrev_b32_e32 v2, 16, v0
	s_delay_alu instid0(VALU_DEP_2) | instskip(NEXT) | instid1(VALU_DEP_3)
	v_lshlrev_b32_e32 v3, 20, v4
	v_lshl_add_u32 v1, v1, 23, 0x3c000000
	s_delay_alu instid0(VALU_DEP_3) | instskip(NEXT) | instid1(VALU_DEP_1)
	v_and_b32_e32 v2, 0x80000000, v2
	v_or3_b32 v3, v3, v2, v1
	v_dual_mov_b32 v1, v5 :: v_dual_mov_b32 v2, v5
	s_clause 0x1
	scratch_store_b64 off, v[0:1], s32 offset:192
	scratch_store_b64 off, v[2:3], s32 offset:1324
.LBB232_1112:                           ;   in Loop: Header=BB232_10 Depth=1
	s_wait_xcnt 0x0
	s_or_b32 exec_lo, exec_lo, s15
.LBB232_1113:                           ;   in Loop: Header=BB232_10 Depth=1
	s_delay_alu instid0(SALU_CYCLE_1)
	s_or_b32 exec_lo, exec_lo, s11
.LBB232_1114:                           ;   in Loop: Header=BB232_10 Depth=1
	s_delay_alu instid0(SALU_CYCLE_1) | instskip(SKIP_3) | instid1(VALU_DEP_1)
	s_or_b32 exec_lo, exec_lo, s4
	v_mov_b64_e32 v[4:5], 0
	v_lshrrev_b32_e32 v1, 16, v0
	s_mov_b32 s4, exec_lo
	v_and_b32_e32 v2, 0xff, v1
	scratch_store_b64 off, v[4:5], s32 offset:1308 ; 8-byte Folded Spill
	s_wait_xcnt 0x0
	v_mov_b64_e32 v[4:5], 0
	scratch_store_b64 off, v[4:5], s32 offset:1316 ; 8-byte Folded Spill
	s_wait_xcnt 0x0
	v_cmpx_ne_u16_e32 0, v2
	s_cbranch_execz .LBB232_1122
; %bb.1115:                             ;   in Loop: Header=BB232_10 Depth=1
	v_cmp_ne_u16_e64 s1, 0x80, v2
	v_mov_b64_e32 v[2:3], 0x80000000
	scratch_store_b64 off, v[2:3], s32 offset:1316 ; 8-byte Folded Spill
	s_wait_xcnt 0x0
	s_and_saveexec_b32 s11, s1
	s_cbranch_execz .LBB232_1121
; %bb.1116:                             ;   in Loop: Header=BB232_10 Depth=1
	v_mov_b64_e32 v[4:5], 0x7f800001
	v_bfe_u32 v3, v0, 16, 7
	s_mov_b32 s15, exec_lo
	scratch_store_b64 off, v[4:5], s32 offset:1316 ; 8-byte Folded Spill
	s_wait_xcnt 0x0
	v_cmpx_ne_u32_e32 0x7f, v3
	s_cbranch_execz .LBB232_1120
; %bb.1117:                             ;   in Loop: Header=BB232_10 Depth=1
	scratch_load_b64 v[6:7], off, s32 offset:192 th:TH_LOAD_LU ; 8-byte Folded Reload
	s_wait_loadcnt 0x0
	v_dual_lshrrev_b32 v2, 3, v3 :: v_dual_bitop2_b32 v6, 7, v1 bitop3:0x40
	s_mov_b32 s16, exec_lo
	s_wait_xcnt 0x0
	v_cmpx_gt_u32_e32 8, v3
; %bb.1118:                             ;   in Loop: Header=BB232_10 Depth=1
	s_delay_alu instid0(VALU_DEP_2) | instskip(NEXT) | instid1(VALU_DEP_1)
	v_clz_i32_u32_e32 v2, v6
	v_min_u32_e32 v2, 32, v2
	s_delay_alu instid0(VALU_DEP_1) | instskip(NEXT) | instid1(VALU_DEP_1)
	v_subrev_nc_u32_e32 v3, 28, v2
	v_lshlrev_b64_e32 v[4:5], v3, v[6:7]
	s_delay_alu instid0(VALU_DEP_1)
	v_dual_sub_nc_u32 v2, 29, v2 :: v_dual_bitop2_b32 v6, 7, v4 bitop3:0x40
; %bb.1119:                             ;   in Loop: Header=BB232_10 Depth=1
	s_or_b32 exec_lo, exec_lo, s16
	s_delay_alu instid0(VALU_DEP_1) | instskip(NEXT) | instid1(VALU_DEP_2)
	v_dual_lshlrev_b32 v1, 24, v1 :: v_dual_lshlrev_b32 v3, 20, v6
	v_lshl_add_u32 v2, v2, 23, 0x3c000000
	s_delay_alu instid0(VALU_DEP_2) | instskip(NEXT) | instid1(VALU_DEP_1)
	v_and_b32_e32 v1, 0x80000000, v1
	v_or3_b32 v6, v3, v1, v2
	v_mov_b32_e32 v1, v7
	s_clause 0x1
	scratch_store_b64 off, v[0:1], s32 offset:192
	scratch_store_b64 off, v[6:7], s32 offset:1316
.LBB232_1120:                           ;   in Loop: Header=BB232_10 Depth=1
	s_wait_xcnt 0x0
	s_or_b32 exec_lo, exec_lo, s15
.LBB232_1121:                           ;   in Loop: Header=BB232_10 Depth=1
	s_delay_alu instid0(SALU_CYCLE_1)
	s_or_b32 exec_lo, exec_lo, s11
.LBB232_1122:                           ;   in Loop: Header=BB232_10 Depth=1
	s_delay_alu instid0(SALU_CYCLE_1) | instskip(NEXT) | instid1(SALU_CYCLE_1)
	s_or_b32 exec_lo, exec_lo, s4
	s_mov_b32 s4, exec_lo
	v_cmpx_lt_u32_e32 0xffffff, v0
	s_cbranch_execz .LBB232_1130
; %bb.1123:                             ;   in Loop: Header=BB232_10 Depth=1
	v_mov_b64_e32 v[2:3], 0x8000000000000000
	v_lshrrev_b32_e32 v1, 24, v0
	s_mov_b32 s11, exec_lo
	scratch_store_b64 off, v[2:3], s32 offset:1308 ; 8-byte Folded Spill
	s_wait_xcnt 0x0
	v_cmpx_ne_u32_e32 0x80, v1
	s_cbranch_execz .LBB232_1129
; %bb.1124:                             ;   in Loop: Header=BB232_10 Depth=1
	v_mov_b64_e32 v[4:5], 0x7f80000100000000
	v_bfe_u32 v2, v0, 24, 7
	s_mov_b32 s15, exec_lo
	scratch_store_b64 off, v[4:5], s32 offset:1308 ; 8-byte Folded Spill
	s_wait_xcnt 0x0
	v_cmpx_ne_u32_e32 0x7f, v2
	s_cbranch_execz .LBB232_1128
; %bb.1125:                             ;   in Loop: Header=BB232_10 Depth=1
	scratch_load_b64 v[4:5], off, s32 offset:192 th:TH_LOAD_LU ; 8-byte Folded Reload
	s_wait_loadcnt 0x0
	v_dual_lshrrev_b32 v0, 3, v2 :: v_dual_bitop2_b32 v4, 7, v1 bitop3:0x40
	s_mov_b32 s16, exec_lo
	s_wait_xcnt 0x0
	v_cmpx_gt_u32_e32 8, v2
; %bb.1126:                             ;   in Loop: Header=BB232_10 Depth=1
	s_delay_alu instid0(VALU_DEP_2) | instskip(NEXT) | instid1(VALU_DEP_1)
	v_clz_i32_u32_e32 v0, v4
	v_min_u32_e32 v0, 32, v0
	s_delay_alu instid0(VALU_DEP_1) | instskip(NEXT) | instid1(VALU_DEP_1)
	v_subrev_nc_u32_e32 v2, 28, v0
	v_lshlrev_b64_e32 v[2:3], v2, v[4:5]
	s_delay_alu instid0(VALU_DEP_1)
	v_dual_sub_nc_u32 v0, 29, v0 :: v_dual_bitop2_b32 v4, 7, v2 bitop3:0x40
; %bb.1127:                             ;   in Loop: Header=BB232_10 Depth=1
	s_or_b32 exec_lo, exec_lo, s16
	s_delay_alu instid0(VALU_DEP_1) | instskip(NEXT) | instid1(VALU_DEP_2)
	v_dual_lshlrev_b32 v1, 24, v1 :: v_dual_lshlrev_b32 v2, 20, v4
	v_lshl_add_u32 v0, v0, 23, 0x3c000000
	s_delay_alu instid0(VALU_DEP_2) | instskip(NEXT) | instid1(VALU_DEP_1)
	v_and_b32_e32 v1, 0x80000000, v1
	v_or3_b32 v3, v2, v1, v0
	v_dual_mov_b32 v1, v5 :: v_dual_mov_b32 v2, v5
	s_clause 0x1
	scratch_store_b64 off, v[0:1], s32 offset:192
	scratch_store_b64 off, v[2:3], s32 offset:1308
.LBB232_1128:                           ;   in Loop: Header=BB232_10 Depth=1
	s_wait_xcnt 0x0
	s_or_b32 exec_lo, exec_lo, s15
.LBB232_1129:                           ;   in Loop: Header=BB232_10 Depth=1
	s_delay_alu instid0(SALU_CYCLE_1)
	s_or_b32 exec_lo, exec_lo, s11
.LBB232_1130:                           ;   in Loop: Header=BB232_10 Depth=1
	s_delay_alu instid0(SALU_CYCLE_1)
	s_or_b32 exec_lo, exec_lo, s4
	flat_load_b32 v0, v[66:67] offset:4108
	v_mov_b64_e32 v[2:3], 0
	s_mov_b32 s4, exec_lo
	scratch_store_b64 off, v[2:3], s32 offset:1356 ; 8-byte Folded Spill
	s_wait_xcnt 0x0
	v_mov_b64_e32 v[2:3], 0
	scratch_store_b64 off, v[2:3], s32 offset:1332 ; 8-byte Folded Spill
	s_wait_loadcnt_dscnt 0x0
	v_and_b32_e32 v1, 0xff, v0
	s_wait_xcnt 0x0
	s_delay_alu instid0(VALU_DEP_1)
	v_cmpx_ne_u16_e32 0, v1
	s_cbranch_execz .LBB232_1138
; %bb.1131:                             ;   in Loop: Header=BB232_10 Depth=1
	v_mov_b64_e32 v[2:3], 0x80000000
	s_mov_b32 s11, exec_lo
	scratch_store_b64 off, v[2:3], s32 offset:1332 ; 8-byte Folded Spill
	s_wait_xcnt 0x0
	v_cmpx_ne_u16_e32 0x80, v1
	s_cbranch_execz .LBB232_1137
; %bb.1132:                             ;   in Loop: Header=BB232_10 Depth=1
	v_mov_b64_e32 v[4:5], 0x7f800001
	v_and_b32_e32 v2, 0x7f, v0
	s_mov_b32 s15, exec_lo
	scratch_store_b64 off, v[4:5], s32 offset:1332 ; 8-byte Folded Spill
	s_wait_xcnt 0x0
	v_cmpx_ne_u32_e32 0x7f, v2
	s_cbranch_execz .LBB232_1136
; %bb.1133:                             ;   in Loop: Header=BB232_10 Depth=1
	scratch_load_b64 v[4:5], off, s32 offset:192 th:TH_LOAD_LU ; 8-byte Folded Reload
	s_wait_loadcnt 0x0
	v_dual_lshrrev_b32 v1, 3, v2 :: v_dual_bitop2_b32 v4, 7, v0 bitop3:0x40
	s_mov_b32 s16, exec_lo
	s_wait_xcnt 0x0
	v_cmpx_gt_u32_e32 8, v2
; %bb.1134:                             ;   in Loop: Header=BB232_10 Depth=1
	s_delay_alu instid0(VALU_DEP_2) | instskip(NEXT) | instid1(VALU_DEP_1)
	v_clz_i32_u32_e32 v1, v4
	v_min_u32_e32 v1, 32, v1
	s_delay_alu instid0(VALU_DEP_1) | instskip(NEXT) | instid1(VALU_DEP_1)
	v_subrev_nc_u32_e32 v2, 28, v1
	v_lshlrev_b64_e32 v[2:3], v2, v[4:5]
	s_delay_alu instid0(VALU_DEP_1)
	v_dual_sub_nc_u32 v1, 29, v1 :: v_dual_bitop2_b32 v4, 7, v2 bitop3:0x40
; %bb.1135:                             ;   in Loop: Header=BB232_10 Depth=1
	s_or_b32 exec_lo, exec_lo, s16
	v_lshlrev_b32_e32 v2, 24, v0
	s_delay_alu instid0(VALU_DEP_2) | instskip(NEXT) | instid1(VALU_DEP_3)
	v_lshlrev_b32_e32 v3, 20, v4
	v_lshl_add_u32 v1, v1, 23, 0x3c000000
	s_delay_alu instid0(VALU_DEP_3) | instskip(NEXT) | instid1(VALU_DEP_1)
	v_and_b32_e32 v2, 0x80000000, v2
	v_or3_b32 v4, v3, v2, v1
	v_mov_b32_e32 v1, v5
	s_clause 0x1
	scratch_store_b64 off, v[0:1], s32 offset:192
	scratch_store_b64 off, v[4:5], s32 offset:1332
.LBB232_1136:                           ;   in Loop: Header=BB232_10 Depth=1
	s_wait_xcnt 0x0
	s_or_b32 exec_lo, exec_lo, s15
.LBB232_1137:                           ;   in Loop: Header=BB232_10 Depth=1
	s_delay_alu instid0(SALU_CYCLE_1)
	s_or_b32 exec_lo, exec_lo, s11
.LBB232_1138:                           ;   in Loop: Header=BB232_10 Depth=1
	s_delay_alu instid0(SALU_CYCLE_1) | instskip(SKIP_2) | instid1(VALU_DEP_1)
	s_or_b32 exec_lo, exec_lo, s4
	v_lshrrev_b16 v1, 8, v0
	s_mov_b32 s4, exec_lo
	v_cmpx_ne_u16_e32 0, v1
	s_cbranch_execz .LBB232_1146
; %bb.1139:                             ;   in Loop: Header=BB232_10 Depth=1
	v_mov_b64_e32 v[2:3], 0x8000000000000000
	s_mov_b32 s11, exec_lo
	scratch_store_b64 off, v[2:3], s32 offset:1356 ; 8-byte Folded Spill
	s_wait_xcnt 0x0
	v_cmpx_ne_u16_e32 0x80, v1
	s_cbranch_execz .LBB232_1145
; %bb.1140:                             ;   in Loop: Header=BB232_10 Depth=1
	v_and_b32_e32 v1, 0xffff, v1
	v_mov_b64_e32 v[4:5], 0x7f80000100000000
	s_mov_b32 s15, exec_lo
	s_delay_alu instid0(VALU_DEP_2)
	v_and_b32_e32 v2, 0x7f, v1
	scratch_store_b64 off, v[4:5], s32 offset:1356 ; 8-byte Folded Spill
	s_wait_xcnt 0x0
	v_cmpx_ne_u32_e32 0x7f, v2
	s_cbranch_execz .LBB232_1144
; %bb.1141:                             ;   in Loop: Header=BB232_10 Depth=1
	scratch_load_b64 v[4:5], off, s32 offset:192 th:TH_LOAD_LU ; 8-byte Folded Reload
	s_wait_loadcnt 0x0
	v_dual_lshrrev_b32 v1, 3, v2 :: v_dual_bitop2_b32 v4, 7, v1 bitop3:0x40
	s_mov_b32 s16, exec_lo
	s_wait_xcnt 0x0
	v_cmpx_gt_u32_e32 8, v2
; %bb.1142:                             ;   in Loop: Header=BB232_10 Depth=1
	s_delay_alu instid0(VALU_DEP_2) | instskip(NEXT) | instid1(VALU_DEP_1)
	v_clz_i32_u32_e32 v1, v4
	v_min_u32_e32 v1, 32, v1
	s_delay_alu instid0(VALU_DEP_1) | instskip(NEXT) | instid1(VALU_DEP_1)
	v_subrev_nc_u32_e32 v2, 28, v1
	v_lshlrev_b64_e32 v[2:3], v2, v[4:5]
	s_delay_alu instid0(VALU_DEP_1)
	v_dual_sub_nc_u32 v1, 29, v1 :: v_dual_bitop2_b32 v4, 7, v2 bitop3:0x40
; %bb.1143:                             ;   in Loop: Header=BB232_10 Depth=1
	s_or_b32 exec_lo, exec_lo, s16
	v_lshlrev_b32_e32 v2, 16, v0
	s_delay_alu instid0(VALU_DEP_2) | instskip(NEXT) | instid1(VALU_DEP_3)
	v_lshlrev_b32_e32 v3, 20, v4
	v_lshl_add_u32 v1, v1, 23, 0x3c000000
	s_delay_alu instid0(VALU_DEP_3) | instskip(NEXT) | instid1(VALU_DEP_1)
	v_and_b32_e32 v2, 0x80000000, v2
	v_or3_b32 v3, v3, v2, v1
	v_dual_mov_b32 v1, v5 :: v_dual_mov_b32 v2, v5
	s_clause 0x1
	scratch_store_b64 off, v[0:1], s32 offset:192
	scratch_store_b64 off, v[2:3], s32 offset:1356
.LBB232_1144:                           ;   in Loop: Header=BB232_10 Depth=1
	s_wait_xcnt 0x0
	s_or_b32 exec_lo, exec_lo, s15
.LBB232_1145:                           ;   in Loop: Header=BB232_10 Depth=1
	s_delay_alu instid0(SALU_CYCLE_1)
	s_or_b32 exec_lo, exec_lo, s11
.LBB232_1146:                           ;   in Loop: Header=BB232_10 Depth=1
	s_delay_alu instid0(SALU_CYCLE_1) | instskip(SKIP_3) | instid1(VALU_DEP_1)
	s_or_b32 exec_lo, exec_lo, s4
	v_mov_b64_e32 v[4:5], 0
	v_lshrrev_b32_e32 v1, 16, v0
	s_mov_b32 s4, exec_lo
	v_and_b32_e32 v2, 0xff, v1
	scratch_store_b64 off, v[4:5], s32 offset:1340 ; 8-byte Folded Spill
	s_wait_xcnt 0x0
	v_mov_b64_e32 v[4:5], 0
	scratch_store_b64 off, v[4:5], s32 offset:1348 ; 8-byte Folded Spill
	s_wait_xcnt 0x0
	v_cmpx_ne_u16_e32 0, v2
	s_cbranch_execz .LBB232_1154
; %bb.1147:                             ;   in Loop: Header=BB232_10 Depth=1
	v_cmp_ne_u16_e64 s1, 0x80, v2
	v_mov_b64_e32 v[2:3], 0x80000000
	scratch_store_b64 off, v[2:3], s32 offset:1348 ; 8-byte Folded Spill
	s_wait_xcnt 0x0
	s_and_saveexec_b32 s11, s1
	s_cbranch_execz .LBB232_1153
; %bb.1148:                             ;   in Loop: Header=BB232_10 Depth=1
	v_mov_b64_e32 v[4:5], 0x7f800001
	v_bfe_u32 v3, v0, 16, 7
	s_mov_b32 s15, exec_lo
	scratch_store_b64 off, v[4:5], s32 offset:1348 ; 8-byte Folded Spill
	s_wait_xcnt 0x0
	v_cmpx_ne_u32_e32 0x7f, v3
	s_cbranch_execz .LBB232_1152
; %bb.1149:                             ;   in Loop: Header=BB232_10 Depth=1
	scratch_load_b64 v[6:7], off, s32 offset:192 th:TH_LOAD_LU ; 8-byte Folded Reload
	s_wait_loadcnt 0x0
	v_dual_lshrrev_b32 v2, 3, v3 :: v_dual_bitop2_b32 v6, 7, v1 bitop3:0x40
	s_mov_b32 s16, exec_lo
	s_wait_xcnt 0x0
	v_cmpx_gt_u32_e32 8, v3
; %bb.1150:                             ;   in Loop: Header=BB232_10 Depth=1
	s_delay_alu instid0(VALU_DEP_2) | instskip(NEXT) | instid1(VALU_DEP_1)
	v_clz_i32_u32_e32 v2, v6
	v_min_u32_e32 v2, 32, v2
	s_delay_alu instid0(VALU_DEP_1) | instskip(NEXT) | instid1(VALU_DEP_1)
	v_subrev_nc_u32_e32 v3, 28, v2
	v_lshlrev_b64_e32 v[4:5], v3, v[6:7]
	s_delay_alu instid0(VALU_DEP_1)
	v_dual_sub_nc_u32 v2, 29, v2 :: v_dual_bitop2_b32 v6, 7, v4 bitop3:0x40
; %bb.1151:                             ;   in Loop: Header=BB232_10 Depth=1
	s_or_b32 exec_lo, exec_lo, s16
	s_delay_alu instid0(VALU_DEP_1) | instskip(NEXT) | instid1(VALU_DEP_2)
	v_dual_lshlrev_b32 v1, 24, v1 :: v_dual_lshlrev_b32 v3, 20, v6
	v_lshl_add_u32 v2, v2, 23, 0x3c000000
	s_delay_alu instid0(VALU_DEP_2) | instskip(NEXT) | instid1(VALU_DEP_1)
	v_and_b32_e32 v1, 0x80000000, v1
	v_or3_b32 v6, v3, v1, v2
	v_mov_b32_e32 v1, v7
	s_clause 0x1
	scratch_store_b64 off, v[0:1], s32 offset:192
	scratch_store_b64 off, v[6:7], s32 offset:1348
.LBB232_1152:                           ;   in Loop: Header=BB232_10 Depth=1
	s_wait_xcnt 0x0
	s_or_b32 exec_lo, exec_lo, s15
.LBB232_1153:                           ;   in Loop: Header=BB232_10 Depth=1
	s_delay_alu instid0(SALU_CYCLE_1)
	s_or_b32 exec_lo, exec_lo, s11
.LBB232_1154:                           ;   in Loop: Header=BB232_10 Depth=1
	s_delay_alu instid0(SALU_CYCLE_1) | instskip(NEXT) | instid1(SALU_CYCLE_1)
	s_or_b32 exec_lo, exec_lo, s4
	s_mov_b32 s4, exec_lo
	v_cmpx_lt_u32_e32 0xffffff, v0
	s_cbranch_execz .LBB232_1162
; %bb.1155:                             ;   in Loop: Header=BB232_10 Depth=1
	v_mov_b64_e32 v[2:3], 0x8000000000000000
	v_lshrrev_b32_e32 v1, 24, v0
	s_mov_b32 s11, exec_lo
	scratch_store_b64 off, v[2:3], s32 offset:1340 ; 8-byte Folded Spill
	s_wait_xcnt 0x0
	v_cmpx_ne_u32_e32 0x80, v1
	s_cbranch_execz .LBB232_1161
; %bb.1156:                             ;   in Loop: Header=BB232_10 Depth=1
	v_mov_b64_e32 v[4:5], 0x7f80000100000000
	v_bfe_u32 v2, v0, 24, 7
	s_mov_b32 s15, exec_lo
	scratch_store_b64 off, v[4:5], s32 offset:1340 ; 8-byte Folded Spill
	s_wait_xcnt 0x0
	v_cmpx_ne_u32_e32 0x7f, v2
	s_cbranch_execz .LBB232_1160
; %bb.1157:                             ;   in Loop: Header=BB232_10 Depth=1
	scratch_load_b64 v[4:5], off, s32 offset:192 th:TH_LOAD_LU ; 8-byte Folded Reload
	s_wait_loadcnt 0x0
	v_dual_lshrrev_b32 v0, 3, v2 :: v_dual_bitop2_b32 v4, 7, v1 bitop3:0x40
	s_mov_b32 s16, exec_lo
	s_wait_xcnt 0x0
	v_cmpx_gt_u32_e32 8, v2
; %bb.1158:                             ;   in Loop: Header=BB232_10 Depth=1
	s_delay_alu instid0(VALU_DEP_2) | instskip(NEXT) | instid1(VALU_DEP_1)
	v_clz_i32_u32_e32 v0, v4
	v_min_u32_e32 v0, 32, v0
	s_delay_alu instid0(VALU_DEP_1) | instskip(NEXT) | instid1(VALU_DEP_1)
	v_subrev_nc_u32_e32 v2, 28, v0
	v_lshlrev_b64_e32 v[2:3], v2, v[4:5]
	s_delay_alu instid0(VALU_DEP_1)
	v_dual_sub_nc_u32 v0, 29, v0 :: v_dual_bitop2_b32 v4, 7, v2 bitop3:0x40
; %bb.1159:                             ;   in Loop: Header=BB232_10 Depth=1
	s_or_b32 exec_lo, exec_lo, s16
	s_delay_alu instid0(VALU_DEP_1) | instskip(NEXT) | instid1(VALU_DEP_2)
	v_dual_lshlrev_b32 v1, 24, v1 :: v_dual_lshlrev_b32 v2, 20, v4
	v_lshl_add_u32 v0, v0, 23, 0x3c000000
	s_delay_alu instid0(VALU_DEP_2) | instskip(NEXT) | instid1(VALU_DEP_1)
	v_and_b32_e32 v1, 0x80000000, v1
	v_or3_b32 v3, v2, v1, v0
	v_dual_mov_b32 v1, v5 :: v_dual_mov_b32 v2, v5
	s_clause 0x1
	scratch_store_b64 off, v[0:1], s32 offset:192
	scratch_store_b64 off, v[2:3], s32 offset:1340
.LBB232_1160:                           ;   in Loop: Header=BB232_10 Depth=1
	s_wait_xcnt 0x0
	s_or_b32 exec_lo, exec_lo, s15
.LBB232_1161:                           ;   in Loop: Header=BB232_10 Depth=1
	s_delay_alu instid0(SALU_CYCLE_1)
	s_or_b32 exec_lo, exec_lo, s11
.LBB232_1162:                           ;   in Loop: Header=BB232_10 Depth=1
	s_delay_alu instid0(SALU_CYCLE_1)
	s_or_b32 exec_lo, exec_lo, s4
	flat_load_b32 v0, v[66:67] offset:4608
	v_mov_b64_e32 v[2:3], 0
	s_mov_b32 s4, exec_lo
	scratch_store_b64 off, v[2:3], s32 offset:1388 ; 8-byte Folded Spill
	s_wait_xcnt 0x0
	v_mov_b64_e32 v[2:3], 0
	scratch_store_b64 off, v[2:3], s32 offset:1364 ; 8-byte Folded Spill
	s_wait_loadcnt_dscnt 0x0
	v_and_b32_e32 v1, 0xff, v0
	s_wait_xcnt 0x0
	s_delay_alu instid0(VALU_DEP_1)
	v_cmpx_ne_u16_e32 0, v1
	s_cbranch_execz .LBB232_1170
; %bb.1163:                             ;   in Loop: Header=BB232_10 Depth=1
	v_mov_b64_e32 v[2:3], 0x80000000
	s_mov_b32 s11, exec_lo
	scratch_store_b64 off, v[2:3], s32 offset:1364 ; 8-byte Folded Spill
	s_wait_xcnt 0x0
	v_cmpx_ne_u16_e32 0x80, v1
	s_cbranch_execz .LBB232_1169
; %bb.1164:                             ;   in Loop: Header=BB232_10 Depth=1
	v_mov_b64_e32 v[4:5], 0x7f800001
	v_and_b32_e32 v2, 0x7f, v0
	s_mov_b32 s15, exec_lo
	scratch_store_b64 off, v[4:5], s32 offset:1364 ; 8-byte Folded Spill
	s_wait_xcnt 0x0
	v_cmpx_ne_u32_e32 0x7f, v2
	s_cbranch_execz .LBB232_1168
; %bb.1165:                             ;   in Loop: Header=BB232_10 Depth=1
	scratch_load_b64 v[4:5], off, s32 offset:192 th:TH_LOAD_LU ; 8-byte Folded Reload
	s_wait_loadcnt 0x0
	v_dual_lshrrev_b32 v1, 3, v2 :: v_dual_bitop2_b32 v4, 7, v0 bitop3:0x40
	s_mov_b32 s16, exec_lo
	s_wait_xcnt 0x0
	v_cmpx_gt_u32_e32 8, v2
; %bb.1166:                             ;   in Loop: Header=BB232_10 Depth=1
	s_delay_alu instid0(VALU_DEP_2) | instskip(NEXT) | instid1(VALU_DEP_1)
	v_clz_i32_u32_e32 v1, v4
	v_min_u32_e32 v1, 32, v1
	s_delay_alu instid0(VALU_DEP_1) | instskip(NEXT) | instid1(VALU_DEP_1)
	v_subrev_nc_u32_e32 v2, 28, v1
	v_lshlrev_b64_e32 v[2:3], v2, v[4:5]
	s_delay_alu instid0(VALU_DEP_1)
	v_dual_sub_nc_u32 v1, 29, v1 :: v_dual_bitop2_b32 v4, 7, v2 bitop3:0x40
; %bb.1167:                             ;   in Loop: Header=BB232_10 Depth=1
	s_or_b32 exec_lo, exec_lo, s16
	v_lshlrev_b32_e32 v2, 24, v0
	s_delay_alu instid0(VALU_DEP_2) | instskip(NEXT) | instid1(VALU_DEP_3)
	v_lshlrev_b32_e32 v3, 20, v4
	v_lshl_add_u32 v1, v1, 23, 0x3c000000
	s_delay_alu instid0(VALU_DEP_3) | instskip(NEXT) | instid1(VALU_DEP_1)
	v_and_b32_e32 v2, 0x80000000, v2
	v_or3_b32 v4, v3, v2, v1
	v_mov_b32_e32 v1, v5
	s_clause 0x1
	scratch_store_b64 off, v[0:1], s32 offset:192
	scratch_store_b64 off, v[4:5], s32 offset:1364
.LBB232_1168:                           ;   in Loop: Header=BB232_10 Depth=1
	s_wait_xcnt 0x0
	s_or_b32 exec_lo, exec_lo, s15
.LBB232_1169:                           ;   in Loop: Header=BB232_10 Depth=1
	s_delay_alu instid0(SALU_CYCLE_1)
	s_or_b32 exec_lo, exec_lo, s11
.LBB232_1170:                           ;   in Loop: Header=BB232_10 Depth=1
	s_delay_alu instid0(SALU_CYCLE_1) | instskip(SKIP_2) | instid1(VALU_DEP_1)
	s_or_b32 exec_lo, exec_lo, s4
	v_lshrrev_b16 v1, 8, v0
	s_mov_b32 s4, exec_lo
	v_cmpx_ne_u16_e32 0, v1
	s_cbranch_execz .LBB232_1178
; %bb.1171:                             ;   in Loop: Header=BB232_10 Depth=1
	v_mov_b64_e32 v[2:3], 0x8000000000000000
	s_mov_b32 s11, exec_lo
	scratch_store_b64 off, v[2:3], s32 offset:1388 ; 8-byte Folded Spill
	s_wait_xcnt 0x0
	v_cmpx_ne_u16_e32 0x80, v1
	s_cbranch_execz .LBB232_1177
; %bb.1172:                             ;   in Loop: Header=BB232_10 Depth=1
	v_and_b32_e32 v1, 0xffff, v1
	v_mov_b64_e32 v[4:5], 0x7f80000100000000
	s_mov_b32 s15, exec_lo
	s_delay_alu instid0(VALU_DEP_2)
	v_and_b32_e32 v2, 0x7f, v1
	scratch_store_b64 off, v[4:5], s32 offset:1388 ; 8-byte Folded Spill
	s_wait_xcnt 0x0
	v_cmpx_ne_u32_e32 0x7f, v2
	s_cbranch_execz .LBB232_1176
; %bb.1173:                             ;   in Loop: Header=BB232_10 Depth=1
	scratch_load_b64 v[4:5], off, s32 offset:192 th:TH_LOAD_LU ; 8-byte Folded Reload
	s_wait_loadcnt 0x0
	v_dual_lshrrev_b32 v1, 3, v2 :: v_dual_bitop2_b32 v4, 7, v1 bitop3:0x40
	s_mov_b32 s16, exec_lo
	s_wait_xcnt 0x0
	v_cmpx_gt_u32_e32 8, v2
; %bb.1174:                             ;   in Loop: Header=BB232_10 Depth=1
	s_delay_alu instid0(VALU_DEP_2) | instskip(NEXT) | instid1(VALU_DEP_1)
	v_clz_i32_u32_e32 v1, v4
	v_min_u32_e32 v1, 32, v1
	s_delay_alu instid0(VALU_DEP_1) | instskip(NEXT) | instid1(VALU_DEP_1)
	v_subrev_nc_u32_e32 v2, 28, v1
	v_lshlrev_b64_e32 v[2:3], v2, v[4:5]
	s_delay_alu instid0(VALU_DEP_1)
	v_dual_sub_nc_u32 v1, 29, v1 :: v_dual_bitop2_b32 v4, 7, v2 bitop3:0x40
; %bb.1175:                             ;   in Loop: Header=BB232_10 Depth=1
	s_or_b32 exec_lo, exec_lo, s16
	v_lshlrev_b32_e32 v2, 16, v0
	s_delay_alu instid0(VALU_DEP_2) | instskip(NEXT) | instid1(VALU_DEP_3)
	v_lshlrev_b32_e32 v3, 20, v4
	v_lshl_add_u32 v1, v1, 23, 0x3c000000
	s_delay_alu instid0(VALU_DEP_3) | instskip(NEXT) | instid1(VALU_DEP_1)
	v_and_b32_e32 v2, 0x80000000, v2
	v_or3_b32 v3, v3, v2, v1
	v_dual_mov_b32 v1, v5 :: v_dual_mov_b32 v2, v5
	s_clause 0x1
	scratch_store_b64 off, v[0:1], s32 offset:192
	scratch_store_b64 off, v[2:3], s32 offset:1388
.LBB232_1176:                           ;   in Loop: Header=BB232_10 Depth=1
	s_wait_xcnt 0x0
	s_or_b32 exec_lo, exec_lo, s15
.LBB232_1177:                           ;   in Loop: Header=BB232_10 Depth=1
	s_delay_alu instid0(SALU_CYCLE_1)
	s_or_b32 exec_lo, exec_lo, s11
.LBB232_1178:                           ;   in Loop: Header=BB232_10 Depth=1
	s_delay_alu instid0(SALU_CYCLE_1) | instskip(SKIP_3) | instid1(VALU_DEP_1)
	s_or_b32 exec_lo, exec_lo, s4
	v_mov_b64_e32 v[4:5], 0
	v_lshrrev_b32_e32 v1, 16, v0
	s_mov_b32 s4, exec_lo
	v_and_b32_e32 v2, 0xff, v1
	scratch_store_b64 off, v[4:5], s32 offset:1372 ; 8-byte Folded Spill
	s_wait_xcnt 0x0
	v_mov_b64_e32 v[4:5], 0
	scratch_store_b64 off, v[4:5], s32 offset:1380 ; 8-byte Folded Spill
	s_wait_xcnt 0x0
	v_cmpx_ne_u16_e32 0, v2
	s_cbranch_execz .LBB232_1186
; %bb.1179:                             ;   in Loop: Header=BB232_10 Depth=1
	v_cmp_ne_u16_e64 s1, 0x80, v2
	v_mov_b64_e32 v[2:3], 0x80000000
	scratch_store_b64 off, v[2:3], s32 offset:1380 ; 8-byte Folded Spill
	s_wait_xcnt 0x0
	s_and_saveexec_b32 s11, s1
	s_cbranch_execz .LBB232_1185
; %bb.1180:                             ;   in Loop: Header=BB232_10 Depth=1
	v_mov_b64_e32 v[4:5], 0x7f800001
	v_bfe_u32 v3, v0, 16, 7
	s_mov_b32 s15, exec_lo
	scratch_store_b64 off, v[4:5], s32 offset:1380 ; 8-byte Folded Spill
	s_wait_xcnt 0x0
	v_cmpx_ne_u32_e32 0x7f, v3
	s_cbranch_execz .LBB232_1184
; %bb.1181:                             ;   in Loop: Header=BB232_10 Depth=1
	scratch_load_b64 v[6:7], off, s32 offset:192 th:TH_LOAD_LU ; 8-byte Folded Reload
	s_wait_loadcnt 0x0
	v_dual_lshrrev_b32 v2, 3, v3 :: v_dual_bitop2_b32 v6, 7, v1 bitop3:0x40
	s_mov_b32 s16, exec_lo
	s_wait_xcnt 0x0
	v_cmpx_gt_u32_e32 8, v3
; %bb.1182:                             ;   in Loop: Header=BB232_10 Depth=1
	s_delay_alu instid0(VALU_DEP_2) | instskip(NEXT) | instid1(VALU_DEP_1)
	v_clz_i32_u32_e32 v2, v6
	v_min_u32_e32 v2, 32, v2
	s_delay_alu instid0(VALU_DEP_1) | instskip(NEXT) | instid1(VALU_DEP_1)
	v_subrev_nc_u32_e32 v3, 28, v2
	v_lshlrev_b64_e32 v[4:5], v3, v[6:7]
	s_delay_alu instid0(VALU_DEP_1)
	v_dual_sub_nc_u32 v2, 29, v2 :: v_dual_bitop2_b32 v6, 7, v4 bitop3:0x40
; %bb.1183:                             ;   in Loop: Header=BB232_10 Depth=1
	s_or_b32 exec_lo, exec_lo, s16
	s_delay_alu instid0(VALU_DEP_1) | instskip(NEXT) | instid1(VALU_DEP_2)
	v_dual_lshlrev_b32 v1, 24, v1 :: v_dual_lshlrev_b32 v3, 20, v6
	v_lshl_add_u32 v2, v2, 23, 0x3c000000
	s_delay_alu instid0(VALU_DEP_2) | instskip(NEXT) | instid1(VALU_DEP_1)
	v_and_b32_e32 v1, 0x80000000, v1
	v_or3_b32 v6, v3, v1, v2
	v_mov_b32_e32 v1, v7
	s_clause 0x1
	scratch_store_b64 off, v[0:1], s32 offset:192
	scratch_store_b64 off, v[6:7], s32 offset:1380
.LBB232_1184:                           ;   in Loop: Header=BB232_10 Depth=1
	s_wait_xcnt 0x0
	s_or_b32 exec_lo, exec_lo, s15
.LBB232_1185:                           ;   in Loop: Header=BB232_10 Depth=1
	s_delay_alu instid0(SALU_CYCLE_1)
	s_or_b32 exec_lo, exec_lo, s11
.LBB232_1186:                           ;   in Loop: Header=BB232_10 Depth=1
	s_delay_alu instid0(SALU_CYCLE_1) | instskip(NEXT) | instid1(SALU_CYCLE_1)
	s_or_b32 exec_lo, exec_lo, s4
	s_mov_b32 s4, exec_lo
	v_cmpx_lt_u32_e32 0xffffff, v0
	s_cbranch_execz .LBB232_1194
; %bb.1187:                             ;   in Loop: Header=BB232_10 Depth=1
	v_mov_b64_e32 v[2:3], 0x8000000000000000
	v_lshrrev_b32_e32 v1, 24, v0
	s_mov_b32 s11, exec_lo
	scratch_store_b64 off, v[2:3], s32 offset:1372 ; 8-byte Folded Spill
	s_wait_xcnt 0x0
	v_cmpx_ne_u32_e32 0x80, v1
	s_cbranch_execz .LBB232_1193
; %bb.1188:                             ;   in Loop: Header=BB232_10 Depth=1
	v_mov_b64_e32 v[4:5], 0x7f80000100000000
	v_bfe_u32 v2, v0, 24, 7
	s_mov_b32 s15, exec_lo
	scratch_store_b64 off, v[4:5], s32 offset:1372 ; 8-byte Folded Spill
	s_wait_xcnt 0x0
	v_cmpx_ne_u32_e32 0x7f, v2
	s_cbranch_execz .LBB232_1192
; %bb.1189:                             ;   in Loop: Header=BB232_10 Depth=1
	scratch_load_b64 v[4:5], off, s32 offset:192 th:TH_LOAD_LU ; 8-byte Folded Reload
	s_wait_loadcnt 0x0
	v_dual_lshrrev_b32 v0, 3, v2 :: v_dual_bitop2_b32 v4, 7, v1 bitop3:0x40
	s_mov_b32 s16, exec_lo
	s_wait_xcnt 0x0
	v_cmpx_gt_u32_e32 8, v2
; %bb.1190:                             ;   in Loop: Header=BB232_10 Depth=1
	s_delay_alu instid0(VALU_DEP_2) | instskip(NEXT) | instid1(VALU_DEP_1)
	v_clz_i32_u32_e32 v0, v4
	v_min_u32_e32 v0, 32, v0
	s_delay_alu instid0(VALU_DEP_1) | instskip(NEXT) | instid1(VALU_DEP_1)
	v_subrev_nc_u32_e32 v2, 28, v0
	v_lshlrev_b64_e32 v[2:3], v2, v[4:5]
	s_delay_alu instid0(VALU_DEP_1)
	v_dual_sub_nc_u32 v0, 29, v0 :: v_dual_bitop2_b32 v4, 7, v2 bitop3:0x40
; %bb.1191:                             ;   in Loop: Header=BB232_10 Depth=1
	s_or_b32 exec_lo, exec_lo, s16
	s_delay_alu instid0(VALU_DEP_1) | instskip(NEXT) | instid1(VALU_DEP_2)
	v_dual_lshlrev_b32 v1, 24, v1 :: v_dual_lshlrev_b32 v2, 20, v4
	v_lshl_add_u32 v0, v0, 23, 0x3c000000
	s_delay_alu instid0(VALU_DEP_2) | instskip(NEXT) | instid1(VALU_DEP_1)
	v_and_b32_e32 v1, 0x80000000, v1
	v_or3_b32 v3, v2, v1, v0
	v_dual_mov_b32 v1, v5 :: v_dual_mov_b32 v2, v5
	s_clause 0x1
	scratch_store_b64 off, v[0:1], s32 offset:192
	scratch_store_b64 off, v[2:3], s32 offset:1372
.LBB232_1192:                           ;   in Loop: Header=BB232_10 Depth=1
	s_wait_xcnt 0x0
	s_or_b32 exec_lo, exec_lo, s15
.LBB232_1193:                           ;   in Loop: Header=BB232_10 Depth=1
	s_delay_alu instid0(SALU_CYCLE_1)
	s_or_b32 exec_lo, exec_lo, s11
.LBB232_1194:                           ;   in Loop: Header=BB232_10 Depth=1
	s_delay_alu instid0(SALU_CYCLE_1)
	s_or_b32 exec_lo, exec_lo, s4
	flat_load_b32 v0, v[66:67] offset:4612
	v_mov_b64_e32 v[2:3], 0
	s_mov_b32 s4, exec_lo
	scratch_store_b64 off, v[2:3], s32 offset:1420 ; 8-byte Folded Spill
	s_wait_xcnt 0x0
	v_mov_b64_e32 v[2:3], 0
	scratch_store_b64 off, v[2:3], s32 offset:1396 ; 8-byte Folded Spill
	s_wait_loadcnt_dscnt 0x0
	v_and_b32_e32 v1, 0xff, v0
	s_wait_xcnt 0x0
	s_delay_alu instid0(VALU_DEP_1)
	v_cmpx_ne_u16_e32 0, v1
	s_cbranch_execz .LBB232_1202
; %bb.1195:                             ;   in Loop: Header=BB232_10 Depth=1
	v_mov_b64_e32 v[2:3], 0x80000000
	s_mov_b32 s11, exec_lo
	scratch_store_b64 off, v[2:3], s32 offset:1396 ; 8-byte Folded Spill
	s_wait_xcnt 0x0
	v_cmpx_ne_u16_e32 0x80, v1
	s_cbranch_execz .LBB232_1201
; %bb.1196:                             ;   in Loop: Header=BB232_10 Depth=1
	v_mov_b64_e32 v[4:5], 0x7f800001
	v_and_b32_e32 v2, 0x7f, v0
	s_mov_b32 s15, exec_lo
	scratch_store_b64 off, v[4:5], s32 offset:1396 ; 8-byte Folded Spill
	s_wait_xcnt 0x0
	v_cmpx_ne_u32_e32 0x7f, v2
	s_cbranch_execz .LBB232_1200
; %bb.1197:                             ;   in Loop: Header=BB232_10 Depth=1
	scratch_load_b64 v[4:5], off, s32 offset:192 th:TH_LOAD_LU ; 8-byte Folded Reload
	s_wait_loadcnt 0x0
	v_dual_lshrrev_b32 v1, 3, v2 :: v_dual_bitop2_b32 v4, 7, v0 bitop3:0x40
	s_mov_b32 s16, exec_lo
	s_wait_xcnt 0x0
	v_cmpx_gt_u32_e32 8, v2
; %bb.1198:                             ;   in Loop: Header=BB232_10 Depth=1
	s_delay_alu instid0(VALU_DEP_2) | instskip(NEXT) | instid1(VALU_DEP_1)
	v_clz_i32_u32_e32 v1, v4
	v_min_u32_e32 v1, 32, v1
	s_delay_alu instid0(VALU_DEP_1) | instskip(NEXT) | instid1(VALU_DEP_1)
	v_subrev_nc_u32_e32 v2, 28, v1
	v_lshlrev_b64_e32 v[2:3], v2, v[4:5]
	s_delay_alu instid0(VALU_DEP_1)
	v_dual_sub_nc_u32 v1, 29, v1 :: v_dual_bitop2_b32 v4, 7, v2 bitop3:0x40
; %bb.1199:                             ;   in Loop: Header=BB232_10 Depth=1
	s_or_b32 exec_lo, exec_lo, s16
	v_lshlrev_b32_e32 v2, 24, v0
	s_delay_alu instid0(VALU_DEP_2) | instskip(NEXT) | instid1(VALU_DEP_3)
	v_lshlrev_b32_e32 v3, 20, v4
	v_lshl_add_u32 v1, v1, 23, 0x3c000000
	s_delay_alu instid0(VALU_DEP_3) | instskip(NEXT) | instid1(VALU_DEP_1)
	v_and_b32_e32 v2, 0x80000000, v2
	v_or3_b32 v4, v3, v2, v1
	v_mov_b32_e32 v1, v5
	s_clause 0x1
	scratch_store_b64 off, v[0:1], s32 offset:192
	scratch_store_b64 off, v[4:5], s32 offset:1396
.LBB232_1200:                           ;   in Loop: Header=BB232_10 Depth=1
	s_wait_xcnt 0x0
	s_or_b32 exec_lo, exec_lo, s15
.LBB232_1201:                           ;   in Loop: Header=BB232_10 Depth=1
	s_delay_alu instid0(SALU_CYCLE_1)
	s_or_b32 exec_lo, exec_lo, s11
.LBB232_1202:                           ;   in Loop: Header=BB232_10 Depth=1
	s_delay_alu instid0(SALU_CYCLE_1) | instskip(SKIP_2) | instid1(VALU_DEP_1)
	s_or_b32 exec_lo, exec_lo, s4
	v_lshrrev_b16 v1, 8, v0
	s_mov_b32 s4, exec_lo
	v_cmpx_ne_u16_e32 0, v1
	s_cbranch_execz .LBB232_1210
; %bb.1203:                             ;   in Loop: Header=BB232_10 Depth=1
	v_mov_b64_e32 v[2:3], 0x8000000000000000
	s_mov_b32 s11, exec_lo
	scratch_store_b64 off, v[2:3], s32 offset:1420 ; 8-byte Folded Spill
	s_wait_xcnt 0x0
	v_cmpx_ne_u16_e32 0x80, v1
	s_cbranch_execz .LBB232_1209
; %bb.1204:                             ;   in Loop: Header=BB232_10 Depth=1
	v_and_b32_e32 v1, 0xffff, v1
	v_mov_b64_e32 v[4:5], 0x7f80000100000000
	s_mov_b32 s15, exec_lo
	s_delay_alu instid0(VALU_DEP_2)
	v_and_b32_e32 v2, 0x7f, v1
	scratch_store_b64 off, v[4:5], s32 offset:1420 ; 8-byte Folded Spill
	s_wait_xcnt 0x0
	v_cmpx_ne_u32_e32 0x7f, v2
	s_cbranch_execz .LBB232_1208
; %bb.1205:                             ;   in Loop: Header=BB232_10 Depth=1
	scratch_load_b64 v[4:5], off, s32 offset:192 th:TH_LOAD_LU ; 8-byte Folded Reload
	s_wait_loadcnt 0x0
	v_dual_lshrrev_b32 v1, 3, v2 :: v_dual_bitop2_b32 v4, 7, v1 bitop3:0x40
	s_mov_b32 s16, exec_lo
	s_wait_xcnt 0x0
	v_cmpx_gt_u32_e32 8, v2
; %bb.1206:                             ;   in Loop: Header=BB232_10 Depth=1
	s_delay_alu instid0(VALU_DEP_2) | instskip(NEXT) | instid1(VALU_DEP_1)
	v_clz_i32_u32_e32 v1, v4
	v_min_u32_e32 v1, 32, v1
	s_delay_alu instid0(VALU_DEP_1) | instskip(NEXT) | instid1(VALU_DEP_1)
	v_subrev_nc_u32_e32 v2, 28, v1
	v_lshlrev_b64_e32 v[2:3], v2, v[4:5]
	s_delay_alu instid0(VALU_DEP_1)
	v_dual_sub_nc_u32 v1, 29, v1 :: v_dual_bitop2_b32 v4, 7, v2 bitop3:0x40
; %bb.1207:                             ;   in Loop: Header=BB232_10 Depth=1
	s_or_b32 exec_lo, exec_lo, s16
	v_lshlrev_b32_e32 v2, 16, v0
	s_delay_alu instid0(VALU_DEP_2) | instskip(NEXT) | instid1(VALU_DEP_3)
	v_lshlrev_b32_e32 v3, 20, v4
	v_lshl_add_u32 v1, v1, 23, 0x3c000000
	s_delay_alu instid0(VALU_DEP_3) | instskip(NEXT) | instid1(VALU_DEP_1)
	v_and_b32_e32 v2, 0x80000000, v2
	v_or3_b32 v3, v3, v2, v1
	v_dual_mov_b32 v1, v5 :: v_dual_mov_b32 v2, v5
	s_clause 0x1
	scratch_store_b64 off, v[0:1], s32 offset:192
	scratch_store_b64 off, v[2:3], s32 offset:1420
.LBB232_1208:                           ;   in Loop: Header=BB232_10 Depth=1
	s_wait_xcnt 0x0
	s_or_b32 exec_lo, exec_lo, s15
.LBB232_1209:                           ;   in Loop: Header=BB232_10 Depth=1
	s_delay_alu instid0(SALU_CYCLE_1)
	s_or_b32 exec_lo, exec_lo, s11
.LBB232_1210:                           ;   in Loop: Header=BB232_10 Depth=1
	s_delay_alu instid0(SALU_CYCLE_1) | instskip(SKIP_3) | instid1(VALU_DEP_1)
	s_or_b32 exec_lo, exec_lo, s4
	v_mov_b64_e32 v[4:5], 0
	v_lshrrev_b32_e32 v1, 16, v0
	s_mov_b32 s4, exec_lo
	v_and_b32_e32 v2, 0xff, v1
	scratch_store_b64 off, v[4:5], s32 offset:1404 ; 8-byte Folded Spill
	s_wait_xcnt 0x0
	v_mov_b64_e32 v[4:5], 0
	scratch_store_b64 off, v[4:5], s32 offset:1412 ; 8-byte Folded Spill
	s_wait_xcnt 0x0
	v_cmpx_ne_u16_e32 0, v2
	s_cbranch_execz .LBB232_1218
; %bb.1211:                             ;   in Loop: Header=BB232_10 Depth=1
	v_cmp_ne_u16_e64 s1, 0x80, v2
	v_mov_b64_e32 v[2:3], 0x80000000
	scratch_store_b64 off, v[2:3], s32 offset:1412 ; 8-byte Folded Spill
	s_wait_xcnt 0x0
	s_and_saveexec_b32 s11, s1
	s_cbranch_execz .LBB232_1217
; %bb.1212:                             ;   in Loop: Header=BB232_10 Depth=1
	v_mov_b64_e32 v[4:5], 0x7f800001
	v_bfe_u32 v3, v0, 16, 7
	s_mov_b32 s15, exec_lo
	scratch_store_b64 off, v[4:5], s32 offset:1412 ; 8-byte Folded Spill
	s_wait_xcnt 0x0
	v_cmpx_ne_u32_e32 0x7f, v3
	s_cbranch_execz .LBB232_1216
; %bb.1213:                             ;   in Loop: Header=BB232_10 Depth=1
	scratch_load_b64 v[6:7], off, s32 offset:192 th:TH_LOAD_LU ; 8-byte Folded Reload
	s_wait_loadcnt 0x0
	v_dual_lshrrev_b32 v2, 3, v3 :: v_dual_bitop2_b32 v6, 7, v1 bitop3:0x40
	s_mov_b32 s16, exec_lo
	s_wait_xcnt 0x0
	v_cmpx_gt_u32_e32 8, v3
; %bb.1214:                             ;   in Loop: Header=BB232_10 Depth=1
	s_delay_alu instid0(VALU_DEP_2) | instskip(NEXT) | instid1(VALU_DEP_1)
	v_clz_i32_u32_e32 v2, v6
	v_min_u32_e32 v2, 32, v2
	s_delay_alu instid0(VALU_DEP_1) | instskip(NEXT) | instid1(VALU_DEP_1)
	v_subrev_nc_u32_e32 v3, 28, v2
	v_lshlrev_b64_e32 v[4:5], v3, v[6:7]
	s_delay_alu instid0(VALU_DEP_1)
	v_dual_sub_nc_u32 v2, 29, v2 :: v_dual_bitop2_b32 v6, 7, v4 bitop3:0x40
; %bb.1215:                             ;   in Loop: Header=BB232_10 Depth=1
	s_or_b32 exec_lo, exec_lo, s16
	s_delay_alu instid0(VALU_DEP_1) | instskip(NEXT) | instid1(VALU_DEP_2)
	v_dual_lshlrev_b32 v1, 24, v1 :: v_dual_lshlrev_b32 v3, 20, v6
	v_lshl_add_u32 v2, v2, 23, 0x3c000000
	s_delay_alu instid0(VALU_DEP_2) | instskip(NEXT) | instid1(VALU_DEP_1)
	v_and_b32_e32 v1, 0x80000000, v1
	v_or3_b32 v6, v3, v1, v2
	v_mov_b32_e32 v1, v7
	s_clause 0x1
	scratch_store_b64 off, v[0:1], s32 offset:192
	scratch_store_b64 off, v[6:7], s32 offset:1412
.LBB232_1216:                           ;   in Loop: Header=BB232_10 Depth=1
	s_wait_xcnt 0x0
	s_or_b32 exec_lo, exec_lo, s15
.LBB232_1217:                           ;   in Loop: Header=BB232_10 Depth=1
	s_delay_alu instid0(SALU_CYCLE_1)
	s_or_b32 exec_lo, exec_lo, s11
.LBB232_1218:                           ;   in Loop: Header=BB232_10 Depth=1
	s_delay_alu instid0(SALU_CYCLE_1) | instskip(NEXT) | instid1(SALU_CYCLE_1)
	s_or_b32 exec_lo, exec_lo, s4
	s_mov_b32 s4, exec_lo
	v_cmpx_lt_u32_e32 0xffffff, v0
	s_cbranch_execz .LBB232_1226
; %bb.1219:                             ;   in Loop: Header=BB232_10 Depth=1
	v_mov_b64_e32 v[2:3], 0x8000000000000000
	v_lshrrev_b32_e32 v1, 24, v0
	s_mov_b32 s11, exec_lo
	scratch_store_b64 off, v[2:3], s32 offset:1404 ; 8-byte Folded Spill
	s_wait_xcnt 0x0
	v_cmpx_ne_u32_e32 0x80, v1
	s_cbranch_execz .LBB232_1225
; %bb.1220:                             ;   in Loop: Header=BB232_10 Depth=1
	v_mov_b64_e32 v[4:5], 0x7f80000100000000
	v_bfe_u32 v2, v0, 24, 7
	s_mov_b32 s15, exec_lo
	scratch_store_b64 off, v[4:5], s32 offset:1404 ; 8-byte Folded Spill
	s_wait_xcnt 0x0
	v_cmpx_ne_u32_e32 0x7f, v2
	s_cbranch_execz .LBB232_1224
; %bb.1221:                             ;   in Loop: Header=BB232_10 Depth=1
	scratch_load_b64 v[4:5], off, s32 offset:192 th:TH_LOAD_LU ; 8-byte Folded Reload
	s_wait_loadcnt 0x0
	v_dual_lshrrev_b32 v0, 3, v2 :: v_dual_bitop2_b32 v4, 7, v1 bitop3:0x40
	s_mov_b32 s16, exec_lo
	s_wait_xcnt 0x0
	v_cmpx_gt_u32_e32 8, v2
; %bb.1222:                             ;   in Loop: Header=BB232_10 Depth=1
	s_delay_alu instid0(VALU_DEP_2) | instskip(NEXT) | instid1(VALU_DEP_1)
	v_clz_i32_u32_e32 v0, v4
	v_min_u32_e32 v0, 32, v0
	s_delay_alu instid0(VALU_DEP_1) | instskip(NEXT) | instid1(VALU_DEP_1)
	v_subrev_nc_u32_e32 v2, 28, v0
	v_lshlrev_b64_e32 v[2:3], v2, v[4:5]
	s_delay_alu instid0(VALU_DEP_1)
	v_dual_sub_nc_u32 v0, 29, v0 :: v_dual_bitop2_b32 v4, 7, v2 bitop3:0x40
; %bb.1223:                             ;   in Loop: Header=BB232_10 Depth=1
	s_or_b32 exec_lo, exec_lo, s16
	s_delay_alu instid0(VALU_DEP_1) | instskip(NEXT) | instid1(VALU_DEP_2)
	v_dual_lshlrev_b32 v1, 24, v1 :: v_dual_lshlrev_b32 v2, 20, v4
	v_lshl_add_u32 v0, v0, 23, 0x3c000000
	s_delay_alu instid0(VALU_DEP_2) | instskip(NEXT) | instid1(VALU_DEP_1)
	v_and_b32_e32 v1, 0x80000000, v1
	v_or3_b32 v3, v2, v1, v0
	v_dual_mov_b32 v1, v5 :: v_dual_mov_b32 v2, v5
	s_clause 0x1
	scratch_store_b64 off, v[0:1], s32 offset:192
	scratch_store_b64 off, v[2:3], s32 offset:1404
.LBB232_1224:                           ;   in Loop: Header=BB232_10 Depth=1
	s_wait_xcnt 0x0
	s_or_b32 exec_lo, exec_lo, s15
.LBB232_1225:                           ;   in Loop: Header=BB232_10 Depth=1
	s_delay_alu instid0(SALU_CYCLE_1)
	s_or_b32 exec_lo, exec_lo, s11
.LBB232_1226:                           ;   in Loop: Header=BB232_10 Depth=1
	s_delay_alu instid0(SALU_CYCLE_1)
	s_or_b32 exec_lo, exec_lo, s4
	flat_load_b32 v0, v[66:67] offset:4616
	v_mov_b64_e32 v[2:3], 0
	s_mov_b32 s4, exec_lo
	scratch_store_b64 off, v[2:3], s32 offset:1452 ; 8-byte Folded Spill
	s_wait_xcnt 0x0
	v_mov_b64_e32 v[2:3], 0
	scratch_store_b64 off, v[2:3], s32 offset:1428 ; 8-byte Folded Spill
	s_wait_loadcnt_dscnt 0x0
	v_and_b32_e32 v1, 0xff, v0
	s_wait_xcnt 0x0
	s_delay_alu instid0(VALU_DEP_1)
	v_cmpx_ne_u16_e32 0, v1
	s_cbranch_execz .LBB232_1234
; %bb.1227:                             ;   in Loop: Header=BB232_10 Depth=1
	v_mov_b64_e32 v[2:3], 0x80000000
	s_mov_b32 s11, exec_lo
	scratch_store_b64 off, v[2:3], s32 offset:1428 ; 8-byte Folded Spill
	s_wait_xcnt 0x0
	v_cmpx_ne_u16_e32 0x80, v1
	s_cbranch_execz .LBB232_1233
; %bb.1228:                             ;   in Loop: Header=BB232_10 Depth=1
	v_mov_b64_e32 v[4:5], 0x7f800001
	v_and_b32_e32 v2, 0x7f, v0
	s_mov_b32 s15, exec_lo
	scratch_store_b64 off, v[4:5], s32 offset:1428 ; 8-byte Folded Spill
	s_wait_xcnt 0x0
	v_cmpx_ne_u32_e32 0x7f, v2
	s_cbranch_execz .LBB232_1232
; %bb.1229:                             ;   in Loop: Header=BB232_10 Depth=1
	scratch_load_b64 v[4:5], off, s32 offset:192 th:TH_LOAD_LU ; 8-byte Folded Reload
	s_wait_loadcnt 0x0
	v_dual_lshrrev_b32 v1, 3, v2 :: v_dual_bitop2_b32 v4, 7, v0 bitop3:0x40
	s_mov_b32 s16, exec_lo
	s_wait_xcnt 0x0
	v_cmpx_gt_u32_e32 8, v2
; %bb.1230:                             ;   in Loop: Header=BB232_10 Depth=1
	s_delay_alu instid0(VALU_DEP_2) | instskip(NEXT) | instid1(VALU_DEP_1)
	v_clz_i32_u32_e32 v1, v4
	v_min_u32_e32 v1, 32, v1
	s_delay_alu instid0(VALU_DEP_1) | instskip(NEXT) | instid1(VALU_DEP_1)
	v_subrev_nc_u32_e32 v2, 28, v1
	v_lshlrev_b64_e32 v[2:3], v2, v[4:5]
	s_delay_alu instid0(VALU_DEP_1)
	v_dual_sub_nc_u32 v1, 29, v1 :: v_dual_bitop2_b32 v4, 7, v2 bitop3:0x40
; %bb.1231:                             ;   in Loop: Header=BB232_10 Depth=1
	s_or_b32 exec_lo, exec_lo, s16
	v_lshlrev_b32_e32 v2, 24, v0
	s_delay_alu instid0(VALU_DEP_2) | instskip(NEXT) | instid1(VALU_DEP_3)
	v_lshlrev_b32_e32 v3, 20, v4
	v_lshl_add_u32 v1, v1, 23, 0x3c000000
	s_delay_alu instid0(VALU_DEP_3) | instskip(NEXT) | instid1(VALU_DEP_1)
	v_and_b32_e32 v2, 0x80000000, v2
	v_or3_b32 v4, v3, v2, v1
	v_mov_b32_e32 v1, v5
	s_clause 0x1
	scratch_store_b64 off, v[0:1], s32 offset:192
	scratch_store_b64 off, v[4:5], s32 offset:1428
.LBB232_1232:                           ;   in Loop: Header=BB232_10 Depth=1
	s_wait_xcnt 0x0
	s_or_b32 exec_lo, exec_lo, s15
.LBB232_1233:                           ;   in Loop: Header=BB232_10 Depth=1
	s_delay_alu instid0(SALU_CYCLE_1)
	s_or_b32 exec_lo, exec_lo, s11
.LBB232_1234:                           ;   in Loop: Header=BB232_10 Depth=1
	s_delay_alu instid0(SALU_CYCLE_1) | instskip(SKIP_2) | instid1(VALU_DEP_1)
	s_or_b32 exec_lo, exec_lo, s4
	v_lshrrev_b16 v1, 8, v0
	s_mov_b32 s4, exec_lo
	v_cmpx_ne_u16_e32 0, v1
	s_cbranch_execz .LBB232_1242
; %bb.1235:                             ;   in Loop: Header=BB232_10 Depth=1
	v_mov_b64_e32 v[2:3], 0x8000000000000000
	s_mov_b32 s11, exec_lo
	scratch_store_b64 off, v[2:3], s32 offset:1452 ; 8-byte Folded Spill
	s_wait_xcnt 0x0
	v_cmpx_ne_u16_e32 0x80, v1
	s_cbranch_execz .LBB232_1241
; %bb.1236:                             ;   in Loop: Header=BB232_10 Depth=1
	v_and_b32_e32 v1, 0xffff, v1
	v_mov_b64_e32 v[4:5], 0x7f80000100000000
	s_mov_b32 s15, exec_lo
	s_delay_alu instid0(VALU_DEP_2)
	v_and_b32_e32 v2, 0x7f, v1
	scratch_store_b64 off, v[4:5], s32 offset:1452 ; 8-byte Folded Spill
	s_wait_xcnt 0x0
	v_cmpx_ne_u32_e32 0x7f, v2
	s_cbranch_execz .LBB232_1240
; %bb.1237:                             ;   in Loop: Header=BB232_10 Depth=1
	scratch_load_b64 v[4:5], off, s32 offset:192 th:TH_LOAD_LU ; 8-byte Folded Reload
	s_wait_loadcnt 0x0
	v_dual_lshrrev_b32 v1, 3, v2 :: v_dual_bitop2_b32 v4, 7, v1 bitop3:0x40
	s_mov_b32 s16, exec_lo
	s_wait_xcnt 0x0
	v_cmpx_gt_u32_e32 8, v2
; %bb.1238:                             ;   in Loop: Header=BB232_10 Depth=1
	s_delay_alu instid0(VALU_DEP_2) | instskip(NEXT) | instid1(VALU_DEP_1)
	v_clz_i32_u32_e32 v1, v4
	v_min_u32_e32 v1, 32, v1
	s_delay_alu instid0(VALU_DEP_1) | instskip(NEXT) | instid1(VALU_DEP_1)
	v_subrev_nc_u32_e32 v2, 28, v1
	v_lshlrev_b64_e32 v[2:3], v2, v[4:5]
	s_delay_alu instid0(VALU_DEP_1)
	v_dual_sub_nc_u32 v1, 29, v1 :: v_dual_bitop2_b32 v4, 7, v2 bitop3:0x40
; %bb.1239:                             ;   in Loop: Header=BB232_10 Depth=1
	s_or_b32 exec_lo, exec_lo, s16
	v_lshlrev_b32_e32 v2, 16, v0
	s_delay_alu instid0(VALU_DEP_2) | instskip(NEXT) | instid1(VALU_DEP_3)
	v_lshlrev_b32_e32 v3, 20, v4
	v_lshl_add_u32 v1, v1, 23, 0x3c000000
	s_delay_alu instid0(VALU_DEP_3) | instskip(NEXT) | instid1(VALU_DEP_1)
	v_and_b32_e32 v2, 0x80000000, v2
	v_or3_b32 v3, v3, v2, v1
	v_dual_mov_b32 v1, v5 :: v_dual_mov_b32 v2, v5
	s_clause 0x1
	scratch_store_b64 off, v[0:1], s32 offset:192
	scratch_store_b64 off, v[2:3], s32 offset:1452
.LBB232_1240:                           ;   in Loop: Header=BB232_10 Depth=1
	s_wait_xcnt 0x0
	s_or_b32 exec_lo, exec_lo, s15
.LBB232_1241:                           ;   in Loop: Header=BB232_10 Depth=1
	s_delay_alu instid0(SALU_CYCLE_1)
	s_or_b32 exec_lo, exec_lo, s11
.LBB232_1242:                           ;   in Loop: Header=BB232_10 Depth=1
	s_delay_alu instid0(SALU_CYCLE_1) | instskip(SKIP_3) | instid1(VALU_DEP_1)
	s_or_b32 exec_lo, exec_lo, s4
	v_mov_b64_e32 v[4:5], 0
	v_lshrrev_b32_e32 v1, 16, v0
	s_mov_b32 s4, exec_lo
	v_and_b32_e32 v2, 0xff, v1
	scratch_store_b64 off, v[4:5], s32 offset:1436 ; 8-byte Folded Spill
	s_wait_xcnt 0x0
	v_mov_b64_e32 v[4:5], 0
	scratch_store_b64 off, v[4:5], s32 offset:1444 ; 8-byte Folded Spill
	s_wait_xcnt 0x0
	v_cmpx_ne_u16_e32 0, v2
	s_cbranch_execz .LBB232_1250
; %bb.1243:                             ;   in Loop: Header=BB232_10 Depth=1
	v_cmp_ne_u16_e64 s1, 0x80, v2
	v_mov_b64_e32 v[2:3], 0x80000000
	scratch_store_b64 off, v[2:3], s32 offset:1444 ; 8-byte Folded Spill
	s_wait_xcnt 0x0
	s_and_saveexec_b32 s11, s1
	s_cbranch_execz .LBB232_1249
; %bb.1244:                             ;   in Loop: Header=BB232_10 Depth=1
	v_mov_b64_e32 v[4:5], 0x7f800001
	v_bfe_u32 v3, v0, 16, 7
	s_mov_b32 s15, exec_lo
	scratch_store_b64 off, v[4:5], s32 offset:1444 ; 8-byte Folded Spill
	s_wait_xcnt 0x0
	v_cmpx_ne_u32_e32 0x7f, v3
	s_cbranch_execz .LBB232_1248
; %bb.1245:                             ;   in Loop: Header=BB232_10 Depth=1
	scratch_load_b64 v[6:7], off, s32 offset:192 th:TH_LOAD_LU ; 8-byte Folded Reload
	s_wait_loadcnt 0x0
	v_dual_lshrrev_b32 v2, 3, v3 :: v_dual_bitop2_b32 v6, 7, v1 bitop3:0x40
	s_mov_b32 s16, exec_lo
	s_wait_xcnt 0x0
	v_cmpx_gt_u32_e32 8, v3
; %bb.1246:                             ;   in Loop: Header=BB232_10 Depth=1
	s_delay_alu instid0(VALU_DEP_2) | instskip(NEXT) | instid1(VALU_DEP_1)
	v_clz_i32_u32_e32 v2, v6
	v_min_u32_e32 v2, 32, v2
	s_delay_alu instid0(VALU_DEP_1) | instskip(NEXT) | instid1(VALU_DEP_1)
	v_subrev_nc_u32_e32 v3, 28, v2
	v_lshlrev_b64_e32 v[4:5], v3, v[6:7]
	s_delay_alu instid0(VALU_DEP_1)
	v_dual_sub_nc_u32 v2, 29, v2 :: v_dual_bitop2_b32 v6, 7, v4 bitop3:0x40
; %bb.1247:                             ;   in Loop: Header=BB232_10 Depth=1
	s_or_b32 exec_lo, exec_lo, s16
	s_delay_alu instid0(VALU_DEP_1) | instskip(NEXT) | instid1(VALU_DEP_2)
	v_dual_lshlrev_b32 v1, 24, v1 :: v_dual_lshlrev_b32 v3, 20, v6
	v_lshl_add_u32 v2, v2, 23, 0x3c000000
	s_delay_alu instid0(VALU_DEP_2) | instskip(NEXT) | instid1(VALU_DEP_1)
	v_and_b32_e32 v1, 0x80000000, v1
	v_or3_b32 v6, v3, v1, v2
	v_mov_b32_e32 v1, v7
	s_clause 0x1
	scratch_store_b64 off, v[0:1], s32 offset:192
	scratch_store_b64 off, v[6:7], s32 offset:1444
.LBB232_1248:                           ;   in Loop: Header=BB232_10 Depth=1
	s_wait_xcnt 0x0
	s_or_b32 exec_lo, exec_lo, s15
.LBB232_1249:                           ;   in Loop: Header=BB232_10 Depth=1
	s_delay_alu instid0(SALU_CYCLE_1)
	s_or_b32 exec_lo, exec_lo, s11
.LBB232_1250:                           ;   in Loop: Header=BB232_10 Depth=1
	s_delay_alu instid0(SALU_CYCLE_1) | instskip(NEXT) | instid1(SALU_CYCLE_1)
	s_or_b32 exec_lo, exec_lo, s4
	s_mov_b32 s4, exec_lo
	v_cmpx_lt_u32_e32 0xffffff, v0
	s_cbranch_execz .LBB232_1258
; %bb.1251:                             ;   in Loop: Header=BB232_10 Depth=1
	v_mov_b64_e32 v[2:3], 0x8000000000000000
	v_lshrrev_b32_e32 v1, 24, v0
	s_mov_b32 s11, exec_lo
	scratch_store_b64 off, v[2:3], s32 offset:1436 ; 8-byte Folded Spill
	s_wait_xcnt 0x0
	v_cmpx_ne_u32_e32 0x80, v1
	s_cbranch_execz .LBB232_1257
; %bb.1252:                             ;   in Loop: Header=BB232_10 Depth=1
	v_mov_b64_e32 v[4:5], 0x7f80000100000000
	v_bfe_u32 v2, v0, 24, 7
	s_mov_b32 s15, exec_lo
	scratch_store_b64 off, v[4:5], s32 offset:1436 ; 8-byte Folded Spill
	s_wait_xcnt 0x0
	v_cmpx_ne_u32_e32 0x7f, v2
	s_cbranch_execz .LBB232_1256
; %bb.1253:                             ;   in Loop: Header=BB232_10 Depth=1
	scratch_load_b64 v[4:5], off, s32 offset:192 th:TH_LOAD_LU ; 8-byte Folded Reload
	s_wait_loadcnt 0x0
	v_dual_lshrrev_b32 v0, 3, v2 :: v_dual_bitop2_b32 v4, 7, v1 bitop3:0x40
	s_mov_b32 s16, exec_lo
	s_wait_xcnt 0x0
	v_cmpx_gt_u32_e32 8, v2
; %bb.1254:                             ;   in Loop: Header=BB232_10 Depth=1
	s_delay_alu instid0(VALU_DEP_2) | instskip(NEXT) | instid1(VALU_DEP_1)
	v_clz_i32_u32_e32 v0, v4
	v_min_u32_e32 v0, 32, v0
	s_delay_alu instid0(VALU_DEP_1) | instskip(NEXT) | instid1(VALU_DEP_1)
	v_subrev_nc_u32_e32 v2, 28, v0
	v_lshlrev_b64_e32 v[2:3], v2, v[4:5]
	s_delay_alu instid0(VALU_DEP_1)
	v_dual_sub_nc_u32 v0, 29, v0 :: v_dual_bitop2_b32 v4, 7, v2 bitop3:0x40
; %bb.1255:                             ;   in Loop: Header=BB232_10 Depth=1
	s_or_b32 exec_lo, exec_lo, s16
	s_delay_alu instid0(VALU_DEP_1) | instskip(NEXT) | instid1(VALU_DEP_2)
	v_dual_lshlrev_b32 v1, 24, v1 :: v_dual_lshlrev_b32 v2, 20, v4
	v_lshl_add_u32 v0, v0, 23, 0x3c000000
	s_delay_alu instid0(VALU_DEP_2) | instskip(NEXT) | instid1(VALU_DEP_1)
	v_and_b32_e32 v1, 0x80000000, v1
	v_or3_b32 v3, v2, v1, v0
	v_dual_mov_b32 v1, v5 :: v_dual_mov_b32 v2, v5
	s_clause 0x1
	scratch_store_b64 off, v[0:1], s32 offset:192
	scratch_store_b64 off, v[2:3], s32 offset:1436
.LBB232_1256:                           ;   in Loop: Header=BB232_10 Depth=1
	s_wait_xcnt 0x0
	s_or_b32 exec_lo, exec_lo, s15
.LBB232_1257:                           ;   in Loop: Header=BB232_10 Depth=1
	s_delay_alu instid0(SALU_CYCLE_1)
	s_or_b32 exec_lo, exec_lo, s11
.LBB232_1258:                           ;   in Loop: Header=BB232_10 Depth=1
	s_delay_alu instid0(SALU_CYCLE_1)
	s_or_b32 exec_lo, exec_lo, s4
	flat_load_b32 v0, v[66:67] offset:4620
	v_mov_b64_e32 v[2:3], 0
	s_mov_b32 s4, exec_lo
	scratch_store_b64 off, v[2:3], s32 offset:1484 ; 8-byte Folded Spill
	s_wait_xcnt 0x0
	v_mov_b64_e32 v[2:3], 0
	scratch_store_b64 off, v[2:3], s32 offset:1460 ; 8-byte Folded Spill
	s_wait_loadcnt_dscnt 0x0
	v_and_b32_e32 v1, 0xff, v0
	s_wait_xcnt 0x0
	s_delay_alu instid0(VALU_DEP_1)
	v_cmpx_ne_u16_e32 0, v1
	s_cbranch_execz .LBB232_1266
; %bb.1259:                             ;   in Loop: Header=BB232_10 Depth=1
	v_mov_b64_e32 v[2:3], 0x80000000
	s_mov_b32 s11, exec_lo
	scratch_store_b64 off, v[2:3], s32 offset:1460 ; 8-byte Folded Spill
	s_wait_xcnt 0x0
	v_cmpx_ne_u16_e32 0x80, v1
	s_cbranch_execz .LBB232_1265
; %bb.1260:                             ;   in Loop: Header=BB232_10 Depth=1
	v_mov_b64_e32 v[4:5], 0x7f800001
	v_and_b32_e32 v2, 0x7f, v0
	s_mov_b32 s15, exec_lo
	scratch_store_b64 off, v[4:5], s32 offset:1460 ; 8-byte Folded Spill
	s_wait_xcnt 0x0
	v_cmpx_ne_u32_e32 0x7f, v2
	s_cbranch_execz .LBB232_1264
; %bb.1261:                             ;   in Loop: Header=BB232_10 Depth=1
	scratch_load_b64 v[4:5], off, s32 offset:192 th:TH_LOAD_LU ; 8-byte Folded Reload
	s_wait_loadcnt 0x0
	v_dual_lshrrev_b32 v1, 3, v2 :: v_dual_bitop2_b32 v4, 7, v0 bitop3:0x40
	s_mov_b32 s16, exec_lo
	s_wait_xcnt 0x0
	v_cmpx_gt_u32_e32 8, v2
; %bb.1262:                             ;   in Loop: Header=BB232_10 Depth=1
	s_delay_alu instid0(VALU_DEP_2) | instskip(NEXT) | instid1(VALU_DEP_1)
	v_clz_i32_u32_e32 v1, v4
	v_min_u32_e32 v1, 32, v1
	s_delay_alu instid0(VALU_DEP_1) | instskip(NEXT) | instid1(VALU_DEP_1)
	v_subrev_nc_u32_e32 v2, 28, v1
	v_lshlrev_b64_e32 v[2:3], v2, v[4:5]
	s_delay_alu instid0(VALU_DEP_1)
	v_dual_sub_nc_u32 v1, 29, v1 :: v_dual_bitop2_b32 v4, 7, v2 bitop3:0x40
; %bb.1263:                             ;   in Loop: Header=BB232_10 Depth=1
	s_or_b32 exec_lo, exec_lo, s16
	v_lshlrev_b32_e32 v2, 24, v0
	s_delay_alu instid0(VALU_DEP_2) | instskip(NEXT) | instid1(VALU_DEP_3)
	v_lshlrev_b32_e32 v3, 20, v4
	v_lshl_add_u32 v1, v1, 23, 0x3c000000
	s_delay_alu instid0(VALU_DEP_3) | instskip(NEXT) | instid1(VALU_DEP_1)
	v_and_b32_e32 v2, 0x80000000, v2
	v_or3_b32 v4, v3, v2, v1
	v_mov_b32_e32 v1, v5
	s_clause 0x1
	scratch_store_b64 off, v[0:1], s32 offset:192
	scratch_store_b64 off, v[4:5], s32 offset:1460
.LBB232_1264:                           ;   in Loop: Header=BB232_10 Depth=1
	s_wait_xcnt 0x0
	s_or_b32 exec_lo, exec_lo, s15
.LBB232_1265:                           ;   in Loop: Header=BB232_10 Depth=1
	s_delay_alu instid0(SALU_CYCLE_1)
	s_or_b32 exec_lo, exec_lo, s11
.LBB232_1266:                           ;   in Loop: Header=BB232_10 Depth=1
	s_delay_alu instid0(SALU_CYCLE_1) | instskip(SKIP_2) | instid1(VALU_DEP_1)
	s_or_b32 exec_lo, exec_lo, s4
	v_lshrrev_b16 v1, 8, v0
	s_mov_b32 s4, exec_lo
	v_cmpx_ne_u16_e32 0, v1
	s_cbranch_execz .LBB232_1274
; %bb.1267:                             ;   in Loop: Header=BB232_10 Depth=1
	v_mov_b64_e32 v[2:3], 0x8000000000000000
	s_mov_b32 s11, exec_lo
	scratch_store_b64 off, v[2:3], s32 offset:1484 ; 8-byte Folded Spill
	s_wait_xcnt 0x0
	v_cmpx_ne_u16_e32 0x80, v1
	s_cbranch_execz .LBB232_1273
; %bb.1268:                             ;   in Loop: Header=BB232_10 Depth=1
	v_and_b32_e32 v1, 0xffff, v1
	v_mov_b64_e32 v[4:5], 0x7f80000100000000
	s_mov_b32 s15, exec_lo
	s_delay_alu instid0(VALU_DEP_2)
	v_and_b32_e32 v2, 0x7f, v1
	scratch_store_b64 off, v[4:5], s32 offset:1484 ; 8-byte Folded Spill
	s_wait_xcnt 0x0
	v_cmpx_ne_u32_e32 0x7f, v2
	s_cbranch_execz .LBB232_1272
; %bb.1269:                             ;   in Loop: Header=BB232_10 Depth=1
	scratch_load_b64 v[4:5], off, s32 offset:192 th:TH_LOAD_LU ; 8-byte Folded Reload
	s_wait_loadcnt 0x0
	v_dual_lshrrev_b32 v1, 3, v2 :: v_dual_bitop2_b32 v4, 7, v1 bitop3:0x40
	s_mov_b32 s16, exec_lo
	s_wait_xcnt 0x0
	v_cmpx_gt_u32_e32 8, v2
; %bb.1270:                             ;   in Loop: Header=BB232_10 Depth=1
	s_delay_alu instid0(VALU_DEP_2) | instskip(NEXT) | instid1(VALU_DEP_1)
	v_clz_i32_u32_e32 v1, v4
	v_min_u32_e32 v1, 32, v1
	s_delay_alu instid0(VALU_DEP_1) | instskip(NEXT) | instid1(VALU_DEP_1)
	v_subrev_nc_u32_e32 v2, 28, v1
	v_lshlrev_b64_e32 v[2:3], v2, v[4:5]
	s_delay_alu instid0(VALU_DEP_1)
	v_dual_sub_nc_u32 v1, 29, v1 :: v_dual_bitop2_b32 v4, 7, v2 bitop3:0x40
; %bb.1271:                             ;   in Loop: Header=BB232_10 Depth=1
	s_or_b32 exec_lo, exec_lo, s16
	v_lshlrev_b32_e32 v2, 16, v0
	s_delay_alu instid0(VALU_DEP_2) | instskip(NEXT) | instid1(VALU_DEP_3)
	v_lshlrev_b32_e32 v3, 20, v4
	v_lshl_add_u32 v1, v1, 23, 0x3c000000
	s_delay_alu instid0(VALU_DEP_3) | instskip(NEXT) | instid1(VALU_DEP_1)
	v_and_b32_e32 v2, 0x80000000, v2
	v_or3_b32 v3, v3, v2, v1
	v_dual_mov_b32 v1, v5 :: v_dual_mov_b32 v2, v5
	s_clause 0x1
	scratch_store_b64 off, v[0:1], s32 offset:192
	scratch_store_b64 off, v[2:3], s32 offset:1484
.LBB232_1272:                           ;   in Loop: Header=BB232_10 Depth=1
	s_wait_xcnt 0x0
	s_or_b32 exec_lo, exec_lo, s15
.LBB232_1273:                           ;   in Loop: Header=BB232_10 Depth=1
	s_delay_alu instid0(SALU_CYCLE_1)
	s_or_b32 exec_lo, exec_lo, s11
.LBB232_1274:                           ;   in Loop: Header=BB232_10 Depth=1
	s_delay_alu instid0(SALU_CYCLE_1) | instskip(SKIP_3) | instid1(VALU_DEP_1)
	s_or_b32 exec_lo, exec_lo, s4
	v_mov_b64_e32 v[4:5], 0
	v_lshrrev_b32_e32 v1, 16, v0
	s_mov_b32 s4, exec_lo
	v_and_b32_e32 v2, 0xff, v1
	scratch_store_b64 off, v[4:5], s32 offset:1468 ; 8-byte Folded Spill
	s_wait_xcnt 0x0
	v_mov_b64_e32 v[4:5], 0
	scratch_store_b64 off, v[4:5], s32 offset:1476 ; 8-byte Folded Spill
	s_wait_xcnt 0x0
	v_cmpx_ne_u16_e32 0, v2
	s_cbranch_execz .LBB232_1282
; %bb.1275:                             ;   in Loop: Header=BB232_10 Depth=1
	v_cmp_ne_u16_e64 s1, 0x80, v2
	v_mov_b64_e32 v[2:3], 0x80000000
	scratch_store_b64 off, v[2:3], s32 offset:1476 ; 8-byte Folded Spill
	s_wait_xcnt 0x0
	s_and_saveexec_b32 s11, s1
	s_cbranch_execz .LBB232_1281
; %bb.1276:                             ;   in Loop: Header=BB232_10 Depth=1
	v_mov_b64_e32 v[4:5], 0x7f800001
	v_bfe_u32 v3, v0, 16, 7
	s_mov_b32 s15, exec_lo
	scratch_store_b64 off, v[4:5], s32 offset:1476 ; 8-byte Folded Spill
	s_wait_xcnt 0x0
	v_cmpx_ne_u32_e32 0x7f, v3
	s_cbranch_execz .LBB232_1280
; %bb.1277:                             ;   in Loop: Header=BB232_10 Depth=1
	scratch_load_b64 v[6:7], off, s32 offset:192 th:TH_LOAD_LU ; 8-byte Folded Reload
	s_wait_loadcnt 0x0
	v_dual_lshrrev_b32 v2, 3, v3 :: v_dual_bitop2_b32 v6, 7, v1 bitop3:0x40
	s_mov_b32 s16, exec_lo
	s_wait_xcnt 0x0
	v_cmpx_gt_u32_e32 8, v3
; %bb.1278:                             ;   in Loop: Header=BB232_10 Depth=1
	s_delay_alu instid0(VALU_DEP_2) | instskip(NEXT) | instid1(VALU_DEP_1)
	v_clz_i32_u32_e32 v2, v6
	v_min_u32_e32 v2, 32, v2
	s_delay_alu instid0(VALU_DEP_1) | instskip(NEXT) | instid1(VALU_DEP_1)
	v_subrev_nc_u32_e32 v3, 28, v2
	v_lshlrev_b64_e32 v[4:5], v3, v[6:7]
	s_delay_alu instid0(VALU_DEP_1)
	v_dual_sub_nc_u32 v2, 29, v2 :: v_dual_bitop2_b32 v6, 7, v4 bitop3:0x40
; %bb.1279:                             ;   in Loop: Header=BB232_10 Depth=1
	s_or_b32 exec_lo, exec_lo, s16
	s_delay_alu instid0(VALU_DEP_1) | instskip(NEXT) | instid1(VALU_DEP_2)
	v_dual_lshlrev_b32 v1, 24, v1 :: v_dual_lshlrev_b32 v3, 20, v6
	v_lshl_add_u32 v2, v2, 23, 0x3c000000
	s_delay_alu instid0(VALU_DEP_2) | instskip(NEXT) | instid1(VALU_DEP_1)
	v_and_b32_e32 v1, 0x80000000, v1
	v_or3_b32 v6, v3, v1, v2
	v_mov_b32_e32 v1, v7
	s_clause 0x1
	scratch_store_b64 off, v[0:1], s32 offset:192
	scratch_store_b64 off, v[6:7], s32 offset:1476
.LBB232_1280:                           ;   in Loop: Header=BB232_10 Depth=1
	s_wait_xcnt 0x0
	s_or_b32 exec_lo, exec_lo, s15
.LBB232_1281:                           ;   in Loop: Header=BB232_10 Depth=1
	s_delay_alu instid0(SALU_CYCLE_1)
	s_or_b32 exec_lo, exec_lo, s11
.LBB232_1282:                           ;   in Loop: Header=BB232_10 Depth=1
	s_delay_alu instid0(SALU_CYCLE_1) | instskip(NEXT) | instid1(SALU_CYCLE_1)
	s_or_b32 exec_lo, exec_lo, s4
	s_mov_b32 s4, exec_lo
	v_cmpx_lt_u32_e32 0xffffff, v0
	s_cbranch_execz .LBB232_1290
; %bb.1283:                             ;   in Loop: Header=BB232_10 Depth=1
	v_mov_b64_e32 v[2:3], 0x8000000000000000
	v_lshrrev_b32_e32 v1, 24, v0
	s_mov_b32 s11, exec_lo
	scratch_store_b64 off, v[2:3], s32 offset:1468 ; 8-byte Folded Spill
	s_wait_xcnt 0x0
	v_cmpx_ne_u32_e32 0x80, v1
	s_cbranch_execz .LBB232_1289
; %bb.1284:                             ;   in Loop: Header=BB232_10 Depth=1
	v_mov_b64_e32 v[4:5], 0x7f80000100000000
	v_bfe_u32 v2, v0, 24, 7
	s_mov_b32 s15, exec_lo
	scratch_store_b64 off, v[4:5], s32 offset:1468 ; 8-byte Folded Spill
	s_wait_xcnt 0x0
	v_cmpx_ne_u32_e32 0x7f, v2
	s_cbranch_execz .LBB232_1288
; %bb.1285:                             ;   in Loop: Header=BB232_10 Depth=1
	scratch_load_b64 v[4:5], off, s32 offset:192 th:TH_LOAD_LU ; 8-byte Folded Reload
	s_wait_loadcnt 0x0
	v_dual_lshrrev_b32 v0, 3, v2 :: v_dual_bitop2_b32 v4, 7, v1 bitop3:0x40
	s_mov_b32 s16, exec_lo
	s_wait_xcnt 0x0
	v_cmpx_gt_u32_e32 8, v2
; %bb.1286:                             ;   in Loop: Header=BB232_10 Depth=1
	s_delay_alu instid0(VALU_DEP_2) | instskip(NEXT) | instid1(VALU_DEP_1)
	v_clz_i32_u32_e32 v0, v4
	v_min_u32_e32 v0, 32, v0
	s_delay_alu instid0(VALU_DEP_1) | instskip(NEXT) | instid1(VALU_DEP_1)
	v_subrev_nc_u32_e32 v2, 28, v0
	v_lshlrev_b64_e32 v[2:3], v2, v[4:5]
	s_delay_alu instid0(VALU_DEP_1)
	v_dual_sub_nc_u32 v0, 29, v0 :: v_dual_bitop2_b32 v4, 7, v2 bitop3:0x40
; %bb.1287:                             ;   in Loop: Header=BB232_10 Depth=1
	s_or_b32 exec_lo, exec_lo, s16
	s_delay_alu instid0(VALU_DEP_1) | instskip(NEXT) | instid1(VALU_DEP_2)
	v_dual_lshlrev_b32 v1, 24, v1 :: v_dual_lshlrev_b32 v2, 20, v4
	v_lshl_add_u32 v0, v0, 23, 0x3c000000
	s_delay_alu instid0(VALU_DEP_2) | instskip(NEXT) | instid1(VALU_DEP_1)
	v_and_b32_e32 v1, 0x80000000, v1
	v_or3_b32 v3, v2, v1, v0
	v_dual_mov_b32 v1, v5 :: v_dual_mov_b32 v2, v5
	s_clause 0x1
	scratch_store_b64 off, v[0:1], s32 offset:192
	scratch_store_b64 off, v[2:3], s32 offset:1468
.LBB232_1288:                           ;   in Loop: Header=BB232_10 Depth=1
	s_wait_xcnt 0x0
	s_or_b32 exec_lo, exec_lo, s15
.LBB232_1289:                           ;   in Loop: Header=BB232_10 Depth=1
	s_delay_alu instid0(SALU_CYCLE_1)
	s_or_b32 exec_lo, exec_lo, s11
.LBB232_1290:                           ;   in Loop: Header=BB232_10 Depth=1
	s_delay_alu instid0(SALU_CYCLE_1)
	s_or_b32 exec_lo, exec_lo, s4
	flat_load_b32 v0, v[66:67] offset:5120
	v_mov_b64_e32 v[2:3], 0
	s_mov_b32 s4, exec_lo
	scratch_store_b64 off, v[2:3], s32 offset:1516 ; 8-byte Folded Spill
	s_wait_xcnt 0x0
	v_mov_b64_e32 v[2:3], 0
	scratch_store_b64 off, v[2:3], s32 offset:1492 ; 8-byte Folded Spill
	s_wait_loadcnt_dscnt 0x0
	v_and_b32_e32 v1, 0xff, v0
	s_wait_xcnt 0x0
	s_delay_alu instid0(VALU_DEP_1)
	v_cmpx_ne_u16_e32 0, v1
	s_cbranch_execz .LBB232_1298
; %bb.1291:                             ;   in Loop: Header=BB232_10 Depth=1
	v_mov_b64_e32 v[2:3], 0x80000000
	s_mov_b32 s11, exec_lo
	scratch_store_b64 off, v[2:3], s32 offset:1492 ; 8-byte Folded Spill
	s_wait_xcnt 0x0
	v_cmpx_ne_u16_e32 0x80, v1
	s_cbranch_execz .LBB232_1297
; %bb.1292:                             ;   in Loop: Header=BB232_10 Depth=1
	v_mov_b64_e32 v[4:5], 0x7f800001
	v_and_b32_e32 v2, 0x7f, v0
	s_mov_b32 s15, exec_lo
	scratch_store_b64 off, v[4:5], s32 offset:1492 ; 8-byte Folded Spill
	s_wait_xcnt 0x0
	v_cmpx_ne_u32_e32 0x7f, v2
	s_cbranch_execz .LBB232_1296
; %bb.1293:                             ;   in Loop: Header=BB232_10 Depth=1
	scratch_load_b64 v[4:5], off, s32 offset:192 th:TH_LOAD_LU ; 8-byte Folded Reload
	s_wait_loadcnt 0x0
	v_dual_lshrrev_b32 v1, 3, v2 :: v_dual_bitop2_b32 v4, 7, v0 bitop3:0x40
	s_mov_b32 s16, exec_lo
	s_wait_xcnt 0x0
	v_cmpx_gt_u32_e32 8, v2
; %bb.1294:                             ;   in Loop: Header=BB232_10 Depth=1
	s_delay_alu instid0(VALU_DEP_2) | instskip(NEXT) | instid1(VALU_DEP_1)
	v_clz_i32_u32_e32 v1, v4
	v_min_u32_e32 v1, 32, v1
	s_delay_alu instid0(VALU_DEP_1) | instskip(NEXT) | instid1(VALU_DEP_1)
	v_subrev_nc_u32_e32 v2, 28, v1
	v_lshlrev_b64_e32 v[2:3], v2, v[4:5]
	s_delay_alu instid0(VALU_DEP_1)
	v_dual_sub_nc_u32 v1, 29, v1 :: v_dual_bitop2_b32 v4, 7, v2 bitop3:0x40
; %bb.1295:                             ;   in Loop: Header=BB232_10 Depth=1
	s_or_b32 exec_lo, exec_lo, s16
	v_lshlrev_b32_e32 v2, 24, v0
	s_delay_alu instid0(VALU_DEP_2) | instskip(NEXT) | instid1(VALU_DEP_3)
	v_lshlrev_b32_e32 v3, 20, v4
	v_lshl_add_u32 v1, v1, 23, 0x3c000000
	s_delay_alu instid0(VALU_DEP_3) | instskip(NEXT) | instid1(VALU_DEP_1)
	v_and_b32_e32 v2, 0x80000000, v2
	v_or3_b32 v4, v3, v2, v1
	v_mov_b32_e32 v1, v5
	s_clause 0x1
	scratch_store_b64 off, v[0:1], s32 offset:192
	scratch_store_b64 off, v[4:5], s32 offset:1492
.LBB232_1296:                           ;   in Loop: Header=BB232_10 Depth=1
	s_wait_xcnt 0x0
	s_or_b32 exec_lo, exec_lo, s15
.LBB232_1297:                           ;   in Loop: Header=BB232_10 Depth=1
	s_delay_alu instid0(SALU_CYCLE_1)
	s_or_b32 exec_lo, exec_lo, s11
.LBB232_1298:                           ;   in Loop: Header=BB232_10 Depth=1
	s_delay_alu instid0(SALU_CYCLE_1) | instskip(SKIP_2) | instid1(VALU_DEP_1)
	s_or_b32 exec_lo, exec_lo, s4
	v_lshrrev_b16 v1, 8, v0
	s_mov_b32 s4, exec_lo
	v_cmpx_ne_u16_e32 0, v1
	s_cbranch_execz .LBB232_1306
; %bb.1299:                             ;   in Loop: Header=BB232_10 Depth=1
	v_mov_b64_e32 v[2:3], 0x8000000000000000
	s_mov_b32 s11, exec_lo
	scratch_store_b64 off, v[2:3], s32 offset:1516 ; 8-byte Folded Spill
	s_wait_xcnt 0x0
	v_cmpx_ne_u16_e32 0x80, v1
	s_cbranch_execz .LBB232_1305
; %bb.1300:                             ;   in Loop: Header=BB232_10 Depth=1
	v_and_b32_e32 v1, 0xffff, v1
	v_mov_b64_e32 v[4:5], 0x7f80000100000000
	s_mov_b32 s15, exec_lo
	s_delay_alu instid0(VALU_DEP_2)
	v_and_b32_e32 v2, 0x7f, v1
	scratch_store_b64 off, v[4:5], s32 offset:1516 ; 8-byte Folded Spill
	s_wait_xcnt 0x0
	v_cmpx_ne_u32_e32 0x7f, v2
	s_cbranch_execz .LBB232_1304
; %bb.1301:                             ;   in Loop: Header=BB232_10 Depth=1
	scratch_load_b64 v[4:5], off, s32 offset:192 th:TH_LOAD_LU ; 8-byte Folded Reload
	s_wait_loadcnt 0x0
	v_dual_lshrrev_b32 v1, 3, v2 :: v_dual_bitop2_b32 v4, 7, v1 bitop3:0x40
	s_mov_b32 s16, exec_lo
	s_wait_xcnt 0x0
	v_cmpx_gt_u32_e32 8, v2
; %bb.1302:                             ;   in Loop: Header=BB232_10 Depth=1
	s_delay_alu instid0(VALU_DEP_2) | instskip(NEXT) | instid1(VALU_DEP_1)
	v_clz_i32_u32_e32 v1, v4
	v_min_u32_e32 v1, 32, v1
	s_delay_alu instid0(VALU_DEP_1) | instskip(NEXT) | instid1(VALU_DEP_1)
	v_subrev_nc_u32_e32 v2, 28, v1
	v_lshlrev_b64_e32 v[2:3], v2, v[4:5]
	s_delay_alu instid0(VALU_DEP_1)
	v_dual_sub_nc_u32 v1, 29, v1 :: v_dual_bitop2_b32 v4, 7, v2 bitop3:0x40
; %bb.1303:                             ;   in Loop: Header=BB232_10 Depth=1
	s_or_b32 exec_lo, exec_lo, s16
	v_lshlrev_b32_e32 v2, 16, v0
	s_delay_alu instid0(VALU_DEP_2) | instskip(NEXT) | instid1(VALU_DEP_3)
	v_lshlrev_b32_e32 v3, 20, v4
	v_lshl_add_u32 v1, v1, 23, 0x3c000000
	s_delay_alu instid0(VALU_DEP_3) | instskip(NEXT) | instid1(VALU_DEP_1)
	v_and_b32_e32 v2, 0x80000000, v2
	v_or3_b32 v3, v3, v2, v1
	v_dual_mov_b32 v1, v5 :: v_dual_mov_b32 v2, v5
	s_clause 0x1
	scratch_store_b64 off, v[0:1], s32 offset:192
	scratch_store_b64 off, v[2:3], s32 offset:1516
.LBB232_1304:                           ;   in Loop: Header=BB232_10 Depth=1
	s_wait_xcnt 0x0
	s_or_b32 exec_lo, exec_lo, s15
.LBB232_1305:                           ;   in Loop: Header=BB232_10 Depth=1
	s_delay_alu instid0(SALU_CYCLE_1)
	s_or_b32 exec_lo, exec_lo, s11
.LBB232_1306:                           ;   in Loop: Header=BB232_10 Depth=1
	s_delay_alu instid0(SALU_CYCLE_1) | instskip(SKIP_3) | instid1(VALU_DEP_1)
	s_or_b32 exec_lo, exec_lo, s4
	v_mov_b64_e32 v[4:5], 0
	v_lshrrev_b32_e32 v1, 16, v0
	s_mov_b32 s4, exec_lo
	v_and_b32_e32 v2, 0xff, v1
	scratch_store_b64 off, v[4:5], s32 offset:1500 ; 8-byte Folded Spill
	s_wait_xcnt 0x0
	v_mov_b64_e32 v[4:5], 0
	scratch_store_b64 off, v[4:5], s32 offset:1508 ; 8-byte Folded Spill
	s_wait_xcnt 0x0
	v_cmpx_ne_u16_e32 0, v2
	s_cbranch_execz .LBB232_1314
; %bb.1307:                             ;   in Loop: Header=BB232_10 Depth=1
	v_cmp_ne_u16_e64 s1, 0x80, v2
	v_mov_b64_e32 v[2:3], 0x80000000
	scratch_store_b64 off, v[2:3], s32 offset:1508 ; 8-byte Folded Spill
	s_wait_xcnt 0x0
	s_and_saveexec_b32 s11, s1
	s_cbranch_execz .LBB232_1313
; %bb.1308:                             ;   in Loop: Header=BB232_10 Depth=1
	v_mov_b64_e32 v[4:5], 0x7f800001
	v_bfe_u32 v3, v0, 16, 7
	s_mov_b32 s15, exec_lo
	scratch_store_b64 off, v[4:5], s32 offset:1508 ; 8-byte Folded Spill
	s_wait_xcnt 0x0
	v_cmpx_ne_u32_e32 0x7f, v3
	s_cbranch_execz .LBB232_1312
; %bb.1309:                             ;   in Loop: Header=BB232_10 Depth=1
	scratch_load_b64 v[6:7], off, s32 offset:192 th:TH_LOAD_LU ; 8-byte Folded Reload
	s_wait_loadcnt 0x0
	v_dual_lshrrev_b32 v2, 3, v3 :: v_dual_bitop2_b32 v6, 7, v1 bitop3:0x40
	s_mov_b32 s16, exec_lo
	s_wait_xcnt 0x0
	v_cmpx_gt_u32_e32 8, v3
; %bb.1310:                             ;   in Loop: Header=BB232_10 Depth=1
	s_delay_alu instid0(VALU_DEP_2) | instskip(NEXT) | instid1(VALU_DEP_1)
	v_clz_i32_u32_e32 v2, v6
	v_min_u32_e32 v2, 32, v2
	s_delay_alu instid0(VALU_DEP_1) | instskip(NEXT) | instid1(VALU_DEP_1)
	v_subrev_nc_u32_e32 v3, 28, v2
	v_lshlrev_b64_e32 v[4:5], v3, v[6:7]
	s_delay_alu instid0(VALU_DEP_1)
	v_dual_sub_nc_u32 v2, 29, v2 :: v_dual_bitop2_b32 v6, 7, v4 bitop3:0x40
; %bb.1311:                             ;   in Loop: Header=BB232_10 Depth=1
	s_or_b32 exec_lo, exec_lo, s16
	s_delay_alu instid0(VALU_DEP_1) | instskip(NEXT) | instid1(VALU_DEP_2)
	v_dual_lshlrev_b32 v1, 24, v1 :: v_dual_lshlrev_b32 v3, 20, v6
	v_lshl_add_u32 v2, v2, 23, 0x3c000000
	s_delay_alu instid0(VALU_DEP_2) | instskip(NEXT) | instid1(VALU_DEP_1)
	v_and_b32_e32 v1, 0x80000000, v1
	v_or3_b32 v6, v3, v1, v2
	v_mov_b32_e32 v1, v7
	s_clause 0x1
	scratch_store_b64 off, v[0:1], s32 offset:192
	scratch_store_b64 off, v[6:7], s32 offset:1508
.LBB232_1312:                           ;   in Loop: Header=BB232_10 Depth=1
	s_wait_xcnt 0x0
	s_or_b32 exec_lo, exec_lo, s15
.LBB232_1313:                           ;   in Loop: Header=BB232_10 Depth=1
	s_delay_alu instid0(SALU_CYCLE_1)
	s_or_b32 exec_lo, exec_lo, s11
.LBB232_1314:                           ;   in Loop: Header=BB232_10 Depth=1
	s_delay_alu instid0(SALU_CYCLE_1) | instskip(NEXT) | instid1(SALU_CYCLE_1)
	s_or_b32 exec_lo, exec_lo, s4
	s_mov_b32 s4, exec_lo
	v_cmpx_lt_u32_e32 0xffffff, v0
	s_cbranch_execz .LBB232_1322
; %bb.1315:                             ;   in Loop: Header=BB232_10 Depth=1
	v_mov_b64_e32 v[2:3], 0x8000000000000000
	v_lshrrev_b32_e32 v1, 24, v0
	s_mov_b32 s11, exec_lo
	scratch_store_b64 off, v[2:3], s32 offset:1500 ; 8-byte Folded Spill
	s_wait_xcnt 0x0
	v_cmpx_ne_u32_e32 0x80, v1
	s_cbranch_execz .LBB232_1321
; %bb.1316:                             ;   in Loop: Header=BB232_10 Depth=1
	v_mov_b64_e32 v[4:5], 0x7f80000100000000
	v_bfe_u32 v2, v0, 24, 7
	s_mov_b32 s15, exec_lo
	scratch_store_b64 off, v[4:5], s32 offset:1500 ; 8-byte Folded Spill
	s_wait_xcnt 0x0
	v_cmpx_ne_u32_e32 0x7f, v2
	s_cbranch_execz .LBB232_1320
; %bb.1317:                             ;   in Loop: Header=BB232_10 Depth=1
	scratch_load_b64 v[4:5], off, s32 offset:192 th:TH_LOAD_LU ; 8-byte Folded Reload
	s_wait_loadcnt 0x0
	v_dual_lshrrev_b32 v0, 3, v2 :: v_dual_bitop2_b32 v4, 7, v1 bitop3:0x40
	s_mov_b32 s16, exec_lo
	s_wait_xcnt 0x0
	v_cmpx_gt_u32_e32 8, v2
; %bb.1318:                             ;   in Loop: Header=BB232_10 Depth=1
	s_delay_alu instid0(VALU_DEP_2) | instskip(NEXT) | instid1(VALU_DEP_1)
	v_clz_i32_u32_e32 v0, v4
	v_min_u32_e32 v0, 32, v0
	s_delay_alu instid0(VALU_DEP_1) | instskip(NEXT) | instid1(VALU_DEP_1)
	v_subrev_nc_u32_e32 v2, 28, v0
	v_lshlrev_b64_e32 v[2:3], v2, v[4:5]
	s_delay_alu instid0(VALU_DEP_1)
	v_dual_sub_nc_u32 v0, 29, v0 :: v_dual_bitop2_b32 v4, 7, v2 bitop3:0x40
; %bb.1319:                             ;   in Loop: Header=BB232_10 Depth=1
	s_or_b32 exec_lo, exec_lo, s16
	s_delay_alu instid0(VALU_DEP_1) | instskip(NEXT) | instid1(VALU_DEP_2)
	v_dual_lshlrev_b32 v1, 24, v1 :: v_dual_lshlrev_b32 v2, 20, v4
	v_lshl_add_u32 v0, v0, 23, 0x3c000000
	s_delay_alu instid0(VALU_DEP_2) | instskip(NEXT) | instid1(VALU_DEP_1)
	v_and_b32_e32 v1, 0x80000000, v1
	v_or3_b32 v3, v2, v1, v0
	v_dual_mov_b32 v1, v5 :: v_dual_mov_b32 v2, v5
	s_clause 0x1
	scratch_store_b64 off, v[0:1], s32 offset:192
	scratch_store_b64 off, v[2:3], s32 offset:1500
.LBB232_1320:                           ;   in Loop: Header=BB232_10 Depth=1
	s_wait_xcnt 0x0
	s_or_b32 exec_lo, exec_lo, s15
.LBB232_1321:                           ;   in Loop: Header=BB232_10 Depth=1
	s_delay_alu instid0(SALU_CYCLE_1)
	s_or_b32 exec_lo, exec_lo, s11
.LBB232_1322:                           ;   in Loop: Header=BB232_10 Depth=1
	s_delay_alu instid0(SALU_CYCLE_1)
	s_or_b32 exec_lo, exec_lo, s4
	flat_load_b32 v0, v[66:67] offset:5124
	v_mov_b64_e32 v[2:3], 0
	s_mov_b32 s4, exec_lo
	scratch_store_b64 off, v[2:3], s32 offset:1548 ; 8-byte Folded Spill
	s_wait_xcnt 0x0
	v_mov_b64_e32 v[2:3], 0
	scratch_store_b64 off, v[2:3], s32 offset:1524 ; 8-byte Folded Spill
	s_wait_loadcnt_dscnt 0x0
	v_and_b32_e32 v1, 0xff, v0
	s_wait_xcnt 0x0
	s_delay_alu instid0(VALU_DEP_1)
	v_cmpx_ne_u16_e32 0, v1
	s_cbranch_execz .LBB232_1330
; %bb.1323:                             ;   in Loop: Header=BB232_10 Depth=1
	v_mov_b64_e32 v[2:3], 0x80000000
	s_mov_b32 s11, exec_lo
	scratch_store_b64 off, v[2:3], s32 offset:1524 ; 8-byte Folded Spill
	s_wait_xcnt 0x0
	v_cmpx_ne_u16_e32 0x80, v1
	s_cbranch_execz .LBB232_1329
; %bb.1324:                             ;   in Loop: Header=BB232_10 Depth=1
	v_mov_b64_e32 v[4:5], 0x7f800001
	v_and_b32_e32 v2, 0x7f, v0
	s_mov_b32 s15, exec_lo
	scratch_store_b64 off, v[4:5], s32 offset:1524 ; 8-byte Folded Spill
	s_wait_xcnt 0x0
	v_cmpx_ne_u32_e32 0x7f, v2
	s_cbranch_execz .LBB232_1328
; %bb.1325:                             ;   in Loop: Header=BB232_10 Depth=1
	scratch_load_b64 v[4:5], off, s32 offset:192 th:TH_LOAD_LU ; 8-byte Folded Reload
	s_wait_loadcnt 0x0
	v_dual_lshrrev_b32 v1, 3, v2 :: v_dual_bitop2_b32 v4, 7, v0 bitop3:0x40
	s_mov_b32 s16, exec_lo
	s_wait_xcnt 0x0
	v_cmpx_gt_u32_e32 8, v2
; %bb.1326:                             ;   in Loop: Header=BB232_10 Depth=1
	s_delay_alu instid0(VALU_DEP_2) | instskip(NEXT) | instid1(VALU_DEP_1)
	v_clz_i32_u32_e32 v1, v4
	v_min_u32_e32 v1, 32, v1
	s_delay_alu instid0(VALU_DEP_1) | instskip(NEXT) | instid1(VALU_DEP_1)
	v_subrev_nc_u32_e32 v2, 28, v1
	v_lshlrev_b64_e32 v[2:3], v2, v[4:5]
	s_delay_alu instid0(VALU_DEP_1)
	v_dual_sub_nc_u32 v1, 29, v1 :: v_dual_bitop2_b32 v4, 7, v2 bitop3:0x40
; %bb.1327:                             ;   in Loop: Header=BB232_10 Depth=1
	s_or_b32 exec_lo, exec_lo, s16
	v_lshlrev_b32_e32 v2, 24, v0
	s_delay_alu instid0(VALU_DEP_2) | instskip(NEXT) | instid1(VALU_DEP_3)
	v_lshlrev_b32_e32 v3, 20, v4
	v_lshl_add_u32 v1, v1, 23, 0x3c000000
	s_delay_alu instid0(VALU_DEP_3) | instskip(NEXT) | instid1(VALU_DEP_1)
	v_and_b32_e32 v2, 0x80000000, v2
	v_or3_b32 v4, v3, v2, v1
	v_mov_b32_e32 v1, v5
	s_clause 0x1
	scratch_store_b64 off, v[0:1], s32 offset:192
	scratch_store_b64 off, v[4:5], s32 offset:1524
.LBB232_1328:                           ;   in Loop: Header=BB232_10 Depth=1
	s_wait_xcnt 0x0
	s_or_b32 exec_lo, exec_lo, s15
.LBB232_1329:                           ;   in Loop: Header=BB232_10 Depth=1
	s_delay_alu instid0(SALU_CYCLE_1)
	s_or_b32 exec_lo, exec_lo, s11
.LBB232_1330:                           ;   in Loop: Header=BB232_10 Depth=1
	s_delay_alu instid0(SALU_CYCLE_1) | instskip(SKIP_2) | instid1(VALU_DEP_1)
	s_or_b32 exec_lo, exec_lo, s4
	v_lshrrev_b16 v1, 8, v0
	s_mov_b32 s4, exec_lo
	v_cmpx_ne_u16_e32 0, v1
	s_cbranch_execz .LBB232_1338
; %bb.1331:                             ;   in Loop: Header=BB232_10 Depth=1
	v_mov_b64_e32 v[2:3], 0x8000000000000000
	s_mov_b32 s11, exec_lo
	scratch_store_b64 off, v[2:3], s32 offset:1548 ; 8-byte Folded Spill
	s_wait_xcnt 0x0
	v_cmpx_ne_u16_e32 0x80, v1
	s_cbranch_execz .LBB232_1337
; %bb.1332:                             ;   in Loop: Header=BB232_10 Depth=1
	v_and_b32_e32 v1, 0xffff, v1
	v_mov_b64_e32 v[4:5], 0x7f80000100000000
	s_mov_b32 s15, exec_lo
	s_delay_alu instid0(VALU_DEP_2)
	v_and_b32_e32 v2, 0x7f, v1
	scratch_store_b64 off, v[4:5], s32 offset:1548 ; 8-byte Folded Spill
	s_wait_xcnt 0x0
	v_cmpx_ne_u32_e32 0x7f, v2
	s_cbranch_execz .LBB232_1336
; %bb.1333:                             ;   in Loop: Header=BB232_10 Depth=1
	scratch_load_b64 v[4:5], off, s32 offset:192 th:TH_LOAD_LU ; 8-byte Folded Reload
	s_wait_loadcnt 0x0
	v_dual_lshrrev_b32 v1, 3, v2 :: v_dual_bitop2_b32 v4, 7, v1 bitop3:0x40
	s_mov_b32 s16, exec_lo
	s_wait_xcnt 0x0
	v_cmpx_gt_u32_e32 8, v2
; %bb.1334:                             ;   in Loop: Header=BB232_10 Depth=1
	s_delay_alu instid0(VALU_DEP_2) | instskip(NEXT) | instid1(VALU_DEP_1)
	v_clz_i32_u32_e32 v1, v4
	v_min_u32_e32 v1, 32, v1
	s_delay_alu instid0(VALU_DEP_1) | instskip(NEXT) | instid1(VALU_DEP_1)
	v_subrev_nc_u32_e32 v2, 28, v1
	v_lshlrev_b64_e32 v[2:3], v2, v[4:5]
	s_delay_alu instid0(VALU_DEP_1)
	v_dual_sub_nc_u32 v1, 29, v1 :: v_dual_bitop2_b32 v4, 7, v2 bitop3:0x40
; %bb.1335:                             ;   in Loop: Header=BB232_10 Depth=1
	s_or_b32 exec_lo, exec_lo, s16
	v_lshlrev_b32_e32 v2, 16, v0
	s_delay_alu instid0(VALU_DEP_2) | instskip(NEXT) | instid1(VALU_DEP_3)
	v_lshlrev_b32_e32 v3, 20, v4
	v_lshl_add_u32 v1, v1, 23, 0x3c000000
	s_delay_alu instid0(VALU_DEP_3) | instskip(NEXT) | instid1(VALU_DEP_1)
	v_and_b32_e32 v2, 0x80000000, v2
	v_or3_b32 v3, v3, v2, v1
	v_dual_mov_b32 v1, v5 :: v_dual_mov_b32 v2, v5
	s_clause 0x1
	scratch_store_b64 off, v[0:1], s32 offset:192
	scratch_store_b64 off, v[2:3], s32 offset:1548
.LBB232_1336:                           ;   in Loop: Header=BB232_10 Depth=1
	s_wait_xcnt 0x0
	s_or_b32 exec_lo, exec_lo, s15
.LBB232_1337:                           ;   in Loop: Header=BB232_10 Depth=1
	s_delay_alu instid0(SALU_CYCLE_1)
	s_or_b32 exec_lo, exec_lo, s11
.LBB232_1338:                           ;   in Loop: Header=BB232_10 Depth=1
	s_delay_alu instid0(SALU_CYCLE_1) | instskip(SKIP_3) | instid1(VALU_DEP_1)
	s_or_b32 exec_lo, exec_lo, s4
	v_mov_b64_e32 v[4:5], 0
	v_lshrrev_b32_e32 v1, 16, v0
	s_mov_b32 s4, exec_lo
	v_and_b32_e32 v2, 0xff, v1
	scratch_store_b64 off, v[4:5], s32 offset:1532 ; 8-byte Folded Spill
	s_wait_xcnt 0x0
	v_mov_b64_e32 v[4:5], 0
	scratch_store_b64 off, v[4:5], s32 offset:1540 ; 8-byte Folded Spill
	s_wait_xcnt 0x0
	v_cmpx_ne_u16_e32 0, v2
	s_cbranch_execz .LBB232_1346
; %bb.1339:                             ;   in Loop: Header=BB232_10 Depth=1
	v_cmp_ne_u16_e64 s1, 0x80, v2
	v_mov_b64_e32 v[2:3], 0x80000000
	scratch_store_b64 off, v[2:3], s32 offset:1540 ; 8-byte Folded Spill
	s_wait_xcnt 0x0
	s_and_saveexec_b32 s11, s1
	s_cbranch_execz .LBB232_1345
; %bb.1340:                             ;   in Loop: Header=BB232_10 Depth=1
	v_mov_b64_e32 v[4:5], 0x7f800001
	v_bfe_u32 v3, v0, 16, 7
	s_mov_b32 s15, exec_lo
	scratch_store_b64 off, v[4:5], s32 offset:1540 ; 8-byte Folded Spill
	s_wait_xcnt 0x0
	v_cmpx_ne_u32_e32 0x7f, v3
	s_cbranch_execz .LBB232_1344
; %bb.1341:                             ;   in Loop: Header=BB232_10 Depth=1
	scratch_load_b64 v[6:7], off, s32 offset:192 th:TH_LOAD_LU ; 8-byte Folded Reload
	s_wait_loadcnt 0x0
	v_dual_lshrrev_b32 v2, 3, v3 :: v_dual_bitop2_b32 v6, 7, v1 bitop3:0x40
	s_mov_b32 s16, exec_lo
	s_wait_xcnt 0x0
	v_cmpx_gt_u32_e32 8, v3
; %bb.1342:                             ;   in Loop: Header=BB232_10 Depth=1
	s_delay_alu instid0(VALU_DEP_2) | instskip(NEXT) | instid1(VALU_DEP_1)
	v_clz_i32_u32_e32 v2, v6
	v_min_u32_e32 v2, 32, v2
	s_delay_alu instid0(VALU_DEP_1) | instskip(NEXT) | instid1(VALU_DEP_1)
	v_subrev_nc_u32_e32 v3, 28, v2
	v_lshlrev_b64_e32 v[4:5], v3, v[6:7]
	s_delay_alu instid0(VALU_DEP_1)
	v_dual_sub_nc_u32 v2, 29, v2 :: v_dual_bitop2_b32 v6, 7, v4 bitop3:0x40
; %bb.1343:                             ;   in Loop: Header=BB232_10 Depth=1
	s_or_b32 exec_lo, exec_lo, s16
	s_delay_alu instid0(VALU_DEP_1) | instskip(NEXT) | instid1(VALU_DEP_2)
	v_dual_lshlrev_b32 v1, 24, v1 :: v_dual_lshlrev_b32 v3, 20, v6
	v_lshl_add_u32 v2, v2, 23, 0x3c000000
	s_delay_alu instid0(VALU_DEP_2) | instskip(NEXT) | instid1(VALU_DEP_1)
	v_and_b32_e32 v1, 0x80000000, v1
	v_or3_b32 v6, v3, v1, v2
	v_mov_b32_e32 v1, v7
	s_clause 0x1
	scratch_store_b64 off, v[0:1], s32 offset:192
	scratch_store_b64 off, v[6:7], s32 offset:1540
.LBB232_1344:                           ;   in Loop: Header=BB232_10 Depth=1
	s_wait_xcnt 0x0
	s_or_b32 exec_lo, exec_lo, s15
.LBB232_1345:                           ;   in Loop: Header=BB232_10 Depth=1
	s_delay_alu instid0(SALU_CYCLE_1)
	s_or_b32 exec_lo, exec_lo, s11
.LBB232_1346:                           ;   in Loop: Header=BB232_10 Depth=1
	s_delay_alu instid0(SALU_CYCLE_1) | instskip(NEXT) | instid1(SALU_CYCLE_1)
	s_or_b32 exec_lo, exec_lo, s4
	s_mov_b32 s4, exec_lo
	v_cmpx_lt_u32_e32 0xffffff, v0
	s_cbranch_execz .LBB232_1354
; %bb.1347:                             ;   in Loop: Header=BB232_10 Depth=1
	v_mov_b64_e32 v[2:3], 0x8000000000000000
	v_lshrrev_b32_e32 v1, 24, v0
	s_mov_b32 s11, exec_lo
	scratch_store_b64 off, v[2:3], s32 offset:1532 ; 8-byte Folded Spill
	s_wait_xcnt 0x0
	v_cmpx_ne_u32_e32 0x80, v1
	s_cbranch_execz .LBB232_1353
; %bb.1348:                             ;   in Loop: Header=BB232_10 Depth=1
	v_mov_b64_e32 v[4:5], 0x7f80000100000000
	v_bfe_u32 v2, v0, 24, 7
	s_mov_b32 s15, exec_lo
	scratch_store_b64 off, v[4:5], s32 offset:1532 ; 8-byte Folded Spill
	s_wait_xcnt 0x0
	v_cmpx_ne_u32_e32 0x7f, v2
	s_cbranch_execz .LBB232_1352
; %bb.1349:                             ;   in Loop: Header=BB232_10 Depth=1
	scratch_load_b64 v[4:5], off, s32 offset:192 th:TH_LOAD_LU ; 8-byte Folded Reload
	s_wait_loadcnt 0x0
	v_dual_lshrrev_b32 v0, 3, v2 :: v_dual_bitop2_b32 v4, 7, v1 bitop3:0x40
	s_mov_b32 s16, exec_lo
	s_wait_xcnt 0x0
	v_cmpx_gt_u32_e32 8, v2
; %bb.1350:                             ;   in Loop: Header=BB232_10 Depth=1
	s_delay_alu instid0(VALU_DEP_2) | instskip(NEXT) | instid1(VALU_DEP_1)
	v_clz_i32_u32_e32 v0, v4
	v_min_u32_e32 v0, 32, v0
	s_delay_alu instid0(VALU_DEP_1) | instskip(NEXT) | instid1(VALU_DEP_1)
	v_subrev_nc_u32_e32 v2, 28, v0
	v_lshlrev_b64_e32 v[2:3], v2, v[4:5]
	s_delay_alu instid0(VALU_DEP_1)
	v_dual_sub_nc_u32 v0, 29, v0 :: v_dual_bitop2_b32 v4, 7, v2 bitop3:0x40
; %bb.1351:                             ;   in Loop: Header=BB232_10 Depth=1
	s_or_b32 exec_lo, exec_lo, s16
	s_delay_alu instid0(VALU_DEP_1) | instskip(NEXT) | instid1(VALU_DEP_2)
	v_dual_lshlrev_b32 v1, 24, v1 :: v_dual_lshlrev_b32 v2, 20, v4
	v_lshl_add_u32 v0, v0, 23, 0x3c000000
	s_delay_alu instid0(VALU_DEP_2) | instskip(NEXT) | instid1(VALU_DEP_1)
	v_and_b32_e32 v1, 0x80000000, v1
	v_or3_b32 v3, v2, v1, v0
	v_dual_mov_b32 v1, v5 :: v_dual_mov_b32 v2, v5
	s_clause 0x1
	scratch_store_b64 off, v[0:1], s32 offset:192
	scratch_store_b64 off, v[2:3], s32 offset:1532
.LBB232_1352:                           ;   in Loop: Header=BB232_10 Depth=1
	s_wait_xcnt 0x0
	s_or_b32 exec_lo, exec_lo, s15
.LBB232_1353:                           ;   in Loop: Header=BB232_10 Depth=1
	s_delay_alu instid0(SALU_CYCLE_1)
	s_or_b32 exec_lo, exec_lo, s11
.LBB232_1354:                           ;   in Loop: Header=BB232_10 Depth=1
	s_delay_alu instid0(SALU_CYCLE_1)
	s_or_b32 exec_lo, exec_lo, s4
	flat_load_b32 v0, v[66:67] offset:5128
	v_mov_b64_e32 v[2:3], 0
	s_mov_b32 s4, exec_lo
	scratch_store_b64 off, v[2:3], s32 offset:1580 ; 8-byte Folded Spill
	s_wait_xcnt 0x0
	v_mov_b64_e32 v[2:3], 0
	scratch_store_b64 off, v[2:3], s32 offset:1556 ; 8-byte Folded Spill
	s_wait_loadcnt_dscnt 0x0
	v_and_b32_e32 v1, 0xff, v0
	s_wait_xcnt 0x0
	s_delay_alu instid0(VALU_DEP_1)
	v_cmpx_ne_u16_e32 0, v1
	s_cbranch_execz .LBB232_1362
; %bb.1355:                             ;   in Loop: Header=BB232_10 Depth=1
	v_mov_b64_e32 v[2:3], 0x80000000
	s_mov_b32 s11, exec_lo
	scratch_store_b64 off, v[2:3], s32 offset:1556 ; 8-byte Folded Spill
	s_wait_xcnt 0x0
	v_cmpx_ne_u16_e32 0x80, v1
	s_cbranch_execz .LBB232_1361
; %bb.1356:                             ;   in Loop: Header=BB232_10 Depth=1
	v_mov_b64_e32 v[4:5], 0x7f800001
	v_and_b32_e32 v2, 0x7f, v0
	s_mov_b32 s15, exec_lo
	scratch_store_b64 off, v[4:5], s32 offset:1556 ; 8-byte Folded Spill
	s_wait_xcnt 0x0
	v_cmpx_ne_u32_e32 0x7f, v2
	s_cbranch_execz .LBB232_1360
; %bb.1357:                             ;   in Loop: Header=BB232_10 Depth=1
	scratch_load_b64 v[4:5], off, s32 offset:192 th:TH_LOAD_LU ; 8-byte Folded Reload
	s_wait_loadcnt 0x0
	v_dual_lshrrev_b32 v1, 3, v2 :: v_dual_bitop2_b32 v4, 7, v0 bitop3:0x40
	s_mov_b32 s16, exec_lo
	s_wait_xcnt 0x0
	v_cmpx_gt_u32_e32 8, v2
; %bb.1358:                             ;   in Loop: Header=BB232_10 Depth=1
	s_delay_alu instid0(VALU_DEP_2) | instskip(NEXT) | instid1(VALU_DEP_1)
	v_clz_i32_u32_e32 v1, v4
	v_min_u32_e32 v1, 32, v1
	s_delay_alu instid0(VALU_DEP_1) | instskip(NEXT) | instid1(VALU_DEP_1)
	v_subrev_nc_u32_e32 v2, 28, v1
	v_lshlrev_b64_e32 v[2:3], v2, v[4:5]
	s_delay_alu instid0(VALU_DEP_1)
	v_dual_sub_nc_u32 v1, 29, v1 :: v_dual_bitop2_b32 v4, 7, v2 bitop3:0x40
; %bb.1359:                             ;   in Loop: Header=BB232_10 Depth=1
	s_or_b32 exec_lo, exec_lo, s16
	v_lshlrev_b32_e32 v2, 24, v0
	s_delay_alu instid0(VALU_DEP_2) | instskip(NEXT) | instid1(VALU_DEP_3)
	v_lshlrev_b32_e32 v3, 20, v4
	v_lshl_add_u32 v1, v1, 23, 0x3c000000
	s_delay_alu instid0(VALU_DEP_3) | instskip(NEXT) | instid1(VALU_DEP_1)
	v_and_b32_e32 v2, 0x80000000, v2
	v_or3_b32 v4, v3, v2, v1
	v_mov_b32_e32 v1, v5
	s_clause 0x1
	scratch_store_b64 off, v[0:1], s32 offset:192
	scratch_store_b64 off, v[4:5], s32 offset:1556
.LBB232_1360:                           ;   in Loop: Header=BB232_10 Depth=1
	s_wait_xcnt 0x0
	s_or_b32 exec_lo, exec_lo, s15
.LBB232_1361:                           ;   in Loop: Header=BB232_10 Depth=1
	s_delay_alu instid0(SALU_CYCLE_1)
	s_or_b32 exec_lo, exec_lo, s11
.LBB232_1362:                           ;   in Loop: Header=BB232_10 Depth=1
	s_delay_alu instid0(SALU_CYCLE_1) | instskip(SKIP_2) | instid1(VALU_DEP_1)
	s_or_b32 exec_lo, exec_lo, s4
	v_lshrrev_b16 v1, 8, v0
	s_mov_b32 s4, exec_lo
	v_cmpx_ne_u16_e32 0, v1
	s_cbranch_execz .LBB232_1370
; %bb.1363:                             ;   in Loop: Header=BB232_10 Depth=1
	v_mov_b64_e32 v[2:3], 0x8000000000000000
	s_mov_b32 s11, exec_lo
	scratch_store_b64 off, v[2:3], s32 offset:1580 ; 8-byte Folded Spill
	s_wait_xcnt 0x0
	v_cmpx_ne_u16_e32 0x80, v1
	s_cbranch_execz .LBB232_1369
; %bb.1364:                             ;   in Loop: Header=BB232_10 Depth=1
	v_and_b32_e32 v1, 0xffff, v1
	v_mov_b64_e32 v[4:5], 0x7f80000100000000
	s_mov_b32 s15, exec_lo
	s_delay_alu instid0(VALU_DEP_2)
	v_and_b32_e32 v2, 0x7f, v1
	scratch_store_b64 off, v[4:5], s32 offset:1580 ; 8-byte Folded Spill
	s_wait_xcnt 0x0
	v_cmpx_ne_u32_e32 0x7f, v2
	s_cbranch_execz .LBB232_1368
; %bb.1365:                             ;   in Loop: Header=BB232_10 Depth=1
	scratch_load_b64 v[4:5], off, s32 offset:192 th:TH_LOAD_LU ; 8-byte Folded Reload
	s_wait_loadcnt 0x0
	v_dual_lshrrev_b32 v1, 3, v2 :: v_dual_bitop2_b32 v4, 7, v1 bitop3:0x40
	s_mov_b32 s16, exec_lo
	s_wait_xcnt 0x0
	v_cmpx_gt_u32_e32 8, v2
; %bb.1366:                             ;   in Loop: Header=BB232_10 Depth=1
	s_delay_alu instid0(VALU_DEP_2) | instskip(NEXT) | instid1(VALU_DEP_1)
	v_clz_i32_u32_e32 v1, v4
	v_min_u32_e32 v1, 32, v1
	s_delay_alu instid0(VALU_DEP_1) | instskip(NEXT) | instid1(VALU_DEP_1)
	v_subrev_nc_u32_e32 v2, 28, v1
	v_lshlrev_b64_e32 v[2:3], v2, v[4:5]
	s_delay_alu instid0(VALU_DEP_1)
	v_dual_sub_nc_u32 v1, 29, v1 :: v_dual_bitop2_b32 v4, 7, v2 bitop3:0x40
; %bb.1367:                             ;   in Loop: Header=BB232_10 Depth=1
	s_or_b32 exec_lo, exec_lo, s16
	v_lshlrev_b32_e32 v2, 16, v0
	s_delay_alu instid0(VALU_DEP_2) | instskip(NEXT) | instid1(VALU_DEP_3)
	v_lshlrev_b32_e32 v3, 20, v4
	v_lshl_add_u32 v1, v1, 23, 0x3c000000
	s_delay_alu instid0(VALU_DEP_3) | instskip(NEXT) | instid1(VALU_DEP_1)
	v_and_b32_e32 v2, 0x80000000, v2
	v_or3_b32 v3, v3, v2, v1
	v_dual_mov_b32 v1, v5 :: v_dual_mov_b32 v2, v5
	s_clause 0x1
	scratch_store_b64 off, v[0:1], s32 offset:192
	scratch_store_b64 off, v[2:3], s32 offset:1580
.LBB232_1368:                           ;   in Loop: Header=BB232_10 Depth=1
	s_wait_xcnt 0x0
	s_or_b32 exec_lo, exec_lo, s15
.LBB232_1369:                           ;   in Loop: Header=BB232_10 Depth=1
	s_delay_alu instid0(SALU_CYCLE_1)
	s_or_b32 exec_lo, exec_lo, s11
.LBB232_1370:                           ;   in Loop: Header=BB232_10 Depth=1
	s_delay_alu instid0(SALU_CYCLE_1) | instskip(SKIP_3) | instid1(VALU_DEP_1)
	s_or_b32 exec_lo, exec_lo, s4
	v_mov_b64_e32 v[4:5], 0
	v_lshrrev_b32_e32 v1, 16, v0
	s_mov_b32 s4, exec_lo
	v_and_b32_e32 v2, 0xff, v1
	scratch_store_b64 off, v[4:5], s32 offset:1564 ; 8-byte Folded Spill
	s_wait_xcnt 0x0
	v_mov_b64_e32 v[4:5], 0
	scratch_store_b64 off, v[4:5], s32 offset:1572 ; 8-byte Folded Spill
	s_wait_xcnt 0x0
	v_cmpx_ne_u16_e32 0, v2
	s_cbranch_execz .LBB232_1378
; %bb.1371:                             ;   in Loop: Header=BB232_10 Depth=1
	v_cmp_ne_u16_e64 s1, 0x80, v2
	v_mov_b64_e32 v[2:3], 0x80000000
	scratch_store_b64 off, v[2:3], s32 offset:1572 ; 8-byte Folded Spill
	s_wait_xcnt 0x0
	s_and_saveexec_b32 s11, s1
	s_cbranch_execz .LBB232_1377
; %bb.1372:                             ;   in Loop: Header=BB232_10 Depth=1
	v_mov_b64_e32 v[4:5], 0x7f800001
	v_bfe_u32 v3, v0, 16, 7
	s_mov_b32 s15, exec_lo
	scratch_store_b64 off, v[4:5], s32 offset:1572 ; 8-byte Folded Spill
	s_wait_xcnt 0x0
	v_cmpx_ne_u32_e32 0x7f, v3
	s_cbranch_execz .LBB232_1376
; %bb.1373:                             ;   in Loop: Header=BB232_10 Depth=1
	scratch_load_b64 v[6:7], off, s32 offset:192 th:TH_LOAD_LU ; 8-byte Folded Reload
	s_wait_loadcnt 0x0
	v_dual_lshrrev_b32 v2, 3, v3 :: v_dual_bitop2_b32 v6, 7, v1 bitop3:0x40
	s_mov_b32 s16, exec_lo
	s_wait_xcnt 0x0
	v_cmpx_gt_u32_e32 8, v3
; %bb.1374:                             ;   in Loop: Header=BB232_10 Depth=1
	s_delay_alu instid0(VALU_DEP_2) | instskip(NEXT) | instid1(VALU_DEP_1)
	v_clz_i32_u32_e32 v2, v6
	v_min_u32_e32 v2, 32, v2
	s_delay_alu instid0(VALU_DEP_1) | instskip(NEXT) | instid1(VALU_DEP_1)
	v_subrev_nc_u32_e32 v3, 28, v2
	v_lshlrev_b64_e32 v[4:5], v3, v[6:7]
	s_delay_alu instid0(VALU_DEP_1)
	v_dual_sub_nc_u32 v2, 29, v2 :: v_dual_bitop2_b32 v6, 7, v4 bitop3:0x40
; %bb.1375:                             ;   in Loop: Header=BB232_10 Depth=1
	s_or_b32 exec_lo, exec_lo, s16
	s_delay_alu instid0(VALU_DEP_1) | instskip(NEXT) | instid1(VALU_DEP_2)
	v_dual_lshlrev_b32 v1, 24, v1 :: v_dual_lshlrev_b32 v3, 20, v6
	v_lshl_add_u32 v2, v2, 23, 0x3c000000
	s_delay_alu instid0(VALU_DEP_2) | instskip(NEXT) | instid1(VALU_DEP_1)
	v_and_b32_e32 v1, 0x80000000, v1
	v_or3_b32 v6, v3, v1, v2
	v_mov_b32_e32 v1, v7
	s_clause 0x1
	scratch_store_b64 off, v[0:1], s32 offset:192
	scratch_store_b64 off, v[6:7], s32 offset:1572
.LBB232_1376:                           ;   in Loop: Header=BB232_10 Depth=1
	s_wait_xcnt 0x0
	s_or_b32 exec_lo, exec_lo, s15
.LBB232_1377:                           ;   in Loop: Header=BB232_10 Depth=1
	s_delay_alu instid0(SALU_CYCLE_1)
	s_or_b32 exec_lo, exec_lo, s11
.LBB232_1378:                           ;   in Loop: Header=BB232_10 Depth=1
	s_delay_alu instid0(SALU_CYCLE_1) | instskip(NEXT) | instid1(SALU_CYCLE_1)
	s_or_b32 exec_lo, exec_lo, s4
	s_mov_b32 s4, exec_lo
	v_cmpx_lt_u32_e32 0xffffff, v0
	s_cbranch_execz .LBB232_1386
; %bb.1379:                             ;   in Loop: Header=BB232_10 Depth=1
	v_mov_b64_e32 v[4:5], 0x8000000000000000
	v_lshrrev_b32_e32 v2, 24, v0
	s_mov_b32 s11, exec_lo
	scratch_store_b64 off, v[4:5], s32 offset:1564 ; 8-byte Folded Spill
	s_wait_xcnt 0x0
	v_cmpx_ne_u32_e32 0x80, v2
	s_cbranch_execz .LBB232_1385
; %bb.1380:                             ;   in Loop: Header=BB232_10 Depth=1
	v_mov_b64_e32 v[4:5], 0x7f80000100000000
	v_bfe_u32 v0, v0, 24, 7
	s_mov_b32 s15, exec_lo
	scratch_store_b64 off, v[4:5], s32 offset:1564 ; 8-byte Folded Spill
	s_wait_xcnt 0x0
	v_cmpx_ne_u32_e32 0x7f, v0
	s_cbranch_execz .LBB232_1384
; %bb.1381:                             ;   in Loop: Header=BB232_10 Depth=1
	scratch_load_b64 v[4:5], off, s32 offset:192 th:TH_LOAD_LU ; 8-byte Folded Reload
	s_wait_loadcnt 0x0
	v_dual_lshrrev_b32 v3, 3, v0 :: v_dual_bitop2_b32 v4, 7, v2 bitop3:0x40
	v_cmp_gt_u32_e64 s1, 8, v0
	s_delay_alu instid0(VALU_DEP_2)
	v_mov_b64_e32 v[0:1], v[4:5]
	s_wait_xcnt 0x0
	s_and_saveexec_b32 s16, s1
; %bb.1382:                             ;   in Loop: Header=BB232_10 Depth=1
	v_clz_i32_u32_e32 v0, v4
	s_delay_alu instid0(VALU_DEP_1) | instskip(NEXT) | instid1(VALU_DEP_1)
	v_min_u32_e32 v3, 32, v0
	v_subrev_nc_u32_e32 v0, 28, v3
	s_delay_alu instid0(VALU_DEP_1) | instskip(NEXT) | instid1(VALU_DEP_1)
	v_lshlrev_b64_e32 v[0:1], v0, v[4:5]
	v_dual_sub_nc_u32 v3, 29, v3 :: v_dual_bitop2_b32 v0, 7, v0 bitop3:0x40
; %bb.1383:                             ;   in Loop: Header=BB232_10 Depth=1
	s_or_b32 exec_lo, exec_lo, s16
	s_delay_alu instid0(VALU_DEP_1) | instskip(NEXT) | instid1(VALU_DEP_2)
	v_dual_lshlrev_b32 v1, 24, v2 :: v_dual_lshlrev_b32 v0, 20, v0
	v_lshl_add_u32 v2, v3, 23, 0x3c000000
	s_delay_alu instid0(VALU_DEP_2) | instskip(NEXT) | instid1(VALU_DEP_1)
	v_and_b32_e32 v1, 0x80000000, v1
	v_or3_b32 v3, v0, v1, v2
	v_dual_mov_b32 v1, v5 :: v_dual_mov_b32 v2, v5
	s_clause 0x1
	scratch_store_b64 off, v[0:1], s32 offset:192
	scratch_store_b64 off, v[2:3], s32 offset:1564
.LBB232_1384:                           ;   in Loop: Header=BB232_10 Depth=1
	s_wait_xcnt 0x0
	s_or_b32 exec_lo, exec_lo, s15
.LBB232_1385:                           ;   in Loop: Header=BB232_10 Depth=1
	s_delay_alu instid0(SALU_CYCLE_1)
	s_or_b32 exec_lo, exec_lo, s11
.LBB232_1386:                           ;   in Loop: Header=BB232_10 Depth=1
	s_delay_alu instid0(SALU_CYCLE_1)
	s_or_b32 exec_lo, exec_lo, s4
	flat_load_b32 v2, v[66:67] offset:5132
	v_mov_b64_e32 v[4:5], 0
	s_mov_b32 s4, exec_lo
	scratch_store_b64 off, v[4:5], s32 offset:1612 ; 8-byte Folded Spill
	s_wait_xcnt 0x0
	v_mov_b64_e32 v[4:5], 0
	scratch_store_b64 off, v[4:5], s32 offset:1588 ; 8-byte Folded Spill
	s_wait_loadcnt_dscnt 0x0
	v_and_b32_e32 v0, 0xff, v2
	s_wait_xcnt 0x0
	s_delay_alu instid0(VALU_DEP_1)
	v_cmpx_ne_u16_e32 0, v0
	s_cbranch_execz .LBB232_1394
; %bb.1387:                             ;   in Loop: Header=BB232_10 Depth=1
	v_cmp_ne_u16_e64 s1, 0x80, v0
	v_mov_b64_e32 v[0:1], 0x80000000
	scratch_store_b64 off, v[0:1], s32 offset:1588 ; 8-byte Folded Spill
	s_wait_xcnt 0x0
	s_and_saveexec_b32 s11, s1
	s_cbranch_execz .LBB232_1393
; %bb.1388:                             ;   in Loop: Header=BB232_10 Depth=1
	v_mov_b64_e32 v[4:5], 0x7f800001
	v_and_b32_e32 v0, 0x7f, v2
	s_mov_b32 s15, exec_lo
	scratch_store_b64 off, v[4:5], s32 offset:1588 ; 8-byte Folded Spill
	s_wait_xcnt 0x0
	v_cmpx_ne_u32_e32 0x7f, v0
	s_cbranch_execz .LBB232_1392
; %bb.1389:                             ;   in Loop: Header=BB232_10 Depth=1
	scratch_load_b64 v[4:5], off, s32 offset:192 th:TH_LOAD_LU ; 8-byte Folded Reload
	s_wait_loadcnt 0x0
	v_dual_lshrrev_b32 v3, 3, v0 :: v_dual_bitop2_b32 v4, 7, v2 bitop3:0x40
	v_cmp_gt_u32_e64 s1, 8, v0
	s_delay_alu instid0(VALU_DEP_2)
	v_mov_b64_e32 v[0:1], v[4:5]
	s_wait_xcnt 0x0
	s_and_saveexec_b32 s16, s1
; %bb.1390:                             ;   in Loop: Header=BB232_10 Depth=1
	v_clz_i32_u32_e32 v0, v4
	s_delay_alu instid0(VALU_DEP_1) | instskip(NEXT) | instid1(VALU_DEP_1)
	v_min_u32_e32 v3, 32, v0
	v_subrev_nc_u32_e32 v0, 28, v3
	s_delay_alu instid0(VALU_DEP_1) | instskip(NEXT) | instid1(VALU_DEP_1)
	v_lshlrev_b64_e32 v[0:1], v0, v[4:5]
	v_dual_sub_nc_u32 v3, 29, v3 :: v_dual_bitop2_b32 v0, 7, v0 bitop3:0x40
; %bb.1391:                             ;   in Loop: Header=BB232_10 Depth=1
	s_or_b32 exec_lo, exec_lo, s16
	s_delay_alu instid0(VALU_DEP_1) | instskip(NEXT) | instid1(VALU_DEP_2)
	v_dual_lshlrev_b32 v1, 24, v2 :: v_dual_lshlrev_b32 v0, 20, v0
	v_lshl_add_u32 v3, v3, 23, 0x3c000000
	s_delay_alu instid0(VALU_DEP_2) | instskip(NEXT) | instid1(VALU_DEP_1)
	v_and_b32_e32 v1, 0x80000000, v1
	v_or3_b32 v4, v0, v1, v3
	v_mov_b32_e32 v1, v5
	s_clause 0x1
	scratch_store_b64 off, v[0:1], s32 offset:192
	scratch_store_b64 off, v[4:5], s32 offset:1588
.LBB232_1392:                           ;   in Loop: Header=BB232_10 Depth=1
	s_wait_xcnt 0x0
	s_or_b32 exec_lo, exec_lo, s15
.LBB232_1393:                           ;   in Loop: Header=BB232_10 Depth=1
	s_delay_alu instid0(SALU_CYCLE_1)
	s_or_b32 exec_lo, exec_lo, s11
.LBB232_1394:                           ;   in Loop: Header=BB232_10 Depth=1
	s_delay_alu instid0(SALU_CYCLE_1) | instskip(SKIP_2) | instid1(VALU_DEP_1)
	s_or_b32 exec_lo, exec_lo, s4
	v_lshrrev_b16 v0, 8, v2
	s_mov_b32 s4, exec_lo
	v_cmpx_ne_u16_e32 0, v0
	s_cbranch_execz .LBB232_1402
; %bb.1395:                             ;   in Loop: Header=BB232_10 Depth=1
	v_mov_b64_e32 v[4:5], 0x8000000000000000
	s_mov_b32 s11, exec_lo
	scratch_store_b64 off, v[4:5], s32 offset:1612 ; 8-byte Folded Spill
	s_wait_xcnt 0x0
	v_cmpx_ne_u16_e32 0x80, v0
	s_cbranch_execz .LBB232_1401
; %bb.1396:                             ;   in Loop: Header=BB232_10 Depth=1
	v_and_b32_e32 v1, 0xffff, v0
	v_mov_b64_e32 v[4:5], 0x7f80000100000000
	s_mov_b32 s15, exec_lo
	s_delay_alu instid0(VALU_DEP_2)
	v_and_b32_e32 v0, 0x7f, v1
	scratch_store_b64 off, v[4:5], s32 offset:1612 ; 8-byte Folded Spill
	s_wait_xcnt 0x0
	v_cmpx_ne_u32_e32 0x7f, v0
	s_cbranch_execz .LBB232_1400
; %bb.1397:                             ;   in Loop: Header=BB232_10 Depth=1
	scratch_load_b64 v[4:5], off, s32 offset:192 th:TH_LOAD_LU ; 8-byte Folded Reload
	s_wait_loadcnt 0x0
	v_dual_lshrrev_b32 v3, 3, v0 :: v_dual_bitop2_b32 v4, 7, v1 bitop3:0x40
	v_cmp_gt_u32_e64 s1, 8, v0
	s_delay_alu instid0(VALU_DEP_2)
	v_mov_b64_e32 v[0:1], v[4:5]
	s_wait_xcnt 0x0
	s_and_saveexec_b32 s16, s1
; %bb.1398:                             ;   in Loop: Header=BB232_10 Depth=1
	v_clz_i32_u32_e32 v0, v4
	s_delay_alu instid0(VALU_DEP_1) | instskip(NEXT) | instid1(VALU_DEP_1)
	v_min_u32_e32 v3, 32, v0
	v_subrev_nc_u32_e32 v0, 28, v3
	s_delay_alu instid0(VALU_DEP_1) | instskip(NEXT) | instid1(VALU_DEP_1)
	v_lshlrev_b64_e32 v[0:1], v0, v[4:5]
	v_dual_sub_nc_u32 v3, 29, v3 :: v_dual_bitop2_b32 v0, 7, v0 bitop3:0x40
; %bb.1399:                             ;   in Loop: Header=BB232_10 Depth=1
	s_or_b32 exec_lo, exec_lo, s16
	s_delay_alu instid0(VALU_DEP_1) | instskip(NEXT) | instid1(VALU_DEP_2)
	v_dual_lshlrev_b32 v1, 16, v2 :: v_dual_lshlrev_b32 v0, 20, v0
	v_lshl_add_u32 v3, v3, 23, 0x3c000000
	v_mov_b32_e32 v6, v5
	s_delay_alu instid0(VALU_DEP_3) | instskip(NEXT) | instid1(VALU_DEP_1)
	v_and_b32_e32 v1, 0x80000000, v1
	v_or3_b32 v7, v0, v1, v3
	v_mov_b32_e32 v1, v5
	s_clause 0x1
	scratch_store_b64 off, v[6:7], s32 offset:1612
	scratch_store_b64 off, v[0:1], s32 offset:192
.LBB232_1400:                           ;   in Loop: Header=BB232_10 Depth=1
	s_wait_xcnt 0x0
	s_or_b32 exec_lo, exec_lo, s15
.LBB232_1401:                           ;   in Loop: Header=BB232_10 Depth=1
	s_delay_alu instid0(SALU_CYCLE_1)
	s_or_b32 exec_lo, exec_lo, s11
.LBB232_1402:                           ;   in Loop: Header=BB232_10 Depth=1
	s_delay_alu instid0(SALU_CYCLE_1) | instskip(SKIP_3) | instid1(VALU_DEP_1)
	s_or_b32 exec_lo, exec_lo, s4
	v_mov_b64_e32 v[4:5], 0
	v_lshrrev_b32_e32 v3, 16, v2
	s_mov_b32 s4, exec_lo
	v_and_b32_e32 v0, 0xff, v3
	scratch_store_b64 off, v[4:5], s32 offset:1596 ; 8-byte Folded Spill
	s_wait_xcnt 0x0
	v_mov_b64_e32 v[4:5], 0
	scratch_store_b64 off, v[4:5], s32 offset:1604 ; 8-byte Folded Spill
	s_wait_xcnt 0x0
	v_cmpx_ne_u16_e32 0, v0
	s_cbranch_execz .LBB232_1410
; %bb.1403:                             ;   in Loop: Header=BB232_10 Depth=1
	v_cmp_ne_u16_e64 s1, 0x80, v0
	v_mov_b64_e32 v[0:1], 0x80000000
	scratch_store_b64 off, v[0:1], s32 offset:1604 ; 8-byte Folded Spill
	s_wait_xcnt 0x0
	s_and_saveexec_b32 s11, s1
	s_cbranch_execz .LBB232_1409
; %bb.1404:                             ;   in Loop: Header=BB232_10 Depth=1
	v_mov_b64_e32 v[4:5], 0x7f800001
	v_bfe_u32 v0, v2, 16, 7
	s_mov_b32 s15, exec_lo
	scratch_store_b64 off, v[4:5], s32 offset:1604 ; 8-byte Folded Spill
	s_wait_xcnt 0x0
	v_cmpx_ne_u32_e32 0x7f, v0
	s_cbranch_execz .LBB232_1408
; %bb.1405:                             ;   in Loop: Header=BB232_10 Depth=1
	scratch_load_b64 v[6:7], off, s32 offset:192 th:TH_LOAD_LU ; 8-byte Folded Reload
	s_wait_loadcnt 0x0
	v_dual_lshrrev_b32 v4, 3, v0 :: v_dual_bitop2_b32 v6, 7, v3 bitop3:0x40
	v_cmp_gt_u32_e64 s1, 8, v0
	s_delay_alu instid0(VALU_DEP_2)
	v_mov_b64_e32 v[0:1], v[6:7]
	s_wait_xcnt 0x0
	s_and_saveexec_b32 s16, s1
; %bb.1406:                             ;   in Loop: Header=BB232_10 Depth=1
	v_clz_i32_u32_e32 v0, v6
	s_delay_alu instid0(VALU_DEP_1) | instskip(NEXT) | instid1(VALU_DEP_1)
	v_min_u32_e32 v4, 32, v0
	v_subrev_nc_u32_e32 v0, 28, v4
	v_sub_nc_u32_e32 v4, 29, v4
	s_delay_alu instid0(VALU_DEP_2) | instskip(NEXT) | instid1(VALU_DEP_1)
	v_lshlrev_b64_e32 v[0:1], v0, v[6:7]
	v_and_b32_e32 v0, 7, v0
; %bb.1407:                             ;   in Loop: Header=BB232_10 Depth=1
	s_or_b32 exec_lo, exec_lo, s16
	s_delay_alu instid0(VALU_DEP_1) | instskip(SKIP_1) | instid1(VALU_DEP_2)
	v_dual_lshlrev_b32 v1, 24, v3 :: v_dual_lshlrev_b32 v0, 20, v0
	v_lshl_add_u32 v3, v4, 23, 0x3c000000
	v_and_b32_e32 v1, 0x80000000, v1
	s_delay_alu instid0(VALU_DEP_1)
	v_or3_b32 v6, v0, v1, v3
	v_mov_b32_e32 v1, v7
	s_clause 0x1
	scratch_store_b64 off, v[0:1], s32 offset:192
	scratch_store_b64 off, v[6:7], s32 offset:1604
.LBB232_1408:                           ;   in Loop: Header=BB232_10 Depth=1
	s_wait_xcnt 0x0
	s_or_b32 exec_lo, exec_lo, s15
.LBB232_1409:                           ;   in Loop: Header=BB232_10 Depth=1
	s_delay_alu instid0(SALU_CYCLE_1)
	s_or_b32 exec_lo, exec_lo, s11
.LBB232_1410:                           ;   in Loop: Header=BB232_10 Depth=1
	s_delay_alu instid0(SALU_CYCLE_1) | instskip(NEXT) | instid1(SALU_CYCLE_1)
	s_or_b32 exec_lo, exec_lo, s4
	s_mov_b32 s4, exec_lo
	v_cmpx_lt_u32_e32 0xffffff, v2
	s_cbranch_execz .LBB232_1418
; %bb.1411:                             ;   in Loop: Header=BB232_10 Depth=1
	v_mov_b64_e32 v[0:1], 0x8000000000000000
	v_lshrrev_b32_e32 v3, 24, v2
	s_mov_b32 s11, exec_lo
	scratch_store_b64 off, v[0:1], s32 offset:1596 ; 8-byte Folded Spill
	s_wait_xcnt 0x0
	v_cmpx_ne_u32_e32 0x80, v3
	s_cbranch_execz .LBB232_1417
; %bb.1412:                             ;   in Loop: Header=BB232_10 Depth=1
	v_mov_b64_e32 v[4:5], 0x7f80000100000000
	v_bfe_u32 v0, v2, 24, 7
	s_mov_b32 s15, exec_lo
	scratch_store_b64 off, v[4:5], s32 offset:1596 ; 8-byte Folded Spill
	s_wait_xcnt 0x0
	v_cmpx_ne_u32_e32 0x7f, v0
	s_cbranch_execz .LBB232_1416
; %bb.1413:                             ;   in Loop: Header=BB232_10 Depth=1
	scratch_load_b64 v[4:5], off, s32 offset:192 th:TH_LOAD_LU ; 8-byte Folded Reload
	s_wait_loadcnt 0x0
	v_dual_lshrrev_b32 v2, 3, v0 :: v_dual_bitop2_b32 v4, 7, v3 bitop3:0x40
	v_cmp_gt_u32_e64 s1, 8, v0
	s_delay_alu instid0(VALU_DEP_2)
	v_mov_b64_e32 v[0:1], v[4:5]
	s_wait_xcnt 0x0
	s_and_saveexec_b32 s16, s1
; %bb.1414:                             ;   in Loop: Header=BB232_10 Depth=1
	v_clz_i32_u32_e32 v0, v4
	s_delay_alu instid0(VALU_DEP_1) | instskip(NEXT) | instid1(VALU_DEP_1)
	v_min_u32_e32 v2, 32, v0
	v_subrev_nc_u32_e32 v0, 28, v2
	s_delay_alu instid0(VALU_DEP_1) | instskip(NEXT) | instid1(VALU_DEP_1)
	v_lshlrev_b64_e32 v[0:1], v0, v[4:5]
	v_dual_sub_nc_u32 v2, 29, v2 :: v_dual_bitop2_b32 v0, 7, v0 bitop3:0x40
; %bb.1415:                             ;   in Loop: Header=BB232_10 Depth=1
	s_or_b32 exec_lo, exec_lo, s16
	s_delay_alu instid0(VALU_DEP_1) | instskip(NEXT) | instid1(VALU_DEP_2)
	v_dual_lshlrev_b32 v1, 24, v3 :: v_dual_lshlrev_b32 v0, 20, v0
	v_lshl_add_u32 v2, v2, 23, 0x3c000000
	s_delay_alu instid0(VALU_DEP_2) | instskip(NEXT) | instid1(VALU_DEP_1)
	v_and_b32_e32 v1, 0x80000000, v1
	v_or3_b32 v3, v0, v1, v2
	v_dual_mov_b32 v1, v5 :: v_dual_mov_b32 v2, v5
	s_clause 0x1
	scratch_store_b64 off, v[0:1], s32 offset:192
	scratch_store_b64 off, v[2:3], s32 offset:1596
.LBB232_1416:                           ;   in Loop: Header=BB232_10 Depth=1
	s_wait_xcnt 0x0
	s_or_b32 exec_lo, exec_lo, s15
.LBB232_1417:                           ;   in Loop: Header=BB232_10 Depth=1
	s_delay_alu instid0(SALU_CYCLE_1)
	s_or_b32 exec_lo, exec_lo, s11
.LBB232_1418:                           ;   in Loop: Header=BB232_10 Depth=1
	s_delay_alu instid0(SALU_CYCLE_1)
	s_or_b32 exec_lo, exec_lo, s4
	flat_load_b32 v2, v[66:67] offset:5632
	v_mov_b64_e32 v[4:5], 0
	s_mov_b32 s4, exec_lo
	scratch_store_b64 off, v[4:5], s32 offset:1644 ; 8-byte Folded Spill
	s_wait_xcnt 0x0
	v_mov_b64_e32 v[4:5], 0
	scratch_store_b64 off, v[4:5], s32 offset:1620 ; 8-byte Folded Spill
	s_wait_loadcnt_dscnt 0x0
	v_and_b32_e32 v0, 0xff, v2
	s_wait_xcnt 0x0
	s_delay_alu instid0(VALU_DEP_1)
	v_cmpx_ne_u16_e32 0, v0
	s_cbranch_execz .LBB232_1426
; %bb.1419:                             ;   in Loop: Header=BB232_10 Depth=1
	v_cmp_ne_u16_e64 s1, 0x80, v0
	v_mov_b64_e32 v[0:1], 0x80000000
	scratch_store_b64 off, v[0:1], s32 offset:1620 ; 8-byte Folded Spill
	s_wait_xcnt 0x0
	s_and_saveexec_b32 s11, s1
	s_cbranch_execz .LBB232_1425
; %bb.1420:                             ;   in Loop: Header=BB232_10 Depth=1
	v_mov_b64_e32 v[4:5], 0x7f800001
	v_and_b32_e32 v0, 0x7f, v2
	s_mov_b32 s15, exec_lo
	scratch_store_b64 off, v[4:5], s32 offset:1620 ; 8-byte Folded Spill
	s_wait_xcnt 0x0
	v_cmpx_ne_u32_e32 0x7f, v0
	s_cbranch_execz .LBB232_1424
; %bb.1421:                             ;   in Loop: Header=BB232_10 Depth=1
	scratch_load_b64 v[4:5], off, s32 offset:192 th:TH_LOAD_LU ; 8-byte Folded Reload
	s_wait_loadcnt 0x0
	v_dual_lshrrev_b32 v3, 3, v0 :: v_dual_bitop2_b32 v4, 7, v2 bitop3:0x40
	v_cmp_gt_u32_e64 s1, 8, v0
	s_delay_alu instid0(VALU_DEP_2)
	v_mov_b64_e32 v[0:1], v[4:5]
	s_wait_xcnt 0x0
	s_and_saveexec_b32 s16, s1
; %bb.1422:                             ;   in Loop: Header=BB232_10 Depth=1
	v_clz_i32_u32_e32 v0, v4
	s_delay_alu instid0(VALU_DEP_1) | instskip(NEXT) | instid1(VALU_DEP_1)
	v_min_u32_e32 v3, 32, v0
	v_subrev_nc_u32_e32 v0, 28, v3
	s_delay_alu instid0(VALU_DEP_1) | instskip(NEXT) | instid1(VALU_DEP_1)
	v_lshlrev_b64_e32 v[0:1], v0, v[4:5]
	v_dual_sub_nc_u32 v3, 29, v3 :: v_dual_bitop2_b32 v0, 7, v0 bitop3:0x40
; %bb.1423:                             ;   in Loop: Header=BB232_10 Depth=1
	s_or_b32 exec_lo, exec_lo, s16
	s_delay_alu instid0(VALU_DEP_1) | instskip(NEXT) | instid1(VALU_DEP_2)
	v_dual_lshlrev_b32 v1, 24, v2 :: v_dual_lshlrev_b32 v0, 20, v0
	v_lshl_add_u32 v3, v3, 23, 0x3c000000
	s_delay_alu instid0(VALU_DEP_2) | instskip(NEXT) | instid1(VALU_DEP_1)
	v_and_b32_e32 v1, 0x80000000, v1
	v_or3_b32 v4, v0, v1, v3
	v_mov_b32_e32 v1, v5
	s_clause 0x1
	scratch_store_b64 off, v[0:1], s32 offset:192
	scratch_store_b64 off, v[4:5], s32 offset:1620
.LBB232_1424:                           ;   in Loop: Header=BB232_10 Depth=1
	s_wait_xcnt 0x0
	s_or_b32 exec_lo, exec_lo, s15
.LBB232_1425:                           ;   in Loop: Header=BB232_10 Depth=1
	s_delay_alu instid0(SALU_CYCLE_1)
	s_or_b32 exec_lo, exec_lo, s11
.LBB232_1426:                           ;   in Loop: Header=BB232_10 Depth=1
	s_delay_alu instid0(SALU_CYCLE_1) | instskip(SKIP_2) | instid1(VALU_DEP_1)
	s_or_b32 exec_lo, exec_lo, s4
	v_lshrrev_b16 v0, 8, v2
	s_mov_b32 s4, exec_lo
	v_cmpx_ne_u16_e32 0, v0
	s_cbranch_execz .LBB232_1434
; %bb.1427:                             ;   in Loop: Header=BB232_10 Depth=1
	v_mov_b64_e32 v[4:5], 0x8000000000000000
	s_mov_b32 s11, exec_lo
	scratch_store_b64 off, v[4:5], s32 offset:1644 ; 8-byte Folded Spill
	s_wait_xcnt 0x0
	v_cmpx_ne_u16_e32 0x80, v0
	s_cbranch_execz .LBB232_1433
; %bb.1428:                             ;   in Loop: Header=BB232_10 Depth=1
	v_and_b32_e32 v1, 0xffff, v0
	v_mov_b64_e32 v[4:5], 0x7f80000100000000
	s_mov_b32 s15, exec_lo
	s_delay_alu instid0(VALU_DEP_2)
	v_and_b32_e32 v0, 0x7f, v1
	scratch_store_b64 off, v[4:5], s32 offset:1644 ; 8-byte Folded Spill
	s_wait_xcnt 0x0
	v_cmpx_ne_u32_e32 0x7f, v0
	s_cbranch_execz .LBB232_1432
; %bb.1429:                             ;   in Loop: Header=BB232_10 Depth=1
	scratch_load_b64 v[4:5], off, s32 offset:192 th:TH_LOAD_LU ; 8-byte Folded Reload
	s_wait_loadcnt 0x0
	v_dual_lshrrev_b32 v3, 3, v0 :: v_dual_bitop2_b32 v4, 7, v1 bitop3:0x40
	v_cmp_gt_u32_e64 s1, 8, v0
	s_delay_alu instid0(VALU_DEP_2)
	v_mov_b64_e32 v[0:1], v[4:5]
	s_wait_xcnt 0x0
	s_and_saveexec_b32 s16, s1
; %bb.1430:                             ;   in Loop: Header=BB232_10 Depth=1
	v_clz_i32_u32_e32 v0, v4
	s_delay_alu instid0(VALU_DEP_1) | instskip(NEXT) | instid1(VALU_DEP_1)
	v_min_u32_e32 v3, 32, v0
	v_subrev_nc_u32_e32 v0, 28, v3
	s_delay_alu instid0(VALU_DEP_1) | instskip(NEXT) | instid1(VALU_DEP_1)
	v_lshlrev_b64_e32 v[0:1], v0, v[4:5]
	v_dual_sub_nc_u32 v3, 29, v3 :: v_dual_bitop2_b32 v0, 7, v0 bitop3:0x40
; %bb.1431:                             ;   in Loop: Header=BB232_10 Depth=1
	s_or_b32 exec_lo, exec_lo, s16
	s_delay_alu instid0(VALU_DEP_1) | instskip(NEXT) | instid1(VALU_DEP_2)
	v_dual_lshlrev_b32 v1, 16, v2 :: v_dual_lshlrev_b32 v0, 20, v0
	v_lshl_add_u32 v3, v3, 23, 0x3c000000
	v_mov_b32_e32 v6, v5
	s_delay_alu instid0(VALU_DEP_3) | instskip(NEXT) | instid1(VALU_DEP_1)
	v_and_b32_e32 v1, 0x80000000, v1
	v_or3_b32 v7, v0, v1, v3
	v_mov_b32_e32 v1, v5
	s_clause 0x1
	scratch_store_b64 off, v[6:7], s32 offset:1644
	scratch_store_b64 off, v[0:1], s32 offset:192
.LBB232_1432:                           ;   in Loop: Header=BB232_10 Depth=1
	s_wait_xcnt 0x0
	s_or_b32 exec_lo, exec_lo, s15
.LBB232_1433:                           ;   in Loop: Header=BB232_10 Depth=1
	s_delay_alu instid0(SALU_CYCLE_1)
	s_or_b32 exec_lo, exec_lo, s11
.LBB232_1434:                           ;   in Loop: Header=BB232_10 Depth=1
	s_delay_alu instid0(SALU_CYCLE_1) | instskip(SKIP_3) | instid1(VALU_DEP_1)
	s_or_b32 exec_lo, exec_lo, s4
	v_mov_b64_e32 v[4:5], 0
	v_lshrrev_b32_e32 v3, 16, v2
	s_mov_b32 s4, exec_lo
	v_and_b32_e32 v0, 0xff, v3
	scratch_store_b64 off, v[4:5], s32 offset:1628 ; 8-byte Folded Spill
	s_wait_xcnt 0x0
	v_mov_b64_e32 v[4:5], 0
	scratch_store_b64 off, v[4:5], s32 offset:1636 ; 8-byte Folded Spill
	s_wait_xcnt 0x0
	v_cmpx_ne_u16_e32 0, v0
	s_cbranch_execz .LBB232_1442
; %bb.1435:                             ;   in Loop: Header=BB232_10 Depth=1
	v_cmp_ne_u16_e64 s1, 0x80, v0
	v_mov_b64_e32 v[0:1], 0x80000000
	scratch_store_b64 off, v[0:1], s32 offset:1636 ; 8-byte Folded Spill
	s_wait_xcnt 0x0
	s_and_saveexec_b32 s11, s1
	s_cbranch_execz .LBB232_1441
; %bb.1436:                             ;   in Loop: Header=BB232_10 Depth=1
	v_mov_b64_e32 v[4:5], 0x7f800001
	v_bfe_u32 v0, v2, 16, 7
	s_mov_b32 s15, exec_lo
	scratch_store_b64 off, v[4:5], s32 offset:1636 ; 8-byte Folded Spill
	s_wait_xcnt 0x0
	v_cmpx_ne_u32_e32 0x7f, v0
	s_cbranch_execz .LBB232_1440
; %bb.1437:                             ;   in Loop: Header=BB232_10 Depth=1
	scratch_load_b64 v[6:7], off, s32 offset:192 th:TH_LOAD_LU ; 8-byte Folded Reload
	s_wait_loadcnt 0x0
	v_dual_lshrrev_b32 v4, 3, v0 :: v_dual_bitop2_b32 v6, 7, v3 bitop3:0x40
	v_cmp_gt_u32_e64 s1, 8, v0
	s_delay_alu instid0(VALU_DEP_2)
	v_mov_b64_e32 v[0:1], v[6:7]
	s_wait_xcnt 0x0
	s_and_saveexec_b32 s16, s1
; %bb.1438:                             ;   in Loop: Header=BB232_10 Depth=1
	v_clz_i32_u32_e32 v0, v6
	s_delay_alu instid0(VALU_DEP_1) | instskip(NEXT) | instid1(VALU_DEP_1)
	v_min_u32_e32 v4, 32, v0
	v_subrev_nc_u32_e32 v0, 28, v4
	v_sub_nc_u32_e32 v4, 29, v4
	s_delay_alu instid0(VALU_DEP_2) | instskip(NEXT) | instid1(VALU_DEP_1)
	v_lshlrev_b64_e32 v[0:1], v0, v[6:7]
	v_and_b32_e32 v0, 7, v0
; %bb.1439:                             ;   in Loop: Header=BB232_10 Depth=1
	s_or_b32 exec_lo, exec_lo, s16
	s_delay_alu instid0(VALU_DEP_1) | instskip(SKIP_1) | instid1(VALU_DEP_2)
	v_dual_lshlrev_b32 v1, 24, v3 :: v_dual_lshlrev_b32 v0, 20, v0
	v_lshl_add_u32 v3, v4, 23, 0x3c000000
	v_and_b32_e32 v1, 0x80000000, v1
	s_delay_alu instid0(VALU_DEP_1)
	v_or3_b32 v6, v0, v1, v3
	v_mov_b32_e32 v1, v7
	s_clause 0x1
	scratch_store_b64 off, v[0:1], s32 offset:192
	scratch_store_b64 off, v[6:7], s32 offset:1636
.LBB232_1440:                           ;   in Loop: Header=BB232_10 Depth=1
	s_wait_xcnt 0x0
	s_or_b32 exec_lo, exec_lo, s15
.LBB232_1441:                           ;   in Loop: Header=BB232_10 Depth=1
	s_delay_alu instid0(SALU_CYCLE_1)
	s_or_b32 exec_lo, exec_lo, s11
.LBB232_1442:                           ;   in Loop: Header=BB232_10 Depth=1
	s_delay_alu instid0(SALU_CYCLE_1) | instskip(NEXT) | instid1(SALU_CYCLE_1)
	s_or_b32 exec_lo, exec_lo, s4
	s_mov_b32 s4, exec_lo
	v_cmpx_lt_u32_e32 0xffffff, v2
	s_cbranch_execz .LBB232_1450
; %bb.1443:                             ;   in Loop: Header=BB232_10 Depth=1
	v_mov_b64_e32 v[0:1], 0x8000000000000000
	v_lshrrev_b32_e32 v3, 24, v2
	s_mov_b32 s11, exec_lo
	scratch_store_b64 off, v[0:1], s32 offset:1628 ; 8-byte Folded Spill
	s_wait_xcnt 0x0
	v_cmpx_ne_u32_e32 0x80, v3
	s_cbranch_execz .LBB232_1449
; %bb.1444:                             ;   in Loop: Header=BB232_10 Depth=1
	v_mov_b64_e32 v[4:5], 0x7f80000100000000
	v_bfe_u32 v0, v2, 24, 7
	s_mov_b32 s15, exec_lo
	scratch_store_b64 off, v[4:5], s32 offset:1628 ; 8-byte Folded Spill
	s_wait_xcnt 0x0
	v_cmpx_ne_u32_e32 0x7f, v0
	s_cbranch_execz .LBB232_1448
; %bb.1445:                             ;   in Loop: Header=BB232_10 Depth=1
	scratch_load_b64 v[4:5], off, s32 offset:192 th:TH_LOAD_LU ; 8-byte Folded Reload
	s_wait_loadcnt 0x0
	v_dual_lshrrev_b32 v2, 3, v0 :: v_dual_bitop2_b32 v4, 7, v3 bitop3:0x40
	v_cmp_gt_u32_e64 s1, 8, v0
	s_delay_alu instid0(VALU_DEP_2)
	v_mov_b64_e32 v[0:1], v[4:5]
	s_wait_xcnt 0x0
	s_and_saveexec_b32 s16, s1
; %bb.1446:                             ;   in Loop: Header=BB232_10 Depth=1
	v_clz_i32_u32_e32 v0, v4
	s_delay_alu instid0(VALU_DEP_1) | instskip(NEXT) | instid1(VALU_DEP_1)
	v_min_u32_e32 v2, 32, v0
	v_subrev_nc_u32_e32 v0, 28, v2
	s_delay_alu instid0(VALU_DEP_1) | instskip(NEXT) | instid1(VALU_DEP_1)
	v_lshlrev_b64_e32 v[0:1], v0, v[4:5]
	v_dual_sub_nc_u32 v2, 29, v2 :: v_dual_bitop2_b32 v0, 7, v0 bitop3:0x40
; %bb.1447:                             ;   in Loop: Header=BB232_10 Depth=1
	s_or_b32 exec_lo, exec_lo, s16
	s_delay_alu instid0(VALU_DEP_1) | instskip(NEXT) | instid1(VALU_DEP_2)
	v_dual_lshlrev_b32 v1, 24, v3 :: v_dual_lshlrev_b32 v0, 20, v0
	v_lshl_add_u32 v2, v2, 23, 0x3c000000
	s_delay_alu instid0(VALU_DEP_2) | instskip(NEXT) | instid1(VALU_DEP_1)
	v_and_b32_e32 v1, 0x80000000, v1
	v_or3_b32 v3, v0, v1, v2
	v_dual_mov_b32 v1, v5 :: v_dual_mov_b32 v2, v5
	s_clause 0x1
	scratch_store_b64 off, v[0:1], s32 offset:192
	scratch_store_b64 off, v[2:3], s32 offset:1628
.LBB232_1448:                           ;   in Loop: Header=BB232_10 Depth=1
	s_wait_xcnt 0x0
	s_or_b32 exec_lo, exec_lo, s15
.LBB232_1449:                           ;   in Loop: Header=BB232_10 Depth=1
	s_delay_alu instid0(SALU_CYCLE_1)
	s_or_b32 exec_lo, exec_lo, s11
.LBB232_1450:                           ;   in Loop: Header=BB232_10 Depth=1
	s_delay_alu instid0(SALU_CYCLE_1)
	s_or_b32 exec_lo, exec_lo, s4
	flat_load_b32 v2, v[66:67] offset:5636
	v_mov_b64_e32 v[4:5], 0
	s_mov_b32 s4, exec_lo
	scratch_store_b64 off, v[4:5], s32 offset:1676 ; 8-byte Folded Spill
	s_wait_xcnt 0x0
	v_mov_b64_e32 v[4:5], 0
	scratch_store_b64 off, v[4:5], s32 offset:1652 ; 8-byte Folded Spill
	s_wait_loadcnt_dscnt 0x0
	v_and_b32_e32 v0, 0xff, v2
	s_wait_xcnt 0x0
	s_delay_alu instid0(VALU_DEP_1)
	v_cmpx_ne_u16_e32 0, v0
	s_cbranch_execz .LBB232_1458
; %bb.1451:                             ;   in Loop: Header=BB232_10 Depth=1
	v_cmp_ne_u16_e64 s1, 0x80, v0
	v_mov_b64_e32 v[0:1], 0x80000000
	scratch_store_b64 off, v[0:1], s32 offset:1652 ; 8-byte Folded Spill
	s_wait_xcnt 0x0
	s_and_saveexec_b32 s11, s1
	s_cbranch_execz .LBB232_1457
; %bb.1452:                             ;   in Loop: Header=BB232_10 Depth=1
	v_mov_b64_e32 v[4:5], 0x7f800001
	v_and_b32_e32 v0, 0x7f, v2
	s_mov_b32 s15, exec_lo
	scratch_store_b64 off, v[4:5], s32 offset:1652 ; 8-byte Folded Spill
	s_wait_xcnt 0x0
	v_cmpx_ne_u32_e32 0x7f, v0
	s_cbranch_execz .LBB232_1456
; %bb.1453:                             ;   in Loop: Header=BB232_10 Depth=1
	scratch_load_b64 v[4:5], off, s32 offset:192 th:TH_LOAD_LU ; 8-byte Folded Reload
	s_wait_loadcnt 0x0
	v_dual_lshrrev_b32 v3, 3, v0 :: v_dual_bitop2_b32 v4, 7, v2 bitop3:0x40
	v_cmp_gt_u32_e64 s1, 8, v0
	s_delay_alu instid0(VALU_DEP_2)
	v_mov_b64_e32 v[0:1], v[4:5]
	s_wait_xcnt 0x0
	s_and_saveexec_b32 s16, s1
; %bb.1454:                             ;   in Loop: Header=BB232_10 Depth=1
	v_clz_i32_u32_e32 v0, v4
	s_delay_alu instid0(VALU_DEP_1) | instskip(NEXT) | instid1(VALU_DEP_1)
	v_min_u32_e32 v3, 32, v0
	v_subrev_nc_u32_e32 v0, 28, v3
	s_delay_alu instid0(VALU_DEP_1) | instskip(NEXT) | instid1(VALU_DEP_1)
	v_lshlrev_b64_e32 v[0:1], v0, v[4:5]
	v_dual_sub_nc_u32 v3, 29, v3 :: v_dual_bitop2_b32 v0, 7, v0 bitop3:0x40
; %bb.1455:                             ;   in Loop: Header=BB232_10 Depth=1
	s_or_b32 exec_lo, exec_lo, s16
	s_delay_alu instid0(VALU_DEP_1) | instskip(NEXT) | instid1(VALU_DEP_2)
	v_dual_lshlrev_b32 v1, 24, v2 :: v_dual_lshlrev_b32 v0, 20, v0
	v_lshl_add_u32 v3, v3, 23, 0x3c000000
	s_delay_alu instid0(VALU_DEP_2) | instskip(NEXT) | instid1(VALU_DEP_1)
	v_and_b32_e32 v1, 0x80000000, v1
	v_or3_b32 v4, v0, v1, v3
	v_mov_b32_e32 v1, v5
	s_clause 0x1
	scratch_store_b64 off, v[0:1], s32 offset:192
	scratch_store_b64 off, v[4:5], s32 offset:1652
.LBB232_1456:                           ;   in Loop: Header=BB232_10 Depth=1
	s_wait_xcnt 0x0
	s_or_b32 exec_lo, exec_lo, s15
.LBB232_1457:                           ;   in Loop: Header=BB232_10 Depth=1
	s_delay_alu instid0(SALU_CYCLE_1)
	s_or_b32 exec_lo, exec_lo, s11
.LBB232_1458:                           ;   in Loop: Header=BB232_10 Depth=1
	s_delay_alu instid0(SALU_CYCLE_1) | instskip(SKIP_2) | instid1(VALU_DEP_1)
	s_or_b32 exec_lo, exec_lo, s4
	v_lshrrev_b16 v0, 8, v2
	s_mov_b32 s4, exec_lo
	v_cmpx_ne_u16_e32 0, v0
	s_cbranch_execz .LBB232_1466
; %bb.1459:                             ;   in Loop: Header=BB232_10 Depth=1
	v_mov_b64_e32 v[4:5], 0x8000000000000000
	s_mov_b32 s11, exec_lo
	scratch_store_b64 off, v[4:5], s32 offset:1676 ; 8-byte Folded Spill
	s_wait_xcnt 0x0
	v_cmpx_ne_u16_e32 0x80, v0
	s_cbranch_execz .LBB232_1465
; %bb.1460:                             ;   in Loop: Header=BB232_10 Depth=1
	v_and_b32_e32 v1, 0xffff, v0
	v_mov_b64_e32 v[4:5], 0x7f80000100000000
	s_mov_b32 s15, exec_lo
	s_delay_alu instid0(VALU_DEP_2)
	v_and_b32_e32 v0, 0x7f, v1
	scratch_store_b64 off, v[4:5], s32 offset:1676 ; 8-byte Folded Spill
	s_wait_xcnt 0x0
	v_cmpx_ne_u32_e32 0x7f, v0
	s_cbranch_execz .LBB232_1464
; %bb.1461:                             ;   in Loop: Header=BB232_10 Depth=1
	scratch_load_b64 v[4:5], off, s32 offset:192 th:TH_LOAD_LU ; 8-byte Folded Reload
	s_wait_loadcnt 0x0
	v_dual_lshrrev_b32 v3, 3, v0 :: v_dual_bitop2_b32 v4, 7, v1 bitop3:0x40
	v_cmp_gt_u32_e64 s1, 8, v0
	s_delay_alu instid0(VALU_DEP_2)
	v_mov_b64_e32 v[0:1], v[4:5]
	s_wait_xcnt 0x0
	s_and_saveexec_b32 s16, s1
; %bb.1462:                             ;   in Loop: Header=BB232_10 Depth=1
	v_clz_i32_u32_e32 v0, v4
	s_delay_alu instid0(VALU_DEP_1) | instskip(NEXT) | instid1(VALU_DEP_1)
	v_min_u32_e32 v3, 32, v0
	v_subrev_nc_u32_e32 v0, 28, v3
	s_delay_alu instid0(VALU_DEP_1) | instskip(NEXT) | instid1(VALU_DEP_1)
	v_lshlrev_b64_e32 v[0:1], v0, v[4:5]
	v_dual_sub_nc_u32 v3, 29, v3 :: v_dual_bitop2_b32 v0, 7, v0 bitop3:0x40
; %bb.1463:                             ;   in Loop: Header=BB232_10 Depth=1
	s_or_b32 exec_lo, exec_lo, s16
	s_delay_alu instid0(VALU_DEP_1) | instskip(NEXT) | instid1(VALU_DEP_2)
	v_dual_lshlrev_b32 v1, 16, v2 :: v_dual_lshlrev_b32 v0, 20, v0
	v_lshl_add_u32 v3, v3, 23, 0x3c000000
	v_mov_b32_e32 v6, v5
	s_delay_alu instid0(VALU_DEP_3) | instskip(NEXT) | instid1(VALU_DEP_1)
	v_and_b32_e32 v1, 0x80000000, v1
	v_or3_b32 v7, v0, v1, v3
	v_mov_b32_e32 v1, v5
	s_clause 0x1
	scratch_store_b64 off, v[6:7], s32 offset:1676
	scratch_store_b64 off, v[0:1], s32 offset:192
.LBB232_1464:                           ;   in Loop: Header=BB232_10 Depth=1
	s_wait_xcnt 0x0
	s_or_b32 exec_lo, exec_lo, s15
.LBB232_1465:                           ;   in Loop: Header=BB232_10 Depth=1
	s_delay_alu instid0(SALU_CYCLE_1)
	s_or_b32 exec_lo, exec_lo, s11
.LBB232_1466:                           ;   in Loop: Header=BB232_10 Depth=1
	s_delay_alu instid0(SALU_CYCLE_1) | instskip(SKIP_3) | instid1(VALU_DEP_1)
	s_or_b32 exec_lo, exec_lo, s4
	v_mov_b64_e32 v[4:5], 0
	v_lshrrev_b32_e32 v3, 16, v2
	s_mov_b32 s4, exec_lo
	v_and_b32_e32 v0, 0xff, v3
	scratch_store_b64 off, v[4:5], s32 offset:1660 ; 8-byte Folded Spill
	s_wait_xcnt 0x0
	v_mov_b64_e32 v[4:5], 0
	scratch_store_b64 off, v[4:5], s32 offset:1668 ; 8-byte Folded Spill
	s_wait_xcnt 0x0
	v_cmpx_ne_u16_e32 0, v0
	s_cbranch_execz .LBB232_1474
; %bb.1467:                             ;   in Loop: Header=BB232_10 Depth=1
	v_cmp_ne_u16_e64 s1, 0x80, v0
	v_mov_b64_e32 v[0:1], 0x80000000
	scratch_store_b64 off, v[0:1], s32 offset:1668 ; 8-byte Folded Spill
	s_wait_xcnt 0x0
	s_and_saveexec_b32 s11, s1
	s_cbranch_execz .LBB232_1473
; %bb.1468:                             ;   in Loop: Header=BB232_10 Depth=1
	v_mov_b64_e32 v[4:5], 0x7f800001
	v_bfe_u32 v0, v2, 16, 7
	s_mov_b32 s15, exec_lo
	scratch_store_b64 off, v[4:5], s32 offset:1668 ; 8-byte Folded Spill
	s_wait_xcnt 0x0
	v_cmpx_ne_u32_e32 0x7f, v0
	s_cbranch_execz .LBB232_1472
; %bb.1469:                             ;   in Loop: Header=BB232_10 Depth=1
	scratch_load_b64 v[6:7], off, s32 offset:192 th:TH_LOAD_LU ; 8-byte Folded Reload
	s_wait_loadcnt 0x0
	v_dual_lshrrev_b32 v4, 3, v0 :: v_dual_bitop2_b32 v6, 7, v3 bitop3:0x40
	v_cmp_gt_u32_e64 s1, 8, v0
	s_delay_alu instid0(VALU_DEP_2)
	v_mov_b64_e32 v[0:1], v[6:7]
	s_wait_xcnt 0x0
	s_and_saveexec_b32 s16, s1
; %bb.1470:                             ;   in Loop: Header=BB232_10 Depth=1
	v_clz_i32_u32_e32 v0, v6
	s_delay_alu instid0(VALU_DEP_1) | instskip(NEXT) | instid1(VALU_DEP_1)
	v_min_u32_e32 v4, 32, v0
	v_subrev_nc_u32_e32 v0, 28, v4
	v_sub_nc_u32_e32 v4, 29, v4
	s_delay_alu instid0(VALU_DEP_2) | instskip(NEXT) | instid1(VALU_DEP_1)
	v_lshlrev_b64_e32 v[0:1], v0, v[6:7]
	v_and_b32_e32 v0, 7, v0
; %bb.1471:                             ;   in Loop: Header=BB232_10 Depth=1
	s_or_b32 exec_lo, exec_lo, s16
	s_delay_alu instid0(VALU_DEP_1) | instskip(SKIP_1) | instid1(VALU_DEP_2)
	v_dual_lshlrev_b32 v1, 24, v3 :: v_dual_lshlrev_b32 v0, 20, v0
	v_lshl_add_u32 v3, v4, 23, 0x3c000000
	v_and_b32_e32 v1, 0x80000000, v1
	s_delay_alu instid0(VALU_DEP_1)
	v_or3_b32 v6, v0, v1, v3
	v_mov_b32_e32 v1, v7
	s_clause 0x1
	scratch_store_b64 off, v[0:1], s32 offset:192
	scratch_store_b64 off, v[6:7], s32 offset:1668
.LBB232_1472:                           ;   in Loop: Header=BB232_10 Depth=1
	s_wait_xcnt 0x0
	s_or_b32 exec_lo, exec_lo, s15
.LBB232_1473:                           ;   in Loop: Header=BB232_10 Depth=1
	s_delay_alu instid0(SALU_CYCLE_1)
	s_or_b32 exec_lo, exec_lo, s11
.LBB232_1474:                           ;   in Loop: Header=BB232_10 Depth=1
	s_delay_alu instid0(SALU_CYCLE_1) | instskip(NEXT) | instid1(SALU_CYCLE_1)
	s_or_b32 exec_lo, exec_lo, s4
	s_mov_b32 s4, exec_lo
	v_cmpx_lt_u32_e32 0xffffff, v2
	s_cbranch_execz .LBB232_1482
; %bb.1475:                             ;   in Loop: Header=BB232_10 Depth=1
	v_mov_b64_e32 v[0:1], 0x8000000000000000
	v_lshrrev_b32_e32 v3, 24, v2
	s_mov_b32 s11, exec_lo
	scratch_store_b64 off, v[0:1], s32 offset:1660 ; 8-byte Folded Spill
	s_wait_xcnt 0x0
	v_cmpx_ne_u32_e32 0x80, v3
	s_cbranch_execz .LBB232_1481
; %bb.1476:                             ;   in Loop: Header=BB232_10 Depth=1
	v_mov_b64_e32 v[4:5], 0x7f80000100000000
	v_bfe_u32 v0, v2, 24, 7
	s_mov_b32 s15, exec_lo
	scratch_store_b64 off, v[4:5], s32 offset:1660 ; 8-byte Folded Spill
	s_wait_xcnt 0x0
	v_cmpx_ne_u32_e32 0x7f, v0
	s_cbranch_execz .LBB232_1480
; %bb.1477:                             ;   in Loop: Header=BB232_10 Depth=1
	scratch_load_b64 v[4:5], off, s32 offset:192 th:TH_LOAD_LU ; 8-byte Folded Reload
	s_wait_loadcnt 0x0
	v_dual_lshrrev_b32 v2, 3, v0 :: v_dual_bitop2_b32 v4, 7, v3 bitop3:0x40
	v_cmp_gt_u32_e64 s1, 8, v0
	s_delay_alu instid0(VALU_DEP_2)
	v_mov_b64_e32 v[0:1], v[4:5]
	s_wait_xcnt 0x0
	s_and_saveexec_b32 s16, s1
; %bb.1478:                             ;   in Loop: Header=BB232_10 Depth=1
	v_clz_i32_u32_e32 v0, v4
	s_delay_alu instid0(VALU_DEP_1) | instskip(NEXT) | instid1(VALU_DEP_1)
	v_min_u32_e32 v2, 32, v0
	v_subrev_nc_u32_e32 v0, 28, v2
	s_delay_alu instid0(VALU_DEP_1) | instskip(NEXT) | instid1(VALU_DEP_1)
	v_lshlrev_b64_e32 v[0:1], v0, v[4:5]
	v_dual_sub_nc_u32 v2, 29, v2 :: v_dual_bitop2_b32 v0, 7, v0 bitop3:0x40
; %bb.1479:                             ;   in Loop: Header=BB232_10 Depth=1
	s_or_b32 exec_lo, exec_lo, s16
	s_delay_alu instid0(VALU_DEP_1) | instskip(NEXT) | instid1(VALU_DEP_2)
	v_dual_lshlrev_b32 v1, 24, v3 :: v_dual_lshlrev_b32 v0, 20, v0
	v_lshl_add_u32 v2, v2, 23, 0x3c000000
	s_delay_alu instid0(VALU_DEP_2) | instskip(NEXT) | instid1(VALU_DEP_1)
	v_and_b32_e32 v1, 0x80000000, v1
	v_or3_b32 v3, v0, v1, v2
	v_dual_mov_b32 v1, v5 :: v_dual_mov_b32 v2, v5
	s_clause 0x1
	scratch_store_b64 off, v[0:1], s32 offset:192
	scratch_store_b64 off, v[2:3], s32 offset:1660
.LBB232_1480:                           ;   in Loop: Header=BB232_10 Depth=1
	s_wait_xcnt 0x0
	s_or_b32 exec_lo, exec_lo, s15
.LBB232_1481:                           ;   in Loop: Header=BB232_10 Depth=1
	s_delay_alu instid0(SALU_CYCLE_1)
	s_or_b32 exec_lo, exec_lo, s11
.LBB232_1482:                           ;   in Loop: Header=BB232_10 Depth=1
	s_delay_alu instid0(SALU_CYCLE_1)
	s_or_b32 exec_lo, exec_lo, s4
	flat_load_b32 v2, v[66:67] offset:5640
	v_mov_b64_e32 v[4:5], 0
	s_mov_b32 s4, exec_lo
	scratch_store_b64 off, v[4:5], s32 offset:1708 ; 8-byte Folded Spill
	s_wait_xcnt 0x0
	v_mov_b64_e32 v[4:5], 0
	scratch_store_b64 off, v[4:5], s32 offset:1684 ; 8-byte Folded Spill
	s_wait_loadcnt_dscnt 0x0
	v_and_b32_e32 v0, 0xff, v2
	s_wait_xcnt 0x0
	s_delay_alu instid0(VALU_DEP_1)
	v_cmpx_ne_u16_e32 0, v0
	s_cbranch_execz .LBB232_1490
; %bb.1483:                             ;   in Loop: Header=BB232_10 Depth=1
	v_cmp_ne_u16_e64 s1, 0x80, v0
	v_mov_b64_e32 v[0:1], 0x80000000
	scratch_store_b64 off, v[0:1], s32 offset:1684 ; 8-byte Folded Spill
	s_wait_xcnt 0x0
	s_and_saveexec_b32 s11, s1
	s_cbranch_execz .LBB232_1489
; %bb.1484:                             ;   in Loop: Header=BB232_10 Depth=1
	v_mov_b64_e32 v[4:5], 0x7f800001
	v_and_b32_e32 v0, 0x7f, v2
	s_mov_b32 s15, exec_lo
	scratch_store_b64 off, v[4:5], s32 offset:1684 ; 8-byte Folded Spill
	s_wait_xcnt 0x0
	v_cmpx_ne_u32_e32 0x7f, v0
	s_cbranch_execz .LBB232_1488
; %bb.1485:                             ;   in Loop: Header=BB232_10 Depth=1
	scratch_load_b64 v[4:5], off, s32 offset:192 th:TH_LOAD_LU ; 8-byte Folded Reload
	s_wait_loadcnt 0x0
	v_dual_lshrrev_b32 v3, 3, v0 :: v_dual_bitop2_b32 v4, 7, v2 bitop3:0x40
	v_cmp_gt_u32_e64 s1, 8, v0
	s_delay_alu instid0(VALU_DEP_2)
	v_mov_b64_e32 v[0:1], v[4:5]
	s_wait_xcnt 0x0
	s_and_saveexec_b32 s16, s1
; %bb.1486:                             ;   in Loop: Header=BB232_10 Depth=1
	v_clz_i32_u32_e32 v0, v4
	s_delay_alu instid0(VALU_DEP_1) | instskip(NEXT) | instid1(VALU_DEP_1)
	v_min_u32_e32 v3, 32, v0
	v_subrev_nc_u32_e32 v0, 28, v3
	s_delay_alu instid0(VALU_DEP_1) | instskip(NEXT) | instid1(VALU_DEP_1)
	v_lshlrev_b64_e32 v[0:1], v0, v[4:5]
	v_dual_sub_nc_u32 v3, 29, v3 :: v_dual_bitop2_b32 v0, 7, v0 bitop3:0x40
; %bb.1487:                             ;   in Loop: Header=BB232_10 Depth=1
	s_or_b32 exec_lo, exec_lo, s16
	s_delay_alu instid0(VALU_DEP_1) | instskip(NEXT) | instid1(VALU_DEP_2)
	v_dual_lshlrev_b32 v1, 24, v2 :: v_dual_lshlrev_b32 v0, 20, v0
	v_lshl_add_u32 v3, v3, 23, 0x3c000000
	s_delay_alu instid0(VALU_DEP_2) | instskip(NEXT) | instid1(VALU_DEP_1)
	v_and_b32_e32 v1, 0x80000000, v1
	v_or3_b32 v4, v0, v1, v3
	v_mov_b32_e32 v1, v5
	s_clause 0x1
	scratch_store_b64 off, v[0:1], s32 offset:192
	scratch_store_b64 off, v[4:5], s32 offset:1684
.LBB232_1488:                           ;   in Loop: Header=BB232_10 Depth=1
	s_wait_xcnt 0x0
	s_or_b32 exec_lo, exec_lo, s15
.LBB232_1489:                           ;   in Loop: Header=BB232_10 Depth=1
	s_delay_alu instid0(SALU_CYCLE_1)
	s_or_b32 exec_lo, exec_lo, s11
.LBB232_1490:                           ;   in Loop: Header=BB232_10 Depth=1
	s_delay_alu instid0(SALU_CYCLE_1) | instskip(SKIP_2) | instid1(VALU_DEP_1)
	s_or_b32 exec_lo, exec_lo, s4
	v_lshrrev_b16 v0, 8, v2
	s_mov_b32 s4, exec_lo
	v_cmpx_ne_u16_e32 0, v0
	s_cbranch_execz .LBB232_1498
; %bb.1491:                             ;   in Loop: Header=BB232_10 Depth=1
	v_mov_b64_e32 v[4:5], 0x8000000000000000
	s_mov_b32 s11, exec_lo
	scratch_store_b64 off, v[4:5], s32 offset:1708 ; 8-byte Folded Spill
	s_wait_xcnt 0x0
	v_cmpx_ne_u16_e32 0x80, v0
	s_cbranch_execz .LBB232_1497
; %bb.1492:                             ;   in Loop: Header=BB232_10 Depth=1
	v_and_b32_e32 v1, 0xffff, v0
	v_mov_b64_e32 v[4:5], 0x7f80000100000000
	s_mov_b32 s15, exec_lo
	s_delay_alu instid0(VALU_DEP_2)
	v_and_b32_e32 v0, 0x7f, v1
	scratch_store_b64 off, v[4:5], s32 offset:1708 ; 8-byte Folded Spill
	s_wait_xcnt 0x0
	v_cmpx_ne_u32_e32 0x7f, v0
	s_cbranch_execz .LBB232_1496
; %bb.1493:                             ;   in Loop: Header=BB232_10 Depth=1
	scratch_load_b64 v[4:5], off, s32 offset:192 th:TH_LOAD_LU ; 8-byte Folded Reload
	s_wait_loadcnt 0x0
	v_dual_lshrrev_b32 v3, 3, v0 :: v_dual_bitop2_b32 v4, 7, v1 bitop3:0x40
	v_cmp_gt_u32_e64 s1, 8, v0
	s_delay_alu instid0(VALU_DEP_2)
	v_mov_b64_e32 v[0:1], v[4:5]
	s_wait_xcnt 0x0
	s_and_saveexec_b32 s16, s1
; %bb.1494:                             ;   in Loop: Header=BB232_10 Depth=1
	v_clz_i32_u32_e32 v0, v4
	s_delay_alu instid0(VALU_DEP_1) | instskip(NEXT) | instid1(VALU_DEP_1)
	v_min_u32_e32 v3, 32, v0
	v_subrev_nc_u32_e32 v0, 28, v3
	s_delay_alu instid0(VALU_DEP_1) | instskip(NEXT) | instid1(VALU_DEP_1)
	v_lshlrev_b64_e32 v[0:1], v0, v[4:5]
	v_dual_sub_nc_u32 v3, 29, v3 :: v_dual_bitop2_b32 v0, 7, v0 bitop3:0x40
; %bb.1495:                             ;   in Loop: Header=BB232_10 Depth=1
	s_or_b32 exec_lo, exec_lo, s16
	s_delay_alu instid0(VALU_DEP_1) | instskip(NEXT) | instid1(VALU_DEP_2)
	v_dual_lshlrev_b32 v1, 16, v2 :: v_dual_lshlrev_b32 v0, 20, v0
	v_lshl_add_u32 v3, v3, 23, 0x3c000000
	v_mov_b32_e32 v6, v5
	s_delay_alu instid0(VALU_DEP_3) | instskip(NEXT) | instid1(VALU_DEP_1)
	v_and_b32_e32 v1, 0x80000000, v1
	v_or3_b32 v7, v0, v1, v3
	v_mov_b32_e32 v1, v5
	s_clause 0x1
	scratch_store_b64 off, v[6:7], s32 offset:1708
	scratch_store_b64 off, v[0:1], s32 offset:192
.LBB232_1496:                           ;   in Loop: Header=BB232_10 Depth=1
	s_wait_xcnt 0x0
	s_or_b32 exec_lo, exec_lo, s15
.LBB232_1497:                           ;   in Loop: Header=BB232_10 Depth=1
	s_delay_alu instid0(SALU_CYCLE_1)
	s_or_b32 exec_lo, exec_lo, s11
.LBB232_1498:                           ;   in Loop: Header=BB232_10 Depth=1
	s_delay_alu instid0(SALU_CYCLE_1) | instskip(SKIP_3) | instid1(VALU_DEP_1)
	s_or_b32 exec_lo, exec_lo, s4
	v_mov_b64_e32 v[4:5], 0
	v_lshrrev_b32_e32 v3, 16, v2
	s_mov_b32 s4, exec_lo
	v_and_b32_e32 v0, 0xff, v3
	scratch_store_b64 off, v[4:5], s32 offset:1692 ; 8-byte Folded Spill
	s_wait_xcnt 0x0
	v_mov_b64_e32 v[4:5], 0
	scratch_store_b64 off, v[4:5], s32 offset:1700 ; 8-byte Folded Spill
	s_wait_xcnt 0x0
	v_cmpx_ne_u16_e32 0, v0
	s_cbranch_execz .LBB232_1506
; %bb.1499:                             ;   in Loop: Header=BB232_10 Depth=1
	v_cmp_ne_u16_e64 s1, 0x80, v0
	v_mov_b64_e32 v[0:1], 0x80000000
	scratch_store_b64 off, v[0:1], s32 offset:1700 ; 8-byte Folded Spill
	s_wait_xcnt 0x0
	s_and_saveexec_b32 s11, s1
	s_cbranch_execz .LBB232_1505
; %bb.1500:                             ;   in Loop: Header=BB232_10 Depth=1
	v_mov_b64_e32 v[4:5], 0x7f800001
	v_bfe_u32 v0, v2, 16, 7
	s_mov_b32 s15, exec_lo
	scratch_store_b64 off, v[4:5], s32 offset:1700 ; 8-byte Folded Spill
	s_wait_xcnt 0x0
	v_cmpx_ne_u32_e32 0x7f, v0
	s_cbranch_execz .LBB232_1504
; %bb.1501:                             ;   in Loop: Header=BB232_10 Depth=1
	scratch_load_b64 v[6:7], off, s32 offset:192 th:TH_LOAD_LU ; 8-byte Folded Reload
	s_wait_loadcnt 0x0
	v_dual_lshrrev_b32 v4, 3, v0 :: v_dual_bitop2_b32 v6, 7, v3 bitop3:0x40
	v_cmp_gt_u32_e64 s1, 8, v0
	s_delay_alu instid0(VALU_DEP_2)
	v_mov_b64_e32 v[0:1], v[6:7]
	s_wait_xcnt 0x0
	s_and_saveexec_b32 s16, s1
; %bb.1502:                             ;   in Loop: Header=BB232_10 Depth=1
	v_clz_i32_u32_e32 v0, v6
	s_delay_alu instid0(VALU_DEP_1) | instskip(NEXT) | instid1(VALU_DEP_1)
	v_min_u32_e32 v4, 32, v0
	v_subrev_nc_u32_e32 v0, 28, v4
	v_sub_nc_u32_e32 v4, 29, v4
	s_delay_alu instid0(VALU_DEP_2) | instskip(NEXT) | instid1(VALU_DEP_1)
	v_lshlrev_b64_e32 v[0:1], v0, v[6:7]
	v_and_b32_e32 v0, 7, v0
; %bb.1503:                             ;   in Loop: Header=BB232_10 Depth=1
	s_or_b32 exec_lo, exec_lo, s16
	s_delay_alu instid0(VALU_DEP_1) | instskip(SKIP_1) | instid1(VALU_DEP_2)
	v_dual_lshlrev_b32 v1, 24, v3 :: v_dual_lshlrev_b32 v0, 20, v0
	v_lshl_add_u32 v3, v4, 23, 0x3c000000
	v_and_b32_e32 v1, 0x80000000, v1
	s_delay_alu instid0(VALU_DEP_1)
	v_or3_b32 v6, v0, v1, v3
	v_mov_b32_e32 v1, v7
	s_clause 0x1
	scratch_store_b64 off, v[0:1], s32 offset:192
	scratch_store_b64 off, v[6:7], s32 offset:1700
.LBB232_1504:                           ;   in Loop: Header=BB232_10 Depth=1
	s_wait_xcnt 0x0
	s_or_b32 exec_lo, exec_lo, s15
.LBB232_1505:                           ;   in Loop: Header=BB232_10 Depth=1
	s_delay_alu instid0(SALU_CYCLE_1)
	s_or_b32 exec_lo, exec_lo, s11
.LBB232_1506:                           ;   in Loop: Header=BB232_10 Depth=1
	s_delay_alu instid0(SALU_CYCLE_1) | instskip(NEXT) | instid1(SALU_CYCLE_1)
	s_or_b32 exec_lo, exec_lo, s4
	s_mov_b32 s4, exec_lo
	v_cmpx_lt_u32_e32 0xffffff, v2
	s_cbranch_execz .LBB232_1514
; %bb.1507:                             ;   in Loop: Header=BB232_10 Depth=1
	v_mov_b64_e32 v[0:1], 0x8000000000000000
	v_lshrrev_b32_e32 v3, 24, v2
	s_mov_b32 s11, exec_lo
	scratch_store_b64 off, v[0:1], s32 offset:1692 ; 8-byte Folded Spill
	s_wait_xcnt 0x0
	v_cmpx_ne_u32_e32 0x80, v3
	s_cbranch_execz .LBB232_1513
; %bb.1508:                             ;   in Loop: Header=BB232_10 Depth=1
	v_mov_b64_e32 v[4:5], 0x7f80000100000000
	v_bfe_u32 v0, v2, 24, 7
	s_mov_b32 s15, exec_lo
	scratch_store_b64 off, v[4:5], s32 offset:1692 ; 8-byte Folded Spill
	s_wait_xcnt 0x0
	v_cmpx_ne_u32_e32 0x7f, v0
	s_cbranch_execz .LBB232_1512
; %bb.1509:                             ;   in Loop: Header=BB232_10 Depth=1
	scratch_load_b64 v[4:5], off, s32 offset:192 th:TH_LOAD_LU ; 8-byte Folded Reload
	s_wait_loadcnt 0x0
	v_dual_lshrrev_b32 v2, 3, v0 :: v_dual_bitop2_b32 v4, 7, v3 bitop3:0x40
	v_cmp_gt_u32_e64 s1, 8, v0
	s_delay_alu instid0(VALU_DEP_2)
	v_mov_b64_e32 v[0:1], v[4:5]
	s_wait_xcnt 0x0
	s_and_saveexec_b32 s16, s1
; %bb.1510:                             ;   in Loop: Header=BB232_10 Depth=1
	v_clz_i32_u32_e32 v0, v4
	s_delay_alu instid0(VALU_DEP_1) | instskip(NEXT) | instid1(VALU_DEP_1)
	v_min_u32_e32 v2, 32, v0
	v_subrev_nc_u32_e32 v0, 28, v2
	s_delay_alu instid0(VALU_DEP_1) | instskip(NEXT) | instid1(VALU_DEP_1)
	v_lshlrev_b64_e32 v[0:1], v0, v[4:5]
	v_dual_sub_nc_u32 v2, 29, v2 :: v_dual_bitop2_b32 v0, 7, v0 bitop3:0x40
; %bb.1511:                             ;   in Loop: Header=BB232_10 Depth=1
	s_or_b32 exec_lo, exec_lo, s16
	s_delay_alu instid0(VALU_DEP_1) | instskip(NEXT) | instid1(VALU_DEP_2)
	v_dual_lshlrev_b32 v1, 24, v3 :: v_dual_lshlrev_b32 v0, 20, v0
	v_lshl_add_u32 v2, v2, 23, 0x3c000000
	s_delay_alu instid0(VALU_DEP_2) | instskip(NEXT) | instid1(VALU_DEP_1)
	v_and_b32_e32 v1, 0x80000000, v1
	v_or3_b32 v3, v0, v1, v2
	v_dual_mov_b32 v1, v5 :: v_dual_mov_b32 v2, v5
	s_clause 0x1
	scratch_store_b64 off, v[0:1], s32 offset:192
	scratch_store_b64 off, v[2:3], s32 offset:1692
.LBB232_1512:                           ;   in Loop: Header=BB232_10 Depth=1
	s_wait_xcnt 0x0
	s_or_b32 exec_lo, exec_lo, s15
.LBB232_1513:                           ;   in Loop: Header=BB232_10 Depth=1
	s_delay_alu instid0(SALU_CYCLE_1)
	s_or_b32 exec_lo, exec_lo, s11
.LBB232_1514:                           ;   in Loop: Header=BB232_10 Depth=1
	s_delay_alu instid0(SALU_CYCLE_1)
	s_or_b32 exec_lo, exec_lo, s4
	flat_load_b32 v2, v[66:67] offset:5644
	v_mov_b64_e32 v[4:5], 0
	s_mov_b32 s4, exec_lo
	scratch_store_b64 off, v[4:5], s32 offset:1740 ; 8-byte Folded Spill
	s_wait_xcnt 0x0
	v_mov_b64_e32 v[4:5], 0
	scratch_store_b64 off, v[4:5], s32 offset:1716 ; 8-byte Folded Spill
	s_wait_loadcnt_dscnt 0x0
	v_and_b32_e32 v0, 0xff, v2
	s_wait_xcnt 0x0
	s_delay_alu instid0(VALU_DEP_1)
	v_cmpx_ne_u16_e32 0, v0
	s_cbranch_execz .LBB232_1522
; %bb.1515:                             ;   in Loop: Header=BB232_10 Depth=1
	v_cmp_ne_u16_e64 s1, 0x80, v0
	v_mov_b64_e32 v[0:1], 0x80000000
	scratch_store_b64 off, v[0:1], s32 offset:1716 ; 8-byte Folded Spill
	s_wait_xcnt 0x0
	s_and_saveexec_b32 s11, s1
	s_cbranch_execz .LBB232_1521
; %bb.1516:                             ;   in Loop: Header=BB232_10 Depth=1
	v_mov_b64_e32 v[4:5], 0x7f800001
	v_and_b32_e32 v0, 0x7f, v2
	s_mov_b32 s15, exec_lo
	scratch_store_b64 off, v[4:5], s32 offset:1716 ; 8-byte Folded Spill
	s_wait_xcnt 0x0
	v_cmpx_ne_u32_e32 0x7f, v0
	s_cbranch_execz .LBB232_1520
; %bb.1517:                             ;   in Loop: Header=BB232_10 Depth=1
	scratch_load_b64 v[4:5], off, s32 offset:192 th:TH_LOAD_LU ; 8-byte Folded Reload
	s_wait_loadcnt 0x0
	v_dual_lshrrev_b32 v3, 3, v0 :: v_dual_bitop2_b32 v4, 7, v2 bitop3:0x40
	v_cmp_gt_u32_e64 s1, 8, v0
	s_delay_alu instid0(VALU_DEP_2)
	v_mov_b64_e32 v[0:1], v[4:5]
	s_wait_xcnt 0x0
	s_and_saveexec_b32 s16, s1
; %bb.1518:                             ;   in Loop: Header=BB232_10 Depth=1
	v_clz_i32_u32_e32 v0, v4
	s_delay_alu instid0(VALU_DEP_1) | instskip(NEXT) | instid1(VALU_DEP_1)
	v_min_u32_e32 v3, 32, v0
	v_subrev_nc_u32_e32 v0, 28, v3
	s_delay_alu instid0(VALU_DEP_1) | instskip(NEXT) | instid1(VALU_DEP_1)
	v_lshlrev_b64_e32 v[0:1], v0, v[4:5]
	v_dual_sub_nc_u32 v3, 29, v3 :: v_dual_bitop2_b32 v0, 7, v0 bitop3:0x40
; %bb.1519:                             ;   in Loop: Header=BB232_10 Depth=1
	s_or_b32 exec_lo, exec_lo, s16
	s_delay_alu instid0(VALU_DEP_1) | instskip(NEXT) | instid1(VALU_DEP_2)
	v_dual_lshlrev_b32 v1, 24, v2 :: v_dual_lshlrev_b32 v0, 20, v0
	v_lshl_add_u32 v3, v3, 23, 0x3c000000
	s_delay_alu instid0(VALU_DEP_2) | instskip(NEXT) | instid1(VALU_DEP_1)
	v_and_b32_e32 v1, 0x80000000, v1
	v_or3_b32 v4, v0, v1, v3
	v_mov_b32_e32 v1, v5
	s_clause 0x1
	scratch_store_b64 off, v[0:1], s32 offset:192
	scratch_store_b64 off, v[4:5], s32 offset:1716
.LBB232_1520:                           ;   in Loop: Header=BB232_10 Depth=1
	s_wait_xcnt 0x0
	s_or_b32 exec_lo, exec_lo, s15
.LBB232_1521:                           ;   in Loop: Header=BB232_10 Depth=1
	s_delay_alu instid0(SALU_CYCLE_1)
	s_or_b32 exec_lo, exec_lo, s11
.LBB232_1522:                           ;   in Loop: Header=BB232_10 Depth=1
	s_delay_alu instid0(SALU_CYCLE_1) | instskip(SKIP_2) | instid1(VALU_DEP_1)
	s_or_b32 exec_lo, exec_lo, s4
	v_lshrrev_b16 v0, 8, v2
	s_mov_b32 s4, exec_lo
	v_cmpx_ne_u16_e32 0, v0
	s_cbranch_execz .LBB232_1530
; %bb.1523:                             ;   in Loop: Header=BB232_10 Depth=1
	v_mov_b64_e32 v[4:5], 0x8000000000000000
	s_mov_b32 s11, exec_lo
	scratch_store_b64 off, v[4:5], s32 offset:1740 ; 8-byte Folded Spill
	s_wait_xcnt 0x0
	v_cmpx_ne_u16_e32 0x80, v0
	s_cbranch_execz .LBB232_1529
; %bb.1524:                             ;   in Loop: Header=BB232_10 Depth=1
	v_and_b32_e32 v1, 0xffff, v0
	v_mov_b64_e32 v[4:5], 0x7f80000100000000
	s_mov_b32 s15, exec_lo
	s_delay_alu instid0(VALU_DEP_2)
	v_and_b32_e32 v0, 0x7f, v1
	scratch_store_b64 off, v[4:5], s32 offset:1740 ; 8-byte Folded Spill
	s_wait_xcnt 0x0
	v_cmpx_ne_u32_e32 0x7f, v0
	s_cbranch_execz .LBB232_1528
; %bb.1525:                             ;   in Loop: Header=BB232_10 Depth=1
	scratch_load_b64 v[4:5], off, s32 offset:192 th:TH_LOAD_LU ; 8-byte Folded Reload
	s_wait_loadcnt 0x0
	v_dual_lshrrev_b32 v3, 3, v0 :: v_dual_bitop2_b32 v4, 7, v1 bitop3:0x40
	v_cmp_gt_u32_e64 s1, 8, v0
	s_delay_alu instid0(VALU_DEP_2)
	v_mov_b64_e32 v[0:1], v[4:5]
	s_wait_xcnt 0x0
	s_and_saveexec_b32 s16, s1
; %bb.1526:                             ;   in Loop: Header=BB232_10 Depth=1
	v_clz_i32_u32_e32 v0, v4
	s_delay_alu instid0(VALU_DEP_1) | instskip(NEXT) | instid1(VALU_DEP_1)
	v_min_u32_e32 v3, 32, v0
	v_subrev_nc_u32_e32 v0, 28, v3
	s_delay_alu instid0(VALU_DEP_1) | instskip(NEXT) | instid1(VALU_DEP_1)
	v_lshlrev_b64_e32 v[0:1], v0, v[4:5]
	v_dual_sub_nc_u32 v3, 29, v3 :: v_dual_bitop2_b32 v0, 7, v0 bitop3:0x40
; %bb.1527:                             ;   in Loop: Header=BB232_10 Depth=1
	s_or_b32 exec_lo, exec_lo, s16
	s_delay_alu instid0(VALU_DEP_1) | instskip(NEXT) | instid1(VALU_DEP_2)
	v_dual_lshlrev_b32 v1, 16, v2 :: v_dual_lshlrev_b32 v0, 20, v0
	v_lshl_add_u32 v3, v3, 23, 0x3c000000
	v_mov_b32_e32 v6, v5
	s_delay_alu instid0(VALU_DEP_3) | instskip(NEXT) | instid1(VALU_DEP_1)
	v_and_b32_e32 v1, 0x80000000, v1
	v_or3_b32 v7, v0, v1, v3
	v_mov_b32_e32 v1, v5
	s_clause 0x1
	scratch_store_b64 off, v[6:7], s32 offset:1740
	scratch_store_b64 off, v[0:1], s32 offset:192
.LBB232_1528:                           ;   in Loop: Header=BB232_10 Depth=1
	s_wait_xcnt 0x0
	s_or_b32 exec_lo, exec_lo, s15
.LBB232_1529:                           ;   in Loop: Header=BB232_10 Depth=1
	s_delay_alu instid0(SALU_CYCLE_1)
	s_or_b32 exec_lo, exec_lo, s11
.LBB232_1530:                           ;   in Loop: Header=BB232_10 Depth=1
	s_delay_alu instid0(SALU_CYCLE_1) | instskip(SKIP_3) | instid1(VALU_DEP_1)
	s_or_b32 exec_lo, exec_lo, s4
	v_mov_b64_e32 v[4:5], 0
	v_lshrrev_b32_e32 v3, 16, v2
	s_mov_b32 s4, exec_lo
	v_and_b32_e32 v0, 0xff, v3
	scratch_store_b64 off, v[4:5], s32 offset:1724 ; 8-byte Folded Spill
	s_wait_xcnt 0x0
	v_mov_b64_e32 v[4:5], 0
	scratch_store_b64 off, v[4:5], s32 offset:1732 ; 8-byte Folded Spill
	s_wait_xcnt 0x0
	v_cmpx_ne_u16_e32 0, v0
	s_cbranch_execz .LBB232_1538
; %bb.1531:                             ;   in Loop: Header=BB232_10 Depth=1
	v_cmp_ne_u16_e64 s1, 0x80, v0
	v_mov_b64_e32 v[0:1], 0x80000000
	scratch_store_b64 off, v[0:1], s32 offset:1732 ; 8-byte Folded Spill
	s_wait_xcnt 0x0
	s_and_saveexec_b32 s11, s1
	s_cbranch_execz .LBB232_1537
; %bb.1532:                             ;   in Loop: Header=BB232_10 Depth=1
	v_mov_b64_e32 v[4:5], 0x7f800001
	v_bfe_u32 v0, v2, 16, 7
	s_mov_b32 s15, exec_lo
	scratch_store_b64 off, v[4:5], s32 offset:1732 ; 8-byte Folded Spill
	s_wait_xcnt 0x0
	v_cmpx_ne_u32_e32 0x7f, v0
	s_cbranch_execz .LBB232_1536
; %bb.1533:                             ;   in Loop: Header=BB232_10 Depth=1
	scratch_load_b64 v[6:7], off, s32 offset:192 th:TH_LOAD_LU ; 8-byte Folded Reload
	s_wait_loadcnt 0x0
	v_dual_lshrrev_b32 v4, 3, v0 :: v_dual_bitop2_b32 v6, 7, v3 bitop3:0x40
	v_cmp_gt_u32_e64 s1, 8, v0
	s_delay_alu instid0(VALU_DEP_2)
	v_mov_b64_e32 v[0:1], v[6:7]
	s_wait_xcnt 0x0
	s_and_saveexec_b32 s16, s1
; %bb.1534:                             ;   in Loop: Header=BB232_10 Depth=1
	v_clz_i32_u32_e32 v0, v6
	s_delay_alu instid0(VALU_DEP_1) | instskip(NEXT) | instid1(VALU_DEP_1)
	v_min_u32_e32 v4, 32, v0
	v_subrev_nc_u32_e32 v0, 28, v4
	v_sub_nc_u32_e32 v4, 29, v4
	s_delay_alu instid0(VALU_DEP_2) | instskip(NEXT) | instid1(VALU_DEP_1)
	v_lshlrev_b64_e32 v[0:1], v0, v[6:7]
	v_and_b32_e32 v0, 7, v0
; %bb.1535:                             ;   in Loop: Header=BB232_10 Depth=1
	s_or_b32 exec_lo, exec_lo, s16
	s_delay_alu instid0(VALU_DEP_1) | instskip(SKIP_1) | instid1(VALU_DEP_2)
	v_dual_lshlrev_b32 v1, 24, v3 :: v_dual_lshlrev_b32 v0, 20, v0
	v_lshl_add_u32 v3, v4, 23, 0x3c000000
	v_and_b32_e32 v1, 0x80000000, v1
	s_delay_alu instid0(VALU_DEP_1)
	v_or3_b32 v6, v0, v1, v3
	v_mov_b32_e32 v1, v7
	s_clause 0x1
	scratch_store_b64 off, v[0:1], s32 offset:192
	scratch_store_b64 off, v[6:7], s32 offset:1732
.LBB232_1536:                           ;   in Loop: Header=BB232_10 Depth=1
	s_wait_xcnt 0x0
	s_or_b32 exec_lo, exec_lo, s15
.LBB232_1537:                           ;   in Loop: Header=BB232_10 Depth=1
	s_delay_alu instid0(SALU_CYCLE_1)
	s_or_b32 exec_lo, exec_lo, s11
.LBB232_1538:                           ;   in Loop: Header=BB232_10 Depth=1
	s_delay_alu instid0(SALU_CYCLE_1) | instskip(NEXT) | instid1(SALU_CYCLE_1)
	s_or_b32 exec_lo, exec_lo, s4
	s_mov_b32 s4, exec_lo
	v_cmpx_lt_u32_e32 0xffffff, v2
	s_cbranch_execz .LBB232_1546
; %bb.1539:                             ;   in Loop: Header=BB232_10 Depth=1
	v_mov_b64_e32 v[0:1], 0x8000000000000000
	v_lshrrev_b32_e32 v3, 24, v2
	s_mov_b32 s11, exec_lo
	scratch_store_b64 off, v[0:1], s32 offset:1724 ; 8-byte Folded Spill
	s_wait_xcnt 0x0
	v_cmpx_ne_u32_e32 0x80, v3
	s_cbranch_execz .LBB232_1545
; %bb.1540:                             ;   in Loop: Header=BB232_10 Depth=1
	v_mov_b64_e32 v[4:5], 0x7f80000100000000
	v_bfe_u32 v0, v2, 24, 7
	s_mov_b32 s15, exec_lo
	scratch_store_b64 off, v[4:5], s32 offset:1724 ; 8-byte Folded Spill
	s_wait_xcnt 0x0
	v_cmpx_ne_u32_e32 0x7f, v0
	s_cbranch_execz .LBB232_1544
; %bb.1541:                             ;   in Loop: Header=BB232_10 Depth=1
	scratch_load_b64 v[4:5], off, s32 offset:192 th:TH_LOAD_LU ; 8-byte Folded Reload
	s_wait_loadcnt 0x0
	v_dual_lshrrev_b32 v2, 3, v0 :: v_dual_bitop2_b32 v4, 7, v3 bitop3:0x40
	v_cmp_gt_u32_e64 s1, 8, v0
	s_delay_alu instid0(VALU_DEP_2)
	v_mov_b64_e32 v[0:1], v[4:5]
	s_wait_xcnt 0x0
	s_and_saveexec_b32 s16, s1
; %bb.1542:                             ;   in Loop: Header=BB232_10 Depth=1
	v_clz_i32_u32_e32 v0, v4
	s_delay_alu instid0(VALU_DEP_1) | instskip(NEXT) | instid1(VALU_DEP_1)
	v_min_u32_e32 v2, 32, v0
	v_subrev_nc_u32_e32 v0, 28, v2
	s_delay_alu instid0(VALU_DEP_1) | instskip(NEXT) | instid1(VALU_DEP_1)
	v_lshlrev_b64_e32 v[0:1], v0, v[4:5]
	v_dual_sub_nc_u32 v2, 29, v2 :: v_dual_bitop2_b32 v0, 7, v0 bitop3:0x40
; %bb.1543:                             ;   in Loop: Header=BB232_10 Depth=1
	s_or_b32 exec_lo, exec_lo, s16
	s_delay_alu instid0(VALU_DEP_1) | instskip(NEXT) | instid1(VALU_DEP_2)
	v_dual_lshlrev_b32 v1, 24, v3 :: v_dual_lshlrev_b32 v0, 20, v0
	v_lshl_add_u32 v2, v2, 23, 0x3c000000
	s_delay_alu instid0(VALU_DEP_2) | instskip(NEXT) | instid1(VALU_DEP_1)
	v_and_b32_e32 v1, 0x80000000, v1
	v_or3_b32 v3, v0, v1, v2
	v_dual_mov_b32 v1, v5 :: v_dual_mov_b32 v2, v5
	s_clause 0x1
	scratch_store_b64 off, v[0:1], s32 offset:192
	scratch_store_b64 off, v[2:3], s32 offset:1724
.LBB232_1544:                           ;   in Loop: Header=BB232_10 Depth=1
	s_wait_xcnt 0x0
	s_or_b32 exec_lo, exec_lo, s15
.LBB232_1545:                           ;   in Loop: Header=BB232_10 Depth=1
	s_delay_alu instid0(SALU_CYCLE_1)
	s_or_b32 exec_lo, exec_lo, s11
.LBB232_1546:                           ;   in Loop: Header=BB232_10 Depth=1
	s_delay_alu instid0(SALU_CYCLE_1)
	s_or_b32 exec_lo, exec_lo, s4
	flat_load_b32 v2, v[66:67] offset:6144
	v_mov_b64_e32 v[4:5], 0
	s_mov_b32 s4, exec_lo
	scratch_store_b64 off, v[4:5], s32 offset:1756 ; 8-byte Folded Spill
	s_wait_xcnt 0x0
	v_mov_b64_e32 v[4:5], 0
	scratch_store_b64 off, v[4:5], s32 offset:1764 ; 8-byte Folded Spill
	s_wait_loadcnt_dscnt 0x0
	v_and_b32_e32 v0, 0xff, v2
	s_wait_xcnt 0x0
	s_delay_alu instid0(VALU_DEP_1)
	v_cmpx_ne_u16_e32 0, v0
	s_cbranch_execz .LBB232_1554
; %bb.1547:                             ;   in Loop: Header=BB232_10 Depth=1
	v_cmp_ne_u16_e64 s1, 0x80, v0
	v_mov_b64_e32 v[0:1], 0x80000000
	scratch_store_b64 off, v[0:1], s32 offset:1764 ; 8-byte Folded Spill
	s_wait_xcnt 0x0
	s_and_saveexec_b32 s11, s1
	s_cbranch_execz .LBB232_1553
; %bb.1548:                             ;   in Loop: Header=BB232_10 Depth=1
	v_mov_b64_e32 v[4:5], 0x7f800001
	v_and_b32_e32 v0, 0x7f, v2
	s_mov_b32 s15, exec_lo
	scratch_store_b64 off, v[4:5], s32 offset:1764 ; 8-byte Folded Spill
	s_wait_xcnt 0x0
	v_cmpx_ne_u32_e32 0x7f, v0
	s_cbranch_execz .LBB232_1552
; %bb.1549:                             ;   in Loop: Header=BB232_10 Depth=1
	scratch_load_b64 v[4:5], off, s32 offset:192 th:TH_LOAD_LU ; 8-byte Folded Reload
	s_wait_loadcnt 0x0
	v_dual_lshrrev_b32 v3, 3, v0 :: v_dual_bitop2_b32 v4, 7, v2 bitop3:0x40
	v_cmp_gt_u32_e64 s1, 8, v0
	s_delay_alu instid0(VALU_DEP_2)
	v_mov_b64_e32 v[0:1], v[4:5]
	s_wait_xcnt 0x0
	s_and_saveexec_b32 s16, s1
; %bb.1550:                             ;   in Loop: Header=BB232_10 Depth=1
	v_clz_i32_u32_e32 v0, v4
	s_delay_alu instid0(VALU_DEP_1) | instskip(NEXT) | instid1(VALU_DEP_1)
	v_min_u32_e32 v3, 32, v0
	v_subrev_nc_u32_e32 v0, 28, v3
	s_delay_alu instid0(VALU_DEP_1) | instskip(NEXT) | instid1(VALU_DEP_1)
	v_lshlrev_b64_e32 v[0:1], v0, v[4:5]
	v_dual_sub_nc_u32 v3, 29, v3 :: v_dual_bitop2_b32 v0, 7, v0 bitop3:0x40
; %bb.1551:                             ;   in Loop: Header=BB232_10 Depth=1
	s_or_b32 exec_lo, exec_lo, s16
	s_delay_alu instid0(VALU_DEP_1) | instskip(NEXT) | instid1(VALU_DEP_2)
	v_dual_lshlrev_b32 v1, 24, v2 :: v_dual_lshlrev_b32 v0, 20, v0
	v_lshl_add_u32 v3, v3, 23, 0x3c000000
	s_delay_alu instid0(VALU_DEP_2) | instskip(NEXT) | instid1(VALU_DEP_1)
	v_and_b32_e32 v1, 0x80000000, v1
	v_or3_b32 v4, v0, v1, v3
	v_mov_b32_e32 v1, v5
	s_clause 0x1
	scratch_store_b64 off, v[0:1], s32 offset:192
	scratch_store_b64 off, v[4:5], s32 offset:1764
.LBB232_1552:                           ;   in Loop: Header=BB232_10 Depth=1
	s_wait_xcnt 0x0
	s_or_b32 exec_lo, exec_lo, s15
.LBB232_1553:                           ;   in Loop: Header=BB232_10 Depth=1
	s_delay_alu instid0(SALU_CYCLE_1)
	s_or_b32 exec_lo, exec_lo, s11
.LBB232_1554:                           ;   in Loop: Header=BB232_10 Depth=1
	s_delay_alu instid0(SALU_CYCLE_1) | instskip(SKIP_2) | instid1(VALU_DEP_1)
	s_or_b32 exec_lo, exec_lo, s4
	v_lshrrev_b16 v0, 8, v2
	s_mov_b32 s4, exec_lo
	v_cmpx_ne_u16_e32 0, v0
	s_cbranch_execz .LBB232_1562
; %bb.1555:                             ;   in Loop: Header=BB232_10 Depth=1
	v_mov_b64_e32 v[4:5], 0x8000000000000000
	s_mov_b32 s11, exec_lo
	scratch_store_b64 off, v[4:5], s32 offset:1756 ; 8-byte Folded Spill
	s_wait_xcnt 0x0
	v_cmpx_ne_u16_e32 0x80, v0
	s_cbranch_execz .LBB232_1561
; %bb.1556:                             ;   in Loop: Header=BB232_10 Depth=1
	v_and_b32_e32 v1, 0xffff, v0
	v_mov_b64_e32 v[4:5], 0x7f80000100000000
	s_mov_b32 s15, exec_lo
	s_delay_alu instid0(VALU_DEP_2)
	v_and_b32_e32 v0, 0x7f, v1
	scratch_store_b64 off, v[4:5], s32 offset:1756 ; 8-byte Folded Spill
	s_wait_xcnt 0x0
	v_cmpx_ne_u32_e32 0x7f, v0
	s_cbranch_execz .LBB232_1560
; %bb.1557:                             ;   in Loop: Header=BB232_10 Depth=1
	scratch_load_b64 v[4:5], off, s32 offset:192 th:TH_LOAD_LU ; 8-byte Folded Reload
	s_wait_loadcnt 0x0
	v_dual_lshrrev_b32 v3, 3, v0 :: v_dual_bitop2_b32 v4, 7, v1 bitop3:0x40
	v_cmp_gt_u32_e64 s1, 8, v0
	s_delay_alu instid0(VALU_DEP_2)
	v_mov_b64_e32 v[0:1], v[4:5]
	s_wait_xcnt 0x0
	s_and_saveexec_b32 s16, s1
; %bb.1558:                             ;   in Loop: Header=BB232_10 Depth=1
	v_clz_i32_u32_e32 v0, v4
	s_delay_alu instid0(VALU_DEP_1) | instskip(NEXT) | instid1(VALU_DEP_1)
	v_min_u32_e32 v3, 32, v0
	v_subrev_nc_u32_e32 v0, 28, v3
	s_delay_alu instid0(VALU_DEP_1) | instskip(NEXT) | instid1(VALU_DEP_1)
	v_lshlrev_b64_e32 v[0:1], v0, v[4:5]
	v_dual_sub_nc_u32 v3, 29, v3 :: v_dual_bitop2_b32 v0, 7, v0 bitop3:0x40
; %bb.1559:                             ;   in Loop: Header=BB232_10 Depth=1
	s_or_b32 exec_lo, exec_lo, s16
	s_delay_alu instid0(VALU_DEP_1) | instskip(NEXT) | instid1(VALU_DEP_2)
	v_dual_lshlrev_b32 v1, 16, v2 :: v_dual_lshlrev_b32 v0, 20, v0
	v_lshl_add_u32 v3, v3, 23, 0x3c000000
	v_mov_b32_e32 v6, v5
	s_delay_alu instid0(VALU_DEP_3) | instskip(NEXT) | instid1(VALU_DEP_1)
	v_and_b32_e32 v1, 0x80000000, v1
	v_or3_b32 v7, v0, v1, v3
	v_mov_b32_e32 v1, v5
	s_clause 0x1
	scratch_store_b64 off, v[6:7], s32 offset:1756
	scratch_store_b64 off, v[0:1], s32 offset:192
.LBB232_1560:                           ;   in Loop: Header=BB232_10 Depth=1
	s_wait_xcnt 0x0
	s_or_b32 exec_lo, exec_lo, s15
.LBB232_1561:                           ;   in Loop: Header=BB232_10 Depth=1
	s_delay_alu instid0(SALU_CYCLE_1)
	s_or_b32 exec_lo, exec_lo, s11
.LBB232_1562:                           ;   in Loop: Header=BB232_10 Depth=1
	s_delay_alu instid0(SALU_CYCLE_1) | instskip(SKIP_3) | instid1(VALU_DEP_1)
	s_or_b32 exec_lo, exec_lo, s4
	v_mov_b64_e32 v[4:5], 0
	v_lshrrev_b32_e32 v3, 16, v2
	s_mov_b32 s4, exec_lo
	v_and_b32_e32 v0, 0xff, v3
	scratch_store_b64 off, v[4:5], s32 offset:1780 ; 8-byte Folded Spill
	s_wait_xcnt 0x0
	v_mov_b64_e32 v[4:5], 0
	scratch_store_b64 off, v[4:5], s32 offset:1748 ; 8-byte Folded Spill
	s_wait_xcnt 0x0
	v_cmpx_ne_u16_e32 0, v0
	s_cbranch_execz .LBB232_1570
; %bb.1563:                             ;   in Loop: Header=BB232_10 Depth=1
	v_cmp_ne_u16_e64 s1, 0x80, v0
	v_mov_b64_e32 v[0:1], 0x80000000
	scratch_store_b64 off, v[0:1], s32 offset:1748 ; 8-byte Folded Spill
	s_wait_xcnt 0x0
	s_and_saveexec_b32 s11, s1
	s_cbranch_execz .LBB232_1569
; %bb.1564:                             ;   in Loop: Header=BB232_10 Depth=1
	v_mov_b64_e32 v[4:5], 0x7f800001
	v_bfe_u32 v0, v2, 16, 7
	s_mov_b32 s15, exec_lo
	scratch_store_b64 off, v[4:5], s32 offset:1748 ; 8-byte Folded Spill
	s_wait_xcnt 0x0
	v_cmpx_ne_u32_e32 0x7f, v0
	s_cbranch_execz .LBB232_1568
; %bb.1565:                             ;   in Loop: Header=BB232_10 Depth=1
	scratch_load_b64 v[6:7], off, s32 offset:192 th:TH_LOAD_LU ; 8-byte Folded Reload
	s_wait_loadcnt 0x0
	v_dual_lshrrev_b32 v4, 3, v0 :: v_dual_bitop2_b32 v6, 7, v3 bitop3:0x40
	v_cmp_gt_u32_e64 s1, 8, v0
	s_delay_alu instid0(VALU_DEP_2)
	v_mov_b64_e32 v[0:1], v[6:7]
	s_wait_xcnt 0x0
	s_and_saveexec_b32 s16, s1
; %bb.1566:                             ;   in Loop: Header=BB232_10 Depth=1
	v_clz_i32_u32_e32 v0, v6
	s_delay_alu instid0(VALU_DEP_1) | instskip(NEXT) | instid1(VALU_DEP_1)
	v_min_u32_e32 v4, 32, v0
	v_subrev_nc_u32_e32 v0, 28, v4
	v_sub_nc_u32_e32 v4, 29, v4
	s_delay_alu instid0(VALU_DEP_2) | instskip(NEXT) | instid1(VALU_DEP_1)
	v_lshlrev_b64_e32 v[0:1], v0, v[6:7]
	v_and_b32_e32 v0, 7, v0
; %bb.1567:                             ;   in Loop: Header=BB232_10 Depth=1
	s_or_b32 exec_lo, exec_lo, s16
	s_delay_alu instid0(VALU_DEP_1) | instskip(SKIP_1) | instid1(VALU_DEP_2)
	v_dual_lshlrev_b32 v1, 24, v3 :: v_dual_lshlrev_b32 v0, 20, v0
	v_lshl_add_u32 v3, v4, 23, 0x3c000000
	v_and_b32_e32 v1, 0x80000000, v1
	s_delay_alu instid0(VALU_DEP_1)
	v_or3_b32 v6, v0, v1, v3
	v_mov_b32_e32 v1, v7
	s_clause 0x1
	scratch_store_b64 off, v[0:1], s32 offset:192
	scratch_store_b64 off, v[6:7], s32 offset:1748
.LBB232_1568:                           ;   in Loop: Header=BB232_10 Depth=1
	s_wait_xcnt 0x0
	s_or_b32 exec_lo, exec_lo, s15
.LBB232_1569:                           ;   in Loop: Header=BB232_10 Depth=1
	s_delay_alu instid0(SALU_CYCLE_1)
	s_or_b32 exec_lo, exec_lo, s11
.LBB232_1570:                           ;   in Loop: Header=BB232_10 Depth=1
	s_delay_alu instid0(SALU_CYCLE_1) | instskip(NEXT) | instid1(SALU_CYCLE_1)
	s_or_b32 exec_lo, exec_lo, s4
	s_mov_b32 s4, exec_lo
	v_cmpx_lt_u32_e32 0xffffff, v2
	s_cbranch_execz .LBB232_1578
; %bb.1571:                             ;   in Loop: Header=BB232_10 Depth=1
	v_mov_b64_e32 v[0:1], 0x8000000000000000
	v_lshrrev_b32_e32 v3, 24, v2
	s_mov_b32 s11, exec_lo
	scratch_store_b64 off, v[0:1], s32 offset:1780 ; 8-byte Folded Spill
	s_wait_xcnt 0x0
	v_cmpx_ne_u32_e32 0x80, v3
	s_cbranch_execz .LBB232_1577
; %bb.1572:                             ;   in Loop: Header=BB232_10 Depth=1
	v_mov_b64_e32 v[4:5], 0x7f80000100000000
	v_bfe_u32 v0, v2, 24, 7
	s_mov_b32 s15, exec_lo
	scratch_store_b64 off, v[4:5], s32 offset:1780 ; 8-byte Folded Spill
	s_wait_xcnt 0x0
	v_cmpx_ne_u32_e32 0x7f, v0
	s_cbranch_execz .LBB232_1576
; %bb.1573:                             ;   in Loop: Header=BB232_10 Depth=1
	scratch_load_b64 v[4:5], off, s32 offset:192 th:TH_LOAD_LU ; 8-byte Folded Reload
	s_wait_loadcnt 0x0
	v_dual_lshrrev_b32 v2, 3, v0 :: v_dual_bitop2_b32 v4, 7, v3 bitop3:0x40
	v_cmp_gt_u32_e64 s1, 8, v0
	s_delay_alu instid0(VALU_DEP_2)
	v_mov_b64_e32 v[0:1], v[4:5]
	s_wait_xcnt 0x0
	s_and_saveexec_b32 s16, s1
; %bb.1574:                             ;   in Loop: Header=BB232_10 Depth=1
	v_clz_i32_u32_e32 v0, v4
	s_delay_alu instid0(VALU_DEP_1) | instskip(NEXT) | instid1(VALU_DEP_1)
	v_min_u32_e32 v2, 32, v0
	v_subrev_nc_u32_e32 v0, 28, v2
	s_delay_alu instid0(VALU_DEP_1) | instskip(NEXT) | instid1(VALU_DEP_1)
	v_lshlrev_b64_e32 v[0:1], v0, v[4:5]
	v_dual_sub_nc_u32 v2, 29, v2 :: v_dual_bitop2_b32 v0, 7, v0 bitop3:0x40
; %bb.1575:                             ;   in Loop: Header=BB232_10 Depth=1
	s_or_b32 exec_lo, exec_lo, s16
	s_delay_alu instid0(VALU_DEP_1) | instskip(NEXT) | instid1(VALU_DEP_2)
	v_dual_lshlrev_b32 v1, 24, v3 :: v_dual_lshlrev_b32 v0, 20, v0
	v_lshl_add_u32 v2, v2, 23, 0x3c000000
	s_delay_alu instid0(VALU_DEP_2) | instskip(NEXT) | instid1(VALU_DEP_1)
	v_and_b32_e32 v1, 0x80000000, v1
	v_or3_b32 v3, v0, v1, v2
	v_dual_mov_b32 v1, v5 :: v_dual_mov_b32 v2, v5
	s_clause 0x1
	scratch_store_b64 off, v[0:1], s32 offset:192
	scratch_store_b64 off, v[2:3], s32 offset:1780
.LBB232_1576:                           ;   in Loop: Header=BB232_10 Depth=1
	s_wait_xcnt 0x0
	s_or_b32 exec_lo, exec_lo, s15
.LBB232_1577:                           ;   in Loop: Header=BB232_10 Depth=1
	s_delay_alu instid0(SALU_CYCLE_1)
	s_or_b32 exec_lo, exec_lo, s11
.LBB232_1578:                           ;   in Loop: Header=BB232_10 Depth=1
	s_delay_alu instid0(SALU_CYCLE_1)
	s_or_b32 exec_lo, exec_lo, s4
	flat_load_b32 v2, v[66:67] offset:6148
	v_mov_b64_e32 v[110:111], 0
	v_mov_b64_e32 v[4:5], 0
	s_mov_b32 s4, exec_lo
	scratch_store_b64 off, v[4:5], s32 offset:1772 ; 8-byte Folded Spill
	s_wait_loadcnt_dscnt 0x0
	v_and_b32_e32 v0, 0xff, v2
	s_wait_xcnt 0x0
	s_delay_alu instid0(VALU_DEP_1)
	v_cmpx_ne_u16_e32 0, v0
	s_cbranch_execz .LBB232_1586
; %bb.1579:                             ;   in Loop: Header=BB232_10 Depth=1
	v_cmp_ne_u16_e64 s1, 0x80, v0
	v_mov_b64_e32 v[0:1], 0x80000000
	scratch_store_b64 off, v[0:1], s32 offset:1772 ; 8-byte Folded Spill
	s_wait_xcnt 0x0
	s_and_saveexec_b32 s11, s1
	s_cbranch_execz .LBB232_1585
; %bb.1580:                             ;   in Loop: Header=BB232_10 Depth=1
	v_mov_b64_e32 v[4:5], 0x7f800001
	v_and_b32_e32 v0, 0x7f, v2
	s_mov_b32 s15, exec_lo
	scratch_store_b64 off, v[4:5], s32 offset:1772 ; 8-byte Folded Spill
	s_wait_xcnt 0x0
	v_cmpx_ne_u32_e32 0x7f, v0
	s_cbranch_execz .LBB232_1584
; %bb.1581:                             ;   in Loop: Header=BB232_10 Depth=1
	scratch_load_b64 v[100:101], off, s32 offset:192 th:TH_LOAD_LU ; 8-byte Folded Reload
	s_wait_loadcnt 0x0
	v_dual_lshrrev_b32 v3, 3, v0 :: v_dual_bitop2_b32 v100, 7, v2 bitop3:0x40
	v_cmp_gt_u32_e64 s1, 8, v0
	s_delay_alu instid0(VALU_DEP_2)
	v_mov_b64_e32 v[0:1], v[100:101]
	s_wait_xcnt 0x0
	s_and_saveexec_b32 s16, s1
; %bb.1582:                             ;   in Loop: Header=BB232_10 Depth=1
	v_clz_i32_u32_e32 v0, v100
	s_delay_alu instid0(VALU_DEP_1) | instskip(NEXT) | instid1(VALU_DEP_1)
	v_min_u32_e32 v3, 32, v0
	v_subrev_nc_u32_e32 v0, 28, v3
	s_delay_alu instid0(VALU_DEP_1) | instskip(NEXT) | instid1(VALU_DEP_1)
	v_lshlrev_b64_e32 v[0:1], v0, v[100:101]
	v_dual_sub_nc_u32 v3, 29, v3 :: v_dual_bitop2_b32 v0, 7, v0 bitop3:0x40
; %bb.1583:                             ;   in Loop: Header=BB232_10 Depth=1
	s_or_b32 exec_lo, exec_lo, s16
	s_delay_alu instid0(VALU_DEP_1) | instskip(NEXT) | instid1(VALU_DEP_2)
	v_dual_lshlrev_b32 v1, 24, v2 :: v_dual_lshlrev_b32 v0, 20, v0
	v_lshl_add_u32 v3, v3, 23, 0x3c000000
	s_delay_alu instid0(VALU_DEP_2) | instskip(NEXT) | instid1(VALU_DEP_1)
	v_and_b32_e32 v1, 0x80000000, v1
	v_or3_b32 v100, v0, v1, v3
	v_mov_b32_e32 v1, v101
	s_clause 0x1
	scratch_store_b64 off, v[0:1], s32 offset:192
	scratch_store_b64 off, v[100:101], s32 offset:1772
.LBB232_1584:                           ;   in Loop: Header=BB232_10 Depth=1
	s_wait_xcnt 0x0
	s_or_b32 exec_lo, exec_lo, s15
.LBB232_1585:                           ;   in Loop: Header=BB232_10 Depth=1
	s_delay_alu instid0(SALU_CYCLE_1)
	s_or_b32 exec_lo, exec_lo, s11
.LBB232_1586:                           ;   in Loop: Header=BB232_10 Depth=1
	s_delay_alu instid0(SALU_CYCLE_1) | instskip(SKIP_2) | instid1(VALU_DEP_1)
	s_or_b32 exec_lo, exec_lo, s4
	v_lshrrev_b16 v0, 8, v2
	s_mov_b32 s4, exec_lo
	v_cmpx_ne_u16_e32 0, v0
	s_cbranch_execz .LBB232_1594
; %bb.1587:                             ;   in Loop: Header=BB232_10 Depth=1
	v_mov_b64_e32 v[110:111], 0x8000000000000000
	s_mov_b32 s11, exec_lo
	v_cmpx_ne_u16_e32 0x80, v0
	s_cbranch_execz .LBB232_1593
; %bb.1588:                             ;   in Loop: Header=BB232_10 Depth=1
	v_and_b32_e32 v1, 0xffff, v0
	v_mov_b64_e32 v[110:111], 0x7f80000100000000
	s_mov_b32 s15, exec_lo
	s_delay_alu instid0(VALU_DEP_2) | instskip(NEXT) | instid1(VALU_DEP_1)
	v_and_b32_e32 v0, 0x7f, v1
	v_cmpx_ne_u32_e32 0x7f, v0
	s_cbranch_execz .LBB232_1592
; %bb.1589:                             ;   in Loop: Header=BB232_10 Depth=1
	scratch_load_b64 v[4:5], off, s32 offset:192 th:TH_LOAD_LU ; 8-byte Folded Reload
	s_wait_loadcnt 0x0
	v_dual_lshrrev_b32 v3, 3, v0 :: v_dual_bitop2_b32 v4, 7, v1 bitop3:0x40
	v_cmp_gt_u32_e64 s1, 8, v0
	s_delay_alu instid0(VALU_DEP_2)
	v_mov_b64_e32 v[0:1], v[4:5]
	s_wait_xcnt 0x0
	s_and_saveexec_b32 s16, s1
; %bb.1590:                             ;   in Loop: Header=BB232_10 Depth=1
	v_clz_i32_u32_e32 v0, v4
	s_delay_alu instid0(VALU_DEP_1) | instskip(NEXT) | instid1(VALU_DEP_1)
	v_min_u32_e32 v3, 32, v0
	v_subrev_nc_u32_e32 v0, 28, v3
	s_delay_alu instid0(VALU_DEP_1) | instskip(NEXT) | instid1(VALU_DEP_1)
	v_lshlrev_b64_e32 v[0:1], v0, v[4:5]
	v_dual_sub_nc_u32 v3, 29, v3 :: v_dual_bitop2_b32 v0, 7, v0 bitop3:0x40
; %bb.1591:                             ;   in Loop: Header=BB232_10 Depth=1
	s_or_b32 exec_lo, exec_lo, s16
	s_delay_alu instid0(VALU_DEP_1) | instskip(NEXT) | instid1(VALU_DEP_2)
	v_dual_lshlrev_b32 v1, 16, v2 :: v_dual_lshlrev_b32 v0, 20, v0
	v_lshl_add_u32 v3, v3, 23, 0x3c000000
	v_mov_b32_e32 v110, v5
	s_delay_alu instid0(VALU_DEP_3) | instskip(NEXT) | instid1(VALU_DEP_1)
	v_and_b32_e32 v1, 0x80000000, v1
	v_or3_b32 v111, v0, v1, v3
	v_mov_b32_e32 v1, v5
	scratch_store_b64 off, v[0:1], s32 offset:192 ; 8-byte Folded Spill
.LBB232_1592:                           ;   in Loop: Header=BB232_10 Depth=1
	s_wait_xcnt 0x0
	s_or_b32 exec_lo, exec_lo, s15
.LBB232_1593:                           ;   in Loop: Header=BB232_10 Depth=1
	s_delay_alu instid0(SALU_CYCLE_1)
	s_or_b32 exec_lo, exec_lo, s11
.LBB232_1594:                           ;   in Loop: Header=BB232_10 Depth=1
	s_delay_alu instid0(SALU_CYCLE_1) | instskip(SKIP_4) | instid1(VALU_DEP_3)
	s_or_b32 exec_lo, exec_lo, s4
	v_lshrrev_b32_e32 v3, 16, v2
	v_mov_b64_e32 v[106:107], 0
	v_mov_b64_e32 v[124:125], 0
	s_mov_b32 s4, exec_lo
	v_and_b32_e32 v0, 0xff, v3
	s_delay_alu instid0(VALU_DEP_1)
	v_cmpx_ne_u16_e32 0, v0
	s_cbranch_execz .LBB232_1602
; %bb.1595:                             ;   in Loop: Header=BB232_10 Depth=1
	v_mov_b64_e32 v[124:125], 0x80000000
	s_mov_b32 s11, exec_lo
	v_cmpx_ne_u16_e32 0x80, v0
	s_cbranch_execz .LBB232_1601
; %bb.1596:                             ;   in Loop: Header=BB232_10 Depth=1
	v_mov_b64_e32 v[124:125], 0x7f800001
	v_bfe_u32 v0, v2, 16, 7
	s_mov_b32 s15, exec_lo
	s_delay_alu instid0(VALU_DEP_1)
	v_cmpx_ne_u32_e32 0x7f, v0
	s_cbranch_execz .LBB232_1600
; %bb.1597:                             ;   in Loop: Header=BB232_10 Depth=1
	scratch_load_b64 v[124:125], off, s32 offset:192 th:TH_LOAD_LU ; 8-byte Folded Reload
	s_wait_loadcnt 0x0
	v_dual_lshrrev_b32 v4, 3, v0 :: v_dual_bitop2_b32 v124, 7, v3 bitop3:0x40
	v_cmp_gt_u32_e64 s1, 8, v0
	s_delay_alu instid0(VALU_DEP_2)
	v_mov_b64_e32 v[0:1], v[124:125]
	s_wait_xcnt 0x0
	s_and_saveexec_b32 s16, s1
; %bb.1598:                             ;   in Loop: Header=BB232_10 Depth=1
	v_clz_i32_u32_e32 v0, v124
	s_delay_alu instid0(VALU_DEP_1) | instskip(NEXT) | instid1(VALU_DEP_1)
	v_min_u32_e32 v4, 32, v0
	v_subrev_nc_u32_e32 v0, 28, v4
	v_sub_nc_u32_e32 v4, 29, v4
	s_delay_alu instid0(VALU_DEP_2) | instskip(NEXT) | instid1(VALU_DEP_1)
	v_lshlrev_b64_e32 v[0:1], v0, v[124:125]
	v_and_b32_e32 v0, 7, v0
; %bb.1599:                             ;   in Loop: Header=BB232_10 Depth=1
	s_or_b32 exec_lo, exec_lo, s16
	s_delay_alu instid0(VALU_DEP_1) | instskip(SKIP_1) | instid1(VALU_DEP_2)
	v_dual_lshlrev_b32 v1, 24, v3 :: v_dual_lshlrev_b32 v0, 20, v0
	v_lshl_add_u32 v3, v4, 23, 0x3c000000
	v_and_b32_e32 v1, 0x80000000, v1
	s_delay_alu instid0(VALU_DEP_1)
	v_or3_b32 v124, v0, v1, v3
	v_mov_b32_e32 v1, v125
	scratch_store_b64 off, v[0:1], s32 offset:192 ; 8-byte Folded Spill
.LBB232_1600:                           ;   in Loop: Header=BB232_10 Depth=1
	s_wait_xcnt 0x0
	s_or_b32 exec_lo, exec_lo, s15
.LBB232_1601:                           ;   in Loop: Header=BB232_10 Depth=1
	s_delay_alu instid0(SALU_CYCLE_1)
	s_or_b32 exec_lo, exec_lo, s11
.LBB232_1602:                           ;   in Loop: Header=BB232_10 Depth=1
	s_delay_alu instid0(SALU_CYCLE_1) | instskip(NEXT) | instid1(SALU_CYCLE_1)
	s_or_b32 exec_lo, exec_lo, s4
	s_mov_b32 s4, exec_lo
	v_cmpx_lt_u32_e32 0xffffff, v2
	s_cbranch_execz .LBB232_1610
; %bb.1603:                             ;   in Loop: Header=BB232_10 Depth=1
	v_mov_b64_e32 v[106:107], 0x8000000000000000
	v_lshrrev_b32_e32 v3, 24, v2
	s_mov_b32 s11, exec_lo
	s_delay_alu instid0(VALU_DEP_1)
	v_cmpx_ne_u32_e32 0x80, v3
	s_cbranch_execz .LBB232_1609
; %bb.1604:                             ;   in Loop: Header=BB232_10 Depth=1
	v_mov_b64_e32 v[106:107], 0x7f80000100000000
	v_bfe_u32 v0, v2, 24, 7
	s_mov_b32 s15, exec_lo
	s_delay_alu instid0(VALU_DEP_1)
	v_cmpx_ne_u32_e32 0x7f, v0
	s_cbranch_execz .LBB232_1608
; %bb.1605:                             ;   in Loop: Header=BB232_10 Depth=1
	scratch_load_b64 v[4:5], off, s32 offset:192 th:TH_LOAD_LU ; 8-byte Folded Reload
	s_wait_loadcnt 0x0
	v_dual_lshrrev_b32 v2, 3, v0 :: v_dual_bitop2_b32 v4, 7, v3 bitop3:0x40
	v_cmp_gt_u32_e64 s1, 8, v0
	s_delay_alu instid0(VALU_DEP_2)
	v_mov_b64_e32 v[0:1], v[4:5]
	s_wait_xcnt 0x0
	s_and_saveexec_b32 s16, s1
; %bb.1606:                             ;   in Loop: Header=BB232_10 Depth=1
	v_clz_i32_u32_e32 v0, v4
	s_delay_alu instid0(VALU_DEP_1) | instskip(NEXT) | instid1(VALU_DEP_1)
	v_min_u32_e32 v2, 32, v0
	v_subrev_nc_u32_e32 v0, 28, v2
	s_delay_alu instid0(VALU_DEP_1) | instskip(NEXT) | instid1(VALU_DEP_1)
	v_lshlrev_b64_e32 v[0:1], v0, v[4:5]
	v_dual_sub_nc_u32 v2, 29, v2 :: v_dual_bitop2_b32 v0, 7, v0 bitop3:0x40
; %bb.1607:                             ;   in Loop: Header=BB232_10 Depth=1
	s_or_b32 exec_lo, exec_lo, s16
	s_delay_alu instid0(VALU_DEP_1) | instskip(NEXT) | instid1(VALU_DEP_2)
	v_dual_lshlrev_b32 v1, 24, v3 :: v_dual_lshlrev_b32 v0, 20, v0
	v_lshl_add_u32 v2, v2, 23, 0x3c000000
	v_mov_b32_e32 v106, v5
	s_delay_alu instid0(VALU_DEP_3) | instskip(NEXT) | instid1(VALU_DEP_1)
	v_and_b32_e32 v1, 0x80000000, v1
	v_or3_b32 v107, v0, v1, v2
	v_mov_b32_e32 v1, v5
	scratch_store_b64 off, v[0:1], s32 offset:192 ; 8-byte Folded Spill
.LBB232_1608:                           ;   in Loop: Header=BB232_10 Depth=1
	s_wait_xcnt 0x0
	s_or_b32 exec_lo, exec_lo, s15
.LBB232_1609:                           ;   in Loop: Header=BB232_10 Depth=1
	s_delay_alu instid0(SALU_CYCLE_1)
	s_or_b32 exec_lo, exec_lo, s11
.LBB232_1610:                           ;   in Loop: Header=BB232_10 Depth=1
	s_delay_alu instid0(SALU_CYCLE_1)
	s_or_b32 exec_lo, exec_lo, s4
	flat_load_b32 v2, v[66:67] offset:6152
	v_mov_b64_e32 v[54:55], 0
	v_mov_b64_e32 v[96:97], 0
	s_mov_b32 s4, exec_lo
	s_wait_loadcnt_dscnt 0x0
	v_and_b32_e32 v0, 0xff, v2
	s_wait_xcnt 0x0
	s_delay_alu instid0(VALU_DEP_1)
	v_cmpx_ne_u16_e32 0, v0
	s_cbranch_execz .LBB232_1618
; %bb.1611:                             ;   in Loop: Header=BB232_10 Depth=1
	v_mov_b64_e32 v[96:97], 0x80000000
	s_mov_b32 s11, exec_lo
	v_cmpx_ne_u16_e32 0x80, v0
	s_cbranch_execz .LBB232_1617
; %bb.1612:                             ;   in Loop: Header=BB232_10 Depth=1
	v_mov_b64_e32 v[96:97], 0x7f800001
	v_and_b32_e32 v0, 0x7f, v2
	s_mov_b32 s15, exec_lo
	s_delay_alu instid0(VALU_DEP_1)
	v_cmpx_ne_u32_e32 0x7f, v0
	s_cbranch_execz .LBB232_1616
; %bb.1613:                             ;   in Loop: Header=BB232_10 Depth=1
	scratch_load_b64 v[96:97], off, s32 offset:192 th:TH_LOAD_LU ; 8-byte Folded Reload
	s_wait_loadcnt 0x0
	v_dual_lshrrev_b32 v3, 3, v0 :: v_dual_bitop2_b32 v96, 7, v2 bitop3:0x40
	v_cmp_gt_u32_e64 s1, 8, v0
	s_delay_alu instid0(VALU_DEP_2)
	v_mov_b64_e32 v[0:1], v[96:97]
	s_wait_xcnt 0x0
	s_and_saveexec_b32 s16, s1
; %bb.1614:                             ;   in Loop: Header=BB232_10 Depth=1
	v_clz_i32_u32_e32 v0, v96
	s_delay_alu instid0(VALU_DEP_1) | instskip(NEXT) | instid1(VALU_DEP_1)
	v_min_u32_e32 v3, 32, v0
	v_subrev_nc_u32_e32 v0, 28, v3
	s_delay_alu instid0(VALU_DEP_1) | instskip(NEXT) | instid1(VALU_DEP_1)
	v_lshlrev_b64_e32 v[0:1], v0, v[96:97]
	v_dual_sub_nc_u32 v3, 29, v3 :: v_dual_bitop2_b32 v0, 7, v0 bitop3:0x40
; %bb.1615:                             ;   in Loop: Header=BB232_10 Depth=1
	s_or_b32 exec_lo, exec_lo, s16
	s_delay_alu instid0(VALU_DEP_1) | instskip(NEXT) | instid1(VALU_DEP_2)
	v_dual_lshlrev_b32 v1, 24, v2 :: v_dual_lshlrev_b32 v0, 20, v0
	v_lshl_add_u32 v3, v3, 23, 0x3c000000
	s_delay_alu instid0(VALU_DEP_2) | instskip(NEXT) | instid1(VALU_DEP_1)
	v_and_b32_e32 v1, 0x80000000, v1
	v_or3_b32 v96, v0, v1, v3
	v_mov_b32_e32 v1, v97
	scratch_store_b64 off, v[0:1], s32 offset:192 ; 8-byte Folded Spill
.LBB232_1616:                           ;   in Loop: Header=BB232_10 Depth=1
	s_wait_xcnt 0x0
	s_or_b32 exec_lo, exec_lo, s15
.LBB232_1617:                           ;   in Loop: Header=BB232_10 Depth=1
	s_delay_alu instid0(SALU_CYCLE_1)
	s_or_b32 exec_lo, exec_lo, s11
.LBB232_1618:                           ;   in Loop: Header=BB232_10 Depth=1
	s_delay_alu instid0(SALU_CYCLE_1) | instskip(SKIP_2) | instid1(VALU_DEP_1)
	s_or_b32 exec_lo, exec_lo, s4
	v_lshrrev_b16 v0, 8, v2
	s_mov_b32 s4, exec_lo
	v_cmpx_ne_u16_e32 0, v0
	s_cbranch_execz .LBB232_1626
; %bb.1619:                             ;   in Loop: Header=BB232_10 Depth=1
	v_mov_b64_e32 v[54:55], 0x8000000000000000
	s_mov_b32 s11, exec_lo
	v_cmpx_ne_u16_e32 0x80, v0
	s_cbranch_execz .LBB232_1625
; %bb.1620:                             ;   in Loop: Header=BB232_10 Depth=1
	v_and_b32_e32 v1, 0xffff, v0
	v_mov_b64_e32 v[54:55], 0x7f80000100000000
	s_mov_b32 s15, exec_lo
	s_delay_alu instid0(VALU_DEP_2) | instskip(NEXT) | instid1(VALU_DEP_1)
	v_and_b32_e32 v0, 0x7f, v1
	v_cmpx_ne_u32_e32 0x7f, v0
	s_cbranch_execz .LBB232_1624
; %bb.1621:                             ;   in Loop: Header=BB232_10 Depth=1
	scratch_load_b64 v[4:5], off, s32 offset:192 th:TH_LOAD_LU ; 8-byte Folded Reload
	s_wait_loadcnt 0x0
	v_dual_lshrrev_b32 v3, 3, v0 :: v_dual_bitop2_b32 v4, 7, v1 bitop3:0x40
	v_cmp_gt_u32_e64 s1, 8, v0
	s_delay_alu instid0(VALU_DEP_2)
	v_mov_b64_e32 v[0:1], v[4:5]
	s_wait_xcnt 0x0
	s_and_saveexec_b32 s16, s1
; %bb.1622:                             ;   in Loop: Header=BB232_10 Depth=1
	v_clz_i32_u32_e32 v0, v4
	s_delay_alu instid0(VALU_DEP_1) | instskip(NEXT) | instid1(VALU_DEP_1)
	v_min_u32_e32 v3, 32, v0
	v_subrev_nc_u32_e32 v0, 28, v3
	s_delay_alu instid0(VALU_DEP_1) | instskip(NEXT) | instid1(VALU_DEP_1)
	v_lshlrev_b64_e32 v[0:1], v0, v[4:5]
	v_dual_sub_nc_u32 v3, 29, v3 :: v_dual_bitop2_b32 v0, 7, v0 bitop3:0x40
; %bb.1623:                             ;   in Loop: Header=BB232_10 Depth=1
	s_or_b32 exec_lo, exec_lo, s16
	s_delay_alu instid0(VALU_DEP_1) | instskip(NEXT) | instid1(VALU_DEP_2)
	v_dual_lshlrev_b32 v1, 16, v2 :: v_dual_lshlrev_b32 v0, 20, v0
	v_lshl_add_u32 v3, v3, 23, 0x3c000000
	v_mov_b32_e32 v54, v5
	s_delay_alu instid0(VALU_DEP_3) | instskip(NEXT) | instid1(VALU_DEP_1)
	v_and_b32_e32 v1, 0x80000000, v1
	v_or3_b32 v55, v0, v1, v3
	v_mov_b32_e32 v1, v5
	scratch_store_b64 off, v[0:1], s32 offset:192 ; 8-byte Folded Spill
.LBB232_1624:                           ;   in Loop: Header=BB232_10 Depth=1
	s_wait_xcnt 0x0
	s_or_b32 exec_lo, exec_lo, s15
.LBB232_1625:                           ;   in Loop: Header=BB232_10 Depth=1
	s_delay_alu instid0(SALU_CYCLE_1)
	s_or_b32 exec_lo, exec_lo, s11
.LBB232_1626:                           ;   in Loop: Header=BB232_10 Depth=1
	s_delay_alu instid0(SALU_CYCLE_1) | instskip(SKIP_4) | instid1(VALU_DEP_3)
	s_or_b32 exec_lo, exec_lo, s4
	v_lshrrev_b32_e32 v3, 16, v2
	v_mov_b64_e32 v[86:87], 0
	v_mov_b64_e32 v[100:101], 0
	s_mov_b32 s4, exec_lo
	v_and_b32_e32 v0, 0xff, v3
	s_delay_alu instid0(VALU_DEP_1)
	v_cmpx_ne_u16_e32 0, v0
	s_cbranch_execz .LBB232_1634
; %bb.1627:                             ;   in Loop: Header=BB232_10 Depth=1
	v_mov_b64_e32 v[100:101], 0x80000000
	s_mov_b32 s11, exec_lo
	v_cmpx_ne_u16_e32 0x80, v0
	s_cbranch_execz .LBB232_1633
; %bb.1628:                             ;   in Loop: Header=BB232_10 Depth=1
	v_mov_b64_e32 v[100:101], 0x7f800001
	v_bfe_u32 v0, v2, 16, 7
	s_mov_b32 s15, exec_lo
	s_delay_alu instid0(VALU_DEP_1)
	v_cmpx_ne_u32_e32 0x7f, v0
	s_cbranch_execz .LBB232_1632
; %bb.1629:                             ;   in Loop: Header=BB232_10 Depth=1
	scratch_load_b64 v[100:101], off, s32 offset:192 th:TH_LOAD_LU ; 8-byte Folded Reload
	s_wait_loadcnt 0x0
	v_dual_lshrrev_b32 v4, 3, v0 :: v_dual_bitop2_b32 v100, 7, v3 bitop3:0x40
	v_cmp_gt_u32_e64 s1, 8, v0
	s_delay_alu instid0(VALU_DEP_2)
	v_mov_b64_e32 v[0:1], v[100:101]
	s_wait_xcnt 0x0
	s_and_saveexec_b32 s16, s1
; %bb.1630:                             ;   in Loop: Header=BB232_10 Depth=1
	v_clz_i32_u32_e32 v0, v100
	s_delay_alu instid0(VALU_DEP_1) | instskip(NEXT) | instid1(VALU_DEP_1)
	v_min_u32_e32 v4, 32, v0
	v_subrev_nc_u32_e32 v0, 28, v4
	v_sub_nc_u32_e32 v4, 29, v4
	s_delay_alu instid0(VALU_DEP_2) | instskip(NEXT) | instid1(VALU_DEP_1)
	v_lshlrev_b64_e32 v[0:1], v0, v[100:101]
	v_and_b32_e32 v0, 7, v0
; %bb.1631:                             ;   in Loop: Header=BB232_10 Depth=1
	s_or_b32 exec_lo, exec_lo, s16
	s_delay_alu instid0(VALU_DEP_1) | instskip(SKIP_1) | instid1(VALU_DEP_2)
	v_dual_lshlrev_b32 v1, 24, v3 :: v_dual_lshlrev_b32 v0, 20, v0
	v_lshl_add_u32 v3, v4, 23, 0x3c000000
	v_and_b32_e32 v1, 0x80000000, v1
	s_delay_alu instid0(VALU_DEP_1)
	v_or3_b32 v100, v0, v1, v3
	v_mov_b32_e32 v1, v101
	scratch_store_b64 off, v[0:1], s32 offset:192 ; 8-byte Folded Spill
.LBB232_1632:                           ;   in Loop: Header=BB232_10 Depth=1
	s_wait_xcnt 0x0
	s_or_b32 exec_lo, exec_lo, s15
.LBB232_1633:                           ;   in Loop: Header=BB232_10 Depth=1
	s_delay_alu instid0(SALU_CYCLE_1)
	s_or_b32 exec_lo, exec_lo, s11
.LBB232_1634:                           ;   in Loop: Header=BB232_10 Depth=1
	s_delay_alu instid0(SALU_CYCLE_1) | instskip(NEXT) | instid1(SALU_CYCLE_1)
	s_or_b32 exec_lo, exec_lo, s4
	s_mov_b32 s4, exec_lo
	v_cmpx_lt_u32_e32 0xffffff, v2
	s_cbranch_execz .LBB232_1642
; %bb.1635:                             ;   in Loop: Header=BB232_10 Depth=1
	v_mov_b64_e32 v[86:87], 0x8000000000000000
	v_lshrrev_b32_e32 v3, 24, v2
	s_mov_b32 s11, exec_lo
	s_delay_alu instid0(VALU_DEP_1)
	v_cmpx_ne_u32_e32 0x80, v3
	s_cbranch_execz .LBB232_1641
; %bb.1636:                             ;   in Loop: Header=BB232_10 Depth=1
	v_mov_b64_e32 v[86:87], 0x7f80000100000000
	v_bfe_u32 v0, v2, 24, 7
	s_mov_b32 s15, exec_lo
	s_delay_alu instid0(VALU_DEP_1)
	v_cmpx_ne_u32_e32 0x7f, v0
	s_cbranch_execz .LBB232_1640
; %bb.1637:                             ;   in Loop: Header=BB232_10 Depth=1
	scratch_load_b64 v[4:5], off, s32 offset:192 th:TH_LOAD_LU ; 8-byte Folded Reload
	s_wait_loadcnt 0x0
	v_dual_lshrrev_b32 v2, 3, v0 :: v_dual_bitop2_b32 v4, 7, v3 bitop3:0x40
	v_cmp_gt_u32_e64 s1, 8, v0
	s_delay_alu instid0(VALU_DEP_2)
	v_mov_b64_e32 v[0:1], v[4:5]
	s_wait_xcnt 0x0
	s_and_saveexec_b32 s16, s1
; %bb.1638:                             ;   in Loop: Header=BB232_10 Depth=1
	v_clz_i32_u32_e32 v0, v4
	s_delay_alu instid0(VALU_DEP_1) | instskip(NEXT) | instid1(VALU_DEP_1)
	v_min_u32_e32 v2, 32, v0
	v_subrev_nc_u32_e32 v0, 28, v2
	s_delay_alu instid0(VALU_DEP_1) | instskip(NEXT) | instid1(VALU_DEP_1)
	v_lshlrev_b64_e32 v[0:1], v0, v[4:5]
	v_dual_sub_nc_u32 v2, 29, v2 :: v_dual_bitop2_b32 v0, 7, v0 bitop3:0x40
; %bb.1639:                             ;   in Loop: Header=BB232_10 Depth=1
	s_or_b32 exec_lo, exec_lo, s16
	s_delay_alu instid0(VALU_DEP_1) | instskip(NEXT) | instid1(VALU_DEP_2)
	v_dual_lshlrev_b32 v1, 24, v3 :: v_dual_lshlrev_b32 v0, 20, v0
	v_lshl_add_u32 v2, v2, 23, 0x3c000000
	v_mov_b32_e32 v86, v5
	s_delay_alu instid0(VALU_DEP_3) | instskip(NEXT) | instid1(VALU_DEP_1)
	v_and_b32_e32 v1, 0x80000000, v1
	v_or3_b32 v87, v0, v1, v2
	v_mov_b32_e32 v1, v5
	scratch_store_b64 off, v[0:1], s32 offset:192 ; 8-byte Folded Spill
.LBB232_1640:                           ;   in Loop: Header=BB232_10 Depth=1
	s_wait_xcnt 0x0
	s_or_b32 exec_lo, exec_lo, s15
.LBB232_1641:                           ;   in Loop: Header=BB232_10 Depth=1
	s_delay_alu instid0(SALU_CYCLE_1)
	s_or_b32 exec_lo, exec_lo, s11
.LBB232_1642:                           ;   in Loop: Header=BB232_10 Depth=1
	s_delay_alu instid0(SALU_CYCLE_1)
	s_or_b32 exec_lo, exec_lo, s4
	flat_load_b32 v2, v[66:67] offset:6156
	v_mov_b64_e32 v[26:27], 0
	v_mov_b64_e32 v[112:113], 0
	s_mov_b32 s4, exec_lo
	s_wait_loadcnt_dscnt 0x0
	v_and_b32_e32 v0, 0xff, v2
	s_wait_xcnt 0x0
	s_delay_alu instid0(VALU_DEP_1)
	v_cmpx_ne_u16_e32 0, v0
	s_cbranch_execz .LBB232_1650
; %bb.1643:                             ;   in Loop: Header=BB232_10 Depth=1
	v_mov_b64_e32 v[112:113], 0x80000000
	s_mov_b32 s11, exec_lo
	v_cmpx_ne_u16_e32 0x80, v0
	s_cbranch_execz .LBB232_1649
; %bb.1644:                             ;   in Loop: Header=BB232_10 Depth=1
	v_mov_b64_e32 v[112:113], 0x7f800001
	v_and_b32_e32 v0, 0x7f, v2
	s_mov_b32 s15, exec_lo
	s_delay_alu instid0(VALU_DEP_1)
	v_cmpx_ne_u32_e32 0x7f, v0
	s_cbranch_execz .LBB232_1648
; %bb.1645:                             ;   in Loop: Header=BB232_10 Depth=1
	scratch_load_b64 v[112:113], off, s32 offset:192 th:TH_LOAD_LU ; 8-byte Folded Reload
	s_wait_loadcnt 0x0
	v_dual_lshrrev_b32 v3, 3, v0 :: v_dual_bitop2_b32 v112, 7, v2 bitop3:0x40
	v_cmp_gt_u32_e64 s1, 8, v0
	s_delay_alu instid0(VALU_DEP_2)
	v_mov_b64_e32 v[0:1], v[112:113]
	s_wait_xcnt 0x0
	s_and_saveexec_b32 s16, s1
; %bb.1646:                             ;   in Loop: Header=BB232_10 Depth=1
	v_clz_i32_u32_e32 v0, v112
	s_delay_alu instid0(VALU_DEP_1) | instskip(NEXT) | instid1(VALU_DEP_1)
	v_min_u32_e32 v3, 32, v0
	v_subrev_nc_u32_e32 v0, 28, v3
	s_delay_alu instid0(VALU_DEP_1) | instskip(NEXT) | instid1(VALU_DEP_1)
	v_lshlrev_b64_e32 v[0:1], v0, v[112:113]
	v_dual_sub_nc_u32 v3, 29, v3 :: v_dual_bitop2_b32 v0, 7, v0 bitop3:0x40
; %bb.1647:                             ;   in Loop: Header=BB232_10 Depth=1
	s_or_b32 exec_lo, exec_lo, s16
	s_delay_alu instid0(VALU_DEP_1) | instskip(NEXT) | instid1(VALU_DEP_2)
	v_dual_lshlrev_b32 v1, 24, v2 :: v_dual_lshlrev_b32 v0, 20, v0
	v_lshl_add_u32 v3, v3, 23, 0x3c000000
	s_delay_alu instid0(VALU_DEP_2) | instskip(NEXT) | instid1(VALU_DEP_1)
	v_and_b32_e32 v1, 0x80000000, v1
	v_or3_b32 v112, v0, v1, v3
	v_mov_b32_e32 v1, v113
	scratch_store_b64 off, v[0:1], s32 offset:192 ; 8-byte Folded Spill
.LBB232_1648:                           ;   in Loop: Header=BB232_10 Depth=1
	s_wait_xcnt 0x0
	s_or_b32 exec_lo, exec_lo, s15
.LBB232_1649:                           ;   in Loop: Header=BB232_10 Depth=1
	s_delay_alu instid0(SALU_CYCLE_1)
	s_or_b32 exec_lo, exec_lo, s11
.LBB232_1650:                           ;   in Loop: Header=BB232_10 Depth=1
	s_delay_alu instid0(SALU_CYCLE_1) | instskip(SKIP_2) | instid1(VALU_DEP_1)
	s_or_b32 exec_lo, exec_lo, s4
	v_lshrrev_b16 v0, 8, v2
	s_mov_b32 s4, exec_lo
	v_cmpx_ne_u16_e32 0, v0
	s_cbranch_execz .LBB232_1658
; %bb.1651:                             ;   in Loop: Header=BB232_10 Depth=1
	v_mov_b64_e32 v[26:27], 0x8000000000000000
	s_mov_b32 s11, exec_lo
	v_cmpx_ne_u16_e32 0x80, v0
	s_cbranch_execz .LBB232_1657
; %bb.1652:                             ;   in Loop: Header=BB232_10 Depth=1
	v_and_b32_e32 v1, 0xffff, v0
	v_mov_b64_e32 v[26:27], 0x7f80000100000000
	s_mov_b32 s15, exec_lo
	s_delay_alu instid0(VALU_DEP_2) | instskip(NEXT) | instid1(VALU_DEP_1)
	v_and_b32_e32 v0, 0x7f, v1
	v_cmpx_ne_u32_e32 0x7f, v0
	s_cbranch_execz .LBB232_1656
; %bb.1653:                             ;   in Loop: Header=BB232_10 Depth=1
	scratch_load_b64 v[4:5], off, s32 offset:192 th:TH_LOAD_LU ; 8-byte Folded Reload
	s_wait_loadcnt 0x0
	v_dual_lshrrev_b32 v3, 3, v0 :: v_dual_bitop2_b32 v4, 7, v1 bitop3:0x40
	v_cmp_gt_u32_e64 s1, 8, v0
	s_delay_alu instid0(VALU_DEP_2)
	v_mov_b64_e32 v[0:1], v[4:5]
	s_wait_xcnt 0x0
	s_and_saveexec_b32 s16, s1
; %bb.1654:                             ;   in Loop: Header=BB232_10 Depth=1
	v_clz_i32_u32_e32 v0, v4
	s_delay_alu instid0(VALU_DEP_1) | instskip(NEXT) | instid1(VALU_DEP_1)
	v_min_u32_e32 v3, 32, v0
	v_subrev_nc_u32_e32 v0, 28, v3
	s_delay_alu instid0(VALU_DEP_1) | instskip(NEXT) | instid1(VALU_DEP_1)
	v_lshlrev_b64_e32 v[0:1], v0, v[4:5]
	v_dual_sub_nc_u32 v3, 29, v3 :: v_dual_bitop2_b32 v0, 7, v0 bitop3:0x40
; %bb.1655:                             ;   in Loop: Header=BB232_10 Depth=1
	s_or_b32 exec_lo, exec_lo, s16
	s_delay_alu instid0(VALU_DEP_1) | instskip(NEXT) | instid1(VALU_DEP_2)
	v_dual_lshlrev_b32 v1, 16, v2 :: v_dual_lshlrev_b32 v0, 20, v0
	v_lshl_add_u32 v3, v3, 23, 0x3c000000
	v_mov_b32_e32 v26, v5
	s_delay_alu instid0(VALU_DEP_3) | instskip(NEXT) | instid1(VALU_DEP_1)
	v_and_b32_e32 v1, 0x80000000, v1
	v_or3_b32 v27, v0, v1, v3
	v_mov_b32_e32 v1, v5
	scratch_store_b64 off, v[0:1], s32 offset:192 ; 8-byte Folded Spill
.LBB232_1656:                           ;   in Loop: Header=BB232_10 Depth=1
	s_wait_xcnt 0x0
	s_or_b32 exec_lo, exec_lo, s15
.LBB232_1657:                           ;   in Loop: Header=BB232_10 Depth=1
	s_delay_alu instid0(SALU_CYCLE_1)
	s_or_b32 exec_lo, exec_lo, s11
.LBB232_1658:                           ;   in Loop: Header=BB232_10 Depth=1
	s_delay_alu instid0(SALU_CYCLE_1) | instskip(SKIP_4) | instid1(VALU_DEP_3)
	s_or_b32 exec_lo, exec_lo, s4
	v_lshrrev_b32_e32 v3, 16, v2
	v_mov_b64_e32 v[90:91], 0
	v_mov_b64_e32 v[116:117], 0
	s_mov_b32 s4, exec_lo
	v_and_b32_e32 v0, 0xff, v3
	s_delay_alu instid0(VALU_DEP_1)
	v_cmpx_ne_u16_e32 0, v0
	s_cbranch_execz .LBB232_1666
; %bb.1659:                             ;   in Loop: Header=BB232_10 Depth=1
	v_mov_b64_e32 v[116:117], 0x80000000
	s_mov_b32 s11, exec_lo
	v_cmpx_ne_u16_e32 0x80, v0
	s_cbranch_execz .LBB232_1665
; %bb.1660:                             ;   in Loop: Header=BB232_10 Depth=1
	v_mov_b64_e32 v[116:117], 0x7f800001
	v_bfe_u32 v0, v2, 16, 7
	s_mov_b32 s15, exec_lo
	s_delay_alu instid0(VALU_DEP_1)
	v_cmpx_ne_u32_e32 0x7f, v0
	s_cbranch_execz .LBB232_1664
; %bb.1661:                             ;   in Loop: Header=BB232_10 Depth=1
	scratch_load_b64 v[116:117], off, s32 offset:192 th:TH_LOAD_LU ; 8-byte Folded Reload
	s_wait_loadcnt 0x0
	v_dual_lshrrev_b32 v4, 3, v0 :: v_dual_bitop2_b32 v116, 7, v3 bitop3:0x40
	v_cmp_gt_u32_e64 s1, 8, v0
	s_delay_alu instid0(VALU_DEP_2)
	v_mov_b64_e32 v[0:1], v[116:117]
	s_wait_xcnt 0x0
	s_and_saveexec_b32 s16, s1
; %bb.1662:                             ;   in Loop: Header=BB232_10 Depth=1
	v_clz_i32_u32_e32 v0, v116
	s_delay_alu instid0(VALU_DEP_1) | instskip(NEXT) | instid1(VALU_DEP_1)
	v_min_u32_e32 v4, 32, v0
	v_subrev_nc_u32_e32 v0, 28, v4
	v_sub_nc_u32_e32 v4, 29, v4
	s_delay_alu instid0(VALU_DEP_2) | instskip(NEXT) | instid1(VALU_DEP_1)
	v_lshlrev_b64_e32 v[0:1], v0, v[116:117]
	v_and_b32_e32 v0, 7, v0
; %bb.1663:                             ;   in Loop: Header=BB232_10 Depth=1
	s_or_b32 exec_lo, exec_lo, s16
	s_delay_alu instid0(VALU_DEP_1) | instskip(SKIP_1) | instid1(VALU_DEP_2)
	v_dual_lshlrev_b32 v1, 24, v3 :: v_dual_lshlrev_b32 v0, 20, v0
	v_lshl_add_u32 v3, v4, 23, 0x3c000000
	v_and_b32_e32 v1, 0x80000000, v1
	s_delay_alu instid0(VALU_DEP_1)
	v_or3_b32 v116, v0, v1, v3
	v_mov_b32_e32 v1, v117
	scratch_store_b64 off, v[0:1], s32 offset:192 ; 8-byte Folded Spill
.LBB232_1664:                           ;   in Loop: Header=BB232_10 Depth=1
	s_wait_xcnt 0x0
	s_or_b32 exec_lo, exec_lo, s15
.LBB232_1665:                           ;   in Loop: Header=BB232_10 Depth=1
	s_delay_alu instid0(SALU_CYCLE_1)
	s_or_b32 exec_lo, exec_lo, s11
.LBB232_1666:                           ;   in Loop: Header=BB232_10 Depth=1
	s_delay_alu instid0(SALU_CYCLE_1) | instskip(NEXT) | instid1(SALU_CYCLE_1)
	s_or_b32 exec_lo, exec_lo, s4
	s_mov_b32 s4, exec_lo
	v_cmpx_lt_u32_e32 0xffffff, v2
	s_cbranch_execz .LBB232_1674
; %bb.1667:                             ;   in Loop: Header=BB232_10 Depth=1
	v_mov_b64_e32 v[90:91], 0x8000000000000000
	v_lshrrev_b32_e32 v3, 24, v2
	s_mov_b32 s11, exec_lo
	s_delay_alu instid0(VALU_DEP_1)
	v_cmpx_ne_u32_e32 0x80, v3
	s_cbranch_execz .LBB232_1673
; %bb.1668:                             ;   in Loop: Header=BB232_10 Depth=1
	v_mov_b64_e32 v[90:91], 0x7f80000100000000
	v_bfe_u32 v0, v2, 24, 7
	s_mov_b32 s15, exec_lo
	s_delay_alu instid0(VALU_DEP_1)
	v_cmpx_ne_u32_e32 0x7f, v0
	s_cbranch_execz .LBB232_1672
; %bb.1669:                             ;   in Loop: Header=BB232_10 Depth=1
	scratch_load_b64 v[4:5], off, s32 offset:192 th:TH_LOAD_LU ; 8-byte Folded Reload
	s_wait_loadcnt 0x0
	v_dual_lshrrev_b32 v2, 3, v0 :: v_dual_bitop2_b32 v4, 7, v3 bitop3:0x40
	v_cmp_gt_u32_e64 s1, 8, v0
	s_delay_alu instid0(VALU_DEP_2)
	v_mov_b64_e32 v[0:1], v[4:5]
	s_wait_xcnt 0x0
	s_and_saveexec_b32 s16, s1
; %bb.1670:                             ;   in Loop: Header=BB232_10 Depth=1
	v_clz_i32_u32_e32 v0, v4
	s_delay_alu instid0(VALU_DEP_1) | instskip(NEXT) | instid1(VALU_DEP_1)
	v_min_u32_e32 v2, 32, v0
	v_subrev_nc_u32_e32 v0, 28, v2
	s_delay_alu instid0(VALU_DEP_1) | instskip(NEXT) | instid1(VALU_DEP_1)
	v_lshlrev_b64_e32 v[0:1], v0, v[4:5]
	v_dual_sub_nc_u32 v2, 29, v2 :: v_dual_bitop2_b32 v0, 7, v0 bitop3:0x40
; %bb.1671:                             ;   in Loop: Header=BB232_10 Depth=1
	s_or_b32 exec_lo, exec_lo, s16
	s_delay_alu instid0(VALU_DEP_1) | instskip(NEXT) | instid1(VALU_DEP_2)
	v_dual_lshlrev_b32 v1, 24, v3 :: v_dual_lshlrev_b32 v0, 20, v0
	v_lshl_add_u32 v2, v2, 23, 0x3c000000
	v_mov_b32_e32 v90, v5
	s_delay_alu instid0(VALU_DEP_3) | instskip(NEXT) | instid1(VALU_DEP_1)
	v_and_b32_e32 v1, 0x80000000, v1
	v_or3_b32 v91, v0, v1, v2
	v_mov_b32_e32 v1, v5
	scratch_store_b64 off, v[0:1], s32 offset:192 ; 8-byte Folded Spill
.LBB232_1672:                           ;   in Loop: Header=BB232_10 Depth=1
	s_wait_xcnt 0x0
	s_or_b32 exec_lo, exec_lo, s15
.LBB232_1673:                           ;   in Loop: Header=BB232_10 Depth=1
	s_delay_alu instid0(SALU_CYCLE_1)
	s_or_b32 exec_lo, exec_lo, s11
.LBB232_1674:                           ;   in Loop: Header=BB232_10 Depth=1
	s_delay_alu instid0(SALU_CYCLE_1)
	s_or_b32 exec_lo, exec_lo, s4
	flat_load_b32 v2, v[66:67] offset:6656
	v_mov_b64_e32 v[50:51], 0
	v_mov_b64_e32 v[52:53], 0
	s_mov_b32 s4, exec_lo
	s_wait_loadcnt_dscnt 0x0
	v_and_b32_e32 v0, 0xff, v2
	s_wait_xcnt 0x0
	s_delay_alu instid0(VALU_DEP_1)
	v_cmpx_ne_u16_e32 0, v0
	s_cbranch_execz .LBB232_1682
; %bb.1675:                             ;   in Loop: Header=BB232_10 Depth=1
	v_mov_b64_e32 v[52:53], 0x80000000
	s_mov_b32 s11, exec_lo
	v_cmpx_ne_u16_e32 0x80, v0
	s_cbranch_execz .LBB232_1681
; %bb.1676:                             ;   in Loop: Header=BB232_10 Depth=1
	v_mov_b64_e32 v[52:53], 0x7f800001
	v_and_b32_e32 v0, 0x7f, v2
	s_mov_b32 s15, exec_lo
	s_delay_alu instid0(VALU_DEP_1)
	v_cmpx_ne_u32_e32 0x7f, v0
	s_cbranch_execz .LBB232_1680
; %bb.1677:                             ;   in Loop: Header=BB232_10 Depth=1
	scratch_load_b64 v[52:53], off, s32 offset:192 th:TH_LOAD_LU ; 8-byte Folded Reload
	s_wait_loadcnt 0x0
	v_dual_lshrrev_b32 v3, 3, v0 :: v_dual_bitop2_b32 v52, 7, v2 bitop3:0x40
	v_cmp_gt_u32_e64 s1, 8, v0
	s_delay_alu instid0(VALU_DEP_2)
	v_mov_b64_e32 v[0:1], v[52:53]
	s_wait_xcnt 0x0
	s_and_saveexec_b32 s16, s1
; %bb.1678:                             ;   in Loop: Header=BB232_10 Depth=1
	v_clz_i32_u32_e32 v0, v52
	s_delay_alu instid0(VALU_DEP_1) | instskip(NEXT) | instid1(VALU_DEP_1)
	v_min_u32_e32 v3, 32, v0
	v_subrev_nc_u32_e32 v0, 28, v3
	s_delay_alu instid0(VALU_DEP_1) | instskip(NEXT) | instid1(VALU_DEP_1)
	v_lshlrev_b64_e32 v[0:1], v0, v[52:53]
	v_dual_sub_nc_u32 v3, 29, v3 :: v_dual_bitop2_b32 v0, 7, v0 bitop3:0x40
; %bb.1679:                             ;   in Loop: Header=BB232_10 Depth=1
	s_or_b32 exec_lo, exec_lo, s16
	s_delay_alu instid0(VALU_DEP_1) | instskip(NEXT) | instid1(VALU_DEP_2)
	v_dual_lshlrev_b32 v1, 24, v2 :: v_dual_lshlrev_b32 v0, 20, v0
	v_lshl_add_u32 v3, v3, 23, 0x3c000000
	s_delay_alu instid0(VALU_DEP_2) | instskip(NEXT) | instid1(VALU_DEP_1)
	v_and_b32_e32 v1, 0x80000000, v1
	v_or3_b32 v52, v0, v1, v3
	v_mov_b32_e32 v1, v53
	scratch_store_b64 off, v[0:1], s32 offset:192 ; 8-byte Folded Spill
.LBB232_1680:                           ;   in Loop: Header=BB232_10 Depth=1
	s_wait_xcnt 0x0
	s_or_b32 exec_lo, exec_lo, s15
.LBB232_1681:                           ;   in Loop: Header=BB232_10 Depth=1
	s_delay_alu instid0(SALU_CYCLE_1)
	s_or_b32 exec_lo, exec_lo, s11
.LBB232_1682:                           ;   in Loop: Header=BB232_10 Depth=1
	s_delay_alu instid0(SALU_CYCLE_1) | instskip(SKIP_2) | instid1(VALU_DEP_1)
	s_or_b32 exec_lo, exec_lo, s4
	v_lshrrev_b16 v0, 8, v2
	s_mov_b32 s4, exec_lo
	v_cmpx_ne_u16_e32 0, v0
	s_cbranch_execz .LBB232_1690
; %bb.1683:                             ;   in Loop: Header=BB232_10 Depth=1
	v_mov_b64_e32 v[50:51], 0x8000000000000000
	s_mov_b32 s11, exec_lo
	v_cmpx_ne_u16_e32 0x80, v0
	s_cbranch_execz .LBB232_1689
; %bb.1684:                             ;   in Loop: Header=BB232_10 Depth=1
	v_and_b32_e32 v1, 0xffff, v0
	v_mov_b64_e32 v[50:51], 0x7f80000100000000
	s_mov_b32 s15, exec_lo
	s_delay_alu instid0(VALU_DEP_2) | instskip(NEXT) | instid1(VALU_DEP_1)
	v_and_b32_e32 v0, 0x7f, v1
	v_cmpx_ne_u32_e32 0x7f, v0
	s_cbranch_execz .LBB232_1688
; %bb.1685:                             ;   in Loop: Header=BB232_10 Depth=1
	scratch_load_b64 v[4:5], off, s32 offset:192 th:TH_LOAD_LU ; 8-byte Folded Reload
	s_wait_loadcnt 0x0
	v_dual_lshrrev_b32 v3, 3, v0 :: v_dual_bitop2_b32 v4, 7, v1 bitop3:0x40
	v_cmp_gt_u32_e64 s1, 8, v0
	s_delay_alu instid0(VALU_DEP_2)
	v_mov_b64_e32 v[0:1], v[4:5]
	s_wait_xcnt 0x0
	s_and_saveexec_b32 s16, s1
; %bb.1686:                             ;   in Loop: Header=BB232_10 Depth=1
	v_clz_i32_u32_e32 v0, v4
	s_delay_alu instid0(VALU_DEP_1) | instskip(NEXT) | instid1(VALU_DEP_1)
	v_min_u32_e32 v3, 32, v0
	v_subrev_nc_u32_e32 v0, 28, v3
	s_delay_alu instid0(VALU_DEP_1) | instskip(NEXT) | instid1(VALU_DEP_1)
	v_lshlrev_b64_e32 v[0:1], v0, v[4:5]
	v_dual_sub_nc_u32 v3, 29, v3 :: v_dual_bitop2_b32 v0, 7, v0 bitop3:0x40
; %bb.1687:                             ;   in Loop: Header=BB232_10 Depth=1
	s_or_b32 exec_lo, exec_lo, s16
	s_delay_alu instid0(VALU_DEP_1) | instskip(NEXT) | instid1(VALU_DEP_2)
	v_dual_lshlrev_b32 v1, 16, v2 :: v_dual_lshlrev_b32 v0, 20, v0
	v_lshl_add_u32 v3, v3, 23, 0x3c000000
	v_mov_b32_e32 v50, v5
	s_delay_alu instid0(VALU_DEP_3) | instskip(NEXT) | instid1(VALU_DEP_1)
	v_and_b32_e32 v1, 0x80000000, v1
	v_or3_b32 v51, v0, v1, v3
	v_mov_b32_e32 v1, v5
	scratch_store_b64 off, v[0:1], s32 offset:192 ; 8-byte Folded Spill
.LBB232_1688:                           ;   in Loop: Header=BB232_10 Depth=1
	s_wait_xcnt 0x0
	s_or_b32 exec_lo, exec_lo, s15
.LBB232_1689:                           ;   in Loop: Header=BB232_10 Depth=1
	s_delay_alu instid0(SALU_CYCLE_1)
	s_or_b32 exec_lo, exec_lo, s11
.LBB232_1690:                           ;   in Loop: Header=BB232_10 Depth=1
	s_delay_alu instid0(SALU_CYCLE_1) | instskip(SKIP_4) | instid1(VALU_DEP_3)
	s_or_b32 exec_lo, exec_lo, s4
	v_lshrrev_b32_e32 v3, 16, v2
	v_mov_b64_e32 v[76:77], 0
	v_mov_b64_e32 v[80:81], 0
	s_mov_b32 s4, exec_lo
	v_and_b32_e32 v0, 0xff, v3
	s_delay_alu instid0(VALU_DEP_1)
	v_cmpx_ne_u16_e32 0, v0
	s_cbranch_execz .LBB232_1698
; %bb.1691:                             ;   in Loop: Header=BB232_10 Depth=1
	v_mov_b64_e32 v[80:81], 0x80000000
	s_mov_b32 s11, exec_lo
	v_cmpx_ne_u16_e32 0x80, v0
	s_cbranch_execz .LBB232_1697
; %bb.1692:                             ;   in Loop: Header=BB232_10 Depth=1
	v_mov_b64_e32 v[80:81], 0x7f800001
	v_bfe_u32 v0, v2, 16, 7
	s_mov_b32 s15, exec_lo
	s_delay_alu instid0(VALU_DEP_1)
	v_cmpx_ne_u32_e32 0x7f, v0
	s_cbranch_execz .LBB232_1696
; %bb.1693:                             ;   in Loop: Header=BB232_10 Depth=1
	scratch_load_b64 v[80:81], off, s32 offset:192 th:TH_LOAD_LU ; 8-byte Folded Reload
	s_wait_loadcnt 0x0
	v_dual_lshrrev_b32 v4, 3, v0 :: v_dual_bitop2_b32 v80, 7, v3 bitop3:0x40
	v_cmp_gt_u32_e64 s1, 8, v0
	s_delay_alu instid0(VALU_DEP_2)
	v_mov_b64_e32 v[0:1], v[80:81]
	s_wait_xcnt 0x0
	s_and_saveexec_b32 s16, s1
; %bb.1694:                             ;   in Loop: Header=BB232_10 Depth=1
	v_clz_i32_u32_e32 v0, v80
	s_delay_alu instid0(VALU_DEP_1) | instskip(NEXT) | instid1(VALU_DEP_1)
	v_min_u32_e32 v4, 32, v0
	v_subrev_nc_u32_e32 v0, 28, v4
	v_sub_nc_u32_e32 v4, 29, v4
	s_delay_alu instid0(VALU_DEP_2) | instskip(NEXT) | instid1(VALU_DEP_1)
	v_lshlrev_b64_e32 v[0:1], v0, v[80:81]
	v_and_b32_e32 v0, 7, v0
; %bb.1695:                             ;   in Loop: Header=BB232_10 Depth=1
	s_or_b32 exec_lo, exec_lo, s16
	s_delay_alu instid0(VALU_DEP_1) | instskip(SKIP_1) | instid1(VALU_DEP_2)
	v_dual_lshlrev_b32 v1, 24, v3 :: v_dual_lshlrev_b32 v0, 20, v0
	v_lshl_add_u32 v3, v4, 23, 0x3c000000
	v_and_b32_e32 v1, 0x80000000, v1
	s_delay_alu instid0(VALU_DEP_1)
	v_or3_b32 v80, v0, v1, v3
	v_mov_b32_e32 v1, v81
	scratch_store_b64 off, v[0:1], s32 offset:192 ; 8-byte Folded Spill
.LBB232_1696:                           ;   in Loop: Header=BB232_10 Depth=1
	s_wait_xcnt 0x0
	s_or_b32 exec_lo, exec_lo, s15
.LBB232_1697:                           ;   in Loop: Header=BB232_10 Depth=1
	s_delay_alu instid0(SALU_CYCLE_1)
	s_or_b32 exec_lo, exec_lo, s11
.LBB232_1698:                           ;   in Loop: Header=BB232_10 Depth=1
	s_delay_alu instid0(SALU_CYCLE_1) | instskip(NEXT) | instid1(SALU_CYCLE_1)
	s_or_b32 exec_lo, exec_lo, s4
	s_mov_b32 s4, exec_lo
	v_cmpx_lt_u32_e32 0xffffff, v2
	s_cbranch_execz .LBB232_1706
; %bb.1699:                             ;   in Loop: Header=BB232_10 Depth=1
	v_mov_b64_e32 v[76:77], 0x8000000000000000
	v_lshrrev_b32_e32 v3, 24, v2
	s_mov_b32 s11, exec_lo
	s_delay_alu instid0(VALU_DEP_1)
	v_cmpx_ne_u32_e32 0x80, v3
	s_cbranch_execz .LBB232_1705
; %bb.1700:                             ;   in Loop: Header=BB232_10 Depth=1
	v_mov_b64_e32 v[76:77], 0x7f80000100000000
	v_bfe_u32 v0, v2, 24, 7
	s_mov_b32 s15, exec_lo
	s_delay_alu instid0(VALU_DEP_1)
	v_cmpx_ne_u32_e32 0x7f, v0
	s_cbranch_execz .LBB232_1704
; %bb.1701:                             ;   in Loop: Header=BB232_10 Depth=1
	scratch_load_b64 v[4:5], off, s32 offset:192 th:TH_LOAD_LU ; 8-byte Folded Reload
	s_wait_loadcnt 0x0
	v_dual_lshrrev_b32 v2, 3, v0 :: v_dual_bitop2_b32 v4, 7, v3 bitop3:0x40
	v_cmp_gt_u32_e64 s1, 8, v0
	s_delay_alu instid0(VALU_DEP_2)
	v_mov_b64_e32 v[0:1], v[4:5]
	s_wait_xcnt 0x0
	s_and_saveexec_b32 s16, s1
; %bb.1702:                             ;   in Loop: Header=BB232_10 Depth=1
	v_clz_i32_u32_e32 v0, v4
	s_delay_alu instid0(VALU_DEP_1) | instskip(NEXT) | instid1(VALU_DEP_1)
	v_min_u32_e32 v2, 32, v0
	v_subrev_nc_u32_e32 v0, 28, v2
	s_delay_alu instid0(VALU_DEP_1) | instskip(NEXT) | instid1(VALU_DEP_1)
	v_lshlrev_b64_e32 v[0:1], v0, v[4:5]
	v_dual_sub_nc_u32 v2, 29, v2 :: v_dual_bitop2_b32 v0, 7, v0 bitop3:0x40
; %bb.1703:                             ;   in Loop: Header=BB232_10 Depth=1
	s_or_b32 exec_lo, exec_lo, s16
	s_delay_alu instid0(VALU_DEP_1) | instskip(NEXT) | instid1(VALU_DEP_2)
	v_dual_lshlrev_b32 v1, 24, v3 :: v_dual_lshlrev_b32 v0, 20, v0
	v_lshl_add_u32 v2, v2, 23, 0x3c000000
	v_mov_b32_e32 v76, v5
	s_delay_alu instid0(VALU_DEP_3) | instskip(NEXT) | instid1(VALU_DEP_1)
	v_and_b32_e32 v1, 0x80000000, v1
	v_or3_b32 v77, v0, v1, v2
	v_mov_b32_e32 v1, v5
	scratch_store_b64 off, v[0:1], s32 offset:192 ; 8-byte Folded Spill
.LBB232_1704:                           ;   in Loop: Header=BB232_10 Depth=1
	s_wait_xcnt 0x0
	s_or_b32 exec_lo, exec_lo, s15
.LBB232_1705:                           ;   in Loop: Header=BB232_10 Depth=1
	s_delay_alu instid0(SALU_CYCLE_1)
	s_or_b32 exec_lo, exec_lo, s11
.LBB232_1706:                           ;   in Loop: Header=BB232_10 Depth=1
	s_delay_alu instid0(SALU_CYCLE_1)
	s_or_b32 exec_lo, exec_lo, s4
	flat_load_b32 v2, v[66:67] offset:6660
	v_mov_b64_e32 v[72:73], 0
	v_mov_b64_e32 v[64:65], 0
	s_mov_b32 s4, exec_lo
	s_wait_loadcnt_dscnt 0x0
	v_and_b32_e32 v0, 0xff, v2
	s_wait_xcnt 0x0
	s_delay_alu instid0(VALU_DEP_1)
	v_cmpx_ne_u16_e32 0, v0
	s_cbranch_execz .LBB232_1714
; %bb.1707:                             ;   in Loop: Header=BB232_10 Depth=1
	v_mov_b64_e32 v[64:65], 0x80000000
	s_mov_b32 s11, exec_lo
	v_cmpx_ne_u16_e32 0x80, v0
	s_cbranch_execz .LBB232_1713
; %bb.1708:                             ;   in Loop: Header=BB232_10 Depth=1
	v_mov_b64_e32 v[64:65], 0x7f800001
	v_and_b32_e32 v0, 0x7f, v2
	s_mov_b32 s15, exec_lo
	s_delay_alu instid0(VALU_DEP_1)
	v_cmpx_ne_u32_e32 0x7f, v0
	s_cbranch_execz .LBB232_1712
; %bb.1709:                             ;   in Loop: Header=BB232_10 Depth=1
	scratch_load_b64 v[64:65], off, s32 offset:192 th:TH_LOAD_LU ; 8-byte Folded Reload
	s_wait_loadcnt 0x0
	v_dual_lshrrev_b32 v3, 3, v0 :: v_dual_bitop2_b32 v64, 7, v2 bitop3:0x40
	v_cmp_gt_u32_e64 s1, 8, v0
	s_delay_alu instid0(VALU_DEP_2)
	v_mov_b64_e32 v[0:1], v[64:65]
	s_wait_xcnt 0x0
	s_and_saveexec_b32 s16, s1
; %bb.1710:                             ;   in Loop: Header=BB232_10 Depth=1
	v_clz_i32_u32_e32 v0, v64
	s_delay_alu instid0(VALU_DEP_1) | instskip(NEXT) | instid1(VALU_DEP_1)
	v_min_u32_e32 v3, 32, v0
	v_subrev_nc_u32_e32 v0, 28, v3
	s_delay_alu instid0(VALU_DEP_1) | instskip(NEXT) | instid1(VALU_DEP_1)
	v_lshlrev_b64_e32 v[0:1], v0, v[64:65]
	v_dual_sub_nc_u32 v3, 29, v3 :: v_dual_bitop2_b32 v0, 7, v0 bitop3:0x40
; %bb.1711:                             ;   in Loop: Header=BB232_10 Depth=1
	s_or_b32 exec_lo, exec_lo, s16
	s_delay_alu instid0(VALU_DEP_1) | instskip(NEXT) | instid1(VALU_DEP_2)
	v_dual_lshlrev_b32 v1, 24, v2 :: v_dual_lshlrev_b32 v0, 20, v0
	v_lshl_add_u32 v3, v3, 23, 0x3c000000
	s_delay_alu instid0(VALU_DEP_2) | instskip(NEXT) | instid1(VALU_DEP_1)
	v_and_b32_e32 v1, 0x80000000, v1
	v_or3_b32 v64, v0, v1, v3
	v_mov_b32_e32 v1, v65
	scratch_store_b64 off, v[0:1], s32 offset:192 ; 8-byte Folded Spill
.LBB232_1712:                           ;   in Loop: Header=BB232_10 Depth=1
	s_wait_xcnt 0x0
	s_or_b32 exec_lo, exec_lo, s15
.LBB232_1713:                           ;   in Loop: Header=BB232_10 Depth=1
	s_delay_alu instid0(SALU_CYCLE_1)
	s_or_b32 exec_lo, exec_lo, s11
.LBB232_1714:                           ;   in Loop: Header=BB232_10 Depth=1
	s_delay_alu instid0(SALU_CYCLE_1) | instskip(SKIP_2) | instid1(VALU_DEP_1)
	s_or_b32 exec_lo, exec_lo, s4
	v_lshrrev_b16 v0, 8, v2
	s_mov_b32 s4, exec_lo
	v_cmpx_ne_u16_e32 0, v0
	s_cbranch_execz .LBB232_1722
; %bb.1715:                             ;   in Loop: Header=BB232_10 Depth=1
	v_mov_b64_e32 v[72:73], 0x8000000000000000
	s_mov_b32 s11, exec_lo
	v_cmpx_ne_u16_e32 0x80, v0
	s_cbranch_execz .LBB232_1721
; %bb.1716:                             ;   in Loop: Header=BB232_10 Depth=1
	v_and_b32_e32 v1, 0xffff, v0
	v_mov_b64_e32 v[72:73], 0x7f80000100000000
	s_mov_b32 s15, exec_lo
	s_delay_alu instid0(VALU_DEP_2) | instskip(NEXT) | instid1(VALU_DEP_1)
	v_and_b32_e32 v0, 0x7f, v1
	v_cmpx_ne_u32_e32 0x7f, v0
	s_cbranch_execz .LBB232_1720
; %bb.1717:                             ;   in Loop: Header=BB232_10 Depth=1
	scratch_load_b64 v[4:5], off, s32 offset:192 th:TH_LOAD_LU ; 8-byte Folded Reload
	s_wait_loadcnt 0x0
	v_dual_lshrrev_b32 v3, 3, v0 :: v_dual_bitop2_b32 v4, 7, v1 bitop3:0x40
	v_cmp_gt_u32_e64 s1, 8, v0
	s_delay_alu instid0(VALU_DEP_2)
	v_mov_b64_e32 v[0:1], v[4:5]
	s_wait_xcnt 0x0
	s_and_saveexec_b32 s16, s1
; %bb.1718:                             ;   in Loop: Header=BB232_10 Depth=1
	v_clz_i32_u32_e32 v0, v4
	s_delay_alu instid0(VALU_DEP_1) | instskip(NEXT) | instid1(VALU_DEP_1)
	v_min_u32_e32 v3, 32, v0
	v_subrev_nc_u32_e32 v0, 28, v3
	s_delay_alu instid0(VALU_DEP_1) | instskip(NEXT) | instid1(VALU_DEP_1)
	v_lshlrev_b64_e32 v[0:1], v0, v[4:5]
	v_dual_sub_nc_u32 v3, 29, v3 :: v_dual_bitop2_b32 v0, 7, v0 bitop3:0x40
; %bb.1719:                             ;   in Loop: Header=BB232_10 Depth=1
	s_or_b32 exec_lo, exec_lo, s16
	s_delay_alu instid0(VALU_DEP_1) | instskip(NEXT) | instid1(VALU_DEP_2)
	v_dual_lshlrev_b32 v1, 16, v2 :: v_dual_lshlrev_b32 v0, 20, v0
	v_lshl_add_u32 v3, v3, 23, 0x3c000000
	v_mov_b32_e32 v72, v5
	s_delay_alu instid0(VALU_DEP_3) | instskip(NEXT) | instid1(VALU_DEP_1)
	v_and_b32_e32 v1, 0x80000000, v1
	v_or3_b32 v73, v0, v1, v3
	v_mov_b32_e32 v1, v5
	scratch_store_b64 off, v[0:1], s32 offset:192 ; 8-byte Folded Spill
.LBB232_1720:                           ;   in Loop: Header=BB232_10 Depth=1
	s_wait_xcnt 0x0
	s_or_b32 exec_lo, exec_lo, s15
.LBB232_1721:                           ;   in Loop: Header=BB232_10 Depth=1
	s_delay_alu instid0(SALU_CYCLE_1)
	s_or_b32 exec_lo, exec_lo, s11
.LBB232_1722:                           ;   in Loop: Header=BB232_10 Depth=1
	s_delay_alu instid0(SALU_CYCLE_1) | instskip(SKIP_4) | instid1(VALU_DEP_3)
	s_or_b32 exec_lo, exec_lo, s4
	v_lshrrev_b32_e32 v3, 16, v2
	v_mov_b64_e32 v[120:121], 0
	v_mov_b64_e32 v[70:71], 0
	s_mov_b32 s4, exec_lo
	v_and_b32_e32 v0, 0xff, v3
	s_delay_alu instid0(VALU_DEP_1)
	v_cmpx_ne_u16_e32 0, v0
	s_cbranch_execz .LBB232_1730
; %bb.1723:                             ;   in Loop: Header=BB232_10 Depth=1
	v_mov_b64_e32 v[70:71], 0x80000000
	s_mov_b32 s11, exec_lo
	v_cmpx_ne_u16_e32 0x80, v0
	s_cbranch_execz .LBB232_1729
; %bb.1724:                             ;   in Loop: Header=BB232_10 Depth=1
	v_mov_b64_e32 v[70:71], 0x7f800001
	v_bfe_u32 v0, v2, 16, 7
	s_mov_b32 s15, exec_lo
	s_delay_alu instid0(VALU_DEP_1)
	v_cmpx_ne_u32_e32 0x7f, v0
	s_cbranch_execz .LBB232_1728
; %bb.1725:                             ;   in Loop: Header=BB232_10 Depth=1
	scratch_load_b64 v[70:71], off, s32 offset:192 th:TH_LOAD_LU ; 8-byte Folded Reload
	s_wait_loadcnt 0x0
	v_dual_lshrrev_b32 v4, 3, v0 :: v_dual_bitop2_b32 v70, 7, v3 bitop3:0x40
	v_cmp_gt_u32_e64 s1, 8, v0
	s_delay_alu instid0(VALU_DEP_2)
	v_mov_b64_e32 v[0:1], v[70:71]
	s_wait_xcnt 0x0
	s_and_saveexec_b32 s16, s1
; %bb.1726:                             ;   in Loop: Header=BB232_10 Depth=1
	v_clz_i32_u32_e32 v0, v70
	s_delay_alu instid0(VALU_DEP_1) | instskip(NEXT) | instid1(VALU_DEP_1)
	v_min_u32_e32 v4, 32, v0
	v_subrev_nc_u32_e32 v0, 28, v4
	v_sub_nc_u32_e32 v4, 29, v4
	s_delay_alu instid0(VALU_DEP_2) | instskip(NEXT) | instid1(VALU_DEP_1)
	v_lshlrev_b64_e32 v[0:1], v0, v[70:71]
	v_and_b32_e32 v0, 7, v0
; %bb.1727:                             ;   in Loop: Header=BB232_10 Depth=1
	s_or_b32 exec_lo, exec_lo, s16
	s_delay_alu instid0(VALU_DEP_1) | instskip(SKIP_1) | instid1(VALU_DEP_2)
	v_dual_lshlrev_b32 v1, 24, v3 :: v_dual_lshlrev_b32 v0, 20, v0
	v_lshl_add_u32 v3, v4, 23, 0x3c000000
	v_and_b32_e32 v1, 0x80000000, v1
	s_delay_alu instid0(VALU_DEP_1)
	v_or3_b32 v70, v0, v1, v3
	v_mov_b32_e32 v1, v71
	scratch_store_b64 off, v[0:1], s32 offset:192 ; 8-byte Folded Spill
.LBB232_1728:                           ;   in Loop: Header=BB232_10 Depth=1
	s_wait_xcnt 0x0
	s_or_b32 exec_lo, exec_lo, s15
.LBB232_1729:                           ;   in Loop: Header=BB232_10 Depth=1
	s_delay_alu instid0(SALU_CYCLE_1)
	s_or_b32 exec_lo, exec_lo, s11
.LBB232_1730:                           ;   in Loop: Header=BB232_10 Depth=1
	s_delay_alu instid0(SALU_CYCLE_1) | instskip(NEXT) | instid1(SALU_CYCLE_1)
	s_or_b32 exec_lo, exec_lo, s4
	s_mov_b32 s4, exec_lo
	v_cmpx_lt_u32_e32 0xffffff, v2
	s_cbranch_execz .LBB232_1738
; %bb.1731:                             ;   in Loop: Header=BB232_10 Depth=1
	v_mov_b64_e32 v[120:121], 0x8000000000000000
	v_lshrrev_b32_e32 v3, 24, v2
	s_mov_b32 s11, exec_lo
	s_delay_alu instid0(VALU_DEP_1)
	v_cmpx_ne_u32_e32 0x80, v3
	s_cbranch_execz .LBB232_1737
; %bb.1732:                             ;   in Loop: Header=BB232_10 Depth=1
	v_mov_b64_e32 v[120:121], 0x7f80000100000000
	v_bfe_u32 v0, v2, 24, 7
	s_mov_b32 s15, exec_lo
	s_delay_alu instid0(VALU_DEP_1)
	v_cmpx_ne_u32_e32 0x7f, v0
	s_cbranch_execz .LBB232_1736
; %bb.1733:                             ;   in Loop: Header=BB232_10 Depth=1
	scratch_load_b64 v[4:5], off, s32 offset:192 th:TH_LOAD_LU ; 8-byte Folded Reload
	s_wait_loadcnt 0x0
	v_dual_lshrrev_b32 v2, 3, v0 :: v_dual_bitop2_b32 v4, 7, v3 bitop3:0x40
	v_cmp_gt_u32_e64 s1, 8, v0
	s_delay_alu instid0(VALU_DEP_2)
	v_mov_b64_e32 v[0:1], v[4:5]
	s_wait_xcnt 0x0
	s_and_saveexec_b32 s16, s1
; %bb.1734:                             ;   in Loop: Header=BB232_10 Depth=1
	v_clz_i32_u32_e32 v0, v4
	s_delay_alu instid0(VALU_DEP_1) | instskip(NEXT) | instid1(VALU_DEP_1)
	v_min_u32_e32 v2, 32, v0
	v_subrev_nc_u32_e32 v0, 28, v2
	s_delay_alu instid0(VALU_DEP_1) | instskip(NEXT) | instid1(VALU_DEP_1)
	v_lshlrev_b64_e32 v[0:1], v0, v[4:5]
	v_dual_sub_nc_u32 v2, 29, v2 :: v_dual_bitop2_b32 v0, 7, v0 bitop3:0x40
; %bb.1735:                             ;   in Loop: Header=BB232_10 Depth=1
	s_or_b32 exec_lo, exec_lo, s16
	s_delay_alu instid0(VALU_DEP_1) | instskip(NEXT) | instid1(VALU_DEP_2)
	v_dual_lshlrev_b32 v1, 24, v3 :: v_dual_lshlrev_b32 v0, 20, v0
	v_lshl_add_u32 v2, v2, 23, 0x3c000000
	v_mov_b32_e32 v120, v5
	s_delay_alu instid0(VALU_DEP_3) | instskip(NEXT) | instid1(VALU_DEP_1)
	v_and_b32_e32 v1, 0x80000000, v1
	v_or3_b32 v121, v0, v1, v2
	v_mov_b32_e32 v1, v5
	scratch_store_b64 off, v[0:1], s32 offset:192 ; 8-byte Folded Spill
.LBB232_1736:                           ;   in Loop: Header=BB232_10 Depth=1
	s_wait_xcnt 0x0
	s_or_b32 exec_lo, exec_lo, s15
.LBB232_1737:                           ;   in Loop: Header=BB232_10 Depth=1
	s_delay_alu instid0(SALU_CYCLE_1)
	s_or_b32 exec_lo, exec_lo, s11
.LBB232_1738:                           ;   in Loop: Header=BB232_10 Depth=1
	s_delay_alu instid0(SALU_CYCLE_1)
	s_or_b32 exec_lo, exec_lo, s4
	flat_load_b32 v2, v[66:67] offset:6664
	v_mov_b64_e32 v[60:61], 0
	v_mov_b64_e32 v[118:119], 0
	s_mov_b32 s4, exec_lo
	s_wait_loadcnt_dscnt 0x0
	v_and_b32_e32 v0, 0xff, v2
	s_wait_xcnt 0x0
	s_delay_alu instid0(VALU_DEP_1)
	v_cmpx_ne_u16_e32 0, v0
	s_cbranch_execz .LBB232_1746
; %bb.1739:                             ;   in Loop: Header=BB232_10 Depth=1
	v_mov_b64_e32 v[118:119], 0x80000000
	s_mov_b32 s11, exec_lo
	v_cmpx_ne_u16_e32 0x80, v0
	s_cbranch_execz .LBB232_1745
; %bb.1740:                             ;   in Loop: Header=BB232_10 Depth=1
	v_mov_b64_e32 v[118:119], 0x7f800001
	v_and_b32_e32 v0, 0x7f, v2
	s_mov_b32 s15, exec_lo
	s_delay_alu instid0(VALU_DEP_1)
	v_cmpx_ne_u32_e32 0x7f, v0
	s_cbranch_execz .LBB232_1744
; %bb.1741:                             ;   in Loop: Header=BB232_10 Depth=1
	scratch_load_b64 v[118:119], off, s32 offset:192 th:TH_LOAD_LU ; 8-byte Folded Reload
	s_wait_loadcnt 0x0
	v_dual_lshrrev_b32 v3, 3, v0 :: v_dual_bitop2_b32 v118, 7, v2 bitop3:0x40
	v_cmp_gt_u32_e64 s1, 8, v0
	s_delay_alu instid0(VALU_DEP_2)
	v_mov_b64_e32 v[0:1], v[118:119]
	s_wait_xcnt 0x0
	s_and_saveexec_b32 s16, s1
; %bb.1742:                             ;   in Loop: Header=BB232_10 Depth=1
	v_clz_i32_u32_e32 v0, v118
	s_delay_alu instid0(VALU_DEP_1) | instskip(NEXT) | instid1(VALU_DEP_1)
	v_min_u32_e32 v3, 32, v0
	v_subrev_nc_u32_e32 v0, 28, v3
	s_delay_alu instid0(VALU_DEP_1) | instskip(NEXT) | instid1(VALU_DEP_1)
	v_lshlrev_b64_e32 v[0:1], v0, v[118:119]
	v_dual_sub_nc_u32 v3, 29, v3 :: v_dual_bitop2_b32 v0, 7, v0 bitop3:0x40
; %bb.1743:                             ;   in Loop: Header=BB232_10 Depth=1
	s_or_b32 exec_lo, exec_lo, s16
	s_delay_alu instid0(VALU_DEP_1) | instskip(NEXT) | instid1(VALU_DEP_2)
	v_dual_lshlrev_b32 v1, 24, v2 :: v_dual_lshlrev_b32 v0, 20, v0
	v_lshl_add_u32 v3, v3, 23, 0x3c000000
	s_delay_alu instid0(VALU_DEP_2) | instskip(NEXT) | instid1(VALU_DEP_1)
	v_and_b32_e32 v1, 0x80000000, v1
	v_or3_b32 v118, v0, v1, v3
	v_mov_b32_e32 v1, v119
	scratch_store_b64 off, v[0:1], s32 offset:192 ; 8-byte Folded Spill
.LBB232_1744:                           ;   in Loop: Header=BB232_10 Depth=1
	s_wait_xcnt 0x0
	s_or_b32 exec_lo, exec_lo, s15
.LBB232_1745:                           ;   in Loop: Header=BB232_10 Depth=1
	s_delay_alu instid0(SALU_CYCLE_1)
	s_or_b32 exec_lo, exec_lo, s11
.LBB232_1746:                           ;   in Loop: Header=BB232_10 Depth=1
	s_delay_alu instid0(SALU_CYCLE_1) | instskip(SKIP_2) | instid1(VALU_DEP_1)
	s_or_b32 exec_lo, exec_lo, s4
	v_lshrrev_b16 v0, 8, v2
	s_mov_b32 s4, exec_lo
	v_cmpx_ne_u16_e32 0, v0
	s_cbranch_execz .LBB232_1754
; %bb.1747:                             ;   in Loop: Header=BB232_10 Depth=1
	v_mov_b64_e32 v[60:61], 0x8000000000000000
	s_mov_b32 s11, exec_lo
	v_cmpx_ne_u16_e32 0x80, v0
	s_cbranch_execz .LBB232_1753
; %bb.1748:                             ;   in Loop: Header=BB232_10 Depth=1
	v_and_b32_e32 v1, 0xffff, v0
	v_mov_b64_e32 v[60:61], 0x7f80000100000000
	s_mov_b32 s15, exec_lo
	s_delay_alu instid0(VALU_DEP_2) | instskip(NEXT) | instid1(VALU_DEP_1)
	v_and_b32_e32 v0, 0x7f, v1
	v_cmpx_ne_u32_e32 0x7f, v0
	s_cbranch_execz .LBB232_1752
; %bb.1749:                             ;   in Loop: Header=BB232_10 Depth=1
	scratch_load_b64 v[4:5], off, s32 offset:192 th:TH_LOAD_LU ; 8-byte Folded Reload
	s_wait_loadcnt 0x0
	v_dual_lshrrev_b32 v3, 3, v0 :: v_dual_bitop2_b32 v4, 7, v1 bitop3:0x40
	v_cmp_gt_u32_e64 s1, 8, v0
	s_delay_alu instid0(VALU_DEP_2)
	v_mov_b64_e32 v[0:1], v[4:5]
	s_wait_xcnt 0x0
	s_and_saveexec_b32 s16, s1
; %bb.1750:                             ;   in Loop: Header=BB232_10 Depth=1
	v_clz_i32_u32_e32 v0, v4
	s_delay_alu instid0(VALU_DEP_1) | instskip(NEXT) | instid1(VALU_DEP_1)
	v_min_u32_e32 v3, 32, v0
	v_subrev_nc_u32_e32 v0, 28, v3
	s_delay_alu instid0(VALU_DEP_1) | instskip(NEXT) | instid1(VALU_DEP_1)
	v_lshlrev_b64_e32 v[0:1], v0, v[4:5]
	v_dual_sub_nc_u32 v3, 29, v3 :: v_dual_bitop2_b32 v0, 7, v0 bitop3:0x40
; %bb.1751:                             ;   in Loop: Header=BB232_10 Depth=1
	s_or_b32 exec_lo, exec_lo, s16
	s_delay_alu instid0(VALU_DEP_1) | instskip(NEXT) | instid1(VALU_DEP_2)
	v_dual_lshlrev_b32 v1, 16, v2 :: v_dual_lshlrev_b32 v0, 20, v0
	v_lshl_add_u32 v3, v3, 23, 0x3c000000
	v_mov_b32_e32 v60, v5
	s_delay_alu instid0(VALU_DEP_3) | instskip(NEXT) | instid1(VALU_DEP_1)
	v_and_b32_e32 v1, 0x80000000, v1
	v_or3_b32 v61, v0, v1, v3
	v_mov_b32_e32 v1, v5
	scratch_store_b64 off, v[0:1], s32 offset:192 ; 8-byte Folded Spill
.LBB232_1752:                           ;   in Loop: Header=BB232_10 Depth=1
	s_wait_xcnt 0x0
	s_or_b32 exec_lo, exec_lo, s15
.LBB232_1753:                           ;   in Loop: Header=BB232_10 Depth=1
	s_delay_alu instid0(SALU_CYCLE_1)
	s_or_b32 exec_lo, exec_lo, s11
.LBB232_1754:                           ;   in Loop: Header=BB232_10 Depth=1
	s_delay_alu instid0(SALU_CYCLE_1) | instskip(SKIP_4) | instid1(VALU_DEP_3)
	s_or_b32 exec_lo, exec_lo, s4
	v_lshrrev_b32_e32 v3, 16, v2
	v_mov_b64_e32 v[126:127], 0
	v_mov_b64_e32 v[40:41], 0
	s_mov_b32 s4, exec_lo
	v_and_b32_e32 v0, 0xff, v3
	s_delay_alu instid0(VALU_DEP_1)
	v_cmpx_ne_u16_e32 0, v0
	s_cbranch_execz .LBB232_1762
; %bb.1755:                             ;   in Loop: Header=BB232_10 Depth=1
	v_mov_b64_e32 v[40:41], 0x80000000
	s_mov_b32 s11, exec_lo
	v_cmpx_ne_u16_e32 0x80, v0
	s_cbranch_execz .LBB232_1761
; %bb.1756:                             ;   in Loop: Header=BB232_10 Depth=1
	v_mov_b64_e32 v[40:41], 0x7f800001
	v_bfe_u32 v0, v2, 16, 7
	s_mov_b32 s15, exec_lo
	s_delay_alu instid0(VALU_DEP_1)
	v_cmpx_ne_u32_e32 0x7f, v0
	s_cbranch_execz .LBB232_1760
; %bb.1757:                             ;   in Loop: Header=BB232_10 Depth=1
	scratch_load_b64 v[40:41], off, s32 offset:192 th:TH_LOAD_LU ; 8-byte Folded Reload
	s_wait_loadcnt 0x0
	v_dual_lshrrev_b32 v4, 3, v0 :: v_dual_bitop2_b32 v40, 7, v3 bitop3:0x40
	v_cmp_gt_u32_e64 s1, 8, v0
	s_delay_alu instid0(VALU_DEP_2)
	v_mov_b64_e32 v[0:1], v[40:41]
	s_wait_xcnt 0x0
	s_and_saveexec_b32 s16, s1
; %bb.1758:                             ;   in Loop: Header=BB232_10 Depth=1
	v_clz_i32_u32_e32 v0, v40
	s_delay_alu instid0(VALU_DEP_1) | instskip(NEXT) | instid1(VALU_DEP_1)
	v_min_u32_e32 v4, 32, v0
	v_subrev_nc_u32_e32 v0, 28, v4
	v_sub_nc_u32_e32 v4, 29, v4
	s_delay_alu instid0(VALU_DEP_2) | instskip(NEXT) | instid1(VALU_DEP_1)
	v_lshlrev_b64_e32 v[0:1], v0, v[40:41]
	v_and_b32_e32 v0, 7, v0
; %bb.1759:                             ;   in Loop: Header=BB232_10 Depth=1
	s_or_b32 exec_lo, exec_lo, s16
	s_delay_alu instid0(VALU_DEP_1) | instskip(SKIP_1) | instid1(VALU_DEP_2)
	v_dual_lshlrev_b32 v1, 24, v3 :: v_dual_lshlrev_b32 v0, 20, v0
	v_lshl_add_u32 v3, v4, 23, 0x3c000000
	v_and_b32_e32 v1, 0x80000000, v1
	s_delay_alu instid0(VALU_DEP_1)
	v_or3_b32 v40, v0, v1, v3
	v_mov_b32_e32 v1, v41
	scratch_store_b64 off, v[0:1], s32 offset:192 ; 8-byte Folded Spill
.LBB232_1760:                           ;   in Loop: Header=BB232_10 Depth=1
	s_wait_xcnt 0x0
	s_or_b32 exec_lo, exec_lo, s15
.LBB232_1761:                           ;   in Loop: Header=BB232_10 Depth=1
	s_delay_alu instid0(SALU_CYCLE_1)
	s_or_b32 exec_lo, exec_lo, s11
.LBB232_1762:                           ;   in Loop: Header=BB232_10 Depth=1
	s_delay_alu instid0(SALU_CYCLE_1) | instskip(NEXT) | instid1(SALU_CYCLE_1)
	s_or_b32 exec_lo, exec_lo, s4
	s_mov_b32 s4, exec_lo
	v_cmpx_lt_u32_e32 0xffffff, v2
	s_cbranch_execz .LBB232_1770
; %bb.1763:                             ;   in Loop: Header=BB232_10 Depth=1
	v_mov_b64_e32 v[126:127], 0x8000000000000000
	v_lshrrev_b32_e32 v3, 24, v2
	s_mov_b32 s11, exec_lo
	s_delay_alu instid0(VALU_DEP_1)
	v_cmpx_ne_u32_e32 0x80, v3
	s_cbranch_execz .LBB232_1769
; %bb.1764:                             ;   in Loop: Header=BB232_10 Depth=1
	v_mov_b64_e32 v[126:127], 0x7f80000100000000
	v_bfe_u32 v0, v2, 24, 7
	s_mov_b32 s15, exec_lo
	s_delay_alu instid0(VALU_DEP_1)
	v_cmpx_ne_u32_e32 0x7f, v0
	s_cbranch_execz .LBB232_1768
; %bb.1765:                             ;   in Loop: Header=BB232_10 Depth=1
	scratch_load_b64 v[4:5], off, s32 offset:192 th:TH_LOAD_LU ; 8-byte Folded Reload
	s_wait_loadcnt 0x0
	v_dual_lshrrev_b32 v2, 3, v0 :: v_dual_bitop2_b32 v4, 7, v3 bitop3:0x40
	v_cmp_gt_u32_e64 s1, 8, v0
	s_delay_alu instid0(VALU_DEP_2)
	v_mov_b64_e32 v[0:1], v[4:5]
	s_wait_xcnt 0x0
	s_and_saveexec_b32 s16, s1
; %bb.1766:                             ;   in Loop: Header=BB232_10 Depth=1
	v_clz_i32_u32_e32 v0, v4
	s_delay_alu instid0(VALU_DEP_1) | instskip(NEXT) | instid1(VALU_DEP_1)
	v_min_u32_e32 v2, 32, v0
	v_subrev_nc_u32_e32 v0, 28, v2
	s_delay_alu instid0(VALU_DEP_1) | instskip(NEXT) | instid1(VALU_DEP_1)
	v_lshlrev_b64_e32 v[0:1], v0, v[4:5]
	v_dual_sub_nc_u32 v2, 29, v2 :: v_dual_bitop2_b32 v0, 7, v0 bitop3:0x40
; %bb.1767:                             ;   in Loop: Header=BB232_10 Depth=1
	s_or_b32 exec_lo, exec_lo, s16
	s_delay_alu instid0(VALU_DEP_1) | instskip(NEXT) | instid1(VALU_DEP_2)
	v_dual_lshlrev_b32 v1, 24, v3 :: v_dual_lshlrev_b32 v0, 20, v0
	v_lshl_add_u32 v2, v2, 23, 0x3c000000
	v_mov_b32_e32 v126, v5
	s_delay_alu instid0(VALU_DEP_3) | instskip(NEXT) | instid1(VALU_DEP_1)
	v_and_b32_e32 v1, 0x80000000, v1
	v_or3_b32 v127, v0, v1, v2
	v_mov_b32_e32 v1, v5
	scratch_store_b64 off, v[0:1], s32 offset:192 ; 8-byte Folded Spill
.LBB232_1768:                           ;   in Loop: Header=BB232_10 Depth=1
	s_wait_xcnt 0x0
	s_or_b32 exec_lo, exec_lo, s15
.LBB232_1769:                           ;   in Loop: Header=BB232_10 Depth=1
	s_delay_alu instid0(SALU_CYCLE_1)
	s_or_b32 exec_lo, exec_lo, s11
.LBB232_1770:                           ;   in Loop: Header=BB232_10 Depth=1
	s_delay_alu instid0(SALU_CYCLE_1)
	s_or_b32 exec_lo, exec_lo, s4
	flat_load_b32 v2, v[66:67] offset:6668
	v_mov_b64_e32 v[102:103], 0
	v_mov_b64_e32 v[32:33], 0
	s_mov_b32 s4, exec_lo
	s_wait_loadcnt_dscnt 0x0
	v_and_b32_e32 v0, 0xff, v2
	s_wait_xcnt 0x0
	s_delay_alu instid0(VALU_DEP_1)
	v_cmpx_ne_u16_e32 0, v0
	s_cbranch_execz .LBB232_1778
; %bb.1771:                             ;   in Loop: Header=BB232_10 Depth=1
	v_mov_b64_e32 v[32:33], 0x80000000
	s_mov_b32 s11, exec_lo
	v_cmpx_ne_u16_e32 0x80, v0
	s_cbranch_execz .LBB232_1777
; %bb.1772:                             ;   in Loop: Header=BB232_10 Depth=1
	v_mov_b64_e32 v[32:33], 0x7f800001
	v_and_b32_e32 v0, 0x7f, v2
	s_mov_b32 s15, exec_lo
	s_delay_alu instid0(VALU_DEP_1)
	v_cmpx_ne_u32_e32 0x7f, v0
	s_cbranch_execz .LBB232_1776
; %bb.1773:                             ;   in Loop: Header=BB232_10 Depth=1
	scratch_load_b64 v[32:33], off, s32 offset:192 th:TH_LOAD_LU ; 8-byte Folded Reload
	s_wait_loadcnt 0x0
	v_dual_lshrrev_b32 v3, 3, v0 :: v_dual_bitop2_b32 v32, 7, v2 bitop3:0x40
	v_cmp_gt_u32_e64 s1, 8, v0
	s_delay_alu instid0(VALU_DEP_2)
	v_mov_b64_e32 v[0:1], v[32:33]
	s_wait_xcnt 0x0
	s_and_saveexec_b32 s16, s1
; %bb.1774:                             ;   in Loop: Header=BB232_10 Depth=1
	v_clz_i32_u32_e32 v0, v32
	s_delay_alu instid0(VALU_DEP_1) | instskip(NEXT) | instid1(VALU_DEP_1)
	v_min_u32_e32 v3, 32, v0
	v_subrev_nc_u32_e32 v0, 28, v3
	s_delay_alu instid0(VALU_DEP_1) | instskip(NEXT) | instid1(VALU_DEP_1)
	v_lshlrev_b64_e32 v[0:1], v0, v[32:33]
	v_dual_sub_nc_u32 v3, 29, v3 :: v_dual_bitop2_b32 v0, 7, v0 bitop3:0x40
; %bb.1775:                             ;   in Loop: Header=BB232_10 Depth=1
	s_or_b32 exec_lo, exec_lo, s16
	s_delay_alu instid0(VALU_DEP_1) | instskip(NEXT) | instid1(VALU_DEP_2)
	v_dual_lshlrev_b32 v1, 24, v2 :: v_dual_lshlrev_b32 v0, 20, v0
	v_lshl_add_u32 v3, v3, 23, 0x3c000000
	s_delay_alu instid0(VALU_DEP_2) | instskip(NEXT) | instid1(VALU_DEP_1)
	v_and_b32_e32 v1, 0x80000000, v1
	v_or3_b32 v32, v0, v1, v3
	v_mov_b32_e32 v1, v33
	scratch_store_b64 off, v[0:1], s32 offset:192 ; 8-byte Folded Spill
.LBB232_1776:                           ;   in Loop: Header=BB232_10 Depth=1
	s_wait_xcnt 0x0
	s_or_b32 exec_lo, exec_lo, s15
.LBB232_1777:                           ;   in Loop: Header=BB232_10 Depth=1
	s_delay_alu instid0(SALU_CYCLE_1)
	s_or_b32 exec_lo, exec_lo, s11
.LBB232_1778:                           ;   in Loop: Header=BB232_10 Depth=1
	s_delay_alu instid0(SALU_CYCLE_1) | instskip(SKIP_2) | instid1(VALU_DEP_1)
	s_or_b32 exec_lo, exec_lo, s4
	v_lshrrev_b16 v0, 8, v2
	s_mov_b32 s4, exec_lo
	v_cmpx_ne_u16_e32 0, v0
	s_cbranch_execz .LBB232_1786
; %bb.1779:                             ;   in Loop: Header=BB232_10 Depth=1
	v_mov_b64_e32 v[102:103], 0x8000000000000000
	s_mov_b32 s11, exec_lo
	v_cmpx_ne_u16_e32 0x80, v0
	s_cbranch_execz .LBB232_1785
; %bb.1780:                             ;   in Loop: Header=BB232_10 Depth=1
	v_and_b32_e32 v1, 0xffff, v0
	v_mov_b64_e32 v[102:103], 0x7f80000100000000
	s_mov_b32 s15, exec_lo
	s_delay_alu instid0(VALU_DEP_2) | instskip(NEXT) | instid1(VALU_DEP_1)
	v_and_b32_e32 v0, 0x7f, v1
	v_cmpx_ne_u32_e32 0x7f, v0
	s_cbranch_execz .LBB232_1784
; %bb.1781:                             ;   in Loop: Header=BB232_10 Depth=1
	scratch_load_b64 v[4:5], off, s32 offset:192 th:TH_LOAD_LU ; 8-byte Folded Reload
	s_wait_loadcnt 0x0
	v_dual_lshrrev_b32 v3, 3, v0 :: v_dual_bitop2_b32 v4, 7, v1 bitop3:0x40
	v_cmp_gt_u32_e64 s1, 8, v0
	s_delay_alu instid0(VALU_DEP_2)
	v_mov_b64_e32 v[0:1], v[4:5]
	s_wait_xcnt 0x0
	s_and_saveexec_b32 s16, s1
; %bb.1782:                             ;   in Loop: Header=BB232_10 Depth=1
	v_clz_i32_u32_e32 v0, v4
	s_delay_alu instid0(VALU_DEP_1) | instskip(NEXT) | instid1(VALU_DEP_1)
	v_min_u32_e32 v3, 32, v0
	v_subrev_nc_u32_e32 v0, 28, v3
	s_delay_alu instid0(VALU_DEP_1) | instskip(NEXT) | instid1(VALU_DEP_1)
	v_lshlrev_b64_e32 v[0:1], v0, v[4:5]
	v_dual_sub_nc_u32 v3, 29, v3 :: v_dual_bitop2_b32 v0, 7, v0 bitop3:0x40
; %bb.1783:                             ;   in Loop: Header=BB232_10 Depth=1
	s_or_b32 exec_lo, exec_lo, s16
	s_delay_alu instid0(VALU_DEP_1) | instskip(NEXT) | instid1(VALU_DEP_2)
	v_dual_lshlrev_b32 v1, 16, v2 :: v_dual_lshlrev_b32 v0, 20, v0
	v_lshl_add_u32 v3, v3, 23, 0x3c000000
	v_mov_b32_e32 v102, v5
	s_delay_alu instid0(VALU_DEP_3) | instskip(NEXT) | instid1(VALU_DEP_1)
	v_and_b32_e32 v1, 0x80000000, v1
	v_or3_b32 v103, v0, v1, v3
	v_mov_b32_e32 v1, v5
	scratch_store_b64 off, v[0:1], s32 offset:192 ; 8-byte Folded Spill
.LBB232_1784:                           ;   in Loop: Header=BB232_10 Depth=1
	s_wait_xcnt 0x0
	s_or_b32 exec_lo, exec_lo, s15
.LBB232_1785:                           ;   in Loop: Header=BB232_10 Depth=1
	s_delay_alu instid0(SALU_CYCLE_1)
	s_or_b32 exec_lo, exec_lo, s11
.LBB232_1786:                           ;   in Loop: Header=BB232_10 Depth=1
	s_delay_alu instid0(SALU_CYCLE_1) | instskip(SKIP_4) | instid1(VALU_DEP_3)
	s_or_b32 exec_lo, exec_lo, s4
	v_lshrrev_b32_e32 v3, 16, v2
	v_mov_b64_e32 v[98:99], 0
	v_mov_b64_e32 v[122:123], 0
	s_mov_b32 s4, exec_lo
	v_and_b32_e32 v0, 0xff, v3
	s_delay_alu instid0(VALU_DEP_1)
	v_cmpx_ne_u16_e32 0, v0
	s_cbranch_execz .LBB232_1794
; %bb.1787:                             ;   in Loop: Header=BB232_10 Depth=1
	v_mov_b64_e32 v[122:123], 0x80000000
	s_mov_b32 s11, exec_lo
	v_cmpx_ne_u16_e32 0x80, v0
	s_cbranch_execz .LBB232_1793
; %bb.1788:                             ;   in Loop: Header=BB232_10 Depth=1
	v_mov_b64_e32 v[122:123], 0x7f800001
	v_bfe_u32 v0, v2, 16, 7
	s_mov_b32 s15, exec_lo
	s_delay_alu instid0(VALU_DEP_1)
	v_cmpx_ne_u32_e32 0x7f, v0
	s_cbranch_execz .LBB232_1792
; %bb.1789:                             ;   in Loop: Header=BB232_10 Depth=1
	scratch_load_b64 v[122:123], off, s32 offset:192 th:TH_LOAD_LU ; 8-byte Folded Reload
	s_wait_loadcnt 0x0
	v_dual_lshrrev_b32 v4, 3, v0 :: v_dual_bitop2_b32 v122, 7, v3 bitop3:0x40
	v_cmp_gt_u32_e64 s1, 8, v0
	s_delay_alu instid0(VALU_DEP_2)
	v_mov_b64_e32 v[0:1], v[122:123]
	s_wait_xcnt 0x0
	s_and_saveexec_b32 s16, s1
; %bb.1790:                             ;   in Loop: Header=BB232_10 Depth=1
	v_clz_i32_u32_e32 v0, v122
	s_delay_alu instid0(VALU_DEP_1) | instskip(NEXT) | instid1(VALU_DEP_1)
	v_min_u32_e32 v4, 32, v0
	v_subrev_nc_u32_e32 v0, 28, v4
	v_sub_nc_u32_e32 v4, 29, v4
	s_delay_alu instid0(VALU_DEP_2) | instskip(NEXT) | instid1(VALU_DEP_1)
	v_lshlrev_b64_e32 v[0:1], v0, v[122:123]
	v_and_b32_e32 v0, 7, v0
; %bb.1791:                             ;   in Loop: Header=BB232_10 Depth=1
	s_or_b32 exec_lo, exec_lo, s16
	s_delay_alu instid0(VALU_DEP_1) | instskip(SKIP_1) | instid1(VALU_DEP_2)
	v_dual_lshlrev_b32 v1, 24, v3 :: v_dual_lshlrev_b32 v0, 20, v0
	v_lshl_add_u32 v3, v4, 23, 0x3c000000
	v_and_b32_e32 v1, 0x80000000, v1
	s_delay_alu instid0(VALU_DEP_1)
	v_or3_b32 v122, v0, v1, v3
	v_mov_b32_e32 v1, v123
	scratch_store_b64 off, v[0:1], s32 offset:192 ; 8-byte Folded Spill
.LBB232_1792:                           ;   in Loop: Header=BB232_10 Depth=1
	s_wait_xcnt 0x0
	s_or_b32 exec_lo, exec_lo, s15
.LBB232_1793:                           ;   in Loop: Header=BB232_10 Depth=1
	s_delay_alu instid0(SALU_CYCLE_1)
	s_or_b32 exec_lo, exec_lo, s11
.LBB232_1794:                           ;   in Loop: Header=BB232_10 Depth=1
	s_delay_alu instid0(SALU_CYCLE_1) | instskip(NEXT) | instid1(SALU_CYCLE_1)
	s_or_b32 exec_lo, exec_lo, s4
	s_mov_b32 s4, exec_lo
	v_cmpx_lt_u32_e32 0xffffff, v2
	s_cbranch_execz .LBB232_1802
; %bb.1795:                             ;   in Loop: Header=BB232_10 Depth=1
	v_mov_b64_e32 v[98:99], 0x8000000000000000
	v_lshrrev_b32_e32 v3, 24, v2
	s_mov_b32 s11, exec_lo
	s_delay_alu instid0(VALU_DEP_1)
	v_cmpx_ne_u32_e32 0x80, v3
	s_cbranch_execz .LBB232_1801
; %bb.1796:                             ;   in Loop: Header=BB232_10 Depth=1
	v_mov_b64_e32 v[98:99], 0x7f80000100000000
	v_bfe_u32 v0, v2, 24, 7
	s_mov_b32 s15, exec_lo
	s_delay_alu instid0(VALU_DEP_1)
	v_cmpx_ne_u32_e32 0x7f, v0
	s_cbranch_execz .LBB232_1800
; %bb.1797:                             ;   in Loop: Header=BB232_10 Depth=1
	scratch_load_b64 v[4:5], off, s32 offset:192 th:TH_LOAD_LU ; 8-byte Folded Reload
	s_wait_loadcnt 0x0
	v_dual_lshrrev_b32 v2, 3, v0 :: v_dual_bitop2_b32 v4, 7, v3 bitop3:0x40
	v_cmp_gt_u32_e64 s1, 8, v0
	s_delay_alu instid0(VALU_DEP_2)
	v_mov_b64_e32 v[0:1], v[4:5]
	s_wait_xcnt 0x0
	s_and_saveexec_b32 s16, s1
; %bb.1798:                             ;   in Loop: Header=BB232_10 Depth=1
	v_clz_i32_u32_e32 v0, v4
	s_delay_alu instid0(VALU_DEP_1) | instskip(NEXT) | instid1(VALU_DEP_1)
	v_min_u32_e32 v2, 32, v0
	v_subrev_nc_u32_e32 v0, 28, v2
	s_delay_alu instid0(VALU_DEP_1) | instskip(NEXT) | instid1(VALU_DEP_1)
	v_lshlrev_b64_e32 v[0:1], v0, v[4:5]
	v_dual_sub_nc_u32 v2, 29, v2 :: v_dual_bitop2_b32 v0, 7, v0 bitop3:0x40
; %bb.1799:                             ;   in Loop: Header=BB232_10 Depth=1
	s_or_b32 exec_lo, exec_lo, s16
	s_delay_alu instid0(VALU_DEP_1) | instskip(NEXT) | instid1(VALU_DEP_2)
	v_dual_lshlrev_b32 v1, 24, v3 :: v_dual_lshlrev_b32 v0, 20, v0
	v_lshl_add_u32 v2, v2, 23, 0x3c000000
	v_mov_b32_e32 v98, v5
	s_delay_alu instid0(VALU_DEP_3) | instskip(NEXT) | instid1(VALU_DEP_1)
	v_and_b32_e32 v1, 0x80000000, v1
	v_or3_b32 v99, v0, v1, v2
	v_mov_b32_e32 v1, v5
	scratch_store_b64 off, v[0:1], s32 offset:192 ; 8-byte Folded Spill
.LBB232_1800:                           ;   in Loop: Header=BB232_10 Depth=1
	s_wait_xcnt 0x0
	s_or_b32 exec_lo, exec_lo, s15
.LBB232_1801:                           ;   in Loop: Header=BB232_10 Depth=1
	s_delay_alu instid0(SALU_CYCLE_1)
	s_or_b32 exec_lo, exec_lo, s11
.LBB232_1802:                           ;   in Loop: Header=BB232_10 Depth=1
	s_delay_alu instid0(SALU_CYCLE_1)
	s_or_b32 exec_lo, exec_lo, s4
	flat_load_b32 v2, v[66:67] offset:7168
	v_mov_b64_e32 v[18:19], 0
	v_mov_b64_e32 v[16:17], 0
	s_mov_b32 s4, exec_lo
	s_wait_loadcnt_dscnt 0x0
	v_and_b32_e32 v0, 0xff, v2
	s_wait_xcnt 0x0
	s_delay_alu instid0(VALU_DEP_1)
	v_cmpx_ne_u16_e32 0, v0
	s_cbranch_execz .LBB232_1810
; %bb.1803:                             ;   in Loop: Header=BB232_10 Depth=1
	v_mov_b64_e32 v[16:17], 0x80000000
	s_mov_b32 s11, exec_lo
	v_cmpx_ne_u16_e32 0x80, v0
	s_cbranch_execz .LBB232_1809
; %bb.1804:                             ;   in Loop: Header=BB232_10 Depth=1
	v_mov_b64_e32 v[16:17], 0x7f800001
	v_and_b32_e32 v0, 0x7f, v2
	s_mov_b32 s15, exec_lo
	s_delay_alu instid0(VALU_DEP_1)
	v_cmpx_ne_u32_e32 0x7f, v0
	s_cbranch_execz .LBB232_1808
; %bb.1805:                             ;   in Loop: Header=BB232_10 Depth=1
	scratch_load_b64 v[16:17], off, s32 offset:192 th:TH_LOAD_LU ; 8-byte Folded Reload
	s_wait_loadcnt 0x0
	v_dual_lshrrev_b32 v3, 3, v0 :: v_dual_bitop2_b32 v16, 7, v2 bitop3:0x40
	v_cmp_gt_u32_e64 s1, 8, v0
	s_delay_alu instid0(VALU_DEP_2)
	v_mov_b64_e32 v[0:1], v[16:17]
	s_wait_xcnt 0x0
	s_and_saveexec_b32 s16, s1
; %bb.1806:                             ;   in Loop: Header=BB232_10 Depth=1
	v_clz_i32_u32_e32 v0, v16
	s_delay_alu instid0(VALU_DEP_1) | instskip(NEXT) | instid1(VALU_DEP_1)
	v_min_u32_e32 v3, 32, v0
	v_subrev_nc_u32_e32 v0, 28, v3
	s_delay_alu instid0(VALU_DEP_1) | instskip(NEXT) | instid1(VALU_DEP_1)
	v_lshlrev_b64_e32 v[0:1], v0, v[16:17]
	v_dual_sub_nc_u32 v3, 29, v3 :: v_dual_bitop2_b32 v0, 7, v0 bitop3:0x40
; %bb.1807:                             ;   in Loop: Header=BB232_10 Depth=1
	s_or_b32 exec_lo, exec_lo, s16
	s_delay_alu instid0(VALU_DEP_1) | instskip(NEXT) | instid1(VALU_DEP_2)
	v_dual_lshlrev_b32 v1, 24, v2 :: v_dual_lshlrev_b32 v0, 20, v0
	v_lshl_add_u32 v3, v3, 23, 0x3c000000
	s_delay_alu instid0(VALU_DEP_2) | instskip(NEXT) | instid1(VALU_DEP_1)
	v_and_b32_e32 v1, 0x80000000, v1
	v_or3_b32 v16, v0, v1, v3
	v_mov_b32_e32 v1, v17
	scratch_store_b64 off, v[0:1], s32 offset:192 ; 8-byte Folded Spill
.LBB232_1808:                           ;   in Loop: Header=BB232_10 Depth=1
	s_wait_xcnt 0x0
	s_or_b32 exec_lo, exec_lo, s15
.LBB232_1809:                           ;   in Loop: Header=BB232_10 Depth=1
	s_delay_alu instid0(SALU_CYCLE_1)
	s_or_b32 exec_lo, exec_lo, s11
.LBB232_1810:                           ;   in Loop: Header=BB232_10 Depth=1
	s_delay_alu instid0(SALU_CYCLE_1) | instskip(SKIP_2) | instid1(VALU_DEP_1)
	s_or_b32 exec_lo, exec_lo, s4
	v_lshrrev_b16 v0, 8, v2
	s_mov_b32 s4, exec_lo
	v_cmpx_ne_u16_e32 0, v0
	s_cbranch_execz .LBB232_1818
; %bb.1811:                             ;   in Loop: Header=BB232_10 Depth=1
	v_mov_b64_e32 v[18:19], 0x8000000000000000
	s_mov_b32 s11, exec_lo
	v_cmpx_ne_u16_e32 0x80, v0
	s_cbranch_execz .LBB232_1817
; %bb.1812:                             ;   in Loop: Header=BB232_10 Depth=1
	v_and_b32_e32 v1, 0xffff, v0
	v_mov_b64_e32 v[18:19], 0x7f80000100000000
	s_mov_b32 s15, exec_lo
	s_delay_alu instid0(VALU_DEP_2) | instskip(NEXT) | instid1(VALU_DEP_1)
	v_and_b32_e32 v0, 0x7f, v1
	v_cmpx_ne_u32_e32 0x7f, v0
	s_cbranch_execz .LBB232_1816
; %bb.1813:                             ;   in Loop: Header=BB232_10 Depth=1
	scratch_load_b64 v[4:5], off, s32 offset:192 th:TH_LOAD_LU ; 8-byte Folded Reload
	s_wait_loadcnt 0x0
	v_dual_lshrrev_b32 v3, 3, v0 :: v_dual_bitop2_b32 v4, 7, v1 bitop3:0x40
	v_cmp_gt_u32_e64 s1, 8, v0
	s_delay_alu instid0(VALU_DEP_2)
	v_mov_b64_e32 v[0:1], v[4:5]
	s_wait_xcnt 0x0
	s_and_saveexec_b32 s16, s1
; %bb.1814:                             ;   in Loop: Header=BB232_10 Depth=1
	v_clz_i32_u32_e32 v0, v4
	s_delay_alu instid0(VALU_DEP_1) | instskip(NEXT) | instid1(VALU_DEP_1)
	v_min_u32_e32 v3, 32, v0
	v_subrev_nc_u32_e32 v0, 28, v3
	s_delay_alu instid0(VALU_DEP_1) | instskip(NEXT) | instid1(VALU_DEP_1)
	v_lshlrev_b64_e32 v[0:1], v0, v[4:5]
	v_dual_sub_nc_u32 v3, 29, v3 :: v_dual_bitop2_b32 v0, 7, v0 bitop3:0x40
; %bb.1815:                             ;   in Loop: Header=BB232_10 Depth=1
	s_or_b32 exec_lo, exec_lo, s16
	s_delay_alu instid0(VALU_DEP_1) | instskip(NEXT) | instid1(VALU_DEP_2)
	v_dual_lshlrev_b32 v1, 16, v2 :: v_dual_lshlrev_b32 v0, 20, v0
	v_lshl_add_u32 v3, v3, 23, 0x3c000000
	v_mov_b32_e32 v18, v5
	s_delay_alu instid0(VALU_DEP_3) | instskip(NEXT) | instid1(VALU_DEP_1)
	v_and_b32_e32 v1, 0x80000000, v1
	v_or3_b32 v19, v0, v1, v3
	v_mov_b32_e32 v1, v5
	scratch_store_b64 off, v[0:1], s32 offset:192 ; 8-byte Folded Spill
.LBB232_1816:                           ;   in Loop: Header=BB232_10 Depth=1
	s_wait_xcnt 0x0
	s_or_b32 exec_lo, exec_lo, s15
.LBB232_1817:                           ;   in Loop: Header=BB232_10 Depth=1
	s_delay_alu instid0(SALU_CYCLE_1)
	s_or_b32 exec_lo, exec_lo, s11
.LBB232_1818:                           ;   in Loop: Header=BB232_10 Depth=1
	s_delay_alu instid0(SALU_CYCLE_1) | instskip(SKIP_4) | instid1(VALU_DEP_3)
	s_or_b32 exec_lo, exec_lo, s4
	v_lshrrev_b32_e32 v3, 16, v2
	v_mov_b64_e32 v[94:95], 0
	v_mov_b64_e32 v[42:43], 0
	s_mov_b32 s4, exec_lo
	v_and_b32_e32 v0, 0xff, v3
	s_delay_alu instid0(VALU_DEP_1)
	v_cmpx_ne_u16_e32 0, v0
	s_cbranch_execz .LBB232_1826
; %bb.1819:                             ;   in Loop: Header=BB232_10 Depth=1
	v_mov_b64_e32 v[42:43], 0x80000000
	s_mov_b32 s11, exec_lo
	v_cmpx_ne_u16_e32 0x80, v0
	s_cbranch_execz .LBB232_1825
; %bb.1820:                             ;   in Loop: Header=BB232_10 Depth=1
	v_mov_b64_e32 v[42:43], 0x7f800001
	v_bfe_u32 v0, v2, 16, 7
	s_mov_b32 s15, exec_lo
	s_delay_alu instid0(VALU_DEP_1)
	v_cmpx_ne_u32_e32 0x7f, v0
	s_cbranch_execz .LBB232_1824
; %bb.1821:                             ;   in Loop: Header=BB232_10 Depth=1
	scratch_load_b64 v[42:43], off, s32 offset:192 th:TH_LOAD_LU ; 8-byte Folded Reload
	s_wait_loadcnt 0x0
	v_dual_lshrrev_b32 v4, 3, v0 :: v_dual_bitop2_b32 v42, 7, v3 bitop3:0x40
	v_cmp_gt_u32_e64 s1, 8, v0
	s_delay_alu instid0(VALU_DEP_2)
	v_mov_b64_e32 v[0:1], v[42:43]
	s_wait_xcnt 0x0
	s_and_saveexec_b32 s16, s1
; %bb.1822:                             ;   in Loop: Header=BB232_10 Depth=1
	v_clz_i32_u32_e32 v0, v42
	s_delay_alu instid0(VALU_DEP_1) | instskip(NEXT) | instid1(VALU_DEP_1)
	v_min_u32_e32 v4, 32, v0
	v_subrev_nc_u32_e32 v0, 28, v4
	v_sub_nc_u32_e32 v4, 29, v4
	s_delay_alu instid0(VALU_DEP_2) | instskip(NEXT) | instid1(VALU_DEP_1)
	v_lshlrev_b64_e32 v[0:1], v0, v[42:43]
	v_and_b32_e32 v0, 7, v0
; %bb.1823:                             ;   in Loop: Header=BB232_10 Depth=1
	s_or_b32 exec_lo, exec_lo, s16
	s_delay_alu instid0(VALU_DEP_1) | instskip(SKIP_1) | instid1(VALU_DEP_2)
	v_dual_lshlrev_b32 v1, 24, v3 :: v_dual_lshlrev_b32 v0, 20, v0
	v_lshl_add_u32 v3, v4, 23, 0x3c000000
	v_and_b32_e32 v1, 0x80000000, v1
	s_delay_alu instid0(VALU_DEP_1)
	v_or3_b32 v42, v0, v1, v3
	v_mov_b32_e32 v1, v43
	scratch_store_b64 off, v[0:1], s32 offset:192 ; 8-byte Folded Spill
.LBB232_1824:                           ;   in Loop: Header=BB232_10 Depth=1
	s_wait_xcnt 0x0
	s_or_b32 exec_lo, exec_lo, s15
.LBB232_1825:                           ;   in Loop: Header=BB232_10 Depth=1
	s_delay_alu instid0(SALU_CYCLE_1)
	s_or_b32 exec_lo, exec_lo, s11
.LBB232_1826:                           ;   in Loop: Header=BB232_10 Depth=1
	s_delay_alu instid0(SALU_CYCLE_1) | instskip(NEXT) | instid1(SALU_CYCLE_1)
	s_or_b32 exec_lo, exec_lo, s4
	s_mov_b32 s4, exec_lo
	v_cmpx_lt_u32_e32 0xffffff, v2
	s_cbranch_execz .LBB232_1834
; %bb.1827:                             ;   in Loop: Header=BB232_10 Depth=1
	v_mov_b64_e32 v[94:95], 0x8000000000000000
	v_lshrrev_b32_e32 v3, 24, v2
	s_mov_b32 s11, exec_lo
	s_delay_alu instid0(VALU_DEP_1)
	v_cmpx_ne_u32_e32 0x80, v3
	s_cbranch_execz .LBB232_1833
; %bb.1828:                             ;   in Loop: Header=BB232_10 Depth=1
	v_mov_b64_e32 v[94:95], 0x7f80000100000000
	v_bfe_u32 v0, v2, 24, 7
	s_mov_b32 s15, exec_lo
	s_delay_alu instid0(VALU_DEP_1)
	v_cmpx_ne_u32_e32 0x7f, v0
	s_cbranch_execz .LBB232_1832
; %bb.1829:                             ;   in Loop: Header=BB232_10 Depth=1
	scratch_load_b64 v[4:5], off, s32 offset:192 th:TH_LOAD_LU ; 8-byte Folded Reload
	s_wait_loadcnt 0x0
	v_dual_lshrrev_b32 v2, 3, v0 :: v_dual_bitop2_b32 v4, 7, v3 bitop3:0x40
	v_cmp_gt_u32_e64 s1, 8, v0
	s_delay_alu instid0(VALU_DEP_2)
	v_mov_b64_e32 v[0:1], v[4:5]
	s_wait_xcnt 0x0
	s_and_saveexec_b32 s16, s1
; %bb.1830:                             ;   in Loop: Header=BB232_10 Depth=1
	v_clz_i32_u32_e32 v0, v4
	s_delay_alu instid0(VALU_DEP_1) | instskip(NEXT) | instid1(VALU_DEP_1)
	v_min_u32_e32 v2, 32, v0
	v_subrev_nc_u32_e32 v0, 28, v2
	s_delay_alu instid0(VALU_DEP_1) | instskip(NEXT) | instid1(VALU_DEP_1)
	v_lshlrev_b64_e32 v[0:1], v0, v[4:5]
	v_dual_sub_nc_u32 v2, 29, v2 :: v_dual_bitop2_b32 v0, 7, v0 bitop3:0x40
; %bb.1831:                             ;   in Loop: Header=BB232_10 Depth=1
	s_or_b32 exec_lo, exec_lo, s16
	s_delay_alu instid0(VALU_DEP_1) | instskip(NEXT) | instid1(VALU_DEP_2)
	v_dual_lshlrev_b32 v1, 24, v3 :: v_dual_lshlrev_b32 v0, 20, v0
	v_lshl_add_u32 v2, v2, 23, 0x3c000000
	v_mov_b32_e32 v94, v5
	s_delay_alu instid0(VALU_DEP_3) | instskip(NEXT) | instid1(VALU_DEP_1)
	v_and_b32_e32 v1, 0x80000000, v1
	v_or3_b32 v95, v0, v1, v2
	v_mov_b32_e32 v1, v5
	scratch_store_b64 off, v[0:1], s32 offset:192 ; 8-byte Folded Spill
.LBB232_1832:                           ;   in Loop: Header=BB232_10 Depth=1
	s_wait_xcnt 0x0
	s_or_b32 exec_lo, exec_lo, s15
.LBB232_1833:                           ;   in Loop: Header=BB232_10 Depth=1
	s_delay_alu instid0(SALU_CYCLE_1)
	s_or_b32 exec_lo, exec_lo, s11
.LBB232_1834:                           ;   in Loop: Header=BB232_10 Depth=1
	s_delay_alu instid0(SALU_CYCLE_1)
	s_or_b32 exec_lo, exec_lo, s4
	flat_load_b32 v2, v[66:67] offset:7172
	v_mov_b64_e32 v[78:79], 0
	v_mov_b64_e32 v[44:45], 0
	s_mov_b32 s4, exec_lo
	s_wait_loadcnt_dscnt 0x0
	v_and_b32_e32 v0, 0xff, v2
	s_wait_xcnt 0x0
	s_delay_alu instid0(VALU_DEP_1)
	v_cmpx_ne_u16_e32 0, v0
	s_cbranch_execz .LBB232_1842
; %bb.1835:                             ;   in Loop: Header=BB232_10 Depth=1
	v_mov_b64_e32 v[44:45], 0x80000000
	s_mov_b32 s11, exec_lo
	v_cmpx_ne_u16_e32 0x80, v0
	s_cbranch_execz .LBB232_1841
; %bb.1836:                             ;   in Loop: Header=BB232_10 Depth=1
	v_mov_b64_e32 v[44:45], 0x7f800001
	v_and_b32_e32 v0, 0x7f, v2
	s_mov_b32 s15, exec_lo
	s_delay_alu instid0(VALU_DEP_1)
	v_cmpx_ne_u32_e32 0x7f, v0
	s_cbranch_execz .LBB232_1840
; %bb.1837:                             ;   in Loop: Header=BB232_10 Depth=1
	scratch_load_b64 v[44:45], off, s32 offset:192 th:TH_LOAD_LU ; 8-byte Folded Reload
	s_wait_loadcnt 0x0
	v_dual_lshrrev_b32 v3, 3, v0 :: v_dual_bitop2_b32 v44, 7, v2 bitop3:0x40
	v_cmp_gt_u32_e64 s1, 8, v0
	s_delay_alu instid0(VALU_DEP_2)
	v_mov_b64_e32 v[0:1], v[44:45]
	s_wait_xcnt 0x0
	s_and_saveexec_b32 s16, s1
; %bb.1838:                             ;   in Loop: Header=BB232_10 Depth=1
	v_clz_i32_u32_e32 v0, v44
	s_delay_alu instid0(VALU_DEP_1) | instskip(NEXT) | instid1(VALU_DEP_1)
	v_min_u32_e32 v3, 32, v0
	v_subrev_nc_u32_e32 v0, 28, v3
	s_delay_alu instid0(VALU_DEP_1) | instskip(NEXT) | instid1(VALU_DEP_1)
	v_lshlrev_b64_e32 v[0:1], v0, v[44:45]
	v_dual_sub_nc_u32 v3, 29, v3 :: v_dual_bitop2_b32 v0, 7, v0 bitop3:0x40
; %bb.1839:                             ;   in Loop: Header=BB232_10 Depth=1
	s_or_b32 exec_lo, exec_lo, s16
	s_delay_alu instid0(VALU_DEP_1) | instskip(NEXT) | instid1(VALU_DEP_2)
	v_dual_lshlrev_b32 v1, 24, v2 :: v_dual_lshlrev_b32 v0, 20, v0
	v_lshl_add_u32 v3, v3, 23, 0x3c000000
	s_delay_alu instid0(VALU_DEP_2) | instskip(NEXT) | instid1(VALU_DEP_1)
	v_and_b32_e32 v1, 0x80000000, v1
	v_or3_b32 v44, v0, v1, v3
	v_mov_b32_e32 v1, v45
	scratch_store_b64 off, v[0:1], s32 offset:192 ; 8-byte Folded Spill
.LBB232_1840:                           ;   in Loop: Header=BB232_10 Depth=1
	s_wait_xcnt 0x0
	s_or_b32 exec_lo, exec_lo, s15
.LBB232_1841:                           ;   in Loop: Header=BB232_10 Depth=1
	s_delay_alu instid0(SALU_CYCLE_1)
	s_or_b32 exec_lo, exec_lo, s11
.LBB232_1842:                           ;   in Loop: Header=BB232_10 Depth=1
	s_delay_alu instid0(SALU_CYCLE_1) | instskip(SKIP_2) | instid1(VALU_DEP_1)
	s_or_b32 exec_lo, exec_lo, s4
	v_lshrrev_b16 v0, 8, v2
	s_mov_b32 s4, exec_lo
	v_cmpx_ne_u16_e32 0, v0
	s_cbranch_execz .LBB232_1850
; %bb.1843:                             ;   in Loop: Header=BB232_10 Depth=1
	v_mov_b64_e32 v[78:79], 0x8000000000000000
	s_mov_b32 s11, exec_lo
	v_cmpx_ne_u16_e32 0x80, v0
	s_cbranch_execz .LBB232_1849
; %bb.1844:                             ;   in Loop: Header=BB232_10 Depth=1
	v_and_b32_e32 v1, 0xffff, v0
	v_mov_b64_e32 v[78:79], 0x7f80000100000000
	s_mov_b32 s15, exec_lo
	s_delay_alu instid0(VALU_DEP_2) | instskip(NEXT) | instid1(VALU_DEP_1)
	v_and_b32_e32 v0, 0x7f, v1
	v_cmpx_ne_u32_e32 0x7f, v0
	s_cbranch_execz .LBB232_1848
; %bb.1845:                             ;   in Loop: Header=BB232_10 Depth=1
	scratch_load_b64 v[4:5], off, s32 offset:192 th:TH_LOAD_LU ; 8-byte Folded Reload
	s_wait_loadcnt 0x0
	v_dual_lshrrev_b32 v3, 3, v0 :: v_dual_bitop2_b32 v4, 7, v1 bitop3:0x40
	v_cmp_gt_u32_e64 s1, 8, v0
	s_delay_alu instid0(VALU_DEP_2)
	v_mov_b64_e32 v[0:1], v[4:5]
	s_wait_xcnt 0x0
	s_and_saveexec_b32 s16, s1
; %bb.1846:                             ;   in Loop: Header=BB232_10 Depth=1
	v_clz_i32_u32_e32 v0, v4
	s_delay_alu instid0(VALU_DEP_1) | instskip(NEXT) | instid1(VALU_DEP_1)
	v_min_u32_e32 v3, 32, v0
	v_subrev_nc_u32_e32 v0, 28, v3
	s_delay_alu instid0(VALU_DEP_1) | instskip(NEXT) | instid1(VALU_DEP_1)
	v_lshlrev_b64_e32 v[0:1], v0, v[4:5]
	v_dual_sub_nc_u32 v3, 29, v3 :: v_dual_bitop2_b32 v0, 7, v0 bitop3:0x40
; %bb.1847:                             ;   in Loop: Header=BB232_10 Depth=1
	s_or_b32 exec_lo, exec_lo, s16
	s_delay_alu instid0(VALU_DEP_1) | instskip(NEXT) | instid1(VALU_DEP_2)
	v_dual_lshlrev_b32 v1, 16, v2 :: v_dual_lshlrev_b32 v0, 20, v0
	v_lshl_add_u32 v3, v3, 23, 0x3c000000
	v_mov_b32_e32 v78, v5
	s_delay_alu instid0(VALU_DEP_3) | instskip(NEXT) | instid1(VALU_DEP_1)
	v_and_b32_e32 v1, 0x80000000, v1
	v_or3_b32 v79, v0, v1, v3
	v_mov_b32_e32 v1, v5
	scratch_store_b64 off, v[0:1], s32 offset:192 ; 8-byte Folded Spill
.LBB232_1848:                           ;   in Loop: Header=BB232_10 Depth=1
	s_wait_xcnt 0x0
	s_or_b32 exec_lo, exec_lo, s15
.LBB232_1849:                           ;   in Loop: Header=BB232_10 Depth=1
	s_delay_alu instid0(SALU_CYCLE_1)
	s_or_b32 exec_lo, exec_lo, s11
.LBB232_1850:                           ;   in Loop: Header=BB232_10 Depth=1
	s_delay_alu instid0(SALU_CYCLE_1) | instskip(SKIP_4) | instid1(VALU_DEP_3)
	s_or_b32 exec_lo, exec_lo, s4
	v_lshrrev_b32_e32 v3, 16, v2
	v_mov_b64_e32 v[74:75], 0
	v_mov_b64_e32 v[46:47], 0
	s_mov_b32 s4, exec_lo
	v_and_b32_e32 v0, 0xff, v3
	s_delay_alu instid0(VALU_DEP_1)
	v_cmpx_ne_u16_e32 0, v0
	s_cbranch_execz .LBB232_1858
; %bb.1851:                             ;   in Loop: Header=BB232_10 Depth=1
	v_mov_b64_e32 v[46:47], 0x80000000
	s_mov_b32 s11, exec_lo
	v_cmpx_ne_u16_e32 0x80, v0
	s_cbranch_execz .LBB232_1857
; %bb.1852:                             ;   in Loop: Header=BB232_10 Depth=1
	v_mov_b64_e32 v[46:47], 0x7f800001
	v_bfe_u32 v0, v2, 16, 7
	s_mov_b32 s15, exec_lo
	s_delay_alu instid0(VALU_DEP_1)
	v_cmpx_ne_u32_e32 0x7f, v0
	s_cbranch_execz .LBB232_1856
; %bb.1853:                             ;   in Loop: Header=BB232_10 Depth=1
	scratch_load_b64 v[46:47], off, s32 offset:192 th:TH_LOAD_LU ; 8-byte Folded Reload
	s_wait_loadcnt 0x0
	v_dual_lshrrev_b32 v4, 3, v0 :: v_dual_bitop2_b32 v46, 7, v3 bitop3:0x40
	v_cmp_gt_u32_e64 s1, 8, v0
	s_delay_alu instid0(VALU_DEP_2)
	v_mov_b64_e32 v[0:1], v[46:47]
	s_wait_xcnt 0x0
	s_and_saveexec_b32 s16, s1
; %bb.1854:                             ;   in Loop: Header=BB232_10 Depth=1
	v_clz_i32_u32_e32 v0, v46
	s_delay_alu instid0(VALU_DEP_1) | instskip(NEXT) | instid1(VALU_DEP_1)
	v_min_u32_e32 v4, 32, v0
	v_subrev_nc_u32_e32 v0, 28, v4
	v_sub_nc_u32_e32 v4, 29, v4
	s_delay_alu instid0(VALU_DEP_2) | instskip(NEXT) | instid1(VALU_DEP_1)
	v_lshlrev_b64_e32 v[0:1], v0, v[46:47]
	v_and_b32_e32 v0, 7, v0
; %bb.1855:                             ;   in Loop: Header=BB232_10 Depth=1
	s_or_b32 exec_lo, exec_lo, s16
	s_delay_alu instid0(VALU_DEP_1) | instskip(SKIP_1) | instid1(VALU_DEP_2)
	v_dual_lshlrev_b32 v1, 24, v3 :: v_dual_lshlrev_b32 v0, 20, v0
	v_lshl_add_u32 v3, v4, 23, 0x3c000000
	v_and_b32_e32 v1, 0x80000000, v1
	s_delay_alu instid0(VALU_DEP_1)
	v_or3_b32 v46, v0, v1, v3
	v_mov_b32_e32 v1, v47
	scratch_store_b64 off, v[0:1], s32 offset:192 ; 8-byte Folded Spill
.LBB232_1856:                           ;   in Loop: Header=BB232_10 Depth=1
	s_wait_xcnt 0x0
	s_or_b32 exec_lo, exec_lo, s15
.LBB232_1857:                           ;   in Loop: Header=BB232_10 Depth=1
	s_delay_alu instid0(SALU_CYCLE_1)
	s_or_b32 exec_lo, exec_lo, s11
.LBB232_1858:                           ;   in Loop: Header=BB232_10 Depth=1
	s_delay_alu instid0(SALU_CYCLE_1) | instskip(NEXT) | instid1(SALU_CYCLE_1)
	s_or_b32 exec_lo, exec_lo, s4
	s_mov_b32 s4, exec_lo
	v_cmpx_lt_u32_e32 0xffffff, v2
	s_cbranch_execz .LBB232_1866
; %bb.1859:                             ;   in Loop: Header=BB232_10 Depth=1
	v_mov_b64_e32 v[74:75], 0x8000000000000000
	v_lshrrev_b32_e32 v3, 24, v2
	s_mov_b32 s11, exec_lo
	s_delay_alu instid0(VALU_DEP_1)
	v_cmpx_ne_u32_e32 0x80, v3
	s_cbranch_execz .LBB232_1865
; %bb.1860:                             ;   in Loop: Header=BB232_10 Depth=1
	v_mov_b64_e32 v[74:75], 0x7f80000100000000
	v_bfe_u32 v0, v2, 24, 7
	s_mov_b32 s15, exec_lo
	s_delay_alu instid0(VALU_DEP_1)
	v_cmpx_ne_u32_e32 0x7f, v0
	s_cbranch_execz .LBB232_1864
; %bb.1861:                             ;   in Loop: Header=BB232_10 Depth=1
	scratch_load_b64 v[4:5], off, s32 offset:192 th:TH_LOAD_LU ; 8-byte Folded Reload
	s_wait_loadcnt 0x0
	v_dual_lshrrev_b32 v2, 3, v0 :: v_dual_bitop2_b32 v4, 7, v3 bitop3:0x40
	v_cmp_gt_u32_e64 s1, 8, v0
	s_delay_alu instid0(VALU_DEP_2)
	v_mov_b64_e32 v[0:1], v[4:5]
	s_wait_xcnt 0x0
	s_and_saveexec_b32 s16, s1
; %bb.1862:                             ;   in Loop: Header=BB232_10 Depth=1
	v_clz_i32_u32_e32 v0, v4
	s_delay_alu instid0(VALU_DEP_1) | instskip(NEXT) | instid1(VALU_DEP_1)
	v_min_u32_e32 v2, 32, v0
	v_subrev_nc_u32_e32 v0, 28, v2
	s_delay_alu instid0(VALU_DEP_1) | instskip(NEXT) | instid1(VALU_DEP_1)
	v_lshlrev_b64_e32 v[0:1], v0, v[4:5]
	v_dual_sub_nc_u32 v2, 29, v2 :: v_dual_bitop2_b32 v0, 7, v0 bitop3:0x40
; %bb.1863:                             ;   in Loop: Header=BB232_10 Depth=1
	s_or_b32 exec_lo, exec_lo, s16
	s_delay_alu instid0(VALU_DEP_1) | instskip(NEXT) | instid1(VALU_DEP_2)
	v_dual_lshlrev_b32 v1, 24, v3 :: v_dual_lshlrev_b32 v0, 20, v0
	v_lshl_add_u32 v2, v2, 23, 0x3c000000
	v_mov_b32_e32 v74, v5
	s_delay_alu instid0(VALU_DEP_3) | instskip(NEXT) | instid1(VALU_DEP_1)
	v_and_b32_e32 v1, 0x80000000, v1
	v_or3_b32 v75, v0, v1, v2
	v_mov_b32_e32 v1, v5
	scratch_store_b64 off, v[0:1], s32 offset:192 ; 8-byte Folded Spill
.LBB232_1864:                           ;   in Loop: Header=BB232_10 Depth=1
	s_wait_xcnt 0x0
	s_or_b32 exec_lo, exec_lo, s15
.LBB232_1865:                           ;   in Loop: Header=BB232_10 Depth=1
	s_delay_alu instid0(SALU_CYCLE_1)
	s_or_b32 exec_lo, exec_lo, s11
.LBB232_1866:                           ;   in Loop: Header=BB232_10 Depth=1
	s_delay_alu instid0(SALU_CYCLE_1)
	s_or_b32 exec_lo, exec_lo, s4
	flat_load_b32 v4, v[66:67] offset:7176
	v_mov_b64_e32 v[0:1], 0
	v_mov_b64_e32 v[56:57], 0
	s_mov_b32 s4, exec_lo
	s_wait_loadcnt_dscnt 0x0
	v_and_b32_e32 v2, 0xff, v4
	s_wait_xcnt 0x0
	s_delay_alu instid0(VALU_DEP_1)
	v_cmpx_ne_u16_e32 0, v2
	s_cbranch_execz .LBB232_1874
; %bb.1867:                             ;   in Loop: Header=BB232_10 Depth=1
	v_mov_b64_e32 v[56:57], 0x80000000
	s_mov_b32 s11, exec_lo
	v_cmpx_ne_u16_e32 0x80, v2
	s_cbranch_execz .LBB232_1873
; %bb.1868:                             ;   in Loop: Header=BB232_10 Depth=1
	v_mov_b64_e32 v[56:57], 0x7f800001
	v_and_b32_e32 v2, 0x7f, v4
	s_mov_b32 s15, exec_lo
	s_delay_alu instid0(VALU_DEP_1)
	v_cmpx_ne_u32_e32 0x7f, v2
	s_cbranch_execz .LBB232_1872
; %bb.1869:                             ;   in Loop: Header=BB232_10 Depth=1
	scratch_load_b64 v[56:57], off, s32 offset:192 th:TH_LOAD_LU ; 8-byte Folded Reload
	s_wait_loadcnt 0x0
	v_dual_lshrrev_b32 v5, 3, v2 :: v_dual_bitop2_b32 v56, 7, v4 bitop3:0x40
	v_cmp_gt_u32_e64 s1, 8, v2
	s_delay_alu instid0(VALU_DEP_2)
	v_mov_b64_e32 v[2:3], v[56:57]
	s_wait_xcnt 0x0
	s_and_saveexec_b32 s16, s1
; %bb.1870:                             ;   in Loop: Header=BB232_10 Depth=1
	v_clz_i32_u32_e32 v2, v56
	s_delay_alu instid0(VALU_DEP_1) | instskip(NEXT) | instid1(VALU_DEP_1)
	v_min_u32_e32 v5, 32, v2
	v_subrev_nc_u32_e32 v2, 28, v5
	s_delay_alu instid0(VALU_DEP_1) | instskip(NEXT) | instid1(VALU_DEP_1)
	v_lshlrev_b64_e32 v[2:3], v2, v[56:57]
	v_dual_sub_nc_u32 v5, 29, v5 :: v_dual_bitop2_b32 v2, 7, v2 bitop3:0x40
; %bb.1871:                             ;   in Loop: Header=BB232_10 Depth=1
	s_or_b32 exec_lo, exec_lo, s16
	s_delay_alu instid0(VALU_DEP_1) | instskip(NEXT) | instid1(VALU_DEP_2)
	v_dual_lshlrev_b32 v3, 24, v4 :: v_dual_lshlrev_b32 v2, 20, v2
	v_lshl_add_u32 v5, v5, 23, 0x3c000000
	s_delay_alu instid0(VALU_DEP_2) | instskip(NEXT) | instid1(VALU_DEP_1)
	v_and_b32_e32 v3, 0x80000000, v3
	v_or3_b32 v56, v2, v3, v5
	v_mov_b32_e32 v3, v57
	scratch_store_b64 off, v[2:3], s32 offset:192 ; 8-byte Folded Spill
.LBB232_1872:                           ;   in Loop: Header=BB232_10 Depth=1
	s_wait_xcnt 0x0
	s_or_b32 exec_lo, exec_lo, s15
.LBB232_1873:                           ;   in Loop: Header=BB232_10 Depth=1
	s_delay_alu instid0(SALU_CYCLE_1)
	s_or_b32 exec_lo, exec_lo, s11
.LBB232_1874:                           ;   in Loop: Header=BB232_10 Depth=1
	s_delay_alu instid0(SALU_CYCLE_1) | instskip(SKIP_2) | instid1(VALU_DEP_1)
	s_or_b32 exec_lo, exec_lo, s4
	v_lshrrev_b16 v2, 8, v4
	s_mov_b32 s4, exec_lo
	v_cmpx_ne_u16_e32 0, v2
	s_cbranch_execz .LBB232_1882
; %bb.1875:                             ;   in Loop: Header=BB232_10 Depth=1
	v_mov_b64_e32 v[0:1], 0x8000000000000000
	s_mov_b32 s11, exec_lo
	v_cmpx_ne_u16_e32 0x80, v2
	s_cbranch_execz .LBB232_1881
; %bb.1876:                             ;   in Loop: Header=BB232_10 Depth=1
	v_and_b32_e32 v2, 0xffff, v2
	v_mov_b64_e32 v[0:1], 0x7f80000100000000
	s_mov_b32 s15, exec_lo
	s_delay_alu instid0(VALU_DEP_2) | instskip(NEXT) | instid1(VALU_DEP_1)
	v_and_b32_e32 v3, 0x7f, v2
	v_cmpx_ne_u32_e32 0x7f, v3
	s_cbranch_execz .LBB232_1880
; %bb.1877:                             ;   in Loop: Header=BB232_10 Depth=1
	scratch_load_b64 v[8:9], off, s32 offset:192 th:TH_LOAD_LU ; 8-byte Folded Reload
	s_wait_loadcnt 0x0
	v_dual_lshrrev_b32 v2, 3, v3 :: v_dual_bitop2_b32 v8, 7, v2 bitop3:0x40
	s_mov_b32 s16, exec_lo
	s_delay_alu instid0(VALU_DEP_1)
	v_mov_b64_e32 v[0:1], v[8:9]
	s_wait_xcnt 0x0
	v_cmpx_gt_u32_e32 8, v3
; %bb.1878:                             ;   in Loop: Header=BB232_10 Depth=1
	v_clz_i32_u32_e32 v0, v8
	s_delay_alu instid0(VALU_DEP_1) | instskip(NEXT) | instid1(VALU_DEP_1)
	v_min_u32_e32 v2, 32, v0
	v_subrev_nc_u32_e32 v0, 28, v2
	s_delay_alu instid0(VALU_DEP_1) | instskip(NEXT) | instid1(VALU_DEP_1)
	v_lshlrev_b64_e32 v[0:1], v0, v[8:9]
	v_dual_sub_nc_u32 v2, 29, v2 :: v_dual_bitop2_b32 v0, 7, v0 bitop3:0x40
; %bb.1879:                             ;   in Loop: Header=BB232_10 Depth=1
	s_or_b32 exec_lo, exec_lo, s16
	v_dual_lshlrev_b32 v1, 16, v4 :: v_dual_mov_b32 v3, v9
	s_delay_alu instid0(VALU_DEP_2) | instskip(NEXT) | instid1(VALU_DEP_3)
	v_lshlrev_b32_e32 v0, 20, v0
	v_lshl_add_u32 v2, v2, 23, 0x3c000000
	s_delay_alu instid0(VALU_DEP_3)
	v_and_b32_e32 v1, 0x80000000, v1
	scratch_store_b64 off, v[2:3], s32 offset:192 ; 8-byte Folded Spill
	v_or3_b32 v1, v0, v1, v2
	v_mov_b32_e32 v0, v9
.LBB232_1880:                           ;   in Loop: Header=BB232_10 Depth=1
	s_wait_xcnt 0x0
	s_or_b32 exec_lo, exec_lo, s15
.LBB232_1881:                           ;   in Loop: Header=BB232_10 Depth=1
	s_delay_alu instid0(SALU_CYCLE_1)
	s_or_b32 exec_lo, exec_lo, s11
.LBB232_1882:                           ;   in Loop: Header=BB232_10 Depth=1
	s_delay_alu instid0(SALU_CYCLE_1) | instskip(SKIP_4) | instid1(VALU_DEP_3)
	s_or_b32 exec_lo, exec_lo, s4
	v_lshrrev_b32_e32 v5, 16, v4
	v_mov_b64_e32 v[8:9], 0
	v_mov_b64_e32 v[58:59], 0
	s_mov_b32 s4, exec_lo
	v_and_b32_e32 v2, 0xff, v5
	s_delay_alu instid0(VALU_DEP_1)
	v_cmpx_ne_u16_e32 0, v2
	s_cbranch_execz .LBB232_1890
; %bb.1883:                             ;   in Loop: Header=BB232_10 Depth=1
	v_mov_b64_e32 v[58:59], 0x80000000
	s_mov_b32 s11, exec_lo
	v_cmpx_ne_u16_e32 0x80, v2
	s_cbranch_execz .LBB232_1889
; %bb.1884:                             ;   in Loop: Header=BB232_10 Depth=1
	v_mov_b64_e32 v[58:59], 0x7f800001
	v_bfe_u32 v2, v4, 16, 7
	s_mov_b32 s15, exec_lo
	s_delay_alu instid0(VALU_DEP_1)
	v_cmpx_ne_u32_e32 0x7f, v2
	s_cbranch_execz .LBB232_1888
; %bb.1885:                             ;   in Loop: Header=BB232_10 Depth=1
	scratch_load_b64 v[58:59], off, s32 offset:192 th:TH_LOAD_LU ; 8-byte Folded Reload
	s_wait_loadcnt 0x0
	v_dual_lshrrev_b32 v10, 3, v2 :: v_dual_bitop2_b32 v58, 7, v5 bitop3:0x40
	v_cmp_gt_u32_e64 s1, 8, v2
	s_delay_alu instid0(VALU_DEP_2)
	v_mov_b64_e32 v[2:3], v[58:59]
	s_wait_xcnt 0x0
	s_and_saveexec_b32 s16, s1
; %bb.1886:                             ;   in Loop: Header=BB232_10 Depth=1
	v_clz_i32_u32_e32 v2, v58
	s_delay_alu instid0(VALU_DEP_1) | instskip(NEXT) | instid1(VALU_DEP_1)
	v_min_u32_e32 v10, 32, v2
	v_subrev_nc_u32_e32 v2, 28, v10
	v_sub_nc_u32_e32 v10, 29, v10
	s_delay_alu instid0(VALU_DEP_2) | instskip(NEXT) | instid1(VALU_DEP_1)
	v_lshlrev_b64_e32 v[2:3], v2, v[58:59]
	v_and_b32_e32 v2, 7, v2
; %bb.1887:                             ;   in Loop: Header=BB232_10 Depth=1
	s_or_b32 exec_lo, exec_lo, s16
	s_delay_alu instid0(VALU_DEP_1) | instskip(SKIP_1) | instid1(VALU_DEP_2)
	v_dual_lshlrev_b32 v3, 24, v5 :: v_dual_lshlrev_b32 v2, 20, v2
	v_lshl_add_u32 v5, v10, 23, 0x3c000000
	v_and_b32_e32 v3, 0x80000000, v3
	s_delay_alu instid0(VALU_DEP_1)
	v_or3_b32 v58, v2, v3, v5
	v_mov_b32_e32 v3, v59
	scratch_store_b64 off, v[2:3], s32 offset:192 ; 8-byte Folded Spill
.LBB232_1888:                           ;   in Loop: Header=BB232_10 Depth=1
	s_wait_xcnt 0x0
	s_or_b32 exec_lo, exec_lo, s15
.LBB232_1889:                           ;   in Loop: Header=BB232_10 Depth=1
	s_delay_alu instid0(SALU_CYCLE_1)
	s_or_b32 exec_lo, exec_lo, s11
.LBB232_1890:                           ;   in Loop: Header=BB232_10 Depth=1
	s_delay_alu instid0(SALU_CYCLE_1) | instskip(NEXT) | instid1(SALU_CYCLE_1)
	s_or_b32 exec_lo, exec_lo, s4
	s_mov_b32 s4, exec_lo
	v_cmpx_lt_u32_e32 0xffffff, v4
	s_cbranch_execz .LBB232_1898
; %bb.1891:                             ;   in Loop: Header=BB232_10 Depth=1
	v_mov_b64_e32 v[8:9], 0x8000000000000000
	v_lshrrev_b32_e32 v5, 24, v4
	s_mov_b32 s11, exec_lo
	s_delay_alu instid0(VALU_DEP_1)
	v_cmpx_ne_u32_e32 0x80, v5
	s_cbranch_execz .LBB232_1897
; %bb.1892:                             ;   in Loop: Header=BB232_10 Depth=1
	v_mov_b64_e32 v[8:9], 0x7f80000100000000
	v_bfe_u32 v2, v4, 24, 7
	s_mov_b32 s15, exec_lo
	s_delay_alu instid0(VALU_DEP_1)
	v_cmpx_ne_u32_e32 0x7f, v2
	s_cbranch_execz .LBB232_1896
; %bb.1893:                             ;   in Loop: Header=BB232_10 Depth=1
	scratch_load_b64 v[10:11], off, s32 offset:192 th:TH_LOAD_LU ; 8-byte Folded Reload
	s_wait_loadcnt 0x0
	v_dual_lshrrev_b32 v4, 3, v2 :: v_dual_bitop2_b32 v10, 7, v5 bitop3:0x40
	v_cmp_gt_u32_e64 s1, 8, v2
	s_delay_alu instid0(VALU_DEP_2)
	v_mov_b64_e32 v[2:3], v[10:11]
	s_wait_xcnt 0x0
	s_and_saveexec_b32 s16, s1
; %bb.1894:                             ;   in Loop: Header=BB232_10 Depth=1
	v_clz_i32_u32_e32 v2, v10
	s_delay_alu instid0(VALU_DEP_1) | instskip(NEXT) | instid1(VALU_DEP_1)
	v_min_u32_e32 v4, 32, v2
	v_subrev_nc_u32_e32 v2, 28, v4
	s_delay_alu instid0(VALU_DEP_1) | instskip(NEXT) | instid1(VALU_DEP_1)
	v_lshlrev_b64_e32 v[2:3], v2, v[10:11]
	v_dual_sub_nc_u32 v4, 29, v4 :: v_dual_bitop2_b32 v2, 7, v2 bitop3:0x40
; %bb.1895:                             ;   in Loop: Header=BB232_10 Depth=1
	s_or_b32 exec_lo, exec_lo, s16
	s_delay_alu instid0(VALU_DEP_1) | instskip(NEXT) | instid1(VALU_DEP_2)
	v_dual_lshlrev_b32 v3, 24, v5 :: v_dual_lshlrev_b32 v2, 20, v2
	v_lshl_add_u32 v4, v4, 23, 0x3c000000
	v_mov_b32_e32 v8, v11
	s_delay_alu instid0(VALU_DEP_3) | instskip(NEXT) | instid1(VALU_DEP_1)
	v_and_b32_e32 v3, 0x80000000, v3
	v_or3_b32 v9, v2, v3, v4
	v_mov_b32_e32 v3, v11
	scratch_store_b64 off, v[2:3], s32 offset:192 ; 8-byte Folded Spill
.LBB232_1896:                           ;   in Loop: Header=BB232_10 Depth=1
	s_wait_xcnt 0x0
	s_or_b32 exec_lo, exec_lo, s15
.LBB232_1897:                           ;   in Loop: Header=BB232_10 Depth=1
	s_delay_alu instid0(SALU_CYCLE_1)
	s_or_b32 exec_lo, exec_lo, s11
.LBB232_1898:                           ;   in Loop: Header=BB232_10 Depth=1
	s_delay_alu instid0(SALU_CYCLE_1)
	s_or_b32 exec_lo, exec_lo, s4
	flat_load_b32 v10, v[66:67] offset:7180
	v_mov_b64_e32 v[4:5], 0
	v_mov_b64_e32 v[88:89], 0
	s_mov_b32 s4, exec_lo
	s_wait_loadcnt_dscnt 0x0
	v_and_b32_e32 v2, 0xff, v10
	s_wait_xcnt 0x0
	s_delay_alu instid0(VALU_DEP_1)
	v_cmpx_ne_u16_e32 0, v2
	s_cbranch_execz .LBB232_1906
; %bb.1899:                             ;   in Loop: Header=BB232_10 Depth=1
	v_mov_b64_e32 v[88:89], 0x80000000
	s_mov_b32 s11, exec_lo
	v_cmpx_ne_u16_e32 0x80, v2
	s_cbranch_execz .LBB232_1905
; %bb.1900:                             ;   in Loop: Header=BB232_10 Depth=1
	v_mov_b64_e32 v[88:89], 0x7f800001
	v_and_b32_e32 v2, 0x7f, v10
	s_mov_b32 s15, exec_lo
	s_delay_alu instid0(VALU_DEP_1)
	v_cmpx_ne_u32_e32 0x7f, v2
	s_cbranch_execz .LBB232_1904
; %bb.1901:                             ;   in Loop: Header=BB232_10 Depth=1
	scratch_load_b64 v[88:89], off, s32 offset:192 th:TH_LOAD_LU ; 8-byte Folded Reload
	s_wait_loadcnt 0x0
	v_and_b32_e32 v88, 7, v10
	v_lshrrev_b32_e32 v11, 3, v2
	v_cmp_gt_u32_e64 s1, 8, v2
	s_delay_alu instid0(VALU_DEP_3)
	v_mov_b64_e32 v[2:3], v[88:89]
	s_wait_xcnt 0x0
	s_and_saveexec_b32 s16, s1
; %bb.1902:                             ;   in Loop: Header=BB232_10 Depth=1
	v_clz_i32_u32_e32 v2, v88
	s_delay_alu instid0(VALU_DEP_1) | instskip(NEXT) | instid1(VALU_DEP_1)
	v_min_u32_e32 v11, 32, v2
	v_subrev_nc_u32_e32 v2, 28, v11
	s_delay_alu instid0(VALU_DEP_1) | instskip(NEXT) | instid1(VALU_DEP_1)
	v_lshlrev_b64_e32 v[2:3], v2, v[88:89]
	v_dual_sub_nc_u32 v11, 29, v11 :: v_dual_bitop2_b32 v2, 7, v2 bitop3:0x40
; %bb.1903:                             ;   in Loop: Header=BB232_10 Depth=1
	s_or_b32 exec_lo, exec_lo, s16
	v_lshlrev_b32_e32 v3, 24, v10
	s_delay_alu instid0(VALU_DEP_2) | instskip(NEXT) | instid1(VALU_DEP_3)
	v_lshlrev_b32_e32 v2, 20, v2
	v_lshl_add_u32 v11, v11, 23, 0x3c000000
	s_delay_alu instid0(VALU_DEP_3) | instskip(NEXT) | instid1(VALU_DEP_1)
	v_and_b32_e32 v3, 0x80000000, v3
	v_or3_b32 v88, v2, v3, v11
	v_mov_b32_e32 v3, v89
	scratch_store_b64 off, v[2:3], s32 offset:192 ; 8-byte Folded Spill
.LBB232_1904:                           ;   in Loop: Header=BB232_10 Depth=1
	s_wait_xcnt 0x0
	s_or_b32 exec_lo, exec_lo, s15
.LBB232_1905:                           ;   in Loop: Header=BB232_10 Depth=1
	s_delay_alu instid0(SALU_CYCLE_1)
	s_or_b32 exec_lo, exec_lo, s11
.LBB232_1906:                           ;   in Loop: Header=BB232_10 Depth=1
	s_delay_alu instid0(SALU_CYCLE_1) | instskip(SKIP_2) | instid1(VALU_DEP_1)
	s_or_b32 exec_lo, exec_lo, s4
	v_lshrrev_b16 v2, 8, v10
	s_mov_b32 s4, exec_lo
	v_cmpx_ne_u16_e32 0, v2
	s_cbranch_execz .LBB232_1914
; %bb.1907:                             ;   in Loop: Header=BB232_10 Depth=1
	v_mov_b64_e32 v[4:5], 0x8000000000000000
	s_mov_b32 s11, exec_lo
	v_cmpx_ne_u16_e32 0x80, v2
	s_cbranch_execz .LBB232_1913
; %bb.1908:                             ;   in Loop: Header=BB232_10 Depth=1
	v_and_b32_e32 v3, 0xffff, v2
	v_mov_b64_e32 v[4:5], 0x7f80000100000000
	s_mov_b32 s15, exec_lo
	s_delay_alu instid0(VALU_DEP_2) | instskip(NEXT) | instid1(VALU_DEP_1)
	v_and_b32_e32 v2, 0x7f, v3
	v_cmpx_ne_u32_e32 0x7f, v2
	s_cbranch_execz .LBB232_1912
; %bb.1909:                             ;   in Loop: Header=BB232_10 Depth=1
	scratch_load_b64 v[12:13], off, s32 offset:192 th:TH_LOAD_LU ; 8-byte Folded Reload
	s_wait_loadcnt 0x0
	v_dual_lshrrev_b32 v4, 3, v2 :: v_dual_bitop2_b32 v12, 7, v3 bitop3:0x40
	v_cmp_gt_u32_e64 s1, 8, v2
	s_delay_alu instid0(VALU_DEP_2)
	v_mov_b64_e32 v[2:3], v[12:13]
	s_wait_xcnt 0x0
	s_and_saveexec_b32 s16, s1
; %bb.1910:                             ;   in Loop: Header=BB232_10 Depth=1
	v_clz_i32_u32_e32 v2, v12
	s_delay_alu instid0(VALU_DEP_1) | instskip(NEXT) | instid1(VALU_DEP_1)
	v_min_u32_e32 v4, 32, v2
	v_subrev_nc_u32_e32 v2, 28, v4
	s_delay_alu instid0(VALU_DEP_1) | instskip(NEXT) | instid1(VALU_DEP_1)
	v_lshlrev_b64_e32 v[2:3], v2, v[12:13]
	v_dual_sub_nc_u32 v4, 29, v4 :: v_dual_bitop2_b32 v2, 7, v2 bitop3:0x40
; %bb.1911:                             ;   in Loop: Header=BB232_10 Depth=1
	s_or_b32 exec_lo, exec_lo, s16
	v_lshlrev_b32_e32 v3, 16, v10
	s_delay_alu instid0(VALU_DEP_2) | instskip(NEXT) | instid1(VALU_DEP_3)
	v_lshlrev_b32_e32 v2, 20, v2
	v_lshl_add_u32 v4, v4, 23, 0x3c000000
	s_delay_alu instid0(VALU_DEP_3) | instskip(NEXT) | instid1(VALU_DEP_1)
	v_and_b32_e32 v3, 0x80000000, v3
	v_or3_b32 v5, v2, v3, v4
	v_dual_mov_b32 v3, v13 :: v_dual_mov_b32 v4, v13
	scratch_store_b64 off, v[2:3], s32 offset:192 ; 8-byte Folded Spill
.LBB232_1912:                           ;   in Loop: Header=BB232_10 Depth=1
	s_wait_xcnt 0x0
	s_or_b32 exec_lo, exec_lo, s15
.LBB232_1913:                           ;   in Loop: Header=BB232_10 Depth=1
	s_delay_alu instid0(SALU_CYCLE_1)
	s_or_b32 exec_lo, exec_lo, s11
.LBB232_1914:                           ;   in Loop: Header=BB232_10 Depth=1
	s_delay_alu instid0(SALU_CYCLE_1) | instskip(SKIP_4) | instid1(VALU_DEP_3)
	s_or_b32 exec_lo, exec_lo, s4
	v_lshrrev_b32_e32 v11, 16, v10
	v_mov_b64_e32 v[24:25], 0
	v_mov_b64_e32 v[48:49], 0
	s_mov_b32 s4, exec_lo
	v_and_b32_e32 v2, 0xff, v11
	s_delay_alu instid0(VALU_DEP_1)
	v_cmpx_ne_u16_e32 0, v2
	s_cbranch_execz .LBB232_1922
; %bb.1915:                             ;   in Loop: Header=BB232_10 Depth=1
	v_mov_b64_e32 v[48:49], 0x80000000
	s_mov_b32 s11, exec_lo
	v_cmpx_ne_u16_e32 0x80, v2
	s_cbranch_execz .LBB232_1921
; %bb.1916:                             ;   in Loop: Header=BB232_10 Depth=1
	v_mov_b64_e32 v[48:49], 0x7f800001
	v_bfe_u32 v2, v10, 16, 7
	s_mov_b32 s15, exec_lo
	s_delay_alu instid0(VALU_DEP_1)
	v_cmpx_ne_u32_e32 0x7f, v2
	s_cbranch_execz .LBB232_1920
; %bb.1917:                             ;   in Loop: Header=BB232_10 Depth=1
	scratch_load_b64 v[48:49], off, s32 offset:192 th:TH_LOAD_LU ; 8-byte Folded Reload
	s_wait_loadcnt 0x0
	v_dual_lshrrev_b32 v12, 3, v2 :: v_dual_bitop2_b32 v48, 7, v11 bitop3:0x40
	v_cmp_gt_u32_e64 s1, 8, v2
	s_delay_alu instid0(VALU_DEP_2)
	v_mov_b64_e32 v[2:3], v[48:49]
	s_wait_xcnt 0x0
	s_and_saveexec_b32 s16, s1
; %bb.1918:                             ;   in Loop: Header=BB232_10 Depth=1
	v_clz_i32_u32_e32 v2, v48
	s_delay_alu instid0(VALU_DEP_1) | instskip(NEXT) | instid1(VALU_DEP_1)
	v_min_u32_e32 v12, 32, v2
	v_subrev_nc_u32_e32 v2, 28, v12
	s_delay_alu instid0(VALU_DEP_1) | instskip(NEXT) | instid1(VALU_DEP_1)
	v_lshlrev_b64_e32 v[2:3], v2, v[48:49]
	v_dual_sub_nc_u32 v12, 29, v12 :: v_dual_bitop2_b32 v2, 7, v2 bitop3:0x40
; %bb.1919:                             ;   in Loop: Header=BB232_10 Depth=1
	s_or_b32 exec_lo, exec_lo, s16
	s_delay_alu instid0(VALU_DEP_1) | instskip(NEXT) | instid1(VALU_DEP_2)
	v_dual_lshlrev_b32 v3, 24, v11 :: v_dual_lshlrev_b32 v2, 20, v2
	v_lshl_add_u32 v11, v12, 23, 0x3c000000
	s_delay_alu instid0(VALU_DEP_2) | instskip(NEXT) | instid1(VALU_DEP_1)
	v_and_b32_e32 v3, 0x80000000, v3
	v_or3_b32 v48, v2, v3, v11
	v_mov_b32_e32 v3, v49
	scratch_store_b64 off, v[2:3], s32 offset:192 ; 8-byte Folded Spill
.LBB232_1920:                           ;   in Loop: Header=BB232_10 Depth=1
	s_wait_xcnt 0x0
	s_or_b32 exec_lo, exec_lo, s15
.LBB232_1921:                           ;   in Loop: Header=BB232_10 Depth=1
	s_delay_alu instid0(SALU_CYCLE_1)
	s_or_b32 exec_lo, exec_lo, s11
.LBB232_1922:                           ;   in Loop: Header=BB232_10 Depth=1
	s_delay_alu instid0(SALU_CYCLE_1) | instskip(NEXT) | instid1(SALU_CYCLE_1)
	s_or_b32 exec_lo, exec_lo, s4
	s_mov_b32 s4, exec_lo
	v_cmpx_lt_u32_e32 0xffffff, v10
	s_cbranch_execz .LBB232_1930
; %bb.1923:                             ;   in Loop: Header=BB232_10 Depth=1
	v_mov_b64_e32 v[24:25], 0x8000000000000000
	v_lshrrev_b32_e32 v11, 24, v10
	s_mov_b32 s11, exec_lo
	s_delay_alu instid0(VALU_DEP_1)
	v_cmpx_ne_u32_e32 0x80, v11
	s_cbranch_execz .LBB232_1929
; %bb.1924:                             ;   in Loop: Header=BB232_10 Depth=1
	v_mov_b64_e32 v[24:25], 0x7f80000100000000
	v_bfe_u32 v2, v10, 24, 7
	s_mov_b32 s15, exec_lo
	s_delay_alu instid0(VALU_DEP_1)
	v_cmpx_ne_u32_e32 0x7f, v2
	s_cbranch_execz .LBB232_1928
; %bb.1925:                             ;   in Loop: Header=BB232_10 Depth=1
	scratch_load_b64 v[12:13], off, s32 offset:192 th:TH_LOAD_LU ; 8-byte Folded Reload
	s_wait_loadcnt 0x0
	v_dual_lshrrev_b32 v10, 3, v2 :: v_dual_bitop2_b32 v12, 7, v11 bitop3:0x40
	v_cmp_gt_u32_e64 s1, 8, v2
	s_delay_alu instid0(VALU_DEP_2)
	v_mov_b64_e32 v[2:3], v[12:13]
	s_wait_xcnt 0x0
	s_and_saveexec_b32 s16, s1
; %bb.1926:                             ;   in Loop: Header=BB232_10 Depth=1
	v_clz_i32_u32_e32 v2, v12
	s_delay_alu instid0(VALU_DEP_1) | instskip(NEXT) | instid1(VALU_DEP_1)
	v_min_u32_e32 v10, 32, v2
	v_subrev_nc_u32_e32 v2, 28, v10
	v_sub_nc_u32_e32 v10, 29, v10
	s_delay_alu instid0(VALU_DEP_2) | instskip(NEXT) | instid1(VALU_DEP_1)
	v_lshlrev_b64_e32 v[2:3], v2, v[12:13]
	v_and_b32_e32 v2, 7, v2
; %bb.1927:                             ;   in Loop: Header=BB232_10 Depth=1
	s_or_b32 exec_lo, exec_lo, s16
	s_delay_alu instid0(VALU_DEP_1) | instskip(SKIP_2) | instid1(VALU_DEP_3)
	v_dual_lshlrev_b32 v3, 24, v11 :: v_dual_lshlrev_b32 v2, 20, v2
	v_lshl_add_u32 v10, v10, 23, 0x3c000000
	v_mov_b32_e32 v24, v13
	v_and_b32_e32 v3, 0x80000000, v3
	s_delay_alu instid0(VALU_DEP_1)
	v_or3_b32 v25, v2, v3, v10
	v_mov_b32_e32 v3, v13
	scratch_store_b64 off, v[2:3], s32 offset:192 ; 8-byte Folded Spill
.LBB232_1928:                           ;   in Loop: Header=BB232_10 Depth=1
	s_wait_xcnt 0x0
	s_or_b32 exec_lo, exec_lo, s15
.LBB232_1929:                           ;   in Loop: Header=BB232_10 Depth=1
	s_delay_alu instid0(SALU_CYCLE_1)
	s_or_b32 exec_lo, exec_lo, s11
.LBB232_1930:                           ;   in Loop: Header=BB232_10 Depth=1
	s_delay_alu instid0(SALU_CYCLE_1)
	s_or_b32 exec_lo, exec_lo, s4
	flat_load_b32 v12, v[66:67] offset:7680
	v_mov_b64_e32 v[38:39], 0
	v_mov_b64_e32 v[92:93], 0
	s_mov_b32 s4, exec_lo
	s_wait_loadcnt_dscnt 0x0
	v_and_b32_e32 v2, 0xff, v12
	s_wait_xcnt 0x0
	s_delay_alu instid0(VALU_DEP_1)
	v_cmpx_ne_u16_e32 0, v2
	s_cbranch_execz .LBB232_1938
; %bb.1931:                             ;   in Loop: Header=BB232_10 Depth=1
	v_mov_b64_e32 v[92:93], 0x80000000
	s_mov_b32 s11, exec_lo
	v_cmpx_ne_u16_e32 0x80, v2
	s_cbranch_execz .LBB232_1937
; %bb.1932:                             ;   in Loop: Header=BB232_10 Depth=1
	v_mov_b64_e32 v[92:93], 0x7f800001
	v_and_b32_e32 v2, 0x7f, v12
	s_mov_b32 s15, exec_lo
	s_delay_alu instid0(VALU_DEP_1)
	v_cmpx_ne_u32_e32 0x7f, v2
	s_cbranch_execz .LBB232_1936
; %bb.1933:                             ;   in Loop: Header=BB232_10 Depth=1
	scratch_load_b64 v[92:93], off, s32 offset:192 th:TH_LOAD_LU ; 8-byte Folded Reload
	s_wait_loadcnt 0x0
	v_dual_lshrrev_b32 v10, 3, v2 :: v_dual_bitop2_b32 v92, 7, v12 bitop3:0x40
	v_cmp_gt_u32_e64 s1, 8, v2
	s_delay_alu instid0(VALU_DEP_2)
	v_mov_b64_e32 v[2:3], v[92:93]
	s_wait_xcnt 0x0
	s_and_saveexec_b32 s16, s1
; %bb.1934:                             ;   in Loop: Header=BB232_10 Depth=1
	v_clz_i32_u32_e32 v2, v92
	s_delay_alu instid0(VALU_DEP_1) | instskip(NEXT) | instid1(VALU_DEP_1)
	v_min_u32_e32 v10, 32, v2
	v_subrev_nc_u32_e32 v2, 28, v10
	v_sub_nc_u32_e32 v10, 29, v10
	s_delay_alu instid0(VALU_DEP_2) | instskip(NEXT) | instid1(VALU_DEP_1)
	v_lshlrev_b64_e32 v[2:3], v2, v[92:93]
	v_and_b32_e32 v2, 7, v2
; %bb.1935:                             ;   in Loop: Header=BB232_10 Depth=1
	s_or_b32 exec_lo, exec_lo, s16
	s_delay_alu instid0(VALU_DEP_1) | instskip(SKIP_1) | instid1(VALU_DEP_2)
	v_dual_lshlrev_b32 v3, 24, v12 :: v_dual_lshlrev_b32 v2, 20, v2
	v_lshl_add_u32 v10, v10, 23, 0x3c000000
	v_and_b32_e32 v3, 0x80000000, v3
	s_delay_alu instid0(VALU_DEP_1)
	v_or3_b32 v92, v2, v3, v10
	v_mov_b32_e32 v3, v93
	scratch_store_b64 off, v[2:3], s32 offset:192 ; 8-byte Folded Spill
.LBB232_1936:                           ;   in Loop: Header=BB232_10 Depth=1
	s_wait_xcnt 0x0
	s_or_b32 exec_lo, exec_lo, s15
.LBB232_1937:                           ;   in Loop: Header=BB232_10 Depth=1
	s_delay_alu instid0(SALU_CYCLE_1)
	s_or_b32 exec_lo, exec_lo, s11
.LBB232_1938:                           ;   in Loop: Header=BB232_10 Depth=1
	s_delay_alu instid0(SALU_CYCLE_1) | instskip(SKIP_2) | instid1(VALU_DEP_1)
	s_or_b32 exec_lo, exec_lo, s4
	v_lshrrev_b16 v2, 8, v12
	s_mov_b32 s4, exec_lo
	v_cmpx_ne_u16_e32 0, v2
	s_cbranch_execz .LBB232_1946
; %bb.1939:                             ;   in Loop: Header=BB232_10 Depth=1
	v_mov_b64_e32 v[38:39], 0x8000000000000000
	s_mov_b32 s11, exec_lo
	v_cmpx_ne_u16_e32 0x80, v2
	s_cbranch_execz .LBB232_1945
; %bb.1940:                             ;   in Loop: Header=BB232_10 Depth=1
	v_and_b32_e32 v3, 0xffff, v2
	v_mov_b64_e32 v[38:39], 0x7f80000100000000
	s_mov_b32 s15, exec_lo
	s_delay_alu instid0(VALU_DEP_2) | instskip(NEXT) | instid1(VALU_DEP_1)
	v_and_b32_e32 v2, 0x7f, v3
	v_cmpx_ne_u32_e32 0x7f, v2
	s_cbranch_execz .LBB232_1944
; %bb.1941:                             ;   in Loop: Header=BB232_10 Depth=1
	scratch_load_b64 v[14:15], off, s32 offset:192 th:TH_LOAD_LU ; 8-byte Folded Reload
	s_wait_loadcnt 0x0
	v_dual_lshrrev_b32 v10, 3, v2 :: v_dual_bitop2_b32 v14, 7, v3 bitop3:0x40
	v_cmp_gt_u32_e64 s1, 8, v2
	s_delay_alu instid0(VALU_DEP_2)
	v_mov_b64_e32 v[2:3], v[14:15]
	s_wait_xcnt 0x0
	s_and_saveexec_b32 s16, s1
; %bb.1942:                             ;   in Loop: Header=BB232_10 Depth=1
	v_clz_i32_u32_e32 v2, v14
	s_delay_alu instid0(VALU_DEP_1) | instskip(NEXT) | instid1(VALU_DEP_1)
	v_min_u32_e32 v10, 32, v2
	v_subrev_nc_u32_e32 v2, 28, v10
	v_sub_nc_u32_e32 v10, 29, v10
	s_delay_alu instid0(VALU_DEP_2) | instskip(NEXT) | instid1(VALU_DEP_1)
	v_lshlrev_b64_e32 v[2:3], v2, v[14:15]
	v_and_b32_e32 v2, 7, v2
; %bb.1943:                             ;   in Loop: Header=BB232_10 Depth=1
	s_or_b32 exec_lo, exec_lo, s16
	s_delay_alu instid0(VALU_DEP_1) | instskip(SKIP_2) | instid1(VALU_DEP_3)
	v_dual_lshlrev_b32 v3, 16, v12 :: v_dual_lshlrev_b32 v2, 20, v2
	v_lshl_add_u32 v10, v10, 23, 0x3c000000
	v_mov_b32_e32 v38, v15
	v_and_b32_e32 v3, 0x80000000, v3
	s_delay_alu instid0(VALU_DEP_1)
	v_or3_b32 v39, v2, v3, v10
	v_mov_b32_e32 v3, v15
	scratch_store_b64 off, v[2:3], s32 offset:192 ; 8-byte Folded Spill
.LBB232_1944:                           ;   in Loop: Header=BB232_10 Depth=1
	s_wait_xcnt 0x0
	s_or_b32 exec_lo, exec_lo, s15
.LBB232_1945:                           ;   in Loop: Header=BB232_10 Depth=1
	s_delay_alu instid0(SALU_CYCLE_1)
	s_or_b32 exec_lo, exec_lo, s11
.LBB232_1946:                           ;   in Loop: Header=BB232_10 Depth=1
	s_delay_alu instid0(SALU_CYCLE_1) | instskip(SKIP_4) | instid1(VALU_DEP_3)
	s_or_b32 exec_lo, exec_lo, s4
	v_lshrrev_b32_e32 v13, 16, v12
	v_mov_b64_e32 v[2:3], 0
	v_mov_b64_e32 v[10:11], 0
	s_mov_b32 s4, exec_lo
	v_and_b32_e32 v20, 0xff, v13
	s_delay_alu instid0(VALU_DEP_1)
	v_cmpx_ne_u16_e32 0, v20
	s_cbranch_execz .LBB232_1954
; %bb.1947:                             ;   in Loop: Header=BB232_10 Depth=1
	v_mov_b64_e32 v[10:11], 0x80000000
	s_mov_b32 s11, exec_lo
	v_cmpx_ne_u16_e32 0x80, v20
	s_cbranch_execz .LBB232_1953
; %bb.1948:                             ;   in Loop: Header=BB232_10 Depth=1
	v_mov_b64_e32 v[10:11], 0x7f800001
	v_bfe_u32 v21, v12, 16, 7
	s_mov_b32 s15, exec_lo
	s_delay_alu instid0(VALU_DEP_1)
	v_cmpx_ne_u32_e32 0x7f, v21
	s_cbranch_execz .LBB232_1952
; %bb.1949:                             ;   in Loop: Header=BB232_10 Depth=1
	scratch_load_b64 v[14:15], off, s32 offset:192 th:TH_LOAD_LU ; 8-byte Folded Reload
	s_wait_loadcnt 0x0
	v_and_b32_e32 v14, 7, v13
	v_lshrrev_b32_e32 v20, 3, v21
	s_mov_b32 s16, exec_lo
	s_delay_alu instid0(VALU_DEP_2)
	v_mov_b64_e32 v[10:11], v[14:15]
	s_wait_xcnt 0x0
	v_cmpx_gt_u32_e32 8, v21
; %bb.1950:                             ;   in Loop: Header=BB232_10 Depth=1
	v_clz_i32_u32_e32 v10, v14
	s_delay_alu instid0(VALU_DEP_1) | instskip(NEXT) | instid1(VALU_DEP_1)
	v_min_u32_e32 v20, 32, v10
	v_subrev_nc_u32_e32 v10, 28, v20
	s_delay_alu instid0(VALU_DEP_1) | instskip(NEXT) | instid1(VALU_DEP_1)
	v_lshlrev_b64_e32 v[10:11], v10, v[14:15]
	v_dual_sub_nc_u32 v20, 29, v20 :: v_dual_bitop2_b32 v10, 7, v10 bitop3:0x40
; %bb.1951:                             ;   in Loop: Header=BB232_10 Depth=1
	s_or_b32 exec_lo, exec_lo, s16
	s_delay_alu instid0(VALU_DEP_1) | instskip(NEXT) | instid1(VALU_DEP_2)
	v_dual_lshlrev_b32 v11, 24, v13 :: v_dual_lshlrev_b32 v10, 20, v10
	v_lshl_add_u32 v13, v20, 23, 0x3c000000
	s_delay_alu instid0(VALU_DEP_2) | instskip(NEXT) | instid1(VALU_DEP_1)
	v_and_b32_e32 v11, 0x80000000, v11
	v_or3_b32 v14, v10, v11, v13
	v_mov_b32_e32 v11, v15
	scratch_store_b64 off, v[10:11], s32 offset:192 ; 8-byte Folded Spill
	s_wait_xcnt 0x0
	v_mov_b64_e32 v[10:11], v[14:15]
.LBB232_1952:                           ;   in Loop: Header=BB232_10 Depth=1
	s_or_b32 exec_lo, exec_lo, s15
.LBB232_1953:                           ;   in Loop: Header=BB232_10 Depth=1
	s_delay_alu instid0(SALU_CYCLE_1)
	s_or_b32 exec_lo, exec_lo, s11
.LBB232_1954:                           ;   in Loop: Header=BB232_10 Depth=1
	s_delay_alu instid0(SALU_CYCLE_1) | instskip(NEXT) | instid1(SALU_CYCLE_1)
	s_or_b32 exec_lo, exec_lo, s4
	s_mov_b32 s4, exec_lo
	v_cmpx_lt_u32_e32 0xffffff, v12
	s_cbranch_execz .LBB232_1962
; %bb.1955:                             ;   in Loop: Header=BB232_10 Depth=1
	v_mov_b64_e32 v[2:3], 0x8000000000000000
	v_lshrrev_b32_e32 v13, 24, v12
	s_mov_b32 s11, exec_lo
	s_delay_alu instid0(VALU_DEP_1)
	v_cmpx_ne_u32_e32 0x80, v13
	s_cbranch_execz .LBB232_1961
; %bb.1956:                             ;   in Loop: Header=BB232_10 Depth=1
	v_mov_b64_e32 v[2:3], 0x7f80000100000000
	v_bfe_u32 v20, v12, 24, 7
	s_mov_b32 s15, exec_lo
	s_delay_alu instid0(VALU_DEP_1)
	v_cmpx_ne_u32_e32 0x7f, v20
	s_cbranch_execz .LBB232_1960
; %bb.1957:                             ;   in Loop: Header=BB232_10 Depth=1
	scratch_load_b64 v[14:15], off, s32 offset:192 th:TH_LOAD_LU ; 8-byte Folded Reload
	s_wait_loadcnt 0x0
	v_dual_lshrrev_b32 v12, 3, v20 :: v_dual_bitop2_b32 v14, 7, v13 bitop3:0x40
	s_mov_b32 s16, exec_lo
	s_delay_alu instid0(VALU_DEP_1)
	v_mov_b64_e32 v[2:3], v[14:15]
	s_wait_xcnt 0x0
	v_cmpx_gt_u32_e32 8, v20
; %bb.1958:                             ;   in Loop: Header=BB232_10 Depth=1
	v_clz_i32_u32_e32 v2, v14
	s_delay_alu instid0(VALU_DEP_1) | instskip(NEXT) | instid1(VALU_DEP_1)
	v_min_u32_e32 v12, 32, v2
	v_subrev_nc_u32_e32 v2, 28, v12
	s_delay_alu instid0(VALU_DEP_1) | instskip(NEXT) | instid1(VALU_DEP_1)
	v_lshlrev_b64_e32 v[2:3], v2, v[14:15]
	v_dual_sub_nc_u32 v12, 29, v12 :: v_dual_bitop2_b32 v2, 7, v2 bitop3:0x40
; %bb.1959:                             ;   in Loop: Header=BB232_10 Depth=1
	s_or_b32 exec_lo, exec_lo, s16
	s_delay_alu instid0(VALU_DEP_1) | instskip(NEXT) | instid1(VALU_DEP_2)
	v_dual_lshlrev_b32 v3, 24, v13 :: v_dual_lshlrev_b32 v2, 20, v2
	v_lshl_add_u32 v12, v12, 23, 0x3c000000
	v_mov_b32_e32 v13, v15
	s_delay_alu instid0(VALU_DEP_3) | instskip(NEXT) | instid1(VALU_DEP_1)
	v_and_b32_e32 v3, 0x80000000, v3
	v_or3_b32 v3, v2, v3, v12
	v_mov_b32_e32 v2, v15
	scratch_store_b64 off, v[12:13], s32 offset:192 ; 8-byte Folded Spill
.LBB232_1960:                           ;   in Loop: Header=BB232_10 Depth=1
	s_wait_xcnt 0x0
	s_or_b32 exec_lo, exec_lo, s15
.LBB232_1961:                           ;   in Loop: Header=BB232_10 Depth=1
	s_delay_alu instid0(SALU_CYCLE_1)
	s_or_b32 exec_lo, exec_lo, s11
.LBB232_1962:                           ;   in Loop: Header=BB232_10 Depth=1
	s_delay_alu instid0(SALU_CYCLE_1)
	s_or_b32 exec_lo, exec_lo, s4
	flat_load_b32 v20, v[66:67] offset:7684
	v_mov_b64_e32 v[84:85], 0
	v_mov_b64_e32 v[34:35], 0
	s_mov_b32 s4, exec_lo
	s_wait_loadcnt_dscnt 0x0
	v_and_b32_e32 v12, 0xff, v20
	s_wait_xcnt 0x0
	s_delay_alu instid0(VALU_DEP_1)
	v_cmpx_ne_u16_e32 0, v12
	s_cbranch_execz .LBB232_1970
; %bb.1963:                             ;   in Loop: Header=BB232_10 Depth=1
	v_mov_b64_e32 v[34:35], 0x80000000
	s_mov_b32 s11, exec_lo
	v_cmpx_ne_u16_e32 0x80, v12
	s_cbranch_execz .LBB232_1969
; %bb.1964:                             ;   in Loop: Header=BB232_10 Depth=1
	v_mov_b64_e32 v[34:35], 0x7f800001
	v_and_b32_e32 v12, 0x7f, v20
	s_mov_b32 s15, exec_lo
	s_delay_alu instid0(VALU_DEP_1)
	v_cmpx_ne_u32_e32 0x7f, v12
	s_cbranch_execz .LBB232_1968
; %bb.1965:                             ;   in Loop: Header=BB232_10 Depth=1
	scratch_load_b64 v[34:35], off, s32 offset:192 th:TH_LOAD_LU ; 8-byte Folded Reload
	s_wait_loadcnt 0x0
	v_and_b32_e32 v34, 7, v20
	v_lshrrev_b32_e32 v21, 3, v12
	v_cmp_gt_u32_e64 s1, 8, v12
	s_delay_alu instid0(VALU_DEP_3)
	v_mov_b64_e32 v[12:13], v[34:35]
	s_wait_xcnt 0x0
	s_and_saveexec_b32 s16, s1
; %bb.1966:                             ;   in Loop: Header=BB232_10 Depth=1
	v_clz_i32_u32_e32 v12, v34
	s_delay_alu instid0(VALU_DEP_1) | instskip(NEXT) | instid1(VALU_DEP_1)
	v_min_u32_e32 v21, 32, v12
	v_subrev_nc_u32_e32 v12, 28, v21
	s_delay_alu instid0(VALU_DEP_1) | instskip(NEXT) | instid1(VALU_DEP_1)
	v_lshlrev_b64_e32 v[12:13], v12, v[34:35]
	v_dual_sub_nc_u32 v21, 29, v21 :: v_dual_bitop2_b32 v12, 7, v12 bitop3:0x40
; %bb.1967:                             ;   in Loop: Header=BB232_10 Depth=1
	s_or_b32 exec_lo, exec_lo, s16
	v_lshlrev_b32_e32 v13, 24, v20
	s_delay_alu instid0(VALU_DEP_2) | instskip(NEXT) | instid1(VALU_DEP_3)
	v_lshlrev_b32_e32 v12, 20, v12
	v_lshl_add_u32 v14, v21, 23, 0x3c000000
	s_delay_alu instid0(VALU_DEP_3) | instskip(NEXT) | instid1(VALU_DEP_1)
	v_and_b32_e32 v13, 0x80000000, v13
	v_or3_b32 v34, v12, v13, v14
	v_mov_b32_e32 v13, v35
	scratch_store_b64 off, v[12:13], s32 offset:192 ; 8-byte Folded Spill
.LBB232_1968:                           ;   in Loop: Header=BB232_10 Depth=1
	s_wait_xcnt 0x0
	s_or_b32 exec_lo, exec_lo, s15
.LBB232_1969:                           ;   in Loop: Header=BB232_10 Depth=1
	s_delay_alu instid0(SALU_CYCLE_1)
	s_or_b32 exec_lo, exec_lo, s11
.LBB232_1970:                           ;   in Loop: Header=BB232_10 Depth=1
	s_delay_alu instid0(SALU_CYCLE_1) | instskip(SKIP_2) | instid1(VALU_DEP_1)
	s_or_b32 exec_lo, exec_lo, s4
	v_lshrrev_b16 v12, 8, v20
	s_mov_b32 s4, exec_lo
	v_cmpx_ne_u16_e32 0, v12
	s_cbranch_execz .LBB232_1978
; %bb.1971:                             ;   in Loop: Header=BB232_10 Depth=1
	v_mov_b64_e32 v[84:85], 0x8000000000000000
	s_mov_b32 s11, exec_lo
	v_cmpx_ne_u16_e32 0x80, v12
	s_cbranch_execz .LBB232_1977
; %bb.1972:                             ;   in Loop: Header=BB232_10 Depth=1
	v_and_b32_e32 v13, 0xffff, v12
	v_mov_b64_e32 v[84:85], 0x7f80000100000000
	s_mov_b32 s15, exec_lo
	s_delay_alu instid0(VALU_DEP_2) | instskip(NEXT) | instid1(VALU_DEP_1)
	v_and_b32_e32 v12, 0x7f, v13
	v_cmpx_ne_u32_e32 0x7f, v12
	s_cbranch_execz .LBB232_1976
; %bb.1973:                             ;   in Loop: Header=BB232_10 Depth=1
	scratch_load_b64 v[14:15], off, s32 offset:192 th:TH_LOAD_LU ; 8-byte Folded Reload
	s_wait_loadcnt 0x0
	v_dual_lshrrev_b32 v21, 3, v12 :: v_dual_bitop2_b32 v14, 7, v13 bitop3:0x40
	v_cmp_gt_u32_e64 s1, 8, v12
	s_delay_alu instid0(VALU_DEP_2)
	v_mov_b64_e32 v[12:13], v[14:15]
	s_wait_xcnt 0x0
	s_and_saveexec_b32 s16, s1
; %bb.1974:                             ;   in Loop: Header=BB232_10 Depth=1
	v_clz_i32_u32_e32 v12, v14
	s_delay_alu instid0(VALU_DEP_1) | instskip(NEXT) | instid1(VALU_DEP_1)
	v_min_u32_e32 v21, 32, v12
	v_subrev_nc_u32_e32 v12, 28, v21
	s_delay_alu instid0(VALU_DEP_1) | instskip(NEXT) | instid1(VALU_DEP_1)
	v_lshlrev_b64_e32 v[12:13], v12, v[14:15]
	v_dual_sub_nc_u32 v21, 29, v21 :: v_dual_bitop2_b32 v12, 7, v12 bitop3:0x40
; %bb.1975:                             ;   in Loop: Header=BB232_10 Depth=1
	s_or_b32 exec_lo, exec_lo, s16
	v_dual_mov_b32 v84, v15 :: v_dual_lshlrev_b32 v13, 16, v20
	s_delay_alu instid0(VALU_DEP_2) | instskip(NEXT) | instid1(VALU_DEP_3)
	v_lshlrev_b32_e32 v12, 20, v12
	v_lshl_add_u32 v14, v21, 23, 0x3c000000
	s_delay_alu instid0(VALU_DEP_3) | instskip(NEXT) | instid1(VALU_DEP_1)
	v_and_b32_e32 v13, 0x80000000, v13
	v_or3_b32 v85, v12, v13, v14
	v_mov_b32_e32 v13, v15
	scratch_store_b64 off, v[12:13], s32 offset:192 ; 8-byte Folded Spill
.LBB232_1976:                           ;   in Loop: Header=BB232_10 Depth=1
	s_wait_xcnt 0x0
	s_or_b32 exec_lo, exec_lo, s15
.LBB232_1977:                           ;   in Loop: Header=BB232_10 Depth=1
	s_delay_alu instid0(SALU_CYCLE_1)
	s_or_b32 exec_lo, exec_lo, s11
.LBB232_1978:                           ;   in Loop: Header=BB232_10 Depth=1
	s_delay_alu instid0(SALU_CYCLE_1) | instskip(SKIP_4) | instid1(VALU_DEP_3)
	s_or_b32 exec_lo, exec_lo, s4
	v_lshrrev_b32_e32 v21, 16, v20
	v_mov_b64_e32 v[82:83], 0
	v_mov_b64_e32 v[22:23], 0
	s_mov_b32 s4, exec_lo
	v_and_b32_e32 v12, 0xff, v21
	s_delay_alu instid0(VALU_DEP_1)
	v_cmpx_ne_u16_e32 0, v12
	s_cbranch_execz .LBB232_1986
; %bb.1979:                             ;   in Loop: Header=BB232_10 Depth=1
	v_mov_b64_e32 v[22:23], 0x80000000
	s_mov_b32 s11, exec_lo
	v_cmpx_ne_u16_e32 0x80, v12
	s_cbranch_execz .LBB232_1985
; %bb.1980:                             ;   in Loop: Header=BB232_10 Depth=1
	v_mov_b64_e32 v[22:23], 0x7f800001
	v_bfe_u32 v12, v20, 16, 7
	s_mov_b32 s15, exec_lo
	s_delay_alu instid0(VALU_DEP_1)
	v_cmpx_ne_u32_e32 0x7f, v12
	s_cbranch_execz .LBB232_1984
; %bb.1981:                             ;   in Loop: Header=BB232_10 Depth=1
	scratch_load_b64 v[14:15], off, s32 offset:192 th:TH_LOAD_LU ; 8-byte Folded Reload
	s_wait_loadcnt 0x0
	v_dual_lshrrev_b32 v22, 3, v12 :: v_dual_bitop2_b32 v14, 7, v21 bitop3:0x40
	v_cmp_gt_u32_e64 s1, 8, v12
	s_delay_alu instid0(VALU_DEP_2)
	v_mov_b64_e32 v[12:13], v[14:15]
	s_wait_xcnt 0x0
	s_and_saveexec_b32 s16, s1
; %bb.1982:                             ;   in Loop: Header=BB232_10 Depth=1
	v_clz_i32_u32_e32 v12, v14
	s_delay_alu instid0(VALU_DEP_1) | instskip(NEXT) | instid1(VALU_DEP_1)
	v_min_u32_e32 v22, 32, v12
	v_subrev_nc_u32_e32 v12, 28, v22
	s_delay_alu instid0(VALU_DEP_1) | instskip(NEXT) | instid1(VALU_DEP_1)
	v_lshlrev_b64_e32 v[12:13], v12, v[14:15]
	v_dual_sub_nc_u32 v22, 29, v22 :: v_dual_bitop2_b32 v12, 7, v12 bitop3:0x40
; %bb.1983:                             ;   in Loop: Header=BB232_10 Depth=1
	s_or_b32 exec_lo, exec_lo, s16
	s_delay_alu instid0(VALU_DEP_1) | instskip(NEXT) | instid1(VALU_DEP_2)
	v_dual_lshlrev_b32 v13, 24, v21 :: v_dual_lshlrev_b32 v12, 20, v12
	v_lshl_add_u32 v14, v22, 23, 0x3c000000
	s_delay_alu instid0(VALU_DEP_2) | instskip(NEXT) | instid1(VALU_DEP_1)
	v_and_b32_e32 v13, 0x80000000, v13
	v_or3_b32 v14, v12, v13, v14
	v_mov_b32_e32 v13, v15
	s_delay_alu instid0(VALU_DEP_2)
	v_mov_b64_e32 v[22:23], v[14:15]
	scratch_store_b64 off, v[12:13], s32 offset:192 ; 8-byte Folded Spill
.LBB232_1984:                           ;   in Loop: Header=BB232_10 Depth=1
	s_wait_xcnt 0x0
	s_or_b32 exec_lo, exec_lo, s15
.LBB232_1985:                           ;   in Loop: Header=BB232_10 Depth=1
	s_delay_alu instid0(SALU_CYCLE_1)
	s_or_b32 exec_lo, exec_lo, s11
.LBB232_1986:                           ;   in Loop: Header=BB232_10 Depth=1
	s_delay_alu instid0(SALU_CYCLE_1) | instskip(NEXT) | instid1(SALU_CYCLE_1)
	s_or_b32 exec_lo, exec_lo, s4
	s_mov_b32 s4, exec_lo
	v_cmpx_lt_u32_e32 0xffffff, v20
	s_cbranch_execz .LBB232_1994
; %bb.1987:                             ;   in Loop: Header=BB232_10 Depth=1
	v_mov_b64_e32 v[82:83], 0x8000000000000000
	v_lshrrev_b32_e32 v21, 24, v20
	s_mov_b32 s11, exec_lo
	s_delay_alu instid0(VALU_DEP_1)
	v_cmpx_ne_u32_e32 0x80, v21
	s_cbranch_execz .LBB232_1993
; %bb.1988:                             ;   in Loop: Header=BB232_10 Depth=1
	v_mov_b64_e32 v[82:83], 0x7f80000100000000
	v_bfe_u32 v12, v20, 24, 7
	s_mov_b32 s15, exec_lo
	s_delay_alu instid0(VALU_DEP_1)
	v_cmpx_ne_u32_e32 0x7f, v12
	s_cbranch_execz .LBB232_1992
; %bb.1989:                             ;   in Loop: Header=BB232_10 Depth=1
	scratch_load_b64 v[14:15], off, s32 offset:192 th:TH_LOAD_LU ; 8-byte Folded Reload
	s_wait_loadcnt 0x0
	v_dual_lshrrev_b32 v20, 3, v12 :: v_dual_bitop2_b32 v14, 7, v21 bitop3:0x40
	v_cmp_gt_u32_e64 s1, 8, v12
	s_delay_alu instid0(VALU_DEP_2)
	v_mov_b64_e32 v[12:13], v[14:15]
	s_wait_xcnt 0x0
	s_and_saveexec_b32 s16, s1
; %bb.1990:                             ;   in Loop: Header=BB232_10 Depth=1
	v_clz_i32_u32_e32 v12, v14
	s_delay_alu instid0(VALU_DEP_1) | instskip(NEXT) | instid1(VALU_DEP_1)
	v_min_u32_e32 v20, 32, v12
	v_subrev_nc_u32_e32 v12, 28, v20
	v_sub_nc_u32_e32 v20, 29, v20
	s_delay_alu instid0(VALU_DEP_2) | instskip(NEXT) | instid1(VALU_DEP_1)
	v_lshlrev_b64_e32 v[12:13], v12, v[14:15]
	v_and_b32_e32 v12, 7, v12
; %bb.1991:                             ;   in Loop: Header=BB232_10 Depth=1
	s_or_b32 exec_lo, exec_lo, s16
	s_delay_alu instid0(VALU_DEP_1) | instskip(SKIP_2) | instid1(VALU_DEP_3)
	v_dual_lshlrev_b32 v13, 24, v21 :: v_dual_lshlrev_b32 v12, 20, v12
	v_lshl_add_u32 v14, v20, 23, 0x3c000000
	v_mov_b32_e32 v82, v15
	v_and_b32_e32 v13, 0x80000000, v13
	s_delay_alu instid0(VALU_DEP_1)
	v_or3_b32 v83, v12, v13, v14
	v_mov_b32_e32 v13, v15
	scratch_store_b64 off, v[12:13], s32 offset:192 ; 8-byte Folded Spill
.LBB232_1992:                           ;   in Loop: Header=BB232_10 Depth=1
	s_wait_xcnt 0x0
	s_or_b32 exec_lo, exec_lo, s15
.LBB232_1993:                           ;   in Loop: Header=BB232_10 Depth=1
	s_delay_alu instid0(SALU_CYCLE_1)
	s_or_b32 exec_lo, exec_lo, s11
.LBB232_1994:                           ;   in Loop: Header=BB232_10 Depth=1
	s_delay_alu instid0(SALU_CYCLE_1)
	s_or_b32 exec_lo, exec_lo, s4
	flat_load_b32 v104, v[66:67] offset:7688
	v_mov_b64_e32 v[20:21], 0
	v_mov_b64_e32 v[12:13], 0
	s_mov_b32 s4, exec_lo
	s_wait_loadcnt_dscnt 0x0
	v_and_b32_e32 v28, 0xff, v104
	s_wait_xcnt 0x0
	s_delay_alu instid0(VALU_DEP_1)
	v_cmpx_ne_u16_e32 0, v28
	s_cbranch_execz .LBB232_2002
; %bb.1995:                             ;   in Loop: Header=BB232_10 Depth=1
	v_mov_b64_e32 v[12:13], 0x80000000
	s_mov_b32 s11, exec_lo
	v_cmpx_ne_u16_e32 0x80, v28
	s_cbranch_execz .LBB232_2001
; %bb.1996:                             ;   in Loop: Header=BB232_10 Depth=1
	v_mov_b64_e32 v[12:13], 0x7f800001
	v_and_b32_e32 v29, 0x7f, v104
	s_mov_b32 s15, exec_lo
	s_delay_alu instid0(VALU_DEP_1)
	v_cmpx_ne_u32_e32 0x7f, v29
	s_cbranch_execz .LBB232_2000
; %bb.1997:                             ;   in Loop: Header=BB232_10 Depth=1
	scratch_load_b64 v[14:15], off, s32 offset:192 th:TH_LOAD_LU ; 8-byte Folded Reload
	s_wait_loadcnt 0x0
	v_dual_lshrrev_b32 v28, 3, v29 :: v_dual_bitop2_b32 v14, 7, v104 bitop3:0x40
	s_mov_b32 s16, exec_lo
	s_delay_alu instid0(VALU_DEP_1)
	v_mov_b64_e32 v[12:13], v[14:15]
	s_wait_xcnt 0x0
	v_cmpx_gt_u32_e32 8, v29
; %bb.1998:                             ;   in Loop: Header=BB232_10 Depth=1
	v_clz_i32_u32_e32 v12, v14
	s_delay_alu instid0(VALU_DEP_1) | instskip(NEXT) | instid1(VALU_DEP_1)
	v_min_u32_e32 v28, 32, v12
	v_subrev_nc_u32_e32 v12, 28, v28
	v_sub_nc_u32_e32 v28, 29, v28
	s_delay_alu instid0(VALU_DEP_2) | instskip(NEXT) | instid1(VALU_DEP_1)
	v_lshlrev_b64_e32 v[12:13], v12, v[14:15]
	v_and_b32_e32 v12, 7, v12
; %bb.1999:                             ;   in Loop: Header=BB232_10 Depth=1
	s_or_b32 exec_lo, exec_lo, s16
	v_lshlrev_b32_e32 v13, 24, v104
	s_delay_alu instid0(VALU_DEP_2) | instskip(SKIP_1) | instid1(VALU_DEP_3)
	v_lshlrev_b32_e32 v12, 20, v12
	v_lshl_add_u32 v14, v28, 23, 0x3c000000
	v_and_b32_e32 v13, 0x80000000, v13
	s_delay_alu instid0(VALU_DEP_1)
	v_or3_b32 v14, v12, v13, v14
	v_mov_b32_e32 v13, v15
	scratch_store_b64 off, v[12:13], s32 offset:192 ; 8-byte Folded Spill
	s_wait_xcnt 0x0
	v_mov_b64_e32 v[12:13], v[14:15]
.LBB232_2000:                           ;   in Loop: Header=BB232_10 Depth=1
	s_or_b32 exec_lo, exec_lo, s15
.LBB232_2001:                           ;   in Loop: Header=BB232_10 Depth=1
	s_delay_alu instid0(SALU_CYCLE_1)
	s_or_b32 exec_lo, exec_lo, s11
.LBB232_2002:                           ;   in Loop: Header=BB232_10 Depth=1
	s_delay_alu instid0(SALU_CYCLE_1) | instskip(SKIP_2) | instid1(VALU_DEP_1)
	s_or_b32 exec_lo, exec_lo, s4
	v_lshrrev_b16 v28, 8, v104
	s_mov_b32 s4, exec_lo
	v_cmpx_ne_u16_e32 0, v28
	s_cbranch_execz .LBB232_2010
; %bb.2003:                             ;   in Loop: Header=BB232_10 Depth=1
	v_mov_b64_e32 v[20:21], 0x8000000000000000
	s_mov_b32 s11, exec_lo
	v_cmpx_ne_u16_e32 0x80, v28
	s_cbranch_execz .LBB232_2009
; %bb.2004:                             ;   in Loop: Header=BB232_10 Depth=1
	v_and_b32_e32 v28, 0xffff, v28
	v_mov_b64_e32 v[20:21], 0x7f80000100000000
	s_mov_b32 s15, exec_lo
	s_delay_alu instid0(VALU_DEP_2) | instskip(NEXT) | instid1(VALU_DEP_1)
	v_and_b32_e32 v29, 0x7f, v28
	v_cmpx_ne_u32_e32 0x7f, v29
	s_cbranch_execz .LBB232_2008
; %bb.2005:                             ;   in Loop: Header=BB232_10 Depth=1
	scratch_load_b64 v[14:15], off, s32 offset:192 th:TH_LOAD_LU ; 8-byte Folded Reload
	s_wait_loadcnt 0x0
	v_dual_lshrrev_b32 v28, 3, v29 :: v_dual_bitop2_b32 v14, 7, v28 bitop3:0x40
	s_mov_b32 s16, exec_lo
	s_delay_alu instid0(VALU_DEP_1)
	v_mov_b64_e32 v[20:21], v[14:15]
	s_wait_xcnt 0x0
	v_cmpx_gt_u32_e32 8, v29
; %bb.2006:                             ;   in Loop: Header=BB232_10 Depth=1
	v_clz_i32_u32_e32 v20, v14
	s_delay_alu instid0(VALU_DEP_1) | instskip(NEXT) | instid1(VALU_DEP_1)
	v_min_u32_e32 v28, 32, v20
	v_subrev_nc_u32_e32 v20, 28, v28
	v_sub_nc_u32_e32 v28, 29, v28
	s_delay_alu instid0(VALU_DEP_2) | instskip(NEXT) | instid1(VALU_DEP_1)
	v_lshlrev_b64_e32 v[20:21], v20, v[14:15]
	v_and_b32_e32 v20, 7, v20
; %bb.2007:                             ;   in Loop: Header=BB232_10 Depth=1
	s_or_b32 exec_lo, exec_lo, s16
	v_dual_mov_b32 v29, v15 :: v_dual_lshlrev_b32 v14, 16, v104
	s_delay_alu instid0(VALU_DEP_2) | instskip(SKIP_1) | instid1(VALU_DEP_3)
	v_lshlrev_b32_e32 v20, 20, v20
	v_lshl_add_u32 v21, v28, 23, 0x3c000000
	v_and_b32_e32 v14, 0x80000000, v14
	scratch_store_b64 off, v[28:29], s32 offset:192 ; 8-byte Folded Spill
	v_or3_b32 v21, v20, v14, v21
	v_mov_b32_e32 v20, v15
.LBB232_2008:                           ;   in Loop: Header=BB232_10 Depth=1
	s_wait_xcnt 0x0
	s_or_b32 exec_lo, exec_lo, s15
.LBB232_2009:                           ;   in Loop: Header=BB232_10 Depth=1
	s_delay_alu instid0(SALU_CYCLE_1)
	s_or_b32 exec_lo, exec_lo, s11
.LBB232_2010:                           ;   in Loop: Header=BB232_10 Depth=1
	s_delay_alu instid0(SALU_CYCLE_1) | instskip(SKIP_4) | instid1(VALU_DEP_3)
	s_or_b32 exec_lo, exec_lo, s4
	v_lshrrev_b32_e32 v105, 16, v104
	v_mov_b64_e32 v[28:29], 0
	v_mov_b64_e32 v[36:37], 0
	s_mov_b32 s4, exec_lo
	v_and_b32_e32 v62, 0xff, v105
	s_delay_alu instid0(VALU_DEP_1)
	v_cmpx_ne_u16_e32 0, v62
	s_cbranch_execz .LBB232_2018
; %bb.2011:                             ;   in Loop: Header=BB232_10 Depth=1
	v_mov_b64_e32 v[36:37], 0x80000000
	s_mov_b32 s11, exec_lo
	v_cmpx_ne_u16_e32 0x80, v62
	s_cbranch_execz .LBB232_2017
; %bb.2012:                             ;   in Loop: Header=BB232_10 Depth=1
	v_mov_b64_e32 v[36:37], 0x7f800001
	v_bfe_u32 v109, v104, 16, 7
	s_mov_b32 s15, exec_lo
	s_delay_alu instid0(VALU_DEP_1)
	v_cmpx_ne_u32_e32 0x7f, v109
	s_cbranch_execz .LBB232_2016
; %bb.2013:                             ;   in Loop: Header=BB232_10 Depth=1
	scratch_load_b64 v[14:15], off, s32 offset:192 th:TH_LOAD_LU ; 8-byte Folded Reload
	s_wait_loadcnt 0x0
	v_and_b32_e32 v14, 7, v105
	v_lshrrev_b32_e32 v108, 3, v109
	s_mov_b32 s16, exec_lo
	s_delay_alu instid0(VALU_DEP_2)
	v_mov_b64_e32 v[36:37], v[14:15]
	s_wait_xcnt 0x0
	v_cmpx_gt_u32_e32 8, v109
; %bb.2014:                             ;   in Loop: Header=BB232_10 Depth=1
	v_clz_i32_u32_e32 v36, v14
	s_delay_alu instid0(VALU_DEP_1) | instskip(NEXT) | instid1(VALU_DEP_1)
	v_min_u32_e32 v62, 32, v36
	v_subrev_nc_u32_e32 v36, 28, v62
	s_delay_alu instid0(VALU_DEP_1) | instskip(NEXT) | instid1(VALU_DEP_1)
	v_lshlrev_b64_e32 v[36:37], v36, v[14:15]
	v_dual_sub_nc_u32 v108, 29, v62 :: v_dual_bitop2_b32 v36, 7, v36 bitop3:0x40
; %bb.2015:                             ;   in Loop: Header=BB232_10 Depth=1
	s_or_b32 exec_lo, exec_lo, s16
	s_delay_alu instid0(VALU_DEP_1) | instskip(NEXT) | instid1(VALU_DEP_2)
	v_dual_lshlrev_b32 v14, 24, v105 :: v_dual_lshlrev_b32 v36, 20, v36
	v_lshl_add_u32 v37, v108, 23, 0x3c000000
	s_delay_alu instid0(VALU_DEP_2) | instskip(NEXT) | instid1(VALU_DEP_1)
	v_and_b32_e32 v14, 0x80000000, v14
	v_or3_b32 v14, v36, v14, v37
	v_mov_b32_e32 v37, v15
	scratch_store_b64 off, v[36:37], s32 offset:192 ; 8-byte Folded Spill
	s_wait_xcnt 0x0
	v_mov_b64_e32 v[36:37], v[14:15]
.LBB232_2016:                           ;   in Loop: Header=BB232_10 Depth=1
	s_or_b32 exec_lo, exec_lo, s15
.LBB232_2017:                           ;   in Loop: Header=BB232_10 Depth=1
	s_delay_alu instid0(SALU_CYCLE_1)
	s_or_b32 exec_lo, exec_lo, s11
.LBB232_2018:                           ;   in Loop: Header=BB232_10 Depth=1
	s_delay_alu instid0(SALU_CYCLE_1) | instskip(NEXT) | instid1(SALU_CYCLE_1)
	s_or_b32 exec_lo, exec_lo, s4
	s_mov_b32 s4, exec_lo
	v_cmpx_lt_u32_e32 0xffffff, v104
	s_cbranch_execz .LBB232_2026
; %bb.2019:                             ;   in Loop: Header=BB232_10 Depth=1
	v_mov_b64_e32 v[28:29], 0x8000000000000000
	v_lshrrev_b32_e32 v105, 24, v104
	s_mov_b32 s11, exec_lo
	s_delay_alu instid0(VALU_DEP_1)
	v_cmpx_ne_u32_e32 0x80, v105
	s_cbranch_execz .LBB232_2025
; %bb.2020:                             ;   in Loop: Header=BB232_10 Depth=1
	v_mov_b64_e32 v[28:29], 0x7f80000100000000
	v_bfe_u32 v108, v104, 24, 7
	s_mov_b32 s15, exec_lo
	s_delay_alu instid0(VALU_DEP_1)
	v_cmpx_ne_u32_e32 0x7f, v108
	s_cbranch_execz .LBB232_2024
; %bb.2021:                             ;   in Loop: Header=BB232_10 Depth=1
	scratch_load_b64 v[14:15], off, s32 offset:192 th:TH_LOAD_LU ; 8-byte Folded Reload
	s_wait_loadcnt 0x0
	v_dual_lshrrev_b32 v104, 3, v108 :: v_dual_bitop2_b32 v14, 7, v105 bitop3:0x40
	s_mov_b32 s16, exec_lo
	s_delay_alu instid0(VALU_DEP_1)
	v_mov_b64_e32 v[28:29], v[14:15]
	s_wait_xcnt 0x0
	v_cmpx_gt_u32_e32 8, v108
; %bb.2022:                             ;   in Loop: Header=BB232_10 Depth=1
	v_clz_i32_u32_e32 v28, v14
	s_delay_alu instid0(VALU_DEP_1) | instskip(NEXT) | instid1(VALU_DEP_1)
	v_min_u32_e32 v62, 32, v28
	v_subrev_nc_u32_e32 v28, 28, v62
	s_delay_alu instid0(VALU_DEP_1) | instskip(NEXT) | instid1(VALU_DEP_1)
	v_lshlrev_b64_e32 v[28:29], v28, v[14:15]
	v_dual_sub_nc_u32 v104, 29, v62 :: v_dual_bitop2_b32 v28, 7, v28 bitop3:0x40
; %bb.2023:                             ;   in Loop: Header=BB232_10 Depth=1
	s_or_b32 exec_lo, exec_lo, s16
	s_delay_alu instid0(VALU_DEP_1) | instskip(NEXT) | instid1(VALU_DEP_2)
	v_dual_lshlrev_b32 v14, 24, v105 :: v_dual_lshlrev_b32 v28, 20, v28
	v_lshl_add_u32 v29, v104, 23, 0x3c000000
	v_mov_b32_e32 v105, v15
	s_delay_alu instid0(VALU_DEP_3) | instskip(NEXT) | instid1(VALU_DEP_1)
	v_and_b32_e32 v14, 0x80000000, v14
	v_or3_b32 v29, v28, v14, v29
	v_mov_b32_e32 v28, v15
	scratch_store_b64 off, v[104:105], s32 offset:192 ; 8-byte Folded Spill
.LBB232_2024:                           ;   in Loop: Header=BB232_10 Depth=1
	s_wait_xcnt 0x0
	s_or_b32 exec_lo, exec_lo, s15
.LBB232_2025:                           ;   in Loop: Header=BB232_10 Depth=1
	s_delay_alu instid0(SALU_CYCLE_1)
	s_or_b32 exec_lo, exec_lo, s11
.LBB232_2026:                           ;   in Loop: Header=BB232_10 Depth=1
	s_delay_alu instid0(SALU_CYCLE_1)
	s_or_b32 exec_lo, exec_lo, s4
	flat_load_b32 v104, v[66:67] offset:7692
	v_mov_b64_e32 v[6:7], 0
	v_mov_b64_e32 v[68:69], 0
	s_mov_b32 s4, exec_lo
	s_wait_loadcnt_dscnt 0x0
	v_and_b32_e32 v66, 0xff, v104
	s_delay_alu instid0(VALU_DEP_1)
	v_cmpx_ne_u16_e32 0, v66
	s_cbranch_execz .LBB232_2034
; %bb.2027:                             ;   in Loop: Header=BB232_10 Depth=1
	v_mov_b64_e32 v[68:69], 0x80000000
	s_mov_b32 s11, exec_lo
	v_cmpx_ne_u16_e32 0x80, v66
	s_cbranch_execz .LBB232_2033
; %bb.2028:                             ;   in Loop: Header=BB232_10 Depth=1
	v_mov_b64_e32 v[68:69], 0x7f800001
	v_and_b32_e32 v66, 0x7f, v104
	s_mov_b32 s15, exec_lo
	s_delay_alu instid0(VALU_DEP_1)
	v_cmpx_ne_u32_e32 0x7f, v66
	s_cbranch_execz .LBB232_2032
; %bb.2029:                             ;   in Loop: Header=BB232_10 Depth=1
	scratch_load_b64 v[68:69], off, s32 offset:192 th:TH_LOAD_LU ; 8-byte Folded Reload
	s_wait_loadcnt 0x0
	v_dual_lshrrev_b32 v105, 3, v66 :: v_dual_bitop2_b32 v68, 7, v104 bitop3:0x40
	v_cmp_gt_u32_e64 s1, 8, v66
	s_delay_alu instid0(VALU_DEP_2)
	v_mov_b64_e32 v[66:67], v[68:69]
	s_wait_xcnt 0x0
	s_and_saveexec_b32 s16, s1
; %bb.2030:                             ;   in Loop: Header=BB232_10 Depth=1
	v_clz_i32_u32_e32 v66, v68
	s_delay_alu instid0(VALU_DEP_1) | instskip(NEXT) | instid1(VALU_DEP_1)
	v_min_u32_e32 v62, 32, v66
	v_subrev_nc_u32_e32 v66, 28, v62
	v_sub_nc_u32_e32 v105, 29, v62
	s_delay_alu instid0(VALU_DEP_2) | instskip(NEXT) | instid1(VALU_DEP_1)
	v_lshlrev_b64_e32 v[66:67], v66, v[68:69]
	v_and_b32_e32 v66, 7, v66
; %bb.2031:                             ;   in Loop: Header=BB232_10 Depth=1
	s_or_b32 exec_lo, exec_lo, s16
	s_delay_alu instid0(VALU_DEP_1) | instskip(SKIP_1) | instid1(VALU_DEP_2)
	v_dual_lshlrev_b32 v14, 24, v104 :: v_dual_lshlrev_b32 v66, 20, v66
	v_lshl_add_u32 v67, v105, 23, 0x3c000000
	v_and_b32_e32 v14, 0x80000000, v14
	s_delay_alu instid0(VALU_DEP_1)
	v_or3_b32 v68, v66, v14, v67
	v_mov_b32_e32 v67, v69
	scratch_store_b64 off, v[66:67], s32 offset:192 ; 8-byte Folded Spill
.LBB232_2032:                           ;   in Loop: Header=BB232_10 Depth=1
	s_wait_xcnt 0x0
	s_or_b32 exec_lo, exec_lo, s15
.LBB232_2033:                           ;   in Loop: Header=BB232_10 Depth=1
	s_delay_alu instid0(SALU_CYCLE_1)
	s_or_b32 exec_lo, exec_lo, s11
.LBB232_2034:                           ;   in Loop: Header=BB232_10 Depth=1
	s_delay_alu instid0(SALU_CYCLE_1) | instskip(SKIP_2) | instid1(VALU_DEP_1)
	s_or_b32 exec_lo, exec_lo, s4
	v_lshrrev_b16 v66, 8, v104
	s_mov_b32 s4, exec_lo
	v_cmpx_ne_u16_e32 0, v66
	s_cbranch_execz .LBB232_2042
; %bb.2035:                             ;   in Loop: Header=BB232_10 Depth=1
	v_mov_b64_e32 v[6:7], 0x8000000000000000
	s_mov_b32 s11, exec_lo
	v_cmpx_ne_u16_e32 0x80, v66
	s_cbranch_execz .LBB232_2041
; %bb.2036:                             ;   in Loop: Header=BB232_10 Depth=1
	v_and_b32_e32 v67, 0xffff, v66
	v_mov_b64_e32 v[6:7], 0x7f80000100000000
	s_mov_b32 s15, exec_lo
	s_delay_alu instid0(VALU_DEP_2) | instskip(NEXT) | instid1(VALU_DEP_1)
	v_and_b32_e32 v66, 0x7f, v67
	v_cmpx_ne_u32_e32 0x7f, v66
	s_cbranch_execz .LBB232_2040
; %bb.2037:                             ;   in Loop: Header=BB232_10 Depth=1
	scratch_load_b64 v[14:15], off, s32 offset:192 th:TH_LOAD_LU ; 8-byte Folded Reload
	s_wait_loadcnt 0x0
	v_dual_lshrrev_b32 v105, 3, v66 :: v_dual_bitop2_b32 v14, 7, v67 bitop3:0x40
	v_cmp_gt_u32_e64 s1, 8, v66
	s_delay_alu instid0(VALU_DEP_2)
	v_mov_b64_e32 v[66:67], v[14:15]
	s_wait_xcnt 0x0
	s_and_saveexec_b32 s16, s1
; %bb.2038:                             ;   in Loop: Header=BB232_10 Depth=1
	v_clz_i32_u32_e32 v66, v14
	s_delay_alu instid0(VALU_DEP_1) | instskip(NEXT) | instid1(VALU_DEP_1)
	v_min_u32_e32 v62, 32, v66
	v_subrev_nc_u32_e32 v66, 28, v62
	v_sub_nc_u32_e32 v105, 29, v62
	s_delay_alu instid0(VALU_DEP_2) | instskip(NEXT) | instid1(VALU_DEP_1)
	v_lshlrev_b64_e32 v[66:67], v66, v[14:15]
	v_and_b32_e32 v66, 7, v66
; %bb.2039:                             ;   in Loop: Header=BB232_10 Depth=1
	s_or_b32 exec_lo, exec_lo, s16
	s_delay_alu instid0(VALU_DEP_1) | instskip(SKIP_2) | instid1(VALU_DEP_3)
	v_dual_lshlrev_b32 v14, 16, v104 :: v_dual_lshlrev_b32 v66, 20, v66
	v_lshl_add_u32 v67, v105, 23, 0x3c000000
	v_mov_b32_e32 v6, v15
	v_and_b32_e32 v14, 0x80000000, v14
	s_delay_alu instid0(VALU_DEP_1)
	v_or3_b32 v7, v66, v14, v67
	v_mov_b32_e32 v67, v15
	scratch_store_b64 off, v[66:67], s32 offset:192 ; 8-byte Folded Spill
.LBB232_2040:                           ;   in Loop: Header=BB232_10 Depth=1
	s_wait_xcnt 0x0
	s_or_b32 exec_lo, exec_lo, s15
.LBB232_2041:                           ;   in Loop: Header=BB232_10 Depth=1
	s_delay_alu instid0(SALU_CYCLE_1)
	s_or_b32 exec_lo, exec_lo, s11
.LBB232_2042:                           ;   in Loop: Header=BB232_10 Depth=1
	s_delay_alu instid0(SALU_CYCLE_1) | instskip(SKIP_4) | instid1(VALU_DEP_3)
	s_or_b32 exec_lo, exec_lo, s4
	v_lshrrev_b32_e32 v105, 16, v104
	v_mov_b64_e32 v[114:115], 0
	v_mov_b64_e32 v[30:31], 0
	s_mov_b32 s4, exec_lo
	v_and_b32_e32 v66, 0xff, v105
	s_delay_alu instid0(VALU_DEP_1)
	v_cmpx_ne_u16_e32 0, v66
	s_cbranch_execz .LBB232_2050
; %bb.2043:                             ;   in Loop: Header=BB232_10 Depth=1
	v_mov_b64_e32 v[30:31], 0x80000000
	s_mov_b32 s11, exec_lo
	v_cmpx_ne_u16_e32 0x80, v66
	s_cbranch_execz .LBB232_2049
; %bb.2044:                             ;   in Loop: Header=BB232_10 Depth=1
	v_mov_b64_e32 v[30:31], 0x7f800001
	v_bfe_u32 v66, v104, 16, 7
	s_mov_b32 s15, exec_lo
	s_delay_alu instid0(VALU_DEP_1)
	v_cmpx_ne_u32_e32 0x7f, v66
	s_cbranch_execz .LBB232_2048
; %bb.2045:                             ;   in Loop: Header=BB232_10 Depth=1
	scratch_load_b64 v[30:31], off, s32 offset:192 th:TH_LOAD_LU ; 8-byte Folded Reload
	s_wait_loadcnt 0x0
	v_dual_lshrrev_b32 v108, 3, v66 :: v_dual_bitop2_b32 v30, 7, v105 bitop3:0x40
	v_cmp_gt_u32_e64 s1, 8, v66
	s_delay_alu instid0(VALU_DEP_2)
	v_mov_b64_e32 v[66:67], v[30:31]
	s_wait_xcnt 0x0
	s_and_saveexec_b32 s16, s1
; %bb.2046:                             ;   in Loop: Header=BB232_10 Depth=1
	v_clz_i32_u32_e32 v66, v30
	s_delay_alu instid0(VALU_DEP_1) | instskip(NEXT) | instid1(VALU_DEP_1)
	v_min_u32_e32 v62, 32, v66
	v_subrev_nc_u32_e32 v66, 28, v62
	v_sub_nc_u32_e32 v108, 29, v62
	s_delay_alu instid0(VALU_DEP_2) | instskip(NEXT) | instid1(VALU_DEP_1)
	v_lshlrev_b64_e32 v[66:67], v66, v[30:31]
	v_and_b32_e32 v66, 7, v66
; %bb.2047:                             ;   in Loop: Header=BB232_10 Depth=1
	s_or_b32 exec_lo, exec_lo, s16
	s_delay_alu instid0(VALU_DEP_1) | instskip(SKIP_1) | instid1(VALU_DEP_2)
	v_dual_lshlrev_b32 v14, 24, v105 :: v_dual_lshlrev_b32 v66, 20, v66
	v_lshl_add_u32 v67, v108, 23, 0x3c000000
	v_and_b32_e32 v14, 0x80000000, v14
	s_delay_alu instid0(VALU_DEP_1)
	v_or3_b32 v30, v66, v14, v67
	v_mov_b32_e32 v67, v31
	scratch_store_b64 off, v[66:67], s32 offset:192 ; 8-byte Folded Spill
.LBB232_2048:                           ;   in Loop: Header=BB232_10 Depth=1
	s_wait_xcnt 0x0
	s_or_b32 exec_lo, exec_lo, s15
.LBB232_2049:                           ;   in Loop: Header=BB232_10 Depth=1
	s_delay_alu instid0(SALU_CYCLE_1)
	s_or_b32 exec_lo, exec_lo, s11
.LBB232_2050:                           ;   in Loop: Header=BB232_10 Depth=1
	s_delay_alu instid0(SALU_CYCLE_1)
	s_or_b32 exec_lo, exec_lo, s4
	v_cmp_lt_u32_e64 s1, 0xffffff, v104
	s_mov_b32 s4, exec_lo
	s_clause 0x1
	scratch_load_b32 v15, off, s32 offset:1788
	scratch_load_b32 v66, off, s32 offset:200
	v_mov_b32_e32 v14, v63
	s_and_b32 s1, s4, s1
	s_wait_xcnt 0x0
	s_mov_b32 exec_lo, s1
	s_cbranch_execz .LBB232_9
; %bb.2051:                             ;   in Loop: Header=BB232_10 Depth=1
	v_mov_b64_e32 v[114:115], 0x8000000000000000
	v_lshrrev_b32_e32 v105, 24, v104
	s_mov_b32 s11, exec_lo
	s_delay_alu instid0(VALU_DEP_1)
	v_cmpx_ne_u32_e32 0x80, v105
	s_cbranch_execz .LBB232_8
; %bb.2052:                             ;   in Loop: Header=BB232_10 Depth=1
	v_mov_b64_e32 v[114:115], 0x7f80000100000000
	s_wait_loadcnt 0x0
	v_bfe_u32 v66, v104, 24, 7
	s_mov_b32 s15, exec_lo
	s_delay_alu instid0(VALU_DEP_1)
	v_cmpx_ne_u32_e32 0x7f, v66
	s_cbranch_execz .LBB232_7
; %bb.2053:                             ;   in Loop: Header=BB232_10 Depth=1
	scratch_load_b64 v[14:15], off, s32 offset:192 th:TH_LOAD_LU ; 8-byte Folded Reload
	s_wait_loadcnt 0x0
	v_dual_lshrrev_b32 v104, 3, v66 :: v_dual_bitop2_b32 v14, 7, v105 bitop3:0x40
	v_cmp_gt_u32_e64 s1, 8, v66
	s_delay_alu instid0(VALU_DEP_2)
	v_mov_b64_e32 v[66:67], v[14:15]
	s_wait_xcnt 0x0
	s_and_saveexec_b32 s16, s1
	s_cbranch_execz .LBB232_6
; %bb.2054:                             ;   in Loop: Header=BB232_10 Depth=1
	v_clz_i32_u32_e32 v66, v14
	s_delay_alu instid0(VALU_DEP_1) | instskip(NEXT) | instid1(VALU_DEP_1)
	v_min_u32_e32 v62, 32, v66
	v_subrev_nc_u32_e32 v66, 28, v62
	v_sub_nc_u32_e32 v104, 29, v62
	s_delay_alu instid0(VALU_DEP_2) | instskip(NEXT) | instid1(VALU_DEP_1)
	v_lshlrev_b64_e32 v[66:67], v66, v[14:15]
	v_and_b32_e32 v66, 7, v66
	s_branch .LBB232_6
.LBB232_2055:
	s_or_b32 exec_lo, exec_lo, s3
	scratch_load_b32 v9, off, s32 offset:3172 ; 4-byte Folded Reload
.LBB232_2056:
	s_wait_xcnt 0x0
	s_or_b32 exec_lo, exec_lo, s2
	v_mbcnt_lo_u32_b32 v2, -1, 0
	v_max_num_f32_e32 v4, v10, v10
	s_delay_alu instid0(VALU_DEP_2) | instskip(SKIP_1) | instid1(VALU_DEP_1)
	v_xor_b32_e32 v3, 8, v2
	v_xor_b32_e32 v0, 16, v2
	v_cmp_gt_i32_e32 vcc_lo, 32, v0
	v_cndmask_b32_e32 v0, v2, v0, vcc_lo
	s_delay_alu instid0(VALU_DEP_4) | instskip(NEXT) | instid1(VALU_DEP_2)
	v_cmp_gt_i32_e32 vcc_lo, 32, v3
	v_dual_cndmask_b32 v3, v2, v3 :: v_dual_lshlrev_b32 v0, 2, v0
	ds_bpermute_b32 v1, v0, v10
	s_wait_dscnt 0x0
	v_dual_max_num_f32 v5, v1, v1 :: v_dual_lshlrev_b32 v1, 2, v3
	s_delay_alu instid0(VALU_DEP_1) | instskip(SKIP_3) | instid1(VALU_DEP_1)
	v_max_num_f32_e32 v3, v4, v5
	ds_bpermute_b32 v4, v1, v3
	s_wait_dscnt 0x0
	v_dual_max_num_f32 v4, v4, v4 :: v_dual_bitop2_b32 v5, 4, v2 bitop3:0x14
	v_cmp_gt_i32_e32 vcc_lo, 32, v5
	s_delay_alu instid0(VALU_DEP_2) | instskip(NEXT) | instid1(VALU_DEP_1)
	v_dual_max_num_f32 v3, v3, v4 :: v_dual_cndmask_b32 v5, v2, v5, vcc_lo
	v_lshlrev_b32_e32 v5, 2, v5
	ds_bpermute_b32 v4, v5, v3
	scratch_store_b32 off, v5, s32 offset:2532 ; 4-byte Folded Spill
	s_wait_dscnt 0x0
	s_wait_xcnt 0x0
	v_dual_max_num_f32 v4, v4, v4 :: v_dual_bitop2_b32 v5, 2, v2 bitop3:0x14
	s_delay_alu instid0(VALU_DEP_1) | instskip(NEXT) | instid1(VALU_DEP_2)
	v_cmp_gt_i32_e32 vcc_lo, 32, v5
	v_dual_max_num_f32 v3, v3, v4 :: v_dual_cndmask_b32 v5, v2, v5, vcc_lo
	s_delay_alu instid0(VALU_DEP_1)
	v_lshlrev_b32_e32 v5, 2, v5
	ds_bpermute_b32 v4, v5, v3
	s_wait_dscnt 0x0
	v_max_num_f32_e32 v4, v4, v4
	scratch_store_b32 off, v5, s32 offset:2516 ; 4-byte Folded Spill
	s_wait_xcnt 0x0
	v_xor_b32_e32 v5, 1, v2
	s_delay_alu instid0(VALU_DEP_1) | instskip(SKIP_1) | instid1(VALU_DEP_1)
	v_cmp_gt_i32_e32 vcc_lo, 32, v5
	v_dual_cndmask_b32 v5, v2, v5 :: v_dual_max_num_f32 v2, v3, v4
	v_lshlrev_b32_e32 v3, 2, v5
	scratch_store_b32 off, v3, s32 offset:2500 ; 4-byte Folded Spill
	ds_bpermute_b32 v4, v3, v2
	scratch_load_b32 v3, off, s32 offset:3112 ; 4-byte Folded Reload
	s_wait_loadcnt 0x0
	v_cmp_eq_u32_e32 vcc_lo, 0, v3
	scratch_load_b32 v3, off, s32 offset:3116 ; 4-byte Folded Reload
	s_wait_loadcnt 0x0
	v_lshlrev_b32_e32 v3, 2, v3
	s_wait_xcnt 0x0
	s_and_saveexec_b32 s1, vcc_lo
	s_cbranch_execz .LBB232_2058
; %bb.2057:
	s_wait_dscnt 0x0
	v_dual_max_num_f32 v4, v4, v4 :: v_dual_max_num_f32 v2, v2, v2
	s_delay_alu instid0(VALU_DEP_1)
	v_max_num_f32_e32 v2, v2, v4
	ds_store_b32 v3, v2 offset:1024
.LBB232_2058:
	s_or_b32 exec_lo, exec_lo, s1
	scratch_load_b32 v2, off, s32 offset:3112 ; 4-byte Folded Reload
	s_wait_storecnt 0x0
	s_wait_loadcnt_dscnt 0x0
	s_barrier_signal -1
	s_barrier_wait -1
	v_cmp_gt_u32_e64 s1, 4, v2
	v_mov_b32_e32 v2, 0xff7fffff
	s_and_saveexec_b32 s2, s1
; %bb.2059:
	ds_load_b32 v2, v9 offset:1024
; %bb.2060:
	s_or_b32 exec_lo, exec_lo, s2
	s_clause 0x1
	scratch_load_b32 v4, off, s32 offset:2516
	scratch_load_b64 v[6:7], off, s32 offset:1916
	s_wait_loadcnt_dscnt 0x100
	ds_bpermute_b32 v4, v4, v2
	s_wait_dscnt 0x0
	v_dual_max_num_f32 v2, v2, v2 :: v_dual_max_num_f32 v4, v4, v4
	s_delay_alu instid0(VALU_DEP_1)
	v_max_num_f32_e32 v2, v2, v4
	scratch_load_b32 v4, off, s32 offset:2500 ; 4-byte Folded Reload
	s_wait_loadcnt 0x0
	ds_bpermute_b32 v4, v4, v2
	s_wait_dscnt 0x0
	v_max_num_f32_e32 v4, v4, v4
	s_delay_alu instid0(VALU_DEP_1) | instskip(SKIP_4) | instid1(VALU_DEP_1)
	v_dual_max_num_f32 v2, v2, v4 :: v_dual_mov_b32 v4, 0
	ds_bpermute_b32 v5, v4, v2
	scratch_load_b32 v2, off, s32 offset:208 ; 4-byte Folded Reload
	s_wait_loadcnt 0x0
	v_lshlrev_b32_e32 v2, 5, v2
	v_min_i32_e32 v2, v2, v6
	scratch_load_b32 v6, off, s32 offset:3108 ; 4-byte Folded Reload
	s_wait_loadcnt 0x0
	v_cmp_lt_i32_e64 s2, v6, v2
	s_and_saveexec_b32 s4, s2
	s_cbranch_execz .LBB232_2064
; %bb.2061:
	scratch_load_b32 v7, off, s32 offset:3108 ; 4-byte Folded Reload
	s_ashr_i32 s11, s10, 31
	v_mov_b32_e32 v4, 0
	s_lshl_b64 s[16:17], s[10:11], 2
	s_mov_b32 s11, 0
	s_add_nc_u64 s[16:17], s[8:9], s[16:17]
	s_load_b32 s3, s[16:17], 0x0
	s_wait_loadcnt 0x0
	s_wait_kmcnt 0x0
	v_lshl_add_u32 v6, v7, 2, s3
.LBB232_2062:                           ; =>This Inner Loop Header: Depth=1
	ds_load_b32 v8, v6
	v_add_nc_u32_e32 v7, 0x80, v7
	s_delay_alu instid0(VALU_DEP_1) | instskip(SKIP_3) | instid1(VALU_DEP_1)
	v_cmp_ge_i32_e64 s3, v7, v2
	s_or_b32 s11, s3, s11
	s_wait_dscnt 0x0
	v_sub_f32_e32 v8, v8, v5
	v_mul_f32_e32 v8, 0x3fb8aa3b, v8
	s_delay_alu instid0(VALU_DEP_1)
	v_exp_f32_e32 v8, v8
	ds_store_b32 v6, v8
	v_nop
	v_add_f32_e32 v4, v4, v8
	v_add_nc_u32_e32 v6, 0x200, v6
	s_and_not1_b32 exec_lo, exec_lo, s11
	s_cbranch_execnz .LBB232_2062
; %bb.2063:
	s_or_b32 exec_lo, exec_lo, s11
.LBB232_2064:
	s_delay_alu instid0(SALU_CYCLE_1)
	s_or_b32 exec_lo, exec_lo, s4
	ds_bpermute_b32 v0, v0, v4
	s_wait_dscnt 0x0
	v_add_f32_e32 v0, v4, v0
	ds_bpermute_b32 v1, v1, v0
	s_wait_dscnt 0x0
	v_add_f32_e32 v0, v0, v1
	scratch_load_b32 v1, off, s32 offset:2532 ; 4-byte Folded Reload
	s_wait_loadcnt 0x0
	ds_bpermute_b32 v1, v1, v0
	s_wait_dscnt 0x0
	v_add_f32_e32 v0, v0, v1
	scratch_load_b32 v1, off, s32 offset:2516 ; 4-byte Folded Reload
	s_wait_loadcnt 0x0
	;; [unrolled: 5-line block ×3, first 2 shown]
	ds_bpermute_b32 v1, v1, v0
	s_wait_dscnt 0x0
	v_add_f32_e32 v0, v0, v1
	s_and_saveexec_b32 s3, vcc_lo
; %bb.2065:
	ds_store_b32 v3, v0 offset:1040
; %bb.2066:
	s_or_b32 exec_lo, exec_lo, s3
	s_wait_dscnt 0x0
	s_barrier_signal -1
	s_barrier_wait -1
	s_and_saveexec_b32 s3, s1
; %bb.2067:
	ds_load_b32 v0, v9 offset:1040
; %bb.2068:
	s_or_b32 exec_lo, exec_lo, s3
	scratch_load_b32 v1, off, s32 offset:2516 ; 4-byte Folded Reload
	s_wait_loadcnt_dscnt 0x0
	ds_bpermute_b32 v1, v1, v0
	s_wait_dscnt 0x0
	v_add_f32_e32 v0, v0, v1
	scratch_load_b32 v1, off, s32 offset:2500 ; 4-byte Folded Reload
	s_wait_loadcnt 0x0
	ds_bpermute_b32 v1, v1, v0
	s_wait_dscnt 0x0
	v_dual_add_f32 v0, v0, v1 :: v_dual_mov_b32 v1, 0
	ds_bpermute_b32 v0, v1, v0
	s_and_saveexec_b32 s1, s2
	s_cbranch_execz .LBB232_2081
; %bb.2069:
	s_wait_dscnt 0x0
	v_add_f32_e32 v0, 0x358637bd, v0
	s_mov_b32 s3, -1
	s_mov_b32 s2, exec_lo
	s_delay_alu instid0(VALU_DEP_1) | instskip(SKIP_1) | instid1(VALU_DEP_2)
	v_div_scale_f32 v1, null, v0, v0, 1.0
	v_div_scale_f32 v5, vcc_lo, 1.0, v0, 1.0
	v_rcp_f32_e32 v4, v1
	v_nop
	s_delay_alu instid0(TRANS32_DEP_1) | instskip(NEXT) | instid1(VALU_DEP_1)
	v_fma_f32 v3, -v1, v4, 1.0
	v_fmac_f32_e32 v4, v3, v4
	s_delay_alu instid0(VALU_DEP_1) | instskip(NEXT) | instid1(VALU_DEP_1)
	v_mul_f32_e32 v6, v5, v4
	v_fma_f32 v3, -v1, v6, v5
	s_delay_alu instid0(VALU_DEP_1) | instskip(NEXT) | instid1(VALU_DEP_1)
	v_fmac_f32_e32 v6, v3, v4
	v_fma_f32 v1, -v1, v6, v5
	scratch_load_b32 v5, off, s32 offset:3108 ; 4-byte Folded Reload
	v_div_fmas_f32 v1, v1, v4, v6
	s_delay_alu instid0(VALU_DEP_1) | instskip(SKIP_3) | instid1(VALU_DEP_2)
	v_div_fixup_f32 v0, v1, v0, 1.0
	s_wait_loadcnt 0x0
	v_xad_u32 v3, v5, -1, v2
	v_mov_b32_e32 v1, v5
	v_cmpx_lt_u32_e32 0x7f, v3
	s_cbranch_execz .LBB232_2078
; %bb.2070:
	v_dual_lshrrev_b32 v3, 7, v3 :: v_dual_mov_b32 v1, v0
	s_delay_alu instid0(VALU_DEP_1) | instskip(NEXT) | instid1(VALU_DEP_1)
	v_dual_mov_b32 v7, 0 :: v_dual_add_nc_u32 v4, -1, v3
	v_lshrrev_b32_e32 v5, 1, v4
	v_cmp_lt_u32_e32 vcc_lo, 13, v4
	s_delay_alu instid0(VALU_DEP_2)
	v_add_nc_u32_e32 v4, 1, v5
	s_and_saveexec_b32 s3, vcc_lo
	s_cbranch_execz .LBB232_2074
; %bb.2071:
	scratch_load_b32 v6, off, s32 offset:3108 ; 4-byte Folded Reload
	s_ashr_i32 s11, s10, 31
	v_and_b32_e32 v5, -8, v4
	s_lshl_b64 s[16:17], s[10:11], 2
	s_mov_b32 s11, 0
	s_add_nc_u64 s[16:17], s[8:9], s[16:17]
	s_load_b32 s4, s[16:17], 0x0
	s_wait_loadcnt 0x0
	s_wait_kmcnt 0x0
	v_lshl_add_u32 v6, v6, 2, s4
	s_mov_b32 s4, 0
.LBB232_2072:                           ; =>This Inner Loop Header: Depth=1
	ds_load_2addr_stride64_b32 v[8:9], v6 offset1:2
	ds_load_2addr_stride64_b32 v[10:11], v6 offset0:4 offset1:6
	ds_load_2addr_stride64_b32 v[12:13], v6 offset0:8 offset1:10
	;; [unrolled: 1-line block ×7, first 2 shown]
	s_add_co_i32 s11, s11, 16
	s_delay_alu instid0(SALU_CYCLE_1) | instskip(NEXT) | instid1(VALU_DEP_1)
	v_dual_add_nc_u32 v5, -8, v5 :: v_dual_mov_b32 v7, s11
	v_cmp_eq_u32_e32 vcc_lo, 0, v5
	s_or_b32 s4, vcc_lo, s4
	s_wait_dscnt 0x7
	v_pk_mul_f32 v[8:9], v[0:1], v[8:9]
	s_wait_dscnt 0x6
	v_pk_mul_f32 v[10:11], v[0:1], v[10:11]
	;; [unrolled: 2-line block ×8, first 2 shown]
	ds_store_2addr_stride64_b32 v6, v8, v9 offset1:2
	ds_store_2addr_stride64_b32 v6, v10, v11 offset0:4 offset1:6
	ds_store_2addr_stride64_b32 v6, v12, v13 offset0:8 offset1:10
	;; [unrolled: 1-line block ×7, first 2 shown]
	v_add_nc_u32_e32 v6, 0x2000, v6
	s_and_not1_b32 exec_lo, exec_lo, s4
	s_cbranch_execnz .LBB232_2072
; %bb.2073:
	s_or_b32 exec_lo, exec_lo, s4
.LBB232_2074:
	s_delay_alu instid0(SALU_CYCLE_1) | instskip(NEXT) | instid1(VALU_DEP_1)
	s_or_b32 exec_lo, exec_lo, s3
	v_and_b32_e32 v4, 7, v4
	s_mov_b32 s4, 0
	s_mov_b32 s3, exec_lo
	s_delay_alu instid0(VALU_DEP_1)
	v_cmpx_ne_u32_e32 0, v4
	s_cbranch_execz .LBB232_2077
; %bb.2075:
	scratch_load_b32 v6, off, s32 offset:3108 ; 4-byte Folded Reload
	s_ashr_i32 s11, s10, 31
	v_lshlrev_b32_e32 v5, 9, v7
	s_lshl_b64 s[16:17], s[10:11], 2
	s_delay_alu instid0(SALU_CYCLE_1) | instskip(SKIP_4) | instid1(VALU_DEP_1)
	s_add_nc_u64 s[16:17], s[8:9], s[16:17]
	s_load_b32 s11, s[16:17], 0x0
	s_wait_loadcnt 0x0
	v_lshlrev_b32_e32 v6, 2, v6
	s_wait_kmcnt 0x0
	v_add3_u32 v5, v5, v6, s11
.LBB232_2076:                           ; =>This Inner Loop Header: Depth=1
	ds_load_2addr_stride64_b32 v[6:7], v5 offset1:2
	v_add_nc_u32_e32 v4, -1, v4
	s_delay_alu instid0(VALU_DEP_1)
	v_cmp_eq_u32_e32 vcc_lo, 0, v4
	s_or_b32 s4, vcc_lo, s4
	s_wait_dscnt 0x0
	v_pk_mul_f32 v[6:7], v[0:1], v[6:7]
	ds_store_2addr_stride64_b32 v5, v6, v7 offset1:2
	v_add_nc_u32_e32 v5, 0x400, v5
	s_and_not1_b32 exec_lo, exec_lo, s4
	s_cbranch_execnz .LBB232_2076
.LBB232_2077:
	s_or_b32 exec_lo, exec_lo, s3
	v_add_nc_u32_e32 v1, 1, v3
	s_delay_alu instid0(VALU_DEP_1) | instskip(NEXT) | instid1(VALU_DEP_1)
	v_and_b32_e32 v3, 0x3fffffe, v1
	v_cmp_ne_u32_e32 vcc_lo, v1, v3
	scratch_load_b32 v1, off, s32 offset:3108 ; 4-byte Folded Reload
	s_or_not1_b32 s3, vcc_lo, exec_lo
	s_wait_loadcnt 0x0
	v_lshl_add_u32 v1, v3, 7, v1
.LBB232_2078:
	s_or_b32 exec_lo, exec_lo, s2
	s_delay_alu instid0(SALU_CYCLE_1)
	s_and_b32 exec_lo, exec_lo, s3
	s_cbranch_execz .LBB232_2081
; %bb.2079:
	s_ashr_i32 s11, s10, 31
	s_delay_alu instid0(SALU_CYCLE_1) | instskip(NEXT) | instid1(SALU_CYCLE_1)
	s_lshl_b64 s[2:3], s[10:11], 2
	s_add_nc_u64 s[2:3], s[8:9], s[2:3]
	s_load_b32 s2, s[2:3], 0x0
	s_wait_kmcnt 0x0
	v_lshl_add_u32 v3, v1, 2, s2
	s_mov_b32 s2, 0
.LBB232_2080:                           ; =>This Inner Loop Header: Depth=1
	ds_load_b32 v4, v3
	s_wait_dscnt 0x0
	v_dual_mul_f32 v4, v0, v4 :: v_dual_add_nc_u32 v1, 0x80, v1
	s_delay_alu instid0(VALU_DEP_1) | instskip(SKIP_3) | instid1(SALU_CYCLE_1)
	v_cmp_ge_i32_e32 vcc_lo, v1, v2
	ds_store_b32 v3, v4
	v_add_nc_u32_e32 v3, 0x200, v3
	s_or_b32 s2, vcc_lo, s2
	s_and_not1_b32 exec_lo, exec_lo, s2
	s_cbranch_execnz .LBB232_2080
.LBB232_2081:
	s_or_b32 exec_lo, exec_lo, s1
	s_wait_dscnt 0x0
	s_barrier_signal -1
	s_barrier_wait -1
	s_and_saveexec_b32 s1, s0
	s_delay_alu instid0(SALU_CYCLE_1)
	s_xor_b32 s0, exec_lo, s1
	s_cbranch_execz .LBB232_2083
; %bb.2082:
	s_ashr_i32 s11, s10, 31
                                        ; implicit-def: $vgpr0
	s_clause 0x2
	scratch_store_b64 off, v[0:1], s32 offset:1916
	; meta instruction
	; meta instruction
	;; [unrolled: 1-line block ×3, first 2 shown]
	scratch_store_b64 off, v[0:1], s32 offset:1932
	; meta instruction
	; meta instruction
	; meta instruction
	; meta instruction
	; meta instruction
	; meta instruction
	; meta instruction
	; meta instruction
	; meta instruction
	scratch_store_b64 off, v[0:1], s32 offset:3120
                                        ; implicit-def: $vgpr0
                                        ; kill: killed $vgpr0
.LBB232_2083:
	s_wait_xcnt 0x0
	s_or_saveexec_b32 s15, s0
	scratch_load_b32 v2, off, s32 offset:3108 ; 4-byte Folded Reload
	v_mov_b64_e32 v[0:1], s[10:11]
	v_dual_mov_b32 v69, 0 :: v_dual_mov_b32 v68, 0
	v_dual_mov_b32 v71, 0 :: v_dual_mov_b32 v70, 0
	;; [unrolled: 1-line block ×32, first 2 shown]
	scratch_store_b64 off, v[4:5], s32 offset:1924 ; 8-byte Folded Spill
	s_wait_loadcnt 0x0
	v_and_b32_e32 v3, 7, v2
	scratch_store_b32 off, v3, s32 offset:2548 ; 4-byte Folded Spill
	s_wait_xcnt 0x0
	s_xor_b32 exec_lo, exec_lo, s15
	s_cbranch_execz .LBB232_4135
; %bb.2084:
	scratch_load_b64 v[0:1], off, s32 offset:3148 th:TH_LOAD_LU ; 8-byte Folded Reload
	v_dual_mov_b32 v125, 0 :: v_dual_mov_b32 v53, 0
	v_mov_b32_e32 v83, 0
	s_ashr_i32 s11, s10, 31
	v_dual_mov_b32 v101, 0 :: v_dual_mov_b32 v102, 0
	s_lshl_b64 s[0:1], s[10:11], 2
	v_dual_mov_b32 v103, 0 :: v_dual_mov_b32 v112, 0
	s_add_nc_u64 s[0:1], s[8:9], s[0:1]
	v_dual_mov_b32 v113, 0 :: v_dual_mov_b32 v114, 0
	v_dual_mov_b32 v115, 0 :: v_dual_mov_b32 v116, 0
	;; [unrolled: 1-line block ×12, first 2 shown]
	s_mov_b32 s16, 0
	v_dual_mov_b32 v100, 0 :: v_dual_mov_b32 v80, 0
	v_dual_mov_b32 v82, 0 :: v_dual_mov_b32 v6, 0
	s_wait_loadcnt 0x0
	flat_load_b32 v8, v[0:1]
	s_clause 0x1
	scratch_load_b64 v[0:1], off, s32 offset:3156 th:TH_LOAD_LU
	scratch_load_b64 v[4:5], off, s32 offset:3120 th:TH_LOAD_LU
	s_load_b32 s0, s[0:1], 0x0
	s_wait_loadcnt_dscnt 0x200
	v_mov_b32_e32 v9, v8
	s_wait_loadcnt 0x0
	v_add_nc_u64_e32 v[0:1], v[0:1], v[4:5]
	s_clause 0x2
	scratch_load_b32 v5, off, s32 offset:3116
	scratch_store_b64 off, v[0:1], s32 offset:2420
	scratch_load_b64 v[0:1], off, s32 offset:1916
	s_wait_loadcnt 0x1
	v_dual_lshlrev_b32 v2, 2, v2 :: v_dual_mov_b32 v38, v5
	s_wait_loadcnt 0x0
	v_mov_b32_e32 v1, v0
	s_delay_alu instid0(VALU_DEP_2)
	v_or_b32_e32 v14, 0xf80, v2
	s_clause 0x1
	scratch_store_b64 off, v[0:1], s32 offset:2436
	scratch_load_b32 v0, off, s32 offset:3144 th:TH_LOAD_LU
	v_mov_b32_e32 v1, 0
	s_wait_loadcnt 0x0
	v_and_b32_e32 v10, 0x7c, v0
	scratch_load_b32 v0, off, s32 offset:2548 ; 4-byte Folded Reload
	s_wait_loadcnt 0x0
	v_dual_mov_b32 v11, 0 :: v_dual_lshlrev_b32 v3, 4, v0
	s_delay_alu instid0(VALU_DEP_1) | instskip(SKIP_1) | instid1(VALU_DEP_3)
	v_dual_mov_b32 v0, 0 :: v_dual_mov_b32 v15, v11
	v_dual_mov_b32 v7, v11 :: v_dual_bitop2_b32 v4, 28, v2 bitop3:0x40
	v_lshl_or_b32 v3, v5, 7, v3
	s_clause 0x1
	scratch_store_b64 off, v[0:1], s32 offset:1924
	scratch_store_b64 off, v[14:15], s32 offset:2468
	s_wait_xcnt 0x1
	v_dual_mov_b32 v0, 0 :: v_dual_mov_b32 v1, 0
	s_wait_kmcnt 0x0
	v_add_nc_u32_e32 v64, s0, v3
	scratch_store_b64 off, v[0:1], s32 offset:1940 ; 8-byte Folded Spill
	s_wait_xcnt 0x0
	v_dual_mov_b32 v0, 0 :: v_dual_mov_b32 v1, 0
	scratch_store_b64 off, v[0:1], s32 offset:1948 ; 8-byte Folded Spill
	s_wait_xcnt 0x0
	v_dual_mov_b32 v0, 0 :: v_dual_mov_b32 v1, 0
	;; [unrolled: 3-line block ×12, first 2 shown]
	scratch_store_b64 off, v[0:1], s32 offset:2036 ; 8-byte Folded Spill
	s_wait_xcnt 0x0
	v_and_b32_e32 v0, 0x7c, v2
	v_mov_b32_e32 v1, v11
	v_lshl_or_b32 v39, v5, 5, v4
	s_clause 0x1
	scratch_store_b64 off, v[0:1], s32 offset:2452
	scratch_load_b64 v[0:1], off, s32 offset:3136 th:TH_LOAD_LU
	s_wait_loadcnt 0x0
	v_lshl_add_u64 v[0:1], v[0:1], 2, v[10:11]
	v_or_b32_e32 v10, 0x1f80, v2
	s_clause 0x2
	scratch_store_b64 off, v[6:7], s32 offset:192
	scratch_store_b64 off, v[10:11], s32 offset:2484
	scratch_load_b64 v[10:11], off, s32 offset:3128 th:TH_LOAD_LU
	v_mov_b32_e32 v7, 0
	s_clause 0x1
	scratch_store_b64 off, v[8:9], s32 offset:2404
	scratch_store_b64 off, v[6:7], s32 offset:2044
	s_wait_loadcnt 0x0
	v_add_nc_u64_e32 v[0:1], v[10:11], v[0:1]
	s_branch .LBB232_2089
.LBB232_2085:                           ;   in Loop: Header=BB232_2089 Depth=1
	s_or_b32 exec_lo, exec_lo, s20
	s_delay_alu instid0(VALU_DEP_1) | instskip(NEXT) | instid1(VALU_DEP_2)
	v_dual_lshlrev_b32 v1, 24, v3 :: v_dual_lshlrev_b32 v0, 20, v0
	v_lshl_add_u32 v2, v2, 23, 0x3c000000
	v_mov_b32_e32 v6, v5
	s_delay_alu instid0(VALU_DEP_3) | instskip(NEXT) | instid1(VALU_DEP_1)
	v_and_b32_e32 v1, 0x80000000, v1
	v_or3_b32 v7, v0, v1, v2
	v_mov_b32_e32 v1, v5
	scratch_store_b64 off, v[0:1], s32 offset:192 ; 8-byte Folded Spill
.LBB232_2086:                           ;   in Loop: Header=BB232_2089 Depth=1
	s_wait_xcnt 0x0
	s_or_b32 exec_lo, exec_lo, s19
.LBB232_2087:                           ;   in Loop: Header=BB232_2089 Depth=1
	s_delay_alu instid0(SALU_CYCLE_1)
	s_or_b32 exec_lo, exec_lo, s18
	scratch_store_b64 off, v[6:7], s32 offset:1908 ; 8-byte Folded Spill
.LBB232_2088:                           ;   in Loop: Header=BB232_2089 Depth=1
	s_wait_xcnt 0x0
	s_or_b32 exec_lo, exec_lo, s17
	s_clause 0x1
	scratch_load_b64 v[0:1], off, s32 offset:580 th:TH_LOAD_LU
	scratch_load_b64 v[2:3], off, s32 offset:676 th:TH_LOAD_LU
	v_or_b32_e32 v15, v85, v15
	v_or_b32_e32 v14, v84, v14
	v_or_b32_e32 v19, v99, v19
	v_or_b32_e32 v18, v98, v18
	v_or_b32_e32 v27, v27, v77
	v_or_b32_e32 v26, v26, v76
	v_or_b32_e32 v31, v31, v93
	v_or_b32_e32 v30, v30, v92
	s_wait_loadcnt 0x0
	v_or_b32_e32 v1, v3, v1
	v_or_b32_e32 v0, v2, v0
	s_clause 0x2
	scratch_store_b64 off, v[0:1], s32 offset:676
	scratch_load_b64 v[0:1], off, s32 offset:596 th:TH_LOAD_LU
	scratch_load_b64 v[2:3], off, s32 offset:692 th:TH_LOAD_LU
	s_wait_loadcnt 0x0
	v_or_b32_e32 v1, v3, v1
	v_or_b32_e32 v0, v2, v0
	s_clause 0x2
	scratch_store_b64 off, v[0:1], s32 offset:692
	scratch_load_b64 v[0:1], off, s32 offset:612 th:TH_LOAD_LU
	scratch_load_b64 v[2:3], off, s32 offset:700 th:TH_LOAD_LU
	;; [unrolled: 7-line block ×8, first 2 shown]
	s_wait_loadcnt 0x0
	v_or_b32_e32 v81, v3, v1
	v_or_b32_e32 v80, v2, v0
	s_clause 0x1
	scratch_load_b64 v[0:1], off, s32 offset:708 th:TH_LOAD_LU
	scratch_load_b64 v[2:3], off, s32 offset:788 th:TH_LOAD_LU
	s_wait_loadcnt 0x0
	v_or_b32_e32 v83, v3, v1
	v_or_b32_e32 v82, v2, v0
	s_clause 0x1
	scratch_load_b64 v[0:1], off, s32 offset:724 th:TH_LOAD_LU
	scratch_load_b64 v[2:3], off, s32 offset:796 th:TH_LOAD_LU
	;; [unrolled: 6-line block ×11, first 2 shown]
	s_wait_loadcnt 0x0
	v_or_b32_e32 v1, v1, v3
	v_or_b32_e32 v0, v0, v2
	s_clause 0x2
	scratch_store_b64 off, v[0:1], s32 offset:220
	scratch_load_b64 v[0:1], off, s32 offset:324 th:TH_LOAD_LU
	scratch_load_b64 v[2:3], off, s32 offset:332 th:TH_LOAD_LU
	s_wait_loadcnt 0x0
	v_or_b32_e32 v1, v1, v3
	v_or_b32_e32 v0, v0, v2
	s_clause 0x2
	scratch_store_b64 off, v[0:1], s32 offset:228
	scratch_load_b64 v[0:1], off, s32 offset:340 th:TH_LOAD_LU
	scratch_load_b64 v[2:3], off, s32 offset:348 th:TH_LOAD_LU
	;; [unrolled: 7-line block ×16, first 2 shown]
	scratch_load_b64 v[38:39], off, s32 offset:1748 th:TH_LOAD_LU
	scratch_load_b64 v[64:65], off, s32 offset:1884 th:TH_LOAD_LU
	scratch_load_b64 v[124:125], off, s32 offset:1900 th:TH_LOAD_LU
	s_wait_loadcnt 0x3
	v_or_b32_e32 v1, v1, v3
	v_or_b32_e32 v0, v0, v2
	s_wait_loadcnt 0x2
	v_or_b32_e32 v33, v33, v39
	v_or_b32_e32 v32, v32, v38
	;; [unrolled: 3-line block ×3, first 2 shown]
	s_clause 0x1
	scratch_store_b64 off, v[0:1], s32 offset:348
	scratch_load_b64 v[0:1], off, s32 offset:588 th:TH_LOAD_LU
	v_or_b32_e32 v65, v67, v71
	v_or_b32_e32 v64, v66, v70
	v_or_b32_e32 v67, v97, v47
	v_or_b32_e32 v66, v96, v46
	s_wait_loadcnt 0x1
	v_or_b32_e32 v51, v51, v125
	v_or_b32_e32 v50, v50, v124
	s_wait_loadcnt 0x0
	v_or_b32_e32 v1, v17, v1
	v_or_b32_e32 v0, v16, v0
	s_clause 0x1
	scratch_store_b64 off, v[0:1], s32 offset:356
	scratch_load_b64 v[0:1], off, s32 offset:604 th:TH_LOAD_LU
	s_wait_loadcnt 0x0
	v_or_b32_e32 v21, v21, v1
	v_or_b32_e32 v20, v20, v0
	scratch_load_b64 v[0:1], off, s32 offset:620 th:TH_LOAD_LU ; 8-byte Folded Reload
	s_wait_loadcnt 0x0
	v_or_b32_e32 v1, v29, v1
	v_or_b32_e32 v0, v28, v0
	s_clause 0x1
	scratch_store_b64 off, v[0:1], s32 offset:764
	scratch_load_b64 v[0:1], off, s32 offset:660 th:TH_LOAD_LU
	s_wait_loadcnt 0x0
	v_or_b32_e32 v39, v69, v1
	v_or_b32_e32 v38, v68, v0
	scratch_load_b64 v[0:1], off, s32 offset:820 th:TH_LOAD_LU ; 8-byte Folded Reload
	v_or_b32_e32 v69, v89, v105
	v_or_b32_e32 v68, v88, v104
	s_wait_loadcnt 0x0
	v_or_b32_e32 v71, v111, v1
	v_or_b32_e32 v70, v110, v0
	s_clause 0x1
	scratch_load_b64 v[0:1], off, s32 offset:828 th:TH_LOAD_LU
	scratch_load_b64 v[2:3], off, s32 offset:836 th:TH_LOAD_LU
	s_wait_loadcnt 0x0
	v_or_b32_e32 v85, v1, v3
	v_or_b32_e32 v84, v0, v2
	s_clause 0x1
	scratch_load_b64 v[0:1], off, s32 offset:844 th:TH_LOAD_LU
	scratch_load_b64 v[2:3], off, s32 offset:852 th:TH_LOAD_LU
	s_wait_loadcnt 0x0
	v_or_b32_e32 v97, v1, v3
	v_or_b32_e32 v96, v0, v2
	s_clause 0x1
	scratch_load_b64 v[0:1], off, s32 offset:860 th:TH_LOAD_LU
	scratch_load_b64 v[2:3], off, s32 offset:868 th:TH_LOAD_LU
	s_wait_loadcnt 0x0
	v_or_b32_e32 v99, v1, v3
	v_or_b32_e32 v98, v0, v2
	s_clause 0x1
	scratch_load_b64 v[0:1], off, s32 offset:876 th:TH_LOAD_LU
	scratch_load_b64 v[2:3], off, s32 offset:884 th:TH_LOAD_LU
	s_wait_loadcnt 0x0
	v_or_b32_e32 v47, v1, v3
	v_or_b32_e32 v46, v0, v2
	s_clause 0x1
	scratch_load_b64 v[0:1], off, s32 offset:892 th:TH_LOAD_LU
	scratch_load_b64 v[2:3], off, s32 offset:900 th:TH_LOAD_LU
	s_wait_loadcnt 0x0
	v_or_b32_e32 v77, v1, v3
	v_or_b32_e32 v76, v0, v2
	s_clause 0x1
	scratch_load_b64 v[0:1], off, s32 offset:908 th:TH_LOAD_LU
	scratch_load_b64 v[2:3], off, s32 offset:916 th:TH_LOAD_LU
	s_wait_loadcnt 0x0
	v_or_b32_e32 v89, v1, v3
	v_or_b32_e32 v88, v0, v2
	s_clause 0x1
	scratch_load_b64 v[0:1], off, s32 offset:924 th:TH_LOAD_LU
	scratch_load_b64 v[2:3], off, s32 offset:932 th:TH_LOAD_LU
	s_wait_loadcnt 0x0
	v_or_b32_e32 v93, v1, v3
	v_or_b32_e32 v92, v0, v2
	s_clause 0x1
	scratch_load_b64 v[0:1], off, s32 offset:940 th:TH_LOAD_LU
	scratch_load_b64 v[2:3], off, s32 offset:948 th:TH_LOAD_LU
	s_wait_loadcnt 0x0
	v_or_b32_e32 v105, v1, v3
	v_or_b32_e32 v104, v0, v2
	s_clause 0x1
	scratch_load_b64 v[0:1], off, s32 offset:956 th:TH_LOAD_LU
	scratch_load_b64 v[2:3], off, s32 offset:964 th:TH_LOAD_LU
	s_wait_loadcnt 0x0
	v_or_b32_e32 v1, v1, v3
	v_or_b32_e32 v0, v0, v2
	s_clause 0x2
	scratch_store_b64 off, v[0:1], s32 offset:812
	scratch_load_b64 v[0:1], off, s32 offset:972 th:TH_LOAD_LU
	scratch_load_b64 v[2:3], off, s32 offset:980 th:TH_LOAD_LU
	s_wait_loadcnt 0x0
	v_or_b32_e32 v1, v1, v3
	v_or_b32_e32 v0, v0, v2
	s_clause 0x2
	scratch_store_b64 off, v[0:1], s32 offset:364
	scratch_load_b64 v[0:1], off, s32 offset:988 th:TH_LOAD_LU
	scratch_load_b64 v[2:3], off, s32 offset:996 th:TH_LOAD_LU
	;; [unrolled: 7-line block ×37, first 2 shown]
	s_wait_loadcnt 0x0
	v_or_b32_e32 v55, v1, v3
	v_or_b32_e32 v54, v0, v2
	s_clause 0x1
	scratch_load_b64 v[0:1], off, s32 offset:1564 th:TH_LOAD_LU
	scratch_load_b64 v[2:3], off, s32 offset:1572 th:TH_LOAD_LU
	s_wait_loadcnt 0x0
	v_or_b32_e32 v1, v1, v3
	v_or_b32_e32 v0, v0, v2
	s_clause 0x2
	scratch_store_b64 off, v[0:1], s32 offset:668
	scratch_load_b64 v[0:1], off, s32 offset:1580 th:TH_LOAD_LU
	scratch_load_b64 v[2:3], off, s32 offset:1588 th:TH_LOAD_LU
	s_wait_loadcnt 0x0
	v_or_b32_e32 v53, v1, v3
	v_or_b32_e32 v52, v0, v2
	s_clause 0x1
	scratch_load_b64 v[0:1], off, s32 offset:1596 th:TH_LOAD_LU
	scratch_load_b64 v[2:3], off, s32 offset:1604 th:TH_LOAD_LU
	s_wait_loadcnt 0x0
	v_or_b32_e32 v1, v1, v3
	v_or_b32_e32 v0, v0, v2
	s_clause 0x2
	scratch_store_b64 off, v[0:1], s32 offset:684
	scratch_load_b64 v[0:1], off, s32 offset:1612 th:TH_LOAD_LU
	scratch_load_b64 v[2:3], off, s32 offset:1620 th:TH_LOAD_LU
	s_wait_loadcnt 0x0
	v_or_b32_e32 v49, v1, v3
	v_or_b32_e32 v48, v0, v2
	s_clause 0x1
	scratch_load_b64 v[0:1], off, s32 offset:1628 th:TH_LOAD_LU
	scratch_load_b64 v[2:3], off, s32 offset:1636 th:TH_LOAD_LU
	s_wait_loadcnt 0x0
	v_or_b32_e32 v1, v1, v3
	v_or_b32_e32 v0, v0, v2
	s_clause 0x2
	scratch_store_b64 off, v[0:1], s32 offset:708
	scratch_load_b64 v[0:1], off, s32 offset:1660 th:TH_LOAD_LU
	scratch_load_b64 v[2:3], off, s32 offset:1668 th:TH_LOAD_LU
	s_wait_loadcnt 0x0
	v_or_b32_e32 v35, v1, v3
	v_or_b32_e32 v34, v0, v2
	s_clause 0x1
	scratch_load_b64 v[0:1], off, s32 offset:1692 th:TH_LOAD_LU
	scratch_load_b64 v[2:3], off, s32 offset:1700 th:TH_LOAD_LU
	s_wait_loadcnt 0x0
	v_or_b32_e32 v1, v1, v3
	v_or_b32_e32 v0, v0, v2
	s_clause 0x2
	scratch_store_b64 off, v[0:1], s32 offset:724
	scratch_load_b64 v[0:1], off, s32 offset:1724 th:TH_LOAD_LU
	scratch_load_b64 v[2:3], off, s32 offset:1732 th:TH_LOAD_LU
	s_wait_loadcnt 0x0
	v_or_b32_e32 v25, v1, v3
	v_or_b32_e32 v24, v0, v2
	scratch_load_b64 v[0:1], off, s32 offset:1756 th:TH_LOAD_LU ; 8-byte Folded Reload
	s_wait_loadcnt 0x0
	v_or_b32_e32 v13, v13, v1
	v_or_b32_e32 v12, v12, v0
	s_clause 0x1
	scratch_load_b64 v[0:1], off, s32 offset:1796 th:TH_LOAD_LU
	scratch_load_b64 v[2:3], off, s32 offset:1804 th:TH_LOAD_LU
	s_wait_loadcnt 0x0
	v_or_b32_e32 v7, v1, v3
	v_or_b32_e32 v6, v0, v2
	s_clause 0x1
	scratch_load_b64 v[0:1], off, s32 offset:1828 th:TH_LOAD_LU
	scratch_load_b64 v[2:3], off, s32 offset:1836 th:TH_LOAD_LU
	s_wait_loadcnt 0x0
	v_or_b32_e32 v1, v1, v3
	v_or_b32_e32 v0, v0, v2
	s_clause 0x2
	scratch_store_b64 off, v[0:1], s32 offset:756
	scratch_load_b64 v[0:1], off, s32 offset:1852 th:TH_LOAD_LU
	scratch_load_b64 v[2:3], off, s32 offset:1860 th:TH_LOAD_LU
	s_wait_loadcnt 0x0
	v_or_b32_e32 v5, v1, v3
	v_or_b32_e32 v4, v0, v2
	s_clause 0x1
	scratch_load_b64 v[0:1], off, s32 offset:1868 th:TH_LOAD_LU
	scratch_load_b64 v[2:3], off, s32 offset:1876 th:TH_LOAD_LU
	s_wait_loadcnt 0x0
	v_or_b32_e32 v1, v1, v3
	v_or_b32_e32 v0, v0, v2
	s_clause 0x1
	scratch_store_b64 off, v[0:1], s32 offset:740
	scratch_load_b64 v[0:1], off, s32 offset:1892 th:TH_LOAD_LU
	s_wait_loadcnt 0x0
	v_or_b32_e32 v9, v11, v1
	v_or_b32_e32 v8, v10, v0
	;; [unrolled: 1-line block ×4, first 2 shown]
	scratch_store_b64 off, v[0:1], s32 offset:772 ; 8-byte Folded Spill
	s_wait_xcnt 0x0
	v_or_b32_e32 v1, v63, v61
	v_or_b32_e32 v0, v62, v60
	scratch_store_b64 off, v[0:1], s32 offset:780 ; 8-byte Folded Spill
	s_wait_xcnt 0x0
	v_or_b32_e32 v1, v109, v45
	v_or_b32_e32 v0, v108, v44
	s_clause 0x2
	scratch_store_b64 off, v[0:1], s32 offset:212
	scratch_load_b64 v[16:17], off, s32 offset:2404
	scratch_load_b64 v[0:1], off, s32 offset:692 th:TH_LOAD_LU
	s_wait_loadcnt 0x0
	v_pk_mul_f32 v[0:1], v[16:17], v[0:1]
	s_delay_alu instid0(VALU_DEP_1) | instskip(NEXT) | instid1(VALU_DEP_1)
	v_dual_cndmask_b32 v2, 0, v1, s2 :: v_dual_cndmask_b32 v3, 0, v0, s3
	v_dual_cndmask_b32 v109, v1, v2 :: v_dual_cndmask_b32 v108, v0, v3
	scratch_load_b64 v[0:1], off, s32 offset:676 th:TH_LOAD_LU ; 8-byte Folded Reload
	s_wait_loadcnt 0x0
	v_pk_mul_f32 v[0:1], v[16:17], v[0:1]
	s_delay_alu instid0(VALU_DEP_1) | instskip(NEXT) | instid1(VALU_DEP_1)
	v_dual_cndmask_b32 v2, 0, v1, s0 :: v_dual_cndmask_b32 v3, 0, v0, s1
	v_dual_cndmask_b32 v1, v1, v2 :: v_dual_cndmask_b32 v0, v0, v3
	s_clause 0x1
	scratch_store_b64 off, v[0:1], s32 offset:692
	scratch_load_b64 v[0:1], off, s32 offset:716 th:TH_LOAD_LU
	s_wait_loadcnt 0x0
	v_pk_mul_f32 v[0:1], v[16:17], v[0:1]
	s_delay_alu instid0(VALU_DEP_1) | instskip(NEXT) | instid1(VALU_DEP_1)
	v_dual_cndmask_b32 v2, 0, v1, s2 :: v_dual_cndmask_b32 v3, 0, v0, s3
	v_dual_cndmask_b32 v1, v1, v2 :: v_dual_cndmask_b32 v0, v0, v3
	s_clause 0x1
	scratch_store_b64 off, v[0:1], s32 offset:676
	scratch_load_b64 v[0:1], off, s32 offset:700 th:TH_LOAD_LU
	s_wait_loadcnt 0x0
	v_pk_mul_f32 v[0:1], v[16:17], v[0:1]
	s_delay_alu instid0(VALU_DEP_1) | instskip(NEXT) | instid1(VALU_DEP_1)
	v_dual_cndmask_b32 v2, 0, v1, s0 :: v_dual_cndmask_b32 v3, 0, v0, s1
	v_dual_cndmask_b32 v1, v1, v2 :: v_dual_cndmask_b32 v0, v0, v3
	s_clause 0x1
	scratch_store_b64 off, v[0:1], s32 offset:716
	scratch_load_b64 v[0:1], off, s32 offset:732 th:TH_LOAD_LU
	s_wait_loadcnt 0x0
	v_pk_mul_f32 v[0:1], v[16:17], v[0:1]
	s_delay_alu instid0(VALU_DEP_1) | instskip(NEXT) | instid1(VALU_DEP_1)
	v_dual_cndmask_b32 v2, 0, v1, s2 :: v_dual_cndmask_b32 v3, 0, v0, s3
	v_dual_cndmask_b32 v1, v1, v2 :: v_dual_cndmask_b32 v0, v0, v3
	s_clause 0x1
	scratch_store_b64 off, v[0:1], s32 offset:700
	scratch_load_b64 v[0:1], off, s32 offset:636 th:TH_LOAD_LU
	s_wait_loadcnt 0x0
	v_pk_mul_f32 v[0:1], v[16:17], v[0:1]
	s_delay_alu instid0(VALU_DEP_1) | instskip(NEXT) | instid1(VALU_DEP_1)
	v_dual_cndmask_b32 v2, 0, v1, s0 :: v_dual_cndmask_b32 v3, 0, v0, s1
	v_dual_cndmask_b32 v1, v1, v2 :: v_dual_cndmask_b32 v0, v0, v3
	s_clause 0x1
	scratch_store_b64 off, v[0:1], s32 offset:732
	scratch_load_b64 v[0:1], off, s32 offset:748 th:TH_LOAD_LU
	s_wait_loadcnt 0x0
	v_pk_mul_f32 v[0:1], v[16:17], v[0:1]
	s_delay_alu instid0(VALU_DEP_1) | instskip(NEXT) | instid1(VALU_DEP_1)
	v_dual_cndmask_b32 v2, 0, v1, s2 :: v_dual_cndmask_b32 v3, 0, v0, s3
	v_dual_cndmask_b32 v1, v1, v2 :: v_dual_cndmask_b32 v0, v0, v3
	s_clause 0x1
	scratch_store_b64 off, v[0:1], s32 offset:636
	scratch_load_b64 v[0:1], off, s32 offset:652 th:TH_LOAD_LU
	s_wait_loadcnt 0x0
	v_pk_mul_f32 v[0:1], v[16:17], v[0:1]
	s_delay_alu instid0(VALU_DEP_1) | instskip(NEXT) | instid1(VALU_DEP_1)
	v_dual_cndmask_b32 v2, 0, v1, s0 :: v_dual_cndmask_b32 v3, 0, v0, s1
	v_dual_cndmask_b32 v1, v1, v2 :: v_dual_cndmask_b32 v0, v0, v3
	scratch_store_b64 off, v[0:1], s32 offset:748 ; 8-byte Folded Spill
	s_wait_xcnt 0x0
	v_pk_mul_f32 v[0:1], v[16:17], v[82:83]
	s_delay_alu instid0(VALU_DEP_1) | instskip(NEXT) | instid1(VALU_DEP_1)
	v_dual_cndmask_b32 v2, 0, v1, s2 :: v_dual_cndmask_b32 v3, 0, v0, s3
	v_dual_cndmask_b32 v1, v1, v2 :: v_dual_cndmask_b32 v0, v0, v3
	scratch_store_b64 off, v[0:1], s32 offset:652 ; 8-byte Folded Spill
	s_wait_xcnt 0x0
	;; [unrolled: 6-line block ×4, first 2 shown]
	v_pk_mul_f32 v[0:1], v[16:17], v[86:87]
	s_delay_alu instid0(VALU_DEP_1) | instskip(NEXT) | instid1(VALU_DEP_1)
	v_dual_cndmask_b32 v2, 0, v1, s0 :: v_dual_cndmask_b32 v3, 0, v0, s1
	v_dual_cndmask_b32 v125, v1, v2 :: v_dual_cndmask_b32 v124, v0, v3
	v_pk_mul_f32 v[0:1], v[16:17], v[112:113]
	s_delay_alu instid0(VALU_DEP_1) | instskip(NEXT) | instid1(VALU_DEP_1)
	v_dual_cndmask_b32 v2, 0, v1, s2 :: v_dual_cndmask_b32 v3, 0, v0, s3
	v_dual_cndmask_b32 v1, v1, v2 :: v_dual_cndmask_b32 v0, v0, v3
	scratch_store_b64 off, v[0:1], s32 offset:804 ; 8-byte Folded Spill
	s_wait_xcnt 0x0
	v_pk_mul_f32 v[0:1], v[16:17], v[102:103]
	s_delay_alu instid0(VALU_DEP_1) | instskip(NEXT) | instid1(VALU_DEP_1)
	v_dual_cndmask_b32 v2, 0, v1, s0 :: v_dual_cndmask_b32 v3, 0, v0, s1
	v_dual_cndmask_b32 v1, v1, v2 :: v_dual_cndmask_b32 v0, v0, v3
	scratch_store_b64 off, v[0:1], s32 offset:828 ; 8-byte Folded Spill
	s_wait_xcnt 0x0
	;; [unrolled: 6-line block ×5, first 2 shown]
	v_pk_mul_f32 v[0:1], v[16:17], v[118:119]
	s_delay_alu instid0(VALU_DEP_1) | instskip(NEXT) | instid1(VALU_DEP_1)
	v_dual_cndmask_b32 v2, 0, v1, s0 :: v_dual_cndmask_b32 v3, 0, v0, s1
	v_dual_cndmask_b32 v1, v1, v2 :: v_dual_cndmask_b32 v0, v0, v3
	s_clause 0x1
	scratch_store_b64 off, v[0:1], s32 offset:860
	scratch_load_b64 v[0:1], off, s32 offset:220 th:TH_LOAD_LU
	s_wait_loadcnt 0x0
	v_pk_mul_f32 v[0:1], v[16:17], v[0:1]
	s_delay_alu instid0(VALU_DEP_1) | instskip(NEXT) | instid1(VALU_DEP_1)
	v_dual_cndmask_b32 v2, 0, v1, s2 :: v_dual_cndmask_b32 v3, 0, v0, s3
	v_dual_cndmask_b32 v1, v1, v2 :: v_dual_cndmask_b32 v0, v0, v3
	scratch_store_b64 off, v[0:1], s32 offset:852 ; 8-byte Folded Spill
	s_wait_xcnt 0x0
	v_pk_mul_f32 v[0:1], v[16:17], v[42:43]
	s_delay_alu instid0(VALU_DEP_1) | instskip(NEXT) | instid1(VALU_DEP_1)
	v_dual_cndmask_b32 v2, 0, v1, s0 :: v_dual_cndmask_b32 v3, 0, v0, s1
	v_dual_cndmask_b32 v1, v1, v2 :: v_dual_cndmask_b32 v0, v0, v3
	s_clause 0x1
	scratch_store_b64 off, v[0:1], s32 offset:868
	scratch_load_b64 v[0:1], off, s32 offset:236 th:TH_LOAD_LU
	s_wait_loadcnt 0x0
	v_pk_mul_f32 v[0:1], v[16:17], v[0:1]
	s_delay_alu instid0(VALU_DEP_1) | instskip(NEXT) | instid1(VALU_DEP_1)
	v_dual_cndmask_b32 v2, 0, v1, s2 :: v_dual_cndmask_b32 v3, 0, v0, s3
	v_dual_cndmask_b32 v1, v1, v2 :: v_dual_cndmask_b32 v0, v0, v3
	s_clause 0x1
	scratch_store_b64 off, v[0:1], s32 offset:236
	scratch_load_b64 v[0:1], off, s32 offset:228 th:TH_LOAD_LU
	s_wait_loadcnt 0x0
	v_pk_mul_f32 v[0:1], v[16:17], v[0:1]
	s_delay_alu instid0(VALU_DEP_1) | instskip(NEXT) | instid1(VALU_DEP_1)
	v_dual_cndmask_b32 v2, 0, v1, s0 :: v_dual_cndmask_b32 v3, 0, v0, s1
	v_dual_cndmask_b32 v1, v1, v2 :: v_dual_cndmask_b32 v0, v0, v3
	s_clause 0x1
	scratch_store_b64 off, v[0:1], s32 offset:876
	scratch_load_b64 v[0:1], off, s32 offset:252 th:TH_LOAD_LU
	s_wait_loadcnt 0x0
	v_pk_mul_f32 v[0:1], v[16:17], v[0:1]
	s_delay_alu instid0(VALU_DEP_1) | instskip(NEXT) | instid1(VALU_DEP_1)
	v_dual_cndmask_b32 v2, 0, v1, s2 :: v_dual_cndmask_b32 v3, 0, v0, s3
	v_dual_cndmask_b32 v1, v1, v2 :: v_dual_cndmask_b32 v0, v0, v3
	s_clause 0x1
	scratch_store_b64 off, v[0:1], s32 offset:228
	scratch_load_b64 v[0:1], off, s32 offset:244 th:TH_LOAD_LU
	s_wait_loadcnt 0x0
	v_pk_mul_f32 v[0:1], v[16:17], v[0:1]
	v_or_b32_e32 v37, v37, v107
	s_delay_alu instid0(VALU_DEP_2) | instskip(NEXT) | instid1(VALU_DEP_1)
	v_dual_cndmask_b32 v3, 0, v0, s1 :: v_dual_bitop2_b32 v36, v36, v106 bitop3:0x54
	v_dual_cndmask_b32 v2, 0, v1, s0 :: v_dual_cndmask_b32 v0, v0, v3, vcc_lo
	s_delay_alu instid0(VALU_DEP_1)
	v_cndmask_b32_e32 v1, v1, v2, vcc_lo
	s_clause 0x1
	scratch_store_b64 off, v[0:1], s32 offset:252
	scratch_load_b64 v[0:1], off, s32 offset:268 th:TH_LOAD_LU
	s_wait_loadcnt 0x0
	v_pk_mul_f32 v[0:1], v[16:17], v[0:1]
	s_delay_alu instid0(VALU_DEP_1) | instskip(NEXT) | instid1(VALU_DEP_1)
	v_dual_cndmask_b32 v2, 0, v1, s2 :: v_dual_cndmask_b32 v3, 0, v0, s3
	v_dual_cndmask_b32 v1, v1, v2 :: v_dual_cndmask_b32 v0, v0, v3
	s_clause 0x1
	scratch_store_b64 off, v[0:1], s32 offset:244
	scratch_load_b64 v[0:1], off, s32 offset:260 th:TH_LOAD_LU
	s_wait_loadcnt 0x0
	v_pk_mul_f32 v[0:1], v[16:17], v[0:1]
	s_delay_alu instid0(VALU_DEP_1) | instskip(NEXT) | instid1(VALU_DEP_1)
	v_dual_cndmask_b32 v2, 0, v1, s0 :: v_dual_cndmask_b32 v3, 0, v0, s1
	v_dual_cndmask_b32 v1, v1, v2 :: v_dual_cndmask_b32 v0, v0, v3
	;; [unrolled: 8-line block ×12, first 2 shown]
	scratch_store_b64 off, v[0:1], s32 offset:348 ; 8-byte Folded Spill
	s_wait_xcnt 0x0
	v_pk_mul_f32 v[0:1], v[16:17], v[20:21]
	s_delay_alu instid0(VALU_DEP_1) | instskip(NEXT) | instid1(VALU_DEP_1)
	v_dual_cndmask_b32 v2, 0, v1, s2 :: v_dual_cndmask_b32 v3, 0, v0, s3
	v_dual_cndmask_b32 v1, v1, v2 :: v_dual_cndmask_b32 v0, v0, v3
	s_clause 0x1
	scratch_store_b64 off, v[0:1], s32 offset:340
	scratch_load_b64 v[0:1], off, s32 offset:356 th:TH_LOAD_LU
	s_wait_loadcnt 0x0
	v_pk_mul_f32 v[0:1], v[16:17], v[0:1]
	s_delay_alu instid0(VALU_DEP_1) | instskip(NEXT) | instid1(VALU_DEP_1)
	v_dual_cndmask_b32 v2, 0, v1, s0 :: v_dual_cndmask_b32 v3, 0, v0, s1
	v_dual_cndmask_b32 v1, v1, v2 :: v_dual_cndmask_b32 v0, v0, v3
	scratch_store_b64 off, v[0:1], s32 offset:884 ; 8-byte Folded Spill
	s_wait_xcnt 0x0
	v_pk_mul_f32 v[0:1], v[16:17], v[32:33]
	s_delay_alu instid0(VALU_DEP_1) | instskip(NEXT) | instid1(VALU_DEP_1)
	v_dual_cndmask_b32 v2, 0, v1, s2 :: v_dual_cndmask_b32 v3, 0, v0, s3
	v_dual_cndmask_b32 v1, v1, v2 :: v_dual_cndmask_b32 v0, v0, v3
	s_clause 0x1
	scratch_store_b64 off, v[0:1], s32 offset:356
	scratch_load_b64 v[0:1], off, s32 offset:764 th:TH_LOAD_LU
	s_wait_loadcnt 0x0
	v_pk_mul_f32 v[0:1], v[16:17], v[0:1]
	s_delay_alu instid0(VALU_DEP_1) | instskip(NEXT) | instid1(VALU_DEP_1)
	v_dual_cndmask_b32 v2, 0, v1, s0 :: v_dual_cndmask_b32 v3, 0, v0, s1
	v_dual_cndmask_b32 v1, v1, v2 :: v_dual_cndmask_b32 v0, v0, v3
	scratch_store_b64 off, v[0:1], s32 offset:892 ; 8-byte Folded Spill
	s_wait_xcnt 0x0
	v_pk_mul_f32 v[0:1], v[16:17], v[38:39]
	s_delay_alu instid0(VALU_DEP_1) | instskip(NEXT) | instid1(VALU_DEP_1)
	v_dual_cndmask_b32 v2, 0, v1, s2 :: v_dual_cndmask_b32 v3, 0, v0, s3
	v_dual_cndmask_b32 v1, v1, v2 :: v_dual_cndmask_b32 v0, v0, v3
	scratch_store_b64 off, v[0:1], s32 offset:764 ; 8-byte Folded Spill
	s_wait_xcnt 0x0
	;; [unrolled: 6-line block ×14, first 2 shown]
	v_pk_mul_f32 v[0:1], v[16:17], v[84:85]
	s_delay_alu instid0(VALU_DEP_1) | instskip(NEXT) | instid1(VALU_DEP_1)
	v_dual_cndmask_b32 v2, 0, v1, s0 :: v_dual_cndmask_b32 v3, 0, v0, s1
	v_dual_cndmask_b32 v111, v1, v2 :: v_dual_cndmask_b32 v110, v0, v3
	v_pk_mul_f32 v[0:1], v[16:17], v[46:47]
	s_delay_alu instid0(VALU_DEP_1) | instskip(NEXT) | instid1(VALU_DEP_1)
	v_dual_cndmask_b32 v2, 0, v1, s2 :: v_dual_cndmask_b32 v3, 0, v0, s3
	v_dual_cndmask_b32 v1, v1, v2 :: v_dual_cndmask_b32 v0, v0, v3
	scratch_store_b64 off, v[0:1], s32 offset:996 ; 8-byte Folded Spill
	s_wait_xcnt 0x0
	v_pk_mul_f32 v[0:1], v[16:17], v[98:99]
	s_delay_alu instid0(VALU_DEP_1) | instskip(NEXT) | instid1(VALU_DEP_1)
	v_dual_cndmask_b32 v2, 0, v1, s0 :: v_dual_cndmask_b32 v3, 0, v0, s1
	v_dual_cndmask_b32 v107, v1, v2 :: v_dual_cndmask_b32 v106, v0, v3
	v_pk_mul_f32 v[0:1], v[16:17], v[88:89]
	v_or_b32_e32 v95, v121, v95
	s_delay_alu instid0(VALU_DEP_2) | instskip(NEXT) | instid1(VALU_DEP_3)
	v_dual_cndmask_b32 v3, 0, v0, s3 :: v_dual_bitop2_b32 v94, v120, v94 bitop3:0x54
	v_dual_cndmask_b32 v2, 0, v1, s2 :: v_dual_bitop2_b32 v123, v91, v123 bitop3:0x54
	s_delay_alu instid0(VALU_DEP_2) | instskip(NEXT) | instid1(VALU_DEP_2)
	v_dual_cndmask_b32 v0, v0, v3, vcc_lo :: v_dual_bitop2_b32 v122, v90, v122 bitop3:0x54
	v_cndmask_b32_e32 v1, v1, v2, vcc_lo
	scratch_store_b64 off, v[0:1], s32 offset:1004 ; 8-byte Folded Spill
	s_wait_xcnt 0x0
	v_pk_mul_f32 v[0:1], v[16:17], v[76:77]
	v_or_b32_e32 v79, v79, v75
	s_delay_alu instid0(VALU_DEP_2) | instskip(NEXT) | instid1(VALU_DEP_1)
	v_dual_cndmask_b32 v3, 0, v0, s1 :: v_dual_bitop2_b32 v78, v78, v74 bitop3:0x54
	v_dual_cndmask_b32 v2, 0, v1, s0 :: v_dual_cndmask_b32 v0, v0, v3, vcc_lo
	s_delay_alu instid0(VALU_DEP_1) | instskip(SKIP_3) | instid1(VALU_DEP_1)
	v_cndmask_b32_e32 v1, v1, v2, vcc_lo
	scratch_store_b64 off, v[0:1], s32 offset:1020 ; 8-byte Folded Spill
	s_wait_xcnt 0x0
	v_pk_mul_f32 v[0:1], v[16:17], v[104:105]
	v_dual_cndmask_b32 v2, 0, v1, s2 :: v_dual_cndmask_b32 v3, 0, v0, s3
	v_or_b32_e32 v29, v59, v57
	s_delay_alu instid0(VALU_DEP_2) | instskip(NEXT) | instid1(VALU_DEP_3)
	v_dual_cndmask_b32 v1, v1, v2, vcc_lo :: v_dual_bitop2_b32 v28, v58, v56 bitop3:0x54
	v_cndmask_b32_e32 v0, v0, v3, vcc_lo
	scratch_store_b64 off, v[0:1], s32 offset:1012 ; 8-byte Folded Spill
	s_wait_xcnt 0x0
	v_pk_mul_f32 v[0:1], v[16:17], v[92:93]
	s_delay_alu instid0(VALU_DEP_1) | instskip(NEXT) | instid1(VALU_DEP_1)
	v_dual_cndmask_b32 v2, 0, v1, s0 :: v_dual_cndmask_b32 v3, 0, v0, s1
	v_dual_cndmask_b32 v105, v1, v2 :: v_dual_cndmask_b32 v104, v0, v3
	scratch_load_b64 v[0:1], off, s32 offset:364 th:TH_LOAD_LU ; 8-byte Folded Reload
	s_wait_loadcnt 0x0
	v_pk_mul_f32 v[0:1], v[16:17], v[0:1]
	s_delay_alu instid0(VALU_DEP_1) | instskip(NEXT) | instid1(VALU_DEP_1)
	v_dual_cndmask_b32 v2, 0, v1, s2 :: v_dual_cndmask_b32 v3, 0, v0, s3
	v_dual_cndmask_b32 v1, v1, v2 :: v_dual_cndmask_b32 v0, v0, v3
	s_clause 0x1
	scratch_store_b64 off, v[0:1], s32 offset:364
	scratch_load_b64 v[0:1], off, s32 offset:812 th:TH_LOAD_LU
	s_wait_loadcnt 0x0
	v_pk_mul_f32 v[0:1], v[16:17], v[0:1]
	s_delay_alu instid0(VALU_DEP_1) | instskip(NEXT) | instid1(VALU_DEP_1)
	v_dual_cndmask_b32 v2, 0, v1, s0 :: v_dual_cndmask_b32 v3, 0, v0, s1
	v_dual_cndmask_b32 v93, v1, v2 :: v_dual_cndmask_b32 v92, v0, v3
	scratch_load_b64 v[0:1], off, s32 offset:380 th:TH_LOAD_LU ; 8-byte Folded Reload
	s_wait_loadcnt 0x0
	v_pk_mul_f32 v[0:1], v[16:17], v[0:1]
	s_delay_alu instid0(VALU_DEP_1) | instskip(NEXT) | instid1(VALU_DEP_1)
	v_dual_cndmask_b32 v2, 0, v1, s2 :: v_dual_cndmask_b32 v3, 0, v0, s3
	v_dual_cndmask_b32 v1, v1, v2 :: v_dual_cndmask_b32 v0, v0, v3
	s_clause 0x1
	scratch_store_b64 off, v[0:1], s32 offset:380
	scratch_load_b64 v[0:1], off, s32 offset:372 th:TH_LOAD_LU
	s_wait_loadcnt 0x0
	;; [unrolled: 14-line block ×4, first 2 shown]
	v_pk_mul_f32 v[0:1], v[16:17], v[0:1]
	s_delay_alu instid0(VALU_DEP_1) | instskip(NEXT) | instid1(VALU_DEP_1)
	v_dual_cndmask_b32 v2, 0, v1, s0 :: v_dual_cndmask_b32 v3, 0, v0, s1
	v_dual_cndmask_b32 v73, v1, v2 :: v_dual_cndmask_b32 v72, v0, v3
	scratch_load_b64 v[0:1], off, s32 offset:428 th:TH_LOAD_LU ; 8-byte Folded Reload
	s_wait_loadcnt 0x0
	v_pk_mul_f32 v[0:1], v[16:17], v[0:1]
	s_delay_alu instid0(VALU_DEP_1) | instskip(NEXT) | instid1(VALU_DEP_1)
	v_dual_cndmask_b32 v2, 0, v1, s2 :: v_dual_cndmask_b32 v3, 0, v0, s3
	v_dual_cndmask_b32 v127, v1, v2 :: v_dual_cndmask_b32 v126, v0, v3
	scratch_load_b64 v[0:1], off, s32 offset:420 th:TH_LOAD_LU ; 8-byte Folded Reload
	s_wait_loadcnt 0x0
	v_pk_mul_f32 v[0:1], v[16:17], v[0:1]
	s_delay_alu instid0(VALU_DEP_1) | instskip(NEXT) | instid1(VALU_DEP_1)
	v_dual_cndmask_b32 v2, 0, v1, s0 :: v_dual_cndmask_b32 v3, 0, v0, s1
	v_dual_cndmask_b32 v61, v1, v2 :: v_dual_cndmask_b32 v60, v0, v3
	scratch_load_b64 v[0:1], off, s32 offset:444 th:TH_LOAD_LU ; 8-byte Folded Reload
	s_wait_loadcnt 0x0
	v_pk_mul_f32 v[0:1], v[16:17], v[0:1]
	s_delay_alu instid0(VALU_DEP_1) | instskip(NEXT) | instid1(VALU_DEP_1)
	v_dual_cndmask_b32 v2, 0, v1, s2 :: v_dual_cndmask_b32 v3, 0, v0, s3
	v_dual_cndmask_b32 v1, v1, v2 :: v_dual_cndmask_b32 v0, v0, v3
	s_clause 0x1
	scratch_store_b64 off, v[0:1], s32 offset:396
	scratch_load_b64 v[0:1], off, s32 offset:436 th:TH_LOAD_LU
	s_wait_loadcnt 0x0
	v_pk_mul_f32 v[0:1], v[16:17], v[0:1]
	s_delay_alu instid0(VALU_DEP_1) | instskip(NEXT) | instid1(VALU_DEP_1)
	v_dual_cndmask_b32 v2, 0, v1, s0 :: v_dual_cndmask_b32 v3, 0, v0, s1
	v_dual_cndmask_b32 v57, v1, v2 :: v_dual_cndmask_b32 v56, v0, v3
	scratch_load_b64 v[0:1], off, s32 offset:460 th:TH_LOAD_LU ; 8-byte Folded Reload
	s_wait_loadcnt 0x0
	v_pk_mul_f32 v[0:1], v[16:17], v[0:1]
	s_delay_alu instid0(VALU_DEP_1) | instskip(NEXT) | instid1(VALU_DEP_1)
	v_dual_cndmask_b32 v2, 0, v1, s2 :: v_dual_cndmask_b32 v3, 0, v0, s3
	v_dual_cndmask_b32 v91, v1, v2 :: v_dual_cndmask_b32 v90, v0, v3
	scratch_load_b64 v[0:1], off, s32 offset:452 th:TH_LOAD_LU ; 8-byte Folded Reload
	;; [unrolled: 6-line block ×24, first 2 shown]
	s_wait_loadcnt 0x0
	v_pk_mul_f32 v[0:1], v[16:17], v[0:1]
	s_delay_alu instid0(VALU_DEP_1) | instskip(NEXT) | instid1(VALU_DEP_1)
	v_dual_cndmask_b32 v2, 0, v1, s0 :: v_dual_cndmask_b32 v3, 0, v0, s1
	v_dual_cndmask_b32 v33, v1, v2 :: v_dual_cndmask_b32 v32, v0, v3
	v_pk_mul_f32 v[0:1], v[16:17], v[54:55]
	s_delay_alu instid0(VALU_DEP_1) | instskip(NEXT) | instid1(VALU_DEP_1)
	v_dual_cndmask_b32 v2, 0, v1, s2 :: v_dual_cndmask_b32 v3, 0, v0, s3
	v_dual_cndmask_b32 v55, v1, v2 :: v_dual_cndmask_b32 v54, v0, v3
	scratch_load_b64 v[0:1], off, s32 offset:660 th:TH_LOAD_LU ; 8-byte Folded Reload
	s_wait_loadcnt 0x0
	v_pk_mul_f32 v[0:1], v[16:17], v[0:1]
	s_delay_alu instid0(VALU_DEP_1) | instskip(NEXT) | instid1(VALU_DEP_1)
	v_dual_cndmask_b32 v2, 0, v1, s0 :: v_dual_cndmask_b32 v3, 0, v0, s1
	v_dual_cndmask_b32 v27, v1, v2 :: v_dual_cndmask_b32 v26, v0, v3
	v_pk_mul_f32 v[0:1], v[16:17], v[52:53]
	s_delay_alu instid0(VALU_DEP_1) | instskip(NEXT) | instid1(VALU_DEP_1)
	v_dual_cndmask_b32 v2, 0, v1, s2 :: v_dual_cndmask_b32 v3, 0, v0, s3
	v_dual_cndmask_b32 v53, v1, v2 :: v_dual_cndmask_b32 v52, v0, v3
	scratch_load_b64 v[0:1], off, s32 offset:668 th:TH_LOAD_LU ; 8-byte Folded Reload
	;; [unrolled: 10-line block ×5, first 2 shown]
	s_wait_loadcnt 0x0
	v_pk_mul_f32 v[0:1], v[16:17], v[0:1]
	s_delay_alu instid0(VALU_DEP_1) | instskip(NEXT) | instid1(VALU_DEP_1)
	v_dual_cndmask_b32 v2, 0, v1, s0 :: v_dual_cndmask_b32 v3, 0, v0, s1
	v_dual_cndmask_b32 v11, v1, v2 :: v_dual_cndmask_b32 v10, v0, v3
	v_pk_mul_f32 v[0:1], v[16:17], v[6:7]
	s_delay_alu instid0(VALU_DEP_1) | instskip(NEXT) | instid1(VALU_DEP_1)
	v_dual_cndmask_b32 v2, 0, v1, s2 :: v_dual_cndmask_b32 v3, 0, v0, s3
	v_dual_cndmask_b32 v21, v1, v2 :: v_dual_cndmask_b32 v20, v0, v3
	;; [unrolled: 4-line block ×4, first 2 shown]
	scratch_load_b64 v[0:1], off, s32 offset:756 th:TH_LOAD_LU ; 8-byte Folded Reload
	s_wait_loadcnt 0x0
	v_pk_mul_f32 v[0:1], v[16:17], v[0:1]
	s_delay_alu instid0(VALU_DEP_1) | instskip(NEXT) | instid1(VALU_DEP_1)
	v_dual_cndmask_b32 v2, 0, v1, s0 :: v_dual_cndmask_b32 v4, 0, v0, s1
	v_dual_cndmask_b32 v3, v1, v2 :: v_dual_cndmask_b32 v2, v0, v4
	v_pk_mul_f32 v[0:1], v[16:17], v[8:9]
	s_delay_alu instid0(VALU_DEP_1) | instskip(NEXT) | instid1(VALU_DEP_1)
	v_dual_cndmask_b32 v4, 0, v1, s2 :: v_dual_cndmask_b32 v30, 0, v0, s3
	v_dual_cndmask_b32 v9, v1, v4 :: v_dual_cndmask_b32 v8, v0, v30
	scratch_load_b64 v[0:1], off, s32 offset:740 th:TH_LOAD_LU ; 8-byte Folded Reload
	s_wait_loadcnt 0x0
	v_pk_mul_f32 v[0:1], v[16:17], v[0:1]
	s_delay_alu instid0(VALU_DEP_1) | instskip(NEXT) | instid1(VALU_DEP_1)
	v_dual_cndmask_b32 v30, 0, v1, s0 :: v_dual_cndmask_b32 v31, 0, v0, s1
	v_dual_cndmask_b32 v5, v1, v30 :: v_dual_cndmask_b32 v4, v0, v31
	scratch_load_b64 v[0:1], off, s32 offset:772 th:TH_LOAD_LU ; 8-byte Folded Reload
	v_pk_mul_f32 v[30:31], v[16:17], v[122:123]
	s_delay_alu instid0(VALU_DEP_1) | instskip(NEXT) | instid1(VALU_DEP_1)
	v_dual_cndmask_b32 v36, 0, v31, s2 :: v_dual_cndmask_b32 v37, 0, v30, s3
	v_dual_cndmask_b32 v99, v31, v36 :: v_dual_cndmask_b32 v98, v30, v37
	v_pk_mul_f32 v[30:31], v[16:17], v[94:95]
	s_delay_alu instid0(VALU_DEP_1) | instskip(NEXT) | instid1(VALU_DEP_1)
	v_dual_cndmask_b32 v36, 0, v31, s0 :: v_dual_cndmask_b32 v37, 0, v30, s1
	v_dual_cndmask_b32 v69, v31, v36 :: v_dual_cndmask_b32 v68, v30, v37
	s_wait_loadcnt 0x0
	v_pk_mul_f32 v[30:31], v[16:17], v[0:1]
	s_delay_alu instid0(VALU_DEP_1) | instskip(NEXT) | instid1(VALU_DEP_1)
	v_dual_cndmask_b32 v36, 0, v31, s2 :: v_dual_cndmask_b32 v37, 0, v30, s3
	v_dual_cndmask_b32 v47, v31, v36 :: v_dual_cndmask_b32 v46, v30, v37
	v_pk_mul_f32 v[30:31], v[16:17], v[78:79]
	s_delay_alu instid0(VALU_DEP_1) | instskip(NEXT) | instid1(VALU_DEP_1)
	v_dual_cndmask_b32 v36, 0, v31, s0 :: v_dual_cndmask_b32 v122, 0, v30, s1
	v_dual_cndmask_b32 v65, v31, v36 :: v_dual_cndmask_b32 v64, v30, v122
	;; [unrolled: 4-line block ×3, first 2 shown]
	s_clause 0x1
	scratch_store_b64 off, v[0:1], s32 offset:220
	scratch_load_b64 v[0:1], off, s32 offset:780 th:TH_LOAD_LU
	s_wait_loadcnt 0x0
	v_pk_mul_f32 v[30:31], v[16:17], v[0:1]
	s_delay_alu instid0(VALU_DEP_1) | instskip(NEXT) | instid1(VALU_DEP_1)
	v_dual_cndmask_b32 v122, 0, v31, s0 :: v_dual_cndmask_b32 v123, 0, v30, s1
	v_dual_cndmask_b32 v37, v31, v122 :: v_dual_cndmask_b32 v36, v30, v123
	s_clause 0x3
	scratch_load_b128 v[28:31], off, s32 offset:2356 th:TH_LOAD_LU
	scratch_load_b64 v[0:1], off, s32 offset:692 th:TH_LOAD_LU
	scratch_load_b64 v[78:79], off, s32 offset:676 th:TH_LOAD_LU
	scratch_load_b64 v[94:95], off, s32 offset:916 th:TH_LOAD_LU
	s_wait_loadcnt 0x3
	v_pk_mul_f32 v[110:111], v[28:29], v[110:111]
	s_wait_loadcnt 0x2
	v_pk_mul_f32 v[122:123], v[28:29], v[0:1]
	v_pk_mul_f32 v[106:107], v[28:29], v[106:107]
	;; [unrolled: 1-line block ×5, first 2 shown]
	v_add_f32_e32 v0, v122, v123
	v_pk_mul_f32 v[122:123], v[30:31], v[108:109]
	v_pk_mul_f32 v[76:77], v[28:29], v[76:77]
	;; [unrolled: 1-line block ×5, first 2 shown]
	v_add_f32_e32 v0, v122, v0
	v_pk_mul_f32 v[44:45], v[28:29], v[44:45]
	v_pk_mul_f32 v[40:41], v[28:29], v[40:41]
	;; [unrolled: 1-line block ×4, first 2 shown]
	v_add_f32_e32 v0, v123, v0
	v_pk_mul_f32 v[100:101], v[28:29], v[100:101]
	v_pk_mul_f32 v[96:97], v[28:29], v[96:97]
	;; [unrolled: 1-line block ×4, first 2 shown]
	s_clause 0x1
	scratch_store_b32 off, v0, s32 offset:404
	scratch_load_b64 v[0:1], off, s32 offset:716 th:TH_LOAD_LU
	v_pk_mul_f32 v[66:67], v[28:29], v[66:67]
	v_pk_mul_f32 v[50:51], v[28:29], v[50:51]
	;; [unrolled: 1-line block ×11, first 2 shown]
	s_wait_loadcnt 0x0
	v_pk_mul_f32 v[122:123], v[28:29], v[0:1]
	s_delay_alu instid0(VALU_DEP_1) | instskip(SKIP_3) | instid1(VALU_DEP_1)
	v_add_f32_e32 v0, v122, v123
	v_pk_mul_f32 v[122:123], v[30:31], v[78:79]
	scratch_load_b64 v[78:79], off, s32 offset:700 th:TH_LOAD_LU ; 8-byte Folded Reload
	v_add_f32_e32 v0, v122, v0
	v_add_f32_e32 v0, v123, v0
	s_clause 0x1
	scratch_store_b32 off, v0, s32 offset:412
	scratch_load_b64 v[0:1], off, s32 offset:732 th:TH_LOAD_LU
	s_wait_loadcnt 0x0
	v_pk_mul_f32 v[122:123], v[28:29], v[0:1]
	s_delay_alu instid0(VALU_DEP_1) | instskip(SKIP_3) | instid1(VALU_DEP_1)
	v_add_f32_e32 v0, v122, v123
	v_pk_mul_f32 v[122:123], v[30:31], v[78:79]
	scratch_load_b64 v[78:79], off, s32 offset:636 th:TH_LOAD_LU ; 8-byte Folded Reload
	v_add_f32_e32 v0, v122, v0
	v_add_f32_e32 v0, v123, v0
	s_clause 0x1
	scratch_store_b32 off, v0, s32 offset:420
	scratch_load_b64 v[0:1], off, s32 offset:748 th:TH_LOAD_LU
	;; [unrolled: 11-line block ×3, first 2 shown]
	s_wait_loadcnt 0x0
	v_pk_mul_f32 v[122:123], v[28:29], v[0:1]
	s_delay_alu instid0(VALU_DEP_1) | instskip(SKIP_3) | instid1(VALU_DEP_1)
	v_add_f32_e32 v0, v122, v123
	v_pk_mul_f32 v[122:123], v[30:31], v[78:79]
	scratch_load_b64 v[78:79], off, s32 offset:788 th:TH_LOAD_LU ; 8-byte Folded Reload
	v_add_f32_e32 v0, v122, v0
	v_add_f32_e32 v0, v123, v0
	v_pk_mul_f32 v[122:123], v[28:29], v[124:125]
	scratch_store_b32 off, v0, s32 offset:436 ; 4-byte Folded Spill
	s_wait_xcnt 0x0
	v_add_f32_e32 v0, v122, v123
	s_wait_loadcnt 0x0
	v_pk_mul_f32 v[122:123], v[30:31], v[78:79]
	scratch_load_b64 v[78:79], off, s32 offset:804 th:TH_LOAD_LU ; 8-byte Folded Reload
	v_add_f32_e32 v0, v122, v0
	s_delay_alu instid0(VALU_DEP_1)
	v_add_f32_e32 v0, v123, v0
	s_clause 0x1
	scratch_store_b32 off, v0, s32 offset:444
	scratch_load_b64 v[0:1], off, s32 offset:828 th:TH_LOAD_LU
	s_wait_loadcnt 0x0
	v_pk_mul_f32 v[122:123], v[28:29], v[0:1]
	s_delay_alu instid0(VALU_DEP_1) | instskip(SKIP_3) | instid1(VALU_DEP_1)
	v_add_f32_e32 v0, v122, v123
	v_pk_mul_f32 v[122:123], v[30:31], v[78:79]
	scratch_load_b64 v[78:79], off, s32 offset:820 th:TH_LOAD_LU ; 8-byte Folded Reload
	v_add_f32_e32 v0, v122, v0
	v_add_f32_e32 v0, v123, v0
	s_clause 0x1
	scratch_store_b32 off, v0, s32 offset:452
	scratch_load_b64 v[0:1], off, s32 offset:844 th:TH_LOAD_LU
	s_wait_loadcnt 0x0
	v_pk_mul_f32 v[122:123], v[28:29], v[0:1]
	s_delay_alu instid0(VALU_DEP_1) | instskip(SKIP_3) | instid1(VALU_DEP_1)
	v_add_f32_e32 v0, v122, v123
	v_pk_mul_f32 v[122:123], v[30:31], v[78:79]
	scratch_load_b64 v[78:79], off, s32 offset:836 th:TH_LOAD_LU ; 8-byte Folded Reload
	v_add_f32_e32 v0, v122, v0
	;; [unrolled: 11-line block ×14, first 2 shown]
	v_add_f32_e32 v124, v123, v0
	scratch_load_b64 v[0:1], off, s32 offset:908 th:TH_LOAD_LU ; 8-byte Folded Reload
	s_wait_loadcnt 0x0
	v_pk_mul_f32 v[122:123], v[28:29], v[0:1]
	s_delay_alu instid0(VALU_DEP_1) | instskip(SKIP_3) | instid1(VALU_DEP_1)
	v_add_f32_e32 v0, v122, v123
	v_pk_mul_f32 v[122:123], v[30:31], v[78:79]
	scratch_load_b64 v[78:79], off, s32 offset:900 th:TH_LOAD_LU ; 8-byte Folded Reload
	v_add_f32_e32 v0, v122, v0
	v_add_f32_e32 v108, v123, v0
	scratch_load_b64 v[0:1], off, s32 offset:924 th:TH_LOAD_LU ; 8-byte Folded Reload
	s_wait_loadcnt 0x0
	v_pk_mul_f32 v[122:123], v[28:29], v[0:1]
	s_delay_alu instid0(VALU_DEP_1) | instskip(SKIP_1) | instid1(VALU_DEP_1)
	v_add_f32_e32 v0, v122, v123
	v_pk_mul_f32 v[122:123], v[30:31], v[78:79]
	v_add_f32_e32 v0, v122, v0
	s_delay_alu instid0(VALU_DEP_1) | instskip(SKIP_3) | instid1(VALU_DEP_1)
	v_add_f32_e32 v78, v123, v0
	scratch_load_b64 v[0:1], off, s32 offset:940 th:TH_LOAD_LU ; 8-byte Folded Reload
	s_wait_loadcnt 0x0
	v_pk_mul_f32 v[122:123], v[28:29], v[0:1]
	v_add_f32_e32 v0, v122, v123
	v_pk_mul_f32 v[122:123], v[30:31], v[94:95]
	scratch_load_b64 v[94:95], off, s32 offset:932 th:TH_LOAD_LU ; 8-byte Folded Reload
	v_add_f32_e32 v0, v122, v0
	s_delay_alu instid0(VALU_DEP_1) | instskip(SKIP_3) | instid1(VALU_DEP_1)
	v_add_f32_e32 v125, v123, v0
	scratch_load_b64 v[0:1], off, s32 offset:956 th:TH_LOAD_LU ; 8-byte Folded Reload
	s_wait_loadcnt 0x0
	v_pk_mul_f32 v[122:123], v[28:29], v[0:1]
	v_add_f32_e32 v0, v122, v123
	v_pk_mul_f32 v[122:123], v[30:31], v[94:95]
	s_delay_alu instid0(VALU_DEP_1) | instskip(NEXT) | instid1(VALU_DEP_1)
	v_add_f32_e32 v0, v122, v0
	v_add_f32_e32 v94, v123, v0
	scratch_load_b64 v[0:1], off, s32 offset:972 th:TH_LOAD_LU ; 8-byte Folded Reload
	s_wait_loadcnt 0x0
	v_pk_mul_f32 v[122:123], v[28:29], v[0:1]
	s_delay_alu instid0(VALU_DEP_1) | instskip(SKIP_3) | instid1(VALU_DEP_1)
	v_add_f32_e32 v0, v122, v123
	scratch_load_b64 v[122:123], off, s32 offset:948 th:TH_LOAD_LU ; 8-byte Folded Reload
	s_wait_loadcnt 0x0
	v_pk_mul_f32 v[122:123], v[30:31], v[122:123]
	v_add_f32_e32 v0, v122, v0
	s_delay_alu instid0(VALU_DEP_1) | instskip(SKIP_3) | instid1(VALU_DEP_1)
	v_add_f32_e32 v79, v123, v0
	scratch_load_b64 v[0:1], off, s32 offset:988 th:TH_LOAD_LU ; 8-byte Folded Reload
	s_wait_loadcnt 0x0
	v_pk_mul_f32 v[122:123], v[28:29], v[0:1]
	v_add_f32_e32 v0, v122, v123
	scratch_load_b64 v[122:123], off, s32 offset:964 th:TH_LOAD_LU ; 8-byte Folded Reload
	s_wait_loadcnt 0x0
	v_pk_mul_f32 v[122:123], v[30:31], v[122:123]
	s_delay_alu instid0(VALU_DEP_1) | instskip(NEXT) | instid1(VALU_DEP_1)
	v_add_f32_e32 v0, v122, v0
	v_dual_add_f32 v109, v123, v0 :: v_dual_add_f32 v0, v110, v111
	scratch_load_b64 v[110:111], off, s32 offset:980 th:TH_LOAD_LU ; 8-byte Folded Reload
	s_wait_loadcnt 0x0
	v_pk_mul_f32 v[110:111], v[30:31], v[110:111]
	s_delay_alu instid0(VALU_DEP_1) | instskip(NEXT) | instid1(VALU_DEP_1)
	v_add_f32_e32 v0, v110, v0
	v_dual_add_f32 v110, v111, v0 :: v_dual_add_f32 v0, v106, v107
	scratch_load_b64 v[106:107], off, s32 offset:996 th:TH_LOAD_LU ; 8-byte Folded Reload
	s_wait_loadcnt 0x0
	v_pk_mul_f32 v[106:107], v[30:31], v[106:107]
	s_delay_alu instid0(VALU_DEP_1) | instskip(NEXT) | instid1(VALU_DEP_1)
	v_add_f32_e32 v0, v106, v0
	v_add_f32_e32 v111, v107, v0
	scratch_load_b64 v[0:1], off, s32 offset:1020 th:TH_LOAD_LU ; 8-byte Folded Reload
	s_wait_loadcnt 0x0
	v_pk_mul_f32 v[106:107], v[28:29], v[0:1]
	s_delay_alu instid0(VALU_DEP_1) | instskip(SKIP_3) | instid1(VALU_DEP_1)
	v_add_f32_e32 v0, v106, v107
	scratch_load_b64 v[106:107], off, s32 offset:1004 th:TH_LOAD_LU ; 8-byte Folded Reload
	s_wait_loadcnt 0x0
	v_pk_mul_f32 v[106:107], v[30:31], v[106:107]
	v_add_f32_e32 v0, v106, v0
	s_delay_alu instid0(VALU_DEP_1) | instskip(SKIP_3) | instid1(VALU_DEP_1)
	v_dual_add_f32 v106, v107, v0 :: v_dual_add_f32 v0, v104, v105
	scratch_load_b64 v[104:105], off, s32 offset:1012 th:TH_LOAD_LU ; 8-byte Folded Reload
	s_wait_loadcnt 0x0
	v_pk_mul_f32 v[104:105], v[30:31], v[104:105]
	v_add_f32_e32 v0, v104, v0
	s_delay_alu instid0(VALU_DEP_1) | instskip(SKIP_3) | instid1(VALU_DEP_1)
	v_dual_add_f32 v104, v105, v0 :: v_dual_add_f32 v0, v92, v93
	;; [unrolled: 6-line block ×5, first 2 shown]
	scratch_load_b64 v[72:73], off, s32 offset:388 th:TH_LOAD_LU ; 8-byte Folded Reload
	s_wait_loadcnt 0x0
	v_pk_mul_f32 v[72:73], v[30:31], v[72:73]
	v_add_f32_e32 v0, v72, v0
	s_delay_alu instid0(VALU_DEP_1) | instskip(SKIP_1) | instid1(VALU_DEP_1)
	v_dual_add_f32 v72, v73, v0 :: v_dual_add_f32 v0, v60, v61
	v_pk_mul_f32 v[60:61], v[30:31], v[126:127]
	v_add_f32_e32 v0, v60, v0
	s_delay_alu instid0(VALU_DEP_1) | instskip(SKIP_3) | instid1(VALU_DEP_1)
	v_dual_add_f32 v60, v61, v0 :: v_dual_add_f32 v0, v56, v57
	scratch_load_b64 v[56:57], off, s32 offset:396 th:TH_LOAD_LU ; 8-byte Folded Reload
	s_wait_loadcnt 0x0
	v_pk_mul_f32 v[56:57], v[30:31], v[56:57]
	v_add_f32_e32 v0, v56, v0
	s_delay_alu instid0(VALU_DEP_1) | instskip(SKIP_1) | instid1(VALU_DEP_1)
	v_dual_add_f32 v56, v57, v0 :: v_dual_add_f32 v0, v44, v45
	v_pk_mul_f32 v[44:45], v[30:31], v[90:91]
	v_add_f32_e32 v0, v44, v0
	s_delay_alu instid0(VALU_DEP_1) | instskip(SKIP_1) | instid1(VALU_DEP_1)
	v_dual_add_f32 v44, v45, v0 :: v_dual_add_f32 v0, v40, v41
	;; [unrolled: 4-line block ×19, first 2 shown]
	v_pk_mul_f32 v[2:3], v[30:31], v[12:13]
	v_add_f32_e32 v0, v2, v0
	s_delay_alu instid0(VALU_DEP_1) | instskip(SKIP_1) | instid1(VALU_DEP_1)
	v_add_f32_e32 v2, v3, v0
	v_pk_mul_f32 v[0:1], v[28:29], v[4:5]
	v_add_f32_e32 v3, v0, v1
	v_pk_mul_f32 v[0:1], v[30:31], v[8:9]
	v_pk_mul_f32 v[8:9], v[30:31], v[46:47]
	s_delay_alu instid0(VALU_DEP_2) | instskip(NEXT) | instid1(VALU_DEP_1)
	v_add_f32_e32 v0, v0, v3
	v_add_f32_e32 v0, v1, v0
	s_clause 0x1
	scratch_load_b64 v[4:5], off, s32 offset:2044 th:TH_LOAD_LU
	scratch_load_b32 v1, off, s32 offset:404 th:TH_LOAD_LU
	s_wait_loadcnt 0x0
	v_add_f32_e32 v4, v4, v1
	scratch_load_b32 v1, off, s32 offset:412 th:TH_LOAD_LU ; 4-byte Folded Reload
	s_wait_loadcnt 0x0
	v_add_f32_e32 v5, v5, v1
	s_clause 0x2
	scratch_store_b64 off, v[4:5], s32 offset:2044
	scratch_load_b64 v[4:5], off, s32 offset:2036 th:TH_LOAD_LU
	scratch_load_b32 v1, off, s32 offset:420 th:TH_LOAD_LU
	s_wait_loadcnt 0x0
	v_add_f32_e32 v4, v4, v1
	scratch_load_b32 v1, off, s32 offset:428 th:TH_LOAD_LU ; 4-byte Folded Reload
	s_wait_loadcnt 0x0
	v_add_f32_e32 v5, v5, v1
	s_clause 0x2
	scratch_store_b64 off, v[4:5], s32 offset:2036
	;; [unrolled: 9-line block ×3, first 2 shown]
	scratch_load_b64 v[82:83], off, s32 offset:2276 th:TH_LOAD_LU
	scratch_load_b32 v1, off, s32 offset:452 th:TH_LOAD_LU
	s_wait_loadcnt 0x0
	v_add_f32_e32 v82, v82, v1
	scratch_load_b32 v1, off, s32 offset:460 th:TH_LOAD_LU ; 4-byte Folded Reload
	s_wait_loadcnt 0x0
	v_add_f32_e32 v83, v83, v1
	s_clause 0x1
	scratch_load_b64 v[4:5], off, s32 offset:2020 th:TH_LOAD_LU
	scratch_load_b32 v1, off, s32 offset:468 th:TH_LOAD_LU
	s_wait_loadcnt 0x0
	v_add_f32_e32 v4, v4, v1
	scratch_load_b32 v1, off, s32 offset:476 th:TH_LOAD_LU ; 4-byte Folded Reload
	s_wait_loadcnt 0x0
	v_add_f32_e32 v5, v5, v1
	s_clause 0x2
	scratch_store_b64 off, v[4:5], s32 offset:2020
	scratch_load_b64 v[52:53], off, s32 offset:2260 th:TH_LOAD_LU
	scratch_load_b32 v1, off, s32 offset:236 th:TH_LOAD_LU
	s_wait_loadcnt 0x0
	v_add_f32_e32 v52, v52, v1
	scratch_load_b32 v1, off, s32 offset:228 th:TH_LOAD_LU ; 4-byte Folded Reload
	s_wait_loadcnt 0x0
	v_add_f32_e32 v53, v53, v1
	s_clause 0x1
	scratch_load_b64 v[48:49], off, s32 offset:2244 th:TH_LOAD_LU
	scratch_load_b32 v1, off, s32 offset:244 th:TH_LOAD_LU
	s_wait_loadcnt 0x0
	v_add_f32_e32 v48, v48, v1
	scratch_load_b32 v1, off, s32 offset:252 th:TH_LOAD_LU ; 4-byte Folded Reload
	s_wait_loadcnt 0x0
	v_add_f32_e32 v49, v49, v1
	s_clause 0x1
	;; [unrolled: 8-line block ×4, first 2 shown]
	scratch_load_b64 v[24:25], off, s32 offset:2196 th:TH_LOAD_LU
	scratch_load_b32 v1, off, s32 offset:292 th:TH_LOAD_LU
	scratch_load_b64 v[4:5], off, s32 offset:2012 th:TH_LOAD_LU
	scratch_load_b64 v[86:87], off, s32 offset:2180 th:TH_LOAD_LU
	;; [unrolled: 1-line block ×5, first 2 shown]
	s_wait_loadcnt 0x5
	v_dual_add_f32 v25, v25, v124 :: v_dual_add_f32 v24, v24, v1
	s_wait_loadcnt 0x4
	v_dual_add_f32 v4, v4, v79 :: v_dual_add_f32 v5, v5, v109
	s_wait_loadcnt 0x1
	v_add_f32_e32 v43, v43, v22
	v_add_f32_e32 v42, v42, v26
	s_wait_loadcnt 0x0
	v_add_f32_e32 v119, v119, v6
	s_clause 0x1
	scratch_store_b64 off, v[4:5], s32 offset:2012
	scratch_load_b64 v[4:5], off, s32 offset:2004 th:TH_LOAD_LU
	v_add_f32_e32 v118, v118, v10
	s_wait_loadcnt 0x0
	v_dual_add_f32 v4, v4, v110 :: v_dual_add_f32 v5, v5, v111
	s_clause 0x1
	scratch_store_b64 off, v[4:5], s32 offset:2004
	scratch_load_b64 v[4:5], off, s32 offset:1996 th:TH_LOAD_LU
	s_wait_loadcnt 0x0
	v_dual_add_f32 v4, v4, v106 :: v_dual_add_f32 v5, v5, v104
	s_clause 0x1
	scratch_store_b64 off, v[4:5], s32 offset:1996
	scratch_load_b64 v[4:5], off, s32 offset:1988 th:TH_LOAD_LU
	s_wait_loadcnt 0x0
	v_add_f32_e32 v4, v4, v92
	v_add_f32_e32 v5, v5, v88
	s_clause 0x1
	scratch_store_b64 off, v[4:5], s32 offset:1988
	scratch_load_b64 v[4:5], off, s32 offset:1980 th:TH_LOAD_LU
	v_dual_add_f32 v86, v86, v108 :: v_dual_add_f32 v87, v87, v78
	s_wait_loadcnt 0x0
	v_add_f32_e32 v4, v4, v76
	v_add_f32_e32 v5, v5, v72
	s_clause 0x1
	scratch_store_b64 off, v[4:5], s32 offset:1980
	scratch_load_b64 v[4:5], off, s32 offset:1972 th:TH_LOAD_LU
	v_add_f32_e32 v80, v80, v125
	scratch_load_b64 v[124:125], off, s32 offset:2148 th:TH_LOAD_LU ; 8-byte Folded Reload
	s_wait_loadcnt 0x1
	v_dual_add_f32 v81, v81, v94 :: v_dual_add_f32 v4, v4, v60
	s_wait_loadcnt 0x0
	v_dual_add_f32 v5, v5, v56 :: v_dual_add_f32 v124, v124, v38
	s_clause 0x1
	scratch_store_b64 off, v[4:5], s32 offset:1972
	scratch_load_b64 v[4:5], off, s32 offset:1964 th:TH_LOAD_LU
	s_wait_loadcnt 0x0
	v_add_f32_e32 v4, v4, v44
	v_add_f32_e32 v5, v5, v40
	s_clause 0x2
	scratch_load_b64 v[40:41], off, s32 offset:2116 th:TH_LOAD_LU
	scratch_store_b64 off, v[4:5], s32 offset:1964
	scratch_load_b64 v[4:5], off, s32 offset:1956 th:TH_LOAD_LU
	s_wait_loadcnt 0x1
	v_add_f32_e32 v40, v40, v18
	s_wait_loadcnt 0x0
	v_dual_add_f32 v41, v41, v14 :: v_dual_add_f32 v4, v4, v116
	v_add_f32_e32 v5, v5, v112
	s_clause 0x2
	scratch_load_b64 v[116:117], off, s32 offset:2084 th:TH_LOAD_LU
	scratch_store_b64 off, v[4:5], s32 offset:1956
	scratch_load_b64 v[4:5], off, s32 offset:1948 th:TH_LOAD_LU
	s_wait_loadcnt 0x1
	v_add_f32_e32 v117, v117, v0
	v_pk_mul_f32 v[0:1], v[28:29], v[68:69]
	v_add_f32_e32 v116, v116, v2
	s_wait_loadcnt 0x0
	v_add_f32_e32 v4, v4, v100
	s_delay_alu instid0(VALU_DEP_3)
	v_dual_add_f32 v5, v5, v96 :: v_dual_add_f32 v2, v0, v1
	v_pk_mul_f32 v[0:1], v[28:29], v[64:65]
	s_clause 0x1
	scratch_store_b64 off, v[4:5], s32 offset:1948
	scratch_load_b64 v[4:5], off, s32 offset:1940 th:TH_LOAD_LU
	v_add_f32_e32 v3, v0, v1
	v_pk_mul_f32 v[0:1], v[30:31], v[98:99]
	s_delay_alu instid0(VALU_DEP_2) | instskip(NEXT) | instid1(VALU_DEP_1)
	v_dual_add_f32 v125, v125, v32 :: v_dual_add_f32 v3, v8, v3
	v_dual_add_f32 v0, v0, v2 :: v_dual_add_f32 v3, v9, v3
	s_delay_alu instid0(VALU_DEP_1)
	v_add_f32_e32 v2, v1, v0
	s_wait_loadcnt 0x0
	v_dual_add_f32 v4, v4, v84 :: v_dual_add_f32 v5, v5, v70
	s_clause 0x1
	scratch_store_b64 off, v[4:5], s32 offset:1940
	scratch_load_b64 v[4:5], off, s32 offset:1924 th:TH_LOAD_LU
	s_wait_loadcnt 0x0
	v_add_f32_e32 v4, v4, v66
	v_add_f32_e32 v5, v5, v50
	s_clause 0x4
	scratch_store_b64 off, v[4:5], s32 offset:1924
	scratch_load_b64 v[0:1], off, s32 offset:1772 th:TH_LOAD_LU
	scratch_load_b64 v[6:7], off, s32 offset:1788 th:TH_LOAD_LU
	;; [unrolled: 1-line block ×4, first 2 shown]
	s_wait_xcnt 0x4
	v_pk_mul_f32 v[4:5], v[28:29], v[36:37]
	s_wait_loadcnt 0x2
	s_delay_alu instid0(VALU_DEP_1)
	v_dual_add_f32 v4, v4, v5 :: v_dual_bitop2_b32 v7, v1, v7 bitop3:0x54
	v_or_b32_e32 v6, v0, v6
	scratch_load_b64 v[0:1], off, s32 offset:220 th:TH_LOAD_LU ; 8-byte Folded Reload
	s_wait_loadcnt 0x1
	v_pk_mul_f32 v[8:9], v[16:17], v[8:9]
	v_add_f32_e32 v115, v115, v3
	v_pk_mul_f32 v[6:7], v[16:17], v[6:7]
	s_delay_alu instid0(VALU_DEP_1) | instskip(NEXT) | instid1(VALU_DEP_1)
	v_cndmask_b32_e64 v3, 0, v7, s0
	v_cndmask_b32_e32 v3, v7, v3, vcc_lo
	s_wait_loadcnt 0x0
	v_pk_mul_f32 v[0:1], v[30:31], v[0:1]
	s_delay_alu instid0(VALU_DEP_1) | instskip(NEXT) | instid1(VALU_DEP_1)
	v_dual_add_f32 v0, v0, v4 :: v_dual_cndmask_b32 v4, 0, v6, s1
	v_dual_add_f32 v10, v1, v0 :: v_dual_add_f32 v114, v114, v2
	v_dual_cndmask_b32 v2, 0, v9, s2 :: v_dual_cndmask_b32 v0, 0, v8, s3
	s_delay_alu instid0(VALU_DEP_1)
	v_dual_cndmask_b32 v1, v9, v2 :: v_dual_cndmask_b32 v2, v6, v4
	s_clause 0x1
	scratch_load_b64 v[4:5], off, s32 offset:1644 th:TH_LOAD_LU
	scratch_load_b64 v[6:7], off, s32 offset:1652 th:TH_LOAD_LU
	v_cndmask_b32_e32 v0, v8, v0, vcc_lo
	v_pk_mul_f32 v[2:3], v[28:29], v[2:3]
	s_delay_alu instid0(VALU_DEP_2)
	v_pk_mul_f32 v[0:1], v[30:31], v[0:1]
	s_wait_loadcnt 0x0
	v_or_b32_e32 v5, v5, v7
	v_or_b32_e32 v4, v4, v6
	s_clause 0x2
	scratch_load_b64 v[6:7], off, s32 offset:1676 th:TH_LOAD_LU
	scratch_load_b64 v[12:13], off, s32 offset:1684 th:TH_LOAD_LU
	;; [unrolled: 1-line block ×3, first 2 shown]
	v_pk_mul_f32 v[4:5], v[16:17], v[4:5]
	s_wait_loadcnt 0x0
	v_dual_add_f32 v112, v112, v10 :: v_dual_bitop2_b32 v7, v7, v13 bitop3:0x54
	v_add_f32_e32 v10, v2, v3
	s_clause 0x3
	scratch_load_b64 v[2:3], off, s32 offset:1708 th:TH_LOAD_LU
	scratch_load_b64 v[18:19], off, s32 offset:1716 th:TH_LOAD_LU
	;; [unrolled: 1-line block ×4, first 2 shown]
	v_cndmask_b32_e64 v11, 0, v4, s1
	v_dual_add_f32 v0, v0, v10 :: v_dual_bitop2_b32 v6, v6, v12 bitop3:0x54
	s_delay_alu instid0(VALU_DEP_2) | instskip(NEXT) | instid1(VALU_DEP_2)
	v_dual_cndmask_b32 v12, 0, v5, s0 :: v_dual_cndmask_b32 v4, v4, v11, vcc_lo
	v_add_f32_e32 v0, v1, v0
	s_delay_alu instid0(VALU_DEP_2) | instskip(NEXT) | instid1(VALU_DEP_4)
	v_cndmask_b32_e32 v5, v5, v12, vcc_lo
	v_pk_mul_f32 v[6:7], v[16:17], v[6:7]
	s_delay_alu instid0(VALU_DEP_3) | instskip(NEXT) | instid1(VALU_DEP_3)
	v_add_f32_e32 v113, v113, v0
	v_pk_mul_f32 v[4:5], v[28:29], v[4:5]
	s_delay_alu instid0(VALU_DEP_3) | instskip(NEXT) | instid1(VALU_DEP_2)
	v_dual_cndmask_b32 v13, 0, v6, s3 :: v_dual_cndmask_b32 v14, 0, v7, s2
	v_add_f32_e32 v22, v4, v5
	s_delay_alu instid0(VALU_DEP_2) | instskip(NEXT) | instid1(VALU_DEP_1)
	v_dual_cndmask_b32 v6, v6, v13 :: v_dual_cndmask_b32 v7, v7, v14
	v_pk_mul_f32 v[6:7], v[30:31], v[6:7]
	s_wait_loadcnt 0x2
	v_or_b32_e32 v3, v3, v19
	s_wait_loadcnt 0x0
	v_or_b32_e32 v9, v9, v21
	v_or_b32_e32 v8, v8, v20
	v_or_b32_e32 v2, v2, v18
	s_delay_alu instid0(VALU_DEP_2) | instskip(NEXT) | instid1(VALU_DEP_2)
	v_pk_mul_f32 v[8:9], v[16:17], v[8:9]
	v_pk_mul_f32 v[2:3], v[16:17], v[2:3]
	s_delay_alu instid0(VALU_DEP_1) | instskip(NEXT) | instid1(VALU_DEP_2)
	v_dual_cndmask_b32 v10, 0, v9, s2 :: v_dual_cndmask_b32 v11, 0, v3, s0
	v_dual_cndmask_b32 v12, 0, v2, s1 :: v_dual_cndmask_b32 v14, 0, v8, s3
	s_delay_alu instid0(VALU_DEP_2) | instskip(SKIP_4) | instid1(VALU_DEP_1)
	v_dual_cndmask_b32 v9, v9, v10, vcc_lo :: v_dual_cndmask_b32 v3, v3, v11, vcc_lo
	s_clause 0x1
	scratch_load_b64 v[10:11], off, s32 offset:1764 th:TH_LOAD_LU
	scratch_load_b64 v[18:19], off, s32 offset:1780 th:TH_LOAD_LU
	v_dual_cndmask_b32 v2, v2, v12, vcc_lo :: v_dual_cndmask_b32 v8, v8, v14, vcc_lo
	v_pk_mul_f32 v[8:9], v[30:31], v[8:9]
	s_wait_loadcnt 0x0
	v_or_b32_e32 v11, v11, v19
	v_or_b32_e32 v10, v10, v18
	s_clause 0x1
	scratch_load_b64 v[12:13], off, s32 offset:1812 th:TH_LOAD_LU
	scratch_load_b64 v[18:19], off, s32 offset:1820 th:TH_LOAD_LU
	v_pk_mul_f32 v[10:11], v[16:17], v[10:11]
	s_delay_alu instid0(VALU_DEP_1) | instskip(SKIP_1) | instid1(VALU_DEP_1)
	v_cndmask_b32_e64 v21, 0, v10, s1
	s_wait_loadcnt 0x0
	v_dual_cndmask_b32 v10, v10, v21, vcc_lo :: v_dual_bitop2_b32 v13, v13, v19 bitop3:0x54
	s_delay_alu instid0(VALU_DEP_3) | instskip(NEXT) | instid1(VALU_DEP_1)
	v_dual_cndmask_b32 v19, 0, v11, s0 :: v_dual_bitop2_b32 v12, v12, v18 bitop3:0x54
	v_pk_mul_f32 v[4:5], v[16:17], v[12:13]
	s_clause 0x1
	scratch_load_b64 v[12:13], off, s32 offset:200 th:TH_LOAD_LU
	scratch_load_b64 v[14:15], off, s32 offset:1844 th:TH_LOAD_LU
	v_dual_cndmask_b32 v11, v11, v19, vcc_lo :: v_dual_cndmask_b32 v18, 0, v5, s2
	s_delay_alu instid0(VALU_DEP_1) | instskip(NEXT) | instid1(VALU_DEP_2)
	v_pk_mul_f32 v[10:11], v[28:29], v[10:11]
	v_cndmask_b32_e32 v5, v5, v18, vcc_lo
	s_wait_loadcnt 0x0
	v_or_b32_e32 v13, v13, v15
	v_or_b32_e32 v12, v12, v14
	s_clause 0x4
	scratch_load_b64 v[14:15], off, s32 offset:1908 th:TH_LOAD_LU
	scratch_load_b64 v[26:27], off, s32 offset:2388 th:TH_LOAD_LU
	scratch_load_b32 v38, off, s32 offset:2292 th:TH_LOAD_LU
	scratch_load_b64 v[102:103], off, s32 offset:2060 th:TH_LOAD_LU
	scratch_load_b64 v[100:101], off, s32 offset:2052 th:TH_LOAD_LU
	v_pk_mul_f32 v[12:13], v[16:17], v[12:13]
	s_clause 0x1
	scratch_load_b32 v39, off, s32 offset:2324 th:TH_LOAD_LU
	scratch_load_b32 v64, off, s32 offset:2340 th:TH_LOAD_LU
	v_dual_cndmask_b32 v18, 0, v13, s0 :: v_dual_cndmask_b32 v19, 0, v12, s1
	v_cndmask_b32_e64 v20, 0, v4, s3
	v_pk_mul_f32 v[2:3], v[28:29], v[2:3]
	s_delay_alu instid0(VALU_DEP_3) | instskip(NEXT) | instid1(VALU_DEP_1)
	v_dual_cndmask_b32 v13, v13, v18 :: v_dual_cndmask_b32 v12, v12, v19
	v_pk_mul_f32 v[12:13], v[28:29], v[12:13]
	s_wait_loadcnt 0x5
	v_or_b32_e32 v15, v15, v27
	v_or_b32_e32 v14, v14, v26
	s_wait_loadcnt 0x1
	v_add_nc_u32_e32 v39, 0x80, v39
	s_delay_alu instid0(VALU_DEP_2) | instskip(SKIP_2) | instid1(VALU_DEP_2)
	v_pk_mul_f32 v[14:15], v[16:17], v[14:15]
	s_wait_loadcnt 0x0
	v_add_nc_u32_e32 v64, 0x200, v64
	v_dual_cndmask_b32 v17, 0, v14, s3 :: v_dual_cndmask_b32 v21, 0, v15, s2
	s_delay_alu instid0(VALU_DEP_1) | instskip(NEXT) | instid1(VALU_DEP_2)
	v_dual_cndmask_b32 v4, v4, v20, vcc_lo :: v_dual_cndmask_b32 v14, v14, v17, vcc_lo
	v_dual_cndmask_b32 v15, v15, v21, vcc_lo :: v_dual_add_f32 v17, v2, v3
	s_delay_alu instid0(VALU_DEP_2) | instskip(SKIP_1) | instid1(VALU_DEP_3)
	v_pk_mul_f32 v[2:3], v[30:31], v[4:5]
	v_dual_add_f32 v10, v10, v11 :: v_dual_add_f32 v11, v12, v13
	v_pk_mul_f32 v[4:5], v[30:31], v[14:15]
	s_delay_alu instid0(VALU_DEP_4) | instskip(NEXT) | instid1(VALU_DEP_2)
	v_dual_add_f32 v1, v6, v22 :: v_dual_add_f32 v6, v8, v17
	v_dual_add_f32 v2, v2, v10 :: v_dual_add_f32 v4, v4, v11
	s_delay_alu instid0(VALU_DEP_2) | instskip(SKIP_1) | instid1(VALU_DEP_3)
	v_dual_add_f32 v0, v7, v1 :: v_dual_add_f32 v1, v9, v6
	v_add_nc_u32_e32 v38, 4, v38
	v_dual_add_f32 v2, v3, v2 :: v_dual_add_f32 v3, v5, v4
	s_delay_alu instid0(VALU_DEP_3)
	v_add_f32_e32 v102, v102, v0
	scratch_load_b32 v0, off, s32 offset:208 ; 4-byte Folded Reload
	v_dual_add_f32 v103, v103, v1 :: v_dual_add_f32 v100, v100, v2
	v_add_f32_e32 v101, v101, v3
	s_wait_loadcnt 0x0
	v_cmp_ge_i32_e32 vcc_lo, v38, v0
	scratch_load_b64 v[0:1], off, s32 offset:2308 th:TH_LOAD_LU ; 8-byte Folded Reload
	s_or_b32 s16, vcc_lo, s16
	s_wait_loadcnt 0x0
	v_add_nc_u64_e32 v[0:1], 16, v[0:1]
	s_wait_xcnt 0x0
	s_and_not1_b32 exec_lo, exec_lo, s16
	s_cbranch_execz .LBB232_4134
.LBB232_2089:                           ; =>This Inner Loop Header: Depth=1
	scratch_store_b64 off, v[0:1], s32 offset:2308 ; 8-byte Folded Spill
	flat_load_b32 v0, v[0:1]
	s_clause 0x1
	scratch_load_b64 v[2:3], off, s32 offset:1932
	scratch_load_b64 v[4:5], off, s32 offset:2420
	s_mov_b32 s0, exec_lo
	s_wait_loadcnt_dscnt 0x0
	v_mad_nc_i64_i32 v[2:3], v0, v2, v[4:5]
	scratch_load_b64 v[0:1], off, s32 offset:2452 ; 8-byte Folded Reload
	ds_load_b128 v[4:7], v64
	s_wait_dscnt 0x0
	scratch_store_b128 off, v[4:7], s32 offset:2356 ; 16-byte Folded Spill
	s_wait_xcnt 0x0
	v_mov_b64_e32 v[4:5], 0
	scratch_store_b64 off, v[4:5], s32 offset:676 ; 8-byte Folded Spill
	s_wait_xcnt 0x0
	v_mov_b64_e32 v[4:5], 0
	s_clause 0x1
	scratch_store_b64 off, v[2:3], s32 offset:200
	scratch_store_b64 off, v[4:5], s32 offset:580
	s_wait_loadcnt 0x0
	v_add_nc_u64_e32 v[0:1], v[2:3], v[0:1]
	flat_load_b32 v2, v[0:1]
	s_wait_loadcnt_dscnt 0x0
	v_and_b32_e32 v3, 0xff, v2
	s_wait_xcnt 0x0
	s_delay_alu instid0(VALU_DEP_1)
	v_cmpx_ne_u16_e32 0, v3
	s_cbranch_execz .LBB232_2097
; %bb.2090:                             ;   in Loop: Header=BB232_2089 Depth=1
	v_mov_b64_e32 v[4:5], 0x80000000
	s_mov_b32 s1, exec_lo
	scratch_store_b64 off, v[4:5], s32 offset:580 ; 8-byte Folded Spill
	s_wait_xcnt 0x0
	v_cmpx_ne_u16_e32 0x80, v3
	s_cbranch_execz .LBB232_2096
; %bb.2091:                             ;   in Loop: Header=BB232_2089 Depth=1
	v_mov_b64_e32 v[6:7], 0x7f800001
	v_and_b32_e32 v4, 0x7f, v2
	s_mov_b32 s2, exec_lo
	scratch_store_b64 off, v[6:7], s32 offset:580 ; 8-byte Folded Spill
	s_wait_xcnt 0x0
	v_cmpx_ne_u32_e32 0x7f, v4
	s_cbranch_execz .LBB232_2095
; %bb.2092:                             ;   in Loop: Header=BB232_2089 Depth=1
	scratch_load_b64 v[6:7], off, s32 offset:192 th:TH_LOAD_LU ; 8-byte Folded Reload
	s_wait_loadcnt 0x0
	v_dual_lshrrev_b32 v3, 3, v4 :: v_dual_bitop2_b32 v6, 7, v2 bitop3:0x40
	s_mov_b32 s3, exec_lo
	s_wait_xcnt 0x0
	v_cmpx_gt_u32_e32 8, v4
; %bb.2093:                             ;   in Loop: Header=BB232_2089 Depth=1
	s_delay_alu instid0(VALU_DEP_2) | instskip(NEXT) | instid1(VALU_DEP_1)
	v_clz_i32_u32_e32 v3, v6
	v_min_u32_e32 v3, 32, v3
	s_delay_alu instid0(VALU_DEP_1) | instskip(NEXT) | instid1(VALU_DEP_1)
	v_subrev_nc_u32_e32 v4, 28, v3
	v_lshlrev_b64_e32 v[4:5], v4, v[6:7]
	s_delay_alu instid0(VALU_DEP_1)
	v_dual_sub_nc_u32 v3, 29, v3 :: v_dual_bitop2_b32 v6, 7, v4 bitop3:0x40
; %bb.2094:                             ;   in Loop: Header=BB232_2089 Depth=1
	s_or_b32 exec_lo, exec_lo, s3
	v_lshlrev_b32_e32 v4, 24, v2
	s_delay_alu instid0(VALU_DEP_2) | instskip(NEXT) | instid1(VALU_DEP_3)
	v_lshlrev_b32_e32 v5, 20, v6
	v_lshl_add_u32 v3, v3, 23, 0x3c000000
	s_delay_alu instid0(VALU_DEP_3) | instskip(NEXT) | instid1(VALU_DEP_1)
	v_and_b32_e32 v4, 0x80000000, v4
	v_or3_b32 v6, v5, v4, v3
	v_mov_b32_e32 v3, v7
	s_clause 0x1
	scratch_store_b64 off, v[2:3], s32 offset:192
	scratch_store_b64 off, v[6:7], s32 offset:580
.LBB232_2095:                           ;   in Loop: Header=BB232_2089 Depth=1
	s_wait_xcnt 0x0
	s_or_b32 exec_lo, exec_lo, s2
.LBB232_2096:                           ;   in Loop: Header=BB232_2089 Depth=1
	s_delay_alu instid0(SALU_CYCLE_1)
	s_or_b32 exec_lo, exec_lo, s1
.LBB232_2097:                           ;   in Loop: Header=BB232_2089 Depth=1
	s_delay_alu instid0(SALU_CYCLE_1) | instskip(SKIP_2) | instid1(VALU_DEP_1)
	s_or_b32 exec_lo, exec_lo, s0
	v_lshrrev_b16 v3, 8, v2
	s_mov_b32 s0, exec_lo
	v_cmpx_ne_u16_e32 0, v3
	s_cbranch_execz .LBB232_2105
; %bb.2098:                             ;   in Loop: Header=BB232_2089 Depth=1
	v_mov_b64_e32 v[4:5], 0x8000000000000000
	s_mov_b32 s1, exec_lo
	scratch_store_b64 off, v[4:5], s32 offset:676 ; 8-byte Folded Spill
	s_wait_xcnt 0x0
	v_cmpx_ne_u16_e32 0x80, v3
	s_cbranch_execz .LBB232_2104
; %bb.2099:                             ;   in Loop: Header=BB232_2089 Depth=1
	v_and_b32_e32 v3, 0xffff, v3
	v_mov_b64_e32 v[6:7], 0x7f80000100000000
	s_mov_b32 s2, exec_lo
	s_delay_alu instid0(VALU_DEP_2)
	v_and_b32_e32 v4, 0x7f, v3
	scratch_store_b64 off, v[6:7], s32 offset:676 ; 8-byte Folded Spill
	s_wait_xcnt 0x0
	v_cmpx_ne_u32_e32 0x7f, v4
	s_cbranch_execz .LBB232_2103
; %bb.2100:                             ;   in Loop: Header=BB232_2089 Depth=1
	scratch_load_b64 v[6:7], off, s32 offset:192 th:TH_LOAD_LU ; 8-byte Folded Reload
	s_wait_loadcnt 0x0
	v_dual_lshrrev_b32 v3, 3, v4 :: v_dual_bitop2_b32 v6, 7, v3 bitop3:0x40
	s_mov_b32 s3, exec_lo
	s_wait_xcnt 0x0
	v_cmpx_gt_u32_e32 8, v4
; %bb.2101:                             ;   in Loop: Header=BB232_2089 Depth=1
	s_delay_alu instid0(VALU_DEP_2) | instskip(NEXT) | instid1(VALU_DEP_1)
	v_clz_i32_u32_e32 v3, v6
	v_min_u32_e32 v3, 32, v3
	s_delay_alu instid0(VALU_DEP_1) | instskip(NEXT) | instid1(VALU_DEP_1)
	v_subrev_nc_u32_e32 v4, 28, v3
	v_lshlrev_b64_e32 v[4:5], v4, v[6:7]
	s_delay_alu instid0(VALU_DEP_1)
	v_dual_sub_nc_u32 v3, 29, v3 :: v_dual_bitop2_b32 v6, 7, v4 bitop3:0x40
; %bb.2102:                             ;   in Loop: Header=BB232_2089 Depth=1
	s_or_b32 exec_lo, exec_lo, s3
	v_lshlrev_b32_e32 v4, 16, v2
	s_delay_alu instid0(VALU_DEP_2) | instskip(NEXT) | instid1(VALU_DEP_3)
	v_lshlrev_b32_e32 v5, 20, v6
	v_lshl_add_u32 v3, v3, 23, 0x3c000000
	s_delay_alu instid0(VALU_DEP_3) | instskip(NEXT) | instid1(VALU_DEP_1)
	v_and_b32_e32 v4, 0x80000000, v4
	v_or3_b32 v5, v5, v4, v3
	v_dual_mov_b32 v3, v7 :: v_dual_mov_b32 v4, v7
	s_clause 0x1
	scratch_store_b64 off, v[2:3], s32 offset:192
	scratch_store_b64 off, v[4:5], s32 offset:676
.LBB232_2103:                           ;   in Loop: Header=BB232_2089 Depth=1
	s_wait_xcnt 0x0
	s_or_b32 exec_lo, exec_lo, s2
.LBB232_2104:                           ;   in Loop: Header=BB232_2089 Depth=1
	s_delay_alu instid0(SALU_CYCLE_1)
	s_or_b32 exec_lo, exec_lo, s1
.LBB232_2105:                           ;   in Loop: Header=BB232_2089 Depth=1
	s_delay_alu instid0(SALU_CYCLE_1) | instskip(SKIP_3) | instid1(VALU_DEP_1)
	s_or_b32 exec_lo, exec_lo, s0
	v_mov_b64_e32 v[6:7], 0
	v_lshrrev_b32_e32 v3, 16, v2
	s_mov_b32 s0, exec_lo
	v_and_b32_e32 v4, 0xff, v3
	scratch_store_b64 off, v[6:7], s32 offset:692 ; 8-byte Folded Spill
	s_wait_xcnt 0x0
	v_mov_b64_e32 v[6:7], 0
	scratch_store_b64 off, v[6:7], s32 offset:596 ; 8-byte Folded Spill
	s_wait_xcnt 0x0
	v_cmpx_ne_u16_e32 0, v4
	s_cbranch_execz .LBB232_2113
; %bb.2106:                             ;   in Loop: Header=BB232_2089 Depth=1
	v_mov_b64_e32 v[6:7], 0x80000000
	s_mov_b32 s1, exec_lo
	scratch_store_b64 off, v[6:7], s32 offset:596 ; 8-byte Folded Spill
	s_wait_xcnt 0x0
	v_cmpx_ne_u16_e32 0x80, v4
	s_cbranch_execz .LBB232_2112
; %bb.2107:                             ;   in Loop: Header=BB232_2089 Depth=1
	v_mov_b64_e32 v[6:7], 0x7f800001
	v_bfe_u32 v5, v2, 16, 7
	s_mov_b32 s2, exec_lo
	scratch_store_b64 off, v[6:7], s32 offset:596 ; 8-byte Folded Spill
	s_wait_xcnt 0x0
	v_cmpx_ne_u32_e32 0x7f, v5
	s_cbranch_execz .LBB232_2111
; %bb.2108:                             ;   in Loop: Header=BB232_2089 Depth=1
	scratch_load_b64 v[8:9], off, s32 offset:192 th:TH_LOAD_LU ; 8-byte Folded Reload
	s_wait_loadcnt 0x0
	v_dual_lshrrev_b32 v4, 3, v5 :: v_dual_bitop2_b32 v8, 7, v3 bitop3:0x40
	s_mov_b32 s3, exec_lo
	s_wait_xcnt 0x0
	v_cmpx_gt_u32_e32 8, v5
; %bb.2109:                             ;   in Loop: Header=BB232_2089 Depth=1
	s_delay_alu instid0(VALU_DEP_2) | instskip(NEXT) | instid1(VALU_DEP_1)
	v_clz_i32_u32_e32 v4, v8
	v_min_u32_e32 v4, 32, v4
	s_delay_alu instid0(VALU_DEP_1) | instskip(NEXT) | instid1(VALU_DEP_1)
	v_subrev_nc_u32_e32 v5, 28, v4
	v_lshlrev_b64_e32 v[6:7], v5, v[8:9]
	s_delay_alu instid0(VALU_DEP_1)
	v_dual_sub_nc_u32 v4, 29, v4 :: v_dual_bitop2_b32 v8, 7, v6 bitop3:0x40
; %bb.2110:                             ;   in Loop: Header=BB232_2089 Depth=1
	s_or_b32 exec_lo, exec_lo, s3
	s_delay_alu instid0(VALU_DEP_1) | instskip(NEXT) | instid1(VALU_DEP_2)
	v_dual_lshlrev_b32 v3, 24, v3 :: v_dual_lshlrev_b32 v5, 20, v8
	v_lshl_add_u32 v4, v4, 23, 0x3c000000
	s_delay_alu instid0(VALU_DEP_2) | instskip(NEXT) | instid1(VALU_DEP_1)
	v_and_b32_e32 v3, 0x80000000, v3
	v_or3_b32 v8, v5, v3, v4
	v_mov_b32_e32 v3, v9
	s_clause 0x1
	scratch_store_b64 off, v[2:3], s32 offset:192
	scratch_store_b64 off, v[8:9], s32 offset:596
.LBB232_2111:                           ;   in Loop: Header=BB232_2089 Depth=1
	s_wait_xcnt 0x0
	s_or_b32 exec_lo, exec_lo, s2
.LBB232_2112:                           ;   in Loop: Header=BB232_2089 Depth=1
	s_delay_alu instid0(SALU_CYCLE_1)
	s_or_b32 exec_lo, exec_lo, s1
.LBB232_2113:                           ;   in Loop: Header=BB232_2089 Depth=1
	s_delay_alu instid0(SALU_CYCLE_1) | instskip(NEXT) | instid1(SALU_CYCLE_1)
	s_or_b32 exec_lo, exec_lo, s0
	s_mov_b32 s0, exec_lo
	v_cmpx_lt_u32_e32 0xffffff, v2
	s_cbranch_execz .LBB232_2121
; %bb.2114:                             ;   in Loop: Header=BB232_2089 Depth=1
	v_mov_b64_e32 v[4:5], 0x8000000000000000
	v_lshrrev_b32_e32 v3, 24, v2
	s_mov_b32 s1, exec_lo
	scratch_store_b64 off, v[4:5], s32 offset:692 ; 8-byte Folded Spill
	s_wait_xcnt 0x0
	v_cmpx_ne_u32_e32 0x80, v3
	s_cbranch_execz .LBB232_2120
; %bb.2115:                             ;   in Loop: Header=BB232_2089 Depth=1
	v_mov_b64_e32 v[6:7], 0x7f80000100000000
	v_bfe_u32 v4, v2, 24, 7
	s_mov_b32 s2, exec_lo
	scratch_store_b64 off, v[6:7], s32 offset:692 ; 8-byte Folded Spill
	s_wait_xcnt 0x0
	v_cmpx_ne_u32_e32 0x7f, v4
	s_cbranch_execz .LBB232_2119
; %bb.2116:                             ;   in Loop: Header=BB232_2089 Depth=1
	scratch_load_b64 v[6:7], off, s32 offset:192 th:TH_LOAD_LU ; 8-byte Folded Reload
	s_wait_loadcnt 0x0
	v_dual_lshrrev_b32 v2, 3, v4 :: v_dual_bitop2_b32 v6, 7, v3 bitop3:0x40
	s_mov_b32 s3, exec_lo
	s_wait_xcnt 0x0
	v_cmpx_gt_u32_e32 8, v4
; %bb.2117:                             ;   in Loop: Header=BB232_2089 Depth=1
	s_delay_alu instid0(VALU_DEP_2) | instskip(NEXT) | instid1(VALU_DEP_1)
	v_clz_i32_u32_e32 v2, v6
	v_min_u32_e32 v2, 32, v2
	s_delay_alu instid0(VALU_DEP_1) | instskip(NEXT) | instid1(VALU_DEP_1)
	v_subrev_nc_u32_e32 v4, 28, v2
	v_lshlrev_b64_e32 v[4:5], v4, v[6:7]
	s_delay_alu instid0(VALU_DEP_1)
	v_dual_sub_nc_u32 v2, 29, v2 :: v_dual_bitop2_b32 v6, 7, v4 bitop3:0x40
; %bb.2118:                             ;   in Loop: Header=BB232_2089 Depth=1
	s_or_b32 exec_lo, exec_lo, s3
	s_delay_alu instid0(VALU_DEP_1) | instskip(NEXT) | instid1(VALU_DEP_2)
	v_dual_lshlrev_b32 v3, 24, v3 :: v_dual_lshlrev_b32 v4, 20, v6
	v_lshl_add_u32 v2, v2, 23, 0x3c000000
	s_delay_alu instid0(VALU_DEP_2) | instskip(NEXT) | instid1(VALU_DEP_1)
	v_and_b32_e32 v3, 0x80000000, v3
	v_or3_b32 v5, v4, v3, v2
	v_dual_mov_b32 v3, v7 :: v_dual_mov_b32 v4, v7
	s_clause 0x1
	scratch_store_b64 off, v[2:3], s32 offset:192
	scratch_store_b64 off, v[4:5], s32 offset:692
.LBB232_2119:                           ;   in Loop: Header=BB232_2089 Depth=1
	s_wait_xcnt 0x0
	s_or_b32 exec_lo, exec_lo, s2
.LBB232_2120:                           ;   in Loop: Header=BB232_2089 Depth=1
	s_delay_alu instid0(SALU_CYCLE_1)
	s_or_b32 exec_lo, exec_lo, s1
.LBB232_2121:                           ;   in Loop: Header=BB232_2089 Depth=1
	s_delay_alu instid0(SALU_CYCLE_1)
	s_or_b32 exec_lo, exec_lo, s0
	flat_load_b32 v2, v[0:1] offset:128
	v_mov_b64_e32 v[4:5], 0
	s_mov_b32 s0, exec_lo
	scratch_store_b64 off, v[4:5], s32 offset:700 ; 8-byte Folded Spill
	s_wait_xcnt 0x0
	v_mov_b64_e32 v[4:5], 0
	scratch_store_b64 off, v[4:5], s32 offset:612 ; 8-byte Folded Spill
	s_wait_loadcnt_dscnt 0x0
	v_and_b32_e32 v3, 0xff, v2
	s_wait_xcnt 0x0
	s_delay_alu instid0(VALU_DEP_1)
	v_cmpx_ne_u16_e32 0, v3
	s_cbranch_execz .LBB232_2129
; %bb.2122:                             ;   in Loop: Header=BB232_2089 Depth=1
	v_mov_b64_e32 v[4:5], 0x80000000
	s_mov_b32 s1, exec_lo
	scratch_store_b64 off, v[4:5], s32 offset:612 ; 8-byte Folded Spill
	s_wait_xcnt 0x0
	v_cmpx_ne_u16_e32 0x80, v3
	s_cbranch_execz .LBB232_2128
; %bb.2123:                             ;   in Loop: Header=BB232_2089 Depth=1
	v_mov_b64_e32 v[6:7], 0x7f800001
	v_and_b32_e32 v4, 0x7f, v2
	s_mov_b32 s2, exec_lo
	scratch_store_b64 off, v[6:7], s32 offset:612 ; 8-byte Folded Spill
	s_wait_xcnt 0x0
	v_cmpx_ne_u32_e32 0x7f, v4
	s_cbranch_execz .LBB232_2127
; %bb.2124:                             ;   in Loop: Header=BB232_2089 Depth=1
	scratch_load_b64 v[6:7], off, s32 offset:192 th:TH_LOAD_LU ; 8-byte Folded Reload
	s_wait_loadcnt 0x0
	v_dual_lshrrev_b32 v3, 3, v4 :: v_dual_bitop2_b32 v6, 7, v2 bitop3:0x40
	s_mov_b32 s3, exec_lo
	s_wait_xcnt 0x0
	v_cmpx_gt_u32_e32 8, v4
; %bb.2125:                             ;   in Loop: Header=BB232_2089 Depth=1
	s_delay_alu instid0(VALU_DEP_2) | instskip(NEXT) | instid1(VALU_DEP_1)
	v_clz_i32_u32_e32 v3, v6
	v_min_u32_e32 v3, 32, v3
	s_delay_alu instid0(VALU_DEP_1) | instskip(NEXT) | instid1(VALU_DEP_1)
	v_subrev_nc_u32_e32 v4, 28, v3
	v_lshlrev_b64_e32 v[4:5], v4, v[6:7]
	s_delay_alu instid0(VALU_DEP_1)
	v_dual_sub_nc_u32 v3, 29, v3 :: v_dual_bitop2_b32 v6, 7, v4 bitop3:0x40
; %bb.2126:                             ;   in Loop: Header=BB232_2089 Depth=1
	s_or_b32 exec_lo, exec_lo, s3
	v_lshlrev_b32_e32 v4, 24, v2
	s_delay_alu instid0(VALU_DEP_2) | instskip(NEXT) | instid1(VALU_DEP_3)
	v_lshlrev_b32_e32 v5, 20, v6
	v_lshl_add_u32 v3, v3, 23, 0x3c000000
	s_delay_alu instid0(VALU_DEP_3) | instskip(NEXT) | instid1(VALU_DEP_1)
	v_and_b32_e32 v4, 0x80000000, v4
	v_or3_b32 v6, v5, v4, v3
	v_mov_b32_e32 v3, v7
	s_clause 0x1
	scratch_store_b64 off, v[2:3], s32 offset:192
	scratch_store_b64 off, v[6:7], s32 offset:612
.LBB232_2127:                           ;   in Loop: Header=BB232_2089 Depth=1
	s_wait_xcnt 0x0
	s_or_b32 exec_lo, exec_lo, s2
.LBB232_2128:                           ;   in Loop: Header=BB232_2089 Depth=1
	s_delay_alu instid0(SALU_CYCLE_1)
	s_or_b32 exec_lo, exec_lo, s1
.LBB232_2129:                           ;   in Loop: Header=BB232_2089 Depth=1
	s_delay_alu instid0(SALU_CYCLE_1) | instskip(SKIP_2) | instid1(VALU_DEP_1)
	s_or_b32 exec_lo, exec_lo, s0
	v_lshrrev_b16 v3, 8, v2
	s_mov_b32 s0, exec_lo
	v_cmpx_ne_u16_e32 0, v3
	s_cbranch_execz .LBB232_2137
; %bb.2130:                             ;   in Loop: Header=BB232_2089 Depth=1
	v_mov_b64_e32 v[4:5], 0x8000000000000000
	s_mov_b32 s1, exec_lo
	scratch_store_b64 off, v[4:5], s32 offset:700 ; 8-byte Folded Spill
	s_wait_xcnt 0x0
	v_cmpx_ne_u16_e32 0x80, v3
	s_cbranch_execz .LBB232_2136
; %bb.2131:                             ;   in Loop: Header=BB232_2089 Depth=1
	v_and_b32_e32 v3, 0xffff, v3
	v_mov_b64_e32 v[6:7], 0x7f80000100000000
	s_mov_b32 s2, exec_lo
	s_delay_alu instid0(VALU_DEP_2)
	v_and_b32_e32 v4, 0x7f, v3
	scratch_store_b64 off, v[6:7], s32 offset:700 ; 8-byte Folded Spill
	s_wait_xcnt 0x0
	v_cmpx_ne_u32_e32 0x7f, v4
	s_cbranch_execz .LBB232_2135
; %bb.2132:                             ;   in Loop: Header=BB232_2089 Depth=1
	scratch_load_b64 v[6:7], off, s32 offset:192 th:TH_LOAD_LU ; 8-byte Folded Reload
	s_wait_loadcnt 0x0
	v_dual_lshrrev_b32 v3, 3, v4 :: v_dual_bitop2_b32 v6, 7, v3 bitop3:0x40
	s_mov_b32 s3, exec_lo
	s_wait_xcnt 0x0
	v_cmpx_gt_u32_e32 8, v4
; %bb.2133:                             ;   in Loop: Header=BB232_2089 Depth=1
	s_delay_alu instid0(VALU_DEP_2) | instskip(NEXT) | instid1(VALU_DEP_1)
	v_clz_i32_u32_e32 v3, v6
	v_min_u32_e32 v3, 32, v3
	s_delay_alu instid0(VALU_DEP_1) | instskip(NEXT) | instid1(VALU_DEP_1)
	v_subrev_nc_u32_e32 v4, 28, v3
	v_lshlrev_b64_e32 v[4:5], v4, v[6:7]
	s_delay_alu instid0(VALU_DEP_1)
	v_dual_sub_nc_u32 v3, 29, v3 :: v_dual_bitop2_b32 v6, 7, v4 bitop3:0x40
; %bb.2134:                             ;   in Loop: Header=BB232_2089 Depth=1
	s_or_b32 exec_lo, exec_lo, s3
	v_lshlrev_b32_e32 v4, 16, v2
	s_delay_alu instid0(VALU_DEP_2) | instskip(NEXT) | instid1(VALU_DEP_3)
	v_lshlrev_b32_e32 v5, 20, v6
	v_lshl_add_u32 v3, v3, 23, 0x3c000000
	s_delay_alu instid0(VALU_DEP_3) | instskip(NEXT) | instid1(VALU_DEP_1)
	v_and_b32_e32 v4, 0x80000000, v4
	v_or3_b32 v5, v5, v4, v3
	v_dual_mov_b32 v3, v7 :: v_dual_mov_b32 v4, v7
	s_clause 0x1
	scratch_store_b64 off, v[2:3], s32 offset:192
	scratch_store_b64 off, v[4:5], s32 offset:700
.LBB232_2135:                           ;   in Loop: Header=BB232_2089 Depth=1
	s_wait_xcnt 0x0
	s_or_b32 exec_lo, exec_lo, s2
.LBB232_2136:                           ;   in Loop: Header=BB232_2089 Depth=1
	s_delay_alu instid0(SALU_CYCLE_1)
	s_or_b32 exec_lo, exec_lo, s1
.LBB232_2137:                           ;   in Loop: Header=BB232_2089 Depth=1
	s_delay_alu instid0(SALU_CYCLE_1) | instskip(SKIP_3) | instid1(VALU_DEP_1)
	s_or_b32 exec_lo, exec_lo, s0
	v_mov_b64_e32 v[6:7], 0
	v_lshrrev_b32_e32 v3, 16, v2
	s_mov_b32 s0, exec_lo
	v_and_b32_e32 v4, 0xff, v3
	scratch_store_b64 off, v[6:7], s32 offset:716 ; 8-byte Folded Spill
	s_wait_xcnt 0x0
	v_mov_b64_e32 v[6:7], 0
	scratch_store_b64 off, v[6:7], s32 offset:628 ; 8-byte Folded Spill
	s_wait_xcnt 0x0
	v_cmpx_ne_u16_e32 0, v4
	s_cbranch_execz .LBB232_2145
; %bb.2138:                             ;   in Loop: Header=BB232_2089 Depth=1
	v_mov_b64_e32 v[6:7], 0x80000000
	s_mov_b32 s1, exec_lo
	scratch_store_b64 off, v[6:7], s32 offset:628 ; 8-byte Folded Spill
	s_wait_xcnt 0x0
	v_cmpx_ne_u16_e32 0x80, v4
	s_cbranch_execz .LBB232_2144
; %bb.2139:                             ;   in Loop: Header=BB232_2089 Depth=1
	v_mov_b64_e32 v[6:7], 0x7f800001
	v_bfe_u32 v5, v2, 16, 7
	s_mov_b32 s2, exec_lo
	scratch_store_b64 off, v[6:7], s32 offset:628 ; 8-byte Folded Spill
	s_wait_xcnt 0x0
	v_cmpx_ne_u32_e32 0x7f, v5
	s_cbranch_execz .LBB232_2143
; %bb.2140:                             ;   in Loop: Header=BB232_2089 Depth=1
	scratch_load_b64 v[8:9], off, s32 offset:192 th:TH_LOAD_LU ; 8-byte Folded Reload
	s_wait_loadcnt 0x0
	v_dual_lshrrev_b32 v4, 3, v5 :: v_dual_bitop2_b32 v8, 7, v3 bitop3:0x40
	s_mov_b32 s3, exec_lo
	s_wait_xcnt 0x0
	v_cmpx_gt_u32_e32 8, v5
; %bb.2141:                             ;   in Loop: Header=BB232_2089 Depth=1
	s_delay_alu instid0(VALU_DEP_2) | instskip(NEXT) | instid1(VALU_DEP_1)
	v_clz_i32_u32_e32 v4, v8
	v_min_u32_e32 v4, 32, v4
	s_delay_alu instid0(VALU_DEP_1) | instskip(NEXT) | instid1(VALU_DEP_1)
	v_subrev_nc_u32_e32 v5, 28, v4
	v_lshlrev_b64_e32 v[6:7], v5, v[8:9]
	s_delay_alu instid0(VALU_DEP_1)
	v_dual_sub_nc_u32 v4, 29, v4 :: v_dual_bitop2_b32 v8, 7, v6 bitop3:0x40
; %bb.2142:                             ;   in Loop: Header=BB232_2089 Depth=1
	s_or_b32 exec_lo, exec_lo, s3
	s_delay_alu instid0(VALU_DEP_1) | instskip(NEXT) | instid1(VALU_DEP_2)
	v_dual_lshlrev_b32 v3, 24, v3 :: v_dual_lshlrev_b32 v5, 20, v8
	v_lshl_add_u32 v4, v4, 23, 0x3c000000
	s_delay_alu instid0(VALU_DEP_2) | instskip(NEXT) | instid1(VALU_DEP_1)
	v_and_b32_e32 v3, 0x80000000, v3
	v_or3_b32 v8, v5, v3, v4
	v_mov_b32_e32 v3, v9
	s_clause 0x1
	scratch_store_b64 off, v[2:3], s32 offset:192
	scratch_store_b64 off, v[8:9], s32 offset:628
.LBB232_2143:                           ;   in Loop: Header=BB232_2089 Depth=1
	s_wait_xcnt 0x0
	s_or_b32 exec_lo, exec_lo, s2
.LBB232_2144:                           ;   in Loop: Header=BB232_2089 Depth=1
	s_delay_alu instid0(SALU_CYCLE_1)
	s_or_b32 exec_lo, exec_lo, s1
.LBB232_2145:                           ;   in Loop: Header=BB232_2089 Depth=1
	s_delay_alu instid0(SALU_CYCLE_1) | instskip(NEXT) | instid1(SALU_CYCLE_1)
	s_or_b32 exec_lo, exec_lo, s0
	s_mov_b32 s0, exec_lo
	v_cmpx_lt_u32_e32 0xffffff, v2
	s_cbranch_execz .LBB232_2153
; %bb.2146:                             ;   in Loop: Header=BB232_2089 Depth=1
	v_mov_b64_e32 v[4:5], 0x8000000000000000
	v_lshrrev_b32_e32 v3, 24, v2
	s_mov_b32 s1, exec_lo
	scratch_store_b64 off, v[4:5], s32 offset:716 ; 8-byte Folded Spill
	s_wait_xcnt 0x0
	v_cmpx_ne_u32_e32 0x80, v3
	s_cbranch_execz .LBB232_2152
; %bb.2147:                             ;   in Loop: Header=BB232_2089 Depth=1
	v_mov_b64_e32 v[6:7], 0x7f80000100000000
	v_bfe_u32 v4, v2, 24, 7
	s_mov_b32 s2, exec_lo
	scratch_store_b64 off, v[6:7], s32 offset:716 ; 8-byte Folded Spill
	s_wait_xcnt 0x0
	v_cmpx_ne_u32_e32 0x7f, v4
	s_cbranch_execz .LBB232_2151
; %bb.2148:                             ;   in Loop: Header=BB232_2089 Depth=1
	scratch_load_b64 v[6:7], off, s32 offset:192 th:TH_LOAD_LU ; 8-byte Folded Reload
	s_wait_loadcnt 0x0
	v_dual_lshrrev_b32 v2, 3, v4 :: v_dual_bitop2_b32 v6, 7, v3 bitop3:0x40
	s_mov_b32 s3, exec_lo
	s_wait_xcnt 0x0
	v_cmpx_gt_u32_e32 8, v4
; %bb.2149:                             ;   in Loop: Header=BB232_2089 Depth=1
	s_delay_alu instid0(VALU_DEP_2) | instskip(NEXT) | instid1(VALU_DEP_1)
	v_clz_i32_u32_e32 v2, v6
	v_min_u32_e32 v2, 32, v2
	s_delay_alu instid0(VALU_DEP_1) | instskip(NEXT) | instid1(VALU_DEP_1)
	v_subrev_nc_u32_e32 v4, 28, v2
	v_lshlrev_b64_e32 v[4:5], v4, v[6:7]
	s_delay_alu instid0(VALU_DEP_1)
	v_dual_sub_nc_u32 v2, 29, v2 :: v_dual_bitop2_b32 v6, 7, v4 bitop3:0x40
; %bb.2150:                             ;   in Loop: Header=BB232_2089 Depth=1
	s_or_b32 exec_lo, exec_lo, s3
	s_delay_alu instid0(VALU_DEP_1) | instskip(NEXT) | instid1(VALU_DEP_2)
	v_dual_lshlrev_b32 v3, 24, v3 :: v_dual_lshlrev_b32 v4, 20, v6
	v_lshl_add_u32 v2, v2, 23, 0x3c000000
	s_delay_alu instid0(VALU_DEP_2) | instskip(NEXT) | instid1(VALU_DEP_1)
	v_and_b32_e32 v3, 0x80000000, v3
	v_or3_b32 v5, v4, v3, v2
	v_dual_mov_b32 v3, v7 :: v_dual_mov_b32 v4, v7
	s_clause 0x1
	scratch_store_b64 off, v[2:3], s32 offset:192
	scratch_store_b64 off, v[4:5], s32 offset:716
.LBB232_2151:                           ;   in Loop: Header=BB232_2089 Depth=1
	s_wait_xcnt 0x0
	s_or_b32 exec_lo, exec_lo, s2
.LBB232_2152:                           ;   in Loop: Header=BB232_2089 Depth=1
	s_delay_alu instid0(SALU_CYCLE_1)
	s_or_b32 exec_lo, exec_lo, s1
.LBB232_2153:                           ;   in Loop: Header=BB232_2089 Depth=1
	s_delay_alu instid0(SALU_CYCLE_1)
	s_or_b32 exec_lo, exec_lo, s0
	flat_load_b32 v2, v[0:1] offset:256
	s_clause 0x1
	scratch_load_b32 v3, off, s32 offset:208
	scratch_load_b64 v[6:7], off, s32 offset:2436
	v_dual_add_nc_u32 v4, 1, v39 :: v_dual_bitop2_b32 v5, 3, v39 bitop3:0x54
	s_mov_b32 s17, exec_lo
	s_wait_loadcnt 0x0
	v_dual_add_nc_u32 v3, -1, v3 :: v_dual_mov_b32 v9, v7
	scratch_load_b64 v[6:7], off, s32 offset:1916 ; 8-byte Folded Reload
	v_cmp_eq_u32_e32 vcc_lo, v3, v38
	v_cmp_lt_i32_e64 s0, v4, v9
	v_cmp_lt_i32_e64 s2, v5, v9
	v_mov_b64_e32 v[8:9], 0
	v_or_b32_e32 v4, 2, v39
	s_wait_dscnt 0x0
	v_and_b32_e32 v3, 0xff, v2
	scratch_store_b64 off, v[8:9], s32 offset:732 ; 8-byte Folded Spill
	s_wait_xcnt 0x0
	v_mov_b64_e32 v[8:9], 0
	scratch_store_b64 off, v[8:9], s32 offset:636 ; 8-byte Folded Spill
	s_wait_loadcnt 0x0
	v_cmp_lt_i32_e64 s1, v39, v6
	v_cmp_lt_i32_e64 s3, v4, v6
	s_wait_xcnt 0x0
	v_cmpx_ne_u16_e32 0, v3
	s_cbranch_execz .LBB232_2161
; %bb.2154:                             ;   in Loop: Header=BB232_2089 Depth=1
	v_mov_b64_e32 v[4:5], 0x80000000
	s_mov_b32 s18, exec_lo
	scratch_store_b64 off, v[4:5], s32 offset:636 ; 8-byte Folded Spill
	s_wait_xcnt 0x0
	v_cmpx_ne_u16_e32 0x80, v3
	s_cbranch_execz .LBB232_2160
; %bb.2155:                             ;   in Loop: Header=BB232_2089 Depth=1
	v_mov_b64_e32 v[6:7], 0x7f800001
	v_and_b32_e32 v4, 0x7f, v2
	s_mov_b32 s19, exec_lo
	scratch_store_b64 off, v[6:7], s32 offset:636 ; 8-byte Folded Spill
	s_wait_xcnt 0x0
	v_cmpx_ne_u32_e32 0x7f, v4
	s_cbranch_execz .LBB232_2159
; %bb.2156:                             ;   in Loop: Header=BB232_2089 Depth=1
	scratch_load_b64 v[6:7], off, s32 offset:192 th:TH_LOAD_LU ; 8-byte Folded Reload
	s_wait_loadcnt 0x0
	v_dual_lshrrev_b32 v3, 3, v4 :: v_dual_bitop2_b32 v6, 7, v2 bitop3:0x40
	s_mov_b32 s20, exec_lo
	s_wait_xcnt 0x0
	v_cmpx_gt_u32_e32 8, v4
; %bb.2157:                             ;   in Loop: Header=BB232_2089 Depth=1
	s_delay_alu instid0(VALU_DEP_2) | instskip(NEXT) | instid1(VALU_DEP_1)
	v_clz_i32_u32_e32 v3, v6
	v_min_u32_e32 v3, 32, v3
	s_delay_alu instid0(VALU_DEP_1) | instskip(NEXT) | instid1(VALU_DEP_1)
	v_subrev_nc_u32_e32 v4, 28, v3
	v_lshlrev_b64_e32 v[4:5], v4, v[6:7]
	s_delay_alu instid0(VALU_DEP_1)
	v_dual_sub_nc_u32 v3, 29, v3 :: v_dual_bitop2_b32 v6, 7, v4 bitop3:0x40
; %bb.2158:                             ;   in Loop: Header=BB232_2089 Depth=1
	s_or_b32 exec_lo, exec_lo, s20
	v_lshlrev_b32_e32 v4, 24, v2
	s_delay_alu instid0(VALU_DEP_2) | instskip(NEXT) | instid1(VALU_DEP_3)
	v_lshlrev_b32_e32 v5, 20, v6
	v_lshl_add_u32 v3, v3, 23, 0x3c000000
	s_delay_alu instid0(VALU_DEP_3) | instskip(NEXT) | instid1(VALU_DEP_1)
	v_and_b32_e32 v4, 0x80000000, v4
	v_or3_b32 v6, v5, v4, v3
	v_mov_b32_e32 v3, v7
	s_clause 0x1
	scratch_store_b64 off, v[2:3], s32 offset:192
	scratch_store_b64 off, v[6:7], s32 offset:636
.LBB232_2159:                           ;   in Loop: Header=BB232_2089 Depth=1
	s_wait_xcnt 0x0
	s_or_b32 exec_lo, exec_lo, s19
.LBB232_2160:                           ;   in Loop: Header=BB232_2089 Depth=1
	s_delay_alu instid0(SALU_CYCLE_1)
	s_or_b32 exec_lo, exec_lo, s18
.LBB232_2161:                           ;   in Loop: Header=BB232_2089 Depth=1
	s_delay_alu instid0(SALU_CYCLE_1) | instskip(SKIP_2) | instid1(VALU_DEP_1)
	s_or_b32 exec_lo, exec_lo, s17
	v_lshrrev_b16 v3, 8, v2
	s_mov_b32 s17, exec_lo
	v_cmpx_ne_u16_e32 0, v3
	s_cbranch_execz .LBB232_2169
; %bb.2162:                             ;   in Loop: Header=BB232_2089 Depth=1
	v_mov_b64_e32 v[4:5], 0x8000000000000000
	s_mov_b32 s18, exec_lo
	scratch_store_b64 off, v[4:5], s32 offset:732 ; 8-byte Folded Spill
	s_wait_xcnt 0x0
	v_cmpx_ne_u16_e32 0x80, v3
	s_cbranch_execz .LBB232_2168
; %bb.2163:                             ;   in Loop: Header=BB232_2089 Depth=1
	v_and_b32_e32 v3, 0xffff, v3
	v_mov_b64_e32 v[6:7], 0x7f80000100000000
	s_mov_b32 s19, exec_lo
	s_delay_alu instid0(VALU_DEP_2)
	v_and_b32_e32 v4, 0x7f, v3
	scratch_store_b64 off, v[6:7], s32 offset:732 ; 8-byte Folded Spill
	s_wait_xcnt 0x0
	v_cmpx_ne_u32_e32 0x7f, v4
	s_cbranch_execz .LBB232_2167
; %bb.2164:                             ;   in Loop: Header=BB232_2089 Depth=1
	scratch_load_b64 v[6:7], off, s32 offset:192 th:TH_LOAD_LU ; 8-byte Folded Reload
	s_wait_loadcnt 0x0
	v_dual_lshrrev_b32 v3, 3, v4 :: v_dual_bitop2_b32 v6, 7, v3 bitop3:0x40
	s_mov_b32 s20, exec_lo
	s_wait_xcnt 0x0
	v_cmpx_gt_u32_e32 8, v4
; %bb.2165:                             ;   in Loop: Header=BB232_2089 Depth=1
	s_delay_alu instid0(VALU_DEP_2) | instskip(NEXT) | instid1(VALU_DEP_1)
	v_clz_i32_u32_e32 v3, v6
	v_min_u32_e32 v3, 32, v3
	s_delay_alu instid0(VALU_DEP_1) | instskip(NEXT) | instid1(VALU_DEP_1)
	v_subrev_nc_u32_e32 v4, 28, v3
	v_lshlrev_b64_e32 v[4:5], v4, v[6:7]
	s_delay_alu instid0(VALU_DEP_1)
	v_dual_sub_nc_u32 v3, 29, v3 :: v_dual_bitop2_b32 v6, 7, v4 bitop3:0x40
; %bb.2166:                             ;   in Loop: Header=BB232_2089 Depth=1
	s_or_b32 exec_lo, exec_lo, s20
	v_lshlrev_b32_e32 v4, 16, v2
	s_delay_alu instid0(VALU_DEP_2) | instskip(NEXT) | instid1(VALU_DEP_3)
	v_lshlrev_b32_e32 v5, 20, v6
	v_lshl_add_u32 v3, v3, 23, 0x3c000000
	s_delay_alu instid0(VALU_DEP_3) | instskip(NEXT) | instid1(VALU_DEP_1)
	v_and_b32_e32 v4, 0x80000000, v4
	v_or3_b32 v5, v5, v4, v3
	v_dual_mov_b32 v3, v7 :: v_dual_mov_b32 v4, v7
	s_clause 0x1
	scratch_store_b64 off, v[2:3], s32 offset:192
	scratch_store_b64 off, v[4:5], s32 offset:732
.LBB232_2167:                           ;   in Loop: Header=BB232_2089 Depth=1
	s_wait_xcnt 0x0
	s_or_b32 exec_lo, exec_lo, s19
.LBB232_2168:                           ;   in Loop: Header=BB232_2089 Depth=1
	s_delay_alu instid0(SALU_CYCLE_1)
	s_or_b32 exec_lo, exec_lo, s18
.LBB232_2169:                           ;   in Loop: Header=BB232_2089 Depth=1
	s_delay_alu instid0(SALU_CYCLE_1) | instskip(SKIP_3) | instid1(VALU_DEP_1)
	s_or_b32 exec_lo, exec_lo, s17
	v_mov_b64_e32 v[6:7], 0
	v_lshrrev_b32_e32 v3, 16, v2
	s_mov_b32 s17, exec_lo
	v_and_b32_e32 v4, 0xff, v3
	scratch_store_b64 off, v[6:7], s32 offset:748 ; 8-byte Folded Spill
	s_wait_xcnt 0x0
	v_mov_b64_e32 v[6:7], 0
	scratch_store_b64 off, v[6:7], s32 offset:644 ; 8-byte Folded Spill
	s_wait_xcnt 0x0
	v_cmpx_ne_u16_e32 0, v4
	s_cbranch_execz .LBB232_2177
; %bb.2170:                             ;   in Loop: Header=BB232_2089 Depth=1
	v_cmp_ne_u16_e64 s4, 0x80, v4
	v_mov_b64_e32 v[4:5], 0x80000000
	scratch_store_b64 off, v[4:5], s32 offset:644 ; 8-byte Folded Spill
	s_wait_xcnt 0x0
	s_and_saveexec_b32 s18, s4
	s_cbranch_execz .LBB232_2176
; %bb.2171:                             ;   in Loop: Header=BB232_2089 Depth=1
	v_mov_b64_e32 v[6:7], 0x7f800001
	v_bfe_u32 v5, v2, 16, 7
	s_mov_b32 s19, exec_lo
	scratch_store_b64 off, v[6:7], s32 offset:644 ; 8-byte Folded Spill
	s_wait_xcnt 0x0
	v_cmpx_ne_u32_e32 0x7f, v5
	s_cbranch_execz .LBB232_2175
; %bb.2172:                             ;   in Loop: Header=BB232_2089 Depth=1
	scratch_load_b64 v[8:9], off, s32 offset:192 th:TH_LOAD_LU ; 8-byte Folded Reload
	s_wait_loadcnt 0x0
	v_dual_lshrrev_b32 v4, 3, v5 :: v_dual_bitop2_b32 v8, 7, v3 bitop3:0x40
	s_mov_b32 s20, exec_lo
	s_wait_xcnt 0x0
	v_cmpx_gt_u32_e32 8, v5
; %bb.2173:                             ;   in Loop: Header=BB232_2089 Depth=1
	s_delay_alu instid0(VALU_DEP_2) | instskip(NEXT) | instid1(VALU_DEP_1)
	v_clz_i32_u32_e32 v4, v8
	v_min_u32_e32 v4, 32, v4
	s_delay_alu instid0(VALU_DEP_1) | instskip(NEXT) | instid1(VALU_DEP_1)
	v_subrev_nc_u32_e32 v5, 28, v4
	v_lshlrev_b64_e32 v[6:7], v5, v[8:9]
	s_delay_alu instid0(VALU_DEP_1)
	v_dual_sub_nc_u32 v4, 29, v4 :: v_dual_bitop2_b32 v8, 7, v6 bitop3:0x40
; %bb.2174:                             ;   in Loop: Header=BB232_2089 Depth=1
	s_or_b32 exec_lo, exec_lo, s20
	s_delay_alu instid0(VALU_DEP_1) | instskip(NEXT) | instid1(VALU_DEP_2)
	v_dual_lshlrev_b32 v3, 24, v3 :: v_dual_lshlrev_b32 v5, 20, v8
	v_lshl_add_u32 v4, v4, 23, 0x3c000000
	s_delay_alu instid0(VALU_DEP_2) | instskip(NEXT) | instid1(VALU_DEP_1)
	v_and_b32_e32 v3, 0x80000000, v3
	v_or3_b32 v8, v5, v3, v4
	v_mov_b32_e32 v3, v9
	s_clause 0x1
	scratch_store_b64 off, v[2:3], s32 offset:192
	scratch_store_b64 off, v[8:9], s32 offset:644
.LBB232_2175:                           ;   in Loop: Header=BB232_2089 Depth=1
	s_wait_xcnt 0x0
	s_or_b32 exec_lo, exec_lo, s19
.LBB232_2176:                           ;   in Loop: Header=BB232_2089 Depth=1
	s_delay_alu instid0(SALU_CYCLE_1)
	s_or_b32 exec_lo, exec_lo, s18
.LBB232_2177:                           ;   in Loop: Header=BB232_2089 Depth=1
	s_delay_alu instid0(SALU_CYCLE_1) | instskip(NEXT) | instid1(SALU_CYCLE_1)
	s_or_b32 exec_lo, exec_lo, s17
	s_mov_b32 s17, exec_lo
	v_cmpx_lt_u32_e32 0xffffff, v2
	s_cbranch_execz .LBB232_2185
; %bb.2178:                             ;   in Loop: Header=BB232_2089 Depth=1
	v_mov_b64_e32 v[4:5], 0x8000000000000000
	v_lshrrev_b32_e32 v3, 24, v2
	s_mov_b32 s18, exec_lo
	scratch_store_b64 off, v[4:5], s32 offset:748 ; 8-byte Folded Spill
	s_wait_xcnt 0x0
	v_cmpx_ne_u32_e32 0x80, v3
	s_cbranch_execz .LBB232_2184
; %bb.2179:                             ;   in Loop: Header=BB232_2089 Depth=1
	v_mov_b64_e32 v[6:7], 0x7f80000100000000
	v_bfe_u32 v4, v2, 24, 7
	s_mov_b32 s19, exec_lo
	scratch_store_b64 off, v[6:7], s32 offset:748 ; 8-byte Folded Spill
	s_wait_xcnt 0x0
	v_cmpx_ne_u32_e32 0x7f, v4
	s_cbranch_execz .LBB232_2183
; %bb.2180:                             ;   in Loop: Header=BB232_2089 Depth=1
	scratch_load_b64 v[6:7], off, s32 offset:192 th:TH_LOAD_LU ; 8-byte Folded Reload
	s_wait_loadcnt 0x0
	v_dual_lshrrev_b32 v2, 3, v4 :: v_dual_bitop2_b32 v6, 7, v3 bitop3:0x40
	s_mov_b32 s20, exec_lo
	s_wait_xcnt 0x0
	v_cmpx_gt_u32_e32 8, v4
; %bb.2181:                             ;   in Loop: Header=BB232_2089 Depth=1
	s_delay_alu instid0(VALU_DEP_2) | instskip(NEXT) | instid1(VALU_DEP_1)
	v_clz_i32_u32_e32 v2, v6
	v_min_u32_e32 v2, 32, v2
	s_delay_alu instid0(VALU_DEP_1) | instskip(NEXT) | instid1(VALU_DEP_1)
	v_subrev_nc_u32_e32 v4, 28, v2
	v_lshlrev_b64_e32 v[4:5], v4, v[6:7]
	s_delay_alu instid0(VALU_DEP_1)
	v_dual_sub_nc_u32 v2, 29, v2 :: v_dual_bitop2_b32 v6, 7, v4 bitop3:0x40
; %bb.2182:                             ;   in Loop: Header=BB232_2089 Depth=1
	s_or_b32 exec_lo, exec_lo, s20
	s_delay_alu instid0(VALU_DEP_1) | instskip(NEXT) | instid1(VALU_DEP_2)
	v_dual_lshlrev_b32 v3, 24, v3 :: v_dual_lshlrev_b32 v4, 20, v6
	v_lshl_add_u32 v2, v2, 23, 0x3c000000
	s_delay_alu instid0(VALU_DEP_2) | instskip(NEXT) | instid1(VALU_DEP_1)
	v_and_b32_e32 v3, 0x80000000, v3
	v_or3_b32 v5, v4, v3, v2
	v_dual_mov_b32 v3, v7 :: v_dual_mov_b32 v4, v7
	s_clause 0x1
	scratch_store_b64 off, v[2:3], s32 offset:192
	scratch_store_b64 off, v[4:5], s32 offset:748
.LBB232_2183:                           ;   in Loop: Header=BB232_2089 Depth=1
	s_wait_xcnt 0x0
	s_or_b32 exec_lo, exec_lo, s19
.LBB232_2184:                           ;   in Loop: Header=BB232_2089 Depth=1
	s_delay_alu instid0(SALU_CYCLE_1)
	s_or_b32 exec_lo, exec_lo, s18
.LBB232_2185:                           ;   in Loop: Header=BB232_2089 Depth=1
	s_delay_alu instid0(SALU_CYCLE_1)
	s_or_b32 exec_lo, exec_lo, s17
	flat_load_b32 v2, v[0:1] offset:384
	v_mov_b64_e32 v[4:5], 0
	s_mov_b32 s17, exec_lo
	scratch_store_b64 off, v[4:5], s32 offset:764 ; 8-byte Folded Spill
	s_wait_xcnt 0x0
	v_mov_b64_e32 v[4:5], 0
	scratch_store_b64 off, v[4:5], s32 offset:652 ; 8-byte Folded Spill
	s_wait_loadcnt_dscnt 0x0
	v_and_b32_e32 v3, 0xff, v2
	s_wait_xcnt 0x0
	s_delay_alu instid0(VALU_DEP_1)
	v_cmpx_ne_u16_e32 0, v3
	s_cbranch_execz .LBB232_2193
; %bb.2186:                             ;   in Loop: Header=BB232_2089 Depth=1
	v_mov_b64_e32 v[4:5], 0x80000000
	s_mov_b32 s18, exec_lo
	scratch_store_b64 off, v[4:5], s32 offset:652 ; 8-byte Folded Spill
	s_wait_xcnt 0x0
	v_cmpx_ne_u16_e32 0x80, v3
	s_cbranch_execz .LBB232_2192
; %bb.2187:                             ;   in Loop: Header=BB232_2089 Depth=1
	v_mov_b64_e32 v[6:7], 0x7f800001
	v_and_b32_e32 v4, 0x7f, v2
	s_mov_b32 s19, exec_lo
	scratch_store_b64 off, v[6:7], s32 offset:652 ; 8-byte Folded Spill
	s_wait_xcnt 0x0
	v_cmpx_ne_u32_e32 0x7f, v4
	s_cbranch_execz .LBB232_2191
; %bb.2188:                             ;   in Loop: Header=BB232_2089 Depth=1
	scratch_load_b64 v[6:7], off, s32 offset:192 th:TH_LOAD_LU ; 8-byte Folded Reload
	s_wait_loadcnt 0x0
	v_dual_lshrrev_b32 v3, 3, v4 :: v_dual_bitop2_b32 v6, 7, v2 bitop3:0x40
	s_mov_b32 s20, exec_lo
	s_wait_xcnt 0x0
	v_cmpx_gt_u32_e32 8, v4
; %bb.2189:                             ;   in Loop: Header=BB232_2089 Depth=1
	s_delay_alu instid0(VALU_DEP_2) | instskip(NEXT) | instid1(VALU_DEP_1)
	v_clz_i32_u32_e32 v3, v6
	v_min_u32_e32 v3, 32, v3
	s_delay_alu instid0(VALU_DEP_1) | instskip(NEXT) | instid1(VALU_DEP_1)
	v_subrev_nc_u32_e32 v4, 28, v3
	v_lshlrev_b64_e32 v[4:5], v4, v[6:7]
	s_delay_alu instid0(VALU_DEP_1)
	v_dual_sub_nc_u32 v3, 29, v3 :: v_dual_bitop2_b32 v6, 7, v4 bitop3:0x40
; %bb.2190:                             ;   in Loop: Header=BB232_2089 Depth=1
	s_or_b32 exec_lo, exec_lo, s20
	v_lshlrev_b32_e32 v4, 24, v2
	s_delay_alu instid0(VALU_DEP_2) | instskip(NEXT) | instid1(VALU_DEP_3)
	v_lshlrev_b32_e32 v5, 20, v6
	v_lshl_add_u32 v3, v3, 23, 0x3c000000
	s_delay_alu instid0(VALU_DEP_3) | instskip(NEXT) | instid1(VALU_DEP_1)
	v_and_b32_e32 v4, 0x80000000, v4
	v_or3_b32 v6, v5, v4, v3
	v_mov_b32_e32 v3, v7
	s_clause 0x1
	scratch_store_b64 off, v[2:3], s32 offset:192
	scratch_store_b64 off, v[6:7], s32 offset:652
.LBB232_2191:                           ;   in Loop: Header=BB232_2089 Depth=1
	s_wait_xcnt 0x0
	s_or_b32 exec_lo, exec_lo, s19
.LBB232_2192:                           ;   in Loop: Header=BB232_2089 Depth=1
	s_delay_alu instid0(SALU_CYCLE_1)
	s_or_b32 exec_lo, exec_lo, s18
.LBB232_2193:                           ;   in Loop: Header=BB232_2089 Depth=1
	s_delay_alu instid0(SALU_CYCLE_1) | instskip(SKIP_2) | instid1(VALU_DEP_1)
	s_or_b32 exec_lo, exec_lo, s17
	v_lshrrev_b16 v3, 8, v2
	s_mov_b32 s17, exec_lo
	v_cmpx_ne_u16_e32 0, v3
	s_cbranch_execz .LBB232_2201
; %bb.2194:                             ;   in Loop: Header=BB232_2089 Depth=1
	v_mov_b64_e32 v[4:5], 0x8000000000000000
	s_mov_b32 s18, exec_lo
	scratch_store_b64 off, v[4:5], s32 offset:764 ; 8-byte Folded Spill
	s_wait_xcnt 0x0
	v_cmpx_ne_u16_e32 0x80, v3
	s_cbranch_execz .LBB232_2200
; %bb.2195:                             ;   in Loop: Header=BB232_2089 Depth=1
	v_and_b32_e32 v3, 0xffff, v3
	v_mov_b64_e32 v[6:7], 0x7f80000100000000
	s_mov_b32 s19, exec_lo
	s_delay_alu instid0(VALU_DEP_2)
	v_and_b32_e32 v4, 0x7f, v3
	scratch_store_b64 off, v[6:7], s32 offset:764 ; 8-byte Folded Spill
	s_wait_xcnt 0x0
	v_cmpx_ne_u32_e32 0x7f, v4
	s_cbranch_execz .LBB232_2199
; %bb.2196:                             ;   in Loop: Header=BB232_2089 Depth=1
	scratch_load_b64 v[6:7], off, s32 offset:192 th:TH_LOAD_LU ; 8-byte Folded Reload
	s_wait_loadcnt 0x0
	v_dual_lshrrev_b32 v3, 3, v4 :: v_dual_bitop2_b32 v6, 7, v3 bitop3:0x40
	s_mov_b32 s20, exec_lo
	s_wait_xcnt 0x0
	v_cmpx_gt_u32_e32 8, v4
; %bb.2197:                             ;   in Loop: Header=BB232_2089 Depth=1
	s_delay_alu instid0(VALU_DEP_2) | instskip(NEXT) | instid1(VALU_DEP_1)
	v_clz_i32_u32_e32 v3, v6
	v_min_u32_e32 v3, 32, v3
	s_delay_alu instid0(VALU_DEP_1) | instskip(NEXT) | instid1(VALU_DEP_1)
	v_subrev_nc_u32_e32 v4, 28, v3
	v_lshlrev_b64_e32 v[4:5], v4, v[6:7]
	s_delay_alu instid0(VALU_DEP_1)
	v_dual_sub_nc_u32 v3, 29, v3 :: v_dual_bitop2_b32 v6, 7, v4 bitop3:0x40
; %bb.2198:                             ;   in Loop: Header=BB232_2089 Depth=1
	s_or_b32 exec_lo, exec_lo, s20
	v_lshlrev_b32_e32 v4, 16, v2
	s_delay_alu instid0(VALU_DEP_2) | instskip(NEXT) | instid1(VALU_DEP_3)
	v_lshlrev_b32_e32 v5, 20, v6
	v_lshl_add_u32 v3, v3, 23, 0x3c000000
	s_delay_alu instid0(VALU_DEP_3) | instskip(NEXT) | instid1(VALU_DEP_1)
	v_and_b32_e32 v4, 0x80000000, v4
	v_or3_b32 v5, v5, v4, v3
	v_dual_mov_b32 v3, v7 :: v_dual_mov_b32 v4, v7
	s_clause 0x1
	scratch_store_b64 off, v[2:3], s32 offset:192
	scratch_store_b64 off, v[4:5], s32 offset:764
.LBB232_2199:                           ;   in Loop: Header=BB232_2089 Depth=1
	s_wait_xcnt 0x0
	s_or_b32 exec_lo, exec_lo, s19
.LBB232_2200:                           ;   in Loop: Header=BB232_2089 Depth=1
	s_delay_alu instid0(SALU_CYCLE_1)
	s_or_b32 exec_lo, exec_lo, s18
.LBB232_2201:                           ;   in Loop: Header=BB232_2089 Depth=1
	s_delay_alu instid0(SALU_CYCLE_1) | instskip(SKIP_3) | instid1(VALU_DEP_1)
	s_or_b32 exec_lo, exec_lo, s17
	v_mov_b64_e32 v[6:7], 0
	v_lshrrev_b32_e32 v3, 16, v2
	s_mov_b32 s17, exec_lo
	v_and_b32_e32 v4, 0xff, v3
	scratch_store_b64 off, v[6:7], s32 offset:772 ; 8-byte Folded Spill
	s_wait_xcnt 0x0
	v_mov_b64_e32 v[6:7], 0
	scratch_store_b64 off, v[6:7], s32 offset:668 ; 8-byte Folded Spill
	s_wait_xcnt 0x0
	v_cmpx_ne_u16_e32 0, v4
	s_cbranch_execz .LBB232_2209
; %bb.2202:                             ;   in Loop: Header=BB232_2089 Depth=1
	v_cmp_ne_u16_e64 s4, 0x80, v4
	v_mov_b64_e32 v[4:5], 0x80000000
	scratch_store_b64 off, v[4:5], s32 offset:668 ; 8-byte Folded Spill
	s_wait_xcnt 0x0
	s_and_saveexec_b32 s18, s4
	s_cbranch_execz .LBB232_2208
; %bb.2203:                             ;   in Loop: Header=BB232_2089 Depth=1
	v_mov_b64_e32 v[6:7], 0x7f800001
	v_bfe_u32 v5, v2, 16, 7
	s_mov_b32 s19, exec_lo
	scratch_store_b64 off, v[6:7], s32 offset:668 ; 8-byte Folded Spill
	s_wait_xcnt 0x0
	v_cmpx_ne_u32_e32 0x7f, v5
	s_cbranch_execz .LBB232_2207
; %bb.2204:                             ;   in Loop: Header=BB232_2089 Depth=1
	scratch_load_b64 v[8:9], off, s32 offset:192 th:TH_LOAD_LU ; 8-byte Folded Reload
	s_wait_loadcnt 0x0
	v_dual_lshrrev_b32 v4, 3, v5 :: v_dual_bitop2_b32 v8, 7, v3 bitop3:0x40
	s_mov_b32 s20, exec_lo
	s_wait_xcnt 0x0
	v_cmpx_gt_u32_e32 8, v5
; %bb.2205:                             ;   in Loop: Header=BB232_2089 Depth=1
	s_delay_alu instid0(VALU_DEP_2) | instskip(NEXT) | instid1(VALU_DEP_1)
	v_clz_i32_u32_e32 v4, v8
	v_min_u32_e32 v4, 32, v4
	s_delay_alu instid0(VALU_DEP_1) | instskip(NEXT) | instid1(VALU_DEP_1)
	v_subrev_nc_u32_e32 v5, 28, v4
	v_lshlrev_b64_e32 v[6:7], v5, v[8:9]
	s_delay_alu instid0(VALU_DEP_1)
	v_dual_sub_nc_u32 v4, 29, v4 :: v_dual_bitop2_b32 v8, 7, v6 bitop3:0x40
; %bb.2206:                             ;   in Loop: Header=BB232_2089 Depth=1
	s_or_b32 exec_lo, exec_lo, s20
	s_delay_alu instid0(VALU_DEP_1) | instskip(NEXT) | instid1(VALU_DEP_2)
	v_dual_lshlrev_b32 v3, 24, v3 :: v_dual_lshlrev_b32 v5, 20, v8
	v_lshl_add_u32 v4, v4, 23, 0x3c000000
	s_delay_alu instid0(VALU_DEP_2) | instskip(NEXT) | instid1(VALU_DEP_1)
	v_and_b32_e32 v3, 0x80000000, v3
	v_or3_b32 v8, v5, v3, v4
	v_mov_b32_e32 v3, v9
	s_clause 0x1
	scratch_store_b64 off, v[2:3], s32 offset:192
	scratch_store_b64 off, v[8:9], s32 offset:668
.LBB232_2207:                           ;   in Loop: Header=BB232_2089 Depth=1
	s_wait_xcnt 0x0
	s_or_b32 exec_lo, exec_lo, s19
.LBB232_2208:                           ;   in Loop: Header=BB232_2089 Depth=1
	s_delay_alu instid0(SALU_CYCLE_1)
	s_or_b32 exec_lo, exec_lo, s18
.LBB232_2209:                           ;   in Loop: Header=BB232_2089 Depth=1
	s_delay_alu instid0(SALU_CYCLE_1) | instskip(NEXT) | instid1(SALU_CYCLE_1)
	s_or_b32 exec_lo, exec_lo, s17
	s_mov_b32 s17, exec_lo
	v_cmpx_lt_u32_e32 0xffffff, v2
	s_cbranch_execz .LBB232_2217
; %bb.2210:                             ;   in Loop: Header=BB232_2089 Depth=1
	v_mov_b64_e32 v[4:5], 0x8000000000000000
	v_lshrrev_b32_e32 v3, 24, v2
	s_mov_b32 s18, exec_lo
	scratch_store_b64 off, v[4:5], s32 offset:772 ; 8-byte Folded Spill
	s_wait_xcnt 0x0
	v_cmpx_ne_u32_e32 0x80, v3
	s_cbranch_execz .LBB232_2216
; %bb.2211:                             ;   in Loop: Header=BB232_2089 Depth=1
	v_mov_b64_e32 v[6:7], 0x7f80000100000000
	v_bfe_u32 v4, v2, 24, 7
	s_mov_b32 s19, exec_lo
	scratch_store_b64 off, v[6:7], s32 offset:772 ; 8-byte Folded Spill
	s_wait_xcnt 0x0
	v_cmpx_ne_u32_e32 0x7f, v4
	s_cbranch_execz .LBB232_2215
; %bb.2212:                             ;   in Loop: Header=BB232_2089 Depth=1
	scratch_load_b64 v[6:7], off, s32 offset:192 th:TH_LOAD_LU ; 8-byte Folded Reload
	s_wait_loadcnt 0x0
	v_dual_lshrrev_b32 v2, 3, v4 :: v_dual_bitop2_b32 v6, 7, v3 bitop3:0x40
	s_mov_b32 s20, exec_lo
	s_wait_xcnt 0x0
	v_cmpx_gt_u32_e32 8, v4
; %bb.2213:                             ;   in Loop: Header=BB232_2089 Depth=1
	s_delay_alu instid0(VALU_DEP_2) | instskip(NEXT) | instid1(VALU_DEP_1)
	v_clz_i32_u32_e32 v2, v6
	v_min_u32_e32 v2, 32, v2
	s_delay_alu instid0(VALU_DEP_1) | instskip(NEXT) | instid1(VALU_DEP_1)
	v_subrev_nc_u32_e32 v4, 28, v2
	v_lshlrev_b64_e32 v[4:5], v4, v[6:7]
	s_delay_alu instid0(VALU_DEP_1)
	v_dual_sub_nc_u32 v2, 29, v2 :: v_dual_bitop2_b32 v6, 7, v4 bitop3:0x40
; %bb.2214:                             ;   in Loop: Header=BB232_2089 Depth=1
	s_or_b32 exec_lo, exec_lo, s20
	s_delay_alu instid0(VALU_DEP_1) | instskip(NEXT) | instid1(VALU_DEP_2)
	v_dual_lshlrev_b32 v3, 24, v3 :: v_dual_lshlrev_b32 v4, 20, v6
	v_lshl_add_u32 v2, v2, 23, 0x3c000000
	s_delay_alu instid0(VALU_DEP_2) | instskip(NEXT) | instid1(VALU_DEP_1)
	v_and_b32_e32 v3, 0x80000000, v3
	v_or3_b32 v5, v4, v3, v2
	v_dual_mov_b32 v3, v7 :: v_dual_mov_b32 v4, v7
	s_clause 0x1
	scratch_store_b64 off, v[2:3], s32 offset:192
	scratch_store_b64 off, v[4:5], s32 offset:772
.LBB232_2215:                           ;   in Loop: Header=BB232_2089 Depth=1
	s_wait_xcnt 0x0
	s_or_b32 exec_lo, exec_lo, s19
.LBB232_2216:                           ;   in Loop: Header=BB232_2089 Depth=1
	s_delay_alu instid0(SALU_CYCLE_1)
	s_or_b32 exec_lo, exec_lo, s18
.LBB232_2217:                           ;   in Loop: Header=BB232_2089 Depth=1
	s_delay_alu instid0(SALU_CYCLE_1)
	s_or_b32 exec_lo, exec_lo, s17
	flat_load_b32 v2, v[0:1] offset:512
	v_mov_b64_e32 v[4:5], 0
	s_mov_b32 s17, exec_lo
	scratch_store_b64 off, v[4:5], s32 offset:780 ; 8-byte Folded Spill
	s_wait_xcnt 0x0
	v_mov_b64_e32 v[4:5], 0
	scratch_store_b64 off, v[4:5], s32 offset:684 ; 8-byte Folded Spill
	s_wait_loadcnt_dscnt 0x0
	v_and_b32_e32 v3, 0xff, v2
	s_wait_xcnt 0x0
	s_delay_alu instid0(VALU_DEP_1)
	v_cmpx_ne_u16_e32 0, v3
	s_cbranch_execz .LBB232_2225
; %bb.2218:                             ;   in Loop: Header=BB232_2089 Depth=1
	v_mov_b64_e32 v[4:5], 0x80000000
	s_mov_b32 s18, exec_lo
	scratch_store_b64 off, v[4:5], s32 offset:684 ; 8-byte Folded Spill
	s_wait_xcnt 0x0
	v_cmpx_ne_u16_e32 0x80, v3
	s_cbranch_execz .LBB232_2224
; %bb.2219:                             ;   in Loop: Header=BB232_2089 Depth=1
	v_mov_b64_e32 v[6:7], 0x7f800001
	v_and_b32_e32 v4, 0x7f, v2
	s_mov_b32 s19, exec_lo
	scratch_store_b64 off, v[6:7], s32 offset:684 ; 8-byte Folded Spill
	s_wait_xcnt 0x0
	v_cmpx_ne_u32_e32 0x7f, v4
	s_cbranch_execz .LBB232_2223
; %bb.2220:                             ;   in Loop: Header=BB232_2089 Depth=1
	scratch_load_b64 v[6:7], off, s32 offset:192 th:TH_LOAD_LU ; 8-byte Folded Reload
	s_wait_loadcnt 0x0
	v_dual_lshrrev_b32 v3, 3, v4 :: v_dual_bitop2_b32 v6, 7, v2 bitop3:0x40
	s_mov_b32 s20, exec_lo
	s_wait_xcnt 0x0
	v_cmpx_gt_u32_e32 8, v4
; %bb.2221:                             ;   in Loop: Header=BB232_2089 Depth=1
	s_delay_alu instid0(VALU_DEP_2) | instskip(NEXT) | instid1(VALU_DEP_1)
	v_clz_i32_u32_e32 v3, v6
	v_min_u32_e32 v3, 32, v3
	s_delay_alu instid0(VALU_DEP_1) | instskip(NEXT) | instid1(VALU_DEP_1)
	v_subrev_nc_u32_e32 v4, 28, v3
	v_lshlrev_b64_e32 v[4:5], v4, v[6:7]
	s_delay_alu instid0(VALU_DEP_1)
	v_dual_sub_nc_u32 v3, 29, v3 :: v_dual_bitop2_b32 v6, 7, v4 bitop3:0x40
; %bb.2222:                             ;   in Loop: Header=BB232_2089 Depth=1
	s_or_b32 exec_lo, exec_lo, s20
	v_lshlrev_b32_e32 v4, 24, v2
	s_delay_alu instid0(VALU_DEP_2) | instskip(NEXT) | instid1(VALU_DEP_3)
	v_lshlrev_b32_e32 v5, 20, v6
	v_lshl_add_u32 v3, v3, 23, 0x3c000000
	s_delay_alu instid0(VALU_DEP_3) | instskip(NEXT) | instid1(VALU_DEP_1)
	v_and_b32_e32 v4, 0x80000000, v4
	v_or3_b32 v6, v5, v4, v3
	v_mov_b32_e32 v3, v7
	s_clause 0x1
	scratch_store_b64 off, v[2:3], s32 offset:192
	scratch_store_b64 off, v[6:7], s32 offset:684
.LBB232_2223:                           ;   in Loop: Header=BB232_2089 Depth=1
	s_wait_xcnt 0x0
	s_or_b32 exec_lo, exec_lo, s19
.LBB232_2224:                           ;   in Loop: Header=BB232_2089 Depth=1
	s_delay_alu instid0(SALU_CYCLE_1)
	s_or_b32 exec_lo, exec_lo, s18
.LBB232_2225:                           ;   in Loop: Header=BB232_2089 Depth=1
	s_delay_alu instid0(SALU_CYCLE_1) | instskip(SKIP_2) | instid1(VALU_DEP_1)
	s_or_b32 exec_lo, exec_lo, s17
	v_lshrrev_b16 v3, 8, v2
	s_mov_b32 s17, exec_lo
	v_cmpx_ne_u16_e32 0, v3
	s_cbranch_execz .LBB232_2233
; %bb.2226:                             ;   in Loop: Header=BB232_2089 Depth=1
	v_mov_b64_e32 v[4:5], 0x8000000000000000
	s_mov_b32 s18, exec_lo
	scratch_store_b64 off, v[4:5], s32 offset:780 ; 8-byte Folded Spill
	s_wait_xcnt 0x0
	v_cmpx_ne_u16_e32 0x80, v3
	s_cbranch_execz .LBB232_2232
; %bb.2227:                             ;   in Loop: Header=BB232_2089 Depth=1
	v_and_b32_e32 v3, 0xffff, v3
	v_mov_b64_e32 v[6:7], 0x7f80000100000000
	s_mov_b32 s19, exec_lo
	s_delay_alu instid0(VALU_DEP_2)
	v_and_b32_e32 v4, 0x7f, v3
	scratch_store_b64 off, v[6:7], s32 offset:780 ; 8-byte Folded Spill
	s_wait_xcnt 0x0
	v_cmpx_ne_u32_e32 0x7f, v4
	s_cbranch_execz .LBB232_2231
; %bb.2228:                             ;   in Loop: Header=BB232_2089 Depth=1
	scratch_load_b64 v[6:7], off, s32 offset:192 th:TH_LOAD_LU ; 8-byte Folded Reload
	s_wait_loadcnt 0x0
	v_dual_lshrrev_b32 v3, 3, v4 :: v_dual_bitop2_b32 v6, 7, v3 bitop3:0x40
	s_mov_b32 s20, exec_lo
	s_wait_xcnt 0x0
	v_cmpx_gt_u32_e32 8, v4
; %bb.2229:                             ;   in Loop: Header=BB232_2089 Depth=1
	s_delay_alu instid0(VALU_DEP_2) | instskip(NEXT) | instid1(VALU_DEP_1)
	v_clz_i32_u32_e32 v3, v6
	v_min_u32_e32 v3, 32, v3
	s_delay_alu instid0(VALU_DEP_1) | instskip(NEXT) | instid1(VALU_DEP_1)
	v_subrev_nc_u32_e32 v4, 28, v3
	v_lshlrev_b64_e32 v[4:5], v4, v[6:7]
	s_delay_alu instid0(VALU_DEP_1)
	v_dual_sub_nc_u32 v3, 29, v3 :: v_dual_bitop2_b32 v6, 7, v4 bitop3:0x40
; %bb.2230:                             ;   in Loop: Header=BB232_2089 Depth=1
	s_or_b32 exec_lo, exec_lo, s20
	v_lshlrev_b32_e32 v4, 16, v2
	s_delay_alu instid0(VALU_DEP_2) | instskip(NEXT) | instid1(VALU_DEP_3)
	v_lshlrev_b32_e32 v5, 20, v6
	v_lshl_add_u32 v3, v3, 23, 0x3c000000
	s_delay_alu instid0(VALU_DEP_3) | instskip(NEXT) | instid1(VALU_DEP_1)
	v_and_b32_e32 v4, 0x80000000, v4
	v_or3_b32 v5, v5, v4, v3
	v_dual_mov_b32 v3, v7 :: v_dual_mov_b32 v4, v7
	s_clause 0x1
	scratch_store_b64 off, v[2:3], s32 offset:192
	scratch_store_b64 off, v[4:5], s32 offset:780
.LBB232_2231:                           ;   in Loop: Header=BB232_2089 Depth=1
	s_wait_xcnt 0x0
	s_or_b32 exec_lo, exec_lo, s19
.LBB232_2232:                           ;   in Loop: Header=BB232_2089 Depth=1
	s_delay_alu instid0(SALU_CYCLE_1)
	s_or_b32 exec_lo, exec_lo, s18
.LBB232_2233:                           ;   in Loop: Header=BB232_2089 Depth=1
	s_delay_alu instid0(SALU_CYCLE_1) | instskip(SKIP_3) | instid1(VALU_DEP_1)
	s_or_b32 exec_lo, exec_lo, s17
	v_mov_b64_e32 v[6:7], 0
	v_lshrrev_b32_e32 v3, 16, v2
	s_mov_b32 s17, exec_lo
	v_and_b32_e32 v4, 0xff, v3
	scratch_store_b64 off, v[6:7], s32 offset:788 ; 8-byte Folded Spill
	s_wait_xcnt 0x0
	v_mov_b64_e32 v[6:7], 0
	scratch_store_b64 off, v[6:7], s32 offset:708 ; 8-byte Folded Spill
	s_wait_xcnt 0x0
	v_cmpx_ne_u16_e32 0, v4
	s_cbranch_execz .LBB232_2241
; %bb.2234:                             ;   in Loop: Header=BB232_2089 Depth=1
	v_cmp_ne_u16_e64 s4, 0x80, v4
	v_mov_b64_e32 v[4:5], 0x80000000
	scratch_store_b64 off, v[4:5], s32 offset:708 ; 8-byte Folded Spill
	s_wait_xcnt 0x0
	s_and_saveexec_b32 s18, s4
	s_cbranch_execz .LBB232_2240
; %bb.2235:                             ;   in Loop: Header=BB232_2089 Depth=1
	v_mov_b64_e32 v[6:7], 0x7f800001
	v_bfe_u32 v5, v2, 16, 7
	s_mov_b32 s19, exec_lo
	scratch_store_b64 off, v[6:7], s32 offset:708 ; 8-byte Folded Spill
	s_wait_xcnt 0x0
	v_cmpx_ne_u32_e32 0x7f, v5
	s_cbranch_execz .LBB232_2239
; %bb.2236:                             ;   in Loop: Header=BB232_2089 Depth=1
	scratch_load_b64 v[8:9], off, s32 offset:192 th:TH_LOAD_LU ; 8-byte Folded Reload
	s_wait_loadcnt 0x0
	v_dual_lshrrev_b32 v4, 3, v5 :: v_dual_bitop2_b32 v8, 7, v3 bitop3:0x40
	s_mov_b32 s20, exec_lo
	s_wait_xcnt 0x0
	v_cmpx_gt_u32_e32 8, v5
; %bb.2237:                             ;   in Loop: Header=BB232_2089 Depth=1
	s_delay_alu instid0(VALU_DEP_2) | instskip(NEXT) | instid1(VALU_DEP_1)
	v_clz_i32_u32_e32 v4, v8
	v_min_u32_e32 v4, 32, v4
	s_delay_alu instid0(VALU_DEP_1) | instskip(NEXT) | instid1(VALU_DEP_1)
	v_subrev_nc_u32_e32 v5, 28, v4
	v_lshlrev_b64_e32 v[6:7], v5, v[8:9]
	s_delay_alu instid0(VALU_DEP_1)
	v_dual_sub_nc_u32 v4, 29, v4 :: v_dual_bitop2_b32 v8, 7, v6 bitop3:0x40
; %bb.2238:                             ;   in Loop: Header=BB232_2089 Depth=1
	s_or_b32 exec_lo, exec_lo, s20
	s_delay_alu instid0(VALU_DEP_1) | instskip(NEXT) | instid1(VALU_DEP_2)
	v_dual_lshlrev_b32 v3, 24, v3 :: v_dual_lshlrev_b32 v5, 20, v8
	v_lshl_add_u32 v4, v4, 23, 0x3c000000
	s_delay_alu instid0(VALU_DEP_2) | instskip(NEXT) | instid1(VALU_DEP_1)
	v_and_b32_e32 v3, 0x80000000, v3
	v_or3_b32 v8, v5, v3, v4
	v_mov_b32_e32 v3, v9
	s_clause 0x1
	scratch_store_b64 off, v[2:3], s32 offset:192
	scratch_store_b64 off, v[8:9], s32 offset:708
.LBB232_2239:                           ;   in Loop: Header=BB232_2089 Depth=1
	s_wait_xcnt 0x0
	s_or_b32 exec_lo, exec_lo, s19
.LBB232_2240:                           ;   in Loop: Header=BB232_2089 Depth=1
	s_delay_alu instid0(SALU_CYCLE_1)
	s_or_b32 exec_lo, exec_lo, s18
.LBB232_2241:                           ;   in Loop: Header=BB232_2089 Depth=1
	s_delay_alu instid0(SALU_CYCLE_1) | instskip(NEXT) | instid1(SALU_CYCLE_1)
	s_or_b32 exec_lo, exec_lo, s17
	s_mov_b32 s17, exec_lo
	v_cmpx_lt_u32_e32 0xffffff, v2
	s_cbranch_execz .LBB232_2249
; %bb.2242:                             ;   in Loop: Header=BB232_2089 Depth=1
	v_mov_b64_e32 v[4:5], 0x8000000000000000
	v_lshrrev_b32_e32 v3, 24, v2
	s_mov_b32 s18, exec_lo
	scratch_store_b64 off, v[4:5], s32 offset:788 ; 8-byte Folded Spill
	s_wait_xcnt 0x0
	v_cmpx_ne_u32_e32 0x80, v3
	s_cbranch_execz .LBB232_2248
; %bb.2243:                             ;   in Loop: Header=BB232_2089 Depth=1
	v_mov_b64_e32 v[6:7], 0x7f80000100000000
	v_bfe_u32 v4, v2, 24, 7
	s_mov_b32 s19, exec_lo
	scratch_store_b64 off, v[6:7], s32 offset:788 ; 8-byte Folded Spill
	s_wait_xcnt 0x0
	v_cmpx_ne_u32_e32 0x7f, v4
	s_cbranch_execz .LBB232_2247
; %bb.2244:                             ;   in Loop: Header=BB232_2089 Depth=1
	scratch_load_b64 v[6:7], off, s32 offset:192 th:TH_LOAD_LU ; 8-byte Folded Reload
	s_wait_loadcnt 0x0
	v_dual_lshrrev_b32 v2, 3, v4 :: v_dual_bitop2_b32 v6, 7, v3 bitop3:0x40
	s_mov_b32 s20, exec_lo
	s_wait_xcnt 0x0
	v_cmpx_gt_u32_e32 8, v4
; %bb.2245:                             ;   in Loop: Header=BB232_2089 Depth=1
	s_delay_alu instid0(VALU_DEP_2) | instskip(NEXT) | instid1(VALU_DEP_1)
	v_clz_i32_u32_e32 v2, v6
	v_min_u32_e32 v2, 32, v2
	s_delay_alu instid0(VALU_DEP_1) | instskip(NEXT) | instid1(VALU_DEP_1)
	v_subrev_nc_u32_e32 v4, 28, v2
	v_lshlrev_b64_e32 v[4:5], v4, v[6:7]
	s_delay_alu instid0(VALU_DEP_1)
	v_dual_sub_nc_u32 v2, 29, v2 :: v_dual_bitop2_b32 v6, 7, v4 bitop3:0x40
; %bb.2246:                             ;   in Loop: Header=BB232_2089 Depth=1
	s_or_b32 exec_lo, exec_lo, s20
	s_delay_alu instid0(VALU_DEP_1) | instskip(NEXT) | instid1(VALU_DEP_2)
	v_dual_lshlrev_b32 v3, 24, v3 :: v_dual_lshlrev_b32 v4, 20, v6
	v_lshl_add_u32 v2, v2, 23, 0x3c000000
	s_delay_alu instid0(VALU_DEP_2) | instskip(NEXT) | instid1(VALU_DEP_1)
	v_and_b32_e32 v3, 0x80000000, v3
	v_or3_b32 v5, v4, v3, v2
	v_dual_mov_b32 v3, v7 :: v_dual_mov_b32 v4, v7
	s_clause 0x1
	scratch_store_b64 off, v[2:3], s32 offset:192
	scratch_store_b64 off, v[4:5], s32 offset:788
.LBB232_2247:                           ;   in Loop: Header=BB232_2089 Depth=1
	s_wait_xcnt 0x0
	s_or_b32 exec_lo, exec_lo, s19
.LBB232_2248:                           ;   in Loop: Header=BB232_2089 Depth=1
	s_delay_alu instid0(SALU_CYCLE_1)
	s_or_b32 exec_lo, exec_lo, s18
.LBB232_2249:                           ;   in Loop: Header=BB232_2089 Depth=1
	s_delay_alu instid0(SALU_CYCLE_1)
	s_or_b32 exec_lo, exec_lo, s17
	flat_load_b32 v2, v[0:1] offset:640
	v_mov_b64_e32 v[4:5], 0
	s_mov_b32 s17, exec_lo
	scratch_store_b64 off, v[4:5], s32 offset:796 ; 8-byte Folded Spill
	s_wait_xcnt 0x0
	v_mov_b64_e32 v[4:5], 0
	scratch_store_b64 off, v[4:5], s32 offset:724 ; 8-byte Folded Spill
	s_wait_loadcnt_dscnt 0x0
	v_and_b32_e32 v3, 0xff, v2
	s_wait_xcnt 0x0
	s_delay_alu instid0(VALU_DEP_1)
	v_cmpx_ne_u16_e32 0, v3
	s_cbranch_execz .LBB232_2257
; %bb.2250:                             ;   in Loop: Header=BB232_2089 Depth=1
	v_mov_b64_e32 v[4:5], 0x80000000
	s_mov_b32 s18, exec_lo
	scratch_store_b64 off, v[4:5], s32 offset:724 ; 8-byte Folded Spill
	s_wait_xcnt 0x0
	v_cmpx_ne_u16_e32 0x80, v3
	s_cbranch_execz .LBB232_2256
; %bb.2251:                             ;   in Loop: Header=BB232_2089 Depth=1
	v_mov_b64_e32 v[6:7], 0x7f800001
	v_and_b32_e32 v4, 0x7f, v2
	s_mov_b32 s19, exec_lo
	scratch_store_b64 off, v[6:7], s32 offset:724 ; 8-byte Folded Spill
	s_wait_xcnt 0x0
	v_cmpx_ne_u32_e32 0x7f, v4
	s_cbranch_execz .LBB232_2255
; %bb.2252:                             ;   in Loop: Header=BB232_2089 Depth=1
	scratch_load_b64 v[6:7], off, s32 offset:192 th:TH_LOAD_LU ; 8-byte Folded Reload
	s_wait_loadcnt 0x0
	v_dual_lshrrev_b32 v3, 3, v4 :: v_dual_bitop2_b32 v6, 7, v2 bitop3:0x40
	s_mov_b32 s20, exec_lo
	s_wait_xcnt 0x0
	v_cmpx_gt_u32_e32 8, v4
; %bb.2253:                             ;   in Loop: Header=BB232_2089 Depth=1
	s_delay_alu instid0(VALU_DEP_2) | instskip(NEXT) | instid1(VALU_DEP_1)
	v_clz_i32_u32_e32 v3, v6
	v_min_u32_e32 v3, 32, v3
	s_delay_alu instid0(VALU_DEP_1) | instskip(NEXT) | instid1(VALU_DEP_1)
	v_subrev_nc_u32_e32 v4, 28, v3
	v_lshlrev_b64_e32 v[4:5], v4, v[6:7]
	s_delay_alu instid0(VALU_DEP_1)
	v_dual_sub_nc_u32 v3, 29, v3 :: v_dual_bitop2_b32 v6, 7, v4 bitop3:0x40
; %bb.2254:                             ;   in Loop: Header=BB232_2089 Depth=1
	s_or_b32 exec_lo, exec_lo, s20
	v_lshlrev_b32_e32 v4, 24, v2
	s_delay_alu instid0(VALU_DEP_2) | instskip(NEXT) | instid1(VALU_DEP_3)
	v_lshlrev_b32_e32 v5, 20, v6
	v_lshl_add_u32 v3, v3, 23, 0x3c000000
	s_delay_alu instid0(VALU_DEP_3) | instskip(NEXT) | instid1(VALU_DEP_1)
	v_and_b32_e32 v4, 0x80000000, v4
	v_or3_b32 v6, v5, v4, v3
	v_mov_b32_e32 v3, v7
	s_clause 0x1
	scratch_store_b64 off, v[2:3], s32 offset:192
	scratch_store_b64 off, v[6:7], s32 offset:724
.LBB232_2255:                           ;   in Loop: Header=BB232_2089 Depth=1
	s_wait_xcnt 0x0
	s_or_b32 exec_lo, exec_lo, s19
.LBB232_2256:                           ;   in Loop: Header=BB232_2089 Depth=1
	s_delay_alu instid0(SALU_CYCLE_1)
	s_or_b32 exec_lo, exec_lo, s18
.LBB232_2257:                           ;   in Loop: Header=BB232_2089 Depth=1
	s_delay_alu instid0(SALU_CYCLE_1) | instskip(SKIP_2) | instid1(VALU_DEP_1)
	s_or_b32 exec_lo, exec_lo, s17
	v_lshrrev_b16 v3, 8, v2
	s_mov_b32 s17, exec_lo
	v_cmpx_ne_u16_e32 0, v3
	s_cbranch_execz .LBB232_2265
; %bb.2258:                             ;   in Loop: Header=BB232_2089 Depth=1
	v_mov_b64_e32 v[4:5], 0x8000000000000000
	s_mov_b32 s18, exec_lo
	scratch_store_b64 off, v[4:5], s32 offset:796 ; 8-byte Folded Spill
	s_wait_xcnt 0x0
	v_cmpx_ne_u16_e32 0x80, v3
	s_cbranch_execz .LBB232_2264
; %bb.2259:                             ;   in Loop: Header=BB232_2089 Depth=1
	v_and_b32_e32 v3, 0xffff, v3
	v_mov_b64_e32 v[6:7], 0x7f80000100000000
	s_mov_b32 s19, exec_lo
	s_delay_alu instid0(VALU_DEP_2)
	v_and_b32_e32 v4, 0x7f, v3
	scratch_store_b64 off, v[6:7], s32 offset:796 ; 8-byte Folded Spill
	s_wait_xcnt 0x0
	v_cmpx_ne_u32_e32 0x7f, v4
	s_cbranch_execz .LBB232_2263
; %bb.2260:                             ;   in Loop: Header=BB232_2089 Depth=1
	scratch_load_b64 v[6:7], off, s32 offset:192 th:TH_LOAD_LU ; 8-byte Folded Reload
	s_wait_loadcnt 0x0
	v_dual_lshrrev_b32 v3, 3, v4 :: v_dual_bitop2_b32 v6, 7, v3 bitop3:0x40
	s_mov_b32 s20, exec_lo
	s_wait_xcnt 0x0
	v_cmpx_gt_u32_e32 8, v4
; %bb.2261:                             ;   in Loop: Header=BB232_2089 Depth=1
	s_delay_alu instid0(VALU_DEP_2) | instskip(NEXT) | instid1(VALU_DEP_1)
	v_clz_i32_u32_e32 v3, v6
	v_min_u32_e32 v3, 32, v3
	s_delay_alu instid0(VALU_DEP_1) | instskip(NEXT) | instid1(VALU_DEP_1)
	v_subrev_nc_u32_e32 v4, 28, v3
	v_lshlrev_b64_e32 v[4:5], v4, v[6:7]
	s_delay_alu instid0(VALU_DEP_1)
	v_dual_sub_nc_u32 v3, 29, v3 :: v_dual_bitop2_b32 v6, 7, v4 bitop3:0x40
; %bb.2262:                             ;   in Loop: Header=BB232_2089 Depth=1
	s_or_b32 exec_lo, exec_lo, s20
	v_lshlrev_b32_e32 v4, 16, v2
	s_delay_alu instid0(VALU_DEP_2) | instskip(NEXT) | instid1(VALU_DEP_3)
	v_lshlrev_b32_e32 v5, 20, v6
	v_lshl_add_u32 v3, v3, 23, 0x3c000000
	s_delay_alu instid0(VALU_DEP_3) | instskip(NEXT) | instid1(VALU_DEP_1)
	v_and_b32_e32 v4, 0x80000000, v4
	v_or3_b32 v5, v5, v4, v3
	v_dual_mov_b32 v3, v7 :: v_dual_mov_b32 v4, v7
	s_clause 0x1
	scratch_store_b64 off, v[2:3], s32 offset:192
	scratch_store_b64 off, v[4:5], s32 offset:796
.LBB232_2263:                           ;   in Loop: Header=BB232_2089 Depth=1
	s_wait_xcnt 0x0
	s_or_b32 exec_lo, exec_lo, s19
.LBB232_2264:                           ;   in Loop: Header=BB232_2089 Depth=1
	s_delay_alu instid0(SALU_CYCLE_1)
	s_or_b32 exec_lo, exec_lo, s18
.LBB232_2265:                           ;   in Loop: Header=BB232_2089 Depth=1
	s_delay_alu instid0(SALU_CYCLE_1) | instskip(SKIP_3) | instid1(VALU_DEP_1)
	s_or_b32 exec_lo, exec_lo, s17
	v_mov_b64_e32 v[6:7], 0
	v_lshrrev_b32_e32 v3, 16, v2
	s_mov_b32 s17, exec_lo
	v_and_b32_e32 v4, 0xff, v3
	scratch_store_b64 off, v[6:7], s32 offset:804 ; 8-byte Folded Spill
	s_wait_xcnt 0x0
	v_mov_b64_e32 v[6:7], 0
	scratch_store_b64 off, v[6:7], s32 offset:740 ; 8-byte Folded Spill
	s_wait_xcnt 0x0
	v_cmpx_ne_u16_e32 0, v4
	s_cbranch_execz .LBB232_2273
; %bb.2266:                             ;   in Loop: Header=BB232_2089 Depth=1
	v_cmp_ne_u16_e64 s4, 0x80, v4
	v_mov_b64_e32 v[4:5], 0x80000000
	scratch_store_b64 off, v[4:5], s32 offset:740 ; 8-byte Folded Spill
	s_wait_xcnt 0x0
	s_and_saveexec_b32 s18, s4
	s_cbranch_execz .LBB232_2272
; %bb.2267:                             ;   in Loop: Header=BB232_2089 Depth=1
	v_mov_b64_e32 v[6:7], 0x7f800001
	v_bfe_u32 v5, v2, 16, 7
	s_mov_b32 s19, exec_lo
	scratch_store_b64 off, v[6:7], s32 offset:740 ; 8-byte Folded Spill
	s_wait_xcnt 0x0
	v_cmpx_ne_u32_e32 0x7f, v5
	s_cbranch_execz .LBB232_2271
; %bb.2268:                             ;   in Loop: Header=BB232_2089 Depth=1
	scratch_load_b64 v[8:9], off, s32 offset:192 th:TH_LOAD_LU ; 8-byte Folded Reload
	s_wait_loadcnt 0x0
	v_dual_lshrrev_b32 v4, 3, v5 :: v_dual_bitop2_b32 v8, 7, v3 bitop3:0x40
	s_mov_b32 s20, exec_lo
	s_wait_xcnt 0x0
	v_cmpx_gt_u32_e32 8, v5
; %bb.2269:                             ;   in Loop: Header=BB232_2089 Depth=1
	s_delay_alu instid0(VALU_DEP_2) | instskip(NEXT) | instid1(VALU_DEP_1)
	v_clz_i32_u32_e32 v4, v8
	v_min_u32_e32 v4, 32, v4
	s_delay_alu instid0(VALU_DEP_1) | instskip(NEXT) | instid1(VALU_DEP_1)
	v_subrev_nc_u32_e32 v5, 28, v4
	v_lshlrev_b64_e32 v[6:7], v5, v[8:9]
	s_delay_alu instid0(VALU_DEP_1)
	v_dual_sub_nc_u32 v4, 29, v4 :: v_dual_bitop2_b32 v8, 7, v6 bitop3:0x40
; %bb.2270:                             ;   in Loop: Header=BB232_2089 Depth=1
	s_or_b32 exec_lo, exec_lo, s20
	s_delay_alu instid0(VALU_DEP_1) | instskip(NEXT) | instid1(VALU_DEP_2)
	v_dual_lshlrev_b32 v3, 24, v3 :: v_dual_lshlrev_b32 v5, 20, v8
	v_lshl_add_u32 v4, v4, 23, 0x3c000000
	s_delay_alu instid0(VALU_DEP_2) | instskip(NEXT) | instid1(VALU_DEP_1)
	v_and_b32_e32 v3, 0x80000000, v3
	v_or3_b32 v8, v5, v3, v4
	v_mov_b32_e32 v3, v9
	s_clause 0x1
	scratch_store_b64 off, v[2:3], s32 offset:192
	scratch_store_b64 off, v[8:9], s32 offset:740
.LBB232_2271:                           ;   in Loop: Header=BB232_2089 Depth=1
	s_wait_xcnt 0x0
	s_or_b32 exec_lo, exec_lo, s19
.LBB232_2272:                           ;   in Loop: Header=BB232_2089 Depth=1
	s_delay_alu instid0(SALU_CYCLE_1)
	s_or_b32 exec_lo, exec_lo, s18
.LBB232_2273:                           ;   in Loop: Header=BB232_2089 Depth=1
	s_delay_alu instid0(SALU_CYCLE_1) | instskip(NEXT) | instid1(SALU_CYCLE_1)
	s_or_b32 exec_lo, exec_lo, s17
	s_mov_b32 s17, exec_lo
	v_cmpx_lt_u32_e32 0xffffff, v2
	s_cbranch_execz .LBB232_2281
; %bb.2274:                             ;   in Loop: Header=BB232_2089 Depth=1
	v_mov_b64_e32 v[4:5], 0x8000000000000000
	v_lshrrev_b32_e32 v3, 24, v2
	s_mov_b32 s18, exec_lo
	scratch_store_b64 off, v[4:5], s32 offset:804 ; 8-byte Folded Spill
	s_wait_xcnt 0x0
	v_cmpx_ne_u32_e32 0x80, v3
	s_cbranch_execz .LBB232_2280
; %bb.2275:                             ;   in Loop: Header=BB232_2089 Depth=1
	v_mov_b64_e32 v[6:7], 0x7f80000100000000
	v_bfe_u32 v4, v2, 24, 7
	s_mov_b32 s19, exec_lo
	scratch_store_b64 off, v[6:7], s32 offset:804 ; 8-byte Folded Spill
	s_wait_xcnt 0x0
	v_cmpx_ne_u32_e32 0x7f, v4
	s_cbranch_execz .LBB232_2279
; %bb.2276:                             ;   in Loop: Header=BB232_2089 Depth=1
	scratch_load_b64 v[6:7], off, s32 offset:192 th:TH_LOAD_LU ; 8-byte Folded Reload
	s_wait_loadcnt 0x0
	v_dual_lshrrev_b32 v2, 3, v4 :: v_dual_bitop2_b32 v6, 7, v3 bitop3:0x40
	s_mov_b32 s20, exec_lo
	s_wait_xcnt 0x0
	v_cmpx_gt_u32_e32 8, v4
; %bb.2277:                             ;   in Loop: Header=BB232_2089 Depth=1
	s_delay_alu instid0(VALU_DEP_2) | instskip(NEXT) | instid1(VALU_DEP_1)
	v_clz_i32_u32_e32 v2, v6
	v_min_u32_e32 v2, 32, v2
	s_delay_alu instid0(VALU_DEP_1) | instskip(NEXT) | instid1(VALU_DEP_1)
	v_subrev_nc_u32_e32 v4, 28, v2
	v_lshlrev_b64_e32 v[4:5], v4, v[6:7]
	s_delay_alu instid0(VALU_DEP_1)
	v_dual_sub_nc_u32 v2, 29, v2 :: v_dual_bitop2_b32 v6, 7, v4 bitop3:0x40
; %bb.2278:                             ;   in Loop: Header=BB232_2089 Depth=1
	s_or_b32 exec_lo, exec_lo, s20
	s_delay_alu instid0(VALU_DEP_1) | instskip(NEXT) | instid1(VALU_DEP_2)
	v_dual_lshlrev_b32 v3, 24, v3 :: v_dual_lshlrev_b32 v4, 20, v6
	v_lshl_add_u32 v2, v2, 23, 0x3c000000
	s_delay_alu instid0(VALU_DEP_2) | instskip(NEXT) | instid1(VALU_DEP_1)
	v_and_b32_e32 v3, 0x80000000, v3
	v_or3_b32 v5, v4, v3, v2
	v_dual_mov_b32 v3, v7 :: v_dual_mov_b32 v4, v7
	s_clause 0x1
	scratch_store_b64 off, v[2:3], s32 offset:192
	scratch_store_b64 off, v[4:5], s32 offset:804
.LBB232_2279:                           ;   in Loop: Header=BB232_2089 Depth=1
	s_wait_xcnt 0x0
	s_or_b32 exec_lo, exec_lo, s19
.LBB232_2280:                           ;   in Loop: Header=BB232_2089 Depth=1
	s_delay_alu instid0(SALU_CYCLE_1)
	s_or_b32 exec_lo, exec_lo, s18
.LBB232_2281:                           ;   in Loop: Header=BB232_2089 Depth=1
	s_delay_alu instid0(SALU_CYCLE_1)
	s_or_b32 exec_lo, exec_lo, s17
	flat_load_b32 v2, v[0:1] offset:768
	v_mov_b64_e32 v[4:5], 0
	s_mov_b32 s17, exec_lo
	scratch_store_b64 off, v[4:5], s32 offset:812 ; 8-byte Folded Spill
	s_wait_xcnt 0x0
	v_mov_b64_e32 v[4:5], 0
	scratch_store_b64 off, v[4:5], s32 offset:756 ; 8-byte Folded Spill
	s_wait_loadcnt_dscnt 0x0
	v_and_b32_e32 v3, 0xff, v2
	s_wait_xcnt 0x0
	s_delay_alu instid0(VALU_DEP_1)
	v_cmpx_ne_u16_e32 0, v3
	s_cbranch_execz .LBB232_2289
; %bb.2282:                             ;   in Loop: Header=BB232_2089 Depth=1
	v_mov_b64_e32 v[4:5], 0x80000000
	s_mov_b32 s18, exec_lo
	scratch_store_b64 off, v[4:5], s32 offset:756 ; 8-byte Folded Spill
	s_wait_xcnt 0x0
	v_cmpx_ne_u16_e32 0x80, v3
	s_cbranch_execz .LBB232_2288
; %bb.2283:                             ;   in Loop: Header=BB232_2089 Depth=1
	v_mov_b64_e32 v[6:7], 0x7f800001
	v_and_b32_e32 v4, 0x7f, v2
	s_mov_b32 s19, exec_lo
	scratch_store_b64 off, v[6:7], s32 offset:756 ; 8-byte Folded Spill
	s_wait_xcnt 0x0
	v_cmpx_ne_u32_e32 0x7f, v4
	s_cbranch_execz .LBB232_2287
; %bb.2284:                             ;   in Loop: Header=BB232_2089 Depth=1
	scratch_load_b64 v[6:7], off, s32 offset:192 th:TH_LOAD_LU ; 8-byte Folded Reload
	s_wait_loadcnt 0x0
	v_dual_lshrrev_b32 v3, 3, v4 :: v_dual_bitop2_b32 v6, 7, v2 bitop3:0x40
	s_mov_b32 s20, exec_lo
	s_wait_xcnt 0x0
	v_cmpx_gt_u32_e32 8, v4
; %bb.2285:                             ;   in Loop: Header=BB232_2089 Depth=1
	s_delay_alu instid0(VALU_DEP_2) | instskip(NEXT) | instid1(VALU_DEP_1)
	v_clz_i32_u32_e32 v3, v6
	v_min_u32_e32 v3, 32, v3
	s_delay_alu instid0(VALU_DEP_1) | instskip(NEXT) | instid1(VALU_DEP_1)
	v_subrev_nc_u32_e32 v4, 28, v3
	v_lshlrev_b64_e32 v[4:5], v4, v[6:7]
	s_delay_alu instid0(VALU_DEP_1)
	v_dual_sub_nc_u32 v3, 29, v3 :: v_dual_bitop2_b32 v6, 7, v4 bitop3:0x40
; %bb.2286:                             ;   in Loop: Header=BB232_2089 Depth=1
	s_or_b32 exec_lo, exec_lo, s20
	v_lshlrev_b32_e32 v4, 24, v2
	s_delay_alu instid0(VALU_DEP_2) | instskip(NEXT) | instid1(VALU_DEP_3)
	v_lshlrev_b32_e32 v5, 20, v6
	v_lshl_add_u32 v3, v3, 23, 0x3c000000
	s_delay_alu instid0(VALU_DEP_3) | instskip(NEXT) | instid1(VALU_DEP_1)
	v_and_b32_e32 v4, 0x80000000, v4
	v_or3_b32 v6, v5, v4, v3
	v_mov_b32_e32 v3, v7
	s_clause 0x1
	scratch_store_b64 off, v[2:3], s32 offset:192
	scratch_store_b64 off, v[6:7], s32 offset:756
.LBB232_2287:                           ;   in Loop: Header=BB232_2089 Depth=1
	s_wait_xcnt 0x0
	s_or_b32 exec_lo, exec_lo, s19
.LBB232_2288:                           ;   in Loop: Header=BB232_2089 Depth=1
	s_delay_alu instid0(SALU_CYCLE_1)
	s_or_b32 exec_lo, exec_lo, s18
.LBB232_2289:                           ;   in Loop: Header=BB232_2089 Depth=1
	s_delay_alu instid0(SALU_CYCLE_1) | instskip(SKIP_2) | instid1(VALU_DEP_1)
	s_or_b32 exec_lo, exec_lo, s17
	v_lshrrev_b16 v3, 8, v2
	s_mov_b32 s17, exec_lo
	v_cmpx_ne_u16_e32 0, v3
	s_cbranch_execz .LBB232_2297
; %bb.2290:                             ;   in Loop: Header=BB232_2089 Depth=1
	v_mov_b64_e32 v[4:5], 0x8000000000000000
	s_mov_b32 s18, exec_lo
	scratch_store_b64 off, v[4:5], s32 offset:812 ; 8-byte Folded Spill
	s_wait_xcnt 0x0
	v_cmpx_ne_u16_e32 0x80, v3
	s_cbranch_execz .LBB232_2296
; %bb.2291:                             ;   in Loop: Header=BB232_2089 Depth=1
	v_and_b32_e32 v3, 0xffff, v3
	v_mov_b64_e32 v[6:7], 0x7f80000100000000
	s_mov_b32 s19, exec_lo
	s_delay_alu instid0(VALU_DEP_2)
	v_and_b32_e32 v4, 0x7f, v3
	scratch_store_b64 off, v[6:7], s32 offset:812 ; 8-byte Folded Spill
	s_wait_xcnt 0x0
	v_cmpx_ne_u32_e32 0x7f, v4
	s_cbranch_execz .LBB232_2295
; %bb.2292:                             ;   in Loop: Header=BB232_2089 Depth=1
	scratch_load_b64 v[6:7], off, s32 offset:192 th:TH_LOAD_LU ; 8-byte Folded Reload
	s_wait_loadcnt 0x0
	v_dual_lshrrev_b32 v3, 3, v4 :: v_dual_bitop2_b32 v6, 7, v3 bitop3:0x40
	s_mov_b32 s20, exec_lo
	s_wait_xcnt 0x0
	v_cmpx_gt_u32_e32 8, v4
; %bb.2293:                             ;   in Loop: Header=BB232_2089 Depth=1
	s_delay_alu instid0(VALU_DEP_2) | instskip(NEXT) | instid1(VALU_DEP_1)
	v_clz_i32_u32_e32 v3, v6
	v_min_u32_e32 v3, 32, v3
	s_delay_alu instid0(VALU_DEP_1) | instskip(NEXT) | instid1(VALU_DEP_1)
	v_subrev_nc_u32_e32 v4, 28, v3
	v_lshlrev_b64_e32 v[4:5], v4, v[6:7]
	s_delay_alu instid0(VALU_DEP_1)
	v_dual_sub_nc_u32 v3, 29, v3 :: v_dual_bitop2_b32 v6, 7, v4 bitop3:0x40
; %bb.2294:                             ;   in Loop: Header=BB232_2089 Depth=1
	s_or_b32 exec_lo, exec_lo, s20
	v_lshlrev_b32_e32 v4, 16, v2
	s_delay_alu instid0(VALU_DEP_2) | instskip(NEXT) | instid1(VALU_DEP_3)
	v_lshlrev_b32_e32 v5, 20, v6
	v_lshl_add_u32 v3, v3, 23, 0x3c000000
	s_delay_alu instid0(VALU_DEP_3) | instskip(NEXT) | instid1(VALU_DEP_1)
	v_and_b32_e32 v4, 0x80000000, v4
	v_or3_b32 v5, v5, v4, v3
	v_dual_mov_b32 v3, v7 :: v_dual_mov_b32 v4, v7
	s_clause 0x1
	scratch_store_b64 off, v[2:3], s32 offset:192
	scratch_store_b64 off, v[4:5], s32 offset:812
.LBB232_2295:                           ;   in Loop: Header=BB232_2089 Depth=1
	s_wait_xcnt 0x0
	s_or_b32 exec_lo, exec_lo, s19
.LBB232_2296:                           ;   in Loop: Header=BB232_2089 Depth=1
	s_delay_alu instid0(SALU_CYCLE_1)
	s_or_b32 exec_lo, exec_lo, s18
.LBB232_2297:                           ;   in Loop: Header=BB232_2089 Depth=1
	s_delay_alu instid0(SALU_CYCLE_1) | instskip(SKIP_3) | instid1(VALU_DEP_1)
	s_or_b32 exec_lo, exec_lo, s17
	v_mov_b64_e32 v[6:7], 0
	v_lshrrev_b32_e32 v3, 16, v2
	s_mov_b32 s17, exec_lo
	v_and_b32_e32 v4, 0xff, v3
	scratch_store_b64 off, v[6:7], s32 offset:212 ; 8-byte Folded Spill
	s_wait_xcnt 0x0
	v_mov_b64_e32 v[6:7], 0
	scratch_store_b64 off, v[6:7], s32 offset:220 ; 8-byte Folded Spill
	s_wait_xcnt 0x0
	v_cmpx_ne_u16_e32 0, v4
	s_cbranch_execz .LBB232_2305
; %bb.2298:                             ;   in Loop: Header=BB232_2089 Depth=1
	v_cmp_ne_u16_e64 s4, 0x80, v4
	v_mov_b64_e32 v[4:5], 0x80000000
	scratch_store_b64 off, v[4:5], s32 offset:220 ; 8-byte Folded Spill
	s_wait_xcnt 0x0
	s_and_saveexec_b32 s18, s4
	s_cbranch_execz .LBB232_2304
; %bb.2299:                             ;   in Loop: Header=BB232_2089 Depth=1
	v_mov_b64_e32 v[6:7], 0x7f800001
	v_bfe_u32 v5, v2, 16, 7
	s_mov_b32 s19, exec_lo
	scratch_store_b64 off, v[6:7], s32 offset:220 ; 8-byte Folded Spill
	s_wait_xcnt 0x0
	v_cmpx_ne_u32_e32 0x7f, v5
	s_cbranch_execz .LBB232_2303
; %bb.2300:                             ;   in Loop: Header=BB232_2089 Depth=1
	scratch_load_b64 v[8:9], off, s32 offset:192 th:TH_LOAD_LU ; 8-byte Folded Reload
	s_wait_loadcnt 0x0
	v_dual_lshrrev_b32 v4, 3, v5 :: v_dual_bitop2_b32 v8, 7, v3 bitop3:0x40
	s_mov_b32 s20, exec_lo
	s_wait_xcnt 0x0
	v_cmpx_gt_u32_e32 8, v5
; %bb.2301:                             ;   in Loop: Header=BB232_2089 Depth=1
	s_delay_alu instid0(VALU_DEP_2) | instskip(NEXT) | instid1(VALU_DEP_1)
	v_clz_i32_u32_e32 v4, v8
	v_min_u32_e32 v4, 32, v4
	s_delay_alu instid0(VALU_DEP_1) | instskip(NEXT) | instid1(VALU_DEP_1)
	v_subrev_nc_u32_e32 v5, 28, v4
	v_lshlrev_b64_e32 v[6:7], v5, v[8:9]
	s_delay_alu instid0(VALU_DEP_1)
	v_dual_sub_nc_u32 v4, 29, v4 :: v_dual_bitop2_b32 v8, 7, v6 bitop3:0x40
; %bb.2302:                             ;   in Loop: Header=BB232_2089 Depth=1
	s_or_b32 exec_lo, exec_lo, s20
	s_delay_alu instid0(VALU_DEP_1) | instskip(NEXT) | instid1(VALU_DEP_2)
	v_dual_lshlrev_b32 v3, 24, v3 :: v_dual_lshlrev_b32 v5, 20, v8
	v_lshl_add_u32 v4, v4, 23, 0x3c000000
	s_delay_alu instid0(VALU_DEP_2) | instskip(NEXT) | instid1(VALU_DEP_1)
	v_and_b32_e32 v3, 0x80000000, v3
	v_or3_b32 v8, v5, v3, v4
	v_mov_b32_e32 v3, v9
	s_clause 0x1
	scratch_store_b64 off, v[2:3], s32 offset:192
	scratch_store_b64 off, v[8:9], s32 offset:220
.LBB232_2303:                           ;   in Loop: Header=BB232_2089 Depth=1
	s_wait_xcnt 0x0
	s_or_b32 exec_lo, exec_lo, s19
.LBB232_2304:                           ;   in Loop: Header=BB232_2089 Depth=1
	s_delay_alu instid0(SALU_CYCLE_1)
	s_or_b32 exec_lo, exec_lo, s18
.LBB232_2305:                           ;   in Loop: Header=BB232_2089 Depth=1
	s_delay_alu instid0(SALU_CYCLE_1) | instskip(NEXT) | instid1(SALU_CYCLE_1)
	s_or_b32 exec_lo, exec_lo, s17
	s_mov_b32 s17, exec_lo
	v_cmpx_lt_u32_e32 0xffffff, v2
	s_cbranch_execz .LBB232_2313
; %bb.2306:                             ;   in Loop: Header=BB232_2089 Depth=1
	v_mov_b64_e32 v[4:5], 0x8000000000000000
	v_lshrrev_b32_e32 v3, 24, v2
	s_mov_b32 s18, exec_lo
	scratch_store_b64 off, v[4:5], s32 offset:212 ; 8-byte Folded Spill
	s_wait_xcnt 0x0
	v_cmpx_ne_u32_e32 0x80, v3
	s_cbranch_execz .LBB232_2312
; %bb.2307:                             ;   in Loop: Header=BB232_2089 Depth=1
	v_mov_b64_e32 v[6:7], 0x7f80000100000000
	v_bfe_u32 v4, v2, 24, 7
	s_mov_b32 s19, exec_lo
	scratch_store_b64 off, v[6:7], s32 offset:212 ; 8-byte Folded Spill
	s_wait_xcnt 0x0
	v_cmpx_ne_u32_e32 0x7f, v4
	s_cbranch_execz .LBB232_2311
; %bb.2308:                             ;   in Loop: Header=BB232_2089 Depth=1
	scratch_load_b64 v[6:7], off, s32 offset:192 th:TH_LOAD_LU ; 8-byte Folded Reload
	s_wait_loadcnt 0x0
	v_dual_lshrrev_b32 v2, 3, v4 :: v_dual_bitop2_b32 v6, 7, v3 bitop3:0x40
	s_mov_b32 s20, exec_lo
	s_wait_xcnt 0x0
	v_cmpx_gt_u32_e32 8, v4
; %bb.2309:                             ;   in Loop: Header=BB232_2089 Depth=1
	s_delay_alu instid0(VALU_DEP_2) | instskip(NEXT) | instid1(VALU_DEP_1)
	v_clz_i32_u32_e32 v2, v6
	v_min_u32_e32 v2, 32, v2
	s_delay_alu instid0(VALU_DEP_1) | instskip(NEXT) | instid1(VALU_DEP_1)
	v_subrev_nc_u32_e32 v4, 28, v2
	v_lshlrev_b64_e32 v[4:5], v4, v[6:7]
	s_delay_alu instid0(VALU_DEP_1)
	v_dual_sub_nc_u32 v2, 29, v2 :: v_dual_bitop2_b32 v6, 7, v4 bitop3:0x40
; %bb.2310:                             ;   in Loop: Header=BB232_2089 Depth=1
	s_or_b32 exec_lo, exec_lo, s20
	s_delay_alu instid0(VALU_DEP_1) | instskip(NEXT) | instid1(VALU_DEP_2)
	v_dual_lshlrev_b32 v3, 24, v3 :: v_dual_lshlrev_b32 v4, 20, v6
	v_lshl_add_u32 v2, v2, 23, 0x3c000000
	s_delay_alu instid0(VALU_DEP_2) | instskip(NEXT) | instid1(VALU_DEP_1)
	v_and_b32_e32 v3, 0x80000000, v3
	v_or3_b32 v5, v4, v3, v2
	v_dual_mov_b32 v3, v7 :: v_dual_mov_b32 v4, v7
	s_clause 0x1
	scratch_store_b64 off, v[2:3], s32 offset:192
	scratch_store_b64 off, v[4:5], s32 offset:212
.LBB232_2311:                           ;   in Loop: Header=BB232_2089 Depth=1
	s_wait_xcnt 0x0
	s_or_b32 exec_lo, exec_lo, s19
.LBB232_2312:                           ;   in Loop: Header=BB232_2089 Depth=1
	s_delay_alu instid0(SALU_CYCLE_1)
	s_or_b32 exec_lo, exec_lo, s18
.LBB232_2313:                           ;   in Loop: Header=BB232_2089 Depth=1
	s_delay_alu instid0(SALU_CYCLE_1)
	s_or_b32 exec_lo, exec_lo, s17
	flat_load_b32 v2, v[0:1] offset:896
	v_mov_b64_e32 v[4:5], 0
	s_mov_b32 s17, exec_lo
	scratch_store_b64 off, v[4:5], s32 offset:228 ; 8-byte Folded Spill
	s_wait_xcnt 0x0
	v_mov_b64_e32 v[4:5], 0
	scratch_store_b64 off, v[4:5], s32 offset:236 ; 8-byte Folded Spill
	s_wait_loadcnt_dscnt 0x0
	v_and_b32_e32 v3, 0xff, v2
	s_wait_xcnt 0x0
	s_delay_alu instid0(VALU_DEP_1)
	v_cmpx_ne_u16_e32 0, v3
	s_cbranch_execz .LBB232_2321
; %bb.2314:                             ;   in Loop: Header=BB232_2089 Depth=1
	v_mov_b64_e32 v[4:5], 0x80000000
	s_mov_b32 s18, exec_lo
	scratch_store_b64 off, v[4:5], s32 offset:236 ; 8-byte Folded Spill
	s_wait_xcnt 0x0
	v_cmpx_ne_u16_e32 0x80, v3
	s_cbranch_execz .LBB232_2320
; %bb.2315:                             ;   in Loop: Header=BB232_2089 Depth=1
	v_mov_b64_e32 v[6:7], 0x7f800001
	v_and_b32_e32 v4, 0x7f, v2
	s_mov_b32 s19, exec_lo
	scratch_store_b64 off, v[6:7], s32 offset:236 ; 8-byte Folded Spill
	s_wait_xcnt 0x0
	v_cmpx_ne_u32_e32 0x7f, v4
	s_cbranch_execz .LBB232_2319
; %bb.2316:                             ;   in Loop: Header=BB232_2089 Depth=1
	scratch_load_b64 v[6:7], off, s32 offset:192 th:TH_LOAD_LU ; 8-byte Folded Reload
	s_wait_loadcnt 0x0
	v_dual_lshrrev_b32 v3, 3, v4 :: v_dual_bitop2_b32 v6, 7, v2 bitop3:0x40
	s_mov_b32 s20, exec_lo
	s_wait_xcnt 0x0
	v_cmpx_gt_u32_e32 8, v4
; %bb.2317:                             ;   in Loop: Header=BB232_2089 Depth=1
	s_delay_alu instid0(VALU_DEP_2) | instskip(NEXT) | instid1(VALU_DEP_1)
	v_clz_i32_u32_e32 v3, v6
	v_min_u32_e32 v3, 32, v3
	s_delay_alu instid0(VALU_DEP_1) | instskip(NEXT) | instid1(VALU_DEP_1)
	v_subrev_nc_u32_e32 v4, 28, v3
	v_lshlrev_b64_e32 v[4:5], v4, v[6:7]
	s_delay_alu instid0(VALU_DEP_1)
	v_dual_sub_nc_u32 v3, 29, v3 :: v_dual_bitop2_b32 v6, 7, v4 bitop3:0x40
; %bb.2318:                             ;   in Loop: Header=BB232_2089 Depth=1
	s_or_b32 exec_lo, exec_lo, s20
	v_lshlrev_b32_e32 v4, 24, v2
	s_delay_alu instid0(VALU_DEP_2) | instskip(NEXT) | instid1(VALU_DEP_3)
	v_lshlrev_b32_e32 v5, 20, v6
	v_lshl_add_u32 v3, v3, 23, 0x3c000000
	s_delay_alu instid0(VALU_DEP_3) | instskip(NEXT) | instid1(VALU_DEP_1)
	v_and_b32_e32 v4, 0x80000000, v4
	v_or3_b32 v6, v5, v4, v3
	v_mov_b32_e32 v3, v7
	s_clause 0x1
	scratch_store_b64 off, v[2:3], s32 offset:192
	scratch_store_b64 off, v[6:7], s32 offset:236
.LBB232_2319:                           ;   in Loop: Header=BB232_2089 Depth=1
	s_wait_xcnt 0x0
	s_or_b32 exec_lo, exec_lo, s19
.LBB232_2320:                           ;   in Loop: Header=BB232_2089 Depth=1
	s_delay_alu instid0(SALU_CYCLE_1)
	s_or_b32 exec_lo, exec_lo, s18
.LBB232_2321:                           ;   in Loop: Header=BB232_2089 Depth=1
	s_delay_alu instid0(SALU_CYCLE_1) | instskip(SKIP_2) | instid1(VALU_DEP_1)
	s_or_b32 exec_lo, exec_lo, s17
	v_lshrrev_b16 v3, 8, v2
	s_mov_b32 s17, exec_lo
	v_cmpx_ne_u16_e32 0, v3
	s_cbranch_execz .LBB232_2329
; %bb.2322:                             ;   in Loop: Header=BB232_2089 Depth=1
	v_mov_b64_e32 v[4:5], 0x8000000000000000
	s_mov_b32 s18, exec_lo
	scratch_store_b64 off, v[4:5], s32 offset:228 ; 8-byte Folded Spill
	s_wait_xcnt 0x0
	v_cmpx_ne_u16_e32 0x80, v3
	s_cbranch_execz .LBB232_2328
; %bb.2323:                             ;   in Loop: Header=BB232_2089 Depth=1
	v_and_b32_e32 v3, 0xffff, v3
	v_mov_b64_e32 v[6:7], 0x7f80000100000000
	s_mov_b32 s19, exec_lo
	s_delay_alu instid0(VALU_DEP_2)
	v_and_b32_e32 v4, 0x7f, v3
	scratch_store_b64 off, v[6:7], s32 offset:228 ; 8-byte Folded Spill
	s_wait_xcnt 0x0
	v_cmpx_ne_u32_e32 0x7f, v4
	s_cbranch_execz .LBB232_2327
; %bb.2324:                             ;   in Loop: Header=BB232_2089 Depth=1
	scratch_load_b64 v[6:7], off, s32 offset:192 th:TH_LOAD_LU ; 8-byte Folded Reload
	s_wait_loadcnt 0x0
	v_dual_lshrrev_b32 v3, 3, v4 :: v_dual_bitop2_b32 v6, 7, v3 bitop3:0x40
	s_mov_b32 s20, exec_lo
	s_wait_xcnt 0x0
	v_cmpx_gt_u32_e32 8, v4
; %bb.2325:                             ;   in Loop: Header=BB232_2089 Depth=1
	s_delay_alu instid0(VALU_DEP_2) | instskip(NEXT) | instid1(VALU_DEP_1)
	v_clz_i32_u32_e32 v3, v6
	v_min_u32_e32 v3, 32, v3
	s_delay_alu instid0(VALU_DEP_1) | instskip(NEXT) | instid1(VALU_DEP_1)
	v_subrev_nc_u32_e32 v4, 28, v3
	v_lshlrev_b64_e32 v[4:5], v4, v[6:7]
	s_delay_alu instid0(VALU_DEP_1)
	v_dual_sub_nc_u32 v3, 29, v3 :: v_dual_bitop2_b32 v6, 7, v4 bitop3:0x40
; %bb.2326:                             ;   in Loop: Header=BB232_2089 Depth=1
	s_or_b32 exec_lo, exec_lo, s20
	v_lshlrev_b32_e32 v4, 16, v2
	s_delay_alu instid0(VALU_DEP_2) | instskip(NEXT) | instid1(VALU_DEP_3)
	v_lshlrev_b32_e32 v5, 20, v6
	v_lshl_add_u32 v3, v3, 23, 0x3c000000
	s_delay_alu instid0(VALU_DEP_3) | instskip(NEXT) | instid1(VALU_DEP_1)
	v_and_b32_e32 v4, 0x80000000, v4
	v_or3_b32 v5, v5, v4, v3
	v_dual_mov_b32 v3, v7 :: v_dual_mov_b32 v4, v7
	s_clause 0x1
	scratch_store_b64 off, v[2:3], s32 offset:192
	scratch_store_b64 off, v[4:5], s32 offset:228
.LBB232_2327:                           ;   in Loop: Header=BB232_2089 Depth=1
	s_wait_xcnt 0x0
	s_or_b32 exec_lo, exec_lo, s19
.LBB232_2328:                           ;   in Loop: Header=BB232_2089 Depth=1
	s_delay_alu instid0(SALU_CYCLE_1)
	s_or_b32 exec_lo, exec_lo, s18
.LBB232_2329:                           ;   in Loop: Header=BB232_2089 Depth=1
	s_delay_alu instid0(SALU_CYCLE_1) | instskip(SKIP_3) | instid1(VALU_DEP_1)
	s_or_b32 exec_lo, exec_lo, s17
	v_mov_b64_e32 v[6:7], 0
	v_lshrrev_b32_e32 v3, 16, v2
	s_mov_b32 s17, exec_lo
	v_and_b32_e32 v4, 0xff, v3
	scratch_store_b64 off, v[6:7], s32 offset:244 ; 8-byte Folded Spill
	s_wait_xcnt 0x0
	v_mov_b64_e32 v[6:7], 0
	scratch_store_b64 off, v[6:7], s32 offset:252 ; 8-byte Folded Spill
	s_wait_xcnt 0x0
	v_cmpx_ne_u16_e32 0, v4
	s_cbranch_execz .LBB232_2337
; %bb.2330:                             ;   in Loop: Header=BB232_2089 Depth=1
	v_cmp_ne_u16_e64 s4, 0x80, v4
	v_mov_b64_e32 v[4:5], 0x80000000
	scratch_store_b64 off, v[4:5], s32 offset:252 ; 8-byte Folded Spill
	s_wait_xcnt 0x0
	s_and_saveexec_b32 s18, s4
	s_cbranch_execz .LBB232_2336
; %bb.2331:                             ;   in Loop: Header=BB232_2089 Depth=1
	v_mov_b64_e32 v[6:7], 0x7f800001
	v_bfe_u32 v5, v2, 16, 7
	s_mov_b32 s19, exec_lo
	scratch_store_b64 off, v[6:7], s32 offset:252 ; 8-byte Folded Spill
	s_wait_xcnt 0x0
	v_cmpx_ne_u32_e32 0x7f, v5
	s_cbranch_execz .LBB232_2335
; %bb.2332:                             ;   in Loop: Header=BB232_2089 Depth=1
	scratch_load_b64 v[8:9], off, s32 offset:192 th:TH_LOAD_LU ; 8-byte Folded Reload
	s_wait_loadcnt 0x0
	v_dual_lshrrev_b32 v4, 3, v5 :: v_dual_bitop2_b32 v8, 7, v3 bitop3:0x40
	s_mov_b32 s20, exec_lo
	s_wait_xcnt 0x0
	v_cmpx_gt_u32_e32 8, v5
; %bb.2333:                             ;   in Loop: Header=BB232_2089 Depth=1
	s_delay_alu instid0(VALU_DEP_2) | instskip(NEXT) | instid1(VALU_DEP_1)
	v_clz_i32_u32_e32 v4, v8
	v_min_u32_e32 v4, 32, v4
	s_delay_alu instid0(VALU_DEP_1) | instskip(NEXT) | instid1(VALU_DEP_1)
	v_subrev_nc_u32_e32 v5, 28, v4
	v_lshlrev_b64_e32 v[6:7], v5, v[8:9]
	s_delay_alu instid0(VALU_DEP_1)
	v_dual_sub_nc_u32 v4, 29, v4 :: v_dual_bitop2_b32 v8, 7, v6 bitop3:0x40
; %bb.2334:                             ;   in Loop: Header=BB232_2089 Depth=1
	s_or_b32 exec_lo, exec_lo, s20
	s_delay_alu instid0(VALU_DEP_1) | instskip(NEXT) | instid1(VALU_DEP_2)
	v_dual_lshlrev_b32 v3, 24, v3 :: v_dual_lshlrev_b32 v5, 20, v8
	v_lshl_add_u32 v4, v4, 23, 0x3c000000
	s_delay_alu instid0(VALU_DEP_2) | instskip(NEXT) | instid1(VALU_DEP_1)
	v_and_b32_e32 v3, 0x80000000, v3
	v_or3_b32 v8, v5, v3, v4
	v_mov_b32_e32 v3, v9
	s_clause 0x1
	scratch_store_b64 off, v[2:3], s32 offset:192
	scratch_store_b64 off, v[8:9], s32 offset:252
.LBB232_2335:                           ;   in Loop: Header=BB232_2089 Depth=1
	s_wait_xcnt 0x0
	s_or_b32 exec_lo, exec_lo, s19
.LBB232_2336:                           ;   in Loop: Header=BB232_2089 Depth=1
	s_delay_alu instid0(SALU_CYCLE_1)
	s_or_b32 exec_lo, exec_lo, s18
.LBB232_2337:                           ;   in Loop: Header=BB232_2089 Depth=1
	s_delay_alu instid0(SALU_CYCLE_1) | instskip(NEXT) | instid1(SALU_CYCLE_1)
	s_or_b32 exec_lo, exec_lo, s17
	s_mov_b32 s17, exec_lo
	v_cmpx_lt_u32_e32 0xffffff, v2
	s_cbranch_execz .LBB232_2345
; %bb.2338:                             ;   in Loop: Header=BB232_2089 Depth=1
	v_mov_b64_e32 v[4:5], 0x8000000000000000
	v_lshrrev_b32_e32 v3, 24, v2
	s_mov_b32 s18, exec_lo
	scratch_store_b64 off, v[4:5], s32 offset:244 ; 8-byte Folded Spill
	s_wait_xcnt 0x0
	v_cmpx_ne_u32_e32 0x80, v3
	s_cbranch_execz .LBB232_2344
; %bb.2339:                             ;   in Loop: Header=BB232_2089 Depth=1
	v_mov_b64_e32 v[6:7], 0x7f80000100000000
	v_bfe_u32 v4, v2, 24, 7
	s_mov_b32 s19, exec_lo
	scratch_store_b64 off, v[6:7], s32 offset:244 ; 8-byte Folded Spill
	s_wait_xcnt 0x0
	v_cmpx_ne_u32_e32 0x7f, v4
	s_cbranch_execz .LBB232_2343
; %bb.2340:                             ;   in Loop: Header=BB232_2089 Depth=1
	scratch_load_b64 v[6:7], off, s32 offset:192 th:TH_LOAD_LU ; 8-byte Folded Reload
	s_wait_loadcnt 0x0
	v_dual_lshrrev_b32 v2, 3, v4 :: v_dual_bitop2_b32 v6, 7, v3 bitop3:0x40
	s_mov_b32 s20, exec_lo
	s_wait_xcnt 0x0
	v_cmpx_gt_u32_e32 8, v4
; %bb.2341:                             ;   in Loop: Header=BB232_2089 Depth=1
	s_delay_alu instid0(VALU_DEP_2) | instskip(NEXT) | instid1(VALU_DEP_1)
	v_clz_i32_u32_e32 v2, v6
	v_min_u32_e32 v2, 32, v2
	s_delay_alu instid0(VALU_DEP_1) | instskip(NEXT) | instid1(VALU_DEP_1)
	v_subrev_nc_u32_e32 v4, 28, v2
	v_lshlrev_b64_e32 v[4:5], v4, v[6:7]
	s_delay_alu instid0(VALU_DEP_1)
	v_dual_sub_nc_u32 v2, 29, v2 :: v_dual_bitop2_b32 v6, 7, v4 bitop3:0x40
; %bb.2342:                             ;   in Loop: Header=BB232_2089 Depth=1
	s_or_b32 exec_lo, exec_lo, s20
	s_delay_alu instid0(VALU_DEP_1) | instskip(NEXT) | instid1(VALU_DEP_2)
	v_dual_lshlrev_b32 v3, 24, v3 :: v_dual_lshlrev_b32 v4, 20, v6
	v_lshl_add_u32 v2, v2, 23, 0x3c000000
	s_delay_alu instid0(VALU_DEP_2) | instskip(NEXT) | instid1(VALU_DEP_1)
	v_and_b32_e32 v3, 0x80000000, v3
	v_or3_b32 v5, v4, v3, v2
	v_dual_mov_b32 v3, v7 :: v_dual_mov_b32 v4, v7
	s_clause 0x1
	scratch_store_b64 off, v[2:3], s32 offset:192
	scratch_store_b64 off, v[4:5], s32 offset:244
.LBB232_2343:                           ;   in Loop: Header=BB232_2089 Depth=1
	s_wait_xcnt 0x0
	s_or_b32 exec_lo, exec_lo, s19
.LBB232_2344:                           ;   in Loop: Header=BB232_2089 Depth=1
	s_delay_alu instid0(SALU_CYCLE_1)
	s_or_b32 exec_lo, exec_lo, s18
.LBB232_2345:                           ;   in Loop: Header=BB232_2089 Depth=1
	s_delay_alu instid0(SALU_CYCLE_1)
	s_or_b32 exec_lo, exec_lo, s17
	flat_load_b32 v2, v[0:1] offset:1024
	v_mov_b64_e32 v[4:5], 0
	s_mov_b32 s17, exec_lo
	scratch_store_b64 off, v[4:5], s32 offset:260 ; 8-byte Folded Spill
	s_wait_xcnt 0x0
	v_mov_b64_e32 v[4:5], 0
	scratch_store_b64 off, v[4:5], s32 offset:268 ; 8-byte Folded Spill
	s_wait_loadcnt_dscnt 0x0
	v_and_b32_e32 v3, 0xff, v2
	s_wait_xcnt 0x0
	s_delay_alu instid0(VALU_DEP_1)
	v_cmpx_ne_u16_e32 0, v3
	s_cbranch_execz .LBB232_2353
; %bb.2346:                             ;   in Loop: Header=BB232_2089 Depth=1
	v_mov_b64_e32 v[4:5], 0x80000000
	s_mov_b32 s18, exec_lo
	scratch_store_b64 off, v[4:5], s32 offset:268 ; 8-byte Folded Spill
	s_wait_xcnt 0x0
	v_cmpx_ne_u16_e32 0x80, v3
	s_cbranch_execz .LBB232_2352
; %bb.2347:                             ;   in Loop: Header=BB232_2089 Depth=1
	v_mov_b64_e32 v[6:7], 0x7f800001
	v_and_b32_e32 v4, 0x7f, v2
	s_mov_b32 s19, exec_lo
	scratch_store_b64 off, v[6:7], s32 offset:268 ; 8-byte Folded Spill
	s_wait_xcnt 0x0
	v_cmpx_ne_u32_e32 0x7f, v4
	s_cbranch_execz .LBB232_2351
; %bb.2348:                             ;   in Loop: Header=BB232_2089 Depth=1
	scratch_load_b64 v[6:7], off, s32 offset:192 th:TH_LOAD_LU ; 8-byte Folded Reload
	s_wait_loadcnt 0x0
	v_dual_lshrrev_b32 v3, 3, v4 :: v_dual_bitop2_b32 v6, 7, v2 bitop3:0x40
	s_mov_b32 s20, exec_lo
	s_wait_xcnt 0x0
	v_cmpx_gt_u32_e32 8, v4
; %bb.2349:                             ;   in Loop: Header=BB232_2089 Depth=1
	s_delay_alu instid0(VALU_DEP_2) | instskip(NEXT) | instid1(VALU_DEP_1)
	v_clz_i32_u32_e32 v3, v6
	v_min_u32_e32 v3, 32, v3
	s_delay_alu instid0(VALU_DEP_1) | instskip(NEXT) | instid1(VALU_DEP_1)
	v_subrev_nc_u32_e32 v4, 28, v3
	v_lshlrev_b64_e32 v[4:5], v4, v[6:7]
	s_delay_alu instid0(VALU_DEP_1)
	v_dual_sub_nc_u32 v3, 29, v3 :: v_dual_bitop2_b32 v6, 7, v4 bitop3:0x40
; %bb.2350:                             ;   in Loop: Header=BB232_2089 Depth=1
	s_or_b32 exec_lo, exec_lo, s20
	v_lshlrev_b32_e32 v4, 24, v2
	s_delay_alu instid0(VALU_DEP_2) | instskip(NEXT) | instid1(VALU_DEP_3)
	v_lshlrev_b32_e32 v5, 20, v6
	v_lshl_add_u32 v3, v3, 23, 0x3c000000
	s_delay_alu instid0(VALU_DEP_3) | instskip(NEXT) | instid1(VALU_DEP_1)
	v_and_b32_e32 v4, 0x80000000, v4
	v_or3_b32 v6, v5, v4, v3
	v_mov_b32_e32 v3, v7
	s_clause 0x1
	scratch_store_b64 off, v[2:3], s32 offset:192
	scratch_store_b64 off, v[6:7], s32 offset:268
.LBB232_2351:                           ;   in Loop: Header=BB232_2089 Depth=1
	s_wait_xcnt 0x0
	s_or_b32 exec_lo, exec_lo, s19
.LBB232_2352:                           ;   in Loop: Header=BB232_2089 Depth=1
	s_delay_alu instid0(SALU_CYCLE_1)
	s_or_b32 exec_lo, exec_lo, s18
.LBB232_2353:                           ;   in Loop: Header=BB232_2089 Depth=1
	s_delay_alu instid0(SALU_CYCLE_1) | instskip(SKIP_2) | instid1(VALU_DEP_1)
	s_or_b32 exec_lo, exec_lo, s17
	v_lshrrev_b16 v3, 8, v2
	s_mov_b32 s17, exec_lo
	v_cmpx_ne_u16_e32 0, v3
	s_cbranch_execz .LBB232_2361
; %bb.2354:                             ;   in Loop: Header=BB232_2089 Depth=1
	v_mov_b64_e32 v[4:5], 0x8000000000000000
	s_mov_b32 s18, exec_lo
	scratch_store_b64 off, v[4:5], s32 offset:260 ; 8-byte Folded Spill
	s_wait_xcnt 0x0
	v_cmpx_ne_u16_e32 0x80, v3
	s_cbranch_execz .LBB232_2360
; %bb.2355:                             ;   in Loop: Header=BB232_2089 Depth=1
	v_and_b32_e32 v3, 0xffff, v3
	v_mov_b64_e32 v[6:7], 0x7f80000100000000
	s_mov_b32 s19, exec_lo
	s_delay_alu instid0(VALU_DEP_2)
	v_and_b32_e32 v4, 0x7f, v3
	scratch_store_b64 off, v[6:7], s32 offset:260 ; 8-byte Folded Spill
	s_wait_xcnt 0x0
	v_cmpx_ne_u32_e32 0x7f, v4
	s_cbranch_execz .LBB232_2359
; %bb.2356:                             ;   in Loop: Header=BB232_2089 Depth=1
	scratch_load_b64 v[6:7], off, s32 offset:192 th:TH_LOAD_LU ; 8-byte Folded Reload
	s_wait_loadcnt 0x0
	v_dual_lshrrev_b32 v3, 3, v4 :: v_dual_bitop2_b32 v6, 7, v3 bitop3:0x40
	s_mov_b32 s20, exec_lo
	s_wait_xcnt 0x0
	v_cmpx_gt_u32_e32 8, v4
; %bb.2357:                             ;   in Loop: Header=BB232_2089 Depth=1
	s_delay_alu instid0(VALU_DEP_2) | instskip(NEXT) | instid1(VALU_DEP_1)
	v_clz_i32_u32_e32 v3, v6
	v_min_u32_e32 v3, 32, v3
	s_delay_alu instid0(VALU_DEP_1) | instskip(NEXT) | instid1(VALU_DEP_1)
	v_subrev_nc_u32_e32 v4, 28, v3
	v_lshlrev_b64_e32 v[4:5], v4, v[6:7]
	s_delay_alu instid0(VALU_DEP_1)
	v_dual_sub_nc_u32 v3, 29, v3 :: v_dual_bitop2_b32 v6, 7, v4 bitop3:0x40
; %bb.2358:                             ;   in Loop: Header=BB232_2089 Depth=1
	s_or_b32 exec_lo, exec_lo, s20
	v_lshlrev_b32_e32 v4, 16, v2
	s_delay_alu instid0(VALU_DEP_2) | instskip(NEXT) | instid1(VALU_DEP_3)
	v_lshlrev_b32_e32 v5, 20, v6
	v_lshl_add_u32 v3, v3, 23, 0x3c000000
	s_delay_alu instid0(VALU_DEP_3) | instskip(NEXT) | instid1(VALU_DEP_1)
	v_and_b32_e32 v4, 0x80000000, v4
	v_or3_b32 v5, v5, v4, v3
	v_dual_mov_b32 v3, v7 :: v_dual_mov_b32 v4, v7
	s_clause 0x1
	scratch_store_b64 off, v[2:3], s32 offset:192
	scratch_store_b64 off, v[4:5], s32 offset:260
.LBB232_2359:                           ;   in Loop: Header=BB232_2089 Depth=1
	s_wait_xcnt 0x0
	s_or_b32 exec_lo, exec_lo, s19
.LBB232_2360:                           ;   in Loop: Header=BB232_2089 Depth=1
	s_delay_alu instid0(SALU_CYCLE_1)
	s_or_b32 exec_lo, exec_lo, s18
.LBB232_2361:                           ;   in Loop: Header=BB232_2089 Depth=1
	s_delay_alu instid0(SALU_CYCLE_1) | instskip(SKIP_3) | instid1(VALU_DEP_1)
	s_or_b32 exec_lo, exec_lo, s17
	v_mov_b64_e32 v[6:7], 0
	v_lshrrev_b32_e32 v3, 16, v2
	s_mov_b32 s17, exec_lo
	v_and_b32_e32 v4, 0xff, v3
	scratch_store_b64 off, v[6:7], s32 offset:276 ; 8-byte Folded Spill
	s_wait_xcnt 0x0
	v_mov_b64_e32 v[6:7], 0
	scratch_store_b64 off, v[6:7], s32 offset:284 ; 8-byte Folded Spill
	s_wait_xcnt 0x0
	v_cmpx_ne_u16_e32 0, v4
	s_cbranch_execz .LBB232_2369
; %bb.2362:                             ;   in Loop: Header=BB232_2089 Depth=1
	v_cmp_ne_u16_e64 s4, 0x80, v4
	v_mov_b64_e32 v[4:5], 0x80000000
	scratch_store_b64 off, v[4:5], s32 offset:284 ; 8-byte Folded Spill
	s_wait_xcnt 0x0
	s_and_saveexec_b32 s18, s4
	s_cbranch_execz .LBB232_2368
; %bb.2363:                             ;   in Loop: Header=BB232_2089 Depth=1
	v_mov_b64_e32 v[6:7], 0x7f800001
	v_bfe_u32 v5, v2, 16, 7
	s_mov_b32 s19, exec_lo
	scratch_store_b64 off, v[6:7], s32 offset:284 ; 8-byte Folded Spill
	s_wait_xcnt 0x0
	v_cmpx_ne_u32_e32 0x7f, v5
	s_cbranch_execz .LBB232_2367
; %bb.2364:                             ;   in Loop: Header=BB232_2089 Depth=1
	scratch_load_b64 v[8:9], off, s32 offset:192 th:TH_LOAD_LU ; 8-byte Folded Reload
	s_wait_loadcnt 0x0
	v_dual_lshrrev_b32 v4, 3, v5 :: v_dual_bitop2_b32 v8, 7, v3 bitop3:0x40
	s_mov_b32 s20, exec_lo
	s_wait_xcnt 0x0
	v_cmpx_gt_u32_e32 8, v5
; %bb.2365:                             ;   in Loop: Header=BB232_2089 Depth=1
	s_delay_alu instid0(VALU_DEP_2) | instskip(NEXT) | instid1(VALU_DEP_1)
	v_clz_i32_u32_e32 v4, v8
	v_min_u32_e32 v4, 32, v4
	s_delay_alu instid0(VALU_DEP_1) | instskip(NEXT) | instid1(VALU_DEP_1)
	v_subrev_nc_u32_e32 v5, 28, v4
	v_lshlrev_b64_e32 v[6:7], v5, v[8:9]
	s_delay_alu instid0(VALU_DEP_1)
	v_dual_sub_nc_u32 v4, 29, v4 :: v_dual_bitop2_b32 v8, 7, v6 bitop3:0x40
; %bb.2366:                             ;   in Loop: Header=BB232_2089 Depth=1
	s_or_b32 exec_lo, exec_lo, s20
	s_delay_alu instid0(VALU_DEP_1) | instskip(NEXT) | instid1(VALU_DEP_2)
	v_dual_lshlrev_b32 v3, 24, v3 :: v_dual_lshlrev_b32 v5, 20, v8
	v_lshl_add_u32 v4, v4, 23, 0x3c000000
	s_delay_alu instid0(VALU_DEP_2) | instskip(NEXT) | instid1(VALU_DEP_1)
	v_and_b32_e32 v3, 0x80000000, v3
	v_or3_b32 v8, v5, v3, v4
	v_mov_b32_e32 v3, v9
	s_clause 0x1
	scratch_store_b64 off, v[2:3], s32 offset:192
	scratch_store_b64 off, v[8:9], s32 offset:284
.LBB232_2367:                           ;   in Loop: Header=BB232_2089 Depth=1
	s_wait_xcnt 0x0
	s_or_b32 exec_lo, exec_lo, s19
.LBB232_2368:                           ;   in Loop: Header=BB232_2089 Depth=1
	s_delay_alu instid0(SALU_CYCLE_1)
	s_or_b32 exec_lo, exec_lo, s18
.LBB232_2369:                           ;   in Loop: Header=BB232_2089 Depth=1
	s_delay_alu instid0(SALU_CYCLE_1) | instskip(NEXT) | instid1(SALU_CYCLE_1)
	s_or_b32 exec_lo, exec_lo, s17
	s_mov_b32 s17, exec_lo
	v_cmpx_lt_u32_e32 0xffffff, v2
	s_cbranch_execz .LBB232_2377
; %bb.2370:                             ;   in Loop: Header=BB232_2089 Depth=1
	v_mov_b64_e32 v[4:5], 0x8000000000000000
	v_lshrrev_b32_e32 v3, 24, v2
	s_mov_b32 s18, exec_lo
	scratch_store_b64 off, v[4:5], s32 offset:276 ; 8-byte Folded Spill
	s_wait_xcnt 0x0
	v_cmpx_ne_u32_e32 0x80, v3
	s_cbranch_execz .LBB232_2376
; %bb.2371:                             ;   in Loop: Header=BB232_2089 Depth=1
	v_mov_b64_e32 v[6:7], 0x7f80000100000000
	v_bfe_u32 v4, v2, 24, 7
	s_mov_b32 s19, exec_lo
	scratch_store_b64 off, v[6:7], s32 offset:276 ; 8-byte Folded Spill
	s_wait_xcnt 0x0
	v_cmpx_ne_u32_e32 0x7f, v4
	s_cbranch_execz .LBB232_2375
; %bb.2372:                             ;   in Loop: Header=BB232_2089 Depth=1
	scratch_load_b64 v[6:7], off, s32 offset:192 th:TH_LOAD_LU ; 8-byte Folded Reload
	s_wait_loadcnt 0x0
	v_dual_lshrrev_b32 v2, 3, v4 :: v_dual_bitop2_b32 v6, 7, v3 bitop3:0x40
	s_mov_b32 s20, exec_lo
	s_wait_xcnt 0x0
	v_cmpx_gt_u32_e32 8, v4
; %bb.2373:                             ;   in Loop: Header=BB232_2089 Depth=1
	s_delay_alu instid0(VALU_DEP_2) | instskip(NEXT) | instid1(VALU_DEP_1)
	v_clz_i32_u32_e32 v2, v6
	v_min_u32_e32 v2, 32, v2
	s_delay_alu instid0(VALU_DEP_1) | instskip(NEXT) | instid1(VALU_DEP_1)
	v_subrev_nc_u32_e32 v4, 28, v2
	v_lshlrev_b64_e32 v[4:5], v4, v[6:7]
	s_delay_alu instid0(VALU_DEP_1)
	v_dual_sub_nc_u32 v2, 29, v2 :: v_dual_bitop2_b32 v6, 7, v4 bitop3:0x40
; %bb.2374:                             ;   in Loop: Header=BB232_2089 Depth=1
	s_or_b32 exec_lo, exec_lo, s20
	s_delay_alu instid0(VALU_DEP_1) | instskip(NEXT) | instid1(VALU_DEP_2)
	v_dual_lshlrev_b32 v3, 24, v3 :: v_dual_lshlrev_b32 v4, 20, v6
	v_lshl_add_u32 v2, v2, 23, 0x3c000000
	s_delay_alu instid0(VALU_DEP_2) | instskip(NEXT) | instid1(VALU_DEP_1)
	v_and_b32_e32 v3, 0x80000000, v3
	v_or3_b32 v5, v4, v3, v2
	v_dual_mov_b32 v3, v7 :: v_dual_mov_b32 v4, v7
	s_clause 0x1
	scratch_store_b64 off, v[2:3], s32 offset:192
	scratch_store_b64 off, v[4:5], s32 offset:276
.LBB232_2375:                           ;   in Loop: Header=BB232_2089 Depth=1
	s_wait_xcnt 0x0
	s_or_b32 exec_lo, exec_lo, s19
.LBB232_2376:                           ;   in Loop: Header=BB232_2089 Depth=1
	s_delay_alu instid0(SALU_CYCLE_1)
	s_or_b32 exec_lo, exec_lo, s18
.LBB232_2377:                           ;   in Loop: Header=BB232_2089 Depth=1
	s_delay_alu instid0(SALU_CYCLE_1)
	s_or_b32 exec_lo, exec_lo, s17
	flat_load_b32 v2, v[0:1] offset:1152
	v_mov_b64_e32 v[4:5], 0
	s_mov_b32 s17, exec_lo
	scratch_store_b64 off, v[4:5], s32 offset:292 ; 8-byte Folded Spill
	s_wait_xcnt 0x0
	v_mov_b64_e32 v[4:5], 0
	scratch_store_b64 off, v[4:5], s32 offset:300 ; 8-byte Folded Spill
	s_wait_loadcnt_dscnt 0x0
	v_and_b32_e32 v3, 0xff, v2
	s_wait_xcnt 0x0
	s_delay_alu instid0(VALU_DEP_1)
	v_cmpx_ne_u16_e32 0, v3
	s_cbranch_execz .LBB232_2385
; %bb.2378:                             ;   in Loop: Header=BB232_2089 Depth=1
	v_mov_b64_e32 v[4:5], 0x80000000
	s_mov_b32 s18, exec_lo
	scratch_store_b64 off, v[4:5], s32 offset:300 ; 8-byte Folded Spill
	s_wait_xcnt 0x0
	v_cmpx_ne_u16_e32 0x80, v3
	s_cbranch_execz .LBB232_2384
; %bb.2379:                             ;   in Loop: Header=BB232_2089 Depth=1
	v_mov_b64_e32 v[6:7], 0x7f800001
	v_and_b32_e32 v4, 0x7f, v2
	s_mov_b32 s19, exec_lo
	scratch_store_b64 off, v[6:7], s32 offset:300 ; 8-byte Folded Spill
	s_wait_xcnt 0x0
	v_cmpx_ne_u32_e32 0x7f, v4
	s_cbranch_execz .LBB232_2383
; %bb.2380:                             ;   in Loop: Header=BB232_2089 Depth=1
	scratch_load_b64 v[6:7], off, s32 offset:192 th:TH_LOAD_LU ; 8-byte Folded Reload
	s_wait_loadcnt 0x0
	v_dual_lshrrev_b32 v3, 3, v4 :: v_dual_bitop2_b32 v6, 7, v2 bitop3:0x40
	s_mov_b32 s20, exec_lo
	s_wait_xcnt 0x0
	v_cmpx_gt_u32_e32 8, v4
; %bb.2381:                             ;   in Loop: Header=BB232_2089 Depth=1
	s_delay_alu instid0(VALU_DEP_2) | instskip(NEXT) | instid1(VALU_DEP_1)
	v_clz_i32_u32_e32 v3, v6
	v_min_u32_e32 v3, 32, v3
	s_delay_alu instid0(VALU_DEP_1) | instskip(NEXT) | instid1(VALU_DEP_1)
	v_subrev_nc_u32_e32 v4, 28, v3
	v_lshlrev_b64_e32 v[4:5], v4, v[6:7]
	s_delay_alu instid0(VALU_DEP_1)
	v_dual_sub_nc_u32 v3, 29, v3 :: v_dual_bitop2_b32 v6, 7, v4 bitop3:0x40
; %bb.2382:                             ;   in Loop: Header=BB232_2089 Depth=1
	s_or_b32 exec_lo, exec_lo, s20
	v_lshlrev_b32_e32 v4, 24, v2
	s_delay_alu instid0(VALU_DEP_2) | instskip(NEXT) | instid1(VALU_DEP_3)
	v_lshlrev_b32_e32 v5, 20, v6
	v_lshl_add_u32 v3, v3, 23, 0x3c000000
	s_delay_alu instid0(VALU_DEP_3) | instskip(NEXT) | instid1(VALU_DEP_1)
	v_and_b32_e32 v4, 0x80000000, v4
	v_or3_b32 v6, v5, v4, v3
	v_mov_b32_e32 v3, v7
	s_clause 0x1
	scratch_store_b64 off, v[2:3], s32 offset:192
	scratch_store_b64 off, v[6:7], s32 offset:300
.LBB232_2383:                           ;   in Loop: Header=BB232_2089 Depth=1
	s_wait_xcnt 0x0
	s_or_b32 exec_lo, exec_lo, s19
.LBB232_2384:                           ;   in Loop: Header=BB232_2089 Depth=1
	s_delay_alu instid0(SALU_CYCLE_1)
	s_or_b32 exec_lo, exec_lo, s18
.LBB232_2385:                           ;   in Loop: Header=BB232_2089 Depth=1
	s_delay_alu instid0(SALU_CYCLE_1) | instskip(SKIP_2) | instid1(VALU_DEP_1)
	s_or_b32 exec_lo, exec_lo, s17
	v_lshrrev_b16 v3, 8, v2
	s_mov_b32 s17, exec_lo
	v_cmpx_ne_u16_e32 0, v3
	s_cbranch_execz .LBB232_2393
; %bb.2386:                             ;   in Loop: Header=BB232_2089 Depth=1
	v_mov_b64_e32 v[4:5], 0x8000000000000000
	s_mov_b32 s18, exec_lo
	scratch_store_b64 off, v[4:5], s32 offset:292 ; 8-byte Folded Spill
	s_wait_xcnt 0x0
	v_cmpx_ne_u16_e32 0x80, v3
	s_cbranch_execz .LBB232_2392
; %bb.2387:                             ;   in Loop: Header=BB232_2089 Depth=1
	v_and_b32_e32 v3, 0xffff, v3
	v_mov_b64_e32 v[6:7], 0x7f80000100000000
	s_mov_b32 s19, exec_lo
	s_delay_alu instid0(VALU_DEP_2)
	v_and_b32_e32 v4, 0x7f, v3
	scratch_store_b64 off, v[6:7], s32 offset:292 ; 8-byte Folded Spill
	s_wait_xcnt 0x0
	v_cmpx_ne_u32_e32 0x7f, v4
	s_cbranch_execz .LBB232_2391
; %bb.2388:                             ;   in Loop: Header=BB232_2089 Depth=1
	scratch_load_b64 v[6:7], off, s32 offset:192 th:TH_LOAD_LU ; 8-byte Folded Reload
	s_wait_loadcnt 0x0
	v_dual_lshrrev_b32 v3, 3, v4 :: v_dual_bitop2_b32 v6, 7, v3 bitop3:0x40
	s_mov_b32 s20, exec_lo
	s_wait_xcnt 0x0
	v_cmpx_gt_u32_e32 8, v4
; %bb.2389:                             ;   in Loop: Header=BB232_2089 Depth=1
	s_delay_alu instid0(VALU_DEP_2) | instskip(NEXT) | instid1(VALU_DEP_1)
	v_clz_i32_u32_e32 v3, v6
	v_min_u32_e32 v3, 32, v3
	s_delay_alu instid0(VALU_DEP_1) | instskip(NEXT) | instid1(VALU_DEP_1)
	v_subrev_nc_u32_e32 v4, 28, v3
	v_lshlrev_b64_e32 v[4:5], v4, v[6:7]
	s_delay_alu instid0(VALU_DEP_1)
	v_dual_sub_nc_u32 v3, 29, v3 :: v_dual_bitop2_b32 v6, 7, v4 bitop3:0x40
; %bb.2390:                             ;   in Loop: Header=BB232_2089 Depth=1
	s_or_b32 exec_lo, exec_lo, s20
	v_lshlrev_b32_e32 v4, 16, v2
	s_delay_alu instid0(VALU_DEP_2) | instskip(NEXT) | instid1(VALU_DEP_3)
	v_lshlrev_b32_e32 v5, 20, v6
	v_lshl_add_u32 v3, v3, 23, 0x3c000000
	s_delay_alu instid0(VALU_DEP_3) | instskip(NEXT) | instid1(VALU_DEP_1)
	v_and_b32_e32 v4, 0x80000000, v4
	v_or3_b32 v5, v5, v4, v3
	v_dual_mov_b32 v3, v7 :: v_dual_mov_b32 v4, v7
	s_clause 0x1
	scratch_store_b64 off, v[2:3], s32 offset:192
	scratch_store_b64 off, v[4:5], s32 offset:292
.LBB232_2391:                           ;   in Loop: Header=BB232_2089 Depth=1
	s_wait_xcnt 0x0
	s_or_b32 exec_lo, exec_lo, s19
.LBB232_2392:                           ;   in Loop: Header=BB232_2089 Depth=1
	s_delay_alu instid0(SALU_CYCLE_1)
	s_or_b32 exec_lo, exec_lo, s18
.LBB232_2393:                           ;   in Loop: Header=BB232_2089 Depth=1
	s_delay_alu instid0(SALU_CYCLE_1) | instskip(SKIP_3) | instid1(VALU_DEP_1)
	s_or_b32 exec_lo, exec_lo, s17
	v_mov_b64_e32 v[6:7], 0
	v_lshrrev_b32_e32 v3, 16, v2
	s_mov_b32 s17, exec_lo
	v_and_b32_e32 v4, 0xff, v3
	scratch_store_b64 off, v[6:7], s32 offset:308 ; 8-byte Folded Spill
	s_wait_xcnt 0x0
	v_mov_b64_e32 v[6:7], 0
	scratch_store_b64 off, v[6:7], s32 offset:316 ; 8-byte Folded Spill
	s_wait_xcnt 0x0
	v_cmpx_ne_u16_e32 0, v4
	s_cbranch_execz .LBB232_2401
; %bb.2394:                             ;   in Loop: Header=BB232_2089 Depth=1
	v_cmp_ne_u16_e64 s4, 0x80, v4
	v_mov_b64_e32 v[4:5], 0x80000000
	scratch_store_b64 off, v[4:5], s32 offset:316 ; 8-byte Folded Spill
	s_wait_xcnt 0x0
	s_and_saveexec_b32 s18, s4
	s_cbranch_execz .LBB232_2400
; %bb.2395:                             ;   in Loop: Header=BB232_2089 Depth=1
	v_mov_b64_e32 v[6:7], 0x7f800001
	v_bfe_u32 v5, v2, 16, 7
	s_mov_b32 s19, exec_lo
	scratch_store_b64 off, v[6:7], s32 offset:316 ; 8-byte Folded Spill
	s_wait_xcnt 0x0
	v_cmpx_ne_u32_e32 0x7f, v5
	s_cbranch_execz .LBB232_2399
; %bb.2396:                             ;   in Loop: Header=BB232_2089 Depth=1
	scratch_load_b64 v[8:9], off, s32 offset:192 th:TH_LOAD_LU ; 8-byte Folded Reload
	s_wait_loadcnt 0x0
	v_dual_lshrrev_b32 v4, 3, v5 :: v_dual_bitop2_b32 v8, 7, v3 bitop3:0x40
	s_mov_b32 s20, exec_lo
	s_wait_xcnt 0x0
	v_cmpx_gt_u32_e32 8, v5
; %bb.2397:                             ;   in Loop: Header=BB232_2089 Depth=1
	s_delay_alu instid0(VALU_DEP_2) | instskip(NEXT) | instid1(VALU_DEP_1)
	v_clz_i32_u32_e32 v4, v8
	v_min_u32_e32 v4, 32, v4
	s_delay_alu instid0(VALU_DEP_1) | instskip(NEXT) | instid1(VALU_DEP_1)
	v_subrev_nc_u32_e32 v5, 28, v4
	v_lshlrev_b64_e32 v[6:7], v5, v[8:9]
	s_delay_alu instid0(VALU_DEP_1)
	v_dual_sub_nc_u32 v4, 29, v4 :: v_dual_bitop2_b32 v8, 7, v6 bitop3:0x40
; %bb.2398:                             ;   in Loop: Header=BB232_2089 Depth=1
	s_or_b32 exec_lo, exec_lo, s20
	s_delay_alu instid0(VALU_DEP_1) | instskip(NEXT) | instid1(VALU_DEP_2)
	v_dual_lshlrev_b32 v3, 24, v3 :: v_dual_lshlrev_b32 v5, 20, v8
	v_lshl_add_u32 v4, v4, 23, 0x3c000000
	s_delay_alu instid0(VALU_DEP_2) | instskip(NEXT) | instid1(VALU_DEP_1)
	v_and_b32_e32 v3, 0x80000000, v3
	v_or3_b32 v8, v5, v3, v4
	v_mov_b32_e32 v3, v9
	s_clause 0x1
	scratch_store_b64 off, v[2:3], s32 offset:192
	scratch_store_b64 off, v[8:9], s32 offset:316
.LBB232_2399:                           ;   in Loop: Header=BB232_2089 Depth=1
	s_wait_xcnt 0x0
	s_or_b32 exec_lo, exec_lo, s19
.LBB232_2400:                           ;   in Loop: Header=BB232_2089 Depth=1
	s_delay_alu instid0(SALU_CYCLE_1)
	s_or_b32 exec_lo, exec_lo, s18
.LBB232_2401:                           ;   in Loop: Header=BB232_2089 Depth=1
	s_delay_alu instid0(SALU_CYCLE_1) | instskip(NEXT) | instid1(SALU_CYCLE_1)
	s_or_b32 exec_lo, exec_lo, s17
	s_mov_b32 s17, exec_lo
	v_cmpx_lt_u32_e32 0xffffff, v2
	s_cbranch_execz .LBB232_2409
; %bb.2402:                             ;   in Loop: Header=BB232_2089 Depth=1
	v_mov_b64_e32 v[4:5], 0x8000000000000000
	v_lshrrev_b32_e32 v3, 24, v2
	s_mov_b32 s18, exec_lo
	scratch_store_b64 off, v[4:5], s32 offset:308 ; 8-byte Folded Spill
	s_wait_xcnt 0x0
	v_cmpx_ne_u32_e32 0x80, v3
	s_cbranch_execz .LBB232_2408
; %bb.2403:                             ;   in Loop: Header=BB232_2089 Depth=1
	v_mov_b64_e32 v[6:7], 0x7f80000100000000
	v_bfe_u32 v4, v2, 24, 7
	s_mov_b32 s19, exec_lo
	scratch_store_b64 off, v[6:7], s32 offset:308 ; 8-byte Folded Spill
	s_wait_xcnt 0x0
	v_cmpx_ne_u32_e32 0x7f, v4
	s_cbranch_execz .LBB232_2407
; %bb.2404:                             ;   in Loop: Header=BB232_2089 Depth=1
	scratch_load_b64 v[6:7], off, s32 offset:192 th:TH_LOAD_LU ; 8-byte Folded Reload
	s_wait_loadcnt 0x0
	v_dual_lshrrev_b32 v2, 3, v4 :: v_dual_bitop2_b32 v6, 7, v3 bitop3:0x40
	s_mov_b32 s20, exec_lo
	s_wait_xcnt 0x0
	v_cmpx_gt_u32_e32 8, v4
; %bb.2405:                             ;   in Loop: Header=BB232_2089 Depth=1
	s_delay_alu instid0(VALU_DEP_2) | instskip(NEXT) | instid1(VALU_DEP_1)
	v_clz_i32_u32_e32 v2, v6
	v_min_u32_e32 v2, 32, v2
	s_delay_alu instid0(VALU_DEP_1) | instskip(NEXT) | instid1(VALU_DEP_1)
	v_subrev_nc_u32_e32 v4, 28, v2
	v_lshlrev_b64_e32 v[4:5], v4, v[6:7]
	s_delay_alu instid0(VALU_DEP_1)
	v_dual_sub_nc_u32 v2, 29, v2 :: v_dual_bitop2_b32 v6, 7, v4 bitop3:0x40
; %bb.2406:                             ;   in Loop: Header=BB232_2089 Depth=1
	s_or_b32 exec_lo, exec_lo, s20
	s_delay_alu instid0(VALU_DEP_1) | instskip(NEXT) | instid1(VALU_DEP_2)
	v_dual_lshlrev_b32 v3, 24, v3 :: v_dual_lshlrev_b32 v4, 20, v6
	v_lshl_add_u32 v2, v2, 23, 0x3c000000
	s_delay_alu instid0(VALU_DEP_2) | instskip(NEXT) | instid1(VALU_DEP_1)
	v_and_b32_e32 v3, 0x80000000, v3
	v_or3_b32 v5, v4, v3, v2
	v_dual_mov_b32 v3, v7 :: v_dual_mov_b32 v4, v7
	s_clause 0x1
	scratch_store_b64 off, v[2:3], s32 offset:192
	scratch_store_b64 off, v[4:5], s32 offset:308
.LBB232_2407:                           ;   in Loop: Header=BB232_2089 Depth=1
	s_wait_xcnt 0x0
	s_or_b32 exec_lo, exec_lo, s19
.LBB232_2408:                           ;   in Loop: Header=BB232_2089 Depth=1
	s_delay_alu instid0(SALU_CYCLE_1)
	s_or_b32 exec_lo, exec_lo, s18
.LBB232_2409:                           ;   in Loop: Header=BB232_2089 Depth=1
	s_delay_alu instid0(SALU_CYCLE_1)
	s_or_b32 exec_lo, exec_lo, s17
	flat_load_b32 v2, v[0:1] offset:1280
	v_mov_b64_e32 v[4:5], 0
	s_mov_b32 s17, exec_lo
	scratch_store_b64 off, v[4:5], s32 offset:324 ; 8-byte Folded Spill
	s_wait_xcnt 0x0
	v_mov_b64_e32 v[4:5], 0
	scratch_store_b64 off, v[4:5], s32 offset:332 ; 8-byte Folded Spill
	s_wait_loadcnt_dscnt 0x0
	v_and_b32_e32 v3, 0xff, v2
	s_wait_xcnt 0x0
	s_delay_alu instid0(VALU_DEP_1)
	v_cmpx_ne_u16_e32 0, v3
	s_cbranch_execz .LBB232_2417
; %bb.2410:                             ;   in Loop: Header=BB232_2089 Depth=1
	v_mov_b64_e32 v[4:5], 0x80000000
	s_mov_b32 s18, exec_lo
	scratch_store_b64 off, v[4:5], s32 offset:332 ; 8-byte Folded Spill
	s_wait_xcnt 0x0
	v_cmpx_ne_u16_e32 0x80, v3
	s_cbranch_execz .LBB232_2416
; %bb.2411:                             ;   in Loop: Header=BB232_2089 Depth=1
	v_mov_b64_e32 v[6:7], 0x7f800001
	v_and_b32_e32 v4, 0x7f, v2
	s_mov_b32 s19, exec_lo
	scratch_store_b64 off, v[6:7], s32 offset:332 ; 8-byte Folded Spill
	s_wait_xcnt 0x0
	v_cmpx_ne_u32_e32 0x7f, v4
	s_cbranch_execz .LBB232_2415
; %bb.2412:                             ;   in Loop: Header=BB232_2089 Depth=1
	scratch_load_b64 v[6:7], off, s32 offset:192 th:TH_LOAD_LU ; 8-byte Folded Reload
	s_wait_loadcnt 0x0
	v_dual_lshrrev_b32 v3, 3, v4 :: v_dual_bitop2_b32 v6, 7, v2 bitop3:0x40
	s_mov_b32 s20, exec_lo
	s_wait_xcnt 0x0
	v_cmpx_gt_u32_e32 8, v4
; %bb.2413:                             ;   in Loop: Header=BB232_2089 Depth=1
	s_delay_alu instid0(VALU_DEP_2) | instskip(NEXT) | instid1(VALU_DEP_1)
	v_clz_i32_u32_e32 v3, v6
	v_min_u32_e32 v3, 32, v3
	s_delay_alu instid0(VALU_DEP_1) | instskip(NEXT) | instid1(VALU_DEP_1)
	v_subrev_nc_u32_e32 v4, 28, v3
	v_lshlrev_b64_e32 v[4:5], v4, v[6:7]
	s_delay_alu instid0(VALU_DEP_1)
	v_dual_sub_nc_u32 v3, 29, v3 :: v_dual_bitop2_b32 v6, 7, v4 bitop3:0x40
; %bb.2414:                             ;   in Loop: Header=BB232_2089 Depth=1
	s_or_b32 exec_lo, exec_lo, s20
	v_lshlrev_b32_e32 v4, 24, v2
	s_delay_alu instid0(VALU_DEP_2) | instskip(NEXT) | instid1(VALU_DEP_3)
	v_lshlrev_b32_e32 v5, 20, v6
	v_lshl_add_u32 v3, v3, 23, 0x3c000000
	s_delay_alu instid0(VALU_DEP_3) | instskip(NEXT) | instid1(VALU_DEP_1)
	v_and_b32_e32 v4, 0x80000000, v4
	v_or3_b32 v6, v5, v4, v3
	v_mov_b32_e32 v3, v7
	s_clause 0x1
	scratch_store_b64 off, v[2:3], s32 offset:192
	scratch_store_b64 off, v[6:7], s32 offset:332
.LBB232_2415:                           ;   in Loop: Header=BB232_2089 Depth=1
	s_wait_xcnt 0x0
	s_or_b32 exec_lo, exec_lo, s19
.LBB232_2416:                           ;   in Loop: Header=BB232_2089 Depth=1
	s_delay_alu instid0(SALU_CYCLE_1)
	s_or_b32 exec_lo, exec_lo, s18
.LBB232_2417:                           ;   in Loop: Header=BB232_2089 Depth=1
	s_delay_alu instid0(SALU_CYCLE_1) | instskip(SKIP_2) | instid1(VALU_DEP_1)
	s_or_b32 exec_lo, exec_lo, s17
	v_lshrrev_b16 v3, 8, v2
	s_mov_b32 s17, exec_lo
	v_cmpx_ne_u16_e32 0, v3
	s_cbranch_execz .LBB232_2425
; %bb.2418:                             ;   in Loop: Header=BB232_2089 Depth=1
	v_mov_b64_e32 v[4:5], 0x8000000000000000
	s_mov_b32 s18, exec_lo
	scratch_store_b64 off, v[4:5], s32 offset:324 ; 8-byte Folded Spill
	s_wait_xcnt 0x0
	v_cmpx_ne_u16_e32 0x80, v3
	s_cbranch_execz .LBB232_2424
; %bb.2419:                             ;   in Loop: Header=BB232_2089 Depth=1
	v_and_b32_e32 v3, 0xffff, v3
	v_mov_b64_e32 v[6:7], 0x7f80000100000000
	s_mov_b32 s19, exec_lo
	s_delay_alu instid0(VALU_DEP_2)
	v_and_b32_e32 v4, 0x7f, v3
	scratch_store_b64 off, v[6:7], s32 offset:324 ; 8-byte Folded Spill
	s_wait_xcnt 0x0
	v_cmpx_ne_u32_e32 0x7f, v4
	s_cbranch_execz .LBB232_2423
; %bb.2420:                             ;   in Loop: Header=BB232_2089 Depth=1
	scratch_load_b64 v[6:7], off, s32 offset:192 th:TH_LOAD_LU ; 8-byte Folded Reload
	s_wait_loadcnt 0x0
	v_dual_lshrrev_b32 v3, 3, v4 :: v_dual_bitop2_b32 v6, 7, v3 bitop3:0x40
	s_mov_b32 s20, exec_lo
	s_wait_xcnt 0x0
	v_cmpx_gt_u32_e32 8, v4
; %bb.2421:                             ;   in Loop: Header=BB232_2089 Depth=1
	s_delay_alu instid0(VALU_DEP_2) | instskip(NEXT) | instid1(VALU_DEP_1)
	v_clz_i32_u32_e32 v3, v6
	v_min_u32_e32 v3, 32, v3
	s_delay_alu instid0(VALU_DEP_1) | instskip(NEXT) | instid1(VALU_DEP_1)
	v_subrev_nc_u32_e32 v4, 28, v3
	v_lshlrev_b64_e32 v[4:5], v4, v[6:7]
	s_delay_alu instid0(VALU_DEP_1)
	v_dual_sub_nc_u32 v3, 29, v3 :: v_dual_bitop2_b32 v6, 7, v4 bitop3:0x40
; %bb.2422:                             ;   in Loop: Header=BB232_2089 Depth=1
	s_or_b32 exec_lo, exec_lo, s20
	v_lshlrev_b32_e32 v4, 16, v2
	s_delay_alu instid0(VALU_DEP_2) | instskip(NEXT) | instid1(VALU_DEP_3)
	v_lshlrev_b32_e32 v5, 20, v6
	v_lshl_add_u32 v3, v3, 23, 0x3c000000
	s_delay_alu instid0(VALU_DEP_3) | instskip(NEXT) | instid1(VALU_DEP_1)
	v_and_b32_e32 v4, 0x80000000, v4
	v_or3_b32 v5, v5, v4, v3
	v_dual_mov_b32 v3, v7 :: v_dual_mov_b32 v4, v7
	s_clause 0x1
	scratch_store_b64 off, v[2:3], s32 offset:192
	scratch_store_b64 off, v[4:5], s32 offset:324
.LBB232_2423:                           ;   in Loop: Header=BB232_2089 Depth=1
	s_wait_xcnt 0x0
	s_or_b32 exec_lo, exec_lo, s19
.LBB232_2424:                           ;   in Loop: Header=BB232_2089 Depth=1
	s_delay_alu instid0(SALU_CYCLE_1)
	s_or_b32 exec_lo, exec_lo, s18
.LBB232_2425:                           ;   in Loop: Header=BB232_2089 Depth=1
	s_delay_alu instid0(SALU_CYCLE_1) | instskip(SKIP_3) | instid1(VALU_DEP_1)
	s_or_b32 exec_lo, exec_lo, s17
	v_mov_b64_e32 v[6:7], 0
	v_lshrrev_b32_e32 v3, 16, v2
	s_mov_b32 s17, exec_lo
	v_and_b32_e32 v4, 0xff, v3
	scratch_store_b64 off, v[6:7], s32 offset:340 ; 8-byte Folded Spill
	s_wait_xcnt 0x0
	v_mov_b64_e32 v[6:7], 0
	scratch_store_b64 off, v[6:7], s32 offset:348 ; 8-byte Folded Spill
	s_wait_xcnt 0x0
	v_cmpx_ne_u16_e32 0, v4
	s_cbranch_execz .LBB232_2433
; %bb.2426:                             ;   in Loop: Header=BB232_2089 Depth=1
	v_cmp_ne_u16_e64 s4, 0x80, v4
	v_mov_b64_e32 v[4:5], 0x80000000
	scratch_store_b64 off, v[4:5], s32 offset:348 ; 8-byte Folded Spill
	s_wait_xcnt 0x0
	s_and_saveexec_b32 s18, s4
	s_cbranch_execz .LBB232_2432
; %bb.2427:                             ;   in Loop: Header=BB232_2089 Depth=1
	v_mov_b64_e32 v[6:7], 0x7f800001
	v_bfe_u32 v5, v2, 16, 7
	s_mov_b32 s19, exec_lo
	scratch_store_b64 off, v[6:7], s32 offset:348 ; 8-byte Folded Spill
	s_wait_xcnt 0x0
	v_cmpx_ne_u32_e32 0x7f, v5
	s_cbranch_execz .LBB232_2431
; %bb.2428:                             ;   in Loop: Header=BB232_2089 Depth=1
	scratch_load_b64 v[8:9], off, s32 offset:192 th:TH_LOAD_LU ; 8-byte Folded Reload
	s_wait_loadcnt 0x0
	v_dual_lshrrev_b32 v4, 3, v5 :: v_dual_bitop2_b32 v8, 7, v3 bitop3:0x40
	s_mov_b32 s20, exec_lo
	s_wait_xcnt 0x0
	v_cmpx_gt_u32_e32 8, v5
; %bb.2429:                             ;   in Loop: Header=BB232_2089 Depth=1
	s_delay_alu instid0(VALU_DEP_2) | instskip(NEXT) | instid1(VALU_DEP_1)
	v_clz_i32_u32_e32 v4, v8
	v_min_u32_e32 v4, 32, v4
	s_delay_alu instid0(VALU_DEP_1) | instskip(NEXT) | instid1(VALU_DEP_1)
	v_subrev_nc_u32_e32 v5, 28, v4
	v_lshlrev_b64_e32 v[6:7], v5, v[8:9]
	s_delay_alu instid0(VALU_DEP_1)
	v_dual_sub_nc_u32 v4, 29, v4 :: v_dual_bitop2_b32 v8, 7, v6 bitop3:0x40
; %bb.2430:                             ;   in Loop: Header=BB232_2089 Depth=1
	s_or_b32 exec_lo, exec_lo, s20
	s_delay_alu instid0(VALU_DEP_1) | instskip(NEXT) | instid1(VALU_DEP_2)
	v_dual_lshlrev_b32 v3, 24, v3 :: v_dual_lshlrev_b32 v5, 20, v8
	v_lshl_add_u32 v4, v4, 23, 0x3c000000
	s_delay_alu instid0(VALU_DEP_2) | instskip(NEXT) | instid1(VALU_DEP_1)
	v_and_b32_e32 v3, 0x80000000, v3
	v_or3_b32 v8, v5, v3, v4
	v_mov_b32_e32 v3, v9
	s_clause 0x1
	scratch_store_b64 off, v[2:3], s32 offset:192
	scratch_store_b64 off, v[8:9], s32 offset:348
.LBB232_2431:                           ;   in Loop: Header=BB232_2089 Depth=1
	s_wait_xcnt 0x0
	s_or_b32 exec_lo, exec_lo, s19
.LBB232_2432:                           ;   in Loop: Header=BB232_2089 Depth=1
	s_delay_alu instid0(SALU_CYCLE_1)
	s_or_b32 exec_lo, exec_lo, s18
.LBB232_2433:                           ;   in Loop: Header=BB232_2089 Depth=1
	s_delay_alu instid0(SALU_CYCLE_1) | instskip(NEXT) | instid1(SALU_CYCLE_1)
	s_or_b32 exec_lo, exec_lo, s17
	s_mov_b32 s17, exec_lo
	v_cmpx_lt_u32_e32 0xffffff, v2
	s_cbranch_execz .LBB232_2441
; %bb.2434:                             ;   in Loop: Header=BB232_2089 Depth=1
	v_mov_b64_e32 v[4:5], 0x8000000000000000
	v_lshrrev_b32_e32 v3, 24, v2
	s_mov_b32 s18, exec_lo
	scratch_store_b64 off, v[4:5], s32 offset:340 ; 8-byte Folded Spill
	s_wait_xcnt 0x0
	v_cmpx_ne_u32_e32 0x80, v3
	s_cbranch_execz .LBB232_2440
; %bb.2435:                             ;   in Loop: Header=BB232_2089 Depth=1
	v_mov_b64_e32 v[6:7], 0x7f80000100000000
	v_bfe_u32 v4, v2, 24, 7
	s_mov_b32 s19, exec_lo
	scratch_store_b64 off, v[6:7], s32 offset:340 ; 8-byte Folded Spill
	s_wait_xcnt 0x0
	v_cmpx_ne_u32_e32 0x7f, v4
	s_cbranch_execz .LBB232_2439
; %bb.2436:                             ;   in Loop: Header=BB232_2089 Depth=1
	scratch_load_b64 v[6:7], off, s32 offset:192 th:TH_LOAD_LU ; 8-byte Folded Reload
	s_wait_loadcnt 0x0
	v_dual_lshrrev_b32 v2, 3, v4 :: v_dual_bitop2_b32 v6, 7, v3 bitop3:0x40
	s_mov_b32 s20, exec_lo
	s_wait_xcnt 0x0
	v_cmpx_gt_u32_e32 8, v4
; %bb.2437:                             ;   in Loop: Header=BB232_2089 Depth=1
	s_delay_alu instid0(VALU_DEP_2) | instskip(NEXT) | instid1(VALU_DEP_1)
	v_clz_i32_u32_e32 v2, v6
	v_min_u32_e32 v2, 32, v2
	s_delay_alu instid0(VALU_DEP_1) | instskip(NEXT) | instid1(VALU_DEP_1)
	v_subrev_nc_u32_e32 v4, 28, v2
	v_lshlrev_b64_e32 v[4:5], v4, v[6:7]
	s_delay_alu instid0(VALU_DEP_1)
	v_dual_sub_nc_u32 v2, 29, v2 :: v_dual_bitop2_b32 v6, 7, v4 bitop3:0x40
; %bb.2438:                             ;   in Loop: Header=BB232_2089 Depth=1
	s_or_b32 exec_lo, exec_lo, s20
	s_delay_alu instid0(VALU_DEP_1) | instskip(NEXT) | instid1(VALU_DEP_2)
	v_dual_lshlrev_b32 v3, 24, v3 :: v_dual_lshlrev_b32 v4, 20, v6
	v_lshl_add_u32 v2, v2, 23, 0x3c000000
	s_delay_alu instid0(VALU_DEP_2) | instskip(NEXT) | instid1(VALU_DEP_1)
	v_and_b32_e32 v3, 0x80000000, v3
	v_or3_b32 v5, v4, v3, v2
	v_dual_mov_b32 v3, v7 :: v_dual_mov_b32 v4, v7
	s_clause 0x1
	scratch_store_b64 off, v[2:3], s32 offset:192
	scratch_store_b64 off, v[4:5], s32 offset:340
.LBB232_2439:                           ;   in Loop: Header=BB232_2089 Depth=1
	s_wait_xcnt 0x0
	s_or_b32 exec_lo, exec_lo, s19
.LBB232_2440:                           ;   in Loop: Header=BB232_2089 Depth=1
	s_delay_alu instid0(SALU_CYCLE_1)
	s_or_b32 exec_lo, exec_lo, s18
.LBB232_2441:                           ;   in Loop: Header=BB232_2089 Depth=1
	s_delay_alu instid0(SALU_CYCLE_1)
	s_or_b32 exec_lo, exec_lo, s17
	flat_load_b32 v2, v[0:1] offset:1408
	v_mov_b64_e32 v[4:5], 0
	s_mov_b32 s17, exec_lo
	scratch_store_b64 off, v[4:5], s32 offset:356 ; 8-byte Folded Spill
	s_wait_xcnt 0x0
	v_mov_b64_e32 v[4:5], 0
	scratch_store_b64 off, v[4:5], s32 offset:364 ; 8-byte Folded Spill
	s_wait_loadcnt_dscnt 0x0
	v_and_b32_e32 v3, 0xff, v2
	s_wait_xcnt 0x0
	s_delay_alu instid0(VALU_DEP_1)
	v_cmpx_ne_u16_e32 0, v3
	s_cbranch_execz .LBB232_2449
; %bb.2442:                             ;   in Loop: Header=BB232_2089 Depth=1
	v_mov_b64_e32 v[4:5], 0x80000000
	s_mov_b32 s18, exec_lo
	scratch_store_b64 off, v[4:5], s32 offset:364 ; 8-byte Folded Spill
	s_wait_xcnt 0x0
	v_cmpx_ne_u16_e32 0x80, v3
	s_cbranch_execz .LBB232_2448
; %bb.2443:                             ;   in Loop: Header=BB232_2089 Depth=1
	v_mov_b64_e32 v[6:7], 0x7f800001
	v_and_b32_e32 v4, 0x7f, v2
	s_mov_b32 s19, exec_lo
	scratch_store_b64 off, v[6:7], s32 offset:364 ; 8-byte Folded Spill
	s_wait_xcnt 0x0
	v_cmpx_ne_u32_e32 0x7f, v4
	s_cbranch_execz .LBB232_2447
; %bb.2444:                             ;   in Loop: Header=BB232_2089 Depth=1
	scratch_load_b64 v[6:7], off, s32 offset:192 th:TH_LOAD_LU ; 8-byte Folded Reload
	s_wait_loadcnt 0x0
	v_dual_lshrrev_b32 v3, 3, v4 :: v_dual_bitop2_b32 v6, 7, v2 bitop3:0x40
	s_mov_b32 s20, exec_lo
	s_wait_xcnt 0x0
	v_cmpx_gt_u32_e32 8, v4
; %bb.2445:                             ;   in Loop: Header=BB232_2089 Depth=1
	s_delay_alu instid0(VALU_DEP_2) | instskip(NEXT) | instid1(VALU_DEP_1)
	v_clz_i32_u32_e32 v3, v6
	v_min_u32_e32 v3, 32, v3
	s_delay_alu instid0(VALU_DEP_1) | instskip(NEXT) | instid1(VALU_DEP_1)
	v_subrev_nc_u32_e32 v4, 28, v3
	v_lshlrev_b64_e32 v[4:5], v4, v[6:7]
	s_delay_alu instid0(VALU_DEP_1)
	v_dual_sub_nc_u32 v3, 29, v3 :: v_dual_bitop2_b32 v6, 7, v4 bitop3:0x40
; %bb.2446:                             ;   in Loop: Header=BB232_2089 Depth=1
	s_or_b32 exec_lo, exec_lo, s20
	v_lshlrev_b32_e32 v4, 24, v2
	s_delay_alu instid0(VALU_DEP_2) | instskip(NEXT) | instid1(VALU_DEP_3)
	v_lshlrev_b32_e32 v5, 20, v6
	v_lshl_add_u32 v3, v3, 23, 0x3c000000
	s_delay_alu instid0(VALU_DEP_3) | instskip(NEXT) | instid1(VALU_DEP_1)
	v_and_b32_e32 v4, 0x80000000, v4
	v_or3_b32 v6, v5, v4, v3
	v_mov_b32_e32 v3, v7
	s_clause 0x1
	scratch_store_b64 off, v[2:3], s32 offset:192
	scratch_store_b64 off, v[6:7], s32 offset:364
.LBB232_2447:                           ;   in Loop: Header=BB232_2089 Depth=1
	s_wait_xcnt 0x0
	s_or_b32 exec_lo, exec_lo, s19
.LBB232_2448:                           ;   in Loop: Header=BB232_2089 Depth=1
	s_delay_alu instid0(SALU_CYCLE_1)
	s_or_b32 exec_lo, exec_lo, s18
.LBB232_2449:                           ;   in Loop: Header=BB232_2089 Depth=1
	s_delay_alu instid0(SALU_CYCLE_1) | instskip(SKIP_2) | instid1(VALU_DEP_1)
	s_or_b32 exec_lo, exec_lo, s17
	v_lshrrev_b16 v3, 8, v2
	s_mov_b32 s17, exec_lo
	v_cmpx_ne_u16_e32 0, v3
	s_cbranch_execz .LBB232_2457
; %bb.2450:                             ;   in Loop: Header=BB232_2089 Depth=1
	v_mov_b64_e32 v[4:5], 0x8000000000000000
	s_mov_b32 s18, exec_lo
	scratch_store_b64 off, v[4:5], s32 offset:356 ; 8-byte Folded Spill
	s_wait_xcnt 0x0
	v_cmpx_ne_u16_e32 0x80, v3
	s_cbranch_execz .LBB232_2456
; %bb.2451:                             ;   in Loop: Header=BB232_2089 Depth=1
	v_and_b32_e32 v3, 0xffff, v3
	v_mov_b64_e32 v[6:7], 0x7f80000100000000
	s_mov_b32 s19, exec_lo
	s_delay_alu instid0(VALU_DEP_2)
	v_and_b32_e32 v4, 0x7f, v3
	scratch_store_b64 off, v[6:7], s32 offset:356 ; 8-byte Folded Spill
	s_wait_xcnt 0x0
	v_cmpx_ne_u32_e32 0x7f, v4
	s_cbranch_execz .LBB232_2455
; %bb.2452:                             ;   in Loop: Header=BB232_2089 Depth=1
	scratch_load_b64 v[6:7], off, s32 offset:192 th:TH_LOAD_LU ; 8-byte Folded Reload
	s_wait_loadcnt 0x0
	v_dual_lshrrev_b32 v3, 3, v4 :: v_dual_bitop2_b32 v6, 7, v3 bitop3:0x40
	s_mov_b32 s20, exec_lo
	s_wait_xcnt 0x0
	v_cmpx_gt_u32_e32 8, v4
; %bb.2453:                             ;   in Loop: Header=BB232_2089 Depth=1
	s_delay_alu instid0(VALU_DEP_2) | instskip(NEXT) | instid1(VALU_DEP_1)
	v_clz_i32_u32_e32 v3, v6
	v_min_u32_e32 v3, 32, v3
	s_delay_alu instid0(VALU_DEP_1) | instskip(NEXT) | instid1(VALU_DEP_1)
	v_subrev_nc_u32_e32 v4, 28, v3
	v_lshlrev_b64_e32 v[4:5], v4, v[6:7]
	s_delay_alu instid0(VALU_DEP_1)
	v_dual_sub_nc_u32 v3, 29, v3 :: v_dual_bitop2_b32 v6, 7, v4 bitop3:0x40
; %bb.2454:                             ;   in Loop: Header=BB232_2089 Depth=1
	s_or_b32 exec_lo, exec_lo, s20
	v_lshlrev_b32_e32 v4, 16, v2
	s_delay_alu instid0(VALU_DEP_2) | instskip(NEXT) | instid1(VALU_DEP_3)
	v_lshlrev_b32_e32 v5, 20, v6
	v_lshl_add_u32 v3, v3, 23, 0x3c000000
	s_delay_alu instid0(VALU_DEP_3) | instskip(NEXT) | instid1(VALU_DEP_1)
	v_and_b32_e32 v4, 0x80000000, v4
	v_or3_b32 v5, v5, v4, v3
	v_dual_mov_b32 v3, v7 :: v_dual_mov_b32 v4, v7
	s_clause 0x1
	scratch_store_b64 off, v[2:3], s32 offset:192
	scratch_store_b64 off, v[4:5], s32 offset:356
.LBB232_2455:                           ;   in Loop: Header=BB232_2089 Depth=1
	s_wait_xcnt 0x0
	s_or_b32 exec_lo, exec_lo, s19
.LBB232_2456:                           ;   in Loop: Header=BB232_2089 Depth=1
	s_delay_alu instid0(SALU_CYCLE_1)
	s_or_b32 exec_lo, exec_lo, s18
.LBB232_2457:                           ;   in Loop: Header=BB232_2089 Depth=1
	s_delay_alu instid0(SALU_CYCLE_1) | instskip(SKIP_3) | instid1(VALU_DEP_1)
	s_or_b32 exec_lo, exec_lo, s17
	v_mov_b64_e32 v[6:7], 0
	v_lshrrev_b32_e32 v3, 16, v2
	s_mov_b32 s17, exec_lo
	v_and_b32_e32 v4, 0xff, v3
	scratch_store_b64 off, v[6:7], s32 offset:372 ; 8-byte Folded Spill
	s_wait_xcnt 0x0
	v_mov_b64_e32 v[6:7], 0
	scratch_store_b64 off, v[6:7], s32 offset:380 ; 8-byte Folded Spill
	s_wait_xcnt 0x0
	v_cmpx_ne_u16_e32 0, v4
	s_cbranch_execz .LBB232_2465
; %bb.2458:                             ;   in Loop: Header=BB232_2089 Depth=1
	v_cmp_ne_u16_e64 s4, 0x80, v4
	v_mov_b64_e32 v[4:5], 0x80000000
	scratch_store_b64 off, v[4:5], s32 offset:380 ; 8-byte Folded Spill
	s_wait_xcnt 0x0
	s_and_saveexec_b32 s18, s4
	s_cbranch_execz .LBB232_2464
; %bb.2459:                             ;   in Loop: Header=BB232_2089 Depth=1
	v_mov_b64_e32 v[6:7], 0x7f800001
	v_bfe_u32 v5, v2, 16, 7
	s_mov_b32 s19, exec_lo
	scratch_store_b64 off, v[6:7], s32 offset:380 ; 8-byte Folded Spill
	s_wait_xcnt 0x0
	v_cmpx_ne_u32_e32 0x7f, v5
	s_cbranch_execz .LBB232_2463
; %bb.2460:                             ;   in Loop: Header=BB232_2089 Depth=1
	scratch_load_b64 v[8:9], off, s32 offset:192 th:TH_LOAD_LU ; 8-byte Folded Reload
	s_wait_loadcnt 0x0
	v_dual_lshrrev_b32 v4, 3, v5 :: v_dual_bitop2_b32 v8, 7, v3 bitop3:0x40
	s_mov_b32 s20, exec_lo
	s_wait_xcnt 0x0
	v_cmpx_gt_u32_e32 8, v5
; %bb.2461:                             ;   in Loop: Header=BB232_2089 Depth=1
	s_delay_alu instid0(VALU_DEP_2) | instskip(NEXT) | instid1(VALU_DEP_1)
	v_clz_i32_u32_e32 v4, v8
	v_min_u32_e32 v4, 32, v4
	s_delay_alu instid0(VALU_DEP_1) | instskip(NEXT) | instid1(VALU_DEP_1)
	v_subrev_nc_u32_e32 v5, 28, v4
	v_lshlrev_b64_e32 v[6:7], v5, v[8:9]
	s_delay_alu instid0(VALU_DEP_1)
	v_dual_sub_nc_u32 v4, 29, v4 :: v_dual_bitop2_b32 v8, 7, v6 bitop3:0x40
; %bb.2462:                             ;   in Loop: Header=BB232_2089 Depth=1
	s_or_b32 exec_lo, exec_lo, s20
	s_delay_alu instid0(VALU_DEP_1) | instskip(NEXT) | instid1(VALU_DEP_2)
	v_dual_lshlrev_b32 v3, 24, v3 :: v_dual_lshlrev_b32 v5, 20, v8
	v_lshl_add_u32 v4, v4, 23, 0x3c000000
	s_delay_alu instid0(VALU_DEP_2) | instskip(NEXT) | instid1(VALU_DEP_1)
	v_and_b32_e32 v3, 0x80000000, v3
	v_or3_b32 v8, v5, v3, v4
	v_mov_b32_e32 v3, v9
	s_clause 0x1
	scratch_store_b64 off, v[2:3], s32 offset:192
	scratch_store_b64 off, v[8:9], s32 offset:380
.LBB232_2463:                           ;   in Loop: Header=BB232_2089 Depth=1
	s_wait_xcnt 0x0
	s_or_b32 exec_lo, exec_lo, s19
.LBB232_2464:                           ;   in Loop: Header=BB232_2089 Depth=1
	s_delay_alu instid0(SALU_CYCLE_1)
	s_or_b32 exec_lo, exec_lo, s18
.LBB232_2465:                           ;   in Loop: Header=BB232_2089 Depth=1
	s_delay_alu instid0(SALU_CYCLE_1) | instskip(NEXT) | instid1(SALU_CYCLE_1)
	s_or_b32 exec_lo, exec_lo, s17
	s_mov_b32 s17, exec_lo
	v_cmpx_lt_u32_e32 0xffffff, v2
	s_cbranch_execz .LBB232_2473
; %bb.2466:                             ;   in Loop: Header=BB232_2089 Depth=1
	v_mov_b64_e32 v[4:5], 0x8000000000000000
	v_lshrrev_b32_e32 v3, 24, v2
	s_mov_b32 s18, exec_lo
	scratch_store_b64 off, v[4:5], s32 offset:372 ; 8-byte Folded Spill
	s_wait_xcnt 0x0
	v_cmpx_ne_u32_e32 0x80, v3
	s_cbranch_execz .LBB232_2472
; %bb.2467:                             ;   in Loop: Header=BB232_2089 Depth=1
	v_mov_b64_e32 v[6:7], 0x7f80000100000000
	v_bfe_u32 v4, v2, 24, 7
	s_mov_b32 s19, exec_lo
	scratch_store_b64 off, v[6:7], s32 offset:372 ; 8-byte Folded Spill
	s_wait_xcnt 0x0
	v_cmpx_ne_u32_e32 0x7f, v4
	s_cbranch_execz .LBB232_2471
; %bb.2468:                             ;   in Loop: Header=BB232_2089 Depth=1
	scratch_load_b64 v[6:7], off, s32 offset:192 th:TH_LOAD_LU ; 8-byte Folded Reload
	s_wait_loadcnt 0x0
	v_dual_lshrrev_b32 v2, 3, v4 :: v_dual_bitop2_b32 v6, 7, v3 bitop3:0x40
	s_mov_b32 s20, exec_lo
	s_wait_xcnt 0x0
	v_cmpx_gt_u32_e32 8, v4
; %bb.2469:                             ;   in Loop: Header=BB232_2089 Depth=1
	s_delay_alu instid0(VALU_DEP_2) | instskip(NEXT) | instid1(VALU_DEP_1)
	v_clz_i32_u32_e32 v2, v6
	v_min_u32_e32 v2, 32, v2
	s_delay_alu instid0(VALU_DEP_1) | instskip(NEXT) | instid1(VALU_DEP_1)
	v_subrev_nc_u32_e32 v4, 28, v2
	v_lshlrev_b64_e32 v[4:5], v4, v[6:7]
	s_delay_alu instid0(VALU_DEP_1)
	v_dual_sub_nc_u32 v2, 29, v2 :: v_dual_bitop2_b32 v6, 7, v4 bitop3:0x40
; %bb.2470:                             ;   in Loop: Header=BB232_2089 Depth=1
	s_or_b32 exec_lo, exec_lo, s20
	s_delay_alu instid0(VALU_DEP_1) | instskip(NEXT) | instid1(VALU_DEP_2)
	v_dual_lshlrev_b32 v3, 24, v3 :: v_dual_lshlrev_b32 v4, 20, v6
	v_lshl_add_u32 v2, v2, 23, 0x3c000000
	s_delay_alu instid0(VALU_DEP_2) | instskip(NEXT) | instid1(VALU_DEP_1)
	v_and_b32_e32 v3, 0x80000000, v3
	v_or3_b32 v5, v4, v3, v2
	v_dual_mov_b32 v3, v7 :: v_dual_mov_b32 v4, v7
	s_clause 0x1
	scratch_store_b64 off, v[2:3], s32 offset:192
	scratch_store_b64 off, v[4:5], s32 offset:372
.LBB232_2471:                           ;   in Loop: Header=BB232_2089 Depth=1
	s_wait_xcnt 0x0
	s_or_b32 exec_lo, exec_lo, s19
.LBB232_2472:                           ;   in Loop: Header=BB232_2089 Depth=1
	s_delay_alu instid0(SALU_CYCLE_1)
	s_or_b32 exec_lo, exec_lo, s18
.LBB232_2473:                           ;   in Loop: Header=BB232_2089 Depth=1
	s_delay_alu instid0(SALU_CYCLE_1)
	s_or_b32 exec_lo, exec_lo, s17
	flat_load_b32 v2, v[0:1] offset:1536
	v_mov_b64_e32 v[4:5], 0
	s_mov_b32 s17, exec_lo
	scratch_store_b64 off, v[4:5], s32 offset:388 ; 8-byte Folded Spill
	s_wait_xcnt 0x0
	v_mov_b64_e32 v[4:5], 0
	scratch_store_b64 off, v[4:5], s32 offset:396 ; 8-byte Folded Spill
	s_wait_loadcnt_dscnt 0x0
	v_and_b32_e32 v3, 0xff, v2
	s_wait_xcnt 0x0
	s_delay_alu instid0(VALU_DEP_1)
	v_cmpx_ne_u16_e32 0, v3
	s_cbranch_execz .LBB232_2481
; %bb.2474:                             ;   in Loop: Header=BB232_2089 Depth=1
	v_mov_b64_e32 v[4:5], 0x80000000
	s_mov_b32 s18, exec_lo
	scratch_store_b64 off, v[4:5], s32 offset:396 ; 8-byte Folded Spill
	s_wait_xcnt 0x0
	v_cmpx_ne_u16_e32 0x80, v3
	s_cbranch_execz .LBB232_2480
; %bb.2475:                             ;   in Loop: Header=BB232_2089 Depth=1
	v_mov_b64_e32 v[6:7], 0x7f800001
	v_and_b32_e32 v4, 0x7f, v2
	s_mov_b32 s19, exec_lo
	scratch_store_b64 off, v[6:7], s32 offset:396 ; 8-byte Folded Spill
	s_wait_xcnt 0x0
	v_cmpx_ne_u32_e32 0x7f, v4
	s_cbranch_execz .LBB232_2479
; %bb.2476:                             ;   in Loop: Header=BB232_2089 Depth=1
	scratch_load_b64 v[6:7], off, s32 offset:192 th:TH_LOAD_LU ; 8-byte Folded Reload
	s_wait_loadcnt 0x0
	v_dual_lshrrev_b32 v3, 3, v4 :: v_dual_bitop2_b32 v6, 7, v2 bitop3:0x40
	s_mov_b32 s20, exec_lo
	s_wait_xcnt 0x0
	v_cmpx_gt_u32_e32 8, v4
; %bb.2477:                             ;   in Loop: Header=BB232_2089 Depth=1
	s_delay_alu instid0(VALU_DEP_2) | instskip(NEXT) | instid1(VALU_DEP_1)
	v_clz_i32_u32_e32 v3, v6
	v_min_u32_e32 v3, 32, v3
	s_delay_alu instid0(VALU_DEP_1) | instskip(NEXT) | instid1(VALU_DEP_1)
	v_subrev_nc_u32_e32 v4, 28, v3
	v_lshlrev_b64_e32 v[4:5], v4, v[6:7]
	s_delay_alu instid0(VALU_DEP_1)
	v_dual_sub_nc_u32 v3, 29, v3 :: v_dual_bitop2_b32 v6, 7, v4 bitop3:0x40
; %bb.2478:                             ;   in Loop: Header=BB232_2089 Depth=1
	s_or_b32 exec_lo, exec_lo, s20
	v_lshlrev_b32_e32 v4, 24, v2
	s_delay_alu instid0(VALU_DEP_2) | instskip(NEXT) | instid1(VALU_DEP_3)
	v_lshlrev_b32_e32 v5, 20, v6
	v_lshl_add_u32 v3, v3, 23, 0x3c000000
	s_delay_alu instid0(VALU_DEP_3) | instskip(NEXT) | instid1(VALU_DEP_1)
	v_and_b32_e32 v4, 0x80000000, v4
	v_or3_b32 v6, v5, v4, v3
	v_mov_b32_e32 v3, v7
	s_clause 0x1
	scratch_store_b64 off, v[2:3], s32 offset:192
	scratch_store_b64 off, v[6:7], s32 offset:396
.LBB232_2479:                           ;   in Loop: Header=BB232_2089 Depth=1
	s_wait_xcnt 0x0
	s_or_b32 exec_lo, exec_lo, s19
.LBB232_2480:                           ;   in Loop: Header=BB232_2089 Depth=1
	s_delay_alu instid0(SALU_CYCLE_1)
	s_or_b32 exec_lo, exec_lo, s18
.LBB232_2481:                           ;   in Loop: Header=BB232_2089 Depth=1
	s_delay_alu instid0(SALU_CYCLE_1) | instskip(SKIP_2) | instid1(VALU_DEP_1)
	s_or_b32 exec_lo, exec_lo, s17
	v_lshrrev_b16 v3, 8, v2
	s_mov_b32 s17, exec_lo
	v_cmpx_ne_u16_e32 0, v3
	s_cbranch_execz .LBB232_2489
; %bb.2482:                             ;   in Loop: Header=BB232_2089 Depth=1
	v_mov_b64_e32 v[4:5], 0x8000000000000000
	s_mov_b32 s18, exec_lo
	scratch_store_b64 off, v[4:5], s32 offset:388 ; 8-byte Folded Spill
	s_wait_xcnt 0x0
	v_cmpx_ne_u16_e32 0x80, v3
	s_cbranch_execz .LBB232_2488
; %bb.2483:                             ;   in Loop: Header=BB232_2089 Depth=1
	v_and_b32_e32 v3, 0xffff, v3
	v_mov_b64_e32 v[6:7], 0x7f80000100000000
	s_mov_b32 s19, exec_lo
	s_delay_alu instid0(VALU_DEP_2)
	v_and_b32_e32 v4, 0x7f, v3
	scratch_store_b64 off, v[6:7], s32 offset:388 ; 8-byte Folded Spill
	s_wait_xcnt 0x0
	v_cmpx_ne_u32_e32 0x7f, v4
	s_cbranch_execz .LBB232_2487
; %bb.2484:                             ;   in Loop: Header=BB232_2089 Depth=1
	scratch_load_b64 v[6:7], off, s32 offset:192 th:TH_LOAD_LU ; 8-byte Folded Reload
	s_wait_loadcnt 0x0
	v_dual_lshrrev_b32 v3, 3, v4 :: v_dual_bitop2_b32 v6, 7, v3 bitop3:0x40
	s_mov_b32 s20, exec_lo
	s_wait_xcnt 0x0
	v_cmpx_gt_u32_e32 8, v4
; %bb.2485:                             ;   in Loop: Header=BB232_2089 Depth=1
	s_delay_alu instid0(VALU_DEP_2) | instskip(NEXT) | instid1(VALU_DEP_1)
	v_clz_i32_u32_e32 v3, v6
	v_min_u32_e32 v3, 32, v3
	s_delay_alu instid0(VALU_DEP_1) | instskip(NEXT) | instid1(VALU_DEP_1)
	v_subrev_nc_u32_e32 v4, 28, v3
	v_lshlrev_b64_e32 v[4:5], v4, v[6:7]
	s_delay_alu instid0(VALU_DEP_1)
	v_dual_sub_nc_u32 v3, 29, v3 :: v_dual_bitop2_b32 v6, 7, v4 bitop3:0x40
; %bb.2486:                             ;   in Loop: Header=BB232_2089 Depth=1
	s_or_b32 exec_lo, exec_lo, s20
	v_lshlrev_b32_e32 v4, 16, v2
	s_delay_alu instid0(VALU_DEP_2) | instskip(NEXT) | instid1(VALU_DEP_3)
	v_lshlrev_b32_e32 v5, 20, v6
	v_lshl_add_u32 v3, v3, 23, 0x3c000000
	s_delay_alu instid0(VALU_DEP_3) | instskip(NEXT) | instid1(VALU_DEP_1)
	v_and_b32_e32 v4, 0x80000000, v4
	v_or3_b32 v5, v5, v4, v3
	v_dual_mov_b32 v3, v7 :: v_dual_mov_b32 v4, v7
	s_clause 0x1
	scratch_store_b64 off, v[2:3], s32 offset:192
	scratch_store_b64 off, v[4:5], s32 offset:388
.LBB232_2487:                           ;   in Loop: Header=BB232_2089 Depth=1
	s_wait_xcnt 0x0
	s_or_b32 exec_lo, exec_lo, s19
.LBB232_2488:                           ;   in Loop: Header=BB232_2089 Depth=1
	s_delay_alu instid0(SALU_CYCLE_1)
	s_or_b32 exec_lo, exec_lo, s18
.LBB232_2489:                           ;   in Loop: Header=BB232_2089 Depth=1
	s_delay_alu instid0(SALU_CYCLE_1) | instskip(SKIP_3) | instid1(VALU_DEP_1)
	s_or_b32 exec_lo, exec_lo, s17
	v_mov_b64_e32 v[6:7], 0
	v_lshrrev_b32_e32 v3, 16, v2
	s_mov_b32 s17, exec_lo
	v_and_b32_e32 v4, 0xff, v3
	scratch_store_b64 off, v[6:7], s32 offset:404 ; 8-byte Folded Spill
	s_wait_xcnt 0x0
	v_mov_b64_e32 v[6:7], 0
	scratch_store_b64 off, v[6:7], s32 offset:412 ; 8-byte Folded Spill
	s_wait_xcnt 0x0
	v_cmpx_ne_u16_e32 0, v4
	s_cbranch_execz .LBB232_2497
; %bb.2490:                             ;   in Loop: Header=BB232_2089 Depth=1
	v_cmp_ne_u16_e64 s4, 0x80, v4
	v_mov_b64_e32 v[4:5], 0x80000000
	scratch_store_b64 off, v[4:5], s32 offset:412 ; 8-byte Folded Spill
	s_wait_xcnt 0x0
	s_and_saveexec_b32 s18, s4
	s_cbranch_execz .LBB232_2496
; %bb.2491:                             ;   in Loop: Header=BB232_2089 Depth=1
	v_mov_b64_e32 v[6:7], 0x7f800001
	v_bfe_u32 v5, v2, 16, 7
	s_mov_b32 s19, exec_lo
	scratch_store_b64 off, v[6:7], s32 offset:412 ; 8-byte Folded Spill
	s_wait_xcnt 0x0
	v_cmpx_ne_u32_e32 0x7f, v5
	s_cbranch_execz .LBB232_2495
; %bb.2492:                             ;   in Loop: Header=BB232_2089 Depth=1
	scratch_load_b64 v[8:9], off, s32 offset:192 th:TH_LOAD_LU ; 8-byte Folded Reload
	s_wait_loadcnt 0x0
	v_dual_lshrrev_b32 v4, 3, v5 :: v_dual_bitop2_b32 v8, 7, v3 bitop3:0x40
	s_mov_b32 s20, exec_lo
	s_wait_xcnt 0x0
	v_cmpx_gt_u32_e32 8, v5
; %bb.2493:                             ;   in Loop: Header=BB232_2089 Depth=1
	s_delay_alu instid0(VALU_DEP_2) | instskip(NEXT) | instid1(VALU_DEP_1)
	v_clz_i32_u32_e32 v4, v8
	v_min_u32_e32 v4, 32, v4
	s_delay_alu instid0(VALU_DEP_1) | instskip(NEXT) | instid1(VALU_DEP_1)
	v_subrev_nc_u32_e32 v5, 28, v4
	v_lshlrev_b64_e32 v[6:7], v5, v[8:9]
	s_delay_alu instid0(VALU_DEP_1)
	v_dual_sub_nc_u32 v4, 29, v4 :: v_dual_bitop2_b32 v8, 7, v6 bitop3:0x40
; %bb.2494:                             ;   in Loop: Header=BB232_2089 Depth=1
	s_or_b32 exec_lo, exec_lo, s20
	s_delay_alu instid0(VALU_DEP_1) | instskip(NEXT) | instid1(VALU_DEP_2)
	v_dual_lshlrev_b32 v3, 24, v3 :: v_dual_lshlrev_b32 v5, 20, v8
	v_lshl_add_u32 v4, v4, 23, 0x3c000000
	s_delay_alu instid0(VALU_DEP_2) | instskip(NEXT) | instid1(VALU_DEP_1)
	v_and_b32_e32 v3, 0x80000000, v3
	v_or3_b32 v8, v5, v3, v4
	v_mov_b32_e32 v3, v9
	s_clause 0x1
	scratch_store_b64 off, v[2:3], s32 offset:192
	scratch_store_b64 off, v[8:9], s32 offset:412
.LBB232_2495:                           ;   in Loop: Header=BB232_2089 Depth=1
	s_wait_xcnt 0x0
	s_or_b32 exec_lo, exec_lo, s19
.LBB232_2496:                           ;   in Loop: Header=BB232_2089 Depth=1
	s_delay_alu instid0(SALU_CYCLE_1)
	s_or_b32 exec_lo, exec_lo, s18
.LBB232_2497:                           ;   in Loop: Header=BB232_2089 Depth=1
	s_delay_alu instid0(SALU_CYCLE_1) | instskip(NEXT) | instid1(SALU_CYCLE_1)
	s_or_b32 exec_lo, exec_lo, s17
	s_mov_b32 s17, exec_lo
	v_cmpx_lt_u32_e32 0xffffff, v2
	s_cbranch_execz .LBB232_2505
; %bb.2498:                             ;   in Loop: Header=BB232_2089 Depth=1
	v_mov_b64_e32 v[4:5], 0x8000000000000000
	v_lshrrev_b32_e32 v3, 24, v2
	s_mov_b32 s18, exec_lo
	scratch_store_b64 off, v[4:5], s32 offset:404 ; 8-byte Folded Spill
	s_wait_xcnt 0x0
	v_cmpx_ne_u32_e32 0x80, v3
	s_cbranch_execz .LBB232_2504
; %bb.2499:                             ;   in Loop: Header=BB232_2089 Depth=1
	v_mov_b64_e32 v[6:7], 0x7f80000100000000
	v_bfe_u32 v4, v2, 24, 7
	s_mov_b32 s19, exec_lo
	scratch_store_b64 off, v[6:7], s32 offset:404 ; 8-byte Folded Spill
	s_wait_xcnt 0x0
	v_cmpx_ne_u32_e32 0x7f, v4
	s_cbranch_execz .LBB232_2503
; %bb.2500:                             ;   in Loop: Header=BB232_2089 Depth=1
	scratch_load_b64 v[6:7], off, s32 offset:192 th:TH_LOAD_LU ; 8-byte Folded Reload
	s_wait_loadcnt 0x0
	v_dual_lshrrev_b32 v2, 3, v4 :: v_dual_bitop2_b32 v6, 7, v3 bitop3:0x40
	s_mov_b32 s20, exec_lo
	s_wait_xcnt 0x0
	v_cmpx_gt_u32_e32 8, v4
; %bb.2501:                             ;   in Loop: Header=BB232_2089 Depth=1
	s_delay_alu instid0(VALU_DEP_2) | instskip(NEXT) | instid1(VALU_DEP_1)
	v_clz_i32_u32_e32 v2, v6
	v_min_u32_e32 v2, 32, v2
	s_delay_alu instid0(VALU_DEP_1) | instskip(NEXT) | instid1(VALU_DEP_1)
	v_subrev_nc_u32_e32 v4, 28, v2
	v_lshlrev_b64_e32 v[4:5], v4, v[6:7]
	s_delay_alu instid0(VALU_DEP_1)
	v_dual_sub_nc_u32 v2, 29, v2 :: v_dual_bitop2_b32 v6, 7, v4 bitop3:0x40
; %bb.2502:                             ;   in Loop: Header=BB232_2089 Depth=1
	s_or_b32 exec_lo, exec_lo, s20
	s_delay_alu instid0(VALU_DEP_1) | instskip(NEXT) | instid1(VALU_DEP_2)
	v_dual_lshlrev_b32 v3, 24, v3 :: v_dual_lshlrev_b32 v4, 20, v6
	v_lshl_add_u32 v2, v2, 23, 0x3c000000
	s_delay_alu instid0(VALU_DEP_2) | instskip(NEXT) | instid1(VALU_DEP_1)
	v_and_b32_e32 v3, 0x80000000, v3
	v_or3_b32 v5, v4, v3, v2
	v_dual_mov_b32 v3, v7 :: v_dual_mov_b32 v4, v7
	s_clause 0x1
	scratch_store_b64 off, v[2:3], s32 offset:192
	scratch_store_b64 off, v[4:5], s32 offset:404
.LBB232_2503:                           ;   in Loop: Header=BB232_2089 Depth=1
	s_wait_xcnt 0x0
	s_or_b32 exec_lo, exec_lo, s19
.LBB232_2504:                           ;   in Loop: Header=BB232_2089 Depth=1
	s_delay_alu instid0(SALU_CYCLE_1)
	s_or_b32 exec_lo, exec_lo, s18
.LBB232_2505:                           ;   in Loop: Header=BB232_2089 Depth=1
	s_delay_alu instid0(SALU_CYCLE_1)
	s_or_b32 exec_lo, exec_lo, s17
	flat_load_b32 v2, v[0:1] offset:1664
	v_mov_b64_e32 v[4:5], 0
	s_mov_b32 s17, exec_lo
	scratch_store_b64 off, v[4:5], s32 offset:420 ; 8-byte Folded Spill
	s_wait_xcnt 0x0
	v_mov_b64_e32 v[4:5], 0
	scratch_store_b64 off, v[4:5], s32 offset:428 ; 8-byte Folded Spill
	s_wait_loadcnt_dscnt 0x0
	v_and_b32_e32 v3, 0xff, v2
	s_wait_xcnt 0x0
	s_delay_alu instid0(VALU_DEP_1)
	v_cmpx_ne_u16_e32 0, v3
	s_cbranch_execz .LBB232_2513
; %bb.2506:                             ;   in Loop: Header=BB232_2089 Depth=1
	v_mov_b64_e32 v[4:5], 0x80000000
	s_mov_b32 s18, exec_lo
	scratch_store_b64 off, v[4:5], s32 offset:428 ; 8-byte Folded Spill
	s_wait_xcnt 0x0
	v_cmpx_ne_u16_e32 0x80, v3
	s_cbranch_execz .LBB232_2512
; %bb.2507:                             ;   in Loop: Header=BB232_2089 Depth=1
	v_mov_b64_e32 v[6:7], 0x7f800001
	v_and_b32_e32 v4, 0x7f, v2
	s_mov_b32 s19, exec_lo
	scratch_store_b64 off, v[6:7], s32 offset:428 ; 8-byte Folded Spill
	s_wait_xcnt 0x0
	v_cmpx_ne_u32_e32 0x7f, v4
	s_cbranch_execz .LBB232_2511
; %bb.2508:                             ;   in Loop: Header=BB232_2089 Depth=1
	scratch_load_b64 v[6:7], off, s32 offset:192 th:TH_LOAD_LU ; 8-byte Folded Reload
	s_wait_loadcnt 0x0
	v_dual_lshrrev_b32 v3, 3, v4 :: v_dual_bitop2_b32 v6, 7, v2 bitop3:0x40
	s_mov_b32 s20, exec_lo
	s_wait_xcnt 0x0
	v_cmpx_gt_u32_e32 8, v4
; %bb.2509:                             ;   in Loop: Header=BB232_2089 Depth=1
	s_delay_alu instid0(VALU_DEP_2) | instskip(NEXT) | instid1(VALU_DEP_1)
	v_clz_i32_u32_e32 v3, v6
	v_min_u32_e32 v3, 32, v3
	s_delay_alu instid0(VALU_DEP_1) | instskip(NEXT) | instid1(VALU_DEP_1)
	v_subrev_nc_u32_e32 v4, 28, v3
	v_lshlrev_b64_e32 v[4:5], v4, v[6:7]
	s_delay_alu instid0(VALU_DEP_1)
	v_dual_sub_nc_u32 v3, 29, v3 :: v_dual_bitop2_b32 v6, 7, v4 bitop3:0x40
; %bb.2510:                             ;   in Loop: Header=BB232_2089 Depth=1
	s_or_b32 exec_lo, exec_lo, s20
	v_lshlrev_b32_e32 v4, 24, v2
	s_delay_alu instid0(VALU_DEP_2) | instskip(NEXT) | instid1(VALU_DEP_3)
	v_lshlrev_b32_e32 v5, 20, v6
	v_lshl_add_u32 v3, v3, 23, 0x3c000000
	s_delay_alu instid0(VALU_DEP_3) | instskip(NEXT) | instid1(VALU_DEP_1)
	v_and_b32_e32 v4, 0x80000000, v4
	v_or3_b32 v6, v5, v4, v3
	v_mov_b32_e32 v3, v7
	s_clause 0x1
	scratch_store_b64 off, v[2:3], s32 offset:192
	scratch_store_b64 off, v[6:7], s32 offset:428
.LBB232_2511:                           ;   in Loop: Header=BB232_2089 Depth=1
	s_wait_xcnt 0x0
	s_or_b32 exec_lo, exec_lo, s19
.LBB232_2512:                           ;   in Loop: Header=BB232_2089 Depth=1
	s_delay_alu instid0(SALU_CYCLE_1)
	s_or_b32 exec_lo, exec_lo, s18
.LBB232_2513:                           ;   in Loop: Header=BB232_2089 Depth=1
	s_delay_alu instid0(SALU_CYCLE_1) | instskip(SKIP_2) | instid1(VALU_DEP_1)
	s_or_b32 exec_lo, exec_lo, s17
	v_lshrrev_b16 v3, 8, v2
	s_mov_b32 s17, exec_lo
	v_cmpx_ne_u16_e32 0, v3
	s_cbranch_execz .LBB232_2521
; %bb.2514:                             ;   in Loop: Header=BB232_2089 Depth=1
	v_mov_b64_e32 v[4:5], 0x8000000000000000
	s_mov_b32 s18, exec_lo
	scratch_store_b64 off, v[4:5], s32 offset:420 ; 8-byte Folded Spill
	s_wait_xcnt 0x0
	v_cmpx_ne_u16_e32 0x80, v3
	s_cbranch_execz .LBB232_2520
; %bb.2515:                             ;   in Loop: Header=BB232_2089 Depth=1
	v_and_b32_e32 v3, 0xffff, v3
	v_mov_b64_e32 v[6:7], 0x7f80000100000000
	s_mov_b32 s19, exec_lo
	s_delay_alu instid0(VALU_DEP_2)
	v_and_b32_e32 v4, 0x7f, v3
	scratch_store_b64 off, v[6:7], s32 offset:420 ; 8-byte Folded Spill
	s_wait_xcnt 0x0
	v_cmpx_ne_u32_e32 0x7f, v4
	s_cbranch_execz .LBB232_2519
; %bb.2516:                             ;   in Loop: Header=BB232_2089 Depth=1
	scratch_load_b64 v[6:7], off, s32 offset:192 th:TH_LOAD_LU ; 8-byte Folded Reload
	s_wait_loadcnt 0x0
	v_dual_lshrrev_b32 v3, 3, v4 :: v_dual_bitop2_b32 v6, 7, v3 bitop3:0x40
	s_mov_b32 s20, exec_lo
	s_wait_xcnt 0x0
	v_cmpx_gt_u32_e32 8, v4
; %bb.2517:                             ;   in Loop: Header=BB232_2089 Depth=1
	s_delay_alu instid0(VALU_DEP_2) | instskip(NEXT) | instid1(VALU_DEP_1)
	v_clz_i32_u32_e32 v3, v6
	v_min_u32_e32 v3, 32, v3
	s_delay_alu instid0(VALU_DEP_1) | instskip(NEXT) | instid1(VALU_DEP_1)
	v_subrev_nc_u32_e32 v4, 28, v3
	v_lshlrev_b64_e32 v[4:5], v4, v[6:7]
	s_delay_alu instid0(VALU_DEP_1)
	v_dual_sub_nc_u32 v3, 29, v3 :: v_dual_bitop2_b32 v6, 7, v4 bitop3:0x40
; %bb.2518:                             ;   in Loop: Header=BB232_2089 Depth=1
	s_or_b32 exec_lo, exec_lo, s20
	v_lshlrev_b32_e32 v4, 16, v2
	s_delay_alu instid0(VALU_DEP_2) | instskip(NEXT) | instid1(VALU_DEP_3)
	v_lshlrev_b32_e32 v5, 20, v6
	v_lshl_add_u32 v3, v3, 23, 0x3c000000
	s_delay_alu instid0(VALU_DEP_3) | instskip(NEXT) | instid1(VALU_DEP_1)
	v_and_b32_e32 v4, 0x80000000, v4
	v_or3_b32 v5, v5, v4, v3
	v_dual_mov_b32 v3, v7 :: v_dual_mov_b32 v4, v7
	s_clause 0x1
	scratch_store_b64 off, v[2:3], s32 offset:192
	scratch_store_b64 off, v[4:5], s32 offset:420
.LBB232_2519:                           ;   in Loop: Header=BB232_2089 Depth=1
	s_wait_xcnt 0x0
	s_or_b32 exec_lo, exec_lo, s19
.LBB232_2520:                           ;   in Loop: Header=BB232_2089 Depth=1
	s_delay_alu instid0(SALU_CYCLE_1)
	s_or_b32 exec_lo, exec_lo, s18
.LBB232_2521:                           ;   in Loop: Header=BB232_2089 Depth=1
	s_delay_alu instid0(SALU_CYCLE_1) | instskip(SKIP_3) | instid1(VALU_DEP_1)
	s_or_b32 exec_lo, exec_lo, s17
	v_mov_b64_e32 v[6:7], 0
	v_lshrrev_b32_e32 v3, 16, v2
	s_mov_b32 s17, exec_lo
	v_and_b32_e32 v4, 0xff, v3
	scratch_store_b64 off, v[6:7], s32 offset:436 ; 8-byte Folded Spill
	s_wait_xcnt 0x0
	v_mov_b64_e32 v[6:7], 0
	scratch_store_b64 off, v[6:7], s32 offset:444 ; 8-byte Folded Spill
	s_wait_xcnt 0x0
	v_cmpx_ne_u16_e32 0, v4
	s_cbranch_execz .LBB232_2529
; %bb.2522:                             ;   in Loop: Header=BB232_2089 Depth=1
	v_cmp_ne_u16_e64 s4, 0x80, v4
	v_mov_b64_e32 v[4:5], 0x80000000
	scratch_store_b64 off, v[4:5], s32 offset:444 ; 8-byte Folded Spill
	s_wait_xcnt 0x0
	s_and_saveexec_b32 s18, s4
	s_cbranch_execz .LBB232_2528
; %bb.2523:                             ;   in Loop: Header=BB232_2089 Depth=1
	v_mov_b64_e32 v[6:7], 0x7f800001
	v_bfe_u32 v5, v2, 16, 7
	s_mov_b32 s19, exec_lo
	scratch_store_b64 off, v[6:7], s32 offset:444 ; 8-byte Folded Spill
	s_wait_xcnt 0x0
	v_cmpx_ne_u32_e32 0x7f, v5
	s_cbranch_execz .LBB232_2527
; %bb.2524:                             ;   in Loop: Header=BB232_2089 Depth=1
	scratch_load_b64 v[8:9], off, s32 offset:192 th:TH_LOAD_LU ; 8-byte Folded Reload
	s_wait_loadcnt 0x0
	v_dual_lshrrev_b32 v4, 3, v5 :: v_dual_bitop2_b32 v8, 7, v3 bitop3:0x40
	s_mov_b32 s20, exec_lo
	s_wait_xcnt 0x0
	v_cmpx_gt_u32_e32 8, v5
; %bb.2525:                             ;   in Loop: Header=BB232_2089 Depth=1
	s_delay_alu instid0(VALU_DEP_2) | instskip(NEXT) | instid1(VALU_DEP_1)
	v_clz_i32_u32_e32 v4, v8
	v_min_u32_e32 v4, 32, v4
	s_delay_alu instid0(VALU_DEP_1) | instskip(NEXT) | instid1(VALU_DEP_1)
	v_subrev_nc_u32_e32 v5, 28, v4
	v_lshlrev_b64_e32 v[6:7], v5, v[8:9]
	s_delay_alu instid0(VALU_DEP_1)
	v_dual_sub_nc_u32 v4, 29, v4 :: v_dual_bitop2_b32 v8, 7, v6 bitop3:0x40
; %bb.2526:                             ;   in Loop: Header=BB232_2089 Depth=1
	s_or_b32 exec_lo, exec_lo, s20
	s_delay_alu instid0(VALU_DEP_1) | instskip(NEXT) | instid1(VALU_DEP_2)
	v_dual_lshlrev_b32 v3, 24, v3 :: v_dual_lshlrev_b32 v5, 20, v8
	v_lshl_add_u32 v4, v4, 23, 0x3c000000
	s_delay_alu instid0(VALU_DEP_2) | instskip(NEXT) | instid1(VALU_DEP_1)
	v_and_b32_e32 v3, 0x80000000, v3
	v_or3_b32 v8, v5, v3, v4
	v_mov_b32_e32 v3, v9
	s_clause 0x1
	scratch_store_b64 off, v[2:3], s32 offset:192
	scratch_store_b64 off, v[8:9], s32 offset:444
.LBB232_2527:                           ;   in Loop: Header=BB232_2089 Depth=1
	s_wait_xcnt 0x0
	s_or_b32 exec_lo, exec_lo, s19
.LBB232_2528:                           ;   in Loop: Header=BB232_2089 Depth=1
	s_delay_alu instid0(SALU_CYCLE_1)
	s_or_b32 exec_lo, exec_lo, s18
.LBB232_2529:                           ;   in Loop: Header=BB232_2089 Depth=1
	s_delay_alu instid0(SALU_CYCLE_1) | instskip(NEXT) | instid1(SALU_CYCLE_1)
	s_or_b32 exec_lo, exec_lo, s17
	s_mov_b32 s17, exec_lo
	v_cmpx_lt_u32_e32 0xffffff, v2
	s_cbranch_execz .LBB232_2537
; %bb.2530:                             ;   in Loop: Header=BB232_2089 Depth=1
	v_mov_b64_e32 v[4:5], 0x8000000000000000
	v_lshrrev_b32_e32 v3, 24, v2
	s_mov_b32 s18, exec_lo
	scratch_store_b64 off, v[4:5], s32 offset:436 ; 8-byte Folded Spill
	s_wait_xcnt 0x0
	v_cmpx_ne_u32_e32 0x80, v3
	s_cbranch_execz .LBB232_2536
; %bb.2531:                             ;   in Loop: Header=BB232_2089 Depth=1
	v_mov_b64_e32 v[6:7], 0x7f80000100000000
	v_bfe_u32 v4, v2, 24, 7
	s_mov_b32 s19, exec_lo
	scratch_store_b64 off, v[6:7], s32 offset:436 ; 8-byte Folded Spill
	s_wait_xcnt 0x0
	v_cmpx_ne_u32_e32 0x7f, v4
	s_cbranch_execz .LBB232_2535
; %bb.2532:                             ;   in Loop: Header=BB232_2089 Depth=1
	scratch_load_b64 v[6:7], off, s32 offset:192 th:TH_LOAD_LU ; 8-byte Folded Reload
	s_wait_loadcnt 0x0
	v_dual_lshrrev_b32 v2, 3, v4 :: v_dual_bitop2_b32 v6, 7, v3 bitop3:0x40
	s_mov_b32 s20, exec_lo
	s_wait_xcnt 0x0
	v_cmpx_gt_u32_e32 8, v4
; %bb.2533:                             ;   in Loop: Header=BB232_2089 Depth=1
	s_delay_alu instid0(VALU_DEP_2) | instskip(NEXT) | instid1(VALU_DEP_1)
	v_clz_i32_u32_e32 v2, v6
	v_min_u32_e32 v2, 32, v2
	s_delay_alu instid0(VALU_DEP_1) | instskip(NEXT) | instid1(VALU_DEP_1)
	v_subrev_nc_u32_e32 v4, 28, v2
	v_lshlrev_b64_e32 v[4:5], v4, v[6:7]
	s_delay_alu instid0(VALU_DEP_1)
	v_dual_sub_nc_u32 v2, 29, v2 :: v_dual_bitop2_b32 v6, 7, v4 bitop3:0x40
; %bb.2534:                             ;   in Loop: Header=BB232_2089 Depth=1
	s_or_b32 exec_lo, exec_lo, s20
	s_delay_alu instid0(VALU_DEP_1) | instskip(NEXT) | instid1(VALU_DEP_2)
	v_dual_lshlrev_b32 v3, 24, v3 :: v_dual_lshlrev_b32 v4, 20, v6
	v_lshl_add_u32 v2, v2, 23, 0x3c000000
	s_delay_alu instid0(VALU_DEP_2) | instskip(NEXT) | instid1(VALU_DEP_1)
	v_and_b32_e32 v3, 0x80000000, v3
	v_or3_b32 v5, v4, v3, v2
	v_dual_mov_b32 v3, v7 :: v_dual_mov_b32 v4, v7
	s_clause 0x1
	scratch_store_b64 off, v[2:3], s32 offset:192
	scratch_store_b64 off, v[4:5], s32 offset:436
.LBB232_2535:                           ;   in Loop: Header=BB232_2089 Depth=1
	s_wait_xcnt 0x0
	s_or_b32 exec_lo, exec_lo, s19
.LBB232_2536:                           ;   in Loop: Header=BB232_2089 Depth=1
	s_delay_alu instid0(SALU_CYCLE_1)
	s_or_b32 exec_lo, exec_lo, s18
.LBB232_2537:                           ;   in Loop: Header=BB232_2089 Depth=1
	s_delay_alu instid0(SALU_CYCLE_1)
	s_or_b32 exec_lo, exec_lo, s17
	flat_load_b32 v2, v[0:1] offset:1792
	v_mov_b64_e32 v[4:5], 0
	s_mov_b32 s17, exec_lo
	scratch_store_b64 off, v[4:5], s32 offset:452 ; 8-byte Folded Spill
	s_wait_xcnt 0x0
	v_mov_b64_e32 v[4:5], 0
	scratch_store_b64 off, v[4:5], s32 offset:460 ; 8-byte Folded Spill
	s_wait_loadcnt_dscnt 0x0
	v_and_b32_e32 v3, 0xff, v2
	s_wait_xcnt 0x0
	s_delay_alu instid0(VALU_DEP_1)
	v_cmpx_ne_u16_e32 0, v3
	s_cbranch_execz .LBB232_2545
; %bb.2538:                             ;   in Loop: Header=BB232_2089 Depth=1
	v_mov_b64_e32 v[4:5], 0x80000000
	s_mov_b32 s18, exec_lo
	scratch_store_b64 off, v[4:5], s32 offset:460 ; 8-byte Folded Spill
	s_wait_xcnt 0x0
	v_cmpx_ne_u16_e32 0x80, v3
	s_cbranch_execz .LBB232_2544
; %bb.2539:                             ;   in Loop: Header=BB232_2089 Depth=1
	v_mov_b64_e32 v[6:7], 0x7f800001
	v_and_b32_e32 v4, 0x7f, v2
	s_mov_b32 s19, exec_lo
	scratch_store_b64 off, v[6:7], s32 offset:460 ; 8-byte Folded Spill
	s_wait_xcnt 0x0
	v_cmpx_ne_u32_e32 0x7f, v4
	s_cbranch_execz .LBB232_2543
; %bb.2540:                             ;   in Loop: Header=BB232_2089 Depth=1
	scratch_load_b64 v[6:7], off, s32 offset:192 th:TH_LOAD_LU ; 8-byte Folded Reload
	s_wait_loadcnt 0x0
	v_dual_lshrrev_b32 v3, 3, v4 :: v_dual_bitop2_b32 v6, 7, v2 bitop3:0x40
	s_mov_b32 s20, exec_lo
	s_wait_xcnt 0x0
	v_cmpx_gt_u32_e32 8, v4
; %bb.2541:                             ;   in Loop: Header=BB232_2089 Depth=1
	s_delay_alu instid0(VALU_DEP_2) | instskip(NEXT) | instid1(VALU_DEP_1)
	v_clz_i32_u32_e32 v3, v6
	v_min_u32_e32 v3, 32, v3
	s_delay_alu instid0(VALU_DEP_1) | instskip(NEXT) | instid1(VALU_DEP_1)
	v_subrev_nc_u32_e32 v4, 28, v3
	v_lshlrev_b64_e32 v[4:5], v4, v[6:7]
	s_delay_alu instid0(VALU_DEP_1)
	v_dual_sub_nc_u32 v3, 29, v3 :: v_dual_bitop2_b32 v6, 7, v4 bitop3:0x40
; %bb.2542:                             ;   in Loop: Header=BB232_2089 Depth=1
	s_or_b32 exec_lo, exec_lo, s20
	v_lshlrev_b32_e32 v4, 24, v2
	s_delay_alu instid0(VALU_DEP_2) | instskip(NEXT) | instid1(VALU_DEP_3)
	v_lshlrev_b32_e32 v5, 20, v6
	v_lshl_add_u32 v3, v3, 23, 0x3c000000
	s_delay_alu instid0(VALU_DEP_3) | instskip(NEXT) | instid1(VALU_DEP_1)
	v_and_b32_e32 v4, 0x80000000, v4
	v_or3_b32 v6, v5, v4, v3
	v_mov_b32_e32 v3, v7
	s_clause 0x1
	scratch_store_b64 off, v[2:3], s32 offset:192
	scratch_store_b64 off, v[6:7], s32 offset:460
.LBB232_2543:                           ;   in Loop: Header=BB232_2089 Depth=1
	s_wait_xcnt 0x0
	s_or_b32 exec_lo, exec_lo, s19
.LBB232_2544:                           ;   in Loop: Header=BB232_2089 Depth=1
	s_delay_alu instid0(SALU_CYCLE_1)
	s_or_b32 exec_lo, exec_lo, s18
.LBB232_2545:                           ;   in Loop: Header=BB232_2089 Depth=1
	s_delay_alu instid0(SALU_CYCLE_1) | instskip(SKIP_2) | instid1(VALU_DEP_1)
	s_or_b32 exec_lo, exec_lo, s17
	v_lshrrev_b16 v3, 8, v2
	s_mov_b32 s17, exec_lo
	v_cmpx_ne_u16_e32 0, v3
	s_cbranch_execz .LBB232_2553
; %bb.2546:                             ;   in Loop: Header=BB232_2089 Depth=1
	v_mov_b64_e32 v[4:5], 0x8000000000000000
	s_mov_b32 s18, exec_lo
	scratch_store_b64 off, v[4:5], s32 offset:452 ; 8-byte Folded Spill
	s_wait_xcnt 0x0
	v_cmpx_ne_u16_e32 0x80, v3
	s_cbranch_execz .LBB232_2552
; %bb.2547:                             ;   in Loop: Header=BB232_2089 Depth=1
	v_and_b32_e32 v3, 0xffff, v3
	v_mov_b64_e32 v[6:7], 0x7f80000100000000
	s_mov_b32 s19, exec_lo
	s_delay_alu instid0(VALU_DEP_2)
	v_and_b32_e32 v4, 0x7f, v3
	scratch_store_b64 off, v[6:7], s32 offset:452 ; 8-byte Folded Spill
	s_wait_xcnt 0x0
	v_cmpx_ne_u32_e32 0x7f, v4
	s_cbranch_execz .LBB232_2551
; %bb.2548:                             ;   in Loop: Header=BB232_2089 Depth=1
	scratch_load_b64 v[6:7], off, s32 offset:192 th:TH_LOAD_LU ; 8-byte Folded Reload
	s_wait_loadcnt 0x0
	v_dual_lshrrev_b32 v3, 3, v4 :: v_dual_bitop2_b32 v6, 7, v3 bitop3:0x40
	s_mov_b32 s20, exec_lo
	s_wait_xcnt 0x0
	v_cmpx_gt_u32_e32 8, v4
; %bb.2549:                             ;   in Loop: Header=BB232_2089 Depth=1
	s_delay_alu instid0(VALU_DEP_2) | instskip(NEXT) | instid1(VALU_DEP_1)
	v_clz_i32_u32_e32 v3, v6
	v_min_u32_e32 v3, 32, v3
	s_delay_alu instid0(VALU_DEP_1) | instskip(NEXT) | instid1(VALU_DEP_1)
	v_subrev_nc_u32_e32 v4, 28, v3
	v_lshlrev_b64_e32 v[4:5], v4, v[6:7]
	s_delay_alu instid0(VALU_DEP_1)
	v_dual_sub_nc_u32 v3, 29, v3 :: v_dual_bitop2_b32 v6, 7, v4 bitop3:0x40
; %bb.2550:                             ;   in Loop: Header=BB232_2089 Depth=1
	s_or_b32 exec_lo, exec_lo, s20
	v_lshlrev_b32_e32 v4, 16, v2
	s_delay_alu instid0(VALU_DEP_2) | instskip(NEXT) | instid1(VALU_DEP_3)
	v_lshlrev_b32_e32 v5, 20, v6
	v_lshl_add_u32 v3, v3, 23, 0x3c000000
	s_delay_alu instid0(VALU_DEP_3) | instskip(NEXT) | instid1(VALU_DEP_1)
	v_and_b32_e32 v4, 0x80000000, v4
	v_or3_b32 v5, v5, v4, v3
	v_dual_mov_b32 v3, v7 :: v_dual_mov_b32 v4, v7
	s_clause 0x1
	scratch_store_b64 off, v[2:3], s32 offset:192
	scratch_store_b64 off, v[4:5], s32 offset:452
.LBB232_2551:                           ;   in Loop: Header=BB232_2089 Depth=1
	s_wait_xcnt 0x0
	s_or_b32 exec_lo, exec_lo, s19
.LBB232_2552:                           ;   in Loop: Header=BB232_2089 Depth=1
	s_delay_alu instid0(SALU_CYCLE_1)
	s_or_b32 exec_lo, exec_lo, s18
.LBB232_2553:                           ;   in Loop: Header=BB232_2089 Depth=1
	s_delay_alu instid0(SALU_CYCLE_1) | instskip(SKIP_3) | instid1(VALU_DEP_1)
	s_or_b32 exec_lo, exec_lo, s17
	v_mov_b64_e32 v[6:7], 0
	v_lshrrev_b32_e32 v3, 16, v2
	s_mov_b32 s17, exec_lo
	v_and_b32_e32 v4, 0xff, v3
	scratch_store_b64 off, v[6:7], s32 offset:468 ; 8-byte Folded Spill
	s_wait_xcnt 0x0
	v_mov_b64_e32 v[6:7], 0
	scratch_store_b64 off, v[6:7], s32 offset:476 ; 8-byte Folded Spill
	s_wait_xcnt 0x0
	v_cmpx_ne_u16_e32 0, v4
	s_cbranch_execz .LBB232_2561
; %bb.2554:                             ;   in Loop: Header=BB232_2089 Depth=1
	v_cmp_ne_u16_e64 s4, 0x80, v4
	v_mov_b64_e32 v[4:5], 0x80000000
	scratch_store_b64 off, v[4:5], s32 offset:476 ; 8-byte Folded Spill
	s_wait_xcnt 0x0
	s_and_saveexec_b32 s18, s4
	s_cbranch_execz .LBB232_2560
; %bb.2555:                             ;   in Loop: Header=BB232_2089 Depth=1
	v_mov_b64_e32 v[6:7], 0x7f800001
	v_bfe_u32 v5, v2, 16, 7
	s_mov_b32 s19, exec_lo
	scratch_store_b64 off, v[6:7], s32 offset:476 ; 8-byte Folded Spill
	s_wait_xcnt 0x0
	v_cmpx_ne_u32_e32 0x7f, v5
	s_cbranch_execz .LBB232_2559
; %bb.2556:                             ;   in Loop: Header=BB232_2089 Depth=1
	scratch_load_b64 v[8:9], off, s32 offset:192 th:TH_LOAD_LU ; 8-byte Folded Reload
	s_wait_loadcnt 0x0
	v_dual_lshrrev_b32 v4, 3, v5 :: v_dual_bitop2_b32 v8, 7, v3 bitop3:0x40
	s_mov_b32 s20, exec_lo
	s_wait_xcnt 0x0
	v_cmpx_gt_u32_e32 8, v5
; %bb.2557:                             ;   in Loop: Header=BB232_2089 Depth=1
	s_delay_alu instid0(VALU_DEP_2) | instskip(NEXT) | instid1(VALU_DEP_1)
	v_clz_i32_u32_e32 v4, v8
	v_min_u32_e32 v4, 32, v4
	s_delay_alu instid0(VALU_DEP_1) | instskip(NEXT) | instid1(VALU_DEP_1)
	v_subrev_nc_u32_e32 v5, 28, v4
	v_lshlrev_b64_e32 v[6:7], v5, v[8:9]
	s_delay_alu instid0(VALU_DEP_1)
	v_dual_sub_nc_u32 v4, 29, v4 :: v_dual_bitop2_b32 v8, 7, v6 bitop3:0x40
; %bb.2558:                             ;   in Loop: Header=BB232_2089 Depth=1
	s_or_b32 exec_lo, exec_lo, s20
	s_delay_alu instid0(VALU_DEP_1) | instskip(NEXT) | instid1(VALU_DEP_2)
	v_dual_lshlrev_b32 v3, 24, v3 :: v_dual_lshlrev_b32 v5, 20, v8
	v_lshl_add_u32 v4, v4, 23, 0x3c000000
	s_delay_alu instid0(VALU_DEP_2) | instskip(NEXT) | instid1(VALU_DEP_1)
	v_and_b32_e32 v3, 0x80000000, v3
	v_or3_b32 v8, v5, v3, v4
	v_mov_b32_e32 v3, v9
	s_clause 0x1
	scratch_store_b64 off, v[2:3], s32 offset:192
	scratch_store_b64 off, v[8:9], s32 offset:476
.LBB232_2559:                           ;   in Loop: Header=BB232_2089 Depth=1
	s_wait_xcnt 0x0
	s_or_b32 exec_lo, exec_lo, s19
.LBB232_2560:                           ;   in Loop: Header=BB232_2089 Depth=1
	s_delay_alu instid0(SALU_CYCLE_1)
	s_or_b32 exec_lo, exec_lo, s18
.LBB232_2561:                           ;   in Loop: Header=BB232_2089 Depth=1
	s_delay_alu instid0(SALU_CYCLE_1) | instskip(NEXT) | instid1(SALU_CYCLE_1)
	s_or_b32 exec_lo, exec_lo, s17
	s_mov_b32 s17, exec_lo
	v_cmpx_lt_u32_e32 0xffffff, v2
	s_cbranch_execz .LBB232_2569
; %bb.2562:                             ;   in Loop: Header=BB232_2089 Depth=1
	v_mov_b64_e32 v[4:5], 0x8000000000000000
	v_lshrrev_b32_e32 v3, 24, v2
	s_mov_b32 s18, exec_lo
	scratch_store_b64 off, v[4:5], s32 offset:468 ; 8-byte Folded Spill
	s_wait_xcnt 0x0
	v_cmpx_ne_u32_e32 0x80, v3
	s_cbranch_execz .LBB232_2568
; %bb.2563:                             ;   in Loop: Header=BB232_2089 Depth=1
	v_mov_b64_e32 v[6:7], 0x7f80000100000000
	v_bfe_u32 v4, v2, 24, 7
	s_mov_b32 s19, exec_lo
	scratch_store_b64 off, v[6:7], s32 offset:468 ; 8-byte Folded Spill
	s_wait_xcnt 0x0
	v_cmpx_ne_u32_e32 0x7f, v4
	s_cbranch_execz .LBB232_2567
; %bb.2564:                             ;   in Loop: Header=BB232_2089 Depth=1
	scratch_load_b64 v[6:7], off, s32 offset:192 th:TH_LOAD_LU ; 8-byte Folded Reload
	s_wait_loadcnt 0x0
	v_dual_lshrrev_b32 v2, 3, v4 :: v_dual_bitop2_b32 v6, 7, v3 bitop3:0x40
	s_mov_b32 s20, exec_lo
	s_wait_xcnt 0x0
	v_cmpx_gt_u32_e32 8, v4
; %bb.2565:                             ;   in Loop: Header=BB232_2089 Depth=1
	s_delay_alu instid0(VALU_DEP_2) | instskip(NEXT) | instid1(VALU_DEP_1)
	v_clz_i32_u32_e32 v2, v6
	v_min_u32_e32 v2, 32, v2
	s_delay_alu instid0(VALU_DEP_1) | instskip(NEXT) | instid1(VALU_DEP_1)
	v_subrev_nc_u32_e32 v4, 28, v2
	v_lshlrev_b64_e32 v[4:5], v4, v[6:7]
	s_delay_alu instid0(VALU_DEP_1)
	v_dual_sub_nc_u32 v2, 29, v2 :: v_dual_bitop2_b32 v6, 7, v4 bitop3:0x40
; %bb.2566:                             ;   in Loop: Header=BB232_2089 Depth=1
	s_or_b32 exec_lo, exec_lo, s20
	s_delay_alu instid0(VALU_DEP_1) | instskip(NEXT) | instid1(VALU_DEP_2)
	v_dual_lshlrev_b32 v3, 24, v3 :: v_dual_lshlrev_b32 v4, 20, v6
	v_lshl_add_u32 v2, v2, 23, 0x3c000000
	s_delay_alu instid0(VALU_DEP_2) | instskip(NEXT) | instid1(VALU_DEP_1)
	v_and_b32_e32 v3, 0x80000000, v3
	v_or3_b32 v5, v4, v3, v2
	v_dual_mov_b32 v3, v7 :: v_dual_mov_b32 v4, v7
	s_clause 0x1
	scratch_store_b64 off, v[2:3], s32 offset:192
	scratch_store_b64 off, v[4:5], s32 offset:468
.LBB232_2567:                           ;   in Loop: Header=BB232_2089 Depth=1
	s_wait_xcnt 0x0
	s_or_b32 exec_lo, exec_lo, s19
.LBB232_2568:                           ;   in Loop: Header=BB232_2089 Depth=1
	s_delay_alu instid0(SALU_CYCLE_1)
	s_or_b32 exec_lo, exec_lo, s18
.LBB232_2569:                           ;   in Loop: Header=BB232_2089 Depth=1
	s_delay_alu instid0(SALU_CYCLE_1)
	s_or_b32 exec_lo, exec_lo, s17
	flat_load_b32 v2, v[0:1] offset:1920
	v_mov_b64_e32 v[4:5], 0
	s_mov_b32 s17, exec_lo
	scratch_store_b64 off, v[4:5], s32 offset:484 ; 8-byte Folded Spill
	s_wait_xcnt 0x0
	v_mov_b64_e32 v[4:5], 0
	scratch_store_b64 off, v[4:5], s32 offset:492 ; 8-byte Folded Spill
	s_wait_loadcnt_dscnt 0x0
	v_and_b32_e32 v3, 0xff, v2
	s_wait_xcnt 0x0
	s_delay_alu instid0(VALU_DEP_1)
	v_cmpx_ne_u16_e32 0, v3
	s_cbranch_execz .LBB232_2577
; %bb.2570:                             ;   in Loop: Header=BB232_2089 Depth=1
	v_mov_b64_e32 v[4:5], 0x80000000
	s_mov_b32 s18, exec_lo
	scratch_store_b64 off, v[4:5], s32 offset:492 ; 8-byte Folded Spill
	s_wait_xcnt 0x0
	v_cmpx_ne_u16_e32 0x80, v3
	s_cbranch_execz .LBB232_2576
; %bb.2571:                             ;   in Loop: Header=BB232_2089 Depth=1
	v_mov_b64_e32 v[6:7], 0x7f800001
	v_and_b32_e32 v4, 0x7f, v2
	s_mov_b32 s19, exec_lo
	scratch_store_b64 off, v[6:7], s32 offset:492 ; 8-byte Folded Spill
	s_wait_xcnt 0x0
	v_cmpx_ne_u32_e32 0x7f, v4
	s_cbranch_execz .LBB232_2575
; %bb.2572:                             ;   in Loop: Header=BB232_2089 Depth=1
	scratch_load_b64 v[6:7], off, s32 offset:192 th:TH_LOAD_LU ; 8-byte Folded Reload
	s_wait_loadcnt 0x0
	v_dual_lshrrev_b32 v3, 3, v4 :: v_dual_bitop2_b32 v6, 7, v2 bitop3:0x40
	s_mov_b32 s20, exec_lo
	s_wait_xcnt 0x0
	v_cmpx_gt_u32_e32 8, v4
; %bb.2573:                             ;   in Loop: Header=BB232_2089 Depth=1
	s_delay_alu instid0(VALU_DEP_2) | instskip(NEXT) | instid1(VALU_DEP_1)
	v_clz_i32_u32_e32 v3, v6
	v_min_u32_e32 v3, 32, v3
	s_delay_alu instid0(VALU_DEP_1) | instskip(NEXT) | instid1(VALU_DEP_1)
	v_subrev_nc_u32_e32 v4, 28, v3
	v_lshlrev_b64_e32 v[4:5], v4, v[6:7]
	s_delay_alu instid0(VALU_DEP_1)
	v_dual_sub_nc_u32 v3, 29, v3 :: v_dual_bitop2_b32 v6, 7, v4 bitop3:0x40
; %bb.2574:                             ;   in Loop: Header=BB232_2089 Depth=1
	s_or_b32 exec_lo, exec_lo, s20
	v_lshlrev_b32_e32 v4, 24, v2
	s_delay_alu instid0(VALU_DEP_2) | instskip(NEXT) | instid1(VALU_DEP_3)
	v_lshlrev_b32_e32 v5, 20, v6
	v_lshl_add_u32 v3, v3, 23, 0x3c000000
	s_delay_alu instid0(VALU_DEP_3) | instskip(NEXT) | instid1(VALU_DEP_1)
	v_and_b32_e32 v4, 0x80000000, v4
	v_or3_b32 v6, v5, v4, v3
	v_mov_b32_e32 v3, v7
	s_clause 0x1
	scratch_store_b64 off, v[2:3], s32 offset:192
	scratch_store_b64 off, v[6:7], s32 offset:492
.LBB232_2575:                           ;   in Loop: Header=BB232_2089 Depth=1
	s_wait_xcnt 0x0
	s_or_b32 exec_lo, exec_lo, s19
.LBB232_2576:                           ;   in Loop: Header=BB232_2089 Depth=1
	s_delay_alu instid0(SALU_CYCLE_1)
	s_or_b32 exec_lo, exec_lo, s18
.LBB232_2577:                           ;   in Loop: Header=BB232_2089 Depth=1
	s_delay_alu instid0(SALU_CYCLE_1) | instskip(SKIP_2) | instid1(VALU_DEP_1)
	s_or_b32 exec_lo, exec_lo, s17
	v_lshrrev_b16 v3, 8, v2
	s_mov_b32 s17, exec_lo
	v_cmpx_ne_u16_e32 0, v3
	s_cbranch_execz .LBB232_2585
; %bb.2578:                             ;   in Loop: Header=BB232_2089 Depth=1
	v_mov_b64_e32 v[4:5], 0x8000000000000000
	s_mov_b32 s18, exec_lo
	scratch_store_b64 off, v[4:5], s32 offset:484 ; 8-byte Folded Spill
	s_wait_xcnt 0x0
	v_cmpx_ne_u16_e32 0x80, v3
	s_cbranch_execz .LBB232_2584
; %bb.2579:                             ;   in Loop: Header=BB232_2089 Depth=1
	v_and_b32_e32 v3, 0xffff, v3
	v_mov_b64_e32 v[6:7], 0x7f80000100000000
	s_mov_b32 s19, exec_lo
	s_delay_alu instid0(VALU_DEP_2)
	v_and_b32_e32 v4, 0x7f, v3
	scratch_store_b64 off, v[6:7], s32 offset:484 ; 8-byte Folded Spill
	s_wait_xcnt 0x0
	v_cmpx_ne_u32_e32 0x7f, v4
	s_cbranch_execz .LBB232_2583
; %bb.2580:                             ;   in Loop: Header=BB232_2089 Depth=1
	scratch_load_b64 v[6:7], off, s32 offset:192 th:TH_LOAD_LU ; 8-byte Folded Reload
	s_wait_loadcnt 0x0
	v_dual_lshrrev_b32 v3, 3, v4 :: v_dual_bitop2_b32 v6, 7, v3 bitop3:0x40
	s_mov_b32 s20, exec_lo
	s_wait_xcnt 0x0
	v_cmpx_gt_u32_e32 8, v4
; %bb.2581:                             ;   in Loop: Header=BB232_2089 Depth=1
	s_delay_alu instid0(VALU_DEP_2) | instskip(NEXT) | instid1(VALU_DEP_1)
	v_clz_i32_u32_e32 v3, v6
	v_min_u32_e32 v3, 32, v3
	s_delay_alu instid0(VALU_DEP_1) | instskip(NEXT) | instid1(VALU_DEP_1)
	v_subrev_nc_u32_e32 v4, 28, v3
	v_lshlrev_b64_e32 v[4:5], v4, v[6:7]
	s_delay_alu instid0(VALU_DEP_1)
	v_dual_sub_nc_u32 v3, 29, v3 :: v_dual_bitop2_b32 v6, 7, v4 bitop3:0x40
; %bb.2582:                             ;   in Loop: Header=BB232_2089 Depth=1
	s_or_b32 exec_lo, exec_lo, s20
	v_lshlrev_b32_e32 v4, 16, v2
	s_delay_alu instid0(VALU_DEP_2) | instskip(NEXT) | instid1(VALU_DEP_3)
	v_lshlrev_b32_e32 v5, 20, v6
	v_lshl_add_u32 v3, v3, 23, 0x3c000000
	s_delay_alu instid0(VALU_DEP_3) | instskip(NEXT) | instid1(VALU_DEP_1)
	v_and_b32_e32 v4, 0x80000000, v4
	v_or3_b32 v5, v5, v4, v3
	v_dual_mov_b32 v3, v7 :: v_dual_mov_b32 v4, v7
	s_clause 0x1
	scratch_store_b64 off, v[2:3], s32 offset:192
	scratch_store_b64 off, v[4:5], s32 offset:484
.LBB232_2583:                           ;   in Loop: Header=BB232_2089 Depth=1
	s_wait_xcnt 0x0
	s_or_b32 exec_lo, exec_lo, s19
.LBB232_2584:                           ;   in Loop: Header=BB232_2089 Depth=1
	s_delay_alu instid0(SALU_CYCLE_1)
	s_or_b32 exec_lo, exec_lo, s18
.LBB232_2585:                           ;   in Loop: Header=BB232_2089 Depth=1
	s_delay_alu instid0(SALU_CYCLE_1) | instskip(SKIP_3) | instid1(VALU_DEP_1)
	s_or_b32 exec_lo, exec_lo, s17
	v_mov_b64_e32 v[6:7], 0
	v_lshrrev_b32_e32 v3, 16, v2
	s_mov_b32 s17, exec_lo
	v_and_b32_e32 v4, 0xff, v3
	scratch_store_b64 off, v[6:7], s32 offset:500 ; 8-byte Folded Spill
	s_wait_xcnt 0x0
	v_mov_b64_e32 v[6:7], 0
	scratch_store_b64 off, v[6:7], s32 offset:508 ; 8-byte Folded Spill
	s_wait_xcnt 0x0
	v_cmpx_ne_u16_e32 0, v4
	s_cbranch_execz .LBB232_2593
; %bb.2586:                             ;   in Loop: Header=BB232_2089 Depth=1
	v_cmp_ne_u16_e64 s4, 0x80, v4
	v_mov_b64_e32 v[4:5], 0x80000000
	scratch_store_b64 off, v[4:5], s32 offset:508 ; 8-byte Folded Spill
	s_wait_xcnt 0x0
	s_and_saveexec_b32 s18, s4
	s_cbranch_execz .LBB232_2592
; %bb.2587:                             ;   in Loop: Header=BB232_2089 Depth=1
	v_mov_b64_e32 v[6:7], 0x7f800001
	v_bfe_u32 v5, v2, 16, 7
	s_mov_b32 s19, exec_lo
	scratch_store_b64 off, v[6:7], s32 offset:508 ; 8-byte Folded Spill
	s_wait_xcnt 0x0
	v_cmpx_ne_u32_e32 0x7f, v5
	s_cbranch_execz .LBB232_2591
; %bb.2588:                             ;   in Loop: Header=BB232_2089 Depth=1
	scratch_load_b64 v[8:9], off, s32 offset:192 th:TH_LOAD_LU ; 8-byte Folded Reload
	s_wait_loadcnt 0x0
	v_dual_lshrrev_b32 v4, 3, v5 :: v_dual_bitop2_b32 v8, 7, v3 bitop3:0x40
	s_mov_b32 s20, exec_lo
	s_wait_xcnt 0x0
	v_cmpx_gt_u32_e32 8, v5
; %bb.2589:                             ;   in Loop: Header=BB232_2089 Depth=1
	s_delay_alu instid0(VALU_DEP_2) | instskip(NEXT) | instid1(VALU_DEP_1)
	v_clz_i32_u32_e32 v4, v8
	v_min_u32_e32 v4, 32, v4
	s_delay_alu instid0(VALU_DEP_1) | instskip(NEXT) | instid1(VALU_DEP_1)
	v_subrev_nc_u32_e32 v5, 28, v4
	v_lshlrev_b64_e32 v[6:7], v5, v[8:9]
	s_delay_alu instid0(VALU_DEP_1)
	v_dual_sub_nc_u32 v4, 29, v4 :: v_dual_bitop2_b32 v8, 7, v6 bitop3:0x40
; %bb.2590:                             ;   in Loop: Header=BB232_2089 Depth=1
	s_or_b32 exec_lo, exec_lo, s20
	s_delay_alu instid0(VALU_DEP_1) | instskip(NEXT) | instid1(VALU_DEP_2)
	v_dual_lshlrev_b32 v3, 24, v3 :: v_dual_lshlrev_b32 v5, 20, v8
	v_lshl_add_u32 v4, v4, 23, 0x3c000000
	s_delay_alu instid0(VALU_DEP_2) | instskip(NEXT) | instid1(VALU_DEP_1)
	v_and_b32_e32 v3, 0x80000000, v3
	v_or3_b32 v8, v5, v3, v4
	v_mov_b32_e32 v3, v9
	s_clause 0x1
	scratch_store_b64 off, v[2:3], s32 offset:192
	scratch_store_b64 off, v[8:9], s32 offset:508
.LBB232_2591:                           ;   in Loop: Header=BB232_2089 Depth=1
	s_wait_xcnt 0x0
	s_or_b32 exec_lo, exec_lo, s19
.LBB232_2592:                           ;   in Loop: Header=BB232_2089 Depth=1
	s_delay_alu instid0(SALU_CYCLE_1)
	s_or_b32 exec_lo, exec_lo, s18
.LBB232_2593:                           ;   in Loop: Header=BB232_2089 Depth=1
	s_delay_alu instid0(SALU_CYCLE_1) | instskip(NEXT) | instid1(SALU_CYCLE_1)
	s_or_b32 exec_lo, exec_lo, s17
	s_mov_b32 s17, exec_lo
	v_cmpx_lt_u32_e32 0xffffff, v2
	s_cbranch_execz .LBB232_2601
; %bb.2594:                             ;   in Loop: Header=BB232_2089 Depth=1
	v_mov_b64_e32 v[4:5], 0x8000000000000000
	v_lshrrev_b32_e32 v3, 24, v2
	s_mov_b32 s18, exec_lo
	scratch_store_b64 off, v[4:5], s32 offset:500 ; 8-byte Folded Spill
	s_wait_xcnt 0x0
	v_cmpx_ne_u32_e32 0x80, v3
	s_cbranch_execz .LBB232_2600
; %bb.2595:                             ;   in Loop: Header=BB232_2089 Depth=1
	v_mov_b64_e32 v[6:7], 0x7f80000100000000
	v_bfe_u32 v4, v2, 24, 7
	s_mov_b32 s19, exec_lo
	scratch_store_b64 off, v[6:7], s32 offset:500 ; 8-byte Folded Spill
	s_wait_xcnt 0x0
	v_cmpx_ne_u32_e32 0x7f, v4
	s_cbranch_execz .LBB232_2599
; %bb.2596:                             ;   in Loop: Header=BB232_2089 Depth=1
	scratch_load_b64 v[6:7], off, s32 offset:192 th:TH_LOAD_LU ; 8-byte Folded Reload
	s_wait_loadcnt 0x0
	v_dual_lshrrev_b32 v2, 3, v4 :: v_dual_bitop2_b32 v6, 7, v3 bitop3:0x40
	s_mov_b32 s20, exec_lo
	s_wait_xcnt 0x0
	v_cmpx_gt_u32_e32 8, v4
; %bb.2597:                             ;   in Loop: Header=BB232_2089 Depth=1
	s_delay_alu instid0(VALU_DEP_2) | instskip(NEXT) | instid1(VALU_DEP_1)
	v_clz_i32_u32_e32 v2, v6
	v_min_u32_e32 v2, 32, v2
	s_delay_alu instid0(VALU_DEP_1) | instskip(NEXT) | instid1(VALU_DEP_1)
	v_subrev_nc_u32_e32 v4, 28, v2
	v_lshlrev_b64_e32 v[4:5], v4, v[6:7]
	s_delay_alu instid0(VALU_DEP_1)
	v_dual_sub_nc_u32 v2, 29, v2 :: v_dual_bitop2_b32 v6, 7, v4 bitop3:0x40
; %bb.2598:                             ;   in Loop: Header=BB232_2089 Depth=1
	s_or_b32 exec_lo, exec_lo, s20
	s_delay_alu instid0(VALU_DEP_1) | instskip(NEXT) | instid1(VALU_DEP_2)
	v_dual_lshlrev_b32 v3, 24, v3 :: v_dual_lshlrev_b32 v4, 20, v6
	v_lshl_add_u32 v2, v2, 23, 0x3c000000
	s_delay_alu instid0(VALU_DEP_2) | instskip(NEXT) | instid1(VALU_DEP_1)
	v_and_b32_e32 v3, 0x80000000, v3
	v_or3_b32 v5, v4, v3, v2
	v_dual_mov_b32 v3, v7 :: v_dual_mov_b32 v4, v7
	s_clause 0x1
	scratch_store_b64 off, v[2:3], s32 offset:192
	scratch_store_b64 off, v[4:5], s32 offset:500
.LBB232_2599:                           ;   in Loop: Header=BB232_2089 Depth=1
	s_wait_xcnt 0x0
	s_or_b32 exec_lo, exec_lo, s19
.LBB232_2600:                           ;   in Loop: Header=BB232_2089 Depth=1
	s_delay_alu instid0(SALU_CYCLE_1)
	s_or_b32 exec_lo, exec_lo, s18
.LBB232_2601:                           ;   in Loop: Header=BB232_2089 Depth=1
	s_delay_alu instid0(SALU_CYCLE_1)
	s_or_b32 exec_lo, exec_lo, s17
	flat_load_b32 v2, v[0:1] offset:2048
	v_mov_b64_e32 v[4:5], 0
	s_mov_b32 s17, exec_lo
	scratch_store_b64 off, v[4:5], s32 offset:516 ; 8-byte Folded Spill
	s_wait_xcnt 0x0
	v_mov_b64_e32 v[4:5], 0
	scratch_store_b64 off, v[4:5], s32 offset:524 ; 8-byte Folded Spill
	s_wait_loadcnt_dscnt 0x0
	v_and_b32_e32 v3, 0xff, v2
	s_wait_xcnt 0x0
	s_delay_alu instid0(VALU_DEP_1)
	v_cmpx_ne_u16_e32 0, v3
	s_cbranch_execz .LBB232_2609
; %bb.2602:                             ;   in Loop: Header=BB232_2089 Depth=1
	v_mov_b64_e32 v[4:5], 0x80000000
	s_mov_b32 s18, exec_lo
	scratch_store_b64 off, v[4:5], s32 offset:524 ; 8-byte Folded Spill
	s_wait_xcnt 0x0
	v_cmpx_ne_u16_e32 0x80, v3
	s_cbranch_execz .LBB232_2608
; %bb.2603:                             ;   in Loop: Header=BB232_2089 Depth=1
	v_mov_b64_e32 v[6:7], 0x7f800001
	v_and_b32_e32 v4, 0x7f, v2
	s_mov_b32 s19, exec_lo
	scratch_store_b64 off, v[6:7], s32 offset:524 ; 8-byte Folded Spill
	s_wait_xcnt 0x0
	v_cmpx_ne_u32_e32 0x7f, v4
	s_cbranch_execz .LBB232_2607
; %bb.2604:                             ;   in Loop: Header=BB232_2089 Depth=1
	scratch_load_b64 v[6:7], off, s32 offset:192 th:TH_LOAD_LU ; 8-byte Folded Reload
	s_wait_loadcnt 0x0
	v_dual_lshrrev_b32 v3, 3, v4 :: v_dual_bitop2_b32 v6, 7, v2 bitop3:0x40
	s_mov_b32 s20, exec_lo
	s_wait_xcnt 0x0
	v_cmpx_gt_u32_e32 8, v4
; %bb.2605:                             ;   in Loop: Header=BB232_2089 Depth=1
	s_delay_alu instid0(VALU_DEP_2) | instskip(NEXT) | instid1(VALU_DEP_1)
	v_clz_i32_u32_e32 v3, v6
	v_min_u32_e32 v3, 32, v3
	s_delay_alu instid0(VALU_DEP_1) | instskip(NEXT) | instid1(VALU_DEP_1)
	v_subrev_nc_u32_e32 v4, 28, v3
	v_lshlrev_b64_e32 v[4:5], v4, v[6:7]
	s_delay_alu instid0(VALU_DEP_1)
	v_dual_sub_nc_u32 v3, 29, v3 :: v_dual_bitop2_b32 v6, 7, v4 bitop3:0x40
; %bb.2606:                             ;   in Loop: Header=BB232_2089 Depth=1
	s_or_b32 exec_lo, exec_lo, s20
	v_lshlrev_b32_e32 v4, 24, v2
	s_delay_alu instid0(VALU_DEP_2) | instskip(NEXT) | instid1(VALU_DEP_3)
	v_lshlrev_b32_e32 v5, 20, v6
	v_lshl_add_u32 v3, v3, 23, 0x3c000000
	s_delay_alu instid0(VALU_DEP_3) | instskip(NEXT) | instid1(VALU_DEP_1)
	v_and_b32_e32 v4, 0x80000000, v4
	v_or3_b32 v6, v5, v4, v3
	v_mov_b32_e32 v3, v7
	s_clause 0x1
	scratch_store_b64 off, v[2:3], s32 offset:192
	scratch_store_b64 off, v[6:7], s32 offset:524
.LBB232_2607:                           ;   in Loop: Header=BB232_2089 Depth=1
	s_wait_xcnt 0x0
	s_or_b32 exec_lo, exec_lo, s19
.LBB232_2608:                           ;   in Loop: Header=BB232_2089 Depth=1
	s_delay_alu instid0(SALU_CYCLE_1)
	s_or_b32 exec_lo, exec_lo, s18
.LBB232_2609:                           ;   in Loop: Header=BB232_2089 Depth=1
	s_delay_alu instid0(SALU_CYCLE_1) | instskip(SKIP_2) | instid1(VALU_DEP_1)
	s_or_b32 exec_lo, exec_lo, s17
	v_lshrrev_b16 v3, 8, v2
	s_mov_b32 s17, exec_lo
	v_cmpx_ne_u16_e32 0, v3
	s_cbranch_execz .LBB232_2617
; %bb.2610:                             ;   in Loop: Header=BB232_2089 Depth=1
	v_mov_b64_e32 v[4:5], 0x8000000000000000
	s_mov_b32 s18, exec_lo
	scratch_store_b64 off, v[4:5], s32 offset:516 ; 8-byte Folded Spill
	s_wait_xcnt 0x0
	v_cmpx_ne_u16_e32 0x80, v3
	s_cbranch_execz .LBB232_2616
; %bb.2611:                             ;   in Loop: Header=BB232_2089 Depth=1
	v_and_b32_e32 v3, 0xffff, v3
	v_mov_b64_e32 v[6:7], 0x7f80000100000000
	s_mov_b32 s19, exec_lo
	s_delay_alu instid0(VALU_DEP_2)
	v_and_b32_e32 v4, 0x7f, v3
	scratch_store_b64 off, v[6:7], s32 offset:516 ; 8-byte Folded Spill
	s_wait_xcnt 0x0
	v_cmpx_ne_u32_e32 0x7f, v4
	s_cbranch_execz .LBB232_2615
; %bb.2612:                             ;   in Loop: Header=BB232_2089 Depth=1
	scratch_load_b64 v[6:7], off, s32 offset:192 th:TH_LOAD_LU ; 8-byte Folded Reload
	s_wait_loadcnt 0x0
	v_dual_lshrrev_b32 v3, 3, v4 :: v_dual_bitop2_b32 v6, 7, v3 bitop3:0x40
	s_mov_b32 s20, exec_lo
	s_wait_xcnt 0x0
	v_cmpx_gt_u32_e32 8, v4
; %bb.2613:                             ;   in Loop: Header=BB232_2089 Depth=1
	s_delay_alu instid0(VALU_DEP_2) | instskip(NEXT) | instid1(VALU_DEP_1)
	v_clz_i32_u32_e32 v3, v6
	v_min_u32_e32 v3, 32, v3
	s_delay_alu instid0(VALU_DEP_1) | instskip(NEXT) | instid1(VALU_DEP_1)
	v_subrev_nc_u32_e32 v4, 28, v3
	v_lshlrev_b64_e32 v[4:5], v4, v[6:7]
	s_delay_alu instid0(VALU_DEP_1)
	v_dual_sub_nc_u32 v3, 29, v3 :: v_dual_bitop2_b32 v6, 7, v4 bitop3:0x40
; %bb.2614:                             ;   in Loop: Header=BB232_2089 Depth=1
	s_or_b32 exec_lo, exec_lo, s20
	v_lshlrev_b32_e32 v4, 16, v2
	s_delay_alu instid0(VALU_DEP_2) | instskip(NEXT) | instid1(VALU_DEP_3)
	v_lshlrev_b32_e32 v5, 20, v6
	v_lshl_add_u32 v3, v3, 23, 0x3c000000
	s_delay_alu instid0(VALU_DEP_3) | instskip(NEXT) | instid1(VALU_DEP_1)
	v_and_b32_e32 v4, 0x80000000, v4
	v_or3_b32 v5, v5, v4, v3
	v_dual_mov_b32 v3, v7 :: v_dual_mov_b32 v4, v7
	s_clause 0x1
	scratch_store_b64 off, v[2:3], s32 offset:192
	scratch_store_b64 off, v[4:5], s32 offset:516
.LBB232_2615:                           ;   in Loop: Header=BB232_2089 Depth=1
	s_wait_xcnt 0x0
	s_or_b32 exec_lo, exec_lo, s19
.LBB232_2616:                           ;   in Loop: Header=BB232_2089 Depth=1
	s_delay_alu instid0(SALU_CYCLE_1)
	s_or_b32 exec_lo, exec_lo, s18
.LBB232_2617:                           ;   in Loop: Header=BB232_2089 Depth=1
	s_delay_alu instid0(SALU_CYCLE_1) | instskip(SKIP_3) | instid1(VALU_DEP_1)
	s_or_b32 exec_lo, exec_lo, s17
	v_mov_b64_e32 v[6:7], 0
	v_lshrrev_b32_e32 v3, 16, v2
	s_mov_b32 s17, exec_lo
	v_and_b32_e32 v4, 0xff, v3
	scratch_store_b64 off, v[6:7], s32 offset:532 ; 8-byte Folded Spill
	s_wait_xcnt 0x0
	v_mov_b64_e32 v[6:7], 0
	scratch_store_b64 off, v[6:7], s32 offset:540 ; 8-byte Folded Spill
	s_wait_xcnt 0x0
	v_cmpx_ne_u16_e32 0, v4
	s_cbranch_execz .LBB232_2625
; %bb.2618:                             ;   in Loop: Header=BB232_2089 Depth=1
	v_cmp_ne_u16_e64 s4, 0x80, v4
	v_mov_b64_e32 v[4:5], 0x80000000
	scratch_store_b64 off, v[4:5], s32 offset:540 ; 8-byte Folded Spill
	s_wait_xcnt 0x0
	s_and_saveexec_b32 s18, s4
	s_cbranch_execz .LBB232_2624
; %bb.2619:                             ;   in Loop: Header=BB232_2089 Depth=1
	v_mov_b64_e32 v[6:7], 0x7f800001
	v_bfe_u32 v5, v2, 16, 7
	s_mov_b32 s19, exec_lo
	scratch_store_b64 off, v[6:7], s32 offset:540 ; 8-byte Folded Spill
	s_wait_xcnt 0x0
	v_cmpx_ne_u32_e32 0x7f, v5
	s_cbranch_execz .LBB232_2623
; %bb.2620:                             ;   in Loop: Header=BB232_2089 Depth=1
	scratch_load_b64 v[8:9], off, s32 offset:192 th:TH_LOAD_LU ; 8-byte Folded Reload
	s_wait_loadcnt 0x0
	v_dual_lshrrev_b32 v4, 3, v5 :: v_dual_bitop2_b32 v8, 7, v3 bitop3:0x40
	s_mov_b32 s20, exec_lo
	s_wait_xcnt 0x0
	v_cmpx_gt_u32_e32 8, v5
; %bb.2621:                             ;   in Loop: Header=BB232_2089 Depth=1
	s_delay_alu instid0(VALU_DEP_2) | instskip(NEXT) | instid1(VALU_DEP_1)
	v_clz_i32_u32_e32 v4, v8
	v_min_u32_e32 v4, 32, v4
	s_delay_alu instid0(VALU_DEP_1) | instskip(NEXT) | instid1(VALU_DEP_1)
	v_subrev_nc_u32_e32 v5, 28, v4
	v_lshlrev_b64_e32 v[6:7], v5, v[8:9]
	s_delay_alu instid0(VALU_DEP_1)
	v_dual_sub_nc_u32 v4, 29, v4 :: v_dual_bitop2_b32 v8, 7, v6 bitop3:0x40
; %bb.2622:                             ;   in Loop: Header=BB232_2089 Depth=1
	s_or_b32 exec_lo, exec_lo, s20
	s_delay_alu instid0(VALU_DEP_1) | instskip(NEXT) | instid1(VALU_DEP_2)
	v_dual_lshlrev_b32 v3, 24, v3 :: v_dual_lshlrev_b32 v5, 20, v8
	v_lshl_add_u32 v4, v4, 23, 0x3c000000
	s_delay_alu instid0(VALU_DEP_2) | instskip(NEXT) | instid1(VALU_DEP_1)
	v_and_b32_e32 v3, 0x80000000, v3
	v_or3_b32 v8, v5, v3, v4
	v_mov_b32_e32 v3, v9
	s_clause 0x1
	scratch_store_b64 off, v[2:3], s32 offset:192
	scratch_store_b64 off, v[8:9], s32 offset:540
.LBB232_2623:                           ;   in Loop: Header=BB232_2089 Depth=1
	s_wait_xcnt 0x0
	s_or_b32 exec_lo, exec_lo, s19
.LBB232_2624:                           ;   in Loop: Header=BB232_2089 Depth=1
	s_delay_alu instid0(SALU_CYCLE_1)
	s_or_b32 exec_lo, exec_lo, s18
.LBB232_2625:                           ;   in Loop: Header=BB232_2089 Depth=1
	s_delay_alu instid0(SALU_CYCLE_1) | instskip(NEXT) | instid1(SALU_CYCLE_1)
	s_or_b32 exec_lo, exec_lo, s17
	s_mov_b32 s17, exec_lo
	v_cmpx_lt_u32_e32 0xffffff, v2
	s_cbranch_execz .LBB232_2633
; %bb.2626:                             ;   in Loop: Header=BB232_2089 Depth=1
	v_mov_b64_e32 v[4:5], 0x8000000000000000
	v_lshrrev_b32_e32 v3, 24, v2
	s_mov_b32 s18, exec_lo
	scratch_store_b64 off, v[4:5], s32 offset:532 ; 8-byte Folded Spill
	s_wait_xcnt 0x0
	v_cmpx_ne_u32_e32 0x80, v3
	s_cbranch_execz .LBB232_2632
; %bb.2627:                             ;   in Loop: Header=BB232_2089 Depth=1
	v_mov_b64_e32 v[6:7], 0x7f80000100000000
	v_bfe_u32 v4, v2, 24, 7
	s_mov_b32 s19, exec_lo
	scratch_store_b64 off, v[6:7], s32 offset:532 ; 8-byte Folded Spill
	s_wait_xcnt 0x0
	v_cmpx_ne_u32_e32 0x7f, v4
	s_cbranch_execz .LBB232_2631
; %bb.2628:                             ;   in Loop: Header=BB232_2089 Depth=1
	scratch_load_b64 v[6:7], off, s32 offset:192 th:TH_LOAD_LU ; 8-byte Folded Reload
	s_wait_loadcnt 0x0
	v_dual_lshrrev_b32 v2, 3, v4 :: v_dual_bitop2_b32 v6, 7, v3 bitop3:0x40
	s_mov_b32 s20, exec_lo
	s_wait_xcnt 0x0
	v_cmpx_gt_u32_e32 8, v4
; %bb.2629:                             ;   in Loop: Header=BB232_2089 Depth=1
	s_delay_alu instid0(VALU_DEP_2) | instskip(NEXT) | instid1(VALU_DEP_1)
	v_clz_i32_u32_e32 v2, v6
	v_min_u32_e32 v2, 32, v2
	s_delay_alu instid0(VALU_DEP_1) | instskip(NEXT) | instid1(VALU_DEP_1)
	v_subrev_nc_u32_e32 v4, 28, v2
	v_lshlrev_b64_e32 v[4:5], v4, v[6:7]
	s_delay_alu instid0(VALU_DEP_1)
	v_dual_sub_nc_u32 v2, 29, v2 :: v_dual_bitop2_b32 v6, 7, v4 bitop3:0x40
; %bb.2630:                             ;   in Loop: Header=BB232_2089 Depth=1
	s_or_b32 exec_lo, exec_lo, s20
	s_delay_alu instid0(VALU_DEP_1) | instskip(NEXT) | instid1(VALU_DEP_2)
	v_dual_lshlrev_b32 v3, 24, v3 :: v_dual_lshlrev_b32 v4, 20, v6
	v_lshl_add_u32 v2, v2, 23, 0x3c000000
	s_delay_alu instid0(VALU_DEP_2) | instskip(NEXT) | instid1(VALU_DEP_1)
	v_and_b32_e32 v3, 0x80000000, v3
	v_or3_b32 v5, v4, v3, v2
	v_dual_mov_b32 v3, v7 :: v_dual_mov_b32 v4, v7
	s_clause 0x1
	scratch_store_b64 off, v[2:3], s32 offset:192
	scratch_store_b64 off, v[4:5], s32 offset:532
.LBB232_2631:                           ;   in Loop: Header=BB232_2089 Depth=1
	s_wait_xcnt 0x0
	s_or_b32 exec_lo, exec_lo, s19
.LBB232_2632:                           ;   in Loop: Header=BB232_2089 Depth=1
	s_delay_alu instid0(SALU_CYCLE_1)
	s_or_b32 exec_lo, exec_lo, s18
.LBB232_2633:                           ;   in Loop: Header=BB232_2089 Depth=1
	s_delay_alu instid0(SALU_CYCLE_1)
	s_or_b32 exec_lo, exec_lo, s17
	flat_load_b32 v2, v[0:1] offset:2176
	v_mov_b64_e32 v[4:5], 0
	s_mov_b32 s17, exec_lo
	scratch_store_b64 off, v[4:5], s32 offset:548 ; 8-byte Folded Spill
	s_wait_xcnt 0x0
	v_mov_b64_e32 v[4:5], 0
	scratch_store_b64 off, v[4:5], s32 offset:556 ; 8-byte Folded Spill
	s_wait_loadcnt_dscnt 0x0
	v_and_b32_e32 v3, 0xff, v2
	s_wait_xcnt 0x0
	s_delay_alu instid0(VALU_DEP_1)
	v_cmpx_ne_u16_e32 0, v3
	s_cbranch_execz .LBB232_2641
; %bb.2634:                             ;   in Loop: Header=BB232_2089 Depth=1
	v_mov_b64_e32 v[4:5], 0x80000000
	s_mov_b32 s18, exec_lo
	scratch_store_b64 off, v[4:5], s32 offset:556 ; 8-byte Folded Spill
	s_wait_xcnt 0x0
	v_cmpx_ne_u16_e32 0x80, v3
	s_cbranch_execz .LBB232_2640
; %bb.2635:                             ;   in Loop: Header=BB232_2089 Depth=1
	v_mov_b64_e32 v[6:7], 0x7f800001
	v_and_b32_e32 v4, 0x7f, v2
	s_mov_b32 s19, exec_lo
	scratch_store_b64 off, v[6:7], s32 offset:556 ; 8-byte Folded Spill
	s_wait_xcnt 0x0
	v_cmpx_ne_u32_e32 0x7f, v4
	s_cbranch_execz .LBB232_2639
; %bb.2636:                             ;   in Loop: Header=BB232_2089 Depth=1
	scratch_load_b64 v[6:7], off, s32 offset:192 th:TH_LOAD_LU ; 8-byte Folded Reload
	s_wait_loadcnt 0x0
	v_dual_lshrrev_b32 v3, 3, v4 :: v_dual_bitop2_b32 v6, 7, v2 bitop3:0x40
	s_mov_b32 s20, exec_lo
	s_wait_xcnt 0x0
	v_cmpx_gt_u32_e32 8, v4
; %bb.2637:                             ;   in Loop: Header=BB232_2089 Depth=1
	s_delay_alu instid0(VALU_DEP_2) | instskip(NEXT) | instid1(VALU_DEP_1)
	v_clz_i32_u32_e32 v3, v6
	v_min_u32_e32 v3, 32, v3
	s_delay_alu instid0(VALU_DEP_1) | instskip(NEXT) | instid1(VALU_DEP_1)
	v_subrev_nc_u32_e32 v4, 28, v3
	v_lshlrev_b64_e32 v[4:5], v4, v[6:7]
	s_delay_alu instid0(VALU_DEP_1)
	v_dual_sub_nc_u32 v3, 29, v3 :: v_dual_bitop2_b32 v6, 7, v4 bitop3:0x40
; %bb.2638:                             ;   in Loop: Header=BB232_2089 Depth=1
	s_or_b32 exec_lo, exec_lo, s20
	v_lshlrev_b32_e32 v4, 24, v2
	s_delay_alu instid0(VALU_DEP_2) | instskip(NEXT) | instid1(VALU_DEP_3)
	v_lshlrev_b32_e32 v5, 20, v6
	v_lshl_add_u32 v3, v3, 23, 0x3c000000
	s_delay_alu instid0(VALU_DEP_3) | instskip(NEXT) | instid1(VALU_DEP_1)
	v_and_b32_e32 v4, 0x80000000, v4
	v_or3_b32 v6, v5, v4, v3
	v_mov_b32_e32 v3, v7
	s_clause 0x1
	scratch_store_b64 off, v[2:3], s32 offset:192
	scratch_store_b64 off, v[6:7], s32 offset:556
.LBB232_2639:                           ;   in Loop: Header=BB232_2089 Depth=1
	s_wait_xcnt 0x0
	s_or_b32 exec_lo, exec_lo, s19
.LBB232_2640:                           ;   in Loop: Header=BB232_2089 Depth=1
	s_delay_alu instid0(SALU_CYCLE_1)
	s_or_b32 exec_lo, exec_lo, s18
.LBB232_2641:                           ;   in Loop: Header=BB232_2089 Depth=1
	s_delay_alu instid0(SALU_CYCLE_1) | instskip(SKIP_2) | instid1(VALU_DEP_1)
	s_or_b32 exec_lo, exec_lo, s17
	v_lshrrev_b16 v3, 8, v2
	s_mov_b32 s17, exec_lo
	v_cmpx_ne_u16_e32 0, v3
	s_cbranch_execz .LBB232_2649
; %bb.2642:                             ;   in Loop: Header=BB232_2089 Depth=1
	v_mov_b64_e32 v[4:5], 0x8000000000000000
	s_mov_b32 s18, exec_lo
	scratch_store_b64 off, v[4:5], s32 offset:548 ; 8-byte Folded Spill
	s_wait_xcnt 0x0
	v_cmpx_ne_u16_e32 0x80, v3
	s_cbranch_execz .LBB232_2648
; %bb.2643:                             ;   in Loop: Header=BB232_2089 Depth=1
	v_and_b32_e32 v3, 0xffff, v3
	v_mov_b64_e32 v[6:7], 0x7f80000100000000
	s_mov_b32 s19, exec_lo
	s_delay_alu instid0(VALU_DEP_2)
	v_and_b32_e32 v4, 0x7f, v3
	scratch_store_b64 off, v[6:7], s32 offset:548 ; 8-byte Folded Spill
	s_wait_xcnt 0x0
	v_cmpx_ne_u32_e32 0x7f, v4
	s_cbranch_execz .LBB232_2647
; %bb.2644:                             ;   in Loop: Header=BB232_2089 Depth=1
	scratch_load_b64 v[6:7], off, s32 offset:192 th:TH_LOAD_LU ; 8-byte Folded Reload
	s_wait_loadcnt 0x0
	v_dual_lshrrev_b32 v3, 3, v4 :: v_dual_bitop2_b32 v6, 7, v3 bitop3:0x40
	s_mov_b32 s20, exec_lo
	s_wait_xcnt 0x0
	v_cmpx_gt_u32_e32 8, v4
; %bb.2645:                             ;   in Loop: Header=BB232_2089 Depth=1
	s_delay_alu instid0(VALU_DEP_2) | instskip(NEXT) | instid1(VALU_DEP_1)
	v_clz_i32_u32_e32 v3, v6
	v_min_u32_e32 v3, 32, v3
	s_delay_alu instid0(VALU_DEP_1) | instskip(NEXT) | instid1(VALU_DEP_1)
	v_subrev_nc_u32_e32 v4, 28, v3
	v_lshlrev_b64_e32 v[4:5], v4, v[6:7]
	s_delay_alu instid0(VALU_DEP_1)
	v_dual_sub_nc_u32 v3, 29, v3 :: v_dual_bitop2_b32 v6, 7, v4 bitop3:0x40
; %bb.2646:                             ;   in Loop: Header=BB232_2089 Depth=1
	s_or_b32 exec_lo, exec_lo, s20
	v_lshlrev_b32_e32 v4, 16, v2
	s_delay_alu instid0(VALU_DEP_2) | instskip(NEXT) | instid1(VALU_DEP_3)
	v_lshlrev_b32_e32 v5, 20, v6
	v_lshl_add_u32 v3, v3, 23, 0x3c000000
	s_delay_alu instid0(VALU_DEP_3) | instskip(NEXT) | instid1(VALU_DEP_1)
	v_and_b32_e32 v4, 0x80000000, v4
	v_or3_b32 v5, v5, v4, v3
	v_dual_mov_b32 v3, v7 :: v_dual_mov_b32 v4, v7
	s_clause 0x1
	scratch_store_b64 off, v[2:3], s32 offset:192
	scratch_store_b64 off, v[4:5], s32 offset:548
.LBB232_2647:                           ;   in Loop: Header=BB232_2089 Depth=1
	s_wait_xcnt 0x0
	s_or_b32 exec_lo, exec_lo, s19
.LBB232_2648:                           ;   in Loop: Header=BB232_2089 Depth=1
	s_delay_alu instid0(SALU_CYCLE_1)
	s_or_b32 exec_lo, exec_lo, s18
.LBB232_2649:                           ;   in Loop: Header=BB232_2089 Depth=1
	s_delay_alu instid0(SALU_CYCLE_1) | instskip(SKIP_3) | instid1(VALU_DEP_1)
	s_or_b32 exec_lo, exec_lo, s17
	v_mov_b64_e32 v[6:7], 0
	v_lshrrev_b32_e32 v3, 16, v2
	s_mov_b32 s17, exec_lo
	v_and_b32_e32 v4, 0xff, v3
	scratch_store_b64 off, v[6:7], s32 offset:564 ; 8-byte Folded Spill
	s_wait_xcnt 0x0
	v_mov_b64_e32 v[6:7], 0
	scratch_store_b64 off, v[6:7], s32 offset:572 ; 8-byte Folded Spill
	s_wait_xcnt 0x0
	v_cmpx_ne_u16_e32 0, v4
	s_cbranch_execz .LBB232_2657
; %bb.2650:                             ;   in Loop: Header=BB232_2089 Depth=1
	v_cmp_ne_u16_e64 s4, 0x80, v4
	v_mov_b64_e32 v[4:5], 0x80000000
	scratch_store_b64 off, v[4:5], s32 offset:572 ; 8-byte Folded Spill
	s_wait_xcnt 0x0
	s_and_saveexec_b32 s18, s4
	s_cbranch_execz .LBB232_2656
; %bb.2651:                             ;   in Loop: Header=BB232_2089 Depth=1
	v_mov_b64_e32 v[6:7], 0x7f800001
	v_bfe_u32 v5, v2, 16, 7
	s_mov_b32 s19, exec_lo
	scratch_store_b64 off, v[6:7], s32 offset:572 ; 8-byte Folded Spill
	s_wait_xcnt 0x0
	v_cmpx_ne_u32_e32 0x7f, v5
	s_cbranch_execz .LBB232_2655
; %bb.2652:                             ;   in Loop: Header=BB232_2089 Depth=1
	scratch_load_b64 v[8:9], off, s32 offset:192 th:TH_LOAD_LU ; 8-byte Folded Reload
	s_wait_loadcnt 0x0
	v_dual_lshrrev_b32 v4, 3, v5 :: v_dual_bitop2_b32 v8, 7, v3 bitop3:0x40
	s_mov_b32 s20, exec_lo
	s_wait_xcnt 0x0
	v_cmpx_gt_u32_e32 8, v5
; %bb.2653:                             ;   in Loop: Header=BB232_2089 Depth=1
	s_delay_alu instid0(VALU_DEP_2) | instskip(NEXT) | instid1(VALU_DEP_1)
	v_clz_i32_u32_e32 v4, v8
	v_min_u32_e32 v4, 32, v4
	s_delay_alu instid0(VALU_DEP_1) | instskip(NEXT) | instid1(VALU_DEP_1)
	v_subrev_nc_u32_e32 v5, 28, v4
	v_lshlrev_b64_e32 v[6:7], v5, v[8:9]
	s_delay_alu instid0(VALU_DEP_1)
	v_dual_sub_nc_u32 v4, 29, v4 :: v_dual_bitop2_b32 v8, 7, v6 bitop3:0x40
; %bb.2654:                             ;   in Loop: Header=BB232_2089 Depth=1
	s_or_b32 exec_lo, exec_lo, s20
	s_delay_alu instid0(VALU_DEP_1) | instskip(NEXT) | instid1(VALU_DEP_2)
	v_dual_lshlrev_b32 v3, 24, v3 :: v_dual_lshlrev_b32 v5, 20, v8
	v_lshl_add_u32 v4, v4, 23, 0x3c000000
	s_delay_alu instid0(VALU_DEP_2) | instskip(NEXT) | instid1(VALU_DEP_1)
	v_and_b32_e32 v3, 0x80000000, v3
	v_or3_b32 v8, v5, v3, v4
	v_mov_b32_e32 v3, v9
	s_clause 0x1
	scratch_store_b64 off, v[2:3], s32 offset:192
	scratch_store_b64 off, v[8:9], s32 offset:572
.LBB232_2655:                           ;   in Loop: Header=BB232_2089 Depth=1
	s_wait_xcnt 0x0
	s_or_b32 exec_lo, exec_lo, s19
.LBB232_2656:                           ;   in Loop: Header=BB232_2089 Depth=1
	s_delay_alu instid0(SALU_CYCLE_1)
	s_or_b32 exec_lo, exec_lo, s18
.LBB232_2657:                           ;   in Loop: Header=BB232_2089 Depth=1
	s_delay_alu instid0(SALU_CYCLE_1) | instskip(NEXT) | instid1(SALU_CYCLE_1)
	s_or_b32 exec_lo, exec_lo, s17
	s_mov_b32 s17, exec_lo
	v_cmpx_lt_u32_e32 0xffffff, v2
	s_cbranch_execz .LBB232_2665
; %bb.2658:                             ;   in Loop: Header=BB232_2089 Depth=1
	v_mov_b64_e32 v[4:5], 0x8000000000000000
	v_lshrrev_b32_e32 v3, 24, v2
	s_mov_b32 s18, exec_lo
	scratch_store_b64 off, v[4:5], s32 offset:564 ; 8-byte Folded Spill
	s_wait_xcnt 0x0
	v_cmpx_ne_u32_e32 0x80, v3
	s_cbranch_execz .LBB232_2664
; %bb.2659:                             ;   in Loop: Header=BB232_2089 Depth=1
	v_mov_b64_e32 v[6:7], 0x7f80000100000000
	v_bfe_u32 v4, v2, 24, 7
	s_mov_b32 s19, exec_lo
	scratch_store_b64 off, v[6:7], s32 offset:564 ; 8-byte Folded Spill
	s_wait_xcnt 0x0
	v_cmpx_ne_u32_e32 0x7f, v4
	s_cbranch_execz .LBB232_2663
; %bb.2660:                             ;   in Loop: Header=BB232_2089 Depth=1
	scratch_load_b64 v[6:7], off, s32 offset:192 th:TH_LOAD_LU ; 8-byte Folded Reload
	s_wait_loadcnt 0x0
	v_dual_lshrrev_b32 v2, 3, v4 :: v_dual_bitop2_b32 v6, 7, v3 bitop3:0x40
	s_mov_b32 s20, exec_lo
	s_wait_xcnt 0x0
	v_cmpx_gt_u32_e32 8, v4
; %bb.2661:                             ;   in Loop: Header=BB232_2089 Depth=1
	s_delay_alu instid0(VALU_DEP_2) | instskip(NEXT) | instid1(VALU_DEP_1)
	v_clz_i32_u32_e32 v2, v6
	v_min_u32_e32 v2, 32, v2
	s_delay_alu instid0(VALU_DEP_1) | instskip(NEXT) | instid1(VALU_DEP_1)
	v_subrev_nc_u32_e32 v4, 28, v2
	v_lshlrev_b64_e32 v[4:5], v4, v[6:7]
	s_delay_alu instid0(VALU_DEP_1)
	v_dual_sub_nc_u32 v2, 29, v2 :: v_dual_bitop2_b32 v6, 7, v4 bitop3:0x40
; %bb.2662:                             ;   in Loop: Header=BB232_2089 Depth=1
	s_or_b32 exec_lo, exec_lo, s20
	s_delay_alu instid0(VALU_DEP_1) | instskip(NEXT) | instid1(VALU_DEP_2)
	v_dual_lshlrev_b32 v3, 24, v3 :: v_dual_lshlrev_b32 v4, 20, v6
	v_lshl_add_u32 v2, v2, 23, 0x3c000000
	s_delay_alu instid0(VALU_DEP_2) | instskip(NEXT) | instid1(VALU_DEP_1)
	v_and_b32_e32 v3, 0x80000000, v3
	v_or3_b32 v5, v4, v3, v2
	v_dual_mov_b32 v3, v7 :: v_dual_mov_b32 v4, v7
	s_clause 0x1
	scratch_store_b64 off, v[2:3], s32 offset:192
	scratch_store_b64 off, v[4:5], s32 offset:564
.LBB232_2663:                           ;   in Loop: Header=BB232_2089 Depth=1
	s_wait_xcnt 0x0
	s_or_b32 exec_lo, exec_lo, s19
.LBB232_2664:                           ;   in Loop: Header=BB232_2089 Depth=1
	s_delay_alu instid0(SALU_CYCLE_1)
	s_or_b32 exec_lo, exec_lo, s18
.LBB232_2665:                           ;   in Loop: Header=BB232_2089 Depth=1
	s_delay_alu instid0(SALU_CYCLE_1)
	s_or_b32 exec_lo, exec_lo, s17
	flat_load_b32 v2, v[0:1] offset:2304
	v_mov_b64_e32 v[16:17], 0
	v_mov_b64_e32 v[4:5], 0
	s_mov_b32 s17, exec_lo
	scratch_store_b64 off, v[4:5], s32 offset:588 ; 8-byte Folded Spill
	s_wait_loadcnt_dscnt 0x0
	v_and_b32_e32 v3, 0xff, v2
	s_wait_xcnt 0x0
	s_delay_alu instid0(VALU_DEP_1)
	v_cmpx_ne_u16_e32 0, v3
	s_cbranch_execz .LBB232_2673
; %bb.2666:                             ;   in Loop: Header=BB232_2089 Depth=1
	v_mov_b64_e32 v[4:5], 0x80000000
	s_mov_b32 s18, exec_lo
	scratch_store_b64 off, v[4:5], s32 offset:588 ; 8-byte Folded Spill
	s_wait_xcnt 0x0
	v_cmpx_ne_u16_e32 0x80, v3
	s_cbranch_execz .LBB232_2672
; %bb.2667:                             ;   in Loop: Header=BB232_2089 Depth=1
	v_mov_b64_e32 v[6:7], 0x7f800001
	v_and_b32_e32 v4, 0x7f, v2
	s_mov_b32 s19, exec_lo
	scratch_store_b64 off, v[6:7], s32 offset:588 ; 8-byte Folded Spill
	s_wait_xcnt 0x0
	v_cmpx_ne_u32_e32 0x7f, v4
	s_cbranch_execz .LBB232_2671
; %bb.2668:                             ;   in Loop: Header=BB232_2089 Depth=1
	scratch_load_b64 v[6:7], off, s32 offset:192 th:TH_LOAD_LU ; 8-byte Folded Reload
	s_wait_loadcnt 0x0
	v_dual_lshrrev_b32 v3, 3, v4 :: v_dual_bitop2_b32 v6, 7, v2 bitop3:0x40
	s_mov_b32 s20, exec_lo
	s_wait_xcnt 0x0
	v_cmpx_gt_u32_e32 8, v4
; %bb.2669:                             ;   in Loop: Header=BB232_2089 Depth=1
	s_delay_alu instid0(VALU_DEP_2) | instskip(NEXT) | instid1(VALU_DEP_1)
	v_clz_i32_u32_e32 v3, v6
	v_min_u32_e32 v3, 32, v3
	s_delay_alu instid0(VALU_DEP_1) | instskip(NEXT) | instid1(VALU_DEP_1)
	v_subrev_nc_u32_e32 v4, 28, v3
	v_lshlrev_b64_e32 v[4:5], v4, v[6:7]
	s_delay_alu instid0(VALU_DEP_1)
	v_dual_sub_nc_u32 v3, 29, v3 :: v_dual_bitop2_b32 v6, 7, v4 bitop3:0x40
; %bb.2670:                             ;   in Loop: Header=BB232_2089 Depth=1
	s_or_b32 exec_lo, exec_lo, s20
	v_lshlrev_b32_e32 v4, 24, v2
	s_delay_alu instid0(VALU_DEP_2) | instskip(NEXT) | instid1(VALU_DEP_3)
	v_lshlrev_b32_e32 v5, 20, v6
	v_lshl_add_u32 v3, v3, 23, 0x3c000000
	s_delay_alu instid0(VALU_DEP_3) | instskip(NEXT) | instid1(VALU_DEP_1)
	v_and_b32_e32 v4, 0x80000000, v4
	v_or3_b32 v6, v5, v4, v3
	v_mov_b32_e32 v3, v7
	s_clause 0x1
	scratch_store_b64 off, v[2:3], s32 offset:192
	scratch_store_b64 off, v[6:7], s32 offset:588
.LBB232_2671:                           ;   in Loop: Header=BB232_2089 Depth=1
	s_wait_xcnt 0x0
	s_or_b32 exec_lo, exec_lo, s19
.LBB232_2672:                           ;   in Loop: Header=BB232_2089 Depth=1
	s_delay_alu instid0(SALU_CYCLE_1)
	s_or_b32 exec_lo, exec_lo, s18
.LBB232_2673:                           ;   in Loop: Header=BB232_2089 Depth=1
	s_delay_alu instid0(SALU_CYCLE_1) | instskip(SKIP_2) | instid1(VALU_DEP_1)
	s_or_b32 exec_lo, exec_lo, s17
	v_lshrrev_b16 v3, 8, v2
	s_mov_b32 s17, exec_lo
	v_cmpx_ne_u16_e32 0, v3
	s_cbranch_execz .LBB232_2681
; %bb.2674:                             ;   in Loop: Header=BB232_2089 Depth=1
	v_mov_b64_e32 v[16:17], 0x8000000000000000
	s_mov_b32 s18, exec_lo
	v_cmpx_ne_u16_e32 0x80, v3
	s_cbranch_execz .LBB232_2680
; %bb.2675:                             ;   in Loop: Header=BB232_2089 Depth=1
	v_and_b32_e32 v3, 0xffff, v3
	v_mov_b64_e32 v[16:17], 0x7f80000100000000
	s_mov_b32 s19, exec_lo
	s_delay_alu instid0(VALU_DEP_2) | instskip(NEXT) | instid1(VALU_DEP_1)
	v_and_b32_e32 v4, 0x7f, v3
	v_cmpx_ne_u32_e32 0x7f, v4
	s_cbranch_execz .LBB232_2679
; %bb.2676:                             ;   in Loop: Header=BB232_2089 Depth=1
	scratch_load_b64 v[6:7], off, s32 offset:192 th:TH_LOAD_LU ; 8-byte Folded Reload
	s_wait_loadcnt 0x0
	v_dual_lshrrev_b32 v3, 3, v4 :: v_dual_bitop2_b32 v6, 7, v3 bitop3:0x40
	s_mov_b32 s20, exec_lo
	s_wait_xcnt 0x0
	v_cmpx_gt_u32_e32 8, v4
; %bb.2677:                             ;   in Loop: Header=BB232_2089 Depth=1
	s_delay_alu instid0(VALU_DEP_2) | instskip(NEXT) | instid1(VALU_DEP_1)
	v_clz_i32_u32_e32 v3, v6
	v_min_u32_e32 v3, 32, v3
	s_delay_alu instid0(VALU_DEP_1) | instskip(NEXT) | instid1(VALU_DEP_1)
	v_subrev_nc_u32_e32 v4, 28, v3
	v_lshlrev_b64_e32 v[4:5], v4, v[6:7]
	s_delay_alu instid0(VALU_DEP_1)
	v_dual_sub_nc_u32 v3, 29, v3 :: v_dual_bitop2_b32 v6, 7, v4 bitop3:0x40
; %bb.2678:                             ;   in Loop: Header=BB232_2089 Depth=1
	s_or_b32 exec_lo, exec_lo, s20
	v_lshlrev_b32_e32 v4, 16, v2
	s_delay_alu instid0(VALU_DEP_2) | instskip(NEXT) | instid1(VALU_DEP_3)
	v_dual_mov_b32 v16, v7 :: v_dual_lshlrev_b32 v5, 20, v6
	v_lshl_add_u32 v3, v3, 23, 0x3c000000
	s_delay_alu instid0(VALU_DEP_3) | instskip(NEXT) | instid1(VALU_DEP_1)
	v_and_b32_e32 v4, 0x80000000, v4
	v_or3_b32 v17, v5, v4, v3
	v_mov_b32_e32 v3, v7
	scratch_store_b64 off, v[2:3], s32 offset:192 ; 8-byte Folded Spill
.LBB232_2679:                           ;   in Loop: Header=BB232_2089 Depth=1
	s_wait_xcnt 0x0
	s_or_b32 exec_lo, exec_lo, s19
.LBB232_2680:                           ;   in Loop: Header=BB232_2089 Depth=1
	s_delay_alu instid0(SALU_CYCLE_1)
	s_or_b32 exec_lo, exec_lo, s18
.LBB232_2681:                           ;   in Loop: Header=BB232_2089 Depth=1
	s_delay_alu instid0(SALU_CYCLE_1) | instskip(SKIP_4) | instid1(VALU_DEP_3)
	s_or_b32 exec_lo, exec_lo, s17
	v_lshrrev_b32_e32 v3, 16, v2
	v_mov_b64_e32 v[20:21], 0
	v_mov_b64_e32 v[6:7], 0
	s_mov_b32 s17, exec_lo
	v_and_b32_e32 v4, 0xff, v3
	scratch_store_b64 off, v[6:7], s32 offset:604 ; 8-byte Folded Spill
	s_wait_xcnt 0x0
	v_cmpx_ne_u16_e32 0, v4
	s_cbranch_execz .LBB232_2689
; %bb.2682:                             ;   in Loop: Header=BB232_2089 Depth=1
	v_cmp_ne_u16_e64 s4, 0x80, v4
	v_mov_b64_e32 v[4:5], 0x80000000
	scratch_store_b64 off, v[4:5], s32 offset:604 ; 8-byte Folded Spill
	s_wait_xcnt 0x0
	s_and_saveexec_b32 s18, s4
	s_cbranch_execz .LBB232_2688
; %bb.2683:                             ;   in Loop: Header=BB232_2089 Depth=1
	v_mov_b64_e32 v[6:7], 0x7f800001
	v_bfe_u32 v5, v2, 16, 7
	s_mov_b32 s19, exec_lo
	scratch_store_b64 off, v[6:7], s32 offset:604 ; 8-byte Folded Spill
	s_wait_xcnt 0x0
	v_cmpx_ne_u32_e32 0x7f, v5
	s_cbranch_execz .LBB232_2687
; %bb.2684:                             ;   in Loop: Header=BB232_2089 Depth=1
	scratch_load_b64 v[8:9], off, s32 offset:192 th:TH_LOAD_LU ; 8-byte Folded Reload
	s_wait_loadcnt 0x0
	v_dual_lshrrev_b32 v4, 3, v5 :: v_dual_bitop2_b32 v8, 7, v3 bitop3:0x40
	s_mov_b32 s20, exec_lo
	s_wait_xcnt 0x0
	v_cmpx_gt_u32_e32 8, v5
; %bb.2685:                             ;   in Loop: Header=BB232_2089 Depth=1
	s_delay_alu instid0(VALU_DEP_2) | instskip(NEXT) | instid1(VALU_DEP_1)
	v_clz_i32_u32_e32 v4, v8
	v_min_u32_e32 v4, 32, v4
	s_delay_alu instid0(VALU_DEP_1) | instskip(NEXT) | instid1(VALU_DEP_1)
	v_subrev_nc_u32_e32 v5, 28, v4
	v_lshlrev_b64_e32 v[6:7], v5, v[8:9]
	s_delay_alu instid0(VALU_DEP_1)
	v_dual_sub_nc_u32 v4, 29, v4 :: v_dual_bitop2_b32 v8, 7, v6 bitop3:0x40
; %bb.2686:                             ;   in Loop: Header=BB232_2089 Depth=1
	s_or_b32 exec_lo, exec_lo, s20
	s_delay_alu instid0(VALU_DEP_1) | instskip(NEXT) | instid1(VALU_DEP_2)
	v_dual_lshlrev_b32 v3, 24, v3 :: v_dual_lshlrev_b32 v5, 20, v8
	v_lshl_add_u32 v4, v4, 23, 0x3c000000
	s_delay_alu instid0(VALU_DEP_2) | instskip(NEXT) | instid1(VALU_DEP_1)
	v_and_b32_e32 v3, 0x80000000, v3
	v_or3_b32 v8, v5, v3, v4
	v_mov_b32_e32 v3, v9
	s_clause 0x1
	scratch_store_b64 off, v[2:3], s32 offset:192
	scratch_store_b64 off, v[8:9], s32 offset:604
.LBB232_2687:                           ;   in Loop: Header=BB232_2089 Depth=1
	s_wait_xcnt 0x0
	s_or_b32 exec_lo, exec_lo, s19
.LBB232_2688:                           ;   in Loop: Header=BB232_2089 Depth=1
	s_delay_alu instid0(SALU_CYCLE_1)
	s_or_b32 exec_lo, exec_lo, s18
.LBB232_2689:                           ;   in Loop: Header=BB232_2089 Depth=1
	s_delay_alu instid0(SALU_CYCLE_1) | instskip(NEXT) | instid1(SALU_CYCLE_1)
	s_or_b32 exec_lo, exec_lo, s17
	s_mov_b32 s17, exec_lo
	v_cmpx_lt_u32_e32 0xffffff, v2
	s_cbranch_execz .LBB232_2697
; %bb.2690:                             ;   in Loop: Header=BB232_2089 Depth=1
	v_mov_b64_e32 v[20:21], 0x8000000000000000
	v_lshrrev_b32_e32 v3, 24, v2
	s_mov_b32 s18, exec_lo
	s_delay_alu instid0(VALU_DEP_1)
	v_cmpx_ne_u32_e32 0x80, v3
	s_cbranch_execz .LBB232_2696
; %bb.2691:                             ;   in Loop: Header=BB232_2089 Depth=1
	v_mov_b64_e32 v[20:21], 0x7f80000100000000
	v_bfe_u32 v4, v2, 24, 7
	s_mov_b32 s19, exec_lo
	s_delay_alu instid0(VALU_DEP_1)
	v_cmpx_ne_u32_e32 0x7f, v4
	s_cbranch_execz .LBB232_2695
; %bb.2692:                             ;   in Loop: Header=BB232_2089 Depth=1
	scratch_load_b64 v[6:7], off, s32 offset:192 th:TH_LOAD_LU ; 8-byte Folded Reload
	s_wait_loadcnt 0x0
	v_dual_lshrrev_b32 v2, 3, v4 :: v_dual_bitop2_b32 v6, 7, v3 bitop3:0x40
	s_mov_b32 s20, exec_lo
	s_wait_xcnt 0x0
	v_cmpx_gt_u32_e32 8, v4
; %bb.2693:                             ;   in Loop: Header=BB232_2089 Depth=1
	s_delay_alu instid0(VALU_DEP_2) | instskip(NEXT) | instid1(VALU_DEP_1)
	v_clz_i32_u32_e32 v2, v6
	v_min_u32_e32 v2, 32, v2
	s_delay_alu instid0(VALU_DEP_1) | instskip(NEXT) | instid1(VALU_DEP_1)
	v_subrev_nc_u32_e32 v4, 28, v2
	v_lshlrev_b64_e32 v[4:5], v4, v[6:7]
	s_delay_alu instid0(VALU_DEP_1)
	v_dual_sub_nc_u32 v2, 29, v2 :: v_dual_bitop2_b32 v6, 7, v4 bitop3:0x40
; %bb.2694:                             ;   in Loop: Header=BB232_2089 Depth=1
	s_or_b32 exec_lo, exec_lo, s20
	s_delay_alu instid0(VALU_DEP_1) | instskip(NEXT) | instid1(VALU_DEP_2)
	v_dual_lshlrev_b32 v3, 24, v3 :: v_dual_lshlrev_b32 v4, 20, v6
	v_lshl_add_u32 v2, v2, 23, 0x3c000000
	v_mov_b32_e32 v20, v7
	s_delay_alu instid0(VALU_DEP_3) | instskip(NEXT) | instid1(VALU_DEP_1)
	v_and_b32_e32 v3, 0x80000000, v3
	v_or3_b32 v21, v4, v3, v2
	v_mov_b32_e32 v3, v7
	scratch_store_b64 off, v[2:3], s32 offset:192 ; 8-byte Folded Spill
.LBB232_2695:                           ;   in Loop: Header=BB232_2089 Depth=1
	s_wait_xcnt 0x0
	s_or_b32 exec_lo, exec_lo, s19
.LBB232_2696:                           ;   in Loop: Header=BB232_2089 Depth=1
	s_delay_alu instid0(SALU_CYCLE_1)
	s_or_b32 exec_lo, exec_lo, s18
.LBB232_2697:                           ;   in Loop: Header=BB232_2089 Depth=1
	s_delay_alu instid0(SALU_CYCLE_1)
	s_or_b32 exec_lo, exec_lo, s17
	flat_load_b32 v2, v[0:1] offset:2432
	v_mov_b64_e32 v[28:29], 0
	v_mov_b64_e32 v[4:5], 0
	s_mov_b32 s17, exec_lo
	scratch_store_b64 off, v[4:5], s32 offset:620 ; 8-byte Folded Spill
	s_wait_loadcnt_dscnt 0x0
	v_and_b32_e32 v3, 0xff, v2
	s_wait_xcnt 0x0
	s_delay_alu instid0(VALU_DEP_1)
	v_cmpx_ne_u16_e32 0, v3
	s_cbranch_execz .LBB232_2705
; %bb.2698:                             ;   in Loop: Header=BB232_2089 Depth=1
	v_mov_b64_e32 v[4:5], 0x80000000
	s_mov_b32 s18, exec_lo
	scratch_store_b64 off, v[4:5], s32 offset:620 ; 8-byte Folded Spill
	s_wait_xcnt 0x0
	v_cmpx_ne_u16_e32 0x80, v3
	s_cbranch_execz .LBB232_2704
; %bb.2699:                             ;   in Loop: Header=BB232_2089 Depth=1
	v_mov_b64_e32 v[6:7], 0x7f800001
	v_and_b32_e32 v4, 0x7f, v2
	s_mov_b32 s19, exec_lo
	scratch_store_b64 off, v[6:7], s32 offset:620 ; 8-byte Folded Spill
	s_wait_xcnt 0x0
	v_cmpx_ne_u32_e32 0x7f, v4
	s_cbranch_execz .LBB232_2703
; %bb.2700:                             ;   in Loop: Header=BB232_2089 Depth=1
	scratch_load_b64 v[6:7], off, s32 offset:192 th:TH_LOAD_LU ; 8-byte Folded Reload
	s_wait_loadcnt 0x0
	v_dual_lshrrev_b32 v3, 3, v4 :: v_dual_bitop2_b32 v6, 7, v2 bitop3:0x40
	s_mov_b32 s20, exec_lo
	s_wait_xcnt 0x0
	v_cmpx_gt_u32_e32 8, v4
; %bb.2701:                             ;   in Loop: Header=BB232_2089 Depth=1
	s_delay_alu instid0(VALU_DEP_2) | instskip(NEXT) | instid1(VALU_DEP_1)
	v_clz_i32_u32_e32 v3, v6
	v_min_u32_e32 v3, 32, v3
	s_delay_alu instid0(VALU_DEP_1) | instskip(NEXT) | instid1(VALU_DEP_1)
	v_subrev_nc_u32_e32 v4, 28, v3
	v_lshlrev_b64_e32 v[4:5], v4, v[6:7]
	s_delay_alu instid0(VALU_DEP_1)
	v_dual_sub_nc_u32 v3, 29, v3 :: v_dual_bitop2_b32 v6, 7, v4 bitop3:0x40
; %bb.2702:                             ;   in Loop: Header=BB232_2089 Depth=1
	s_or_b32 exec_lo, exec_lo, s20
	v_lshlrev_b32_e32 v4, 24, v2
	s_delay_alu instid0(VALU_DEP_2) | instskip(NEXT) | instid1(VALU_DEP_3)
	v_lshlrev_b32_e32 v5, 20, v6
	v_lshl_add_u32 v3, v3, 23, 0x3c000000
	s_delay_alu instid0(VALU_DEP_3) | instskip(NEXT) | instid1(VALU_DEP_1)
	v_and_b32_e32 v4, 0x80000000, v4
	v_or3_b32 v6, v5, v4, v3
	v_mov_b32_e32 v3, v7
	s_clause 0x1
	scratch_store_b64 off, v[2:3], s32 offset:192
	scratch_store_b64 off, v[6:7], s32 offset:620
.LBB232_2703:                           ;   in Loop: Header=BB232_2089 Depth=1
	s_wait_xcnt 0x0
	s_or_b32 exec_lo, exec_lo, s19
.LBB232_2704:                           ;   in Loop: Header=BB232_2089 Depth=1
	s_delay_alu instid0(SALU_CYCLE_1)
	s_or_b32 exec_lo, exec_lo, s18
.LBB232_2705:                           ;   in Loop: Header=BB232_2089 Depth=1
	s_delay_alu instid0(SALU_CYCLE_1) | instskip(SKIP_2) | instid1(VALU_DEP_1)
	s_or_b32 exec_lo, exec_lo, s17
	v_lshrrev_b16 v3, 8, v2
	s_mov_b32 s17, exec_lo
	v_cmpx_ne_u16_e32 0, v3
	s_cbranch_execz .LBB232_2713
; %bb.2706:                             ;   in Loop: Header=BB232_2089 Depth=1
	v_mov_b64_e32 v[28:29], 0x8000000000000000
	s_mov_b32 s18, exec_lo
	v_cmpx_ne_u16_e32 0x80, v3
	s_cbranch_execz .LBB232_2712
; %bb.2707:                             ;   in Loop: Header=BB232_2089 Depth=1
	v_and_b32_e32 v3, 0xffff, v3
	v_mov_b64_e32 v[28:29], 0x7f80000100000000
	s_mov_b32 s19, exec_lo
	s_delay_alu instid0(VALU_DEP_2) | instskip(NEXT) | instid1(VALU_DEP_1)
	v_and_b32_e32 v4, 0x7f, v3
	v_cmpx_ne_u32_e32 0x7f, v4
	s_cbranch_execz .LBB232_2711
; %bb.2708:                             ;   in Loop: Header=BB232_2089 Depth=1
	scratch_load_b64 v[6:7], off, s32 offset:192 th:TH_LOAD_LU ; 8-byte Folded Reload
	s_wait_loadcnt 0x0
	v_dual_lshrrev_b32 v3, 3, v4 :: v_dual_bitop2_b32 v6, 7, v3 bitop3:0x40
	s_mov_b32 s20, exec_lo
	s_wait_xcnt 0x0
	v_cmpx_gt_u32_e32 8, v4
; %bb.2709:                             ;   in Loop: Header=BB232_2089 Depth=1
	s_delay_alu instid0(VALU_DEP_2) | instskip(NEXT) | instid1(VALU_DEP_1)
	v_clz_i32_u32_e32 v3, v6
	v_min_u32_e32 v3, 32, v3
	s_delay_alu instid0(VALU_DEP_1) | instskip(NEXT) | instid1(VALU_DEP_1)
	v_subrev_nc_u32_e32 v4, 28, v3
	v_lshlrev_b64_e32 v[4:5], v4, v[6:7]
	s_delay_alu instid0(VALU_DEP_1)
	v_dual_sub_nc_u32 v3, 29, v3 :: v_dual_bitop2_b32 v6, 7, v4 bitop3:0x40
; %bb.2710:                             ;   in Loop: Header=BB232_2089 Depth=1
	s_or_b32 exec_lo, exec_lo, s20
	v_lshlrev_b32_e32 v4, 16, v2
	s_delay_alu instid0(VALU_DEP_2) | instskip(NEXT) | instid1(VALU_DEP_3)
	v_dual_mov_b32 v28, v7 :: v_dual_lshlrev_b32 v5, 20, v6
	v_lshl_add_u32 v3, v3, 23, 0x3c000000
	s_delay_alu instid0(VALU_DEP_3) | instskip(NEXT) | instid1(VALU_DEP_1)
	v_and_b32_e32 v4, 0x80000000, v4
	v_or3_b32 v29, v5, v4, v3
	v_mov_b32_e32 v3, v7
	scratch_store_b64 off, v[2:3], s32 offset:192 ; 8-byte Folded Spill
.LBB232_2711:                           ;   in Loop: Header=BB232_2089 Depth=1
	s_wait_xcnt 0x0
	s_or_b32 exec_lo, exec_lo, s19
.LBB232_2712:                           ;   in Loop: Header=BB232_2089 Depth=1
	s_delay_alu instid0(SALU_CYCLE_1)
	s_or_b32 exec_lo, exec_lo, s18
.LBB232_2713:                           ;   in Loop: Header=BB232_2089 Depth=1
	s_delay_alu instid0(SALU_CYCLE_1) | instskip(SKIP_4) | instid1(VALU_DEP_3)
	s_or_b32 exec_lo, exec_lo, s17
	v_lshrrev_b32_e32 v3, 16, v2
	v_mov_b64_e32 v[32:33], 0
	v_mov_b64_e32 v[6:7], 0
	s_mov_b32 s17, exec_lo
	v_and_b32_e32 v4, 0xff, v3
	scratch_store_b64 off, v[6:7], s32 offset:1748 ; 8-byte Folded Spill
	s_wait_xcnt 0x0
	v_cmpx_ne_u16_e32 0, v4
	s_cbranch_execz .LBB232_2721
; %bb.2714:                             ;   in Loop: Header=BB232_2089 Depth=1
	v_cmp_ne_u16_e64 s4, 0x80, v4
	v_mov_b64_e32 v[4:5], 0x80000000
	scratch_store_b64 off, v[4:5], s32 offset:1748 ; 8-byte Folded Spill
	s_wait_xcnt 0x0
	s_and_saveexec_b32 s18, s4
	s_cbranch_execz .LBB232_2720
; %bb.2715:                             ;   in Loop: Header=BB232_2089 Depth=1
	v_mov_b64_e32 v[6:7], 0x7f800001
	v_bfe_u32 v5, v2, 16, 7
	s_mov_b32 s19, exec_lo
	scratch_store_b64 off, v[6:7], s32 offset:1748 ; 8-byte Folded Spill
	s_wait_xcnt 0x0
	v_cmpx_ne_u32_e32 0x7f, v5
	s_cbranch_execz .LBB232_2719
; %bb.2716:                             ;   in Loop: Header=BB232_2089 Depth=1
	scratch_load_b64 v[8:9], off, s32 offset:192 th:TH_LOAD_LU ; 8-byte Folded Reload
	s_wait_loadcnt 0x0
	v_dual_lshrrev_b32 v4, 3, v5 :: v_dual_bitop2_b32 v8, 7, v3 bitop3:0x40
	s_mov_b32 s20, exec_lo
	s_wait_xcnt 0x0
	v_cmpx_gt_u32_e32 8, v5
; %bb.2717:                             ;   in Loop: Header=BB232_2089 Depth=1
	s_delay_alu instid0(VALU_DEP_2) | instskip(NEXT) | instid1(VALU_DEP_1)
	v_clz_i32_u32_e32 v4, v8
	v_min_u32_e32 v4, 32, v4
	s_delay_alu instid0(VALU_DEP_1) | instskip(NEXT) | instid1(VALU_DEP_1)
	v_subrev_nc_u32_e32 v5, 28, v4
	v_lshlrev_b64_e32 v[6:7], v5, v[8:9]
	s_delay_alu instid0(VALU_DEP_1)
	v_dual_sub_nc_u32 v4, 29, v4 :: v_dual_bitop2_b32 v8, 7, v6 bitop3:0x40
; %bb.2718:                             ;   in Loop: Header=BB232_2089 Depth=1
	s_or_b32 exec_lo, exec_lo, s20
	s_delay_alu instid0(VALU_DEP_1) | instskip(NEXT) | instid1(VALU_DEP_2)
	v_dual_lshlrev_b32 v3, 24, v3 :: v_dual_lshlrev_b32 v5, 20, v8
	v_lshl_add_u32 v4, v4, 23, 0x3c000000
	s_delay_alu instid0(VALU_DEP_2) | instskip(NEXT) | instid1(VALU_DEP_1)
	v_and_b32_e32 v3, 0x80000000, v3
	v_or3_b32 v8, v5, v3, v4
	v_mov_b32_e32 v3, v9
	s_clause 0x1
	scratch_store_b64 off, v[2:3], s32 offset:192
	scratch_store_b64 off, v[8:9], s32 offset:1748
.LBB232_2719:                           ;   in Loop: Header=BB232_2089 Depth=1
	s_wait_xcnt 0x0
	s_or_b32 exec_lo, exec_lo, s19
.LBB232_2720:                           ;   in Loop: Header=BB232_2089 Depth=1
	s_delay_alu instid0(SALU_CYCLE_1)
	s_or_b32 exec_lo, exec_lo, s18
.LBB232_2721:                           ;   in Loop: Header=BB232_2089 Depth=1
	s_delay_alu instid0(SALU_CYCLE_1) | instskip(NEXT) | instid1(SALU_CYCLE_1)
	s_or_b32 exec_lo, exec_lo, s17
	s_mov_b32 s17, exec_lo
	v_cmpx_lt_u32_e32 0xffffff, v2
	s_cbranch_execz .LBB232_2729
; %bb.2722:                             ;   in Loop: Header=BB232_2089 Depth=1
	v_mov_b64_e32 v[32:33], 0x8000000000000000
	v_lshrrev_b32_e32 v3, 24, v2
	s_mov_b32 s18, exec_lo
	s_delay_alu instid0(VALU_DEP_1)
	v_cmpx_ne_u32_e32 0x80, v3
	s_cbranch_execz .LBB232_2728
; %bb.2723:                             ;   in Loop: Header=BB232_2089 Depth=1
	v_mov_b64_e32 v[32:33], 0x7f80000100000000
	v_bfe_u32 v4, v2, 24, 7
	s_mov_b32 s19, exec_lo
	s_delay_alu instid0(VALU_DEP_1)
	v_cmpx_ne_u32_e32 0x7f, v4
	s_cbranch_execz .LBB232_2727
; %bb.2724:                             ;   in Loop: Header=BB232_2089 Depth=1
	scratch_load_b64 v[6:7], off, s32 offset:192 th:TH_LOAD_LU ; 8-byte Folded Reload
	s_wait_loadcnt 0x0
	v_dual_lshrrev_b32 v2, 3, v4 :: v_dual_bitop2_b32 v6, 7, v3 bitop3:0x40
	s_mov_b32 s20, exec_lo
	s_wait_xcnt 0x0
	v_cmpx_gt_u32_e32 8, v4
; %bb.2725:                             ;   in Loop: Header=BB232_2089 Depth=1
	s_delay_alu instid0(VALU_DEP_2) | instskip(NEXT) | instid1(VALU_DEP_1)
	v_clz_i32_u32_e32 v2, v6
	v_min_u32_e32 v2, 32, v2
	s_delay_alu instid0(VALU_DEP_1) | instskip(NEXT) | instid1(VALU_DEP_1)
	v_subrev_nc_u32_e32 v4, 28, v2
	v_lshlrev_b64_e32 v[4:5], v4, v[6:7]
	s_delay_alu instid0(VALU_DEP_1)
	v_dual_sub_nc_u32 v2, 29, v2 :: v_dual_bitop2_b32 v6, 7, v4 bitop3:0x40
; %bb.2726:                             ;   in Loop: Header=BB232_2089 Depth=1
	s_or_b32 exec_lo, exec_lo, s20
	s_delay_alu instid0(VALU_DEP_1) | instskip(NEXT) | instid1(VALU_DEP_2)
	v_dual_lshlrev_b32 v3, 24, v3 :: v_dual_lshlrev_b32 v4, 20, v6
	v_lshl_add_u32 v2, v2, 23, 0x3c000000
	v_mov_b32_e32 v32, v7
	s_delay_alu instid0(VALU_DEP_3) | instskip(NEXT) | instid1(VALU_DEP_1)
	v_and_b32_e32 v3, 0x80000000, v3
	v_or3_b32 v33, v4, v3, v2
	v_mov_b32_e32 v3, v7
	scratch_store_b64 off, v[2:3], s32 offset:192 ; 8-byte Folded Spill
.LBB232_2727:                           ;   in Loop: Header=BB232_2089 Depth=1
	s_wait_xcnt 0x0
	s_or_b32 exec_lo, exec_lo, s19
.LBB232_2728:                           ;   in Loop: Header=BB232_2089 Depth=1
	s_delay_alu instid0(SALU_CYCLE_1)
	s_or_b32 exec_lo, exec_lo, s18
.LBB232_2729:                           ;   in Loop: Header=BB232_2089 Depth=1
	s_delay_alu instid0(SALU_CYCLE_1)
	s_or_b32 exec_lo, exec_lo, s17
	flat_load_b32 v2, v[0:1] offset:2560
	v_mov_b64_e32 v[22:23], 0
	v_mov_b64_e32 v[4:5], 0
	s_mov_b32 s17, exec_lo
	scratch_store_b64 off, v[4:5], s32 offset:1884 ; 8-byte Folded Spill
	s_wait_loadcnt_dscnt 0x0
	v_and_b32_e32 v3, 0xff, v2
	s_wait_xcnt 0x0
	s_delay_alu instid0(VALU_DEP_1)
	v_cmpx_ne_u16_e32 0, v3
	s_cbranch_execz .LBB232_2737
; %bb.2730:                             ;   in Loop: Header=BB232_2089 Depth=1
	v_mov_b64_e32 v[4:5], 0x80000000
	s_mov_b32 s18, exec_lo
	scratch_store_b64 off, v[4:5], s32 offset:1884 ; 8-byte Folded Spill
	s_wait_xcnt 0x0
	v_cmpx_ne_u16_e32 0x80, v3
	s_cbranch_execz .LBB232_2736
; %bb.2731:                             ;   in Loop: Header=BB232_2089 Depth=1
	v_mov_b64_e32 v[6:7], 0x7f800001
	v_and_b32_e32 v4, 0x7f, v2
	s_mov_b32 s19, exec_lo
	scratch_store_b64 off, v[6:7], s32 offset:1884 ; 8-byte Folded Spill
	s_wait_xcnt 0x0
	v_cmpx_ne_u32_e32 0x7f, v4
	s_cbranch_execz .LBB232_2735
; %bb.2732:                             ;   in Loop: Header=BB232_2089 Depth=1
	scratch_load_b64 v[6:7], off, s32 offset:192 th:TH_LOAD_LU ; 8-byte Folded Reload
	s_wait_loadcnt 0x0
	v_dual_lshrrev_b32 v3, 3, v4 :: v_dual_bitop2_b32 v6, 7, v2 bitop3:0x40
	s_mov_b32 s20, exec_lo
	s_wait_xcnt 0x0
	v_cmpx_gt_u32_e32 8, v4
; %bb.2733:                             ;   in Loop: Header=BB232_2089 Depth=1
	s_delay_alu instid0(VALU_DEP_2) | instskip(NEXT) | instid1(VALU_DEP_1)
	v_clz_i32_u32_e32 v3, v6
	v_min_u32_e32 v3, 32, v3
	s_delay_alu instid0(VALU_DEP_1) | instskip(NEXT) | instid1(VALU_DEP_1)
	v_subrev_nc_u32_e32 v4, 28, v3
	v_lshlrev_b64_e32 v[4:5], v4, v[6:7]
	s_delay_alu instid0(VALU_DEP_1)
	v_dual_sub_nc_u32 v3, 29, v3 :: v_dual_bitop2_b32 v6, 7, v4 bitop3:0x40
; %bb.2734:                             ;   in Loop: Header=BB232_2089 Depth=1
	s_or_b32 exec_lo, exec_lo, s20
	v_lshlrev_b32_e32 v4, 24, v2
	s_delay_alu instid0(VALU_DEP_2) | instskip(NEXT) | instid1(VALU_DEP_3)
	v_lshlrev_b32_e32 v5, 20, v6
	v_lshl_add_u32 v3, v3, 23, 0x3c000000
	s_delay_alu instid0(VALU_DEP_3) | instskip(NEXT) | instid1(VALU_DEP_1)
	v_and_b32_e32 v4, 0x80000000, v4
	v_or3_b32 v6, v5, v4, v3
	v_mov_b32_e32 v3, v7
	s_clause 0x1
	scratch_store_b64 off, v[2:3], s32 offset:192
	scratch_store_b64 off, v[6:7], s32 offset:1884
.LBB232_2735:                           ;   in Loop: Header=BB232_2089 Depth=1
	s_wait_xcnt 0x0
	s_or_b32 exec_lo, exec_lo, s19
.LBB232_2736:                           ;   in Loop: Header=BB232_2089 Depth=1
	s_delay_alu instid0(SALU_CYCLE_1)
	s_or_b32 exec_lo, exec_lo, s18
.LBB232_2737:                           ;   in Loop: Header=BB232_2089 Depth=1
	s_delay_alu instid0(SALU_CYCLE_1) | instskip(SKIP_2) | instid1(VALU_DEP_1)
	s_or_b32 exec_lo, exec_lo, s17
	v_lshrrev_b16 v3, 8, v2
	s_mov_b32 s17, exec_lo
	v_cmpx_ne_u16_e32 0, v3
	s_cbranch_execz .LBB232_2745
; %bb.2738:                             ;   in Loop: Header=BB232_2089 Depth=1
	v_mov_b64_e32 v[22:23], 0x8000000000000000
	s_mov_b32 s18, exec_lo
	v_cmpx_ne_u16_e32 0x80, v3
	s_cbranch_execz .LBB232_2744
; %bb.2739:                             ;   in Loop: Header=BB232_2089 Depth=1
	v_and_b32_e32 v3, 0xffff, v3
	v_mov_b64_e32 v[22:23], 0x7f80000100000000
	s_mov_b32 s19, exec_lo
	s_delay_alu instid0(VALU_DEP_2) | instskip(NEXT) | instid1(VALU_DEP_1)
	v_and_b32_e32 v4, 0x7f, v3
	v_cmpx_ne_u32_e32 0x7f, v4
	s_cbranch_execz .LBB232_2743
; %bb.2740:                             ;   in Loop: Header=BB232_2089 Depth=1
	scratch_load_b64 v[6:7], off, s32 offset:192 th:TH_LOAD_LU ; 8-byte Folded Reload
	s_wait_loadcnt 0x0
	v_dual_lshrrev_b32 v3, 3, v4 :: v_dual_bitop2_b32 v6, 7, v3 bitop3:0x40
	s_mov_b32 s20, exec_lo
	s_wait_xcnt 0x0
	v_cmpx_gt_u32_e32 8, v4
; %bb.2741:                             ;   in Loop: Header=BB232_2089 Depth=1
	s_delay_alu instid0(VALU_DEP_2) | instskip(NEXT) | instid1(VALU_DEP_1)
	v_clz_i32_u32_e32 v3, v6
	v_min_u32_e32 v3, 32, v3
	s_delay_alu instid0(VALU_DEP_1) | instskip(NEXT) | instid1(VALU_DEP_1)
	v_subrev_nc_u32_e32 v4, 28, v3
	v_lshlrev_b64_e32 v[4:5], v4, v[6:7]
	s_delay_alu instid0(VALU_DEP_1)
	v_dual_sub_nc_u32 v3, 29, v3 :: v_dual_bitop2_b32 v6, 7, v4 bitop3:0x40
; %bb.2742:                             ;   in Loop: Header=BB232_2089 Depth=1
	s_or_b32 exec_lo, exec_lo, s20
	v_lshlrev_b32_e32 v4, 16, v2
	s_delay_alu instid0(VALU_DEP_2) | instskip(NEXT) | instid1(VALU_DEP_3)
	v_dual_mov_b32 v22, v7 :: v_dual_lshlrev_b32 v5, 20, v6
	v_lshl_add_u32 v3, v3, 23, 0x3c000000
	s_delay_alu instid0(VALU_DEP_3) | instskip(NEXT) | instid1(VALU_DEP_1)
	v_and_b32_e32 v4, 0x80000000, v4
	v_or3_b32 v23, v5, v4, v3
	v_mov_b32_e32 v3, v7
	scratch_store_b64 off, v[2:3], s32 offset:192 ; 8-byte Folded Spill
.LBB232_2743:                           ;   in Loop: Header=BB232_2089 Depth=1
	s_wait_xcnt 0x0
	s_or_b32 exec_lo, exec_lo, s19
.LBB232_2744:                           ;   in Loop: Header=BB232_2089 Depth=1
	s_delay_alu instid0(SALU_CYCLE_1)
	s_or_b32 exec_lo, exec_lo, s18
.LBB232_2745:                           ;   in Loop: Header=BB232_2089 Depth=1
	s_delay_alu instid0(SALU_CYCLE_1) | instskip(SKIP_4) | instid1(VALU_DEP_3)
	s_or_b32 exec_lo, exec_lo, s17
	v_lshrrev_b32_e32 v3, 16, v2
	v_mov_b64_e32 v[68:69], 0
	v_mov_b64_e32 v[6:7], 0
	s_mov_b32 s17, exec_lo
	v_and_b32_e32 v4, 0xff, v3
	scratch_store_b64 off, v[6:7], s32 offset:660 ; 8-byte Folded Spill
	s_wait_xcnt 0x0
	v_cmpx_ne_u16_e32 0, v4
	s_cbranch_execz .LBB232_2753
; %bb.2746:                             ;   in Loop: Header=BB232_2089 Depth=1
	v_cmp_ne_u16_e64 s4, 0x80, v4
	v_mov_b64_e32 v[4:5], 0x80000000
	scratch_store_b64 off, v[4:5], s32 offset:660 ; 8-byte Folded Spill
	s_wait_xcnt 0x0
	s_and_saveexec_b32 s18, s4
	s_cbranch_execz .LBB232_2752
; %bb.2747:                             ;   in Loop: Header=BB232_2089 Depth=1
	v_mov_b64_e32 v[6:7], 0x7f800001
	v_bfe_u32 v5, v2, 16, 7
	s_mov_b32 s19, exec_lo
	scratch_store_b64 off, v[6:7], s32 offset:660 ; 8-byte Folded Spill
	s_wait_xcnt 0x0
	v_cmpx_ne_u32_e32 0x7f, v5
	s_cbranch_execz .LBB232_2751
; %bb.2748:                             ;   in Loop: Header=BB232_2089 Depth=1
	scratch_load_b64 v[8:9], off, s32 offset:192 th:TH_LOAD_LU ; 8-byte Folded Reload
	s_wait_loadcnt 0x0
	v_dual_lshrrev_b32 v4, 3, v5 :: v_dual_bitop2_b32 v8, 7, v3 bitop3:0x40
	s_mov_b32 s20, exec_lo
	s_wait_xcnt 0x0
	v_cmpx_gt_u32_e32 8, v5
; %bb.2749:                             ;   in Loop: Header=BB232_2089 Depth=1
	s_delay_alu instid0(VALU_DEP_2) | instskip(NEXT) | instid1(VALU_DEP_1)
	v_clz_i32_u32_e32 v4, v8
	v_min_u32_e32 v4, 32, v4
	s_delay_alu instid0(VALU_DEP_1) | instskip(NEXT) | instid1(VALU_DEP_1)
	v_subrev_nc_u32_e32 v5, 28, v4
	v_lshlrev_b64_e32 v[6:7], v5, v[8:9]
	s_delay_alu instid0(VALU_DEP_1)
	v_dual_sub_nc_u32 v4, 29, v4 :: v_dual_bitop2_b32 v8, 7, v6 bitop3:0x40
; %bb.2750:                             ;   in Loop: Header=BB232_2089 Depth=1
	s_or_b32 exec_lo, exec_lo, s20
	s_delay_alu instid0(VALU_DEP_1) | instskip(NEXT) | instid1(VALU_DEP_2)
	v_dual_lshlrev_b32 v3, 24, v3 :: v_dual_lshlrev_b32 v5, 20, v8
	v_lshl_add_u32 v4, v4, 23, 0x3c000000
	s_delay_alu instid0(VALU_DEP_2) | instskip(NEXT) | instid1(VALU_DEP_1)
	v_and_b32_e32 v3, 0x80000000, v3
	v_or3_b32 v8, v5, v3, v4
	v_mov_b32_e32 v3, v9
	s_clause 0x1
	scratch_store_b64 off, v[2:3], s32 offset:192
	scratch_store_b64 off, v[8:9], s32 offset:660
.LBB232_2751:                           ;   in Loop: Header=BB232_2089 Depth=1
	s_wait_xcnt 0x0
	s_or_b32 exec_lo, exec_lo, s19
.LBB232_2752:                           ;   in Loop: Header=BB232_2089 Depth=1
	s_delay_alu instid0(SALU_CYCLE_1)
	s_or_b32 exec_lo, exec_lo, s18
.LBB232_2753:                           ;   in Loop: Header=BB232_2089 Depth=1
	s_delay_alu instid0(SALU_CYCLE_1) | instskip(NEXT) | instid1(SALU_CYCLE_1)
	s_or_b32 exec_lo, exec_lo, s17
	s_mov_b32 s17, exec_lo
	v_cmpx_lt_u32_e32 0xffffff, v2
	s_cbranch_execz .LBB232_2761
; %bb.2754:                             ;   in Loop: Header=BB232_2089 Depth=1
	v_mov_b64_e32 v[68:69], 0x8000000000000000
	v_lshrrev_b32_e32 v3, 24, v2
	s_mov_b32 s18, exec_lo
	s_delay_alu instid0(VALU_DEP_1)
	v_cmpx_ne_u32_e32 0x80, v3
	s_cbranch_execz .LBB232_2760
; %bb.2755:                             ;   in Loop: Header=BB232_2089 Depth=1
	v_mov_b64_e32 v[68:69], 0x7f80000100000000
	v_bfe_u32 v4, v2, 24, 7
	s_mov_b32 s19, exec_lo
	s_delay_alu instid0(VALU_DEP_1)
	v_cmpx_ne_u32_e32 0x7f, v4
	s_cbranch_execz .LBB232_2759
; %bb.2756:                             ;   in Loop: Header=BB232_2089 Depth=1
	scratch_load_b64 v[6:7], off, s32 offset:192 th:TH_LOAD_LU ; 8-byte Folded Reload
	s_wait_loadcnt 0x0
	v_dual_lshrrev_b32 v2, 3, v4 :: v_dual_bitop2_b32 v6, 7, v3 bitop3:0x40
	s_mov_b32 s20, exec_lo
	s_wait_xcnt 0x0
	v_cmpx_gt_u32_e32 8, v4
; %bb.2757:                             ;   in Loop: Header=BB232_2089 Depth=1
	s_delay_alu instid0(VALU_DEP_2) | instskip(NEXT) | instid1(VALU_DEP_1)
	v_clz_i32_u32_e32 v2, v6
	v_min_u32_e32 v2, 32, v2
	s_delay_alu instid0(VALU_DEP_1) | instskip(NEXT) | instid1(VALU_DEP_1)
	v_subrev_nc_u32_e32 v4, 28, v2
	v_lshlrev_b64_e32 v[4:5], v4, v[6:7]
	s_delay_alu instid0(VALU_DEP_1)
	v_dual_sub_nc_u32 v2, 29, v2 :: v_dual_bitop2_b32 v6, 7, v4 bitop3:0x40
; %bb.2758:                             ;   in Loop: Header=BB232_2089 Depth=1
	s_or_b32 exec_lo, exec_lo, s20
	s_delay_alu instid0(VALU_DEP_1) | instskip(NEXT) | instid1(VALU_DEP_2)
	v_dual_lshlrev_b32 v3, 24, v3 :: v_dual_lshlrev_b32 v4, 20, v6
	v_lshl_add_u32 v2, v2, 23, 0x3c000000
	v_mov_b32_e32 v68, v7
	s_delay_alu instid0(VALU_DEP_3) | instskip(NEXT) | instid1(VALU_DEP_1)
	v_and_b32_e32 v3, 0x80000000, v3
	v_or3_b32 v69, v4, v3, v2
	v_mov_b32_e32 v3, v7
	scratch_store_b64 off, v[2:3], s32 offset:192 ; 8-byte Folded Spill
.LBB232_2759:                           ;   in Loop: Header=BB232_2089 Depth=1
	s_wait_xcnt 0x0
	s_or_b32 exec_lo, exec_lo, s19
.LBB232_2760:                           ;   in Loop: Header=BB232_2089 Depth=1
	s_delay_alu instid0(SALU_CYCLE_1)
	s_or_b32 exec_lo, exec_lo, s18
.LBB232_2761:                           ;   in Loop: Header=BB232_2089 Depth=1
	s_delay_alu instid0(SALU_CYCLE_1)
	s_or_b32 exec_lo, exec_lo, s17
	flat_load_b32 v2, v[0:1] offset:2688
	v_mov_b64_e32 v[84:85], 0
	v_mov_b64_e32 v[14:15], 0
	s_mov_b32 s17, exec_lo
	s_wait_loadcnt_dscnt 0x0
	v_and_b32_e32 v3, 0xff, v2
	s_wait_xcnt 0x0
	s_delay_alu instid0(VALU_DEP_1)
	v_cmpx_ne_u16_e32 0, v3
	s_cbranch_execz .LBB232_2769
; %bb.2762:                             ;   in Loop: Header=BB232_2089 Depth=1
	v_mov_b64_e32 v[14:15], 0x80000000
	s_mov_b32 s18, exec_lo
	v_cmpx_ne_u16_e32 0x80, v3
	s_cbranch_execz .LBB232_2768
; %bb.2763:                             ;   in Loop: Header=BB232_2089 Depth=1
	v_mov_b64_e32 v[14:15], 0x7f800001
	v_and_b32_e32 v4, 0x7f, v2
	s_mov_b32 s19, exec_lo
	s_delay_alu instid0(VALU_DEP_1)
	v_cmpx_ne_u32_e32 0x7f, v4
	s_cbranch_execz .LBB232_2767
; %bb.2764:                             ;   in Loop: Header=BB232_2089 Depth=1
	scratch_load_b64 v[14:15], off, s32 offset:192 th:TH_LOAD_LU ; 8-byte Folded Reload
	s_wait_loadcnt 0x0
	v_dual_lshrrev_b32 v3, 3, v4 :: v_dual_bitop2_b32 v14, 7, v2 bitop3:0x40
	s_mov_b32 s20, exec_lo
	s_wait_xcnt 0x0
	v_cmpx_gt_u32_e32 8, v4
; %bb.2765:                             ;   in Loop: Header=BB232_2089 Depth=1
	s_delay_alu instid0(VALU_DEP_2) | instskip(NEXT) | instid1(VALU_DEP_1)
	v_clz_i32_u32_e32 v3, v14
	v_min_u32_e32 v3, 32, v3
	s_delay_alu instid0(VALU_DEP_1) | instskip(NEXT) | instid1(VALU_DEP_1)
	v_subrev_nc_u32_e32 v4, 28, v3
	v_lshlrev_b64_e32 v[4:5], v4, v[14:15]
	s_delay_alu instid0(VALU_DEP_1)
	v_dual_sub_nc_u32 v3, 29, v3 :: v_dual_bitop2_b32 v14, 7, v4 bitop3:0x40
; %bb.2766:                             ;   in Loop: Header=BB232_2089 Depth=1
	s_or_b32 exec_lo, exec_lo, s20
	v_lshlrev_b32_e32 v4, 24, v2
	s_delay_alu instid0(VALU_DEP_2) | instskip(NEXT) | instid1(VALU_DEP_3)
	v_lshlrev_b32_e32 v5, 20, v14
	v_lshl_add_u32 v3, v3, 23, 0x3c000000
	s_delay_alu instid0(VALU_DEP_3) | instskip(NEXT) | instid1(VALU_DEP_1)
	v_and_b32_e32 v4, 0x80000000, v4
	v_or3_b32 v14, v5, v4, v3
	v_mov_b32_e32 v3, v15
	scratch_store_b64 off, v[2:3], s32 offset:192 ; 8-byte Folded Spill
.LBB232_2767:                           ;   in Loop: Header=BB232_2089 Depth=1
	s_wait_xcnt 0x0
	s_or_b32 exec_lo, exec_lo, s19
.LBB232_2768:                           ;   in Loop: Header=BB232_2089 Depth=1
	s_delay_alu instid0(SALU_CYCLE_1)
	s_or_b32 exec_lo, exec_lo, s18
.LBB232_2769:                           ;   in Loop: Header=BB232_2089 Depth=1
	s_delay_alu instid0(SALU_CYCLE_1) | instskip(SKIP_2) | instid1(VALU_DEP_1)
	s_or_b32 exec_lo, exec_lo, s17
	v_lshrrev_b16 v3, 8, v2
	s_mov_b32 s17, exec_lo
	v_cmpx_ne_u16_e32 0, v3
	s_cbranch_execz .LBB232_2777
; %bb.2770:                             ;   in Loop: Header=BB232_2089 Depth=1
	v_mov_b64_e32 v[84:85], 0x8000000000000000
	s_mov_b32 s18, exec_lo
	v_cmpx_ne_u16_e32 0x80, v3
	s_cbranch_execz .LBB232_2776
; %bb.2771:                             ;   in Loop: Header=BB232_2089 Depth=1
	v_and_b32_e32 v3, 0xffff, v3
	v_mov_b64_e32 v[84:85], 0x7f80000100000000
	s_mov_b32 s19, exec_lo
	s_delay_alu instid0(VALU_DEP_2) | instskip(NEXT) | instid1(VALU_DEP_1)
	v_and_b32_e32 v4, 0x7f, v3
	v_cmpx_ne_u32_e32 0x7f, v4
	s_cbranch_execz .LBB232_2775
; %bb.2772:                             ;   in Loop: Header=BB232_2089 Depth=1
	scratch_load_b64 v[6:7], off, s32 offset:192 th:TH_LOAD_LU ; 8-byte Folded Reload
	s_wait_loadcnt 0x0
	v_dual_lshrrev_b32 v3, 3, v4 :: v_dual_bitop2_b32 v6, 7, v3 bitop3:0x40
	s_mov_b32 s20, exec_lo
	s_wait_xcnt 0x0
	v_cmpx_gt_u32_e32 8, v4
; %bb.2773:                             ;   in Loop: Header=BB232_2089 Depth=1
	s_delay_alu instid0(VALU_DEP_2) | instskip(NEXT) | instid1(VALU_DEP_1)
	v_clz_i32_u32_e32 v3, v6
	v_min_u32_e32 v3, 32, v3
	s_delay_alu instid0(VALU_DEP_1) | instskip(NEXT) | instid1(VALU_DEP_1)
	v_subrev_nc_u32_e32 v4, 28, v3
	v_lshlrev_b64_e32 v[4:5], v4, v[6:7]
	s_delay_alu instid0(VALU_DEP_1)
	v_dual_sub_nc_u32 v3, 29, v3 :: v_dual_bitop2_b32 v6, 7, v4 bitop3:0x40
; %bb.2774:                             ;   in Loop: Header=BB232_2089 Depth=1
	s_or_b32 exec_lo, exec_lo, s20
	v_lshlrev_b32_e32 v4, 16, v2
	s_delay_alu instid0(VALU_DEP_2) | instskip(NEXT) | instid1(VALU_DEP_3)
	v_dual_mov_b32 v84, v7 :: v_dual_lshlrev_b32 v5, 20, v6
	v_lshl_add_u32 v3, v3, 23, 0x3c000000
	s_delay_alu instid0(VALU_DEP_3) | instskip(NEXT) | instid1(VALU_DEP_1)
	v_and_b32_e32 v4, 0x80000000, v4
	v_or3_b32 v85, v5, v4, v3
	v_mov_b32_e32 v3, v7
	scratch_store_b64 off, v[2:3], s32 offset:192 ; 8-byte Folded Spill
.LBB232_2775:                           ;   in Loop: Header=BB232_2089 Depth=1
	s_wait_xcnt 0x0
	s_or_b32 exec_lo, exec_lo, s19
.LBB232_2776:                           ;   in Loop: Header=BB232_2089 Depth=1
	s_delay_alu instid0(SALU_CYCLE_1)
	s_or_b32 exec_lo, exec_lo, s18
.LBB232_2777:                           ;   in Loop: Header=BB232_2089 Depth=1
	s_delay_alu instid0(SALU_CYCLE_1) | instskip(SKIP_4) | instid1(VALU_DEP_3)
	s_or_b32 exec_lo, exec_lo, s17
	v_lshrrev_b32_e32 v3, 16, v2
	v_mov_b64_e32 v[98:99], 0
	v_mov_b64_e32 v[18:19], 0
	s_mov_b32 s17, exec_lo
	v_and_b32_e32 v4, 0xff, v3
	s_delay_alu instid0(VALU_DEP_1)
	v_cmpx_ne_u16_e32 0, v4
	s_cbranch_execz .LBB232_2785
; %bb.2778:                             ;   in Loop: Header=BB232_2089 Depth=1
	v_mov_b64_e32 v[18:19], 0x80000000
	s_mov_b32 s18, exec_lo
	v_cmpx_ne_u16_e32 0x80, v4
	s_cbranch_execz .LBB232_2784
; %bb.2779:                             ;   in Loop: Header=BB232_2089 Depth=1
	v_mov_b64_e32 v[18:19], 0x7f800001
	v_bfe_u32 v5, v2, 16, 7
	s_mov_b32 s19, exec_lo
	s_delay_alu instid0(VALU_DEP_1)
	v_cmpx_ne_u32_e32 0x7f, v5
	s_cbranch_execz .LBB232_2783
; %bb.2780:                             ;   in Loop: Header=BB232_2089 Depth=1
	scratch_load_b64 v[18:19], off, s32 offset:192 th:TH_LOAD_LU ; 8-byte Folded Reload
	s_wait_loadcnt 0x0
	v_dual_lshrrev_b32 v4, 3, v5 :: v_dual_bitop2_b32 v18, 7, v3 bitop3:0x40
	s_mov_b32 s20, exec_lo
	s_wait_xcnt 0x0
	v_cmpx_gt_u32_e32 8, v5
; %bb.2781:                             ;   in Loop: Header=BB232_2089 Depth=1
	s_delay_alu instid0(VALU_DEP_2) | instskip(NEXT) | instid1(VALU_DEP_1)
	v_clz_i32_u32_e32 v4, v18
	v_min_u32_e32 v4, 32, v4
	s_delay_alu instid0(VALU_DEP_1) | instskip(NEXT) | instid1(VALU_DEP_1)
	v_subrev_nc_u32_e32 v5, 28, v4
	v_lshlrev_b64_e32 v[6:7], v5, v[18:19]
	s_delay_alu instid0(VALU_DEP_1)
	v_dual_sub_nc_u32 v4, 29, v4 :: v_dual_bitop2_b32 v18, 7, v6 bitop3:0x40
; %bb.2782:                             ;   in Loop: Header=BB232_2089 Depth=1
	s_or_b32 exec_lo, exec_lo, s20
	s_delay_alu instid0(VALU_DEP_1) | instskip(NEXT) | instid1(VALU_DEP_2)
	v_dual_lshlrev_b32 v3, 24, v3 :: v_dual_lshlrev_b32 v5, 20, v18
	v_lshl_add_u32 v4, v4, 23, 0x3c000000
	s_delay_alu instid0(VALU_DEP_2) | instskip(NEXT) | instid1(VALU_DEP_1)
	v_and_b32_e32 v3, 0x80000000, v3
	v_or3_b32 v18, v5, v3, v4
	v_mov_b32_e32 v3, v19
	scratch_store_b64 off, v[2:3], s32 offset:192 ; 8-byte Folded Spill
.LBB232_2783:                           ;   in Loop: Header=BB232_2089 Depth=1
	s_wait_xcnt 0x0
	s_or_b32 exec_lo, exec_lo, s19
.LBB232_2784:                           ;   in Loop: Header=BB232_2089 Depth=1
	s_delay_alu instid0(SALU_CYCLE_1)
	s_or_b32 exec_lo, exec_lo, s18
.LBB232_2785:                           ;   in Loop: Header=BB232_2089 Depth=1
	s_delay_alu instid0(SALU_CYCLE_1) | instskip(NEXT) | instid1(SALU_CYCLE_1)
	s_or_b32 exec_lo, exec_lo, s17
	s_mov_b32 s17, exec_lo
	v_cmpx_lt_u32_e32 0xffffff, v2
	s_cbranch_execz .LBB232_2793
; %bb.2786:                             ;   in Loop: Header=BB232_2089 Depth=1
	v_mov_b64_e32 v[98:99], 0x8000000000000000
	v_lshrrev_b32_e32 v3, 24, v2
	s_mov_b32 s18, exec_lo
	s_delay_alu instid0(VALU_DEP_1)
	v_cmpx_ne_u32_e32 0x80, v3
	s_cbranch_execz .LBB232_2792
; %bb.2787:                             ;   in Loop: Header=BB232_2089 Depth=1
	v_mov_b64_e32 v[98:99], 0x7f80000100000000
	v_bfe_u32 v4, v2, 24, 7
	s_mov_b32 s19, exec_lo
	s_delay_alu instid0(VALU_DEP_1)
	v_cmpx_ne_u32_e32 0x7f, v4
	s_cbranch_execz .LBB232_2791
; %bb.2788:                             ;   in Loop: Header=BB232_2089 Depth=1
	scratch_load_b64 v[6:7], off, s32 offset:192 th:TH_LOAD_LU ; 8-byte Folded Reload
	s_wait_loadcnt 0x0
	v_dual_lshrrev_b32 v2, 3, v4 :: v_dual_bitop2_b32 v6, 7, v3 bitop3:0x40
	s_mov_b32 s20, exec_lo
	s_wait_xcnt 0x0
	v_cmpx_gt_u32_e32 8, v4
; %bb.2789:                             ;   in Loop: Header=BB232_2089 Depth=1
	s_delay_alu instid0(VALU_DEP_2) | instskip(NEXT) | instid1(VALU_DEP_1)
	v_clz_i32_u32_e32 v2, v6
	v_min_u32_e32 v2, 32, v2
	s_delay_alu instid0(VALU_DEP_1) | instskip(NEXT) | instid1(VALU_DEP_1)
	v_subrev_nc_u32_e32 v4, 28, v2
	v_lshlrev_b64_e32 v[4:5], v4, v[6:7]
	s_delay_alu instid0(VALU_DEP_1)
	v_dual_sub_nc_u32 v2, 29, v2 :: v_dual_bitop2_b32 v6, 7, v4 bitop3:0x40
; %bb.2790:                             ;   in Loop: Header=BB232_2089 Depth=1
	s_or_b32 exec_lo, exec_lo, s20
	s_delay_alu instid0(VALU_DEP_1) | instskip(NEXT) | instid1(VALU_DEP_2)
	v_dual_lshlrev_b32 v3, 24, v3 :: v_dual_lshlrev_b32 v4, 20, v6
	v_lshl_add_u32 v2, v2, 23, 0x3c000000
	v_mov_b32_e32 v98, v7
	s_delay_alu instid0(VALU_DEP_3) | instskip(NEXT) | instid1(VALU_DEP_1)
	v_and_b32_e32 v3, 0x80000000, v3
	v_or3_b32 v99, v4, v3, v2
	v_mov_b32_e32 v3, v7
	scratch_store_b64 off, v[2:3], s32 offset:192 ; 8-byte Folded Spill
.LBB232_2791:                           ;   in Loop: Header=BB232_2089 Depth=1
	s_wait_xcnt 0x0
	s_or_b32 exec_lo, exec_lo, s19
.LBB232_2792:                           ;   in Loop: Header=BB232_2089 Depth=1
	s_delay_alu instid0(SALU_CYCLE_1)
	s_or_b32 exec_lo, exec_lo, s18
.LBB232_2793:                           ;   in Loop: Header=BB232_2089 Depth=1
	s_delay_alu instid0(SALU_CYCLE_1)
	s_or_b32 exec_lo, exec_lo, s17
	flat_load_b32 v2, v[0:1] offset:2816
	v_mov_b64_e32 v[26:27], 0
	v_mov_b64_e32 v[76:77], 0
	s_mov_b32 s17, exec_lo
	s_wait_loadcnt_dscnt 0x0
	v_and_b32_e32 v3, 0xff, v2
	s_wait_xcnt 0x0
	s_delay_alu instid0(VALU_DEP_1)
	v_cmpx_ne_u16_e32 0, v3
	s_cbranch_execz .LBB232_2801
; %bb.2794:                             ;   in Loop: Header=BB232_2089 Depth=1
	v_mov_b64_e32 v[76:77], 0x80000000
	s_mov_b32 s18, exec_lo
	v_cmpx_ne_u16_e32 0x80, v3
	s_cbranch_execz .LBB232_2800
; %bb.2795:                             ;   in Loop: Header=BB232_2089 Depth=1
	v_mov_b64_e32 v[76:77], 0x7f800001
	v_and_b32_e32 v4, 0x7f, v2
	s_mov_b32 s19, exec_lo
	s_delay_alu instid0(VALU_DEP_1)
	v_cmpx_ne_u32_e32 0x7f, v4
	s_cbranch_execz .LBB232_2799
; %bb.2796:                             ;   in Loop: Header=BB232_2089 Depth=1
	scratch_load_b64 v[76:77], off, s32 offset:192 th:TH_LOAD_LU ; 8-byte Folded Reload
	s_wait_loadcnt 0x0
	v_dual_lshrrev_b32 v3, 3, v4 :: v_dual_bitop2_b32 v76, 7, v2 bitop3:0x40
	s_mov_b32 s20, exec_lo
	s_wait_xcnt 0x0
	v_cmpx_gt_u32_e32 8, v4
; %bb.2797:                             ;   in Loop: Header=BB232_2089 Depth=1
	s_delay_alu instid0(VALU_DEP_2) | instskip(NEXT) | instid1(VALU_DEP_1)
	v_clz_i32_u32_e32 v3, v76
	v_min_u32_e32 v3, 32, v3
	s_delay_alu instid0(VALU_DEP_1) | instskip(NEXT) | instid1(VALU_DEP_1)
	v_subrev_nc_u32_e32 v4, 28, v3
	v_lshlrev_b64_e32 v[4:5], v4, v[76:77]
	s_delay_alu instid0(VALU_DEP_1)
	v_dual_sub_nc_u32 v3, 29, v3 :: v_dual_bitop2_b32 v76, 7, v4 bitop3:0x40
; %bb.2798:                             ;   in Loop: Header=BB232_2089 Depth=1
	s_or_b32 exec_lo, exec_lo, s20
	s_delay_alu instid0(VALU_DEP_1) | instskip(NEXT) | instid1(VALU_DEP_2)
	v_dual_lshlrev_b32 v4, 24, v2 :: v_dual_lshlrev_b32 v5, 20, v76
	v_lshl_add_u32 v3, v3, 23, 0x3c000000
	s_delay_alu instid0(VALU_DEP_2) | instskip(NEXT) | instid1(VALU_DEP_1)
	v_and_b32_e32 v4, 0x80000000, v4
	v_or3_b32 v76, v5, v4, v3
	v_mov_b32_e32 v3, v77
	scratch_store_b64 off, v[2:3], s32 offset:192 ; 8-byte Folded Spill
.LBB232_2799:                           ;   in Loop: Header=BB232_2089 Depth=1
	s_wait_xcnt 0x0
	s_or_b32 exec_lo, exec_lo, s19
.LBB232_2800:                           ;   in Loop: Header=BB232_2089 Depth=1
	s_delay_alu instid0(SALU_CYCLE_1)
	s_or_b32 exec_lo, exec_lo, s18
.LBB232_2801:                           ;   in Loop: Header=BB232_2089 Depth=1
	s_delay_alu instid0(SALU_CYCLE_1) | instskip(SKIP_2) | instid1(VALU_DEP_1)
	s_or_b32 exec_lo, exec_lo, s17
	v_lshrrev_b16 v3, 8, v2
	s_mov_b32 s17, exec_lo
	v_cmpx_ne_u16_e32 0, v3
	s_cbranch_execz .LBB232_2809
; %bb.2802:                             ;   in Loop: Header=BB232_2089 Depth=1
	v_mov_b64_e32 v[26:27], 0x8000000000000000
	s_mov_b32 s18, exec_lo
	v_cmpx_ne_u16_e32 0x80, v3
	s_cbranch_execz .LBB232_2808
; %bb.2803:                             ;   in Loop: Header=BB232_2089 Depth=1
	v_and_b32_e32 v3, 0xffff, v3
	v_mov_b64_e32 v[26:27], 0x7f80000100000000
	s_mov_b32 s19, exec_lo
	s_delay_alu instid0(VALU_DEP_2) | instskip(NEXT) | instid1(VALU_DEP_1)
	v_and_b32_e32 v4, 0x7f, v3
	v_cmpx_ne_u32_e32 0x7f, v4
	s_cbranch_execz .LBB232_2807
; %bb.2804:                             ;   in Loop: Header=BB232_2089 Depth=1
	scratch_load_b64 v[6:7], off, s32 offset:192 th:TH_LOAD_LU ; 8-byte Folded Reload
	s_wait_loadcnt 0x0
	v_dual_lshrrev_b32 v3, 3, v4 :: v_dual_bitop2_b32 v6, 7, v3 bitop3:0x40
	s_mov_b32 s20, exec_lo
	s_wait_xcnt 0x0
	v_cmpx_gt_u32_e32 8, v4
; %bb.2805:                             ;   in Loop: Header=BB232_2089 Depth=1
	s_delay_alu instid0(VALU_DEP_2) | instskip(NEXT) | instid1(VALU_DEP_1)
	v_clz_i32_u32_e32 v3, v6
	v_min_u32_e32 v3, 32, v3
	s_delay_alu instid0(VALU_DEP_1) | instskip(NEXT) | instid1(VALU_DEP_1)
	v_subrev_nc_u32_e32 v4, 28, v3
	v_lshlrev_b64_e32 v[4:5], v4, v[6:7]
	s_delay_alu instid0(VALU_DEP_1)
	v_dual_sub_nc_u32 v3, 29, v3 :: v_dual_bitop2_b32 v6, 7, v4 bitop3:0x40
; %bb.2806:                             ;   in Loop: Header=BB232_2089 Depth=1
	s_or_b32 exec_lo, exec_lo, s20
	v_lshlrev_b32_e32 v4, 16, v2
	s_delay_alu instid0(VALU_DEP_2) | instskip(NEXT) | instid1(VALU_DEP_3)
	v_dual_mov_b32 v26, v7 :: v_dual_lshlrev_b32 v5, 20, v6
	v_lshl_add_u32 v3, v3, 23, 0x3c000000
	s_delay_alu instid0(VALU_DEP_3) | instskip(NEXT) | instid1(VALU_DEP_1)
	v_and_b32_e32 v4, 0x80000000, v4
	v_or3_b32 v27, v5, v4, v3
	v_mov_b32_e32 v3, v7
	scratch_store_b64 off, v[2:3], s32 offset:192 ; 8-byte Folded Spill
.LBB232_2807:                           ;   in Loop: Header=BB232_2089 Depth=1
	s_wait_xcnt 0x0
	s_or_b32 exec_lo, exec_lo, s19
.LBB232_2808:                           ;   in Loop: Header=BB232_2089 Depth=1
	s_delay_alu instid0(SALU_CYCLE_1)
	s_or_b32 exec_lo, exec_lo, s18
.LBB232_2809:                           ;   in Loop: Header=BB232_2089 Depth=1
	s_delay_alu instid0(SALU_CYCLE_1) | instskip(SKIP_4) | instid1(VALU_DEP_3)
	s_or_b32 exec_lo, exec_lo, s17
	v_lshrrev_b32_e32 v3, 16, v2
	v_mov_b64_e32 v[30:31], 0
	v_mov_b64_e32 v[92:93], 0
	s_mov_b32 s17, exec_lo
	v_and_b32_e32 v4, 0xff, v3
	s_delay_alu instid0(VALU_DEP_1)
	v_cmpx_ne_u16_e32 0, v4
	s_cbranch_execz .LBB232_2817
; %bb.2810:                             ;   in Loop: Header=BB232_2089 Depth=1
	v_mov_b64_e32 v[92:93], 0x80000000
	s_mov_b32 s18, exec_lo
	v_cmpx_ne_u16_e32 0x80, v4
	s_cbranch_execz .LBB232_2816
; %bb.2811:                             ;   in Loop: Header=BB232_2089 Depth=1
	v_mov_b64_e32 v[92:93], 0x7f800001
	v_bfe_u32 v5, v2, 16, 7
	s_mov_b32 s19, exec_lo
	s_delay_alu instid0(VALU_DEP_1)
	v_cmpx_ne_u32_e32 0x7f, v5
	s_cbranch_execz .LBB232_2815
; %bb.2812:                             ;   in Loop: Header=BB232_2089 Depth=1
	scratch_load_b64 v[92:93], off, s32 offset:192 th:TH_LOAD_LU ; 8-byte Folded Reload
	s_wait_loadcnt 0x0
	v_dual_lshrrev_b32 v4, 3, v5 :: v_dual_bitop2_b32 v92, 7, v3 bitop3:0x40
	s_mov_b32 s20, exec_lo
	s_wait_xcnt 0x0
	v_cmpx_gt_u32_e32 8, v5
; %bb.2813:                             ;   in Loop: Header=BB232_2089 Depth=1
	s_delay_alu instid0(VALU_DEP_2) | instskip(NEXT) | instid1(VALU_DEP_1)
	v_clz_i32_u32_e32 v4, v92
	v_min_u32_e32 v4, 32, v4
	s_delay_alu instid0(VALU_DEP_1) | instskip(NEXT) | instid1(VALU_DEP_1)
	v_subrev_nc_u32_e32 v5, 28, v4
	v_lshlrev_b64_e32 v[6:7], v5, v[92:93]
	s_delay_alu instid0(VALU_DEP_1)
	v_dual_sub_nc_u32 v4, 29, v4 :: v_dual_bitop2_b32 v92, 7, v6 bitop3:0x40
; %bb.2814:                             ;   in Loop: Header=BB232_2089 Depth=1
	s_or_b32 exec_lo, exec_lo, s20
	s_delay_alu instid0(VALU_DEP_1) | instskip(NEXT) | instid1(VALU_DEP_2)
	v_dual_lshlrev_b32 v3, 24, v3 :: v_dual_lshlrev_b32 v5, 20, v92
	v_lshl_add_u32 v4, v4, 23, 0x3c000000
	s_delay_alu instid0(VALU_DEP_2) | instskip(NEXT) | instid1(VALU_DEP_1)
	v_and_b32_e32 v3, 0x80000000, v3
	v_or3_b32 v92, v5, v3, v4
	v_mov_b32_e32 v3, v93
	scratch_store_b64 off, v[2:3], s32 offset:192 ; 8-byte Folded Spill
.LBB232_2815:                           ;   in Loop: Header=BB232_2089 Depth=1
	s_wait_xcnt 0x0
	s_or_b32 exec_lo, exec_lo, s19
.LBB232_2816:                           ;   in Loop: Header=BB232_2089 Depth=1
	s_delay_alu instid0(SALU_CYCLE_1)
	s_or_b32 exec_lo, exec_lo, s18
.LBB232_2817:                           ;   in Loop: Header=BB232_2089 Depth=1
	s_delay_alu instid0(SALU_CYCLE_1) | instskip(NEXT) | instid1(SALU_CYCLE_1)
	s_or_b32 exec_lo, exec_lo, s17
	s_mov_b32 s17, exec_lo
	v_cmpx_lt_u32_e32 0xffffff, v2
	s_cbranch_execz .LBB232_2825
; %bb.2818:                             ;   in Loop: Header=BB232_2089 Depth=1
	v_mov_b64_e32 v[30:31], 0x8000000000000000
	v_lshrrev_b32_e32 v3, 24, v2
	s_mov_b32 s18, exec_lo
	s_delay_alu instid0(VALU_DEP_1)
	v_cmpx_ne_u32_e32 0x80, v3
	s_cbranch_execz .LBB232_2824
; %bb.2819:                             ;   in Loop: Header=BB232_2089 Depth=1
	v_mov_b64_e32 v[30:31], 0x7f80000100000000
	v_bfe_u32 v4, v2, 24, 7
	s_mov_b32 s19, exec_lo
	s_delay_alu instid0(VALU_DEP_1)
	v_cmpx_ne_u32_e32 0x7f, v4
	s_cbranch_execz .LBB232_2823
; %bb.2820:                             ;   in Loop: Header=BB232_2089 Depth=1
	scratch_load_b64 v[6:7], off, s32 offset:192 th:TH_LOAD_LU ; 8-byte Folded Reload
	s_wait_loadcnt 0x0
	v_dual_lshrrev_b32 v2, 3, v4 :: v_dual_bitop2_b32 v6, 7, v3 bitop3:0x40
	s_mov_b32 s20, exec_lo
	s_wait_xcnt 0x0
	v_cmpx_gt_u32_e32 8, v4
; %bb.2821:                             ;   in Loop: Header=BB232_2089 Depth=1
	s_delay_alu instid0(VALU_DEP_2) | instskip(NEXT) | instid1(VALU_DEP_1)
	v_clz_i32_u32_e32 v2, v6
	v_min_u32_e32 v2, 32, v2
	s_delay_alu instid0(VALU_DEP_1) | instskip(NEXT) | instid1(VALU_DEP_1)
	v_subrev_nc_u32_e32 v4, 28, v2
	v_lshlrev_b64_e32 v[4:5], v4, v[6:7]
	s_delay_alu instid0(VALU_DEP_1)
	v_dual_sub_nc_u32 v2, 29, v2 :: v_dual_bitop2_b32 v6, 7, v4 bitop3:0x40
; %bb.2822:                             ;   in Loop: Header=BB232_2089 Depth=1
	s_or_b32 exec_lo, exec_lo, s20
	s_delay_alu instid0(VALU_DEP_1) | instskip(NEXT) | instid1(VALU_DEP_2)
	v_dual_lshlrev_b32 v3, 24, v3 :: v_dual_lshlrev_b32 v4, 20, v6
	v_lshl_add_u32 v2, v2, 23, 0x3c000000
	v_mov_b32_e32 v30, v7
	s_delay_alu instid0(VALU_DEP_3) | instskip(NEXT) | instid1(VALU_DEP_1)
	v_and_b32_e32 v3, 0x80000000, v3
	v_or3_b32 v31, v4, v3, v2
	v_mov_b32_e32 v3, v7
	scratch_store_b64 off, v[2:3], s32 offset:192 ; 8-byte Folded Spill
.LBB232_2823:                           ;   in Loop: Header=BB232_2089 Depth=1
	s_wait_xcnt 0x0
	s_or_b32 exec_lo, exec_lo, s19
.LBB232_2824:                           ;   in Loop: Header=BB232_2089 Depth=1
	s_delay_alu instid0(SALU_CYCLE_1)
	s_or_b32 exec_lo, exec_lo, s18
.LBB232_2825:                           ;   in Loop: Header=BB232_2089 Depth=1
	s_delay_alu instid0(SALU_CYCLE_1)
	s_or_b32 exec_lo, exec_lo, s17
	flat_load_b32 v2, v[0:1] offset:2944
	v_mov_b64_e32 v[36:37], 0
	v_mov_b64_e32 v[106:107], 0
	s_mov_b32 s17, exec_lo
	s_wait_loadcnt_dscnt 0x0
	v_and_b32_e32 v3, 0xff, v2
	s_wait_xcnt 0x0
	s_delay_alu instid0(VALU_DEP_1)
	v_cmpx_ne_u16_e32 0, v3
	s_cbranch_execz .LBB232_2833
; %bb.2826:                             ;   in Loop: Header=BB232_2089 Depth=1
	v_mov_b64_e32 v[106:107], 0x80000000
	s_mov_b32 s18, exec_lo
	v_cmpx_ne_u16_e32 0x80, v3
	s_cbranch_execz .LBB232_2832
; %bb.2827:                             ;   in Loop: Header=BB232_2089 Depth=1
	v_mov_b64_e32 v[106:107], 0x7f800001
	v_and_b32_e32 v4, 0x7f, v2
	s_mov_b32 s19, exec_lo
	s_delay_alu instid0(VALU_DEP_1)
	v_cmpx_ne_u32_e32 0x7f, v4
	s_cbranch_execz .LBB232_2831
; %bb.2828:                             ;   in Loop: Header=BB232_2089 Depth=1
	scratch_load_b64 v[106:107], off, s32 offset:192 th:TH_LOAD_LU ; 8-byte Folded Reload
	s_wait_loadcnt 0x0
	v_dual_lshrrev_b32 v3, 3, v4 :: v_dual_bitop2_b32 v106, 7, v2 bitop3:0x40
	s_mov_b32 s20, exec_lo
	s_wait_xcnt 0x0
	v_cmpx_gt_u32_e32 8, v4
; %bb.2829:                             ;   in Loop: Header=BB232_2089 Depth=1
	s_delay_alu instid0(VALU_DEP_2) | instskip(NEXT) | instid1(VALU_DEP_1)
	v_clz_i32_u32_e32 v3, v106
	v_min_u32_e32 v3, 32, v3
	s_delay_alu instid0(VALU_DEP_1) | instskip(NEXT) | instid1(VALU_DEP_1)
	v_subrev_nc_u32_e32 v4, 28, v3
	v_lshlrev_b64_e32 v[4:5], v4, v[106:107]
	s_delay_alu instid0(VALU_DEP_1)
	v_dual_sub_nc_u32 v3, 29, v3 :: v_dual_bitop2_b32 v106, 7, v4 bitop3:0x40
; %bb.2830:                             ;   in Loop: Header=BB232_2089 Depth=1
	s_or_b32 exec_lo, exec_lo, s20
	v_lshlrev_b32_e32 v4, 24, v2
	s_delay_alu instid0(VALU_DEP_2) | instskip(NEXT) | instid1(VALU_DEP_3)
	v_lshlrev_b32_e32 v5, 20, v106
	v_lshl_add_u32 v3, v3, 23, 0x3c000000
	s_delay_alu instid0(VALU_DEP_3) | instskip(NEXT) | instid1(VALU_DEP_1)
	v_and_b32_e32 v4, 0x80000000, v4
	v_or3_b32 v106, v5, v4, v3
	v_mov_b32_e32 v3, v107
	scratch_store_b64 off, v[2:3], s32 offset:192 ; 8-byte Folded Spill
.LBB232_2831:                           ;   in Loop: Header=BB232_2089 Depth=1
	s_wait_xcnt 0x0
	s_or_b32 exec_lo, exec_lo, s19
.LBB232_2832:                           ;   in Loop: Header=BB232_2089 Depth=1
	s_delay_alu instid0(SALU_CYCLE_1)
	s_or_b32 exec_lo, exec_lo, s18
.LBB232_2833:                           ;   in Loop: Header=BB232_2089 Depth=1
	s_delay_alu instid0(SALU_CYCLE_1) | instskip(SKIP_2) | instid1(VALU_DEP_1)
	s_or_b32 exec_lo, exec_lo, s17
	v_lshrrev_b16 v3, 8, v2
	s_mov_b32 s17, exec_lo
	v_cmpx_ne_u16_e32 0, v3
	s_cbranch_execz .LBB232_2841
; %bb.2834:                             ;   in Loop: Header=BB232_2089 Depth=1
	v_mov_b64_e32 v[36:37], 0x8000000000000000
	s_mov_b32 s18, exec_lo
	v_cmpx_ne_u16_e32 0x80, v3
	s_cbranch_execz .LBB232_2840
; %bb.2835:                             ;   in Loop: Header=BB232_2089 Depth=1
	v_and_b32_e32 v3, 0xffff, v3
	v_mov_b64_e32 v[36:37], 0x7f80000100000000
	s_mov_b32 s19, exec_lo
	s_delay_alu instid0(VALU_DEP_2) | instskip(NEXT) | instid1(VALU_DEP_1)
	v_and_b32_e32 v4, 0x7f, v3
	v_cmpx_ne_u32_e32 0x7f, v4
	s_cbranch_execz .LBB232_2839
; %bb.2836:                             ;   in Loop: Header=BB232_2089 Depth=1
	scratch_load_b64 v[6:7], off, s32 offset:192 th:TH_LOAD_LU ; 8-byte Folded Reload
	s_wait_loadcnt 0x0
	v_dual_lshrrev_b32 v3, 3, v4 :: v_dual_bitop2_b32 v6, 7, v3 bitop3:0x40
	s_mov_b32 s20, exec_lo
	s_wait_xcnt 0x0
	v_cmpx_gt_u32_e32 8, v4
; %bb.2837:                             ;   in Loop: Header=BB232_2089 Depth=1
	s_delay_alu instid0(VALU_DEP_2) | instskip(NEXT) | instid1(VALU_DEP_1)
	v_clz_i32_u32_e32 v3, v6
	v_min_u32_e32 v3, 32, v3
	s_delay_alu instid0(VALU_DEP_1) | instskip(NEXT) | instid1(VALU_DEP_1)
	v_subrev_nc_u32_e32 v4, 28, v3
	v_lshlrev_b64_e32 v[4:5], v4, v[6:7]
	s_delay_alu instid0(VALU_DEP_1)
	v_dual_sub_nc_u32 v3, 29, v3 :: v_dual_bitop2_b32 v6, 7, v4 bitop3:0x40
; %bb.2838:                             ;   in Loop: Header=BB232_2089 Depth=1
	s_or_b32 exec_lo, exec_lo, s20
	v_lshlrev_b32_e32 v4, 16, v2
	s_delay_alu instid0(VALU_DEP_2) | instskip(NEXT) | instid1(VALU_DEP_3)
	v_dual_mov_b32 v36, v7 :: v_dual_lshlrev_b32 v5, 20, v6
	v_lshl_add_u32 v3, v3, 23, 0x3c000000
	s_delay_alu instid0(VALU_DEP_3) | instskip(NEXT) | instid1(VALU_DEP_1)
	v_and_b32_e32 v4, 0x80000000, v4
	v_or3_b32 v37, v5, v4, v3
	v_mov_b32_e32 v3, v7
	scratch_store_b64 off, v[2:3], s32 offset:192 ; 8-byte Folded Spill
.LBB232_2839:                           ;   in Loop: Header=BB232_2089 Depth=1
	s_wait_xcnt 0x0
	s_or_b32 exec_lo, exec_lo, s19
.LBB232_2840:                           ;   in Loop: Header=BB232_2089 Depth=1
	s_delay_alu instid0(SALU_CYCLE_1)
	s_or_b32 exec_lo, exec_lo, s18
.LBB232_2841:                           ;   in Loop: Header=BB232_2089 Depth=1
	s_delay_alu instid0(SALU_CYCLE_1) | instskip(SKIP_4) | instid1(VALU_DEP_3)
	s_or_b32 exec_lo, exec_lo, s17
	v_lshrrev_b32_e32 v3, 16, v2
	v_mov_b64_e32 v[50:51], 0
	v_mov_b64_e32 v[6:7], 0
	s_mov_b32 s17, exec_lo
	v_and_b32_e32 v4, 0xff, v3
	scratch_store_b64 off, v[6:7], s32 offset:1900 ; 8-byte Folded Spill
	s_wait_xcnt 0x0
	v_cmpx_ne_u16_e32 0, v4
	s_cbranch_execz .LBB232_2849
; %bb.2842:                             ;   in Loop: Header=BB232_2089 Depth=1
	v_cmp_ne_u16_e64 s4, 0x80, v4
	v_mov_b64_e32 v[4:5], 0x80000000
	scratch_store_b64 off, v[4:5], s32 offset:1900 ; 8-byte Folded Spill
	s_wait_xcnt 0x0
	s_and_saveexec_b32 s18, s4
	s_cbranch_execz .LBB232_2848
; %bb.2843:                             ;   in Loop: Header=BB232_2089 Depth=1
	v_mov_b64_e32 v[6:7], 0x7f800001
	v_bfe_u32 v5, v2, 16, 7
	s_mov_b32 s19, exec_lo
	scratch_store_b64 off, v[6:7], s32 offset:1900 ; 8-byte Folded Spill
	s_wait_xcnt 0x0
	v_cmpx_ne_u32_e32 0x7f, v5
	s_cbranch_execz .LBB232_2847
; %bb.2844:                             ;   in Loop: Header=BB232_2089 Depth=1
	scratch_load_b64 v[8:9], off, s32 offset:192 th:TH_LOAD_LU ; 8-byte Folded Reload
	s_wait_loadcnt 0x0
	v_dual_lshrrev_b32 v4, 3, v5 :: v_dual_bitop2_b32 v8, 7, v3 bitop3:0x40
	s_mov_b32 s20, exec_lo
	s_wait_xcnt 0x0
	v_cmpx_gt_u32_e32 8, v5
; %bb.2845:                             ;   in Loop: Header=BB232_2089 Depth=1
	s_delay_alu instid0(VALU_DEP_2) | instskip(NEXT) | instid1(VALU_DEP_1)
	v_clz_i32_u32_e32 v4, v8
	v_min_u32_e32 v4, 32, v4
	s_delay_alu instid0(VALU_DEP_1) | instskip(NEXT) | instid1(VALU_DEP_1)
	v_subrev_nc_u32_e32 v5, 28, v4
	v_lshlrev_b64_e32 v[6:7], v5, v[8:9]
	s_delay_alu instid0(VALU_DEP_1)
	v_dual_sub_nc_u32 v4, 29, v4 :: v_dual_bitop2_b32 v8, 7, v6 bitop3:0x40
; %bb.2846:                             ;   in Loop: Header=BB232_2089 Depth=1
	s_or_b32 exec_lo, exec_lo, s20
	s_delay_alu instid0(VALU_DEP_1) | instskip(NEXT) | instid1(VALU_DEP_2)
	v_dual_lshlrev_b32 v3, 24, v3 :: v_dual_lshlrev_b32 v5, 20, v8
	v_lshl_add_u32 v4, v4, 23, 0x3c000000
	s_delay_alu instid0(VALU_DEP_2) | instskip(NEXT) | instid1(VALU_DEP_1)
	v_and_b32_e32 v3, 0x80000000, v3
	v_or3_b32 v8, v5, v3, v4
	v_mov_b32_e32 v3, v9
	s_clause 0x1
	scratch_store_b64 off, v[2:3], s32 offset:192
	scratch_store_b64 off, v[8:9], s32 offset:1900
.LBB232_2847:                           ;   in Loop: Header=BB232_2089 Depth=1
	s_wait_xcnt 0x0
	s_or_b32 exec_lo, exec_lo, s19
.LBB232_2848:                           ;   in Loop: Header=BB232_2089 Depth=1
	s_delay_alu instid0(SALU_CYCLE_1)
	s_or_b32 exec_lo, exec_lo, s18
.LBB232_2849:                           ;   in Loop: Header=BB232_2089 Depth=1
	s_delay_alu instid0(SALU_CYCLE_1) | instskip(NEXT) | instid1(SALU_CYCLE_1)
	s_or_b32 exec_lo, exec_lo, s17
	s_mov_b32 s17, exec_lo
	v_cmpx_lt_u32_e32 0xffffff, v2
	s_cbranch_execz .LBB232_2857
; %bb.2850:                             ;   in Loop: Header=BB232_2089 Depth=1
	v_mov_b64_e32 v[50:51], 0x8000000000000000
	v_lshrrev_b32_e32 v3, 24, v2
	s_mov_b32 s18, exec_lo
	s_delay_alu instid0(VALU_DEP_1)
	v_cmpx_ne_u32_e32 0x80, v3
	s_cbranch_execz .LBB232_2856
; %bb.2851:                             ;   in Loop: Header=BB232_2089 Depth=1
	v_mov_b64_e32 v[50:51], 0x7f80000100000000
	v_bfe_u32 v4, v2, 24, 7
	s_mov_b32 s19, exec_lo
	s_delay_alu instid0(VALU_DEP_1)
	v_cmpx_ne_u32_e32 0x7f, v4
	s_cbranch_execz .LBB232_2855
; %bb.2852:                             ;   in Loop: Header=BB232_2089 Depth=1
	scratch_load_b64 v[6:7], off, s32 offset:192 th:TH_LOAD_LU ; 8-byte Folded Reload
	s_wait_loadcnt 0x0
	v_dual_lshrrev_b32 v2, 3, v4 :: v_dual_bitop2_b32 v6, 7, v3 bitop3:0x40
	s_mov_b32 s20, exec_lo
	s_wait_xcnt 0x0
	v_cmpx_gt_u32_e32 8, v4
; %bb.2853:                             ;   in Loop: Header=BB232_2089 Depth=1
	s_delay_alu instid0(VALU_DEP_2) | instskip(NEXT) | instid1(VALU_DEP_1)
	v_clz_i32_u32_e32 v2, v6
	v_min_u32_e32 v2, 32, v2
	s_delay_alu instid0(VALU_DEP_1) | instskip(NEXT) | instid1(VALU_DEP_1)
	v_subrev_nc_u32_e32 v4, 28, v2
	v_lshlrev_b64_e32 v[4:5], v4, v[6:7]
	s_delay_alu instid0(VALU_DEP_1)
	v_dual_sub_nc_u32 v2, 29, v2 :: v_dual_bitop2_b32 v6, 7, v4 bitop3:0x40
; %bb.2854:                             ;   in Loop: Header=BB232_2089 Depth=1
	s_or_b32 exec_lo, exec_lo, s20
	s_delay_alu instid0(VALU_DEP_1) | instskip(NEXT) | instid1(VALU_DEP_2)
	v_dual_lshlrev_b32 v3, 24, v3 :: v_dual_lshlrev_b32 v4, 20, v6
	v_lshl_add_u32 v2, v2, 23, 0x3c000000
	v_mov_b32_e32 v50, v7
	s_delay_alu instid0(VALU_DEP_3) | instskip(NEXT) | instid1(VALU_DEP_1)
	v_and_b32_e32 v3, 0x80000000, v3
	v_or3_b32 v51, v4, v3, v2
	v_mov_b32_e32 v3, v7
	scratch_store_b64 off, v[2:3], s32 offset:192 ; 8-byte Folded Spill
.LBB232_2855:                           ;   in Loop: Header=BB232_2089 Depth=1
	s_wait_xcnt 0x0
	s_or_b32 exec_lo, exec_lo, s19
.LBB232_2856:                           ;   in Loop: Header=BB232_2089 Depth=1
	s_delay_alu instid0(SALU_CYCLE_1)
	s_or_b32 exec_lo, exec_lo, s18
.LBB232_2857:                           ;   in Loop: Header=BB232_2089 Depth=1
	s_delay_alu instid0(SALU_CYCLE_1)
	s_or_b32 exec_lo, exec_lo, s17
	flat_load_b32 v2, v[0:1] offset:3072
	v_mov_b64_e32 v[66:67], 0
	v_mov_b64_e32 v[70:71], 0
	s_mov_b32 s17, exec_lo
	s_wait_loadcnt_dscnt 0x0
	v_and_b32_e32 v3, 0xff, v2
	s_wait_xcnt 0x0
	s_delay_alu instid0(VALU_DEP_1)
	v_cmpx_ne_u16_e32 0, v3
	s_cbranch_execz .LBB232_2865
; %bb.2858:                             ;   in Loop: Header=BB232_2089 Depth=1
	v_mov_b64_e32 v[70:71], 0x80000000
	s_mov_b32 s18, exec_lo
	v_cmpx_ne_u16_e32 0x80, v3
	s_cbranch_execz .LBB232_2864
; %bb.2859:                             ;   in Loop: Header=BB232_2089 Depth=1
	v_mov_b64_e32 v[70:71], 0x7f800001
	v_and_b32_e32 v4, 0x7f, v2
	s_mov_b32 s19, exec_lo
	s_delay_alu instid0(VALU_DEP_1)
	v_cmpx_ne_u32_e32 0x7f, v4
	s_cbranch_execz .LBB232_2863
; %bb.2860:                             ;   in Loop: Header=BB232_2089 Depth=1
	scratch_load_b64 v[70:71], off, s32 offset:192 th:TH_LOAD_LU ; 8-byte Folded Reload
	s_wait_loadcnt 0x0
	v_dual_lshrrev_b32 v3, 3, v4 :: v_dual_bitop2_b32 v70, 7, v2 bitop3:0x40
	s_mov_b32 s20, exec_lo
	s_wait_xcnt 0x0
	v_cmpx_gt_u32_e32 8, v4
; %bb.2861:                             ;   in Loop: Header=BB232_2089 Depth=1
	s_delay_alu instid0(VALU_DEP_2) | instskip(NEXT) | instid1(VALU_DEP_1)
	v_clz_i32_u32_e32 v3, v70
	v_min_u32_e32 v3, 32, v3
	s_delay_alu instid0(VALU_DEP_1) | instskip(NEXT) | instid1(VALU_DEP_1)
	v_subrev_nc_u32_e32 v4, 28, v3
	v_lshlrev_b64_e32 v[4:5], v4, v[70:71]
	s_delay_alu instid0(VALU_DEP_1)
	v_dual_sub_nc_u32 v3, 29, v3 :: v_dual_bitop2_b32 v70, 7, v4 bitop3:0x40
; %bb.2862:                             ;   in Loop: Header=BB232_2089 Depth=1
	s_or_b32 exec_lo, exec_lo, s20
	v_lshlrev_b32_e32 v4, 24, v2
	s_delay_alu instid0(VALU_DEP_2) | instskip(NEXT) | instid1(VALU_DEP_3)
	v_lshlrev_b32_e32 v5, 20, v70
	v_lshl_add_u32 v3, v3, 23, 0x3c000000
	s_delay_alu instid0(VALU_DEP_3) | instskip(NEXT) | instid1(VALU_DEP_1)
	v_and_b32_e32 v4, 0x80000000, v4
	v_or3_b32 v70, v5, v4, v3
	v_mov_b32_e32 v3, v71
	scratch_store_b64 off, v[2:3], s32 offset:192 ; 8-byte Folded Spill
.LBB232_2863:                           ;   in Loop: Header=BB232_2089 Depth=1
	s_wait_xcnt 0x0
	s_or_b32 exec_lo, exec_lo, s19
.LBB232_2864:                           ;   in Loop: Header=BB232_2089 Depth=1
	s_delay_alu instid0(SALU_CYCLE_1)
	s_or_b32 exec_lo, exec_lo, s18
.LBB232_2865:                           ;   in Loop: Header=BB232_2089 Depth=1
	s_delay_alu instid0(SALU_CYCLE_1) | instskip(SKIP_2) | instid1(VALU_DEP_1)
	s_or_b32 exec_lo, exec_lo, s17
	v_lshrrev_b16 v3, 8, v2
	s_mov_b32 s17, exec_lo
	v_cmpx_ne_u16_e32 0, v3
	s_cbranch_execz .LBB232_2873
; %bb.2866:                             ;   in Loop: Header=BB232_2089 Depth=1
	v_mov_b64_e32 v[66:67], 0x8000000000000000
	s_mov_b32 s18, exec_lo
	v_cmpx_ne_u16_e32 0x80, v3
	s_cbranch_execz .LBB232_2872
; %bb.2867:                             ;   in Loop: Header=BB232_2089 Depth=1
	v_and_b32_e32 v3, 0xffff, v3
	v_mov_b64_e32 v[66:67], 0x7f80000100000000
	s_mov_b32 s19, exec_lo
	s_delay_alu instid0(VALU_DEP_2) | instskip(NEXT) | instid1(VALU_DEP_1)
	v_and_b32_e32 v4, 0x7f, v3
	v_cmpx_ne_u32_e32 0x7f, v4
	s_cbranch_execz .LBB232_2871
; %bb.2868:                             ;   in Loop: Header=BB232_2089 Depth=1
	scratch_load_b64 v[6:7], off, s32 offset:192 th:TH_LOAD_LU ; 8-byte Folded Reload
	s_wait_loadcnt 0x0
	v_dual_lshrrev_b32 v3, 3, v4 :: v_dual_bitop2_b32 v6, 7, v3 bitop3:0x40
	s_mov_b32 s20, exec_lo
	s_wait_xcnt 0x0
	v_cmpx_gt_u32_e32 8, v4
; %bb.2869:                             ;   in Loop: Header=BB232_2089 Depth=1
	s_delay_alu instid0(VALU_DEP_2) | instskip(NEXT) | instid1(VALU_DEP_1)
	v_clz_i32_u32_e32 v3, v6
	v_min_u32_e32 v3, 32, v3
	s_delay_alu instid0(VALU_DEP_1) | instskip(NEXT) | instid1(VALU_DEP_1)
	v_subrev_nc_u32_e32 v4, 28, v3
	v_lshlrev_b64_e32 v[4:5], v4, v[6:7]
	s_delay_alu instid0(VALU_DEP_1)
	v_dual_sub_nc_u32 v3, 29, v3 :: v_dual_bitop2_b32 v6, 7, v4 bitop3:0x40
; %bb.2870:                             ;   in Loop: Header=BB232_2089 Depth=1
	s_or_b32 exec_lo, exec_lo, s20
	v_lshlrev_b32_e32 v4, 16, v2
	s_delay_alu instid0(VALU_DEP_2) | instskip(NEXT) | instid1(VALU_DEP_3)
	v_dual_mov_b32 v66, v7 :: v_dual_lshlrev_b32 v5, 20, v6
	v_lshl_add_u32 v3, v3, 23, 0x3c000000
	s_delay_alu instid0(VALU_DEP_3) | instskip(NEXT) | instid1(VALU_DEP_1)
	v_and_b32_e32 v4, 0x80000000, v4
	v_or3_b32 v67, v5, v4, v3
	v_mov_b32_e32 v3, v7
	scratch_store_b64 off, v[2:3], s32 offset:192 ; 8-byte Folded Spill
.LBB232_2871:                           ;   in Loop: Header=BB232_2089 Depth=1
	s_wait_xcnt 0x0
	s_or_b32 exec_lo, exec_lo, s19
.LBB232_2872:                           ;   in Loop: Header=BB232_2089 Depth=1
	s_delay_alu instid0(SALU_CYCLE_1)
	s_or_b32 exec_lo, exec_lo, s18
.LBB232_2873:                           ;   in Loop: Header=BB232_2089 Depth=1
	s_delay_alu instid0(SALU_CYCLE_1) | instskip(SKIP_4) | instid1(VALU_DEP_3)
	s_or_b32 exec_lo, exec_lo, s17
	v_lshrrev_b32_e32 v3, 16, v2
	v_mov_b64_e32 v[96:97], 0
	v_mov_b64_e32 v[46:47], 0
	s_mov_b32 s17, exec_lo
	v_and_b32_e32 v4, 0xff, v3
	s_delay_alu instid0(VALU_DEP_1)
	v_cmpx_ne_u16_e32 0, v4
	s_cbranch_execz .LBB232_2881
; %bb.2874:                             ;   in Loop: Header=BB232_2089 Depth=1
	v_mov_b64_e32 v[46:47], 0x80000000
	s_mov_b32 s18, exec_lo
	v_cmpx_ne_u16_e32 0x80, v4
	s_cbranch_execz .LBB232_2880
; %bb.2875:                             ;   in Loop: Header=BB232_2089 Depth=1
	v_mov_b64_e32 v[46:47], 0x7f800001
	v_bfe_u32 v5, v2, 16, 7
	s_mov_b32 s19, exec_lo
	s_delay_alu instid0(VALU_DEP_1)
	v_cmpx_ne_u32_e32 0x7f, v5
	s_cbranch_execz .LBB232_2879
; %bb.2876:                             ;   in Loop: Header=BB232_2089 Depth=1
	scratch_load_b64 v[46:47], off, s32 offset:192 th:TH_LOAD_LU ; 8-byte Folded Reload
	s_wait_loadcnt 0x0
	v_dual_lshrrev_b32 v4, 3, v5 :: v_dual_bitop2_b32 v46, 7, v3 bitop3:0x40
	s_mov_b32 s20, exec_lo
	s_wait_xcnt 0x0
	v_cmpx_gt_u32_e32 8, v5
; %bb.2877:                             ;   in Loop: Header=BB232_2089 Depth=1
	s_delay_alu instid0(VALU_DEP_2) | instskip(NEXT) | instid1(VALU_DEP_1)
	v_clz_i32_u32_e32 v4, v46
	v_min_u32_e32 v4, 32, v4
	s_delay_alu instid0(VALU_DEP_1) | instskip(NEXT) | instid1(VALU_DEP_1)
	v_subrev_nc_u32_e32 v5, 28, v4
	v_lshlrev_b64_e32 v[6:7], v5, v[46:47]
	s_delay_alu instid0(VALU_DEP_1)
	v_dual_sub_nc_u32 v4, 29, v4 :: v_dual_bitop2_b32 v46, 7, v6 bitop3:0x40
; %bb.2878:                             ;   in Loop: Header=BB232_2089 Depth=1
	s_or_b32 exec_lo, exec_lo, s20
	s_delay_alu instid0(VALU_DEP_1) | instskip(NEXT) | instid1(VALU_DEP_2)
	v_dual_lshlrev_b32 v3, 24, v3 :: v_dual_lshlrev_b32 v5, 20, v46
	v_lshl_add_u32 v4, v4, 23, 0x3c000000
	s_delay_alu instid0(VALU_DEP_2) | instskip(NEXT) | instid1(VALU_DEP_1)
	v_and_b32_e32 v3, 0x80000000, v3
	v_or3_b32 v46, v5, v3, v4
	v_mov_b32_e32 v3, v47
	scratch_store_b64 off, v[2:3], s32 offset:192 ; 8-byte Folded Spill
.LBB232_2879:                           ;   in Loop: Header=BB232_2089 Depth=1
	s_wait_xcnt 0x0
	s_or_b32 exec_lo, exec_lo, s19
.LBB232_2880:                           ;   in Loop: Header=BB232_2089 Depth=1
	s_delay_alu instid0(SALU_CYCLE_1)
	s_or_b32 exec_lo, exec_lo, s18
.LBB232_2881:                           ;   in Loop: Header=BB232_2089 Depth=1
	s_delay_alu instid0(SALU_CYCLE_1) | instskip(NEXT) | instid1(SALU_CYCLE_1)
	s_or_b32 exec_lo, exec_lo, s17
	s_mov_b32 s17, exec_lo
	v_cmpx_lt_u32_e32 0xffffff, v2
	s_cbranch_execz .LBB232_2889
; %bb.2882:                             ;   in Loop: Header=BB232_2089 Depth=1
	v_mov_b64_e32 v[96:97], 0x8000000000000000
	v_lshrrev_b32_e32 v3, 24, v2
	s_mov_b32 s18, exec_lo
	s_delay_alu instid0(VALU_DEP_1)
	v_cmpx_ne_u32_e32 0x80, v3
	s_cbranch_execz .LBB232_2888
; %bb.2883:                             ;   in Loop: Header=BB232_2089 Depth=1
	v_mov_b64_e32 v[96:97], 0x7f80000100000000
	v_bfe_u32 v4, v2, 24, 7
	s_mov_b32 s19, exec_lo
	s_delay_alu instid0(VALU_DEP_1)
	v_cmpx_ne_u32_e32 0x7f, v4
	s_cbranch_execz .LBB232_2887
; %bb.2884:                             ;   in Loop: Header=BB232_2089 Depth=1
	scratch_load_b64 v[6:7], off, s32 offset:192 th:TH_LOAD_LU ; 8-byte Folded Reload
	s_wait_loadcnt 0x0
	v_dual_lshrrev_b32 v2, 3, v4 :: v_dual_bitop2_b32 v6, 7, v3 bitop3:0x40
	s_mov_b32 s20, exec_lo
	s_wait_xcnt 0x0
	v_cmpx_gt_u32_e32 8, v4
; %bb.2885:                             ;   in Loop: Header=BB232_2089 Depth=1
	s_delay_alu instid0(VALU_DEP_2) | instskip(NEXT) | instid1(VALU_DEP_1)
	v_clz_i32_u32_e32 v2, v6
	v_min_u32_e32 v2, 32, v2
	s_delay_alu instid0(VALU_DEP_1) | instskip(NEXT) | instid1(VALU_DEP_1)
	v_subrev_nc_u32_e32 v4, 28, v2
	v_lshlrev_b64_e32 v[4:5], v4, v[6:7]
	s_delay_alu instid0(VALU_DEP_1)
	v_dual_sub_nc_u32 v2, 29, v2 :: v_dual_bitop2_b32 v6, 7, v4 bitop3:0x40
; %bb.2886:                             ;   in Loop: Header=BB232_2089 Depth=1
	s_or_b32 exec_lo, exec_lo, s20
	s_delay_alu instid0(VALU_DEP_1) | instskip(NEXT) | instid1(VALU_DEP_2)
	v_dual_lshlrev_b32 v3, 24, v3 :: v_dual_lshlrev_b32 v4, 20, v6
	v_lshl_add_u32 v2, v2, 23, 0x3c000000
	v_mov_b32_e32 v96, v7
	s_delay_alu instid0(VALU_DEP_3) | instskip(NEXT) | instid1(VALU_DEP_1)
	v_and_b32_e32 v3, 0x80000000, v3
	v_or3_b32 v97, v4, v3, v2
	v_mov_b32_e32 v3, v7
	scratch_store_b64 off, v[2:3], s32 offset:192 ; 8-byte Folded Spill
.LBB232_2887:                           ;   in Loop: Header=BB232_2089 Depth=1
	s_wait_xcnt 0x0
	s_or_b32 exec_lo, exec_lo, s19
.LBB232_2888:                           ;   in Loop: Header=BB232_2089 Depth=1
	s_delay_alu instid0(SALU_CYCLE_1)
	s_or_b32 exec_lo, exec_lo, s18
.LBB232_2889:                           ;   in Loop: Header=BB232_2089 Depth=1
	s_delay_alu instid0(SALU_CYCLE_1)
	s_or_b32 exec_lo, exec_lo, s17
	flat_load_b32 v2, v[0:1] offset:3200
	v_mov_b64_e32 v[88:89], 0
	v_mov_b64_e32 v[104:105], 0
	s_mov_b32 s17, exec_lo
	s_wait_loadcnt_dscnt 0x0
	v_and_b32_e32 v3, 0xff, v2
	s_wait_xcnt 0x0
	s_delay_alu instid0(VALU_DEP_1)
	v_cmpx_ne_u16_e32 0, v3
	s_cbranch_execz .LBB232_2897
; %bb.2890:                             ;   in Loop: Header=BB232_2089 Depth=1
	v_mov_b64_e32 v[104:105], 0x80000000
	s_mov_b32 s18, exec_lo
	v_cmpx_ne_u16_e32 0x80, v3
	s_cbranch_execz .LBB232_2896
; %bb.2891:                             ;   in Loop: Header=BB232_2089 Depth=1
	v_mov_b64_e32 v[104:105], 0x7f800001
	v_and_b32_e32 v4, 0x7f, v2
	s_mov_b32 s19, exec_lo
	s_delay_alu instid0(VALU_DEP_1)
	v_cmpx_ne_u32_e32 0x7f, v4
	s_cbranch_execz .LBB232_2895
; %bb.2892:                             ;   in Loop: Header=BB232_2089 Depth=1
	scratch_load_b64 v[104:105], off, s32 offset:192 th:TH_LOAD_LU ; 8-byte Folded Reload
	s_wait_loadcnt 0x0
	v_dual_lshrrev_b32 v3, 3, v4 :: v_dual_bitop2_b32 v104, 7, v2 bitop3:0x40
	s_mov_b32 s20, exec_lo
	s_wait_xcnt 0x0
	v_cmpx_gt_u32_e32 8, v4
; %bb.2893:                             ;   in Loop: Header=BB232_2089 Depth=1
	s_delay_alu instid0(VALU_DEP_2) | instskip(NEXT) | instid1(VALU_DEP_1)
	v_clz_i32_u32_e32 v3, v104
	v_min_u32_e32 v3, 32, v3
	s_delay_alu instid0(VALU_DEP_1) | instskip(NEXT) | instid1(VALU_DEP_1)
	v_subrev_nc_u32_e32 v4, 28, v3
	v_lshlrev_b64_e32 v[4:5], v4, v[104:105]
	s_delay_alu instid0(VALU_DEP_1)
	v_dual_sub_nc_u32 v3, 29, v3 :: v_dual_bitop2_b32 v104, 7, v4 bitop3:0x40
; %bb.2894:                             ;   in Loop: Header=BB232_2089 Depth=1
	s_or_b32 exec_lo, exec_lo, s20
	s_delay_alu instid0(VALU_DEP_1) | instskip(NEXT) | instid1(VALU_DEP_2)
	v_dual_lshlrev_b32 v4, 24, v2 :: v_dual_lshlrev_b32 v5, 20, v104
	v_lshl_add_u32 v3, v3, 23, 0x3c000000
	s_delay_alu instid0(VALU_DEP_2) | instskip(NEXT) | instid1(VALU_DEP_1)
	v_and_b32_e32 v4, 0x80000000, v4
	v_or3_b32 v104, v5, v4, v3
	v_mov_b32_e32 v3, v105
	scratch_store_b64 off, v[2:3], s32 offset:192 ; 8-byte Folded Spill
.LBB232_2895:                           ;   in Loop: Header=BB232_2089 Depth=1
	s_wait_xcnt 0x0
	s_or_b32 exec_lo, exec_lo, s19
.LBB232_2896:                           ;   in Loop: Header=BB232_2089 Depth=1
	s_delay_alu instid0(SALU_CYCLE_1)
	s_or_b32 exec_lo, exec_lo, s18
.LBB232_2897:                           ;   in Loop: Header=BB232_2089 Depth=1
	s_delay_alu instid0(SALU_CYCLE_1) | instskip(SKIP_2) | instid1(VALU_DEP_1)
	s_or_b32 exec_lo, exec_lo, s17
	v_lshrrev_b16 v3, 8, v2
	s_mov_b32 s17, exec_lo
	v_cmpx_ne_u16_e32 0, v3
	s_cbranch_execz .LBB232_2905
; %bb.2898:                             ;   in Loop: Header=BB232_2089 Depth=1
	v_mov_b64_e32 v[88:89], 0x8000000000000000
	s_mov_b32 s18, exec_lo
	v_cmpx_ne_u16_e32 0x80, v3
	s_cbranch_execz .LBB232_2904
; %bb.2899:                             ;   in Loop: Header=BB232_2089 Depth=1
	v_and_b32_e32 v3, 0xffff, v3
	v_mov_b64_e32 v[88:89], 0x7f80000100000000
	s_mov_b32 s19, exec_lo
	s_delay_alu instid0(VALU_DEP_2) | instskip(NEXT) | instid1(VALU_DEP_1)
	v_and_b32_e32 v4, 0x7f, v3
	v_cmpx_ne_u32_e32 0x7f, v4
	s_cbranch_execz .LBB232_2903
; %bb.2900:                             ;   in Loop: Header=BB232_2089 Depth=1
	scratch_load_b64 v[6:7], off, s32 offset:192 th:TH_LOAD_LU ; 8-byte Folded Reload
	s_wait_loadcnt 0x0
	v_dual_lshrrev_b32 v3, 3, v4 :: v_dual_bitop2_b32 v6, 7, v3 bitop3:0x40
	s_mov_b32 s20, exec_lo
	s_wait_xcnt 0x0
	v_cmpx_gt_u32_e32 8, v4
; %bb.2901:                             ;   in Loop: Header=BB232_2089 Depth=1
	s_delay_alu instid0(VALU_DEP_2) | instskip(NEXT) | instid1(VALU_DEP_1)
	v_clz_i32_u32_e32 v3, v6
	v_min_u32_e32 v3, 32, v3
	s_delay_alu instid0(VALU_DEP_1) | instskip(NEXT) | instid1(VALU_DEP_1)
	v_subrev_nc_u32_e32 v4, 28, v3
	v_lshlrev_b64_e32 v[4:5], v4, v[6:7]
	s_delay_alu instid0(VALU_DEP_1)
	v_dual_sub_nc_u32 v3, 29, v3 :: v_dual_bitop2_b32 v6, 7, v4 bitop3:0x40
; %bb.2902:                             ;   in Loop: Header=BB232_2089 Depth=1
	s_or_b32 exec_lo, exec_lo, s20
	v_lshlrev_b32_e32 v4, 16, v2
	s_delay_alu instid0(VALU_DEP_2) | instskip(NEXT) | instid1(VALU_DEP_3)
	v_dual_mov_b32 v88, v7 :: v_dual_lshlrev_b32 v5, 20, v6
	v_lshl_add_u32 v3, v3, 23, 0x3c000000
	s_delay_alu instid0(VALU_DEP_3) | instskip(NEXT) | instid1(VALU_DEP_1)
	v_and_b32_e32 v4, 0x80000000, v4
	v_or3_b32 v89, v5, v4, v3
	v_mov_b32_e32 v3, v7
	scratch_store_b64 off, v[2:3], s32 offset:192 ; 8-byte Folded Spill
.LBB232_2903:                           ;   in Loop: Header=BB232_2089 Depth=1
	s_wait_xcnt 0x0
	s_or_b32 exec_lo, exec_lo, s19
.LBB232_2904:                           ;   in Loop: Header=BB232_2089 Depth=1
	s_delay_alu instid0(SALU_CYCLE_1)
	s_or_b32 exec_lo, exec_lo, s18
.LBB232_2905:                           ;   in Loop: Header=BB232_2089 Depth=1
	s_delay_alu instid0(SALU_CYCLE_1) | instskip(SKIP_4) | instid1(VALU_DEP_3)
	s_or_b32 exec_lo, exec_lo, s17
	v_lshrrev_b32_e32 v3, 16, v2
	v_mov_b64_e32 v[110:111], 0
	v_mov_b64_e32 v[6:7], 0
	s_mov_b32 s17, exec_lo
	v_and_b32_e32 v4, 0xff, v3
	scratch_store_b64 off, v[6:7], s32 offset:820 ; 8-byte Folded Spill
	s_wait_xcnt 0x0
	v_cmpx_ne_u16_e32 0, v4
	s_cbranch_execz .LBB232_2913
; %bb.2906:                             ;   in Loop: Header=BB232_2089 Depth=1
	v_cmp_ne_u16_e64 s4, 0x80, v4
	v_mov_b64_e32 v[4:5], 0x80000000
	scratch_store_b64 off, v[4:5], s32 offset:820 ; 8-byte Folded Spill
	s_wait_xcnt 0x0
	s_and_saveexec_b32 s18, s4
	s_cbranch_execz .LBB232_2912
; %bb.2907:                             ;   in Loop: Header=BB232_2089 Depth=1
	v_mov_b64_e32 v[6:7], 0x7f800001
	v_bfe_u32 v5, v2, 16, 7
	s_mov_b32 s19, exec_lo
	scratch_store_b64 off, v[6:7], s32 offset:820 ; 8-byte Folded Spill
	s_wait_xcnt 0x0
	v_cmpx_ne_u32_e32 0x7f, v5
	s_cbranch_execz .LBB232_2911
; %bb.2908:                             ;   in Loop: Header=BB232_2089 Depth=1
	scratch_load_b64 v[8:9], off, s32 offset:192 th:TH_LOAD_LU ; 8-byte Folded Reload
	s_wait_loadcnt 0x0
	v_dual_lshrrev_b32 v4, 3, v5 :: v_dual_bitop2_b32 v8, 7, v3 bitop3:0x40
	s_mov_b32 s20, exec_lo
	s_wait_xcnt 0x0
	v_cmpx_gt_u32_e32 8, v5
; %bb.2909:                             ;   in Loop: Header=BB232_2089 Depth=1
	s_delay_alu instid0(VALU_DEP_2) | instskip(NEXT) | instid1(VALU_DEP_1)
	v_clz_i32_u32_e32 v4, v8
	v_min_u32_e32 v4, 32, v4
	s_delay_alu instid0(VALU_DEP_1) | instskip(NEXT) | instid1(VALU_DEP_1)
	v_subrev_nc_u32_e32 v5, 28, v4
	v_lshlrev_b64_e32 v[6:7], v5, v[8:9]
	s_delay_alu instid0(VALU_DEP_1)
	v_dual_sub_nc_u32 v4, 29, v4 :: v_dual_bitop2_b32 v8, 7, v6 bitop3:0x40
; %bb.2910:                             ;   in Loop: Header=BB232_2089 Depth=1
	s_or_b32 exec_lo, exec_lo, s20
	s_delay_alu instid0(VALU_DEP_1) | instskip(NEXT) | instid1(VALU_DEP_2)
	v_dual_lshlrev_b32 v3, 24, v3 :: v_dual_lshlrev_b32 v5, 20, v8
	v_lshl_add_u32 v4, v4, 23, 0x3c000000
	s_delay_alu instid0(VALU_DEP_2) | instskip(NEXT) | instid1(VALU_DEP_1)
	v_and_b32_e32 v3, 0x80000000, v3
	v_or3_b32 v8, v5, v3, v4
	v_mov_b32_e32 v3, v9
	s_clause 0x1
	scratch_store_b64 off, v[2:3], s32 offset:192
	scratch_store_b64 off, v[8:9], s32 offset:820
.LBB232_2911:                           ;   in Loop: Header=BB232_2089 Depth=1
	s_wait_xcnt 0x0
	s_or_b32 exec_lo, exec_lo, s19
.LBB232_2912:                           ;   in Loop: Header=BB232_2089 Depth=1
	s_delay_alu instid0(SALU_CYCLE_1)
	s_or_b32 exec_lo, exec_lo, s18
.LBB232_2913:                           ;   in Loop: Header=BB232_2089 Depth=1
	s_delay_alu instid0(SALU_CYCLE_1) | instskip(NEXT) | instid1(SALU_CYCLE_1)
	s_or_b32 exec_lo, exec_lo, s17
	s_mov_b32 s17, exec_lo
	v_cmpx_lt_u32_e32 0xffffff, v2
	s_cbranch_execz .LBB232_2921
; %bb.2914:                             ;   in Loop: Header=BB232_2089 Depth=1
	v_mov_b64_e32 v[110:111], 0x8000000000000000
	v_lshrrev_b32_e32 v3, 24, v2
	s_mov_b32 s18, exec_lo
	s_delay_alu instid0(VALU_DEP_1)
	v_cmpx_ne_u32_e32 0x80, v3
	s_cbranch_execz .LBB232_2920
; %bb.2915:                             ;   in Loop: Header=BB232_2089 Depth=1
	v_mov_b64_e32 v[110:111], 0x7f80000100000000
	v_bfe_u32 v4, v2, 24, 7
	s_mov_b32 s19, exec_lo
	s_delay_alu instid0(VALU_DEP_1)
	v_cmpx_ne_u32_e32 0x7f, v4
	s_cbranch_execz .LBB232_2919
; %bb.2916:                             ;   in Loop: Header=BB232_2089 Depth=1
	scratch_load_b64 v[6:7], off, s32 offset:192 th:TH_LOAD_LU ; 8-byte Folded Reload
	s_wait_loadcnt 0x0
	v_dual_lshrrev_b32 v2, 3, v4 :: v_dual_bitop2_b32 v6, 7, v3 bitop3:0x40
	s_mov_b32 s20, exec_lo
	s_wait_xcnt 0x0
	v_cmpx_gt_u32_e32 8, v4
; %bb.2917:                             ;   in Loop: Header=BB232_2089 Depth=1
	s_delay_alu instid0(VALU_DEP_2) | instskip(NEXT) | instid1(VALU_DEP_1)
	v_clz_i32_u32_e32 v2, v6
	v_min_u32_e32 v2, 32, v2
	s_delay_alu instid0(VALU_DEP_1) | instskip(NEXT) | instid1(VALU_DEP_1)
	v_subrev_nc_u32_e32 v4, 28, v2
	v_lshlrev_b64_e32 v[4:5], v4, v[6:7]
	s_delay_alu instid0(VALU_DEP_1)
	v_dual_sub_nc_u32 v2, 29, v2 :: v_dual_bitop2_b32 v6, 7, v4 bitop3:0x40
; %bb.2918:                             ;   in Loop: Header=BB232_2089 Depth=1
	s_or_b32 exec_lo, exec_lo, s20
	s_delay_alu instid0(VALU_DEP_1) | instskip(NEXT) | instid1(VALU_DEP_2)
	v_dual_lshlrev_b32 v3, 24, v3 :: v_dual_lshlrev_b32 v4, 20, v6
	v_lshl_add_u32 v2, v2, 23, 0x3c000000
	v_mov_b32_e32 v110, v7
	s_delay_alu instid0(VALU_DEP_3) | instskip(NEXT) | instid1(VALU_DEP_1)
	v_and_b32_e32 v3, 0x80000000, v3
	v_or3_b32 v111, v4, v3, v2
	v_mov_b32_e32 v3, v7
	scratch_store_b64 off, v[2:3], s32 offset:192 ; 8-byte Folded Spill
.LBB232_2919:                           ;   in Loop: Header=BB232_2089 Depth=1
	s_wait_xcnt 0x0
	s_or_b32 exec_lo, exec_lo, s19
.LBB232_2920:                           ;   in Loop: Header=BB232_2089 Depth=1
	s_delay_alu instid0(SALU_CYCLE_1)
	s_or_b32 exec_lo, exec_lo, s18
.LBB232_2921:                           ;   in Loop: Header=BB232_2089 Depth=1
	s_delay_alu instid0(SALU_CYCLE_1)
	s_or_b32 exec_lo, exec_lo, s17
	flat_load_b32 v2, v[0:1] offset:3328
	v_mov_b64_e32 v[4:5], 0
	s_mov_b32 s17, exec_lo
	scratch_store_b64 off, v[4:5], s32 offset:828 ; 8-byte Folded Spill
	s_wait_xcnt 0x0
	v_mov_b64_e32 v[4:5], 0
	scratch_store_b64 off, v[4:5], s32 offset:836 ; 8-byte Folded Spill
	s_wait_loadcnt_dscnt 0x0
	v_and_b32_e32 v3, 0xff, v2
	s_wait_xcnt 0x0
	s_delay_alu instid0(VALU_DEP_1)
	v_cmpx_ne_u16_e32 0, v3
	s_cbranch_execz .LBB232_2929
; %bb.2922:                             ;   in Loop: Header=BB232_2089 Depth=1
	v_mov_b64_e32 v[4:5], 0x80000000
	s_mov_b32 s18, exec_lo
	scratch_store_b64 off, v[4:5], s32 offset:836 ; 8-byte Folded Spill
	s_wait_xcnt 0x0
	v_cmpx_ne_u16_e32 0x80, v3
	s_cbranch_execz .LBB232_2928
; %bb.2923:                             ;   in Loop: Header=BB232_2089 Depth=1
	v_mov_b64_e32 v[6:7], 0x7f800001
	v_and_b32_e32 v4, 0x7f, v2
	s_mov_b32 s19, exec_lo
	scratch_store_b64 off, v[6:7], s32 offset:836 ; 8-byte Folded Spill
	s_wait_xcnt 0x0
	v_cmpx_ne_u32_e32 0x7f, v4
	s_cbranch_execz .LBB232_2927
; %bb.2924:                             ;   in Loop: Header=BB232_2089 Depth=1
	scratch_load_b64 v[6:7], off, s32 offset:192 th:TH_LOAD_LU ; 8-byte Folded Reload
	s_wait_loadcnt 0x0
	v_dual_lshrrev_b32 v3, 3, v4 :: v_dual_bitop2_b32 v6, 7, v2 bitop3:0x40
	s_mov_b32 s20, exec_lo
	s_wait_xcnt 0x0
	v_cmpx_gt_u32_e32 8, v4
; %bb.2925:                             ;   in Loop: Header=BB232_2089 Depth=1
	s_delay_alu instid0(VALU_DEP_2) | instskip(NEXT) | instid1(VALU_DEP_1)
	v_clz_i32_u32_e32 v3, v6
	v_min_u32_e32 v3, 32, v3
	s_delay_alu instid0(VALU_DEP_1) | instskip(NEXT) | instid1(VALU_DEP_1)
	v_subrev_nc_u32_e32 v4, 28, v3
	v_lshlrev_b64_e32 v[4:5], v4, v[6:7]
	s_delay_alu instid0(VALU_DEP_1)
	v_dual_sub_nc_u32 v3, 29, v3 :: v_dual_bitop2_b32 v6, 7, v4 bitop3:0x40
; %bb.2926:                             ;   in Loop: Header=BB232_2089 Depth=1
	s_or_b32 exec_lo, exec_lo, s20
	v_lshlrev_b32_e32 v4, 24, v2
	s_delay_alu instid0(VALU_DEP_2) | instskip(NEXT) | instid1(VALU_DEP_3)
	v_lshlrev_b32_e32 v5, 20, v6
	v_lshl_add_u32 v3, v3, 23, 0x3c000000
	s_delay_alu instid0(VALU_DEP_3) | instskip(NEXT) | instid1(VALU_DEP_1)
	v_and_b32_e32 v4, 0x80000000, v4
	v_or3_b32 v6, v5, v4, v3
	v_mov_b32_e32 v3, v7
	s_clause 0x1
	scratch_store_b64 off, v[2:3], s32 offset:192
	scratch_store_b64 off, v[6:7], s32 offset:836
.LBB232_2927:                           ;   in Loop: Header=BB232_2089 Depth=1
	s_wait_xcnt 0x0
	s_or_b32 exec_lo, exec_lo, s19
.LBB232_2928:                           ;   in Loop: Header=BB232_2089 Depth=1
	s_delay_alu instid0(SALU_CYCLE_1)
	s_or_b32 exec_lo, exec_lo, s18
.LBB232_2929:                           ;   in Loop: Header=BB232_2089 Depth=1
	s_delay_alu instid0(SALU_CYCLE_1) | instskip(SKIP_2) | instid1(VALU_DEP_1)
	s_or_b32 exec_lo, exec_lo, s17
	v_lshrrev_b16 v3, 8, v2
	s_mov_b32 s17, exec_lo
	v_cmpx_ne_u16_e32 0, v3
	s_cbranch_execz .LBB232_2937
; %bb.2930:                             ;   in Loop: Header=BB232_2089 Depth=1
	v_mov_b64_e32 v[4:5], 0x8000000000000000
	s_mov_b32 s18, exec_lo
	scratch_store_b64 off, v[4:5], s32 offset:828 ; 8-byte Folded Spill
	s_wait_xcnt 0x0
	v_cmpx_ne_u16_e32 0x80, v3
	s_cbranch_execz .LBB232_2936
; %bb.2931:                             ;   in Loop: Header=BB232_2089 Depth=1
	v_and_b32_e32 v3, 0xffff, v3
	v_mov_b64_e32 v[6:7], 0x7f80000100000000
	s_mov_b32 s19, exec_lo
	s_delay_alu instid0(VALU_DEP_2)
	v_and_b32_e32 v4, 0x7f, v3
	scratch_store_b64 off, v[6:7], s32 offset:828 ; 8-byte Folded Spill
	s_wait_xcnt 0x0
	v_cmpx_ne_u32_e32 0x7f, v4
	s_cbranch_execz .LBB232_2935
; %bb.2932:                             ;   in Loop: Header=BB232_2089 Depth=1
	scratch_load_b64 v[6:7], off, s32 offset:192 th:TH_LOAD_LU ; 8-byte Folded Reload
	s_wait_loadcnt 0x0
	v_dual_lshrrev_b32 v3, 3, v4 :: v_dual_bitop2_b32 v6, 7, v3 bitop3:0x40
	s_mov_b32 s20, exec_lo
	s_wait_xcnt 0x0
	v_cmpx_gt_u32_e32 8, v4
; %bb.2933:                             ;   in Loop: Header=BB232_2089 Depth=1
	s_delay_alu instid0(VALU_DEP_2) | instskip(NEXT) | instid1(VALU_DEP_1)
	v_clz_i32_u32_e32 v3, v6
	v_min_u32_e32 v3, 32, v3
	s_delay_alu instid0(VALU_DEP_1) | instskip(NEXT) | instid1(VALU_DEP_1)
	v_subrev_nc_u32_e32 v4, 28, v3
	v_lshlrev_b64_e32 v[4:5], v4, v[6:7]
	s_delay_alu instid0(VALU_DEP_1)
	v_dual_sub_nc_u32 v3, 29, v3 :: v_dual_bitop2_b32 v6, 7, v4 bitop3:0x40
; %bb.2934:                             ;   in Loop: Header=BB232_2089 Depth=1
	s_or_b32 exec_lo, exec_lo, s20
	v_lshlrev_b32_e32 v4, 16, v2
	s_delay_alu instid0(VALU_DEP_2) | instskip(NEXT) | instid1(VALU_DEP_3)
	v_lshlrev_b32_e32 v5, 20, v6
	v_lshl_add_u32 v3, v3, 23, 0x3c000000
	s_delay_alu instid0(VALU_DEP_3) | instskip(NEXT) | instid1(VALU_DEP_1)
	v_and_b32_e32 v4, 0x80000000, v4
	v_or3_b32 v5, v5, v4, v3
	v_dual_mov_b32 v3, v7 :: v_dual_mov_b32 v4, v7
	s_clause 0x1
	scratch_store_b64 off, v[2:3], s32 offset:192
	scratch_store_b64 off, v[4:5], s32 offset:828
.LBB232_2935:                           ;   in Loop: Header=BB232_2089 Depth=1
	s_wait_xcnt 0x0
	s_or_b32 exec_lo, exec_lo, s19
.LBB232_2936:                           ;   in Loop: Header=BB232_2089 Depth=1
	s_delay_alu instid0(SALU_CYCLE_1)
	s_or_b32 exec_lo, exec_lo, s18
.LBB232_2937:                           ;   in Loop: Header=BB232_2089 Depth=1
	s_delay_alu instid0(SALU_CYCLE_1) | instskip(SKIP_3) | instid1(VALU_DEP_1)
	s_or_b32 exec_lo, exec_lo, s17
	v_mov_b64_e32 v[6:7], 0
	v_lshrrev_b32_e32 v3, 16, v2
	s_mov_b32 s17, exec_lo
	v_and_b32_e32 v4, 0xff, v3
	scratch_store_b64 off, v[6:7], s32 offset:844 ; 8-byte Folded Spill
	s_wait_xcnt 0x0
	v_mov_b64_e32 v[6:7], 0
	scratch_store_b64 off, v[6:7], s32 offset:852 ; 8-byte Folded Spill
	s_wait_xcnt 0x0
	v_cmpx_ne_u16_e32 0, v4
	s_cbranch_execz .LBB232_2945
; %bb.2938:                             ;   in Loop: Header=BB232_2089 Depth=1
	v_cmp_ne_u16_e64 s4, 0x80, v4
	v_mov_b64_e32 v[4:5], 0x80000000
	scratch_store_b64 off, v[4:5], s32 offset:852 ; 8-byte Folded Spill
	s_wait_xcnt 0x0
	s_and_saveexec_b32 s18, s4
	s_cbranch_execz .LBB232_2944
; %bb.2939:                             ;   in Loop: Header=BB232_2089 Depth=1
	v_mov_b64_e32 v[6:7], 0x7f800001
	v_bfe_u32 v5, v2, 16, 7
	s_mov_b32 s19, exec_lo
	scratch_store_b64 off, v[6:7], s32 offset:852 ; 8-byte Folded Spill
	s_wait_xcnt 0x0
	v_cmpx_ne_u32_e32 0x7f, v5
	s_cbranch_execz .LBB232_2943
; %bb.2940:                             ;   in Loop: Header=BB232_2089 Depth=1
	scratch_load_b64 v[8:9], off, s32 offset:192 th:TH_LOAD_LU ; 8-byte Folded Reload
	s_wait_loadcnt 0x0
	v_dual_lshrrev_b32 v4, 3, v5 :: v_dual_bitop2_b32 v8, 7, v3 bitop3:0x40
	s_mov_b32 s20, exec_lo
	s_wait_xcnt 0x0
	v_cmpx_gt_u32_e32 8, v5
; %bb.2941:                             ;   in Loop: Header=BB232_2089 Depth=1
	s_delay_alu instid0(VALU_DEP_2) | instskip(NEXT) | instid1(VALU_DEP_1)
	v_clz_i32_u32_e32 v4, v8
	v_min_u32_e32 v4, 32, v4
	s_delay_alu instid0(VALU_DEP_1) | instskip(NEXT) | instid1(VALU_DEP_1)
	v_subrev_nc_u32_e32 v5, 28, v4
	v_lshlrev_b64_e32 v[6:7], v5, v[8:9]
	s_delay_alu instid0(VALU_DEP_1)
	v_dual_sub_nc_u32 v4, 29, v4 :: v_dual_bitop2_b32 v8, 7, v6 bitop3:0x40
; %bb.2942:                             ;   in Loop: Header=BB232_2089 Depth=1
	s_or_b32 exec_lo, exec_lo, s20
	s_delay_alu instid0(VALU_DEP_1) | instskip(NEXT) | instid1(VALU_DEP_2)
	v_dual_lshlrev_b32 v3, 24, v3 :: v_dual_lshlrev_b32 v5, 20, v8
	v_lshl_add_u32 v4, v4, 23, 0x3c000000
	s_delay_alu instid0(VALU_DEP_2) | instskip(NEXT) | instid1(VALU_DEP_1)
	v_and_b32_e32 v3, 0x80000000, v3
	v_or3_b32 v8, v5, v3, v4
	v_mov_b32_e32 v3, v9
	s_clause 0x1
	scratch_store_b64 off, v[2:3], s32 offset:192
	scratch_store_b64 off, v[8:9], s32 offset:852
.LBB232_2943:                           ;   in Loop: Header=BB232_2089 Depth=1
	s_wait_xcnt 0x0
	s_or_b32 exec_lo, exec_lo, s19
.LBB232_2944:                           ;   in Loop: Header=BB232_2089 Depth=1
	s_delay_alu instid0(SALU_CYCLE_1)
	s_or_b32 exec_lo, exec_lo, s18
.LBB232_2945:                           ;   in Loop: Header=BB232_2089 Depth=1
	s_delay_alu instid0(SALU_CYCLE_1) | instskip(NEXT) | instid1(SALU_CYCLE_1)
	s_or_b32 exec_lo, exec_lo, s17
	s_mov_b32 s17, exec_lo
	v_cmpx_lt_u32_e32 0xffffff, v2
	s_cbranch_execz .LBB232_2953
; %bb.2946:                             ;   in Loop: Header=BB232_2089 Depth=1
	v_mov_b64_e32 v[4:5], 0x8000000000000000
	v_lshrrev_b32_e32 v3, 24, v2
	s_mov_b32 s18, exec_lo
	scratch_store_b64 off, v[4:5], s32 offset:844 ; 8-byte Folded Spill
	s_wait_xcnt 0x0
	v_cmpx_ne_u32_e32 0x80, v3
	s_cbranch_execz .LBB232_2952
; %bb.2947:                             ;   in Loop: Header=BB232_2089 Depth=1
	v_mov_b64_e32 v[6:7], 0x7f80000100000000
	v_bfe_u32 v4, v2, 24, 7
	s_mov_b32 s19, exec_lo
	scratch_store_b64 off, v[6:7], s32 offset:844 ; 8-byte Folded Spill
	s_wait_xcnt 0x0
	v_cmpx_ne_u32_e32 0x7f, v4
	s_cbranch_execz .LBB232_2951
; %bb.2948:                             ;   in Loop: Header=BB232_2089 Depth=1
	scratch_load_b64 v[6:7], off, s32 offset:192 th:TH_LOAD_LU ; 8-byte Folded Reload
	s_wait_loadcnt 0x0
	v_dual_lshrrev_b32 v2, 3, v4 :: v_dual_bitop2_b32 v6, 7, v3 bitop3:0x40
	s_mov_b32 s20, exec_lo
	s_wait_xcnt 0x0
	v_cmpx_gt_u32_e32 8, v4
; %bb.2949:                             ;   in Loop: Header=BB232_2089 Depth=1
	s_delay_alu instid0(VALU_DEP_2) | instskip(NEXT) | instid1(VALU_DEP_1)
	v_clz_i32_u32_e32 v2, v6
	v_min_u32_e32 v2, 32, v2
	s_delay_alu instid0(VALU_DEP_1) | instskip(NEXT) | instid1(VALU_DEP_1)
	v_subrev_nc_u32_e32 v4, 28, v2
	v_lshlrev_b64_e32 v[4:5], v4, v[6:7]
	s_delay_alu instid0(VALU_DEP_1)
	v_dual_sub_nc_u32 v2, 29, v2 :: v_dual_bitop2_b32 v6, 7, v4 bitop3:0x40
; %bb.2950:                             ;   in Loop: Header=BB232_2089 Depth=1
	s_or_b32 exec_lo, exec_lo, s20
	s_delay_alu instid0(VALU_DEP_1) | instskip(NEXT) | instid1(VALU_DEP_2)
	v_dual_lshlrev_b32 v3, 24, v3 :: v_dual_lshlrev_b32 v4, 20, v6
	v_lshl_add_u32 v2, v2, 23, 0x3c000000
	s_delay_alu instid0(VALU_DEP_2) | instskip(NEXT) | instid1(VALU_DEP_1)
	v_and_b32_e32 v3, 0x80000000, v3
	v_or3_b32 v5, v4, v3, v2
	v_dual_mov_b32 v3, v7 :: v_dual_mov_b32 v4, v7
	s_clause 0x1
	scratch_store_b64 off, v[2:3], s32 offset:192
	scratch_store_b64 off, v[4:5], s32 offset:844
.LBB232_2951:                           ;   in Loop: Header=BB232_2089 Depth=1
	s_wait_xcnt 0x0
	s_or_b32 exec_lo, exec_lo, s19
.LBB232_2952:                           ;   in Loop: Header=BB232_2089 Depth=1
	s_delay_alu instid0(SALU_CYCLE_1)
	s_or_b32 exec_lo, exec_lo, s18
.LBB232_2953:                           ;   in Loop: Header=BB232_2089 Depth=1
	s_delay_alu instid0(SALU_CYCLE_1)
	s_or_b32 exec_lo, exec_lo, s17
	flat_load_b32 v2, v[0:1] offset:3456
	v_mov_b64_e32 v[4:5], 0
	s_mov_b32 s17, exec_lo
	scratch_store_b64 off, v[4:5], s32 offset:860 ; 8-byte Folded Spill
	s_wait_xcnt 0x0
	v_mov_b64_e32 v[4:5], 0
	scratch_store_b64 off, v[4:5], s32 offset:868 ; 8-byte Folded Spill
	s_wait_loadcnt_dscnt 0x0
	v_and_b32_e32 v3, 0xff, v2
	s_wait_xcnt 0x0
	s_delay_alu instid0(VALU_DEP_1)
	v_cmpx_ne_u16_e32 0, v3
	s_cbranch_execz .LBB232_2961
; %bb.2954:                             ;   in Loop: Header=BB232_2089 Depth=1
	v_mov_b64_e32 v[4:5], 0x80000000
	s_mov_b32 s18, exec_lo
	scratch_store_b64 off, v[4:5], s32 offset:868 ; 8-byte Folded Spill
	s_wait_xcnt 0x0
	v_cmpx_ne_u16_e32 0x80, v3
	s_cbranch_execz .LBB232_2960
; %bb.2955:                             ;   in Loop: Header=BB232_2089 Depth=1
	v_mov_b64_e32 v[6:7], 0x7f800001
	v_and_b32_e32 v4, 0x7f, v2
	s_mov_b32 s19, exec_lo
	scratch_store_b64 off, v[6:7], s32 offset:868 ; 8-byte Folded Spill
	s_wait_xcnt 0x0
	v_cmpx_ne_u32_e32 0x7f, v4
	s_cbranch_execz .LBB232_2959
; %bb.2956:                             ;   in Loop: Header=BB232_2089 Depth=1
	scratch_load_b64 v[6:7], off, s32 offset:192 th:TH_LOAD_LU ; 8-byte Folded Reload
	s_wait_loadcnt 0x0
	v_dual_lshrrev_b32 v3, 3, v4 :: v_dual_bitop2_b32 v6, 7, v2 bitop3:0x40
	s_mov_b32 s20, exec_lo
	s_wait_xcnt 0x0
	v_cmpx_gt_u32_e32 8, v4
; %bb.2957:                             ;   in Loop: Header=BB232_2089 Depth=1
	s_delay_alu instid0(VALU_DEP_2) | instskip(NEXT) | instid1(VALU_DEP_1)
	v_clz_i32_u32_e32 v3, v6
	v_min_u32_e32 v3, 32, v3
	s_delay_alu instid0(VALU_DEP_1) | instskip(NEXT) | instid1(VALU_DEP_1)
	v_subrev_nc_u32_e32 v4, 28, v3
	v_lshlrev_b64_e32 v[4:5], v4, v[6:7]
	s_delay_alu instid0(VALU_DEP_1)
	v_dual_sub_nc_u32 v3, 29, v3 :: v_dual_bitop2_b32 v6, 7, v4 bitop3:0x40
; %bb.2958:                             ;   in Loop: Header=BB232_2089 Depth=1
	s_or_b32 exec_lo, exec_lo, s20
	v_lshlrev_b32_e32 v4, 24, v2
	s_delay_alu instid0(VALU_DEP_2) | instskip(NEXT) | instid1(VALU_DEP_3)
	v_lshlrev_b32_e32 v5, 20, v6
	v_lshl_add_u32 v3, v3, 23, 0x3c000000
	s_delay_alu instid0(VALU_DEP_3) | instskip(NEXT) | instid1(VALU_DEP_1)
	v_and_b32_e32 v4, 0x80000000, v4
	v_or3_b32 v6, v5, v4, v3
	v_mov_b32_e32 v3, v7
	s_clause 0x1
	scratch_store_b64 off, v[2:3], s32 offset:192
	scratch_store_b64 off, v[6:7], s32 offset:868
.LBB232_2959:                           ;   in Loop: Header=BB232_2089 Depth=1
	s_wait_xcnt 0x0
	s_or_b32 exec_lo, exec_lo, s19
.LBB232_2960:                           ;   in Loop: Header=BB232_2089 Depth=1
	s_delay_alu instid0(SALU_CYCLE_1)
	s_or_b32 exec_lo, exec_lo, s18
.LBB232_2961:                           ;   in Loop: Header=BB232_2089 Depth=1
	s_delay_alu instid0(SALU_CYCLE_1) | instskip(SKIP_2) | instid1(VALU_DEP_1)
	s_or_b32 exec_lo, exec_lo, s17
	v_lshrrev_b16 v3, 8, v2
	s_mov_b32 s17, exec_lo
	v_cmpx_ne_u16_e32 0, v3
	s_cbranch_execz .LBB232_2969
; %bb.2962:                             ;   in Loop: Header=BB232_2089 Depth=1
	v_mov_b64_e32 v[4:5], 0x8000000000000000
	s_mov_b32 s18, exec_lo
	scratch_store_b64 off, v[4:5], s32 offset:860 ; 8-byte Folded Spill
	s_wait_xcnt 0x0
	v_cmpx_ne_u16_e32 0x80, v3
	s_cbranch_execz .LBB232_2968
; %bb.2963:                             ;   in Loop: Header=BB232_2089 Depth=1
	v_and_b32_e32 v3, 0xffff, v3
	v_mov_b64_e32 v[6:7], 0x7f80000100000000
	s_mov_b32 s19, exec_lo
	s_delay_alu instid0(VALU_DEP_2)
	v_and_b32_e32 v4, 0x7f, v3
	scratch_store_b64 off, v[6:7], s32 offset:860 ; 8-byte Folded Spill
	s_wait_xcnt 0x0
	v_cmpx_ne_u32_e32 0x7f, v4
	s_cbranch_execz .LBB232_2967
; %bb.2964:                             ;   in Loop: Header=BB232_2089 Depth=1
	scratch_load_b64 v[6:7], off, s32 offset:192 th:TH_LOAD_LU ; 8-byte Folded Reload
	s_wait_loadcnt 0x0
	v_dual_lshrrev_b32 v3, 3, v4 :: v_dual_bitop2_b32 v6, 7, v3 bitop3:0x40
	s_mov_b32 s20, exec_lo
	s_wait_xcnt 0x0
	v_cmpx_gt_u32_e32 8, v4
; %bb.2965:                             ;   in Loop: Header=BB232_2089 Depth=1
	s_delay_alu instid0(VALU_DEP_2) | instskip(NEXT) | instid1(VALU_DEP_1)
	v_clz_i32_u32_e32 v3, v6
	v_min_u32_e32 v3, 32, v3
	s_delay_alu instid0(VALU_DEP_1) | instskip(NEXT) | instid1(VALU_DEP_1)
	v_subrev_nc_u32_e32 v4, 28, v3
	v_lshlrev_b64_e32 v[4:5], v4, v[6:7]
	s_delay_alu instid0(VALU_DEP_1)
	v_dual_sub_nc_u32 v3, 29, v3 :: v_dual_bitop2_b32 v6, 7, v4 bitop3:0x40
; %bb.2966:                             ;   in Loop: Header=BB232_2089 Depth=1
	s_or_b32 exec_lo, exec_lo, s20
	v_lshlrev_b32_e32 v4, 16, v2
	s_delay_alu instid0(VALU_DEP_2) | instskip(NEXT) | instid1(VALU_DEP_3)
	v_lshlrev_b32_e32 v5, 20, v6
	v_lshl_add_u32 v3, v3, 23, 0x3c000000
	s_delay_alu instid0(VALU_DEP_3) | instskip(NEXT) | instid1(VALU_DEP_1)
	v_and_b32_e32 v4, 0x80000000, v4
	v_or3_b32 v5, v5, v4, v3
	v_dual_mov_b32 v3, v7 :: v_dual_mov_b32 v4, v7
	s_clause 0x1
	scratch_store_b64 off, v[2:3], s32 offset:192
	scratch_store_b64 off, v[4:5], s32 offset:860
.LBB232_2967:                           ;   in Loop: Header=BB232_2089 Depth=1
	s_wait_xcnt 0x0
	s_or_b32 exec_lo, exec_lo, s19
.LBB232_2968:                           ;   in Loop: Header=BB232_2089 Depth=1
	s_delay_alu instid0(SALU_CYCLE_1)
	s_or_b32 exec_lo, exec_lo, s18
.LBB232_2969:                           ;   in Loop: Header=BB232_2089 Depth=1
	s_delay_alu instid0(SALU_CYCLE_1) | instskip(SKIP_3) | instid1(VALU_DEP_1)
	s_or_b32 exec_lo, exec_lo, s17
	v_mov_b64_e32 v[6:7], 0
	v_lshrrev_b32_e32 v3, 16, v2
	s_mov_b32 s17, exec_lo
	v_and_b32_e32 v4, 0xff, v3
	scratch_store_b64 off, v[6:7], s32 offset:876 ; 8-byte Folded Spill
	s_wait_xcnt 0x0
	v_mov_b64_e32 v[6:7], 0
	scratch_store_b64 off, v[6:7], s32 offset:884 ; 8-byte Folded Spill
	s_wait_xcnt 0x0
	v_cmpx_ne_u16_e32 0, v4
	s_cbranch_execz .LBB232_2977
; %bb.2970:                             ;   in Loop: Header=BB232_2089 Depth=1
	v_cmp_ne_u16_e64 s4, 0x80, v4
	v_mov_b64_e32 v[4:5], 0x80000000
	scratch_store_b64 off, v[4:5], s32 offset:884 ; 8-byte Folded Spill
	s_wait_xcnt 0x0
	s_and_saveexec_b32 s18, s4
	s_cbranch_execz .LBB232_2976
; %bb.2971:                             ;   in Loop: Header=BB232_2089 Depth=1
	v_mov_b64_e32 v[6:7], 0x7f800001
	v_bfe_u32 v5, v2, 16, 7
	s_mov_b32 s19, exec_lo
	scratch_store_b64 off, v[6:7], s32 offset:884 ; 8-byte Folded Spill
	s_wait_xcnt 0x0
	v_cmpx_ne_u32_e32 0x7f, v5
	s_cbranch_execz .LBB232_2975
; %bb.2972:                             ;   in Loop: Header=BB232_2089 Depth=1
	scratch_load_b64 v[8:9], off, s32 offset:192 th:TH_LOAD_LU ; 8-byte Folded Reload
	s_wait_loadcnt 0x0
	v_dual_lshrrev_b32 v4, 3, v5 :: v_dual_bitop2_b32 v8, 7, v3 bitop3:0x40
	s_mov_b32 s20, exec_lo
	s_wait_xcnt 0x0
	v_cmpx_gt_u32_e32 8, v5
; %bb.2973:                             ;   in Loop: Header=BB232_2089 Depth=1
	s_delay_alu instid0(VALU_DEP_2) | instskip(NEXT) | instid1(VALU_DEP_1)
	v_clz_i32_u32_e32 v4, v8
	v_min_u32_e32 v4, 32, v4
	s_delay_alu instid0(VALU_DEP_1) | instskip(NEXT) | instid1(VALU_DEP_1)
	v_subrev_nc_u32_e32 v5, 28, v4
	v_lshlrev_b64_e32 v[6:7], v5, v[8:9]
	s_delay_alu instid0(VALU_DEP_1)
	v_dual_sub_nc_u32 v4, 29, v4 :: v_dual_bitop2_b32 v8, 7, v6 bitop3:0x40
; %bb.2974:                             ;   in Loop: Header=BB232_2089 Depth=1
	s_or_b32 exec_lo, exec_lo, s20
	s_delay_alu instid0(VALU_DEP_1) | instskip(NEXT) | instid1(VALU_DEP_2)
	v_dual_lshlrev_b32 v3, 24, v3 :: v_dual_lshlrev_b32 v5, 20, v8
	v_lshl_add_u32 v4, v4, 23, 0x3c000000
	s_delay_alu instid0(VALU_DEP_2) | instskip(NEXT) | instid1(VALU_DEP_1)
	v_and_b32_e32 v3, 0x80000000, v3
	v_or3_b32 v8, v5, v3, v4
	v_mov_b32_e32 v3, v9
	s_clause 0x1
	scratch_store_b64 off, v[2:3], s32 offset:192
	scratch_store_b64 off, v[8:9], s32 offset:884
.LBB232_2975:                           ;   in Loop: Header=BB232_2089 Depth=1
	s_wait_xcnt 0x0
	s_or_b32 exec_lo, exec_lo, s19
.LBB232_2976:                           ;   in Loop: Header=BB232_2089 Depth=1
	s_delay_alu instid0(SALU_CYCLE_1)
	s_or_b32 exec_lo, exec_lo, s18
.LBB232_2977:                           ;   in Loop: Header=BB232_2089 Depth=1
	s_delay_alu instid0(SALU_CYCLE_1) | instskip(NEXT) | instid1(SALU_CYCLE_1)
	s_or_b32 exec_lo, exec_lo, s17
	s_mov_b32 s17, exec_lo
	v_cmpx_lt_u32_e32 0xffffff, v2
	s_cbranch_execz .LBB232_2985
; %bb.2978:                             ;   in Loop: Header=BB232_2089 Depth=1
	v_mov_b64_e32 v[4:5], 0x8000000000000000
	v_lshrrev_b32_e32 v3, 24, v2
	s_mov_b32 s18, exec_lo
	scratch_store_b64 off, v[4:5], s32 offset:876 ; 8-byte Folded Spill
	s_wait_xcnt 0x0
	v_cmpx_ne_u32_e32 0x80, v3
	s_cbranch_execz .LBB232_2984
; %bb.2979:                             ;   in Loop: Header=BB232_2089 Depth=1
	v_mov_b64_e32 v[6:7], 0x7f80000100000000
	v_bfe_u32 v4, v2, 24, 7
	s_mov_b32 s19, exec_lo
	scratch_store_b64 off, v[6:7], s32 offset:876 ; 8-byte Folded Spill
	s_wait_xcnt 0x0
	v_cmpx_ne_u32_e32 0x7f, v4
	s_cbranch_execz .LBB232_2983
; %bb.2980:                             ;   in Loop: Header=BB232_2089 Depth=1
	scratch_load_b64 v[6:7], off, s32 offset:192 th:TH_LOAD_LU ; 8-byte Folded Reload
	s_wait_loadcnt 0x0
	v_dual_lshrrev_b32 v2, 3, v4 :: v_dual_bitop2_b32 v6, 7, v3 bitop3:0x40
	s_mov_b32 s20, exec_lo
	s_wait_xcnt 0x0
	v_cmpx_gt_u32_e32 8, v4
; %bb.2981:                             ;   in Loop: Header=BB232_2089 Depth=1
	s_delay_alu instid0(VALU_DEP_2) | instskip(NEXT) | instid1(VALU_DEP_1)
	v_clz_i32_u32_e32 v2, v6
	v_min_u32_e32 v2, 32, v2
	s_delay_alu instid0(VALU_DEP_1) | instskip(NEXT) | instid1(VALU_DEP_1)
	v_subrev_nc_u32_e32 v4, 28, v2
	v_lshlrev_b64_e32 v[4:5], v4, v[6:7]
	s_delay_alu instid0(VALU_DEP_1)
	v_dual_sub_nc_u32 v2, 29, v2 :: v_dual_bitop2_b32 v6, 7, v4 bitop3:0x40
; %bb.2982:                             ;   in Loop: Header=BB232_2089 Depth=1
	s_or_b32 exec_lo, exec_lo, s20
	s_delay_alu instid0(VALU_DEP_1) | instskip(NEXT) | instid1(VALU_DEP_2)
	v_dual_lshlrev_b32 v3, 24, v3 :: v_dual_lshlrev_b32 v4, 20, v6
	v_lshl_add_u32 v2, v2, 23, 0x3c000000
	s_delay_alu instid0(VALU_DEP_2) | instskip(NEXT) | instid1(VALU_DEP_1)
	v_and_b32_e32 v3, 0x80000000, v3
	v_or3_b32 v5, v4, v3, v2
	v_dual_mov_b32 v3, v7 :: v_dual_mov_b32 v4, v7
	s_clause 0x1
	scratch_store_b64 off, v[2:3], s32 offset:192
	scratch_store_b64 off, v[4:5], s32 offset:876
.LBB232_2983:                           ;   in Loop: Header=BB232_2089 Depth=1
	s_wait_xcnt 0x0
	s_or_b32 exec_lo, exec_lo, s19
.LBB232_2984:                           ;   in Loop: Header=BB232_2089 Depth=1
	s_delay_alu instid0(SALU_CYCLE_1)
	s_or_b32 exec_lo, exec_lo, s18
.LBB232_2985:                           ;   in Loop: Header=BB232_2089 Depth=1
	s_delay_alu instid0(SALU_CYCLE_1)
	s_or_b32 exec_lo, exec_lo, s17
	flat_load_b32 v2, v[0:1] offset:3584
	v_mov_b64_e32 v[4:5], 0
	s_mov_b32 s17, exec_lo
	scratch_store_b64 off, v[4:5], s32 offset:892 ; 8-byte Folded Spill
	s_wait_xcnt 0x0
	v_mov_b64_e32 v[4:5], 0
	scratch_store_b64 off, v[4:5], s32 offset:900 ; 8-byte Folded Spill
	s_wait_loadcnt_dscnt 0x0
	v_and_b32_e32 v3, 0xff, v2
	s_wait_xcnt 0x0
	s_delay_alu instid0(VALU_DEP_1)
	v_cmpx_ne_u16_e32 0, v3
	s_cbranch_execz .LBB232_2993
; %bb.2986:                             ;   in Loop: Header=BB232_2089 Depth=1
	v_mov_b64_e32 v[4:5], 0x80000000
	s_mov_b32 s18, exec_lo
	scratch_store_b64 off, v[4:5], s32 offset:900 ; 8-byte Folded Spill
	s_wait_xcnt 0x0
	v_cmpx_ne_u16_e32 0x80, v3
	s_cbranch_execz .LBB232_2992
; %bb.2987:                             ;   in Loop: Header=BB232_2089 Depth=1
	v_mov_b64_e32 v[6:7], 0x7f800001
	v_and_b32_e32 v4, 0x7f, v2
	s_mov_b32 s19, exec_lo
	scratch_store_b64 off, v[6:7], s32 offset:900 ; 8-byte Folded Spill
	s_wait_xcnt 0x0
	v_cmpx_ne_u32_e32 0x7f, v4
	s_cbranch_execz .LBB232_2991
; %bb.2988:                             ;   in Loop: Header=BB232_2089 Depth=1
	scratch_load_b64 v[6:7], off, s32 offset:192 th:TH_LOAD_LU ; 8-byte Folded Reload
	s_wait_loadcnt 0x0
	v_dual_lshrrev_b32 v3, 3, v4 :: v_dual_bitop2_b32 v6, 7, v2 bitop3:0x40
	s_mov_b32 s20, exec_lo
	s_wait_xcnt 0x0
	v_cmpx_gt_u32_e32 8, v4
; %bb.2989:                             ;   in Loop: Header=BB232_2089 Depth=1
	s_delay_alu instid0(VALU_DEP_2) | instskip(NEXT) | instid1(VALU_DEP_1)
	v_clz_i32_u32_e32 v3, v6
	v_min_u32_e32 v3, 32, v3
	s_delay_alu instid0(VALU_DEP_1) | instskip(NEXT) | instid1(VALU_DEP_1)
	v_subrev_nc_u32_e32 v4, 28, v3
	v_lshlrev_b64_e32 v[4:5], v4, v[6:7]
	s_delay_alu instid0(VALU_DEP_1)
	v_dual_sub_nc_u32 v3, 29, v3 :: v_dual_bitop2_b32 v6, 7, v4 bitop3:0x40
; %bb.2990:                             ;   in Loop: Header=BB232_2089 Depth=1
	s_or_b32 exec_lo, exec_lo, s20
	v_lshlrev_b32_e32 v4, 24, v2
	s_delay_alu instid0(VALU_DEP_2) | instskip(NEXT) | instid1(VALU_DEP_3)
	v_lshlrev_b32_e32 v5, 20, v6
	v_lshl_add_u32 v3, v3, 23, 0x3c000000
	s_delay_alu instid0(VALU_DEP_3) | instskip(NEXT) | instid1(VALU_DEP_1)
	v_and_b32_e32 v4, 0x80000000, v4
	v_or3_b32 v6, v5, v4, v3
	v_mov_b32_e32 v3, v7
	s_clause 0x1
	scratch_store_b64 off, v[2:3], s32 offset:192
	scratch_store_b64 off, v[6:7], s32 offset:900
.LBB232_2991:                           ;   in Loop: Header=BB232_2089 Depth=1
	s_wait_xcnt 0x0
	s_or_b32 exec_lo, exec_lo, s19
.LBB232_2992:                           ;   in Loop: Header=BB232_2089 Depth=1
	s_delay_alu instid0(SALU_CYCLE_1)
	s_or_b32 exec_lo, exec_lo, s18
.LBB232_2993:                           ;   in Loop: Header=BB232_2089 Depth=1
	s_delay_alu instid0(SALU_CYCLE_1) | instskip(SKIP_2) | instid1(VALU_DEP_1)
	s_or_b32 exec_lo, exec_lo, s17
	v_lshrrev_b16 v3, 8, v2
	s_mov_b32 s17, exec_lo
	v_cmpx_ne_u16_e32 0, v3
	s_cbranch_execz .LBB232_3001
; %bb.2994:                             ;   in Loop: Header=BB232_2089 Depth=1
	v_mov_b64_e32 v[4:5], 0x8000000000000000
	s_mov_b32 s18, exec_lo
	scratch_store_b64 off, v[4:5], s32 offset:892 ; 8-byte Folded Spill
	s_wait_xcnt 0x0
	v_cmpx_ne_u16_e32 0x80, v3
	s_cbranch_execz .LBB232_3000
; %bb.2995:                             ;   in Loop: Header=BB232_2089 Depth=1
	v_and_b32_e32 v3, 0xffff, v3
	v_mov_b64_e32 v[6:7], 0x7f80000100000000
	s_mov_b32 s19, exec_lo
	s_delay_alu instid0(VALU_DEP_2)
	v_and_b32_e32 v4, 0x7f, v3
	scratch_store_b64 off, v[6:7], s32 offset:892 ; 8-byte Folded Spill
	s_wait_xcnt 0x0
	v_cmpx_ne_u32_e32 0x7f, v4
	s_cbranch_execz .LBB232_2999
; %bb.2996:                             ;   in Loop: Header=BB232_2089 Depth=1
	scratch_load_b64 v[6:7], off, s32 offset:192 th:TH_LOAD_LU ; 8-byte Folded Reload
	s_wait_loadcnt 0x0
	v_dual_lshrrev_b32 v3, 3, v4 :: v_dual_bitop2_b32 v6, 7, v3 bitop3:0x40
	s_mov_b32 s20, exec_lo
	s_wait_xcnt 0x0
	v_cmpx_gt_u32_e32 8, v4
; %bb.2997:                             ;   in Loop: Header=BB232_2089 Depth=1
	s_delay_alu instid0(VALU_DEP_2) | instskip(NEXT) | instid1(VALU_DEP_1)
	v_clz_i32_u32_e32 v3, v6
	v_min_u32_e32 v3, 32, v3
	s_delay_alu instid0(VALU_DEP_1) | instskip(NEXT) | instid1(VALU_DEP_1)
	v_subrev_nc_u32_e32 v4, 28, v3
	v_lshlrev_b64_e32 v[4:5], v4, v[6:7]
	s_delay_alu instid0(VALU_DEP_1)
	v_dual_sub_nc_u32 v3, 29, v3 :: v_dual_bitop2_b32 v6, 7, v4 bitop3:0x40
; %bb.2998:                             ;   in Loop: Header=BB232_2089 Depth=1
	s_or_b32 exec_lo, exec_lo, s20
	v_lshlrev_b32_e32 v4, 16, v2
	s_delay_alu instid0(VALU_DEP_2) | instskip(NEXT) | instid1(VALU_DEP_3)
	v_lshlrev_b32_e32 v5, 20, v6
	v_lshl_add_u32 v3, v3, 23, 0x3c000000
	s_delay_alu instid0(VALU_DEP_3) | instskip(NEXT) | instid1(VALU_DEP_1)
	v_and_b32_e32 v4, 0x80000000, v4
	v_or3_b32 v5, v5, v4, v3
	v_dual_mov_b32 v3, v7 :: v_dual_mov_b32 v4, v7
	s_clause 0x1
	scratch_store_b64 off, v[2:3], s32 offset:192
	scratch_store_b64 off, v[4:5], s32 offset:892
.LBB232_2999:                           ;   in Loop: Header=BB232_2089 Depth=1
	s_wait_xcnt 0x0
	s_or_b32 exec_lo, exec_lo, s19
.LBB232_3000:                           ;   in Loop: Header=BB232_2089 Depth=1
	s_delay_alu instid0(SALU_CYCLE_1)
	s_or_b32 exec_lo, exec_lo, s18
.LBB232_3001:                           ;   in Loop: Header=BB232_2089 Depth=1
	s_delay_alu instid0(SALU_CYCLE_1) | instskip(SKIP_3) | instid1(VALU_DEP_1)
	s_or_b32 exec_lo, exec_lo, s17
	v_mov_b64_e32 v[6:7], 0
	v_lshrrev_b32_e32 v3, 16, v2
	s_mov_b32 s17, exec_lo
	v_and_b32_e32 v4, 0xff, v3
	scratch_store_b64 off, v[6:7], s32 offset:908 ; 8-byte Folded Spill
	s_wait_xcnt 0x0
	v_mov_b64_e32 v[6:7], 0
	scratch_store_b64 off, v[6:7], s32 offset:916 ; 8-byte Folded Spill
	s_wait_xcnt 0x0
	v_cmpx_ne_u16_e32 0, v4
	s_cbranch_execz .LBB232_3009
; %bb.3002:                             ;   in Loop: Header=BB232_2089 Depth=1
	v_cmp_ne_u16_e64 s4, 0x80, v4
	v_mov_b64_e32 v[4:5], 0x80000000
	scratch_store_b64 off, v[4:5], s32 offset:916 ; 8-byte Folded Spill
	s_wait_xcnt 0x0
	s_and_saveexec_b32 s18, s4
	s_cbranch_execz .LBB232_3008
; %bb.3003:                             ;   in Loop: Header=BB232_2089 Depth=1
	v_mov_b64_e32 v[6:7], 0x7f800001
	v_bfe_u32 v5, v2, 16, 7
	s_mov_b32 s19, exec_lo
	scratch_store_b64 off, v[6:7], s32 offset:916 ; 8-byte Folded Spill
	s_wait_xcnt 0x0
	v_cmpx_ne_u32_e32 0x7f, v5
	s_cbranch_execz .LBB232_3007
; %bb.3004:                             ;   in Loop: Header=BB232_2089 Depth=1
	scratch_load_b64 v[8:9], off, s32 offset:192 th:TH_LOAD_LU ; 8-byte Folded Reload
	s_wait_loadcnt 0x0
	v_dual_lshrrev_b32 v4, 3, v5 :: v_dual_bitop2_b32 v8, 7, v3 bitop3:0x40
	s_mov_b32 s20, exec_lo
	s_wait_xcnt 0x0
	v_cmpx_gt_u32_e32 8, v5
; %bb.3005:                             ;   in Loop: Header=BB232_2089 Depth=1
	s_delay_alu instid0(VALU_DEP_2) | instskip(NEXT) | instid1(VALU_DEP_1)
	v_clz_i32_u32_e32 v4, v8
	v_min_u32_e32 v4, 32, v4
	s_delay_alu instid0(VALU_DEP_1) | instskip(NEXT) | instid1(VALU_DEP_1)
	v_subrev_nc_u32_e32 v5, 28, v4
	v_lshlrev_b64_e32 v[6:7], v5, v[8:9]
	s_delay_alu instid0(VALU_DEP_1)
	v_dual_sub_nc_u32 v4, 29, v4 :: v_dual_bitop2_b32 v8, 7, v6 bitop3:0x40
; %bb.3006:                             ;   in Loop: Header=BB232_2089 Depth=1
	s_or_b32 exec_lo, exec_lo, s20
	s_delay_alu instid0(VALU_DEP_1) | instskip(NEXT) | instid1(VALU_DEP_2)
	v_dual_lshlrev_b32 v3, 24, v3 :: v_dual_lshlrev_b32 v5, 20, v8
	v_lshl_add_u32 v4, v4, 23, 0x3c000000
	s_delay_alu instid0(VALU_DEP_2) | instskip(NEXT) | instid1(VALU_DEP_1)
	v_and_b32_e32 v3, 0x80000000, v3
	v_or3_b32 v8, v5, v3, v4
	v_mov_b32_e32 v3, v9
	s_clause 0x1
	scratch_store_b64 off, v[2:3], s32 offset:192
	scratch_store_b64 off, v[8:9], s32 offset:916
.LBB232_3007:                           ;   in Loop: Header=BB232_2089 Depth=1
	s_wait_xcnt 0x0
	s_or_b32 exec_lo, exec_lo, s19
.LBB232_3008:                           ;   in Loop: Header=BB232_2089 Depth=1
	s_delay_alu instid0(SALU_CYCLE_1)
	s_or_b32 exec_lo, exec_lo, s18
.LBB232_3009:                           ;   in Loop: Header=BB232_2089 Depth=1
	s_delay_alu instid0(SALU_CYCLE_1) | instskip(NEXT) | instid1(SALU_CYCLE_1)
	s_or_b32 exec_lo, exec_lo, s17
	s_mov_b32 s17, exec_lo
	v_cmpx_lt_u32_e32 0xffffff, v2
	s_cbranch_execz .LBB232_3017
; %bb.3010:                             ;   in Loop: Header=BB232_2089 Depth=1
	v_mov_b64_e32 v[4:5], 0x8000000000000000
	v_lshrrev_b32_e32 v3, 24, v2
	s_mov_b32 s18, exec_lo
	scratch_store_b64 off, v[4:5], s32 offset:908 ; 8-byte Folded Spill
	s_wait_xcnt 0x0
	v_cmpx_ne_u32_e32 0x80, v3
	s_cbranch_execz .LBB232_3016
; %bb.3011:                             ;   in Loop: Header=BB232_2089 Depth=1
	v_mov_b64_e32 v[6:7], 0x7f80000100000000
	v_bfe_u32 v4, v2, 24, 7
	s_mov_b32 s19, exec_lo
	scratch_store_b64 off, v[6:7], s32 offset:908 ; 8-byte Folded Spill
	s_wait_xcnt 0x0
	v_cmpx_ne_u32_e32 0x7f, v4
	s_cbranch_execz .LBB232_3015
; %bb.3012:                             ;   in Loop: Header=BB232_2089 Depth=1
	scratch_load_b64 v[6:7], off, s32 offset:192 th:TH_LOAD_LU ; 8-byte Folded Reload
	s_wait_loadcnt 0x0
	v_dual_lshrrev_b32 v2, 3, v4 :: v_dual_bitop2_b32 v6, 7, v3 bitop3:0x40
	s_mov_b32 s20, exec_lo
	s_wait_xcnt 0x0
	v_cmpx_gt_u32_e32 8, v4
; %bb.3013:                             ;   in Loop: Header=BB232_2089 Depth=1
	s_delay_alu instid0(VALU_DEP_2) | instskip(NEXT) | instid1(VALU_DEP_1)
	v_clz_i32_u32_e32 v2, v6
	v_min_u32_e32 v2, 32, v2
	s_delay_alu instid0(VALU_DEP_1) | instskip(NEXT) | instid1(VALU_DEP_1)
	v_subrev_nc_u32_e32 v4, 28, v2
	v_lshlrev_b64_e32 v[4:5], v4, v[6:7]
	s_delay_alu instid0(VALU_DEP_1)
	v_dual_sub_nc_u32 v2, 29, v2 :: v_dual_bitop2_b32 v6, 7, v4 bitop3:0x40
; %bb.3014:                             ;   in Loop: Header=BB232_2089 Depth=1
	s_or_b32 exec_lo, exec_lo, s20
	s_delay_alu instid0(VALU_DEP_1) | instskip(NEXT) | instid1(VALU_DEP_2)
	v_dual_lshlrev_b32 v3, 24, v3 :: v_dual_lshlrev_b32 v4, 20, v6
	v_lshl_add_u32 v2, v2, 23, 0x3c000000
	s_delay_alu instid0(VALU_DEP_2) | instskip(NEXT) | instid1(VALU_DEP_1)
	v_and_b32_e32 v3, 0x80000000, v3
	v_or3_b32 v5, v4, v3, v2
	v_dual_mov_b32 v3, v7 :: v_dual_mov_b32 v4, v7
	s_clause 0x1
	scratch_store_b64 off, v[2:3], s32 offset:192
	scratch_store_b64 off, v[4:5], s32 offset:908
.LBB232_3015:                           ;   in Loop: Header=BB232_2089 Depth=1
	s_wait_xcnt 0x0
	s_or_b32 exec_lo, exec_lo, s19
.LBB232_3016:                           ;   in Loop: Header=BB232_2089 Depth=1
	s_delay_alu instid0(SALU_CYCLE_1)
	s_or_b32 exec_lo, exec_lo, s18
.LBB232_3017:                           ;   in Loop: Header=BB232_2089 Depth=1
	s_delay_alu instid0(SALU_CYCLE_1)
	s_or_b32 exec_lo, exec_lo, s17
	flat_load_b32 v2, v[0:1] offset:3712
	v_mov_b64_e32 v[4:5], 0
	s_mov_b32 s17, exec_lo
	scratch_store_b64 off, v[4:5], s32 offset:924 ; 8-byte Folded Spill
	s_wait_xcnt 0x0
	v_mov_b64_e32 v[4:5], 0
	scratch_store_b64 off, v[4:5], s32 offset:932 ; 8-byte Folded Spill
	s_wait_loadcnt_dscnt 0x0
	v_and_b32_e32 v3, 0xff, v2
	s_wait_xcnt 0x0
	s_delay_alu instid0(VALU_DEP_1)
	v_cmpx_ne_u16_e32 0, v3
	s_cbranch_execz .LBB232_3025
; %bb.3018:                             ;   in Loop: Header=BB232_2089 Depth=1
	v_mov_b64_e32 v[4:5], 0x80000000
	s_mov_b32 s18, exec_lo
	scratch_store_b64 off, v[4:5], s32 offset:932 ; 8-byte Folded Spill
	s_wait_xcnt 0x0
	v_cmpx_ne_u16_e32 0x80, v3
	s_cbranch_execz .LBB232_3024
; %bb.3019:                             ;   in Loop: Header=BB232_2089 Depth=1
	v_mov_b64_e32 v[6:7], 0x7f800001
	v_and_b32_e32 v4, 0x7f, v2
	s_mov_b32 s19, exec_lo
	scratch_store_b64 off, v[6:7], s32 offset:932 ; 8-byte Folded Spill
	s_wait_xcnt 0x0
	v_cmpx_ne_u32_e32 0x7f, v4
	s_cbranch_execz .LBB232_3023
; %bb.3020:                             ;   in Loop: Header=BB232_2089 Depth=1
	scratch_load_b64 v[6:7], off, s32 offset:192 th:TH_LOAD_LU ; 8-byte Folded Reload
	s_wait_loadcnt 0x0
	v_dual_lshrrev_b32 v3, 3, v4 :: v_dual_bitop2_b32 v6, 7, v2 bitop3:0x40
	s_mov_b32 s20, exec_lo
	s_wait_xcnt 0x0
	v_cmpx_gt_u32_e32 8, v4
; %bb.3021:                             ;   in Loop: Header=BB232_2089 Depth=1
	s_delay_alu instid0(VALU_DEP_2) | instskip(NEXT) | instid1(VALU_DEP_1)
	v_clz_i32_u32_e32 v3, v6
	v_min_u32_e32 v3, 32, v3
	s_delay_alu instid0(VALU_DEP_1) | instskip(NEXT) | instid1(VALU_DEP_1)
	v_subrev_nc_u32_e32 v4, 28, v3
	v_lshlrev_b64_e32 v[4:5], v4, v[6:7]
	s_delay_alu instid0(VALU_DEP_1)
	v_dual_sub_nc_u32 v3, 29, v3 :: v_dual_bitop2_b32 v6, 7, v4 bitop3:0x40
; %bb.3022:                             ;   in Loop: Header=BB232_2089 Depth=1
	s_or_b32 exec_lo, exec_lo, s20
	v_lshlrev_b32_e32 v4, 24, v2
	s_delay_alu instid0(VALU_DEP_2) | instskip(NEXT) | instid1(VALU_DEP_3)
	v_lshlrev_b32_e32 v5, 20, v6
	v_lshl_add_u32 v3, v3, 23, 0x3c000000
	s_delay_alu instid0(VALU_DEP_3) | instskip(NEXT) | instid1(VALU_DEP_1)
	v_and_b32_e32 v4, 0x80000000, v4
	v_or3_b32 v6, v5, v4, v3
	v_mov_b32_e32 v3, v7
	s_clause 0x1
	scratch_store_b64 off, v[2:3], s32 offset:192
	scratch_store_b64 off, v[6:7], s32 offset:932
.LBB232_3023:                           ;   in Loop: Header=BB232_2089 Depth=1
	s_wait_xcnt 0x0
	s_or_b32 exec_lo, exec_lo, s19
.LBB232_3024:                           ;   in Loop: Header=BB232_2089 Depth=1
	s_delay_alu instid0(SALU_CYCLE_1)
	s_or_b32 exec_lo, exec_lo, s18
.LBB232_3025:                           ;   in Loop: Header=BB232_2089 Depth=1
	s_delay_alu instid0(SALU_CYCLE_1) | instskip(SKIP_2) | instid1(VALU_DEP_1)
	s_or_b32 exec_lo, exec_lo, s17
	v_lshrrev_b16 v3, 8, v2
	s_mov_b32 s17, exec_lo
	v_cmpx_ne_u16_e32 0, v3
	s_cbranch_execz .LBB232_3033
; %bb.3026:                             ;   in Loop: Header=BB232_2089 Depth=1
	v_mov_b64_e32 v[4:5], 0x8000000000000000
	s_mov_b32 s18, exec_lo
	scratch_store_b64 off, v[4:5], s32 offset:924 ; 8-byte Folded Spill
	s_wait_xcnt 0x0
	v_cmpx_ne_u16_e32 0x80, v3
	s_cbranch_execz .LBB232_3032
; %bb.3027:                             ;   in Loop: Header=BB232_2089 Depth=1
	v_and_b32_e32 v3, 0xffff, v3
	v_mov_b64_e32 v[6:7], 0x7f80000100000000
	s_mov_b32 s19, exec_lo
	s_delay_alu instid0(VALU_DEP_2)
	v_and_b32_e32 v4, 0x7f, v3
	scratch_store_b64 off, v[6:7], s32 offset:924 ; 8-byte Folded Spill
	s_wait_xcnt 0x0
	v_cmpx_ne_u32_e32 0x7f, v4
	s_cbranch_execz .LBB232_3031
; %bb.3028:                             ;   in Loop: Header=BB232_2089 Depth=1
	scratch_load_b64 v[6:7], off, s32 offset:192 th:TH_LOAD_LU ; 8-byte Folded Reload
	s_wait_loadcnt 0x0
	v_dual_lshrrev_b32 v3, 3, v4 :: v_dual_bitop2_b32 v6, 7, v3 bitop3:0x40
	s_mov_b32 s20, exec_lo
	s_wait_xcnt 0x0
	v_cmpx_gt_u32_e32 8, v4
; %bb.3029:                             ;   in Loop: Header=BB232_2089 Depth=1
	s_delay_alu instid0(VALU_DEP_2) | instskip(NEXT) | instid1(VALU_DEP_1)
	v_clz_i32_u32_e32 v3, v6
	v_min_u32_e32 v3, 32, v3
	s_delay_alu instid0(VALU_DEP_1) | instskip(NEXT) | instid1(VALU_DEP_1)
	v_subrev_nc_u32_e32 v4, 28, v3
	v_lshlrev_b64_e32 v[4:5], v4, v[6:7]
	s_delay_alu instid0(VALU_DEP_1)
	v_dual_sub_nc_u32 v3, 29, v3 :: v_dual_bitop2_b32 v6, 7, v4 bitop3:0x40
; %bb.3030:                             ;   in Loop: Header=BB232_2089 Depth=1
	s_or_b32 exec_lo, exec_lo, s20
	v_lshlrev_b32_e32 v4, 16, v2
	s_delay_alu instid0(VALU_DEP_2) | instskip(NEXT) | instid1(VALU_DEP_3)
	v_lshlrev_b32_e32 v5, 20, v6
	v_lshl_add_u32 v3, v3, 23, 0x3c000000
	s_delay_alu instid0(VALU_DEP_3) | instskip(NEXT) | instid1(VALU_DEP_1)
	v_and_b32_e32 v4, 0x80000000, v4
	v_or3_b32 v5, v5, v4, v3
	v_dual_mov_b32 v3, v7 :: v_dual_mov_b32 v4, v7
	s_clause 0x1
	scratch_store_b64 off, v[2:3], s32 offset:192
	scratch_store_b64 off, v[4:5], s32 offset:924
.LBB232_3031:                           ;   in Loop: Header=BB232_2089 Depth=1
	s_wait_xcnt 0x0
	s_or_b32 exec_lo, exec_lo, s19
.LBB232_3032:                           ;   in Loop: Header=BB232_2089 Depth=1
	s_delay_alu instid0(SALU_CYCLE_1)
	s_or_b32 exec_lo, exec_lo, s18
.LBB232_3033:                           ;   in Loop: Header=BB232_2089 Depth=1
	s_delay_alu instid0(SALU_CYCLE_1) | instskip(SKIP_3) | instid1(VALU_DEP_1)
	s_or_b32 exec_lo, exec_lo, s17
	v_mov_b64_e32 v[6:7], 0
	v_lshrrev_b32_e32 v3, 16, v2
	s_mov_b32 s17, exec_lo
	v_and_b32_e32 v4, 0xff, v3
	scratch_store_b64 off, v[6:7], s32 offset:940 ; 8-byte Folded Spill
	s_wait_xcnt 0x0
	v_mov_b64_e32 v[6:7], 0
	scratch_store_b64 off, v[6:7], s32 offset:948 ; 8-byte Folded Spill
	s_wait_xcnt 0x0
	v_cmpx_ne_u16_e32 0, v4
	s_cbranch_execz .LBB232_3041
; %bb.3034:                             ;   in Loop: Header=BB232_2089 Depth=1
	v_cmp_ne_u16_e64 s4, 0x80, v4
	v_mov_b64_e32 v[4:5], 0x80000000
	scratch_store_b64 off, v[4:5], s32 offset:948 ; 8-byte Folded Spill
	s_wait_xcnt 0x0
	s_and_saveexec_b32 s18, s4
	s_cbranch_execz .LBB232_3040
; %bb.3035:                             ;   in Loop: Header=BB232_2089 Depth=1
	v_mov_b64_e32 v[6:7], 0x7f800001
	v_bfe_u32 v5, v2, 16, 7
	s_mov_b32 s19, exec_lo
	scratch_store_b64 off, v[6:7], s32 offset:948 ; 8-byte Folded Spill
	s_wait_xcnt 0x0
	v_cmpx_ne_u32_e32 0x7f, v5
	s_cbranch_execz .LBB232_3039
; %bb.3036:                             ;   in Loop: Header=BB232_2089 Depth=1
	scratch_load_b64 v[8:9], off, s32 offset:192 th:TH_LOAD_LU ; 8-byte Folded Reload
	s_wait_loadcnt 0x0
	v_dual_lshrrev_b32 v4, 3, v5 :: v_dual_bitop2_b32 v8, 7, v3 bitop3:0x40
	s_mov_b32 s20, exec_lo
	s_wait_xcnt 0x0
	v_cmpx_gt_u32_e32 8, v5
; %bb.3037:                             ;   in Loop: Header=BB232_2089 Depth=1
	s_delay_alu instid0(VALU_DEP_2) | instskip(NEXT) | instid1(VALU_DEP_1)
	v_clz_i32_u32_e32 v4, v8
	v_min_u32_e32 v4, 32, v4
	s_delay_alu instid0(VALU_DEP_1) | instskip(NEXT) | instid1(VALU_DEP_1)
	v_subrev_nc_u32_e32 v5, 28, v4
	v_lshlrev_b64_e32 v[6:7], v5, v[8:9]
	s_delay_alu instid0(VALU_DEP_1)
	v_dual_sub_nc_u32 v4, 29, v4 :: v_dual_bitop2_b32 v8, 7, v6 bitop3:0x40
; %bb.3038:                             ;   in Loop: Header=BB232_2089 Depth=1
	s_or_b32 exec_lo, exec_lo, s20
	s_delay_alu instid0(VALU_DEP_1) | instskip(NEXT) | instid1(VALU_DEP_2)
	v_dual_lshlrev_b32 v3, 24, v3 :: v_dual_lshlrev_b32 v5, 20, v8
	v_lshl_add_u32 v4, v4, 23, 0x3c000000
	s_delay_alu instid0(VALU_DEP_2) | instskip(NEXT) | instid1(VALU_DEP_1)
	v_and_b32_e32 v3, 0x80000000, v3
	v_or3_b32 v8, v5, v3, v4
	v_mov_b32_e32 v3, v9
	s_clause 0x1
	scratch_store_b64 off, v[2:3], s32 offset:192
	scratch_store_b64 off, v[8:9], s32 offset:948
.LBB232_3039:                           ;   in Loop: Header=BB232_2089 Depth=1
	s_wait_xcnt 0x0
	s_or_b32 exec_lo, exec_lo, s19
.LBB232_3040:                           ;   in Loop: Header=BB232_2089 Depth=1
	s_delay_alu instid0(SALU_CYCLE_1)
	s_or_b32 exec_lo, exec_lo, s18
.LBB232_3041:                           ;   in Loop: Header=BB232_2089 Depth=1
	s_delay_alu instid0(SALU_CYCLE_1) | instskip(NEXT) | instid1(SALU_CYCLE_1)
	s_or_b32 exec_lo, exec_lo, s17
	s_mov_b32 s17, exec_lo
	v_cmpx_lt_u32_e32 0xffffff, v2
	s_cbranch_execz .LBB232_3049
; %bb.3042:                             ;   in Loop: Header=BB232_2089 Depth=1
	v_mov_b64_e32 v[4:5], 0x8000000000000000
	v_lshrrev_b32_e32 v3, 24, v2
	s_mov_b32 s18, exec_lo
	scratch_store_b64 off, v[4:5], s32 offset:940 ; 8-byte Folded Spill
	s_wait_xcnt 0x0
	v_cmpx_ne_u32_e32 0x80, v3
	s_cbranch_execz .LBB232_3048
; %bb.3043:                             ;   in Loop: Header=BB232_2089 Depth=1
	v_mov_b64_e32 v[6:7], 0x7f80000100000000
	v_bfe_u32 v4, v2, 24, 7
	s_mov_b32 s19, exec_lo
	scratch_store_b64 off, v[6:7], s32 offset:940 ; 8-byte Folded Spill
	s_wait_xcnt 0x0
	v_cmpx_ne_u32_e32 0x7f, v4
	s_cbranch_execz .LBB232_3047
; %bb.3044:                             ;   in Loop: Header=BB232_2089 Depth=1
	scratch_load_b64 v[6:7], off, s32 offset:192 th:TH_LOAD_LU ; 8-byte Folded Reload
	s_wait_loadcnt 0x0
	v_dual_lshrrev_b32 v2, 3, v4 :: v_dual_bitop2_b32 v6, 7, v3 bitop3:0x40
	s_mov_b32 s20, exec_lo
	s_wait_xcnt 0x0
	v_cmpx_gt_u32_e32 8, v4
; %bb.3045:                             ;   in Loop: Header=BB232_2089 Depth=1
	s_delay_alu instid0(VALU_DEP_2) | instskip(NEXT) | instid1(VALU_DEP_1)
	v_clz_i32_u32_e32 v2, v6
	v_min_u32_e32 v2, 32, v2
	s_delay_alu instid0(VALU_DEP_1) | instskip(NEXT) | instid1(VALU_DEP_1)
	v_subrev_nc_u32_e32 v4, 28, v2
	v_lshlrev_b64_e32 v[4:5], v4, v[6:7]
	s_delay_alu instid0(VALU_DEP_1)
	v_dual_sub_nc_u32 v2, 29, v2 :: v_dual_bitop2_b32 v6, 7, v4 bitop3:0x40
; %bb.3046:                             ;   in Loop: Header=BB232_2089 Depth=1
	s_or_b32 exec_lo, exec_lo, s20
	s_delay_alu instid0(VALU_DEP_1) | instskip(NEXT) | instid1(VALU_DEP_2)
	v_dual_lshlrev_b32 v3, 24, v3 :: v_dual_lshlrev_b32 v4, 20, v6
	v_lshl_add_u32 v2, v2, 23, 0x3c000000
	s_delay_alu instid0(VALU_DEP_2) | instskip(NEXT) | instid1(VALU_DEP_1)
	v_and_b32_e32 v3, 0x80000000, v3
	v_or3_b32 v5, v4, v3, v2
	v_dual_mov_b32 v3, v7 :: v_dual_mov_b32 v4, v7
	s_clause 0x1
	scratch_store_b64 off, v[2:3], s32 offset:192
	scratch_store_b64 off, v[4:5], s32 offset:940
.LBB232_3047:                           ;   in Loop: Header=BB232_2089 Depth=1
	s_wait_xcnt 0x0
	s_or_b32 exec_lo, exec_lo, s19
.LBB232_3048:                           ;   in Loop: Header=BB232_2089 Depth=1
	s_delay_alu instid0(SALU_CYCLE_1)
	s_or_b32 exec_lo, exec_lo, s18
.LBB232_3049:                           ;   in Loop: Header=BB232_2089 Depth=1
	s_delay_alu instid0(SALU_CYCLE_1)
	s_or_b32 exec_lo, exec_lo, s17
	flat_load_b32 v2, v[0:1] offset:3840
	v_mov_b64_e32 v[4:5], 0
	s_mov_b32 s17, exec_lo
	scratch_store_b64 off, v[4:5], s32 offset:956 ; 8-byte Folded Spill
	s_wait_xcnt 0x0
	v_mov_b64_e32 v[4:5], 0
	scratch_store_b64 off, v[4:5], s32 offset:964 ; 8-byte Folded Spill
	s_wait_loadcnt_dscnt 0x0
	v_and_b32_e32 v3, 0xff, v2
	s_wait_xcnt 0x0
	s_delay_alu instid0(VALU_DEP_1)
	v_cmpx_ne_u16_e32 0, v3
	s_cbranch_execz .LBB232_3057
; %bb.3050:                             ;   in Loop: Header=BB232_2089 Depth=1
	v_mov_b64_e32 v[4:5], 0x80000000
	s_mov_b32 s18, exec_lo
	scratch_store_b64 off, v[4:5], s32 offset:964 ; 8-byte Folded Spill
	s_wait_xcnt 0x0
	v_cmpx_ne_u16_e32 0x80, v3
	s_cbranch_execz .LBB232_3056
; %bb.3051:                             ;   in Loop: Header=BB232_2089 Depth=1
	v_mov_b64_e32 v[6:7], 0x7f800001
	v_and_b32_e32 v4, 0x7f, v2
	s_mov_b32 s19, exec_lo
	scratch_store_b64 off, v[6:7], s32 offset:964 ; 8-byte Folded Spill
	s_wait_xcnt 0x0
	v_cmpx_ne_u32_e32 0x7f, v4
	s_cbranch_execz .LBB232_3055
; %bb.3052:                             ;   in Loop: Header=BB232_2089 Depth=1
	scratch_load_b64 v[6:7], off, s32 offset:192 th:TH_LOAD_LU ; 8-byte Folded Reload
	s_wait_loadcnt 0x0
	v_dual_lshrrev_b32 v3, 3, v4 :: v_dual_bitop2_b32 v6, 7, v2 bitop3:0x40
	s_mov_b32 s20, exec_lo
	s_wait_xcnt 0x0
	v_cmpx_gt_u32_e32 8, v4
; %bb.3053:                             ;   in Loop: Header=BB232_2089 Depth=1
	s_delay_alu instid0(VALU_DEP_2) | instskip(NEXT) | instid1(VALU_DEP_1)
	v_clz_i32_u32_e32 v3, v6
	v_min_u32_e32 v3, 32, v3
	s_delay_alu instid0(VALU_DEP_1) | instskip(NEXT) | instid1(VALU_DEP_1)
	v_subrev_nc_u32_e32 v4, 28, v3
	v_lshlrev_b64_e32 v[4:5], v4, v[6:7]
	s_delay_alu instid0(VALU_DEP_1)
	v_dual_sub_nc_u32 v3, 29, v3 :: v_dual_bitop2_b32 v6, 7, v4 bitop3:0x40
; %bb.3054:                             ;   in Loop: Header=BB232_2089 Depth=1
	s_or_b32 exec_lo, exec_lo, s20
	v_lshlrev_b32_e32 v4, 24, v2
	s_delay_alu instid0(VALU_DEP_2) | instskip(NEXT) | instid1(VALU_DEP_3)
	v_lshlrev_b32_e32 v5, 20, v6
	v_lshl_add_u32 v3, v3, 23, 0x3c000000
	s_delay_alu instid0(VALU_DEP_3) | instskip(NEXT) | instid1(VALU_DEP_1)
	v_and_b32_e32 v4, 0x80000000, v4
	v_or3_b32 v6, v5, v4, v3
	v_mov_b32_e32 v3, v7
	s_clause 0x1
	scratch_store_b64 off, v[2:3], s32 offset:192
	scratch_store_b64 off, v[6:7], s32 offset:964
.LBB232_3055:                           ;   in Loop: Header=BB232_2089 Depth=1
	s_wait_xcnt 0x0
	s_or_b32 exec_lo, exec_lo, s19
.LBB232_3056:                           ;   in Loop: Header=BB232_2089 Depth=1
	s_delay_alu instid0(SALU_CYCLE_1)
	s_or_b32 exec_lo, exec_lo, s18
.LBB232_3057:                           ;   in Loop: Header=BB232_2089 Depth=1
	s_delay_alu instid0(SALU_CYCLE_1) | instskip(SKIP_2) | instid1(VALU_DEP_1)
	s_or_b32 exec_lo, exec_lo, s17
	v_lshrrev_b16 v3, 8, v2
	s_mov_b32 s17, exec_lo
	v_cmpx_ne_u16_e32 0, v3
	s_cbranch_execz .LBB232_3065
; %bb.3058:                             ;   in Loop: Header=BB232_2089 Depth=1
	v_mov_b64_e32 v[4:5], 0x8000000000000000
	s_mov_b32 s18, exec_lo
	scratch_store_b64 off, v[4:5], s32 offset:956 ; 8-byte Folded Spill
	s_wait_xcnt 0x0
	v_cmpx_ne_u16_e32 0x80, v3
	s_cbranch_execz .LBB232_3064
; %bb.3059:                             ;   in Loop: Header=BB232_2089 Depth=1
	v_and_b32_e32 v3, 0xffff, v3
	v_mov_b64_e32 v[6:7], 0x7f80000100000000
	s_mov_b32 s19, exec_lo
	s_delay_alu instid0(VALU_DEP_2)
	v_and_b32_e32 v4, 0x7f, v3
	scratch_store_b64 off, v[6:7], s32 offset:956 ; 8-byte Folded Spill
	s_wait_xcnt 0x0
	v_cmpx_ne_u32_e32 0x7f, v4
	s_cbranch_execz .LBB232_3063
; %bb.3060:                             ;   in Loop: Header=BB232_2089 Depth=1
	scratch_load_b64 v[6:7], off, s32 offset:192 th:TH_LOAD_LU ; 8-byte Folded Reload
	s_wait_loadcnt 0x0
	v_dual_lshrrev_b32 v3, 3, v4 :: v_dual_bitop2_b32 v6, 7, v3 bitop3:0x40
	s_mov_b32 s20, exec_lo
	s_wait_xcnt 0x0
	v_cmpx_gt_u32_e32 8, v4
; %bb.3061:                             ;   in Loop: Header=BB232_2089 Depth=1
	s_delay_alu instid0(VALU_DEP_2) | instskip(NEXT) | instid1(VALU_DEP_1)
	v_clz_i32_u32_e32 v3, v6
	v_min_u32_e32 v3, 32, v3
	s_delay_alu instid0(VALU_DEP_1) | instskip(NEXT) | instid1(VALU_DEP_1)
	v_subrev_nc_u32_e32 v4, 28, v3
	v_lshlrev_b64_e32 v[4:5], v4, v[6:7]
	s_delay_alu instid0(VALU_DEP_1)
	v_dual_sub_nc_u32 v3, 29, v3 :: v_dual_bitop2_b32 v6, 7, v4 bitop3:0x40
; %bb.3062:                             ;   in Loop: Header=BB232_2089 Depth=1
	s_or_b32 exec_lo, exec_lo, s20
	v_lshlrev_b32_e32 v4, 16, v2
	s_delay_alu instid0(VALU_DEP_2) | instskip(NEXT) | instid1(VALU_DEP_3)
	v_lshlrev_b32_e32 v5, 20, v6
	v_lshl_add_u32 v3, v3, 23, 0x3c000000
	s_delay_alu instid0(VALU_DEP_3) | instskip(NEXT) | instid1(VALU_DEP_1)
	v_and_b32_e32 v4, 0x80000000, v4
	v_or3_b32 v5, v5, v4, v3
	v_dual_mov_b32 v3, v7 :: v_dual_mov_b32 v4, v7
	s_clause 0x1
	scratch_store_b64 off, v[2:3], s32 offset:192
	scratch_store_b64 off, v[4:5], s32 offset:956
.LBB232_3063:                           ;   in Loop: Header=BB232_2089 Depth=1
	s_wait_xcnt 0x0
	s_or_b32 exec_lo, exec_lo, s19
.LBB232_3064:                           ;   in Loop: Header=BB232_2089 Depth=1
	s_delay_alu instid0(SALU_CYCLE_1)
	s_or_b32 exec_lo, exec_lo, s18
.LBB232_3065:                           ;   in Loop: Header=BB232_2089 Depth=1
	s_delay_alu instid0(SALU_CYCLE_1) | instskip(SKIP_3) | instid1(VALU_DEP_1)
	s_or_b32 exec_lo, exec_lo, s17
	v_mov_b64_e32 v[6:7], 0
	v_lshrrev_b32_e32 v3, 16, v2
	s_mov_b32 s17, exec_lo
	v_and_b32_e32 v4, 0xff, v3
	scratch_store_b64 off, v[6:7], s32 offset:972 ; 8-byte Folded Spill
	s_wait_xcnt 0x0
	v_mov_b64_e32 v[6:7], 0
	scratch_store_b64 off, v[6:7], s32 offset:980 ; 8-byte Folded Spill
	s_wait_xcnt 0x0
	v_cmpx_ne_u16_e32 0, v4
	s_cbranch_execz .LBB232_3073
; %bb.3066:                             ;   in Loop: Header=BB232_2089 Depth=1
	v_cmp_ne_u16_e64 s4, 0x80, v4
	v_mov_b64_e32 v[4:5], 0x80000000
	scratch_store_b64 off, v[4:5], s32 offset:980 ; 8-byte Folded Spill
	s_wait_xcnt 0x0
	s_and_saveexec_b32 s18, s4
	s_cbranch_execz .LBB232_3072
; %bb.3067:                             ;   in Loop: Header=BB232_2089 Depth=1
	v_mov_b64_e32 v[6:7], 0x7f800001
	v_bfe_u32 v5, v2, 16, 7
	s_mov_b32 s19, exec_lo
	scratch_store_b64 off, v[6:7], s32 offset:980 ; 8-byte Folded Spill
	s_wait_xcnt 0x0
	v_cmpx_ne_u32_e32 0x7f, v5
	s_cbranch_execz .LBB232_3071
; %bb.3068:                             ;   in Loop: Header=BB232_2089 Depth=1
	scratch_load_b64 v[8:9], off, s32 offset:192 th:TH_LOAD_LU ; 8-byte Folded Reload
	s_wait_loadcnt 0x0
	v_dual_lshrrev_b32 v4, 3, v5 :: v_dual_bitop2_b32 v8, 7, v3 bitop3:0x40
	s_mov_b32 s20, exec_lo
	s_wait_xcnt 0x0
	v_cmpx_gt_u32_e32 8, v5
; %bb.3069:                             ;   in Loop: Header=BB232_2089 Depth=1
	s_delay_alu instid0(VALU_DEP_2) | instskip(NEXT) | instid1(VALU_DEP_1)
	v_clz_i32_u32_e32 v4, v8
	v_min_u32_e32 v4, 32, v4
	s_delay_alu instid0(VALU_DEP_1) | instskip(NEXT) | instid1(VALU_DEP_1)
	v_subrev_nc_u32_e32 v5, 28, v4
	v_lshlrev_b64_e32 v[6:7], v5, v[8:9]
	s_delay_alu instid0(VALU_DEP_1)
	v_dual_sub_nc_u32 v4, 29, v4 :: v_dual_bitop2_b32 v8, 7, v6 bitop3:0x40
; %bb.3070:                             ;   in Loop: Header=BB232_2089 Depth=1
	s_or_b32 exec_lo, exec_lo, s20
	s_delay_alu instid0(VALU_DEP_1) | instskip(NEXT) | instid1(VALU_DEP_2)
	v_dual_lshlrev_b32 v3, 24, v3 :: v_dual_lshlrev_b32 v5, 20, v8
	v_lshl_add_u32 v4, v4, 23, 0x3c000000
	s_delay_alu instid0(VALU_DEP_2) | instskip(NEXT) | instid1(VALU_DEP_1)
	v_and_b32_e32 v3, 0x80000000, v3
	v_or3_b32 v8, v5, v3, v4
	v_mov_b32_e32 v3, v9
	s_clause 0x1
	scratch_store_b64 off, v[2:3], s32 offset:192
	scratch_store_b64 off, v[8:9], s32 offset:980
.LBB232_3071:                           ;   in Loop: Header=BB232_2089 Depth=1
	s_wait_xcnt 0x0
	s_or_b32 exec_lo, exec_lo, s19
.LBB232_3072:                           ;   in Loop: Header=BB232_2089 Depth=1
	s_delay_alu instid0(SALU_CYCLE_1)
	s_or_b32 exec_lo, exec_lo, s18
.LBB232_3073:                           ;   in Loop: Header=BB232_2089 Depth=1
	s_delay_alu instid0(SALU_CYCLE_1) | instskip(NEXT) | instid1(SALU_CYCLE_1)
	s_or_b32 exec_lo, exec_lo, s17
	s_mov_b32 s17, exec_lo
	v_cmpx_lt_u32_e32 0xffffff, v2
	s_cbranch_execz .LBB232_3081
; %bb.3074:                             ;   in Loop: Header=BB232_2089 Depth=1
	v_mov_b64_e32 v[4:5], 0x8000000000000000
	v_lshrrev_b32_e32 v3, 24, v2
	s_mov_b32 s18, exec_lo
	scratch_store_b64 off, v[4:5], s32 offset:972 ; 8-byte Folded Spill
	s_wait_xcnt 0x0
	v_cmpx_ne_u32_e32 0x80, v3
	s_cbranch_execz .LBB232_3080
; %bb.3075:                             ;   in Loop: Header=BB232_2089 Depth=1
	v_mov_b64_e32 v[6:7], 0x7f80000100000000
	v_bfe_u32 v4, v2, 24, 7
	s_mov_b32 s19, exec_lo
	scratch_store_b64 off, v[6:7], s32 offset:972 ; 8-byte Folded Spill
	s_wait_xcnt 0x0
	v_cmpx_ne_u32_e32 0x7f, v4
	s_cbranch_execz .LBB232_3079
; %bb.3076:                             ;   in Loop: Header=BB232_2089 Depth=1
	scratch_load_b64 v[6:7], off, s32 offset:192 th:TH_LOAD_LU ; 8-byte Folded Reload
	s_wait_loadcnt 0x0
	v_dual_lshrrev_b32 v2, 3, v4 :: v_dual_bitop2_b32 v6, 7, v3 bitop3:0x40
	s_mov_b32 s20, exec_lo
	s_wait_xcnt 0x0
	v_cmpx_gt_u32_e32 8, v4
; %bb.3077:                             ;   in Loop: Header=BB232_2089 Depth=1
	s_delay_alu instid0(VALU_DEP_2) | instskip(NEXT) | instid1(VALU_DEP_1)
	v_clz_i32_u32_e32 v2, v6
	v_min_u32_e32 v2, 32, v2
	s_delay_alu instid0(VALU_DEP_1) | instskip(NEXT) | instid1(VALU_DEP_1)
	v_subrev_nc_u32_e32 v4, 28, v2
	v_lshlrev_b64_e32 v[4:5], v4, v[6:7]
	s_delay_alu instid0(VALU_DEP_1)
	v_dual_sub_nc_u32 v2, 29, v2 :: v_dual_bitop2_b32 v6, 7, v4 bitop3:0x40
; %bb.3078:                             ;   in Loop: Header=BB232_2089 Depth=1
	s_or_b32 exec_lo, exec_lo, s20
	s_delay_alu instid0(VALU_DEP_1) | instskip(NEXT) | instid1(VALU_DEP_2)
	v_dual_lshlrev_b32 v3, 24, v3 :: v_dual_lshlrev_b32 v4, 20, v6
	v_lshl_add_u32 v2, v2, 23, 0x3c000000
	s_delay_alu instid0(VALU_DEP_2) | instskip(NEXT) | instid1(VALU_DEP_1)
	v_and_b32_e32 v3, 0x80000000, v3
	v_or3_b32 v5, v4, v3, v2
	v_dual_mov_b32 v3, v7 :: v_dual_mov_b32 v4, v7
	s_clause 0x1
	scratch_store_b64 off, v[2:3], s32 offset:192
	scratch_store_b64 off, v[4:5], s32 offset:972
.LBB232_3079:                           ;   in Loop: Header=BB232_2089 Depth=1
	s_wait_xcnt 0x0
	s_or_b32 exec_lo, exec_lo, s19
.LBB232_3080:                           ;   in Loop: Header=BB232_2089 Depth=1
	s_delay_alu instid0(SALU_CYCLE_1)
	s_or_b32 exec_lo, exec_lo, s18
.LBB232_3081:                           ;   in Loop: Header=BB232_2089 Depth=1
	s_delay_alu instid0(SALU_CYCLE_1)
	s_or_b32 exec_lo, exec_lo, s17
	s_clause 0x1
	scratch_load_b64 v[2:3], off, s32 offset:2468
	scratch_load_b64 v[4:5], off, s32 offset:200
	s_mov_b32 s17, exec_lo
	s_wait_loadcnt 0x0
	v_add_nc_u64_e32 v[2:3], v[4:5], v[2:3]
	v_mov_b64_e32 v[4:5], 0
	flat_load_b32 v2, v[2:3]
	scratch_store_b64 off, v[4:5], s32 offset:988 ; 8-byte Folded Spill
	s_wait_xcnt 0x0
	v_mov_b64_e32 v[4:5], 0
	scratch_store_b64 off, v[4:5], s32 offset:996 ; 8-byte Folded Spill
	s_wait_loadcnt_dscnt 0x0
	v_and_b32_e32 v3, 0xff, v2
	s_wait_xcnt 0x0
	s_delay_alu instid0(VALU_DEP_1)
	v_cmpx_ne_u16_e32 0, v3
	s_cbranch_execz .LBB232_3089
; %bb.3082:                             ;   in Loop: Header=BB232_2089 Depth=1
	v_mov_b64_e32 v[4:5], 0x80000000
	s_mov_b32 s18, exec_lo
	scratch_store_b64 off, v[4:5], s32 offset:996 ; 8-byte Folded Spill
	s_wait_xcnt 0x0
	v_cmpx_ne_u16_e32 0x80, v3
	s_cbranch_execz .LBB232_3088
; %bb.3083:                             ;   in Loop: Header=BB232_2089 Depth=1
	v_mov_b64_e32 v[6:7], 0x7f800001
	v_and_b32_e32 v4, 0x7f, v2
	s_mov_b32 s19, exec_lo
	scratch_store_b64 off, v[6:7], s32 offset:996 ; 8-byte Folded Spill
	s_wait_xcnt 0x0
	v_cmpx_ne_u32_e32 0x7f, v4
	s_cbranch_execz .LBB232_3087
; %bb.3084:                             ;   in Loop: Header=BB232_2089 Depth=1
	scratch_load_b64 v[6:7], off, s32 offset:192 th:TH_LOAD_LU ; 8-byte Folded Reload
	s_wait_loadcnt 0x0
	v_dual_lshrrev_b32 v3, 3, v4 :: v_dual_bitop2_b32 v6, 7, v2 bitop3:0x40
	s_mov_b32 s20, exec_lo
	s_wait_xcnt 0x0
	v_cmpx_gt_u32_e32 8, v4
; %bb.3085:                             ;   in Loop: Header=BB232_2089 Depth=1
	s_delay_alu instid0(VALU_DEP_2) | instskip(NEXT) | instid1(VALU_DEP_1)
	v_clz_i32_u32_e32 v3, v6
	v_min_u32_e32 v3, 32, v3
	s_delay_alu instid0(VALU_DEP_1) | instskip(NEXT) | instid1(VALU_DEP_1)
	v_subrev_nc_u32_e32 v4, 28, v3
	v_lshlrev_b64_e32 v[4:5], v4, v[6:7]
	s_delay_alu instid0(VALU_DEP_1)
	v_dual_sub_nc_u32 v3, 29, v3 :: v_dual_bitop2_b32 v6, 7, v4 bitop3:0x40
; %bb.3086:                             ;   in Loop: Header=BB232_2089 Depth=1
	s_or_b32 exec_lo, exec_lo, s20
	v_lshlrev_b32_e32 v4, 24, v2
	s_delay_alu instid0(VALU_DEP_2) | instskip(NEXT) | instid1(VALU_DEP_3)
	v_lshlrev_b32_e32 v5, 20, v6
	v_lshl_add_u32 v3, v3, 23, 0x3c000000
	s_delay_alu instid0(VALU_DEP_3) | instskip(NEXT) | instid1(VALU_DEP_1)
	v_and_b32_e32 v4, 0x80000000, v4
	v_or3_b32 v6, v5, v4, v3
	v_mov_b32_e32 v3, v7
	s_clause 0x1
	scratch_store_b64 off, v[2:3], s32 offset:192
	scratch_store_b64 off, v[6:7], s32 offset:996
.LBB232_3087:                           ;   in Loop: Header=BB232_2089 Depth=1
	s_wait_xcnt 0x0
	s_or_b32 exec_lo, exec_lo, s19
.LBB232_3088:                           ;   in Loop: Header=BB232_2089 Depth=1
	s_delay_alu instid0(SALU_CYCLE_1)
	s_or_b32 exec_lo, exec_lo, s18
.LBB232_3089:                           ;   in Loop: Header=BB232_2089 Depth=1
	s_delay_alu instid0(SALU_CYCLE_1) | instskip(SKIP_2) | instid1(VALU_DEP_1)
	s_or_b32 exec_lo, exec_lo, s17
	v_lshrrev_b16 v3, 8, v2
	s_mov_b32 s17, exec_lo
	v_cmpx_ne_u16_e32 0, v3
	s_cbranch_execz .LBB232_3097
; %bb.3090:                             ;   in Loop: Header=BB232_2089 Depth=1
	v_mov_b64_e32 v[4:5], 0x8000000000000000
	s_mov_b32 s18, exec_lo
	scratch_store_b64 off, v[4:5], s32 offset:988 ; 8-byte Folded Spill
	s_wait_xcnt 0x0
	v_cmpx_ne_u16_e32 0x80, v3
	s_cbranch_execz .LBB232_3096
; %bb.3091:                             ;   in Loop: Header=BB232_2089 Depth=1
	v_and_b32_e32 v3, 0xffff, v3
	v_mov_b64_e32 v[6:7], 0x7f80000100000000
	s_mov_b32 s19, exec_lo
	s_delay_alu instid0(VALU_DEP_2)
	v_and_b32_e32 v4, 0x7f, v3
	scratch_store_b64 off, v[6:7], s32 offset:988 ; 8-byte Folded Spill
	s_wait_xcnt 0x0
	v_cmpx_ne_u32_e32 0x7f, v4
	s_cbranch_execz .LBB232_3095
; %bb.3092:                             ;   in Loop: Header=BB232_2089 Depth=1
	scratch_load_b64 v[6:7], off, s32 offset:192 th:TH_LOAD_LU ; 8-byte Folded Reload
	s_wait_loadcnt 0x0
	v_dual_lshrrev_b32 v3, 3, v4 :: v_dual_bitop2_b32 v6, 7, v3 bitop3:0x40
	s_mov_b32 s20, exec_lo
	s_wait_xcnt 0x0
	v_cmpx_gt_u32_e32 8, v4
; %bb.3093:                             ;   in Loop: Header=BB232_2089 Depth=1
	s_delay_alu instid0(VALU_DEP_2) | instskip(NEXT) | instid1(VALU_DEP_1)
	v_clz_i32_u32_e32 v3, v6
	v_min_u32_e32 v3, 32, v3
	s_delay_alu instid0(VALU_DEP_1) | instskip(NEXT) | instid1(VALU_DEP_1)
	v_subrev_nc_u32_e32 v4, 28, v3
	v_lshlrev_b64_e32 v[4:5], v4, v[6:7]
	s_delay_alu instid0(VALU_DEP_1)
	v_dual_sub_nc_u32 v3, 29, v3 :: v_dual_bitop2_b32 v6, 7, v4 bitop3:0x40
; %bb.3094:                             ;   in Loop: Header=BB232_2089 Depth=1
	s_or_b32 exec_lo, exec_lo, s20
	v_lshlrev_b32_e32 v4, 16, v2
	s_delay_alu instid0(VALU_DEP_2) | instskip(NEXT) | instid1(VALU_DEP_3)
	v_lshlrev_b32_e32 v5, 20, v6
	v_lshl_add_u32 v3, v3, 23, 0x3c000000
	s_delay_alu instid0(VALU_DEP_3) | instskip(NEXT) | instid1(VALU_DEP_1)
	v_and_b32_e32 v4, 0x80000000, v4
	v_or3_b32 v5, v5, v4, v3
	v_dual_mov_b32 v3, v7 :: v_dual_mov_b32 v4, v7
	s_clause 0x1
	scratch_store_b64 off, v[2:3], s32 offset:192
	scratch_store_b64 off, v[4:5], s32 offset:988
.LBB232_3095:                           ;   in Loop: Header=BB232_2089 Depth=1
	s_wait_xcnt 0x0
	s_or_b32 exec_lo, exec_lo, s19
.LBB232_3096:                           ;   in Loop: Header=BB232_2089 Depth=1
	s_delay_alu instid0(SALU_CYCLE_1)
	s_or_b32 exec_lo, exec_lo, s18
.LBB232_3097:                           ;   in Loop: Header=BB232_2089 Depth=1
	s_delay_alu instid0(SALU_CYCLE_1) | instskip(SKIP_3) | instid1(VALU_DEP_1)
	s_or_b32 exec_lo, exec_lo, s17
	v_mov_b64_e32 v[6:7], 0
	v_lshrrev_b32_e32 v3, 16, v2
	s_mov_b32 s17, exec_lo
	v_and_b32_e32 v4, 0xff, v3
	scratch_store_b64 off, v[6:7], s32 offset:1004 ; 8-byte Folded Spill
	s_wait_xcnt 0x0
	v_mov_b64_e32 v[6:7], 0
	scratch_store_b64 off, v[6:7], s32 offset:1012 ; 8-byte Folded Spill
	s_wait_xcnt 0x0
	v_cmpx_ne_u16_e32 0, v4
	s_cbranch_execz .LBB232_3105
; %bb.3098:                             ;   in Loop: Header=BB232_2089 Depth=1
	v_cmp_ne_u16_e64 s4, 0x80, v4
	v_mov_b64_e32 v[4:5], 0x80000000
	scratch_store_b64 off, v[4:5], s32 offset:1012 ; 8-byte Folded Spill
	s_wait_xcnt 0x0
	s_and_saveexec_b32 s18, s4
	s_cbranch_execz .LBB232_3104
; %bb.3099:                             ;   in Loop: Header=BB232_2089 Depth=1
	v_mov_b64_e32 v[6:7], 0x7f800001
	v_bfe_u32 v5, v2, 16, 7
	s_mov_b32 s19, exec_lo
	scratch_store_b64 off, v[6:7], s32 offset:1012 ; 8-byte Folded Spill
	s_wait_xcnt 0x0
	v_cmpx_ne_u32_e32 0x7f, v5
	s_cbranch_execz .LBB232_3103
; %bb.3100:                             ;   in Loop: Header=BB232_2089 Depth=1
	scratch_load_b64 v[8:9], off, s32 offset:192 th:TH_LOAD_LU ; 8-byte Folded Reload
	s_wait_loadcnt 0x0
	v_dual_lshrrev_b32 v4, 3, v5 :: v_dual_bitop2_b32 v8, 7, v3 bitop3:0x40
	s_mov_b32 s20, exec_lo
	s_wait_xcnt 0x0
	v_cmpx_gt_u32_e32 8, v5
; %bb.3101:                             ;   in Loop: Header=BB232_2089 Depth=1
	s_delay_alu instid0(VALU_DEP_2) | instskip(NEXT) | instid1(VALU_DEP_1)
	v_clz_i32_u32_e32 v4, v8
	v_min_u32_e32 v4, 32, v4
	s_delay_alu instid0(VALU_DEP_1) | instskip(NEXT) | instid1(VALU_DEP_1)
	v_subrev_nc_u32_e32 v5, 28, v4
	v_lshlrev_b64_e32 v[6:7], v5, v[8:9]
	s_delay_alu instid0(VALU_DEP_1)
	v_dual_sub_nc_u32 v4, 29, v4 :: v_dual_bitop2_b32 v8, 7, v6 bitop3:0x40
; %bb.3102:                             ;   in Loop: Header=BB232_2089 Depth=1
	s_or_b32 exec_lo, exec_lo, s20
	s_delay_alu instid0(VALU_DEP_1) | instskip(NEXT) | instid1(VALU_DEP_2)
	v_dual_lshlrev_b32 v3, 24, v3 :: v_dual_lshlrev_b32 v5, 20, v8
	v_lshl_add_u32 v4, v4, 23, 0x3c000000
	s_delay_alu instid0(VALU_DEP_2) | instskip(NEXT) | instid1(VALU_DEP_1)
	v_and_b32_e32 v3, 0x80000000, v3
	v_or3_b32 v8, v5, v3, v4
	v_mov_b32_e32 v3, v9
	s_clause 0x1
	scratch_store_b64 off, v[2:3], s32 offset:192
	scratch_store_b64 off, v[8:9], s32 offset:1012
.LBB232_3103:                           ;   in Loop: Header=BB232_2089 Depth=1
	s_wait_xcnt 0x0
	s_or_b32 exec_lo, exec_lo, s19
.LBB232_3104:                           ;   in Loop: Header=BB232_2089 Depth=1
	s_delay_alu instid0(SALU_CYCLE_1)
	s_or_b32 exec_lo, exec_lo, s18
.LBB232_3105:                           ;   in Loop: Header=BB232_2089 Depth=1
	s_delay_alu instid0(SALU_CYCLE_1) | instskip(NEXT) | instid1(SALU_CYCLE_1)
	s_or_b32 exec_lo, exec_lo, s17
	s_mov_b32 s17, exec_lo
	v_cmpx_lt_u32_e32 0xffffff, v2
	s_cbranch_execz .LBB232_3113
; %bb.3106:                             ;   in Loop: Header=BB232_2089 Depth=1
	v_mov_b64_e32 v[4:5], 0x8000000000000000
	v_lshrrev_b32_e32 v3, 24, v2
	s_mov_b32 s18, exec_lo
	scratch_store_b64 off, v[4:5], s32 offset:1004 ; 8-byte Folded Spill
	s_wait_xcnt 0x0
	v_cmpx_ne_u32_e32 0x80, v3
	s_cbranch_execz .LBB232_3112
; %bb.3107:                             ;   in Loop: Header=BB232_2089 Depth=1
	v_mov_b64_e32 v[6:7], 0x7f80000100000000
	v_bfe_u32 v4, v2, 24, 7
	s_mov_b32 s19, exec_lo
	scratch_store_b64 off, v[6:7], s32 offset:1004 ; 8-byte Folded Spill
	s_wait_xcnt 0x0
	v_cmpx_ne_u32_e32 0x7f, v4
	s_cbranch_execz .LBB232_3111
; %bb.3108:                             ;   in Loop: Header=BB232_2089 Depth=1
	scratch_load_b64 v[6:7], off, s32 offset:192 th:TH_LOAD_LU ; 8-byte Folded Reload
	s_wait_loadcnt 0x0
	v_dual_lshrrev_b32 v2, 3, v4 :: v_dual_bitop2_b32 v6, 7, v3 bitop3:0x40
	s_mov_b32 s20, exec_lo
	s_wait_xcnt 0x0
	v_cmpx_gt_u32_e32 8, v4
; %bb.3109:                             ;   in Loop: Header=BB232_2089 Depth=1
	s_delay_alu instid0(VALU_DEP_2) | instskip(NEXT) | instid1(VALU_DEP_1)
	v_clz_i32_u32_e32 v2, v6
	v_min_u32_e32 v2, 32, v2
	s_delay_alu instid0(VALU_DEP_1) | instskip(NEXT) | instid1(VALU_DEP_1)
	v_subrev_nc_u32_e32 v4, 28, v2
	v_lshlrev_b64_e32 v[4:5], v4, v[6:7]
	s_delay_alu instid0(VALU_DEP_1)
	v_dual_sub_nc_u32 v2, 29, v2 :: v_dual_bitop2_b32 v6, 7, v4 bitop3:0x40
; %bb.3110:                             ;   in Loop: Header=BB232_2089 Depth=1
	s_or_b32 exec_lo, exec_lo, s20
	s_delay_alu instid0(VALU_DEP_1) | instskip(NEXT) | instid1(VALU_DEP_2)
	v_dual_lshlrev_b32 v3, 24, v3 :: v_dual_lshlrev_b32 v4, 20, v6
	v_lshl_add_u32 v2, v2, 23, 0x3c000000
	s_delay_alu instid0(VALU_DEP_2) | instskip(NEXT) | instid1(VALU_DEP_1)
	v_and_b32_e32 v3, 0x80000000, v3
	v_or3_b32 v5, v4, v3, v2
	v_dual_mov_b32 v3, v7 :: v_dual_mov_b32 v4, v7
	s_clause 0x1
	scratch_store_b64 off, v[2:3], s32 offset:192
	scratch_store_b64 off, v[4:5], s32 offset:1004
.LBB232_3111:                           ;   in Loop: Header=BB232_2089 Depth=1
	s_wait_xcnt 0x0
	s_or_b32 exec_lo, exec_lo, s19
.LBB232_3112:                           ;   in Loop: Header=BB232_2089 Depth=1
	s_delay_alu instid0(SALU_CYCLE_1)
	s_or_b32 exec_lo, exec_lo, s18
.LBB232_3113:                           ;   in Loop: Header=BB232_2089 Depth=1
	s_delay_alu instid0(SALU_CYCLE_1)
	s_or_b32 exec_lo, exec_lo, s17
	flat_load_b32 v2, v[0:1] offset:4096
	v_mov_b64_e32 v[4:5], 0
	s_mov_b32 s17, exec_lo
	scratch_store_b64 off, v[4:5], s32 offset:1020 ; 8-byte Folded Spill
	s_wait_xcnt 0x0
	v_mov_b64_e32 v[4:5], 0
	scratch_store_b64 off, v[4:5], s32 offset:1028 ; 8-byte Folded Spill
	s_wait_loadcnt_dscnt 0x0
	v_and_b32_e32 v3, 0xff, v2
	s_wait_xcnt 0x0
	s_delay_alu instid0(VALU_DEP_1)
	v_cmpx_ne_u16_e32 0, v3
	s_cbranch_execz .LBB232_3121
; %bb.3114:                             ;   in Loop: Header=BB232_2089 Depth=1
	v_mov_b64_e32 v[4:5], 0x80000000
	s_mov_b32 s18, exec_lo
	scratch_store_b64 off, v[4:5], s32 offset:1028 ; 8-byte Folded Spill
	s_wait_xcnt 0x0
	v_cmpx_ne_u16_e32 0x80, v3
	s_cbranch_execz .LBB232_3120
; %bb.3115:                             ;   in Loop: Header=BB232_2089 Depth=1
	v_mov_b64_e32 v[6:7], 0x7f800001
	v_and_b32_e32 v4, 0x7f, v2
	s_mov_b32 s19, exec_lo
	scratch_store_b64 off, v[6:7], s32 offset:1028 ; 8-byte Folded Spill
	s_wait_xcnt 0x0
	v_cmpx_ne_u32_e32 0x7f, v4
	s_cbranch_execz .LBB232_3119
; %bb.3116:                             ;   in Loop: Header=BB232_2089 Depth=1
	scratch_load_b64 v[6:7], off, s32 offset:192 th:TH_LOAD_LU ; 8-byte Folded Reload
	s_wait_loadcnt 0x0
	v_dual_lshrrev_b32 v3, 3, v4 :: v_dual_bitop2_b32 v6, 7, v2 bitop3:0x40
	s_mov_b32 s20, exec_lo
	s_wait_xcnt 0x0
	v_cmpx_gt_u32_e32 8, v4
; %bb.3117:                             ;   in Loop: Header=BB232_2089 Depth=1
	s_delay_alu instid0(VALU_DEP_2) | instskip(NEXT) | instid1(VALU_DEP_1)
	v_clz_i32_u32_e32 v3, v6
	v_min_u32_e32 v3, 32, v3
	s_delay_alu instid0(VALU_DEP_1) | instskip(NEXT) | instid1(VALU_DEP_1)
	v_subrev_nc_u32_e32 v4, 28, v3
	v_lshlrev_b64_e32 v[4:5], v4, v[6:7]
	s_delay_alu instid0(VALU_DEP_1)
	v_dual_sub_nc_u32 v3, 29, v3 :: v_dual_bitop2_b32 v6, 7, v4 bitop3:0x40
; %bb.3118:                             ;   in Loop: Header=BB232_2089 Depth=1
	s_or_b32 exec_lo, exec_lo, s20
	v_lshlrev_b32_e32 v4, 24, v2
	s_delay_alu instid0(VALU_DEP_2) | instskip(NEXT) | instid1(VALU_DEP_3)
	v_lshlrev_b32_e32 v5, 20, v6
	v_lshl_add_u32 v3, v3, 23, 0x3c000000
	s_delay_alu instid0(VALU_DEP_3) | instskip(NEXT) | instid1(VALU_DEP_1)
	v_and_b32_e32 v4, 0x80000000, v4
	v_or3_b32 v6, v5, v4, v3
	v_mov_b32_e32 v3, v7
	s_clause 0x1
	scratch_store_b64 off, v[2:3], s32 offset:192
	scratch_store_b64 off, v[6:7], s32 offset:1028
.LBB232_3119:                           ;   in Loop: Header=BB232_2089 Depth=1
	s_wait_xcnt 0x0
	s_or_b32 exec_lo, exec_lo, s19
.LBB232_3120:                           ;   in Loop: Header=BB232_2089 Depth=1
	s_delay_alu instid0(SALU_CYCLE_1)
	s_or_b32 exec_lo, exec_lo, s18
.LBB232_3121:                           ;   in Loop: Header=BB232_2089 Depth=1
	s_delay_alu instid0(SALU_CYCLE_1) | instskip(SKIP_2) | instid1(VALU_DEP_1)
	s_or_b32 exec_lo, exec_lo, s17
	v_lshrrev_b16 v3, 8, v2
	s_mov_b32 s17, exec_lo
	v_cmpx_ne_u16_e32 0, v3
	s_cbranch_execz .LBB232_3129
; %bb.3122:                             ;   in Loop: Header=BB232_2089 Depth=1
	v_mov_b64_e32 v[4:5], 0x8000000000000000
	s_mov_b32 s18, exec_lo
	scratch_store_b64 off, v[4:5], s32 offset:1020 ; 8-byte Folded Spill
	s_wait_xcnt 0x0
	v_cmpx_ne_u16_e32 0x80, v3
	s_cbranch_execz .LBB232_3128
; %bb.3123:                             ;   in Loop: Header=BB232_2089 Depth=1
	v_and_b32_e32 v3, 0xffff, v3
	v_mov_b64_e32 v[6:7], 0x7f80000100000000
	s_mov_b32 s19, exec_lo
	s_delay_alu instid0(VALU_DEP_2)
	v_and_b32_e32 v4, 0x7f, v3
	scratch_store_b64 off, v[6:7], s32 offset:1020 ; 8-byte Folded Spill
	s_wait_xcnt 0x0
	v_cmpx_ne_u32_e32 0x7f, v4
	s_cbranch_execz .LBB232_3127
; %bb.3124:                             ;   in Loop: Header=BB232_2089 Depth=1
	scratch_load_b64 v[6:7], off, s32 offset:192 th:TH_LOAD_LU ; 8-byte Folded Reload
	s_wait_loadcnt 0x0
	v_dual_lshrrev_b32 v3, 3, v4 :: v_dual_bitop2_b32 v6, 7, v3 bitop3:0x40
	s_mov_b32 s20, exec_lo
	s_wait_xcnt 0x0
	v_cmpx_gt_u32_e32 8, v4
; %bb.3125:                             ;   in Loop: Header=BB232_2089 Depth=1
	s_delay_alu instid0(VALU_DEP_2) | instskip(NEXT) | instid1(VALU_DEP_1)
	v_clz_i32_u32_e32 v3, v6
	v_min_u32_e32 v3, 32, v3
	s_delay_alu instid0(VALU_DEP_1) | instskip(NEXT) | instid1(VALU_DEP_1)
	v_subrev_nc_u32_e32 v4, 28, v3
	v_lshlrev_b64_e32 v[4:5], v4, v[6:7]
	s_delay_alu instid0(VALU_DEP_1)
	v_dual_sub_nc_u32 v3, 29, v3 :: v_dual_bitop2_b32 v6, 7, v4 bitop3:0x40
; %bb.3126:                             ;   in Loop: Header=BB232_2089 Depth=1
	s_or_b32 exec_lo, exec_lo, s20
	v_lshlrev_b32_e32 v4, 16, v2
	s_delay_alu instid0(VALU_DEP_2) | instskip(NEXT) | instid1(VALU_DEP_3)
	v_lshlrev_b32_e32 v5, 20, v6
	v_lshl_add_u32 v3, v3, 23, 0x3c000000
	s_delay_alu instid0(VALU_DEP_3) | instskip(NEXT) | instid1(VALU_DEP_1)
	v_and_b32_e32 v4, 0x80000000, v4
	v_or3_b32 v5, v5, v4, v3
	v_dual_mov_b32 v3, v7 :: v_dual_mov_b32 v4, v7
	s_clause 0x1
	scratch_store_b64 off, v[2:3], s32 offset:192
	scratch_store_b64 off, v[4:5], s32 offset:1020
.LBB232_3127:                           ;   in Loop: Header=BB232_2089 Depth=1
	s_wait_xcnt 0x0
	s_or_b32 exec_lo, exec_lo, s19
.LBB232_3128:                           ;   in Loop: Header=BB232_2089 Depth=1
	s_delay_alu instid0(SALU_CYCLE_1)
	s_or_b32 exec_lo, exec_lo, s18
.LBB232_3129:                           ;   in Loop: Header=BB232_2089 Depth=1
	s_delay_alu instid0(SALU_CYCLE_1) | instskip(SKIP_3) | instid1(VALU_DEP_1)
	s_or_b32 exec_lo, exec_lo, s17
	v_mov_b64_e32 v[6:7], 0
	v_lshrrev_b32_e32 v3, 16, v2
	s_mov_b32 s17, exec_lo
	v_and_b32_e32 v4, 0xff, v3
	scratch_store_b64 off, v[6:7], s32 offset:1036 ; 8-byte Folded Spill
	s_wait_xcnt 0x0
	v_mov_b64_e32 v[6:7], 0
	scratch_store_b64 off, v[6:7], s32 offset:1044 ; 8-byte Folded Spill
	s_wait_xcnt 0x0
	v_cmpx_ne_u16_e32 0, v4
	s_cbranch_execz .LBB232_3137
; %bb.3130:                             ;   in Loop: Header=BB232_2089 Depth=1
	v_cmp_ne_u16_e64 s4, 0x80, v4
	v_mov_b64_e32 v[4:5], 0x80000000
	scratch_store_b64 off, v[4:5], s32 offset:1044 ; 8-byte Folded Spill
	s_wait_xcnt 0x0
	s_and_saveexec_b32 s18, s4
	s_cbranch_execz .LBB232_3136
; %bb.3131:                             ;   in Loop: Header=BB232_2089 Depth=1
	v_mov_b64_e32 v[6:7], 0x7f800001
	v_bfe_u32 v5, v2, 16, 7
	s_mov_b32 s19, exec_lo
	scratch_store_b64 off, v[6:7], s32 offset:1044 ; 8-byte Folded Spill
	s_wait_xcnt 0x0
	v_cmpx_ne_u32_e32 0x7f, v5
	s_cbranch_execz .LBB232_3135
; %bb.3132:                             ;   in Loop: Header=BB232_2089 Depth=1
	scratch_load_b64 v[8:9], off, s32 offset:192 th:TH_LOAD_LU ; 8-byte Folded Reload
	s_wait_loadcnt 0x0
	v_dual_lshrrev_b32 v4, 3, v5 :: v_dual_bitop2_b32 v8, 7, v3 bitop3:0x40
	s_mov_b32 s20, exec_lo
	s_wait_xcnt 0x0
	v_cmpx_gt_u32_e32 8, v5
; %bb.3133:                             ;   in Loop: Header=BB232_2089 Depth=1
	s_delay_alu instid0(VALU_DEP_2) | instskip(NEXT) | instid1(VALU_DEP_1)
	v_clz_i32_u32_e32 v4, v8
	v_min_u32_e32 v4, 32, v4
	s_delay_alu instid0(VALU_DEP_1) | instskip(NEXT) | instid1(VALU_DEP_1)
	v_subrev_nc_u32_e32 v5, 28, v4
	v_lshlrev_b64_e32 v[6:7], v5, v[8:9]
	s_delay_alu instid0(VALU_DEP_1)
	v_dual_sub_nc_u32 v4, 29, v4 :: v_dual_bitop2_b32 v8, 7, v6 bitop3:0x40
; %bb.3134:                             ;   in Loop: Header=BB232_2089 Depth=1
	s_or_b32 exec_lo, exec_lo, s20
	s_delay_alu instid0(VALU_DEP_1) | instskip(NEXT) | instid1(VALU_DEP_2)
	v_dual_lshlrev_b32 v3, 24, v3 :: v_dual_lshlrev_b32 v5, 20, v8
	v_lshl_add_u32 v4, v4, 23, 0x3c000000
	s_delay_alu instid0(VALU_DEP_2) | instskip(NEXT) | instid1(VALU_DEP_1)
	v_and_b32_e32 v3, 0x80000000, v3
	v_or3_b32 v8, v5, v3, v4
	v_mov_b32_e32 v3, v9
	s_clause 0x1
	scratch_store_b64 off, v[2:3], s32 offset:192
	scratch_store_b64 off, v[8:9], s32 offset:1044
.LBB232_3135:                           ;   in Loop: Header=BB232_2089 Depth=1
	s_wait_xcnt 0x0
	s_or_b32 exec_lo, exec_lo, s19
.LBB232_3136:                           ;   in Loop: Header=BB232_2089 Depth=1
	s_delay_alu instid0(SALU_CYCLE_1)
	s_or_b32 exec_lo, exec_lo, s18
.LBB232_3137:                           ;   in Loop: Header=BB232_2089 Depth=1
	s_delay_alu instid0(SALU_CYCLE_1) | instskip(NEXT) | instid1(SALU_CYCLE_1)
	s_or_b32 exec_lo, exec_lo, s17
	s_mov_b32 s17, exec_lo
	v_cmpx_lt_u32_e32 0xffffff, v2
	s_cbranch_execz .LBB232_3145
; %bb.3138:                             ;   in Loop: Header=BB232_2089 Depth=1
	v_mov_b64_e32 v[4:5], 0x8000000000000000
	v_lshrrev_b32_e32 v3, 24, v2
	s_mov_b32 s18, exec_lo
	scratch_store_b64 off, v[4:5], s32 offset:1036 ; 8-byte Folded Spill
	s_wait_xcnt 0x0
	v_cmpx_ne_u32_e32 0x80, v3
	s_cbranch_execz .LBB232_3144
; %bb.3139:                             ;   in Loop: Header=BB232_2089 Depth=1
	v_mov_b64_e32 v[6:7], 0x7f80000100000000
	v_bfe_u32 v4, v2, 24, 7
	s_mov_b32 s19, exec_lo
	scratch_store_b64 off, v[6:7], s32 offset:1036 ; 8-byte Folded Spill
	s_wait_xcnt 0x0
	v_cmpx_ne_u32_e32 0x7f, v4
	s_cbranch_execz .LBB232_3143
; %bb.3140:                             ;   in Loop: Header=BB232_2089 Depth=1
	scratch_load_b64 v[6:7], off, s32 offset:192 th:TH_LOAD_LU ; 8-byte Folded Reload
	s_wait_loadcnt 0x0
	v_dual_lshrrev_b32 v2, 3, v4 :: v_dual_bitop2_b32 v6, 7, v3 bitop3:0x40
	s_mov_b32 s20, exec_lo
	s_wait_xcnt 0x0
	v_cmpx_gt_u32_e32 8, v4
; %bb.3141:                             ;   in Loop: Header=BB232_2089 Depth=1
	s_delay_alu instid0(VALU_DEP_2) | instskip(NEXT) | instid1(VALU_DEP_1)
	v_clz_i32_u32_e32 v2, v6
	v_min_u32_e32 v2, 32, v2
	s_delay_alu instid0(VALU_DEP_1) | instskip(NEXT) | instid1(VALU_DEP_1)
	v_subrev_nc_u32_e32 v4, 28, v2
	v_lshlrev_b64_e32 v[4:5], v4, v[6:7]
	s_delay_alu instid0(VALU_DEP_1)
	v_dual_sub_nc_u32 v2, 29, v2 :: v_dual_bitop2_b32 v6, 7, v4 bitop3:0x40
; %bb.3142:                             ;   in Loop: Header=BB232_2089 Depth=1
	s_or_b32 exec_lo, exec_lo, s20
	s_delay_alu instid0(VALU_DEP_1) | instskip(NEXT) | instid1(VALU_DEP_2)
	v_dual_lshlrev_b32 v3, 24, v3 :: v_dual_lshlrev_b32 v4, 20, v6
	v_lshl_add_u32 v2, v2, 23, 0x3c000000
	s_delay_alu instid0(VALU_DEP_2) | instskip(NEXT) | instid1(VALU_DEP_1)
	v_and_b32_e32 v3, 0x80000000, v3
	v_or3_b32 v5, v4, v3, v2
	v_dual_mov_b32 v3, v7 :: v_dual_mov_b32 v4, v7
	s_clause 0x1
	scratch_store_b64 off, v[2:3], s32 offset:192
	scratch_store_b64 off, v[4:5], s32 offset:1036
.LBB232_3143:                           ;   in Loop: Header=BB232_2089 Depth=1
	s_wait_xcnt 0x0
	s_or_b32 exec_lo, exec_lo, s19
.LBB232_3144:                           ;   in Loop: Header=BB232_2089 Depth=1
	s_delay_alu instid0(SALU_CYCLE_1)
	s_or_b32 exec_lo, exec_lo, s18
.LBB232_3145:                           ;   in Loop: Header=BB232_2089 Depth=1
	s_delay_alu instid0(SALU_CYCLE_1)
	s_or_b32 exec_lo, exec_lo, s17
	flat_load_b32 v2, v[0:1] offset:4224
	v_mov_b64_e32 v[4:5], 0
	s_mov_b32 s17, exec_lo
	scratch_store_b64 off, v[4:5], s32 offset:1052 ; 8-byte Folded Spill
	s_wait_xcnt 0x0
	v_mov_b64_e32 v[4:5], 0
	scratch_store_b64 off, v[4:5], s32 offset:1060 ; 8-byte Folded Spill
	s_wait_loadcnt_dscnt 0x0
	v_and_b32_e32 v3, 0xff, v2
	s_wait_xcnt 0x0
	s_delay_alu instid0(VALU_DEP_1)
	v_cmpx_ne_u16_e32 0, v3
	s_cbranch_execz .LBB232_3153
; %bb.3146:                             ;   in Loop: Header=BB232_2089 Depth=1
	v_mov_b64_e32 v[4:5], 0x80000000
	s_mov_b32 s18, exec_lo
	scratch_store_b64 off, v[4:5], s32 offset:1060 ; 8-byte Folded Spill
	s_wait_xcnt 0x0
	v_cmpx_ne_u16_e32 0x80, v3
	s_cbranch_execz .LBB232_3152
; %bb.3147:                             ;   in Loop: Header=BB232_2089 Depth=1
	v_mov_b64_e32 v[6:7], 0x7f800001
	v_and_b32_e32 v4, 0x7f, v2
	s_mov_b32 s19, exec_lo
	scratch_store_b64 off, v[6:7], s32 offset:1060 ; 8-byte Folded Spill
	s_wait_xcnt 0x0
	v_cmpx_ne_u32_e32 0x7f, v4
	s_cbranch_execz .LBB232_3151
; %bb.3148:                             ;   in Loop: Header=BB232_2089 Depth=1
	scratch_load_b64 v[6:7], off, s32 offset:192 th:TH_LOAD_LU ; 8-byte Folded Reload
	s_wait_loadcnt 0x0
	v_dual_lshrrev_b32 v3, 3, v4 :: v_dual_bitop2_b32 v6, 7, v2 bitop3:0x40
	s_mov_b32 s20, exec_lo
	s_wait_xcnt 0x0
	v_cmpx_gt_u32_e32 8, v4
; %bb.3149:                             ;   in Loop: Header=BB232_2089 Depth=1
	s_delay_alu instid0(VALU_DEP_2) | instskip(NEXT) | instid1(VALU_DEP_1)
	v_clz_i32_u32_e32 v3, v6
	v_min_u32_e32 v3, 32, v3
	s_delay_alu instid0(VALU_DEP_1) | instskip(NEXT) | instid1(VALU_DEP_1)
	v_subrev_nc_u32_e32 v4, 28, v3
	v_lshlrev_b64_e32 v[4:5], v4, v[6:7]
	s_delay_alu instid0(VALU_DEP_1)
	v_dual_sub_nc_u32 v3, 29, v3 :: v_dual_bitop2_b32 v6, 7, v4 bitop3:0x40
; %bb.3150:                             ;   in Loop: Header=BB232_2089 Depth=1
	s_or_b32 exec_lo, exec_lo, s20
	v_lshlrev_b32_e32 v4, 24, v2
	s_delay_alu instid0(VALU_DEP_2) | instskip(NEXT) | instid1(VALU_DEP_3)
	v_lshlrev_b32_e32 v5, 20, v6
	v_lshl_add_u32 v3, v3, 23, 0x3c000000
	s_delay_alu instid0(VALU_DEP_3) | instskip(NEXT) | instid1(VALU_DEP_1)
	v_and_b32_e32 v4, 0x80000000, v4
	v_or3_b32 v6, v5, v4, v3
	v_mov_b32_e32 v3, v7
	s_clause 0x1
	scratch_store_b64 off, v[2:3], s32 offset:192
	scratch_store_b64 off, v[6:7], s32 offset:1060
.LBB232_3151:                           ;   in Loop: Header=BB232_2089 Depth=1
	s_wait_xcnt 0x0
	s_or_b32 exec_lo, exec_lo, s19
.LBB232_3152:                           ;   in Loop: Header=BB232_2089 Depth=1
	s_delay_alu instid0(SALU_CYCLE_1)
	s_or_b32 exec_lo, exec_lo, s18
.LBB232_3153:                           ;   in Loop: Header=BB232_2089 Depth=1
	s_delay_alu instid0(SALU_CYCLE_1) | instskip(SKIP_2) | instid1(VALU_DEP_1)
	s_or_b32 exec_lo, exec_lo, s17
	v_lshrrev_b16 v3, 8, v2
	s_mov_b32 s17, exec_lo
	v_cmpx_ne_u16_e32 0, v3
	s_cbranch_execz .LBB232_3161
; %bb.3154:                             ;   in Loop: Header=BB232_2089 Depth=1
	v_mov_b64_e32 v[4:5], 0x8000000000000000
	s_mov_b32 s18, exec_lo
	scratch_store_b64 off, v[4:5], s32 offset:1052 ; 8-byte Folded Spill
	s_wait_xcnt 0x0
	v_cmpx_ne_u16_e32 0x80, v3
	s_cbranch_execz .LBB232_3160
; %bb.3155:                             ;   in Loop: Header=BB232_2089 Depth=1
	v_and_b32_e32 v3, 0xffff, v3
	v_mov_b64_e32 v[6:7], 0x7f80000100000000
	s_mov_b32 s19, exec_lo
	s_delay_alu instid0(VALU_DEP_2)
	v_and_b32_e32 v4, 0x7f, v3
	scratch_store_b64 off, v[6:7], s32 offset:1052 ; 8-byte Folded Spill
	s_wait_xcnt 0x0
	v_cmpx_ne_u32_e32 0x7f, v4
	s_cbranch_execz .LBB232_3159
; %bb.3156:                             ;   in Loop: Header=BB232_2089 Depth=1
	scratch_load_b64 v[6:7], off, s32 offset:192 th:TH_LOAD_LU ; 8-byte Folded Reload
	s_wait_loadcnt 0x0
	v_dual_lshrrev_b32 v3, 3, v4 :: v_dual_bitop2_b32 v6, 7, v3 bitop3:0x40
	s_mov_b32 s20, exec_lo
	s_wait_xcnt 0x0
	v_cmpx_gt_u32_e32 8, v4
; %bb.3157:                             ;   in Loop: Header=BB232_2089 Depth=1
	s_delay_alu instid0(VALU_DEP_2) | instskip(NEXT) | instid1(VALU_DEP_1)
	v_clz_i32_u32_e32 v3, v6
	v_min_u32_e32 v3, 32, v3
	s_delay_alu instid0(VALU_DEP_1) | instskip(NEXT) | instid1(VALU_DEP_1)
	v_subrev_nc_u32_e32 v4, 28, v3
	v_lshlrev_b64_e32 v[4:5], v4, v[6:7]
	s_delay_alu instid0(VALU_DEP_1)
	v_dual_sub_nc_u32 v3, 29, v3 :: v_dual_bitop2_b32 v6, 7, v4 bitop3:0x40
; %bb.3158:                             ;   in Loop: Header=BB232_2089 Depth=1
	s_or_b32 exec_lo, exec_lo, s20
	v_lshlrev_b32_e32 v4, 16, v2
	s_delay_alu instid0(VALU_DEP_2) | instskip(NEXT) | instid1(VALU_DEP_3)
	v_lshlrev_b32_e32 v5, 20, v6
	v_lshl_add_u32 v3, v3, 23, 0x3c000000
	s_delay_alu instid0(VALU_DEP_3) | instskip(NEXT) | instid1(VALU_DEP_1)
	v_and_b32_e32 v4, 0x80000000, v4
	v_or3_b32 v5, v5, v4, v3
	v_dual_mov_b32 v3, v7 :: v_dual_mov_b32 v4, v7
	s_clause 0x1
	scratch_store_b64 off, v[2:3], s32 offset:192
	scratch_store_b64 off, v[4:5], s32 offset:1052
.LBB232_3159:                           ;   in Loop: Header=BB232_2089 Depth=1
	s_wait_xcnt 0x0
	s_or_b32 exec_lo, exec_lo, s19
.LBB232_3160:                           ;   in Loop: Header=BB232_2089 Depth=1
	s_delay_alu instid0(SALU_CYCLE_1)
	s_or_b32 exec_lo, exec_lo, s18
.LBB232_3161:                           ;   in Loop: Header=BB232_2089 Depth=1
	s_delay_alu instid0(SALU_CYCLE_1) | instskip(SKIP_3) | instid1(VALU_DEP_1)
	s_or_b32 exec_lo, exec_lo, s17
	v_mov_b64_e32 v[6:7], 0
	v_lshrrev_b32_e32 v3, 16, v2
	s_mov_b32 s17, exec_lo
	v_and_b32_e32 v4, 0xff, v3
	scratch_store_b64 off, v[6:7], s32 offset:1068 ; 8-byte Folded Spill
	s_wait_xcnt 0x0
	v_mov_b64_e32 v[6:7], 0
	scratch_store_b64 off, v[6:7], s32 offset:1076 ; 8-byte Folded Spill
	s_wait_xcnt 0x0
	v_cmpx_ne_u16_e32 0, v4
	s_cbranch_execz .LBB232_3169
; %bb.3162:                             ;   in Loop: Header=BB232_2089 Depth=1
	v_cmp_ne_u16_e64 s4, 0x80, v4
	v_mov_b64_e32 v[4:5], 0x80000000
	scratch_store_b64 off, v[4:5], s32 offset:1076 ; 8-byte Folded Spill
	s_wait_xcnt 0x0
	s_and_saveexec_b32 s18, s4
	s_cbranch_execz .LBB232_3168
; %bb.3163:                             ;   in Loop: Header=BB232_2089 Depth=1
	v_mov_b64_e32 v[6:7], 0x7f800001
	v_bfe_u32 v5, v2, 16, 7
	s_mov_b32 s19, exec_lo
	scratch_store_b64 off, v[6:7], s32 offset:1076 ; 8-byte Folded Spill
	s_wait_xcnt 0x0
	v_cmpx_ne_u32_e32 0x7f, v5
	s_cbranch_execz .LBB232_3167
; %bb.3164:                             ;   in Loop: Header=BB232_2089 Depth=1
	scratch_load_b64 v[8:9], off, s32 offset:192 th:TH_LOAD_LU ; 8-byte Folded Reload
	s_wait_loadcnt 0x0
	v_dual_lshrrev_b32 v4, 3, v5 :: v_dual_bitop2_b32 v8, 7, v3 bitop3:0x40
	s_mov_b32 s20, exec_lo
	s_wait_xcnt 0x0
	v_cmpx_gt_u32_e32 8, v5
; %bb.3165:                             ;   in Loop: Header=BB232_2089 Depth=1
	s_delay_alu instid0(VALU_DEP_2) | instskip(NEXT) | instid1(VALU_DEP_1)
	v_clz_i32_u32_e32 v4, v8
	v_min_u32_e32 v4, 32, v4
	s_delay_alu instid0(VALU_DEP_1) | instskip(NEXT) | instid1(VALU_DEP_1)
	v_subrev_nc_u32_e32 v5, 28, v4
	v_lshlrev_b64_e32 v[6:7], v5, v[8:9]
	s_delay_alu instid0(VALU_DEP_1)
	v_dual_sub_nc_u32 v4, 29, v4 :: v_dual_bitop2_b32 v8, 7, v6 bitop3:0x40
; %bb.3166:                             ;   in Loop: Header=BB232_2089 Depth=1
	s_or_b32 exec_lo, exec_lo, s20
	s_delay_alu instid0(VALU_DEP_1) | instskip(NEXT) | instid1(VALU_DEP_2)
	v_dual_lshlrev_b32 v3, 24, v3 :: v_dual_lshlrev_b32 v5, 20, v8
	v_lshl_add_u32 v4, v4, 23, 0x3c000000
	s_delay_alu instid0(VALU_DEP_2) | instskip(NEXT) | instid1(VALU_DEP_1)
	v_and_b32_e32 v3, 0x80000000, v3
	v_or3_b32 v8, v5, v3, v4
	v_mov_b32_e32 v3, v9
	s_clause 0x1
	scratch_store_b64 off, v[2:3], s32 offset:192
	scratch_store_b64 off, v[8:9], s32 offset:1076
.LBB232_3167:                           ;   in Loop: Header=BB232_2089 Depth=1
	s_wait_xcnt 0x0
	s_or_b32 exec_lo, exec_lo, s19
.LBB232_3168:                           ;   in Loop: Header=BB232_2089 Depth=1
	s_delay_alu instid0(SALU_CYCLE_1)
	s_or_b32 exec_lo, exec_lo, s18
.LBB232_3169:                           ;   in Loop: Header=BB232_2089 Depth=1
	s_delay_alu instid0(SALU_CYCLE_1) | instskip(NEXT) | instid1(SALU_CYCLE_1)
	s_or_b32 exec_lo, exec_lo, s17
	s_mov_b32 s17, exec_lo
	v_cmpx_lt_u32_e32 0xffffff, v2
	s_cbranch_execz .LBB232_3177
; %bb.3170:                             ;   in Loop: Header=BB232_2089 Depth=1
	v_mov_b64_e32 v[4:5], 0x8000000000000000
	v_lshrrev_b32_e32 v3, 24, v2
	s_mov_b32 s18, exec_lo
	scratch_store_b64 off, v[4:5], s32 offset:1068 ; 8-byte Folded Spill
	s_wait_xcnt 0x0
	v_cmpx_ne_u32_e32 0x80, v3
	s_cbranch_execz .LBB232_3176
; %bb.3171:                             ;   in Loop: Header=BB232_2089 Depth=1
	v_mov_b64_e32 v[6:7], 0x7f80000100000000
	v_bfe_u32 v4, v2, 24, 7
	s_mov_b32 s19, exec_lo
	scratch_store_b64 off, v[6:7], s32 offset:1068 ; 8-byte Folded Spill
	s_wait_xcnt 0x0
	v_cmpx_ne_u32_e32 0x7f, v4
	s_cbranch_execz .LBB232_3175
; %bb.3172:                             ;   in Loop: Header=BB232_2089 Depth=1
	scratch_load_b64 v[6:7], off, s32 offset:192 th:TH_LOAD_LU ; 8-byte Folded Reload
	s_wait_loadcnt 0x0
	v_dual_lshrrev_b32 v2, 3, v4 :: v_dual_bitop2_b32 v6, 7, v3 bitop3:0x40
	s_mov_b32 s20, exec_lo
	s_wait_xcnt 0x0
	v_cmpx_gt_u32_e32 8, v4
; %bb.3173:                             ;   in Loop: Header=BB232_2089 Depth=1
	s_delay_alu instid0(VALU_DEP_2) | instskip(NEXT) | instid1(VALU_DEP_1)
	v_clz_i32_u32_e32 v2, v6
	v_min_u32_e32 v2, 32, v2
	s_delay_alu instid0(VALU_DEP_1) | instskip(NEXT) | instid1(VALU_DEP_1)
	v_subrev_nc_u32_e32 v4, 28, v2
	v_lshlrev_b64_e32 v[4:5], v4, v[6:7]
	s_delay_alu instid0(VALU_DEP_1)
	v_dual_sub_nc_u32 v2, 29, v2 :: v_dual_bitop2_b32 v6, 7, v4 bitop3:0x40
; %bb.3174:                             ;   in Loop: Header=BB232_2089 Depth=1
	s_or_b32 exec_lo, exec_lo, s20
	s_delay_alu instid0(VALU_DEP_1) | instskip(NEXT) | instid1(VALU_DEP_2)
	v_dual_lshlrev_b32 v3, 24, v3 :: v_dual_lshlrev_b32 v4, 20, v6
	v_lshl_add_u32 v2, v2, 23, 0x3c000000
	s_delay_alu instid0(VALU_DEP_2) | instskip(NEXT) | instid1(VALU_DEP_1)
	v_and_b32_e32 v3, 0x80000000, v3
	v_or3_b32 v5, v4, v3, v2
	v_dual_mov_b32 v3, v7 :: v_dual_mov_b32 v4, v7
	s_clause 0x1
	scratch_store_b64 off, v[2:3], s32 offset:192
	scratch_store_b64 off, v[4:5], s32 offset:1068
.LBB232_3175:                           ;   in Loop: Header=BB232_2089 Depth=1
	s_wait_xcnt 0x0
	s_or_b32 exec_lo, exec_lo, s19
.LBB232_3176:                           ;   in Loop: Header=BB232_2089 Depth=1
	s_delay_alu instid0(SALU_CYCLE_1)
	s_or_b32 exec_lo, exec_lo, s18
.LBB232_3177:                           ;   in Loop: Header=BB232_2089 Depth=1
	s_delay_alu instid0(SALU_CYCLE_1)
	s_or_b32 exec_lo, exec_lo, s17
	flat_load_b32 v2, v[0:1] offset:4352
	v_mov_b64_e32 v[4:5], 0
	s_mov_b32 s17, exec_lo
	scratch_store_b64 off, v[4:5], s32 offset:1084 ; 8-byte Folded Spill
	s_wait_xcnt 0x0
	v_mov_b64_e32 v[4:5], 0
	scratch_store_b64 off, v[4:5], s32 offset:1092 ; 8-byte Folded Spill
	s_wait_loadcnt_dscnt 0x0
	v_and_b32_e32 v3, 0xff, v2
	s_wait_xcnt 0x0
	s_delay_alu instid0(VALU_DEP_1)
	v_cmpx_ne_u16_e32 0, v3
	s_cbranch_execz .LBB232_3185
; %bb.3178:                             ;   in Loop: Header=BB232_2089 Depth=1
	v_mov_b64_e32 v[4:5], 0x80000000
	s_mov_b32 s18, exec_lo
	scratch_store_b64 off, v[4:5], s32 offset:1092 ; 8-byte Folded Spill
	s_wait_xcnt 0x0
	v_cmpx_ne_u16_e32 0x80, v3
	s_cbranch_execz .LBB232_3184
; %bb.3179:                             ;   in Loop: Header=BB232_2089 Depth=1
	v_mov_b64_e32 v[6:7], 0x7f800001
	v_and_b32_e32 v4, 0x7f, v2
	s_mov_b32 s19, exec_lo
	scratch_store_b64 off, v[6:7], s32 offset:1092 ; 8-byte Folded Spill
	s_wait_xcnt 0x0
	v_cmpx_ne_u32_e32 0x7f, v4
	s_cbranch_execz .LBB232_3183
; %bb.3180:                             ;   in Loop: Header=BB232_2089 Depth=1
	scratch_load_b64 v[6:7], off, s32 offset:192 th:TH_LOAD_LU ; 8-byte Folded Reload
	s_wait_loadcnt 0x0
	v_dual_lshrrev_b32 v3, 3, v4 :: v_dual_bitop2_b32 v6, 7, v2 bitop3:0x40
	s_mov_b32 s20, exec_lo
	s_wait_xcnt 0x0
	v_cmpx_gt_u32_e32 8, v4
; %bb.3181:                             ;   in Loop: Header=BB232_2089 Depth=1
	s_delay_alu instid0(VALU_DEP_2) | instskip(NEXT) | instid1(VALU_DEP_1)
	v_clz_i32_u32_e32 v3, v6
	v_min_u32_e32 v3, 32, v3
	s_delay_alu instid0(VALU_DEP_1) | instskip(NEXT) | instid1(VALU_DEP_1)
	v_subrev_nc_u32_e32 v4, 28, v3
	v_lshlrev_b64_e32 v[4:5], v4, v[6:7]
	s_delay_alu instid0(VALU_DEP_1)
	v_dual_sub_nc_u32 v3, 29, v3 :: v_dual_bitop2_b32 v6, 7, v4 bitop3:0x40
; %bb.3182:                             ;   in Loop: Header=BB232_2089 Depth=1
	s_or_b32 exec_lo, exec_lo, s20
	v_lshlrev_b32_e32 v4, 24, v2
	s_delay_alu instid0(VALU_DEP_2) | instskip(NEXT) | instid1(VALU_DEP_3)
	v_lshlrev_b32_e32 v5, 20, v6
	v_lshl_add_u32 v3, v3, 23, 0x3c000000
	s_delay_alu instid0(VALU_DEP_3) | instskip(NEXT) | instid1(VALU_DEP_1)
	v_and_b32_e32 v4, 0x80000000, v4
	v_or3_b32 v6, v5, v4, v3
	v_mov_b32_e32 v3, v7
	s_clause 0x1
	scratch_store_b64 off, v[2:3], s32 offset:192
	scratch_store_b64 off, v[6:7], s32 offset:1092
.LBB232_3183:                           ;   in Loop: Header=BB232_2089 Depth=1
	s_wait_xcnt 0x0
	s_or_b32 exec_lo, exec_lo, s19
.LBB232_3184:                           ;   in Loop: Header=BB232_2089 Depth=1
	s_delay_alu instid0(SALU_CYCLE_1)
	s_or_b32 exec_lo, exec_lo, s18
.LBB232_3185:                           ;   in Loop: Header=BB232_2089 Depth=1
	s_delay_alu instid0(SALU_CYCLE_1) | instskip(SKIP_2) | instid1(VALU_DEP_1)
	s_or_b32 exec_lo, exec_lo, s17
	v_lshrrev_b16 v3, 8, v2
	s_mov_b32 s17, exec_lo
	v_cmpx_ne_u16_e32 0, v3
	s_cbranch_execz .LBB232_3193
; %bb.3186:                             ;   in Loop: Header=BB232_2089 Depth=1
	v_mov_b64_e32 v[4:5], 0x8000000000000000
	s_mov_b32 s18, exec_lo
	scratch_store_b64 off, v[4:5], s32 offset:1084 ; 8-byte Folded Spill
	s_wait_xcnt 0x0
	v_cmpx_ne_u16_e32 0x80, v3
	s_cbranch_execz .LBB232_3192
; %bb.3187:                             ;   in Loop: Header=BB232_2089 Depth=1
	v_and_b32_e32 v3, 0xffff, v3
	v_mov_b64_e32 v[6:7], 0x7f80000100000000
	s_mov_b32 s19, exec_lo
	s_delay_alu instid0(VALU_DEP_2)
	v_and_b32_e32 v4, 0x7f, v3
	scratch_store_b64 off, v[6:7], s32 offset:1084 ; 8-byte Folded Spill
	s_wait_xcnt 0x0
	v_cmpx_ne_u32_e32 0x7f, v4
	s_cbranch_execz .LBB232_3191
; %bb.3188:                             ;   in Loop: Header=BB232_2089 Depth=1
	scratch_load_b64 v[6:7], off, s32 offset:192 th:TH_LOAD_LU ; 8-byte Folded Reload
	s_wait_loadcnt 0x0
	v_dual_lshrrev_b32 v3, 3, v4 :: v_dual_bitop2_b32 v6, 7, v3 bitop3:0x40
	s_mov_b32 s20, exec_lo
	s_wait_xcnt 0x0
	v_cmpx_gt_u32_e32 8, v4
; %bb.3189:                             ;   in Loop: Header=BB232_2089 Depth=1
	s_delay_alu instid0(VALU_DEP_2) | instskip(NEXT) | instid1(VALU_DEP_1)
	v_clz_i32_u32_e32 v3, v6
	v_min_u32_e32 v3, 32, v3
	s_delay_alu instid0(VALU_DEP_1) | instskip(NEXT) | instid1(VALU_DEP_1)
	v_subrev_nc_u32_e32 v4, 28, v3
	v_lshlrev_b64_e32 v[4:5], v4, v[6:7]
	s_delay_alu instid0(VALU_DEP_1)
	v_dual_sub_nc_u32 v3, 29, v3 :: v_dual_bitop2_b32 v6, 7, v4 bitop3:0x40
; %bb.3190:                             ;   in Loop: Header=BB232_2089 Depth=1
	s_or_b32 exec_lo, exec_lo, s20
	v_lshlrev_b32_e32 v4, 16, v2
	s_delay_alu instid0(VALU_DEP_2) | instskip(NEXT) | instid1(VALU_DEP_3)
	v_lshlrev_b32_e32 v5, 20, v6
	v_lshl_add_u32 v3, v3, 23, 0x3c000000
	s_delay_alu instid0(VALU_DEP_3) | instskip(NEXT) | instid1(VALU_DEP_1)
	v_and_b32_e32 v4, 0x80000000, v4
	v_or3_b32 v5, v5, v4, v3
	v_dual_mov_b32 v3, v7 :: v_dual_mov_b32 v4, v7
	s_clause 0x1
	scratch_store_b64 off, v[2:3], s32 offset:192
	scratch_store_b64 off, v[4:5], s32 offset:1084
.LBB232_3191:                           ;   in Loop: Header=BB232_2089 Depth=1
	s_wait_xcnt 0x0
	s_or_b32 exec_lo, exec_lo, s19
.LBB232_3192:                           ;   in Loop: Header=BB232_2089 Depth=1
	s_delay_alu instid0(SALU_CYCLE_1)
	s_or_b32 exec_lo, exec_lo, s18
.LBB232_3193:                           ;   in Loop: Header=BB232_2089 Depth=1
	s_delay_alu instid0(SALU_CYCLE_1) | instskip(SKIP_3) | instid1(VALU_DEP_1)
	s_or_b32 exec_lo, exec_lo, s17
	v_mov_b64_e32 v[6:7], 0
	v_lshrrev_b32_e32 v3, 16, v2
	s_mov_b32 s17, exec_lo
	v_and_b32_e32 v4, 0xff, v3
	scratch_store_b64 off, v[6:7], s32 offset:1100 ; 8-byte Folded Spill
	s_wait_xcnt 0x0
	v_mov_b64_e32 v[6:7], 0
	scratch_store_b64 off, v[6:7], s32 offset:1108 ; 8-byte Folded Spill
	s_wait_xcnt 0x0
	v_cmpx_ne_u16_e32 0, v4
	s_cbranch_execz .LBB232_3201
; %bb.3194:                             ;   in Loop: Header=BB232_2089 Depth=1
	v_cmp_ne_u16_e64 s4, 0x80, v4
	v_mov_b64_e32 v[4:5], 0x80000000
	scratch_store_b64 off, v[4:5], s32 offset:1108 ; 8-byte Folded Spill
	s_wait_xcnt 0x0
	s_and_saveexec_b32 s18, s4
	s_cbranch_execz .LBB232_3200
; %bb.3195:                             ;   in Loop: Header=BB232_2089 Depth=1
	v_mov_b64_e32 v[6:7], 0x7f800001
	v_bfe_u32 v5, v2, 16, 7
	s_mov_b32 s19, exec_lo
	scratch_store_b64 off, v[6:7], s32 offset:1108 ; 8-byte Folded Spill
	s_wait_xcnt 0x0
	v_cmpx_ne_u32_e32 0x7f, v5
	s_cbranch_execz .LBB232_3199
; %bb.3196:                             ;   in Loop: Header=BB232_2089 Depth=1
	scratch_load_b64 v[8:9], off, s32 offset:192 th:TH_LOAD_LU ; 8-byte Folded Reload
	s_wait_loadcnt 0x0
	v_dual_lshrrev_b32 v4, 3, v5 :: v_dual_bitop2_b32 v8, 7, v3 bitop3:0x40
	s_mov_b32 s20, exec_lo
	s_wait_xcnt 0x0
	v_cmpx_gt_u32_e32 8, v5
; %bb.3197:                             ;   in Loop: Header=BB232_2089 Depth=1
	s_delay_alu instid0(VALU_DEP_2) | instskip(NEXT) | instid1(VALU_DEP_1)
	v_clz_i32_u32_e32 v4, v8
	v_min_u32_e32 v4, 32, v4
	s_delay_alu instid0(VALU_DEP_1) | instskip(NEXT) | instid1(VALU_DEP_1)
	v_subrev_nc_u32_e32 v5, 28, v4
	v_lshlrev_b64_e32 v[6:7], v5, v[8:9]
	s_delay_alu instid0(VALU_DEP_1)
	v_dual_sub_nc_u32 v4, 29, v4 :: v_dual_bitop2_b32 v8, 7, v6 bitop3:0x40
; %bb.3198:                             ;   in Loop: Header=BB232_2089 Depth=1
	s_or_b32 exec_lo, exec_lo, s20
	s_delay_alu instid0(VALU_DEP_1) | instskip(NEXT) | instid1(VALU_DEP_2)
	v_dual_lshlrev_b32 v3, 24, v3 :: v_dual_lshlrev_b32 v5, 20, v8
	v_lshl_add_u32 v4, v4, 23, 0x3c000000
	s_delay_alu instid0(VALU_DEP_2) | instskip(NEXT) | instid1(VALU_DEP_1)
	v_and_b32_e32 v3, 0x80000000, v3
	v_or3_b32 v8, v5, v3, v4
	v_mov_b32_e32 v3, v9
	s_clause 0x1
	scratch_store_b64 off, v[2:3], s32 offset:192
	scratch_store_b64 off, v[8:9], s32 offset:1108
.LBB232_3199:                           ;   in Loop: Header=BB232_2089 Depth=1
	s_wait_xcnt 0x0
	s_or_b32 exec_lo, exec_lo, s19
.LBB232_3200:                           ;   in Loop: Header=BB232_2089 Depth=1
	s_delay_alu instid0(SALU_CYCLE_1)
	s_or_b32 exec_lo, exec_lo, s18
.LBB232_3201:                           ;   in Loop: Header=BB232_2089 Depth=1
	s_delay_alu instid0(SALU_CYCLE_1) | instskip(NEXT) | instid1(SALU_CYCLE_1)
	s_or_b32 exec_lo, exec_lo, s17
	s_mov_b32 s17, exec_lo
	v_cmpx_lt_u32_e32 0xffffff, v2
	s_cbranch_execz .LBB232_3209
; %bb.3202:                             ;   in Loop: Header=BB232_2089 Depth=1
	v_mov_b64_e32 v[4:5], 0x8000000000000000
	v_lshrrev_b32_e32 v3, 24, v2
	s_mov_b32 s18, exec_lo
	scratch_store_b64 off, v[4:5], s32 offset:1100 ; 8-byte Folded Spill
	s_wait_xcnt 0x0
	v_cmpx_ne_u32_e32 0x80, v3
	s_cbranch_execz .LBB232_3208
; %bb.3203:                             ;   in Loop: Header=BB232_2089 Depth=1
	v_mov_b64_e32 v[6:7], 0x7f80000100000000
	v_bfe_u32 v4, v2, 24, 7
	s_mov_b32 s19, exec_lo
	scratch_store_b64 off, v[6:7], s32 offset:1100 ; 8-byte Folded Spill
	s_wait_xcnt 0x0
	v_cmpx_ne_u32_e32 0x7f, v4
	s_cbranch_execz .LBB232_3207
; %bb.3204:                             ;   in Loop: Header=BB232_2089 Depth=1
	scratch_load_b64 v[6:7], off, s32 offset:192 th:TH_LOAD_LU ; 8-byte Folded Reload
	s_wait_loadcnt 0x0
	v_dual_lshrrev_b32 v2, 3, v4 :: v_dual_bitop2_b32 v6, 7, v3 bitop3:0x40
	s_mov_b32 s20, exec_lo
	s_wait_xcnt 0x0
	v_cmpx_gt_u32_e32 8, v4
; %bb.3205:                             ;   in Loop: Header=BB232_2089 Depth=1
	s_delay_alu instid0(VALU_DEP_2) | instskip(NEXT) | instid1(VALU_DEP_1)
	v_clz_i32_u32_e32 v2, v6
	v_min_u32_e32 v2, 32, v2
	s_delay_alu instid0(VALU_DEP_1) | instskip(NEXT) | instid1(VALU_DEP_1)
	v_subrev_nc_u32_e32 v4, 28, v2
	v_lshlrev_b64_e32 v[4:5], v4, v[6:7]
	s_delay_alu instid0(VALU_DEP_1)
	v_dual_sub_nc_u32 v2, 29, v2 :: v_dual_bitop2_b32 v6, 7, v4 bitop3:0x40
; %bb.3206:                             ;   in Loop: Header=BB232_2089 Depth=1
	s_or_b32 exec_lo, exec_lo, s20
	s_delay_alu instid0(VALU_DEP_1) | instskip(NEXT) | instid1(VALU_DEP_2)
	v_dual_lshlrev_b32 v3, 24, v3 :: v_dual_lshlrev_b32 v4, 20, v6
	v_lshl_add_u32 v2, v2, 23, 0x3c000000
	s_delay_alu instid0(VALU_DEP_2) | instskip(NEXT) | instid1(VALU_DEP_1)
	v_and_b32_e32 v3, 0x80000000, v3
	v_or3_b32 v5, v4, v3, v2
	v_dual_mov_b32 v3, v7 :: v_dual_mov_b32 v4, v7
	s_clause 0x1
	scratch_store_b64 off, v[2:3], s32 offset:192
	scratch_store_b64 off, v[4:5], s32 offset:1100
.LBB232_3207:                           ;   in Loop: Header=BB232_2089 Depth=1
	s_wait_xcnt 0x0
	s_or_b32 exec_lo, exec_lo, s19
.LBB232_3208:                           ;   in Loop: Header=BB232_2089 Depth=1
	s_delay_alu instid0(SALU_CYCLE_1)
	s_or_b32 exec_lo, exec_lo, s18
.LBB232_3209:                           ;   in Loop: Header=BB232_2089 Depth=1
	s_delay_alu instid0(SALU_CYCLE_1)
	s_or_b32 exec_lo, exec_lo, s17
	flat_load_b32 v2, v[0:1] offset:4480
	v_mov_b64_e32 v[4:5], 0
	s_mov_b32 s17, exec_lo
	scratch_store_b64 off, v[4:5], s32 offset:1116 ; 8-byte Folded Spill
	s_wait_xcnt 0x0
	v_mov_b64_e32 v[4:5], 0
	scratch_store_b64 off, v[4:5], s32 offset:1124 ; 8-byte Folded Spill
	s_wait_loadcnt_dscnt 0x0
	v_and_b32_e32 v3, 0xff, v2
	s_wait_xcnt 0x0
	s_delay_alu instid0(VALU_DEP_1)
	v_cmpx_ne_u16_e32 0, v3
	s_cbranch_execz .LBB232_3217
; %bb.3210:                             ;   in Loop: Header=BB232_2089 Depth=1
	v_mov_b64_e32 v[4:5], 0x80000000
	s_mov_b32 s18, exec_lo
	scratch_store_b64 off, v[4:5], s32 offset:1124 ; 8-byte Folded Spill
	s_wait_xcnt 0x0
	v_cmpx_ne_u16_e32 0x80, v3
	s_cbranch_execz .LBB232_3216
; %bb.3211:                             ;   in Loop: Header=BB232_2089 Depth=1
	v_mov_b64_e32 v[6:7], 0x7f800001
	v_and_b32_e32 v4, 0x7f, v2
	s_mov_b32 s19, exec_lo
	scratch_store_b64 off, v[6:7], s32 offset:1124 ; 8-byte Folded Spill
	s_wait_xcnt 0x0
	v_cmpx_ne_u32_e32 0x7f, v4
	s_cbranch_execz .LBB232_3215
; %bb.3212:                             ;   in Loop: Header=BB232_2089 Depth=1
	scratch_load_b64 v[6:7], off, s32 offset:192 th:TH_LOAD_LU ; 8-byte Folded Reload
	s_wait_loadcnt 0x0
	v_dual_lshrrev_b32 v3, 3, v4 :: v_dual_bitop2_b32 v6, 7, v2 bitop3:0x40
	s_mov_b32 s20, exec_lo
	s_wait_xcnt 0x0
	v_cmpx_gt_u32_e32 8, v4
; %bb.3213:                             ;   in Loop: Header=BB232_2089 Depth=1
	s_delay_alu instid0(VALU_DEP_2) | instskip(NEXT) | instid1(VALU_DEP_1)
	v_clz_i32_u32_e32 v3, v6
	v_min_u32_e32 v3, 32, v3
	s_delay_alu instid0(VALU_DEP_1) | instskip(NEXT) | instid1(VALU_DEP_1)
	v_subrev_nc_u32_e32 v4, 28, v3
	v_lshlrev_b64_e32 v[4:5], v4, v[6:7]
	s_delay_alu instid0(VALU_DEP_1)
	v_dual_sub_nc_u32 v3, 29, v3 :: v_dual_bitop2_b32 v6, 7, v4 bitop3:0x40
; %bb.3214:                             ;   in Loop: Header=BB232_2089 Depth=1
	s_or_b32 exec_lo, exec_lo, s20
	v_lshlrev_b32_e32 v4, 24, v2
	s_delay_alu instid0(VALU_DEP_2) | instskip(NEXT) | instid1(VALU_DEP_3)
	v_lshlrev_b32_e32 v5, 20, v6
	v_lshl_add_u32 v3, v3, 23, 0x3c000000
	s_delay_alu instid0(VALU_DEP_3) | instskip(NEXT) | instid1(VALU_DEP_1)
	v_and_b32_e32 v4, 0x80000000, v4
	v_or3_b32 v6, v5, v4, v3
	v_mov_b32_e32 v3, v7
	s_clause 0x1
	scratch_store_b64 off, v[2:3], s32 offset:192
	scratch_store_b64 off, v[6:7], s32 offset:1124
.LBB232_3215:                           ;   in Loop: Header=BB232_2089 Depth=1
	s_wait_xcnt 0x0
	s_or_b32 exec_lo, exec_lo, s19
.LBB232_3216:                           ;   in Loop: Header=BB232_2089 Depth=1
	s_delay_alu instid0(SALU_CYCLE_1)
	s_or_b32 exec_lo, exec_lo, s18
.LBB232_3217:                           ;   in Loop: Header=BB232_2089 Depth=1
	s_delay_alu instid0(SALU_CYCLE_1) | instskip(SKIP_2) | instid1(VALU_DEP_1)
	s_or_b32 exec_lo, exec_lo, s17
	v_lshrrev_b16 v3, 8, v2
	s_mov_b32 s17, exec_lo
	v_cmpx_ne_u16_e32 0, v3
	s_cbranch_execz .LBB232_3225
; %bb.3218:                             ;   in Loop: Header=BB232_2089 Depth=1
	v_mov_b64_e32 v[4:5], 0x8000000000000000
	s_mov_b32 s18, exec_lo
	scratch_store_b64 off, v[4:5], s32 offset:1116 ; 8-byte Folded Spill
	s_wait_xcnt 0x0
	v_cmpx_ne_u16_e32 0x80, v3
	s_cbranch_execz .LBB232_3224
; %bb.3219:                             ;   in Loop: Header=BB232_2089 Depth=1
	v_and_b32_e32 v3, 0xffff, v3
	v_mov_b64_e32 v[6:7], 0x7f80000100000000
	s_mov_b32 s19, exec_lo
	s_delay_alu instid0(VALU_DEP_2)
	v_and_b32_e32 v4, 0x7f, v3
	scratch_store_b64 off, v[6:7], s32 offset:1116 ; 8-byte Folded Spill
	s_wait_xcnt 0x0
	v_cmpx_ne_u32_e32 0x7f, v4
	s_cbranch_execz .LBB232_3223
; %bb.3220:                             ;   in Loop: Header=BB232_2089 Depth=1
	scratch_load_b64 v[6:7], off, s32 offset:192 th:TH_LOAD_LU ; 8-byte Folded Reload
	s_wait_loadcnt 0x0
	v_dual_lshrrev_b32 v3, 3, v4 :: v_dual_bitop2_b32 v6, 7, v3 bitop3:0x40
	s_mov_b32 s20, exec_lo
	s_wait_xcnt 0x0
	v_cmpx_gt_u32_e32 8, v4
; %bb.3221:                             ;   in Loop: Header=BB232_2089 Depth=1
	s_delay_alu instid0(VALU_DEP_2) | instskip(NEXT) | instid1(VALU_DEP_1)
	v_clz_i32_u32_e32 v3, v6
	v_min_u32_e32 v3, 32, v3
	s_delay_alu instid0(VALU_DEP_1) | instskip(NEXT) | instid1(VALU_DEP_1)
	v_subrev_nc_u32_e32 v4, 28, v3
	v_lshlrev_b64_e32 v[4:5], v4, v[6:7]
	s_delay_alu instid0(VALU_DEP_1)
	v_dual_sub_nc_u32 v3, 29, v3 :: v_dual_bitop2_b32 v6, 7, v4 bitop3:0x40
; %bb.3222:                             ;   in Loop: Header=BB232_2089 Depth=1
	s_or_b32 exec_lo, exec_lo, s20
	v_lshlrev_b32_e32 v4, 16, v2
	s_delay_alu instid0(VALU_DEP_2) | instskip(NEXT) | instid1(VALU_DEP_3)
	v_lshlrev_b32_e32 v5, 20, v6
	v_lshl_add_u32 v3, v3, 23, 0x3c000000
	s_delay_alu instid0(VALU_DEP_3) | instskip(NEXT) | instid1(VALU_DEP_1)
	v_and_b32_e32 v4, 0x80000000, v4
	v_or3_b32 v5, v5, v4, v3
	v_dual_mov_b32 v3, v7 :: v_dual_mov_b32 v4, v7
	s_clause 0x1
	scratch_store_b64 off, v[2:3], s32 offset:192
	scratch_store_b64 off, v[4:5], s32 offset:1116
.LBB232_3223:                           ;   in Loop: Header=BB232_2089 Depth=1
	s_wait_xcnt 0x0
	s_or_b32 exec_lo, exec_lo, s19
.LBB232_3224:                           ;   in Loop: Header=BB232_2089 Depth=1
	s_delay_alu instid0(SALU_CYCLE_1)
	s_or_b32 exec_lo, exec_lo, s18
.LBB232_3225:                           ;   in Loop: Header=BB232_2089 Depth=1
	s_delay_alu instid0(SALU_CYCLE_1) | instskip(SKIP_3) | instid1(VALU_DEP_1)
	s_or_b32 exec_lo, exec_lo, s17
	v_mov_b64_e32 v[6:7], 0
	v_lshrrev_b32_e32 v3, 16, v2
	s_mov_b32 s17, exec_lo
	v_and_b32_e32 v4, 0xff, v3
	scratch_store_b64 off, v[6:7], s32 offset:1132 ; 8-byte Folded Spill
	s_wait_xcnt 0x0
	v_mov_b64_e32 v[6:7], 0
	scratch_store_b64 off, v[6:7], s32 offset:1140 ; 8-byte Folded Spill
	s_wait_xcnt 0x0
	v_cmpx_ne_u16_e32 0, v4
	s_cbranch_execz .LBB232_3233
; %bb.3226:                             ;   in Loop: Header=BB232_2089 Depth=1
	v_cmp_ne_u16_e64 s4, 0x80, v4
	v_mov_b64_e32 v[4:5], 0x80000000
	scratch_store_b64 off, v[4:5], s32 offset:1140 ; 8-byte Folded Spill
	s_wait_xcnt 0x0
	s_and_saveexec_b32 s18, s4
	s_cbranch_execz .LBB232_3232
; %bb.3227:                             ;   in Loop: Header=BB232_2089 Depth=1
	v_mov_b64_e32 v[6:7], 0x7f800001
	v_bfe_u32 v5, v2, 16, 7
	s_mov_b32 s19, exec_lo
	scratch_store_b64 off, v[6:7], s32 offset:1140 ; 8-byte Folded Spill
	s_wait_xcnt 0x0
	v_cmpx_ne_u32_e32 0x7f, v5
	s_cbranch_execz .LBB232_3231
; %bb.3228:                             ;   in Loop: Header=BB232_2089 Depth=1
	scratch_load_b64 v[8:9], off, s32 offset:192 th:TH_LOAD_LU ; 8-byte Folded Reload
	s_wait_loadcnt 0x0
	v_dual_lshrrev_b32 v4, 3, v5 :: v_dual_bitop2_b32 v8, 7, v3 bitop3:0x40
	s_mov_b32 s20, exec_lo
	s_wait_xcnt 0x0
	v_cmpx_gt_u32_e32 8, v5
; %bb.3229:                             ;   in Loop: Header=BB232_2089 Depth=1
	s_delay_alu instid0(VALU_DEP_2) | instskip(NEXT) | instid1(VALU_DEP_1)
	v_clz_i32_u32_e32 v4, v8
	v_min_u32_e32 v4, 32, v4
	s_delay_alu instid0(VALU_DEP_1) | instskip(NEXT) | instid1(VALU_DEP_1)
	v_subrev_nc_u32_e32 v5, 28, v4
	v_lshlrev_b64_e32 v[6:7], v5, v[8:9]
	s_delay_alu instid0(VALU_DEP_1)
	v_dual_sub_nc_u32 v4, 29, v4 :: v_dual_bitop2_b32 v8, 7, v6 bitop3:0x40
; %bb.3230:                             ;   in Loop: Header=BB232_2089 Depth=1
	s_or_b32 exec_lo, exec_lo, s20
	s_delay_alu instid0(VALU_DEP_1) | instskip(NEXT) | instid1(VALU_DEP_2)
	v_dual_lshlrev_b32 v3, 24, v3 :: v_dual_lshlrev_b32 v5, 20, v8
	v_lshl_add_u32 v4, v4, 23, 0x3c000000
	s_delay_alu instid0(VALU_DEP_2) | instskip(NEXT) | instid1(VALU_DEP_1)
	v_and_b32_e32 v3, 0x80000000, v3
	v_or3_b32 v8, v5, v3, v4
	v_mov_b32_e32 v3, v9
	s_clause 0x1
	scratch_store_b64 off, v[2:3], s32 offset:192
	scratch_store_b64 off, v[8:9], s32 offset:1140
.LBB232_3231:                           ;   in Loop: Header=BB232_2089 Depth=1
	s_wait_xcnt 0x0
	s_or_b32 exec_lo, exec_lo, s19
.LBB232_3232:                           ;   in Loop: Header=BB232_2089 Depth=1
	s_delay_alu instid0(SALU_CYCLE_1)
	s_or_b32 exec_lo, exec_lo, s18
.LBB232_3233:                           ;   in Loop: Header=BB232_2089 Depth=1
	s_delay_alu instid0(SALU_CYCLE_1) | instskip(NEXT) | instid1(SALU_CYCLE_1)
	s_or_b32 exec_lo, exec_lo, s17
	s_mov_b32 s17, exec_lo
	v_cmpx_lt_u32_e32 0xffffff, v2
	s_cbranch_execz .LBB232_3241
; %bb.3234:                             ;   in Loop: Header=BB232_2089 Depth=1
	v_mov_b64_e32 v[4:5], 0x8000000000000000
	v_lshrrev_b32_e32 v3, 24, v2
	s_mov_b32 s18, exec_lo
	scratch_store_b64 off, v[4:5], s32 offset:1132 ; 8-byte Folded Spill
	s_wait_xcnt 0x0
	v_cmpx_ne_u32_e32 0x80, v3
	s_cbranch_execz .LBB232_3240
; %bb.3235:                             ;   in Loop: Header=BB232_2089 Depth=1
	v_mov_b64_e32 v[6:7], 0x7f80000100000000
	v_bfe_u32 v4, v2, 24, 7
	s_mov_b32 s19, exec_lo
	scratch_store_b64 off, v[6:7], s32 offset:1132 ; 8-byte Folded Spill
	s_wait_xcnt 0x0
	v_cmpx_ne_u32_e32 0x7f, v4
	s_cbranch_execz .LBB232_3239
; %bb.3236:                             ;   in Loop: Header=BB232_2089 Depth=1
	scratch_load_b64 v[6:7], off, s32 offset:192 th:TH_LOAD_LU ; 8-byte Folded Reload
	s_wait_loadcnt 0x0
	v_dual_lshrrev_b32 v2, 3, v4 :: v_dual_bitop2_b32 v6, 7, v3 bitop3:0x40
	s_mov_b32 s20, exec_lo
	s_wait_xcnt 0x0
	v_cmpx_gt_u32_e32 8, v4
; %bb.3237:                             ;   in Loop: Header=BB232_2089 Depth=1
	s_delay_alu instid0(VALU_DEP_2) | instskip(NEXT) | instid1(VALU_DEP_1)
	v_clz_i32_u32_e32 v2, v6
	v_min_u32_e32 v2, 32, v2
	s_delay_alu instid0(VALU_DEP_1) | instskip(NEXT) | instid1(VALU_DEP_1)
	v_subrev_nc_u32_e32 v4, 28, v2
	v_lshlrev_b64_e32 v[4:5], v4, v[6:7]
	s_delay_alu instid0(VALU_DEP_1)
	v_dual_sub_nc_u32 v2, 29, v2 :: v_dual_bitop2_b32 v6, 7, v4 bitop3:0x40
; %bb.3238:                             ;   in Loop: Header=BB232_2089 Depth=1
	s_or_b32 exec_lo, exec_lo, s20
	s_delay_alu instid0(VALU_DEP_1) | instskip(NEXT) | instid1(VALU_DEP_2)
	v_dual_lshlrev_b32 v3, 24, v3 :: v_dual_lshlrev_b32 v4, 20, v6
	v_lshl_add_u32 v2, v2, 23, 0x3c000000
	s_delay_alu instid0(VALU_DEP_2) | instskip(NEXT) | instid1(VALU_DEP_1)
	v_and_b32_e32 v3, 0x80000000, v3
	v_or3_b32 v5, v4, v3, v2
	v_dual_mov_b32 v3, v7 :: v_dual_mov_b32 v4, v7
	s_clause 0x1
	scratch_store_b64 off, v[2:3], s32 offset:192
	scratch_store_b64 off, v[4:5], s32 offset:1132
.LBB232_3239:                           ;   in Loop: Header=BB232_2089 Depth=1
	s_wait_xcnt 0x0
	s_or_b32 exec_lo, exec_lo, s19
.LBB232_3240:                           ;   in Loop: Header=BB232_2089 Depth=1
	s_delay_alu instid0(SALU_CYCLE_1)
	s_or_b32 exec_lo, exec_lo, s18
.LBB232_3241:                           ;   in Loop: Header=BB232_2089 Depth=1
	s_delay_alu instid0(SALU_CYCLE_1)
	s_or_b32 exec_lo, exec_lo, s17
	flat_load_b32 v2, v[0:1] offset:4608
	v_mov_b64_e32 v[4:5], 0
	s_mov_b32 s17, exec_lo
	scratch_store_b64 off, v[4:5], s32 offset:1148 ; 8-byte Folded Spill
	s_wait_xcnt 0x0
	v_mov_b64_e32 v[4:5], 0
	scratch_store_b64 off, v[4:5], s32 offset:1156 ; 8-byte Folded Spill
	s_wait_loadcnt_dscnt 0x0
	v_and_b32_e32 v3, 0xff, v2
	s_wait_xcnt 0x0
	s_delay_alu instid0(VALU_DEP_1)
	v_cmpx_ne_u16_e32 0, v3
	s_cbranch_execz .LBB232_3249
; %bb.3242:                             ;   in Loop: Header=BB232_2089 Depth=1
	v_mov_b64_e32 v[4:5], 0x80000000
	s_mov_b32 s18, exec_lo
	scratch_store_b64 off, v[4:5], s32 offset:1156 ; 8-byte Folded Spill
	s_wait_xcnt 0x0
	v_cmpx_ne_u16_e32 0x80, v3
	s_cbranch_execz .LBB232_3248
; %bb.3243:                             ;   in Loop: Header=BB232_2089 Depth=1
	v_mov_b64_e32 v[6:7], 0x7f800001
	v_and_b32_e32 v4, 0x7f, v2
	s_mov_b32 s19, exec_lo
	scratch_store_b64 off, v[6:7], s32 offset:1156 ; 8-byte Folded Spill
	s_wait_xcnt 0x0
	v_cmpx_ne_u32_e32 0x7f, v4
	s_cbranch_execz .LBB232_3247
; %bb.3244:                             ;   in Loop: Header=BB232_2089 Depth=1
	scratch_load_b64 v[6:7], off, s32 offset:192 th:TH_LOAD_LU ; 8-byte Folded Reload
	s_wait_loadcnt 0x0
	v_dual_lshrrev_b32 v3, 3, v4 :: v_dual_bitop2_b32 v6, 7, v2 bitop3:0x40
	s_mov_b32 s20, exec_lo
	s_wait_xcnt 0x0
	v_cmpx_gt_u32_e32 8, v4
; %bb.3245:                             ;   in Loop: Header=BB232_2089 Depth=1
	s_delay_alu instid0(VALU_DEP_2) | instskip(NEXT) | instid1(VALU_DEP_1)
	v_clz_i32_u32_e32 v3, v6
	v_min_u32_e32 v3, 32, v3
	s_delay_alu instid0(VALU_DEP_1) | instskip(NEXT) | instid1(VALU_DEP_1)
	v_subrev_nc_u32_e32 v4, 28, v3
	v_lshlrev_b64_e32 v[4:5], v4, v[6:7]
	s_delay_alu instid0(VALU_DEP_1)
	v_dual_sub_nc_u32 v3, 29, v3 :: v_dual_bitop2_b32 v6, 7, v4 bitop3:0x40
; %bb.3246:                             ;   in Loop: Header=BB232_2089 Depth=1
	s_or_b32 exec_lo, exec_lo, s20
	v_lshlrev_b32_e32 v4, 24, v2
	s_delay_alu instid0(VALU_DEP_2) | instskip(NEXT) | instid1(VALU_DEP_3)
	v_lshlrev_b32_e32 v5, 20, v6
	v_lshl_add_u32 v3, v3, 23, 0x3c000000
	s_delay_alu instid0(VALU_DEP_3) | instskip(NEXT) | instid1(VALU_DEP_1)
	v_and_b32_e32 v4, 0x80000000, v4
	v_or3_b32 v6, v5, v4, v3
	v_mov_b32_e32 v3, v7
	s_clause 0x1
	scratch_store_b64 off, v[2:3], s32 offset:192
	scratch_store_b64 off, v[6:7], s32 offset:1156
.LBB232_3247:                           ;   in Loop: Header=BB232_2089 Depth=1
	s_wait_xcnt 0x0
	s_or_b32 exec_lo, exec_lo, s19
.LBB232_3248:                           ;   in Loop: Header=BB232_2089 Depth=1
	s_delay_alu instid0(SALU_CYCLE_1)
	s_or_b32 exec_lo, exec_lo, s18
.LBB232_3249:                           ;   in Loop: Header=BB232_2089 Depth=1
	s_delay_alu instid0(SALU_CYCLE_1) | instskip(SKIP_2) | instid1(VALU_DEP_1)
	s_or_b32 exec_lo, exec_lo, s17
	v_lshrrev_b16 v3, 8, v2
	s_mov_b32 s17, exec_lo
	v_cmpx_ne_u16_e32 0, v3
	s_cbranch_execz .LBB232_3257
; %bb.3250:                             ;   in Loop: Header=BB232_2089 Depth=1
	v_mov_b64_e32 v[4:5], 0x8000000000000000
	s_mov_b32 s18, exec_lo
	scratch_store_b64 off, v[4:5], s32 offset:1148 ; 8-byte Folded Spill
	s_wait_xcnt 0x0
	v_cmpx_ne_u16_e32 0x80, v3
	s_cbranch_execz .LBB232_3256
; %bb.3251:                             ;   in Loop: Header=BB232_2089 Depth=1
	v_and_b32_e32 v3, 0xffff, v3
	v_mov_b64_e32 v[6:7], 0x7f80000100000000
	s_mov_b32 s19, exec_lo
	s_delay_alu instid0(VALU_DEP_2)
	v_and_b32_e32 v4, 0x7f, v3
	scratch_store_b64 off, v[6:7], s32 offset:1148 ; 8-byte Folded Spill
	s_wait_xcnt 0x0
	v_cmpx_ne_u32_e32 0x7f, v4
	s_cbranch_execz .LBB232_3255
; %bb.3252:                             ;   in Loop: Header=BB232_2089 Depth=1
	scratch_load_b64 v[6:7], off, s32 offset:192 th:TH_LOAD_LU ; 8-byte Folded Reload
	s_wait_loadcnt 0x0
	v_dual_lshrrev_b32 v3, 3, v4 :: v_dual_bitop2_b32 v6, 7, v3 bitop3:0x40
	s_mov_b32 s20, exec_lo
	s_wait_xcnt 0x0
	v_cmpx_gt_u32_e32 8, v4
; %bb.3253:                             ;   in Loop: Header=BB232_2089 Depth=1
	s_delay_alu instid0(VALU_DEP_2) | instskip(NEXT) | instid1(VALU_DEP_1)
	v_clz_i32_u32_e32 v3, v6
	v_min_u32_e32 v3, 32, v3
	s_delay_alu instid0(VALU_DEP_1) | instskip(NEXT) | instid1(VALU_DEP_1)
	v_subrev_nc_u32_e32 v4, 28, v3
	v_lshlrev_b64_e32 v[4:5], v4, v[6:7]
	s_delay_alu instid0(VALU_DEP_1)
	v_dual_sub_nc_u32 v3, 29, v3 :: v_dual_bitop2_b32 v6, 7, v4 bitop3:0x40
; %bb.3254:                             ;   in Loop: Header=BB232_2089 Depth=1
	s_or_b32 exec_lo, exec_lo, s20
	v_lshlrev_b32_e32 v4, 16, v2
	s_delay_alu instid0(VALU_DEP_2) | instskip(NEXT) | instid1(VALU_DEP_3)
	v_lshlrev_b32_e32 v5, 20, v6
	v_lshl_add_u32 v3, v3, 23, 0x3c000000
	s_delay_alu instid0(VALU_DEP_3) | instskip(NEXT) | instid1(VALU_DEP_1)
	v_and_b32_e32 v4, 0x80000000, v4
	v_or3_b32 v5, v5, v4, v3
	v_dual_mov_b32 v3, v7 :: v_dual_mov_b32 v4, v7
	s_clause 0x1
	scratch_store_b64 off, v[2:3], s32 offset:192
	scratch_store_b64 off, v[4:5], s32 offset:1148
.LBB232_3255:                           ;   in Loop: Header=BB232_2089 Depth=1
	s_wait_xcnt 0x0
	s_or_b32 exec_lo, exec_lo, s19
.LBB232_3256:                           ;   in Loop: Header=BB232_2089 Depth=1
	s_delay_alu instid0(SALU_CYCLE_1)
	s_or_b32 exec_lo, exec_lo, s18
.LBB232_3257:                           ;   in Loop: Header=BB232_2089 Depth=1
	s_delay_alu instid0(SALU_CYCLE_1) | instskip(SKIP_3) | instid1(VALU_DEP_1)
	s_or_b32 exec_lo, exec_lo, s17
	v_mov_b64_e32 v[6:7], 0
	v_lshrrev_b32_e32 v3, 16, v2
	s_mov_b32 s17, exec_lo
	v_and_b32_e32 v4, 0xff, v3
	scratch_store_b64 off, v[6:7], s32 offset:1164 ; 8-byte Folded Spill
	s_wait_xcnt 0x0
	v_mov_b64_e32 v[6:7], 0
	scratch_store_b64 off, v[6:7], s32 offset:1172 ; 8-byte Folded Spill
	s_wait_xcnt 0x0
	v_cmpx_ne_u16_e32 0, v4
	s_cbranch_execz .LBB232_3265
; %bb.3258:                             ;   in Loop: Header=BB232_2089 Depth=1
	v_cmp_ne_u16_e64 s4, 0x80, v4
	v_mov_b64_e32 v[4:5], 0x80000000
	scratch_store_b64 off, v[4:5], s32 offset:1172 ; 8-byte Folded Spill
	s_wait_xcnt 0x0
	s_and_saveexec_b32 s18, s4
	s_cbranch_execz .LBB232_3264
; %bb.3259:                             ;   in Loop: Header=BB232_2089 Depth=1
	v_mov_b64_e32 v[6:7], 0x7f800001
	v_bfe_u32 v5, v2, 16, 7
	s_mov_b32 s19, exec_lo
	scratch_store_b64 off, v[6:7], s32 offset:1172 ; 8-byte Folded Spill
	s_wait_xcnt 0x0
	v_cmpx_ne_u32_e32 0x7f, v5
	s_cbranch_execz .LBB232_3263
; %bb.3260:                             ;   in Loop: Header=BB232_2089 Depth=1
	scratch_load_b64 v[8:9], off, s32 offset:192 th:TH_LOAD_LU ; 8-byte Folded Reload
	s_wait_loadcnt 0x0
	v_dual_lshrrev_b32 v4, 3, v5 :: v_dual_bitop2_b32 v8, 7, v3 bitop3:0x40
	s_mov_b32 s20, exec_lo
	s_wait_xcnt 0x0
	v_cmpx_gt_u32_e32 8, v5
; %bb.3261:                             ;   in Loop: Header=BB232_2089 Depth=1
	s_delay_alu instid0(VALU_DEP_2) | instskip(NEXT) | instid1(VALU_DEP_1)
	v_clz_i32_u32_e32 v4, v8
	v_min_u32_e32 v4, 32, v4
	s_delay_alu instid0(VALU_DEP_1) | instskip(NEXT) | instid1(VALU_DEP_1)
	v_subrev_nc_u32_e32 v5, 28, v4
	v_lshlrev_b64_e32 v[6:7], v5, v[8:9]
	s_delay_alu instid0(VALU_DEP_1)
	v_dual_sub_nc_u32 v4, 29, v4 :: v_dual_bitop2_b32 v8, 7, v6 bitop3:0x40
; %bb.3262:                             ;   in Loop: Header=BB232_2089 Depth=1
	s_or_b32 exec_lo, exec_lo, s20
	s_delay_alu instid0(VALU_DEP_1) | instskip(NEXT) | instid1(VALU_DEP_2)
	v_dual_lshlrev_b32 v3, 24, v3 :: v_dual_lshlrev_b32 v5, 20, v8
	v_lshl_add_u32 v4, v4, 23, 0x3c000000
	s_delay_alu instid0(VALU_DEP_2) | instskip(NEXT) | instid1(VALU_DEP_1)
	v_and_b32_e32 v3, 0x80000000, v3
	v_or3_b32 v8, v5, v3, v4
	v_mov_b32_e32 v3, v9
	s_clause 0x1
	scratch_store_b64 off, v[2:3], s32 offset:192
	scratch_store_b64 off, v[8:9], s32 offset:1172
.LBB232_3263:                           ;   in Loop: Header=BB232_2089 Depth=1
	s_wait_xcnt 0x0
	s_or_b32 exec_lo, exec_lo, s19
.LBB232_3264:                           ;   in Loop: Header=BB232_2089 Depth=1
	s_delay_alu instid0(SALU_CYCLE_1)
	s_or_b32 exec_lo, exec_lo, s18
.LBB232_3265:                           ;   in Loop: Header=BB232_2089 Depth=1
	s_delay_alu instid0(SALU_CYCLE_1) | instskip(NEXT) | instid1(SALU_CYCLE_1)
	s_or_b32 exec_lo, exec_lo, s17
	s_mov_b32 s17, exec_lo
	v_cmpx_lt_u32_e32 0xffffff, v2
	s_cbranch_execz .LBB232_3273
; %bb.3266:                             ;   in Loop: Header=BB232_2089 Depth=1
	v_mov_b64_e32 v[4:5], 0x8000000000000000
	v_lshrrev_b32_e32 v3, 24, v2
	s_mov_b32 s18, exec_lo
	scratch_store_b64 off, v[4:5], s32 offset:1164 ; 8-byte Folded Spill
	s_wait_xcnt 0x0
	v_cmpx_ne_u32_e32 0x80, v3
	s_cbranch_execz .LBB232_3272
; %bb.3267:                             ;   in Loop: Header=BB232_2089 Depth=1
	v_mov_b64_e32 v[6:7], 0x7f80000100000000
	v_bfe_u32 v4, v2, 24, 7
	s_mov_b32 s19, exec_lo
	scratch_store_b64 off, v[6:7], s32 offset:1164 ; 8-byte Folded Spill
	s_wait_xcnt 0x0
	v_cmpx_ne_u32_e32 0x7f, v4
	s_cbranch_execz .LBB232_3271
; %bb.3268:                             ;   in Loop: Header=BB232_2089 Depth=1
	scratch_load_b64 v[6:7], off, s32 offset:192 th:TH_LOAD_LU ; 8-byte Folded Reload
	s_wait_loadcnt 0x0
	v_dual_lshrrev_b32 v2, 3, v4 :: v_dual_bitop2_b32 v6, 7, v3 bitop3:0x40
	s_mov_b32 s20, exec_lo
	s_wait_xcnt 0x0
	v_cmpx_gt_u32_e32 8, v4
; %bb.3269:                             ;   in Loop: Header=BB232_2089 Depth=1
	s_delay_alu instid0(VALU_DEP_2) | instskip(NEXT) | instid1(VALU_DEP_1)
	v_clz_i32_u32_e32 v2, v6
	v_min_u32_e32 v2, 32, v2
	s_delay_alu instid0(VALU_DEP_1) | instskip(NEXT) | instid1(VALU_DEP_1)
	v_subrev_nc_u32_e32 v4, 28, v2
	v_lshlrev_b64_e32 v[4:5], v4, v[6:7]
	s_delay_alu instid0(VALU_DEP_1)
	v_dual_sub_nc_u32 v2, 29, v2 :: v_dual_bitop2_b32 v6, 7, v4 bitop3:0x40
; %bb.3270:                             ;   in Loop: Header=BB232_2089 Depth=1
	s_or_b32 exec_lo, exec_lo, s20
	s_delay_alu instid0(VALU_DEP_1) | instskip(NEXT) | instid1(VALU_DEP_2)
	v_dual_lshlrev_b32 v3, 24, v3 :: v_dual_lshlrev_b32 v4, 20, v6
	v_lshl_add_u32 v2, v2, 23, 0x3c000000
	s_delay_alu instid0(VALU_DEP_2) | instskip(NEXT) | instid1(VALU_DEP_1)
	v_and_b32_e32 v3, 0x80000000, v3
	v_or3_b32 v5, v4, v3, v2
	v_dual_mov_b32 v3, v7 :: v_dual_mov_b32 v4, v7
	s_clause 0x1
	scratch_store_b64 off, v[2:3], s32 offset:192
	scratch_store_b64 off, v[4:5], s32 offset:1164
.LBB232_3271:                           ;   in Loop: Header=BB232_2089 Depth=1
	s_wait_xcnt 0x0
	s_or_b32 exec_lo, exec_lo, s19
.LBB232_3272:                           ;   in Loop: Header=BB232_2089 Depth=1
	s_delay_alu instid0(SALU_CYCLE_1)
	s_or_b32 exec_lo, exec_lo, s18
.LBB232_3273:                           ;   in Loop: Header=BB232_2089 Depth=1
	s_delay_alu instid0(SALU_CYCLE_1)
	s_or_b32 exec_lo, exec_lo, s17
	flat_load_b32 v2, v[0:1] offset:4736
	v_mov_b64_e32 v[4:5], 0
	s_mov_b32 s17, exec_lo
	scratch_store_b64 off, v[4:5], s32 offset:1180 ; 8-byte Folded Spill
	s_wait_xcnt 0x0
	v_mov_b64_e32 v[4:5], 0
	scratch_store_b64 off, v[4:5], s32 offset:1188 ; 8-byte Folded Spill
	s_wait_loadcnt_dscnt 0x0
	v_and_b32_e32 v3, 0xff, v2
	s_wait_xcnt 0x0
	s_delay_alu instid0(VALU_DEP_1)
	v_cmpx_ne_u16_e32 0, v3
	s_cbranch_execz .LBB232_3281
; %bb.3274:                             ;   in Loop: Header=BB232_2089 Depth=1
	v_mov_b64_e32 v[4:5], 0x80000000
	s_mov_b32 s18, exec_lo
	scratch_store_b64 off, v[4:5], s32 offset:1188 ; 8-byte Folded Spill
	s_wait_xcnt 0x0
	v_cmpx_ne_u16_e32 0x80, v3
	s_cbranch_execz .LBB232_3280
; %bb.3275:                             ;   in Loop: Header=BB232_2089 Depth=1
	v_mov_b64_e32 v[6:7], 0x7f800001
	v_and_b32_e32 v4, 0x7f, v2
	s_mov_b32 s19, exec_lo
	scratch_store_b64 off, v[6:7], s32 offset:1188 ; 8-byte Folded Spill
	s_wait_xcnt 0x0
	v_cmpx_ne_u32_e32 0x7f, v4
	s_cbranch_execz .LBB232_3279
; %bb.3276:                             ;   in Loop: Header=BB232_2089 Depth=1
	scratch_load_b64 v[6:7], off, s32 offset:192 th:TH_LOAD_LU ; 8-byte Folded Reload
	s_wait_loadcnt 0x0
	v_dual_lshrrev_b32 v3, 3, v4 :: v_dual_bitop2_b32 v6, 7, v2 bitop3:0x40
	s_mov_b32 s20, exec_lo
	s_wait_xcnt 0x0
	v_cmpx_gt_u32_e32 8, v4
; %bb.3277:                             ;   in Loop: Header=BB232_2089 Depth=1
	s_delay_alu instid0(VALU_DEP_2) | instskip(NEXT) | instid1(VALU_DEP_1)
	v_clz_i32_u32_e32 v3, v6
	v_min_u32_e32 v3, 32, v3
	s_delay_alu instid0(VALU_DEP_1) | instskip(NEXT) | instid1(VALU_DEP_1)
	v_subrev_nc_u32_e32 v4, 28, v3
	v_lshlrev_b64_e32 v[4:5], v4, v[6:7]
	s_delay_alu instid0(VALU_DEP_1)
	v_dual_sub_nc_u32 v3, 29, v3 :: v_dual_bitop2_b32 v6, 7, v4 bitop3:0x40
; %bb.3278:                             ;   in Loop: Header=BB232_2089 Depth=1
	s_or_b32 exec_lo, exec_lo, s20
	v_lshlrev_b32_e32 v4, 24, v2
	s_delay_alu instid0(VALU_DEP_2) | instskip(NEXT) | instid1(VALU_DEP_3)
	v_lshlrev_b32_e32 v5, 20, v6
	v_lshl_add_u32 v3, v3, 23, 0x3c000000
	s_delay_alu instid0(VALU_DEP_3) | instskip(NEXT) | instid1(VALU_DEP_1)
	v_and_b32_e32 v4, 0x80000000, v4
	v_or3_b32 v6, v5, v4, v3
	v_mov_b32_e32 v3, v7
	s_clause 0x1
	scratch_store_b64 off, v[2:3], s32 offset:192
	scratch_store_b64 off, v[6:7], s32 offset:1188
.LBB232_3279:                           ;   in Loop: Header=BB232_2089 Depth=1
	s_wait_xcnt 0x0
	s_or_b32 exec_lo, exec_lo, s19
.LBB232_3280:                           ;   in Loop: Header=BB232_2089 Depth=1
	s_delay_alu instid0(SALU_CYCLE_1)
	s_or_b32 exec_lo, exec_lo, s18
.LBB232_3281:                           ;   in Loop: Header=BB232_2089 Depth=1
	s_delay_alu instid0(SALU_CYCLE_1) | instskip(SKIP_2) | instid1(VALU_DEP_1)
	s_or_b32 exec_lo, exec_lo, s17
	v_lshrrev_b16 v3, 8, v2
	s_mov_b32 s17, exec_lo
	v_cmpx_ne_u16_e32 0, v3
	s_cbranch_execz .LBB232_3289
; %bb.3282:                             ;   in Loop: Header=BB232_2089 Depth=1
	v_mov_b64_e32 v[4:5], 0x8000000000000000
	s_mov_b32 s18, exec_lo
	scratch_store_b64 off, v[4:5], s32 offset:1180 ; 8-byte Folded Spill
	s_wait_xcnt 0x0
	v_cmpx_ne_u16_e32 0x80, v3
	s_cbranch_execz .LBB232_3288
; %bb.3283:                             ;   in Loop: Header=BB232_2089 Depth=1
	v_and_b32_e32 v3, 0xffff, v3
	v_mov_b64_e32 v[6:7], 0x7f80000100000000
	s_mov_b32 s19, exec_lo
	s_delay_alu instid0(VALU_DEP_2)
	v_and_b32_e32 v4, 0x7f, v3
	scratch_store_b64 off, v[6:7], s32 offset:1180 ; 8-byte Folded Spill
	s_wait_xcnt 0x0
	v_cmpx_ne_u32_e32 0x7f, v4
	s_cbranch_execz .LBB232_3287
; %bb.3284:                             ;   in Loop: Header=BB232_2089 Depth=1
	scratch_load_b64 v[6:7], off, s32 offset:192 th:TH_LOAD_LU ; 8-byte Folded Reload
	s_wait_loadcnt 0x0
	v_dual_lshrrev_b32 v3, 3, v4 :: v_dual_bitop2_b32 v6, 7, v3 bitop3:0x40
	s_mov_b32 s20, exec_lo
	s_wait_xcnt 0x0
	v_cmpx_gt_u32_e32 8, v4
; %bb.3285:                             ;   in Loop: Header=BB232_2089 Depth=1
	s_delay_alu instid0(VALU_DEP_2) | instskip(NEXT) | instid1(VALU_DEP_1)
	v_clz_i32_u32_e32 v3, v6
	v_min_u32_e32 v3, 32, v3
	s_delay_alu instid0(VALU_DEP_1) | instskip(NEXT) | instid1(VALU_DEP_1)
	v_subrev_nc_u32_e32 v4, 28, v3
	v_lshlrev_b64_e32 v[4:5], v4, v[6:7]
	s_delay_alu instid0(VALU_DEP_1)
	v_dual_sub_nc_u32 v3, 29, v3 :: v_dual_bitop2_b32 v6, 7, v4 bitop3:0x40
; %bb.3286:                             ;   in Loop: Header=BB232_2089 Depth=1
	s_or_b32 exec_lo, exec_lo, s20
	v_lshlrev_b32_e32 v4, 16, v2
	s_delay_alu instid0(VALU_DEP_2) | instskip(NEXT) | instid1(VALU_DEP_3)
	v_lshlrev_b32_e32 v5, 20, v6
	v_lshl_add_u32 v3, v3, 23, 0x3c000000
	s_delay_alu instid0(VALU_DEP_3) | instskip(NEXT) | instid1(VALU_DEP_1)
	v_and_b32_e32 v4, 0x80000000, v4
	v_or3_b32 v5, v5, v4, v3
	v_dual_mov_b32 v3, v7 :: v_dual_mov_b32 v4, v7
	s_clause 0x1
	scratch_store_b64 off, v[2:3], s32 offset:192
	scratch_store_b64 off, v[4:5], s32 offset:1180
.LBB232_3287:                           ;   in Loop: Header=BB232_2089 Depth=1
	s_wait_xcnt 0x0
	s_or_b32 exec_lo, exec_lo, s19
.LBB232_3288:                           ;   in Loop: Header=BB232_2089 Depth=1
	s_delay_alu instid0(SALU_CYCLE_1)
	s_or_b32 exec_lo, exec_lo, s18
.LBB232_3289:                           ;   in Loop: Header=BB232_2089 Depth=1
	s_delay_alu instid0(SALU_CYCLE_1) | instskip(SKIP_3) | instid1(VALU_DEP_1)
	s_or_b32 exec_lo, exec_lo, s17
	v_mov_b64_e32 v[6:7], 0
	v_lshrrev_b32_e32 v3, 16, v2
	s_mov_b32 s17, exec_lo
	v_and_b32_e32 v4, 0xff, v3
	scratch_store_b64 off, v[6:7], s32 offset:1196 ; 8-byte Folded Spill
	s_wait_xcnt 0x0
	v_mov_b64_e32 v[6:7], 0
	scratch_store_b64 off, v[6:7], s32 offset:1204 ; 8-byte Folded Spill
	s_wait_xcnt 0x0
	v_cmpx_ne_u16_e32 0, v4
	s_cbranch_execz .LBB232_3297
; %bb.3290:                             ;   in Loop: Header=BB232_2089 Depth=1
	v_cmp_ne_u16_e64 s4, 0x80, v4
	v_mov_b64_e32 v[4:5], 0x80000000
	scratch_store_b64 off, v[4:5], s32 offset:1204 ; 8-byte Folded Spill
	s_wait_xcnt 0x0
	s_and_saveexec_b32 s18, s4
	s_cbranch_execz .LBB232_3296
; %bb.3291:                             ;   in Loop: Header=BB232_2089 Depth=1
	v_mov_b64_e32 v[6:7], 0x7f800001
	v_bfe_u32 v5, v2, 16, 7
	s_mov_b32 s19, exec_lo
	scratch_store_b64 off, v[6:7], s32 offset:1204 ; 8-byte Folded Spill
	s_wait_xcnt 0x0
	v_cmpx_ne_u32_e32 0x7f, v5
	s_cbranch_execz .LBB232_3295
; %bb.3292:                             ;   in Loop: Header=BB232_2089 Depth=1
	scratch_load_b64 v[8:9], off, s32 offset:192 th:TH_LOAD_LU ; 8-byte Folded Reload
	s_wait_loadcnt 0x0
	v_dual_lshrrev_b32 v4, 3, v5 :: v_dual_bitop2_b32 v8, 7, v3 bitop3:0x40
	s_mov_b32 s20, exec_lo
	s_wait_xcnt 0x0
	v_cmpx_gt_u32_e32 8, v5
; %bb.3293:                             ;   in Loop: Header=BB232_2089 Depth=1
	s_delay_alu instid0(VALU_DEP_2) | instskip(NEXT) | instid1(VALU_DEP_1)
	v_clz_i32_u32_e32 v4, v8
	v_min_u32_e32 v4, 32, v4
	s_delay_alu instid0(VALU_DEP_1) | instskip(NEXT) | instid1(VALU_DEP_1)
	v_subrev_nc_u32_e32 v5, 28, v4
	v_lshlrev_b64_e32 v[6:7], v5, v[8:9]
	s_delay_alu instid0(VALU_DEP_1)
	v_dual_sub_nc_u32 v4, 29, v4 :: v_dual_bitop2_b32 v8, 7, v6 bitop3:0x40
; %bb.3294:                             ;   in Loop: Header=BB232_2089 Depth=1
	s_or_b32 exec_lo, exec_lo, s20
	s_delay_alu instid0(VALU_DEP_1) | instskip(NEXT) | instid1(VALU_DEP_2)
	v_dual_lshlrev_b32 v3, 24, v3 :: v_dual_lshlrev_b32 v5, 20, v8
	v_lshl_add_u32 v4, v4, 23, 0x3c000000
	s_delay_alu instid0(VALU_DEP_2) | instskip(NEXT) | instid1(VALU_DEP_1)
	v_and_b32_e32 v3, 0x80000000, v3
	v_or3_b32 v8, v5, v3, v4
	v_mov_b32_e32 v3, v9
	s_clause 0x1
	scratch_store_b64 off, v[2:3], s32 offset:192
	scratch_store_b64 off, v[8:9], s32 offset:1204
.LBB232_3295:                           ;   in Loop: Header=BB232_2089 Depth=1
	s_wait_xcnt 0x0
	s_or_b32 exec_lo, exec_lo, s19
.LBB232_3296:                           ;   in Loop: Header=BB232_2089 Depth=1
	s_delay_alu instid0(SALU_CYCLE_1)
	s_or_b32 exec_lo, exec_lo, s18
.LBB232_3297:                           ;   in Loop: Header=BB232_2089 Depth=1
	s_delay_alu instid0(SALU_CYCLE_1) | instskip(NEXT) | instid1(SALU_CYCLE_1)
	s_or_b32 exec_lo, exec_lo, s17
	s_mov_b32 s17, exec_lo
	v_cmpx_lt_u32_e32 0xffffff, v2
	s_cbranch_execz .LBB232_3305
; %bb.3298:                             ;   in Loop: Header=BB232_2089 Depth=1
	v_mov_b64_e32 v[4:5], 0x8000000000000000
	v_lshrrev_b32_e32 v3, 24, v2
	s_mov_b32 s18, exec_lo
	scratch_store_b64 off, v[4:5], s32 offset:1196 ; 8-byte Folded Spill
	s_wait_xcnt 0x0
	v_cmpx_ne_u32_e32 0x80, v3
	s_cbranch_execz .LBB232_3304
; %bb.3299:                             ;   in Loop: Header=BB232_2089 Depth=1
	v_mov_b64_e32 v[6:7], 0x7f80000100000000
	v_bfe_u32 v4, v2, 24, 7
	s_mov_b32 s19, exec_lo
	scratch_store_b64 off, v[6:7], s32 offset:1196 ; 8-byte Folded Spill
	s_wait_xcnt 0x0
	v_cmpx_ne_u32_e32 0x7f, v4
	s_cbranch_execz .LBB232_3303
; %bb.3300:                             ;   in Loop: Header=BB232_2089 Depth=1
	scratch_load_b64 v[6:7], off, s32 offset:192 th:TH_LOAD_LU ; 8-byte Folded Reload
	s_wait_loadcnt 0x0
	v_dual_lshrrev_b32 v2, 3, v4 :: v_dual_bitop2_b32 v6, 7, v3 bitop3:0x40
	s_mov_b32 s20, exec_lo
	s_wait_xcnt 0x0
	v_cmpx_gt_u32_e32 8, v4
; %bb.3301:                             ;   in Loop: Header=BB232_2089 Depth=1
	s_delay_alu instid0(VALU_DEP_2) | instskip(NEXT) | instid1(VALU_DEP_1)
	v_clz_i32_u32_e32 v2, v6
	v_min_u32_e32 v2, 32, v2
	s_delay_alu instid0(VALU_DEP_1) | instskip(NEXT) | instid1(VALU_DEP_1)
	v_subrev_nc_u32_e32 v4, 28, v2
	v_lshlrev_b64_e32 v[4:5], v4, v[6:7]
	s_delay_alu instid0(VALU_DEP_1)
	v_dual_sub_nc_u32 v2, 29, v2 :: v_dual_bitop2_b32 v6, 7, v4 bitop3:0x40
; %bb.3302:                             ;   in Loop: Header=BB232_2089 Depth=1
	s_or_b32 exec_lo, exec_lo, s20
	s_delay_alu instid0(VALU_DEP_1) | instskip(NEXT) | instid1(VALU_DEP_2)
	v_dual_lshlrev_b32 v3, 24, v3 :: v_dual_lshlrev_b32 v4, 20, v6
	v_lshl_add_u32 v2, v2, 23, 0x3c000000
	s_delay_alu instid0(VALU_DEP_2) | instskip(NEXT) | instid1(VALU_DEP_1)
	v_and_b32_e32 v3, 0x80000000, v3
	v_or3_b32 v5, v4, v3, v2
	v_dual_mov_b32 v3, v7 :: v_dual_mov_b32 v4, v7
	s_clause 0x1
	scratch_store_b64 off, v[2:3], s32 offset:192
	scratch_store_b64 off, v[4:5], s32 offset:1196
.LBB232_3303:                           ;   in Loop: Header=BB232_2089 Depth=1
	s_wait_xcnt 0x0
	s_or_b32 exec_lo, exec_lo, s19
.LBB232_3304:                           ;   in Loop: Header=BB232_2089 Depth=1
	s_delay_alu instid0(SALU_CYCLE_1)
	s_or_b32 exec_lo, exec_lo, s18
.LBB232_3305:                           ;   in Loop: Header=BB232_2089 Depth=1
	s_delay_alu instid0(SALU_CYCLE_1)
	s_or_b32 exec_lo, exec_lo, s17
	flat_load_b32 v2, v[0:1] offset:4864
	v_mov_b64_e32 v[4:5], 0
	s_mov_b32 s17, exec_lo
	scratch_store_b64 off, v[4:5], s32 offset:1212 ; 8-byte Folded Spill
	s_wait_xcnt 0x0
	v_mov_b64_e32 v[4:5], 0
	scratch_store_b64 off, v[4:5], s32 offset:1220 ; 8-byte Folded Spill
	s_wait_loadcnt_dscnt 0x0
	v_and_b32_e32 v3, 0xff, v2
	s_wait_xcnt 0x0
	s_delay_alu instid0(VALU_DEP_1)
	v_cmpx_ne_u16_e32 0, v3
	s_cbranch_execz .LBB232_3313
; %bb.3306:                             ;   in Loop: Header=BB232_2089 Depth=1
	v_mov_b64_e32 v[4:5], 0x80000000
	s_mov_b32 s18, exec_lo
	scratch_store_b64 off, v[4:5], s32 offset:1220 ; 8-byte Folded Spill
	s_wait_xcnt 0x0
	v_cmpx_ne_u16_e32 0x80, v3
	s_cbranch_execz .LBB232_3312
; %bb.3307:                             ;   in Loop: Header=BB232_2089 Depth=1
	v_mov_b64_e32 v[6:7], 0x7f800001
	v_and_b32_e32 v4, 0x7f, v2
	s_mov_b32 s19, exec_lo
	scratch_store_b64 off, v[6:7], s32 offset:1220 ; 8-byte Folded Spill
	s_wait_xcnt 0x0
	v_cmpx_ne_u32_e32 0x7f, v4
	s_cbranch_execz .LBB232_3311
; %bb.3308:                             ;   in Loop: Header=BB232_2089 Depth=1
	scratch_load_b64 v[6:7], off, s32 offset:192 th:TH_LOAD_LU ; 8-byte Folded Reload
	s_wait_loadcnt 0x0
	v_dual_lshrrev_b32 v3, 3, v4 :: v_dual_bitop2_b32 v6, 7, v2 bitop3:0x40
	s_mov_b32 s20, exec_lo
	s_wait_xcnt 0x0
	v_cmpx_gt_u32_e32 8, v4
; %bb.3309:                             ;   in Loop: Header=BB232_2089 Depth=1
	s_delay_alu instid0(VALU_DEP_2) | instskip(NEXT) | instid1(VALU_DEP_1)
	v_clz_i32_u32_e32 v3, v6
	v_min_u32_e32 v3, 32, v3
	s_delay_alu instid0(VALU_DEP_1) | instskip(NEXT) | instid1(VALU_DEP_1)
	v_subrev_nc_u32_e32 v4, 28, v3
	v_lshlrev_b64_e32 v[4:5], v4, v[6:7]
	s_delay_alu instid0(VALU_DEP_1)
	v_dual_sub_nc_u32 v3, 29, v3 :: v_dual_bitop2_b32 v6, 7, v4 bitop3:0x40
; %bb.3310:                             ;   in Loop: Header=BB232_2089 Depth=1
	s_or_b32 exec_lo, exec_lo, s20
	v_lshlrev_b32_e32 v4, 24, v2
	s_delay_alu instid0(VALU_DEP_2) | instskip(NEXT) | instid1(VALU_DEP_3)
	v_lshlrev_b32_e32 v5, 20, v6
	v_lshl_add_u32 v3, v3, 23, 0x3c000000
	s_delay_alu instid0(VALU_DEP_3) | instskip(NEXT) | instid1(VALU_DEP_1)
	v_and_b32_e32 v4, 0x80000000, v4
	v_or3_b32 v6, v5, v4, v3
	v_mov_b32_e32 v3, v7
	s_clause 0x1
	scratch_store_b64 off, v[2:3], s32 offset:192
	scratch_store_b64 off, v[6:7], s32 offset:1220
.LBB232_3311:                           ;   in Loop: Header=BB232_2089 Depth=1
	s_wait_xcnt 0x0
	s_or_b32 exec_lo, exec_lo, s19
.LBB232_3312:                           ;   in Loop: Header=BB232_2089 Depth=1
	s_delay_alu instid0(SALU_CYCLE_1)
	s_or_b32 exec_lo, exec_lo, s18
.LBB232_3313:                           ;   in Loop: Header=BB232_2089 Depth=1
	s_delay_alu instid0(SALU_CYCLE_1) | instskip(SKIP_2) | instid1(VALU_DEP_1)
	s_or_b32 exec_lo, exec_lo, s17
	v_lshrrev_b16 v3, 8, v2
	s_mov_b32 s17, exec_lo
	v_cmpx_ne_u16_e32 0, v3
	s_cbranch_execz .LBB232_3321
; %bb.3314:                             ;   in Loop: Header=BB232_2089 Depth=1
	v_mov_b64_e32 v[4:5], 0x8000000000000000
	s_mov_b32 s18, exec_lo
	scratch_store_b64 off, v[4:5], s32 offset:1212 ; 8-byte Folded Spill
	s_wait_xcnt 0x0
	v_cmpx_ne_u16_e32 0x80, v3
	s_cbranch_execz .LBB232_3320
; %bb.3315:                             ;   in Loop: Header=BB232_2089 Depth=1
	v_and_b32_e32 v3, 0xffff, v3
	v_mov_b64_e32 v[6:7], 0x7f80000100000000
	s_mov_b32 s19, exec_lo
	s_delay_alu instid0(VALU_DEP_2)
	v_and_b32_e32 v4, 0x7f, v3
	scratch_store_b64 off, v[6:7], s32 offset:1212 ; 8-byte Folded Spill
	s_wait_xcnt 0x0
	v_cmpx_ne_u32_e32 0x7f, v4
	s_cbranch_execz .LBB232_3319
; %bb.3316:                             ;   in Loop: Header=BB232_2089 Depth=1
	scratch_load_b64 v[6:7], off, s32 offset:192 th:TH_LOAD_LU ; 8-byte Folded Reload
	s_wait_loadcnt 0x0
	v_dual_lshrrev_b32 v3, 3, v4 :: v_dual_bitop2_b32 v6, 7, v3 bitop3:0x40
	s_mov_b32 s20, exec_lo
	s_wait_xcnt 0x0
	v_cmpx_gt_u32_e32 8, v4
; %bb.3317:                             ;   in Loop: Header=BB232_2089 Depth=1
	s_delay_alu instid0(VALU_DEP_2) | instskip(NEXT) | instid1(VALU_DEP_1)
	v_clz_i32_u32_e32 v3, v6
	v_min_u32_e32 v3, 32, v3
	s_delay_alu instid0(VALU_DEP_1) | instskip(NEXT) | instid1(VALU_DEP_1)
	v_subrev_nc_u32_e32 v4, 28, v3
	v_lshlrev_b64_e32 v[4:5], v4, v[6:7]
	s_delay_alu instid0(VALU_DEP_1)
	v_dual_sub_nc_u32 v3, 29, v3 :: v_dual_bitop2_b32 v6, 7, v4 bitop3:0x40
; %bb.3318:                             ;   in Loop: Header=BB232_2089 Depth=1
	s_or_b32 exec_lo, exec_lo, s20
	v_lshlrev_b32_e32 v4, 16, v2
	s_delay_alu instid0(VALU_DEP_2) | instskip(NEXT) | instid1(VALU_DEP_3)
	v_lshlrev_b32_e32 v5, 20, v6
	v_lshl_add_u32 v3, v3, 23, 0x3c000000
	s_delay_alu instid0(VALU_DEP_3) | instskip(NEXT) | instid1(VALU_DEP_1)
	v_and_b32_e32 v4, 0x80000000, v4
	v_or3_b32 v5, v5, v4, v3
	v_dual_mov_b32 v3, v7 :: v_dual_mov_b32 v4, v7
	s_clause 0x1
	scratch_store_b64 off, v[2:3], s32 offset:192
	scratch_store_b64 off, v[4:5], s32 offset:1212
.LBB232_3319:                           ;   in Loop: Header=BB232_2089 Depth=1
	s_wait_xcnt 0x0
	s_or_b32 exec_lo, exec_lo, s19
.LBB232_3320:                           ;   in Loop: Header=BB232_2089 Depth=1
	s_delay_alu instid0(SALU_CYCLE_1)
	s_or_b32 exec_lo, exec_lo, s18
.LBB232_3321:                           ;   in Loop: Header=BB232_2089 Depth=1
	s_delay_alu instid0(SALU_CYCLE_1) | instskip(SKIP_3) | instid1(VALU_DEP_1)
	s_or_b32 exec_lo, exec_lo, s17
	v_mov_b64_e32 v[6:7], 0
	v_lshrrev_b32_e32 v3, 16, v2
	s_mov_b32 s17, exec_lo
	v_and_b32_e32 v4, 0xff, v3
	scratch_store_b64 off, v[6:7], s32 offset:1228 ; 8-byte Folded Spill
	s_wait_xcnt 0x0
	v_mov_b64_e32 v[6:7], 0
	scratch_store_b64 off, v[6:7], s32 offset:1236 ; 8-byte Folded Spill
	s_wait_xcnt 0x0
	v_cmpx_ne_u16_e32 0, v4
	s_cbranch_execz .LBB232_3329
; %bb.3322:                             ;   in Loop: Header=BB232_2089 Depth=1
	v_cmp_ne_u16_e64 s4, 0x80, v4
	v_mov_b64_e32 v[4:5], 0x80000000
	scratch_store_b64 off, v[4:5], s32 offset:1236 ; 8-byte Folded Spill
	s_wait_xcnt 0x0
	s_and_saveexec_b32 s18, s4
	s_cbranch_execz .LBB232_3328
; %bb.3323:                             ;   in Loop: Header=BB232_2089 Depth=1
	v_mov_b64_e32 v[6:7], 0x7f800001
	v_bfe_u32 v5, v2, 16, 7
	s_mov_b32 s19, exec_lo
	scratch_store_b64 off, v[6:7], s32 offset:1236 ; 8-byte Folded Spill
	s_wait_xcnt 0x0
	v_cmpx_ne_u32_e32 0x7f, v5
	s_cbranch_execz .LBB232_3327
; %bb.3324:                             ;   in Loop: Header=BB232_2089 Depth=1
	scratch_load_b64 v[8:9], off, s32 offset:192 th:TH_LOAD_LU ; 8-byte Folded Reload
	s_wait_loadcnt 0x0
	v_dual_lshrrev_b32 v4, 3, v5 :: v_dual_bitop2_b32 v8, 7, v3 bitop3:0x40
	s_mov_b32 s20, exec_lo
	s_wait_xcnt 0x0
	v_cmpx_gt_u32_e32 8, v5
; %bb.3325:                             ;   in Loop: Header=BB232_2089 Depth=1
	s_delay_alu instid0(VALU_DEP_2) | instskip(NEXT) | instid1(VALU_DEP_1)
	v_clz_i32_u32_e32 v4, v8
	v_min_u32_e32 v4, 32, v4
	s_delay_alu instid0(VALU_DEP_1) | instskip(NEXT) | instid1(VALU_DEP_1)
	v_subrev_nc_u32_e32 v5, 28, v4
	v_lshlrev_b64_e32 v[6:7], v5, v[8:9]
	s_delay_alu instid0(VALU_DEP_1)
	v_dual_sub_nc_u32 v4, 29, v4 :: v_dual_bitop2_b32 v8, 7, v6 bitop3:0x40
; %bb.3326:                             ;   in Loop: Header=BB232_2089 Depth=1
	s_or_b32 exec_lo, exec_lo, s20
	s_delay_alu instid0(VALU_DEP_1) | instskip(NEXT) | instid1(VALU_DEP_2)
	v_dual_lshlrev_b32 v3, 24, v3 :: v_dual_lshlrev_b32 v5, 20, v8
	v_lshl_add_u32 v4, v4, 23, 0x3c000000
	s_delay_alu instid0(VALU_DEP_2) | instskip(NEXT) | instid1(VALU_DEP_1)
	v_and_b32_e32 v3, 0x80000000, v3
	v_or3_b32 v8, v5, v3, v4
	v_mov_b32_e32 v3, v9
	s_clause 0x1
	scratch_store_b64 off, v[2:3], s32 offset:192
	scratch_store_b64 off, v[8:9], s32 offset:1236
.LBB232_3327:                           ;   in Loop: Header=BB232_2089 Depth=1
	s_wait_xcnt 0x0
	s_or_b32 exec_lo, exec_lo, s19
.LBB232_3328:                           ;   in Loop: Header=BB232_2089 Depth=1
	s_delay_alu instid0(SALU_CYCLE_1)
	s_or_b32 exec_lo, exec_lo, s18
.LBB232_3329:                           ;   in Loop: Header=BB232_2089 Depth=1
	s_delay_alu instid0(SALU_CYCLE_1) | instskip(NEXT) | instid1(SALU_CYCLE_1)
	s_or_b32 exec_lo, exec_lo, s17
	s_mov_b32 s17, exec_lo
	v_cmpx_lt_u32_e32 0xffffff, v2
	s_cbranch_execz .LBB232_3337
; %bb.3330:                             ;   in Loop: Header=BB232_2089 Depth=1
	v_mov_b64_e32 v[4:5], 0x8000000000000000
	v_lshrrev_b32_e32 v3, 24, v2
	s_mov_b32 s18, exec_lo
	scratch_store_b64 off, v[4:5], s32 offset:1228 ; 8-byte Folded Spill
	s_wait_xcnt 0x0
	v_cmpx_ne_u32_e32 0x80, v3
	s_cbranch_execz .LBB232_3336
; %bb.3331:                             ;   in Loop: Header=BB232_2089 Depth=1
	v_mov_b64_e32 v[6:7], 0x7f80000100000000
	v_bfe_u32 v4, v2, 24, 7
	s_mov_b32 s19, exec_lo
	scratch_store_b64 off, v[6:7], s32 offset:1228 ; 8-byte Folded Spill
	s_wait_xcnt 0x0
	v_cmpx_ne_u32_e32 0x7f, v4
	s_cbranch_execz .LBB232_3335
; %bb.3332:                             ;   in Loop: Header=BB232_2089 Depth=1
	scratch_load_b64 v[6:7], off, s32 offset:192 th:TH_LOAD_LU ; 8-byte Folded Reload
	s_wait_loadcnt 0x0
	v_dual_lshrrev_b32 v2, 3, v4 :: v_dual_bitop2_b32 v6, 7, v3 bitop3:0x40
	s_mov_b32 s20, exec_lo
	s_wait_xcnt 0x0
	v_cmpx_gt_u32_e32 8, v4
; %bb.3333:                             ;   in Loop: Header=BB232_2089 Depth=1
	s_delay_alu instid0(VALU_DEP_2) | instskip(NEXT) | instid1(VALU_DEP_1)
	v_clz_i32_u32_e32 v2, v6
	v_min_u32_e32 v2, 32, v2
	s_delay_alu instid0(VALU_DEP_1) | instskip(NEXT) | instid1(VALU_DEP_1)
	v_subrev_nc_u32_e32 v4, 28, v2
	v_lshlrev_b64_e32 v[4:5], v4, v[6:7]
	s_delay_alu instid0(VALU_DEP_1)
	v_dual_sub_nc_u32 v2, 29, v2 :: v_dual_bitop2_b32 v6, 7, v4 bitop3:0x40
; %bb.3334:                             ;   in Loop: Header=BB232_2089 Depth=1
	s_or_b32 exec_lo, exec_lo, s20
	s_delay_alu instid0(VALU_DEP_1) | instskip(NEXT) | instid1(VALU_DEP_2)
	v_dual_lshlrev_b32 v3, 24, v3 :: v_dual_lshlrev_b32 v4, 20, v6
	v_lshl_add_u32 v2, v2, 23, 0x3c000000
	s_delay_alu instid0(VALU_DEP_2) | instskip(NEXT) | instid1(VALU_DEP_1)
	v_and_b32_e32 v3, 0x80000000, v3
	v_or3_b32 v5, v4, v3, v2
	v_dual_mov_b32 v3, v7 :: v_dual_mov_b32 v4, v7
	s_clause 0x1
	scratch_store_b64 off, v[2:3], s32 offset:192
	scratch_store_b64 off, v[4:5], s32 offset:1228
.LBB232_3335:                           ;   in Loop: Header=BB232_2089 Depth=1
	s_wait_xcnt 0x0
	s_or_b32 exec_lo, exec_lo, s19
.LBB232_3336:                           ;   in Loop: Header=BB232_2089 Depth=1
	s_delay_alu instid0(SALU_CYCLE_1)
	s_or_b32 exec_lo, exec_lo, s18
.LBB232_3337:                           ;   in Loop: Header=BB232_2089 Depth=1
	s_delay_alu instid0(SALU_CYCLE_1)
	s_or_b32 exec_lo, exec_lo, s17
	flat_load_b32 v2, v[0:1] offset:4992
	v_mov_b64_e32 v[4:5], 0
	s_mov_b32 s17, exec_lo
	scratch_store_b64 off, v[4:5], s32 offset:1244 ; 8-byte Folded Spill
	s_wait_xcnt 0x0
	v_mov_b64_e32 v[4:5], 0
	scratch_store_b64 off, v[4:5], s32 offset:1252 ; 8-byte Folded Spill
	s_wait_loadcnt_dscnt 0x0
	v_and_b32_e32 v3, 0xff, v2
	s_wait_xcnt 0x0
	s_delay_alu instid0(VALU_DEP_1)
	v_cmpx_ne_u16_e32 0, v3
	s_cbranch_execz .LBB232_3345
; %bb.3338:                             ;   in Loop: Header=BB232_2089 Depth=1
	v_mov_b64_e32 v[4:5], 0x80000000
	s_mov_b32 s18, exec_lo
	scratch_store_b64 off, v[4:5], s32 offset:1252 ; 8-byte Folded Spill
	s_wait_xcnt 0x0
	v_cmpx_ne_u16_e32 0x80, v3
	s_cbranch_execz .LBB232_3344
; %bb.3339:                             ;   in Loop: Header=BB232_2089 Depth=1
	v_mov_b64_e32 v[6:7], 0x7f800001
	v_and_b32_e32 v4, 0x7f, v2
	s_mov_b32 s19, exec_lo
	scratch_store_b64 off, v[6:7], s32 offset:1252 ; 8-byte Folded Spill
	s_wait_xcnt 0x0
	v_cmpx_ne_u32_e32 0x7f, v4
	s_cbranch_execz .LBB232_3343
; %bb.3340:                             ;   in Loop: Header=BB232_2089 Depth=1
	scratch_load_b64 v[6:7], off, s32 offset:192 th:TH_LOAD_LU ; 8-byte Folded Reload
	s_wait_loadcnt 0x0
	v_dual_lshrrev_b32 v3, 3, v4 :: v_dual_bitop2_b32 v6, 7, v2 bitop3:0x40
	s_mov_b32 s20, exec_lo
	s_wait_xcnt 0x0
	v_cmpx_gt_u32_e32 8, v4
; %bb.3341:                             ;   in Loop: Header=BB232_2089 Depth=1
	s_delay_alu instid0(VALU_DEP_2) | instskip(NEXT) | instid1(VALU_DEP_1)
	v_clz_i32_u32_e32 v3, v6
	v_min_u32_e32 v3, 32, v3
	s_delay_alu instid0(VALU_DEP_1) | instskip(NEXT) | instid1(VALU_DEP_1)
	v_subrev_nc_u32_e32 v4, 28, v3
	v_lshlrev_b64_e32 v[4:5], v4, v[6:7]
	s_delay_alu instid0(VALU_DEP_1)
	v_dual_sub_nc_u32 v3, 29, v3 :: v_dual_bitop2_b32 v6, 7, v4 bitop3:0x40
; %bb.3342:                             ;   in Loop: Header=BB232_2089 Depth=1
	s_or_b32 exec_lo, exec_lo, s20
	v_lshlrev_b32_e32 v4, 24, v2
	s_delay_alu instid0(VALU_DEP_2) | instskip(NEXT) | instid1(VALU_DEP_3)
	v_lshlrev_b32_e32 v5, 20, v6
	v_lshl_add_u32 v3, v3, 23, 0x3c000000
	s_delay_alu instid0(VALU_DEP_3) | instskip(NEXT) | instid1(VALU_DEP_1)
	v_and_b32_e32 v4, 0x80000000, v4
	v_or3_b32 v6, v5, v4, v3
	v_mov_b32_e32 v3, v7
	s_clause 0x1
	scratch_store_b64 off, v[2:3], s32 offset:192
	scratch_store_b64 off, v[6:7], s32 offset:1252
.LBB232_3343:                           ;   in Loop: Header=BB232_2089 Depth=1
	s_wait_xcnt 0x0
	s_or_b32 exec_lo, exec_lo, s19
.LBB232_3344:                           ;   in Loop: Header=BB232_2089 Depth=1
	s_delay_alu instid0(SALU_CYCLE_1)
	s_or_b32 exec_lo, exec_lo, s18
.LBB232_3345:                           ;   in Loop: Header=BB232_2089 Depth=1
	s_delay_alu instid0(SALU_CYCLE_1) | instskip(SKIP_2) | instid1(VALU_DEP_1)
	s_or_b32 exec_lo, exec_lo, s17
	v_lshrrev_b16 v3, 8, v2
	s_mov_b32 s17, exec_lo
	v_cmpx_ne_u16_e32 0, v3
	s_cbranch_execz .LBB232_3353
; %bb.3346:                             ;   in Loop: Header=BB232_2089 Depth=1
	v_mov_b64_e32 v[4:5], 0x8000000000000000
	s_mov_b32 s18, exec_lo
	scratch_store_b64 off, v[4:5], s32 offset:1244 ; 8-byte Folded Spill
	s_wait_xcnt 0x0
	v_cmpx_ne_u16_e32 0x80, v3
	s_cbranch_execz .LBB232_3352
; %bb.3347:                             ;   in Loop: Header=BB232_2089 Depth=1
	v_and_b32_e32 v3, 0xffff, v3
	v_mov_b64_e32 v[6:7], 0x7f80000100000000
	s_mov_b32 s19, exec_lo
	s_delay_alu instid0(VALU_DEP_2)
	v_and_b32_e32 v4, 0x7f, v3
	scratch_store_b64 off, v[6:7], s32 offset:1244 ; 8-byte Folded Spill
	s_wait_xcnt 0x0
	v_cmpx_ne_u32_e32 0x7f, v4
	s_cbranch_execz .LBB232_3351
; %bb.3348:                             ;   in Loop: Header=BB232_2089 Depth=1
	scratch_load_b64 v[6:7], off, s32 offset:192 th:TH_LOAD_LU ; 8-byte Folded Reload
	s_wait_loadcnt 0x0
	v_dual_lshrrev_b32 v3, 3, v4 :: v_dual_bitop2_b32 v6, 7, v3 bitop3:0x40
	s_mov_b32 s20, exec_lo
	s_wait_xcnt 0x0
	v_cmpx_gt_u32_e32 8, v4
; %bb.3349:                             ;   in Loop: Header=BB232_2089 Depth=1
	s_delay_alu instid0(VALU_DEP_2) | instskip(NEXT) | instid1(VALU_DEP_1)
	v_clz_i32_u32_e32 v3, v6
	v_min_u32_e32 v3, 32, v3
	s_delay_alu instid0(VALU_DEP_1) | instskip(NEXT) | instid1(VALU_DEP_1)
	v_subrev_nc_u32_e32 v4, 28, v3
	v_lshlrev_b64_e32 v[4:5], v4, v[6:7]
	s_delay_alu instid0(VALU_DEP_1)
	v_dual_sub_nc_u32 v3, 29, v3 :: v_dual_bitop2_b32 v6, 7, v4 bitop3:0x40
; %bb.3350:                             ;   in Loop: Header=BB232_2089 Depth=1
	s_or_b32 exec_lo, exec_lo, s20
	v_lshlrev_b32_e32 v4, 16, v2
	s_delay_alu instid0(VALU_DEP_2) | instskip(NEXT) | instid1(VALU_DEP_3)
	v_lshlrev_b32_e32 v5, 20, v6
	v_lshl_add_u32 v3, v3, 23, 0x3c000000
	s_delay_alu instid0(VALU_DEP_3) | instskip(NEXT) | instid1(VALU_DEP_1)
	v_and_b32_e32 v4, 0x80000000, v4
	v_or3_b32 v5, v5, v4, v3
	v_dual_mov_b32 v3, v7 :: v_dual_mov_b32 v4, v7
	s_clause 0x1
	scratch_store_b64 off, v[2:3], s32 offset:192
	scratch_store_b64 off, v[4:5], s32 offset:1244
.LBB232_3351:                           ;   in Loop: Header=BB232_2089 Depth=1
	s_wait_xcnt 0x0
	s_or_b32 exec_lo, exec_lo, s19
.LBB232_3352:                           ;   in Loop: Header=BB232_2089 Depth=1
	s_delay_alu instid0(SALU_CYCLE_1)
	s_or_b32 exec_lo, exec_lo, s18
.LBB232_3353:                           ;   in Loop: Header=BB232_2089 Depth=1
	s_delay_alu instid0(SALU_CYCLE_1) | instskip(SKIP_3) | instid1(VALU_DEP_1)
	s_or_b32 exec_lo, exec_lo, s17
	v_mov_b64_e32 v[6:7], 0
	v_lshrrev_b32_e32 v3, 16, v2
	s_mov_b32 s17, exec_lo
	v_and_b32_e32 v4, 0xff, v3
	scratch_store_b64 off, v[6:7], s32 offset:1260 ; 8-byte Folded Spill
	s_wait_xcnt 0x0
	v_mov_b64_e32 v[6:7], 0
	scratch_store_b64 off, v[6:7], s32 offset:1268 ; 8-byte Folded Spill
	s_wait_xcnt 0x0
	v_cmpx_ne_u16_e32 0, v4
	s_cbranch_execz .LBB232_3361
; %bb.3354:                             ;   in Loop: Header=BB232_2089 Depth=1
	v_cmp_ne_u16_e64 s4, 0x80, v4
	v_mov_b64_e32 v[4:5], 0x80000000
	scratch_store_b64 off, v[4:5], s32 offset:1268 ; 8-byte Folded Spill
	s_wait_xcnt 0x0
	s_and_saveexec_b32 s18, s4
	s_cbranch_execz .LBB232_3360
; %bb.3355:                             ;   in Loop: Header=BB232_2089 Depth=1
	v_mov_b64_e32 v[6:7], 0x7f800001
	v_bfe_u32 v5, v2, 16, 7
	s_mov_b32 s19, exec_lo
	scratch_store_b64 off, v[6:7], s32 offset:1268 ; 8-byte Folded Spill
	s_wait_xcnt 0x0
	v_cmpx_ne_u32_e32 0x7f, v5
	s_cbranch_execz .LBB232_3359
; %bb.3356:                             ;   in Loop: Header=BB232_2089 Depth=1
	scratch_load_b64 v[8:9], off, s32 offset:192 th:TH_LOAD_LU ; 8-byte Folded Reload
	s_wait_loadcnt 0x0
	v_dual_lshrrev_b32 v4, 3, v5 :: v_dual_bitop2_b32 v8, 7, v3 bitop3:0x40
	s_mov_b32 s20, exec_lo
	s_wait_xcnt 0x0
	v_cmpx_gt_u32_e32 8, v5
; %bb.3357:                             ;   in Loop: Header=BB232_2089 Depth=1
	s_delay_alu instid0(VALU_DEP_2) | instskip(NEXT) | instid1(VALU_DEP_1)
	v_clz_i32_u32_e32 v4, v8
	v_min_u32_e32 v4, 32, v4
	s_delay_alu instid0(VALU_DEP_1) | instskip(NEXT) | instid1(VALU_DEP_1)
	v_subrev_nc_u32_e32 v5, 28, v4
	v_lshlrev_b64_e32 v[6:7], v5, v[8:9]
	s_delay_alu instid0(VALU_DEP_1)
	v_dual_sub_nc_u32 v4, 29, v4 :: v_dual_bitop2_b32 v8, 7, v6 bitop3:0x40
; %bb.3358:                             ;   in Loop: Header=BB232_2089 Depth=1
	s_or_b32 exec_lo, exec_lo, s20
	s_delay_alu instid0(VALU_DEP_1) | instskip(NEXT) | instid1(VALU_DEP_2)
	v_dual_lshlrev_b32 v3, 24, v3 :: v_dual_lshlrev_b32 v5, 20, v8
	v_lshl_add_u32 v4, v4, 23, 0x3c000000
	s_delay_alu instid0(VALU_DEP_2) | instskip(NEXT) | instid1(VALU_DEP_1)
	v_and_b32_e32 v3, 0x80000000, v3
	v_or3_b32 v8, v5, v3, v4
	v_mov_b32_e32 v3, v9
	s_clause 0x1
	scratch_store_b64 off, v[2:3], s32 offset:192
	scratch_store_b64 off, v[8:9], s32 offset:1268
.LBB232_3359:                           ;   in Loop: Header=BB232_2089 Depth=1
	s_wait_xcnt 0x0
	s_or_b32 exec_lo, exec_lo, s19
.LBB232_3360:                           ;   in Loop: Header=BB232_2089 Depth=1
	s_delay_alu instid0(SALU_CYCLE_1)
	s_or_b32 exec_lo, exec_lo, s18
.LBB232_3361:                           ;   in Loop: Header=BB232_2089 Depth=1
	s_delay_alu instid0(SALU_CYCLE_1) | instskip(NEXT) | instid1(SALU_CYCLE_1)
	s_or_b32 exec_lo, exec_lo, s17
	s_mov_b32 s17, exec_lo
	v_cmpx_lt_u32_e32 0xffffff, v2
	s_cbranch_execz .LBB232_3369
; %bb.3362:                             ;   in Loop: Header=BB232_2089 Depth=1
	v_mov_b64_e32 v[4:5], 0x8000000000000000
	v_lshrrev_b32_e32 v3, 24, v2
	s_mov_b32 s18, exec_lo
	scratch_store_b64 off, v[4:5], s32 offset:1260 ; 8-byte Folded Spill
	s_wait_xcnt 0x0
	v_cmpx_ne_u32_e32 0x80, v3
	s_cbranch_execz .LBB232_3368
; %bb.3363:                             ;   in Loop: Header=BB232_2089 Depth=1
	v_mov_b64_e32 v[6:7], 0x7f80000100000000
	v_bfe_u32 v4, v2, 24, 7
	s_mov_b32 s19, exec_lo
	scratch_store_b64 off, v[6:7], s32 offset:1260 ; 8-byte Folded Spill
	s_wait_xcnt 0x0
	v_cmpx_ne_u32_e32 0x7f, v4
	s_cbranch_execz .LBB232_3367
; %bb.3364:                             ;   in Loop: Header=BB232_2089 Depth=1
	scratch_load_b64 v[6:7], off, s32 offset:192 th:TH_LOAD_LU ; 8-byte Folded Reload
	s_wait_loadcnt 0x0
	v_dual_lshrrev_b32 v2, 3, v4 :: v_dual_bitop2_b32 v6, 7, v3 bitop3:0x40
	s_mov_b32 s20, exec_lo
	s_wait_xcnt 0x0
	v_cmpx_gt_u32_e32 8, v4
; %bb.3365:                             ;   in Loop: Header=BB232_2089 Depth=1
	s_delay_alu instid0(VALU_DEP_2) | instskip(NEXT) | instid1(VALU_DEP_1)
	v_clz_i32_u32_e32 v2, v6
	v_min_u32_e32 v2, 32, v2
	s_delay_alu instid0(VALU_DEP_1) | instskip(NEXT) | instid1(VALU_DEP_1)
	v_subrev_nc_u32_e32 v4, 28, v2
	v_lshlrev_b64_e32 v[4:5], v4, v[6:7]
	s_delay_alu instid0(VALU_DEP_1)
	v_dual_sub_nc_u32 v2, 29, v2 :: v_dual_bitop2_b32 v6, 7, v4 bitop3:0x40
; %bb.3366:                             ;   in Loop: Header=BB232_2089 Depth=1
	s_or_b32 exec_lo, exec_lo, s20
	s_delay_alu instid0(VALU_DEP_1) | instskip(NEXT) | instid1(VALU_DEP_2)
	v_dual_lshlrev_b32 v3, 24, v3 :: v_dual_lshlrev_b32 v4, 20, v6
	v_lshl_add_u32 v2, v2, 23, 0x3c000000
	s_delay_alu instid0(VALU_DEP_2) | instskip(NEXT) | instid1(VALU_DEP_1)
	v_and_b32_e32 v3, 0x80000000, v3
	v_or3_b32 v5, v4, v3, v2
	v_dual_mov_b32 v3, v7 :: v_dual_mov_b32 v4, v7
	s_clause 0x1
	scratch_store_b64 off, v[2:3], s32 offset:192
	scratch_store_b64 off, v[4:5], s32 offset:1260
.LBB232_3367:                           ;   in Loop: Header=BB232_2089 Depth=1
	s_wait_xcnt 0x0
	s_or_b32 exec_lo, exec_lo, s19
.LBB232_3368:                           ;   in Loop: Header=BB232_2089 Depth=1
	s_delay_alu instid0(SALU_CYCLE_1)
	s_or_b32 exec_lo, exec_lo, s18
.LBB232_3369:                           ;   in Loop: Header=BB232_2089 Depth=1
	s_delay_alu instid0(SALU_CYCLE_1)
	s_or_b32 exec_lo, exec_lo, s17
	flat_load_b32 v2, v[0:1] offset:5120
	v_mov_b64_e32 v[4:5], 0
	s_mov_b32 s17, exec_lo
	scratch_store_b64 off, v[4:5], s32 offset:1276 ; 8-byte Folded Spill
	s_wait_xcnt 0x0
	v_mov_b64_e32 v[4:5], 0
	scratch_store_b64 off, v[4:5], s32 offset:1284 ; 8-byte Folded Spill
	s_wait_loadcnt_dscnt 0x0
	v_and_b32_e32 v3, 0xff, v2
	s_wait_xcnt 0x0
	s_delay_alu instid0(VALU_DEP_1)
	v_cmpx_ne_u16_e32 0, v3
	s_cbranch_execz .LBB232_3377
; %bb.3370:                             ;   in Loop: Header=BB232_2089 Depth=1
	v_mov_b64_e32 v[4:5], 0x80000000
	s_mov_b32 s18, exec_lo
	scratch_store_b64 off, v[4:5], s32 offset:1284 ; 8-byte Folded Spill
	s_wait_xcnt 0x0
	v_cmpx_ne_u16_e32 0x80, v3
	s_cbranch_execz .LBB232_3376
; %bb.3371:                             ;   in Loop: Header=BB232_2089 Depth=1
	v_mov_b64_e32 v[6:7], 0x7f800001
	v_and_b32_e32 v4, 0x7f, v2
	s_mov_b32 s19, exec_lo
	scratch_store_b64 off, v[6:7], s32 offset:1284 ; 8-byte Folded Spill
	s_wait_xcnt 0x0
	v_cmpx_ne_u32_e32 0x7f, v4
	s_cbranch_execz .LBB232_3375
; %bb.3372:                             ;   in Loop: Header=BB232_2089 Depth=1
	scratch_load_b64 v[6:7], off, s32 offset:192 th:TH_LOAD_LU ; 8-byte Folded Reload
	s_wait_loadcnt 0x0
	v_dual_lshrrev_b32 v3, 3, v4 :: v_dual_bitop2_b32 v6, 7, v2 bitop3:0x40
	s_mov_b32 s20, exec_lo
	s_wait_xcnt 0x0
	v_cmpx_gt_u32_e32 8, v4
; %bb.3373:                             ;   in Loop: Header=BB232_2089 Depth=1
	s_delay_alu instid0(VALU_DEP_2) | instskip(NEXT) | instid1(VALU_DEP_1)
	v_clz_i32_u32_e32 v3, v6
	v_min_u32_e32 v3, 32, v3
	s_delay_alu instid0(VALU_DEP_1) | instskip(NEXT) | instid1(VALU_DEP_1)
	v_subrev_nc_u32_e32 v4, 28, v3
	v_lshlrev_b64_e32 v[4:5], v4, v[6:7]
	s_delay_alu instid0(VALU_DEP_1)
	v_dual_sub_nc_u32 v3, 29, v3 :: v_dual_bitop2_b32 v6, 7, v4 bitop3:0x40
; %bb.3374:                             ;   in Loop: Header=BB232_2089 Depth=1
	s_or_b32 exec_lo, exec_lo, s20
	v_lshlrev_b32_e32 v4, 24, v2
	s_delay_alu instid0(VALU_DEP_2) | instskip(NEXT) | instid1(VALU_DEP_3)
	v_lshlrev_b32_e32 v5, 20, v6
	v_lshl_add_u32 v3, v3, 23, 0x3c000000
	s_delay_alu instid0(VALU_DEP_3) | instskip(NEXT) | instid1(VALU_DEP_1)
	v_and_b32_e32 v4, 0x80000000, v4
	v_or3_b32 v6, v5, v4, v3
	v_mov_b32_e32 v3, v7
	s_clause 0x1
	scratch_store_b64 off, v[2:3], s32 offset:192
	scratch_store_b64 off, v[6:7], s32 offset:1284
.LBB232_3375:                           ;   in Loop: Header=BB232_2089 Depth=1
	s_wait_xcnt 0x0
	s_or_b32 exec_lo, exec_lo, s19
.LBB232_3376:                           ;   in Loop: Header=BB232_2089 Depth=1
	s_delay_alu instid0(SALU_CYCLE_1)
	s_or_b32 exec_lo, exec_lo, s18
.LBB232_3377:                           ;   in Loop: Header=BB232_2089 Depth=1
	s_delay_alu instid0(SALU_CYCLE_1) | instskip(SKIP_2) | instid1(VALU_DEP_1)
	s_or_b32 exec_lo, exec_lo, s17
	v_lshrrev_b16 v3, 8, v2
	s_mov_b32 s17, exec_lo
	v_cmpx_ne_u16_e32 0, v3
	s_cbranch_execz .LBB232_3385
; %bb.3378:                             ;   in Loop: Header=BB232_2089 Depth=1
	v_mov_b64_e32 v[4:5], 0x8000000000000000
	s_mov_b32 s18, exec_lo
	scratch_store_b64 off, v[4:5], s32 offset:1276 ; 8-byte Folded Spill
	s_wait_xcnt 0x0
	v_cmpx_ne_u16_e32 0x80, v3
	s_cbranch_execz .LBB232_3384
; %bb.3379:                             ;   in Loop: Header=BB232_2089 Depth=1
	v_and_b32_e32 v3, 0xffff, v3
	v_mov_b64_e32 v[6:7], 0x7f80000100000000
	s_mov_b32 s19, exec_lo
	s_delay_alu instid0(VALU_DEP_2)
	v_and_b32_e32 v4, 0x7f, v3
	scratch_store_b64 off, v[6:7], s32 offset:1276 ; 8-byte Folded Spill
	s_wait_xcnt 0x0
	v_cmpx_ne_u32_e32 0x7f, v4
	s_cbranch_execz .LBB232_3383
; %bb.3380:                             ;   in Loop: Header=BB232_2089 Depth=1
	scratch_load_b64 v[6:7], off, s32 offset:192 th:TH_LOAD_LU ; 8-byte Folded Reload
	s_wait_loadcnt 0x0
	v_dual_lshrrev_b32 v3, 3, v4 :: v_dual_bitop2_b32 v6, 7, v3 bitop3:0x40
	s_mov_b32 s20, exec_lo
	s_wait_xcnt 0x0
	v_cmpx_gt_u32_e32 8, v4
; %bb.3381:                             ;   in Loop: Header=BB232_2089 Depth=1
	s_delay_alu instid0(VALU_DEP_2) | instskip(NEXT) | instid1(VALU_DEP_1)
	v_clz_i32_u32_e32 v3, v6
	v_min_u32_e32 v3, 32, v3
	s_delay_alu instid0(VALU_DEP_1) | instskip(NEXT) | instid1(VALU_DEP_1)
	v_subrev_nc_u32_e32 v4, 28, v3
	v_lshlrev_b64_e32 v[4:5], v4, v[6:7]
	s_delay_alu instid0(VALU_DEP_1)
	v_dual_sub_nc_u32 v3, 29, v3 :: v_dual_bitop2_b32 v6, 7, v4 bitop3:0x40
; %bb.3382:                             ;   in Loop: Header=BB232_2089 Depth=1
	s_or_b32 exec_lo, exec_lo, s20
	v_lshlrev_b32_e32 v4, 16, v2
	s_delay_alu instid0(VALU_DEP_2) | instskip(NEXT) | instid1(VALU_DEP_3)
	v_lshlrev_b32_e32 v5, 20, v6
	v_lshl_add_u32 v3, v3, 23, 0x3c000000
	s_delay_alu instid0(VALU_DEP_3) | instskip(NEXT) | instid1(VALU_DEP_1)
	v_and_b32_e32 v4, 0x80000000, v4
	v_or3_b32 v5, v5, v4, v3
	v_dual_mov_b32 v3, v7 :: v_dual_mov_b32 v4, v7
	s_clause 0x1
	scratch_store_b64 off, v[2:3], s32 offset:192
	scratch_store_b64 off, v[4:5], s32 offset:1276
.LBB232_3383:                           ;   in Loop: Header=BB232_2089 Depth=1
	s_wait_xcnt 0x0
	s_or_b32 exec_lo, exec_lo, s19
.LBB232_3384:                           ;   in Loop: Header=BB232_2089 Depth=1
	s_delay_alu instid0(SALU_CYCLE_1)
	s_or_b32 exec_lo, exec_lo, s18
.LBB232_3385:                           ;   in Loop: Header=BB232_2089 Depth=1
	s_delay_alu instid0(SALU_CYCLE_1) | instskip(SKIP_3) | instid1(VALU_DEP_1)
	s_or_b32 exec_lo, exec_lo, s17
	v_mov_b64_e32 v[6:7], 0
	v_lshrrev_b32_e32 v3, 16, v2
	s_mov_b32 s17, exec_lo
	v_and_b32_e32 v4, 0xff, v3
	scratch_store_b64 off, v[6:7], s32 offset:1292 ; 8-byte Folded Spill
	s_wait_xcnt 0x0
	v_mov_b64_e32 v[6:7], 0
	scratch_store_b64 off, v[6:7], s32 offset:1300 ; 8-byte Folded Spill
	s_wait_xcnt 0x0
	v_cmpx_ne_u16_e32 0, v4
	s_cbranch_execz .LBB232_3393
; %bb.3386:                             ;   in Loop: Header=BB232_2089 Depth=1
	v_cmp_ne_u16_e64 s4, 0x80, v4
	v_mov_b64_e32 v[4:5], 0x80000000
	scratch_store_b64 off, v[4:5], s32 offset:1300 ; 8-byte Folded Spill
	s_wait_xcnt 0x0
	s_and_saveexec_b32 s18, s4
	s_cbranch_execz .LBB232_3392
; %bb.3387:                             ;   in Loop: Header=BB232_2089 Depth=1
	v_mov_b64_e32 v[6:7], 0x7f800001
	v_bfe_u32 v5, v2, 16, 7
	s_mov_b32 s19, exec_lo
	scratch_store_b64 off, v[6:7], s32 offset:1300 ; 8-byte Folded Spill
	s_wait_xcnt 0x0
	v_cmpx_ne_u32_e32 0x7f, v5
	s_cbranch_execz .LBB232_3391
; %bb.3388:                             ;   in Loop: Header=BB232_2089 Depth=1
	scratch_load_b64 v[8:9], off, s32 offset:192 th:TH_LOAD_LU ; 8-byte Folded Reload
	s_wait_loadcnt 0x0
	v_dual_lshrrev_b32 v4, 3, v5 :: v_dual_bitop2_b32 v8, 7, v3 bitop3:0x40
	s_mov_b32 s20, exec_lo
	s_wait_xcnt 0x0
	v_cmpx_gt_u32_e32 8, v5
; %bb.3389:                             ;   in Loop: Header=BB232_2089 Depth=1
	s_delay_alu instid0(VALU_DEP_2) | instskip(NEXT) | instid1(VALU_DEP_1)
	v_clz_i32_u32_e32 v4, v8
	v_min_u32_e32 v4, 32, v4
	s_delay_alu instid0(VALU_DEP_1) | instskip(NEXT) | instid1(VALU_DEP_1)
	v_subrev_nc_u32_e32 v5, 28, v4
	v_lshlrev_b64_e32 v[6:7], v5, v[8:9]
	s_delay_alu instid0(VALU_DEP_1)
	v_dual_sub_nc_u32 v4, 29, v4 :: v_dual_bitop2_b32 v8, 7, v6 bitop3:0x40
; %bb.3390:                             ;   in Loop: Header=BB232_2089 Depth=1
	s_or_b32 exec_lo, exec_lo, s20
	s_delay_alu instid0(VALU_DEP_1) | instskip(NEXT) | instid1(VALU_DEP_2)
	v_dual_lshlrev_b32 v3, 24, v3 :: v_dual_lshlrev_b32 v5, 20, v8
	v_lshl_add_u32 v4, v4, 23, 0x3c000000
	s_delay_alu instid0(VALU_DEP_2) | instskip(NEXT) | instid1(VALU_DEP_1)
	v_and_b32_e32 v3, 0x80000000, v3
	v_or3_b32 v8, v5, v3, v4
	v_mov_b32_e32 v3, v9
	s_clause 0x1
	scratch_store_b64 off, v[2:3], s32 offset:192
	scratch_store_b64 off, v[8:9], s32 offset:1300
.LBB232_3391:                           ;   in Loop: Header=BB232_2089 Depth=1
	s_wait_xcnt 0x0
	s_or_b32 exec_lo, exec_lo, s19
.LBB232_3392:                           ;   in Loop: Header=BB232_2089 Depth=1
	s_delay_alu instid0(SALU_CYCLE_1)
	s_or_b32 exec_lo, exec_lo, s18
.LBB232_3393:                           ;   in Loop: Header=BB232_2089 Depth=1
	s_delay_alu instid0(SALU_CYCLE_1) | instskip(NEXT) | instid1(SALU_CYCLE_1)
	s_or_b32 exec_lo, exec_lo, s17
	s_mov_b32 s17, exec_lo
	v_cmpx_lt_u32_e32 0xffffff, v2
	s_cbranch_execz .LBB232_3401
; %bb.3394:                             ;   in Loop: Header=BB232_2089 Depth=1
	v_mov_b64_e32 v[4:5], 0x8000000000000000
	v_lshrrev_b32_e32 v3, 24, v2
	s_mov_b32 s18, exec_lo
	scratch_store_b64 off, v[4:5], s32 offset:1292 ; 8-byte Folded Spill
	s_wait_xcnt 0x0
	v_cmpx_ne_u32_e32 0x80, v3
	s_cbranch_execz .LBB232_3400
; %bb.3395:                             ;   in Loop: Header=BB232_2089 Depth=1
	v_mov_b64_e32 v[6:7], 0x7f80000100000000
	v_bfe_u32 v4, v2, 24, 7
	s_mov_b32 s19, exec_lo
	scratch_store_b64 off, v[6:7], s32 offset:1292 ; 8-byte Folded Spill
	s_wait_xcnt 0x0
	v_cmpx_ne_u32_e32 0x7f, v4
	s_cbranch_execz .LBB232_3399
; %bb.3396:                             ;   in Loop: Header=BB232_2089 Depth=1
	scratch_load_b64 v[6:7], off, s32 offset:192 th:TH_LOAD_LU ; 8-byte Folded Reload
	s_wait_loadcnt 0x0
	v_dual_lshrrev_b32 v2, 3, v4 :: v_dual_bitop2_b32 v6, 7, v3 bitop3:0x40
	s_mov_b32 s20, exec_lo
	s_wait_xcnt 0x0
	v_cmpx_gt_u32_e32 8, v4
; %bb.3397:                             ;   in Loop: Header=BB232_2089 Depth=1
	s_delay_alu instid0(VALU_DEP_2) | instskip(NEXT) | instid1(VALU_DEP_1)
	v_clz_i32_u32_e32 v2, v6
	v_min_u32_e32 v2, 32, v2
	s_delay_alu instid0(VALU_DEP_1) | instskip(NEXT) | instid1(VALU_DEP_1)
	v_subrev_nc_u32_e32 v4, 28, v2
	v_lshlrev_b64_e32 v[4:5], v4, v[6:7]
	s_delay_alu instid0(VALU_DEP_1)
	v_dual_sub_nc_u32 v2, 29, v2 :: v_dual_bitop2_b32 v6, 7, v4 bitop3:0x40
; %bb.3398:                             ;   in Loop: Header=BB232_2089 Depth=1
	s_or_b32 exec_lo, exec_lo, s20
	s_delay_alu instid0(VALU_DEP_1) | instskip(NEXT) | instid1(VALU_DEP_2)
	v_dual_lshlrev_b32 v3, 24, v3 :: v_dual_lshlrev_b32 v4, 20, v6
	v_lshl_add_u32 v2, v2, 23, 0x3c000000
	s_delay_alu instid0(VALU_DEP_2) | instskip(NEXT) | instid1(VALU_DEP_1)
	v_and_b32_e32 v3, 0x80000000, v3
	v_or3_b32 v5, v4, v3, v2
	v_dual_mov_b32 v3, v7 :: v_dual_mov_b32 v4, v7
	s_clause 0x1
	scratch_store_b64 off, v[2:3], s32 offset:192
	scratch_store_b64 off, v[4:5], s32 offset:1292
.LBB232_3399:                           ;   in Loop: Header=BB232_2089 Depth=1
	s_wait_xcnt 0x0
	s_or_b32 exec_lo, exec_lo, s19
.LBB232_3400:                           ;   in Loop: Header=BB232_2089 Depth=1
	s_delay_alu instid0(SALU_CYCLE_1)
	s_or_b32 exec_lo, exec_lo, s18
.LBB232_3401:                           ;   in Loop: Header=BB232_2089 Depth=1
	s_delay_alu instid0(SALU_CYCLE_1)
	s_or_b32 exec_lo, exec_lo, s17
	flat_load_b32 v2, v[0:1] offset:5248
	v_mov_b64_e32 v[4:5], 0
	s_mov_b32 s17, exec_lo
	scratch_store_b64 off, v[4:5], s32 offset:1308 ; 8-byte Folded Spill
	s_wait_xcnt 0x0
	v_mov_b64_e32 v[4:5], 0
	scratch_store_b64 off, v[4:5], s32 offset:1316 ; 8-byte Folded Spill
	s_wait_loadcnt_dscnt 0x0
	v_and_b32_e32 v3, 0xff, v2
	s_wait_xcnt 0x0
	s_delay_alu instid0(VALU_DEP_1)
	v_cmpx_ne_u16_e32 0, v3
	s_cbranch_execz .LBB232_3409
; %bb.3402:                             ;   in Loop: Header=BB232_2089 Depth=1
	v_mov_b64_e32 v[4:5], 0x80000000
	s_mov_b32 s18, exec_lo
	scratch_store_b64 off, v[4:5], s32 offset:1316 ; 8-byte Folded Spill
	s_wait_xcnt 0x0
	v_cmpx_ne_u16_e32 0x80, v3
	s_cbranch_execz .LBB232_3408
; %bb.3403:                             ;   in Loop: Header=BB232_2089 Depth=1
	v_mov_b64_e32 v[6:7], 0x7f800001
	v_and_b32_e32 v4, 0x7f, v2
	s_mov_b32 s19, exec_lo
	scratch_store_b64 off, v[6:7], s32 offset:1316 ; 8-byte Folded Spill
	s_wait_xcnt 0x0
	v_cmpx_ne_u32_e32 0x7f, v4
	s_cbranch_execz .LBB232_3407
; %bb.3404:                             ;   in Loop: Header=BB232_2089 Depth=1
	scratch_load_b64 v[6:7], off, s32 offset:192 th:TH_LOAD_LU ; 8-byte Folded Reload
	s_wait_loadcnt 0x0
	v_dual_lshrrev_b32 v3, 3, v4 :: v_dual_bitop2_b32 v6, 7, v2 bitop3:0x40
	s_mov_b32 s20, exec_lo
	s_wait_xcnt 0x0
	v_cmpx_gt_u32_e32 8, v4
; %bb.3405:                             ;   in Loop: Header=BB232_2089 Depth=1
	s_delay_alu instid0(VALU_DEP_2) | instskip(NEXT) | instid1(VALU_DEP_1)
	v_clz_i32_u32_e32 v3, v6
	v_min_u32_e32 v3, 32, v3
	s_delay_alu instid0(VALU_DEP_1) | instskip(NEXT) | instid1(VALU_DEP_1)
	v_subrev_nc_u32_e32 v4, 28, v3
	v_lshlrev_b64_e32 v[4:5], v4, v[6:7]
	s_delay_alu instid0(VALU_DEP_1)
	v_dual_sub_nc_u32 v3, 29, v3 :: v_dual_bitop2_b32 v6, 7, v4 bitop3:0x40
; %bb.3406:                             ;   in Loop: Header=BB232_2089 Depth=1
	s_or_b32 exec_lo, exec_lo, s20
	v_lshlrev_b32_e32 v4, 24, v2
	s_delay_alu instid0(VALU_DEP_2) | instskip(NEXT) | instid1(VALU_DEP_3)
	v_lshlrev_b32_e32 v5, 20, v6
	v_lshl_add_u32 v3, v3, 23, 0x3c000000
	s_delay_alu instid0(VALU_DEP_3) | instskip(NEXT) | instid1(VALU_DEP_1)
	v_and_b32_e32 v4, 0x80000000, v4
	v_or3_b32 v6, v5, v4, v3
	v_mov_b32_e32 v3, v7
	s_clause 0x1
	scratch_store_b64 off, v[2:3], s32 offset:192
	scratch_store_b64 off, v[6:7], s32 offset:1316
.LBB232_3407:                           ;   in Loop: Header=BB232_2089 Depth=1
	s_wait_xcnt 0x0
	s_or_b32 exec_lo, exec_lo, s19
.LBB232_3408:                           ;   in Loop: Header=BB232_2089 Depth=1
	s_delay_alu instid0(SALU_CYCLE_1)
	s_or_b32 exec_lo, exec_lo, s18
.LBB232_3409:                           ;   in Loop: Header=BB232_2089 Depth=1
	s_delay_alu instid0(SALU_CYCLE_1) | instskip(SKIP_2) | instid1(VALU_DEP_1)
	s_or_b32 exec_lo, exec_lo, s17
	v_lshrrev_b16 v3, 8, v2
	s_mov_b32 s17, exec_lo
	v_cmpx_ne_u16_e32 0, v3
	s_cbranch_execz .LBB232_3417
; %bb.3410:                             ;   in Loop: Header=BB232_2089 Depth=1
	v_mov_b64_e32 v[4:5], 0x8000000000000000
	s_mov_b32 s18, exec_lo
	scratch_store_b64 off, v[4:5], s32 offset:1308 ; 8-byte Folded Spill
	s_wait_xcnt 0x0
	v_cmpx_ne_u16_e32 0x80, v3
	s_cbranch_execz .LBB232_3416
; %bb.3411:                             ;   in Loop: Header=BB232_2089 Depth=1
	v_and_b32_e32 v3, 0xffff, v3
	v_mov_b64_e32 v[6:7], 0x7f80000100000000
	s_mov_b32 s19, exec_lo
	s_delay_alu instid0(VALU_DEP_2)
	v_and_b32_e32 v4, 0x7f, v3
	scratch_store_b64 off, v[6:7], s32 offset:1308 ; 8-byte Folded Spill
	s_wait_xcnt 0x0
	v_cmpx_ne_u32_e32 0x7f, v4
	s_cbranch_execz .LBB232_3415
; %bb.3412:                             ;   in Loop: Header=BB232_2089 Depth=1
	scratch_load_b64 v[6:7], off, s32 offset:192 th:TH_LOAD_LU ; 8-byte Folded Reload
	s_wait_loadcnt 0x0
	v_dual_lshrrev_b32 v3, 3, v4 :: v_dual_bitop2_b32 v6, 7, v3 bitop3:0x40
	s_mov_b32 s20, exec_lo
	s_wait_xcnt 0x0
	v_cmpx_gt_u32_e32 8, v4
; %bb.3413:                             ;   in Loop: Header=BB232_2089 Depth=1
	s_delay_alu instid0(VALU_DEP_2) | instskip(NEXT) | instid1(VALU_DEP_1)
	v_clz_i32_u32_e32 v3, v6
	v_min_u32_e32 v3, 32, v3
	s_delay_alu instid0(VALU_DEP_1) | instskip(NEXT) | instid1(VALU_DEP_1)
	v_subrev_nc_u32_e32 v4, 28, v3
	v_lshlrev_b64_e32 v[4:5], v4, v[6:7]
	s_delay_alu instid0(VALU_DEP_1)
	v_dual_sub_nc_u32 v3, 29, v3 :: v_dual_bitop2_b32 v6, 7, v4 bitop3:0x40
; %bb.3414:                             ;   in Loop: Header=BB232_2089 Depth=1
	s_or_b32 exec_lo, exec_lo, s20
	v_lshlrev_b32_e32 v4, 16, v2
	s_delay_alu instid0(VALU_DEP_2) | instskip(NEXT) | instid1(VALU_DEP_3)
	v_lshlrev_b32_e32 v5, 20, v6
	v_lshl_add_u32 v3, v3, 23, 0x3c000000
	s_delay_alu instid0(VALU_DEP_3) | instskip(NEXT) | instid1(VALU_DEP_1)
	v_and_b32_e32 v4, 0x80000000, v4
	v_or3_b32 v5, v5, v4, v3
	v_dual_mov_b32 v3, v7 :: v_dual_mov_b32 v4, v7
	s_clause 0x1
	scratch_store_b64 off, v[2:3], s32 offset:192
	scratch_store_b64 off, v[4:5], s32 offset:1308
.LBB232_3415:                           ;   in Loop: Header=BB232_2089 Depth=1
	s_wait_xcnt 0x0
	s_or_b32 exec_lo, exec_lo, s19
.LBB232_3416:                           ;   in Loop: Header=BB232_2089 Depth=1
	s_delay_alu instid0(SALU_CYCLE_1)
	s_or_b32 exec_lo, exec_lo, s18
.LBB232_3417:                           ;   in Loop: Header=BB232_2089 Depth=1
	s_delay_alu instid0(SALU_CYCLE_1) | instskip(SKIP_3) | instid1(VALU_DEP_1)
	s_or_b32 exec_lo, exec_lo, s17
	v_mov_b64_e32 v[6:7], 0
	v_lshrrev_b32_e32 v3, 16, v2
	s_mov_b32 s17, exec_lo
	v_and_b32_e32 v4, 0xff, v3
	scratch_store_b64 off, v[6:7], s32 offset:1324 ; 8-byte Folded Spill
	s_wait_xcnt 0x0
	v_mov_b64_e32 v[6:7], 0
	scratch_store_b64 off, v[6:7], s32 offset:1332 ; 8-byte Folded Spill
	s_wait_xcnt 0x0
	v_cmpx_ne_u16_e32 0, v4
	s_cbranch_execz .LBB232_3425
; %bb.3418:                             ;   in Loop: Header=BB232_2089 Depth=1
	v_cmp_ne_u16_e64 s4, 0x80, v4
	v_mov_b64_e32 v[4:5], 0x80000000
	scratch_store_b64 off, v[4:5], s32 offset:1332 ; 8-byte Folded Spill
	s_wait_xcnt 0x0
	s_and_saveexec_b32 s18, s4
	s_cbranch_execz .LBB232_3424
; %bb.3419:                             ;   in Loop: Header=BB232_2089 Depth=1
	v_mov_b64_e32 v[6:7], 0x7f800001
	v_bfe_u32 v5, v2, 16, 7
	s_mov_b32 s19, exec_lo
	scratch_store_b64 off, v[6:7], s32 offset:1332 ; 8-byte Folded Spill
	s_wait_xcnt 0x0
	v_cmpx_ne_u32_e32 0x7f, v5
	s_cbranch_execz .LBB232_3423
; %bb.3420:                             ;   in Loop: Header=BB232_2089 Depth=1
	scratch_load_b64 v[8:9], off, s32 offset:192 th:TH_LOAD_LU ; 8-byte Folded Reload
	s_wait_loadcnt 0x0
	v_dual_lshrrev_b32 v4, 3, v5 :: v_dual_bitop2_b32 v8, 7, v3 bitop3:0x40
	s_mov_b32 s20, exec_lo
	s_wait_xcnt 0x0
	v_cmpx_gt_u32_e32 8, v5
; %bb.3421:                             ;   in Loop: Header=BB232_2089 Depth=1
	s_delay_alu instid0(VALU_DEP_2) | instskip(NEXT) | instid1(VALU_DEP_1)
	v_clz_i32_u32_e32 v4, v8
	v_min_u32_e32 v4, 32, v4
	s_delay_alu instid0(VALU_DEP_1) | instskip(NEXT) | instid1(VALU_DEP_1)
	v_subrev_nc_u32_e32 v5, 28, v4
	v_lshlrev_b64_e32 v[6:7], v5, v[8:9]
	s_delay_alu instid0(VALU_DEP_1)
	v_dual_sub_nc_u32 v4, 29, v4 :: v_dual_bitop2_b32 v8, 7, v6 bitop3:0x40
; %bb.3422:                             ;   in Loop: Header=BB232_2089 Depth=1
	s_or_b32 exec_lo, exec_lo, s20
	s_delay_alu instid0(VALU_DEP_1) | instskip(NEXT) | instid1(VALU_DEP_2)
	v_dual_lshlrev_b32 v3, 24, v3 :: v_dual_lshlrev_b32 v5, 20, v8
	v_lshl_add_u32 v4, v4, 23, 0x3c000000
	s_delay_alu instid0(VALU_DEP_2) | instskip(NEXT) | instid1(VALU_DEP_1)
	v_and_b32_e32 v3, 0x80000000, v3
	v_or3_b32 v8, v5, v3, v4
	v_mov_b32_e32 v3, v9
	s_clause 0x1
	scratch_store_b64 off, v[2:3], s32 offset:192
	scratch_store_b64 off, v[8:9], s32 offset:1332
.LBB232_3423:                           ;   in Loop: Header=BB232_2089 Depth=1
	s_wait_xcnt 0x0
	s_or_b32 exec_lo, exec_lo, s19
.LBB232_3424:                           ;   in Loop: Header=BB232_2089 Depth=1
	s_delay_alu instid0(SALU_CYCLE_1)
	s_or_b32 exec_lo, exec_lo, s18
.LBB232_3425:                           ;   in Loop: Header=BB232_2089 Depth=1
	s_delay_alu instid0(SALU_CYCLE_1) | instskip(NEXT) | instid1(SALU_CYCLE_1)
	s_or_b32 exec_lo, exec_lo, s17
	s_mov_b32 s17, exec_lo
	v_cmpx_lt_u32_e32 0xffffff, v2
	s_cbranch_execz .LBB232_3433
; %bb.3426:                             ;   in Loop: Header=BB232_2089 Depth=1
	v_mov_b64_e32 v[4:5], 0x8000000000000000
	v_lshrrev_b32_e32 v3, 24, v2
	s_mov_b32 s18, exec_lo
	scratch_store_b64 off, v[4:5], s32 offset:1324 ; 8-byte Folded Spill
	s_wait_xcnt 0x0
	v_cmpx_ne_u32_e32 0x80, v3
	s_cbranch_execz .LBB232_3432
; %bb.3427:                             ;   in Loop: Header=BB232_2089 Depth=1
	v_mov_b64_e32 v[6:7], 0x7f80000100000000
	v_bfe_u32 v4, v2, 24, 7
	s_mov_b32 s19, exec_lo
	scratch_store_b64 off, v[6:7], s32 offset:1324 ; 8-byte Folded Spill
	s_wait_xcnt 0x0
	v_cmpx_ne_u32_e32 0x7f, v4
	s_cbranch_execz .LBB232_3431
; %bb.3428:                             ;   in Loop: Header=BB232_2089 Depth=1
	scratch_load_b64 v[6:7], off, s32 offset:192 th:TH_LOAD_LU ; 8-byte Folded Reload
	s_wait_loadcnt 0x0
	v_dual_lshrrev_b32 v2, 3, v4 :: v_dual_bitop2_b32 v6, 7, v3 bitop3:0x40
	s_mov_b32 s20, exec_lo
	s_wait_xcnt 0x0
	v_cmpx_gt_u32_e32 8, v4
; %bb.3429:                             ;   in Loop: Header=BB232_2089 Depth=1
	s_delay_alu instid0(VALU_DEP_2) | instskip(NEXT) | instid1(VALU_DEP_1)
	v_clz_i32_u32_e32 v2, v6
	v_min_u32_e32 v2, 32, v2
	s_delay_alu instid0(VALU_DEP_1) | instskip(NEXT) | instid1(VALU_DEP_1)
	v_subrev_nc_u32_e32 v4, 28, v2
	v_lshlrev_b64_e32 v[4:5], v4, v[6:7]
	s_delay_alu instid0(VALU_DEP_1)
	v_dual_sub_nc_u32 v2, 29, v2 :: v_dual_bitop2_b32 v6, 7, v4 bitop3:0x40
; %bb.3430:                             ;   in Loop: Header=BB232_2089 Depth=1
	s_or_b32 exec_lo, exec_lo, s20
	s_delay_alu instid0(VALU_DEP_1) | instskip(NEXT) | instid1(VALU_DEP_2)
	v_dual_lshlrev_b32 v3, 24, v3 :: v_dual_lshlrev_b32 v4, 20, v6
	v_lshl_add_u32 v2, v2, 23, 0x3c000000
	s_delay_alu instid0(VALU_DEP_2) | instskip(NEXT) | instid1(VALU_DEP_1)
	v_and_b32_e32 v3, 0x80000000, v3
	v_or3_b32 v5, v4, v3, v2
	v_dual_mov_b32 v3, v7 :: v_dual_mov_b32 v4, v7
	s_clause 0x1
	scratch_store_b64 off, v[2:3], s32 offset:192
	scratch_store_b64 off, v[4:5], s32 offset:1324
.LBB232_3431:                           ;   in Loop: Header=BB232_2089 Depth=1
	s_wait_xcnt 0x0
	s_or_b32 exec_lo, exec_lo, s19
.LBB232_3432:                           ;   in Loop: Header=BB232_2089 Depth=1
	s_delay_alu instid0(SALU_CYCLE_1)
	s_or_b32 exec_lo, exec_lo, s18
.LBB232_3433:                           ;   in Loop: Header=BB232_2089 Depth=1
	s_delay_alu instid0(SALU_CYCLE_1)
	s_or_b32 exec_lo, exec_lo, s17
	flat_load_b32 v2, v[0:1] offset:5376
	v_mov_b64_e32 v[4:5], 0
	s_mov_b32 s17, exec_lo
	scratch_store_b64 off, v[4:5], s32 offset:1340 ; 8-byte Folded Spill
	s_wait_xcnt 0x0
	v_mov_b64_e32 v[4:5], 0
	scratch_store_b64 off, v[4:5], s32 offset:1348 ; 8-byte Folded Spill
	s_wait_loadcnt_dscnt 0x0
	v_and_b32_e32 v3, 0xff, v2
	s_wait_xcnt 0x0
	s_delay_alu instid0(VALU_DEP_1)
	v_cmpx_ne_u16_e32 0, v3
	s_cbranch_execz .LBB232_3441
; %bb.3434:                             ;   in Loop: Header=BB232_2089 Depth=1
	v_mov_b64_e32 v[4:5], 0x80000000
	s_mov_b32 s18, exec_lo
	scratch_store_b64 off, v[4:5], s32 offset:1348 ; 8-byte Folded Spill
	s_wait_xcnt 0x0
	v_cmpx_ne_u16_e32 0x80, v3
	s_cbranch_execz .LBB232_3440
; %bb.3435:                             ;   in Loop: Header=BB232_2089 Depth=1
	v_mov_b64_e32 v[6:7], 0x7f800001
	v_and_b32_e32 v4, 0x7f, v2
	s_mov_b32 s19, exec_lo
	scratch_store_b64 off, v[6:7], s32 offset:1348 ; 8-byte Folded Spill
	s_wait_xcnt 0x0
	v_cmpx_ne_u32_e32 0x7f, v4
	s_cbranch_execz .LBB232_3439
; %bb.3436:                             ;   in Loop: Header=BB232_2089 Depth=1
	scratch_load_b64 v[6:7], off, s32 offset:192 th:TH_LOAD_LU ; 8-byte Folded Reload
	s_wait_loadcnt 0x0
	v_dual_lshrrev_b32 v3, 3, v4 :: v_dual_bitop2_b32 v6, 7, v2 bitop3:0x40
	s_mov_b32 s20, exec_lo
	s_wait_xcnt 0x0
	v_cmpx_gt_u32_e32 8, v4
; %bb.3437:                             ;   in Loop: Header=BB232_2089 Depth=1
	s_delay_alu instid0(VALU_DEP_2) | instskip(NEXT) | instid1(VALU_DEP_1)
	v_clz_i32_u32_e32 v3, v6
	v_min_u32_e32 v3, 32, v3
	s_delay_alu instid0(VALU_DEP_1) | instskip(NEXT) | instid1(VALU_DEP_1)
	v_subrev_nc_u32_e32 v4, 28, v3
	v_lshlrev_b64_e32 v[4:5], v4, v[6:7]
	s_delay_alu instid0(VALU_DEP_1)
	v_dual_sub_nc_u32 v3, 29, v3 :: v_dual_bitop2_b32 v6, 7, v4 bitop3:0x40
; %bb.3438:                             ;   in Loop: Header=BB232_2089 Depth=1
	s_or_b32 exec_lo, exec_lo, s20
	v_lshlrev_b32_e32 v4, 24, v2
	s_delay_alu instid0(VALU_DEP_2) | instskip(NEXT) | instid1(VALU_DEP_3)
	v_lshlrev_b32_e32 v5, 20, v6
	v_lshl_add_u32 v3, v3, 23, 0x3c000000
	s_delay_alu instid0(VALU_DEP_3) | instskip(NEXT) | instid1(VALU_DEP_1)
	v_and_b32_e32 v4, 0x80000000, v4
	v_or3_b32 v6, v5, v4, v3
	v_mov_b32_e32 v3, v7
	s_clause 0x1
	scratch_store_b64 off, v[2:3], s32 offset:192
	scratch_store_b64 off, v[6:7], s32 offset:1348
.LBB232_3439:                           ;   in Loop: Header=BB232_2089 Depth=1
	s_wait_xcnt 0x0
	s_or_b32 exec_lo, exec_lo, s19
.LBB232_3440:                           ;   in Loop: Header=BB232_2089 Depth=1
	s_delay_alu instid0(SALU_CYCLE_1)
	s_or_b32 exec_lo, exec_lo, s18
.LBB232_3441:                           ;   in Loop: Header=BB232_2089 Depth=1
	s_delay_alu instid0(SALU_CYCLE_1) | instskip(SKIP_2) | instid1(VALU_DEP_1)
	s_or_b32 exec_lo, exec_lo, s17
	v_lshrrev_b16 v3, 8, v2
	s_mov_b32 s17, exec_lo
	v_cmpx_ne_u16_e32 0, v3
	s_cbranch_execz .LBB232_3449
; %bb.3442:                             ;   in Loop: Header=BB232_2089 Depth=1
	v_mov_b64_e32 v[4:5], 0x8000000000000000
	s_mov_b32 s18, exec_lo
	scratch_store_b64 off, v[4:5], s32 offset:1340 ; 8-byte Folded Spill
	s_wait_xcnt 0x0
	v_cmpx_ne_u16_e32 0x80, v3
	s_cbranch_execz .LBB232_3448
; %bb.3443:                             ;   in Loop: Header=BB232_2089 Depth=1
	v_and_b32_e32 v3, 0xffff, v3
	v_mov_b64_e32 v[6:7], 0x7f80000100000000
	s_mov_b32 s19, exec_lo
	s_delay_alu instid0(VALU_DEP_2)
	v_and_b32_e32 v4, 0x7f, v3
	scratch_store_b64 off, v[6:7], s32 offset:1340 ; 8-byte Folded Spill
	s_wait_xcnt 0x0
	v_cmpx_ne_u32_e32 0x7f, v4
	s_cbranch_execz .LBB232_3447
; %bb.3444:                             ;   in Loop: Header=BB232_2089 Depth=1
	scratch_load_b64 v[6:7], off, s32 offset:192 th:TH_LOAD_LU ; 8-byte Folded Reload
	s_wait_loadcnt 0x0
	v_dual_lshrrev_b32 v3, 3, v4 :: v_dual_bitop2_b32 v6, 7, v3 bitop3:0x40
	s_mov_b32 s20, exec_lo
	s_wait_xcnt 0x0
	v_cmpx_gt_u32_e32 8, v4
; %bb.3445:                             ;   in Loop: Header=BB232_2089 Depth=1
	s_delay_alu instid0(VALU_DEP_2) | instskip(NEXT) | instid1(VALU_DEP_1)
	v_clz_i32_u32_e32 v3, v6
	v_min_u32_e32 v3, 32, v3
	s_delay_alu instid0(VALU_DEP_1) | instskip(NEXT) | instid1(VALU_DEP_1)
	v_subrev_nc_u32_e32 v4, 28, v3
	v_lshlrev_b64_e32 v[4:5], v4, v[6:7]
	s_delay_alu instid0(VALU_DEP_1)
	v_dual_sub_nc_u32 v3, 29, v3 :: v_dual_bitop2_b32 v6, 7, v4 bitop3:0x40
; %bb.3446:                             ;   in Loop: Header=BB232_2089 Depth=1
	s_or_b32 exec_lo, exec_lo, s20
	v_lshlrev_b32_e32 v4, 16, v2
	s_delay_alu instid0(VALU_DEP_2) | instskip(NEXT) | instid1(VALU_DEP_3)
	v_lshlrev_b32_e32 v5, 20, v6
	v_lshl_add_u32 v3, v3, 23, 0x3c000000
	s_delay_alu instid0(VALU_DEP_3) | instskip(NEXT) | instid1(VALU_DEP_1)
	v_and_b32_e32 v4, 0x80000000, v4
	v_or3_b32 v5, v5, v4, v3
	v_dual_mov_b32 v3, v7 :: v_dual_mov_b32 v4, v7
	s_clause 0x1
	scratch_store_b64 off, v[2:3], s32 offset:192
	scratch_store_b64 off, v[4:5], s32 offset:1340
.LBB232_3447:                           ;   in Loop: Header=BB232_2089 Depth=1
	s_wait_xcnt 0x0
	s_or_b32 exec_lo, exec_lo, s19
.LBB232_3448:                           ;   in Loop: Header=BB232_2089 Depth=1
	s_delay_alu instid0(SALU_CYCLE_1)
	s_or_b32 exec_lo, exec_lo, s18
.LBB232_3449:                           ;   in Loop: Header=BB232_2089 Depth=1
	s_delay_alu instid0(SALU_CYCLE_1) | instskip(SKIP_3) | instid1(VALU_DEP_1)
	s_or_b32 exec_lo, exec_lo, s17
	v_mov_b64_e32 v[6:7], 0
	v_lshrrev_b32_e32 v3, 16, v2
	s_mov_b32 s17, exec_lo
	v_and_b32_e32 v4, 0xff, v3
	scratch_store_b64 off, v[6:7], s32 offset:1356 ; 8-byte Folded Spill
	s_wait_xcnt 0x0
	v_mov_b64_e32 v[6:7], 0
	scratch_store_b64 off, v[6:7], s32 offset:1364 ; 8-byte Folded Spill
	s_wait_xcnt 0x0
	v_cmpx_ne_u16_e32 0, v4
	s_cbranch_execz .LBB232_3457
; %bb.3450:                             ;   in Loop: Header=BB232_2089 Depth=1
	v_cmp_ne_u16_e64 s4, 0x80, v4
	v_mov_b64_e32 v[4:5], 0x80000000
	scratch_store_b64 off, v[4:5], s32 offset:1364 ; 8-byte Folded Spill
	s_wait_xcnt 0x0
	s_and_saveexec_b32 s18, s4
	s_cbranch_execz .LBB232_3456
; %bb.3451:                             ;   in Loop: Header=BB232_2089 Depth=1
	v_mov_b64_e32 v[6:7], 0x7f800001
	v_bfe_u32 v5, v2, 16, 7
	s_mov_b32 s19, exec_lo
	scratch_store_b64 off, v[6:7], s32 offset:1364 ; 8-byte Folded Spill
	s_wait_xcnt 0x0
	v_cmpx_ne_u32_e32 0x7f, v5
	s_cbranch_execz .LBB232_3455
; %bb.3452:                             ;   in Loop: Header=BB232_2089 Depth=1
	scratch_load_b64 v[8:9], off, s32 offset:192 th:TH_LOAD_LU ; 8-byte Folded Reload
	s_wait_loadcnt 0x0
	v_dual_lshrrev_b32 v4, 3, v5 :: v_dual_bitop2_b32 v8, 7, v3 bitop3:0x40
	s_mov_b32 s20, exec_lo
	s_wait_xcnt 0x0
	v_cmpx_gt_u32_e32 8, v5
; %bb.3453:                             ;   in Loop: Header=BB232_2089 Depth=1
	s_delay_alu instid0(VALU_DEP_2) | instskip(NEXT) | instid1(VALU_DEP_1)
	v_clz_i32_u32_e32 v4, v8
	v_min_u32_e32 v4, 32, v4
	s_delay_alu instid0(VALU_DEP_1) | instskip(NEXT) | instid1(VALU_DEP_1)
	v_subrev_nc_u32_e32 v5, 28, v4
	v_lshlrev_b64_e32 v[6:7], v5, v[8:9]
	s_delay_alu instid0(VALU_DEP_1)
	v_dual_sub_nc_u32 v4, 29, v4 :: v_dual_bitop2_b32 v8, 7, v6 bitop3:0x40
; %bb.3454:                             ;   in Loop: Header=BB232_2089 Depth=1
	s_or_b32 exec_lo, exec_lo, s20
	s_delay_alu instid0(VALU_DEP_1) | instskip(NEXT) | instid1(VALU_DEP_2)
	v_dual_lshlrev_b32 v3, 24, v3 :: v_dual_lshlrev_b32 v5, 20, v8
	v_lshl_add_u32 v4, v4, 23, 0x3c000000
	s_delay_alu instid0(VALU_DEP_2) | instskip(NEXT) | instid1(VALU_DEP_1)
	v_and_b32_e32 v3, 0x80000000, v3
	v_or3_b32 v8, v5, v3, v4
	v_mov_b32_e32 v3, v9
	s_clause 0x1
	scratch_store_b64 off, v[2:3], s32 offset:192
	scratch_store_b64 off, v[8:9], s32 offset:1364
.LBB232_3455:                           ;   in Loop: Header=BB232_2089 Depth=1
	s_wait_xcnt 0x0
	s_or_b32 exec_lo, exec_lo, s19
.LBB232_3456:                           ;   in Loop: Header=BB232_2089 Depth=1
	s_delay_alu instid0(SALU_CYCLE_1)
	s_or_b32 exec_lo, exec_lo, s18
.LBB232_3457:                           ;   in Loop: Header=BB232_2089 Depth=1
	s_delay_alu instid0(SALU_CYCLE_1) | instskip(NEXT) | instid1(SALU_CYCLE_1)
	s_or_b32 exec_lo, exec_lo, s17
	s_mov_b32 s17, exec_lo
	v_cmpx_lt_u32_e32 0xffffff, v2
	s_cbranch_execz .LBB232_3465
; %bb.3458:                             ;   in Loop: Header=BB232_2089 Depth=1
	v_mov_b64_e32 v[6:7], 0x8000000000000000
	v_lshrrev_b32_e32 v4, 24, v2
	s_mov_b32 s18, exec_lo
	scratch_store_b64 off, v[6:7], s32 offset:1356 ; 8-byte Folded Spill
	s_wait_xcnt 0x0
	v_cmpx_ne_u32_e32 0x80, v4
	s_cbranch_execz .LBB232_3464
; %bb.3459:                             ;   in Loop: Header=BB232_2089 Depth=1
	v_mov_b64_e32 v[6:7], 0x7f80000100000000
	v_bfe_u32 v2, v2, 24, 7
	s_mov_b32 s19, exec_lo
	scratch_store_b64 off, v[6:7], s32 offset:1356 ; 8-byte Folded Spill
	s_wait_xcnt 0x0
	v_cmpx_ne_u32_e32 0x7f, v2
	s_cbranch_execz .LBB232_3463
; %bb.3460:                             ;   in Loop: Header=BB232_2089 Depth=1
	scratch_load_b64 v[6:7], off, s32 offset:192 th:TH_LOAD_LU ; 8-byte Folded Reload
	s_wait_loadcnt 0x0
	v_dual_lshrrev_b32 v5, 3, v2 :: v_dual_bitop2_b32 v6, 7, v4 bitop3:0x40
	v_cmp_gt_u32_e64 s4, 8, v2
	s_delay_alu instid0(VALU_DEP_2)
	v_mov_b64_e32 v[2:3], v[6:7]
	s_wait_xcnt 0x0
	s_and_saveexec_b32 s20, s4
; %bb.3461:                             ;   in Loop: Header=BB232_2089 Depth=1
	v_clz_i32_u32_e32 v2, v6
	s_delay_alu instid0(VALU_DEP_1) | instskip(NEXT) | instid1(VALU_DEP_1)
	v_min_u32_e32 v5, 32, v2
	v_subrev_nc_u32_e32 v2, 28, v5
	s_delay_alu instid0(VALU_DEP_1) | instskip(NEXT) | instid1(VALU_DEP_1)
	v_lshlrev_b64_e32 v[2:3], v2, v[6:7]
	v_dual_sub_nc_u32 v5, 29, v5 :: v_dual_bitop2_b32 v2, 7, v2 bitop3:0x40
; %bb.3462:                             ;   in Loop: Header=BB232_2089 Depth=1
	s_or_b32 exec_lo, exec_lo, s20
	s_delay_alu instid0(VALU_DEP_1) | instskip(NEXT) | instid1(VALU_DEP_2)
	v_dual_lshlrev_b32 v3, 24, v4 :: v_dual_lshlrev_b32 v2, 20, v2
	v_lshl_add_u32 v4, v5, 23, 0x3c000000
	s_delay_alu instid0(VALU_DEP_2) | instskip(NEXT) | instid1(VALU_DEP_1)
	v_and_b32_e32 v3, 0x80000000, v3
	v_or3_b32 v5, v2, v3, v4
	v_dual_mov_b32 v3, v7 :: v_dual_mov_b32 v4, v7
	s_clause 0x1
	scratch_store_b64 off, v[2:3], s32 offset:192
	scratch_store_b64 off, v[4:5], s32 offset:1356
.LBB232_3463:                           ;   in Loop: Header=BB232_2089 Depth=1
	s_wait_xcnt 0x0
	s_or_b32 exec_lo, exec_lo, s19
.LBB232_3464:                           ;   in Loop: Header=BB232_2089 Depth=1
	s_delay_alu instid0(SALU_CYCLE_1)
	s_or_b32 exec_lo, exec_lo, s18
.LBB232_3465:                           ;   in Loop: Header=BB232_2089 Depth=1
	s_delay_alu instid0(SALU_CYCLE_1)
	s_or_b32 exec_lo, exec_lo, s17
	flat_load_b32 v4, v[0:1] offset:5504
	v_mov_b64_e32 v[6:7], 0
	s_mov_b32 s17, exec_lo
	scratch_store_b64 off, v[6:7], s32 offset:1372 ; 8-byte Folded Spill
	s_wait_xcnt 0x0
	v_mov_b64_e32 v[6:7], 0
	scratch_store_b64 off, v[6:7], s32 offset:1380 ; 8-byte Folded Spill
	s_wait_loadcnt_dscnt 0x0
	v_and_b32_e32 v2, 0xff, v4
	s_wait_xcnt 0x0
	s_delay_alu instid0(VALU_DEP_1)
	v_cmpx_ne_u16_e32 0, v2
	s_cbranch_execz .LBB232_3473
; %bb.3466:                             ;   in Loop: Header=BB232_2089 Depth=1
	v_cmp_ne_u16_e64 s4, 0x80, v2
	v_mov_b64_e32 v[2:3], 0x80000000
	scratch_store_b64 off, v[2:3], s32 offset:1380 ; 8-byte Folded Spill
	s_wait_xcnt 0x0
	s_and_saveexec_b32 s18, s4
	s_cbranch_execz .LBB232_3472
; %bb.3467:                             ;   in Loop: Header=BB232_2089 Depth=1
	v_mov_b64_e32 v[6:7], 0x7f800001
	v_and_b32_e32 v2, 0x7f, v4
	s_mov_b32 s19, exec_lo
	scratch_store_b64 off, v[6:7], s32 offset:1380 ; 8-byte Folded Spill
	s_wait_xcnt 0x0
	v_cmpx_ne_u32_e32 0x7f, v2
	s_cbranch_execz .LBB232_3471
; %bb.3468:                             ;   in Loop: Header=BB232_2089 Depth=1
	scratch_load_b64 v[6:7], off, s32 offset:192 th:TH_LOAD_LU ; 8-byte Folded Reload
	s_wait_loadcnt 0x0
	v_dual_lshrrev_b32 v5, 3, v2 :: v_dual_bitop2_b32 v6, 7, v4 bitop3:0x40
	v_cmp_gt_u32_e64 s4, 8, v2
	s_delay_alu instid0(VALU_DEP_2)
	v_mov_b64_e32 v[2:3], v[6:7]
	s_wait_xcnt 0x0
	s_and_saveexec_b32 s20, s4
; %bb.3469:                             ;   in Loop: Header=BB232_2089 Depth=1
	v_clz_i32_u32_e32 v2, v6
	s_delay_alu instid0(VALU_DEP_1) | instskip(NEXT) | instid1(VALU_DEP_1)
	v_min_u32_e32 v5, 32, v2
	v_subrev_nc_u32_e32 v2, 28, v5
	s_delay_alu instid0(VALU_DEP_1) | instskip(NEXT) | instid1(VALU_DEP_1)
	v_lshlrev_b64_e32 v[2:3], v2, v[6:7]
	v_dual_sub_nc_u32 v5, 29, v5 :: v_dual_bitop2_b32 v2, 7, v2 bitop3:0x40
; %bb.3470:                             ;   in Loop: Header=BB232_2089 Depth=1
	s_or_b32 exec_lo, exec_lo, s20
	s_delay_alu instid0(VALU_DEP_1) | instskip(NEXT) | instid1(VALU_DEP_2)
	v_dual_lshlrev_b32 v3, 24, v4 :: v_dual_lshlrev_b32 v2, 20, v2
	v_lshl_add_u32 v5, v5, 23, 0x3c000000
	s_delay_alu instid0(VALU_DEP_2) | instskip(NEXT) | instid1(VALU_DEP_1)
	v_and_b32_e32 v3, 0x80000000, v3
	v_or3_b32 v6, v2, v3, v5
	v_mov_b32_e32 v3, v7
	s_clause 0x1
	scratch_store_b64 off, v[2:3], s32 offset:192
	scratch_store_b64 off, v[6:7], s32 offset:1380
.LBB232_3471:                           ;   in Loop: Header=BB232_2089 Depth=1
	s_wait_xcnt 0x0
	s_or_b32 exec_lo, exec_lo, s19
.LBB232_3472:                           ;   in Loop: Header=BB232_2089 Depth=1
	s_delay_alu instid0(SALU_CYCLE_1)
	s_or_b32 exec_lo, exec_lo, s18
.LBB232_3473:                           ;   in Loop: Header=BB232_2089 Depth=1
	s_delay_alu instid0(SALU_CYCLE_1) | instskip(SKIP_2) | instid1(VALU_DEP_1)
	s_or_b32 exec_lo, exec_lo, s17
	v_lshrrev_b16 v2, 8, v4
	s_mov_b32 s17, exec_lo
	v_cmpx_ne_u16_e32 0, v2
	s_cbranch_execz .LBB232_3481
; %bb.3474:                             ;   in Loop: Header=BB232_2089 Depth=1
	v_mov_b64_e32 v[6:7], 0x8000000000000000
	s_mov_b32 s18, exec_lo
	scratch_store_b64 off, v[6:7], s32 offset:1372 ; 8-byte Folded Spill
	s_wait_xcnt 0x0
	v_cmpx_ne_u16_e32 0x80, v2
	s_cbranch_execz .LBB232_3480
; %bb.3475:                             ;   in Loop: Header=BB232_2089 Depth=1
	v_and_b32_e32 v3, 0xffff, v2
	v_mov_b64_e32 v[6:7], 0x7f80000100000000
	s_mov_b32 s19, exec_lo
	s_delay_alu instid0(VALU_DEP_2)
	v_and_b32_e32 v2, 0x7f, v3
	scratch_store_b64 off, v[6:7], s32 offset:1372 ; 8-byte Folded Spill
	s_wait_xcnt 0x0
	v_cmpx_ne_u32_e32 0x7f, v2
	s_cbranch_execz .LBB232_3479
; %bb.3476:                             ;   in Loop: Header=BB232_2089 Depth=1
	scratch_load_b64 v[6:7], off, s32 offset:192 th:TH_LOAD_LU ; 8-byte Folded Reload
	s_wait_loadcnt 0x0
	v_dual_lshrrev_b32 v5, 3, v2 :: v_dual_bitop2_b32 v6, 7, v3 bitop3:0x40
	v_cmp_gt_u32_e64 s4, 8, v2
	s_delay_alu instid0(VALU_DEP_2)
	v_mov_b64_e32 v[2:3], v[6:7]
	s_wait_xcnt 0x0
	s_and_saveexec_b32 s20, s4
; %bb.3477:                             ;   in Loop: Header=BB232_2089 Depth=1
	v_clz_i32_u32_e32 v2, v6
	s_delay_alu instid0(VALU_DEP_1) | instskip(NEXT) | instid1(VALU_DEP_1)
	v_min_u32_e32 v5, 32, v2
	v_subrev_nc_u32_e32 v2, 28, v5
	s_delay_alu instid0(VALU_DEP_1) | instskip(NEXT) | instid1(VALU_DEP_1)
	v_lshlrev_b64_e32 v[2:3], v2, v[6:7]
	v_dual_sub_nc_u32 v5, 29, v5 :: v_dual_bitop2_b32 v2, 7, v2 bitop3:0x40
; %bb.3478:                             ;   in Loop: Header=BB232_2089 Depth=1
	s_or_b32 exec_lo, exec_lo, s20
	s_delay_alu instid0(VALU_DEP_1) | instskip(NEXT) | instid1(VALU_DEP_2)
	v_dual_lshlrev_b32 v3, 16, v4 :: v_dual_lshlrev_b32 v2, 20, v2
	v_lshl_add_u32 v5, v5, 23, 0x3c000000
	v_mov_b32_e32 v8, v7
	s_delay_alu instid0(VALU_DEP_3) | instskip(NEXT) | instid1(VALU_DEP_1)
	v_and_b32_e32 v3, 0x80000000, v3
	v_or3_b32 v9, v2, v3, v5
	v_mov_b32_e32 v3, v7
	s_clause 0x1
	scratch_store_b64 off, v[8:9], s32 offset:1372
	scratch_store_b64 off, v[2:3], s32 offset:192
.LBB232_3479:                           ;   in Loop: Header=BB232_2089 Depth=1
	s_wait_xcnt 0x0
	s_or_b32 exec_lo, exec_lo, s19
.LBB232_3480:                           ;   in Loop: Header=BB232_2089 Depth=1
	s_delay_alu instid0(SALU_CYCLE_1)
	s_or_b32 exec_lo, exec_lo, s18
.LBB232_3481:                           ;   in Loop: Header=BB232_2089 Depth=1
	s_delay_alu instid0(SALU_CYCLE_1) | instskip(SKIP_3) | instid1(VALU_DEP_1)
	s_or_b32 exec_lo, exec_lo, s17
	v_mov_b64_e32 v[6:7], 0
	v_lshrrev_b32_e32 v5, 16, v4
	s_mov_b32 s17, exec_lo
	v_and_b32_e32 v2, 0xff, v5
	scratch_store_b64 off, v[6:7], s32 offset:1388 ; 8-byte Folded Spill
	s_wait_xcnt 0x0
	v_mov_b64_e32 v[6:7], 0
	scratch_store_b64 off, v[6:7], s32 offset:1396 ; 8-byte Folded Spill
	s_wait_xcnt 0x0
	v_cmpx_ne_u16_e32 0, v2
	s_cbranch_execz .LBB232_3489
; %bb.3482:                             ;   in Loop: Header=BB232_2089 Depth=1
	v_cmp_ne_u16_e64 s4, 0x80, v2
	v_mov_b64_e32 v[2:3], 0x80000000
	scratch_store_b64 off, v[2:3], s32 offset:1396 ; 8-byte Folded Spill
	s_wait_xcnt 0x0
	s_and_saveexec_b32 s18, s4
	s_cbranch_execz .LBB232_3488
; %bb.3483:                             ;   in Loop: Header=BB232_2089 Depth=1
	v_mov_b64_e32 v[6:7], 0x7f800001
	v_bfe_u32 v2, v4, 16, 7
	s_mov_b32 s19, exec_lo
	scratch_store_b64 off, v[6:7], s32 offset:1396 ; 8-byte Folded Spill
	s_wait_xcnt 0x0
	v_cmpx_ne_u32_e32 0x7f, v2
	s_cbranch_execz .LBB232_3487
; %bb.3484:                             ;   in Loop: Header=BB232_2089 Depth=1
	scratch_load_b64 v[8:9], off, s32 offset:192 th:TH_LOAD_LU ; 8-byte Folded Reload
	s_wait_loadcnt 0x0
	v_dual_lshrrev_b32 v6, 3, v2 :: v_dual_bitop2_b32 v8, 7, v5 bitop3:0x40
	v_cmp_gt_u32_e64 s4, 8, v2
	s_delay_alu instid0(VALU_DEP_2)
	v_mov_b64_e32 v[2:3], v[8:9]
	s_wait_xcnt 0x0
	s_and_saveexec_b32 s20, s4
; %bb.3485:                             ;   in Loop: Header=BB232_2089 Depth=1
	v_clz_i32_u32_e32 v2, v8
	s_delay_alu instid0(VALU_DEP_1) | instskip(NEXT) | instid1(VALU_DEP_1)
	v_min_u32_e32 v6, 32, v2
	v_subrev_nc_u32_e32 v2, 28, v6
	v_sub_nc_u32_e32 v6, 29, v6
	s_delay_alu instid0(VALU_DEP_2) | instskip(NEXT) | instid1(VALU_DEP_1)
	v_lshlrev_b64_e32 v[2:3], v2, v[8:9]
	v_and_b32_e32 v2, 7, v2
; %bb.3486:                             ;   in Loop: Header=BB232_2089 Depth=1
	s_or_b32 exec_lo, exec_lo, s20
	s_delay_alu instid0(VALU_DEP_1) | instskip(SKIP_1) | instid1(VALU_DEP_2)
	v_dual_lshlrev_b32 v3, 24, v5 :: v_dual_lshlrev_b32 v2, 20, v2
	v_lshl_add_u32 v5, v6, 23, 0x3c000000
	v_and_b32_e32 v3, 0x80000000, v3
	s_delay_alu instid0(VALU_DEP_1)
	v_or3_b32 v8, v2, v3, v5
	v_mov_b32_e32 v3, v9
	s_clause 0x1
	scratch_store_b64 off, v[2:3], s32 offset:192
	scratch_store_b64 off, v[8:9], s32 offset:1396
.LBB232_3487:                           ;   in Loop: Header=BB232_2089 Depth=1
	s_wait_xcnt 0x0
	s_or_b32 exec_lo, exec_lo, s19
.LBB232_3488:                           ;   in Loop: Header=BB232_2089 Depth=1
	s_delay_alu instid0(SALU_CYCLE_1)
	s_or_b32 exec_lo, exec_lo, s18
.LBB232_3489:                           ;   in Loop: Header=BB232_2089 Depth=1
	s_delay_alu instid0(SALU_CYCLE_1) | instskip(NEXT) | instid1(SALU_CYCLE_1)
	s_or_b32 exec_lo, exec_lo, s17
	s_mov_b32 s17, exec_lo
	v_cmpx_lt_u32_e32 0xffffff, v4
	s_cbranch_execz .LBB232_3497
; %bb.3490:                             ;   in Loop: Header=BB232_2089 Depth=1
	v_mov_b64_e32 v[2:3], 0x8000000000000000
	v_lshrrev_b32_e32 v5, 24, v4
	s_mov_b32 s18, exec_lo
	scratch_store_b64 off, v[2:3], s32 offset:1388 ; 8-byte Folded Spill
	s_wait_xcnt 0x0
	v_cmpx_ne_u32_e32 0x80, v5
	s_cbranch_execz .LBB232_3496
; %bb.3491:                             ;   in Loop: Header=BB232_2089 Depth=1
	v_mov_b64_e32 v[6:7], 0x7f80000100000000
	v_bfe_u32 v2, v4, 24, 7
	s_mov_b32 s19, exec_lo
	scratch_store_b64 off, v[6:7], s32 offset:1388 ; 8-byte Folded Spill
	s_wait_xcnt 0x0
	v_cmpx_ne_u32_e32 0x7f, v2
	s_cbranch_execz .LBB232_3495
; %bb.3492:                             ;   in Loop: Header=BB232_2089 Depth=1
	scratch_load_b64 v[6:7], off, s32 offset:192 th:TH_LOAD_LU ; 8-byte Folded Reload
	s_wait_loadcnt 0x0
	v_dual_lshrrev_b32 v4, 3, v2 :: v_dual_bitop2_b32 v6, 7, v5 bitop3:0x40
	v_cmp_gt_u32_e64 s4, 8, v2
	s_delay_alu instid0(VALU_DEP_2)
	v_mov_b64_e32 v[2:3], v[6:7]
	s_wait_xcnt 0x0
	s_and_saveexec_b32 s20, s4
; %bb.3493:                             ;   in Loop: Header=BB232_2089 Depth=1
	v_clz_i32_u32_e32 v2, v6
	s_delay_alu instid0(VALU_DEP_1) | instskip(NEXT) | instid1(VALU_DEP_1)
	v_min_u32_e32 v4, 32, v2
	v_subrev_nc_u32_e32 v2, 28, v4
	s_delay_alu instid0(VALU_DEP_1) | instskip(NEXT) | instid1(VALU_DEP_1)
	v_lshlrev_b64_e32 v[2:3], v2, v[6:7]
	v_dual_sub_nc_u32 v4, 29, v4 :: v_dual_bitop2_b32 v2, 7, v2 bitop3:0x40
; %bb.3494:                             ;   in Loop: Header=BB232_2089 Depth=1
	s_or_b32 exec_lo, exec_lo, s20
	s_delay_alu instid0(VALU_DEP_1) | instskip(NEXT) | instid1(VALU_DEP_2)
	v_dual_lshlrev_b32 v3, 24, v5 :: v_dual_lshlrev_b32 v2, 20, v2
	v_lshl_add_u32 v4, v4, 23, 0x3c000000
	s_delay_alu instid0(VALU_DEP_2) | instskip(NEXT) | instid1(VALU_DEP_1)
	v_and_b32_e32 v3, 0x80000000, v3
	v_or3_b32 v5, v2, v3, v4
	v_dual_mov_b32 v3, v7 :: v_dual_mov_b32 v4, v7
	s_clause 0x1
	scratch_store_b64 off, v[2:3], s32 offset:192
	scratch_store_b64 off, v[4:5], s32 offset:1388
.LBB232_3495:                           ;   in Loop: Header=BB232_2089 Depth=1
	s_wait_xcnt 0x0
	s_or_b32 exec_lo, exec_lo, s19
.LBB232_3496:                           ;   in Loop: Header=BB232_2089 Depth=1
	s_delay_alu instid0(SALU_CYCLE_1)
	s_or_b32 exec_lo, exec_lo, s18
.LBB232_3497:                           ;   in Loop: Header=BB232_2089 Depth=1
	s_delay_alu instid0(SALU_CYCLE_1)
	s_or_b32 exec_lo, exec_lo, s17
	flat_load_b32 v4, v[0:1] offset:5632
	v_mov_b64_e32 v[6:7], 0
	s_mov_b32 s17, exec_lo
	scratch_store_b64 off, v[6:7], s32 offset:1404 ; 8-byte Folded Spill
	s_wait_xcnt 0x0
	v_mov_b64_e32 v[6:7], 0
	scratch_store_b64 off, v[6:7], s32 offset:1412 ; 8-byte Folded Spill
	s_wait_loadcnt_dscnt 0x0
	v_and_b32_e32 v2, 0xff, v4
	s_wait_xcnt 0x0
	s_delay_alu instid0(VALU_DEP_1)
	v_cmpx_ne_u16_e32 0, v2
	s_cbranch_execz .LBB232_3505
; %bb.3498:                             ;   in Loop: Header=BB232_2089 Depth=1
	v_cmp_ne_u16_e64 s4, 0x80, v2
	v_mov_b64_e32 v[2:3], 0x80000000
	scratch_store_b64 off, v[2:3], s32 offset:1412 ; 8-byte Folded Spill
	s_wait_xcnt 0x0
	s_and_saveexec_b32 s18, s4
	s_cbranch_execz .LBB232_3504
; %bb.3499:                             ;   in Loop: Header=BB232_2089 Depth=1
	v_mov_b64_e32 v[6:7], 0x7f800001
	v_and_b32_e32 v2, 0x7f, v4
	s_mov_b32 s19, exec_lo
	scratch_store_b64 off, v[6:7], s32 offset:1412 ; 8-byte Folded Spill
	s_wait_xcnt 0x0
	v_cmpx_ne_u32_e32 0x7f, v2
	s_cbranch_execz .LBB232_3503
; %bb.3500:                             ;   in Loop: Header=BB232_2089 Depth=1
	scratch_load_b64 v[6:7], off, s32 offset:192 th:TH_LOAD_LU ; 8-byte Folded Reload
	s_wait_loadcnt 0x0
	v_dual_lshrrev_b32 v5, 3, v2 :: v_dual_bitop2_b32 v6, 7, v4 bitop3:0x40
	v_cmp_gt_u32_e64 s4, 8, v2
	s_delay_alu instid0(VALU_DEP_2)
	v_mov_b64_e32 v[2:3], v[6:7]
	s_wait_xcnt 0x0
	s_and_saveexec_b32 s20, s4
; %bb.3501:                             ;   in Loop: Header=BB232_2089 Depth=1
	v_clz_i32_u32_e32 v2, v6
	s_delay_alu instid0(VALU_DEP_1) | instskip(NEXT) | instid1(VALU_DEP_1)
	v_min_u32_e32 v5, 32, v2
	v_subrev_nc_u32_e32 v2, 28, v5
	s_delay_alu instid0(VALU_DEP_1) | instskip(NEXT) | instid1(VALU_DEP_1)
	v_lshlrev_b64_e32 v[2:3], v2, v[6:7]
	v_dual_sub_nc_u32 v5, 29, v5 :: v_dual_bitop2_b32 v2, 7, v2 bitop3:0x40
; %bb.3502:                             ;   in Loop: Header=BB232_2089 Depth=1
	s_or_b32 exec_lo, exec_lo, s20
	s_delay_alu instid0(VALU_DEP_1) | instskip(NEXT) | instid1(VALU_DEP_2)
	v_dual_lshlrev_b32 v3, 24, v4 :: v_dual_lshlrev_b32 v2, 20, v2
	v_lshl_add_u32 v5, v5, 23, 0x3c000000
	s_delay_alu instid0(VALU_DEP_2) | instskip(NEXT) | instid1(VALU_DEP_1)
	v_and_b32_e32 v3, 0x80000000, v3
	v_or3_b32 v6, v2, v3, v5
	v_mov_b32_e32 v3, v7
	s_clause 0x1
	scratch_store_b64 off, v[2:3], s32 offset:192
	scratch_store_b64 off, v[6:7], s32 offset:1412
.LBB232_3503:                           ;   in Loop: Header=BB232_2089 Depth=1
	s_wait_xcnt 0x0
	s_or_b32 exec_lo, exec_lo, s19
.LBB232_3504:                           ;   in Loop: Header=BB232_2089 Depth=1
	s_delay_alu instid0(SALU_CYCLE_1)
	s_or_b32 exec_lo, exec_lo, s18
.LBB232_3505:                           ;   in Loop: Header=BB232_2089 Depth=1
	s_delay_alu instid0(SALU_CYCLE_1) | instskip(SKIP_2) | instid1(VALU_DEP_1)
	s_or_b32 exec_lo, exec_lo, s17
	v_lshrrev_b16 v2, 8, v4
	s_mov_b32 s17, exec_lo
	v_cmpx_ne_u16_e32 0, v2
	s_cbranch_execz .LBB232_3513
; %bb.3506:                             ;   in Loop: Header=BB232_2089 Depth=1
	v_mov_b64_e32 v[6:7], 0x8000000000000000
	s_mov_b32 s18, exec_lo
	scratch_store_b64 off, v[6:7], s32 offset:1404 ; 8-byte Folded Spill
	s_wait_xcnt 0x0
	v_cmpx_ne_u16_e32 0x80, v2
	s_cbranch_execz .LBB232_3512
; %bb.3507:                             ;   in Loop: Header=BB232_2089 Depth=1
	v_and_b32_e32 v3, 0xffff, v2
	v_mov_b64_e32 v[6:7], 0x7f80000100000000
	s_mov_b32 s19, exec_lo
	s_delay_alu instid0(VALU_DEP_2)
	v_and_b32_e32 v2, 0x7f, v3
	scratch_store_b64 off, v[6:7], s32 offset:1404 ; 8-byte Folded Spill
	s_wait_xcnt 0x0
	v_cmpx_ne_u32_e32 0x7f, v2
	s_cbranch_execz .LBB232_3511
; %bb.3508:                             ;   in Loop: Header=BB232_2089 Depth=1
	scratch_load_b64 v[6:7], off, s32 offset:192 th:TH_LOAD_LU ; 8-byte Folded Reload
	s_wait_loadcnt 0x0
	v_dual_lshrrev_b32 v5, 3, v2 :: v_dual_bitop2_b32 v6, 7, v3 bitop3:0x40
	v_cmp_gt_u32_e64 s4, 8, v2
	s_delay_alu instid0(VALU_DEP_2)
	v_mov_b64_e32 v[2:3], v[6:7]
	s_wait_xcnt 0x0
	s_and_saveexec_b32 s20, s4
; %bb.3509:                             ;   in Loop: Header=BB232_2089 Depth=1
	v_clz_i32_u32_e32 v2, v6
	s_delay_alu instid0(VALU_DEP_1) | instskip(NEXT) | instid1(VALU_DEP_1)
	v_min_u32_e32 v5, 32, v2
	v_subrev_nc_u32_e32 v2, 28, v5
	s_delay_alu instid0(VALU_DEP_1) | instskip(NEXT) | instid1(VALU_DEP_1)
	v_lshlrev_b64_e32 v[2:3], v2, v[6:7]
	v_dual_sub_nc_u32 v5, 29, v5 :: v_dual_bitop2_b32 v2, 7, v2 bitop3:0x40
; %bb.3510:                             ;   in Loop: Header=BB232_2089 Depth=1
	s_or_b32 exec_lo, exec_lo, s20
	s_delay_alu instid0(VALU_DEP_1) | instskip(NEXT) | instid1(VALU_DEP_2)
	v_dual_lshlrev_b32 v3, 16, v4 :: v_dual_lshlrev_b32 v2, 20, v2
	v_lshl_add_u32 v5, v5, 23, 0x3c000000
	v_mov_b32_e32 v8, v7
	s_delay_alu instid0(VALU_DEP_3) | instskip(NEXT) | instid1(VALU_DEP_1)
	v_and_b32_e32 v3, 0x80000000, v3
	v_or3_b32 v9, v2, v3, v5
	v_mov_b32_e32 v3, v7
	s_clause 0x1
	scratch_store_b64 off, v[8:9], s32 offset:1404
	scratch_store_b64 off, v[2:3], s32 offset:192
.LBB232_3511:                           ;   in Loop: Header=BB232_2089 Depth=1
	s_wait_xcnt 0x0
	s_or_b32 exec_lo, exec_lo, s19
.LBB232_3512:                           ;   in Loop: Header=BB232_2089 Depth=1
	s_delay_alu instid0(SALU_CYCLE_1)
	s_or_b32 exec_lo, exec_lo, s18
.LBB232_3513:                           ;   in Loop: Header=BB232_2089 Depth=1
	s_delay_alu instid0(SALU_CYCLE_1) | instskip(SKIP_3) | instid1(VALU_DEP_1)
	s_or_b32 exec_lo, exec_lo, s17
	v_mov_b64_e32 v[6:7], 0
	v_lshrrev_b32_e32 v5, 16, v4
	s_mov_b32 s17, exec_lo
	v_and_b32_e32 v2, 0xff, v5
	scratch_store_b64 off, v[6:7], s32 offset:1420 ; 8-byte Folded Spill
	s_wait_xcnt 0x0
	v_mov_b64_e32 v[6:7], 0
	scratch_store_b64 off, v[6:7], s32 offset:1428 ; 8-byte Folded Spill
	s_wait_xcnt 0x0
	v_cmpx_ne_u16_e32 0, v2
	s_cbranch_execz .LBB232_3521
; %bb.3514:                             ;   in Loop: Header=BB232_2089 Depth=1
	v_cmp_ne_u16_e64 s4, 0x80, v2
	v_mov_b64_e32 v[2:3], 0x80000000
	scratch_store_b64 off, v[2:3], s32 offset:1428 ; 8-byte Folded Spill
	s_wait_xcnt 0x0
	s_and_saveexec_b32 s18, s4
	s_cbranch_execz .LBB232_3520
; %bb.3515:                             ;   in Loop: Header=BB232_2089 Depth=1
	v_mov_b64_e32 v[6:7], 0x7f800001
	v_bfe_u32 v2, v4, 16, 7
	s_mov_b32 s19, exec_lo
	scratch_store_b64 off, v[6:7], s32 offset:1428 ; 8-byte Folded Spill
	s_wait_xcnt 0x0
	v_cmpx_ne_u32_e32 0x7f, v2
	s_cbranch_execz .LBB232_3519
; %bb.3516:                             ;   in Loop: Header=BB232_2089 Depth=1
	scratch_load_b64 v[8:9], off, s32 offset:192 th:TH_LOAD_LU ; 8-byte Folded Reload
	s_wait_loadcnt 0x0
	v_dual_lshrrev_b32 v6, 3, v2 :: v_dual_bitop2_b32 v8, 7, v5 bitop3:0x40
	v_cmp_gt_u32_e64 s4, 8, v2
	s_delay_alu instid0(VALU_DEP_2)
	v_mov_b64_e32 v[2:3], v[8:9]
	s_wait_xcnt 0x0
	s_and_saveexec_b32 s20, s4
; %bb.3517:                             ;   in Loop: Header=BB232_2089 Depth=1
	v_clz_i32_u32_e32 v2, v8
	s_delay_alu instid0(VALU_DEP_1) | instskip(NEXT) | instid1(VALU_DEP_1)
	v_min_u32_e32 v6, 32, v2
	v_subrev_nc_u32_e32 v2, 28, v6
	v_sub_nc_u32_e32 v6, 29, v6
	s_delay_alu instid0(VALU_DEP_2) | instskip(NEXT) | instid1(VALU_DEP_1)
	v_lshlrev_b64_e32 v[2:3], v2, v[8:9]
	v_and_b32_e32 v2, 7, v2
; %bb.3518:                             ;   in Loop: Header=BB232_2089 Depth=1
	s_or_b32 exec_lo, exec_lo, s20
	s_delay_alu instid0(VALU_DEP_1) | instskip(SKIP_1) | instid1(VALU_DEP_2)
	v_dual_lshlrev_b32 v3, 24, v5 :: v_dual_lshlrev_b32 v2, 20, v2
	v_lshl_add_u32 v5, v6, 23, 0x3c000000
	v_and_b32_e32 v3, 0x80000000, v3
	s_delay_alu instid0(VALU_DEP_1)
	v_or3_b32 v8, v2, v3, v5
	v_mov_b32_e32 v3, v9
	s_clause 0x1
	scratch_store_b64 off, v[2:3], s32 offset:192
	scratch_store_b64 off, v[8:9], s32 offset:1428
.LBB232_3519:                           ;   in Loop: Header=BB232_2089 Depth=1
	s_wait_xcnt 0x0
	s_or_b32 exec_lo, exec_lo, s19
.LBB232_3520:                           ;   in Loop: Header=BB232_2089 Depth=1
	s_delay_alu instid0(SALU_CYCLE_1)
	s_or_b32 exec_lo, exec_lo, s18
.LBB232_3521:                           ;   in Loop: Header=BB232_2089 Depth=1
	s_delay_alu instid0(SALU_CYCLE_1) | instskip(NEXT) | instid1(SALU_CYCLE_1)
	s_or_b32 exec_lo, exec_lo, s17
	s_mov_b32 s17, exec_lo
	v_cmpx_lt_u32_e32 0xffffff, v4
	s_cbranch_execz .LBB232_3529
; %bb.3522:                             ;   in Loop: Header=BB232_2089 Depth=1
	v_mov_b64_e32 v[2:3], 0x8000000000000000
	v_lshrrev_b32_e32 v5, 24, v4
	s_mov_b32 s18, exec_lo
	scratch_store_b64 off, v[2:3], s32 offset:1420 ; 8-byte Folded Spill
	s_wait_xcnt 0x0
	v_cmpx_ne_u32_e32 0x80, v5
	s_cbranch_execz .LBB232_3528
; %bb.3523:                             ;   in Loop: Header=BB232_2089 Depth=1
	v_mov_b64_e32 v[6:7], 0x7f80000100000000
	v_bfe_u32 v2, v4, 24, 7
	s_mov_b32 s19, exec_lo
	scratch_store_b64 off, v[6:7], s32 offset:1420 ; 8-byte Folded Spill
	s_wait_xcnt 0x0
	v_cmpx_ne_u32_e32 0x7f, v2
	s_cbranch_execz .LBB232_3527
; %bb.3524:                             ;   in Loop: Header=BB232_2089 Depth=1
	scratch_load_b64 v[6:7], off, s32 offset:192 th:TH_LOAD_LU ; 8-byte Folded Reload
	s_wait_loadcnt 0x0
	v_dual_lshrrev_b32 v4, 3, v2 :: v_dual_bitop2_b32 v6, 7, v5 bitop3:0x40
	v_cmp_gt_u32_e64 s4, 8, v2
	s_delay_alu instid0(VALU_DEP_2)
	v_mov_b64_e32 v[2:3], v[6:7]
	s_wait_xcnt 0x0
	s_and_saveexec_b32 s20, s4
; %bb.3525:                             ;   in Loop: Header=BB232_2089 Depth=1
	v_clz_i32_u32_e32 v2, v6
	s_delay_alu instid0(VALU_DEP_1) | instskip(NEXT) | instid1(VALU_DEP_1)
	v_min_u32_e32 v4, 32, v2
	v_subrev_nc_u32_e32 v2, 28, v4
	s_delay_alu instid0(VALU_DEP_1) | instskip(NEXT) | instid1(VALU_DEP_1)
	v_lshlrev_b64_e32 v[2:3], v2, v[6:7]
	v_dual_sub_nc_u32 v4, 29, v4 :: v_dual_bitop2_b32 v2, 7, v2 bitop3:0x40
; %bb.3526:                             ;   in Loop: Header=BB232_2089 Depth=1
	s_or_b32 exec_lo, exec_lo, s20
	s_delay_alu instid0(VALU_DEP_1) | instskip(NEXT) | instid1(VALU_DEP_2)
	v_dual_lshlrev_b32 v3, 24, v5 :: v_dual_lshlrev_b32 v2, 20, v2
	v_lshl_add_u32 v4, v4, 23, 0x3c000000
	s_delay_alu instid0(VALU_DEP_2) | instskip(NEXT) | instid1(VALU_DEP_1)
	v_and_b32_e32 v3, 0x80000000, v3
	v_or3_b32 v5, v2, v3, v4
	v_dual_mov_b32 v3, v7 :: v_dual_mov_b32 v4, v7
	s_clause 0x1
	scratch_store_b64 off, v[2:3], s32 offset:192
	scratch_store_b64 off, v[4:5], s32 offset:1420
.LBB232_3527:                           ;   in Loop: Header=BB232_2089 Depth=1
	s_wait_xcnt 0x0
	s_or_b32 exec_lo, exec_lo, s19
.LBB232_3528:                           ;   in Loop: Header=BB232_2089 Depth=1
	s_delay_alu instid0(SALU_CYCLE_1)
	s_or_b32 exec_lo, exec_lo, s18
.LBB232_3529:                           ;   in Loop: Header=BB232_2089 Depth=1
	s_delay_alu instid0(SALU_CYCLE_1)
	s_or_b32 exec_lo, exec_lo, s17
	flat_load_b32 v4, v[0:1] offset:5760
	v_mov_b64_e32 v[6:7], 0
	s_mov_b32 s17, exec_lo
	scratch_store_b64 off, v[6:7], s32 offset:1436 ; 8-byte Folded Spill
	s_wait_xcnt 0x0
	v_mov_b64_e32 v[6:7], 0
	scratch_store_b64 off, v[6:7], s32 offset:1444 ; 8-byte Folded Spill
	s_wait_loadcnt_dscnt 0x0
	v_and_b32_e32 v2, 0xff, v4
	s_wait_xcnt 0x0
	s_delay_alu instid0(VALU_DEP_1)
	v_cmpx_ne_u16_e32 0, v2
	s_cbranch_execz .LBB232_3537
; %bb.3530:                             ;   in Loop: Header=BB232_2089 Depth=1
	v_cmp_ne_u16_e64 s4, 0x80, v2
	v_mov_b64_e32 v[2:3], 0x80000000
	scratch_store_b64 off, v[2:3], s32 offset:1444 ; 8-byte Folded Spill
	s_wait_xcnt 0x0
	s_and_saveexec_b32 s18, s4
	s_cbranch_execz .LBB232_3536
; %bb.3531:                             ;   in Loop: Header=BB232_2089 Depth=1
	v_mov_b64_e32 v[6:7], 0x7f800001
	v_and_b32_e32 v2, 0x7f, v4
	s_mov_b32 s19, exec_lo
	scratch_store_b64 off, v[6:7], s32 offset:1444 ; 8-byte Folded Spill
	s_wait_xcnt 0x0
	v_cmpx_ne_u32_e32 0x7f, v2
	s_cbranch_execz .LBB232_3535
; %bb.3532:                             ;   in Loop: Header=BB232_2089 Depth=1
	scratch_load_b64 v[6:7], off, s32 offset:192 th:TH_LOAD_LU ; 8-byte Folded Reload
	s_wait_loadcnt 0x0
	v_dual_lshrrev_b32 v5, 3, v2 :: v_dual_bitop2_b32 v6, 7, v4 bitop3:0x40
	v_cmp_gt_u32_e64 s4, 8, v2
	s_delay_alu instid0(VALU_DEP_2)
	v_mov_b64_e32 v[2:3], v[6:7]
	s_wait_xcnt 0x0
	s_and_saveexec_b32 s20, s4
; %bb.3533:                             ;   in Loop: Header=BB232_2089 Depth=1
	v_clz_i32_u32_e32 v2, v6
	s_delay_alu instid0(VALU_DEP_1) | instskip(NEXT) | instid1(VALU_DEP_1)
	v_min_u32_e32 v5, 32, v2
	v_subrev_nc_u32_e32 v2, 28, v5
	s_delay_alu instid0(VALU_DEP_1) | instskip(NEXT) | instid1(VALU_DEP_1)
	v_lshlrev_b64_e32 v[2:3], v2, v[6:7]
	v_dual_sub_nc_u32 v5, 29, v5 :: v_dual_bitop2_b32 v2, 7, v2 bitop3:0x40
; %bb.3534:                             ;   in Loop: Header=BB232_2089 Depth=1
	s_or_b32 exec_lo, exec_lo, s20
	s_delay_alu instid0(VALU_DEP_1) | instskip(NEXT) | instid1(VALU_DEP_2)
	v_dual_lshlrev_b32 v3, 24, v4 :: v_dual_lshlrev_b32 v2, 20, v2
	v_lshl_add_u32 v5, v5, 23, 0x3c000000
	s_delay_alu instid0(VALU_DEP_2) | instskip(NEXT) | instid1(VALU_DEP_1)
	v_and_b32_e32 v3, 0x80000000, v3
	v_or3_b32 v6, v2, v3, v5
	v_mov_b32_e32 v3, v7
	s_clause 0x1
	scratch_store_b64 off, v[2:3], s32 offset:192
	scratch_store_b64 off, v[6:7], s32 offset:1444
.LBB232_3535:                           ;   in Loop: Header=BB232_2089 Depth=1
	s_wait_xcnt 0x0
	s_or_b32 exec_lo, exec_lo, s19
.LBB232_3536:                           ;   in Loop: Header=BB232_2089 Depth=1
	s_delay_alu instid0(SALU_CYCLE_1)
	s_or_b32 exec_lo, exec_lo, s18
.LBB232_3537:                           ;   in Loop: Header=BB232_2089 Depth=1
	s_delay_alu instid0(SALU_CYCLE_1) | instskip(SKIP_2) | instid1(VALU_DEP_1)
	s_or_b32 exec_lo, exec_lo, s17
	v_lshrrev_b16 v2, 8, v4
	s_mov_b32 s17, exec_lo
	v_cmpx_ne_u16_e32 0, v2
	s_cbranch_execz .LBB232_3545
; %bb.3538:                             ;   in Loop: Header=BB232_2089 Depth=1
	v_mov_b64_e32 v[6:7], 0x8000000000000000
	s_mov_b32 s18, exec_lo
	scratch_store_b64 off, v[6:7], s32 offset:1436 ; 8-byte Folded Spill
	s_wait_xcnt 0x0
	v_cmpx_ne_u16_e32 0x80, v2
	s_cbranch_execz .LBB232_3544
; %bb.3539:                             ;   in Loop: Header=BB232_2089 Depth=1
	v_and_b32_e32 v3, 0xffff, v2
	v_mov_b64_e32 v[6:7], 0x7f80000100000000
	s_mov_b32 s19, exec_lo
	s_delay_alu instid0(VALU_DEP_2)
	v_and_b32_e32 v2, 0x7f, v3
	scratch_store_b64 off, v[6:7], s32 offset:1436 ; 8-byte Folded Spill
	s_wait_xcnt 0x0
	v_cmpx_ne_u32_e32 0x7f, v2
	s_cbranch_execz .LBB232_3543
; %bb.3540:                             ;   in Loop: Header=BB232_2089 Depth=1
	scratch_load_b64 v[6:7], off, s32 offset:192 th:TH_LOAD_LU ; 8-byte Folded Reload
	s_wait_loadcnt 0x0
	v_dual_lshrrev_b32 v5, 3, v2 :: v_dual_bitop2_b32 v6, 7, v3 bitop3:0x40
	v_cmp_gt_u32_e64 s4, 8, v2
	s_delay_alu instid0(VALU_DEP_2)
	v_mov_b64_e32 v[2:3], v[6:7]
	s_wait_xcnt 0x0
	s_and_saveexec_b32 s20, s4
; %bb.3541:                             ;   in Loop: Header=BB232_2089 Depth=1
	v_clz_i32_u32_e32 v2, v6
	s_delay_alu instid0(VALU_DEP_1) | instskip(NEXT) | instid1(VALU_DEP_1)
	v_min_u32_e32 v5, 32, v2
	v_subrev_nc_u32_e32 v2, 28, v5
	s_delay_alu instid0(VALU_DEP_1) | instskip(NEXT) | instid1(VALU_DEP_1)
	v_lshlrev_b64_e32 v[2:3], v2, v[6:7]
	v_dual_sub_nc_u32 v5, 29, v5 :: v_dual_bitop2_b32 v2, 7, v2 bitop3:0x40
; %bb.3542:                             ;   in Loop: Header=BB232_2089 Depth=1
	s_or_b32 exec_lo, exec_lo, s20
	s_delay_alu instid0(VALU_DEP_1) | instskip(NEXT) | instid1(VALU_DEP_2)
	v_dual_lshlrev_b32 v3, 16, v4 :: v_dual_lshlrev_b32 v2, 20, v2
	v_lshl_add_u32 v5, v5, 23, 0x3c000000
	v_mov_b32_e32 v8, v7
	s_delay_alu instid0(VALU_DEP_3) | instskip(NEXT) | instid1(VALU_DEP_1)
	v_and_b32_e32 v3, 0x80000000, v3
	v_or3_b32 v9, v2, v3, v5
	v_mov_b32_e32 v3, v7
	s_clause 0x1
	scratch_store_b64 off, v[8:9], s32 offset:1436
	scratch_store_b64 off, v[2:3], s32 offset:192
.LBB232_3543:                           ;   in Loop: Header=BB232_2089 Depth=1
	s_wait_xcnt 0x0
	s_or_b32 exec_lo, exec_lo, s19
.LBB232_3544:                           ;   in Loop: Header=BB232_2089 Depth=1
	s_delay_alu instid0(SALU_CYCLE_1)
	s_or_b32 exec_lo, exec_lo, s18
.LBB232_3545:                           ;   in Loop: Header=BB232_2089 Depth=1
	s_delay_alu instid0(SALU_CYCLE_1) | instskip(SKIP_3) | instid1(VALU_DEP_1)
	s_or_b32 exec_lo, exec_lo, s17
	v_mov_b64_e32 v[6:7], 0
	v_lshrrev_b32_e32 v5, 16, v4
	s_mov_b32 s17, exec_lo
	v_and_b32_e32 v2, 0xff, v5
	scratch_store_b64 off, v[6:7], s32 offset:1452 ; 8-byte Folded Spill
	s_wait_xcnt 0x0
	v_mov_b64_e32 v[6:7], 0
	scratch_store_b64 off, v[6:7], s32 offset:1460 ; 8-byte Folded Spill
	s_wait_xcnt 0x0
	v_cmpx_ne_u16_e32 0, v2
	s_cbranch_execz .LBB232_3553
; %bb.3546:                             ;   in Loop: Header=BB232_2089 Depth=1
	v_cmp_ne_u16_e64 s4, 0x80, v2
	v_mov_b64_e32 v[2:3], 0x80000000
	scratch_store_b64 off, v[2:3], s32 offset:1460 ; 8-byte Folded Spill
	s_wait_xcnt 0x0
	s_and_saveexec_b32 s18, s4
	s_cbranch_execz .LBB232_3552
; %bb.3547:                             ;   in Loop: Header=BB232_2089 Depth=1
	v_mov_b64_e32 v[6:7], 0x7f800001
	v_bfe_u32 v2, v4, 16, 7
	s_mov_b32 s19, exec_lo
	scratch_store_b64 off, v[6:7], s32 offset:1460 ; 8-byte Folded Spill
	s_wait_xcnt 0x0
	v_cmpx_ne_u32_e32 0x7f, v2
	s_cbranch_execz .LBB232_3551
; %bb.3548:                             ;   in Loop: Header=BB232_2089 Depth=1
	scratch_load_b64 v[8:9], off, s32 offset:192 th:TH_LOAD_LU ; 8-byte Folded Reload
	s_wait_loadcnt 0x0
	v_dual_lshrrev_b32 v6, 3, v2 :: v_dual_bitop2_b32 v8, 7, v5 bitop3:0x40
	v_cmp_gt_u32_e64 s4, 8, v2
	s_delay_alu instid0(VALU_DEP_2)
	v_mov_b64_e32 v[2:3], v[8:9]
	s_wait_xcnt 0x0
	s_and_saveexec_b32 s20, s4
; %bb.3549:                             ;   in Loop: Header=BB232_2089 Depth=1
	v_clz_i32_u32_e32 v2, v8
	s_delay_alu instid0(VALU_DEP_1) | instskip(NEXT) | instid1(VALU_DEP_1)
	v_min_u32_e32 v6, 32, v2
	v_subrev_nc_u32_e32 v2, 28, v6
	v_sub_nc_u32_e32 v6, 29, v6
	s_delay_alu instid0(VALU_DEP_2) | instskip(NEXT) | instid1(VALU_DEP_1)
	v_lshlrev_b64_e32 v[2:3], v2, v[8:9]
	v_and_b32_e32 v2, 7, v2
; %bb.3550:                             ;   in Loop: Header=BB232_2089 Depth=1
	s_or_b32 exec_lo, exec_lo, s20
	s_delay_alu instid0(VALU_DEP_1) | instskip(SKIP_1) | instid1(VALU_DEP_2)
	v_dual_lshlrev_b32 v3, 24, v5 :: v_dual_lshlrev_b32 v2, 20, v2
	v_lshl_add_u32 v5, v6, 23, 0x3c000000
	v_and_b32_e32 v3, 0x80000000, v3
	s_delay_alu instid0(VALU_DEP_1)
	v_or3_b32 v8, v2, v3, v5
	v_mov_b32_e32 v3, v9
	s_clause 0x1
	scratch_store_b64 off, v[2:3], s32 offset:192
	scratch_store_b64 off, v[8:9], s32 offset:1460
.LBB232_3551:                           ;   in Loop: Header=BB232_2089 Depth=1
	s_wait_xcnt 0x0
	s_or_b32 exec_lo, exec_lo, s19
.LBB232_3552:                           ;   in Loop: Header=BB232_2089 Depth=1
	s_delay_alu instid0(SALU_CYCLE_1)
	s_or_b32 exec_lo, exec_lo, s18
.LBB232_3553:                           ;   in Loop: Header=BB232_2089 Depth=1
	s_delay_alu instid0(SALU_CYCLE_1) | instskip(NEXT) | instid1(SALU_CYCLE_1)
	s_or_b32 exec_lo, exec_lo, s17
	s_mov_b32 s17, exec_lo
	v_cmpx_lt_u32_e32 0xffffff, v4
	s_cbranch_execz .LBB232_3561
; %bb.3554:                             ;   in Loop: Header=BB232_2089 Depth=1
	v_mov_b64_e32 v[2:3], 0x8000000000000000
	v_lshrrev_b32_e32 v5, 24, v4
	s_mov_b32 s18, exec_lo
	scratch_store_b64 off, v[2:3], s32 offset:1452 ; 8-byte Folded Spill
	s_wait_xcnt 0x0
	v_cmpx_ne_u32_e32 0x80, v5
	s_cbranch_execz .LBB232_3560
; %bb.3555:                             ;   in Loop: Header=BB232_2089 Depth=1
	v_mov_b64_e32 v[6:7], 0x7f80000100000000
	v_bfe_u32 v2, v4, 24, 7
	s_mov_b32 s19, exec_lo
	scratch_store_b64 off, v[6:7], s32 offset:1452 ; 8-byte Folded Spill
	s_wait_xcnt 0x0
	v_cmpx_ne_u32_e32 0x7f, v2
	s_cbranch_execz .LBB232_3559
; %bb.3556:                             ;   in Loop: Header=BB232_2089 Depth=1
	scratch_load_b64 v[6:7], off, s32 offset:192 th:TH_LOAD_LU ; 8-byte Folded Reload
	s_wait_loadcnt 0x0
	v_dual_lshrrev_b32 v4, 3, v2 :: v_dual_bitop2_b32 v6, 7, v5 bitop3:0x40
	v_cmp_gt_u32_e64 s4, 8, v2
	s_delay_alu instid0(VALU_DEP_2)
	v_mov_b64_e32 v[2:3], v[6:7]
	s_wait_xcnt 0x0
	s_and_saveexec_b32 s20, s4
; %bb.3557:                             ;   in Loop: Header=BB232_2089 Depth=1
	v_clz_i32_u32_e32 v2, v6
	s_delay_alu instid0(VALU_DEP_1) | instskip(NEXT) | instid1(VALU_DEP_1)
	v_min_u32_e32 v4, 32, v2
	v_subrev_nc_u32_e32 v2, 28, v4
	s_delay_alu instid0(VALU_DEP_1) | instskip(NEXT) | instid1(VALU_DEP_1)
	v_lshlrev_b64_e32 v[2:3], v2, v[6:7]
	v_dual_sub_nc_u32 v4, 29, v4 :: v_dual_bitop2_b32 v2, 7, v2 bitop3:0x40
; %bb.3558:                             ;   in Loop: Header=BB232_2089 Depth=1
	s_or_b32 exec_lo, exec_lo, s20
	s_delay_alu instid0(VALU_DEP_1) | instskip(NEXT) | instid1(VALU_DEP_2)
	v_dual_lshlrev_b32 v3, 24, v5 :: v_dual_lshlrev_b32 v2, 20, v2
	v_lshl_add_u32 v4, v4, 23, 0x3c000000
	s_delay_alu instid0(VALU_DEP_2) | instskip(NEXT) | instid1(VALU_DEP_1)
	v_and_b32_e32 v3, 0x80000000, v3
	v_or3_b32 v5, v2, v3, v4
	v_dual_mov_b32 v3, v7 :: v_dual_mov_b32 v4, v7
	s_clause 0x1
	scratch_store_b64 off, v[2:3], s32 offset:192
	scratch_store_b64 off, v[4:5], s32 offset:1452
.LBB232_3559:                           ;   in Loop: Header=BB232_2089 Depth=1
	s_wait_xcnt 0x0
	s_or_b32 exec_lo, exec_lo, s19
.LBB232_3560:                           ;   in Loop: Header=BB232_2089 Depth=1
	s_delay_alu instid0(SALU_CYCLE_1)
	s_or_b32 exec_lo, exec_lo, s18
.LBB232_3561:                           ;   in Loop: Header=BB232_2089 Depth=1
	s_delay_alu instid0(SALU_CYCLE_1)
	s_or_b32 exec_lo, exec_lo, s17
	flat_load_b32 v4, v[0:1] offset:5888
	v_mov_b64_e32 v[6:7], 0
	s_mov_b32 s17, exec_lo
	scratch_store_b64 off, v[6:7], s32 offset:1468 ; 8-byte Folded Spill
	s_wait_xcnt 0x0
	v_mov_b64_e32 v[6:7], 0
	scratch_store_b64 off, v[6:7], s32 offset:1476 ; 8-byte Folded Spill
	s_wait_loadcnt_dscnt 0x0
	v_and_b32_e32 v2, 0xff, v4
	s_wait_xcnt 0x0
	s_delay_alu instid0(VALU_DEP_1)
	v_cmpx_ne_u16_e32 0, v2
	s_cbranch_execz .LBB232_3569
; %bb.3562:                             ;   in Loop: Header=BB232_2089 Depth=1
	v_cmp_ne_u16_e64 s4, 0x80, v2
	v_mov_b64_e32 v[2:3], 0x80000000
	scratch_store_b64 off, v[2:3], s32 offset:1476 ; 8-byte Folded Spill
	s_wait_xcnt 0x0
	s_and_saveexec_b32 s18, s4
	s_cbranch_execz .LBB232_3568
; %bb.3563:                             ;   in Loop: Header=BB232_2089 Depth=1
	v_mov_b64_e32 v[6:7], 0x7f800001
	v_and_b32_e32 v2, 0x7f, v4
	s_mov_b32 s19, exec_lo
	scratch_store_b64 off, v[6:7], s32 offset:1476 ; 8-byte Folded Spill
	s_wait_xcnt 0x0
	v_cmpx_ne_u32_e32 0x7f, v2
	s_cbranch_execz .LBB232_3567
; %bb.3564:                             ;   in Loop: Header=BB232_2089 Depth=1
	scratch_load_b64 v[6:7], off, s32 offset:192 th:TH_LOAD_LU ; 8-byte Folded Reload
	s_wait_loadcnt 0x0
	v_dual_lshrrev_b32 v5, 3, v2 :: v_dual_bitop2_b32 v6, 7, v4 bitop3:0x40
	v_cmp_gt_u32_e64 s4, 8, v2
	s_delay_alu instid0(VALU_DEP_2)
	v_mov_b64_e32 v[2:3], v[6:7]
	s_wait_xcnt 0x0
	s_and_saveexec_b32 s20, s4
; %bb.3565:                             ;   in Loop: Header=BB232_2089 Depth=1
	v_clz_i32_u32_e32 v2, v6
	s_delay_alu instid0(VALU_DEP_1) | instskip(NEXT) | instid1(VALU_DEP_1)
	v_min_u32_e32 v5, 32, v2
	v_subrev_nc_u32_e32 v2, 28, v5
	s_delay_alu instid0(VALU_DEP_1) | instskip(NEXT) | instid1(VALU_DEP_1)
	v_lshlrev_b64_e32 v[2:3], v2, v[6:7]
	v_dual_sub_nc_u32 v5, 29, v5 :: v_dual_bitop2_b32 v2, 7, v2 bitop3:0x40
; %bb.3566:                             ;   in Loop: Header=BB232_2089 Depth=1
	s_or_b32 exec_lo, exec_lo, s20
	s_delay_alu instid0(VALU_DEP_1) | instskip(NEXT) | instid1(VALU_DEP_2)
	v_dual_lshlrev_b32 v3, 24, v4 :: v_dual_lshlrev_b32 v2, 20, v2
	v_lshl_add_u32 v5, v5, 23, 0x3c000000
	s_delay_alu instid0(VALU_DEP_2) | instskip(NEXT) | instid1(VALU_DEP_1)
	v_and_b32_e32 v3, 0x80000000, v3
	v_or3_b32 v6, v2, v3, v5
	v_mov_b32_e32 v3, v7
	s_clause 0x1
	scratch_store_b64 off, v[2:3], s32 offset:192
	scratch_store_b64 off, v[6:7], s32 offset:1476
.LBB232_3567:                           ;   in Loop: Header=BB232_2089 Depth=1
	s_wait_xcnt 0x0
	s_or_b32 exec_lo, exec_lo, s19
.LBB232_3568:                           ;   in Loop: Header=BB232_2089 Depth=1
	s_delay_alu instid0(SALU_CYCLE_1)
	s_or_b32 exec_lo, exec_lo, s18
.LBB232_3569:                           ;   in Loop: Header=BB232_2089 Depth=1
	s_delay_alu instid0(SALU_CYCLE_1) | instskip(SKIP_2) | instid1(VALU_DEP_1)
	s_or_b32 exec_lo, exec_lo, s17
	v_lshrrev_b16 v2, 8, v4
	s_mov_b32 s17, exec_lo
	v_cmpx_ne_u16_e32 0, v2
	s_cbranch_execz .LBB232_3577
; %bb.3570:                             ;   in Loop: Header=BB232_2089 Depth=1
	v_mov_b64_e32 v[6:7], 0x8000000000000000
	s_mov_b32 s18, exec_lo
	scratch_store_b64 off, v[6:7], s32 offset:1468 ; 8-byte Folded Spill
	s_wait_xcnt 0x0
	v_cmpx_ne_u16_e32 0x80, v2
	s_cbranch_execz .LBB232_3576
; %bb.3571:                             ;   in Loop: Header=BB232_2089 Depth=1
	v_and_b32_e32 v3, 0xffff, v2
	v_mov_b64_e32 v[6:7], 0x7f80000100000000
	s_mov_b32 s19, exec_lo
	s_delay_alu instid0(VALU_DEP_2)
	v_and_b32_e32 v2, 0x7f, v3
	scratch_store_b64 off, v[6:7], s32 offset:1468 ; 8-byte Folded Spill
	s_wait_xcnt 0x0
	v_cmpx_ne_u32_e32 0x7f, v2
	s_cbranch_execz .LBB232_3575
; %bb.3572:                             ;   in Loop: Header=BB232_2089 Depth=1
	scratch_load_b64 v[6:7], off, s32 offset:192 th:TH_LOAD_LU ; 8-byte Folded Reload
	s_wait_loadcnt 0x0
	v_dual_lshrrev_b32 v5, 3, v2 :: v_dual_bitop2_b32 v6, 7, v3 bitop3:0x40
	v_cmp_gt_u32_e64 s4, 8, v2
	s_delay_alu instid0(VALU_DEP_2)
	v_mov_b64_e32 v[2:3], v[6:7]
	s_wait_xcnt 0x0
	s_and_saveexec_b32 s20, s4
; %bb.3573:                             ;   in Loop: Header=BB232_2089 Depth=1
	v_clz_i32_u32_e32 v2, v6
	s_delay_alu instid0(VALU_DEP_1) | instskip(NEXT) | instid1(VALU_DEP_1)
	v_min_u32_e32 v5, 32, v2
	v_subrev_nc_u32_e32 v2, 28, v5
	s_delay_alu instid0(VALU_DEP_1) | instskip(NEXT) | instid1(VALU_DEP_1)
	v_lshlrev_b64_e32 v[2:3], v2, v[6:7]
	v_dual_sub_nc_u32 v5, 29, v5 :: v_dual_bitop2_b32 v2, 7, v2 bitop3:0x40
; %bb.3574:                             ;   in Loop: Header=BB232_2089 Depth=1
	s_or_b32 exec_lo, exec_lo, s20
	s_delay_alu instid0(VALU_DEP_1) | instskip(NEXT) | instid1(VALU_DEP_2)
	v_dual_lshlrev_b32 v3, 16, v4 :: v_dual_lshlrev_b32 v2, 20, v2
	v_lshl_add_u32 v5, v5, 23, 0x3c000000
	v_mov_b32_e32 v8, v7
	s_delay_alu instid0(VALU_DEP_3) | instskip(NEXT) | instid1(VALU_DEP_1)
	v_and_b32_e32 v3, 0x80000000, v3
	v_or3_b32 v9, v2, v3, v5
	v_mov_b32_e32 v3, v7
	s_clause 0x1
	scratch_store_b64 off, v[8:9], s32 offset:1468
	scratch_store_b64 off, v[2:3], s32 offset:192
.LBB232_3575:                           ;   in Loop: Header=BB232_2089 Depth=1
	s_wait_xcnt 0x0
	s_or_b32 exec_lo, exec_lo, s19
.LBB232_3576:                           ;   in Loop: Header=BB232_2089 Depth=1
	s_delay_alu instid0(SALU_CYCLE_1)
	s_or_b32 exec_lo, exec_lo, s18
.LBB232_3577:                           ;   in Loop: Header=BB232_2089 Depth=1
	s_delay_alu instid0(SALU_CYCLE_1) | instskip(SKIP_3) | instid1(VALU_DEP_1)
	s_or_b32 exec_lo, exec_lo, s17
	v_mov_b64_e32 v[6:7], 0
	v_lshrrev_b32_e32 v5, 16, v4
	s_mov_b32 s17, exec_lo
	v_and_b32_e32 v2, 0xff, v5
	scratch_store_b64 off, v[6:7], s32 offset:1484 ; 8-byte Folded Spill
	s_wait_xcnt 0x0
	v_mov_b64_e32 v[6:7], 0
	scratch_store_b64 off, v[6:7], s32 offset:1492 ; 8-byte Folded Spill
	s_wait_xcnt 0x0
	v_cmpx_ne_u16_e32 0, v2
	s_cbranch_execz .LBB232_3585
; %bb.3578:                             ;   in Loop: Header=BB232_2089 Depth=1
	v_cmp_ne_u16_e64 s4, 0x80, v2
	v_mov_b64_e32 v[2:3], 0x80000000
	scratch_store_b64 off, v[2:3], s32 offset:1492 ; 8-byte Folded Spill
	s_wait_xcnt 0x0
	s_and_saveexec_b32 s18, s4
	s_cbranch_execz .LBB232_3584
; %bb.3579:                             ;   in Loop: Header=BB232_2089 Depth=1
	v_mov_b64_e32 v[6:7], 0x7f800001
	v_bfe_u32 v2, v4, 16, 7
	s_mov_b32 s19, exec_lo
	scratch_store_b64 off, v[6:7], s32 offset:1492 ; 8-byte Folded Spill
	s_wait_xcnt 0x0
	v_cmpx_ne_u32_e32 0x7f, v2
	s_cbranch_execz .LBB232_3583
; %bb.3580:                             ;   in Loop: Header=BB232_2089 Depth=1
	scratch_load_b64 v[8:9], off, s32 offset:192 th:TH_LOAD_LU ; 8-byte Folded Reload
	s_wait_loadcnt 0x0
	v_dual_lshrrev_b32 v6, 3, v2 :: v_dual_bitop2_b32 v8, 7, v5 bitop3:0x40
	v_cmp_gt_u32_e64 s4, 8, v2
	s_delay_alu instid0(VALU_DEP_2)
	v_mov_b64_e32 v[2:3], v[8:9]
	s_wait_xcnt 0x0
	s_and_saveexec_b32 s20, s4
; %bb.3581:                             ;   in Loop: Header=BB232_2089 Depth=1
	v_clz_i32_u32_e32 v2, v8
	s_delay_alu instid0(VALU_DEP_1) | instskip(NEXT) | instid1(VALU_DEP_1)
	v_min_u32_e32 v6, 32, v2
	v_subrev_nc_u32_e32 v2, 28, v6
	v_sub_nc_u32_e32 v6, 29, v6
	s_delay_alu instid0(VALU_DEP_2) | instskip(NEXT) | instid1(VALU_DEP_1)
	v_lshlrev_b64_e32 v[2:3], v2, v[8:9]
	v_and_b32_e32 v2, 7, v2
; %bb.3582:                             ;   in Loop: Header=BB232_2089 Depth=1
	s_or_b32 exec_lo, exec_lo, s20
	s_delay_alu instid0(VALU_DEP_1) | instskip(SKIP_1) | instid1(VALU_DEP_2)
	v_dual_lshlrev_b32 v3, 24, v5 :: v_dual_lshlrev_b32 v2, 20, v2
	v_lshl_add_u32 v5, v6, 23, 0x3c000000
	v_and_b32_e32 v3, 0x80000000, v3
	s_delay_alu instid0(VALU_DEP_1)
	v_or3_b32 v8, v2, v3, v5
	v_mov_b32_e32 v3, v9
	s_clause 0x1
	scratch_store_b64 off, v[2:3], s32 offset:192
	scratch_store_b64 off, v[8:9], s32 offset:1492
.LBB232_3583:                           ;   in Loop: Header=BB232_2089 Depth=1
	s_wait_xcnt 0x0
	s_or_b32 exec_lo, exec_lo, s19
.LBB232_3584:                           ;   in Loop: Header=BB232_2089 Depth=1
	s_delay_alu instid0(SALU_CYCLE_1)
	s_or_b32 exec_lo, exec_lo, s18
.LBB232_3585:                           ;   in Loop: Header=BB232_2089 Depth=1
	s_delay_alu instid0(SALU_CYCLE_1) | instskip(NEXT) | instid1(SALU_CYCLE_1)
	s_or_b32 exec_lo, exec_lo, s17
	s_mov_b32 s17, exec_lo
	v_cmpx_lt_u32_e32 0xffffff, v4
	s_cbranch_execz .LBB232_3593
; %bb.3586:                             ;   in Loop: Header=BB232_2089 Depth=1
	v_mov_b64_e32 v[2:3], 0x8000000000000000
	v_lshrrev_b32_e32 v5, 24, v4
	s_mov_b32 s18, exec_lo
	scratch_store_b64 off, v[2:3], s32 offset:1484 ; 8-byte Folded Spill
	s_wait_xcnt 0x0
	v_cmpx_ne_u32_e32 0x80, v5
	s_cbranch_execz .LBB232_3592
; %bb.3587:                             ;   in Loop: Header=BB232_2089 Depth=1
	v_mov_b64_e32 v[6:7], 0x7f80000100000000
	v_bfe_u32 v2, v4, 24, 7
	s_mov_b32 s19, exec_lo
	scratch_store_b64 off, v[6:7], s32 offset:1484 ; 8-byte Folded Spill
	s_wait_xcnt 0x0
	v_cmpx_ne_u32_e32 0x7f, v2
	s_cbranch_execz .LBB232_3591
; %bb.3588:                             ;   in Loop: Header=BB232_2089 Depth=1
	scratch_load_b64 v[6:7], off, s32 offset:192 th:TH_LOAD_LU ; 8-byte Folded Reload
	s_wait_loadcnt 0x0
	v_dual_lshrrev_b32 v4, 3, v2 :: v_dual_bitop2_b32 v6, 7, v5 bitop3:0x40
	v_cmp_gt_u32_e64 s4, 8, v2
	s_delay_alu instid0(VALU_DEP_2)
	v_mov_b64_e32 v[2:3], v[6:7]
	s_wait_xcnt 0x0
	s_and_saveexec_b32 s20, s4
; %bb.3589:                             ;   in Loop: Header=BB232_2089 Depth=1
	v_clz_i32_u32_e32 v2, v6
	s_delay_alu instid0(VALU_DEP_1) | instskip(NEXT) | instid1(VALU_DEP_1)
	v_min_u32_e32 v4, 32, v2
	v_subrev_nc_u32_e32 v2, 28, v4
	s_delay_alu instid0(VALU_DEP_1) | instskip(NEXT) | instid1(VALU_DEP_1)
	v_lshlrev_b64_e32 v[2:3], v2, v[6:7]
	v_dual_sub_nc_u32 v4, 29, v4 :: v_dual_bitop2_b32 v2, 7, v2 bitop3:0x40
; %bb.3590:                             ;   in Loop: Header=BB232_2089 Depth=1
	s_or_b32 exec_lo, exec_lo, s20
	s_delay_alu instid0(VALU_DEP_1) | instskip(NEXT) | instid1(VALU_DEP_2)
	v_dual_lshlrev_b32 v3, 24, v5 :: v_dual_lshlrev_b32 v2, 20, v2
	v_lshl_add_u32 v4, v4, 23, 0x3c000000
	s_delay_alu instid0(VALU_DEP_2) | instskip(NEXT) | instid1(VALU_DEP_1)
	v_and_b32_e32 v3, 0x80000000, v3
	v_or3_b32 v5, v2, v3, v4
	v_dual_mov_b32 v3, v7 :: v_dual_mov_b32 v4, v7
	s_clause 0x1
	scratch_store_b64 off, v[2:3], s32 offset:192
	scratch_store_b64 off, v[4:5], s32 offset:1484
.LBB232_3591:                           ;   in Loop: Header=BB232_2089 Depth=1
	s_wait_xcnt 0x0
	s_or_b32 exec_lo, exec_lo, s19
.LBB232_3592:                           ;   in Loop: Header=BB232_2089 Depth=1
	s_delay_alu instid0(SALU_CYCLE_1)
	s_or_b32 exec_lo, exec_lo, s18
.LBB232_3593:                           ;   in Loop: Header=BB232_2089 Depth=1
	s_delay_alu instid0(SALU_CYCLE_1)
	s_or_b32 exec_lo, exec_lo, s17
	flat_load_b32 v4, v[0:1] offset:6016
	v_mov_b64_e32 v[6:7], 0
	s_mov_b32 s17, exec_lo
	scratch_store_b64 off, v[6:7], s32 offset:1500 ; 8-byte Folded Spill
	s_wait_xcnt 0x0
	v_mov_b64_e32 v[6:7], 0
	scratch_store_b64 off, v[6:7], s32 offset:1508 ; 8-byte Folded Spill
	s_wait_loadcnt_dscnt 0x0
	v_and_b32_e32 v2, 0xff, v4
	s_wait_xcnt 0x0
	s_delay_alu instid0(VALU_DEP_1)
	v_cmpx_ne_u16_e32 0, v2
	s_cbranch_execz .LBB232_3601
; %bb.3594:                             ;   in Loop: Header=BB232_2089 Depth=1
	v_cmp_ne_u16_e64 s4, 0x80, v2
	v_mov_b64_e32 v[2:3], 0x80000000
	scratch_store_b64 off, v[2:3], s32 offset:1508 ; 8-byte Folded Spill
	s_wait_xcnt 0x0
	s_and_saveexec_b32 s18, s4
	s_cbranch_execz .LBB232_3600
; %bb.3595:                             ;   in Loop: Header=BB232_2089 Depth=1
	v_mov_b64_e32 v[6:7], 0x7f800001
	v_and_b32_e32 v2, 0x7f, v4
	s_mov_b32 s19, exec_lo
	scratch_store_b64 off, v[6:7], s32 offset:1508 ; 8-byte Folded Spill
	s_wait_xcnt 0x0
	v_cmpx_ne_u32_e32 0x7f, v2
	s_cbranch_execz .LBB232_3599
; %bb.3596:                             ;   in Loop: Header=BB232_2089 Depth=1
	scratch_load_b64 v[6:7], off, s32 offset:192 th:TH_LOAD_LU ; 8-byte Folded Reload
	s_wait_loadcnt 0x0
	v_dual_lshrrev_b32 v5, 3, v2 :: v_dual_bitop2_b32 v6, 7, v4 bitop3:0x40
	v_cmp_gt_u32_e64 s4, 8, v2
	s_delay_alu instid0(VALU_DEP_2)
	v_mov_b64_e32 v[2:3], v[6:7]
	s_wait_xcnt 0x0
	s_and_saveexec_b32 s20, s4
; %bb.3597:                             ;   in Loop: Header=BB232_2089 Depth=1
	v_clz_i32_u32_e32 v2, v6
	s_delay_alu instid0(VALU_DEP_1) | instskip(NEXT) | instid1(VALU_DEP_1)
	v_min_u32_e32 v5, 32, v2
	v_subrev_nc_u32_e32 v2, 28, v5
	s_delay_alu instid0(VALU_DEP_1) | instskip(NEXT) | instid1(VALU_DEP_1)
	v_lshlrev_b64_e32 v[2:3], v2, v[6:7]
	v_dual_sub_nc_u32 v5, 29, v5 :: v_dual_bitop2_b32 v2, 7, v2 bitop3:0x40
; %bb.3598:                             ;   in Loop: Header=BB232_2089 Depth=1
	s_or_b32 exec_lo, exec_lo, s20
	s_delay_alu instid0(VALU_DEP_1) | instskip(NEXT) | instid1(VALU_DEP_2)
	v_dual_lshlrev_b32 v3, 24, v4 :: v_dual_lshlrev_b32 v2, 20, v2
	v_lshl_add_u32 v5, v5, 23, 0x3c000000
	s_delay_alu instid0(VALU_DEP_2) | instskip(NEXT) | instid1(VALU_DEP_1)
	v_and_b32_e32 v3, 0x80000000, v3
	v_or3_b32 v6, v2, v3, v5
	v_mov_b32_e32 v3, v7
	s_clause 0x1
	scratch_store_b64 off, v[2:3], s32 offset:192
	scratch_store_b64 off, v[6:7], s32 offset:1508
.LBB232_3599:                           ;   in Loop: Header=BB232_2089 Depth=1
	s_wait_xcnt 0x0
	s_or_b32 exec_lo, exec_lo, s19
.LBB232_3600:                           ;   in Loop: Header=BB232_2089 Depth=1
	s_delay_alu instid0(SALU_CYCLE_1)
	s_or_b32 exec_lo, exec_lo, s18
.LBB232_3601:                           ;   in Loop: Header=BB232_2089 Depth=1
	s_delay_alu instid0(SALU_CYCLE_1) | instskip(SKIP_2) | instid1(VALU_DEP_1)
	s_or_b32 exec_lo, exec_lo, s17
	v_lshrrev_b16 v2, 8, v4
	s_mov_b32 s17, exec_lo
	v_cmpx_ne_u16_e32 0, v2
	s_cbranch_execz .LBB232_3609
; %bb.3602:                             ;   in Loop: Header=BB232_2089 Depth=1
	v_mov_b64_e32 v[6:7], 0x8000000000000000
	s_mov_b32 s18, exec_lo
	scratch_store_b64 off, v[6:7], s32 offset:1500 ; 8-byte Folded Spill
	s_wait_xcnt 0x0
	v_cmpx_ne_u16_e32 0x80, v2
	s_cbranch_execz .LBB232_3608
; %bb.3603:                             ;   in Loop: Header=BB232_2089 Depth=1
	v_and_b32_e32 v3, 0xffff, v2
	v_mov_b64_e32 v[6:7], 0x7f80000100000000
	s_mov_b32 s19, exec_lo
	s_delay_alu instid0(VALU_DEP_2)
	v_and_b32_e32 v2, 0x7f, v3
	scratch_store_b64 off, v[6:7], s32 offset:1500 ; 8-byte Folded Spill
	s_wait_xcnt 0x0
	v_cmpx_ne_u32_e32 0x7f, v2
	s_cbranch_execz .LBB232_3607
; %bb.3604:                             ;   in Loop: Header=BB232_2089 Depth=1
	scratch_load_b64 v[6:7], off, s32 offset:192 th:TH_LOAD_LU ; 8-byte Folded Reload
	s_wait_loadcnt 0x0
	v_dual_lshrrev_b32 v5, 3, v2 :: v_dual_bitop2_b32 v6, 7, v3 bitop3:0x40
	v_cmp_gt_u32_e64 s4, 8, v2
	s_delay_alu instid0(VALU_DEP_2)
	v_mov_b64_e32 v[2:3], v[6:7]
	s_wait_xcnt 0x0
	s_and_saveexec_b32 s20, s4
; %bb.3605:                             ;   in Loop: Header=BB232_2089 Depth=1
	v_clz_i32_u32_e32 v2, v6
	s_delay_alu instid0(VALU_DEP_1) | instskip(NEXT) | instid1(VALU_DEP_1)
	v_min_u32_e32 v5, 32, v2
	v_subrev_nc_u32_e32 v2, 28, v5
	s_delay_alu instid0(VALU_DEP_1) | instskip(NEXT) | instid1(VALU_DEP_1)
	v_lshlrev_b64_e32 v[2:3], v2, v[6:7]
	v_dual_sub_nc_u32 v5, 29, v5 :: v_dual_bitop2_b32 v2, 7, v2 bitop3:0x40
; %bb.3606:                             ;   in Loop: Header=BB232_2089 Depth=1
	s_or_b32 exec_lo, exec_lo, s20
	s_delay_alu instid0(VALU_DEP_1) | instskip(NEXT) | instid1(VALU_DEP_2)
	v_dual_lshlrev_b32 v3, 16, v4 :: v_dual_lshlrev_b32 v2, 20, v2
	v_lshl_add_u32 v5, v5, 23, 0x3c000000
	v_mov_b32_e32 v8, v7
	s_delay_alu instid0(VALU_DEP_3) | instskip(NEXT) | instid1(VALU_DEP_1)
	v_and_b32_e32 v3, 0x80000000, v3
	v_or3_b32 v9, v2, v3, v5
	v_mov_b32_e32 v3, v7
	s_clause 0x1
	scratch_store_b64 off, v[8:9], s32 offset:1500
	scratch_store_b64 off, v[2:3], s32 offset:192
.LBB232_3607:                           ;   in Loop: Header=BB232_2089 Depth=1
	s_wait_xcnt 0x0
	s_or_b32 exec_lo, exec_lo, s19
.LBB232_3608:                           ;   in Loop: Header=BB232_2089 Depth=1
	s_delay_alu instid0(SALU_CYCLE_1)
	s_or_b32 exec_lo, exec_lo, s18
.LBB232_3609:                           ;   in Loop: Header=BB232_2089 Depth=1
	s_delay_alu instid0(SALU_CYCLE_1) | instskip(SKIP_3) | instid1(VALU_DEP_1)
	s_or_b32 exec_lo, exec_lo, s17
	v_mov_b64_e32 v[6:7], 0
	v_lshrrev_b32_e32 v5, 16, v4
	s_mov_b32 s17, exec_lo
	v_and_b32_e32 v2, 0xff, v5
	scratch_store_b64 off, v[6:7], s32 offset:1516 ; 8-byte Folded Spill
	s_wait_xcnt 0x0
	v_mov_b64_e32 v[6:7], 0
	scratch_store_b64 off, v[6:7], s32 offset:1524 ; 8-byte Folded Spill
	s_wait_xcnt 0x0
	v_cmpx_ne_u16_e32 0, v2
	s_cbranch_execz .LBB232_3617
; %bb.3610:                             ;   in Loop: Header=BB232_2089 Depth=1
	v_cmp_ne_u16_e64 s4, 0x80, v2
	v_mov_b64_e32 v[2:3], 0x80000000
	scratch_store_b64 off, v[2:3], s32 offset:1524 ; 8-byte Folded Spill
	s_wait_xcnt 0x0
	s_and_saveexec_b32 s18, s4
	s_cbranch_execz .LBB232_3616
; %bb.3611:                             ;   in Loop: Header=BB232_2089 Depth=1
	v_mov_b64_e32 v[6:7], 0x7f800001
	v_bfe_u32 v2, v4, 16, 7
	s_mov_b32 s19, exec_lo
	scratch_store_b64 off, v[6:7], s32 offset:1524 ; 8-byte Folded Spill
	s_wait_xcnt 0x0
	v_cmpx_ne_u32_e32 0x7f, v2
	s_cbranch_execz .LBB232_3615
; %bb.3612:                             ;   in Loop: Header=BB232_2089 Depth=1
	scratch_load_b64 v[8:9], off, s32 offset:192 th:TH_LOAD_LU ; 8-byte Folded Reload
	s_wait_loadcnt 0x0
	v_dual_lshrrev_b32 v6, 3, v2 :: v_dual_bitop2_b32 v8, 7, v5 bitop3:0x40
	v_cmp_gt_u32_e64 s4, 8, v2
	s_delay_alu instid0(VALU_DEP_2)
	v_mov_b64_e32 v[2:3], v[8:9]
	s_wait_xcnt 0x0
	s_and_saveexec_b32 s20, s4
; %bb.3613:                             ;   in Loop: Header=BB232_2089 Depth=1
	v_clz_i32_u32_e32 v2, v8
	s_delay_alu instid0(VALU_DEP_1) | instskip(NEXT) | instid1(VALU_DEP_1)
	v_min_u32_e32 v6, 32, v2
	v_subrev_nc_u32_e32 v2, 28, v6
	v_sub_nc_u32_e32 v6, 29, v6
	s_delay_alu instid0(VALU_DEP_2) | instskip(NEXT) | instid1(VALU_DEP_1)
	v_lshlrev_b64_e32 v[2:3], v2, v[8:9]
	v_and_b32_e32 v2, 7, v2
; %bb.3614:                             ;   in Loop: Header=BB232_2089 Depth=1
	s_or_b32 exec_lo, exec_lo, s20
	s_delay_alu instid0(VALU_DEP_1) | instskip(SKIP_1) | instid1(VALU_DEP_2)
	v_dual_lshlrev_b32 v3, 24, v5 :: v_dual_lshlrev_b32 v2, 20, v2
	v_lshl_add_u32 v5, v6, 23, 0x3c000000
	v_and_b32_e32 v3, 0x80000000, v3
	s_delay_alu instid0(VALU_DEP_1)
	v_or3_b32 v8, v2, v3, v5
	v_mov_b32_e32 v3, v9
	s_clause 0x1
	scratch_store_b64 off, v[2:3], s32 offset:192
	scratch_store_b64 off, v[8:9], s32 offset:1524
.LBB232_3615:                           ;   in Loop: Header=BB232_2089 Depth=1
	s_wait_xcnt 0x0
	s_or_b32 exec_lo, exec_lo, s19
.LBB232_3616:                           ;   in Loop: Header=BB232_2089 Depth=1
	s_delay_alu instid0(SALU_CYCLE_1)
	s_or_b32 exec_lo, exec_lo, s18
.LBB232_3617:                           ;   in Loop: Header=BB232_2089 Depth=1
	s_delay_alu instid0(SALU_CYCLE_1) | instskip(NEXT) | instid1(SALU_CYCLE_1)
	s_or_b32 exec_lo, exec_lo, s17
	s_mov_b32 s17, exec_lo
	v_cmpx_lt_u32_e32 0xffffff, v4
	s_cbranch_execz .LBB232_3625
; %bb.3618:                             ;   in Loop: Header=BB232_2089 Depth=1
	v_mov_b64_e32 v[2:3], 0x8000000000000000
	v_lshrrev_b32_e32 v5, 24, v4
	s_mov_b32 s18, exec_lo
	scratch_store_b64 off, v[2:3], s32 offset:1516 ; 8-byte Folded Spill
	s_wait_xcnt 0x0
	v_cmpx_ne_u32_e32 0x80, v5
	s_cbranch_execz .LBB232_3624
; %bb.3619:                             ;   in Loop: Header=BB232_2089 Depth=1
	v_mov_b64_e32 v[6:7], 0x7f80000100000000
	v_bfe_u32 v2, v4, 24, 7
	s_mov_b32 s19, exec_lo
	scratch_store_b64 off, v[6:7], s32 offset:1516 ; 8-byte Folded Spill
	s_wait_xcnt 0x0
	v_cmpx_ne_u32_e32 0x7f, v2
	s_cbranch_execz .LBB232_3623
; %bb.3620:                             ;   in Loop: Header=BB232_2089 Depth=1
	scratch_load_b64 v[6:7], off, s32 offset:192 th:TH_LOAD_LU ; 8-byte Folded Reload
	s_wait_loadcnt 0x0
	v_dual_lshrrev_b32 v4, 3, v2 :: v_dual_bitop2_b32 v6, 7, v5 bitop3:0x40
	v_cmp_gt_u32_e64 s4, 8, v2
	s_delay_alu instid0(VALU_DEP_2)
	v_mov_b64_e32 v[2:3], v[6:7]
	s_wait_xcnt 0x0
	s_and_saveexec_b32 s20, s4
; %bb.3621:                             ;   in Loop: Header=BB232_2089 Depth=1
	v_clz_i32_u32_e32 v2, v6
	s_delay_alu instid0(VALU_DEP_1) | instskip(NEXT) | instid1(VALU_DEP_1)
	v_min_u32_e32 v4, 32, v2
	v_subrev_nc_u32_e32 v2, 28, v4
	s_delay_alu instid0(VALU_DEP_1) | instskip(NEXT) | instid1(VALU_DEP_1)
	v_lshlrev_b64_e32 v[2:3], v2, v[6:7]
	v_dual_sub_nc_u32 v4, 29, v4 :: v_dual_bitop2_b32 v2, 7, v2 bitop3:0x40
; %bb.3622:                             ;   in Loop: Header=BB232_2089 Depth=1
	s_or_b32 exec_lo, exec_lo, s20
	s_delay_alu instid0(VALU_DEP_1) | instskip(NEXT) | instid1(VALU_DEP_2)
	v_dual_lshlrev_b32 v3, 24, v5 :: v_dual_lshlrev_b32 v2, 20, v2
	v_lshl_add_u32 v4, v4, 23, 0x3c000000
	s_delay_alu instid0(VALU_DEP_2) | instskip(NEXT) | instid1(VALU_DEP_1)
	v_and_b32_e32 v3, 0x80000000, v3
	v_or3_b32 v5, v2, v3, v4
	v_dual_mov_b32 v3, v7 :: v_dual_mov_b32 v4, v7
	s_clause 0x1
	scratch_store_b64 off, v[2:3], s32 offset:192
	scratch_store_b64 off, v[4:5], s32 offset:1516
.LBB232_3623:                           ;   in Loop: Header=BB232_2089 Depth=1
	s_wait_xcnt 0x0
	s_or_b32 exec_lo, exec_lo, s19
.LBB232_3624:                           ;   in Loop: Header=BB232_2089 Depth=1
	s_delay_alu instid0(SALU_CYCLE_1)
	s_or_b32 exec_lo, exec_lo, s18
.LBB232_3625:                           ;   in Loop: Header=BB232_2089 Depth=1
	s_delay_alu instid0(SALU_CYCLE_1)
	s_or_b32 exec_lo, exec_lo, s17
	flat_load_b32 v4, v[0:1] offset:6144
	v_mov_b64_e32 v[6:7], 0
	s_mov_b32 s17, exec_lo
	scratch_store_b64 off, v[6:7], s32 offset:1532 ; 8-byte Folded Spill
	s_wait_xcnt 0x0
	v_mov_b64_e32 v[6:7], 0
	scratch_store_b64 off, v[6:7], s32 offset:1540 ; 8-byte Folded Spill
	s_wait_loadcnt_dscnt 0x0
	v_and_b32_e32 v2, 0xff, v4
	s_wait_xcnt 0x0
	s_delay_alu instid0(VALU_DEP_1)
	v_cmpx_ne_u16_e32 0, v2
	s_cbranch_execz .LBB232_3633
; %bb.3626:                             ;   in Loop: Header=BB232_2089 Depth=1
	v_cmp_ne_u16_e64 s4, 0x80, v2
	v_mov_b64_e32 v[2:3], 0x80000000
	scratch_store_b64 off, v[2:3], s32 offset:1540 ; 8-byte Folded Spill
	s_wait_xcnt 0x0
	s_and_saveexec_b32 s18, s4
	s_cbranch_execz .LBB232_3632
; %bb.3627:                             ;   in Loop: Header=BB232_2089 Depth=1
	v_mov_b64_e32 v[6:7], 0x7f800001
	v_and_b32_e32 v2, 0x7f, v4
	s_mov_b32 s19, exec_lo
	scratch_store_b64 off, v[6:7], s32 offset:1540 ; 8-byte Folded Spill
	s_wait_xcnt 0x0
	v_cmpx_ne_u32_e32 0x7f, v2
	s_cbranch_execz .LBB232_3631
; %bb.3628:                             ;   in Loop: Header=BB232_2089 Depth=1
	scratch_load_b64 v[6:7], off, s32 offset:192 th:TH_LOAD_LU ; 8-byte Folded Reload
	s_wait_loadcnt 0x0
	v_dual_lshrrev_b32 v5, 3, v2 :: v_dual_bitop2_b32 v6, 7, v4 bitop3:0x40
	v_cmp_gt_u32_e64 s4, 8, v2
	s_delay_alu instid0(VALU_DEP_2)
	v_mov_b64_e32 v[2:3], v[6:7]
	s_wait_xcnt 0x0
	s_and_saveexec_b32 s20, s4
; %bb.3629:                             ;   in Loop: Header=BB232_2089 Depth=1
	v_clz_i32_u32_e32 v2, v6
	s_delay_alu instid0(VALU_DEP_1) | instskip(NEXT) | instid1(VALU_DEP_1)
	v_min_u32_e32 v5, 32, v2
	v_subrev_nc_u32_e32 v2, 28, v5
	s_delay_alu instid0(VALU_DEP_1) | instskip(NEXT) | instid1(VALU_DEP_1)
	v_lshlrev_b64_e32 v[2:3], v2, v[6:7]
	v_dual_sub_nc_u32 v5, 29, v5 :: v_dual_bitop2_b32 v2, 7, v2 bitop3:0x40
; %bb.3630:                             ;   in Loop: Header=BB232_2089 Depth=1
	s_or_b32 exec_lo, exec_lo, s20
	s_delay_alu instid0(VALU_DEP_1) | instskip(NEXT) | instid1(VALU_DEP_2)
	v_dual_lshlrev_b32 v3, 24, v4 :: v_dual_lshlrev_b32 v2, 20, v2
	v_lshl_add_u32 v5, v5, 23, 0x3c000000
	s_delay_alu instid0(VALU_DEP_2) | instskip(NEXT) | instid1(VALU_DEP_1)
	v_and_b32_e32 v3, 0x80000000, v3
	v_or3_b32 v6, v2, v3, v5
	v_mov_b32_e32 v3, v7
	s_clause 0x1
	scratch_store_b64 off, v[2:3], s32 offset:192
	scratch_store_b64 off, v[6:7], s32 offset:1540
.LBB232_3631:                           ;   in Loop: Header=BB232_2089 Depth=1
	s_wait_xcnt 0x0
	s_or_b32 exec_lo, exec_lo, s19
.LBB232_3632:                           ;   in Loop: Header=BB232_2089 Depth=1
	s_delay_alu instid0(SALU_CYCLE_1)
	s_or_b32 exec_lo, exec_lo, s18
.LBB232_3633:                           ;   in Loop: Header=BB232_2089 Depth=1
	s_delay_alu instid0(SALU_CYCLE_1) | instskip(SKIP_2) | instid1(VALU_DEP_1)
	s_or_b32 exec_lo, exec_lo, s17
	v_lshrrev_b16 v2, 8, v4
	s_mov_b32 s17, exec_lo
	v_cmpx_ne_u16_e32 0, v2
	s_cbranch_execz .LBB232_3641
; %bb.3634:                             ;   in Loop: Header=BB232_2089 Depth=1
	v_mov_b64_e32 v[6:7], 0x8000000000000000
	s_mov_b32 s18, exec_lo
	scratch_store_b64 off, v[6:7], s32 offset:1532 ; 8-byte Folded Spill
	s_wait_xcnt 0x0
	v_cmpx_ne_u16_e32 0x80, v2
	s_cbranch_execz .LBB232_3640
; %bb.3635:                             ;   in Loop: Header=BB232_2089 Depth=1
	v_and_b32_e32 v3, 0xffff, v2
	v_mov_b64_e32 v[6:7], 0x7f80000100000000
	s_mov_b32 s19, exec_lo
	s_delay_alu instid0(VALU_DEP_2)
	v_and_b32_e32 v2, 0x7f, v3
	scratch_store_b64 off, v[6:7], s32 offset:1532 ; 8-byte Folded Spill
	s_wait_xcnt 0x0
	v_cmpx_ne_u32_e32 0x7f, v2
	s_cbranch_execz .LBB232_3639
; %bb.3636:                             ;   in Loop: Header=BB232_2089 Depth=1
	scratch_load_b64 v[6:7], off, s32 offset:192 th:TH_LOAD_LU ; 8-byte Folded Reload
	s_wait_loadcnt 0x0
	v_dual_lshrrev_b32 v5, 3, v2 :: v_dual_bitop2_b32 v6, 7, v3 bitop3:0x40
	v_cmp_gt_u32_e64 s4, 8, v2
	s_delay_alu instid0(VALU_DEP_2)
	v_mov_b64_e32 v[2:3], v[6:7]
	s_wait_xcnt 0x0
	s_and_saveexec_b32 s20, s4
; %bb.3637:                             ;   in Loop: Header=BB232_2089 Depth=1
	v_clz_i32_u32_e32 v2, v6
	s_delay_alu instid0(VALU_DEP_1) | instskip(NEXT) | instid1(VALU_DEP_1)
	v_min_u32_e32 v5, 32, v2
	v_subrev_nc_u32_e32 v2, 28, v5
	s_delay_alu instid0(VALU_DEP_1) | instskip(NEXT) | instid1(VALU_DEP_1)
	v_lshlrev_b64_e32 v[2:3], v2, v[6:7]
	v_dual_sub_nc_u32 v5, 29, v5 :: v_dual_bitop2_b32 v2, 7, v2 bitop3:0x40
; %bb.3638:                             ;   in Loop: Header=BB232_2089 Depth=1
	s_or_b32 exec_lo, exec_lo, s20
	s_delay_alu instid0(VALU_DEP_1) | instskip(NEXT) | instid1(VALU_DEP_2)
	v_dual_lshlrev_b32 v3, 16, v4 :: v_dual_lshlrev_b32 v2, 20, v2
	v_lshl_add_u32 v5, v5, 23, 0x3c000000
	v_mov_b32_e32 v8, v7
	s_delay_alu instid0(VALU_DEP_3) | instskip(NEXT) | instid1(VALU_DEP_1)
	v_and_b32_e32 v3, 0x80000000, v3
	v_or3_b32 v9, v2, v3, v5
	v_mov_b32_e32 v3, v7
	s_clause 0x1
	scratch_store_b64 off, v[8:9], s32 offset:1532
	scratch_store_b64 off, v[2:3], s32 offset:192
.LBB232_3639:                           ;   in Loop: Header=BB232_2089 Depth=1
	s_wait_xcnt 0x0
	s_or_b32 exec_lo, exec_lo, s19
.LBB232_3640:                           ;   in Loop: Header=BB232_2089 Depth=1
	s_delay_alu instid0(SALU_CYCLE_1)
	s_or_b32 exec_lo, exec_lo, s18
.LBB232_3641:                           ;   in Loop: Header=BB232_2089 Depth=1
	s_delay_alu instid0(SALU_CYCLE_1) | instskip(SKIP_3) | instid1(VALU_DEP_1)
	s_or_b32 exec_lo, exec_lo, s17
	v_mov_b64_e32 v[6:7], 0
	v_lshrrev_b32_e32 v5, 16, v4
	s_mov_b32 s17, exec_lo
	v_and_b32_e32 v2, 0xff, v5
	scratch_store_b64 off, v[6:7], s32 offset:1548 ; 8-byte Folded Spill
	s_wait_xcnt 0x0
	v_mov_b64_e32 v[6:7], 0
	scratch_store_b64 off, v[6:7], s32 offset:1556 ; 8-byte Folded Spill
	s_wait_xcnt 0x0
	v_cmpx_ne_u16_e32 0, v2
	s_cbranch_execz .LBB232_3649
; %bb.3642:                             ;   in Loop: Header=BB232_2089 Depth=1
	v_cmp_ne_u16_e64 s4, 0x80, v2
	v_mov_b64_e32 v[2:3], 0x80000000
	scratch_store_b64 off, v[2:3], s32 offset:1556 ; 8-byte Folded Spill
	s_wait_xcnt 0x0
	s_and_saveexec_b32 s18, s4
	s_cbranch_execz .LBB232_3648
; %bb.3643:                             ;   in Loop: Header=BB232_2089 Depth=1
	v_mov_b64_e32 v[6:7], 0x7f800001
	v_bfe_u32 v2, v4, 16, 7
	s_mov_b32 s19, exec_lo
	scratch_store_b64 off, v[6:7], s32 offset:1556 ; 8-byte Folded Spill
	s_wait_xcnt 0x0
	v_cmpx_ne_u32_e32 0x7f, v2
	s_cbranch_execz .LBB232_3647
; %bb.3644:                             ;   in Loop: Header=BB232_2089 Depth=1
	scratch_load_b64 v[8:9], off, s32 offset:192 th:TH_LOAD_LU ; 8-byte Folded Reload
	s_wait_loadcnt 0x0
	v_dual_lshrrev_b32 v6, 3, v2 :: v_dual_bitop2_b32 v8, 7, v5 bitop3:0x40
	v_cmp_gt_u32_e64 s4, 8, v2
	s_delay_alu instid0(VALU_DEP_2)
	v_mov_b64_e32 v[2:3], v[8:9]
	s_wait_xcnt 0x0
	s_and_saveexec_b32 s20, s4
; %bb.3645:                             ;   in Loop: Header=BB232_2089 Depth=1
	v_clz_i32_u32_e32 v2, v8
	s_delay_alu instid0(VALU_DEP_1) | instskip(NEXT) | instid1(VALU_DEP_1)
	v_min_u32_e32 v6, 32, v2
	v_subrev_nc_u32_e32 v2, 28, v6
	v_sub_nc_u32_e32 v6, 29, v6
	s_delay_alu instid0(VALU_DEP_2) | instskip(NEXT) | instid1(VALU_DEP_1)
	v_lshlrev_b64_e32 v[2:3], v2, v[8:9]
	v_and_b32_e32 v2, 7, v2
; %bb.3646:                             ;   in Loop: Header=BB232_2089 Depth=1
	s_or_b32 exec_lo, exec_lo, s20
	s_delay_alu instid0(VALU_DEP_1) | instskip(SKIP_1) | instid1(VALU_DEP_2)
	v_dual_lshlrev_b32 v3, 24, v5 :: v_dual_lshlrev_b32 v2, 20, v2
	v_lshl_add_u32 v5, v6, 23, 0x3c000000
	v_and_b32_e32 v3, 0x80000000, v3
	s_delay_alu instid0(VALU_DEP_1)
	v_or3_b32 v8, v2, v3, v5
	v_mov_b32_e32 v3, v9
	s_clause 0x1
	scratch_store_b64 off, v[2:3], s32 offset:192
	scratch_store_b64 off, v[8:9], s32 offset:1556
.LBB232_3647:                           ;   in Loop: Header=BB232_2089 Depth=1
	s_wait_xcnt 0x0
	s_or_b32 exec_lo, exec_lo, s19
.LBB232_3648:                           ;   in Loop: Header=BB232_2089 Depth=1
	s_delay_alu instid0(SALU_CYCLE_1)
	s_or_b32 exec_lo, exec_lo, s18
.LBB232_3649:                           ;   in Loop: Header=BB232_2089 Depth=1
	s_delay_alu instid0(SALU_CYCLE_1) | instskip(NEXT) | instid1(SALU_CYCLE_1)
	s_or_b32 exec_lo, exec_lo, s17
	s_mov_b32 s17, exec_lo
	v_cmpx_lt_u32_e32 0xffffff, v4
	s_cbranch_execz .LBB232_3657
; %bb.3650:                             ;   in Loop: Header=BB232_2089 Depth=1
	v_mov_b64_e32 v[2:3], 0x8000000000000000
	v_lshrrev_b32_e32 v5, 24, v4
	s_mov_b32 s18, exec_lo
	scratch_store_b64 off, v[2:3], s32 offset:1548 ; 8-byte Folded Spill
	s_wait_xcnt 0x0
	v_cmpx_ne_u32_e32 0x80, v5
	s_cbranch_execz .LBB232_3656
; %bb.3651:                             ;   in Loop: Header=BB232_2089 Depth=1
	v_mov_b64_e32 v[6:7], 0x7f80000100000000
	v_bfe_u32 v2, v4, 24, 7
	s_mov_b32 s19, exec_lo
	scratch_store_b64 off, v[6:7], s32 offset:1548 ; 8-byte Folded Spill
	s_wait_xcnt 0x0
	v_cmpx_ne_u32_e32 0x7f, v2
	s_cbranch_execz .LBB232_3655
; %bb.3652:                             ;   in Loop: Header=BB232_2089 Depth=1
	scratch_load_b64 v[6:7], off, s32 offset:192 th:TH_LOAD_LU ; 8-byte Folded Reload
	s_wait_loadcnt 0x0
	v_dual_lshrrev_b32 v4, 3, v2 :: v_dual_bitop2_b32 v6, 7, v5 bitop3:0x40
	v_cmp_gt_u32_e64 s4, 8, v2
	s_delay_alu instid0(VALU_DEP_2)
	v_mov_b64_e32 v[2:3], v[6:7]
	s_wait_xcnt 0x0
	s_and_saveexec_b32 s20, s4
; %bb.3653:                             ;   in Loop: Header=BB232_2089 Depth=1
	v_clz_i32_u32_e32 v2, v6
	s_delay_alu instid0(VALU_DEP_1) | instskip(NEXT) | instid1(VALU_DEP_1)
	v_min_u32_e32 v4, 32, v2
	v_subrev_nc_u32_e32 v2, 28, v4
	s_delay_alu instid0(VALU_DEP_1) | instskip(NEXT) | instid1(VALU_DEP_1)
	v_lshlrev_b64_e32 v[2:3], v2, v[6:7]
	v_dual_sub_nc_u32 v4, 29, v4 :: v_dual_bitop2_b32 v2, 7, v2 bitop3:0x40
; %bb.3654:                             ;   in Loop: Header=BB232_2089 Depth=1
	s_or_b32 exec_lo, exec_lo, s20
	s_delay_alu instid0(VALU_DEP_1) | instskip(NEXT) | instid1(VALU_DEP_2)
	v_dual_lshlrev_b32 v3, 24, v5 :: v_dual_lshlrev_b32 v2, 20, v2
	v_lshl_add_u32 v4, v4, 23, 0x3c000000
	s_delay_alu instid0(VALU_DEP_2) | instskip(NEXT) | instid1(VALU_DEP_1)
	v_and_b32_e32 v3, 0x80000000, v3
	v_or3_b32 v5, v2, v3, v4
	v_dual_mov_b32 v3, v7 :: v_dual_mov_b32 v4, v7
	s_clause 0x1
	scratch_store_b64 off, v[2:3], s32 offset:192
	scratch_store_b64 off, v[4:5], s32 offset:1548
.LBB232_3655:                           ;   in Loop: Header=BB232_2089 Depth=1
	s_wait_xcnt 0x0
	s_or_b32 exec_lo, exec_lo, s19
.LBB232_3656:                           ;   in Loop: Header=BB232_2089 Depth=1
	s_delay_alu instid0(SALU_CYCLE_1)
	s_or_b32 exec_lo, exec_lo, s18
.LBB232_3657:                           ;   in Loop: Header=BB232_2089 Depth=1
	s_delay_alu instid0(SALU_CYCLE_1)
	s_or_b32 exec_lo, exec_lo, s17
	flat_load_b32 v4, v[0:1] offset:6272
	v_mov_b64_e32 v[6:7], 0
	s_mov_b32 s17, exec_lo
	scratch_store_b64 off, v[6:7], s32 offset:1564 ; 8-byte Folded Spill
	s_wait_xcnt 0x0
	v_mov_b64_e32 v[6:7], 0
	scratch_store_b64 off, v[6:7], s32 offset:1572 ; 8-byte Folded Spill
	s_wait_loadcnt_dscnt 0x0
	v_and_b32_e32 v2, 0xff, v4
	s_wait_xcnt 0x0
	s_delay_alu instid0(VALU_DEP_1)
	v_cmpx_ne_u16_e32 0, v2
	s_cbranch_execz .LBB232_3665
; %bb.3658:                             ;   in Loop: Header=BB232_2089 Depth=1
	v_cmp_ne_u16_e64 s4, 0x80, v2
	v_mov_b64_e32 v[2:3], 0x80000000
	scratch_store_b64 off, v[2:3], s32 offset:1572 ; 8-byte Folded Spill
	s_wait_xcnt 0x0
	s_and_saveexec_b32 s18, s4
	s_cbranch_execz .LBB232_3664
; %bb.3659:                             ;   in Loop: Header=BB232_2089 Depth=1
	v_mov_b64_e32 v[6:7], 0x7f800001
	v_and_b32_e32 v2, 0x7f, v4
	s_mov_b32 s19, exec_lo
	scratch_store_b64 off, v[6:7], s32 offset:1572 ; 8-byte Folded Spill
	s_wait_xcnt 0x0
	v_cmpx_ne_u32_e32 0x7f, v2
	s_cbranch_execz .LBB232_3663
; %bb.3660:                             ;   in Loop: Header=BB232_2089 Depth=1
	scratch_load_b64 v[6:7], off, s32 offset:192 th:TH_LOAD_LU ; 8-byte Folded Reload
	s_wait_loadcnt 0x0
	v_dual_lshrrev_b32 v5, 3, v2 :: v_dual_bitop2_b32 v6, 7, v4 bitop3:0x40
	v_cmp_gt_u32_e64 s4, 8, v2
	s_delay_alu instid0(VALU_DEP_2)
	v_mov_b64_e32 v[2:3], v[6:7]
	s_wait_xcnt 0x0
	s_and_saveexec_b32 s20, s4
; %bb.3661:                             ;   in Loop: Header=BB232_2089 Depth=1
	v_clz_i32_u32_e32 v2, v6
	s_delay_alu instid0(VALU_DEP_1) | instskip(NEXT) | instid1(VALU_DEP_1)
	v_min_u32_e32 v5, 32, v2
	v_subrev_nc_u32_e32 v2, 28, v5
	s_delay_alu instid0(VALU_DEP_1) | instskip(NEXT) | instid1(VALU_DEP_1)
	v_lshlrev_b64_e32 v[2:3], v2, v[6:7]
	v_dual_sub_nc_u32 v5, 29, v5 :: v_dual_bitop2_b32 v2, 7, v2 bitop3:0x40
; %bb.3662:                             ;   in Loop: Header=BB232_2089 Depth=1
	s_or_b32 exec_lo, exec_lo, s20
	s_delay_alu instid0(VALU_DEP_1) | instskip(NEXT) | instid1(VALU_DEP_2)
	v_dual_lshlrev_b32 v3, 24, v4 :: v_dual_lshlrev_b32 v2, 20, v2
	v_lshl_add_u32 v5, v5, 23, 0x3c000000
	s_delay_alu instid0(VALU_DEP_2) | instskip(NEXT) | instid1(VALU_DEP_1)
	v_and_b32_e32 v3, 0x80000000, v3
	v_or3_b32 v6, v2, v3, v5
	v_mov_b32_e32 v3, v7
	s_clause 0x1
	scratch_store_b64 off, v[2:3], s32 offset:192
	scratch_store_b64 off, v[6:7], s32 offset:1572
.LBB232_3663:                           ;   in Loop: Header=BB232_2089 Depth=1
	s_wait_xcnt 0x0
	s_or_b32 exec_lo, exec_lo, s19
.LBB232_3664:                           ;   in Loop: Header=BB232_2089 Depth=1
	s_delay_alu instid0(SALU_CYCLE_1)
	s_or_b32 exec_lo, exec_lo, s18
.LBB232_3665:                           ;   in Loop: Header=BB232_2089 Depth=1
	s_delay_alu instid0(SALU_CYCLE_1) | instskip(SKIP_2) | instid1(VALU_DEP_1)
	s_or_b32 exec_lo, exec_lo, s17
	v_lshrrev_b16 v2, 8, v4
	s_mov_b32 s17, exec_lo
	v_cmpx_ne_u16_e32 0, v2
	s_cbranch_execz .LBB232_3673
; %bb.3666:                             ;   in Loop: Header=BB232_2089 Depth=1
	v_mov_b64_e32 v[6:7], 0x8000000000000000
	s_mov_b32 s18, exec_lo
	scratch_store_b64 off, v[6:7], s32 offset:1564 ; 8-byte Folded Spill
	s_wait_xcnt 0x0
	v_cmpx_ne_u16_e32 0x80, v2
	s_cbranch_execz .LBB232_3672
; %bb.3667:                             ;   in Loop: Header=BB232_2089 Depth=1
	v_and_b32_e32 v3, 0xffff, v2
	v_mov_b64_e32 v[6:7], 0x7f80000100000000
	s_mov_b32 s19, exec_lo
	s_delay_alu instid0(VALU_DEP_2)
	v_and_b32_e32 v2, 0x7f, v3
	scratch_store_b64 off, v[6:7], s32 offset:1564 ; 8-byte Folded Spill
	s_wait_xcnt 0x0
	v_cmpx_ne_u32_e32 0x7f, v2
	s_cbranch_execz .LBB232_3671
; %bb.3668:                             ;   in Loop: Header=BB232_2089 Depth=1
	scratch_load_b64 v[6:7], off, s32 offset:192 th:TH_LOAD_LU ; 8-byte Folded Reload
	s_wait_loadcnt 0x0
	v_dual_lshrrev_b32 v5, 3, v2 :: v_dual_bitop2_b32 v6, 7, v3 bitop3:0x40
	v_cmp_gt_u32_e64 s4, 8, v2
	s_delay_alu instid0(VALU_DEP_2)
	v_mov_b64_e32 v[2:3], v[6:7]
	s_wait_xcnt 0x0
	s_and_saveexec_b32 s20, s4
; %bb.3669:                             ;   in Loop: Header=BB232_2089 Depth=1
	v_clz_i32_u32_e32 v2, v6
	s_delay_alu instid0(VALU_DEP_1) | instskip(NEXT) | instid1(VALU_DEP_1)
	v_min_u32_e32 v5, 32, v2
	v_subrev_nc_u32_e32 v2, 28, v5
	s_delay_alu instid0(VALU_DEP_1) | instskip(NEXT) | instid1(VALU_DEP_1)
	v_lshlrev_b64_e32 v[2:3], v2, v[6:7]
	v_dual_sub_nc_u32 v5, 29, v5 :: v_dual_bitop2_b32 v2, 7, v2 bitop3:0x40
; %bb.3670:                             ;   in Loop: Header=BB232_2089 Depth=1
	s_or_b32 exec_lo, exec_lo, s20
	s_delay_alu instid0(VALU_DEP_1) | instskip(NEXT) | instid1(VALU_DEP_2)
	v_dual_lshlrev_b32 v3, 16, v4 :: v_dual_lshlrev_b32 v2, 20, v2
	v_lshl_add_u32 v5, v5, 23, 0x3c000000
	v_mov_b32_e32 v8, v7
	s_delay_alu instid0(VALU_DEP_3) | instskip(NEXT) | instid1(VALU_DEP_1)
	v_and_b32_e32 v3, 0x80000000, v3
	v_or3_b32 v9, v2, v3, v5
	v_mov_b32_e32 v3, v7
	s_clause 0x1
	scratch_store_b64 off, v[8:9], s32 offset:1564
	scratch_store_b64 off, v[2:3], s32 offset:192
.LBB232_3671:                           ;   in Loop: Header=BB232_2089 Depth=1
	s_wait_xcnt 0x0
	s_or_b32 exec_lo, exec_lo, s19
.LBB232_3672:                           ;   in Loop: Header=BB232_2089 Depth=1
	s_delay_alu instid0(SALU_CYCLE_1)
	s_or_b32 exec_lo, exec_lo, s18
.LBB232_3673:                           ;   in Loop: Header=BB232_2089 Depth=1
	s_delay_alu instid0(SALU_CYCLE_1) | instskip(SKIP_3) | instid1(VALU_DEP_1)
	s_or_b32 exec_lo, exec_lo, s17
	v_mov_b64_e32 v[6:7], 0
	v_lshrrev_b32_e32 v5, 16, v4
	s_mov_b32 s17, exec_lo
	v_and_b32_e32 v2, 0xff, v5
	scratch_store_b64 off, v[6:7], s32 offset:1580 ; 8-byte Folded Spill
	s_wait_xcnt 0x0
	v_mov_b64_e32 v[6:7], 0
	scratch_store_b64 off, v[6:7], s32 offset:1588 ; 8-byte Folded Spill
	s_wait_xcnt 0x0
	v_cmpx_ne_u16_e32 0, v2
	s_cbranch_execz .LBB232_3681
; %bb.3674:                             ;   in Loop: Header=BB232_2089 Depth=1
	v_cmp_ne_u16_e64 s4, 0x80, v2
	v_mov_b64_e32 v[2:3], 0x80000000
	scratch_store_b64 off, v[2:3], s32 offset:1588 ; 8-byte Folded Spill
	s_wait_xcnt 0x0
	s_and_saveexec_b32 s18, s4
	s_cbranch_execz .LBB232_3680
; %bb.3675:                             ;   in Loop: Header=BB232_2089 Depth=1
	v_mov_b64_e32 v[6:7], 0x7f800001
	v_bfe_u32 v2, v4, 16, 7
	s_mov_b32 s19, exec_lo
	scratch_store_b64 off, v[6:7], s32 offset:1588 ; 8-byte Folded Spill
	s_wait_xcnt 0x0
	v_cmpx_ne_u32_e32 0x7f, v2
	s_cbranch_execz .LBB232_3679
; %bb.3676:                             ;   in Loop: Header=BB232_2089 Depth=1
	scratch_load_b64 v[8:9], off, s32 offset:192 th:TH_LOAD_LU ; 8-byte Folded Reload
	s_wait_loadcnt 0x0
	v_dual_lshrrev_b32 v6, 3, v2 :: v_dual_bitop2_b32 v8, 7, v5 bitop3:0x40
	v_cmp_gt_u32_e64 s4, 8, v2
	s_delay_alu instid0(VALU_DEP_2)
	v_mov_b64_e32 v[2:3], v[8:9]
	s_wait_xcnt 0x0
	s_and_saveexec_b32 s20, s4
; %bb.3677:                             ;   in Loop: Header=BB232_2089 Depth=1
	v_clz_i32_u32_e32 v2, v8
	s_delay_alu instid0(VALU_DEP_1) | instskip(NEXT) | instid1(VALU_DEP_1)
	v_min_u32_e32 v6, 32, v2
	v_subrev_nc_u32_e32 v2, 28, v6
	v_sub_nc_u32_e32 v6, 29, v6
	s_delay_alu instid0(VALU_DEP_2) | instskip(NEXT) | instid1(VALU_DEP_1)
	v_lshlrev_b64_e32 v[2:3], v2, v[8:9]
	v_and_b32_e32 v2, 7, v2
; %bb.3678:                             ;   in Loop: Header=BB232_2089 Depth=1
	s_or_b32 exec_lo, exec_lo, s20
	s_delay_alu instid0(VALU_DEP_1) | instskip(SKIP_1) | instid1(VALU_DEP_2)
	v_dual_lshlrev_b32 v3, 24, v5 :: v_dual_lshlrev_b32 v2, 20, v2
	v_lshl_add_u32 v5, v6, 23, 0x3c000000
	v_and_b32_e32 v3, 0x80000000, v3
	s_delay_alu instid0(VALU_DEP_1)
	v_or3_b32 v8, v2, v3, v5
	v_mov_b32_e32 v3, v9
	s_clause 0x1
	scratch_store_b64 off, v[2:3], s32 offset:192
	scratch_store_b64 off, v[8:9], s32 offset:1588
.LBB232_3679:                           ;   in Loop: Header=BB232_2089 Depth=1
	s_wait_xcnt 0x0
	s_or_b32 exec_lo, exec_lo, s19
.LBB232_3680:                           ;   in Loop: Header=BB232_2089 Depth=1
	s_delay_alu instid0(SALU_CYCLE_1)
	s_or_b32 exec_lo, exec_lo, s18
.LBB232_3681:                           ;   in Loop: Header=BB232_2089 Depth=1
	s_delay_alu instid0(SALU_CYCLE_1) | instskip(NEXT) | instid1(SALU_CYCLE_1)
	s_or_b32 exec_lo, exec_lo, s17
	s_mov_b32 s17, exec_lo
	v_cmpx_lt_u32_e32 0xffffff, v4
	s_cbranch_execz .LBB232_3689
; %bb.3682:                             ;   in Loop: Header=BB232_2089 Depth=1
	v_mov_b64_e32 v[2:3], 0x8000000000000000
	v_lshrrev_b32_e32 v5, 24, v4
	s_mov_b32 s18, exec_lo
	scratch_store_b64 off, v[2:3], s32 offset:1580 ; 8-byte Folded Spill
	s_wait_xcnt 0x0
	v_cmpx_ne_u32_e32 0x80, v5
	s_cbranch_execz .LBB232_3688
; %bb.3683:                             ;   in Loop: Header=BB232_2089 Depth=1
	v_mov_b64_e32 v[6:7], 0x7f80000100000000
	v_bfe_u32 v2, v4, 24, 7
	s_mov_b32 s19, exec_lo
	scratch_store_b64 off, v[6:7], s32 offset:1580 ; 8-byte Folded Spill
	s_wait_xcnt 0x0
	v_cmpx_ne_u32_e32 0x7f, v2
	s_cbranch_execz .LBB232_3687
; %bb.3684:                             ;   in Loop: Header=BB232_2089 Depth=1
	scratch_load_b64 v[6:7], off, s32 offset:192 th:TH_LOAD_LU ; 8-byte Folded Reload
	s_wait_loadcnt 0x0
	v_dual_lshrrev_b32 v4, 3, v2 :: v_dual_bitop2_b32 v6, 7, v5 bitop3:0x40
	v_cmp_gt_u32_e64 s4, 8, v2
	s_delay_alu instid0(VALU_DEP_2)
	v_mov_b64_e32 v[2:3], v[6:7]
	s_wait_xcnt 0x0
	s_and_saveexec_b32 s20, s4
; %bb.3685:                             ;   in Loop: Header=BB232_2089 Depth=1
	v_clz_i32_u32_e32 v2, v6
	s_delay_alu instid0(VALU_DEP_1) | instskip(NEXT) | instid1(VALU_DEP_1)
	v_min_u32_e32 v4, 32, v2
	v_subrev_nc_u32_e32 v2, 28, v4
	s_delay_alu instid0(VALU_DEP_1) | instskip(NEXT) | instid1(VALU_DEP_1)
	v_lshlrev_b64_e32 v[2:3], v2, v[6:7]
	v_dual_sub_nc_u32 v4, 29, v4 :: v_dual_bitop2_b32 v2, 7, v2 bitop3:0x40
; %bb.3686:                             ;   in Loop: Header=BB232_2089 Depth=1
	s_or_b32 exec_lo, exec_lo, s20
	s_delay_alu instid0(VALU_DEP_1) | instskip(NEXT) | instid1(VALU_DEP_2)
	v_dual_lshlrev_b32 v3, 24, v5 :: v_dual_lshlrev_b32 v2, 20, v2
	v_lshl_add_u32 v4, v4, 23, 0x3c000000
	s_delay_alu instid0(VALU_DEP_2) | instskip(NEXT) | instid1(VALU_DEP_1)
	v_and_b32_e32 v3, 0x80000000, v3
	v_or3_b32 v5, v2, v3, v4
	v_dual_mov_b32 v3, v7 :: v_dual_mov_b32 v4, v7
	s_clause 0x1
	scratch_store_b64 off, v[2:3], s32 offset:192
	scratch_store_b64 off, v[4:5], s32 offset:1580
.LBB232_3687:                           ;   in Loop: Header=BB232_2089 Depth=1
	s_wait_xcnt 0x0
	s_or_b32 exec_lo, exec_lo, s19
.LBB232_3688:                           ;   in Loop: Header=BB232_2089 Depth=1
	s_delay_alu instid0(SALU_CYCLE_1)
	s_or_b32 exec_lo, exec_lo, s18
.LBB232_3689:                           ;   in Loop: Header=BB232_2089 Depth=1
	s_delay_alu instid0(SALU_CYCLE_1)
	s_or_b32 exec_lo, exec_lo, s17
	flat_load_b32 v4, v[0:1] offset:6400
	v_mov_b64_e32 v[6:7], 0
	s_mov_b32 s17, exec_lo
	scratch_store_b64 off, v[6:7], s32 offset:1596 ; 8-byte Folded Spill
	s_wait_xcnt 0x0
	v_mov_b64_e32 v[6:7], 0
	scratch_store_b64 off, v[6:7], s32 offset:1604 ; 8-byte Folded Spill
	s_wait_loadcnt_dscnt 0x0
	v_and_b32_e32 v2, 0xff, v4
	s_wait_xcnt 0x0
	s_delay_alu instid0(VALU_DEP_1)
	v_cmpx_ne_u16_e32 0, v2
	s_cbranch_execz .LBB232_3697
; %bb.3690:                             ;   in Loop: Header=BB232_2089 Depth=1
	v_cmp_ne_u16_e64 s4, 0x80, v2
	v_mov_b64_e32 v[2:3], 0x80000000
	scratch_store_b64 off, v[2:3], s32 offset:1604 ; 8-byte Folded Spill
	s_wait_xcnt 0x0
	s_and_saveexec_b32 s18, s4
	s_cbranch_execz .LBB232_3696
; %bb.3691:                             ;   in Loop: Header=BB232_2089 Depth=1
	v_mov_b64_e32 v[6:7], 0x7f800001
	v_and_b32_e32 v2, 0x7f, v4
	s_mov_b32 s19, exec_lo
	scratch_store_b64 off, v[6:7], s32 offset:1604 ; 8-byte Folded Spill
	s_wait_xcnt 0x0
	v_cmpx_ne_u32_e32 0x7f, v2
	s_cbranch_execz .LBB232_3695
; %bb.3692:                             ;   in Loop: Header=BB232_2089 Depth=1
	scratch_load_b64 v[6:7], off, s32 offset:192 th:TH_LOAD_LU ; 8-byte Folded Reload
	s_wait_loadcnt 0x0
	v_dual_lshrrev_b32 v5, 3, v2 :: v_dual_bitop2_b32 v6, 7, v4 bitop3:0x40
	v_cmp_gt_u32_e64 s4, 8, v2
	s_delay_alu instid0(VALU_DEP_2)
	v_mov_b64_e32 v[2:3], v[6:7]
	s_wait_xcnt 0x0
	s_and_saveexec_b32 s20, s4
; %bb.3693:                             ;   in Loop: Header=BB232_2089 Depth=1
	v_clz_i32_u32_e32 v2, v6
	s_delay_alu instid0(VALU_DEP_1) | instskip(NEXT) | instid1(VALU_DEP_1)
	v_min_u32_e32 v5, 32, v2
	v_subrev_nc_u32_e32 v2, 28, v5
	s_delay_alu instid0(VALU_DEP_1) | instskip(NEXT) | instid1(VALU_DEP_1)
	v_lshlrev_b64_e32 v[2:3], v2, v[6:7]
	v_dual_sub_nc_u32 v5, 29, v5 :: v_dual_bitop2_b32 v2, 7, v2 bitop3:0x40
; %bb.3694:                             ;   in Loop: Header=BB232_2089 Depth=1
	s_or_b32 exec_lo, exec_lo, s20
	s_delay_alu instid0(VALU_DEP_1) | instskip(NEXT) | instid1(VALU_DEP_2)
	v_dual_lshlrev_b32 v3, 24, v4 :: v_dual_lshlrev_b32 v2, 20, v2
	v_lshl_add_u32 v5, v5, 23, 0x3c000000
	s_delay_alu instid0(VALU_DEP_2) | instskip(NEXT) | instid1(VALU_DEP_1)
	v_and_b32_e32 v3, 0x80000000, v3
	v_or3_b32 v6, v2, v3, v5
	v_mov_b32_e32 v3, v7
	s_clause 0x1
	scratch_store_b64 off, v[2:3], s32 offset:192
	scratch_store_b64 off, v[6:7], s32 offset:1604
.LBB232_3695:                           ;   in Loop: Header=BB232_2089 Depth=1
	s_wait_xcnt 0x0
	s_or_b32 exec_lo, exec_lo, s19
.LBB232_3696:                           ;   in Loop: Header=BB232_2089 Depth=1
	s_delay_alu instid0(SALU_CYCLE_1)
	s_or_b32 exec_lo, exec_lo, s18
.LBB232_3697:                           ;   in Loop: Header=BB232_2089 Depth=1
	s_delay_alu instid0(SALU_CYCLE_1) | instskip(SKIP_2) | instid1(VALU_DEP_1)
	s_or_b32 exec_lo, exec_lo, s17
	v_lshrrev_b16 v2, 8, v4
	s_mov_b32 s17, exec_lo
	v_cmpx_ne_u16_e32 0, v2
	s_cbranch_execz .LBB232_3705
; %bb.3698:                             ;   in Loop: Header=BB232_2089 Depth=1
	v_mov_b64_e32 v[6:7], 0x8000000000000000
	s_mov_b32 s18, exec_lo
	scratch_store_b64 off, v[6:7], s32 offset:1596 ; 8-byte Folded Spill
	s_wait_xcnt 0x0
	v_cmpx_ne_u16_e32 0x80, v2
	s_cbranch_execz .LBB232_3704
; %bb.3699:                             ;   in Loop: Header=BB232_2089 Depth=1
	v_and_b32_e32 v3, 0xffff, v2
	v_mov_b64_e32 v[6:7], 0x7f80000100000000
	s_mov_b32 s19, exec_lo
	s_delay_alu instid0(VALU_DEP_2)
	v_and_b32_e32 v2, 0x7f, v3
	scratch_store_b64 off, v[6:7], s32 offset:1596 ; 8-byte Folded Spill
	s_wait_xcnt 0x0
	v_cmpx_ne_u32_e32 0x7f, v2
	s_cbranch_execz .LBB232_3703
; %bb.3700:                             ;   in Loop: Header=BB232_2089 Depth=1
	scratch_load_b64 v[6:7], off, s32 offset:192 th:TH_LOAD_LU ; 8-byte Folded Reload
	s_wait_loadcnt 0x0
	v_dual_lshrrev_b32 v5, 3, v2 :: v_dual_bitop2_b32 v6, 7, v3 bitop3:0x40
	v_cmp_gt_u32_e64 s4, 8, v2
	s_delay_alu instid0(VALU_DEP_2)
	v_mov_b64_e32 v[2:3], v[6:7]
	s_wait_xcnt 0x0
	s_and_saveexec_b32 s20, s4
; %bb.3701:                             ;   in Loop: Header=BB232_2089 Depth=1
	v_clz_i32_u32_e32 v2, v6
	s_delay_alu instid0(VALU_DEP_1) | instskip(NEXT) | instid1(VALU_DEP_1)
	v_min_u32_e32 v5, 32, v2
	v_subrev_nc_u32_e32 v2, 28, v5
	s_delay_alu instid0(VALU_DEP_1) | instskip(NEXT) | instid1(VALU_DEP_1)
	v_lshlrev_b64_e32 v[2:3], v2, v[6:7]
	v_dual_sub_nc_u32 v5, 29, v5 :: v_dual_bitop2_b32 v2, 7, v2 bitop3:0x40
; %bb.3702:                             ;   in Loop: Header=BB232_2089 Depth=1
	s_or_b32 exec_lo, exec_lo, s20
	s_delay_alu instid0(VALU_DEP_1) | instskip(NEXT) | instid1(VALU_DEP_2)
	v_dual_lshlrev_b32 v3, 16, v4 :: v_dual_lshlrev_b32 v2, 20, v2
	v_lshl_add_u32 v5, v5, 23, 0x3c000000
	v_mov_b32_e32 v8, v7
	s_delay_alu instid0(VALU_DEP_3) | instskip(NEXT) | instid1(VALU_DEP_1)
	v_and_b32_e32 v3, 0x80000000, v3
	v_or3_b32 v9, v2, v3, v5
	v_mov_b32_e32 v3, v7
	s_clause 0x1
	scratch_store_b64 off, v[8:9], s32 offset:1596
	scratch_store_b64 off, v[2:3], s32 offset:192
.LBB232_3703:                           ;   in Loop: Header=BB232_2089 Depth=1
	s_wait_xcnt 0x0
	s_or_b32 exec_lo, exec_lo, s19
.LBB232_3704:                           ;   in Loop: Header=BB232_2089 Depth=1
	s_delay_alu instid0(SALU_CYCLE_1)
	s_or_b32 exec_lo, exec_lo, s18
.LBB232_3705:                           ;   in Loop: Header=BB232_2089 Depth=1
	s_delay_alu instid0(SALU_CYCLE_1) | instskip(SKIP_3) | instid1(VALU_DEP_1)
	s_or_b32 exec_lo, exec_lo, s17
	v_mov_b64_e32 v[6:7], 0
	v_lshrrev_b32_e32 v5, 16, v4
	s_mov_b32 s17, exec_lo
	v_and_b32_e32 v2, 0xff, v5
	scratch_store_b64 off, v[6:7], s32 offset:1612 ; 8-byte Folded Spill
	s_wait_xcnt 0x0
	v_mov_b64_e32 v[6:7], 0
	scratch_store_b64 off, v[6:7], s32 offset:1620 ; 8-byte Folded Spill
	s_wait_xcnt 0x0
	v_cmpx_ne_u16_e32 0, v2
	s_cbranch_execz .LBB232_3713
; %bb.3706:                             ;   in Loop: Header=BB232_2089 Depth=1
	v_cmp_ne_u16_e64 s4, 0x80, v2
	v_mov_b64_e32 v[2:3], 0x80000000
	scratch_store_b64 off, v[2:3], s32 offset:1620 ; 8-byte Folded Spill
	s_wait_xcnt 0x0
	s_and_saveexec_b32 s18, s4
	s_cbranch_execz .LBB232_3712
; %bb.3707:                             ;   in Loop: Header=BB232_2089 Depth=1
	v_mov_b64_e32 v[6:7], 0x7f800001
	v_bfe_u32 v2, v4, 16, 7
	s_mov_b32 s19, exec_lo
	scratch_store_b64 off, v[6:7], s32 offset:1620 ; 8-byte Folded Spill
	s_wait_xcnt 0x0
	v_cmpx_ne_u32_e32 0x7f, v2
	s_cbranch_execz .LBB232_3711
; %bb.3708:                             ;   in Loop: Header=BB232_2089 Depth=1
	scratch_load_b64 v[8:9], off, s32 offset:192 th:TH_LOAD_LU ; 8-byte Folded Reload
	s_wait_loadcnt 0x0
	v_dual_lshrrev_b32 v6, 3, v2 :: v_dual_bitop2_b32 v8, 7, v5 bitop3:0x40
	v_cmp_gt_u32_e64 s4, 8, v2
	s_delay_alu instid0(VALU_DEP_2)
	v_mov_b64_e32 v[2:3], v[8:9]
	s_wait_xcnt 0x0
	s_and_saveexec_b32 s20, s4
; %bb.3709:                             ;   in Loop: Header=BB232_2089 Depth=1
	v_clz_i32_u32_e32 v2, v8
	s_delay_alu instid0(VALU_DEP_1) | instskip(NEXT) | instid1(VALU_DEP_1)
	v_min_u32_e32 v6, 32, v2
	v_subrev_nc_u32_e32 v2, 28, v6
	v_sub_nc_u32_e32 v6, 29, v6
	s_delay_alu instid0(VALU_DEP_2) | instskip(NEXT) | instid1(VALU_DEP_1)
	v_lshlrev_b64_e32 v[2:3], v2, v[8:9]
	v_and_b32_e32 v2, 7, v2
; %bb.3710:                             ;   in Loop: Header=BB232_2089 Depth=1
	s_or_b32 exec_lo, exec_lo, s20
	s_delay_alu instid0(VALU_DEP_1) | instskip(SKIP_1) | instid1(VALU_DEP_2)
	v_dual_lshlrev_b32 v3, 24, v5 :: v_dual_lshlrev_b32 v2, 20, v2
	v_lshl_add_u32 v5, v6, 23, 0x3c000000
	v_and_b32_e32 v3, 0x80000000, v3
	s_delay_alu instid0(VALU_DEP_1)
	v_or3_b32 v8, v2, v3, v5
	v_mov_b32_e32 v3, v9
	s_clause 0x1
	scratch_store_b64 off, v[2:3], s32 offset:192
	scratch_store_b64 off, v[8:9], s32 offset:1620
.LBB232_3711:                           ;   in Loop: Header=BB232_2089 Depth=1
	s_wait_xcnt 0x0
	s_or_b32 exec_lo, exec_lo, s19
.LBB232_3712:                           ;   in Loop: Header=BB232_2089 Depth=1
	s_delay_alu instid0(SALU_CYCLE_1)
	s_or_b32 exec_lo, exec_lo, s18
.LBB232_3713:                           ;   in Loop: Header=BB232_2089 Depth=1
	s_delay_alu instid0(SALU_CYCLE_1) | instskip(NEXT) | instid1(SALU_CYCLE_1)
	s_or_b32 exec_lo, exec_lo, s17
	s_mov_b32 s17, exec_lo
	v_cmpx_lt_u32_e32 0xffffff, v4
	s_cbranch_execz .LBB232_3721
; %bb.3714:                             ;   in Loop: Header=BB232_2089 Depth=1
	v_mov_b64_e32 v[2:3], 0x8000000000000000
	v_lshrrev_b32_e32 v5, 24, v4
	s_mov_b32 s18, exec_lo
	scratch_store_b64 off, v[2:3], s32 offset:1612 ; 8-byte Folded Spill
	s_wait_xcnt 0x0
	v_cmpx_ne_u32_e32 0x80, v5
	s_cbranch_execz .LBB232_3720
; %bb.3715:                             ;   in Loop: Header=BB232_2089 Depth=1
	v_mov_b64_e32 v[6:7], 0x7f80000100000000
	v_bfe_u32 v2, v4, 24, 7
	s_mov_b32 s19, exec_lo
	scratch_store_b64 off, v[6:7], s32 offset:1612 ; 8-byte Folded Spill
	s_wait_xcnt 0x0
	v_cmpx_ne_u32_e32 0x7f, v2
	s_cbranch_execz .LBB232_3719
; %bb.3716:                             ;   in Loop: Header=BB232_2089 Depth=1
	scratch_load_b64 v[6:7], off, s32 offset:192 th:TH_LOAD_LU ; 8-byte Folded Reload
	s_wait_loadcnt 0x0
	v_dual_lshrrev_b32 v4, 3, v2 :: v_dual_bitop2_b32 v6, 7, v5 bitop3:0x40
	v_cmp_gt_u32_e64 s4, 8, v2
	s_delay_alu instid0(VALU_DEP_2)
	v_mov_b64_e32 v[2:3], v[6:7]
	s_wait_xcnt 0x0
	s_and_saveexec_b32 s20, s4
; %bb.3717:                             ;   in Loop: Header=BB232_2089 Depth=1
	v_clz_i32_u32_e32 v2, v6
	s_delay_alu instid0(VALU_DEP_1) | instskip(NEXT) | instid1(VALU_DEP_1)
	v_min_u32_e32 v4, 32, v2
	v_subrev_nc_u32_e32 v2, 28, v4
	s_delay_alu instid0(VALU_DEP_1) | instskip(NEXT) | instid1(VALU_DEP_1)
	v_lshlrev_b64_e32 v[2:3], v2, v[6:7]
	v_dual_sub_nc_u32 v4, 29, v4 :: v_dual_bitop2_b32 v2, 7, v2 bitop3:0x40
; %bb.3718:                             ;   in Loop: Header=BB232_2089 Depth=1
	s_or_b32 exec_lo, exec_lo, s20
	s_delay_alu instid0(VALU_DEP_1) | instskip(NEXT) | instid1(VALU_DEP_2)
	v_dual_lshlrev_b32 v3, 24, v5 :: v_dual_lshlrev_b32 v2, 20, v2
	v_lshl_add_u32 v4, v4, 23, 0x3c000000
	s_delay_alu instid0(VALU_DEP_2) | instskip(NEXT) | instid1(VALU_DEP_1)
	v_and_b32_e32 v3, 0x80000000, v3
	v_or3_b32 v5, v2, v3, v4
	v_dual_mov_b32 v3, v7 :: v_dual_mov_b32 v4, v7
	s_clause 0x1
	scratch_store_b64 off, v[2:3], s32 offset:192
	scratch_store_b64 off, v[4:5], s32 offset:1612
.LBB232_3719:                           ;   in Loop: Header=BB232_2089 Depth=1
	s_wait_xcnt 0x0
	s_or_b32 exec_lo, exec_lo, s19
.LBB232_3720:                           ;   in Loop: Header=BB232_2089 Depth=1
	s_delay_alu instid0(SALU_CYCLE_1)
	s_or_b32 exec_lo, exec_lo, s18
.LBB232_3721:                           ;   in Loop: Header=BB232_2089 Depth=1
	s_delay_alu instid0(SALU_CYCLE_1)
	s_or_b32 exec_lo, exec_lo, s17
	flat_load_b32 v4, v[0:1] offset:6528
	v_mov_b64_e32 v[6:7], 0
	s_mov_b32 s17, exec_lo
	scratch_store_b64 off, v[6:7], s32 offset:1628 ; 8-byte Folded Spill
	s_wait_xcnt 0x0
	v_mov_b64_e32 v[6:7], 0
	scratch_store_b64 off, v[6:7], s32 offset:1636 ; 8-byte Folded Spill
	s_wait_loadcnt_dscnt 0x0
	v_and_b32_e32 v2, 0xff, v4
	s_wait_xcnt 0x0
	s_delay_alu instid0(VALU_DEP_1)
	v_cmpx_ne_u16_e32 0, v2
	s_cbranch_execz .LBB232_3729
; %bb.3722:                             ;   in Loop: Header=BB232_2089 Depth=1
	v_cmp_ne_u16_e64 s4, 0x80, v2
	v_mov_b64_e32 v[2:3], 0x80000000
	scratch_store_b64 off, v[2:3], s32 offset:1636 ; 8-byte Folded Spill
	s_wait_xcnt 0x0
	s_and_saveexec_b32 s18, s4
	s_cbranch_execz .LBB232_3728
; %bb.3723:                             ;   in Loop: Header=BB232_2089 Depth=1
	v_mov_b64_e32 v[6:7], 0x7f800001
	v_and_b32_e32 v2, 0x7f, v4
	s_mov_b32 s19, exec_lo
	scratch_store_b64 off, v[6:7], s32 offset:1636 ; 8-byte Folded Spill
	s_wait_xcnt 0x0
	v_cmpx_ne_u32_e32 0x7f, v2
	s_cbranch_execz .LBB232_3727
; %bb.3724:                             ;   in Loop: Header=BB232_2089 Depth=1
	scratch_load_b64 v[6:7], off, s32 offset:192 th:TH_LOAD_LU ; 8-byte Folded Reload
	s_wait_loadcnt 0x0
	v_dual_lshrrev_b32 v5, 3, v2 :: v_dual_bitop2_b32 v6, 7, v4 bitop3:0x40
	v_cmp_gt_u32_e64 s4, 8, v2
	s_delay_alu instid0(VALU_DEP_2)
	v_mov_b64_e32 v[2:3], v[6:7]
	s_wait_xcnt 0x0
	s_and_saveexec_b32 s20, s4
; %bb.3725:                             ;   in Loop: Header=BB232_2089 Depth=1
	v_clz_i32_u32_e32 v2, v6
	s_delay_alu instid0(VALU_DEP_1) | instskip(NEXT) | instid1(VALU_DEP_1)
	v_min_u32_e32 v5, 32, v2
	v_subrev_nc_u32_e32 v2, 28, v5
	s_delay_alu instid0(VALU_DEP_1) | instskip(NEXT) | instid1(VALU_DEP_1)
	v_lshlrev_b64_e32 v[2:3], v2, v[6:7]
	v_dual_sub_nc_u32 v5, 29, v5 :: v_dual_bitop2_b32 v2, 7, v2 bitop3:0x40
; %bb.3726:                             ;   in Loop: Header=BB232_2089 Depth=1
	s_or_b32 exec_lo, exec_lo, s20
	s_delay_alu instid0(VALU_DEP_1) | instskip(NEXT) | instid1(VALU_DEP_2)
	v_dual_lshlrev_b32 v3, 24, v4 :: v_dual_lshlrev_b32 v2, 20, v2
	v_lshl_add_u32 v5, v5, 23, 0x3c000000
	s_delay_alu instid0(VALU_DEP_2) | instskip(NEXT) | instid1(VALU_DEP_1)
	v_and_b32_e32 v3, 0x80000000, v3
	v_or3_b32 v6, v2, v3, v5
	v_mov_b32_e32 v3, v7
	s_clause 0x1
	scratch_store_b64 off, v[2:3], s32 offset:192
	scratch_store_b64 off, v[6:7], s32 offset:1636
.LBB232_3727:                           ;   in Loop: Header=BB232_2089 Depth=1
	s_wait_xcnt 0x0
	s_or_b32 exec_lo, exec_lo, s19
.LBB232_3728:                           ;   in Loop: Header=BB232_2089 Depth=1
	s_delay_alu instid0(SALU_CYCLE_1)
	s_or_b32 exec_lo, exec_lo, s18
.LBB232_3729:                           ;   in Loop: Header=BB232_2089 Depth=1
	s_delay_alu instid0(SALU_CYCLE_1) | instskip(SKIP_2) | instid1(VALU_DEP_1)
	s_or_b32 exec_lo, exec_lo, s17
	v_lshrrev_b16 v2, 8, v4
	s_mov_b32 s17, exec_lo
	v_cmpx_ne_u16_e32 0, v2
	s_cbranch_execz .LBB232_3737
; %bb.3730:                             ;   in Loop: Header=BB232_2089 Depth=1
	v_mov_b64_e32 v[6:7], 0x8000000000000000
	s_mov_b32 s18, exec_lo
	scratch_store_b64 off, v[6:7], s32 offset:1628 ; 8-byte Folded Spill
	s_wait_xcnt 0x0
	v_cmpx_ne_u16_e32 0x80, v2
	s_cbranch_execz .LBB232_3736
; %bb.3731:                             ;   in Loop: Header=BB232_2089 Depth=1
	v_and_b32_e32 v3, 0xffff, v2
	v_mov_b64_e32 v[6:7], 0x7f80000100000000
	s_mov_b32 s19, exec_lo
	s_delay_alu instid0(VALU_DEP_2)
	v_and_b32_e32 v2, 0x7f, v3
	scratch_store_b64 off, v[6:7], s32 offset:1628 ; 8-byte Folded Spill
	s_wait_xcnt 0x0
	v_cmpx_ne_u32_e32 0x7f, v2
	s_cbranch_execz .LBB232_3735
; %bb.3732:                             ;   in Loop: Header=BB232_2089 Depth=1
	scratch_load_b64 v[6:7], off, s32 offset:192 th:TH_LOAD_LU ; 8-byte Folded Reload
	s_wait_loadcnt 0x0
	v_dual_lshrrev_b32 v5, 3, v2 :: v_dual_bitop2_b32 v6, 7, v3 bitop3:0x40
	v_cmp_gt_u32_e64 s4, 8, v2
	s_delay_alu instid0(VALU_DEP_2)
	v_mov_b64_e32 v[2:3], v[6:7]
	s_wait_xcnt 0x0
	s_and_saveexec_b32 s20, s4
; %bb.3733:                             ;   in Loop: Header=BB232_2089 Depth=1
	v_clz_i32_u32_e32 v2, v6
	s_delay_alu instid0(VALU_DEP_1) | instskip(NEXT) | instid1(VALU_DEP_1)
	v_min_u32_e32 v5, 32, v2
	v_subrev_nc_u32_e32 v2, 28, v5
	s_delay_alu instid0(VALU_DEP_1) | instskip(NEXT) | instid1(VALU_DEP_1)
	v_lshlrev_b64_e32 v[2:3], v2, v[6:7]
	v_dual_sub_nc_u32 v5, 29, v5 :: v_dual_bitop2_b32 v2, 7, v2 bitop3:0x40
; %bb.3734:                             ;   in Loop: Header=BB232_2089 Depth=1
	s_or_b32 exec_lo, exec_lo, s20
	s_delay_alu instid0(VALU_DEP_1) | instskip(NEXT) | instid1(VALU_DEP_2)
	v_dual_lshlrev_b32 v3, 16, v4 :: v_dual_lshlrev_b32 v2, 20, v2
	v_lshl_add_u32 v5, v5, 23, 0x3c000000
	v_mov_b32_e32 v8, v7
	s_delay_alu instid0(VALU_DEP_3) | instskip(NEXT) | instid1(VALU_DEP_1)
	v_and_b32_e32 v3, 0x80000000, v3
	v_or3_b32 v9, v2, v3, v5
	v_mov_b32_e32 v3, v7
	s_clause 0x1
	scratch_store_b64 off, v[8:9], s32 offset:1628
	scratch_store_b64 off, v[2:3], s32 offset:192
.LBB232_3735:                           ;   in Loop: Header=BB232_2089 Depth=1
	s_wait_xcnt 0x0
	s_or_b32 exec_lo, exec_lo, s19
.LBB232_3736:                           ;   in Loop: Header=BB232_2089 Depth=1
	s_delay_alu instid0(SALU_CYCLE_1)
	s_or_b32 exec_lo, exec_lo, s18
.LBB232_3737:                           ;   in Loop: Header=BB232_2089 Depth=1
	s_delay_alu instid0(SALU_CYCLE_1) | instskip(SKIP_3) | instid1(VALU_DEP_1)
	s_or_b32 exec_lo, exec_lo, s17
	v_mov_b64_e32 v[6:7], 0
	v_lshrrev_b32_e32 v5, 16, v4
	s_mov_b32 s17, exec_lo
	v_and_b32_e32 v2, 0xff, v5
	scratch_store_b64 off, v[6:7], s32 offset:1660 ; 8-byte Folded Spill
	s_wait_xcnt 0x0
	v_mov_b64_e32 v[6:7], 0
	scratch_store_b64 off, v[6:7], s32 offset:1668 ; 8-byte Folded Spill
	s_wait_xcnt 0x0
	v_cmpx_ne_u16_e32 0, v2
	s_cbranch_execz .LBB232_3745
; %bb.3738:                             ;   in Loop: Header=BB232_2089 Depth=1
	v_cmp_ne_u16_e64 s4, 0x80, v2
	v_mov_b64_e32 v[2:3], 0x80000000
	scratch_store_b64 off, v[2:3], s32 offset:1668 ; 8-byte Folded Spill
	s_wait_xcnt 0x0
	s_and_saveexec_b32 s18, s4
	s_cbranch_execz .LBB232_3744
; %bb.3739:                             ;   in Loop: Header=BB232_2089 Depth=1
	v_mov_b64_e32 v[6:7], 0x7f800001
	v_bfe_u32 v2, v4, 16, 7
	s_mov_b32 s19, exec_lo
	scratch_store_b64 off, v[6:7], s32 offset:1668 ; 8-byte Folded Spill
	s_wait_xcnt 0x0
	v_cmpx_ne_u32_e32 0x7f, v2
	s_cbranch_execz .LBB232_3743
; %bb.3740:                             ;   in Loop: Header=BB232_2089 Depth=1
	scratch_load_b64 v[8:9], off, s32 offset:192 th:TH_LOAD_LU ; 8-byte Folded Reload
	s_wait_loadcnt 0x0
	v_dual_lshrrev_b32 v6, 3, v2 :: v_dual_bitop2_b32 v8, 7, v5 bitop3:0x40
	v_cmp_gt_u32_e64 s4, 8, v2
	s_delay_alu instid0(VALU_DEP_2)
	v_mov_b64_e32 v[2:3], v[8:9]
	s_wait_xcnt 0x0
	s_and_saveexec_b32 s20, s4
; %bb.3741:                             ;   in Loop: Header=BB232_2089 Depth=1
	v_clz_i32_u32_e32 v2, v8
	s_delay_alu instid0(VALU_DEP_1) | instskip(NEXT) | instid1(VALU_DEP_1)
	v_min_u32_e32 v6, 32, v2
	v_subrev_nc_u32_e32 v2, 28, v6
	v_sub_nc_u32_e32 v6, 29, v6
	s_delay_alu instid0(VALU_DEP_2) | instskip(NEXT) | instid1(VALU_DEP_1)
	v_lshlrev_b64_e32 v[2:3], v2, v[8:9]
	v_and_b32_e32 v2, 7, v2
; %bb.3742:                             ;   in Loop: Header=BB232_2089 Depth=1
	s_or_b32 exec_lo, exec_lo, s20
	s_delay_alu instid0(VALU_DEP_1) | instskip(SKIP_1) | instid1(VALU_DEP_2)
	v_dual_lshlrev_b32 v3, 24, v5 :: v_dual_lshlrev_b32 v2, 20, v2
	v_lshl_add_u32 v5, v6, 23, 0x3c000000
	v_and_b32_e32 v3, 0x80000000, v3
	s_delay_alu instid0(VALU_DEP_1)
	v_or3_b32 v8, v2, v3, v5
	v_mov_b32_e32 v3, v9
	s_clause 0x1
	scratch_store_b64 off, v[2:3], s32 offset:192
	scratch_store_b64 off, v[8:9], s32 offset:1668
.LBB232_3743:                           ;   in Loop: Header=BB232_2089 Depth=1
	s_wait_xcnt 0x0
	s_or_b32 exec_lo, exec_lo, s19
.LBB232_3744:                           ;   in Loop: Header=BB232_2089 Depth=1
	s_delay_alu instid0(SALU_CYCLE_1)
	s_or_b32 exec_lo, exec_lo, s18
.LBB232_3745:                           ;   in Loop: Header=BB232_2089 Depth=1
	s_delay_alu instid0(SALU_CYCLE_1) | instskip(NEXT) | instid1(SALU_CYCLE_1)
	s_or_b32 exec_lo, exec_lo, s17
	s_mov_b32 s17, exec_lo
	v_cmpx_lt_u32_e32 0xffffff, v4
	s_cbranch_execz .LBB232_3753
; %bb.3746:                             ;   in Loop: Header=BB232_2089 Depth=1
	v_mov_b64_e32 v[2:3], 0x8000000000000000
	v_lshrrev_b32_e32 v5, 24, v4
	s_mov_b32 s18, exec_lo
	scratch_store_b64 off, v[2:3], s32 offset:1660 ; 8-byte Folded Spill
	s_wait_xcnt 0x0
	v_cmpx_ne_u32_e32 0x80, v5
	s_cbranch_execz .LBB232_3752
; %bb.3747:                             ;   in Loop: Header=BB232_2089 Depth=1
	v_mov_b64_e32 v[6:7], 0x7f80000100000000
	v_bfe_u32 v2, v4, 24, 7
	s_mov_b32 s19, exec_lo
	scratch_store_b64 off, v[6:7], s32 offset:1660 ; 8-byte Folded Spill
	s_wait_xcnt 0x0
	v_cmpx_ne_u32_e32 0x7f, v2
	s_cbranch_execz .LBB232_3751
; %bb.3748:                             ;   in Loop: Header=BB232_2089 Depth=1
	scratch_load_b64 v[6:7], off, s32 offset:192 th:TH_LOAD_LU ; 8-byte Folded Reload
	s_wait_loadcnt 0x0
	v_dual_lshrrev_b32 v4, 3, v2 :: v_dual_bitop2_b32 v6, 7, v5 bitop3:0x40
	v_cmp_gt_u32_e64 s4, 8, v2
	s_delay_alu instid0(VALU_DEP_2)
	v_mov_b64_e32 v[2:3], v[6:7]
	s_wait_xcnt 0x0
	s_and_saveexec_b32 s20, s4
; %bb.3749:                             ;   in Loop: Header=BB232_2089 Depth=1
	v_clz_i32_u32_e32 v2, v6
	s_delay_alu instid0(VALU_DEP_1) | instskip(NEXT) | instid1(VALU_DEP_1)
	v_min_u32_e32 v4, 32, v2
	v_subrev_nc_u32_e32 v2, 28, v4
	s_delay_alu instid0(VALU_DEP_1) | instskip(NEXT) | instid1(VALU_DEP_1)
	v_lshlrev_b64_e32 v[2:3], v2, v[6:7]
	v_dual_sub_nc_u32 v4, 29, v4 :: v_dual_bitop2_b32 v2, 7, v2 bitop3:0x40
; %bb.3750:                             ;   in Loop: Header=BB232_2089 Depth=1
	s_or_b32 exec_lo, exec_lo, s20
	s_delay_alu instid0(VALU_DEP_1) | instskip(NEXT) | instid1(VALU_DEP_2)
	v_dual_lshlrev_b32 v3, 24, v5 :: v_dual_lshlrev_b32 v2, 20, v2
	v_lshl_add_u32 v4, v4, 23, 0x3c000000
	s_delay_alu instid0(VALU_DEP_2) | instskip(NEXT) | instid1(VALU_DEP_1)
	v_and_b32_e32 v3, 0x80000000, v3
	v_or3_b32 v5, v2, v3, v4
	v_dual_mov_b32 v3, v7 :: v_dual_mov_b32 v4, v7
	s_clause 0x1
	scratch_store_b64 off, v[2:3], s32 offset:192
	scratch_store_b64 off, v[4:5], s32 offset:1660
.LBB232_3751:                           ;   in Loop: Header=BB232_2089 Depth=1
	s_wait_xcnt 0x0
	s_or_b32 exec_lo, exec_lo, s19
.LBB232_3752:                           ;   in Loop: Header=BB232_2089 Depth=1
	s_delay_alu instid0(SALU_CYCLE_1)
	s_or_b32 exec_lo, exec_lo, s18
.LBB232_3753:                           ;   in Loop: Header=BB232_2089 Depth=1
	s_delay_alu instid0(SALU_CYCLE_1)
	s_or_b32 exec_lo, exec_lo, s17
	flat_load_b32 v4, v[0:1] offset:6656
	v_mov_b64_e32 v[6:7], 0
	s_mov_b32 s17, exec_lo
	scratch_store_b64 off, v[6:7], s32 offset:1692 ; 8-byte Folded Spill
	s_wait_xcnt 0x0
	v_mov_b64_e32 v[6:7], 0
	scratch_store_b64 off, v[6:7], s32 offset:1700 ; 8-byte Folded Spill
	s_wait_loadcnt_dscnt 0x0
	v_and_b32_e32 v2, 0xff, v4
	s_wait_xcnt 0x0
	s_delay_alu instid0(VALU_DEP_1)
	v_cmpx_ne_u16_e32 0, v2
	s_cbranch_execz .LBB232_3761
; %bb.3754:                             ;   in Loop: Header=BB232_2089 Depth=1
	v_cmp_ne_u16_e64 s4, 0x80, v2
	v_mov_b64_e32 v[2:3], 0x80000000
	scratch_store_b64 off, v[2:3], s32 offset:1700 ; 8-byte Folded Spill
	s_wait_xcnt 0x0
	s_and_saveexec_b32 s18, s4
	s_cbranch_execz .LBB232_3760
; %bb.3755:                             ;   in Loop: Header=BB232_2089 Depth=1
	v_mov_b64_e32 v[6:7], 0x7f800001
	v_and_b32_e32 v2, 0x7f, v4
	s_mov_b32 s19, exec_lo
	scratch_store_b64 off, v[6:7], s32 offset:1700 ; 8-byte Folded Spill
	s_wait_xcnt 0x0
	v_cmpx_ne_u32_e32 0x7f, v2
	s_cbranch_execz .LBB232_3759
; %bb.3756:                             ;   in Loop: Header=BB232_2089 Depth=1
	scratch_load_b64 v[6:7], off, s32 offset:192 th:TH_LOAD_LU ; 8-byte Folded Reload
	s_wait_loadcnt 0x0
	v_dual_lshrrev_b32 v5, 3, v2 :: v_dual_bitop2_b32 v6, 7, v4 bitop3:0x40
	v_cmp_gt_u32_e64 s4, 8, v2
	s_delay_alu instid0(VALU_DEP_2)
	v_mov_b64_e32 v[2:3], v[6:7]
	s_wait_xcnt 0x0
	s_and_saveexec_b32 s20, s4
; %bb.3757:                             ;   in Loop: Header=BB232_2089 Depth=1
	v_clz_i32_u32_e32 v2, v6
	s_delay_alu instid0(VALU_DEP_1) | instskip(NEXT) | instid1(VALU_DEP_1)
	v_min_u32_e32 v5, 32, v2
	v_subrev_nc_u32_e32 v2, 28, v5
	s_delay_alu instid0(VALU_DEP_1) | instskip(NEXT) | instid1(VALU_DEP_1)
	v_lshlrev_b64_e32 v[2:3], v2, v[6:7]
	v_dual_sub_nc_u32 v5, 29, v5 :: v_dual_bitop2_b32 v2, 7, v2 bitop3:0x40
; %bb.3758:                             ;   in Loop: Header=BB232_2089 Depth=1
	s_or_b32 exec_lo, exec_lo, s20
	s_delay_alu instid0(VALU_DEP_1) | instskip(NEXT) | instid1(VALU_DEP_2)
	v_dual_lshlrev_b32 v3, 24, v4 :: v_dual_lshlrev_b32 v2, 20, v2
	v_lshl_add_u32 v5, v5, 23, 0x3c000000
	s_delay_alu instid0(VALU_DEP_2) | instskip(NEXT) | instid1(VALU_DEP_1)
	v_and_b32_e32 v3, 0x80000000, v3
	v_or3_b32 v6, v2, v3, v5
	v_mov_b32_e32 v3, v7
	s_clause 0x1
	scratch_store_b64 off, v[2:3], s32 offset:192
	scratch_store_b64 off, v[6:7], s32 offset:1700
.LBB232_3759:                           ;   in Loop: Header=BB232_2089 Depth=1
	s_wait_xcnt 0x0
	s_or_b32 exec_lo, exec_lo, s19
.LBB232_3760:                           ;   in Loop: Header=BB232_2089 Depth=1
	s_delay_alu instid0(SALU_CYCLE_1)
	s_or_b32 exec_lo, exec_lo, s18
.LBB232_3761:                           ;   in Loop: Header=BB232_2089 Depth=1
	s_delay_alu instid0(SALU_CYCLE_1) | instskip(SKIP_2) | instid1(VALU_DEP_1)
	s_or_b32 exec_lo, exec_lo, s17
	v_lshrrev_b16 v2, 8, v4
	s_mov_b32 s17, exec_lo
	v_cmpx_ne_u16_e32 0, v2
	s_cbranch_execz .LBB232_3769
; %bb.3762:                             ;   in Loop: Header=BB232_2089 Depth=1
	v_mov_b64_e32 v[6:7], 0x8000000000000000
	s_mov_b32 s18, exec_lo
	scratch_store_b64 off, v[6:7], s32 offset:1692 ; 8-byte Folded Spill
	s_wait_xcnt 0x0
	v_cmpx_ne_u16_e32 0x80, v2
	s_cbranch_execz .LBB232_3768
; %bb.3763:                             ;   in Loop: Header=BB232_2089 Depth=1
	v_and_b32_e32 v3, 0xffff, v2
	v_mov_b64_e32 v[6:7], 0x7f80000100000000
	s_mov_b32 s19, exec_lo
	s_delay_alu instid0(VALU_DEP_2)
	v_and_b32_e32 v2, 0x7f, v3
	scratch_store_b64 off, v[6:7], s32 offset:1692 ; 8-byte Folded Spill
	s_wait_xcnt 0x0
	v_cmpx_ne_u32_e32 0x7f, v2
	s_cbranch_execz .LBB232_3767
; %bb.3764:                             ;   in Loop: Header=BB232_2089 Depth=1
	scratch_load_b64 v[6:7], off, s32 offset:192 th:TH_LOAD_LU ; 8-byte Folded Reload
	s_wait_loadcnt 0x0
	v_dual_lshrrev_b32 v5, 3, v2 :: v_dual_bitop2_b32 v6, 7, v3 bitop3:0x40
	v_cmp_gt_u32_e64 s4, 8, v2
	s_delay_alu instid0(VALU_DEP_2)
	v_mov_b64_e32 v[2:3], v[6:7]
	s_wait_xcnt 0x0
	s_and_saveexec_b32 s20, s4
; %bb.3765:                             ;   in Loop: Header=BB232_2089 Depth=1
	v_clz_i32_u32_e32 v2, v6
	s_delay_alu instid0(VALU_DEP_1) | instskip(NEXT) | instid1(VALU_DEP_1)
	v_min_u32_e32 v5, 32, v2
	v_subrev_nc_u32_e32 v2, 28, v5
	s_delay_alu instid0(VALU_DEP_1) | instskip(NEXT) | instid1(VALU_DEP_1)
	v_lshlrev_b64_e32 v[2:3], v2, v[6:7]
	v_dual_sub_nc_u32 v5, 29, v5 :: v_dual_bitop2_b32 v2, 7, v2 bitop3:0x40
; %bb.3766:                             ;   in Loop: Header=BB232_2089 Depth=1
	s_or_b32 exec_lo, exec_lo, s20
	s_delay_alu instid0(VALU_DEP_1) | instskip(NEXT) | instid1(VALU_DEP_2)
	v_dual_lshlrev_b32 v3, 16, v4 :: v_dual_lshlrev_b32 v2, 20, v2
	v_lshl_add_u32 v5, v5, 23, 0x3c000000
	v_mov_b32_e32 v8, v7
	s_delay_alu instid0(VALU_DEP_3) | instskip(NEXT) | instid1(VALU_DEP_1)
	v_and_b32_e32 v3, 0x80000000, v3
	v_or3_b32 v9, v2, v3, v5
	v_mov_b32_e32 v3, v7
	s_clause 0x1
	scratch_store_b64 off, v[8:9], s32 offset:1692
	scratch_store_b64 off, v[2:3], s32 offset:192
.LBB232_3767:                           ;   in Loop: Header=BB232_2089 Depth=1
	s_wait_xcnt 0x0
	s_or_b32 exec_lo, exec_lo, s19
.LBB232_3768:                           ;   in Loop: Header=BB232_2089 Depth=1
	s_delay_alu instid0(SALU_CYCLE_1)
	s_or_b32 exec_lo, exec_lo, s18
.LBB232_3769:                           ;   in Loop: Header=BB232_2089 Depth=1
	s_delay_alu instid0(SALU_CYCLE_1) | instskip(SKIP_3) | instid1(VALU_DEP_1)
	s_or_b32 exec_lo, exec_lo, s17
	v_mov_b64_e32 v[6:7], 0
	v_lshrrev_b32_e32 v5, 16, v4
	s_mov_b32 s17, exec_lo
	v_and_b32_e32 v2, 0xff, v5
	scratch_store_b64 off, v[6:7], s32 offset:1724 ; 8-byte Folded Spill
	s_wait_xcnt 0x0
	v_mov_b64_e32 v[6:7], 0
	scratch_store_b64 off, v[6:7], s32 offset:1732 ; 8-byte Folded Spill
	s_wait_xcnt 0x0
	v_cmpx_ne_u16_e32 0, v2
	s_cbranch_execz .LBB232_3777
; %bb.3770:                             ;   in Loop: Header=BB232_2089 Depth=1
	v_cmp_ne_u16_e64 s4, 0x80, v2
	v_mov_b64_e32 v[2:3], 0x80000000
	scratch_store_b64 off, v[2:3], s32 offset:1732 ; 8-byte Folded Spill
	s_wait_xcnt 0x0
	s_and_saveexec_b32 s18, s4
	s_cbranch_execz .LBB232_3776
; %bb.3771:                             ;   in Loop: Header=BB232_2089 Depth=1
	v_mov_b64_e32 v[6:7], 0x7f800001
	v_bfe_u32 v2, v4, 16, 7
	s_mov_b32 s19, exec_lo
	scratch_store_b64 off, v[6:7], s32 offset:1732 ; 8-byte Folded Spill
	s_wait_xcnt 0x0
	v_cmpx_ne_u32_e32 0x7f, v2
	s_cbranch_execz .LBB232_3775
; %bb.3772:                             ;   in Loop: Header=BB232_2089 Depth=1
	scratch_load_b64 v[8:9], off, s32 offset:192 th:TH_LOAD_LU ; 8-byte Folded Reload
	s_wait_loadcnt 0x0
	v_dual_lshrrev_b32 v6, 3, v2 :: v_dual_bitop2_b32 v8, 7, v5 bitop3:0x40
	v_cmp_gt_u32_e64 s4, 8, v2
	s_delay_alu instid0(VALU_DEP_2)
	v_mov_b64_e32 v[2:3], v[8:9]
	s_wait_xcnt 0x0
	s_and_saveexec_b32 s20, s4
; %bb.3773:                             ;   in Loop: Header=BB232_2089 Depth=1
	v_clz_i32_u32_e32 v2, v8
	s_delay_alu instid0(VALU_DEP_1) | instskip(NEXT) | instid1(VALU_DEP_1)
	v_min_u32_e32 v6, 32, v2
	v_subrev_nc_u32_e32 v2, 28, v6
	v_sub_nc_u32_e32 v6, 29, v6
	s_delay_alu instid0(VALU_DEP_2) | instskip(NEXT) | instid1(VALU_DEP_1)
	v_lshlrev_b64_e32 v[2:3], v2, v[8:9]
	v_and_b32_e32 v2, 7, v2
; %bb.3774:                             ;   in Loop: Header=BB232_2089 Depth=1
	s_or_b32 exec_lo, exec_lo, s20
	s_delay_alu instid0(VALU_DEP_1) | instskip(SKIP_1) | instid1(VALU_DEP_2)
	v_dual_lshlrev_b32 v3, 24, v5 :: v_dual_lshlrev_b32 v2, 20, v2
	v_lshl_add_u32 v5, v6, 23, 0x3c000000
	v_and_b32_e32 v3, 0x80000000, v3
	s_delay_alu instid0(VALU_DEP_1)
	v_or3_b32 v8, v2, v3, v5
	v_mov_b32_e32 v3, v9
	s_clause 0x1
	scratch_store_b64 off, v[2:3], s32 offset:192
	scratch_store_b64 off, v[8:9], s32 offset:1732
.LBB232_3775:                           ;   in Loop: Header=BB232_2089 Depth=1
	s_wait_xcnt 0x0
	s_or_b32 exec_lo, exec_lo, s19
.LBB232_3776:                           ;   in Loop: Header=BB232_2089 Depth=1
	s_delay_alu instid0(SALU_CYCLE_1)
	s_or_b32 exec_lo, exec_lo, s18
.LBB232_3777:                           ;   in Loop: Header=BB232_2089 Depth=1
	s_delay_alu instid0(SALU_CYCLE_1) | instskip(NEXT) | instid1(SALU_CYCLE_1)
	s_or_b32 exec_lo, exec_lo, s17
	s_mov_b32 s17, exec_lo
	v_cmpx_lt_u32_e32 0xffffff, v4
	s_cbranch_execz .LBB232_3785
; %bb.3778:                             ;   in Loop: Header=BB232_2089 Depth=1
	v_mov_b64_e32 v[2:3], 0x8000000000000000
	v_lshrrev_b32_e32 v5, 24, v4
	s_mov_b32 s18, exec_lo
	scratch_store_b64 off, v[2:3], s32 offset:1724 ; 8-byte Folded Spill
	s_wait_xcnt 0x0
	v_cmpx_ne_u32_e32 0x80, v5
	s_cbranch_execz .LBB232_3784
; %bb.3779:                             ;   in Loop: Header=BB232_2089 Depth=1
	v_mov_b64_e32 v[6:7], 0x7f80000100000000
	v_bfe_u32 v2, v4, 24, 7
	s_mov_b32 s19, exec_lo
	scratch_store_b64 off, v[6:7], s32 offset:1724 ; 8-byte Folded Spill
	s_wait_xcnt 0x0
	v_cmpx_ne_u32_e32 0x7f, v2
	s_cbranch_execz .LBB232_3783
; %bb.3780:                             ;   in Loop: Header=BB232_2089 Depth=1
	scratch_load_b64 v[6:7], off, s32 offset:192 th:TH_LOAD_LU ; 8-byte Folded Reload
	s_wait_loadcnt 0x0
	v_dual_lshrrev_b32 v4, 3, v2 :: v_dual_bitop2_b32 v6, 7, v5 bitop3:0x40
	v_cmp_gt_u32_e64 s4, 8, v2
	s_delay_alu instid0(VALU_DEP_2)
	v_mov_b64_e32 v[2:3], v[6:7]
	s_wait_xcnt 0x0
	s_and_saveexec_b32 s20, s4
; %bb.3781:                             ;   in Loop: Header=BB232_2089 Depth=1
	v_clz_i32_u32_e32 v2, v6
	s_delay_alu instid0(VALU_DEP_1) | instskip(NEXT) | instid1(VALU_DEP_1)
	v_min_u32_e32 v4, 32, v2
	v_subrev_nc_u32_e32 v2, 28, v4
	s_delay_alu instid0(VALU_DEP_1) | instskip(NEXT) | instid1(VALU_DEP_1)
	v_lshlrev_b64_e32 v[2:3], v2, v[6:7]
	v_dual_sub_nc_u32 v4, 29, v4 :: v_dual_bitop2_b32 v2, 7, v2 bitop3:0x40
; %bb.3782:                             ;   in Loop: Header=BB232_2089 Depth=1
	s_or_b32 exec_lo, exec_lo, s20
	s_delay_alu instid0(VALU_DEP_1) | instskip(NEXT) | instid1(VALU_DEP_2)
	v_dual_lshlrev_b32 v3, 24, v5 :: v_dual_lshlrev_b32 v2, 20, v2
	v_lshl_add_u32 v4, v4, 23, 0x3c000000
	s_delay_alu instid0(VALU_DEP_2) | instskip(NEXT) | instid1(VALU_DEP_1)
	v_and_b32_e32 v3, 0x80000000, v3
	v_or3_b32 v5, v2, v3, v4
	v_dual_mov_b32 v3, v7 :: v_dual_mov_b32 v4, v7
	s_clause 0x1
	scratch_store_b64 off, v[2:3], s32 offset:192
	scratch_store_b64 off, v[4:5], s32 offset:1724
.LBB232_3783:                           ;   in Loop: Header=BB232_2089 Depth=1
	s_wait_xcnt 0x0
	s_or_b32 exec_lo, exec_lo, s19
.LBB232_3784:                           ;   in Loop: Header=BB232_2089 Depth=1
	s_delay_alu instid0(SALU_CYCLE_1)
	s_or_b32 exec_lo, exec_lo, s18
.LBB232_3785:                           ;   in Loop: Header=BB232_2089 Depth=1
	s_delay_alu instid0(SALU_CYCLE_1)
	s_or_b32 exec_lo, exec_lo, s17
	flat_load_b32 v4, v[0:1] offset:6784
	v_mov_b64_e32 v[12:13], 0
	v_mov_b64_e32 v[6:7], 0
	s_mov_b32 s17, exec_lo
	scratch_store_b64 off, v[6:7], s32 offset:1756 ; 8-byte Folded Spill
	s_wait_loadcnt_dscnt 0x0
	v_and_b32_e32 v2, 0xff, v4
	s_wait_xcnt 0x0
	s_delay_alu instid0(VALU_DEP_1)
	v_cmpx_ne_u16_e32 0, v2
	s_cbranch_execz .LBB232_3793
; %bb.3786:                             ;   in Loop: Header=BB232_2089 Depth=1
	v_cmp_ne_u16_e64 s4, 0x80, v2
	v_mov_b64_e32 v[2:3], 0x80000000
	scratch_store_b64 off, v[2:3], s32 offset:1756 ; 8-byte Folded Spill
	s_wait_xcnt 0x0
	s_and_saveexec_b32 s18, s4
	s_cbranch_execz .LBB232_3792
; %bb.3787:                             ;   in Loop: Header=BB232_2089 Depth=1
	v_mov_b64_e32 v[6:7], 0x7f800001
	v_and_b32_e32 v2, 0x7f, v4
	s_mov_b32 s19, exec_lo
	scratch_store_b64 off, v[6:7], s32 offset:1756 ; 8-byte Folded Spill
	s_wait_xcnt 0x0
	v_cmpx_ne_u32_e32 0x7f, v2
	s_cbranch_execz .LBB232_3791
; %bb.3788:                             ;   in Loop: Header=BB232_2089 Depth=1
	scratch_load_b64 v[6:7], off, s32 offset:192 th:TH_LOAD_LU ; 8-byte Folded Reload
	s_wait_loadcnt 0x0
	v_dual_lshrrev_b32 v5, 3, v2 :: v_dual_bitop2_b32 v6, 7, v4 bitop3:0x40
	v_cmp_gt_u32_e64 s4, 8, v2
	s_delay_alu instid0(VALU_DEP_2)
	v_mov_b64_e32 v[2:3], v[6:7]
	s_wait_xcnt 0x0
	s_and_saveexec_b32 s20, s4
; %bb.3789:                             ;   in Loop: Header=BB232_2089 Depth=1
	v_clz_i32_u32_e32 v2, v6
	s_delay_alu instid0(VALU_DEP_1) | instskip(NEXT) | instid1(VALU_DEP_1)
	v_min_u32_e32 v5, 32, v2
	v_subrev_nc_u32_e32 v2, 28, v5
	s_delay_alu instid0(VALU_DEP_1) | instskip(NEXT) | instid1(VALU_DEP_1)
	v_lshlrev_b64_e32 v[2:3], v2, v[6:7]
	v_dual_sub_nc_u32 v5, 29, v5 :: v_dual_bitop2_b32 v2, 7, v2 bitop3:0x40
; %bb.3790:                             ;   in Loop: Header=BB232_2089 Depth=1
	s_or_b32 exec_lo, exec_lo, s20
	s_delay_alu instid0(VALU_DEP_1) | instskip(NEXT) | instid1(VALU_DEP_2)
	v_dual_lshlrev_b32 v3, 24, v4 :: v_dual_lshlrev_b32 v2, 20, v2
	v_lshl_add_u32 v5, v5, 23, 0x3c000000
	s_delay_alu instid0(VALU_DEP_2) | instskip(NEXT) | instid1(VALU_DEP_1)
	v_and_b32_e32 v3, 0x80000000, v3
	v_or3_b32 v6, v2, v3, v5
	v_mov_b32_e32 v3, v7
	s_clause 0x1
	scratch_store_b64 off, v[2:3], s32 offset:192
	scratch_store_b64 off, v[6:7], s32 offset:1756
.LBB232_3791:                           ;   in Loop: Header=BB232_2089 Depth=1
	s_wait_xcnt 0x0
	s_or_b32 exec_lo, exec_lo, s19
.LBB232_3792:                           ;   in Loop: Header=BB232_2089 Depth=1
	s_delay_alu instid0(SALU_CYCLE_1)
	s_or_b32 exec_lo, exec_lo, s18
.LBB232_3793:                           ;   in Loop: Header=BB232_2089 Depth=1
	s_delay_alu instid0(SALU_CYCLE_1) | instskip(SKIP_2) | instid1(VALU_DEP_1)
	s_or_b32 exec_lo, exec_lo, s17
	v_lshrrev_b16 v2, 8, v4
	s_mov_b32 s17, exec_lo
	v_cmpx_ne_u16_e32 0, v2
	s_cbranch_execz .LBB232_3801
; %bb.3794:                             ;   in Loop: Header=BB232_2089 Depth=1
	v_mov_b64_e32 v[12:13], 0x8000000000000000
	s_mov_b32 s18, exec_lo
	v_cmpx_ne_u16_e32 0x80, v2
	s_cbranch_execz .LBB232_3800
; %bb.3795:                             ;   in Loop: Header=BB232_2089 Depth=1
	v_and_b32_e32 v3, 0xffff, v2
	v_mov_b64_e32 v[12:13], 0x7f80000100000000
	s_mov_b32 s19, exec_lo
	s_delay_alu instid0(VALU_DEP_2) | instskip(NEXT) | instid1(VALU_DEP_1)
	v_and_b32_e32 v2, 0x7f, v3
	v_cmpx_ne_u32_e32 0x7f, v2
	s_cbranch_execz .LBB232_3799
; %bb.3796:                             ;   in Loop: Header=BB232_2089 Depth=1
	scratch_load_b64 v[6:7], off, s32 offset:192 th:TH_LOAD_LU ; 8-byte Folded Reload
	s_wait_loadcnt 0x0
	v_dual_lshrrev_b32 v5, 3, v2 :: v_dual_bitop2_b32 v6, 7, v3 bitop3:0x40
	v_cmp_gt_u32_e64 s4, 8, v2
	s_delay_alu instid0(VALU_DEP_2)
	v_mov_b64_e32 v[2:3], v[6:7]
	s_wait_xcnt 0x0
	s_and_saveexec_b32 s20, s4
; %bb.3797:                             ;   in Loop: Header=BB232_2089 Depth=1
	v_clz_i32_u32_e32 v2, v6
	s_delay_alu instid0(VALU_DEP_1) | instskip(NEXT) | instid1(VALU_DEP_1)
	v_min_u32_e32 v5, 32, v2
	v_subrev_nc_u32_e32 v2, 28, v5
	s_delay_alu instid0(VALU_DEP_1) | instskip(NEXT) | instid1(VALU_DEP_1)
	v_lshlrev_b64_e32 v[2:3], v2, v[6:7]
	v_dual_sub_nc_u32 v5, 29, v5 :: v_dual_bitop2_b32 v2, 7, v2 bitop3:0x40
; %bb.3798:                             ;   in Loop: Header=BB232_2089 Depth=1
	s_or_b32 exec_lo, exec_lo, s20
	s_delay_alu instid0(VALU_DEP_1) | instskip(NEXT) | instid1(VALU_DEP_2)
	v_dual_lshlrev_b32 v3, 16, v4 :: v_dual_lshlrev_b32 v2, 20, v2
	v_lshl_add_u32 v5, v5, 23, 0x3c000000
	v_mov_b32_e32 v12, v7
	s_delay_alu instid0(VALU_DEP_3) | instskip(NEXT) | instid1(VALU_DEP_1)
	v_and_b32_e32 v3, 0x80000000, v3
	v_or3_b32 v13, v2, v3, v5
	v_mov_b32_e32 v3, v7
	scratch_store_b64 off, v[2:3], s32 offset:192 ; 8-byte Folded Spill
.LBB232_3799:                           ;   in Loop: Header=BB232_2089 Depth=1
	s_wait_xcnt 0x0
	s_or_b32 exec_lo, exec_lo, s19
.LBB232_3800:                           ;   in Loop: Header=BB232_2089 Depth=1
	s_delay_alu instid0(SALU_CYCLE_1)
	s_or_b32 exec_lo, exec_lo, s18
.LBB232_3801:                           ;   in Loop: Header=BB232_2089 Depth=1
	s_delay_alu instid0(SALU_CYCLE_1) | instskip(SKIP_3) | instid1(VALU_DEP_1)
	s_or_b32 exec_lo, exec_lo, s17
	v_mov_b64_e32 v[6:7], 0
	v_lshrrev_b32_e32 v5, 16, v4
	s_mov_b32 s17, exec_lo
	v_and_b32_e32 v2, 0xff, v5
	scratch_store_b64 off, v[6:7], s32 offset:1796 ; 8-byte Folded Spill
	s_wait_xcnt 0x0
	v_mov_b64_e32 v[6:7], 0
	scratch_store_b64 off, v[6:7], s32 offset:1804 ; 8-byte Folded Spill
	s_wait_xcnt 0x0
	v_cmpx_ne_u16_e32 0, v2
	s_cbranch_execz .LBB232_3809
; %bb.3802:                             ;   in Loop: Header=BB232_2089 Depth=1
	v_cmp_ne_u16_e64 s4, 0x80, v2
	v_mov_b64_e32 v[2:3], 0x80000000
	scratch_store_b64 off, v[2:3], s32 offset:1804 ; 8-byte Folded Spill
	s_wait_xcnt 0x0
	s_and_saveexec_b32 s18, s4
	s_cbranch_execz .LBB232_3808
; %bb.3803:                             ;   in Loop: Header=BB232_2089 Depth=1
	v_mov_b64_e32 v[6:7], 0x7f800001
	v_bfe_u32 v2, v4, 16, 7
	s_mov_b32 s19, exec_lo
	scratch_store_b64 off, v[6:7], s32 offset:1804 ; 8-byte Folded Spill
	s_wait_xcnt 0x0
	v_cmpx_ne_u32_e32 0x7f, v2
	s_cbranch_execz .LBB232_3807
; %bb.3804:                             ;   in Loop: Header=BB232_2089 Depth=1
	scratch_load_b64 v[8:9], off, s32 offset:192 th:TH_LOAD_LU ; 8-byte Folded Reload
	s_wait_loadcnt 0x0
	v_dual_lshrrev_b32 v6, 3, v2 :: v_dual_bitop2_b32 v8, 7, v5 bitop3:0x40
	v_cmp_gt_u32_e64 s4, 8, v2
	s_delay_alu instid0(VALU_DEP_2)
	v_mov_b64_e32 v[2:3], v[8:9]
	s_wait_xcnt 0x0
	s_and_saveexec_b32 s20, s4
; %bb.3805:                             ;   in Loop: Header=BB232_2089 Depth=1
	v_clz_i32_u32_e32 v2, v8
	s_delay_alu instid0(VALU_DEP_1) | instskip(NEXT) | instid1(VALU_DEP_1)
	v_min_u32_e32 v6, 32, v2
	v_subrev_nc_u32_e32 v2, 28, v6
	v_sub_nc_u32_e32 v6, 29, v6
	s_delay_alu instid0(VALU_DEP_2) | instskip(NEXT) | instid1(VALU_DEP_1)
	v_lshlrev_b64_e32 v[2:3], v2, v[8:9]
	v_and_b32_e32 v2, 7, v2
; %bb.3806:                             ;   in Loop: Header=BB232_2089 Depth=1
	s_or_b32 exec_lo, exec_lo, s20
	s_delay_alu instid0(VALU_DEP_1) | instskip(SKIP_1) | instid1(VALU_DEP_2)
	v_dual_lshlrev_b32 v3, 24, v5 :: v_dual_lshlrev_b32 v2, 20, v2
	v_lshl_add_u32 v5, v6, 23, 0x3c000000
	v_and_b32_e32 v3, 0x80000000, v3
	s_delay_alu instid0(VALU_DEP_1)
	v_or3_b32 v8, v2, v3, v5
	v_mov_b32_e32 v3, v9
	s_clause 0x1
	scratch_store_b64 off, v[2:3], s32 offset:192
	scratch_store_b64 off, v[8:9], s32 offset:1804
.LBB232_3807:                           ;   in Loop: Header=BB232_2089 Depth=1
	s_wait_xcnt 0x0
	s_or_b32 exec_lo, exec_lo, s19
.LBB232_3808:                           ;   in Loop: Header=BB232_2089 Depth=1
	s_delay_alu instid0(SALU_CYCLE_1)
	s_or_b32 exec_lo, exec_lo, s18
.LBB232_3809:                           ;   in Loop: Header=BB232_2089 Depth=1
	s_delay_alu instid0(SALU_CYCLE_1) | instskip(NEXT) | instid1(SALU_CYCLE_1)
	s_or_b32 exec_lo, exec_lo, s17
	s_mov_b32 s17, exec_lo
	v_cmpx_lt_u32_e32 0xffffff, v4
	s_cbranch_execz .LBB232_3817
; %bb.3810:                             ;   in Loop: Header=BB232_2089 Depth=1
	v_mov_b64_e32 v[2:3], 0x8000000000000000
	v_lshrrev_b32_e32 v5, 24, v4
	s_mov_b32 s18, exec_lo
	scratch_store_b64 off, v[2:3], s32 offset:1796 ; 8-byte Folded Spill
	s_wait_xcnt 0x0
	v_cmpx_ne_u32_e32 0x80, v5
	s_cbranch_execz .LBB232_3816
; %bb.3811:                             ;   in Loop: Header=BB232_2089 Depth=1
	v_mov_b64_e32 v[6:7], 0x7f80000100000000
	v_bfe_u32 v2, v4, 24, 7
	s_mov_b32 s19, exec_lo
	scratch_store_b64 off, v[6:7], s32 offset:1796 ; 8-byte Folded Spill
	s_wait_xcnt 0x0
	v_cmpx_ne_u32_e32 0x7f, v2
	s_cbranch_execz .LBB232_3815
; %bb.3812:                             ;   in Loop: Header=BB232_2089 Depth=1
	scratch_load_b64 v[6:7], off, s32 offset:192 th:TH_LOAD_LU ; 8-byte Folded Reload
	s_wait_loadcnt 0x0
	v_dual_lshrrev_b32 v4, 3, v2 :: v_dual_bitop2_b32 v6, 7, v5 bitop3:0x40
	v_cmp_gt_u32_e64 s4, 8, v2
	s_delay_alu instid0(VALU_DEP_2)
	v_mov_b64_e32 v[2:3], v[6:7]
	s_wait_xcnt 0x0
	s_and_saveexec_b32 s20, s4
; %bb.3813:                             ;   in Loop: Header=BB232_2089 Depth=1
	v_clz_i32_u32_e32 v2, v6
	s_delay_alu instid0(VALU_DEP_1) | instskip(NEXT) | instid1(VALU_DEP_1)
	v_min_u32_e32 v4, 32, v2
	v_subrev_nc_u32_e32 v2, 28, v4
	s_delay_alu instid0(VALU_DEP_1) | instskip(NEXT) | instid1(VALU_DEP_1)
	v_lshlrev_b64_e32 v[2:3], v2, v[6:7]
	v_dual_sub_nc_u32 v4, 29, v4 :: v_dual_bitop2_b32 v2, 7, v2 bitop3:0x40
; %bb.3814:                             ;   in Loop: Header=BB232_2089 Depth=1
	s_or_b32 exec_lo, exec_lo, s20
	s_delay_alu instid0(VALU_DEP_1) | instskip(NEXT) | instid1(VALU_DEP_2)
	v_dual_lshlrev_b32 v3, 24, v5 :: v_dual_lshlrev_b32 v2, 20, v2
	v_lshl_add_u32 v4, v4, 23, 0x3c000000
	s_delay_alu instid0(VALU_DEP_2) | instskip(NEXT) | instid1(VALU_DEP_1)
	v_and_b32_e32 v3, 0x80000000, v3
	v_or3_b32 v5, v2, v3, v4
	v_dual_mov_b32 v3, v7 :: v_dual_mov_b32 v4, v7
	s_clause 0x1
	scratch_store_b64 off, v[2:3], s32 offset:192
	scratch_store_b64 off, v[4:5], s32 offset:1796
.LBB232_3815:                           ;   in Loop: Header=BB232_2089 Depth=1
	s_wait_xcnt 0x0
	s_or_b32 exec_lo, exec_lo, s19
.LBB232_3816:                           ;   in Loop: Header=BB232_2089 Depth=1
	s_delay_alu instid0(SALU_CYCLE_1)
	s_or_b32 exec_lo, exec_lo, s18
.LBB232_3817:                           ;   in Loop: Header=BB232_2089 Depth=1
	s_delay_alu instid0(SALU_CYCLE_1)
	s_or_b32 exec_lo, exec_lo, s17
	flat_load_b32 v4, v[0:1] offset:6912
	v_mov_b64_e32 v[6:7], 0
	s_mov_b32 s17, exec_lo
	scratch_store_b64 off, v[6:7], s32 offset:1828 ; 8-byte Folded Spill
	s_wait_xcnt 0x0
	v_mov_b64_e32 v[6:7], 0
	scratch_store_b64 off, v[6:7], s32 offset:1836 ; 8-byte Folded Spill
	s_wait_loadcnt_dscnt 0x0
	v_and_b32_e32 v2, 0xff, v4
	s_wait_xcnt 0x0
	s_delay_alu instid0(VALU_DEP_1)
	v_cmpx_ne_u16_e32 0, v2
	s_cbranch_execz .LBB232_3825
; %bb.3818:                             ;   in Loop: Header=BB232_2089 Depth=1
	v_cmp_ne_u16_e64 s4, 0x80, v2
	v_mov_b64_e32 v[2:3], 0x80000000
	scratch_store_b64 off, v[2:3], s32 offset:1836 ; 8-byte Folded Spill
	s_wait_xcnt 0x0
	s_and_saveexec_b32 s18, s4
	s_cbranch_execz .LBB232_3824
; %bb.3819:                             ;   in Loop: Header=BB232_2089 Depth=1
	v_mov_b64_e32 v[6:7], 0x7f800001
	v_and_b32_e32 v2, 0x7f, v4
	s_mov_b32 s19, exec_lo
	scratch_store_b64 off, v[6:7], s32 offset:1836 ; 8-byte Folded Spill
	s_wait_xcnt 0x0
	v_cmpx_ne_u32_e32 0x7f, v2
	s_cbranch_execz .LBB232_3823
; %bb.3820:                             ;   in Loop: Header=BB232_2089 Depth=1
	scratch_load_b64 v[6:7], off, s32 offset:192 th:TH_LOAD_LU ; 8-byte Folded Reload
	s_wait_loadcnt 0x0
	v_dual_lshrrev_b32 v5, 3, v2 :: v_dual_bitop2_b32 v6, 7, v4 bitop3:0x40
	v_cmp_gt_u32_e64 s4, 8, v2
	s_delay_alu instid0(VALU_DEP_2)
	v_mov_b64_e32 v[2:3], v[6:7]
	s_wait_xcnt 0x0
	s_and_saveexec_b32 s20, s4
; %bb.3821:                             ;   in Loop: Header=BB232_2089 Depth=1
	v_clz_i32_u32_e32 v2, v6
	s_delay_alu instid0(VALU_DEP_1) | instskip(NEXT) | instid1(VALU_DEP_1)
	v_min_u32_e32 v5, 32, v2
	v_subrev_nc_u32_e32 v2, 28, v5
	s_delay_alu instid0(VALU_DEP_1) | instskip(NEXT) | instid1(VALU_DEP_1)
	v_lshlrev_b64_e32 v[2:3], v2, v[6:7]
	v_dual_sub_nc_u32 v5, 29, v5 :: v_dual_bitop2_b32 v2, 7, v2 bitop3:0x40
; %bb.3822:                             ;   in Loop: Header=BB232_2089 Depth=1
	s_or_b32 exec_lo, exec_lo, s20
	s_delay_alu instid0(VALU_DEP_1) | instskip(NEXT) | instid1(VALU_DEP_2)
	v_dual_lshlrev_b32 v3, 24, v4 :: v_dual_lshlrev_b32 v2, 20, v2
	v_lshl_add_u32 v5, v5, 23, 0x3c000000
	s_delay_alu instid0(VALU_DEP_2) | instskip(NEXT) | instid1(VALU_DEP_1)
	v_and_b32_e32 v3, 0x80000000, v3
	v_or3_b32 v6, v2, v3, v5
	v_mov_b32_e32 v3, v7
	s_clause 0x1
	scratch_store_b64 off, v[2:3], s32 offset:192
	scratch_store_b64 off, v[6:7], s32 offset:1836
.LBB232_3823:                           ;   in Loop: Header=BB232_2089 Depth=1
	s_wait_xcnt 0x0
	s_or_b32 exec_lo, exec_lo, s19
.LBB232_3824:                           ;   in Loop: Header=BB232_2089 Depth=1
	s_delay_alu instid0(SALU_CYCLE_1)
	s_or_b32 exec_lo, exec_lo, s18
.LBB232_3825:                           ;   in Loop: Header=BB232_2089 Depth=1
	s_delay_alu instid0(SALU_CYCLE_1) | instskip(SKIP_2) | instid1(VALU_DEP_1)
	s_or_b32 exec_lo, exec_lo, s17
	v_lshrrev_b16 v2, 8, v4
	s_mov_b32 s17, exec_lo
	v_cmpx_ne_u16_e32 0, v2
	s_cbranch_execz .LBB232_3833
; %bb.3826:                             ;   in Loop: Header=BB232_2089 Depth=1
	v_mov_b64_e32 v[6:7], 0x8000000000000000
	s_mov_b32 s18, exec_lo
	scratch_store_b64 off, v[6:7], s32 offset:1828 ; 8-byte Folded Spill
	s_wait_xcnt 0x0
	v_cmpx_ne_u16_e32 0x80, v2
	s_cbranch_execz .LBB232_3832
; %bb.3827:                             ;   in Loop: Header=BB232_2089 Depth=1
	v_and_b32_e32 v3, 0xffff, v2
	v_mov_b64_e32 v[6:7], 0x7f80000100000000
	s_mov_b32 s19, exec_lo
	s_delay_alu instid0(VALU_DEP_2)
	v_and_b32_e32 v2, 0x7f, v3
	scratch_store_b64 off, v[6:7], s32 offset:1828 ; 8-byte Folded Spill
	s_wait_xcnt 0x0
	v_cmpx_ne_u32_e32 0x7f, v2
	s_cbranch_execz .LBB232_3831
; %bb.3828:                             ;   in Loop: Header=BB232_2089 Depth=1
	scratch_load_b64 v[6:7], off, s32 offset:192 th:TH_LOAD_LU ; 8-byte Folded Reload
	s_wait_loadcnt 0x0
	v_dual_lshrrev_b32 v5, 3, v2 :: v_dual_bitop2_b32 v6, 7, v3 bitop3:0x40
	v_cmp_gt_u32_e64 s4, 8, v2
	s_delay_alu instid0(VALU_DEP_2)
	v_mov_b64_e32 v[2:3], v[6:7]
	s_wait_xcnt 0x0
	s_and_saveexec_b32 s20, s4
; %bb.3829:                             ;   in Loop: Header=BB232_2089 Depth=1
	v_clz_i32_u32_e32 v2, v6
	s_delay_alu instid0(VALU_DEP_1) | instskip(NEXT) | instid1(VALU_DEP_1)
	v_min_u32_e32 v5, 32, v2
	v_subrev_nc_u32_e32 v2, 28, v5
	s_delay_alu instid0(VALU_DEP_1) | instskip(NEXT) | instid1(VALU_DEP_1)
	v_lshlrev_b64_e32 v[2:3], v2, v[6:7]
	v_dual_sub_nc_u32 v5, 29, v5 :: v_dual_bitop2_b32 v2, 7, v2 bitop3:0x40
; %bb.3830:                             ;   in Loop: Header=BB232_2089 Depth=1
	s_or_b32 exec_lo, exec_lo, s20
	s_delay_alu instid0(VALU_DEP_1) | instskip(NEXT) | instid1(VALU_DEP_2)
	v_dual_lshlrev_b32 v3, 16, v4 :: v_dual_lshlrev_b32 v2, 20, v2
	v_lshl_add_u32 v5, v5, 23, 0x3c000000
	v_mov_b32_e32 v8, v7
	s_delay_alu instid0(VALU_DEP_3) | instskip(NEXT) | instid1(VALU_DEP_1)
	v_and_b32_e32 v3, 0x80000000, v3
	v_or3_b32 v9, v2, v3, v5
	v_mov_b32_e32 v3, v7
	s_clause 0x1
	scratch_store_b64 off, v[8:9], s32 offset:1828
	scratch_store_b64 off, v[2:3], s32 offset:192
.LBB232_3831:                           ;   in Loop: Header=BB232_2089 Depth=1
	s_wait_xcnt 0x0
	s_or_b32 exec_lo, exec_lo, s19
.LBB232_3832:                           ;   in Loop: Header=BB232_2089 Depth=1
	s_delay_alu instid0(SALU_CYCLE_1)
	s_or_b32 exec_lo, exec_lo, s18
.LBB232_3833:                           ;   in Loop: Header=BB232_2089 Depth=1
	s_delay_alu instid0(SALU_CYCLE_1) | instskip(SKIP_3) | instid1(VALU_DEP_1)
	s_or_b32 exec_lo, exec_lo, s17
	v_mov_b64_e32 v[6:7], 0
	v_lshrrev_b32_e32 v5, 16, v4
	s_mov_b32 s17, exec_lo
	v_and_b32_e32 v2, 0xff, v5
	scratch_store_b64 off, v[6:7], s32 offset:1852 ; 8-byte Folded Spill
	s_wait_xcnt 0x0
	v_mov_b64_e32 v[6:7], 0
	scratch_store_b64 off, v[6:7], s32 offset:1860 ; 8-byte Folded Spill
	s_wait_xcnt 0x0
	v_cmpx_ne_u16_e32 0, v2
	s_cbranch_execz .LBB232_3841
; %bb.3834:                             ;   in Loop: Header=BB232_2089 Depth=1
	v_cmp_ne_u16_e64 s4, 0x80, v2
	v_mov_b64_e32 v[2:3], 0x80000000
	scratch_store_b64 off, v[2:3], s32 offset:1860 ; 8-byte Folded Spill
	s_wait_xcnt 0x0
	s_and_saveexec_b32 s18, s4
	s_cbranch_execz .LBB232_3840
; %bb.3835:                             ;   in Loop: Header=BB232_2089 Depth=1
	v_mov_b64_e32 v[6:7], 0x7f800001
	v_bfe_u32 v2, v4, 16, 7
	s_mov_b32 s19, exec_lo
	scratch_store_b64 off, v[6:7], s32 offset:1860 ; 8-byte Folded Spill
	s_wait_xcnt 0x0
	v_cmpx_ne_u32_e32 0x7f, v2
	s_cbranch_execz .LBB232_3839
; %bb.3836:                             ;   in Loop: Header=BB232_2089 Depth=1
	scratch_load_b64 v[8:9], off, s32 offset:192 th:TH_LOAD_LU ; 8-byte Folded Reload
	s_wait_loadcnt 0x0
	v_dual_lshrrev_b32 v6, 3, v2 :: v_dual_bitop2_b32 v8, 7, v5 bitop3:0x40
	v_cmp_gt_u32_e64 s4, 8, v2
	s_delay_alu instid0(VALU_DEP_2)
	v_mov_b64_e32 v[2:3], v[8:9]
	s_wait_xcnt 0x0
	s_and_saveexec_b32 s20, s4
; %bb.3837:                             ;   in Loop: Header=BB232_2089 Depth=1
	v_clz_i32_u32_e32 v2, v8
	s_delay_alu instid0(VALU_DEP_1) | instskip(NEXT) | instid1(VALU_DEP_1)
	v_min_u32_e32 v6, 32, v2
	v_subrev_nc_u32_e32 v2, 28, v6
	v_sub_nc_u32_e32 v6, 29, v6
	s_delay_alu instid0(VALU_DEP_2) | instskip(NEXT) | instid1(VALU_DEP_1)
	v_lshlrev_b64_e32 v[2:3], v2, v[8:9]
	v_and_b32_e32 v2, 7, v2
; %bb.3838:                             ;   in Loop: Header=BB232_2089 Depth=1
	s_or_b32 exec_lo, exec_lo, s20
	s_delay_alu instid0(VALU_DEP_1) | instskip(SKIP_1) | instid1(VALU_DEP_2)
	v_dual_lshlrev_b32 v3, 24, v5 :: v_dual_lshlrev_b32 v2, 20, v2
	v_lshl_add_u32 v5, v6, 23, 0x3c000000
	v_and_b32_e32 v3, 0x80000000, v3
	s_delay_alu instid0(VALU_DEP_1)
	v_or3_b32 v8, v2, v3, v5
	v_mov_b32_e32 v3, v9
	s_clause 0x1
	scratch_store_b64 off, v[2:3], s32 offset:192
	scratch_store_b64 off, v[8:9], s32 offset:1860
.LBB232_3839:                           ;   in Loop: Header=BB232_2089 Depth=1
	s_wait_xcnt 0x0
	s_or_b32 exec_lo, exec_lo, s19
.LBB232_3840:                           ;   in Loop: Header=BB232_2089 Depth=1
	s_delay_alu instid0(SALU_CYCLE_1)
	s_or_b32 exec_lo, exec_lo, s18
.LBB232_3841:                           ;   in Loop: Header=BB232_2089 Depth=1
	s_delay_alu instid0(SALU_CYCLE_1) | instskip(NEXT) | instid1(SALU_CYCLE_1)
	s_or_b32 exec_lo, exec_lo, s17
	s_mov_b32 s17, exec_lo
	v_cmpx_lt_u32_e32 0xffffff, v4
	s_cbranch_execz .LBB232_3849
; %bb.3842:                             ;   in Loop: Header=BB232_2089 Depth=1
	v_mov_b64_e32 v[2:3], 0x8000000000000000
	v_lshrrev_b32_e32 v5, 24, v4
	s_mov_b32 s18, exec_lo
	scratch_store_b64 off, v[2:3], s32 offset:1852 ; 8-byte Folded Spill
	s_wait_xcnt 0x0
	v_cmpx_ne_u32_e32 0x80, v5
	s_cbranch_execz .LBB232_3848
; %bb.3843:                             ;   in Loop: Header=BB232_2089 Depth=1
	v_mov_b64_e32 v[6:7], 0x7f80000100000000
	v_bfe_u32 v2, v4, 24, 7
	s_mov_b32 s19, exec_lo
	scratch_store_b64 off, v[6:7], s32 offset:1852 ; 8-byte Folded Spill
	s_wait_xcnt 0x0
	v_cmpx_ne_u32_e32 0x7f, v2
	s_cbranch_execz .LBB232_3847
; %bb.3844:                             ;   in Loop: Header=BB232_2089 Depth=1
	scratch_load_b64 v[6:7], off, s32 offset:192 th:TH_LOAD_LU ; 8-byte Folded Reload
	s_wait_loadcnt 0x0
	v_dual_lshrrev_b32 v4, 3, v2 :: v_dual_bitop2_b32 v6, 7, v5 bitop3:0x40
	v_cmp_gt_u32_e64 s4, 8, v2
	s_delay_alu instid0(VALU_DEP_2)
	v_mov_b64_e32 v[2:3], v[6:7]
	s_wait_xcnt 0x0
	s_and_saveexec_b32 s20, s4
; %bb.3845:                             ;   in Loop: Header=BB232_2089 Depth=1
	v_clz_i32_u32_e32 v2, v6
	s_delay_alu instid0(VALU_DEP_1) | instskip(NEXT) | instid1(VALU_DEP_1)
	v_min_u32_e32 v4, 32, v2
	v_subrev_nc_u32_e32 v2, 28, v4
	s_delay_alu instid0(VALU_DEP_1) | instskip(NEXT) | instid1(VALU_DEP_1)
	v_lshlrev_b64_e32 v[2:3], v2, v[6:7]
	v_dual_sub_nc_u32 v4, 29, v4 :: v_dual_bitop2_b32 v2, 7, v2 bitop3:0x40
; %bb.3846:                             ;   in Loop: Header=BB232_2089 Depth=1
	s_or_b32 exec_lo, exec_lo, s20
	s_delay_alu instid0(VALU_DEP_1) | instskip(NEXT) | instid1(VALU_DEP_2)
	v_dual_lshlrev_b32 v3, 24, v5 :: v_dual_lshlrev_b32 v2, 20, v2
	v_lshl_add_u32 v4, v4, 23, 0x3c000000
	s_delay_alu instid0(VALU_DEP_2) | instskip(NEXT) | instid1(VALU_DEP_1)
	v_and_b32_e32 v3, 0x80000000, v3
	v_or3_b32 v5, v2, v3, v4
	v_dual_mov_b32 v3, v7 :: v_dual_mov_b32 v4, v7
	s_clause 0x1
	scratch_store_b64 off, v[2:3], s32 offset:192
	scratch_store_b64 off, v[4:5], s32 offset:1852
.LBB232_3847:                           ;   in Loop: Header=BB232_2089 Depth=1
	s_wait_xcnt 0x0
	s_or_b32 exec_lo, exec_lo, s19
.LBB232_3848:                           ;   in Loop: Header=BB232_2089 Depth=1
	s_delay_alu instid0(SALU_CYCLE_1)
	s_or_b32 exec_lo, exec_lo, s18
.LBB232_3849:                           ;   in Loop: Header=BB232_2089 Depth=1
	s_delay_alu instid0(SALU_CYCLE_1)
	s_or_b32 exec_lo, exec_lo, s17
	flat_load_b32 v4, v[0:1] offset:7040
	v_mov_b64_e32 v[6:7], 0
	s_mov_b32 s17, exec_lo
	scratch_store_b64 off, v[6:7], s32 offset:1868 ; 8-byte Folded Spill
	s_wait_xcnt 0x0
	v_mov_b64_e32 v[6:7], 0
	scratch_store_b64 off, v[6:7], s32 offset:1876 ; 8-byte Folded Spill
	s_wait_loadcnt_dscnt 0x0
	v_and_b32_e32 v2, 0xff, v4
	s_wait_xcnt 0x0
	s_delay_alu instid0(VALU_DEP_1)
	v_cmpx_ne_u16_e32 0, v2
	s_cbranch_execz .LBB232_3857
; %bb.3850:                             ;   in Loop: Header=BB232_2089 Depth=1
	v_cmp_ne_u16_e64 s4, 0x80, v2
	v_mov_b64_e32 v[2:3], 0x80000000
	scratch_store_b64 off, v[2:3], s32 offset:1876 ; 8-byte Folded Spill
	s_wait_xcnt 0x0
	s_and_saveexec_b32 s18, s4
	s_cbranch_execz .LBB232_3856
; %bb.3851:                             ;   in Loop: Header=BB232_2089 Depth=1
	v_mov_b64_e32 v[6:7], 0x7f800001
	v_and_b32_e32 v2, 0x7f, v4
	s_mov_b32 s19, exec_lo
	scratch_store_b64 off, v[6:7], s32 offset:1876 ; 8-byte Folded Spill
	s_wait_xcnt 0x0
	v_cmpx_ne_u32_e32 0x7f, v2
	s_cbranch_execz .LBB232_3855
; %bb.3852:                             ;   in Loop: Header=BB232_2089 Depth=1
	scratch_load_b64 v[6:7], off, s32 offset:192 th:TH_LOAD_LU ; 8-byte Folded Reload
	s_wait_loadcnt 0x0
	v_dual_lshrrev_b32 v5, 3, v2 :: v_dual_bitop2_b32 v6, 7, v4 bitop3:0x40
	v_cmp_gt_u32_e64 s4, 8, v2
	s_delay_alu instid0(VALU_DEP_2)
	v_mov_b64_e32 v[2:3], v[6:7]
	s_wait_xcnt 0x0
	s_and_saveexec_b32 s20, s4
; %bb.3853:                             ;   in Loop: Header=BB232_2089 Depth=1
	v_clz_i32_u32_e32 v2, v6
	s_delay_alu instid0(VALU_DEP_1) | instskip(NEXT) | instid1(VALU_DEP_1)
	v_min_u32_e32 v5, 32, v2
	v_subrev_nc_u32_e32 v2, 28, v5
	s_delay_alu instid0(VALU_DEP_1) | instskip(NEXT) | instid1(VALU_DEP_1)
	v_lshlrev_b64_e32 v[2:3], v2, v[6:7]
	v_dual_sub_nc_u32 v5, 29, v5 :: v_dual_bitop2_b32 v2, 7, v2 bitop3:0x40
; %bb.3854:                             ;   in Loop: Header=BB232_2089 Depth=1
	s_or_b32 exec_lo, exec_lo, s20
	s_delay_alu instid0(VALU_DEP_1) | instskip(NEXT) | instid1(VALU_DEP_2)
	v_dual_lshlrev_b32 v3, 24, v4 :: v_dual_lshlrev_b32 v2, 20, v2
	v_lshl_add_u32 v5, v5, 23, 0x3c000000
	s_delay_alu instid0(VALU_DEP_2) | instskip(NEXT) | instid1(VALU_DEP_1)
	v_and_b32_e32 v3, 0x80000000, v3
	v_or3_b32 v6, v2, v3, v5
	v_mov_b32_e32 v3, v7
	s_clause 0x1
	scratch_store_b64 off, v[2:3], s32 offset:192
	scratch_store_b64 off, v[6:7], s32 offset:1876
.LBB232_3855:                           ;   in Loop: Header=BB232_2089 Depth=1
	s_wait_xcnt 0x0
	s_or_b32 exec_lo, exec_lo, s19
.LBB232_3856:                           ;   in Loop: Header=BB232_2089 Depth=1
	s_delay_alu instid0(SALU_CYCLE_1)
	s_or_b32 exec_lo, exec_lo, s18
.LBB232_3857:                           ;   in Loop: Header=BB232_2089 Depth=1
	s_delay_alu instid0(SALU_CYCLE_1) | instskip(SKIP_2) | instid1(VALU_DEP_1)
	s_or_b32 exec_lo, exec_lo, s17
	v_lshrrev_b16 v2, 8, v4
	s_mov_b32 s17, exec_lo
	v_cmpx_ne_u16_e32 0, v2
	s_cbranch_execz .LBB232_3865
; %bb.3858:                             ;   in Loop: Header=BB232_2089 Depth=1
	v_mov_b64_e32 v[6:7], 0x8000000000000000
	s_mov_b32 s18, exec_lo
	scratch_store_b64 off, v[6:7], s32 offset:1868 ; 8-byte Folded Spill
	s_wait_xcnt 0x0
	v_cmpx_ne_u16_e32 0x80, v2
	s_cbranch_execz .LBB232_3864
; %bb.3859:                             ;   in Loop: Header=BB232_2089 Depth=1
	v_and_b32_e32 v3, 0xffff, v2
	v_mov_b64_e32 v[6:7], 0x7f80000100000000
	s_mov_b32 s19, exec_lo
	s_delay_alu instid0(VALU_DEP_2)
	v_and_b32_e32 v2, 0x7f, v3
	scratch_store_b64 off, v[6:7], s32 offset:1868 ; 8-byte Folded Spill
	s_wait_xcnt 0x0
	v_cmpx_ne_u32_e32 0x7f, v2
	s_cbranch_execz .LBB232_3863
; %bb.3860:                             ;   in Loop: Header=BB232_2089 Depth=1
	scratch_load_b64 v[6:7], off, s32 offset:192 th:TH_LOAD_LU ; 8-byte Folded Reload
	s_wait_loadcnt 0x0
	v_dual_lshrrev_b32 v5, 3, v2 :: v_dual_bitop2_b32 v6, 7, v3 bitop3:0x40
	v_cmp_gt_u32_e64 s4, 8, v2
	s_delay_alu instid0(VALU_DEP_2)
	v_mov_b64_e32 v[2:3], v[6:7]
	s_wait_xcnt 0x0
	s_and_saveexec_b32 s20, s4
; %bb.3861:                             ;   in Loop: Header=BB232_2089 Depth=1
	v_clz_i32_u32_e32 v2, v6
	s_delay_alu instid0(VALU_DEP_1) | instskip(NEXT) | instid1(VALU_DEP_1)
	v_min_u32_e32 v5, 32, v2
	v_subrev_nc_u32_e32 v2, 28, v5
	s_delay_alu instid0(VALU_DEP_1) | instskip(NEXT) | instid1(VALU_DEP_1)
	v_lshlrev_b64_e32 v[2:3], v2, v[6:7]
	v_dual_sub_nc_u32 v5, 29, v5 :: v_dual_bitop2_b32 v2, 7, v2 bitop3:0x40
; %bb.3862:                             ;   in Loop: Header=BB232_2089 Depth=1
	s_or_b32 exec_lo, exec_lo, s20
	s_delay_alu instid0(VALU_DEP_1) | instskip(NEXT) | instid1(VALU_DEP_2)
	v_dual_lshlrev_b32 v3, 16, v4 :: v_dual_lshlrev_b32 v2, 20, v2
	v_lshl_add_u32 v5, v5, 23, 0x3c000000
	v_mov_b32_e32 v8, v7
	s_delay_alu instid0(VALU_DEP_3) | instskip(NEXT) | instid1(VALU_DEP_1)
	v_and_b32_e32 v3, 0x80000000, v3
	v_or3_b32 v9, v2, v3, v5
	v_mov_b32_e32 v3, v7
	s_clause 0x1
	scratch_store_b64 off, v[8:9], s32 offset:1868
	scratch_store_b64 off, v[2:3], s32 offset:192
.LBB232_3863:                           ;   in Loop: Header=BB232_2089 Depth=1
	s_wait_xcnt 0x0
	s_or_b32 exec_lo, exec_lo, s19
.LBB232_3864:                           ;   in Loop: Header=BB232_2089 Depth=1
	s_delay_alu instid0(SALU_CYCLE_1)
	s_or_b32 exec_lo, exec_lo, s18
.LBB232_3865:                           ;   in Loop: Header=BB232_2089 Depth=1
	s_delay_alu instid0(SALU_CYCLE_1) | instskip(SKIP_4) | instid1(VALU_DEP_3)
	s_or_b32 exec_lo, exec_lo, s17
	v_lshrrev_b32_e32 v5, 16, v4
	v_mov_b64_e32 v[10:11], 0
	v_mov_b64_e32 v[6:7], 0
	s_mov_b32 s17, exec_lo
	v_and_b32_e32 v2, 0xff, v5
	scratch_store_b64 off, v[6:7], s32 offset:1892 ; 8-byte Folded Spill
	s_wait_xcnt 0x0
	v_cmpx_ne_u16_e32 0, v2
	s_cbranch_execz .LBB232_3873
; %bb.3866:                             ;   in Loop: Header=BB232_2089 Depth=1
	v_cmp_ne_u16_e64 s4, 0x80, v2
	v_mov_b64_e32 v[2:3], 0x80000000
	scratch_store_b64 off, v[2:3], s32 offset:1892 ; 8-byte Folded Spill
	s_wait_xcnt 0x0
	s_and_saveexec_b32 s18, s4
	s_cbranch_execz .LBB232_3872
; %bb.3867:                             ;   in Loop: Header=BB232_2089 Depth=1
	v_mov_b64_e32 v[6:7], 0x7f800001
	v_bfe_u32 v2, v4, 16, 7
	s_mov_b32 s19, exec_lo
	scratch_store_b64 off, v[6:7], s32 offset:1892 ; 8-byte Folded Spill
	s_wait_xcnt 0x0
	v_cmpx_ne_u32_e32 0x7f, v2
	s_cbranch_execz .LBB232_3871
; %bb.3868:                             ;   in Loop: Header=BB232_2089 Depth=1
	scratch_load_b64 v[8:9], off, s32 offset:192 th:TH_LOAD_LU ; 8-byte Folded Reload
	s_wait_loadcnt 0x0
	v_dual_lshrrev_b32 v6, 3, v2 :: v_dual_bitop2_b32 v8, 7, v5 bitop3:0x40
	v_cmp_gt_u32_e64 s4, 8, v2
	s_delay_alu instid0(VALU_DEP_2)
	v_mov_b64_e32 v[2:3], v[8:9]
	s_wait_xcnt 0x0
	s_and_saveexec_b32 s20, s4
; %bb.3869:                             ;   in Loop: Header=BB232_2089 Depth=1
	v_clz_i32_u32_e32 v2, v8
	s_delay_alu instid0(VALU_DEP_1) | instskip(NEXT) | instid1(VALU_DEP_1)
	v_min_u32_e32 v6, 32, v2
	v_subrev_nc_u32_e32 v2, 28, v6
	v_sub_nc_u32_e32 v6, 29, v6
	s_delay_alu instid0(VALU_DEP_2) | instskip(NEXT) | instid1(VALU_DEP_1)
	v_lshlrev_b64_e32 v[2:3], v2, v[8:9]
	v_and_b32_e32 v2, 7, v2
; %bb.3870:                             ;   in Loop: Header=BB232_2089 Depth=1
	s_or_b32 exec_lo, exec_lo, s20
	s_delay_alu instid0(VALU_DEP_1) | instskip(SKIP_1) | instid1(VALU_DEP_2)
	v_dual_lshlrev_b32 v3, 24, v5 :: v_dual_lshlrev_b32 v2, 20, v2
	v_lshl_add_u32 v5, v6, 23, 0x3c000000
	v_and_b32_e32 v3, 0x80000000, v3
	s_delay_alu instid0(VALU_DEP_1)
	v_or3_b32 v8, v2, v3, v5
	v_mov_b32_e32 v3, v9
	s_clause 0x1
	scratch_store_b64 off, v[2:3], s32 offset:192
	scratch_store_b64 off, v[8:9], s32 offset:1892
.LBB232_3871:                           ;   in Loop: Header=BB232_2089 Depth=1
	s_wait_xcnt 0x0
	s_or_b32 exec_lo, exec_lo, s19
.LBB232_3872:                           ;   in Loop: Header=BB232_2089 Depth=1
	s_delay_alu instid0(SALU_CYCLE_1)
	s_or_b32 exec_lo, exec_lo, s18
.LBB232_3873:                           ;   in Loop: Header=BB232_2089 Depth=1
	s_delay_alu instid0(SALU_CYCLE_1) | instskip(NEXT) | instid1(SALU_CYCLE_1)
	s_or_b32 exec_lo, exec_lo, s17
	s_mov_b32 s17, exec_lo
	v_cmpx_lt_u32_e32 0xffffff, v4
	s_cbranch_execz .LBB232_3881
; %bb.3874:                             ;   in Loop: Header=BB232_2089 Depth=1
	v_mov_b64_e32 v[10:11], 0x8000000000000000
	v_lshrrev_b32_e32 v5, 24, v4
	s_mov_b32 s18, exec_lo
	s_delay_alu instid0(VALU_DEP_1)
	v_cmpx_ne_u32_e32 0x80, v5
	s_cbranch_execz .LBB232_3880
; %bb.3875:                             ;   in Loop: Header=BB232_2089 Depth=1
	v_mov_b64_e32 v[10:11], 0x7f80000100000000
	v_bfe_u32 v2, v4, 24, 7
	s_mov_b32 s19, exec_lo
	s_delay_alu instid0(VALU_DEP_1)
	v_cmpx_ne_u32_e32 0x7f, v2
	s_cbranch_execz .LBB232_3879
; %bb.3876:                             ;   in Loop: Header=BB232_2089 Depth=1
	scratch_load_b64 v[6:7], off, s32 offset:192 th:TH_LOAD_LU ; 8-byte Folded Reload
	s_wait_loadcnt 0x0
	v_dual_lshrrev_b32 v4, 3, v2 :: v_dual_bitop2_b32 v6, 7, v5 bitop3:0x40
	v_cmp_gt_u32_e64 s4, 8, v2
	s_delay_alu instid0(VALU_DEP_2)
	v_mov_b64_e32 v[2:3], v[6:7]
	s_wait_xcnt 0x0
	s_and_saveexec_b32 s20, s4
; %bb.3877:                             ;   in Loop: Header=BB232_2089 Depth=1
	v_clz_i32_u32_e32 v2, v6
	s_delay_alu instid0(VALU_DEP_1) | instskip(NEXT) | instid1(VALU_DEP_1)
	v_min_u32_e32 v4, 32, v2
	v_subrev_nc_u32_e32 v2, 28, v4
	s_delay_alu instid0(VALU_DEP_1) | instskip(NEXT) | instid1(VALU_DEP_1)
	v_lshlrev_b64_e32 v[2:3], v2, v[6:7]
	v_dual_sub_nc_u32 v4, 29, v4 :: v_dual_bitop2_b32 v2, 7, v2 bitop3:0x40
; %bb.3878:                             ;   in Loop: Header=BB232_2089 Depth=1
	s_or_b32 exec_lo, exec_lo, s20
	s_delay_alu instid0(VALU_DEP_1) | instskip(NEXT) | instid1(VALU_DEP_2)
	v_dual_lshlrev_b32 v3, 24, v5 :: v_dual_lshlrev_b32 v2, 20, v2
	v_lshl_add_u32 v4, v4, 23, 0x3c000000
	v_mov_b32_e32 v10, v7
	s_delay_alu instid0(VALU_DEP_3) | instskip(NEXT) | instid1(VALU_DEP_1)
	v_and_b32_e32 v3, 0x80000000, v3
	v_or3_b32 v11, v2, v3, v4
	v_mov_b32_e32 v3, v7
	scratch_store_b64 off, v[2:3], s32 offset:192 ; 8-byte Folded Spill
.LBB232_3879:                           ;   in Loop: Header=BB232_2089 Depth=1
	s_wait_xcnt 0x0
	s_or_b32 exec_lo, exec_lo, s19
.LBB232_3880:                           ;   in Loop: Header=BB232_2089 Depth=1
	s_delay_alu instid0(SALU_CYCLE_1)
	s_or_b32 exec_lo, exec_lo, s18
.LBB232_3881:                           ;   in Loop: Header=BB232_2089 Depth=1
	s_delay_alu instid0(SALU_CYCLE_1)
	s_or_b32 exec_lo, exec_lo, s17
	flat_load_b32 v4, v[0:1] offset:7168
	v_mov_b64_e32 v[120:121], 0
	v_mov_b64_e32 v[94:95], 0
	s_mov_b32 s17, exec_lo
	s_wait_loadcnt_dscnt 0x0
	v_and_b32_e32 v2, 0xff, v4
	s_wait_xcnt 0x0
	s_delay_alu instid0(VALU_DEP_1)
	v_cmpx_ne_u16_e32 0, v2
	s_cbranch_execz .LBB232_3889
; %bb.3882:                             ;   in Loop: Header=BB232_2089 Depth=1
	v_mov_b64_e32 v[94:95], 0x80000000
	s_mov_b32 s18, exec_lo
	v_cmpx_ne_u16_e32 0x80, v2
	s_cbranch_execz .LBB232_3888
; %bb.3883:                             ;   in Loop: Header=BB232_2089 Depth=1
	v_mov_b64_e32 v[94:95], 0x7f800001
	v_and_b32_e32 v2, 0x7f, v4
	s_mov_b32 s19, exec_lo
	s_delay_alu instid0(VALU_DEP_1)
	v_cmpx_ne_u32_e32 0x7f, v2
	s_cbranch_execz .LBB232_3887
; %bb.3884:                             ;   in Loop: Header=BB232_2089 Depth=1
	scratch_load_b64 v[94:95], off, s32 offset:192 th:TH_LOAD_LU ; 8-byte Folded Reload
	s_wait_loadcnt 0x0
	v_dual_lshrrev_b32 v5, 3, v2 :: v_dual_bitop2_b32 v94, 7, v4 bitop3:0x40
	v_cmp_gt_u32_e64 s4, 8, v2
	s_delay_alu instid0(VALU_DEP_2)
	v_mov_b64_e32 v[2:3], v[94:95]
	s_wait_xcnt 0x0
	s_and_saveexec_b32 s20, s4
; %bb.3885:                             ;   in Loop: Header=BB232_2089 Depth=1
	v_clz_i32_u32_e32 v2, v94
	s_delay_alu instid0(VALU_DEP_1) | instskip(NEXT) | instid1(VALU_DEP_1)
	v_min_u32_e32 v5, 32, v2
	v_subrev_nc_u32_e32 v2, 28, v5
	s_delay_alu instid0(VALU_DEP_1) | instskip(NEXT) | instid1(VALU_DEP_1)
	v_lshlrev_b64_e32 v[2:3], v2, v[94:95]
	v_dual_sub_nc_u32 v5, 29, v5 :: v_dual_bitop2_b32 v2, 7, v2 bitop3:0x40
; %bb.3886:                             ;   in Loop: Header=BB232_2089 Depth=1
	s_or_b32 exec_lo, exec_lo, s20
	s_delay_alu instid0(VALU_DEP_1) | instskip(NEXT) | instid1(VALU_DEP_2)
	v_dual_lshlrev_b32 v3, 24, v4 :: v_dual_lshlrev_b32 v2, 20, v2
	v_lshl_add_u32 v5, v5, 23, 0x3c000000
	s_delay_alu instid0(VALU_DEP_2) | instskip(NEXT) | instid1(VALU_DEP_1)
	v_and_b32_e32 v3, 0x80000000, v3
	v_or3_b32 v94, v2, v3, v5
	v_mov_b32_e32 v3, v95
	scratch_store_b64 off, v[2:3], s32 offset:192 ; 8-byte Folded Spill
.LBB232_3887:                           ;   in Loop: Header=BB232_2089 Depth=1
	s_wait_xcnt 0x0
	s_or_b32 exec_lo, exec_lo, s19
.LBB232_3888:                           ;   in Loop: Header=BB232_2089 Depth=1
	s_delay_alu instid0(SALU_CYCLE_1)
	s_or_b32 exec_lo, exec_lo, s18
.LBB232_3889:                           ;   in Loop: Header=BB232_2089 Depth=1
	s_delay_alu instid0(SALU_CYCLE_1) | instskip(SKIP_2) | instid1(VALU_DEP_1)
	s_or_b32 exec_lo, exec_lo, s17
	v_lshrrev_b16 v2, 8, v4
	s_mov_b32 s17, exec_lo
	v_cmpx_ne_u16_e32 0, v2
	s_cbranch_execz .LBB232_3897
; %bb.3890:                             ;   in Loop: Header=BB232_2089 Depth=1
	v_mov_b64_e32 v[120:121], 0x8000000000000000
	s_mov_b32 s18, exec_lo
	v_cmpx_ne_u16_e32 0x80, v2
	s_cbranch_execz .LBB232_3896
; %bb.3891:                             ;   in Loop: Header=BB232_2089 Depth=1
	v_and_b32_e32 v3, 0xffff, v2
	v_mov_b64_e32 v[120:121], 0x7f80000100000000
	s_mov_b32 s19, exec_lo
	s_delay_alu instid0(VALU_DEP_2) | instskip(NEXT) | instid1(VALU_DEP_1)
	v_and_b32_e32 v2, 0x7f, v3
	v_cmpx_ne_u32_e32 0x7f, v2
	s_cbranch_execz .LBB232_3895
; %bb.3892:                             ;   in Loop: Header=BB232_2089 Depth=1
	scratch_load_b64 v[6:7], off, s32 offset:192 th:TH_LOAD_LU ; 8-byte Folded Reload
	s_wait_loadcnt 0x0
	v_dual_lshrrev_b32 v5, 3, v2 :: v_dual_bitop2_b32 v6, 7, v3 bitop3:0x40
	v_cmp_gt_u32_e64 s4, 8, v2
	s_delay_alu instid0(VALU_DEP_2)
	v_mov_b64_e32 v[2:3], v[6:7]
	s_wait_xcnt 0x0
	s_and_saveexec_b32 s20, s4
; %bb.3893:                             ;   in Loop: Header=BB232_2089 Depth=1
	v_clz_i32_u32_e32 v2, v6
	s_delay_alu instid0(VALU_DEP_1) | instskip(NEXT) | instid1(VALU_DEP_1)
	v_min_u32_e32 v5, 32, v2
	v_subrev_nc_u32_e32 v2, 28, v5
	s_delay_alu instid0(VALU_DEP_1) | instskip(NEXT) | instid1(VALU_DEP_1)
	v_lshlrev_b64_e32 v[2:3], v2, v[6:7]
	v_dual_sub_nc_u32 v5, 29, v5 :: v_dual_bitop2_b32 v2, 7, v2 bitop3:0x40
; %bb.3894:                             ;   in Loop: Header=BB232_2089 Depth=1
	s_or_b32 exec_lo, exec_lo, s20
	s_delay_alu instid0(VALU_DEP_1) | instskip(NEXT) | instid1(VALU_DEP_2)
	v_dual_lshlrev_b32 v3, 16, v4 :: v_dual_lshlrev_b32 v2, 20, v2
	v_lshl_add_u32 v5, v5, 23, 0x3c000000
	v_mov_b32_e32 v120, v7
	s_delay_alu instid0(VALU_DEP_3) | instskip(NEXT) | instid1(VALU_DEP_1)
	v_and_b32_e32 v3, 0x80000000, v3
	v_or3_b32 v121, v2, v3, v5
	v_mov_b32_e32 v3, v7
	scratch_store_b64 off, v[2:3], s32 offset:192 ; 8-byte Folded Spill
.LBB232_3895:                           ;   in Loop: Header=BB232_2089 Depth=1
	s_wait_xcnt 0x0
	s_or_b32 exec_lo, exec_lo, s19
.LBB232_3896:                           ;   in Loop: Header=BB232_2089 Depth=1
	s_delay_alu instid0(SALU_CYCLE_1)
	s_or_b32 exec_lo, exec_lo, s18
.LBB232_3897:                           ;   in Loop: Header=BB232_2089 Depth=1
	s_delay_alu instid0(SALU_CYCLE_1) | instskip(SKIP_4) | instid1(VALU_DEP_3)
	s_or_b32 exec_lo, exec_lo, s17
	v_lshrrev_b32_e32 v5, 16, v4
	v_mov_b64_e32 v[90:91], 0
	v_mov_b64_e32 v[122:123], 0
	s_mov_b32 s17, exec_lo
	v_and_b32_e32 v2, 0xff, v5
	s_delay_alu instid0(VALU_DEP_1)
	v_cmpx_ne_u16_e32 0, v2
	s_cbranch_execz .LBB232_3905
; %bb.3898:                             ;   in Loop: Header=BB232_2089 Depth=1
	v_mov_b64_e32 v[122:123], 0x80000000
	s_mov_b32 s18, exec_lo
	v_cmpx_ne_u16_e32 0x80, v2
	s_cbranch_execz .LBB232_3904
; %bb.3899:                             ;   in Loop: Header=BB232_2089 Depth=1
	v_mov_b64_e32 v[122:123], 0x7f800001
	v_bfe_u32 v2, v4, 16, 7
	s_mov_b32 s19, exec_lo
	s_delay_alu instid0(VALU_DEP_1)
	v_cmpx_ne_u32_e32 0x7f, v2
	s_cbranch_execz .LBB232_3903
; %bb.3900:                             ;   in Loop: Header=BB232_2089 Depth=1
	scratch_load_b64 v[122:123], off, s32 offset:192 th:TH_LOAD_LU ; 8-byte Folded Reload
	s_wait_loadcnt 0x0
	v_dual_lshrrev_b32 v6, 3, v2 :: v_dual_bitop2_b32 v122, 7, v5 bitop3:0x40
	v_cmp_gt_u32_e64 s4, 8, v2
	s_delay_alu instid0(VALU_DEP_2)
	v_mov_b64_e32 v[2:3], v[122:123]
	s_wait_xcnt 0x0
	s_and_saveexec_b32 s20, s4
; %bb.3901:                             ;   in Loop: Header=BB232_2089 Depth=1
	v_clz_i32_u32_e32 v2, v122
	s_delay_alu instid0(VALU_DEP_1) | instskip(NEXT) | instid1(VALU_DEP_1)
	v_min_u32_e32 v6, 32, v2
	v_subrev_nc_u32_e32 v2, 28, v6
	v_sub_nc_u32_e32 v6, 29, v6
	s_delay_alu instid0(VALU_DEP_2) | instskip(NEXT) | instid1(VALU_DEP_1)
	v_lshlrev_b64_e32 v[2:3], v2, v[122:123]
	v_and_b32_e32 v2, 7, v2
; %bb.3902:                             ;   in Loop: Header=BB232_2089 Depth=1
	s_or_b32 exec_lo, exec_lo, s20
	s_delay_alu instid0(VALU_DEP_1) | instskip(SKIP_1) | instid1(VALU_DEP_2)
	v_dual_lshlrev_b32 v3, 24, v5 :: v_dual_lshlrev_b32 v2, 20, v2
	v_lshl_add_u32 v5, v6, 23, 0x3c000000
	v_and_b32_e32 v3, 0x80000000, v3
	s_delay_alu instid0(VALU_DEP_1)
	v_or3_b32 v122, v2, v3, v5
	v_mov_b32_e32 v3, v123
	scratch_store_b64 off, v[2:3], s32 offset:192 ; 8-byte Folded Spill
.LBB232_3903:                           ;   in Loop: Header=BB232_2089 Depth=1
	s_wait_xcnt 0x0
	s_or_b32 exec_lo, exec_lo, s19
.LBB232_3904:                           ;   in Loop: Header=BB232_2089 Depth=1
	s_delay_alu instid0(SALU_CYCLE_1)
	s_or_b32 exec_lo, exec_lo, s18
.LBB232_3905:                           ;   in Loop: Header=BB232_2089 Depth=1
	s_delay_alu instid0(SALU_CYCLE_1) | instskip(NEXT) | instid1(SALU_CYCLE_1)
	s_or_b32 exec_lo, exec_lo, s17
	s_mov_b32 s17, exec_lo
	v_cmpx_lt_u32_e32 0xffffff, v4
	s_cbranch_execz .LBB232_3913
; %bb.3906:                             ;   in Loop: Header=BB232_2089 Depth=1
	v_mov_b64_e32 v[90:91], 0x8000000000000000
	v_lshrrev_b32_e32 v5, 24, v4
	s_mov_b32 s18, exec_lo
	s_delay_alu instid0(VALU_DEP_1)
	v_cmpx_ne_u32_e32 0x80, v5
	s_cbranch_execz .LBB232_3912
; %bb.3907:                             ;   in Loop: Header=BB232_2089 Depth=1
	v_mov_b64_e32 v[90:91], 0x7f80000100000000
	v_bfe_u32 v2, v4, 24, 7
	s_mov_b32 s19, exec_lo
	s_delay_alu instid0(VALU_DEP_1)
	v_cmpx_ne_u32_e32 0x7f, v2
	s_cbranch_execz .LBB232_3911
; %bb.3908:                             ;   in Loop: Header=BB232_2089 Depth=1
	scratch_load_b64 v[6:7], off, s32 offset:192 th:TH_LOAD_LU ; 8-byte Folded Reload
	s_wait_loadcnt 0x0
	v_dual_lshrrev_b32 v4, 3, v2 :: v_dual_bitop2_b32 v6, 7, v5 bitop3:0x40
	v_cmp_gt_u32_e64 s4, 8, v2
	s_delay_alu instid0(VALU_DEP_2)
	v_mov_b64_e32 v[2:3], v[6:7]
	s_wait_xcnt 0x0
	s_and_saveexec_b32 s20, s4
; %bb.3909:                             ;   in Loop: Header=BB232_2089 Depth=1
	v_clz_i32_u32_e32 v2, v6
	s_delay_alu instid0(VALU_DEP_1) | instskip(NEXT) | instid1(VALU_DEP_1)
	v_min_u32_e32 v4, 32, v2
	v_subrev_nc_u32_e32 v2, 28, v4
	s_delay_alu instid0(VALU_DEP_1) | instskip(NEXT) | instid1(VALU_DEP_1)
	v_lshlrev_b64_e32 v[2:3], v2, v[6:7]
	v_dual_sub_nc_u32 v4, 29, v4 :: v_dual_bitop2_b32 v2, 7, v2 bitop3:0x40
; %bb.3910:                             ;   in Loop: Header=BB232_2089 Depth=1
	s_or_b32 exec_lo, exec_lo, s20
	s_delay_alu instid0(VALU_DEP_1) | instskip(NEXT) | instid1(VALU_DEP_2)
	v_dual_lshlrev_b32 v3, 24, v5 :: v_dual_lshlrev_b32 v2, 20, v2
	v_lshl_add_u32 v4, v4, 23, 0x3c000000
	v_mov_b32_e32 v90, v7
	s_delay_alu instid0(VALU_DEP_3) | instskip(NEXT) | instid1(VALU_DEP_1)
	v_and_b32_e32 v3, 0x80000000, v3
	v_or3_b32 v91, v2, v3, v4
	v_mov_b32_e32 v3, v7
	scratch_store_b64 off, v[2:3], s32 offset:192 ; 8-byte Folded Spill
.LBB232_3911:                           ;   in Loop: Header=BB232_2089 Depth=1
	s_wait_xcnt 0x0
	s_or_b32 exec_lo, exec_lo, s19
.LBB232_3912:                           ;   in Loop: Header=BB232_2089 Depth=1
	s_delay_alu instid0(SALU_CYCLE_1)
	s_or_b32 exec_lo, exec_lo, s18
.LBB232_3913:                           ;   in Loop: Header=BB232_2089 Depth=1
	s_delay_alu instid0(SALU_CYCLE_1)
	s_or_b32 exec_lo, exec_lo, s17
	flat_load_b32 v4, v[0:1] offset:7296
	v_mov_b64_e32 v[78:79], 0
	v_mov_b64_e32 v[74:75], 0
	s_mov_b32 s17, exec_lo
	s_wait_loadcnt_dscnt 0x0
	v_and_b32_e32 v2, 0xff, v4
	s_wait_xcnt 0x0
	s_delay_alu instid0(VALU_DEP_1)
	v_cmpx_ne_u16_e32 0, v2
	s_cbranch_execz .LBB232_3921
; %bb.3914:                             ;   in Loop: Header=BB232_2089 Depth=1
	v_mov_b64_e32 v[74:75], 0x80000000
	s_mov_b32 s18, exec_lo
	v_cmpx_ne_u16_e32 0x80, v2
	s_cbranch_execz .LBB232_3920
; %bb.3915:                             ;   in Loop: Header=BB232_2089 Depth=1
	v_mov_b64_e32 v[74:75], 0x7f800001
	v_and_b32_e32 v2, 0x7f, v4
	s_mov_b32 s19, exec_lo
	s_delay_alu instid0(VALU_DEP_1)
	v_cmpx_ne_u32_e32 0x7f, v2
	s_cbranch_execz .LBB232_3919
; %bb.3916:                             ;   in Loop: Header=BB232_2089 Depth=1
	scratch_load_b64 v[74:75], off, s32 offset:192 th:TH_LOAD_LU ; 8-byte Folded Reload
	s_wait_loadcnt 0x0
	v_dual_lshrrev_b32 v5, 3, v2 :: v_dual_bitop2_b32 v74, 7, v4 bitop3:0x40
	v_cmp_gt_u32_e64 s4, 8, v2
	s_delay_alu instid0(VALU_DEP_2)
	v_mov_b64_e32 v[2:3], v[74:75]
	s_wait_xcnt 0x0
	s_and_saveexec_b32 s20, s4
; %bb.3917:                             ;   in Loop: Header=BB232_2089 Depth=1
	v_clz_i32_u32_e32 v2, v74
	s_delay_alu instid0(VALU_DEP_1) | instskip(NEXT) | instid1(VALU_DEP_1)
	v_min_u32_e32 v5, 32, v2
	v_subrev_nc_u32_e32 v2, 28, v5
	s_delay_alu instid0(VALU_DEP_1) | instskip(NEXT) | instid1(VALU_DEP_1)
	v_lshlrev_b64_e32 v[2:3], v2, v[74:75]
	v_dual_sub_nc_u32 v5, 29, v5 :: v_dual_bitop2_b32 v2, 7, v2 bitop3:0x40
; %bb.3918:                             ;   in Loop: Header=BB232_2089 Depth=1
	s_or_b32 exec_lo, exec_lo, s20
	s_delay_alu instid0(VALU_DEP_1) | instskip(NEXT) | instid1(VALU_DEP_2)
	v_dual_lshlrev_b32 v3, 24, v4 :: v_dual_lshlrev_b32 v2, 20, v2
	v_lshl_add_u32 v5, v5, 23, 0x3c000000
	s_delay_alu instid0(VALU_DEP_2) | instskip(NEXT) | instid1(VALU_DEP_1)
	v_and_b32_e32 v3, 0x80000000, v3
	v_or3_b32 v74, v2, v3, v5
	v_mov_b32_e32 v3, v75
	scratch_store_b64 off, v[2:3], s32 offset:192 ; 8-byte Folded Spill
.LBB232_3919:                           ;   in Loop: Header=BB232_2089 Depth=1
	s_wait_xcnt 0x0
	s_or_b32 exec_lo, exec_lo, s19
.LBB232_3920:                           ;   in Loop: Header=BB232_2089 Depth=1
	s_delay_alu instid0(SALU_CYCLE_1)
	s_or_b32 exec_lo, exec_lo, s18
.LBB232_3921:                           ;   in Loop: Header=BB232_2089 Depth=1
	s_delay_alu instid0(SALU_CYCLE_1) | instskip(SKIP_2) | instid1(VALU_DEP_1)
	s_or_b32 exec_lo, exec_lo, s17
	v_lshrrev_b16 v2, 8, v4
	s_mov_b32 s17, exec_lo
	v_cmpx_ne_u16_e32 0, v2
	s_cbranch_execz .LBB232_3929
; %bb.3922:                             ;   in Loop: Header=BB232_2089 Depth=1
	v_mov_b64_e32 v[78:79], 0x8000000000000000
	s_mov_b32 s18, exec_lo
	v_cmpx_ne_u16_e32 0x80, v2
	s_cbranch_execz .LBB232_3928
; %bb.3923:                             ;   in Loop: Header=BB232_2089 Depth=1
	v_and_b32_e32 v3, 0xffff, v2
	v_mov_b64_e32 v[78:79], 0x7f80000100000000
	s_mov_b32 s19, exec_lo
	s_delay_alu instid0(VALU_DEP_2) | instskip(NEXT) | instid1(VALU_DEP_1)
	v_and_b32_e32 v2, 0x7f, v3
	v_cmpx_ne_u32_e32 0x7f, v2
	s_cbranch_execz .LBB232_3927
; %bb.3924:                             ;   in Loop: Header=BB232_2089 Depth=1
	scratch_load_b64 v[6:7], off, s32 offset:192 th:TH_LOAD_LU ; 8-byte Folded Reload
	s_wait_loadcnt 0x0
	v_dual_lshrrev_b32 v5, 3, v2 :: v_dual_bitop2_b32 v6, 7, v3 bitop3:0x40
	v_cmp_gt_u32_e64 s4, 8, v2
	s_delay_alu instid0(VALU_DEP_2)
	v_mov_b64_e32 v[2:3], v[6:7]
	s_wait_xcnt 0x0
	s_and_saveexec_b32 s20, s4
; %bb.3925:                             ;   in Loop: Header=BB232_2089 Depth=1
	v_clz_i32_u32_e32 v2, v6
	s_delay_alu instid0(VALU_DEP_1) | instskip(NEXT) | instid1(VALU_DEP_1)
	v_min_u32_e32 v5, 32, v2
	v_subrev_nc_u32_e32 v2, 28, v5
	s_delay_alu instid0(VALU_DEP_1) | instskip(NEXT) | instid1(VALU_DEP_1)
	v_lshlrev_b64_e32 v[2:3], v2, v[6:7]
	v_dual_sub_nc_u32 v5, 29, v5 :: v_dual_bitop2_b32 v2, 7, v2 bitop3:0x40
; %bb.3926:                             ;   in Loop: Header=BB232_2089 Depth=1
	s_or_b32 exec_lo, exec_lo, s20
	s_delay_alu instid0(VALU_DEP_1) | instskip(NEXT) | instid1(VALU_DEP_2)
	v_dual_lshlrev_b32 v3, 16, v4 :: v_dual_lshlrev_b32 v2, 20, v2
	v_lshl_add_u32 v5, v5, 23, 0x3c000000
	v_mov_b32_e32 v78, v7
	s_delay_alu instid0(VALU_DEP_3) | instskip(NEXT) | instid1(VALU_DEP_1)
	v_and_b32_e32 v3, 0x80000000, v3
	v_or3_b32 v79, v2, v3, v5
	v_mov_b32_e32 v3, v7
	scratch_store_b64 off, v[2:3], s32 offset:192 ; 8-byte Folded Spill
.LBB232_3927:                           ;   in Loop: Header=BB232_2089 Depth=1
	s_wait_xcnt 0x0
	s_or_b32 exec_lo, exec_lo, s19
.LBB232_3928:                           ;   in Loop: Header=BB232_2089 Depth=1
	s_delay_alu instid0(SALU_CYCLE_1)
	s_or_b32 exec_lo, exec_lo, s18
.LBB232_3929:                           ;   in Loop: Header=BB232_2089 Depth=1
	s_delay_alu instid0(SALU_CYCLE_1) | instskip(SKIP_4) | instid1(VALU_DEP_3)
	s_or_b32 exec_lo, exec_lo, s17
	v_lshrrev_b32_e32 v5, 16, v4
	v_mov_b64_e32 v[72:73], 0
	v_mov_b64_e32 v[126:127], 0
	s_mov_b32 s17, exec_lo
	v_and_b32_e32 v2, 0xff, v5
	s_delay_alu instid0(VALU_DEP_1)
	v_cmpx_ne_u16_e32 0, v2
	s_cbranch_execz .LBB232_3937
; %bb.3930:                             ;   in Loop: Header=BB232_2089 Depth=1
	v_mov_b64_e32 v[126:127], 0x80000000
	s_mov_b32 s18, exec_lo
	v_cmpx_ne_u16_e32 0x80, v2
	s_cbranch_execz .LBB232_3936
; %bb.3931:                             ;   in Loop: Header=BB232_2089 Depth=1
	v_mov_b64_e32 v[126:127], 0x7f800001
	v_bfe_u32 v2, v4, 16, 7
	s_mov_b32 s19, exec_lo
	s_delay_alu instid0(VALU_DEP_1)
	v_cmpx_ne_u32_e32 0x7f, v2
	s_cbranch_execz .LBB232_3935
; %bb.3932:                             ;   in Loop: Header=BB232_2089 Depth=1
	scratch_load_b64 v[126:127], off, s32 offset:192 th:TH_LOAD_LU ; 8-byte Folded Reload
	s_wait_loadcnt 0x0
	v_dual_lshrrev_b32 v6, 3, v2 :: v_dual_bitop2_b32 v126, 7, v5 bitop3:0x40
	v_cmp_gt_u32_e64 s4, 8, v2
	s_delay_alu instid0(VALU_DEP_2)
	v_mov_b64_e32 v[2:3], v[126:127]
	s_wait_xcnt 0x0
	s_and_saveexec_b32 s20, s4
; %bb.3933:                             ;   in Loop: Header=BB232_2089 Depth=1
	v_clz_i32_u32_e32 v2, v126
	s_delay_alu instid0(VALU_DEP_1) | instskip(NEXT) | instid1(VALU_DEP_1)
	v_min_u32_e32 v6, 32, v2
	v_subrev_nc_u32_e32 v2, 28, v6
	v_sub_nc_u32_e32 v6, 29, v6
	s_delay_alu instid0(VALU_DEP_2) | instskip(NEXT) | instid1(VALU_DEP_1)
	v_lshlrev_b64_e32 v[2:3], v2, v[126:127]
	v_and_b32_e32 v2, 7, v2
; %bb.3934:                             ;   in Loop: Header=BB232_2089 Depth=1
	s_or_b32 exec_lo, exec_lo, s20
	s_delay_alu instid0(VALU_DEP_1) | instskip(SKIP_1) | instid1(VALU_DEP_2)
	v_dual_lshlrev_b32 v3, 24, v5 :: v_dual_lshlrev_b32 v2, 20, v2
	v_lshl_add_u32 v5, v6, 23, 0x3c000000
	v_and_b32_e32 v3, 0x80000000, v3
	s_delay_alu instid0(VALU_DEP_1)
	v_or3_b32 v126, v2, v3, v5
	v_mov_b32_e32 v3, v127
	scratch_store_b64 off, v[2:3], s32 offset:192 ; 8-byte Folded Spill
.LBB232_3935:                           ;   in Loop: Header=BB232_2089 Depth=1
	s_wait_xcnt 0x0
	s_or_b32 exec_lo, exec_lo, s19
.LBB232_3936:                           ;   in Loop: Header=BB232_2089 Depth=1
	s_delay_alu instid0(SALU_CYCLE_1)
	s_or_b32 exec_lo, exec_lo, s18
.LBB232_3937:                           ;   in Loop: Header=BB232_2089 Depth=1
	s_delay_alu instid0(SALU_CYCLE_1) | instskip(NEXT) | instid1(SALU_CYCLE_1)
	s_or_b32 exec_lo, exec_lo, s17
	s_mov_b32 s17, exec_lo
	v_cmpx_lt_u32_e32 0xffffff, v4
	s_cbranch_execz .LBB232_3945
; %bb.3938:                             ;   in Loop: Header=BB232_2089 Depth=1
	v_mov_b64_e32 v[72:73], 0x8000000000000000
	v_lshrrev_b32_e32 v5, 24, v4
	s_mov_b32 s18, exec_lo
	s_delay_alu instid0(VALU_DEP_1)
	v_cmpx_ne_u32_e32 0x80, v5
	s_cbranch_execz .LBB232_3944
; %bb.3939:                             ;   in Loop: Header=BB232_2089 Depth=1
	v_mov_b64_e32 v[72:73], 0x7f80000100000000
	v_bfe_u32 v2, v4, 24, 7
	s_mov_b32 s19, exec_lo
	s_delay_alu instid0(VALU_DEP_1)
	v_cmpx_ne_u32_e32 0x7f, v2
	s_cbranch_execz .LBB232_3943
; %bb.3940:                             ;   in Loop: Header=BB232_2089 Depth=1
	scratch_load_b64 v[6:7], off, s32 offset:192 th:TH_LOAD_LU ; 8-byte Folded Reload
	s_wait_loadcnt 0x0
	v_dual_lshrrev_b32 v4, 3, v2 :: v_dual_bitop2_b32 v6, 7, v5 bitop3:0x40
	v_cmp_gt_u32_e64 s4, 8, v2
	s_delay_alu instid0(VALU_DEP_2)
	v_mov_b64_e32 v[2:3], v[6:7]
	s_wait_xcnt 0x0
	s_and_saveexec_b32 s20, s4
; %bb.3941:                             ;   in Loop: Header=BB232_2089 Depth=1
	v_clz_i32_u32_e32 v2, v6
	s_delay_alu instid0(VALU_DEP_1) | instskip(NEXT) | instid1(VALU_DEP_1)
	v_min_u32_e32 v4, 32, v2
	v_subrev_nc_u32_e32 v2, 28, v4
	s_delay_alu instid0(VALU_DEP_1) | instskip(NEXT) | instid1(VALU_DEP_1)
	v_lshlrev_b64_e32 v[2:3], v2, v[6:7]
	v_dual_sub_nc_u32 v4, 29, v4 :: v_dual_bitop2_b32 v2, 7, v2 bitop3:0x40
; %bb.3942:                             ;   in Loop: Header=BB232_2089 Depth=1
	s_or_b32 exec_lo, exec_lo, s20
	s_delay_alu instid0(VALU_DEP_1) | instskip(NEXT) | instid1(VALU_DEP_2)
	v_dual_lshlrev_b32 v3, 24, v5 :: v_dual_lshlrev_b32 v2, 20, v2
	v_lshl_add_u32 v4, v4, 23, 0x3c000000
	v_mov_b32_e32 v72, v7
	s_delay_alu instid0(VALU_DEP_3) | instskip(NEXT) | instid1(VALU_DEP_1)
	v_and_b32_e32 v3, 0x80000000, v3
	v_or3_b32 v73, v2, v3, v4
	v_mov_b32_e32 v3, v7
	scratch_store_b64 off, v[2:3], s32 offset:192 ; 8-byte Folded Spill
.LBB232_3943:                           ;   in Loop: Header=BB232_2089 Depth=1
	s_wait_xcnt 0x0
	s_or_b32 exec_lo, exec_lo, s19
.LBB232_3944:                           ;   in Loop: Header=BB232_2089 Depth=1
	s_delay_alu instid0(SALU_CYCLE_1)
	s_or_b32 exec_lo, exec_lo, s18
.LBB232_3945:                           ;   in Loop: Header=BB232_2089 Depth=1
	s_delay_alu instid0(SALU_CYCLE_1)
	s_or_b32 exec_lo, exec_lo, s17
	flat_load_b32 v4, v[0:1] offset:7424
	v_mov_b64_e32 v[62:63], 0
	v_mov_b64_e32 v[60:61], 0
	s_mov_b32 s17, exec_lo
	s_wait_loadcnt_dscnt 0x0
	v_and_b32_e32 v2, 0xff, v4
	s_wait_xcnt 0x0
	s_delay_alu instid0(VALU_DEP_1)
	v_cmpx_ne_u16_e32 0, v2
	s_cbranch_execz .LBB232_3953
; %bb.3946:                             ;   in Loop: Header=BB232_2089 Depth=1
	v_mov_b64_e32 v[60:61], 0x80000000
	s_mov_b32 s18, exec_lo
	v_cmpx_ne_u16_e32 0x80, v2
	s_cbranch_execz .LBB232_3952
; %bb.3947:                             ;   in Loop: Header=BB232_2089 Depth=1
	v_mov_b64_e32 v[60:61], 0x7f800001
	v_and_b32_e32 v2, 0x7f, v4
	s_mov_b32 s19, exec_lo
	s_delay_alu instid0(VALU_DEP_1)
	v_cmpx_ne_u32_e32 0x7f, v2
	s_cbranch_execz .LBB232_3951
; %bb.3948:                             ;   in Loop: Header=BB232_2089 Depth=1
	scratch_load_b64 v[60:61], off, s32 offset:192 th:TH_LOAD_LU ; 8-byte Folded Reload
	s_wait_loadcnt 0x0
	v_dual_lshrrev_b32 v5, 3, v2 :: v_dual_bitop2_b32 v60, 7, v4 bitop3:0x40
	v_cmp_gt_u32_e64 s4, 8, v2
	s_delay_alu instid0(VALU_DEP_2)
	v_mov_b64_e32 v[2:3], v[60:61]
	s_wait_xcnt 0x0
	s_and_saveexec_b32 s20, s4
; %bb.3949:                             ;   in Loop: Header=BB232_2089 Depth=1
	v_clz_i32_u32_e32 v2, v60
	s_delay_alu instid0(VALU_DEP_1) | instskip(NEXT) | instid1(VALU_DEP_1)
	v_min_u32_e32 v5, 32, v2
	v_subrev_nc_u32_e32 v2, 28, v5
	s_delay_alu instid0(VALU_DEP_1) | instskip(NEXT) | instid1(VALU_DEP_1)
	v_lshlrev_b64_e32 v[2:3], v2, v[60:61]
	v_dual_sub_nc_u32 v5, 29, v5 :: v_dual_bitop2_b32 v2, 7, v2 bitop3:0x40
; %bb.3950:                             ;   in Loop: Header=BB232_2089 Depth=1
	s_or_b32 exec_lo, exec_lo, s20
	s_delay_alu instid0(VALU_DEP_1) | instskip(NEXT) | instid1(VALU_DEP_2)
	v_dual_lshlrev_b32 v3, 24, v4 :: v_dual_lshlrev_b32 v2, 20, v2
	v_lshl_add_u32 v5, v5, 23, 0x3c000000
	s_delay_alu instid0(VALU_DEP_2) | instskip(NEXT) | instid1(VALU_DEP_1)
	v_and_b32_e32 v3, 0x80000000, v3
	v_or3_b32 v60, v2, v3, v5
	v_mov_b32_e32 v3, v61
	scratch_store_b64 off, v[2:3], s32 offset:192 ; 8-byte Folded Spill
.LBB232_3951:                           ;   in Loop: Header=BB232_2089 Depth=1
	s_wait_xcnt 0x0
	s_or_b32 exec_lo, exec_lo, s19
.LBB232_3952:                           ;   in Loop: Header=BB232_2089 Depth=1
	s_delay_alu instid0(SALU_CYCLE_1)
	s_or_b32 exec_lo, exec_lo, s18
.LBB232_3953:                           ;   in Loop: Header=BB232_2089 Depth=1
	s_delay_alu instid0(SALU_CYCLE_1) | instskip(SKIP_2) | instid1(VALU_DEP_1)
	s_or_b32 exec_lo, exec_lo, s17
	v_lshrrev_b16 v2, 8, v4
	s_mov_b32 s17, exec_lo
	v_cmpx_ne_u16_e32 0, v2
	s_cbranch_execz .LBB232_3961
; %bb.3954:                             ;   in Loop: Header=BB232_2089 Depth=1
	v_mov_b64_e32 v[62:63], 0x8000000000000000
	s_mov_b32 s18, exec_lo
	v_cmpx_ne_u16_e32 0x80, v2
	s_cbranch_execz .LBB232_3960
; %bb.3955:                             ;   in Loop: Header=BB232_2089 Depth=1
	v_and_b32_e32 v3, 0xffff, v2
	v_mov_b64_e32 v[62:63], 0x7f80000100000000
	s_mov_b32 s19, exec_lo
	s_delay_alu instid0(VALU_DEP_2) | instskip(NEXT) | instid1(VALU_DEP_1)
	v_and_b32_e32 v2, 0x7f, v3
	v_cmpx_ne_u32_e32 0x7f, v2
	s_cbranch_execz .LBB232_3959
; %bb.3956:                             ;   in Loop: Header=BB232_2089 Depth=1
	scratch_load_b64 v[6:7], off, s32 offset:192 th:TH_LOAD_LU ; 8-byte Folded Reload
	s_wait_loadcnt 0x0
	v_dual_lshrrev_b32 v5, 3, v2 :: v_dual_bitop2_b32 v6, 7, v3 bitop3:0x40
	v_cmp_gt_u32_e64 s4, 8, v2
	s_delay_alu instid0(VALU_DEP_2)
	v_mov_b64_e32 v[2:3], v[6:7]
	s_wait_xcnt 0x0
	s_and_saveexec_b32 s20, s4
; %bb.3957:                             ;   in Loop: Header=BB232_2089 Depth=1
	v_clz_i32_u32_e32 v2, v6
	s_delay_alu instid0(VALU_DEP_1) | instskip(NEXT) | instid1(VALU_DEP_1)
	v_min_u32_e32 v5, 32, v2
	v_subrev_nc_u32_e32 v2, 28, v5
	s_delay_alu instid0(VALU_DEP_1) | instskip(NEXT) | instid1(VALU_DEP_1)
	v_lshlrev_b64_e32 v[2:3], v2, v[6:7]
	v_dual_sub_nc_u32 v5, 29, v5 :: v_dual_bitop2_b32 v2, 7, v2 bitop3:0x40
; %bb.3958:                             ;   in Loop: Header=BB232_2089 Depth=1
	s_or_b32 exec_lo, exec_lo, s20
	s_delay_alu instid0(VALU_DEP_1) | instskip(NEXT) | instid1(VALU_DEP_2)
	v_dual_lshlrev_b32 v3, 16, v4 :: v_dual_lshlrev_b32 v2, 20, v2
	v_lshl_add_u32 v5, v5, 23, 0x3c000000
	v_mov_b32_e32 v62, v7
	s_delay_alu instid0(VALU_DEP_3) | instskip(NEXT) | instid1(VALU_DEP_1)
	v_and_b32_e32 v3, 0x80000000, v3
	v_or3_b32 v63, v2, v3, v5
	v_mov_b32_e32 v3, v7
	scratch_store_b64 off, v[2:3], s32 offset:192 ; 8-byte Folded Spill
.LBB232_3959:                           ;   in Loop: Header=BB232_2089 Depth=1
	s_wait_xcnt 0x0
	s_or_b32 exec_lo, exec_lo, s19
.LBB232_3960:                           ;   in Loop: Header=BB232_2089 Depth=1
	s_delay_alu instid0(SALU_CYCLE_1)
	s_or_b32 exec_lo, exec_lo, s18
.LBB232_3961:                           ;   in Loop: Header=BB232_2089 Depth=1
	s_delay_alu instid0(SALU_CYCLE_1) | instskip(SKIP_4) | instid1(VALU_DEP_3)
	s_or_b32 exec_lo, exec_lo, s17
	v_lshrrev_b32_e32 v5, 16, v4
	v_mov_b64_e32 v[58:59], 0
	v_mov_b64_e32 v[56:57], 0
	s_mov_b32 s17, exec_lo
	v_and_b32_e32 v2, 0xff, v5
	s_delay_alu instid0(VALU_DEP_1)
	v_cmpx_ne_u16_e32 0, v2
	s_cbranch_execz .LBB232_3969
; %bb.3962:                             ;   in Loop: Header=BB232_2089 Depth=1
	v_mov_b64_e32 v[56:57], 0x80000000
	s_mov_b32 s18, exec_lo
	v_cmpx_ne_u16_e32 0x80, v2
	s_cbranch_execz .LBB232_3968
; %bb.3963:                             ;   in Loop: Header=BB232_2089 Depth=1
	v_mov_b64_e32 v[56:57], 0x7f800001
	v_bfe_u32 v2, v4, 16, 7
	s_mov_b32 s19, exec_lo
	s_delay_alu instid0(VALU_DEP_1)
	v_cmpx_ne_u32_e32 0x7f, v2
	s_cbranch_execz .LBB232_3967
; %bb.3964:                             ;   in Loop: Header=BB232_2089 Depth=1
	scratch_load_b64 v[56:57], off, s32 offset:192 th:TH_LOAD_LU ; 8-byte Folded Reload
	s_wait_loadcnt 0x0
	v_dual_lshrrev_b32 v6, 3, v2 :: v_dual_bitop2_b32 v56, 7, v5 bitop3:0x40
	v_cmp_gt_u32_e64 s4, 8, v2
	s_delay_alu instid0(VALU_DEP_2)
	v_mov_b64_e32 v[2:3], v[56:57]
	s_wait_xcnt 0x0
	s_and_saveexec_b32 s20, s4
; %bb.3965:                             ;   in Loop: Header=BB232_2089 Depth=1
	v_clz_i32_u32_e32 v2, v56
	s_delay_alu instid0(VALU_DEP_1) | instskip(NEXT) | instid1(VALU_DEP_1)
	v_min_u32_e32 v6, 32, v2
	v_subrev_nc_u32_e32 v2, 28, v6
	v_sub_nc_u32_e32 v6, 29, v6
	s_delay_alu instid0(VALU_DEP_2) | instskip(NEXT) | instid1(VALU_DEP_1)
	v_lshlrev_b64_e32 v[2:3], v2, v[56:57]
	v_and_b32_e32 v2, 7, v2
; %bb.3966:                             ;   in Loop: Header=BB232_2089 Depth=1
	s_or_b32 exec_lo, exec_lo, s20
	s_delay_alu instid0(VALU_DEP_1) | instskip(SKIP_1) | instid1(VALU_DEP_2)
	v_dual_lshlrev_b32 v3, 24, v5 :: v_dual_lshlrev_b32 v2, 20, v2
	v_lshl_add_u32 v5, v6, 23, 0x3c000000
	v_and_b32_e32 v3, 0x80000000, v3
	s_delay_alu instid0(VALU_DEP_1)
	v_or3_b32 v56, v2, v3, v5
	v_mov_b32_e32 v3, v57
	scratch_store_b64 off, v[2:3], s32 offset:192 ; 8-byte Folded Spill
.LBB232_3967:                           ;   in Loop: Header=BB232_2089 Depth=1
	s_wait_xcnt 0x0
	s_or_b32 exec_lo, exec_lo, s19
.LBB232_3968:                           ;   in Loop: Header=BB232_2089 Depth=1
	s_delay_alu instid0(SALU_CYCLE_1)
	s_or_b32 exec_lo, exec_lo, s18
.LBB232_3969:                           ;   in Loop: Header=BB232_2089 Depth=1
	s_delay_alu instid0(SALU_CYCLE_1) | instskip(NEXT) | instid1(SALU_CYCLE_1)
	s_or_b32 exec_lo, exec_lo, s17
	s_mov_b32 s17, exec_lo
	v_cmpx_lt_u32_e32 0xffffff, v4
	s_cbranch_execz .LBB232_3977
; %bb.3970:                             ;   in Loop: Header=BB232_2089 Depth=1
	v_mov_b64_e32 v[58:59], 0x8000000000000000
	v_lshrrev_b32_e32 v5, 24, v4
	s_mov_b32 s18, exec_lo
	s_delay_alu instid0(VALU_DEP_1)
	v_cmpx_ne_u32_e32 0x80, v5
	s_cbranch_execz .LBB232_3976
; %bb.3971:                             ;   in Loop: Header=BB232_2089 Depth=1
	v_mov_b64_e32 v[58:59], 0x7f80000100000000
	v_bfe_u32 v2, v4, 24, 7
	s_mov_b32 s19, exec_lo
	s_delay_alu instid0(VALU_DEP_1)
	v_cmpx_ne_u32_e32 0x7f, v2
	s_cbranch_execz .LBB232_3975
; %bb.3972:                             ;   in Loop: Header=BB232_2089 Depth=1
	scratch_load_b64 v[6:7], off, s32 offset:192 th:TH_LOAD_LU ; 8-byte Folded Reload
	s_wait_loadcnt 0x0
	v_dual_lshrrev_b32 v4, 3, v2 :: v_dual_bitop2_b32 v6, 7, v5 bitop3:0x40
	v_cmp_gt_u32_e64 s4, 8, v2
	s_delay_alu instid0(VALU_DEP_2)
	v_mov_b64_e32 v[2:3], v[6:7]
	s_wait_xcnt 0x0
	s_and_saveexec_b32 s20, s4
; %bb.3973:                             ;   in Loop: Header=BB232_2089 Depth=1
	v_clz_i32_u32_e32 v2, v6
	s_delay_alu instid0(VALU_DEP_1) | instskip(NEXT) | instid1(VALU_DEP_1)
	v_min_u32_e32 v4, 32, v2
	v_subrev_nc_u32_e32 v2, 28, v4
	s_delay_alu instid0(VALU_DEP_1) | instskip(NEXT) | instid1(VALU_DEP_1)
	v_lshlrev_b64_e32 v[2:3], v2, v[6:7]
	v_dual_sub_nc_u32 v4, 29, v4 :: v_dual_bitop2_b32 v2, 7, v2 bitop3:0x40
; %bb.3974:                             ;   in Loop: Header=BB232_2089 Depth=1
	s_or_b32 exec_lo, exec_lo, s20
	s_delay_alu instid0(VALU_DEP_1) | instskip(NEXT) | instid1(VALU_DEP_2)
	v_dual_lshlrev_b32 v3, 24, v5 :: v_dual_lshlrev_b32 v2, 20, v2
	v_lshl_add_u32 v4, v4, 23, 0x3c000000
	v_mov_b32_e32 v58, v7
	s_delay_alu instid0(VALU_DEP_3) | instskip(NEXT) | instid1(VALU_DEP_1)
	v_and_b32_e32 v3, 0x80000000, v3
	v_or3_b32 v59, v2, v3, v4
	v_mov_b32_e32 v3, v7
	scratch_store_b64 off, v[2:3], s32 offset:192 ; 8-byte Folded Spill
.LBB232_3975:                           ;   in Loop: Header=BB232_2089 Depth=1
	s_wait_xcnt 0x0
	s_or_b32 exec_lo, exec_lo, s19
.LBB232_3976:                           ;   in Loop: Header=BB232_2089 Depth=1
	s_delay_alu instid0(SALU_CYCLE_1)
	s_or_b32 exec_lo, exec_lo, s18
.LBB232_3977:                           ;   in Loop: Header=BB232_2089 Depth=1
	s_delay_alu instid0(SALU_CYCLE_1)
	s_or_b32 exec_lo, exec_lo, s17
	flat_load_b32 v4, v[0:1] offset:7552
	v_mov_b64_e32 v[6:7], 0
	s_mov_b32 s17, exec_lo
	scratch_store_b64 off, v[6:7], s32 offset:1772 ; 8-byte Folded Spill
	s_wait_xcnt 0x0
	v_mov_b64_e32 v[6:7], 0
	scratch_store_b64 off, v[6:7], s32 offset:1788 ; 8-byte Folded Spill
	s_wait_loadcnt_dscnt 0x0
	v_and_b32_e32 v2, 0xff, v4
	s_wait_xcnt 0x0
	s_delay_alu instid0(VALU_DEP_1)
	v_cmpx_ne_u16_e32 0, v2
	s_cbranch_execz .LBB232_3985
; %bb.3978:                             ;   in Loop: Header=BB232_2089 Depth=1
	v_cmp_ne_u16_e64 s4, 0x80, v2
	v_mov_b64_e32 v[2:3], 0x80000000
	scratch_store_b64 off, v[2:3], s32 offset:1788 ; 8-byte Folded Spill
	s_wait_xcnt 0x0
	s_and_saveexec_b32 s18, s4
	s_cbranch_execz .LBB232_3984
; %bb.3979:                             ;   in Loop: Header=BB232_2089 Depth=1
	v_mov_b64_e32 v[6:7], 0x7f800001
	v_and_b32_e32 v2, 0x7f, v4
	s_mov_b32 s19, exec_lo
	scratch_store_b64 off, v[6:7], s32 offset:1788 ; 8-byte Folded Spill
	s_wait_xcnt 0x0
	v_cmpx_ne_u32_e32 0x7f, v2
	s_cbranch_execz .LBB232_3983
; %bb.3980:                             ;   in Loop: Header=BB232_2089 Depth=1
	scratch_load_b64 v[6:7], off, s32 offset:192 th:TH_LOAD_LU ; 8-byte Folded Reload
	s_wait_loadcnt 0x0
	v_dual_lshrrev_b32 v5, 3, v2 :: v_dual_bitop2_b32 v6, 7, v4 bitop3:0x40
	v_cmp_gt_u32_e64 s4, 8, v2
	s_delay_alu instid0(VALU_DEP_2)
	v_mov_b64_e32 v[2:3], v[6:7]
	s_wait_xcnt 0x0
	s_and_saveexec_b32 s20, s4
; %bb.3981:                             ;   in Loop: Header=BB232_2089 Depth=1
	v_clz_i32_u32_e32 v2, v6
	s_delay_alu instid0(VALU_DEP_1) | instskip(NEXT) | instid1(VALU_DEP_1)
	v_min_u32_e32 v5, 32, v2
	v_subrev_nc_u32_e32 v2, 28, v5
	s_delay_alu instid0(VALU_DEP_1) | instskip(NEXT) | instid1(VALU_DEP_1)
	v_lshlrev_b64_e32 v[2:3], v2, v[6:7]
	v_dual_sub_nc_u32 v5, 29, v5 :: v_dual_bitop2_b32 v2, 7, v2 bitop3:0x40
; %bb.3982:                             ;   in Loop: Header=BB232_2089 Depth=1
	s_or_b32 exec_lo, exec_lo, s20
	s_delay_alu instid0(VALU_DEP_1) | instskip(NEXT) | instid1(VALU_DEP_2)
	v_dual_lshlrev_b32 v3, 24, v4 :: v_dual_lshlrev_b32 v2, 20, v2
	v_lshl_add_u32 v5, v5, 23, 0x3c000000
	s_delay_alu instid0(VALU_DEP_2) | instskip(NEXT) | instid1(VALU_DEP_1)
	v_and_b32_e32 v3, 0x80000000, v3
	v_or3_b32 v6, v2, v3, v5
	v_mov_b32_e32 v3, v7
	s_clause 0x1
	scratch_store_b64 off, v[2:3], s32 offset:192
	scratch_store_b64 off, v[6:7], s32 offset:1788
.LBB232_3983:                           ;   in Loop: Header=BB232_2089 Depth=1
	s_wait_xcnt 0x0
	s_or_b32 exec_lo, exec_lo, s19
.LBB232_3984:                           ;   in Loop: Header=BB232_2089 Depth=1
	s_delay_alu instid0(SALU_CYCLE_1)
	s_or_b32 exec_lo, exec_lo, s18
.LBB232_3985:                           ;   in Loop: Header=BB232_2089 Depth=1
	s_delay_alu instid0(SALU_CYCLE_1) | instskip(SKIP_2) | instid1(VALU_DEP_1)
	s_or_b32 exec_lo, exec_lo, s17
	v_lshrrev_b16 v2, 8, v4
	s_mov_b32 s17, exec_lo
	v_cmpx_ne_u16_e32 0, v2
	s_cbranch_execz .LBB232_3993
; %bb.3986:                             ;   in Loop: Header=BB232_2089 Depth=1
	v_mov_b64_e32 v[6:7], 0x8000000000000000
	s_mov_b32 s18, exec_lo
	scratch_store_b64 off, v[6:7], s32 offset:1772 ; 8-byte Folded Spill
	s_wait_xcnt 0x0
	v_cmpx_ne_u16_e32 0x80, v2
	s_cbranch_execz .LBB232_3992
; %bb.3987:                             ;   in Loop: Header=BB232_2089 Depth=1
	v_and_b32_e32 v3, 0xffff, v2
	v_mov_b64_e32 v[6:7], 0x7f80000100000000
	s_mov_b32 s19, exec_lo
	s_delay_alu instid0(VALU_DEP_2)
	v_and_b32_e32 v2, 0x7f, v3
	scratch_store_b64 off, v[6:7], s32 offset:1772 ; 8-byte Folded Spill
	s_wait_xcnt 0x0
	v_cmpx_ne_u32_e32 0x7f, v2
	s_cbranch_execz .LBB232_3991
; %bb.3988:                             ;   in Loop: Header=BB232_2089 Depth=1
	scratch_load_b64 v[6:7], off, s32 offset:192 th:TH_LOAD_LU ; 8-byte Folded Reload
	s_wait_loadcnt 0x0
	v_dual_lshrrev_b32 v5, 3, v2 :: v_dual_bitop2_b32 v6, 7, v3 bitop3:0x40
	v_cmp_gt_u32_e64 s4, 8, v2
	s_delay_alu instid0(VALU_DEP_2)
	v_mov_b64_e32 v[2:3], v[6:7]
	s_wait_xcnt 0x0
	s_and_saveexec_b32 s20, s4
; %bb.3989:                             ;   in Loop: Header=BB232_2089 Depth=1
	v_clz_i32_u32_e32 v2, v6
	s_delay_alu instid0(VALU_DEP_1) | instskip(NEXT) | instid1(VALU_DEP_1)
	v_min_u32_e32 v5, 32, v2
	v_subrev_nc_u32_e32 v2, 28, v5
	s_delay_alu instid0(VALU_DEP_1) | instskip(NEXT) | instid1(VALU_DEP_1)
	v_lshlrev_b64_e32 v[2:3], v2, v[6:7]
	v_dual_sub_nc_u32 v5, 29, v5 :: v_dual_bitop2_b32 v2, 7, v2 bitop3:0x40
; %bb.3990:                             ;   in Loop: Header=BB232_2089 Depth=1
	s_or_b32 exec_lo, exec_lo, s20
	s_delay_alu instid0(VALU_DEP_1) | instskip(NEXT) | instid1(VALU_DEP_2)
	v_dual_lshlrev_b32 v3, 16, v4 :: v_dual_lshlrev_b32 v2, 20, v2
	v_lshl_add_u32 v5, v5, 23, 0x3c000000
	v_mov_b32_e32 v8, v7
	s_delay_alu instid0(VALU_DEP_3) | instskip(NEXT) | instid1(VALU_DEP_1)
	v_and_b32_e32 v3, 0x80000000, v3
	v_or3_b32 v9, v2, v3, v5
	v_mov_b32_e32 v3, v7
	s_clause 0x1
	scratch_store_b64 off, v[8:9], s32 offset:1772
	scratch_store_b64 off, v[2:3], s32 offset:192
.LBB232_3991:                           ;   in Loop: Header=BB232_2089 Depth=1
	s_wait_xcnt 0x0
	s_or_b32 exec_lo, exec_lo, s19
.LBB232_3992:                           ;   in Loop: Header=BB232_2089 Depth=1
	s_delay_alu instid0(SALU_CYCLE_1)
	s_or_b32 exec_lo, exec_lo, s18
.LBB232_3993:                           ;   in Loop: Header=BB232_2089 Depth=1
	s_delay_alu instid0(SALU_CYCLE_1) | instskip(SKIP_4) | instid1(VALU_DEP_3)
	s_or_b32 exec_lo, exec_lo, s17
	v_lshrrev_b32_e32 v5, 16, v4
	v_mov_b64_e32 v[108:109], 0
	v_mov_b64_e32 v[44:45], 0
	s_mov_b32 s17, exec_lo
	v_and_b32_e32 v2, 0xff, v5
	s_delay_alu instid0(VALU_DEP_1)
	v_cmpx_ne_u16_e32 0, v2
	s_cbranch_execz .LBB232_4001
; %bb.3994:                             ;   in Loop: Header=BB232_2089 Depth=1
	v_mov_b64_e32 v[44:45], 0x80000000
	s_mov_b32 s18, exec_lo
	v_cmpx_ne_u16_e32 0x80, v2
	s_cbranch_execz .LBB232_4000
; %bb.3995:                             ;   in Loop: Header=BB232_2089 Depth=1
	v_mov_b64_e32 v[44:45], 0x7f800001
	v_bfe_u32 v2, v4, 16, 7
	s_mov_b32 s19, exec_lo
	s_delay_alu instid0(VALU_DEP_1)
	v_cmpx_ne_u32_e32 0x7f, v2
	s_cbranch_execz .LBB232_3999
; %bb.3996:                             ;   in Loop: Header=BB232_2089 Depth=1
	scratch_load_b64 v[44:45], off, s32 offset:192 th:TH_LOAD_LU ; 8-byte Folded Reload
	s_wait_loadcnt 0x0
	v_dual_lshrrev_b32 v6, 3, v2 :: v_dual_bitop2_b32 v44, 7, v5 bitop3:0x40
	v_cmp_gt_u32_e64 s4, 8, v2
	s_delay_alu instid0(VALU_DEP_2)
	v_mov_b64_e32 v[2:3], v[44:45]
	s_wait_xcnt 0x0
	s_and_saveexec_b32 s20, s4
; %bb.3997:                             ;   in Loop: Header=BB232_2089 Depth=1
	v_clz_i32_u32_e32 v2, v44
	s_delay_alu instid0(VALU_DEP_1) | instskip(NEXT) | instid1(VALU_DEP_1)
	v_min_u32_e32 v6, 32, v2
	v_subrev_nc_u32_e32 v2, 28, v6
	v_sub_nc_u32_e32 v6, 29, v6
	s_delay_alu instid0(VALU_DEP_2) | instskip(NEXT) | instid1(VALU_DEP_1)
	v_lshlrev_b64_e32 v[2:3], v2, v[44:45]
	v_and_b32_e32 v2, 7, v2
; %bb.3998:                             ;   in Loop: Header=BB232_2089 Depth=1
	s_or_b32 exec_lo, exec_lo, s20
	s_delay_alu instid0(VALU_DEP_1) | instskip(SKIP_1) | instid1(VALU_DEP_2)
	v_dual_lshlrev_b32 v3, 24, v5 :: v_dual_lshlrev_b32 v2, 20, v2
	v_lshl_add_u32 v5, v6, 23, 0x3c000000
	v_and_b32_e32 v3, 0x80000000, v3
	s_delay_alu instid0(VALU_DEP_1)
	v_or3_b32 v44, v2, v3, v5
	v_mov_b32_e32 v3, v45
	scratch_store_b64 off, v[2:3], s32 offset:192 ; 8-byte Folded Spill
.LBB232_3999:                           ;   in Loop: Header=BB232_2089 Depth=1
	s_wait_xcnt 0x0
	s_or_b32 exec_lo, exec_lo, s19
.LBB232_4000:                           ;   in Loop: Header=BB232_2089 Depth=1
	s_delay_alu instid0(SALU_CYCLE_1)
	s_or_b32 exec_lo, exec_lo, s18
.LBB232_4001:                           ;   in Loop: Header=BB232_2089 Depth=1
	s_delay_alu instid0(SALU_CYCLE_1) | instskip(NEXT) | instid1(SALU_CYCLE_1)
	s_or_b32 exec_lo, exec_lo, s17
	s_mov_b32 s17, exec_lo
	v_cmpx_lt_u32_e32 0xffffff, v4
	s_cbranch_execz .LBB232_4009
; %bb.4002:                             ;   in Loop: Header=BB232_2089 Depth=1
	v_mov_b64_e32 v[108:109], 0x8000000000000000
	v_lshrrev_b32_e32 v5, 24, v4
	s_mov_b32 s18, exec_lo
	s_delay_alu instid0(VALU_DEP_1)
	v_cmpx_ne_u32_e32 0x80, v5
	s_cbranch_execz .LBB232_4008
; %bb.4003:                             ;   in Loop: Header=BB232_2089 Depth=1
	v_mov_b64_e32 v[108:109], 0x7f80000100000000
	v_bfe_u32 v2, v4, 24, 7
	s_mov_b32 s19, exec_lo
	s_delay_alu instid0(VALU_DEP_1)
	v_cmpx_ne_u32_e32 0x7f, v2
	s_cbranch_execz .LBB232_4007
; %bb.4004:                             ;   in Loop: Header=BB232_2089 Depth=1
	scratch_load_b64 v[6:7], off, s32 offset:192 th:TH_LOAD_LU ; 8-byte Folded Reload
	s_wait_loadcnt 0x0
	v_dual_lshrrev_b32 v4, 3, v2 :: v_dual_bitop2_b32 v6, 7, v5 bitop3:0x40
	v_cmp_gt_u32_e64 s4, 8, v2
	s_delay_alu instid0(VALU_DEP_2)
	v_mov_b64_e32 v[2:3], v[6:7]
	s_wait_xcnt 0x0
	s_and_saveexec_b32 s20, s4
; %bb.4005:                             ;   in Loop: Header=BB232_2089 Depth=1
	v_clz_i32_u32_e32 v2, v6
	s_delay_alu instid0(VALU_DEP_1) | instskip(NEXT) | instid1(VALU_DEP_1)
	v_min_u32_e32 v4, 32, v2
	v_subrev_nc_u32_e32 v2, 28, v4
	s_delay_alu instid0(VALU_DEP_1) | instskip(NEXT) | instid1(VALU_DEP_1)
	v_lshlrev_b64_e32 v[2:3], v2, v[6:7]
	v_dual_sub_nc_u32 v4, 29, v4 :: v_dual_bitop2_b32 v2, 7, v2 bitop3:0x40
; %bb.4006:                             ;   in Loop: Header=BB232_2089 Depth=1
	s_or_b32 exec_lo, exec_lo, s20
	s_delay_alu instid0(VALU_DEP_1) | instskip(NEXT) | instid1(VALU_DEP_2)
	v_dual_lshlrev_b32 v3, 24, v5 :: v_dual_lshlrev_b32 v2, 20, v2
	v_lshl_add_u32 v4, v4, 23, 0x3c000000
	v_mov_b32_e32 v108, v7
	s_delay_alu instid0(VALU_DEP_3) | instskip(NEXT) | instid1(VALU_DEP_1)
	v_and_b32_e32 v3, 0x80000000, v3
	v_or3_b32 v109, v2, v3, v4
	v_mov_b32_e32 v3, v7
	scratch_store_b64 off, v[2:3], s32 offset:192 ; 8-byte Folded Spill
.LBB232_4007:                           ;   in Loop: Header=BB232_2089 Depth=1
	s_wait_xcnt 0x0
	s_or_b32 exec_lo, exec_lo, s19
.LBB232_4008:                           ;   in Loop: Header=BB232_2089 Depth=1
	s_delay_alu instid0(SALU_CYCLE_1)
	s_or_b32 exec_lo, exec_lo, s18
.LBB232_4009:                           ;   in Loop: Header=BB232_2089 Depth=1
	s_delay_alu instid0(SALU_CYCLE_1)
	s_or_b32 exec_lo, exec_lo, s17
	flat_load_b32 v4, v[0:1] offset:7680
	v_mov_b64_e32 v[6:7], 0
	s_mov_b32 s17, exec_lo
	scratch_store_b64 off, v[6:7], s32 offset:1644 ; 8-byte Folded Spill
	s_wait_xcnt 0x0
	v_mov_b64_e32 v[6:7], 0
	scratch_store_b64 off, v[6:7], s32 offset:1652 ; 8-byte Folded Spill
	s_wait_loadcnt_dscnt 0x0
	v_and_b32_e32 v2, 0xff, v4
	s_wait_xcnt 0x0
	s_delay_alu instid0(VALU_DEP_1)
	v_cmpx_ne_u16_e32 0, v2
	s_cbranch_execz .LBB232_4017
; %bb.4010:                             ;   in Loop: Header=BB232_2089 Depth=1
	v_cmp_ne_u16_e64 s4, 0x80, v2
	v_mov_b64_e32 v[2:3], 0x80000000
	scratch_store_b64 off, v[2:3], s32 offset:1652 ; 8-byte Folded Spill
	s_wait_xcnt 0x0
	s_and_saveexec_b32 s18, s4
	s_cbranch_execz .LBB232_4016
; %bb.4011:                             ;   in Loop: Header=BB232_2089 Depth=1
	v_mov_b64_e32 v[6:7], 0x7f800001
	v_and_b32_e32 v2, 0x7f, v4
	s_mov_b32 s19, exec_lo
	scratch_store_b64 off, v[6:7], s32 offset:1652 ; 8-byte Folded Spill
	s_wait_xcnt 0x0
	v_cmpx_ne_u32_e32 0x7f, v2
	s_cbranch_execz .LBB232_4015
; %bb.4012:                             ;   in Loop: Header=BB232_2089 Depth=1
	scratch_load_b64 v[6:7], off, s32 offset:192 th:TH_LOAD_LU ; 8-byte Folded Reload
	s_wait_loadcnt 0x0
	v_dual_lshrrev_b32 v5, 3, v2 :: v_dual_bitop2_b32 v6, 7, v4 bitop3:0x40
	v_cmp_gt_u32_e64 s4, 8, v2
	s_delay_alu instid0(VALU_DEP_2)
	v_mov_b64_e32 v[2:3], v[6:7]
	s_wait_xcnt 0x0
	s_and_saveexec_b32 s20, s4
; %bb.4013:                             ;   in Loop: Header=BB232_2089 Depth=1
	v_clz_i32_u32_e32 v2, v6
	s_delay_alu instid0(VALU_DEP_1) | instskip(NEXT) | instid1(VALU_DEP_1)
	v_min_u32_e32 v5, 32, v2
	v_subrev_nc_u32_e32 v2, 28, v5
	s_delay_alu instid0(VALU_DEP_1) | instskip(NEXT) | instid1(VALU_DEP_1)
	v_lshlrev_b64_e32 v[2:3], v2, v[6:7]
	v_dual_sub_nc_u32 v5, 29, v5 :: v_dual_bitop2_b32 v2, 7, v2 bitop3:0x40
; %bb.4014:                             ;   in Loop: Header=BB232_2089 Depth=1
	s_or_b32 exec_lo, exec_lo, s20
	s_delay_alu instid0(VALU_DEP_1) | instskip(NEXT) | instid1(VALU_DEP_2)
	v_dual_lshlrev_b32 v3, 24, v4 :: v_dual_lshlrev_b32 v2, 20, v2
	v_lshl_add_u32 v5, v5, 23, 0x3c000000
	s_delay_alu instid0(VALU_DEP_2) | instskip(NEXT) | instid1(VALU_DEP_1)
	v_and_b32_e32 v3, 0x80000000, v3
	v_or3_b32 v6, v2, v3, v5
	v_mov_b32_e32 v3, v7
	s_clause 0x1
	scratch_store_b64 off, v[2:3], s32 offset:192
	scratch_store_b64 off, v[6:7], s32 offset:1652
.LBB232_4015:                           ;   in Loop: Header=BB232_2089 Depth=1
	s_wait_xcnt 0x0
	s_or_b32 exec_lo, exec_lo, s19
.LBB232_4016:                           ;   in Loop: Header=BB232_2089 Depth=1
	s_delay_alu instid0(SALU_CYCLE_1)
	s_or_b32 exec_lo, exec_lo, s18
.LBB232_4017:                           ;   in Loop: Header=BB232_2089 Depth=1
	s_delay_alu instid0(SALU_CYCLE_1) | instskip(SKIP_2) | instid1(VALU_DEP_1)
	s_or_b32 exec_lo, exec_lo, s17
	v_lshrrev_b16 v2, 8, v4
	s_mov_b32 s17, exec_lo
	v_cmpx_ne_u16_e32 0, v2
	s_cbranch_execz .LBB232_4025
; %bb.4018:                             ;   in Loop: Header=BB232_2089 Depth=1
	v_mov_b64_e32 v[6:7], 0x8000000000000000
	s_mov_b32 s18, exec_lo
	scratch_store_b64 off, v[6:7], s32 offset:1644 ; 8-byte Folded Spill
	s_wait_xcnt 0x0
	v_cmpx_ne_u16_e32 0x80, v2
	s_cbranch_execz .LBB232_4024
; %bb.4019:                             ;   in Loop: Header=BB232_2089 Depth=1
	v_and_b32_e32 v3, 0xffff, v2
	v_mov_b64_e32 v[6:7], 0x7f80000100000000
	s_mov_b32 s19, exec_lo
	s_delay_alu instid0(VALU_DEP_2)
	v_and_b32_e32 v2, 0x7f, v3
	scratch_store_b64 off, v[6:7], s32 offset:1644 ; 8-byte Folded Spill
	s_wait_xcnt 0x0
	v_cmpx_ne_u32_e32 0x7f, v2
	s_cbranch_execz .LBB232_4023
; %bb.4020:                             ;   in Loop: Header=BB232_2089 Depth=1
	scratch_load_b64 v[6:7], off, s32 offset:192 th:TH_LOAD_LU ; 8-byte Folded Reload
	s_wait_loadcnt 0x0
	v_dual_lshrrev_b32 v5, 3, v2 :: v_dual_bitop2_b32 v6, 7, v3 bitop3:0x40
	v_cmp_gt_u32_e64 s4, 8, v2
	s_delay_alu instid0(VALU_DEP_2)
	v_mov_b64_e32 v[2:3], v[6:7]
	s_wait_xcnt 0x0
	s_and_saveexec_b32 s20, s4
; %bb.4021:                             ;   in Loop: Header=BB232_2089 Depth=1
	v_clz_i32_u32_e32 v2, v6
	s_delay_alu instid0(VALU_DEP_1) | instskip(NEXT) | instid1(VALU_DEP_1)
	v_min_u32_e32 v5, 32, v2
	v_subrev_nc_u32_e32 v2, 28, v5
	s_delay_alu instid0(VALU_DEP_1) | instskip(NEXT) | instid1(VALU_DEP_1)
	v_lshlrev_b64_e32 v[2:3], v2, v[6:7]
	v_dual_sub_nc_u32 v5, 29, v5 :: v_dual_bitop2_b32 v2, 7, v2 bitop3:0x40
; %bb.4022:                             ;   in Loop: Header=BB232_2089 Depth=1
	s_or_b32 exec_lo, exec_lo, s20
	s_delay_alu instid0(VALU_DEP_1) | instskip(NEXT) | instid1(VALU_DEP_2)
	v_dual_lshlrev_b32 v3, 16, v4 :: v_dual_lshlrev_b32 v2, 20, v2
	v_lshl_add_u32 v5, v5, 23, 0x3c000000
	v_mov_b32_e32 v8, v7
	s_delay_alu instid0(VALU_DEP_3) | instskip(NEXT) | instid1(VALU_DEP_1)
	v_and_b32_e32 v3, 0x80000000, v3
	v_or3_b32 v9, v2, v3, v5
	v_mov_b32_e32 v3, v7
	s_clause 0x1
	scratch_store_b64 off, v[8:9], s32 offset:1644
	scratch_store_b64 off, v[2:3], s32 offset:192
.LBB232_4023:                           ;   in Loop: Header=BB232_2089 Depth=1
	s_wait_xcnt 0x0
	s_or_b32 exec_lo, exec_lo, s19
.LBB232_4024:                           ;   in Loop: Header=BB232_2089 Depth=1
	s_delay_alu instid0(SALU_CYCLE_1)
	s_or_b32 exec_lo, exec_lo, s18
.LBB232_4025:                           ;   in Loop: Header=BB232_2089 Depth=1
	s_delay_alu instid0(SALU_CYCLE_1) | instskip(SKIP_3) | instid1(VALU_DEP_1)
	s_or_b32 exec_lo, exec_lo, s17
	v_mov_b64_e32 v[6:7], 0
	v_lshrrev_b32_e32 v5, 16, v4
	s_mov_b32 s17, exec_lo
	v_and_b32_e32 v2, 0xff, v5
	scratch_store_b64 off, v[6:7], s32 offset:1676 ; 8-byte Folded Spill
	s_wait_xcnt 0x0
	v_mov_b64_e32 v[6:7], 0
	scratch_store_b64 off, v[6:7], s32 offset:1684 ; 8-byte Folded Spill
	s_wait_xcnt 0x0
	v_cmpx_ne_u16_e32 0, v2
	s_cbranch_execz .LBB232_4033
; %bb.4026:                             ;   in Loop: Header=BB232_2089 Depth=1
	v_cmp_ne_u16_e64 s4, 0x80, v2
	v_mov_b64_e32 v[2:3], 0x80000000
	scratch_store_b64 off, v[2:3], s32 offset:1684 ; 8-byte Folded Spill
	s_wait_xcnt 0x0
	s_and_saveexec_b32 s18, s4
	s_cbranch_execz .LBB232_4032
; %bb.4027:                             ;   in Loop: Header=BB232_2089 Depth=1
	v_mov_b64_e32 v[6:7], 0x7f800001
	v_bfe_u32 v2, v4, 16, 7
	s_mov_b32 s19, exec_lo
	scratch_store_b64 off, v[6:7], s32 offset:1684 ; 8-byte Folded Spill
	s_wait_xcnt 0x0
	v_cmpx_ne_u32_e32 0x7f, v2
	s_cbranch_execz .LBB232_4031
; %bb.4028:                             ;   in Loop: Header=BB232_2089 Depth=1
	scratch_load_b64 v[8:9], off, s32 offset:192 th:TH_LOAD_LU ; 8-byte Folded Reload
	s_wait_loadcnt 0x0
	v_dual_lshrrev_b32 v6, 3, v2 :: v_dual_bitop2_b32 v8, 7, v5 bitop3:0x40
	v_cmp_gt_u32_e64 s4, 8, v2
	s_delay_alu instid0(VALU_DEP_2)
	v_mov_b64_e32 v[2:3], v[8:9]
	s_wait_xcnt 0x0
	s_and_saveexec_b32 s20, s4
; %bb.4029:                             ;   in Loop: Header=BB232_2089 Depth=1
	v_clz_i32_u32_e32 v2, v8
	s_delay_alu instid0(VALU_DEP_1) | instskip(NEXT) | instid1(VALU_DEP_1)
	v_min_u32_e32 v6, 32, v2
	v_subrev_nc_u32_e32 v2, 28, v6
	v_sub_nc_u32_e32 v6, 29, v6
	s_delay_alu instid0(VALU_DEP_2) | instskip(NEXT) | instid1(VALU_DEP_1)
	v_lshlrev_b64_e32 v[2:3], v2, v[8:9]
	v_and_b32_e32 v2, 7, v2
; %bb.4030:                             ;   in Loop: Header=BB232_2089 Depth=1
	s_or_b32 exec_lo, exec_lo, s20
	s_delay_alu instid0(VALU_DEP_1) | instskip(SKIP_1) | instid1(VALU_DEP_2)
	v_dual_lshlrev_b32 v3, 24, v5 :: v_dual_lshlrev_b32 v2, 20, v2
	v_lshl_add_u32 v5, v6, 23, 0x3c000000
	v_and_b32_e32 v3, 0x80000000, v3
	s_delay_alu instid0(VALU_DEP_1)
	v_or3_b32 v8, v2, v3, v5
	v_mov_b32_e32 v3, v9
	s_clause 0x1
	scratch_store_b64 off, v[2:3], s32 offset:192
	scratch_store_b64 off, v[8:9], s32 offset:1684
.LBB232_4031:                           ;   in Loop: Header=BB232_2089 Depth=1
	s_wait_xcnt 0x0
	s_or_b32 exec_lo, exec_lo, s19
.LBB232_4032:                           ;   in Loop: Header=BB232_2089 Depth=1
	s_delay_alu instid0(SALU_CYCLE_1)
	s_or_b32 exec_lo, exec_lo, s18
.LBB232_4033:                           ;   in Loop: Header=BB232_2089 Depth=1
	s_delay_alu instid0(SALU_CYCLE_1) | instskip(NEXT) | instid1(SALU_CYCLE_1)
	s_or_b32 exec_lo, exec_lo, s17
	s_mov_b32 s17, exec_lo
	v_cmpx_lt_u32_e32 0xffffff, v4
	s_cbranch_execz .LBB232_4041
; %bb.4034:                             ;   in Loop: Header=BB232_2089 Depth=1
	v_mov_b64_e32 v[2:3], 0x8000000000000000
	v_lshrrev_b32_e32 v5, 24, v4
	s_mov_b32 s18, exec_lo
	scratch_store_b64 off, v[2:3], s32 offset:1676 ; 8-byte Folded Spill
	s_wait_xcnt 0x0
	v_cmpx_ne_u32_e32 0x80, v5
	s_cbranch_execz .LBB232_4040
; %bb.4035:                             ;   in Loop: Header=BB232_2089 Depth=1
	v_mov_b64_e32 v[6:7], 0x7f80000100000000
	v_bfe_u32 v2, v4, 24, 7
	s_mov_b32 s19, exec_lo
	scratch_store_b64 off, v[6:7], s32 offset:1676 ; 8-byte Folded Spill
	s_wait_xcnt 0x0
	v_cmpx_ne_u32_e32 0x7f, v2
	s_cbranch_execz .LBB232_4039
; %bb.4036:                             ;   in Loop: Header=BB232_2089 Depth=1
	scratch_load_b64 v[6:7], off, s32 offset:192 th:TH_LOAD_LU ; 8-byte Folded Reload
	s_wait_loadcnt 0x0
	v_dual_lshrrev_b32 v4, 3, v2 :: v_dual_bitop2_b32 v6, 7, v5 bitop3:0x40
	v_cmp_gt_u32_e64 s4, 8, v2
	s_delay_alu instid0(VALU_DEP_2)
	v_mov_b64_e32 v[2:3], v[6:7]
	s_wait_xcnt 0x0
	s_and_saveexec_b32 s20, s4
; %bb.4037:                             ;   in Loop: Header=BB232_2089 Depth=1
	v_clz_i32_u32_e32 v2, v6
	s_delay_alu instid0(VALU_DEP_1) | instskip(NEXT) | instid1(VALU_DEP_1)
	v_min_u32_e32 v4, 32, v2
	v_subrev_nc_u32_e32 v2, 28, v4
	s_delay_alu instid0(VALU_DEP_1) | instskip(NEXT) | instid1(VALU_DEP_1)
	v_lshlrev_b64_e32 v[2:3], v2, v[6:7]
	v_dual_sub_nc_u32 v4, 29, v4 :: v_dual_bitop2_b32 v2, 7, v2 bitop3:0x40
; %bb.4038:                             ;   in Loop: Header=BB232_2089 Depth=1
	s_or_b32 exec_lo, exec_lo, s20
	s_delay_alu instid0(VALU_DEP_1) | instskip(NEXT) | instid1(VALU_DEP_2)
	v_dual_lshlrev_b32 v3, 24, v5 :: v_dual_lshlrev_b32 v2, 20, v2
	v_lshl_add_u32 v4, v4, 23, 0x3c000000
	s_delay_alu instid0(VALU_DEP_2) | instskip(NEXT) | instid1(VALU_DEP_1)
	v_and_b32_e32 v3, 0x80000000, v3
	v_or3_b32 v5, v2, v3, v4
	v_dual_mov_b32 v3, v7 :: v_dual_mov_b32 v4, v7
	s_clause 0x1
	scratch_store_b64 off, v[2:3], s32 offset:192
	scratch_store_b64 off, v[4:5], s32 offset:1676
.LBB232_4039:                           ;   in Loop: Header=BB232_2089 Depth=1
	s_wait_xcnt 0x0
	s_or_b32 exec_lo, exec_lo, s19
.LBB232_4040:                           ;   in Loop: Header=BB232_2089 Depth=1
	s_delay_alu instid0(SALU_CYCLE_1)
	s_or_b32 exec_lo, exec_lo, s18
.LBB232_4041:                           ;   in Loop: Header=BB232_2089 Depth=1
	s_delay_alu instid0(SALU_CYCLE_1)
	s_or_b32 exec_lo, exec_lo, s17
	flat_load_b32 v4, v[0:1] offset:7808
	v_mov_b64_e32 v[6:7], 0
	s_mov_b32 s17, exec_lo
	scratch_store_b64 off, v[6:7], s32 offset:1708 ; 8-byte Folded Spill
	s_wait_xcnt 0x0
	v_mov_b64_e32 v[6:7], 0
	scratch_store_b64 off, v[6:7], s32 offset:1716 ; 8-byte Folded Spill
	s_wait_loadcnt_dscnt 0x0
	v_and_b32_e32 v2, 0xff, v4
	s_wait_xcnt 0x0
	s_delay_alu instid0(VALU_DEP_1)
	v_cmpx_ne_u16_e32 0, v2
	s_cbranch_execz .LBB232_4049
; %bb.4042:                             ;   in Loop: Header=BB232_2089 Depth=1
	v_cmp_ne_u16_e64 s4, 0x80, v2
	v_mov_b64_e32 v[2:3], 0x80000000
	scratch_store_b64 off, v[2:3], s32 offset:1716 ; 8-byte Folded Spill
	s_wait_xcnt 0x0
	s_and_saveexec_b32 s18, s4
	s_cbranch_execz .LBB232_4048
; %bb.4043:                             ;   in Loop: Header=BB232_2089 Depth=1
	v_mov_b64_e32 v[6:7], 0x7f800001
	v_and_b32_e32 v2, 0x7f, v4
	s_mov_b32 s19, exec_lo
	scratch_store_b64 off, v[6:7], s32 offset:1716 ; 8-byte Folded Spill
	s_wait_xcnt 0x0
	v_cmpx_ne_u32_e32 0x7f, v2
	s_cbranch_execz .LBB232_4047
; %bb.4044:                             ;   in Loop: Header=BB232_2089 Depth=1
	scratch_load_b64 v[6:7], off, s32 offset:192 th:TH_LOAD_LU ; 8-byte Folded Reload
	s_wait_loadcnt 0x0
	v_dual_lshrrev_b32 v5, 3, v2 :: v_dual_bitop2_b32 v6, 7, v4 bitop3:0x40
	v_cmp_gt_u32_e64 s4, 8, v2
	s_delay_alu instid0(VALU_DEP_2)
	v_mov_b64_e32 v[2:3], v[6:7]
	s_wait_xcnt 0x0
	s_and_saveexec_b32 s20, s4
; %bb.4045:                             ;   in Loop: Header=BB232_2089 Depth=1
	v_clz_i32_u32_e32 v2, v6
	s_delay_alu instid0(VALU_DEP_1) | instskip(NEXT) | instid1(VALU_DEP_1)
	v_min_u32_e32 v5, 32, v2
	v_subrev_nc_u32_e32 v2, 28, v5
	s_delay_alu instid0(VALU_DEP_1) | instskip(NEXT) | instid1(VALU_DEP_1)
	v_lshlrev_b64_e32 v[2:3], v2, v[6:7]
	v_dual_sub_nc_u32 v5, 29, v5 :: v_dual_bitop2_b32 v2, 7, v2 bitop3:0x40
; %bb.4046:                             ;   in Loop: Header=BB232_2089 Depth=1
	s_or_b32 exec_lo, exec_lo, s20
	s_delay_alu instid0(VALU_DEP_1) | instskip(NEXT) | instid1(VALU_DEP_2)
	v_dual_lshlrev_b32 v3, 24, v4 :: v_dual_lshlrev_b32 v2, 20, v2
	v_lshl_add_u32 v5, v5, 23, 0x3c000000
	s_delay_alu instid0(VALU_DEP_2) | instskip(NEXT) | instid1(VALU_DEP_1)
	v_and_b32_e32 v3, 0x80000000, v3
	v_or3_b32 v6, v2, v3, v5
	v_mov_b32_e32 v3, v7
	s_clause 0x1
	scratch_store_b64 off, v[2:3], s32 offset:192
	scratch_store_b64 off, v[6:7], s32 offset:1716
.LBB232_4047:                           ;   in Loop: Header=BB232_2089 Depth=1
	s_wait_xcnt 0x0
	s_or_b32 exec_lo, exec_lo, s19
.LBB232_4048:                           ;   in Loop: Header=BB232_2089 Depth=1
	s_delay_alu instid0(SALU_CYCLE_1)
	s_or_b32 exec_lo, exec_lo, s18
.LBB232_4049:                           ;   in Loop: Header=BB232_2089 Depth=1
	s_delay_alu instid0(SALU_CYCLE_1) | instskip(SKIP_2) | instid1(VALU_DEP_1)
	s_or_b32 exec_lo, exec_lo, s17
	v_lshrrev_b16 v2, 8, v4
	s_mov_b32 s17, exec_lo
	v_cmpx_ne_u16_e32 0, v2
	s_cbranch_execz .LBB232_4057
; %bb.4050:                             ;   in Loop: Header=BB232_2089 Depth=1
	v_mov_b64_e32 v[6:7], 0x8000000000000000
	s_mov_b32 s18, exec_lo
	scratch_store_b64 off, v[6:7], s32 offset:1708 ; 8-byte Folded Spill
	s_wait_xcnt 0x0
	v_cmpx_ne_u16_e32 0x80, v2
	s_cbranch_execz .LBB232_4056
; %bb.4051:                             ;   in Loop: Header=BB232_2089 Depth=1
	v_and_b32_e32 v3, 0xffff, v2
	v_mov_b64_e32 v[6:7], 0x7f80000100000000
	s_mov_b32 s19, exec_lo
	s_delay_alu instid0(VALU_DEP_2)
	v_and_b32_e32 v2, 0x7f, v3
	scratch_store_b64 off, v[6:7], s32 offset:1708 ; 8-byte Folded Spill
	s_wait_xcnt 0x0
	v_cmpx_ne_u32_e32 0x7f, v2
	s_cbranch_execz .LBB232_4055
; %bb.4052:                             ;   in Loop: Header=BB232_2089 Depth=1
	scratch_load_b64 v[6:7], off, s32 offset:192 th:TH_LOAD_LU ; 8-byte Folded Reload
	s_wait_loadcnt 0x0
	v_dual_lshrrev_b32 v5, 3, v2 :: v_dual_bitop2_b32 v6, 7, v3 bitop3:0x40
	v_cmp_gt_u32_e64 s4, 8, v2
	s_delay_alu instid0(VALU_DEP_2)
	v_mov_b64_e32 v[2:3], v[6:7]
	s_wait_xcnt 0x0
	s_and_saveexec_b32 s20, s4
; %bb.4053:                             ;   in Loop: Header=BB232_2089 Depth=1
	v_clz_i32_u32_e32 v2, v6
	s_delay_alu instid0(VALU_DEP_1) | instskip(NEXT) | instid1(VALU_DEP_1)
	v_min_u32_e32 v5, 32, v2
	v_subrev_nc_u32_e32 v2, 28, v5
	s_delay_alu instid0(VALU_DEP_1) | instskip(NEXT) | instid1(VALU_DEP_1)
	v_lshlrev_b64_e32 v[2:3], v2, v[6:7]
	v_dual_sub_nc_u32 v5, 29, v5 :: v_dual_bitop2_b32 v2, 7, v2 bitop3:0x40
; %bb.4054:                             ;   in Loop: Header=BB232_2089 Depth=1
	s_or_b32 exec_lo, exec_lo, s20
	s_delay_alu instid0(VALU_DEP_1) | instskip(NEXT) | instid1(VALU_DEP_2)
	v_dual_lshlrev_b32 v3, 16, v4 :: v_dual_lshlrev_b32 v2, 20, v2
	v_lshl_add_u32 v5, v5, 23, 0x3c000000
	v_mov_b32_e32 v8, v7
	s_delay_alu instid0(VALU_DEP_3) | instskip(NEXT) | instid1(VALU_DEP_1)
	v_and_b32_e32 v3, 0x80000000, v3
	v_or3_b32 v9, v2, v3, v5
	v_mov_b32_e32 v3, v7
	s_clause 0x1
	scratch_store_b64 off, v[8:9], s32 offset:1708
	scratch_store_b64 off, v[2:3], s32 offset:192
.LBB232_4055:                           ;   in Loop: Header=BB232_2089 Depth=1
	s_wait_xcnt 0x0
	s_or_b32 exec_lo, exec_lo, s19
.LBB232_4056:                           ;   in Loop: Header=BB232_2089 Depth=1
	s_delay_alu instid0(SALU_CYCLE_1)
	s_or_b32 exec_lo, exec_lo, s18
.LBB232_4057:                           ;   in Loop: Header=BB232_2089 Depth=1
	s_delay_alu instid0(SALU_CYCLE_1) | instskip(SKIP_4) | instid1(VALU_DEP_3)
	s_or_b32 exec_lo, exec_lo, s17
	v_lshrrev_b32_e32 v5, 16, v4
	v_mov_b64_e32 v[6:7], 0
	v_mov_b64_e32 v[8:9], 0
	s_mov_b32 s17, exec_lo
	v_and_b32_e32 v2, 0xff, v5
	scratch_store_b64 off, v[6:7], s32 offset:1740 ; 8-byte Folded Spill
	s_wait_xcnt 0x0
	v_cmpx_ne_u16_e32 0, v2
	s_cbranch_execz .LBB232_4065
; %bb.4058:                             ;   in Loop: Header=BB232_2089 Depth=1
	v_mov_b64_e32 v[8:9], 0x80000000
	s_mov_b32 s18, exec_lo
	v_cmpx_ne_u16_e32 0x80, v2
	s_cbranch_execz .LBB232_4064
; %bb.4059:                             ;   in Loop: Header=BB232_2089 Depth=1
	v_mov_b64_e32 v[8:9], 0x7f800001
	v_bfe_u32 v2, v4, 16, 7
	s_mov_b32 s19, exec_lo
	s_delay_alu instid0(VALU_DEP_1)
	v_cmpx_ne_u32_e32 0x7f, v2
	s_cbranch_execz .LBB232_4063
; %bb.4060:                             ;   in Loop: Header=BB232_2089 Depth=1
	scratch_load_b64 v[8:9], off, s32 offset:192 th:TH_LOAD_LU ; 8-byte Folded Reload
	s_wait_loadcnt 0x0
	v_dual_lshrrev_b32 v6, 3, v2 :: v_dual_bitop2_b32 v8, 7, v5 bitop3:0x40
	v_cmp_gt_u32_e64 s4, 8, v2
	s_delay_alu instid0(VALU_DEP_2)
	v_mov_b64_e32 v[2:3], v[8:9]
	s_wait_xcnt 0x0
	s_and_saveexec_b32 s20, s4
; %bb.4061:                             ;   in Loop: Header=BB232_2089 Depth=1
	v_clz_i32_u32_e32 v2, v8
	s_delay_alu instid0(VALU_DEP_1) | instskip(NEXT) | instid1(VALU_DEP_1)
	v_min_u32_e32 v6, 32, v2
	v_subrev_nc_u32_e32 v2, 28, v6
	v_sub_nc_u32_e32 v6, 29, v6
	s_delay_alu instid0(VALU_DEP_2) | instskip(NEXT) | instid1(VALU_DEP_1)
	v_lshlrev_b64_e32 v[2:3], v2, v[8:9]
	v_and_b32_e32 v2, 7, v2
; %bb.4062:                             ;   in Loop: Header=BB232_2089 Depth=1
	s_or_b32 exec_lo, exec_lo, s20
	s_delay_alu instid0(VALU_DEP_1) | instskip(SKIP_1) | instid1(VALU_DEP_2)
	v_dual_lshlrev_b32 v3, 24, v5 :: v_dual_lshlrev_b32 v2, 20, v2
	v_lshl_add_u32 v5, v6, 23, 0x3c000000
	v_and_b32_e32 v3, 0x80000000, v3
	s_delay_alu instid0(VALU_DEP_1)
	v_or3_b32 v8, v2, v3, v5
	v_mov_b32_e32 v3, v9
	scratch_store_b64 off, v[2:3], s32 offset:192 ; 8-byte Folded Spill
.LBB232_4063:                           ;   in Loop: Header=BB232_2089 Depth=1
	s_wait_xcnt 0x0
	s_or_b32 exec_lo, exec_lo, s19
.LBB232_4064:                           ;   in Loop: Header=BB232_2089 Depth=1
	s_delay_alu instid0(SALU_CYCLE_1)
	s_or_b32 exec_lo, exec_lo, s18
.LBB232_4065:                           ;   in Loop: Header=BB232_2089 Depth=1
	s_delay_alu instid0(SALU_CYCLE_1) | instskip(NEXT) | instid1(SALU_CYCLE_1)
	s_or_b32 exec_lo, exec_lo, s17
	s_mov_b32 s17, exec_lo
	v_cmpx_lt_u32_e32 0xffffff, v4
	s_cbranch_execz .LBB232_4073
; %bb.4066:                             ;   in Loop: Header=BB232_2089 Depth=1
	v_mov_b64_e32 v[2:3], 0x8000000000000000
	v_lshrrev_b32_e32 v5, 24, v4
	s_mov_b32 s18, exec_lo
	scratch_store_b64 off, v[2:3], s32 offset:1740 ; 8-byte Folded Spill
	s_wait_xcnt 0x0
	v_cmpx_ne_u32_e32 0x80, v5
	s_cbranch_execz .LBB232_4072
; %bb.4067:                             ;   in Loop: Header=BB232_2089 Depth=1
	v_mov_b64_e32 v[6:7], 0x7f80000100000000
	v_bfe_u32 v2, v4, 24, 7
	s_mov_b32 s19, exec_lo
	scratch_store_b64 off, v[6:7], s32 offset:1740 ; 8-byte Folded Spill
	s_wait_xcnt 0x0
	v_cmpx_ne_u32_e32 0x7f, v2
	s_cbranch_execz .LBB232_4071
; %bb.4068:                             ;   in Loop: Header=BB232_2089 Depth=1
	scratch_load_b64 v[6:7], off, s32 offset:192 th:TH_LOAD_LU ; 8-byte Folded Reload
	s_wait_loadcnt 0x0
	v_dual_lshrrev_b32 v4, 3, v2 :: v_dual_bitop2_b32 v6, 7, v5 bitop3:0x40
	v_cmp_gt_u32_e64 s4, 8, v2
	s_delay_alu instid0(VALU_DEP_2)
	v_mov_b64_e32 v[2:3], v[6:7]
	s_wait_xcnt 0x0
	s_and_saveexec_b32 s20, s4
; %bb.4069:                             ;   in Loop: Header=BB232_2089 Depth=1
	v_clz_i32_u32_e32 v2, v6
	s_delay_alu instid0(VALU_DEP_1) | instskip(NEXT) | instid1(VALU_DEP_1)
	v_min_u32_e32 v4, 32, v2
	v_subrev_nc_u32_e32 v2, 28, v4
	s_delay_alu instid0(VALU_DEP_1) | instskip(NEXT) | instid1(VALU_DEP_1)
	v_lshlrev_b64_e32 v[2:3], v2, v[6:7]
	v_dual_sub_nc_u32 v4, 29, v4 :: v_dual_bitop2_b32 v2, 7, v2 bitop3:0x40
; %bb.4070:                             ;   in Loop: Header=BB232_2089 Depth=1
	s_or_b32 exec_lo, exec_lo, s20
	s_delay_alu instid0(VALU_DEP_1) | instskip(NEXT) | instid1(VALU_DEP_2)
	v_dual_lshlrev_b32 v3, 24, v5 :: v_dual_lshlrev_b32 v2, 20, v2
	v_lshl_add_u32 v4, v4, 23, 0x3c000000
	s_delay_alu instid0(VALU_DEP_2) | instskip(NEXT) | instid1(VALU_DEP_1)
	v_and_b32_e32 v3, 0x80000000, v3
	v_or3_b32 v5, v2, v3, v4
	v_dual_mov_b32 v3, v7 :: v_dual_mov_b32 v4, v7
	s_clause 0x1
	scratch_store_b64 off, v[2:3], s32 offset:192
	scratch_store_b64 off, v[4:5], s32 offset:1740
.LBB232_4071:                           ;   in Loop: Header=BB232_2089 Depth=1
	s_wait_xcnt 0x0
	s_or_b32 exec_lo, exec_lo, s19
.LBB232_4072:                           ;   in Loop: Header=BB232_2089 Depth=1
	s_delay_alu instid0(SALU_CYCLE_1)
	s_or_b32 exec_lo, exec_lo, s18
.LBB232_4073:                           ;   in Loop: Header=BB232_2089 Depth=1
	s_delay_alu instid0(SALU_CYCLE_1)
	s_or_b32 exec_lo, exec_lo, s17
	flat_load_b32 v2, v[0:1] offset:7936
	v_mov_b64_e32 v[4:5], 0
	s_mov_b32 s17, exec_lo
	scratch_store_b64 off, v[4:5], s32 offset:1764 ; 8-byte Folded Spill
	s_wait_xcnt 0x0
	v_mov_b64_e32 v[4:5], 0
	scratch_store_b64 off, v[4:5], s32 offset:1780 ; 8-byte Folded Spill
	s_wait_loadcnt_dscnt 0x0
	v_and_b32_e32 v0, 0xff, v2
	s_wait_xcnt 0x0
	s_delay_alu instid0(VALU_DEP_1)
	v_cmpx_ne_u16_e32 0, v0
	s_cbranch_execz .LBB232_4081
; %bb.4074:                             ;   in Loop: Header=BB232_2089 Depth=1
	v_cmp_ne_u16_e64 s4, 0x80, v0
	v_mov_b64_e32 v[0:1], 0x80000000
	scratch_store_b64 off, v[0:1], s32 offset:1780 ; 8-byte Folded Spill
	s_wait_xcnt 0x0
	s_and_saveexec_b32 s18, s4
	s_cbranch_execz .LBB232_4080
; %bb.4075:                             ;   in Loop: Header=BB232_2089 Depth=1
	v_mov_b64_e32 v[4:5], 0x7f800001
	v_and_b32_e32 v0, 0x7f, v2
	s_mov_b32 s19, exec_lo
	scratch_store_b64 off, v[4:5], s32 offset:1780 ; 8-byte Folded Spill
	s_wait_xcnt 0x0
	v_cmpx_ne_u32_e32 0x7f, v0
	s_cbranch_execz .LBB232_4079
; %bb.4076:                             ;   in Loop: Header=BB232_2089 Depth=1
	scratch_load_b64 v[4:5], off, s32 offset:192 th:TH_LOAD_LU ; 8-byte Folded Reload
	s_wait_loadcnt 0x0
	v_dual_lshrrev_b32 v3, 3, v0 :: v_dual_bitop2_b32 v4, 7, v2 bitop3:0x40
	v_cmp_gt_u32_e64 s4, 8, v0
	s_delay_alu instid0(VALU_DEP_2)
	v_mov_b64_e32 v[0:1], v[4:5]
	s_wait_xcnt 0x0
	s_and_saveexec_b32 s20, s4
; %bb.4077:                             ;   in Loop: Header=BB232_2089 Depth=1
	v_clz_i32_u32_e32 v0, v4
	s_delay_alu instid0(VALU_DEP_1) | instskip(NEXT) | instid1(VALU_DEP_1)
	v_min_u32_e32 v3, 32, v0
	v_subrev_nc_u32_e32 v0, 28, v3
	s_delay_alu instid0(VALU_DEP_1) | instskip(NEXT) | instid1(VALU_DEP_1)
	v_lshlrev_b64_e32 v[0:1], v0, v[4:5]
	v_dual_sub_nc_u32 v3, 29, v3 :: v_dual_bitop2_b32 v0, 7, v0 bitop3:0x40
; %bb.4078:                             ;   in Loop: Header=BB232_2089 Depth=1
	s_or_b32 exec_lo, exec_lo, s20
	s_delay_alu instid0(VALU_DEP_1) | instskip(NEXT) | instid1(VALU_DEP_2)
	v_dual_lshlrev_b32 v1, 24, v2 :: v_dual_lshlrev_b32 v0, 20, v0
	v_lshl_add_u32 v3, v3, 23, 0x3c000000
	s_delay_alu instid0(VALU_DEP_2) | instskip(NEXT) | instid1(VALU_DEP_1)
	v_and_b32_e32 v1, 0x80000000, v1
	v_or3_b32 v4, v0, v1, v3
	v_mov_b32_e32 v1, v5
	s_clause 0x1
	scratch_store_b64 off, v[0:1], s32 offset:192
	scratch_store_b64 off, v[4:5], s32 offset:1780
.LBB232_4079:                           ;   in Loop: Header=BB232_2089 Depth=1
	s_wait_xcnt 0x0
	s_or_b32 exec_lo, exec_lo, s19
.LBB232_4080:                           ;   in Loop: Header=BB232_2089 Depth=1
	s_delay_alu instid0(SALU_CYCLE_1)
	s_or_b32 exec_lo, exec_lo, s18
.LBB232_4081:                           ;   in Loop: Header=BB232_2089 Depth=1
	s_delay_alu instid0(SALU_CYCLE_1) | instskip(SKIP_2) | instid1(VALU_DEP_1)
	s_or_b32 exec_lo, exec_lo, s17
	v_lshrrev_b16 v0, 8, v2
	s_mov_b32 s17, exec_lo
	v_cmpx_ne_u16_e32 0, v0
	s_cbranch_execz .LBB232_4089
; %bb.4082:                             ;   in Loop: Header=BB232_2089 Depth=1
	v_mov_b64_e32 v[4:5], 0x8000000000000000
	s_mov_b32 s18, exec_lo
	scratch_store_b64 off, v[4:5], s32 offset:1764 ; 8-byte Folded Spill
	s_wait_xcnt 0x0
	v_cmpx_ne_u16_e32 0x80, v0
	s_cbranch_execz .LBB232_4088
; %bb.4083:                             ;   in Loop: Header=BB232_2089 Depth=1
	v_and_b32_e32 v1, 0xffff, v0
	v_mov_b64_e32 v[4:5], 0x7f80000100000000
	s_mov_b32 s19, exec_lo
	s_delay_alu instid0(VALU_DEP_2)
	v_and_b32_e32 v0, 0x7f, v1
	scratch_store_b64 off, v[4:5], s32 offset:1764 ; 8-byte Folded Spill
	s_wait_xcnt 0x0
	v_cmpx_ne_u32_e32 0x7f, v0
	s_cbranch_execz .LBB232_4087
; %bb.4084:                             ;   in Loop: Header=BB232_2089 Depth=1
	scratch_load_b64 v[4:5], off, s32 offset:192 th:TH_LOAD_LU ; 8-byte Folded Reload
	s_wait_loadcnt 0x0
	v_dual_lshrrev_b32 v3, 3, v0 :: v_dual_bitop2_b32 v4, 7, v1 bitop3:0x40
	v_cmp_gt_u32_e64 s4, 8, v0
	s_delay_alu instid0(VALU_DEP_2)
	v_mov_b64_e32 v[0:1], v[4:5]
	s_wait_xcnt 0x0
	s_and_saveexec_b32 s20, s4
; %bb.4085:                             ;   in Loop: Header=BB232_2089 Depth=1
	v_clz_i32_u32_e32 v0, v4
	s_delay_alu instid0(VALU_DEP_1) | instskip(NEXT) | instid1(VALU_DEP_1)
	v_min_u32_e32 v3, 32, v0
	v_subrev_nc_u32_e32 v0, 28, v3
	s_delay_alu instid0(VALU_DEP_1) | instskip(NEXT) | instid1(VALU_DEP_1)
	v_lshlrev_b64_e32 v[0:1], v0, v[4:5]
	v_dual_sub_nc_u32 v3, 29, v3 :: v_dual_bitop2_b32 v0, 7, v0 bitop3:0x40
; %bb.4086:                             ;   in Loop: Header=BB232_2089 Depth=1
	s_or_b32 exec_lo, exec_lo, s20
	s_delay_alu instid0(VALU_DEP_1) | instskip(NEXT) | instid1(VALU_DEP_2)
	v_dual_lshlrev_b32 v1, 16, v2 :: v_dual_lshlrev_b32 v0, 20, v0
	v_lshl_add_u32 v3, v3, 23, 0x3c000000
	v_mov_b32_e32 v6, v5
	s_delay_alu instid0(VALU_DEP_3) | instskip(NEXT) | instid1(VALU_DEP_1)
	v_and_b32_e32 v1, 0x80000000, v1
	v_or3_b32 v7, v0, v1, v3
	v_mov_b32_e32 v1, v5
	s_clause 0x1
	scratch_store_b64 off, v[6:7], s32 offset:1764
	scratch_store_b64 off, v[0:1], s32 offset:192
.LBB232_4087:                           ;   in Loop: Header=BB232_2089 Depth=1
	s_wait_xcnt 0x0
	s_or_b32 exec_lo, exec_lo, s19
.LBB232_4088:                           ;   in Loop: Header=BB232_2089 Depth=1
	s_delay_alu instid0(SALU_CYCLE_1)
	s_or_b32 exec_lo, exec_lo, s18
.LBB232_4089:                           ;   in Loop: Header=BB232_2089 Depth=1
	s_delay_alu instid0(SALU_CYCLE_1) | instskip(SKIP_3) | instid1(VALU_DEP_1)
	s_or_b32 exec_lo, exec_lo, s17
	v_mov_b64_e32 v[4:5], 0
	v_lshrrev_b32_e32 v3, 16, v2
	s_mov_b32 s17, exec_lo
	v_and_b32_e32 v0, 0xff, v3
	scratch_store_b64 off, v[4:5], s32 offset:1812 ; 8-byte Folded Spill
	s_wait_xcnt 0x0
	v_mov_b64_e32 v[4:5], 0
	scratch_store_b64 off, v[4:5], s32 offset:1820 ; 8-byte Folded Spill
	s_wait_xcnt 0x0
	v_cmpx_ne_u16_e32 0, v0
	s_cbranch_execz .LBB232_4097
; %bb.4090:                             ;   in Loop: Header=BB232_2089 Depth=1
	v_cmp_ne_u16_e64 s4, 0x80, v0
	v_mov_b64_e32 v[0:1], 0x80000000
	scratch_store_b64 off, v[0:1], s32 offset:1820 ; 8-byte Folded Spill
	s_wait_xcnt 0x0
	s_and_saveexec_b32 s18, s4
	s_cbranch_execz .LBB232_4096
; %bb.4091:                             ;   in Loop: Header=BB232_2089 Depth=1
	v_mov_b64_e32 v[4:5], 0x7f800001
	v_bfe_u32 v0, v2, 16, 7
	s_mov_b32 s19, exec_lo
	scratch_store_b64 off, v[4:5], s32 offset:1820 ; 8-byte Folded Spill
	s_wait_xcnt 0x0
	v_cmpx_ne_u32_e32 0x7f, v0
	s_cbranch_execz .LBB232_4095
; %bb.4092:                             ;   in Loop: Header=BB232_2089 Depth=1
	scratch_load_b64 v[6:7], off, s32 offset:192 th:TH_LOAD_LU ; 8-byte Folded Reload
	s_wait_loadcnt 0x0
	v_dual_lshrrev_b32 v4, 3, v0 :: v_dual_bitop2_b32 v6, 7, v3 bitop3:0x40
	v_cmp_gt_u32_e64 s4, 8, v0
	s_delay_alu instid0(VALU_DEP_2)
	v_mov_b64_e32 v[0:1], v[6:7]
	s_wait_xcnt 0x0
	s_and_saveexec_b32 s20, s4
; %bb.4093:                             ;   in Loop: Header=BB232_2089 Depth=1
	v_clz_i32_u32_e32 v0, v6
	s_delay_alu instid0(VALU_DEP_1) | instskip(NEXT) | instid1(VALU_DEP_1)
	v_min_u32_e32 v4, 32, v0
	v_subrev_nc_u32_e32 v0, 28, v4
	v_sub_nc_u32_e32 v4, 29, v4
	s_delay_alu instid0(VALU_DEP_2) | instskip(NEXT) | instid1(VALU_DEP_1)
	v_lshlrev_b64_e32 v[0:1], v0, v[6:7]
	v_and_b32_e32 v0, 7, v0
; %bb.4094:                             ;   in Loop: Header=BB232_2089 Depth=1
	s_or_b32 exec_lo, exec_lo, s20
	s_delay_alu instid0(VALU_DEP_1) | instskip(SKIP_1) | instid1(VALU_DEP_2)
	v_dual_lshlrev_b32 v1, 24, v3 :: v_dual_lshlrev_b32 v0, 20, v0
	v_lshl_add_u32 v3, v4, 23, 0x3c000000
	v_and_b32_e32 v1, 0x80000000, v1
	s_delay_alu instid0(VALU_DEP_1)
	v_or3_b32 v6, v0, v1, v3
	v_mov_b32_e32 v1, v7
	s_clause 0x1
	scratch_store_b64 off, v[0:1], s32 offset:192
	scratch_store_b64 off, v[6:7], s32 offset:1820
.LBB232_4095:                           ;   in Loop: Header=BB232_2089 Depth=1
	s_wait_xcnt 0x0
	s_or_b32 exec_lo, exec_lo, s19
.LBB232_4096:                           ;   in Loop: Header=BB232_2089 Depth=1
	s_delay_alu instid0(SALU_CYCLE_1)
	s_or_b32 exec_lo, exec_lo, s18
.LBB232_4097:                           ;   in Loop: Header=BB232_2089 Depth=1
	s_delay_alu instid0(SALU_CYCLE_1) | instskip(NEXT) | instid1(SALU_CYCLE_1)
	s_or_b32 exec_lo, exec_lo, s17
	s_mov_b32 s17, exec_lo
	v_cmpx_lt_u32_e32 0xffffff, v2
	s_cbranch_execz .LBB232_4105
; %bb.4098:                             ;   in Loop: Header=BB232_2089 Depth=1
	v_mov_b64_e32 v[0:1], 0x8000000000000000
	v_lshrrev_b32_e32 v3, 24, v2
	s_mov_b32 s18, exec_lo
	scratch_store_b64 off, v[0:1], s32 offset:1812 ; 8-byte Folded Spill
	s_wait_xcnt 0x0
	v_cmpx_ne_u32_e32 0x80, v3
	s_cbranch_execz .LBB232_4104
; %bb.4099:                             ;   in Loop: Header=BB232_2089 Depth=1
	v_mov_b64_e32 v[4:5], 0x7f80000100000000
	v_bfe_u32 v0, v2, 24, 7
	s_mov_b32 s19, exec_lo
	scratch_store_b64 off, v[4:5], s32 offset:1812 ; 8-byte Folded Spill
	s_wait_xcnt 0x0
	v_cmpx_ne_u32_e32 0x7f, v0
	s_cbranch_execz .LBB232_4103
; %bb.4100:                             ;   in Loop: Header=BB232_2089 Depth=1
	scratch_load_b64 v[4:5], off, s32 offset:192 th:TH_LOAD_LU ; 8-byte Folded Reload
	s_wait_loadcnt 0x0
	v_dual_lshrrev_b32 v2, 3, v0 :: v_dual_bitop2_b32 v4, 7, v3 bitop3:0x40
	v_cmp_gt_u32_e64 s4, 8, v0
	s_delay_alu instid0(VALU_DEP_2)
	v_mov_b64_e32 v[0:1], v[4:5]
	s_wait_xcnt 0x0
	s_and_saveexec_b32 s20, s4
; %bb.4101:                             ;   in Loop: Header=BB232_2089 Depth=1
	v_clz_i32_u32_e32 v0, v4
	s_delay_alu instid0(VALU_DEP_1) | instskip(NEXT) | instid1(VALU_DEP_1)
	v_min_u32_e32 v2, 32, v0
	v_subrev_nc_u32_e32 v0, 28, v2
	s_delay_alu instid0(VALU_DEP_1) | instskip(NEXT) | instid1(VALU_DEP_1)
	v_lshlrev_b64_e32 v[0:1], v0, v[4:5]
	v_dual_sub_nc_u32 v2, 29, v2 :: v_dual_bitop2_b32 v0, 7, v0 bitop3:0x40
; %bb.4102:                             ;   in Loop: Header=BB232_2089 Depth=1
	s_or_b32 exec_lo, exec_lo, s20
	s_delay_alu instid0(VALU_DEP_1) | instskip(NEXT) | instid1(VALU_DEP_2)
	v_dual_lshlrev_b32 v1, 24, v3 :: v_dual_lshlrev_b32 v0, 20, v0
	v_lshl_add_u32 v2, v2, 23, 0x3c000000
	s_delay_alu instid0(VALU_DEP_2) | instskip(NEXT) | instid1(VALU_DEP_1)
	v_and_b32_e32 v1, 0x80000000, v1
	v_or3_b32 v3, v0, v1, v2
	v_dual_mov_b32 v1, v5 :: v_dual_mov_b32 v2, v5
	s_clause 0x1
	scratch_store_b64 off, v[0:1], s32 offset:192
	scratch_store_b64 off, v[2:3], s32 offset:1812
.LBB232_4103:                           ;   in Loop: Header=BB232_2089 Depth=1
	s_wait_xcnt 0x0
	s_or_b32 exec_lo, exec_lo, s19
.LBB232_4104:                           ;   in Loop: Header=BB232_2089 Depth=1
	s_delay_alu instid0(SALU_CYCLE_1)
	s_or_b32 exec_lo, exec_lo, s18
.LBB232_4105:                           ;   in Loop: Header=BB232_2089 Depth=1
	s_delay_alu instid0(SALU_CYCLE_1)
	s_or_b32 exec_lo, exec_lo, s17
	s_clause 0x1
	scratch_load_b64 v[0:1], off, s32 offset:2484
	scratch_load_b64 v[2:3], off, s32 offset:200 th:TH_LOAD_LU
	v_mov_b64_e32 v[4:5], 0
	s_mov_b32 s17, exec_lo
	scratch_store_b64 off, v[4:5], s32 offset:200 ; 8-byte Folded Spill
	s_wait_xcnt 0x0
	v_mov_b64_e32 v[4:5], 0
	scratch_store_b64 off, v[4:5], s32 offset:1844 ; 8-byte Folded Spill
	s_wait_loadcnt 0x0
	v_add_nc_u64_e32 v[0:1], v[2:3], v[0:1]
	flat_load_b32 v2, v[0:1]
	s_wait_loadcnt_dscnt 0x0
	v_and_b32_e32 v0, 0xff, v2
	s_delay_alu instid0(VALU_DEP_1)
	v_cmpx_ne_u16_e32 0, v0
	s_cbranch_execz .LBB232_4113
; %bb.4106:                             ;   in Loop: Header=BB232_2089 Depth=1
	v_cmp_ne_u16_e64 s4, 0x80, v0
	v_mov_b64_e32 v[0:1], 0x80000000
	scratch_store_b64 off, v[0:1], s32 offset:1844 ; 8-byte Folded Spill
	s_wait_xcnt 0x0
	s_and_saveexec_b32 s18, s4
	s_cbranch_execz .LBB232_4112
; %bb.4107:                             ;   in Loop: Header=BB232_2089 Depth=1
	v_mov_b64_e32 v[4:5], 0x7f800001
	v_and_b32_e32 v0, 0x7f, v2
	s_mov_b32 s19, exec_lo
	scratch_store_b64 off, v[4:5], s32 offset:1844 ; 8-byte Folded Spill
	s_wait_xcnt 0x0
	v_cmpx_ne_u32_e32 0x7f, v0
	s_cbranch_execz .LBB232_4111
; %bb.4108:                             ;   in Loop: Header=BB232_2089 Depth=1
	scratch_load_b64 v[4:5], off, s32 offset:192 th:TH_LOAD_LU ; 8-byte Folded Reload
	s_wait_loadcnt 0x0
	v_dual_lshrrev_b32 v3, 3, v0 :: v_dual_bitop2_b32 v4, 7, v2 bitop3:0x40
	v_cmp_gt_u32_e64 s4, 8, v0
	s_delay_alu instid0(VALU_DEP_2)
	v_mov_b64_e32 v[0:1], v[4:5]
	s_wait_xcnt 0x0
	s_and_saveexec_b32 s20, s4
; %bb.4109:                             ;   in Loop: Header=BB232_2089 Depth=1
	v_clz_i32_u32_e32 v0, v4
	s_delay_alu instid0(VALU_DEP_1) | instskip(NEXT) | instid1(VALU_DEP_1)
	v_min_u32_e32 v3, 32, v0
	v_subrev_nc_u32_e32 v0, 28, v3
	s_delay_alu instid0(VALU_DEP_1) | instskip(NEXT) | instid1(VALU_DEP_1)
	v_lshlrev_b64_e32 v[0:1], v0, v[4:5]
	v_dual_sub_nc_u32 v3, 29, v3 :: v_dual_bitop2_b32 v0, 7, v0 bitop3:0x40
; %bb.4110:                             ;   in Loop: Header=BB232_2089 Depth=1
	s_or_b32 exec_lo, exec_lo, s20
	s_delay_alu instid0(VALU_DEP_1) | instskip(NEXT) | instid1(VALU_DEP_2)
	v_dual_lshlrev_b32 v1, 24, v2 :: v_dual_lshlrev_b32 v0, 20, v0
	v_lshl_add_u32 v3, v3, 23, 0x3c000000
	s_delay_alu instid0(VALU_DEP_2) | instskip(NEXT) | instid1(VALU_DEP_1)
	v_and_b32_e32 v1, 0x80000000, v1
	v_or3_b32 v4, v0, v1, v3
	v_mov_b32_e32 v1, v5
	s_clause 0x1
	scratch_store_b64 off, v[0:1], s32 offset:192
	scratch_store_b64 off, v[4:5], s32 offset:1844
.LBB232_4111:                           ;   in Loop: Header=BB232_2089 Depth=1
	s_wait_xcnt 0x0
	s_or_b32 exec_lo, exec_lo, s19
.LBB232_4112:                           ;   in Loop: Header=BB232_2089 Depth=1
	s_delay_alu instid0(SALU_CYCLE_1)
	s_or_b32 exec_lo, exec_lo, s18
.LBB232_4113:                           ;   in Loop: Header=BB232_2089 Depth=1
	s_delay_alu instid0(SALU_CYCLE_1) | instskip(SKIP_2) | instid1(VALU_DEP_1)
	s_or_b32 exec_lo, exec_lo, s17
	v_lshrrev_b16 v0, 8, v2
	s_mov_b32 s17, exec_lo
	v_cmpx_ne_u16_e32 0, v0
	s_cbranch_execz .LBB232_4121
; %bb.4114:                             ;   in Loop: Header=BB232_2089 Depth=1
	v_mov_b64_e32 v[4:5], 0x8000000000000000
	s_mov_b32 s18, exec_lo
	scratch_store_b64 off, v[4:5], s32 offset:200 ; 8-byte Folded Spill
	s_wait_xcnt 0x0
	v_cmpx_ne_u16_e32 0x80, v0
	s_cbranch_execz .LBB232_4120
; %bb.4115:                             ;   in Loop: Header=BB232_2089 Depth=1
	v_and_b32_e32 v1, 0xffff, v0
	v_mov_b64_e32 v[4:5], 0x7f80000100000000
	s_mov_b32 s19, exec_lo
	s_delay_alu instid0(VALU_DEP_2)
	v_and_b32_e32 v0, 0x7f, v1
	scratch_store_b64 off, v[4:5], s32 offset:200 ; 8-byte Folded Spill
	s_wait_xcnt 0x0
	v_cmpx_ne_u32_e32 0x7f, v0
	s_cbranch_execz .LBB232_4119
; %bb.4116:                             ;   in Loop: Header=BB232_2089 Depth=1
	scratch_load_b64 v[4:5], off, s32 offset:192 th:TH_LOAD_LU ; 8-byte Folded Reload
	s_wait_loadcnt 0x0
	v_dual_lshrrev_b32 v3, 3, v0 :: v_dual_bitop2_b32 v4, 7, v1 bitop3:0x40
	v_cmp_gt_u32_e64 s4, 8, v0
	s_delay_alu instid0(VALU_DEP_2)
	v_mov_b64_e32 v[0:1], v[4:5]
	s_wait_xcnt 0x0
	s_and_saveexec_b32 s20, s4
; %bb.4117:                             ;   in Loop: Header=BB232_2089 Depth=1
	v_clz_i32_u32_e32 v0, v4
	s_delay_alu instid0(VALU_DEP_1) | instskip(NEXT) | instid1(VALU_DEP_1)
	v_min_u32_e32 v3, 32, v0
	v_subrev_nc_u32_e32 v0, 28, v3
	s_delay_alu instid0(VALU_DEP_1) | instskip(NEXT) | instid1(VALU_DEP_1)
	v_lshlrev_b64_e32 v[0:1], v0, v[4:5]
	v_dual_sub_nc_u32 v3, 29, v3 :: v_dual_bitop2_b32 v0, 7, v0 bitop3:0x40
; %bb.4118:                             ;   in Loop: Header=BB232_2089 Depth=1
	s_or_b32 exec_lo, exec_lo, s20
	s_delay_alu instid0(VALU_DEP_1) | instskip(NEXT) | instid1(VALU_DEP_2)
	v_dual_lshlrev_b32 v1, 16, v2 :: v_dual_lshlrev_b32 v0, 20, v0
	v_lshl_add_u32 v3, v3, 23, 0x3c000000
	v_mov_b32_e32 v6, v5
	s_delay_alu instid0(VALU_DEP_3) | instskip(NEXT) | instid1(VALU_DEP_1)
	v_and_b32_e32 v1, 0x80000000, v1
	v_or3_b32 v7, v0, v1, v3
	v_mov_b32_e32 v1, v5
	s_clause 0x1
	scratch_store_b64 off, v[6:7], s32 offset:200
	scratch_store_b64 off, v[0:1], s32 offset:192
.LBB232_4119:                           ;   in Loop: Header=BB232_2089 Depth=1
	s_wait_xcnt 0x0
	s_or_b32 exec_lo, exec_lo, s19
.LBB232_4120:                           ;   in Loop: Header=BB232_2089 Depth=1
	s_delay_alu instid0(SALU_CYCLE_1)
	s_or_b32 exec_lo, exec_lo, s18
.LBB232_4121:                           ;   in Loop: Header=BB232_2089 Depth=1
	s_delay_alu instid0(SALU_CYCLE_1) | instskip(SKIP_4) | instid1(VALU_DEP_3)
	s_or_b32 exec_lo, exec_lo, s17
	v_lshrrev_b32_e32 v3, 16, v2
	v_mov_b64_e32 v[4:5], 0
	v_mov_b64_e32 v[6:7], 0
	s_mov_b32 s17, exec_lo
	v_and_b32_e32 v0, 0xff, v3
	scratch_store_b64 off, v[4:5], s32 offset:1908 ; 8-byte Folded Spill
	s_wait_xcnt 0x0
	v_cmpx_ne_u16_e32 0, v0
	s_cbranch_execz .LBB232_4129
; %bb.4122:                             ;   in Loop: Header=BB232_2089 Depth=1
	v_mov_b64_e32 v[6:7], 0x80000000
	s_mov_b32 s18, exec_lo
	v_cmpx_ne_u16_e32 0x80, v0
	s_cbranch_execz .LBB232_4128
; %bb.4123:                             ;   in Loop: Header=BB232_2089 Depth=1
	v_mov_b64_e32 v[6:7], 0x7f800001
	v_bfe_u32 v0, v2, 16, 7
	s_mov_b32 s19, exec_lo
	s_delay_alu instid0(VALU_DEP_1)
	v_cmpx_ne_u32_e32 0x7f, v0
	s_cbranch_execz .LBB232_4127
; %bb.4124:                             ;   in Loop: Header=BB232_2089 Depth=1
	scratch_load_b64 v[6:7], off, s32 offset:192 th:TH_LOAD_LU ; 8-byte Folded Reload
	s_wait_loadcnt 0x0
	v_dual_lshrrev_b32 v4, 3, v0 :: v_dual_bitop2_b32 v6, 7, v3 bitop3:0x40
	v_cmp_gt_u32_e64 s4, 8, v0
	s_delay_alu instid0(VALU_DEP_2)
	v_mov_b64_e32 v[0:1], v[6:7]
	s_wait_xcnt 0x0
	s_and_saveexec_b32 s20, s4
; %bb.4125:                             ;   in Loop: Header=BB232_2089 Depth=1
	v_clz_i32_u32_e32 v0, v6
	s_delay_alu instid0(VALU_DEP_1) | instskip(NEXT) | instid1(VALU_DEP_1)
	v_min_u32_e32 v4, 32, v0
	v_subrev_nc_u32_e32 v0, 28, v4
	v_sub_nc_u32_e32 v4, 29, v4
	s_delay_alu instid0(VALU_DEP_2) | instskip(NEXT) | instid1(VALU_DEP_1)
	v_lshlrev_b64_e32 v[0:1], v0, v[6:7]
	v_and_b32_e32 v0, 7, v0
; %bb.4126:                             ;   in Loop: Header=BB232_2089 Depth=1
	s_or_b32 exec_lo, exec_lo, s20
	s_delay_alu instid0(VALU_DEP_1) | instskip(SKIP_1) | instid1(VALU_DEP_2)
	v_dual_lshlrev_b32 v1, 24, v3 :: v_dual_lshlrev_b32 v0, 20, v0
	v_lshl_add_u32 v3, v4, 23, 0x3c000000
	v_and_b32_e32 v1, 0x80000000, v1
	s_delay_alu instid0(VALU_DEP_1)
	v_or3_b32 v6, v0, v1, v3
	v_mov_b32_e32 v1, v7
	scratch_store_b64 off, v[0:1], s32 offset:192 ; 8-byte Folded Spill
.LBB232_4127:                           ;   in Loop: Header=BB232_2089 Depth=1
	s_wait_xcnt 0x0
	s_or_b32 exec_lo, exec_lo, s19
.LBB232_4128:                           ;   in Loop: Header=BB232_2089 Depth=1
	s_delay_alu instid0(SALU_CYCLE_1)
	s_or_b32 exec_lo, exec_lo, s18
.LBB232_4129:                           ;   in Loop: Header=BB232_2089 Depth=1
	s_delay_alu instid0(SALU_CYCLE_1) | instskip(NEXT) | instid1(SALU_CYCLE_1)
	s_or_b32 exec_lo, exec_lo, s17
	s_mov_b32 s17, exec_lo
	s_clause 0x15
	scratch_store_b64 off, v[6:7], s32 offset:2388
	scratch_store_b64 off, v[8:9], s32 offset:2372
	scratch_store_b32 off, v64, s32 offset:2340
	scratch_store_b32 off, v39, s32 offset:2324
	scratch_store_b32 off, v38, s32 offset:2292
	scratch_store_b64 off, v[82:83], s32 offset:2276
	scratch_store_b64 off, v[52:53], s32 offset:2260
	;; [unrolled: 1-line block ×17, first 2 shown]
	s_wait_xcnt 0x0
	v_cmpx_lt_u32_e32 0xffffff, v2
	s_cbranch_execz .LBB232_2088
; %bb.4130:                             ;   in Loop: Header=BB232_2089 Depth=1
	v_mov_b64_e32 v[6:7], 0x8000000000000000
	v_lshrrev_b32_e32 v3, 24, v2
	s_mov_b32 s18, exec_lo
	s_delay_alu instid0(VALU_DEP_1)
	v_cmpx_ne_u32_e32 0x80, v3
	s_cbranch_execz .LBB232_2087
; %bb.4131:                             ;   in Loop: Header=BB232_2089 Depth=1
	v_mov_b64_e32 v[6:7], 0x7f80000100000000
	v_bfe_u32 v0, v2, 24, 7
	s_mov_b32 s19, exec_lo
	s_delay_alu instid0(VALU_DEP_1)
	v_cmpx_ne_u32_e32 0x7f, v0
	s_cbranch_execz .LBB232_2086
; %bb.4132:                             ;   in Loop: Header=BB232_2089 Depth=1
	scratch_load_b64 v[4:5], off, s32 offset:192 th:TH_LOAD_LU ; 8-byte Folded Reload
	s_wait_loadcnt 0x0
	v_dual_lshrrev_b32 v2, 3, v0 :: v_dual_bitop2_b32 v4, 7, v3 bitop3:0x40
	v_cmp_gt_u32_e64 s4, 8, v0
	s_delay_alu instid0(VALU_DEP_2)
	v_mov_b64_e32 v[0:1], v[4:5]
	s_wait_xcnt 0x0
	s_and_saveexec_b32 s20, s4
	s_cbranch_execz .LBB232_2085
; %bb.4133:                             ;   in Loop: Header=BB232_2089 Depth=1
	v_clz_i32_u32_e32 v0, v4
	s_delay_alu instid0(VALU_DEP_1) | instskip(NEXT) | instid1(VALU_DEP_1)
	v_min_u32_e32 v2, 32, v0
	v_subrev_nc_u32_e32 v0, 28, v2
	s_delay_alu instid0(VALU_DEP_1) | instskip(NEXT) | instid1(VALU_DEP_1)
	v_lshlrev_b64_e32 v[0:1], v0, v[4:5]
	v_dual_sub_nc_u32 v2, 29, v2 :: v_dual_bitop2_b32 v0, 7, v0 bitop3:0x40
	s_branch .LBB232_2085
.LBB232_4134:
	s_or_b32 exec_lo, exec_lo, s16
	s_clause 0xd
	scratch_load_b64 v[70:71], off, s32 offset:2036
	scratch_load_b64 v[68:69], off, s32 offset:2044
	;; [unrolled: 1-line block ×14, first 2 shown]
	v_mov_b64_e32 v[0:1], s[10:11]
.LBB232_4135:
	s_wait_xcnt 0x0
	s_or_b32 exec_lo, exec_lo, s15
	v_mov_b64_e32 v[20:21], v[86:87]
	s_wait_loadcnt 0x0
	s_wait_storecnt 0x0
	s_barrier_signal -1
	s_barrier_wait -1
	s_clause 0x1
	scratch_load_b32 v87, off, s32 offset:2532 th:TH_LOAD_LU
	scratch_load_b32 v97, off, s32 offset:2548 th:TH_LOAD_LU
	v_lshl_add_u64 v[0:1], v[0:1], 2, s[8:9]
	scratch_load_b64 v[44:45], off, s32 offset:1924 th:TH_LOAD_LU ; 8-byte Folded Reload
	v_mov_b64_e32 v[110:111], v[20:21]
	v_mov_b64_e32 v[76:77], v[24:25]
	;; [unrolled: 1-line block ×3, first 2 shown]
	global_load_b32 v0, v[0:1], off
	v_mov_b64_e32 v[88:89], v[54:55]
	v_mov_b64_e32 v[90:91], v[28:29]
	;; [unrolled: 1-line block ×13, first 2 shown]
	s_mov_b32 s1, exec_lo
	s_wait_loadcnt 0x3
	ds_bpermute_b32 v4, v87, v98
	s_wait_loadcnt 0x2
	v_cmp_eq_u32_e32 vcc_lo, 0, v97
	scratch_load_b32 v97, off, s32 offset:3112 th:TH_LOAD_LU ; 4-byte Folded Reload
	ds_bpermute_b32 v5, v87, v99
	ds_bpermute_b32 v6, v87, v82
	ds_bpermute_b32 v7, v87, v83
	s_wait_xcnt 0x1
	ds_bpermute_b32 v1, v87, v69
	s_wait_loadcnt 0x1
	scratch_store_b32 off, v0, s32 offset:192 ; 4-byte Folded Spill
	s_wait_xcnt 0x0
	ds_bpermute_b32 v0, v87, v68
	ds_bpermute_b32 v2, v87, v70
	;; [unrolled: 1-line block ×15, first 2 shown]
	s_wait_dscnt 0x12
	v_pk_add_f32 v[4:5], v[98:99], v[4:5]
	ds_bpermute_b32 v20, v87, v110
	s_wait_dscnt 0x11
	v_pk_add_f32 v[6:7], v[82:83], v[6:7]
	ds_bpermute_b32 v82, v87, v112
	ds_bpermute_b32 v83, v87, v113
	;; [unrolled: 1-line block ×21, first 2 shown]
	s_wait_dscnt 0x13
	v_pk_add_f32 v[82:83], v[112:113], v[82:83]
	ds_bpermute_b32 v48, v87, v66
	ds_bpermute_b32 v49, v87, v67
	;; [unrolled: 1-line block ×10, first 2 shown]
	v_pk_add_f32 v[0:1], v[68:69], v[0:1]
	ds_bpermute_b32 v68, v87, v118
	ds_bpermute_b32 v69, v87, v119
	v_pk_add_f32 v[2:3], v[70:71], v[2:3]
	ds_bpermute_b32 v70, v87, v116
	ds_bpermute_b32 v71, v87, v117
	v_mov_b64_e32 v[46:47], v[80:81]
	ds_bpermute_b32 v80, v87, v114
	ds_bpermute_b32 v81, v87, v115
	v_pk_add_f32 v[8:9], v[84:85], v[8:9]
	ds_bpermute_b32 v84, v87, v102
	ds_bpermute_b32 v85, v87, v103
	;; [unrolled: 1-line block ×3, first 2 shown]
	v_pk_add_f32 v[10:11], v[106:107], v[10:11]
	v_pk_add_f32 v[12:13], v[104:105], v[12:13]
	;; [unrolled: 1-line block ×5, first 2 shown]
	s_wait_dscnt 0x25
	v_pk_add_f32 v[20:21], v[110:111], v[20:21]
	s_wait_dscnt 0x23
	v_pk_add_f32 v[22:23], v[46:47], v[22:23]
	;; [unrolled: 2-line block ×8, first 2 shown]
	v_pk_add_f32 v[34:35], v[62:63], v[34:35]
	v_pk_add_f32 v[36:37], v[60:61], v[36:37]
	s_wait_dscnt 0x3
	v_pk_add_f32 v[80:81], v[114:115], v[80:81]
	v_pk_add_f32 v[38:39], v[58:59], v[38:39]
	;; [unrolled: 1-line block ×3, first 2 shown]
	s_wait_dscnt 0x1
	v_pk_add_f32 v[84:85], v[102:103], v[84:85]
	v_pk_add_f32 v[50:51], v[108:109], v[50:51]
	;; [unrolled: 1-line block ×6, first 2 shown]
	s_wait_loadcnt 0x0
	v_lshrrev_b32_e32 v99, 3, v97
	scratch_load_b32 v97, off, s32 offset:3116 th:TH_LOAD_LU ; 4-byte Folded Reload
	s_wait_loadcnt 0x0
	v_lshlrev_b32_e32 v98, 10, v97
	scratch_load_b32 v97, off, s32 offset:2516 th:TH_LOAD_LU ; 4-byte Folded Reload
	s_wait_loadcnt 0x0
	ds_bpermute_b32 v112, v97, v4
	ds_bpermute_b32 v113, v97, v5
	;; [unrolled: 1-line block ×21, first 2 shown]
	s_wait_dscnt 0x13
	v_pk_add_f32 v[4:5], v[4:5], v[112:113]
	ds_bpermute_b32 v112, v97, v82
	ds_bpermute_b32 v113, v97, v83
	;; [unrolled: 1-line block ×21, first 2 shown]
	s_wait_dscnt 0x13
	v_pk_add_f32 v[112:113], v[82:83], v[112:113]
	scratch_load_b32 v82, off, s32 offset:2500 th:TH_LOAD_LU ; 4-byte Folded Reload
	ds_bpermute_b32 v52, v87, v44
	ds_bpermute_b32 v53, v87, v45
	;; [unrolled: 1-line block ×11, first 2 shown]
	v_pk_add_f32 v[2:3], v[2:3], v[102:103]
	ds_bpermute_b32 v102, v97, v80
	ds_bpermute_b32 v103, v97, v81
	v_pk_add_f32 v[6:7], v[6:7], v[114:115]
	ds_bpermute_b32 v114, v97, v84
	ds_bpermute_b32 v115, v97, v85
	v_pk_add_f32 v[8:9], v[8:9], v[116:117]
	v_pk_add_f32 v[18:19], v[18:19], v[46:47]
	s_wait_dscnt 0x11
	v_pk_add_f32 v[46:47], v[48:49], v[92:93]
	v_pk_add_f32 v[10:11], v[10:11], v[118:119]
	s_wait_dscnt 0xd
	v_pk_add_f32 v[52:53], v[44:45], v[52:53]
	s_wait_dscnt 0xc
	v_pk_add_f32 v[86:87], v[100:101], v[86:87]
	ds_bpermute_b32 v100, v97, v0
	ds_bpermute_b32 v101, v97, v1
	;; [unrolled: 1-line block ×8, first 2 shown]
	v_pk_add_f32 v[30:31], v[30:31], v[74:75]
	s_wait_dscnt 0xc
	v_pk_add_f32 v[74:75], v[68:69], v[120:121]
	v_pk_add_f32 v[12:13], v[12:13], v[40:41]
	;; [unrolled: 1-line block ×5, first 2 shown]
	s_wait_dscnt 0xa
	v_pk_add_f32 v[102:103], v[80:81], v[102:103]
	v_pk_add_f32 v[14:15], v[14:15], v[42:43]
	;; [unrolled: 1-line block ×7, first 2 shown]
	s_wait_dscnt 0x6
	v_pk_add_f32 v[0:1], v[0:1], v[100:101]
	ds_bpermute_b32 v100, v97, v70
	ds_bpermute_b32 v101, v97, v71
	scratch_load_b32 v97, off, s32 offset:3108 ; 4-byte Folded Reload
	s_wait_dscnt 0x4
	v_pk_add_f32 v[58:59], v[52:53], v[104:105]
	v_pk_add_f32 v[16:17], v[16:17], v[44:45]
	s_wait_dscnt 0x2
	v_pk_add_f32 v[116:117], v[86:87], v[116:117]
	v_pk_add_f32 v[44:45], v[38:39], v[90:91]
	;; [unrolled: 1-line block ×6, first 2 shown]
	s_wait_dscnt 0x0
	v_pk_add_f32 v[100:101], v[70:71], v[100:101]
	s_wait_loadcnt 0x1
	ds_bpermute_b32 v48, v82, v8
	ds_bpermute_b32 v49, v82, v9
	ds_bpermute_b32 v50, v82, v10
	ds_bpermute_b32 v51, v82, v11
	ds_bpermute_b32 v80, v82, v74
	ds_bpermute_b32 v81, v82, v75
	ds_bpermute_b32 v32, v82, v0
	ds_bpermute_b32 v33, v82, v1
	ds_bpermute_b32 v34, v82, v2
	ds_bpermute_b32 v35, v82, v3
	ds_bpermute_b32 v36, v82, v4
	ds_bpermute_b32 v37, v82, v5
	ds_bpermute_b32 v38, v82, v6
	ds_bpermute_b32 v39, v82, v7
	ds_bpermute_b32 v54, v82, v12
	ds_bpermute_b32 v55, v82, v13
	ds_bpermute_b32 v78, v82, v18
	ds_bpermute_b32 v79, v82, v19
	ds_bpermute_b32 v52, v82, v58
	ds_bpermute_b32 v53, v82, v59
	ds_bpermute_b32 v76, v82, v16
	s_wait_dscnt 0x13
	v_pk_add_f32 v[84:85], v[8:9], v[48:49]
	ds_bpermute_b32 v8, v82, v116
	ds_bpermute_b32 v9, v82, v117
	s_wait_dscnt 0x13
	v_pk_add_f32 v[86:87], v[10:11], v[50:51]
	s_wait_dscnt 0x11
	v_pk_add_f32 v[10:11], v[74:75], v[80:81]
	scratch_load_b32 v81, off, s32 offset:192 ; 4-byte Folded Reload
	ds_bpermute_b32 v77, v82, v17
	ds_bpermute_b32 v88, v82, v20
	;; [unrolled: 1-line block ×21, first 2 shown]
	s_wait_loadcnt 0x1
	v_and_b32_e32 v96, 0x3c0, v97
	ds_bpermute_b32 v126, v82, v56
	ds_bpermute_b32 v127, v82, v57
	;; [unrolled: 1-line block ×4, first 2 shown]
	scratch_store_b32 off, v96, s32 offset:200 ; 4-byte Folded Spill
	s_wait_xcnt 0x0
	v_pk_add_f32 v[96:97], v[66:67], v[110:111]
	ds_bpermute_b32 v66, v82, v14
	ds_bpermute_b32 v67, v82, v15
	;; [unrolled: 1-line block ×8, first 2 shown]
	s_wait_dscnt 0x30
	v_pk_add_f32 v[72:73], v[0:1], v[32:33]
	ds_bpermute_b32 v0, v82, v100
	ds_bpermute_b32 v1, v82, v101
	s_wait_dscnt 0x30
	v_pk_add_f32 v[2:3], v[2:3], v[34:35]
	ds_bpermute_b32 v34, v82, v102
	ds_bpermute_b32 v35, v82, v103
	;; [unrolled: 4-line block ×4, first 2 shown]
	s_wait_dscnt 0x30
	v_pk_add_f32 v[82:83], v[12:13], v[54:55]
	s_wait_dscnt 0x2e
	v_pk_add_f32 v[54:55], v[18:19], v[78:79]
	;; [unrolled: 2-line block ×4, first 2 shown]
	scratch_load_b32 v8, off, s32 offset:200 th:TH_LOAD_LU ; 4-byte Folded Reload
	s_wait_dscnt 0xe
	v_pk_add_f32 v[6:7], v[14:15], v[66:67]
	v_pk_add_f32 v[66:67], v[16:17], v[76:77]
	;; [unrolled: 1-line block ×9, first 2 shown]
	s_wait_dscnt 0xc
	v_pk_add_f32 v[28:29], v[40:41], v[110:111]
	v_pk_add_f32 v[26:27], v[42:43], v[120:121]
	;; [unrolled: 1-line block ×6, first 2 shown]
	s_wait_dscnt 0xa
	v_pk_add_f32 v[14:15], v[62:63], v[68:69]
	s_wait_dscnt 0x8
	v_pk_add_f32 v[12:13], v[96:97], v[70:71]
	;; [unrolled: 2-line block ×6, first 2 shown]
	s_wait_loadcnt 0x1
	v_lshl_add_u32 v97, v99, 2, v81
	s_wait_loadcnt 0x0
	v_cmpx_eq_u32_e32 64, v8
	s_cbranch_execz .LBB232_4138
; %bb.4136:
	s_and_b32 exec_lo, exec_lo, vcc_lo
	s_cbranch_execz .LBB232_4138
; %bb.4137:
	v_add_nc_u32_e32 v8, v97, v98
	s_delay_alu instid0(VALU_DEP_1)
	v_add_nc_u32_e32 v9, 0xfffff800, v8
	v_add_nc_u32_e32 v34, 0xfffff810, v8
	v_add_nc_u32_e32 v35, 0xfffff820, v8
	v_add_nc_u32_e32 v36, 0xfffff830, v8
	v_add_nc_u32_e32 v37, 0xfffff840, v8
	v_add_nc_u32_e32 v38, 0xfffff850, v8
	v_add_nc_u32_e32 v39, 0xfffff860, v8
	v_add_nc_u32_e32 v80, 0xfffff870, v8
	ds_store_b32 v9, v72
	ds_store_b32 v34, v73
	ds_store_b32 v35, v2
	ds_store_b32 v36, v3
	ds_store_b32 v37, v4
	ds_store_b32 v38, v5
	ds_store_b32 v39, v32
	ds_store_b32 v80, v33
	v_add_nc_u32_e32 v9, 0xfffff880, v8
	v_add_nc_u32_e32 v34, 0xfffff890, v8
	v_add_nc_u32_e32 v35, 0xfffff8a0, v8
	v_add_nc_u32_e32 v36, 0xfffff8b0, v8
	v_add_nc_u32_e32 v37, 0xfffff8c0, v8
	v_add_nc_u32_e32 v38, 0xfffff8d0, v8
	v_add_nc_u32_e32 v39, 0xfffff8e0, v8
	v_add_nc_u32_e32 v80, 0xfffff8f0, v8
	ds_store_b32 v9, v84
	ds_store_b32 v34, v85
	ds_store_b32 v35, v86
	ds_store_b32 v36, v87
	ds_store_b32 v37, v82
	ds_store_b32 v38, v83
	ds_store_b32 v39, v6
	ds_store_b32 v80, v7
	;; [unrolled: 16-line block ×8, first 2 shown]
.LBB232_4138:
	s_or_b32 exec_lo, exec_lo, s1
	scratch_load_b32 v9, off, s32 offset:3108 ; 4-byte Folded Reload
	v_lshlrev_b32_e32 v8, 2, v99
	s_mov_b32 s1, exec_lo
	s_wait_storecnt 0x0
	s_wait_loadcnt_dscnt 0x0
	s_barrier_signal -1
	s_barrier_wait -1
	v_add3_u32 v96, v81, v98, v8
	v_and_b32_e32 v9, 0x3c7, v9
	s_delay_alu instid0(VALU_DEP_1)
	v_cmpx_eq_u32_e32 0, v9
	s_cbranch_execz .LBB232_4140
; %bb.4139:
	ds_load_2addr_b32 v[8:9], v96 offset1:4
	ds_load_2addr_b32 v[34:35], v96 offset0:8 offset1:12
	ds_load_2addr_b32 v[36:37], v96 offset0:16 offset1:20
	ds_load_2addr_b32 v[38:39], v96 offset0:24 offset1:28
	ds_load_2addr_b32 v[80:81], v96 offset0:32 offset1:36
	ds_load_2addr_b32 v[98:99], v96 offset0:40 offset1:44
	ds_load_2addr_b32 v[100:101], v96 offset0:48 offset1:52
	ds_load_2addr_b32 v[102:103], v96 offset0:56 offset1:60
	ds_load_2addr_b32 v[112:113], v96 offset0:64 offset1:68
	ds_load_2addr_b32 v[114:115], v96 offset0:72 offset1:76
	ds_load_2addr_b32 v[116:117], v96 offset0:80 offset1:84
	ds_load_2addr_b32 v[118:119], v96 offset0:88 offset1:92
	s_wait_dscnt 0xb
	v_pk_add_f32 v[72:73], v[8:9], v[72:73]
	s_wait_dscnt 0xa
	v_pk_add_f32 v[2:3], v[34:35], v[2:3]
	;; [unrolled: 2-line block ×12, first 2 shown]
	ds_load_2addr_b32 v[8:9], v96 offset0:96 offset1:100
	ds_load_2addr_b32 v[34:35], v96 offset0:104 offset1:108
	;; [unrolled: 1-line block ×20, first 2 shown]
	s_wait_dscnt 0x13
	v_pk_add_f32 v[90:91], v[8:9], v[90:91]
	s_wait_dscnt 0x12
	v_pk_add_f32 v[88:89], v[34:35], v[88:89]
	;; [unrolled: 2-line block ×20, first 2 shown]
.LBB232_4140:
	s_or_b32 exec_lo, exec_lo, s1
	scratch_load_b32 v8, off, s32 offset:3108 ; 4-byte Folded Reload
	s_mov_b32 s1, exec_lo
	s_wait_loadcnt 0x0
	s_barrier_signal -1
	s_barrier_wait -1
	v_and_b32_e32 v98, 0x3e7, v8
	s_wait_xcnt 0x0
	s_delay_alu instid0(VALU_DEP_1)
	v_cmpx_eq_u32_e32 32, v98
	s_cbranch_execz .LBB232_4142
; %bb.4141:
	ds_store_2addr_b32 v97, v72, v73 offset1:4
	ds_store_2addr_b32 v97, v2, v3 offset0:8 offset1:12
	ds_store_2addr_b32 v97, v4, v5 offset0:16 offset1:20
	;; [unrolled: 1-line block ×31, first 2 shown]
.LBB232_4142:
	s_or_b32 exec_lo, exec_lo, s1
	s_delay_alu instid0(SALU_CYCLE_1)
	s_mov_b32 s1, exec_lo
	s_wait_dscnt 0x0
	s_barrier_signal -1
	s_barrier_wait -1
	v_cmpx_eq_u32_e32 0, v98
	s_cbranch_execz .LBB232_4144
; %bb.4143:
	ds_load_2addr_b32 v[8:9], v96 offset1:4
	ds_load_2addr_b32 v[34:35], v96 offset0:8 offset1:12
	ds_load_2addr_b32 v[36:37], v96 offset0:16 offset1:20
	ds_load_2addr_b32 v[38:39], v96 offset0:24 offset1:28
	ds_load_2addr_b32 v[80:81], v96 offset0:32 offset1:36
	ds_load_2addr_b32 v[98:99], v96 offset0:40 offset1:44
	ds_load_2addr_b32 v[100:101], v96 offset0:48 offset1:52
	ds_load_2addr_b32 v[102:103], v96 offset0:56 offset1:60
	ds_load_2addr_b32 v[112:113], v96 offset0:64 offset1:68
	ds_load_2addr_b32 v[114:115], v96 offset0:72 offset1:76
	ds_load_2addr_b32 v[116:117], v96 offset0:80 offset1:84
	ds_load_2addr_b32 v[118:119], v96 offset0:88 offset1:92
	s_wait_dscnt 0xb
	v_pk_add_f32 v[72:73], v[8:9], v[72:73]
	s_wait_dscnt 0xa
	v_pk_add_f32 v[2:3], v[34:35], v[2:3]
	;; [unrolled: 2-line block ×12, first 2 shown]
	ds_load_2addr_b32 v[8:9], v96 offset0:96 offset1:100
	ds_load_2addr_b32 v[34:35], v96 offset0:104 offset1:108
	;; [unrolled: 1-line block ×20, first 2 shown]
	s_wait_dscnt 0x13
	v_pk_add_f32 v[90:91], v[8:9], v[90:91]
	s_wait_dscnt 0x12
	v_pk_add_f32 v[88:89], v[34:35], v[88:89]
	;; [unrolled: 2-line block ×20, first 2 shown]
.LBB232_4144:
	s_or_b32 exec_lo, exec_lo, s1
	scratch_load_b32 v8, off, s32 offset:3108 ; 4-byte Folded Reload
	s_mov_b32 s1, exec_lo
	s_wait_loadcnt 0x0
	s_barrier_signal -1
	s_barrier_wait -1
	s_wait_xcnt 0x0
	v_cmpx_gt_u32_e32 32, v8
	s_cbranch_execz .LBB232_4147
; %bb.4145:
	s_and_b32 exec_lo, exec_lo, vcc_lo
	s_cbranch_execz .LBB232_4147
; %bb.4146:
	s_clause 0x1
	scratch_load_b64 v[8:9], off, s32 offset:3164 th:TH_LOAD_LU
	scratch_load_b32 v34, off, s32 offset:3108 th:TH_LOAD_LU
	s_and_b32 s0, 0xffff, s14
	s_mov_b32 s3, 0
	s_cmp_lg_u32 s0, 0
	v_mov_b32_e32 v35, 0
	s_cselect_b32 s0, -1, 0
	s_delay_alu instid0(SALU_CYCLE_1)
	s_cmp_lg_u32 s0, 0
	s_wait_kmcnt 0x0
	s_add_co_ci_u32 s0, s7, 0
	s_bfe_u32 s7, ttmp6, 0x40014
	s_mul_i32 s4, s12, s0
	s_lshr_b32 s2, ttmp7, 16
	s_mul_i32 s4, s4, s13
	s_add_co_i32 s7, s7, 1
	s_lshl_b32 s8, s4, 8
	s_bfe_u32 s10, ttmp6, 0x40008
	s_ashr_i32 s9, s8, 31
	s_mul_i32 s6, s6, s0
	s_mul_i32 s0, s2, s7
	s_ashr_i32 s7, s6, 31
	s_add_co_i32 s10, s10, s0
	s_cmp_eq_u32 s5, 0
	s_cselect_b32 s0, s2, s10
	s_delay_alu instid0(SALU_CYCLE_1) | instskip(SKIP_4) | instid1(VALU_DEP_2)
	s_lshl_b32 s2, s0, 10
	s_wait_loadcnt 0x1
	v_lshl_add_u64 v[8:9], s[8:9], 2, v[8:9]
	s_wait_loadcnt 0x0
	v_lshrrev_b32_e32 v34, 1, v34
	v_lshl_add_u64 v[8:9], s[6:7], 2, v[8:9]
	s_delay_alu instid0(VALU_DEP_2) | instskip(NEXT) | instid1(VALU_DEP_2)
	v_and_b32_e32 v34, 0x1fc, v34
	v_add_nc_u64_e32 v[8:9], s[2:3], v[8:9]
	s_delay_alu instid0(VALU_DEP_1)
	v_add_nc_u64_e32 v[8:9], v[8:9], v[34:35]
	s_clause 0x3e
	flat_store_b32 v[8:9], v72
	flat_store_b32 v[8:9], v73 offset:16
	flat_store_b32 v[8:9], v2 offset:32
	;; [unrolled: 1-line block ×63, first 2 shown]
.LBB232_4147:
	s_wait_xcnt 0x0
	s_or_b32 exec_lo, exec_lo, s1
	s_clause 0x2f
	scratch_load_b32 v127, off, s32
	scratch_load_b32 v126, off, s32 offset:4
	scratch_load_b32 v125, off, s32 offset:8
	;; [unrolled: 1-line block ×47, first 2 shown]
	s_wait_loadcnt_dscnt 0x0
	s_wait_kmcnt 0x0
	s_set_pc_i64 s[30:31]
.Lfunc_end232:
	.size	_ZN4vllm22paged_attention_kernelIfhLi256ELi32ELi128ELNS_18Fp8KVCacheDataTypeE1ELb0ELi0EEEvPfS2_PT_PKS3_PKT0_S9_ifPKiSB_iPKfiiiSD_SD_iiiii, .Lfunc_end232-_ZN4vllm22paged_attention_kernelIfhLi256ELi32ELi128ELNS_18Fp8KVCacheDataTypeE1ELb0ELi0EEEvPfS2_PT_PKS3_PKT0_S9_ifPKiSB_iPKfiiiSD_SD_iiiii
                                        ; -- End function
	.set .L_ZN4vllm22paged_attention_kernelIfhLi256ELi32ELi128ELNS_18Fp8KVCacheDataTypeE1ELb0ELi0EEEvPfS2_PT_PKS3_PKT0_S9_ifPKiSB_iPKfiiiSD_SD_iiiii.num_vgpr, 128
	.set .L_ZN4vllm22paged_attention_kernelIfhLi256ELi32ELi128ELNS_18Fp8KVCacheDataTypeE1ELb0ELi0EEEvPfS2_PT_PKS3_PKT0_S9_ifPKiSB_iPKfiiiSD_SD_iiiii.num_agpr, 0
	.set .L_ZN4vllm22paged_attention_kernelIfhLi256ELi32ELi128ELNS_18Fp8KVCacheDataTypeE1ELb0ELi0EEEvPfS2_PT_PKS3_PKT0_S9_ifPKiSB_iPKfiiiSD_SD_iiiii.numbered_sgpr, 33
	.set .L_ZN4vllm22paged_attention_kernelIfhLi256ELi32ELi128ELNS_18Fp8KVCacheDataTypeE1ELb0ELi0EEEvPfS2_PT_PKS3_PKT0_S9_ifPKiSB_iPKfiiiSD_SD_iiiii.num_named_barrier, 0
	.set .L_ZN4vllm22paged_attention_kernelIfhLi256ELi32ELi128ELNS_18Fp8KVCacheDataTypeE1ELb0ELi0EEEvPfS2_PT_PKS3_PKT0_S9_ifPKiSB_iPKfiiiSD_SD_iiiii.private_seg_size, 3180
	.set .L_ZN4vllm22paged_attention_kernelIfhLi256ELi32ELi128ELNS_18Fp8KVCacheDataTypeE1ELb0ELi0EEEvPfS2_PT_PKS3_PKT0_S9_ifPKiSB_iPKfiiiSD_SD_iiiii.uses_vcc, 1
	.set .L_ZN4vllm22paged_attention_kernelIfhLi256ELi32ELi128ELNS_18Fp8KVCacheDataTypeE1ELb0ELi0EEEvPfS2_PT_PKS3_PKT0_S9_ifPKiSB_iPKfiiiSD_SD_iiiii.uses_flat_scratch, 1
	.set .L_ZN4vllm22paged_attention_kernelIfhLi256ELi32ELi128ELNS_18Fp8KVCacheDataTypeE1ELb0ELi0EEEvPfS2_PT_PKS3_PKT0_S9_ifPKiSB_iPKfiiiSD_SD_iiiii.has_dyn_sized_stack, 0
	.set .L_ZN4vllm22paged_attention_kernelIfhLi256ELi32ELi128ELNS_18Fp8KVCacheDataTypeE1ELb0ELi0EEEvPfS2_PT_PKS3_PKT0_S9_ifPKiSB_iPKfiiiSD_SD_iiiii.has_recursion, 0
	.set .L_ZN4vllm22paged_attention_kernelIfhLi256ELi32ELi128ELNS_18Fp8KVCacheDataTypeE1ELb0ELi0EEEvPfS2_PT_PKS3_PKT0_S9_ifPKiSB_iPKfiiiSD_SD_iiiii.has_indirect_call, 0
	.section	.AMDGPU.csdata,"",@progbits
; Function info:
; codeLenInByte = 206200
; TotalNumSgprs: 35
; NumVgprs: 128
; ScratchSize: 3180
; MemoryBound: 0
	.section	.text._ZN4vllm25paged_attention_v1_kernelIfhLi256ELi32ELi128ELNS_18Fp8KVCacheDataTypeE1ELb0EEEvPT_PKS2_PKT0_S8_ifPKiSA_iPKfiiiSC_SC_iiiii,"axG",@progbits,_ZN4vllm25paged_attention_v1_kernelIfhLi256ELi32ELi128ELNS_18Fp8KVCacheDataTypeE1ELb0EEEvPT_PKS2_PKT0_S8_ifPKiSA_iPKfiiiSC_SC_iiiii,comdat
	.protected	_ZN4vllm25paged_attention_v1_kernelIfhLi256ELi32ELi128ELNS_18Fp8KVCacheDataTypeE1ELb0EEEvPT_PKS2_PKT0_S8_ifPKiSA_iPKfiiiSC_SC_iiiii ; -- Begin function _ZN4vllm25paged_attention_v1_kernelIfhLi256ELi32ELi128ELNS_18Fp8KVCacheDataTypeE1ELb0EEEvPT_PKS2_PKT0_S8_ifPKiSA_iPKfiiiSC_SC_iiiii
	.globl	_ZN4vllm25paged_attention_v1_kernelIfhLi256ELi32ELi128ELNS_18Fp8KVCacheDataTypeE1ELb0EEEvPT_PKS2_PKT0_S8_ifPKiSA_iPKfiiiSC_SC_iiiii
	.p2align	8
	.type	_ZN4vllm25paged_attention_v1_kernelIfhLi256ELi32ELi128ELNS_18Fp8KVCacheDataTypeE1ELb0EEEvPT_PKS2_PKT0_S8_ifPKiSA_iPKfiiiSC_SC_iiiii,@function
_ZN4vllm25paged_attention_v1_kernelIfhLi256ELi32ELi128ELNS_18Fp8KVCacheDataTypeE1ELb0EEEvPT_PKS2_PKT0_S8_ifPKiSA_iPKfiiiSC_SC_iiiii: ; @_ZN4vllm25paged_attention_v1_kernelIfhLi256ELi32ELi128ELNS_18Fp8KVCacheDataTypeE1ELb0EEEvPT_PKS2_PKT0_S8_ifPKiSA_iPKfiiiSC_SC_iiiii
; %bb.0:
	s_clause 0x5
	s_load_b256 s[12:19], s[0:1], 0x0
	s_load_b128 s[4:7], s[0:1], 0x20
	s_load_b96 s[20:22], s[0:1], 0x30
	s_load_b64 s[10:11], s[0:1], 0x40
	s_load_b96 s[28:30], s[0:1], 0x48
	s_load_b128 s[24:27], s[0:1], 0x58
	v_mov_b32_e32 v31, v0
	s_get_pc_i64 s[2:3]
	s_add_nc_u64 s[2:3], s[2:3], _ZN4vllm22paged_attention_kernelIfhLi256ELi32ELi128ELNS_18Fp8KVCacheDataTypeE1ELb0ELi0EEEvPfS2_PT_PKS3_PKT0_S9_ifPKiSB_iPKfiiiSD_SD_iiiii@rel64+4
	s_add_nc_u64 s[8:9], s[0:1], 0x80
	s_mov_b32 s32, 0
	s_wait_kmcnt 0x0
	v_dual_mov_b32 v0, s12 :: v_dual_mov_b32 v1, s13
	v_dual_mov_b32 v2, s14 :: v_dual_mov_b32 v3, s15
	;; [unrolled: 1-line block ×12, first 2 shown]
	s_mov_b32 s15, 28
	s_swap_pc_i64 s[30:31], s[2:3]
	s_endpgm
	.section	.rodata,"a",@progbits
	.p2align	6, 0x0
	.amdhsa_kernel _ZN4vllm25paged_attention_v1_kernelIfhLi256ELi32ELi128ELNS_18Fp8KVCacheDataTypeE1ELb0EEEvPT_PKS2_PKT0_S8_ifPKiSA_iPKfiiiSC_SC_iiiii
		.amdhsa_group_segment_fixed_size 1056
		.amdhsa_private_segment_fixed_size 3180
		.amdhsa_kernarg_size 384
		.amdhsa_user_sgpr_count 2
		.amdhsa_user_sgpr_dispatch_ptr 0
		.amdhsa_user_sgpr_queue_ptr 0
		.amdhsa_user_sgpr_kernarg_segment_ptr 1
		.amdhsa_user_sgpr_dispatch_id 0
		.amdhsa_user_sgpr_kernarg_preload_length 0
		.amdhsa_user_sgpr_kernarg_preload_offset 0
		.amdhsa_user_sgpr_private_segment_size 0
		.amdhsa_wavefront_size32 1
		.amdhsa_uses_dynamic_stack 0
		.amdhsa_enable_private_segment 1
		.amdhsa_system_sgpr_workgroup_id_x 1
		.amdhsa_system_sgpr_workgroup_id_y 1
		.amdhsa_system_sgpr_workgroup_id_z 1
		.amdhsa_system_sgpr_workgroup_info 0
		.amdhsa_system_vgpr_workitem_id 0
		.amdhsa_next_free_vgpr 128
		.amdhsa_next_free_sgpr 33
		.amdhsa_named_barrier_count 0
		.amdhsa_reserve_vcc 1
		.amdhsa_float_round_mode_32 0
		.amdhsa_float_round_mode_16_64 0
		.amdhsa_float_denorm_mode_32 3
		.amdhsa_float_denorm_mode_16_64 3
		.amdhsa_fp16_overflow 0
		.amdhsa_memory_ordered 1
		.amdhsa_forward_progress 1
		.amdhsa_inst_pref_size 2
		.amdhsa_round_robin_scheduling 0
		.amdhsa_exception_fp_ieee_invalid_op 0
		.amdhsa_exception_fp_denorm_src 0
		.amdhsa_exception_fp_ieee_div_zero 0
		.amdhsa_exception_fp_ieee_overflow 0
		.amdhsa_exception_fp_ieee_underflow 0
		.amdhsa_exception_fp_ieee_inexact 0
		.amdhsa_exception_int_div_zero 0
	.end_amdhsa_kernel
	.section	.text._ZN4vllm25paged_attention_v1_kernelIfhLi256ELi32ELi128ELNS_18Fp8KVCacheDataTypeE1ELb0EEEvPT_PKS2_PKT0_S8_ifPKiSA_iPKfiiiSC_SC_iiiii,"axG",@progbits,_ZN4vllm25paged_attention_v1_kernelIfhLi256ELi32ELi128ELNS_18Fp8KVCacheDataTypeE1ELb0EEEvPT_PKS2_PKT0_S8_ifPKiSA_iPKfiiiSC_SC_iiiii,comdat
.Lfunc_end233:
	.size	_ZN4vllm25paged_attention_v1_kernelIfhLi256ELi32ELi128ELNS_18Fp8KVCacheDataTypeE1ELb0EEEvPT_PKS2_PKT0_S8_ifPKiSA_iPKfiiiSC_SC_iiiii, .Lfunc_end233-_ZN4vllm25paged_attention_v1_kernelIfhLi256ELi32ELi128ELNS_18Fp8KVCacheDataTypeE1ELb0EEEvPT_PKS2_PKT0_S8_ifPKiSA_iPKfiiiSC_SC_iiiii
                                        ; -- End function
	.set _ZN4vllm25paged_attention_v1_kernelIfhLi256ELi32ELi128ELNS_18Fp8KVCacheDataTypeE1ELb0EEEvPT_PKS2_PKT0_S8_ifPKiSA_iPKfiiiSC_SC_iiiii.num_vgpr, max(32, .L_ZN4vllm22paged_attention_kernelIfhLi256ELi32ELi128ELNS_18Fp8KVCacheDataTypeE1ELb0ELi0EEEvPfS2_PT_PKS3_PKT0_S9_ifPKiSB_iPKfiiiSD_SD_iiiii.num_vgpr)
	.set _ZN4vllm25paged_attention_v1_kernelIfhLi256ELi32ELi128ELNS_18Fp8KVCacheDataTypeE1ELb0EEEvPT_PKS2_PKT0_S8_ifPKiSA_iPKfiiiSC_SC_iiiii.num_agpr, max(0, .L_ZN4vllm22paged_attention_kernelIfhLi256ELi32ELi128ELNS_18Fp8KVCacheDataTypeE1ELb0ELi0EEEvPfS2_PT_PKS3_PKT0_S9_ifPKiSB_iPKfiiiSD_SD_iiiii.num_agpr)
	.set _ZN4vllm25paged_attention_v1_kernelIfhLi256ELi32ELi128ELNS_18Fp8KVCacheDataTypeE1ELb0EEEvPT_PKS2_PKT0_S8_ifPKiSA_iPKfiiiSC_SC_iiiii.numbered_sgpr, max(33, .L_ZN4vllm22paged_attention_kernelIfhLi256ELi32ELi128ELNS_18Fp8KVCacheDataTypeE1ELb0ELi0EEEvPfS2_PT_PKS3_PKT0_S9_ifPKiSB_iPKfiiiSD_SD_iiiii.numbered_sgpr)
	.set _ZN4vllm25paged_attention_v1_kernelIfhLi256ELi32ELi128ELNS_18Fp8KVCacheDataTypeE1ELb0EEEvPT_PKS2_PKT0_S8_ifPKiSA_iPKfiiiSC_SC_iiiii.num_named_barrier, max(0, .L_ZN4vllm22paged_attention_kernelIfhLi256ELi32ELi128ELNS_18Fp8KVCacheDataTypeE1ELb0ELi0EEEvPfS2_PT_PKS3_PKT0_S9_ifPKiSB_iPKfiiiSD_SD_iiiii.num_named_barrier)
	.set _ZN4vllm25paged_attention_v1_kernelIfhLi256ELi32ELi128ELNS_18Fp8KVCacheDataTypeE1ELb0EEEvPT_PKS2_PKT0_S8_ifPKiSA_iPKfiiiSC_SC_iiiii.private_seg_size, 0+max(.L_ZN4vllm22paged_attention_kernelIfhLi256ELi32ELi128ELNS_18Fp8KVCacheDataTypeE1ELb0ELi0EEEvPfS2_PT_PKS3_PKT0_S9_ifPKiSB_iPKfiiiSD_SD_iiiii.private_seg_size)
	.set _ZN4vllm25paged_attention_v1_kernelIfhLi256ELi32ELi128ELNS_18Fp8KVCacheDataTypeE1ELb0EEEvPT_PKS2_PKT0_S8_ifPKiSA_iPKfiiiSC_SC_iiiii.uses_vcc, or(1, .L_ZN4vllm22paged_attention_kernelIfhLi256ELi32ELi128ELNS_18Fp8KVCacheDataTypeE1ELb0ELi0EEEvPfS2_PT_PKS3_PKT0_S9_ifPKiSB_iPKfiiiSD_SD_iiiii.uses_vcc)
	.set _ZN4vllm25paged_attention_v1_kernelIfhLi256ELi32ELi128ELNS_18Fp8KVCacheDataTypeE1ELb0EEEvPT_PKS2_PKT0_S8_ifPKiSA_iPKfiiiSC_SC_iiiii.uses_flat_scratch, or(0, .L_ZN4vllm22paged_attention_kernelIfhLi256ELi32ELi128ELNS_18Fp8KVCacheDataTypeE1ELb0ELi0EEEvPfS2_PT_PKS3_PKT0_S9_ifPKiSB_iPKfiiiSD_SD_iiiii.uses_flat_scratch)
	.set _ZN4vllm25paged_attention_v1_kernelIfhLi256ELi32ELi128ELNS_18Fp8KVCacheDataTypeE1ELb0EEEvPT_PKS2_PKT0_S8_ifPKiSA_iPKfiiiSC_SC_iiiii.has_dyn_sized_stack, or(0, .L_ZN4vllm22paged_attention_kernelIfhLi256ELi32ELi128ELNS_18Fp8KVCacheDataTypeE1ELb0ELi0EEEvPfS2_PT_PKS3_PKT0_S9_ifPKiSB_iPKfiiiSD_SD_iiiii.has_dyn_sized_stack)
	.set _ZN4vllm25paged_attention_v1_kernelIfhLi256ELi32ELi128ELNS_18Fp8KVCacheDataTypeE1ELb0EEEvPT_PKS2_PKT0_S8_ifPKiSA_iPKfiiiSC_SC_iiiii.has_recursion, or(0, .L_ZN4vllm22paged_attention_kernelIfhLi256ELi32ELi128ELNS_18Fp8KVCacheDataTypeE1ELb0ELi0EEEvPfS2_PT_PKS3_PKT0_S9_ifPKiSB_iPKfiiiSD_SD_iiiii.has_recursion)
	.set _ZN4vllm25paged_attention_v1_kernelIfhLi256ELi32ELi128ELNS_18Fp8KVCacheDataTypeE1ELb0EEEvPT_PKS2_PKT0_S8_ifPKiSA_iPKfiiiSC_SC_iiiii.has_indirect_call, or(0, .L_ZN4vllm22paged_attention_kernelIfhLi256ELi32ELi128ELNS_18Fp8KVCacheDataTypeE1ELb0ELi0EEEvPfS2_PT_PKS3_PKT0_S9_ifPKiSB_iPKfiiiSD_SD_iiiii.has_indirect_call)
	.section	.AMDGPU.csdata,"",@progbits
; Kernel info:
; codeLenInByte = 196
; TotalNumSgprs: 35
; NumVgprs: 128
; ScratchSize: 3180
; MemoryBound: 0
; FloatMode: 240
; IeeeMode: 1
; LDSByteSize: 1056 bytes/workgroup (compile time only)
; SGPRBlocks: 0
; VGPRBlocks: 7
; NumSGPRsForWavesPerEU: 35
; NumVGPRsForWavesPerEU: 128
; NamedBarCnt: 0
; Occupancy: 8
; WaveLimiterHint : 1
; COMPUTE_PGM_RSRC2:SCRATCH_EN: 1
; COMPUTE_PGM_RSRC2:USER_SGPR: 2
; COMPUTE_PGM_RSRC2:TRAP_HANDLER: 0
; COMPUTE_PGM_RSRC2:TGID_X_EN: 1
; COMPUTE_PGM_RSRC2:TGID_Y_EN: 1
; COMPUTE_PGM_RSRC2:TGID_Z_EN: 1
; COMPUTE_PGM_RSRC2:TIDIG_COMP_CNT: 0
	.section	.text._ZN4vllm25paged_attention_v1_kernelIthLi32ELi8ELi128ELNS_18Fp8KVCacheDataTypeE1ELb1EEEvPT_PKS2_PKT0_S8_ifPKiSA_iPKfiiiSC_SC_iiiii,"axG",@progbits,_ZN4vllm25paged_attention_v1_kernelIthLi32ELi8ELi128ELNS_18Fp8KVCacheDataTypeE1ELb1EEEvPT_PKS2_PKT0_S8_ifPKiSA_iPKfiiiSC_SC_iiiii,comdat
	.protected	_ZN4vllm25paged_attention_v1_kernelIthLi32ELi8ELi128ELNS_18Fp8KVCacheDataTypeE1ELb1EEEvPT_PKS2_PKT0_S8_ifPKiSA_iPKfiiiSC_SC_iiiii ; -- Begin function _ZN4vllm25paged_attention_v1_kernelIthLi32ELi8ELi128ELNS_18Fp8KVCacheDataTypeE1ELb1EEEvPT_PKS2_PKT0_S8_ifPKiSA_iPKfiiiSC_SC_iiiii
	.globl	_ZN4vllm25paged_attention_v1_kernelIthLi32ELi8ELi128ELNS_18Fp8KVCacheDataTypeE1ELb1EEEvPT_PKS2_PKT0_S8_ifPKiSA_iPKfiiiSC_SC_iiiii
	.p2align	8
	.type	_ZN4vllm25paged_attention_v1_kernelIthLi32ELi8ELi128ELNS_18Fp8KVCacheDataTypeE1ELb1EEEvPT_PKS2_PKT0_S8_ifPKiSA_iPKfiiiSC_SC_iiiii,@function
_ZN4vllm25paged_attention_v1_kernelIthLi32ELi8ELi128ELNS_18Fp8KVCacheDataTypeE1ELb1EEEvPT_PKS2_PKT0_S8_ifPKiSA_iPKfiiiSC_SC_iiiii: ; @_ZN4vllm25paged_attention_v1_kernelIthLi32ELi8ELi128ELNS_18Fp8KVCacheDataTypeE1ELb1EEEvPT_PKS2_PKT0_S8_ifPKiSA_iPKfiiiSC_SC_iiiii
; %bb.0:
	s_load_b64 s[26:27], s[0:1], 0x20
	s_bfe_u32 s3, ttmp6, 0x4000c
	s_bfe_u32 s4, ttmp6, 0x40010
	s_and_b32 s6, ttmp7, 0xffff
	s_add_co_i32 s3, s3, 1
	s_add_co_i32 s4, s4, 1
	s_and_b32 s2, ttmp6, 15
	s_bfe_u32 s5, ttmp6, 0x40004
	s_mul_i32 s3, ttmp9, s3
	s_mul_i32 s4, s6, s4
	s_getreg_b32 s30, hwreg(HW_REG_IB_STS2, 6, 4)
	s_add_co_i32 s2, s2, s3
	s_add_co_i32 s3, s5, s4
	s_cmp_eq_u32 s30, 0
	s_clause 0x1
	s_load_b32 s31, s[0:1], 0x80
	s_load_b64 s[4:5], s[0:1], 0x30
	s_cselect_b32 s33, s6, s3
	s_cselect_b32 s2, ttmp9, s2
	s_wait_kmcnt 0x0
	s_abs_i32 s3, s26
	s_delay_alu instid0(SALU_CYCLE_1) | instskip(SKIP_1) | instid1(SALU_CYCLE_2)
	s_cvt_f32_u32 s6, s3
	s_sub_co_i32 s7, 0, s3
	v_rcp_iflag_f32_e32 v1, s6
	s_abs_i32 s8, s31
	v_nop
	s_delay_alu instid0(TRANS32_DEP_1) | instskip(SKIP_1) | instid1(SALU_CYCLE_3)
	v_readfirstlane_b32 s6, v1
	s_mul_f32 s6, s6, 0x4f7ffffe
	s_cvt_u32_f32 s6, s6
	s_delay_alu instid0(SALU_CYCLE_3) | instskip(NEXT) | instid1(SALU_CYCLE_1)
	s_mul_i32 s7, s7, s6
	s_mul_hi_u32 s7, s6, s7
	s_delay_alu instid0(SALU_CYCLE_1) | instskip(SKIP_4) | instid1(SALU_CYCLE_1)
	s_add_co_i32 s6, s6, s7
	s_xor_b32 s7, s31, s26
	s_mul_hi_u32 s6, s8, s6
	s_ashr_i32 s7, s7, 31
	s_mul_i32 s9, s6, s3
	s_sub_co_i32 s8, s8, s9
	s_add_co_i32 s9, s6, 1
	s_sub_co_i32 s10, s8, s3
	s_cmp_ge_u32 s8, s3
	s_cselect_b32 s6, s9, s6
	s_cselect_b32 s8, s10, s8
	s_add_co_i32 s9, s6, 1
	s_cmp_ge_u32 s8, s3
	s_load_b64 s[10:11], s[0:1], 0x40
	s_cselect_b32 s3, s9, s6
	s_mov_b32 s9, 0
	s_xor_b32 s3, s3, s7
	s_abs_i32 s8, s2
	s_sub_co_i32 s12, s3, s7
	s_mov_b32 s7, s9
	s_abs_i32 s19, s12
	s_mov_b32 s37, s9
	s_cvt_f32_u32 s3, s19
	s_sub_co_i32 s6, 0, s19
	s_delay_alu instid0(SALU_CYCLE_2) | instskip(SKIP_1) | instid1(TRANS32_DEP_1)
	v_rcp_iflag_f32_e32 v1, s3
	v_nop
	v_readfirstlane_b32 s3, v1
	s_mul_f32 s3, s3, 0x4f7ffffe
	s_delay_alu instid0(SALU_CYCLE_3) | instskip(NEXT) | instid1(SALU_CYCLE_3)
	s_cvt_u32_f32 s3, s3
	s_mul_i32 s6, s6, s3
	s_delay_alu instid0(SALU_CYCLE_1) | instskip(NEXT) | instid1(SALU_CYCLE_1)
	s_mul_hi_u32 s6, s3, s6
	s_add_co_i32 s6, s3, s6
	s_wait_kmcnt 0x0
	s_cmp_eq_u64 s[10:11], 0
	s_cbranch_scc1 .LBB234_2
; %bb.1:
	s_ashr_i32 s3, s2, 31
	s_delay_alu instid0(SALU_CYCLE_1) | instskip(NEXT) | instid1(SALU_CYCLE_1)
	s_lshl_b64 s[14:15], s[2:3], 2
	s_add_nc_u64 s[10:11], s[10:11], s[14:15]
	s_load_b32 s37, s[10:11], 0x0
.LBB234_2:
	s_load_b32 s34, s[4:5], s33 offset:0x0 scale_offset
	s_load_b96 s[16:18], s[0:1], 0x48
	v_and_b32_e32 v6, 3, v0
	s_wait_xcnt 0x0
	s_mul_u64 s[4:5], s[8:9], s[6:7]
	s_ashr_i32 s3, s2, 31
	s_ashr_i32 s10, s12, 31
	s_lshl_b32 s6, s2, 5
	s_mov_b32 s4, exec_lo
	v_cmpx_gt_u32_e32 16, v0
	s_cbranch_execz .LBB234_4
; %bb.3:
	s_load_b64 s[12:13], s[0:1], 0x8
	s_wait_kmcnt 0x0
	s_mul_i32 s14, s16, s33
	s_ashr_i32 s7, s6, 31
	s_ashr_i32 s15, s14, 31
	v_and_b32_e32 v2, 0x3fc, v0
	s_lshl_b64 s[14:15], s[14:15], 1
	s_delay_alu instid0(VALU_DEP_1) | instskip(SKIP_2) | instid1(SALU_CYCLE_1)
	v_lshl_add_u32 v2, v6, 4, v2
	s_add_nc_u64 s[12:13], s[12:13], s[14:15]
	s_lshl_b64 s[14:15], s[6:7], 1
	s_add_nc_u64 s[12:13], s[12:13], s[14:15]
	global_load_b32 v1, v0, s[12:13] scale_offset
	s_wait_loadcnt 0x0
	ds_store_b32 v2, v1
.LBB234_4:
	s_or_b32 exec_lo, exec_lo, s4
	s_load_b128 s[12:15], s[0:1], 0x68
	s_mul_i32 s4, s5, s19
	s_xor_b32 s3, s3, s10
	s_sub_co_i32 s4, s8, s4
	s_add_co_i32 s7, s5, 1
	s_sub_co_i32 s8, s4, s19
	s_cmp_ge_u32 s4, s19
	s_mov_b32 s9, -1
	s_cselect_b32 s5, s7, s5
	s_cselect_b32 s4, s8, s4
	s_add_co_i32 s8, s5, 1
	s_cmp_ge_u32 s4, s19
	s_load_b32 s7, s[0:1], 0x78
	s_cselect_b32 s4, s8, s5
	s_wait_kmcnt 0x0
	s_add_co_i32 s8, s34, -1
	s_xor_b32 s4, s4, s3
	s_wait_dscnt 0x0
	s_sub_co_i32 s3, s4, s3
	s_barrier_signal -1
	s_barrier_wait -1
	s_abs_i32 s16, s15
	s_delay_alu instid0(SALU_CYCLE_1) | instskip(NEXT) | instid1(SALU_CYCLE_3)
	s_cvt_f32_u32 s5, s16
                                        ; implicit-def: $sgpr35
	v_rcp_iflag_f32_e32 v1, s5
	v_nop
	s_delay_alu instid0(TRANS32_DEP_1) | instskip(SKIP_1) | instid1(SALU_CYCLE_3)
	v_readfirstlane_b32 s5, v1
	s_mul_f32 s4, s5, 0x4f7ffffe
	s_cvt_u32_f32 s10, s4
	s_sub_co_i32 s4, 0, s16
	s_delay_alu instid0(SALU_CYCLE_2)
	s_mul_i32 s5, s4, s10
	s_abs_i32 s4, s8
	s_mul_hi_u32 s11, s10, s5
	s_mov_b32 s5, 0
	s_add_co_i32 s20, s10, s11
	s_cmp_lt_i32 s7, 0
	s_mov_b32 s21, s5
	s_cbranch_scc0 .LBB234_6
; %bb.5:
	s_mul_i32 s9, s12, s26
	s_delay_alu instid0(SALU_CYCLE_1) | instskip(NEXT) | instid1(SALU_CYCLE_1)
	s_add_co_i32 s9, s3, s9
	s_mul_i32 s9, s9, s7
	s_delay_alu instid0(SALU_CYCLE_1)
	s_sub_co_i32 s35, 1, s9
	s_mov_b32 s9, s5
.LBB234_6:
	s_ashr_i32 s8, s8, 31
	s_ashr_i32 s15, s15, 31
	s_and_not1_b32 vcc_lo, exec_lo, s9
	s_mul_u64 s[28:29], s[4:5], s[20:21]
	s_cbranch_vccnz .LBB234_8
; %bb.7:
	s_mul_i32 s5, s31, s12
	s_delay_alu instid0(SALU_CYCLE_1) | instskip(NEXT) | instid1(SALU_CYCLE_1)
	s_add_co_i32 s2, s5, s2
	s_mul_i32 s2, s2, s7
	s_delay_alu instid0(SALU_CYCLE_1)
	s_add_co_i32 s35, s2, 1
.LBB234_8:
	s_clause 0x1
	s_load_b32 s2, s[0:1], 0x38
	s_load_b64 s[22:23], s[0:1], 0x28
	s_mul_i32 s7, s29, s16
	s_xor_b32 s5, s8, s15
	s_sub_co_i32 s4, s4, s7
	s_add_co_i32 s12, s29, 1
	s_clause 0x1
	s_load_b32 s7, s[0:1], 0x88
	s_load_b128 s[8:11], s[0:1], 0x58
	v_dual_mov_b32 v16, 0xff7fffff :: v_dual_lshrrev_b32 v19, 5, v0
	v_lshrrev_b32_e32 v1, 3, v0
	v_mbcnt_lo_u32_b32 v3, -1, 0
	s_mul_i32 s18, s3, s18
	s_delay_alu instid0(VALU_DEP_3)
	v_lshlrev_b32_e32 v2, 3, v19
	s_wait_kmcnt 0x0
	s_mul_i32 s24, s2, s33
	s_sub_co_i32 s2, s4, s16
	s_ashr_i32 s25, s24, 31
	s_cmp_ge_u32 s4, s16
	s_cselect_b32 s12, s12, s29
	s_cselect_b32 s2, s2, s4
	s_add_co_i32 s4, s12, 1
	s_cmp_ge_u32 s2, s16
	s_cselect_b32 s2, s4, s12
	s_add_co_i32 s4, s34, 7
	s_delay_alu instid0(SALU_CYCLE_1) | instskip(NEXT) | instid1(SALU_CYCLE_1)
	s_ashr_i32 s12, s4, 31
	s_lshr_b32 s12, s12, 29
	s_delay_alu instid0(SALU_CYCLE_1) | instskip(NEXT) | instid1(SALU_CYCLE_1)
	s_add_co_i32 s4, s4, s12
	s_ashr_i32 s12, s4, 3
	s_xor_b32 s4, s2, s5
	v_cmp_gt_i32_e64 s2, s12, v19
	s_sub_co_i32 s36, s4, s5
	s_and_saveexec_b32 s26, s2
	s_cbranch_execz .LBB234_84
; %bb.9:
	s_load_b64 s[4:5], s[0:1], 0x10
	s_sub_co_i32 s38, s36, s13
	s_ashr_i32 s19, s18, 31
	s_cmp_neq_f32 s37, 0
	v_bfe_u32 v14, v0, 2, 3
	v_dual_mov_b32 v5, 0 :: v_dual_lshlrev_b32 v15, 4, v6
	s_cselect_b32 vcc_lo, -1, 0
	s_abs_i32 s39, s14
	s_delay_alu instid0(VALU_DEP_2)
	v_lshlrev_b32_e32 v4, 4, v14
	s_cvt_f32_u32 s3, s39
	s_lshl_b64 s[40:41], s[24:25], 2
	v_subrev_nc_u32_e32 v10, s34, v14
	v_mov_b32_e32 v20, 0xff7fffff
	v_rcp_iflag_f32_e32 v7, s3
	v_cmp_eq_u32_e64 s3, 0, v6
	s_delay_alu instid0(VALU_DEP_3)
	v_dual_mov_b32 v16, 0xff7fffff :: v_dual_add_nc_u32 v17, 1, v10
	s_mov_b32 s29, 0
	v_mov_b32_e32 v21, v19
	s_wait_kmcnt 0x0
	s_add_nc_u64 s[4:5], s[4:5], s[18:19]
	v_readfirstlane_b32 s28, v7
	v_lshlrev_b32_e32 v7, 2, v14
	v_add_nc_u64_e32 v[8:9], s[4:5], v[4:5]
	v_lshlrev_b32_e32 v4, 1, v6
	s_add_nc_u64 s[4:5], s[22:23], s[40:41]
	s_mul_f32 s19, s28, 0x4f7ffffe
	v_lshl_or_b32 v11, v19, 5, v7
	s_sub_co_i32 s28, 0, s39
	s_delay_alu instid0(VALU_DEP_3) | instskip(SKIP_4) | instid1(VALU_DEP_2)
	v_add_nc_u64_e32 v[6:7], v[8:9], v[4:5]
	v_and_b32_e32 v4, 0x7c, v1
	s_cvt_u32_f32 s40, s19
	v_add_nc_u32_e32 v18, 0x60, v11
	s_mov_b32 s19, s17
	v_add_nc_u64_e32 v[8:9], s[4:5], v[4:5]
	s_mul_i32 s28, s28, s40
	v_lshlrev_b32_e32 v4, 3, v19
	s_mul_hi_u32 s28, s40, s28
	s_delay_alu instid0(SALU_CYCLE_1)
	s_add_co_i32 s28, s40, s28
	s_mov_b32 s40, s29
	s_branch .LBB234_12
.LBB234_10:                             ;   in Loop: Header=BB234_12 Depth=1
	s_or_b32 exec_lo, exec_lo, s41
.LBB234_11:                             ;   in Loop: Header=BB234_12 Depth=1
	s_delay_alu instid0(SALU_CYCLE_1) | instskip(SKIP_3) | instid1(VALU_DEP_3)
	s_or_b32 exec_lo, exec_lo, s5
	v_dual_add_nc_u32 v21, 4, v21 :: v_dual_add_nc_u32 v4, 32, v4
	v_add_nc_u64_e32 v[8:9], 16, v[8:9]
	v_add_nc_u32_e32 v18, 0x80, v18
	v_cmp_le_i32_e64 s4, s12, v21
	s_or_b32 s40, s4, s40
	s_delay_alu instid0(SALU_CYCLE_1)
	s_and_not1_b32 exec_lo, exec_lo, s40
	s_cbranch_execz .LBB234_83
.LBB234_12:                             ; =>This Inner Loop Header: Depth=1
	s_wait_dscnt 0x0
	v_mul_u64_e32 v[10:11], s[20:21], v[4:5]
	s_delay_alu instid0(VALU_DEP_1) | instskip(NEXT) | instid1(VALU_DEP_1)
	v_mul_lo_u32 v10, v11, s16
	v_dual_add_nc_u32 v12, 1, v11 :: v_dual_sub_nc_u32 v10, v4, v10
	s_delay_alu instid0(VALU_DEP_1) | instskip(SKIP_1) | instid1(VALU_DEP_1)
	v_subrev_nc_u32_e32 v13, s16, v10
	v_cmp_le_u32_e64 s4, s16, v10
	v_dual_cndmask_b32 v11, v11, v12, s4 :: v_dual_cndmask_b32 v10, v10, v13, s4
	s_delay_alu instid0(VALU_DEP_1) | instskip(NEXT) | instid1(VALU_DEP_2)
	v_add_nc_u32_e32 v12, 1, v11
	v_cmp_le_u32_e64 s4, s16, v10
	s_delay_alu instid0(VALU_DEP_1) | instskip(NEXT) | instid1(VALU_DEP_1)
	v_dual_cndmask_b32 v10, v11, v12, s4 :: v_dual_mov_b32 v11, v5
	v_xor_b32_e32 v10, s15, v10
	s_delay_alu instid0(VALU_DEP_1) | instskip(NEXT) | instid1(VALU_DEP_1)
	v_subrev_nc_u32_e32 v22, s15, v10
	v_add_nc_u32_e32 v23, s35, v22
	v_cmp_ge_i32_e64 s5, s38, v22
	s_delay_alu instid0(VALU_DEP_2) | instskip(NEXT) | instid1(VALU_DEP_1)
	v_sub_nc_u32_e32 v10, 0, v23
	v_max_i32_e32 v10, v23, v10
	s_delay_alu instid0(VALU_DEP_1) | instskip(SKIP_1) | instid1(VALU_DEP_2)
	v_mul_u64_e32 v[12:13], s[28:29], v[10:11]
	v_ashrrev_i32_e32 v12, 31, v23
	v_mul_lo_u32 v11, v13, s39
	s_delay_alu instid0(VALU_DEP_1) | instskip(NEXT) | instid1(VALU_DEP_1)
	v_sub_nc_u32_e32 v10, v10, v11
	v_subrev_nc_u32_e32 v11, s39, v10
	v_cmp_le_u32_e64 s4, s39, v10
	s_delay_alu instid0(VALU_DEP_1) | instskip(NEXT) | instid1(VALU_DEP_1)
	v_cndmask_b32_e64 v10, v10, v11, s4
	v_subrev_nc_u32_e32 v11, s39, v10
	v_cmp_le_u32_e64 s4, s39, v10
	s_delay_alu instid0(VALU_DEP_1) | instskip(NEXT) | instid1(VALU_DEP_1)
	v_cndmask_b32_e64 v10, v10, v11, s4
	v_xor_b32_e32 v10, v10, v12
	s_delay_alu instid0(VALU_DEP_1) | instskip(NEXT) | instid1(VALU_DEP_1)
	v_sub_nc_u32_e32 v10, v10, v12
	v_cmp_ne_u32_e64 s4, 0, v10
	s_and_b32 s4, s4, s5
	s_delay_alu instid0(SALU_CYCLE_1) | instskip(NEXT) | instid1(SALU_CYCLE_1)
	s_and_saveexec_b32 s5, s4
	s_xor_b32 s4, exec_lo, s5
	s_cbranch_execz .LBB234_16
; %bb.13:                               ;   in Loop: Header=BB234_12 Depth=1
	s_and_saveexec_b32 s5, s3
; %bb.14:                               ;   in Loop: Header=BB234_12 Depth=1
	ds_store_b32 v18, v20
; %bb.15:                               ;   in Loop: Header=BB234_12 Depth=1
	s_or_b32 exec_lo, exec_lo, s5
.LBB234_16:                             ;   in Loop: Header=BB234_12 Depth=1
	s_and_not1_saveexec_b32 s5, s4
	s_cbranch_execz .LBB234_11
; %bb.17:                               ;   in Loop: Header=BB234_12 Depth=1
	global_load_b32 v10, v[8:9], off
	v_dual_mov_b32 v23, 0 :: v_dual_mov_b32 v24, 0
	s_mov_b32 s41, exec_lo
	global_load_b32 v22, v23, s[8:9]
	s_wait_loadcnt 0x1
	v_mad_nc_i64_i32 v[10:11], v10, s19, v[6:7]
	global_load_u16 v12, v[10:11], off
	s_wait_loadcnt 0x0
	v_and_b32_e32 v13, 0xff, v12
	v_and_b32_e32 v12, 0xffff, v12
	s_delay_alu instid0(VALU_DEP_2)
	v_cmpx_ne_u16_e32 0, v13
	s_cbranch_execz .LBB234_25
; %bb.18:                               ;   in Loop: Header=BB234_12 Depth=1
	s_delay_alu instid0(VALU_DEP_2) | instskip(SKIP_2) | instid1(VALU_DEP_2)
	v_and_b32_e32 v13, 0xff, v12
	v_mov_b32_e32 v24, 0x8000
	s_mov_b32 s42, exec_lo
	v_cmpx_ne_u16_e32 0x80, v13
	s_cbranch_execz .LBB234_24
; %bb.19:                               ;   in Loop: Header=BB234_12 Depth=1
	v_and_b32_e32 v25, 0x7f, v12
	v_mov_b32_e32 v24, 0x7c01
	s_mov_b32 s43, exec_lo
	s_delay_alu instid0(VALU_DEP_2)
	v_cmpx_ne_u32_e32 0x7f, v25
	s_cbranch_execz .LBB234_23
; %bb.20:                               ;   in Loop: Header=BB234_12 Depth=1
	v_dual_lshrrev_b32 v24, 3, v25 :: v_dual_bitop2_b32 v13, 7, v12 bitop3:0x40
	s_mov_b32 s44, exec_lo
	v_cmpx_gt_u32_e32 8, v25
; %bb.21:                               ;   in Loop: Header=BB234_12 Depth=1
	s_delay_alu instid0(VALU_DEP_2) | instskip(NEXT) | instid1(VALU_DEP_1)
	v_clz_i32_u32_e32 v13, v13
	v_min_u32_e32 v13, 32, v13
	s_delay_alu instid0(VALU_DEP_1) | instskip(NEXT) | instid1(VALU_DEP_1)
	v_subrev_nc_u32_e32 v24, 28, v13
	v_lshlrev_b64_e32 v[26:27], v24, v[12:13]
	s_delay_alu instid0(VALU_DEP_1)
	v_dual_sub_nc_u32 v24, 29, v13 :: v_dual_bitop2_b32 v13, 7, v26 bitop3:0x40
; %bb.22:                               ;   in Loop: Header=BB234_12 Depth=1
	s_or_b32 exec_lo, exec_lo, s44
	s_delay_alu instid0(VALU_DEP_1) | instskip(NEXT) | instid1(VALU_DEP_2)
	v_dual_lshlrev_b32 v25, 8, v12 :: v_dual_lshlrev_b32 v13, 7, v13
	v_lshl_add_u32 v24, v24, 10, 0x2000
	s_delay_alu instid0(VALU_DEP_2) | instskip(NEXT) | instid1(VALU_DEP_2)
	v_and_b32_e32 v25, 0x8000, v25
	v_and_b32_e32 v24, 0xfc00, v24
	s_delay_alu instid0(VALU_DEP_1)
	v_or3_b32 v24, v25, v24, v13
.LBB234_23:                             ;   in Loop: Header=BB234_12 Depth=1
	s_or_b32 exec_lo, exec_lo, s43
.LBB234_24:                             ;   in Loop: Header=BB234_12 Depth=1
	s_delay_alu instid0(SALU_CYCLE_1)
	s_or_b32 exec_lo, exec_lo, s42
.LBB234_25:                             ;   in Loop: Header=BB234_12 Depth=1
	s_delay_alu instid0(SALU_CYCLE_1) | instskip(NEXT) | instid1(VALU_DEP_2)
	s_or_b32 exec_lo, exec_lo, s41
	v_lshrrev_b16 v12, 8, v12
	s_mov_b32 s41, exec_lo
	s_delay_alu instid0(VALU_DEP_1)
	v_cmpx_ne_u16_e32 0, v12
	s_cbranch_execz .LBB234_33
; %bb.26:                               ;   in Loop: Header=BB234_12 Depth=1
	v_bfrev_b32_e32 v23, 1
	s_mov_b32 s42, exec_lo
	v_cmpx_ne_u16_e32 0x80, v12
	s_cbranch_execz .LBB234_32
; %bb.27:                               ;   in Loop: Header=BB234_12 Depth=1
	v_and_b32_e32 v25, 0xffff, v12
	v_mov_b32_e32 v23, 0x7c010000
	s_mov_b32 s43, exec_lo
	s_delay_alu instid0(VALU_DEP_2) | instskip(NEXT) | instid1(VALU_DEP_1)
	v_and_b32_e32 v26, 0x7f, v25
	v_cmpx_ne_u32_e32 0x7f, v26
	s_cbranch_execz .LBB234_31
; %bb.28:                               ;   in Loop: Header=BB234_12 Depth=1
	v_dual_lshrrev_b32 v23, 3, v26 :: v_dual_bitop2_b32 v13, 7, v25 bitop3:0x40
	s_mov_b32 s44, exec_lo
	v_cmpx_gt_u32_e32 8, v26
	s_cbranch_execz .LBB234_30
; %bb.29:                               ;   in Loop: Header=BB234_12 Depth=1
	s_delay_alu instid0(VALU_DEP_2) | instskip(NEXT) | instid1(VALU_DEP_1)
	v_clz_i32_u32_e32 v13, v13
	v_min_u32_e32 v23, 32, v13
	v_mov_b32_e32 v13, v5
	s_delay_alu instid0(VALU_DEP_2) | instskip(SKIP_1) | instid1(VALU_DEP_2)
	v_subrev_nc_u32_e32 v26, 28, v23
	v_sub_nc_u32_e32 v23, 29, v23
	v_lshlrev_b64_e32 v[12:13], v26, v[12:13]
	s_delay_alu instid0(VALU_DEP_1)
	v_and_b32_e32 v13, 7, v12
.LBB234_30:                             ;   in Loop: Header=BB234_12 Depth=1
	s_or_b32 exec_lo, exec_lo, s44
	v_lshlrev_b32_e32 v12, 8, v25
	v_lshl_add_u32 v23, v23, 10, 0x2000
	s_delay_alu instid0(VALU_DEP_3) | instskip(NEXT) | instid1(VALU_DEP_2)
	v_lshlrev_b32_e32 v13, 23, v13
	v_and_or_b32 v12, 0x8000, v12, v23
	s_delay_alu instid0(VALU_DEP_1)
	v_lshl_or_b32 v23, v12, 16, v13
.LBB234_31:                             ;   in Loop: Header=BB234_12 Depth=1
	s_or_b32 exec_lo, exec_lo, s43
.LBB234_32:                             ;   in Loop: Header=BB234_12 Depth=1
	s_delay_alu instid0(SALU_CYCLE_1)
	s_or_b32 exec_lo, exec_lo, s42
.LBB234_33:                             ;   in Loop: Header=BB234_12 Depth=1
	s_delay_alu instid0(SALU_CYCLE_1)
	s_or_b32 exec_lo, exec_lo, s41
	global_load_u16 v12, v[10:11], off offset:8
	v_dual_mov_b32 v25, 0 :: v_dual_mov_b32 v26, 0
	s_mov_b32 s41, exec_lo
	s_wait_loadcnt 0x0
	v_and_b32_e32 v13, 0xff, v12
	v_and_b32_e32 v12, 0xffff, v12
	s_delay_alu instid0(VALU_DEP_2)
	v_cmpx_ne_u16_e32 0, v13
	s_cbranch_execz .LBB234_41
; %bb.34:                               ;   in Loop: Header=BB234_12 Depth=1
	s_delay_alu instid0(VALU_DEP_2) | instskip(SKIP_2) | instid1(VALU_DEP_2)
	v_and_b32_e32 v13, 0xff, v12
	v_mov_b32_e32 v26, 0x8000
	s_mov_b32 s42, exec_lo
	v_cmpx_ne_u16_e32 0x80, v13
	s_cbranch_execz .LBB234_40
; %bb.35:                               ;   in Loop: Header=BB234_12 Depth=1
	v_and_b32_e32 v27, 0x7f, v12
	v_mov_b32_e32 v26, 0x7c01
	s_mov_b32 s43, exec_lo
	s_delay_alu instid0(VALU_DEP_2)
	v_cmpx_ne_u32_e32 0x7f, v27
	s_cbranch_execz .LBB234_39
; %bb.36:                               ;   in Loop: Header=BB234_12 Depth=1
	v_dual_lshrrev_b32 v26, 3, v27 :: v_dual_bitop2_b32 v13, 7, v12 bitop3:0x40
	s_mov_b32 s44, exec_lo
	v_cmpx_gt_u32_e32 8, v27
; %bb.37:                               ;   in Loop: Header=BB234_12 Depth=1
	s_delay_alu instid0(VALU_DEP_2) | instskip(NEXT) | instid1(VALU_DEP_1)
	v_clz_i32_u32_e32 v13, v13
	v_min_u32_e32 v13, 32, v13
	s_delay_alu instid0(VALU_DEP_1) | instskip(NEXT) | instid1(VALU_DEP_1)
	v_subrev_nc_u32_e32 v26, 28, v13
	v_lshlrev_b64_e32 v[28:29], v26, v[12:13]
	s_delay_alu instid0(VALU_DEP_1)
	v_dual_sub_nc_u32 v26, 29, v13 :: v_dual_bitop2_b32 v13, 7, v28 bitop3:0x40
; %bb.38:                               ;   in Loop: Header=BB234_12 Depth=1
	s_or_b32 exec_lo, exec_lo, s44
	s_delay_alu instid0(VALU_DEP_1) | instskip(NEXT) | instid1(VALU_DEP_2)
	v_dual_lshlrev_b32 v27, 8, v12 :: v_dual_lshlrev_b32 v13, 7, v13
	v_lshl_add_u32 v26, v26, 10, 0x2000
	s_delay_alu instid0(VALU_DEP_2) | instskip(NEXT) | instid1(VALU_DEP_2)
	v_and_b32_e32 v27, 0x8000, v27
	v_and_b32_e32 v26, 0xfc00, v26
	s_delay_alu instid0(VALU_DEP_1)
	v_or3_b32 v26, v27, v26, v13
.LBB234_39:                             ;   in Loop: Header=BB234_12 Depth=1
	s_or_b32 exec_lo, exec_lo, s43
.LBB234_40:                             ;   in Loop: Header=BB234_12 Depth=1
	s_delay_alu instid0(SALU_CYCLE_1)
	s_or_b32 exec_lo, exec_lo, s42
.LBB234_41:                             ;   in Loop: Header=BB234_12 Depth=1
	s_delay_alu instid0(SALU_CYCLE_1) | instskip(NEXT) | instid1(VALU_DEP_2)
	s_or_b32 exec_lo, exec_lo, s41
	v_lshrrev_b16 v12, 8, v12
	s_mov_b32 s41, exec_lo
	s_delay_alu instid0(VALU_DEP_1)
	v_cmpx_ne_u16_e32 0, v12
	s_cbranch_execz .LBB234_49
; %bb.42:                               ;   in Loop: Header=BB234_12 Depth=1
	v_bfrev_b32_e32 v25, 1
	s_mov_b32 s42, exec_lo
	v_cmpx_ne_u16_e32 0x80, v12
	s_cbranch_execz .LBB234_48
; %bb.43:                               ;   in Loop: Header=BB234_12 Depth=1
	v_and_b32_e32 v27, 0xffff, v12
	v_mov_b32_e32 v25, 0x7c010000
	s_mov_b32 s43, exec_lo
	s_delay_alu instid0(VALU_DEP_2) | instskip(NEXT) | instid1(VALU_DEP_1)
	v_and_b32_e32 v28, 0x7f, v27
	v_cmpx_ne_u32_e32 0x7f, v28
	s_cbranch_execz .LBB234_47
; %bb.44:                               ;   in Loop: Header=BB234_12 Depth=1
	v_dual_lshrrev_b32 v25, 3, v28 :: v_dual_bitop2_b32 v13, 7, v27 bitop3:0x40
	s_mov_b32 s44, exec_lo
	v_cmpx_gt_u32_e32 8, v28
	s_cbranch_execz .LBB234_46
; %bb.45:                               ;   in Loop: Header=BB234_12 Depth=1
	s_delay_alu instid0(VALU_DEP_2) | instskip(NEXT) | instid1(VALU_DEP_1)
	v_clz_i32_u32_e32 v13, v13
	v_min_u32_e32 v25, 32, v13
	v_mov_b32_e32 v13, v5
	s_delay_alu instid0(VALU_DEP_2) | instskip(SKIP_1) | instid1(VALU_DEP_2)
	v_subrev_nc_u32_e32 v28, 28, v25
	v_sub_nc_u32_e32 v25, 29, v25
	v_lshlrev_b64_e32 v[12:13], v28, v[12:13]
	s_delay_alu instid0(VALU_DEP_1)
	v_and_b32_e32 v13, 7, v12
.LBB234_46:                             ;   in Loop: Header=BB234_12 Depth=1
	s_or_b32 exec_lo, exec_lo, s44
	s_delay_alu instid0(VALU_DEP_1) | instskip(SKIP_1) | instid1(VALU_DEP_1)
	v_dual_lshlrev_b32 v12, 8, v27 :: v_dual_lshlrev_b32 v13, 23, v13
	v_lshl_add_u32 v25, v25, 10, 0x2000
	v_and_or_b32 v12, 0x8000, v12, v25
	s_delay_alu instid0(VALU_DEP_1)
	v_lshl_or_b32 v25, v12, 16, v13
.LBB234_47:                             ;   in Loop: Header=BB234_12 Depth=1
	s_or_b32 exec_lo, exec_lo, s43
.LBB234_48:                             ;   in Loop: Header=BB234_12 Depth=1
	s_delay_alu instid0(SALU_CYCLE_1)
	s_or_b32 exec_lo, exec_lo, s42
.LBB234_49:                             ;   in Loop: Header=BB234_12 Depth=1
	s_delay_alu instid0(SALU_CYCLE_1)
	s_or_b32 exec_lo, exec_lo, s41
	global_load_u16 v12, v[10:11], off offset:128
	v_mov_b32_e32 v13, 0
	s_wait_loadcnt 0x0
	v_and_b32_e32 v27, 0xff, v12
	v_and_b32_e32 v12, 0xffff, v12
	s_delay_alu instid0(VALU_DEP_2)
	v_cmp_ne_u16_e64 s4, 0, v27
	v_mov_b32_e32 v27, 0
	s_and_saveexec_b32 s41, s4
	s_cbranch_execz .LBB234_57
; %bb.50:                               ;   in Loop: Header=BB234_12 Depth=1
	v_and_b32_e32 v27, 0xff, v12
	s_delay_alu instid0(VALU_DEP_1)
	v_cmp_ne_u16_e64 s4, 0x80, v27
	v_mov_b32_e32 v27, 0x8000
	s_and_saveexec_b32 s42, s4
	s_cbranch_execz .LBB234_56
; %bb.51:                               ;   in Loop: Header=BB234_12 Depth=1
	v_and_b32_e32 v29, 0x7f, v12
	v_mov_b32_e32 v27, 0x7c01
	s_mov_b32 s43, exec_lo
	s_delay_alu instid0(VALU_DEP_2)
	v_cmpx_ne_u32_e32 0x7f, v29
	s_cbranch_execz .LBB234_55
; %bb.52:                               ;   in Loop: Header=BB234_12 Depth=1
	v_dual_lshrrev_b32 v28, 3, v29 :: v_dual_bitop2_b32 v27, 7, v12 bitop3:0x40
	s_mov_b32 s44, exec_lo
	v_cmpx_gt_u32_e32 8, v29
; %bb.53:                               ;   in Loop: Header=BB234_12 Depth=1
	s_delay_alu instid0(VALU_DEP_2) | instskip(NEXT) | instid1(VALU_DEP_1)
	v_clz_i32_u32_e32 v27, v27
	v_min_u32_e32 v27, 32, v27
	s_delay_alu instid0(VALU_DEP_1) | instskip(NEXT) | instid1(VALU_DEP_1)
	v_subrev_nc_u32_e32 v28, 28, v27
	v_lshlrev_b64_e32 v[30:31], v28, v[12:13]
	s_delay_alu instid0(VALU_DEP_1)
	v_dual_sub_nc_u32 v28, 29, v27 :: v_dual_bitop2_b32 v27, 7, v30 bitop3:0x40
; %bb.54:                               ;   in Loop: Header=BB234_12 Depth=1
	s_or_b32 exec_lo, exec_lo, s44
	s_delay_alu instid0(VALU_DEP_1) | instskip(NEXT) | instid1(VALU_DEP_2)
	v_dual_lshlrev_b32 v29, 8, v12 :: v_dual_lshlrev_b32 v27, 7, v27
	v_lshl_add_u32 v28, v28, 10, 0x2000
	s_delay_alu instid0(VALU_DEP_2) | instskip(NEXT) | instid1(VALU_DEP_2)
	v_and_b32_e32 v29, 0x8000, v29
	v_and_b32_e32 v28, 0xfc00, v28
	s_delay_alu instid0(VALU_DEP_1)
	v_or3_b32 v27, v29, v28, v27
.LBB234_55:                             ;   in Loop: Header=BB234_12 Depth=1
	s_or_b32 exec_lo, exec_lo, s43
.LBB234_56:                             ;   in Loop: Header=BB234_12 Depth=1
	s_delay_alu instid0(SALU_CYCLE_1)
	s_or_b32 exec_lo, exec_lo, s42
.LBB234_57:                             ;   in Loop: Header=BB234_12 Depth=1
	s_delay_alu instid0(SALU_CYCLE_1) | instskip(SKIP_2) | instid1(VALU_DEP_1)
	s_or_b32 exec_lo, exec_lo, s41
	v_lshrrev_b16 v12, 8, v12
	s_mov_b32 s41, exec_lo
	v_cmpx_ne_u16_e32 0, v12
	s_cbranch_execz .LBB234_65
; %bb.58:                               ;   in Loop: Header=BB234_12 Depth=1
	v_bfrev_b32_e32 v13, 1
	s_mov_b32 s42, exec_lo
	v_cmpx_ne_u16_e32 0x80, v12
	s_cbranch_execz .LBB234_64
; %bb.59:                               ;   in Loop: Header=BB234_12 Depth=1
	v_and_b32_e32 v28, 0xffff, v12
	v_mov_b32_e32 v13, 0x7c010000
	s_mov_b32 s43, exec_lo
	s_delay_alu instid0(VALU_DEP_2) | instskip(NEXT) | instid1(VALU_DEP_1)
	v_and_b32_e32 v30, 0x7f, v28
	v_cmpx_ne_u32_e32 0x7f, v30
	s_cbranch_execz .LBB234_63
; %bb.60:                               ;   in Loop: Header=BB234_12 Depth=1
	v_dual_lshrrev_b32 v29, 3, v30 :: v_dual_bitop2_b32 v13, 7, v28 bitop3:0x40
	s_mov_b32 s44, exec_lo
	v_cmpx_gt_u32_e32 8, v30
	s_cbranch_execz .LBB234_62
; %bb.61:                               ;   in Loop: Header=BB234_12 Depth=1
	s_delay_alu instid0(VALU_DEP_2) | instskip(NEXT) | instid1(VALU_DEP_1)
	v_clz_i32_u32_e32 v13, v13
	v_min_u32_e32 v29, 32, v13
	v_mov_b32_e32 v13, v5
	s_delay_alu instid0(VALU_DEP_2) | instskip(SKIP_1) | instid1(VALU_DEP_2)
	v_subrev_nc_u32_e32 v30, 28, v29
	v_sub_nc_u32_e32 v29, 29, v29
	v_lshlrev_b64_e32 v[12:13], v30, v[12:13]
	s_delay_alu instid0(VALU_DEP_1)
	v_and_b32_e32 v13, 7, v12
.LBB234_62:                             ;   in Loop: Header=BB234_12 Depth=1
	s_or_b32 exec_lo, exec_lo, s44
	s_delay_alu instid0(VALU_DEP_1) | instskip(SKIP_1) | instid1(VALU_DEP_1)
	v_dual_lshlrev_b32 v12, 8, v28 :: v_dual_lshlrev_b32 v13, 23, v13
	v_lshl_add_u32 v28, v29, 10, 0x2000
	v_and_or_b32 v12, 0x8000, v12, v28
	s_delay_alu instid0(VALU_DEP_1)
	v_lshl_or_b32 v13, v12, 16, v13
.LBB234_63:                             ;   in Loop: Header=BB234_12 Depth=1
	s_or_b32 exec_lo, exec_lo, s43
.LBB234_64:                             ;   in Loop: Header=BB234_12 Depth=1
	s_delay_alu instid0(SALU_CYCLE_1)
	s_or_b32 exec_lo, exec_lo, s42
.LBB234_65:                             ;   in Loop: Header=BB234_12 Depth=1
	s_delay_alu instid0(SALU_CYCLE_1)
	s_or_b32 exec_lo, exec_lo, s41
	global_load_u16 v10, v[10:11], off offset:136
	s_wait_xcnt 0x0
	v_mov_b32_e32 v11, 0
	s_wait_loadcnt 0x0
	v_and_b32_e32 v12, 0xff, v10
	v_and_b32_e32 v10, 0xffff, v10
	s_delay_alu instid0(VALU_DEP_2)
	v_cmp_ne_u16_e64 s4, 0, v12
	v_mov_b32_e32 v12, 0
	s_and_saveexec_b32 s41, s4
	s_cbranch_execz .LBB234_73
; %bb.66:                               ;   in Loop: Header=BB234_12 Depth=1
	v_and_b32_e32 v12, 0xff, v10
	s_delay_alu instid0(VALU_DEP_1)
	v_cmp_ne_u16_e64 s4, 0x80, v12
	v_mov_b32_e32 v12, 0x8000
	s_and_saveexec_b32 s42, s4
	s_cbranch_execz .LBB234_72
; %bb.67:                               ;   in Loop: Header=BB234_12 Depth=1
	v_and_b32_e32 v29, 0x7f, v10
	v_mov_b32_e32 v12, 0x7c01
	s_mov_b32 s43, exec_lo
	s_delay_alu instid0(VALU_DEP_2)
	v_cmpx_ne_u32_e32 0x7f, v29
	s_cbranch_execz .LBB234_71
; %bb.68:                               ;   in Loop: Header=BB234_12 Depth=1
	v_dual_lshrrev_b32 v28, 3, v29 :: v_dual_bitop2_b32 v12, 7, v10 bitop3:0x40
	s_mov_b32 s44, exec_lo
	v_cmpx_gt_u32_e32 8, v29
; %bb.69:                               ;   in Loop: Header=BB234_12 Depth=1
	s_delay_alu instid0(VALU_DEP_2) | instskip(NEXT) | instid1(VALU_DEP_1)
	v_clz_i32_u32_e32 v12, v12
	v_min_u32_e32 v12, 32, v12
	s_delay_alu instid0(VALU_DEP_1) | instskip(NEXT) | instid1(VALU_DEP_1)
	v_subrev_nc_u32_e32 v28, 28, v12
	v_lshlrev_b64_e32 v[30:31], v28, v[10:11]
	s_delay_alu instid0(VALU_DEP_1)
	v_dual_sub_nc_u32 v28, 29, v12 :: v_dual_bitop2_b32 v12, 7, v30 bitop3:0x40
; %bb.70:                               ;   in Loop: Header=BB234_12 Depth=1
	s_or_b32 exec_lo, exec_lo, s44
	s_delay_alu instid0(VALU_DEP_1) | instskip(NEXT) | instid1(VALU_DEP_2)
	v_dual_lshlrev_b32 v29, 8, v10 :: v_dual_lshlrev_b32 v12, 7, v12
	v_lshl_add_u32 v28, v28, 10, 0x2000
	s_delay_alu instid0(VALU_DEP_2) | instskip(NEXT) | instid1(VALU_DEP_2)
	v_and_b32_e32 v29, 0x8000, v29
	v_and_b32_e32 v28, 0xfc00, v28
	s_delay_alu instid0(VALU_DEP_1)
	v_or3_b32 v12, v29, v28, v12
.LBB234_71:                             ;   in Loop: Header=BB234_12 Depth=1
	s_or_b32 exec_lo, exec_lo, s43
.LBB234_72:                             ;   in Loop: Header=BB234_12 Depth=1
	s_delay_alu instid0(SALU_CYCLE_1)
	s_or_b32 exec_lo, exec_lo, s42
.LBB234_73:                             ;   in Loop: Header=BB234_12 Depth=1
	s_delay_alu instid0(SALU_CYCLE_1) | instskip(SKIP_2) | instid1(VALU_DEP_1)
	s_or_b32 exec_lo, exec_lo, s41
	v_lshrrev_b16 v10, 8, v10
	s_mov_b32 s41, exec_lo
	v_cmpx_ne_u16_e32 0, v10
	s_cbranch_execz .LBB234_81
; %bb.74:                               ;   in Loop: Header=BB234_12 Depth=1
	v_bfrev_b32_e32 v11, 1
	s_mov_b32 s42, exec_lo
	v_cmpx_ne_u16_e32 0x80, v10
	s_cbranch_execz .LBB234_80
; %bb.75:                               ;   in Loop: Header=BB234_12 Depth=1
	v_and_b32_e32 v28, 0xffff, v10
	v_mov_b32_e32 v11, 0x7c010000
	s_mov_b32 s43, exec_lo
	s_delay_alu instid0(VALU_DEP_2) | instskip(NEXT) | instid1(VALU_DEP_1)
	v_and_b32_e32 v30, 0x7f, v28
	v_cmpx_ne_u32_e32 0x7f, v30
	s_cbranch_execz .LBB234_79
; %bb.76:                               ;   in Loop: Header=BB234_12 Depth=1
	v_dual_lshrrev_b32 v29, 3, v30 :: v_dual_bitop2_b32 v11, 7, v28 bitop3:0x40
	s_mov_b32 s44, exec_lo
	v_cmpx_gt_u32_e32 8, v30
	s_cbranch_execz .LBB234_78
; %bb.77:                               ;   in Loop: Header=BB234_12 Depth=1
	s_delay_alu instid0(VALU_DEP_2) | instskip(NEXT) | instid1(VALU_DEP_1)
	v_clz_i32_u32_e32 v11, v11
	v_min_u32_e32 v29, 32, v11
	v_mov_b32_e32 v11, v5
	s_delay_alu instid0(VALU_DEP_2) | instskip(SKIP_1) | instid1(VALU_DEP_2)
	v_subrev_nc_u32_e32 v30, 28, v29
	v_sub_nc_u32_e32 v29, 29, v29
	v_lshlrev_b64_e32 v[10:11], v30, v[10:11]
	s_delay_alu instid0(VALU_DEP_1)
	v_and_b32_e32 v11, 7, v10
.LBB234_78:                             ;   in Loop: Header=BB234_12 Depth=1
	s_or_b32 exec_lo, exec_lo, s44
	s_delay_alu instid0(VALU_DEP_1) | instskip(SKIP_1) | instid1(VALU_DEP_1)
	v_dual_lshlrev_b32 v10, 8, v28 :: v_dual_lshlrev_b32 v11, 23, v11
	v_lshl_add_u32 v28, v29, 10, 0x2000
	v_and_or_b32 v10, 0x8000, v10, v28
	s_delay_alu instid0(VALU_DEP_1)
	v_lshl_or_b32 v11, v10, 16, v11
.LBB234_79:                             ;   in Loop: Header=BB234_12 Depth=1
	s_or_b32 exec_lo, exec_lo, s43
.LBB234_80:                             ;   in Loop: Header=BB234_12 Depth=1
	s_delay_alu instid0(SALU_CYCLE_1)
	s_or_b32 exec_lo, exec_lo, s42
.LBB234_81:                             ;   in Loop: Header=BB234_12 Depth=1
	s_delay_alu instid0(SALU_CYCLE_1)
	s_or_b32 exec_lo, exec_lo, s41
	ds_load_b32 v10, v15
	v_or_b32_e32 v24, v23, v24
	v_fma_mixlo_f16 v23, v22, v23, 0 op_sel:[0,1,0] op_sel_hi:[0,1,0]
	v_or_b32_e32 v12, v11, v12
	v_fma_mixlo_f16 v11, v22, v11, 0 op_sel:[0,1,0] op_sel_hi:[0,1,0]
	s_delay_alu instid0(VALU_DEP_3) | instskip(NEXT) | instid1(VALU_DEP_3)
	v_and_b32_e32 v23, 0xffff, v23
	v_fma_mixlo_f16 v12, v22, v12, 0 op_sel_hi:[0,1,0]
	s_delay_alu instid0(VALU_DEP_1)
	v_and_b32_e32 v12, 0xffff, v12
	s_wait_dscnt 0x0
	v_and_b32_e32 v28, 0xffff, v10
	v_lshrrev_b32_e32 v10, 16, v10
	v_fma_mixlo_f16 v24, v22, v24, 0 op_sel_hi:[0,1,0]
	;;#ASMSTART
	v_cvt_f32_f16 v28, v28;
	;;#ASMEND
	;;#ASMSTART
	v_cvt_f32_f16 v29, v10;
	;;#ASMEND
	s_delay_alu instid0(VALU_DEP_1)
	v_and_b32_e32 v24, 0xffff, v24
	;;#ASMSTART
	v_cvt_f32_f16 v30, v24;
	;;#ASMEND
	;;#ASMSTART
	v_cvt_f32_f16 v31, v23;
	;;#ASMEND
	ds_load_b32 v10, v15 offset:4
	v_or_b32_e32 v23, v25, v26
	v_fma_mixlo_f16 v24, v22, v25, 0 op_sel:[0,1,0] op_sel_hi:[0,1,0]
	s_delay_alu instid0(VALU_DEP_2) | instskip(NEXT) | instid1(VALU_DEP_2)
	v_fma_mixlo_f16 v23, v22, v23, 0 op_sel_hi:[0,1,0]
	v_and_b32_e32 v24, 0xffff, v24
	s_delay_alu instid0(VALU_DEP_2)
	v_and_b32_e32 v23, 0xffff, v23
	s_wait_dscnt 0x0
	v_and_b32_e32 v25, 0xffff, v10
	v_lshrrev_b32_e32 v10, 16, v10
	;;#ASMSTART
	v_cvt_f32_f16 v25, v25;
	;;#ASMEND
	;;#ASMSTART
	v_cvt_f32_f16 v26, v10;
	;;#ASMEND
	;; [unrolled: 3-line block ×4, first 2 shown]
	ds_load_b32 v10, v15 offset:8
	v_or_b32_e32 v23, v13, v27
	v_fma_mixlo_f16 v13, v22, v13, 0 op_sel:[0,1,0] op_sel_hi:[0,1,0]
	s_delay_alu instid0(VALU_DEP_2) | instskip(NEXT) | instid1(VALU_DEP_2)
	v_fma_mixlo_f16 v23, v22, v23, 0 op_sel_hi:[0,1,0]
	v_and_b32_e32 v13, 0xffff, v13
	v_mul_f32_e32 v22, v25, v32
	s_delay_alu instid0(VALU_DEP_3) | instskip(NEXT) | instid1(VALU_DEP_2)
	v_and_b32_e32 v23, 0xffff, v23
	v_fmac_f32_e32 v22, v28, v30
	s_wait_dscnt 0x0
	v_and_b32_e32 v27, 0xffff, v10
	v_lshrrev_b32_e32 v10, 16, v10
	;;#ASMSTART
	v_cvt_f32_f16 v27, v27;
	;;#ASMEND
	;;#ASMSTART
	v_cvt_f32_f16 v33, v10;
	;;#ASMEND
	;; [unrolled: 3-line block ×4, first 2 shown]
	ds_load_b32 v10, v15 offset:12
	v_dual_mul_f32 v23, v26, v24 :: v_dual_bitop2_b32 v13, 2, v3 bitop3:0x14
	v_and_b32_e32 v24, 0xffff, v11
	s_delay_alu instid0(VALU_DEP_2) | instskip(NEXT) | instid1(VALU_DEP_1)
	v_cmp_gt_i32_e64 s4, 32, v13
	v_dual_fmac_f32 v23, v29, v31 :: v_dual_cndmask_b32 v11, v3, v13, s4
	s_wait_dscnt 0x0
	v_and_b32_e32 v13, 0xffff, v10
	v_lshrrev_b32_e32 v10, 16, v10
	s_delay_alu instid0(VALU_DEP_3)
	v_dual_fmac_f32 v22, v27, v34 :: v_dual_fmac_f32 v23, v33, v35
	;;#ASMSTART
	v_cvt_f32_f16 v13, v13;
	;;#ASMEND
	;;#ASMSTART
	v_cvt_f32_f16 v10, v10;
	;;#ASMEND
	;; [unrolled: 3-line block ×4, first 2 shown]
	v_fmac_f32_e32 v22, v13, v12
	v_dual_fmac_f32 v23, v10, v24 :: v_dual_bitop2_b32 v12, 1, v3 bitop3:0x14
	v_lshlrev_b32_e32 v10, 2, v11
	s_delay_alu instid0(VALU_DEP_2) | instskip(NEXT) | instid1(VALU_DEP_1)
	v_cmp_gt_i32_e64 s4, 32, v12
	v_dual_add_f32 v11, v22, v23 :: v_dual_cndmask_b32 v12, v3, v12, s4
	ds_bpermute_b32 v10, v10, v11
	s_wait_dscnt 0x0
	v_dual_add_f32 v10, v11, v10 :: v_dual_lshlrev_b32 v11, 2, v12
	ds_bpermute_b32 v11, v11, v10
	s_and_saveexec_b32 s41, s3
	s_cbranch_execz .LBB234_10
; %bb.82:                               ;   in Loop: Header=BB234_12 Depth=1
	s_wait_dscnt 0x0
	v_dual_add_nc_u32 v12, v17, v4 :: v_dual_add_f32 v10, v10, v11
	s_delay_alu instid0(VALU_DEP_1) | instskip(NEXT) | instid1(VALU_DEP_1)
	v_cvt_f32_i32_e32 v12, v12
	v_mul_f32_e32 v12, s37, v12
	s_delay_alu instid0(VALU_DEP_1) | instskip(NEXT) | instid1(VALU_DEP_1)
	v_cndmask_b32_e32 v11, 0, v12, vcc_lo
	v_dual_fmac_f32 v11, s27, v10 :: v_dual_add_nc_u32 v10, v14, v4
	s_delay_alu instid0(VALU_DEP_1) | instskip(NEXT) | instid1(VALU_DEP_1)
	v_cmp_gt_i32_e64 s4, s34, v10
	v_dual_max_num_f32 v12, v16, v16 :: v_dual_cndmask_b32 v10, 0, v11, s4
	s_delay_alu instid0(VALU_DEP_1)
	v_max_num_f32_e32 v12, v12, v11
	ds_store_b32 v18, v10
	v_cndmask_b32_e64 v16, v16, v12, s4
	s_branch .LBB234_10
.LBB234_83:
	s_or_b32 exec_lo, exec_lo, s40
.LBB234_84:
	s_delay_alu instid0(SALU_CYCLE_1)
	s_or_b32 exec_lo, exec_lo, s26
	v_dual_max_num_f32 v7, v16, v16 :: v_dual_bitop2_b32 v4, 16, v3 bitop3:0x14
	s_clause 0x1
	s_load_b64 s[4:5], s[0:1], 0x0
	s_load_b64 s[26:27], s[0:1], 0x18
	v_and_b32_e32 v20, 31, v0
	v_xor_b32_e32 v6, 8, v3
	v_cmp_gt_i32_e32 vcc_lo, 32, v4
	v_cndmask_b32_e32 v4, v3, v4, vcc_lo
	s_delay_alu instid0(VALU_DEP_3) | instskip(NEXT) | instid1(VALU_DEP_2)
	v_cmp_gt_i32_e32 vcc_lo, 32, v6
	v_dual_lshlrev_b32 v4, 2, v4 :: v_dual_cndmask_b32 v6, v3, v6, vcc_lo
	ds_bpermute_b32 v5, v4, v16
	s_wait_dscnt 0x0
	v_dual_max_num_f32 v8, v5, v5 :: v_dual_lshlrev_b32 v5, 2, v6
	s_delay_alu instid0(VALU_DEP_1) | instskip(SKIP_4) | instid1(VALU_DEP_1)
	v_dual_max_num_f32 v6, v7, v8 :: v_dual_bitop2_b32 v8, 4, v3 bitop3:0x14
	ds_bpermute_b32 v7, v5, v6
	v_cmp_gt_i32_e32 vcc_lo, 32, v8
	v_cndmask_b32_e32 v8, v3, v8, vcc_lo
	s_wait_dscnt 0x0
	v_dual_max_num_f32 v7, v7, v7 :: v_dual_lshlrev_b32 v8, 2, v8
	s_delay_alu instid0(VALU_DEP_1)
	v_max_num_f32_e32 v7, v6, v7
	v_lshlrev_b32_e32 v6, 2, v19
	v_cmp_eq_u32_e32 vcc_lo, 0, v20
	ds_bpermute_b32 v9, v8, v7
	s_wait_xcnt 0x0
	s_and_saveexec_b32 s0, vcc_lo
	s_cbranch_execz .LBB234_86
; %bb.85:
	s_wait_dscnt 0x0
	v_dual_max_num_f32 v9, v9, v9 :: v_dual_max_num_f32 v7, v7, v7
	s_delay_alu instid0(VALU_DEP_1)
	v_max_num_f32_e32 v7, v7, v9
	ds_store_b32 v6, v7 offset:64
.LBB234_86:
	s_or_b32 exec_lo, exec_lo, s0
	v_cmp_gt_u32_e64 s0, 4, v20
	v_dual_mov_b32 v10, 0xff7fffff :: v_dual_lshlrev_b32 v7, 2, v20
	s_wait_dscnt 0x0
	s_barrier_signal -1
	s_barrier_wait -1
	s_and_saveexec_b32 s1, s0
; %bb.87:
	ds_load_b32 v10, v7 offset:64
; %bb.88:
	s_or_b32 exec_lo, exec_lo, s1
	v_xor_b32_e32 v9, 2, v3
	v_xor_b32_e32 v12, 1, v3
	s_delay_alu instid0(VALU_DEP_2) | instskip(NEXT) | instid1(VALU_DEP_1)
	v_cmp_gt_i32_e64 s1, 32, v9
	v_cndmask_b32_e64 v9, v3, v9, s1
	s_delay_alu instid0(VALU_DEP_3) | instskip(NEXT) | instid1(VALU_DEP_1)
	v_cmp_gt_i32_e64 s1, 32, v12
	v_dual_lshlrev_b32 v9, 2, v9 :: v_dual_cndmask_b32 v3, v3, v12, s1
	s_lshl_b32 s1, s12, 3
	s_delay_alu instid0(SALU_CYCLE_1)
	s_min_i32 s8, s1, s34
	s_wait_dscnt 0x0
	ds_bpermute_b32 v11, v9, v10
	v_max_num_f32_e32 v10, v10, v10
	v_cmp_gt_i32_e64 s1, s8, v0
	v_lshlrev_b32_e32 v3, 2, v3
	s_wait_dscnt 0x0
	v_max_num_f32_e32 v11, v11, v11
	s_delay_alu instid0(VALU_DEP_1) | instskip(SKIP_3) | instid1(VALU_DEP_1)
	v_max_num_f32_e32 v10, v10, v11
	ds_bpermute_b32 v11, v3, v10
	s_wait_dscnt 0x0
	v_max_num_f32_e32 v11, v11, v11
	v_dual_max_num_f32 v11, v10, v11 :: v_dual_mov_b32 v10, 0
	ds_bpermute_b32 v11, v10, v11
	s_and_saveexec_b32 s9, s1
	s_cbranch_execz .LBB234_92
; %bb.89:
	v_lshl_add_u32 v12, v0, 2, 0x60
	v_dual_mov_b32 v10, 0 :: v_dual_mov_b32 v13, v0
	s_mov_b32 s19, 0
.LBB234_90:                             ; =>This Inner Loop Header: Depth=1
	ds_load_b32 v14, v12
	v_add_nc_u32_e32 v13, 0x80, v13
	s_delay_alu instid0(VALU_DEP_1) | instskip(SKIP_3) | instid1(VALU_DEP_1)
	v_cmp_le_i32_e64 s3, s8, v13
	s_or_b32 s19, s3, s19
	s_wait_dscnt 0x0
	v_sub_f32_e32 v14, v14, v11
	v_mul_f32_e32 v14, 0x3fb8aa3b, v14
	s_delay_alu instid0(VALU_DEP_1)
	v_exp_f32_e32 v14, v14
	ds_store_b32 v12, v14
	v_nop
	v_add_f32_e32 v10, v10, v14
	v_add_nc_u32_e32 v12, 0x200, v12
	s_and_not1_b32 exec_lo, exec_lo, s19
	s_cbranch_execnz .LBB234_90
; %bb.91:
	s_or_b32 exec_lo, exec_lo, s19
.LBB234_92:
	s_delay_alu instid0(SALU_CYCLE_1)
	s_or_b32 exec_lo, exec_lo, s9
	ds_bpermute_b32 v4, v4, v10
	s_wait_dscnt 0x0
	v_add_f32_e32 v4, v10, v4
	ds_bpermute_b32 v5, v5, v4
	s_wait_dscnt 0x0
	v_add_f32_e32 v4, v4, v5
	;; [unrolled: 3-line block ×5, first 2 shown]
	s_and_saveexec_b32 s3, vcc_lo
; %bb.93:
	ds_store_b32 v6, v4 offset:80
; %bb.94:
	s_or_b32 exec_lo, exec_lo, s3
	s_wait_dscnt 0x0
	s_barrier_signal -1
	s_barrier_wait -1
	s_and_saveexec_b32 s3, s0
; %bb.95:
	ds_load_b32 v4, v7 offset:80
; %bb.96:
	s_or_b32 exec_lo, exec_lo, s3
	s_wait_dscnt 0x0
	ds_bpermute_b32 v5, v9, v4
	s_wait_dscnt 0x0
	v_dual_mov_b32 v24, 0 :: v_dual_add_f32 v4, v4, v5
	ds_bpermute_b32 v3, v3, v4
	s_wait_dscnt 0x0
	v_add_f32_e32 v3, v4, v3
	ds_bpermute_b32 v3, v24, v3
	s_and_saveexec_b32 s0, s1
	s_cbranch_execz .LBB234_109
; %bb.97:
	s_wait_dscnt 0x0
	v_add_f32_e32 v3, 0x358637bd, v3
	s_mov_b32 s3, -1
	s_mov_b32 s1, exec_lo
	s_delay_alu instid0(VALU_DEP_1) | instskip(NEXT) | instid1(VALU_DEP_1)
	v_div_scale_f32 v4, null, v3, v3, 1.0
	v_rcp_f32_e32 v6, v4
	v_nop
	s_delay_alu instid0(TRANS32_DEP_1) | instskip(NEXT) | instid1(VALU_DEP_1)
	v_fma_f32 v5, -v4, v6, 1.0
	v_fmac_f32_e32 v6, v5, v6
	v_div_scale_f32 v7, vcc_lo, 1.0, v3, 1.0
	s_delay_alu instid0(VALU_DEP_1) | instskip(NEXT) | instid1(VALU_DEP_1)
	v_mul_f32_e32 v8, v7, v6
	v_fma_f32 v5, -v4, v8, v7
	s_delay_alu instid0(VALU_DEP_1) | instskip(SKIP_1) | instid1(VALU_DEP_2)
	v_fmac_f32_e32 v8, v5, v6
	v_xad_u32 v5, v0, -1, s8
	v_fma_f32 v4, -v4, v8, v7
	s_delay_alu instid0(VALU_DEP_1) | instskip(NEXT) | instid1(VALU_DEP_1)
	v_div_fmas_f32 v4, v4, v6, v8
	v_div_fixup_f32 v4, v4, v3, 1.0
	v_mov_b32_e32 v3, v0
	v_cmpx_lt_u32_e32 0x7f, v5
	s_cbranch_execz .LBB234_106
; %bb.98:
	s_delay_alu instid0(VALU_DEP_3) | instskip(NEXT) | instid1(VALU_DEP_1)
	v_dual_lshrrev_b32 v3, 7, v5 :: v_dual_mov_b32 v5, v4
	v_dual_mov_b32 v9, 0 :: v_dual_add_nc_u32 v6, -1, v3
	s_delay_alu instid0(VALU_DEP_1) | instskip(SKIP_1) | instid1(VALU_DEP_2)
	v_lshrrev_b32_e32 v7, 1, v6
	v_cmp_lt_u32_e32 vcc_lo, 13, v6
	v_add_nc_u32_e32 v6, 1, v7
	s_and_saveexec_b32 s3, vcc_lo
	s_cbranch_execz .LBB234_102
; %bb.99:
	s_delay_alu instid0(VALU_DEP_1)
	v_and_b32_e32 v7, -8, v6
	v_lshl_add_u32 v8, v0, 2, 0x60
	s_mov_b32 s9, 0
	s_mov_b32 s19, 0
.LBB234_100:                            ; =>This Inner Loop Header: Depth=1
	ds_load_2addr_stride64_b32 v[10:11], v8 offset1:2
	ds_load_2addr_stride64_b32 v[12:13], v8 offset0:4 offset1:6
	ds_load_2addr_stride64_b32 v[14:15], v8 offset0:8 offset1:10
	;; [unrolled: 1-line block ×7, first 2 shown]
	s_add_co_i32 s19, s19, 16
	s_delay_alu instid0(SALU_CYCLE_1) | instskip(NEXT) | instid1(VALU_DEP_1)
	v_dual_add_nc_u32 v7, -8, v7 :: v_dual_mov_b32 v9, s19
	v_cmp_eq_u32_e32 vcc_lo, 0, v7
	s_or_b32 s9, vcc_lo, s9
	s_wait_dscnt 0x7
	v_pk_mul_f32 v[10:11], v[4:5], v[10:11]
	s_wait_dscnt 0x6
	v_pk_mul_f32 v[12:13], v[4:5], v[12:13]
	;; [unrolled: 2-line block ×8, first 2 shown]
	ds_store_2addr_stride64_b32 v8, v10, v11 offset1:2
	ds_store_2addr_stride64_b32 v8, v12, v13 offset0:4 offset1:6
	ds_store_2addr_stride64_b32 v8, v14, v15 offset0:8 offset1:10
	;; [unrolled: 1-line block ×7, first 2 shown]
	v_add_nc_u32_e32 v8, 0x2000, v8
	s_and_not1_b32 exec_lo, exec_lo, s9
	s_cbranch_execnz .LBB234_100
; %bb.101:
	s_or_b32 exec_lo, exec_lo, s9
.LBB234_102:
	s_delay_alu instid0(SALU_CYCLE_1) | instskip(NEXT) | instid1(VALU_DEP_1)
	s_or_b32 exec_lo, exec_lo, s3
	v_and_b32_e32 v6, 7, v6
	s_mov_b32 s9, 0
	s_mov_b32 s3, exec_lo
	s_delay_alu instid0(VALU_DEP_1)
	v_cmpx_ne_u32_e32 0, v6
	s_cbranch_execz .LBB234_105
; %bb.103:
	v_dual_lshlrev_b32 v7, 9, v9 :: v_dual_lshlrev_b32 v8, 2, v0
	s_delay_alu instid0(VALU_DEP_1)
	v_add3_u32 v7, v7, v8, 0x60
.LBB234_104:                            ; =>This Inner Loop Header: Depth=1
	ds_load_2addr_stride64_b32 v[8:9], v7 offset1:2
	v_add_nc_u32_e32 v6, -1, v6
	s_delay_alu instid0(VALU_DEP_1)
	v_cmp_eq_u32_e32 vcc_lo, 0, v6
	s_or_b32 s9, vcc_lo, s9
	s_wait_dscnt 0x0
	v_pk_mul_f32 v[8:9], v[4:5], v[8:9]
	ds_store_2addr_stride64_b32 v7, v8, v9 offset1:2
	v_add_nc_u32_e32 v7, 0x400, v7
	s_and_not1_b32 exec_lo, exec_lo, s9
	s_cbranch_execnz .LBB234_104
.LBB234_105:
	s_or_b32 exec_lo, exec_lo, s3
	v_add_nc_u32_e32 v3, 1, v3
	s_delay_alu instid0(VALU_DEP_1) | instskip(NEXT) | instid1(VALU_DEP_1)
	v_and_b32_e32 v5, 0x3fffffe, v3
	v_cmp_ne_u32_e32 vcc_lo, v3, v5
	v_lshl_add_u32 v3, v5, 7, v0
	s_or_not1_b32 s3, vcc_lo, exec_lo
.LBB234_106:
	s_or_b32 exec_lo, exec_lo, s1
	s_delay_alu instid0(SALU_CYCLE_1)
	s_and_b32 exec_lo, exec_lo, s3
	s_cbranch_execz .LBB234_109
; %bb.107:
	v_lshl_add_u32 v5, v3, 2, 0x60
	s_mov_b32 s1, 0
.LBB234_108:                            ; =>This Inner Loop Header: Depth=1
	ds_load_b32 v6, v5
	s_wait_dscnt 0x0
	v_dual_mul_f32 v6, v4, v6 :: v_dual_add_nc_u32 v3, 0x80, v3
	s_delay_alu instid0(VALU_DEP_1) | instskip(SKIP_3) | instid1(SALU_CYCLE_1)
	v_cmp_le_i32_e32 vcc_lo, s8, v3
	ds_store_b32 v5, v6
	v_add_nc_u32_e32 v5, 0x200, v5
	s_or_b32 s1, vcc_lo, s1
	s_and_not1_b32 exec_lo, exec_lo, s1
	s_cbranch_execnz .LBB234_108
.LBB234_109:
	s_or_b32 exec_lo, exec_lo, s0
	s_wait_dscnt 0x0
	s_barrier_signal -1
	s_barrier_wait -1
	s_and_saveexec_b32 s28, s2
	s_cbranch_execz .LBB234_181
; %bb.110:
	s_abs_i32 s14, s14
	v_dual_mov_b32 v5, 0 :: v_dual_lshlrev_b32 v4, 3, v20
	s_cvt_f32_u32 s0, s14
	s_ashr_i32 s19, s18, 31
	v_lshl_add_u32 v21, v19, 5, 0x60
	s_wait_kmcnt 0x0
	s_add_nc_u64 s[18:19], s[26:27], s[18:19]
	v_rcp_iflag_f32_e32 v3, s0
	v_add_nc_u64_e32 v[6:7], s[18:19], v[4:5]
	v_and_b32_e32 v4, 0x7c, v1
	s_lshl_b64 s[0:1], s[24:25], 2
	s_sub_co_i32 s18, 0, s14
	s_add_nc_u64 s[0:1], s[22:23], s[0:1]
	v_bfrev_b32_e32 v22, 1
	v_readfirstlane_b32 s2, v3
	v_add_nc_u64_e32 v[8:9], s[0:1], v[4:5]
	v_dual_mov_b32 v23, v19 :: v_dual_mov_b32 v24, 0
	s_mov_b32 s3, 0
	s_mul_f32 s2, s2, 0x4f7ffffe
	s_sub_co_i32 s13, s36, s13
	s_add_co_i32 s29, s12, -1
	s_mov_b64 s[8:9], 0x100000000000000
	s_cvt_u32_f32 s2, s2
	s_mov_b32 s19, s3
	s_delay_alu instid0(SALU_CYCLE_2) | instskip(NEXT) | instid1(SALU_CYCLE_1)
	s_mul_i32 s18, s18, s2
	s_mul_hi_u32 s0, s2, s18
	s_mov_b32 s18, s34
	s_add_co_i32 s2, s2, s0
	s_branch .LBB234_113
.LBB234_111:                            ;   in Loop: Header=BB234_113 Depth=1
	s_or_b32 exec_lo, exec_lo, s0
	v_and_b32_e32 v1, 0xffff, v29
	v_and_b32_e32 v3, 0xffff, v30
	v_and_b32_e32 v4, 0xffff, v31
	v_and_b32_e32 v10, 0xffff, v32
	s_delay_alu instid0(VALU_DEP_4) | instskip(NEXT) | instid1(VALU_DEP_4)
	v_lshl_or_b32 v1, v25, 16, v1
	v_lshl_or_b32 v3, v26, 16, v3
	s_delay_alu instid0(VALU_DEP_4) | instskip(NEXT) | instid1(VALU_DEP_4)
	v_lshl_or_b32 v4, v27, 16, v4
	v_lshl_or_b32 v10, v28, 16, v10
	;;#ASMSTART
	v_pk_mul_f16 v1, v1, v15;

	;;#ASMEND
	;;#ASMSTART
	v_pk_mul_f16 v3, v3, v16;

	;;#ASMEND
	;; [unrolled: 4-line block ×4, first 2 shown]
	;;#ASMSTART
	v_pk_add_f16 v1, v1, v3;

	;;#ASMEND
	;;#ASMSTART
	v_pk_add_f16 v1, v1, v4;

	;;#ASMEND
	;; [unrolled: 4-line block ×3, first 2 shown]
	v_and_b32_e32 v3, 0xffff, v1
	v_lshrrev_b32_e32 v1, 16, v1
	;;#ASMSTART
	v_cvt_f32_f16 v3, v3;
	;;#ASMEND
	;;#ASMSTART
	v_cvt_f32_f16 v1, v1;
	;;#ASMEND
	s_delay_alu instid0(VALU_DEP_1) | instskip(NEXT) | instid1(VALU_DEP_1)
	v_add_f32_e32 v1, v3, v1
	v_add_f32_e32 v24, v24, v1
.LBB234_112:                            ;   in Loop: Header=BB234_113 Depth=1
	s_or_b32 exec_lo, exec_lo, s22
	v_dual_add_nc_u32 v23, 4, v23 :: v_dual_add_nc_u32 v2, 32, v2
	v_add_nc_u64_e32 v[8:9], 16, v[8:9]
	v_add_nc_u32_e32 v21, 0x80, v21
	s_delay_alu instid0(VALU_DEP_3) | instskip(SKIP_1) | instid1(SALU_CYCLE_1)
	v_cmp_le_i32_e32 vcc_lo, s12, v23
	s_or_b32 s19, vcc_lo, s19
	s_and_not1_b32 exec_lo, exec_lo, s19
	s_cbranch_execz .LBB234_180
.LBB234_113:                            ; =>This Inner Loop Header: Depth=1
	v_mov_b32_e32 v3, v5
	s_delay_alu instid0(VALU_DEP_1) | instskip(NEXT) | instid1(VALU_DEP_1)
	v_mul_u64_e32 v[10:11], s[20:21], v[2:3]
	v_mul_lo_u32 v1, v11, s16
	s_delay_alu instid0(VALU_DEP_1) | instskip(NEXT) | instid1(VALU_DEP_1)
	v_sub_nc_u32_e32 v1, v2, v1
	v_subrev_nc_u32_e32 v4, s16, v1
	v_cmp_le_u32_e32 vcc_lo, s16, v1
	s_delay_alu instid0(VALU_DEP_2) | instskip(NEXT) | instid1(VALU_DEP_1)
	v_dual_add_nc_u32 v3, 1, v11 :: v_dual_cndmask_b32 v1, v1, v4, vcc_lo
	v_cndmask_b32_e32 v3, v11, v3, vcc_lo
	s_delay_alu instid0(VALU_DEP_2) | instskip(NEXT) | instid1(VALU_DEP_2)
	v_cmp_le_u32_e32 vcc_lo, s16, v1
	v_add_nc_u32_e32 v4, 1, v3
	s_delay_alu instid0(VALU_DEP_1) | instskip(NEXT) | instid1(VALU_DEP_1)
	v_cndmask_b32_e32 v1, v3, v4, vcc_lo
	v_xor_b32_e32 v1, s15, v1
	s_delay_alu instid0(VALU_DEP_1) | instskip(NEXT) | instid1(VALU_DEP_1)
	v_subrev_nc_u32_e32 v1, s15, v1
	v_add_nc_u32_e32 v3, s35, v1
	v_cmp_lt_i32_e64 s0, s13, v1
	s_delay_alu instid0(VALU_DEP_2) | instskip(NEXT) | instid1(VALU_DEP_1)
	v_sub_nc_u32_e32 v4, 0, v3
	v_dual_ashrrev_i32 v3, 31, v3 :: v_dual_max_i32 v4, v3, v4
	s_delay_alu instid0(VALU_DEP_1) | instskip(NEXT) | instid1(VALU_DEP_1)
	v_mul_u64_e32 v[10:11], s[2:3], v[4:5]
	v_mul_lo_u32 v10, v11, s14
	s_delay_alu instid0(VALU_DEP_1) | instskip(NEXT) | instid1(VALU_DEP_1)
	v_sub_nc_u32_e32 v4, v4, v10
	v_subrev_nc_u32_e32 v10, s14, v4
	v_cmp_le_u32_e32 vcc_lo, s14, v4
	s_delay_alu instid0(VALU_DEP_2) | instskip(NEXT) | instid1(VALU_DEP_1)
	v_cndmask_b32_e32 v4, v4, v10, vcc_lo
	v_subrev_nc_u32_e32 v10, s14, v4
	v_cmp_le_u32_e32 vcc_lo, s14, v4
	s_delay_alu instid0(VALU_DEP_2) | instskip(NEXT) | instid1(VALU_DEP_1)
	v_cndmask_b32_e32 v4, v4, v10, vcc_lo
	v_xor_b32_e32 v4, v4, v3
	s_delay_alu instid0(VALU_DEP_1) | instskip(NEXT) | instid1(VALU_DEP_1)
	v_sub_nc_u32_e32 v3, v4, v3
	v_cmp_eq_u32_e32 vcc_lo, 0, v3
	s_or_b32 s0, vcc_lo, s0
	s_delay_alu instid0(SALU_CYCLE_1)
	s_and_saveexec_b32 s22, s0
	s_cbranch_execz .LBB234_112
; %bb.114:                              ;   in Loop: Header=BB234_113 Depth=1
	ds_load_2addr_b64 v[10:13], v21 offset1:1
	ds_load_2addr_b64 v[14:17], v21 offset0:2 offset1:3
	s_mov_b32 s1, 0
	s_mov_b32 s0, exec_lo
	s_wait_dscnt 0x1
	;;#ASMSTART
	v_cvt_f16_f32 v29, v10;

	;;#ASMEND
	;;#ASMSTART
	v_cvt_f16_f32 v25, v11;

	;;#ASMEND
	;; [unrolled: 4-line block ×4, first 2 shown]
	s_wait_dscnt 0x0
	;;#ASMSTART
	v_cvt_f16_f32 v31, v14;

	;;#ASMEND
	;;#ASMSTART
	v_cvt_f16_f32 v27, v15;

	;;#ASMEND
	;; [unrolled: 4-line block ×4, first 2 shown]
	global_load_b32 v1, v[8:9], off
	s_wait_loadcnt 0x0
	v_mad_nc_i64_i32 v[14:15], v1, s17, v[6:7]
	global_load_b64 v[12:13], v[14:15], off
	global_load_b32 v10, v5, s[10:11]
	s_wait_loadcnt 0x1
	v_and_b32_e32 v3, 0xff, v12
	s_wait_xcnt 0x0
	s_delay_alu instid0(VALU_DEP_1)
	v_cmpx_lt_i16_e32 0x7f, v3
	s_xor_b32 s0, exec_lo, s0
	s_cbranch_execnz .LBB234_117
; %bb.115:                              ;   in Loop: Header=BB234_113 Depth=1
	s_or_saveexec_b32 s0, s0
	v_mov_b32_e32 v1, 0x8000
	s_xor_b32 exec_lo, exec_lo, s0
	s_cbranch_execnz .LBB234_120
.LBB234_116:                            ;   in Loop: Header=BB234_113 Depth=1
	s_or_b32 exec_lo, exec_lo, s0
	s_and_saveexec_b32 s0, s1
	s_cbranch_execnz .LBB234_121
	s_branch .LBB234_124
.LBB234_117:                            ;   in Loop: Header=BB234_113 Depth=1
	s_mov_b32 s1, -1
	s_mov_b32 s23, exec_lo
	v_cmpx_eq_u16_e32 0x80, v3
; %bb.118:                              ;   in Loop: Header=BB234_113 Depth=1
	s_xor_b32 s1, exec_lo, -1
; %bb.119:                              ;   in Loop: Header=BB234_113 Depth=1
	s_or_b32 exec_lo, exec_lo, s23
	s_delay_alu instid0(SALU_CYCLE_1)
	s_and_b32 s1, s1, exec_lo
                                        ; implicit-def: $vgpr3
	s_or_saveexec_b32 s0, s0
	v_mov_b32_e32 v1, 0x8000
	s_xor_b32 exec_lo, exec_lo, s0
	s_cbranch_execz .LBB234_116
.LBB234_120:                            ;   in Loop: Header=BB234_113 Depth=1
	v_cmp_ne_u16_e32 vcc_lo, 0, v3
	v_and_b32_e32 v1, 0xffff, v3
	s_and_not1_b32 s1, s1, exec_lo
	s_and_b32 s23, vcc_lo, exec_lo
	s_delay_alu instid0(SALU_CYCLE_1)
	s_or_b32 s1, s1, s23
	s_or_b32 exec_lo, exec_lo, s0
	s_and_saveexec_b32 s0, s1
	s_cbranch_execz .LBB234_124
.LBB234_121:                            ;   in Loop: Header=BB234_113 Depth=1
	v_and_b32_e32 v3, 0x7f, v12
	v_mov_b32_e32 v1, 0x7c01
	s_mov_b32 s1, exec_lo
	s_delay_alu instid0(VALU_DEP_2)
	v_cmpx_ne_u32_e32 0x7f, v3
	s_cbranch_execz .LBB234_123
; %bb.122:                              ;   in Loop: Header=BB234_113 Depth=1
	v_and_b32_e32 v1, 7, v12
	v_cmp_gt_u32_e32 vcc_lo, 8, v3
	s_delay_alu instid0(VALU_DEP_2) | instskip(NEXT) | instid1(VALU_DEP_1)
	v_clz_i32_u32_e32 v4, v1
	v_min_u32_e32 v4, 32, v4
	s_delay_alu instid0(VALU_DEP_1) | instskip(NEXT) | instid1(VALU_DEP_1)
	v_subrev_nc_u32_e32 v11, 28, v4
	v_lshlrev_b64_e32 v[14:15], v11, v[12:13]
	v_dual_lshrrev_b32 v11, 3, v3 :: v_dual_sub_nc_u32 v4, 29, v4
	s_delay_alu instid0(VALU_DEP_1) | instskip(NEXT) | instid1(VALU_DEP_1)
	v_dual_cndmask_b32 v3, v11, v4, vcc_lo :: v_dual_bitop2_b32 v14, 7, v14 bitop3:0x40
	v_dual_cndmask_b32 v1, v1, v14 :: v_dual_lshlrev_b32 v4, 8, v12
	s_delay_alu instid0(VALU_DEP_2) | instskip(NEXT) | instid1(VALU_DEP_1)
	v_lshl_add_u32 v3, v3, 10, 0x2000
	v_and_b32_e32 v3, 0xfc00, v3
	s_delay_alu instid0(VALU_DEP_1) | instskip(NEXT) | instid1(VALU_DEP_1)
	v_and_or_b32 v3, 0x8000, v4, v3
	v_lshl_or_b32 v1, v1, 7, v3
.LBB234_123:                            ;   in Loop: Header=BB234_113 Depth=1
	s_or_b32 exec_lo, exec_lo, s1
.LBB234_124:                            ;   in Loop: Header=BB234_113 Depth=1
	s_delay_alu instid0(SALU_CYCLE_1) | instskip(SKIP_3) | instid1(VALU_DEP_1)
	s_or_b32 exec_lo, exec_lo, s0
	v_lshrrev_b16 v4, 8, v12
	s_mov_b32 s1, 0
	s_mov_b32 s0, exec_lo
	v_cmpx_lt_i16_e32 0x7f, v4
	s_xor_b32 s0, exec_lo, s0
	s_cbranch_execz .LBB234_128
; %bb.125:                              ;   in Loop: Header=BB234_113 Depth=1
	s_mov_b32 s1, -1
	s_mov_b32 s23, exec_lo
	v_cmpx_eq_u16_e32 0x80, v4
; %bb.126:                              ;   in Loop: Header=BB234_113 Depth=1
	s_xor_b32 s1, exec_lo, -1
; %bb.127:                              ;   in Loop: Header=BB234_113 Depth=1
	s_or_b32 exec_lo, exec_lo, s23
	s_delay_alu instid0(SALU_CYCLE_1)
	s_and_b32 s1, s1, exec_lo
.LBB234_128:                            ;   in Loop: Header=BB234_113 Depth=1
	s_or_saveexec_b32 s0, s0
	v_bfrev_b32_e32 v3, 1
	v_and_b32_e32 v11, 0xffff, v4
	s_xor_b32 exec_lo, exec_lo, s0
; %bb.129:                              ;   in Loop: Header=BB234_113 Depth=1
	v_cmp_ne_u16_e32 vcc_lo, 0, v4
	s_delay_alu instid0(VALU_DEP_2) | instskip(SKIP_2) | instid1(SALU_CYCLE_1)
	v_mov_b32_e32 v3, v11
	s_and_not1_b32 s1, s1, exec_lo
	s_and_b32 s23, vcc_lo, exec_lo
	s_or_b32 s1, s1, s23
; %bb.130:                              ;   in Loop: Header=BB234_113 Depth=1
	s_or_b32 exec_lo, exec_lo, s0
	s_and_saveexec_b32 s0, s1
	s_cbranch_execz .LBB234_134
; %bb.131:                              ;   in Loop: Header=BB234_113 Depth=1
	v_and_b32_e32 v14, 0x7f, v11
	v_mov_b32_e32 v3, 0x7c010000
	s_mov_b32 s1, exec_lo
	s_delay_alu instid0(VALU_DEP_2)
	v_cmpx_ne_u32_e32 0x7f, v14
	s_cbranch_execz .LBB234_133
; %bb.132:                              ;   in Loop: Header=BB234_113 Depth=1
	v_and_b32_e32 v3, 7, v11
	v_cmp_gt_u32_e32 vcc_lo, 8, v14
	v_lshlrev_b32_e32 v11, 8, v11
	s_delay_alu instid0(VALU_DEP_3) | instskip(NEXT) | instid1(VALU_DEP_1)
	v_clz_i32_u32_e32 v15, v3
	v_min_u32_e32 v15, 32, v15
	s_delay_alu instid0(VALU_DEP_1) | instskip(NEXT) | instid1(VALU_DEP_1)
	v_subrev_nc_u32_e32 v16, 28, v15
	v_lshlrev_b64_e32 v[16:17], v16, v[4:5]
	v_dual_lshrrev_b32 v4, 3, v14 :: v_dual_sub_nc_u32 v15, 29, v15
	s_delay_alu instid0(VALU_DEP_1) | instskip(NEXT) | instid1(VALU_DEP_1)
	v_dual_cndmask_b32 v4, v4, v15, vcc_lo :: v_dual_bitop2_b32 v16, 7, v16 bitop3:0x40
	v_cndmask_b32_e32 v3, v3, v16, vcc_lo
	s_delay_alu instid0(VALU_DEP_2) | instskip(NEXT) | instid1(VALU_DEP_1)
	v_lshl_add_u32 v4, v4, 10, 0x2000
	v_and_or_b32 v4, 0x8000, v11, v4
	s_delay_alu instid0(VALU_DEP_1) | instskip(NEXT) | instid1(VALU_DEP_1)
	v_lshlrev_b32_e32 v4, 16, v4
	v_lshl_or_b32 v3, v3, 23, v4
.LBB234_133:                            ;   in Loop: Header=BB234_113 Depth=1
	s_or_b32 exec_lo, exec_lo, s1
.LBB234_134:                            ;   in Loop: Header=BB234_113 Depth=1
	s_delay_alu instid0(SALU_CYCLE_1) | instskip(SKIP_3) | instid1(VALU_DEP_1)
	s_or_b32 exec_lo, exec_lo, s0
	v_lshrrev_b32_e32 v4, 16, v12
	s_mov_b32 s1, 0
	s_mov_b32 s0, exec_lo
	v_and_b32_e32 v14, 0xff, v4
	s_delay_alu instid0(VALU_DEP_1)
	v_cmpx_lt_i16_e32 0x7f, v14
	s_xor_b32 s0, exec_lo, s0
	s_cbranch_execnz .LBB234_137
; %bb.135:                              ;   in Loop: Header=BB234_113 Depth=1
	s_or_saveexec_b32 s0, s0
	v_mov_b32_e32 v11, 0x8000
	s_xor_b32 exec_lo, exec_lo, s0
	s_cbranch_execnz .LBB234_140
.LBB234_136:                            ;   in Loop: Header=BB234_113 Depth=1
	s_or_b32 exec_lo, exec_lo, s0
	s_and_saveexec_b32 s0, s1
	s_cbranch_execnz .LBB234_141
	s_branch .LBB234_144
.LBB234_137:                            ;   in Loop: Header=BB234_113 Depth=1
	s_mov_b32 s1, -1
	s_mov_b32 s23, exec_lo
	v_cmpx_eq_u16_e32 0x80, v14
; %bb.138:                              ;   in Loop: Header=BB234_113 Depth=1
	s_xor_b32 s1, exec_lo, -1
; %bb.139:                              ;   in Loop: Header=BB234_113 Depth=1
	s_or_b32 exec_lo, exec_lo, s23
	s_delay_alu instid0(SALU_CYCLE_1)
	s_and_b32 s1, s1, exec_lo
                                        ; implicit-def: $vgpr14
	s_or_saveexec_b32 s0, s0
	v_mov_b32_e32 v11, 0x8000
	s_xor_b32 exec_lo, exec_lo, s0
	s_cbranch_execz .LBB234_136
.LBB234_140:                            ;   in Loop: Header=BB234_113 Depth=1
	v_cmp_ne_u16_e32 vcc_lo, 0, v14
	v_and_b32_e32 v11, 0xffff, v14
	s_and_not1_b32 s1, s1, exec_lo
	s_and_b32 s23, vcc_lo, exec_lo
	s_delay_alu instid0(SALU_CYCLE_1)
	s_or_b32 s1, s1, s23
	s_or_b32 exec_lo, exec_lo, s0
	s_and_saveexec_b32 s0, s1
	s_cbranch_execz .LBB234_144
.LBB234_141:                            ;   in Loop: Header=BB234_113 Depth=1
	v_and_b32_e32 v14, 0x7f, v4
	v_mov_b32_e32 v11, 0x7c01
	s_mov_b32 s1, exec_lo
	s_delay_alu instid0(VALU_DEP_2)
	v_cmpx_ne_u32_e32 0x7f, v14
	s_cbranch_execz .LBB234_143
; %bb.142:                              ;   in Loop: Header=BB234_113 Depth=1
	v_and_b32_e32 v11, 7, v4
	v_cmp_gt_u32_e32 vcc_lo, 8, v14
	s_delay_alu instid0(VALU_DEP_2) | instskip(NEXT) | instid1(VALU_DEP_1)
	v_clz_i32_u32_e32 v15, v11
	v_min_u32_e32 v15, 32, v15
	s_delay_alu instid0(VALU_DEP_1) | instskip(NEXT) | instid1(VALU_DEP_1)
	v_subrev_nc_u32_e32 v16, 28, v15
	v_lshlrev_b64_e32 v[16:17], v16, v[4:5]
	v_dual_lshrrev_b32 v17, 3, v14 :: v_dual_sub_nc_u32 v15, 29, v15
	v_lshlrev_b32_e32 v4, 8, v4
	s_delay_alu instid0(VALU_DEP_2) | instskip(NEXT) | instid1(VALU_DEP_1)
	v_dual_cndmask_b32 v14, v17, v15, vcc_lo :: v_dual_bitop2_b32 v16, 7, v16 bitop3:0x40
	v_cndmask_b32_e32 v11, v11, v16, vcc_lo
	s_delay_alu instid0(VALU_DEP_2) | instskip(NEXT) | instid1(VALU_DEP_1)
	v_lshl_add_u32 v14, v14, 10, 0x2000
	v_and_b32_e32 v14, 0xfc00, v14
	s_delay_alu instid0(VALU_DEP_1) | instskip(NEXT) | instid1(VALU_DEP_1)
	v_and_or_b32 v4, 0x8000, v4, v14
	v_lshl_or_b32 v11, v11, 7, v4
.LBB234_143:                            ;   in Loop: Header=BB234_113 Depth=1
	s_or_b32 exec_lo, exec_lo, s1
.LBB234_144:                            ;   in Loop: Header=BB234_113 Depth=1
	s_delay_alu instid0(SALU_CYCLE_1) | instskip(SKIP_3) | instid1(VALU_DEP_3)
	s_or_b32 exec_lo, exec_lo, s0
	v_lshrrev_b32_e32 v4, 24, v12
	v_bfe_u32 v15, v12, 24, 7
	v_cmp_gt_u32_e64 s1, 0x1000000, v12
	v_cmp_eq_u32_e32 vcc_lo, 0x80, v4
	s_delay_alu instid0(VALU_DEP_3) | instskip(SKIP_2) | instid1(VALU_DEP_1)
	v_cmp_eq_u32_e64 s0, 0x7f, v15
	v_cndmask_b32_e32 v14, 0x7c010000, v22, vcc_lo
	s_or_b32 s0, vcc_lo, s0
	v_cndmask_b32_e64 v14, v14, 0, s1
	s_nor_b32 s1, s1, s0
	s_delay_alu instid0(SALU_CYCLE_1)
	s_and_saveexec_b32 s0, s1
	s_cbranch_execz .LBB234_146
; %bb.145:                              ;   in Loop: Header=BB234_113 Depth=1
	v_and_b32_e32 v14, 7, v4
	v_cmp_gt_u32_e32 vcc_lo, 8, v15
	s_delay_alu instid0(VALU_DEP_2) | instskip(NEXT) | instid1(VALU_DEP_1)
	v_clz_i32_u32_e32 v16, v14
	v_min_u32_e32 v18, 32, v16
	s_delay_alu instid0(VALU_DEP_1) | instskip(NEXT) | instid1(VALU_DEP_1)
	v_subrev_nc_u32_e32 v16, 28, v18
	v_lshlrev_b64_e32 v[16:17], v16, v[4:5]
	v_dual_lshrrev_b32 v17, 3, v15 :: v_dual_sub_nc_u32 v18, 29, v18
	v_lshlrev_b32_e32 v4, 8, v4
	s_delay_alu instid0(VALU_DEP_2) | instskip(NEXT) | instid1(VALU_DEP_1)
	v_dual_cndmask_b32 v15, v17, v18, vcc_lo :: v_dual_bitop2_b32 v16, 7, v16 bitop3:0x40
	v_cndmask_b32_e32 v14, v14, v16, vcc_lo
	s_delay_alu instid0(VALU_DEP_2) | instskip(NEXT) | instid1(VALU_DEP_1)
	v_lshl_add_u32 v15, v15, 10, 0x2000
	v_and_or_b32 v4, 0x8000, v4, v15
	s_delay_alu instid0(VALU_DEP_1) | instskip(NEXT) | instid1(VALU_DEP_1)
	v_lshlrev_b32_e32 v4, 16, v4
	v_lshl_or_b32 v14, v14, 23, v4
.LBB234_146:                            ;   in Loop: Header=BB234_113 Depth=1
	s_or_b32 exec_lo, exec_lo, s0
	v_and_b32_e32 v16, 0xff, v13
	v_mov_b32_e32 v4, v13
	s_mov_b32 s1, 0
	s_mov_b32 s0, exec_lo
	s_delay_alu instid0(VALU_DEP_2)
	v_cmpx_lt_i16_e32 0x7f, v16
	s_xor_b32 s0, exec_lo, s0
	s_cbranch_execnz .LBB234_149
; %bb.147:                              ;   in Loop: Header=BB234_113 Depth=1
	s_or_saveexec_b32 s0, s0
	v_mov_b32_e32 v15, 0x8000
	s_xor_b32 exec_lo, exec_lo, s0
	s_cbranch_execnz .LBB234_152
.LBB234_148:                            ;   in Loop: Header=BB234_113 Depth=1
	s_or_b32 exec_lo, exec_lo, s0
	s_and_saveexec_b32 s0, s1
	s_cbranch_execnz .LBB234_153
	s_branch .LBB234_156
.LBB234_149:                            ;   in Loop: Header=BB234_113 Depth=1
	s_mov_b32 s1, -1
	s_mov_b32 s23, exec_lo
	v_cmpx_eq_u16_e32 0x80, v16
; %bb.150:                              ;   in Loop: Header=BB234_113 Depth=1
	s_xor_b32 s1, exec_lo, -1
; %bb.151:                              ;   in Loop: Header=BB234_113 Depth=1
	s_or_b32 exec_lo, exec_lo, s23
	s_delay_alu instid0(SALU_CYCLE_1)
	s_and_b32 s1, s1, exec_lo
                                        ; implicit-def: $vgpr16
	s_or_saveexec_b32 s0, s0
	v_mov_b32_e32 v15, 0x8000
	s_xor_b32 exec_lo, exec_lo, s0
	s_cbranch_execz .LBB234_148
.LBB234_152:                            ;   in Loop: Header=BB234_113 Depth=1
	v_cmp_ne_u16_e32 vcc_lo, 0, v16
	v_and_b32_e32 v15, 0xffff, v16
	s_and_not1_b32 s1, s1, exec_lo
	s_and_b32 s23, vcc_lo, exec_lo
	s_delay_alu instid0(SALU_CYCLE_1)
	s_or_b32 s1, s1, s23
	s_or_b32 exec_lo, exec_lo, s0
	s_and_saveexec_b32 s0, s1
	s_cbranch_execz .LBB234_156
.LBB234_153:                            ;   in Loop: Header=BB234_113 Depth=1
	v_and_b32_e32 v16, 0x7f, v13
	v_mov_b32_e32 v15, 0x7c01
	s_mov_b32 s1, exec_lo
	s_delay_alu instid0(VALU_DEP_2)
	v_cmpx_ne_u32_e32 0x7f, v16
	s_cbranch_execz .LBB234_155
; %bb.154:                              ;   in Loop: Header=BB234_113 Depth=1
	v_and_b32_e32 v15, 7, v13
	v_cmp_gt_u32_e32 vcc_lo, 8, v16
	s_delay_alu instid0(VALU_DEP_2) | instskip(NEXT) | instid1(VALU_DEP_1)
	v_clz_i32_u32_e32 v17, v15
	v_min_u32_e32 v17, 32, v17
	s_delay_alu instid0(VALU_DEP_1) | instskip(NEXT) | instid1(VALU_DEP_1)
	v_subrev_nc_u32_e32 v18, 28, v17
	v_lshlrev_b64_e32 v[34:35], v18, v[4:5]
	v_dual_lshrrev_b32 v18, 3, v16 :: v_dual_sub_nc_u32 v17, 29, v17
	s_delay_alu instid0(VALU_DEP_1) | instskip(SKIP_1) | instid1(VALU_DEP_2)
	v_dual_cndmask_b32 v16, v18, v17, vcc_lo :: v_dual_bitop2_b32 v33, 7, v34 bitop3:0x40
	v_lshlrev_b32_e32 v17, 8, v13
	v_cndmask_b32_e32 v15, v15, v33, vcc_lo
	s_delay_alu instid0(VALU_DEP_3) | instskip(NEXT) | instid1(VALU_DEP_1)
	v_lshl_add_u32 v16, v16, 10, 0x2000
	v_and_b32_e32 v16, 0xfc00, v16
	s_delay_alu instid0(VALU_DEP_1) | instskip(NEXT) | instid1(VALU_DEP_1)
	v_and_or_b32 v16, 0x8000, v17, v16
	v_lshl_or_b32 v15, v15, 7, v16
.LBB234_155:                            ;   in Loop: Header=BB234_113 Depth=1
	s_or_b32 exec_lo, exec_lo, s1
.LBB234_156:                            ;   in Loop: Header=BB234_113 Depth=1
	s_delay_alu instid0(SALU_CYCLE_1) | instskip(SKIP_3) | instid1(VALU_DEP_1)
	s_or_b32 exec_lo, exec_lo, s0
	v_lshrrev_b16 v4, 8, v4
	s_mov_b32 s1, 0
	s_mov_b32 s0, exec_lo
	v_cmpx_lt_i16_e32 0x7f, v4
	s_xor_b32 s0, exec_lo, s0
	s_cbranch_execz .LBB234_160
; %bb.157:                              ;   in Loop: Header=BB234_113 Depth=1
	s_mov_b32 s1, -1
	s_mov_b32 s23, exec_lo
	v_cmpx_eq_u16_e32 0x80, v4
; %bb.158:                              ;   in Loop: Header=BB234_113 Depth=1
	s_xor_b32 s1, exec_lo, -1
; %bb.159:                              ;   in Loop: Header=BB234_113 Depth=1
	s_or_b32 exec_lo, exec_lo, s23
	s_delay_alu instid0(SALU_CYCLE_1)
	s_and_b32 s1, s1, exec_lo
.LBB234_160:                            ;   in Loop: Header=BB234_113 Depth=1
	s_or_saveexec_b32 s0, s0
	v_bfrev_b32_e32 v16, 1
	v_and_b32_e32 v17, 0xffff, v4
	s_xor_b32 exec_lo, exec_lo, s0
; %bb.161:                              ;   in Loop: Header=BB234_113 Depth=1
	v_cmp_ne_u16_e32 vcc_lo, 0, v4
	s_delay_alu instid0(VALU_DEP_2) | instskip(SKIP_2) | instid1(SALU_CYCLE_1)
	v_mov_b32_e32 v16, v17
	s_and_not1_b32 s1, s1, exec_lo
	s_and_b32 s23, vcc_lo, exec_lo
	s_or_b32 s1, s1, s23
; %bb.162:                              ;   in Loop: Header=BB234_113 Depth=1
	s_or_b32 exec_lo, exec_lo, s0
	s_and_saveexec_b32 s0, s1
	s_cbranch_execz .LBB234_166
; %bb.163:                              ;   in Loop: Header=BB234_113 Depth=1
	v_and_b32_e32 v18, 0x7f, v17
	v_mov_b32_e32 v16, 0x7c010000
	s_mov_b32 s1, exec_lo
	s_delay_alu instid0(VALU_DEP_2)
	v_cmpx_ne_u32_e32 0x7f, v18
	s_cbranch_execz .LBB234_165
; %bb.164:                              ;   in Loop: Header=BB234_113 Depth=1
	v_and_b32_e32 v16, 7, v17
	v_cmp_gt_u32_e32 vcc_lo, 8, v18
	v_lshlrev_b32_e32 v17, 8, v17
	s_delay_alu instid0(VALU_DEP_3) | instskip(NEXT) | instid1(VALU_DEP_1)
	v_clz_i32_u32_e32 v33, v16
	v_min_u32_e32 v33, 32, v33
	s_delay_alu instid0(VALU_DEP_1) | instskip(NEXT) | instid1(VALU_DEP_1)
	v_subrev_nc_u32_e32 v34, 28, v33
	v_lshlrev_b64_e32 v[34:35], v34, v[4:5]
	v_dual_lshrrev_b32 v4, 3, v18 :: v_dual_sub_nc_u32 v33, 29, v33
	s_delay_alu instid0(VALU_DEP_1) | instskip(NEXT) | instid1(VALU_DEP_1)
	v_dual_cndmask_b32 v4, v4, v33, vcc_lo :: v_dual_bitop2_b32 v34, 7, v34 bitop3:0x40
	v_cndmask_b32_e32 v16, v16, v34, vcc_lo
	s_delay_alu instid0(VALU_DEP_2) | instskip(NEXT) | instid1(VALU_DEP_1)
	v_lshl_add_u32 v4, v4, 10, 0x2000
	v_and_or_b32 v4, 0x8000, v17, v4
	s_delay_alu instid0(VALU_DEP_1) | instskip(NEXT) | instid1(VALU_DEP_1)
	v_lshlrev_b32_e32 v4, 16, v4
	v_lshl_or_b32 v16, v16, 23, v4
.LBB234_165:                            ;   in Loop: Header=BB234_113 Depth=1
	s_or_b32 exec_lo, exec_lo, s1
.LBB234_166:                            ;   in Loop: Header=BB234_113 Depth=1
	s_delay_alu instid0(SALU_CYCLE_1) | instskip(SKIP_3) | instid1(VALU_DEP_1)
	s_or_b32 exec_lo, exec_lo, s0
	v_lshrrev_b32_e32 v4, 16, v13
	s_mov_b32 s1, 0
	s_mov_b32 s0, exec_lo
	v_and_b32_e32 v18, 0xff, v4
	s_delay_alu instid0(VALU_DEP_1)
	v_cmpx_lt_i16_e32 0x7f, v18
	s_xor_b32 s0, exec_lo, s0
	s_cbranch_execnz .LBB234_169
; %bb.167:                              ;   in Loop: Header=BB234_113 Depth=1
	s_or_saveexec_b32 s0, s0
	v_mov_b32_e32 v17, 0x8000
	s_xor_b32 exec_lo, exec_lo, s0
	s_cbranch_execnz .LBB234_172
.LBB234_168:                            ;   in Loop: Header=BB234_113 Depth=1
	s_or_b32 exec_lo, exec_lo, s0
	s_and_saveexec_b32 s0, s1
	s_cbranch_execnz .LBB234_173
	s_branch .LBB234_176
.LBB234_169:                            ;   in Loop: Header=BB234_113 Depth=1
	s_mov_b32 s1, -1
	s_mov_b32 s23, exec_lo
	v_cmpx_eq_u16_e32 0x80, v18
; %bb.170:                              ;   in Loop: Header=BB234_113 Depth=1
	s_xor_b32 s1, exec_lo, -1
; %bb.171:                              ;   in Loop: Header=BB234_113 Depth=1
	s_or_b32 exec_lo, exec_lo, s23
	s_delay_alu instid0(SALU_CYCLE_1)
	s_and_b32 s1, s1, exec_lo
                                        ; implicit-def: $vgpr18
	s_or_saveexec_b32 s0, s0
	v_mov_b32_e32 v17, 0x8000
	s_xor_b32 exec_lo, exec_lo, s0
	s_cbranch_execz .LBB234_168
.LBB234_172:                            ;   in Loop: Header=BB234_113 Depth=1
	v_cmp_ne_u16_e32 vcc_lo, 0, v18
	v_and_b32_e32 v17, 0xffff, v18
	s_and_not1_b32 s1, s1, exec_lo
	s_and_b32 s23, vcc_lo, exec_lo
	s_delay_alu instid0(SALU_CYCLE_1)
	s_or_b32 s1, s1, s23
	s_or_b32 exec_lo, exec_lo, s0
	s_and_saveexec_b32 s0, s1
	s_cbranch_execz .LBB234_176
.LBB234_173:                            ;   in Loop: Header=BB234_113 Depth=1
	v_and_b32_e32 v18, 0x7f, v4
	v_mov_b32_e32 v17, 0x7c01
	s_mov_b32 s1, exec_lo
	s_delay_alu instid0(VALU_DEP_2)
	v_cmpx_ne_u32_e32 0x7f, v18
	s_cbranch_execz .LBB234_175
; %bb.174:                              ;   in Loop: Header=BB234_113 Depth=1
	v_and_b32_e32 v17, 7, v4
	v_cmp_gt_u32_e32 vcc_lo, 8, v18
	s_delay_alu instid0(VALU_DEP_2) | instskip(NEXT) | instid1(VALU_DEP_1)
	v_clz_i32_u32_e32 v33, v17
	v_min_u32_e32 v33, 32, v33
	s_delay_alu instid0(VALU_DEP_1) | instskip(NEXT) | instid1(VALU_DEP_1)
	v_subrev_nc_u32_e32 v34, 28, v33
	v_lshlrev_b64_e32 v[34:35], v34, v[4:5]
	v_dual_lshrrev_b32 v35, 3, v18 :: v_dual_sub_nc_u32 v33, 29, v33
	s_delay_alu instid0(VALU_DEP_2) | instskip(NEXT) | instid1(VALU_DEP_1)
	v_dual_lshlrev_b32 v4, 8, v4 :: v_dual_bitop2_b32 v34, 7, v34 bitop3:0x40
	v_dual_cndmask_b32 v18, v35, v33 :: v_dual_cndmask_b32 v17, v17, v34
	s_delay_alu instid0(VALU_DEP_1) | instskip(NEXT) | instid1(VALU_DEP_1)
	v_lshl_add_u32 v18, v18, 10, 0x2000
	v_and_b32_e32 v18, 0xfc00, v18
	s_delay_alu instid0(VALU_DEP_1) | instskip(NEXT) | instid1(VALU_DEP_1)
	v_and_or_b32 v4, 0x8000, v4, v18
	v_lshl_or_b32 v17, v17, 7, v4
.LBB234_175:                            ;   in Loop: Header=BB234_113 Depth=1
	s_or_b32 exec_lo, exec_lo, s1
.LBB234_176:                            ;   in Loop: Header=BB234_113 Depth=1
	s_delay_alu instid0(SALU_CYCLE_1) | instskip(SKIP_3) | instid1(VALU_DEP_3)
	s_or_b32 exec_lo, exec_lo, s0
	v_lshrrev_b32_e32 v4, 24, v13
	v_bfe_u32 v18, v13, 24, 7
	v_cmp_gt_u64_e64 s1, s[8:9], v[12:13]
	v_cmp_eq_u32_e64 s0, 0x80, v4
	s_delay_alu instid0(VALU_DEP_3) | instskip(NEXT) | instid1(VALU_DEP_2)
	v_cmp_eq_u32_e32 vcc_lo, 0x7f, v18
	v_cndmask_b32_e64 v33, 0x7c010000, v22, s0
	s_or_b32 s0, s0, vcc_lo
	s_delay_alu instid0(VALU_DEP_1) | instskip(SKIP_1) | instid1(SALU_CYCLE_1)
	v_cndmask_b32_e64 v12, v33, 0, s1
	s_nor_b32 s1, s1, s0
	s_and_saveexec_b32 s0, s1
	s_cbranch_execz .LBB234_178
; %bb.177:                              ;   in Loop: Header=BB234_113 Depth=1
	v_and_b32_e32 v33, 7, v4
	v_cmp_gt_u32_e32 vcc_lo, 8, v18
	s_delay_alu instid0(VALU_DEP_2) | instskip(NEXT) | instid1(VALU_DEP_1)
	v_clz_i32_u32_e32 v12, v33
	v_min_u32_e32 v34, 32, v12
	s_delay_alu instid0(VALU_DEP_1) | instskip(NEXT) | instid1(VALU_DEP_1)
	v_subrev_nc_u32_e32 v12, 28, v34
	v_lshlrev_b64_e32 v[12:13], v12, v[4:5]
	v_lshrrev_b32_e32 v13, 3, v18
	v_dual_sub_nc_u32 v34, 29, v34 :: v_dual_lshlrev_b32 v4, 8, v4
	s_delay_alu instid0(VALU_DEP_1) | instskip(NEXT) | instid1(VALU_DEP_1)
	v_dual_cndmask_b32 v13, v13, v34, vcc_lo :: v_dual_bitop2_b32 v12, 7, v12 bitop3:0x40
	v_cndmask_b32_e32 v12, v33, v12, vcc_lo
	s_delay_alu instid0(VALU_DEP_2) | instskip(NEXT) | instid1(VALU_DEP_1)
	v_lshl_add_u32 v13, v13, 10, 0x2000
	v_and_or_b32 v4, 0x8000, v4, v13
	s_delay_alu instid0(VALU_DEP_1) | instskip(NEXT) | instid1(VALU_DEP_1)
	v_lshlrev_b32_e32 v4, 16, v4
	v_lshl_or_b32 v12, v12, 23, v4
.LBB234_178:                            ;   in Loop: Header=BB234_113 Depth=1
	s_or_b32 exec_lo, exec_lo, s0
	v_dual_lshrrev_b32 v4, 16, v3 :: v_dual_lshrrev_b32 v13, 16, v14
	v_or_b32_e32 v1, v3, v1
	s_delay_alu instid0(VALU_DEP_3) | instskip(NEXT) | instid1(VALU_DEP_3)
	v_dual_lshrrev_b32 v14, 16, v12 :: v_dual_bitop2_b32 v3, v14, v11 bitop3:0x54
	v_cvt_f32_f16_e32 v35, v4
	s_delay_alu instid0(VALU_DEP_4) | instskip(SKIP_1) | instid1(VALU_DEP_4)
	v_cvt_f32_f16_e32 v34, v13
	v_dual_lshrrev_b32 v11, 16, v16 :: v_dual_bitop2_b32 v4, v12, v17 bitop3:0x54
	v_cvt_f32_f16_e32 v12, v3
	v_cvt_f32_f16_e32 v13, v1
	;; [unrolled: 1-line block ×3, first 2 shown]
	s_wait_loadcnt 0x0
	v_pk_mul_f32 v[34:35], v[10:11], v[34:35] op_sel_hi:[0,1]
	s_mov_b32 s0, exec_lo
	v_pk_mul_f32 v[12:13], v[10:11], v[12:13] op_sel_hi:[0,1]
	s_delay_alu instid0(VALU_DEP_2) | instskip(SKIP_3) | instid1(VALU_DEP_3)
	v_cvt_pk_f16_f32 v1, v34, v35
	v_or_b32_e32 v3, v16, v15
	v_cvt_f32_f16_e32 v15, v11
	v_cvt_f32_f16_e32 v16, v4
	;; [unrolled: 1-line block ×3, first 2 shown]
	s_delay_alu instid0(VALU_DEP_3) | instskip(SKIP_1) | instid1(VALU_DEP_3)
	v_pk_mul_f32 v[14:15], v[10:11], v[14:15] op_sel_hi:[0,1]
	v_cvt_pk_f16_f32 v3, v12, v13
	v_pk_mul_f32 v[16:17], v[10:11], v[16:17] op_sel_hi:[0,1]
	s_delay_alu instid0(VALU_DEP_3)
	v_cvt_pk_f16_f32 v4, v14, v15
	v_and_b32_e32 v11, 0xffff0000, v1
	v_lshlrev_b32_e32 v10, 16, v1
	v_and_b32_e32 v18, 0xffff, v3
	v_cvt_pk_f16_f32 v12, v16, v17
	v_lshrrev_b32_e32 v17, 16, v3
	v_and_b32_e32 v1, 0xffff0000, v4
	s_delay_alu instid0(VALU_DEP_4) | instskip(NEXT) | instid1(VALU_DEP_4)
	v_dual_lshlrev_b32 v4, 16, v4 :: v_dual_bitop2_b32 v16, v10, v18 bitop3:0x54
	v_lshrrev_b32_e32 v3, 16, v12
	v_and_b32_e32 v12, 0xffff, v12
	v_or_b32_e32 v15, v11, v17
	s_delay_alu instid0(VALU_DEP_3) | instskip(NEXT) | instid1(VALU_DEP_3)
	v_or_b32_e32 v13, v1, v3
	v_or_b32_e32 v14, v4, v12
	v_cmpx_eq_u32_e64 s29, v23
	s_cbranch_execz .LBB234_111
; %bb.179:                              ;   in Loop: Header=BB234_113 Depth=1
	v_dual_add_nc_u32 v13, 2, v2 :: v_dual_bitop2_b32 v14, 1, v2 bitop3:0x54
	v_cmp_gt_i32_e32 vcc_lo, s18, v2
	v_dual_cndmask_b32 v16, 0, v17, vcc_lo :: v_dual_bitop2_b32 v15, 3, v2 bitop3:0x54
	s_delay_alu instid0(VALU_DEP_3)
	v_cmp_gt_i32_e32 vcc_lo, s34, v13
	v_or_b32_e32 v17, 5, v2
	v_cndmask_b32_e32 v13, 0, v18, vcc_lo
	v_cmp_gt_i32_e32 vcc_lo, s18, v14
	v_or_b32_e32 v14, 4, v2
	v_dual_cndmask_b32 v11, 0, v11, vcc_lo :: v_dual_bitop2_b32 v18, 7, v2 bitop3:0x54
	v_cmp_gt_i32_e32 vcc_lo, s34, v15
	v_or_b32_e32 v15, 6, v2
	v_cndmask_b32_e32 v10, 0, v10, vcc_lo
	v_cmp_gt_i32_e32 vcc_lo, s18, v14
	v_cndmask_b32_e32 v3, 0, v3, vcc_lo
	s_delay_alu instid0(VALU_DEP_4)
	v_cmp_gt_i32_e32 vcc_lo, s34, v15
	v_or_b32_e32 v15, v11, v16
	v_cndmask_b32_e32 v12, 0, v12, vcc_lo
	v_cmp_gt_i32_e32 vcc_lo, s18, v17
	v_or_b32_e32 v16, v10, v13
	v_cndmask_b32_e32 v1, 0, v1, vcc_lo
	v_cmp_gt_i32_e32 vcc_lo, s34, v18
	s_delay_alu instid0(VALU_DEP_2) | instskip(NEXT) | instid1(VALU_DEP_1)
	v_dual_cndmask_b32 v4, 0, v4, vcc_lo :: v_dual_bitop2_b32 v13, v1, v3 bitop3:0x54
	v_or_b32_e32 v14, v4, v12
	s_branch .LBB234_111
.LBB234_180:
	s_or_b32 exec_lo, exec_lo, s19
.LBB234_181:
	s_delay_alu instid0(SALU_CYCLE_1)
	s_or_b32 exec_lo, exec_lo, s28
	v_and_b32_e32 v1, 0x3c0, v0
	v_lshl_add_u32 v2, v20, 2, 0x60
	s_mov_b32 s0, exec_lo
	s_barrier_signal -1
	s_barrier_wait -1
	v_cmpx_eq_u32_e32 64, v1
; %bb.182:
	v_lshlrev_b32_e32 v1, 7, v19
	s_delay_alu instid0(VALU_DEP_1)
	v_add3_u32 v1, v2, v1, 0xffffff00
	ds_store_b32 v1, v24
; %bb.183:
	s_or_b32 exec_lo, exec_lo, s0
	v_and_b32_e32 v3, 0x3e0, v0
	s_mov_b32 s0, exec_lo
	s_wait_dscnt 0x0
	s_barrier_signal -1
	s_barrier_wait -1
	v_lshl_add_u32 v1, v3, 2, v2
	v_cmpx_gt_u32_e32 64, v0
	s_cbranch_execz .LBB234_185
; %bb.184:
	ds_load_b32 v4, v1
	s_wait_dscnt 0x0
	v_add_f32_e32 v24, v24, v4
.LBB234_185:
	s_or_b32 exec_lo, exec_lo, s0
	s_delay_alu instid0(SALU_CYCLE_1)
	s_mov_b32 s0, exec_lo
	s_barrier_signal -1
	s_barrier_wait -1
	v_cmpx_eq_u32_e32 32, v3
; %bb.186:
	ds_store_b32 v2, v24
; %bb.187:
	s_or_b32 exec_lo, exec_lo, s0
	v_cmp_gt_u32_e32 vcc_lo, 32, v0
	s_wait_dscnt 0x0
	s_barrier_signal -1
	s_barrier_wait -1
	s_and_saveexec_b32 s0, vcc_lo
	s_cbranch_execz .LBB234_189
; %bb.188:
	ds_load_b32 v0, v1
	s_wait_dscnt 0x0
	v_add_f32_e32 v24, v24, v0
.LBB234_189:
	s_or_b32 exec_lo, exec_lo, s0
	s_barrier_signal -1
	s_barrier_wait -1
	s_and_saveexec_b32 s0, vcc_lo
	s_cbranch_execz .LBB234_191
; %bb.190:
	s_mul_i32 s1, s33, s7
	s_mul_i32 s0, s7, s6
	;; [unrolled: 1-line block ×3, first 2 shown]
	s_bfe_u32 s7, ttmp6, 0x40014
	s_lshl_b32 s2, s1, 5
	s_lshr_b32 s6, ttmp7, 16
	s_ashr_i32 s3, s2, 31
	s_add_co_i32 s7, s7, 1
	s_lshl_b64 s[2:3], s[2:3], 1
	s_ashr_i32 s1, s0, 31
	s_wait_kmcnt 0x0
	s_add_nc_u64 s[2:3], s[4:5], s[2:3]
	s_mul_i32 s4, s6, s7
	s_bfe_u32 s5, ttmp6, 0x40008
	s_lshl_b64 s[0:1], s[0:1], 1
	s_add_co_i32 s5, s5, s4
	s_cmp_eq_u32 s30, 0
	s_add_nc_u64 s[0:1], s[2:3], s[0:1]
	s_cselect_b32 s2, s6, s5
	s_mov_b32 s3, 0
	s_lshl_b32 s2, s2, 6
	;;#ASMSTART
	v_cvt_f16_f32 v0, v24;

	;;#ASMEND
	s_add_nc_u64 s[0:1], s[0:1], s[2:3]
	global_store_b16 v20, v0, s[0:1] scale_offset
.LBB234_191:
	s_endpgm
	.section	.rodata,"a",@progbits
	.p2align	6, 0x0
	.amdhsa_kernel _ZN4vllm25paged_attention_v1_kernelIthLi32ELi8ELi128ELNS_18Fp8KVCacheDataTypeE1ELb1EEEvPT_PKS2_PKT0_S8_ifPKiSA_iPKfiiiSC_SC_iiiii
		.amdhsa_group_segment_fixed_size 96
		.amdhsa_private_segment_fixed_size 0
		.amdhsa_kernarg_size 384
		.amdhsa_user_sgpr_count 2
		.amdhsa_user_sgpr_dispatch_ptr 0
		.amdhsa_user_sgpr_queue_ptr 0
		.amdhsa_user_sgpr_kernarg_segment_ptr 1
		.amdhsa_user_sgpr_dispatch_id 0
		.amdhsa_user_sgpr_kernarg_preload_length 0
		.amdhsa_user_sgpr_kernarg_preload_offset 0
		.amdhsa_user_sgpr_private_segment_size 0
		.amdhsa_wavefront_size32 1
		.amdhsa_uses_dynamic_stack 0
		.amdhsa_enable_private_segment 0
		.amdhsa_system_sgpr_workgroup_id_x 1
		.amdhsa_system_sgpr_workgroup_id_y 1
		.amdhsa_system_sgpr_workgroup_id_z 1
		.amdhsa_system_sgpr_workgroup_info 0
		.amdhsa_system_vgpr_workitem_id 0
		.amdhsa_next_free_vgpr 36
		.amdhsa_next_free_sgpr 45
		.amdhsa_named_barrier_count 0
		.amdhsa_reserve_vcc 1
		.amdhsa_float_round_mode_32 0
		.amdhsa_float_round_mode_16_64 0
		.amdhsa_float_denorm_mode_32 3
		.amdhsa_float_denorm_mode_16_64 3
		.amdhsa_fp16_overflow 0
		.amdhsa_memory_ordered 1
		.amdhsa_forward_progress 1
		.amdhsa_inst_pref_size 72
		.amdhsa_round_robin_scheduling 0
		.amdhsa_exception_fp_ieee_invalid_op 0
		.amdhsa_exception_fp_denorm_src 0
		.amdhsa_exception_fp_ieee_div_zero 0
		.amdhsa_exception_fp_ieee_overflow 0
		.amdhsa_exception_fp_ieee_underflow 0
		.amdhsa_exception_fp_ieee_inexact 0
		.amdhsa_exception_int_div_zero 0
	.end_amdhsa_kernel
	.section	.text._ZN4vllm25paged_attention_v1_kernelIthLi32ELi8ELi128ELNS_18Fp8KVCacheDataTypeE1ELb1EEEvPT_PKS2_PKT0_S8_ifPKiSA_iPKfiiiSC_SC_iiiii,"axG",@progbits,_ZN4vllm25paged_attention_v1_kernelIthLi32ELi8ELi128ELNS_18Fp8KVCacheDataTypeE1ELb1EEEvPT_PKS2_PKT0_S8_ifPKiSA_iPKfiiiSC_SC_iiiii,comdat
.Lfunc_end234:
	.size	_ZN4vllm25paged_attention_v1_kernelIthLi32ELi8ELi128ELNS_18Fp8KVCacheDataTypeE1ELb1EEEvPT_PKS2_PKT0_S8_ifPKiSA_iPKfiiiSC_SC_iiiii, .Lfunc_end234-_ZN4vllm25paged_attention_v1_kernelIthLi32ELi8ELi128ELNS_18Fp8KVCacheDataTypeE1ELb1EEEvPT_PKS2_PKT0_S8_ifPKiSA_iPKfiiiSC_SC_iiiii
                                        ; -- End function
	.set _ZN4vllm25paged_attention_v1_kernelIthLi32ELi8ELi128ELNS_18Fp8KVCacheDataTypeE1ELb1EEEvPT_PKS2_PKT0_S8_ifPKiSA_iPKfiiiSC_SC_iiiii.num_vgpr, 36
	.set _ZN4vllm25paged_attention_v1_kernelIthLi32ELi8ELi128ELNS_18Fp8KVCacheDataTypeE1ELb1EEEvPT_PKS2_PKT0_S8_ifPKiSA_iPKfiiiSC_SC_iiiii.num_agpr, 0
	.set _ZN4vllm25paged_attention_v1_kernelIthLi32ELi8ELi128ELNS_18Fp8KVCacheDataTypeE1ELb1EEEvPT_PKS2_PKT0_S8_ifPKiSA_iPKfiiiSC_SC_iiiii.numbered_sgpr, 45
	.set _ZN4vllm25paged_attention_v1_kernelIthLi32ELi8ELi128ELNS_18Fp8KVCacheDataTypeE1ELb1EEEvPT_PKS2_PKT0_S8_ifPKiSA_iPKfiiiSC_SC_iiiii.num_named_barrier, 0
	.set _ZN4vllm25paged_attention_v1_kernelIthLi32ELi8ELi128ELNS_18Fp8KVCacheDataTypeE1ELb1EEEvPT_PKS2_PKT0_S8_ifPKiSA_iPKfiiiSC_SC_iiiii.private_seg_size, 0
	.set _ZN4vllm25paged_attention_v1_kernelIthLi32ELi8ELi128ELNS_18Fp8KVCacheDataTypeE1ELb1EEEvPT_PKS2_PKT0_S8_ifPKiSA_iPKfiiiSC_SC_iiiii.uses_vcc, 1
	.set _ZN4vllm25paged_attention_v1_kernelIthLi32ELi8ELi128ELNS_18Fp8KVCacheDataTypeE1ELb1EEEvPT_PKS2_PKT0_S8_ifPKiSA_iPKfiiiSC_SC_iiiii.uses_flat_scratch, 0
	.set _ZN4vllm25paged_attention_v1_kernelIthLi32ELi8ELi128ELNS_18Fp8KVCacheDataTypeE1ELb1EEEvPT_PKS2_PKT0_S8_ifPKiSA_iPKfiiiSC_SC_iiiii.has_dyn_sized_stack, 0
	.set _ZN4vllm25paged_attention_v1_kernelIthLi32ELi8ELi128ELNS_18Fp8KVCacheDataTypeE1ELb1EEEvPT_PKS2_PKT0_S8_ifPKiSA_iPKfiiiSC_SC_iiiii.has_recursion, 0
	.set _ZN4vllm25paged_attention_v1_kernelIthLi32ELi8ELi128ELNS_18Fp8KVCacheDataTypeE1ELb1EEEvPT_PKS2_PKT0_S8_ifPKiSA_iPKfiiiSC_SC_iiiii.has_indirect_call, 0
	.section	.AMDGPU.csdata,"",@progbits
; Kernel info:
; codeLenInByte = 9112
; TotalNumSgprs: 47
; NumVgprs: 36
; ScratchSize: 0
; MemoryBound: 0
; FloatMode: 240
; IeeeMode: 1
; LDSByteSize: 96 bytes/workgroup (compile time only)
; SGPRBlocks: 0
; VGPRBlocks: 2
; NumSGPRsForWavesPerEU: 47
; NumVGPRsForWavesPerEU: 36
; NamedBarCnt: 0
; Occupancy: 16
; WaveLimiterHint : 1
; COMPUTE_PGM_RSRC2:SCRATCH_EN: 0
; COMPUTE_PGM_RSRC2:USER_SGPR: 2
; COMPUTE_PGM_RSRC2:TRAP_HANDLER: 0
; COMPUTE_PGM_RSRC2:TGID_X_EN: 1
; COMPUTE_PGM_RSRC2:TGID_Y_EN: 1
; COMPUTE_PGM_RSRC2:TGID_Z_EN: 1
; COMPUTE_PGM_RSRC2:TIDIG_COMP_CNT: 0
	.section	.text._ZN4vllm25paged_attention_v1_kernelIthLi64ELi8ELi128ELNS_18Fp8KVCacheDataTypeE1ELb1EEEvPT_PKS2_PKT0_S8_ifPKiSA_iPKfiiiSC_SC_iiiii,"axG",@progbits,_ZN4vllm25paged_attention_v1_kernelIthLi64ELi8ELi128ELNS_18Fp8KVCacheDataTypeE1ELb1EEEvPT_PKS2_PKT0_S8_ifPKiSA_iPKfiiiSC_SC_iiiii,comdat
	.protected	_ZN4vllm25paged_attention_v1_kernelIthLi64ELi8ELi128ELNS_18Fp8KVCacheDataTypeE1ELb1EEEvPT_PKS2_PKT0_S8_ifPKiSA_iPKfiiiSC_SC_iiiii ; -- Begin function _ZN4vllm25paged_attention_v1_kernelIthLi64ELi8ELi128ELNS_18Fp8KVCacheDataTypeE1ELb1EEEvPT_PKS2_PKT0_S8_ifPKiSA_iPKfiiiSC_SC_iiiii
	.globl	_ZN4vllm25paged_attention_v1_kernelIthLi64ELi8ELi128ELNS_18Fp8KVCacheDataTypeE1ELb1EEEvPT_PKS2_PKT0_S8_ifPKiSA_iPKfiiiSC_SC_iiiii
	.p2align	8
	.type	_ZN4vllm25paged_attention_v1_kernelIthLi64ELi8ELi128ELNS_18Fp8KVCacheDataTypeE1ELb1EEEvPT_PKS2_PKT0_S8_ifPKiSA_iPKfiiiSC_SC_iiiii,@function
_ZN4vllm25paged_attention_v1_kernelIthLi64ELi8ELi128ELNS_18Fp8KVCacheDataTypeE1ELb1EEEvPT_PKS2_PKT0_S8_ifPKiSA_iPKfiiiSC_SC_iiiii: ; @_ZN4vllm25paged_attention_v1_kernelIthLi64ELi8ELi128ELNS_18Fp8KVCacheDataTypeE1ELb1EEEvPT_PKS2_PKT0_S8_ifPKiSA_iPKfiiiSC_SC_iiiii
; %bb.0:
	s_load_b64 s[6:7], s[0:1], 0x20
	s_bfe_u32 s3, ttmp6, 0x4000c
	s_bfe_u32 s5, ttmp6, 0x40010
	s_and_b32 s4, ttmp7, 0xffff
	s_add_co_i32 s3, s3, 1
	s_add_co_i32 s5, s5, 1
	s_and_b32 s2, ttmp6, 15
	s_bfe_u32 s8, ttmp6, 0x40004
	s_mul_i32 s3, ttmp9, s3
	s_mul_i32 s5, s4, s5
	s_getreg_b32 s30, hwreg(HW_REG_IB_STS2, 6, 4)
	s_add_co_i32 s9, s2, s3
	s_add_co_i32 s8, s8, s5
	s_cmp_eq_u32 s30, 0
	s_clause 0x1
	s_load_b32 s31, s[0:1], 0x80
	s_load_b64 s[2:3], s[0:1], 0x30
	s_cselect_b32 s33, s4, s8
	s_cselect_b32 s4, ttmp9, s9
	s_wait_kmcnt 0x0
	s_abs_i32 s5, s6
	s_delay_alu instid0(SALU_CYCLE_1) | instskip(SKIP_1) | instid1(SALU_CYCLE_2)
	s_cvt_f32_u32 s8, s5
	s_sub_co_i32 s9, 0, s5
	v_rcp_iflag_f32_e32 v1, s8
	s_abs_i32 s10, s31
	v_nop
	s_delay_alu instid0(TRANS32_DEP_1) | instskip(SKIP_1) | instid1(SALU_CYCLE_3)
	v_readfirstlane_b32 s8, v1
	s_mul_f32 s8, s8, 0x4f7ffffe
	s_cvt_u32_f32 s8, s8
	s_delay_alu instid0(SALU_CYCLE_3) | instskip(NEXT) | instid1(SALU_CYCLE_1)
	s_mul_i32 s9, s9, s8
	s_mul_hi_u32 s9, s8, s9
	s_delay_alu instid0(SALU_CYCLE_1) | instskip(SKIP_4) | instid1(SALU_CYCLE_1)
	s_add_co_i32 s8, s8, s9
	s_xor_b32 s9, s31, s6
	s_mul_hi_u32 s8, s10, s8
	s_ashr_i32 s9, s9, 31
	s_mul_i32 s11, s8, s5
	s_sub_co_i32 s10, s10, s11
	s_add_co_i32 s11, s8, 1
	s_sub_co_i32 s12, s10, s5
	s_cmp_ge_u32 s10, s5
	s_cselect_b32 s8, s11, s8
	s_cselect_b32 s10, s12, s10
	s_add_co_i32 s11, s8, 1
	s_cmp_ge_u32 s10, s5
	s_load_b64 s[12:13], s[0:1], 0x40
	s_cselect_b32 s5, s11, s8
	s_delay_alu instid0(SALU_CYCLE_1) | instskip(NEXT) | instid1(SALU_CYCLE_1)
	s_xor_b32 s5, s5, s9
	s_sub_co_i32 s14, s5, s9
	s_mov_b32 s9, 0
	s_abs_i32 s19, s14
	s_mov_b32 s11, s9
	s_cvt_f32_u32 s5, s19
	s_sub_co_i32 s8, 0, s19
	s_mov_b32 s37, s9
	s_delay_alu instid0(SALU_CYCLE_1) | instskip(SKIP_1) | instid1(TRANS32_DEP_1)
	v_rcp_iflag_f32_e32 v1, s5
	v_nop
	v_readfirstlane_b32 s5, v1
	s_mul_f32 s5, s5, 0x4f7ffffe
	s_delay_alu instid0(SALU_CYCLE_3) | instskip(NEXT) | instid1(SALU_CYCLE_3)
	s_cvt_u32_f32 s5, s5
	s_mul_i32 s8, s8, s5
	s_delay_alu instid0(SALU_CYCLE_1)
	s_mul_hi_u32 s10, s5, s8
	s_abs_i32 s8, s4
	s_add_co_i32 s10, s5, s10
	s_wait_kmcnt 0x0
	s_cmp_eq_u64 s[12:13], 0
	s_cbranch_scc1 .LBB235_2
; %bb.1:
	s_ashr_i32 s5, s4, 31
	s_delay_alu instid0(SALU_CYCLE_1) | instskip(NEXT) | instid1(SALU_CYCLE_1)
	s_lshl_b64 s[16:17], s[4:5], 2
	s_add_nc_u64 s[12:13], s[12:13], s[16:17]
	s_load_b32 s37, s[12:13], 0x0
.LBB235_2:
	s_load_b32 s34, s[2:3], s33 offset:0x0 scale_offset
	s_load_b96 s[16:18], s[0:1], 0x48
	v_and_b32_e32 v6, 3, v0
	s_wait_xcnt 0x0
	v_cmp_gt_u32_e64 s2, 32, v0
	s_ashr_i32 s3, s4, 31
	s_ashr_i32 s5, s14, 31
	s_mul_u64 s[10:11], s[8:9], s[10:11]
	s_lshl_b32 s20, s4, 6
	s_and_saveexec_b32 s9, s2
	s_cbranch_execz .LBB235_4
; %bb.3:
	s_load_b64 s[12:13], s[0:1], 0x8
	s_wait_kmcnt 0x0
	s_mul_i32 s14, s16, s33
	s_ashr_i32 s21, s20, 31
	s_ashr_i32 s15, s14, 31
	v_and_b32_e32 v2, 0x3fc, v0
	s_lshl_b64 s[14:15], s[14:15], 1
	s_delay_alu instid0(VALU_DEP_1) | instskip(SKIP_2) | instid1(SALU_CYCLE_1)
	v_lshl_add_u32 v2, v6, 5, v2
	s_add_nc_u64 s[12:13], s[12:13], s[14:15]
	s_lshl_b64 s[14:15], s[20:21], 1
	s_add_nc_u64 s[12:13], s[12:13], s[14:15]
	global_load_b32 v1, v0, s[12:13] scale_offset
	s_wait_loadcnt 0x0
	ds_store_b32 v2, v1
.LBB235_4:
	s_or_b32 exec_lo, exec_lo, s9
	s_load_b128 s[12:15], s[0:1], 0x68
	s_mul_i32 s9, s11, s19
	s_xor_b32 s5, s3, s5
	s_sub_co_i32 s3, s8, s9
	s_add_co_i32 s8, s11, 1
	s_sub_co_i32 s9, s3, s19
	s_cmp_ge_u32 s3, s19
	s_wait_dscnt 0x0
	s_cselect_b32 s8, s8, s11
	s_cselect_b32 s3, s9, s3
	s_add_co_i32 s9, s8, 1
	s_cmp_ge_u32 s3, s19
	s_load_b32 s3, s[0:1], 0x78
	s_cselect_b32 s8, s9, s8
	s_wait_kmcnt 0x0
	s_add_co_i32 s10, s34, -1
	s_xor_b32 s8, s8, s5
	s_mov_b32 s11, -1
	s_sub_co_i32 s5, s8, s5
	s_barrier_signal -1
	s_barrier_wait -1
	s_abs_i32 s16, s15
	s_delay_alu instid0(SALU_CYCLE_1) | instskip(NEXT) | instid1(SALU_CYCLE_3)
	s_cvt_f32_u32 s9, s16
	v_rcp_iflag_f32_e32 v1, s9
	v_nop
	s_delay_alu instid0(TRANS32_DEP_1) | instskip(SKIP_1) | instid1(SALU_CYCLE_3)
	v_readfirstlane_b32 s9, v1
	s_mul_f32 s8, s9, 0x4f7ffffe
	s_cvt_u32_f32 s19, s8
	s_sub_co_i32 s8, 0, s16
	s_delay_alu instid0(SALU_CYCLE_2)
	s_mul_i32 s9, s8, s19
	s_abs_i32 s8, s10
	s_mul_hi_u32 s21, s19, s9
	s_mov_b32 s9, 0
	s_add_co_i32 s22, s19, s21
	s_cmp_lt_i32 s3, 0
	s_mov_b32 s23, s9
                                        ; implicit-def: $sgpr21
	s_cbranch_scc0 .LBB235_6
; %bb.5:
	s_mul_i32 s6, s12, s6
	s_mov_b32 s11, s9
	s_add_co_i32 s6, s5, s6
	s_delay_alu instid0(SALU_CYCLE_1) | instskip(NEXT) | instid1(SALU_CYCLE_1)
	s_mul_i32 s6, s6, s3
	s_sub_co_i32 s21, 1, s6
.LBB235_6:
	s_ashr_i32 s6, s10, 31
	s_ashr_i32 s15, s15, 31
	s_and_not1_b32 vcc_lo, exec_lo, s11
	s_mul_u64 s[28:29], s[8:9], s[22:23]
	s_cbranch_vccnz .LBB235_8
; %bb.7:
	s_mul_i32 s9, s31, s12
	s_delay_alu instid0(SALU_CYCLE_1) | instskip(NEXT) | instid1(SALU_CYCLE_1)
	s_add_co_i32 s4, s9, s4
	s_mul_i32 s3, s4, s3
	s_delay_alu instid0(SALU_CYCLE_1)
	s_add_co_i32 s21, s3, 1
.LBB235_8:
	s_clause 0x1
	s_load_b32 s3, s[0:1], 0x38
	s_load_b64 s[24:25], s[0:1], 0x28
	s_xor_b32 s4, s6, s15
	s_mul_i32 s6, s29, s16
	s_add_co_i32 s19, s29, 1
	s_sub_co_i32 s6, s8, s6
	s_clause 0x1
	s_load_b32 s12, s[0:1], 0x88
	s_load_b128 s[8:11], s[0:1], 0x58
	v_dual_mov_b32 v16, 0xff7fffff :: v_dual_lshrrev_b32 v23, 5, v0
	v_lshrrev_b32_e32 v1, 3, v0
	v_mbcnt_lo_u32_b32 v3, -1, 0
	s_mul_i32 s18, s5, s18
	s_delay_alu instid0(VALU_DEP_3)
	v_lshlrev_b32_e32 v2, 3, v23
	s_wait_kmcnt 0x0
	s_mul_i32 s26, s3, s33
	s_sub_co_i32 s3, s6, s16
	s_ashr_i32 s27, s26, 31
	s_cmp_ge_u32 s6, s16
	s_cselect_b32 s19, s19, s29
	s_cselect_b32 s3, s3, s6
	s_add_co_i32 s6, s19, 1
	s_cmp_ge_u32 s3, s16
	s_cselect_b32 s3, s6, s19
	s_add_co_i32 s6, s34, 7
	s_delay_alu instid0(SALU_CYCLE_1) | instskip(NEXT) | instid1(SALU_CYCLE_1)
	s_ashr_i32 s19, s6, 31
	s_lshr_b32 s19, s19, 29
	s_delay_alu instid0(SALU_CYCLE_1) | instskip(NEXT) | instid1(SALU_CYCLE_1)
	s_add_co_i32 s6, s6, s19
	s_ashr_i32 s35, s6, 3
	s_xor_b32 s6, s3, s4
	v_cmp_gt_i32_e64 s3, s35, v23
	s_sub_co_i32 s36, s6, s4
	s_and_saveexec_b32 s38, s3
	s_cbranch_execz .LBB235_148
; %bb.9:
	s_load_b64 s[42:43], s[0:1], 0x10
	s_sub_co_i32 s39, s36, s13
	s_ashr_i32 s19, s18, 31
	s_cmp_neq_f32 s37, 0
	v_bfe_u32 v14, v0, 2, 3
	v_dual_mov_b32 v5, 0 :: v_dual_lshlrev_b32 v15, 5, v6
	s_cselect_b32 vcc_lo, -1, 0
	s_abs_i32 s40, s14
	s_delay_alu instid0(VALU_DEP_2)
	v_lshlrev_b32_e32 v4, 4, v14
	s_cvt_f32_u32 s4, s40
	s_lshl_b64 s[44:45], s[26:27], 2
	v_subrev_nc_u32_e32 v10, s34, v14
	s_sub_co_i32 s6, 0, s40
	v_rcp_iflag_f32_e32 v7, s4
	v_cmp_eq_u32_e64 s4, 0, v6
	s_delay_alu instid0(VALU_DEP_2)
	v_dual_mov_b32 v16, 0xff7fffff :: v_dual_add_nc_u32 v17, 1, v10
	v_mov_b32_e32 v20, v23
	s_mov_b32 s29, 0
	s_wait_kmcnt 0x0
	s_add_nc_u64 s[42:43], s[42:43], s[18:19]
	v_readfirstlane_b32 s5, v7
	v_lshlrev_b32_e32 v7, 2, v14
	v_add_nc_u64_e32 v[8:9], s[42:43], v[4:5]
	v_dual_mov_b32 v19, 0xff7fffff :: v_dual_lshlrev_b32 v4, 1, v6
	s_mul_f32 s5, s5, 0x4f7ffffe
	s_delay_alu instid0(VALU_DEP_3) | instskip(SKIP_2) | instid1(VALU_DEP_3)
	v_lshl_or_b32 v11, v23, 5, v7
	s_add_nc_u64 s[42:43], s[24:25], s[44:45]
	s_mov_b32 s19, s17
	v_add_nc_u64_e32 v[6:7], v[8:9], v[4:5]
	v_and_b32_e32 v4, 0x7c, v1
	s_cvt_u32_f32 s5, s5
	v_add_nc_u32_e32 v18, 0xa0, v11
	s_mov_b32 s41, s29
	s_delay_alu instid0(VALU_DEP_2) | instskip(SKIP_3) | instid1(SALU_CYCLE_1)
	v_add_nc_u64_e32 v[8:9], s[42:43], v[4:5]
	s_mul_i32 s6, s6, s5
	v_lshlrev_b32_e32 v4, 3, v23
	s_mul_hi_u32 s6, s5, s6
	s_add_co_i32 s28, s5, s6
	s_branch .LBB235_12
.LBB235_10:                             ;   in Loop: Header=BB235_12 Depth=1
	s_or_b32 exec_lo, exec_lo, s42
.LBB235_11:                             ;   in Loop: Header=BB235_12 Depth=1
	s_delay_alu instid0(SALU_CYCLE_1) | instskip(SKIP_4) | instid1(VALU_DEP_4)
	s_or_b32 exec_lo, exec_lo, s6
	v_add_nc_u32_e32 v20, 4, v20
	v_add_nc_u64_e32 v[8:9], 16, v[8:9]
	v_add_nc_u32_e32 v4, 32, v4
	v_add_nc_u32_e32 v18, 0x80, v18
	v_cmp_le_i32_e64 s5, s35, v20
	s_or_b32 s41, s5, s41
	s_delay_alu instid0(SALU_CYCLE_1)
	s_and_not1_b32 exec_lo, exec_lo, s41
	s_cbranch_execz .LBB235_147
.LBB235_12:                             ; =>This Inner Loop Header: Depth=1
	s_wait_dscnt 0x0
	v_mul_u64_e32 v[10:11], s[22:23], v[4:5]
	s_delay_alu instid0(VALU_DEP_1) | instskip(NEXT) | instid1(VALU_DEP_1)
	v_mul_lo_u32 v10, v11, s16
	v_dual_add_nc_u32 v12, 1, v11 :: v_dual_sub_nc_u32 v10, v4, v10
	s_delay_alu instid0(VALU_DEP_1) | instskip(SKIP_1) | instid1(VALU_DEP_1)
	v_subrev_nc_u32_e32 v13, s16, v10
	v_cmp_le_u32_e64 s5, s16, v10
	v_dual_cndmask_b32 v11, v11, v12, s5 :: v_dual_cndmask_b32 v10, v10, v13, s5
	s_delay_alu instid0(VALU_DEP_1) | instskip(NEXT) | instid1(VALU_DEP_2)
	v_add_nc_u32_e32 v12, 1, v11
	v_cmp_le_u32_e64 s5, s16, v10
	s_delay_alu instid0(VALU_DEP_1) | instskip(NEXT) | instid1(VALU_DEP_1)
	v_dual_cndmask_b32 v10, v11, v12, s5 :: v_dual_mov_b32 v11, v5
	v_xor_b32_e32 v10, s15, v10
	s_delay_alu instid0(VALU_DEP_1) | instskip(NEXT) | instid1(VALU_DEP_1)
	v_subrev_nc_u32_e32 v21, s15, v10
	v_add_nc_u32_e32 v22, s21, v21
	v_cmp_ge_i32_e64 s6, s39, v21
	s_delay_alu instid0(VALU_DEP_2) | instskip(NEXT) | instid1(VALU_DEP_1)
	v_sub_nc_u32_e32 v10, 0, v22
	v_max_i32_e32 v10, v22, v10
	s_delay_alu instid0(VALU_DEP_1) | instskip(SKIP_1) | instid1(VALU_DEP_2)
	v_mul_u64_e32 v[12:13], s[28:29], v[10:11]
	v_ashrrev_i32_e32 v12, 31, v22
	v_mul_lo_u32 v11, v13, s40
	s_delay_alu instid0(VALU_DEP_1) | instskip(NEXT) | instid1(VALU_DEP_1)
	v_sub_nc_u32_e32 v10, v10, v11
	v_subrev_nc_u32_e32 v11, s40, v10
	v_cmp_le_u32_e64 s5, s40, v10
	s_delay_alu instid0(VALU_DEP_1) | instskip(NEXT) | instid1(VALU_DEP_1)
	v_cndmask_b32_e64 v10, v10, v11, s5
	v_subrev_nc_u32_e32 v11, s40, v10
	v_cmp_le_u32_e64 s5, s40, v10
	s_delay_alu instid0(VALU_DEP_1) | instskip(NEXT) | instid1(VALU_DEP_1)
	v_cndmask_b32_e64 v10, v10, v11, s5
	v_xor_b32_e32 v10, v10, v12
	s_delay_alu instid0(VALU_DEP_1) | instskip(NEXT) | instid1(VALU_DEP_1)
	v_sub_nc_u32_e32 v10, v10, v12
	v_cmp_ne_u32_e64 s5, 0, v10
	s_and_b32 s5, s5, s6
	s_delay_alu instid0(SALU_CYCLE_1) | instskip(NEXT) | instid1(SALU_CYCLE_1)
	s_and_saveexec_b32 s6, s5
	s_xor_b32 s5, exec_lo, s6
	s_cbranch_execz .LBB235_16
; %bb.13:                               ;   in Loop: Header=BB235_12 Depth=1
	s_and_saveexec_b32 s6, s4
; %bb.14:                               ;   in Loop: Header=BB235_12 Depth=1
	ds_store_b32 v18, v19
; %bb.15:                               ;   in Loop: Header=BB235_12 Depth=1
	s_or_b32 exec_lo, exec_lo, s6
.LBB235_16:                             ;   in Loop: Header=BB235_12 Depth=1
	s_and_not1_saveexec_b32 s6, s5
	s_cbranch_execz .LBB235_11
; %bb.17:                               ;   in Loop: Header=BB235_12 Depth=1
	global_load_b32 v10, v[8:9], off
	v_dual_mov_b32 v22, 0 :: v_dual_mov_b32 v24, 0
	s_mov_b32 s42, exec_lo
	global_load_b32 v21, v22, s[8:9]
	s_wait_loadcnt 0x1
	v_mad_nc_i64_i32 v[10:11], v10, s19, v[6:7]
	global_load_u16 v12, v[10:11], off
	s_wait_loadcnt 0x0
	v_and_b32_e32 v13, 0xff, v12
	v_and_b32_e32 v12, 0xffff, v12
	s_delay_alu instid0(VALU_DEP_2)
	v_cmpx_ne_u16_e32 0, v13
	s_cbranch_execz .LBB235_25
; %bb.18:                               ;   in Loop: Header=BB235_12 Depth=1
	s_delay_alu instid0(VALU_DEP_2) | instskip(SKIP_2) | instid1(VALU_DEP_2)
	v_and_b32_e32 v13, 0xff, v12
	v_mov_b32_e32 v24, 0x8000
	s_mov_b32 s43, exec_lo
	v_cmpx_ne_u16_e32 0x80, v13
	s_cbranch_execz .LBB235_24
; %bb.19:                               ;   in Loop: Header=BB235_12 Depth=1
	v_and_b32_e32 v25, 0x7f, v12
	v_mov_b32_e32 v24, 0x7c01
	s_mov_b32 s44, exec_lo
	s_delay_alu instid0(VALU_DEP_2)
	v_cmpx_ne_u32_e32 0x7f, v25
	s_cbranch_execz .LBB235_23
; %bb.20:                               ;   in Loop: Header=BB235_12 Depth=1
	v_dual_lshrrev_b32 v24, 3, v25 :: v_dual_bitop2_b32 v13, 7, v12 bitop3:0x40
	s_mov_b32 s45, exec_lo
	v_cmpx_gt_u32_e32 8, v25
; %bb.21:                               ;   in Loop: Header=BB235_12 Depth=1
	s_delay_alu instid0(VALU_DEP_2) | instskip(NEXT) | instid1(VALU_DEP_1)
	v_clz_i32_u32_e32 v13, v13
	v_min_u32_e32 v13, 32, v13
	s_delay_alu instid0(VALU_DEP_1) | instskip(NEXT) | instid1(VALU_DEP_1)
	v_subrev_nc_u32_e32 v24, 28, v13
	v_lshlrev_b64_e32 v[26:27], v24, v[12:13]
	s_delay_alu instid0(VALU_DEP_1)
	v_dual_sub_nc_u32 v24, 29, v13 :: v_dual_bitop2_b32 v13, 7, v26 bitop3:0x40
; %bb.22:                               ;   in Loop: Header=BB235_12 Depth=1
	s_or_b32 exec_lo, exec_lo, s45
	s_delay_alu instid0(VALU_DEP_1) | instskip(NEXT) | instid1(VALU_DEP_2)
	v_dual_lshlrev_b32 v25, 8, v12 :: v_dual_lshlrev_b32 v13, 7, v13
	v_lshl_add_u32 v24, v24, 10, 0x2000
	s_delay_alu instid0(VALU_DEP_2) | instskip(NEXT) | instid1(VALU_DEP_2)
	v_and_b32_e32 v25, 0x8000, v25
	v_and_b32_e32 v24, 0xfc00, v24
	s_delay_alu instid0(VALU_DEP_1)
	v_or3_b32 v24, v25, v24, v13
.LBB235_23:                             ;   in Loop: Header=BB235_12 Depth=1
	s_or_b32 exec_lo, exec_lo, s44
.LBB235_24:                             ;   in Loop: Header=BB235_12 Depth=1
	s_delay_alu instid0(SALU_CYCLE_1)
	s_or_b32 exec_lo, exec_lo, s43
.LBB235_25:                             ;   in Loop: Header=BB235_12 Depth=1
	s_delay_alu instid0(SALU_CYCLE_1) | instskip(NEXT) | instid1(VALU_DEP_2)
	s_or_b32 exec_lo, exec_lo, s42
	v_lshrrev_b16 v12, 8, v12
	s_mov_b32 s42, exec_lo
	s_delay_alu instid0(VALU_DEP_1)
	v_cmpx_ne_u16_e32 0, v12
	s_cbranch_execz .LBB235_33
; %bb.26:                               ;   in Loop: Header=BB235_12 Depth=1
	v_bfrev_b32_e32 v22, 1
	s_mov_b32 s43, exec_lo
	v_cmpx_ne_u16_e32 0x80, v12
	s_cbranch_execz .LBB235_32
; %bb.27:                               ;   in Loop: Header=BB235_12 Depth=1
	v_and_b32_e32 v25, 0xffff, v12
	v_mov_b32_e32 v22, 0x7c010000
	s_mov_b32 s44, exec_lo
	s_delay_alu instid0(VALU_DEP_2) | instskip(NEXT) | instid1(VALU_DEP_1)
	v_and_b32_e32 v26, 0x7f, v25
	v_cmpx_ne_u32_e32 0x7f, v26
	s_cbranch_execz .LBB235_31
; %bb.28:                               ;   in Loop: Header=BB235_12 Depth=1
	v_dual_lshrrev_b32 v22, 3, v26 :: v_dual_bitop2_b32 v13, 7, v25 bitop3:0x40
	s_mov_b32 s45, exec_lo
	v_cmpx_gt_u32_e32 8, v26
	s_cbranch_execz .LBB235_30
; %bb.29:                               ;   in Loop: Header=BB235_12 Depth=1
	s_delay_alu instid0(VALU_DEP_2) | instskip(NEXT) | instid1(VALU_DEP_1)
	v_clz_i32_u32_e32 v13, v13
	v_min_u32_e32 v22, 32, v13
	v_mov_b32_e32 v13, v5
	s_delay_alu instid0(VALU_DEP_2) | instskip(SKIP_1) | instid1(VALU_DEP_2)
	v_subrev_nc_u32_e32 v26, 28, v22
	v_sub_nc_u32_e32 v22, 29, v22
	v_lshlrev_b64_e32 v[12:13], v26, v[12:13]
	s_delay_alu instid0(VALU_DEP_1)
	v_and_b32_e32 v13, 7, v12
.LBB235_30:                             ;   in Loop: Header=BB235_12 Depth=1
	s_or_b32 exec_lo, exec_lo, s45
	v_lshlrev_b32_e32 v12, 8, v25
	v_lshl_add_u32 v22, v22, 10, 0x2000
	s_delay_alu instid0(VALU_DEP_3) | instskip(NEXT) | instid1(VALU_DEP_2)
	v_lshlrev_b32_e32 v13, 23, v13
	v_and_or_b32 v12, 0x8000, v12, v22
	s_delay_alu instid0(VALU_DEP_1)
	v_lshl_or_b32 v22, v12, 16, v13
.LBB235_31:                             ;   in Loop: Header=BB235_12 Depth=1
	s_or_b32 exec_lo, exec_lo, s44
.LBB235_32:                             ;   in Loop: Header=BB235_12 Depth=1
	s_delay_alu instid0(SALU_CYCLE_1)
	s_or_b32 exec_lo, exec_lo, s43
.LBB235_33:                             ;   in Loop: Header=BB235_12 Depth=1
	s_delay_alu instid0(SALU_CYCLE_1)
	s_or_b32 exec_lo, exec_lo, s42
	global_load_u16 v12, v[10:11], off offset:8
	v_dual_mov_b32 v25, 0 :: v_dual_mov_b32 v26, 0
	s_mov_b32 s42, exec_lo
	s_wait_loadcnt 0x0
	v_and_b32_e32 v13, 0xff, v12
	v_and_b32_e32 v12, 0xffff, v12
	s_delay_alu instid0(VALU_DEP_2)
	v_cmpx_ne_u16_e32 0, v13
	s_cbranch_execz .LBB235_41
; %bb.34:                               ;   in Loop: Header=BB235_12 Depth=1
	s_delay_alu instid0(VALU_DEP_2) | instskip(SKIP_2) | instid1(VALU_DEP_2)
	v_and_b32_e32 v13, 0xff, v12
	v_mov_b32_e32 v26, 0x8000
	s_mov_b32 s43, exec_lo
	v_cmpx_ne_u16_e32 0x80, v13
	s_cbranch_execz .LBB235_40
; %bb.35:                               ;   in Loop: Header=BB235_12 Depth=1
	v_and_b32_e32 v27, 0x7f, v12
	v_mov_b32_e32 v26, 0x7c01
	s_mov_b32 s44, exec_lo
	s_delay_alu instid0(VALU_DEP_2)
	v_cmpx_ne_u32_e32 0x7f, v27
	s_cbranch_execz .LBB235_39
; %bb.36:                               ;   in Loop: Header=BB235_12 Depth=1
	v_dual_lshrrev_b32 v26, 3, v27 :: v_dual_bitop2_b32 v13, 7, v12 bitop3:0x40
	s_mov_b32 s45, exec_lo
	v_cmpx_gt_u32_e32 8, v27
; %bb.37:                               ;   in Loop: Header=BB235_12 Depth=1
	s_delay_alu instid0(VALU_DEP_2) | instskip(NEXT) | instid1(VALU_DEP_1)
	v_clz_i32_u32_e32 v13, v13
	v_min_u32_e32 v13, 32, v13
	s_delay_alu instid0(VALU_DEP_1) | instskip(NEXT) | instid1(VALU_DEP_1)
	v_subrev_nc_u32_e32 v26, 28, v13
	v_lshlrev_b64_e32 v[28:29], v26, v[12:13]
	s_delay_alu instid0(VALU_DEP_1)
	v_dual_sub_nc_u32 v26, 29, v13 :: v_dual_bitop2_b32 v13, 7, v28 bitop3:0x40
; %bb.38:                               ;   in Loop: Header=BB235_12 Depth=1
	s_or_b32 exec_lo, exec_lo, s45
	s_delay_alu instid0(VALU_DEP_1) | instskip(NEXT) | instid1(VALU_DEP_2)
	v_dual_lshlrev_b32 v27, 8, v12 :: v_dual_lshlrev_b32 v13, 7, v13
	v_lshl_add_u32 v26, v26, 10, 0x2000
	s_delay_alu instid0(VALU_DEP_2) | instskip(NEXT) | instid1(VALU_DEP_2)
	v_and_b32_e32 v27, 0x8000, v27
	v_and_b32_e32 v26, 0xfc00, v26
	s_delay_alu instid0(VALU_DEP_1)
	v_or3_b32 v26, v27, v26, v13
.LBB235_39:                             ;   in Loop: Header=BB235_12 Depth=1
	s_or_b32 exec_lo, exec_lo, s44
.LBB235_40:                             ;   in Loop: Header=BB235_12 Depth=1
	s_delay_alu instid0(SALU_CYCLE_1)
	s_or_b32 exec_lo, exec_lo, s43
.LBB235_41:                             ;   in Loop: Header=BB235_12 Depth=1
	s_delay_alu instid0(SALU_CYCLE_1) | instskip(NEXT) | instid1(VALU_DEP_2)
	s_or_b32 exec_lo, exec_lo, s42
	v_lshrrev_b16 v12, 8, v12
	s_mov_b32 s42, exec_lo
	s_delay_alu instid0(VALU_DEP_1)
	v_cmpx_ne_u16_e32 0, v12
	s_cbranch_execz .LBB235_49
; %bb.42:                               ;   in Loop: Header=BB235_12 Depth=1
	v_bfrev_b32_e32 v25, 1
	s_mov_b32 s43, exec_lo
	v_cmpx_ne_u16_e32 0x80, v12
	s_cbranch_execz .LBB235_48
; %bb.43:                               ;   in Loop: Header=BB235_12 Depth=1
	v_and_b32_e32 v27, 0xffff, v12
	v_mov_b32_e32 v25, 0x7c010000
	s_mov_b32 s44, exec_lo
	s_delay_alu instid0(VALU_DEP_2) | instskip(NEXT) | instid1(VALU_DEP_1)
	v_and_b32_e32 v28, 0x7f, v27
	v_cmpx_ne_u32_e32 0x7f, v28
	s_cbranch_execz .LBB235_47
; %bb.44:                               ;   in Loop: Header=BB235_12 Depth=1
	v_dual_lshrrev_b32 v25, 3, v28 :: v_dual_bitop2_b32 v13, 7, v27 bitop3:0x40
	s_mov_b32 s45, exec_lo
	v_cmpx_gt_u32_e32 8, v28
	s_cbranch_execz .LBB235_46
; %bb.45:                               ;   in Loop: Header=BB235_12 Depth=1
	s_delay_alu instid0(VALU_DEP_2) | instskip(NEXT) | instid1(VALU_DEP_1)
	v_clz_i32_u32_e32 v13, v13
	v_min_u32_e32 v25, 32, v13
	v_mov_b32_e32 v13, v5
	s_delay_alu instid0(VALU_DEP_2) | instskip(SKIP_1) | instid1(VALU_DEP_2)
	v_subrev_nc_u32_e32 v28, 28, v25
	v_sub_nc_u32_e32 v25, 29, v25
	v_lshlrev_b64_e32 v[12:13], v28, v[12:13]
	s_delay_alu instid0(VALU_DEP_1)
	v_and_b32_e32 v13, 7, v12
.LBB235_46:                             ;   in Loop: Header=BB235_12 Depth=1
	s_or_b32 exec_lo, exec_lo, s45
	s_delay_alu instid0(VALU_DEP_1) | instskip(SKIP_1) | instid1(VALU_DEP_1)
	v_dual_lshlrev_b32 v12, 8, v27 :: v_dual_lshlrev_b32 v13, 23, v13
	v_lshl_add_u32 v25, v25, 10, 0x2000
	v_and_or_b32 v12, 0x8000, v12, v25
	s_delay_alu instid0(VALU_DEP_1)
	v_lshl_or_b32 v25, v12, 16, v13
.LBB235_47:                             ;   in Loop: Header=BB235_12 Depth=1
	s_or_b32 exec_lo, exec_lo, s44
.LBB235_48:                             ;   in Loop: Header=BB235_12 Depth=1
	s_delay_alu instid0(SALU_CYCLE_1)
	s_or_b32 exec_lo, exec_lo, s43
.LBB235_49:                             ;   in Loop: Header=BB235_12 Depth=1
	s_delay_alu instid0(SALU_CYCLE_1)
	s_or_b32 exec_lo, exec_lo, s42
	global_load_u16 v12, v[10:11], off offset:128
	v_dual_mov_b32 v27, 0 :: v_dual_mov_b32 v28, 0
	s_mov_b32 s42, exec_lo
	s_wait_loadcnt 0x0
	v_and_b32_e32 v13, 0xff, v12
	v_and_b32_e32 v12, 0xffff, v12
	s_delay_alu instid0(VALU_DEP_2)
	v_cmpx_ne_u16_e32 0, v13
	s_cbranch_execz .LBB235_57
; %bb.50:                               ;   in Loop: Header=BB235_12 Depth=1
	s_delay_alu instid0(VALU_DEP_2) | instskip(SKIP_2) | instid1(VALU_DEP_2)
	v_and_b32_e32 v13, 0xff, v12
	v_mov_b32_e32 v28, 0x8000
	s_mov_b32 s43, exec_lo
	v_cmpx_ne_u16_e32 0x80, v13
	s_cbranch_execz .LBB235_56
; %bb.51:                               ;   in Loop: Header=BB235_12 Depth=1
	v_and_b32_e32 v29, 0x7f, v12
	v_mov_b32_e32 v28, 0x7c01
	s_mov_b32 s44, exec_lo
	s_delay_alu instid0(VALU_DEP_2)
	v_cmpx_ne_u32_e32 0x7f, v29
	s_cbranch_execz .LBB235_55
; %bb.52:                               ;   in Loop: Header=BB235_12 Depth=1
	v_dual_lshrrev_b32 v28, 3, v29 :: v_dual_bitop2_b32 v13, 7, v12 bitop3:0x40
	s_mov_b32 s45, exec_lo
	v_cmpx_gt_u32_e32 8, v29
; %bb.53:                               ;   in Loop: Header=BB235_12 Depth=1
	s_delay_alu instid0(VALU_DEP_2) | instskip(NEXT) | instid1(VALU_DEP_1)
	v_clz_i32_u32_e32 v13, v13
	v_min_u32_e32 v13, 32, v13
	s_delay_alu instid0(VALU_DEP_1) | instskip(NEXT) | instid1(VALU_DEP_1)
	v_subrev_nc_u32_e32 v28, 28, v13
	v_lshlrev_b64_e32 v[30:31], v28, v[12:13]
	s_delay_alu instid0(VALU_DEP_1)
	v_dual_sub_nc_u32 v28, 29, v13 :: v_dual_bitop2_b32 v13, 7, v30 bitop3:0x40
; %bb.54:                               ;   in Loop: Header=BB235_12 Depth=1
	s_or_b32 exec_lo, exec_lo, s45
	s_delay_alu instid0(VALU_DEP_1) | instskip(NEXT) | instid1(VALU_DEP_2)
	v_dual_lshlrev_b32 v29, 8, v12 :: v_dual_lshlrev_b32 v13, 7, v13
	v_lshl_add_u32 v28, v28, 10, 0x2000
	s_delay_alu instid0(VALU_DEP_2) | instskip(NEXT) | instid1(VALU_DEP_2)
	v_and_b32_e32 v29, 0x8000, v29
	v_and_b32_e32 v28, 0xfc00, v28
	s_delay_alu instid0(VALU_DEP_1)
	v_or3_b32 v28, v29, v28, v13
.LBB235_55:                             ;   in Loop: Header=BB235_12 Depth=1
	s_or_b32 exec_lo, exec_lo, s44
.LBB235_56:                             ;   in Loop: Header=BB235_12 Depth=1
	s_delay_alu instid0(SALU_CYCLE_1)
	s_or_b32 exec_lo, exec_lo, s43
.LBB235_57:                             ;   in Loop: Header=BB235_12 Depth=1
	s_delay_alu instid0(SALU_CYCLE_1) | instskip(NEXT) | instid1(VALU_DEP_2)
	s_or_b32 exec_lo, exec_lo, s42
	v_lshrrev_b16 v12, 8, v12
	s_mov_b32 s42, exec_lo
	s_delay_alu instid0(VALU_DEP_1)
	v_cmpx_ne_u16_e32 0, v12
	s_cbranch_execz .LBB235_65
; %bb.58:                               ;   in Loop: Header=BB235_12 Depth=1
	v_bfrev_b32_e32 v27, 1
	s_mov_b32 s43, exec_lo
	v_cmpx_ne_u16_e32 0x80, v12
	s_cbranch_execz .LBB235_64
; %bb.59:                               ;   in Loop: Header=BB235_12 Depth=1
	v_and_b32_e32 v29, 0xffff, v12
	v_mov_b32_e32 v27, 0x7c010000
	s_mov_b32 s44, exec_lo
	s_delay_alu instid0(VALU_DEP_2) | instskip(NEXT) | instid1(VALU_DEP_1)
	v_and_b32_e32 v30, 0x7f, v29
	v_cmpx_ne_u32_e32 0x7f, v30
	s_cbranch_execz .LBB235_63
; %bb.60:                               ;   in Loop: Header=BB235_12 Depth=1
	v_dual_lshrrev_b32 v27, 3, v30 :: v_dual_bitop2_b32 v13, 7, v29 bitop3:0x40
	s_mov_b32 s45, exec_lo
	v_cmpx_gt_u32_e32 8, v30
	s_cbranch_execz .LBB235_62
; %bb.61:                               ;   in Loop: Header=BB235_12 Depth=1
	s_delay_alu instid0(VALU_DEP_2) | instskip(NEXT) | instid1(VALU_DEP_1)
	v_clz_i32_u32_e32 v13, v13
	v_min_u32_e32 v27, 32, v13
	v_mov_b32_e32 v13, v5
	s_delay_alu instid0(VALU_DEP_2) | instskip(SKIP_1) | instid1(VALU_DEP_2)
	v_subrev_nc_u32_e32 v30, 28, v27
	v_sub_nc_u32_e32 v27, 29, v27
	v_lshlrev_b64_e32 v[12:13], v30, v[12:13]
	s_delay_alu instid0(VALU_DEP_1)
	v_and_b32_e32 v13, 7, v12
.LBB235_62:                             ;   in Loop: Header=BB235_12 Depth=1
	s_or_b32 exec_lo, exec_lo, s45
	v_lshlrev_b32_e32 v12, 8, v29
	v_lshl_add_u32 v27, v27, 10, 0x2000
	s_delay_alu instid0(VALU_DEP_3) | instskip(NEXT) | instid1(VALU_DEP_2)
	v_lshlrev_b32_e32 v13, 23, v13
	v_and_or_b32 v12, 0x8000, v12, v27
	s_delay_alu instid0(VALU_DEP_1)
	v_lshl_or_b32 v27, v12, 16, v13
.LBB235_63:                             ;   in Loop: Header=BB235_12 Depth=1
	s_or_b32 exec_lo, exec_lo, s44
.LBB235_64:                             ;   in Loop: Header=BB235_12 Depth=1
	s_delay_alu instid0(SALU_CYCLE_1)
	s_or_b32 exec_lo, exec_lo, s43
.LBB235_65:                             ;   in Loop: Header=BB235_12 Depth=1
	s_delay_alu instid0(SALU_CYCLE_1)
	s_or_b32 exec_lo, exec_lo, s42
	global_load_u16 v12, v[10:11], off offset:136
	v_dual_mov_b32 v29, 0 :: v_dual_mov_b32 v30, 0
	s_mov_b32 s42, exec_lo
	s_wait_loadcnt 0x0
	v_and_b32_e32 v13, 0xff, v12
	v_and_b32_e32 v12, 0xffff, v12
	s_delay_alu instid0(VALU_DEP_2)
	v_cmpx_ne_u16_e32 0, v13
	s_cbranch_execz .LBB235_73
; %bb.66:                               ;   in Loop: Header=BB235_12 Depth=1
	s_delay_alu instid0(VALU_DEP_2) | instskip(SKIP_2) | instid1(VALU_DEP_2)
	v_and_b32_e32 v13, 0xff, v12
	v_mov_b32_e32 v30, 0x8000
	s_mov_b32 s43, exec_lo
	v_cmpx_ne_u16_e32 0x80, v13
	s_cbranch_execz .LBB235_72
; %bb.67:                               ;   in Loop: Header=BB235_12 Depth=1
	v_and_b32_e32 v31, 0x7f, v12
	v_mov_b32_e32 v30, 0x7c01
	s_mov_b32 s44, exec_lo
	s_delay_alu instid0(VALU_DEP_2)
	v_cmpx_ne_u32_e32 0x7f, v31
	s_cbranch_execz .LBB235_71
; %bb.68:                               ;   in Loop: Header=BB235_12 Depth=1
	v_dual_lshrrev_b32 v30, 3, v31 :: v_dual_bitop2_b32 v13, 7, v12 bitop3:0x40
	s_mov_b32 s45, exec_lo
	v_cmpx_gt_u32_e32 8, v31
; %bb.69:                               ;   in Loop: Header=BB235_12 Depth=1
	s_delay_alu instid0(VALU_DEP_2) | instskip(NEXT) | instid1(VALU_DEP_1)
	v_clz_i32_u32_e32 v13, v13
	v_min_u32_e32 v13, 32, v13
	s_delay_alu instid0(VALU_DEP_1) | instskip(NEXT) | instid1(VALU_DEP_1)
	v_subrev_nc_u32_e32 v30, 28, v13
	v_lshlrev_b64_e32 v[32:33], v30, v[12:13]
	s_delay_alu instid0(VALU_DEP_1)
	v_dual_sub_nc_u32 v30, 29, v13 :: v_dual_bitop2_b32 v13, 7, v32 bitop3:0x40
; %bb.70:                               ;   in Loop: Header=BB235_12 Depth=1
	s_or_b32 exec_lo, exec_lo, s45
	s_delay_alu instid0(VALU_DEP_1) | instskip(NEXT) | instid1(VALU_DEP_2)
	v_dual_lshlrev_b32 v31, 8, v12 :: v_dual_lshlrev_b32 v13, 7, v13
	v_lshl_add_u32 v30, v30, 10, 0x2000
	s_delay_alu instid0(VALU_DEP_2) | instskip(NEXT) | instid1(VALU_DEP_2)
	v_and_b32_e32 v31, 0x8000, v31
	v_and_b32_e32 v30, 0xfc00, v30
	s_delay_alu instid0(VALU_DEP_1)
	v_or3_b32 v30, v31, v30, v13
.LBB235_71:                             ;   in Loop: Header=BB235_12 Depth=1
	s_or_b32 exec_lo, exec_lo, s44
.LBB235_72:                             ;   in Loop: Header=BB235_12 Depth=1
	s_delay_alu instid0(SALU_CYCLE_1)
	s_or_b32 exec_lo, exec_lo, s43
.LBB235_73:                             ;   in Loop: Header=BB235_12 Depth=1
	s_delay_alu instid0(SALU_CYCLE_1) | instskip(NEXT) | instid1(VALU_DEP_2)
	s_or_b32 exec_lo, exec_lo, s42
	v_lshrrev_b16 v12, 8, v12
	s_mov_b32 s42, exec_lo
	s_delay_alu instid0(VALU_DEP_1)
	v_cmpx_ne_u16_e32 0, v12
	s_cbranch_execz .LBB235_81
; %bb.74:                               ;   in Loop: Header=BB235_12 Depth=1
	v_bfrev_b32_e32 v29, 1
	s_mov_b32 s43, exec_lo
	v_cmpx_ne_u16_e32 0x80, v12
	s_cbranch_execz .LBB235_80
; %bb.75:                               ;   in Loop: Header=BB235_12 Depth=1
	v_and_b32_e32 v31, 0xffff, v12
	v_mov_b32_e32 v29, 0x7c010000
	s_mov_b32 s44, exec_lo
	s_delay_alu instid0(VALU_DEP_2) | instskip(NEXT) | instid1(VALU_DEP_1)
	v_and_b32_e32 v32, 0x7f, v31
	v_cmpx_ne_u32_e32 0x7f, v32
	s_cbranch_execz .LBB235_79
; %bb.76:                               ;   in Loop: Header=BB235_12 Depth=1
	v_dual_lshrrev_b32 v29, 3, v32 :: v_dual_bitop2_b32 v13, 7, v31 bitop3:0x40
	s_mov_b32 s45, exec_lo
	v_cmpx_gt_u32_e32 8, v32
	s_cbranch_execz .LBB235_78
; %bb.77:                               ;   in Loop: Header=BB235_12 Depth=1
	s_delay_alu instid0(VALU_DEP_2) | instskip(NEXT) | instid1(VALU_DEP_1)
	v_clz_i32_u32_e32 v13, v13
	v_min_u32_e32 v29, 32, v13
	v_mov_b32_e32 v13, v5
	s_delay_alu instid0(VALU_DEP_2) | instskip(SKIP_1) | instid1(VALU_DEP_2)
	v_subrev_nc_u32_e32 v32, 28, v29
	v_sub_nc_u32_e32 v29, 29, v29
	v_lshlrev_b64_e32 v[12:13], v32, v[12:13]
	s_delay_alu instid0(VALU_DEP_1)
	v_and_b32_e32 v13, 7, v12
.LBB235_78:                             ;   in Loop: Header=BB235_12 Depth=1
	s_or_b32 exec_lo, exec_lo, s45
	s_delay_alu instid0(VALU_DEP_1) | instskip(SKIP_1) | instid1(VALU_DEP_1)
	v_dual_lshlrev_b32 v12, 8, v31 :: v_dual_lshlrev_b32 v13, 23, v13
	v_lshl_add_u32 v29, v29, 10, 0x2000
	v_and_or_b32 v12, 0x8000, v12, v29
	s_delay_alu instid0(VALU_DEP_1)
	v_lshl_or_b32 v29, v12, 16, v13
.LBB235_79:                             ;   in Loop: Header=BB235_12 Depth=1
	s_or_b32 exec_lo, exec_lo, s44
.LBB235_80:                             ;   in Loop: Header=BB235_12 Depth=1
	s_delay_alu instid0(SALU_CYCLE_1)
	s_or_b32 exec_lo, exec_lo, s43
.LBB235_81:                             ;   in Loop: Header=BB235_12 Depth=1
	s_delay_alu instid0(SALU_CYCLE_1)
	s_or_b32 exec_lo, exec_lo, s42
	global_load_u16 v12, v[10:11], off offset:256
	v_dual_mov_b32 v31, 0 :: v_dual_mov_b32 v32, 0
	s_mov_b32 s42, exec_lo
	s_wait_loadcnt 0x0
	v_and_b32_e32 v13, 0xff, v12
	v_and_b32_e32 v12, 0xffff, v12
	s_delay_alu instid0(VALU_DEP_2)
	v_cmpx_ne_u16_e32 0, v13
	s_cbranch_execz .LBB235_89
; %bb.82:                               ;   in Loop: Header=BB235_12 Depth=1
	s_delay_alu instid0(VALU_DEP_2) | instskip(SKIP_2) | instid1(VALU_DEP_2)
	v_and_b32_e32 v13, 0xff, v12
	v_mov_b32_e32 v32, 0x8000
	s_mov_b32 s43, exec_lo
	v_cmpx_ne_u16_e32 0x80, v13
	s_cbranch_execz .LBB235_88
; %bb.83:                               ;   in Loop: Header=BB235_12 Depth=1
	v_and_b32_e32 v33, 0x7f, v12
	v_mov_b32_e32 v32, 0x7c01
	s_mov_b32 s44, exec_lo
	s_delay_alu instid0(VALU_DEP_2)
	v_cmpx_ne_u32_e32 0x7f, v33
	s_cbranch_execz .LBB235_87
; %bb.84:                               ;   in Loop: Header=BB235_12 Depth=1
	v_dual_lshrrev_b32 v32, 3, v33 :: v_dual_bitop2_b32 v13, 7, v12 bitop3:0x40
	s_mov_b32 s45, exec_lo
	v_cmpx_gt_u32_e32 8, v33
; %bb.85:                               ;   in Loop: Header=BB235_12 Depth=1
	s_delay_alu instid0(VALU_DEP_2) | instskip(NEXT) | instid1(VALU_DEP_1)
	v_clz_i32_u32_e32 v13, v13
	v_min_u32_e32 v13, 32, v13
	s_delay_alu instid0(VALU_DEP_1) | instskip(NEXT) | instid1(VALU_DEP_1)
	v_subrev_nc_u32_e32 v32, 28, v13
	v_lshlrev_b64_e32 v[34:35], v32, v[12:13]
	s_delay_alu instid0(VALU_DEP_1)
	v_dual_sub_nc_u32 v32, 29, v13 :: v_dual_bitop2_b32 v13, 7, v34 bitop3:0x40
; %bb.86:                               ;   in Loop: Header=BB235_12 Depth=1
	s_or_b32 exec_lo, exec_lo, s45
	s_delay_alu instid0(VALU_DEP_1) | instskip(NEXT) | instid1(VALU_DEP_2)
	v_dual_lshlrev_b32 v33, 8, v12 :: v_dual_lshlrev_b32 v13, 7, v13
	v_lshl_add_u32 v32, v32, 10, 0x2000
	s_delay_alu instid0(VALU_DEP_2) | instskip(NEXT) | instid1(VALU_DEP_2)
	v_and_b32_e32 v33, 0x8000, v33
	v_and_b32_e32 v32, 0xfc00, v32
	s_delay_alu instid0(VALU_DEP_1)
	v_or3_b32 v32, v33, v32, v13
.LBB235_87:                             ;   in Loop: Header=BB235_12 Depth=1
	s_or_b32 exec_lo, exec_lo, s44
.LBB235_88:                             ;   in Loop: Header=BB235_12 Depth=1
	s_delay_alu instid0(SALU_CYCLE_1)
	s_or_b32 exec_lo, exec_lo, s43
.LBB235_89:                             ;   in Loop: Header=BB235_12 Depth=1
	s_delay_alu instid0(SALU_CYCLE_1) | instskip(NEXT) | instid1(VALU_DEP_2)
	s_or_b32 exec_lo, exec_lo, s42
	v_lshrrev_b16 v12, 8, v12
	s_mov_b32 s42, exec_lo
	s_delay_alu instid0(VALU_DEP_1)
	v_cmpx_ne_u16_e32 0, v12
	s_cbranch_execz .LBB235_97
; %bb.90:                               ;   in Loop: Header=BB235_12 Depth=1
	v_bfrev_b32_e32 v31, 1
	s_mov_b32 s43, exec_lo
	v_cmpx_ne_u16_e32 0x80, v12
	s_cbranch_execz .LBB235_96
; %bb.91:                               ;   in Loop: Header=BB235_12 Depth=1
	v_and_b32_e32 v33, 0xffff, v12
	v_mov_b32_e32 v31, 0x7c010000
	s_mov_b32 s44, exec_lo
	s_delay_alu instid0(VALU_DEP_2) | instskip(NEXT) | instid1(VALU_DEP_1)
	v_and_b32_e32 v34, 0x7f, v33
	v_cmpx_ne_u32_e32 0x7f, v34
	s_cbranch_execz .LBB235_95
; %bb.92:                               ;   in Loop: Header=BB235_12 Depth=1
	v_dual_lshrrev_b32 v31, 3, v34 :: v_dual_bitop2_b32 v13, 7, v33 bitop3:0x40
	s_mov_b32 s45, exec_lo
	v_cmpx_gt_u32_e32 8, v34
	s_cbranch_execz .LBB235_94
; %bb.93:                               ;   in Loop: Header=BB235_12 Depth=1
	s_delay_alu instid0(VALU_DEP_2) | instskip(NEXT) | instid1(VALU_DEP_1)
	v_clz_i32_u32_e32 v13, v13
	v_min_u32_e32 v31, 32, v13
	v_mov_b32_e32 v13, v5
	s_delay_alu instid0(VALU_DEP_2) | instskip(SKIP_1) | instid1(VALU_DEP_2)
	v_subrev_nc_u32_e32 v34, 28, v31
	v_sub_nc_u32_e32 v31, 29, v31
	v_lshlrev_b64_e32 v[12:13], v34, v[12:13]
	s_delay_alu instid0(VALU_DEP_1)
	v_and_b32_e32 v13, 7, v12
.LBB235_94:                             ;   in Loop: Header=BB235_12 Depth=1
	s_or_b32 exec_lo, exec_lo, s45
	v_lshlrev_b32_e32 v12, 8, v33
	v_lshl_add_u32 v31, v31, 10, 0x2000
	s_delay_alu instid0(VALU_DEP_3) | instskip(NEXT) | instid1(VALU_DEP_2)
	v_lshlrev_b32_e32 v13, 23, v13
	v_and_or_b32 v12, 0x8000, v12, v31
	s_delay_alu instid0(VALU_DEP_1)
	v_lshl_or_b32 v31, v12, 16, v13
.LBB235_95:                             ;   in Loop: Header=BB235_12 Depth=1
	s_or_b32 exec_lo, exec_lo, s44
.LBB235_96:                             ;   in Loop: Header=BB235_12 Depth=1
	s_delay_alu instid0(SALU_CYCLE_1)
	s_or_b32 exec_lo, exec_lo, s43
.LBB235_97:                             ;   in Loop: Header=BB235_12 Depth=1
	s_delay_alu instid0(SALU_CYCLE_1)
	s_or_b32 exec_lo, exec_lo, s42
	global_load_u16 v12, v[10:11], off offset:264
	v_dual_mov_b32 v33, 0 :: v_dual_mov_b32 v34, 0
	s_mov_b32 s42, exec_lo
	s_wait_loadcnt 0x0
	v_and_b32_e32 v13, 0xff, v12
	v_and_b32_e32 v12, 0xffff, v12
	s_delay_alu instid0(VALU_DEP_2)
	v_cmpx_ne_u16_e32 0, v13
	s_cbranch_execz .LBB235_105
; %bb.98:                               ;   in Loop: Header=BB235_12 Depth=1
	s_delay_alu instid0(VALU_DEP_2) | instskip(SKIP_2) | instid1(VALU_DEP_2)
	v_and_b32_e32 v13, 0xff, v12
	v_mov_b32_e32 v34, 0x8000
	s_mov_b32 s43, exec_lo
	v_cmpx_ne_u16_e32 0x80, v13
	s_cbranch_execz .LBB235_104
; %bb.99:                               ;   in Loop: Header=BB235_12 Depth=1
	v_and_b32_e32 v35, 0x7f, v12
	v_mov_b32_e32 v34, 0x7c01
	s_mov_b32 s44, exec_lo
	s_delay_alu instid0(VALU_DEP_2)
	v_cmpx_ne_u32_e32 0x7f, v35
	s_cbranch_execz .LBB235_103
; %bb.100:                              ;   in Loop: Header=BB235_12 Depth=1
	v_dual_lshrrev_b32 v34, 3, v35 :: v_dual_bitop2_b32 v13, 7, v12 bitop3:0x40
	s_mov_b32 s45, exec_lo
	v_cmpx_gt_u32_e32 8, v35
; %bb.101:                              ;   in Loop: Header=BB235_12 Depth=1
	s_delay_alu instid0(VALU_DEP_2) | instskip(NEXT) | instid1(VALU_DEP_1)
	v_clz_i32_u32_e32 v13, v13
	v_min_u32_e32 v13, 32, v13
	s_delay_alu instid0(VALU_DEP_1) | instskip(NEXT) | instid1(VALU_DEP_1)
	v_subrev_nc_u32_e32 v34, 28, v13
	v_lshlrev_b64_e32 v[36:37], v34, v[12:13]
	s_delay_alu instid0(VALU_DEP_1)
	v_dual_sub_nc_u32 v34, 29, v13 :: v_dual_bitop2_b32 v13, 7, v36 bitop3:0x40
; %bb.102:                              ;   in Loop: Header=BB235_12 Depth=1
	s_or_b32 exec_lo, exec_lo, s45
	s_delay_alu instid0(VALU_DEP_1) | instskip(NEXT) | instid1(VALU_DEP_2)
	v_dual_lshlrev_b32 v35, 8, v12 :: v_dual_lshlrev_b32 v13, 7, v13
	v_lshl_add_u32 v34, v34, 10, 0x2000
	s_delay_alu instid0(VALU_DEP_2) | instskip(NEXT) | instid1(VALU_DEP_2)
	v_and_b32_e32 v35, 0x8000, v35
	v_and_b32_e32 v34, 0xfc00, v34
	s_delay_alu instid0(VALU_DEP_1)
	v_or3_b32 v34, v35, v34, v13
.LBB235_103:                            ;   in Loop: Header=BB235_12 Depth=1
	s_or_b32 exec_lo, exec_lo, s44
.LBB235_104:                            ;   in Loop: Header=BB235_12 Depth=1
	s_delay_alu instid0(SALU_CYCLE_1)
	s_or_b32 exec_lo, exec_lo, s43
.LBB235_105:                            ;   in Loop: Header=BB235_12 Depth=1
	s_delay_alu instid0(SALU_CYCLE_1) | instskip(NEXT) | instid1(VALU_DEP_2)
	s_or_b32 exec_lo, exec_lo, s42
	v_lshrrev_b16 v12, 8, v12
	s_mov_b32 s42, exec_lo
	s_delay_alu instid0(VALU_DEP_1)
	v_cmpx_ne_u16_e32 0, v12
	s_cbranch_execz .LBB235_113
; %bb.106:                              ;   in Loop: Header=BB235_12 Depth=1
	v_bfrev_b32_e32 v33, 1
	s_mov_b32 s43, exec_lo
	v_cmpx_ne_u16_e32 0x80, v12
	s_cbranch_execz .LBB235_112
; %bb.107:                              ;   in Loop: Header=BB235_12 Depth=1
	v_and_b32_e32 v35, 0xffff, v12
	v_mov_b32_e32 v33, 0x7c010000
	s_mov_b32 s44, exec_lo
	s_delay_alu instid0(VALU_DEP_2) | instskip(NEXT) | instid1(VALU_DEP_1)
	v_and_b32_e32 v36, 0x7f, v35
	v_cmpx_ne_u32_e32 0x7f, v36
	s_cbranch_execz .LBB235_111
; %bb.108:                              ;   in Loop: Header=BB235_12 Depth=1
	v_dual_lshrrev_b32 v33, 3, v36 :: v_dual_bitop2_b32 v13, 7, v35 bitop3:0x40
	s_mov_b32 s45, exec_lo
	v_cmpx_gt_u32_e32 8, v36
	s_cbranch_execz .LBB235_110
; %bb.109:                              ;   in Loop: Header=BB235_12 Depth=1
	s_delay_alu instid0(VALU_DEP_2) | instskip(NEXT) | instid1(VALU_DEP_1)
	v_clz_i32_u32_e32 v13, v13
	v_min_u32_e32 v33, 32, v13
	v_mov_b32_e32 v13, v5
	s_delay_alu instid0(VALU_DEP_2) | instskip(SKIP_1) | instid1(VALU_DEP_2)
	v_subrev_nc_u32_e32 v36, 28, v33
	v_sub_nc_u32_e32 v33, 29, v33
	v_lshlrev_b64_e32 v[12:13], v36, v[12:13]
	s_delay_alu instid0(VALU_DEP_1)
	v_and_b32_e32 v13, 7, v12
.LBB235_110:                            ;   in Loop: Header=BB235_12 Depth=1
	s_or_b32 exec_lo, exec_lo, s45
	s_delay_alu instid0(VALU_DEP_1) | instskip(SKIP_1) | instid1(VALU_DEP_1)
	v_dual_lshlrev_b32 v12, 8, v35 :: v_dual_lshlrev_b32 v13, 23, v13
	v_lshl_add_u32 v33, v33, 10, 0x2000
	v_and_or_b32 v12, 0x8000, v12, v33
	s_delay_alu instid0(VALU_DEP_1)
	v_lshl_or_b32 v33, v12, 16, v13
.LBB235_111:                            ;   in Loop: Header=BB235_12 Depth=1
	s_or_b32 exec_lo, exec_lo, s44
.LBB235_112:                            ;   in Loop: Header=BB235_12 Depth=1
	s_delay_alu instid0(SALU_CYCLE_1)
	s_or_b32 exec_lo, exec_lo, s43
.LBB235_113:                            ;   in Loop: Header=BB235_12 Depth=1
	s_delay_alu instid0(SALU_CYCLE_1)
	s_or_b32 exec_lo, exec_lo, s42
	global_load_u16 v12, v[10:11], off offset:384
	v_mov_b32_e32 v13, 0
	s_wait_loadcnt 0x0
	v_and_b32_e32 v35, 0xff, v12
	v_and_b32_e32 v12, 0xffff, v12
	s_delay_alu instid0(VALU_DEP_2)
	v_cmp_ne_u16_e64 s5, 0, v35
	v_mov_b32_e32 v35, 0
	s_and_saveexec_b32 s42, s5
	s_cbranch_execz .LBB235_121
; %bb.114:                              ;   in Loop: Header=BB235_12 Depth=1
	v_and_b32_e32 v35, 0xff, v12
	s_delay_alu instid0(VALU_DEP_1)
	v_cmp_ne_u16_e64 s5, 0x80, v35
	v_mov_b32_e32 v35, 0x8000
	s_and_saveexec_b32 s43, s5
	s_cbranch_execz .LBB235_120
; %bb.115:                              ;   in Loop: Header=BB235_12 Depth=1
	v_and_b32_e32 v37, 0x7f, v12
	v_mov_b32_e32 v35, 0x7c01
	s_mov_b32 s44, exec_lo
	s_delay_alu instid0(VALU_DEP_2)
	v_cmpx_ne_u32_e32 0x7f, v37
	s_cbranch_execz .LBB235_119
; %bb.116:                              ;   in Loop: Header=BB235_12 Depth=1
	v_dual_lshrrev_b32 v36, 3, v37 :: v_dual_bitop2_b32 v35, 7, v12 bitop3:0x40
	s_mov_b32 s45, exec_lo
	v_cmpx_gt_u32_e32 8, v37
; %bb.117:                              ;   in Loop: Header=BB235_12 Depth=1
	s_delay_alu instid0(VALU_DEP_2) | instskip(NEXT) | instid1(VALU_DEP_1)
	v_clz_i32_u32_e32 v35, v35
	v_min_u32_e32 v35, 32, v35
	s_delay_alu instid0(VALU_DEP_1) | instskip(NEXT) | instid1(VALU_DEP_1)
	v_subrev_nc_u32_e32 v36, 28, v35
	v_lshlrev_b64_e32 v[38:39], v36, v[12:13]
	s_delay_alu instid0(VALU_DEP_1)
	v_dual_sub_nc_u32 v36, 29, v35 :: v_dual_bitop2_b32 v35, 7, v38 bitop3:0x40
; %bb.118:                              ;   in Loop: Header=BB235_12 Depth=1
	s_or_b32 exec_lo, exec_lo, s45
	s_delay_alu instid0(VALU_DEP_1) | instskip(NEXT) | instid1(VALU_DEP_2)
	v_dual_lshlrev_b32 v37, 8, v12 :: v_dual_lshlrev_b32 v35, 7, v35
	v_lshl_add_u32 v36, v36, 10, 0x2000
	s_delay_alu instid0(VALU_DEP_2) | instskip(NEXT) | instid1(VALU_DEP_2)
	v_and_b32_e32 v37, 0x8000, v37
	v_and_b32_e32 v36, 0xfc00, v36
	s_delay_alu instid0(VALU_DEP_1)
	v_or3_b32 v35, v37, v36, v35
.LBB235_119:                            ;   in Loop: Header=BB235_12 Depth=1
	s_or_b32 exec_lo, exec_lo, s44
.LBB235_120:                            ;   in Loop: Header=BB235_12 Depth=1
	s_delay_alu instid0(SALU_CYCLE_1)
	s_or_b32 exec_lo, exec_lo, s43
.LBB235_121:                            ;   in Loop: Header=BB235_12 Depth=1
	s_delay_alu instid0(SALU_CYCLE_1) | instskip(SKIP_2) | instid1(VALU_DEP_1)
	s_or_b32 exec_lo, exec_lo, s42
	v_lshrrev_b16 v12, 8, v12
	s_mov_b32 s42, exec_lo
	v_cmpx_ne_u16_e32 0, v12
	s_cbranch_execz .LBB235_129
; %bb.122:                              ;   in Loop: Header=BB235_12 Depth=1
	v_bfrev_b32_e32 v13, 1
	s_mov_b32 s43, exec_lo
	v_cmpx_ne_u16_e32 0x80, v12
	s_cbranch_execz .LBB235_128
; %bb.123:                              ;   in Loop: Header=BB235_12 Depth=1
	v_and_b32_e32 v36, 0xffff, v12
	v_mov_b32_e32 v13, 0x7c010000
	s_mov_b32 s44, exec_lo
	s_delay_alu instid0(VALU_DEP_2) | instskip(NEXT) | instid1(VALU_DEP_1)
	v_and_b32_e32 v38, 0x7f, v36
	v_cmpx_ne_u32_e32 0x7f, v38
	s_cbranch_execz .LBB235_127
; %bb.124:                              ;   in Loop: Header=BB235_12 Depth=1
	v_dual_lshrrev_b32 v37, 3, v38 :: v_dual_bitop2_b32 v13, 7, v36 bitop3:0x40
	s_mov_b32 s45, exec_lo
	v_cmpx_gt_u32_e32 8, v38
	s_cbranch_execz .LBB235_126
; %bb.125:                              ;   in Loop: Header=BB235_12 Depth=1
	s_delay_alu instid0(VALU_DEP_2) | instskip(NEXT) | instid1(VALU_DEP_1)
	v_clz_i32_u32_e32 v13, v13
	v_min_u32_e32 v37, 32, v13
	v_mov_b32_e32 v13, v5
	s_delay_alu instid0(VALU_DEP_2) | instskip(SKIP_1) | instid1(VALU_DEP_2)
	v_subrev_nc_u32_e32 v38, 28, v37
	v_sub_nc_u32_e32 v37, 29, v37
	v_lshlrev_b64_e32 v[12:13], v38, v[12:13]
	s_delay_alu instid0(VALU_DEP_1)
	v_and_b32_e32 v13, 7, v12
.LBB235_126:                            ;   in Loop: Header=BB235_12 Depth=1
	s_or_b32 exec_lo, exec_lo, s45
	s_delay_alu instid0(VALU_DEP_1) | instskip(SKIP_1) | instid1(VALU_DEP_1)
	v_dual_lshlrev_b32 v12, 8, v36 :: v_dual_lshlrev_b32 v13, 23, v13
	v_lshl_add_u32 v36, v37, 10, 0x2000
	v_and_or_b32 v12, 0x8000, v12, v36
	s_delay_alu instid0(VALU_DEP_1)
	v_lshl_or_b32 v13, v12, 16, v13
.LBB235_127:                            ;   in Loop: Header=BB235_12 Depth=1
	s_or_b32 exec_lo, exec_lo, s44
.LBB235_128:                            ;   in Loop: Header=BB235_12 Depth=1
	s_delay_alu instid0(SALU_CYCLE_1)
	s_or_b32 exec_lo, exec_lo, s43
.LBB235_129:                            ;   in Loop: Header=BB235_12 Depth=1
	s_delay_alu instid0(SALU_CYCLE_1)
	s_or_b32 exec_lo, exec_lo, s42
	global_load_u16 v10, v[10:11], off offset:392
	s_wait_xcnt 0x0
	v_mov_b32_e32 v11, 0
	s_wait_loadcnt 0x0
	v_and_b32_e32 v12, 0xff, v10
	v_and_b32_e32 v10, 0xffff, v10
	s_delay_alu instid0(VALU_DEP_2)
	v_cmp_ne_u16_e64 s5, 0, v12
	v_mov_b32_e32 v12, 0
	s_and_saveexec_b32 s42, s5
	s_cbranch_execz .LBB235_137
; %bb.130:                              ;   in Loop: Header=BB235_12 Depth=1
	v_and_b32_e32 v12, 0xff, v10
	s_delay_alu instid0(VALU_DEP_1)
	v_cmp_ne_u16_e64 s5, 0x80, v12
	v_mov_b32_e32 v12, 0x8000
	s_and_saveexec_b32 s43, s5
	s_cbranch_execz .LBB235_136
; %bb.131:                              ;   in Loop: Header=BB235_12 Depth=1
	v_and_b32_e32 v37, 0x7f, v10
	v_mov_b32_e32 v12, 0x7c01
	s_mov_b32 s44, exec_lo
	s_delay_alu instid0(VALU_DEP_2)
	v_cmpx_ne_u32_e32 0x7f, v37
	s_cbranch_execz .LBB235_135
; %bb.132:                              ;   in Loop: Header=BB235_12 Depth=1
	v_dual_lshrrev_b32 v36, 3, v37 :: v_dual_bitop2_b32 v12, 7, v10 bitop3:0x40
	s_mov_b32 s45, exec_lo
	v_cmpx_gt_u32_e32 8, v37
; %bb.133:                              ;   in Loop: Header=BB235_12 Depth=1
	s_delay_alu instid0(VALU_DEP_2) | instskip(NEXT) | instid1(VALU_DEP_1)
	v_clz_i32_u32_e32 v12, v12
	v_min_u32_e32 v12, 32, v12
	s_delay_alu instid0(VALU_DEP_1) | instskip(NEXT) | instid1(VALU_DEP_1)
	v_subrev_nc_u32_e32 v36, 28, v12
	v_lshlrev_b64_e32 v[38:39], v36, v[10:11]
	s_delay_alu instid0(VALU_DEP_1)
	v_dual_sub_nc_u32 v36, 29, v12 :: v_dual_bitop2_b32 v12, 7, v38 bitop3:0x40
; %bb.134:                              ;   in Loop: Header=BB235_12 Depth=1
	s_or_b32 exec_lo, exec_lo, s45
	s_delay_alu instid0(VALU_DEP_1) | instskip(NEXT) | instid1(VALU_DEP_2)
	v_dual_lshlrev_b32 v37, 8, v10 :: v_dual_lshlrev_b32 v12, 7, v12
	v_lshl_add_u32 v36, v36, 10, 0x2000
	s_delay_alu instid0(VALU_DEP_2) | instskip(NEXT) | instid1(VALU_DEP_2)
	v_and_b32_e32 v37, 0x8000, v37
	v_and_b32_e32 v36, 0xfc00, v36
	s_delay_alu instid0(VALU_DEP_1)
	v_or3_b32 v12, v37, v36, v12
.LBB235_135:                            ;   in Loop: Header=BB235_12 Depth=1
	s_or_b32 exec_lo, exec_lo, s44
.LBB235_136:                            ;   in Loop: Header=BB235_12 Depth=1
	s_delay_alu instid0(SALU_CYCLE_1)
	s_or_b32 exec_lo, exec_lo, s43
.LBB235_137:                            ;   in Loop: Header=BB235_12 Depth=1
	s_delay_alu instid0(SALU_CYCLE_1) | instskip(SKIP_2) | instid1(VALU_DEP_1)
	s_or_b32 exec_lo, exec_lo, s42
	v_lshrrev_b16 v10, 8, v10
	s_mov_b32 s42, exec_lo
	v_cmpx_ne_u16_e32 0, v10
	s_cbranch_execz .LBB235_145
; %bb.138:                              ;   in Loop: Header=BB235_12 Depth=1
	v_bfrev_b32_e32 v11, 1
	s_mov_b32 s43, exec_lo
	v_cmpx_ne_u16_e32 0x80, v10
	s_cbranch_execz .LBB235_144
; %bb.139:                              ;   in Loop: Header=BB235_12 Depth=1
	v_and_b32_e32 v36, 0xffff, v10
	v_mov_b32_e32 v11, 0x7c010000
	s_mov_b32 s44, exec_lo
	s_delay_alu instid0(VALU_DEP_2) | instskip(NEXT) | instid1(VALU_DEP_1)
	v_and_b32_e32 v38, 0x7f, v36
	v_cmpx_ne_u32_e32 0x7f, v38
	s_cbranch_execz .LBB235_143
; %bb.140:                              ;   in Loop: Header=BB235_12 Depth=1
	v_dual_lshrrev_b32 v37, 3, v38 :: v_dual_bitop2_b32 v11, 7, v36 bitop3:0x40
	s_mov_b32 s45, exec_lo
	v_cmpx_gt_u32_e32 8, v38
	s_cbranch_execz .LBB235_142
; %bb.141:                              ;   in Loop: Header=BB235_12 Depth=1
	s_delay_alu instid0(VALU_DEP_2) | instskip(NEXT) | instid1(VALU_DEP_1)
	v_clz_i32_u32_e32 v11, v11
	v_min_u32_e32 v37, 32, v11
	v_mov_b32_e32 v11, v5
	s_delay_alu instid0(VALU_DEP_2) | instskip(SKIP_1) | instid1(VALU_DEP_2)
	v_subrev_nc_u32_e32 v38, 28, v37
	v_sub_nc_u32_e32 v37, 29, v37
	v_lshlrev_b64_e32 v[10:11], v38, v[10:11]
	s_delay_alu instid0(VALU_DEP_1)
	v_and_b32_e32 v11, 7, v10
.LBB235_142:                            ;   in Loop: Header=BB235_12 Depth=1
	s_or_b32 exec_lo, exec_lo, s45
	s_delay_alu instid0(VALU_DEP_1) | instskip(SKIP_1) | instid1(VALU_DEP_1)
	v_dual_lshlrev_b32 v10, 8, v36 :: v_dual_lshlrev_b32 v11, 23, v11
	v_lshl_add_u32 v36, v37, 10, 0x2000
	v_and_or_b32 v10, 0x8000, v10, v36
	s_delay_alu instid0(VALU_DEP_1)
	v_lshl_or_b32 v11, v10, 16, v11
.LBB235_143:                            ;   in Loop: Header=BB235_12 Depth=1
	s_or_b32 exec_lo, exec_lo, s44
.LBB235_144:                            ;   in Loop: Header=BB235_12 Depth=1
	s_delay_alu instid0(SALU_CYCLE_1)
	s_or_b32 exec_lo, exec_lo, s43
.LBB235_145:                            ;   in Loop: Header=BB235_12 Depth=1
	s_delay_alu instid0(SALU_CYCLE_1)
	s_or_b32 exec_lo, exec_lo, s42
	ds_load_b32 v10, v15
	v_or_b32_e32 v24, v22, v24
	v_fma_mixlo_f16 v22, v21, v22, 0 op_sel:[0,1,0] op_sel_hi:[0,1,0]
	v_or_b32_e32 v12, v11, v12
	v_fma_mixlo_f16 v11, v21, v11, 0 op_sel:[0,1,0] op_sel_hi:[0,1,0]
	s_delay_alu instid0(VALU_DEP_3) | instskip(NEXT) | instid1(VALU_DEP_3)
	v_and_b32_e32 v22, 0xffff, v22
	v_fma_mixlo_f16 v12, v21, v12, 0 op_sel_hi:[0,1,0]
	s_delay_alu instid0(VALU_DEP_1)
	v_and_b32_e32 v12, 0xffff, v12
	s_wait_dscnt 0x0
	v_and_b32_e32 v36, 0xffff, v10
	v_lshrrev_b32_e32 v10, 16, v10
	v_fma_mixlo_f16 v24, v21, v24, 0 op_sel_hi:[0,1,0]
	;;#ASMSTART
	v_cvt_f32_f16 v36, v36;
	;;#ASMEND
	;;#ASMSTART
	v_cvt_f32_f16 v37, v10;
	;;#ASMEND
	s_delay_alu instid0(VALU_DEP_1)
	v_and_b32_e32 v24, 0xffff, v24
	;;#ASMSTART
	v_cvt_f32_f16 v38, v24;
	;;#ASMEND
	;;#ASMSTART
	v_cvt_f32_f16 v39, v22;
	;;#ASMEND
	ds_load_b32 v10, v15 offset:4
	v_or_b32_e32 v22, v25, v26
	v_fma_mixlo_f16 v24, v21, v25, 0 op_sel:[0,1,0] op_sel_hi:[0,1,0]
	s_delay_alu instid0(VALU_DEP_2) | instskip(NEXT) | instid1(VALU_DEP_2)
	v_fma_mixlo_f16 v22, v21, v22, 0 op_sel_hi:[0,1,0]
	v_and_b32_e32 v24, 0xffff, v24
	s_delay_alu instid0(VALU_DEP_2)
	v_and_b32_e32 v22, 0xffff, v22
	s_wait_dscnt 0x0
	v_and_b32_e32 v25, 0xffff, v10
	v_lshrrev_b32_e32 v10, 16, v10
	;;#ASMSTART
	v_cvt_f32_f16 v25, v25;
	;;#ASMEND
	;;#ASMSTART
	v_cvt_f32_f16 v26, v10;
	;;#ASMEND
	;;#ASMSTART
	v_cvt_f32_f16 v40, v22;
	;;#ASMEND
	;;#ASMSTART
	v_cvt_f32_f16 v41, v24;
	;;#ASMEND
	ds_load_b32 v10, v15 offset:8
	v_or_b32_e32 v22, v27, v28
	v_fma_mixlo_f16 v24, v21, v27, 0 op_sel:[0,1,0] op_sel_hi:[0,1,0]
	s_delay_alu instid0(VALU_DEP_2) | instskip(NEXT) | instid1(VALU_DEP_2)
	v_fma_mixlo_f16 v22, v21, v22, 0 op_sel_hi:[0,1,0]
	v_and_b32_e32 v24, 0xffff, v24
	s_delay_alu instid0(VALU_DEP_2)
	v_and_b32_e32 v22, 0xffff, v22
	s_wait_dscnt 0x0
	v_and_b32_e32 v27, 0xffff, v10
	v_lshrrev_b32_e32 v10, 16, v10
	;;#ASMSTART
	v_cvt_f32_f16 v27, v27;
	;;#ASMEND
	;;#ASMSTART
	v_cvt_f32_f16 v28, v10;
	;;#ASMEND
	;; [unrolled: 23-line block ×5, first 2 shown]
	;;#ASMSTART
	v_cvt_f32_f16 v48, v22;
	;;#ASMEND
	;;#ASMSTART
	v_cvt_f32_f16 v49, v24;
	;;#ASMEND
	ds_load_b32 v10, v15 offset:24
	v_or_b32_e32 v22, v13, v35
	v_fma_mixlo_f16 v13, v21, v13, 0 op_sel:[0,1,0] op_sel_hi:[0,1,0]
	v_mul_f32_e32 v24, v26, v41
	s_delay_alu instid0(VALU_DEP_3) | instskip(NEXT) | instid1(VALU_DEP_3)
	v_fma_mixlo_f16 v22, v21, v22, 0 op_sel_hi:[0,1,0]
	v_and_b32_e32 v35, 0xffff, v13
	v_mul_f32_e32 v13, v25, v40
	s_delay_alu instid0(VALU_DEP_4) | instskip(SKIP_2) | instid1(VALU_DEP_3)
	v_fmac_f32_e32 v24, v37, v39
	v_and_b32_e32 v21, 0xffff, v11
	v_and_b32_e32 v22, 0xffff, v22
	v_fmac_f32_e32 v24, v28, v43
	s_delay_alu instid0(VALU_DEP_1) | instskip(NEXT) | instid1(VALU_DEP_1)
	v_dual_fmac_f32 v13, v36, v38 :: v_dual_fmac_f32 v24, v30, v45
	v_fmac_f32_e32 v13, v27, v42
	s_wait_dscnt 0x0
	v_and_b32_e32 v25, 0xffff, v10
	v_lshrrev_b32_e32 v10, 16, v10
	;;#ASMSTART
	v_cvt_f32_f16 v25, v25;
	;;#ASMEND
	v_dual_fmac_f32 v24, v32, v47 :: v_dual_fmac_f32 v13, v29, v44
	;;#ASMSTART
	v_cvt_f32_f16 v26, v10;
	;;#ASMEND
	;;#ASMSTART
	v_cvt_f32_f16 v36, v22;
	;;#ASMEND
	;; [unrolled: 3-line block ×3, first 2 shown]
	ds_load_b32 v10, v15 offset:28
	v_dual_fmac_f32 v13, v31, v46 :: v_dual_bitop2_b32 v22, 2, v3 bitop3:0x14
	v_fmac_f32_e32 v24, v34, v49
	s_delay_alu instid0(VALU_DEP_2) | instskip(NEXT) | instid1(VALU_DEP_1)
	v_cmp_gt_i32_e64 s5, 32, v22
	v_dual_fmac_f32 v13, v33, v48 :: v_dual_cndmask_b32 v11, v3, v22, s5
	s_wait_dscnt 0x0
	v_and_b32_e32 v22, 0xffff, v10
	s_delay_alu instid0(VALU_DEP_2)
	v_dual_fmac_f32 v13, v25, v36 :: v_dual_lshrrev_b32 v10, 16, v10
	v_fmac_f32_e32 v24, v26, v35
	;;#ASMSTART
	v_cvt_f32_f16 v22, v22;
	;;#ASMEND
	;;#ASMSTART
	v_cvt_f32_f16 v10, v10;
	;;#ASMEND
	;; [unrolled: 3-line block ×4, first 2 shown]
	v_fmac_f32_e32 v13, v22, v12
	v_dual_fmac_f32 v24, v10, v21 :: v_dual_bitop2_b32 v12, 1, v3 bitop3:0x14
	s_delay_alu instid0(VALU_DEP_1) | instskip(NEXT) | instid1(VALU_DEP_2)
	v_dual_add_f32 v11, v13, v24 :: v_dual_lshlrev_b32 v10, 2, v11
	v_cmp_gt_i32_e64 s5, 32, v12
	ds_bpermute_b32 v10, v10, v11
	v_cndmask_b32_e64 v12, v3, v12, s5
	s_wait_dscnt 0x0
	s_delay_alu instid0(VALU_DEP_1)
	v_dual_add_f32 v10, v11, v10 :: v_dual_lshlrev_b32 v11, 2, v12
	ds_bpermute_b32 v11, v11, v10
	s_and_saveexec_b32 s42, s4
	s_cbranch_execz .LBB235_10
; %bb.146:                              ;   in Loop: Header=BB235_12 Depth=1
	s_wait_dscnt 0x0
	v_dual_add_nc_u32 v12, v17, v4 :: v_dual_add_f32 v10, v10, v11
	s_delay_alu instid0(VALU_DEP_1) | instskip(NEXT) | instid1(VALU_DEP_1)
	v_cvt_f32_i32_e32 v12, v12
	v_mul_f32_e32 v12, s37, v12
	s_delay_alu instid0(VALU_DEP_1) | instskip(NEXT) | instid1(VALU_DEP_1)
	v_cndmask_b32_e32 v11, 0, v12, vcc_lo
	v_dual_fmac_f32 v11, s7, v10 :: v_dual_add_nc_u32 v10, v14, v4
	s_delay_alu instid0(VALU_DEP_1) | instskip(NEXT) | instid1(VALU_DEP_1)
	v_cmp_gt_i32_e64 s5, s34, v10
	v_dual_max_num_f32 v12, v16, v16 :: v_dual_cndmask_b32 v10, 0, v11, s5
	s_delay_alu instid0(VALU_DEP_1)
	v_max_num_f32_e32 v12, v12, v11
	ds_store_b32 v18, v10
	v_cndmask_b32_e64 v16, v16, v12, s5
	s_branch .LBB235_10
.LBB235_147:
	s_or_b32 exec_lo, exec_lo, s41
.LBB235_148:
	s_delay_alu instid0(SALU_CYCLE_1)
	s_or_b32 exec_lo, exec_lo, s38
	v_dual_max_num_f32 v7, v16, v16 :: v_dual_bitop2_b32 v4, 16, v3 bitop3:0x14
	s_clause 0x1
	s_load_b64 s[6:7], s[0:1], 0x0
	s_load_b64 s[8:9], s[0:1], 0x18
	v_and_b32_e32 v24, 31, v0
	v_xor_b32_e32 v6, 8, v3
	v_cmp_gt_i32_e32 vcc_lo, 32, v4
	v_cndmask_b32_e32 v4, v3, v4, vcc_lo
	s_delay_alu instid0(VALU_DEP_3) | instskip(NEXT) | instid1(VALU_DEP_2)
	v_cmp_gt_i32_e32 vcc_lo, 32, v6
	v_dual_lshlrev_b32 v4, 2, v4 :: v_dual_cndmask_b32 v6, v3, v6, vcc_lo
	ds_bpermute_b32 v5, v4, v16
	s_wait_dscnt 0x0
	v_dual_max_num_f32 v8, v5, v5 :: v_dual_lshlrev_b32 v5, 2, v6
	s_delay_alu instid0(VALU_DEP_1) | instskip(SKIP_4) | instid1(VALU_DEP_1)
	v_dual_max_num_f32 v6, v7, v8 :: v_dual_bitop2_b32 v8, 4, v3 bitop3:0x14
	ds_bpermute_b32 v7, v5, v6
	v_cmp_gt_i32_e32 vcc_lo, 32, v8
	v_cndmask_b32_e32 v8, v3, v8, vcc_lo
	s_wait_dscnt 0x0
	v_dual_max_num_f32 v7, v7, v7 :: v_dual_lshlrev_b32 v8, 2, v8
	s_delay_alu instid0(VALU_DEP_1)
	v_max_num_f32_e32 v7, v6, v7
	v_lshlrev_b32_e32 v6, 2, v23
	v_cmp_eq_u32_e32 vcc_lo, 0, v24
	ds_bpermute_b32 v9, v8, v7
	s_wait_xcnt 0x0
	s_and_saveexec_b32 s0, vcc_lo
	s_cbranch_execz .LBB235_150
; %bb.149:
	s_wait_dscnt 0x0
	v_dual_max_num_f32 v9, v9, v9 :: v_dual_max_num_f32 v7, v7, v7
	s_delay_alu instid0(VALU_DEP_1)
	v_max_num_f32_e32 v7, v7, v9
	ds_store_b32 v6, v7 offset:128
.LBB235_150:
	s_or_b32 exec_lo, exec_lo, s0
	v_cmp_gt_u32_e64 s0, 4, v24
	v_dual_mov_b32 v10, 0xff7fffff :: v_dual_lshlrev_b32 v7, 2, v24
	s_wait_dscnt 0x0
	s_barrier_signal -1
	s_barrier_wait -1
	s_and_saveexec_b32 s1, s0
; %bb.151:
	ds_load_b32 v10, v7 offset:128
; %bb.152:
	s_or_b32 exec_lo, exec_lo, s1
	v_xor_b32_e32 v9, 2, v3
	v_xor_b32_e32 v12, 1, v3
	s_delay_alu instid0(VALU_DEP_2) | instskip(NEXT) | instid1(VALU_DEP_1)
	v_cmp_gt_i32_e64 s1, 32, v9
	v_cndmask_b32_e64 v9, v3, v9, s1
	s_delay_alu instid0(VALU_DEP_3) | instskip(NEXT) | instid1(VALU_DEP_1)
	v_cmp_gt_i32_e64 s1, 32, v12
	v_dual_lshlrev_b32 v9, 2, v9 :: v_dual_cndmask_b32 v3, v3, v12, s1
	s_lshl_b32 s1, s35, 3
	s_delay_alu instid0(SALU_CYCLE_1)
	s_min_i32 s5, s1, s34
	s_wait_dscnt 0x0
	ds_bpermute_b32 v11, v9, v10
	v_max_num_f32_e32 v10, v10, v10
	v_cmp_gt_i32_e64 s1, s5, v0
	v_lshlrev_b32_e32 v3, 2, v3
	s_wait_dscnt 0x0
	v_max_num_f32_e32 v11, v11, v11
	s_delay_alu instid0(VALU_DEP_1) | instskip(SKIP_3) | instid1(VALU_DEP_1)
	v_max_num_f32_e32 v10, v10, v11
	ds_bpermute_b32 v11, v3, v10
	s_wait_dscnt 0x0
	v_max_num_f32_e32 v11, v11, v11
	v_dual_max_num_f32 v11, v10, v11 :: v_dual_mov_b32 v10, 0
	ds_bpermute_b32 v11, v10, v11
	s_and_saveexec_b32 s19, s1
	s_cbranch_execz .LBB235_156
; %bb.153:
	v_lshl_add_u32 v12, v0, 2, 0xa0
	v_dual_mov_b32 v10, 0 :: v_dual_mov_b32 v13, v0
	s_mov_b32 s28, 0
.LBB235_154:                            ; =>This Inner Loop Header: Depth=1
	ds_load_b32 v14, v12
	v_add_nc_u32_e32 v13, 0x80, v13
	s_delay_alu instid0(VALU_DEP_1) | instskip(SKIP_3) | instid1(VALU_DEP_1)
	v_cmp_le_i32_e64 s4, s5, v13
	s_or_b32 s28, s4, s28
	s_wait_dscnt 0x0
	v_sub_f32_e32 v14, v14, v11
	v_mul_f32_e32 v14, 0x3fb8aa3b, v14
	s_delay_alu instid0(VALU_DEP_1)
	v_exp_f32_e32 v14, v14
	ds_store_b32 v12, v14
	v_nop
	v_add_f32_e32 v10, v10, v14
	v_add_nc_u32_e32 v12, 0x200, v12
	s_and_not1_b32 exec_lo, exec_lo, s28
	s_cbranch_execnz .LBB235_154
; %bb.155:
	s_or_b32 exec_lo, exec_lo, s28
.LBB235_156:
	s_delay_alu instid0(SALU_CYCLE_1)
	s_or_b32 exec_lo, exec_lo, s19
	ds_bpermute_b32 v4, v4, v10
	s_wait_dscnt 0x0
	v_add_f32_e32 v4, v10, v4
	ds_bpermute_b32 v5, v5, v4
	s_wait_dscnt 0x0
	v_add_f32_e32 v4, v4, v5
	;; [unrolled: 3-line block ×5, first 2 shown]
	s_and_saveexec_b32 s4, vcc_lo
; %bb.157:
	ds_store_b32 v6, v4 offset:144
; %bb.158:
	s_or_b32 exec_lo, exec_lo, s4
	s_wait_dscnt 0x0
	s_barrier_signal -1
	s_barrier_wait -1
	s_and_saveexec_b32 s4, s0
; %bb.159:
	ds_load_b32 v4, v7 offset:144
; %bb.160:
	s_or_b32 exec_lo, exec_lo, s4
	s_wait_dscnt 0x0
	ds_bpermute_b32 v5, v9, v4
	s_wait_dscnt 0x0
	v_add_f32_e32 v4, v4, v5
	ds_bpermute_b32 v3, v3, v4
	s_wait_dscnt 0x0
	v_dual_add_f32 v3, v4, v3 :: v_dual_mov_b32 v4, 0
	ds_bpermute_b32 v3, v4, v3
	s_and_saveexec_b32 s0, s1
	s_cbranch_execz .LBB235_173
; %bb.161:
	s_wait_dscnt 0x0
	v_add_f32_e32 v3, 0x358637bd, v3
	s_mov_b32 s4, -1
	s_mov_b32 s1, exec_lo
	s_delay_alu instid0(VALU_DEP_1) | instskip(NEXT) | instid1(VALU_DEP_1)
	v_div_scale_f32 v4, null, v3, v3, 1.0
	v_rcp_f32_e32 v6, v4
	v_nop
	s_delay_alu instid0(TRANS32_DEP_1) | instskip(NEXT) | instid1(VALU_DEP_1)
	v_fma_f32 v5, -v4, v6, 1.0
	v_fmac_f32_e32 v6, v5, v6
	v_div_scale_f32 v7, vcc_lo, 1.0, v3, 1.0
	s_delay_alu instid0(VALU_DEP_1) | instskip(NEXT) | instid1(VALU_DEP_1)
	v_mul_f32_e32 v8, v7, v6
	v_fma_f32 v5, -v4, v8, v7
	s_delay_alu instid0(VALU_DEP_1) | instskip(SKIP_1) | instid1(VALU_DEP_2)
	v_fmac_f32_e32 v8, v5, v6
	v_xad_u32 v5, v0, -1, s5
	v_fma_f32 v4, -v4, v8, v7
	s_delay_alu instid0(VALU_DEP_1) | instskip(NEXT) | instid1(VALU_DEP_1)
	v_div_fmas_f32 v4, v4, v6, v8
	v_div_fixup_f32 v4, v4, v3, 1.0
	v_mov_b32_e32 v3, v0
	v_cmpx_lt_u32_e32 0x7f, v5
	s_cbranch_execz .LBB235_170
; %bb.162:
	s_delay_alu instid0(VALU_DEP_3) | instskip(NEXT) | instid1(VALU_DEP_1)
	v_dual_lshrrev_b32 v3, 7, v5 :: v_dual_mov_b32 v5, v4
	v_dual_mov_b32 v9, 0 :: v_dual_add_nc_u32 v6, -1, v3
	s_delay_alu instid0(VALU_DEP_1) | instskip(SKIP_1) | instid1(VALU_DEP_2)
	v_lshrrev_b32_e32 v7, 1, v6
	v_cmp_lt_u32_e32 vcc_lo, 13, v6
	v_add_nc_u32_e32 v6, 1, v7
	s_and_saveexec_b32 s4, vcc_lo
	s_cbranch_execz .LBB235_166
; %bb.163:
	s_delay_alu instid0(VALU_DEP_1)
	v_and_b32_e32 v7, -8, v6
	v_lshl_add_u32 v8, v0, 2, 0xa0
	s_mov_b32 s19, 0
	s_mov_b32 s28, 0
.LBB235_164:                            ; =>This Inner Loop Header: Depth=1
	ds_load_2addr_stride64_b32 v[10:11], v8 offset1:2
	ds_load_2addr_stride64_b32 v[12:13], v8 offset0:4 offset1:6
	ds_load_2addr_stride64_b32 v[14:15], v8 offset0:8 offset1:10
	;; [unrolled: 1-line block ×7, first 2 shown]
	s_add_co_i32 s28, s28, 16
	s_delay_alu instid0(SALU_CYCLE_1) | instskip(NEXT) | instid1(VALU_DEP_1)
	v_dual_add_nc_u32 v7, -8, v7 :: v_dual_mov_b32 v9, s28
	v_cmp_eq_u32_e32 vcc_lo, 0, v7
	s_or_b32 s19, vcc_lo, s19
	s_wait_dscnt 0x7
	v_pk_mul_f32 v[10:11], v[4:5], v[10:11]
	s_wait_dscnt 0x6
	v_pk_mul_f32 v[12:13], v[4:5], v[12:13]
	s_wait_dscnt 0x5
	v_pk_mul_f32 v[14:15], v[4:5], v[14:15]
	s_wait_dscnt 0x4
	v_pk_mul_f32 v[16:17], v[4:5], v[16:17]
	s_wait_dscnt 0x3
	v_pk_mul_f32 v[18:19], v[4:5], v[18:19]
	s_wait_dscnt 0x2
	v_pk_mul_f32 v[20:21], v[4:5], v[20:21]
	s_wait_dscnt 0x1
	v_pk_mul_f32 v[26:27], v[4:5], v[26:27]
	s_wait_dscnt 0x0
	v_pk_mul_f32 v[28:29], v[4:5], v[28:29]
	ds_store_2addr_stride64_b32 v8, v10, v11 offset1:2
	ds_store_2addr_stride64_b32 v8, v12, v13 offset0:4 offset1:6
	ds_store_2addr_stride64_b32 v8, v14, v15 offset0:8 offset1:10
	;; [unrolled: 1-line block ×7, first 2 shown]
	v_add_nc_u32_e32 v8, 0x2000, v8
	s_and_not1_b32 exec_lo, exec_lo, s19
	s_cbranch_execnz .LBB235_164
; %bb.165:
	s_or_b32 exec_lo, exec_lo, s19
.LBB235_166:
	s_delay_alu instid0(SALU_CYCLE_1) | instskip(NEXT) | instid1(VALU_DEP_1)
	s_or_b32 exec_lo, exec_lo, s4
	v_and_b32_e32 v6, 7, v6
	s_mov_b32 s19, 0
	s_mov_b32 s4, exec_lo
	s_delay_alu instid0(VALU_DEP_1)
	v_cmpx_ne_u32_e32 0, v6
	s_cbranch_execz .LBB235_169
; %bb.167:
	v_dual_lshlrev_b32 v7, 9, v9 :: v_dual_lshlrev_b32 v8, 2, v0
	s_delay_alu instid0(VALU_DEP_1)
	v_add3_u32 v7, v7, v8, 0xa0
.LBB235_168:                            ; =>This Inner Loop Header: Depth=1
	ds_load_2addr_stride64_b32 v[8:9], v7 offset1:2
	v_add_nc_u32_e32 v6, -1, v6
	s_delay_alu instid0(VALU_DEP_1)
	v_cmp_eq_u32_e32 vcc_lo, 0, v6
	s_or_b32 s19, vcc_lo, s19
	s_wait_dscnt 0x0
	v_pk_mul_f32 v[8:9], v[4:5], v[8:9]
	ds_store_2addr_stride64_b32 v7, v8, v9 offset1:2
	v_add_nc_u32_e32 v7, 0x400, v7
	s_and_not1_b32 exec_lo, exec_lo, s19
	s_cbranch_execnz .LBB235_168
.LBB235_169:
	s_or_b32 exec_lo, exec_lo, s4
	v_add_nc_u32_e32 v3, 1, v3
	s_delay_alu instid0(VALU_DEP_1) | instskip(NEXT) | instid1(VALU_DEP_1)
	v_and_b32_e32 v5, 0x3fffffe, v3
	v_cmp_ne_u32_e32 vcc_lo, v3, v5
	v_lshl_add_u32 v3, v5, 7, v0
	s_or_not1_b32 s4, vcc_lo, exec_lo
.LBB235_170:
	s_or_b32 exec_lo, exec_lo, s1
	s_delay_alu instid0(SALU_CYCLE_1)
	s_and_b32 exec_lo, exec_lo, s4
	s_cbranch_execz .LBB235_173
; %bb.171:
	v_lshl_add_u32 v5, v3, 2, 0xa0
	s_mov_b32 s1, 0
.LBB235_172:                            ; =>This Inner Loop Header: Depth=1
	ds_load_b32 v6, v5
	s_wait_dscnt 0x0
	v_dual_mul_f32 v6, v4, v6 :: v_dual_add_nc_u32 v3, 0x80, v3
	s_delay_alu instid0(VALU_DEP_1) | instskip(SKIP_3) | instid1(SALU_CYCLE_1)
	v_cmp_le_i32_e32 vcc_lo, s5, v3
	ds_store_b32 v5, v6
	v_add_nc_u32_e32 v5, 0x200, v5
	s_or_b32 s1, vcc_lo, s1
	s_and_not1_b32 exec_lo, exec_lo, s1
	s_cbranch_execnz .LBB235_172
.LBB235_173:
	s_or_b32 exec_lo, exec_lo, s0
	v_mov_b64_e32 v[4:5], 0
	s_wait_dscnt 0x0
	s_barrier_signal -1
	s_barrier_wait -1
	s_and_saveexec_b32 s1, s3
	s_cbranch_execz .LBB235_311
; %bb.174:
	s_abs_i32 s3, s14
	v_dual_mov_b32 v7, 0 :: v_dual_lshlrev_b32 v6, 3, v24
	s_cvt_f32_u32 s0, s3
	s_ashr_i32 s19, s18, 31
	s_lshl_b64 s[26:27], s[26:27], 2
	s_wait_kmcnt 0x0
	s_add_nc_u64 s[8:9], s[8:9], s[18:19]
	v_rcp_iflag_f32_e32 v3, s0
	v_add_nc_u64_e32 v[8:9], s[8:9], v[6:7]
	v_and_b32_e32 v6, 0x7c, v1
	s_add_nc_u64 s[18:19], s[24:25], s[26:27]
	s_sub_co_i32 s4, 0, s3
	v_mov_b64_e32 v[4:5], 0
	v_lshl_add_u32 v25, v23, 5, 0xa0
	v_readfirstlane_b32 s0, v3
	v_add_nc_u64_e32 v[10:11], s[18:19], v[6:7]
	v_mov_b32_e32 v26, v23
	s_mov_b32 s5, 0
	s_sub_co_i32 s13, s36, s13
	s_mul_f32 s0, s0, 0x4f7ffffe
	s_mov_b32 s14, s17
	s_add_co_i32 s17, s35, -1
	s_mov_b64 s[8:9], 0xffffffffffffff
	s_cvt_u32_f32 s0, s0
	s_mov_b32 s18, s34
	s_mov_b32 s19, s5
	s_delay_alu instid0(SALU_CYCLE_1) | instskip(NEXT) | instid1(SALU_CYCLE_1)
	s_mul_i32 s4, s4, s0
	s_mul_hi_u32 s4, s0, s4
	s_delay_alu instid0(SALU_CYCLE_1)
	s_add_co_i32 s4, s0, s4
	s_branch .LBB235_177
.LBB235_175:                            ;   in Loop: Header=BB235_177 Depth=1
	s_or_b32 exec_lo, exec_lo, s0
	;;#ASMSTART
	v_pk_mul_f16 v1, v37, v17;

	;;#ASMEND
	;;#ASMSTART
	v_pk_mul_f16 v3, v36, v18;

	;;#ASMEND
	;; [unrolled: 4-line block ×4, first 2 shown]
	;;#ASMSTART
	v_pk_add_f16 v1, v1, v3;

	;;#ASMEND
	;;#ASMSTART
	v_pk_add_f16 v1, v1, v6;

	;;#ASMEND
	;; [unrolled: 4-line block ×3, first 2 shown]
	v_and_b32_e32 v3, 0xffff, v1
	v_dual_add_f32 v1, v38, v39 :: v_dual_lshrrev_b32 v6, 16, v1
	;;#ASMSTART
	v_cvt_f32_f16 v3, v3;
	;;#ASMEND
	;;#ASMSTART
	v_cvt_f32_f16 v6, v6;
	;;#ASMEND
	s_delay_alu instid0(VALU_DEP_1) | instskip(NEXT) | instid1(VALU_DEP_1)
	v_dual_add_f32 v3, v3, v6 :: v_dual_add_f32 v4, v4, v1
	v_add_f32_e32 v5, v5, v3
.LBB235_176:                            ;   in Loop: Header=BB235_177 Depth=1
	s_or_b32 exec_lo, exec_lo, s24
	v_add_nc_u32_e32 v26, 4, v26
	v_add_nc_u64_e32 v[10:11], 16, v[10:11]
	v_add_nc_u32_e32 v2, 32, v2
	v_add_nc_u32_e32 v25, 0x80, v25
	s_delay_alu instid0(VALU_DEP_4) | instskip(SKIP_1) | instid1(SALU_CYCLE_1)
	v_cmp_le_i32_e32 vcc_lo, s35, v26
	s_or_b32 s19, vcc_lo, s19
	s_and_not1_b32 exec_lo, exec_lo, s19
	s_cbranch_execz .LBB235_310
.LBB235_177:                            ; =>This Inner Loop Header: Depth=1
	v_mov_b32_e32 v3, v7
	s_delay_alu instid0(VALU_DEP_1) | instskip(NEXT) | instid1(VALU_DEP_1)
	v_mul_u64_e32 v[12:13], s[22:23], v[2:3]
	v_mul_lo_u32 v1, v13, s16
	s_delay_alu instid0(VALU_DEP_1) | instskip(NEXT) | instid1(VALU_DEP_1)
	v_sub_nc_u32_e32 v1, v2, v1
	v_subrev_nc_u32_e32 v6, s16, v1
	v_cmp_le_u32_e32 vcc_lo, s16, v1
	s_delay_alu instid0(VALU_DEP_2) | instskip(NEXT) | instid1(VALU_DEP_1)
	v_dual_add_nc_u32 v3, 1, v13 :: v_dual_cndmask_b32 v1, v1, v6, vcc_lo
	v_cndmask_b32_e32 v3, v13, v3, vcc_lo
	s_delay_alu instid0(VALU_DEP_2) | instskip(NEXT) | instid1(VALU_DEP_2)
	v_cmp_le_u32_e32 vcc_lo, s16, v1
	v_add_nc_u32_e32 v6, 1, v3
	s_delay_alu instid0(VALU_DEP_1) | instskip(NEXT) | instid1(VALU_DEP_1)
	v_cndmask_b32_e32 v1, v3, v6, vcc_lo
	v_xor_b32_e32 v1, s15, v1
	s_delay_alu instid0(VALU_DEP_1) | instskip(NEXT) | instid1(VALU_DEP_1)
	v_subrev_nc_u32_e32 v1, s15, v1
	v_add_nc_u32_e32 v3, s21, v1
	v_cmp_lt_i32_e64 s0, s13, v1
	s_delay_alu instid0(VALU_DEP_2) | instskip(NEXT) | instid1(VALU_DEP_1)
	v_sub_nc_u32_e32 v6, 0, v3
	v_dual_ashrrev_i32 v3, 31, v3 :: v_dual_max_i32 v6, v3, v6
	s_delay_alu instid0(VALU_DEP_1) | instskip(NEXT) | instid1(VALU_DEP_1)
	v_mul_u64_e32 v[12:13], s[4:5], v[6:7]
	v_mul_lo_u32 v12, v13, s3
	s_delay_alu instid0(VALU_DEP_1) | instskip(NEXT) | instid1(VALU_DEP_1)
	v_sub_nc_u32_e32 v6, v6, v12
	v_subrev_nc_u32_e32 v12, s3, v6
	v_cmp_le_u32_e32 vcc_lo, s3, v6
	s_delay_alu instid0(VALU_DEP_2) | instskip(NEXT) | instid1(VALU_DEP_1)
	v_cndmask_b32_e32 v6, v6, v12, vcc_lo
	v_subrev_nc_u32_e32 v12, s3, v6
	v_cmp_le_u32_e32 vcc_lo, s3, v6
	s_delay_alu instid0(VALU_DEP_2) | instskip(NEXT) | instid1(VALU_DEP_1)
	v_cndmask_b32_e32 v6, v6, v12, vcc_lo
	v_xor_b32_e32 v6, v6, v3
	s_delay_alu instid0(VALU_DEP_1) | instskip(NEXT) | instid1(VALU_DEP_1)
	v_sub_nc_u32_e32 v3, v6, v3
	v_cmp_eq_u32_e32 vcc_lo, 0, v3
	s_or_b32 s0, vcc_lo, s0
	s_delay_alu instid0(SALU_CYCLE_1)
	s_and_saveexec_b32 s24, s0
	s_cbranch_execz .LBB235_176
; %bb.178:                              ;   in Loop: Header=BB235_177 Depth=1
	global_load_b32 v1, v[10:11], off
	ds_load_2addr_b64 v[14:17], v25 offset1:1
	ds_load_2addr_b64 v[18:21], v25 offset0:2 offset1:3
	s_mov_b32 s0, exec_lo
	s_wait_dscnt 0x1
	;;#ASMSTART
	v_cvt_f16_f32 v36, v14;

	;;#ASMEND
	;;#ASMSTART
	v_cvt_f16_f32 v34, v15;

	;;#ASMEND
	;; [unrolled: 4-line block ×4, first 2 shown]
	s_wait_dscnt 0x0
	;;#ASMSTART
	v_cvt_f16_f32 v40, v18;

	;;#ASMEND
	;;#ASMSTART
	v_cvt_f16_f32 v38, v19;

	;;#ASMEND
	;; [unrolled: 4-line block ×4, first 2 shown]
	v_mov_b32_e32 v3, 0
	s_wait_loadcnt 0x0
	v_mad_nc_i64_i32 v[12:13], v1, s14, v[8:9]
	v_mov_b32_e32 v1, 0
	global_load_b32 v14, v1, s[10:11]
	global_load_b64 v[16:17], v[12:13], off
	s_wait_loadcnt 0x0
	v_and_b32_e32 v6, 0xff, v16
	s_delay_alu instid0(VALU_DEP_1)
	v_cmpx_ne_u16_e32 0, v6
	s_cbranch_execz .LBB235_186
; %bb.179:                              ;   in Loop: Header=BB235_177 Depth=1
	v_mov_b32_e32 v3, 0x8000
	s_mov_b32 s25, exec_lo
	v_cmpx_ne_u16_e32 0x80, v6
	s_cbranch_execz .LBB235_185
; %bb.180:                              ;   in Loop: Header=BB235_177 Depth=1
	v_and_b32_e32 v15, 0x7f, v16
	v_mov_b32_e32 v3, 0x7c01
	s_mov_b32 s26, exec_lo
	s_delay_alu instid0(VALU_DEP_2)
	v_cmpx_ne_u32_e32 0x7f, v15
	s_cbranch_execz .LBB235_184
; %bb.181:                              ;   in Loop: Header=BB235_177 Depth=1
	v_dual_lshrrev_b32 v6, 3, v15 :: v_dual_bitop2_b32 v3, 7, v16 bitop3:0x40
	s_mov_b32 s27, exec_lo
	v_cmpx_gt_u32_e32 8, v15
; %bb.182:                              ;   in Loop: Header=BB235_177 Depth=1
	s_delay_alu instid0(VALU_DEP_2) | instskip(NEXT) | instid1(VALU_DEP_1)
	v_clz_i32_u32_e32 v3, v3
	v_min_u32_e32 v3, 32, v3
	s_delay_alu instid0(VALU_DEP_1) | instskip(NEXT) | instid1(VALU_DEP_1)
	v_subrev_nc_u32_e32 v6, 28, v3
	v_lshlrev_b64_e32 v[18:19], v6, v[16:17]
	s_delay_alu instid0(VALU_DEP_1)
	v_dual_sub_nc_u32 v6, 29, v3 :: v_dual_bitop2_b32 v3, 7, v18 bitop3:0x40
; %bb.183:                              ;   in Loop: Header=BB235_177 Depth=1
	s_or_b32 exec_lo, exec_lo, s27
	s_delay_alu instid0(VALU_DEP_1) | instskip(NEXT) | instid1(VALU_DEP_2)
	v_dual_lshlrev_b32 v15, 8, v16 :: v_dual_lshlrev_b32 v3, 7, v3
	v_lshl_add_u32 v6, v6, 10, 0x2000
	s_delay_alu instid0(VALU_DEP_2) | instskip(NEXT) | instid1(VALU_DEP_2)
	v_and_b32_e32 v15, 0x8000, v15
	v_and_b32_e32 v6, 0xfc00, v6
	s_delay_alu instid0(VALU_DEP_1)
	v_or3_b32 v3, v15, v6, v3
.LBB235_184:                            ;   in Loop: Header=BB235_177 Depth=1
	s_or_b32 exec_lo, exec_lo, s26
.LBB235_185:                            ;   in Loop: Header=BB235_177 Depth=1
	s_delay_alu instid0(SALU_CYCLE_1)
	s_or_b32 exec_lo, exec_lo, s25
.LBB235_186:                            ;   in Loop: Header=BB235_177 Depth=1
	s_delay_alu instid0(SALU_CYCLE_1) | instskip(SKIP_2) | instid1(VALU_DEP_1)
	s_or_b32 exec_lo, exec_lo, s0
	v_lshrrev_b16 v6, 8, v16
	s_mov_b32 s0, exec_lo
	v_cmpx_ne_u16_e32 0, v6
	s_cbranch_execz .LBB235_194
; %bb.187:                              ;   in Loop: Header=BB235_177 Depth=1
	v_bfrev_b32_e32 v1, 1
	s_mov_b32 s25, exec_lo
	v_cmpx_ne_u16_e32 0x80, v6
	s_cbranch_execz .LBB235_193
; %bb.188:                              ;   in Loop: Header=BB235_177 Depth=1
	v_and_b32_e32 v15, 0xffff, v6
	v_mov_b32_e32 v1, 0x7c010000
	s_mov_b32 s26, exec_lo
	s_delay_alu instid0(VALU_DEP_2) | instskip(NEXT) | instid1(VALU_DEP_1)
	v_and_b32_e32 v19, 0x7f, v15
	v_cmpx_ne_u32_e32 0x7f, v19
	s_cbranch_execz .LBB235_192
; %bb.189:                              ;   in Loop: Header=BB235_177 Depth=1
	v_and_b32_e32 v1, 7, v15
	v_lshrrev_b32_e32 v18, 3, v19
	s_mov_b32 s27, exec_lo
	v_cmpx_gt_u32_e32 8, v19
; %bb.190:                              ;   in Loop: Header=BB235_177 Depth=1
	s_delay_alu instid0(VALU_DEP_3) | instskip(NEXT) | instid1(VALU_DEP_1)
	v_clz_i32_u32_e32 v1, v1
	v_min_u32_e32 v1, 32, v1
	s_delay_alu instid0(VALU_DEP_1) | instskip(NEXT) | instid1(VALU_DEP_1)
	v_subrev_nc_u32_e32 v18, 28, v1
	v_lshlrev_b64_e32 v[20:21], v18, v[6:7]
	s_delay_alu instid0(VALU_DEP_1)
	v_dual_sub_nc_u32 v18, 29, v1 :: v_dual_bitop2_b32 v1, 7, v20 bitop3:0x40
; %bb.191:                              ;   in Loop: Header=BB235_177 Depth=1
	s_or_b32 exec_lo, exec_lo, s27
	s_delay_alu instid0(VALU_DEP_1) | instskip(NEXT) | instid1(VALU_DEP_2)
	v_dual_lshlrev_b32 v6, 8, v15 :: v_dual_lshlrev_b32 v1, 23, v1
	v_lshl_add_u32 v15, v18, 10, 0x2000
	s_delay_alu instid0(VALU_DEP_1) | instskip(NEXT) | instid1(VALU_DEP_1)
	v_and_or_b32 v6, 0x8000, v6, v15
	v_lshl_or_b32 v1, v6, 16, v1
.LBB235_192:                            ;   in Loop: Header=BB235_177 Depth=1
	s_or_b32 exec_lo, exec_lo, s26
.LBB235_193:                            ;   in Loop: Header=BB235_177 Depth=1
	s_delay_alu instid0(SALU_CYCLE_1)
	s_or_b32 exec_lo, exec_lo, s25
.LBB235_194:                            ;   in Loop: Header=BB235_177 Depth=1
	s_delay_alu instid0(SALU_CYCLE_1) | instskip(SKIP_3) | instid1(VALU_DEP_2)
	s_or_b32 exec_lo, exec_lo, s0
	v_dual_mov_b32 v15, 0 :: v_dual_lshrrev_b32 v6, 16, v16
	v_mov_b32_e32 v18, 0
	s_mov_b32 s0, exec_lo
	v_and_b32_e32 v19, 0xff, v6
	s_delay_alu instid0(VALU_DEP_1)
	v_cmpx_ne_u16_e32 0, v19
	s_cbranch_execz .LBB235_202
; %bb.195:                              ;   in Loop: Header=BB235_177 Depth=1
	v_mov_b32_e32 v18, 0x8000
	s_mov_b32 s25, exec_lo
	v_cmpx_ne_u16_e32 0x80, v19
	s_cbranch_execz .LBB235_201
; %bb.196:                              ;   in Loop: Header=BB235_177 Depth=1
	v_bfe_u32 v20, v16, 16, 7
	v_mov_b32_e32 v18, 0x7c01
	s_mov_b32 s26, exec_lo
	s_delay_alu instid0(VALU_DEP_2)
	v_cmpx_ne_u32_e32 0x7f, v20
	s_cbranch_execz .LBB235_200
; %bb.197:                              ;   in Loop: Header=BB235_177 Depth=1
	v_dual_lshrrev_b32 v19, 3, v20 :: v_dual_bitop2_b32 v18, 7, v6 bitop3:0x40
	s_mov_b32 s27, exec_lo
	v_cmpx_gt_u32_e32 8, v20
; %bb.198:                              ;   in Loop: Header=BB235_177 Depth=1
	s_delay_alu instid0(VALU_DEP_2) | instskip(NEXT) | instid1(VALU_DEP_1)
	v_clz_i32_u32_e32 v18, v18
	v_min_u32_e32 v20, 32, v18
	s_delay_alu instid0(VALU_DEP_1) | instskip(NEXT) | instid1(VALU_DEP_1)
	v_subrev_nc_u32_e32 v18, 28, v20
	v_lshlrev_b64_e32 v[18:19], v18, v[6:7]
	s_delay_alu instid0(VALU_DEP_1)
	v_dual_sub_nc_u32 v19, 29, v20 :: v_dual_bitop2_b32 v18, 7, v18 bitop3:0x40
; %bb.199:                              ;   in Loop: Header=BB235_177 Depth=1
	s_or_b32 exec_lo, exec_lo, s27
	v_lshlrev_b32_e32 v6, 8, v6
	s_delay_alu instid0(VALU_DEP_2) | instskip(NEXT) | instid1(VALU_DEP_3)
	v_lshl_add_u32 v19, v19, 10, 0x2000
	v_lshlrev_b32_e32 v18, 7, v18
	s_delay_alu instid0(VALU_DEP_3) | instskip(NEXT) | instid1(VALU_DEP_3)
	v_and_b32_e32 v6, 0x8000, v6
	v_and_b32_e32 v19, 0xfc00, v19
	s_delay_alu instid0(VALU_DEP_1)
	v_or3_b32 v18, v6, v19, v18
.LBB235_200:                            ;   in Loop: Header=BB235_177 Depth=1
	s_or_b32 exec_lo, exec_lo, s26
.LBB235_201:                            ;   in Loop: Header=BB235_177 Depth=1
	s_delay_alu instid0(SALU_CYCLE_1)
	s_or_b32 exec_lo, exec_lo, s25
.LBB235_202:                            ;   in Loop: Header=BB235_177 Depth=1
	s_delay_alu instid0(SALU_CYCLE_1) | instskip(NEXT) | instid1(SALU_CYCLE_1)
	s_or_b32 exec_lo, exec_lo, s0
	s_mov_b32 s0, exec_lo
	v_cmpx_lt_u32_e32 0xffffff, v16
	s_cbranch_execz .LBB235_210
; %bb.203:                              ;   in Loop: Header=BB235_177 Depth=1
	v_lshrrev_b32_e32 v6, 24, v16
	v_bfrev_b32_e32 v15, 1
	s_mov_b32 s25, exec_lo
	s_delay_alu instid0(VALU_DEP_2)
	v_cmpx_ne_u32_e32 0x80, v6
	s_cbranch_execz .LBB235_209
; %bb.204:                              ;   in Loop: Header=BB235_177 Depth=1
	v_and_b32_e32 v20, 0x7f, v6
	v_mov_b32_e32 v15, 0x7c010000
	s_mov_b32 s26, exec_lo
	s_delay_alu instid0(VALU_DEP_2)
	v_cmpx_ne_u32_e32 0x7f, v20
	s_cbranch_execz .LBB235_208
; %bb.205:                              ;   in Loop: Header=BB235_177 Depth=1
	v_dual_lshrrev_b32 v19, 3, v20 :: v_dual_bitop2_b32 v15, 7, v6 bitop3:0x40
	s_mov_b32 s27, exec_lo
	v_cmpx_gt_u32_e32 8, v20
; %bb.206:                              ;   in Loop: Header=BB235_177 Depth=1
	s_delay_alu instid0(VALU_DEP_2) | instskip(NEXT) | instid1(VALU_DEP_1)
	v_clz_i32_u32_e32 v15, v15
	v_min_u32_e32 v15, 32, v15
	s_delay_alu instid0(VALU_DEP_1) | instskip(NEXT) | instid1(VALU_DEP_1)
	v_subrev_nc_u32_e32 v19, 28, v15
	v_lshlrev_b64_e32 v[20:21], v19, v[6:7]
	s_delay_alu instid0(VALU_DEP_1)
	v_dual_sub_nc_u32 v19, 29, v15 :: v_dual_bitop2_b32 v15, 7, v20 bitop3:0x40
; %bb.207:                              ;   in Loop: Header=BB235_177 Depth=1
	s_or_b32 exec_lo, exec_lo, s27
	s_delay_alu instid0(VALU_DEP_1) | instskip(NEXT) | instid1(VALU_DEP_2)
	v_dual_lshlrev_b32 v6, 8, v6 :: v_dual_lshlrev_b32 v15, 23, v15
	v_lshl_add_u32 v19, v19, 10, 0x2000
	s_delay_alu instid0(VALU_DEP_1) | instskip(NEXT) | instid1(VALU_DEP_1)
	v_and_or_b32 v6, 0x8000, v6, v19
	v_lshl_or_b32 v15, v6, 16, v15
.LBB235_208:                            ;   in Loop: Header=BB235_177 Depth=1
	s_or_b32 exec_lo, exec_lo, s26
.LBB235_209:                            ;   in Loop: Header=BB235_177 Depth=1
	s_delay_alu instid0(SALU_CYCLE_1)
	s_or_b32 exec_lo, exec_lo, s25
.LBB235_210:                            ;   in Loop: Header=BB235_177 Depth=1
	s_delay_alu instid0(SALU_CYCLE_1) | instskip(SKIP_4) | instid1(VALU_DEP_3)
	s_or_b32 exec_lo, exec_lo, s0
	v_and_b32_e32 v21, 0xff, v17
	v_dual_mov_b32 v6, v17 :: v_dual_mov_b32 v20, 0
	v_mov_b32_e32 v19, 0
	s_mov_b32 s0, exec_lo
	v_cmpx_ne_u16_e32 0, v21
	s_cbranch_execz .LBB235_218
; %bb.211:                              ;   in Loop: Header=BB235_177 Depth=1
	v_mov_b32_e32 v19, 0x8000
	s_mov_b32 s25, exec_lo
	v_cmpx_ne_u16_e32 0x80, v21
	s_cbranch_execz .LBB235_217
; %bb.212:                              ;   in Loop: Header=BB235_177 Depth=1
	v_and_b32_e32 v22, 0x7f, v17
	v_mov_b32_e32 v19, 0x7c01
	s_mov_b32 s26, exec_lo
	s_delay_alu instid0(VALU_DEP_2)
	v_cmpx_ne_u32_e32 0x7f, v22
	s_cbranch_execz .LBB235_216
; %bb.213:                              ;   in Loop: Header=BB235_177 Depth=1
	v_dual_lshrrev_b32 v21, 3, v22 :: v_dual_bitop2_b32 v19, 7, v17 bitop3:0x40
	s_mov_b32 s27, exec_lo
	v_cmpx_gt_u32_e32 8, v22
; %bb.214:                              ;   in Loop: Header=BB235_177 Depth=1
	s_delay_alu instid0(VALU_DEP_2) | instskip(NEXT) | instid1(VALU_DEP_1)
	v_clz_i32_u32_e32 v19, v19
	v_min_u32_e32 v19, 32, v19
	s_delay_alu instid0(VALU_DEP_1) | instskip(NEXT) | instid1(VALU_DEP_1)
	v_subrev_nc_u32_e32 v21, 28, v19
	v_lshlrev_b64_e32 v[28:29], v21, v[6:7]
	s_delay_alu instid0(VALU_DEP_1)
	v_dual_sub_nc_u32 v21, 29, v19 :: v_dual_bitop2_b32 v19, 7, v28 bitop3:0x40
; %bb.215:                              ;   in Loop: Header=BB235_177 Depth=1
	s_or_b32 exec_lo, exec_lo, s27
	s_delay_alu instid0(VALU_DEP_1) | instskip(NEXT) | instid1(VALU_DEP_2)
	v_dual_lshlrev_b32 v22, 8, v17 :: v_dual_lshlrev_b32 v19, 7, v19
	v_lshl_add_u32 v21, v21, 10, 0x2000
	s_delay_alu instid0(VALU_DEP_2) | instskip(NEXT) | instid1(VALU_DEP_2)
	v_and_b32_e32 v22, 0x8000, v22
	v_and_b32_e32 v21, 0xfc00, v21
	s_delay_alu instid0(VALU_DEP_1)
	v_or3_b32 v19, v22, v21, v19
.LBB235_216:                            ;   in Loop: Header=BB235_177 Depth=1
	s_or_b32 exec_lo, exec_lo, s26
.LBB235_217:                            ;   in Loop: Header=BB235_177 Depth=1
	s_delay_alu instid0(SALU_CYCLE_1)
	s_or_b32 exec_lo, exec_lo, s25
.LBB235_218:                            ;   in Loop: Header=BB235_177 Depth=1
	s_delay_alu instid0(SALU_CYCLE_1) | instskip(SKIP_3) | instid1(VALU_DEP_2)
	s_or_b32 exec_lo, exec_lo, s0
	v_lshrrev_b16 v6, 8, v6
	v_mov_b32_e32 v21, 0
	s_mov_b32 s0, exec_lo
	v_cmpx_ne_u16_e32 0, v6
	s_cbranch_execz .LBB235_226
; %bb.219:                              ;   in Loop: Header=BB235_177 Depth=1
	v_bfrev_b32_e32 v21, 1
	s_mov_b32 s25, exec_lo
	v_cmpx_ne_u16_e32 0x80, v6
	s_cbranch_execz .LBB235_225
; %bb.220:                              ;   in Loop: Header=BB235_177 Depth=1
	v_and_b32_e32 v22, 0xffff, v6
	v_mov_b32_e32 v21, 0x7c010000
	s_mov_b32 s26, exec_lo
	s_delay_alu instid0(VALU_DEP_2) | instskip(NEXT) | instid1(VALU_DEP_1)
	v_and_b32_e32 v28, 0x7f, v22
	v_cmpx_ne_u32_e32 0x7f, v28
	s_cbranch_execz .LBB235_224
; %bb.221:                              ;   in Loop: Header=BB235_177 Depth=1
	v_dual_lshrrev_b32 v27, 3, v28 :: v_dual_bitop2_b32 v21, 7, v22 bitop3:0x40
	s_mov_b32 s27, exec_lo
	v_cmpx_gt_u32_e32 8, v28
; %bb.222:                              ;   in Loop: Header=BB235_177 Depth=1
	s_delay_alu instid0(VALU_DEP_2) | instskip(NEXT) | instid1(VALU_DEP_1)
	v_clz_i32_u32_e32 v21, v21
	v_min_u32_e32 v21, 32, v21
	s_delay_alu instid0(VALU_DEP_1) | instskip(NEXT) | instid1(VALU_DEP_1)
	v_subrev_nc_u32_e32 v27, 28, v21
	v_lshlrev_b64_e32 v[28:29], v27, v[6:7]
	s_delay_alu instid0(VALU_DEP_1)
	v_dual_sub_nc_u32 v27, 29, v21 :: v_dual_bitop2_b32 v21, 7, v28 bitop3:0x40
; %bb.223:                              ;   in Loop: Header=BB235_177 Depth=1
	s_or_b32 exec_lo, exec_lo, s27
	s_delay_alu instid0(VALU_DEP_1) | instskip(NEXT) | instid1(VALU_DEP_2)
	v_dual_lshlrev_b32 v6, 8, v22 :: v_dual_lshlrev_b32 v21, 23, v21
	v_lshl_add_u32 v22, v27, 10, 0x2000
	s_delay_alu instid0(VALU_DEP_1) | instskip(NEXT) | instid1(VALU_DEP_1)
	v_and_or_b32 v6, 0x8000, v6, v22
	v_lshl_or_b32 v21, v6, 16, v21
.LBB235_224:                            ;   in Loop: Header=BB235_177 Depth=1
	s_or_b32 exec_lo, exec_lo, s26
.LBB235_225:                            ;   in Loop: Header=BB235_177 Depth=1
	s_delay_alu instid0(SALU_CYCLE_1)
	s_or_b32 exec_lo, exec_lo, s25
.LBB235_226:                            ;   in Loop: Header=BB235_177 Depth=1
	s_delay_alu instid0(SALU_CYCLE_1) | instskip(SKIP_2) | instid1(VALU_DEP_1)
	s_or_b32 exec_lo, exec_lo, s0
	v_lshrrev_b32_e32 v6, 16, v17
	s_mov_b32 s0, exec_lo
	v_and_b32_e32 v22, 0xff, v6
	s_delay_alu instid0(VALU_DEP_1)
	v_cmpx_ne_u16_e32 0, v22
	s_cbranch_execz .LBB235_234
; %bb.227:                              ;   in Loop: Header=BB235_177 Depth=1
	v_mov_b32_e32 v20, 0x8000
	s_mov_b32 s25, exec_lo
	v_cmpx_ne_u16_e32 0x80, v22
	s_cbranch_execz .LBB235_233
; %bb.228:                              ;   in Loop: Header=BB235_177 Depth=1
	v_bfe_u32 v27, v17, 16, 7
	v_mov_b32_e32 v20, 0x7c01
	s_mov_b32 s26, exec_lo
	s_delay_alu instid0(VALU_DEP_2)
	v_cmpx_ne_u32_e32 0x7f, v27
	s_cbranch_execz .LBB235_232
; %bb.229:                              ;   in Loop: Header=BB235_177 Depth=1
	v_dual_lshrrev_b32 v22, 3, v27 :: v_dual_bitop2_b32 v20, 7, v6 bitop3:0x40
	s_mov_b32 s27, exec_lo
	v_cmpx_gt_u32_e32 8, v27
; %bb.230:                              ;   in Loop: Header=BB235_177 Depth=1
	s_delay_alu instid0(VALU_DEP_2) | instskip(NEXT) | instid1(VALU_DEP_1)
	v_clz_i32_u32_e32 v20, v20
	v_min_u32_e32 v20, 32, v20
	s_delay_alu instid0(VALU_DEP_1) | instskip(NEXT) | instid1(VALU_DEP_1)
	v_subrev_nc_u32_e32 v22, 28, v20
	v_lshlrev_b64_e32 v[28:29], v22, v[6:7]
	v_sub_nc_u32_e32 v22, 29, v20
	s_delay_alu instid0(VALU_DEP_2)
	v_and_b32_e32 v20, 7, v28
; %bb.231:                              ;   in Loop: Header=BB235_177 Depth=1
	s_or_b32 exec_lo, exec_lo, s27
	s_delay_alu instid0(VALU_DEP_1) | instskip(NEXT) | instid1(VALU_DEP_3)
	v_dual_lshlrev_b32 v6, 8, v6 :: v_dual_lshlrev_b32 v20, 7, v20
	v_lshl_add_u32 v22, v22, 10, 0x2000
	s_delay_alu instid0(VALU_DEP_2) | instskip(NEXT) | instid1(VALU_DEP_2)
	v_and_b32_e32 v6, 0x8000, v6
	v_and_b32_e32 v22, 0xfc00, v22
	s_delay_alu instid0(VALU_DEP_1)
	v_or3_b32 v20, v6, v22, v20
.LBB235_232:                            ;   in Loop: Header=BB235_177 Depth=1
	s_or_b32 exec_lo, exec_lo, s26
.LBB235_233:                            ;   in Loop: Header=BB235_177 Depth=1
	s_delay_alu instid0(SALU_CYCLE_1)
	s_or_b32 exec_lo, exec_lo, s25
.LBB235_234:                            ;   in Loop: Header=BB235_177 Depth=1
	s_delay_alu instid0(SALU_CYCLE_1)
	s_or_b32 exec_lo, exec_lo, s0
	v_cmp_lt_u64_e32 vcc_lo, s[8:9], v[16:17]
	v_mov_b32_e32 v16, 0
	s_and_saveexec_b32 s0, vcc_lo
	s_cbranch_execz .LBB235_242
; %bb.235:                              ;   in Loop: Header=BB235_177 Depth=1
	v_lshrrev_b32_e32 v6, 24, v17
	v_bfrev_b32_e32 v16, 1
	s_mov_b32 s25, exec_lo
	s_delay_alu instid0(VALU_DEP_2)
	v_cmpx_ne_u32_e32 0x80, v6
	s_cbranch_execz .LBB235_241
; %bb.236:                              ;   in Loop: Header=BB235_177 Depth=1
	v_and_b32_e32 v22, 0x7f, v6
	v_mov_b32_e32 v16, 0x7c010000
	s_mov_b32 s26, exec_lo
	s_delay_alu instid0(VALU_DEP_2)
	v_cmpx_ne_u32_e32 0x7f, v22
	s_cbranch_execz .LBB235_240
; %bb.237:                              ;   in Loop: Header=BB235_177 Depth=1
	v_and_b32_e32 v16, 7, v6
	v_lshrrev_b32_e32 v17, 3, v22
	s_mov_b32 s27, exec_lo
	v_cmpx_gt_u32_e32 8, v22
; %bb.238:                              ;   in Loop: Header=BB235_177 Depth=1
	s_delay_alu instid0(VALU_DEP_3) | instskip(NEXT) | instid1(VALU_DEP_1)
	v_clz_i32_u32_e32 v16, v16
	v_min_u32_e32 v22, 32, v16
	s_delay_alu instid0(VALU_DEP_1) | instskip(NEXT) | instid1(VALU_DEP_1)
	v_subrev_nc_u32_e32 v16, 28, v22
	v_lshlrev_b64_e32 v[16:17], v16, v[6:7]
	s_delay_alu instid0(VALU_DEP_1)
	v_dual_sub_nc_u32 v17, 29, v22 :: v_dual_bitop2_b32 v16, 7, v16 bitop3:0x40
; %bb.239:                              ;   in Loop: Header=BB235_177 Depth=1
	s_or_b32 exec_lo, exec_lo, s27
	s_delay_alu instid0(VALU_DEP_1) | instskip(NEXT) | instid1(VALU_DEP_2)
	v_dual_lshlrev_b32 v6, 8, v6 :: v_dual_lshlrev_b32 v16, 23, v16
	v_lshl_add_u32 v17, v17, 10, 0x2000
	s_delay_alu instid0(VALU_DEP_1) | instskip(NEXT) | instid1(VALU_DEP_1)
	v_and_or_b32 v6, 0x8000, v6, v17
	v_lshl_or_b32 v16, v6, 16, v16
.LBB235_240:                            ;   in Loop: Header=BB235_177 Depth=1
	s_or_b32 exec_lo, exec_lo, s26
.LBB235_241:                            ;   in Loop: Header=BB235_177 Depth=1
	s_delay_alu instid0(SALU_CYCLE_1)
	s_or_b32 exec_lo, exec_lo, s25
.LBB235_242:                            ;   in Loop: Header=BB235_177 Depth=1
	s_delay_alu instid0(SALU_CYCLE_1) | instskip(SKIP_3) | instid1(VALU_DEP_3)
	s_or_b32 exec_lo, exec_lo, s0
	v_dual_lshrrev_b32 v6, 16, v1 :: v_dual_lshrrev_b32 v17, 16, v15
	v_or_b32_e32 v1, v1, v3
	v_dual_lshrrev_b32 v18, 16, v16 :: v_dual_bitop2_b32 v3, v15, v18 bitop3:0x54
	v_cvt_f32_f16_e32 v29, v6
	s_delay_alu instid0(VALU_DEP_4)
	v_cvt_f32_f16_e32 v28, v17
	v_lshrrev_b32_e32 v15, 16, v21
	v_cvt_f32_f16_e32 v17, v1
	v_cvt_f32_f16_e32 v18, v18
	v_cmp_eq_u32_e32 vcc_lo, s17, v26
	v_or_b32_e32 v32, 1, v2
	v_pk_mul_f32 v[28:29], v[14:15], v[28:29] op_sel_hi:[0,1]
	v_or_b32_e32 v31, 3, v2
	v_or_b32_e32 v30, 4, v2
	v_dual_add_nc_u32 v33, 2, v2 :: v_dual_bitop2_b32 v27, 7, v2 bitop3:0x54
	s_delay_alu instid0(VALU_DEP_4) | instskip(SKIP_4) | instid1(VALU_DEP_4)
	v_cvt_pk_f16_f32 v1, v28, v29
	v_or_b32_e32 v6, v16, v20
	v_cvt_f32_f16_e32 v16, v3
	v_or_b32_e32 v3, v21, v19
	v_cvt_f32_f16_e32 v19, v15
	v_cvt_f32_f16_e32 v20, v6
	s_delay_alu instid0(VALU_DEP_4) | instskip(NEXT) | instid1(VALU_DEP_4)
	v_pk_mul_f32 v[16:17], v[14:15], v[16:17] op_sel_hi:[0,1]
	v_cvt_f32_f16_e32 v21, v3
	s_delay_alu instid0(VALU_DEP_4) | instskip(SKIP_1) | instid1(VALU_DEP_4)
	v_pk_mul_f32 v[28:29], v[14:15], v[18:19] op_sel_hi:[0,1]
	v_and_b32_e32 v19, 0xffff0000, v1
	v_cvt_pk_f16_f32 v3, v16, v17
	s_delay_alu instid0(VALU_DEP_4) | instskip(NEXT) | instid1(VALU_DEP_4)
	v_pk_mul_f32 v[14:15], v[14:15], v[20:21] op_sel_hi:[0,1]
	v_cvt_pk_f16_f32 v6, v28, v29
	v_dual_lshlrev_b32 v20, 16, v1 :: v_dual_bitop2_b32 v29, 6, v2 bitop3:0x54
	s_delay_alu instid0(VALU_DEP_4) | instskip(NEXT) | instid1(VALU_DEP_4)
	v_and_b32_e32 v22, 0xffff, v3
	v_cvt_pk_f16_f32 v14, v14, v15
	v_lshrrev_b32_e32 v21, 16, v3
	v_and_b32_e32 v1, 0xffff0000, v6
	v_lshlrev_b32_e32 v6, 16, v6
	v_or_b32_e32 v16, v20, v22
	v_lshrrev_b32_e32 v17, 16, v14
	v_and_b32_e32 v18, 0xffff, v14
	v_or_b32_e32 v15, v19, v21
	v_or_b32_e32 v28, 5, v2
	s_delay_alu instid0(VALU_DEP_4) | instskip(NEXT) | instid1(VALU_DEP_4)
	v_or_b32_e32 v3, v1, v17
	v_or_b32_e32 v14, v6, v18
	s_and_saveexec_b32 s25, vcc_lo
	s_cbranch_execz .LBB235_244
; %bb.243:                              ;   in Loop: Header=BB235_177 Depth=1
	v_cmp_gt_i32_e64 s0, s18, v2
	s_delay_alu instid0(VALU_DEP_1) | instskip(SKIP_1) | instid1(VALU_DEP_1)
	v_cndmask_b32_e64 v3, 0, v21, s0
	v_cmp_gt_i32_e64 s0, s34, v33
	v_cndmask_b32_e64 v14, 0, v22, s0
	v_cmp_gt_i32_e64 s0, s18, v32
	s_delay_alu instid0(VALU_DEP_1) | instskip(SKIP_1) | instid1(VALU_DEP_1)
	v_cndmask_b32_e64 v15, 0, v19, s0
	v_cmp_gt_i32_e64 s0, s34, v31
	v_cndmask_b32_e64 v16, 0, v20, s0
	v_cmp_gt_i32_e64 s0, s18, v30
	s_delay_alu instid0(VALU_DEP_4) | instskip(NEXT) | instid1(VALU_DEP_2)
	v_or_b32_e32 v15, v15, v3
	v_dual_cndmask_b32 v17, 0, v17, s0 :: v_dual_bitop2_b32 v16, v16, v14 bitop3:0x54
	v_cmp_gt_i32_e64 s0, s34, v29
	s_delay_alu instid0(VALU_DEP_1) | instskip(SKIP_1) | instid1(VALU_DEP_1)
	v_cndmask_b32_e64 v18, 0, v18, s0
	v_cmp_gt_i32_e64 s0, s18, v28
	v_cndmask_b32_e64 v1, 0, v1, s0
	v_cmp_gt_i32_e64 s0, s34, v27
	s_delay_alu instid0(VALU_DEP_1) | instskip(NEXT) | instid1(VALU_DEP_1)
	v_dual_cndmask_b32 v6, 0, v6, s0 :: v_dual_bitop2_b32 v3, v1, v17 bitop3:0x54
	v_or_b32_e32 v14, v6, v18
.LBB235_244:                            ;   in Loop: Header=BB235_177 Depth=1
	s_or_b32 exec_lo, exec_lo, s25
	v_and_b32_e32 v1, 0xffff, v36
	v_and_b32_e32 v6, 0xffff, v37
	v_and_b32_e32 v17, 0xffff, v40
	v_and_b32_e32 v18, 0xffff, v41
	s_mov_b32 s25, exec_lo
	v_lshl_or_b32 v37, v34, 16, v1
	;;#ASMSTART
	v_pk_mul_f16 v1, v37, v15;

	;;#ASMEND
	v_lshl_or_b32 v36, v35, 16, v6
	v_lshl_or_b32 v35, v38, 16, v17
	;; [unrolled: 1-line block ×3, first 2 shown]
	;;#ASMSTART
	v_pk_mul_f16 v6, v36, v16;

	;;#ASMEND
	;;#ASMSTART
	v_pk_mul_f16 v3, v35, v3;

	;;#ASMEND
	;;#ASMSTART
	v_pk_mul_f16 v14, v34, v14;

	;;#ASMEND
	;;#ASMSTART
	v_pk_add_f16 v1, v1, v6;

	;;#ASMEND
	;;#ASMSTART
	v_pk_add_f16 v1, v1, v3;

	;;#ASMEND
	;; [unrolled: 4-line block ×3, first 2 shown]
	v_and_b32_e32 v3, 0xffff, v1
	v_lshrrev_b32_e32 v1, 16, v1
	;;#ASMSTART
	v_cvt_f32_f16 v38, v3;
	;;#ASMEND
	v_mov_b32_e32 v3, 0
	;;#ASMSTART
	v_cvt_f32_f16 v39, v1;
	;;#ASMEND
	global_load_b64 v[14:15], v[12:13], off offset:256
	v_mov_b32_e32 v1, 0
	global_load_b32 v12, v1, s[10:11]
	s_wait_loadcnt 0x1
	v_and_b32_e32 v6, 0xff, v14
	s_wait_xcnt 0x0
	s_delay_alu instid0(VALU_DEP_1)
	v_cmpx_ne_u16_e32 0, v6
	s_cbranch_execz .LBB235_252
; %bb.245:                              ;   in Loop: Header=BB235_177 Depth=1
	v_mov_b32_e32 v3, 0x8000
	s_mov_b32 s26, exec_lo
	v_cmpx_ne_u16_e32 0x80, v6
	s_cbranch_execz .LBB235_251
; %bb.246:                              ;   in Loop: Header=BB235_177 Depth=1
	v_and_b32_e32 v13, 0x7f, v14
	v_mov_b32_e32 v3, 0x7c01
	s_mov_b32 s27, exec_lo
	s_delay_alu instid0(VALU_DEP_2)
	v_cmpx_ne_u32_e32 0x7f, v13
	s_cbranch_execz .LBB235_250
; %bb.247:                              ;   in Loop: Header=BB235_177 Depth=1
	v_dual_lshrrev_b32 v6, 3, v13 :: v_dual_bitop2_b32 v3, 7, v14 bitop3:0x40
	s_mov_b32 s28, exec_lo
	v_cmpx_gt_u32_e32 8, v13
; %bb.248:                              ;   in Loop: Header=BB235_177 Depth=1
	s_delay_alu instid0(VALU_DEP_2) | instskip(NEXT) | instid1(VALU_DEP_1)
	v_clz_i32_u32_e32 v3, v3
	v_min_u32_e32 v3, 32, v3
	s_delay_alu instid0(VALU_DEP_1) | instskip(NEXT) | instid1(VALU_DEP_1)
	v_subrev_nc_u32_e32 v6, 28, v3
	v_lshlrev_b64_e32 v[16:17], v6, v[14:15]
	s_delay_alu instid0(VALU_DEP_1)
	v_dual_sub_nc_u32 v6, 29, v3 :: v_dual_bitop2_b32 v3, 7, v16 bitop3:0x40
; %bb.249:                              ;   in Loop: Header=BB235_177 Depth=1
	s_or_b32 exec_lo, exec_lo, s28
	s_delay_alu instid0(VALU_DEP_1) | instskip(NEXT) | instid1(VALU_DEP_2)
	v_dual_lshlrev_b32 v13, 8, v14 :: v_dual_lshlrev_b32 v3, 7, v3
	v_lshl_add_u32 v6, v6, 10, 0x2000
	s_delay_alu instid0(VALU_DEP_2) | instskip(NEXT) | instid1(VALU_DEP_2)
	v_and_b32_e32 v13, 0x8000, v13
	v_and_b32_e32 v6, 0xfc00, v6
	s_delay_alu instid0(VALU_DEP_1)
	v_or3_b32 v3, v13, v6, v3
.LBB235_250:                            ;   in Loop: Header=BB235_177 Depth=1
	s_or_b32 exec_lo, exec_lo, s27
.LBB235_251:                            ;   in Loop: Header=BB235_177 Depth=1
	s_delay_alu instid0(SALU_CYCLE_1)
	s_or_b32 exec_lo, exec_lo, s26
.LBB235_252:                            ;   in Loop: Header=BB235_177 Depth=1
	s_delay_alu instid0(SALU_CYCLE_1) | instskip(SKIP_2) | instid1(VALU_DEP_1)
	s_or_b32 exec_lo, exec_lo, s25
	v_lshrrev_b16 v6, 8, v14
	s_mov_b32 s25, exec_lo
	v_cmpx_ne_u16_e32 0, v6
	s_cbranch_execz .LBB235_260
; %bb.253:                              ;   in Loop: Header=BB235_177 Depth=1
	v_bfrev_b32_e32 v1, 1
	s_mov_b32 s26, exec_lo
	v_cmpx_ne_u16_e32 0x80, v6
	s_cbranch_execz .LBB235_259
; %bb.254:                              ;   in Loop: Header=BB235_177 Depth=1
	v_and_b32_e32 v13, 0xffff, v6
	v_mov_b32_e32 v1, 0x7c010000
	s_mov_b32 s27, exec_lo
	s_delay_alu instid0(VALU_DEP_2) | instskip(NEXT) | instid1(VALU_DEP_1)
	v_and_b32_e32 v17, 0x7f, v13
	v_cmpx_ne_u32_e32 0x7f, v17
	s_cbranch_execz .LBB235_258
; %bb.255:                              ;   in Loop: Header=BB235_177 Depth=1
	v_and_b32_e32 v1, 7, v13
	v_lshrrev_b32_e32 v16, 3, v17
	s_mov_b32 s28, exec_lo
	v_cmpx_gt_u32_e32 8, v17
; %bb.256:                              ;   in Loop: Header=BB235_177 Depth=1
	s_delay_alu instid0(VALU_DEP_3) | instskip(NEXT) | instid1(VALU_DEP_1)
	v_clz_i32_u32_e32 v1, v1
	v_min_u32_e32 v1, 32, v1
	s_delay_alu instid0(VALU_DEP_1) | instskip(NEXT) | instid1(VALU_DEP_1)
	v_subrev_nc_u32_e32 v16, 28, v1
	v_lshlrev_b64_e32 v[18:19], v16, v[6:7]
	s_delay_alu instid0(VALU_DEP_1)
	v_dual_sub_nc_u32 v16, 29, v1 :: v_dual_bitop2_b32 v1, 7, v18 bitop3:0x40
; %bb.257:                              ;   in Loop: Header=BB235_177 Depth=1
	s_or_b32 exec_lo, exec_lo, s28
	v_lshlrev_b32_e32 v6, 8, v13
	s_delay_alu instid0(VALU_DEP_2) | instskip(NEXT) | instid1(VALU_DEP_3)
	v_lshl_add_u32 v13, v16, 10, 0x2000
	v_lshlrev_b32_e32 v1, 23, v1
	s_delay_alu instid0(VALU_DEP_2) | instskip(NEXT) | instid1(VALU_DEP_1)
	v_and_or_b32 v6, 0x8000, v6, v13
	v_lshl_or_b32 v1, v6, 16, v1
.LBB235_258:                            ;   in Loop: Header=BB235_177 Depth=1
	s_or_b32 exec_lo, exec_lo, s27
.LBB235_259:                            ;   in Loop: Header=BB235_177 Depth=1
	s_delay_alu instid0(SALU_CYCLE_1)
	s_or_b32 exec_lo, exec_lo, s26
.LBB235_260:                            ;   in Loop: Header=BB235_177 Depth=1
	s_delay_alu instid0(SALU_CYCLE_1) | instskip(SKIP_3) | instid1(VALU_DEP_2)
	s_or_b32 exec_lo, exec_lo, s25
	v_dual_mov_b32 v13, 0 :: v_dual_lshrrev_b32 v6, 16, v14
	v_mov_b32_e32 v16, 0
	s_mov_b32 s25, exec_lo
	v_and_b32_e32 v17, 0xff, v6
	s_delay_alu instid0(VALU_DEP_1)
	v_cmpx_ne_u16_e32 0, v17
	s_cbranch_execz .LBB235_268
; %bb.261:                              ;   in Loop: Header=BB235_177 Depth=1
	v_mov_b32_e32 v16, 0x8000
	s_mov_b32 s26, exec_lo
	v_cmpx_ne_u16_e32 0x80, v17
	s_cbranch_execz .LBB235_267
; %bb.262:                              ;   in Loop: Header=BB235_177 Depth=1
	v_bfe_u32 v18, v14, 16, 7
	v_mov_b32_e32 v16, 0x7c01
	s_mov_b32 s27, exec_lo
	s_delay_alu instid0(VALU_DEP_2)
	v_cmpx_ne_u32_e32 0x7f, v18
	s_cbranch_execz .LBB235_266
; %bb.263:                              ;   in Loop: Header=BB235_177 Depth=1
	v_and_b32_e32 v16, 7, v6
	v_lshrrev_b32_e32 v17, 3, v18
	s_mov_b32 s28, exec_lo
	v_cmpx_gt_u32_e32 8, v18
; %bb.264:                              ;   in Loop: Header=BB235_177 Depth=1
	s_delay_alu instid0(VALU_DEP_3) | instskip(NEXT) | instid1(VALU_DEP_1)
	v_clz_i32_u32_e32 v16, v16
	v_min_u32_e32 v18, 32, v16
	s_delay_alu instid0(VALU_DEP_1) | instskip(NEXT) | instid1(VALU_DEP_1)
	v_subrev_nc_u32_e32 v16, 28, v18
	v_lshlrev_b64_e32 v[16:17], v16, v[6:7]
	s_delay_alu instid0(VALU_DEP_1)
	v_dual_sub_nc_u32 v17, 29, v18 :: v_dual_bitop2_b32 v16, 7, v16 bitop3:0x40
; %bb.265:                              ;   in Loop: Header=BB235_177 Depth=1
	s_or_b32 exec_lo, exec_lo, s28
	s_delay_alu instid0(VALU_DEP_1) | instskip(NEXT) | instid1(VALU_DEP_2)
	v_dual_lshlrev_b32 v6, 8, v6 :: v_dual_lshlrev_b32 v16, 7, v16
	v_lshl_add_u32 v17, v17, 10, 0x2000
	s_delay_alu instid0(VALU_DEP_2) | instskip(NEXT) | instid1(VALU_DEP_2)
	v_and_b32_e32 v6, 0x8000, v6
	v_and_b32_e32 v17, 0xfc00, v17
	s_delay_alu instid0(VALU_DEP_1)
	v_or3_b32 v16, v6, v17, v16
.LBB235_266:                            ;   in Loop: Header=BB235_177 Depth=1
	s_or_b32 exec_lo, exec_lo, s27
.LBB235_267:                            ;   in Loop: Header=BB235_177 Depth=1
	s_delay_alu instid0(SALU_CYCLE_1)
	s_or_b32 exec_lo, exec_lo, s26
.LBB235_268:                            ;   in Loop: Header=BB235_177 Depth=1
	s_delay_alu instid0(SALU_CYCLE_1) | instskip(NEXT) | instid1(SALU_CYCLE_1)
	s_or_b32 exec_lo, exec_lo, s25
	s_mov_b32 s25, exec_lo
	v_cmpx_lt_u32_e32 0xffffff, v14
	s_cbranch_execz .LBB235_276
; %bb.269:                              ;   in Loop: Header=BB235_177 Depth=1
	v_lshrrev_b32_e32 v6, 24, v14
	v_bfrev_b32_e32 v13, 1
	s_mov_b32 s26, exec_lo
	s_delay_alu instid0(VALU_DEP_2)
	v_cmpx_ne_u32_e32 0x80, v6
	s_cbranch_execz .LBB235_275
; %bb.270:                              ;   in Loop: Header=BB235_177 Depth=1
	v_and_b32_e32 v18, 0x7f, v6
	v_mov_b32_e32 v13, 0x7c010000
	s_mov_b32 s27, exec_lo
	s_delay_alu instid0(VALU_DEP_2)
	v_cmpx_ne_u32_e32 0x7f, v18
	s_cbranch_execz .LBB235_274
; %bb.271:                              ;   in Loop: Header=BB235_177 Depth=1
	v_and_b32_e32 v13, 7, v6
	v_lshrrev_b32_e32 v17, 3, v18
	s_mov_b32 s28, exec_lo
	v_cmpx_gt_u32_e32 8, v18
; %bb.272:                              ;   in Loop: Header=BB235_177 Depth=1
	s_delay_alu instid0(VALU_DEP_3) | instskip(NEXT) | instid1(VALU_DEP_1)
	v_clz_i32_u32_e32 v13, v13
	v_min_u32_e32 v13, 32, v13
	s_delay_alu instid0(VALU_DEP_1) | instskip(NEXT) | instid1(VALU_DEP_1)
	v_subrev_nc_u32_e32 v17, 28, v13
	v_lshlrev_b64_e32 v[18:19], v17, v[6:7]
	s_delay_alu instid0(VALU_DEP_1)
	v_dual_sub_nc_u32 v17, 29, v13 :: v_dual_bitop2_b32 v13, 7, v18 bitop3:0x40
; %bb.273:                              ;   in Loop: Header=BB235_177 Depth=1
	s_or_b32 exec_lo, exec_lo, s28
	s_delay_alu instid0(VALU_DEP_1) | instskip(NEXT) | instid1(VALU_DEP_2)
	v_dual_lshlrev_b32 v6, 8, v6 :: v_dual_lshlrev_b32 v13, 23, v13
	v_lshl_add_u32 v17, v17, 10, 0x2000
	s_delay_alu instid0(VALU_DEP_1) | instskip(NEXT) | instid1(VALU_DEP_1)
	v_and_or_b32 v6, 0x8000, v6, v17
	v_lshl_or_b32 v13, v6, 16, v13
.LBB235_274:                            ;   in Loop: Header=BB235_177 Depth=1
	s_or_b32 exec_lo, exec_lo, s27
.LBB235_275:                            ;   in Loop: Header=BB235_177 Depth=1
	s_delay_alu instid0(SALU_CYCLE_1)
	s_or_b32 exec_lo, exec_lo, s26
.LBB235_276:                            ;   in Loop: Header=BB235_177 Depth=1
	s_delay_alu instid0(SALU_CYCLE_1) | instskip(SKIP_4) | instid1(VALU_DEP_3)
	s_or_b32 exec_lo, exec_lo, s25
	v_and_b32_e32 v19, 0xff, v15
	v_dual_mov_b32 v6, v15 :: v_dual_mov_b32 v18, 0
	v_mov_b32_e32 v17, 0
	s_mov_b32 s25, exec_lo
	v_cmpx_ne_u16_e32 0, v19
	s_cbranch_execz .LBB235_284
; %bb.277:                              ;   in Loop: Header=BB235_177 Depth=1
	v_mov_b32_e32 v17, 0x8000
	s_mov_b32 s26, exec_lo
	v_cmpx_ne_u16_e32 0x80, v19
	s_cbranch_execz .LBB235_283
; %bb.278:                              ;   in Loop: Header=BB235_177 Depth=1
	v_and_b32_e32 v20, 0x7f, v15
	v_mov_b32_e32 v17, 0x7c01
	s_mov_b32 s27, exec_lo
	s_delay_alu instid0(VALU_DEP_2)
	v_cmpx_ne_u32_e32 0x7f, v20
	s_cbranch_execz .LBB235_282
; %bb.279:                              ;   in Loop: Header=BB235_177 Depth=1
	v_dual_lshrrev_b32 v19, 3, v20 :: v_dual_bitop2_b32 v17, 7, v15 bitop3:0x40
	s_mov_b32 s28, exec_lo
	v_cmpx_gt_u32_e32 8, v20
; %bb.280:                              ;   in Loop: Header=BB235_177 Depth=1
	s_delay_alu instid0(VALU_DEP_2) | instskip(NEXT) | instid1(VALU_DEP_1)
	v_clz_i32_u32_e32 v17, v17
	v_min_u32_e32 v17, 32, v17
	s_delay_alu instid0(VALU_DEP_1) | instskip(NEXT) | instid1(VALU_DEP_1)
	v_subrev_nc_u32_e32 v19, 28, v17
	v_lshlrev_b64_e32 v[20:21], v19, v[6:7]
	s_delay_alu instid0(VALU_DEP_1)
	v_dual_sub_nc_u32 v19, 29, v17 :: v_dual_bitop2_b32 v17, 7, v20 bitop3:0x40
; %bb.281:                              ;   in Loop: Header=BB235_177 Depth=1
	s_or_b32 exec_lo, exec_lo, s28
	s_delay_alu instid0(VALU_DEP_1) | instskip(NEXT) | instid1(VALU_DEP_2)
	v_dual_lshlrev_b32 v20, 8, v15 :: v_dual_lshlrev_b32 v17, 7, v17
	v_lshl_add_u32 v19, v19, 10, 0x2000
	s_delay_alu instid0(VALU_DEP_2) | instskip(NEXT) | instid1(VALU_DEP_2)
	v_and_b32_e32 v20, 0x8000, v20
	v_and_b32_e32 v19, 0xfc00, v19
	s_delay_alu instid0(VALU_DEP_1)
	v_or3_b32 v17, v20, v19, v17
.LBB235_282:                            ;   in Loop: Header=BB235_177 Depth=1
	s_or_b32 exec_lo, exec_lo, s27
.LBB235_283:                            ;   in Loop: Header=BB235_177 Depth=1
	s_delay_alu instid0(SALU_CYCLE_1)
	s_or_b32 exec_lo, exec_lo, s26
.LBB235_284:                            ;   in Loop: Header=BB235_177 Depth=1
	s_delay_alu instid0(SALU_CYCLE_1) | instskip(SKIP_3) | instid1(VALU_DEP_2)
	s_or_b32 exec_lo, exec_lo, s25
	v_lshrrev_b16 v6, 8, v6
	v_mov_b32_e32 v19, 0
	s_mov_b32 s25, exec_lo
	v_cmpx_ne_u16_e32 0, v6
	s_cbranch_execz .LBB235_292
; %bb.285:                              ;   in Loop: Header=BB235_177 Depth=1
	v_bfrev_b32_e32 v19, 1
	s_mov_b32 s26, exec_lo
	v_cmpx_ne_u16_e32 0x80, v6
	s_cbranch_execz .LBB235_291
; %bb.286:                              ;   in Loop: Header=BB235_177 Depth=1
	v_and_b32_e32 v20, 0xffff, v6
	v_mov_b32_e32 v19, 0x7c010000
	s_mov_b32 s27, exec_lo
	s_delay_alu instid0(VALU_DEP_2) | instskip(NEXT) | instid1(VALU_DEP_1)
	v_and_b32_e32 v22, 0x7f, v20
	v_cmpx_ne_u32_e32 0x7f, v22
	s_cbranch_execz .LBB235_290
; %bb.287:                              ;   in Loop: Header=BB235_177 Depth=1
	v_dual_lshrrev_b32 v21, 3, v22 :: v_dual_bitop2_b32 v19, 7, v20 bitop3:0x40
	s_mov_b32 s28, exec_lo
	v_cmpx_gt_u32_e32 8, v22
; %bb.288:                              ;   in Loop: Header=BB235_177 Depth=1
	s_delay_alu instid0(VALU_DEP_2) | instskip(NEXT) | instid1(VALU_DEP_1)
	v_clz_i32_u32_e32 v19, v19
	v_min_u32_e32 v19, 32, v19
	s_delay_alu instid0(VALU_DEP_1) | instskip(NEXT) | instid1(VALU_DEP_1)
	v_subrev_nc_u32_e32 v21, 28, v19
	v_lshlrev_b64_e32 v[40:41], v21, v[6:7]
	s_delay_alu instid0(VALU_DEP_1)
	v_dual_sub_nc_u32 v21, 29, v19 :: v_dual_bitop2_b32 v19, 7, v40 bitop3:0x40
; %bb.289:                              ;   in Loop: Header=BB235_177 Depth=1
	s_or_b32 exec_lo, exec_lo, s28
	s_delay_alu instid0(VALU_DEP_1) | instskip(NEXT) | instid1(VALU_DEP_2)
	v_dual_lshlrev_b32 v6, 8, v20 :: v_dual_lshlrev_b32 v19, 23, v19
	v_lshl_add_u32 v20, v21, 10, 0x2000
	s_delay_alu instid0(VALU_DEP_1) | instskip(NEXT) | instid1(VALU_DEP_1)
	v_and_or_b32 v6, 0x8000, v6, v20
	v_lshl_or_b32 v19, v6, 16, v19
.LBB235_290:                            ;   in Loop: Header=BB235_177 Depth=1
	s_or_b32 exec_lo, exec_lo, s27
.LBB235_291:                            ;   in Loop: Header=BB235_177 Depth=1
	s_delay_alu instid0(SALU_CYCLE_1)
	s_or_b32 exec_lo, exec_lo, s26
.LBB235_292:                            ;   in Loop: Header=BB235_177 Depth=1
	s_delay_alu instid0(SALU_CYCLE_1) | instskip(SKIP_2) | instid1(VALU_DEP_1)
	s_or_b32 exec_lo, exec_lo, s25
	v_lshrrev_b32_e32 v6, 16, v15
	s_mov_b32 s25, exec_lo
	v_and_b32_e32 v20, 0xff, v6
	s_delay_alu instid0(VALU_DEP_1)
	v_cmpx_ne_u16_e32 0, v20
	s_cbranch_execz .LBB235_300
; %bb.293:                              ;   in Loop: Header=BB235_177 Depth=1
	v_mov_b32_e32 v18, 0x8000
	s_mov_b32 s26, exec_lo
	v_cmpx_ne_u16_e32 0x80, v20
	s_cbranch_execz .LBB235_299
; %bb.294:                              ;   in Loop: Header=BB235_177 Depth=1
	v_bfe_u32 v21, v15, 16, 7
	v_mov_b32_e32 v18, 0x7c01
	s_mov_b32 s27, exec_lo
	s_delay_alu instid0(VALU_DEP_2)
	v_cmpx_ne_u32_e32 0x7f, v21
	s_cbranch_execz .LBB235_298
; %bb.295:                              ;   in Loop: Header=BB235_177 Depth=1
	v_dual_lshrrev_b32 v20, 3, v21 :: v_dual_bitop2_b32 v18, 7, v6 bitop3:0x40
	s_mov_b32 s28, exec_lo
	v_cmpx_gt_u32_e32 8, v21
; %bb.296:                              ;   in Loop: Header=BB235_177 Depth=1
	s_delay_alu instid0(VALU_DEP_2) | instskip(NEXT) | instid1(VALU_DEP_1)
	v_clz_i32_u32_e32 v18, v18
	v_min_u32_e32 v18, 32, v18
	s_delay_alu instid0(VALU_DEP_1) | instskip(NEXT) | instid1(VALU_DEP_1)
	v_subrev_nc_u32_e32 v20, 28, v18
	v_lshlrev_b64_e32 v[40:41], v20, v[6:7]
	s_delay_alu instid0(VALU_DEP_1)
	v_dual_sub_nc_u32 v20, 29, v18 :: v_dual_bitop2_b32 v18, 7, v40 bitop3:0x40
; %bb.297:                              ;   in Loop: Header=BB235_177 Depth=1
	s_or_b32 exec_lo, exec_lo, s28
	v_lshlrev_b32_e32 v6, 8, v6
	s_delay_alu instid0(VALU_DEP_2) | instskip(NEXT) | instid1(VALU_DEP_3)
	v_lshl_add_u32 v20, v20, 10, 0x2000
	v_lshlrev_b32_e32 v18, 7, v18
	s_delay_alu instid0(VALU_DEP_3) | instskip(NEXT) | instid1(VALU_DEP_3)
	v_and_b32_e32 v6, 0x8000, v6
	v_and_b32_e32 v20, 0xfc00, v20
	s_delay_alu instid0(VALU_DEP_1)
	v_or3_b32 v18, v6, v20, v18
.LBB235_298:                            ;   in Loop: Header=BB235_177 Depth=1
	s_or_b32 exec_lo, exec_lo, s27
.LBB235_299:                            ;   in Loop: Header=BB235_177 Depth=1
	s_delay_alu instid0(SALU_CYCLE_1)
	s_or_b32 exec_lo, exec_lo, s26
.LBB235_300:                            ;   in Loop: Header=BB235_177 Depth=1
	s_delay_alu instid0(SALU_CYCLE_1)
	s_or_b32 exec_lo, exec_lo, s25
	v_cmp_lt_u64_e64 s0, s[8:9], v[14:15]
	v_mov_b32_e32 v14, 0
	s_and_saveexec_b32 s25, s0
	s_cbranch_execz .LBB235_308
; %bb.301:                              ;   in Loop: Header=BB235_177 Depth=1
	v_lshrrev_b32_e32 v6, 24, v15
	v_bfrev_b32_e32 v14, 1
	s_mov_b32 s26, exec_lo
	s_delay_alu instid0(VALU_DEP_2)
	v_cmpx_ne_u32_e32 0x80, v6
	s_cbranch_execz .LBB235_307
; %bb.302:                              ;   in Loop: Header=BB235_177 Depth=1
	v_and_b32_e32 v20, 0x7f, v6
	v_mov_b32_e32 v14, 0x7c010000
	s_mov_b32 s27, exec_lo
	s_delay_alu instid0(VALU_DEP_2)
	v_cmpx_ne_u32_e32 0x7f, v20
	s_cbranch_execz .LBB235_306
; %bb.303:                              ;   in Loop: Header=BB235_177 Depth=1
	v_dual_lshrrev_b32 v15, 3, v20 :: v_dual_bitop2_b32 v14, 7, v6 bitop3:0x40
	s_mov_b32 s28, exec_lo
	v_cmpx_gt_u32_e32 8, v20
; %bb.304:                              ;   in Loop: Header=BB235_177 Depth=1
	s_delay_alu instid0(VALU_DEP_2) | instskip(NEXT) | instid1(VALU_DEP_1)
	v_clz_i32_u32_e32 v14, v14
	v_min_u32_e32 v20, 32, v14
	s_delay_alu instid0(VALU_DEP_1) | instskip(NEXT) | instid1(VALU_DEP_1)
	v_subrev_nc_u32_e32 v14, 28, v20
	v_lshlrev_b64_e32 v[14:15], v14, v[6:7]
	s_delay_alu instid0(VALU_DEP_1)
	v_dual_sub_nc_u32 v15, 29, v20 :: v_dual_bitop2_b32 v14, 7, v14 bitop3:0x40
; %bb.305:                              ;   in Loop: Header=BB235_177 Depth=1
	s_or_b32 exec_lo, exec_lo, s28
	v_lshlrev_b32_e32 v6, 8, v6
	s_delay_alu instid0(VALU_DEP_2) | instskip(NEXT) | instid1(VALU_DEP_3)
	v_lshl_add_u32 v15, v15, 10, 0x2000
	v_lshlrev_b32_e32 v14, 23, v14
	s_delay_alu instid0(VALU_DEP_2) | instskip(NEXT) | instid1(VALU_DEP_1)
	v_and_or_b32 v6, 0x8000, v6, v15
	v_lshl_or_b32 v14, v6, 16, v14
.LBB235_306:                            ;   in Loop: Header=BB235_177 Depth=1
	s_or_b32 exec_lo, exec_lo, s27
.LBB235_307:                            ;   in Loop: Header=BB235_177 Depth=1
	s_delay_alu instid0(SALU_CYCLE_1)
	s_or_b32 exec_lo, exec_lo, s26
.LBB235_308:                            ;   in Loop: Header=BB235_177 Depth=1
	s_delay_alu instid0(SALU_CYCLE_1) | instskip(SKIP_3) | instid1(VALU_DEP_3)
	s_or_b32 exec_lo, exec_lo, s25
	v_dual_lshrrev_b32 v6, 16, v1 :: v_dual_bitop2_b32 v1, v1, v3 bitop3:0x54
	v_dual_lshrrev_b32 v15, 16, v13 :: v_dual_bitop2_b32 v3, v13, v16 bitop3:0x54
	v_lshrrev_b32_e32 v16, 16, v14
	v_cvt_f32_f16_e32 v21, v6
	v_dual_lshrrev_b32 v13, 16, v19 :: v_dual_bitop2_b32 v6, v14, v18 bitop3:0x54
	s_delay_alu instid0(VALU_DEP_4)
	v_cvt_f32_f16_e32 v14, v3
	v_or_b32_e32 v3, v19, v17
	v_cvt_f32_f16_e32 v20, v15
	v_cvt_f32_f16_e32 v15, v1
	v_cvt_f32_f16_e32 v17, v13
	v_cvt_f32_f16_e32 v16, v16
	v_cvt_f32_f16_e32 v18, v6
	v_cvt_f32_f16_e32 v19, v3
	s_wait_loadcnt 0x0
	v_pk_mul_f32 v[20:21], v[12:13], v[20:21] op_sel_hi:[0,1]
	v_pk_mul_f32 v[14:15], v[12:13], v[14:15] op_sel_hi:[0,1]
	;; [unrolled: 1-line block ×4, first 2 shown]
	s_delay_alu instid0(VALU_DEP_4) | instskip(NEXT) | instid1(VALU_DEP_4)
	v_cvt_pk_f16_f32 v1, v20, v21
	v_cvt_pk_f16_f32 v3, v14, v15
	s_delay_alu instid0(VALU_DEP_4) | instskip(NEXT) | instid1(VALU_DEP_4)
	v_cvt_pk_f16_f32 v6, v16, v17
	v_cvt_pk_f16_f32 v12, v18, v19
	s_delay_alu instid0(VALU_DEP_4) | instskip(NEXT) | instid1(VALU_DEP_4)
	v_and_b32_e32 v13, 0xffff0000, v1
	v_dual_lshlrev_b32 v14, 16, v1 :: v_dual_lshrrev_b32 v19, 16, v3
	v_and_b32_e32 v20, 0xffff, v3
	v_and_b32_e32 v1, 0xffff0000, v6
	v_dual_lshlrev_b32 v6, 16, v6 :: v_dual_lshrrev_b32 v3, 16, v12
	v_and_b32_e32 v12, 0xffff, v12
	v_or_b32_e32 v17, v13, v19
	v_or_b32_e32 v18, v14, v20
	s_delay_alu instid0(VALU_DEP_4) | instskip(NEXT) | instid1(VALU_DEP_4)
	v_or_b32_e32 v15, v1, v3
	v_or_b32_e32 v16, v6, v12
	s_and_saveexec_b32 s0, vcc_lo
	s_cbranch_execz .LBB235_175
; %bb.309:                              ;   in Loop: Header=BB235_177 Depth=1
	v_cmp_gt_i32_e32 vcc_lo, s18, v2
	v_cndmask_b32_e32 v15, 0, v19, vcc_lo
	v_cmp_gt_i32_e32 vcc_lo, s34, v33
	v_cndmask_b32_e32 v16, 0, v20, vcc_lo
	;; [unrolled: 2-line block ×4, first 2 shown]
	v_cmp_gt_i32_e32 vcc_lo, s18, v30
	s_delay_alu instid0(VALU_DEP_4) | instskip(NEXT) | instid1(VALU_DEP_3)
	v_or_b32_e32 v17, v13, v15
	v_dual_cndmask_b32 v3, 0, v3, vcc_lo :: v_dual_bitop2_b32 v18, v14, v16 bitop3:0x54
	v_cmp_gt_i32_e32 vcc_lo, s34, v29
	v_cndmask_b32_e32 v12, 0, v12, vcc_lo
	v_cmp_gt_i32_e32 vcc_lo, s18, v28
	v_cndmask_b32_e32 v1, 0, v1, vcc_lo
	v_cmp_gt_i32_e32 vcc_lo, s34, v27
	s_delay_alu instid0(VALU_DEP_2) | instskip(NEXT) | instid1(VALU_DEP_1)
	v_dual_cndmask_b32 v6, 0, v6, vcc_lo :: v_dual_bitop2_b32 v15, v1, v3 bitop3:0x54
	v_or_b32_e32 v16, v6, v12
	s_branch .LBB235_175
.LBB235_310:
	s_or_b32 exec_lo, exec_lo, s19
.LBB235_311:
	s_delay_alu instid0(SALU_CYCLE_1) | instskip(SKIP_4) | instid1(VALU_DEP_2)
	s_or_b32 exec_lo, exec_lo, s1
	v_lshl_add_u32 v2, v24, 2, 0xa0
	v_and_b32_e32 v3, 0x3c0, v0
	s_mov_b32 s0, exec_lo
	s_barrier_signal -1
	v_lshl_add_u32 v1, v23, 8, v2
	s_barrier_wait -1
	v_cmpx_eq_u32_e32 64, v3
	s_cbranch_execz .LBB235_313
; %bb.312:
	s_delay_alu instid0(VALU_DEP_2)
	v_add_nc_u32_e32 v3, 0xfffffe00, v1
	v_add_nc_u32_e32 v6, 0xfffffe80, v1
	ds_store_b32 v3, v4
	ds_store_b32 v6, v5
.LBB235_313:
	s_or_b32 exec_lo, exec_lo, s0
	s_delay_alu instid0(SALU_CYCLE_1)
	s_mov_b32 s0, exec_lo
	s_wait_dscnt 0x0
	s_barrier_signal -1
	s_barrier_wait -1
	v_cmpx_gt_u32_e32 64, v0
	s_cbranch_execz .LBB235_315
; %bb.314:
	ds_load_2addr_b32 v[6:7], v1 offset1:32
	s_wait_dscnt 0x0
	v_pk_add_f32 v[4:5], v[4:5], v[6:7]
.LBB235_315:
	s_or_b32 exec_lo, exec_lo, s0
	v_and_b32_e32 v3, 0x3e0, v0
	s_mov_b32 s0, exec_lo
	s_barrier_signal -1
	s_barrier_wait -1
	s_delay_alu instid0(VALU_DEP_1)
	v_cmpx_eq_u32_e32 32, v3
; %bb.316:
	ds_store_2addr_b32 v2, v4, v5 offset1:32
; %bb.317:
	s_or_b32 exec_lo, exec_lo, s0
	s_wait_dscnt 0x0
	s_barrier_signal -1
	s_barrier_wait -1
	s_and_saveexec_b32 s0, s2
	s_cbranch_execz .LBB235_319
; %bb.318:
	ds_load_2addr_b32 v[2:3], v1 offset1:32
	s_wait_dscnt 0x0
	v_pk_add_f32 v[4:5], v[4:5], v[2:3]
.LBB235_319:
	s_or_b32 exec_lo, exec_lo, s0
	s_barrier_signal -1
	s_barrier_wait -1
	s_and_saveexec_b32 s0, s2
	s_cbranch_execz .LBB235_321
; %bb.320:
	s_mul_i32 s1, s33, s12
	s_bfe_u32 s5, ttmp6, 0x40014
	s_mul_i32 s1, s1, s31
	s_mul_i32 s0, s12, s20
	s_lshl_b32 s2, s1, 6
	s_lshr_b32 s4, ttmp7, 16
	s_ashr_i32 s3, s2, 31
	s_add_co_i32 s5, s5, 1
	s_lshl_b64 s[2:3], s[2:3], 1
	s_ashr_i32 s1, s0, 31
	s_wait_kmcnt 0x0
	s_add_nc_u64 s[2:3], s[6:7], s[2:3]
	s_mul_i32 s5, s4, s5
	s_bfe_u32 s6, ttmp6, 0x40008
	s_lshl_b64 s[0:1], s[0:1], 1
	s_add_co_i32 s6, s6, s5
	s_cmp_eq_u32 s30, 0
	s_add_nc_u64 s[0:1], s[2:3], s[0:1]
	s_cselect_b32 s2, s4, s6
	s_mov_b32 s3, 0
	s_lshl_b32 s2, s2, 7
	;;#ASMSTART
	v_cvt_f16_f32 v1, v4;

	;;#ASMEND
	s_add_nc_u64 s[0:1], s[0:1], s[2:3]
	global_store_b16 v0, v1, s[0:1] scale_offset
	s_wait_xcnt 0x0
	;;#ASMSTART
	v_cvt_f16_f32 v1, v5;

	;;#ASMEND
	global_store_b16 v0, v1, s[0:1] offset:64 scale_offset
.LBB235_321:
	s_endpgm
	.section	.rodata,"a",@progbits
	.p2align	6, 0x0
	.amdhsa_kernel _ZN4vllm25paged_attention_v1_kernelIthLi64ELi8ELi128ELNS_18Fp8KVCacheDataTypeE1ELb1EEEvPT_PKS2_PKT0_S8_ifPKiSA_iPKfiiiSC_SC_iiiii
		.amdhsa_group_segment_fixed_size 160
		.amdhsa_private_segment_fixed_size 0
		.amdhsa_kernarg_size 384
		.amdhsa_user_sgpr_count 2
		.amdhsa_user_sgpr_dispatch_ptr 0
		.amdhsa_user_sgpr_queue_ptr 0
		.amdhsa_user_sgpr_kernarg_segment_ptr 1
		.amdhsa_user_sgpr_dispatch_id 0
		.amdhsa_user_sgpr_kernarg_preload_length 0
		.amdhsa_user_sgpr_kernarg_preload_offset 0
		.amdhsa_user_sgpr_private_segment_size 0
		.amdhsa_wavefront_size32 1
		.amdhsa_uses_dynamic_stack 0
		.amdhsa_enable_private_segment 0
		.amdhsa_system_sgpr_workgroup_id_x 1
		.amdhsa_system_sgpr_workgroup_id_y 1
		.amdhsa_system_sgpr_workgroup_id_z 1
		.amdhsa_system_sgpr_workgroup_info 0
		.amdhsa_system_vgpr_workitem_id 0
		.amdhsa_next_free_vgpr 50
		.amdhsa_next_free_sgpr 46
		.amdhsa_named_barrier_count 0
		.amdhsa_reserve_vcc 1
		.amdhsa_float_round_mode_32 0
		.amdhsa_float_round_mode_16_64 0
		.amdhsa_float_denorm_mode_32 3
		.amdhsa_float_denorm_mode_16_64 3
		.amdhsa_fp16_overflow 0
		.amdhsa_memory_ordered 1
		.amdhsa_forward_progress 1
		.amdhsa_inst_pref_size 104
		.amdhsa_round_robin_scheduling 0
		.amdhsa_exception_fp_ieee_invalid_op 0
		.amdhsa_exception_fp_denorm_src 0
		.amdhsa_exception_fp_ieee_div_zero 0
		.amdhsa_exception_fp_ieee_overflow 0
		.amdhsa_exception_fp_ieee_underflow 0
		.amdhsa_exception_fp_ieee_inexact 0
		.amdhsa_exception_int_div_zero 0
	.end_amdhsa_kernel
	.section	.text._ZN4vllm25paged_attention_v1_kernelIthLi64ELi8ELi128ELNS_18Fp8KVCacheDataTypeE1ELb1EEEvPT_PKS2_PKT0_S8_ifPKiSA_iPKfiiiSC_SC_iiiii,"axG",@progbits,_ZN4vllm25paged_attention_v1_kernelIthLi64ELi8ELi128ELNS_18Fp8KVCacheDataTypeE1ELb1EEEvPT_PKS2_PKT0_S8_ifPKiSA_iPKfiiiSC_SC_iiiii,comdat
.Lfunc_end235:
	.size	_ZN4vllm25paged_attention_v1_kernelIthLi64ELi8ELi128ELNS_18Fp8KVCacheDataTypeE1ELb1EEEvPT_PKS2_PKT0_S8_ifPKiSA_iPKfiiiSC_SC_iiiii, .Lfunc_end235-_ZN4vllm25paged_attention_v1_kernelIthLi64ELi8ELi128ELNS_18Fp8KVCacheDataTypeE1ELb1EEEvPT_PKS2_PKT0_S8_ifPKiSA_iPKfiiiSC_SC_iiiii
                                        ; -- End function
	.set _ZN4vllm25paged_attention_v1_kernelIthLi64ELi8ELi128ELNS_18Fp8KVCacheDataTypeE1ELb1EEEvPT_PKS2_PKT0_S8_ifPKiSA_iPKfiiiSC_SC_iiiii.num_vgpr, 50
	.set _ZN4vllm25paged_attention_v1_kernelIthLi64ELi8ELi128ELNS_18Fp8KVCacheDataTypeE1ELb1EEEvPT_PKS2_PKT0_S8_ifPKiSA_iPKfiiiSC_SC_iiiii.num_agpr, 0
	.set _ZN4vllm25paged_attention_v1_kernelIthLi64ELi8ELi128ELNS_18Fp8KVCacheDataTypeE1ELb1EEEvPT_PKS2_PKT0_S8_ifPKiSA_iPKfiiiSC_SC_iiiii.numbered_sgpr, 46
	.set _ZN4vllm25paged_attention_v1_kernelIthLi64ELi8ELi128ELNS_18Fp8KVCacheDataTypeE1ELb1EEEvPT_PKS2_PKT0_S8_ifPKiSA_iPKfiiiSC_SC_iiiii.num_named_barrier, 0
	.set _ZN4vllm25paged_attention_v1_kernelIthLi64ELi8ELi128ELNS_18Fp8KVCacheDataTypeE1ELb1EEEvPT_PKS2_PKT0_S8_ifPKiSA_iPKfiiiSC_SC_iiiii.private_seg_size, 0
	.set _ZN4vllm25paged_attention_v1_kernelIthLi64ELi8ELi128ELNS_18Fp8KVCacheDataTypeE1ELb1EEEvPT_PKS2_PKT0_S8_ifPKiSA_iPKfiiiSC_SC_iiiii.uses_vcc, 1
	.set _ZN4vllm25paged_attention_v1_kernelIthLi64ELi8ELi128ELNS_18Fp8KVCacheDataTypeE1ELb1EEEvPT_PKS2_PKT0_S8_ifPKiSA_iPKfiiiSC_SC_iiiii.uses_flat_scratch, 0
	.set _ZN4vllm25paged_attention_v1_kernelIthLi64ELi8ELi128ELNS_18Fp8KVCacheDataTypeE1ELb1EEEvPT_PKS2_PKT0_S8_ifPKiSA_iPKfiiiSC_SC_iiiii.has_dyn_sized_stack, 0
	.set _ZN4vllm25paged_attention_v1_kernelIthLi64ELi8ELi128ELNS_18Fp8KVCacheDataTypeE1ELb1EEEvPT_PKS2_PKT0_S8_ifPKiSA_iPKfiiiSC_SC_iiiii.has_recursion, 0
	.set _ZN4vllm25paged_attention_v1_kernelIthLi64ELi8ELi128ELNS_18Fp8KVCacheDataTypeE1ELb1EEEvPT_PKS2_PKT0_S8_ifPKiSA_iPKfiiiSC_SC_iiiii.has_indirect_call, 0
	.section	.AMDGPU.csdata,"",@progbits
; Kernel info:
; codeLenInByte = 13216
; TotalNumSgprs: 48
; NumVgprs: 50
; ScratchSize: 0
; MemoryBound: 0
; FloatMode: 240
; IeeeMode: 1
; LDSByteSize: 160 bytes/workgroup (compile time only)
; SGPRBlocks: 0
; VGPRBlocks: 3
; NumSGPRsForWavesPerEU: 48
; NumVGPRsForWavesPerEU: 50
; NamedBarCnt: 0
; Occupancy: 16
; WaveLimiterHint : 1
; COMPUTE_PGM_RSRC2:SCRATCH_EN: 0
; COMPUTE_PGM_RSRC2:USER_SGPR: 2
; COMPUTE_PGM_RSRC2:TRAP_HANDLER: 0
; COMPUTE_PGM_RSRC2:TGID_X_EN: 1
; COMPUTE_PGM_RSRC2:TGID_Y_EN: 1
; COMPUTE_PGM_RSRC2:TGID_Z_EN: 1
; COMPUTE_PGM_RSRC2:TIDIG_COMP_CNT: 0
	.section	.text._ZN4vllm25paged_attention_v1_kernelIthLi80ELi8ELi128ELNS_18Fp8KVCacheDataTypeE1ELb1EEEvPT_PKS2_PKT0_S8_ifPKiSA_iPKfiiiSC_SC_iiiii,"axG",@progbits,_ZN4vllm25paged_attention_v1_kernelIthLi80ELi8ELi128ELNS_18Fp8KVCacheDataTypeE1ELb1EEEvPT_PKS2_PKT0_S8_ifPKiSA_iPKfiiiSC_SC_iiiii,comdat
	.protected	_ZN4vllm25paged_attention_v1_kernelIthLi80ELi8ELi128ELNS_18Fp8KVCacheDataTypeE1ELb1EEEvPT_PKS2_PKT0_S8_ifPKiSA_iPKfiiiSC_SC_iiiii ; -- Begin function _ZN4vllm25paged_attention_v1_kernelIthLi80ELi8ELi128ELNS_18Fp8KVCacheDataTypeE1ELb1EEEvPT_PKS2_PKT0_S8_ifPKiSA_iPKfiiiSC_SC_iiiii
	.globl	_ZN4vllm25paged_attention_v1_kernelIthLi80ELi8ELi128ELNS_18Fp8KVCacheDataTypeE1ELb1EEEvPT_PKS2_PKT0_S8_ifPKiSA_iPKfiiiSC_SC_iiiii
	.p2align	8
	.type	_ZN4vllm25paged_attention_v1_kernelIthLi80ELi8ELi128ELNS_18Fp8KVCacheDataTypeE1ELb1EEEvPT_PKS2_PKT0_S8_ifPKiSA_iPKfiiiSC_SC_iiiii,@function
_ZN4vllm25paged_attention_v1_kernelIthLi80ELi8ELi128ELNS_18Fp8KVCacheDataTypeE1ELb1EEEvPT_PKS2_PKT0_S8_ifPKiSA_iPKfiiiSC_SC_iiiii: ; @_ZN4vllm25paged_attention_v1_kernelIthLi80ELi8ELi128ELNS_18Fp8KVCacheDataTypeE1ELb1EEEvPT_PKS2_PKT0_S8_ifPKiSA_iPKfiiiSC_SC_iiiii
; %bb.0:
	s_load_b64 s[26:27], s[0:1], 0x20
	s_bfe_u32 s3, ttmp6, 0x4000c
	s_bfe_u32 s4, ttmp6, 0x40010
	s_and_b32 s6, ttmp7, 0xffff
	s_add_co_i32 s3, s3, 1
	s_add_co_i32 s4, s4, 1
	s_and_b32 s2, ttmp6, 15
	s_bfe_u32 s5, ttmp6, 0x40004
	s_mul_i32 s3, ttmp9, s3
	s_mul_i32 s4, s6, s4
	s_getreg_b32 s30, hwreg(HW_REG_IB_STS2, 6, 4)
	s_add_co_i32 s2, s2, s3
	s_add_co_i32 s3, s5, s4
	s_cmp_eq_u32 s30, 0
	s_clause 0x1
	s_load_b32 s31, s[0:1], 0x80
	s_load_b64 s[4:5], s[0:1], 0x30
	s_cselect_b32 s33, s6, s3
	s_cselect_b32 s2, ttmp9, s2
	s_wait_kmcnt 0x0
	s_abs_i32 s3, s26
	s_delay_alu instid0(SALU_CYCLE_1) | instskip(SKIP_1) | instid1(SALU_CYCLE_2)
	s_cvt_f32_u32 s6, s3
	s_sub_co_i32 s7, 0, s3
	v_rcp_iflag_f32_e32 v1, s6
	s_abs_i32 s8, s31
	v_nop
	s_delay_alu instid0(TRANS32_DEP_1) | instskip(SKIP_1) | instid1(SALU_CYCLE_3)
	v_readfirstlane_b32 s6, v1
	s_mul_f32 s6, s6, 0x4f7ffffe
	s_cvt_u32_f32 s6, s6
	s_delay_alu instid0(SALU_CYCLE_3) | instskip(NEXT) | instid1(SALU_CYCLE_1)
	s_mul_i32 s7, s7, s6
	s_mul_hi_u32 s7, s6, s7
	s_delay_alu instid0(SALU_CYCLE_1) | instskip(SKIP_4) | instid1(SALU_CYCLE_1)
	s_add_co_i32 s6, s6, s7
	s_xor_b32 s7, s31, s26
	s_mul_hi_u32 s6, s8, s6
	s_ashr_i32 s7, s7, 31
	s_mul_i32 s9, s6, s3
	s_sub_co_i32 s8, s8, s9
	s_add_co_i32 s9, s6, 1
	s_sub_co_i32 s10, s8, s3
	s_cmp_ge_u32 s8, s3
	s_cselect_b32 s6, s9, s6
	s_cselect_b32 s8, s10, s8
	s_add_co_i32 s9, s6, 1
	s_cmp_ge_u32 s8, s3
	s_load_b64 s[10:11], s[0:1], 0x40
	s_cselect_b32 s3, s9, s6
	s_mov_b32 s9, 0
	s_xor_b32 s3, s3, s7
	s_abs_i32 s8, s2
	s_sub_co_i32 s12, s3, s7
	s_mov_b32 s7, s9
	s_abs_i32 s19, s12
	s_mov_b32 s37, s9
	s_cvt_f32_u32 s3, s19
	s_sub_co_i32 s6, 0, s19
	s_delay_alu instid0(SALU_CYCLE_2) | instskip(SKIP_1) | instid1(TRANS32_DEP_1)
	v_rcp_iflag_f32_e32 v1, s3
	v_nop
	v_readfirstlane_b32 s3, v1
	s_mul_f32 s3, s3, 0x4f7ffffe
	s_delay_alu instid0(SALU_CYCLE_3) | instskip(NEXT) | instid1(SALU_CYCLE_3)
	s_cvt_u32_f32 s3, s3
	s_mul_i32 s6, s6, s3
	s_delay_alu instid0(SALU_CYCLE_1) | instskip(NEXT) | instid1(SALU_CYCLE_1)
	s_mul_hi_u32 s6, s3, s6
	s_add_co_i32 s6, s3, s6
	s_wait_kmcnt 0x0
	s_cmp_eq_u64 s[10:11], 0
	s_cbranch_scc1 .LBB236_2
; %bb.1:
	s_ashr_i32 s3, s2, 31
	s_delay_alu instid0(SALU_CYCLE_1) | instskip(NEXT) | instid1(SALU_CYCLE_1)
	s_lshl_b64 s[14:15], s[2:3], 2
	s_add_nc_u64 s[10:11], s[10:11], s[14:15]
	s_load_b32 s37, s[10:11], 0x0
.LBB236_2:
	s_load_b32 s34, s[4:5], s33 offset:0x0 scale_offset
	s_load_b96 s[16:18], s[0:1], 0x48
	v_and_b32_e32 v6, 3, v0
	s_wait_xcnt 0x0
	s_mul_u64 s[4:5], s[8:9], s[6:7]
	s_ashr_i32 s3, s2, 31
	s_ashr_i32 s10, s12, 31
	s_mul_i32 s6, s2, 0x50
	s_mov_b32 s4, exec_lo
	v_cmpx_gt_u32_e32 40, v0
	s_cbranch_execz .LBB236_4
; %bb.3:
	s_load_b64 s[12:13], s[0:1], 0x8
	s_wait_kmcnt 0x0
	s_mul_i32 s14, s16, s33
	s_ashr_i32 s7, s6, 31
	s_ashr_i32 s15, s14, 31
	v_and_b32_e32 v2, 0x3fc, v0
	s_lshl_b64 s[14:15], s[14:15], 1
	s_delay_alu instid0(VALU_DEP_1) | instskip(SKIP_2) | instid1(SALU_CYCLE_1)
	v_mad_u32_u24 v2, v6, 40, v2
	s_add_nc_u64 s[12:13], s[12:13], s[14:15]
	s_lshl_b64 s[14:15], s[6:7], 1
	s_add_nc_u64 s[12:13], s[12:13], s[14:15]
	global_load_b32 v1, v0, s[12:13] scale_offset
	s_wait_loadcnt 0x0
	ds_store_b32 v2, v1
.LBB236_4:
	s_or_b32 exec_lo, exec_lo, s4
	s_load_b128 s[12:15], s[0:1], 0x68
	s_mul_i32 s4, s5, s19
	s_xor_b32 s3, s3, s10
	s_sub_co_i32 s4, s8, s4
	s_add_co_i32 s7, s5, 1
	s_sub_co_i32 s8, s4, s19
	s_cmp_ge_u32 s4, s19
	s_mov_b32 s9, -1
	s_cselect_b32 s5, s7, s5
	s_cselect_b32 s4, s8, s4
	s_add_co_i32 s8, s5, 1
	s_cmp_ge_u32 s4, s19
	s_load_b32 s7, s[0:1], 0x78
	s_cselect_b32 s4, s8, s5
	s_wait_kmcnt 0x0
	s_add_co_i32 s8, s34, -1
	s_xor_b32 s4, s4, s3
	s_wait_dscnt 0x0
	s_sub_co_i32 s3, s4, s3
	s_barrier_signal -1
	s_barrier_wait -1
	s_abs_i32 s16, s15
	s_delay_alu instid0(SALU_CYCLE_1) | instskip(NEXT) | instid1(SALU_CYCLE_3)
	s_cvt_f32_u32 s5, s16
                                        ; implicit-def: $sgpr35
	v_rcp_iflag_f32_e32 v1, s5
	v_nop
	s_delay_alu instid0(TRANS32_DEP_1) | instskip(SKIP_1) | instid1(SALU_CYCLE_3)
	v_readfirstlane_b32 s5, v1
	s_mul_f32 s4, s5, 0x4f7ffffe
	s_cvt_u32_f32 s10, s4
	s_sub_co_i32 s4, 0, s16
	s_delay_alu instid0(SALU_CYCLE_2)
	s_mul_i32 s5, s4, s10
	s_abs_i32 s4, s8
	s_mul_hi_u32 s11, s10, s5
	s_mov_b32 s5, 0
	s_add_co_i32 s20, s10, s11
	s_cmp_lt_i32 s7, 0
	s_mov_b32 s21, s5
	s_cbranch_scc0 .LBB236_6
; %bb.5:
	s_mul_i32 s9, s12, s26
	s_delay_alu instid0(SALU_CYCLE_1) | instskip(NEXT) | instid1(SALU_CYCLE_1)
	s_add_co_i32 s9, s3, s9
	s_mul_i32 s9, s9, s7
	s_delay_alu instid0(SALU_CYCLE_1)
	s_sub_co_i32 s35, 1, s9
	s_mov_b32 s9, s5
.LBB236_6:
	s_ashr_i32 s8, s8, 31
	s_ashr_i32 s15, s15, 31
	s_and_not1_b32 vcc_lo, exec_lo, s9
	s_mul_u64 s[28:29], s[4:5], s[20:21]
	s_cbranch_vccnz .LBB236_8
; %bb.7:
	s_mul_i32 s5, s31, s12
	s_delay_alu instid0(SALU_CYCLE_1) | instskip(NEXT) | instid1(SALU_CYCLE_1)
	s_add_co_i32 s2, s5, s2
	s_mul_i32 s2, s2, s7
	s_delay_alu instid0(SALU_CYCLE_1)
	s_add_co_i32 s35, s2, 1
.LBB236_8:
	s_clause 0x1
	s_load_b32 s2, s[0:1], 0x38
	s_load_b64 s[22:23], s[0:1], 0x28
	s_mul_i32 s7, s29, s16
	s_xor_b32 s5, s8, s15
	s_sub_co_i32 s4, s4, s7
	s_add_co_i32 s12, s29, 1
	s_clause 0x1
	s_load_b32 s7, s[0:1], 0x88
	s_load_b128 s[8:11], s[0:1], 0x58
	v_dual_mov_b32 v16, 0xff7fffff :: v_dual_lshrrev_b32 v27, 5, v0
	v_lshrrev_b32_e32 v1, 3, v0
	v_mbcnt_lo_u32_b32 v3, -1, 0
	s_mul_i32 s18, s3, s18
	s_delay_alu instid0(VALU_DEP_3)
	v_lshlrev_b32_e32 v2, 3, v27
	s_wait_kmcnt 0x0
	s_mul_i32 s24, s2, s33
	s_sub_co_i32 s2, s4, s16
	s_ashr_i32 s25, s24, 31
	s_cmp_ge_u32 s4, s16
	s_cselect_b32 s12, s12, s29
	s_cselect_b32 s2, s2, s4
	s_add_co_i32 s4, s12, 1
	s_cmp_ge_u32 s2, s16
	s_cselect_b32 s2, s4, s12
	s_add_co_i32 s4, s34, 7
	s_delay_alu instid0(SALU_CYCLE_1) | instskip(NEXT) | instid1(SALU_CYCLE_1)
	s_ashr_i32 s12, s4, 31
	s_lshr_b32 s12, s12, 29
	s_delay_alu instid0(SALU_CYCLE_1) | instskip(NEXT) | instid1(SALU_CYCLE_1)
	s_add_co_i32 s4, s4, s12
	s_ashr_i32 s36, s4, 3
	s_xor_b32 s4, s2, s5
	v_cmp_gt_i32_e64 s2, s36, v27
	s_sub_co_i32 s12, s4, s5
	s_and_saveexec_b32 s26, s2
	s_cbranch_execz .LBB236_180
; %bb.9:
	s_load_b64 s[4:5], s[0:1], 0x10
	s_sub_co_i32 s38, s12, s13
	s_ashr_i32 s19, s18, 31
	s_cmp_neq_f32 s37, 0
	v_bfe_u32 v14, v0, 2, 3
	v_mov_b32_e32 v5, 0
	v_mul_u32_u24_e32 v15, 40, v6
	s_cselect_b32 vcc_lo, -1, 0
	s_abs_i32 s39, s14
	v_lshlrev_b32_e32 v4, 4, v14
	s_cvt_f32_u32 s3, s39
	s_lshl_b64 s[40:41], s[24:25], 2
	v_subrev_nc_u32_e32 v10, s34, v14
	v_mov_b32_e32 v16, 0xff7fffff
	v_rcp_iflag_f32_e32 v7, s3
	v_cmp_eq_u32_e64 s3, 0, v6
	s_delay_alu instid0(VALU_DEP_3)
	v_dual_mov_b32 v20, v27 :: v_dual_add_nc_u32 v17, 1, v10
	s_mov_b32 s29, 0
	v_mov_b32_e32 v19, 0xff7fffff
	s_wait_kmcnt 0x0
	s_add_nc_u64 s[4:5], s[4:5], s[18:19]
	v_readfirstlane_b32 s28, v7
	v_add_nc_u64_e32 v[8:9], s[4:5], v[4:5]
	v_lshlrev_b32_e32 v7, 2, v14
	v_lshlrev_b32_e32 v4, 1, v6
	s_add_nc_u64 s[4:5], s[22:23], s[40:41]
	s_mul_f32 s19, s28, 0x4f7ffffe
	s_sub_co_i32 s28, 0, s39
	v_lshl_or_b32 v11, v27, 5, v7
	v_add_nc_u64_e32 v[6:7], v[8:9], v[4:5]
	v_and_b32_e32 v4, 0x7c, v1
	s_cvt_u32_f32 s40, s19
	s_mov_b32 s19, s17
	v_add_nc_u32_e32 v18, 0xc0, v11
	s_delay_alu instid0(VALU_DEP_2) | instskip(SKIP_3) | instid1(SALU_CYCLE_1)
	v_add_nc_u64_e32 v[8:9], s[4:5], v[4:5]
	s_mul_i32 s28, s28, s40
	v_lshlrev_b32_e32 v4, 3, v27
	s_mul_hi_u32 s28, s40, s28
	s_add_co_i32 s28, s40, s28
	s_mov_b32 s40, s29
	s_branch .LBB236_12
.LBB236_10:                             ;   in Loop: Header=BB236_12 Depth=1
	s_or_b32 exec_lo, exec_lo, s41
.LBB236_11:                             ;   in Loop: Header=BB236_12 Depth=1
	s_delay_alu instid0(SALU_CYCLE_1) | instskip(SKIP_4) | instid1(VALU_DEP_4)
	s_or_b32 exec_lo, exec_lo, s5
	v_add_nc_u32_e32 v20, 4, v20
	v_add_nc_u64_e32 v[8:9], 16, v[8:9]
	v_add_nc_u32_e32 v4, 32, v4
	v_add_nc_u32_e32 v18, 0x80, v18
	v_cmp_le_i32_e64 s4, s36, v20
	s_or_b32 s40, s4, s40
	s_delay_alu instid0(SALU_CYCLE_1)
	s_and_not1_b32 exec_lo, exec_lo, s40
	s_cbranch_execz .LBB236_179
.LBB236_12:                             ; =>This Inner Loop Header: Depth=1
	s_wait_dscnt 0x0
	v_mul_u64_e32 v[10:11], s[20:21], v[4:5]
	s_delay_alu instid0(VALU_DEP_1) | instskip(NEXT) | instid1(VALU_DEP_1)
	v_mul_lo_u32 v10, v11, s16
	v_dual_add_nc_u32 v12, 1, v11 :: v_dual_sub_nc_u32 v10, v4, v10
	s_delay_alu instid0(VALU_DEP_1) | instskip(SKIP_1) | instid1(VALU_DEP_1)
	v_subrev_nc_u32_e32 v13, s16, v10
	v_cmp_le_u32_e64 s4, s16, v10
	v_dual_cndmask_b32 v11, v11, v12, s4 :: v_dual_cndmask_b32 v10, v10, v13, s4
	s_delay_alu instid0(VALU_DEP_1) | instskip(NEXT) | instid1(VALU_DEP_2)
	v_add_nc_u32_e32 v12, 1, v11
	v_cmp_le_u32_e64 s4, s16, v10
	s_delay_alu instid0(VALU_DEP_1) | instskip(NEXT) | instid1(VALU_DEP_1)
	v_dual_cndmask_b32 v10, v11, v12, s4 :: v_dual_mov_b32 v11, v5
	v_xor_b32_e32 v10, s15, v10
	s_delay_alu instid0(VALU_DEP_1) | instskip(NEXT) | instid1(VALU_DEP_1)
	v_subrev_nc_u32_e32 v21, s15, v10
	v_add_nc_u32_e32 v22, s35, v21
	v_cmp_ge_i32_e64 s5, s38, v21
	s_delay_alu instid0(VALU_DEP_2) | instskip(NEXT) | instid1(VALU_DEP_1)
	v_sub_nc_u32_e32 v10, 0, v22
	v_max_i32_e32 v10, v22, v10
	s_delay_alu instid0(VALU_DEP_1) | instskip(SKIP_1) | instid1(VALU_DEP_2)
	v_mul_u64_e32 v[12:13], s[28:29], v[10:11]
	v_ashrrev_i32_e32 v12, 31, v22
	v_mul_lo_u32 v11, v13, s39
	s_delay_alu instid0(VALU_DEP_1) | instskip(NEXT) | instid1(VALU_DEP_1)
	v_sub_nc_u32_e32 v10, v10, v11
	v_subrev_nc_u32_e32 v11, s39, v10
	v_cmp_le_u32_e64 s4, s39, v10
	s_delay_alu instid0(VALU_DEP_1) | instskip(NEXT) | instid1(VALU_DEP_1)
	v_cndmask_b32_e64 v10, v10, v11, s4
	v_subrev_nc_u32_e32 v11, s39, v10
	v_cmp_le_u32_e64 s4, s39, v10
	s_delay_alu instid0(VALU_DEP_1) | instskip(NEXT) | instid1(VALU_DEP_1)
	v_cndmask_b32_e64 v10, v10, v11, s4
	v_xor_b32_e32 v10, v10, v12
	s_delay_alu instid0(VALU_DEP_1) | instskip(NEXT) | instid1(VALU_DEP_1)
	v_sub_nc_u32_e32 v10, v10, v12
	v_cmp_ne_u32_e64 s4, 0, v10
	s_and_b32 s4, s4, s5
	s_delay_alu instid0(SALU_CYCLE_1) | instskip(NEXT) | instid1(SALU_CYCLE_1)
	s_and_saveexec_b32 s5, s4
	s_xor_b32 s4, exec_lo, s5
	s_cbranch_execz .LBB236_16
; %bb.13:                               ;   in Loop: Header=BB236_12 Depth=1
	s_and_saveexec_b32 s5, s3
; %bb.14:                               ;   in Loop: Header=BB236_12 Depth=1
	ds_store_b32 v18, v19
; %bb.15:                               ;   in Loop: Header=BB236_12 Depth=1
	s_or_b32 exec_lo, exec_lo, s5
.LBB236_16:                             ;   in Loop: Header=BB236_12 Depth=1
	s_and_not1_saveexec_b32 s5, s4
	s_cbranch_execz .LBB236_11
; %bb.17:                               ;   in Loop: Header=BB236_12 Depth=1
	global_load_b32 v10, v[8:9], off
	v_dual_mov_b32 v22, 0 :: v_dual_mov_b32 v23, 0
	s_mov_b32 s41, exec_lo
	global_load_b32 v21, v22, s[8:9]
	s_wait_loadcnt 0x1
	v_mad_nc_i64_i32 v[10:11], v10, s19, v[6:7]
	global_load_u16 v12, v[10:11], off
	s_wait_loadcnt 0x0
	v_and_b32_e32 v13, 0xff, v12
	v_and_b32_e32 v12, 0xffff, v12
	s_delay_alu instid0(VALU_DEP_2)
	v_cmpx_ne_u16_e32 0, v13
	s_cbranch_execz .LBB236_25
; %bb.18:                               ;   in Loop: Header=BB236_12 Depth=1
	s_delay_alu instid0(VALU_DEP_2) | instskip(SKIP_2) | instid1(VALU_DEP_2)
	v_and_b32_e32 v13, 0xff, v12
	v_mov_b32_e32 v23, 0x8000
	s_mov_b32 s42, exec_lo
	v_cmpx_ne_u16_e32 0x80, v13
	s_cbranch_execz .LBB236_24
; %bb.19:                               ;   in Loop: Header=BB236_12 Depth=1
	v_and_b32_e32 v24, 0x7f, v12
	v_mov_b32_e32 v23, 0x7c01
	s_mov_b32 s43, exec_lo
	s_delay_alu instid0(VALU_DEP_2)
	v_cmpx_ne_u32_e32 0x7f, v24
	s_cbranch_execz .LBB236_23
; %bb.20:                               ;   in Loop: Header=BB236_12 Depth=1
	v_and_b32_e32 v13, 7, v12
	v_lshrrev_b32_e32 v23, 3, v24
	s_mov_b32 s44, exec_lo
	v_cmpx_gt_u32_e32 8, v24
; %bb.21:                               ;   in Loop: Header=BB236_12 Depth=1
	s_delay_alu instid0(VALU_DEP_3) | instskip(NEXT) | instid1(VALU_DEP_1)
	v_clz_i32_u32_e32 v13, v13
	v_min_u32_e32 v13, 32, v13
	s_delay_alu instid0(VALU_DEP_1) | instskip(NEXT) | instid1(VALU_DEP_1)
	v_subrev_nc_u32_e32 v23, 28, v13
	v_lshlrev_b64_e32 v[24:25], v23, v[12:13]
	s_delay_alu instid0(VALU_DEP_1)
	v_dual_sub_nc_u32 v23, 29, v13 :: v_dual_bitop2_b32 v13, 7, v24 bitop3:0x40
; %bb.22:                               ;   in Loop: Header=BB236_12 Depth=1
	s_or_b32 exec_lo, exec_lo, s44
	s_delay_alu instid0(VALU_DEP_1) | instskip(NEXT) | instid1(VALU_DEP_2)
	v_dual_lshlrev_b32 v24, 8, v12 :: v_dual_lshlrev_b32 v13, 7, v13
	v_lshl_add_u32 v23, v23, 10, 0x2000
	s_delay_alu instid0(VALU_DEP_2) | instskip(NEXT) | instid1(VALU_DEP_2)
	v_and_b32_e32 v24, 0x8000, v24
	v_and_b32_e32 v23, 0xfc00, v23
	s_delay_alu instid0(VALU_DEP_1)
	v_or3_b32 v23, v24, v23, v13
.LBB236_23:                             ;   in Loop: Header=BB236_12 Depth=1
	s_or_b32 exec_lo, exec_lo, s43
.LBB236_24:                             ;   in Loop: Header=BB236_12 Depth=1
	s_delay_alu instid0(SALU_CYCLE_1)
	s_or_b32 exec_lo, exec_lo, s42
.LBB236_25:                             ;   in Loop: Header=BB236_12 Depth=1
	s_delay_alu instid0(SALU_CYCLE_1) | instskip(NEXT) | instid1(VALU_DEP_2)
	s_or_b32 exec_lo, exec_lo, s41
	v_lshrrev_b16 v12, 8, v12
	s_mov_b32 s41, exec_lo
	s_delay_alu instid0(VALU_DEP_1)
	v_cmpx_ne_u16_e32 0, v12
	s_cbranch_execz .LBB236_33
; %bb.26:                               ;   in Loop: Header=BB236_12 Depth=1
	v_bfrev_b32_e32 v22, 1
	s_mov_b32 s42, exec_lo
	v_cmpx_ne_u16_e32 0x80, v12
	s_cbranch_execz .LBB236_32
; %bb.27:                               ;   in Loop: Header=BB236_12 Depth=1
	v_and_b32_e32 v24, 0xffff, v12
	v_mov_b32_e32 v22, 0x7c010000
	s_mov_b32 s43, exec_lo
	s_delay_alu instid0(VALU_DEP_2) | instskip(NEXT) | instid1(VALU_DEP_1)
	v_and_b32_e32 v25, 0x7f, v24
	v_cmpx_ne_u32_e32 0x7f, v25
	s_cbranch_execz .LBB236_31
; %bb.28:                               ;   in Loop: Header=BB236_12 Depth=1
	v_dual_lshrrev_b32 v22, 3, v25 :: v_dual_bitop2_b32 v13, 7, v24 bitop3:0x40
	s_mov_b32 s44, exec_lo
	v_cmpx_gt_u32_e32 8, v25
	s_cbranch_execz .LBB236_30
; %bb.29:                               ;   in Loop: Header=BB236_12 Depth=1
	s_delay_alu instid0(VALU_DEP_2) | instskip(NEXT) | instid1(VALU_DEP_1)
	v_clz_i32_u32_e32 v13, v13
	v_min_u32_e32 v22, 32, v13
	v_mov_b32_e32 v13, v5
	s_delay_alu instid0(VALU_DEP_2) | instskip(SKIP_1) | instid1(VALU_DEP_2)
	v_subrev_nc_u32_e32 v25, 28, v22
	v_sub_nc_u32_e32 v22, 29, v22
	v_lshlrev_b64_e32 v[12:13], v25, v[12:13]
	s_delay_alu instid0(VALU_DEP_1)
	v_and_b32_e32 v13, 7, v12
.LBB236_30:                             ;   in Loop: Header=BB236_12 Depth=1
	s_or_b32 exec_lo, exec_lo, s44
	s_delay_alu instid0(VALU_DEP_1) | instskip(SKIP_1) | instid1(VALU_DEP_1)
	v_dual_lshlrev_b32 v12, 8, v24 :: v_dual_lshlrev_b32 v13, 23, v13
	v_lshl_add_u32 v22, v22, 10, 0x2000
	v_and_or_b32 v12, 0x8000, v12, v22
	s_delay_alu instid0(VALU_DEP_1)
	v_lshl_or_b32 v22, v12, 16, v13
.LBB236_31:                             ;   in Loop: Header=BB236_12 Depth=1
	s_or_b32 exec_lo, exec_lo, s43
.LBB236_32:                             ;   in Loop: Header=BB236_12 Depth=1
	s_delay_alu instid0(SALU_CYCLE_1)
	s_or_b32 exec_lo, exec_lo, s42
.LBB236_33:                             ;   in Loop: Header=BB236_12 Depth=1
	s_delay_alu instid0(SALU_CYCLE_1)
	s_or_b32 exec_lo, exec_lo, s41
	global_load_u16 v12, v[10:11], off offset:8
	v_dual_mov_b32 v24, 0 :: v_dual_mov_b32 v25, 0
	s_mov_b32 s41, exec_lo
	s_wait_loadcnt 0x0
	v_and_b32_e32 v13, 0xff, v12
	v_and_b32_e32 v12, 0xffff, v12
	s_delay_alu instid0(VALU_DEP_2)
	v_cmpx_ne_u16_e32 0, v13
	s_cbranch_execz .LBB236_41
; %bb.34:                               ;   in Loop: Header=BB236_12 Depth=1
	s_delay_alu instid0(VALU_DEP_2) | instskip(SKIP_2) | instid1(VALU_DEP_2)
	v_and_b32_e32 v13, 0xff, v12
	v_mov_b32_e32 v25, 0x8000
	s_mov_b32 s42, exec_lo
	v_cmpx_ne_u16_e32 0x80, v13
	s_cbranch_execz .LBB236_40
; %bb.35:                               ;   in Loop: Header=BB236_12 Depth=1
	v_and_b32_e32 v26, 0x7f, v12
	v_mov_b32_e32 v25, 0x7c01
	s_mov_b32 s43, exec_lo
	s_delay_alu instid0(VALU_DEP_2)
	v_cmpx_ne_u32_e32 0x7f, v26
	s_cbranch_execz .LBB236_39
; %bb.36:                               ;   in Loop: Header=BB236_12 Depth=1
	v_dual_lshrrev_b32 v25, 3, v26 :: v_dual_bitop2_b32 v13, 7, v12 bitop3:0x40
	s_mov_b32 s44, exec_lo
	v_cmpx_gt_u32_e32 8, v26
; %bb.37:                               ;   in Loop: Header=BB236_12 Depth=1
	s_delay_alu instid0(VALU_DEP_2) | instskip(NEXT) | instid1(VALU_DEP_1)
	v_clz_i32_u32_e32 v13, v13
	v_min_u32_e32 v13, 32, v13
	s_delay_alu instid0(VALU_DEP_1) | instskip(NEXT) | instid1(VALU_DEP_1)
	v_subrev_nc_u32_e32 v25, 28, v13
	v_lshlrev_b64_e32 v[28:29], v25, v[12:13]
	s_delay_alu instid0(VALU_DEP_1)
	v_dual_sub_nc_u32 v25, 29, v13 :: v_dual_bitop2_b32 v13, 7, v28 bitop3:0x40
; %bb.38:                               ;   in Loop: Header=BB236_12 Depth=1
	s_or_b32 exec_lo, exec_lo, s44
	s_delay_alu instid0(VALU_DEP_1) | instskip(NEXT) | instid1(VALU_DEP_2)
	v_dual_lshlrev_b32 v26, 8, v12 :: v_dual_lshlrev_b32 v13, 7, v13
	v_lshl_add_u32 v25, v25, 10, 0x2000
	s_delay_alu instid0(VALU_DEP_2) | instskip(NEXT) | instid1(VALU_DEP_2)
	v_and_b32_e32 v26, 0x8000, v26
	v_and_b32_e32 v25, 0xfc00, v25
	s_delay_alu instid0(VALU_DEP_1)
	v_or3_b32 v25, v26, v25, v13
.LBB236_39:                             ;   in Loop: Header=BB236_12 Depth=1
	s_or_b32 exec_lo, exec_lo, s43
.LBB236_40:                             ;   in Loop: Header=BB236_12 Depth=1
	s_delay_alu instid0(SALU_CYCLE_1)
	s_or_b32 exec_lo, exec_lo, s42
.LBB236_41:                             ;   in Loop: Header=BB236_12 Depth=1
	s_delay_alu instid0(SALU_CYCLE_1) | instskip(NEXT) | instid1(VALU_DEP_2)
	s_or_b32 exec_lo, exec_lo, s41
	v_lshrrev_b16 v12, 8, v12
	s_mov_b32 s41, exec_lo
	s_delay_alu instid0(VALU_DEP_1)
	v_cmpx_ne_u16_e32 0, v12
	s_cbranch_execz .LBB236_49
; %bb.42:                               ;   in Loop: Header=BB236_12 Depth=1
	v_bfrev_b32_e32 v24, 1
	s_mov_b32 s42, exec_lo
	v_cmpx_ne_u16_e32 0x80, v12
	s_cbranch_execz .LBB236_48
; %bb.43:                               ;   in Loop: Header=BB236_12 Depth=1
	v_and_b32_e32 v26, 0xffff, v12
	v_mov_b32_e32 v24, 0x7c010000
	s_mov_b32 s43, exec_lo
	s_delay_alu instid0(VALU_DEP_2) | instskip(NEXT) | instid1(VALU_DEP_1)
	v_and_b32_e32 v28, 0x7f, v26
	v_cmpx_ne_u32_e32 0x7f, v28
	s_cbranch_execz .LBB236_47
; %bb.44:                               ;   in Loop: Header=BB236_12 Depth=1
	v_dual_lshrrev_b32 v24, 3, v28 :: v_dual_bitop2_b32 v13, 7, v26 bitop3:0x40
	s_mov_b32 s44, exec_lo
	v_cmpx_gt_u32_e32 8, v28
	s_cbranch_execz .LBB236_46
; %bb.45:                               ;   in Loop: Header=BB236_12 Depth=1
	s_delay_alu instid0(VALU_DEP_2) | instskip(NEXT) | instid1(VALU_DEP_1)
	v_clz_i32_u32_e32 v13, v13
	v_min_u32_e32 v24, 32, v13
	v_mov_b32_e32 v13, v5
	s_delay_alu instid0(VALU_DEP_2) | instskip(SKIP_1) | instid1(VALU_DEP_2)
	v_subrev_nc_u32_e32 v28, 28, v24
	v_sub_nc_u32_e32 v24, 29, v24
	v_lshlrev_b64_e32 v[12:13], v28, v[12:13]
	s_delay_alu instid0(VALU_DEP_1)
	v_and_b32_e32 v13, 7, v12
.LBB236_46:                             ;   in Loop: Header=BB236_12 Depth=1
	s_or_b32 exec_lo, exec_lo, s44
	s_delay_alu instid0(VALU_DEP_1) | instskip(SKIP_1) | instid1(VALU_DEP_1)
	v_dual_lshlrev_b32 v12, 8, v26 :: v_dual_lshlrev_b32 v13, 23, v13
	v_lshl_add_u32 v24, v24, 10, 0x2000
	v_and_or_b32 v12, 0x8000, v12, v24
	s_delay_alu instid0(VALU_DEP_1)
	v_lshl_or_b32 v24, v12, 16, v13
.LBB236_47:                             ;   in Loop: Header=BB236_12 Depth=1
	s_or_b32 exec_lo, exec_lo, s43
.LBB236_48:                             ;   in Loop: Header=BB236_12 Depth=1
	s_delay_alu instid0(SALU_CYCLE_1)
	s_or_b32 exec_lo, exec_lo, s42
.LBB236_49:                             ;   in Loop: Header=BB236_12 Depth=1
	s_delay_alu instid0(SALU_CYCLE_1)
	s_or_b32 exec_lo, exec_lo, s41
	global_load_u16 v12, v[10:11], off offset:128
	v_dual_mov_b32 v26, 0 :: v_dual_mov_b32 v28, 0
	s_mov_b32 s41, exec_lo
	s_wait_loadcnt 0x0
	v_and_b32_e32 v13, 0xff, v12
	v_and_b32_e32 v12, 0xffff, v12
	s_delay_alu instid0(VALU_DEP_2)
	v_cmpx_ne_u16_e32 0, v13
	s_cbranch_execz .LBB236_57
; %bb.50:                               ;   in Loop: Header=BB236_12 Depth=1
	s_delay_alu instid0(VALU_DEP_2) | instskip(SKIP_2) | instid1(VALU_DEP_2)
	v_and_b32_e32 v13, 0xff, v12
	v_mov_b32_e32 v28, 0x8000
	s_mov_b32 s42, exec_lo
	v_cmpx_ne_u16_e32 0x80, v13
	s_cbranch_execz .LBB236_56
; %bb.51:                               ;   in Loop: Header=BB236_12 Depth=1
	v_and_b32_e32 v29, 0x7f, v12
	v_mov_b32_e32 v28, 0x7c01
	s_mov_b32 s43, exec_lo
	s_delay_alu instid0(VALU_DEP_2)
	v_cmpx_ne_u32_e32 0x7f, v29
	s_cbranch_execz .LBB236_55
; %bb.52:                               ;   in Loop: Header=BB236_12 Depth=1
	v_dual_lshrrev_b32 v28, 3, v29 :: v_dual_bitop2_b32 v13, 7, v12 bitop3:0x40
	s_mov_b32 s44, exec_lo
	v_cmpx_gt_u32_e32 8, v29
; %bb.53:                               ;   in Loop: Header=BB236_12 Depth=1
	s_delay_alu instid0(VALU_DEP_2) | instskip(NEXT) | instid1(VALU_DEP_1)
	v_clz_i32_u32_e32 v13, v13
	v_min_u32_e32 v13, 32, v13
	s_delay_alu instid0(VALU_DEP_1) | instskip(NEXT) | instid1(VALU_DEP_1)
	v_subrev_nc_u32_e32 v28, 28, v13
	v_lshlrev_b64_e32 v[30:31], v28, v[12:13]
	s_delay_alu instid0(VALU_DEP_1)
	v_dual_sub_nc_u32 v28, 29, v13 :: v_dual_bitop2_b32 v13, 7, v30 bitop3:0x40
; %bb.54:                               ;   in Loop: Header=BB236_12 Depth=1
	s_or_b32 exec_lo, exec_lo, s44
	s_delay_alu instid0(VALU_DEP_1) | instskip(NEXT) | instid1(VALU_DEP_2)
	v_dual_lshlrev_b32 v29, 8, v12 :: v_dual_lshlrev_b32 v13, 7, v13
	v_lshl_add_u32 v28, v28, 10, 0x2000
	s_delay_alu instid0(VALU_DEP_2) | instskip(NEXT) | instid1(VALU_DEP_2)
	v_and_b32_e32 v29, 0x8000, v29
	v_and_b32_e32 v28, 0xfc00, v28
	s_delay_alu instid0(VALU_DEP_1)
	v_or3_b32 v28, v29, v28, v13
.LBB236_55:                             ;   in Loop: Header=BB236_12 Depth=1
	s_or_b32 exec_lo, exec_lo, s43
.LBB236_56:                             ;   in Loop: Header=BB236_12 Depth=1
	s_delay_alu instid0(SALU_CYCLE_1)
	s_or_b32 exec_lo, exec_lo, s42
.LBB236_57:                             ;   in Loop: Header=BB236_12 Depth=1
	s_delay_alu instid0(SALU_CYCLE_1) | instskip(NEXT) | instid1(VALU_DEP_2)
	s_or_b32 exec_lo, exec_lo, s41
	v_lshrrev_b16 v12, 8, v12
	s_mov_b32 s41, exec_lo
	s_delay_alu instid0(VALU_DEP_1)
	v_cmpx_ne_u16_e32 0, v12
	s_cbranch_execz .LBB236_65
; %bb.58:                               ;   in Loop: Header=BB236_12 Depth=1
	v_bfrev_b32_e32 v26, 1
	s_mov_b32 s42, exec_lo
	v_cmpx_ne_u16_e32 0x80, v12
	s_cbranch_execz .LBB236_64
; %bb.59:                               ;   in Loop: Header=BB236_12 Depth=1
	v_and_b32_e32 v29, 0xffff, v12
	v_mov_b32_e32 v26, 0x7c010000
	s_mov_b32 s43, exec_lo
	s_delay_alu instid0(VALU_DEP_2) | instskip(NEXT) | instid1(VALU_DEP_1)
	v_and_b32_e32 v30, 0x7f, v29
	v_cmpx_ne_u32_e32 0x7f, v30
	s_cbranch_execz .LBB236_63
; %bb.60:                               ;   in Loop: Header=BB236_12 Depth=1
	v_dual_lshrrev_b32 v26, 3, v30 :: v_dual_bitop2_b32 v13, 7, v29 bitop3:0x40
	s_mov_b32 s44, exec_lo
	v_cmpx_gt_u32_e32 8, v30
	s_cbranch_execz .LBB236_62
; %bb.61:                               ;   in Loop: Header=BB236_12 Depth=1
	s_delay_alu instid0(VALU_DEP_2) | instskip(NEXT) | instid1(VALU_DEP_1)
	v_clz_i32_u32_e32 v13, v13
	v_min_u32_e32 v26, 32, v13
	v_mov_b32_e32 v13, v5
	s_delay_alu instid0(VALU_DEP_2) | instskip(SKIP_1) | instid1(VALU_DEP_2)
	v_subrev_nc_u32_e32 v30, 28, v26
	v_sub_nc_u32_e32 v26, 29, v26
	v_lshlrev_b64_e32 v[12:13], v30, v[12:13]
	s_delay_alu instid0(VALU_DEP_1)
	v_and_b32_e32 v13, 7, v12
.LBB236_62:                             ;   in Loop: Header=BB236_12 Depth=1
	s_or_b32 exec_lo, exec_lo, s44
	v_lshlrev_b32_e32 v12, 8, v29
	v_lshl_add_u32 v26, v26, 10, 0x2000
	s_delay_alu instid0(VALU_DEP_3) | instskip(NEXT) | instid1(VALU_DEP_2)
	v_lshlrev_b32_e32 v13, 23, v13
	v_and_or_b32 v12, 0x8000, v12, v26
	s_delay_alu instid0(VALU_DEP_1)
	v_lshl_or_b32 v26, v12, 16, v13
.LBB236_63:                             ;   in Loop: Header=BB236_12 Depth=1
	s_or_b32 exec_lo, exec_lo, s43
.LBB236_64:                             ;   in Loop: Header=BB236_12 Depth=1
	s_delay_alu instid0(SALU_CYCLE_1)
	s_or_b32 exec_lo, exec_lo, s42
.LBB236_65:                             ;   in Loop: Header=BB236_12 Depth=1
	s_delay_alu instid0(SALU_CYCLE_1)
	s_or_b32 exec_lo, exec_lo, s41
	global_load_u16 v12, v[10:11], off offset:136
	v_dual_mov_b32 v29, 0 :: v_dual_mov_b32 v30, 0
	s_mov_b32 s41, exec_lo
	s_wait_loadcnt 0x0
	v_and_b32_e32 v13, 0xff, v12
	v_and_b32_e32 v12, 0xffff, v12
	s_delay_alu instid0(VALU_DEP_2)
	v_cmpx_ne_u16_e32 0, v13
	s_cbranch_execz .LBB236_73
; %bb.66:                               ;   in Loop: Header=BB236_12 Depth=1
	s_delay_alu instid0(VALU_DEP_2) | instskip(SKIP_2) | instid1(VALU_DEP_2)
	v_and_b32_e32 v13, 0xff, v12
	v_mov_b32_e32 v30, 0x8000
	s_mov_b32 s42, exec_lo
	v_cmpx_ne_u16_e32 0x80, v13
	s_cbranch_execz .LBB236_72
; %bb.67:                               ;   in Loop: Header=BB236_12 Depth=1
	v_and_b32_e32 v31, 0x7f, v12
	v_mov_b32_e32 v30, 0x7c01
	s_mov_b32 s43, exec_lo
	s_delay_alu instid0(VALU_DEP_2)
	v_cmpx_ne_u32_e32 0x7f, v31
	s_cbranch_execz .LBB236_71
; %bb.68:                               ;   in Loop: Header=BB236_12 Depth=1
	v_dual_lshrrev_b32 v30, 3, v31 :: v_dual_bitop2_b32 v13, 7, v12 bitop3:0x40
	s_mov_b32 s44, exec_lo
	v_cmpx_gt_u32_e32 8, v31
; %bb.69:                               ;   in Loop: Header=BB236_12 Depth=1
	s_delay_alu instid0(VALU_DEP_2) | instskip(NEXT) | instid1(VALU_DEP_1)
	v_clz_i32_u32_e32 v13, v13
	v_min_u32_e32 v13, 32, v13
	s_delay_alu instid0(VALU_DEP_1) | instskip(NEXT) | instid1(VALU_DEP_1)
	v_subrev_nc_u32_e32 v30, 28, v13
	v_lshlrev_b64_e32 v[32:33], v30, v[12:13]
	s_delay_alu instid0(VALU_DEP_1)
	v_dual_sub_nc_u32 v30, 29, v13 :: v_dual_bitop2_b32 v13, 7, v32 bitop3:0x40
; %bb.70:                               ;   in Loop: Header=BB236_12 Depth=1
	s_or_b32 exec_lo, exec_lo, s44
	s_delay_alu instid0(VALU_DEP_1) | instskip(NEXT) | instid1(VALU_DEP_2)
	v_dual_lshlrev_b32 v31, 8, v12 :: v_dual_lshlrev_b32 v13, 7, v13
	v_lshl_add_u32 v30, v30, 10, 0x2000
	s_delay_alu instid0(VALU_DEP_2) | instskip(NEXT) | instid1(VALU_DEP_2)
	v_and_b32_e32 v31, 0x8000, v31
	v_and_b32_e32 v30, 0xfc00, v30
	s_delay_alu instid0(VALU_DEP_1)
	v_or3_b32 v30, v31, v30, v13
.LBB236_71:                             ;   in Loop: Header=BB236_12 Depth=1
	s_or_b32 exec_lo, exec_lo, s43
.LBB236_72:                             ;   in Loop: Header=BB236_12 Depth=1
	s_delay_alu instid0(SALU_CYCLE_1)
	s_or_b32 exec_lo, exec_lo, s42
.LBB236_73:                             ;   in Loop: Header=BB236_12 Depth=1
	s_delay_alu instid0(SALU_CYCLE_1) | instskip(NEXT) | instid1(VALU_DEP_2)
	s_or_b32 exec_lo, exec_lo, s41
	v_lshrrev_b16 v12, 8, v12
	s_mov_b32 s41, exec_lo
	s_delay_alu instid0(VALU_DEP_1)
	v_cmpx_ne_u16_e32 0, v12
	s_cbranch_execz .LBB236_81
; %bb.74:                               ;   in Loop: Header=BB236_12 Depth=1
	v_bfrev_b32_e32 v29, 1
	s_mov_b32 s42, exec_lo
	v_cmpx_ne_u16_e32 0x80, v12
	s_cbranch_execz .LBB236_80
; %bb.75:                               ;   in Loop: Header=BB236_12 Depth=1
	v_and_b32_e32 v31, 0xffff, v12
	v_mov_b32_e32 v29, 0x7c010000
	s_mov_b32 s43, exec_lo
	s_delay_alu instid0(VALU_DEP_2) | instskip(NEXT) | instid1(VALU_DEP_1)
	v_and_b32_e32 v32, 0x7f, v31
	v_cmpx_ne_u32_e32 0x7f, v32
	s_cbranch_execz .LBB236_79
; %bb.76:                               ;   in Loop: Header=BB236_12 Depth=1
	v_dual_lshrrev_b32 v29, 3, v32 :: v_dual_bitop2_b32 v13, 7, v31 bitop3:0x40
	s_mov_b32 s44, exec_lo
	v_cmpx_gt_u32_e32 8, v32
	s_cbranch_execz .LBB236_78
; %bb.77:                               ;   in Loop: Header=BB236_12 Depth=1
	s_delay_alu instid0(VALU_DEP_2) | instskip(NEXT) | instid1(VALU_DEP_1)
	v_clz_i32_u32_e32 v13, v13
	v_min_u32_e32 v29, 32, v13
	v_mov_b32_e32 v13, v5
	s_delay_alu instid0(VALU_DEP_2) | instskip(SKIP_1) | instid1(VALU_DEP_2)
	v_subrev_nc_u32_e32 v32, 28, v29
	v_sub_nc_u32_e32 v29, 29, v29
	v_lshlrev_b64_e32 v[12:13], v32, v[12:13]
	s_delay_alu instid0(VALU_DEP_1)
	v_and_b32_e32 v13, 7, v12
.LBB236_78:                             ;   in Loop: Header=BB236_12 Depth=1
	s_or_b32 exec_lo, exec_lo, s44
	s_delay_alu instid0(VALU_DEP_1) | instskip(SKIP_1) | instid1(VALU_DEP_1)
	v_dual_lshlrev_b32 v12, 8, v31 :: v_dual_lshlrev_b32 v13, 23, v13
	v_lshl_add_u32 v29, v29, 10, 0x2000
	v_and_or_b32 v12, 0x8000, v12, v29
	s_delay_alu instid0(VALU_DEP_1)
	v_lshl_or_b32 v29, v12, 16, v13
.LBB236_79:                             ;   in Loop: Header=BB236_12 Depth=1
	s_or_b32 exec_lo, exec_lo, s43
.LBB236_80:                             ;   in Loop: Header=BB236_12 Depth=1
	s_delay_alu instid0(SALU_CYCLE_1)
	s_or_b32 exec_lo, exec_lo, s42
.LBB236_81:                             ;   in Loop: Header=BB236_12 Depth=1
	s_delay_alu instid0(SALU_CYCLE_1)
	s_or_b32 exec_lo, exec_lo, s41
	global_load_u16 v12, v[10:11], off offset:256
	v_dual_mov_b32 v31, 0 :: v_dual_mov_b32 v32, 0
	s_mov_b32 s41, exec_lo
	s_wait_loadcnt 0x0
	v_and_b32_e32 v13, 0xff, v12
	v_and_b32_e32 v12, 0xffff, v12
	s_delay_alu instid0(VALU_DEP_2)
	v_cmpx_ne_u16_e32 0, v13
	s_cbranch_execz .LBB236_89
; %bb.82:                               ;   in Loop: Header=BB236_12 Depth=1
	s_delay_alu instid0(VALU_DEP_2) | instskip(SKIP_2) | instid1(VALU_DEP_2)
	v_and_b32_e32 v13, 0xff, v12
	v_mov_b32_e32 v32, 0x8000
	s_mov_b32 s42, exec_lo
	v_cmpx_ne_u16_e32 0x80, v13
	s_cbranch_execz .LBB236_88
; %bb.83:                               ;   in Loop: Header=BB236_12 Depth=1
	v_and_b32_e32 v33, 0x7f, v12
	v_mov_b32_e32 v32, 0x7c01
	s_mov_b32 s43, exec_lo
	s_delay_alu instid0(VALU_DEP_2)
	v_cmpx_ne_u32_e32 0x7f, v33
	s_cbranch_execz .LBB236_87
; %bb.84:                               ;   in Loop: Header=BB236_12 Depth=1
	v_dual_lshrrev_b32 v32, 3, v33 :: v_dual_bitop2_b32 v13, 7, v12 bitop3:0x40
	s_mov_b32 s44, exec_lo
	v_cmpx_gt_u32_e32 8, v33
; %bb.85:                               ;   in Loop: Header=BB236_12 Depth=1
	s_delay_alu instid0(VALU_DEP_2) | instskip(NEXT) | instid1(VALU_DEP_1)
	v_clz_i32_u32_e32 v13, v13
	v_min_u32_e32 v13, 32, v13
	s_delay_alu instid0(VALU_DEP_1) | instskip(NEXT) | instid1(VALU_DEP_1)
	v_subrev_nc_u32_e32 v32, 28, v13
	v_lshlrev_b64_e32 v[34:35], v32, v[12:13]
	s_delay_alu instid0(VALU_DEP_1)
	v_dual_sub_nc_u32 v32, 29, v13 :: v_dual_bitop2_b32 v13, 7, v34 bitop3:0x40
; %bb.86:                               ;   in Loop: Header=BB236_12 Depth=1
	s_or_b32 exec_lo, exec_lo, s44
	s_delay_alu instid0(VALU_DEP_1) | instskip(NEXT) | instid1(VALU_DEP_2)
	v_dual_lshlrev_b32 v33, 8, v12 :: v_dual_lshlrev_b32 v13, 7, v13
	v_lshl_add_u32 v32, v32, 10, 0x2000
	s_delay_alu instid0(VALU_DEP_2) | instskip(NEXT) | instid1(VALU_DEP_2)
	v_and_b32_e32 v33, 0x8000, v33
	v_and_b32_e32 v32, 0xfc00, v32
	s_delay_alu instid0(VALU_DEP_1)
	v_or3_b32 v32, v33, v32, v13
.LBB236_87:                             ;   in Loop: Header=BB236_12 Depth=1
	s_or_b32 exec_lo, exec_lo, s43
.LBB236_88:                             ;   in Loop: Header=BB236_12 Depth=1
	s_delay_alu instid0(SALU_CYCLE_1)
	s_or_b32 exec_lo, exec_lo, s42
.LBB236_89:                             ;   in Loop: Header=BB236_12 Depth=1
	s_delay_alu instid0(SALU_CYCLE_1) | instskip(NEXT) | instid1(VALU_DEP_2)
	s_or_b32 exec_lo, exec_lo, s41
	v_lshrrev_b16 v12, 8, v12
	s_mov_b32 s41, exec_lo
	s_delay_alu instid0(VALU_DEP_1)
	v_cmpx_ne_u16_e32 0, v12
	s_cbranch_execz .LBB236_97
; %bb.90:                               ;   in Loop: Header=BB236_12 Depth=1
	v_bfrev_b32_e32 v31, 1
	s_mov_b32 s42, exec_lo
	v_cmpx_ne_u16_e32 0x80, v12
	s_cbranch_execz .LBB236_96
; %bb.91:                               ;   in Loop: Header=BB236_12 Depth=1
	v_and_b32_e32 v33, 0xffff, v12
	v_mov_b32_e32 v31, 0x7c010000
	s_mov_b32 s43, exec_lo
	s_delay_alu instid0(VALU_DEP_2) | instskip(NEXT) | instid1(VALU_DEP_1)
	v_and_b32_e32 v34, 0x7f, v33
	v_cmpx_ne_u32_e32 0x7f, v34
	s_cbranch_execz .LBB236_95
; %bb.92:                               ;   in Loop: Header=BB236_12 Depth=1
	v_dual_lshrrev_b32 v31, 3, v34 :: v_dual_bitop2_b32 v13, 7, v33 bitop3:0x40
	s_mov_b32 s44, exec_lo
	v_cmpx_gt_u32_e32 8, v34
	s_cbranch_execz .LBB236_94
; %bb.93:                               ;   in Loop: Header=BB236_12 Depth=1
	s_delay_alu instid0(VALU_DEP_2) | instskip(NEXT) | instid1(VALU_DEP_1)
	v_clz_i32_u32_e32 v13, v13
	v_min_u32_e32 v31, 32, v13
	v_mov_b32_e32 v13, v5
	s_delay_alu instid0(VALU_DEP_2) | instskip(SKIP_1) | instid1(VALU_DEP_2)
	v_subrev_nc_u32_e32 v34, 28, v31
	v_sub_nc_u32_e32 v31, 29, v31
	v_lshlrev_b64_e32 v[12:13], v34, v[12:13]
	s_delay_alu instid0(VALU_DEP_1)
	v_and_b32_e32 v13, 7, v12
.LBB236_94:                             ;   in Loop: Header=BB236_12 Depth=1
	s_or_b32 exec_lo, exec_lo, s44
	v_lshlrev_b32_e32 v12, 8, v33
	v_lshl_add_u32 v31, v31, 10, 0x2000
	s_delay_alu instid0(VALU_DEP_3) | instskip(NEXT) | instid1(VALU_DEP_2)
	v_lshlrev_b32_e32 v13, 23, v13
	v_and_or_b32 v12, 0x8000, v12, v31
	s_delay_alu instid0(VALU_DEP_1)
	v_lshl_or_b32 v31, v12, 16, v13
.LBB236_95:                             ;   in Loop: Header=BB236_12 Depth=1
	s_or_b32 exec_lo, exec_lo, s43
.LBB236_96:                             ;   in Loop: Header=BB236_12 Depth=1
	s_delay_alu instid0(SALU_CYCLE_1)
	s_or_b32 exec_lo, exec_lo, s42
.LBB236_97:                             ;   in Loop: Header=BB236_12 Depth=1
	s_delay_alu instid0(SALU_CYCLE_1)
	s_or_b32 exec_lo, exec_lo, s41
	global_load_u16 v12, v[10:11], off offset:264
	v_dual_mov_b32 v33, 0 :: v_dual_mov_b32 v34, 0
	s_mov_b32 s41, exec_lo
	s_wait_loadcnt 0x0
	v_and_b32_e32 v13, 0xff, v12
	v_and_b32_e32 v12, 0xffff, v12
	s_delay_alu instid0(VALU_DEP_2)
	v_cmpx_ne_u16_e32 0, v13
	s_cbranch_execz .LBB236_105
; %bb.98:                               ;   in Loop: Header=BB236_12 Depth=1
	s_delay_alu instid0(VALU_DEP_2) | instskip(SKIP_2) | instid1(VALU_DEP_2)
	v_and_b32_e32 v13, 0xff, v12
	v_mov_b32_e32 v34, 0x8000
	s_mov_b32 s42, exec_lo
	v_cmpx_ne_u16_e32 0x80, v13
	s_cbranch_execz .LBB236_104
; %bb.99:                               ;   in Loop: Header=BB236_12 Depth=1
	v_and_b32_e32 v35, 0x7f, v12
	v_mov_b32_e32 v34, 0x7c01
	s_mov_b32 s43, exec_lo
	s_delay_alu instid0(VALU_DEP_2)
	v_cmpx_ne_u32_e32 0x7f, v35
	s_cbranch_execz .LBB236_103
; %bb.100:                              ;   in Loop: Header=BB236_12 Depth=1
	v_dual_lshrrev_b32 v34, 3, v35 :: v_dual_bitop2_b32 v13, 7, v12 bitop3:0x40
	s_mov_b32 s44, exec_lo
	v_cmpx_gt_u32_e32 8, v35
; %bb.101:                              ;   in Loop: Header=BB236_12 Depth=1
	s_delay_alu instid0(VALU_DEP_2) | instskip(NEXT) | instid1(VALU_DEP_1)
	v_clz_i32_u32_e32 v13, v13
	v_min_u32_e32 v13, 32, v13
	s_delay_alu instid0(VALU_DEP_1) | instskip(NEXT) | instid1(VALU_DEP_1)
	v_subrev_nc_u32_e32 v34, 28, v13
	v_lshlrev_b64_e32 v[36:37], v34, v[12:13]
	s_delay_alu instid0(VALU_DEP_1)
	v_dual_sub_nc_u32 v34, 29, v13 :: v_dual_bitop2_b32 v13, 7, v36 bitop3:0x40
; %bb.102:                              ;   in Loop: Header=BB236_12 Depth=1
	s_or_b32 exec_lo, exec_lo, s44
	s_delay_alu instid0(VALU_DEP_1) | instskip(NEXT) | instid1(VALU_DEP_2)
	v_dual_lshlrev_b32 v35, 8, v12 :: v_dual_lshlrev_b32 v13, 7, v13
	v_lshl_add_u32 v34, v34, 10, 0x2000
	s_delay_alu instid0(VALU_DEP_2) | instskip(NEXT) | instid1(VALU_DEP_2)
	v_and_b32_e32 v35, 0x8000, v35
	v_and_b32_e32 v34, 0xfc00, v34
	s_delay_alu instid0(VALU_DEP_1)
	v_or3_b32 v34, v35, v34, v13
.LBB236_103:                            ;   in Loop: Header=BB236_12 Depth=1
	s_or_b32 exec_lo, exec_lo, s43
.LBB236_104:                            ;   in Loop: Header=BB236_12 Depth=1
	s_delay_alu instid0(SALU_CYCLE_1)
	s_or_b32 exec_lo, exec_lo, s42
.LBB236_105:                            ;   in Loop: Header=BB236_12 Depth=1
	s_delay_alu instid0(SALU_CYCLE_1) | instskip(NEXT) | instid1(VALU_DEP_2)
	s_or_b32 exec_lo, exec_lo, s41
	v_lshrrev_b16 v12, 8, v12
	s_mov_b32 s41, exec_lo
	s_delay_alu instid0(VALU_DEP_1)
	v_cmpx_ne_u16_e32 0, v12
	s_cbranch_execz .LBB236_113
; %bb.106:                              ;   in Loop: Header=BB236_12 Depth=1
	v_bfrev_b32_e32 v33, 1
	s_mov_b32 s42, exec_lo
	v_cmpx_ne_u16_e32 0x80, v12
	s_cbranch_execz .LBB236_112
; %bb.107:                              ;   in Loop: Header=BB236_12 Depth=1
	v_and_b32_e32 v35, 0xffff, v12
	v_mov_b32_e32 v33, 0x7c010000
	s_mov_b32 s43, exec_lo
	s_delay_alu instid0(VALU_DEP_2) | instskip(NEXT) | instid1(VALU_DEP_1)
	v_and_b32_e32 v36, 0x7f, v35
	v_cmpx_ne_u32_e32 0x7f, v36
	s_cbranch_execz .LBB236_111
; %bb.108:                              ;   in Loop: Header=BB236_12 Depth=1
	v_dual_lshrrev_b32 v33, 3, v36 :: v_dual_bitop2_b32 v13, 7, v35 bitop3:0x40
	s_mov_b32 s44, exec_lo
	v_cmpx_gt_u32_e32 8, v36
	s_cbranch_execz .LBB236_110
; %bb.109:                              ;   in Loop: Header=BB236_12 Depth=1
	s_delay_alu instid0(VALU_DEP_2) | instskip(NEXT) | instid1(VALU_DEP_1)
	v_clz_i32_u32_e32 v13, v13
	v_min_u32_e32 v33, 32, v13
	v_mov_b32_e32 v13, v5
	s_delay_alu instid0(VALU_DEP_2) | instskip(SKIP_1) | instid1(VALU_DEP_2)
	v_subrev_nc_u32_e32 v36, 28, v33
	v_sub_nc_u32_e32 v33, 29, v33
	v_lshlrev_b64_e32 v[12:13], v36, v[12:13]
	s_delay_alu instid0(VALU_DEP_1)
	v_and_b32_e32 v13, 7, v12
.LBB236_110:                            ;   in Loop: Header=BB236_12 Depth=1
	s_or_b32 exec_lo, exec_lo, s44
	s_delay_alu instid0(VALU_DEP_1) | instskip(SKIP_1) | instid1(VALU_DEP_1)
	v_dual_lshlrev_b32 v12, 8, v35 :: v_dual_lshlrev_b32 v13, 23, v13
	v_lshl_add_u32 v33, v33, 10, 0x2000
	v_and_or_b32 v12, 0x8000, v12, v33
	s_delay_alu instid0(VALU_DEP_1)
	v_lshl_or_b32 v33, v12, 16, v13
.LBB236_111:                            ;   in Loop: Header=BB236_12 Depth=1
	s_or_b32 exec_lo, exec_lo, s43
.LBB236_112:                            ;   in Loop: Header=BB236_12 Depth=1
	s_delay_alu instid0(SALU_CYCLE_1)
	s_or_b32 exec_lo, exec_lo, s42
.LBB236_113:                            ;   in Loop: Header=BB236_12 Depth=1
	s_delay_alu instid0(SALU_CYCLE_1)
	s_or_b32 exec_lo, exec_lo, s41
	global_load_u16 v12, v[10:11], off offset:384
	v_dual_mov_b32 v35, 0 :: v_dual_mov_b32 v36, 0
	s_mov_b32 s41, exec_lo
	s_wait_loadcnt 0x0
	v_and_b32_e32 v13, 0xff, v12
	v_and_b32_e32 v12, 0xffff, v12
	s_delay_alu instid0(VALU_DEP_2)
	v_cmpx_ne_u16_e32 0, v13
	s_cbranch_execz .LBB236_121
; %bb.114:                              ;   in Loop: Header=BB236_12 Depth=1
	s_delay_alu instid0(VALU_DEP_2) | instskip(SKIP_2) | instid1(VALU_DEP_2)
	v_and_b32_e32 v13, 0xff, v12
	v_mov_b32_e32 v36, 0x8000
	s_mov_b32 s42, exec_lo
	v_cmpx_ne_u16_e32 0x80, v13
	s_cbranch_execz .LBB236_120
; %bb.115:                              ;   in Loop: Header=BB236_12 Depth=1
	v_and_b32_e32 v37, 0x7f, v12
	v_mov_b32_e32 v36, 0x7c01
	s_mov_b32 s43, exec_lo
	s_delay_alu instid0(VALU_DEP_2)
	v_cmpx_ne_u32_e32 0x7f, v37
	s_cbranch_execz .LBB236_119
; %bb.116:                              ;   in Loop: Header=BB236_12 Depth=1
	v_dual_lshrrev_b32 v36, 3, v37 :: v_dual_bitop2_b32 v13, 7, v12 bitop3:0x40
	s_mov_b32 s44, exec_lo
	v_cmpx_gt_u32_e32 8, v37
; %bb.117:                              ;   in Loop: Header=BB236_12 Depth=1
	s_delay_alu instid0(VALU_DEP_2) | instskip(NEXT) | instid1(VALU_DEP_1)
	v_clz_i32_u32_e32 v13, v13
	v_min_u32_e32 v13, 32, v13
	s_delay_alu instid0(VALU_DEP_1) | instskip(NEXT) | instid1(VALU_DEP_1)
	v_subrev_nc_u32_e32 v36, 28, v13
	v_lshlrev_b64_e32 v[38:39], v36, v[12:13]
	s_delay_alu instid0(VALU_DEP_1)
	v_dual_sub_nc_u32 v36, 29, v13 :: v_dual_bitop2_b32 v13, 7, v38 bitop3:0x40
; %bb.118:                              ;   in Loop: Header=BB236_12 Depth=1
	s_or_b32 exec_lo, exec_lo, s44
	s_delay_alu instid0(VALU_DEP_1) | instskip(NEXT) | instid1(VALU_DEP_2)
	v_dual_lshlrev_b32 v37, 8, v12 :: v_dual_lshlrev_b32 v13, 7, v13
	v_lshl_add_u32 v36, v36, 10, 0x2000
	s_delay_alu instid0(VALU_DEP_2) | instskip(NEXT) | instid1(VALU_DEP_2)
	v_and_b32_e32 v37, 0x8000, v37
	v_and_b32_e32 v36, 0xfc00, v36
	s_delay_alu instid0(VALU_DEP_1)
	v_or3_b32 v36, v37, v36, v13
.LBB236_119:                            ;   in Loop: Header=BB236_12 Depth=1
	s_or_b32 exec_lo, exec_lo, s43
.LBB236_120:                            ;   in Loop: Header=BB236_12 Depth=1
	s_delay_alu instid0(SALU_CYCLE_1)
	s_or_b32 exec_lo, exec_lo, s42
.LBB236_121:                            ;   in Loop: Header=BB236_12 Depth=1
	s_delay_alu instid0(SALU_CYCLE_1) | instskip(NEXT) | instid1(VALU_DEP_2)
	s_or_b32 exec_lo, exec_lo, s41
	v_lshrrev_b16 v12, 8, v12
	s_mov_b32 s41, exec_lo
	s_delay_alu instid0(VALU_DEP_1)
	v_cmpx_ne_u16_e32 0, v12
	s_cbranch_execz .LBB236_129
; %bb.122:                              ;   in Loop: Header=BB236_12 Depth=1
	v_bfrev_b32_e32 v35, 1
	s_mov_b32 s42, exec_lo
	v_cmpx_ne_u16_e32 0x80, v12
	s_cbranch_execz .LBB236_128
; %bb.123:                              ;   in Loop: Header=BB236_12 Depth=1
	v_and_b32_e32 v37, 0xffff, v12
	v_mov_b32_e32 v35, 0x7c010000
	s_mov_b32 s43, exec_lo
	s_delay_alu instid0(VALU_DEP_2) | instskip(NEXT) | instid1(VALU_DEP_1)
	v_and_b32_e32 v38, 0x7f, v37
	v_cmpx_ne_u32_e32 0x7f, v38
	s_cbranch_execz .LBB236_127
; %bb.124:                              ;   in Loop: Header=BB236_12 Depth=1
	v_dual_lshrrev_b32 v35, 3, v38 :: v_dual_bitop2_b32 v13, 7, v37 bitop3:0x40
	s_mov_b32 s44, exec_lo
	v_cmpx_gt_u32_e32 8, v38
	s_cbranch_execz .LBB236_126
; %bb.125:                              ;   in Loop: Header=BB236_12 Depth=1
	s_delay_alu instid0(VALU_DEP_2) | instskip(NEXT) | instid1(VALU_DEP_1)
	v_clz_i32_u32_e32 v13, v13
	v_min_u32_e32 v35, 32, v13
	v_mov_b32_e32 v13, v5
	s_delay_alu instid0(VALU_DEP_2) | instskip(SKIP_1) | instid1(VALU_DEP_2)
	v_subrev_nc_u32_e32 v38, 28, v35
	v_sub_nc_u32_e32 v35, 29, v35
	v_lshlrev_b64_e32 v[12:13], v38, v[12:13]
	s_delay_alu instid0(VALU_DEP_1)
	v_and_b32_e32 v13, 7, v12
.LBB236_126:                            ;   in Loop: Header=BB236_12 Depth=1
	s_or_b32 exec_lo, exec_lo, s44
	v_lshlrev_b32_e32 v12, 8, v37
	v_lshl_add_u32 v35, v35, 10, 0x2000
	s_delay_alu instid0(VALU_DEP_3) | instskip(NEXT) | instid1(VALU_DEP_2)
	v_lshlrev_b32_e32 v13, 23, v13
	v_and_or_b32 v12, 0x8000, v12, v35
	s_delay_alu instid0(VALU_DEP_1)
	v_lshl_or_b32 v35, v12, 16, v13
.LBB236_127:                            ;   in Loop: Header=BB236_12 Depth=1
	s_or_b32 exec_lo, exec_lo, s43
.LBB236_128:                            ;   in Loop: Header=BB236_12 Depth=1
	s_delay_alu instid0(SALU_CYCLE_1)
	s_or_b32 exec_lo, exec_lo, s42
.LBB236_129:                            ;   in Loop: Header=BB236_12 Depth=1
	s_delay_alu instid0(SALU_CYCLE_1)
	s_or_b32 exec_lo, exec_lo, s41
	global_load_u16 v12, v[10:11], off offset:392
	v_dual_mov_b32 v37, 0 :: v_dual_mov_b32 v38, 0
	s_mov_b32 s41, exec_lo
	s_wait_loadcnt 0x0
	v_and_b32_e32 v13, 0xff, v12
	v_and_b32_e32 v12, 0xffff, v12
	s_delay_alu instid0(VALU_DEP_2)
	v_cmpx_ne_u16_e32 0, v13
	s_cbranch_execz .LBB236_137
; %bb.130:                              ;   in Loop: Header=BB236_12 Depth=1
	s_delay_alu instid0(VALU_DEP_2) | instskip(SKIP_2) | instid1(VALU_DEP_2)
	v_and_b32_e32 v13, 0xff, v12
	v_mov_b32_e32 v38, 0x8000
	s_mov_b32 s42, exec_lo
	v_cmpx_ne_u16_e32 0x80, v13
	s_cbranch_execz .LBB236_136
; %bb.131:                              ;   in Loop: Header=BB236_12 Depth=1
	v_and_b32_e32 v39, 0x7f, v12
	v_mov_b32_e32 v38, 0x7c01
	s_mov_b32 s43, exec_lo
	s_delay_alu instid0(VALU_DEP_2)
	v_cmpx_ne_u32_e32 0x7f, v39
	s_cbranch_execz .LBB236_135
; %bb.132:                              ;   in Loop: Header=BB236_12 Depth=1
	v_dual_lshrrev_b32 v38, 3, v39 :: v_dual_bitop2_b32 v13, 7, v12 bitop3:0x40
	s_mov_b32 s44, exec_lo
	v_cmpx_gt_u32_e32 8, v39
; %bb.133:                              ;   in Loop: Header=BB236_12 Depth=1
	s_delay_alu instid0(VALU_DEP_2) | instskip(NEXT) | instid1(VALU_DEP_1)
	v_clz_i32_u32_e32 v13, v13
	v_min_u32_e32 v13, 32, v13
	s_delay_alu instid0(VALU_DEP_1) | instskip(NEXT) | instid1(VALU_DEP_1)
	v_subrev_nc_u32_e32 v38, 28, v13
	v_lshlrev_b64_e32 v[40:41], v38, v[12:13]
	s_delay_alu instid0(VALU_DEP_1)
	v_dual_sub_nc_u32 v38, 29, v13 :: v_dual_bitop2_b32 v13, 7, v40 bitop3:0x40
; %bb.134:                              ;   in Loop: Header=BB236_12 Depth=1
	s_or_b32 exec_lo, exec_lo, s44
	s_delay_alu instid0(VALU_DEP_1) | instskip(NEXT) | instid1(VALU_DEP_2)
	v_dual_lshlrev_b32 v39, 8, v12 :: v_dual_lshlrev_b32 v13, 7, v13
	v_lshl_add_u32 v38, v38, 10, 0x2000
	s_delay_alu instid0(VALU_DEP_2) | instskip(NEXT) | instid1(VALU_DEP_2)
	v_and_b32_e32 v39, 0x8000, v39
	v_and_b32_e32 v38, 0xfc00, v38
	s_delay_alu instid0(VALU_DEP_1)
	v_or3_b32 v38, v39, v38, v13
.LBB236_135:                            ;   in Loop: Header=BB236_12 Depth=1
	s_or_b32 exec_lo, exec_lo, s43
.LBB236_136:                            ;   in Loop: Header=BB236_12 Depth=1
	s_delay_alu instid0(SALU_CYCLE_1)
	s_or_b32 exec_lo, exec_lo, s42
.LBB236_137:                            ;   in Loop: Header=BB236_12 Depth=1
	s_delay_alu instid0(SALU_CYCLE_1) | instskip(NEXT) | instid1(VALU_DEP_2)
	s_or_b32 exec_lo, exec_lo, s41
	v_lshrrev_b16 v12, 8, v12
	s_mov_b32 s41, exec_lo
	s_delay_alu instid0(VALU_DEP_1)
	v_cmpx_ne_u16_e32 0, v12
	s_cbranch_execz .LBB236_145
; %bb.138:                              ;   in Loop: Header=BB236_12 Depth=1
	v_bfrev_b32_e32 v37, 1
	s_mov_b32 s42, exec_lo
	v_cmpx_ne_u16_e32 0x80, v12
	s_cbranch_execz .LBB236_144
; %bb.139:                              ;   in Loop: Header=BB236_12 Depth=1
	v_and_b32_e32 v39, 0xffff, v12
	v_mov_b32_e32 v37, 0x7c010000
	s_mov_b32 s43, exec_lo
	s_delay_alu instid0(VALU_DEP_2) | instskip(NEXT) | instid1(VALU_DEP_1)
	v_and_b32_e32 v40, 0x7f, v39
	v_cmpx_ne_u32_e32 0x7f, v40
	s_cbranch_execz .LBB236_143
; %bb.140:                              ;   in Loop: Header=BB236_12 Depth=1
	v_dual_lshrrev_b32 v37, 3, v40 :: v_dual_bitop2_b32 v13, 7, v39 bitop3:0x40
	s_mov_b32 s44, exec_lo
	v_cmpx_gt_u32_e32 8, v40
	s_cbranch_execz .LBB236_142
; %bb.141:                              ;   in Loop: Header=BB236_12 Depth=1
	s_delay_alu instid0(VALU_DEP_2) | instskip(NEXT) | instid1(VALU_DEP_1)
	v_clz_i32_u32_e32 v13, v13
	v_min_u32_e32 v37, 32, v13
	v_mov_b32_e32 v13, v5
	s_delay_alu instid0(VALU_DEP_2) | instskip(SKIP_1) | instid1(VALU_DEP_2)
	v_subrev_nc_u32_e32 v40, 28, v37
	v_sub_nc_u32_e32 v37, 29, v37
	v_lshlrev_b64_e32 v[12:13], v40, v[12:13]
	s_delay_alu instid0(VALU_DEP_1)
	v_and_b32_e32 v13, 7, v12
.LBB236_142:                            ;   in Loop: Header=BB236_12 Depth=1
	s_or_b32 exec_lo, exec_lo, s44
	s_delay_alu instid0(VALU_DEP_1) | instskip(SKIP_1) | instid1(VALU_DEP_1)
	v_dual_lshlrev_b32 v12, 8, v39 :: v_dual_lshlrev_b32 v13, 23, v13
	v_lshl_add_u32 v37, v37, 10, 0x2000
	v_and_or_b32 v12, 0x8000, v12, v37
	s_delay_alu instid0(VALU_DEP_1)
	v_lshl_or_b32 v37, v12, 16, v13
.LBB236_143:                            ;   in Loop: Header=BB236_12 Depth=1
	s_or_b32 exec_lo, exec_lo, s43
.LBB236_144:                            ;   in Loop: Header=BB236_12 Depth=1
	s_delay_alu instid0(SALU_CYCLE_1)
	s_or_b32 exec_lo, exec_lo, s42
.LBB236_145:                            ;   in Loop: Header=BB236_12 Depth=1
	s_delay_alu instid0(SALU_CYCLE_1)
	s_or_b32 exec_lo, exec_lo, s41
	global_load_u16 v12, v[10:11], off offset:512
	v_mov_b32_e32 v13, 0
	s_wait_loadcnt 0x0
	v_and_b32_e32 v39, 0xff, v12
	v_and_b32_e32 v12, 0xffff, v12
	s_delay_alu instid0(VALU_DEP_2)
	v_cmp_ne_u16_e64 s4, 0, v39
	v_mov_b32_e32 v39, 0
	s_and_saveexec_b32 s41, s4
	s_cbranch_execz .LBB236_153
; %bb.146:                              ;   in Loop: Header=BB236_12 Depth=1
	v_and_b32_e32 v39, 0xff, v12
	s_delay_alu instid0(VALU_DEP_1)
	v_cmp_ne_u16_e64 s4, 0x80, v39
	v_mov_b32_e32 v39, 0x8000
	s_and_saveexec_b32 s42, s4
	s_cbranch_execz .LBB236_152
; %bb.147:                              ;   in Loop: Header=BB236_12 Depth=1
	v_and_b32_e32 v41, 0x7f, v12
	v_mov_b32_e32 v39, 0x7c01
	s_mov_b32 s43, exec_lo
	s_delay_alu instid0(VALU_DEP_2)
	v_cmpx_ne_u32_e32 0x7f, v41
	s_cbranch_execz .LBB236_151
; %bb.148:                              ;   in Loop: Header=BB236_12 Depth=1
	v_dual_lshrrev_b32 v40, 3, v41 :: v_dual_bitop2_b32 v39, 7, v12 bitop3:0x40
	s_mov_b32 s44, exec_lo
	v_cmpx_gt_u32_e32 8, v41
; %bb.149:                              ;   in Loop: Header=BB236_12 Depth=1
	s_delay_alu instid0(VALU_DEP_2) | instskip(NEXT) | instid1(VALU_DEP_1)
	v_clz_i32_u32_e32 v39, v39
	v_min_u32_e32 v39, 32, v39
	s_delay_alu instid0(VALU_DEP_1) | instskip(NEXT) | instid1(VALU_DEP_1)
	v_subrev_nc_u32_e32 v40, 28, v39
	v_lshlrev_b64_e32 v[42:43], v40, v[12:13]
	s_delay_alu instid0(VALU_DEP_1)
	v_dual_sub_nc_u32 v40, 29, v39 :: v_dual_bitop2_b32 v39, 7, v42 bitop3:0x40
; %bb.150:                              ;   in Loop: Header=BB236_12 Depth=1
	s_or_b32 exec_lo, exec_lo, s44
	s_delay_alu instid0(VALU_DEP_1) | instskip(NEXT) | instid1(VALU_DEP_2)
	v_dual_lshlrev_b32 v41, 8, v12 :: v_dual_lshlrev_b32 v39, 7, v39
	v_lshl_add_u32 v40, v40, 10, 0x2000
	s_delay_alu instid0(VALU_DEP_2) | instskip(NEXT) | instid1(VALU_DEP_2)
	v_and_b32_e32 v41, 0x8000, v41
	v_and_b32_e32 v40, 0xfc00, v40
	s_delay_alu instid0(VALU_DEP_1)
	v_or3_b32 v39, v41, v40, v39
.LBB236_151:                            ;   in Loop: Header=BB236_12 Depth=1
	s_or_b32 exec_lo, exec_lo, s43
.LBB236_152:                            ;   in Loop: Header=BB236_12 Depth=1
	s_delay_alu instid0(SALU_CYCLE_1)
	s_or_b32 exec_lo, exec_lo, s42
.LBB236_153:                            ;   in Loop: Header=BB236_12 Depth=1
	s_delay_alu instid0(SALU_CYCLE_1) | instskip(SKIP_2) | instid1(VALU_DEP_1)
	s_or_b32 exec_lo, exec_lo, s41
	v_lshrrev_b16 v12, 8, v12
	s_mov_b32 s41, exec_lo
	v_cmpx_ne_u16_e32 0, v12
	s_cbranch_execz .LBB236_161
; %bb.154:                              ;   in Loop: Header=BB236_12 Depth=1
	v_bfrev_b32_e32 v13, 1
	s_mov_b32 s42, exec_lo
	v_cmpx_ne_u16_e32 0x80, v12
	s_cbranch_execz .LBB236_160
; %bb.155:                              ;   in Loop: Header=BB236_12 Depth=1
	v_and_b32_e32 v40, 0xffff, v12
	v_mov_b32_e32 v13, 0x7c010000
	s_mov_b32 s43, exec_lo
	s_delay_alu instid0(VALU_DEP_2) | instskip(NEXT) | instid1(VALU_DEP_1)
	v_and_b32_e32 v42, 0x7f, v40
	v_cmpx_ne_u32_e32 0x7f, v42
	s_cbranch_execz .LBB236_159
; %bb.156:                              ;   in Loop: Header=BB236_12 Depth=1
	v_dual_lshrrev_b32 v41, 3, v42 :: v_dual_bitop2_b32 v13, 7, v40 bitop3:0x40
	s_mov_b32 s44, exec_lo
	v_cmpx_gt_u32_e32 8, v42
	s_cbranch_execz .LBB236_158
; %bb.157:                              ;   in Loop: Header=BB236_12 Depth=1
	s_delay_alu instid0(VALU_DEP_2) | instskip(NEXT) | instid1(VALU_DEP_1)
	v_clz_i32_u32_e32 v13, v13
	v_min_u32_e32 v41, 32, v13
	v_mov_b32_e32 v13, v5
	s_delay_alu instid0(VALU_DEP_2) | instskip(SKIP_1) | instid1(VALU_DEP_2)
	v_subrev_nc_u32_e32 v42, 28, v41
	v_sub_nc_u32_e32 v41, 29, v41
	v_lshlrev_b64_e32 v[12:13], v42, v[12:13]
	s_delay_alu instid0(VALU_DEP_1)
	v_and_b32_e32 v13, 7, v12
.LBB236_158:                            ;   in Loop: Header=BB236_12 Depth=1
	s_or_b32 exec_lo, exec_lo, s44
	s_delay_alu instid0(VALU_DEP_1) | instskip(SKIP_1) | instid1(VALU_DEP_1)
	v_dual_lshlrev_b32 v12, 8, v40 :: v_dual_lshlrev_b32 v13, 23, v13
	v_lshl_add_u32 v40, v41, 10, 0x2000
	v_and_or_b32 v12, 0x8000, v12, v40
	s_delay_alu instid0(VALU_DEP_1)
	v_lshl_or_b32 v13, v12, 16, v13
.LBB236_159:                            ;   in Loop: Header=BB236_12 Depth=1
	s_or_b32 exec_lo, exec_lo, s43
.LBB236_160:                            ;   in Loop: Header=BB236_12 Depth=1
	s_delay_alu instid0(SALU_CYCLE_1)
	s_or_b32 exec_lo, exec_lo, s42
.LBB236_161:                            ;   in Loop: Header=BB236_12 Depth=1
	s_delay_alu instid0(SALU_CYCLE_1)
	s_or_b32 exec_lo, exec_lo, s41
	global_load_u16 v10, v[10:11], off offset:520
	s_wait_xcnt 0x0
	v_mov_b32_e32 v11, 0
	s_wait_loadcnt 0x0
	v_and_b32_e32 v12, 0xff, v10
	v_and_b32_e32 v10, 0xffff, v10
	s_delay_alu instid0(VALU_DEP_2)
	v_cmp_ne_u16_e64 s4, 0, v12
	v_mov_b32_e32 v12, 0
	s_and_saveexec_b32 s41, s4
	s_cbranch_execz .LBB236_169
; %bb.162:                              ;   in Loop: Header=BB236_12 Depth=1
	v_and_b32_e32 v12, 0xff, v10
	s_delay_alu instid0(VALU_DEP_1)
	v_cmp_ne_u16_e64 s4, 0x80, v12
	v_mov_b32_e32 v12, 0x8000
	s_and_saveexec_b32 s42, s4
	s_cbranch_execz .LBB236_168
; %bb.163:                              ;   in Loop: Header=BB236_12 Depth=1
	v_and_b32_e32 v41, 0x7f, v10
	v_mov_b32_e32 v12, 0x7c01
	s_mov_b32 s43, exec_lo
	s_delay_alu instid0(VALU_DEP_2)
	v_cmpx_ne_u32_e32 0x7f, v41
	s_cbranch_execz .LBB236_167
; %bb.164:                              ;   in Loop: Header=BB236_12 Depth=1
	v_dual_lshrrev_b32 v40, 3, v41 :: v_dual_bitop2_b32 v12, 7, v10 bitop3:0x40
	s_mov_b32 s44, exec_lo
	v_cmpx_gt_u32_e32 8, v41
; %bb.165:                              ;   in Loop: Header=BB236_12 Depth=1
	s_delay_alu instid0(VALU_DEP_2) | instskip(NEXT) | instid1(VALU_DEP_1)
	v_clz_i32_u32_e32 v12, v12
	v_min_u32_e32 v12, 32, v12
	s_delay_alu instid0(VALU_DEP_1) | instskip(NEXT) | instid1(VALU_DEP_1)
	v_subrev_nc_u32_e32 v40, 28, v12
	v_lshlrev_b64_e32 v[42:43], v40, v[10:11]
	s_delay_alu instid0(VALU_DEP_1)
	v_dual_sub_nc_u32 v40, 29, v12 :: v_dual_bitop2_b32 v12, 7, v42 bitop3:0x40
; %bb.166:                              ;   in Loop: Header=BB236_12 Depth=1
	s_or_b32 exec_lo, exec_lo, s44
	s_delay_alu instid0(VALU_DEP_1) | instskip(NEXT) | instid1(VALU_DEP_2)
	v_dual_lshlrev_b32 v41, 8, v10 :: v_dual_lshlrev_b32 v12, 7, v12
	v_lshl_add_u32 v40, v40, 10, 0x2000
	s_delay_alu instid0(VALU_DEP_2) | instskip(NEXT) | instid1(VALU_DEP_2)
	v_and_b32_e32 v41, 0x8000, v41
	v_and_b32_e32 v40, 0xfc00, v40
	s_delay_alu instid0(VALU_DEP_1)
	v_or3_b32 v12, v41, v40, v12
.LBB236_167:                            ;   in Loop: Header=BB236_12 Depth=1
	s_or_b32 exec_lo, exec_lo, s43
.LBB236_168:                            ;   in Loop: Header=BB236_12 Depth=1
	s_delay_alu instid0(SALU_CYCLE_1)
	s_or_b32 exec_lo, exec_lo, s42
.LBB236_169:                            ;   in Loop: Header=BB236_12 Depth=1
	s_delay_alu instid0(SALU_CYCLE_1) | instskip(SKIP_2) | instid1(VALU_DEP_1)
	s_or_b32 exec_lo, exec_lo, s41
	v_lshrrev_b16 v10, 8, v10
	s_mov_b32 s41, exec_lo
	v_cmpx_ne_u16_e32 0, v10
	s_cbranch_execz .LBB236_177
; %bb.170:                              ;   in Loop: Header=BB236_12 Depth=1
	v_bfrev_b32_e32 v11, 1
	s_mov_b32 s42, exec_lo
	v_cmpx_ne_u16_e32 0x80, v10
	s_cbranch_execz .LBB236_176
; %bb.171:                              ;   in Loop: Header=BB236_12 Depth=1
	v_and_b32_e32 v40, 0xffff, v10
	v_mov_b32_e32 v11, 0x7c010000
	s_mov_b32 s43, exec_lo
	s_delay_alu instid0(VALU_DEP_2) | instskip(NEXT) | instid1(VALU_DEP_1)
	v_and_b32_e32 v42, 0x7f, v40
	v_cmpx_ne_u32_e32 0x7f, v42
	s_cbranch_execz .LBB236_175
; %bb.172:                              ;   in Loop: Header=BB236_12 Depth=1
	v_dual_lshrrev_b32 v41, 3, v42 :: v_dual_bitop2_b32 v11, 7, v40 bitop3:0x40
	s_mov_b32 s44, exec_lo
	v_cmpx_gt_u32_e32 8, v42
	s_cbranch_execz .LBB236_174
; %bb.173:                              ;   in Loop: Header=BB236_12 Depth=1
	s_delay_alu instid0(VALU_DEP_2) | instskip(NEXT) | instid1(VALU_DEP_1)
	v_clz_i32_u32_e32 v11, v11
	v_min_u32_e32 v41, 32, v11
	v_mov_b32_e32 v11, v5
	s_delay_alu instid0(VALU_DEP_2) | instskip(SKIP_1) | instid1(VALU_DEP_2)
	v_subrev_nc_u32_e32 v42, 28, v41
	v_sub_nc_u32_e32 v41, 29, v41
	v_lshlrev_b64_e32 v[10:11], v42, v[10:11]
	s_delay_alu instid0(VALU_DEP_1)
	v_and_b32_e32 v11, 7, v10
.LBB236_174:                            ;   in Loop: Header=BB236_12 Depth=1
	s_or_b32 exec_lo, exec_lo, s44
	s_delay_alu instid0(VALU_DEP_1) | instskip(SKIP_1) | instid1(VALU_DEP_1)
	v_dual_lshlrev_b32 v10, 8, v40 :: v_dual_lshlrev_b32 v11, 23, v11
	v_lshl_add_u32 v40, v41, 10, 0x2000
	v_and_or_b32 v10, 0x8000, v10, v40
	s_delay_alu instid0(VALU_DEP_1)
	v_lshl_or_b32 v11, v10, 16, v11
.LBB236_175:                            ;   in Loop: Header=BB236_12 Depth=1
	s_or_b32 exec_lo, exec_lo, s43
.LBB236_176:                            ;   in Loop: Header=BB236_12 Depth=1
	s_delay_alu instid0(SALU_CYCLE_1)
	s_or_b32 exec_lo, exec_lo, s42
.LBB236_177:                            ;   in Loop: Header=BB236_12 Depth=1
	s_delay_alu instid0(SALU_CYCLE_1)
	s_or_b32 exec_lo, exec_lo, s41
	ds_load_b32 v10, v15
	v_or_b32_e32 v23, v22, v23
	v_fma_mixlo_f16 v22, v21, v22, 0 op_sel:[0,1,0] op_sel_hi:[0,1,0]
	v_or_b32_e32 v12, v11, v12
	v_fma_mixlo_f16 v11, v21, v11, 0 op_sel:[0,1,0] op_sel_hi:[0,1,0]
	s_delay_alu instid0(VALU_DEP_3) | instskip(NEXT) | instid1(VALU_DEP_3)
	v_and_b32_e32 v22, 0xffff, v22
	v_fma_mixlo_f16 v12, v21, v12, 0 op_sel_hi:[0,1,0]
	s_delay_alu instid0(VALU_DEP_1)
	v_and_b32_e32 v12, 0xffff, v12
	s_wait_dscnt 0x0
	v_and_b32_e32 v40, 0xffff, v10
	v_lshrrev_b32_e32 v10, 16, v10
	v_fma_mixlo_f16 v23, v21, v23, 0 op_sel_hi:[0,1,0]
	;;#ASMSTART
	v_cvt_f32_f16 v40, v40;
	;;#ASMEND
	;;#ASMSTART
	v_cvt_f32_f16 v41, v10;
	;;#ASMEND
	s_delay_alu instid0(VALU_DEP_1)
	v_and_b32_e32 v23, 0xffff, v23
	;;#ASMSTART
	v_cvt_f32_f16 v42, v23;
	;;#ASMEND
	;;#ASMSTART
	v_cvt_f32_f16 v43, v22;
	;;#ASMEND
	ds_load_b32 v10, v15 offset:4
	v_or_b32_e32 v22, v24, v25
	v_fma_mixlo_f16 v23, v21, v24, 0 op_sel:[0,1,0] op_sel_hi:[0,1,0]
	s_delay_alu instid0(VALU_DEP_1)
	v_and_b32_e32 v23, 0xffff, v23
	s_wait_dscnt 0x0
	v_and_b32_e32 v24, 0xffff, v10
	v_lshrrev_b32_e32 v10, 16, v10
	v_fma_mixlo_f16 v22, v21, v22, 0 op_sel_hi:[0,1,0]
	;;#ASMSTART
	v_cvt_f32_f16 v24, v24;
	;;#ASMEND
	;;#ASMSTART
	v_cvt_f32_f16 v25, v10;
	;;#ASMEND
	s_delay_alu instid0(VALU_DEP_1)
	v_and_b32_e32 v22, 0xffff, v22
	;;#ASMSTART
	v_cvt_f32_f16 v44, v22;
	;;#ASMEND
	;;#ASMSTART
	v_cvt_f32_f16 v45, v23;
	;;#ASMEND
	ds_load_b32 v10, v15 offset:8
	v_or_b32_e32 v22, v26, v28
	v_fma_mixlo_f16 v23, v21, v26, 0 op_sel:[0,1,0] op_sel_hi:[0,1,0]
	;; [unrolled: 23-line block ×3, first 2 shown]
	s_delay_alu instid0(VALU_DEP_2) | instskip(NEXT) | instid1(VALU_DEP_2)
	v_fma_mixlo_f16 v22, v21, v22, 0 op_sel_hi:[0,1,0]
	v_and_b32_e32 v23, 0xffff, v23
	s_delay_alu instid0(VALU_DEP_2)
	v_and_b32_e32 v22, 0xffff, v22
	s_wait_dscnt 0x0
	v_and_b32_e32 v29, 0xffff, v10
	v_lshrrev_b32_e32 v10, 16, v10
	;;#ASMSTART
	v_cvt_f32_f16 v29, v29;
	;;#ASMEND
	;;#ASMSTART
	v_cvt_f32_f16 v30, v10;
	;;#ASMEND
	;;#ASMSTART
	v_cvt_f32_f16 v48, v22;
	;;#ASMEND
	;;#ASMSTART
	v_cvt_f32_f16 v49, v23;
	;;#ASMEND
	ds_load_b32 v10, v15 offset:16
	v_or_b32_e32 v22, v31, v32
	v_fma_mixlo_f16 v23, v21, v31, 0 op_sel:[0,1,0] op_sel_hi:[0,1,0]
	s_delay_alu instid0(VALU_DEP_2) | instskip(NEXT) | instid1(VALU_DEP_2)
	v_fma_mixlo_f16 v22, v21, v22, 0 op_sel_hi:[0,1,0]
	v_and_b32_e32 v23, 0xffff, v23
	s_delay_alu instid0(VALU_DEP_2)
	v_and_b32_e32 v22, 0xffff, v22
	s_wait_dscnt 0x0
	v_and_b32_e32 v31, 0xffff, v10
	v_lshrrev_b32_e32 v10, 16, v10
	;;#ASMSTART
	v_cvt_f32_f16 v31, v31;
	;;#ASMEND
	;;#ASMSTART
	v_cvt_f32_f16 v32, v10;
	;;#ASMEND
	;;#ASMSTART
	v_cvt_f32_f16 v50, v22;
	;;#ASMEND
	;;#ASMSTART
	v_cvt_f32_f16 v51, v23;
	;;#ASMEND
	ds_load_b32 v10, v15 offset:20
	v_or_b32_e32 v22, v33, v34
	v_fma_mixlo_f16 v23, v21, v33, 0 op_sel:[0,1,0] op_sel_hi:[0,1,0]
	;; [unrolled: 23-line block ×4, first 2 shown]
	s_delay_alu instid0(VALU_DEP_2) | instskip(NEXT) | instid1(VALU_DEP_2)
	v_fma_mixlo_f16 v22, v21, v22, 0 op_sel_hi:[0,1,0]
	v_and_b32_e32 v23, 0xffff, v23
	s_delay_alu instid0(VALU_DEP_2)
	v_and_b32_e32 v22, 0xffff, v22
	s_wait_dscnt 0x0
	v_and_b32_e32 v37, 0xffff, v10
	v_lshrrev_b32_e32 v10, 16, v10
	;;#ASMSTART
	v_cvt_f32_f16 v37, v37;
	;;#ASMEND
	;;#ASMSTART
	v_cvt_f32_f16 v38, v10;
	;;#ASMEND
	;; [unrolled: 3-line block ×4, first 2 shown]
	ds_load_b32 v10, v15 offset:32
	v_dual_mul_f32 v22, v24, v44 :: v_dual_mul_f32 v23, v25, v45
	v_or_b32_e32 v24, v13, v39
	v_fma_mixlo_f16 v13, v21, v13, 0 op_sel:[0,1,0] op_sel_hi:[0,1,0]
	s_delay_alu instid0(VALU_DEP_3) | instskip(NEXT) | instid1(VALU_DEP_3)
	v_dual_fmac_f32 v22, v40, v42 :: v_dual_fmac_f32 v23, v41, v43
	v_fma_mixlo_f16 v24, v21, v24, 0 op_sel_hi:[0,1,0]
	s_delay_alu instid0(VALU_DEP_3) | instskip(SKIP_1) | instid1(VALU_DEP_4)
	v_and_b32_e32 v13, 0xffff, v13
	v_and_b32_e32 v21, 0xffff, v11
	v_dual_fmac_f32 v22, v26, v46 :: v_dual_fmac_f32 v23, v28, v47
	s_delay_alu instid0(VALU_DEP_4) | instskip(NEXT) | instid1(VALU_DEP_2)
	v_and_b32_e32 v24, 0xffff, v24
	v_dual_fmac_f32 v22, v29, v48 :: v_dual_fmac_f32 v23, v30, v49
	s_wait_dscnt 0x0
	v_and_b32_e32 v25, 0xffff, v10
	v_lshrrev_b32_e32 v10, 16, v10
	;;#ASMSTART
	v_cvt_f32_f16 v25, v25;
	;;#ASMEND
	;;#ASMSTART
	v_cvt_f32_f16 v26, v10;
	;;#ASMEND
	;; [unrolled: 3-line block ×4, first 2 shown]
	ds_load_b32 v10, v15 offset:36
	v_dual_fmac_f32 v23, v32, v51 :: v_dual_fmac_f32 v22, v31, v50
	s_delay_alu instid0(VALU_DEP_1) | instskip(NEXT) | instid1(VALU_DEP_2)
	v_dual_fmac_f32 v23, v34, v53 :: v_dual_bitop2_b32 v13, 2, v3 bitop3:0x14
	v_fmac_f32_e32 v22, v33, v52
	s_delay_alu instid0(VALU_DEP_2) | instskip(NEXT) | instid1(VALU_DEP_2)
	v_cmp_gt_i32_e64 s4, 32, v13
	v_dual_fmac_f32 v23, v36, v55 :: v_dual_fmac_f32 v22, v35, v54
	s_delay_alu instid0(VALU_DEP_2) | instskip(NEXT) | instid1(VALU_DEP_2)
	v_cndmask_b32_e64 v11, v3, v13, s4
	v_dual_fmac_f32 v23, v38, v57 :: v_dual_fmac_f32 v22, v37, v56
	s_wait_dscnt 0x0
	v_and_b32_e32 v13, 0xffff, v10
	s_delay_alu instid0(VALU_DEP_2)
	v_dual_fmac_f32 v23, v26, v28 :: v_dual_lshrrev_b32 v10, 16, v10
	;;#ASMSTART
	v_cvt_f32_f16 v13, v13;
	;;#ASMEND
	;;#ASMSTART
	v_cvt_f32_f16 v10, v10;
	;;#ASMEND
	;; [unrolled: 3-line block ×4, first 2 shown]
	v_dual_fmac_f32 v22, v25, v24 :: v_dual_fmac_f32 v23, v10, v21
	s_delay_alu instid0(VALU_DEP_1) | instskip(SKIP_1) | instid1(VALU_DEP_1)
	v_dual_lshlrev_b32 v10, 2, v11 :: v_dual_fmac_f32 v22, v13, v12
	v_xor_b32_e32 v12, 1, v3
	v_cmp_gt_i32_e64 s4, 32, v12
	s_delay_alu instid0(VALU_DEP_1)
	v_dual_add_f32 v11, v22, v23 :: v_dual_cndmask_b32 v12, v3, v12, s4
	ds_bpermute_b32 v10, v10, v11
	s_wait_dscnt 0x0
	v_dual_add_f32 v10, v11, v10 :: v_dual_lshlrev_b32 v11, 2, v12
	ds_bpermute_b32 v11, v11, v10
	s_and_saveexec_b32 s41, s3
	s_cbranch_execz .LBB236_10
; %bb.178:                              ;   in Loop: Header=BB236_12 Depth=1
	s_wait_dscnt 0x0
	v_dual_add_nc_u32 v12, v17, v4 :: v_dual_add_f32 v10, v10, v11
	s_delay_alu instid0(VALU_DEP_1) | instskip(NEXT) | instid1(VALU_DEP_1)
	v_cvt_f32_i32_e32 v12, v12
	v_mul_f32_e32 v12, s37, v12
	s_delay_alu instid0(VALU_DEP_1) | instskip(NEXT) | instid1(VALU_DEP_1)
	v_cndmask_b32_e32 v11, 0, v12, vcc_lo
	v_dual_fmac_f32 v11, s27, v10 :: v_dual_add_nc_u32 v10, v14, v4
	s_delay_alu instid0(VALU_DEP_1) | instskip(NEXT) | instid1(VALU_DEP_1)
	v_cmp_gt_i32_e64 s4, s34, v10
	v_dual_max_num_f32 v12, v16, v16 :: v_dual_cndmask_b32 v10, 0, v11, s4
	s_delay_alu instid0(VALU_DEP_1)
	v_max_num_f32_e32 v12, v12, v11
	ds_store_b32 v18, v10
	v_cndmask_b32_e64 v16, v16, v12, s4
	s_branch .LBB236_10
.LBB236_179:
	s_or_b32 exec_lo, exec_lo, s40
.LBB236_180:
	s_delay_alu instid0(SALU_CYCLE_1)
	s_or_b32 exec_lo, exec_lo, s26
	v_dual_max_num_f32 v7, v16, v16 :: v_dual_bitop2_b32 v4, 16, v3 bitop3:0x14
	s_clause 0x1
	s_load_b64 s[4:5], s[0:1], 0x0
	s_load_b64 s[26:27], s[0:1], 0x18
	v_and_b32_e32 v28, 31, v0
	v_xor_b32_e32 v6, 8, v3
	v_cmp_gt_i32_e32 vcc_lo, 32, v4
	v_cndmask_b32_e32 v4, v3, v4, vcc_lo
	s_delay_alu instid0(VALU_DEP_3) | instskip(NEXT) | instid1(VALU_DEP_2)
	v_cmp_gt_i32_e32 vcc_lo, 32, v6
	v_dual_lshlrev_b32 v4, 2, v4 :: v_dual_cndmask_b32 v6, v3, v6, vcc_lo
	ds_bpermute_b32 v5, v4, v16
	s_wait_dscnt 0x0
	v_dual_max_num_f32 v8, v5, v5 :: v_dual_lshlrev_b32 v5, 2, v6
	s_delay_alu instid0(VALU_DEP_1) | instskip(SKIP_4) | instid1(VALU_DEP_1)
	v_dual_max_num_f32 v6, v7, v8 :: v_dual_bitop2_b32 v8, 4, v3 bitop3:0x14
	ds_bpermute_b32 v7, v5, v6
	v_cmp_gt_i32_e32 vcc_lo, 32, v8
	v_cndmask_b32_e32 v8, v3, v8, vcc_lo
	s_wait_dscnt 0x0
	v_dual_max_num_f32 v7, v7, v7 :: v_dual_lshlrev_b32 v8, 2, v8
	s_delay_alu instid0(VALU_DEP_1)
	v_max_num_f32_e32 v7, v6, v7
	v_lshlrev_b32_e32 v6, 2, v27
	v_cmp_eq_u32_e32 vcc_lo, 0, v28
	ds_bpermute_b32 v9, v8, v7
	s_wait_xcnt 0x0
	s_and_saveexec_b32 s0, vcc_lo
	s_cbranch_execz .LBB236_182
; %bb.181:
	s_wait_dscnt 0x0
	v_dual_max_num_f32 v9, v9, v9 :: v_dual_max_num_f32 v7, v7, v7
	s_delay_alu instid0(VALU_DEP_1)
	v_max_num_f32_e32 v7, v7, v9
	ds_store_b32 v6, v7 offset:160
.LBB236_182:
	s_or_b32 exec_lo, exec_lo, s0
	v_cmp_gt_u32_e64 s0, 4, v28
	v_dual_mov_b32 v10, 0xff7fffff :: v_dual_lshlrev_b32 v7, 2, v28
	s_wait_dscnt 0x0
	s_barrier_signal -1
	s_barrier_wait -1
	s_and_saveexec_b32 s1, s0
; %bb.183:
	ds_load_b32 v10, v7 offset:160
; %bb.184:
	s_or_b32 exec_lo, exec_lo, s1
	v_xor_b32_e32 v9, 2, v3
	v_lshl_add_u32 v29, v0, 2, 0xc0
	v_xor_b32_e32 v12, 1, v3
	s_delay_alu instid0(VALU_DEP_3) | instskip(NEXT) | instid1(VALU_DEP_1)
	v_cmp_gt_i32_e64 s1, 32, v9
	v_cndmask_b32_e64 v9, v3, v9, s1
	s_delay_alu instid0(VALU_DEP_3) | instskip(NEXT) | instid1(VALU_DEP_1)
	v_cmp_gt_i32_e64 s1, 32, v12
	v_dual_lshlrev_b32 v9, 2, v9 :: v_dual_cndmask_b32 v3, v3, v12, s1
	s_lshl_b32 s1, s36, 3
	s_delay_alu instid0(SALU_CYCLE_1)
	s_min_i32 s8, s1, s34
	s_wait_dscnt 0x0
	ds_bpermute_b32 v11, v9, v10
	v_max_num_f32_e32 v10, v10, v10
	v_cmp_gt_i32_e64 s1, s8, v0
	v_lshlrev_b32_e32 v3, 2, v3
	s_wait_dscnt 0x0
	v_max_num_f32_e32 v11, v11, v11
	s_delay_alu instid0(VALU_DEP_1) | instskip(SKIP_3) | instid1(VALU_DEP_1)
	v_max_num_f32_e32 v10, v10, v11
	ds_bpermute_b32 v11, v3, v10
	s_wait_dscnt 0x0
	v_max_num_f32_e32 v11, v11, v11
	v_dual_max_num_f32 v11, v10, v11 :: v_dual_mov_b32 v10, 0
	ds_bpermute_b32 v11, v10, v11
	s_and_saveexec_b32 s9, s1
	s_cbranch_execz .LBB236_188
; %bb.185:
	v_lshl_add_u32 v12, v0, 2, 0xc0
	v_dual_mov_b32 v10, 0 :: v_dual_mov_b32 v13, v0
	s_mov_b32 s19, 0
.LBB236_186:                            ; =>This Inner Loop Header: Depth=1
	ds_load_b32 v14, v12
	v_add_nc_u32_e32 v13, 0x80, v13
	s_delay_alu instid0(VALU_DEP_1) | instskip(SKIP_3) | instid1(VALU_DEP_1)
	v_cmp_le_i32_e64 s3, s8, v13
	s_or_b32 s19, s3, s19
	s_wait_dscnt 0x0
	v_sub_f32_e32 v14, v14, v11
	v_mul_f32_e32 v14, 0x3fb8aa3b, v14
	s_delay_alu instid0(VALU_DEP_1)
	v_exp_f32_e32 v14, v14
	ds_store_b32 v12, v14
	v_nop
	v_add_f32_e32 v10, v10, v14
	v_add_nc_u32_e32 v12, 0x200, v12
	s_and_not1_b32 exec_lo, exec_lo, s19
	s_cbranch_execnz .LBB236_186
; %bb.187:
	s_or_b32 exec_lo, exec_lo, s19
.LBB236_188:
	s_delay_alu instid0(SALU_CYCLE_1)
	s_or_b32 exec_lo, exec_lo, s9
	ds_bpermute_b32 v4, v4, v10
	s_wait_dscnt 0x0
	v_add_f32_e32 v4, v10, v4
	ds_bpermute_b32 v5, v5, v4
	s_wait_dscnt 0x0
	v_add_f32_e32 v4, v4, v5
	;; [unrolled: 3-line block ×5, first 2 shown]
	s_and_saveexec_b32 s3, vcc_lo
; %bb.189:
	ds_store_b32 v6, v4 offset:176
; %bb.190:
	s_or_b32 exec_lo, exec_lo, s3
	s_wait_dscnt 0x0
	s_barrier_signal -1
	s_barrier_wait -1
	s_and_saveexec_b32 s3, s0
; %bb.191:
	ds_load_b32 v4, v7 offset:176
; %bb.192:
	s_or_b32 exec_lo, exec_lo, s3
	s_wait_dscnt 0x0
	ds_bpermute_b32 v5, v9, v4
	s_wait_dscnt 0x0
	v_dual_mov_b32 v35, 0 :: v_dual_add_f32 v4, v4, v5
	ds_bpermute_b32 v3, v3, v4
	s_wait_dscnt 0x0
	v_add_f32_e32 v3, v4, v3
	ds_bpermute_b32 v3, v35, v3
	s_and_saveexec_b32 s0, s1
	s_cbranch_execz .LBB236_205
; %bb.193:
	s_wait_dscnt 0x0
	v_add_f32_e32 v3, 0x358637bd, v3
	s_mov_b32 s3, -1
	s_mov_b32 s1, exec_lo
	s_delay_alu instid0(VALU_DEP_1) | instskip(NEXT) | instid1(VALU_DEP_1)
	v_div_scale_f32 v4, null, v3, v3, 1.0
	v_rcp_f32_e32 v6, v4
	v_nop
	s_delay_alu instid0(TRANS32_DEP_1) | instskip(NEXT) | instid1(VALU_DEP_1)
	v_fma_f32 v5, -v4, v6, 1.0
	v_fmac_f32_e32 v6, v5, v6
	v_div_scale_f32 v7, vcc_lo, 1.0, v3, 1.0
	s_delay_alu instid0(VALU_DEP_1) | instskip(NEXT) | instid1(VALU_DEP_1)
	v_mul_f32_e32 v8, v7, v6
	v_fma_f32 v5, -v4, v8, v7
	s_delay_alu instid0(VALU_DEP_1) | instskip(SKIP_1) | instid1(VALU_DEP_2)
	v_fmac_f32_e32 v8, v5, v6
	v_xad_u32 v5, v0, -1, s8
	v_fma_f32 v4, -v4, v8, v7
	s_delay_alu instid0(VALU_DEP_1) | instskip(NEXT) | instid1(VALU_DEP_1)
	v_div_fmas_f32 v4, v4, v6, v8
	v_div_fixup_f32 v4, v4, v3, 1.0
	v_mov_b32_e32 v3, v0
	v_cmpx_lt_u32_e32 0x7f, v5
	s_cbranch_execz .LBB236_202
; %bb.194:
	s_delay_alu instid0(VALU_DEP_3) | instskip(NEXT) | instid1(VALU_DEP_1)
	v_dual_lshrrev_b32 v3, 7, v5 :: v_dual_mov_b32 v5, v4
	v_dual_mov_b32 v9, 0 :: v_dual_add_nc_u32 v6, -1, v3
	s_delay_alu instid0(VALU_DEP_1) | instskip(SKIP_1) | instid1(VALU_DEP_2)
	v_lshrrev_b32_e32 v7, 1, v6
	v_cmp_lt_u32_e32 vcc_lo, 13, v6
	v_add_nc_u32_e32 v6, 1, v7
	s_and_saveexec_b32 s3, vcc_lo
	s_cbranch_execz .LBB236_198
; %bb.195:
	s_delay_alu instid0(VALU_DEP_1)
	v_dual_mov_b32 v8, v29 :: v_dual_bitop2_b32 v7, -8, v6 bitop3:0x40
	s_mov_b32 s9, 0
	s_mov_b32 s19, 0
.LBB236_196:                            ; =>This Inner Loop Header: Depth=1
	ds_load_2addr_stride64_b32 v[10:11], v8 offset1:2
	ds_load_2addr_stride64_b32 v[12:13], v8 offset0:4 offset1:6
	ds_load_2addr_stride64_b32 v[14:15], v8 offset0:8 offset1:10
	;; [unrolled: 1-line block ×7, first 2 shown]
	s_add_co_i32 s19, s19, 16
	s_delay_alu instid0(SALU_CYCLE_1) | instskip(NEXT) | instid1(VALU_DEP_1)
	v_dual_add_nc_u32 v7, -8, v7 :: v_dual_mov_b32 v9, s19
	v_cmp_eq_u32_e32 vcc_lo, 0, v7
	s_or_b32 s9, vcc_lo, s9
	s_wait_dscnt 0x7
	v_pk_mul_f32 v[10:11], v[4:5], v[10:11]
	s_wait_dscnt 0x6
	v_pk_mul_f32 v[12:13], v[4:5], v[12:13]
	s_wait_dscnt 0x5
	v_pk_mul_f32 v[14:15], v[4:5], v[14:15]
	s_wait_dscnt 0x4
	v_pk_mul_f32 v[16:17], v[4:5], v[16:17]
	s_wait_dscnt 0x3
	v_pk_mul_f32 v[18:19], v[4:5], v[18:19]
	s_wait_dscnt 0x2
	v_pk_mul_f32 v[20:21], v[4:5], v[20:21]
	s_wait_dscnt 0x1
	v_pk_mul_f32 v[22:23], v[4:5], v[22:23]
	s_wait_dscnt 0x0
	v_pk_mul_f32 v[24:25], v[4:5], v[24:25]
	ds_store_2addr_stride64_b32 v8, v10, v11 offset1:2
	ds_store_2addr_stride64_b32 v8, v12, v13 offset0:4 offset1:6
	ds_store_2addr_stride64_b32 v8, v14, v15 offset0:8 offset1:10
	;; [unrolled: 1-line block ×7, first 2 shown]
	v_add_nc_u32_e32 v8, 0x2000, v8
	s_and_not1_b32 exec_lo, exec_lo, s9
	s_cbranch_execnz .LBB236_196
; %bb.197:
	s_or_b32 exec_lo, exec_lo, s9
.LBB236_198:
	s_delay_alu instid0(SALU_CYCLE_1) | instskip(NEXT) | instid1(VALU_DEP_1)
	s_or_b32 exec_lo, exec_lo, s3
	v_and_b32_e32 v6, 7, v6
	s_mov_b32 s9, 0
	s_mov_b32 s3, exec_lo
	s_delay_alu instid0(VALU_DEP_1)
	v_cmpx_ne_u32_e32 0, v6
	s_cbranch_execz .LBB236_201
; %bb.199:
	v_dual_lshlrev_b32 v7, 9, v9 :: v_dual_lshlrev_b32 v8, 2, v0
	s_delay_alu instid0(VALU_DEP_1)
	v_add3_u32 v7, v7, v8, 0xc0
.LBB236_200:                            ; =>This Inner Loop Header: Depth=1
	ds_load_2addr_stride64_b32 v[8:9], v7 offset1:2
	v_add_nc_u32_e32 v6, -1, v6
	s_delay_alu instid0(VALU_DEP_1)
	v_cmp_eq_u32_e32 vcc_lo, 0, v6
	s_or_b32 s9, vcc_lo, s9
	s_wait_dscnt 0x0
	v_pk_mul_f32 v[8:9], v[4:5], v[8:9]
	ds_store_2addr_stride64_b32 v7, v8, v9 offset1:2
	v_add_nc_u32_e32 v7, 0x400, v7
	s_and_not1_b32 exec_lo, exec_lo, s9
	s_cbranch_execnz .LBB236_200
.LBB236_201:
	s_or_b32 exec_lo, exec_lo, s3
	v_add_nc_u32_e32 v3, 1, v3
	s_delay_alu instid0(VALU_DEP_1) | instskip(NEXT) | instid1(VALU_DEP_1)
	v_and_b32_e32 v5, 0x3fffffe, v3
	v_cmp_ne_u32_e32 vcc_lo, v3, v5
	v_lshl_add_u32 v3, v5, 7, v0
	s_or_not1_b32 s3, vcc_lo, exec_lo
.LBB236_202:
	s_or_b32 exec_lo, exec_lo, s1
	s_delay_alu instid0(SALU_CYCLE_1)
	s_and_b32 exec_lo, exec_lo, s3
	s_cbranch_execz .LBB236_205
; %bb.203:
	v_lshl_add_u32 v5, v3, 2, 0xc0
	s_mov_b32 s1, 0
.LBB236_204:                            ; =>This Inner Loop Header: Depth=1
	ds_load_b32 v6, v5
	s_wait_dscnt 0x0
	v_dual_mul_f32 v6, v4, v6 :: v_dual_add_nc_u32 v3, 0x80, v3
	s_delay_alu instid0(VALU_DEP_1) | instskip(SKIP_3) | instid1(SALU_CYCLE_1)
	v_cmp_le_i32_e32 vcc_lo, s8, v3
	ds_store_b32 v5, v6
	v_add_nc_u32_e32 v5, 0x200, v5
	s_or_b32 s1, vcc_lo, s1
	s_and_not1_b32 exec_lo, exec_lo, s1
	s_cbranch_execnz .LBB236_204
.LBB236_205:
	s_or_b32 exec_lo, exec_lo, s0
	v_mov_b64_e32 v[4:5], 0
	v_or_b32_e32 v30, 64, v28
	s_wait_dscnt 0x0
	s_barrier_signal -1
	s_barrier_wait -1
	s_and_saveexec_b32 s28, s2
	s_cbranch_execz .LBB236_411
; %bb.206:
	s_abs_i32 s14, s14
	v_dual_mov_b32 v9, 0 :: v_dual_lshlrev_b32 v6, 3, v28
	s_cvt_f32_u32 s0, s14
	v_and_b32_e32 v8, 0x7c, v1
	s_ashr_i32 s19, s18, 31
	s_sub_co_i32 s29, s12, s13
	v_rcp_iflag_f32_e32 v3, s0
	s_lshl_b64 s[0:1], s[24:25], 2
	s_wait_kmcnt 0x0
	s_add_nc_u64 s[12:13], s[26:27], s[18:19]
	s_add_nc_u64 s[0:1], s[22:23], s[0:1]
	s_sub_co_i32 s18, 0, s14
	v_mov_b64_e32 v[4:5], 0
	v_add_nc_u64_e32 v[12:13], s[0:1], v[8:9]
	v_readfirstlane_b32 s2, v3
	v_dual_mov_b32 v7, v9 :: v_dual_lshlrev_b32 v10, 3, v30
	v_lshl_add_u32 v31, v27, 5, 0xc0
	v_dual_mov_b32 v11, v9 :: v_dual_mov_b32 v35, 0
	s_mul_f32 s2, s2, 0x4f7ffffe
	v_mov_b32_e32 v32, v27
	s_mov_b32 s3, 0
	s_add_co_i32 s37, s36, -1
	s_cvt_u32_f32 s2, s2
	s_mov_b64 s[8:9], 0xffffffffffffff
	s_mov_b32 s19, s3
	v_cmp_gt_u32_e32 vcc_lo, 0x50, v30
	s_mul_i32 s18, s18, s2
	s_delay_alu instid0(SALU_CYCLE_1)
	s_mul_hi_u32 s0, s2, s18
	s_mov_b32 s18, s34
	s_add_co_i32 s2, s2, s0
	s_branch .LBB236_210
.LBB236_207:                            ;   in Loop: Header=BB236_210 Depth=1
	s_or_b32 exec_lo, exec_lo, s1
	;;#ASMSTART
	v_pk_mul_f16 v1, v39, v21;

	;;#ASMEND
	;;#ASMSTART
	v_pk_mul_f16 v3, v38, v22;

	;;#ASMEND
	;; [unrolled: 4-line block ×4, first 2 shown]
	;;#ASMSTART
	v_pk_add_f16 v1, v1, v3;

	;;#ASMEND
	;;#ASMSTART
	v_pk_add_f16 v1, v1, v8;

	;;#ASMEND
	;;#ASMSTART
	v_pk_add_f16 v1, v1, v14;

	;;#ASMEND
	v_and_b32_e32 v3, 0xffff, v1
	v_lshrrev_b32_e32 v1, 16, v1
	;;#ASMSTART
	v_cvt_f32_f16 v3, v3;
	;;#ASMEND
	;;#ASMSTART
	v_cvt_f32_f16 v1, v1;
	;;#ASMEND
	s_delay_alu instid0(VALU_DEP_1) | instskip(NEXT) | instid1(VALU_DEP_1)
	v_add_f32_e32 v1, v3, v1
	v_add_f32_e32 v35, v35, v1
.LBB236_208:                            ;   in Loop: Header=BB236_210 Depth=1
	s_or_b32 exec_lo, exec_lo, s23
	v_add_f32_e32 v1, v33, v34
	s_delay_alu instid0(VALU_DEP_1) | instskip(NEXT) | instid1(VALU_DEP_1)
	v_dual_add_f32 v3, v25, v26 :: v_dual_add_f32 v4, v4, v1
	v_add_f32_e32 v5, v5, v3
.LBB236_209:                            ;   in Loop: Header=BB236_210 Depth=1
	s_or_b32 exec_lo, exec_lo, s22
	v_dual_add_nc_u32 v32, 4, v32 :: v_dual_add_nc_u32 v2, 32, v2
	v_add_nc_u64_e32 v[12:13], 16, v[12:13]
	v_add_nc_u32_e32 v31, 0x80, v31
	s_delay_alu instid0(VALU_DEP_3) | instskip(SKIP_1) | instid1(SALU_CYCLE_1)
	v_cmp_le_i32_e64 s0, s36, v32
	s_or_b32 s19, s0, s19
	s_and_not1_b32 exec_lo, exec_lo, s19
	s_cbranch_execz .LBB236_410
.LBB236_210:                            ; =>This Inner Loop Header: Depth=1
	v_mov_b32_e32 v3, v9
	s_delay_alu instid0(VALU_DEP_1) | instskip(NEXT) | instid1(VALU_DEP_1)
	v_mul_u64_e32 v[14:15], s[20:21], v[2:3]
	v_mul_lo_u32 v1, v15, s16
	s_delay_alu instid0(VALU_DEP_1) | instskip(NEXT) | instid1(VALU_DEP_1)
	v_sub_nc_u32_e32 v1, v2, v1
	v_subrev_nc_u32_e32 v8, s16, v1
	v_cmp_le_u32_e64 s0, s16, v1
	s_delay_alu instid0(VALU_DEP_1) | instskip(NEXT) | instid1(VALU_DEP_1)
	v_dual_add_nc_u32 v3, 1, v15 :: v_dual_cndmask_b32 v1, v1, v8, s0
	v_cndmask_b32_e64 v3, v15, v3, s0
	s_delay_alu instid0(VALU_DEP_2) | instskip(NEXT) | instid1(VALU_DEP_2)
	v_cmp_le_u32_e64 s0, s16, v1
	v_add_nc_u32_e32 v8, 1, v3
	s_delay_alu instid0(VALU_DEP_1) | instskip(NEXT) | instid1(VALU_DEP_1)
	v_cndmask_b32_e64 v1, v3, v8, s0
	v_xor_b32_e32 v1, s15, v1
	s_delay_alu instid0(VALU_DEP_1) | instskip(NEXT) | instid1(VALU_DEP_1)
	v_subrev_nc_u32_e32 v1, s15, v1
	v_add_nc_u32_e32 v3, s35, v1
	v_cmp_lt_i32_e64 s1, s29, v1
	s_delay_alu instid0(VALU_DEP_2) | instskip(NEXT) | instid1(VALU_DEP_1)
	v_sub_nc_u32_e32 v8, 0, v3
	v_dual_ashrrev_i32 v3, 31, v3 :: v_dual_max_i32 v8, v3, v8
	s_delay_alu instid0(VALU_DEP_1) | instskip(NEXT) | instid1(VALU_DEP_1)
	v_mul_u64_e32 v[14:15], s[2:3], v[8:9]
	v_mul_lo_u32 v14, v15, s14
	s_delay_alu instid0(VALU_DEP_1) | instskip(NEXT) | instid1(VALU_DEP_1)
	v_sub_nc_u32_e32 v8, v8, v14
	v_subrev_nc_u32_e32 v14, s14, v8
	v_cmp_le_u32_e64 s0, s14, v8
	s_delay_alu instid0(VALU_DEP_1) | instskip(NEXT) | instid1(VALU_DEP_1)
	v_cndmask_b32_e64 v8, v8, v14, s0
	v_subrev_nc_u32_e32 v14, s14, v8
	v_cmp_le_u32_e64 s0, s14, v8
	s_delay_alu instid0(VALU_DEP_1) | instskip(NEXT) | instid1(VALU_DEP_1)
	v_cndmask_b32_e64 v8, v8, v14, s0
	v_xor_b32_e32 v8, v8, v3
	s_delay_alu instid0(VALU_DEP_1) | instskip(NEXT) | instid1(VALU_DEP_1)
	v_sub_nc_u32_e32 v3, v8, v3
	v_cmp_eq_u32_e64 s0, 0, v3
	s_or_b32 s0, s0, s1
	s_delay_alu instid0(SALU_CYCLE_1)
	s_and_saveexec_b32 s22, s0
	s_cbranch_execz .LBB236_209
; %bb.211:                              ;   in Loop: Header=BB236_210 Depth=1
	global_load_b32 v1, v[12:13], off
	ds_load_2addr_b64 v[16:19], v31 offset1:1
	ds_load_2addr_b64 v[20:23], v31 offset0:2 offset1:3
	s_mov_b32 s1, exec_lo
	s_wait_dscnt 0x1
	;;#ASMSTART
	v_cvt_f16_f32 v38, v16;

	;;#ASMEND
	;;#ASMSTART
	v_cvt_f16_f32 v36, v17;

	;;#ASMEND
	;; [unrolled: 4-line block ×4, first 2 shown]
	s_wait_dscnt 0x0
	;;#ASMSTART
	v_cvt_f16_f32 v42, v20;

	;;#ASMEND
	;;#ASMSTART
	v_cvt_f16_f32 v40, v21;

	;;#ASMEND
	;; [unrolled: 4-line block ×4, first 2 shown]
	v_mov_b32_e32 v3, 0
	s_wait_loadcnt 0x0
	v_mad_nc_i64_i32 v[14:15], v1, s17, s[12:13]
	v_mov_b32_e32 v1, 0
	global_load_b32 v18, v1, s[10:11]
	v_add_nc_u64_e32 v[16:17], v[14:15], v[6:7]
	global_load_b64 v[20:21], v[16:17], off
	s_wait_loadcnt 0x0
	v_and_b32_e32 v8, 0xff, v20
	s_delay_alu instid0(VALU_DEP_1)
	v_cmpx_ne_u16_e32 0, v8
	s_cbranch_execz .LBB236_219
; %bb.212:                              ;   in Loop: Header=BB236_210 Depth=1
	v_mov_b32_e32 v3, 0x8000
	s_mov_b32 s23, exec_lo
	v_cmpx_ne_u16_e32 0x80, v8
	s_cbranch_execz .LBB236_218
; %bb.213:                              ;   in Loop: Header=BB236_210 Depth=1
	v_and_b32_e32 v19, 0x7f, v20
	v_mov_b32_e32 v3, 0x7c01
	s_mov_b32 s24, exec_lo
	s_delay_alu instid0(VALU_DEP_2)
	v_cmpx_ne_u32_e32 0x7f, v19
	s_cbranch_execz .LBB236_217
; %bb.214:                              ;   in Loop: Header=BB236_210 Depth=1
	v_dual_lshrrev_b32 v8, 3, v19 :: v_dual_bitop2_b32 v3, 7, v20 bitop3:0x40
	s_mov_b32 s25, exec_lo
	v_cmpx_gt_u32_e32 8, v19
; %bb.215:                              ;   in Loop: Header=BB236_210 Depth=1
	s_delay_alu instid0(VALU_DEP_2) | instskip(NEXT) | instid1(VALU_DEP_1)
	v_clz_i32_u32_e32 v3, v3
	v_min_u32_e32 v3, 32, v3
	s_delay_alu instid0(VALU_DEP_1) | instskip(NEXT) | instid1(VALU_DEP_1)
	v_subrev_nc_u32_e32 v8, 28, v3
	v_lshlrev_b64_e32 v[22:23], v8, v[20:21]
	s_delay_alu instid0(VALU_DEP_1)
	v_dual_sub_nc_u32 v8, 29, v3 :: v_dual_bitop2_b32 v3, 7, v22 bitop3:0x40
; %bb.216:                              ;   in Loop: Header=BB236_210 Depth=1
	s_or_b32 exec_lo, exec_lo, s25
	s_delay_alu instid0(VALU_DEP_1) | instskip(NEXT) | instid1(VALU_DEP_2)
	v_dual_lshlrev_b32 v19, 8, v20 :: v_dual_lshlrev_b32 v3, 7, v3
	v_lshl_add_u32 v8, v8, 10, 0x2000
	s_delay_alu instid0(VALU_DEP_2) | instskip(NEXT) | instid1(VALU_DEP_2)
	v_and_b32_e32 v19, 0x8000, v19
	v_and_b32_e32 v8, 0xfc00, v8
	s_delay_alu instid0(VALU_DEP_1)
	v_or3_b32 v3, v19, v8, v3
.LBB236_217:                            ;   in Loop: Header=BB236_210 Depth=1
	s_or_b32 exec_lo, exec_lo, s24
.LBB236_218:                            ;   in Loop: Header=BB236_210 Depth=1
	s_delay_alu instid0(SALU_CYCLE_1)
	s_or_b32 exec_lo, exec_lo, s23
.LBB236_219:                            ;   in Loop: Header=BB236_210 Depth=1
	s_delay_alu instid0(SALU_CYCLE_1) | instskip(SKIP_2) | instid1(VALU_DEP_1)
	s_or_b32 exec_lo, exec_lo, s1
	v_lshrrev_b16 v8, 8, v20
	s_mov_b32 s1, exec_lo
	v_cmpx_ne_u16_e32 0, v8
	s_cbranch_execz .LBB236_227
; %bb.220:                              ;   in Loop: Header=BB236_210 Depth=1
	v_bfrev_b32_e32 v1, 1
	s_mov_b32 s23, exec_lo
	v_cmpx_ne_u16_e32 0x80, v8
	s_cbranch_execz .LBB236_226
; %bb.221:                              ;   in Loop: Header=BB236_210 Depth=1
	v_and_b32_e32 v19, 0xffff, v8
	v_mov_b32_e32 v1, 0x7c010000
	s_mov_b32 s24, exec_lo
	s_delay_alu instid0(VALU_DEP_2) | instskip(NEXT) | instid1(VALU_DEP_1)
	v_and_b32_e32 v23, 0x7f, v19
	v_cmpx_ne_u32_e32 0x7f, v23
	s_cbranch_execz .LBB236_225
; %bb.222:                              ;   in Loop: Header=BB236_210 Depth=1
	v_and_b32_e32 v1, 7, v19
	v_lshrrev_b32_e32 v22, 3, v23
	s_mov_b32 s25, exec_lo
	v_cmpx_gt_u32_e32 8, v23
; %bb.223:                              ;   in Loop: Header=BB236_210 Depth=1
	s_delay_alu instid0(VALU_DEP_3) | instskip(NEXT) | instid1(VALU_DEP_1)
	v_clz_i32_u32_e32 v1, v1
	v_min_u32_e32 v1, 32, v1
	s_delay_alu instid0(VALU_DEP_1) | instskip(NEXT) | instid1(VALU_DEP_1)
	v_subrev_nc_u32_e32 v22, 28, v1
	v_lshlrev_b64_e32 v[24:25], v22, v[8:9]
	s_delay_alu instid0(VALU_DEP_1)
	v_dual_sub_nc_u32 v22, 29, v1 :: v_dual_bitop2_b32 v1, 7, v24 bitop3:0x40
; %bb.224:                              ;   in Loop: Header=BB236_210 Depth=1
	s_or_b32 exec_lo, exec_lo, s25
	s_delay_alu instid0(VALU_DEP_1) | instskip(NEXT) | instid1(VALU_DEP_2)
	v_dual_lshlrev_b32 v8, 8, v19 :: v_dual_lshlrev_b32 v1, 23, v1
	v_lshl_add_u32 v19, v22, 10, 0x2000
	s_delay_alu instid0(VALU_DEP_1) | instskip(NEXT) | instid1(VALU_DEP_1)
	v_and_or_b32 v8, 0x8000, v8, v19
	v_lshl_or_b32 v1, v8, 16, v1
.LBB236_225:                            ;   in Loop: Header=BB236_210 Depth=1
	s_or_b32 exec_lo, exec_lo, s24
.LBB236_226:                            ;   in Loop: Header=BB236_210 Depth=1
	s_delay_alu instid0(SALU_CYCLE_1)
	s_or_b32 exec_lo, exec_lo, s23
.LBB236_227:                            ;   in Loop: Header=BB236_210 Depth=1
	s_delay_alu instid0(SALU_CYCLE_1) | instskip(SKIP_3) | instid1(VALU_DEP_2)
	s_or_b32 exec_lo, exec_lo, s1
	v_dual_mov_b32 v19, 0 :: v_dual_lshrrev_b32 v8, 16, v20
	v_mov_b32_e32 v22, 0
	s_mov_b32 s1, exec_lo
	v_and_b32_e32 v23, 0xff, v8
	s_delay_alu instid0(VALU_DEP_1)
	v_cmpx_ne_u16_e32 0, v23
	s_cbranch_execz .LBB236_235
; %bb.228:                              ;   in Loop: Header=BB236_210 Depth=1
	v_mov_b32_e32 v22, 0x8000
	s_mov_b32 s23, exec_lo
	v_cmpx_ne_u16_e32 0x80, v23
	s_cbranch_execz .LBB236_234
; %bb.229:                              ;   in Loop: Header=BB236_210 Depth=1
	v_bfe_u32 v24, v20, 16, 7
	v_mov_b32_e32 v22, 0x7c01
	s_mov_b32 s24, exec_lo
	s_delay_alu instid0(VALU_DEP_2)
	v_cmpx_ne_u32_e32 0x7f, v24
	s_cbranch_execz .LBB236_233
; %bb.230:                              ;   in Loop: Header=BB236_210 Depth=1
	v_and_b32_e32 v22, 7, v8
	v_lshrrev_b32_e32 v23, 3, v24
	s_mov_b32 s25, exec_lo
	v_cmpx_gt_u32_e32 8, v24
; %bb.231:                              ;   in Loop: Header=BB236_210 Depth=1
	s_delay_alu instid0(VALU_DEP_3) | instskip(NEXT) | instid1(VALU_DEP_1)
	v_clz_i32_u32_e32 v22, v22
	v_min_u32_e32 v24, 32, v22
	s_delay_alu instid0(VALU_DEP_1) | instskip(NEXT) | instid1(VALU_DEP_1)
	v_subrev_nc_u32_e32 v22, 28, v24
	v_lshlrev_b64_e32 v[22:23], v22, v[8:9]
	s_delay_alu instid0(VALU_DEP_1)
	v_dual_sub_nc_u32 v23, 29, v24 :: v_dual_bitop2_b32 v22, 7, v22 bitop3:0x40
; %bb.232:                              ;   in Loop: Header=BB236_210 Depth=1
	s_or_b32 exec_lo, exec_lo, s25
	s_delay_alu instid0(VALU_DEP_1) | instskip(NEXT) | instid1(VALU_DEP_2)
	v_dual_lshlrev_b32 v8, 8, v8 :: v_dual_lshlrev_b32 v22, 7, v22
	v_lshl_add_u32 v23, v23, 10, 0x2000
	s_delay_alu instid0(VALU_DEP_2) | instskip(NEXT) | instid1(VALU_DEP_2)
	v_and_b32_e32 v8, 0x8000, v8
	v_and_b32_e32 v23, 0xfc00, v23
	s_delay_alu instid0(VALU_DEP_1)
	v_or3_b32 v22, v8, v23, v22
.LBB236_233:                            ;   in Loop: Header=BB236_210 Depth=1
	s_or_b32 exec_lo, exec_lo, s24
.LBB236_234:                            ;   in Loop: Header=BB236_210 Depth=1
	s_delay_alu instid0(SALU_CYCLE_1)
	s_or_b32 exec_lo, exec_lo, s23
.LBB236_235:                            ;   in Loop: Header=BB236_210 Depth=1
	s_delay_alu instid0(SALU_CYCLE_1) | instskip(NEXT) | instid1(SALU_CYCLE_1)
	s_or_b32 exec_lo, exec_lo, s1
	s_mov_b32 s1, exec_lo
	v_cmpx_lt_u32_e32 0xffffff, v20
	s_cbranch_execz .LBB236_243
; %bb.236:                              ;   in Loop: Header=BB236_210 Depth=1
	v_lshrrev_b32_e32 v8, 24, v20
	v_bfrev_b32_e32 v19, 1
	s_mov_b32 s23, exec_lo
	s_delay_alu instid0(VALU_DEP_2)
	v_cmpx_ne_u32_e32 0x80, v8
	s_cbranch_execz .LBB236_242
; %bb.237:                              ;   in Loop: Header=BB236_210 Depth=1
	v_and_b32_e32 v24, 0x7f, v8
	v_mov_b32_e32 v19, 0x7c010000
	s_mov_b32 s24, exec_lo
	s_delay_alu instid0(VALU_DEP_2)
	v_cmpx_ne_u32_e32 0x7f, v24
	s_cbranch_execz .LBB236_241
; %bb.238:                              ;   in Loop: Header=BB236_210 Depth=1
	v_and_b32_e32 v19, 7, v8
	v_lshrrev_b32_e32 v23, 3, v24
	s_mov_b32 s25, exec_lo
	v_cmpx_gt_u32_e32 8, v24
; %bb.239:                              ;   in Loop: Header=BB236_210 Depth=1
	s_delay_alu instid0(VALU_DEP_3) | instskip(NEXT) | instid1(VALU_DEP_1)
	v_clz_i32_u32_e32 v19, v19
	v_min_u32_e32 v19, 32, v19
	s_delay_alu instid0(VALU_DEP_1) | instskip(NEXT) | instid1(VALU_DEP_1)
	v_subrev_nc_u32_e32 v23, 28, v19
	v_lshlrev_b64_e32 v[24:25], v23, v[8:9]
	s_delay_alu instid0(VALU_DEP_1)
	v_dual_sub_nc_u32 v23, 29, v19 :: v_dual_bitop2_b32 v19, 7, v24 bitop3:0x40
; %bb.240:                              ;   in Loop: Header=BB236_210 Depth=1
	s_or_b32 exec_lo, exec_lo, s25
	s_delay_alu instid0(VALU_DEP_1) | instskip(NEXT) | instid1(VALU_DEP_2)
	v_dual_lshlrev_b32 v8, 8, v8 :: v_dual_lshlrev_b32 v19, 23, v19
	v_lshl_add_u32 v23, v23, 10, 0x2000
	s_delay_alu instid0(VALU_DEP_1) | instskip(NEXT) | instid1(VALU_DEP_1)
	v_and_or_b32 v8, 0x8000, v8, v23
	v_lshl_or_b32 v19, v8, 16, v19
.LBB236_241:                            ;   in Loop: Header=BB236_210 Depth=1
	s_or_b32 exec_lo, exec_lo, s24
.LBB236_242:                            ;   in Loop: Header=BB236_210 Depth=1
	s_delay_alu instid0(SALU_CYCLE_1)
	s_or_b32 exec_lo, exec_lo, s23
.LBB236_243:                            ;   in Loop: Header=BB236_210 Depth=1
	s_delay_alu instid0(SALU_CYCLE_1) | instskip(SKIP_4) | instid1(VALU_DEP_3)
	s_or_b32 exec_lo, exec_lo, s1
	v_and_b32_e32 v25, 0xff, v21
	v_dual_mov_b32 v8, v21 :: v_dual_mov_b32 v24, 0
	v_mov_b32_e32 v23, 0
	s_mov_b32 s1, exec_lo
	v_cmpx_ne_u16_e32 0, v25
	s_cbranch_execz .LBB236_251
; %bb.244:                              ;   in Loop: Header=BB236_210 Depth=1
	v_mov_b32_e32 v23, 0x8000
	s_mov_b32 s23, exec_lo
	v_cmpx_ne_u16_e32 0x80, v25
	s_cbranch_execz .LBB236_250
; %bb.245:                              ;   in Loop: Header=BB236_210 Depth=1
	v_and_b32_e32 v26, 0x7f, v21
	v_mov_b32_e32 v23, 0x7c01
	s_mov_b32 s24, exec_lo
	s_delay_alu instid0(VALU_DEP_2)
	v_cmpx_ne_u32_e32 0x7f, v26
	s_cbranch_execz .LBB236_249
; %bb.246:                              ;   in Loop: Header=BB236_210 Depth=1
	v_dual_lshrrev_b32 v25, 3, v26 :: v_dual_bitop2_b32 v23, 7, v21 bitop3:0x40
	s_mov_b32 s25, exec_lo
	v_cmpx_gt_u32_e32 8, v26
; %bb.247:                              ;   in Loop: Header=BB236_210 Depth=1
	s_delay_alu instid0(VALU_DEP_2) | instskip(NEXT) | instid1(VALU_DEP_1)
	v_clz_i32_u32_e32 v23, v23
	v_min_u32_e32 v23, 32, v23
	s_delay_alu instid0(VALU_DEP_1) | instskip(NEXT) | instid1(VALU_DEP_1)
	v_subrev_nc_u32_e32 v25, 28, v23
	v_lshlrev_b64_e32 v[44:45], v25, v[8:9]
	s_delay_alu instid0(VALU_DEP_1)
	v_dual_sub_nc_u32 v25, 29, v23 :: v_dual_bitop2_b32 v23, 7, v44 bitop3:0x40
; %bb.248:                              ;   in Loop: Header=BB236_210 Depth=1
	s_or_b32 exec_lo, exec_lo, s25
	s_delay_alu instid0(VALU_DEP_1) | instskip(NEXT) | instid1(VALU_DEP_2)
	v_dual_lshlrev_b32 v26, 8, v21 :: v_dual_lshlrev_b32 v23, 7, v23
	v_lshl_add_u32 v25, v25, 10, 0x2000
	s_delay_alu instid0(VALU_DEP_2) | instskip(NEXT) | instid1(VALU_DEP_2)
	v_and_b32_e32 v26, 0x8000, v26
	v_and_b32_e32 v25, 0xfc00, v25
	s_delay_alu instid0(VALU_DEP_1)
	v_or3_b32 v23, v26, v25, v23
.LBB236_249:                            ;   in Loop: Header=BB236_210 Depth=1
	s_or_b32 exec_lo, exec_lo, s24
.LBB236_250:                            ;   in Loop: Header=BB236_210 Depth=1
	s_delay_alu instid0(SALU_CYCLE_1)
	s_or_b32 exec_lo, exec_lo, s23
.LBB236_251:                            ;   in Loop: Header=BB236_210 Depth=1
	s_delay_alu instid0(SALU_CYCLE_1) | instskip(SKIP_3) | instid1(VALU_DEP_2)
	s_or_b32 exec_lo, exec_lo, s1
	v_lshrrev_b16 v8, 8, v8
	v_mov_b32_e32 v25, 0
	s_mov_b32 s1, exec_lo
	v_cmpx_ne_u16_e32 0, v8
	s_cbranch_execz .LBB236_259
; %bb.252:                              ;   in Loop: Header=BB236_210 Depth=1
	v_bfrev_b32_e32 v25, 1
	s_mov_b32 s23, exec_lo
	v_cmpx_ne_u16_e32 0x80, v8
	s_cbranch_execz .LBB236_258
; %bb.253:                              ;   in Loop: Header=BB236_210 Depth=1
	v_and_b32_e32 v26, 0xffff, v8
	v_mov_b32_e32 v25, 0x7c010000
	s_mov_b32 s24, exec_lo
	s_delay_alu instid0(VALU_DEP_2) | instskip(NEXT) | instid1(VALU_DEP_1)
	v_and_b32_e32 v34, 0x7f, v26
	v_cmpx_ne_u32_e32 0x7f, v34
	s_cbranch_execz .LBB236_257
; %bb.254:                              ;   in Loop: Header=BB236_210 Depth=1
	v_and_b32_e32 v25, 7, v26
	v_lshrrev_b32_e32 v33, 3, v34
	s_mov_b32 s25, exec_lo
	v_cmpx_gt_u32_e32 8, v34
; %bb.255:                              ;   in Loop: Header=BB236_210 Depth=1
	s_delay_alu instid0(VALU_DEP_3) | instskip(NEXT) | instid1(VALU_DEP_1)
	v_clz_i32_u32_e32 v25, v25
	v_min_u32_e32 v25, 32, v25
	s_delay_alu instid0(VALU_DEP_1) | instskip(NEXT) | instid1(VALU_DEP_1)
	v_subrev_nc_u32_e32 v33, 28, v25
	v_lshlrev_b64_e32 v[44:45], v33, v[8:9]
	s_delay_alu instid0(VALU_DEP_1)
	v_dual_sub_nc_u32 v33, 29, v25 :: v_dual_bitop2_b32 v25, 7, v44 bitop3:0x40
; %bb.256:                              ;   in Loop: Header=BB236_210 Depth=1
	s_or_b32 exec_lo, exec_lo, s25
	s_delay_alu instid0(VALU_DEP_1) | instskip(NEXT) | instid1(VALU_DEP_2)
	v_dual_lshlrev_b32 v8, 8, v26 :: v_dual_lshlrev_b32 v25, 23, v25
	v_lshl_add_u32 v26, v33, 10, 0x2000
	s_delay_alu instid0(VALU_DEP_1) | instskip(NEXT) | instid1(VALU_DEP_1)
	v_and_or_b32 v8, 0x8000, v8, v26
	v_lshl_or_b32 v25, v8, 16, v25
.LBB236_257:                            ;   in Loop: Header=BB236_210 Depth=1
	s_or_b32 exec_lo, exec_lo, s24
.LBB236_258:                            ;   in Loop: Header=BB236_210 Depth=1
	s_delay_alu instid0(SALU_CYCLE_1)
	s_or_b32 exec_lo, exec_lo, s23
.LBB236_259:                            ;   in Loop: Header=BB236_210 Depth=1
	s_delay_alu instid0(SALU_CYCLE_1) | instskip(SKIP_2) | instid1(VALU_DEP_1)
	s_or_b32 exec_lo, exec_lo, s1
	v_lshrrev_b32_e32 v8, 16, v21
	s_mov_b32 s1, exec_lo
	v_and_b32_e32 v26, 0xff, v8
	s_delay_alu instid0(VALU_DEP_1)
	v_cmpx_ne_u16_e32 0, v26
	s_cbranch_execz .LBB236_267
; %bb.260:                              ;   in Loop: Header=BB236_210 Depth=1
	v_mov_b32_e32 v24, 0x8000
	s_mov_b32 s23, exec_lo
	v_cmpx_ne_u16_e32 0x80, v26
	s_cbranch_execz .LBB236_266
; %bb.261:                              ;   in Loop: Header=BB236_210 Depth=1
	v_bfe_u32 v33, v21, 16, 7
	v_mov_b32_e32 v24, 0x7c01
	s_mov_b32 s24, exec_lo
	s_delay_alu instid0(VALU_DEP_2)
	v_cmpx_ne_u32_e32 0x7f, v33
	s_cbranch_execz .LBB236_265
; %bb.262:                              ;   in Loop: Header=BB236_210 Depth=1
	v_dual_lshrrev_b32 v26, 3, v33 :: v_dual_bitop2_b32 v24, 7, v8 bitop3:0x40
	s_mov_b32 s25, exec_lo
	v_cmpx_gt_u32_e32 8, v33
; %bb.263:                              ;   in Loop: Header=BB236_210 Depth=1
	s_delay_alu instid0(VALU_DEP_2) | instskip(NEXT) | instid1(VALU_DEP_1)
	v_clz_i32_u32_e32 v24, v24
	v_min_u32_e32 v24, 32, v24
	s_delay_alu instid0(VALU_DEP_1) | instskip(NEXT) | instid1(VALU_DEP_1)
	v_subrev_nc_u32_e32 v26, 28, v24
	v_lshlrev_b64_e32 v[44:45], v26, v[8:9]
	v_sub_nc_u32_e32 v26, 29, v24
	s_delay_alu instid0(VALU_DEP_2)
	v_and_b32_e32 v24, 7, v44
; %bb.264:                              ;   in Loop: Header=BB236_210 Depth=1
	s_or_b32 exec_lo, exec_lo, s25
	v_lshlrev_b32_e32 v8, 8, v8
	s_delay_alu instid0(VALU_DEP_3) | instskip(NEXT) | instid1(VALU_DEP_3)
	v_lshl_add_u32 v26, v26, 10, 0x2000
	v_lshlrev_b32_e32 v24, 7, v24
	s_delay_alu instid0(VALU_DEP_3) | instskip(NEXT) | instid1(VALU_DEP_3)
	v_and_b32_e32 v8, 0x8000, v8
	v_and_b32_e32 v26, 0xfc00, v26
	s_delay_alu instid0(VALU_DEP_1)
	v_or3_b32 v24, v8, v26, v24
.LBB236_265:                            ;   in Loop: Header=BB236_210 Depth=1
	s_or_b32 exec_lo, exec_lo, s24
.LBB236_266:                            ;   in Loop: Header=BB236_210 Depth=1
	s_delay_alu instid0(SALU_CYCLE_1)
	s_or_b32 exec_lo, exec_lo, s23
.LBB236_267:                            ;   in Loop: Header=BB236_210 Depth=1
	s_delay_alu instid0(SALU_CYCLE_1)
	s_or_b32 exec_lo, exec_lo, s1
	v_cmp_lt_u64_e64 s0, s[8:9], v[20:21]
	v_mov_b32_e32 v20, 0
	s_and_saveexec_b32 s1, s0
	s_cbranch_execz .LBB236_275
; %bb.268:                              ;   in Loop: Header=BB236_210 Depth=1
	v_lshrrev_b32_e32 v8, 24, v21
	v_bfrev_b32_e32 v20, 1
	s_mov_b32 s23, exec_lo
	s_delay_alu instid0(VALU_DEP_2)
	v_cmpx_ne_u32_e32 0x80, v8
	s_cbranch_execz .LBB236_274
; %bb.269:                              ;   in Loop: Header=BB236_210 Depth=1
	v_and_b32_e32 v26, 0x7f, v8
	v_mov_b32_e32 v20, 0x7c010000
	s_mov_b32 s24, exec_lo
	s_delay_alu instid0(VALU_DEP_2)
	v_cmpx_ne_u32_e32 0x7f, v26
	s_cbranch_execz .LBB236_273
; %bb.270:                              ;   in Loop: Header=BB236_210 Depth=1
	v_dual_lshrrev_b32 v21, 3, v26 :: v_dual_bitop2_b32 v20, 7, v8 bitop3:0x40
	s_mov_b32 s25, exec_lo
	v_cmpx_gt_u32_e32 8, v26
; %bb.271:                              ;   in Loop: Header=BB236_210 Depth=1
	s_delay_alu instid0(VALU_DEP_2) | instskip(NEXT) | instid1(VALU_DEP_1)
	v_clz_i32_u32_e32 v20, v20
	v_min_u32_e32 v26, 32, v20
	s_delay_alu instid0(VALU_DEP_1) | instskip(NEXT) | instid1(VALU_DEP_1)
	v_subrev_nc_u32_e32 v20, 28, v26
	v_lshlrev_b64_e32 v[20:21], v20, v[8:9]
	s_delay_alu instid0(VALU_DEP_1)
	v_dual_sub_nc_u32 v21, 29, v26 :: v_dual_bitop2_b32 v20, 7, v20 bitop3:0x40
; %bb.272:                              ;   in Loop: Header=BB236_210 Depth=1
	s_or_b32 exec_lo, exec_lo, s25
	v_lshlrev_b32_e32 v8, 8, v8
	s_delay_alu instid0(VALU_DEP_2) | instskip(NEXT) | instid1(VALU_DEP_3)
	v_lshl_add_u32 v21, v21, 10, 0x2000
	v_lshlrev_b32_e32 v20, 23, v20
	s_delay_alu instid0(VALU_DEP_2) | instskip(NEXT) | instid1(VALU_DEP_1)
	v_and_or_b32 v8, 0x8000, v8, v21
	v_lshl_or_b32 v20, v8, 16, v20
.LBB236_273:                            ;   in Loop: Header=BB236_210 Depth=1
	s_or_b32 exec_lo, exec_lo, s24
.LBB236_274:                            ;   in Loop: Header=BB236_210 Depth=1
	s_delay_alu instid0(SALU_CYCLE_1)
	s_or_b32 exec_lo, exec_lo, s23
.LBB236_275:                            ;   in Loop: Header=BB236_210 Depth=1
	s_delay_alu instid0(SALU_CYCLE_1) | instskip(SKIP_3) | instid1(VALU_DEP_3)
	s_or_b32 exec_lo, exec_lo, s1
	v_dual_lshrrev_b32 v8, 16, v1 :: v_dual_lshrrev_b32 v21, 16, v19
	v_or_b32_e32 v1, v1, v3
	v_dual_lshrrev_b32 v22, 16, v20 :: v_dual_bitop2_b32 v3, v19, v22 bitop3:0x54
	v_cvt_f32_f16_e32 v45, v8
	s_delay_alu instid0(VALU_DEP_4) | instskip(SKIP_4) | instid1(VALU_DEP_4)
	v_cvt_f32_f16_e32 v44, v21
	v_lshrrev_b32_e32 v19, 16, v25
	v_cvt_f32_f16_e32 v21, v1
	v_cvt_f32_f16_e32 v22, v22
	v_cmp_eq_u32_e64 s0, s37, v32
	v_pk_mul_f32 v[44:45], v[18:19], v[44:45] op_sel_hi:[0,1]
	s_delay_alu instid0(VALU_DEP_1) | instskip(SKIP_4) | instid1(VALU_DEP_4)
	v_cvt_pk_f16_f32 v1, v44, v45
	v_or_b32_e32 v8, v20, v24
	v_cvt_f32_f16_e32 v20, v3
	v_or_b32_e32 v3, v25, v23
	v_cvt_f32_f16_e32 v23, v19
	v_cvt_f32_f16_e32 v24, v8
	s_delay_alu instid0(VALU_DEP_4) | instskip(NEXT) | instid1(VALU_DEP_4)
	v_pk_mul_f32 v[20:21], v[18:19], v[20:21] op_sel_hi:[0,1]
	v_cvt_f32_f16_e32 v25, v3
	s_delay_alu instid0(VALU_DEP_4) | instskip(NEXT) | instid1(VALU_DEP_3)
	v_pk_mul_f32 v[22:23], v[18:19], v[22:23] op_sel_hi:[0,1]
	v_cvt_pk_f16_f32 v3, v20, v21
	s_delay_alu instid0(VALU_DEP_3) | instskip(NEXT) | instid1(VALU_DEP_3)
	v_pk_mul_f32 v[24:25], v[18:19], v[24:25] op_sel_hi:[0,1]
	v_cvt_pk_f16_f32 v8, v22, v23
	v_and_b32_e32 v19, 0xffff0000, v1
	v_lshlrev_b32_e32 v18, 16, v1
	v_and_b32_e32 v26, 0xffff, v3
	v_cvt_pk_f16_f32 v20, v24, v25
	v_lshrrev_b32_e32 v25, 16, v3
	v_and_b32_e32 v1, 0xffff0000, v8
	s_delay_alu instid0(VALU_DEP_4) | instskip(NEXT) | instid1(VALU_DEP_4)
	v_dual_lshlrev_b32 v8, 16, v8 :: v_dual_bitop2_b32 v24, v18, v26 bitop3:0x54
	v_lshrrev_b32_e32 v3, 16, v20
	v_and_b32_e32 v20, 0xffff, v20
	v_or_b32_e32 v23, v19, v25
	s_delay_alu instid0(VALU_DEP_3) | instskip(NEXT) | instid1(VALU_DEP_3)
	v_or_b32_e32 v21, v1, v3
	v_or_b32_e32 v22, v8, v20
	s_and_saveexec_b32 s23, s0
	s_cbranch_execz .LBB236_277
; %bb.276:                              ;   in Loop: Header=BB236_210 Depth=1
	v_dual_add_nc_u32 v21, 2, v2 :: v_dual_bitop2_b32 v22, 1, v2 bitop3:0x54
	v_cmp_gt_i32_e64 s1, s18, v2
	s_delay_alu instid0(VALU_DEP_1) | instskip(NEXT) | instid1(VALU_DEP_3)
	v_dual_cndmask_b32 v24, 0, v25, s1 :: v_dual_bitop2_b32 v23, 3, v2 bitop3:0x54
	v_cmp_gt_i32_e64 s1, s34, v21
	v_or_b32_e32 v25, 5, v2
	s_delay_alu instid0(VALU_DEP_2) | instskip(SKIP_2) | instid1(VALU_DEP_2)
	v_cndmask_b32_e64 v21, 0, v26, s1
	v_cmp_gt_i32_e64 s1, s18, v22
	v_or_b32_e32 v22, 4, v2
	v_dual_cndmask_b32 v19, 0, v19, s1 :: v_dual_bitop2_b32 v26, 7, v2 bitop3:0x54
	v_cmp_gt_i32_e64 s1, s34, v23
	v_or_b32_e32 v23, 6, v2
	s_delay_alu instid0(VALU_DEP_2) | instskip(SKIP_1) | instid1(VALU_DEP_1)
	v_cndmask_b32_e64 v18, 0, v18, s1
	v_cmp_gt_i32_e64 s1, s18, v22
	v_cndmask_b32_e64 v3, 0, v3, s1
	s_delay_alu instid0(VALU_DEP_4) | instskip(SKIP_1) | instid1(VALU_DEP_2)
	v_cmp_gt_i32_e64 s1, s34, v23
	v_or_b32_e32 v23, v19, v24
	v_cndmask_b32_e64 v20, 0, v20, s1
	v_cmp_gt_i32_e64 s1, s18, v25
	v_or_b32_e32 v24, v18, v21
	s_delay_alu instid0(VALU_DEP_2) | instskip(SKIP_1) | instid1(VALU_DEP_1)
	v_cndmask_b32_e64 v1, 0, v1, s1
	v_cmp_gt_i32_e64 s1, s34, v26
	v_dual_cndmask_b32 v8, 0, v8, s1 :: v_dual_bitop2_b32 v21, v1, v3 bitop3:0x54
	s_delay_alu instid0(VALU_DEP_1)
	v_or_b32_e32 v22, v8, v20
.LBB236_277:                            ;   in Loop: Header=BB236_210 Depth=1
	s_or_b32 exec_lo, exec_lo, s23
	v_and_b32_e32 v1, 0xffff, v38
	v_and_b32_e32 v3, 0xffff, v39
	;; [unrolled: 1-line block ×4, first 2 shown]
	s_mov_b32 s23, exec_lo
	v_lshl_or_b32 v39, v36, 16, v1
	;;#ASMSTART
	v_pk_mul_f16 v1, v39, v23;

	;;#ASMEND
	v_lshl_or_b32 v38, v37, 16, v3
	v_lshl_or_b32 v37, v40, 16, v8
	v_lshl_or_b32 v36, v41, 16, v18
	;;#ASMSTART
	v_pk_mul_f16 v3, v38, v24;

	;;#ASMEND
	;;#ASMSTART
	v_pk_mul_f16 v8, v37, v21;

	;;#ASMEND
	;; [unrolled: 4-line block ×3, first 2 shown]
	;;#ASMSTART
	v_pk_add_f16 v1, v1, v3;

	;;#ASMEND
	;;#ASMSTART
	v_pk_add_f16 v1, v1, v8;

	;;#ASMEND
	;; [unrolled: 4-line block ×3, first 2 shown]
	v_and_b32_e32 v3, 0xffff, v1
	v_lshrrev_b32_e32 v1, 16, v1
	;;#ASMSTART
	v_cvt_f32_f16 v33, v3;
	;;#ASMEND
	v_mov_b32_e32 v3, 0
	;;#ASMSTART
	v_cvt_f32_f16 v34, v1;
	;;#ASMEND
	global_load_b64 v[18:19], v[16:17], off offset:256
	v_mov_b32_e32 v1, 0
	global_load_b32 v16, v1, s[10:11]
	s_wait_loadcnt 0x1
	v_and_b32_e32 v8, 0xff, v18
	s_wait_xcnt 0x0
	s_delay_alu instid0(VALU_DEP_1)
	v_cmpx_ne_u16_e32 0, v8
	s_cbranch_execz .LBB236_285
; %bb.278:                              ;   in Loop: Header=BB236_210 Depth=1
	v_mov_b32_e32 v3, 0x8000
	s_mov_b32 s24, exec_lo
	v_cmpx_ne_u16_e32 0x80, v8
	s_cbranch_execz .LBB236_284
; %bb.279:                              ;   in Loop: Header=BB236_210 Depth=1
	v_and_b32_e32 v17, 0x7f, v18
	v_mov_b32_e32 v3, 0x7c01
	s_mov_b32 s25, exec_lo
	s_delay_alu instid0(VALU_DEP_2)
	v_cmpx_ne_u32_e32 0x7f, v17
	s_cbranch_execz .LBB236_283
; %bb.280:                              ;   in Loop: Header=BB236_210 Depth=1
	v_dual_lshrrev_b32 v8, 3, v17 :: v_dual_bitop2_b32 v3, 7, v18 bitop3:0x40
	s_mov_b32 s26, exec_lo
	v_cmpx_gt_u32_e32 8, v17
; %bb.281:                              ;   in Loop: Header=BB236_210 Depth=1
	s_delay_alu instid0(VALU_DEP_2) | instskip(NEXT) | instid1(VALU_DEP_1)
	v_clz_i32_u32_e32 v3, v3
	v_min_u32_e32 v3, 32, v3
	s_delay_alu instid0(VALU_DEP_1) | instskip(NEXT) | instid1(VALU_DEP_1)
	v_subrev_nc_u32_e32 v8, 28, v3
	v_lshlrev_b64_e32 v[20:21], v8, v[18:19]
	s_delay_alu instid0(VALU_DEP_1)
	v_dual_sub_nc_u32 v8, 29, v3 :: v_dual_bitop2_b32 v3, 7, v20 bitop3:0x40
; %bb.282:                              ;   in Loop: Header=BB236_210 Depth=1
	s_or_b32 exec_lo, exec_lo, s26
	s_delay_alu instid0(VALU_DEP_1) | instskip(NEXT) | instid1(VALU_DEP_2)
	v_dual_lshlrev_b32 v17, 8, v18 :: v_dual_lshlrev_b32 v3, 7, v3
	v_lshl_add_u32 v8, v8, 10, 0x2000
	s_delay_alu instid0(VALU_DEP_2) | instskip(NEXT) | instid1(VALU_DEP_2)
	v_and_b32_e32 v17, 0x8000, v17
	v_and_b32_e32 v8, 0xfc00, v8
	s_delay_alu instid0(VALU_DEP_1)
	v_or3_b32 v3, v17, v8, v3
.LBB236_283:                            ;   in Loop: Header=BB236_210 Depth=1
	s_or_b32 exec_lo, exec_lo, s25
.LBB236_284:                            ;   in Loop: Header=BB236_210 Depth=1
	s_delay_alu instid0(SALU_CYCLE_1)
	s_or_b32 exec_lo, exec_lo, s24
.LBB236_285:                            ;   in Loop: Header=BB236_210 Depth=1
	s_delay_alu instid0(SALU_CYCLE_1) | instskip(SKIP_2) | instid1(VALU_DEP_1)
	s_or_b32 exec_lo, exec_lo, s23
	v_lshrrev_b16 v8, 8, v18
	s_mov_b32 s23, exec_lo
	v_cmpx_ne_u16_e32 0, v8
	s_cbranch_execz .LBB236_293
; %bb.286:                              ;   in Loop: Header=BB236_210 Depth=1
	v_bfrev_b32_e32 v1, 1
	s_mov_b32 s24, exec_lo
	v_cmpx_ne_u16_e32 0x80, v8
	s_cbranch_execz .LBB236_292
; %bb.287:                              ;   in Loop: Header=BB236_210 Depth=1
	v_and_b32_e32 v17, 0xffff, v8
	v_mov_b32_e32 v1, 0x7c010000
	s_mov_b32 s25, exec_lo
	s_delay_alu instid0(VALU_DEP_2) | instskip(NEXT) | instid1(VALU_DEP_1)
	v_and_b32_e32 v21, 0x7f, v17
	v_cmpx_ne_u32_e32 0x7f, v21
	s_cbranch_execz .LBB236_291
; %bb.288:                              ;   in Loop: Header=BB236_210 Depth=1
	v_and_b32_e32 v1, 7, v17
	v_lshrrev_b32_e32 v20, 3, v21
	s_mov_b32 s26, exec_lo
	v_cmpx_gt_u32_e32 8, v21
; %bb.289:                              ;   in Loop: Header=BB236_210 Depth=1
	s_delay_alu instid0(VALU_DEP_3) | instskip(NEXT) | instid1(VALU_DEP_1)
	v_clz_i32_u32_e32 v1, v1
	v_min_u32_e32 v1, 32, v1
	s_delay_alu instid0(VALU_DEP_1) | instskip(NEXT) | instid1(VALU_DEP_1)
	v_subrev_nc_u32_e32 v20, 28, v1
	v_lshlrev_b64_e32 v[22:23], v20, v[8:9]
	s_delay_alu instid0(VALU_DEP_1)
	v_dual_sub_nc_u32 v20, 29, v1 :: v_dual_bitop2_b32 v1, 7, v22 bitop3:0x40
; %bb.290:                              ;   in Loop: Header=BB236_210 Depth=1
	s_or_b32 exec_lo, exec_lo, s26
	v_lshlrev_b32_e32 v8, 8, v17
	s_delay_alu instid0(VALU_DEP_2) | instskip(NEXT) | instid1(VALU_DEP_3)
	v_lshl_add_u32 v17, v20, 10, 0x2000
	v_lshlrev_b32_e32 v1, 23, v1
	s_delay_alu instid0(VALU_DEP_2) | instskip(NEXT) | instid1(VALU_DEP_1)
	v_and_or_b32 v8, 0x8000, v8, v17
	v_lshl_or_b32 v1, v8, 16, v1
.LBB236_291:                            ;   in Loop: Header=BB236_210 Depth=1
	s_or_b32 exec_lo, exec_lo, s25
.LBB236_292:                            ;   in Loop: Header=BB236_210 Depth=1
	s_delay_alu instid0(SALU_CYCLE_1)
	s_or_b32 exec_lo, exec_lo, s24
.LBB236_293:                            ;   in Loop: Header=BB236_210 Depth=1
	s_delay_alu instid0(SALU_CYCLE_1) | instskip(SKIP_3) | instid1(VALU_DEP_2)
	s_or_b32 exec_lo, exec_lo, s23
	v_dual_mov_b32 v17, 0 :: v_dual_lshrrev_b32 v8, 16, v18
	v_mov_b32_e32 v20, 0
	s_mov_b32 s23, exec_lo
	v_and_b32_e32 v21, 0xff, v8
	s_delay_alu instid0(VALU_DEP_1)
	v_cmpx_ne_u16_e32 0, v21
	s_cbranch_execz .LBB236_301
; %bb.294:                              ;   in Loop: Header=BB236_210 Depth=1
	v_mov_b32_e32 v20, 0x8000
	s_mov_b32 s24, exec_lo
	v_cmpx_ne_u16_e32 0x80, v21
	s_cbranch_execz .LBB236_300
; %bb.295:                              ;   in Loop: Header=BB236_210 Depth=1
	v_bfe_u32 v22, v18, 16, 7
	v_mov_b32_e32 v20, 0x7c01
	s_mov_b32 s25, exec_lo
	s_delay_alu instid0(VALU_DEP_2)
	v_cmpx_ne_u32_e32 0x7f, v22
	s_cbranch_execz .LBB236_299
; %bb.296:                              ;   in Loop: Header=BB236_210 Depth=1
	v_dual_lshrrev_b32 v21, 3, v22 :: v_dual_bitop2_b32 v20, 7, v8 bitop3:0x40
	s_mov_b32 s26, exec_lo
	v_cmpx_gt_u32_e32 8, v22
; %bb.297:                              ;   in Loop: Header=BB236_210 Depth=1
	s_delay_alu instid0(VALU_DEP_2) | instskip(NEXT) | instid1(VALU_DEP_1)
	v_clz_i32_u32_e32 v20, v20
	v_min_u32_e32 v22, 32, v20
	s_delay_alu instid0(VALU_DEP_1) | instskip(NEXT) | instid1(VALU_DEP_1)
	v_subrev_nc_u32_e32 v20, 28, v22
	v_lshlrev_b64_e32 v[20:21], v20, v[8:9]
	s_delay_alu instid0(VALU_DEP_1)
	v_dual_sub_nc_u32 v21, 29, v22 :: v_dual_bitop2_b32 v20, 7, v20 bitop3:0x40
; %bb.298:                              ;   in Loop: Header=BB236_210 Depth=1
	s_or_b32 exec_lo, exec_lo, s26
	v_lshlrev_b32_e32 v8, 8, v8
	s_delay_alu instid0(VALU_DEP_2) | instskip(NEXT) | instid1(VALU_DEP_3)
	v_lshl_add_u32 v21, v21, 10, 0x2000
	v_lshlrev_b32_e32 v20, 7, v20
	s_delay_alu instid0(VALU_DEP_3) | instskip(NEXT) | instid1(VALU_DEP_3)
	v_and_b32_e32 v8, 0x8000, v8
	v_and_b32_e32 v21, 0xfc00, v21
	s_delay_alu instid0(VALU_DEP_1)
	v_or3_b32 v20, v8, v21, v20
.LBB236_299:                            ;   in Loop: Header=BB236_210 Depth=1
	s_or_b32 exec_lo, exec_lo, s25
.LBB236_300:                            ;   in Loop: Header=BB236_210 Depth=1
	s_delay_alu instid0(SALU_CYCLE_1)
	s_or_b32 exec_lo, exec_lo, s24
.LBB236_301:                            ;   in Loop: Header=BB236_210 Depth=1
	s_delay_alu instid0(SALU_CYCLE_1) | instskip(NEXT) | instid1(SALU_CYCLE_1)
	s_or_b32 exec_lo, exec_lo, s23
	s_mov_b32 s23, exec_lo
	v_cmpx_lt_u32_e32 0xffffff, v18
	s_cbranch_execz .LBB236_309
; %bb.302:                              ;   in Loop: Header=BB236_210 Depth=1
	v_lshrrev_b32_e32 v8, 24, v18
	v_bfrev_b32_e32 v17, 1
	s_mov_b32 s24, exec_lo
	s_delay_alu instid0(VALU_DEP_2)
	v_cmpx_ne_u32_e32 0x80, v8
	s_cbranch_execz .LBB236_308
; %bb.303:                              ;   in Loop: Header=BB236_210 Depth=1
	v_and_b32_e32 v22, 0x7f, v8
	v_mov_b32_e32 v17, 0x7c010000
	s_mov_b32 s25, exec_lo
	s_delay_alu instid0(VALU_DEP_2)
	v_cmpx_ne_u32_e32 0x7f, v22
	s_cbranch_execz .LBB236_307
; %bb.304:                              ;   in Loop: Header=BB236_210 Depth=1
	v_dual_lshrrev_b32 v21, 3, v22 :: v_dual_bitop2_b32 v17, 7, v8 bitop3:0x40
	s_mov_b32 s26, exec_lo
	v_cmpx_gt_u32_e32 8, v22
; %bb.305:                              ;   in Loop: Header=BB236_210 Depth=1
	s_delay_alu instid0(VALU_DEP_2) | instskip(NEXT) | instid1(VALU_DEP_1)
	v_clz_i32_u32_e32 v17, v17
	v_min_u32_e32 v17, 32, v17
	s_delay_alu instid0(VALU_DEP_1) | instskip(NEXT) | instid1(VALU_DEP_1)
	v_subrev_nc_u32_e32 v21, 28, v17
	v_lshlrev_b64_e32 v[22:23], v21, v[8:9]
	s_delay_alu instid0(VALU_DEP_1)
	v_dual_sub_nc_u32 v21, 29, v17 :: v_dual_bitop2_b32 v17, 7, v22 bitop3:0x40
; %bb.306:                              ;   in Loop: Header=BB236_210 Depth=1
	s_or_b32 exec_lo, exec_lo, s26
	s_delay_alu instid0(VALU_DEP_1) | instskip(NEXT) | instid1(VALU_DEP_2)
	v_dual_lshlrev_b32 v8, 8, v8 :: v_dual_lshlrev_b32 v17, 23, v17
	v_lshl_add_u32 v21, v21, 10, 0x2000
	s_delay_alu instid0(VALU_DEP_1) | instskip(NEXT) | instid1(VALU_DEP_1)
	v_and_or_b32 v8, 0x8000, v8, v21
	v_lshl_or_b32 v17, v8, 16, v17
.LBB236_307:                            ;   in Loop: Header=BB236_210 Depth=1
	s_or_b32 exec_lo, exec_lo, s25
.LBB236_308:                            ;   in Loop: Header=BB236_210 Depth=1
	s_delay_alu instid0(SALU_CYCLE_1)
	s_or_b32 exec_lo, exec_lo, s24
.LBB236_309:                            ;   in Loop: Header=BB236_210 Depth=1
	s_delay_alu instid0(SALU_CYCLE_1) | instskip(SKIP_4) | instid1(VALU_DEP_3)
	s_or_b32 exec_lo, exec_lo, s23
	v_and_b32_e32 v23, 0xff, v19
	v_dual_mov_b32 v8, v19 :: v_dual_mov_b32 v22, 0
	v_mov_b32_e32 v21, 0
	s_mov_b32 s23, exec_lo
	v_cmpx_ne_u16_e32 0, v23
	s_cbranch_execz .LBB236_317
; %bb.310:                              ;   in Loop: Header=BB236_210 Depth=1
	v_mov_b32_e32 v21, 0x8000
	s_mov_b32 s24, exec_lo
	v_cmpx_ne_u16_e32 0x80, v23
	s_cbranch_execz .LBB236_316
; %bb.311:                              ;   in Loop: Header=BB236_210 Depth=1
	v_and_b32_e32 v24, 0x7f, v19
	v_mov_b32_e32 v21, 0x7c01
	s_mov_b32 s25, exec_lo
	s_delay_alu instid0(VALU_DEP_2)
	v_cmpx_ne_u32_e32 0x7f, v24
	s_cbranch_execz .LBB236_315
; %bb.312:                              ;   in Loop: Header=BB236_210 Depth=1
	v_dual_lshrrev_b32 v23, 3, v24 :: v_dual_bitop2_b32 v21, 7, v19 bitop3:0x40
	s_mov_b32 s26, exec_lo
	v_cmpx_gt_u32_e32 8, v24
; %bb.313:                              ;   in Loop: Header=BB236_210 Depth=1
	s_delay_alu instid0(VALU_DEP_2) | instskip(NEXT) | instid1(VALU_DEP_1)
	v_clz_i32_u32_e32 v21, v21
	v_min_u32_e32 v21, 32, v21
	s_delay_alu instid0(VALU_DEP_1) | instskip(NEXT) | instid1(VALU_DEP_1)
	v_subrev_nc_u32_e32 v23, 28, v21
	v_lshlrev_b64_e32 v[24:25], v23, v[8:9]
	s_delay_alu instid0(VALU_DEP_1)
	v_dual_sub_nc_u32 v23, 29, v21 :: v_dual_bitop2_b32 v21, 7, v24 bitop3:0x40
; %bb.314:                              ;   in Loop: Header=BB236_210 Depth=1
	s_or_b32 exec_lo, exec_lo, s26
	s_delay_alu instid0(VALU_DEP_1) | instskip(NEXT) | instid1(VALU_DEP_2)
	v_dual_lshlrev_b32 v24, 8, v19 :: v_dual_lshlrev_b32 v21, 7, v21
	v_lshl_add_u32 v23, v23, 10, 0x2000
	s_delay_alu instid0(VALU_DEP_2) | instskip(NEXT) | instid1(VALU_DEP_2)
	v_and_b32_e32 v24, 0x8000, v24
	v_and_b32_e32 v23, 0xfc00, v23
	s_delay_alu instid0(VALU_DEP_1)
	v_or3_b32 v21, v24, v23, v21
.LBB236_315:                            ;   in Loop: Header=BB236_210 Depth=1
	s_or_b32 exec_lo, exec_lo, s25
.LBB236_316:                            ;   in Loop: Header=BB236_210 Depth=1
	s_delay_alu instid0(SALU_CYCLE_1)
	s_or_b32 exec_lo, exec_lo, s24
.LBB236_317:                            ;   in Loop: Header=BB236_210 Depth=1
	s_delay_alu instid0(SALU_CYCLE_1) | instskip(SKIP_3) | instid1(VALU_DEP_2)
	s_or_b32 exec_lo, exec_lo, s23
	v_lshrrev_b16 v8, 8, v8
	v_mov_b32_e32 v23, 0
	s_mov_b32 s23, exec_lo
	v_cmpx_ne_u16_e32 0, v8
	s_cbranch_execz .LBB236_325
; %bb.318:                              ;   in Loop: Header=BB236_210 Depth=1
	v_bfrev_b32_e32 v23, 1
	s_mov_b32 s24, exec_lo
	v_cmpx_ne_u16_e32 0x80, v8
	s_cbranch_execz .LBB236_324
; %bb.319:                              ;   in Loop: Header=BB236_210 Depth=1
	v_and_b32_e32 v24, 0xffff, v8
	v_mov_b32_e32 v23, 0x7c010000
	s_mov_b32 s25, exec_lo
	s_delay_alu instid0(VALU_DEP_2) | instskip(NEXT) | instid1(VALU_DEP_1)
	v_and_b32_e32 v26, 0x7f, v24
	v_cmpx_ne_u32_e32 0x7f, v26
	s_cbranch_execz .LBB236_323
; %bb.320:                              ;   in Loop: Header=BB236_210 Depth=1
	v_dual_lshrrev_b32 v25, 3, v26 :: v_dual_bitop2_b32 v23, 7, v24 bitop3:0x40
	s_mov_b32 s26, exec_lo
	v_cmpx_gt_u32_e32 8, v26
; %bb.321:                              ;   in Loop: Header=BB236_210 Depth=1
	s_delay_alu instid0(VALU_DEP_2) | instskip(NEXT) | instid1(VALU_DEP_1)
	v_clz_i32_u32_e32 v23, v23
	v_min_u32_e32 v23, 32, v23
	s_delay_alu instid0(VALU_DEP_1) | instskip(NEXT) | instid1(VALU_DEP_1)
	v_subrev_nc_u32_e32 v25, 28, v23
	v_lshlrev_b64_e32 v[40:41], v25, v[8:9]
	s_delay_alu instid0(VALU_DEP_1)
	v_dual_sub_nc_u32 v25, 29, v23 :: v_dual_bitop2_b32 v23, 7, v40 bitop3:0x40
; %bb.322:                              ;   in Loop: Header=BB236_210 Depth=1
	s_or_b32 exec_lo, exec_lo, s26
	s_delay_alu instid0(VALU_DEP_1) | instskip(NEXT) | instid1(VALU_DEP_2)
	v_dual_lshlrev_b32 v8, 8, v24 :: v_dual_lshlrev_b32 v23, 23, v23
	v_lshl_add_u32 v24, v25, 10, 0x2000
	s_delay_alu instid0(VALU_DEP_1) | instskip(NEXT) | instid1(VALU_DEP_1)
	v_and_or_b32 v8, 0x8000, v8, v24
	v_lshl_or_b32 v23, v8, 16, v23
.LBB236_323:                            ;   in Loop: Header=BB236_210 Depth=1
	s_or_b32 exec_lo, exec_lo, s25
.LBB236_324:                            ;   in Loop: Header=BB236_210 Depth=1
	s_delay_alu instid0(SALU_CYCLE_1)
	s_or_b32 exec_lo, exec_lo, s24
.LBB236_325:                            ;   in Loop: Header=BB236_210 Depth=1
	s_delay_alu instid0(SALU_CYCLE_1) | instskip(SKIP_2) | instid1(VALU_DEP_1)
	s_or_b32 exec_lo, exec_lo, s23
	v_lshrrev_b32_e32 v8, 16, v19
	s_mov_b32 s23, exec_lo
	v_and_b32_e32 v24, 0xff, v8
	s_delay_alu instid0(VALU_DEP_1)
	v_cmpx_ne_u16_e32 0, v24
	s_cbranch_execz .LBB236_333
; %bb.326:                              ;   in Loop: Header=BB236_210 Depth=1
	v_mov_b32_e32 v22, 0x8000
	s_mov_b32 s24, exec_lo
	v_cmpx_ne_u16_e32 0x80, v24
	s_cbranch_execz .LBB236_332
; %bb.327:                              ;   in Loop: Header=BB236_210 Depth=1
	v_bfe_u32 v25, v19, 16, 7
	v_mov_b32_e32 v22, 0x7c01
	s_mov_b32 s25, exec_lo
	s_delay_alu instid0(VALU_DEP_2)
	v_cmpx_ne_u32_e32 0x7f, v25
	s_cbranch_execz .LBB236_331
; %bb.328:                              ;   in Loop: Header=BB236_210 Depth=1
	v_dual_lshrrev_b32 v24, 3, v25 :: v_dual_bitop2_b32 v22, 7, v8 bitop3:0x40
	s_mov_b32 s26, exec_lo
	v_cmpx_gt_u32_e32 8, v25
; %bb.329:                              ;   in Loop: Header=BB236_210 Depth=1
	s_delay_alu instid0(VALU_DEP_2) | instskip(NEXT) | instid1(VALU_DEP_1)
	v_clz_i32_u32_e32 v22, v22
	v_min_u32_e32 v22, 32, v22
	s_delay_alu instid0(VALU_DEP_1) | instskip(NEXT) | instid1(VALU_DEP_1)
	v_subrev_nc_u32_e32 v24, 28, v22
	v_lshlrev_b64_e32 v[40:41], v24, v[8:9]
	s_delay_alu instid0(VALU_DEP_1)
	v_dual_sub_nc_u32 v24, 29, v22 :: v_dual_bitop2_b32 v22, 7, v40 bitop3:0x40
; %bb.330:                              ;   in Loop: Header=BB236_210 Depth=1
	s_or_b32 exec_lo, exec_lo, s26
	s_delay_alu instid0(VALU_DEP_1) | instskip(NEXT) | instid1(VALU_DEP_2)
	v_dual_lshlrev_b32 v8, 8, v8 :: v_dual_lshlrev_b32 v22, 7, v22
	v_lshl_add_u32 v24, v24, 10, 0x2000
	s_delay_alu instid0(VALU_DEP_2) | instskip(NEXT) | instid1(VALU_DEP_2)
	v_and_b32_e32 v8, 0x8000, v8
	v_and_b32_e32 v24, 0xfc00, v24
	s_delay_alu instid0(VALU_DEP_1)
	v_or3_b32 v22, v8, v24, v22
.LBB236_331:                            ;   in Loop: Header=BB236_210 Depth=1
	s_or_b32 exec_lo, exec_lo, s25
.LBB236_332:                            ;   in Loop: Header=BB236_210 Depth=1
	s_delay_alu instid0(SALU_CYCLE_1)
	s_or_b32 exec_lo, exec_lo, s24
.LBB236_333:                            ;   in Loop: Header=BB236_210 Depth=1
	s_delay_alu instid0(SALU_CYCLE_1)
	s_or_b32 exec_lo, exec_lo, s23
	v_cmp_lt_u64_e64 s1, s[8:9], v[18:19]
	v_mov_b32_e32 v18, 0
	s_and_saveexec_b32 s23, s1
	s_cbranch_execz .LBB236_341
; %bb.334:                              ;   in Loop: Header=BB236_210 Depth=1
	v_lshrrev_b32_e32 v8, 24, v19
	v_bfrev_b32_e32 v18, 1
	s_mov_b32 s24, exec_lo
	s_delay_alu instid0(VALU_DEP_2)
	v_cmpx_ne_u32_e32 0x80, v8
	s_cbranch_execz .LBB236_340
; %bb.335:                              ;   in Loop: Header=BB236_210 Depth=1
	v_and_b32_e32 v24, 0x7f, v8
	v_mov_b32_e32 v18, 0x7c010000
	s_mov_b32 s25, exec_lo
	s_delay_alu instid0(VALU_DEP_2)
	v_cmpx_ne_u32_e32 0x7f, v24
	s_cbranch_execz .LBB236_339
; %bb.336:                              ;   in Loop: Header=BB236_210 Depth=1
	v_and_b32_e32 v18, 7, v8
	v_lshrrev_b32_e32 v19, 3, v24
	s_mov_b32 s26, exec_lo
	v_cmpx_gt_u32_e32 8, v24
; %bb.337:                              ;   in Loop: Header=BB236_210 Depth=1
	s_delay_alu instid0(VALU_DEP_3) | instskip(NEXT) | instid1(VALU_DEP_1)
	v_clz_i32_u32_e32 v18, v18
	v_min_u32_e32 v24, 32, v18
	s_delay_alu instid0(VALU_DEP_1) | instskip(NEXT) | instid1(VALU_DEP_1)
	v_subrev_nc_u32_e32 v18, 28, v24
	v_lshlrev_b64_e32 v[18:19], v18, v[8:9]
	s_delay_alu instid0(VALU_DEP_1)
	v_dual_sub_nc_u32 v19, 29, v24 :: v_dual_bitop2_b32 v18, 7, v18 bitop3:0x40
; %bb.338:                              ;   in Loop: Header=BB236_210 Depth=1
	s_or_b32 exec_lo, exec_lo, s26
	s_delay_alu instid0(VALU_DEP_1) | instskip(NEXT) | instid1(VALU_DEP_2)
	v_dual_lshlrev_b32 v8, 8, v8 :: v_dual_lshlrev_b32 v18, 23, v18
	v_lshl_add_u32 v19, v19, 10, 0x2000
	s_delay_alu instid0(VALU_DEP_1) | instskip(NEXT) | instid1(VALU_DEP_1)
	v_and_or_b32 v8, 0x8000, v8, v19
	v_lshl_or_b32 v18, v8, 16, v18
.LBB236_339:                            ;   in Loop: Header=BB236_210 Depth=1
	s_or_b32 exec_lo, exec_lo, s25
.LBB236_340:                            ;   in Loop: Header=BB236_210 Depth=1
	s_delay_alu instid0(SALU_CYCLE_1)
	s_or_b32 exec_lo, exec_lo, s24
.LBB236_341:                            ;   in Loop: Header=BB236_210 Depth=1
	s_delay_alu instid0(SALU_CYCLE_1) | instskip(SKIP_3) | instid1(VALU_DEP_3)
	s_or_b32 exec_lo, exec_lo, s23
	v_dual_lshrrev_b32 v8, 16, v1 :: v_dual_bitop2_b32 v1, v1, v3 bitop3:0x54
	v_dual_lshrrev_b32 v19, 16, v17 :: v_dual_bitop2_b32 v3, v17, v20 bitop3:0x54
	v_lshrrev_b32_e32 v20, 16, v18
	v_cvt_f32_f16_e32 v25, v8
	v_dual_lshrrev_b32 v17, 16, v23 :: v_dual_bitop2_b32 v8, v18, v22 bitop3:0x54
	s_delay_alu instid0(VALU_DEP_4)
	v_cvt_f32_f16_e32 v18, v3
	v_or_b32_e32 v3, v23, v21
	v_cvt_f32_f16_e32 v24, v19
	v_cvt_f32_f16_e32 v19, v1
	;; [unrolled: 1-line block ×6, first 2 shown]
	s_wait_loadcnt 0x0
	v_pk_mul_f32 v[24:25], v[16:17], v[24:25] op_sel_hi:[0,1]
	v_pk_mul_f32 v[18:19], v[16:17], v[18:19] op_sel_hi:[0,1]
	;; [unrolled: 1-line block ×4, first 2 shown]
	s_delay_alu instid0(VALU_DEP_4) | instskip(NEXT) | instid1(VALU_DEP_4)
	v_cvt_pk_f16_f32 v1, v24, v25
	v_cvt_pk_f16_f32 v3, v18, v19
	s_delay_alu instid0(VALU_DEP_4) | instskip(NEXT) | instid1(VALU_DEP_4)
	v_cvt_pk_f16_f32 v8, v20, v21
	v_cvt_pk_f16_f32 v18, v22, v23
	s_delay_alu instid0(VALU_DEP_4) | instskip(NEXT) | instid1(VALU_DEP_4)
	v_and_b32_e32 v17, 0xffff0000, v1
	v_dual_lshlrev_b32 v16, 16, v1 :: v_dual_lshrrev_b32 v19, 16, v3
	v_and_b32_e32 v20, 0xffff, v3
	v_and_b32_e32 v1, 0xffff0000, v8
	v_dual_lshlrev_b32 v8, 16, v8 :: v_dual_lshrrev_b32 v3, 16, v18
	v_and_b32_e32 v18, 0xffff, v18
	v_or_b32_e32 v23, v17, v19
	v_or_b32_e32 v24, v16, v20
	s_delay_alu instid0(VALU_DEP_4) | instskip(NEXT) | instid1(VALU_DEP_4)
	v_or_b32_e32 v21, v1, v3
	v_or_b32_e32 v22, v8, v18
	s_and_saveexec_b32 s23, s0
	s_cbranch_execz .LBB236_343
; %bb.342:                              ;   in Loop: Header=BB236_210 Depth=1
	v_dual_add_nc_u32 v21, 2, v2 :: v_dual_bitop2_b32 v22, 1, v2 bitop3:0x54
	v_cmp_gt_i32_e64 s1, s18, v2
	v_or_b32_e32 v23, 3, v2
	s_delay_alu instid0(VALU_DEP_2) | instskip(NEXT) | instid1(VALU_DEP_4)
	v_dual_cndmask_b32 v19, 0, v19, s1 :: v_dual_bitop2_b32 v24, 7, v2 bitop3:0x54
	v_cmp_gt_i32_e64 s1, s34, v21
	s_delay_alu instid0(VALU_DEP_1) | instskip(SKIP_1) | instid1(VALU_DEP_1)
	v_cndmask_b32_e64 v20, 0, v20, s1
	v_cmp_gt_i32_e64 s1, s18, v22
	v_cndmask_b32_e64 v17, 0, v17, s1
	v_cmp_gt_i32_e64 s1, s34, v23
	v_or_b32_e32 v21, 4, v2
	s_delay_alu instid0(VALU_DEP_2) | instskip(NEXT) | instid1(VALU_DEP_2)
	v_dual_cndmask_b32 v16, 0, v16, s1 :: v_dual_bitop2_b32 v23, 5, v2 bitop3:0x54
	v_cmp_gt_i32_e64 s1, s18, v21
	s_delay_alu instid0(VALU_DEP_1) | instskip(NEXT) | instid1(VALU_DEP_1)
	v_dual_cndmask_b32 v3, 0, v3, s1 :: v_dual_bitop2_b32 v22, 6, v2 bitop3:0x54
	v_cmp_gt_i32_e64 s1, s34, v22
	s_delay_alu instid0(VALU_DEP_1) | instskip(SKIP_1) | instid1(VALU_DEP_1)
	v_cndmask_b32_e64 v18, 0, v18, s1
	v_cmp_gt_i32_e64 s1, s18, v23
	v_dual_cndmask_b32 v1, 0, v1, s1 :: v_dual_bitop2_b32 v23, v17, v19 bitop3:0x54
	v_cmp_gt_i32_e64 s1, s34, v24
	v_or_b32_e32 v24, v16, v20
	s_delay_alu instid0(VALU_DEP_2) | instskip(NEXT) | instid1(VALU_DEP_1)
	v_dual_cndmask_b32 v8, 0, v8, s1 :: v_dual_bitop2_b32 v21, v1, v3 bitop3:0x54
	v_or_b32_e32 v22, v8, v18
.LBB236_343:                            ;   in Loop: Header=BB236_210 Depth=1
	s_or_b32 exec_lo, exec_lo, s23
	;;#ASMSTART
	v_pk_mul_f16 v1, v39, v23;

	;;#ASMEND
	;;#ASMSTART
	v_pk_mul_f16 v3, v38, v24;

	;;#ASMEND
	;; [unrolled: 4-line block ×4, first 2 shown]
	;;#ASMSTART
	v_pk_add_f16 v1, v1, v3;

	;;#ASMEND
	;;#ASMSTART
	v_pk_add_f16 v1, v1, v8;

	;;#ASMEND
	;; [unrolled: 4-line block ×3, first 2 shown]
	v_and_b32_e32 v3, 0xffff, v1
	v_lshrrev_b32_e32 v1, 16, v1
	;;#ASMSTART
	v_cvt_f32_f16 v25, v3;
	;;#ASMEND
	;;#ASMSTART
	v_cvt_f32_f16 v26, v1;
	;;#ASMEND
	s_and_saveexec_b32 s23, vcc_lo
	s_cbranch_execz .LBB236_208
; %bb.344:                              ;   in Loop: Header=BB236_210 Depth=1
	v_add_nc_u64_e32 v[14:15], v[14:15], v[10:11]
	v_dual_mov_b32 v1, 0 :: v_dual_mov_b32 v3, 0
	s_mov_b32 s24, exec_lo
	global_load_b64 v[16:17], v[14:15], off
	global_load_b32 v14, v1, s[10:11]
	s_wait_loadcnt 0x1
	v_and_b32_e32 v8, 0xff, v16
	s_wait_xcnt 0x0
	s_delay_alu instid0(VALU_DEP_1)
	v_cmpx_ne_u16_e32 0, v8
	s_cbranch_execz .LBB236_352
; %bb.345:                              ;   in Loop: Header=BB236_210 Depth=1
	v_mov_b32_e32 v3, 0x8000
	s_mov_b32 s25, exec_lo
	v_cmpx_ne_u16_e32 0x80, v8
	s_cbranch_execz .LBB236_351
; %bb.346:                              ;   in Loop: Header=BB236_210 Depth=1
	v_and_b32_e32 v15, 0x7f, v16
	v_mov_b32_e32 v3, 0x7c01
	s_mov_b32 s26, exec_lo
	s_delay_alu instid0(VALU_DEP_2)
	v_cmpx_ne_u32_e32 0x7f, v15
	s_cbranch_execz .LBB236_350
; %bb.347:                              ;   in Loop: Header=BB236_210 Depth=1
	v_dual_lshrrev_b32 v8, 3, v15 :: v_dual_bitop2_b32 v3, 7, v16 bitop3:0x40
	s_mov_b32 s27, exec_lo
	v_cmpx_gt_u32_e32 8, v15
; %bb.348:                              ;   in Loop: Header=BB236_210 Depth=1
	s_delay_alu instid0(VALU_DEP_2) | instskip(NEXT) | instid1(VALU_DEP_1)
	v_clz_i32_u32_e32 v3, v3
	v_min_u32_e32 v3, 32, v3
	s_delay_alu instid0(VALU_DEP_1) | instskip(NEXT) | instid1(VALU_DEP_1)
	v_subrev_nc_u32_e32 v8, 28, v3
	v_lshlrev_b64_e32 v[18:19], v8, v[16:17]
	s_delay_alu instid0(VALU_DEP_1)
	v_dual_sub_nc_u32 v8, 29, v3 :: v_dual_bitop2_b32 v3, 7, v18 bitop3:0x40
; %bb.349:                              ;   in Loop: Header=BB236_210 Depth=1
	s_or_b32 exec_lo, exec_lo, s27
	s_delay_alu instid0(VALU_DEP_1) | instskip(NEXT) | instid1(VALU_DEP_2)
	v_dual_lshlrev_b32 v15, 8, v16 :: v_dual_lshlrev_b32 v3, 7, v3
	v_lshl_add_u32 v8, v8, 10, 0x2000
	s_delay_alu instid0(VALU_DEP_2) | instskip(NEXT) | instid1(VALU_DEP_2)
	v_and_b32_e32 v15, 0x8000, v15
	v_and_b32_e32 v8, 0xfc00, v8
	s_delay_alu instid0(VALU_DEP_1)
	v_or3_b32 v3, v15, v8, v3
.LBB236_350:                            ;   in Loop: Header=BB236_210 Depth=1
	s_or_b32 exec_lo, exec_lo, s26
.LBB236_351:                            ;   in Loop: Header=BB236_210 Depth=1
	s_delay_alu instid0(SALU_CYCLE_1)
	s_or_b32 exec_lo, exec_lo, s25
.LBB236_352:                            ;   in Loop: Header=BB236_210 Depth=1
	s_delay_alu instid0(SALU_CYCLE_1) | instskip(SKIP_2) | instid1(VALU_DEP_1)
	s_or_b32 exec_lo, exec_lo, s24
	v_lshrrev_b16 v8, 8, v16
	s_mov_b32 s24, exec_lo
	v_cmpx_ne_u16_e32 0, v8
	s_cbranch_execz .LBB236_360
; %bb.353:                              ;   in Loop: Header=BB236_210 Depth=1
	v_bfrev_b32_e32 v1, 1
	s_mov_b32 s25, exec_lo
	v_cmpx_ne_u16_e32 0x80, v8
	s_cbranch_execz .LBB236_359
; %bb.354:                              ;   in Loop: Header=BB236_210 Depth=1
	v_and_b32_e32 v15, 0xffff, v8
	v_mov_b32_e32 v1, 0x7c010000
	s_mov_b32 s26, exec_lo
	s_delay_alu instid0(VALU_DEP_2) | instskip(NEXT) | instid1(VALU_DEP_1)
	v_and_b32_e32 v19, 0x7f, v15
	v_cmpx_ne_u32_e32 0x7f, v19
	s_cbranch_execz .LBB236_358
; %bb.355:                              ;   in Loop: Header=BB236_210 Depth=1
	v_and_b32_e32 v1, 7, v15
	v_lshrrev_b32_e32 v18, 3, v19
	s_mov_b32 s27, exec_lo
	v_cmpx_gt_u32_e32 8, v19
; %bb.356:                              ;   in Loop: Header=BB236_210 Depth=1
	s_delay_alu instid0(VALU_DEP_3) | instskip(NEXT) | instid1(VALU_DEP_1)
	v_clz_i32_u32_e32 v1, v1
	v_min_u32_e32 v1, 32, v1
	s_delay_alu instid0(VALU_DEP_1) | instskip(NEXT) | instid1(VALU_DEP_1)
	v_subrev_nc_u32_e32 v18, 28, v1
	v_lshlrev_b64_e32 v[20:21], v18, v[8:9]
	s_delay_alu instid0(VALU_DEP_1)
	v_dual_sub_nc_u32 v18, 29, v1 :: v_dual_bitop2_b32 v1, 7, v20 bitop3:0x40
; %bb.357:                              ;   in Loop: Header=BB236_210 Depth=1
	s_or_b32 exec_lo, exec_lo, s27
	s_delay_alu instid0(VALU_DEP_1) | instskip(NEXT) | instid1(VALU_DEP_2)
	v_dual_lshlrev_b32 v8, 8, v15 :: v_dual_lshlrev_b32 v1, 23, v1
	v_lshl_add_u32 v15, v18, 10, 0x2000
	s_delay_alu instid0(VALU_DEP_1) | instskip(NEXT) | instid1(VALU_DEP_1)
	v_and_or_b32 v8, 0x8000, v8, v15
	v_lshl_or_b32 v1, v8, 16, v1
.LBB236_358:                            ;   in Loop: Header=BB236_210 Depth=1
	s_or_b32 exec_lo, exec_lo, s26
.LBB236_359:                            ;   in Loop: Header=BB236_210 Depth=1
	s_delay_alu instid0(SALU_CYCLE_1)
	s_or_b32 exec_lo, exec_lo, s25
.LBB236_360:                            ;   in Loop: Header=BB236_210 Depth=1
	s_delay_alu instid0(SALU_CYCLE_1) | instskip(SKIP_3) | instid1(VALU_DEP_2)
	s_or_b32 exec_lo, exec_lo, s24
	v_dual_mov_b32 v15, 0 :: v_dual_lshrrev_b32 v8, 16, v16
	v_mov_b32_e32 v18, 0
	s_mov_b32 s24, exec_lo
	v_and_b32_e32 v19, 0xff, v8
	s_delay_alu instid0(VALU_DEP_1)
	v_cmpx_ne_u16_e32 0, v19
	s_cbranch_execz .LBB236_368
; %bb.361:                              ;   in Loop: Header=BB236_210 Depth=1
	v_mov_b32_e32 v18, 0x8000
	s_mov_b32 s25, exec_lo
	v_cmpx_ne_u16_e32 0x80, v19
	s_cbranch_execz .LBB236_367
; %bb.362:                              ;   in Loop: Header=BB236_210 Depth=1
	v_bfe_u32 v20, v16, 16, 7
	v_mov_b32_e32 v18, 0x7c01
	s_mov_b32 s26, exec_lo
	s_delay_alu instid0(VALU_DEP_2)
	v_cmpx_ne_u32_e32 0x7f, v20
	s_cbranch_execz .LBB236_366
; %bb.363:                              ;   in Loop: Header=BB236_210 Depth=1
	v_and_b32_e32 v18, 7, v8
	v_lshrrev_b32_e32 v19, 3, v20
	s_mov_b32 s27, exec_lo
	v_cmpx_gt_u32_e32 8, v20
; %bb.364:                              ;   in Loop: Header=BB236_210 Depth=1
	s_delay_alu instid0(VALU_DEP_3) | instskip(NEXT) | instid1(VALU_DEP_1)
	v_clz_i32_u32_e32 v18, v18
	v_min_u32_e32 v20, 32, v18
	s_delay_alu instid0(VALU_DEP_1) | instskip(NEXT) | instid1(VALU_DEP_1)
	v_subrev_nc_u32_e32 v18, 28, v20
	v_lshlrev_b64_e32 v[18:19], v18, v[8:9]
	s_delay_alu instid0(VALU_DEP_1)
	v_dual_sub_nc_u32 v19, 29, v20 :: v_dual_bitop2_b32 v18, 7, v18 bitop3:0x40
; %bb.365:                              ;   in Loop: Header=BB236_210 Depth=1
	s_or_b32 exec_lo, exec_lo, s27
	s_delay_alu instid0(VALU_DEP_1) | instskip(NEXT) | instid1(VALU_DEP_2)
	v_dual_lshlrev_b32 v8, 8, v8 :: v_dual_lshlrev_b32 v18, 7, v18
	v_lshl_add_u32 v19, v19, 10, 0x2000
	s_delay_alu instid0(VALU_DEP_2) | instskip(NEXT) | instid1(VALU_DEP_2)
	v_and_b32_e32 v8, 0x8000, v8
	v_and_b32_e32 v19, 0xfc00, v19
	s_delay_alu instid0(VALU_DEP_1)
	v_or3_b32 v18, v8, v19, v18
.LBB236_366:                            ;   in Loop: Header=BB236_210 Depth=1
	s_or_b32 exec_lo, exec_lo, s26
.LBB236_367:                            ;   in Loop: Header=BB236_210 Depth=1
	s_delay_alu instid0(SALU_CYCLE_1)
	s_or_b32 exec_lo, exec_lo, s25
.LBB236_368:                            ;   in Loop: Header=BB236_210 Depth=1
	s_delay_alu instid0(SALU_CYCLE_1) | instskip(NEXT) | instid1(SALU_CYCLE_1)
	s_or_b32 exec_lo, exec_lo, s24
	s_mov_b32 s24, exec_lo
	v_cmpx_lt_u32_e32 0xffffff, v16
	s_cbranch_execz .LBB236_376
; %bb.369:                              ;   in Loop: Header=BB236_210 Depth=1
	v_lshrrev_b32_e32 v8, 24, v16
	v_bfrev_b32_e32 v15, 1
	s_mov_b32 s25, exec_lo
	s_delay_alu instid0(VALU_DEP_2)
	v_cmpx_ne_u32_e32 0x80, v8
	s_cbranch_execz .LBB236_375
; %bb.370:                              ;   in Loop: Header=BB236_210 Depth=1
	v_and_b32_e32 v20, 0x7f, v8
	v_mov_b32_e32 v15, 0x7c010000
	s_mov_b32 s26, exec_lo
	s_delay_alu instid0(VALU_DEP_2)
	v_cmpx_ne_u32_e32 0x7f, v20
	s_cbranch_execz .LBB236_374
; %bb.371:                              ;   in Loop: Header=BB236_210 Depth=1
	v_and_b32_e32 v15, 7, v8
	v_lshrrev_b32_e32 v19, 3, v20
	s_mov_b32 s27, exec_lo
	v_cmpx_gt_u32_e32 8, v20
; %bb.372:                              ;   in Loop: Header=BB236_210 Depth=1
	s_delay_alu instid0(VALU_DEP_3) | instskip(NEXT) | instid1(VALU_DEP_1)
	v_clz_i32_u32_e32 v15, v15
	v_min_u32_e32 v15, 32, v15
	s_delay_alu instid0(VALU_DEP_1) | instskip(NEXT) | instid1(VALU_DEP_1)
	v_subrev_nc_u32_e32 v19, 28, v15
	v_lshlrev_b64_e32 v[20:21], v19, v[8:9]
	s_delay_alu instid0(VALU_DEP_1)
	v_dual_sub_nc_u32 v19, 29, v15 :: v_dual_bitop2_b32 v15, 7, v20 bitop3:0x40
; %bb.373:                              ;   in Loop: Header=BB236_210 Depth=1
	s_or_b32 exec_lo, exec_lo, s27
	s_delay_alu instid0(VALU_DEP_1) | instskip(NEXT) | instid1(VALU_DEP_2)
	v_dual_lshlrev_b32 v8, 8, v8 :: v_dual_lshlrev_b32 v15, 23, v15
	v_lshl_add_u32 v19, v19, 10, 0x2000
	s_delay_alu instid0(VALU_DEP_1) | instskip(NEXT) | instid1(VALU_DEP_1)
	v_and_or_b32 v8, 0x8000, v8, v19
	v_lshl_or_b32 v15, v8, 16, v15
.LBB236_374:                            ;   in Loop: Header=BB236_210 Depth=1
	s_or_b32 exec_lo, exec_lo, s26
.LBB236_375:                            ;   in Loop: Header=BB236_210 Depth=1
	s_delay_alu instid0(SALU_CYCLE_1)
	s_or_b32 exec_lo, exec_lo, s25
.LBB236_376:                            ;   in Loop: Header=BB236_210 Depth=1
	s_delay_alu instid0(SALU_CYCLE_1) | instskip(SKIP_4) | instid1(VALU_DEP_3)
	s_or_b32 exec_lo, exec_lo, s24
	v_and_b32_e32 v21, 0xff, v17
	v_dual_mov_b32 v8, v17 :: v_dual_mov_b32 v20, 0
	v_mov_b32_e32 v19, 0
	s_mov_b32 s24, exec_lo
	v_cmpx_ne_u16_e32 0, v21
	s_cbranch_execz .LBB236_384
; %bb.377:                              ;   in Loop: Header=BB236_210 Depth=1
	v_mov_b32_e32 v19, 0x8000
	s_mov_b32 s25, exec_lo
	v_cmpx_ne_u16_e32 0x80, v21
	s_cbranch_execz .LBB236_383
; %bb.378:                              ;   in Loop: Header=BB236_210 Depth=1
	v_and_b32_e32 v22, 0x7f, v17
	v_mov_b32_e32 v19, 0x7c01
	s_mov_b32 s26, exec_lo
	s_delay_alu instid0(VALU_DEP_2)
	v_cmpx_ne_u32_e32 0x7f, v22
	s_cbranch_execz .LBB236_382
; %bb.379:                              ;   in Loop: Header=BB236_210 Depth=1
	v_dual_lshrrev_b32 v21, 3, v22 :: v_dual_bitop2_b32 v19, 7, v17 bitop3:0x40
	s_mov_b32 s27, exec_lo
	v_cmpx_gt_u32_e32 8, v22
; %bb.380:                              ;   in Loop: Header=BB236_210 Depth=1
	s_delay_alu instid0(VALU_DEP_2) | instskip(NEXT) | instid1(VALU_DEP_1)
	v_clz_i32_u32_e32 v19, v19
	v_min_u32_e32 v19, 32, v19
	s_delay_alu instid0(VALU_DEP_1) | instskip(NEXT) | instid1(VALU_DEP_1)
	v_subrev_nc_u32_e32 v21, 28, v19
	v_lshlrev_b64_e32 v[22:23], v21, v[8:9]
	s_delay_alu instid0(VALU_DEP_1)
	v_dual_sub_nc_u32 v21, 29, v19 :: v_dual_bitop2_b32 v19, 7, v22 bitop3:0x40
; %bb.381:                              ;   in Loop: Header=BB236_210 Depth=1
	s_or_b32 exec_lo, exec_lo, s27
	s_delay_alu instid0(VALU_DEP_1) | instskip(NEXT) | instid1(VALU_DEP_2)
	v_dual_lshlrev_b32 v22, 8, v17 :: v_dual_lshlrev_b32 v19, 7, v19
	v_lshl_add_u32 v21, v21, 10, 0x2000
	s_delay_alu instid0(VALU_DEP_2) | instskip(NEXT) | instid1(VALU_DEP_2)
	v_and_b32_e32 v22, 0x8000, v22
	v_and_b32_e32 v21, 0xfc00, v21
	s_delay_alu instid0(VALU_DEP_1)
	v_or3_b32 v19, v22, v21, v19
.LBB236_382:                            ;   in Loop: Header=BB236_210 Depth=1
	s_or_b32 exec_lo, exec_lo, s26
.LBB236_383:                            ;   in Loop: Header=BB236_210 Depth=1
	s_delay_alu instid0(SALU_CYCLE_1)
	s_or_b32 exec_lo, exec_lo, s25
.LBB236_384:                            ;   in Loop: Header=BB236_210 Depth=1
	s_delay_alu instid0(SALU_CYCLE_1) | instskip(SKIP_3) | instid1(VALU_DEP_2)
	s_or_b32 exec_lo, exec_lo, s24
	v_lshrrev_b16 v8, 8, v8
	v_mov_b32_e32 v21, 0
	s_mov_b32 s24, exec_lo
	v_cmpx_ne_u16_e32 0, v8
	s_cbranch_execz .LBB236_392
; %bb.385:                              ;   in Loop: Header=BB236_210 Depth=1
	v_bfrev_b32_e32 v21, 1
	s_mov_b32 s25, exec_lo
	v_cmpx_ne_u16_e32 0x80, v8
	s_cbranch_execz .LBB236_391
; %bb.386:                              ;   in Loop: Header=BB236_210 Depth=1
	v_and_b32_e32 v22, 0xffff, v8
	v_mov_b32_e32 v21, 0x7c010000
	s_mov_b32 s26, exec_lo
	s_delay_alu instid0(VALU_DEP_2) | instskip(NEXT) | instid1(VALU_DEP_1)
	v_and_b32_e32 v24, 0x7f, v22
	v_cmpx_ne_u32_e32 0x7f, v24
	s_cbranch_execz .LBB236_390
; %bb.387:                              ;   in Loop: Header=BB236_210 Depth=1
	v_dual_lshrrev_b32 v23, 3, v24 :: v_dual_bitop2_b32 v21, 7, v22 bitop3:0x40
	s_mov_b32 s27, exec_lo
	v_cmpx_gt_u32_e32 8, v24
; %bb.388:                              ;   in Loop: Header=BB236_210 Depth=1
	s_delay_alu instid0(VALU_DEP_2) | instskip(NEXT) | instid1(VALU_DEP_1)
	v_clz_i32_u32_e32 v21, v21
	v_min_u32_e32 v21, 32, v21
	s_delay_alu instid0(VALU_DEP_1) | instskip(NEXT) | instid1(VALU_DEP_1)
	v_subrev_nc_u32_e32 v23, 28, v21
	v_lshlrev_b64_e32 v[40:41], v23, v[8:9]
	s_delay_alu instid0(VALU_DEP_1)
	v_dual_sub_nc_u32 v23, 29, v21 :: v_dual_bitop2_b32 v21, 7, v40 bitop3:0x40
; %bb.389:                              ;   in Loop: Header=BB236_210 Depth=1
	s_or_b32 exec_lo, exec_lo, s27
	s_delay_alu instid0(VALU_DEP_1) | instskip(NEXT) | instid1(VALU_DEP_2)
	v_dual_lshlrev_b32 v8, 8, v22 :: v_dual_lshlrev_b32 v21, 23, v21
	v_lshl_add_u32 v22, v23, 10, 0x2000
	s_delay_alu instid0(VALU_DEP_1) | instskip(NEXT) | instid1(VALU_DEP_1)
	v_and_or_b32 v8, 0x8000, v8, v22
	v_lshl_or_b32 v21, v8, 16, v21
.LBB236_390:                            ;   in Loop: Header=BB236_210 Depth=1
	s_or_b32 exec_lo, exec_lo, s26
.LBB236_391:                            ;   in Loop: Header=BB236_210 Depth=1
	s_delay_alu instid0(SALU_CYCLE_1)
	s_or_b32 exec_lo, exec_lo, s25
.LBB236_392:                            ;   in Loop: Header=BB236_210 Depth=1
	s_delay_alu instid0(SALU_CYCLE_1) | instskip(SKIP_2) | instid1(VALU_DEP_1)
	s_or_b32 exec_lo, exec_lo, s24
	v_lshrrev_b32_e32 v8, 16, v17
	s_mov_b32 s24, exec_lo
	v_and_b32_e32 v22, 0xff, v8
	s_delay_alu instid0(VALU_DEP_1)
	v_cmpx_ne_u16_e32 0, v22
	s_cbranch_execz .LBB236_400
; %bb.393:                              ;   in Loop: Header=BB236_210 Depth=1
	v_mov_b32_e32 v20, 0x8000
	s_mov_b32 s25, exec_lo
	v_cmpx_ne_u16_e32 0x80, v22
	s_cbranch_execz .LBB236_399
; %bb.394:                              ;   in Loop: Header=BB236_210 Depth=1
	v_bfe_u32 v23, v17, 16, 7
	v_mov_b32_e32 v20, 0x7c01
	s_mov_b32 s26, exec_lo
	s_delay_alu instid0(VALU_DEP_2)
	v_cmpx_ne_u32_e32 0x7f, v23
	s_cbranch_execz .LBB236_398
; %bb.395:                              ;   in Loop: Header=BB236_210 Depth=1
	v_dual_lshrrev_b32 v22, 3, v23 :: v_dual_bitop2_b32 v20, 7, v8 bitop3:0x40
	s_mov_b32 s27, exec_lo
	v_cmpx_gt_u32_e32 8, v23
; %bb.396:                              ;   in Loop: Header=BB236_210 Depth=1
	s_delay_alu instid0(VALU_DEP_2) | instskip(NEXT) | instid1(VALU_DEP_1)
	v_clz_i32_u32_e32 v20, v20
	v_min_u32_e32 v20, 32, v20
	s_delay_alu instid0(VALU_DEP_1) | instskip(NEXT) | instid1(VALU_DEP_1)
	v_subrev_nc_u32_e32 v22, 28, v20
	v_lshlrev_b64_e32 v[40:41], v22, v[8:9]
	v_sub_nc_u32_e32 v22, 29, v20
	s_delay_alu instid0(VALU_DEP_2)
	v_and_b32_e32 v20, 7, v40
; %bb.397:                              ;   in Loop: Header=BB236_210 Depth=1
	s_or_b32 exec_lo, exec_lo, s27
	v_lshlrev_b32_e32 v8, 8, v8
	s_delay_alu instid0(VALU_DEP_3) | instskip(NEXT) | instid1(VALU_DEP_3)
	v_lshl_add_u32 v22, v22, 10, 0x2000
	v_lshlrev_b32_e32 v20, 7, v20
	s_delay_alu instid0(VALU_DEP_3) | instskip(NEXT) | instid1(VALU_DEP_3)
	v_and_b32_e32 v8, 0x8000, v8
	v_and_b32_e32 v22, 0xfc00, v22
	s_delay_alu instid0(VALU_DEP_1)
	v_or3_b32 v20, v8, v22, v20
.LBB236_398:                            ;   in Loop: Header=BB236_210 Depth=1
	s_or_b32 exec_lo, exec_lo, s26
.LBB236_399:                            ;   in Loop: Header=BB236_210 Depth=1
	s_delay_alu instid0(SALU_CYCLE_1)
	s_or_b32 exec_lo, exec_lo, s25
.LBB236_400:                            ;   in Loop: Header=BB236_210 Depth=1
	s_delay_alu instid0(SALU_CYCLE_1)
	s_or_b32 exec_lo, exec_lo, s24
	v_cmp_lt_u64_e64 s1, s[8:9], v[16:17]
	v_mov_b32_e32 v16, 0
	s_and_saveexec_b32 s24, s1
	s_cbranch_execz .LBB236_408
; %bb.401:                              ;   in Loop: Header=BB236_210 Depth=1
	v_lshrrev_b32_e32 v8, 24, v17
	v_bfrev_b32_e32 v16, 1
	s_mov_b32 s25, exec_lo
	s_delay_alu instid0(VALU_DEP_2)
	v_cmpx_ne_u32_e32 0x80, v8
	s_cbranch_execz .LBB236_407
; %bb.402:                              ;   in Loop: Header=BB236_210 Depth=1
	v_and_b32_e32 v22, 0x7f, v8
	v_mov_b32_e32 v16, 0x7c010000
	s_mov_b32 s26, exec_lo
	s_delay_alu instid0(VALU_DEP_2)
	v_cmpx_ne_u32_e32 0x7f, v22
	s_cbranch_execz .LBB236_406
; %bb.403:                              ;   in Loop: Header=BB236_210 Depth=1
	v_dual_lshrrev_b32 v17, 3, v22 :: v_dual_bitop2_b32 v16, 7, v8 bitop3:0x40
	s_mov_b32 s27, exec_lo
	v_cmpx_gt_u32_e32 8, v22
; %bb.404:                              ;   in Loop: Header=BB236_210 Depth=1
	s_delay_alu instid0(VALU_DEP_2) | instskip(NEXT) | instid1(VALU_DEP_1)
	v_clz_i32_u32_e32 v16, v16
	v_min_u32_e32 v22, 32, v16
	s_delay_alu instid0(VALU_DEP_1) | instskip(NEXT) | instid1(VALU_DEP_1)
	v_subrev_nc_u32_e32 v16, 28, v22
	v_lshlrev_b64_e32 v[16:17], v16, v[8:9]
	s_delay_alu instid0(VALU_DEP_1)
	v_dual_sub_nc_u32 v17, 29, v22 :: v_dual_bitop2_b32 v16, 7, v16 bitop3:0x40
; %bb.405:                              ;   in Loop: Header=BB236_210 Depth=1
	s_or_b32 exec_lo, exec_lo, s27
	v_lshlrev_b32_e32 v8, 8, v8
	s_delay_alu instid0(VALU_DEP_2) | instskip(NEXT) | instid1(VALU_DEP_3)
	v_lshl_add_u32 v17, v17, 10, 0x2000
	v_lshlrev_b32_e32 v16, 23, v16
	s_delay_alu instid0(VALU_DEP_2) | instskip(NEXT) | instid1(VALU_DEP_1)
	v_and_or_b32 v8, 0x8000, v8, v17
	v_lshl_or_b32 v16, v8, 16, v16
.LBB236_406:                            ;   in Loop: Header=BB236_210 Depth=1
	s_or_b32 exec_lo, exec_lo, s26
.LBB236_407:                            ;   in Loop: Header=BB236_210 Depth=1
	s_delay_alu instid0(SALU_CYCLE_1)
	s_or_b32 exec_lo, exec_lo, s25
.LBB236_408:                            ;   in Loop: Header=BB236_210 Depth=1
	s_delay_alu instid0(SALU_CYCLE_1) | instskip(SKIP_3) | instid1(VALU_DEP_3)
	s_or_b32 exec_lo, exec_lo, s24
	v_dual_lshrrev_b32 v8, 16, v1 :: v_dual_lshrrev_b32 v17, 16, v15
	v_or_b32_e32 v1, v1, v3
	v_dual_lshrrev_b32 v18, 16, v16 :: v_dual_bitop2_b32 v3, v15, v18 bitop3:0x54
	v_cvt_f32_f16_e32 v23, v8
	s_delay_alu instid0(VALU_DEP_4) | instskip(SKIP_4) | instid1(VALU_DEP_3)
	v_cvt_f32_f16_e32 v22, v17
	v_lshrrev_b32_e32 v15, 16, v21
	v_cvt_f32_f16_e32 v17, v1
	v_cvt_f32_f16_e32 v18, v18
	s_wait_loadcnt 0x0
	v_pk_mul_f32 v[22:23], v[14:15], v[22:23] op_sel_hi:[0,1]
	s_delay_alu instid0(VALU_DEP_1) | instskip(SKIP_4) | instid1(VALU_DEP_4)
	v_cvt_pk_f16_f32 v1, v22, v23
	v_or_b32_e32 v8, v16, v20
	v_cvt_f32_f16_e32 v16, v3
	v_or_b32_e32 v3, v21, v19
	v_cvt_f32_f16_e32 v19, v15
	v_cvt_f32_f16_e32 v20, v8
	s_delay_alu instid0(VALU_DEP_4) | instskip(NEXT) | instid1(VALU_DEP_4)
	v_pk_mul_f32 v[16:17], v[14:15], v[16:17] op_sel_hi:[0,1]
	v_cvt_f32_f16_e32 v21, v3
	s_delay_alu instid0(VALU_DEP_4) | instskip(NEXT) | instid1(VALU_DEP_3)
	v_pk_mul_f32 v[18:19], v[14:15], v[18:19] op_sel_hi:[0,1]
	v_cvt_pk_f16_f32 v3, v16, v17
	s_delay_alu instid0(VALU_DEP_3) | instskip(NEXT) | instid1(VALU_DEP_3)
	v_pk_mul_f32 v[20:21], v[14:15], v[20:21] op_sel_hi:[0,1]
	v_cvt_pk_f16_f32 v8, v18, v19
	v_and_b32_e32 v15, 0xffff0000, v1
	v_lshlrev_b32_e32 v14, 16, v1
	v_and_b32_e32 v18, 0xffff, v3
	v_cvt_pk_f16_f32 v16, v20, v21
	v_lshrrev_b32_e32 v17, 16, v3
	v_and_b32_e32 v1, 0xffff0000, v8
	s_delay_alu instid0(VALU_DEP_4) | instskip(NEXT) | instid1(VALU_DEP_4)
	v_dual_lshlrev_b32 v8, 16, v8 :: v_dual_bitop2_b32 v22, v14, v18 bitop3:0x54
	v_lshrrev_b32_e32 v3, 16, v16
	v_and_b32_e32 v16, 0xffff, v16
	v_or_b32_e32 v21, v15, v17
	s_delay_alu instid0(VALU_DEP_3) | instskip(NEXT) | instid1(VALU_DEP_3)
	v_or_b32_e32 v19, v1, v3
	v_or_b32_e32 v20, v8, v16
	s_and_saveexec_b32 s1, s0
	s_cbranch_execz .LBB236_207
; %bb.409:                              ;   in Loop: Header=BB236_210 Depth=1
	v_dual_add_nc_u32 v19, 2, v2 :: v_dual_bitop2_b32 v20, 1, v2 bitop3:0x54
	v_cmp_gt_i32_e64 s0, s18, v2
	v_or_b32_e32 v21, 3, v2
	s_delay_alu instid0(VALU_DEP_2) | instskip(NEXT) | instid1(VALU_DEP_4)
	v_dual_cndmask_b32 v17, 0, v17, s0 :: v_dual_bitop2_b32 v22, 7, v2 bitop3:0x54
	v_cmp_gt_i32_e64 s0, s34, v19
	v_or_b32_e32 v19, 4, v2
	s_delay_alu instid0(VALU_DEP_2) | instskip(SKIP_1) | instid1(VALU_DEP_1)
	v_cndmask_b32_e64 v18, 0, v18, s0
	v_cmp_gt_i32_e64 s0, s18, v20
	v_dual_cndmask_b32 v15, 0, v15, s0 :: v_dual_bitop2_b32 v20, 6, v2 bitop3:0x54
	v_cmp_gt_i32_e64 s0, s34, v21
	v_or_b32_e32 v21, 5, v2
	s_delay_alu instid0(VALU_DEP_2) | instskip(SKIP_1) | instid1(VALU_DEP_1)
	v_cndmask_b32_e64 v14, 0, v14, s0
	v_cmp_gt_i32_e64 s0, s18, v19
	v_cndmask_b32_e64 v3, 0, v3, s0
	v_cmp_gt_i32_e64 s0, s34, v20
	s_delay_alu instid0(VALU_DEP_1) | instskip(SKIP_2) | instid1(VALU_DEP_2)
	v_cndmask_b32_e64 v16, 0, v16, s0
	v_cmp_gt_i32_e64 s0, s18, v21
	v_or_b32_e32 v21, v15, v17
	v_cndmask_b32_e64 v1, 0, v1, s0
	v_cmp_gt_i32_e64 s0, s34, v22
	v_or_b32_e32 v22, v14, v18
	s_delay_alu instid0(VALU_DEP_2) | instskip(NEXT) | instid1(VALU_DEP_1)
	v_dual_cndmask_b32 v8, 0, v8, s0 :: v_dual_bitop2_b32 v19, v1, v3 bitop3:0x54
	v_or_b32_e32 v20, v8, v16
	s_branch .LBB236_207
.LBB236_410:
	s_or_b32 exec_lo, exec_lo, s19
.LBB236_411:
	s_delay_alu instid0(SALU_CYCLE_1)
	s_or_b32 exec_lo, exec_lo, s28
	s_movk_i32 s0, 0x140
	v_and_b32_e32 v2, 0x3c0, v0
	v_mad_u32_u24 v1, v27, s0, 0xc0
	s_mov_b32 s0, exec_lo
	s_barrier_signal -1
	s_barrier_wait -1
	v_cmpx_eq_u32_e32 64, v2
	s_cbranch_execz .LBB236_414
; %bb.412:
	v_add_nc_u32_e32 v2, 0xfffffd80, v1
	v_cmp_gt_u32_e32 vcc_lo, 0x50, v30
	s_delay_alu instid0(VALU_DEP_2)
	v_lshl_add_u32 v3, v28, 2, v2
	ds_store_2addr_b32 v3, v4, v5 offset1:32
	s_and_b32 exec_lo, exec_lo, vcc_lo
; %bb.413:
	v_lshl_add_u32 v2, v30, 2, v2
	ds_store_b32 v2, v35
.LBB236_414:
	s_or_b32 exec_lo, exec_lo, s0
	v_lshl_add_u32 v7, v28, 2, v1
	s_mov_b32 s0, exec_lo
	s_wait_dscnt 0x0
	s_barrier_signal -1
	s_barrier_wait -1
	v_cmpx_gt_u32_e32 64, v0
	s_cbranch_execz .LBB236_418
; %bb.415:
	v_lshl_or_b32 v2, v0, 2, 0x80
	s_mov_b32 s1, exec_lo
	s_delay_alu instid0(VALU_DEP_1)
	v_add_nc_u32_e32 v3, v1, v2
	ds_load_b32 v2, v7
	ds_load_b32 v3, v3
	v_cmpx_gt_u32_e32 0x50, v30
	s_cbranch_execz .LBB236_417
; %bb.416:
	ds_load_b32 v6, v7 offset:256
	s_wait_dscnt 0x0
	v_add_f32_e32 v35, v35, v6
.LBB236_417:
	s_or_b32 exec_lo, exec_lo, s1
	s_wait_dscnt 0x0
	v_pk_add_f32 v[4:5], v[4:5], v[2:3]
.LBB236_418:
	s_or_b32 exec_lo, exec_lo, s0
	v_and_b32_e32 v2, 0x3e0, v0
	s_mov_b32 s0, exec_lo
	s_barrier_signal -1
	s_barrier_wait -1
	s_delay_alu instid0(VALU_DEP_1)
	v_cmpx_eq_u32_e32 32, v2
	s_cbranch_execz .LBB236_421
; %bb.419:
	v_lshl_add_u32 v2, v28, 2, 0xc0
	v_cmp_gt_u32_e32 vcc_lo, 0x50, v30
	ds_store_b32 v2, v4
	ds_store_b32 v29, v5
	s_and_b32 exec_lo, exec_lo, vcc_lo
; %bb.420:
	ds_store_b32 v2, v35 offset:256
.LBB236_421:
	s_or_b32 exec_lo, exec_lo, s0
	v_cmp_gt_u32_e32 vcc_lo, 32, v0
	v_or_b32_e32 v6, 64, v0
	s_wait_dscnt 0x0
	s_barrier_signal -1
	s_barrier_wait -1
	s_and_saveexec_b32 s1, vcc_lo
	s_cbranch_execz .LBB236_425
; %bb.422:
	v_lshl_add_u32 v1, v0, 2, v1
	s_mov_b32 s2, exec_lo
	ds_load_b32 v2, v7
	ds_load_b32 v3, v1 offset:128
	v_cmpx_gt_u32_e32 0x50, v6
	s_cbranch_execz .LBB236_424
; %bb.423:
	ds_load_b32 v1, v1 offset:256
	s_wait_dscnt 0x0
	v_add_f32_e32 v35, v35, v1
.LBB236_424:
	s_or_b32 exec_lo, exec_lo, s2
	s_wait_dscnt 0x0
	v_pk_add_f32 v[4:5], v[4:5], v[2:3]
.LBB236_425:
	s_or_b32 exec_lo, exec_lo, s1
	s_barrier_signal -1
	s_barrier_wait -1
	s_and_saveexec_b32 s0, vcc_lo
	s_cbranch_execz .LBB236_428
; %bb.426:
	s_mul_i32 s1, s33, s7
	s_mul_i32 s0, s7, s6
	;; [unrolled: 1-line block ×3, first 2 shown]
	s_bfe_u32 s7, ttmp6, 0x40014
	s_mul_i32 s2, s1, 0x50
	s_lshr_b32 s6, ttmp7, 16
	s_ashr_i32 s3, s2, 31
	s_add_co_i32 s7, s7, 1
	s_lshl_b64 s[2:3], s[2:3], 1
	s_ashr_i32 s1, s0, 31
	s_wait_kmcnt 0x0
	s_add_nc_u64 s[2:3], s[4:5], s[2:3]
	s_mul_i32 s4, s6, s7
	s_bfe_u32 s5, ttmp6, 0x40008
	s_lshl_b64 s[0:1], s[0:1], 1
	s_add_co_i32 s5, s5, s4
	s_cmp_eq_u32 s30, 0
	s_add_nc_u64 s[0:1], s[2:3], s[0:1]
	s_cselect_b32 s2, s6, s5
	v_cmp_gt_u32_e32 vcc_lo, 0x50, v6
	s_mov_b32 s3, 0
	s_mulk_i32 s2, 0xa0
	;;#ASMSTART
	v_cvt_f16_f32 v1, v4;

	;;#ASMEND
	s_add_nc_u64 s[0:1], s[0:1], s[2:3]
	global_store_b16 v0, v1, s[0:1] scale_offset
	s_wait_xcnt 0x0
	;;#ASMSTART
	v_cvt_f16_f32 v1, v5;

	;;#ASMEND
	global_store_b16 v0, v1, s[0:1] offset:64 scale_offset
	s_wait_xcnt 0x0
	s_and_b32 exec_lo, exec_lo, vcc_lo
	s_cbranch_execz .LBB236_428
; %bb.427:
	v_dual_mov_b32 v1, 0 :: v_dual_lshlrev_b32 v0, 1, v0
	;;#ASMSTART
	v_cvt_f16_f32 v2, v35;

	;;#ASMEND
	s_delay_alu instid0(VALU_DEP_1)
	v_add_nc_u64_e32 v[0:1], s[0:1], v[0:1]
	global_store_b16 v[0:1], v2, off offset:128
.LBB236_428:
	s_endpgm
	.section	.rodata,"a",@progbits
	.p2align	6, 0x0
	.amdhsa_kernel _ZN4vllm25paged_attention_v1_kernelIthLi80ELi8ELi128ELNS_18Fp8KVCacheDataTypeE1ELb1EEEvPT_PKS2_PKT0_S8_ifPKiSA_iPKfiiiSC_SC_iiiii
		.amdhsa_group_segment_fixed_size 192
		.amdhsa_private_segment_fixed_size 0
		.amdhsa_kernarg_size 384
		.amdhsa_user_sgpr_count 2
		.amdhsa_user_sgpr_dispatch_ptr 0
		.amdhsa_user_sgpr_queue_ptr 0
		.amdhsa_user_sgpr_kernarg_segment_ptr 1
		.amdhsa_user_sgpr_dispatch_id 0
		.amdhsa_user_sgpr_kernarg_preload_length 0
		.amdhsa_user_sgpr_kernarg_preload_offset 0
		.amdhsa_user_sgpr_private_segment_size 0
		.amdhsa_wavefront_size32 1
		.amdhsa_uses_dynamic_stack 0
		.amdhsa_enable_private_segment 0
		.amdhsa_system_sgpr_workgroup_id_x 1
		.amdhsa_system_sgpr_workgroup_id_y 1
		.amdhsa_system_sgpr_workgroup_id_z 1
		.amdhsa_system_sgpr_workgroup_info 0
		.amdhsa_system_vgpr_workitem_id 0
		.amdhsa_next_free_vgpr 58
		.amdhsa_next_free_sgpr 45
		.amdhsa_named_barrier_count 0
		.amdhsa_reserve_vcc 1
		.amdhsa_float_round_mode_32 0
		.amdhsa_float_round_mode_16_64 0
		.amdhsa_float_denorm_mode_32 3
		.amdhsa_float_denorm_mode_16_64 3
		.amdhsa_fp16_overflow 0
		.amdhsa_memory_ordered 1
		.amdhsa_forward_progress 1
		.amdhsa_inst_pref_size 134
		.amdhsa_round_robin_scheduling 0
		.amdhsa_exception_fp_ieee_invalid_op 0
		.amdhsa_exception_fp_denorm_src 0
		.amdhsa_exception_fp_ieee_div_zero 0
		.amdhsa_exception_fp_ieee_overflow 0
		.amdhsa_exception_fp_ieee_underflow 0
		.amdhsa_exception_fp_ieee_inexact 0
		.amdhsa_exception_int_div_zero 0
	.end_amdhsa_kernel
	.section	.text._ZN4vllm25paged_attention_v1_kernelIthLi80ELi8ELi128ELNS_18Fp8KVCacheDataTypeE1ELb1EEEvPT_PKS2_PKT0_S8_ifPKiSA_iPKfiiiSC_SC_iiiii,"axG",@progbits,_ZN4vllm25paged_attention_v1_kernelIthLi80ELi8ELi128ELNS_18Fp8KVCacheDataTypeE1ELb1EEEvPT_PKS2_PKT0_S8_ifPKiSA_iPKfiiiSC_SC_iiiii,comdat
.Lfunc_end236:
	.size	_ZN4vllm25paged_attention_v1_kernelIthLi80ELi8ELi128ELNS_18Fp8KVCacheDataTypeE1ELb1EEEvPT_PKS2_PKT0_S8_ifPKiSA_iPKfiiiSC_SC_iiiii, .Lfunc_end236-_ZN4vllm25paged_attention_v1_kernelIthLi80ELi8ELi128ELNS_18Fp8KVCacheDataTypeE1ELb1EEEvPT_PKS2_PKT0_S8_ifPKiSA_iPKfiiiSC_SC_iiiii
                                        ; -- End function
	.set _ZN4vllm25paged_attention_v1_kernelIthLi80ELi8ELi128ELNS_18Fp8KVCacheDataTypeE1ELb1EEEvPT_PKS2_PKT0_S8_ifPKiSA_iPKfiiiSC_SC_iiiii.num_vgpr, 58
	.set _ZN4vllm25paged_attention_v1_kernelIthLi80ELi8ELi128ELNS_18Fp8KVCacheDataTypeE1ELb1EEEvPT_PKS2_PKT0_S8_ifPKiSA_iPKfiiiSC_SC_iiiii.num_agpr, 0
	.set _ZN4vllm25paged_attention_v1_kernelIthLi80ELi8ELi128ELNS_18Fp8KVCacheDataTypeE1ELb1EEEvPT_PKS2_PKT0_S8_ifPKiSA_iPKfiiiSC_SC_iiiii.numbered_sgpr, 45
	.set _ZN4vllm25paged_attention_v1_kernelIthLi80ELi8ELi128ELNS_18Fp8KVCacheDataTypeE1ELb1EEEvPT_PKS2_PKT0_S8_ifPKiSA_iPKfiiiSC_SC_iiiii.num_named_barrier, 0
	.set _ZN4vllm25paged_attention_v1_kernelIthLi80ELi8ELi128ELNS_18Fp8KVCacheDataTypeE1ELb1EEEvPT_PKS2_PKT0_S8_ifPKiSA_iPKfiiiSC_SC_iiiii.private_seg_size, 0
	.set _ZN4vllm25paged_attention_v1_kernelIthLi80ELi8ELi128ELNS_18Fp8KVCacheDataTypeE1ELb1EEEvPT_PKS2_PKT0_S8_ifPKiSA_iPKfiiiSC_SC_iiiii.uses_vcc, 1
	.set _ZN4vllm25paged_attention_v1_kernelIthLi80ELi8ELi128ELNS_18Fp8KVCacheDataTypeE1ELb1EEEvPT_PKS2_PKT0_S8_ifPKiSA_iPKfiiiSC_SC_iiiii.uses_flat_scratch, 0
	.set _ZN4vllm25paged_attention_v1_kernelIthLi80ELi8ELi128ELNS_18Fp8KVCacheDataTypeE1ELb1EEEvPT_PKS2_PKT0_S8_ifPKiSA_iPKfiiiSC_SC_iiiii.has_dyn_sized_stack, 0
	.set _ZN4vllm25paged_attention_v1_kernelIthLi80ELi8ELi128ELNS_18Fp8KVCacheDataTypeE1ELb1EEEvPT_PKS2_PKT0_S8_ifPKiSA_iPKfiiiSC_SC_iiiii.has_recursion, 0
	.set _ZN4vllm25paged_attention_v1_kernelIthLi80ELi8ELi128ELNS_18Fp8KVCacheDataTypeE1ELb1EEEvPT_PKS2_PKT0_S8_ifPKiSA_iPKfiiiSC_SC_iiiii.has_indirect_call, 0
	.section	.AMDGPU.csdata,"",@progbits
; Kernel info:
; codeLenInByte = 17112
; TotalNumSgprs: 47
; NumVgprs: 58
; ScratchSize: 0
; MemoryBound: 0
; FloatMode: 240
; IeeeMode: 1
; LDSByteSize: 192 bytes/workgroup (compile time only)
; SGPRBlocks: 0
; VGPRBlocks: 3
; NumSGPRsForWavesPerEU: 47
; NumVGPRsForWavesPerEU: 58
; NamedBarCnt: 0
; Occupancy: 16
; WaveLimiterHint : 1
; COMPUTE_PGM_RSRC2:SCRATCH_EN: 0
; COMPUTE_PGM_RSRC2:USER_SGPR: 2
; COMPUTE_PGM_RSRC2:TRAP_HANDLER: 0
; COMPUTE_PGM_RSRC2:TGID_X_EN: 1
; COMPUTE_PGM_RSRC2:TGID_Y_EN: 1
; COMPUTE_PGM_RSRC2:TGID_Z_EN: 1
; COMPUTE_PGM_RSRC2:TIDIG_COMP_CNT: 0
	.section	.text._ZN4vllm25paged_attention_v1_kernelIthLi96ELi8ELi128ELNS_18Fp8KVCacheDataTypeE1ELb1EEEvPT_PKS2_PKT0_S8_ifPKiSA_iPKfiiiSC_SC_iiiii,"axG",@progbits,_ZN4vllm25paged_attention_v1_kernelIthLi96ELi8ELi128ELNS_18Fp8KVCacheDataTypeE1ELb1EEEvPT_PKS2_PKT0_S8_ifPKiSA_iPKfiiiSC_SC_iiiii,comdat
	.protected	_ZN4vllm25paged_attention_v1_kernelIthLi96ELi8ELi128ELNS_18Fp8KVCacheDataTypeE1ELb1EEEvPT_PKS2_PKT0_S8_ifPKiSA_iPKfiiiSC_SC_iiiii ; -- Begin function _ZN4vllm25paged_attention_v1_kernelIthLi96ELi8ELi128ELNS_18Fp8KVCacheDataTypeE1ELb1EEEvPT_PKS2_PKT0_S8_ifPKiSA_iPKfiiiSC_SC_iiiii
	.globl	_ZN4vllm25paged_attention_v1_kernelIthLi96ELi8ELi128ELNS_18Fp8KVCacheDataTypeE1ELb1EEEvPT_PKS2_PKT0_S8_ifPKiSA_iPKfiiiSC_SC_iiiii
	.p2align	8
	.type	_ZN4vllm25paged_attention_v1_kernelIthLi96ELi8ELi128ELNS_18Fp8KVCacheDataTypeE1ELb1EEEvPT_PKS2_PKT0_S8_ifPKiSA_iPKfiiiSC_SC_iiiii,@function
_ZN4vllm25paged_attention_v1_kernelIthLi96ELi8ELi128ELNS_18Fp8KVCacheDataTypeE1ELb1EEEvPT_PKS2_PKT0_S8_ifPKiSA_iPKfiiiSC_SC_iiiii: ; @_ZN4vllm25paged_attention_v1_kernelIthLi96ELi8ELi128ELNS_18Fp8KVCacheDataTypeE1ELb1EEEvPT_PKS2_PKT0_S8_ifPKiSA_iPKfiiiSC_SC_iiiii
; %bb.0:
	s_load_b64 s[26:27], s[0:1], 0x20
	s_bfe_u32 s3, ttmp6, 0x4000c
	s_bfe_u32 s4, ttmp6, 0x40010
	s_and_b32 s6, ttmp7, 0xffff
	s_add_co_i32 s3, s3, 1
	s_add_co_i32 s4, s4, 1
	s_and_b32 s2, ttmp6, 15
	s_bfe_u32 s5, ttmp6, 0x40004
	s_mul_i32 s3, ttmp9, s3
	s_mul_i32 s4, s6, s4
	s_getreg_b32 s30, hwreg(HW_REG_IB_STS2, 6, 4)
	s_add_co_i32 s2, s2, s3
	s_add_co_i32 s3, s5, s4
	s_cmp_eq_u32 s30, 0
	s_clause 0x1
	s_load_b32 s31, s[0:1], 0x80
	s_load_b64 s[4:5], s[0:1], 0x30
	s_cselect_b32 s33, s6, s3
	s_cselect_b32 s2, ttmp9, s2
	s_wait_kmcnt 0x0
	s_abs_i32 s3, s26
	s_delay_alu instid0(SALU_CYCLE_1) | instskip(SKIP_1) | instid1(SALU_CYCLE_2)
	s_cvt_f32_u32 s6, s3
	s_sub_co_i32 s7, 0, s3
	v_rcp_iflag_f32_e32 v1, s6
	s_abs_i32 s8, s31
	v_nop
	s_delay_alu instid0(TRANS32_DEP_1) | instskip(SKIP_1) | instid1(SALU_CYCLE_3)
	v_readfirstlane_b32 s6, v1
	s_mul_f32 s6, s6, 0x4f7ffffe
	s_cvt_u32_f32 s6, s6
	s_delay_alu instid0(SALU_CYCLE_3) | instskip(NEXT) | instid1(SALU_CYCLE_1)
	s_mul_i32 s7, s7, s6
	s_mul_hi_u32 s7, s6, s7
	s_delay_alu instid0(SALU_CYCLE_1) | instskip(SKIP_4) | instid1(SALU_CYCLE_1)
	s_add_co_i32 s6, s6, s7
	s_xor_b32 s7, s31, s26
	s_mul_hi_u32 s6, s8, s6
	s_ashr_i32 s7, s7, 31
	s_mul_i32 s9, s6, s3
	s_sub_co_i32 s8, s8, s9
	s_add_co_i32 s9, s6, 1
	s_sub_co_i32 s10, s8, s3
	s_cmp_ge_u32 s8, s3
	s_cselect_b32 s6, s9, s6
	s_cselect_b32 s8, s10, s8
	s_add_co_i32 s9, s6, 1
	s_cmp_ge_u32 s8, s3
	s_load_b64 s[10:11], s[0:1], 0x40
	s_cselect_b32 s3, s9, s6
	s_mov_b32 s9, 0
	s_xor_b32 s3, s3, s7
	s_abs_i32 s8, s2
	s_sub_co_i32 s12, s3, s7
	s_mov_b32 s7, s9
	s_abs_i32 s19, s12
	s_mov_b32 s37, s9
	s_cvt_f32_u32 s3, s19
	s_sub_co_i32 s6, 0, s19
	s_delay_alu instid0(SALU_CYCLE_2) | instskip(SKIP_1) | instid1(TRANS32_DEP_1)
	v_rcp_iflag_f32_e32 v1, s3
	v_nop
	v_readfirstlane_b32 s3, v1
	s_mul_f32 s3, s3, 0x4f7ffffe
	s_delay_alu instid0(SALU_CYCLE_3) | instskip(NEXT) | instid1(SALU_CYCLE_3)
	s_cvt_u32_f32 s3, s3
	s_mul_i32 s6, s6, s3
	s_delay_alu instid0(SALU_CYCLE_1) | instskip(NEXT) | instid1(SALU_CYCLE_1)
	s_mul_hi_u32 s6, s3, s6
	s_add_co_i32 s6, s3, s6
	s_wait_kmcnt 0x0
	s_cmp_eq_u64 s[10:11], 0
	s_cbranch_scc1 .LBB237_2
; %bb.1:
	s_ashr_i32 s3, s2, 31
	s_delay_alu instid0(SALU_CYCLE_1) | instskip(NEXT) | instid1(SALU_CYCLE_1)
	s_lshl_b64 s[14:15], s[2:3], 2
	s_add_nc_u64 s[10:11], s[10:11], s[14:15]
	s_load_b32 s37, s[10:11], 0x0
.LBB237_2:
	s_load_b32 s34, s[4:5], s33 offset:0x0 scale_offset
	s_load_b96 s[16:18], s[0:1], 0x48
	v_and_b32_e32 v6, 3, v0
	s_wait_xcnt 0x0
	s_mul_u64 s[4:5], s[8:9], s[6:7]
	s_ashr_i32 s3, s2, 31
	s_ashr_i32 s10, s12, 31
	s_mul_i32 s6, s2, 0x60
	s_mov_b32 s4, exec_lo
	v_cmpx_gt_u32_e32 48, v0
	s_cbranch_execz .LBB237_4
; %bb.3:
	s_load_b64 s[12:13], s[0:1], 0x8
	s_wait_kmcnt 0x0
	s_mul_i32 s14, s16, s33
	s_ashr_i32 s7, s6, 31
	s_ashr_i32 s15, s14, 31
	v_and_b32_e32 v2, 0x3fc, v0
	s_lshl_b64 s[14:15], s[14:15], 1
	s_delay_alu instid0(VALU_DEP_1) | instskip(SKIP_2) | instid1(SALU_CYCLE_1)
	v_mad_u32_u24 v2, v6, 48, v2
	s_add_nc_u64 s[12:13], s[12:13], s[14:15]
	s_lshl_b64 s[14:15], s[6:7], 1
	s_add_nc_u64 s[12:13], s[12:13], s[14:15]
	global_load_b32 v1, v0, s[12:13] scale_offset
	s_wait_loadcnt 0x0
	ds_store_b32 v2, v1
.LBB237_4:
	s_or_b32 exec_lo, exec_lo, s4
	s_load_b128 s[12:15], s[0:1], 0x68
	s_mul_i32 s4, s5, s19
	s_xor_b32 s3, s3, s10
	s_sub_co_i32 s4, s8, s4
	s_add_co_i32 s7, s5, 1
	s_sub_co_i32 s8, s4, s19
	s_cmp_ge_u32 s4, s19
	s_mov_b32 s9, -1
	s_cselect_b32 s5, s7, s5
	s_cselect_b32 s4, s8, s4
	s_add_co_i32 s8, s5, 1
	s_cmp_ge_u32 s4, s19
	s_load_b32 s7, s[0:1], 0x78
	s_cselect_b32 s4, s8, s5
	s_wait_kmcnt 0x0
	s_add_co_i32 s8, s34, -1
	s_xor_b32 s4, s4, s3
	s_wait_dscnt 0x0
	s_sub_co_i32 s3, s4, s3
	s_barrier_signal -1
	s_barrier_wait -1
	s_abs_i32 s16, s15
	s_delay_alu instid0(SALU_CYCLE_1) | instskip(NEXT) | instid1(SALU_CYCLE_3)
	s_cvt_f32_u32 s5, s16
                                        ; implicit-def: $sgpr35
	v_rcp_iflag_f32_e32 v1, s5
	v_nop
	s_delay_alu instid0(TRANS32_DEP_1) | instskip(SKIP_1) | instid1(SALU_CYCLE_3)
	v_readfirstlane_b32 s5, v1
	s_mul_f32 s4, s5, 0x4f7ffffe
	s_cvt_u32_f32 s10, s4
	s_sub_co_i32 s4, 0, s16
	s_delay_alu instid0(SALU_CYCLE_2)
	s_mul_i32 s5, s4, s10
	s_abs_i32 s4, s8
	s_mul_hi_u32 s11, s10, s5
	s_mov_b32 s5, 0
	s_add_co_i32 s20, s10, s11
	s_cmp_lt_i32 s7, 0
	s_mov_b32 s21, s5
	s_cbranch_scc0 .LBB237_6
; %bb.5:
	s_mul_i32 s9, s12, s26
	s_delay_alu instid0(SALU_CYCLE_1) | instskip(NEXT) | instid1(SALU_CYCLE_1)
	s_add_co_i32 s9, s3, s9
	s_mul_i32 s9, s9, s7
	s_delay_alu instid0(SALU_CYCLE_1)
	s_sub_co_i32 s35, 1, s9
	s_mov_b32 s9, s5
.LBB237_6:
	s_ashr_i32 s8, s8, 31
	s_ashr_i32 s15, s15, 31
	s_and_not1_b32 vcc_lo, exec_lo, s9
	s_mul_u64 s[28:29], s[4:5], s[20:21]
	s_cbranch_vccnz .LBB237_8
; %bb.7:
	s_mul_i32 s5, s31, s12
	s_delay_alu instid0(SALU_CYCLE_1) | instskip(NEXT) | instid1(SALU_CYCLE_1)
	s_add_co_i32 s2, s5, s2
	s_mul_i32 s2, s2, s7
	s_delay_alu instid0(SALU_CYCLE_1)
	s_add_co_i32 s35, s2, 1
.LBB237_8:
	s_clause 0x1
	s_load_b32 s2, s[0:1], 0x38
	s_load_b64 s[22:23], s[0:1], 0x28
	s_mul_i32 s7, s29, s16
	s_xor_b32 s5, s8, s15
	s_sub_co_i32 s4, s4, s7
	s_add_co_i32 s12, s29, 1
	s_clause 0x1
	s_load_b32 s7, s[0:1], 0x88
	s_load_b128 s[8:11], s[0:1], 0x58
	v_dual_mov_b32 v16, 0xff7fffff :: v_dual_lshrrev_b32 v23, 5, v0
	v_lshrrev_b32_e32 v1, 3, v0
	v_mbcnt_lo_u32_b32 v3, -1, 0
	s_mul_i32 s18, s3, s18
	s_delay_alu instid0(VALU_DEP_3)
	v_lshlrev_b32_e32 v2, 3, v23
	s_wait_kmcnt 0x0
	s_mul_i32 s24, s2, s33
	s_sub_co_i32 s2, s4, s16
	s_ashr_i32 s25, s24, 31
	s_cmp_ge_u32 s4, s16
	s_cselect_b32 s12, s12, s29
	s_cselect_b32 s2, s2, s4
	s_add_co_i32 s4, s12, 1
	s_cmp_ge_u32 s2, s16
	s_cselect_b32 s2, s4, s12
	s_add_co_i32 s4, s34, 7
	s_delay_alu instid0(SALU_CYCLE_1) | instskip(NEXT) | instid1(SALU_CYCLE_1)
	s_ashr_i32 s12, s4, 31
	s_lshr_b32 s12, s12, 29
	s_delay_alu instid0(SALU_CYCLE_1) | instskip(NEXT) | instid1(SALU_CYCLE_1)
	s_add_co_i32 s4, s4, s12
	s_ashr_i32 s12, s4, 3
	s_xor_b32 s4, s2, s5
	v_cmp_gt_i32_e64 s2, s12, v23
	s_sub_co_i32 s36, s4, s5
	s_and_saveexec_b32 s26, s2
	s_cbranch_execz .LBB237_212
; %bb.9:
	s_load_b64 s[4:5], s[0:1], 0x10
	s_sub_co_i32 s38, s36, s13
	s_ashr_i32 s19, s18, 31
	s_cmp_neq_f32 s37, 0
	v_bfe_u32 v14, v0, 2, 3
	v_mov_b32_e32 v5, 0
	v_mul_u32_u24_e32 v15, 48, v6
	s_cselect_b32 vcc_lo, -1, 0
	s_abs_i32 s39, s14
	v_lshlrev_b32_e32 v4, 4, v14
	s_cvt_f32_u32 s3, s39
	s_lshl_b64 s[40:41], s[24:25], 2
	v_subrev_nc_u32_e32 v10, s34, v14
	v_mov_b32_e32 v16, 0xff7fffff
	v_rcp_iflag_f32_e32 v7, s3
	v_cmp_eq_u32_e64 s3, 0, v6
	s_delay_alu instid0(VALU_DEP_3)
	v_dual_mov_b32 v20, v23 :: v_dual_add_nc_u32 v17, 1, v10
	s_mov_b32 s29, 0
	v_mov_b32_e32 v19, 0xff7fffff
	s_wait_kmcnt 0x0
	s_add_nc_u64 s[4:5], s[4:5], s[18:19]
	v_readfirstlane_b32 s28, v7
	v_add_nc_u64_e32 v[8:9], s[4:5], v[4:5]
	v_lshlrev_b32_e32 v7, 2, v14
	v_lshlrev_b32_e32 v4, 1, v6
	s_add_nc_u64 s[4:5], s[22:23], s[40:41]
	s_mul_f32 s19, s28, 0x4f7ffffe
	s_sub_co_i32 s28, 0, s39
	v_lshl_or_b32 v11, v23, 5, v7
	v_add_nc_u64_e32 v[6:7], v[8:9], v[4:5]
	v_and_b32_e32 v4, 0x7c, v1
	s_cvt_u32_f32 s40, s19
	s_mov_b32 s19, s17
	v_add_nc_u32_e32 v18, 0xe0, v11
	s_delay_alu instid0(VALU_DEP_2) | instskip(SKIP_3) | instid1(SALU_CYCLE_1)
	v_add_nc_u64_e32 v[8:9], s[4:5], v[4:5]
	s_mul_i32 s28, s28, s40
	v_lshlrev_b32_e32 v4, 3, v23
	s_mul_hi_u32 s28, s40, s28
	s_add_co_i32 s28, s40, s28
	s_mov_b32 s40, s29
	s_branch .LBB237_12
.LBB237_10:                             ;   in Loop: Header=BB237_12 Depth=1
	s_or_b32 exec_lo, exec_lo, s41
.LBB237_11:                             ;   in Loop: Header=BB237_12 Depth=1
	s_delay_alu instid0(SALU_CYCLE_1) | instskip(SKIP_4) | instid1(VALU_DEP_4)
	s_or_b32 exec_lo, exec_lo, s5
	v_add_nc_u32_e32 v20, 4, v20
	v_add_nc_u64_e32 v[8:9], 16, v[8:9]
	v_add_nc_u32_e32 v4, 32, v4
	v_add_nc_u32_e32 v18, 0x80, v18
	v_cmp_le_i32_e64 s4, s12, v20
	s_or_b32 s40, s4, s40
	s_delay_alu instid0(SALU_CYCLE_1)
	s_and_not1_b32 exec_lo, exec_lo, s40
	s_cbranch_execz .LBB237_211
.LBB237_12:                             ; =>This Inner Loop Header: Depth=1
	s_wait_dscnt 0x0
	v_mul_u64_e32 v[10:11], s[20:21], v[4:5]
	s_delay_alu instid0(VALU_DEP_1) | instskip(NEXT) | instid1(VALU_DEP_1)
	v_mul_lo_u32 v10, v11, s16
	v_dual_add_nc_u32 v12, 1, v11 :: v_dual_sub_nc_u32 v10, v4, v10
	s_delay_alu instid0(VALU_DEP_1) | instskip(SKIP_1) | instid1(VALU_DEP_1)
	v_subrev_nc_u32_e32 v13, s16, v10
	v_cmp_le_u32_e64 s4, s16, v10
	v_dual_cndmask_b32 v11, v11, v12, s4 :: v_dual_cndmask_b32 v10, v10, v13, s4
	s_delay_alu instid0(VALU_DEP_1) | instskip(NEXT) | instid1(VALU_DEP_2)
	v_add_nc_u32_e32 v12, 1, v11
	v_cmp_le_u32_e64 s4, s16, v10
	s_delay_alu instid0(VALU_DEP_1) | instskip(NEXT) | instid1(VALU_DEP_1)
	v_dual_cndmask_b32 v10, v11, v12, s4 :: v_dual_mov_b32 v11, v5
	v_xor_b32_e32 v10, s15, v10
	s_delay_alu instid0(VALU_DEP_1) | instskip(NEXT) | instid1(VALU_DEP_1)
	v_subrev_nc_u32_e32 v21, s15, v10
	v_add_nc_u32_e32 v22, s35, v21
	v_cmp_ge_i32_e64 s5, s38, v21
	s_delay_alu instid0(VALU_DEP_2) | instskip(NEXT) | instid1(VALU_DEP_1)
	v_sub_nc_u32_e32 v10, 0, v22
	v_max_i32_e32 v10, v22, v10
	s_delay_alu instid0(VALU_DEP_1) | instskip(SKIP_1) | instid1(VALU_DEP_2)
	v_mul_u64_e32 v[12:13], s[28:29], v[10:11]
	v_ashrrev_i32_e32 v12, 31, v22
	v_mul_lo_u32 v11, v13, s39
	s_delay_alu instid0(VALU_DEP_1) | instskip(NEXT) | instid1(VALU_DEP_1)
	v_sub_nc_u32_e32 v10, v10, v11
	v_subrev_nc_u32_e32 v11, s39, v10
	v_cmp_le_u32_e64 s4, s39, v10
	s_delay_alu instid0(VALU_DEP_1) | instskip(NEXT) | instid1(VALU_DEP_1)
	v_cndmask_b32_e64 v10, v10, v11, s4
	v_subrev_nc_u32_e32 v11, s39, v10
	v_cmp_le_u32_e64 s4, s39, v10
	s_delay_alu instid0(VALU_DEP_1) | instskip(NEXT) | instid1(VALU_DEP_1)
	v_cndmask_b32_e64 v10, v10, v11, s4
	v_xor_b32_e32 v10, v10, v12
	s_delay_alu instid0(VALU_DEP_1) | instskip(NEXT) | instid1(VALU_DEP_1)
	v_sub_nc_u32_e32 v10, v10, v12
	v_cmp_ne_u32_e64 s4, 0, v10
	s_and_b32 s4, s4, s5
	s_delay_alu instid0(SALU_CYCLE_1) | instskip(NEXT) | instid1(SALU_CYCLE_1)
	s_and_saveexec_b32 s5, s4
	s_xor_b32 s4, exec_lo, s5
	s_cbranch_execz .LBB237_16
; %bb.13:                               ;   in Loop: Header=BB237_12 Depth=1
	s_and_saveexec_b32 s5, s3
; %bb.14:                               ;   in Loop: Header=BB237_12 Depth=1
	ds_store_b32 v18, v19
; %bb.15:                               ;   in Loop: Header=BB237_12 Depth=1
	s_or_b32 exec_lo, exec_lo, s5
.LBB237_16:                             ;   in Loop: Header=BB237_12 Depth=1
	s_and_not1_saveexec_b32 s5, s4
	s_cbranch_execz .LBB237_11
; %bb.17:                               ;   in Loop: Header=BB237_12 Depth=1
	global_load_b32 v10, v[8:9], off
	v_dual_mov_b32 v22, 0 :: v_dual_mov_b32 v24, 0
	s_mov_b32 s41, exec_lo
	global_load_b32 v21, v22, s[8:9]
	s_wait_loadcnt 0x1
	v_mad_nc_i64_i32 v[10:11], v10, s19, v[6:7]
	global_load_u16 v12, v[10:11], off
	s_wait_loadcnt 0x0
	v_and_b32_e32 v13, 0xff, v12
	v_and_b32_e32 v12, 0xffff, v12
	s_delay_alu instid0(VALU_DEP_2)
	v_cmpx_ne_u16_e32 0, v13
	s_cbranch_execz .LBB237_25
; %bb.18:                               ;   in Loop: Header=BB237_12 Depth=1
	s_delay_alu instid0(VALU_DEP_2) | instskip(SKIP_2) | instid1(VALU_DEP_2)
	v_and_b32_e32 v13, 0xff, v12
	v_mov_b32_e32 v24, 0x8000
	s_mov_b32 s42, exec_lo
	v_cmpx_ne_u16_e32 0x80, v13
	s_cbranch_execz .LBB237_24
; %bb.19:                               ;   in Loop: Header=BB237_12 Depth=1
	v_and_b32_e32 v25, 0x7f, v12
	v_mov_b32_e32 v24, 0x7c01
	s_mov_b32 s43, exec_lo
	s_delay_alu instid0(VALU_DEP_2)
	v_cmpx_ne_u32_e32 0x7f, v25
	s_cbranch_execz .LBB237_23
; %bb.20:                               ;   in Loop: Header=BB237_12 Depth=1
	v_dual_lshrrev_b32 v24, 3, v25 :: v_dual_bitop2_b32 v13, 7, v12 bitop3:0x40
	s_mov_b32 s44, exec_lo
	v_cmpx_gt_u32_e32 8, v25
; %bb.21:                               ;   in Loop: Header=BB237_12 Depth=1
	s_delay_alu instid0(VALU_DEP_2) | instskip(NEXT) | instid1(VALU_DEP_1)
	v_clz_i32_u32_e32 v13, v13
	v_min_u32_e32 v13, 32, v13
	s_delay_alu instid0(VALU_DEP_1) | instskip(NEXT) | instid1(VALU_DEP_1)
	v_subrev_nc_u32_e32 v24, 28, v13
	v_lshlrev_b64_e32 v[26:27], v24, v[12:13]
	s_delay_alu instid0(VALU_DEP_1)
	v_dual_sub_nc_u32 v24, 29, v13 :: v_dual_bitop2_b32 v13, 7, v26 bitop3:0x40
; %bb.22:                               ;   in Loop: Header=BB237_12 Depth=1
	s_or_b32 exec_lo, exec_lo, s44
	s_delay_alu instid0(VALU_DEP_1) | instskip(NEXT) | instid1(VALU_DEP_2)
	v_dual_lshlrev_b32 v25, 8, v12 :: v_dual_lshlrev_b32 v13, 7, v13
	v_lshl_add_u32 v24, v24, 10, 0x2000
	s_delay_alu instid0(VALU_DEP_2) | instskip(NEXT) | instid1(VALU_DEP_2)
	v_and_b32_e32 v25, 0x8000, v25
	v_and_b32_e32 v24, 0xfc00, v24
	s_delay_alu instid0(VALU_DEP_1)
	v_or3_b32 v24, v25, v24, v13
.LBB237_23:                             ;   in Loop: Header=BB237_12 Depth=1
	s_or_b32 exec_lo, exec_lo, s43
.LBB237_24:                             ;   in Loop: Header=BB237_12 Depth=1
	s_delay_alu instid0(SALU_CYCLE_1)
	s_or_b32 exec_lo, exec_lo, s42
.LBB237_25:                             ;   in Loop: Header=BB237_12 Depth=1
	s_delay_alu instid0(SALU_CYCLE_1) | instskip(NEXT) | instid1(VALU_DEP_2)
	s_or_b32 exec_lo, exec_lo, s41
	v_lshrrev_b16 v12, 8, v12
	s_mov_b32 s41, exec_lo
	s_delay_alu instid0(VALU_DEP_1)
	v_cmpx_ne_u16_e32 0, v12
	s_cbranch_execz .LBB237_33
; %bb.26:                               ;   in Loop: Header=BB237_12 Depth=1
	v_bfrev_b32_e32 v22, 1
	s_mov_b32 s42, exec_lo
	v_cmpx_ne_u16_e32 0x80, v12
	s_cbranch_execz .LBB237_32
; %bb.27:                               ;   in Loop: Header=BB237_12 Depth=1
	v_and_b32_e32 v25, 0xffff, v12
	v_mov_b32_e32 v22, 0x7c010000
	s_mov_b32 s43, exec_lo
	s_delay_alu instid0(VALU_DEP_2) | instskip(NEXT) | instid1(VALU_DEP_1)
	v_and_b32_e32 v26, 0x7f, v25
	v_cmpx_ne_u32_e32 0x7f, v26
	s_cbranch_execz .LBB237_31
; %bb.28:                               ;   in Loop: Header=BB237_12 Depth=1
	v_dual_lshrrev_b32 v22, 3, v26 :: v_dual_bitop2_b32 v13, 7, v25 bitop3:0x40
	s_mov_b32 s44, exec_lo
	v_cmpx_gt_u32_e32 8, v26
	s_cbranch_execz .LBB237_30
; %bb.29:                               ;   in Loop: Header=BB237_12 Depth=1
	s_delay_alu instid0(VALU_DEP_2) | instskip(NEXT) | instid1(VALU_DEP_1)
	v_clz_i32_u32_e32 v13, v13
	v_min_u32_e32 v22, 32, v13
	v_mov_b32_e32 v13, v5
	s_delay_alu instid0(VALU_DEP_2) | instskip(SKIP_1) | instid1(VALU_DEP_2)
	v_subrev_nc_u32_e32 v26, 28, v22
	v_sub_nc_u32_e32 v22, 29, v22
	v_lshlrev_b64_e32 v[12:13], v26, v[12:13]
	s_delay_alu instid0(VALU_DEP_1)
	v_and_b32_e32 v13, 7, v12
.LBB237_30:                             ;   in Loop: Header=BB237_12 Depth=1
	s_or_b32 exec_lo, exec_lo, s44
	v_lshlrev_b32_e32 v12, 8, v25
	v_lshl_add_u32 v22, v22, 10, 0x2000
	s_delay_alu instid0(VALU_DEP_3) | instskip(NEXT) | instid1(VALU_DEP_2)
	v_lshlrev_b32_e32 v13, 23, v13
	v_and_or_b32 v12, 0x8000, v12, v22
	s_delay_alu instid0(VALU_DEP_1)
	v_lshl_or_b32 v22, v12, 16, v13
.LBB237_31:                             ;   in Loop: Header=BB237_12 Depth=1
	s_or_b32 exec_lo, exec_lo, s43
.LBB237_32:                             ;   in Loop: Header=BB237_12 Depth=1
	s_delay_alu instid0(SALU_CYCLE_1)
	s_or_b32 exec_lo, exec_lo, s42
.LBB237_33:                             ;   in Loop: Header=BB237_12 Depth=1
	s_delay_alu instid0(SALU_CYCLE_1)
	s_or_b32 exec_lo, exec_lo, s41
	global_load_u16 v12, v[10:11], off offset:8
	v_dual_mov_b32 v25, 0 :: v_dual_mov_b32 v26, 0
	s_mov_b32 s41, exec_lo
	s_wait_loadcnt 0x0
	v_and_b32_e32 v13, 0xff, v12
	v_and_b32_e32 v12, 0xffff, v12
	s_delay_alu instid0(VALU_DEP_2)
	v_cmpx_ne_u16_e32 0, v13
	s_cbranch_execz .LBB237_41
; %bb.34:                               ;   in Loop: Header=BB237_12 Depth=1
	s_delay_alu instid0(VALU_DEP_2) | instskip(SKIP_2) | instid1(VALU_DEP_2)
	v_and_b32_e32 v13, 0xff, v12
	v_mov_b32_e32 v26, 0x8000
	s_mov_b32 s42, exec_lo
	v_cmpx_ne_u16_e32 0x80, v13
	s_cbranch_execz .LBB237_40
; %bb.35:                               ;   in Loop: Header=BB237_12 Depth=1
	v_and_b32_e32 v27, 0x7f, v12
	v_mov_b32_e32 v26, 0x7c01
	s_mov_b32 s43, exec_lo
	s_delay_alu instid0(VALU_DEP_2)
	v_cmpx_ne_u32_e32 0x7f, v27
	s_cbranch_execz .LBB237_39
; %bb.36:                               ;   in Loop: Header=BB237_12 Depth=1
	v_dual_lshrrev_b32 v26, 3, v27 :: v_dual_bitop2_b32 v13, 7, v12 bitop3:0x40
	s_mov_b32 s44, exec_lo
	v_cmpx_gt_u32_e32 8, v27
; %bb.37:                               ;   in Loop: Header=BB237_12 Depth=1
	s_delay_alu instid0(VALU_DEP_2) | instskip(NEXT) | instid1(VALU_DEP_1)
	v_clz_i32_u32_e32 v13, v13
	v_min_u32_e32 v13, 32, v13
	s_delay_alu instid0(VALU_DEP_1) | instskip(NEXT) | instid1(VALU_DEP_1)
	v_subrev_nc_u32_e32 v26, 28, v13
	v_lshlrev_b64_e32 v[28:29], v26, v[12:13]
	s_delay_alu instid0(VALU_DEP_1)
	v_dual_sub_nc_u32 v26, 29, v13 :: v_dual_bitop2_b32 v13, 7, v28 bitop3:0x40
; %bb.38:                               ;   in Loop: Header=BB237_12 Depth=1
	s_or_b32 exec_lo, exec_lo, s44
	s_delay_alu instid0(VALU_DEP_1) | instskip(NEXT) | instid1(VALU_DEP_2)
	v_dual_lshlrev_b32 v27, 8, v12 :: v_dual_lshlrev_b32 v13, 7, v13
	v_lshl_add_u32 v26, v26, 10, 0x2000
	s_delay_alu instid0(VALU_DEP_2) | instskip(NEXT) | instid1(VALU_DEP_2)
	v_and_b32_e32 v27, 0x8000, v27
	v_and_b32_e32 v26, 0xfc00, v26
	s_delay_alu instid0(VALU_DEP_1)
	v_or3_b32 v26, v27, v26, v13
.LBB237_39:                             ;   in Loop: Header=BB237_12 Depth=1
	s_or_b32 exec_lo, exec_lo, s43
.LBB237_40:                             ;   in Loop: Header=BB237_12 Depth=1
	s_delay_alu instid0(SALU_CYCLE_1)
	s_or_b32 exec_lo, exec_lo, s42
.LBB237_41:                             ;   in Loop: Header=BB237_12 Depth=1
	s_delay_alu instid0(SALU_CYCLE_1) | instskip(NEXT) | instid1(VALU_DEP_2)
	s_or_b32 exec_lo, exec_lo, s41
	v_lshrrev_b16 v12, 8, v12
	s_mov_b32 s41, exec_lo
	s_delay_alu instid0(VALU_DEP_1)
	v_cmpx_ne_u16_e32 0, v12
	s_cbranch_execz .LBB237_49
; %bb.42:                               ;   in Loop: Header=BB237_12 Depth=1
	v_bfrev_b32_e32 v25, 1
	s_mov_b32 s42, exec_lo
	v_cmpx_ne_u16_e32 0x80, v12
	s_cbranch_execz .LBB237_48
; %bb.43:                               ;   in Loop: Header=BB237_12 Depth=1
	v_and_b32_e32 v27, 0xffff, v12
	v_mov_b32_e32 v25, 0x7c010000
	s_mov_b32 s43, exec_lo
	s_delay_alu instid0(VALU_DEP_2) | instskip(NEXT) | instid1(VALU_DEP_1)
	v_and_b32_e32 v28, 0x7f, v27
	v_cmpx_ne_u32_e32 0x7f, v28
	s_cbranch_execz .LBB237_47
; %bb.44:                               ;   in Loop: Header=BB237_12 Depth=1
	v_dual_lshrrev_b32 v25, 3, v28 :: v_dual_bitop2_b32 v13, 7, v27 bitop3:0x40
	s_mov_b32 s44, exec_lo
	v_cmpx_gt_u32_e32 8, v28
	s_cbranch_execz .LBB237_46
; %bb.45:                               ;   in Loop: Header=BB237_12 Depth=1
	s_delay_alu instid0(VALU_DEP_2) | instskip(NEXT) | instid1(VALU_DEP_1)
	v_clz_i32_u32_e32 v13, v13
	v_min_u32_e32 v25, 32, v13
	v_mov_b32_e32 v13, v5
	s_delay_alu instid0(VALU_DEP_2) | instskip(SKIP_1) | instid1(VALU_DEP_2)
	v_subrev_nc_u32_e32 v28, 28, v25
	v_sub_nc_u32_e32 v25, 29, v25
	v_lshlrev_b64_e32 v[12:13], v28, v[12:13]
	s_delay_alu instid0(VALU_DEP_1)
	v_and_b32_e32 v13, 7, v12
.LBB237_46:                             ;   in Loop: Header=BB237_12 Depth=1
	s_or_b32 exec_lo, exec_lo, s44
	s_delay_alu instid0(VALU_DEP_1) | instskip(SKIP_1) | instid1(VALU_DEP_1)
	v_dual_lshlrev_b32 v12, 8, v27 :: v_dual_lshlrev_b32 v13, 23, v13
	v_lshl_add_u32 v25, v25, 10, 0x2000
	v_and_or_b32 v12, 0x8000, v12, v25
	s_delay_alu instid0(VALU_DEP_1)
	v_lshl_or_b32 v25, v12, 16, v13
.LBB237_47:                             ;   in Loop: Header=BB237_12 Depth=1
	s_or_b32 exec_lo, exec_lo, s43
.LBB237_48:                             ;   in Loop: Header=BB237_12 Depth=1
	s_delay_alu instid0(SALU_CYCLE_1)
	s_or_b32 exec_lo, exec_lo, s42
.LBB237_49:                             ;   in Loop: Header=BB237_12 Depth=1
	s_delay_alu instid0(SALU_CYCLE_1)
	s_or_b32 exec_lo, exec_lo, s41
	global_load_u16 v12, v[10:11], off offset:128
	v_dual_mov_b32 v27, 0 :: v_dual_mov_b32 v28, 0
	s_mov_b32 s41, exec_lo
	s_wait_loadcnt 0x0
	v_and_b32_e32 v13, 0xff, v12
	v_and_b32_e32 v12, 0xffff, v12
	s_delay_alu instid0(VALU_DEP_2)
	v_cmpx_ne_u16_e32 0, v13
	s_cbranch_execz .LBB237_57
; %bb.50:                               ;   in Loop: Header=BB237_12 Depth=1
	s_delay_alu instid0(VALU_DEP_2) | instskip(SKIP_2) | instid1(VALU_DEP_2)
	v_and_b32_e32 v13, 0xff, v12
	v_mov_b32_e32 v28, 0x8000
	s_mov_b32 s42, exec_lo
	v_cmpx_ne_u16_e32 0x80, v13
	s_cbranch_execz .LBB237_56
; %bb.51:                               ;   in Loop: Header=BB237_12 Depth=1
	v_and_b32_e32 v29, 0x7f, v12
	v_mov_b32_e32 v28, 0x7c01
	s_mov_b32 s43, exec_lo
	s_delay_alu instid0(VALU_DEP_2)
	v_cmpx_ne_u32_e32 0x7f, v29
	s_cbranch_execz .LBB237_55
; %bb.52:                               ;   in Loop: Header=BB237_12 Depth=1
	v_dual_lshrrev_b32 v28, 3, v29 :: v_dual_bitop2_b32 v13, 7, v12 bitop3:0x40
	s_mov_b32 s44, exec_lo
	v_cmpx_gt_u32_e32 8, v29
; %bb.53:                               ;   in Loop: Header=BB237_12 Depth=1
	s_delay_alu instid0(VALU_DEP_2) | instskip(NEXT) | instid1(VALU_DEP_1)
	v_clz_i32_u32_e32 v13, v13
	v_min_u32_e32 v13, 32, v13
	s_delay_alu instid0(VALU_DEP_1) | instskip(NEXT) | instid1(VALU_DEP_1)
	v_subrev_nc_u32_e32 v28, 28, v13
	v_lshlrev_b64_e32 v[30:31], v28, v[12:13]
	s_delay_alu instid0(VALU_DEP_1)
	v_dual_sub_nc_u32 v28, 29, v13 :: v_dual_bitop2_b32 v13, 7, v30 bitop3:0x40
; %bb.54:                               ;   in Loop: Header=BB237_12 Depth=1
	s_or_b32 exec_lo, exec_lo, s44
	s_delay_alu instid0(VALU_DEP_1) | instskip(NEXT) | instid1(VALU_DEP_2)
	v_dual_lshlrev_b32 v29, 8, v12 :: v_dual_lshlrev_b32 v13, 7, v13
	v_lshl_add_u32 v28, v28, 10, 0x2000
	s_delay_alu instid0(VALU_DEP_2) | instskip(NEXT) | instid1(VALU_DEP_2)
	v_and_b32_e32 v29, 0x8000, v29
	v_and_b32_e32 v28, 0xfc00, v28
	s_delay_alu instid0(VALU_DEP_1)
	v_or3_b32 v28, v29, v28, v13
.LBB237_55:                             ;   in Loop: Header=BB237_12 Depth=1
	s_or_b32 exec_lo, exec_lo, s43
.LBB237_56:                             ;   in Loop: Header=BB237_12 Depth=1
	s_delay_alu instid0(SALU_CYCLE_1)
	s_or_b32 exec_lo, exec_lo, s42
.LBB237_57:                             ;   in Loop: Header=BB237_12 Depth=1
	s_delay_alu instid0(SALU_CYCLE_1) | instskip(NEXT) | instid1(VALU_DEP_2)
	s_or_b32 exec_lo, exec_lo, s41
	v_lshrrev_b16 v12, 8, v12
	s_mov_b32 s41, exec_lo
	s_delay_alu instid0(VALU_DEP_1)
	v_cmpx_ne_u16_e32 0, v12
	s_cbranch_execz .LBB237_65
; %bb.58:                               ;   in Loop: Header=BB237_12 Depth=1
	v_bfrev_b32_e32 v27, 1
	s_mov_b32 s42, exec_lo
	v_cmpx_ne_u16_e32 0x80, v12
	s_cbranch_execz .LBB237_64
; %bb.59:                               ;   in Loop: Header=BB237_12 Depth=1
	v_and_b32_e32 v29, 0xffff, v12
	v_mov_b32_e32 v27, 0x7c010000
	s_mov_b32 s43, exec_lo
	s_delay_alu instid0(VALU_DEP_2) | instskip(NEXT) | instid1(VALU_DEP_1)
	v_and_b32_e32 v30, 0x7f, v29
	v_cmpx_ne_u32_e32 0x7f, v30
	s_cbranch_execz .LBB237_63
; %bb.60:                               ;   in Loop: Header=BB237_12 Depth=1
	v_dual_lshrrev_b32 v27, 3, v30 :: v_dual_bitop2_b32 v13, 7, v29 bitop3:0x40
	s_mov_b32 s44, exec_lo
	v_cmpx_gt_u32_e32 8, v30
	s_cbranch_execz .LBB237_62
; %bb.61:                               ;   in Loop: Header=BB237_12 Depth=1
	s_delay_alu instid0(VALU_DEP_2) | instskip(NEXT) | instid1(VALU_DEP_1)
	v_clz_i32_u32_e32 v13, v13
	v_min_u32_e32 v27, 32, v13
	v_mov_b32_e32 v13, v5
	s_delay_alu instid0(VALU_DEP_2) | instskip(SKIP_1) | instid1(VALU_DEP_2)
	v_subrev_nc_u32_e32 v30, 28, v27
	v_sub_nc_u32_e32 v27, 29, v27
	v_lshlrev_b64_e32 v[12:13], v30, v[12:13]
	s_delay_alu instid0(VALU_DEP_1)
	v_and_b32_e32 v13, 7, v12
.LBB237_62:                             ;   in Loop: Header=BB237_12 Depth=1
	s_or_b32 exec_lo, exec_lo, s44
	v_lshlrev_b32_e32 v12, 8, v29
	v_lshl_add_u32 v27, v27, 10, 0x2000
	s_delay_alu instid0(VALU_DEP_3) | instskip(NEXT) | instid1(VALU_DEP_2)
	v_lshlrev_b32_e32 v13, 23, v13
	v_and_or_b32 v12, 0x8000, v12, v27
	s_delay_alu instid0(VALU_DEP_1)
	v_lshl_or_b32 v27, v12, 16, v13
.LBB237_63:                             ;   in Loop: Header=BB237_12 Depth=1
	s_or_b32 exec_lo, exec_lo, s43
.LBB237_64:                             ;   in Loop: Header=BB237_12 Depth=1
	s_delay_alu instid0(SALU_CYCLE_1)
	s_or_b32 exec_lo, exec_lo, s42
.LBB237_65:                             ;   in Loop: Header=BB237_12 Depth=1
	s_delay_alu instid0(SALU_CYCLE_1)
	s_or_b32 exec_lo, exec_lo, s41
	global_load_u16 v12, v[10:11], off offset:136
	v_dual_mov_b32 v29, 0 :: v_dual_mov_b32 v30, 0
	s_mov_b32 s41, exec_lo
	s_wait_loadcnt 0x0
	v_and_b32_e32 v13, 0xff, v12
	v_and_b32_e32 v12, 0xffff, v12
	s_delay_alu instid0(VALU_DEP_2)
	v_cmpx_ne_u16_e32 0, v13
	s_cbranch_execz .LBB237_73
; %bb.66:                               ;   in Loop: Header=BB237_12 Depth=1
	s_delay_alu instid0(VALU_DEP_2) | instskip(SKIP_2) | instid1(VALU_DEP_2)
	v_and_b32_e32 v13, 0xff, v12
	v_mov_b32_e32 v30, 0x8000
	s_mov_b32 s42, exec_lo
	v_cmpx_ne_u16_e32 0x80, v13
	s_cbranch_execz .LBB237_72
; %bb.67:                               ;   in Loop: Header=BB237_12 Depth=1
	v_and_b32_e32 v31, 0x7f, v12
	v_mov_b32_e32 v30, 0x7c01
	s_mov_b32 s43, exec_lo
	s_delay_alu instid0(VALU_DEP_2)
	v_cmpx_ne_u32_e32 0x7f, v31
	s_cbranch_execz .LBB237_71
; %bb.68:                               ;   in Loop: Header=BB237_12 Depth=1
	v_dual_lshrrev_b32 v30, 3, v31 :: v_dual_bitop2_b32 v13, 7, v12 bitop3:0x40
	s_mov_b32 s44, exec_lo
	v_cmpx_gt_u32_e32 8, v31
; %bb.69:                               ;   in Loop: Header=BB237_12 Depth=1
	s_delay_alu instid0(VALU_DEP_2) | instskip(NEXT) | instid1(VALU_DEP_1)
	v_clz_i32_u32_e32 v13, v13
	v_min_u32_e32 v13, 32, v13
	s_delay_alu instid0(VALU_DEP_1) | instskip(NEXT) | instid1(VALU_DEP_1)
	v_subrev_nc_u32_e32 v30, 28, v13
	v_lshlrev_b64_e32 v[32:33], v30, v[12:13]
	s_delay_alu instid0(VALU_DEP_1)
	v_dual_sub_nc_u32 v30, 29, v13 :: v_dual_bitop2_b32 v13, 7, v32 bitop3:0x40
; %bb.70:                               ;   in Loop: Header=BB237_12 Depth=1
	s_or_b32 exec_lo, exec_lo, s44
	s_delay_alu instid0(VALU_DEP_1) | instskip(NEXT) | instid1(VALU_DEP_2)
	v_dual_lshlrev_b32 v31, 8, v12 :: v_dual_lshlrev_b32 v13, 7, v13
	v_lshl_add_u32 v30, v30, 10, 0x2000
	s_delay_alu instid0(VALU_DEP_2) | instskip(NEXT) | instid1(VALU_DEP_2)
	v_and_b32_e32 v31, 0x8000, v31
	v_and_b32_e32 v30, 0xfc00, v30
	s_delay_alu instid0(VALU_DEP_1)
	v_or3_b32 v30, v31, v30, v13
.LBB237_71:                             ;   in Loop: Header=BB237_12 Depth=1
	s_or_b32 exec_lo, exec_lo, s43
.LBB237_72:                             ;   in Loop: Header=BB237_12 Depth=1
	s_delay_alu instid0(SALU_CYCLE_1)
	s_or_b32 exec_lo, exec_lo, s42
.LBB237_73:                             ;   in Loop: Header=BB237_12 Depth=1
	s_delay_alu instid0(SALU_CYCLE_1) | instskip(NEXT) | instid1(VALU_DEP_2)
	s_or_b32 exec_lo, exec_lo, s41
	v_lshrrev_b16 v12, 8, v12
	s_mov_b32 s41, exec_lo
	s_delay_alu instid0(VALU_DEP_1)
	v_cmpx_ne_u16_e32 0, v12
	s_cbranch_execz .LBB237_81
; %bb.74:                               ;   in Loop: Header=BB237_12 Depth=1
	v_bfrev_b32_e32 v29, 1
	s_mov_b32 s42, exec_lo
	v_cmpx_ne_u16_e32 0x80, v12
	s_cbranch_execz .LBB237_80
; %bb.75:                               ;   in Loop: Header=BB237_12 Depth=1
	v_and_b32_e32 v31, 0xffff, v12
	v_mov_b32_e32 v29, 0x7c010000
	s_mov_b32 s43, exec_lo
	s_delay_alu instid0(VALU_DEP_2) | instskip(NEXT) | instid1(VALU_DEP_1)
	v_and_b32_e32 v32, 0x7f, v31
	v_cmpx_ne_u32_e32 0x7f, v32
	s_cbranch_execz .LBB237_79
; %bb.76:                               ;   in Loop: Header=BB237_12 Depth=1
	v_dual_lshrrev_b32 v29, 3, v32 :: v_dual_bitop2_b32 v13, 7, v31 bitop3:0x40
	s_mov_b32 s44, exec_lo
	v_cmpx_gt_u32_e32 8, v32
	s_cbranch_execz .LBB237_78
; %bb.77:                               ;   in Loop: Header=BB237_12 Depth=1
	s_delay_alu instid0(VALU_DEP_2) | instskip(NEXT) | instid1(VALU_DEP_1)
	v_clz_i32_u32_e32 v13, v13
	v_min_u32_e32 v29, 32, v13
	v_mov_b32_e32 v13, v5
	s_delay_alu instid0(VALU_DEP_2) | instskip(SKIP_1) | instid1(VALU_DEP_2)
	v_subrev_nc_u32_e32 v32, 28, v29
	v_sub_nc_u32_e32 v29, 29, v29
	v_lshlrev_b64_e32 v[12:13], v32, v[12:13]
	s_delay_alu instid0(VALU_DEP_1)
	v_and_b32_e32 v13, 7, v12
.LBB237_78:                             ;   in Loop: Header=BB237_12 Depth=1
	s_or_b32 exec_lo, exec_lo, s44
	s_delay_alu instid0(VALU_DEP_1) | instskip(SKIP_1) | instid1(VALU_DEP_1)
	v_dual_lshlrev_b32 v12, 8, v31 :: v_dual_lshlrev_b32 v13, 23, v13
	v_lshl_add_u32 v29, v29, 10, 0x2000
	v_and_or_b32 v12, 0x8000, v12, v29
	s_delay_alu instid0(VALU_DEP_1)
	v_lshl_or_b32 v29, v12, 16, v13
.LBB237_79:                             ;   in Loop: Header=BB237_12 Depth=1
	s_or_b32 exec_lo, exec_lo, s43
.LBB237_80:                             ;   in Loop: Header=BB237_12 Depth=1
	s_delay_alu instid0(SALU_CYCLE_1)
	s_or_b32 exec_lo, exec_lo, s42
.LBB237_81:                             ;   in Loop: Header=BB237_12 Depth=1
	s_delay_alu instid0(SALU_CYCLE_1)
	s_or_b32 exec_lo, exec_lo, s41
	global_load_u16 v12, v[10:11], off offset:256
	v_dual_mov_b32 v31, 0 :: v_dual_mov_b32 v32, 0
	s_mov_b32 s41, exec_lo
	s_wait_loadcnt 0x0
	v_and_b32_e32 v13, 0xff, v12
	v_and_b32_e32 v12, 0xffff, v12
	s_delay_alu instid0(VALU_DEP_2)
	v_cmpx_ne_u16_e32 0, v13
	s_cbranch_execz .LBB237_89
; %bb.82:                               ;   in Loop: Header=BB237_12 Depth=1
	s_delay_alu instid0(VALU_DEP_2) | instskip(SKIP_2) | instid1(VALU_DEP_2)
	v_and_b32_e32 v13, 0xff, v12
	v_mov_b32_e32 v32, 0x8000
	s_mov_b32 s42, exec_lo
	v_cmpx_ne_u16_e32 0x80, v13
	s_cbranch_execz .LBB237_88
; %bb.83:                               ;   in Loop: Header=BB237_12 Depth=1
	v_and_b32_e32 v33, 0x7f, v12
	v_mov_b32_e32 v32, 0x7c01
	s_mov_b32 s43, exec_lo
	s_delay_alu instid0(VALU_DEP_2)
	v_cmpx_ne_u32_e32 0x7f, v33
	s_cbranch_execz .LBB237_87
; %bb.84:                               ;   in Loop: Header=BB237_12 Depth=1
	v_dual_lshrrev_b32 v32, 3, v33 :: v_dual_bitop2_b32 v13, 7, v12 bitop3:0x40
	s_mov_b32 s44, exec_lo
	v_cmpx_gt_u32_e32 8, v33
; %bb.85:                               ;   in Loop: Header=BB237_12 Depth=1
	s_delay_alu instid0(VALU_DEP_2) | instskip(NEXT) | instid1(VALU_DEP_1)
	v_clz_i32_u32_e32 v13, v13
	v_min_u32_e32 v13, 32, v13
	s_delay_alu instid0(VALU_DEP_1) | instskip(NEXT) | instid1(VALU_DEP_1)
	v_subrev_nc_u32_e32 v32, 28, v13
	v_lshlrev_b64_e32 v[34:35], v32, v[12:13]
	s_delay_alu instid0(VALU_DEP_1)
	v_dual_sub_nc_u32 v32, 29, v13 :: v_dual_bitop2_b32 v13, 7, v34 bitop3:0x40
; %bb.86:                               ;   in Loop: Header=BB237_12 Depth=1
	s_or_b32 exec_lo, exec_lo, s44
	s_delay_alu instid0(VALU_DEP_1) | instskip(NEXT) | instid1(VALU_DEP_2)
	v_dual_lshlrev_b32 v33, 8, v12 :: v_dual_lshlrev_b32 v13, 7, v13
	v_lshl_add_u32 v32, v32, 10, 0x2000
	s_delay_alu instid0(VALU_DEP_2) | instskip(NEXT) | instid1(VALU_DEP_2)
	v_and_b32_e32 v33, 0x8000, v33
	v_and_b32_e32 v32, 0xfc00, v32
	s_delay_alu instid0(VALU_DEP_1)
	v_or3_b32 v32, v33, v32, v13
.LBB237_87:                             ;   in Loop: Header=BB237_12 Depth=1
	s_or_b32 exec_lo, exec_lo, s43
.LBB237_88:                             ;   in Loop: Header=BB237_12 Depth=1
	s_delay_alu instid0(SALU_CYCLE_1)
	s_or_b32 exec_lo, exec_lo, s42
.LBB237_89:                             ;   in Loop: Header=BB237_12 Depth=1
	s_delay_alu instid0(SALU_CYCLE_1) | instskip(NEXT) | instid1(VALU_DEP_2)
	s_or_b32 exec_lo, exec_lo, s41
	v_lshrrev_b16 v12, 8, v12
	s_mov_b32 s41, exec_lo
	s_delay_alu instid0(VALU_DEP_1)
	v_cmpx_ne_u16_e32 0, v12
	s_cbranch_execz .LBB237_97
; %bb.90:                               ;   in Loop: Header=BB237_12 Depth=1
	v_bfrev_b32_e32 v31, 1
	s_mov_b32 s42, exec_lo
	v_cmpx_ne_u16_e32 0x80, v12
	s_cbranch_execz .LBB237_96
; %bb.91:                               ;   in Loop: Header=BB237_12 Depth=1
	v_and_b32_e32 v33, 0xffff, v12
	v_mov_b32_e32 v31, 0x7c010000
	s_mov_b32 s43, exec_lo
	s_delay_alu instid0(VALU_DEP_2) | instskip(NEXT) | instid1(VALU_DEP_1)
	v_and_b32_e32 v34, 0x7f, v33
	v_cmpx_ne_u32_e32 0x7f, v34
	s_cbranch_execz .LBB237_95
; %bb.92:                               ;   in Loop: Header=BB237_12 Depth=1
	v_dual_lshrrev_b32 v31, 3, v34 :: v_dual_bitop2_b32 v13, 7, v33 bitop3:0x40
	s_mov_b32 s44, exec_lo
	v_cmpx_gt_u32_e32 8, v34
	s_cbranch_execz .LBB237_94
; %bb.93:                               ;   in Loop: Header=BB237_12 Depth=1
	s_delay_alu instid0(VALU_DEP_2) | instskip(NEXT) | instid1(VALU_DEP_1)
	v_clz_i32_u32_e32 v13, v13
	v_min_u32_e32 v31, 32, v13
	v_mov_b32_e32 v13, v5
	s_delay_alu instid0(VALU_DEP_2) | instskip(SKIP_1) | instid1(VALU_DEP_2)
	v_subrev_nc_u32_e32 v34, 28, v31
	v_sub_nc_u32_e32 v31, 29, v31
	v_lshlrev_b64_e32 v[12:13], v34, v[12:13]
	s_delay_alu instid0(VALU_DEP_1)
	v_and_b32_e32 v13, 7, v12
.LBB237_94:                             ;   in Loop: Header=BB237_12 Depth=1
	s_or_b32 exec_lo, exec_lo, s44
	v_lshlrev_b32_e32 v12, 8, v33
	v_lshl_add_u32 v31, v31, 10, 0x2000
	s_delay_alu instid0(VALU_DEP_3) | instskip(NEXT) | instid1(VALU_DEP_2)
	v_lshlrev_b32_e32 v13, 23, v13
	v_and_or_b32 v12, 0x8000, v12, v31
	s_delay_alu instid0(VALU_DEP_1)
	v_lshl_or_b32 v31, v12, 16, v13
.LBB237_95:                             ;   in Loop: Header=BB237_12 Depth=1
	s_or_b32 exec_lo, exec_lo, s43
.LBB237_96:                             ;   in Loop: Header=BB237_12 Depth=1
	s_delay_alu instid0(SALU_CYCLE_1)
	s_or_b32 exec_lo, exec_lo, s42
.LBB237_97:                             ;   in Loop: Header=BB237_12 Depth=1
	s_delay_alu instid0(SALU_CYCLE_1)
	s_or_b32 exec_lo, exec_lo, s41
	global_load_u16 v12, v[10:11], off offset:264
	v_dual_mov_b32 v33, 0 :: v_dual_mov_b32 v34, 0
	s_mov_b32 s41, exec_lo
	s_wait_loadcnt 0x0
	v_and_b32_e32 v13, 0xff, v12
	v_and_b32_e32 v12, 0xffff, v12
	s_delay_alu instid0(VALU_DEP_2)
	v_cmpx_ne_u16_e32 0, v13
	s_cbranch_execz .LBB237_105
; %bb.98:                               ;   in Loop: Header=BB237_12 Depth=1
	s_delay_alu instid0(VALU_DEP_2) | instskip(SKIP_2) | instid1(VALU_DEP_2)
	v_and_b32_e32 v13, 0xff, v12
	v_mov_b32_e32 v34, 0x8000
	s_mov_b32 s42, exec_lo
	v_cmpx_ne_u16_e32 0x80, v13
	s_cbranch_execz .LBB237_104
; %bb.99:                               ;   in Loop: Header=BB237_12 Depth=1
	v_and_b32_e32 v35, 0x7f, v12
	v_mov_b32_e32 v34, 0x7c01
	s_mov_b32 s43, exec_lo
	s_delay_alu instid0(VALU_DEP_2)
	v_cmpx_ne_u32_e32 0x7f, v35
	s_cbranch_execz .LBB237_103
; %bb.100:                              ;   in Loop: Header=BB237_12 Depth=1
	v_dual_lshrrev_b32 v34, 3, v35 :: v_dual_bitop2_b32 v13, 7, v12 bitop3:0x40
	s_mov_b32 s44, exec_lo
	v_cmpx_gt_u32_e32 8, v35
; %bb.101:                              ;   in Loop: Header=BB237_12 Depth=1
	s_delay_alu instid0(VALU_DEP_2) | instskip(NEXT) | instid1(VALU_DEP_1)
	v_clz_i32_u32_e32 v13, v13
	v_min_u32_e32 v13, 32, v13
	s_delay_alu instid0(VALU_DEP_1) | instskip(NEXT) | instid1(VALU_DEP_1)
	v_subrev_nc_u32_e32 v34, 28, v13
	v_lshlrev_b64_e32 v[36:37], v34, v[12:13]
	s_delay_alu instid0(VALU_DEP_1)
	v_dual_sub_nc_u32 v34, 29, v13 :: v_dual_bitop2_b32 v13, 7, v36 bitop3:0x40
; %bb.102:                              ;   in Loop: Header=BB237_12 Depth=1
	s_or_b32 exec_lo, exec_lo, s44
	s_delay_alu instid0(VALU_DEP_1) | instskip(NEXT) | instid1(VALU_DEP_2)
	v_dual_lshlrev_b32 v35, 8, v12 :: v_dual_lshlrev_b32 v13, 7, v13
	v_lshl_add_u32 v34, v34, 10, 0x2000
	s_delay_alu instid0(VALU_DEP_2) | instskip(NEXT) | instid1(VALU_DEP_2)
	v_and_b32_e32 v35, 0x8000, v35
	v_and_b32_e32 v34, 0xfc00, v34
	s_delay_alu instid0(VALU_DEP_1)
	v_or3_b32 v34, v35, v34, v13
.LBB237_103:                            ;   in Loop: Header=BB237_12 Depth=1
	s_or_b32 exec_lo, exec_lo, s43
.LBB237_104:                            ;   in Loop: Header=BB237_12 Depth=1
	s_delay_alu instid0(SALU_CYCLE_1)
	s_or_b32 exec_lo, exec_lo, s42
.LBB237_105:                            ;   in Loop: Header=BB237_12 Depth=1
	s_delay_alu instid0(SALU_CYCLE_1) | instskip(NEXT) | instid1(VALU_DEP_2)
	s_or_b32 exec_lo, exec_lo, s41
	v_lshrrev_b16 v12, 8, v12
	s_mov_b32 s41, exec_lo
	s_delay_alu instid0(VALU_DEP_1)
	v_cmpx_ne_u16_e32 0, v12
	s_cbranch_execz .LBB237_113
; %bb.106:                              ;   in Loop: Header=BB237_12 Depth=1
	v_bfrev_b32_e32 v33, 1
	s_mov_b32 s42, exec_lo
	v_cmpx_ne_u16_e32 0x80, v12
	s_cbranch_execz .LBB237_112
; %bb.107:                              ;   in Loop: Header=BB237_12 Depth=1
	v_and_b32_e32 v35, 0xffff, v12
	v_mov_b32_e32 v33, 0x7c010000
	s_mov_b32 s43, exec_lo
	s_delay_alu instid0(VALU_DEP_2) | instskip(NEXT) | instid1(VALU_DEP_1)
	v_and_b32_e32 v36, 0x7f, v35
	v_cmpx_ne_u32_e32 0x7f, v36
	s_cbranch_execz .LBB237_111
; %bb.108:                              ;   in Loop: Header=BB237_12 Depth=1
	v_dual_lshrrev_b32 v33, 3, v36 :: v_dual_bitop2_b32 v13, 7, v35 bitop3:0x40
	s_mov_b32 s44, exec_lo
	v_cmpx_gt_u32_e32 8, v36
	s_cbranch_execz .LBB237_110
; %bb.109:                              ;   in Loop: Header=BB237_12 Depth=1
	s_delay_alu instid0(VALU_DEP_2) | instskip(NEXT) | instid1(VALU_DEP_1)
	v_clz_i32_u32_e32 v13, v13
	v_min_u32_e32 v33, 32, v13
	v_mov_b32_e32 v13, v5
	s_delay_alu instid0(VALU_DEP_2) | instskip(SKIP_1) | instid1(VALU_DEP_2)
	v_subrev_nc_u32_e32 v36, 28, v33
	v_sub_nc_u32_e32 v33, 29, v33
	v_lshlrev_b64_e32 v[12:13], v36, v[12:13]
	s_delay_alu instid0(VALU_DEP_1)
	v_and_b32_e32 v13, 7, v12
.LBB237_110:                            ;   in Loop: Header=BB237_12 Depth=1
	s_or_b32 exec_lo, exec_lo, s44
	s_delay_alu instid0(VALU_DEP_1) | instskip(SKIP_1) | instid1(VALU_DEP_1)
	v_dual_lshlrev_b32 v12, 8, v35 :: v_dual_lshlrev_b32 v13, 23, v13
	v_lshl_add_u32 v33, v33, 10, 0x2000
	v_and_or_b32 v12, 0x8000, v12, v33
	s_delay_alu instid0(VALU_DEP_1)
	v_lshl_or_b32 v33, v12, 16, v13
.LBB237_111:                            ;   in Loop: Header=BB237_12 Depth=1
	s_or_b32 exec_lo, exec_lo, s43
.LBB237_112:                            ;   in Loop: Header=BB237_12 Depth=1
	s_delay_alu instid0(SALU_CYCLE_1)
	s_or_b32 exec_lo, exec_lo, s42
.LBB237_113:                            ;   in Loop: Header=BB237_12 Depth=1
	s_delay_alu instid0(SALU_CYCLE_1)
	s_or_b32 exec_lo, exec_lo, s41
	global_load_u16 v12, v[10:11], off offset:384
	v_dual_mov_b32 v35, 0 :: v_dual_mov_b32 v36, 0
	s_mov_b32 s41, exec_lo
	s_wait_loadcnt 0x0
	v_and_b32_e32 v13, 0xff, v12
	v_and_b32_e32 v12, 0xffff, v12
	s_delay_alu instid0(VALU_DEP_2)
	v_cmpx_ne_u16_e32 0, v13
	s_cbranch_execz .LBB237_121
; %bb.114:                              ;   in Loop: Header=BB237_12 Depth=1
	s_delay_alu instid0(VALU_DEP_2) | instskip(SKIP_2) | instid1(VALU_DEP_2)
	v_and_b32_e32 v13, 0xff, v12
	v_mov_b32_e32 v36, 0x8000
	s_mov_b32 s42, exec_lo
	v_cmpx_ne_u16_e32 0x80, v13
	s_cbranch_execz .LBB237_120
; %bb.115:                              ;   in Loop: Header=BB237_12 Depth=1
	v_and_b32_e32 v37, 0x7f, v12
	v_mov_b32_e32 v36, 0x7c01
	s_mov_b32 s43, exec_lo
	s_delay_alu instid0(VALU_DEP_2)
	v_cmpx_ne_u32_e32 0x7f, v37
	s_cbranch_execz .LBB237_119
; %bb.116:                              ;   in Loop: Header=BB237_12 Depth=1
	v_dual_lshrrev_b32 v36, 3, v37 :: v_dual_bitop2_b32 v13, 7, v12 bitop3:0x40
	s_mov_b32 s44, exec_lo
	v_cmpx_gt_u32_e32 8, v37
; %bb.117:                              ;   in Loop: Header=BB237_12 Depth=1
	s_delay_alu instid0(VALU_DEP_2) | instskip(NEXT) | instid1(VALU_DEP_1)
	v_clz_i32_u32_e32 v13, v13
	v_min_u32_e32 v13, 32, v13
	s_delay_alu instid0(VALU_DEP_1) | instskip(NEXT) | instid1(VALU_DEP_1)
	v_subrev_nc_u32_e32 v36, 28, v13
	v_lshlrev_b64_e32 v[38:39], v36, v[12:13]
	s_delay_alu instid0(VALU_DEP_1)
	v_dual_sub_nc_u32 v36, 29, v13 :: v_dual_bitop2_b32 v13, 7, v38 bitop3:0x40
; %bb.118:                              ;   in Loop: Header=BB237_12 Depth=1
	s_or_b32 exec_lo, exec_lo, s44
	s_delay_alu instid0(VALU_DEP_1) | instskip(NEXT) | instid1(VALU_DEP_2)
	v_dual_lshlrev_b32 v37, 8, v12 :: v_dual_lshlrev_b32 v13, 7, v13
	v_lshl_add_u32 v36, v36, 10, 0x2000
	s_delay_alu instid0(VALU_DEP_2) | instskip(NEXT) | instid1(VALU_DEP_2)
	v_and_b32_e32 v37, 0x8000, v37
	v_and_b32_e32 v36, 0xfc00, v36
	s_delay_alu instid0(VALU_DEP_1)
	v_or3_b32 v36, v37, v36, v13
.LBB237_119:                            ;   in Loop: Header=BB237_12 Depth=1
	s_or_b32 exec_lo, exec_lo, s43
.LBB237_120:                            ;   in Loop: Header=BB237_12 Depth=1
	s_delay_alu instid0(SALU_CYCLE_1)
	s_or_b32 exec_lo, exec_lo, s42
.LBB237_121:                            ;   in Loop: Header=BB237_12 Depth=1
	s_delay_alu instid0(SALU_CYCLE_1) | instskip(NEXT) | instid1(VALU_DEP_2)
	s_or_b32 exec_lo, exec_lo, s41
	v_lshrrev_b16 v12, 8, v12
	s_mov_b32 s41, exec_lo
	s_delay_alu instid0(VALU_DEP_1)
	v_cmpx_ne_u16_e32 0, v12
	s_cbranch_execz .LBB237_129
; %bb.122:                              ;   in Loop: Header=BB237_12 Depth=1
	v_bfrev_b32_e32 v35, 1
	s_mov_b32 s42, exec_lo
	v_cmpx_ne_u16_e32 0x80, v12
	s_cbranch_execz .LBB237_128
; %bb.123:                              ;   in Loop: Header=BB237_12 Depth=1
	v_and_b32_e32 v37, 0xffff, v12
	v_mov_b32_e32 v35, 0x7c010000
	s_mov_b32 s43, exec_lo
	s_delay_alu instid0(VALU_DEP_2) | instskip(NEXT) | instid1(VALU_DEP_1)
	v_and_b32_e32 v38, 0x7f, v37
	v_cmpx_ne_u32_e32 0x7f, v38
	s_cbranch_execz .LBB237_127
; %bb.124:                              ;   in Loop: Header=BB237_12 Depth=1
	v_dual_lshrrev_b32 v35, 3, v38 :: v_dual_bitop2_b32 v13, 7, v37 bitop3:0x40
	s_mov_b32 s44, exec_lo
	v_cmpx_gt_u32_e32 8, v38
	s_cbranch_execz .LBB237_126
; %bb.125:                              ;   in Loop: Header=BB237_12 Depth=1
	s_delay_alu instid0(VALU_DEP_2) | instskip(NEXT) | instid1(VALU_DEP_1)
	v_clz_i32_u32_e32 v13, v13
	v_min_u32_e32 v35, 32, v13
	v_mov_b32_e32 v13, v5
	s_delay_alu instid0(VALU_DEP_2) | instskip(SKIP_1) | instid1(VALU_DEP_2)
	v_subrev_nc_u32_e32 v38, 28, v35
	v_sub_nc_u32_e32 v35, 29, v35
	v_lshlrev_b64_e32 v[12:13], v38, v[12:13]
	s_delay_alu instid0(VALU_DEP_1)
	v_and_b32_e32 v13, 7, v12
.LBB237_126:                            ;   in Loop: Header=BB237_12 Depth=1
	s_or_b32 exec_lo, exec_lo, s44
	v_lshlrev_b32_e32 v12, 8, v37
	v_lshl_add_u32 v35, v35, 10, 0x2000
	s_delay_alu instid0(VALU_DEP_3) | instskip(NEXT) | instid1(VALU_DEP_2)
	v_lshlrev_b32_e32 v13, 23, v13
	v_and_or_b32 v12, 0x8000, v12, v35
	s_delay_alu instid0(VALU_DEP_1)
	v_lshl_or_b32 v35, v12, 16, v13
.LBB237_127:                            ;   in Loop: Header=BB237_12 Depth=1
	s_or_b32 exec_lo, exec_lo, s43
.LBB237_128:                            ;   in Loop: Header=BB237_12 Depth=1
	s_delay_alu instid0(SALU_CYCLE_1)
	s_or_b32 exec_lo, exec_lo, s42
.LBB237_129:                            ;   in Loop: Header=BB237_12 Depth=1
	s_delay_alu instid0(SALU_CYCLE_1)
	s_or_b32 exec_lo, exec_lo, s41
	global_load_u16 v12, v[10:11], off offset:392
	v_dual_mov_b32 v37, 0 :: v_dual_mov_b32 v38, 0
	s_mov_b32 s41, exec_lo
	s_wait_loadcnt 0x0
	v_and_b32_e32 v13, 0xff, v12
	v_and_b32_e32 v12, 0xffff, v12
	s_delay_alu instid0(VALU_DEP_2)
	v_cmpx_ne_u16_e32 0, v13
	s_cbranch_execz .LBB237_137
; %bb.130:                              ;   in Loop: Header=BB237_12 Depth=1
	s_delay_alu instid0(VALU_DEP_2) | instskip(SKIP_2) | instid1(VALU_DEP_2)
	v_and_b32_e32 v13, 0xff, v12
	v_mov_b32_e32 v38, 0x8000
	s_mov_b32 s42, exec_lo
	v_cmpx_ne_u16_e32 0x80, v13
	s_cbranch_execz .LBB237_136
; %bb.131:                              ;   in Loop: Header=BB237_12 Depth=1
	v_and_b32_e32 v39, 0x7f, v12
	v_mov_b32_e32 v38, 0x7c01
	s_mov_b32 s43, exec_lo
	s_delay_alu instid0(VALU_DEP_2)
	v_cmpx_ne_u32_e32 0x7f, v39
	s_cbranch_execz .LBB237_135
; %bb.132:                              ;   in Loop: Header=BB237_12 Depth=1
	v_dual_lshrrev_b32 v38, 3, v39 :: v_dual_bitop2_b32 v13, 7, v12 bitop3:0x40
	s_mov_b32 s44, exec_lo
	v_cmpx_gt_u32_e32 8, v39
; %bb.133:                              ;   in Loop: Header=BB237_12 Depth=1
	s_delay_alu instid0(VALU_DEP_2) | instskip(NEXT) | instid1(VALU_DEP_1)
	v_clz_i32_u32_e32 v13, v13
	v_min_u32_e32 v13, 32, v13
	s_delay_alu instid0(VALU_DEP_1) | instskip(NEXT) | instid1(VALU_DEP_1)
	v_subrev_nc_u32_e32 v38, 28, v13
	v_lshlrev_b64_e32 v[40:41], v38, v[12:13]
	s_delay_alu instid0(VALU_DEP_1)
	v_dual_sub_nc_u32 v38, 29, v13 :: v_dual_bitop2_b32 v13, 7, v40 bitop3:0x40
; %bb.134:                              ;   in Loop: Header=BB237_12 Depth=1
	s_or_b32 exec_lo, exec_lo, s44
	s_delay_alu instid0(VALU_DEP_1) | instskip(NEXT) | instid1(VALU_DEP_2)
	v_dual_lshlrev_b32 v39, 8, v12 :: v_dual_lshlrev_b32 v13, 7, v13
	v_lshl_add_u32 v38, v38, 10, 0x2000
	s_delay_alu instid0(VALU_DEP_2) | instskip(NEXT) | instid1(VALU_DEP_2)
	v_and_b32_e32 v39, 0x8000, v39
	v_and_b32_e32 v38, 0xfc00, v38
	s_delay_alu instid0(VALU_DEP_1)
	v_or3_b32 v38, v39, v38, v13
.LBB237_135:                            ;   in Loop: Header=BB237_12 Depth=1
	s_or_b32 exec_lo, exec_lo, s43
.LBB237_136:                            ;   in Loop: Header=BB237_12 Depth=1
	s_delay_alu instid0(SALU_CYCLE_1)
	s_or_b32 exec_lo, exec_lo, s42
.LBB237_137:                            ;   in Loop: Header=BB237_12 Depth=1
	s_delay_alu instid0(SALU_CYCLE_1) | instskip(NEXT) | instid1(VALU_DEP_2)
	s_or_b32 exec_lo, exec_lo, s41
	v_lshrrev_b16 v12, 8, v12
	s_mov_b32 s41, exec_lo
	s_delay_alu instid0(VALU_DEP_1)
	v_cmpx_ne_u16_e32 0, v12
	s_cbranch_execz .LBB237_145
; %bb.138:                              ;   in Loop: Header=BB237_12 Depth=1
	v_bfrev_b32_e32 v37, 1
	s_mov_b32 s42, exec_lo
	v_cmpx_ne_u16_e32 0x80, v12
	s_cbranch_execz .LBB237_144
; %bb.139:                              ;   in Loop: Header=BB237_12 Depth=1
	v_and_b32_e32 v39, 0xffff, v12
	v_mov_b32_e32 v37, 0x7c010000
	s_mov_b32 s43, exec_lo
	s_delay_alu instid0(VALU_DEP_2) | instskip(NEXT) | instid1(VALU_DEP_1)
	v_and_b32_e32 v40, 0x7f, v39
	v_cmpx_ne_u32_e32 0x7f, v40
	s_cbranch_execz .LBB237_143
; %bb.140:                              ;   in Loop: Header=BB237_12 Depth=1
	v_dual_lshrrev_b32 v37, 3, v40 :: v_dual_bitop2_b32 v13, 7, v39 bitop3:0x40
	s_mov_b32 s44, exec_lo
	v_cmpx_gt_u32_e32 8, v40
	s_cbranch_execz .LBB237_142
; %bb.141:                              ;   in Loop: Header=BB237_12 Depth=1
	s_delay_alu instid0(VALU_DEP_2) | instskip(NEXT) | instid1(VALU_DEP_1)
	v_clz_i32_u32_e32 v13, v13
	v_min_u32_e32 v37, 32, v13
	v_mov_b32_e32 v13, v5
	s_delay_alu instid0(VALU_DEP_2) | instskip(SKIP_1) | instid1(VALU_DEP_2)
	v_subrev_nc_u32_e32 v40, 28, v37
	v_sub_nc_u32_e32 v37, 29, v37
	v_lshlrev_b64_e32 v[12:13], v40, v[12:13]
	s_delay_alu instid0(VALU_DEP_1)
	v_and_b32_e32 v13, 7, v12
.LBB237_142:                            ;   in Loop: Header=BB237_12 Depth=1
	s_or_b32 exec_lo, exec_lo, s44
	s_delay_alu instid0(VALU_DEP_1) | instskip(SKIP_1) | instid1(VALU_DEP_1)
	v_dual_lshlrev_b32 v12, 8, v39 :: v_dual_lshlrev_b32 v13, 23, v13
	v_lshl_add_u32 v37, v37, 10, 0x2000
	v_and_or_b32 v12, 0x8000, v12, v37
	s_delay_alu instid0(VALU_DEP_1)
	v_lshl_or_b32 v37, v12, 16, v13
.LBB237_143:                            ;   in Loop: Header=BB237_12 Depth=1
	s_or_b32 exec_lo, exec_lo, s43
.LBB237_144:                            ;   in Loop: Header=BB237_12 Depth=1
	s_delay_alu instid0(SALU_CYCLE_1)
	s_or_b32 exec_lo, exec_lo, s42
.LBB237_145:                            ;   in Loop: Header=BB237_12 Depth=1
	s_delay_alu instid0(SALU_CYCLE_1)
	s_or_b32 exec_lo, exec_lo, s41
	global_load_u16 v12, v[10:11], off offset:512
	v_dual_mov_b32 v39, 0 :: v_dual_mov_b32 v40, 0
	s_mov_b32 s41, exec_lo
	s_wait_loadcnt 0x0
	v_and_b32_e32 v13, 0xff, v12
	v_and_b32_e32 v12, 0xffff, v12
	s_delay_alu instid0(VALU_DEP_2)
	v_cmpx_ne_u16_e32 0, v13
	s_cbranch_execz .LBB237_153
; %bb.146:                              ;   in Loop: Header=BB237_12 Depth=1
	s_delay_alu instid0(VALU_DEP_2) | instskip(SKIP_2) | instid1(VALU_DEP_2)
	v_and_b32_e32 v13, 0xff, v12
	v_mov_b32_e32 v40, 0x8000
	s_mov_b32 s42, exec_lo
	v_cmpx_ne_u16_e32 0x80, v13
	s_cbranch_execz .LBB237_152
; %bb.147:                              ;   in Loop: Header=BB237_12 Depth=1
	v_and_b32_e32 v41, 0x7f, v12
	v_mov_b32_e32 v40, 0x7c01
	s_mov_b32 s43, exec_lo
	s_delay_alu instid0(VALU_DEP_2)
	v_cmpx_ne_u32_e32 0x7f, v41
	s_cbranch_execz .LBB237_151
; %bb.148:                              ;   in Loop: Header=BB237_12 Depth=1
	v_dual_lshrrev_b32 v40, 3, v41 :: v_dual_bitop2_b32 v13, 7, v12 bitop3:0x40
	s_mov_b32 s44, exec_lo
	v_cmpx_gt_u32_e32 8, v41
; %bb.149:                              ;   in Loop: Header=BB237_12 Depth=1
	s_delay_alu instid0(VALU_DEP_2) | instskip(NEXT) | instid1(VALU_DEP_1)
	v_clz_i32_u32_e32 v13, v13
	v_min_u32_e32 v13, 32, v13
	s_delay_alu instid0(VALU_DEP_1) | instskip(NEXT) | instid1(VALU_DEP_1)
	v_subrev_nc_u32_e32 v40, 28, v13
	v_lshlrev_b64_e32 v[42:43], v40, v[12:13]
	s_delay_alu instid0(VALU_DEP_1)
	v_dual_sub_nc_u32 v40, 29, v13 :: v_dual_bitop2_b32 v13, 7, v42 bitop3:0x40
; %bb.150:                              ;   in Loop: Header=BB237_12 Depth=1
	s_or_b32 exec_lo, exec_lo, s44
	s_delay_alu instid0(VALU_DEP_1) | instskip(NEXT) | instid1(VALU_DEP_2)
	v_dual_lshlrev_b32 v41, 8, v12 :: v_dual_lshlrev_b32 v13, 7, v13
	v_lshl_add_u32 v40, v40, 10, 0x2000
	s_delay_alu instid0(VALU_DEP_2) | instskip(NEXT) | instid1(VALU_DEP_2)
	v_and_b32_e32 v41, 0x8000, v41
	v_and_b32_e32 v40, 0xfc00, v40
	s_delay_alu instid0(VALU_DEP_1)
	v_or3_b32 v40, v41, v40, v13
.LBB237_151:                            ;   in Loop: Header=BB237_12 Depth=1
	s_or_b32 exec_lo, exec_lo, s43
.LBB237_152:                            ;   in Loop: Header=BB237_12 Depth=1
	s_delay_alu instid0(SALU_CYCLE_1)
	s_or_b32 exec_lo, exec_lo, s42
.LBB237_153:                            ;   in Loop: Header=BB237_12 Depth=1
	s_delay_alu instid0(SALU_CYCLE_1) | instskip(NEXT) | instid1(VALU_DEP_2)
	s_or_b32 exec_lo, exec_lo, s41
	v_lshrrev_b16 v12, 8, v12
	s_mov_b32 s41, exec_lo
	s_delay_alu instid0(VALU_DEP_1)
	v_cmpx_ne_u16_e32 0, v12
	s_cbranch_execz .LBB237_161
; %bb.154:                              ;   in Loop: Header=BB237_12 Depth=1
	v_bfrev_b32_e32 v39, 1
	s_mov_b32 s42, exec_lo
	v_cmpx_ne_u16_e32 0x80, v12
	s_cbranch_execz .LBB237_160
; %bb.155:                              ;   in Loop: Header=BB237_12 Depth=1
	v_and_b32_e32 v41, 0xffff, v12
	v_mov_b32_e32 v39, 0x7c010000
	s_mov_b32 s43, exec_lo
	s_delay_alu instid0(VALU_DEP_2) | instskip(NEXT) | instid1(VALU_DEP_1)
	v_and_b32_e32 v42, 0x7f, v41
	v_cmpx_ne_u32_e32 0x7f, v42
	s_cbranch_execz .LBB237_159
; %bb.156:                              ;   in Loop: Header=BB237_12 Depth=1
	v_dual_lshrrev_b32 v39, 3, v42 :: v_dual_bitop2_b32 v13, 7, v41 bitop3:0x40
	s_mov_b32 s44, exec_lo
	v_cmpx_gt_u32_e32 8, v42
	s_cbranch_execz .LBB237_158
; %bb.157:                              ;   in Loop: Header=BB237_12 Depth=1
	s_delay_alu instid0(VALU_DEP_2) | instskip(NEXT) | instid1(VALU_DEP_1)
	v_clz_i32_u32_e32 v13, v13
	v_min_u32_e32 v39, 32, v13
	v_mov_b32_e32 v13, v5
	s_delay_alu instid0(VALU_DEP_2) | instskip(SKIP_1) | instid1(VALU_DEP_2)
	v_subrev_nc_u32_e32 v42, 28, v39
	v_sub_nc_u32_e32 v39, 29, v39
	v_lshlrev_b64_e32 v[12:13], v42, v[12:13]
	s_delay_alu instid0(VALU_DEP_1)
	v_and_b32_e32 v13, 7, v12
.LBB237_158:                            ;   in Loop: Header=BB237_12 Depth=1
	s_or_b32 exec_lo, exec_lo, s44
	v_lshlrev_b32_e32 v12, 8, v41
	v_lshl_add_u32 v39, v39, 10, 0x2000
	s_delay_alu instid0(VALU_DEP_3) | instskip(NEXT) | instid1(VALU_DEP_2)
	v_lshlrev_b32_e32 v13, 23, v13
	v_and_or_b32 v12, 0x8000, v12, v39
	s_delay_alu instid0(VALU_DEP_1)
	v_lshl_or_b32 v39, v12, 16, v13
.LBB237_159:                            ;   in Loop: Header=BB237_12 Depth=1
	s_or_b32 exec_lo, exec_lo, s43
.LBB237_160:                            ;   in Loop: Header=BB237_12 Depth=1
	s_delay_alu instid0(SALU_CYCLE_1)
	s_or_b32 exec_lo, exec_lo, s42
.LBB237_161:                            ;   in Loop: Header=BB237_12 Depth=1
	s_delay_alu instid0(SALU_CYCLE_1)
	s_or_b32 exec_lo, exec_lo, s41
	global_load_u16 v12, v[10:11], off offset:520
	v_dual_mov_b32 v41, 0 :: v_dual_mov_b32 v42, 0
	s_mov_b32 s41, exec_lo
	s_wait_loadcnt 0x0
	v_and_b32_e32 v13, 0xff, v12
	v_and_b32_e32 v12, 0xffff, v12
	s_delay_alu instid0(VALU_DEP_2)
	v_cmpx_ne_u16_e32 0, v13
	s_cbranch_execz .LBB237_169
; %bb.162:                              ;   in Loop: Header=BB237_12 Depth=1
	s_delay_alu instid0(VALU_DEP_2) | instskip(SKIP_2) | instid1(VALU_DEP_2)
	v_and_b32_e32 v13, 0xff, v12
	v_mov_b32_e32 v42, 0x8000
	s_mov_b32 s42, exec_lo
	v_cmpx_ne_u16_e32 0x80, v13
	s_cbranch_execz .LBB237_168
; %bb.163:                              ;   in Loop: Header=BB237_12 Depth=1
	v_and_b32_e32 v43, 0x7f, v12
	v_mov_b32_e32 v42, 0x7c01
	s_mov_b32 s43, exec_lo
	s_delay_alu instid0(VALU_DEP_2)
	v_cmpx_ne_u32_e32 0x7f, v43
	s_cbranch_execz .LBB237_167
; %bb.164:                              ;   in Loop: Header=BB237_12 Depth=1
	v_dual_lshrrev_b32 v42, 3, v43 :: v_dual_bitop2_b32 v13, 7, v12 bitop3:0x40
	s_mov_b32 s44, exec_lo
	v_cmpx_gt_u32_e32 8, v43
; %bb.165:                              ;   in Loop: Header=BB237_12 Depth=1
	s_delay_alu instid0(VALU_DEP_2) | instskip(NEXT) | instid1(VALU_DEP_1)
	v_clz_i32_u32_e32 v13, v13
	v_min_u32_e32 v13, 32, v13
	s_delay_alu instid0(VALU_DEP_1) | instskip(NEXT) | instid1(VALU_DEP_1)
	v_subrev_nc_u32_e32 v42, 28, v13
	v_lshlrev_b64_e32 v[44:45], v42, v[12:13]
	s_delay_alu instid0(VALU_DEP_1)
	v_dual_sub_nc_u32 v42, 29, v13 :: v_dual_bitop2_b32 v13, 7, v44 bitop3:0x40
; %bb.166:                              ;   in Loop: Header=BB237_12 Depth=1
	s_or_b32 exec_lo, exec_lo, s44
	s_delay_alu instid0(VALU_DEP_1) | instskip(NEXT) | instid1(VALU_DEP_2)
	v_dual_lshlrev_b32 v43, 8, v12 :: v_dual_lshlrev_b32 v13, 7, v13
	v_lshl_add_u32 v42, v42, 10, 0x2000
	s_delay_alu instid0(VALU_DEP_2) | instskip(NEXT) | instid1(VALU_DEP_2)
	v_and_b32_e32 v43, 0x8000, v43
	v_and_b32_e32 v42, 0xfc00, v42
	s_delay_alu instid0(VALU_DEP_1)
	v_or3_b32 v42, v43, v42, v13
.LBB237_167:                            ;   in Loop: Header=BB237_12 Depth=1
	s_or_b32 exec_lo, exec_lo, s43
.LBB237_168:                            ;   in Loop: Header=BB237_12 Depth=1
	s_delay_alu instid0(SALU_CYCLE_1)
	s_or_b32 exec_lo, exec_lo, s42
.LBB237_169:                            ;   in Loop: Header=BB237_12 Depth=1
	s_delay_alu instid0(SALU_CYCLE_1) | instskip(NEXT) | instid1(VALU_DEP_2)
	s_or_b32 exec_lo, exec_lo, s41
	v_lshrrev_b16 v12, 8, v12
	s_mov_b32 s41, exec_lo
	s_delay_alu instid0(VALU_DEP_1)
	v_cmpx_ne_u16_e32 0, v12
	s_cbranch_execz .LBB237_177
; %bb.170:                              ;   in Loop: Header=BB237_12 Depth=1
	v_bfrev_b32_e32 v41, 1
	s_mov_b32 s42, exec_lo
	v_cmpx_ne_u16_e32 0x80, v12
	s_cbranch_execz .LBB237_176
; %bb.171:                              ;   in Loop: Header=BB237_12 Depth=1
	v_and_b32_e32 v43, 0xffff, v12
	v_mov_b32_e32 v41, 0x7c010000
	s_mov_b32 s43, exec_lo
	s_delay_alu instid0(VALU_DEP_2) | instskip(NEXT) | instid1(VALU_DEP_1)
	v_and_b32_e32 v44, 0x7f, v43
	v_cmpx_ne_u32_e32 0x7f, v44
	s_cbranch_execz .LBB237_175
; %bb.172:                              ;   in Loop: Header=BB237_12 Depth=1
	v_dual_lshrrev_b32 v41, 3, v44 :: v_dual_bitop2_b32 v13, 7, v43 bitop3:0x40
	s_mov_b32 s44, exec_lo
	v_cmpx_gt_u32_e32 8, v44
	s_cbranch_execz .LBB237_174
; %bb.173:                              ;   in Loop: Header=BB237_12 Depth=1
	s_delay_alu instid0(VALU_DEP_2) | instskip(NEXT) | instid1(VALU_DEP_1)
	v_clz_i32_u32_e32 v13, v13
	v_min_u32_e32 v41, 32, v13
	v_mov_b32_e32 v13, v5
	s_delay_alu instid0(VALU_DEP_2) | instskip(SKIP_1) | instid1(VALU_DEP_2)
	v_subrev_nc_u32_e32 v44, 28, v41
	v_sub_nc_u32_e32 v41, 29, v41
	v_lshlrev_b64_e32 v[12:13], v44, v[12:13]
	s_delay_alu instid0(VALU_DEP_1)
	v_and_b32_e32 v13, 7, v12
.LBB237_174:                            ;   in Loop: Header=BB237_12 Depth=1
	s_or_b32 exec_lo, exec_lo, s44
	s_delay_alu instid0(VALU_DEP_1) | instskip(SKIP_1) | instid1(VALU_DEP_1)
	v_dual_lshlrev_b32 v12, 8, v43 :: v_dual_lshlrev_b32 v13, 23, v13
	v_lshl_add_u32 v41, v41, 10, 0x2000
	v_and_or_b32 v12, 0x8000, v12, v41
	s_delay_alu instid0(VALU_DEP_1)
	v_lshl_or_b32 v41, v12, 16, v13
.LBB237_175:                            ;   in Loop: Header=BB237_12 Depth=1
	s_or_b32 exec_lo, exec_lo, s43
.LBB237_176:                            ;   in Loop: Header=BB237_12 Depth=1
	s_delay_alu instid0(SALU_CYCLE_1)
	s_or_b32 exec_lo, exec_lo, s42
.LBB237_177:                            ;   in Loop: Header=BB237_12 Depth=1
	s_delay_alu instid0(SALU_CYCLE_1)
	s_or_b32 exec_lo, exec_lo, s41
	global_load_u16 v12, v[10:11], off offset:640
	v_mov_b32_e32 v13, 0
	s_wait_loadcnt 0x0
	v_and_b32_e32 v43, 0xff, v12
	v_and_b32_e32 v12, 0xffff, v12
	s_delay_alu instid0(VALU_DEP_2)
	v_cmp_ne_u16_e64 s4, 0, v43
	v_mov_b32_e32 v43, 0
	s_and_saveexec_b32 s41, s4
	s_cbranch_execz .LBB237_185
; %bb.178:                              ;   in Loop: Header=BB237_12 Depth=1
	v_and_b32_e32 v43, 0xff, v12
	s_delay_alu instid0(VALU_DEP_1)
	v_cmp_ne_u16_e64 s4, 0x80, v43
	v_mov_b32_e32 v43, 0x8000
	s_and_saveexec_b32 s42, s4
	s_cbranch_execz .LBB237_184
; %bb.179:                              ;   in Loop: Header=BB237_12 Depth=1
	v_and_b32_e32 v45, 0x7f, v12
	v_mov_b32_e32 v43, 0x7c01
	s_mov_b32 s43, exec_lo
	s_delay_alu instid0(VALU_DEP_2)
	v_cmpx_ne_u32_e32 0x7f, v45
	s_cbranch_execz .LBB237_183
; %bb.180:                              ;   in Loop: Header=BB237_12 Depth=1
	v_dual_lshrrev_b32 v44, 3, v45 :: v_dual_bitop2_b32 v43, 7, v12 bitop3:0x40
	s_mov_b32 s44, exec_lo
	v_cmpx_gt_u32_e32 8, v45
; %bb.181:                              ;   in Loop: Header=BB237_12 Depth=1
	s_delay_alu instid0(VALU_DEP_2) | instskip(NEXT) | instid1(VALU_DEP_1)
	v_clz_i32_u32_e32 v43, v43
	v_min_u32_e32 v43, 32, v43
	s_delay_alu instid0(VALU_DEP_1) | instskip(NEXT) | instid1(VALU_DEP_1)
	v_subrev_nc_u32_e32 v44, 28, v43
	v_lshlrev_b64_e32 v[46:47], v44, v[12:13]
	s_delay_alu instid0(VALU_DEP_1)
	v_dual_sub_nc_u32 v44, 29, v43 :: v_dual_bitop2_b32 v43, 7, v46 bitop3:0x40
; %bb.182:                              ;   in Loop: Header=BB237_12 Depth=1
	s_or_b32 exec_lo, exec_lo, s44
	s_delay_alu instid0(VALU_DEP_1) | instskip(NEXT) | instid1(VALU_DEP_2)
	v_dual_lshlrev_b32 v45, 8, v12 :: v_dual_lshlrev_b32 v43, 7, v43
	v_lshl_add_u32 v44, v44, 10, 0x2000
	s_delay_alu instid0(VALU_DEP_2) | instskip(NEXT) | instid1(VALU_DEP_2)
	v_and_b32_e32 v45, 0x8000, v45
	v_and_b32_e32 v44, 0xfc00, v44
	s_delay_alu instid0(VALU_DEP_1)
	v_or3_b32 v43, v45, v44, v43
.LBB237_183:                            ;   in Loop: Header=BB237_12 Depth=1
	s_or_b32 exec_lo, exec_lo, s43
.LBB237_184:                            ;   in Loop: Header=BB237_12 Depth=1
	s_delay_alu instid0(SALU_CYCLE_1)
	s_or_b32 exec_lo, exec_lo, s42
.LBB237_185:                            ;   in Loop: Header=BB237_12 Depth=1
	s_delay_alu instid0(SALU_CYCLE_1) | instskip(SKIP_2) | instid1(VALU_DEP_1)
	s_or_b32 exec_lo, exec_lo, s41
	v_lshrrev_b16 v12, 8, v12
	s_mov_b32 s41, exec_lo
	v_cmpx_ne_u16_e32 0, v12
	s_cbranch_execz .LBB237_193
; %bb.186:                              ;   in Loop: Header=BB237_12 Depth=1
	v_bfrev_b32_e32 v13, 1
	s_mov_b32 s42, exec_lo
	v_cmpx_ne_u16_e32 0x80, v12
	s_cbranch_execz .LBB237_192
; %bb.187:                              ;   in Loop: Header=BB237_12 Depth=1
	v_and_b32_e32 v44, 0xffff, v12
	v_mov_b32_e32 v13, 0x7c010000
	s_mov_b32 s43, exec_lo
	s_delay_alu instid0(VALU_DEP_2) | instskip(NEXT) | instid1(VALU_DEP_1)
	v_and_b32_e32 v46, 0x7f, v44
	v_cmpx_ne_u32_e32 0x7f, v46
	s_cbranch_execz .LBB237_191
; %bb.188:                              ;   in Loop: Header=BB237_12 Depth=1
	v_dual_lshrrev_b32 v45, 3, v46 :: v_dual_bitop2_b32 v13, 7, v44 bitop3:0x40
	s_mov_b32 s44, exec_lo
	v_cmpx_gt_u32_e32 8, v46
	s_cbranch_execz .LBB237_190
; %bb.189:                              ;   in Loop: Header=BB237_12 Depth=1
	s_delay_alu instid0(VALU_DEP_2) | instskip(NEXT) | instid1(VALU_DEP_1)
	v_clz_i32_u32_e32 v13, v13
	v_min_u32_e32 v45, 32, v13
	v_mov_b32_e32 v13, v5
	s_delay_alu instid0(VALU_DEP_2) | instskip(SKIP_1) | instid1(VALU_DEP_2)
	v_subrev_nc_u32_e32 v46, 28, v45
	v_sub_nc_u32_e32 v45, 29, v45
	v_lshlrev_b64_e32 v[12:13], v46, v[12:13]
	s_delay_alu instid0(VALU_DEP_1)
	v_and_b32_e32 v13, 7, v12
.LBB237_190:                            ;   in Loop: Header=BB237_12 Depth=1
	s_or_b32 exec_lo, exec_lo, s44
	s_delay_alu instid0(VALU_DEP_1) | instskip(SKIP_1) | instid1(VALU_DEP_1)
	v_dual_lshlrev_b32 v12, 8, v44 :: v_dual_lshlrev_b32 v13, 23, v13
	v_lshl_add_u32 v44, v45, 10, 0x2000
	v_and_or_b32 v12, 0x8000, v12, v44
	s_delay_alu instid0(VALU_DEP_1)
	v_lshl_or_b32 v13, v12, 16, v13
.LBB237_191:                            ;   in Loop: Header=BB237_12 Depth=1
	s_or_b32 exec_lo, exec_lo, s43
.LBB237_192:                            ;   in Loop: Header=BB237_12 Depth=1
	s_delay_alu instid0(SALU_CYCLE_1)
	s_or_b32 exec_lo, exec_lo, s42
.LBB237_193:                            ;   in Loop: Header=BB237_12 Depth=1
	s_delay_alu instid0(SALU_CYCLE_1)
	s_or_b32 exec_lo, exec_lo, s41
	global_load_u16 v10, v[10:11], off offset:648
	s_wait_xcnt 0x0
	v_mov_b32_e32 v11, 0
	s_wait_loadcnt 0x0
	v_and_b32_e32 v12, 0xff, v10
	v_and_b32_e32 v10, 0xffff, v10
	s_delay_alu instid0(VALU_DEP_2)
	v_cmp_ne_u16_e64 s4, 0, v12
	v_mov_b32_e32 v12, 0
	s_and_saveexec_b32 s41, s4
	s_cbranch_execz .LBB237_201
; %bb.194:                              ;   in Loop: Header=BB237_12 Depth=1
	v_and_b32_e32 v12, 0xff, v10
	s_delay_alu instid0(VALU_DEP_1)
	v_cmp_ne_u16_e64 s4, 0x80, v12
	v_mov_b32_e32 v12, 0x8000
	s_and_saveexec_b32 s42, s4
	s_cbranch_execz .LBB237_200
; %bb.195:                              ;   in Loop: Header=BB237_12 Depth=1
	v_and_b32_e32 v45, 0x7f, v10
	v_mov_b32_e32 v12, 0x7c01
	s_mov_b32 s43, exec_lo
	s_delay_alu instid0(VALU_DEP_2)
	v_cmpx_ne_u32_e32 0x7f, v45
	s_cbranch_execz .LBB237_199
; %bb.196:                              ;   in Loop: Header=BB237_12 Depth=1
	v_dual_lshrrev_b32 v44, 3, v45 :: v_dual_bitop2_b32 v12, 7, v10 bitop3:0x40
	s_mov_b32 s44, exec_lo
	v_cmpx_gt_u32_e32 8, v45
; %bb.197:                              ;   in Loop: Header=BB237_12 Depth=1
	s_delay_alu instid0(VALU_DEP_2) | instskip(NEXT) | instid1(VALU_DEP_1)
	v_clz_i32_u32_e32 v12, v12
	v_min_u32_e32 v12, 32, v12
	s_delay_alu instid0(VALU_DEP_1) | instskip(NEXT) | instid1(VALU_DEP_1)
	v_subrev_nc_u32_e32 v44, 28, v12
	v_lshlrev_b64_e32 v[46:47], v44, v[10:11]
	s_delay_alu instid0(VALU_DEP_1)
	v_dual_sub_nc_u32 v44, 29, v12 :: v_dual_bitop2_b32 v12, 7, v46 bitop3:0x40
; %bb.198:                              ;   in Loop: Header=BB237_12 Depth=1
	s_or_b32 exec_lo, exec_lo, s44
	s_delay_alu instid0(VALU_DEP_1) | instskip(NEXT) | instid1(VALU_DEP_2)
	v_dual_lshlrev_b32 v45, 8, v10 :: v_dual_lshlrev_b32 v12, 7, v12
	v_lshl_add_u32 v44, v44, 10, 0x2000
	s_delay_alu instid0(VALU_DEP_2) | instskip(NEXT) | instid1(VALU_DEP_2)
	v_and_b32_e32 v45, 0x8000, v45
	v_and_b32_e32 v44, 0xfc00, v44
	s_delay_alu instid0(VALU_DEP_1)
	v_or3_b32 v12, v45, v44, v12
.LBB237_199:                            ;   in Loop: Header=BB237_12 Depth=1
	s_or_b32 exec_lo, exec_lo, s43
.LBB237_200:                            ;   in Loop: Header=BB237_12 Depth=1
	s_delay_alu instid0(SALU_CYCLE_1)
	s_or_b32 exec_lo, exec_lo, s42
.LBB237_201:                            ;   in Loop: Header=BB237_12 Depth=1
	s_delay_alu instid0(SALU_CYCLE_1) | instskip(SKIP_2) | instid1(VALU_DEP_1)
	s_or_b32 exec_lo, exec_lo, s41
	v_lshrrev_b16 v10, 8, v10
	s_mov_b32 s41, exec_lo
	v_cmpx_ne_u16_e32 0, v10
	s_cbranch_execz .LBB237_209
; %bb.202:                              ;   in Loop: Header=BB237_12 Depth=1
	v_bfrev_b32_e32 v11, 1
	s_mov_b32 s42, exec_lo
	v_cmpx_ne_u16_e32 0x80, v10
	s_cbranch_execz .LBB237_208
; %bb.203:                              ;   in Loop: Header=BB237_12 Depth=1
	v_and_b32_e32 v44, 0xffff, v10
	v_mov_b32_e32 v11, 0x7c010000
	s_mov_b32 s43, exec_lo
	s_delay_alu instid0(VALU_DEP_2) | instskip(NEXT) | instid1(VALU_DEP_1)
	v_and_b32_e32 v46, 0x7f, v44
	v_cmpx_ne_u32_e32 0x7f, v46
	s_cbranch_execz .LBB237_207
; %bb.204:                              ;   in Loop: Header=BB237_12 Depth=1
	v_dual_lshrrev_b32 v45, 3, v46 :: v_dual_bitop2_b32 v11, 7, v44 bitop3:0x40
	s_mov_b32 s44, exec_lo
	v_cmpx_gt_u32_e32 8, v46
	s_cbranch_execz .LBB237_206
; %bb.205:                              ;   in Loop: Header=BB237_12 Depth=1
	s_delay_alu instid0(VALU_DEP_2) | instskip(NEXT) | instid1(VALU_DEP_1)
	v_clz_i32_u32_e32 v11, v11
	v_min_u32_e32 v45, 32, v11
	v_mov_b32_e32 v11, v5
	s_delay_alu instid0(VALU_DEP_2) | instskip(SKIP_1) | instid1(VALU_DEP_2)
	v_subrev_nc_u32_e32 v46, 28, v45
	v_sub_nc_u32_e32 v45, 29, v45
	v_lshlrev_b64_e32 v[10:11], v46, v[10:11]
	s_delay_alu instid0(VALU_DEP_1)
	v_and_b32_e32 v11, 7, v10
.LBB237_206:                            ;   in Loop: Header=BB237_12 Depth=1
	s_or_b32 exec_lo, exec_lo, s44
	s_delay_alu instid0(VALU_DEP_1) | instskip(SKIP_1) | instid1(VALU_DEP_1)
	v_dual_lshlrev_b32 v10, 8, v44 :: v_dual_lshlrev_b32 v11, 23, v11
	v_lshl_add_u32 v44, v45, 10, 0x2000
	v_and_or_b32 v10, 0x8000, v10, v44
	s_delay_alu instid0(VALU_DEP_1)
	v_lshl_or_b32 v11, v10, 16, v11
.LBB237_207:                            ;   in Loop: Header=BB237_12 Depth=1
	s_or_b32 exec_lo, exec_lo, s43
.LBB237_208:                            ;   in Loop: Header=BB237_12 Depth=1
	s_delay_alu instid0(SALU_CYCLE_1)
	s_or_b32 exec_lo, exec_lo, s42
.LBB237_209:                            ;   in Loop: Header=BB237_12 Depth=1
	s_delay_alu instid0(SALU_CYCLE_1)
	s_or_b32 exec_lo, exec_lo, s41
	ds_load_b32 v10, v15
	v_or_b32_e32 v24, v22, v24
	v_fma_mixlo_f16 v22, v21, v22, 0 op_sel:[0,1,0] op_sel_hi:[0,1,0]
	v_or_b32_e32 v12, v11, v12
	v_fma_mixlo_f16 v11, v21, v11, 0 op_sel:[0,1,0] op_sel_hi:[0,1,0]
	s_delay_alu instid0(VALU_DEP_3) | instskip(NEXT) | instid1(VALU_DEP_3)
	v_and_b32_e32 v22, 0xffff, v22
	v_fma_mixlo_f16 v12, v21, v12, 0 op_sel_hi:[0,1,0]
	s_delay_alu instid0(VALU_DEP_1)
	v_and_b32_e32 v12, 0xffff, v12
	s_wait_dscnt 0x0
	v_and_b32_e32 v44, 0xffff, v10
	v_lshrrev_b32_e32 v10, 16, v10
	v_fma_mixlo_f16 v24, v21, v24, 0 op_sel_hi:[0,1,0]
	;;#ASMSTART
	v_cvt_f32_f16 v44, v44;
	;;#ASMEND
	;;#ASMSTART
	v_cvt_f32_f16 v45, v10;
	;;#ASMEND
	s_delay_alu instid0(VALU_DEP_1)
	v_and_b32_e32 v24, 0xffff, v24
	;;#ASMSTART
	v_cvt_f32_f16 v46, v24;
	;;#ASMEND
	;;#ASMSTART
	v_cvt_f32_f16 v47, v22;
	;;#ASMEND
	ds_load_b32 v10, v15 offset:4
	v_or_b32_e32 v22, v25, v26
	v_fma_mixlo_f16 v24, v21, v25, 0 op_sel:[0,1,0] op_sel_hi:[0,1,0]
	s_delay_alu instid0(VALU_DEP_2) | instskip(NEXT) | instid1(VALU_DEP_2)
	v_fma_mixlo_f16 v22, v21, v22, 0 op_sel_hi:[0,1,0]
	v_and_b32_e32 v24, 0xffff, v24
	s_delay_alu instid0(VALU_DEP_2)
	v_and_b32_e32 v22, 0xffff, v22
	s_wait_dscnt 0x0
	v_and_b32_e32 v25, 0xffff, v10
	v_lshrrev_b32_e32 v10, 16, v10
	;;#ASMSTART
	v_cvt_f32_f16 v25, v25;
	;;#ASMEND
	;;#ASMSTART
	v_cvt_f32_f16 v26, v10;
	;;#ASMEND
	;;#ASMSTART
	v_cvt_f32_f16 v48, v22;
	;;#ASMEND
	;;#ASMSTART
	v_cvt_f32_f16 v49, v24;
	;;#ASMEND
	ds_load_b32 v10, v15 offset:8
	v_or_b32_e32 v22, v27, v28
	v_fma_mixlo_f16 v24, v21, v27, 0 op_sel:[0,1,0] op_sel_hi:[0,1,0]
	s_delay_alu instid0(VALU_DEP_2) | instskip(NEXT) | instid1(VALU_DEP_2)
	v_fma_mixlo_f16 v22, v21, v22, 0 op_sel_hi:[0,1,0]
	v_and_b32_e32 v24, 0xffff, v24
	s_delay_alu instid0(VALU_DEP_2)
	v_and_b32_e32 v22, 0xffff, v22
	s_wait_dscnt 0x0
	v_and_b32_e32 v27, 0xffff, v10
	v_lshrrev_b32_e32 v10, 16, v10
	;;#ASMSTART
	v_cvt_f32_f16 v27, v27;
	;;#ASMEND
	;;#ASMSTART
	v_cvt_f32_f16 v28, v10;
	;;#ASMEND
	;; [unrolled: 23-line block ×8, first 2 shown]
	;;#ASMSTART
	v_cvt_f32_f16 v62, v22;
	;;#ASMEND
	v_or_b32_e32 v22, v41, v42
	;;#ASMSTART
	v_cvt_f32_f16 v63, v24;
	;;#ASMEND
	ds_load_b32 v10, v15 offset:36
	v_fma_mixlo_f16 v24, v21, v41, 0 op_sel:[0,1,0] op_sel_hi:[0,1,0]
	v_fma_mixlo_f16 v22, v21, v22, 0 op_sel_hi:[0,1,0]
	s_delay_alu instid0(VALU_DEP_2) | instskip(NEXT) | instid1(VALU_DEP_2)
	v_and_b32_e32 v24, 0xffff, v24
	v_and_b32_e32 v64, 0xffff, v22
	v_mul_f32_e32 v22, v26, v49
	s_delay_alu instid0(VALU_DEP_1) | instskip(NEXT) | instid1(VALU_DEP_1)
	v_fmac_f32_e32 v22, v45, v47
	v_fmac_f32_e32 v22, v28, v51
	s_wait_dscnt 0x0
	v_and_b32_e32 v41, 0xffff, v10
	v_dual_lshrrev_b32 v42, 16, v10 :: v_dual_mul_f32 v10, v25, v48
	;;#ASMSTART
	v_cvt_f32_f16 v26, v41;
	;;#ASMEND
	v_fmac_f32_e32 v22, v30, v53
	;;#ASMSTART
	v_cvt_f32_f16 v41, v42;
	;;#ASMEND
	;;#ASMSTART
	v_cvt_f32_f16 v42, v64;
	;;#ASMEND
	;;#ASMSTART
	v_cvt_f32_f16 v48, v24;
	;;#ASMEND
	ds_load_b32 v24, v15 offset:40
	v_dual_fmac_f32 v10, v44, v46 :: v_dual_bitop2_b32 v25, v13, v43 bitop3:0x54
	v_fma_mixlo_f16 v13, v21, v13, 0 op_sel:[0,1,0] op_sel_hi:[0,1,0]
	s_delay_alu instid0(VALU_DEP_2) | instskip(NEXT) | instid1(VALU_DEP_3)
	v_fma_mixlo_f16 v25, v21, v25, 0 op_sel_hi:[0,1,0]
	v_fmac_f32_e32 v10, v27, v50
	s_delay_alu instid0(VALU_DEP_3) | instskip(SKIP_1) | instid1(VALU_DEP_4)
	v_and_b32_e32 v13, 0xffff, v13
	v_and_b32_e32 v21, 0xffff, v11
	;; [unrolled: 1-line block ×3, first 2 shown]
	s_wait_dscnt 0x0
	v_and_b32_e32 v27, 0xffff, v24
	v_lshrrev_b32_e32 v24, 16, v24
	;;#ASMSTART
	v_cvt_f32_f16 v27, v27;
	;;#ASMEND
	;;#ASMSTART
	v_cvt_f32_f16 v28, v24;
	;;#ASMEND
	;; [unrolled: 3-line block ×3, first 2 shown]
	v_dual_fmac_f32 v10, v29, v52 :: v_dual_bitop2_b32 v24, 2, v3 bitop3:0x14
	;;#ASMSTART
	v_cvt_f32_f16 v29, v13;
	;;#ASMEND
	ds_load_b32 v13, v15 offset:44
	v_cmp_gt_i32_e64 s4, 32, v24
	v_fmac_f32_e32 v10, v31, v54
	s_delay_alu instid0(VALU_DEP_2) | instskip(NEXT) | instid1(VALU_DEP_1)
	v_cndmask_b32_e64 v11, v3, v24, s4
	v_lshlrev_b32_e32 v11, 2, v11
	s_wait_dscnt 0x0
	v_and_b32_e32 v24, 0xffff, v13
	v_dual_fmac_f32 v10, v33, v56 :: v_dual_lshrrev_b32 v13, 16, v13
	;;#ASMSTART
	v_cvt_f32_f16 v24, v24;
	;;#ASMEND
	;;#ASMSTART
	v_cvt_f32_f16 v13, v13;
	;;#ASMEND
	;; [unrolled: 3-line block ×4, first 2 shown]
	v_fmac_f32_e32 v10, v35, v58
	s_delay_alu instid0(VALU_DEP_1) | instskip(NEXT) | instid1(VALU_DEP_1)
	v_fmac_f32_e32 v10, v37, v60
	v_fmac_f32_e32 v10, v39, v62
	s_delay_alu instid0(VALU_DEP_1) | instskip(NEXT) | instid1(VALU_DEP_1)
	v_fmac_f32_e32 v10, v26, v42
	v_fmac_f32_e32 v10, v27, v25
	s_delay_alu instid0(VALU_DEP_1) | instskip(NEXT) | instid1(VALU_DEP_1)
	v_dual_fmac_f32 v10, v24, v12 :: v_dual_bitop2_b32 v12, 1, v3 bitop3:0x14
	v_cmp_gt_i32_e64 s4, 32, v12
	s_delay_alu instid0(VALU_DEP_1) | instskip(NEXT) | instid1(VALU_DEP_1)
	v_dual_fmac_f32 v22, v32, v55 :: v_dual_cndmask_b32 v12, v3, v12, s4
	v_fmac_f32_e32 v22, v34, v57
	s_delay_alu instid0(VALU_DEP_1) | instskip(NEXT) | instid1(VALU_DEP_1)
	v_fmac_f32_e32 v22, v36, v59
	v_fmac_f32_e32 v22, v38, v61
	s_delay_alu instid0(VALU_DEP_1) | instskip(NEXT) | instid1(VALU_DEP_1)
	v_fmac_f32_e32 v22, v40, v63
	;; [unrolled: 3-line block ×3, first 2 shown]
	v_fmac_f32_e32 v22, v13, v21
	s_delay_alu instid0(VALU_DEP_1)
	v_add_f32_e32 v10, v10, v22
	ds_bpermute_b32 v11, v11, v10
	s_wait_dscnt 0x0
	v_dual_add_f32 v10, v10, v11 :: v_dual_lshlrev_b32 v11, 2, v12
	ds_bpermute_b32 v11, v11, v10
	s_and_saveexec_b32 s41, s3
	s_cbranch_execz .LBB237_10
; %bb.210:                              ;   in Loop: Header=BB237_12 Depth=1
	s_wait_dscnt 0x0
	v_dual_add_nc_u32 v12, v17, v4 :: v_dual_add_f32 v10, v10, v11
	s_delay_alu instid0(VALU_DEP_1) | instskip(NEXT) | instid1(VALU_DEP_1)
	v_cvt_f32_i32_e32 v12, v12
	v_mul_f32_e32 v12, s37, v12
	s_delay_alu instid0(VALU_DEP_1) | instskip(NEXT) | instid1(VALU_DEP_1)
	v_cndmask_b32_e32 v11, 0, v12, vcc_lo
	v_dual_fmac_f32 v11, s27, v10 :: v_dual_add_nc_u32 v10, v14, v4
	s_delay_alu instid0(VALU_DEP_1) | instskip(NEXT) | instid1(VALU_DEP_1)
	v_cmp_gt_i32_e64 s4, s34, v10
	v_dual_max_num_f32 v12, v16, v16 :: v_dual_cndmask_b32 v10, 0, v11, s4
	s_delay_alu instid0(VALU_DEP_1)
	v_max_num_f32_e32 v12, v12, v11
	ds_store_b32 v18, v10
	v_cndmask_b32_e64 v16, v16, v12, s4
	s_branch .LBB237_10
.LBB237_211:
	s_or_b32 exec_lo, exec_lo, s40
.LBB237_212:
	s_delay_alu instid0(SALU_CYCLE_1)
	s_or_b32 exec_lo, exec_lo, s26
	v_dual_max_num_f32 v7, v16, v16 :: v_dual_bitop2_b32 v4, 16, v3 bitop3:0x14
	s_clause 0x1
	s_load_b64 s[4:5], s[0:1], 0x0
	s_load_b64 s[26:27], s[0:1], 0x18
	v_and_b32_e32 v24, 31, v0
	v_xor_b32_e32 v6, 8, v3
	v_cmp_gt_i32_e32 vcc_lo, 32, v4
	v_cndmask_b32_e32 v4, v3, v4, vcc_lo
	s_delay_alu instid0(VALU_DEP_3) | instskip(NEXT) | instid1(VALU_DEP_2)
	v_cmp_gt_i32_e32 vcc_lo, 32, v6
	v_dual_lshlrev_b32 v4, 2, v4 :: v_dual_cndmask_b32 v6, v3, v6, vcc_lo
	ds_bpermute_b32 v5, v4, v16
	s_wait_dscnt 0x0
	v_dual_max_num_f32 v8, v5, v5 :: v_dual_lshlrev_b32 v5, 2, v6
	s_delay_alu instid0(VALU_DEP_1) | instskip(SKIP_4) | instid1(VALU_DEP_1)
	v_dual_max_num_f32 v6, v7, v8 :: v_dual_bitop2_b32 v8, 4, v3 bitop3:0x14
	ds_bpermute_b32 v7, v5, v6
	v_cmp_gt_i32_e32 vcc_lo, 32, v8
	v_cndmask_b32_e32 v8, v3, v8, vcc_lo
	s_wait_dscnt 0x0
	v_dual_max_num_f32 v7, v7, v7 :: v_dual_lshlrev_b32 v8, 2, v8
	s_delay_alu instid0(VALU_DEP_1)
	v_max_num_f32_e32 v7, v6, v7
	v_lshlrev_b32_e32 v6, 2, v23
	v_cmp_eq_u32_e32 vcc_lo, 0, v24
	ds_bpermute_b32 v9, v8, v7
	s_wait_xcnt 0x0
	s_and_saveexec_b32 s0, vcc_lo
	s_cbranch_execz .LBB237_214
; %bb.213:
	s_wait_dscnt 0x0
	v_dual_max_num_f32 v9, v9, v9 :: v_dual_max_num_f32 v7, v7, v7
	s_delay_alu instid0(VALU_DEP_1)
	v_max_num_f32_e32 v7, v7, v9
	ds_store_b32 v6, v7 offset:192
.LBB237_214:
	s_or_b32 exec_lo, exec_lo, s0
	v_cmp_gt_u32_e64 s0, 4, v24
	v_dual_mov_b32 v10, 0xff7fffff :: v_dual_lshlrev_b32 v7, 2, v24
	s_wait_dscnt 0x0
	s_barrier_signal -1
	s_barrier_wait -1
	s_and_saveexec_b32 s1, s0
; %bb.215:
	ds_load_b32 v10, v7 offset:192
; %bb.216:
	s_or_b32 exec_lo, exec_lo, s1
	v_xor_b32_e32 v9, 2, v3
	v_xor_b32_e32 v12, 1, v3
	s_delay_alu instid0(VALU_DEP_2) | instskip(NEXT) | instid1(VALU_DEP_1)
	v_cmp_gt_i32_e64 s1, 32, v9
	v_cndmask_b32_e64 v9, v3, v9, s1
	s_delay_alu instid0(VALU_DEP_3) | instskip(NEXT) | instid1(VALU_DEP_1)
	v_cmp_gt_i32_e64 s1, 32, v12
	v_dual_lshlrev_b32 v9, 2, v9 :: v_dual_cndmask_b32 v3, v3, v12, s1
	s_lshl_b32 s1, s12, 3
	s_delay_alu instid0(SALU_CYCLE_1)
	s_min_i32 s8, s1, s34
	s_wait_dscnt 0x0
	ds_bpermute_b32 v11, v9, v10
	v_max_num_f32_e32 v10, v10, v10
	v_cmp_gt_i32_e64 s1, s8, v0
	v_lshlrev_b32_e32 v3, 2, v3
	s_wait_dscnt 0x0
	v_max_num_f32_e32 v11, v11, v11
	s_delay_alu instid0(VALU_DEP_1) | instskip(SKIP_3) | instid1(VALU_DEP_1)
	v_max_num_f32_e32 v10, v10, v11
	ds_bpermute_b32 v11, v3, v10
	s_wait_dscnt 0x0
	v_max_num_f32_e32 v11, v11, v11
	v_dual_max_num_f32 v11, v10, v11 :: v_dual_mov_b32 v10, 0
	ds_bpermute_b32 v11, v10, v11
	s_and_saveexec_b32 s9, s1
	s_cbranch_execz .LBB237_220
; %bb.217:
	v_lshl_add_u32 v12, v0, 2, 0xe0
	v_dual_mov_b32 v10, 0 :: v_dual_mov_b32 v13, v0
	s_mov_b32 s19, 0
.LBB237_218:                            ; =>This Inner Loop Header: Depth=1
	ds_load_b32 v14, v12
	v_add_nc_u32_e32 v13, 0x80, v13
	s_delay_alu instid0(VALU_DEP_1) | instskip(SKIP_3) | instid1(VALU_DEP_1)
	v_cmp_le_i32_e64 s3, s8, v13
	s_or_b32 s19, s3, s19
	s_wait_dscnt 0x0
	v_sub_f32_e32 v14, v14, v11
	v_mul_f32_e32 v14, 0x3fb8aa3b, v14
	s_delay_alu instid0(VALU_DEP_1)
	v_exp_f32_e32 v14, v14
	ds_store_b32 v12, v14
	v_nop
	v_add_f32_e32 v10, v10, v14
	v_add_nc_u32_e32 v12, 0x200, v12
	s_and_not1_b32 exec_lo, exec_lo, s19
	s_cbranch_execnz .LBB237_218
; %bb.219:
	s_or_b32 exec_lo, exec_lo, s19
.LBB237_220:
	s_delay_alu instid0(SALU_CYCLE_1)
	s_or_b32 exec_lo, exec_lo, s9
	ds_bpermute_b32 v4, v4, v10
	s_wait_dscnt 0x0
	v_add_f32_e32 v4, v10, v4
	ds_bpermute_b32 v5, v5, v4
	s_wait_dscnt 0x0
	v_add_f32_e32 v4, v4, v5
	;; [unrolled: 3-line block ×5, first 2 shown]
	s_and_saveexec_b32 s3, vcc_lo
; %bb.221:
	ds_store_b32 v6, v4 offset:208
; %bb.222:
	s_or_b32 exec_lo, exec_lo, s3
	s_wait_dscnt 0x0
	s_barrier_signal -1
	s_barrier_wait -1
	s_and_saveexec_b32 s3, s0
; %bb.223:
	ds_load_b32 v4, v7 offset:208
; %bb.224:
	s_or_b32 exec_lo, exec_lo, s3
	s_wait_dscnt 0x0
	ds_bpermute_b32 v5, v9, v4
	s_wait_dscnt 0x0
	v_dual_mov_b32 v36, 0 :: v_dual_add_f32 v4, v4, v5
	ds_bpermute_b32 v3, v3, v4
	s_wait_dscnt 0x0
	v_add_f32_e32 v3, v4, v3
	ds_bpermute_b32 v3, v36, v3
	s_and_saveexec_b32 s0, s1
	s_cbranch_execz .LBB237_237
; %bb.225:
	s_wait_dscnt 0x0
	v_add_f32_e32 v3, 0x358637bd, v3
	s_mov_b32 s3, -1
	s_mov_b32 s1, exec_lo
	s_delay_alu instid0(VALU_DEP_1) | instskip(NEXT) | instid1(VALU_DEP_1)
	v_div_scale_f32 v4, null, v3, v3, 1.0
	v_rcp_f32_e32 v6, v4
	v_nop
	s_delay_alu instid0(TRANS32_DEP_1) | instskip(NEXT) | instid1(VALU_DEP_1)
	v_fma_f32 v5, -v4, v6, 1.0
	v_fmac_f32_e32 v6, v5, v6
	v_div_scale_f32 v7, vcc_lo, 1.0, v3, 1.0
	s_delay_alu instid0(VALU_DEP_1) | instskip(NEXT) | instid1(VALU_DEP_1)
	v_mul_f32_e32 v8, v7, v6
	v_fma_f32 v5, -v4, v8, v7
	s_delay_alu instid0(VALU_DEP_1) | instskip(SKIP_1) | instid1(VALU_DEP_2)
	v_fmac_f32_e32 v8, v5, v6
	v_xad_u32 v5, v0, -1, s8
	v_fma_f32 v4, -v4, v8, v7
	s_delay_alu instid0(VALU_DEP_1) | instskip(NEXT) | instid1(VALU_DEP_1)
	v_div_fmas_f32 v4, v4, v6, v8
	v_div_fixup_f32 v4, v4, v3, 1.0
	v_mov_b32_e32 v3, v0
	v_cmpx_lt_u32_e32 0x7f, v5
	s_cbranch_execz .LBB237_234
; %bb.226:
	s_delay_alu instid0(VALU_DEP_3) | instskip(NEXT) | instid1(VALU_DEP_1)
	v_dual_lshrrev_b32 v3, 7, v5 :: v_dual_mov_b32 v5, v4
	v_dual_mov_b32 v9, 0 :: v_dual_add_nc_u32 v6, -1, v3
	s_delay_alu instid0(VALU_DEP_1) | instskip(SKIP_1) | instid1(VALU_DEP_2)
	v_lshrrev_b32_e32 v7, 1, v6
	v_cmp_lt_u32_e32 vcc_lo, 13, v6
	v_add_nc_u32_e32 v6, 1, v7
	s_and_saveexec_b32 s3, vcc_lo
	s_cbranch_execz .LBB237_230
; %bb.227:
	s_delay_alu instid0(VALU_DEP_1)
	v_and_b32_e32 v7, -8, v6
	v_lshl_add_u32 v8, v0, 2, 0xe0
	s_mov_b32 s9, 0
	s_mov_b32 s19, 0
.LBB237_228:                            ; =>This Inner Loop Header: Depth=1
	ds_load_2addr_stride64_b32 v[10:11], v8 offset1:2
	ds_load_2addr_stride64_b32 v[12:13], v8 offset0:4 offset1:6
	ds_load_2addr_stride64_b32 v[14:15], v8 offset0:8 offset1:10
	;; [unrolled: 1-line block ×7, first 2 shown]
	s_add_co_i32 s19, s19, 16
	s_delay_alu instid0(SALU_CYCLE_1) | instskip(NEXT) | instid1(VALU_DEP_1)
	v_dual_add_nc_u32 v7, -8, v7 :: v_dual_mov_b32 v9, s19
	v_cmp_eq_u32_e32 vcc_lo, 0, v7
	s_or_b32 s9, vcc_lo, s9
	s_wait_dscnt 0x7
	v_pk_mul_f32 v[10:11], v[4:5], v[10:11]
	s_wait_dscnt 0x6
	v_pk_mul_f32 v[12:13], v[4:5], v[12:13]
	;; [unrolled: 2-line block ×8, first 2 shown]
	ds_store_2addr_stride64_b32 v8, v10, v11 offset1:2
	ds_store_2addr_stride64_b32 v8, v12, v13 offset0:4 offset1:6
	ds_store_2addr_stride64_b32 v8, v14, v15 offset0:8 offset1:10
	;; [unrolled: 1-line block ×7, first 2 shown]
	v_add_nc_u32_e32 v8, 0x2000, v8
	s_and_not1_b32 exec_lo, exec_lo, s9
	s_cbranch_execnz .LBB237_228
; %bb.229:
	s_or_b32 exec_lo, exec_lo, s9
.LBB237_230:
	s_delay_alu instid0(SALU_CYCLE_1) | instskip(NEXT) | instid1(VALU_DEP_1)
	s_or_b32 exec_lo, exec_lo, s3
	v_and_b32_e32 v6, 7, v6
	s_mov_b32 s9, 0
	s_mov_b32 s3, exec_lo
	s_delay_alu instid0(VALU_DEP_1)
	v_cmpx_ne_u32_e32 0, v6
	s_cbranch_execz .LBB237_233
; %bb.231:
	v_dual_lshlrev_b32 v7, 9, v9 :: v_dual_lshlrev_b32 v8, 2, v0
	s_delay_alu instid0(VALU_DEP_1)
	v_add3_u32 v7, v7, v8, 0xe0
.LBB237_232:                            ; =>This Inner Loop Header: Depth=1
	ds_load_2addr_stride64_b32 v[8:9], v7 offset1:2
	v_add_nc_u32_e32 v6, -1, v6
	s_delay_alu instid0(VALU_DEP_1)
	v_cmp_eq_u32_e32 vcc_lo, 0, v6
	s_or_b32 s9, vcc_lo, s9
	s_wait_dscnt 0x0
	v_pk_mul_f32 v[8:9], v[4:5], v[8:9]
	ds_store_2addr_stride64_b32 v7, v8, v9 offset1:2
	v_add_nc_u32_e32 v7, 0x400, v7
	s_and_not1_b32 exec_lo, exec_lo, s9
	s_cbranch_execnz .LBB237_232
.LBB237_233:
	s_or_b32 exec_lo, exec_lo, s3
	v_add_nc_u32_e32 v3, 1, v3
	s_delay_alu instid0(VALU_DEP_1) | instskip(NEXT) | instid1(VALU_DEP_1)
	v_and_b32_e32 v5, 0x3fffffe, v3
	v_cmp_ne_u32_e32 vcc_lo, v3, v5
	v_lshl_add_u32 v3, v5, 7, v0
	s_or_not1_b32 s3, vcc_lo, exec_lo
.LBB237_234:
	s_or_b32 exec_lo, exec_lo, s1
	s_delay_alu instid0(SALU_CYCLE_1)
	s_and_b32 exec_lo, exec_lo, s3
	s_cbranch_execz .LBB237_237
; %bb.235:
	v_lshl_add_u32 v5, v3, 2, 0xe0
	s_mov_b32 s1, 0
.LBB237_236:                            ; =>This Inner Loop Header: Depth=1
	ds_load_b32 v6, v5
	s_wait_dscnt 0x0
	v_dual_mul_f32 v6, v4, v6 :: v_dual_add_nc_u32 v3, 0x80, v3
	s_delay_alu instid0(VALU_DEP_1) | instskip(SKIP_3) | instid1(SALU_CYCLE_1)
	v_cmp_le_i32_e32 vcc_lo, s8, v3
	ds_store_b32 v5, v6
	v_add_nc_u32_e32 v5, 0x200, v5
	s_or_b32 s1, vcc_lo, s1
	s_and_not1_b32 exec_lo, exec_lo, s1
	s_cbranch_execnz .LBB237_236
.LBB237_237:
	s_or_b32 exec_lo, exec_lo, s0
	v_mov_b64_e32 v[4:5], 0
	s_wait_dscnt 0x0
	s_barrier_signal -1
	s_barrier_wait -1
	s_and_saveexec_b32 s1, s2
	s_cbranch_execz .LBB237_441
; %bb.238:
	s_abs_i32 s14, s14
	v_dual_mov_b32 v7, 0 :: v_dual_lshlrev_b32 v6, 3, v24
	s_cvt_f32_u32 s0, s14
	s_ashr_i32 s19, s18, 31
	s_lshl_b64 s[24:25], s[24:25], 2
	s_wait_kmcnt 0x0
	s_add_nc_u64 s[18:19], s[26:27], s[18:19]
	v_rcp_iflag_f32_e32 v3, s0
	v_add_nc_u64_e32 v[8:9], s[18:19], v[6:7]
	v_and_b32_e32 v6, 0x7c, v1
	s_add_nc_u64 s[18:19], s[22:23], s[24:25]
	s_sub_co_i32 s2, 0, s14
	v_mov_b64_e32 v[4:5], 0
	v_lshl_add_u32 v25, v23, 5, 0xe0
	v_readfirstlane_b32 s0, v3
	v_add_nc_u64_e32 v[10:11], s[18:19], v[6:7]
	v_dual_mov_b32 v36, 0 :: v_dual_mov_b32 v26, v23
	s_mov_b32 s3, 0
	s_mul_f32 s0, s0, 0x4f7ffffe
	s_sub_co_i32 s13, s36, s13
	s_add_co_i32 s28, s12, -1
	s_mov_b64 s[8:9], 0xffffffffffffff
	s_cvt_u32_f32 s0, s0
	s_mov_b32 s18, s34
	s_mov_b32 s19, s3
	s_delay_alu instid0(SALU_CYCLE_1) | instskip(NEXT) | instid1(SALU_CYCLE_1)
	s_mul_i32 s2, s2, s0
	s_mul_hi_u32 s2, s0, s2
	s_delay_alu instid0(SALU_CYCLE_1)
	s_add_co_i32 s2, s0, s2
	s_branch .LBB237_241
.LBB237_239:                            ;   in Loop: Header=BB237_241 Depth=1
	s_or_b32 exec_lo, exec_lo, s0
	;;#ASMSTART
	v_pk_mul_f16 v1, v41, v17;

	;;#ASMEND
	;;#ASMSTART
	v_pk_mul_f16 v3, v39, v18;

	;;#ASMEND
	;; [unrolled: 4-line block ×4, first 2 shown]
	;;#ASMSTART
	v_pk_add_f16 v1, v1, v3;

	;;#ASMEND
	;;#ASMSTART
	v_pk_add_f16 v1, v1, v6;

	;;#ASMEND
	;; [unrolled: 4-line block ×3, first 2 shown]
	v_and_b32_e32 v6, 0xffff, v1
	v_dual_add_f32 v1, v34, v35 :: v_dual_lshrrev_b32 v12, 16, v1
	;;#ASMSTART
	v_cvt_f32_f16 v6, v6;
	;;#ASMEND
	;;#ASMSTART
	v_cvt_f32_f16 v12, v12;
	;;#ASMEND
	s_delay_alu instid0(VALU_DEP_1) | instskip(NEXT) | instid1(VALU_DEP_1)
	v_dual_add_f32 v3, v40, v42 :: v_dual_add_f32 v6, v6, v12
	v_dual_add_f32 v5, v5, v1 :: v_dual_add_f32 v4, v4, v3
	s_delay_alu instid0(VALU_DEP_2)
	v_add_f32_e32 v36, v36, v6
.LBB237_240:                            ;   in Loop: Header=BB237_241 Depth=1
	s_or_b32 exec_lo, exec_lo, s22
	v_add_nc_u32_e32 v26, 4, v26
	v_add_nc_u64_e32 v[10:11], 16, v[10:11]
	v_add_nc_u32_e32 v2, 32, v2
	v_add_nc_u32_e32 v25, 0x80, v25
	s_delay_alu instid0(VALU_DEP_4) | instskip(SKIP_1) | instid1(SALU_CYCLE_1)
	v_cmp_le_i32_e32 vcc_lo, s12, v26
	s_or_b32 s19, vcc_lo, s19
	s_and_not1_b32 exec_lo, exec_lo, s19
	s_cbranch_execz .LBB237_440
.LBB237_241:                            ; =>This Inner Loop Header: Depth=1
	v_mov_b32_e32 v3, v7
	s_delay_alu instid0(VALU_DEP_1) | instskip(NEXT) | instid1(VALU_DEP_1)
	v_mul_u64_e32 v[12:13], s[20:21], v[2:3]
	v_mul_lo_u32 v1, v13, s16
	s_delay_alu instid0(VALU_DEP_1) | instskip(NEXT) | instid1(VALU_DEP_1)
	v_sub_nc_u32_e32 v1, v2, v1
	v_subrev_nc_u32_e32 v6, s16, v1
	v_cmp_le_u32_e32 vcc_lo, s16, v1
	s_delay_alu instid0(VALU_DEP_2) | instskip(NEXT) | instid1(VALU_DEP_1)
	v_dual_add_nc_u32 v3, 1, v13 :: v_dual_cndmask_b32 v1, v1, v6, vcc_lo
	v_cndmask_b32_e32 v3, v13, v3, vcc_lo
	s_delay_alu instid0(VALU_DEP_2) | instskip(NEXT) | instid1(VALU_DEP_2)
	v_cmp_le_u32_e32 vcc_lo, s16, v1
	v_add_nc_u32_e32 v6, 1, v3
	s_delay_alu instid0(VALU_DEP_1) | instskip(NEXT) | instid1(VALU_DEP_1)
	v_cndmask_b32_e32 v1, v3, v6, vcc_lo
	v_xor_b32_e32 v1, s15, v1
	s_delay_alu instid0(VALU_DEP_1) | instskip(NEXT) | instid1(VALU_DEP_1)
	v_subrev_nc_u32_e32 v1, s15, v1
	v_add_nc_u32_e32 v3, s35, v1
	v_cmp_lt_i32_e64 s0, s13, v1
	s_delay_alu instid0(VALU_DEP_2) | instskip(NEXT) | instid1(VALU_DEP_1)
	v_sub_nc_u32_e32 v6, 0, v3
	v_dual_ashrrev_i32 v3, 31, v3 :: v_dual_max_i32 v6, v3, v6
	s_delay_alu instid0(VALU_DEP_1) | instskip(NEXT) | instid1(VALU_DEP_1)
	v_mul_u64_e32 v[12:13], s[2:3], v[6:7]
	v_mul_lo_u32 v12, v13, s14
	s_delay_alu instid0(VALU_DEP_1) | instskip(NEXT) | instid1(VALU_DEP_1)
	v_sub_nc_u32_e32 v6, v6, v12
	v_subrev_nc_u32_e32 v12, s14, v6
	v_cmp_le_u32_e32 vcc_lo, s14, v6
	s_delay_alu instid0(VALU_DEP_2) | instskip(NEXT) | instid1(VALU_DEP_1)
	v_cndmask_b32_e32 v6, v6, v12, vcc_lo
	v_subrev_nc_u32_e32 v12, s14, v6
	v_cmp_le_u32_e32 vcc_lo, s14, v6
	s_delay_alu instid0(VALU_DEP_2) | instskip(NEXT) | instid1(VALU_DEP_1)
	v_cndmask_b32_e32 v6, v6, v12, vcc_lo
	v_xor_b32_e32 v6, v6, v3
	s_delay_alu instid0(VALU_DEP_1) | instskip(NEXT) | instid1(VALU_DEP_1)
	v_sub_nc_u32_e32 v3, v6, v3
	v_cmp_eq_u32_e32 vcc_lo, 0, v3
	s_or_b32 s0, vcc_lo, s0
	s_delay_alu instid0(SALU_CYCLE_1)
	s_and_saveexec_b32 s22, s0
	s_cbranch_execz .LBB237_240
; %bb.242:                              ;   in Loop: Header=BB237_241 Depth=1
	global_load_b32 v1, v[10:11], off
	ds_load_2addr_b64 v[14:17], v25 offset1:1
	ds_load_2addr_b64 v[18:21], v25 offset0:2 offset1:3
	s_mov_b32 s0, exec_lo
	s_wait_dscnt 0x1
	;;#ASMSTART
	v_cvt_f16_f32 v38, v14;

	;;#ASMEND
	;;#ASMSTART
	v_cvt_f16_f32 v34, v15;

	;;#ASMEND
	;; [unrolled: 4-line block ×4, first 2 shown]
	s_wait_dscnt 0x0
	;;#ASMSTART
	v_cvt_f16_f32 v41, v18;

	;;#ASMEND
	;;#ASMSTART
	v_cvt_f16_f32 v37, v19;

	;;#ASMEND
	;; [unrolled: 4-line block ×4, first 2 shown]
	v_mov_b32_e32 v3, 0
	s_wait_loadcnt 0x0
	v_mad_nc_i64_i32 v[12:13], v1, s17, v[8:9]
	v_mov_b32_e32 v1, 0
	global_load_b32 v14, v1, s[10:11]
	global_load_b64 v[16:17], v[12:13], off
	s_wait_loadcnt 0x0
	v_and_b32_e32 v6, 0xff, v16
	s_delay_alu instid0(VALU_DEP_1)
	v_cmpx_ne_u16_e32 0, v6
	s_cbranch_execz .LBB237_250
; %bb.243:                              ;   in Loop: Header=BB237_241 Depth=1
	v_mov_b32_e32 v3, 0x8000
	s_mov_b32 s23, exec_lo
	v_cmpx_ne_u16_e32 0x80, v6
	s_cbranch_execz .LBB237_249
; %bb.244:                              ;   in Loop: Header=BB237_241 Depth=1
	v_and_b32_e32 v15, 0x7f, v16
	v_mov_b32_e32 v3, 0x7c01
	s_mov_b32 s24, exec_lo
	s_delay_alu instid0(VALU_DEP_2)
	v_cmpx_ne_u32_e32 0x7f, v15
	s_cbranch_execz .LBB237_248
; %bb.245:                              ;   in Loop: Header=BB237_241 Depth=1
	v_dual_lshrrev_b32 v6, 3, v15 :: v_dual_bitop2_b32 v3, 7, v16 bitop3:0x40
	s_mov_b32 s25, exec_lo
	v_cmpx_gt_u32_e32 8, v15
; %bb.246:                              ;   in Loop: Header=BB237_241 Depth=1
	s_delay_alu instid0(VALU_DEP_2) | instskip(NEXT) | instid1(VALU_DEP_1)
	v_clz_i32_u32_e32 v3, v3
	v_min_u32_e32 v3, 32, v3
	s_delay_alu instid0(VALU_DEP_1) | instskip(NEXT) | instid1(VALU_DEP_1)
	v_subrev_nc_u32_e32 v6, 28, v3
	v_lshlrev_b64_e32 v[18:19], v6, v[16:17]
	s_delay_alu instid0(VALU_DEP_1)
	v_dual_sub_nc_u32 v6, 29, v3 :: v_dual_bitop2_b32 v3, 7, v18 bitop3:0x40
; %bb.247:                              ;   in Loop: Header=BB237_241 Depth=1
	s_or_b32 exec_lo, exec_lo, s25
	s_delay_alu instid0(VALU_DEP_1) | instskip(NEXT) | instid1(VALU_DEP_2)
	v_dual_lshlrev_b32 v15, 8, v16 :: v_dual_lshlrev_b32 v3, 7, v3
	v_lshl_add_u32 v6, v6, 10, 0x2000
	s_delay_alu instid0(VALU_DEP_2) | instskip(NEXT) | instid1(VALU_DEP_2)
	v_and_b32_e32 v15, 0x8000, v15
	v_and_b32_e32 v6, 0xfc00, v6
	s_delay_alu instid0(VALU_DEP_1)
	v_or3_b32 v3, v15, v6, v3
.LBB237_248:                            ;   in Loop: Header=BB237_241 Depth=1
	s_or_b32 exec_lo, exec_lo, s24
.LBB237_249:                            ;   in Loop: Header=BB237_241 Depth=1
	s_delay_alu instid0(SALU_CYCLE_1)
	s_or_b32 exec_lo, exec_lo, s23
.LBB237_250:                            ;   in Loop: Header=BB237_241 Depth=1
	s_delay_alu instid0(SALU_CYCLE_1) | instskip(SKIP_2) | instid1(VALU_DEP_1)
	s_or_b32 exec_lo, exec_lo, s0
	v_lshrrev_b16 v6, 8, v16
	s_mov_b32 s0, exec_lo
	v_cmpx_ne_u16_e32 0, v6
	s_cbranch_execz .LBB237_258
; %bb.251:                              ;   in Loop: Header=BB237_241 Depth=1
	v_bfrev_b32_e32 v1, 1
	s_mov_b32 s23, exec_lo
	v_cmpx_ne_u16_e32 0x80, v6
	s_cbranch_execz .LBB237_257
; %bb.252:                              ;   in Loop: Header=BB237_241 Depth=1
	v_and_b32_e32 v15, 0xffff, v6
	v_mov_b32_e32 v1, 0x7c010000
	s_mov_b32 s24, exec_lo
	s_delay_alu instid0(VALU_DEP_2) | instskip(NEXT) | instid1(VALU_DEP_1)
	v_and_b32_e32 v19, 0x7f, v15
	v_cmpx_ne_u32_e32 0x7f, v19
	s_cbranch_execz .LBB237_256
; %bb.253:                              ;   in Loop: Header=BB237_241 Depth=1
	v_and_b32_e32 v1, 7, v15
	v_lshrrev_b32_e32 v18, 3, v19
	s_mov_b32 s25, exec_lo
	v_cmpx_gt_u32_e32 8, v19
; %bb.254:                              ;   in Loop: Header=BB237_241 Depth=1
	s_delay_alu instid0(VALU_DEP_3) | instskip(NEXT) | instid1(VALU_DEP_1)
	v_clz_i32_u32_e32 v1, v1
	v_min_u32_e32 v1, 32, v1
	s_delay_alu instid0(VALU_DEP_1) | instskip(NEXT) | instid1(VALU_DEP_1)
	v_subrev_nc_u32_e32 v18, 28, v1
	v_lshlrev_b64_e32 v[20:21], v18, v[6:7]
	s_delay_alu instid0(VALU_DEP_1)
	v_dual_sub_nc_u32 v18, 29, v1 :: v_dual_bitop2_b32 v1, 7, v20 bitop3:0x40
; %bb.255:                              ;   in Loop: Header=BB237_241 Depth=1
	s_or_b32 exec_lo, exec_lo, s25
	s_delay_alu instid0(VALU_DEP_1) | instskip(NEXT) | instid1(VALU_DEP_2)
	v_dual_lshlrev_b32 v6, 8, v15 :: v_dual_lshlrev_b32 v1, 23, v1
	v_lshl_add_u32 v15, v18, 10, 0x2000
	s_delay_alu instid0(VALU_DEP_1) | instskip(NEXT) | instid1(VALU_DEP_1)
	v_and_or_b32 v6, 0x8000, v6, v15
	v_lshl_or_b32 v1, v6, 16, v1
.LBB237_256:                            ;   in Loop: Header=BB237_241 Depth=1
	s_or_b32 exec_lo, exec_lo, s24
.LBB237_257:                            ;   in Loop: Header=BB237_241 Depth=1
	s_delay_alu instid0(SALU_CYCLE_1)
	s_or_b32 exec_lo, exec_lo, s23
.LBB237_258:                            ;   in Loop: Header=BB237_241 Depth=1
	s_delay_alu instid0(SALU_CYCLE_1) | instskip(SKIP_3) | instid1(VALU_DEP_2)
	s_or_b32 exec_lo, exec_lo, s0
	v_dual_mov_b32 v15, 0 :: v_dual_lshrrev_b32 v6, 16, v16
	v_mov_b32_e32 v18, 0
	s_mov_b32 s0, exec_lo
	v_and_b32_e32 v19, 0xff, v6
	s_delay_alu instid0(VALU_DEP_1)
	v_cmpx_ne_u16_e32 0, v19
	s_cbranch_execz .LBB237_266
; %bb.259:                              ;   in Loop: Header=BB237_241 Depth=1
	v_mov_b32_e32 v18, 0x8000
	s_mov_b32 s23, exec_lo
	v_cmpx_ne_u16_e32 0x80, v19
	s_cbranch_execz .LBB237_265
; %bb.260:                              ;   in Loop: Header=BB237_241 Depth=1
	v_bfe_u32 v20, v16, 16, 7
	v_mov_b32_e32 v18, 0x7c01
	s_mov_b32 s24, exec_lo
	s_delay_alu instid0(VALU_DEP_2)
	v_cmpx_ne_u32_e32 0x7f, v20
	s_cbranch_execz .LBB237_264
; %bb.261:                              ;   in Loop: Header=BB237_241 Depth=1
	v_dual_lshrrev_b32 v19, 3, v20 :: v_dual_bitop2_b32 v18, 7, v6 bitop3:0x40
	s_mov_b32 s25, exec_lo
	v_cmpx_gt_u32_e32 8, v20
; %bb.262:                              ;   in Loop: Header=BB237_241 Depth=1
	s_delay_alu instid0(VALU_DEP_2) | instskip(NEXT) | instid1(VALU_DEP_1)
	v_clz_i32_u32_e32 v18, v18
	v_min_u32_e32 v20, 32, v18
	s_delay_alu instid0(VALU_DEP_1) | instskip(NEXT) | instid1(VALU_DEP_1)
	v_subrev_nc_u32_e32 v18, 28, v20
	v_lshlrev_b64_e32 v[18:19], v18, v[6:7]
	s_delay_alu instid0(VALU_DEP_1)
	v_dual_sub_nc_u32 v19, 29, v20 :: v_dual_bitop2_b32 v18, 7, v18 bitop3:0x40
; %bb.263:                              ;   in Loop: Header=BB237_241 Depth=1
	s_or_b32 exec_lo, exec_lo, s25
	v_lshlrev_b32_e32 v6, 8, v6
	s_delay_alu instid0(VALU_DEP_2) | instskip(NEXT) | instid1(VALU_DEP_3)
	v_lshl_add_u32 v19, v19, 10, 0x2000
	v_lshlrev_b32_e32 v18, 7, v18
	s_delay_alu instid0(VALU_DEP_3) | instskip(NEXT) | instid1(VALU_DEP_3)
	v_and_b32_e32 v6, 0x8000, v6
	v_and_b32_e32 v19, 0xfc00, v19
	s_delay_alu instid0(VALU_DEP_1)
	v_or3_b32 v18, v6, v19, v18
.LBB237_264:                            ;   in Loop: Header=BB237_241 Depth=1
	s_or_b32 exec_lo, exec_lo, s24
.LBB237_265:                            ;   in Loop: Header=BB237_241 Depth=1
	s_delay_alu instid0(SALU_CYCLE_1)
	s_or_b32 exec_lo, exec_lo, s23
.LBB237_266:                            ;   in Loop: Header=BB237_241 Depth=1
	s_delay_alu instid0(SALU_CYCLE_1) | instskip(NEXT) | instid1(SALU_CYCLE_1)
	s_or_b32 exec_lo, exec_lo, s0
	s_mov_b32 s0, exec_lo
	v_cmpx_lt_u32_e32 0xffffff, v16
	s_cbranch_execz .LBB237_274
; %bb.267:                              ;   in Loop: Header=BB237_241 Depth=1
	v_lshrrev_b32_e32 v6, 24, v16
	v_bfrev_b32_e32 v15, 1
	s_mov_b32 s23, exec_lo
	s_delay_alu instid0(VALU_DEP_2)
	v_cmpx_ne_u32_e32 0x80, v6
	s_cbranch_execz .LBB237_273
; %bb.268:                              ;   in Loop: Header=BB237_241 Depth=1
	v_and_b32_e32 v20, 0x7f, v6
	v_mov_b32_e32 v15, 0x7c010000
	s_mov_b32 s24, exec_lo
	s_delay_alu instid0(VALU_DEP_2)
	v_cmpx_ne_u32_e32 0x7f, v20
	s_cbranch_execz .LBB237_272
; %bb.269:                              ;   in Loop: Header=BB237_241 Depth=1
	v_dual_lshrrev_b32 v19, 3, v20 :: v_dual_bitop2_b32 v15, 7, v6 bitop3:0x40
	s_mov_b32 s25, exec_lo
	v_cmpx_gt_u32_e32 8, v20
; %bb.270:                              ;   in Loop: Header=BB237_241 Depth=1
	s_delay_alu instid0(VALU_DEP_2) | instskip(NEXT) | instid1(VALU_DEP_1)
	v_clz_i32_u32_e32 v15, v15
	v_min_u32_e32 v15, 32, v15
	s_delay_alu instid0(VALU_DEP_1) | instskip(NEXT) | instid1(VALU_DEP_1)
	v_subrev_nc_u32_e32 v19, 28, v15
	v_lshlrev_b64_e32 v[20:21], v19, v[6:7]
	s_delay_alu instid0(VALU_DEP_1)
	v_dual_sub_nc_u32 v19, 29, v15 :: v_dual_bitop2_b32 v15, 7, v20 bitop3:0x40
; %bb.271:                              ;   in Loop: Header=BB237_241 Depth=1
	s_or_b32 exec_lo, exec_lo, s25
	s_delay_alu instid0(VALU_DEP_1) | instskip(NEXT) | instid1(VALU_DEP_2)
	v_dual_lshlrev_b32 v6, 8, v6 :: v_dual_lshlrev_b32 v15, 23, v15
	v_lshl_add_u32 v19, v19, 10, 0x2000
	s_delay_alu instid0(VALU_DEP_1) | instskip(NEXT) | instid1(VALU_DEP_1)
	v_and_or_b32 v6, 0x8000, v6, v19
	v_lshl_or_b32 v15, v6, 16, v15
.LBB237_272:                            ;   in Loop: Header=BB237_241 Depth=1
	s_or_b32 exec_lo, exec_lo, s24
.LBB237_273:                            ;   in Loop: Header=BB237_241 Depth=1
	s_delay_alu instid0(SALU_CYCLE_1)
	s_or_b32 exec_lo, exec_lo, s23
.LBB237_274:                            ;   in Loop: Header=BB237_241 Depth=1
	s_delay_alu instid0(SALU_CYCLE_1) | instskip(SKIP_4) | instid1(VALU_DEP_3)
	s_or_b32 exec_lo, exec_lo, s0
	v_and_b32_e32 v21, 0xff, v17
	v_dual_mov_b32 v6, v17 :: v_dual_mov_b32 v20, 0
	v_mov_b32_e32 v19, 0
	s_mov_b32 s0, exec_lo
	v_cmpx_ne_u16_e32 0, v21
	s_cbranch_execz .LBB237_282
; %bb.275:                              ;   in Loop: Header=BB237_241 Depth=1
	v_mov_b32_e32 v19, 0x8000
	s_mov_b32 s23, exec_lo
	v_cmpx_ne_u16_e32 0x80, v21
	s_cbranch_execz .LBB237_281
; %bb.276:                              ;   in Loop: Header=BB237_241 Depth=1
	v_and_b32_e32 v22, 0x7f, v17
	v_mov_b32_e32 v19, 0x7c01
	s_mov_b32 s24, exec_lo
	s_delay_alu instid0(VALU_DEP_2)
	v_cmpx_ne_u32_e32 0x7f, v22
	s_cbranch_execz .LBB237_280
; %bb.277:                              ;   in Loop: Header=BB237_241 Depth=1
	v_dual_lshrrev_b32 v21, 3, v22 :: v_dual_bitop2_b32 v19, 7, v17 bitop3:0x40
	s_mov_b32 s25, exec_lo
	v_cmpx_gt_u32_e32 8, v22
; %bb.278:                              ;   in Loop: Header=BB237_241 Depth=1
	s_delay_alu instid0(VALU_DEP_2) | instskip(NEXT) | instid1(VALU_DEP_1)
	v_clz_i32_u32_e32 v19, v19
	v_min_u32_e32 v19, 32, v19
	s_delay_alu instid0(VALU_DEP_1) | instskip(NEXT) | instid1(VALU_DEP_1)
	v_subrev_nc_u32_e32 v21, 28, v19
	v_lshlrev_b64_e32 v[28:29], v21, v[6:7]
	s_delay_alu instid0(VALU_DEP_1)
	v_dual_sub_nc_u32 v21, 29, v19 :: v_dual_bitop2_b32 v19, 7, v28 bitop3:0x40
; %bb.279:                              ;   in Loop: Header=BB237_241 Depth=1
	s_or_b32 exec_lo, exec_lo, s25
	s_delay_alu instid0(VALU_DEP_1) | instskip(NEXT) | instid1(VALU_DEP_2)
	v_dual_lshlrev_b32 v22, 8, v17 :: v_dual_lshlrev_b32 v19, 7, v19
	v_lshl_add_u32 v21, v21, 10, 0x2000
	s_delay_alu instid0(VALU_DEP_2) | instskip(NEXT) | instid1(VALU_DEP_2)
	v_and_b32_e32 v22, 0x8000, v22
	v_and_b32_e32 v21, 0xfc00, v21
	s_delay_alu instid0(VALU_DEP_1)
	v_or3_b32 v19, v22, v21, v19
.LBB237_280:                            ;   in Loop: Header=BB237_241 Depth=1
	s_or_b32 exec_lo, exec_lo, s24
.LBB237_281:                            ;   in Loop: Header=BB237_241 Depth=1
	s_delay_alu instid0(SALU_CYCLE_1)
	s_or_b32 exec_lo, exec_lo, s23
.LBB237_282:                            ;   in Loop: Header=BB237_241 Depth=1
	s_delay_alu instid0(SALU_CYCLE_1) | instskip(SKIP_3) | instid1(VALU_DEP_2)
	s_or_b32 exec_lo, exec_lo, s0
	v_lshrrev_b16 v6, 8, v6
	v_mov_b32_e32 v21, 0
	s_mov_b32 s0, exec_lo
	v_cmpx_ne_u16_e32 0, v6
	s_cbranch_execz .LBB237_290
; %bb.283:                              ;   in Loop: Header=BB237_241 Depth=1
	v_bfrev_b32_e32 v21, 1
	s_mov_b32 s23, exec_lo
	v_cmpx_ne_u16_e32 0x80, v6
	s_cbranch_execz .LBB237_289
; %bb.284:                              ;   in Loop: Header=BB237_241 Depth=1
	v_and_b32_e32 v22, 0xffff, v6
	v_mov_b32_e32 v21, 0x7c010000
	s_mov_b32 s24, exec_lo
	s_delay_alu instid0(VALU_DEP_2) | instskip(NEXT) | instid1(VALU_DEP_1)
	v_and_b32_e32 v28, 0x7f, v22
	v_cmpx_ne_u32_e32 0x7f, v28
	s_cbranch_execz .LBB237_288
; %bb.285:                              ;   in Loop: Header=BB237_241 Depth=1
	v_dual_lshrrev_b32 v27, 3, v28 :: v_dual_bitop2_b32 v21, 7, v22 bitop3:0x40
	s_mov_b32 s25, exec_lo
	v_cmpx_gt_u32_e32 8, v28
; %bb.286:                              ;   in Loop: Header=BB237_241 Depth=1
	s_delay_alu instid0(VALU_DEP_2) | instskip(NEXT) | instid1(VALU_DEP_1)
	v_clz_i32_u32_e32 v21, v21
	v_min_u32_e32 v21, 32, v21
	s_delay_alu instid0(VALU_DEP_1) | instskip(NEXT) | instid1(VALU_DEP_1)
	v_subrev_nc_u32_e32 v27, 28, v21
	v_lshlrev_b64_e32 v[28:29], v27, v[6:7]
	s_delay_alu instid0(VALU_DEP_1)
	v_dual_sub_nc_u32 v27, 29, v21 :: v_dual_bitop2_b32 v21, 7, v28 bitop3:0x40
; %bb.287:                              ;   in Loop: Header=BB237_241 Depth=1
	s_or_b32 exec_lo, exec_lo, s25
	s_delay_alu instid0(VALU_DEP_1) | instskip(NEXT) | instid1(VALU_DEP_2)
	v_dual_lshlrev_b32 v6, 8, v22 :: v_dual_lshlrev_b32 v21, 23, v21
	v_lshl_add_u32 v22, v27, 10, 0x2000
	s_delay_alu instid0(VALU_DEP_1) | instskip(NEXT) | instid1(VALU_DEP_1)
	v_and_or_b32 v6, 0x8000, v6, v22
	v_lshl_or_b32 v21, v6, 16, v21
.LBB237_288:                            ;   in Loop: Header=BB237_241 Depth=1
	s_or_b32 exec_lo, exec_lo, s24
.LBB237_289:                            ;   in Loop: Header=BB237_241 Depth=1
	s_delay_alu instid0(SALU_CYCLE_1)
	s_or_b32 exec_lo, exec_lo, s23
.LBB237_290:                            ;   in Loop: Header=BB237_241 Depth=1
	s_delay_alu instid0(SALU_CYCLE_1) | instskip(SKIP_2) | instid1(VALU_DEP_1)
	s_or_b32 exec_lo, exec_lo, s0
	v_lshrrev_b32_e32 v6, 16, v17
	s_mov_b32 s0, exec_lo
	v_and_b32_e32 v22, 0xff, v6
	s_delay_alu instid0(VALU_DEP_1)
	v_cmpx_ne_u16_e32 0, v22
	s_cbranch_execz .LBB237_298
; %bb.291:                              ;   in Loop: Header=BB237_241 Depth=1
	v_mov_b32_e32 v20, 0x8000
	s_mov_b32 s23, exec_lo
	v_cmpx_ne_u16_e32 0x80, v22
	s_cbranch_execz .LBB237_297
; %bb.292:                              ;   in Loop: Header=BB237_241 Depth=1
	v_bfe_u32 v27, v17, 16, 7
	v_mov_b32_e32 v20, 0x7c01
	s_mov_b32 s24, exec_lo
	s_delay_alu instid0(VALU_DEP_2)
	v_cmpx_ne_u32_e32 0x7f, v27
	s_cbranch_execz .LBB237_296
; %bb.293:                              ;   in Loop: Header=BB237_241 Depth=1
	v_dual_lshrrev_b32 v22, 3, v27 :: v_dual_bitop2_b32 v20, 7, v6 bitop3:0x40
	s_mov_b32 s25, exec_lo
	v_cmpx_gt_u32_e32 8, v27
; %bb.294:                              ;   in Loop: Header=BB237_241 Depth=1
	s_delay_alu instid0(VALU_DEP_2) | instskip(NEXT) | instid1(VALU_DEP_1)
	v_clz_i32_u32_e32 v20, v20
	v_min_u32_e32 v20, 32, v20
	s_delay_alu instid0(VALU_DEP_1) | instskip(NEXT) | instid1(VALU_DEP_1)
	v_subrev_nc_u32_e32 v22, 28, v20
	v_lshlrev_b64_e32 v[28:29], v22, v[6:7]
	v_sub_nc_u32_e32 v22, 29, v20
	s_delay_alu instid0(VALU_DEP_2)
	v_and_b32_e32 v20, 7, v28
; %bb.295:                              ;   in Loop: Header=BB237_241 Depth=1
	s_or_b32 exec_lo, exec_lo, s25
	s_delay_alu instid0(VALU_DEP_1) | instskip(NEXT) | instid1(VALU_DEP_3)
	v_dual_lshlrev_b32 v6, 8, v6 :: v_dual_lshlrev_b32 v20, 7, v20
	v_lshl_add_u32 v22, v22, 10, 0x2000
	s_delay_alu instid0(VALU_DEP_2) | instskip(NEXT) | instid1(VALU_DEP_2)
	v_and_b32_e32 v6, 0x8000, v6
	v_and_b32_e32 v22, 0xfc00, v22
	s_delay_alu instid0(VALU_DEP_1)
	v_or3_b32 v20, v6, v22, v20
.LBB237_296:                            ;   in Loop: Header=BB237_241 Depth=1
	s_or_b32 exec_lo, exec_lo, s24
.LBB237_297:                            ;   in Loop: Header=BB237_241 Depth=1
	s_delay_alu instid0(SALU_CYCLE_1)
	s_or_b32 exec_lo, exec_lo, s23
.LBB237_298:                            ;   in Loop: Header=BB237_241 Depth=1
	s_delay_alu instid0(SALU_CYCLE_1)
	s_or_b32 exec_lo, exec_lo, s0
	v_cmp_lt_u64_e32 vcc_lo, s[8:9], v[16:17]
	v_mov_b32_e32 v16, 0
	s_and_saveexec_b32 s0, vcc_lo
	s_cbranch_execz .LBB237_306
; %bb.299:                              ;   in Loop: Header=BB237_241 Depth=1
	v_lshrrev_b32_e32 v6, 24, v17
	v_bfrev_b32_e32 v16, 1
	s_mov_b32 s23, exec_lo
	s_delay_alu instid0(VALU_DEP_2)
	v_cmpx_ne_u32_e32 0x80, v6
	s_cbranch_execz .LBB237_305
; %bb.300:                              ;   in Loop: Header=BB237_241 Depth=1
	v_and_b32_e32 v22, 0x7f, v6
	v_mov_b32_e32 v16, 0x7c010000
	s_mov_b32 s24, exec_lo
	s_delay_alu instid0(VALU_DEP_2)
	v_cmpx_ne_u32_e32 0x7f, v22
	s_cbranch_execz .LBB237_304
; %bb.301:                              ;   in Loop: Header=BB237_241 Depth=1
	v_and_b32_e32 v16, 7, v6
	v_lshrrev_b32_e32 v17, 3, v22
	s_mov_b32 s25, exec_lo
	v_cmpx_gt_u32_e32 8, v22
; %bb.302:                              ;   in Loop: Header=BB237_241 Depth=1
	s_delay_alu instid0(VALU_DEP_3) | instskip(NEXT) | instid1(VALU_DEP_1)
	v_clz_i32_u32_e32 v16, v16
	v_min_u32_e32 v22, 32, v16
	s_delay_alu instid0(VALU_DEP_1) | instskip(NEXT) | instid1(VALU_DEP_1)
	v_subrev_nc_u32_e32 v16, 28, v22
	v_lshlrev_b64_e32 v[16:17], v16, v[6:7]
	s_delay_alu instid0(VALU_DEP_1)
	v_dual_sub_nc_u32 v17, 29, v22 :: v_dual_bitop2_b32 v16, 7, v16 bitop3:0x40
; %bb.303:                              ;   in Loop: Header=BB237_241 Depth=1
	s_or_b32 exec_lo, exec_lo, s25
	s_delay_alu instid0(VALU_DEP_1) | instskip(NEXT) | instid1(VALU_DEP_2)
	v_dual_lshlrev_b32 v6, 8, v6 :: v_dual_lshlrev_b32 v16, 23, v16
	v_lshl_add_u32 v17, v17, 10, 0x2000
	s_delay_alu instid0(VALU_DEP_1) | instskip(NEXT) | instid1(VALU_DEP_1)
	v_and_or_b32 v6, 0x8000, v6, v17
	v_lshl_or_b32 v16, v6, 16, v16
.LBB237_304:                            ;   in Loop: Header=BB237_241 Depth=1
	s_or_b32 exec_lo, exec_lo, s24
.LBB237_305:                            ;   in Loop: Header=BB237_241 Depth=1
	s_delay_alu instid0(SALU_CYCLE_1)
	s_or_b32 exec_lo, exec_lo, s23
.LBB237_306:                            ;   in Loop: Header=BB237_241 Depth=1
	s_delay_alu instid0(SALU_CYCLE_1) | instskip(SKIP_3) | instid1(VALU_DEP_3)
	s_or_b32 exec_lo, exec_lo, s0
	v_dual_lshrrev_b32 v6, 16, v1 :: v_dual_lshrrev_b32 v17, 16, v15
	v_or_b32_e32 v1, v1, v3
	v_dual_lshrrev_b32 v18, 16, v16 :: v_dual_bitop2_b32 v3, v15, v18 bitop3:0x54
	v_cvt_f32_f16_e32 v29, v6
	s_delay_alu instid0(VALU_DEP_4)
	v_cvt_f32_f16_e32 v28, v17
	v_lshrrev_b32_e32 v15, 16, v21
	v_cvt_f32_f16_e32 v17, v1
	v_cvt_f32_f16_e32 v18, v18
	v_cmp_eq_u32_e32 vcc_lo, s28, v26
	v_or_b32_e32 v32, 1, v2
	v_pk_mul_f32 v[28:29], v[14:15], v[28:29] op_sel_hi:[0,1]
	v_or_b32_e32 v31, 3, v2
	v_or_b32_e32 v30, 4, v2
	v_dual_add_nc_u32 v33, 2, v2 :: v_dual_bitop2_b32 v27, 7, v2 bitop3:0x54
	s_delay_alu instid0(VALU_DEP_4) | instskip(SKIP_4) | instid1(VALU_DEP_4)
	v_cvt_pk_f16_f32 v1, v28, v29
	v_or_b32_e32 v6, v16, v20
	v_cvt_f32_f16_e32 v16, v3
	v_or_b32_e32 v3, v21, v19
	v_cvt_f32_f16_e32 v19, v15
	v_cvt_f32_f16_e32 v20, v6
	s_delay_alu instid0(VALU_DEP_4) | instskip(NEXT) | instid1(VALU_DEP_4)
	v_pk_mul_f32 v[16:17], v[14:15], v[16:17] op_sel_hi:[0,1]
	v_cvt_f32_f16_e32 v21, v3
	s_delay_alu instid0(VALU_DEP_4) | instskip(SKIP_1) | instid1(VALU_DEP_4)
	v_pk_mul_f32 v[28:29], v[14:15], v[18:19] op_sel_hi:[0,1]
	v_and_b32_e32 v19, 0xffff0000, v1
	v_cvt_pk_f16_f32 v3, v16, v17
	s_delay_alu instid0(VALU_DEP_4) | instskip(NEXT) | instid1(VALU_DEP_4)
	v_pk_mul_f32 v[14:15], v[14:15], v[20:21] op_sel_hi:[0,1]
	v_cvt_pk_f16_f32 v6, v28, v29
	v_dual_lshlrev_b32 v20, 16, v1 :: v_dual_bitop2_b32 v29, 6, v2 bitop3:0x54
	s_delay_alu instid0(VALU_DEP_4) | instskip(NEXT) | instid1(VALU_DEP_4)
	v_and_b32_e32 v22, 0xffff, v3
	v_cvt_pk_f16_f32 v14, v14, v15
	v_lshrrev_b32_e32 v21, 16, v3
	v_and_b32_e32 v1, 0xffff0000, v6
	v_lshlrev_b32_e32 v6, 16, v6
	v_or_b32_e32 v16, v20, v22
	v_lshrrev_b32_e32 v17, 16, v14
	v_and_b32_e32 v18, 0xffff, v14
	v_or_b32_e32 v15, v19, v21
	v_or_b32_e32 v28, 5, v2
	s_delay_alu instid0(VALU_DEP_4) | instskip(NEXT) | instid1(VALU_DEP_4)
	v_or_b32_e32 v3, v1, v17
	v_or_b32_e32 v14, v6, v18
	s_and_saveexec_b32 s23, vcc_lo
	s_cbranch_execz .LBB237_308
; %bb.307:                              ;   in Loop: Header=BB237_241 Depth=1
	v_cmp_gt_i32_e64 s0, s18, v2
	s_delay_alu instid0(VALU_DEP_1) | instskip(SKIP_1) | instid1(VALU_DEP_1)
	v_cndmask_b32_e64 v3, 0, v21, s0
	v_cmp_gt_i32_e64 s0, s34, v33
	v_cndmask_b32_e64 v14, 0, v22, s0
	v_cmp_gt_i32_e64 s0, s18, v32
	s_delay_alu instid0(VALU_DEP_1) | instskip(SKIP_1) | instid1(VALU_DEP_1)
	v_cndmask_b32_e64 v15, 0, v19, s0
	v_cmp_gt_i32_e64 s0, s34, v31
	v_cndmask_b32_e64 v16, 0, v20, s0
	v_cmp_gt_i32_e64 s0, s18, v30
	s_delay_alu instid0(VALU_DEP_4) | instskip(NEXT) | instid1(VALU_DEP_2)
	v_or_b32_e32 v15, v15, v3
	v_dual_cndmask_b32 v17, 0, v17, s0 :: v_dual_bitop2_b32 v16, v16, v14 bitop3:0x54
	v_cmp_gt_i32_e64 s0, s34, v29
	s_delay_alu instid0(VALU_DEP_1) | instskip(SKIP_1) | instid1(VALU_DEP_1)
	v_cndmask_b32_e64 v18, 0, v18, s0
	v_cmp_gt_i32_e64 s0, s18, v28
	v_cndmask_b32_e64 v1, 0, v1, s0
	v_cmp_gt_i32_e64 s0, s34, v27
	s_delay_alu instid0(VALU_DEP_1) | instskip(NEXT) | instid1(VALU_DEP_1)
	v_dual_cndmask_b32 v6, 0, v6, s0 :: v_dual_bitop2_b32 v3, v1, v17 bitop3:0x54
	v_or_b32_e32 v14, v6, v18
.LBB237_308:                            ;   in Loop: Header=BB237_241 Depth=1
	s_or_b32 exec_lo, exec_lo, s23
	v_and_b32_e32 v1, 0xffff, v38
	v_and_b32_e32 v6, 0xffff, v39
	;; [unrolled: 1-line block ×4, first 2 shown]
	s_mov_b32 s23, exec_lo
	v_lshl_or_b32 v41, v34, 16, v1
	;;#ASMSTART
	v_pk_mul_f16 v1, v41, v15;

	;;#ASMEND
	v_lshl_or_b32 v39, v35, 16, v6
	v_lshl_or_b32 v38, v37, 16, v17
	;; [unrolled: 1-line block ×3, first 2 shown]
	;;#ASMSTART
	v_pk_mul_f16 v6, v39, v16;

	;;#ASMEND
	;;#ASMSTART
	v_pk_mul_f16 v3, v38, v3;

	;;#ASMEND
	;; [unrolled: 4-line block ×3, first 2 shown]
	;;#ASMSTART
	v_pk_add_f16 v1, v1, v6;

	;;#ASMEND
	;;#ASMSTART
	v_pk_add_f16 v1, v1, v3;

	;;#ASMEND
	;; [unrolled: 4-line block ×3, first 2 shown]
	v_and_b32_e32 v3, 0xffff, v1
	v_lshrrev_b32_e32 v1, 16, v1
	;;#ASMSTART
	v_cvt_f32_f16 v40, v3;
	;;#ASMEND
	v_mov_b32_e32 v3, 0
	;;#ASMSTART
	v_cvt_f32_f16 v42, v1;
	;;#ASMEND
	global_load_b64 v[16:17], v[12:13], off offset:256
	v_mov_b32_e32 v1, 0
	global_load_b32 v14, v1, s[10:11]
	s_wait_loadcnt 0x1
	v_and_b32_e32 v6, 0xff, v16
	s_wait_xcnt 0x0
	s_delay_alu instid0(VALU_DEP_1)
	v_cmpx_ne_u16_e32 0, v6
	s_cbranch_execz .LBB237_316
; %bb.309:                              ;   in Loop: Header=BB237_241 Depth=1
	v_mov_b32_e32 v3, 0x8000
	s_mov_b32 s24, exec_lo
	v_cmpx_ne_u16_e32 0x80, v6
	s_cbranch_execz .LBB237_315
; %bb.310:                              ;   in Loop: Header=BB237_241 Depth=1
	v_and_b32_e32 v15, 0x7f, v16
	v_mov_b32_e32 v3, 0x7c01
	s_mov_b32 s25, exec_lo
	s_delay_alu instid0(VALU_DEP_2)
	v_cmpx_ne_u32_e32 0x7f, v15
	s_cbranch_execz .LBB237_314
; %bb.311:                              ;   in Loop: Header=BB237_241 Depth=1
	v_dual_lshrrev_b32 v6, 3, v15 :: v_dual_bitop2_b32 v3, 7, v16 bitop3:0x40
	s_mov_b32 s26, exec_lo
	v_cmpx_gt_u32_e32 8, v15
; %bb.312:                              ;   in Loop: Header=BB237_241 Depth=1
	s_delay_alu instid0(VALU_DEP_2) | instskip(NEXT) | instid1(VALU_DEP_1)
	v_clz_i32_u32_e32 v3, v3
	v_min_u32_e32 v3, 32, v3
	s_delay_alu instid0(VALU_DEP_1) | instskip(NEXT) | instid1(VALU_DEP_1)
	v_subrev_nc_u32_e32 v6, 28, v3
	v_lshlrev_b64_e32 v[18:19], v6, v[16:17]
	s_delay_alu instid0(VALU_DEP_1)
	v_dual_sub_nc_u32 v6, 29, v3 :: v_dual_bitop2_b32 v3, 7, v18 bitop3:0x40
; %bb.313:                              ;   in Loop: Header=BB237_241 Depth=1
	s_or_b32 exec_lo, exec_lo, s26
	s_delay_alu instid0(VALU_DEP_1) | instskip(NEXT) | instid1(VALU_DEP_2)
	v_dual_lshlrev_b32 v15, 8, v16 :: v_dual_lshlrev_b32 v3, 7, v3
	v_lshl_add_u32 v6, v6, 10, 0x2000
	s_delay_alu instid0(VALU_DEP_2) | instskip(NEXT) | instid1(VALU_DEP_2)
	v_and_b32_e32 v15, 0x8000, v15
	v_and_b32_e32 v6, 0xfc00, v6
	s_delay_alu instid0(VALU_DEP_1)
	v_or3_b32 v3, v15, v6, v3
.LBB237_314:                            ;   in Loop: Header=BB237_241 Depth=1
	s_or_b32 exec_lo, exec_lo, s25
.LBB237_315:                            ;   in Loop: Header=BB237_241 Depth=1
	s_delay_alu instid0(SALU_CYCLE_1)
	s_or_b32 exec_lo, exec_lo, s24
.LBB237_316:                            ;   in Loop: Header=BB237_241 Depth=1
	s_delay_alu instid0(SALU_CYCLE_1) | instskip(SKIP_2) | instid1(VALU_DEP_1)
	s_or_b32 exec_lo, exec_lo, s23
	v_lshrrev_b16 v6, 8, v16
	s_mov_b32 s23, exec_lo
	v_cmpx_ne_u16_e32 0, v6
	s_cbranch_execz .LBB237_324
; %bb.317:                              ;   in Loop: Header=BB237_241 Depth=1
	v_bfrev_b32_e32 v1, 1
	s_mov_b32 s24, exec_lo
	v_cmpx_ne_u16_e32 0x80, v6
	s_cbranch_execz .LBB237_323
; %bb.318:                              ;   in Loop: Header=BB237_241 Depth=1
	v_and_b32_e32 v15, 0xffff, v6
	v_mov_b32_e32 v1, 0x7c010000
	s_mov_b32 s25, exec_lo
	s_delay_alu instid0(VALU_DEP_2) | instskip(NEXT) | instid1(VALU_DEP_1)
	v_and_b32_e32 v19, 0x7f, v15
	v_cmpx_ne_u32_e32 0x7f, v19
	s_cbranch_execz .LBB237_322
; %bb.319:                              ;   in Loop: Header=BB237_241 Depth=1
	v_and_b32_e32 v1, 7, v15
	v_lshrrev_b32_e32 v18, 3, v19
	s_mov_b32 s26, exec_lo
	v_cmpx_gt_u32_e32 8, v19
; %bb.320:                              ;   in Loop: Header=BB237_241 Depth=1
	s_delay_alu instid0(VALU_DEP_3) | instskip(NEXT) | instid1(VALU_DEP_1)
	v_clz_i32_u32_e32 v1, v1
	v_min_u32_e32 v1, 32, v1
	s_delay_alu instid0(VALU_DEP_1) | instskip(NEXT) | instid1(VALU_DEP_1)
	v_subrev_nc_u32_e32 v18, 28, v1
	v_lshlrev_b64_e32 v[20:21], v18, v[6:7]
	s_delay_alu instid0(VALU_DEP_1)
	v_dual_sub_nc_u32 v18, 29, v1 :: v_dual_bitop2_b32 v1, 7, v20 bitop3:0x40
; %bb.321:                              ;   in Loop: Header=BB237_241 Depth=1
	s_or_b32 exec_lo, exec_lo, s26
	s_delay_alu instid0(VALU_DEP_1) | instskip(NEXT) | instid1(VALU_DEP_2)
	v_dual_lshlrev_b32 v6, 8, v15 :: v_dual_lshlrev_b32 v1, 23, v1
	v_lshl_add_u32 v15, v18, 10, 0x2000
	s_delay_alu instid0(VALU_DEP_1) | instskip(NEXT) | instid1(VALU_DEP_1)
	v_and_or_b32 v6, 0x8000, v6, v15
	v_lshl_or_b32 v1, v6, 16, v1
.LBB237_322:                            ;   in Loop: Header=BB237_241 Depth=1
	s_or_b32 exec_lo, exec_lo, s25
.LBB237_323:                            ;   in Loop: Header=BB237_241 Depth=1
	s_delay_alu instid0(SALU_CYCLE_1)
	s_or_b32 exec_lo, exec_lo, s24
.LBB237_324:                            ;   in Loop: Header=BB237_241 Depth=1
	s_delay_alu instid0(SALU_CYCLE_1) | instskip(SKIP_3) | instid1(VALU_DEP_2)
	s_or_b32 exec_lo, exec_lo, s23
	v_dual_mov_b32 v15, 0 :: v_dual_lshrrev_b32 v6, 16, v16
	v_mov_b32_e32 v18, 0
	s_mov_b32 s23, exec_lo
	v_and_b32_e32 v19, 0xff, v6
	s_delay_alu instid0(VALU_DEP_1)
	v_cmpx_ne_u16_e32 0, v19
	s_cbranch_execz .LBB237_332
; %bb.325:                              ;   in Loop: Header=BB237_241 Depth=1
	v_mov_b32_e32 v18, 0x8000
	s_mov_b32 s24, exec_lo
	v_cmpx_ne_u16_e32 0x80, v19
	s_cbranch_execz .LBB237_331
; %bb.326:                              ;   in Loop: Header=BB237_241 Depth=1
	v_bfe_u32 v20, v16, 16, 7
	v_mov_b32_e32 v18, 0x7c01
	s_mov_b32 s25, exec_lo
	s_delay_alu instid0(VALU_DEP_2)
	v_cmpx_ne_u32_e32 0x7f, v20
	s_cbranch_execz .LBB237_330
; %bb.327:                              ;   in Loop: Header=BB237_241 Depth=1
	v_dual_lshrrev_b32 v19, 3, v20 :: v_dual_bitop2_b32 v18, 7, v6 bitop3:0x40
	s_mov_b32 s26, exec_lo
	v_cmpx_gt_u32_e32 8, v20
; %bb.328:                              ;   in Loop: Header=BB237_241 Depth=1
	s_delay_alu instid0(VALU_DEP_2) | instskip(NEXT) | instid1(VALU_DEP_1)
	v_clz_i32_u32_e32 v18, v18
	v_min_u32_e32 v20, 32, v18
	s_delay_alu instid0(VALU_DEP_1) | instskip(NEXT) | instid1(VALU_DEP_1)
	v_subrev_nc_u32_e32 v18, 28, v20
	v_lshlrev_b64_e32 v[18:19], v18, v[6:7]
	s_delay_alu instid0(VALU_DEP_1)
	v_dual_sub_nc_u32 v19, 29, v20 :: v_dual_bitop2_b32 v18, 7, v18 bitop3:0x40
; %bb.329:                              ;   in Loop: Header=BB237_241 Depth=1
	s_or_b32 exec_lo, exec_lo, s26
	v_lshlrev_b32_e32 v6, 8, v6
	s_delay_alu instid0(VALU_DEP_2) | instskip(NEXT) | instid1(VALU_DEP_3)
	v_lshl_add_u32 v19, v19, 10, 0x2000
	v_lshlrev_b32_e32 v18, 7, v18
	s_delay_alu instid0(VALU_DEP_3) | instskip(NEXT) | instid1(VALU_DEP_3)
	v_and_b32_e32 v6, 0x8000, v6
	v_and_b32_e32 v19, 0xfc00, v19
	s_delay_alu instid0(VALU_DEP_1)
	v_or3_b32 v18, v6, v19, v18
.LBB237_330:                            ;   in Loop: Header=BB237_241 Depth=1
	s_or_b32 exec_lo, exec_lo, s25
.LBB237_331:                            ;   in Loop: Header=BB237_241 Depth=1
	s_delay_alu instid0(SALU_CYCLE_1)
	s_or_b32 exec_lo, exec_lo, s24
.LBB237_332:                            ;   in Loop: Header=BB237_241 Depth=1
	s_delay_alu instid0(SALU_CYCLE_1) | instskip(NEXT) | instid1(SALU_CYCLE_1)
	s_or_b32 exec_lo, exec_lo, s23
	s_mov_b32 s23, exec_lo
	v_cmpx_lt_u32_e32 0xffffff, v16
	s_cbranch_execz .LBB237_340
; %bb.333:                              ;   in Loop: Header=BB237_241 Depth=1
	v_lshrrev_b32_e32 v6, 24, v16
	v_bfrev_b32_e32 v15, 1
	s_mov_b32 s24, exec_lo
	s_delay_alu instid0(VALU_DEP_2)
	v_cmpx_ne_u32_e32 0x80, v6
	s_cbranch_execz .LBB237_339
; %bb.334:                              ;   in Loop: Header=BB237_241 Depth=1
	v_and_b32_e32 v20, 0x7f, v6
	v_mov_b32_e32 v15, 0x7c010000
	s_mov_b32 s25, exec_lo
	s_delay_alu instid0(VALU_DEP_2)
	v_cmpx_ne_u32_e32 0x7f, v20
	s_cbranch_execz .LBB237_338
; %bb.335:                              ;   in Loop: Header=BB237_241 Depth=1
	v_dual_lshrrev_b32 v19, 3, v20 :: v_dual_bitop2_b32 v15, 7, v6 bitop3:0x40
	s_mov_b32 s26, exec_lo
	v_cmpx_gt_u32_e32 8, v20
; %bb.336:                              ;   in Loop: Header=BB237_241 Depth=1
	s_delay_alu instid0(VALU_DEP_2) | instskip(NEXT) | instid1(VALU_DEP_1)
	v_clz_i32_u32_e32 v15, v15
	v_min_u32_e32 v15, 32, v15
	s_delay_alu instid0(VALU_DEP_1) | instskip(NEXT) | instid1(VALU_DEP_1)
	v_subrev_nc_u32_e32 v19, 28, v15
	v_lshlrev_b64_e32 v[20:21], v19, v[6:7]
	s_delay_alu instid0(VALU_DEP_1)
	v_dual_sub_nc_u32 v19, 29, v15 :: v_dual_bitop2_b32 v15, 7, v20 bitop3:0x40
; %bb.337:                              ;   in Loop: Header=BB237_241 Depth=1
	s_or_b32 exec_lo, exec_lo, s26
	s_delay_alu instid0(VALU_DEP_1) | instskip(NEXT) | instid1(VALU_DEP_2)
	v_dual_lshlrev_b32 v6, 8, v6 :: v_dual_lshlrev_b32 v15, 23, v15
	v_lshl_add_u32 v19, v19, 10, 0x2000
	s_delay_alu instid0(VALU_DEP_1) | instskip(NEXT) | instid1(VALU_DEP_1)
	v_and_or_b32 v6, 0x8000, v6, v19
	v_lshl_or_b32 v15, v6, 16, v15
.LBB237_338:                            ;   in Loop: Header=BB237_241 Depth=1
	s_or_b32 exec_lo, exec_lo, s25
.LBB237_339:                            ;   in Loop: Header=BB237_241 Depth=1
	s_delay_alu instid0(SALU_CYCLE_1)
	s_or_b32 exec_lo, exec_lo, s24
.LBB237_340:                            ;   in Loop: Header=BB237_241 Depth=1
	s_delay_alu instid0(SALU_CYCLE_1) | instskip(SKIP_4) | instid1(VALU_DEP_3)
	s_or_b32 exec_lo, exec_lo, s23
	v_and_b32_e32 v21, 0xff, v17
	v_dual_mov_b32 v6, v17 :: v_dual_mov_b32 v20, 0
	v_mov_b32_e32 v19, 0
	s_mov_b32 s23, exec_lo
	v_cmpx_ne_u16_e32 0, v21
	s_cbranch_execz .LBB237_348
; %bb.341:                              ;   in Loop: Header=BB237_241 Depth=1
	v_mov_b32_e32 v19, 0x8000
	s_mov_b32 s24, exec_lo
	v_cmpx_ne_u16_e32 0x80, v21
	s_cbranch_execz .LBB237_347
; %bb.342:                              ;   in Loop: Header=BB237_241 Depth=1
	v_and_b32_e32 v22, 0x7f, v17
	v_mov_b32_e32 v19, 0x7c01
	s_mov_b32 s25, exec_lo
	s_delay_alu instid0(VALU_DEP_2)
	v_cmpx_ne_u32_e32 0x7f, v22
	s_cbranch_execz .LBB237_346
; %bb.343:                              ;   in Loop: Header=BB237_241 Depth=1
	v_dual_lshrrev_b32 v21, 3, v22 :: v_dual_bitop2_b32 v19, 7, v17 bitop3:0x40
	s_mov_b32 s26, exec_lo
	v_cmpx_gt_u32_e32 8, v22
; %bb.344:                              ;   in Loop: Header=BB237_241 Depth=1
	s_delay_alu instid0(VALU_DEP_2) | instskip(NEXT) | instid1(VALU_DEP_1)
	v_clz_i32_u32_e32 v19, v19
	v_min_u32_e32 v19, 32, v19
	s_delay_alu instid0(VALU_DEP_1) | instskip(NEXT) | instid1(VALU_DEP_1)
	v_subrev_nc_u32_e32 v21, 28, v19
	v_lshlrev_b64_e32 v[34:35], v21, v[6:7]
	s_delay_alu instid0(VALU_DEP_1)
	v_dual_sub_nc_u32 v21, 29, v19 :: v_dual_bitop2_b32 v19, 7, v34 bitop3:0x40
; %bb.345:                              ;   in Loop: Header=BB237_241 Depth=1
	s_or_b32 exec_lo, exec_lo, s26
	s_delay_alu instid0(VALU_DEP_1) | instskip(NEXT) | instid1(VALU_DEP_2)
	v_dual_lshlrev_b32 v22, 8, v17 :: v_dual_lshlrev_b32 v19, 7, v19
	v_lshl_add_u32 v21, v21, 10, 0x2000
	s_delay_alu instid0(VALU_DEP_2) | instskip(NEXT) | instid1(VALU_DEP_2)
	v_and_b32_e32 v22, 0x8000, v22
	v_and_b32_e32 v21, 0xfc00, v21
	s_delay_alu instid0(VALU_DEP_1)
	v_or3_b32 v19, v22, v21, v19
.LBB237_346:                            ;   in Loop: Header=BB237_241 Depth=1
	s_or_b32 exec_lo, exec_lo, s25
.LBB237_347:                            ;   in Loop: Header=BB237_241 Depth=1
	s_delay_alu instid0(SALU_CYCLE_1)
	s_or_b32 exec_lo, exec_lo, s24
.LBB237_348:                            ;   in Loop: Header=BB237_241 Depth=1
	s_delay_alu instid0(SALU_CYCLE_1) | instskip(SKIP_3) | instid1(VALU_DEP_2)
	s_or_b32 exec_lo, exec_lo, s23
	v_lshrrev_b16 v6, 8, v6
	v_mov_b32_e32 v21, 0
	s_mov_b32 s23, exec_lo
	v_cmpx_ne_u16_e32 0, v6
	s_cbranch_execz .LBB237_356
; %bb.349:                              ;   in Loop: Header=BB237_241 Depth=1
	v_bfrev_b32_e32 v21, 1
	s_mov_b32 s24, exec_lo
	v_cmpx_ne_u16_e32 0x80, v6
	s_cbranch_execz .LBB237_355
; %bb.350:                              ;   in Loop: Header=BB237_241 Depth=1
	v_and_b32_e32 v22, 0xffff, v6
	v_mov_b32_e32 v21, 0x7c010000
	s_mov_b32 s25, exec_lo
	s_delay_alu instid0(VALU_DEP_2) | instskip(NEXT) | instid1(VALU_DEP_1)
	v_and_b32_e32 v35, 0x7f, v22
	v_cmpx_ne_u32_e32 0x7f, v35
	s_cbranch_execz .LBB237_354
; %bb.351:                              ;   in Loop: Header=BB237_241 Depth=1
	v_dual_lshrrev_b32 v34, 3, v35 :: v_dual_bitop2_b32 v21, 7, v22 bitop3:0x40
	s_mov_b32 s26, exec_lo
	v_cmpx_gt_u32_e32 8, v35
; %bb.352:                              ;   in Loop: Header=BB237_241 Depth=1
	s_delay_alu instid0(VALU_DEP_2) | instskip(NEXT) | instid1(VALU_DEP_1)
	v_clz_i32_u32_e32 v21, v21
	v_min_u32_e32 v21, 32, v21
	s_delay_alu instid0(VALU_DEP_1) | instskip(NEXT) | instid1(VALU_DEP_1)
	v_subrev_nc_u32_e32 v34, 28, v21
	v_lshlrev_b64_e32 v[44:45], v34, v[6:7]
	s_delay_alu instid0(VALU_DEP_1)
	v_dual_sub_nc_u32 v34, 29, v21 :: v_dual_bitop2_b32 v21, 7, v44 bitop3:0x40
; %bb.353:                              ;   in Loop: Header=BB237_241 Depth=1
	s_or_b32 exec_lo, exec_lo, s26
	s_delay_alu instid0(VALU_DEP_1) | instskip(NEXT) | instid1(VALU_DEP_2)
	v_dual_lshlrev_b32 v6, 8, v22 :: v_dual_lshlrev_b32 v21, 23, v21
	v_lshl_add_u32 v22, v34, 10, 0x2000
	s_delay_alu instid0(VALU_DEP_1) | instskip(NEXT) | instid1(VALU_DEP_1)
	v_and_or_b32 v6, 0x8000, v6, v22
	v_lshl_or_b32 v21, v6, 16, v21
.LBB237_354:                            ;   in Loop: Header=BB237_241 Depth=1
	s_or_b32 exec_lo, exec_lo, s25
.LBB237_355:                            ;   in Loop: Header=BB237_241 Depth=1
	s_delay_alu instid0(SALU_CYCLE_1)
	s_or_b32 exec_lo, exec_lo, s24
.LBB237_356:                            ;   in Loop: Header=BB237_241 Depth=1
	s_delay_alu instid0(SALU_CYCLE_1) | instskip(SKIP_2) | instid1(VALU_DEP_1)
	s_or_b32 exec_lo, exec_lo, s23
	v_lshrrev_b32_e32 v6, 16, v17
	s_mov_b32 s23, exec_lo
	v_and_b32_e32 v22, 0xff, v6
	s_delay_alu instid0(VALU_DEP_1)
	v_cmpx_ne_u16_e32 0, v22
	s_cbranch_execz .LBB237_364
; %bb.357:                              ;   in Loop: Header=BB237_241 Depth=1
	v_mov_b32_e32 v20, 0x8000
	s_mov_b32 s24, exec_lo
	v_cmpx_ne_u16_e32 0x80, v22
	s_cbranch_execz .LBB237_363
; %bb.358:                              ;   in Loop: Header=BB237_241 Depth=1
	v_bfe_u32 v34, v17, 16, 7
	v_mov_b32_e32 v20, 0x7c01
	s_mov_b32 s25, exec_lo
	s_delay_alu instid0(VALU_DEP_2)
	v_cmpx_ne_u32_e32 0x7f, v34
	s_cbranch_execz .LBB237_362
; %bb.359:                              ;   in Loop: Header=BB237_241 Depth=1
	v_and_b32_e32 v20, 7, v6
	v_lshrrev_b32_e32 v22, 3, v34
	s_mov_b32 s26, exec_lo
	v_cmpx_gt_u32_e32 8, v34
; %bb.360:                              ;   in Loop: Header=BB237_241 Depth=1
	s_delay_alu instid0(VALU_DEP_3) | instskip(NEXT) | instid1(VALU_DEP_1)
	v_clz_i32_u32_e32 v20, v20
	v_min_u32_e32 v20, 32, v20
	s_delay_alu instid0(VALU_DEP_1) | instskip(NEXT) | instid1(VALU_DEP_1)
	v_subrev_nc_u32_e32 v22, 28, v20
	v_lshlrev_b64_e32 v[34:35], v22, v[6:7]
	s_delay_alu instid0(VALU_DEP_1)
	v_dual_sub_nc_u32 v22, 29, v20 :: v_dual_bitop2_b32 v20, 7, v34 bitop3:0x40
; %bb.361:                              ;   in Loop: Header=BB237_241 Depth=1
	s_or_b32 exec_lo, exec_lo, s26
	s_delay_alu instid0(VALU_DEP_1) | instskip(NEXT) | instid1(VALU_DEP_2)
	v_dual_lshlrev_b32 v6, 8, v6 :: v_dual_lshlrev_b32 v20, 7, v20
	v_lshl_add_u32 v22, v22, 10, 0x2000
	s_delay_alu instid0(VALU_DEP_2) | instskip(NEXT) | instid1(VALU_DEP_2)
	v_and_b32_e32 v6, 0x8000, v6
	v_and_b32_e32 v22, 0xfc00, v22
	s_delay_alu instid0(VALU_DEP_1)
	v_or3_b32 v20, v6, v22, v20
.LBB237_362:                            ;   in Loop: Header=BB237_241 Depth=1
	s_or_b32 exec_lo, exec_lo, s25
.LBB237_363:                            ;   in Loop: Header=BB237_241 Depth=1
	s_delay_alu instid0(SALU_CYCLE_1)
	s_or_b32 exec_lo, exec_lo, s24
.LBB237_364:                            ;   in Loop: Header=BB237_241 Depth=1
	s_delay_alu instid0(SALU_CYCLE_1)
	s_or_b32 exec_lo, exec_lo, s23
	v_cmp_lt_u64_e64 s0, s[8:9], v[16:17]
	v_mov_b32_e32 v16, 0
	s_and_saveexec_b32 s23, s0
	s_cbranch_execz .LBB237_372
; %bb.365:                              ;   in Loop: Header=BB237_241 Depth=1
	v_lshrrev_b32_e32 v6, 24, v17
	v_bfrev_b32_e32 v16, 1
	s_mov_b32 s24, exec_lo
	s_delay_alu instid0(VALU_DEP_2)
	v_cmpx_ne_u32_e32 0x80, v6
	s_cbranch_execz .LBB237_371
; %bb.366:                              ;   in Loop: Header=BB237_241 Depth=1
	v_and_b32_e32 v22, 0x7f, v6
	v_mov_b32_e32 v16, 0x7c010000
	s_mov_b32 s25, exec_lo
	s_delay_alu instid0(VALU_DEP_2)
	v_cmpx_ne_u32_e32 0x7f, v22
	s_cbranch_execz .LBB237_370
; %bb.367:                              ;   in Loop: Header=BB237_241 Depth=1
	v_and_b32_e32 v16, 7, v6
	v_lshrrev_b32_e32 v17, 3, v22
	s_mov_b32 s26, exec_lo
	v_cmpx_gt_u32_e32 8, v22
; %bb.368:                              ;   in Loop: Header=BB237_241 Depth=1
	s_delay_alu instid0(VALU_DEP_3) | instskip(NEXT) | instid1(VALU_DEP_1)
	v_clz_i32_u32_e32 v16, v16
	v_min_u32_e32 v22, 32, v16
	s_delay_alu instid0(VALU_DEP_1) | instskip(NEXT) | instid1(VALU_DEP_1)
	v_subrev_nc_u32_e32 v16, 28, v22
	v_lshlrev_b64_e32 v[16:17], v16, v[6:7]
	s_delay_alu instid0(VALU_DEP_1)
	v_dual_sub_nc_u32 v17, 29, v22 :: v_dual_bitop2_b32 v16, 7, v16 bitop3:0x40
; %bb.369:                              ;   in Loop: Header=BB237_241 Depth=1
	s_or_b32 exec_lo, exec_lo, s26
	s_delay_alu instid0(VALU_DEP_1) | instskip(NEXT) | instid1(VALU_DEP_2)
	v_dual_lshlrev_b32 v6, 8, v6 :: v_dual_lshlrev_b32 v16, 23, v16
	v_lshl_add_u32 v17, v17, 10, 0x2000
	s_delay_alu instid0(VALU_DEP_1) | instskip(NEXT) | instid1(VALU_DEP_1)
	v_and_or_b32 v6, 0x8000, v6, v17
	v_lshl_or_b32 v16, v6, 16, v16
.LBB237_370:                            ;   in Loop: Header=BB237_241 Depth=1
	s_or_b32 exec_lo, exec_lo, s25
.LBB237_371:                            ;   in Loop: Header=BB237_241 Depth=1
	s_delay_alu instid0(SALU_CYCLE_1)
	s_or_b32 exec_lo, exec_lo, s24
.LBB237_372:                            ;   in Loop: Header=BB237_241 Depth=1
	s_delay_alu instid0(SALU_CYCLE_1) | instskip(SKIP_3) | instid1(VALU_DEP_3)
	s_or_b32 exec_lo, exec_lo, s23
	v_dual_lshrrev_b32 v6, 16, v1 :: v_dual_lshrrev_b32 v17, 16, v15
	v_or_b32_e32 v1, v1, v3
	v_dual_lshrrev_b32 v18, 16, v16 :: v_dual_bitop2_b32 v3, v15, v18 bitop3:0x54
	v_cvt_f32_f16_e32 v35, v6
	s_delay_alu instid0(VALU_DEP_4) | instskip(SKIP_4) | instid1(VALU_DEP_3)
	v_cvt_f32_f16_e32 v34, v17
	v_lshrrev_b32_e32 v15, 16, v21
	v_cvt_f32_f16_e32 v17, v1
	v_cvt_f32_f16_e32 v18, v18
	s_wait_loadcnt 0x0
	v_pk_mul_f32 v[34:35], v[14:15], v[34:35] op_sel_hi:[0,1]
	s_delay_alu instid0(VALU_DEP_1) | instskip(SKIP_4) | instid1(VALU_DEP_3)
	v_cvt_pk_f16_f32 v1, v34, v35
	v_or_b32_e32 v6, v16, v20
	v_cvt_f32_f16_e32 v16, v3
	v_or_b32_e32 v3, v21, v19
	v_cvt_f32_f16_e32 v19, v15
	v_pk_mul_f32 v[16:17], v[14:15], v[16:17] op_sel_hi:[0,1]
	s_delay_alu instid0(VALU_DEP_3) | instskip(NEXT) | instid1(VALU_DEP_3)
	v_cvt_f32_f16_e32 v21, v3
	v_pk_mul_f32 v[18:19], v[14:15], v[18:19] op_sel_hi:[0,1]
	s_delay_alu instid0(VALU_DEP_3) | instskip(SKIP_2) | instid1(VALU_DEP_4)
	v_cvt_pk_f16_f32 v3, v16, v17
	v_lshlrev_b32_e32 v16, 16, v1
	v_cvt_f32_f16_e32 v20, v6
	v_cvt_pk_f16_f32 v6, v18, v19
	s_delay_alu instid0(VALU_DEP_4) | instskip(NEXT) | instid1(VALU_DEP_3)
	v_and_b32_e32 v22, 0xffff, v3
	v_pk_mul_f32 v[20:21], v[14:15], v[20:21] op_sel_hi:[0,1]
	v_and_b32_e32 v15, 0xffff0000, v1
	s_delay_alu instid0(VALU_DEP_4) | instskip(SKIP_1) | instid1(VALU_DEP_4)
	v_and_b32_e32 v1, 0xffff0000, v6
	v_lshlrev_b32_e32 v6, 16, v6
	v_cvt_pk_f16_f32 v14, v20, v21
	v_dual_lshrrev_b32 v21, 16, v3 :: v_dual_bitop2_b32 v20, v16, v22 bitop3:0x54
	s_delay_alu instid0(VALU_DEP_2) | instskip(SKIP_1) | instid1(VALU_DEP_3)
	v_lshrrev_b32_e32 v3, 16, v14
	v_and_b32_e32 v14, 0xffff, v14
	v_or_b32_e32 v19, v15, v21
	s_delay_alu instid0(VALU_DEP_3) | instskip(NEXT) | instid1(VALU_DEP_3)
	v_or_b32_e32 v17, v1, v3
	v_or_b32_e32 v18, v6, v14
	s_and_saveexec_b32 s23, vcc_lo
	s_cbranch_execz .LBB237_374
; %bb.373:                              ;   in Loop: Header=BB237_241 Depth=1
	v_cmp_gt_i32_e64 s0, s18, v2
	s_delay_alu instid0(VALU_DEP_1) | instskip(SKIP_1) | instid1(VALU_DEP_1)
	v_cndmask_b32_e64 v17, 0, v21, s0
	v_cmp_gt_i32_e64 s0, s34, v33
	v_cndmask_b32_e64 v18, 0, v22, s0
	v_cmp_gt_i32_e64 s0, s18, v32
	s_delay_alu instid0(VALU_DEP_1) | instskip(SKIP_1) | instid1(VALU_DEP_1)
	v_cndmask_b32_e64 v15, 0, v15, s0
	v_cmp_gt_i32_e64 s0, s34, v31
	v_cndmask_b32_e64 v16, 0, v16, s0
	v_cmp_gt_i32_e64 s0, s18, v30
	s_delay_alu instid0(VALU_DEP_4) | instskip(NEXT) | instid1(VALU_DEP_2)
	v_or_b32_e32 v19, v15, v17
	v_dual_cndmask_b32 v3, 0, v3, s0 :: v_dual_bitop2_b32 v20, v16, v18 bitop3:0x54
	v_cmp_gt_i32_e64 s0, s34, v29
	s_delay_alu instid0(VALU_DEP_1) | instskip(SKIP_1) | instid1(VALU_DEP_1)
	v_cndmask_b32_e64 v14, 0, v14, s0
	v_cmp_gt_i32_e64 s0, s18, v28
	v_cndmask_b32_e64 v1, 0, v1, s0
	v_cmp_gt_i32_e64 s0, s34, v27
	s_delay_alu instid0(VALU_DEP_1) | instskip(NEXT) | instid1(VALU_DEP_1)
	v_dual_cndmask_b32 v6, 0, v6, s0 :: v_dual_bitop2_b32 v17, v1, v3 bitop3:0x54
	v_or_b32_e32 v18, v6, v14
.LBB237_374:                            ;   in Loop: Header=BB237_241 Depth=1
	s_or_b32 exec_lo, exec_lo, s23
	;;#ASMSTART
	v_pk_mul_f16 v1, v41, v19;

	;;#ASMEND
	;;#ASMSTART
	v_pk_mul_f16 v3, v39, v20;

	;;#ASMEND
	;;#ASMSTART
	v_pk_mul_f16 v6, v38, v17;

	;;#ASMEND
	;;#ASMSTART
	v_pk_mul_f16 v14, v37, v18;

	;;#ASMEND
	;;#ASMSTART
	v_pk_add_f16 v1, v1, v3;

	;;#ASMEND
	;;#ASMSTART
	v_pk_add_f16 v1, v1, v6;

	;;#ASMEND
	;; [unrolled: 4-line block ×3, first 2 shown]
	v_and_b32_e32 v3, 0xffff, v1
	v_lshrrev_b32_e32 v1, 16, v1
	;;#ASMSTART
	v_cvt_f32_f16 v34, v3;
	;;#ASMEND
	v_mov_b32_e32 v3, 0
	;;#ASMSTART
	v_cvt_f32_f16 v35, v1;
	;;#ASMEND
	global_load_b64 v[14:15], v[12:13], off offset:512
	v_mov_b32_e32 v1, 0
	s_mov_b32 s23, exec_lo
	global_load_b32 v12, v1, s[10:11]
	s_wait_loadcnt 0x1
	v_and_b32_e32 v6, 0xff, v14
	s_wait_xcnt 0x0
	s_delay_alu instid0(VALU_DEP_1)
	v_cmpx_ne_u16_e32 0, v6
	s_cbranch_execz .LBB237_382
; %bb.375:                              ;   in Loop: Header=BB237_241 Depth=1
	v_mov_b32_e32 v3, 0x8000
	s_mov_b32 s24, exec_lo
	v_cmpx_ne_u16_e32 0x80, v6
	s_cbranch_execz .LBB237_381
; %bb.376:                              ;   in Loop: Header=BB237_241 Depth=1
	v_and_b32_e32 v13, 0x7f, v14
	v_mov_b32_e32 v3, 0x7c01
	s_mov_b32 s25, exec_lo
	s_delay_alu instid0(VALU_DEP_2)
	v_cmpx_ne_u32_e32 0x7f, v13
	s_cbranch_execz .LBB237_380
; %bb.377:                              ;   in Loop: Header=BB237_241 Depth=1
	v_dual_lshrrev_b32 v6, 3, v13 :: v_dual_bitop2_b32 v3, 7, v14 bitop3:0x40
	s_mov_b32 s26, exec_lo
	v_cmpx_gt_u32_e32 8, v13
; %bb.378:                              ;   in Loop: Header=BB237_241 Depth=1
	s_delay_alu instid0(VALU_DEP_2) | instskip(NEXT) | instid1(VALU_DEP_1)
	v_clz_i32_u32_e32 v3, v3
	v_min_u32_e32 v3, 32, v3
	s_delay_alu instid0(VALU_DEP_1) | instskip(NEXT) | instid1(VALU_DEP_1)
	v_subrev_nc_u32_e32 v6, 28, v3
	v_lshlrev_b64_e32 v[16:17], v6, v[14:15]
	s_delay_alu instid0(VALU_DEP_1)
	v_dual_sub_nc_u32 v6, 29, v3 :: v_dual_bitop2_b32 v3, 7, v16 bitop3:0x40
; %bb.379:                              ;   in Loop: Header=BB237_241 Depth=1
	s_or_b32 exec_lo, exec_lo, s26
	s_delay_alu instid0(VALU_DEP_1) | instskip(NEXT) | instid1(VALU_DEP_2)
	v_dual_lshlrev_b32 v13, 8, v14 :: v_dual_lshlrev_b32 v3, 7, v3
	v_lshl_add_u32 v6, v6, 10, 0x2000
	s_delay_alu instid0(VALU_DEP_2) | instskip(NEXT) | instid1(VALU_DEP_2)
	v_and_b32_e32 v13, 0x8000, v13
	v_and_b32_e32 v6, 0xfc00, v6
	s_delay_alu instid0(VALU_DEP_1)
	v_or3_b32 v3, v13, v6, v3
.LBB237_380:                            ;   in Loop: Header=BB237_241 Depth=1
	s_or_b32 exec_lo, exec_lo, s25
.LBB237_381:                            ;   in Loop: Header=BB237_241 Depth=1
	s_delay_alu instid0(SALU_CYCLE_1)
	s_or_b32 exec_lo, exec_lo, s24
.LBB237_382:                            ;   in Loop: Header=BB237_241 Depth=1
	s_delay_alu instid0(SALU_CYCLE_1) | instskip(SKIP_2) | instid1(VALU_DEP_1)
	s_or_b32 exec_lo, exec_lo, s23
	v_lshrrev_b16 v6, 8, v14
	s_mov_b32 s23, exec_lo
	v_cmpx_ne_u16_e32 0, v6
	s_cbranch_execz .LBB237_390
; %bb.383:                              ;   in Loop: Header=BB237_241 Depth=1
	v_bfrev_b32_e32 v1, 1
	s_mov_b32 s24, exec_lo
	v_cmpx_ne_u16_e32 0x80, v6
	s_cbranch_execz .LBB237_389
; %bb.384:                              ;   in Loop: Header=BB237_241 Depth=1
	v_and_b32_e32 v13, 0xffff, v6
	v_mov_b32_e32 v1, 0x7c010000
	s_mov_b32 s25, exec_lo
	s_delay_alu instid0(VALU_DEP_2) | instskip(NEXT) | instid1(VALU_DEP_1)
	v_and_b32_e32 v17, 0x7f, v13
	v_cmpx_ne_u32_e32 0x7f, v17
	s_cbranch_execz .LBB237_388
; %bb.385:                              ;   in Loop: Header=BB237_241 Depth=1
	v_and_b32_e32 v1, 7, v13
	v_lshrrev_b32_e32 v16, 3, v17
	s_mov_b32 s26, exec_lo
	v_cmpx_gt_u32_e32 8, v17
; %bb.386:                              ;   in Loop: Header=BB237_241 Depth=1
	s_delay_alu instid0(VALU_DEP_3) | instskip(NEXT) | instid1(VALU_DEP_1)
	v_clz_i32_u32_e32 v1, v1
	v_min_u32_e32 v1, 32, v1
	s_delay_alu instid0(VALU_DEP_1) | instskip(NEXT) | instid1(VALU_DEP_1)
	v_subrev_nc_u32_e32 v16, 28, v1
	v_lshlrev_b64_e32 v[18:19], v16, v[6:7]
	s_delay_alu instid0(VALU_DEP_1)
	v_dual_sub_nc_u32 v16, 29, v1 :: v_dual_bitop2_b32 v1, 7, v18 bitop3:0x40
; %bb.387:                              ;   in Loop: Header=BB237_241 Depth=1
	s_or_b32 exec_lo, exec_lo, s26
	v_lshlrev_b32_e32 v6, 8, v13
	s_delay_alu instid0(VALU_DEP_2) | instskip(NEXT) | instid1(VALU_DEP_3)
	v_lshl_add_u32 v13, v16, 10, 0x2000
	v_lshlrev_b32_e32 v1, 23, v1
	s_delay_alu instid0(VALU_DEP_2) | instskip(NEXT) | instid1(VALU_DEP_1)
	v_and_or_b32 v6, 0x8000, v6, v13
	v_lshl_or_b32 v1, v6, 16, v1
.LBB237_388:                            ;   in Loop: Header=BB237_241 Depth=1
	s_or_b32 exec_lo, exec_lo, s25
.LBB237_389:                            ;   in Loop: Header=BB237_241 Depth=1
	s_delay_alu instid0(SALU_CYCLE_1)
	s_or_b32 exec_lo, exec_lo, s24
.LBB237_390:                            ;   in Loop: Header=BB237_241 Depth=1
	s_delay_alu instid0(SALU_CYCLE_1) | instskip(SKIP_3) | instid1(VALU_DEP_2)
	s_or_b32 exec_lo, exec_lo, s23
	v_dual_mov_b32 v13, 0 :: v_dual_lshrrev_b32 v6, 16, v14
	v_mov_b32_e32 v16, 0
	s_mov_b32 s23, exec_lo
	v_and_b32_e32 v17, 0xff, v6
	s_delay_alu instid0(VALU_DEP_1)
	v_cmpx_ne_u16_e32 0, v17
	s_cbranch_execz .LBB237_398
; %bb.391:                              ;   in Loop: Header=BB237_241 Depth=1
	v_mov_b32_e32 v16, 0x8000
	s_mov_b32 s24, exec_lo
	v_cmpx_ne_u16_e32 0x80, v17
	s_cbranch_execz .LBB237_397
; %bb.392:                              ;   in Loop: Header=BB237_241 Depth=1
	v_bfe_u32 v18, v14, 16, 7
	v_mov_b32_e32 v16, 0x7c01
	s_mov_b32 s25, exec_lo
	s_delay_alu instid0(VALU_DEP_2)
	v_cmpx_ne_u32_e32 0x7f, v18
	s_cbranch_execz .LBB237_396
; %bb.393:                              ;   in Loop: Header=BB237_241 Depth=1
	v_and_b32_e32 v16, 7, v6
	v_lshrrev_b32_e32 v17, 3, v18
	s_mov_b32 s26, exec_lo
	v_cmpx_gt_u32_e32 8, v18
; %bb.394:                              ;   in Loop: Header=BB237_241 Depth=1
	s_delay_alu instid0(VALU_DEP_3) | instskip(NEXT) | instid1(VALU_DEP_1)
	v_clz_i32_u32_e32 v16, v16
	v_min_u32_e32 v18, 32, v16
	s_delay_alu instid0(VALU_DEP_1) | instskip(NEXT) | instid1(VALU_DEP_1)
	v_subrev_nc_u32_e32 v16, 28, v18
	v_lshlrev_b64_e32 v[16:17], v16, v[6:7]
	s_delay_alu instid0(VALU_DEP_1)
	v_dual_sub_nc_u32 v17, 29, v18 :: v_dual_bitop2_b32 v16, 7, v16 bitop3:0x40
; %bb.395:                              ;   in Loop: Header=BB237_241 Depth=1
	s_or_b32 exec_lo, exec_lo, s26
	s_delay_alu instid0(VALU_DEP_1) | instskip(NEXT) | instid1(VALU_DEP_2)
	v_dual_lshlrev_b32 v6, 8, v6 :: v_dual_lshlrev_b32 v16, 7, v16
	v_lshl_add_u32 v17, v17, 10, 0x2000
	s_delay_alu instid0(VALU_DEP_2) | instskip(NEXT) | instid1(VALU_DEP_2)
	v_and_b32_e32 v6, 0x8000, v6
	v_and_b32_e32 v17, 0xfc00, v17
	s_delay_alu instid0(VALU_DEP_1)
	v_or3_b32 v16, v6, v17, v16
.LBB237_396:                            ;   in Loop: Header=BB237_241 Depth=1
	s_or_b32 exec_lo, exec_lo, s25
.LBB237_397:                            ;   in Loop: Header=BB237_241 Depth=1
	s_delay_alu instid0(SALU_CYCLE_1)
	s_or_b32 exec_lo, exec_lo, s24
.LBB237_398:                            ;   in Loop: Header=BB237_241 Depth=1
	s_delay_alu instid0(SALU_CYCLE_1) | instskip(NEXT) | instid1(SALU_CYCLE_1)
	s_or_b32 exec_lo, exec_lo, s23
	s_mov_b32 s23, exec_lo
	v_cmpx_lt_u32_e32 0xffffff, v14
	s_cbranch_execz .LBB237_406
; %bb.399:                              ;   in Loop: Header=BB237_241 Depth=1
	v_lshrrev_b32_e32 v6, 24, v14
	v_bfrev_b32_e32 v13, 1
	s_mov_b32 s24, exec_lo
	s_delay_alu instid0(VALU_DEP_2)
	v_cmpx_ne_u32_e32 0x80, v6
	s_cbranch_execz .LBB237_405
; %bb.400:                              ;   in Loop: Header=BB237_241 Depth=1
	v_and_b32_e32 v18, 0x7f, v6
	v_mov_b32_e32 v13, 0x7c010000
	s_mov_b32 s25, exec_lo
	s_delay_alu instid0(VALU_DEP_2)
	v_cmpx_ne_u32_e32 0x7f, v18
	s_cbranch_execz .LBB237_404
; %bb.401:                              ;   in Loop: Header=BB237_241 Depth=1
	v_and_b32_e32 v13, 7, v6
	v_lshrrev_b32_e32 v17, 3, v18
	s_mov_b32 s26, exec_lo
	v_cmpx_gt_u32_e32 8, v18
; %bb.402:                              ;   in Loop: Header=BB237_241 Depth=1
	s_delay_alu instid0(VALU_DEP_3) | instskip(NEXT) | instid1(VALU_DEP_1)
	v_clz_i32_u32_e32 v13, v13
	v_min_u32_e32 v13, 32, v13
	s_delay_alu instid0(VALU_DEP_1) | instskip(NEXT) | instid1(VALU_DEP_1)
	v_subrev_nc_u32_e32 v17, 28, v13
	v_lshlrev_b64_e32 v[18:19], v17, v[6:7]
	s_delay_alu instid0(VALU_DEP_1)
	v_dual_sub_nc_u32 v17, 29, v13 :: v_dual_bitop2_b32 v13, 7, v18 bitop3:0x40
; %bb.403:                              ;   in Loop: Header=BB237_241 Depth=1
	s_or_b32 exec_lo, exec_lo, s26
	s_delay_alu instid0(VALU_DEP_1) | instskip(NEXT) | instid1(VALU_DEP_2)
	v_dual_lshlrev_b32 v6, 8, v6 :: v_dual_lshlrev_b32 v13, 23, v13
	v_lshl_add_u32 v17, v17, 10, 0x2000
	s_delay_alu instid0(VALU_DEP_1) | instskip(NEXT) | instid1(VALU_DEP_1)
	v_and_or_b32 v6, 0x8000, v6, v17
	v_lshl_or_b32 v13, v6, 16, v13
.LBB237_404:                            ;   in Loop: Header=BB237_241 Depth=1
	s_or_b32 exec_lo, exec_lo, s25
.LBB237_405:                            ;   in Loop: Header=BB237_241 Depth=1
	s_delay_alu instid0(SALU_CYCLE_1)
	s_or_b32 exec_lo, exec_lo, s24
.LBB237_406:                            ;   in Loop: Header=BB237_241 Depth=1
	s_delay_alu instid0(SALU_CYCLE_1) | instskip(SKIP_4) | instid1(VALU_DEP_3)
	s_or_b32 exec_lo, exec_lo, s23
	v_and_b32_e32 v19, 0xff, v15
	v_dual_mov_b32 v6, v15 :: v_dual_mov_b32 v18, 0
	v_mov_b32_e32 v17, 0
	s_mov_b32 s23, exec_lo
	v_cmpx_ne_u16_e32 0, v19
	s_cbranch_execz .LBB237_414
; %bb.407:                              ;   in Loop: Header=BB237_241 Depth=1
	v_mov_b32_e32 v17, 0x8000
	s_mov_b32 s24, exec_lo
	v_cmpx_ne_u16_e32 0x80, v19
	s_cbranch_execz .LBB237_413
; %bb.408:                              ;   in Loop: Header=BB237_241 Depth=1
	v_and_b32_e32 v20, 0x7f, v15
	v_mov_b32_e32 v17, 0x7c01
	s_mov_b32 s25, exec_lo
	s_delay_alu instid0(VALU_DEP_2)
	v_cmpx_ne_u32_e32 0x7f, v20
	s_cbranch_execz .LBB237_412
; %bb.409:                              ;   in Loop: Header=BB237_241 Depth=1
	v_dual_lshrrev_b32 v19, 3, v20 :: v_dual_bitop2_b32 v17, 7, v15 bitop3:0x40
	s_mov_b32 s26, exec_lo
	v_cmpx_gt_u32_e32 8, v20
; %bb.410:                              ;   in Loop: Header=BB237_241 Depth=1
	s_delay_alu instid0(VALU_DEP_2) | instskip(NEXT) | instid1(VALU_DEP_1)
	v_clz_i32_u32_e32 v17, v17
	v_min_u32_e32 v17, 32, v17
	s_delay_alu instid0(VALU_DEP_1) | instskip(NEXT) | instid1(VALU_DEP_1)
	v_subrev_nc_u32_e32 v19, 28, v17
	v_lshlrev_b64_e32 v[20:21], v19, v[6:7]
	s_delay_alu instid0(VALU_DEP_1)
	v_dual_sub_nc_u32 v19, 29, v17 :: v_dual_bitop2_b32 v17, 7, v20 bitop3:0x40
; %bb.411:                              ;   in Loop: Header=BB237_241 Depth=1
	s_or_b32 exec_lo, exec_lo, s26
	s_delay_alu instid0(VALU_DEP_1) | instskip(NEXT) | instid1(VALU_DEP_2)
	v_dual_lshlrev_b32 v20, 8, v15 :: v_dual_lshlrev_b32 v17, 7, v17
	v_lshl_add_u32 v19, v19, 10, 0x2000
	s_delay_alu instid0(VALU_DEP_2) | instskip(NEXT) | instid1(VALU_DEP_2)
	v_and_b32_e32 v20, 0x8000, v20
	v_and_b32_e32 v19, 0xfc00, v19
	s_delay_alu instid0(VALU_DEP_1)
	v_or3_b32 v17, v20, v19, v17
.LBB237_412:                            ;   in Loop: Header=BB237_241 Depth=1
	s_or_b32 exec_lo, exec_lo, s25
.LBB237_413:                            ;   in Loop: Header=BB237_241 Depth=1
	s_delay_alu instid0(SALU_CYCLE_1)
	s_or_b32 exec_lo, exec_lo, s24
.LBB237_414:                            ;   in Loop: Header=BB237_241 Depth=1
	s_delay_alu instid0(SALU_CYCLE_1) | instskip(SKIP_3) | instid1(VALU_DEP_2)
	s_or_b32 exec_lo, exec_lo, s23
	v_lshrrev_b16 v6, 8, v6
	v_mov_b32_e32 v19, 0
	s_mov_b32 s23, exec_lo
	v_cmpx_ne_u16_e32 0, v6
	s_cbranch_execz .LBB237_422
; %bb.415:                              ;   in Loop: Header=BB237_241 Depth=1
	v_bfrev_b32_e32 v19, 1
	s_mov_b32 s24, exec_lo
	v_cmpx_ne_u16_e32 0x80, v6
	s_cbranch_execz .LBB237_421
; %bb.416:                              ;   in Loop: Header=BB237_241 Depth=1
	v_and_b32_e32 v20, 0xffff, v6
	v_mov_b32_e32 v19, 0x7c010000
	s_mov_b32 s25, exec_lo
	s_delay_alu instid0(VALU_DEP_2) | instskip(NEXT) | instid1(VALU_DEP_1)
	v_and_b32_e32 v22, 0x7f, v20
	v_cmpx_ne_u32_e32 0x7f, v22
	s_cbranch_execz .LBB237_420
; %bb.417:                              ;   in Loop: Header=BB237_241 Depth=1
	v_dual_lshrrev_b32 v21, 3, v22 :: v_dual_bitop2_b32 v19, 7, v20 bitop3:0x40
	s_mov_b32 s26, exec_lo
	v_cmpx_gt_u32_e32 8, v22
; %bb.418:                              ;   in Loop: Header=BB237_241 Depth=1
	s_delay_alu instid0(VALU_DEP_2) | instskip(NEXT) | instid1(VALU_DEP_1)
	v_clz_i32_u32_e32 v19, v19
	v_min_u32_e32 v19, 32, v19
	s_delay_alu instid0(VALU_DEP_1) | instskip(NEXT) | instid1(VALU_DEP_1)
	v_subrev_nc_u32_e32 v21, 28, v19
	v_lshlrev_b64_e32 v[44:45], v21, v[6:7]
	s_delay_alu instid0(VALU_DEP_1)
	v_dual_sub_nc_u32 v21, 29, v19 :: v_dual_bitop2_b32 v19, 7, v44 bitop3:0x40
; %bb.419:                              ;   in Loop: Header=BB237_241 Depth=1
	s_or_b32 exec_lo, exec_lo, s26
	s_delay_alu instid0(VALU_DEP_1) | instskip(NEXT) | instid1(VALU_DEP_2)
	v_dual_lshlrev_b32 v6, 8, v20 :: v_dual_lshlrev_b32 v19, 23, v19
	v_lshl_add_u32 v20, v21, 10, 0x2000
	s_delay_alu instid0(VALU_DEP_1) | instskip(NEXT) | instid1(VALU_DEP_1)
	v_and_or_b32 v6, 0x8000, v6, v20
	v_lshl_or_b32 v19, v6, 16, v19
.LBB237_420:                            ;   in Loop: Header=BB237_241 Depth=1
	s_or_b32 exec_lo, exec_lo, s25
.LBB237_421:                            ;   in Loop: Header=BB237_241 Depth=1
	s_delay_alu instid0(SALU_CYCLE_1)
	s_or_b32 exec_lo, exec_lo, s24
.LBB237_422:                            ;   in Loop: Header=BB237_241 Depth=1
	s_delay_alu instid0(SALU_CYCLE_1) | instskip(SKIP_2) | instid1(VALU_DEP_1)
	s_or_b32 exec_lo, exec_lo, s23
	v_lshrrev_b32_e32 v6, 16, v15
	s_mov_b32 s23, exec_lo
	v_and_b32_e32 v20, 0xff, v6
	s_delay_alu instid0(VALU_DEP_1)
	v_cmpx_ne_u16_e32 0, v20
	s_cbranch_execz .LBB237_430
; %bb.423:                              ;   in Loop: Header=BB237_241 Depth=1
	v_mov_b32_e32 v18, 0x8000
	s_mov_b32 s24, exec_lo
	v_cmpx_ne_u16_e32 0x80, v20
	s_cbranch_execz .LBB237_429
; %bb.424:                              ;   in Loop: Header=BB237_241 Depth=1
	v_bfe_u32 v21, v15, 16, 7
	v_mov_b32_e32 v18, 0x7c01
	s_mov_b32 s25, exec_lo
	s_delay_alu instid0(VALU_DEP_2)
	v_cmpx_ne_u32_e32 0x7f, v21
	s_cbranch_execz .LBB237_428
; %bb.425:                              ;   in Loop: Header=BB237_241 Depth=1
	v_dual_lshrrev_b32 v20, 3, v21 :: v_dual_bitop2_b32 v18, 7, v6 bitop3:0x40
	s_mov_b32 s26, exec_lo
	v_cmpx_gt_u32_e32 8, v21
; %bb.426:                              ;   in Loop: Header=BB237_241 Depth=1
	s_delay_alu instid0(VALU_DEP_2) | instskip(NEXT) | instid1(VALU_DEP_1)
	v_clz_i32_u32_e32 v18, v18
	v_min_u32_e32 v18, 32, v18
	s_delay_alu instid0(VALU_DEP_1) | instskip(NEXT) | instid1(VALU_DEP_1)
	v_subrev_nc_u32_e32 v20, 28, v18
	v_lshlrev_b64_e32 v[44:45], v20, v[6:7]
	s_delay_alu instid0(VALU_DEP_1)
	v_dual_sub_nc_u32 v20, 29, v18 :: v_dual_bitop2_b32 v18, 7, v44 bitop3:0x40
; %bb.427:                              ;   in Loop: Header=BB237_241 Depth=1
	s_or_b32 exec_lo, exec_lo, s26
	v_lshlrev_b32_e32 v6, 8, v6
	s_delay_alu instid0(VALU_DEP_2) | instskip(NEXT) | instid1(VALU_DEP_3)
	v_lshl_add_u32 v20, v20, 10, 0x2000
	v_lshlrev_b32_e32 v18, 7, v18
	s_delay_alu instid0(VALU_DEP_3) | instskip(NEXT) | instid1(VALU_DEP_3)
	v_and_b32_e32 v6, 0x8000, v6
	v_and_b32_e32 v20, 0xfc00, v20
	s_delay_alu instid0(VALU_DEP_1)
	v_or3_b32 v18, v6, v20, v18
.LBB237_428:                            ;   in Loop: Header=BB237_241 Depth=1
	s_or_b32 exec_lo, exec_lo, s25
.LBB237_429:                            ;   in Loop: Header=BB237_241 Depth=1
	s_delay_alu instid0(SALU_CYCLE_1)
	s_or_b32 exec_lo, exec_lo, s24
.LBB237_430:                            ;   in Loop: Header=BB237_241 Depth=1
	s_delay_alu instid0(SALU_CYCLE_1)
	s_or_b32 exec_lo, exec_lo, s23
	v_cmp_lt_u64_e64 s0, s[8:9], v[14:15]
	v_mov_b32_e32 v14, 0
	s_and_saveexec_b32 s23, s0
	s_cbranch_execz .LBB237_438
; %bb.431:                              ;   in Loop: Header=BB237_241 Depth=1
	v_lshrrev_b32_e32 v6, 24, v15
	v_bfrev_b32_e32 v14, 1
	s_mov_b32 s24, exec_lo
	s_delay_alu instid0(VALU_DEP_2)
	v_cmpx_ne_u32_e32 0x80, v6
	s_cbranch_execz .LBB237_437
; %bb.432:                              ;   in Loop: Header=BB237_241 Depth=1
	v_and_b32_e32 v20, 0x7f, v6
	v_mov_b32_e32 v14, 0x7c010000
	s_mov_b32 s25, exec_lo
	s_delay_alu instid0(VALU_DEP_2)
	v_cmpx_ne_u32_e32 0x7f, v20
	s_cbranch_execz .LBB237_436
; %bb.433:                              ;   in Loop: Header=BB237_241 Depth=1
	v_dual_lshrrev_b32 v15, 3, v20 :: v_dual_bitop2_b32 v14, 7, v6 bitop3:0x40
	s_mov_b32 s26, exec_lo
	v_cmpx_gt_u32_e32 8, v20
; %bb.434:                              ;   in Loop: Header=BB237_241 Depth=1
	s_delay_alu instid0(VALU_DEP_2) | instskip(NEXT) | instid1(VALU_DEP_1)
	v_clz_i32_u32_e32 v14, v14
	v_min_u32_e32 v20, 32, v14
	s_delay_alu instid0(VALU_DEP_1) | instskip(NEXT) | instid1(VALU_DEP_1)
	v_subrev_nc_u32_e32 v14, 28, v20
	v_lshlrev_b64_e32 v[14:15], v14, v[6:7]
	s_delay_alu instid0(VALU_DEP_1)
	v_dual_sub_nc_u32 v15, 29, v20 :: v_dual_bitop2_b32 v14, 7, v14 bitop3:0x40
; %bb.435:                              ;   in Loop: Header=BB237_241 Depth=1
	s_or_b32 exec_lo, exec_lo, s26
	v_lshlrev_b32_e32 v6, 8, v6
	s_delay_alu instid0(VALU_DEP_2) | instskip(NEXT) | instid1(VALU_DEP_3)
	v_lshl_add_u32 v15, v15, 10, 0x2000
	v_lshlrev_b32_e32 v14, 23, v14
	s_delay_alu instid0(VALU_DEP_2) | instskip(NEXT) | instid1(VALU_DEP_1)
	v_and_or_b32 v6, 0x8000, v6, v15
	v_lshl_or_b32 v14, v6, 16, v14
.LBB237_436:                            ;   in Loop: Header=BB237_241 Depth=1
	s_or_b32 exec_lo, exec_lo, s25
.LBB237_437:                            ;   in Loop: Header=BB237_241 Depth=1
	s_delay_alu instid0(SALU_CYCLE_1)
	s_or_b32 exec_lo, exec_lo, s24
.LBB237_438:                            ;   in Loop: Header=BB237_241 Depth=1
	s_delay_alu instid0(SALU_CYCLE_1) | instskip(SKIP_3) | instid1(VALU_DEP_3)
	s_or_b32 exec_lo, exec_lo, s23
	v_dual_lshrrev_b32 v6, 16, v1 :: v_dual_bitop2_b32 v1, v1, v3 bitop3:0x54
	v_dual_lshrrev_b32 v15, 16, v13 :: v_dual_bitop2_b32 v3, v13, v16 bitop3:0x54
	v_lshrrev_b32_e32 v16, 16, v14
	v_cvt_f32_f16_e32 v21, v6
	v_dual_lshrrev_b32 v13, 16, v19 :: v_dual_bitop2_b32 v6, v14, v18 bitop3:0x54
	s_delay_alu instid0(VALU_DEP_4)
	v_cvt_f32_f16_e32 v14, v3
	v_or_b32_e32 v3, v19, v17
	v_cvt_f32_f16_e32 v20, v15
	v_cvt_f32_f16_e32 v15, v1
	;; [unrolled: 1-line block ×6, first 2 shown]
	s_wait_loadcnt 0x0
	v_pk_mul_f32 v[20:21], v[12:13], v[20:21] op_sel_hi:[0,1]
	v_pk_mul_f32 v[14:15], v[12:13], v[14:15] op_sel_hi:[0,1]
	;; [unrolled: 1-line block ×4, first 2 shown]
	s_delay_alu instid0(VALU_DEP_4) | instskip(NEXT) | instid1(VALU_DEP_4)
	v_cvt_pk_f16_f32 v1, v20, v21
	v_cvt_pk_f16_f32 v3, v14, v15
	s_delay_alu instid0(VALU_DEP_4) | instskip(NEXT) | instid1(VALU_DEP_4)
	v_cvt_pk_f16_f32 v6, v16, v17
	v_cvt_pk_f16_f32 v12, v18, v19
	s_delay_alu instid0(VALU_DEP_4) | instskip(NEXT) | instid1(VALU_DEP_4)
	v_and_b32_e32 v13, 0xffff0000, v1
	v_dual_lshlrev_b32 v14, 16, v1 :: v_dual_lshrrev_b32 v19, 16, v3
	v_and_b32_e32 v20, 0xffff, v3
	v_and_b32_e32 v1, 0xffff0000, v6
	v_dual_lshlrev_b32 v6, 16, v6 :: v_dual_lshrrev_b32 v3, 16, v12
	v_and_b32_e32 v12, 0xffff, v12
	v_or_b32_e32 v17, v13, v19
	v_or_b32_e32 v18, v14, v20
	s_delay_alu instid0(VALU_DEP_4) | instskip(NEXT) | instid1(VALU_DEP_4)
	v_or_b32_e32 v15, v1, v3
	v_or_b32_e32 v16, v6, v12
	s_and_saveexec_b32 s0, vcc_lo
	s_cbranch_execz .LBB237_239
; %bb.439:                              ;   in Loop: Header=BB237_241 Depth=1
	v_cmp_gt_i32_e32 vcc_lo, s18, v2
	v_cndmask_b32_e32 v15, 0, v19, vcc_lo
	v_cmp_gt_i32_e32 vcc_lo, s34, v33
	v_cndmask_b32_e32 v16, 0, v20, vcc_lo
	v_cmp_gt_i32_e32 vcc_lo, s18, v32
	v_cndmask_b32_e32 v13, 0, v13, vcc_lo
	v_cmp_gt_i32_e32 vcc_lo, s34, v31
	v_cndmask_b32_e32 v14, 0, v14, vcc_lo
	v_cmp_gt_i32_e32 vcc_lo, s18, v30
	s_delay_alu instid0(VALU_DEP_4) | instskip(NEXT) | instid1(VALU_DEP_3)
	v_or_b32_e32 v17, v13, v15
	v_dual_cndmask_b32 v3, 0, v3, vcc_lo :: v_dual_bitop2_b32 v18, v14, v16 bitop3:0x54
	v_cmp_gt_i32_e32 vcc_lo, s34, v29
	v_cndmask_b32_e32 v12, 0, v12, vcc_lo
	v_cmp_gt_i32_e32 vcc_lo, s18, v28
	v_cndmask_b32_e32 v1, 0, v1, vcc_lo
	v_cmp_gt_i32_e32 vcc_lo, s34, v27
	s_delay_alu instid0(VALU_DEP_2) | instskip(NEXT) | instid1(VALU_DEP_1)
	v_dual_cndmask_b32 v6, 0, v6, vcc_lo :: v_dual_bitop2_b32 v15, v1, v3 bitop3:0x54
	v_or_b32_e32 v16, v6, v12
	s_branch .LBB237_239
.LBB237_440:
	s_or_b32 exec_lo, exec_lo, s19
.LBB237_441:
	s_delay_alu instid0(SALU_CYCLE_1) | instskip(SKIP_4) | instid1(VALU_DEP_2)
	s_or_b32 exec_lo, exec_lo, s1
	v_lshl_add_u32 v2, v24, 2, 0xe0
	v_and_b32_e32 v3, 0x3c0, v0
	s_mov_b32 s0, exec_lo
	s_barrier_signal -1
	v_mad_u32_u24 v1, 0x180, v23, v2
	s_barrier_wait -1
	v_cmpx_eq_u32_e32 64, v3
	s_cbranch_execz .LBB237_443
; %bb.442:
	s_delay_alu instid0(VALU_DEP_2)
	v_add_nc_u32_e32 v3, 0xfffffd00, v1
	v_add_nc_u32_e32 v6, 0xfffffd80, v1
	;; [unrolled: 1-line block ×3, first 2 shown]
	ds_store_b32 v3, v4
	ds_store_b32 v6, v5
	;; [unrolled: 1-line block ×3, first 2 shown]
.LBB237_443:
	s_or_b32 exec_lo, exec_lo, s0
	s_delay_alu instid0(SALU_CYCLE_1)
	s_mov_b32 s0, exec_lo
	s_wait_dscnt 0x0
	s_barrier_signal -1
	s_barrier_wait -1
	v_cmpx_gt_u32_e32 64, v0
	s_cbranch_execz .LBB237_445
; %bb.444:
	ds_load_2addr_b32 v[6:7], v1 offset1:32
	ds_load_b32 v3, v1 offset:256
	s_wait_dscnt 0x1
	v_pk_add_f32 v[4:5], v[4:5], v[6:7]
	s_wait_dscnt 0x0
	v_add_f32_e32 v36, v36, v3
.LBB237_445:
	s_or_b32 exec_lo, exec_lo, s0
	v_and_b32_e32 v3, 0x3e0, v0
	s_mov_b32 s0, exec_lo
	s_barrier_signal -1
	s_barrier_wait -1
	s_delay_alu instid0(VALU_DEP_1)
	v_cmpx_eq_u32_e32 32, v3
	s_cbranch_execz .LBB237_447
; %bb.446:
	ds_store_2addr_b32 v2, v4, v5 offset1:32
	ds_store_b32 v2, v36 offset:256
.LBB237_447:
	s_or_b32 exec_lo, exec_lo, s0
	v_cmp_gt_u32_e32 vcc_lo, 32, v0
	s_wait_dscnt 0x0
	s_barrier_signal -1
	s_barrier_wait -1
	s_and_saveexec_b32 s0, vcc_lo
	s_cbranch_execz .LBB237_449
; %bb.448:
	ds_load_2addr_b32 v[2:3], v1 offset1:32
	ds_load_b32 v1, v1 offset:256
	s_wait_dscnt 0x1
	v_pk_add_f32 v[4:5], v[4:5], v[2:3]
	s_wait_dscnt 0x0
	v_add_f32_e32 v36, v36, v1
.LBB237_449:
	s_or_b32 exec_lo, exec_lo, s0
	s_barrier_signal -1
	s_barrier_wait -1
	s_and_saveexec_b32 s0, vcc_lo
	s_cbranch_execz .LBB237_451
; %bb.450:
	s_mul_i32 s1, s33, s7
	s_mul_i32 s0, s7, s6
	;; [unrolled: 1-line block ×3, first 2 shown]
	s_bfe_u32 s7, ttmp6, 0x40014
	s_mul_i32 s2, s1, 0x60
	s_lshr_b32 s6, ttmp7, 16
	s_ashr_i32 s3, s2, 31
	s_add_co_i32 s7, s7, 1
	s_lshl_b64 s[2:3], s[2:3], 1
	s_ashr_i32 s1, s0, 31
	s_wait_kmcnt 0x0
	s_add_nc_u64 s[2:3], s[4:5], s[2:3]
	s_mul_i32 s4, s6, s7
	s_bfe_u32 s5, ttmp6, 0x40008
	s_lshl_b64 s[0:1], s[0:1], 1
	s_add_co_i32 s5, s5, s4
	s_cmp_eq_u32 s30, 0
	s_add_nc_u64 s[0:1], s[2:3], s[0:1]
	s_cselect_b32 s2, s6, s5
	s_mov_b32 s3, 0
	s_mulk_i32 s2, 0xc0
	;;#ASMSTART
	v_cvt_f16_f32 v1, v4;

	;;#ASMEND
	s_add_nc_u64 s[0:1], s[0:1], s[2:3]
	global_store_b16 v0, v1, s[0:1] scale_offset
	s_wait_xcnt 0x0
	;;#ASMSTART
	v_cvt_f16_f32 v1, v5;

	;;#ASMEND
	global_store_b16 v0, v1, s[0:1] offset:64 scale_offset
	s_wait_xcnt 0x0
	;;#ASMSTART
	v_cvt_f16_f32 v1, v36;

	;;#ASMEND
	global_store_b16 v0, v1, s[0:1] offset:128 scale_offset
.LBB237_451:
	s_sendmsg sendmsg(MSG_DEALLOC_VGPRS)
	s_endpgm
	.section	.rodata,"a",@progbits
	.p2align	6, 0x0
	.amdhsa_kernel _ZN4vllm25paged_attention_v1_kernelIthLi96ELi8ELi128ELNS_18Fp8KVCacheDataTypeE1ELb1EEEvPT_PKS2_PKT0_S8_ifPKiSA_iPKfiiiSC_SC_iiiii
		.amdhsa_group_segment_fixed_size 224
		.amdhsa_private_segment_fixed_size 0
		.amdhsa_kernarg_size 384
		.amdhsa_user_sgpr_count 2
		.amdhsa_user_sgpr_dispatch_ptr 0
		.amdhsa_user_sgpr_queue_ptr 0
		.amdhsa_user_sgpr_kernarg_segment_ptr 1
		.amdhsa_user_sgpr_dispatch_id 0
		.amdhsa_user_sgpr_kernarg_preload_length 0
		.amdhsa_user_sgpr_kernarg_preload_offset 0
		.amdhsa_user_sgpr_private_segment_size 0
		.amdhsa_wavefront_size32 1
		.amdhsa_uses_dynamic_stack 0
		.amdhsa_enable_private_segment 0
		.amdhsa_system_sgpr_workgroup_id_x 1
		.amdhsa_system_sgpr_workgroup_id_y 1
		.amdhsa_system_sgpr_workgroup_id_z 1
		.amdhsa_system_sgpr_workgroup_info 0
		.amdhsa_system_vgpr_workitem_id 0
		.amdhsa_next_free_vgpr 65
		.amdhsa_next_free_sgpr 45
		.amdhsa_named_barrier_count 0
		.amdhsa_reserve_vcc 1
		.amdhsa_float_round_mode_32 0
		.amdhsa_float_round_mode_16_64 0
		.amdhsa_float_denorm_mode_32 3
		.amdhsa_float_denorm_mode_16_64 3
		.amdhsa_fp16_overflow 0
		.amdhsa_memory_ordered 1
		.amdhsa_forward_progress 1
		.amdhsa_inst_pref_size 140
		.amdhsa_round_robin_scheduling 0
		.amdhsa_exception_fp_ieee_invalid_op 0
		.amdhsa_exception_fp_denorm_src 0
		.amdhsa_exception_fp_ieee_div_zero 0
		.amdhsa_exception_fp_ieee_overflow 0
		.amdhsa_exception_fp_ieee_underflow 0
		.amdhsa_exception_fp_ieee_inexact 0
		.amdhsa_exception_int_div_zero 0
	.end_amdhsa_kernel
	.section	.text._ZN4vllm25paged_attention_v1_kernelIthLi96ELi8ELi128ELNS_18Fp8KVCacheDataTypeE1ELb1EEEvPT_PKS2_PKT0_S8_ifPKiSA_iPKfiiiSC_SC_iiiii,"axG",@progbits,_ZN4vllm25paged_attention_v1_kernelIthLi96ELi8ELi128ELNS_18Fp8KVCacheDataTypeE1ELb1EEEvPT_PKS2_PKT0_S8_ifPKiSA_iPKfiiiSC_SC_iiiii,comdat
.Lfunc_end237:
	.size	_ZN4vllm25paged_attention_v1_kernelIthLi96ELi8ELi128ELNS_18Fp8KVCacheDataTypeE1ELb1EEEvPT_PKS2_PKT0_S8_ifPKiSA_iPKfiiiSC_SC_iiiii, .Lfunc_end237-_ZN4vllm25paged_attention_v1_kernelIthLi96ELi8ELi128ELNS_18Fp8KVCacheDataTypeE1ELb1EEEvPT_PKS2_PKT0_S8_ifPKiSA_iPKfiiiSC_SC_iiiii
                                        ; -- End function
	.set _ZN4vllm25paged_attention_v1_kernelIthLi96ELi8ELi128ELNS_18Fp8KVCacheDataTypeE1ELb1EEEvPT_PKS2_PKT0_S8_ifPKiSA_iPKfiiiSC_SC_iiiii.num_vgpr, 65
	.set _ZN4vllm25paged_attention_v1_kernelIthLi96ELi8ELi128ELNS_18Fp8KVCacheDataTypeE1ELb1EEEvPT_PKS2_PKT0_S8_ifPKiSA_iPKfiiiSC_SC_iiiii.num_agpr, 0
	.set _ZN4vllm25paged_attention_v1_kernelIthLi96ELi8ELi128ELNS_18Fp8KVCacheDataTypeE1ELb1EEEvPT_PKS2_PKT0_S8_ifPKiSA_iPKfiiiSC_SC_iiiii.numbered_sgpr, 45
	.set _ZN4vllm25paged_attention_v1_kernelIthLi96ELi8ELi128ELNS_18Fp8KVCacheDataTypeE1ELb1EEEvPT_PKS2_PKT0_S8_ifPKiSA_iPKfiiiSC_SC_iiiii.num_named_barrier, 0
	.set _ZN4vllm25paged_attention_v1_kernelIthLi96ELi8ELi128ELNS_18Fp8KVCacheDataTypeE1ELb1EEEvPT_PKS2_PKT0_S8_ifPKiSA_iPKfiiiSC_SC_iiiii.private_seg_size, 0
	.set _ZN4vllm25paged_attention_v1_kernelIthLi96ELi8ELi128ELNS_18Fp8KVCacheDataTypeE1ELb1EEEvPT_PKS2_PKT0_S8_ifPKiSA_iPKfiiiSC_SC_iiiii.uses_vcc, 1
	.set _ZN4vllm25paged_attention_v1_kernelIthLi96ELi8ELi128ELNS_18Fp8KVCacheDataTypeE1ELb1EEEvPT_PKS2_PKT0_S8_ifPKiSA_iPKfiiiSC_SC_iiiii.uses_flat_scratch, 0
	.set _ZN4vllm25paged_attention_v1_kernelIthLi96ELi8ELi128ELNS_18Fp8KVCacheDataTypeE1ELb1EEEvPT_PKS2_PKT0_S8_ifPKiSA_iPKfiiiSC_SC_iiiii.has_dyn_sized_stack, 0
	.set _ZN4vllm25paged_attention_v1_kernelIthLi96ELi8ELi128ELNS_18Fp8KVCacheDataTypeE1ELb1EEEvPT_PKS2_PKT0_S8_ifPKiSA_iPKfiiiSC_SC_iiiii.has_recursion, 0
	.set _ZN4vllm25paged_attention_v1_kernelIthLi96ELi8ELi128ELNS_18Fp8KVCacheDataTypeE1ELb1EEEvPT_PKS2_PKT0_S8_ifPKiSA_iPKfiiiSC_SC_iiiii.has_indirect_call, 0
	.section	.AMDGPU.csdata,"",@progbits
; Kernel info:
; codeLenInByte = 17908
; TotalNumSgprs: 47
; NumVgprs: 65
; ScratchSize: 0
; MemoryBound: 0
; FloatMode: 240
; IeeeMode: 1
; LDSByteSize: 224 bytes/workgroup (compile time only)
; SGPRBlocks: 0
; VGPRBlocks: 4
; NumSGPRsForWavesPerEU: 47
; NumVGPRsForWavesPerEU: 65
; NamedBarCnt: 0
; Occupancy: 12
; WaveLimiterHint : 1
; COMPUTE_PGM_RSRC2:SCRATCH_EN: 0
; COMPUTE_PGM_RSRC2:USER_SGPR: 2
; COMPUTE_PGM_RSRC2:TRAP_HANDLER: 0
; COMPUTE_PGM_RSRC2:TGID_X_EN: 1
; COMPUTE_PGM_RSRC2:TGID_Y_EN: 1
; COMPUTE_PGM_RSRC2:TGID_Z_EN: 1
; COMPUTE_PGM_RSRC2:TIDIG_COMP_CNT: 0
	.section	.text._ZN4vllm25paged_attention_v1_kernelIthLi112ELi8ELi128ELNS_18Fp8KVCacheDataTypeE1ELb1EEEvPT_PKS2_PKT0_S8_ifPKiSA_iPKfiiiSC_SC_iiiii,"axG",@progbits,_ZN4vllm25paged_attention_v1_kernelIthLi112ELi8ELi128ELNS_18Fp8KVCacheDataTypeE1ELb1EEEvPT_PKS2_PKT0_S8_ifPKiSA_iPKfiiiSC_SC_iiiii,comdat
	.protected	_ZN4vllm25paged_attention_v1_kernelIthLi112ELi8ELi128ELNS_18Fp8KVCacheDataTypeE1ELb1EEEvPT_PKS2_PKT0_S8_ifPKiSA_iPKfiiiSC_SC_iiiii ; -- Begin function _ZN4vllm25paged_attention_v1_kernelIthLi112ELi8ELi128ELNS_18Fp8KVCacheDataTypeE1ELb1EEEvPT_PKS2_PKT0_S8_ifPKiSA_iPKfiiiSC_SC_iiiii
	.globl	_ZN4vllm25paged_attention_v1_kernelIthLi112ELi8ELi128ELNS_18Fp8KVCacheDataTypeE1ELb1EEEvPT_PKS2_PKT0_S8_ifPKiSA_iPKfiiiSC_SC_iiiii
	.p2align	8
	.type	_ZN4vllm25paged_attention_v1_kernelIthLi112ELi8ELi128ELNS_18Fp8KVCacheDataTypeE1ELb1EEEvPT_PKS2_PKT0_S8_ifPKiSA_iPKfiiiSC_SC_iiiii,@function
_ZN4vllm25paged_attention_v1_kernelIthLi112ELi8ELi128ELNS_18Fp8KVCacheDataTypeE1ELb1EEEvPT_PKS2_PKT0_S8_ifPKiSA_iPKfiiiSC_SC_iiiii: ; @_ZN4vllm25paged_attention_v1_kernelIthLi112ELi8ELi128ELNS_18Fp8KVCacheDataTypeE1ELb1EEEvPT_PKS2_PKT0_S8_ifPKiSA_iPKfiiiSC_SC_iiiii
; %bb.0:
	s_load_b64 s[26:27], s[0:1], 0x20
	s_bfe_u32 s3, ttmp6, 0x4000c
	s_bfe_u32 s4, ttmp6, 0x40010
	s_and_b32 s6, ttmp7, 0xffff
	s_add_co_i32 s3, s3, 1
	s_add_co_i32 s4, s4, 1
	s_and_b32 s2, ttmp6, 15
	s_bfe_u32 s5, ttmp6, 0x40004
	s_mul_i32 s3, ttmp9, s3
	s_mul_i32 s4, s6, s4
	s_getreg_b32 s30, hwreg(HW_REG_IB_STS2, 6, 4)
	s_add_co_i32 s2, s2, s3
	s_add_co_i32 s3, s5, s4
	s_cmp_eq_u32 s30, 0
	s_clause 0x1
	s_load_b32 s31, s[0:1], 0x80
	s_load_b64 s[4:5], s[0:1], 0x30
	s_cselect_b32 s33, s6, s3
	s_cselect_b32 s2, ttmp9, s2
	s_wait_kmcnt 0x0
	s_abs_i32 s3, s26
	s_delay_alu instid0(SALU_CYCLE_1) | instskip(SKIP_1) | instid1(SALU_CYCLE_2)
	s_cvt_f32_u32 s6, s3
	s_sub_co_i32 s7, 0, s3
	v_rcp_iflag_f32_e32 v1, s6
	s_abs_i32 s8, s31
	v_nop
	s_delay_alu instid0(TRANS32_DEP_1) | instskip(SKIP_1) | instid1(SALU_CYCLE_3)
	v_readfirstlane_b32 s6, v1
	s_mul_f32 s6, s6, 0x4f7ffffe
	s_cvt_u32_f32 s6, s6
	s_delay_alu instid0(SALU_CYCLE_3) | instskip(NEXT) | instid1(SALU_CYCLE_1)
	s_mul_i32 s7, s7, s6
	s_mul_hi_u32 s7, s6, s7
	s_delay_alu instid0(SALU_CYCLE_1) | instskip(SKIP_4) | instid1(SALU_CYCLE_1)
	s_add_co_i32 s6, s6, s7
	s_xor_b32 s7, s31, s26
	s_mul_hi_u32 s6, s8, s6
	s_ashr_i32 s7, s7, 31
	s_mul_i32 s9, s6, s3
	s_sub_co_i32 s8, s8, s9
	s_add_co_i32 s9, s6, 1
	s_sub_co_i32 s10, s8, s3
	s_cmp_ge_u32 s8, s3
	s_cselect_b32 s6, s9, s6
	s_cselect_b32 s8, s10, s8
	s_add_co_i32 s9, s6, 1
	s_cmp_ge_u32 s8, s3
	s_load_b64 s[10:11], s[0:1], 0x40
	s_cselect_b32 s3, s9, s6
	s_mov_b32 s9, 0
	s_xor_b32 s3, s3, s7
	s_abs_i32 s8, s2
	s_sub_co_i32 s12, s3, s7
	s_mov_b32 s7, s9
	s_abs_i32 s19, s12
	s_mov_b32 s36, s9
	s_cvt_f32_u32 s3, s19
	s_sub_co_i32 s6, 0, s19
	s_delay_alu instid0(SALU_CYCLE_2) | instskip(SKIP_1) | instid1(TRANS32_DEP_1)
	v_rcp_iflag_f32_e32 v1, s3
	v_nop
	v_readfirstlane_b32 s3, v1
	s_mul_f32 s3, s3, 0x4f7ffffe
	s_delay_alu instid0(SALU_CYCLE_3) | instskip(NEXT) | instid1(SALU_CYCLE_3)
	s_cvt_u32_f32 s3, s3
	s_mul_i32 s6, s6, s3
	s_delay_alu instid0(SALU_CYCLE_1) | instskip(NEXT) | instid1(SALU_CYCLE_1)
	s_mul_hi_u32 s6, s3, s6
	s_add_co_i32 s6, s3, s6
	s_wait_kmcnt 0x0
	s_cmp_eq_u64 s[10:11], 0
	s_cbranch_scc1 .LBB238_2
; %bb.1:
	s_ashr_i32 s3, s2, 31
	s_delay_alu instid0(SALU_CYCLE_1) | instskip(NEXT) | instid1(SALU_CYCLE_1)
	s_lshl_b64 s[14:15], s[2:3], 2
	s_add_nc_u64 s[10:11], s[10:11], s[14:15]
	s_load_b32 s36, s[10:11], 0x0
.LBB238_2:
	s_load_b32 s34, s[4:5], s33 offset:0x0 scale_offset
	s_load_b96 s[16:18], s[0:1], 0x48
	v_and_b32_e32 v6, 3, v0
	s_wait_xcnt 0x0
	s_mul_u64 s[4:5], s[8:9], s[6:7]
	s_ashr_i32 s3, s2, 31
	s_ashr_i32 s10, s12, 31
	s_mul_i32 s6, s2, 0x70
	s_mov_b32 s4, exec_lo
	v_cmpx_gt_u32_e32 56, v0
	s_cbranch_execz .LBB238_4
; %bb.3:
	s_load_b64 s[12:13], s[0:1], 0x8
	s_wait_kmcnt 0x0
	s_mul_i32 s14, s16, s33
	s_ashr_i32 s7, s6, 31
	s_ashr_i32 s15, s14, 31
	v_and_b32_e32 v2, 0x3fc, v0
	s_lshl_b64 s[14:15], s[14:15], 1
	s_delay_alu instid0(VALU_DEP_1) | instskip(SKIP_2) | instid1(SALU_CYCLE_1)
	v_mad_u32_u24 v2, v6, 56, v2
	s_add_nc_u64 s[12:13], s[12:13], s[14:15]
	s_lshl_b64 s[14:15], s[6:7], 1
	s_add_nc_u64 s[12:13], s[12:13], s[14:15]
	global_load_b32 v1, v0, s[12:13] scale_offset
	s_wait_loadcnt 0x0
	ds_store_b32 v2, v1
.LBB238_4:
	s_or_b32 exec_lo, exec_lo, s4
	s_load_b128 s[12:15], s[0:1], 0x68
	s_mul_i32 s4, s5, s19
	s_xor_b32 s3, s3, s10
	s_sub_co_i32 s4, s8, s4
	s_add_co_i32 s7, s5, 1
	s_sub_co_i32 s8, s4, s19
	s_cmp_ge_u32 s4, s19
	s_mov_b32 s9, -1
	s_cselect_b32 s5, s7, s5
	s_cselect_b32 s4, s8, s4
	s_add_co_i32 s8, s5, 1
	s_cmp_ge_u32 s4, s19
	s_load_b32 s7, s[0:1], 0x78
	s_cselect_b32 s4, s8, s5
	s_wait_kmcnt 0x0
	s_add_co_i32 s8, s34, -1
	s_xor_b32 s4, s4, s3
	s_wait_dscnt 0x0
	s_sub_co_i32 s3, s4, s3
	s_barrier_signal -1
	s_barrier_wait -1
	s_abs_i32 s16, s15
	s_delay_alu instid0(SALU_CYCLE_1) | instskip(NEXT) | instid1(SALU_CYCLE_3)
	s_cvt_f32_u32 s5, s16
                                        ; implicit-def: $sgpr35
	v_rcp_iflag_f32_e32 v1, s5
	v_nop
	s_delay_alu instid0(TRANS32_DEP_1) | instskip(SKIP_1) | instid1(SALU_CYCLE_3)
	v_readfirstlane_b32 s5, v1
	s_mul_f32 s4, s5, 0x4f7ffffe
	s_cvt_u32_f32 s10, s4
	s_sub_co_i32 s4, 0, s16
	s_delay_alu instid0(SALU_CYCLE_2)
	s_mul_i32 s5, s4, s10
	s_abs_i32 s4, s8
	s_mul_hi_u32 s11, s10, s5
	s_mov_b32 s5, 0
	s_add_co_i32 s20, s10, s11
	s_cmp_lt_i32 s7, 0
	s_mov_b32 s21, s5
	s_cbranch_scc0 .LBB238_6
; %bb.5:
	s_mul_i32 s9, s12, s26
	s_delay_alu instid0(SALU_CYCLE_1) | instskip(NEXT) | instid1(SALU_CYCLE_1)
	s_add_co_i32 s9, s3, s9
	s_mul_i32 s9, s9, s7
	s_delay_alu instid0(SALU_CYCLE_1)
	s_sub_co_i32 s35, 1, s9
	s_mov_b32 s9, s5
.LBB238_6:
	s_ashr_i32 s8, s8, 31
	s_ashr_i32 s15, s15, 31
	s_and_not1_b32 vcc_lo, exec_lo, s9
	s_mul_u64 s[28:29], s[4:5], s[20:21]
	s_cbranch_vccnz .LBB238_8
; %bb.7:
	s_mul_i32 s5, s31, s12
	s_delay_alu instid0(SALU_CYCLE_1) | instskip(NEXT) | instid1(SALU_CYCLE_1)
	s_add_co_i32 s2, s5, s2
	s_mul_i32 s2, s2, s7
	s_delay_alu instid0(SALU_CYCLE_1)
	s_add_co_i32 s35, s2, 1
.LBB238_8:
	s_clause 0x1
	s_load_b32 s2, s[0:1], 0x38
	s_load_b64 s[22:23], s[0:1], 0x28
	s_mul_i32 s7, s29, s16
	s_xor_b32 s5, s8, s15
	s_sub_co_i32 s4, s4, s7
	s_add_co_i32 s12, s29, 1
	s_clause 0x1
	s_load_b32 s7, s[0:1], 0x88
	s_load_b128 s[8:11], s[0:1], 0x58
	v_dual_mov_b32 v16, 0xff7fffff :: v_dual_lshrrev_b32 v27, 5, v0
	v_lshrrev_b32_e32 v1, 3, v0
	v_mbcnt_lo_u32_b32 v3, -1, 0
	s_mul_i32 s18, s3, s18
	s_delay_alu instid0(VALU_DEP_3)
	v_lshlrev_b32_e32 v2, 3, v27
	s_wait_kmcnt 0x0
	s_mul_i32 s24, s2, s33
	s_sub_co_i32 s2, s4, s16
	s_ashr_i32 s25, s24, 31
	s_cmp_ge_u32 s4, s16
	s_cselect_b32 s12, s12, s29
	s_cselect_b32 s2, s2, s4
	s_add_co_i32 s4, s12, 1
	s_cmp_ge_u32 s2, s16
	s_cselect_b32 s2, s4, s12
	s_add_co_i32 s4, s34, 7
	s_delay_alu instid0(SALU_CYCLE_1) | instskip(NEXT) | instid1(SALU_CYCLE_1)
	s_ashr_i32 s12, s4, 31
	s_lshr_b32 s12, s12, 29
	s_delay_alu instid0(SALU_CYCLE_1) | instskip(NEXT) | instid1(SALU_CYCLE_1)
	s_add_co_i32 s4, s4, s12
	s_ashr_i32 s26, s4, 3
	s_xor_b32 s4, s2, s5
	v_cmp_gt_i32_e64 s2, s26, v27
	s_sub_co_i32 s12, s4, s5
	s_and_saveexec_b32 s37, s2
	s_cbranch_execz .LBB238_244
; %bb.9:
	s_load_b64 s[4:5], s[0:1], 0x10
	s_sub_co_i32 s38, s12, s13
	s_ashr_i32 s19, s18, 31
	s_cmp_neq_f32 s36, 0
	v_bfe_u32 v14, v0, 2, 3
	v_mov_b32_e32 v5, 0
	v_mul_u32_u24_e32 v15, 56, v6
	s_cselect_b32 vcc_lo, -1, 0
	s_abs_i32 s39, s14
	v_lshlrev_b32_e32 v4, 4, v14
	s_cvt_f32_u32 s3, s39
	s_lshl_b64 s[40:41], s[24:25], 2
	v_subrev_nc_u32_e32 v10, s34, v14
	v_mov_b32_e32 v16, 0xff7fffff
	v_rcp_iflag_f32_e32 v7, s3
	v_cmp_eq_u32_e64 s3, 0, v6
	s_delay_alu instid0(VALU_DEP_3)
	v_dual_mov_b32 v20, v27 :: v_dual_add_nc_u32 v17, 1, v10
	s_mov_b32 s29, 0
	v_mov_b32_e32 v19, 0xff7fffff
	s_wait_kmcnt 0x0
	s_add_nc_u64 s[4:5], s[4:5], s[18:19]
	v_readfirstlane_b32 s28, v7
	v_add_nc_u64_e32 v[8:9], s[4:5], v[4:5]
	v_lshlrev_b32_e32 v7, 2, v14
	v_lshlrev_b32_e32 v4, 1, v6
	s_add_nc_u64 s[4:5], s[22:23], s[40:41]
	s_mul_f32 s19, s28, 0x4f7ffffe
	s_sub_co_i32 s28, 0, s39
	v_lshl_or_b32 v11, v27, 5, v7
	v_add_nc_u64_e32 v[6:7], v[8:9], v[4:5]
	v_and_b32_e32 v4, 0x7c, v1
	s_cvt_u32_f32 s40, s19
	s_mov_b32 s19, s17
	v_add_nc_u32_e32 v18, 0x100, v11
	s_delay_alu instid0(VALU_DEP_2) | instskip(SKIP_3) | instid1(SALU_CYCLE_1)
	v_add_nc_u64_e32 v[8:9], s[4:5], v[4:5]
	s_mul_i32 s28, s28, s40
	v_lshlrev_b32_e32 v4, 3, v27
	s_mul_hi_u32 s28, s40, s28
	s_add_co_i32 s28, s40, s28
	s_mov_b32 s40, s29
	s_branch .LBB238_12
.LBB238_10:                             ;   in Loop: Header=BB238_12 Depth=1
	s_or_b32 exec_lo, exec_lo, s41
.LBB238_11:                             ;   in Loop: Header=BB238_12 Depth=1
	s_delay_alu instid0(SALU_CYCLE_1) | instskip(SKIP_4) | instid1(VALU_DEP_4)
	s_or_b32 exec_lo, exec_lo, s5
	v_add_nc_u32_e32 v20, 4, v20
	v_add_nc_u64_e32 v[8:9], 16, v[8:9]
	v_add_nc_u32_e32 v4, 32, v4
	v_add_nc_u32_e32 v18, 0x80, v18
	v_cmp_le_i32_e64 s4, s26, v20
	s_or_b32 s40, s4, s40
	s_delay_alu instid0(SALU_CYCLE_1)
	s_and_not1_b32 exec_lo, exec_lo, s40
	s_cbranch_execz .LBB238_243
.LBB238_12:                             ; =>This Inner Loop Header: Depth=1
	s_wait_dscnt 0x0
	v_mul_u64_e32 v[10:11], s[20:21], v[4:5]
	s_delay_alu instid0(VALU_DEP_1) | instskip(NEXT) | instid1(VALU_DEP_1)
	v_mul_lo_u32 v10, v11, s16
	v_dual_add_nc_u32 v12, 1, v11 :: v_dual_sub_nc_u32 v10, v4, v10
	s_delay_alu instid0(VALU_DEP_1) | instskip(SKIP_1) | instid1(VALU_DEP_1)
	v_subrev_nc_u32_e32 v13, s16, v10
	v_cmp_le_u32_e64 s4, s16, v10
	v_dual_cndmask_b32 v11, v11, v12, s4 :: v_dual_cndmask_b32 v10, v10, v13, s4
	s_delay_alu instid0(VALU_DEP_1) | instskip(NEXT) | instid1(VALU_DEP_2)
	v_add_nc_u32_e32 v12, 1, v11
	v_cmp_le_u32_e64 s4, s16, v10
	s_delay_alu instid0(VALU_DEP_1) | instskip(NEXT) | instid1(VALU_DEP_1)
	v_dual_cndmask_b32 v10, v11, v12, s4 :: v_dual_mov_b32 v11, v5
	v_xor_b32_e32 v10, s15, v10
	s_delay_alu instid0(VALU_DEP_1) | instskip(NEXT) | instid1(VALU_DEP_1)
	v_subrev_nc_u32_e32 v21, s15, v10
	v_add_nc_u32_e32 v22, s35, v21
	v_cmp_ge_i32_e64 s5, s38, v21
	s_delay_alu instid0(VALU_DEP_2) | instskip(NEXT) | instid1(VALU_DEP_1)
	v_sub_nc_u32_e32 v10, 0, v22
	v_max_i32_e32 v10, v22, v10
	s_delay_alu instid0(VALU_DEP_1) | instskip(SKIP_1) | instid1(VALU_DEP_2)
	v_mul_u64_e32 v[12:13], s[28:29], v[10:11]
	v_ashrrev_i32_e32 v12, 31, v22
	v_mul_lo_u32 v11, v13, s39
	s_delay_alu instid0(VALU_DEP_1) | instskip(NEXT) | instid1(VALU_DEP_1)
	v_sub_nc_u32_e32 v10, v10, v11
	v_subrev_nc_u32_e32 v11, s39, v10
	v_cmp_le_u32_e64 s4, s39, v10
	s_delay_alu instid0(VALU_DEP_1) | instskip(NEXT) | instid1(VALU_DEP_1)
	v_cndmask_b32_e64 v10, v10, v11, s4
	v_subrev_nc_u32_e32 v11, s39, v10
	v_cmp_le_u32_e64 s4, s39, v10
	s_delay_alu instid0(VALU_DEP_1) | instskip(NEXT) | instid1(VALU_DEP_1)
	v_cndmask_b32_e64 v10, v10, v11, s4
	v_xor_b32_e32 v10, v10, v12
	s_delay_alu instid0(VALU_DEP_1) | instskip(NEXT) | instid1(VALU_DEP_1)
	v_sub_nc_u32_e32 v10, v10, v12
	v_cmp_ne_u32_e64 s4, 0, v10
	s_and_b32 s4, s4, s5
	s_delay_alu instid0(SALU_CYCLE_1) | instskip(NEXT) | instid1(SALU_CYCLE_1)
	s_and_saveexec_b32 s5, s4
	s_xor_b32 s4, exec_lo, s5
	s_cbranch_execz .LBB238_16
; %bb.13:                               ;   in Loop: Header=BB238_12 Depth=1
	s_and_saveexec_b32 s5, s3
; %bb.14:                               ;   in Loop: Header=BB238_12 Depth=1
	ds_store_b32 v18, v19
; %bb.15:                               ;   in Loop: Header=BB238_12 Depth=1
	s_or_b32 exec_lo, exec_lo, s5
.LBB238_16:                             ;   in Loop: Header=BB238_12 Depth=1
	s_and_not1_saveexec_b32 s5, s4
	s_cbranch_execz .LBB238_11
; %bb.17:                               ;   in Loop: Header=BB238_12 Depth=1
	global_load_b32 v10, v[8:9], off
	v_dual_mov_b32 v22, 0 :: v_dual_mov_b32 v23, 0
	s_mov_b32 s41, exec_lo
	global_load_b32 v21, v22, s[8:9]
	s_wait_loadcnt 0x1
	v_mad_nc_i64_i32 v[10:11], v10, s19, v[6:7]
	global_load_u16 v12, v[10:11], off
	s_wait_loadcnt 0x0
	v_and_b32_e32 v13, 0xff, v12
	v_and_b32_e32 v12, 0xffff, v12
	s_delay_alu instid0(VALU_DEP_2)
	v_cmpx_ne_u16_e32 0, v13
	s_cbranch_execz .LBB238_25
; %bb.18:                               ;   in Loop: Header=BB238_12 Depth=1
	s_delay_alu instid0(VALU_DEP_2) | instskip(SKIP_2) | instid1(VALU_DEP_2)
	v_and_b32_e32 v13, 0xff, v12
	v_mov_b32_e32 v23, 0x8000
	s_mov_b32 s42, exec_lo
	v_cmpx_ne_u16_e32 0x80, v13
	s_cbranch_execz .LBB238_24
; %bb.19:                               ;   in Loop: Header=BB238_12 Depth=1
	v_and_b32_e32 v24, 0x7f, v12
	v_mov_b32_e32 v23, 0x7c01
	s_mov_b32 s43, exec_lo
	s_delay_alu instid0(VALU_DEP_2)
	v_cmpx_ne_u32_e32 0x7f, v24
	s_cbranch_execz .LBB238_23
; %bb.20:                               ;   in Loop: Header=BB238_12 Depth=1
	v_and_b32_e32 v13, 7, v12
	v_lshrrev_b32_e32 v23, 3, v24
	s_mov_b32 s44, exec_lo
	v_cmpx_gt_u32_e32 8, v24
; %bb.21:                               ;   in Loop: Header=BB238_12 Depth=1
	s_delay_alu instid0(VALU_DEP_3) | instskip(NEXT) | instid1(VALU_DEP_1)
	v_clz_i32_u32_e32 v13, v13
	v_min_u32_e32 v13, 32, v13
	s_delay_alu instid0(VALU_DEP_1) | instskip(NEXT) | instid1(VALU_DEP_1)
	v_subrev_nc_u32_e32 v23, 28, v13
	v_lshlrev_b64_e32 v[24:25], v23, v[12:13]
	s_delay_alu instid0(VALU_DEP_1)
	v_dual_sub_nc_u32 v23, 29, v13 :: v_dual_bitop2_b32 v13, 7, v24 bitop3:0x40
; %bb.22:                               ;   in Loop: Header=BB238_12 Depth=1
	s_or_b32 exec_lo, exec_lo, s44
	s_delay_alu instid0(VALU_DEP_1) | instskip(NEXT) | instid1(VALU_DEP_2)
	v_dual_lshlrev_b32 v24, 8, v12 :: v_dual_lshlrev_b32 v13, 7, v13
	v_lshl_add_u32 v23, v23, 10, 0x2000
	s_delay_alu instid0(VALU_DEP_2) | instskip(NEXT) | instid1(VALU_DEP_2)
	v_and_b32_e32 v24, 0x8000, v24
	v_and_b32_e32 v23, 0xfc00, v23
	s_delay_alu instid0(VALU_DEP_1)
	v_or3_b32 v23, v24, v23, v13
.LBB238_23:                             ;   in Loop: Header=BB238_12 Depth=1
	s_or_b32 exec_lo, exec_lo, s43
.LBB238_24:                             ;   in Loop: Header=BB238_12 Depth=1
	s_delay_alu instid0(SALU_CYCLE_1)
	s_or_b32 exec_lo, exec_lo, s42
.LBB238_25:                             ;   in Loop: Header=BB238_12 Depth=1
	s_delay_alu instid0(SALU_CYCLE_1) | instskip(NEXT) | instid1(VALU_DEP_2)
	s_or_b32 exec_lo, exec_lo, s41
	v_lshrrev_b16 v12, 8, v12
	s_mov_b32 s41, exec_lo
	s_delay_alu instid0(VALU_DEP_1)
	v_cmpx_ne_u16_e32 0, v12
	s_cbranch_execz .LBB238_33
; %bb.26:                               ;   in Loop: Header=BB238_12 Depth=1
	v_bfrev_b32_e32 v22, 1
	s_mov_b32 s42, exec_lo
	v_cmpx_ne_u16_e32 0x80, v12
	s_cbranch_execz .LBB238_32
; %bb.27:                               ;   in Loop: Header=BB238_12 Depth=1
	v_and_b32_e32 v24, 0xffff, v12
	v_mov_b32_e32 v22, 0x7c010000
	s_mov_b32 s43, exec_lo
	s_delay_alu instid0(VALU_DEP_2) | instskip(NEXT) | instid1(VALU_DEP_1)
	v_and_b32_e32 v25, 0x7f, v24
	v_cmpx_ne_u32_e32 0x7f, v25
	s_cbranch_execz .LBB238_31
; %bb.28:                               ;   in Loop: Header=BB238_12 Depth=1
	v_dual_lshrrev_b32 v22, 3, v25 :: v_dual_bitop2_b32 v13, 7, v24 bitop3:0x40
	s_mov_b32 s44, exec_lo
	v_cmpx_gt_u32_e32 8, v25
	s_cbranch_execz .LBB238_30
; %bb.29:                               ;   in Loop: Header=BB238_12 Depth=1
	s_delay_alu instid0(VALU_DEP_2) | instskip(NEXT) | instid1(VALU_DEP_1)
	v_clz_i32_u32_e32 v13, v13
	v_min_u32_e32 v22, 32, v13
	v_mov_b32_e32 v13, v5
	s_delay_alu instid0(VALU_DEP_2) | instskip(SKIP_1) | instid1(VALU_DEP_2)
	v_subrev_nc_u32_e32 v25, 28, v22
	v_sub_nc_u32_e32 v22, 29, v22
	v_lshlrev_b64_e32 v[12:13], v25, v[12:13]
	s_delay_alu instid0(VALU_DEP_1)
	v_and_b32_e32 v13, 7, v12
.LBB238_30:                             ;   in Loop: Header=BB238_12 Depth=1
	s_or_b32 exec_lo, exec_lo, s44
	s_delay_alu instid0(VALU_DEP_1) | instskip(SKIP_1) | instid1(VALU_DEP_1)
	v_dual_lshlrev_b32 v12, 8, v24 :: v_dual_lshlrev_b32 v13, 23, v13
	v_lshl_add_u32 v22, v22, 10, 0x2000
	v_and_or_b32 v12, 0x8000, v12, v22
	s_delay_alu instid0(VALU_DEP_1)
	v_lshl_or_b32 v22, v12, 16, v13
.LBB238_31:                             ;   in Loop: Header=BB238_12 Depth=1
	s_or_b32 exec_lo, exec_lo, s43
.LBB238_32:                             ;   in Loop: Header=BB238_12 Depth=1
	s_delay_alu instid0(SALU_CYCLE_1)
	s_or_b32 exec_lo, exec_lo, s42
.LBB238_33:                             ;   in Loop: Header=BB238_12 Depth=1
	s_delay_alu instid0(SALU_CYCLE_1)
	s_or_b32 exec_lo, exec_lo, s41
	global_load_u16 v12, v[10:11], off offset:8
	v_dual_mov_b32 v24, 0 :: v_dual_mov_b32 v25, 0
	s_mov_b32 s41, exec_lo
	s_wait_loadcnt 0x0
	v_and_b32_e32 v13, 0xff, v12
	v_and_b32_e32 v12, 0xffff, v12
	s_delay_alu instid0(VALU_DEP_2)
	v_cmpx_ne_u16_e32 0, v13
	s_cbranch_execz .LBB238_41
; %bb.34:                               ;   in Loop: Header=BB238_12 Depth=1
	s_delay_alu instid0(VALU_DEP_2) | instskip(SKIP_2) | instid1(VALU_DEP_2)
	v_and_b32_e32 v13, 0xff, v12
	v_mov_b32_e32 v25, 0x8000
	s_mov_b32 s42, exec_lo
	v_cmpx_ne_u16_e32 0x80, v13
	s_cbranch_execz .LBB238_40
; %bb.35:                               ;   in Loop: Header=BB238_12 Depth=1
	v_and_b32_e32 v26, 0x7f, v12
	v_mov_b32_e32 v25, 0x7c01
	s_mov_b32 s43, exec_lo
	s_delay_alu instid0(VALU_DEP_2)
	v_cmpx_ne_u32_e32 0x7f, v26
	s_cbranch_execz .LBB238_39
; %bb.36:                               ;   in Loop: Header=BB238_12 Depth=1
	v_dual_lshrrev_b32 v25, 3, v26 :: v_dual_bitop2_b32 v13, 7, v12 bitop3:0x40
	s_mov_b32 s44, exec_lo
	v_cmpx_gt_u32_e32 8, v26
; %bb.37:                               ;   in Loop: Header=BB238_12 Depth=1
	s_delay_alu instid0(VALU_DEP_2) | instskip(NEXT) | instid1(VALU_DEP_1)
	v_clz_i32_u32_e32 v13, v13
	v_min_u32_e32 v13, 32, v13
	s_delay_alu instid0(VALU_DEP_1) | instskip(NEXT) | instid1(VALU_DEP_1)
	v_subrev_nc_u32_e32 v25, 28, v13
	v_lshlrev_b64_e32 v[28:29], v25, v[12:13]
	s_delay_alu instid0(VALU_DEP_1)
	v_dual_sub_nc_u32 v25, 29, v13 :: v_dual_bitop2_b32 v13, 7, v28 bitop3:0x40
; %bb.38:                               ;   in Loop: Header=BB238_12 Depth=1
	s_or_b32 exec_lo, exec_lo, s44
	s_delay_alu instid0(VALU_DEP_1) | instskip(NEXT) | instid1(VALU_DEP_2)
	v_dual_lshlrev_b32 v26, 8, v12 :: v_dual_lshlrev_b32 v13, 7, v13
	v_lshl_add_u32 v25, v25, 10, 0x2000
	s_delay_alu instid0(VALU_DEP_2) | instskip(NEXT) | instid1(VALU_DEP_2)
	v_and_b32_e32 v26, 0x8000, v26
	v_and_b32_e32 v25, 0xfc00, v25
	s_delay_alu instid0(VALU_DEP_1)
	v_or3_b32 v25, v26, v25, v13
.LBB238_39:                             ;   in Loop: Header=BB238_12 Depth=1
	s_or_b32 exec_lo, exec_lo, s43
.LBB238_40:                             ;   in Loop: Header=BB238_12 Depth=1
	s_delay_alu instid0(SALU_CYCLE_1)
	s_or_b32 exec_lo, exec_lo, s42
.LBB238_41:                             ;   in Loop: Header=BB238_12 Depth=1
	s_delay_alu instid0(SALU_CYCLE_1) | instskip(NEXT) | instid1(VALU_DEP_2)
	s_or_b32 exec_lo, exec_lo, s41
	v_lshrrev_b16 v12, 8, v12
	s_mov_b32 s41, exec_lo
	s_delay_alu instid0(VALU_DEP_1)
	v_cmpx_ne_u16_e32 0, v12
	s_cbranch_execz .LBB238_49
; %bb.42:                               ;   in Loop: Header=BB238_12 Depth=1
	v_bfrev_b32_e32 v24, 1
	s_mov_b32 s42, exec_lo
	v_cmpx_ne_u16_e32 0x80, v12
	s_cbranch_execz .LBB238_48
; %bb.43:                               ;   in Loop: Header=BB238_12 Depth=1
	v_and_b32_e32 v26, 0xffff, v12
	v_mov_b32_e32 v24, 0x7c010000
	s_mov_b32 s43, exec_lo
	s_delay_alu instid0(VALU_DEP_2) | instskip(NEXT) | instid1(VALU_DEP_1)
	v_and_b32_e32 v28, 0x7f, v26
	v_cmpx_ne_u32_e32 0x7f, v28
	s_cbranch_execz .LBB238_47
; %bb.44:                               ;   in Loop: Header=BB238_12 Depth=1
	v_dual_lshrrev_b32 v24, 3, v28 :: v_dual_bitop2_b32 v13, 7, v26 bitop3:0x40
	s_mov_b32 s44, exec_lo
	v_cmpx_gt_u32_e32 8, v28
	s_cbranch_execz .LBB238_46
; %bb.45:                               ;   in Loop: Header=BB238_12 Depth=1
	s_delay_alu instid0(VALU_DEP_2) | instskip(NEXT) | instid1(VALU_DEP_1)
	v_clz_i32_u32_e32 v13, v13
	v_min_u32_e32 v24, 32, v13
	v_mov_b32_e32 v13, v5
	s_delay_alu instid0(VALU_DEP_2) | instskip(SKIP_1) | instid1(VALU_DEP_2)
	v_subrev_nc_u32_e32 v28, 28, v24
	v_sub_nc_u32_e32 v24, 29, v24
	v_lshlrev_b64_e32 v[12:13], v28, v[12:13]
	s_delay_alu instid0(VALU_DEP_1)
	v_and_b32_e32 v13, 7, v12
.LBB238_46:                             ;   in Loop: Header=BB238_12 Depth=1
	s_or_b32 exec_lo, exec_lo, s44
	s_delay_alu instid0(VALU_DEP_1) | instskip(SKIP_1) | instid1(VALU_DEP_1)
	v_dual_lshlrev_b32 v12, 8, v26 :: v_dual_lshlrev_b32 v13, 23, v13
	v_lshl_add_u32 v24, v24, 10, 0x2000
	v_and_or_b32 v12, 0x8000, v12, v24
	s_delay_alu instid0(VALU_DEP_1)
	v_lshl_or_b32 v24, v12, 16, v13
.LBB238_47:                             ;   in Loop: Header=BB238_12 Depth=1
	s_or_b32 exec_lo, exec_lo, s43
.LBB238_48:                             ;   in Loop: Header=BB238_12 Depth=1
	s_delay_alu instid0(SALU_CYCLE_1)
	s_or_b32 exec_lo, exec_lo, s42
.LBB238_49:                             ;   in Loop: Header=BB238_12 Depth=1
	s_delay_alu instid0(SALU_CYCLE_1)
	s_or_b32 exec_lo, exec_lo, s41
	global_load_u16 v12, v[10:11], off offset:128
	v_dual_mov_b32 v26, 0 :: v_dual_mov_b32 v28, 0
	s_mov_b32 s41, exec_lo
	s_wait_loadcnt 0x0
	v_and_b32_e32 v13, 0xff, v12
	v_and_b32_e32 v12, 0xffff, v12
	s_delay_alu instid0(VALU_DEP_2)
	v_cmpx_ne_u16_e32 0, v13
	s_cbranch_execz .LBB238_57
; %bb.50:                               ;   in Loop: Header=BB238_12 Depth=1
	s_delay_alu instid0(VALU_DEP_2) | instskip(SKIP_2) | instid1(VALU_DEP_2)
	v_and_b32_e32 v13, 0xff, v12
	v_mov_b32_e32 v28, 0x8000
	s_mov_b32 s42, exec_lo
	v_cmpx_ne_u16_e32 0x80, v13
	s_cbranch_execz .LBB238_56
; %bb.51:                               ;   in Loop: Header=BB238_12 Depth=1
	v_and_b32_e32 v29, 0x7f, v12
	v_mov_b32_e32 v28, 0x7c01
	s_mov_b32 s43, exec_lo
	s_delay_alu instid0(VALU_DEP_2)
	v_cmpx_ne_u32_e32 0x7f, v29
	s_cbranch_execz .LBB238_55
; %bb.52:                               ;   in Loop: Header=BB238_12 Depth=1
	v_dual_lshrrev_b32 v28, 3, v29 :: v_dual_bitop2_b32 v13, 7, v12 bitop3:0x40
	s_mov_b32 s44, exec_lo
	v_cmpx_gt_u32_e32 8, v29
; %bb.53:                               ;   in Loop: Header=BB238_12 Depth=1
	s_delay_alu instid0(VALU_DEP_2) | instskip(NEXT) | instid1(VALU_DEP_1)
	v_clz_i32_u32_e32 v13, v13
	v_min_u32_e32 v13, 32, v13
	s_delay_alu instid0(VALU_DEP_1) | instskip(NEXT) | instid1(VALU_DEP_1)
	v_subrev_nc_u32_e32 v28, 28, v13
	v_lshlrev_b64_e32 v[30:31], v28, v[12:13]
	s_delay_alu instid0(VALU_DEP_1)
	v_dual_sub_nc_u32 v28, 29, v13 :: v_dual_bitop2_b32 v13, 7, v30 bitop3:0x40
; %bb.54:                               ;   in Loop: Header=BB238_12 Depth=1
	s_or_b32 exec_lo, exec_lo, s44
	s_delay_alu instid0(VALU_DEP_1) | instskip(NEXT) | instid1(VALU_DEP_2)
	v_dual_lshlrev_b32 v29, 8, v12 :: v_dual_lshlrev_b32 v13, 7, v13
	v_lshl_add_u32 v28, v28, 10, 0x2000
	s_delay_alu instid0(VALU_DEP_2) | instskip(NEXT) | instid1(VALU_DEP_2)
	v_and_b32_e32 v29, 0x8000, v29
	v_and_b32_e32 v28, 0xfc00, v28
	s_delay_alu instid0(VALU_DEP_1)
	v_or3_b32 v28, v29, v28, v13
.LBB238_55:                             ;   in Loop: Header=BB238_12 Depth=1
	s_or_b32 exec_lo, exec_lo, s43
.LBB238_56:                             ;   in Loop: Header=BB238_12 Depth=1
	s_delay_alu instid0(SALU_CYCLE_1)
	s_or_b32 exec_lo, exec_lo, s42
.LBB238_57:                             ;   in Loop: Header=BB238_12 Depth=1
	s_delay_alu instid0(SALU_CYCLE_1) | instskip(NEXT) | instid1(VALU_DEP_2)
	s_or_b32 exec_lo, exec_lo, s41
	v_lshrrev_b16 v12, 8, v12
	s_mov_b32 s41, exec_lo
	s_delay_alu instid0(VALU_DEP_1)
	v_cmpx_ne_u16_e32 0, v12
	s_cbranch_execz .LBB238_65
; %bb.58:                               ;   in Loop: Header=BB238_12 Depth=1
	v_bfrev_b32_e32 v26, 1
	s_mov_b32 s42, exec_lo
	v_cmpx_ne_u16_e32 0x80, v12
	s_cbranch_execz .LBB238_64
; %bb.59:                               ;   in Loop: Header=BB238_12 Depth=1
	v_and_b32_e32 v29, 0xffff, v12
	v_mov_b32_e32 v26, 0x7c010000
	s_mov_b32 s43, exec_lo
	s_delay_alu instid0(VALU_DEP_2) | instskip(NEXT) | instid1(VALU_DEP_1)
	v_and_b32_e32 v30, 0x7f, v29
	v_cmpx_ne_u32_e32 0x7f, v30
	s_cbranch_execz .LBB238_63
; %bb.60:                               ;   in Loop: Header=BB238_12 Depth=1
	v_dual_lshrrev_b32 v26, 3, v30 :: v_dual_bitop2_b32 v13, 7, v29 bitop3:0x40
	s_mov_b32 s44, exec_lo
	v_cmpx_gt_u32_e32 8, v30
	s_cbranch_execz .LBB238_62
; %bb.61:                               ;   in Loop: Header=BB238_12 Depth=1
	s_delay_alu instid0(VALU_DEP_2) | instskip(NEXT) | instid1(VALU_DEP_1)
	v_clz_i32_u32_e32 v13, v13
	v_min_u32_e32 v26, 32, v13
	v_mov_b32_e32 v13, v5
	s_delay_alu instid0(VALU_DEP_2) | instskip(SKIP_1) | instid1(VALU_DEP_2)
	v_subrev_nc_u32_e32 v30, 28, v26
	v_sub_nc_u32_e32 v26, 29, v26
	v_lshlrev_b64_e32 v[12:13], v30, v[12:13]
	s_delay_alu instid0(VALU_DEP_1)
	v_and_b32_e32 v13, 7, v12
.LBB238_62:                             ;   in Loop: Header=BB238_12 Depth=1
	s_or_b32 exec_lo, exec_lo, s44
	v_lshlrev_b32_e32 v12, 8, v29
	v_lshl_add_u32 v26, v26, 10, 0x2000
	s_delay_alu instid0(VALU_DEP_3) | instskip(NEXT) | instid1(VALU_DEP_2)
	v_lshlrev_b32_e32 v13, 23, v13
	v_and_or_b32 v12, 0x8000, v12, v26
	s_delay_alu instid0(VALU_DEP_1)
	v_lshl_or_b32 v26, v12, 16, v13
.LBB238_63:                             ;   in Loop: Header=BB238_12 Depth=1
	s_or_b32 exec_lo, exec_lo, s43
.LBB238_64:                             ;   in Loop: Header=BB238_12 Depth=1
	s_delay_alu instid0(SALU_CYCLE_1)
	s_or_b32 exec_lo, exec_lo, s42
.LBB238_65:                             ;   in Loop: Header=BB238_12 Depth=1
	s_delay_alu instid0(SALU_CYCLE_1)
	s_or_b32 exec_lo, exec_lo, s41
	global_load_u16 v12, v[10:11], off offset:136
	v_dual_mov_b32 v29, 0 :: v_dual_mov_b32 v30, 0
	s_mov_b32 s41, exec_lo
	s_wait_loadcnt 0x0
	v_and_b32_e32 v13, 0xff, v12
	v_and_b32_e32 v12, 0xffff, v12
	s_delay_alu instid0(VALU_DEP_2)
	v_cmpx_ne_u16_e32 0, v13
	s_cbranch_execz .LBB238_73
; %bb.66:                               ;   in Loop: Header=BB238_12 Depth=1
	s_delay_alu instid0(VALU_DEP_2) | instskip(SKIP_2) | instid1(VALU_DEP_2)
	v_and_b32_e32 v13, 0xff, v12
	v_mov_b32_e32 v30, 0x8000
	s_mov_b32 s42, exec_lo
	v_cmpx_ne_u16_e32 0x80, v13
	s_cbranch_execz .LBB238_72
; %bb.67:                               ;   in Loop: Header=BB238_12 Depth=1
	v_and_b32_e32 v31, 0x7f, v12
	v_mov_b32_e32 v30, 0x7c01
	s_mov_b32 s43, exec_lo
	s_delay_alu instid0(VALU_DEP_2)
	v_cmpx_ne_u32_e32 0x7f, v31
	s_cbranch_execz .LBB238_71
; %bb.68:                               ;   in Loop: Header=BB238_12 Depth=1
	v_dual_lshrrev_b32 v30, 3, v31 :: v_dual_bitop2_b32 v13, 7, v12 bitop3:0x40
	s_mov_b32 s44, exec_lo
	v_cmpx_gt_u32_e32 8, v31
; %bb.69:                               ;   in Loop: Header=BB238_12 Depth=1
	s_delay_alu instid0(VALU_DEP_2) | instskip(NEXT) | instid1(VALU_DEP_1)
	v_clz_i32_u32_e32 v13, v13
	v_min_u32_e32 v13, 32, v13
	s_delay_alu instid0(VALU_DEP_1) | instskip(NEXT) | instid1(VALU_DEP_1)
	v_subrev_nc_u32_e32 v30, 28, v13
	v_lshlrev_b64_e32 v[32:33], v30, v[12:13]
	s_delay_alu instid0(VALU_DEP_1)
	v_dual_sub_nc_u32 v30, 29, v13 :: v_dual_bitop2_b32 v13, 7, v32 bitop3:0x40
; %bb.70:                               ;   in Loop: Header=BB238_12 Depth=1
	s_or_b32 exec_lo, exec_lo, s44
	s_delay_alu instid0(VALU_DEP_1) | instskip(NEXT) | instid1(VALU_DEP_2)
	v_dual_lshlrev_b32 v31, 8, v12 :: v_dual_lshlrev_b32 v13, 7, v13
	v_lshl_add_u32 v30, v30, 10, 0x2000
	s_delay_alu instid0(VALU_DEP_2) | instskip(NEXT) | instid1(VALU_DEP_2)
	v_and_b32_e32 v31, 0x8000, v31
	v_and_b32_e32 v30, 0xfc00, v30
	s_delay_alu instid0(VALU_DEP_1)
	v_or3_b32 v30, v31, v30, v13
.LBB238_71:                             ;   in Loop: Header=BB238_12 Depth=1
	s_or_b32 exec_lo, exec_lo, s43
.LBB238_72:                             ;   in Loop: Header=BB238_12 Depth=1
	s_delay_alu instid0(SALU_CYCLE_1)
	s_or_b32 exec_lo, exec_lo, s42
.LBB238_73:                             ;   in Loop: Header=BB238_12 Depth=1
	s_delay_alu instid0(SALU_CYCLE_1) | instskip(NEXT) | instid1(VALU_DEP_2)
	s_or_b32 exec_lo, exec_lo, s41
	v_lshrrev_b16 v12, 8, v12
	s_mov_b32 s41, exec_lo
	s_delay_alu instid0(VALU_DEP_1)
	v_cmpx_ne_u16_e32 0, v12
	s_cbranch_execz .LBB238_81
; %bb.74:                               ;   in Loop: Header=BB238_12 Depth=1
	v_bfrev_b32_e32 v29, 1
	s_mov_b32 s42, exec_lo
	v_cmpx_ne_u16_e32 0x80, v12
	s_cbranch_execz .LBB238_80
; %bb.75:                               ;   in Loop: Header=BB238_12 Depth=1
	v_and_b32_e32 v31, 0xffff, v12
	v_mov_b32_e32 v29, 0x7c010000
	s_mov_b32 s43, exec_lo
	s_delay_alu instid0(VALU_DEP_2) | instskip(NEXT) | instid1(VALU_DEP_1)
	v_and_b32_e32 v32, 0x7f, v31
	v_cmpx_ne_u32_e32 0x7f, v32
	s_cbranch_execz .LBB238_79
; %bb.76:                               ;   in Loop: Header=BB238_12 Depth=1
	v_dual_lshrrev_b32 v29, 3, v32 :: v_dual_bitop2_b32 v13, 7, v31 bitop3:0x40
	s_mov_b32 s44, exec_lo
	v_cmpx_gt_u32_e32 8, v32
	s_cbranch_execz .LBB238_78
; %bb.77:                               ;   in Loop: Header=BB238_12 Depth=1
	s_delay_alu instid0(VALU_DEP_2) | instskip(NEXT) | instid1(VALU_DEP_1)
	v_clz_i32_u32_e32 v13, v13
	v_min_u32_e32 v29, 32, v13
	v_mov_b32_e32 v13, v5
	s_delay_alu instid0(VALU_DEP_2) | instskip(SKIP_1) | instid1(VALU_DEP_2)
	v_subrev_nc_u32_e32 v32, 28, v29
	v_sub_nc_u32_e32 v29, 29, v29
	v_lshlrev_b64_e32 v[12:13], v32, v[12:13]
	s_delay_alu instid0(VALU_DEP_1)
	v_and_b32_e32 v13, 7, v12
.LBB238_78:                             ;   in Loop: Header=BB238_12 Depth=1
	s_or_b32 exec_lo, exec_lo, s44
	s_delay_alu instid0(VALU_DEP_1) | instskip(SKIP_1) | instid1(VALU_DEP_1)
	v_dual_lshlrev_b32 v12, 8, v31 :: v_dual_lshlrev_b32 v13, 23, v13
	v_lshl_add_u32 v29, v29, 10, 0x2000
	v_and_or_b32 v12, 0x8000, v12, v29
	s_delay_alu instid0(VALU_DEP_1)
	v_lshl_or_b32 v29, v12, 16, v13
.LBB238_79:                             ;   in Loop: Header=BB238_12 Depth=1
	s_or_b32 exec_lo, exec_lo, s43
.LBB238_80:                             ;   in Loop: Header=BB238_12 Depth=1
	s_delay_alu instid0(SALU_CYCLE_1)
	s_or_b32 exec_lo, exec_lo, s42
.LBB238_81:                             ;   in Loop: Header=BB238_12 Depth=1
	s_delay_alu instid0(SALU_CYCLE_1)
	s_or_b32 exec_lo, exec_lo, s41
	global_load_u16 v12, v[10:11], off offset:256
	v_dual_mov_b32 v31, 0 :: v_dual_mov_b32 v32, 0
	s_mov_b32 s41, exec_lo
	s_wait_loadcnt 0x0
	v_and_b32_e32 v13, 0xff, v12
	v_and_b32_e32 v12, 0xffff, v12
	s_delay_alu instid0(VALU_DEP_2)
	v_cmpx_ne_u16_e32 0, v13
	s_cbranch_execz .LBB238_89
; %bb.82:                               ;   in Loop: Header=BB238_12 Depth=1
	s_delay_alu instid0(VALU_DEP_2) | instskip(SKIP_2) | instid1(VALU_DEP_2)
	v_and_b32_e32 v13, 0xff, v12
	v_mov_b32_e32 v32, 0x8000
	s_mov_b32 s42, exec_lo
	v_cmpx_ne_u16_e32 0x80, v13
	s_cbranch_execz .LBB238_88
; %bb.83:                               ;   in Loop: Header=BB238_12 Depth=1
	v_and_b32_e32 v33, 0x7f, v12
	v_mov_b32_e32 v32, 0x7c01
	s_mov_b32 s43, exec_lo
	s_delay_alu instid0(VALU_DEP_2)
	v_cmpx_ne_u32_e32 0x7f, v33
	s_cbranch_execz .LBB238_87
; %bb.84:                               ;   in Loop: Header=BB238_12 Depth=1
	v_dual_lshrrev_b32 v32, 3, v33 :: v_dual_bitop2_b32 v13, 7, v12 bitop3:0x40
	s_mov_b32 s44, exec_lo
	v_cmpx_gt_u32_e32 8, v33
; %bb.85:                               ;   in Loop: Header=BB238_12 Depth=1
	s_delay_alu instid0(VALU_DEP_2) | instskip(NEXT) | instid1(VALU_DEP_1)
	v_clz_i32_u32_e32 v13, v13
	v_min_u32_e32 v13, 32, v13
	s_delay_alu instid0(VALU_DEP_1) | instskip(NEXT) | instid1(VALU_DEP_1)
	v_subrev_nc_u32_e32 v32, 28, v13
	v_lshlrev_b64_e32 v[34:35], v32, v[12:13]
	s_delay_alu instid0(VALU_DEP_1)
	v_dual_sub_nc_u32 v32, 29, v13 :: v_dual_bitop2_b32 v13, 7, v34 bitop3:0x40
; %bb.86:                               ;   in Loop: Header=BB238_12 Depth=1
	s_or_b32 exec_lo, exec_lo, s44
	s_delay_alu instid0(VALU_DEP_1) | instskip(NEXT) | instid1(VALU_DEP_2)
	v_dual_lshlrev_b32 v33, 8, v12 :: v_dual_lshlrev_b32 v13, 7, v13
	v_lshl_add_u32 v32, v32, 10, 0x2000
	s_delay_alu instid0(VALU_DEP_2) | instskip(NEXT) | instid1(VALU_DEP_2)
	v_and_b32_e32 v33, 0x8000, v33
	v_and_b32_e32 v32, 0xfc00, v32
	s_delay_alu instid0(VALU_DEP_1)
	v_or3_b32 v32, v33, v32, v13
.LBB238_87:                             ;   in Loop: Header=BB238_12 Depth=1
	s_or_b32 exec_lo, exec_lo, s43
.LBB238_88:                             ;   in Loop: Header=BB238_12 Depth=1
	s_delay_alu instid0(SALU_CYCLE_1)
	s_or_b32 exec_lo, exec_lo, s42
.LBB238_89:                             ;   in Loop: Header=BB238_12 Depth=1
	s_delay_alu instid0(SALU_CYCLE_1) | instskip(NEXT) | instid1(VALU_DEP_2)
	s_or_b32 exec_lo, exec_lo, s41
	v_lshrrev_b16 v12, 8, v12
	s_mov_b32 s41, exec_lo
	s_delay_alu instid0(VALU_DEP_1)
	v_cmpx_ne_u16_e32 0, v12
	s_cbranch_execz .LBB238_97
; %bb.90:                               ;   in Loop: Header=BB238_12 Depth=1
	v_bfrev_b32_e32 v31, 1
	s_mov_b32 s42, exec_lo
	v_cmpx_ne_u16_e32 0x80, v12
	s_cbranch_execz .LBB238_96
; %bb.91:                               ;   in Loop: Header=BB238_12 Depth=1
	v_and_b32_e32 v33, 0xffff, v12
	v_mov_b32_e32 v31, 0x7c010000
	s_mov_b32 s43, exec_lo
	s_delay_alu instid0(VALU_DEP_2) | instskip(NEXT) | instid1(VALU_DEP_1)
	v_and_b32_e32 v34, 0x7f, v33
	v_cmpx_ne_u32_e32 0x7f, v34
	s_cbranch_execz .LBB238_95
; %bb.92:                               ;   in Loop: Header=BB238_12 Depth=1
	v_dual_lshrrev_b32 v31, 3, v34 :: v_dual_bitop2_b32 v13, 7, v33 bitop3:0x40
	s_mov_b32 s44, exec_lo
	v_cmpx_gt_u32_e32 8, v34
	s_cbranch_execz .LBB238_94
; %bb.93:                               ;   in Loop: Header=BB238_12 Depth=1
	s_delay_alu instid0(VALU_DEP_2) | instskip(NEXT) | instid1(VALU_DEP_1)
	v_clz_i32_u32_e32 v13, v13
	v_min_u32_e32 v31, 32, v13
	v_mov_b32_e32 v13, v5
	s_delay_alu instid0(VALU_DEP_2) | instskip(SKIP_1) | instid1(VALU_DEP_2)
	v_subrev_nc_u32_e32 v34, 28, v31
	v_sub_nc_u32_e32 v31, 29, v31
	v_lshlrev_b64_e32 v[12:13], v34, v[12:13]
	s_delay_alu instid0(VALU_DEP_1)
	v_and_b32_e32 v13, 7, v12
.LBB238_94:                             ;   in Loop: Header=BB238_12 Depth=1
	s_or_b32 exec_lo, exec_lo, s44
	v_lshlrev_b32_e32 v12, 8, v33
	v_lshl_add_u32 v31, v31, 10, 0x2000
	s_delay_alu instid0(VALU_DEP_3) | instskip(NEXT) | instid1(VALU_DEP_2)
	v_lshlrev_b32_e32 v13, 23, v13
	v_and_or_b32 v12, 0x8000, v12, v31
	s_delay_alu instid0(VALU_DEP_1)
	v_lshl_or_b32 v31, v12, 16, v13
.LBB238_95:                             ;   in Loop: Header=BB238_12 Depth=1
	s_or_b32 exec_lo, exec_lo, s43
.LBB238_96:                             ;   in Loop: Header=BB238_12 Depth=1
	s_delay_alu instid0(SALU_CYCLE_1)
	s_or_b32 exec_lo, exec_lo, s42
.LBB238_97:                             ;   in Loop: Header=BB238_12 Depth=1
	s_delay_alu instid0(SALU_CYCLE_1)
	s_or_b32 exec_lo, exec_lo, s41
	global_load_u16 v12, v[10:11], off offset:264
	v_dual_mov_b32 v33, 0 :: v_dual_mov_b32 v34, 0
	s_mov_b32 s41, exec_lo
	s_wait_loadcnt 0x0
	v_and_b32_e32 v13, 0xff, v12
	v_and_b32_e32 v12, 0xffff, v12
	s_delay_alu instid0(VALU_DEP_2)
	v_cmpx_ne_u16_e32 0, v13
	s_cbranch_execz .LBB238_105
; %bb.98:                               ;   in Loop: Header=BB238_12 Depth=1
	s_delay_alu instid0(VALU_DEP_2) | instskip(SKIP_2) | instid1(VALU_DEP_2)
	v_and_b32_e32 v13, 0xff, v12
	v_mov_b32_e32 v34, 0x8000
	s_mov_b32 s42, exec_lo
	v_cmpx_ne_u16_e32 0x80, v13
	s_cbranch_execz .LBB238_104
; %bb.99:                               ;   in Loop: Header=BB238_12 Depth=1
	v_and_b32_e32 v35, 0x7f, v12
	v_mov_b32_e32 v34, 0x7c01
	s_mov_b32 s43, exec_lo
	s_delay_alu instid0(VALU_DEP_2)
	v_cmpx_ne_u32_e32 0x7f, v35
	s_cbranch_execz .LBB238_103
; %bb.100:                              ;   in Loop: Header=BB238_12 Depth=1
	v_dual_lshrrev_b32 v34, 3, v35 :: v_dual_bitop2_b32 v13, 7, v12 bitop3:0x40
	s_mov_b32 s44, exec_lo
	v_cmpx_gt_u32_e32 8, v35
; %bb.101:                              ;   in Loop: Header=BB238_12 Depth=1
	s_delay_alu instid0(VALU_DEP_2) | instskip(NEXT) | instid1(VALU_DEP_1)
	v_clz_i32_u32_e32 v13, v13
	v_min_u32_e32 v13, 32, v13
	s_delay_alu instid0(VALU_DEP_1) | instskip(NEXT) | instid1(VALU_DEP_1)
	v_subrev_nc_u32_e32 v34, 28, v13
	v_lshlrev_b64_e32 v[36:37], v34, v[12:13]
	s_delay_alu instid0(VALU_DEP_1)
	v_dual_sub_nc_u32 v34, 29, v13 :: v_dual_bitop2_b32 v13, 7, v36 bitop3:0x40
; %bb.102:                              ;   in Loop: Header=BB238_12 Depth=1
	s_or_b32 exec_lo, exec_lo, s44
	s_delay_alu instid0(VALU_DEP_1) | instskip(NEXT) | instid1(VALU_DEP_2)
	v_dual_lshlrev_b32 v35, 8, v12 :: v_dual_lshlrev_b32 v13, 7, v13
	v_lshl_add_u32 v34, v34, 10, 0x2000
	s_delay_alu instid0(VALU_DEP_2) | instskip(NEXT) | instid1(VALU_DEP_2)
	v_and_b32_e32 v35, 0x8000, v35
	v_and_b32_e32 v34, 0xfc00, v34
	s_delay_alu instid0(VALU_DEP_1)
	v_or3_b32 v34, v35, v34, v13
.LBB238_103:                            ;   in Loop: Header=BB238_12 Depth=1
	s_or_b32 exec_lo, exec_lo, s43
.LBB238_104:                            ;   in Loop: Header=BB238_12 Depth=1
	s_delay_alu instid0(SALU_CYCLE_1)
	s_or_b32 exec_lo, exec_lo, s42
.LBB238_105:                            ;   in Loop: Header=BB238_12 Depth=1
	s_delay_alu instid0(SALU_CYCLE_1) | instskip(NEXT) | instid1(VALU_DEP_2)
	s_or_b32 exec_lo, exec_lo, s41
	v_lshrrev_b16 v12, 8, v12
	s_mov_b32 s41, exec_lo
	s_delay_alu instid0(VALU_DEP_1)
	v_cmpx_ne_u16_e32 0, v12
	s_cbranch_execz .LBB238_113
; %bb.106:                              ;   in Loop: Header=BB238_12 Depth=1
	v_bfrev_b32_e32 v33, 1
	s_mov_b32 s42, exec_lo
	v_cmpx_ne_u16_e32 0x80, v12
	s_cbranch_execz .LBB238_112
; %bb.107:                              ;   in Loop: Header=BB238_12 Depth=1
	v_and_b32_e32 v35, 0xffff, v12
	v_mov_b32_e32 v33, 0x7c010000
	s_mov_b32 s43, exec_lo
	s_delay_alu instid0(VALU_DEP_2) | instskip(NEXT) | instid1(VALU_DEP_1)
	v_and_b32_e32 v36, 0x7f, v35
	v_cmpx_ne_u32_e32 0x7f, v36
	s_cbranch_execz .LBB238_111
; %bb.108:                              ;   in Loop: Header=BB238_12 Depth=1
	v_dual_lshrrev_b32 v33, 3, v36 :: v_dual_bitop2_b32 v13, 7, v35 bitop3:0x40
	s_mov_b32 s44, exec_lo
	v_cmpx_gt_u32_e32 8, v36
	s_cbranch_execz .LBB238_110
; %bb.109:                              ;   in Loop: Header=BB238_12 Depth=1
	s_delay_alu instid0(VALU_DEP_2) | instskip(NEXT) | instid1(VALU_DEP_1)
	v_clz_i32_u32_e32 v13, v13
	v_min_u32_e32 v33, 32, v13
	v_mov_b32_e32 v13, v5
	s_delay_alu instid0(VALU_DEP_2) | instskip(SKIP_1) | instid1(VALU_DEP_2)
	v_subrev_nc_u32_e32 v36, 28, v33
	v_sub_nc_u32_e32 v33, 29, v33
	v_lshlrev_b64_e32 v[12:13], v36, v[12:13]
	s_delay_alu instid0(VALU_DEP_1)
	v_and_b32_e32 v13, 7, v12
.LBB238_110:                            ;   in Loop: Header=BB238_12 Depth=1
	s_or_b32 exec_lo, exec_lo, s44
	s_delay_alu instid0(VALU_DEP_1) | instskip(SKIP_1) | instid1(VALU_DEP_1)
	v_dual_lshlrev_b32 v12, 8, v35 :: v_dual_lshlrev_b32 v13, 23, v13
	v_lshl_add_u32 v33, v33, 10, 0x2000
	v_and_or_b32 v12, 0x8000, v12, v33
	s_delay_alu instid0(VALU_DEP_1)
	v_lshl_or_b32 v33, v12, 16, v13
.LBB238_111:                            ;   in Loop: Header=BB238_12 Depth=1
	s_or_b32 exec_lo, exec_lo, s43
.LBB238_112:                            ;   in Loop: Header=BB238_12 Depth=1
	s_delay_alu instid0(SALU_CYCLE_1)
	s_or_b32 exec_lo, exec_lo, s42
.LBB238_113:                            ;   in Loop: Header=BB238_12 Depth=1
	s_delay_alu instid0(SALU_CYCLE_1)
	s_or_b32 exec_lo, exec_lo, s41
	global_load_u16 v12, v[10:11], off offset:384
	v_dual_mov_b32 v35, 0 :: v_dual_mov_b32 v36, 0
	s_mov_b32 s41, exec_lo
	s_wait_loadcnt 0x0
	v_and_b32_e32 v13, 0xff, v12
	v_and_b32_e32 v12, 0xffff, v12
	s_delay_alu instid0(VALU_DEP_2)
	v_cmpx_ne_u16_e32 0, v13
	s_cbranch_execz .LBB238_121
; %bb.114:                              ;   in Loop: Header=BB238_12 Depth=1
	s_delay_alu instid0(VALU_DEP_2) | instskip(SKIP_2) | instid1(VALU_DEP_2)
	v_and_b32_e32 v13, 0xff, v12
	v_mov_b32_e32 v36, 0x8000
	s_mov_b32 s42, exec_lo
	v_cmpx_ne_u16_e32 0x80, v13
	s_cbranch_execz .LBB238_120
; %bb.115:                              ;   in Loop: Header=BB238_12 Depth=1
	v_and_b32_e32 v37, 0x7f, v12
	v_mov_b32_e32 v36, 0x7c01
	s_mov_b32 s43, exec_lo
	s_delay_alu instid0(VALU_DEP_2)
	v_cmpx_ne_u32_e32 0x7f, v37
	s_cbranch_execz .LBB238_119
; %bb.116:                              ;   in Loop: Header=BB238_12 Depth=1
	v_dual_lshrrev_b32 v36, 3, v37 :: v_dual_bitop2_b32 v13, 7, v12 bitop3:0x40
	s_mov_b32 s44, exec_lo
	v_cmpx_gt_u32_e32 8, v37
; %bb.117:                              ;   in Loop: Header=BB238_12 Depth=1
	s_delay_alu instid0(VALU_DEP_2) | instskip(NEXT) | instid1(VALU_DEP_1)
	v_clz_i32_u32_e32 v13, v13
	v_min_u32_e32 v13, 32, v13
	s_delay_alu instid0(VALU_DEP_1) | instskip(NEXT) | instid1(VALU_DEP_1)
	v_subrev_nc_u32_e32 v36, 28, v13
	v_lshlrev_b64_e32 v[38:39], v36, v[12:13]
	s_delay_alu instid0(VALU_DEP_1)
	v_dual_sub_nc_u32 v36, 29, v13 :: v_dual_bitop2_b32 v13, 7, v38 bitop3:0x40
; %bb.118:                              ;   in Loop: Header=BB238_12 Depth=1
	s_or_b32 exec_lo, exec_lo, s44
	s_delay_alu instid0(VALU_DEP_1) | instskip(NEXT) | instid1(VALU_DEP_2)
	v_dual_lshlrev_b32 v37, 8, v12 :: v_dual_lshlrev_b32 v13, 7, v13
	v_lshl_add_u32 v36, v36, 10, 0x2000
	s_delay_alu instid0(VALU_DEP_2) | instskip(NEXT) | instid1(VALU_DEP_2)
	v_and_b32_e32 v37, 0x8000, v37
	v_and_b32_e32 v36, 0xfc00, v36
	s_delay_alu instid0(VALU_DEP_1)
	v_or3_b32 v36, v37, v36, v13
.LBB238_119:                            ;   in Loop: Header=BB238_12 Depth=1
	s_or_b32 exec_lo, exec_lo, s43
.LBB238_120:                            ;   in Loop: Header=BB238_12 Depth=1
	s_delay_alu instid0(SALU_CYCLE_1)
	s_or_b32 exec_lo, exec_lo, s42
.LBB238_121:                            ;   in Loop: Header=BB238_12 Depth=1
	s_delay_alu instid0(SALU_CYCLE_1) | instskip(NEXT) | instid1(VALU_DEP_2)
	s_or_b32 exec_lo, exec_lo, s41
	v_lshrrev_b16 v12, 8, v12
	s_mov_b32 s41, exec_lo
	s_delay_alu instid0(VALU_DEP_1)
	v_cmpx_ne_u16_e32 0, v12
	s_cbranch_execz .LBB238_129
; %bb.122:                              ;   in Loop: Header=BB238_12 Depth=1
	v_bfrev_b32_e32 v35, 1
	s_mov_b32 s42, exec_lo
	v_cmpx_ne_u16_e32 0x80, v12
	s_cbranch_execz .LBB238_128
; %bb.123:                              ;   in Loop: Header=BB238_12 Depth=1
	v_and_b32_e32 v37, 0xffff, v12
	v_mov_b32_e32 v35, 0x7c010000
	s_mov_b32 s43, exec_lo
	s_delay_alu instid0(VALU_DEP_2) | instskip(NEXT) | instid1(VALU_DEP_1)
	v_and_b32_e32 v38, 0x7f, v37
	v_cmpx_ne_u32_e32 0x7f, v38
	s_cbranch_execz .LBB238_127
; %bb.124:                              ;   in Loop: Header=BB238_12 Depth=1
	v_dual_lshrrev_b32 v35, 3, v38 :: v_dual_bitop2_b32 v13, 7, v37 bitop3:0x40
	s_mov_b32 s44, exec_lo
	v_cmpx_gt_u32_e32 8, v38
	s_cbranch_execz .LBB238_126
; %bb.125:                              ;   in Loop: Header=BB238_12 Depth=1
	s_delay_alu instid0(VALU_DEP_2) | instskip(NEXT) | instid1(VALU_DEP_1)
	v_clz_i32_u32_e32 v13, v13
	v_min_u32_e32 v35, 32, v13
	v_mov_b32_e32 v13, v5
	s_delay_alu instid0(VALU_DEP_2) | instskip(SKIP_1) | instid1(VALU_DEP_2)
	v_subrev_nc_u32_e32 v38, 28, v35
	v_sub_nc_u32_e32 v35, 29, v35
	v_lshlrev_b64_e32 v[12:13], v38, v[12:13]
	s_delay_alu instid0(VALU_DEP_1)
	v_and_b32_e32 v13, 7, v12
.LBB238_126:                            ;   in Loop: Header=BB238_12 Depth=1
	s_or_b32 exec_lo, exec_lo, s44
	v_lshlrev_b32_e32 v12, 8, v37
	v_lshl_add_u32 v35, v35, 10, 0x2000
	s_delay_alu instid0(VALU_DEP_3) | instskip(NEXT) | instid1(VALU_DEP_2)
	v_lshlrev_b32_e32 v13, 23, v13
	v_and_or_b32 v12, 0x8000, v12, v35
	s_delay_alu instid0(VALU_DEP_1)
	v_lshl_or_b32 v35, v12, 16, v13
.LBB238_127:                            ;   in Loop: Header=BB238_12 Depth=1
	s_or_b32 exec_lo, exec_lo, s43
.LBB238_128:                            ;   in Loop: Header=BB238_12 Depth=1
	s_delay_alu instid0(SALU_CYCLE_1)
	s_or_b32 exec_lo, exec_lo, s42
.LBB238_129:                            ;   in Loop: Header=BB238_12 Depth=1
	s_delay_alu instid0(SALU_CYCLE_1)
	s_or_b32 exec_lo, exec_lo, s41
	global_load_u16 v12, v[10:11], off offset:392
	v_dual_mov_b32 v37, 0 :: v_dual_mov_b32 v38, 0
	s_mov_b32 s41, exec_lo
	s_wait_loadcnt 0x0
	v_and_b32_e32 v13, 0xff, v12
	v_and_b32_e32 v12, 0xffff, v12
	s_delay_alu instid0(VALU_DEP_2)
	v_cmpx_ne_u16_e32 0, v13
	s_cbranch_execz .LBB238_137
; %bb.130:                              ;   in Loop: Header=BB238_12 Depth=1
	s_delay_alu instid0(VALU_DEP_2) | instskip(SKIP_2) | instid1(VALU_DEP_2)
	v_and_b32_e32 v13, 0xff, v12
	v_mov_b32_e32 v38, 0x8000
	s_mov_b32 s42, exec_lo
	v_cmpx_ne_u16_e32 0x80, v13
	s_cbranch_execz .LBB238_136
; %bb.131:                              ;   in Loop: Header=BB238_12 Depth=1
	v_and_b32_e32 v39, 0x7f, v12
	v_mov_b32_e32 v38, 0x7c01
	s_mov_b32 s43, exec_lo
	s_delay_alu instid0(VALU_DEP_2)
	v_cmpx_ne_u32_e32 0x7f, v39
	s_cbranch_execz .LBB238_135
; %bb.132:                              ;   in Loop: Header=BB238_12 Depth=1
	v_dual_lshrrev_b32 v38, 3, v39 :: v_dual_bitop2_b32 v13, 7, v12 bitop3:0x40
	s_mov_b32 s44, exec_lo
	v_cmpx_gt_u32_e32 8, v39
; %bb.133:                              ;   in Loop: Header=BB238_12 Depth=1
	s_delay_alu instid0(VALU_DEP_2) | instskip(NEXT) | instid1(VALU_DEP_1)
	v_clz_i32_u32_e32 v13, v13
	v_min_u32_e32 v13, 32, v13
	s_delay_alu instid0(VALU_DEP_1) | instskip(NEXT) | instid1(VALU_DEP_1)
	v_subrev_nc_u32_e32 v38, 28, v13
	v_lshlrev_b64_e32 v[40:41], v38, v[12:13]
	s_delay_alu instid0(VALU_DEP_1)
	v_dual_sub_nc_u32 v38, 29, v13 :: v_dual_bitop2_b32 v13, 7, v40 bitop3:0x40
; %bb.134:                              ;   in Loop: Header=BB238_12 Depth=1
	s_or_b32 exec_lo, exec_lo, s44
	s_delay_alu instid0(VALU_DEP_1) | instskip(NEXT) | instid1(VALU_DEP_2)
	v_dual_lshlrev_b32 v39, 8, v12 :: v_dual_lshlrev_b32 v13, 7, v13
	v_lshl_add_u32 v38, v38, 10, 0x2000
	s_delay_alu instid0(VALU_DEP_2) | instskip(NEXT) | instid1(VALU_DEP_2)
	v_and_b32_e32 v39, 0x8000, v39
	v_and_b32_e32 v38, 0xfc00, v38
	s_delay_alu instid0(VALU_DEP_1)
	v_or3_b32 v38, v39, v38, v13
.LBB238_135:                            ;   in Loop: Header=BB238_12 Depth=1
	s_or_b32 exec_lo, exec_lo, s43
.LBB238_136:                            ;   in Loop: Header=BB238_12 Depth=1
	s_delay_alu instid0(SALU_CYCLE_1)
	s_or_b32 exec_lo, exec_lo, s42
.LBB238_137:                            ;   in Loop: Header=BB238_12 Depth=1
	s_delay_alu instid0(SALU_CYCLE_1) | instskip(NEXT) | instid1(VALU_DEP_2)
	s_or_b32 exec_lo, exec_lo, s41
	v_lshrrev_b16 v12, 8, v12
	s_mov_b32 s41, exec_lo
	s_delay_alu instid0(VALU_DEP_1)
	v_cmpx_ne_u16_e32 0, v12
	s_cbranch_execz .LBB238_145
; %bb.138:                              ;   in Loop: Header=BB238_12 Depth=1
	v_bfrev_b32_e32 v37, 1
	s_mov_b32 s42, exec_lo
	v_cmpx_ne_u16_e32 0x80, v12
	s_cbranch_execz .LBB238_144
; %bb.139:                              ;   in Loop: Header=BB238_12 Depth=1
	v_and_b32_e32 v39, 0xffff, v12
	v_mov_b32_e32 v37, 0x7c010000
	s_mov_b32 s43, exec_lo
	s_delay_alu instid0(VALU_DEP_2) | instskip(NEXT) | instid1(VALU_DEP_1)
	v_and_b32_e32 v40, 0x7f, v39
	v_cmpx_ne_u32_e32 0x7f, v40
	s_cbranch_execz .LBB238_143
; %bb.140:                              ;   in Loop: Header=BB238_12 Depth=1
	v_dual_lshrrev_b32 v37, 3, v40 :: v_dual_bitop2_b32 v13, 7, v39 bitop3:0x40
	s_mov_b32 s44, exec_lo
	v_cmpx_gt_u32_e32 8, v40
	s_cbranch_execz .LBB238_142
; %bb.141:                              ;   in Loop: Header=BB238_12 Depth=1
	s_delay_alu instid0(VALU_DEP_2) | instskip(NEXT) | instid1(VALU_DEP_1)
	v_clz_i32_u32_e32 v13, v13
	v_min_u32_e32 v37, 32, v13
	v_mov_b32_e32 v13, v5
	s_delay_alu instid0(VALU_DEP_2) | instskip(SKIP_1) | instid1(VALU_DEP_2)
	v_subrev_nc_u32_e32 v40, 28, v37
	v_sub_nc_u32_e32 v37, 29, v37
	v_lshlrev_b64_e32 v[12:13], v40, v[12:13]
	s_delay_alu instid0(VALU_DEP_1)
	v_and_b32_e32 v13, 7, v12
.LBB238_142:                            ;   in Loop: Header=BB238_12 Depth=1
	s_or_b32 exec_lo, exec_lo, s44
	s_delay_alu instid0(VALU_DEP_1) | instskip(SKIP_1) | instid1(VALU_DEP_1)
	v_dual_lshlrev_b32 v12, 8, v39 :: v_dual_lshlrev_b32 v13, 23, v13
	v_lshl_add_u32 v37, v37, 10, 0x2000
	v_and_or_b32 v12, 0x8000, v12, v37
	s_delay_alu instid0(VALU_DEP_1)
	v_lshl_or_b32 v37, v12, 16, v13
.LBB238_143:                            ;   in Loop: Header=BB238_12 Depth=1
	s_or_b32 exec_lo, exec_lo, s43
.LBB238_144:                            ;   in Loop: Header=BB238_12 Depth=1
	s_delay_alu instid0(SALU_CYCLE_1)
	s_or_b32 exec_lo, exec_lo, s42
.LBB238_145:                            ;   in Loop: Header=BB238_12 Depth=1
	s_delay_alu instid0(SALU_CYCLE_1)
	s_or_b32 exec_lo, exec_lo, s41
	global_load_u16 v12, v[10:11], off offset:512
	v_dual_mov_b32 v39, 0 :: v_dual_mov_b32 v40, 0
	s_mov_b32 s41, exec_lo
	s_wait_loadcnt 0x0
	v_and_b32_e32 v13, 0xff, v12
	v_and_b32_e32 v12, 0xffff, v12
	s_delay_alu instid0(VALU_DEP_2)
	v_cmpx_ne_u16_e32 0, v13
	s_cbranch_execz .LBB238_153
; %bb.146:                              ;   in Loop: Header=BB238_12 Depth=1
	s_delay_alu instid0(VALU_DEP_2) | instskip(SKIP_2) | instid1(VALU_DEP_2)
	v_and_b32_e32 v13, 0xff, v12
	v_mov_b32_e32 v40, 0x8000
	s_mov_b32 s42, exec_lo
	v_cmpx_ne_u16_e32 0x80, v13
	s_cbranch_execz .LBB238_152
; %bb.147:                              ;   in Loop: Header=BB238_12 Depth=1
	v_and_b32_e32 v41, 0x7f, v12
	v_mov_b32_e32 v40, 0x7c01
	s_mov_b32 s43, exec_lo
	s_delay_alu instid0(VALU_DEP_2)
	v_cmpx_ne_u32_e32 0x7f, v41
	s_cbranch_execz .LBB238_151
; %bb.148:                              ;   in Loop: Header=BB238_12 Depth=1
	v_dual_lshrrev_b32 v40, 3, v41 :: v_dual_bitop2_b32 v13, 7, v12 bitop3:0x40
	s_mov_b32 s44, exec_lo
	v_cmpx_gt_u32_e32 8, v41
; %bb.149:                              ;   in Loop: Header=BB238_12 Depth=1
	s_delay_alu instid0(VALU_DEP_2) | instskip(NEXT) | instid1(VALU_DEP_1)
	v_clz_i32_u32_e32 v13, v13
	v_min_u32_e32 v13, 32, v13
	s_delay_alu instid0(VALU_DEP_1) | instskip(NEXT) | instid1(VALU_DEP_1)
	v_subrev_nc_u32_e32 v40, 28, v13
	v_lshlrev_b64_e32 v[42:43], v40, v[12:13]
	s_delay_alu instid0(VALU_DEP_1)
	v_dual_sub_nc_u32 v40, 29, v13 :: v_dual_bitop2_b32 v13, 7, v42 bitop3:0x40
; %bb.150:                              ;   in Loop: Header=BB238_12 Depth=1
	s_or_b32 exec_lo, exec_lo, s44
	s_delay_alu instid0(VALU_DEP_1) | instskip(NEXT) | instid1(VALU_DEP_2)
	v_dual_lshlrev_b32 v41, 8, v12 :: v_dual_lshlrev_b32 v13, 7, v13
	v_lshl_add_u32 v40, v40, 10, 0x2000
	s_delay_alu instid0(VALU_DEP_2) | instskip(NEXT) | instid1(VALU_DEP_2)
	v_and_b32_e32 v41, 0x8000, v41
	v_and_b32_e32 v40, 0xfc00, v40
	s_delay_alu instid0(VALU_DEP_1)
	v_or3_b32 v40, v41, v40, v13
.LBB238_151:                            ;   in Loop: Header=BB238_12 Depth=1
	s_or_b32 exec_lo, exec_lo, s43
.LBB238_152:                            ;   in Loop: Header=BB238_12 Depth=1
	s_delay_alu instid0(SALU_CYCLE_1)
	s_or_b32 exec_lo, exec_lo, s42
.LBB238_153:                            ;   in Loop: Header=BB238_12 Depth=1
	s_delay_alu instid0(SALU_CYCLE_1) | instskip(NEXT) | instid1(VALU_DEP_2)
	s_or_b32 exec_lo, exec_lo, s41
	v_lshrrev_b16 v12, 8, v12
	s_mov_b32 s41, exec_lo
	s_delay_alu instid0(VALU_DEP_1)
	v_cmpx_ne_u16_e32 0, v12
	s_cbranch_execz .LBB238_161
; %bb.154:                              ;   in Loop: Header=BB238_12 Depth=1
	v_bfrev_b32_e32 v39, 1
	s_mov_b32 s42, exec_lo
	v_cmpx_ne_u16_e32 0x80, v12
	s_cbranch_execz .LBB238_160
; %bb.155:                              ;   in Loop: Header=BB238_12 Depth=1
	v_and_b32_e32 v41, 0xffff, v12
	v_mov_b32_e32 v39, 0x7c010000
	s_mov_b32 s43, exec_lo
	s_delay_alu instid0(VALU_DEP_2) | instskip(NEXT) | instid1(VALU_DEP_1)
	v_and_b32_e32 v42, 0x7f, v41
	v_cmpx_ne_u32_e32 0x7f, v42
	s_cbranch_execz .LBB238_159
; %bb.156:                              ;   in Loop: Header=BB238_12 Depth=1
	v_dual_lshrrev_b32 v39, 3, v42 :: v_dual_bitop2_b32 v13, 7, v41 bitop3:0x40
	s_mov_b32 s44, exec_lo
	v_cmpx_gt_u32_e32 8, v42
	s_cbranch_execz .LBB238_158
; %bb.157:                              ;   in Loop: Header=BB238_12 Depth=1
	s_delay_alu instid0(VALU_DEP_2) | instskip(NEXT) | instid1(VALU_DEP_1)
	v_clz_i32_u32_e32 v13, v13
	v_min_u32_e32 v39, 32, v13
	v_mov_b32_e32 v13, v5
	s_delay_alu instid0(VALU_DEP_2) | instskip(SKIP_1) | instid1(VALU_DEP_2)
	v_subrev_nc_u32_e32 v42, 28, v39
	v_sub_nc_u32_e32 v39, 29, v39
	v_lshlrev_b64_e32 v[12:13], v42, v[12:13]
	s_delay_alu instid0(VALU_DEP_1)
	v_and_b32_e32 v13, 7, v12
.LBB238_158:                            ;   in Loop: Header=BB238_12 Depth=1
	s_or_b32 exec_lo, exec_lo, s44
	v_lshlrev_b32_e32 v12, 8, v41
	v_lshl_add_u32 v39, v39, 10, 0x2000
	s_delay_alu instid0(VALU_DEP_3) | instskip(NEXT) | instid1(VALU_DEP_2)
	v_lshlrev_b32_e32 v13, 23, v13
	v_and_or_b32 v12, 0x8000, v12, v39
	s_delay_alu instid0(VALU_DEP_1)
	v_lshl_or_b32 v39, v12, 16, v13
.LBB238_159:                            ;   in Loop: Header=BB238_12 Depth=1
	s_or_b32 exec_lo, exec_lo, s43
.LBB238_160:                            ;   in Loop: Header=BB238_12 Depth=1
	s_delay_alu instid0(SALU_CYCLE_1)
	s_or_b32 exec_lo, exec_lo, s42
.LBB238_161:                            ;   in Loop: Header=BB238_12 Depth=1
	s_delay_alu instid0(SALU_CYCLE_1)
	s_or_b32 exec_lo, exec_lo, s41
	global_load_u16 v12, v[10:11], off offset:520
	v_dual_mov_b32 v41, 0 :: v_dual_mov_b32 v42, 0
	s_mov_b32 s41, exec_lo
	s_wait_loadcnt 0x0
	v_and_b32_e32 v13, 0xff, v12
	v_and_b32_e32 v12, 0xffff, v12
	s_delay_alu instid0(VALU_DEP_2)
	v_cmpx_ne_u16_e32 0, v13
	s_cbranch_execz .LBB238_169
; %bb.162:                              ;   in Loop: Header=BB238_12 Depth=1
	s_delay_alu instid0(VALU_DEP_2) | instskip(SKIP_2) | instid1(VALU_DEP_2)
	v_and_b32_e32 v13, 0xff, v12
	v_mov_b32_e32 v42, 0x8000
	s_mov_b32 s42, exec_lo
	v_cmpx_ne_u16_e32 0x80, v13
	s_cbranch_execz .LBB238_168
; %bb.163:                              ;   in Loop: Header=BB238_12 Depth=1
	v_and_b32_e32 v43, 0x7f, v12
	v_mov_b32_e32 v42, 0x7c01
	s_mov_b32 s43, exec_lo
	s_delay_alu instid0(VALU_DEP_2)
	v_cmpx_ne_u32_e32 0x7f, v43
	s_cbranch_execz .LBB238_167
; %bb.164:                              ;   in Loop: Header=BB238_12 Depth=1
	v_dual_lshrrev_b32 v42, 3, v43 :: v_dual_bitop2_b32 v13, 7, v12 bitop3:0x40
	s_mov_b32 s44, exec_lo
	v_cmpx_gt_u32_e32 8, v43
; %bb.165:                              ;   in Loop: Header=BB238_12 Depth=1
	s_delay_alu instid0(VALU_DEP_2) | instskip(NEXT) | instid1(VALU_DEP_1)
	v_clz_i32_u32_e32 v13, v13
	v_min_u32_e32 v13, 32, v13
	s_delay_alu instid0(VALU_DEP_1) | instskip(NEXT) | instid1(VALU_DEP_1)
	v_subrev_nc_u32_e32 v42, 28, v13
	v_lshlrev_b64_e32 v[44:45], v42, v[12:13]
	s_delay_alu instid0(VALU_DEP_1)
	v_dual_sub_nc_u32 v42, 29, v13 :: v_dual_bitop2_b32 v13, 7, v44 bitop3:0x40
; %bb.166:                              ;   in Loop: Header=BB238_12 Depth=1
	s_or_b32 exec_lo, exec_lo, s44
	s_delay_alu instid0(VALU_DEP_1) | instskip(NEXT) | instid1(VALU_DEP_2)
	v_dual_lshlrev_b32 v43, 8, v12 :: v_dual_lshlrev_b32 v13, 7, v13
	v_lshl_add_u32 v42, v42, 10, 0x2000
	s_delay_alu instid0(VALU_DEP_2) | instskip(NEXT) | instid1(VALU_DEP_2)
	v_and_b32_e32 v43, 0x8000, v43
	v_and_b32_e32 v42, 0xfc00, v42
	s_delay_alu instid0(VALU_DEP_1)
	v_or3_b32 v42, v43, v42, v13
.LBB238_167:                            ;   in Loop: Header=BB238_12 Depth=1
	s_or_b32 exec_lo, exec_lo, s43
.LBB238_168:                            ;   in Loop: Header=BB238_12 Depth=1
	s_delay_alu instid0(SALU_CYCLE_1)
	s_or_b32 exec_lo, exec_lo, s42
.LBB238_169:                            ;   in Loop: Header=BB238_12 Depth=1
	s_delay_alu instid0(SALU_CYCLE_1) | instskip(NEXT) | instid1(VALU_DEP_2)
	s_or_b32 exec_lo, exec_lo, s41
	v_lshrrev_b16 v12, 8, v12
	s_mov_b32 s41, exec_lo
	s_delay_alu instid0(VALU_DEP_1)
	v_cmpx_ne_u16_e32 0, v12
	s_cbranch_execz .LBB238_177
; %bb.170:                              ;   in Loop: Header=BB238_12 Depth=1
	v_bfrev_b32_e32 v41, 1
	s_mov_b32 s42, exec_lo
	v_cmpx_ne_u16_e32 0x80, v12
	s_cbranch_execz .LBB238_176
; %bb.171:                              ;   in Loop: Header=BB238_12 Depth=1
	v_and_b32_e32 v43, 0xffff, v12
	v_mov_b32_e32 v41, 0x7c010000
	s_mov_b32 s43, exec_lo
	s_delay_alu instid0(VALU_DEP_2) | instskip(NEXT) | instid1(VALU_DEP_1)
	v_and_b32_e32 v44, 0x7f, v43
	v_cmpx_ne_u32_e32 0x7f, v44
	s_cbranch_execz .LBB238_175
; %bb.172:                              ;   in Loop: Header=BB238_12 Depth=1
	v_dual_lshrrev_b32 v41, 3, v44 :: v_dual_bitop2_b32 v13, 7, v43 bitop3:0x40
	s_mov_b32 s44, exec_lo
	v_cmpx_gt_u32_e32 8, v44
	s_cbranch_execz .LBB238_174
; %bb.173:                              ;   in Loop: Header=BB238_12 Depth=1
	s_delay_alu instid0(VALU_DEP_2) | instskip(NEXT) | instid1(VALU_DEP_1)
	v_clz_i32_u32_e32 v13, v13
	v_min_u32_e32 v41, 32, v13
	v_mov_b32_e32 v13, v5
	s_delay_alu instid0(VALU_DEP_2) | instskip(SKIP_1) | instid1(VALU_DEP_2)
	v_subrev_nc_u32_e32 v44, 28, v41
	v_sub_nc_u32_e32 v41, 29, v41
	v_lshlrev_b64_e32 v[12:13], v44, v[12:13]
	s_delay_alu instid0(VALU_DEP_1)
	v_and_b32_e32 v13, 7, v12
.LBB238_174:                            ;   in Loop: Header=BB238_12 Depth=1
	s_or_b32 exec_lo, exec_lo, s44
	s_delay_alu instid0(VALU_DEP_1) | instskip(SKIP_1) | instid1(VALU_DEP_1)
	v_dual_lshlrev_b32 v12, 8, v43 :: v_dual_lshlrev_b32 v13, 23, v13
	v_lshl_add_u32 v41, v41, 10, 0x2000
	v_and_or_b32 v12, 0x8000, v12, v41
	s_delay_alu instid0(VALU_DEP_1)
	v_lshl_or_b32 v41, v12, 16, v13
.LBB238_175:                            ;   in Loop: Header=BB238_12 Depth=1
	s_or_b32 exec_lo, exec_lo, s43
.LBB238_176:                            ;   in Loop: Header=BB238_12 Depth=1
	s_delay_alu instid0(SALU_CYCLE_1)
	s_or_b32 exec_lo, exec_lo, s42
.LBB238_177:                            ;   in Loop: Header=BB238_12 Depth=1
	s_delay_alu instid0(SALU_CYCLE_1)
	s_or_b32 exec_lo, exec_lo, s41
	global_load_u16 v12, v[10:11], off offset:640
	v_dual_mov_b32 v43, 0 :: v_dual_mov_b32 v44, 0
	s_mov_b32 s41, exec_lo
	s_wait_loadcnt 0x0
	v_and_b32_e32 v13, 0xff, v12
	v_and_b32_e32 v12, 0xffff, v12
	s_delay_alu instid0(VALU_DEP_2)
	v_cmpx_ne_u16_e32 0, v13
	s_cbranch_execz .LBB238_185
; %bb.178:                              ;   in Loop: Header=BB238_12 Depth=1
	s_delay_alu instid0(VALU_DEP_2) | instskip(SKIP_2) | instid1(VALU_DEP_2)
	v_and_b32_e32 v13, 0xff, v12
	v_mov_b32_e32 v44, 0x8000
	s_mov_b32 s42, exec_lo
	v_cmpx_ne_u16_e32 0x80, v13
	s_cbranch_execz .LBB238_184
; %bb.179:                              ;   in Loop: Header=BB238_12 Depth=1
	v_and_b32_e32 v45, 0x7f, v12
	v_mov_b32_e32 v44, 0x7c01
	s_mov_b32 s43, exec_lo
	s_delay_alu instid0(VALU_DEP_2)
	v_cmpx_ne_u32_e32 0x7f, v45
	s_cbranch_execz .LBB238_183
; %bb.180:                              ;   in Loop: Header=BB238_12 Depth=1
	v_dual_lshrrev_b32 v44, 3, v45 :: v_dual_bitop2_b32 v13, 7, v12 bitop3:0x40
	s_mov_b32 s44, exec_lo
	v_cmpx_gt_u32_e32 8, v45
; %bb.181:                              ;   in Loop: Header=BB238_12 Depth=1
	s_delay_alu instid0(VALU_DEP_2) | instskip(NEXT) | instid1(VALU_DEP_1)
	v_clz_i32_u32_e32 v13, v13
	v_min_u32_e32 v13, 32, v13
	s_delay_alu instid0(VALU_DEP_1) | instskip(NEXT) | instid1(VALU_DEP_1)
	v_subrev_nc_u32_e32 v44, 28, v13
	v_lshlrev_b64_e32 v[46:47], v44, v[12:13]
	s_delay_alu instid0(VALU_DEP_1)
	v_dual_sub_nc_u32 v44, 29, v13 :: v_dual_bitop2_b32 v13, 7, v46 bitop3:0x40
; %bb.182:                              ;   in Loop: Header=BB238_12 Depth=1
	s_or_b32 exec_lo, exec_lo, s44
	s_delay_alu instid0(VALU_DEP_1) | instskip(NEXT) | instid1(VALU_DEP_2)
	v_dual_lshlrev_b32 v45, 8, v12 :: v_dual_lshlrev_b32 v13, 7, v13
	v_lshl_add_u32 v44, v44, 10, 0x2000
	s_delay_alu instid0(VALU_DEP_2) | instskip(NEXT) | instid1(VALU_DEP_2)
	v_and_b32_e32 v45, 0x8000, v45
	v_and_b32_e32 v44, 0xfc00, v44
	s_delay_alu instid0(VALU_DEP_1)
	v_or3_b32 v44, v45, v44, v13
.LBB238_183:                            ;   in Loop: Header=BB238_12 Depth=1
	s_or_b32 exec_lo, exec_lo, s43
.LBB238_184:                            ;   in Loop: Header=BB238_12 Depth=1
	s_delay_alu instid0(SALU_CYCLE_1)
	s_or_b32 exec_lo, exec_lo, s42
.LBB238_185:                            ;   in Loop: Header=BB238_12 Depth=1
	s_delay_alu instid0(SALU_CYCLE_1) | instskip(NEXT) | instid1(VALU_DEP_2)
	s_or_b32 exec_lo, exec_lo, s41
	v_lshrrev_b16 v12, 8, v12
	s_mov_b32 s41, exec_lo
	s_delay_alu instid0(VALU_DEP_1)
	v_cmpx_ne_u16_e32 0, v12
	s_cbranch_execz .LBB238_193
; %bb.186:                              ;   in Loop: Header=BB238_12 Depth=1
	v_bfrev_b32_e32 v43, 1
	s_mov_b32 s42, exec_lo
	v_cmpx_ne_u16_e32 0x80, v12
	s_cbranch_execz .LBB238_192
; %bb.187:                              ;   in Loop: Header=BB238_12 Depth=1
	v_and_b32_e32 v45, 0xffff, v12
	v_mov_b32_e32 v43, 0x7c010000
	s_mov_b32 s43, exec_lo
	s_delay_alu instid0(VALU_DEP_2) | instskip(NEXT) | instid1(VALU_DEP_1)
	v_and_b32_e32 v46, 0x7f, v45
	v_cmpx_ne_u32_e32 0x7f, v46
	s_cbranch_execz .LBB238_191
; %bb.188:                              ;   in Loop: Header=BB238_12 Depth=1
	v_dual_lshrrev_b32 v43, 3, v46 :: v_dual_bitop2_b32 v13, 7, v45 bitop3:0x40
	s_mov_b32 s44, exec_lo
	v_cmpx_gt_u32_e32 8, v46
	s_cbranch_execz .LBB238_190
; %bb.189:                              ;   in Loop: Header=BB238_12 Depth=1
	s_delay_alu instid0(VALU_DEP_2) | instskip(NEXT) | instid1(VALU_DEP_1)
	v_clz_i32_u32_e32 v13, v13
	v_min_u32_e32 v43, 32, v13
	v_mov_b32_e32 v13, v5
	s_delay_alu instid0(VALU_DEP_2) | instskip(SKIP_1) | instid1(VALU_DEP_2)
	v_subrev_nc_u32_e32 v46, 28, v43
	v_sub_nc_u32_e32 v43, 29, v43
	v_lshlrev_b64_e32 v[12:13], v46, v[12:13]
	s_delay_alu instid0(VALU_DEP_1)
	v_and_b32_e32 v13, 7, v12
.LBB238_190:                            ;   in Loop: Header=BB238_12 Depth=1
	s_or_b32 exec_lo, exec_lo, s44
	v_lshlrev_b32_e32 v12, 8, v45
	v_lshl_add_u32 v43, v43, 10, 0x2000
	s_delay_alu instid0(VALU_DEP_3) | instskip(NEXT) | instid1(VALU_DEP_2)
	v_lshlrev_b32_e32 v13, 23, v13
	v_and_or_b32 v12, 0x8000, v12, v43
	s_delay_alu instid0(VALU_DEP_1)
	v_lshl_or_b32 v43, v12, 16, v13
.LBB238_191:                            ;   in Loop: Header=BB238_12 Depth=1
	s_or_b32 exec_lo, exec_lo, s43
.LBB238_192:                            ;   in Loop: Header=BB238_12 Depth=1
	s_delay_alu instid0(SALU_CYCLE_1)
	s_or_b32 exec_lo, exec_lo, s42
.LBB238_193:                            ;   in Loop: Header=BB238_12 Depth=1
	s_delay_alu instid0(SALU_CYCLE_1)
	s_or_b32 exec_lo, exec_lo, s41
	global_load_u16 v12, v[10:11], off offset:648
	v_dual_mov_b32 v45, 0 :: v_dual_mov_b32 v46, 0
	s_mov_b32 s41, exec_lo
	s_wait_loadcnt 0x0
	v_and_b32_e32 v13, 0xff, v12
	v_and_b32_e32 v12, 0xffff, v12
	s_delay_alu instid0(VALU_DEP_2)
	v_cmpx_ne_u16_e32 0, v13
	s_cbranch_execz .LBB238_201
; %bb.194:                              ;   in Loop: Header=BB238_12 Depth=1
	s_delay_alu instid0(VALU_DEP_2) | instskip(SKIP_2) | instid1(VALU_DEP_2)
	v_and_b32_e32 v13, 0xff, v12
	v_mov_b32_e32 v46, 0x8000
	s_mov_b32 s42, exec_lo
	v_cmpx_ne_u16_e32 0x80, v13
	s_cbranch_execz .LBB238_200
; %bb.195:                              ;   in Loop: Header=BB238_12 Depth=1
	v_and_b32_e32 v47, 0x7f, v12
	v_mov_b32_e32 v46, 0x7c01
	s_mov_b32 s43, exec_lo
	s_delay_alu instid0(VALU_DEP_2)
	v_cmpx_ne_u32_e32 0x7f, v47
	s_cbranch_execz .LBB238_199
; %bb.196:                              ;   in Loop: Header=BB238_12 Depth=1
	v_dual_lshrrev_b32 v46, 3, v47 :: v_dual_bitop2_b32 v13, 7, v12 bitop3:0x40
	s_mov_b32 s44, exec_lo
	v_cmpx_gt_u32_e32 8, v47
; %bb.197:                              ;   in Loop: Header=BB238_12 Depth=1
	s_delay_alu instid0(VALU_DEP_2) | instskip(NEXT) | instid1(VALU_DEP_1)
	v_clz_i32_u32_e32 v13, v13
	v_min_u32_e32 v13, 32, v13
	s_delay_alu instid0(VALU_DEP_1) | instskip(NEXT) | instid1(VALU_DEP_1)
	v_subrev_nc_u32_e32 v46, 28, v13
	v_lshlrev_b64_e32 v[48:49], v46, v[12:13]
	s_delay_alu instid0(VALU_DEP_1)
	v_dual_sub_nc_u32 v46, 29, v13 :: v_dual_bitop2_b32 v13, 7, v48 bitop3:0x40
; %bb.198:                              ;   in Loop: Header=BB238_12 Depth=1
	s_or_b32 exec_lo, exec_lo, s44
	s_delay_alu instid0(VALU_DEP_1) | instskip(NEXT) | instid1(VALU_DEP_2)
	v_dual_lshlrev_b32 v47, 8, v12 :: v_dual_lshlrev_b32 v13, 7, v13
	v_lshl_add_u32 v46, v46, 10, 0x2000
	s_delay_alu instid0(VALU_DEP_2) | instskip(NEXT) | instid1(VALU_DEP_2)
	v_and_b32_e32 v47, 0x8000, v47
	v_and_b32_e32 v46, 0xfc00, v46
	s_delay_alu instid0(VALU_DEP_1)
	v_or3_b32 v46, v47, v46, v13
.LBB238_199:                            ;   in Loop: Header=BB238_12 Depth=1
	s_or_b32 exec_lo, exec_lo, s43
.LBB238_200:                            ;   in Loop: Header=BB238_12 Depth=1
	s_delay_alu instid0(SALU_CYCLE_1)
	s_or_b32 exec_lo, exec_lo, s42
.LBB238_201:                            ;   in Loop: Header=BB238_12 Depth=1
	s_delay_alu instid0(SALU_CYCLE_1) | instskip(NEXT) | instid1(VALU_DEP_2)
	s_or_b32 exec_lo, exec_lo, s41
	v_lshrrev_b16 v12, 8, v12
	s_mov_b32 s41, exec_lo
	s_delay_alu instid0(VALU_DEP_1)
	v_cmpx_ne_u16_e32 0, v12
	s_cbranch_execz .LBB238_209
; %bb.202:                              ;   in Loop: Header=BB238_12 Depth=1
	v_bfrev_b32_e32 v45, 1
	s_mov_b32 s42, exec_lo
	v_cmpx_ne_u16_e32 0x80, v12
	s_cbranch_execz .LBB238_208
; %bb.203:                              ;   in Loop: Header=BB238_12 Depth=1
	v_and_b32_e32 v47, 0xffff, v12
	v_mov_b32_e32 v45, 0x7c010000
	s_mov_b32 s43, exec_lo
	s_delay_alu instid0(VALU_DEP_2) | instskip(NEXT) | instid1(VALU_DEP_1)
	v_and_b32_e32 v48, 0x7f, v47
	v_cmpx_ne_u32_e32 0x7f, v48
	s_cbranch_execz .LBB238_207
; %bb.204:                              ;   in Loop: Header=BB238_12 Depth=1
	v_dual_lshrrev_b32 v45, 3, v48 :: v_dual_bitop2_b32 v13, 7, v47 bitop3:0x40
	s_mov_b32 s44, exec_lo
	v_cmpx_gt_u32_e32 8, v48
	s_cbranch_execz .LBB238_206
; %bb.205:                              ;   in Loop: Header=BB238_12 Depth=1
	s_delay_alu instid0(VALU_DEP_2) | instskip(NEXT) | instid1(VALU_DEP_1)
	v_clz_i32_u32_e32 v13, v13
	v_min_u32_e32 v45, 32, v13
	v_mov_b32_e32 v13, v5
	s_delay_alu instid0(VALU_DEP_2) | instskip(SKIP_1) | instid1(VALU_DEP_2)
	v_subrev_nc_u32_e32 v48, 28, v45
	v_sub_nc_u32_e32 v45, 29, v45
	v_lshlrev_b64_e32 v[12:13], v48, v[12:13]
	s_delay_alu instid0(VALU_DEP_1)
	v_and_b32_e32 v13, 7, v12
.LBB238_206:                            ;   in Loop: Header=BB238_12 Depth=1
	s_or_b32 exec_lo, exec_lo, s44
	s_delay_alu instid0(VALU_DEP_1) | instskip(SKIP_1) | instid1(VALU_DEP_1)
	v_dual_lshlrev_b32 v12, 8, v47 :: v_dual_lshlrev_b32 v13, 23, v13
	v_lshl_add_u32 v45, v45, 10, 0x2000
	v_and_or_b32 v12, 0x8000, v12, v45
	s_delay_alu instid0(VALU_DEP_1)
	v_lshl_or_b32 v45, v12, 16, v13
.LBB238_207:                            ;   in Loop: Header=BB238_12 Depth=1
	s_or_b32 exec_lo, exec_lo, s43
.LBB238_208:                            ;   in Loop: Header=BB238_12 Depth=1
	s_delay_alu instid0(SALU_CYCLE_1)
	s_or_b32 exec_lo, exec_lo, s42
.LBB238_209:                            ;   in Loop: Header=BB238_12 Depth=1
	s_delay_alu instid0(SALU_CYCLE_1)
	s_or_b32 exec_lo, exec_lo, s41
	global_load_u16 v12, v[10:11], off offset:768
	v_mov_b32_e32 v13, 0
	s_wait_loadcnt 0x0
	v_and_b32_e32 v47, 0xff, v12
	v_and_b32_e32 v12, 0xffff, v12
	s_delay_alu instid0(VALU_DEP_2)
	v_cmp_ne_u16_e64 s4, 0, v47
	v_mov_b32_e32 v47, 0
	s_and_saveexec_b32 s41, s4
	s_cbranch_execz .LBB238_217
; %bb.210:                              ;   in Loop: Header=BB238_12 Depth=1
	v_and_b32_e32 v47, 0xff, v12
	s_delay_alu instid0(VALU_DEP_1)
	v_cmp_ne_u16_e64 s4, 0x80, v47
	v_mov_b32_e32 v47, 0x8000
	s_and_saveexec_b32 s42, s4
	s_cbranch_execz .LBB238_216
; %bb.211:                              ;   in Loop: Header=BB238_12 Depth=1
	v_and_b32_e32 v49, 0x7f, v12
	v_mov_b32_e32 v47, 0x7c01
	s_mov_b32 s43, exec_lo
	s_delay_alu instid0(VALU_DEP_2)
	v_cmpx_ne_u32_e32 0x7f, v49
	s_cbranch_execz .LBB238_215
; %bb.212:                              ;   in Loop: Header=BB238_12 Depth=1
	v_dual_lshrrev_b32 v48, 3, v49 :: v_dual_bitop2_b32 v47, 7, v12 bitop3:0x40
	s_mov_b32 s44, exec_lo
	v_cmpx_gt_u32_e32 8, v49
; %bb.213:                              ;   in Loop: Header=BB238_12 Depth=1
	s_delay_alu instid0(VALU_DEP_2) | instskip(NEXT) | instid1(VALU_DEP_1)
	v_clz_i32_u32_e32 v47, v47
	v_min_u32_e32 v47, 32, v47
	s_delay_alu instid0(VALU_DEP_1) | instskip(NEXT) | instid1(VALU_DEP_1)
	v_subrev_nc_u32_e32 v48, 28, v47
	v_lshlrev_b64_e32 v[50:51], v48, v[12:13]
	s_delay_alu instid0(VALU_DEP_1)
	v_dual_sub_nc_u32 v48, 29, v47 :: v_dual_bitop2_b32 v47, 7, v50 bitop3:0x40
; %bb.214:                              ;   in Loop: Header=BB238_12 Depth=1
	s_or_b32 exec_lo, exec_lo, s44
	s_delay_alu instid0(VALU_DEP_1) | instskip(NEXT) | instid1(VALU_DEP_2)
	v_dual_lshlrev_b32 v49, 8, v12 :: v_dual_lshlrev_b32 v47, 7, v47
	v_lshl_add_u32 v48, v48, 10, 0x2000
	s_delay_alu instid0(VALU_DEP_2) | instskip(NEXT) | instid1(VALU_DEP_2)
	v_and_b32_e32 v49, 0x8000, v49
	v_and_b32_e32 v48, 0xfc00, v48
	s_delay_alu instid0(VALU_DEP_1)
	v_or3_b32 v47, v49, v48, v47
.LBB238_215:                            ;   in Loop: Header=BB238_12 Depth=1
	s_or_b32 exec_lo, exec_lo, s43
.LBB238_216:                            ;   in Loop: Header=BB238_12 Depth=1
	s_delay_alu instid0(SALU_CYCLE_1)
	s_or_b32 exec_lo, exec_lo, s42
.LBB238_217:                            ;   in Loop: Header=BB238_12 Depth=1
	s_delay_alu instid0(SALU_CYCLE_1) | instskip(SKIP_2) | instid1(VALU_DEP_1)
	s_or_b32 exec_lo, exec_lo, s41
	v_lshrrev_b16 v12, 8, v12
	s_mov_b32 s41, exec_lo
	v_cmpx_ne_u16_e32 0, v12
	s_cbranch_execz .LBB238_225
; %bb.218:                              ;   in Loop: Header=BB238_12 Depth=1
	v_bfrev_b32_e32 v13, 1
	s_mov_b32 s42, exec_lo
	v_cmpx_ne_u16_e32 0x80, v12
	s_cbranch_execz .LBB238_224
; %bb.219:                              ;   in Loop: Header=BB238_12 Depth=1
	v_and_b32_e32 v48, 0xffff, v12
	v_mov_b32_e32 v13, 0x7c010000
	s_mov_b32 s43, exec_lo
	s_delay_alu instid0(VALU_DEP_2) | instskip(NEXT) | instid1(VALU_DEP_1)
	v_and_b32_e32 v50, 0x7f, v48
	v_cmpx_ne_u32_e32 0x7f, v50
	s_cbranch_execz .LBB238_223
; %bb.220:                              ;   in Loop: Header=BB238_12 Depth=1
	v_dual_lshrrev_b32 v49, 3, v50 :: v_dual_bitop2_b32 v13, 7, v48 bitop3:0x40
	s_mov_b32 s44, exec_lo
	v_cmpx_gt_u32_e32 8, v50
	s_cbranch_execz .LBB238_222
; %bb.221:                              ;   in Loop: Header=BB238_12 Depth=1
	s_delay_alu instid0(VALU_DEP_2) | instskip(NEXT) | instid1(VALU_DEP_1)
	v_clz_i32_u32_e32 v13, v13
	v_min_u32_e32 v49, 32, v13
	v_mov_b32_e32 v13, v5
	s_delay_alu instid0(VALU_DEP_2) | instskip(SKIP_1) | instid1(VALU_DEP_2)
	v_subrev_nc_u32_e32 v50, 28, v49
	v_sub_nc_u32_e32 v49, 29, v49
	v_lshlrev_b64_e32 v[12:13], v50, v[12:13]
	s_delay_alu instid0(VALU_DEP_1)
	v_and_b32_e32 v13, 7, v12
.LBB238_222:                            ;   in Loop: Header=BB238_12 Depth=1
	s_or_b32 exec_lo, exec_lo, s44
	s_delay_alu instid0(VALU_DEP_1) | instskip(SKIP_1) | instid1(VALU_DEP_1)
	v_dual_lshlrev_b32 v12, 8, v48 :: v_dual_lshlrev_b32 v13, 23, v13
	v_lshl_add_u32 v48, v49, 10, 0x2000
	v_and_or_b32 v12, 0x8000, v12, v48
	s_delay_alu instid0(VALU_DEP_1)
	v_lshl_or_b32 v13, v12, 16, v13
.LBB238_223:                            ;   in Loop: Header=BB238_12 Depth=1
	s_or_b32 exec_lo, exec_lo, s43
.LBB238_224:                            ;   in Loop: Header=BB238_12 Depth=1
	s_delay_alu instid0(SALU_CYCLE_1)
	s_or_b32 exec_lo, exec_lo, s42
.LBB238_225:                            ;   in Loop: Header=BB238_12 Depth=1
	s_delay_alu instid0(SALU_CYCLE_1)
	s_or_b32 exec_lo, exec_lo, s41
	global_load_u16 v10, v[10:11], off offset:776
	s_wait_xcnt 0x0
	v_mov_b32_e32 v11, 0
	s_wait_loadcnt 0x0
	v_and_b32_e32 v12, 0xff, v10
	v_and_b32_e32 v10, 0xffff, v10
	s_delay_alu instid0(VALU_DEP_2)
	v_cmp_ne_u16_e64 s4, 0, v12
	v_mov_b32_e32 v12, 0
	s_and_saveexec_b32 s41, s4
	s_cbranch_execz .LBB238_233
; %bb.226:                              ;   in Loop: Header=BB238_12 Depth=1
	v_and_b32_e32 v12, 0xff, v10
	s_delay_alu instid0(VALU_DEP_1)
	v_cmp_ne_u16_e64 s4, 0x80, v12
	v_mov_b32_e32 v12, 0x8000
	s_and_saveexec_b32 s42, s4
	s_cbranch_execz .LBB238_232
; %bb.227:                              ;   in Loop: Header=BB238_12 Depth=1
	v_and_b32_e32 v49, 0x7f, v10
	v_mov_b32_e32 v12, 0x7c01
	s_mov_b32 s43, exec_lo
	s_delay_alu instid0(VALU_DEP_2)
	v_cmpx_ne_u32_e32 0x7f, v49
	s_cbranch_execz .LBB238_231
; %bb.228:                              ;   in Loop: Header=BB238_12 Depth=1
	v_dual_lshrrev_b32 v48, 3, v49 :: v_dual_bitop2_b32 v12, 7, v10 bitop3:0x40
	s_mov_b32 s44, exec_lo
	v_cmpx_gt_u32_e32 8, v49
; %bb.229:                              ;   in Loop: Header=BB238_12 Depth=1
	s_delay_alu instid0(VALU_DEP_2) | instskip(NEXT) | instid1(VALU_DEP_1)
	v_clz_i32_u32_e32 v12, v12
	v_min_u32_e32 v12, 32, v12
	s_delay_alu instid0(VALU_DEP_1) | instskip(NEXT) | instid1(VALU_DEP_1)
	v_subrev_nc_u32_e32 v48, 28, v12
	v_lshlrev_b64_e32 v[50:51], v48, v[10:11]
	s_delay_alu instid0(VALU_DEP_1)
	v_dual_sub_nc_u32 v48, 29, v12 :: v_dual_bitop2_b32 v12, 7, v50 bitop3:0x40
; %bb.230:                              ;   in Loop: Header=BB238_12 Depth=1
	s_or_b32 exec_lo, exec_lo, s44
	s_delay_alu instid0(VALU_DEP_1) | instskip(NEXT) | instid1(VALU_DEP_2)
	v_dual_lshlrev_b32 v49, 8, v10 :: v_dual_lshlrev_b32 v12, 7, v12
	v_lshl_add_u32 v48, v48, 10, 0x2000
	s_delay_alu instid0(VALU_DEP_2) | instskip(NEXT) | instid1(VALU_DEP_2)
	v_and_b32_e32 v49, 0x8000, v49
	v_and_b32_e32 v48, 0xfc00, v48
	s_delay_alu instid0(VALU_DEP_1)
	v_or3_b32 v12, v49, v48, v12
.LBB238_231:                            ;   in Loop: Header=BB238_12 Depth=1
	s_or_b32 exec_lo, exec_lo, s43
.LBB238_232:                            ;   in Loop: Header=BB238_12 Depth=1
	s_delay_alu instid0(SALU_CYCLE_1)
	s_or_b32 exec_lo, exec_lo, s42
.LBB238_233:                            ;   in Loop: Header=BB238_12 Depth=1
	s_delay_alu instid0(SALU_CYCLE_1) | instskip(SKIP_2) | instid1(VALU_DEP_1)
	s_or_b32 exec_lo, exec_lo, s41
	v_lshrrev_b16 v10, 8, v10
	s_mov_b32 s41, exec_lo
	v_cmpx_ne_u16_e32 0, v10
	s_cbranch_execz .LBB238_241
; %bb.234:                              ;   in Loop: Header=BB238_12 Depth=1
	v_bfrev_b32_e32 v11, 1
	s_mov_b32 s42, exec_lo
	v_cmpx_ne_u16_e32 0x80, v10
	s_cbranch_execz .LBB238_240
; %bb.235:                              ;   in Loop: Header=BB238_12 Depth=1
	v_and_b32_e32 v48, 0xffff, v10
	v_mov_b32_e32 v11, 0x7c010000
	s_mov_b32 s43, exec_lo
	s_delay_alu instid0(VALU_DEP_2) | instskip(NEXT) | instid1(VALU_DEP_1)
	v_and_b32_e32 v50, 0x7f, v48
	v_cmpx_ne_u32_e32 0x7f, v50
	s_cbranch_execz .LBB238_239
; %bb.236:                              ;   in Loop: Header=BB238_12 Depth=1
	v_dual_lshrrev_b32 v49, 3, v50 :: v_dual_bitop2_b32 v11, 7, v48 bitop3:0x40
	s_mov_b32 s44, exec_lo
	v_cmpx_gt_u32_e32 8, v50
	s_cbranch_execz .LBB238_238
; %bb.237:                              ;   in Loop: Header=BB238_12 Depth=1
	s_delay_alu instid0(VALU_DEP_2) | instskip(NEXT) | instid1(VALU_DEP_1)
	v_clz_i32_u32_e32 v11, v11
	v_min_u32_e32 v49, 32, v11
	v_mov_b32_e32 v11, v5
	s_delay_alu instid0(VALU_DEP_2) | instskip(SKIP_1) | instid1(VALU_DEP_2)
	v_subrev_nc_u32_e32 v50, 28, v49
	v_sub_nc_u32_e32 v49, 29, v49
	v_lshlrev_b64_e32 v[10:11], v50, v[10:11]
	s_delay_alu instid0(VALU_DEP_1)
	v_and_b32_e32 v11, 7, v10
.LBB238_238:                            ;   in Loop: Header=BB238_12 Depth=1
	s_or_b32 exec_lo, exec_lo, s44
	s_delay_alu instid0(VALU_DEP_1) | instskip(SKIP_1) | instid1(VALU_DEP_1)
	v_dual_lshlrev_b32 v10, 8, v48 :: v_dual_lshlrev_b32 v11, 23, v11
	v_lshl_add_u32 v48, v49, 10, 0x2000
	v_and_or_b32 v10, 0x8000, v10, v48
	s_delay_alu instid0(VALU_DEP_1)
	v_lshl_or_b32 v11, v10, 16, v11
.LBB238_239:                            ;   in Loop: Header=BB238_12 Depth=1
	s_or_b32 exec_lo, exec_lo, s43
.LBB238_240:                            ;   in Loop: Header=BB238_12 Depth=1
	s_delay_alu instid0(SALU_CYCLE_1)
	s_or_b32 exec_lo, exec_lo, s42
.LBB238_241:                            ;   in Loop: Header=BB238_12 Depth=1
	s_delay_alu instid0(SALU_CYCLE_1)
	s_or_b32 exec_lo, exec_lo, s41
	ds_load_b32 v10, v15
	v_or_b32_e32 v23, v22, v23
	v_fma_mixlo_f16 v22, v21, v22, 0 op_sel:[0,1,0] op_sel_hi:[0,1,0]
	v_or_b32_e32 v25, v24, v25
	v_fma_mixlo_f16 v24, v21, v24, 0 op_sel:[0,1,0] op_sel_hi:[0,1,0]
	s_delay_alu instid0(VALU_DEP_3) | instskip(NEXT) | instid1(VALU_DEP_3)
	v_and_b32_e32 v50, 0xffff, v22
	v_fma_mixlo_f16 v25, v21, v25, 0 op_sel_hi:[0,1,0]
	s_delay_alu instid0(VALU_DEP_3) | instskip(NEXT) | instid1(VALU_DEP_2)
	v_and_b32_e32 v24, 0xffff, v24
	v_and_b32_e32 v25, 0xffff, v25
	s_wait_dscnt 0x0
	v_lshrrev_b32_e32 v49, 16, v10
	v_fma_mixlo_f16 v23, v21, v23, 0 op_sel_hi:[0,1,0]
	v_and_b32_e32 v48, 0xffff, v10
	;;#ASMSTART
	v_cvt_f32_f16 v10, v48;
	;;#ASMEND
	;;#ASMSTART
	v_cvt_f32_f16 v22, v49;
	;;#ASMEND
	s_delay_alu instid0(VALU_DEP_2)
	v_and_b32_e32 v23, 0xffff, v23
	;;#ASMSTART
	v_cvt_f32_f16 v23, v23;
	;;#ASMEND
	;;#ASMSTART
	v_cvt_f32_f16 v48, v50;
	;;#ASMEND
	ds_load_b32 v49, v15 offset:4
	s_wait_dscnt 0x0
	v_and_b32_e32 v50, 0xffff, v49
	v_lshrrev_b32_e32 v49, 16, v49
	;;#ASMSTART
	v_cvt_f32_f16 v50, v50;
	;;#ASMEND
	;;#ASMSTART
	v_cvt_f32_f16 v49, v49;
	;;#ASMEND
	;; [unrolled: 3-line block ×4, first 2 shown]
	ds_load_b32 v24, v15 offset:8
	v_or_b32_e32 v25, v26, v28
	v_fma_mixlo_f16 v26, v21, v26, 0 op_sel:[0,1,0] op_sel_hi:[0,1,0]
	s_delay_alu instid0(VALU_DEP_2) | instskip(NEXT) | instid1(VALU_DEP_2)
	v_fma_mixlo_f16 v25, v21, v25, 0 op_sel_hi:[0,1,0]
	v_and_b32_e32 v26, 0xffff, v26
	s_delay_alu instid0(VALU_DEP_2)
	v_and_b32_e32 v25, 0xffff, v25
	s_wait_dscnt 0x0
	v_and_b32_e32 v28, 0xffff, v24
	v_lshrrev_b32_e32 v24, 16, v24
	;;#ASMSTART
	v_cvt_f32_f16 v53, v28;
	;;#ASMEND
	;;#ASMSTART
	v_cvt_f32_f16 v54, v24;
	;;#ASMEND
	;; [unrolled: 3-line block ×4, first 2 shown]
	ds_load_b32 v24, v15 offset:12
	v_or_b32_e32 v25, v29, v30
	v_fma_mixlo_f16 v26, v21, v29, 0 op_sel:[0,1,0] op_sel_hi:[0,1,0]
	v_mul_f32_e32 v29, v49, v52
	s_delay_alu instid0(VALU_DEP_2)
	v_and_b32_e32 v26, 0xffff, v26
	s_wait_dscnt 0x0
	v_and_b32_e32 v28, 0xffff, v24
	v_lshrrev_b32_e32 v24, 16, v24
	v_fma_mixlo_f16 v25, v21, v25, 0 op_sel_hi:[0,1,0]
	;;#ASMSTART
	v_cvt_f32_f16 v30, v28;
	;;#ASMEND
	;;#ASMSTART
	v_cvt_f32_f16 v57, v24;
	;;#ASMEND
	s_delay_alu instid0(VALU_DEP_1)
	v_and_b32_e32 v25, 0xffff, v25
	;;#ASMSTART
	v_cvt_f32_f16 v58, v25;
	;;#ASMEND
	;;#ASMSTART
	v_cvt_f32_f16 v59, v26;
	;;#ASMEND
	ds_load_b32 v24, v15 offset:16
	v_or_b32_e32 v25, v31, v32
	v_fma_mixlo_f16 v26, v21, v31, 0 op_sel:[0,1,0] op_sel_hi:[0,1,0]
	s_delay_alu instid0(VALU_DEP_2) | instskip(NEXT) | instid1(VALU_DEP_2)
	v_fma_mixlo_f16 v25, v21, v25, 0 op_sel_hi:[0,1,0]
	v_and_b32_e32 v26, 0xffff, v26
	s_delay_alu instid0(VALU_DEP_2)
	v_and_b32_e32 v25, 0xffff, v25
	s_wait_dscnt 0x0
	v_and_b32_e32 v28, 0xffff, v24
	v_lshrrev_b32_e32 v24, 16, v24
	;;#ASMSTART
	v_cvt_f32_f16 v31, v28;
	;;#ASMEND
	;;#ASMSTART
	v_cvt_f32_f16 v32, v24;
	;;#ASMEND
	;; [unrolled: 3-line block ×4, first 2 shown]
	ds_load_b32 v24, v15 offset:20
	v_or_b32_e32 v25, v33, v34
	v_fma_mixlo_f16 v26, v21, v33, 0 op_sel:[0,1,0] op_sel_hi:[0,1,0]
	s_delay_alu instid0(VALU_DEP_2) | instskip(NEXT) | instid1(VALU_DEP_2)
	v_fma_mixlo_f16 v25, v21, v25, 0 op_sel_hi:[0,1,0]
	v_and_b32_e32 v26, 0xffff, v26
	s_delay_alu instid0(VALU_DEP_2)
	v_and_b32_e32 v25, 0xffff, v25
	s_wait_dscnt 0x0
	v_and_b32_e32 v28, 0xffff, v24
	v_lshrrev_b32_e32 v24, 16, v24
	;;#ASMSTART
	v_cvt_f32_f16 v33, v28;
	;;#ASMEND
	;;#ASMSTART
	v_cvt_f32_f16 v34, v24;
	;;#ASMEND
	;; [unrolled: 3-line block ×4, first 2 shown]
	ds_load_b32 v24, v15 offset:24
	v_or_b32_e32 v25, v35, v36
	v_fma_mixlo_f16 v26, v21, v35, 0 op_sel:[0,1,0] op_sel_hi:[0,1,0]
	v_fmac_f32_e32 v29, v22, v48
	s_delay_alu instid0(VALU_DEP_3) | instskip(NEXT) | instid1(VALU_DEP_3)
	v_fma_mixlo_f16 v25, v21, v25, 0 op_sel_hi:[0,1,0]
	v_and_b32_e32 v26, 0xffff, v26
	s_delay_alu instid0(VALU_DEP_2)
	v_and_b32_e32 v25, 0xffff, v25
	s_wait_dscnt 0x0
	v_and_b32_e32 v28, 0xffff, v24
	v_lshrrev_b32_e32 v24, 16, v24
	;;#ASMSTART
	v_cvt_f32_f16 v35, v28;
	;;#ASMEND
	;;#ASMSTART
	v_cvt_f32_f16 v36, v24;
	;;#ASMEND
	;; [unrolled: 3-line block ×4, first 2 shown]
	ds_load_b32 v24, v15 offset:28
	v_or_b32_e32 v25, v37, v38
	v_fma_mixlo_f16 v26, v21, v37, 0 op_sel:[0,1,0] op_sel_hi:[0,1,0]
	s_delay_alu instid0(VALU_DEP_2) | instskip(NEXT) | instid1(VALU_DEP_2)
	v_fma_mixlo_f16 v25, v21, v25, 0 op_sel_hi:[0,1,0]
	v_and_b32_e32 v26, 0xffff, v26
	s_delay_alu instid0(VALU_DEP_2)
	v_and_b32_e32 v25, 0xffff, v25
	s_wait_dscnt 0x0
	v_and_b32_e32 v28, 0xffff, v24
	v_lshrrev_b32_e32 v24, 16, v24
	;;#ASMSTART
	v_cvt_f32_f16 v37, v28;
	;;#ASMEND
	;;#ASMSTART
	v_cvt_f32_f16 v38, v24;
	;;#ASMEND
	;; [unrolled: 3-line block ×4, first 2 shown]
	ds_load_b32 v24, v15 offset:32
	v_or_b32_e32 v25, v39, v40
	v_fma_mixlo_f16 v26, v21, v39, 0 op_sel:[0,1,0] op_sel_hi:[0,1,0]
	v_fmac_f32_e32 v29, v54, v56
	s_delay_alu instid0(VALU_DEP_3) | instskip(NEXT) | instid1(VALU_DEP_3)
	v_fma_mixlo_f16 v25, v21, v25, 0 op_sel_hi:[0,1,0]
	v_and_b32_e32 v26, 0xffff, v26
	s_delay_alu instid0(VALU_DEP_3) | instskip(NEXT) | instid1(VALU_DEP_3)
	v_fmac_f32_e32 v29, v57, v59
	v_and_b32_e32 v25, 0xffff, v25
	s_delay_alu instid0(VALU_DEP_2) | instskip(NEXT) | instid1(VALU_DEP_1)
	v_fmac_f32_e32 v29, v32, v61
	v_fmac_f32_e32 v29, v34, v63
	s_wait_dscnt 0x0
	v_and_b32_e32 v28, 0xffff, v24
	v_lshrrev_b32_e32 v24, 16, v24
	;;#ASMSTART
	v_cvt_f32_f16 v39, v28;
	;;#ASMEND
	;;#ASMSTART
	v_cvt_f32_f16 v40, v24;
	;;#ASMEND
	;;#ASMSTART
	v_cvt_f32_f16 v68, v25;
	;;#ASMEND
	;;#ASMSTART
	v_cvt_f32_f16 v69, v26;
	;;#ASMEND
	ds_load_b32 v24, v15 offset:36
	v_or_b32_e32 v25, v41, v42
	v_fma_mixlo_f16 v26, v21, v41, 0 op_sel:[0,1,0] op_sel_hi:[0,1,0]
	v_fmac_f32_e32 v29, v36, v65
	s_delay_alu instid0(VALU_DEP_3) | instskip(NEXT) | instid1(VALU_DEP_3)
	v_fma_mixlo_f16 v25, v21, v25, 0 op_sel_hi:[0,1,0]
	v_and_b32_e32 v26, 0xffff, v26
	s_delay_alu instid0(VALU_DEP_3) | instskip(NEXT) | instid1(VALU_DEP_3)
	v_fmac_f32_e32 v29, v38, v67
	v_and_b32_e32 v25, 0xffff, v25
	s_delay_alu instid0(VALU_DEP_2)
	v_fmac_f32_e32 v29, v40, v69
	s_wait_dscnt 0x0
	v_and_b32_e32 v28, 0xffff, v24
	v_lshrrev_b32_e32 v24, 16, v24
	;;#ASMSTART
	v_cvt_f32_f16 v41, v28;
	;;#ASMEND
	;;#ASMSTART
	v_cvt_f32_f16 v42, v24;
	;;#ASMEND
	;; [unrolled: 3-line block ×4, first 2 shown]
	ds_load_b32 v24, v15 offset:40
	v_or_b32_e32 v25, v43, v44
	v_fma_mixlo_f16 v26, v21, v43, 0 op_sel:[0,1,0] op_sel_hi:[0,1,0]
	s_delay_alu instid0(VALU_DEP_2) | instskip(NEXT) | instid1(VALU_DEP_2)
	v_fma_mixlo_f16 v25, v21, v25, 0 op_sel_hi:[0,1,0]
	v_and_b32_e32 v26, 0xffff, v26
	s_delay_alu instid0(VALU_DEP_2)
	v_and_b32_e32 v25, 0xffff, v25
	s_wait_dscnt 0x0
	v_and_b32_e32 v28, 0xffff, v24
	v_lshrrev_b32_e32 v24, 16, v24
	;;#ASMSTART
	v_cvt_f32_f16 v43, v28;
	;;#ASMEND
	;;#ASMSTART
	v_cvt_f32_f16 v44, v24;
	;;#ASMEND
	;; [unrolled: 3-line block ×4, first 2 shown]
	ds_load_b32 v24, v15 offset:44
	v_dual_mul_f32 v28, v50, v51 :: v_dual_bitop2_b32 v25, v45, v46 bitop3:0x54
	v_fma_mixlo_f16 v26, v21, v45, 0 op_sel:[0,1,0] op_sel_hi:[0,1,0]
	s_delay_alu instid0(VALU_DEP_2) | instskip(NEXT) | instid1(VALU_DEP_3)
	v_fmac_f32_e32 v28, v10, v23
	v_fma_mixlo_f16 v25, v21, v25, 0 op_sel_hi:[0,1,0]
	s_delay_alu instid0(VALU_DEP_3) | instskip(NEXT) | instid1(VALU_DEP_3)
	v_and_b32_e32 v26, 0xffff, v26
	v_fmac_f32_e32 v28, v53, v55
	s_delay_alu instid0(VALU_DEP_3) | instskip(SKIP_1) | instid1(VALU_DEP_2)
	v_and_b32_e32 v23, 0xffff, v25
	s_wait_dscnt 0x0
	v_dual_fmac_f32 v28, v30, v58 :: v_dual_lshrrev_b32 v22, 16, v24
	s_delay_alu instid0(VALU_DEP_1)
	v_fmac_f32_e32 v28, v31, v60
	v_and_b32_e32 v10, 0xffff, v24
	;;#ASMSTART
	v_cvt_f32_f16 v24, v10;
	;;#ASMEND
	;;#ASMSTART
	v_cvt_f32_f16 v25, v22;
	;;#ASMEND
	;; [unrolled: 3-line block ×4, first 2 shown]
	ds_load_b32 v10, v15 offset:48
	v_fmac_f32_e32 v28, v33, v62
	v_or_b32_e32 v22, v13, v47
	v_fma_mixlo_f16 v13, v21, v13, 0 op_sel:[0,1,0] op_sel_hi:[0,1,0]
	s_delay_alu instid0(VALU_DEP_3) | instskip(NEXT) | instid1(VALU_DEP_3)
	v_fmac_f32_e32 v28, v35, v64
	v_fma_mixlo_f16 v22, v21, v22, 0 op_sel_hi:[0,1,0]
	s_delay_alu instid0(VALU_DEP_3) | instskip(NEXT) | instid1(VALU_DEP_3)
	v_and_b32_e32 v13, 0xffff, v13
	v_fmac_f32_e32 v28, v37, v66
	s_delay_alu instid0(VALU_DEP_3) | instskip(NEXT) | instid1(VALU_DEP_2)
	v_and_b32_e32 v22, 0xffff, v22
	v_fmac_f32_e32 v28, v39, v68
	v_or_b32_e32 v12, v11, v12
	v_fma_mixlo_f16 v11, v21, v11, 0 op_sel:[0,1,0] op_sel_hi:[0,1,0]
	s_wait_dscnt 0x0
	v_and_b32_e32 v30, 0xffff, v10
	v_lshrrev_b32_e32 v10, 16, v10
	;;#ASMSTART
	v_cvt_f32_f16 v30, v30;
	;;#ASMEND
	;;#ASMSTART
	v_cvt_f32_f16 v31, v10;
	;;#ASMEND
	;; [unrolled: 3-line block ×4, first 2 shown]
	ds_load_b32 v10, v15 offset:52
	v_dual_fmac_f32 v28, v41, v70 :: v_dual_fmac_f32 v29, v42, v71
	v_fma_mixlo_f16 v12, v21, v12, 0 op_sel_hi:[0,1,0]
	v_and_b32_e32 v21, 0xffff, v11
	s_delay_alu instid0(VALU_DEP_3) | instskip(NEXT) | instid1(VALU_DEP_4)
	v_dual_fmac_f32 v28, v43, v72 :: v_dual_bitop2_b32 v13, 2, v3 bitop3:0x14
	v_fmac_f32_e32 v29, v44, v73
	s_delay_alu instid0(VALU_DEP_4) | instskip(NEXT) | instid1(VALU_DEP_3)
	v_and_b32_e32 v12, 0xffff, v12
	v_fmac_f32_e32 v28, v24, v23
	s_delay_alu instid0(VALU_DEP_4) | instskip(NEXT) | instid1(VALU_DEP_1)
	v_cmp_gt_i32_e64 s4, 32, v13
	v_dual_fmac_f32 v28, v30, v22 :: v_dual_cndmask_b32 v11, v3, v13, s4
	v_fmac_f32_e32 v29, v25, v26
	s_wait_dscnt 0x0
	v_and_b32_e32 v13, 0xffff, v10
	v_lshrrev_b32_e32 v10, 16, v10
	;;#ASMSTART
	v_cvt_f32_f16 v13, v13;
	;;#ASMEND
	v_fmac_f32_e32 v29, v31, v32
	;;#ASMSTART
	v_cvt_f32_f16 v10, v10;
	;;#ASMEND
	;;#ASMSTART
	v_cvt_f32_f16 v12, v12;
	;;#ASMEND
	;; [unrolled: 3-line block ×3, first 2 shown]
	s_delay_alu instid0(VALU_DEP_1) | instskip(SKIP_2) | instid1(VALU_DEP_2)
	v_dual_fmac_f32 v28, v13, v12 :: v_dual_fmac_f32 v29, v10, v21
	v_xor_b32_e32 v12, 1, v3
	v_lshlrev_b32_e32 v10, 2, v11
	v_cmp_gt_i32_e64 s4, 32, v12
	s_delay_alu instid0(VALU_DEP_1)
	v_dual_add_f32 v11, v28, v29 :: v_dual_cndmask_b32 v12, v3, v12, s4
	ds_bpermute_b32 v10, v10, v11
	s_wait_dscnt 0x0
	v_dual_add_f32 v10, v11, v10 :: v_dual_lshlrev_b32 v11, 2, v12
	ds_bpermute_b32 v11, v11, v10
	s_and_saveexec_b32 s41, s3
	s_cbranch_execz .LBB238_10
; %bb.242:                              ;   in Loop: Header=BB238_12 Depth=1
	s_wait_dscnt 0x0
	v_dual_add_nc_u32 v12, v17, v4 :: v_dual_add_f32 v10, v10, v11
	s_delay_alu instid0(VALU_DEP_1) | instskip(NEXT) | instid1(VALU_DEP_1)
	v_cvt_f32_i32_e32 v12, v12
	v_mul_f32_e32 v12, s36, v12
	s_delay_alu instid0(VALU_DEP_1) | instskip(NEXT) | instid1(VALU_DEP_1)
	v_cndmask_b32_e32 v11, 0, v12, vcc_lo
	v_dual_fmac_f32 v11, s27, v10 :: v_dual_add_nc_u32 v10, v14, v4
	s_delay_alu instid0(VALU_DEP_1) | instskip(NEXT) | instid1(VALU_DEP_1)
	v_cmp_gt_i32_e64 s4, s34, v10
	v_dual_max_num_f32 v12, v16, v16 :: v_dual_cndmask_b32 v10, 0, v11, s4
	s_delay_alu instid0(VALU_DEP_1)
	v_max_num_f32_e32 v12, v12, v11
	ds_store_b32 v18, v10
	v_cndmask_b32_e64 v16, v16, v12, s4
	s_branch .LBB238_10
.LBB238_243:
	s_or_b32 exec_lo, exec_lo, s40
.LBB238_244:
	s_delay_alu instid0(SALU_CYCLE_1)
	s_or_b32 exec_lo, exec_lo, s37
	v_dual_max_num_f32 v7, v16, v16 :: v_dual_bitop2_b32 v4, 16, v3 bitop3:0x14
	s_clause 0x1
	s_load_b64 s[4:5], s[0:1], 0x0
	s_load_b64 s[8:9], s[0:1], 0x18
	v_and_b32_e32 v28, 31, v0
	v_xor_b32_e32 v6, 8, v3
	v_cmp_gt_i32_e32 vcc_lo, 32, v4
	v_cndmask_b32_e32 v4, v3, v4, vcc_lo
	s_delay_alu instid0(VALU_DEP_3) | instskip(NEXT) | instid1(VALU_DEP_2)
	v_cmp_gt_i32_e32 vcc_lo, 32, v6
	v_dual_lshlrev_b32 v4, 2, v4 :: v_dual_cndmask_b32 v6, v3, v6, vcc_lo
	ds_bpermute_b32 v5, v4, v16
	s_wait_dscnt 0x0
	v_dual_max_num_f32 v8, v5, v5 :: v_dual_lshlrev_b32 v5, 2, v6
	s_delay_alu instid0(VALU_DEP_1) | instskip(SKIP_4) | instid1(VALU_DEP_1)
	v_dual_max_num_f32 v6, v7, v8 :: v_dual_bitop2_b32 v8, 4, v3 bitop3:0x14
	ds_bpermute_b32 v7, v5, v6
	v_cmp_gt_i32_e32 vcc_lo, 32, v8
	v_cndmask_b32_e32 v8, v3, v8, vcc_lo
	s_wait_dscnt 0x0
	v_dual_max_num_f32 v7, v7, v7 :: v_dual_lshlrev_b32 v8, 2, v8
	s_delay_alu instid0(VALU_DEP_1)
	v_max_num_f32_e32 v7, v6, v7
	v_lshlrev_b32_e32 v6, 2, v27
	v_cmp_eq_u32_e32 vcc_lo, 0, v28
	ds_bpermute_b32 v9, v8, v7
	s_wait_xcnt 0x0
	s_and_saveexec_b32 s0, vcc_lo
	s_cbranch_execz .LBB238_246
; %bb.245:
	s_wait_dscnt 0x0
	v_dual_max_num_f32 v9, v9, v9 :: v_dual_max_num_f32 v7, v7, v7
	s_delay_alu instid0(VALU_DEP_1)
	v_max_num_f32_e32 v7, v7, v9
	ds_store_b32 v6, v7 offset:224
.LBB238_246:
	s_or_b32 exec_lo, exec_lo, s0
	v_cmp_gt_u32_e64 s0, 4, v28
	v_dual_mov_b32 v10, 0xff7fffff :: v_dual_lshlrev_b32 v7, 2, v28
	s_wait_dscnt 0x0
	s_barrier_signal -1
	s_barrier_wait -1
	s_and_saveexec_b32 s1, s0
; %bb.247:
	ds_load_b32 v10, v7 offset:224
; %bb.248:
	s_or_b32 exec_lo, exec_lo, s1
	v_xor_b32_e32 v9, 2, v3
	v_lshl_add_u32 v29, v0, 2, 0x100
	v_xor_b32_e32 v12, 1, v3
	s_delay_alu instid0(VALU_DEP_3) | instskip(NEXT) | instid1(VALU_DEP_1)
	v_cmp_gt_i32_e64 s1, 32, v9
	v_cndmask_b32_e64 v9, v3, v9, s1
	s_delay_alu instid0(VALU_DEP_3) | instskip(NEXT) | instid1(VALU_DEP_1)
	v_cmp_gt_i32_e64 s1, 32, v12
	v_dual_lshlrev_b32 v9, 2, v9 :: v_dual_cndmask_b32 v3, v3, v12, s1
	s_lshl_b32 s1, s26, 3
	s_delay_alu instid0(SALU_CYCLE_1)
	s_min_i32 s19, s1, s34
	s_wait_dscnt 0x0
	ds_bpermute_b32 v11, v9, v10
	v_max_num_f32_e32 v10, v10, v10
	v_cmp_gt_i32_e64 s1, s19, v0
	v_lshlrev_b32_e32 v3, 2, v3
	s_wait_dscnt 0x0
	v_max_num_f32_e32 v11, v11, v11
	s_delay_alu instid0(VALU_DEP_1) | instskip(SKIP_3) | instid1(VALU_DEP_1)
	v_max_num_f32_e32 v10, v10, v11
	ds_bpermute_b32 v11, v3, v10
	s_wait_dscnt 0x0
	v_max_num_f32_e32 v11, v11, v11
	v_dual_max_num_f32 v11, v10, v11 :: v_dual_mov_b32 v10, 0
	ds_bpermute_b32 v11, v10, v11
	s_and_saveexec_b32 s27, s1
	s_cbranch_execz .LBB238_252
; %bb.249:
	v_lshl_add_u32 v12, v0, 2, 0x100
	v_dual_mov_b32 v10, 0 :: v_dual_mov_b32 v13, v0
	s_mov_b32 s28, 0
.LBB238_250:                            ; =>This Inner Loop Header: Depth=1
	ds_load_b32 v14, v12
	v_add_nc_u32_e32 v13, 0x80, v13
	s_delay_alu instid0(VALU_DEP_1) | instskip(SKIP_3) | instid1(VALU_DEP_1)
	v_cmp_le_i32_e64 s3, s19, v13
	s_or_b32 s28, s3, s28
	s_wait_dscnt 0x0
	v_sub_f32_e32 v14, v14, v11
	v_mul_f32_e32 v14, 0x3fb8aa3b, v14
	s_delay_alu instid0(VALU_DEP_1)
	v_exp_f32_e32 v14, v14
	ds_store_b32 v12, v14
	v_nop
	v_add_f32_e32 v10, v10, v14
	v_add_nc_u32_e32 v12, 0x200, v12
	s_and_not1_b32 exec_lo, exec_lo, s28
	s_cbranch_execnz .LBB238_250
; %bb.251:
	s_or_b32 exec_lo, exec_lo, s28
.LBB238_252:
	s_delay_alu instid0(SALU_CYCLE_1)
	s_or_b32 exec_lo, exec_lo, s27
	ds_bpermute_b32 v4, v4, v10
	s_wait_dscnt 0x0
	v_add_f32_e32 v4, v10, v4
	ds_bpermute_b32 v5, v5, v4
	s_wait_dscnt 0x0
	v_add_f32_e32 v4, v4, v5
	ds_bpermute_b32 v5, v8, v4
	s_wait_dscnt 0x0
	v_add_f32_e32 v4, v4, v5
	ds_bpermute_b32 v5, v9, v4
	s_wait_dscnt 0x0
	v_add_f32_e32 v4, v4, v5
	ds_bpermute_b32 v5, v3, v4
	s_wait_dscnt 0x0
	v_add_f32_e32 v4, v4, v5
	s_and_saveexec_b32 s3, vcc_lo
; %bb.253:
	ds_store_b32 v6, v4 offset:240
; %bb.254:
	s_or_b32 exec_lo, exec_lo, s3
	s_wait_dscnt 0x0
	s_barrier_signal -1
	s_barrier_wait -1
	s_and_saveexec_b32 s3, s0
; %bb.255:
	ds_load_b32 v4, v7 offset:240
; %bb.256:
	s_or_b32 exec_lo, exec_lo, s3
	s_wait_dscnt 0x0
	ds_bpermute_b32 v5, v9, v4
	s_wait_dscnt 0x0
	v_dual_mov_b32 v34, 0 :: v_dual_add_f32 v4, v4, v5
	ds_bpermute_b32 v3, v3, v4
	s_wait_dscnt 0x0
	v_add_f32_e32 v3, v4, v3
	ds_bpermute_b32 v3, v34, v3
	s_and_saveexec_b32 s0, s1
	s_cbranch_execz .LBB238_269
; %bb.257:
	s_wait_dscnt 0x0
	v_add_f32_e32 v3, 0x358637bd, v3
	s_mov_b32 s3, -1
	s_mov_b32 s1, exec_lo
	s_delay_alu instid0(VALU_DEP_1) | instskip(NEXT) | instid1(VALU_DEP_1)
	v_div_scale_f32 v4, null, v3, v3, 1.0
	v_rcp_f32_e32 v6, v4
	v_nop
	s_delay_alu instid0(TRANS32_DEP_1) | instskip(NEXT) | instid1(VALU_DEP_1)
	v_fma_f32 v5, -v4, v6, 1.0
	v_fmac_f32_e32 v6, v5, v6
	v_div_scale_f32 v7, vcc_lo, 1.0, v3, 1.0
	s_delay_alu instid0(VALU_DEP_1) | instskip(NEXT) | instid1(VALU_DEP_1)
	v_mul_f32_e32 v8, v7, v6
	v_fma_f32 v5, -v4, v8, v7
	s_delay_alu instid0(VALU_DEP_1) | instskip(SKIP_1) | instid1(VALU_DEP_2)
	v_fmac_f32_e32 v8, v5, v6
	v_xad_u32 v5, v0, -1, s19
	v_fma_f32 v4, -v4, v8, v7
	s_delay_alu instid0(VALU_DEP_1) | instskip(NEXT) | instid1(VALU_DEP_1)
	v_div_fmas_f32 v4, v4, v6, v8
	v_div_fixup_f32 v4, v4, v3, 1.0
	v_mov_b32_e32 v3, v0
	v_cmpx_lt_u32_e32 0x7f, v5
	s_cbranch_execz .LBB238_266
; %bb.258:
	s_delay_alu instid0(VALU_DEP_3) | instskip(NEXT) | instid1(VALU_DEP_1)
	v_dual_lshrrev_b32 v3, 7, v5 :: v_dual_mov_b32 v5, v4
	v_dual_mov_b32 v9, 0 :: v_dual_add_nc_u32 v6, -1, v3
	s_delay_alu instid0(VALU_DEP_1) | instskip(SKIP_1) | instid1(VALU_DEP_2)
	v_lshrrev_b32_e32 v7, 1, v6
	v_cmp_lt_u32_e32 vcc_lo, 13, v6
	v_add_nc_u32_e32 v6, 1, v7
	s_and_saveexec_b32 s3, vcc_lo
	s_cbranch_execz .LBB238_262
; %bb.259:
	s_delay_alu instid0(VALU_DEP_1)
	v_dual_mov_b32 v8, v29 :: v_dual_bitop2_b32 v7, -8, v6 bitop3:0x40
	s_mov_b32 s27, 0
	s_mov_b32 s28, 0
.LBB238_260:                            ; =>This Inner Loop Header: Depth=1
	ds_load_2addr_stride64_b32 v[10:11], v8 offset1:2
	ds_load_2addr_stride64_b32 v[12:13], v8 offset0:4 offset1:6
	ds_load_2addr_stride64_b32 v[14:15], v8 offset0:8 offset1:10
	;; [unrolled: 1-line block ×7, first 2 shown]
	s_add_co_i32 s28, s28, 16
	s_delay_alu instid0(SALU_CYCLE_1) | instskip(NEXT) | instid1(VALU_DEP_1)
	v_dual_add_nc_u32 v7, -8, v7 :: v_dual_mov_b32 v9, s28
	v_cmp_eq_u32_e32 vcc_lo, 0, v7
	s_or_b32 s27, vcc_lo, s27
	s_wait_dscnt 0x7
	v_pk_mul_f32 v[10:11], v[4:5], v[10:11]
	s_wait_dscnt 0x6
	v_pk_mul_f32 v[12:13], v[4:5], v[12:13]
	;; [unrolled: 2-line block ×8, first 2 shown]
	ds_store_2addr_stride64_b32 v8, v10, v11 offset1:2
	ds_store_2addr_stride64_b32 v8, v12, v13 offset0:4 offset1:6
	ds_store_2addr_stride64_b32 v8, v14, v15 offset0:8 offset1:10
	;; [unrolled: 1-line block ×7, first 2 shown]
	v_add_nc_u32_e32 v8, 0x2000, v8
	s_and_not1_b32 exec_lo, exec_lo, s27
	s_cbranch_execnz .LBB238_260
; %bb.261:
	s_or_b32 exec_lo, exec_lo, s27
.LBB238_262:
	s_delay_alu instid0(SALU_CYCLE_1) | instskip(NEXT) | instid1(VALU_DEP_1)
	s_or_b32 exec_lo, exec_lo, s3
	v_and_b32_e32 v6, 7, v6
	s_mov_b32 s27, 0
	s_mov_b32 s3, exec_lo
	s_delay_alu instid0(VALU_DEP_1)
	v_cmpx_ne_u32_e32 0, v6
	s_cbranch_execz .LBB238_265
; %bb.263:
	v_dual_lshlrev_b32 v7, 9, v9 :: v_dual_lshlrev_b32 v8, 2, v0
	s_delay_alu instid0(VALU_DEP_1)
	v_add3_u32 v7, v7, v8, 0x100
.LBB238_264:                            ; =>This Inner Loop Header: Depth=1
	ds_load_2addr_stride64_b32 v[8:9], v7 offset1:2
	v_add_nc_u32_e32 v6, -1, v6
	s_delay_alu instid0(VALU_DEP_1)
	v_cmp_eq_u32_e32 vcc_lo, 0, v6
	s_or_b32 s27, vcc_lo, s27
	s_wait_dscnt 0x0
	v_pk_mul_f32 v[8:9], v[4:5], v[8:9]
	ds_store_2addr_stride64_b32 v7, v8, v9 offset1:2
	v_add_nc_u32_e32 v7, 0x400, v7
	s_and_not1_b32 exec_lo, exec_lo, s27
	s_cbranch_execnz .LBB238_264
.LBB238_265:
	s_or_b32 exec_lo, exec_lo, s3
	v_add_nc_u32_e32 v3, 1, v3
	s_delay_alu instid0(VALU_DEP_1) | instskip(NEXT) | instid1(VALU_DEP_1)
	v_and_b32_e32 v5, 0x3fffffe, v3
	v_cmp_ne_u32_e32 vcc_lo, v3, v5
	v_lshl_add_u32 v3, v5, 7, v0
	s_or_not1_b32 s3, vcc_lo, exec_lo
.LBB238_266:
	s_or_b32 exec_lo, exec_lo, s1
	s_delay_alu instid0(SALU_CYCLE_1)
	s_and_b32 exec_lo, exec_lo, s3
	s_cbranch_execz .LBB238_269
; %bb.267:
	v_lshl_add_u32 v5, v3, 2, 0x100
	s_mov_b32 s1, 0
.LBB238_268:                            ; =>This Inner Loop Header: Depth=1
	ds_load_b32 v6, v5
	s_wait_dscnt 0x0
	v_dual_mul_f32 v6, v4, v6 :: v_dual_add_nc_u32 v3, 0x80, v3
	s_delay_alu instid0(VALU_DEP_1) | instskip(SKIP_3) | instid1(SALU_CYCLE_1)
	v_cmp_le_i32_e32 vcc_lo, s19, v3
	ds_store_b32 v5, v6
	v_add_nc_u32_e32 v5, 0x200, v5
	s_or_b32 s1, vcc_lo, s1
	s_and_not1_b32 exec_lo, exec_lo, s1
	s_cbranch_execnz .LBB238_268
.LBB238_269:
	s_or_b32 exec_lo, exec_lo, s0
	v_mov_b64_e32 v[4:5], 0
	v_mov_b32_e32 v35, 0
	s_wait_dscnt 0x0
	s_barrier_signal -1
	s_barrier_wait -1
	s_and_saveexec_b32 s27, s2
	s_cbranch_execz .LBB238_541
; %bb.270:
	s_abs_i32 s14, s14
	v_dual_mov_b32 v9, 0 :: v_dual_lshlrev_b32 v6, 3, v28
	s_cvt_f32_u32 s0, s14
	v_and_b32_e32 v8, 0x7c, v1
	v_or_b32_e32 v10, 0x60, v28
	s_sub_co_i32 s28, s12, s13
	v_rcp_iflag_f32_e32 v3, s0
	s_lshl_b64 s[0:1], s[24:25], 2
	s_sub_co_i32 s12, 0, s14
	s_add_nc_u64 s[0:1], s[22:23], s[0:1]
	v_mov_b64_e32 v[4:5], 0
	v_add_nc_u64_e32 v[12:13], s[0:1], v[8:9]
	v_lshl_add_u32 v30, v27, 5, 0x100
	v_readfirstlane_b32 s2, v3
	v_mov_b32_e32 v7, v9
	v_cmp_gt_u32_e32 vcc_lo, 0x70, v10
	v_dual_mov_b32 v11, v9 :: v_dual_lshlrev_b32 v10, 3, v10
	v_mov_b32_e32 v35, 0
	s_mul_f32 s2, s2, 0x4f7ffffe
	v_dual_mov_b32 v34, 0 :: v_dual_mov_b32 v31, v27
	s_ashr_i32 s19, s18, 31
	s_delay_alu instid0(SALU_CYCLE_1)
	s_cvt_u32_f32 s2, s2
	s_mov_b32 s3, 0
	s_add_co_i32 s29, s26, -1
	s_wait_kmcnt 0x0
	s_add_nc_u64 s[8:9], s[8:9], s[18:19]
	s_mul_i32 s12, s12, s2
	s_mov_b32 s18, s34
	s_mul_hi_u32 s0, s2, s12
	s_mov_b64 s[12:13], 0xffffffffffffff
	s_add_co_i32 s2, s2, s0
	s_mov_b32 s19, s3
	s_branch .LBB238_274
.LBB238_271:                            ;   in Loop: Header=BB238_274 Depth=1
	s_or_b32 exec_lo, exec_lo, s1
	;;#ASMSTART
	v_pk_mul_f16 v1, v41, v21;

	;;#ASMEND
	;;#ASMSTART
	v_pk_mul_f16 v3, v40, v22;

	;;#ASMEND
	;; [unrolled: 4-line block ×4, first 2 shown]
	;;#ASMSTART
	v_pk_add_f16 v1, v1, v3;

	;;#ASMEND
	;;#ASMSTART
	v_pk_add_f16 v1, v1, v8;

	;;#ASMEND
	;; [unrolled: 4-line block ×3, first 2 shown]
	v_and_b32_e32 v3, 0xffff, v1
	v_lshrrev_b32_e32 v1, 16, v1
	;;#ASMSTART
	v_cvt_f32_f16 v3, v3;
	;;#ASMEND
	;;#ASMSTART
	v_cvt_f32_f16 v1, v1;
	;;#ASMEND
	s_delay_alu instid0(VALU_DEP_1) | instskip(NEXT) | instid1(VALU_DEP_1)
	v_add_f32_e32 v1, v3, v1
	v_add_f32_e32 v35, v35, v1
.LBB238_272:                            ;   in Loop: Header=BB238_274 Depth=1
	s_or_b32 exec_lo, exec_lo, s23
	v_dual_add_f32 v1, v32, v33 :: v_dual_add_f32 v8, v25, v26
	s_delay_alu instid0(VALU_DEP_1) | instskip(NEXT) | instid1(VALU_DEP_1)
	v_dual_add_f32 v3, v36, v37 :: v_dual_add_f32 v34, v34, v8
	v_dual_add_f32 v5, v5, v1 :: v_dual_add_f32 v4, v4, v3
.LBB238_273:                            ;   in Loop: Header=BB238_274 Depth=1
	s_or_b32 exec_lo, exec_lo, s22
	v_dual_add_nc_u32 v31, 4, v31 :: v_dual_add_nc_u32 v2, 32, v2
	v_add_nc_u64_e32 v[12:13], 16, v[12:13]
	v_add_nc_u32_e32 v30, 0x80, v30
	s_delay_alu instid0(VALU_DEP_3) | instskip(SKIP_1) | instid1(SALU_CYCLE_1)
	v_cmp_le_i32_e64 s0, s26, v31
	s_or_b32 s19, s0, s19
	s_and_not1_b32 exec_lo, exec_lo, s19
	s_cbranch_execz .LBB238_540
.LBB238_274:                            ; =>This Inner Loop Header: Depth=1
	v_mov_b32_e32 v3, v9
	s_delay_alu instid0(VALU_DEP_1) | instskip(NEXT) | instid1(VALU_DEP_1)
	v_mul_u64_e32 v[14:15], s[20:21], v[2:3]
	v_mul_lo_u32 v1, v15, s16
	s_delay_alu instid0(VALU_DEP_1) | instskip(NEXT) | instid1(VALU_DEP_1)
	v_sub_nc_u32_e32 v1, v2, v1
	v_subrev_nc_u32_e32 v8, s16, v1
	v_cmp_le_u32_e64 s0, s16, v1
	s_delay_alu instid0(VALU_DEP_1) | instskip(NEXT) | instid1(VALU_DEP_1)
	v_dual_add_nc_u32 v3, 1, v15 :: v_dual_cndmask_b32 v1, v1, v8, s0
	v_cndmask_b32_e64 v3, v15, v3, s0
	s_delay_alu instid0(VALU_DEP_2) | instskip(NEXT) | instid1(VALU_DEP_2)
	v_cmp_le_u32_e64 s0, s16, v1
	v_add_nc_u32_e32 v8, 1, v3
	s_delay_alu instid0(VALU_DEP_1) | instskip(NEXT) | instid1(VALU_DEP_1)
	v_cndmask_b32_e64 v1, v3, v8, s0
	v_xor_b32_e32 v1, s15, v1
	s_delay_alu instid0(VALU_DEP_1) | instskip(NEXT) | instid1(VALU_DEP_1)
	v_subrev_nc_u32_e32 v1, s15, v1
	v_add_nc_u32_e32 v3, s35, v1
	v_cmp_lt_i32_e64 s1, s28, v1
	s_delay_alu instid0(VALU_DEP_2) | instskip(NEXT) | instid1(VALU_DEP_1)
	v_sub_nc_u32_e32 v8, 0, v3
	v_dual_ashrrev_i32 v3, 31, v3 :: v_dual_max_i32 v8, v3, v8
	s_delay_alu instid0(VALU_DEP_1) | instskip(NEXT) | instid1(VALU_DEP_1)
	v_mul_u64_e32 v[14:15], s[2:3], v[8:9]
	v_mul_lo_u32 v14, v15, s14
	s_delay_alu instid0(VALU_DEP_1) | instskip(NEXT) | instid1(VALU_DEP_1)
	v_sub_nc_u32_e32 v8, v8, v14
	v_subrev_nc_u32_e32 v14, s14, v8
	v_cmp_le_u32_e64 s0, s14, v8
	s_delay_alu instid0(VALU_DEP_1) | instskip(NEXT) | instid1(VALU_DEP_1)
	v_cndmask_b32_e64 v8, v8, v14, s0
	v_subrev_nc_u32_e32 v14, s14, v8
	v_cmp_le_u32_e64 s0, s14, v8
	s_delay_alu instid0(VALU_DEP_1) | instskip(NEXT) | instid1(VALU_DEP_1)
	v_cndmask_b32_e64 v8, v8, v14, s0
	v_xor_b32_e32 v8, v8, v3
	s_delay_alu instid0(VALU_DEP_1) | instskip(NEXT) | instid1(VALU_DEP_1)
	v_sub_nc_u32_e32 v3, v8, v3
	v_cmp_eq_u32_e64 s0, 0, v3
	s_or_b32 s0, s0, s1
	s_delay_alu instid0(SALU_CYCLE_1)
	s_and_saveexec_b32 s22, s0
	s_cbranch_execz .LBB238_273
; %bb.275:                              ;   in Loop: Header=BB238_274 Depth=1
	global_load_b32 v1, v[12:13], off
	ds_load_2addr_b64 v[16:19], v30 offset1:1
	ds_load_2addr_b64 v[20:23], v30 offset0:2 offset1:3
	s_mov_b32 s1, exec_lo
	s_wait_dscnt 0x1
	;;#ASMSTART
	v_cvt_f16_f32 v39, v16;

	;;#ASMEND
	;;#ASMSTART
	v_cvt_f16_f32 v36, v17;

	;;#ASMEND
	;; [unrolled: 4-line block ×4, first 2 shown]
	s_wait_dscnt 0x0
	;;#ASMSTART
	v_cvt_f16_f32 v41, v20;

	;;#ASMEND
	;;#ASMSTART
	v_cvt_f16_f32 v38, v21;

	;;#ASMEND
	;; [unrolled: 4-line block ×4, first 2 shown]
	v_mov_b32_e32 v3, 0
	s_wait_loadcnt 0x0
	v_mad_nc_i64_i32 v[14:15], v1, s17, s[8:9]
	v_mov_b32_e32 v1, 0
	global_load_b32 v18, v1, s[10:11]
	v_add_nc_u64_e32 v[16:17], v[14:15], v[6:7]
	global_load_b64 v[20:21], v[16:17], off
	s_wait_loadcnt 0x0
	v_and_b32_e32 v8, 0xff, v20
	s_delay_alu instid0(VALU_DEP_1)
	v_cmpx_ne_u16_e32 0, v8
	s_cbranch_execz .LBB238_283
; %bb.276:                              ;   in Loop: Header=BB238_274 Depth=1
	v_mov_b32_e32 v3, 0x8000
	s_mov_b32 s23, exec_lo
	v_cmpx_ne_u16_e32 0x80, v8
	s_cbranch_execz .LBB238_282
; %bb.277:                              ;   in Loop: Header=BB238_274 Depth=1
	v_and_b32_e32 v19, 0x7f, v20
	v_mov_b32_e32 v3, 0x7c01
	s_mov_b32 s24, exec_lo
	s_delay_alu instid0(VALU_DEP_2)
	v_cmpx_ne_u32_e32 0x7f, v19
	s_cbranch_execz .LBB238_281
; %bb.278:                              ;   in Loop: Header=BB238_274 Depth=1
	v_dual_lshrrev_b32 v8, 3, v19 :: v_dual_bitop2_b32 v3, 7, v20 bitop3:0x40
	s_mov_b32 s25, exec_lo
	v_cmpx_gt_u32_e32 8, v19
; %bb.279:                              ;   in Loop: Header=BB238_274 Depth=1
	s_delay_alu instid0(VALU_DEP_2) | instskip(NEXT) | instid1(VALU_DEP_1)
	v_clz_i32_u32_e32 v3, v3
	v_min_u32_e32 v3, 32, v3
	s_delay_alu instid0(VALU_DEP_1) | instskip(NEXT) | instid1(VALU_DEP_1)
	v_subrev_nc_u32_e32 v8, 28, v3
	v_lshlrev_b64_e32 v[22:23], v8, v[20:21]
	s_delay_alu instid0(VALU_DEP_1)
	v_dual_sub_nc_u32 v8, 29, v3 :: v_dual_bitop2_b32 v3, 7, v22 bitop3:0x40
; %bb.280:                              ;   in Loop: Header=BB238_274 Depth=1
	s_or_b32 exec_lo, exec_lo, s25
	s_delay_alu instid0(VALU_DEP_1) | instskip(NEXT) | instid1(VALU_DEP_2)
	v_dual_lshlrev_b32 v19, 8, v20 :: v_dual_lshlrev_b32 v3, 7, v3
	v_lshl_add_u32 v8, v8, 10, 0x2000
	s_delay_alu instid0(VALU_DEP_2) | instskip(NEXT) | instid1(VALU_DEP_2)
	v_and_b32_e32 v19, 0x8000, v19
	v_and_b32_e32 v8, 0xfc00, v8
	s_delay_alu instid0(VALU_DEP_1)
	v_or3_b32 v3, v19, v8, v3
.LBB238_281:                            ;   in Loop: Header=BB238_274 Depth=1
	s_or_b32 exec_lo, exec_lo, s24
.LBB238_282:                            ;   in Loop: Header=BB238_274 Depth=1
	s_delay_alu instid0(SALU_CYCLE_1)
	s_or_b32 exec_lo, exec_lo, s23
.LBB238_283:                            ;   in Loop: Header=BB238_274 Depth=1
	s_delay_alu instid0(SALU_CYCLE_1) | instskip(SKIP_2) | instid1(VALU_DEP_1)
	s_or_b32 exec_lo, exec_lo, s1
	v_lshrrev_b16 v8, 8, v20
	s_mov_b32 s1, exec_lo
	v_cmpx_ne_u16_e32 0, v8
	s_cbranch_execz .LBB238_291
; %bb.284:                              ;   in Loop: Header=BB238_274 Depth=1
	v_bfrev_b32_e32 v1, 1
	s_mov_b32 s23, exec_lo
	v_cmpx_ne_u16_e32 0x80, v8
	s_cbranch_execz .LBB238_290
; %bb.285:                              ;   in Loop: Header=BB238_274 Depth=1
	v_and_b32_e32 v19, 0xffff, v8
	v_mov_b32_e32 v1, 0x7c010000
	s_mov_b32 s24, exec_lo
	s_delay_alu instid0(VALU_DEP_2) | instskip(NEXT) | instid1(VALU_DEP_1)
	v_and_b32_e32 v23, 0x7f, v19
	v_cmpx_ne_u32_e32 0x7f, v23
	s_cbranch_execz .LBB238_289
; %bb.286:                              ;   in Loop: Header=BB238_274 Depth=1
	v_and_b32_e32 v1, 7, v19
	v_lshrrev_b32_e32 v22, 3, v23
	s_mov_b32 s25, exec_lo
	v_cmpx_gt_u32_e32 8, v23
; %bb.287:                              ;   in Loop: Header=BB238_274 Depth=1
	s_delay_alu instid0(VALU_DEP_3) | instskip(NEXT) | instid1(VALU_DEP_1)
	v_clz_i32_u32_e32 v1, v1
	v_min_u32_e32 v1, 32, v1
	s_delay_alu instid0(VALU_DEP_1) | instskip(NEXT) | instid1(VALU_DEP_1)
	v_subrev_nc_u32_e32 v22, 28, v1
	v_lshlrev_b64_e32 v[24:25], v22, v[8:9]
	s_delay_alu instid0(VALU_DEP_1)
	v_dual_sub_nc_u32 v22, 29, v1 :: v_dual_bitop2_b32 v1, 7, v24 bitop3:0x40
; %bb.288:                              ;   in Loop: Header=BB238_274 Depth=1
	s_or_b32 exec_lo, exec_lo, s25
	s_delay_alu instid0(VALU_DEP_1) | instskip(NEXT) | instid1(VALU_DEP_2)
	v_dual_lshlrev_b32 v8, 8, v19 :: v_dual_lshlrev_b32 v1, 23, v1
	v_lshl_add_u32 v19, v22, 10, 0x2000
	s_delay_alu instid0(VALU_DEP_1) | instskip(NEXT) | instid1(VALU_DEP_1)
	v_and_or_b32 v8, 0x8000, v8, v19
	v_lshl_or_b32 v1, v8, 16, v1
.LBB238_289:                            ;   in Loop: Header=BB238_274 Depth=1
	s_or_b32 exec_lo, exec_lo, s24
.LBB238_290:                            ;   in Loop: Header=BB238_274 Depth=1
	s_delay_alu instid0(SALU_CYCLE_1)
	s_or_b32 exec_lo, exec_lo, s23
.LBB238_291:                            ;   in Loop: Header=BB238_274 Depth=1
	s_delay_alu instid0(SALU_CYCLE_1) | instskip(SKIP_3) | instid1(VALU_DEP_2)
	s_or_b32 exec_lo, exec_lo, s1
	v_dual_mov_b32 v19, 0 :: v_dual_lshrrev_b32 v8, 16, v20
	v_mov_b32_e32 v22, 0
	s_mov_b32 s1, exec_lo
	v_and_b32_e32 v23, 0xff, v8
	s_delay_alu instid0(VALU_DEP_1)
	v_cmpx_ne_u16_e32 0, v23
	s_cbranch_execz .LBB238_299
; %bb.292:                              ;   in Loop: Header=BB238_274 Depth=1
	v_mov_b32_e32 v22, 0x8000
	s_mov_b32 s23, exec_lo
	v_cmpx_ne_u16_e32 0x80, v23
	s_cbranch_execz .LBB238_298
; %bb.293:                              ;   in Loop: Header=BB238_274 Depth=1
	v_bfe_u32 v24, v20, 16, 7
	v_mov_b32_e32 v22, 0x7c01
	s_mov_b32 s24, exec_lo
	s_delay_alu instid0(VALU_DEP_2)
	v_cmpx_ne_u32_e32 0x7f, v24
	s_cbranch_execz .LBB238_297
; %bb.294:                              ;   in Loop: Header=BB238_274 Depth=1
	v_and_b32_e32 v22, 7, v8
	v_lshrrev_b32_e32 v23, 3, v24
	s_mov_b32 s25, exec_lo
	v_cmpx_gt_u32_e32 8, v24
; %bb.295:                              ;   in Loop: Header=BB238_274 Depth=1
	s_delay_alu instid0(VALU_DEP_3) | instskip(NEXT) | instid1(VALU_DEP_1)
	v_clz_i32_u32_e32 v22, v22
	v_min_u32_e32 v24, 32, v22
	s_delay_alu instid0(VALU_DEP_1) | instskip(NEXT) | instid1(VALU_DEP_1)
	v_subrev_nc_u32_e32 v22, 28, v24
	v_lshlrev_b64_e32 v[22:23], v22, v[8:9]
	s_delay_alu instid0(VALU_DEP_1)
	v_dual_sub_nc_u32 v23, 29, v24 :: v_dual_bitop2_b32 v22, 7, v22 bitop3:0x40
; %bb.296:                              ;   in Loop: Header=BB238_274 Depth=1
	s_or_b32 exec_lo, exec_lo, s25
	s_delay_alu instid0(VALU_DEP_1) | instskip(NEXT) | instid1(VALU_DEP_2)
	v_dual_lshlrev_b32 v8, 8, v8 :: v_dual_lshlrev_b32 v22, 7, v22
	v_lshl_add_u32 v23, v23, 10, 0x2000
	s_delay_alu instid0(VALU_DEP_2) | instskip(NEXT) | instid1(VALU_DEP_2)
	v_and_b32_e32 v8, 0x8000, v8
	v_and_b32_e32 v23, 0xfc00, v23
	s_delay_alu instid0(VALU_DEP_1)
	v_or3_b32 v22, v8, v23, v22
.LBB238_297:                            ;   in Loop: Header=BB238_274 Depth=1
	s_or_b32 exec_lo, exec_lo, s24
.LBB238_298:                            ;   in Loop: Header=BB238_274 Depth=1
	s_delay_alu instid0(SALU_CYCLE_1)
	s_or_b32 exec_lo, exec_lo, s23
.LBB238_299:                            ;   in Loop: Header=BB238_274 Depth=1
	s_delay_alu instid0(SALU_CYCLE_1) | instskip(NEXT) | instid1(SALU_CYCLE_1)
	s_or_b32 exec_lo, exec_lo, s1
	s_mov_b32 s1, exec_lo
	v_cmpx_lt_u32_e32 0xffffff, v20
	s_cbranch_execz .LBB238_307
; %bb.300:                              ;   in Loop: Header=BB238_274 Depth=1
	v_lshrrev_b32_e32 v8, 24, v20
	v_bfrev_b32_e32 v19, 1
	s_mov_b32 s23, exec_lo
	s_delay_alu instid0(VALU_DEP_2)
	v_cmpx_ne_u32_e32 0x80, v8
	s_cbranch_execz .LBB238_306
; %bb.301:                              ;   in Loop: Header=BB238_274 Depth=1
	v_and_b32_e32 v24, 0x7f, v8
	v_mov_b32_e32 v19, 0x7c010000
	s_mov_b32 s24, exec_lo
	s_delay_alu instid0(VALU_DEP_2)
	v_cmpx_ne_u32_e32 0x7f, v24
	s_cbranch_execz .LBB238_305
; %bb.302:                              ;   in Loop: Header=BB238_274 Depth=1
	v_and_b32_e32 v19, 7, v8
	v_lshrrev_b32_e32 v23, 3, v24
	s_mov_b32 s25, exec_lo
	v_cmpx_gt_u32_e32 8, v24
; %bb.303:                              ;   in Loop: Header=BB238_274 Depth=1
	s_delay_alu instid0(VALU_DEP_3) | instskip(NEXT) | instid1(VALU_DEP_1)
	v_clz_i32_u32_e32 v19, v19
	v_min_u32_e32 v19, 32, v19
	s_delay_alu instid0(VALU_DEP_1) | instskip(NEXT) | instid1(VALU_DEP_1)
	v_subrev_nc_u32_e32 v23, 28, v19
	v_lshlrev_b64_e32 v[24:25], v23, v[8:9]
	s_delay_alu instid0(VALU_DEP_1)
	v_dual_sub_nc_u32 v23, 29, v19 :: v_dual_bitop2_b32 v19, 7, v24 bitop3:0x40
; %bb.304:                              ;   in Loop: Header=BB238_274 Depth=1
	s_or_b32 exec_lo, exec_lo, s25
	s_delay_alu instid0(VALU_DEP_1) | instskip(NEXT) | instid1(VALU_DEP_2)
	v_dual_lshlrev_b32 v8, 8, v8 :: v_dual_lshlrev_b32 v19, 23, v19
	v_lshl_add_u32 v23, v23, 10, 0x2000
	s_delay_alu instid0(VALU_DEP_1) | instskip(NEXT) | instid1(VALU_DEP_1)
	v_and_or_b32 v8, 0x8000, v8, v23
	v_lshl_or_b32 v19, v8, 16, v19
.LBB238_305:                            ;   in Loop: Header=BB238_274 Depth=1
	s_or_b32 exec_lo, exec_lo, s24
.LBB238_306:                            ;   in Loop: Header=BB238_274 Depth=1
	s_delay_alu instid0(SALU_CYCLE_1)
	s_or_b32 exec_lo, exec_lo, s23
.LBB238_307:                            ;   in Loop: Header=BB238_274 Depth=1
	s_delay_alu instid0(SALU_CYCLE_1) | instskip(SKIP_4) | instid1(VALU_DEP_3)
	s_or_b32 exec_lo, exec_lo, s1
	v_and_b32_e32 v25, 0xff, v21
	v_dual_mov_b32 v8, v21 :: v_dual_mov_b32 v24, 0
	v_mov_b32_e32 v23, 0
	s_mov_b32 s1, exec_lo
	v_cmpx_ne_u16_e32 0, v25
	s_cbranch_execz .LBB238_315
; %bb.308:                              ;   in Loop: Header=BB238_274 Depth=1
	v_mov_b32_e32 v23, 0x8000
	s_mov_b32 s23, exec_lo
	v_cmpx_ne_u16_e32 0x80, v25
	s_cbranch_execz .LBB238_314
; %bb.309:                              ;   in Loop: Header=BB238_274 Depth=1
	v_and_b32_e32 v26, 0x7f, v21
	v_mov_b32_e32 v23, 0x7c01
	s_mov_b32 s24, exec_lo
	s_delay_alu instid0(VALU_DEP_2)
	v_cmpx_ne_u32_e32 0x7f, v26
	s_cbranch_execz .LBB238_313
; %bb.310:                              ;   in Loop: Header=BB238_274 Depth=1
	v_dual_lshrrev_b32 v25, 3, v26 :: v_dual_bitop2_b32 v23, 7, v21 bitop3:0x40
	s_mov_b32 s25, exec_lo
	v_cmpx_gt_u32_e32 8, v26
; %bb.311:                              ;   in Loop: Header=BB238_274 Depth=1
	s_delay_alu instid0(VALU_DEP_2) | instskip(NEXT) | instid1(VALU_DEP_1)
	v_clz_i32_u32_e32 v23, v23
	v_min_u32_e32 v23, 32, v23
	s_delay_alu instid0(VALU_DEP_1) | instskip(NEXT) | instid1(VALU_DEP_1)
	v_subrev_nc_u32_e32 v25, 28, v23
	v_lshlrev_b64_e32 v[32:33], v25, v[8:9]
	s_delay_alu instid0(VALU_DEP_1)
	v_dual_sub_nc_u32 v25, 29, v23 :: v_dual_bitop2_b32 v23, 7, v32 bitop3:0x40
; %bb.312:                              ;   in Loop: Header=BB238_274 Depth=1
	s_or_b32 exec_lo, exec_lo, s25
	s_delay_alu instid0(VALU_DEP_1) | instskip(NEXT) | instid1(VALU_DEP_2)
	v_dual_lshlrev_b32 v26, 8, v21 :: v_dual_lshlrev_b32 v23, 7, v23
	v_lshl_add_u32 v25, v25, 10, 0x2000
	s_delay_alu instid0(VALU_DEP_2) | instskip(NEXT) | instid1(VALU_DEP_2)
	v_and_b32_e32 v26, 0x8000, v26
	v_and_b32_e32 v25, 0xfc00, v25
	s_delay_alu instid0(VALU_DEP_1)
	v_or3_b32 v23, v26, v25, v23
.LBB238_313:                            ;   in Loop: Header=BB238_274 Depth=1
	s_or_b32 exec_lo, exec_lo, s24
.LBB238_314:                            ;   in Loop: Header=BB238_274 Depth=1
	s_delay_alu instid0(SALU_CYCLE_1)
	s_or_b32 exec_lo, exec_lo, s23
.LBB238_315:                            ;   in Loop: Header=BB238_274 Depth=1
	s_delay_alu instid0(SALU_CYCLE_1) | instskip(SKIP_3) | instid1(VALU_DEP_2)
	s_or_b32 exec_lo, exec_lo, s1
	v_lshrrev_b16 v8, 8, v8
	v_mov_b32_e32 v25, 0
	s_mov_b32 s1, exec_lo
	v_cmpx_ne_u16_e32 0, v8
	s_cbranch_execz .LBB238_323
; %bb.316:                              ;   in Loop: Header=BB238_274 Depth=1
	v_bfrev_b32_e32 v25, 1
	s_mov_b32 s23, exec_lo
	v_cmpx_ne_u16_e32 0x80, v8
	s_cbranch_execz .LBB238_322
; %bb.317:                              ;   in Loop: Header=BB238_274 Depth=1
	v_and_b32_e32 v26, 0xffff, v8
	v_mov_b32_e32 v25, 0x7c010000
	s_mov_b32 s24, exec_lo
	s_delay_alu instid0(VALU_DEP_2) | instskip(NEXT) | instid1(VALU_DEP_1)
	v_and_b32_e32 v33, 0x7f, v26
	v_cmpx_ne_u32_e32 0x7f, v33
	s_cbranch_execz .LBB238_321
; %bb.318:                              ;   in Loop: Header=BB238_274 Depth=1
	v_dual_lshrrev_b32 v32, 3, v33 :: v_dual_bitop2_b32 v25, 7, v26 bitop3:0x40
	s_mov_b32 s25, exec_lo
	v_cmpx_gt_u32_e32 8, v33
; %bb.319:                              ;   in Loop: Header=BB238_274 Depth=1
	s_delay_alu instid0(VALU_DEP_2) | instskip(NEXT) | instid1(VALU_DEP_1)
	v_clz_i32_u32_e32 v25, v25
	v_min_u32_e32 v25, 32, v25
	s_delay_alu instid0(VALU_DEP_1) | instskip(NEXT) | instid1(VALU_DEP_1)
	v_subrev_nc_u32_e32 v32, 28, v25
	v_lshlrev_b64_e32 v[44:45], v32, v[8:9]
	s_delay_alu instid0(VALU_DEP_1)
	v_dual_sub_nc_u32 v32, 29, v25 :: v_dual_bitop2_b32 v25, 7, v44 bitop3:0x40
; %bb.320:                              ;   in Loop: Header=BB238_274 Depth=1
	s_or_b32 exec_lo, exec_lo, s25
	s_delay_alu instid0(VALU_DEP_1) | instskip(NEXT) | instid1(VALU_DEP_2)
	v_dual_lshlrev_b32 v8, 8, v26 :: v_dual_lshlrev_b32 v25, 23, v25
	v_lshl_add_u32 v26, v32, 10, 0x2000
	s_delay_alu instid0(VALU_DEP_1) | instskip(NEXT) | instid1(VALU_DEP_1)
	v_and_or_b32 v8, 0x8000, v8, v26
	v_lshl_or_b32 v25, v8, 16, v25
.LBB238_321:                            ;   in Loop: Header=BB238_274 Depth=1
	s_or_b32 exec_lo, exec_lo, s24
.LBB238_322:                            ;   in Loop: Header=BB238_274 Depth=1
	s_delay_alu instid0(SALU_CYCLE_1)
	s_or_b32 exec_lo, exec_lo, s23
.LBB238_323:                            ;   in Loop: Header=BB238_274 Depth=1
	s_delay_alu instid0(SALU_CYCLE_1) | instskip(SKIP_2) | instid1(VALU_DEP_1)
	s_or_b32 exec_lo, exec_lo, s1
	v_lshrrev_b32_e32 v8, 16, v21
	s_mov_b32 s1, exec_lo
	v_and_b32_e32 v26, 0xff, v8
	s_delay_alu instid0(VALU_DEP_1)
	v_cmpx_ne_u16_e32 0, v26
	s_cbranch_execz .LBB238_331
; %bb.324:                              ;   in Loop: Header=BB238_274 Depth=1
	v_mov_b32_e32 v24, 0x8000
	s_mov_b32 s23, exec_lo
	v_cmpx_ne_u16_e32 0x80, v26
	s_cbranch_execz .LBB238_330
; %bb.325:                              ;   in Loop: Header=BB238_274 Depth=1
	v_bfe_u32 v32, v21, 16, 7
	v_mov_b32_e32 v24, 0x7c01
	s_mov_b32 s24, exec_lo
	s_delay_alu instid0(VALU_DEP_2)
	v_cmpx_ne_u32_e32 0x7f, v32
	s_cbranch_execz .LBB238_329
; %bb.326:                              ;   in Loop: Header=BB238_274 Depth=1
	v_and_b32_e32 v24, 7, v8
	v_lshrrev_b32_e32 v26, 3, v32
	s_mov_b32 s25, exec_lo
	v_cmpx_gt_u32_e32 8, v32
; %bb.327:                              ;   in Loop: Header=BB238_274 Depth=1
	s_delay_alu instid0(VALU_DEP_3) | instskip(NEXT) | instid1(VALU_DEP_1)
	v_clz_i32_u32_e32 v24, v24
	v_min_u32_e32 v24, 32, v24
	s_delay_alu instid0(VALU_DEP_1) | instskip(NEXT) | instid1(VALU_DEP_1)
	v_subrev_nc_u32_e32 v26, 28, v24
	v_lshlrev_b64_e32 v[32:33], v26, v[8:9]
	v_sub_nc_u32_e32 v26, 29, v24
	s_delay_alu instid0(VALU_DEP_2)
	v_and_b32_e32 v24, 7, v32
; %bb.328:                              ;   in Loop: Header=BB238_274 Depth=1
	s_or_b32 exec_lo, exec_lo, s25
	v_lshlrev_b32_e32 v8, 8, v8
	s_delay_alu instid0(VALU_DEP_3) | instskip(NEXT) | instid1(VALU_DEP_3)
	v_lshl_add_u32 v26, v26, 10, 0x2000
	v_lshlrev_b32_e32 v24, 7, v24
	s_delay_alu instid0(VALU_DEP_3) | instskip(NEXT) | instid1(VALU_DEP_3)
	v_and_b32_e32 v8, 0x8000, v8
	v_and_b32_e32 v26, 0xfc00, v26
	s_delay_alu instid0(VALU_DEP_1)
	v_or3_b32 v24, v8, v26, v24
.LBB238_329:                            ;   in Loop: Header=BB238_274 Depth=1
	s_or_b32 exec_lo, exec_lo, s24
.LBB238_330:                            ;   in Loop: Header=BB238_274 Depth=1
	s_delay_alu instid0(SALU_CYCLE_1)
	s_or_b32 exec_lo, exec_lo, s23
.LBB238_331:                            ;   in Loop: Header=BB238_274 Depth=1
	s_delay_alu instid0(SALU_CYCLE_1)
	s_or_b32 exec_lo, exec_lo, s1
	v_cmp_lt_u64_e64 s0, s[12:13], v[20:21]
	v_mov_b32_e32 v20, 0
	s_and_saveexec_b32 s1, s0
	s_cbranch_execz .LBB238_339
; %bb.332:                              ;   in Loop: Header=BB238_274 Depth=1
	v_lshrrev_b32_e32 v8, 24, v21
	v_bfrev_b32_e32 v20, 1
	s_mov_b32 s23, exec_lo
	s_delay_alu instid0(VALU_DEP_2)
	v_cmpx_ne_u32_e32 0x80, v8
	s_cbranch_execz .LBB238_338
; %bb.333:                              ;   in Loop: Header=BB238_274 Depth=1
	v_and_b32_e32 v26, 0x7f, v8
	v_mov_b32_e32 v20, 0x7c010000
	s_mov_b32 s24, exec_lo
	s_delay_alu instid0(VALU_DEP_2)
	v_cmpx_ne_u32_e32 0x7f, v26
	s_cbranch_execz .LBB238_337
; %bb.334:                              ;   in Loop: Header=BB238_274 Depth=1
	v_dual_lshrrev_b32 v21, 3, v26 :: v_dual_bitop2_b32 v20, 7, v8 bitop3:0x40
	s_mov_b32 s25, exec_lo
	v_cmpx_gt_u32_e32 8, v26
; %bb.335:                              ;   in Loop: Header=BB238_274 Depth=1
	s_delay_alu instid0(VALU_DEP_2) | instskip(NEXT) | instid1(VALU_DEP_1)
	v_clz_i32_u32_e32 v20, v20
	v_min_u32_e32 v26, 32, v20
	s_delay_alu instid0(VALU_DEP_1) | instskip(NEXT) | instid1(VALU_DEP_1)
	v_subrev_nc_u32_e32 v20, 28, v26
	v_lshlrev_b64_e32 v[20:21], v20, v[8:9]
	s_delay_alu instid0(VALU_DEP_1)
	v_dual_sub_nc_u32 v21, 29, v26 :: v_dual_bitop2_b32 v20, 7, v20 bitop3:0x40
; %bb.336:                              ;   in Loop: Header=BB238_274 Depth=1
	s_or_b32 exec_lo, exec_lo, s25
	v_lshlrev_b32_e32 v8, 8, v8
	s_delay_alu instid0(VALU_DEP_2) | instskip(NEXT) | instid1(VALU_DEP_3)
	v_lshl_add_u32 v21, v21, 10, 0x2000
	v_lshlrev_b32_e32 v20, 23, v20
	s_delay_alu instid0(VALU_DEP_2) | instskip(NEXT) | instid1(VALU_DEP_1)
	v_and_or_b32 v8, 0x8000, v8, v21
	v_lshl_or_b32 v20, v8, 16, v20
.LBB238_337:                            ;   in Loop: Header=BB238_274 Depth=1
	s_or_b32 exec_lo, exec_lo, s24
.LBB238_338:                            ;   in Loop: Header=BB238_274 Depth=1
	s_delay_alu instid0(SALU_CYCLE_1)
	s_or_b32 exec_lo, exec_lo, s23
.LBB238_339:                            ;   in Loop: Header=BB238_274 Depth=1
	s_delay_alu instid0(SALU_CYCLE_1) | instskip(SKIP_3) | instid1(VALU_DEP_3)
	s_or_b32 exec_lo, exec_lo, s1
	v_dual_lshrrev_b32 v8, 16, v1 :: v_dual_lshrrev_b32 v21, 16, v19
	v_or_b32_e32 v1, v1, v3
	v_dual_lshrrev_b32 v22, 16, v20 :: v_dual_bitop2_b32 v3, v19, v22 bitop3:0x54
	v_cvt_f32_f16_e32 v33, v8
	s_delay_alu instid0(VALU_DEP_4) | instskip(SKIP_4) | instid1(VALU_DEP_4)
	v_cvt_f32_f16_e32 v32, v21
	v_lshrrev_b32_e32 v19, 16, v25
	v_cvt_f32_f16_e32 v21, v1
	v_cvt_f32_f16_e32 v22, v22
	v_cmp_eq_u32_e64 s0, s29, v31
	v_pk_mul_f32 v[32:33], v[18:19], v[32:33] op_sel_hi:[0,1]
	s_delay_alu instid0(VALU_DEP_1) | instskip(SKIP_4) | instid1(VALU_DEP_4)
	v_cvt_pk_f16_f32 v1, v32, v33
	v_or_b32_e32 v8, v20, v24
	v_cvt_f32_f16_e32 v20, v3
	v_or_b32_e32 v3, v25, v23
	v_cvt_f32_f16_e32 v23, v19
	v_cvt_f32_f16_e32 v24, v8
	s_delay_alu instid0(VALU_DEP_4) | instskip(NEXT) | instid1(VALU_DEP_4)
	v_pk_mul_f32 v[20:21], v[18:19], v[20:21] op_sel_hi:[0,1]
	v_cvt_f32_f16_e32 v25, v3
	s_delay_alu instid0(VALU_DEP_4) | instskip(NEXT) | instid1(VALU_DEP_3)
	v_pk_mul_f32 v[22:23], v[18:19], v[22:23] op_sel_hi:[0,1]
	v_cvt_pk_f16_f32 v3, v20, v21
	s_delay_alu instid0(VALU_DEP_3) | instskip(NEXT) | instid1(VALU_DEP_3)
	v_pk_mul_f32 v[24:25], v[18:19], v[24:25] op_sel_hi:[0,1]
	v_cvt_pk_f16_f32 v8, v22, v23
	v_and_b32_e32 v19, 0xffff0000, v1
	v_lshlrev_b32_e32 v18, 16, v1
	v_and_b32_e32 v26, 0xffff, v3
	v_cvt_pk_f16_f32 v20, v24, v25
	v_lshrrev_b32_e32 v25, 16, v3
	v_and_b32_e32 v1, 0xffff0000, v8
	s_delay_alu instid0(VALU_DEP_4) | instskip(NEXT) | instid1(VALU_DEP_4)
	v_dual_lshlrev_b32 v8, 16, v8 :: v_dual_bitop2_b32 v24, v18, v26 bitop3:0x54
	v_lshrrev_b32_e32 v3, 16, v20
	v_and_b32_e32 v20, 0xffff, v20
	v_or_b32_e32 v23, v19, v25
	s_delay_alu instid0(VALU_DEP_3) | instskip(NEXT) | instid1(VALU_DEP_3)
	v_or_b32_e32 v21, v1, v3
	v_or_b32_e32 v22, v8, v20
	s_and_saveexec_b32 s23, s0
	s_cbranch_execz .LBB238_341
; %bb.340:                              ;   in Loop: Header=BB238_274 Depth=1
	v_dual_add_nc_u32 v21, 2, v2 :: v_dual_bitop2_b32 v22, 1, v2 bitop3:0x54
	v_cmp_gt_i32_e64 s1, s18, v2
	s_delay_alu instid0(VALU_DEP_1) | instskip(NEXT) | instid1(VALU_DEP_3)
	v_dual_cndmask_b32 v24, 0, v25, s1 :: v_dual_bitop2_b32 v23, 3, v2 bitop3:0x54
	v_cmp_gt_i32_e64 s1, s34, v21
	v_or_b32_e32 v25, 5, v2
	s_delay_alu instid0(VALU_DEP_2) | instskip(SKIP_2) | instid1(VALU_DEP_2)
	v_cndmask_b32_e64 v21, 0, v26, s1
	v_cmp_gt_i32_e64 s1, s18, v22
	v_or_b32_e32 v22, 4, v2
	v_dual_cndmask_b32 v19, 0, v19, s1 :: v_dual_bitop2_b32 v26, 7, v2 bitop3:0x54
	v_cmp_gt_i32_e64 s1, s34, v23
	v_or_b32_e32 v23, 6, v2
	s_delay_alu instid0(VALU_DEP_2) | instskip(SKIP_1) | instid1(VALU_DEP_1)
	v_cndmask_b32_e64 v18, 0, v18, s1
	v_cmp_gt_i32_e64 s1, s18, v22
	v_cndmask_b32_e64 v3, 0, v3, s1
	s_delay_alu instid0(VALU_DEP_4) | instskip(SKIP_1) | instid1(VALU_DEP_2)
	v_cmp_gt_i32_e64 s1, s34, v23
	v_or_b32_e32 v23, v19, v24
	v_cndmask_b32_e64 v20, 0, v20, s1
	v_cmp_gt_i32_e64 s1, s18, v25
	v_or_b32_e32 v24, v18, v21
	s_delay_alu instid0(VALU_DEP_2) | instskip(SKIP_1) | instid1(VALU_DEP_1)
	v_cndmask_b32_e64 v1, 0, v1, s1
	v_cmp_gt_i32_e64 s1, s34, v26
	v_dual_cndmask_b32 v8, 0, v8, s1 :: v_dual_bitop2_b32 v21, v1, v3 bitop3:0x54
	s_delay_alu instid0(VALU_DEP_1)
	v_or_b32_e32 v22, v8, v20
.LBB238_341:                            ;   in Loop: Header=BB238_274 Depth=1
	s_or_b32 exec_lo, exec_lo, s23
	v_and_b32_e32 v1, 0xffff, v39
	v_and_b32_e32 v3, 0xffff, v40
	;; [unrolled: 1-line block ×4, first 2 shown]
	s_mov_b32 s23, exec_lo
	v_lshl_or_b32 v41, v36, 16, v1
	;;#ASMSTART
	v_pk_mul_f16 v1, v41, v23;

	;;#ASMEND
	v_lshl_or_b32 v40, v37, 16, v3
	v_lshl_or_b32 v39, v38, 16, v8
	;; [unrolled: 1-line block ×3, first 2 shown]
	;;#ASMSTART
	v_pk_mul_f16 v3, v40, v24;

	;;#ASMEND
	;;#ASMSTART
	v_pk_mul_f16 v8, v39, v21;

	;;#ASMEND
	;;#ASMSTART
	v_pk_mul_f16 v18, v38, v22;

	;;#ASMEND
	;;#ASMSTART
	v_pk_add_f16 v1, v1, v3;

	;;#ASMEND
	;;#ASMSTART
	v_pk_add_f16 v1, v1, v8;

	;;#ASMEND
	;; [unrolled: 4-line block ×3, first 2 shown]
	v_and_b32_e32 v3, 0xffff, v1
	v_lshrrev_b32_e32 v1, 16, v1
	;;#ASMSTART
	v_cvt_f32_f16 v36, v3;
	;;#ASMEND
	v_mov_b32_e32 v3, 0
	;;#ASMSTART
	v_cvt_f32_f16 v37, v1;
	;;#ASMEND
	global_load_b64 v[20:21], v[16:17], off offset:256
	v_mov_b32_e32 v1, 0
	global_load_b32 v18, v1, s[10:11]
	s_wait_loadcnt 0x1
	v_and_b32_e32 v8, 0xff, v20
	s_wait_xcnt 0x0
	s_delay_alu instid0(VALU_DEP_1)
	v_cmpx_ne_u16_e32 0, v8
	s_cbranch_execz .LBB238_349
; %bb.342:                              ;   in Loop: Header=BB238_274 Depth=1
	v_mov_b32_e32 v3, 0x8000
	s_mov_b32 s24, exec_lo
	v_cmpx_ne_u16_e32 0x80, v8
	s_cbranch_execz .LBB238_348
; %bb.343:                              ;   in Loop: Header=BB238_274 Depth=1
	v_and_b32_e32 v19, 0x7f, v20
	v_mov_b32_e32 v3, 0x7c01
	s_mov_b32 s25, exec_lo
	s_delay_alu instid0(VALU_DEP_2)
	v_cmpx_ne_u32_e32 0x7f, v19
	s_cbranch_execz .LBB238_347
; %bb.344:                              ;   in Loop: Header=BB238_274 Depth=1
	v_dual_lshrrev_b32 v8, 3, v19 :: v_dual_bitop2_b32 v3, 7, v20 bitop3:0x40
	s_mov_b32 s36, exec_lo
	v_cmpx_gt_u32_e32 8, v19
; %bb.345:                              ;   in Loop: Header=BB238_274 Depth=1
	s_delay_alu instid0(VALU_DEP_2) | instskip(NEXT) | instid1(VALU_DEP_1)
	v_clz_i32_u32_e32 v3, v3
	v_min_u32_e32 v3, 32, v3
	s_delay_alu instid0(VALU_DEP_1) | instskip(NEXT) | instid1(VALU_DEP_1)
	v_subrev_nc_u32_e32 v8, 28, v3
	v_lshlrev_b64_e32 v[22:23], v8, v[20:21]
	s_delay_alu instid0(VALU_DEP_1)
	v_dual_sub_nc_u32 v8, 29, v3 :: v_dual_bitop2_b32 v3, 7, v22 bitop3:0x40
; %bb.346:                              ;   in Loop: Header=BB238_274 Depth=1
	s_or_b32 exec_lo, exec_lo, s36
	s_delay_alu instid0(VALU_DEP_1) | instskip(NEXT) | instid1(VALU_DEP_2)
	v_dual_lshlrev_b32 v19, 8, v20 :: v_dual_lshlrev_b32 v3, 7, v3
	v_lshl_add_u32 v8, v8, 10, 0x2000
	s_delay_alu instid0(VALU_DEP_2) | instskip(NEXT) | instid1(VALU_DEP_2)
	v_and_b32_e32 v19, 0x8000, v19
	v_and_b32_e32 v8, 0xfc00, v8
	s_delay_alu instid0(VALU_DEP_1)
	v_or3_b32 v3, v19, v8, v3
.LBB238_347:                            ;   in Loop: Header=BB238_274 Depth=1
	s_or_b32 exec_lo, exec_lo, s25
.LBB238_348:                            ;   in Loop: Header=BB238_274 Depth=1
	s_delay_alu instid0(SALU_CYCLE_1)
	s_or_b32 exec_lo, exec_lo, s24
.LBB238_349:                            ;   in Loop: Header=BB238_274 Depth=1
	s_delay_alu instid0(SALU_CYCLE_1) | instskip(SKIP_2) | instid1(VALU_DEP_1)
	s_or_b32 exec_lo, exec_lo, s23
	v_lshrrev_b16 v8, 8, v20
	s_mov_b32 s23, exec_lo
	v_cmpx_ne_u16_e32 0, v8
	s_cbranch_execz .LBB238_357
; %bb.350:                              ;   in Loop: Header=BB238_274 Depth=1
	v_bfrev_b32_e32 v1, 1
	s_mov_b32 s24, exec_lo
	v_cmpx_ne_u16_e32 0x80, v8
	s_cbranch_execz .LBB238_356
; %bb.351:                              ;   in Loop: Header=BB238_274 Depth=1
	v_and_b32_e32 v19, 0xffff, v8
	v_mov_b32_e32 v1, 0x7c010000
	s_mov_b32 s25, exec_lo
	s_delay_alu instid0(VALU_DEP_2) | instskip(NEXT) | instid1(VALU_DEP_1)
	v_and_b32_e32 v23, 0x7f, v19
	v_cmpx_ne_u32_e32 0x7f, v23
	s_cbranch_execz .LBB238_355
; %bb.352:                              ;   in Loop: Header=BB238_274 Depth=1
	v_and_b32_e32 v1, 7, v19
	v_lshrrev_b32_e32 v22, 3, v23
	s_mov_b32 s36, exec_lo
	v_cmpx_gt_u32_e32 8, v23
; %bb.353:                              ;   in Loop: Header=BB238_274 Depth=1
	s_delay_alu instid0(VALU_DEP_3) | instskip(NEXT) | instid1(VALU_DEP_1)
	v_clz_i32_u32_e32 v1, v1
	v_min_u32_e32 v1, 32, v1
	s_delay_alu instid0(VALU_DEP_1) | instskip(NEXT) | instid1(VALU_DEP_1)
	v_subrev_nc_u32_e32 v22, 28, v1
	v_lshlrev_b64_e32 v[24:25], v22, v[8:9]
	s_delay_alu instid0(VALU_DEP_1)
	v_dual_sub_nc_u32 v22, 29, v1 :: v_dual_bitop2_b32 v1, 7, v24 bitop3:0x40
; %bb.354:                              ;   in Loop: Header=BB238_274 Depth=1
	s_or_b32 exec_lo, exec_lo, s36
	s_delay_alu instid0(VALU_DEP_1) | instskip(NEXT) | instid1(VALU_DEP_2)
	v_dual_lshlrev_b32 v8, 8, v19 :: v_dual_lshlrev_b32 v1, 23, v1
	v_lshl_add_u32 v19, v22, 10, 0x2000
	s_delay_alu instid0(VALU_DEP_1) | instskip(NEXT) | instid1(VALU_DEP_1)
	v_and_or_b32 v8, 0x8000, v8, v19
	v_lshl_or_b32 v1, v8, 16, v1
.LBB238_355:                            ;   in Loop: Header=BB238_274 Depth=1
	s_or_b32 exec_lo, exec_lo, s25
.LBB238_356:                            ;   in Loop: Header=BB238_274 Depth=1
	s_delay_alu instid0(SALU_CYCLE_1)
	s_or_b32 exec_lo, exec_lo, s24
.LBB238_357:                            ;   in Loop: Header=BB238_274 Depth=1
	s_delay_alu instid0(SALU_CYCLE_1) | instskip(SKIP_3) | instid1(VALU_DEP_2)
	s_or_b32 exec_lo, exec_lo, s23
	v_dual_mov_b32 v19, 0 :: v_dual_lshrrev_b32 v8, 16, v20
	v_mov_b32_e32 v22, 0
	s_mov_b32 s23, exec_lo
	v_and_b32_e32 v23, 0xff, v8
	s_delay_alu instid0(VALU_DEP_1)
	v_cmpx_ne_u16_e32 0, v23
	s_cbranch_execz .LBB238_365
; %bb.358:                              ;   in Loop: Header=BB238_274 Depth=1
	v_mov_b32_e32 v22, 0x8000
	s_mov_b32 s24, exec_lo
	v_cmpx_ne_u16_e32 0x80, v23
	s_cbranch_execz .LBB238_364
; %bb.359:                              ;   in Loop: Header=BB238_274 Depth=1
	v_bfe_u32 v24, v20, 16, 7
	v_mov_b32_e32 v22, 0x7c01
	s_mov_b32 s25, exec_lo
	s_delay_alu instid0(VALU_DEP_2)
	v_cmpx_ne_u32_e32 0x7f, v24
	s_cbranch_execz .LBB238_363
; %bb.360:                              ;   in Loop: Header=BB238_274 Depth=1
	v_and_b32_e32 v22, 7, v8
	v_lshrrev_b32_e32 v23, 3, v24
	s_mov_b32 s36, exec_lo
	v_cmpx_gt_u32_e32 8, v24
; %bb.361:                              ;   in Loop: Header=BB238_274 Depth=1
	s_delay_alu instid0(VALU_DEP_3) | instskip(NEXT) | instid1(VALU_DEP_1)
	v_clz_i32_u32_e32 v22, v22
	v_min_u32_e32 v24, 32, v22
	s_delay_alu instid0(VALU_DEP_1) | instskip(NEXT) | instid1(VALU_DEP_1)
	v_subrev_nc_u32_e32 v22, 28, v24
	v_lshlrev_b64_e32 v[22:23], v22, v[8:9]
	s_delay_alu instid0(VALU_DEP_1)
	v_dual_sub_nc_u32 v23, 29, v24 :: v_dual_bitop2_b32 v22, 7, v22 bitop3:0x40
; %bb.362:                              ;   in Loop: Header=BB238_274 Depth=1
	s_or_b32 exec_lo, exec_lo, s36
	s_delay_alu instid0(VALU_DEP_1) | instskip(NEXT) | instid1(VALU_DEP_2)
	v_dual_lshlrev_b32 v8, 8, v8 :: v_dual_lshlrev_b32 v22, 7, v22
	v_lshl_add_u32 v23, v23, 10, 0x2000
	s_delay_alu instid0(VALU_DEP_2) | instskip(NEXT) | instid1(VALU_DEP_2)
	v_and_b32_e32 v8, 0x8000, v8
	v_and_b32_e32 v23, 0xfc00, v23
	s_delay_alu instid0(VALU_DEP_1)
	v_or3_b32 v22, v8, v23, v22
.LBB238_363:                            ;   in Loop: Header=BB238_274 Depth=1
	s_or_b32 exec_lo, exec_lo, s25
.LBB238_364:                            ;   in Loop: Header=BB238_274 Depth=1
	s_delay_alu instid0(SALU_CYCLE_1)
	s_or_b32 exec_lo, exec_lo, s24
.LBB238_365:                            ;   in Loop: Header=BB238_274 Depth=1
	s_delay_alu instid0(SALU_CYCLE_1) | instskip(NEXT) | instid1(SALU_CYCLE_1)
	s_or_b32 exec_lo, exec_lo, s23
	s_mov_b32 s23, exec_lo
	v_cmpx_lt_u32_e32 0xffffff, v20
	s_cbranch_execz .LBB238_373
; %bb.366:                              ;   in Loop: Header=BB238_274 Depth=1
	v_lshrrev_b32_e32 v8, 24, v20
	v_bfrev_b32_e32 v19, 1
	s_mov_b32 s24, exec_lo
	s_delay_alu instid0(VALU_DEP_2)
	v_cmpx_ne_u32_e32 0x80, v8
	s_cbranch_execz .LBB238_372
; %bb.367:                              ;   in Loop: Header=BB238_274 Depth=1
	v_and_b32_e32 v24, 0x7f, v8
	v_mov_b32_e32 v19, 0x7c010000
	s_mov_b32 s25, exec_lo
	s_delay_alu instid0(VALU_DEP_2)
	v_cmpx_ne_u32_e32 0x7f, v24
	s_cbranch_execz .LBB238_371
; %bb.368:                              ;   in Loop: Header=BB238_274 Depth=1
	v_and_b32_e32 v19, 7, v8
	v_lshrrev_b32_e32 v23, 3, v24
	s_mov_b32 s36, exec_lo
	v_cmpx_gt_u32_e32 8, v24
; %bb.369:                              ;   in Loop: Header=BB238_274 Depth=1
	s_delay_alu instid0(VALU_DEP_3) | instskip(NEXT) | instid1(VALU_DEP_1)
	v_clz_i32_u32_e32 v19, v19
	v_min_u32_e32 v19, 32, v19
	s_delay_alu instid0(VALU_DEP_1) | instskip(NEXT) | instid1(VALU_DEP_1)
	v_subrev_nc_u32_e32 v23, 28, v19
	v_lshlrev_b64_e32 v[24:25], v23, v[8:9]
	s_delay_alu instid0(VALU_DEP_1)
	v_dual_sub_nc_u32 v23, 29, v19 :: v_dual_bitop2_b32 v19, 7, v24 bitop3:0x40
; %bb.370:                              ;   in Loop: Header=BB238_274 Depth=1
	s_or_b32 exec_lo, exec_lo, s36
	s_delay_alu instid0(VALU_DEP_1) | instskip(NEXT) | instid1(VALU_DEP_2)
	v_dual_lshlrev_b32 v8, 8, v8 :: v_dual_lshlrev_b32 v19, 23, v19
	v_lshl_add_u32 v23, v23, 10, 0x2000
	s_delay_alu instid0(VALU_DEP_1) | instskip(NEXT) | instid1(VALU_DEP_1)
	v_and_or_b32 v8, 0x8000, v8, v23
	v_lshl_or_b32 v19, v8, 16, v19
.LBB238_371:                            ;   in Loop: Header=BB238_274 Depth=1
	s_or_b32 exec_lo, exec_lo, s25
.LBB238_372:                            ;   in Loop: Header=BB238_274 Depth=1
	s_delay_alu instid0(SALU_CYCLE_1)
	s_or_b32 exec_lo, exec_lo, s24
.LBB238_373:                            ;   in Loop: Header=BB238_274 Depth=1
	s_delay_alu instid0(SALU_CYCLE_1) | instskip(SKIP_4) | instid1(VALU_DEP_3)
	s_or_b32 exec_lo, exec_lo, s23
	v_and_b32_e32 v25, 0xff, v21
	v_dual_mov_b32 v8, v21 :: v_dual_mov_b32 v24, 0
	v_mov_b32_e32 v23, 0
	s_mov_b32 s23, exec_lo
	v_cmpx_ne_u16_e32 0, v25
	s_cbranch_execz .LBB238_381
; %bb.374:                              ;   in Loop: Header=BB238_274 Depth=1
	v_mov_b32_e32 v23, 0x8000
	s_mov_b32 s24, exec_lo
	v_cmpx_ne_u16_e32 0x80, v25
	s_cbranch_execz .LBB238_380
; %bb.375:                              ;   in Loop: Header=BB238_274 Depth=1
	v_and_b32_e32 v26, 0x7f, v21
	v_mov_b32_e32 v23, 0x7c01
	s_mov_b32 s25, exec_lo
	s_delay_alu instid0(VALU_DEP_2)
	v_cmpx_ne_u32_e32 0x7f, v26
	s_cbranch_execz .LBB238_379
; %bb.376:                              ;   in Loop: Header=BB238_274 Depth=1
	v_dual_lshrrev_b32 v25, 3, v26 :: v_dual_bitop2_b32 v23, 7, v21 bitop3:0x40
	s_mov_b32 s36, exec_lo
	v_cmpx_gt_u32_e32 8, v26
; %bb.377:                              ;   in Loop: Header=BB238_274 Depth=1
	s_delay_alu instid0(VALU_DEP_2) | instskip(NEXT) | instid1(VALU_DEP_1)
	v_clz_i32_u32_e32 v23, v23
	v_min_u32_e32 v23, 32, v23
	s_delay_alu instid0(VALU_DEP_1) | instskip(NEXT) | instid1(VALU_DEP_1)
	v_subrev_nc_u32_e32 v25, 28, v23
	v_lshlrev_b64_e32 v[32:33], v25, v[8:9]
	s_delay_alu instid0(VALU_DEP_1)
	v_dual_sub_nc_u32 v25, 29, v23 :: v_dual_bitop2_b32 v23, 7, v32 bitop3:0x40
; %bb.378:                              ;   in Loop: Header=BB238_274 Depth=1
	s_or_b32 exec_lo, exec_lo, s36
	s_delay_alu instid0(VALU_DEP_1) | instskip(NEXT) | instid1(VALU_DEP_2)
	v_dual_lshlrev_b32 v26, 8, v21 :: v_dual_lshlrev_b32 v23, 7, v23
	v_lshl_add_u32 v25, v25, 10, 0x2000
	s_delay_alu instid0(VALU_DEP_2) | instskip(NEXT) | instid1(VALU_DEP_2)
	v_and_b32_e32 v26, 0x8000, v26
	v_and_b32_e32 v25, 0xfc00, v25
	s_delay_alu instid0(VALU_DEP_1)
	v_or3_b32 v23, v26, v25, v23
.LBB238_379:                            ;   in Loop: Header=BB238_274 Depth=1
	s_or_b32 exec_lo, exec_lo, s25
.LBB238_380:                            ;   in Loop: Header=BB238_274 Depth=1
	s_delay_alu instid0(SALU_CYCLE_1)
	s_or_b32 exec_lo, exec_lo, s24
.LBB238_381:                            ;   in Loop: Header=BB238_274 Depth=1
	s_delay_alu instid0(SALU_CYCLE_1) | instskip(SKIP_3) | instid1(VALU_DEP_2)
	s_or_b32 exec_lo, exec_lo, s23
	v_lshrrev_b16 v8, 8, v8
	v_mov_b32_e32 v25, 0
	s_mov_b32 s23, exec_lo
	v_cmpx_ne_u16_e32 0, v8
	s_cbranch_execz .LBB238_389
; %bb.382:                              ;   in Loop: Header=BB238_274 Depth=1
	v_bfrev_b32_e32 v25, 1
	s_mov_b32 s24, exec_lo
	v_cmpx_ne_u16_e32 0x80, v8
	s_cbranch_execz .LBB238_388
; %bb.383:                              ;   in Loop: Header=BB238_274 Depth=1
	v_and_b32_e32 v26, 0xffff, v8
	v_mov_b32_e32 v25, 0x7c010000
	s_mov_b32 s25, exec_lo
	s_delay_alu instid0(VALU_DEP_2) | instskip(NEXT) | instid1(VALU_DEP_1)
	v_and_b32_e32 v33, 0x7f, v26
	v_cmpx_ne_u32_e32 0x7f, v33
	s_cbranch_execz .LBB238_387
; %bb.384:                              ;   in Loop: Header=BB238_274 Depth=1
	v_dual_lshrrev_b32 v32, 3, v33 :: v_dual_bitop2_b32 v25, 7, v26 bitop3:0x40
	s_mov_b32 s36, exec_lo
	v_cmpx_gt_u32_e32 8, v33
; %bb.385:                              ;   in Loop: Header=BB238_274 Depth=1
	s_delay_alu instid0(VALU_DEP_2) | instskip(NEXT) | instid1(VALU_DEP_1)
	v_clz_i32_u32_e32 v25, v25
	v_min_u32_e32 v25, 32, v25
	s_delay_alu instid0(VALU_DEP_1) | instskip(NEXT) | instid1(VALU_DEP_1)
	v_subrev_nc_u32_e32 v32, 28, v25
	v_lshlrev_b64_e32 v[42:43], v32, v[8:9]
	s_delay_alu instid0(VALU_DEP_1)
	v_dual_sub_nc_u32 v32, 29, v25 :: v_dual_bitop2_b32 v25, 7, v42 bitop3:0x40
; %bb.386:                              ;   in Loop: Header=BB238_274 Depth=1
	s_or_b32 exec_lo, exec_lo, s36
	s_delay_alu instid0(VALU_DEP_1) | instskip(NEXT) | instid1(VALU_DEP_2)
	v_dual_lshlrev_b32 v8, 8, v26 :: v_dual_lshlrev_b32 v25, 23, v25
	v_lshl_add_u32 v26, v32, 10, 0x2000
	s_delay_alu instid0(VALU_DEP_1) | instskip(NEXT) | instid1(VALU_DEP_1)
	v_and_or_b32 v8, 0x8000, v8, v26
	v_lshl_or_b32 v25, v8, 16, v25
.LBB238_387:                            ;   in Loop: Header=BB238_274 Depth=1
	s_or_b32 exec_lo, exec_lo, s25
.LBB238_388:                            ;   in Loop: Header=BB238_274 Depth=1
	s_delay_alu instid0(SALU_CYCLE_1)
	s_or_b32 exec_lo, exec_lo, s24
.LBB238_389:                            ;   in Loop: Header=BB238_274 Depth=1
	s_delay_alu instid0(SALU_CYCLE_1) | instskip(SKIP_2) | instid1(VALU_DEP_1)
	s_or_b32 exec_lo, exec_lo, s23
	v_lshrrev_b32_e32 v8, 16, v21
	s_mov_b32 s23, exec_lo
	v_and_b32_e32 v26, 0xff, v8
	s_delay_alu instid0(VALU_DEP_1)
	v_cmpx_ne_u16_e32 0, v26
	s_cbranch_execz .LBB238_397
; %bb.390:                              ;   in Loop: Header=BB238_274 Depth=1
	v_mov_b32_e32 v24, 0x8000
	s_mov_b32 s24, exec_lo
	v_cmpx_ne_u16_e32 0x80, v26
	s_cbranch_execz .LBB238_396
; %bb.391:                              ;   in Loop: Header=BB238_274 Depth=1
	v_bfe_u32 v32, v21, 16, 7
	v_mov_b32_e32 v24, 0x7c01
	s_mov_b32 s25, exec_lo
	s_delay_alu instid0(VALU_DEP_2)
	v_cmpx_ne_u32_e32 0x7f, v32
	s_cbranch_execz .LBB238_395
; %bb.392:                              ;   in Loop: Header=BB238_274 Depth=1
	v_and_b32_e32 v24, 7, v8
	v_lshrrev_b32_e32 v26, 3, v32
	s_mov_b32 s36, exec_lo
	v_cmpx_gt_u32_e32 8, v32
; %bb.393:                              ;   in Loop: Header=BB238_274 Depth=1
	s_delay_alu instid0(VALU_DEP_3) | instskip(NEXT) | instid1(VALU_DEP_1)
	v_clz_i32_u32_e32 v24, v24
	v_min_u32_e32 v24, 32, v24
	s_delay_alu instid0(VALU_DEP_1) | instskip(NEXT) | instid1(VALU_DEP_1)
	v_subrev_nc_u32_e32 v26, 28, v24
	v_lshlrev_b64_e32 v[32:33], v26, v[8:9]
	v_sub_nc_u32_e32 v26, 29, v24
	s_delay_alu instid0(VALU_DEP_2)
	v_and_b32_e32 v24, 7, v32
; %bb.394:                              ;   in Loop: Header=BB238_274 Depth=1
	s_or_b32 exec_lo, exec_lo, s36
	v_lshlrev_b32_e32 v8, 8, v8
	s_delay_alu instid0(VALU_DEP_3) | instskip(NEXT) | instid1(VALU_DEP_3)
	v_lshl_add_u32 v26, v26, 10, 0x2000
	v_lshlrev_b32_e32 v24, 7, v24
	s_delay_alu instid0(VALU_DEP_3) | instskip(NEXT) | instid1(VALU_DEP_3)
	v_and_b32_e32 v8, 0x8000, v8
	v_and_b32_e32 v26, 0xfc00, v26
	s_delay_alu instid0(VALU_DEP_1)
	v_or3_b32 v24, v8, v26, v24
.LBB238_395:                            ;   in Loop: Header=BB238_274 Depth=1
	s_or_b32 exec_lo, exec_lo, s25
.LBB238_396:                            ;   in Loop: Header=BB238_274 Depth=1
	s_delay_alu instid0(SALU_CYCLE_1)
	s_or_b32 exec_lo, exec_lo, s24
.LBB238_397:                            ;   in Loop: Header=BB238_274 Depth=1
	s_delay_alu instid0(SALU_CYCLE_1)
	s_or_b32 exec_lo, exec_lo, s23
	v_cmp_lt_u64_e64 s1, s[12:13], v[20:21]
	v_mov_b32_e32 v20, 0
	s_and_saveexec_b32 s23, s1
	s_cbranch_execz .LBB238_405
; %bb.398:                              ;   in Loop: Header=BB238_274 Depth=1
	v_lshrrev_b32_e32 v8, 24, v21
	v_bfrev_b32_e32 v20, 1
	s_mov_b32 s24, exec_lo
	s_delay_alu instid0(VALU_DEP_2)
	v_cmpx_ne_u32_e32 0x80, v8
	s_cbranch_execz .LBB238_404
; %bb.399:                              ;   in Loop: Header=BB238_274 Depth=1
	v_and_b32_e32 v26, 0x7f, v8
	v_mov_b32_e32 v20, 0x7c010000
	s_mov_b32 s25, exec_lo
	s_delay_alu instid0(VALU_DEP_2)
	v_cmpx_ne_u32_e32 0x7f, v26
	s_cbranch_execz .LBB238_403
; %bb.400:                              ;   in Loop: Header=BB238_274 Depth=1
	v_dual_lshrrev_b32 v21, 3, v26 :: v_dual_bitop2_b32 v20, 7, v8 bitop3:0x40
	s_mov_b32 s36, exec_lo
	v_cmpx_gt_u32_e32 8, v26
; %bb.401:                              ;   in Loop: Header=BB238_274 Depth=1
	s_delay_alu instid0(VALU_DEP_2) | instskip(NEXT) | instid1(VALU_DEP_1)
	v_clz_i32_u32_e32 v20, v20
	v_min_u32_e32 v26, 32, v20
	s_delay_alu instid0(VALU_DEP_1) | instskip(NEXT) | instid1(VALU_DEP_1)
	v_subrev_nc_u32_e32 v20, 28, v26
	v_lshlrev_b64_e32 v[20:21], v20, v[8:9]
	s_delay_alu instid0(VALU_DEP_1)
	v_dual_sub_nc_u32 v21, 29, v26 :: v_dual_bitop2_b32 v20, 7, v20 bitop3:0x40
; %bb.402:                              ;   in Loop: Header=BB238_274 Depth=1
	s_or_b32 exec_lo, exec_lo, s36
	v_lshlrev_b32_e32 v8, 8, v8
	s_delay_alu instid0(VALU_DEP_2) | instskip(NEXT) | instid1(VALU_DEP_3)
	v_lshl_add_u32 v21, v21, 10, 0x2000
	v_lshlrev_b32_e32 v20, 23, v20
	s_delay_alu instid0(VALU_DEP_2) | instskip(NEXT) | instid1(VALU_DEP_1)
	v_and_or_b32 v8, 0x8000, v8, v21
	v_lshl_or_b32 v20, v8, 16, v20
.LBB238_403:                            ;   in Loop: Header=BB238_274 Depth=1
	s_or_b32 exec_lo, exec_lo, s25
.LBB238_404:                            ;   in Loop: Header=BB238_274 Depth=1
	s_delay_alu instid0(SALU_CYCLE_1)
	s_or_b32 exec_lo, exec_lo, s24
.LBB238_405:                            ;   in Loop: Header=BB238_274 Depth=1
	s_delay_alu instid0(SALU_CYCLE_1) | instskip(SKIP_3) | instid1(VALU_DEP_3)
	s_or_b32 exec_lo, exec_lo, s23
	v_dual_lshrrev_b32 v8, 16, v1 :: v_dual_lshrrev_b32 v21, 16, v19
	v_or_b32_e32 v1, v1, v3
	v_dual_lshrrev_b32 v22, 16, v20 :: v_dual_bitop2_b32 v3, v19, v22 bitop3:0x54
	v_cvt_f32_f16_e32 v33, v8
	s_delay_alu instid0(VALU_DEP_4) | instskip(SKIP_4) | instid1(VALU_DEP_3)
	v_cvt_f32_f16_e32 v32, v21
	v_lshrrev_b32_e32 v19, 16, v25
	v_cvt_f32_f16_e32 v21, v1
	v_cvt_f32_f16_e32 v22, v22
	s_wait_loadcnt 0x0
	v_pk_mul_f32 v[32:33], v[18:19], v[32:33] op_sel_hi:[0,1]
	s_delay_alu instid0(VALU_DEP_1) | instskip(SKIP_4) | instid1(VALU_DEP_4)
	v_cvt_pk_f16_f32 v1, v32, v33
	v_or_b32_e32 v8, v20, v24
	v_cvt_f32_f16_e32 v20, v3
	v_or_b32_e32 v3, v25, v23
	v_cvt_f32_f16_e32 v23, v19
	v_cvt_f32_f16_e32 v24, v8
	s_delay_alu instid0(VALU_DEP_4) | instskip(NEXT) | instid1(VALU_DEP_4)
	v_pk_mul_f32 v[20:21], v[18:19], v[20:21] op_sel_hi:[0,1]
	v_cvt_f32_f16_e32 v25, v3
	s_delay_alu instid0(VALU_DEP_4) | instskip(NEXT) | instid1(VALU_DEP_3)
	v_pk_mul_f32 v[22:23], v[18:19], v[22:23] op_sel_hi:[0,1]
	v_cvt_pk_f16_f32 v3, v20, v21
	s_delay_alu instid0(VALU_DEP_3) | instskip(NEXT) | instid1(VALU_DEP_3)
	v_pk_mul_f32 v[24:25], v[18:19], v[24:25] op_sel_hi:[0,1]
	v_cvt_pk_f16_f32 v8, v22, v23
	v_and_b32_e32 v19, 0xffff0000, v1
	v_lshlrev_b32_e32 v18, 16, v1
	v_and_b32_e32 v22, 0xffff, v3
	v_cvt_pk_f16_f32 v20, v24, v25
	v_lshrrev_b32_e32 v21, 16, v3
	v_and_b32_e32 v1, 0xffff0000, v8
	s_delay_alu instid0(VALU_DEP_4) | instskip(NEXT) | instid1(VALU_DEP_4)
	v_dual_lshlrev_b32 v8, 16, v8 :: v_dual_bitop2_b32 v26, v18, v22 bitop3:0x54
	v_lshrrev_b32_e32 v3, 16, v20
	v_and_b32_e32 v20, 0xffff, v20
	v_or_b32_e32 v25, v19, v21
	s_delay_alu instid0(VALU_DEP_3) | instskip(NEXT) | instid1(VALU_DEP_3)
	v_or_b32_e32 v23, v1, v3
	v_or_b32_e32 v24, v8, v20
	s_and_saveexec_b32 s23, s0
	s_cbranch_execz .LBB238_407
; %bb.406:                              ;   in Loop: Header=BB238_274 Depth=1
	v_dual_add_nc_u32 v23, 2, v2 :: v_dual_bitop2_b32 v24, 1, v2 bitop3:0x54
	v_cmp_gt_i32_e64 s1, s18, v2
	v_or_b32_e32 v25, 3, v2
	s_delay_alu instid0(VALU_DEP_2) | instskip(NEXT) | instid1(VALU_DEP_4)
	v_dual_cndmask_b32 v21, 0, v21, s1 :: v_dual_bitop2_b32 v26, 7, v2 bitop3:0x54
	v_cmp_gt_i32_e64 s1, s34, v23
	v_or_b32_e32 v23, 4, v2
	s_delay_alu instid0(VALU_DEP_2) | instskip(SKIP_1) | instid1(VALU_DEP_1)
	v_cndmask_b32_e64 v22, 0, v22, s1
	v_cmp_gt_i32_e64 s1, s18, v24
	v_dual_cndmask_b32 v19, 0, v19, s1 :: v_dual_bitop2_b32 v24, 6, v2 bitop3:0x54
	v_cmp_gt_i32_e64 s1, s34, v25
	v_or_b32_e32 v25, 5, v2
	s_delay_alu instid0(VALU_DEP_2) | instskip(SKIP_1) | instid1(VALU_DEP_1)
	v_cndmask_b32_e64 v18, 0, v18, s1
	v_cmp_gt_i32_e64 s1, s18, v23
	v_cndmask_b32_e64 v3, 0, v3, s1
	v_cmp_gt_i32_e64 s1, s34, v24
	s_delay_alu instid0(VALU_DEP_1) | instskip(SKIP_2) | instid1(VALU_DEP_2)
	v_cndmask_b32_e64 v20, 0, v20, s1
	v_cmp_gt_i32_e64 s1, s18, v25
	v_or_b32_e32 v25, v19, v21
	v_cndmask_b32_e64 v1, 0, v1, s1
	v_cmp_gt_i32_e64 s1, s34, v26
	v_or_b32_e32 v26, v18, v22
	s_delay_alu instid0(VALU_DEP_2) | instskip(NEXT) | instid1(VALU_DEP_1)
	v_dual_cndmask_b32 v8, 0, v8, s1 :: v_dual_bitop2_b32 v23, v1, v3 bitop3:0x54
	v_or_b32_e32 v24, v8, v20
.LBB238_407:                            ;   in Loop: Header=BB238_274 Depth=1
	s_or_b32 exec_lo, exec_lo, s23
	;;#ASMSTART
	v_pk_mul_f16 v1, v41, v25;

	;;#ASMEND
	;;#ASMSTART
	v_pk_mul_f16 v3, v40, v26;

	;;#ASMEND
	;; [unrolled: 4-line block ×4, first 2 shown]
	;;#ASMSTART
	v_pk_add_f16 v1, v1, v3;

	;;#ASMEND
	;;#ASMSTART
	v_pk_add_f16 v1, v1, v8;

	;;#ASMEND
	;; [unrolled: 4-line block ×3, first 2 shown]
	v_and_b32_e32 v3, 0xffff, v1
	v_lshrrev_b32_e32 v1, 16, v1
	;;#ASMSTART
	v_cvt_f32_f16 v32, v3;
	;;#ASMEND
	v_mov_b32_e32 v3, 0
	;;#ASMSTART
	v_cvt_f32_f16 v33, v1;
	;;#ASMEND
	global_load_b64 v[18:19], v[16:17], off offset:512
	v_mov_b32_e32 v1, 0
	s_mov_b32 s23, exec_lo
	global_load_b32 v16, v1, s[10:11]
	s_wait_loadcnt 0x1
	v_and_b32_e32 v8, 0xff, v18
	s_wait_xcnt 0x0
	s_delay_alu instid0(VALU_DEP_1)
	v_cmpx_ne_u16_e32 0, v8
	s_cbranch_execz .LBB238_415
; %bb.408:                              ;   in Loop: Header=BB238_274 Depth=1
	v_mov_b32_e32 v3, 0x8000
	s_mov_b32 s24, exec_lo
	v_cmpx_ne_u16_e32 0x80, v8
	s_cbranch_execz .LBB238_414
; %bb.409:                              ;   in Loop: Header=BB238_274 Depth=1
	v_and_b32_e32 v17, 0x7f, v18
	v_mov_b32_e32 v3, 0x7c01
	s_mov_b32 s25, exec_lo
	s_delay_alu instid0(VALU_DEP_2)
	v_cmpx_ne_u32_e32 0x7f, v17
	s_cbranch_execz .LBB238_413
; %bb.410:                              ;   in Loop: Header=BB238_274 Depth=1
	v_dual_lshrrev_b32 v8, 3, v17 :: v_dual_bitop2_b32 v3, 7, v18 bitop3:0x40
	s_mov_b32 s36, exec_lo
	v_cmpx_gt_u32_e32 8, v17
; %bb.411:                              ;   in Loop: Header=BB238_274 Depth=1
	s_delay_alu instid0(VALU_DEP_2) | instskip(NEXT) | instid1(VALU_DEP_1)
	v_clz_i32_u32_e32 v3, v3
	v_min_u32_e32 v3, 32, v3
	s_delay_alu instid0(VALU_DEP_1) | instskip(NEXT) | instid1(VALU_DEP_1)
	v_subrev_nc_u32_e32 v8, 28, v3
	v_lshlrev_b64_e32 v[20:21], v8, v[18:19]
	s_delay_alu instid0(VALU_DEP_1)
	v_dual_sub_nc_u32 v8, 29, v3 :: v_dual_bitop2_b32 v3, 7, v20 bitop3:0x40
; %bb.412:                              ;   in Loop: Header=BB238_274 Depth=1
	s_or_b32 exec_lo, exec_lo, s36
	s_delay_alu instid0(VALU_DEP_1) | instskip(NEXT) | instid1(VALU_DEP_2)
	v_dual_lshlrev_b32 v17, 8, v18 :: v_dual_lshlrev_b32 v3, 7, v3
	v_lshl_add_u32 v8, v8, 10, 0x2000
	s_delay_alu instid0(VALU_DEP_2) | instskip(NEXT) | instid1(VALU_DEP_2)
	v_and_b32_e32 v17, 0x8000, v17
	v_and_b32_e32 v8, 0xfc00, v8
	s_delay_alu instid0(VALU_DEP_1)
	v_or3_b32 v3, v17, v8, v3
.LBB238_413:                            ;   in Loop: Header=BB238_274 Depth=1
	s_or_b32 exec_lo, exec_lo, s25
.LBB238_414:                            ;   in Loop: Header=BB238_274 Depth=1
	s_delay_alu instid0(SALU_CYCLE_1)
	s_or_b32 exec_lo, exec_lo, s24
.LBB238_415:                            ;   in Loop: Header=BB238_274 Depth=1
	s_delay_alu instid0(SALU_CYCLE_1) | instskip(SKIP_2) | instid1(VALU_DEP_1)
	s_or_b32 exec_lo, exec_lo, s23
	v_lshrrev_b16 v8, 8, v18
	s_mov_b32 s23, exec_lo
	v_cmpx_ne_u16_e32 0, v8
	s_cbranch_execz .LBB238_423
; %bb.416:                              ;   in Loop: Header=BB238_274 Depth=1
	v_bfrev_b32_e32 v1, 1
	s_mov_b32 s24, exec_lo
	v_cmpx_ne_u16_e32 0x80, v8
	s_cbranch_execz .LBB238_422
; %bb.417:                              ;   in Loop: Header=BB238_274 Depth=1
	v_and_b32_e32 v17, 0xffff, v8
	v_mov_b32_e32 v1, 0x7c010000
	s_mov_b32 s25, exec_lo
	s_delay_alu instid0(VALU_DEP_2) | instskip(NEXT) | instid1(VALU_DEP_1)
	v_and_b32_e32 v21, 0x7f, v17
	v_cmpx_ne_u32_e32 0x7f, v21
	s_cbranch_execz .LBB238_421
; %bb.418:                              ;   in Loop: Header=BB238_274 Depth=1
	v_and_b32_e32 v1, 7, v17
	v_lshrrev_b32_e32 v20, 3, v21
	s_mov_b32 s36, exec_lo
	v_cmpx_gt_u32_e32 8, v21
; %bb.419:                              ;   in Loop: Header=BB238_274 Depth=1
	s_delay_alu instid0(VALU_DEP_3) | instskip(NEXT) | instid1(VALU_DEP_1)
	v_clz_i32_u32_e32 v1, v1
	v_min_u32_e32 v1, 32, v1
	s_delay_alu instid0(VALU_DEP_1) | instskip(NEXT) | instid1(VALU_DEP_1)
	v_subrev_nc_u32_e32 v20, 28, v1
	v_lshlrev_b64_e32 v[22:23], v20, v[8:9]
	s_delay_alu instid0(VALU_DEP_1)
	v_dual_sub_nc_u32 v20, 29, v1 :: v_dual_bitop2_b32 v1, 7, v22 bitop3:0x40
; %bb.420:                              ;   in Loop: Header=BB238_274 Depth=1
	s_or_b32 exec_lo, exec_lo, s36
	v_lshlrev_b32_e32 v8, 8, v17
	s_delay_alu instid0(VALU_DEP_2) | instskip(NEXT) | instid1(VALU_DEP_3)
	v_lshl_add_u32 v17, v20, 10, 0x2000
	v_lshlrev_b32_e32 v1, 23, v1
	s_delay_alu instid0(VALU_DEP_2) | instskip(NEXT) | instid1(VALU_DEP_1)
	v_and_or_b32 v8, 0x8000, v8, v17
	v_lshl_or_b32 v1, v8, 16, v1
.LBB238_421:                            ;   in Loop: Header=BB238_274 Depth=1
	s_or_b32 exec_lo, exec_lo, s25
.LBB238_422:                            ;   in Loop: Header=BB238_274 Depth=1
	s_delay_alu instid0(SALU_CYCLE_1)
	s_or_b32 exec_lo, exec_lo, s24
.LBB238_423:                            ;   in Loop: Header=BB238_274 Depth=1
	s_delay_alu instid0(SALU_CYCLE_1) | instskip(SKIP_3) | instid1(VALU_DEP_2)
	s_or_b32 exec_lo, exec_lo, s23
	v_dual_mov_b32 v17, 0 :: v_dual_lshrrev_b32 v8, 16, v18
	v_mov_b32_e32 v20, 0
	s_mov_b32 s23, exec_lo
	v_and_b32_e32 v21, 0xff, v8
	s_delay_alu instid0(VALU_DEP_1)
	v_cmpx_ne_u16_e32 0, v21
	s_cbranch_execz .LBB238_431
; %bb.424:                              ;   in Loop: Header=BB238_274 Depth=1
	v_mov_b32_e32 v20, 0x8000
	s_mov_b32 s24, exec_lo
	v_cmpx_ne_u16_e32 0x80, v21
	s_cbranch_execz .LBB238_430
; %bb.425:                              ;   in Loop: Header=BB238_274 Depth=1
	v_bfe_u32 v22, v18, 16, 7
	v_mov_b32_e32 v20, 0x7c01
	s_mov_b32 s25, exec_lo
	s_delay_alu instid0(VALU_DEP_2)
	v_cmpx_ne_u32_e32 0x7f, v22
	s_cbranch_execz .LBB238_429
; %bb.426:                              ;   in Loop: Header=BB238_274 Depth=1
	v_dual_lshrrev_b32 v21, 3, v22 :: v_dual_bitop2_b32 v20, 7, v8 bitop3:0x40
	s_mov_b32 s36, exec_lo
	v_cmpx_gt_u32_e32 8, v22
; %bb.427:                              ;   in Loop: Header=BB238_274 Depth=1
	s_delay_alu instid0(VALU_DEP_2) | instskip(NEXT) | instid1(VALU_DEP_1)
	v_clz_i32_u32_e32 v20, v20
	v_min_u32_e32 v22, 32, v20
	s_delay_alu instid0(VALU_DEP_1) | instskip(NEXT) | instid1(VALU_DEP_1)
	v_subrev_nc_u32_e32 v20, 28, v22
	v_lshlrev_b64_e32 v[20:21], v20, v[8:9]
	s_delay_alu instid0(VALU_DEP_1)
	v_dual_sub_nc_u32 v21, 29, v22 :: v_dual_bitop2_b32 v20, 7, v20 bitop3:0x40
; %bb.428:                              ;   in Loop: Header=BB238_274 Depth=1
	s_or_b32 exec_lo, exec_lo, s36
	v_lshlrev_b32_e32 v8, 8, v8
	s_delay_alu instid0(VALU_DEP_2) | instskip(NEXT) | instid1(VALU_DEP_3)
	v_lshl_add_u32 v21, v21, 10, 0x2000
	v_lshlrev_b32_e32 v20, 7, v20
	s_delay_alu instid0(VALU_DEP_3) | instskip(NEXT) | instid1(VALU_DEP_3)
	v_and_b32_e32 v8, 0x8000, v8
	v_and_b32_e32 v21, 0xfc00, v21
	s_delay_alu instid0(VALU_DEP_1)
	v_or3_b32 v20, v8, v21, v20
.LBB238_429:                            ;   in Loop: Header=BB238_274 Depth=1
	s_or_b32 exec_lo, exec_lo, s25
.LBB238_430:                            ;   in Loop: Header=BB238_274 Depth=1
	s_delay_alu instid0(SALU_CYCLE_1)
	s_or_b32 exec_lo, exec_lo, s24
.LBB238_431:                            ;   in Loop: Header=BB238_274 Depth=1
	s_delay_alu instid0(SALU_CYCLE_1) | instskip(NEXT) | instid1(SALU_CYCLE_1)
	s_or_b32 exec_lo, exec_lo, s23
	s_mov_b32 s23, exec_lo
	v_cmpx_lt_u32_e32 0xffffff, v18
	s_cbranch_execz .LBB238_439
; %bb.432:                              ;   in Loop: Header=BB238_274 Depth=1
	v_lshrrev_b32_e32 v8, 24, v18
	v_bfrev_b32_e32 v17, 1
	s_mov_b32 s24, exec_lo
	s_delay_alu instid0(VALU_DEP_2)
	v_cmpx_ne_u32_e32 0x80, v8
	s_cbranch_execz .LBB238_438
; %bb.433:                              ;   in Loop: Header=BB238_274 Depth=1
	v_and_b32_e32 v22, 0x7f, v8
	v_mov_b32_e32 v17, 0x7c010000
	s_mov_b32 s25, exec_lo
	s_delay_alu instid0(VALU_DEP_2)
	v_cmpx_ne_u32_e32 0x7f, v22
	s_cbranch_execz .LBB238_437
; %bb.434:                              ;   in Loop: Header=BB238_274 Depth=1
	v_dual_lshrrev_b32 v21, 3, v22 :: v_dual_bitop2_b32 v17, 7, v8 bitop3:0x40
	s_mov_b32 s36, exec_lo
	v_cmpx_gt_u32_e32 8, v22
; %bb.435:                              ;   in Loop: Header=BB238_274 Depth=1
	s_delay_alu instid0(VALU_DEP_2) | instskip(NEXT) | instid1(VALU_DEP_1)
	v_clz_i32_u32_e32 v17, v17
	v_min_u32_e32 v17, 32, v17
	s_delay_alu instid0(VALU_DEP_1) | instskip(NEXT) | instid1(VALU_DEP_1)
	v_subrev_nc_u32_e32 v21, 28, v17
	v_lshlrev_b64_e32 v[22:23], v21, v[8:9]
	s_delay_alu instid0(VALU_DEP_1)
	v_dual_sub_nc_u32 v21, 29, v17 :: v_dual_bitop2_b32 v17, 7, v22 bitop3:0x40
; %bb.436:                              ;   in Loop: Header=BB238_274 Depth=1
	s_or_b32 exec_lo, exec_lo, s36
	s_delay_alu instid0(VALU_DEP_1) | instskip(NEXT) | instid1(VALU_DEP_2)
	v_dual_lshlrev_b32 v8, 8, v8 :: v_dual_lshlrev_b32 v17, 23, v17
	v_lshl_add_u32 v21, v21, 10, 0x2000
	s_delay_alu instid0(VALU_DEP_1) | instskip(NEXT) | instid1(VALU_DEP_1)
	v_and_or_b32 v8, 0x8000, v8, v21
	v_lshl_or_b32 v17, v8, 16, v17
.LBB238_437:                            ;   in Loop: Header=BB238_274 Depth=1
	s_or_b32 exec_lo, exec_lo, s25
.LBB238_438:                            ;   in Loop: Header=BB238_274 Depth=1
	s_delay_alu instid0(SALU_CYCLE_1)
	s_or_b32 exec_lo, exec_lo, s24
.LBB238_439:                            ;   in Loop: Header=BB238_274 Depth=1
	s_delay_alu instid0(SALU_CYCLE_1) | instskip(SKIP_4) | instid1(VALU_DEP_3)
	s_or_b32 exec_lo, exec_lo, s23
	v_and_b32_e32 v23, 0xff, v19
	v_dual_mov_b32 v8, v19 :: v_dual_mov_b32 v22, 0
	v_mov_b32_e32 v21, 0
	s_mov_b32 s23, exec_lo
	v_cmpx_ne_u16_e32 0, v23
	s_cbranch_execz .LBB238_447
; %bb.440:                              ;   in Loop: Header=BB238_274 Depth=1
	v_mov_b32_e32 v21, 0x8000
	s_mov_b32 s24, exec_lo
	v_cmpx_ne_u16_e32 0x80, v23
	s_cbranch_execz .LBB238_446
; %bb.441:                              ;   in Loop: Header=BB238_274 Depth=1
	v_and_b32_e32 v24, 0x7f, v19
	v_mov_b32_e32 v21, 0x7c01
	s_mov_b32 s25, exec_lo
	s_delay_alu instid0(VALU_DEP_2)
	v_cmpx_ne_u32_e32 0x7f, v24
	s_cbranch_execz .LBB238_445
; %bb.442:                              ;   in Loop: Header=BB238_274 Depth=1
	v_dual_lshrrev_b32 v23, 3, v24 :: v_dual_bitop2_b32 v21, 7, v19 bitop3:0x40
	s_mov_b32 s36, exec_lo
	v_cmpx_gt_u32_e32 8, v24
; %bb.443:                              ;   in Loop: Header=BB238_274 Depth=1
	s_delay_alu instid0(VALU_DEP_2) | instskip(NEXT) | instid1(VALU_DEP_1)
	v_clz_i32_u32_e32 v21, v21
	v_min_u32_e32 v21, 32, v21
	s_delay_alu instid0(VALU_DEP_1) | instskip(NEXT) | instid1(VALU_DEP_1)
	v_subrev_nc_u32_e32 v23, 28, v21
	v_lshlrev_b64_e32 v[24:25], v23, v[8:9]
	s_delay_alu instid0(VALU_DEP_1)
	v_dual_sub_nc_u32 v23, 29, v21 :: v_dual_bitop2_b32 v21, 7, v24 bitop3:0x40
; %bb.444:                              ;   in Loop: Header=BB238_274 Depth=1
	s_or_b32 exec_lo, exec_lo, s36
	s_delay_alu instid0(VALU_DEP_1) | instskip(NEXT) | instid1(VALU_DEP_2)
	v_dual_lshlrev_b32 v24, 8, v19 :: v_dual_lshlrev_b32 v21, 7, v21
	v_lshl_add_u32 v23, v23, 10, 0x2000
	s_delay_alu instid0(VALU_DEP_2) | instskip(NEXT) | instid1(VALU_DEP_2)
	v_and_b32_e32 v24, 0x8000, v24
	v_and_b32_e32 v23, 0xfc00, v23
	s_delay_alu instid0(VALU_DEP_1)
	v_or3_b32 v21, v24, v23, v21
.LBB238_445:                            ;   in Loop: Header=BB238_274 Depth=1
	s_or_b32 exec_lo, exec_lo, s25
.LBB238_446:                            ;   in Loop: Header=BB238_274 Depth=1
	s_delay_alu instid0(SALU_CYCLE_1)
	s_or_b32 exec_lo, exec_lo, s24
.LBB238_447:                            ;   in Loop: Header=BB238_274 Depth=1
	s_delay_alu instid0(SALU_CYCLE_1) | instskip(SKIP_3) | instid1(VALU_DEP_2)
	s_or_b32 exec_lo, exec_lo, s23
	v_lshrrev_b16 v8, 8, v8
	v_mov_b32_e32 v23, 0
	s_mov_b32 s23, exec_lo
	v_cmpx_ne_u16_e32 0, v8
	s_cbranch_execz .LBB238_455
; %bb.448:                              ;   in Loop: Header=BB238_274 Depth=1
	v_bfrev_b32_e32 v23, 1
	s_mov_b32 s24, exec_lo
	v_cmpx_ne_u16_e32 0x80, v8
	s_cbranch_execz .LBB238_454
; %bb.449:                              ;   in Loop: Header=BB238_274 Depth=1
	v_and_b32_e32 v24, 0xffff, v8
	v_mov_b32_e32 v23, 0x7c010000
	s_mov_b32 s25, exec_lo
	s_delay_alu instid0(VALU_DEP_2) | instskip(NEXT) | instid1(VALU_DEP_1)
	v_and_b32_e32 v26, 0x7f, v24
	v_cmpx_ne_u32_e32 0x7f, v26
	s_cbranch_execz .LBB238_453
; %bb.450:                              ;   in Loop: Header=BB238_274 Depth=1
	v_dual_lshrrev_b32 v25, 3, v26 :: v_dual_bitop2_b32 v23, 7, v24 bitop3:0x40
	s_mov_b32 s36, exec_lo
	v_cmpx_gt_u32_e32 8, v26
; %bb.451:                              ;   in Loop: Header=BB238_274 Depth=1
	s_delay_alu instid0(VALU_DEP_2) | instskip(NEXT) | instid1(VALU_DEP_1)
	v_clz_i32_u32_e32 v23, v23
	v_min_u32_e32 v23, 32, v23
	s_delay_alu instid0(VALU_DEP_1) | instskip(NEXT) | instid1(VALU_DEP_1)
	v_subrev_nc_u32_e32 v25, 28, v23
	v_lshlrev_b64_e32 v[42:43], v25, v[8:9]
	s_delay_alu instid0(VALU_DEP_1)
	v_dual_sub_nc_u32 v25, 29, v23 :: v_dual_bitop2_b32 v23, 7, v42 bitop3:0x40
; %bb.452:                              ;   in Loop: Header=BB238_274 Depth=1
	s_or_b32 exec_lo, exec_lo, s36
	s_delay_alu instid0(VALU_DEP_1) | instskip(NEXT) | instid1(VALU_DEP_2)
	v_dual_lshlrev_b32 v8, 8, v24 :: v_dual_lshlrev_b32 v23, 23, v23
	v_lshl_add_u32 v24, v25, 10, 0x2000
	s_delay_alu instid0(VALU_DEP_1) | instskip(NEXT) | instid1(VALU_DEP_1)
	v_and_or_b32 v8, 0x8000, v8, v24
	v_lshl_or_b32 v23, v8, 16, v23
.LBB238_453:                            ;   in Loop: Header=BB238_274 Depth=1
	s_or_b32 exec_lo, exec_lo, s25
.LBB238_454:                            ;   in Loop: Header=BB238_274 Depth=1
	s_delay_alu instid0(SALU_CYCLE_1)
	s_or_b32 exec_lo, exec_lo, s24
.LBB238_455:                            ;   in Loop: Header=BB238_274 Depth=1
	s_delay_alu instid0(SALU_CYCLE_1) | instskip(SKIP_2) | instid1(VALU_DEP_1)
	s_or_b32 exec_lo, exec_lo, s23
	v_lshrrev_b32_e32 v8, 16, v19
	s_mov_b32 s23, exec_lo
	v_and_b32_e32 v24, 0xff, v8
	s_delay_alu instid0(VALU_DEP_1)
	v_cmpx_ne_u16_e32 0, v24
	s_cbranch_execz .LBB238_463
; %bb.456:                              ;   in Loop: Header=BB238_274 Depth=1
	v_mov_b32_e32 v22, 0x8000
	s_mov_b32 s24, exec_lo
	v_cmpx_ne_u16_e32 0x80, v24
	s_cbranch_execz .LBB238_462
; %bb.457:                              ;   in Loop: Header=BB238_274 Depth=1
	v_bfe_u32 v25, v19, 16, 7
	v_mov_b32_e32 v22, 0x7c01
	s_mov_b32 s25, exec_lo
	s_delay_alu instid0(VALU_DEP_2)
	v_cmpx_ne_u32_e32 0x7f, v25
	s_cbranch_execz .LBB238_461
; %bb.458:                              ;   in Loop: Header=BB238_274 Depth=1
	v_dual_lshrrev_b32 v24, 3, v25 :: v_dual_bitop2_b32 v22, 7, v8 bitop3:0x40
	s_mov_b32 s36, exec_lo
	v_cmpx_gt_u32_e32 8, v25
; %bb.459:                              ;   in Loop: Header=BB238_274 Depth=1
	s_delay_alu instid0(VALU_DEP_2) | instskip(NEXT) | instid1(VALU_DEP_1)
	v_clz_i32_u32_e32 v22, v22
	v_min_u32_e32 v22, 32, v22
	s_delay_alu instid0(VALU_DEP_1) | instskip(NEXT) | instid1(VALU_DEP_1)
	v_subrev_nc_u32_e32 v24, 28, v22
	v_lshlrev_b64_e32 v[42:43], v24, v[8:9]
	v_sub_nc_u32_e32 v24, 29, v22
	s_delay_alu instid0(VALU_DEP_2)
	v_and_b32_e32 v22, 7, v42
; %bb.460:                              ;   in Loop: Header=BB238_274 Depth=1
	s_or_b32 exec_lo, exec_lo, s36
	s_delay_alu instid0(VALU_DEP_1) | instskip(NEXT) | instid1(VALU_DEP_3)
	v_dual_lshlrev_b32 v8, 8, v8 :: v_dual_lshlrev_b32 v22, 7, v22
	v_lshl_add_u32 v24, v24, 10, 0x2000
	s_delay_alu instid0(VALU_DEP_2) | instskip(NEXT) | instid1(VALU_DEP_2)
	v_and_b32_e32 v8, 0x8000, v8
	v_and_b32_e32 v24, 0xfc00, v24
	s_delay_alu instid0(VALU_DEP_1)
	v_or3_b32 v22, v8, v24, v22
.LBB238_461:                            ;   in Loop: Header=BB238_274 Depth=1
	s_or_b32 exec_lo, exec_lo, s25
.LBB238_462:                            ;   in Loop: Header=BB238_274 Depth=1
	s_delay_alu instid0(SALU_CYCLE_1)
	s_or_b32 exec_lo, exec_lo, s24
.LBB238_463:                            ;   in Loop: Header=BB238_274 Depth=1
	s_delay_alu instid0(SALU_CYCLE_1)
	s_or_b32 exec_lo, exec_lo, s23
	v_cmp_lt_u64_e64 s1, s[12:13], v[18:19]
	v_mov_b32_e32 v18, 0
	s_and_saveexec_b32 s23, s1
	s_cbranch_execz .LBB238_471
; %bb.464:                              ;   in Loop: Header=BB238_274 Depth=1
	v_lshrrev_b32_e32 v8, 24, v19
	v_bfrev_b32_e32 v18, 1
	s_mov_b32 s24, exec_lo
	s_delay_alu instid0(VALU_DEP_2)
	v_cmpx_ne_u32_e32 0x80, v8
	s_cbranch_execz .LBB238_470
; %bb.465:                              ;   in Loop: Header=BB238_274 Depth=1
	v_and_b32_e32 v24, 0x7f, v8
	v_mov_b32_e32 v18, 0x7c010000
	s_mov_b32 s25, exec_lo
	s_delay_alu instid0(VALU_DEP_2)
	v_cmpx_ne_u32_e32 0x7f, v24
	s_cbranch_execz .LBB238_469
; %bb.466:                              ;   in Loop: Header=BB238_274 Depth=1
	v_and_b32_e32 v18, 7, v8
	v_lshrrev_b32_e32 v19, 3, v24
	s_mov_b32 s36, exec_lo
	v_cmpx_gt_u32_e32 8, v24
; %bb.467:                              ;   in Loop: Header=BB238_274 Depth=1
	s_delay_alu instid0(VALU_DEP_3) | instskip(NEXT) | instid1(VALU_DEP_1)
	v_clz_i32_u32_e32 v18, v18
	v_min_u32_e32 v24, 32, v18
	s_delay_alu instid0(VALU_DEP_1) | instskip(NEXT) | instid1(VALU_DEP_1)
	v_subrev_nc_u32_e32 v18, 28, v24
	v_lshlrev_b64_e32 v[18:19], v18, v[8:9]
	s_delay_alu instid0(VALU_DEP_1)
	v_dual_sub_nc_u32 v19, 29, v24 :: v_dual_bitop2_b32 v18, 7, v18 bitop3:0x40
; %bb.468:                              ;   in Loop: Header=BB238_274 Depth=1
	s_or_b32 exec_lo, exec_lo, s36
	s_delay_alu instid0(VALU_DEP_1) | instskip(NEXT) | instid1(VALU_DEP_2)
	v_dual_lshlrev_b32 v8, 8, v8 :: v_dual_lshlrev_b32 v18, 23, v18
	v_lshl_add_u32 v19, v19, 10, 0x2000
	s_delay_alu instid0(VALU_DEP_1) | instskip(NEXT) | instid1(VALU_DEP_1)
	v_and_or_b32 v8, 0x8000, v8, v19
	v_lshl_or_b32 v18, v8, 16, v18
.LBB238_469:                            ;   in Loop: Header=BB238_274 Depth=1
	s_or_b32 exec_lo, exec_lo, s25
.LBB238_470:                            ;   in Loop: Header=BB238_274 Depth=1
	s_delay_alu instid0(SALU_CYCLE_1)
	s_or_b32 exec_lo, exec_lo, s24
.LBB238_471:                            ;   in Loop: Header=BB238_274 Depth=1
	s_delay_alu instid0(SALU_CYCLE_1) | instskip(SKIP_3) | instid1(VALU_DEP_3)
	s_or_b32 exec_lo, exec_lo, s23
	v_dual_lshrrev_b32 v8, 16, v1 :: v_dual_bitop2_b32 v1, v1, v3 bitop3:0x54
	v_dual_lshrrev_b32 v19, 16, v17 :: v_dual_bitop2_b32 v3, v17, v20 bitop3:0x54
	v_lshrrev_b32_e32 v20, 16, v18
	v_cvt_f32_f16_e32 v25, v8
	v_dual_lshrrev_b32 v17, 16, v23 :: v_dual_bitop2_b32 v8, v18, v22 bitop3:0x54
	s_delay_alu instid0(VALU_DEP_4)
	v_cvt_f32_f16_e32 v18, v3
	v_or_b32_e32 v3, v23, v21
	v_cvt_f32_f16_e32 v24, v19
	v_cvt_f32_f16_e32 v19, v1
	;; [unrolled: 1-line block ×6, first 2 shown]
	s_wait_loadcnt 0x0
	v_pk_mul_f32 v[24:25], v[16:17], v[24:25] op_sel_hi:[0,1]
	v_pk_mul_f32 v[18:19], v[16:17], v[18:19] op_sel_hi:[0,1]
	;; [unrolled: 1-line block ×4, first 2 shown]
	s_delay_alu instid0(VALU_DEP_4) | instskip(NEXT) | instid1(VALU_DEP_4)
	v_cvt_pk_f16_f32 v1, v24, v25
	v_cvt_pk_f16_f32 v3, v18, v19
	s_delay_alu instid0(VALU_DEP_4) | instskip(NEXT) | instid1(VALU_DEP_4)
	v_cvt_pk_f16_f32 v8, v20, v21
	v_cvt_pk_f16_f32 v18, v22, v23
	s_delay_alu instid0(VALU_DEP_4) | instskip(NEXT) | instid1(VALU_DEP_4)
	v_and_b32_e32 v17, 0xffff0000, v1
	v_dual_lshlrev_b32 v16, 16, v1 :: v_dual_lshrrev_b32 v19, 16, v3
	v_and_b32_e32 v20, 0xffff, v3
	v_and_b32_e32 v1, 0xffff0000, v8
	v_dual_lshlrev_b32 v8, 16, v8 :: v_dual_lshrrev_b32 v3, 16, v18
	v_and_b32_e32 v18, 0xffff, v18
	v_or_b32_e32 v23, v17, v19
	v_or_b32_e32 v24, v16, v20
	s_delay_alu instid0(VALU_DEP_4) | instskip(NEXT) | instid1(VALU_DEP_4)
	v_or_b32_e32 v21, v1, v3
	v_or_b32_e32 v22, v8, v18
	s_and_saveexec_b32 s23, s0
	s_cbranch_execz .LBB238_473
; %bb.472:                              ;   in Loop: Header=BB238_274 Depth=1
	v_dual_add_nc_u32 v21, 2, v2 :: v_dual_bitop2_b32 v22, 1, v2 bitop3:0x54
	v_cmp_gt_i32_e64 s1, s18, v2
	v_or_b32_e32 v23, 3, v2
	s_delay_alu instid0(VALU_DEP_2) | instskip(NEXT) | instid1(VALU_DEP_4)
	v_dual_cndmask_b32 v19, 0, v19, s1 :: v_dual_bitop2_b32 v24, 7, v2 bitop3:0x54
	v_cmp_gt_i32_e64 s1, s34, v21
	s_delay_alu instid0(VALU_DEP_1) | instskip(SKIP_1) | instid1(VALU_DEP_1)
	v_cndmask_b32_e64 v20, 0, v20, s1
	v_cmp_gt_i32_e64 s1, s18, v22
	v_cndmask_b32_e64 v17, 0, v17, s1
	v_cmp_gt_i32_e64 s1, s34, v23
	v_or_b32_e32 v21, 4, v2
	s_delay_alu instid0(VALU_DEP_2) | instskip(NEXT) | instid1(VALU_DEP_2)
	v_dual_cndmask_b32 v16, 0, v16, s1 :: v_dual_bitop2_b32 v23, 5, v2 bitop3:0x54
	v_cmp_gt_i32_e64 s1, s18, v21
	s_delay_alu instid0(VALU_DEP_1) | instskip(NEXT) | instid1(VALU_DEP_1)
	v_dual_cndmask_b32 v3, 0, v3, s1 :: v_dual_bitop2_b32 v22, 6, v2 bitop3:0x54
	v_cmp_gt_i32_e64 s1, s34, v22
	s_delay_alu instid0(VALU_DEP_1) | instskip(SKIP_1) | instid1(VALU_DEP_1)
	v_cndmask_b32_e64 v18, 0, v18, s1
	v_cmp_gt_i32_e64 s1, s18, v23
	v_dual_cndmask_b32 v1, 0, v1, s1 :: v_dual_bitop2_b32 v23, v17, v19 bitop3:0x54
	v_cmp_gt_i32_e64 s1, s34, v24
	v_or_b32_e32 v24, v16, v20
	s_delay_alu instid0(VALU_DEP_2) | instskip(NEXT) | instid1(VALU_DEP_1)
	v_dual_cndmask_b32 v8, 0, v8, s1 :: v_dual_bitop2_b32 v21, v1, v3 bitop3:0x54
	v_or_b32_e32 v22, v8, v18
.LBB238_473:                            ;   in Loop: Header=BB238_274 Depth=1
	s_or_b32 exec_lo, exec_lo, s23
	;;#ASMSTART
	v_pk_mul_f16 v1, v41, v23;

	;;#ASMEND
	;;#ASMSTART
	v_pk_mul_f16 v3, v40, v24;

	;;#ASMEND
	;; [unrolled: 4-line block ×4, first 2 shown]
	;;#ASMSTART
	v_pk_add_f16 v1, v1, v3;

	;;#ASMEND
	;;#ASMSTART
	v_pk_add_f16 v1, v1, v8;

	;;#ASMEND
	;; [unrolled: 4-line block ×3, first 2 shown]
	v_and_b32_e32 v3, 0xffff, v1
	v_lshrrev_b32_e32 v1, 16, v1
	;;#ASMSTART
	v_cvt_f32_f16 v25, v3;
	;;#ASMEND
	;;#ASMSTART
	v_cvt_f32_f16 v26, v1;
	;;#ASMEND
	s_and_saveexec_b32 s23, vcc_lo
	s_cbranch_execz .LBB238_272
; %bb.474:                              ;   in Loop: Header=BB238_274 Depth=1
	v_add_nc_u64_e32 v[14:15], v[14:15], v[10:11]
	v_dual_mov_b32 v1, 0 :: v_dual_mov_b32 v3, 0
	s_mov_b32 s24, exec_lo
	global_load_b64 v[16:17], v[14:15], off
	global_load_b32 v14, v1, s[10:11]
	s_wait_loadcnt 0x1
	v_and_b32_e32 v8, 0xff, v16
	s_wait_xcnt 0x0
	s_delay_alu instid0(VALU_DEP_1)
	v_cmpx_ne_u16_e32 0, v8
	s_cbranch_execz .LBB238_482
; %bb.475:                              ;   in Loop: Header=BB238_274 Depth=1
	v_mov_b32_e32 v3, 0x8000
	s_mov_b32 s25, exec_lo
	v_cmpx_ne_u16_e32 0x80, v8
	s_cbranch_execz .LBB238_481
; %bb.476:                              ;   in Loop: Header=BB238_274 Depth=1
	v_and_b32_e32 v15, 0x7f, v16
	v_mov_b32_e32 v3, 0x7c01
	s_mov_b32 s36, exec_lo
	s_delay_alu instid0(VALU_DEP_2)
	v_cmpx_ne_u32_e32 0x7f, v15
	s_cbranch_execz .LBB238_480
; %bb.477:                              ;   in Loop: Header=BB238_274 Depth=1
	v_dual_lshrrev_b32 v8, 3, v15 :: v_dual_bitop2_b32 v3, 7, v16 bitop3:0x40
	s_mov_b32 s37, exec_lo
	v_cmpx_gt_u32_e32 8, v15
; %bb.478:                              ;   in Loop: Header=BB238_274 Depth=1
	s_delay_alu instid0(VALU_DEP_2) | instskip(NEXT) | instid1(VALU_DEP_1)
	v_clz_i32_u32_e32 v3, v3
	v_min_u32_e32 v3, 32, v3
	s_delay_alu instid0(VALU_DEP_1) | instskip(NEXT) | instid1(VALU_DEP_1)
	v_subrev_nc_u32_e32 v8, 28, v3
	v_lshlrev_b64_e32 v[18:19], v8, v[16:17]
	s_delay_alu instid0(VALU_DEP_1)
	v_dual_sub_nc_u32 v8, 29, v3 :: v_dual_bitop2_b32 v3, 7, v18 bitop3:0x40
; %bb.479:                              ;   in Loop: Header=BB238_274 Depth=1
	s_or_b32 exec_lo, exec_lo, s37
	s_delay_alu instid0(VALU_DEP_1) | instskip(NEXT) | instid1(VALU_DEP_2)
	v_dual_lshlrev_b32 v15, 8, v16 :: v_dual_lshlrev_b32 v3, 7, v3
	v_lshl_add_u32 v8, v8, 10, 0x2000
	s_delay_alu instid0(VALU_DEP_2) | instskip(NEXT) | instid1(VALU_DEP_2)
	v_and_b32_e32 v15, 0x8000, v15
	v_and_b32_e32 v8, 0xfc00, v8
	s_delay_alu instid0(VALU_DEP_1)
	v_or3_b32 v3, v15, v8, v3
.LBB238_480:                            ;   in Loop: Header=BB238_274 Depth=1
	s_or_b32 exec_lo, exec_lo, s36
.LBB238_481:                            ;   in Loop: Header=BB238_274 Depth=1
	s_delay_alu instid0(SALU_CYCLE_1)
	s_or_b32 exec_lo, exec_lo, s25
.LBB238_482:                            ;   in Loop: Header=BB238_274 Depth=1
	s_delay_alu instid0(SALU_CYCLE_1) | instskip(SKIP_2) | instid1(VALU_DEP_1)
	s_or_b32 exec_lo, exec_lo, s24
	v_lshrrev_b16 v8, 8, v16
	s_mov_b32 s24, exec_lo
	v_cmpx_ne_u16_e32 0, v8
	s_cbranch_execz .LBB238_490
; %bb.483:                              ;   in Loop: Header=BB238_274 Depth=1
	v_bfrev_b32_e32 v1, 1
	s_mov_b32 s25, exec_lo
	v_cmpx_ne_u16_e32 0x80, v8
	s_cbranch_execz .LBB238_489
; %bb.484:                              ;   in Loop: Header=BB238_274 Depth=1
	v_and_b32_e32 v15, 0xffff, v8
	v_mov_b32_e32 v1, 0x7c010000
	s_mov_b32 s36, exec_lo
	s_delay_alu instid0(VALU_DEP_2) | instskip(NEXT) | instid1(VALU_DEP_1)
	v_and_b32_e32 v19, 0x7f, v15
	v_cmpx_ne_u32_e32 0x7f, v19
	s_cbranch_execz .LBB238_488
; %bb.485:                              ;   in Loop: Header=BB238_274 Depth=1
	v_and_b32_e32 v1, 7, v15
	v_lshrrev_b32_e32 v18, 3, v19
	s_mov_b32 s37, exec_lo
	v_cmpx_gt_u32_e32 8, v19
; %bb.486:                              ;   in Loop: Header=BB238_274 Depth=1
	s_delay_alu instid0(VALU_DEP_3) | instskip(NEXT) | instid1(VALU_DEP_1)
	v_clz_i32_u32_e32 v1, v1
	v_min_u32_e32 v1, 32, v1
	s_delay_alu instid0(VALU_DEP_1) | instskip(NEXT) | instid1(VALU_DEP_1)
	v_subrev_nc_u32_e32 v18, 28, v1
	v_lshlrev_b64_e32 v[20:21], v18, v[8:9]
	s_delay_alu instid0(VALU_DEP_1)
	v_dual_sub_nc_u32 v18, 29, v1 :: v_dual_bitop2_b32 v1, 7, v20 bitop3:0x40
; %bb.487:                              ;   in Loop: Header=BB238_274 Depth=1
	s_or_b32 exec_lo, exec_lo, s37
	s_delay_alu instid0(VALU_DEP_1) | instskip(NEXT) | instid1(VALU_DEP_2)
	v_dual_lshlrev_b32 v8, 8, v15 :: v_dual_lshlrev_b32 v1, 23, v1
	v_lshl_add_u32 v15, v18, 10, 0x2000
	s_delay_alu instid0(VALU_DEP_1) | instskip(NEXT) | instid1(VALU_DEP_1)
	v_and_or_b32 v8, 0x8000, v8, v15
	v_lshl_or_b32 v1, v8, 16, v1
.LBB238_488:                            ;   in Loop: Header=BB238_274 Depth=1
	s_or_b32 exec_lo, exec_lo, s36
.LBB238_489:                            ;   in Loop: Header=BB238_274 Depth=1
	s_delay_alu instid0(SALU_CYCLE_1)
	s_or_b32 exec_lo, exec_lo, s25
.LBB238_490:                            ;   in Loop: Header=BB238_274 Depth=1
	s_delay_alu instid0(SALU_CYCLE_1) | instskip(SKIP_3) | instid1(VALU_DEP_2)
	s_or_b32 exec_lo, exec_lo, s24
	v_dual_mov_b32 v15, 0 :: v_dual_lshrrev_b32 v8, 16, v16
	v_mov_b32_e32 v18, 0
	s_mov_b32 s24, exec_lo
	v_and_b32_e32 v19, 0xff, v8
	s_delay_alu instid0(VALU_DEP_1)
	v_cmpx_ne_u16_e32 0, v19
	s_cbranch_execz .LBB238_498
; %bb.491:                              ;   in Loop: Header=BB238_274 Depth=1
	v_mov_b32_e32 v18, 0x8000
	s_mov_b32 s25, exec_lo
	v_cmpx_ne_u16_e32 0x80, v19
	s_cbranch_execz .LBB238_497
; %bb.492:                              ;   in Loop: Header=BB238_274 Depth=1
	v_bfe_u32 v20, v16, 16, 7
	v_mov_b32_e32 v18, 0x7c01
	s_mov_b32 s36, exec_lo
	s_delay_alu instid0(VALU_DEP_2)
	v_cmpx_ne_u32_e32 0x7f, v20
	s_cbranch_execz .LBB238_496
; %bb.493:                              ;   in Loop: Header=BB238_274 Depth=1
	v_and_b32_e32 v18, 7, v8
	v_lshrrev_b32_e32 v19, 3, v20
	s_mov_b32 s37, exec_lo
	v_cmpx_gt_u32_e32 8, v20
; %bb.494:                              ;   in Loop: Header=BB238_274 Depth=1
	s_delay_alu instid0(VALU_DEP_3) | instskip(NEXT) | instid1(VALU_DEP_1)
	v_clz_i32_u32_e32 v18, v18
	v_min_u32_e32 v20, 32, v18
	s_delay_alu instid0(VALU_DEP_1) | instskip(NEXT) | instid1(VALU_DEP_1)
	v_subrev_nc_u32_e32 v18, 28, v20
	v_lshlrev_b64_e32 v[18:19], v18, v[8:9]
	s_delay_alu instid0(VALU_DEP_1)
	v_dual_sub_nc_u32 v19, 29, v20 :: v_dual_bitop2_b32 v18, 7, v18 bitop3:0x40
; %bb.495:                              ;   in Loop: Header=BB238_274 Depth=1
	s_or_b32 exec_lo, exec_lo, s37
	s_delay_alu instid0(VALU_DEP_1) | instskip(NEXT) | instid1(VALU_DEP_2)
	v_dual_lshlrev_b32 v8, 8, v8 :: v_dual_lshlrev_b32 v18, 7, v18
	v_lshl_add_u32 v19, v19, 10, 0x2000
	s_delay_alu instid0(VALU_DEP_2) | instskip(NEXT) | instid1(VALU_DEP_2)
	v_and_b32_e32 v8, 0x8000, v8
	v_and_b32_e32 v19, 0xfc00, v19
	s_delay_alu instid0(VALU_DEP_1)
	v_or3_b32 v18, v8, v19, v18
.LBB238_496:                            ;   in Loop: Header=BB238_274 Depth=1
	s_or_b32 exec_lo, exec_lo, s36
.LBB238_497:                            ;   in Loop: Header=BB238_274 Depth=1
	s_delay_alu instid0(SALU_CYCLE_1)
	s_or_b32 exec_lo, exec_lo, s25
.LBB238_498:                            ;   in Loop: Header=BB238_274 Depth=1
	s_delay_alu instid0(SALU_CYCLE_1) | instskip(NEXT) | instid1(SALU_CYCLE_1)
	s_or_b32 exec_lo, exec_lo, s24
	s_mov_b32 s24, exec_lo
	v_cmpx_lt_u32_e32 0xffffff, v16
	s_cbranch_execz .LBB238_506
; %bb.499:                              ;   in Loop: Header=BB238_274 Depth=1
	v_lshrrev_b32_e32 v8, 24, v16
	v_bfrev_b32_e32 v15, 1
	s_mov_b32 s25, exec_lo
	s_delay_alu instid0(VALU_DEP_2)
	v_cmpx_ne_u32_e32 0x80, v8
	s_cbranch_execz .LBB238_505
; %bb.500:                              ;   in Loop: Header=BB238_274 Depth=1
	v_and_b32_e32 v20, 0x7f, v8
	v_mov_b32_e32 v15, 0x7c010000
	s_mov_b32 s36, exec_lo
	s_delay_alu instid0(VALU_DEP_2)
	v_cmpx_ne_u32_e32 0x7f, v20
	s_cbranch_execz .LBB238_504
; %bb.501:                              ;   in Loop: Header=BB238_274 Depth=1
	v_and_b32_e32 v15, 7, v8
	v_lshrrev_b32_e32 v19, 3, v20
	s_mov_b32 s37, exec_lo
	v_cmpx_gt_u32_e32 8, v20
; %bb.502:                              ;   in Loop: Header=BB238_274 Depth=1
	s_delay_alu instid0(VALU_DEP_3) | instskip(NEXT) | instid1(VALU_DEP_1)
	v_clz_i32_u32_e32 v15, v15
	v_min_u32_e32 v15, 32, v15
	s_delay_alu instid0(VALU_DEP_1) | instskip(NEXT) | instid1(VALU_DEP_1)
	v_subrev_nc_u32_e32 v19, 28, v15
	v_lshlrev_b64_e32 v[20:21], v19, v[8:9]
	s_delay_alu instid0(VALU_DEP_1)
	v_dual_sub_nc_u32 v19, 29, v15 :: v_dual_bitop2_b32 v15, 7, v20 bitop3:0x40
; %bb.503:                              ;   in Loop: Header=BB238_274 Depth=1
	s_or_b32 exec_lo, exec_lo, s37
	s_delay_alu instid0(VALU_DEP_1) | instskip(NEXT) | instid1(VALU_DEP_2)
	v_dual_lshlrev_b32 v8, 8, v8 :: v_dual_lshlrev_b32 v15, 23, v15
	v_lshl_add_u32 v19, v19, 10, 0x2000
	s_delay_alu instid0(VALU_DEP_1) | instskip(NEXT) | instid1(VALU_DEP_1)
	v_and_or_b32 v8, 0x8000, v8, v19
	v_lshl_or_b32 v15, v8, 16, v15
.LBB238_504:                            ;   in Loop: Header=BB238_274 Depth=1
	s_or_b32 exec_lo, exec_lo, s36
.LBB238_505:                            ;   in Loop: Header=BB238_274 Depth=1
	s_delay_alu instid0(SALU_CYCLE_1)
	s_or_b32 exec_lo, exec_lo, s25
.LBB238_506:                            ;   in Loop: Header=BB238_274 Depth=1
	s_delay_alu instid0(SALU_CYCLE_1) | instskip(SKIP_4) | instid1(VALU_DEP_3)
	s_or_b32 exec_lo, exec_lo, s24
	v_and_b32_e32 v21, 0xff, v17
	v_dual_mov_b32 v8, v17 :: v_dual_mov_b32 v20, 0
	v_mov_b32_e32 v19, 0
	s_mov_b32 s24, exec_lo
	v_cmpx_ne_u16_e32 0, v21
	s_cbranch_execz .LBB238_514
; %bb.507:                              ;   in Loop: Header=BB238_274 Depth=1
	v_mov_b32_e32 v19, 0x8000
	s_mov_b32 s25, exec_lo
	v_cmpx_ne_u16_e32 0x80, v21
	s_cbranch_execz .LBB238_513
; %bb.508:                              ;   in Loop: Header=BB238_274 Depth=1
	v_and_b32_e32 v22, 0x7f, v17
	v_mov_b32_e32 v19, 0x7c01
	s_mov_b32 s36, exec_lo
	s_delay_alu instid0(VALU_DEP_2)
	v_cmpx_ne_u32_e32 0x7f, v22
	s_cbranch_execz .LBB238_512
; %bb.509:                              ;   in Loop: Header=BB238_274 Depth=1
	v_dual_lshrrev_b32 v21, 3, v22 :: v_dual_bitop2_b32 v19, 7, v17 bitop3:0x40
	s_mov_b32 s37, exec_lo
	v_cmpx_gt_u32_e32 8, v22
; %bb.510:                              ;   in Loop: Header=BB238_274 Depth=1
	s_delay_alu instid0(VALU_DEP_2) | instskip(NEXT) | instid1(VALU_DEP_1)
	v_clz_i32_u32_e32 v19, v19
	v_min_u32_e32 v19, 32, v19
	s_delay_alu instid0(VALU_DEP_1) | instskip(NEXT) | instid1(VALU_DEP_1)
	v_subrev_nc_u32_e32 v21, 28, v19
	v_lshlrev_b64_e32 v[22:23], v21, v[8:9]
	s_delay_alu instid0(VALU_DEP_1)
	v_dual_sub_nc_u32 v21, 29, v19 :: v_dual_bitop2_b32 v19, 7, v22 bitop3:0x40
; %bb.511:                              ;   in Loop: Header=BB238_274 Depth=1
	s_or_b32 exec_lo, exec_lo, s37
	s_delay_alu instid0(VALU_DEP_1) | instskip(NEXT) | instid1(VALU_DEP_2)
	v_dual_lshlrev_b32 v22, 8, v17 :: v_dual_lshlrev_b32 v19, 7, v19
	v_lshl_add_u32 v21, v21, 10, 0x2000
	s_delay_alu instid0(VALU_DEP_2) | instskip(NEXT) | instid1(VALU_DEP_2)
	v_and_b32_e32 v22, 0x8000, v22
	v_and_b32_e32 v21, 0xfc00, v21
	s_delay_alu instid0(VALU_DEP_1)
	v_or3_b32 v19, v22, v21, v19
.LBB238_512:                            ;   in Loop: Header=BB238_274 Depth=1
	s_or_b32 exec_lo, exec_lo, s36
.LBB238_513:                            ;   in Loop: Header=BB238_274 Depth=1
	s_delay_alu instid0(SALU_CYCLE_1)
	s_or_b32 exec_lo, exec_lo, s25
.LBB238_514:                            ;   in Loop: Header=BB238_274 Depth=1
	s_delay_alu instid0(SALU_CYCLE_1) | instskip(SKIP_3) | instid1(VALU_DEP_2)
	s_or_b32 exec_lo, exec_lo, s24
	v_lshrrev_b16 v8, 8, v8
	v_mov_b32_e32 v21, 0
	s_mov_b32 s24, exec_lo
	v_cmpx_ne_u16_e32 0, v8
	s_cbranch_execz .LBB238_522
; %bb.515:                              ;   in Loop: Header=BB238_274 Depth=1
	v_bfrev_b32_e32 v21, 1
	s_mov_b32 s25, exec_lo
	v_cmpx_ne_u16_e32 0x80, v8
	s_cbranch_execz .LBB238_521
; %bb.516:                              ;   in Loop: Header=BB238_274 Depth=1
	v_and_b32_e32 v22, 0xffff, v8
	v_mov_b32_e32 v21, 0x7c010000
	s_mov_b32 s36, exec_lo
	s_delay_alu instid0(VALU_DEP_2) | instskip(NEXT) | instid1(VALU_DEP_1)
	v_and_b32_e32 v24, 0x7f, v22
	v_cmpx_ne_u32_e32 0x7f, v24
	s_cbranch_execz .LBB238_520
; %bb.517:                              ;   in Loop: Header=BB238_274 Depth=1
	v_dual_lshrrev_b32 v23, 3, v24 :: v_dual_bitop2_b32 v21, 7, v22 bitop3:0x40
	s_mov_b32 s37, exec_lo
	v_cmpx_gt_u32_e32 8, v24
; %bb.518:                              ;   in Loop: Header=BB238_274 Depth=1
	s_delay_alu instid0(VALU_DEP_2) | instskip(NEXT) | instid1(VALU_DEP_1)
	v_clz_i32_u32_e32 v21, v21
	v_min_u32_e32 v21, 32, v21
	s_delay_alu instid0(VALU_DEP_1) | instskip(NEXT) | instid1(VALU_DEP_1)
	v_subrev_nc_u32_e32 v23, 28, v21
	v_lshlrev_b64_e32 v[42:43], v23, v[8:9]
	s_delay_alu instid0(VALU_DEP_1)
	v_dual_sub_nc_u32 v23, 29, v21 :: v_dual_bitop2_b32 v21, 7, v42 bitop3:0x40
; %bb.519:                              ;   in Loop: Header=BB238_274 Depth=1
	s_or_b32 exec_lo, exec_lo, s37
	s_delay_alu instid0(VALU_DEP_1) | instskip(NEXT) | instid1(VALU_DEP_2)
	v_dual_lshlrev_b32 v8, 8, v22 :: v_dual_lshlrev_b32 v21, 23, v21
	v_lshl_add_u32 v22, v23, 10, 0x2000
	s_delay_alu instid0(VALU_DEP_1) | instskip(NEXT) | instid1(VALU_DEP_1)
	v_and_or_b32 v8, 0x8000, v8, v22
	v_lshl_or_b32 v21, v8, 16, v21
.LBB238_520:                            ;   in Loop: Header=BB238_274 Depth=1
	s_or_b32 exec_lo, exec_lo, s36
.LBB238_521:                            ;   in Loop: Header=BB238_274 Depth=1
	s_delay_alu instid0(SALU_CYCLE_1)
	s_or_b32 exec_lo, exec_lo, s25
.LBB238_522:                            ;   in Loop: Header=BB238_274 Depth=1
	s_delay_alu instid0(SALU_CYCLE_1) | instskip(SKIP_2) | instid1(VALU_DEP_1)
	s_or_b32 exec_lo, exec_lo, s24
	v_lshrrev_b32_e32 v8, 16, v17
	s_mov_b32 s24, exec_lo
	v_and_b32_e32 v22, 0xff, v8
	s_delay_alu instid0(VALU_DEP_1)
	v_cmpx_ne_u16_e32 0, v22
	s_cbranch_execz .LBB238_530
; %bb.523:                              ;   in Loop: Header=BB238_274 Depth=1
	v_mov_b32_e32 v20, 0x8000
	s_mov_b32 s25, exec_lo
	v_cmpx_ne_u16_e32 0x80, v22
	s_cbranch_execz .LBB238_529
; %bb.524:                              ;   in Loop: Header=BB238_274 Depth=1
	v_bfe_u32 v23, v17, 16, 7
	v_mov_b32_e32 v20, 0x7c01
	s_mov_b32 s36, exec_lo
	s_delay_alu instid0(VALU_DEP_2)
	v_cmpx_ne_u32_e32 0x7f, v23
	s_cbranch_execz .LBB238_528
; %bb.525:                              ;   in Loop: Header=BB238_274 Depth=1
	v_dual_lshrrev_b32 v22, 3, v23 :: v_dual_bitop2_b32 v20, 7, v8 bitop3:0x40
	s_mov_b32 s37, exec_lo
	v_cmpx_gt_u32_e32 8, v23
; %bb.526:                              ;   in Loop: Header=BB238_274 Depth=1
	s_delay_alu instid0(VALU_DEP_2) | instskip(NEXT) | instid1(VALU_DEP_1)
	v_clz_i32_u32_e32 v20, v20
	v_min_u32_e32 v20, 32, v20
	s_delay_alu instid0(VALU_DEP_1) | instskip(NEXT) | instid1(VALU_DEP_1)
	v_subrev_nc_u32_e32 v22, 28, v20
	v_lshlrev_b64_e32 v[42:43], v22, v[8:9]
	s_delay_alu instid0(VALU_DEP_1)
	v_dual_sub_nc_u32 v22, 29, v20 :: v_dual_bitop2_b32 v20, 7, v42 bitop3:0x40
; %bb.527:                              ;   in Loop: Header=BB238_274 Depth=1
	s_or_b32 exec_lo, exec_lo, s37
	v_lshlrev_b32_e32 v8, 8, v8
	s_delay_alu instid0(VALU_DEP_2) | instskip(NEXT) | instid1(VALU_DEP_3)
	v_lshl_add_u32 v22, v22, 10, 0x2000
	v_lshlrev_b32_e32 v20, 7, v20
	s_delay_alu instid0(VALU_DEP_3) | instskip(NEXT) | instid1(VALU_DEP_3)
	v_and_b32_e32 v8, 0x8000, v8
	v_and_b32_e32 v22, 0xfc00, v22
	s_delay_alu instid0(VALU_DEP_1)
	v_or3_b32 v20, v8, v22, v20
.LBB238_528:                            ;   in Loop: Header=BB238_274 Depth=1
	s_or_b32 exec_lo, exec_lo, s36
.LBB238_529:                            ;   in Loop: Header=BB238_274 Depth=1
	s_delay_alu instid0(SALU_CYCLE_1)
	s_or_b32 exec_lo, exec_lo, s25
.LBB238_530:                            ;   in Loop: Header=BB238_274 Depth=1
	s_delay_alu instid0(SALU_CYCLE_1)
	s_or_b32 exec_lo, exec_lo, s24
	v_cmp_lt_u64_e64 s1, s[12:13], v[16:17]
	v_mov_b32_e32 v16, 0
	s_and_saveexec_b32 s24, s1
	s_cbranch_execz .LBB238_538
; %bb.531:                              ;   in Loop: Header=BB238_274 Depth=1
	v_lshrrev_b32_e32 v8, 24, v17
	v_bfrev_b32_e32 v16, 1
	s_mov_b32 s25, exec_lo
	s_delay_alu instid0(VALU_DEP_2)
	v_cmpx_ne_u32_e32 0x80, v8
	s_cbranch_execz .LBB238_537
; %bb.532:                              ;   in Loop: Header=BB238_274 Depth=1
	v_and_b32_e32 v22, 0x7f, v8
	v_mov_b32_e32 v16, 0x7c010000
	s_mov_b32 s36, exec_lo
	s_delay_alu instid0(VALU_DEP_2)
	v_cmpx_ne_u32_e32 0x7f, v22
	s_cbranch_execz .LBB238_536
; %bb.533:                              ;   in Loop: Header=BB238_274 Depth=1
	v_dual_lshrrev_b32 v17, 3, v22 :: v_dual_bitop2_b32 v16, 7, v8 bitop3:0x40
	s_mov_b32 s37, exec_lo
	v_cmpx_gt_u32_e32 8, v22
; %bb.534:                              ;   in Loop: Header=BB238_274 Depth=1
	s_delay_alu instid0(VALU_DEP_2) | instskip(NEXT) | instid1(VALU_DEP_1)
	v_clz_i32_u32_e32 v16, v16
	v_min_u32_e32 v22, 32, v16
	s_delay_alu instid0(VALU_DEP_1) | instskip(NEXT) | instid1(VALU_DEP_1)
	v_subrev_nc_u32_e32 v16, 28, v22
	v_lshlrev_b64_e32 v[16:17], v16, v[8:9]
	s_delay_alu instid0(VALU_DEP_1)
	v_dual_sub_nc_u32 v17, 29, v22 :: v_dual_bitop2_b32 v16, 7, v16 bitop3:0x40
; %bb.535:                              ;   in Loop: Header=BB238_274 Depth=1
	s_or_b32 exec_lo, exec_lo, s37
	v_lshlrev_b32_e32 v8, 8, v8
	s_delay_alu instid0(VALU_DEP_2) | instskip(NEXT) | instid1(VALU_DEP_3)
	v_lshl_add_u32 v17, v17, 10, 0x2000
	v_lshlrev_b32_e32 v16, 23, v16
	s_delay_alu instid0(VALU_DEP_2) | instskip(NEXT) | instid1(VALU_DEP_1)
	v_and_or_b32 v8, 0x8000, v8, v17
	v_lshl_or_b32 v16, v8, 16, v16
.LBB238_536:                            ;   in Loop: Header=BB238_274 Depth=1
	s_or_b32 exec_lo, exec_lo, s36
.LBB238_537:                            ;   in Loop: Header=BB238_274 Depth=1
	s_delay_alu instid0(SALU_CYCLE_1)
	s_or_b32 exec_lo, exec_lo, s25
.LBB238_538:                            ;   in Loop: Header=BB238_274 Depth=1
	s_delay_alu instid0(SALU_CYCLE_1) | instskip(SKIP_3) | instid1(VALU_DEP_3)
	s_or_b32 exec_lo, exec_lo, s24
	v_dual_lshrrev_b32 v8, 16, v1 :: v_dual_lshrrev_b32 v17, 16, v15
	v_or_b32_e32 v1, v1, v3
	v_dual_lshrrev_b32 v18, 16, v16 :: v_dual_bitop2_b32 v3, v15, v18 bitop3:0x54
	v_cvt_f32_f16_e32 v23, v8
	s_delay_alu instid0(VALU_DEP_4) | instskip(SKIP_4) | instid1(VALU_DEP_3)
	v_cvt_f32_f16_e32 v22, v17
	v_lshrrev_b32_e32 v15, 16, v21
	v_cvt_f32_f16_e32 v17, v1
	v_cvt_f32_f16_e32 v18, v18
	s_wait_loadcnt 0x0
	v_pk_mul_f32 v[22:23], v[14:15], v[22:23] op_sel_hi:[0,1]
	s_delay_alu instid0(VALU_DEP_1) | instskip(SKIP_4) | instid1(VALU_DEP_4)
	v_cvt_pk_f16_f32 v1, v22, v23
	v_or_b32_e32 v8, v16, v20
	v_cvt_f32_f16_e32 v16, v3
	v_or_b32_e32 v3, v21, v19
	v_cvt_f32_f16_e32 v19, v15
	v_cvt_f32_f16_e32 v20, v8
	s_delay_alu instid0(VALU_DEP_4) | instskip(NEXT) | instid1(VALU_DEP_4)
	v_pk_mul_f32 v[16:17], v[14:15], v[16:17] op_sel_hi:[0,1]
	v_cvt_f32_f16_e32 v21, v3
	s_delay_alu instid0(VALU_DEP_4) | instskip(NEXT) | instid1(VALU_DEP_3)
	v_pk_mul_f32 v[18:19], v[14:15], v[18:19] op_sel_hi:[0,1]
	v_cvt_pk_f16_f32 v3, v16, v17
	s_delay_alu instid0(VALU_DEP_3) | instskip(NEXT) | instid1(VALU_DEP_3)
	v_pk_mul_f32 v[20:21], v[14:15], v[20:21] op_sel_hi:[0,1]
	v_cvt_pk_f16_f32 v8, v18, v19
	v_and_b32_e32 v15, 0xffff0000, v1
	v_lshlrev_b32_e32 v14, 16, v1
	v_and_b32_e32 v18, 0xffff, v3
	v_cvt_pk_f16_f32 v16, v20, v21
	v_lshrrev_b32_e32 v17, 16, v3
	v_and_b32_e32 v1, 0xffff0000, v8
	s_delay_alu instid0(VALU_DEP_4) | instskip(NEXT) | instid1(VALU_DEP_4)
	v_dual_lshlrev_b32 v8, 16, v8 :: v_dual_bitop2_b32 v22, v14, v18 bitop3:0x54
	v_lshrrev_b32_e32 v3, 16, v16
	v_and_b32_e32 v16, 0xffff, v16
	v_or_b32_e32 v21, v15, v17
	s_delay_alu instid0(VALU_DEP_3) | instskip(NEXT) | instid1(VALU_DEP_3)
	v_or_b32_e32 v19, v1, v3
	v_or_b32_e32 v20, v8, v16
	s_and_saveexec_b32 s1, s0
	s_cbranch_execz .LBB238_271
; %bb.539:                              ;   in Loop: Header=BB238_274 Depth=1
	v_dual_add_nc_u32 v19, 2, v2 :: v_dual_bitop2_b32 v20, 1, v2 bitop3:0x54
	v_cmp_gt_i32_e64 s0, s18, v2
	v_or_b32_e32 v21, 3, v2
	s_delay_alu instid0(VALU_DEP_2) | instskip(NEXT) | instid1(VALU_DEP_4)
	v_dual_cndmask_b32 v17, 0, v17, s0 :: v_dual_bitop2_b32 v22, 7, v2 bitop3:0x54
	v_cmp_gt_i32_e64 s0, s34, v19
	v_or_b32_e32 v19, 4, v2
	s_delay_alu instid0(VALU_DEP_2) | instskip(SKIP_1) | instid1(VALU_DEP_1)
	v_cndmask_b32_e64 v18, 0, v18, s0
	v_cmp_gt_i32_e64 s0, s18, v20
	v_dual_cndmask_b32 v15, 0, v15, s0 :: v_dual_bitop2_b32 v20, 6, v2 bitop3:0x54
	v_cmp_gt_i32_e64 s0, s34, v21
	v_or_b32_e32 v21, 5, v2
	s_delay_alu instid0(VALU_DEP_2) | instskip(SKIP_1) | instid1(VALU_DEP_1)
	v_cndmask_b32_e64 v14, 0, v14, s0
	v_cmp_gt_i32_e64 s0, s18, v19
	v_cndmask_b32_e64 v3, 0, v3, s0
	v_cmp_gt_i32_e64 s0, s34, v20
	s_delay_alu instid0(VALU_DEP_1) | instskip(SKIP_2) | instid1(VALU_DEP_2)
	v_cndmask_b32_e64 v16, 0, v16, s0
	v_cmp_gt_i32_e64 s0, s18, v21
	v_or_b32_e32 v21, v15, v17
	v_cndmask_b32_e64 v1, 0, v1, s0
	v_cmp_gt_i32_e64 s0, s34, v22
	v_or_b32_e32 v22, v14, v18
	s_delay_alu instid0(VALU_DEP_2) | instskip(NEXT) | instid1(VALU_DEP_1)
	v_dual_cndmask_b32 v8, 0, v8, s0 :: v_dual_bitop2_b32 v19, v1, v3 bitop3:0x54
	v_or_b32_e32 v20, v8, v16
	s_branch .LBB238_271
.LBB238_540:
	s_or_b32 exec_lo, exec_lo, s19
.LBB238_541:
	s_delay_alu instid0(SALU_CYCLE_1) | instskip(SKIP_2) | instid1(SALU_CYCLE_1)
	s_or_b32 exec_lo, exec_lo, s27
	v_and_b32_e32 v1, 0x3c0, v0
	s_movk_i32 s0, 0x1c0
	v_mad_u32_u24 v8, v27, s0, 0x100
	s_barrier_signal -1
	s_delay_alu instid0(VALU_DEP_2)
	v_cmp_eq_u32_e32 vcc_lo, 64, v1
	v_or_b32_e32 v1, 0x60, v0
	s_barrier_wait -1
	s_and_saveexec_b32 s0, vcc_lo
	s_cbranch_execz .LBB238_544
; %bb.542:
	v_add_nc_u32_e32 v2, 0xfffffc80, v8
	v_cmp_gt_u32_e32 vcc_lo, 0x70, v1
	s_delay_alu instid0(VALU_DEP_2)
	v_lshl_add_u32 v3, v28, 2, v2
	ds_store_2addr_b32 v3, v4, v5 offset1:32
	ds_store_b32 v3, v34 offset:256
	s_and_b32 exec_lo, exec_lo, vcc_lo
; %bb.543:
	v_lshl_add_u32 v2, v1, 2, v2
	ds_store_b32 v2, v35
.LBB238_544:
	s_or_b32 exec_lo, exec_lo, s0
	v_lshl_add_u32 v9, v28, 2, v8
	s_mov_b32 s0, exec_lo
	s_wait_dscnt 0x0
	s_barrier_signal -1
	s_barrier_wait -1
	v_cmpx_gt_u32_e32 64, v0
	s_cbranch_execz .LBB238_548
; %bb.545:
	v_lshl_or_b32 v6, v0, 2, 0x80
	ds_load_2addr_stride64_b32 v[2:3], v9 offset1:1
	s_mov_b32 s1, exec_lo
	v_add_nc_u32_e32 v6, v8, v6
	ds_load_b32 v7, v6
	s_wait_dscnt 0x1
	v_mov_b32_e32 v6, v2
	v_cmpx_gt_u32_e32 0x70, v1
	s_cbranch_execz .LBB238_547
; %bb.546:
	v_lshl_add_u32 v2, v1, 2, v8
	ds_load_b32 v2, v2
	s_wait_dscnt 0x0
	v_add_f32_e32 v35, v35, v2
.LBB238_547:
	s_or_b32 exec_lo, exec_lo, s1
	s_wait_dscnt 0x0
	v_pk_add_f32 v[4:5], v[4:5], v[6:7]
	v_add_f32_e32 v34, v34, v3
.LBB238_548:
	s_or_b32 exec_lo, exec_lo, s0
	v_and_b32_e32 v2, 0x3e0, v0
	s_mov_b32 s0, exec_lo
	s_barrier_signal -1
	s_barrier_wait -1
	s_delay_alu instid0(VALU_DEP_1)
	v_cmpx_eq_u32_e32 32, v2
	s_cbranch_execz .LBB238_551
; %bb.549:
	v_lshl_add_u32 v2, v28, 2, 0x100
	v_cmp_gt_u32_e32 vcc_lo, 0x70, v1
	ds_store_b32 v2, v4
	ds_store_b32 v29, v5
	ds_store_b32 v2, v34 offset:256
	s_and_b32 exec_lo, exec_lo, vcc_lo
; %bb.550:
	v_lshl_add_u32 v2, v1, 2, 0x100
	ds_store_b32 v2, v35
.LBB238_551:
	s_or_b32 exec_lo, exec_lo, s0
	v_cmp_gt_u32_e32 vcc_lo, 32, v0
	s_wait_dscnt 0x0
	s_barrier_signal -1
	s_barrier_wait -1
	s_and_saveexec_b32 s1, vcc_lo
	s_cbranch_execz .LBB238_555
; %bb.552:
	v_lshl_add_u32 v8, v0, 2, v8
	s_mov_b32 s2, exec_lo
	ds_load_2addr_b32 v[2:3], v8 offset0:32 offset1:64
	ds_load_b32 v6, v9
	s_wait_dscnt 0x1
	v_mov_b32_e32 v7, v2
	v_cmpx_gt_u32_e32 0x70, v1
	s_cbranch_execz .LBB238_554
; %bb.553:
	ds_load_b32 v2, v8 offset:384
	s_wait_dscnt 0x0
	v_add_f32_e32 v35, v35, v2
.LBB238_554:
	s_or_b32 exec_lo, exec_lo, s2
	s_wait_dscnt 0x0
	v_pk_add_f32 v[4:5], v[4:5], v[6:7]
	v_add_f32_e32 v34, v34, v3
.LBB238_555:
	s_or_b32 exec_lo, exec_lo, s1
	s_barrier_signal -1
	s_barrier_wait -1
	s_and_saveexec_b32 s0, vcc_lo
	s_cbranch_execz .LBB238_558
; %bb.556:
	s_mul_i32 s1, s33, s7
	s_mul_i32 s0, s7, s6
	;; [unrolled: 1-line block ×3, first 2 shown]
	s_bfe_u32 s7, ttmp6, 0x40014
	s_mul_i32 s2, s1, 0x70
	s_lshr_b32 s6, ttmp7, 16
	s_ashr_i32 s3, s2, 31
	s_add_co_i32 s7, s7, 1
	s_lshl_b64 s[2:3], s[2:3], 1
	s_ashr_i32 s1, s0, 31
	s_wait_kmcnt 0x0
	s_add_nc_u64 s[2:3], s[4:5], s[2:3]
	s_mul_i32 s4, s6, s7
	s_bfe_u32 s5, ttmp6, 0x40008
	s_lshl_b64 s[0:1], s[0:1], 1
	s_add_co_i32 s5, s5, s4
	s_cmp_eq_u32 s30, 0
	s_add_nc_u64 s[0:1], s[2:3], s[0:1]
	s_cselect_b32 s2, s6, s5
	s_mov_b32 s3, 0
	s_mulk_i32 s2, 0xe0
	v_cmp_gt_u32_e32 vcc_lo, 0x70, v1
	s_add_nc_u64 s[0:1], s[0:1], s[2:3]
	;;#ASMSTART
	v_cvt_f16_f32 v2, v4;

	;;#ASMEND
	global_store_b16 v0, v2, s[0:1] scale_offset
	;;#ASMSTART
	v_cvt_f16_f32 v1, v5;

	;;#ASMEND
	global_store_b16 v0, v1, s[0:1] offset:64 scale_offset
	s_wait_xcnt 0x0
	;;#ASMSTART
	v_cvt_f16_f32 v1, v34;

	;;#ASMEND
	global_store_b16 v0, v1, s[0:1] offset:128 scale_offset
	s_wait_xcnt 0x0
	s_and_b32 exec_lo, exec_lo, vcc_lo
	s_cbranch_execz .LBB238_558
; %bb.557:
	v_dual_mov_b32 v1, 0 :: v_dual_lshlrev_b32 v0, 1, v0
	;;#ASMSTART
	v_cvt_f16_f32 v2, v35;

	;;#ASMEND
	s_delay_alu instid0(VALU_DEP_1)
	v_add_nc_u64_e32 v[0:1], s[0:1], v[0:1]
	global_store_b16 v[0:1], v2, off offset:192
.LBB238_558:
	s_sendmsg sendmsg(MSG_DEALLOC_VGPRS)
	s_endpgm
	.section	.rodata,"a",@progbits
	.p2align	6, 0x0
	.amdhsa_kernel _ZN4vllm25paged_attention_v1_kernelIthLi112ELi8ELi128ELNS_18Fp8KVCacheDataTypeE1ELb1EEEvPT_PKS2_PKT0_S8_ifPKiSA_iPKfiiiSC_SC_iiiii
		.amdhsa_group_segment_fixed_size 256
		.amdhsa_private_segment_fixed_size 0
		.amdhsa_kernarg_size 384
		.amdhsa_user_sgpr_count 2
		.amdhsa_user_sgpr_dispatch_ptr 0
		.amdhsa_user_sgpr_queue_ptr 0
		.amdhsa_user_sgpr_kernarg_segment_ptr 1
		.amdhsa_user_sgpr_dispatch_id 0
		.amdhsa_user_sgpr_kernarg_preload_length 0
		.amdhsa_user_sgpr_kernarg_preload_offset 0
		.amdhsa_user_sgpr_private_segment_size 0
		.amdhsa_wavefront_size32 1
		.amdhsa_uses_dynamic_stack 0
		.amdhsa_enable_private_segment 0
		.amdhsa_system_sgpr_workgroup_id_x 1
		.amdhsa_system_sgpr_workgroup_id_y 1
		.amdhsa_system_sgpr_workgroup_id_z 1
		.amdhsa_system_sgpr_workgroup_info 0
		.amdhsa_system_vgpr_workitem_id 0
		.amdhsa_next_free_vgpr 74
		.amdhsa_next_free_sgpr 45
		.amdhsa_named_barrier_count 0
		.amdhsa_reserve_vcc 1
		.amdhsa_float_round_mode_32 0
		.amdhsa_float_round_mode_16_64 0
		.amdhsa_float_denorm_mode_32 3
		.amdhsa_float_denorm_mode_16_64 3
		.amdhsa_fp16_overflow 0
		.amdhsa_memory_ordered 1
		.amdhsa_forward_progress 1
		.amdhsa_inst_pref_size 171
		.amdhsa_round_robin_scheduling 0
		.amdhsa_exception_fp_ieee_invalid_op 0
		.amdhsa_exception_fp_denorm_src 0
		.amdhsa_exception_fp_ieee_div_zero 0
		.amdhsa_exception_fp_ieee_overflow 0
		.amdhsa_exception_fp_ieee_underflow 0
		.amdhsa_exception_fp_ieee_inexact 0
		.amdhsa_exception_int_div_zero 0
	.end_amdhsa_kernel
	.section	.text._ZN4vllm25paged_attention_v1_kernelIthLi112ELi8ELi128ELNS_18Fp8KVCacheDataTypeE1ELb1EEEvPT_PKS2_PKT0_S8_ifPKiSA_iPKfiiiSC_SC_iiiii,"axG",@progbits,_ZN4vllm25paged_attention_v1_kernelIthLi112ELi8ELi128ELNS_18Fp8KVCacheDataTypeE1ELb1EEEvPT_PKS2_PKT0_S8_ifPKiSA_iPKfiiiSC_SC_iiiii,comdat
.Lfunc_end238:
	.size	_ZN4vllm25paged_attention_v1_kernelIthLi112ELi8ELi128ELNS_18Fp8KVCacheDataTypeE1ELb1EEEvPT_PKS2_PKT0_S8_ifPKiSA_iPKfiiiSC_SC_iiiii, .Lfunc_end238-_ZN4vllm25paged_attention_v1_kernelIthLi112ELi8ELi128ELNS_18Fp8KVCacheDataTypeE1ELb1EEEvPT_PKS2_PKT0_S8_ifPKiSA_iPKfiiiSC_SC_iiiii
                                        ; -- End function
	.set _ZN4vllm25paged_attention_v1_kernelIthLi112ELi8ELi128ELNS_18Fp8KVCacheDataTypeE1ELb1EEEvPT_PKS2_PKT0_S8_ifPKiSA_iPKfiiiSC_SC_iiiii.num_vgpr, 74
	.set _ZN4vllm25paged_attention_v1_kernelIthLi112ELi8ELi128ELNS_18Fp8KVCacheDataTypeE1ELb1EEEvPT_PKS2_PKT0_S8_ifPKiSA_iPKfiiiSC_SC_iiiii.num_agpr, 0
	.set _ZN4vllm25paged_attention_v1_kernelIthLi112ELi8ELi128ELNS_18Fp8KVCacheDataTypeE1ELb1EEEvPT_PKS2_PKT0_S8_ifPKiSA_iPKfiiiSC_SC_iiiii.numbered_sgpr, 45
	.set _ZN4vllm25paged_attention_v1_kernelIthLi112ELi8ELi128ELNS_18Fp8KVCacheDataTypeE1ELb1EEEvPT_PKS2_PKT0_S8_ifPKiSA_iPKfiiiSC_SC_iiiii.num_named_barrier, 0
	.set _ZN4vllm25paged_attention_v1_kernelIthLi112ELi8ELi128ELNS_18Fp8KVCacheDataTypeE1ELb1EEEvPT_PKS2_PKT0_S8_ifPKiSA_iPKfiiiSC_SC_iiiii.private_seg_size, 0
	.set _ZN4vllm25paged_attention_v1_kernelIthLi112ELi8ELi128ELNS_18Fp8KVCacheDataTypeE1ELb1EEEvPT_PKS2_PKT0_S8_ifPKiSA_iPKfiiiSC_SC_iiiii.uses_vcc, 1
	.set _ZN4vllm25paged_attention_v1_kernelIthLi112ELi8ELi128ELNS_18Fp8KVCacheDataTypeE1ELb1EEEvPT_PKS2_PKT0_S8_ifPKiSA_iPKfiiiSC_SC_iiiii.uses_flat_scratch, 0
	.set _ZN4vllm25paged_attention_v1_kernelIthLi112ELi8ELi128ELNS_18Fp8KVCacheDataTypeE1ELb1EEEvPT_PKS2_PKT0_S8_ifPKiSA_iPKfiiiSC_SC_iiiii.has_dyn_sized_stack, 0
	.set _ZN4vllm25paged_attention_v1_kernelIthLi112ELi8ELi128ELNS_18Fp8KVCacheDataTypeE1ELb1EEEvPT_PKS2_PKT0_S8_ifPKiSA_iPKfiiiSC_SC_iiiii.has_recursion, 0
	.set _ZN4vllm25paged_attention_v1_kernelIthLi112ELi8ELi128ELNS_18Fp8KVCacheDataTypeE1ELb1EEEvPT_PKS2_PKT0_S8_ifPKiSA_iPKfiiiSC_SC_iiiii.has_indirect_call, 0
	.section	.AMDGPU.csdata,"",@progbits
; Kernel info:
; codeLenInByte = 21804
; TotalNumSgprs: 47
; NumVgprs: 74
; ScratchSize: 0
; MemoryBound: 0
; FloatMode: 240
; IeeeMode: 1
; LDSByteSize: 256 bytes/workgroup (compile time only)
; SGPRBlocks: 0
; VGPRBlocks: 4
; NumSGPRsForWavesPerEU: 47
; NumVGPRsForWavesPerEU: 74
; NamedBarCnt: 0
; Occupancy: 12
; WaveLimiterHint : 1
; COMPUTE_PGM_RSRC2:SCRATCH_EN: 0
; COMPUTE_PGM_RSRC2:USER_SGPR: 2
; COMPUTE_PGM_RSRC2:TRAP_HANDLER: 0
; COMPUTE_PGM_RSRC2:TGID_X_EN: 1
; COMPUTE_PGM_RSRC2:TGID_Y_EN: 1
; COMPUTE_PGM_RSRC2:TGID_Z_EN: 1
; COMPUTE_PGM_RSRC2:TIDIG_COMP_CNT: 0
	.section	.text._ZN4vllm25paged_attention_v1_kernelIthLi120ELi8ELi128ELNS_18Fp8KVCacheDataTypeE1ELb1EEEvPT_PKS2_PKT0_S8_ifPKiSA_iPKfiiiSC_SC_iiiii,"axG",@progbits,_ZN4vllm25paged_attention_v1_kernelIthLi120ELi8ELi128ELNS_18Fp8KVCacheDataTypeE1ELb1EEEvPT_PKS2_PKT0_S8_ifPKiSA_iPKfiiiSC_SC_iiiii,comdat
	.protected	_ZN4vllm25paged_attention_v1_kernelIthLi120ELi8ELi128ELNS_18Fp8KVCacheDataTypeE1ELb1EEEvPT_PKS2_PKT0_S8_ifPKiSA_iPKfiiiSC_SC_iiiii ; -- Begin function _ZN4vllm25paged_attention_v1_kernelIthLi120ELi8ELi128ELNS_18Fp8KVCacheDataTypeE1ELb1EEEvPT_PKS2_PKT0_S8_ifPKiSA_iPKfiiiSC_SC_iiiii
	.globl	_ZN4vllm25paged_attention_v1_kernelIthLi120ELi8ELi128ELNS_18Fp8KVCacheDataTypeE1ELb1EEEvPT_PKS2_PKT0_S8_ifPKiSA_iPKfiiiSC_SC_iiiii
	.p2align	8
	.type	_ZN4vllm25paged_attention_v1_kernelIthLi120ELi8ELi128ELNS_18Fp8KVCacheDataTypeE1ELb1EEEvPT_PKS2_PKT0_S8_ifPKiSA_iPKfiiiSC_SC_iiiii,@function
_ZN4vllm25paged_attention_v1_kernelIthLi120ELi8ELi128ELNS_18Fp8KVCacheDataTypeE1ELb1EEEvPT_PKS2_PKT0_S8_ifPKiSA_iPKfiiiSC_SC_iiiii: ; @_ZN4vllm25paged_attention_v1_kernelIthLi120ELi8ELi128ELNS_18Fp8KVCacheDataTypeE1ELb1EEEvPT_PKS2_PKT0_S8_ifPKiSA_iPKfiiiSC_SC_iiiii
; %bb.0:
	s_load_b64 s[26:27], s[0:1], 0x20
	s_bfe_u32 s3, ttmp6, 0x4000c
	s_bfe_u32 s4, ttmp6, 0x40010
	s_and_b32 s6, ttmp7, 0xffff
	s_add_co_i32 s3, s3, 1
	s_add_co_i32 s4, s4, 1
	s_and_b32 s2, ttmp6, 15
	s_bfe_u32 s5, ttmp6, 0x40004
	s_mul_i32 s3, ttmp9, s3
	s_mul_i32 s4, s6, s4
	s_getreg_b32 s30, hwreg(HW_REG_IB_STS2, 6, 4)
	s_add_co_i32 s2, s2, s3
	s_add_co_i32 s3, s5, s4
	s_cmp_eq_u32 s30, 0
	s_clause 0x1
	s_load_b32 s31, s[0:1], 0x80
	s_load_b64 s[4:5], s[0:1], 0x30
	s_cselect_b32 s33, s6, s3
	s_cselect_b32 s2, ttmp9, s2
	s_wait_kmcnt 0x0
	s_abs_i32 s3, s26
	s_delay_alu instid0(SALU_CYCLE_1) | instskip(SKIP_1) | instid1(SALU_CYCLE_2)
	s_cvt_f32_u32 s6, s3
	s_sub_co_i32 s7, 0, s3
	v_rcp_iflag_f32_e32 v1, s6
	s_abs_i32 s8, s31
	v_nop
	s_delay_alu instid0(TRANS32_DEP_1) | instskip(SKIP_1) | instid1(SALU_CYCLE_3)
	v_readfirstlane_b32 s6, v1
	s_mul_f32 s6, s6, 0x4f7ffffe
	s_cvt_u32_f32 s6, s6
	s_delay_alu instid0(SALU_CYCLE_3) | instskip(NEXT) | instid1(SALU_CYCLE_1)
	s_mul_i32 s7, s7, s6
	s_mul_hi_u32 s7, s6, s7
	s_delay_alu instid0(SALU_CYCLE_1) | instskip(SKIP_4) | instid1(SALU_CYCLE_1)
	s_add_co_i32 s6, s6, s7
	s_xor_b32 s7, s31, s26
	s_mul_hi_u32 s6, s8, s6
	s_ashr_i32 s7, s7, 31
	s_mul_i32 s9, s6, s3
	s_sub_co_i32 s8, s8, s9
	s_add_co_i32 s9, s6, 1
	s_sub_co_i32 s10, s8, s3
	s_cmp_ge_u32 s8, s3
	s_cselect_b32 s6, s9, s6
	s_cselect_b32 s8, s10, s8
	s_add_co_i32 s9, s6, 1
	s_cmp_ge_u32 s8, s3
	s_load_b64 s[10:11], s[0:1], 0x40
	s_cselect_b32 s3, s9, s6
	s_mov_b32 s9, 0
	s_xor_b32 s3, s3, s7
	s_abs_i32 s8, s2
	s_sub_co_i32 s12, s3, s7
	s_mov_b32 s7, s9
	s_abs_i32 s19, s12
	s_mov_b32 s36, s9
	s_cvt_f32_u32 s3, s19
	s_sub_co_i32 s6, 0, s19
	s_delay_alu instid0(SALU_CYCLE_2) | instskip(SKIP_1) | instid1(TRANS32_DEP_1)
	v_rcp_iflag_f32_e32 v1, s3
	v_nop
	v_readfirstlane_b32 s3, v1
	s_mul_f32 s3, s3, 0x4f7ffffe
	s_delay_alu instid0(SALU_CYCLE_3) | instskip(NEXT) | instid1(SALU_CYCLE_3)
	s_cvt_u32_f32 s3, s3
	s_mul_i32 s6, s6, s3
	s_delay_alu instid0(SALU_CYCLE_1) | instskip(NEXT) | instid1(SALU_CYCLE_1)
	s_mul_hi_u32 s6, s3, s6
	s_add_co_i32 s6, s3, s6
	s_wait_kmcnt 0x0
	s_cmp_eq_u64 s[10:11], 0
	s_cbranch_scc1 .LBB239_2
; %bb.1:
	s_ashr_i32 s3, s2, 31
	s_delay_alu instid0(SALU_CYCLE_1) | instskip(NEXT) | instid1(SALU_CYCLE_1)
	s_lshl_b64 s[14:15], s[2:3], 2
	s_add_nc_u64 s[10:11], s[10:11], s[14:15]
	s_load_b32 s36, s[10:11], 0x0
.LBB239_2:
	s_load_b32 s34, s[4:5], s33 offset:0x0 scale_offset
	s_load_b96 s[16:18], s[0:1], 0x48
	v_and_b32_e32 v6, 3, v0
	s_wait_xcnt 0x0
	s_mul_u64 s[4:5], s[8:9], s[6:7]
	s_ashr_i32 s3, s2, 31
	s_ashr_i32 s10, s12, 31
	s_mul_i32 s6, s2, 0x78
	s_mov_b32 s4, exec_lo
	v_cmpx_gt_u32_e32 60, v0
	s_cbranch_execz .LBB239_4
; %bb.3:
	s_load_b64 s[12:13], s[0:1], 0x8
	s_wait_kmcnt 0x0
	s_mul_i32 s14, s16, s33
	s_ashr_i32 s7, s6, 31
	s_ashr_i32 s15, s14, 31
	v_and_b32_e32 v2, 0x3fc, v0
	s_lshl_b64 s[14:15], s[14:15], 1
	s_delay_alu instid0(VALU_DEP_1) | instskip(SKIP_2) | instid1(SALU_CYCLE_1)
	v_mad_u32_u24 v2, v6, 60, v2
	s_add_nc_u64 s[12:13], s[12:13], s[14:15]
	s_lshl_b64 s[14:15], s[6:7], 1
	s_add_nc_u64 s[12:13], s[12:13], s[14:15]
	global_load_b32 v1, v0, s[12:13] scale_offset
	s_wait_loadcnt 0x0
	ds_store_b32 v2, v1
.LBB239_4:
	s_or_b32 exec_lo, exec_lo, s4
	s_load_b128 s[12:15], s[0:1], 0x68
	s_mul_i32 s4, s5, s19
	s_xor_b32 s3, s3, s10
	s_sub_co_i32 s4, s8, s4
	s_add_co_i32 s7, s5, 1
	s_sub_co_i32 s8, s4, s19
	s_cmp_ge_u32 s4, s19
	s_mov_b32 s9, -1
	s_cselect_b32 s5, s7, s5
	s_cselect_b32 s4, s8, s4
	s_add_co_i32 s8, s5, 1
	s_cmp_ge_u32 s4, s19
	s_load_b32 s7, s[0:1], 0x78
	s_cselect_b32 s4, s8, s5
	s_wait_kmcnt 0x0
	s_add_co_i32 s8, s34, -1
	s_xor_b32 s4, s4, s3
	s_wait_dscnt 0x0
	s_sub_co_i32 s3, s4, s3
	s_barrier_signal -1
	s_barrier_wait -1
	s_abs_i32 s16, s15
	s_delay_alu instid0(SALU_CYCLE_1) | instskip(NEXT) | instid1(SALU_CYCLE_3)
	s_cvt_f32_u32 s5, s16
                                        ; implicit-def: $sgpr35
	v_rcp_iflag_f32_e32 v1, s5
	v_nop
	s_delay_alu instid0(TRANS32_DEP_1) | instskip(SKIP_1) | instid1(SALU_CYCLE_3)
	v_readfirstlane_b32 s5, v1
	s_mul_f32 s4, s5, 0x4f7ffffe
	s_cvt_u32_f32 s10, s4
	s_sub_co_i32 s4, 0, s16
	s_delay_alu instid0(SALU_CYCLE_2)
	s_mul_i32 s5, s4, s10
	s_abs_i32 s4, s8
	s_mul_hi_u32 s11, s10, s5
	s_mov_b32 s5, 0
	s_add_co_i32 s20, s10, s11
	s_cmp_lt_i32 s7, 0
	s_mov_b32 s21, s5
	s_cbranch_scc0 .LBB239_6
; %bb.5:
	s_mul_i32 s9, s12, s26
	s_delay_alu instid0(SALU_CYCLE_1) | instskip(NEXT) | instid1(SALU_CYCLE_1)
	s_add_co_i32 s9, s3, s9
	s_mul_i32 s9, s9, s7
	s_delay_alu instid0(SALU_CYCLE_1)
	s_sub_co_i32 s35, 1, s9
	s_mov_b32 s9, s5
.LBB239_6:
	s_ashr_i32 s8, s8, 31
	s_ashr_i32 s15, s15, 31
	s_and_not1_b32 vcc_lo, exec_lo, s9
	s_mul_u64 s[28:29], s[4:5], s[20:21]
	s_cbranch_vccnz .LBB239_8
; %bb.7:
	s_mul_i32 s5, s31, s12
	s_delay_alu instid0(SALU_CYCLE_1) | instskip(NEXT) | instid1(SALU_CYCLE_1)
	s_add_co_i32 s2, s5, s2
	s_mul_i32 s2, s2, s7
	s_delay_alu instid0(SALU_CYCLE_1)
	s_add_co_i32 s35, s2, 1
.LBB239_8:
	s_clause 0x1
	s_load_b32 s2, s[0:1], 0x38
	s_load_b64 s[22:23], s[0:1], 0x28
	s_mul_i32 s7, s29, s16
	s_xor_b32 s5, s8, s15
	s_sub_co_i32 s4, s4, s7
	s_add_co_i32 s12, s29, 1
	s_clause 0x1
	s_load_b32 s7, s[0:1], 0x88
	s_load_b128 s[8:11], s[0:1], 0x58
	v_dual_mov_b32 v16, 0xff7fffff :: v_dual_lshrrev_b32 v27, 5, v0
	v_lshrrev_b32_e32 v1, 3, v0
	v_mbcnt_lo_u32_b32 v3, -1, 0
	s_mul_i32 s18, s3, s18
	s_delay_alu instid0(VALU_DEP_3)
	v_lshlrev_b32_e32 v2, 3, v27
	s_wait_kmcnt 0x0
	s_mul_i32 s24, s2, s33
	s_sub_co_i32 s2, s4, s16
	s_ashr_i32 s25, s24, 31
	s_cmp_ge_u32 s4, s16
	s_cselect_b32 s12, s12, s29
	s_cselect_b32 s2, s2, s4
	s_add_co_i32 s4, s12, 1
	s_cmp_ge_u32 s2, s16
	s_cselect_b32 s2, s4, s12
	s_add_co_i32 s4, s34, 7
	s_delay_alu instid0(SALU_CYCLE_1) | instskip(NEXT) | instid1(SALU_CYCLE_1)
	s_ashr_i32 s12, s4, 31
	s_lshr_b32 s12, s12, 29
	s_delay_alu instid0(SALU_CYCLE_1) | instskip(NEXT) | instid1(SALU_CYCLE_1)
	s_add_co_i32 s4, s4, s12
	s_ashr_i32 s26, s4, 3
	s_xor_b32 s4, s2, s5
	v_cmp_gt_i32_e64 s2, s26, v27
	s_sub_co_i32 s12, s4, s5
	s_and_saveexec_b32 s37, s2
	s_cbranch_execz .LBB239_260
; %bb.9:
	s_load_b64 s[4:5], s[0:1], 0x10
	s_sub_co_i32 s38, s12, s13
	s_ashr_i32 s19, s18, 31
	s_cmp_neq_f32 s36, 0
	v_bfe_u32 v14, v0, 2, 3
	v_mov_b32_e32 v5, 0
	v_mul_u32_u24_e32 v15, 60, v6
	s_cselect_b32 vcc_lo, -1, 0
	s_abs_i32 s39, s14
	v_lshlrev_b32_e32 v4, 4, v14
	s_cvt_f32_u32 s3, s39
	s_lshl_b64 s[40:41], s[24:25], 2
	v_subrev_nc_u32_e32 v10, s34, v14
	v_mov_b32_e32 v16, 0xff7fffff
	v_rcp_iflag_f32_e32 v7, s3
	v_cmp_eq_u32_e64 s3, 0, v6
	s_delay_alu instid0(VALU_DEP_3)
	v_dual_mov_b32 v20, v27 :: v_dual_add_nc_u32 v17, 1, v10
	s_mov_b32 s29, 0
	v_mov_b32_e32 v19, 0xff7fffff
	s_wait_kmcnt 0x0
	s_add_nc_u64 s[4:5], s[4:5], s[18:19]
	v_readfirstlane_b32 s28, v7
	v_add_nc_u64_e32 v[8:9], s[4:5], v[4:5]
	v_lshlrev_b32_e32 v7, 2, v14
	v_lshlrev_b32_e32 v4, 1, v6
	s_add_nc_u64 s[4:5], s[22:23], s[40:41]
	s_mul_f32 s19, s28, 0x4f7ffffe
	s_sub_co_i32 s28, 0, s39
	v_lshl_or_b32 v11, v27, 5, v7
	v_add_nc_u64_e32 v[6:7], v[8:9], v[4:5]
	v_and_b32_e32 v4, 0x7c, v1
	s_cvt_u32_f32 s40, s19
	s_mov_b32 s19, s17
	v_add_nc_u32_e32 v18, 0x110, v11
	s_delay_alu instid0(VALU_DEP_2) | instskip(SKIP_3) | instid1(SALU_CYCLE_1)
	v_add_nc_u64_e32 v[8:9], s[4:5], v[4:5]
	s_mul_i32 s28, s28, s40
	v_lshlrev_b32_e32 v4, 3, v27
	s_mul_hi_u32 s28, s40, s28
	s_add_co_i32 s28, s40, s28
	s_mov_b32 s40, s29
	s_branch .LBB239_12
.LBB239_10:                             ;   in Loop: Header=BB239_12 Depth=1
	s_or_b32 exec_lo, exec_lo, s41
.LBB239_11:                             ;   in Loop: Header=BB239_12 Depth=1
	s_delay_alu instid0(SALU_CYCLE_1) | instskip(SKIP_4) | instid1(VALU_DEP_4)
	s_or_b32 exec_lo, exec_lo, s5
	v_add_nc_u32_e32 v20, 4, v20
	v_add_nc_u64_e32 v[8:9], 16, v[8:9]
	v_add_nc_u32_e32 v4, 32, v4
	v_add_nc_u32_e32 v18, 0x80, v18
	v_cmp_le_i32_e64 s4, s26, v20
	s_or_b32 s40, s4, s40
	s_delay_alu instid0(SALU_CYCLE_1)
	s_and_not1_b32 exec_lo, exec_lo, s40
	s_cbranch_execz .LBB239_259
.LBB239_12:                             ; =>This Inner Loop Header: Depth=1
	s_wait_dscnt 0x0
	v_mul_u64_e32 v[10:11], s[20:21], v[4:5]
	s_delay_alu instid0(VALU_DEP_1) | instskip(NEXT) | instid1(VALU_DEP_1)
	v_mul_lo_u32 v10, v11, s16
	v_dual_add_nc_u32 v12, 1, v11 :: v_dual_sub_nc_u32 v10, v4, v10
	s_delay_alu instid0(VALU_DEP_1) | instskip(SKIP_1) | instid1(VALU_DEP_1)
	v_subrev_nc_u32_e32 v13, s16, v10
	v_cmp_le_u32_e64 s4, s16, v10
	v_dual_cndmask_b32 v11, v11, v12, s4 :: v_dual_cndmask_b32 v10, v10, v13, s4
	s_delay_alu instid0(VALU_DEP_1) | instskip(NEXT) | instid1(VALU_DEP_2)
	v_add_nc_u32_e32 v12, 1, v11
	v_cmp_le_u32_e64 s4, s16, v10
	s_delay_alu instid0(VALU_DEP_1) | instskip(NEXT) | instid1(VALU_DEP_1)
	v_dual_cndmask_b32 v10, v11, v12, s4 :: v_dual_mov_b32 v11, v5
	v_xor_b32_e32 v10, s15, v10
	s_delay_alu instid0(VALU_DEP_1) | instskip(NEXT) | instid1(VALU_DEP_1)
	v_subrev_nc_u32_e32 v21, s15, v10
	v_add_nc_u32_e32 v22, s35, v21
	v_cmp_ge_i32_e64 s5, s38, v21
	s_delay_alu instid0(VALU_DEP_2) | instskip(NEXT) | instid1(VALU_DEP_1)
	v_sub_nc_u32_e32 v10, 0, v22
	v_max_i32_e32 v10, v22, v10
	s_delay_alu instid0(VALU_DEP_1) | instskip(SKIP_1) | instid1(VALU_DEP_2)
	v_mul_u64_e32 v[12:13], s[28:29], v[10:11]
	v_ashrrev_i32_e32 v12, 31, v22
	v_mul_lo_u32 v11, v13, s39
	s_delay_alu instid0(VALU_DEP_1) | instskip(NEXT) | instid1(VALU_DEP_1)
	v_sub_nc_u32_e32 v10, v10, v11
	v_subrev_nc_u32_e32 v11, s39, v10
	v_cmp_le_u32_e64 s4, s39, v10
	s_delay_alu instid0(VALU_DEP_1) | instskip(NEXT) | instid1(VALU_DEP_1)
	v_cndmask_b32_e64 v10, v10, v11, s4
	v_subrev_nc_u32_e32 v11, s39, v10
	v_cmp_le_u32_e64 s4, s39, v10
	s_delay_alu instid0(VALU_DEP_1) | instskip(NEXT) | instid1(VALU_DEP_1)
	v_cndmask_b32_e64 v10, v10, v11, s4
	v_xor_b32_e32 v10, v10, v12
	s_delay_alu instid0(VALU_DEP_1) | instskip(NEXT) | instid1(VALU_DEP_1)
	v_sub_nc_u32_e32 v10, v10, v12
	v_cmp_ne_u32_e64 s4, 0, v10
	s_and_b32 s4, s4, s5
	s_delay_alu instid0(SALU_CYCLE_1) | instskip(NEXT) | instid1(SALU_CYCLE_1)
	s_and_saveexec_b32 s5, s4
	s_xor_b32 s4, exec_lo, s5
	s_cbranch_execz .LBB239_16
; %bb.13:                               ;   in Loop: Header=BB239_12 Depth=1
	s_and_saveexec_b32 s5, s3
; %bb.14:                               ;   in Loop: Header=BB239_12 Depth=1
	ds_store_b32 v18, v19
; %bb.15:                               ;   in Loop: Header=BB239_12 Depth=1
	s_or_b32 exec_lo, exec_lo, s5
.LBB239_16:                             ;   in Loop: Header=BB239_12 Depth=1
	s_and_not1_saveexec_b32 s5, s4
	s_cbranch_execz .LBB239_11
; %bb.17:                               ;   in Loop: Header=BB239_12 Depth=1
	global_load_b32 v10, v[8:9], off
	v_dual_mov_b32 v22, 0 :: v_dual_mov_b32 v23, 0
	s_mov_b32 s41, exec_lo
	global_load_b32 v21, v22, s[8:9]
	s_wait_loadcnt 0x1
	v_mad_nc_i64_i32 v[10:11], v10, s19, v[6:7]
	global_load_u16 v12, v[10:11], off
	s_wait_loadcnt 0x0
	v_and_b32_e32 v13, 0xff, v12
	v_and_b32_e32 v12, 0xffff, v12
	s_delay_alu instid0(VALU_DEP_2)
	v_cmpx_ne_u16_e32 0, v13
	s_cbranch_execz .LBB239_25
; %bb.18:                               ;   in Loop: Header=BB239_12 Depth=1
	s_delay_alu instid0(VALU_DEP_2) | instskip(SKIP_2) | instid1(VALU_DEP_2)
	v_and_b32_e32 v13, 0xff, v12
	v_mov_b32_e32 v23, 0x8000
	s_mov_b32 s42, exec_lo
	v_cmpx_ne_u16_e32 0x80, v13
	s_cbranch_execz .LBB239_24
; %bb.19:                               ;   in Loop: Header=BB239_12 Depth=1
	v_and_b32_e32 v24, 0x7f, v12
	v_mov_b32_e32 v23, 0x7c01
	s_mov_b32 s43, exec_lo
	s_delay_alu instid0(VALU_DEP_2)
	v_cmpx_ne_u32_e32 0x7f, v24
	s_cbranch_execz .LBB239_23
; %bb.20:                               ;   in Loop: Header=BB239_12 Depth=1
	v_and_b32_e32 v13, 7, v12
	v_lshrrev_b32_e32 v23, 3, v24
	s_mov_b32 s44, exec_lo
	v_cmpx_gt_u32_e32 8, v24
; %bb.21:                               ;   in Loop: Header=BB239_12 Depth=1
	s_delay_alu instid0(VALU_DEP_3) | instskip(NEXT) | instid1(VALU_DEP_1)
	v_clz_i32_u32_e32 v13, v13
	v_min_u32_e32 v13, 32, v13
	s_delay_alu instid0(VALU_DEP_1) | instskip(NEXT) | instid1(VALU_DEP_1)
	v_subrev_nc_u32_e32 v23, 28, v13
	v_lshlrev_b64_e32 v[24:25], v23, v[12:13]
	s_delay_alu instid0(VALU_DEP_1)
	v_dual_sub_nc_u32 v23, 29, v13 :: v_dual_bitop2_b32 v13, 7, v24 bitop3:0x40
; %bb.22:                               ;   in Loop: Header=BB239_12 Depth=1
	s_or_b32 exec_lo, exec_lo, s44
	s_delay_alu instid0(VALU_DEP_1) | instskip(NEXT) | instid1(VALU_DEP_2)
	v_dual_lshlrev_b32 v24, 8, v12 :: v_dual_lshlrev_b32 v13, 7, v13
	v_lshl_add_u32 v23, v23, 10, 0x2000
	s_delay_alu instid0(VALU_DEP_2) | instskip(NEXT) | instid1(VALU_DEP_2)
	v_and_b32_e32 v24, 0x8000, v24
	v_and_b32_e32 v23, 0xfc00, v23
	s_delay_alu instid0(VALU_DEP_1)
	v_or3_b32 v23, v24, v23, v13
.LBB239_23:                             ;   in Loop: Header=BB239_12 Depth=1
	s_or_b32 exec_lo, exec_lo, s43
.LBB239_24:                             ;   in Loop: Header=BB239_12 Depth=1
	s_delay_alu instid0(SALU_CYCLE_1)
	s_or_b32 exec_lo, exec_lo, s42
.LBB239_25:                             ;   in Loop: Header=BB239_12 Depth=1
	s_delay_alu instid0(SALU_CYCLE_1) | instskip(NEXT) | instid1(VALU_DEP_2)
	s_or_b32 exec_lo, exec_lo, s41
	v_lshrrev_b16 v12, 8, v12
	s_mov_b32 s41, exec_lo
	s_delay_alu instid0(VALU_DEP_1)
	v_cmpx_ne_u16_e32 0, v12
	s_cbranch_execz .LBB239_33
; %bb.26:                               ;   in Loop: Header=BB239_12 Depth=1
	v_bfrev_b32_e32 v22, 1
	s_mov_b32 s42, exec_lo
	v_cmpx_ne_u16_e32 0x80, v12
	s_cbranch_execz .LBB239_32
; %bb.27:                               ;   in Loop: Header=BB239_12 Depth=1
	v_and_b32_e32 v24, 0xffff, v12
	v_mov_b32_e32 v22, 0x7c010000
	s_mov_b32 s43, exec_lo
	s_delay_alu instid0(VALU_DEP_2) | instskip(NEXT) | instid1(VALU_DEP_1)
	v_and_b32_e32 v25, 0x7f, v24
	v_cmpx_ne_u32_e32 0x7f, v25
	s_cbranch_execz .LBB239_31
; %bb.28:                               ;   in Loop: Header=BB239_12 Depth=1
	v_dual_lshrrev_b32 v22, 3, v25 :: v_dual_bitop2_b32 v13, 7, v24 bitop3:0x40
	s_mov_b32 s44, exec_lo
	v_cmpx_gt_u32_e32 8, v25
	s_cbranch_execz .LBB239_30
; %bb.29:                               ;   in Loop: Header=BB239_12 Depth=1
	s_delay_alu instid0(VALU_DEP_2) | instskip(NEXT) | instid1(VALU_DEP_1)
	v_clz_i32_u32_e32 v13, v13
	v_min_u32_e32 v22, 32, v13
	v_mov_b32_e32 v13, v5
	s_delay_alu instid0(VALU_DEP_2) | instskip(SKIP_1) | instid1(VALU_DEP_2)
	v_subrev_nc_u32_e32 v25, 28, v22
	v_sub_nc_u32_e32 v22, 29, v22
	v_lshlrev_b64_e32 v[12:13], v25, v[12:13]
	s_delay_alu instid0(VALU_DEP_1)
	v_and_b32_e32 v13, 7, v12
.LBB239_30:                             ;   in Loop: Header=BB239_12 Depth=1
	s_or_b32 exec_lo, exec_lo, s44
	s_delay_alu instid0(VALU_DEP_1) | instskip(SKIP_1) | instid1(VALU_DEP_1)
	v_dual_lshlrev_b32 v12, 8, v24 :: v_dual_lshlrev_b32 v13, 23, v13
	v_lshl_add_u32 v22, v22, 10, 0x2000
	v_and_or_b32 v12, 0x8000, v12, v22
	s_delay_alu instid0(VALU_DEP_1)
	v_lshl_or_b32 v22, v12, 16, v13
.LBB239_31:                             ;   in Loop: Header=BB239_12 Depth=1
	s_or_b32 exec_lo, exec_lo, s43
.LBB239_32:                             ;   in Loop: Header=BB239_12 Depth=1
	s_delay_alu instid0(SALU_CYCLE_1)
	s_or_b32 exec_lo, exec_lo, s42
.LBB239_33:                             ;   in Loop: Header=BB239_12 Depth=1
	s_delay_alu instid0(SALU_CYCLE_1)
	s_or_b32 exec_lo, exec_lo, s41
	global_load_u16 v12, v[10:11], off offset:8
	v_dual_mov_b32 v24, 0 :: v_dual_mov_b32 v25, 0
	s_mov_b32 s41, exec_lo
	s_wait_loadcnt 0x0
	v_and_b32_e32 v13, 0xff, v12
	v_and_b32_e32 v12, 0xffff, v12
	s_delay_alu instid0(VALU_DEP_2)
	v_cmpx_ne_u16_e32 0, v13
	s_cbranch_execz .LBB239_41
; %bb.34:                               ;   in Loop: Header=BB239_12 Depth=1
	s_delay_alu instid0(VALU_DEP_2) | instskip(SKIP_2) | instid1(VALU_DEP_2)
	v_and_b32_e32 v13, 0xff, v12
	v_mov_b32_e32 v25, 0x8000
	s_mov_b32 s42, exec_lo
	v_cmpx_ne_u16_e32 0x80, v13
	s_cbranch_execz .LBB239_40
; %bb.35:                               ;   in Loop: Header=BB239_12 Depth=1
	v_and_b32_e32 v26, 0x7f, v12
	v_mov_b32_e32 v25, 0x7c01
	s_mov_b32 s43, exec_lo
	s_delay_alu instid0(VALU_DEP_2)
	v_cmpx_ne_u32_e32 0x7f, v26
	s_cbranch_execz .LBB239_39
; %bb.36:                               ;   in Loop: Header=BB239_12 Depth=1
	v_dual_lshrrev_b32 v25, 3, v26 :: v_dual_bitop2_b32 v13, 7, v12 bitop3:0x40
	s_mov_b32 s44, exec_lo
	v_cmpx_gt_u32_e32 8, v26
; %bb.37:                               ;   in Loop: Header=BB239_12 Depth=1
	s_delay_alu instid0(VALU_DEP_2) | instskip(NEXT) | instid1(VALU_DEP_1)
	v_clz_i32_u32_e32 v13, v13
	v_min_u32_e32 v13, 32, v13
	s_delay_alu instid0(VALU_DEP_1) | instskip(NEXT) | instid1(VALU_DEP_1)
	v_subrev_nc_u32_e32 v25, 28, v13
	v_lshlrev_b64_e32 v[28:29], v25, v[12:13]
	s_delay_alu instid0(VALU_DEP_1)
	v_dual_sub_nc_u32 v25, 29, v13 :: v_dual_bitop2_b32 v13, 7, v28 bitop3:0x40
; %bb.38:                               ;   in Loop: Header=BB239_12 Depth=1
	s_or_b32 exec_lo, exec_lo, s44
	s_delay_alu instid0(VALU_DEP_1) | instskip(NEXT) | instid1(VALU_DEP_2)
	v_dual_lshlrev_b32 v26, 8, v12 :: v_dual_lshlrev_b32 v13, 7, v13
	v_lshl_add_u32 v25, v25, 10, 0x2000
	s_delay_alu instid0(VALU_DEP_2) | instskip(NEXT) | instid1(VALU_DEP_2)
	v_and_b32_e32 v26, 0x8000, v26
	v_and_b32_e32 v25, 0xfc00, v25
	s_delay_alu instid0(VALU_DEP_1)
	v_or3_b32 v25, v26, v25, v13
.LBB239_39:                             ;   in Loop: Header=BB239_12 Depth=1
	s_or_b32 exec_lo, exec_lo, s43
.LBB239_40:                             ;   in Loop: Header=BB239_12 Depth=1
	s_delay_alu instid0(SALU_CYCLE_1)
	s_or_b32 exec_lo, exec_lo, s42
.LBB239_41:                             ;   in Loop: Header=BB239_12 Depth=1
	s_delay_alu instid0(SALU_CYCLE_1) | instskip(NEXT) | instid1(VALU_DEP_2)
	s_or_b32 exec_lo, exec_lo, s41
	v_lshrrev_b16 v12, 8, v12
	s_mov_b32 s41, exec_lo
	s_delay_alu instid0(VALU_DEP_1)
	v_cmpx_ne_u16_e32 0, v12
	s_cbranch_execz .LBB239_49
; %bb.42:                               ;   in Loop: Header=BB239_12 Depth=1
	v_bfrev_b32_e32 v24, 1
	s_mov_b32 s42, exec_lo
	v_cmpx_ne_u16_e32 0x80, v12
	s_cbranch_execz .LBB239_48
; %bb.43:                               ;   in Loop: Header=BB239_12 Depth=1
	v_and_b32_e32 v26, 0xffff, v12
	v_mov_b32_e32 v24, 0x7c010000
	s_mov_b32 s43, exec_lo
	s_delay_alu instid0(VALU_DEP_2) | instskip(NEXT) | instid1(VALU_DEP_1)
	v_and_b32_e32 v28, 0x7f, v26
	v_cmpx_ne_u32_e32 0x7f, v28
	s_cbranch_execz .LBB239_47
; %bb.44:                               ;   in Loop: Header=BB239_12 Depth=1
	v_dual_lshrrev_b32 v24, 3, v28 :: v_dual_bitop2_b32 v13, 7, v26 bitop3:0x40
	s_mov_b32 s44, exec_lo
	v_cmpx_gt_u32_e32 8, v28
	s_cbranch_execz .LBB239_46
; %bb.45:                               ;   in Loop: Header=BB239_12 Depth=1
	s_delay_alu instid0(VALU_DEP_2) | instskip(NEXT) | instid1(VALU_DEP_1)
	v_clz_i32_u32_e32 v13, v13
	v_min_u32_e32 v24, 32, v13
	v_mov_b32_e32 v13, v5
	s_delay_alu instid0(VALU_DEP_2) | instskip(SKIP_1) | instid1(VALU_DEP_2)
	v_subrev_nc_u32_e32 v28, 28, v24
	v_sub_nc_u32_e32 v24, 29, v24
	v_lshlrev_b64_e32 v[12:13], v28, v[12:13]
	s_delay_alu instid0(VALU_DEP_1)
	v_and_b32_e32 v13, 7, v12
.LBB239_46:                             ;   in Loop: Header=BB239_12 Depth=1
	s_or_b32 exec_lo, exec_lo, s44
	s_delay_alu instid0(VALU_DEP_1) | instskip(SKIP_1) | instid1(VALU_DEP_1)
	v_dual_lshlrev_b32 v12, 8, v26 :: v_dual_lshlrev_b32 v13, 23, v13
	v_lshl_add_u32 v24, v24, 10, 0x2000
	v_and_or_b32 v12, 0x8000, v12, v24
	s_delay_alu instid0(VALU_DEP_1)
	v_lshl_or_b32 v24, v12, 16, v13
.LBB239_47:                             ;   in Loop: Header=BB239_12 Depth=1
	s_or_b32 exec_lo, exec_lo, s43
.LBB239_48:                             ;   in Loop: Header=BB239_12 Depth=1
	s_delay_alu instid0(SALU_CYCLE_1)
	s_or_b32 exec_lo, exec_lo, s42
.LBB239_49:                             ;   in Loop: Header=BB239_12 Depth=1
	s_delay_alu instid0(SALU_CYCLE_1)
	s_or_b32 exec_lo, exec_lo, s41
	global_load_u16 v12, v[10:11], off offset:128
	v_dual_mov_b32 v26, 0 :: v_dual_mov_b32 v28, 0
	s_mov_b32 s41, exec_lo
	s_wait_loadcnt 0x0
	v_and_b32_e32 v13, 0xff, v12
	v_and_b32_e32 v12, 0xffff, v12
	s_delay_alu instid0(VALU_DEP_2)
	v_cmpx_ne_u16_e32 0, v13
	s_cbranch_execz .LBB239_57
; %bb.50:                               ;   in Loop: Header=BB239_12 Depth=1
	s_delay_alu instid0(VALU_DEP_2) | instskip(SKIP_2) | instid1(VALU_DEP_2)
	v_and_b32_e32 v13, 0xff, v12
	v_mov_b32_e32 v28, 0x8000
	s_mov_b32 s42, exec_lo
	v_cmpx_ne_u16_e32 0x80, v13
	s_cbranch_execz .LBB239_56
; %bb.51:                               ;   in Loop: Header=BB239_12 Depth=1
	v_and_b32_e32 v29, 0x7f, v12
	v_mov_b32_e32 v28, 0x7c01
	s_mov_b32 s43, exec_lo
	s_delay_alu instid0(VALU_DEP_2)
	v_cmpx_ne_u32_e32 0x7f, v29
	s_cbranch_execz .LBB239_55
; %bb.52:                               ;   in Loop: Header=BB239_12 Depth=1
	v_dual_lshrrev_b32 v28, 3, v29 :: v_dual_bitop2_b32 v13, 7, v12 bitop3:0x40
	s_mov_b32 s44, exec_lo
	v_cmpx_gt_u32_e32 8, v29
; %bb.53:                               ;   in Loop: Header=BB239_12 Depth=1
	s_delay_alu instid0(VALU_DEP_2) | instskip(NEXT) | instid1(VALU_DEP_1)
	v_clz_i32_u32_e32 v13, v13
	v_min_u32_e32 v13, 32, v13
	s_delay_alu instid0(VALU_DEP_1) | instskip(NEXT) | instid1(VALU_DEP_1)
	v_subrev_nc_u32_e32 v28, 28, v13
	v_lshlrev_b64_e32 v[30:31], v28, v[12:13]
	s_delay_alu instid0(VALU_DEP_1)
	v_dual_sub_nc_u32 v28, 29, v13 :: v_dual_bitop2_b32 v13, 7, v30 bitop3:0x40
; %bb.54:                               ;   in Loop: Header=BB239_12 Depth=1
	s_or_b32 exec_lo, exec_lo, s44
	s_delay_alu instid0(VALU_DEP_1) | instskip(NEXT) | instid1(VALU_DEP_2)
	v_dual_lshlrev_b32 v29, 8, v12 :: v_dual_lshlrev_b32 v13, 7, v13
	v_lshl_add_u32 v28, v28, 10, 0x2000
	s_delay_alu instid0(VALU_DEP_2) | instskip(NEXT) | instid1(VALU_DEP_2)
	v_and_b32_e32 v29, 0x8000, v29
	v_and_b32_e32 v28, 0xfc00, v28
	s_delay_alu instid0(VALU_DEP_1)
	v_or3_b32 v28, v29, v28, v13
.LBB239_55:                             ;   in Loop: Header=BB239_12 Depth=1
	s_or_b32 exec_lo, exec_lo, s43
.LBB239_56:                             ;   in Loop: Header=BB239_12 Depth=1
	s_delay_alu instid0(SALU_CYCLE_1)
	s_or_b32 exec_lo, exec_lo, s42
.LBB239_57:                             ;   in Loop: Header=BB239_12 Depth=1
	s_delay_alu instid0(SALU_CYCLE_1) | instskip(NEXT) | instid1(VALU_DEP_2)
	s_or_b32 exec_lo, exec_lo, s41
	v_lshrrev_b16 v12, 8, v12
	s_mov_b32 s41, exec_lo
	s_delay_alu instid0(VALU_DEP_1)
	v_cmpx_ne_u16_e32 0, v12
	s_cbranch_execz .LBB239_65
; %bb.58:                               ;   in Loop: Header=BB239_12 Depth=1
	v_bfrev_b32_e32 v26, 1
	s_mov_b32 s42, exec_lo
	v_cmpx_ne_u16_e32 0x80, v12
	s_cbranch_execz .LBB239_64
; %bb.59:                               ;   in Loop: Header=BB239_12 Depth=1
	v_and_b32_e32 v29, 0xffff, v12
	v_mov_b32_e32 v26, 0x7c010000
	s_mov_b32 s43, exec_lo
	s_delay_alu instid0(VALU_DEP_2) | instskip(NEXT) | instid1(VALU_DEP_1)
	v_and_b32_e32 v30, 0x7f, v29
	v_cmpx_ne_u32_e32 0x7f, v30
	s_cbranch_execz .LBB239_63
; %bb.60:                               ;   in Loop: Header=BB239_12 Depth=1
	v_dual_lshrrev_b32 v26, 3, v30 :: v_dual_bitop2_b32 v13, 7, v29 bitop3:0x40
	s_mov_b32 s44, exec_lo
	v_cmpx_gt_u32_e32 8, v30
	s_cbranch_execz .LBB239_62
; %bb.61:                               ;   in Loop: Header=BB239_12 Depth=1
	s_delay_alu instid0(VALU_DEP_2) | instskip(NEXT) | instid1(VALU_DEP_1)
	v_clz_i32_u32_e32 v13, v13
	v_min_u32_e32 v26, 32, v13
	v_mov_b32_e32 v13, v5
	s_delay_alu instid0(VALU_DEP_2) | instskip(SKIP_1) | instid1(VALU_DEP_2)
	v_subrev_nc_u32_e32 v30, 28, v26
	v_sub_nc_u32_e32 v26, 29, v26
	v_lshlrev_b64_e32 v[12:13], v30, v[12:13]
	s_delay_alu instid0(VALU_DEP_1)
	v_and_b32_e32 v13, 7, v12
.LBB239_62:                             ;   in Loop: Header=BB239_12 Depth=1
	s_or_b32 exec_lo, exec_lo, s44
	v_lshlrev_b32_e32 v12, 8, v29
	v_lshl_add_u32 v26, v26, 10, 0x2000
	s_delay_alu instid0(VALU_DEP_3) | instskip(NEXT) | instid1(VALU_DEP_2)
	v_lshlrev_b32_e32 v13, 23, v13
	v_and_or_b32 v12, 0x8000, v12, v26
	s_delay_alu instid0(VALU_DEP_1)
	v_lshl_or_b32 v26, v12, 16, v13
.LBB239_63:                             ;   in Loop: Header=BB239_12 Depth=1
	s_or_b32 exec_lo, exec_lo, s43
.LBB239_64:                             ;   in Loop: Header=BB239_12 Depth=1
	s_delay_alu instid0(SALU_CYCLE_1)
	s_or_b32 exec_lo, exec_lo, s42
.LBB239_65:                             ;   in Loop: Header=BB239_12 Depth=1
	s_delay_alu instid0(SALU_CYCLE_1)
	s_or_b32 exec_lo, exec_lo, s41
	global_load_u16 v12, v[10:11], off offset:136
	v_dual_mov_b32 v29, 0 :: v_dual_mov_b32 v30, 0
	s_mov_b32 s41, exec_lo
	s_wait_loadcnt 0x0
	v_and_b32_e32 v13, 0xff, v12
	v_and_b32_e32 v12, 0xffff, v12
	s_delay_alu instid0(VALU_DEP_2)
	v_cmpx_ne_u16_e32 0, v13
	s_cbranch_execz .LBB239_73
; %bb.66:                               ;   in Loop: Header=BB239_12 Depth=1
	s_delay_alu instid0(VALU_DEP_2) | instskip(SKIP_2) | instid1(VALU_DEP_2)
	v_and_b32_e32 v13, 0xff, v12
	v_mov_b32_e32 v30, 0x8000
	s_mov_b32 s42, exec_lo
	v_cmpx_ne_u16_e32 0x80, v13
	s_cbranch_execz .LBB239_72
; %bb.67:                               ;   in Loop: Header=BB239_12 Depth=1
	v_and_b32_e32 v31, 0x7f, v12
	v_mov_b32_e32 v30, 0x7c01
	s_mov_b32 s43, exec_lo
	s_delay_alu instid0(VALU_DEP_2)
	v_cmpx_ne_u32_e32 0x7f, v31
	s_cbranch_execz .LBB239_71
; %bb.68:                               ;   in Loop: Header=BB239_12 Depth=1
	v_dual_lshrrev_b32 v30, 3, v31 :: v_dual_bitop2_b32 v13, 7, v12 bitop3:0x40
	s_mov_b32 s44, exec_lo
	v_cmpx_gt_u32_e32 8, v31
; %bb.69:                               ;   in Loop: Header=BB239_12 Depth=1
	s_delay_alu instid0(VALU_DEP_2) | instskip(NEXT) | instid1(VALU_DEP_1)
	v_clz_i32_u32_e32 v13, v13
	v_min_u32_e32 v13, 32, v13
	s_delay_alu instid0(VALU_DEP_1) | instskip(NEXT) | instid1(VALU_DEP_1)
	v_subrev_nc_u32_e32 v30, 28, v13
	v_lshlrev_b64_e32 v[32:33], v30, v[12:13]
	s_delay_alu instid0(VALU_DEP_1)
	v_dual_sub_nc_u32 v30, 29, v13 :: v_dual_bitop2_b32 v13, 7, v32 bitop3:0x40
; %bb.70:                               ;   in Loop: Header=BB239_12 Depth=1
	s_or_b32 exec_lo, exec_lo, s44
	s_delay_alu instid0(VALU_DEP_1) | instskip(NEXT) | instid1(VALU_DEP_2)
	v_dual_lshlrev_b32 v31, 8, v12 :: v_dual_lshlrev_b32 v13, 7, v13
	v_lshl_add_u32 v30, v30, 10, 0x2000
	s_delay_alu instid0(VALU_DEP_2) | instskip(NEXT) | instid1(VALU_DEP_2)
	v_and_b32_e32 v31, 0x8000, v31
	v_and_b32_e32 v30, 0xfc00, v30
	s_delay_alu instid0(VALU_DEP_1)
	v_or3_b32 v30, v31, v30, v13
.LBB239_71:                             ;   in Loop: Header=BB239_12 Depth=1
	s_or_b32 exec_lo, exec_lo, s43
.LBB239_72:                             ;   in Loop: Header=BB239_12 Depth=1
	s_delay_alu instid0(SALU_CYCLE_1)
	s_or_b32 exec_lo, exec_lo, s42
.LBB239_73:                             ;   in Loop: Header=BB239_12 Depth=1
	s_delay_alu instid0(SALU_CYCLE_1) | instskip(NEXT) | instid1(VALU_DEP_2)
	s_or_b32 exec_lo, exec_lo, s41
	v_lshrrev_b16 v12, 8, v12
	s_mov_b32 s41, exec_lo
	s_delay_alu instid0(VALU_DEP_1)
	v_cmpx_ne_u16_e32 0, v12
	s_cbranch_execz .LBB239_81
; %bb.74:                               ;   in Loop: Header=BB239_12 Depth=1
	v_bfrev_b32_e32 v29, 1
	s_mov_b32 s42, exec_lo
	v_cmpx_ne_u16_e32 0x80, v12
	s_cbranch_execz .LBB239_80
; %bb.75:                               ;   in Loop: Header=BB239_12 Depth=1
	v_and_b32_e32 v31, 0xffff, v12
	v_mov_b32_e32 v29, 0x7c010000
	s_mov_b32 s43, exec_lo
	s_delay_alu instid0(VALU_DEP_2) | instskip(NEXT) | instid1(VALU_DEP_1)
	v_and_b32_e32 v32, 0x7f, v31
	v_cmpx_ne_u32_e32 0x7f, v32
	s_cbranch_execz .LBB239_79
; %bb.76:                               ;   in Loop: Header=BB239_12 Depth=1
	v_dual_lshrrev_b32 v29, 3, v32 :: v_dual_bitop2_b32 v13, 7, v31 bitop3:0x40
	s_mov_b32 s44, exec_lo
	v_cmpx_gt_u32_e32 8, v32
	s_cbranch_execz .LBB239_78
; %bb.77:                               ;   in Loop: Header=BB239_12 Depth=1
	s_delay_alu instid0(VALU_DEP_2) | instskip(NEXT) | instid1(VALU_DEP_1)
	v_clz_i32_u32_e32 v13, v13
	v_min_u32_e32 v29, 32, v13
	v_mov_b32_e32 v13, v5
	s_delay_alu instid0(VALU_DEP_2) | instskip(SKIP_1) | instid1(VALU_DEP_2)
	v_subrev_nc_u32_e32 v32, 28, v29
	v_sub_nc_u32_e32 v29, 29, v29
	v_lshlrev_b64_e32 v[12:13], v32, v[12:13]
	s_delay_alu instid0(VALU_DEP_1)
	v_and_b32_e32 v13, 7, v12
.LBB239_78:                             ;   in Loop: Header=BB239_12 Depth=1
	s_or_b32 exec_lo, exec_lo, s44
	s_delay_alu instid0(VALU_DEP_1) | instskip(SKIP_1) | instid1(VALU_DEP_1)
	v_dual_lshlrev_b32 v12, 8, v31 :: v_dual_lshlrev_b32 v13, 23, v13
	v_lshl_add_u32 v29, v29, 10, 0x2000
	v_and_or_b32 v12, 0x8000, v12, v29
	s_delay_alu instid0(VALU_DEP_1)
	v_lshl_or_b32 v29, v12, 16, v13
.LBB239_79:                             ;   in Loop: Header=BB239_12 Depth=1
	s_or_b32 exec_lo, exec_lo, s43
.LBB239_80:                             ;   in Loop: Header=BB239_12 Depth=1
	s_delay_alu instid0(SALU_CYCLE_1)
	s_or_b32 exec_lo, exec_lo, s42
.LBB239_81:                             ;   in Loop: Header=BB239_12 Depth=1
	s_delay_alu instid0(SALU_CYCLE_1)
	s_or_b32 exec_lo, exec_lo, s41
	global_load_u16 v12, v[10:11], off offset:256
	v_dual_mov_b32 v31, 0 :: v_dual_mov_b32 v32, 0
	s_mov_b32 s41, exec_lo
	s_wait_loadcnt 0x0
	v_and_b32_e32 v13, 0xff, v12
	v_and_b32_e32 v12, 0xffff, v12
	s_delay_alu instid0(VALU_DEP_2)
	v_cmpx_ne_u16_e32 0, v13
	s_cbranch_execz .LBB239_89
; %bb.82:                               ;   in Loop: Header=BB239_12 Depth=1
	s_delay_alu instid0(VALU_DEP_2) | instskip(SKIP_2) | instid1(VALU_DEP_2)
	v_and_b32_e32 v13, 0xff, v12
	v_mov_b32_e32 v32, 0x8000
	s_mov_b32 s42, exec_lo
	v_cmpx_ne_u16_e32 0x80, v13
	s_cbranch_execz .LBB239_88
; %bb.83:                               ;   in Loop: Header=BB239_12 Depth=1
	v_and_b32_e32 v33, 0x7f, v12
	v_mov_b32_e32 v32, 0x7c01
	s_mov_b32 s43, exec_lo
	s_delay_alu instid0(VALU_DEP_2)
	v_cmpx_ne_u32_e32 0x7f, v33
	s_cbranch_execz .LBB239_87
; %bb.84:                               ;   in Loop: Header=BB239_12 Depth=1
	v_dual_lshrrev_b32 v32, 3, v33 :: v_dual_bitop2_b32 v13, 7, v12 bitop3:0x40
	s_mov_b32 s44, exec_lo
	v_cmpx_gt_u32_e32 8, v33
; %bb.85:                               ;   in Loop: Header=BB239_12 Depth=1
	s_delay_alu instid0(VALU_DEP_2) | instskip(NEXT) | instid1(VALU_DEP_1)
	v_clz_i32_u32_e32 v13, v13
	v_min_u32_e32 v13, 32, v13
	s_delay_alu instid0(VALU_DEP_1) | instskip(NEXT) | instid1(VALU_DEP_1)
	v_subrev_nc_u32_e32 v32, 28, v13
	v_lshlrev_b64_e32 v[34:35], v32, v[12:13]
	s_delay_alu instid0(VALU_DEP_1)
	v_dual_sub_nc_u32 v32, 29, v13 :: v_dual_bitop2_b32 v13, 7, v34 bitop3:0x40
; %bb.86:                               ;   in Loop: Header=BB239_12 Depth=1
	s_or_b32 exec_lo, exec_lo, s44
	s_delay_alu instid0(VALU_DEP_1) | instskip(NEXT) | instid1(VALU_DEP_2)
	v_dual_lshlrev_b32 v33, 8, v12 :: v_dual_lshlrev_b32 v13, 7, v13
	v_lshl_add_u32 v32, v32, 10, 0x2000
	s_delay_alu instid0(VALU_DEP_2) | instskip(NEXT) | instid1(VALU_DEP_2)
	v_and_b32_e32 v33, 0x8000, v33
	v_and_b32_e32 v32, 0xfc00, v32
	s_delay_alu instid0(VALU_DEP_1)
	v_or3_b32 v32, v33, v32, v13
.LBB239_87:                             ;   in Loop: Header=BB239_12 Depth=1
	s_or_b32 exec_lo, exec_lo, s43
.LBB239_88:                             ;   in Loop: Header=BB239_12 Depth=1
	s_delay_alu instid0(SALU_CYCLE_1)
	s_or_b32 exec_lo, exec_lo, s42
.LBB239_89:                             ;   in Loop: Header=BB239_12 Depth=1
	s_delay_alu instid0(SALU_CYCLE_1) | instskip(NEXT) | instid1(VALU_DEP_2)
	s_or_b32 exec_lo, exec_lo, s41
	v_lshrrev_b16 v12, 8, v12
	s_mov_b32 s41, exec_lo
	s_delay_alu instid0(VALU_DEP_1)
	v_cmpx_ne_u16_e32 0, v12
	s_cbranch_execz .LBB239_97
; %bb.90:                               ;   in Loop: Header=BB239_12 Depth=1
	v_bfrev_b32_e32 v31, 1
	s_mov_b32 s42, exec_lo
	v_cmpx_ne_u16_e32 0x80, v12
	s_cbranch_execz .LBB239_96
; %bb.91:                               ;   in Loop: Header=BB239_12 Depth=1
	v_and_b32_e32 v33, 0xffff, v12
	v_mov_b32_e32 v31, 0x7c010000
	s_mov_b32 s43, exec_lo
	s_delay_alu instid0(VALU_DEP_2) | instskip(NEXT) | instid1(VALU_DEP_1)
	v_and_b32_e32 v34, 0x7f, v33
	v_cmpx_ne_u32_e32 0x7f, v34
	s_cbranch_execz .LBB239_95
; %bb.92:                               ;   in Loop: Header=BB239_12 Depth=1
	v_dual_lshrrev_b32 v31, 3, v34 :: v_dual_bitop2_b32 v13, 7, v33 bitop3:0x40
	s_mov_b32 s44, exec_lo
	v_cmpx_gt_u32_e32 8, v34
	s_cbranch_execz .LBB239_94
; %bb.93:                               ;   in Loop: Header=BB239_12 Depth=1
	s_delay_alu instid0(VALU_DEP_2) | instskip(NEXT) | instid1(VALU_DEP_1)
	v_clz_i32_u32_e32 v13, v13
	v_min_u32_e32 v31, 32, v13
	v_mov_b32_e32 v13, v5
	s_delay_alu instid0(VALU_DEP_2) | instskip(SKIP_1) | instid1(VALU_DEP_2)
	v_subrev_nc_u32_e32 v34, 28, v31
	v_sub_nc_u32_e32 v31, 29, v31
	v_lshlrev_b64_e32 v[12:13], v34, v[12:13]
	s_delay_alu instid0(VALU_DEP_1)
	v_and_b32_e32 v13, 7, v12
.LBB239_94:                             ;   in Loop: Header=BB239_12 Depth=1
	s_or_b32 exec_lo, exec_lo, s44
	v_lshlrev_b32_e32 v12, 8, v33
	v_lshl_add_u32 v31, v31, 10, 0x2000
	s_delay_alu instid0(VALU_DEP_3) | instskip(NEXT) | instid1(VALU_DEP_2)
	v_lshlrev_b32_e32 v13, 23, v13
	v_and_or_b32 v12, 0x8000, v12, v31
	s_delay_alu instid0(VALU_DEP_1)
	v_lshl_or_b32 v31, v12, 16, v13
.LBB239_95:                             ;   in Loop: Header=BB239_12 Depth=1
	s_or_b32 exec_lo, exec_lo, s43
.LBB239_96:                             ;   in Loop: Header=BB239_12 Depth=1
	s_delay_alu instid0(SALU_CYCLE_1)
	s_or_b32 exec_lo, exec_lo, s42
.LBB239_97:                             ;   in Loop: Header=BB239_12 Depth=1
	s_delay_alu instid0(SALU_CYCLE_1)
	s_or_b32 exec_lo, exec_lo, s41
	global_load_u16 v12, v[10:11], off offset:264
	v_dual_mov_b32 v33, 0 :: v_dual_mov_b32 v34, 0
	s_mov_b32 s41, exec_lo
	s_wait_loadcnt 0x0
	v_and_b32_e32 v13, 0xff, v12
	v_and_b32_e32 v12, 0xffff, v12
	s_delay_alu instid0(VALU_DEP_2)
	v_cmpx_ne_u16_e32 0, v13
	s_cbranch_execz .LBB239_105
; %bb.98:                               ;   in Loop: Header=BB239_12 Depth=1
	s_delay_alu instid0(VALU_DEP_2) | instskip(SKIP_2) | instid1(VALU_DEP_2)
	v_and_b32_e32 v13, 0xff, v12
	v_mov_b32_e32 v34, 0x8000
	s_mov_b32 s42, exec_lo
	v_cmpx_ne_u16_e32 0x80, v13
	s_cbranch_execz .LBB239_104
; %bb.99:                               ;   in Loop: Header=BB239_12 Depth=1
	v_and_b32_e32 v35, 0x7f, v12
	v_mov_b32_e32 v34, 0x7c01
	s_mov_b32 s43, exec_lo
	s_delay_alu instid0(VALU_DEP_2)
	v_cmpx_ne_u32_e32 0x7f, v35
	s_cbranch_execz .LBB239_103
; %bb.100:                              ;   in Loop: Header=BB239_12 Depth=1
	v_dual_lshrrev_b32 v34, 3, v35 :: v_dual_bitop2_b32 v13, 7, v12 bitop3:0x40
	s_mov_b32 s44, exec_lo
	v_cmpx_gt_u32_e32 8, v35
; %bb.101:                              ;   in Loop: Header=BB239_12 Depth=1
	s_delay_alu instid0(VALU_DEP_2) | instskip(NEXT) | instid1(VALU_DEP_1)
	v_clz_i32_u32_e32 v13, v13
	v_min_u32_e32 v13, 32, v13
	s_delay_alu instid0(VALU_DEP_1) | instskip(NEXT) | instid1(VALU_DEP_1)
	v_subrev_nc_u32_e32 v34, 28, v13
	v_lshlrev_b64_e32 v[36:37], v34, v[12:13]
	s_delay_alu instid0(VALU_DEP_1)
	v_dual_sub_nc_u32 v34, 29, v13 :: v_dual_bitop2_b32 v13, 7, v36 bitop3:0x40
; %bb.102:                              ;   in Loop: Header=BB239_12 Depth=1
	s_or_b32 exec_lo, exec_lo, s44
	s_delay_alu instid0(VALU_DEP_1) | instskip(NEXT) | instid1(VALU_DEP_2)
	v_dual_lshlrev_b32 v35, 8, v12 :: v_dual_lshlrev_b32 v13, 7, v13
	v_lshl_add_u32 v34, v34, 10, 0x2000
	s_delay_alu instid0(VALU_DEP_2) | instskip(NEXT) | instid1(VALU_DEP_2)
	v_and_b32_e32 v35, 0x8000, v35
	v_and_b32_e32 v34, 0xfc00, v34
	s_delay_alu instid0(VALU_DEP_1)
	v_or3_b32 v34, v35, v34, v13
.LBB239_103:                            ;   in Loop: Header=BB239_12 Depth=1
	s_or_b32 exec_lo, exec_lo, s43
.LBB239_104:                            ;   in Loop: Header=BB239_12 Depth=1
	s_delay_alu instid0(SALU_CYCLE_1)
	s_or_b32 exec_lo, exec_lo, s42
.LBB239_105:                            ;   in Loop: Header=BB239_12 Depth=1
	s_delay_alu instid0(SALU_CYCLE_1) | instskip(NEXT) | instid1(VALU_DEP_2)
	s_or_b32 exec_lo, exec_lo, s41
	v_lshrrev_b16 v12, 8, v12
	s_mov_b32 s41, exec_lo
	s_delay_alu instid0(VALU_DEP_1)
	v_cmpx_ne_u16_e32 0, v12
	s_cbranch_execz .LBB239_113
; %bb.106:                              ;   in Loop: Header=BB239_12 Depth=1
	v_bfrev_b32_e32 v33, 1
	s_mov_b32 s42, exec_lo
	v_cmpx_ne_u16_e32 0x80, v12
	s_cbranch_execz .LBB239_112
; %bb.107:                              ;   in Loop: Header=BB239_12 Depth=1
	v_and_b32_e32 v35, 0xffff, v12
	v_mov_b32_e32 v33, 0x7c010000
	s_mov_b32 s43, exec_lo
	s_delay_alu instid0(VALU_DEP_2) | instskip(NEXT) | instid1(VALU_DEP_1)
	v_and_b32_e32 v36, 0x7f, v35
	v_cmpx_ne_u32_e32 0x7f, v36
	s_cbranch_execz .LBB239_111
; %bb.108:                              ;   in Loop: Header=BB239_12 Depth=1
	v_dual_lshrrev_b32 v33, 3, v36 :: v_dual_bitop2_b32 v13, 7, v35 bitop3:0x40
	s_mov_b32 s44, exec_lo
	v_cmpx_gt_u32_e32 8, v36
	s_cbranch_execz .LBB239_110
; %bb.109:                              ;   in Loop: Header=BB239_12 Depth=1
	s_delay_alu instid0(VALU_DEP_2) | instskip(NEXT) | instid1(VALU_DEP_1)
	v_clz_i32_u32_e32 v13, v13
	v_min_u32_e32 v33, 32, v13
	v_mov_b32_e32 v13, v5
	s_delay_alu instid0(VALU_DEP_2) | instskip(SKIP_1) | instid1(VALU_DEP_2)
	v_subrev_nc_u32_e32 v36, 28, v33
	v_sub_nc_u32_e32 v33, 29, v33
	v_lshlrev_b64_e32 v[12:13], v36, v[12:13]
	s_delay_alu instid0(VALU_DEP_1)
	v_and_b32_e32 v13, 7, v12
.LBB239_110:                            ;   in Loop: Header=BB239_12 Depth=1
	s_or_b32 exec_lo, exec_lo, s44
	s_delay_alu instid0(VALU_DEP_1) | instskip(SKIP_1) | instid1(VALU_DEP_1)
	v_dual_lshlrev_b32 v12, 8, v35 :: v_dual_lshlrev_b32 v13, 23, v13
	v_lshl_add_u32 v33, v33, 10, 0x2000
	v_and_or_b32 v12, 0x8000, v12, v33
	s_delay_alu instid0(VALU_DEP_1)
	v_lshl_or_b32 v33, v12, 16, v13
.LBB239_111:                            ;   in Loop: Header=BB239_12 Depth=1
	s_or_b32 exec_lo, exec_lo, s43
.LBB239_112:                            ;   in Loop: Header=BB239_12 Depth=1
	s_delay_alu instid0(SALU_CYCLE_1)
	s_or_b32 exec_lo, exec_lo, s42
.LBB239_113:                            ;   in Loop: Header=BB239_12 Depth=1
	s_delay_alu instid0(SALU_CYCLE_1)
	s_or_b32 exec_lo, exec_lo, s41
	global_load_u16 v12, v[10:11], off offset:384
	v_dual_mov_b32 v35, 0 :: v_dual_mov_b32 v36, 0
	s_mov_b32 s41, exec_lo
	s_wait_loadcnt 0x0
	v_and_b32_e32 v13, 0xff, v12
	v_and_b32_e32 v12, 0xffff, v12
	s_delay_alu instid0(VALU_DEP_2)
	v_cmpx_ne_u16_e32 0, v13
	s_cbranch_execz .LBB239_121
; %bb.114:                              ;   in Loop: Header=BB239_12 Depth=1
	s_delay_alu instid0(VALU_DEP_2) | instskip(SKIP_2) | instid1(VALU_DEP_2)
	v_and_b32_e32 v13, 0xff, v12
	v_mov_b32_e32 v36, 0x8000
	s_mov_b32 s42, exec_lo
	v_cmpx_ne_u16_e32 0x80, v13
	s_cbranch_execz .LBB239_120
; %bb.115:                              ;   in Loop: Header=BB239_12 Depth=1
	v_and_b32_e32 v37, 0x7f, v12
	v_mov_b32_e32 v36, 0x7c01
	s_mov_b32 s43, exec_lo
	s_delay_alu instid0(VALU_DEP_2)
	v_cmpx_ne_u32_e32 0x7f, v37
	s_cbranch_execz .LBB239_119
; %bb.116:                              ;   in Loop: Header=BB239_12 Depth=1
	v_dual_lshrrev_b32 v36, 3, v37 :: v_dual_bitop2_b32 v13, 7, v12 bitop3:0x40
	s_mov_b32 s44, exec_lo
	v_cmpx_gt_u32_e32 8, v37
; %bb.117:                              ;   in Loop: Header=BB239_12 Depth=1
	s_delay_alu instid0(VALU_DEP_2) | instskip(NEXT) | instid1(VALU_DEP_1)
	v_clz_i32_u32_e32 v13, v13
	v_min_u32_e32 v13, 32, v13
	s_delay_alu instid0(VALU_DEP_1) | instskip(NEXT) | instid1(VALU_DEP_1)
	v_subrev_nc_u32_e32 v36, 28, v13
	v_lshlrev_b64_e32 v[38:39], v36, v[12:13]
	s_delay_alu instid0(VALU_DEP_1)
	v_dual_sub_nc_u32 v36, 29, v13 :: v_dual_bitop2_b32 v13, 7, v38 bitop3:0x40
; %bb.118:                              ;   in Loop: Header=BB239_12 Depth=1
	s_or_b32 exec_lo, exec_lo, s44
	s_delay_alu instid0(VALU_DEP_1) | instskip(NEXT) | instid1(VALU_DEP_2)
	v_dual_lshlrev_b32 v37, 8, v12 :: v_dual_lshlrev_b32 v13, 7, v13
	v_lshl_add_u32 v36, v36, 10, 0x2000
	s_delay_alu instid0(VALU_DEP_2) | instskip(NEXT) | instid1(VALU_DEP_2)
	v_and_b32_e32 v37, 0x8000, v37
	v_and_b32_e32 v36, 0xfc00, v36
	s_delay_alu instid0(VALU_DEP_1)
	v_or3_b32 v36, v37, v36, v13
.LBB239_119:                            ;   in Loop: Header=BB239_12 Depth=1
	s_or_b32 exec_lo, exec_lo, s43
.LBB239_120:                            ;   in Loop: Header=BB239_12 Depth=1
	s_delay_alu instid0(SALU_CYCLE_1)
	s_or_b32 exec_lo, exec_lo, s42
.LBB239_121:                            ;   in Loop: Header=BB239_12 Depth=1
	s_delay_alu instid0(SALU_CYCLE_1) | instskip(NEXT) | instid1(VALU_DEP_2)
	s_or_b32 exec_lo, exec_lo, s41
	v_lshrrev_b16 v12, 8, v12
	s_mov_b32 s41, exec_lo
	s_delay_alu instid0(VALU_DEP_1)
	v_cmpx_ne_u16_e32 0, v12
	s_cbranch_execz .LBB239_129
; %bb.122:                              ;   in Loop: Header=BB239_12 Depth=1
	v_bfrev_b32_e32 v35, 1
	s_mov_b32 s42, exec_lo
	v_cmpx_ne_u16_e32 0x80, v12
	s_cbranch_execz .LBB239_128
; %bb.123:                              ;   in Loop: Header=BB239_12 Depth=1
	v_and_b32_e32 v37, 0xffff, v12
	v_mov_b32_e32 v35, 0x7c010000
	s_mov_b32 s43, exec_lo
	s_delay_alu instid0(VALU_DEP_2) | instskip(NEXT) | instid1(VALU_DEP_1)
	v_and_b32_e32 v38, 0x7f, v37
	v_cmpx_ne_u32_e32 0x7f, v38
	s_cbranch_execz .LBB239_127
; %bb.124:                              ;   in Loop: Header=BB239_12 Depth=1
	v_dual_lshrrev_b32 v35, 3, v38 :: v_dual_bitop2_b32 v13, 7, v37 bitop3:0x40
	s_mov_b32 s44, exec_lo
	v_cmpx_gt_u32_e32 8, v38
	s_cbranch_execz .LBB239_126
; %bb.125:                              ;   in Loop: Header=BB239_12 Depth=1
	s_delay_alu instid0(VALU_DEP_2) | instskip(NEXT) | instid1(VALU_DEP_1)
	v_clz_i32_u32_e32 v13, v13
	v_min_u32_e32 v35, 32, v13
	v_mov_b32_e32 v13, v5
	s_delay_alu instid0(VALU_DEP_2) | instskip(SKIP_1) | instid1(VALU_DEP_2)
	v_subrev_nc_u32_e32 v38, 28, v35
	v_sub_nc_u32_e32 v35, 29, v35
	v_lshlrev_b64_e32 v[12:13], v38, v[12:13]
	s_delay_alu instid0(VALU_DEP_1)
	v_and_b32_e32 v13, 7, v12
.LBB239_126:                            ;   in Loop: Header=BB239_12 Depth=1
	s_or_b32 exec_lo, exec_lo, s44
	v_lshlrev_b32_e32 v12, 8, v37
	v_lshl_add_u32 v35, v35, 10, 0x2000
	s_delay_alu instid0(VALU_DEP_3) | instskip(NEXT) | instid1(VALU_DEP_2)
	v_lshlrev_b32_e32 v13, 23, v13
	v_and_or_b32 v12, 0x8000, v12, v35
	s_delay_alu instid0(VALU_DEP_1)
	v_lshl_or_b32 v35, v12, 16, v13
.LBB239_127:                            ;   in Loop: Header=BB239_12 Depth=1
	s_or_b32 exec_lo, exec_lo, s43
.LBB239_128:                            ;   in Loop: Header=BB239_12 Depth=1
	s_delay_alu instid0(SALU_CYCLE_1)
	s_or_b32 exec_lo, exec_lo, s42
.LBB239_129:                            ;   in Loop: Header=BB239_12 Depth=1
	s_delay_alu instid0(SALU_CYCLE_1)
	s_or_b32 exec_lo, exec_lo, s41
	global_load_u16 v12, v[10:11], off offset:392
	v_dual_mov_b32 v37, 0 :: v_dual_mov_b32 v38, 0
	s_mov_b32 s41, exec_lo
	s_wait_loadcnt 0x0
	v_and_b32_e32 v13, 0xff, v12
	v_and_b32_e32 v12, 0xffff, v12
	s_delay_alu instid0(VALU_DEP_2)
	v_cmpx_ne_u16_e32 0, v13
	s_cbranch_execz .LBB239_137
; %bb.130:                              ;   in Loop: Header=BB239_12 Depth=1
	s_delay_alu instid0(VALU_DEP_2) | instskip(SKIP_2) | instid1(VALU_DEP_2)
	v_and_b32_e32 v13, 0xff, v12
	v_mov_b32_e32 v38, 0x8000
	s_mov_b32 s42, exec_lo
	v_cmpx_ne_u16_e32 0x80, v13
	s_cbranch_execz .LBB239_136
; %bb.131:                              ;   in Loop: Header=BB239_12 Depth=1
	v_and_b32_e32 v39, 0x7f, v12
	v_mov_b32_e32 v38, 0x7c01
	s_mov_b32 s43, exec_lo
	s_delay_alu instid0(VALU_DEP_2)
	v_cmpx_ne_u32_e32 0x7f, v39
	s_cbranch_execz .LBB239_135
; %bb.132:                              ;   in Loop: Header=BB239_12 Depth=1
	v_dual_lshrrev_b32 v38, 3, v39 :: v_dual_bitop2_b32 v13, 7, v12 bitop3:0x40
	s_mov_b32 s44, exec_lo
	v_cmpx_gt_u32_e32 8, v39
; %bb.133:                              ;   in Loop: Header=BB239_12 Depth=1
	s_delay_alu instid0(VALU_DEP_2) | instskip(NEXT) | instid1(VALU_DEP_1)
	v_clz_i32_u32_e32 v13, v13
	v_min_u32_e32 v13, 32, v13
	s_delay_alu instid0(VALU_DEP_1) | instskip(NEXT) | instid1(VALU_DEP_1)
	v_subrev_nc_u32_e32 v38, 28, v13
	v_lshlrev_b64_e32 v[40:41], v38, v[12:13]
	s_delay_alu instid0(VALU_DEP_1)
	v_dual_sub_nc_u32 v38, 29, v13 :: v_dual_bitop2_b32 v13, 7, v40 bitop3:0x40
; %bb.134:                              ;   in Loop: Header=BB239_12 Depth=1
	s_or_b32 exec_lo, exec_lo, s44
	s_delay_alu instid0(VALU_DEP_1) | instskip(NEXT) | instid1(VALU_DEP_2)
	v_dual_lshlrev_b32 v39, 8, v12 :: v_dual_lshlrev_b32 v13, 7, v13
	v_lshl_add_u32 v38, v38, 10, 0x2000
	s_delay_alu instid0(VALU_DEP_2) | instskip(NEXT) | instid1(VALU_DEP_2)
	v_and_b32_e32 v39, 0x8000, v39
	v_and_b32_e32 v38, 0xfc00, v38
	s_delay_alu instid0(VALU_DEP_1)
	v_or3_b32 v38, v39, v38, v13
.LBB239_135:                            ;   in Loop: Header=BB239_12 Depth=1
	s_or_b32 exec_lo, exec_lo, s43
.LBB239_136:                            ;   in Loop: Header=BB239_12 Depth=1
	s_delay_alu instid0(SALU_CYCLE_1)
	s_or_b32 exec_lo, exec_lo, s42
.LBB239_137:                            ;   in Loop: Header=BB239_12 Depth=1
	s_delay_alu instid0(SALU_CYCLE_1) | instskip(NEXT) | instid1(VALU_DEP_2)
	s_or_b32 exec_lo, exec_lo, s41
	v_lshrrev_b16 v12, 8, v12
	s_mov_b32 s41, exec_lo
	s_delay_alu instid0(VALU_DEP_1)
	v_cmpx_ne_u16_e32 0, v12
	s_cbranch_execz .LBB239_145
; %bb.138:                              ;   in Loop: Header=BB239_12 Depth=1
	v_bfrev_b32_e32 v37, 1
	s_mov_b32 s42, exec_lo
	v_cmpx_ne_u16_e32 0x80, v12
	s_cbranch_execz .LBB239_144
; %bb.139:                              ;   in Loop: Header=BB239_12 Depth=1
	v_and_b32_e32 v39, 0xffff, v12
	v_mov_b32_e32 v37, 0x7c010000
	s_mov_b32 s43, exec_lo
	s_delay_alu instid0(VALU_DEP_2) | instskip(NEXT) | instid1(VALU_DEP_1)
	v_and_b32_e32 v40, 0x7f, v39
	v_cmpx_ne_u32_e32 0x7f, v40
	s_cbranch_execz .LBB239_143
; %bb.140:                              ;   in Loop: Header=BB239_12 Depth=1
	v_dual_lshrrev_b32 v37, 3, v40 :: v_dual_bitop2_b32 v13, 7, v39 bitop3:0x40
	s_mov_b32 s44, exec_lo
	v_cmpx_gt_u32_e32 8, v40
	s_cbranch_execz .LBB239_142
; %bb.141:                              ;   in Loop: Header=BB239_12 Depth=1
	s_delay_alu instid0(VALU_DEP_2) | instskip(NEXT) | instid1(VALU_DEP_1)
	v_clz_i32_u32_e32 v13, v13
	v_min_u32_e32 v37, 32, v13
	v_mov_b32_e32 v13, v5
	s_delay_alu instid0(VALU_DEP_2) | instskip(SKIP_1) | instid1(VALU_DEP_2)
	v_subrev_nc_u32_e32 v40, 28, v37
	v_sub_nc_u32_e32 v37, 29, v37
	v_lshlrev_b64_e32 v[12:13], v40, v[12:13]
	s_delay_alu instid0(VALU_DEP_1)
	v_and_b32_e32 v13, 7, v12
.LBB239_142:                            ;   in Loop: Header=BB239_12 Depth=1
	s_or_b32 exec_lo, exec_lo, s44
	s_delay_alu instid0(VALU_DEP_1) | instskip(SKIP_1) | instid1(VALU_DEP_1)
	v_dual_lshlrev_b32 v12, 8, v39 :: v_dual_lshlrev_b32 v13, 23, v13
	v_lshl_add_u32 v37, v37, 10, 0x2000
	v_and_or_b32 v12, 0x8000, v12, v37
	s_delay_alu instid0(VALU_DEP_1)
	v_lshl_or_b32 v37, v12, 16, v13
.LBB239_143:                            ;   in Loop: Header=BB239_12 Depth=1
	s_or_b32 exec_lo, exec_lo, s43
.LBB239_144:                            ;   in Loop: Header=BB239_12 Depth=1
	s_delay_alu instid0(SALU_CYCLE_1)
	s_or_b32 exec_lo, exec_lo, s42
.LBB239_145:                            ;   in Loop: Header=BB239_12 Depth=1
	s_delay_alu instid0(SALU_CYCLE_1)
	s_or_b32 exec_lo, exec_lo, s41
	global_load_u16 v12, v[10:11], off offset:512
	v_dual_mov_b32 v39, 0 :: v_dual_mov_b32 v40, 0
	s_mov_b32 s41, exec_lo
	s_wait_loadcnt 0x0
	v_and_b32_e32 v13, 0xff, v12
	v_and_b32_e32 v12, 0xffff, v12
	s_delay_alu instid0(VALU_DEP_2)
	v_cmpx_ne_u16_e32 0, v13
	s_cbranch_execz .LBB239_153
; %bb.146:                              ;   in Loop: Header=BB239_12 Depth=1
	s_delay_alu instid0(VALU_DEP_2) | instskip(SKIP_2) | instid1(VALU_DEP_2)
	v_and_b32_e32 v13, 0xff, v12
	v_mov_b32_e32 v40, 0x8000
	s_mov_b32 s42, exec_lo
	v_cmpx_ne_u16_e32 0x80, v13
	s_cbranch_execz .LBB239_152
; %bb.147:                              ;   in Loop: Header=BB239_12 Depth=1
	v_and_b32_e32 v41, 0x7f, v12
	v_mov_b32_e32 v40, 0x7c01
	s_mov_b32 s43, exec_lo
	s_delay_alu instid0(VALU_DEP_2)
	v_cmpx_ne_u32_e32 0x7f, v41
	s_cbranch_execz .LBB239_151
; %bb.148:                              ;   in Loop: Header=BB239_12 Depth=1
	v_dual_lshrrev_b32 v40, 3, v41 :: v_dual_bitop2_b32 v13, 7, v12 bitop3:0x40
	s_mov_b32 s44, exec_lo
	v_cmpx_gt_u32_e32 8, v41
; %bb.149:                              ;   in Loop: Header=BB239_12 Depth=1
	s_delay_alu instid0(VALU_DEP_2) | instskip(NEXT) | instid1(VALU_DEP_1)
	v_clz_i32_u32_e32 v13, v13
	v_min_u32_e32 v13, 32, v13
	s_delay_alu instid0(VALU_DEP_1) | instskip(NEXT) | instid1(VALU_DEP_1)
	v_subrev_nc_u32_e32 v40, 28, v13
	v_lshlrev_b64_e32 v[42:43], v40, v[12:13]
	s_delay_alu instid0(VALU_DEP_1)
	v_dual_sub_nc_u32 v40, 29, v13 :: v_dual_bitop2_b32 v13, 7, v42 bitop3:0x40
; %bb.150:                              ;   in Loop: Header=BB239_12 Depth=1
	s_or_b32 exec_lo, exec_lo, s44
	s_delay_alu instid0(VALU_DEP_1) | instskip(NEXT) | instid1(VALU_DEP_2)
	v_dual_lshlrev_b32 v41, 8, v12 :: v_dual_lshlrev_b32 v13, 7, v13
	v_lshl_add_u32 v40, v40, 10, 0x2000
	s_delay_alu instid0(VALU_DEP_2) | instskip(NEXT) | instid1(VALU_DEP_2)
	v_and_b32_e32 v41, 0x8000, v41
	v_and_b32_e32 v40, 0xfc00, v40
	s_delay_alu instid0(VALU_DEP_1)
	v_or3_b32 v40, v41, v40, v13
.LBB239_151:                            ;   in Loop: Header=BB239_12 Depth=1
	s_or_b32 exec_lo, exec_lo, s43
.LBB239_152:                            ;   in Loop: Header=BB239_12 Depth=1
	s_delay_alu instid0(SALU_CYCLE_1)
	s_or_b32 exec_lo, exec_lo, s42
.LBB239_153:                            ;   in Loop: Header=BB239_12 Depth=1
	s_delay_alu instid0(SALU_CYCLE_1) | instskip(NEXT) | instid1(VALU_DEP_2)
	s_or_b32 exec_lo, exec_lo, s41
	v_lshrrev_b16 v12, 8, v12
	s_mov_b32 s41, exec_lo
	s_delay_alu instid0(VALU_DEP_1)
	v_cmpx_ne_u16_e32 0, v12
	s_cbranch_execz .LBB239_161
; %bb.154:                              ;   in Loop: Header=BB239_12 Depth=1
	v_bfrev_b32_e32 v39, 1
	s_mov_b32 s42, exec_lo
	v_cmpx_ne_u16_e32 0x80, v12
	s_cbranch_execz .LBB239_160
; %bb.155:                              ;   in Loop: Header=BB239_12 Depth=1
	v_and_b32_e32 v41, 0xffff, v12
	v_mov_b32_e32 v39, 0x7c010000
	s_mov_b32 s43, exec_lo
	s_delay_alu instid0(VALU_DEP_2) | instskip(NEXT) | instid1(VALU_DEP_1)
	v_and_b32_e32 v42, 0x7f, v41
	v_cmpx_ne_u32_e32 0x7f, v42
	s_cbranch_execz .LBB239_159
; %bb.156:                              ;   in Loop: Header=BB239_12 Depth=1
	v_dual_lshrrev_b32 v39, 3, v42 :: v_dual_bitop2_b32 v13, 7, v41 bitop3:0x40
	s_mov_b32 s44, exec_lo
	v_cmpx_gt_u32_e32 8, v42
	s_cbranch_execz .LBB239_158
; %bb.157:                              ;   in Loop: Header=BB239_12 Depth=1
	s_delay_alu instid0(VALU_DEP_2) | instskip(NEXT) | instid1(VALU_DEP_1)
	v_clz_i32_u32_e32 v13, v13
	v_min_u32_e32 v39, 32, v13
	v_mov_b32_e32 v13, v5
	s_delay_alu instid0(VALU_DEP_2) | instskip(SKIP_1) | instid1(VALU_DEP_2)
	v_subrev_nc_u32_e32 v42, 28, v39
	v_sub_nc_u32_e32 v39, 29, v39
	v_lshlrev_b64_e32 v[12:13], v42, v[12:13]
	s_delay_alu instid0(VALU_DEP_1)
	v_and_b32_e32 v13, 7, v12
.LBB239_158:                            ;   in Loop: Header=BB239_12 Depth=1
	s_or_b32 exec_lo, exec_lo, s44
	v_lshlrev_b32_e32 v12, 8, v41
	v_lshl_add_u32 v39, v39, 10, 0x2000
	s_delay_alu instid0(VALU_DEP_3) | instskip(NEXT) | instid1(VALU_DEP_2)
	v_lshlrev_b32_e32 v13, 23, v13
	v_and_or_b32 v12, 0x8000, v12, v39
	s_delay_alu instid0(VALU_DEP_1)
	v_lshl_or_b32 v39, v12, 16, v13
.LBB239_159:                            ;   in Loop: Header=BB239_12 Depth=1
	s_or_b32 exec_lo, exec_lo, s43
.LBB239_160:                            ;   in Loop: Header=BB239_12 Depth=1
	s_delay_alu instid0(SALU_CYCLE_1)
	s_or_b32 exec_lo, exec_lo, s42
.LBB239_161:                            ;   in Loop: Header=BB239_12 Depth=1
	s_delay_alu instid0(SALU_CYCLE_1)
	s_or_b32 exec_lo, exec_lo, s41
	global_load_u16 v12, v[10:11], off offset:520
	v_dual_mov_b32 v41, 0 :: v_dual_mov_b32 v42, 0
	s_mov_b32 s41, exec_lo
	s_wait_loadcnt 0x0
	v_and_b32_e32 v13, 0xff, v12
	v_and_b32_e32 v12, 0xffff, v12
	s_delay_alu instid0(VALU_DEP_2)
	v_cmpx_ne_u16_e32 0, v13
	s_cbranch_execz .LBB239_169
; %bb.162:                              ;   in Loop: Header=BB239_12 Depth=1
	s_delay_alu instid0(VALU_DEP_2) | instskip(SKIP_2) | instid1(VALU_DEP_2)
	v_and_b32_e32 v13, 0xff, v12
	v_mov_b32_e32 v42, 0x8000
	s_mov_b32 s42, exec_lo
	v_cmpx_ne_u16_e32 0x80, v13
	s_cbranch_execz .LBB239_168
; %bb.163:                              ;   in Loop: Header=BB239_12 Depth=1
	v_and_b32_e32 v43, 0x7f, v12
	v_mov_b32_e32 v42, 0x7c01
	s_mov_b32 s43, exec_lo
	s_delay_alu instid0(VALU_DEP_2)
	v_cmpx_ne_u32_e32 0x7f, v43
	s_cbranch_execz .LBB239_167
; %bb.164:                              ;   in Loop: Header=BB239_12 Depth=1
	v_dual_lshrrev_b32 v42, 3, v43 :: v_dual_bitop2_b32 v13, 7, v12 bitop3:0x40
	s_mov_b32 s44, exec_lo
	v_cmpx_gt_u32_e32 8, v43
; %bb.165:                              ;   in Loop: Header=BB239_12 Depth=1
	s_delay_alu instid0(VALU_DEP_2) | instskip(NEXT) | instid1(VALU_DEP_1)
	v_clz_i32_u32_e32 v13, v13
	v_min_u32_e32 v13, 32, v13
	s_delay_alu instid0(VALU_DEP_1) | instskip(NEXT) | instid1(VALU_DEP_1)
	v_subrev_nc_u32_e32 v42, 28, v13
	v_lshlrev_b64_e32 v[44:45], v42, v[12:13]
	s_delay_alu instid0(VALU_DEP_1)
	v_dual_sub_nc_u32 v42, 29, v13 :: v_dual_bitop2_b32 v13, 7, v44 bitop3:0x40
; %bb.166:                              ;   in Loop: Header=BB239_12 Depth=1
	s_or_b32 exec_lo, exec_lo, s44
	s_delay_alu instid0(VALU_DEP_1) | instskip(NEXT) | instid1(VALU_DEP_2)
	v_dual_lshlrev_b32 v43, 8, v12 :: v_dual_lshlrev_b32 v13, 7, v13
	v_lshl_add_u32 v42, v42, 10, 0x2000
	s_delay_alu instid0(VALU_DEP_2) | instskip(NEXT) | instid1(VALU_DEP_2)
	v_and_b32_e32 v43, 0x8000, v43
	v_and_b32_e32 v42, 0xfc00, v42
	s_delay_alu instid0(VALU_DEP_1)
	v_or3_b32 v42, v43, v42, v13
.LBB239_167:                            ;   in Loop: Header=BB239_12 Depth=1
	s_or_b32 exec_lo, exec_lo, s43
.LBB239_168:                            ;   in Loop: Header=BB239_12 Depth=1
	s_delay_alu instid0(SALU_CYCLE_1)
	s_or_b32 exec_lo, exec_lo, s42
.LBB239_169:                            ;   in Loop: Header=BB239_12 Depth=1
	s_delay_alu instid0(SALU_CYCLE_1) | instskip(NEXT) | instid1(VALU_DEP_2)
	s_or_b32 exec_lo, exec_lo, s41
	v_lshrrev_b16 v12, 8, v12
	s_mov_b32 s41, exec_lo
	s_delay_alu instid0(VALU_DEP_1)
	v_cmpx_ne_u16_e32 0, v12
	s_cbranch_execz .LBB239_177
; %bb.170:                              ;   in Loop: Header=BB239_12 Depth=1
	v_bfrev_b32_e32 v41, 1
	s_mov_b32 s42, exec_lo
	v_cmpx_ne_u16_e32 0x80, v12
	s_cbranch_execz .LBB239_176
; %bb.171:                              ;   in Loop: Header=BB239_12 Depth=1
	v_and_b32_e32 v43, 0xffff, v12
	v_mov_b32_e32 v41, 0x7c010000
	s_mov_b32 s43, exec_lo
	s_delay_alu instid0(VALU_DEP_2) | instskip(NEXT) | instid1(VALU_DEP_1)
	v_and_b32_e32 v44, 0x7f, v43
	v_cmpx_ne_u32_e32 0x7f, v44
	s_cbranch_execz .LBB239_175
; %bb.172:                              ;   in Loop: Header=BB239_12 Depth=1
	v_dual_lshrrev_b32 v41, 3, v44 :: v_dual_bitop2_b32 v13, 7, v43 bitop3:0x40
	s_mov_b32 s44, exec_lo
	v_cmpx_gt_u32_e32 8, v44
	s_cbranch_execz .LBB239_174
; %bb.173:                              ;   in Loop: Header=BB239_12 Depth=1
	s_delay_alu instid0(VALU_DEP_2) | instskip(NEXT) | instid1(VALU_DEP_1)
	v_clz_i32_u32_e32 v13, v13
	v_min_u32_e32 v41, 32, v13
	v_mov_b32_e32 v13, v5
	s_delay_alu instid0(VALU_DEP_2) | instskip(SKIP_1) | instid1(VALU_DEP_2)
	v_subrev_nc_u32_e32 v44, 28, v41
	v_sub_nc_u32_e32 v41, 29, v41
	v_lshlrev_b64_e32 v[12:13], v44, v[12:13]
	s_delay_alu instid0(VALU_DEP_1)
	v_and_b32_e32 v13, 7, v12
.LBB239_174:                            ;   in Loop: Header=BB239_12 Depth=1
	s_or_b32 exec_lo, exec_lo, s44
	s_delay_alu instid0(VALU_DEP_1) | instskip(SKIP_1) | instid1(VALU_DEP_1)
	v_dual_lshlrev_b32 v12, 8, v43 :: v_dual_lshlrev_b32 v13, 23, v13
	v_lshl_add_u32 v41, v41, 10, 0x2000
	v_and_or_b32 v12, 0x8000, v12, v41
	s_delay_alu instid0(VALU_DEP_1)
	v_lshl_or_b32 v41, v12, 16, v13
.LBB239_175:                            ;   in Loop: Header=BB239_12 Depth=1
	s_or_b32 exec_lo, exec_lo, s43
.LBB239_176:                            ;   in Loop: Header=BB239_12 Depth=1
	s_delay_alu instid0(SALU_CYCLE_1)
	s_or_b32 exec_lo, exec_lo, s42
.LBB239_177:                            ;   in Loop: Header=BB239_12 Depth=1
	s_delay_alu instid0(SALU_CYCLE_1)
	s_or_b32 exec_lo, exec_lo, s41
	global_load_u16 v12, v[10:11], off offset:640
	v_dual_mov_b32 v43, 0 :: v_dual_mov_b32 v44, 0
	s_mov_b32 s41, exec_lo
	s_wait_loadcnt 0x0
	v_and_b32_e32 v13, 0xff, v12
	v_and_b32_e32 v12, 0xffff, v12
	s_delay_alu instid0(VALU_DEP_2)
	v_cmpx_ne_u16_e32 0, v13
	s_cbranch_execz .LBB239_185
; %bb.178:                              ;   in Loop: Header=BB239_12 Depth=1
	s_delay_alu instid0(VALU_DEP_2) | instskip(SKIP_2) | instid1(VALU_DEP_2)
	v_and_b32_e32 v13, 0xff, v12
	v_mov_b32_e32 v44, 0x8000
	s_mov_b32 s42, exec_lo
	v_cmpx_ne_u16_e32 0x80, v13
	s_cbranch_execz .LBB239_184
; %bb.179:                              ;   in Loop: Header=BB239_12 Depth=1
	v_and_b32_e32 v45, 0x7f, v12
	v_mov_b32_e32 v44, 0x7c01
	s_mov_b32 s43, exec_lo
	s_delay_alu instid0(VALU_DEP_2)
	v_cmpx_ne_u32_e32 0x7f, v45
	s_cbranch_execz .LBB239_183
; %bb.180:                              ;   in Loop: Header=BB239_12 Depth=1
	v_dual_lshrrev_b32 v44, 3, v45 :: v_dual_bitop2_b32 v13, 7, v12 bitop3:0x40
	s_mov_b32 s44, exec_lo
	v_cmpx_gt_u32_e32 8, v45
; %bb.181:                              ;   in Loop: Header=BB239_12 Depth=1
	s_delay_alu instid0(VALU_DEP_2) | instskip(NEXT) | instid1(VALU_DEP_1)
	v_clz_i32_u32_e32 v13, v13
	v_min_u32_e32 v13, 32, v13
	s_delay_alu instid0(VALU_DEP_1) | instskip(NEXT) | instid1(VALU_DEP_1)
	v_subrev_nc_u32_e32 v44, 28, v13
	v_lshlrev_b64_e32 v[46:47], v44, v[12:13]
	s_delay_alu instid0(VALU_DEP_1)
	v_dual_sub_nc_u32 v44, 29, v13 :: v_dual_bitop2_b32 v13, 7, v46 bitop3:0x40
; %bb.182:                              ;   in Loop: Header=BB239_12 Depth=1
	s_or_b32 exec_lo, exec_lo, s44
	s_delay_alu instid0(VALU_DEP_1) | instskip(NEXT) | instid1(VALU_DEP_2)
	v_dual_lshlrev_b32 v45, 8, v12 :: v_dual_lshlrev_b32 v13, 7, v13
	v_lshl_add_u32 v44, v44, 10, 0x2000
	s_delay_alu instid0(VALU_DEP_2) | instskip(NEXT) | instid1(VALU_DEP_2)
	v_and_b32_e32 v45, 0x8000, v45
	v_and_b32_e32 v44, 0xfc00, v44
	s_delay_alu instid0(VALU_DEP_1)
	v_or3_b32 v44, v45, v44, v13
.LBB239_183:                            ;   in Loop: Header=BB239_12 Depth=1
	s_or_b32 exec_lo, exec_lo, s43
.LBB239_184:                            ;   in Loop: Header=BB239_12 Depth=1
	s_delay_alu instid0(SALU_CYCLE_1)
	s_or_b32 exec_lo, exec_lo, s42
.LBB239_185:                            ;   in Loop: Header=BB239_12 Depth=1
	s_delay_alu instid0(SALU_CYCLE_1) | instskip(NEXT) | instid1(VALU_DEP_2)
	s_or_b32 exec_lo, exec_lo, s41
	v_lshrrev_b16 v12, 8, v12
	s_mov_b32 s41, exec_lo
	s_delay_alu instid0(VALU_DEP_1)
	v_cmpx_ne_u16_e32 0, v12
	s_cbranch_execz .LBB239_193
; %bb.186:                              ;   in Loop: Header=BB239_12 Depth=1
	v_bfrev_b32_e32 v43, 1
	s_mov_b32 s42, exec_lo
	v_cmpx_ne_u16_e32 0x80, v12
	s_cbranch_execz .LBB239_192
; %bb.187:                              ;   in Loop: Header=BB239_12 Depth=1
	v_and_b32_e32 v45, 0xffff, v12
	v_mov_b32_e32 v43, 0x7c010000
	s_mov_b32 s43, exec_lo
	s_delay_alu instid0(VALU_DEP_2) | instskip(NEXT) | instid1(VALU_DEP_1)
	v_and_b32_e32 v46, 0x7f, v45
	v_cmpx_ne_u32_e32 0x7f, v46
	s_cbranch_execz .LBB239_191
; %bb.188:                              ;   in Loop: Header=BB239_12 Depth=1
	v_dual_lshrrev_b32 v43, 3, v46 :: v_dual_bitop2_b32 v13, 7, v45 bitop3:0x40
	s_mov_b32 s44, exec_lo
	v_cmpx_gt_u32_e32 8, v46
	s_cbranch_execz .LBB239_190
; %bb.189:                              ;   in Loop: Header=BB239_12 Depth=1
	s_delay_alu instid0(VALU_DEP_2) | instskip(NEXT) | instid1(VALU_DEP_1)
	v_clz_i32_u32_e32 v13, v13
	v_min_u32_e32 v43, 32, v13
	v_mov_b32_e32 v13, v5
	s_delay_alu instid0(VALU_DEP_2) | instskip(SKIP_1) | instid1(VALU_DEP_2)
	v_subrev_nc_u32_e32 v46, 28, v43
	v_sub_nc_u32_e32 v43, 29, v43
	v_lshlrev_b64_e32 v[12:13], v46, v[12:13]
	s_delay_alu instid0(VALU_DEP_1)
	v_and_b32_e32 v13, 7, v12
.LBB239_190:                            ;   in Loop: Header=BB239_12 Depth=1
	s_or_b32 exec_lo, exec_lo, s44
	v_lshlrev_b32_e32 v12, 8, v45
	v_lshl_add_u32 v43, v43, 10, 0x2000
	s_delay_alu instid0(VALU_DEP_3) | instskip(NEXT) | instid1(VALU_DEP_2)
	v_lshlrev_b32_e32 v13, 23, v13
	v_and_or_b32 v12, 0x8000, v12, v43
	s_delay_alu instid0(VALU_DEP_1)
	v_lshl_or_b32 v43, v12, 16, v13
.LBB239_191:                            ;   in Loop: Header=BB239_12 Depth=1
	s_or_b32 exec_lo, exec_lo, s43
.LBB239_192:                            ;   in Loop: Header=BB239_12 Depth=1
	s_delay_alu instid0(SALU_CYCLE_1)
	s_or_b32 exec_lo, exec_lo, s42
.LBB239_193:                            ;   in Loop: Header=BB239_12 Depth=1
	s_delay_alu instid0(SALU_CYCLE_1)
	s_or_b32 exec_lo, exec_lo, s41
	global_load_u16 v12, v[10:11], off offset:648
	v_dual_mov_b32 v45, 0 :: v_dual_mov_b32 v46, 0
	s_mov_b32 s41, exec_lo
	s_wait_loadcnt 0x0
	v_and_b32_e32 v13, 0xff, v12
	v_and_b32_e32 v12, 0xffff, v12
	s_delay_alu instid0(VALU_DEP_2)
	v_cmpx_ne_u16_e32 0, v13
	s_cbranch_execz .LBB239_201
; %bb.194:                              ;   in Loop: Header=BB239_12 Depth=1
	s_delay_alu instid0(VALU_DEP_2) | instskip(SKIP_2) | instid1(VALU_DEP_2)
	v_and_b32_e32 v13, 0xff, v12
	v_mov_b32_e32 v46, 0x8000
	s_mov_b32 s42, exec_lo
	v_cmpx_ne_u16_e32 0x80, v13
	s_cbranch_execz .LBB239_200
; %bb.195:                              ;   in Loop: Header=BB239_12 Depth=1
	v_and_b32_e32 v47, 0x7f, v12
	v_mov_b32_e32 v46, 0x7c01
	s_mov_b32 s43, exec_lo
	s_delay_alu instid0(VALU_DEP_2)
	v_cmpx_ne_u32_e32 0x7f, v47
	s_cbranch_execz .LBB239_199
; %bb.196:                              ;   in Loop: Header=BB239_12 Depth=1
	v_dual_lshrrev_b32 v46, 3, v47 :: v_dual_bitop2_b32 v13, 7, v12 bitop3:0x40
	s_mov_b32 s44, exec_lo
	v_cmpx_gt_u32_e32 8, v47
; %bb.197:                              ;   in Loop: Header=BB239_12 Depth=1
	s_delay_alu instid0(VALU_DEP_2) | instskip(NEXT) | instid1(VALU_DEP_1)
	v_clz_i32_u32_e32 v13, v13
	v_min_u32_e32 v13, 32, v13
	s_delay_alu instid0(VALU_DEP_1) | instskip(NEXT) | instid1(VALU_DEP_1)
	v_subrev_nc_u32_e32 v46, 28, v13
	v_lshlrev_b64_e32 v[48:49], v46, v[12:13]
	s_delay_alu instid0(VALU_DEP_1)
	v_dual_sub_nc_u32 v46, 29, v13 :: v_dual_bitop2_b32 v13, 7, v48 bitop3:0x40
; %bb.198:                              ;   in Loop: Header=BB239_12 Depth=1
	s_or_b32 exec_lo, exec_lo, s44
	s_delay_alu instid0(VALU_DEP_1) | instskip(NEXT) | instid1(VALU_DEP_2)
	v_dual_lshlrev_b32 v47, 8, v12 :: v_dual_lshlrev_b32 v13, 7, v13
	v_lshl_add_u32 v46, v46, 10, 0x2000
	s_delay_alu instid0(VALU_DEP_2) | instskip(NEXT) | instid1(VALU_DEP_2)
	v_and_b32_e32 v47, 0x8000, v47
	v_and_b32_e32 v46, 0xfc00, v46
	s_delay_alu instid0(VALU_DEP_1)
	v_or3_b32 v46, v47, v46, v13
.LBB239_199:                            ;   in Loop: Header=BB239_12 Depth=1
	s_or_b32 exec_lo, exec_lo, s43
.LBB239_200:                            ;   in Loop: Header=BB239_12 Depth=1
	s_delay_alu instid0(SALU_CYCLE_1)
	s_or_b32 exec_lo, exec_lo, s42
.LBB239_201:                            ;   in Loop: Header=BB239_12 Depth=1
	s_delay_alu instid0(SALU_CYCLE_1) | instskip(NEXT) | instid1(VALU_DEP_2)
	s_or_b32 exec_lo, exec_lo, s41
	v_lshrrev_b16 v12, 8, v12
	s_mov_b32 s41, exec_lo
	s_delay_alu instid0(VALU_DEP_1)
	v_cmpx_ne_u16_e32 0, v12
	s_cbranch_execz .LBB239_209
; %bb.202:                              ;   in Loop: Header=BB239_12 Depth=1
	v_bfrev_b32_e32 v45, 1
	s_mov_b32 s42, exec_lo
	v_cmpx_ne_u16_e32 0x80, v12
	s_cbranch_execz .LBB239_208
; %bb.203:                              ;   in Loop: Header=BB239_12 Depth=1
	v_and_b32_e32 v47, 0xffff, v12
	v_mov_b32_e32 v45, 0x7c010000
	s_mov_b32 s43, exec_lo
	s_delay_alu instid0(VALU_DEP_2) | instskip(NEXT) | instid1(VALU_DEP_1)
	v_and_b32_e32 v48, 0x7f, v47
	v_cmpx_ne_u32_e32 0x7f, v48
	s_cbranch_execz .LBB239_207
; %bb.204:                              ;   in Loop: Header=BB239_12 Depth=1
	v_dual_lshrrev_b32 v45, 3, v48 :: v_dual_bitop2_b32 v13, 7, v47 bitop3:0x40
	s_mov_b32 s44, exec_lo
	v_cmpx_gt_u32_e32 8, v48
	s_cbranch_execz .LBB239_206
; %bb.205:                              ;   in Loop: Header=BB239_12 Depth=1
	s_delay_alu instid0(VALU_DEP_2) | instskip(NEXT) | instid1(VALU_DEP_1)
	v_clz_i32_u32_e32 v13, v13
	v_min_u32_e32 v45, 32, v13
	v_mov_b32_e32 v13, v5
	s_delay_alu instid0(VALU_DEP_2) | instskip(SKIP_1) | instid1(VALU_DEP_2)
	v_subrev_nc_u32_e32 v48, 28, v45
	v_sub_nc_u32_e32 v45, 29, v45
	v_lshlrev_b64_e32 v[12:13], v48, v[12:13]
	s_delay_alu instid0(VALU_DEP_1)
	v_and_b32_e32 v13, 7, v12
.LBB239_206:                            ;   in Loop: Header=BB239_12 Depth=1
	s_or_b32 exec_lo, exec_lo, s44
	s_delay_alu instid0(VALU_DEP_1) | instskip(SKIP_1) | instid1(VALU_DEP_1)
	v_dual_lshlrev_b32 v12, 8, v47 :: v_dual_lshlrev_b32 v13, 23, v13
	v_lshl_add_u32 v45, v45, 10, 0x2000
	v_and_or_b32 v12, 0x8000, v12, v45
	s_delay_alu instid0(VALU_DEP_1)
	v_lshl_or_b32 v45, v12, 16, v13
.LBB239_207:                            ;   in Loop: Header=BB239_12 Depth=1
	s_or_b32 exec_lo, exec_lo, s43
.LBB239_208:                            ;   in Loop: Header=BB239_12 Depth=1
	s_delay_alu instid0(SALU_CYCLE_1)
	s_or_b32 exec_lo, exec_lo, s42
.LBB239_209:                            ;   in Loop: Header=BB239_12 Depth=1
	s_delay_alu instid0(SALU_CYCLE_1)
	s_or_b32 exec_lo, exec_lo, s41
	global_load_u16 v12, v[10:11], off offset:768
	v_dual_mov_b32 v47, 0 :: v_dual_mov_b32 v48, 0
	s_mov_b32 s41, exec_lo
	s_wait_loadcnt 0x0
	v_and_b32_e32 v13, 0xff, v12
	v_and_b32_e32 v12, 0xffff, v12
	s_delay_alu instid0(VALU_DEP_2)
	v_cmpx_ne_u16_e32 0, v13
	s_cbranch_execz .LBB239_217
; %bb.210:                              ;   in Loop: Header=BB239_12 Depth=1
	s_delay_alu instid0(VALU_DEP_2) | instskip(SKIP_2) | instid1(VALU_DEP_2)
	v_and_b32_e32 v13, 0xff, v12
	v_mov_b32_e32 v48, 0x8000
	s_mov_b32 s42, exec_lo
	v_cmpx_ne_u16_e32 0x80, v13
	s_cbranch_execz .LBB239_216
; %bb.211:                              ;   in Loop: Header=BB239_12 Depth=1
	v_and_b32_e32 v49, 0x7f, v12
	v_mov_b32_e32 v48, 0x7c01
	s_mov_b32 s43, exec_lo
	s_delay_alu instid0(VALU_DEP_2)
	v_cmpx_ne_u32_e32 0x7f, v49
	s_cbranch_execz .LBB239_215
; %bb.212:                              ;   in Loop: Header=BB239_12 Depth=1
	v_dual_lshrrev_b32 v48, 3, v49 :: v_dual_bitop2_b32 v13, 7, v12 bitop3:0x40
	s_mov_b32 s44, exec_lo
	v_cmpx_gt_u32_e32 8, v49
; %bb.213:                              ;   in Loop: Header=BB239_12 Depth=1
	s_delay_alu instid0(VALU_DEP_2) | instskip(NEXT) | instid1(VALU_DEP_1)
	v_clz_i32_u32_e32 v13, v13
	v_min_u32_e32 v13, 32, v13
	s_delay_alu instid0(VALU_DEP_1) | instskip(NEXT) | instid1(VALU_DEP_1)
	v_subrev_nc_u32_e32 v48, 28, v13
	v_lshlrev_b64_e32 v[50:51], v48, v[12:13]
	s_delay_alu instid0(VALU_DEP_1)
	v_dual_sub_nc_u32 v48, 29, v13 :: v_dual_bitop2_b32 v13, 7, v50 bitop3:0x40
; %bb.214:                              ;   in Loop: Header=BB239_12 Depth=1
	s_or_b32 exec_lo, exec_lo, s44
	s_delay_alu instid0(VALU_DEP_1) | instskip(NEXT) | instid1(VALU_DEP_2)
	v_dual_lshlrev_b32 v49, 8, v12 :: v_dual_lshlrev_b32 v13, 7, v13
	v_lshl_add_u32 v48, v48, 10, 0x2000
	s_delay_alu instid0(VALU_DEP_2) | instskip(NEXT) | instid1(VALU_DEP_2)
	v_and_b32_e32 v49, 0x8000, v49
	v_and_b32_e32 v48, 0xfc00, v48
	s_delay_alu instid0(VALU_DEP_1)
	v_or3_b32 v48, v49, v48, v13
.LBB239_215:                            ;   in Loop: Header=BB239_12 Depth=1
	s_or_b32 exec_lo, exec_lo, s43
.LBB239_216:                            ;   in Loop: Header=BB239_12 Depth=1
	s_delay_alu instid0(SALU_CYCLE_1)
	s_or_b32 exec_lo, exec_lo, s42
.LBB239_217:                            ;   in Loop: Header=BB239_12 Depth=1
	s_delay_alu instid0(SALU_CYCLE_1) | instskip(NEXT) | instid1(VALU_DEP_2)
	s_or_b32 exec_lo, exec_lo, s41
	v_lshrrev_b16 v12, 8, v12
	s_mov_b32 s41, exec_lo
	s_delay_alu instid0(VALU_DEP_1)
	v_cmpx_ne_u16_e32 0, v12
	s_cbranch_execz .LBB239_225
; %bb.218:                              ;   in Loop: Header=BB239_12 Depth=1
	v_bfrev_b32_e32 v47, 1
	s_mov_b32 s42, exec_lo
	v_cmpx_ne_u16_e32 0x80, v12
	s_cbranch_execz .LBB239_224
; %bb.219:                              ;   in Loop: Header=BB239_12 Depth=1
	v_and_b32_e32 v49, 0xffff, v12
	v_mov_b32_e32 v47, 0x7c010000
	s_mov_b32 s43, exec_lo
	s_delay_alu instid0(VALU_DEP_2) | instskip(NEXT) | instid1(VALU_DEP_1)
	v_and_b32_e32 v50, 0x7f, v49
	v_cmpx_ne_u32_e32 0x7f, v50
	s_cbranch_execz .LBB239_223
; %bb.220:                              ;   in Loop: Header=BB239_12 Depth=1
	v_dual_lshrrev_b32 v47, 3, v50 :: v_dual_bitop2_b32 v13, 7, v49 bitop3:0x40
	s_mov_b32 s44, exec_lo
	v_cmpx_gt_u32_e32 8, v50
	s_cbranch_execz .LBB239_222
; %bb.221:                              ;   in Loop: Header=BB239_12 Depth=1
	s_delay_alu instid0(VALU_DEP_2) | instskip(NEXT) | instid1(VALU_DEP_1)
	v_clz_i32_u32_e32 v13, v13
	v_min_u32_e32 v47, 32, v13
	v_mov_b32_e32 v13, v5
	s_delay_alu instid0(VALU_DEP_2) | instskip(SKIP_1) | instid1(VALU_DEP_2)
	v_subrev_nc_u32_e32 v50, 28, v47
	v_sub_nc_u32_e32 v47, 29, v47
	v_lshlrev_b64_e32 v[12:13], v50, v[12:13]
	s_delay_alu instid0(VALU_DEP_1)
	v_and_b32_e32 v13, 7, v12
.LBB239_222:                            ;   in Loop: Header=BB239_12 Depth=1
	s_or_b32 exec_lo, exec_lo, s44
	v_lshlrev_b32_e32 v12, 8, v49
	v_lshl_add_u32 v47, v47, 10, 0x2000
	s_delay_alu instid0(VALU_DEP_3) | instskip(NEXT) | instid1(VALU_DEP_2)
	v_lshlrev_b32_e32 v13, 23, v13
	v_and_or_b32 v12, 0x8000, v12, v47
	s_delay_alu instid0(VALU_DEP_1)
	v_lshl_or_b32 v47, v12, 16, v13
.LBB239_223:                            ;   in Loop: Header=BB239_12 Depth=1
	s_or_b32 exec_lo, exec_lo, s43
.LBB239_224:                            ;   in Loop: Header=BB239_12 Depth=1
	s_delay_alu instid0(SALU_CYCLE_1)
	s_or_b32 exec_lo, exec_lo, s42
.LBB239_225:                            ;   in Loop: Header=BB239_12 Depth=1
	s_delay_alu instid0(SALU_CYCLE_1)
	s_or_b32 exec_lo, exec_lo, s41
	global_load_u16 v12, v[10:11], off offset:776
	v_mov_b32_e32 v13, 0
	s_wait_loadcnt 0x0
	v_and_b32_e32 v49, 0xff, v12
	v_and_b32_e32 v12, 0xffff, v12
	s_delay_alu instid0(VALU_DEP_2)
	v_cmp_ne_u16_e64 s4, 0, v49
	v_mov_b32_e32 v49, 0
	s_and_saveexec_b32 s41, s4
	s_cbranch_execz .LBB239_233
; %bb.226:                              ;   in Loop: Header=BB239_12 Depth=1
	v_and_b32_e32 v49, 0xff, v12
	s_delay_alu instid0(VALU_DEP_1)
	v_cmp_ne_u16_e64 s4, 0x80, v49
	v_mov_b32_e32 v49, 0x8000
	s_and_saveexec_b32 s42, s4
	s_cbranch_execz .LBB239_232
; %bb.227:                              ;   in Loop: Header=BB239_12 Depth=1
	v_and_b32_e32 v51, 0x7f, v12
	v_mov_b32_e32 v49, 0x7c01
	s_mov_b32 s43, exec_lo
	s_delay_alu instid0(VALU_DEP_2)
	v_cmpx_ne_u32_e32 0x7f, v51
	s_cbranch_execz .LBB239_231
; %bb.228:                              ;   in Loop: Header=BB239_12 Depth=1
	v_dual_lshrrev_b32 v50, 3, v51 :: v_dual_bitop2_b32 v49, 7, v12 bitop3:0x40
	s_mov_b32 s44, exec_lo
	v_cmpx_gt_u32_e32 8, v51
; %bb.229:                              ;   in Loop: Header=BB239_12 Depth=1
	s_delay_alu instid0(VALU_DEP_2) | instskip(NEXT) | instid1(VALU_DEP_1)
	v_clz_i32_u32_e32 v49, v49
	v_min_u32_e32 v49, 32, v49
	s_delay_alu instid0(VALU_DEP_1) | instskip(NEXT) | instid1(VALU_DEP_1)
	v_subrev_nc_u32_e32 v50, 28, v49
	v_lshlrev_b64_e32 v[52:53], v50, v[12:13]
	s_delay_alu instid0(VALU_DEP_1)
	v_dual_sub_nc_u32 v50, 29, v49 :: v_dual_bitop2_b32 v49, 7, v52 bitop3:0x40
; %bb.230:                              ;   in Loop: Header=BB239_12 Depth=1
	s_or_b32 exec_lo, exec_lo, s44
	s_delay_alu instid0(VALU_DEP_1) | instskip(NEXT) | instid1(VALU_DEP_2)
	v_dual_lshlrev_b32 v51, 8, v12 :: v_dual_lshlrev_b32 v49, 7, v49
	v_lshl_add_u32 v50, v50, 10, 0x2000
	s_delay_alu instid0(VALU_DEP_2) | instskip(NEXT) | instid1(VALU_DEP_2)
	v_and_b32_e32 v51, 0x8000, v51
	v_and_b32_e32 v50, 0xfc00, v50
	s_delay_alu instid0(VALU_DEP_1)
	v_or3_b32 v49, v51, v50, v49
.LBB239_231:                            ;   in Loop: Header=BB239_12 Depth=1
	s_or_b32 exec_lo, exec_lo, s43
.LBB239_232:                            ;   in Loop: Header=BB239_12 Depth=1
	s_delay_alu instid0(SALU_CYCLE_1)
	s_or_b32 exec_lo, exec_lo, s42
.LBB239_233:                            ;   in Loop: Header=BB239_12 Depth=1
	s_delay_alu instid0(SALU_CYCLE_1) | instskip(SKIP_2) | instid1(VALU_DEP_1)
	s_or_b32 exec_lo, exec_lo, s41
	v_lshrrev_b16 v12, 8, v12
	s_mov_b32 s41, exec_lo
	v_cmpx_ne_u16_e32 0, v12
	s_cbranch_execz .LBB239_241
; %bb.234:                              ;   in Loop: Header=BB239_12 Depth=1
	v_bfrev_b32_e32 v13, 1
	s_mov_b32 s42, exec_lo
	v_cmpx_ne_u16_e32 0x80, v12
	s_cbranch_execz .LBB239_240
; %bb.235:                              ;   in Loop: Header=BB239_12 Depth=1
	v_and_b32_e32 v50, 0xffff, v12
	v_mov_b32_e32 v13, 0x7c010000
	s_mov_b32 s43, exec_lo
	s_delay_alu instid0(VALU_DEP_2) | instskip(NEXT) | instid1(VALU_DEP_1)
	v_and_b32_e32 v52, 0x7f, v50
	v_cmpx_ne_u32_e32 0x7f, v52
	s_cbranch_execz .LBB239_239
; %bb.236:                              ;   in Loop: Header=BB239_12 Depth=1
	v_dual_lshrrev_b32 v51, 3, v52 :: v_dual_bitop2_b32 v13, 7, v50 bitop3:0x40
	s_mov_b32 s44, exec_lo
	v_cmpx_gt_u32_e32 8, v52
	s_cbranch_execz .LBB239_238
; %bb.237:                              ;   in Loop: Header=BB239_12 Depth=1
	s_delay_alu instid0(VALU_DEP_2) | instskip(NEXT) | instid1(VALU_DEP_1)
	v_clz_i32_u32_e32 v13, v13
	v_min_u32_e32 v51, 32, v13
	v_mov_b32_e32 v13, v5
	s_delay_alu instid0(VALU_DEP_2) | instskip(SKIP_1) | instid1(VALU_DEP_2)
	v_subrev_nc_u32_e32 v52, 28, v51
	v_sub_nc_u32_e32 v51, 29, v51
	v_lshlrev_b64_e32 v[12:13], v52, v[12:13]
	s_delay_alu instid0(VALU_DEP_1)
	v_and_b32_e32 v13, 7, v12
.LBB239_238:                            ;   in Loop: Header=BB239_12 Depth=1
	s_or_b32 exec_lo, exec_lo, s44
	s_delay_alu instid0(VALU_DEP_1) | instskip(SKIP_1) | instid1(VALU_DEP_1)
	v_dual_lshlrev_b32 v12, 8, v50 :: v_dual_lshlrev_b32 v13, 23, v13
	v_lshl_add_u32 v50, v51, 10, 0x2000
	v_and_or_b32 v12, 0x8000, v12, v50
	s_delay_alu instid0(VALU_DEP_1)
	v_lshl_or_b32 v13, v12, 16, v13
.LBB239_239:                            ;   in Loop: Header=BB239_12 Depth=1
	s_or_b32 exec_lo, exec_lo, s43
.LBB239_240:                            ;   in Loop: Header=BB239_12 Depth=1
	s_delay_alu instid0(SALU_CYCLE_1)
	s_or_b32 exec_lo, exec_lo, s42
.LBB239_241:                            ;   in Loop: Header=BB239_12 Depth=1
	s_delay_alu instid0(SALU_CYCLE_1)
	s_or_b32 exec_lo, exec_lo, s41
	global_load_u16 v10, v[10:11], off offset:896
	s_wait_xcnt 0x0
	v_mov_b32_e32 v11, 0
	s_wait_loadcnt 0x0
	v_and_b32_e32 v12, 0xff, v10
	v_and_b32_e32 v10, 0xffff, v10
	s_delay_alu instid0(VALU_DEP_2)
	v_cmp_ne_u16_e64 s4, 0, v12
	v_mov_b32_e32 v12, 0
	s_and_saveexec_b32 s41, s4
	s_cbranch_execz .LBB239_249
; %bb.242:                              ;   in Loop: Header=BB239_12 Depth=1
	v_and_b32_e32 v12, 0xff, v10
	s_delay_alu instid0(VALU_DEP_1)
	v_cmp_ne_u16_e64 s4, 0x80, v12
	v_mov_b32_e32 v12, 0x8000
	s_and_saveexec_b32 s42, s4
	s_cbranch_execz .LBB239_248
; %bb.243:                              ;   in Loop: Header=BB239_12 Depth=1
	v_and_b32_e32 v51, 0x7f, v10
	v_mov_b32_e32 v12, 0x7c01
	s_mov_b32 s43, exec_lo
	s_delay_alu instid0(VALU_DEP_2)
	v_cmpx_ne_u32_e32 0x7f, v51
	s_cbranch_execz .LBB239_247
; %bb.244:                              ;   in Loop: Header=BB239_12 Depth=1
	v_dual_lshrrev_b32 v50, 3, v51 :: v_dual_bitop2_b32 v12, 7, v10 bitop3:0x40
	s_mov_b32 s44, exec_lo
	v_cmpx_gt_u32_e32 8, v51
; %bb.245:                              ;   in Loop: Header=BB239_12 Depth=1
	s_delay_alu instid0(VALU_DEP_2) | instskip(NEXT) | instid1(VALU_DEP_1)
	v_clz_i32_u32_e32 v12, v12
	v_min_u32_e32 v12, 32, v12
	s_delay_alu instid0(VALU_DEP_1) | instskip(NEXT) | instid1(VALU_DEP_1)
	v_subrev_nc_u32_e32 v50, 28, v12
	v_lshlrev_b64_e32 v[52:53], v50, v[10:11]
	v_sub_nc_u32_e32 v50, 29, v12
	s_delay_alu instid0(VALU_DEP_2)
	v_and_b32_e32 v12, 7, v52
; %bb.246:                              ;   in Loop: Header=BB239_12 Depth=1
	s_or_b32 exec_lo, exec_lo, s44
	s_delay_alu instid0(VALU_DEP_1) | instskip(NEXT) | instid1(VALU_DEP_3)
	v_dual_lshlrev_b32 v51, 8, v10 :: v_dual_lshlrev_b32 v12, 7, v12
	v_lshl_add_u32 v50, v50, 10, 0x2000
	s_delay_alu instid0(VALU_DEP_2) | instskip(NEXT) | instid1(VALU_DEP_2)
	v_and_b32_e32 v51, 0x8000, v51
	v_and_b32_e32 v50, 0xfc00, v50
	s_delay_alu instid0(VALU_DEP_1)
	v_or3_b32 v12, v51, v50, v12
.LBB239_247:                            ;   in Loop: Header=BB239_12 Depth=1
	s_or_b32 exec_lo, exec_lo, s43
.LBB239_248:                            ;   in Loop: Header=BB239_12 Depth=1
	s_delay_alu instid0(SALU_CYCLE_1)
	s_or_b32 exec_lo, exec_lo, s42
.LBB239_249:                            ;   in Loop: Header=BB239_12 Depth=1
	s_delay_alu instid0(SALU_CYCLE_1) | instskip(SKIP_2) | instid1(VALU_DEP_1)
	s_or_b32 exec_lo, exec_lo, s41
	v_lshrrev_b16 v10, 8, v10
	s_mov_b32 s41, exec_lo
	v_cmpx_ne_u16_e32 0, v10
	s_cbranch_execz .LBB239_257
; %bb.250:                              ;   in Loop: Header=BB239_12 Depth=1
	v_bfrev_b32_e32 v11, 1
	s_mov_b32 s42, exec_lo
	v_cmpx_ne_u16_e32 0x80, v10
	s_cbranch_execz .LBB239_256
; %bb.251:                              ;   in Loop: Header=BB239_12 Depth=1
	v_and_b32_e32 v50, 0xffff, v10
	v_mov_b32_e32 v11, 0x7c010000
	s_mov_b32 s43, exec_lo
	s_delay_alu instid0(VALU_DEP_2) | instskip(NEXT) | instid1(VALU_DEP_1)
	v_and_b32_e32 v52, 0x7f, v50
	v_cmpx_ne_u32_e32 0x7f, v52
	s_cbranch_execz .LBB239_255
; %bb.252:                              ;   in Loop: Header=BB239_12 Depth=1
	v_dual_lshrrev_b32 v51, 3, v52 :: v_dual_bitop2_b32 v11, 7, v50 bitop3:0x40
	s_mov_b32 s44, exec_lo
	v_cmpx_gt_u32_e32 8, v52
	s_cbranch_execz .LBB239_254
; %bb.253:                              ;   in Loop: Header=BB239_12 Depth=1
	s_delay_alu instid0(VALU_DEP_2) | instskip(NEXT) | instid1(VALU_DEP_1)
	v_clz_i32_u32_e32 v11, v11
	v_min_u32_e32 v51, 32, v11
	v_mov_b32_e32 v11, v5
	s_delay_alu instid0(VALU_DEP_2) | instskip(SKIP_1) | instid1(VALU_DEP_2)
	v_subrev_nc_u32_e32 v52, 28, v51
	v_sub_nc_u32_e32 v51, 29, v51
	v_lshlrev_b64_e32 v[10:11], v52, v[10:11]
	s_delay_alu instid0(VALU_DEP_1)
	v_and_b32_e32 v11, 7, v10
.LBB239_254:                            ;   in Loop: Header=BB239_12 Depth=1
	s_or_b32 exec_lo, exec_lo, s44
	s_delay_alu instid0(VALU_DEP_1) | instskip(SKIP_1) | instid1(VALU_DEP_1)
	v_dual_lshlrev_b32 v10, 8, v50 :: v_dual_lshlrev_b32 v11, 23, v11
	v_lshl_add_u32 v50, v51, 10, 0x2000
	v_and_or_b32 v10, 0x8000, v10, v50
	s_delay_alu instid0(VALU_DEP_1)
	v_lshl_or_b32 v11, v10, 16, v11
.LBB239_255:                            ;   in Loop: Header=BB239_12 Depth=1
	s_or_b32 exec_lo, exec_lo, s43
.LBB239_256:                            ;   in Loop: Header=BB239_12 Depth=1
	s_delay_alu instid0(SALU_CYCLE_1)
	s_or_b32 exec_lo, exec_lo, s42
.LBB239_257:                            ;   in Loop: Header=BB239_12 Depth=1
	s_delay_alu instid0(SALU_CYCLE_1) | instskip(SKIP_3) | instid1(VALU_DEP_1)
	s_or_b32 exec_lo, exec_lo, s41
	ds_load_b32 v10, v15
	v_or_b32_e32 v23, v22, v23
	v_fma_mixlo_f16 v22, v21, v22, 0 op_sel:[0,1,0] op_sel_hi:[0,1,0]
	v_and_b32_e32 v52, 0xffff, v22
	s_wait_dscnt 0x0
	v_lshrrev_b32_e32 v51, 16, v10
	v_fma_mixlo_f16 v23, v21, v23, 0 op_sel_hi:[0,1,0]
	v_and_b32_e32 v50, 0xffff, v10
	;;#ASMSTART
	v_cvt_f32_f16 v10, v50;
	;;#ASMEND
	;;#ASMSTART
	v_cvt_f32_f16 v22, v51;
	;;#ASMEND
	s_delay_alu instid0(VALU_DEP_2)
	v_and_b32_e32 v23, 0xffff, v23
	;;#ASMSTART
	v_cvt_f32_f16 v23, v23;
	;;#ASMEND
	;;#ASMSTART
	v_cvt_f32_f16 v50, v52;
	;;#ASMEND
	ds_load_b32 v51, v15 offset:4
	v_or_b32_e32 v25, v24, v25
	v_fma_mixlo_f16 v24, v21, v24, 0 op_sel:[0,1,0] op_sel_hi:[0,1,0]
	s_delay_alu instid0(VALU_DEP_1)
	v_and_b32_e32 v24, 0xffff, v24
	s_wait_dscnt 0x0
	v_and_b32_e32 v52, 0xffff, v51
	v_lshrrev_b32_e32 v51, 16, v51
	v_fma_mixlo_f16 v25, v21, v25, 0 op_sel_hi:[0,1,0]
	;;#ASMSTART
	v_cvt_f32_f16 v52, v52;
	;;#ASMEND
	;;#ASMSTART
	v_cvt_f32_f16 v51, v51;
	;;#ASMEND
	s_delay_alu instid0(VALU_DEP_1)
	v_and_b32_e32 v25, 0xffff, v25
	;;#ASMSTART
	v_cvt_f32_f16 v53, v25;
	;;#ASMEND
	;;#ASMSTART
	v_cvt_f32_f16 v54, v24;
	;;#ASMEND
	ds_load_b32 v24, v15 offset:8
	v_or_b32_e32 v25, v26, v28
	v_fma_mixlo_f16 v26, v21, v26, 0 op_sel:[0,1,0] op_sel_hi:[0,1,0]
	s_delay_alu instid0(VALU_DEP_2) | instskip(NEXT) | instid1(VALU_DEP_2)
	v_fma_mixlo_f16 v25, v21, v25, 0 op_sel_hi:[0,1,0]
	v_and_b32_e32 v26, 0xffff, v26
	s_delay_alu instid0(VALU_DEP_2)
	v_and_b32_e32 v25, 0xffff, v25
	s_wait_dscnt 0x0
	v_and_b32_e32 v28, 0xffff, v24
	v_lshrrev_b32_e32 v24, 16, v24
	;;#ASMSTART
	v_cvt_f32_f16 v55, v28;
	;;#ASMEND
	;;#ASMSTART
	v_cvt_f32_f16 v56, v24;
	;;#ASMEND
	;; [unrolled: 3-line block ×4, first 2 shown]
	ds_load_b32 v24, v15 offset:12
	v_or_b32_e32 v25, v29, v30
	v_fma_mixlo_f16 v26, v21, v29, 0 op_sel:[0,1,0] op_sel_hi:[0,1,0]
	v_fma_mixlo_f16 v29, v21, v47, 0 op_sel:[0,1,0] op_sel_hi:[0,1,0]
	s_delay_alu instid0(VALU_DEP_3) | instskip(NEXT) | instid1(VALU_DEP_3)
	v_fma_mixlo_f16 v25, v21, v25, 0 op_sel_hi:[0,1,0]
	v_and_b32_e32 v26, 0xffff, v26
	s_delay_alu instid0(VALU_DEP_2)
	v_and_b32_e32 v25, 0xffff, v25
	s_wait_dscnt 0x0
	v_and_b32_e32 v28, 0xffff, v24
	v_lshrrev_b32_e32 v24, 16, v24
	;;#ASMSTART
	v_cvt_f32_f16 v30, v28;
	;;#ASMEND
	;;#ASMSTART
	v_cvt_f32_f16 v59, v24;
	;;#ASMEND
	;;#ASMSTART
	v_cvt_f32_f16 v60, v25;
	;;#ASMEND
	;;#ASMSTART
	v_cvt_f32_f16 v61, v26;
	;;#ASMEND
	ds_load_b32 v24, v15 offset:16
	v_or_b32_e32 v25, v31, v32
	v_fma_mixlo_f16 v26, v21, v31, 0 op_sel:[0,1,0] op_sel_hi:[0,1,0]
	s_delay_alu instid0(VALU_DEP_2) | instskip(NEXT) | instid1(VALU_DEP_2)
	v_fma_mixlo_f16 v25, v21, v25, 0 op_sel_hi:[0,1,0]
	v_and_b32_e32 v26, 0xffff, v26
	s_delay_alu instid0(VALU_DEP_2)
	v_and_b32_e32 v25, 0xffff, v25
	s_wait_dscnt 0x0
	v_and_b32_e32 v28, 0xffff, v24
	v_lshrrev_b32_e32 v24, 16, v24
	;;#ASMSTART
	v_cvt_f32_f16 v31, v28;
	;;#ASMEND
	;;#ASMSTART
	v_cvt_f32_f16 v32, v24;
	;;#ASMEND
	;;#ASMSTART
	v_cvt_f32_f16 v62, v25;
	;;#ASMEND
	;;#ASMSTART
	v_cvt_f32_f16 v63, v26;
	;;#ASMEND
	ds_load_b32 v24, v15 offset:20
	v_or_b32_e32 v25, v33, v34
	v_fma_mixlo_f16 v26, v21, v33, 0 op_sel:[0,1,0] op_sel_hi:[0,1,0]
	s_delay_alu instid0(VALU_DEP_2) | instskip(NEXT) | instid1(VALU_DEP_2)
	v_fma_mixlo_f16 v25, v21, v25, 0 op_sel_hi:[0,1,0]
	v_and_b32_e32 v26, 0xffff, v26
	s_delay_alu instid0(VALU_DEP_2)
	v_and_b32_e32 v25, 0xffff, v25
	s_wait_dscnt 0x0
	v_and_b32_e32 v28, 0xffff, v24
	v_lshrrev_b32_e32 v24, 16, v24
	;;#ASMSTART
	v_cvt_f32_f16 v33, v28;
	;;#ASMEND
	;;#ASMSTART
	v_cvt_f32_f16 v34, v24;
	;;#ASMEND
	;;#ASMSTART
	v_cvt_f32_f16 v64, v25;
	;;#ASMEND
	;;#ASMSTART
	v_cvt_f32_f16 v65, v26;
	;;#ASMEND
	ds_load_b32 v24, v15 offset:24
	v_or_b32_e32 v25, v35, v36
	v_fma_mixlo_f16 v26, v21, v35, 0 op_sel:[0,1,0] op_sel_hi:[0,1,0]
	s_delay_alu instid0(VALU_DEP_2) | instskip(NEXT) | instid1(VALU_DEP_2)
	v_fma_mixlo_f16 v25, v21, v25, 0 op_sel_hi:[0,1,0]
	v_and_b32_e32 v26, 0xffff, v26
	s_delay_alu instid0(VALU_DEP_2)
	v_and_b32_e32 v25, 0xffff, v25
	s_wait_dscnt 0x0
	v_and_b32_e32 v28, 0xffff, v24
	v_lshrrev_b32_e32 v24, 16, v24
	;;#ASMSTART
	v_cvt_f32_f16 v35, v28;
	;;#ASMEND
	;;#ASMSTART
	v_cvt_f32_f16 v36, v24;
	;;#ASMEND
	;;#ASMSTART
	v_cvt_f32_f16 v66, v25;
	;;#ASMEND
	;;#ASMSTART
	v_cvt_f32_f16 v67, v26;
	;;#ASMEND
	ds_load_b32 v24, v15 offset:28
	v_or_b32_e32 v25, v37, v38
	v_fma_mixlo_f16 v26, v21, v37, 0 op_sel:[0,1,0] op_sel_hi:[0,1,0]
	s_delay_alu instid0(VALU_DEP_2) | instskip(NEXT) | instid1(VALU_DEP_2)
	v_fma_mixlo_f16 v25, v21, v25, 0 op_sel_hi:[0,1,0]
	v_and_b32_e32 v26, 0xffff, v26
	s_delay_alu instid0(VALU_DEP_2)
	v_and_b32_e32 v25, 0xffff, v25
	s_wait_dscnt 0x0
	v_and_b32_e32 v28, 0xffff, v24
	v_lshrrev_b32_e32 v24, 16, v24
	;;#ASMSTART
	v_cvt_f32_f16 v37, v28;
	;;#ASMEND
	;;#ASMSTART
	v_cvt_f32_f16 v38, v24;
	;;#ASMEND
	;;#ASMSTART
	v_cvt_f32_f16 v68, v25;
	;;#ASMEND
	;;#ASMSTART
	v_cvt_f32_f16 v69, v26;
	;;#ASMEND
	ds_load_b32 v24, v15 offset:32
	v_or_b32_e32 v25, v39, v40
	v_fma_mixlo_f16 v26, v21, v39, 0 op_sel:[0,1,0] op_sel_hi:[0,1,0]
	s_delay_alu instid0(VALU_DEP_2) | instskip(NEXT) | instid1(VALU_DEP_2)
	v_fma_mixlo_f16 v25, v21, v25, 0 op_sel_hi:[0,1,0]
	v_and_b32_e32 v26, 0xffff, v26
	s_delay_alu instid0(VALU_DEP_2)
	v_and_b32_e32 v25, 0xffff, v25
	s_wait_dscnt 0x0
	v_and_b32_e32 v28, 0xffff, v24
	v_lshrrev_b32_e32 v24, 16, v24
	;;#ASMSTART
	v_cvt_f32_f16 v39, v28;
	;;#ASMEND
	;;#ASMSTART
	v_cvt_f32_f16 v40, v24;
	;;#ASMEND
	;;#ASMSTART
	v_cvt_f32_f16 v70, v25;
	;;#ASMEND
	;;#ASMSTART
	v_cvt_f32_f16 v71, v26;
	;;#ASMEND
	ds_load_b32 v24, v15 offset:36
	v_or_b32_e32 v25, v41, v42
	v_fma_mixlo_f16 v26, v21, v41, 0 op_sel:[0,1,0] op_sel_hi:[0,1,0]
	s_delay_alu instid0(VALU_DEP_2) | instskip(NEXT) | instid1(VALU_DEP_2)
	v_fma_mixlo_f16 v25, v21, v25, 0 op_sel_hi:[0,1,0]
	v_and_b32_e32 v26, 0xffff, v26
	s_delay_alu instid0(VALU_DEP_2)
	v_and_b32_e32 v25, 0xffff, v25
	s_wait_dscnt 0x0
	v_and_b32_e32 v28, 0xffff, v24
	v_lshrrev_b32_e32 v24, 16, v24
	;;#ASMSTART
	v_cvt_f32_f16 v41, v28;
	;;#ASMEND
	;;#ASMSTART
	v_cvt_f32_f16 v42, v24;
	;;#ASMEND
	;;#ASMSTART
	v_cvt_f32_f16 v72, v25;
	;;#ASMEND
	;;#ASMSTART
	v_cvt_f32_f16 v73, v26;
	;;#ASMEND
	ds_load_b32 v24, v15 offset:40
	v_or_b32_e32 v25, v43, v44
	v_fma_mixlo_f16 v26, v21, v43, 0 op_sel:[0,1,0] op_sel_hi:[0,1,0]
	s_delay_alu instid0(VALU_DEP_2) | instskip(NEXT) | instid1(VALU_DEP_2)
	v_fma_mixlo_f16 v25, v21, v25, 0 op_sel_hi:[0,1,0]
	v_and_b32_e32 v26, 0xffff, v26
	s_delay_alu instid0(VALU_DEP_2)
	v_and_b32_e32 v25, 0xffff, v25
	s_wait_dscnt 0x0
	v_and_b32_e32 v28, 0xffff, v24
	v_lshrrev_b32_e32 v24, 16, v24
	;;#ASMSTART
	v_cvt_f32_f16 v43, v28;
	;;#ASMEND
	;;#ASMSTART
	v_cvt_f32_f16 v44, v24;
	;;#ASMEND
	;;#ASMSTART
	v_cvt_f32_f16 v74, v25;
	;;#ASMEND
	;;#ASMSTART
	v_cvt_f32_f16 v75, v26;
	;;#ASMEND
	ds_load_b32 v24, v15 offset:44
	v_or_b32_e32 v25, v45, v46
	v_fma_mixlo_f16 v26, v21, v45, 0 op_sel:[0,1,0] op_sel_hi:[0,1,0]
	s_delay_alu instid0(VALU_DEP_2) | instskip(NEXT) | instid1(VALU_DEP_2)
	v_fma_mixlo_f16 v25, v21, v25, 0 op_sel_hi:[0,1,0]
	v_and_b32_e32 v26, 0xffff, v26
	s_delay_alu instid0(VALU_DEP_2)
	v_and_b32_e32 v25, 0xffff, v25
	s_wait_dscnt 0x0
	v_and_b32_e32 v28, 0xffff, v24
	v_lshrrev_b32_e32 v24, 16, v24
	;;#ASMSTART
	v_cvt_f32_f16 v45, v28;
	;;#ASMEND
	;;#ASMSTART
	v_cvt_f32_f16 v46, v24;
	;;#ASMEND
	;; [unrolled: 3-line block ×4, first 2 shown]
	v_mul_f32_e32 v26, v51, v54
	ds_load_b32 v24, v15 offset:48
	v_dual_mul_f32 v25, v52, v53 :: v_dual_fmac_f32 v26, v22, v50
	v_and_b32_e32 v22, 0xffff, v29
	s_delay_alu instid0(VALU_DEP_2) | instskip(NEXT) | instid1(VALU_DEP_1)
	v_dual_fmac_f32 v25, v10, v23 :: v_dual_fmac_f32 v26, v56, v58
	v_fmac_f32_e32 v25, v55, v57
	s_delay_alu instid0(VALU_DEP_2) | instskip(NEXT) | instid1(VALU_DEP_1)
	v_fmac_f32_e32 v26, v59, v61
	v_fmac_f32_e32 v26, v32, v63
	s_wait_dscnt 0x0
	v_and_b32_e32 v23, 0xffff, v24
	v_lshrrev_b32_e32 v24, 16, v24
	;;#ASMSTART
	v_cvt_f32_f16 v23, v23;
	;;#ASMEND
	;;#ASMSTART
	v_cvt_f32_f16 v24, v24;
	;;#ASMEND
	v_dual_fmac_f32 v26, v34, v65 :: v_dual_bitop2_b32 v28, v47, v48 bitop3:0x54
	s_delay_alu instid0(VALU_DEP_1) | instskip(NEXT) | instid1(VALU_DEP_2)
	v_fmac_f32_e32 v26, v36, v67
	v_fma_mixlo_f16 v10, v21, v28, 0 op_sel_hi:[0,1,0]
	s_delay_alu instid0(VALU_DEP_2) | instskip(NEXT) | instid1(VALU_DEP_2)
	v_fmac_f32_e32 v26, v38, v69
	v_and_b32_e32 v10, 0xffff, v10
	;;#ASMSTART
	v_cvt_f32_f16 v28, v10;
	;;#ASMEND
	;;#ASMSTART
	v_cvt_f32_f16 v29, v22;
	;;#ASMEND
	ds_load_b32 v10, v15 offset:52
	v_dual_fmac_f32 v25, v30, v60 :: v_dual_bitop2_b32 v22, v13, v49 bitop3:0x54
	v_fmac_f32_e32 v26, v40, v71
	v_fma_mixlo_f16 v13, v21, v13, 0 op_sel:[0,1,0] op_sel_hi:[0,1,0]
	s_delay_alu instid0(VALU_DEP_3) | instskip(NEXT) | instid1(VALU_DEP_3)
	v_fma_mixlo_f16 v22, v21, v22, 0 op_sel_hi:[0,1,0]
	v_fmac_f32_e32 v26, v42, v73
	s_delay_alu instid0(VALU_DEP_3) | instskip(NEXT) | instid1(VALU_DEP_3)
	v_and_b32_e32 v13, 0xffff, v13
	v_and_b32_e32 v22, 0xffff, v22
	s_delay_alu instid0(VALU_DEP_3) | instskip(SKIP_1) | instid1(VALU_DEP_2)
	v_dual_fmac_f32 v26, v44, v75 :: v_dual_bitop2_b32 v12, v11, v12 bitop3:0x54
	v_fma_mixlo_f16 v11, v21, v11, 0 op_sel:[0,1,0] op_sel_hi:[0,1,0]
	v_fmac_f32_e32 v26, v46, v77
	s_delay_alu instid0(VALU_DEP_3)
	v_fma_mixlo_f16 v12, v21, v12, 0 op_sel_hi:[0,1,0]
	s_wait_dscnt 0x0
	v_and_b32_e32 v30, 0xffff, v10
	v_lshrrev_b32_e32 v10, 16, v10
	v_fmac_f32_e32 v25, v31, v62
	;;#ASMSTART
	v_cvt_f32_f16 v30, v30;
	;;#ASMEND
	;;#ASMSTART
	v_cvt_f32_f16 v31, v10;
	;;#ASMEND
	;; [unrolled: 3-line block ×4, first 2 shown]
	v_fmac_f32_e32 v25, v33, v64
	ds_load_b32 v10, v15 offset:56
	v_dual_fmac_f32 v26, v24, v29 :: v_dual_bitop2_b32 v13, 2, v3 bitop3:0x14
	v_and_b32_e32 v21, 0xffff, v11
	v_fmac_f32_e32 v25, v35, v66
	v_and_b32_e32 v12, 0xffff, v12
	s_delay_alu instid0(VALU_DEP_4) | instskip(SKIP_1) | instid1(VALU_DEP_2)
	v_cmp_gt_i32_e64 s4, 32, v13
	v_fmac_f32_e32 v26, v31, v32
	v_dual_fmac_f32 v25, v37, v68 :: v_dual_cndmask_b32 v11, v3, v13, s4
	s_delay_alu instid0(VALU_DEP_1) | instskip(NEXT) | instid1(VALU_DEP_1)
	v_fmac_f32_e32 v25, v39, v70
	v_fmac_f32_e32 v25, v41, v72
	s_wait_dscnt 0x0
	v_and_b32_e32 v13, 0xffff, v10
	v_lshrrev_b32_e32 v10, 16, v10
	;;#ASMSTART
	v_cvt_f32_f16 v13, v13;
	;;#ASMEND
	;;#ASMSTART
	v_cvt_f32_f16 v10, v10;
	;;#ASMEND
	v_fmac_f32_e32 v25, v43, v74
	;;#ASMSTART
	v_cvt_f32_f16 v12, v12;
	;;#ASMEND
	;;#ASMSTART
	v_cvt_f32_f16 v21, v21;
	;;#ASMEND
	s_delay_alu instid0(VALU_DEP_1) | instskip(NEXT) | instid1(VALU_DEP_1)
	v_dual_fmac_f32 v26, v10, v21 :: v_dual_fmac_f32 v25, v45, v76
	v_fmac_f32_e32 v25, v23, v28
	s_delay_alu instid0(VALU_DEP_1) | instskip(NEXT) | instid1(VALU_DEP_1)
	v_fmac_f32_e32 v25, v30, v22
	v_dual_fmac_f32 v25, v13, v12 :: v_dual_lshlrev_b32 v10, 2, v11
	s_delay_alu instid0(VALU_DEP_1) | instskip(SKIP_3) | instid1(VALU_DEP_1)
	v_add_f32_e32 v11, v25, v26
	ds_bpermute_b32 v10, v10, v11
	s_wait_dscnt 0x0
	v_dual_add_f32 v10, v11, v10 :: v_dual_bitop2_b32 v12, 1, v3 bitop3:0x14
	v_cmp_gt_i32_e64 s4, 32, v12
	s_delay_alu instid0(VALU_DEP_1) | instskip(NEXT) | instid1(VALU_DEP_1)
	v_cndmask_b32_e64 v12, v3, v12, s4
	v_lshlrev_b32_e32 v11, 2, v12
	ds_bpermute_b32 v11, v11, v10
	s_and_saveexec_b32 s41, s3
	s_cbranch_execz .LBB239_10
; %bb.258:                              ;   in Loop: Header=BB239_12 Depth=1
	s_wait_dscnt 0x0
	v_dual_add_nc_u32 v12, v17, v4 :: v_dual_add_f32 v10, v10, v11
	s_delay_alu instid0(VALU_DEP_1) | instskip(NEXT) | instid1(VALU_DEP_1)
	v_cvt_f32_i32_e32 v12, v12
	v_mul_f32_e32 v12, s36, v12
	s_delay_alu instid0(VALU_DEP_1) | instskip(NEXT) | instid1(VALU_DEP_1)
	v_cndmask_b32_e32 v11, 0, v12, vcc_lo
	v_dual_fmac_f32 v11, s27, v10 :: v_dual_add_nc_u32 v10, v14, v4
	s_delay_alu instid0(VALU_DEP_1) | instskip(NEXT) | instid1(VALU_DEP_1)
	v_cmp_gt_i32_e64 s4, s34, v10
	v_dual_max_num_f32 v12, v16, v16 :: v_dual_cndmask_b32 v10, 0, v11, s4
	s_delay_alu instid0(VALU_DEP_1)
	v_max_num_f32_e32 v12, v12, v11
	ds_store_b32 v18, v10
	v_cndmask_b32_e64 v16, v16, v12, s4
	s_branch .LBB239_10
.LBB239_259:
	s_or_b32 exec_lo, exec_lo, s40
.LBB239_260:
	s_delay_alu instid0(SALU_CYCLE_1)
	s_or_b32 exec_lo, exec_lo, s37
	v_dual_max_num_f32 v7, v16, v16 :: v_dual_bitop2_b32 v4, 16, v3 bitop3:0x14
	s_clause 0x1
	s_load_b64 s[4:5], s[0:1], 0x0
	s_load_b64 s[8:9], s[0:1], 0x18
	v_and_b32_e32 v28, 31, v0
	v_xor_b32_e32 v6, 8, v3
	v_cmp_gt_i32_e32 vcc_lo, 32, v4
	v_cndmask_b32_e32 v4, v3, v4, vcc_lo
	s_delay_alu instid0(VALU_DEP_3) | instskip(NEXT) | instid1(VALU_DEP_2)
	v_cmp_gt_i32_e32 vcc_lo, 32, v6
	v_dual_lshlrev_b32 v4, 2, v4 :: v_dual_cndmask_b32 v6, v3, v6, vcc_lo
	ds_bpermute_b32 v5, v4, v16
	s_wait_dscnt 0x0
	v_dual_max_num_f32 v8, v5, v5 :: v_dual_lshlrev_b32 v5, 2, v6
	s_delay_alu instid0(VALU_DEP_1) | instskip(SKIP_4) | instid1(VALU_DEP_1)
	v_dual_max_num_f32 v6, v7, v8 :: v_dual_bitop2_b32 v8, 4, v3 bitop3:0x14
	ds_bpermute_b32 v7, v5, v6
	v_cmp_gt_i32_e32 vcc_lo, 32, v8
	v_cndmask_b32_e32 v8, v3, v8, vcc_lo
	s_wait_dscnt 0x0
	v_dual_max_num_f32 v7, v7, v7 :: v_dual_lshlrev_b32 v8, 2, v8
	s_delay_alu instid0(VALU_DEP_1)
	v_max_num_f32_e32 v7, v6, v7
	v_lshlrev_b32_e32 v6, 2, v27
	v_cmp_eq_u32_e32 vcc_lo, 0, v28
	ds_bpermute_b32 v9, v8, v7
	s_wait_xcnt 0x0
	s_and_saveexec_b32 s0, vcc_lo
	s_cbranch_execz .LBB239_262
; %bb.261:
	s_wait_dscnt 0x0
	v_dual_max_num_f32 v9, v9, v9 :: v_dual_max_num_f32 v7, v7, v7
	s_delay_alu instid0(VALU_DEP_1)
	v_max_num_f32_e32 v7, v7, v9
	ds_store_b32 v6, v7 offset:240
.LBB239_262:
	s_or_b32 exec_lo, exec_lo, s0
	v_cmp_gt_u32_e64 s0, 4, v28
	v_dual_mov_b32 v10, 0xff7fffff :: v_dual_lshlrev_b32 v7, 2, v28
	s_wait_dscnt 0x0
	s_barrier_signal -1
	s_barrier_wait -1
	s_and_saveexec_b32 s1, s0
; %bb.263:
	ds_load_b32 v10, v7 offset:240
; %bb.264:
	s_or_b32 exec_lo, exec_lo, s1
	v_xor_b32_e32 v9, 2, v3
	v_lshl_add_u32 v29, v0, 2, 0x110
	v_xor_b32_e32 v12, 1, v3
	s_delay_alu instid0(VALU_DEP_3) | instskip(NEXT) | instid1(VALU_DEP_1)
	v_cmp_gt_i32_e64 s1, 32, v9
	v_cndmask_b32_e64 v9, v3, v9, s1
	s_delay_alu instid0(VALU_DEP_3) | instskip(NEXT) | instid1(VALU_DEP_1)
	v_cmp_gt_i32_e64 s1, 32, v12
	v_dual_lshlrev_b32 v9, 2, v9 :: v_dual_cndmask_b32 v3, v3, v12, s1
	s_lshl_b32 s1, s26, 3
	s_delay_alu instid0(SALU_CYCLE_1)
	s_min_i32 s19, s1, s34
	s_wait_dscnt 0x0
	ds_bpermute_b32 v11, v9, v10
	v_max_num_f32_e32 v10, v10, v10
	v_cmp_gt_i32_e64 s1, s19, v0
	v_lshlrev_b32_e32 v3, 2, v3
	s_wait_dscnt 0x0
	v_max_num_f32_e32 v11, v11, v11
	s_delay_alu instid0(VALU_DEP_1) | instskip(SKIP_3) | instid1(VALU_DEP_1)
	v_max_num_f32_e32 v10, v10, v11
	ds_bpermute_b32 v11, v3, v10
	s_wait_dscnt 0x0
	v_max_num_f32_e32 v11, v11, v11
	v_dual_max_num_f32 v11, v10, v11 :: v_dual_mov_b32 v10, 0
	ds_bpermute_b32 v11, v10, v11
	s_and_saveexec_b32 s27, s1
	s_cbranch_execz .LBB239_268
; %bb.265:
	v_lshl_add_u32 v12, v0, 2, 0x110
	v_dual_mov_b32 v10, 0 :: v_dual_mov_b32 v13, v0
	s_mov_b32 s28, 0
.LBB239_266:                            ; =>This Inner Loop Header: Depth=1
	ds_load_b32 v14, v12
	v_add_nc_u32_e32 v13, 0x80, v13
	s_delay_alu instid0(VALU_DEP_1) | instskip(SKIP_3) | instid1(VALU_DEP_1)
	v_cmp_le_i32_e64 s3, s19, v13
	s_or_b32 s28, s3, s28
	s_wait_dscnt 0x0
	v_sub_f32_e32 v14, v14, v11
	v_mul_f32_e32 v14, 0x3fb8aa3b, v14
	s_delay_alu instid0(VALU_DEP_1)
	v_exp_f32_e32 v14, v14
	ds_store_b32 v12, v14
	v_nop
	v_add_f32_e32 v10, v10, v14
	v_add_nc_u32_e32 v12, 0x200, v12
	s_and_not1_b32 exec_lo, exec_lo, s28
	s_cbranch_execnz .LBB239_266
; %bb.267:
	s_or_b32 exec_lo, exec_lo, s28
.LBB239_268:
	s_delay_alu instid0(SALU_CYCLE_1)
	s_or_b32 exec_lo, exec_lo, s27
	ds_bpermute_b32 v4, v4, v10
	s_wait_dscnt 0x0
	v_add_f32_e32 v4, v10, v4
	ds_bpermute_b32 v5, v5, v4
	s_wait_dscnt 0x0
	v_add_f32_e32 v4, v4, v5
	;; [unrolled: 3-line block ×5, first 2 shown]
	s_and_saveexec_b32 s3, vcc_lo
; %bb.269:
	ds_store_b32 v6, v4 offset:256
; %bb.270:
	s_or_b32 exec_lo, exec_lo, s3
	s_wait_dscnt 0x0
	s_barrier_signal -1
	s_barrier_wait -1
	s_and_saveexec_b32 s3, s0
; %bb.271:
	ds_load_b32 v4, v7 offset:256
; %bb.272:
	s_or_b32 exec_lo, exec_lo, s3
	s_wait_dscnt 0x0
	ds_bpermute_b32 v5, v9, v4
	s_wait_dscnt 0x0
	v_dual_mov_b32 v34, 0 :: v_dual_add_f32 v4, v4, v5
	ds_bpermute_b32 v3, v3, v4
	s_wait_dscnt 0x0
	v_add_f32_e32 v3, v4, v3
	ds_bpermute_b32 v3, v34, v3
	s_and_saveexec_b32 s0, s1
	s_cbranch_execz .LBB239_285
; %bb.273:
	s_wait_dscnt 0x0
	v_add_f32_e32 v3, 0x358637bd, v3
	s_mov_b32 s3, -1
	s_mov_b32 s1, exec_lo
	s_delay_alu instid0(VALU_DEP_1) | instskip(NEXT) | instid1(VALU_DEP_1)
	v_div_scale_f32 v4, null, v3, v3, 1.0
	v_rcp_f32_e32 v6, v4
	v_nop
	s_delay_alu instid0(TRANS32_DEP_1) | instskip(NEXT) | instid1(VALU_DEP_1)
	v_fma_f32 v5, -v4, v6, 1.0
	v_fmac_f32_e32 v6, v5, v6
	v_div_scale_f32 v7, vcc_lo, 1.0, v3, 1.0
	s_delay_alu instid0(VALU_DEP_1) | instskip(NEXT) | instid1(VALU_DEP_1)
	v_mul_f32_e32 v8, v7, v6
	v_fma_f32 v5, -v4, v8, v7
	s_delay_alu instid0(VALU_DEP_1) | instskip(SKIP_1) | instid1(VALU_DEP_2)
	v_fmac_f32_e32 v8, v5, v6
	v_xad_u32 v5, v0, -1, s19
	v_fma_f32 v4, -v4, v8, v7
	s_delay_alu instid0(VALU_DEP_1) | instskip(NEXT) | instid1(VALU_DEP_1)
	v_div_fmas_f32 v4, v4, v6, v8
	v_div_fixup_f32 v4, v4, v3, 1.0
	v_mov_b32_e32 v3, v0
	v_cmpx_lt_u32_e32 0x7f, v5
	s_cbranch_execz .LBB239_282
; %bb.274:
	s_delay_alu instid0(VALU_DEP_3) | instskip(NEXT) | instid1(VALU_DEP_1)
	v_dual_lshrrev_b32 v3, 7, v5 :: v_dual_mov_b32 v5, v4
	v_dual_mov_b32 v9, 0 :: v_dual_add_nc_u32 v6, -1, v3
	s_delay_alu instid0(VALU_DEP_1) | instskip(SKIP_1) | instid1(VALU_DEP_2)
	v_lshrrev_b32_e32 v7, 1, v6
	v_cmp_lt_u32_e32 vcc_lo, 13, v6
	v_add_nc_u32_e32 v6, 1, v7
	s_and_saveexec_b32 s3, vcc_lo
	s_cbranch_execz .LBB239_278
; %bb.275:
	s_delay_alu instid0(VALU_DEP_1)
	v_dual_mov_b32 v8, v29 :: v_dual_bitop2_b32 v7, -8, v6 bitop3:0x40
	s_mov_b32 s27, 0
	s_mov_b32 s28, 0
.LBB239_276:                            ; =>This Inner Loop Header: Depth=1
	ds_load_2addr_stride64_b32 v[10:11], v8 offset1:2
	ds_load_2addr_stride64_b32 v[12:13], v8 offset0:4 offset1:6
	ds_load_2addr_stride64_b32 v[14:15], v8 offset0:8 offset1:10
	;; [unrolled: 1-line block ×7, first 2 shown]
	s_add_co_i32 s28, s28, 16
	s_delay_alu instid0(SALU_CYCLE_1) | instskip(NEXT) | instid1(VALU_DEP_1)
	v_dual_add_nc_u32 v7, -8, v7 :: v_dual_mov_b32 v9, s28
	v_cmp_eq_u32_e32 vcc_lo, 0, v7
	s_or_b32 s27, vcc_lo, s27
	s_wait_dscnt 0x7
	v_pk_mul_f32 v[10:11], v[4:5], v[10:11]
	s_wait_dscnt 0x6
	v_pk_mul_f32 v[12:13], v[4:5], v[12:13]
	s_wait_dscnt 0x5
	v_pk_mul_f32 v[14:15], v[4:5], v[14:15]
	s_wait_dscnt 0x4
	v_pk_mul_f32 v[16:17], v[4:5], v[16:17]
	s_wait_dscnt 0x3
	v_pk_mul_f32 v[18:19], v[4:5], v[18:19]
	s_wait_dscnt 0x2
	v_pk_mul_f32 v[20:21], v[4:5], v[20:21]
	s_wait_dscnt 0x1
	v_pk_mul_f32 v[22:23], v[4:5], v[22:23]
	s_wait_dscnt 0x0
	v_pk_mul_f32 v[24:25], v[4:5], v[24:25]
	ds_store_2addr_stride64_b32 v8, v10, v11 offset1:2
	ds_store_2addr_stride64_b32 v8, v12, v13 offset0:4 offset1:6
	ds_store_2addr_stride64_b32 v8, v14, v15 offset0:8 offset1:10
	;; [unrolled: 1-line block ×7, first 2 shown]
	v_add_nc_u32_e32 v8, 0x2000, v8
	s_and_not1_b32 exec_lo, exec_lo, s27
	s_cbranch_execnz .LBB239_276
; %bb.277:
	s_or_b32 exec_lo, exec_lo, s27
.LBB239_278:
	s_delay_alu instid0(SALU_CYCLE_1) | instskip(NEXT) | instid1(VALU_DEP_1)
	s_or_b32 exec_lo, exec_lo, s3
	v_and_b32_e32 v6, 7, v6
	s_mov_b32 s27, 0
	s_mov_b32 s3, exec_lo
	s_delay_alu instid0(VALU_DEP_1)
	v_cmpx_ne_u32_e32 0, v6
	s_cbranch_execz .LBB239_281
; %bb.279:
	v_dual_lshlrev_b32 v7, 9, v9 :: v_dual_lshlrev_b32 v8, 2, v0
	s_delay_alu instid0(VALU_DEP_1)
	v_add3_u32 v7, v7, v8, 0x110
.LBB239_280:                            ; =>This Inner Loop Header: Depth=1
	ds_load_2addr_stride64_b32 v[8:9], v7 offset1:2
	v_add_nc_u32_e32 v6, -1, v6
	s_delay_alu instid0(VALU_DEP_1)
	v_cmp_eq_u32_e32 vcc_lo, 0, v6
	s_or_b32 s27, vcc_lo, s27
	s_wait_dscnt 0x0
	v_pk_mul_f32 v[8:9], v[4:5], v[8:9]
	ds_store_2addr_stride64_b32 v7, v8, v9 offset1:2
	v_add_nc_u32_e32 v7, 0x400, v7
	s_and_not1_b32 exec_lo, exec_lo, s27
	s_cbranch_execnz .LBB239_280
.LBB239_281:
	s_or_b32 exec_lo, exec_lo, s3
	v_add_nc_u32_e32 v3, 1, v3
	s_delay_alu instid0(VALU_DEP_1) | instskip(NEXT) | instid1(VALU_DEP_1)
	v_and_b32_e32 v5, 0x3fffffe, v3
	v_cmp_ne_u32_e32 vcc_lo, v3, v5
	v_lshl_add_u32 v3, v5, 7, v0
	s_or_not1_b32 s3, vcc_lo, exec_lo
.LBB239_282:
	s_or_b32 exec_lo, exec_lo, s1
	s_delay_alu instid0(SALU_CYCLE_1)
	s_and_b32 exec_lo, exec_lo, s3
	s_cbranch_execz .LBB239_285
; %bb.283:
	v_lshl_add_u32 v5, v3, 2, 0x110
	s_mov_b32 s1, 0
.LBB239_284:                            ; =>This Inner Loop Header: Depth=1
	ds_load_b32 v6, v5
	s_wait_dscnt 0x0
	v_dual_mul_f32 v6, v4, v6 :: v_dual_add_nc_u32 v3, 0x80, v3
	s_delay_alu instid0(VALU_DEP_1) | instskip(SKIP_3) | instid1(SALU_CYCLE_1)
	v_cmp_le_i32_e32 vcc_lo, s19, v3
	ds_store_b32 v5, v6
	v_add_nc_u32_e32 v5, 0x200, v5
	s_or_b32 s1, vcc_lo, s1
	s_and_not1_b32 exec_lo, exec_lo, s1
	s_cbranch_execnz .LBB239_284
.LBB239_285:
	s_or_b32 exec_lo, exec_lo, s0
	v_mov_b64_e32 v[4:5], 0
	v_mov_b32_e32 v35, 0
	s_wait_dscnt 0x0
	s_barrier_signal -1
	s_barrier_wait -1
	s_and_saveexec_b32 s27, s2
	s_cbranch_execz .LBB239_557
; %bb.286:
	s_abs_i32 s14, s14
	v_dual_mov_b32 v9, 0 :: v_dual_lshlrev_b32 v6, 3, v28
	s_cvt_f32_u32 s0, s14
	v_and_b32_e32 v8, 0x7c, v1
	v_or_b32_e32 v10, 0x60, v28
	s_sub_co_i32 s28, s12, s13
	v_rcp_iflag_f32_e32 v3, s0
	s_lshl_b64 s[0:1], s[24:25], 2
	s_sub_co_i32 s12, 0, s14
	s_add_nc_u64 s[0:1], s[22:23], s[0:1]
	v_mov_b64_e32 v[4:5], 0
	v_add_nc_u64_e32 v[12:13], s[0:1], v[8:9]
	v_lshl_add_u32 v30, v27, 5, 0x110
	v_readfirstlane_b32 s2, v3
	v_mov_b32_e32 v7, v9
	v_cmp_gt_u32_e32 vcc_lo, 0x78, v10
	v_dual_mov_b32 v11, v9 :: v_dual_lshlrev_b32 v10, 3, v10
	v_mov_b32_e32 v35, 0
	s_mul_f32 s2, s2, 0x4f7ffffe
	v_dual_mov_b32 v34, 0 :: v_dual_mov_b32 v31, v27
	s_ashr_i32 s19, s18, 31
	s_delay_alu instid0(SALU_CYCLE_1)
	s_cvt_u32_f32 s2, s2
	s_mov_b32 s3, 0
	s_add_co_i32 s29, s26, -1
	s_wait_kmcnt 0x0
	s_add_nc_u64 s[8:9], s[8:9], s[18:19]
	s_mul_i32 s12, s12, s2
	s_mov_b32 s18, s34
	s_mul_hi_u32 s0, s2, s12
	s_mov_b64 s[12:13], 0xffffffffffffff
	s_add_co_i32 s2, s2, s0
	s_mov_b32 s19, s3
	s_branch .LBB239_290
.LBB239_287:                            ;   in Loop: Header=BB239_290 Depth=1
	s_or_b32 exec_lo, exec_lo, s1
	;;#ASMSTART
	v_pk_mul_f16 v1, v41, v21;

	;;#ASMEND
	;;#ASMSTART
	v_pk_mul_f16 v3, v40, v22;

	;;#ASMEND
	;; [unrolled: 4-line block ×4, first 2 shown]
	;;#ASMSTART
	v_pk_add_f16 v1, v1, v3;

	;;#ASMEND
	;;#ASMSTART
	v_pk_add_f16 v1, v1, v8;

	;;#ASMEND
	;; [unrolled: 4-line block ×3, first 2 shown]
	v_and_b32_e32 v3, 0xffff, v1
	v_lshrrev_b32_e32 v1, 16, v1
	;;#ASMSTART
	v_cvt_f32_f16 v3, v3;
	;;#ASMEND
	;;#ASMSTART
	v_cvt_f32_f16 v1, v1;
	;;#ASMEND
	s_delay_alu instid0(VALU_DEP_1) | instskip(NEXT) | instid1(VALU_DEP_1)
	v_add_f32_e32 v1, v3, v1
	v_add_f32_e32 v35, v35, v1
.LBB239_288:                            ;   in Loop: Header=BB239_290 Depth=1
	s_or_b32 exec_lo, exec_lo, s23
	v_dual_add_f32 v1, v32, v33 :: v_dual_add_f32 v8, v25, v26
	s_delay_alu instid0(VALU_DEP_1) | instskip(NEXT) | instid1(VALU_DEP_1)
	v_dual_add_f32 v3, v36, v37 :: v_dual_add_f32 v34, v34, v8
	v_dual_add_f32 v5, v5, v1 :: v_dual_add_f32 v4, v4, v3
.LBB239_289:                            ;   in Loop: Header=BB239_290 Depth=1
	s_or_b32 exec_lo, exec_lo, s22
	v_dual_add_nc_u32 v31, 4, v31 :: v_dual_add_nc_u32 v2, 32, v2
	v_add_nc_u64_e32 v[12:13], 16, v[12:13]
	v_add_nc_u32_e32 v30, 0x80, v30
	s_delay_alu instid0(VALU_DEP_3) | instskip(SKIP_1) | instid1(SALU_CYCLE_1)
	v_cmp_le_i32_e64 s0, s26, v31
	s_or_b32 s19, s0, s19
	s_and_not1_b32 exec_lo, exec_lo, s19
	s_cbranch_execz .LBB239_556
.LBB239_290:                            ; =>This Inner Loop Header: Depth=1
	v_mov_b32_e32 v3, v9
	s_delay_alu instid0(VALU_DEP_1) | instskip(NEXT) | instid1(VALU_DEP_1)
	v_mul_u64_e32 v[14:15], s[20:21], v[2:3]
	v_mul_lo_u32 v1, v15, s16
	s_delay_alu instid0(VALU_DEP_1) | instskip(NEXT) | instid1(VALU_DEP_1)
	v_sub_nc_u32_e32 v1, v2, v1
	v_subrev_nc_u32_e32 v8, s16, v1
	v_cmp_le_u32_e64 s0, s16, v1
	s_delay_alu instid0(VALU_DEP_1) | instskip(NEXT) | instid1(VALU_DEP_1)
	v_dual_add_nc_u32 v3, 1, v15 :: v_dual_cndmask_b32 v1, v1, v8, s0
	v_cndmask_b32_e64 v3, v15, v3, s0
	s_delay_alu instid0(VALU_DEP_2) | instskip(NEXT) | instid1(VALU_DEP_2)
	v_cmp_le_u32_e64 s0, s16, v1
	v_add_nc_u32_e32 v8, 1, v3
	s_delay_alu instid0(VALU_DEP_1) | instskip(NEXT) | instid1(VALU_DEP_1)
	v_cndmask_b32_e64 v1, v3, v8, s0
	v_xor_b32_e32 v1, s15, v1
	s_delay_alu instid0(VALU_DEP_1) | instskip(NEXT) | instid1(VALU_DEP_1)
	v_subrev_nc_u32_e32 v1, s15, v1
	v_add_nc_u32_e32 v3, s35, v1
	v_cmp_lt_i32_e64 s1, s28, v1
	s_delay_alu instid0(VALU_DEP_2) | instskip(NEXT) | instid1(VALU_DEP_1)
	v_sub_nc_u32_e32 v8, 0, v3
	v_dual_ashrrev_i32 v3, 31, v3 :: v_dual_max_i32 v8, v3, v8
	s_delay_alu instid0(VALU_DEP_1) | instskip(NEXT) | instid1(VALU_DEP_1)
	v_mul_u64_e32 v[14:15], s[2:3], v[8:9]
	v_mul_lo_u32 v14, v15, s14
	s_delay_alu instid0(VALU_DEP_1) | instskip(NEXT) | instid1(VALU_DEP_1)
	v_sub_nc_u32_e32 v8, v8, v14
	v_subrev_nc_u32_e32 v14, s14, v8
	v_cmp_le_u32_e64 s0, s14, v8
	s_delay_alu instid0(VALU_DEP_1) | instskip(NEXT) | instid1(VALU_DEP_1)
	v_cndmask_b32_e64 v8, v8, v14, s0
	v_subrev_nc_u32_e32 v14, s14, v8
	v_cmp_le_u32_e64 s0, s14, v8
	s_delay_alu instid0(VALU_DEP_1) | instskip(NEXT) | instid1(VALU_DEP_1)
	v_cndmask_b32_e64 v8, v8, v14, s0
	v_xor_b32_e32 v8, v8, v3
	s_delay_alu instid0(VALU_DEP_1) | instskip(NEXT) | instid1(VALU_DEP_1)
	v_sub_nc_u32_e32 v3, v8, v3
	v_cmp_eq_u32_e64 s0, 0, v3
	s_or_b32 s0, s0, s1
	s_delay_alu instid0(SALU_CYCLE_1)
	s_and_saveexec_b32 s22, s0
	s_cbranch_execz .LBB239_289
; %bb.291:                              ;   in Loop: Header=BB239_290 Depth=1
	global_load_b32 v1, v[12:13], off
	ds_load_2addr_b64 v[16:19], v30 offset1:1
	ds_load_2addr_b64 v[20:23], v30 offset0:2 offset1:3
	s_mov_b32 s1, exec_lo
	s_wait_dscnt 0x1
	;;#ASMSTART
	v_cvt_f16_f32 v39, v16;

	;;#ASMEND
	;;#ASMSTART
	v_cvt_f16_f32 v36, v17;

	;;#ASMEND
	;;#ASMSTART
	v_cvt_f16_f32 v40, v18;

	;;#ASMEND
	;;#ASMSTART
	v_cvt_f16_f32 v37, v19;

	;;#ASMEND
	s_wait_dscnt 0x0
	;;#ASMSTART
	v_cvt_f16_f32 v41, v20;

	;;#ASMEND
	;;#ASMSTART
	v_cvt_f16_f32 v38, v21;

	;;#ASMEND
	;; [unrolled: 4-line block ×4, first 2 shown]
	v_mov_b32_e32 v3, 0
	s_wait_loadcnt 0x0
	v_mad_nc_i64_i32 v[14:15], v1, s17, s[8:9]
	v_mov_b32_e32 v1, 0
	global_load_b32 v18, v1, s[10:11]
	v_add_nc_u64_e32 v[16:17], v[14:15], v[6:7]
	global_load_b64 v[20:21], v[16:17], off
	s_wait_loadcnt 0x0
	v_and_b32_e32 v8, 0xff, v20
	s_delay_alu instid0(VALU_DEP_1)
	v_cmpx_ne_u16_e32 0, v8
	s_cbranch_execz .LBB239_299
; %bb.292:                              ;   in Loop: Header=BB239_290 Depth=1
	v_mov_b32_e32 v3, 0x8000
	s_mov_b32 s23, exec_lo
	v_cmpx_ne_u16_e32 0x80, v8
	s_cbranch_execz .LBB239_298
; %bb.293:                              ;   in Loop: Header=BB239_290 Depth=1
	v_and_b32_e32 v19, 0x7f, v20
	v_mov_b32_e32 v3, 0x7c01
	s_mov_b32 s24, exec_lo
	s_delay_alu instid0(VALU_DEP_2)
	v_cmpx_ne_u32_e32 0x7f, v19
	s_cbranch_execz .LBB239_297
; %bb.294:                              ;   in Loop: Header=BB239_290 Depth=1
	v_dual_lshrrev_b32 v8, 3, v19 :: v_dual_bitop2_b32 v3, 7, v20 bitop3:0x40
	s_mov_b32 s25, exec_lo
	v_cmpx_gt_u32_e32 8, v19
; %bb.295:                              ;   in Loop: Header=BB239_290 Depth=1
	s_delay_alu instid0(VALU_DEP_2) | instskip(NEXT) | instid1(VALU_DEP_1)
	v_clz_i32_u32_e32 v3, v3
	v_min_u32_e32 v3, 32, v3
	s_delay_alu instid0(VALU_DEP_1) | instskip(NEXT) | instid1(VALU_DEP_1)
	v_subrev_nc_u32_e32 v8, 28, v3
	v_lshlrev_b64_e32 v[22:23], v8, v[20:21]
	s_delay_alu instid0(VALU_DEP_1)
	v_dual_sub_nc_u32 v8, 29, v3 :: v_dual_bitop2_b32 v3, 7, v22 bitop3:0x40
; %bb.296:                              ;   in Loop: Header=BB239_290 Depth=1
	s_or_b32 exec_lo, exec_lo, s25
	s_delay_alu instid0(VALU_DEP_1) | instskip(NEXT) | instid1(VALU_DEP_2)
	v_dual_lshlrev_b32 v19, 8, v20 :: v_dual_lshlrev_b32 v3, 7, v3
	v_lshl_add_u32 v8, v8, 10, 0x2000
	s_delay_alu instid0(VALU_DEP_2) | instskip(NEXT) | instid1(VALU_DEP_2)
	v_and_b32_e32 v19, 0x8000, v19
	v_and_b32_e32 v8, 0xfc00, v8
	s_delay_alu instid0(VALU_DEP_1)
	v_or3_b32 v3, v19, v8, v3
.LBB239_297:                            ;   in Loop: Header=BB239_290 Depth=1
	s_or_b32 exec_lo, exec_lo, s24
.LBB239_298:                            ;   in Loop: Header=BB239_290 Depth=1
	s_delay_alu instid0(SALU_CYCLE_1)
	s_or_b32 exec_lo, exec_lo, s23
.LBB239_299:                            ;   in Loop: Header=BB239_290 Depth=1
	s_delay_alu instid0(SALU_CYCLE_1) | instskip(SKIP_2) | instid1(VALU_DEP_1)
	s_or_b32 exec_lo, exec_lo, s1
	v_lshrrev_b16 v8, 8, v20
	s_mov_b32 s1, exec_lo
	v_cmpx_ne_u16_e32 0, v8
	s_cbranch_execz .LBB239_307
; %bb.300:                              ;   in Loop: Header=BB239_290 Depth=1
	v_bfrev_b32_e32 v1, 1
	s_mov_b32 s23, exec_lo
	v_cmpx_ne_u16_e32 0x80, v8
	s_cbranch_execz .LBB239_306
; %bb.301:                              ;   in Loop: Header=BB239_290 Depth=1
	v_and_b32_e32 v19, 0xffff, v8
	v_mov_b32_e32 v1, 0x7c010000
	s_mov_b32 s24, exec_lo
	s_delay_alu instid0(VALU_DEP_2) | instskip(NEXT) | instid1(VALU_DEP_1)
	v_and_b32_e32 v23, 0x7f, v19
	v_cmpx_ne_u32_e32 0x7f, v23
	s_cbranch_execz .LBB239_305
; %bb.302:                              ;   in Loop: Header=BB239_290 Depth=1
	v_and_b32_e32 v1, 7, v19
	v_lshrrev_b32_e32 v22, 3, v23
	s_mov_b32 s25, exec_lo
	v_cmpx_gt_u32_e32 8, v23
; %bb.303:                              ;   in Loop: Header=BB239_290 Depth=1
	s_delay_alu instid0(VALU_DEP_3) | instskip(NEXT) | instid1(VALU_DEP_1)
	v_clz_i32_u32_e32 v1, v1
	v_min_u32_e32 v1, 32, v1
	s_delay_alu instid0(VALU_DEP_1) | instskip(NEXT) | instid1(VALU_DEP_1)
	v_subrev_nc_u32_e32 v22, 28, v1
	v_lshlrev_b64_e32 v[24:25], v22, v[8:9]
	s_delay_alu instid0(VALU_DEP_1)
	v_dual_sub_nc_u32 v22, 29, v1 :: v_dual_bitop2_b32 v1, 7, v24 bitop3:0x40
; %bb.304:                              ;   in Loop: Header=BB239_290 Depth=1
	s_or_b32 exec_lo, exec_lo, s25
	s_delay_alu instid0(VALU_DEP_1) | instskip(NEXT) | instid1(VALU_DEP_2)
	v_dual_lshlrev_b32 v8, 8, v19 :: v_dual_lshlrev_b32 v1, 23, v1
	v_lshl_add_u32 v19, v22, 10, 0x2000
	s_delay_alu instid0(VALU_DEP_1) | instskip(NEXT) | instid1(VALU_DEP_1)
	v_and_or_b32 v8, 0x8000, v8, v19
	v_lshl_or_b32 v1, v8, 16, v1
.LBB239_305:                            ;   in Loop: Header=BB239_290 Depth=1
	s_or_b32 exec_lo, exec_lo, s24
.LBB239_306:                            ;   in Loop: Header=BB239_290 Depth=1
	s_delay_alu instid0(SALU_CYCLE_1)
	s_or_b32 exec_lo, exec_lo, s23
.LBB239_307:                            ;   in Loop: Header=BB239_290 Depth=1
	s_delay_alu instid0(SALU_CYCLE_1) | instskip(SKIP_3) | instid1(VALU_DEP_2)
	s_or_b32 exec_lo, exec_lo, s1
	v_dual_mov_b32 v19, 0 :: v_dual_lshrrev_b32 v8, 16, v20
	v_mov_b32_e32 v22, 0
	s_mov_b32 s1, exec_lo
	v_and_b32_e32 v23, 0xff, v8
	s_delay_alu instid0(VALU_DEP_1)
	v_cmpx_ne_u16_e32 0, v23
	s_cbranch_execz .LBB239_315
; %bb.308:                              ;   in Loop: Header=BB239_290 Depth=1
	v_mov_b32_e32 v22, 0x8000
	s_mov_b32 s23, exec_lo
	v_cmpx_ne_u16_e32 0x80, v23
	s_cbranch_execz .LBB239_314
; %bb.309:                              ;   in Loop: Header=BB239_290 Depth=1
	v_bfe_u32 v24, v20, 16, 7
	v_mov_b32_e32 v22, 0x7c01
	s_mov_b32 s24, exec_lo
	s_delay_alu instid0(VALU_DEP_2)
	v_cmpx_ne_u32_e32 0x7f, v24
	s_cbranch_execz .LBB239_313
; %bb.310:                              ;   in Loop: Header=BB239_290 Depth=1
	v_and_b32_e32 v22, 7, v8
	v_lshrrev_b32_e32 v23, 3, v24
	s_mov_b32 s25, exec_lo
	v_cmpx_gt_u32_e32 8, v24
; %bb.311:                              ;   in Loop: Header=BB239_290 Depth=1
	s_delay_alu instid0(VALU_DEP_3) | instskip(NEXT) | instid1(VALU_DEP_1)
	v_clz_i32_u32_e32 v22, v22
	v_min_u32_e32 v24, 32, v22
	s_delay_alu instid0(VALU_DEP_1) | instskip(NEXT) | instid1(VALU_DEP_1)
	v_subrev_nc_u32_e32 v22, 28, v24
	v_lshlrev_b64_e32 v[22:23], v22, v[8:9]
	s_delay_alu instid0(VALU_DEP_1)
	v_dual_sub_nc_u32 v23, 29, v24 :: v_dual_bitop2_b32 v22, 7, v22 bitop3:0x40
; %bb.312:                              ;   in Loop: Header=BB239_290 Depth=1
	s_or_b32 exec_lo, exec_lo, s25
	s_delay_alu instid0(VALU_DEP_1) | instskip(NEXT) | instid1(VALU_DEP_2)
	v_dual_lshlrev_b32 v8, 8, v8 :: v_dual_lshlrev_b32 v22, 7, v22
	v_lshl_add_u32 v23, v23, 10, 0x2000
	s_delay_alu instid0(VALU_DEP_2) | instskip(NEXT) | instid1(VALU_DEP_2)
	v_and_b32_e32 v8, 0x8000, v8
	v_and_b32_e32 v23, 0xfc00, v23
	s_delay_alu instid0(VALU_DEP_1)
	v_or3_b32 v22, v8, v23, v22
.LBB239_313:                            ;   in Loop: Header=BB239_290 Depth=1
	s_or_b32 exec_lo, exec_lo, s24
.LBB239_314:                            ;   in Loop: Header=BB239_290 Depth=1
	s_delay_alu instid0(SALU_CYCLE_1)
	s_or_b32 exec_lo, exec_lo, s23
.LBB239_315:                            ;   in Loop: Header=BB239_290 Depth=1
	s_delay_alu instid0(SALU_CYCLE_1) | instskip(NEXT) | instid1(SALU_CYCLE_1)
	s_or_b32 exec_lo, exec_lo, s1
	s_mov_b32 s1, exec_lo
	v_cmpx_lt_u32_e32 0xffffff, v20
	s_cbranch_execz .LBB239_323
; %bb.316:                              ;   in Loop: Header=BB239_290 Depth=1
	v_lshrrev_b32_e32 v8, 24, v20
	v_bfrev_b32_e32 v19, 1
	s_mov_b32 s23, exec_lo
	s_delay_alu instid0(VALU_DEP_2)
	v_cmpx_ne_u32_e32 0x80, v8
	s_cbranch_execz .LBB239_322
; %bb.317:                              ;   in Loop: Header=BB239_290 Depth=1
	v_and_b32_e32 v24, 0x7f, v8
	v_mov_b32_e32 v19, 0x7c010000
	s_mov_b32 s24, exec_lo
	s_delay_alu instid0(VALU_DEP_2)
	v_cmpx_ne_u32_e32 0x7f, v24
	s_cbranch_execz .LBB239_321
; %bb.318:                              ;   in Loop: Header=BB239_290 Depth=1
	v_and_b32_e32 v19, 7, v8
	v_lshrrev_b32_e32 v23, 3, v24
	s_mov_b32 s25, exec_lo
	v_cmpx_gt_u32_e32 8, v24
; %bb.319:                              ;   in Loop: Header=BB239_290 Depth=1
	s_delay_alu instid0(VALU_DEP_3) | instskip(NEXT) | instid1(VALU_DEP_1)
	v_clz_i32_u32_e32 v19, v19
	v_min_u32_e32 v19, 32, v19
	s_delay_alu instid0(VALU_DEP_1) | instskip(NEXT) | instid1(VALU_DEP_1)
	v_subrev_nc_u32_e32 v23, 28, v19
	v_lshlrev_b64_e32 v[24:25], v23, v[8:9]
	s_delay_alu instid0(VALU_DEP_1)
	v_dual_sub_nc_u32 v23, 29, v19 :: v_dual_bitop2_b32 v19, 7, v24 bitop3:0x40
; %bb.320:                              ;   in Loop: Header=BB239_290 Depth=1
	s_or_b32 exec_lo, exec_lo, s25
	s_delay_alu instid0(VALU_DEP_1) | instskip(NEXT) | instid1(VALU_DEP_2)
	v_dual_lshlrev_b32 v8, 8, v8 :: v_dual_lshlrev_b32 v19, 23, v19
	v_lshl_add_u32 v23, v23, 10, 0x2000
	s_delay_alu instid0(VALU_DEP_1) | instskip(NEXT) | instid1(VALU_DEP_1)
	v_and_or_b32 v8, 0x8000, v8, v23
	v_lshl_or_b32 v19, v8, 16, v19
.LBB239_321:                            ;   in Loop: Header=BB239_290 Depth=1
	s_or_b32 exec_lo, exec_lo, s24
.LBB239_322:                            ;   in Loop: Header=BB239_290 Depth=1
	s_delay_alu instid0(SALU_CYCLE_1)
	s_or_b32 exec_lo, exec_lo, s23
.LBB239_323:                            ;   in Loop: Header=BB239_290 Depth=1
	s_delay_alu instid0(SALU_CYCLE_1) | instskip(SKIP_4) | instid1(VALU_DEP_3)
	s_or_b32 exec_lo, exec_lo, s1
	v_and_b32_e32 v25, 0xff, v21
	v_dual_mov_b32 v8, v21 :: v_dual_mov_b32 v24, 0
	v_mov_b32_e32 v23, 0
	s_mov_b32 s1, exec_lo
	v_cmpx_ne_u16_e32 0, v25
	s_cbranch_execz .LBB239_331
; %bb.324:                              ;   in Loop: Header=BB239_290 Depth=1
	v_mov_b32_e32 v23, 0x8000
	s_mov_b32 s23, exec_lo
	v_cmpx_ne_u16_e32 0x80, v25
	s_cbranch_execz .LBB239_330
; %bb.325:                              ;   in Loop: Header=BB239_290 Depth=1
	v_and_b32_e32 v26, 0x7f, v21
	v_mov_b32_e32 v23, 0x7c01
	s_mov_b32 s24, exec_lo
	s_delay_alu instid0(VALU_DEP_2)
	v_cmpx_ne_u32_e32 0x7f, v26
	s_cbranch_execz .LBB239_329
; %bb.326:                              ;   in Loop: Header=BB239_290 Depth=1
	v_dual_lshrrev_b32 v25, 3, v26 :: v_dual_bitop2_b32 v23, 7, v21 bitop3:0x40
	s_mov_b32 s25, exec_lo
	v_cmpx_gt_u32_e32 8, v26
; %bb.327:                              ;   in Loop: Header=BB239_290 Depth=1
	s_delay_alu instid0(VALU_DEP_2) | instskip(NEXT) | instid1(VALU_DEP_1)
	v_clz_i32_u32_e32 v23, v23
	v_min_u32_e32 v23, 32, v23
	s_delay_alu instid0(VALU_DEP_1) | instskip(NEXT) | instid1(VALU_DEP_1)
	v_subrev_nc_u32_e32 v25, 28, v23
	v_lshlrev_b64_e32 v[32:33], v25, v[8:9]
	s_delay_alu instid0(VALU_DEP_1)
	v_dual_sub_nc_u32 v25, 29, v23 :: v_dual_bitop2_b32 v23, 7, v32 bitop3:0x40
; %bb.328:                              ;   in Loop: Header=BB239_290 Depth=1
	s_or_b32 exec_lo, exec_lo, s25
	s_delay_alu instid0(VALU_DEP_1) | instskip(NEXT) | instid1(VALU_DEP_2)
	v_dual_lshlrev_b32 v26, 8, v21 :: v_dual_lshlrev_b32 v23, 7, v23
	v_lshl_add_u32 v25, v25, 10, 0x2000
	s_delay_alu instid0(VALU_DEP_2) | instskip(NEXT) | instid1(VALU_DEP_2)
	v_and_b32_e32 v26, 0x8000, v26
	v_and_b32_e32 v25, 0xfc00, v25
	s_delay_alu instid0(VALU_DEP_1)
	v_or3_b32 v23, v26, v25, v23
.LBB239_329:                            ;   in Loop: Header=BB239_290 Depth=1
	s_or_b32 exec_lo, exec_lo, s24
.LBB239_330:                            ;   in Loop: Header=BB239_290 Depth=1
	s_delay_alu instid0(SALU_CYCLE_1)
	s_or_b32 exec_lo, exec_lo, s23
.LBB239_331:                            ;   in Loop: Header=BB239_290 Depth=1
	s_delay_alu instid0(SALU_CYCLE_1) | instskip(SKIP_3) | instid1(VALU_DEP_2)
	s_or_b32 exec_lo, exec_lo, s1
	v_lshrrev_b16 v8, 8, v8
	v_mov_b32_e32 v25, 0
	s_mov_b32 s1, exec_lo
	v_cmpx_ne_u16_e32 0, v8
	s_cbranch_execz .LBB239_339
; %bb.332:                              ;   in Loop: Header=BB239_290 Depth=1
	v_bfrev_b32_e32 v25, 1
	s_mov_b32 s23, exec_lo
	v_cmpx_ne_u16_e32 0x80, v8
	s_cbranch_execz .LBB239_338
; %bb.333:                              ;   in Loop: Header=BB239_290 Depth=1
	v_and_b32_e32 v26, 0xffff, v8
	v_mov_b32_e32 v25, 0x7c010000
	s_mov_b32 s24, exec_lo
	s_delay_alu instid0(VALU_DEP_2) | instskip(NEXT) | instid1(VALU_DEP_1)
	v_and_b32_e32 v33, 0x7f, v26
	v_cmpx_ne_u32_e32 0x7f, v33
	s_cbranch_execz .LBB239_337
; %bb.334:                              ;   in Loop: Header=BB239_290 Depth=1
	v_dual_lshrrev_b32 v32, 3, v33 :: v_dual_bitop2_b32 v25, 7, v26 bitop3:0x40
	s_mov_b32 s25, exec_lo
	v_cmpx_gt_u32_e32 8, v33
; %bb.335:                              ;   in Loop: Header=BB239_290 Depth=1
	s_delay_alu instid0(VALU_DEP_2) | instskip(NEXT) | instid1(VALU_DEP_1)
	v_clz_i32_u32_e32 v25, v25
	v_min_u32_e32 v25, 32, v25
	s_delay_alu instid0(VALU_DEP_1) | instskip(NEXT) | instid1(VALU_DEP_1)
	v_subrev_nc_u32_e32 v32, 28, v25
	v_lshlrev_b64_e32 v[44:45], v32, v[8:9]
	s_delay_alu instid0(VALU_DEP_1)
	v_dual_sub_nc_u32 v32, 29, v25 :: v_dual_bitop2_b32 v25, 7, v44 bitop3:0x40
; %bb.336:                              ;   in Loop: Header=BB239_290 Depth=1
	s_or_b32 exec_lo, exec_lo, s25
	s_delay_alu instid0(VALU_DEP_1) | instskip(NEXT) | instid1(VALU_DEP_2)
	v_dual_lshlrev_b32 v8, 8, v26 :: v_dual_lshlrev_b32 v25, 23, v25
	v_lshl_add_u32 v26, v32, 10, 0x2000
	s_delay_alu instid0(VALU_DEP_1) | instskip(NEXT) | instid1(VALU_DEP_1)
	v_and_or_b32 v8, 0x8000, v8, v26
	v_lshl_or_b32 v25, v8, 16, v25
.LBB239_337:                            ;   in Loop: Header=BB239_290 Depth=1
	s_or_b32 exec_lo, exec_lo, s24
.LBB239_338:                            ;   in Loop: Header=BB239_290 Depth=1
	s_delay_alu instid0(SALU_CYCLE_1)
	s_or_b32 exec_lo, exec_lo, s23
.LBB239_339:                            ;   in Loop: Header=BB239_290 Depth=1
	s_delay_alu instid0(SALU_CYCLE_1) | instskip(SKIP_2) | instid1(VALU_DEP_1)
	s_or_b32 exec_lo, exec_lo, s1
	v_lshrrev_b32_e32 v8, 16, v21
	s_mov_b32 s1, exec_lo
	v_and_b32_e32 v26, 0xff, v8
	s_delay_alu instid0(VALU_DEP_1)
	v_cmpx_ne_u16_e32 0, v26
	s_cbranch_execz .LBB239_347
; %bb.340:                              ;   in Loop: Header=BB239_290 Depth=1
	v_mov_b32_e32 v24, 0x8000
	s_mov_b32 s23, exec_lo
	v_cmpx_ne_u16_e32 0x80, v26
	s_cbranch_execz .LBB239_346
; %bb.341:                              ;   in Loop: Header=BB239_290 Depth=1
	v_bfe_u32 v32, v21, 16, 7
	v_mov_b32_e32 v24, 0x7c01
	s_mov_b32 s24, exec_lo
	s_delay_alu instid0(VALU_DEP_2)
	v_cmpx_ne_u32_e32 0x7f, v32
	s_cbranch_execz .LBB239_345
; %bb.342:                              ;   in Loop: Header=BB239_290 Depth=1
	v_and_b32_e32 v24, 7, v8
	v_lshrrev_b32_e32 v26, 3, v32
	s_mov_b32 s25, exec_lo
	v_cmpx_gt_u32_e32 8, v32
; %bb.343:                              ;   in Loop: Header=BB239_290 Depth=1
	s_delay_alu instid0(VALU_DEP_3) | instskip(NEXT) | instid1(VALU_DEP_1)
	v_clz_i32_u32_e32 v24, v24
	v_min_u32_e32 v24, 32, v24
	s_delay_alu instid0(VALU_DEP_1) | instskip(NEXT) | instid1(VALU_DEP_1)
	v_subrev_nc_u32_e32 v26, 28, v24
	v_lshlrev_b64_e32 v[32:33], v26, v[8:9]
	v_sub_nc_u32_e32 v26, 29, v24
	s_delay_alu instid0(VALU_DEP_2)
	v_and_b32_e32 v24, 7, v32
; %bb.344:                              ;   in Loop: Header=BB239_290 Depth=1
	s_or_b32 exec_lo, exec_lo, s25
	v_lshlrev_b32_e32 v8, 8, v8
	s_delay_alu instid0(VALU_DEP_3) | instskip(NEXT) | instid1(VALU_DEP_3)
	v_lshl_add_u32 v26, v26, 10, 0x2000
	v_lshlrev_b32_e32 v24, 7, v24
	s_delay_alu instid0(VALU_DEP_3) | instskip(NEXT) | instid1(VALU_DEP_3)
	v_and_b32_e32 v8, 0x8000, v8
	v_and_b32_e32 v26, 0xfc00, v26
	s_delay_alu instid0(VALU_DEP_1)
	v_or3_b32 v24, v8, v26, v24
.LBB239_345:                            ;   in Loop: Header=BB239_290 Depth=1
	s_or_b32 exec_lo, exec_lo, s24
.LBB239_346:                            ;   in Loop: Header=BB239_290 Depth=1
	s_delay_alu instid0(SALU_CYCLE_1)
	s_or_b32 exec_lo, exec_lo, s23
.LBB239_347:                            ;   in Loop: Header=BB239_290 Depth=1
	s_delay_alu instid0(SALU_CYCLE_1)
	s_or_b32 exec_lo, exec_lo, s1
	v_cmp_lt_u64_e64 s0, s[12:13], v[20:21]
	v_mov_b32_e32 v20, 0
	s_and_saveexec_b32 s1, s0
	s_cbranch_execz .LBB239_355
; %bb.348:                              ;   in Loop: Header=BB239_290 Depth=1
	v_lshrrev_b32_e32 v8, 24, v21
	v_bfrev_b32_e32 v20, 1
	s_mov_b32 s23, exec_lo
	s_delay_alu instid0(VALU_DEP_2)
	v_cmpx_ne_u32_e32 0x80, v8
	s_cbranch_execz .LBB239_354
; %bb.349:                              ;   in Loop: Header=BB239_290 Depth=1
	v_and_b32_e32 v26, 0x7f, v8
	v_mov_b32_e32 v20, 0x7c010000
	s_mov_b32 s24, exec_lo
	s_delay_alu instid0(VALU_DEP_2)
	v_cmpx_ne_u32_e32 0x7f, v26
	s_cbranch_execz .LBB239_353
; %bb.350:                              ;   in Loop: Header=BB239_290 Depth=1
	v_dual_lshrrev_b32 v21, 3, v26 :: v_dual_bitop2_b32 v20, 7, v8 bitop3:0x40
	s_mov_b32 s25, exec_lo
	v_cmpx_gt_u32_e32 8, v26
; %bb.351:                              ;   in Loop: Header=BB239_290 Depth=1
	s_delay_alu instid0(VALU_DEP_2) | instskip(NEXT) | instid1(VALU_DEP_1)
	v_clz_i32_u32_e32 v20, v20
	v_min_u32_e32 v26, 32, v20
	s_delay_alu instid0(VALU_DEP_1) | instskip(NEXT) | instid1(VALU_DEP_1)
	v_subrev_nc_u32_e32 v20, 28, v26
	v_lshlrev_b64_e32 v[20:21], v20, v[8:9]
	s_delay_alu instid0(VALU_DEP_1)
	v_dual_sub_nc_u32 v21, 29, v26 :: v_dual_bitop2_b32 v20, 7, v20 bitop3:0x40
; %bb.352:                              ;   in Loop: Header=BB239_290 Depth=1
	s_or_b32 exec_lo, exec_lo, s25
	v_lshlrev_b32_e32 v8, 8, v8
	s_delay_alu instid0(VALU_DEP_2) | instskip(NEXT) | instid1(VALU_DEP_3)
	v_lshl_add_u32 v21, v21, 10, 0x2000
	v_lshlrev_b32_e32 v20, 23, v20
	s_delay_alu instid0(VALU_DEP_2) | instskip(NEXT) | instid1(VALU_DEP_1)
	v_and_or_b32 v8, 0x8000, v8, v21
	v_lshl_or_b32 v20, v8, 16, v20
.LBB239_353:                            ;   in Loop: Header=BB239_290 Depth=1
	s_or_b32 exec_lo, exec_lo, s24
.LBB239_354:                            ;   in Loop: Header=BB239_290 Depth=1
	s_delay_alu instid0(SALU_CYCLE_1)
	s_or_b32 exec_lo, exec_lo, s23
.LBB239_355:                            ;   in Loop: Header=BB239_290 Depth=1
	s_delay_alu instid0(SALU_CYCLE_1) | instskip(SKIP_3) | instid1(VALU_DEP_3)
	s_or_b32 exec_lo, exec_lo, s1
	v_dual_lshrrev_b32 v8, 16, v1 :: v_dual_lshrrev_b32 v21, 16, v19
	v_or_b32_e32 v1, v1, v3
	v_dual_lshrrev_b32 v22, 16, v20 :: v_dual_bitop2_b32 v3, v19, v22 bitop3:0x54
	v_cvt_f32_f16_e32 v33, v8
	s_delay_alu instid0(VALU_DEP_4) | instskip(SKIP_4) | instid1(VALU_DEP_4)
	v_cvt_f32_f16_e32 v32, v21
	v_lshrrev_b32_e32 v19, 16, v25
	v_cvt_f32_f16_e32 v21, v1
	v_cvt_f32_f16_e32 v22, v22
	v_cmp_eq_u32_e64 s0, s29, v31
	v_pk_mul_f32 v[32:33], v[18:19], v[32:33] op_sel_hi:[0,1]
	s_delay_alu instid0(VALU_DEP_1) | instskip(SKIP_4) | instid1(VALU_DEP_4)
	v_cvt_pk_f16_f32 v1, v32, v33
	v_or_b32_e32 v8, v20, v24
	v_cvt_f32_f16_e32 v20, v3
	v_or_b32_e32 v3, v25, v23
	v_cvt_f32_f16_e32 v23, v19
	v_cvt_f32_f16_e32 v24, v8
	s_delay_alu instid0(VALU_DEP_4) | instskip(NEXT) | instid1(VALU_DEP_4)
	v_pk_mul_f32 v[20:21], v[18:19], v[20:21] op_sel_hi:[0,1]
	v_cvt_f32_f16_e32 v25, v3
	s_delay_alu instid0(VALU_DEP_4) | instskip(NEXT) | instid1(VALU_DEP_3)
	v_pk_mul_f32 v[22:23], v[18:19], v[22:23] op_sel_hi:[0,1]
	v_cvt_pk_f16_f32 v3, v20, v21
	s_delay_alu instid0(VALU_DEP_3) | instskip(NEXT) | instid1(VALU_DEP_3)
	v_pk_mul_f32 v[24:25], v[18:19], v[24:25] op_sel_hi:[0,1]
	v_cvt_pk_f16_f32 v8, v22, v23
	v_and_b32_e32 v19, 0xffff0000, v1
	v_lshlrev_b32_e32 v18, 16, v1
	v_and_b32_e32 v26, 0xffff, v3
	v_cvt_pk_f16_f32 v20, v24, v25
	v_lshrrev_b32_e32 v25, 16, v3
	v_and_b32_e32 v1, 0xffff0000, v8
	s_delay_alu instid0(VALU_DEP_4) | instskip(NEXT) | instid1(VALU_DEP_4)
	v_dual_lshlrev_b32 v8, 16, v8 :: v_dual_bitop2_b32 v24, v18, v26 bitop3:0x54
	v_lshrrev_b32_e32 v3, 16, v20
	v_and_b32_e32 v20, 0xffff, v20
	v_or_b32_e32 v23, v19, v25
	s_delay_alu instid0(VALU_DEP_3) | instskip(NEXT) | instid1(VALU_DEP_3)
	v_or_b32_e32 v21, v1, v3
	v_or_b32_e32 v22, v8, v20
	s_and_saveexec_b32 s23, s0
	s_cbranch_execz .LBB239_357
; %bb.356:                              ;   in Loop: Header=BB239_290 Depth=1
	v_dual_add_nc_u32 v21, 2, v2 :: v_dual_bitop2_b32 v22, 1, v2 bitop3:0x54
	v_cmp_gt_i32_e64 s1, s18, v2
	s_delay_alu instid0(VALU_DEP_1) | instskip(NEXT) | instid1(VALU_DEP_3)
	v_dual_cndmask_b32 v24, 0, v25, s1 :: v_dual_bitop2_b32 v23, 3, v2 bitop3:0x54
	v_cmp_gt_i32_e64 s1, s34, v21
	v_or_b32_e32 v25, 5, v2
	s_delay_alu instid0(VALU_DEP_2) | instskip(SKIP_2) | instid1(VALU_DEP_2)
	v_cndmask_b32_e64 v21, 0, v26, s1
	v_cmp_gt_i32_e64 s1, s18, v22
	v_or_b32_e32 v22, 4, v2
	v_dual_cndmask_b32 v19, 0, v19, s1 :: v_dual_bitop2_b32 v26, 7, v2 bitop3:0x54
	v_cmp_gt_i32_e64 s1, s34, v23
	v_or_b32_e32 v23, 6, v2
	s_delay_alu instid0(VALU_DEP_2) | instskip(SKIP_1) | instid1(VALU_DEP_1)
	v_cndmask_b32_e64 v18, 0, v18, s1
	v_cmp_gt_i32_e64 s1, s18, v22
	v_cndmask_b32_e64 v3, 0, v3, s1
	s_delay_alu instid0(VALU_DEP_4) | instskip(SKIP_1) | instid1(VALU_DEP_2)
	v_cmp_gt_i32_e64 s1, s34, v23
	v_or_b32_e32 v23, v19, v24
	v_cndmask_b32_e64 v20, 0, v20, s1
	v_cmp_gt_i32_e64 s1, s18, v25
	v_or_b32_e32 v24, v18, v21
	s_delay_alu instid0(VALU_DEP_2) | instskip(SKIP_1) | instid1(VALU_DEP_1)
	v_cndmask_b32_e64 v1, 0, v1, s1
	v_cmp_gt_i32_e64 s1, s34, v26
	v_dual_cndmask_b32 v8, 0, v8, s1 :: v_dual_bitop2_b32 v21, v1, v3 bitop3:0x54
	s_delay_alu instid0(VALU_DEP_1)
	v_or_b32_e32 v22, v8, v20
.LBB239_357:                            ;   in Loop: Header=BB239_290 Depth=1
	s_or_b32 exec_lo, exec_lo, s23
	v_and_b32_e32 v1, 0xffff, v39
	v_and_b32_e32 v3, 0xffff, v40
	;; [unrolled: 1-line block ×4, first 2 shown]
	s_mov_b32 s23, exec_lo
	v_lshl_or_b32 v41, v36, 16, v1
	;;#ASMSTART
	v_pk_mul_f16 v1, v41, v23;

	;;#ASMEND
	v_lshl_or_b32 v40, v37, 16, v3
	v_lshl_or_b32 v39, v38, 16, v8
	;; [unrolled: 1-line block ×3, first 2 shown]
	;;#ASMSTART
	v_pk_mul_f16 v3, v40, v24;

	;;#ASMEND
	;;#ASMSTART
	v_pk_mul_f16 v8, v39, v21;

	;;#ASMEND
	;; [unrolled: 4-line block ×3, first 2 shown]
	;;#ASMSTART
	v_pk_add_f16 v1, v1, v3;

	;;#ASMEND
	;;#ASMSTART
	v_pk_add_f16 v1, v1, v8;

	;;#ASMEND
	;; [unrolled: 4-line block ×3, first 2 shown]
	v_and_b32_e32 v3, 0xffff, v1
	v_lshrrev_b32_e32 v1, 16, v1
	;;#ASMSTART
	v_cvt_f32_f16 v36, v3;
	;;#ASMEND
	v_mov_b32_e32 v3, 0
	;;#ASMSTART
	v_cvt_f32_f16 v37, v1;
	;;#ASMEND
	global_load_b64 v[20:21], v[16:17], off offset:256
	v_mov_b32_e32 v1, 0
	global_load_b32 v18, v1, s[10:11]
	s_wait_loadcnt 0x1
	v_and_b32_e32 v8, 0xff, v20
	s_wait_xcnt 0x0
	s_delay_alu instid0(VALU_DEP_1)
	v_cmpx_ne_u16_e32 0, v8
	s_cbranch_execz .LBB239_365
; %bb.358:                              ;   in Loop: Header=BB239_290 Depth=1
	v_mov_b32_e32 v3, 0x8000
	s_mov_b32 s24, exec_lo
	v_cmpx_ne_u16_e32 0x80, v8
	s_cbranch_execz .LBB239_364
; %bb.359:                              ;   in Loop: Header=BB239_290 Depth=1
	v_and_b32_e32 v19, 0x7f, v20
	v_mov_b32_e32 v3, 0x7c01
	s_mov_b32 s25, exec_lo
	s_delay_alu instid0(VALU_DEP_2)
	v_cmpx_ne_u32_e32 0x7f, v19
	s_cbranch_execz .LBB239_363
; %bb.360:                              ;   in Loop: Header=BB239_290 Depth=1
	v_dual_lshrrev_b32 v8, 3, v19 :: v_dual_bitop2_b32 v3, 7, v20 bitop3:0x40
	s_mov_b32 s36, exec_lo
	v_cmpx_gt_u32_e32 8, v19
; %bb.361:                              ;   in Loop: Header=BB239_290 Depth=1
	s_delay_alu instid0(VALU_DEP_2) | instskip(NEXT) | instid1(VALU_DEP_1)
	v_clz_i32_u32_e32 v3, v3
	v_min_u32_e32 v3, 32, v3
	s_delay_alu instid0(VALU_DEP_1) | instskip(NEXT) | instid1(VALU_DEP_1)
	v_subrev_nc_u32_e32 v8, 28, v3
	v_lshlrev_b64_e32 v[22:23], v8, v[20:21]
	s_delay_alu instid0(VALU_DEP_1)
	v_dual_sub_nc_u32 v8, 29, v3 :: v_dual_bitop2_b32 v3, 7, v22 bitop3:0x40
; %bb.362:                              ;   in Loop: Header=BB239_290 Depth=1
	s_or_b32 exec_lo, exec_lo, s36
	s_delay_alu instid0(VALU_DEP_1) | instskip(NEXT) | instid1(VALU_DEP_2)
	v_dual_lshlrev_b32 v19, 8, v20 :: v_dual_lshlrev_b32 v3, 7, v3
	v_lshl_add_u32 v8, v8, 10, 0x2000
	s_delay_alu instid0(VALU_DEP_2) | instskip(NEXT) | instid1(VALU_DEP_2)
	v_and_b32_e32 v19, 0x8000, v19
	v_and_b32_e32 v8, 0xfc00, v8
	s_delay_alu instid0(VALU_DEP_1)
	v_or3_b32 v3, v19, v8, v3
.LBB239_363:                            ;   in Loop: Header=BB239_290 Depth=1
	s_or_b32 exec_lo, exec_lo, s25
.LBB239_364:                            ;   in Loop: Header=BB239_290 Depth=1
	s_delay_alu instid0(SALU_CYCLE_1)
	s_or_b32 exec_lo, exec_lo, s24
.LBB239_365:                            ;   in Loop: Header=BB239_290 Depth=1
	s_delay_alu instid0(SALU_CYCLE_1) | instskip(SKIP_2) | instid1(VALU_DEP_1)
	s_or_b32 exec_lo, exec_lo, s23
	v_lshrrev_b16 v8, 8, v20
	s_mov_b32 s23, exec_lo
	v_cmpx_ne_u16_e32 0, v8
	s_cbranch_execz .LBB239_373
; %bb.366:                              ;   in Loop: Header=BB239_290 Depth=1
	v_bfrev_b32_e32 v1, 1
	s_mov_b32 s24, exec_lo
	v_cmpx_ne_u16_e32 0x80, v8
	s_cbranch_execz .LBB239_372
; %bb.367:                              ;   in Loop: Header=BB239_290 Depth=1
	v_and_b32_e32 v19, 0xffff, v8
	v_mov_b32_e32 v1, 0x7c010000
	s_mov_b32 s25, exec_lo
	s_delay_alu instid0(VALU_DEP_2) | instskip(NEXT) | instid1(VALU_DEP_1)
	v_and_b32_e32 v23, 0x7f, v19
	v_cmpx_ne_u32_e32 0x7f, v23
	s_cbranch_execz .LBB239_371
; %bb.368:                              ;   in Loop: Header=BB239_290 Depth=1
	v_and_b32_e32 v1, 7, v19
	v_lshrrev_b32_e32 v22, 3, v23
	s_mov_b32 s36, exec_lo
	v_cmpx_gt_u32_e32 8, v23
; %bb.369:                              ;   in Loop: Header=BB239_290 Depth=1
	s_delay_alu instid0(VALU_DEP_3) | instskip(NEXT) | instid1(VALU_DEP_1)
	v_clz_i32_u32_e32 v1, v1
	v_min_u32_e32 v1, 32, v1
	s_delay_alu instid0(VALU_DEP_1) | instskip(NEXT) | instid1(VALU_DEP_1)
	v_subrev_nc_u32_e32 v22, 28, v1
	v_lshlrev_b64_e32 v[24:25], v22, v[8:9]
	s_delay_alu instid0(VALU_DEP_1)
	v_dual_sub_nc_u32 v22, 29, v1 :: v_dual_bitop2_b32 v1, 7, v24 bitop3:0x40
; %bb.370:                              ;   in Loop: Header=BB239_290 Depth=1
	s_or_b32 exec_lo, exec_lo, s36
	s_delay_alu instid0(VALU_DEP_1) | instskip(NEXT) | instid1(VALU_DEP_2)
	v_dual_lshlrev_b32 v8, 8, v19 :: v_dual_lshlrev_b32 v1, 23, v1
	v_lshl_add_u32 v19, v22, 10, 0x2000
	s_delay_alu instid0(VALU_DEP_1) | instskip(NEXT) | instid1(VALU_DEP_1)
	v_and_or_b32 v8, 0x8000, v8, v19
	v_lshl_or_b32 v1, v8, 16, v1
.LBB239_371:                            ;   in Loop: Header=BB239_290 Depth=1
	s_or_b32 exec_lo, exec_lo, s25
.LBB239_372:                            ;   in Loop: Header=BB239_290 Depth=1
	s_delay_alu instid0(SALU_CYCLE_1)
	s_or_b32 exec_lo, exec_lo, s24
.LBB239_373:                            ;   in Loop: Header=BB239_290 Depth=1
	s_delay_alu instid0(SALU_CYCLE_1) | instskip(SKIP_3) | instid1(VALU_DEP_2)
	s_or_b32 exec_lo, exec_lo, s23
	v_dual_mov_b32 v19, 0 :: v_dual_lshrrev_b32 v8, 16, v20
	v_mov_b32_e32 v22, 0
	s_mov_b32 s23, exec_lo
	v_and_b32_e32 v23, 0xff, v8
	s_delay_alu instid0(VALU_DEP_1)
	v_cmpx_ne_u16_e32 0, v23
	s_cbranch_execz .LBB239_381
; %bb.374:                              ;   in Loop: Header=BB239_290 Depth=1
	v_mov_b32_e32 v22, 0x8000
	s_mov_b32 s24, exec_lo
	v_cmpx_ne_u16_e32 0x80, v23
	s_cbranch_execz .LBB239_380
; %bb.375:                              ;   in Loop: Header=BB239_290 Depth=1
	v_bfe_u32 v24, v20, 16, 7
	v_mov_b32_e32 v22, 0x7c01
	s_mov_b32 s25, exec_lo
	s_delay_alu instid0(VALU_DEP_2)
	v_cmpx_ne_u32_e32 0x7f, v24
	s_cbranch_execz .LBB239_379
; %bb.376:                              ;   in Loop: Header=BB239_290 Depth=1
	v_and_b32_e32 v22, 7, v8
	v_lshrrev_b32_e32 v23, 3, v24
	s_mov_b32 s36, exec_lo
	v_cmpx_gt_u32_e32 8, v24
; %bb.377:                              ;   in Loop: Header=BB239_290 Depth=1
	s_delay_alu instid0(VALU_DEP_3) | instskip(NEXT) | instid1(VALU_DEP_1)
	v_clz_i32_u32_e32 v22, v22
	v_min_u32_e32 v24, 32, v22
	s_delay_alu instid0(VALU_DEP_1) | instskip(NEXT) | instid1(VALU_DEP_1)
	v_subrev_nc_u32_e32 v22, 28, v24
	v_lshlrev_b64_e32 v[22:23], v22, v[8:9]
	s_delay_alu instid0(VALU_DEP_1)
	v_dual_sub_nc_u32 v23, 29, v24 :: v_dual_bitop2_b32 v22, 7, v22 bitop3:0x40
; %bb.378:                              ;   in Loop: Header=BB239_290 Depth=1
	s_or_b32 exec_lo, exec_lo, s36
	s_delay_alu instid0(VALU_DEP_1) | instskip(NEXT) | instid1(VALU_DEP_2)
	v_dual_lshlrev_b32 v8, 8, v8 :: v_dual_lshlrev_b32 v22, 7, v22
	v_lshl_add_u32 v23, v23, 10, 0x2000
	s_delay_alu instid0(VALU_DEP_2) | instskip(NEXT) | instid1(VALU_DEP_2)
	v_and_b32_e32 v8, 0x8000, v8
	v_and_b32_e32 v23, 0xfc00, v23
	s_delay_alu instid0(VALU_DEP_1)
	v_or3_b32 v22, v8, v23, v22
.LBB239_379:                            ;   in Loop: Header=BB239_290 Depth=1
	s_or_b32 exec_lo, exec_lo, s25
.LBB239_380:                            ;   in Loop: Header=BB239_290 Depth=1
	s_delay_alu instid0(SALU_CYCLE_1)
	s_or_b32 exec_lo, exec_lo, s24
.LBB239_381:                            ;   in Loop: Header=BB239_290 Depth=1
	s_delay_alu instid0(SALU_CYCLE_1) | instskip(NEXT) | instid1(SALU_CYCLE_1)
	s_or_b32 exec_lo, exec_lo, s23
	s_mov_b32 s23, exec_lo
	v_cmpx_lt_u32_e32 0xffffff, v20
	s_cbranch_execz .LBB239_389
; %bb.382:                              ;   in Loop: Header=BB239_290 Depth=1
	v_lshrrev_b32_e32 v8, 24, v20
	v_bfrev_b32_e32 v19, 1
	s_mov_b32 s24, exec_lo
	s_delay_alu instid0(VALU_DEP_2)
	v_cmpx_ne_u32_e32 0x80, v8
	s_cbranch_execz .LBB239_388
; %bb.383:                              ;   in Loop: Header=BB239_290 Depth=1
	v_and_b32_e32 v24, 0x7f, v8
	v_mov_b32_e32 v19, 0x7c010000
	s_mov_b32 s25, exec_lo
	s_delay_alu instid0(VALU_DEP_2)
	v_cmpx_ne_u32_e32 0x7f, v24
	s_cbranch_execz .LBB239_387
; %bb.384:                              ;   in Loop: Header=BB239_290 Depth=1
	v_and_b32_e32 v19, 7, v8
	v_lshrrev_b32_e32 v23, 3, v24
	s_mov_b32 s36, exec_lo
	v_cmpx_gt_u32_e32 8, v24
; %bb.385:                              ;   in Loop: Header=BB239_290 Depth=1
	s_delay_alu instid0(VALU_DEP_3) | instskip(NEXT) | instid1(VALU_DEP_1)
	v_clz_i32_u32_e32 v19, v19
	v_min_u32_e32 v19, 32, v19
	s_delay_alu instid0(VALU_DEP_1) | instskip(NEXT) | instid1(VALU_DEP_1)
	v_subrev_nc_u32_e32 v23, 28, v19
	v_lshlrev_b64_e32 v[24:25], v23, v[8:9]
	s_delay_alu instid0(VALU_DEP_1)
	v_dual_sub_nc_u32 v23, 29, v19 :: v_dual_bitop2_b32 v19, 7, v24 bitop3:0x40
; %bb.386:                              ;   in Loop: Header=BB239_290 Depth=1
	s_or_b32 exec_lo, exec_lo, s36
	s_delay_alu instid0(VALU_DEP_1) | instskip(NEXT) | instid1(VALU_DEP_2)
	v_dual_lshlrev_b32 v8, 8, v8 :: v_dual_lshlrev_b32 v19, 23, v19
	v_lshl_add_u32 v23, v23, 10, 0x2000
	s_delay_alu instid0(VALU_DEP_1) | instskip(NEXT) | instid1(VALU_DEP_1)
	v_and_or_b32 v8, 0x8000, v8, v23
	v_lshl_or_b32 v19, v8, 16, v19
.LBB239_387:                            ;   in Loop: Header=BB239_290 Depth=1
	s_or_b32 exec_lo, exec_lo, s25
.LBB239_388:                            ;   in Loop: Header=BB239_290 Depth=1
	s_delay_alu instid0(SALU_CYCLE_1)
	s_or_b32 exec_lo, exec_lo, s24
.LBB239_389:                            ;   in Loop: Header=BB239_290 Depth=1
	s_delay_alu instid0(SALU_CYCLE_1) | instskip(SKIP_4) | instid1(VALU_DEP_3)
	s_or_b32 exec_lo, exec_lo, s23
	v_and_b32_e32 v25, 0xff, v21
	v_dual_mov_b32 v8, v21 :: v_dual_mov_b32 v24, 0
	v_mov_b32_e32 v23, 0
	s_mov_b32 s23, exec_lo
	v_cmpx_ne_u16_e32 0, v25
	s_cbranch_execz .LBB239_397
; %bb.390:                              ;   in Loop: Header=BB239_290 Depth=1
	v_mov_b32_e32 v23, 0x8000
	s_mov_b32 s24, exec_lo
	v_cmpx_ne_u16_e32 0x80, v25
	s_cbranch_execz .LBB239_396
; %bb.391:                              ;   in Loop: Header=BB239_290 Depth=1
	v_and_b32_e32 v26, 0x7f, v21
	v_mov_b32_e32 v23, 0x7c01
	s_mov_b32 s25, exec_lo
	s_delay_alu instid0(VALU_DEP_2)
	v_cmpx_ne_u32_e32 0x7f, v26
	s_cbranch_execz .LBB239_395
; %bb.392:                              ;   in Loop: Header=BB239_290 Depth=1
	v_dual_lshrrev_b32 v25, 3, v26 :: v_dual_bitop2_b32 v23, 7, v21 bitop3:0x40
	s_mov_b32 s36, exec_lo
	v_cmpx_gt_u32_e32 8, v26
; %bb.393:                              ;   in Loop: Header=BB239_290 Depth=1
	s_delay_alu instid0(VALU_DEP_2) | instskip(NEXT) | instid1(VALU_DEP_1)
	v_clz_i32_u32_e32 v23, v23
	v_min_u32_e32 v23, 32, v23
	s_delay_alu instid0(VALU_DEP_1) | instskip(NEXT) | instid1(VALU_DEP_1)
	v_subrev_nc_u32_e32 v25, 28, v23
	v_lshlrev_b64_e32 v[32:33], v25, v[8:9]
	s_delay_alu instid0(VALU_DEP_1)
	v_dual_sub_nc_u32 v25, 29, v23 :: v_dual_bitop2_b32 v23, 7, v32 bitop3:0x40
; %bb.394:                              ;   in Loop: Header=BB239_290 Depth=1
	s_or_b32 exec_lo, exec_lo, s36
	s_delay_alu instid0(VALU_DEP_1) | instskip(NEXT) | instid1(VALU_DEP_2)
	v_dual_lshlrev_b32 v26, 8, v21 :: v_dual_lshlrev_b32 v23, 7, v23
	v_lshl_add_u32 v25, v25, 10, 0x2000
	s_delay_alu instid0(VALU_DEP_2) | instskip(NEXT) | instid1(VALU_DEP_2)
	v_and_b32_e32 v26, 0x8000, v26
	v_and_b32_e32 v25, 0xfc00, v25
	s_delay_alu instid0(VALU_DEP_1)
	v_or3_b32 v23, v26, v25, v23
.LBB239_395:                            ;   in Loop: Header=BB239_290 Depth=1
	s_or_b32 exec_lo, exec_lo, s25
.LBB239_396:                            ;   in Loop: Header=BB239_290 Depth=1
	s_delay_alu instid0(SALU_CYCLE_1)
	s_or_b32 exec_lo, exec_lo, s24
.LBB239_397:                            ;   in Loop: Header=BB239_290 Depth=1
	s_delay_alu instid0(SALU_CYCLE_1) | instskip(SKIP_3) | instid1(VALU_DEP_2)
	s_or_b32 exec_lo, exec_lo, s23
	v_lshrrev_b16 v8, 8, v8
	v_mov_b32_e32 v25, 0
	s_mov_b32 s23, exec_lo
	v_cmpx_ne_u16_e32 0, v8
	s_cbranch_execz .LBB239_405
; %bb.398:                              ;   in Loop: Header=BB239_290 Depth=1
	v_bfrev_b32_e32 v25, 1
	s_mov_b32 s24, exec_lo
	v_cmpx_ne_u16_e32 0x80, v8
	s_cbranch_execz .LBB239_404
; %bb.399:                              ;   in Loop: Header=BB239_290 Depth=1
	v_and_b32_e32 v26, 0xffff, v8
	v_mov_b32_e32 v25, 0x7c010000
	s_mov_b32 s25, exec_lo
	s_delay_alu instid0(VALU_DEP_2) | instskip(NEXT) | instid1(VALU_DEP_1)
	v_and_b32_e32 v33, 0x7f, v26
	v_cmpx_ne_u32_e32 0x7f, v33
	s_cbranch_execz .LBB239_403
; %bb.400:                              ;   in Loop: Header=BB239_290 Depth=1
	v_dual_lshrrev_b32 v32, 3, v33 :: v_dual_bitop2_b32 v25, 7, v26 bitop3:0x40
	s_mov_b32 s36, exec_lo
	v_cmpx_gt_u32_e32 8, v33
; %bb.401:                              ;   in Loop: Header=BB239_290 Depth=1
	s_delay_alu instid0(VALU_DEP_2) | instskip(NEXT) | instid1(VALU_DEP_1)
	v_clz_i32_u32_e32 v25, v25
	v_min_u32_e32 v25, 32, v25
	s_delay_alu instid0(VALU_DEP_1) | instskip(NEXT) | instid1(VALU_DEP_1)
	v_subrev_nc_u32_e32 v32, 28, v25
	v_lshlrev_b64_e32 v[42:43], v32, v[8:9]
	s_delay_alu instid0(VALU_DEP_1)
	v_dual_sub_nc_u32 v32, 29, v25 :: v_dual_bitop2_b32 v25, 7, v42 bitop3:0x40
; %bb.402:                              ;   in Loop: Header=BB239_290 Depth=1
	s_or_b32 exec_lo, exec_lo, s36
	s_delay_alu instid0(VALU_DEP_1) | instskip(NEXT) | instid1(VALU_DEP_2)
	v_dual_lshlrev_b32 v8, 8, v26 :: v_dual_lshlrev_b32 v25, 23, v25
	v_lshl_add_u32 v26, v32, 10, 0x2000
	s_delay_alu instid0(VALU_DEP_1) | instskip(NEXT) | instid1(VALU_DEP_1)
	v_and_or_b32 v8, 0x8000, v8, v26
	v_lshl_or_b32 v25, v8, 16, v25
.LBB239_403:                            ;   in Loop: Header=BB239_290 Depth=1
	s_or_b32 exec_lo, exec_lo, s25
.LBB239_404:                            ;   in Loop: Header=BB239_290 Depth=1
	s_delay_alu instid0(SALU_CYCLE_1)
	s_or_b32 exec_lo, exec_lo, s24
.LBB239_405:                            ;   in Loop: Header=BB239_290 Depth=1
	s_delay_alu instid0(SALU_CYCLE_1) | instskip(SKIP_2) | instid1(VALU_DEP_1)
	s_or_b32 exec_lo, exec_lo, s23
	v_lshrrev_b32_e32 v8, 16, v21
	s_mov_b32 s23, exec_lo
	v_and_b32_e32 v26, 0xff, v8
	s_delay_alu instid0(VALU_DEP_1)
	v_cmpx_ne_u16_e32 0, v26
	s_cbranch_execz .LBB239_413
; %bb.406:                              ;   in Loop: Header=BB239_290 Depth=1
	v_mov_b32_e32 v24, 0x8000
	s_mov_b32 s24, exec_lo
	v_cmpx_ne_u16_e32 0x80, v26
	s_cbranch_execz .LBB239_412
; %bb.407:                              ;   in Loop: Header=BB239_290 Depth=1
	v_bfe_u32 v32, v21, 16, 7
	v_mov_b32_e32 v24, 0x7c01
	s_mov_b32 s25, exec_lo
	s_delay_alu instid0(VALU_DEP_2)
	v_cmpx_ne_u32_e32 0x7f, v32
	s_cbranch_execz .LBB239_411
; %bb.408:                              ;   in Loop: Header=BB239_290 Depth=1
	v_and_b32_e32 v24, 7, v8
	v_lshrrev_b32_e32 v26, 3, v32
	s_mov_b32 s36, exec_lo
	v_cmpx_gt_u32_e32 8, v32
; %bb.409:                              ;   in Loop: Header=BB239_290 Depth=1
	s_delay_alu instid0(VALU_DEP_3) | instskip(NEXT) | instid1(VALU_DEP_1)
	v_clz_i32_u32_e32 v24, v24
	v_min_u32_e32 v24, 32, v24
	s_delay_alu instid0(VALU_DEP_1) | instskip(NEXT) | instid1(VALU_DEP_1)
	v_subrev_nc_u32_e32 v26, 28, v24
	v_lshlrev_b64_e32 v[32:33], v26, v[8:9]
	v_sub_nc_u32_e32 v26, 29, v24
	s_delay_alu instid0(VALU_DEP_2)
	v_and_b32_e32 v24, 7, v32
; %bb.410:                              ;   in Loop: Header=BB239_290 Depth=1
	s_or_b32 exec_lo, exec_lo, s36
	v_lshlrev_b32_e32 v8, 8, v8
	s_delay_alu instid0(VALU_DEP_3) | instskip(NEXT) | instid1(VALU_DEP_3)
	v_lshl_add_u32 v26, v26, 10, 0x2000
	v_lshlrev_b32_e32 v24, 7, v24
	s_delay_alu instid0(VALU_DEP_3) | instskip(NEXT) | instid1(VALU_DEP_3)
	v_and_b32_e32 v8, 0x8000, v8
	v_and_b32_e32 v26, 0xfc00, v26
	s_delay_alu instid0(VALU_DEP_1)
	v_or3_b32 v24, v8, v26, v24
.LBB239_411:                            ;   in Loop: Header=BB239_290 Depth=1
	s_or_b32 exec_lo, exec_lo, s25
.LBB239_412:                            ;   in Loop: Header=BB239_290 Depth=1
	s_delay_alu instid0(SALU_CYCLE_1)
	s_or_b32 exec_lo, exec_lo, s24
.LBB239_413:                            ;   in Loop: Header=BB239_290 Depth=1
	s_delay_alu instid0(SALU_CYCLE_1)
	s_or_b32 exec_lo, exec_lo, s23
	v_cmp_lt_u64_e64 s1, s[12:13], v[20:21]
	v_mov_b32_e32 v20, 0
	s_and_saveexec_b32 s23, s1
	s_cbranch_execz .LBB239_421
; %bb.414:                              ;   in Loop: Header=BB239_290 Depth=1
	v_lshrrev_b32_e32 v8, 24, v21
	v_bfrev_b32_e32 v20, 1
	s_mov_b32 s24, exec_lo
	s_delay_alu instid0(VALU_DEP_2)
	v_cmpx_ne_u32_e32 0x80, v8
	s_cbranch_execz .LBB239_420
; %bb.415:                              ;   in Loop: Header=BB239_290 Depth=1
	v_and_b32_e32 v26, 0x7f, v8
	v_mov_b32_e32 v20, 0x7c010000
	s_mov_b32 s25, exec_lo
	s_delay_alu instid0(VALU_DEP_2)
	v_cmpx_ne_u32_e32 0x7f, v26
	s_cbranch_execz .LBB239_419
; %bb.416:                              ;   in Loop: Header=BB239_290 Depth=1
	v_dual_lshrrev_b32 v21, 3, v26 :: v_dual_bitop2_b32 v20, 7, v8 bitop3:0x40
	s_mov_b32 s36, exec_lo
	v_cmpx_gt_u32_e32 8, v26
; %bb.417:                              ;   in Loop: Header=BB239_290 Depth=1
	s_delay_alu instid0(VALU_DEP_2) | instskip(NEXT) | instid1(VALU_DEP_1)
	v_clz_i32_u32_e32 v20, v20
	v_min_u32_e32 v26, 32, v20
	s_delay_alu instid0(VALU_DEP_1) | instskip(NEXT) | instid1(VALU_DEP_1)
	v_subrev_nc_u32_e32 v20, 28, v26
	v_lshlrev_b64_e32 v[20:21], v20, v[8:9]
	s_delay_alu instid0(VALU_DEP_1)
	v_dual_sub_nc_u32 v21, 29, v26 :: v_dual_bitop2_b32 v20, 7, v20 bitop3:0x40
; %bb.418:                              ;   in Loop: Header=BB239_290 Depth=1
	s_or_b32 exec_lo, exec_lo, s36
	v_lshlrev_b32_e32 v8, 8, v8
	s_delay_alu instid0(VALU_DEP_2) | instskip(NEXT) | instid1(VALU_DEP_3)
	v_lshl_add_u32 v21, v21, 10, 0x2000
	v_lshlrev_b32_e32 v20, 23, v20
	s_delay_alu instid0(VALU_DEP_2) | instskip(NEXT) | instid1(VALU_DEP_1)
	v_and_or_b32 v8, 0x8000, v8, v21
	v_lshl_or_b32 v20, v8, 16, v20
.LBB239_419:                            ;   in Loop: Header=BB239_290 Depth=1
	s_or_b32 exec_lo, exec_lo, s25
.LBB239_420:                            ;   in Loop: Header=BB239_290 Depth=1
	s_delay_alu instid0(SALU_CYCLE_1)
	s_or_b32 exec_lo, exec_lo, s24
.LBB239_421:                            ;   in Loop: Header=BB239_290 Depth=1
	s_delay_alu instid0(SALU_CYCLE_1) | instskip(SKIP_3) | instid1(VALU_DEP_3)
	s_or_b32 exec_lo, exec_lo, s23
	v_dual_lshrrev_b32 v8, 16, v1 :: v_dual_lshrrev_b32 v21, 16, v19
	v_or_b32_e32 v1, v1, v3
	v_dual_lshrrev_b32 v22, 16, v20 :: v_dual_bitop2_b32 v3, v19, v22 bitop3:0x54
	v_cvt_f32_f16_e32 v33, v8
	s_delay_alu instid0(VALU_DEP_4) | instskip(SKIP_4) | instid1(VALU_DEP_3)
	v_cvt_f32_f16_e32 v32, v21
	v_lshrrev_b32_e32 v19, 16, v25
	v_cvt_f32_f16_e32 v21, v1
	v_cvt_f32_f16_e32 v22, v22
	s_wait_loadcnt 0x0
	v_pk_mul_f32 v[32:33], v[18:19], v[32:33] op_sel_hi:[0,1]
	s_delay_alu instid0(VALU_DEP_1) | instskip(SKIP_4) | instid1(VALU_DEP_4)
	v_cvt_pk_f16_f32 v1, v32, v33
	v_or_b32_e32 v8, v20, v24
	v_cvt_f32_f16_e32 v20, v3
	v_or_b32_e32 v3, v25, v23
	v_cvt_f32_f16_e32 v23, v19
	v_cvt_f32_f16_e32 v24, v8
	s_delay_alu instid0(VALU_DEP_4) | instskip(NEXT) | instid1(VALU_DEP_4)
	v_pk_mul_f32 v[20:21], v[18:19], v[20:21] op_sel_hi:[0,1]
	v_cvt_f32_f16_e32 v25, v3
	s_delay_alu instid0(VALU_DEP_4) | instskip(NEXT) | instid1(VALU_DEP_3)
	v_pk_mul_f32 v[22:23], v[18:19], v[22:23] op_sel_hi:[0,1]
	v_cvt_pk_f16_f32 v3, v20, v21
	s_delay_alu instid0(VALU_DEP_3) | instskip(NEXT) | instid1(VALU_DEP_3)
	v_pk_mul_f32 v[24:25], v[18:19], v[24:25] op_sel_hi:[0,1]
	v_cvt_pk_f16_f32 v8, v22, v23
	v_and_b32_e32 v19, 0xffff0000, v1
	v_lshlrev_b32_e32 v18, 16, v1
	v_and_b32_e32 v22, 0xffff, v3
	v_cvt_pk_f16_f32 v20, v24, v25
	v_lshrrev_b32_e32 v21, 16, v3
	v_and_b32_e32 v1, 0xffff0000, v8
	s_delay_alu instid0(VALU_DEP_4) | instskip(NEXT) | instid1(VALU_DEP_4)
	v_dual_lshlrev_b32 v8, 16, v8 :: v_dual_bitop2_b32 v26, v18, v22 bitop3:0x54
	v_lshrrev_b32_e32 v3, 16, v20
	v_and_b32_e32 v20, 0xffff, v20
	v_or_b32_e32 v25, v19, v21
	s_delay_alu instid0(VALU_DEP_3) | instskip(NEXT) | instid1(VALU_DEP_3)
	v_or_b32_e32 v23, v1, v3
	v_or_b32_e32 v24, v8, v20
	s_and_saveexec_b32 s23, s0
	s_cbranch_execz .LBB239_423
; %bb.422:                              ;   in Loop: Header=BB239_290 Depth=1
	v_dual_add_nc_u32 v23, 2, v2 :: v_dual_bitop2_b32 v24, 1, v2 bitop3:0x54
	v_cmp_gt_i32_e64 s1, s18, v2
	v_or_b32_e32 v25, 3, v2
	s_delay_alu instid0(VALU_DEP_2) | instskip(NEXT) | instid1(VALU_DEP_4)
	v_dual_cndmask_b32 v21, 0, v21, s1 :: v_dual_bitop2_b32 v26, 7, v2 bitop3:0x54
	v_cmp_gt_i32_e64 s1, s34, v23
	v_or_b32_e32 v23, 4, v2
	s_delay_alu instid0(VALU_DEP_2) | instskip(SKIP_1) | instid1(VALU_DEP_1)
	v_cndmask_b32_e64 v22, 0, v22, s1
	v_cmp_gt_i32_e64 s1, s18, v24
	v_dual_cndmask_b32 v19, 0, v19, s1 :: v_dual_bitop2_b32 v24, 6, v2 bitop3:0x54
	v_cmp_gt_i32_e64 s1, s34, v25
	v_or_b32_e32 v25, 5, v2
	s_delay_alu instid0(VALU_DEP_2) | instskip(SKIP_1) | instid1(VALU_DEP_1)
	v_cndmask_b32_e64 v18, 0, v18, s1
	v_cmp_gt_i32_e64 s1, s18, v23
	v_cndmask_b32_e64 v3, 0, v3, s1
	v_cmp_gt_i32_e64 s1, s34, v24
	s_delay_alu instid0(VALU_DEP_1) | instskip(SKIP_2) | instid1(VALU_DEP_2)
	v_cndmask_b32_e64 v20, 0, v20, s1
	v_cmp_gt_i32_e64 s1, s18, v25
	v_or_b32_e32 v25, v19, v21
	v_cndmask_b32_e64 v1, 0, v1, s1
	v_cmp_gt_i32_e64 s1, s34, v26
	v_or_b32_e32 v26, v18, v22
	s_delay_alu instid0(VALU_DEP_2) | instskip(NEXT) | instid1(VALU_DEP_1)
	v_dual_cndmask_b32 v8, 0, v8, s1 :: v_dual_bitop2_b32 v23, v1, v3 bitop3:0x54
	v_or_b32_e32 v24, v8, v20
.LBB239_423:                            ;   in Loop: Header=BB239_290 Depth=1
	s_or_b32 exec_lo, exec_lo, s23
	;;#ASMSTART
	v_pk_mul_f16 v1, v41, v25;

	;;#ASMEND
	;;#ASMSTART
	v_pk_mul_f16 v3, v40, v26;

	;;#ASMEND
	;; [unrolled: 4-line block ×4, first 2 shown]
	;;#ASMSTART
	v_pk_add_f16 v1, v1, v3;

	;;#ASMEND
	;;#ASMSTART
	v_pk_add_f16 v1, v1, v8;

	;;#ASMEND
	;; [unrolled: 4-line block ×3, first 2 shown]
	v_and_b32_e32 v3, 0xffff, v1
	v_lshrrev_b32_e32 v1, 16, v1
	;;#ASMSTART
	v_cvt_f32_f16 v32, v3;
	;;#ASMEND
	v_mov_b32_e32 v3, 0
	;;#ASMSTART
	v_cvt_f32_f16 v33, v1;
	;;#ASMEND
	global_load_b64 v[18:19], v[16:17], off offset:512
	v_mov_b32_e32 v1, 0
	s_mov_b32 s23, exec_lo
	global_load_b32 v16, v1, s[10:11]
	s_wait_loadcnt 0x1
	v_and_b32_e32 v8, 0xff, v18
	s_wait_xcnt 0x0
	s_delay_alu instid0(VALU_DEP_1)
	v_cmpx_ne_u16_e32 0, v8
	s_cbranch_execz .LBB239_431
; %bb.424:                              ;   in Loop: Header=BB239_290 Depth=1
	v_mov_b32_e32 v3, 0x8000
	s_mov_b32 s24, exec_lo
	v_cmpx_ne_u16_e32 0x80, v8
	s_cbranch_execz .LBB239_430
; %bb.425:                              ;   in Loop: Header=BB239_290 Depth=1
	v_and_b32_e32 v17, 0x7f, v18
	v_mov_b32_e32 v3, 0x7c01
	s_mov_b32 s25, exec_lo
	s_delay_alu instid0(VALU_DEP_2)
	v_cmpx_ne_u32_e32 0x7f, v17
	s_cbranch_execz .LBB239_429
; %bb.426:                              ;   in Loop: Header=BB239_290 Depth=1
	v_dual_lshrrev_b32 v8, 3, v17 :: v_dual_bitop2_b32 v3, 7, v18 bitop3:0x40
	s_mov_b32 s36, exec_lo
	v_cmpx_gt_u32_e32 8, v17
; %bb.427:                              ;   in Loop: Header=BB239_290 Depth=1
	s_delay_alu instid0(VALU_DEP_2) | instskip(NEXT) | instid1(VALU_DEP_1)
	v_clz_i32_u32_e32 v3, v3
	v_min_u32_e32 v3, 32, v3
	s_delay_alu instid0(VALU_DEP_1) | instskip(NEXT) | instid1(VALU_DEP_1)
	v_subrev_nc_u32_e32 v8, 28, v3
	v_lshlrev_b64_e32 v[20:21], v8, v[18:19]
	s_delay_alu instid0(VALU_DEP_1)
	v_dual_sub_nc_u32 v8, 29, v3 :: v_dual_bitop2_b32 v3, 7, v20 bitop3:0x40
; %bb.428:                              ;   in Loop: Header=BB239_290 Depth=1
	s_or_b32 exec_lo, exec_lo, s36
	s_delay_alu instid0(VALU_DEP_1) | instskip(NEXT) | instid1(VALU_DEP_2)
	v_dual_lshlrev_b32 v17, 8, v18 :: v_dual_lshlrev_b32 v3, 7, v3
	v_lshl_add_u32 v8, v8, 10, 0x2000
	s_delay_alu instid0(VALU_DEP_2) | instskip(NEXT) | instid1(VALU_DEP_2)
	v_and_b32_e32 v17, 0x8000, v17
	v_and_b32_e32 v8, 0xfc00, v8
	s_delay_alu instid0(VALU_DEP_1)
	v_or3_b32 v3, v17, v8, v3
.LBB239_429:                            ;   in Loop: Header=BB239_290 Depth=1
	s_or_b32 exec_lo, exec_lo, s25
.LBB239_430:                            ;   in Loop: Header=BB239_290 Depth=1
	s_delay_alu instid0(SALU_CYCLE_1)
	s_or_b32 exec_lo, exec_lo, s24
.LBB239_431:                            ;   in Loop: Header=BB239_290 Depth=1
	s_delay_alu instid0(SALU_CYCLE_1) | instskip(SKIP_2) | instid1(VALU_DEP_1)
	s_or_b32 exec_lo, exec_lo, s23
	v_lshrrev_b16 v8, 8, v18
	s_mov_b32 s23, exec_lo
	v_cmpx_ne_u16_e32 0, v8
	s_cbranch_execz .LBB239_439
; %bb.432:                              ;   in Loop: Header=BB239_290 Depth=1
	v_bfrev_b32_e32 v1, 1
	s_mov_b32 s24, exec_lo
	v_cmpx_ne_u16_e32 0x80, v8
	s_cbranch_execz .LBB239_438
; %bb.433:                              ;   in Loop: Header=BB239_290 Depth=1
	v_and_b32_e32 v17, 0xffff, v8
	v_mov_b32_e32 v1, 0x7c010000
	s_mov_b32 s25, exec_lo
	s_delay_alu instid0(VALU_DEP_2) | instskip(NEXT) | instid1(VALU_DEP_1)
	v_and_b32_e32 v21, 0x7f, v17
	v_cmpx_ne_u32_e32 0x7f, v21
	s_cbranch_execz .LBB239_437
; %bb.434:                              ;   in Loop: Header=BB239_290 Depth=1
	v_and_b32_e32 v1, 7, v17
	v_lshrrev_b32_e32 v20, 3, v21
	s_mov_b32 s36, exec_lo
	v_cmpx_gt_u32_e32 8, v21
; %bb.435:                              ;   in Loop: Header=BB239_290 Depth=1
	s_delay_alu instid0(VALU_DEP_3) | instskip(NEXT) | instid1(VALU_DEP_1)
	v_clz_i32_u32_e32 v1, v1
	v_min_u32_e32 v1, 32, v1
	s_delay_alu instid0(VALU_DEP_1) | instskip(NEXT) | instid1(VALU_DEP_1)
	v_subrev_nc_u32_e32 v20, 28, v1
	v_lshlrev_b64_e32 v[22:23], v20, v[8:9]
	s_delay_alu instid0(VALU_DEP_1)
	v_dual_sub_nc_u32 v20, 29, v1 :: v_dual_bitop2_b32 v1, 7, v22 bitop3:0x40
; %bb.436:                              ;   in Loop: Header=BB239_290 Depth=1
	s_or_b32 exec_lo, exec_lo, s36
	v_lshlrev_b32_e32 v8, 8, v17
	s_delay_alu instid0(VALU_DEP_2) | instskip(NEXT) | instid1(VALU_DEP_3)
	v_lshl_add_u32 v17, v20, 10, 0x2000
	v_lshlrev_b32_e32 v1, 23, v1
	s_delay_alu instid0(VALU_DEP_2) | instskip(NEXT) | instid1(VALU_DEP_1)
	v_and_or_b32 v8, 0x8000, v8, v17
	v_lshl_or_b32 v1, v8, 16, v1
.LBB239_437:                            ;   in Loop: Header=BB239_290 Depth=1
	s_or_b32 exec_lo, exec_lo, s25
.LBB239_438:                            ;   in Loop: Header=BB239_290 Depth=1
	s_delay_alu instid0(SALU_CYCLE_1)
	s_or_b32 exec_lo, exec_lo, s24
.LBB239_439:                            ;   in Loop: Header=BB239_290 Depth=1
	s_delay_alu instid0(SALU_CYCLE_1) | instskip(SKIP_3) | instid1(VALU_DEP_2)
	s_or_b32 exec_lo, exec_lo, s23
	v_dual_mov_b32 v17, 0 :: v_dual_lshrrev_b32 v8, 16, v18
	v_mov_b32_e32 v20, 0
	s_mov_b32 s23, exec_lo
	v_and_b32_e32 v21, 0xff, v8
	s_delay_alu instid0(VALU_DEP_1)
	v_cmpx_ne_u16_e32 0, v21
	s_cbranch_execz .LBB239_447
; %bb.440:                              ;   in Loop: Header=BB239_290 Depth=1
	v_mov_b32_e32 v20, 0x8000
	s_mov_b32 s24, exec_lo
	v_cmpx_ne_u16_e32 0x80, v21
	s_cbranch_execz .LBB239_446
; %bb.441:                              ;   in Loop: Header=BB239_290 Depth=1
	v_bfe_u32 v22, v18, 16, 7
	v_mov_b32_e32 v20, 0x7c01
	s_mov_b32 s25, exec_lo
	s_delay_alu instid0(VALU_DEP_2)
	v_cmpx_ne_u32_e32 0x7f, v22
	s_cbranch_execz .LBB239_445
; %bb.442:                              ;   in Loop: Header=BB239_290 Depth=1
	v_dual_lshrrev_b32 v21, 3, v22 :: v_dual_bitop2_b32 v20, 7, v8 bitop3:0x40
	s_mov_b32 s36, exec_lo
	v_cmpx_gt_u32_e32 8, v22
; %bb.443:                              ;   in Loop: Header=BB239_290 Depth=1
	s_delay_alu instid0(VALU_DEP_2) | instskip(NEXT) | instid1(VALU_DEP_1)
	v_clz_i32_u32_e32 v20, v20
	v_min_u32_e32 v22, 32, v20
	s_delay_alu instid0(VALU_DEP_1) | instskip(NEXT) | instid1(VALU_DEP_1)
	v_subrev_nc_u32_e32 v20, 28, v22
	v_lshlrev_b64_e32 v[20:21], v20, v[8:9]
	s_delay_alu instid0(VALU_DEP_1)
	v_dual_sub_nc_u32 v21, 29, v22 :: v_dual_bitop2_b32 v20, 7, v20 bitop3:0x40
; %bb.444:                              ;   in Loop: Header=BB239_290 Depth=1
	s_or_b32 exec_lo, exec_lo, s36
	v_lshlrev_b32_e32 v8, 8, v8
	s_delay_alu instid0(VALU_DEP_2) | instskip(NEXT) | instid1(VALU_DEP_3)
	v_lshl_add_u32 v21, v21, 10, 0x2000
	v_lshlrev_b32_e32 v20, 7, v20
	s_delay_alu instid0(VALU_DEP_3) | instskip(NEXT) | instid1(VALU_DEP_3)
	v_and_b32_e32 v8, 0x8000, v8
	v_and_b32_e32 v21, 0xfc00, v21
	s_delay_alu instid0(VALU_DEP_1)
	v_or3_b32 v20, v8, v21, v20
.LBB239_445:                            ;   in Loop: Header=BB239_290 Depth=1
	s_or_b32 exec_lo, exec_lo, s25
.LBB239_446:                            ;   in Loop: Header=BB239_290 Depth=1
	s_delay_alu instid0(SALU_CYCLE_1)
	s_or_b32 exec_lo, exec_lo, s24
.LBB239_447:                            ;   in Loop: Header=BB239_290 Depth=1
	s_delay_alu instid0(SALU_CYCLE_1) | instskip(NEXT) | instid1(SALU_CYCLE_1)
	s_or_b32 exec_lo, exec_lo, s23
	s_mov_b32 s23, exec_lo
	v_cmpx_lt_u32_e32 0xffffff, v18
	s_cbranch_execz .LBB239_455
; %bb.448:                              ;   in Loop: Header=BB239_290 Depth=1
	v_lshrrev_b32_e32 v8, 24, v18
	v_bfrev_b32_e32 v17, 1
	s_mov_b32 s24, exec_lo
	s_delay_alu instid0(VALU_DEP_2)
	v_cmpx_ne_u32_e32 0x80, v8
	s_cbranch_execz .LBB239_454
; %bb.449:                              ;   in Loop: Header=BB239_290 Depth=1
	v_and_b32_e32 v22, 0x7f, v8
	v_mov_b32_e32 v17, 0x7c010000
	s_mov_b32 s25, exec_lo
	s_delay_alu instid0(VALU_DEP_2)
	v_cmpx_ne_u32_e32 0x7f, v22
	s_cbranch_execz .LBB239_453
; %bb.450:                              ;   in Loop: Header=BB239_290 Depth=1
	v_dual_lshrrev_b32 v21, 3, v22 :: v_dual_bitop2_b32 v17, 7, v8 bitop3:0x40
	s_mov_b32 s36, exec_lo
	v_cmpx_gt_u32_e32 8, v22
; %bb.451:                              ;   in Loop: Header=BB239_290 Depth=1
	s_delay_alu instid0(VALU_DEP_2) | instskip(NEXT) | instid1(VALU_DEP_1)
	v_clz_i32_u32_e32 v17, v17
	v_min_u32_e32 v17, 32, v17
	s_delay_alu instid0(VALU_DEP_1) | instskip(NEXT) | instid1(VALU_DEP_1)
	v_subrev_nc_u32_e32 v21, 28, v17
	v_lshlrev_b64_e32 v[22:23], v21, v[8:9]
	s_delay_alu instid0(VALU_DEP_1)
	v_dual_sub_nc_u32 v21, 29, v17 :: v_dual_bitop2_b32 v17, 7, v22 bitop3:0x40
; %bb.452:                              ;   in Loop: Header=BB239_290 Depth=1
	s_or_b32 exec_lo, exec_lo, s36
	s_delay_alu instid0(VALU_DEP_1) | instskip(NEXT) | instid1(VALU_DEP_2)
	v_dual_lshlrev_b32 v8, 8, v8 :: v_dual_lshlrev_b32 v17, 23, v17
	v_lshl_add_u32 v21, v21, 10, 0x2000
	s_delay_alu instid0(VALU_DEP_1) | instskip(NEXT) | instid1(VALU_DEP_1)
	v_and_or_b32 v8, 0x8000, v8, v21
	v_lshl_or_b32 v17, v8, 16, v17
.LBB239_453:                            ;   in Loop: Header=BB239_290 Depth=1
	s_or_b32 exec_lo, exec_lo, s25
.LBB239_454:                            ;   in Loop: Header=BB239_290 Depth=1
	s_delay_alu instid0(SALU_CYCLE_1)
	s_or_b32 exec_lo, exec_lo, s24
.LBB239_455:                            ;   in Loop: Header=BB239_290 Depth=1
	s_delay_alu instid0(SALU_CYCLE_1) | instskip(SKIP_4) | instid1(VALU_DEP_3)
	s_or_b32 exec_lo, exec_lo, s23
	v_and_b32_e32 v23, 0xff, v19
	v_dual_mov_b32 v8, v19 :: v_dual_mov_b32 v22, 0
	v_mov_b32_e32 v21, 0
	s_mov_b32 s23, exec_lo
	v_cmpx_ne_u16_e32 0, v23
	s_cbranch_execz .LBB239_463
; %bb.456:                              ;   in Loop: Header=BB239_290 Depth=1
	v_mov_b32_e32 v21, 0x8000
	s_mov_b32 s24, exec_lo
	v_cmpx_ne_u16_e32 0x80, v23
	s_cbranch_execz .LBB239_462
; %bb.457:                              ;   in Loop: Header=BB239_290 Depth=1
	v_and_b32_e32 v24, 0x7f, v19
	v_mov_b32_e32 v21, 0x7c01
	s_mov_b32 s25, exec_lo
	s_delay_alu instid0(VALU_DEP_2)
	v_cmpx_ne_u32_e32 0x7f, v24
	s_cbranch_execz .LBB239_461
; %bb.458:                              ;   in Loop: Header=BB239_290 Depth=1
	v_dual_lshrrev_b32 v23, 3, v24 :: v_dual_bitop2_b32 v21, 7, v19 bitop3:0x40
	s_mov_b32 s36, exec_lo
	v_cmpx_gt_u32_e32 8, v24
; %bb.459:                              ;   in Loop: Header=BB239_290 Depth=1
	s_delay_alu instid0(VALU_DEP_2) | instskip(NEXT) | instid1(VALU_DEP_1)
	v_clz_i32_u32_e32 v21, v21
	v_min_u32_e32 v21, 32, v21
	s_delay_alu instid0(VALU_DEP_1) | instskip(NEXT) | instid1(VALU_DEP_1)
	v_subrev_nc_u32_e32 v23, 28, v21
	v_lshlrev_b64_e32 v[24:25], v23, v[8:9]
	s_delay_alu instid0(VALU_DEP_1)
	v_dual_sub_nc_u32 v23, 29, v21 :: v_dual_bitop2_b32 v21, 7, v24 bitop3:0x40
; %bb.460:                              ;   in Loop: Header=BB239_290 Depth=1
	s_or_b32 exec_lo, exec_lo, s36
	s_delay_alu instid0(VALU_DEP_1) | instskip(NEXT) | instid1(VALU_DEP_2)
	v_dual_lshlrev_b32 v24, 8, v19 :: v_dual_lshlrev_b32 v21, 7, v21
	v_lshl_add_u32 v23, v23, 10, 0x2000
	s_delay_alu instid0(VALU_DEP_2) | instskip(NEXT) | instid1(VALU_DEP_2)
	v_and_b32_e32 v24, 0x8000, v24
	v_and_b32_e32 v23, 0xfc00, v23
	s_delay_alu instid0(VALU_DEP_1)
	v_or3_b32 v21, v24, v23, v21
.LBB239_461:                            ;   in Loop: Header=BB239_290 Depth=1
	s_or_b32 exec_lo, exec_lo, s25
.LBB239_462:                            ;   in Loop: Header=BB239_290 Depth=1
	s_delay_alu instid0(SALU_CYCLE_1)
	s_or_b32 exec_lo, exec_lo, s24
.LBB239_463:                            ;   in Loop: Header=BB239_290 Depth=1
	s_delay_alu instid0(SALU_CYCLE_1) | instskip(SKIP_3) | instid1(VALU_DEP_2)
	s_or_b32 exec_lo, exec_lo, s23
	v_lshrrev_b16 v8, 8, v8
	v_mov_b32_e32 v23, 0
	s_mov_b32 s23, exec_lo
	v_cmpx_ne_u16_e32 0, v8
	s_cbranch_execz .LBB239_471
; %bb.464:                              ;   in Loop: Header=BB239_290 Depth=1
	v_bfrev_b32_e32 v23, 1
	s_mov_b32 s24, exec_lo
	v_cmpx_ne_u16_e32 0x80, v8
	s_cbranch_execz .LBB239_470
; %bb.465:                              ;   in Loop: Header=BB239_290 Depth=1
	v_and_b32_e32 v24, 0xffff, v8
	v_mov_b32_e32 v23, 0x7c010000
	s_mov_b32 s25, exec_lo
	s_delay_alu instid0(VALU_DEP_2) | instskip(NEXT) | instid1(VALU_DEP_1)
	v_and_b32_e32 v26, 0x7f, v24
	v_cmpx_ne_u32_e32 0x7f, v26
	s_cbranch_execz .LBB239_469
; %bb.466:                              ;   in Loop: Header=BB239_290 Depth=1
	v_dual_lshrrev_b32 v25, 3, v26 :: v_dual_bitop2_b32 v23, 7, v24 bitop3:0x40
	s_mov_b32 s36, exec_lo
	v_cmpx_gt_u32_e32 8, v26
; %bb.467:                              ;   in Loop: Header=BB239_290 Depth=1
	s_delay_alu instid0(VALU_DEP_2) | instskip(NEXT) | instid1(VALU_DEP_1)
	v_clz_i32_u32_e32 v23, v23
	v_min_u32_e32 v23, 32, v23
	s_delay_alu instid0(VALU_DEP_1) | instskip(NEXT) | instid1(VALU_DEP_1)
	v_subrev_nc_u32_e32 v25, 28, v23
	v_lshlrev_b64_e32 v[42:43], v25, v[8:9]
	s_delay_alu instid0(VALU_DEP_1)
	v_dual_sub_nc_u32 v25, 29, v23 :: v_dual_bitop2_b32 v23, 7, v42 bitop3:0x40
; %bb.468:                              ;   in Loop: Header=BB239_290 Depth=1
	s_or_b32 exec_lo, exec_lo, s36
	s_delay_alu instid0(VALU_DEP_1) | instskip(NEXT) | instid1(VALU_DEP_2)
	v_dual_lshlrev_b32 v8, 8, v24 :: v_dual_lshlrev_b32 v23, 23, v23
	v_lshl_add_u32 v24, v25, 10, 0x2000
	s_delay_alu instid0(VALU_DEP_1) | instskip(NEXT) | instid1(VALU_DEP_1)
	v_and_or_b32 v8, 0x8000, v8, v24
	v_lshl_or_b32 v23, v8, 16, v23
.LBB239_469:                            ;   in Loop: Header=BB239_290 Depth=1
	s_or_b32 exec_lo, exec_lo, s25
.LBB239_470:                            ;   in Loop: Header=BB239_290 Depth=1
	s_delay_alu instid0(SALU_CYCLE_1)
	s_or_b32 exec_lo, exec_lo, s24
.LBB239_471:                            ;   in Loop: Header=BB239_290 Depth=1
	s_delay_alu instid0(SALU_CYCLE_1) | instskip(SKIP_2) | instid1(VALU_DEP_1)
	s_or_b32 exec_lo, exec_lo, s23
	v_lshrrev_b32_e32 v8, 16, v19
	s_mov_b32 s23, exec_lo
	v_and_b32_e32 v24, 0xff, v8
	s_delay_alu instid0(VALU_DEP_1)
	v_cmpx_ne_u16_e32 0, v24
	s_cbranch_execz .LBB239_479
; %bb.472:                              ;   in Loop: Header=BB239_290 Depth=1
	v_mov_b32_e32 v22, 0x8000
	s_mov_b32 s24, exec_lo
	v_cmpx_ne_u16_e32 0x80, v24
	s_cbranch_execz .LBB239_478
; %bb.473:                              ;   in Loop: Header=BB239_290 Depth=1
	v_bfe_u32 v25, v19, 16, 7
	v_mov_b32_e32 v22, 0x7c01
	s_mov_b32 s25, exec_lo
	s_delay_alu instid0(VALU_DEP_2)
	v_cmpx_ne_u32_e32 0x7f, v25
	s_cbranch_execz .LBB239_477
; %bb.474:                              ;   in Loop: Header=BB239_290 Depth=1
	v_dual_lshrrev_b32 v24, 3, v25 :: v_dual_bitop2_b32 v22, 7, v8 bitop3:0x40
	s_mov_b32 s36, exec_lo
	v_cmpx_gt_u32_e32 8, v25
; %bb.475:                              ;   in Loop: Header=BB239_290 Depth=1
	s_delay_alu instid0(VALU_DEP_2) | instskip(NEXT) | instid1(VALU_DEP_1)
	v_clz_i32_u32_e32 v22, v22
	v_min_u32_e32 v22, 32, v22
	s_delay_alu instid0(VALU_DEP_1) | instskip(NEXT) | instid1(VALU_DEP_1)
	v_subrev_nc_u32_e32 v24, 28, v22
	v_lshlrev_b64_e32 v[42:43], v24, v[8:9]
	v_sub_nc_u32_e32 v24, 29, v22
	s_delay_alu instid0(VALU_DEP_2)
	v_and_b32_e32 v22, 7, v42
; %bb.476:                              ;   in Loop: Header=BB239_290 Depth=1
	s_or_b32 exec_lo, exec_lo, s36
	s_delay_alu instid0(VALU_DEP_1) | instskip(NEXT) | instid1(VALU_DEP_3)
	v_dual_lshlrev_b32 v8, 8, v8 :: v_dual_lshlrev_b32 v22, 7, v22
	v_lshl_add_u32 v24, v24, 10, 0x2000
	s_delay_alu instid0(VALU_DEP_2) | instskip(NEXT) | instid1(VALU_DEP_2)
	v_and_b32_e32 v8, 0x8000, v8
	v_and_b32_e32 v24, 0xfc00, v24
	s_delay_alu instid0(VALU_DEP_1)
	v_or3_b32 v22, v8, v24, v22
.LBB239_477:                            ;   in Loop: Header=BB239_290 Depth=1
	s_or_b32 exec_lo, exec_lo, s25
.LBB239_478:                            ;   in Loop: Header=BB239_290 Depth=1
	s_delay_alu instid0(SALU_CYCLE_1)
	s_or_b32 exec_lo, exec_lo, s24
.LBB239_479:                            ;   in Loop: Header=BB239_290 Depth=1
	s_delay_alu instid0(SALU_CYCLE_1)
	s_or_b32 exec_lo, exec_lo, s23
	v_cmp_lt_u64_e64 s1, s[12:13], v[18:19]
	v_mov_b32_e32 v18, 0
	s_and_saveexec_b32 s23, s1
	s_cbranch_execz .LBB239_487
; %bb.480:                              ;   in Loop: Header=BB239_290 Depth=1
	v_lshrrev_b32_e32 v8, 24, v19
	v_bfrev_b32_e32 v18, 1
	s_mov_b32 s24, exec_lo
	s_delay_alu instid0(VALU_DEP_2)
	v_cmpx_ne_u32_e32 0x80, v8
	s_cbranch_execz .LBB239_486
; %bb.481:                              ;   in Loop: Header=BB239_290 Depth=1
	v_and_b32_e32 v24, 0x7f, v8
	v_mov_b32_e32 v18, 0x7c010000
	s_mov_b32 s25, exec_lo
	s_delay_alu instid0(VALU_DEP_2)
	v_cmpx_ne_u32_e32 0x7f, v24
	s_cbranch_execz .LBB239_485
; %bb.482:                              ;   in Loop: Header=BB239_290 Depth=1
	v_and_b32_e32 v18, 7, v8
	v_lshrrev_b32_e32 v19, 3, v24
	s_mov_b32 s36, exec_lo
	v_cmpx_gt_u32_e32 8, v24
; %bb.483:                              ;   in Loop: Header=BB239_290 Depth=1
	s_delay_alu instid0(VALU_DEP_3) | instskip(NEXT) | instid1(VALU_DEP_1)
	v_clz_i32_u32_e32 v18, v18
	v_min_u32_e32 v24, 32, v18
	s_delay_alu instid0(VALU_DEP_1) | instskip(NEXT) | instid1(VALU_DEP_1)
	v_subrev_nc_u32_e32 v18, 28, v24
	v_lshlrev_b64_e32 v[18:19], v18, v[8:9]
	s_delay_alu instid0(VALU_DEP_1)
	v_dual_sub_nc_u32 v19, 29, v24 :: v_dual_bitop2_b32 v18, 7, v18 bitop3:0x40
; %bb.484:                              ;   in Loop: Header=BB239_290 Depth=1
	s_or_b32 exec_lo, exec_lo, s36
	s_delay_alu instid0(VALU_DEP_1) | instskip(NEXT) | instid1(VALU_DEP_2)
	v_dual_lshlrev_b32 v8, 8, v8 :: v_dual_lshlrev_b32 v18, 23, v18
	v_lshl_add_u32 v19, v19, 10, 0x2000
	s_delay_alu instid0(VALU_DEP_1) | instskip(NEXT) | instid1(VALU_DEP_1)
	v_and_or_b32 v8, 0x8000, v8, v19
	v_lshl_or_b32 v18, v8, 16, v18
.LBB239_485:                            ;   in Loop: Header=BB239_290 Depth=1
	s_or_b32 exec_lo, exec_lo, s25
.LBB239_486:                            ;   in Loop: Header=BB239_290 Depth=1
	s_delay_alu instid0(SALU_CYCLE_1)
	s_or_b32 exec_lo, exec_lo, s24
.LBB239_487:                            ;   in Loop: Header=BB239_290 Depth=1
	s_delay_alu instid0(SALU_CYCLE_1) | instskip(SKIP_3) | instid1(VALU_DEP_3)
	s_or_b32 exec_lo, exec_lo, s23
	v_dual_lshrrev_b32 v8, 16, v1 :: v_dual_bitop2_b32 v1, v1, v3 bitop3:0x54
	v_dual_lshrrev_b32 v19, 16, v17 :: v_dual_bitop2_b32 v3, v17, v20 bitop3:0x54
	v_lshrrev_b32_e32 v20, 16, v18
	v_cvt_f32_f16_e32 v25, v8
	v_dual_lshrrev_b32 v17, 16, v23 :: v_dual_bitop2_b32 v8, v18, v22 bitop3:0x54
	s_delay_alu instid0(VALU_DEP_4)
	v_cvt_f32_f16_e32 v18, v3
	v_or_b32_e32 v3, v23, v21
	v_cvt_f32_f16_e32 v24, v19
	v_cvt_f32_f16_e32 v19, v1
	;; [unrolled: 1-line block ×6, first 2 shown]
	s_wait_loadcnt 0x0
	v_pk_mul_f32 v[24:25], v[16:17], v[24:25] op_sel_hi:[0,1]
	v_pk_mul_f32 v[18:19], v[16:17], v[18:19] op_sel_hi:[0,1]
	v_pk_mul_f32 v[20:21], v[16:17], v[20:21] op_sel_hi:[0,1]
	v_pk_mul_f32 v[22:23], v[16:17], v[22:23] op_sel_hi:[0,1]
	s_delay_alu instid0(VALU_DEP_4) | instskip(NEXT) | instid1(VALU_DEP_4)
	v_cvt_pk_f16_f32 v1, v24, v25
	v_cvt_pk_f16_f32 v3, v18, v19
	s_delay_alu instid0(VALU_DEP_4) | instskip(NEXT) | instid1(VALU_DEP_4)
	v_cvt_pk_f16_f32 v8, v20, v21
	v_cvt_pk_f16_f32 v18, v22, v23
	s_delay_alu instid0(VALU_DEP_4) | instskip(NEXT) | instid1(VALU_DEP_4)
	v_and_b32_e32 v17, 0xffff0000, v1
	v_dual_lshlrev_b32 v16, 16, v1 :: v_dual_lshrrev_b32 v19, 16, v3
	v_and_b32_e32 v20, 0xffff, v3
	v_and_b32_e32 v1, 0xffff0000, v8
	v_dual_lshlrev_b32 v8, 16, v8 :: v_dual_lshrrev_b32 v3, 16, v18
	v_and_b32_e32 v18, 0xffff, v18
	v_or_b32_e32 v23, v17, v19
	v_or_b32_e32 v24, v16, v20
	s_delay_alu instid0(VALU_DEP_4) | instskip(NEXT) | instid1(VALU_DEP_4)
	v_or_b32_e32 v21, v1, v3
	v_or_b32_e32 v22, v8, v18
	s_and_saveexec_b32 s23, s0
	s_cbranch_execz .LBB239_489
; %bb.488:                              ;   in Loop: Header=BB239_290 Depth=1
	v_dual_add_nc_u32 v21, 2, v2 :: v_dual_bitop2_b32 v22, 1, v2 bitop3:0x54
	v_cmp_gt_i32_e64 s1, s18, v2
	v_or_b32_e32 v23, 3, v2
	s_delay_alu instid0(VALU_DEP_2) | instskip(NEXT) | instid1(VALU_DEP_4)
	v_dual_cndmask_b32 v19, 0, v19, s1 :: v_dual_bitop2_b32 v24, 7, v2 bitop3:0x54
	v_cmp_gt_i32_e64 s1, s34, v21
	s_delay_alu instid0(VALU_DEP_1) | instskip(SKIP_1) | instid1(VALU_DEP_1)
	v_cndmask_b32_e64 v20, 0, v20, s1
	v_cmp_gt_i32_e64 s1, s18, v22
	v_cndmask_b32_e64 v17, 0, v17, s1
	v_cmp_gt_i32_e64 s1, s34, v23
	v_or_b32_e32 v21, 4, v2
	s_delay_alu instid0(VALU_DEP_2) | instskip(NEXT) | instid1(VALU_DEP_2)
	v_dual_cndmask_b32 v16, 0, v16, s1 :: v_dual_bitop2_b32 v23, 5, v2 bitop3:0x54
	v_cmp_gt_i32_e64 s1, s18, v21
	s_delay_alu instid0(VALU_DEP_1) | instskip(NEXT) | instid1(VALU_DEP_1)
	v_dual_cndmask_b32 v3, 0, v3, s1 :: v_dual_bitop2_b32 v22, 6, v2 bitop3:0x54
	v_cmp_gt_i32_e64 s1, s34, v22
	s_delay_alu instid0(VALU_DEP_1) | instskip(SKIP_1) | instid1(VALU_DEP_1)
	v_cndmask_b32_e64 v18, 0, v18, s1
	v_cmp_gt_i32_e64 s1, s18, v23
	v_dual_cndmask_b32 v1, 0, v1, s1 :: v_dual_bitop2_b32 v23, v17, v19 bitop3:0x54
	v_cmp_gt_i32_e64 s1, s34, v24
	v_or_b32_e32 v24, v16, v20
	s_delay_alu instid0(VALU_DEP_2) | instskip(NEXT) | instid1(VALU_DEP_1)
	v_dual_cndmask_b32 v8, 0, v8, s1 :: v_dual_bitop2_b32 v21, v1, v3 bitop3:0x54
	v_or_b32_e32 v22, v8, v18
.LBB239_489:                            ;   in Loop: Header=BB239_290 Depth=1
	s_or_b32 exec_lo, exec_lo, s23
	;;#ASMSTART
	v_pk_mul_f16 v1, v41, v23;

	;;#ASMEND
	;;#ASMSTART
	v_pk_mul_f16 v3, v40, v24;

	;;#ASMEND
	;; [unrolled: 4-line block ×4, first 2 shown]
	;;#ASMSTART
	v_pk_add_f16 v1, v1, v3;

	;;#ASMEND
	;;#ASMSTART
	v_pk_add_f16 v1, v1, v8;

	;;#ASMEND
	;;#ASMSTART
	v_pk_add_f16 v1, v1, v16;

	;;#ASMEND
	v_and_b32_e32 v3, 0xffff, v1
	v_lshrrev_b32_e32 v1, 16, v1
	;;#ASMSTART
	v_cvt_f32_f16 v25, v3;
	;;#ASMEND
	;;#ASMSTART
	v_cvt_f32_f16 v26, v1;
	;;#ASMEND
	s_and_saveexec_b32 s23, vcc_lo
	s_cbranch_execz .LBB239_288
; %bb.490:                              ;   in Loop: Header=BB239_290 Depth=1
	v_add_nc_u64_e32 v[14:15], v[14:15], v[10:11]
	v_dual_mov_b32 v1, 0 :: v_dual_mov_b32 v3, 0
	s_mov_b32 s24, exec_lo
	global_load_b64 v[16:17], v[14:15], off
	global_load_b32 v14, v1, s[10:11]
	s_wait_loadcnt 0x1
	v_and_b32_e32 v8, 0xff, v16
	s_wait_xcnt 0x0
	s_delay_alu instid0(VALU_DEP_1)
	v_cmpx_ne_u16_e32 0, v8
	s_cbranch_execz .LBB239_498
; %bb.491:                              ;   in Loop: Header=BB239_290 Depth=1
	v_mov_b32_e32 v3, 0x8000
	s_mov_b32 s25, exec_lo
	v_cmpx_ne_u16_e32 0x80, v8
	s_cbranch_execz .LBB239_497
; %bb.492:                              ;   in Loop: Header=BB239_290 Depth=1
	v_and_b32_e32 v15, 0x7f, v16
	v_mov_b32_e32 v3, 0x7c01
	s_mov_b32 s36, exec_lo
	s_delay_alu instid0(VALU_DEP_2)
	v_cmpx_ne_u32_e32 0x7f, v15
	s_cbranch_execz .LBB239_496
; %bb.493:                              ;   in Loop: Header=BB239_290 Depth=1
	v_dual_lshrrev_b32 v8, 3, v15 :: v_dual_bitop2_b32 v3, 7, v16 bitop3:0x40
	s_mov_b32 s37, exec_lo
	v_cmpx_gt_u32_e32 8, v15
; %bb.494:                              ;   in Loop: Header=BB239_290 Depth=1
	s_delay_alu instid0(VALU_DEP_2) | instskip(NEXT) | instid1(VALU_DEP_1)
	v_clz_i32_u32_e32 v3, v3
	v_min_u32_e32 v3, 32, v3
	s_delay_alu instid0(VALU_DEP_1) | instskip(NEXT) | instid1(VALU_DEP_1)
	v_subrev_nc_u32_e32 v8, 28, v3
	v_lshlrev_b64_e32 v[18:19], v8, v[16:17]
	s_delay_alu instid0(VALU_DEP_1)
	v_dual_sub_nc_u32 v8, 29, v3 :: v_dual_bitop2_b32 v3, 7, v18 bitop3:0x40
; %bb.495:                              ;   in Loop: Header=BB239_290 Depth=1
	s_or_b32 exec_lo, exec_lo, s37
	s_delay_alu instid0(VALU_DEP_1) | instskip(NEXT) | instid1(VALU_DEP_2)
	v_dual_lshlrev_b32 v15, 8, v16 :: v_dual_lshlrev_b32 v3, 7, v3
	v_lshl_add_u32 v8, v8, 10, 0x2000
	s_delay_alu instid0(VALU_DEP_2) | instskip(NEXT) | instid1(VALU_DEP_2)
	v_and_b32_e32 v15, 0x8000, v15
	v_and_b32_e32 v8, 0xfc00, v8
	s_delay_alu instid0(VALU_DEP_1)
	v_or3_b32 v3, v15, v8, v3
.LBB239_496:                            ;   in Loop: Header=BB239_290 Depth=1
	s_or_b32 exec_lo, exec_lo, s36
.LBB239_497:                            ;   in Loop: Header=BB239_290 Depth=1
	s_delay_alu instid0(SALU_CYCLE_1)
	s_or_b32 exec_lo, exec_lo, s25
.LBB239_498:                            ;   in Loop: Header=BB239_290 Depth=1
	s_delay_alu instid0(SALU_CYCLE_1) | instskip(SKIP_2) | instid1(VALU_DEP_1)
	s_or_b32 exec_lo, exec_lo, s24
	v_lshrrev_b16 v8, 8, v16
	s_mov_b32 s24, exec_lo
	v_cmpx_ne_u16_e32 0, v8
	s_cbranch_execz .LBB239_506
; %bb.499:                              ;   in Loop: Header=BB239_290 Depth=1
	v_bfrev_b32_e32 v1, 1
	s_mov_b32 s25, exec_lo
	v_cmpx_ne_u16_e32 0x80, v8
	s_cbranch_execz .LBB239_505
; %bb.500:                              ;   in Loop: Header=BB239_290 Depth=1
	v_and_b32_e32 v15, 0xffff, v8
	v_mov_b32_e32 v1, 0x7c010000
	s_mov_b32 s36, exec_lo
	s_delay_alu instid0(VALU_DEP_2) | instskip(NEXT) | instid1(VALU_DEP_1)
	v_and_b32_e32 v19, 0x7f, v15
	v_cmpx_ne_u32_e32 0x7f, v19
	s_cbranch_execz .LBB239_504
; %bb.501:                              ;   in Loop: Header=BB239_290 Depth=1
	v_and_b32_e32 v1, 7, v15
	v_lshrrev_b32_e32 v18, 3, v19
	s_mov_b32 s37, exec_lo
	v_cmpx_gt_u32_e32 8, v19
; %bb.502:                              ;   in Loop: Header=BB239_290 Depth=1
	s_delay_alu instid0(VALU_DEP_3) | instskip(NEXT) | instid1(VALU_DEP_1)
	v_clz_i32_u32_e32 v1, v1
	v_min_u32_e32 v1, 32, v1
	s_delay_alu instid0(VALU_DEP_1) | instskip(NEXT) | instid1(VALU_DEP_1)
	v_subrev_nc_u32_e32 v18, 28, v1
	v_lshlrev_b64_e32 v[20:21], v18, v[8:9]
	s_delay_alu instid0(VALU_DEP_1)
	v_dual_sub_nc_u32 v18, 29, v1 :: v_dual_bitop2_b32 v1, 7, v20 bitop3:0x40
; %bb.503:                              ;   in Loop: Header=BB239_290 Depth=1
	s_or_b32 exec_lo, exec_lo, s37
	s_delay_alu instid0(VALU_DEP_1) | instskip(NEXT) | instid1(VALU_DEP_2)
	v_dual_lshlrev_b32 v8, 8, v15 :: v_dual_lshlrev_b32 v1, 23, v1
	v_lshl_add_u32 v15, v18, 10, 0x2000
	s_delay_alu instid0(VALU_DEP_1) | instskip(NEXT) | instid1(VALU_DEP_1)
	v_and_or_b32 v8, 0x8000, v8, v15
	v_lshl_or_b32 v1, v8, 16, v1
.LBB239_504:                            ;   in Loop: Header=BB239_290 Depth=1
	s_or_b32 exec_lo, exec_lo, s36
.LBB239_505:                            ;   in Loop: Header=BB239_290 Depth=1
	s_delay_alu instid0(SALU_CYCLE_1)
	s_or_b32 exec_lo, exec_lo, s25
.LBB239_506:                            ;   in Loop: Header=BB239_290 Depth=1
	s_delay_alu instid0(SALU_CYCLE_1) | instskip(SKIP_3) | instid1(VALU_DEP_2)
	s_or_b32 exec_lo, exec_lo, s24
	v_dual_mov_b32 v15, 0 :: v_dual_lshrrev_b32 v8, 16, v16
	v_mov_b32_e32 v18, 0
	s_mov_b32 s24, exec_lo
	v_and_b32_e32 v19, 0xff, v8
	s_delay_alu instid0(VALU_DEP_1)
	v_cmpx_ne_u16_e32 0, v19
	s_cbranch_execz .LBB239_514
; %bb.507:                              ;   in Loop: Header=BB239_290 Depth=1
	v_mov_b32_e32 v18, 0x8000
	s_mov_b32 s25, exec_lo
	v_cmpx_ne_u16_e32 0x80, v19
	s_cbranch_execz .LBB239_513
; %bb.508:                              ;   in Loop: Header=BB239_290 Depth=1
	v_bfe_u32 v20, v16, 16, 7
	v_mov_b32_e32 v18, 0x7c01
	s_mov_b32 s36, exec_lo
	s_delay_alu instid0(VALU_DEP_2)
	v_cmpx_ne_u32_e32 0x7f, v20
	s_cbranch_execz .LBB239_512
; %bb.509:                              ;   in Loop: Header=BB239_290 Depth=1
	v_and_b32_e32 v18, 7, v8
	v_lshrrev_b32_e32 v19, 3, v20
	s_mov_b32 s37, exec_lo
	v_cmpx_gt_u32_e32 8, v20
; %bb.510:                              ;   in Loop: Header=BB239_290 Depth=1
	s_delay_alu instid0(VALU_DEP_3) | instskip(NEXT) | instid1(VALU_DEP_1)
	v_clz_i32_u32_e32 v18, v18
	v_min_u32_e32 v20, 32, v18
	s_delay_alu instid0(VALU_DEP_1) | instskip(NEXT) | instid1(VALU_DEP_1)
	v_subrev_nc_u32_e32 v18, 28, v20
	v_lshlrev_b64_e32 v[18:19], v18, v[8:9]
	s_delay_alu instid0(VALU_DEP_1)
	v_dual_sub_nc_u32 v19, 29, v20 :: v_dual_bitop2_b32 v18, 7, v18 bitop3:0x40
; %bb.511:                              ;   in Loop: Header=BB239_290 Depth=1
	s_or_b32 exec_lo, exec_lo, s37
	s_delay_alu instid0(VALU_DEP_1) | instskip(NEXT) | instid1(VALU_DEP_2)
	v_dual_lshlrev_b32 v8, 8, v8 :: v_dual_lshlrev_b32 v18, 7, v18
	v_lshl_add_u32 v19, v19, 10, 0x2000
	s_delay_alu instid0(VALU_DEP_2) | instskip(NEXT) | instid1(VALU_DEP_2)
	v_and_b32_e32 v8, 0x8000, v8
	v_and_b32_e32 v19, 0xfc00, v19
	s_delay_alu instid0(VALU_DEP_1)
	v_or3_b32 v18, v8, v19, v18
.LBB239_512:                            ;   in Loop: Header=BB239_290 Depth=1
	s_or_b32 exec_lo, exec_lo, s36
.LBB239_513:                            ;   in Loop: Header=BB239_290 Depth=1
	s_delay_alu instid0(SALU_CYCLE_1)
	s_or_b32 exec_lo, exec_lo, s25
.LBB239_514:                            ;   in Loop: Header=BB239_290 Depth=1
	s_delay_alu instid0(SALU_CYCLE_1) | instskip(NEXT) | instid1(SALU_CYCLE_1)
	s_or_b32 exec_lo, exec_lo, s24
	s_mov_b32 s24, exec_lo
	v_cmpx_lt_u32_e32 0xffffff, v16
	s_cbranch_execz .LBB239_522
; %bb.515:                              ;   in Loop: Header=BB239_290 Depth=1
	v_lshrrev_b32_e32 v8, 24, v16
	v_bfrev_b32_e32 v15, 1
	s_mov_b32 s25, exec_lo
	s_delay_alu instid0(VALU_DEP_2)
	v_cmpx_ne_u32_e32 0x80, v8
	s_cbranch_execz .LBB239_521
; %bb.516:                              ;   in Loop: Header=BB239_290 Depth=1
	v_and_b32_e32 v20, 0x7f, v8
	v_mov_b32_e32 v15, 0x7c010000
	s_mov_b32 s36, exec_lo
	s_delay_alu instid0(VALU_DEP_2)
	v_cmpx_ne_u32_e32 0x7f, v20
	s_cbranch_execz .LBB239_520
; %bb.517:                              ;   in Loop: Header=BB239_290 Depth=1
	v_and_b32_e32 v15, 7, v8
	v_lshrrev_b32_e32 v19, 3, v20
	s_mov_b32 s37, exec_lo
	v_cmpx_gt_u32_e32 8, v20
; %bb.518:                              ;   in Loop: Header=BB239_290 Depth=1
	s_delay_alu instid0(VALU_DEP_3) | instskip(NEXT) | instid1(VALU_DEP_1)
	v_clz_i32_u32_e32 v15, v15
	v_min_u32_e32 v15, 32, v15
	s_delay_alu instid0(VALU_DEP_1) | instskip(NEXT) | instid1(VALU_DEP_1)
	v_subrev_nc_u32_e32 v19, 28, v15
	v_lshlrev_b64_e32 v[20:21], v19, v[8:9]
	s_delay_alu instid0(VALU_DEP_1)
	v_dual_sub_nc_u32 v19, 29, v15 :: v_dual_bitop2_b32 v15, 7, v20 bitop3:0x40
; %bb.519:                              ;   in Loop: Header=BB239_290 Depth=1
	s_or_b32 exec_lo, exec_lo, s37
	s_delay_alu instid0(VALU_DEP_1) | instskip(NEXT) | instid1(VALU_DEP_2)
	v_dual_lshlrev_b32 v8, 8, v8 :: v_dual_lshlrev_b32 v15, 23, v15
	v_lshl_add_u32 v19, v19, 10, 0x2000
	s_delay_alu instid0(VALU_DEP_1) | instskip(NEXT) | instid1(VALU_DEP_1)
	v_and_or_b32 v8, 0x8000, v8, v19
	v_lshl_or_b32 v15, v8, 16, v15
.LBB239_520:                            ;   in Loop: Header=BB239_290 Depth=1
	s_or_b32 exec_lo, exec_lo, s36
.LBB239_521:                            ;   in Loop: Header=BB239_290 Depth=1
	s_delay_alu instid0(SALU_CYCLE_1)
	s_or_b32 exec_lo, exec_lo, s25
.LBB239_522:                            ;   in Loop: Header=BB239_290 Depth=1
	s_delay_alu instid0(SALU_CYCLE_1) | instskip(SKIP_4) | instid1(VALU_DEP_3)
	s_or_b32 exec_lo, exec_lo, s24
	v_and_b32_e32 v21, 0xff, v17
	v_dual_mov_b32 v8, v17 :: v_dual_mov_b32 v20, 0
	v_mov_b32_e32 v19, 0
	s_mov_b32 s24, exec_lo
	v_cmpx_ne_u16_e32 0, v21
	s_cbranch_execz .LBB239_530
; %bb.523:                              ;   in Loop: Header=BB239_290 Depth=1
	v_mov_b32_e32 v19, 0x8000
	s_mov_b32 s25, exec_lo
	v_cmpx_ne_u16_e32 0x80, v21
	s_cbranch_execz .LBB239_529
; %bb.524:                              ;   in Loop: Header=BB239_290 Depth=1
	v_and_b32_e32 v22, 0x7f, v17
	v_mov_b32_e32 v19, 0x7c01
	s_mov_b32 s36, exec_lo
	s_delay_alu instid0(VALU_DEP_2)
	v_cmpx_ne_u32_e32 0x7f, v22
	s_cbranch_execz .LBB239_528
; %bb.525:                              ;   in Loop: Header=BB239_290 Depth=1
	v_dual_lshrrev_b32 v21, 3, v22 :: v_dual_bitop2_b32 v19, 7, v17 bitop3:0x40
	s_mov_b32 s37, exec_lo
	v_cmpx_gt_u32_e32 8, v22
; %bb.526:                              ;   in Loop: Header=BB239_290 Depth=1
	s_delay_alu instid0(VALU_DEP_2) | instskip(NEXT) | instid1(VALU_DEP_1)
	v_clz_i32_u32_e32 v19, v19
	v_min_u32_e32 v19, 32, v19
	s_delay_alu instid0(VALU_DEP_1) | instskip(NEXT) | instid1(VALU_DEP_1)
	v_subrev_nc_u32_e32 v21, 28, v19
	v_lshlrev_b64_e32 v[22:23], v21, v[8:9]
	s_delay_alu instid0(VALU_DEP_1)
	v_dual_sub_nc_u32 v21, 29, v19 :: v_dual_bitop2_b32 v19, 7, v22 bitop3:0x40
; %bb.527:                              ;   in Loop: Header=BB239_290 Depth=1
	s_or_b32 exec_lo, exec_lo, s37
	s_delay_alu instid0(VALU_DEP_1) | instskip(NEXT) | instid1(VALU_DEP_2)
	v_dual_lshlrev_b32 v22, 8, v17 :: v_dual_lshlrev_b32 v19, 7, v19
	v_lshl_add_u32 v21, v21, 10, 0x2000
	s_delay_alu instid0(VALU_DEP_2) | instskip(NEXT) | instid1(VALU_DEP_2)
	v_and_b32_e32 v22, 0x8000, v22
	v_and_b32_e32 v21, 0xfc00, v21
	s_delay_alu instid0(VALU_DEP_1)
	v_or3_b32 v19, v22, v21, v19
.LBB239_528:                            ;   in Loop: Header=BB239_290 Depth=1
	s_or_b32 exec_lo, exec_lo, s36
.LBB239_529:                            ;   in Loop: Header=BB239_290 Depth=1
	s_delay_alu instid0(SALU_CYCLE_1)
	s_or_b32 exec_lo, exec_lo, s25
.LBB239_530:                            ;   in Loop: Header=BB239_290 Depth=1
	s_delay_alu instid0(SALU_CYCLE_1) | instskip(SKIP_3) | instid1(VALU_DEP_2)
	s_or_b32 exec_lo, exec_lo, s24
	v_lshrrev_b16 v8, 8, v8
	v_mov_b32_e32 v21, 0
	s_mov_b32 s24, exec_lo
	v_cmpx_ne_u16_e32 0, v8
	s_cbranch_execz .LBB239_538
; %bb.531:                              ;   in Loop: Header=BB239_290 Depth=1
	v_bfrev_b32_e32 v21, 1
	s_mov_b32 s25, exec_lo
	v_cmpx_ne_u16_e32 0x80, v8
	s_cbranch_execz .LBB239_537
; %bb.532:                              ;   in Loop: Header=BB239_290 Depth=1
	v_and_b32_e32 v22, 0xffff, v8
	v_mov_b32_e32 v21, 0x7c010000
	s_mov_b32 s36, exec_lo
	s_delay_alu instid0(VALU_DEP_2) | instskip(NEXT) | instid1(VALU_DEP_1)
	v_and_b32_e32 v24, 0x7f, v22
	v_cmpx_ne_u32_e32 0x7f, v24
	s_cbranch_execz .LBB239_536
; %bb.533:                              ;   in Loop: Header=BB239_290 Depth=1
	v_dual_lshrrev_b32 v23, 3, v24 :: v_dual_bitop2_b32 v21, 7, v22 bitop3:0x40
	s_mov_b32 s37, exec_lo
	v_cmpx_gt_u32_e32 8, v24
; %bb.534:                              ;   in Loop: Header=BB239_290 Depth=1
	s_delay_alu instid0(VALU_DEP_2) | instskip(NEXT) | instid1(VALU_DEP_1)
	v_clz_i32_u32_e32 v21, v21
	v_min_u32_e32 v21, 32, v21
	s_delay_alu instid0(VALU_DEP_1) | instskip(NEXT) | instid1(VALU_DEP_1)
	v_subrev_nc_u32_e32 v23, 28, v21
	v_lshlrev_b64_e32 v[42:43], v23, v[8:9]
	s_delay_alu instid0(VALU_DEP_1)
	v_dual_sub_nc_u32 v23, 29, v21 :: v_dual_bitop2_b32 v21, 7, v42 bitop3:0x40
; %bb.535:                              ;   in Loop: Header=BB239_290 Depth=1
	s_or_b32 exec_lo, exec_lo, s37
	s_delay_alu instid0(VALU_DEP_1) | instskip(NEXT) | instid1(VALU_DEP_2)
	v_dual_lshlrev_b32 v8, 8, v22 :: v_dual_lshlrev_b32 v21, 23, v21
	v_lshl_add_u32 v22, v23, 10, 0x2000
	s_delay_alu instid0(VALU_DEP_1) | instskip(NEXT) | instid1(VALU_DEP_1)
	v_and_or_b32 v8, 0x8000, v8, v22
	v_lshl_or_b32 v21, v8, 16, v21
.LBB239_536:                            ;   in Loop: Header=BB239_290 Depth=1
	s_or_b32 exec_lo, exec_lo, s36
.LBB239_537:                            ;   in Loop: Header=BB239_290 Depth=1
	s_delay_alu instid0(SALU_CYCLE_1)
	s_or_b32 exec_lo, exec_lo, s25
.LBB239_538:                            ;   in Loop: Header=BB239_290 Depth=1
	s_delay_alu instid0(SALU_CYCLE_1) | instskip(SKIP_2) | instid1(VALU_DEP_1)
	s_or_b32 exec_lo, exec_lo, s24
	v_lshrrev_b32_e32 v8, 16, v17
	s_mov_b32 s24, exec_lo
	v_and_b32_e32 v22, 0xff, v8
	s_delay_alu instid0(VALU_DEP_1)
	v_cmpx_ne_u16_e32 0, v22
	s_cbranch_execz .LBB239_546
; %bb.539:                              ;   in Loop: Header=BB239_290 Depth=1
	v_mov_b32_e32 v20, 0x8000
	s_mov_b32 s25, exec_lo
	v_cmpx_ne_u16_e32 0x80, v22
	s_cbranch_execz .LBB239_545
; %bb.540:                              ;   in Loop: Header=BB239_290 Depth=1
	v_bfe_u32 v23, v17, 16, 7
	v_mov_b32_e32 v20, 0x7c01
	s_mov_b32 s36, exec_lo
	s_delay_alu instid0(VALU_DEP_2)
	v_cmpx_ne_u32_e32 0x7f, v23
	s_cbranch_execz .LBB239_544
; %bb.541:                              ;   in Loop: Header=BB239_290 Depth=1
	v_dual_lshrrev_b32 v22, 3, v23 :: v_dual_bitop2_b32 v20, 7, v8 bitop3:0x40
	s_mov_b32 s37, exec_lo
	v_cmpx_gt_u32_e32 8, v23
; %bb.542:                              ;   in Loop: Header=BB239_290 Depth=1
	s_delay_alu instid0(VALU_DEP_2) | instskip(NEXT) | instid1(VALU_DEP_1)
	v_clz_i32_u32_e32 v20, v20
	v_min_u32_e32 v20, 32, v20
	s_delay_alu instid0(VALU_DEP_1) | instskip(NEXT) | instid1(VALU_DEP_1)
	v_subrev_nc_u32_e32 v22, 28, v20
	v_lshlrev_b64_e32 v[42:43], v22, v[8:9]
	s_delay_alu instid0(VALU_DEP_1)
	v_dual_sub_nc_u32 v22, 29, v20 :: v_dual_bitop2_b32 v20, 7, v42 bitop3:0x40
; %bb.543:                              ;   in Loop: Header=BB239_290 Depth=1
	s_or_b32 exec_lo, exec_lo, s37
	v_lshlrev_b32_e32 v8, 8, v8
	s_delay_alu instid0(VALU_DEP_2) | instskip(NEXT) | instid1(VALU_DEP_3)
	v_lshl_add_u32 v22, v22, 10, 0x2000
	v_lshlrev_b32_e32 v20, 7, v20
	s_delay_alu instid0(VALU_DEP_3) | instskip(NEXT) | instid1(VALU_DEP_3)
	v_and_b32_e32 v8, 0x8000, v8
	v_and_b32_e32 v22, 0xfc00, v22
	s_delay_alu instid0(VALU_DEP_1)
	v_or3_b32 v20, v8, v22, v20
.LBB239_544:                            ;   in Loop: Header=BB239_290 Depth=1
	s_or_b32 exec_lo, exec_lo, s36
.LBB239_545:                            ;   in Loop: Header=BB239_290 Depth=1
	s_delay_alu instid0(SALU_CYCLE_1)
	s_or_b32 exec_lo, exec_lo, s25
.LBB239_546:                            ;   in Loop: Header=BB239_290 Depth=1
	s_delay_alu instid0(SALU_CYCLE_1)
	s_or_b32 exec_lo, exec_lo, s24
	v_cmp_lt_u64_e64 s1, s[12:13], v[16:17]
	v_mov_b32_e32 v16, 0
	s_and_saveexec_b32 s24, s1
	s_cbranch_execz .LBB239_554
; %bb.547:                              ;   in Loop: Header=BB239_290 Depth=1
	v_lshrrev_b32_e32 v8, 24, v17
	v_bfrev_b32_e32 v16, 1
	s_mov_b32 s25, exec_lo
	s_delay_alu instid0(VALU_DEP_2)
	v_cmpx_ne_u32_e32 0x80, v8
	s_cbranch_execz .LBB239_553
; %bb.548:                              ;   in Loop: Header=BB239_290 Depth=1
	v_and_b32_e32 v22, 0x7f, v8
	v_mov_b32_e32 v16, 0x7c010000
	s_mov_b32 s36, exec_lo
	s_delay_alu instid0(VALU_DEP_2)
	v_cmpx_ne_u32_e32 0x7f, v22
	s_cbranch_execz .LBB239_552
; %bb.549:                              ;   in Loop: Header=BB239_290 Depth=1
	v_dual_lshrrev_b32 v17, 3, v22 :: v_dual_bitop2_b32 v16, 7, v8 bitop3:0x40
	s_mov_b32 s37, exec_lo
	v_cmpx_gt_u32_e32 8, v22
; %bb.550:                              ;   in Loop: Header=BB239_290 Depth=1
	s_delay_alu instid0(VALU_DEP_2) | instskip(NEXT) | instid1(VALU_DEP_1)
	v_clz_i32_u32_e32 v16, v16
	v_min_u32_e32 v22, 32, v16
	s_delay_alu instid0(VALU_DEP_1) | instskip(NEXT) | instid1(VALU_DEP_1)
	v_subrev_nc_u32_e32 v16, 28, v22
	v_lshlrev_b64_e32 v[16:17], v16, v[8:9]
	s_delay_alu instid0(VALU_DEP_1)
	v_dual_sub_nc_u32 v17, 29, v22 :: v_dual_bitop2_b32 v16, 7, v16 bitop3:0x40
; %bb.551:                              ;   in Loop: Header=BB239_290 Depth=1
	s_or_b32 exec_lo, exec_lo, s37
	v_lshlrev_b32_e32 v8, 8, v8
	s_delay_alu instid0(VALU_DEP_2) | instskip(NEXT) | instid1(VALU_DEP_3)
	v_lshl_add_u32 v17, v17, 10, 0x2000
	v_lshlrev_b32_e32 v16, 23, v16
	s_delay_alu instid0(VALU_DEP_2) | instskip(NEXT) | instid1(VALU_DEP_1)
	v_and_or_b32 v8, 0x8000, v8, v17
	v_lshl_or_b32 v16, v8, 16, v16
.LBB239_552:                            ;   in Loop: Header=BB239_290 Depth=1
	s_or_b32 exec_lo, exec_lo, s36
.LBB239_553:                            ;   in Loop: Header=BB239_290 Depth=1
	s_delay_alu instid0(SALU_CYCLE_1)
	s_or_b32 exec_lo, exec_lo, s25
.LBB239_554:                            ;   in Loop: Header=BB239_290 Depth=1
	s_delay_alu instid0(SALU_CYCLE_1) | instskip(SKIP_3) | instid1(VALU_DEP_3)
	s_or_b32 exec_lo, exec_lo, s24
	v_dual_lshrrev_b32 v8, 16, v1 :: v_dual_lshrrev_b32 v17, 16, v15
	v_or_b32_e32 v1, v1, v3
	v_dual_lshrrev_b32 v18, 16, v16 :: v_dual_bitop2_b32 v3, v15, v18 bitop3:0x54
	v_cvt_f32_f16_e32 v23, v8
	s_delay_alu instid0(VALU_DEP_4) | instskip(SKIP_4) | instid1(VALU_DEP_3)
	v_cvt_f32_f16_e32 v22, v17
	v_lshrrev_b32_e32 v15, 16, v21
	v_cvt_f32_f16_e32 v17, v1
	v_cvt_f32_f16_e32 v18, v18
	s_wait_loadcnt 0x0
	v_pk_mul_f32 v[22:23], v[14:15], v[22:23] op_sel_hi:[0,1]
	s_delay_alu instid0(VALU_DEP_1) | instskip(SKIP_4) | instid1(VALU_DEP_4)
	v_cvt_pk_f16_f32 v1, v22, v23
	v_or_b32_e32 v8, v16, v20
	v_cvt_f32_f16_e32 v16, v3
	v_or_b32_e32 v3, v21, v19
	v_cvt_f32_f16_e32 v19, v15
	v_cvt_f32_f16_e32 v20, v8
	s_delay_alu instid0(VALU_DEP_4) | instskip(NEXT) | instid1(VALU_DEP_4)
	v_pk_mul_f32 v[16:17], v[14:15], v[16:17] op_sel_hi:[0,1]
	v_cvt_f32_f16_e32 v21, v3
	s_delay_alu instid0(VALU_DEP_4) | instskip(NEXT) | instid1(VALU_DEP_3)
	v_pk_mul_f32 v[18:19], v[14:15], v[18:19] op_sel_hi:[0,1]
	v_cvt_pk_f16_f32 v3, v16, v17
	s_delay_alu instid0(VALU_DEP_3) | instskip(NEXT) | instid1(VALU_DEP_3)
	v_pk_mul_f32 v[20:21], v[14:15], v[20:21] op_sel_hi:[0,1]
	v_cvt_pk_f16_f32 v8, v18, v19
	v_and_b32_e32 v15, 0xffff0000, v1
	v_lshlrev_b32_e32 v14, 16, v1
	v_and_b32_e32 v18, 0xffff, v3
	v_cvt_pk_f16_f32 v16, v20, v21
	v_lshrrev_b32_e32 v17, 16, v3
	v_and_b32_e32 v1, 0xffff0000, v8
	s_delay_alu instid0(VALU_DEP_4) | instskip(NEXT) | instid1(VALU_DEP_4)
	v_dual_lshlrev_b32 v8, 16, v8 :: v_dual_bitop2_b32 v22, v14, v18 bitop3:0x54
	v_lshrrev_b32_e32 v3, 16, v16
	v_and_b32_e32 v16, 0xffff, v16
	v_or_b32_e32 v21, v15, v17
	s_delay_alu instid0(VALU_DEP_3) | instskip(NEXT) | instid1(VALU_DEP_3)
	v_or_b32_e32 v19, v1, v3
	v_or_b32_e32 v20, v8, v16
	s_and_saveexec_b32 s1, s0
	s_cbranch_execz .LBB239_287
; %bb.555:                              ;   in Loop: Header=BB239_290 Depth=1
	v_dual_add_nc_u32 v19, 2, v2 :: v_dual_bitop2_b32 v20, 1, v2 bitop3:0x54
	v_cmp_gt_i32_e64 s0, s18, v2
	v_or_b32_e32 v21, 3, v2
	s_delay_alu instid0(VALU_DEP_2) | instskip(NEXT) | instid1(VALU_DEP_4)
	v_dual_cndmask_b32 v17, 0, v17, s0 :: v_dual_bitop2_b32 v22, 7, v2 bitop3:0x54
	v_cmp_gt_i32_e64 s0, s34, v19
	v_or_b32_e32 v19, 4, v2
	s_delay_alu instid0(VALU_DEP_2) | instskip(SKIP_1) | instid1(VALU_DEP_1)
	v_cndmask_b32_e64 v18, 0, v18, s0
	v_cmp_gt_i32_e64 s0, s18, v20
	v_dual_cndmask_b32 v15, 0, v15, s0 :: v_dual_bitop2_b32 v20, 6, v2 bitop3:0x54
	v_cmp_gt_i32_e64 s0, s34, v21
	v_or_b32_e32 v21, 5, v2
	s_delay_alu instid0(VALU_DEP_2) | instskip(SKIP_1) | instid1(VALU_DEP_1)
	v_cndmask_b32_e64 v14, 0, v14, s0
	v_cmp_gt_i32_e64 s0, s18, v19
	v_cndmask_b32_e64 v3, 0, v3, s0
	v_cmp_gt_i32_e64 s0, s34, v20
	s_delay_alu instid0(VALU_DEP_1) | instskip(SKIP_2) | instid1(VALU_DEP_2)
	v_cndmask_b32_e64 v16, 0, v16, s0
	v_cmp_gt_i32_e64 s0, s18, v21
	v_or_b32_e32 v21, v15, v17
	v_cndmask_b32_e64 v1, 0, v1, s0
	v_cmp_gt_i32_e64 s0, s34, v22
	v_or_b32_e32 v22, v14, v18
	s_delay_alu instid0(VALU_DEP_2) | instskip(NEXT) | instid1(VALU_DEP_1)
	v_dual_cndmask_b32 v8, 0, v8, s0 :: v_dual_bitop2_b32 v19, v1, v3 bitop3:0x54
	v_or_b32_e32 v20, v8, v16
	s_branch .LBB239_287
.LBB239_556:
	s_or_b32 exec_lo, exec_lo, s19
.LBB239_557:
	s_delay_alu instid0(SALU_CYCLE_1) | instskip(SKIP_2) | instid1(SALU_CYCLE_1)
	s_or_b32 exec_lo, exec_lo, s27
	v_and_b32_e32 v1, 0x3c0, v0
	s_movk_i32 s0, 0x1e0
	v_mad_u32_u24 v8, v27, s0, 0x110
	s_barrier_signal -1
	s_delay_alu instid0(VALU_DEP_2)
	v_cmp_eq_u32_e32 vcc_lo, 64, v1
	v_or_b32_e32 v1, 0x60, v0
	s_barrier_wait -1
	s_and_saveexec_b32 s0, vcc_lo
	s_cbranch_execz .LBB239_560
; %bb.558:
	v_add_nc_u32_e32 v2, 0xfffffc40, v8
	v_cmp_gt_u32_e32 vcc_lo, 0x78, v1
	s_delay_alu instid0(VALU_DEP_2)
	v_lshl_add_u32 v3, v28, 2, v2
	ds_store_2addr_b32 v3, v4, v5 offset1:32
	ds_store_b32 v3, v34 offset:256
	s_and_b32 exec_lo, exec_lo, vcc_lo
; %bb.559:
	v_lshl_add_u32 v2, v1, 2, v2
	ds_store_b32 v2, v35
.LBB239_560:
	s_or_b32 exec_lo, exec_lo, s0
	v_lshl_add_u32 v9, v28, 2, v8
	s_mov_b32 s0, exec_lo
	s_wait_dscnt 0x0
	s_barrier_signal -1
	s_barrier_wait -1
	v_cmpx_gt_u32_e32 64, v0
	s_cbranch_execz .LBB239_564
; %bb.561:
	v_lshl_or_b32 v6, v0, 2, 0x80
	ds_load_2addr_stride64_b32 v[2:3], v9 offset1:1
	s_mov_b32 s1, exec_lo
	v_add_nc_u32_e32 v6, v8, v6
	ds_load_b32 v7, v6
	s_wait_dscnt 0x1
	v_mov_b32_e32 v6, v2
	v_cmpx_gt_u32_e32 0x78, v1
	s_cbranch_execz .LBB239_563
; %bb.562:
	v_lshl_add_u32 v2, v1, 2, v8
	ds_load_b32 v2, v2
	s_wait_dscnt 0x0
	v_add_f32_e32 v35, v35, v2
.LBB239_563:
	s_or_b32 exec_lo, exec_lo, s1
	s_wait_dscnt 0x0
	v_pk_add_f32 v[4:5], v[4:5], v[6:7]
	v_add_f32_e32 v34, v34, v3
.LBB239_564:
	s_or_b32 exec_lo, exec_lo, s0
	v_and_b32_e32 v2, 0x3e0, v0
	s_mov_b32 s0, exec_lo
	s_barrier_signal -1
	s_barrier_wait -1
	s_delay_alu instid0(VALU_DEP_1)
	v_cmpx_eq_u32_e32 32, v2
	s_cbranch_execz .LBB239_567
; %bb.565:
	v_lshl_add_u32 v2, v28, 2, 0x110
	v_cmp_gt_u32_e32 vcc_lo, 0x78, v1
	ds_store_b32 v2, v4
	ds_store_b32 v29, v5
	ds_store_b32 v2, v34 offset:256
	s_and_b32 exec_lo, exec_lo, vcc_lo
; %bb.566:
	v_lshl_add_u32 v2, v1, 2, 0x110
	ds_store_b32 v2, v35
.LBB239_567:
	s_or_b32 exec_lo, exec_lo, s0
	v_cmp_gt_u32_e32 vcc_lo, 32, v0
	s_wait_dscnt 0x0
	s_barrier_signal -1
	s_barrier_wait -1
	s_and_saveexec_b32 s1, vcc_lo
	s_cbranch_execz .LBB239_571
; %bb.568:
	v_lshl_add_u32 v8, v0, 2, v8
	s_mov_b32 s2, exec_lo
	ds_load_2addr_b32 v[2:3], v8 offset0:32 offset1:64
	ds_load_b32 v6, v9
	s_wait_dscnt 0x1
	v_mov_b32_e32 v7, v2
	v_cmpx_gt_u32_e32 0x78, v1
	s_cbranch_execz .LBB239_570
; %bb.569:
	ds_load_b32 v2, v8 offset:384
	s_wait_dscnt 0x0
	v_add_f32_e32 v35, v35, v2
.LBB239_570:
	s_or_b32 exec_lo, exec_lo, s2
	s_wait_dscnt 0x0
	v_pk_add_f32 v[4:5], v[4:5], v[6:7]
	v_add_f32_e32 v34, v34, v3
.LBB239_571:
	s_or_b32 exec_lo, exec_lo, s1
	s_barrier_signal -1
	s_barrier_wait -1
	s_and_saveexec_b32 s0, vcc_lo
	s_cbranch_execz .LBB239_574
; %bb.572:
	s_mul_i32 s1, s33, s7
	s_mul_i32 s0, s7, s6
	;; [unrolled: 1-line block ×3, first 2 shown]
	s_bfe_u32 s7, ttmp6, 0x40014
	s_mul_i32 s2, s1, 0x78
	s_lshr_b32 s6, ttmp7, 16
	s_ashr_i32 s3, s2, 31
	s_add_co_i32 s7, s7, 1
	s_lshl_b64 s[2:3], s[2:3], 1
	s_ashr_i32 s1, s0, 31
	s_wait_kmcnt 0x0
	s_add_nc_u64 s[2:3], s[4:5], s[2:3]
	s_mul_i32 s4, s6, s7
	s_bfe_u32 s5, ttmp6, 0x40008
	s_lshl_b64 s[0:1], s[0:1], 1
	s_add_co_i32 s5, s5, s4
	s_cmp_eq_u32 s30, 0
	s_add_nc_u64 s[0:1], s[2:3], s[0:1]
	s_cselect_b32 s2, s6, s5
	s_mov_b32 s3, 0
	s_mulk_i32 s2, 0xf0
	v_cmp_gt_u32_e32 vcc_lo, 0x78, v1
	s_add_nc_u64 s[0:1], s[0:1], s[2:3]
	;;#ASMSTART
	v_cvt_f16_f32 v2, v4;

	;;#ASMEND
	global_store_b16 v0, v2, s[0:1] scale_offset
	;;#ASMSTART
	v_cvt_f16_f32 v1, v5;

	;;#ASMEND
	global_store_b16 v0, v1, s[0:1] offset:64 scale_offset
	s_wait_xcnt 0x0
	;;#ASMSTART
	v_cvt_f16_f32 v1, v34;

	;;#ASMEND
	global_store_b16 v0, v1, s[0:1] offset:128 scale_offset
	s_wait_xcnt 0x0
	s_and_b32 exec_lo, exec_lo, vcc_lo
	s_cbranch_execz .LBB239_574
; %bb.573:
	v_dual_mov_b32 v1, 0 :: v_dual_lshlrev_b32 v0, 1, v0
	;;#ASMSTART
	v_cvt_f16_f32 v2, v35;

	;;#ASMEND
	s_delay_alu instid0(VALU_DEP_1)
	v_add_nc_u64_e32 v[0:1], s[0:1], v[0:1]
	global_store_b16 v[0:1], v2, off offset:192
.LBB239_574:
	s_sendmsg sendmsg(MSG_DEALLOC_VGPRS)
	s_endpgm
	.section	.rodata,"a",@progbits
	.p2align	6, 0x0
	.amdhsa_kernel _ZN4vllm25paged_attention_v1_kernelIthLi120ELi8ELi128ELNS_18Fp8KVCacheDataTypeE1ELb1EEEvPT_PKS2_PKT0_S8_ifPKiSA_iPKfiiiSC_SC_iiiii
		.amdhsa_group_segment_fixed_size 272
		.amdhsa_private_segment_fixed_size 0
		.amdhsa_kernarg_size 384
		.amdhsa_user_sgpr_count 2
		.amdhsa_user_sgpr_dispatch_ptr 0
		.amdhsa_user_sgpr_queue_ptr 0
		.amdhsa_user_sgpr_kernarg_segment_ptr 1
		.amdhsa_user_sgpr_dispatch_id 0
		.amdhsa_user_sgpr_kernarg_preload_length 0
		.amdhsa_user_sgpr_kernarg_preload_offset 0
		.amdhsa_user_sgpr_private_segment_size 0
		.amdhsa_wavefront_size32 1
		.amdhsa_uses_dynamic_stack 0
		.amdhsa_enable_private_segment 0
		.amdhsa_system_sgpr_workgroup_id_x 1
		.amdhsa_system_sgpr_workgroup_id_y 1
		.amdhsa_system_sgpr_workgroup_id_z 1
		.amdhsa_system_sgpr_workgroup_info 0
		.amdhsa_system_vgpr_workitem_id 0
		.amdhsa_next_free_vgpr 78
		.amdhsa_next_free_sgpr 45
		.amdhsa_named_barrier_count 0
		.amdhsa_reserve_vcc 1
		.amdhsa_float_round_mode_32 0
		.amdhsa_float_round_mode_16_64 0
		.amdhsa_float_denorm_mode_32 3
		.amdhsa_float_denorm_mode_16_64 3
		.amdhsa_fp16_overflow 0
		.amdhsa_memory_ordered 1
		.amdhsa_forward_progress 1
		.amdhsa_inst_pref_size 175
		.amdhsa_round_robin_scheduling 0
		.amdhsa_exception_fp_ieee_invalid_op 0
		.amdhsa_exception_fp_denorm_src 0
		.amdhsa_exception_fp_ieee_div_zero 0
		.amdhsa_exception_fp_ieee_overflow 0
		.amdhsa_exception_fp_ieee_underflow 0
		.amdhsa_exception_fp_ieee_inexact 0
		.amdhsa_exception_int_div_zero 0
	.end_amdhsa_kernel
	.section	.text._ZN4vllm25paged_attention_v1_kernelIthLi120ELi8ELi128ELNS_18Fp8KVCacheDataTypeE1ELb1EEEvPT_PKS2_PKT0_S8_ifPKiSA_iPKfiiiSC_SC_iiiii,"axG",@progbits,_ZN4vllm25paged_attention_v1_kernelIthLi120ELi8ELi128ELNS_18Fp8KVCacheDataTypeE1ELb1EEEvPT_PKS2_PKT0_S8_ifPKiSA_iPKfiiiSC_SC_iiiii,comdat
.Lfunc_end239:
	.size	_ZN4vllm25paged_attention_v1_kernelIthLi120ELi8ELi128ELNS_18Fp8KVCacheDataTypeE1ELb1EEEvPT_PKS2_PKT0_S8_ifPKiSA_iPKfiiiSC_SC_iiiii, .Lfunc_end239-_ZN4vllm25paged_attention_v1_kernelIthLi120ELi8ELi128ELNS_18Fp8KVCacheDataTypeE1ELb1EEEvPT_PKS2_PKT0_S8_ifPKiSA_iPKfiiiSC_SC_iiiii
                                        ; -- End function
	.set _ZN4vllm25paged_attention_v1_kernelIthLi120ELi8ELi128ELNS_18Fp8KVCacheDataTypeE1ELb1EEEvPT_PKS2_PKT0_S8_ifPKiSA_iPKfiiiSC_SC_iiiii.num_vgpr, 78
	.set _ZN4vllm25paged_attention_v1_kernelIthLi120ELi8ELi128ELNS_18Fp8KVCacheDataTypeE1ELb1EEEvPT_PKS2_PKT0_S8_ifPKiSA_iPKfiiiSC_SC_iiiii.num_agpr, 0
	.set _ZN4vllm25paged_attention_v1_kernelIthLi120ELi8ELi128ELNS_18Fp8KVCacheDataTypeE1ELb1EEEvPT_PKS2_PKT0_S8_ifPKiSA_iPKfiiiSC_SC_iiiii.numbered_sgpr, 45
	.set _ZN4vllm25paged_attention_v1_kernelIthLi120ELi8ELi128ELNS_18Fp8KVCacheDataTypeE1ELb1EEEvPT_PKS2_PKT0_S8_ifPKiSA_iPKfiiiSC_SC_iiiii.num_named_barrier, 0
	.set _ZN4vllm25paged_attention_v1_kernelIthLi120ELi8ELi128ELNS_18Fp8KVCacheDataTypeE1ELb1EEEvPT_PKS2_PKT0_S8_ifPKiSA_iPKfiiiSC_SC_iiiii.private_seg_size, 0
	.set _ZN4vllm25paged_attention_v1_kernelIthLi120ELi8ELi128ELNS_18Fp8KVCacheDataTypeE1ELb1EEEvPT_PKS2_PKT0_S8_ifPKiSA_iPKfiiiSC_SC_iiiii.uses_vcc, 1
	.set _ZN4vllm25paged_attention_v1_kernelIthLi120ELi8ELi128ELNS_18Fp8KVCacheDataTypeE1ELb1EEEvPT_PKS2_PKT0_S8_ifPKiSA_iPKfiiiSC_SC_iiiii.uses_flat_scratch, 0
	.set _ZN4vllm25paged_attention_v1_kernelIthLi120ELi8ELi128ELNS_18Fp8KVCacheDataTypeE1ELb1EEEvPT_PKS2_PKT0_S8_ifPKiSA_iPKfiiiSC_SC_iiiii.has_dyn_sized_stack, 0
	.set _ZN4vllm25paged_attention_v1_kernelIthLi120ELi8ELi128ELNS_18Fp8KVCacheDataTypeE1ELb1EEEvPT_PKS2_PKT0_S8_ifPKiSA_iPKfiiiSC_SC_iiiii.has_recursion, 0
	.set _ZN4vllm25paged_attention_v1_kernelIthLi120ELi8ELi128ELNS_18Fp8KVCacheDataTypeE1ELb1EEEvPT_PKS2_PKT0_S8_ifPKiSA_iPKfiiiSC_SC_iiiii.has_indirect_call, 0
	.section	.AMDGPU.csdata,"",@progbits
; Kernel info:
; codeLenInByte = 22380
; TotalNumSgprs: 47
; NumVgprs: 78
; ScratchSize: 0
; MemoryBound: 0
; FloatMode: 240
; IeeeMode: 1
; LDSByteSize: 272 bytes/workgroup (compile time only)
; SGPRBlocks: 0
; VGPRBlocks: 4
; NumSGPRsForWavesPerEU: 47
; NumVGPRsForWavesPerEU: 78
; NamedBarCnt: 0
; Occupancy: 12
; WaveLimiterHint : 1
; COMPUTE_PGM_RSRC2:SCRATCH_EN: 0
; COMPUTE_PGM_RSRC2:USER_SGPR: 2
; COMPUTE_PGM_RSRC2:TRAP_HANDLER: 0
; COMPUTE_PGM_RSRC2:TGID_X_EN: 1
; COMPUTE_PGM_RSRC2:TGID_Y_EN: 1
; COMPUTE_PGM_RSRC2:TGID_Z_EN: 1
; COMPUTE_PGM_RSRC2:TIDIG_COMP_CNT: 0
	.section	.text._ZN4vllm25paged_attention_v1_kernelIthLi128ELi8ELi128ELNS_18Fp8KVCacheDataTypeE1ELb1EEEvPT_PKS2_PKT0_S8_ifPKiSA_iPKfiiiSC_SC_iiiii,"axG",@progbits,_ZN4vllm25paged_attention_v1_kernelIthLi128ELi8ELi128ELNS_18Fp8KVCacheDataTypeE1ELb1EEEvPT_PKS2_PKT0_S8_ifPKiSA_iPKfiiiSC_SC_iiiii,comdat
	.protected	_ZN4vllm25paged_attention_v1_kernelIthLi128ELi8ELi128ELNS_18Fp8KVCacheDataTypeE1ELb1EEEvPT_PKS2_PKT0_S8_ifPKiSA_iPKfiiiSC_SC_iiiii ; -- Begin function _ZN4vllm25paged_attention_v1_kernelIthLi128ELi8ELi128ELNS_18Fp8KVCacheDataTypeE1ELb1EEEvPT_PKS2_PKT0_S8_ifPKiSA_iPKfiiiSC_SC_iiiii
	.globl	_ZN4vllm25paged_attention_v1_kernelIthLi128ELi8ELi128ELNS_18Fp8KVCacheDataTypeE1ELb1EEEvPT_PKS2_PKT0_S8_ifPKiSA_iPKfiiiSC_SC_iiiii
	.p2align	8
	.type	_ZN4vllm25paged_attention_v1_kernelIthLi128ELi8ELi128ELNS_18Fp8KVCacheDataTypeE1ELb1EEEvPT_PKS2_PKT0_S8_ifPKiSA_iPKfiiiSC_SC_iiiii,@function
_ZN4vllm25paged_attention_v1_kernelIthLi128ELi8ELi128ELNS_18Fp8KVCacheDataTypeE1ELb1EEEvPT_PKS2_PKT0_S8_ifPKiSA_iPKfiiiSC_SC_iiiii: ; @_ZN4vllm25paged_attention_v1_kernelIthLi128ELi8ELi128ELNS_18Fp8KVCacheDataTypeE1ELb1EEEvPT_PKS2_PKT0_S8_ifPKiSA_iPKfiiiSC_SC_iiiii
; %bb.0:
	s_load_b64 s[6:7], s[0:1], 0x20
	s_bfe_u32 s3, ttmp6, 0x4000c
	s_bfe_u32 s5, ttmp6, 0x40010
	s_and_b32 s4, ttmp7, 0xffff
	s_add_co_i32 s3, s3, 1
	s_add_co_i32 s5, s5, 1
	s_and_b32 s2, ttmp6, 15
	s_bfe_u32 s8, ttmp6, 0x40004
	s_mul_i32 s3, ttmp9, s3
	s_mul_i32 s5, s4, s5
	s_getreg_b32 s30, hwreg(HW_REG_IB_STS2, 6, 4)
	s_add_co_i32 s9, s2, s3
	s_add_co_i32 s8, s8, s5
	s_cmp_eq_u32 s30, 0
	s_clause 0x1
	s_load_b32 s31, s[0:1], 0x80
	s_load_b64 s[2:3], s[0:1], 0x30
	s_cselect_b32 s33, s4, s8
	s_cselect_b32 s4, ttmp9, s9
	s_wait_kmcnt 0x0
	s_abs_i32 s5, s6
	s_delay_alu instid0(SALU_CYCLE_1) | instskip(SKIP_1) | instid1(SALU_CYCLE_2)
	s_cvt_f32_u32 s8, s5
	s_sub_co_i32 s9, 0, s5
	v_rcp_iflag_f32_e32 v1, s8
	s_abs_i32 s10, s31
	v_nop
	s_delay_alu instid0(TRANS32_DEP_1) | instskip(SKIP_1) | instid1(SALU_CYCLE_3)
	v_readfirstlane_b32 s8, v1
	s_mul_f32 s8, s8, 0x4f7ffffe
	s_cvt_u32_f32 s8, s8
	s_delay_alu instid0(SALU_CYCLE_3) | instskip(NEXT) | instid1(SALU_CYCLE_1)
	s_mul_i32 s9, s9, s8
	s_mul_hi_u32 s9, s8, s9
	s_delay_alu instid0(SALU_CYCLE_1) | instskip(SKIP_4) | instid1(SALU_CYCLE_1)
	s_add_co_i32 s8, s8, s9
	s_xor_b32 s9, s31, s6
	s_mul_hi_u32 s8, s10, s8
	s_ashr_i32 s9, s9, 31
	s_mul_i32 s11, s8, s5
	s_sub_co_i32 s10, s10, s11
	s_add_co_i32 s11, s8, 1
	s_sub_co_i32 s12, s10, s5
	s_cmp_ge_u32 s10, s5
	s_cselect_b32 s8, s11, s8
	s_cselect_b32 s10, s12, s10
	s_add_co_i32 s11, s8, 1
	s_cmp_ge_u32 s10, s5
	s_load_b64 s[12:13], s[0:1], 0x40
	s_cselect_b32 s5, s11, s8
	s_delay_alu instid0(SALU_CYCLE_1) | instskip(NEXT) | instid1(SALU_CYCLE_1)
	s_xor_b32 s5, s5, s9
	s_sub_co_i32 s14, s5, s9
	s_mov_b32 s9, 0
	s_abs_i32 s19, s14
	s_mov_b32 s11, s9
	s_cvt_f32_u32 s5, s19
	s_sub_co_i32 s8, 0, s19
	s_mov_b32 s37, s9
	s_delay_alu instid0(SALU_CYCLE_1) | instskip(SKIP_1) | instid1(TRANS32_DEP_1)
	v_rcp_iflag_f32_e32 v1, s5
	v_nop
	v_readfirstlane_b32 s5, v1
	s_mul_f32 s5, s5, 0x4f7ffffe
	s_delay_alu instid0(SALU_CYCLE_3) | instskip(NEXT) | instid1(SALU_CYCLE_3)
	s_cvt_u32_f32 s5, s5
	s_mul_i32 s8, s8, s5
	s_delay_alu instid0(SALU_CYCLE_1)
	s_mul_hi_u32 s10, s5, s8
	s_abs_i32 s8, s4
	s_add_co_i32 s10, s5, s10
	s_wait_kmcnt 0x0
	s_cmp_eq_u64 s[12:13], 0
	s_cbranch_scc1 .LBB240_2
; %bb.1:
	s_ashr_i32 s5, s4, 31
	s_delay_alu instid0(SALU_CYCLE_1) | instskip(NEXT) | instid1(SALU_CYCLE_1)
	s_lshl_b64 s[16:17], s[4:5], 2
	s_add_nc_u64 s[12:13], s[12:13], s[16:17]
	s_load_b32 s37, s[12:13], 0x0
.LBB240_2:
	s_load_b32 s34, s[2:3], s33 offset:0x0 scale_offset
	s_load_b96 s[16:18], s[0:1], 0x48
	v_and_b32_e32 v6, 3, v0
	s_wait_xcnt 0x0
	v_cmp_gt_u32_e64 s2, 64, v0
	s_ashr_i32 s3, s4, 31
	s_ashr_i32 s5, s14, 31
	s_mul_u64 s[10:11], s[8:9], s[10:11]
	s_lshl_b32 s20, s4, 7
	s_and_saveexec_b32 s9, s2
	s_cbranch_execz .LBB240_4
; %bb.3:
	s_load_b64 s[12:13], s[0:1], 0x8
	s_wait_kmcnt 0x0
	s_mul_i32 s14, s16, s33
	s_ashr_i32 s21, s20, 31
	s_ashr_i32 s15, s14, 31
	v_and_b32_e32 v2, 0x3fc, v0
	s_lshl_b64 s[14:15], s[14:15], 1
	s_delay_alu instid0(VALU_DEP_1) | instskip(SKIP_2) | instid1(SALU_CYCLE_1)
	v_lshl_add_u32 v2, v6, 6, v2
	s_add_nc_u64 s[12:13], s[12:13], s[14:15]
	s_lshl_b64 s[14:15], s[20:21], 1
	s_add_nc_u64 s[12:13], s[12:13], s[14:15]
	global_load_b32 v1, v0, s[12:13] scale_offset
	s_wait_loadcnt 0x0
	ds_store_b32 v2, v1
.LBB240_4:
	s_or_b32 exec_lo, exec_lo, s9
	s_load_b128 s[12:15], s[0:1], 0x68
	s_mul_i32 s9, s11, s19
	s_xor_b32 s5, s3, s5
	s_sub_co_i32 s3, s8, s9
	s_add_co_i32 s8, s11, 1
	s_sub_co_i32 s9, s3, s19
	s_cmp_ge_u32 s3, s19
	s_wait_dscnt 0x0
	s_cselect_b32 s8, s8, s11
	s_cselect_b32 s3, s9, s3
	s_add_co_i32 s9, s8, 1
	s_cmp_ge_u32 s3, s19
	s_load_b32 s3, s[0:1], 0x78
	s_cselect_b32 s8, s9, s8
	s_wait_kmcnt 0x0
	s_add_co_i32 s10, s34, -1
	s_xor_b32 s8, s8, s5
	s_mov_b32 s11, -1
	s_sub_co_i32 s5, s8, s5
	s_barrier_signal -1
	s_barrier_wait -1
	s_abs_i32 s16, s15
	s_delay_alu instid0(SALU_CYCLE_1) | instskip(NEXT) | instid1(SALU_CYCLE_3)
	s_cvt_f32_u32 s9, s16
	v_rcp_iflag_f32_e32 v1, s9
	v_nop
	s_delay_alu instid0(TRANS32_DEP_1) | instskip(SKIP_1) | instid1(SALU_CYCLE_3)
	v_readfirstlane_b32 s9, v1
	s_mul_f32 s8, s9, 0x4f7ffffe
	s_cvt_u32_f32 s19, s8
	s_sub_co_i32 s8, 0, s16
	s_delay_alu instid0(SALU_CYCLE_2)
	s_mul_i32 s9, s8, s19
	s_abs_i32 s8, s10
	s_mul_hi_u32 s21, s19, s9
	s_mov_b32 s9, 0
	s_add_co_i32 s22, s19, s21
	s_cmp_lt_i32 s3, 0
	s_mov_b32 s23, s9
                                        ; implicit-def: $sgpr21
	s_cbranch_scc0 .LBB240_6
; %bb.5:
	s_mul_i32 s6, s12, s6
	s_mov_b32 s11, s9
	s_add_co_i32 s6, s5, s6
	s_delay_alu instid0(SALU_CYCLE_1) | instskip(NEXT) | instid1(SALU_CYCLE_1)
	s_mul_i32 s6, s6, s3
	s_sub_co_i32 s21, 1, s6
.LBB240_6:
	s_ashr_i32 s6, s10, 31
	s_ashr_i32 s15, s15, 31
	s_and_not1_b32 vcc_lo, exec_lo, s11
	s_mul_u64 s[28:29], s[8:9], s[22:23]
	s_cbranch_vccnz .LBB240_8
; %bb.7:
	s_mul_i32 s9, s31, s12
	s_delay_alu instid0(SALU_CYCLE_1) | instskip(NEXT) | instid1(SALU_CYCLE_1)
	s_add_co_i32 s4, s9, s4
	s_mul_i32 s3, s4, s3
	s_delay_alu instid0(SALU_CYCLE_1)
	s_add_co_i32 s21, s3, 1
.LBB240_8:
	s_clause 0x1
	s_load_b32 s3, s[0:1], 0x38
	s_load_b64 s[24:25], s[0:1], 0x28
	s_xor_b32 s4, s6, s15
	s_mul_i32 s6, s29, s16
	s_add_co_i32 s19, s29, 1
	s_sub_co_i32 s6, s8, s6
	s_clause 0x1
	s_load_b32 s12, s[0:1], 0x88
	s_load_b128 s[8:11], s[0:1], 0x58
	v_dual_mov_b32 v16, 0xff7fffff :: v_dual_lshrrev_b32 v25, 5, v0
	v_lshrrev_b32_e32 v1, 3, v0
	v_mbcnt_lo_u32_b32 v3, -1, 0
	s_mul_i32 s18, s5, s18
	s_delay_alu instid0(VALU_DEP_3)
	v_lshlrev_b32_e32 v2, 3, v25
	s_wait_kmcnt 0x0
	s_mul_i32 s26, s3, s33
	s_sub_co_i32 s3, s6, s16
	s_ashr_i32 s27, s26, 31
	s_cmp_ge_u32 s6, s16
	s_cselect_b32 s19, s19, s29
	s_cselect_b32 s3, s3, s6
	s_add_co_i32 s6, s19, 1
	s_cmp_ge_u32 s3, s16
	s_cselect_b32 s3, s6, s19
	s_add_co_i32 s6, s34, 7
	s_delay_alu instid0(SALU_CYCLE_1) | instskip(NEXT) | instid1(SALU_CYCLE_1)
	s_ashr_i32 s19, s6, 31
	s_lshr_b32 s19, s19, 29
	s_delay_alu instid0(SALU_CYCLE_1) | instskip(NEXT) | instid1(SALU_CYCLE_1)
	s_add_co_i32 s6, s6, s19
	s_ashr_i32 s35, s6, 3
	s_xor_b32 s6, s3, s4
	v_cmp_gt_i32_e64 s3, s35, v25
	s_sub_co_i32 s36, s6, s4
	s_and_saveexec_b32 s38, s3
	s_cbranch_execz .LBB240_276
; %bb.9:
	s_load_b64 s[42:43], s[0:1], 0x10
	s_sub_co_i32 s39, s36, s13
	s_ashr_i32 s19, s18, 31
	s_cmp_neq_f32 s37, 0
	v_bfe_u32 v14, v0, 2, 3
	v_dual_mov_b32 v5, 0 :: v_dual_lshlrev_b32 v15, 6, v6
	s_cselect_b32 vcc_lo, -1, 0
	s_abs_i32 s40, s14
	s_delay_alu instid0(VALU_DEP_2)
	v_lshlrev_b32_e32 v4, 4, v14
	s_cvt_f32_u32 s4, s40
	s_lshl_b64 s[44:45], s[26:27], 2
	v_subrev_nc_u32_e32 v10, s34, v14
	s_sub_co_i32 s6, 0, s40
	v_rcp_iflag_f32_e32 v7, s4
	v_cmp_eq_u32_e64 s4, 0, v6
	s_delay_alu instid0(VALU_DEP_2)
	v_dual_mov_b32 v16, 0xff7fffff :: v_dual_add_nc_u32 v17, 1, v10
	v_mov_b32_e32 v20, v25
	s_mov_b32 s29, 0
	s_wait_kmcnt 0x0
	s_add_nc_u64 s[42:43], s[42:43], s[18:19]
	v_readfirstlane_b32 s5, v7
	v_lshlrev_b32_e32 v7, 2, v14
	v_add_nc_u64_e32 v[8:9], s[42:43], v[4:5]
	v_dual_mov_b32 v19, 0xff7fffff :: v_dual_lshlrev_b32 v4, 1, v6
	s_mul_f32 s5, s5, 0x4f7ffffe
	s_delay_alu instid0(VALU_DEP_3) | instskip(SKIP_2) | instid1(VALU_DEP_3)
	v_lshl_or_b32 v11, v25, 5, v7
	s_add_nc_u64 s[42:43], s[24:25], s[44:45]
	s_mov_b32 s19, s17
	v_add_nc_u64_e32 v[6:7], v[8:9], v[4:5]
	v_and_b32_e32 v4, 0x7c, v1
	s_cvt_u32_f32 s5, s5
	v_add_nc_u32_e32 v18, 0x120, v11
	s_mov_b32 s41, s29
	s_delay_alu instid0(VALU_DEP_2) | instskip(SKIP_3) | instid1(SALU_CYCLE_1)
	v_add_nc_u64_e32 v[8:9], s[42:43], v[4:5]
	s_mul_i32 s6, s6, s5
	v_lshlrev_b32_e32 v4, 3, v25
	s_mul_hi_u32 s6, s5, s6
	s_add_co_i32 s28, s5, s6
	s_branch .LBB240_12
.LBB240_10:                             ;   in Loop: Header=BB240_12 Depth=1
	s_or_b32 exec_lo, exec_lo, s42
.LBB240_11:                             ;   in Loop: Header=BB240_12 Depth=1
	s_delay_alu instid0(SALU_CYCLE_1) | instskip(SKIP_4) | instid1(VALU_DEP_4)
	s_or_b32 exec_lo, exec_lo, s6
	v_add_nc_u32_e32 v20, 4, v20
	v_add_nc_u64_e32 v[8:9], 16, v[8:9]
	v_add_nc_u32_e32 v4, 32, v4
	v_add_nc_u32_e32 v18, 0x80, v18
	v_cmp_le_i32_e64 s5, s35, v20
	s_or_b32 s41, s5, s41
	s_delay_alu instid0(SALU_CYCLE_1)
	s_and_not1_b32 exec_lo, exec_lo, s41
	s_cbranch_execz .LBB240_275
.LBB240_12:                             ; =>This Inner Loop Header: Depth=1
	s_wait_dscnt 0x0
	v_mul_u64_e32 v[10:11], s[22:23], v[4:5]
	s_delay_alu instid0(VALU_DEP_1) | instskip(NEXT) | instid1(VALU_DEP_1)
	v_mul_lo_u32 v10, v11, s16
	v_dual_add_nc_u32 v12, 1, v11 :: v_dual_sub_nc_u32 v10, v4, v10
	s_delay_alu instid0(VALU_DEP_1) | instskip(SKIP_1) | instid1(VALU_DEP_1)
	v_subrev_nc_u32_e32 v13, s16, v10
	v_cmp_le_u32_e64 s5, s16, v10
	v_dual_cndmask_b32 v11, v11, v12, s5 :: v_dual_cndmask_b32 v10, v10, v13, s5
	s_delay_alu instid0(VALU_DEP_1) | instskip(NEXT) | instid1(VALU_DEP_2)
	v_add_nc_u32_e32 v12, 1, v11
	v_cmp_le_u32_e64 s5, s16, v10
	s_delay_alu instid0(VALU_DEP_1) | instskip(NEXT) | instid1(VALU_DEP_1)
	v_dual_cndmask_b32 v10, v11, v12, s5 :: v_dual_mov_b32 v11, v5
	v_xor_b32_e32 v10, s15, v10
	s_delay_alu instid0(VALU_DEP_1) | instskip(NEXT) | instid1(VALU_DEP_1)
	v_subrev_nc_u32_e32 v21, s15, v10
	v_add_nc_u32_e32 v22, s21, v21
	v_cmp_ge_i32_e64 s6, s39, v21
	s_delay_alu instid0(VALU_DEP_2) | instskip(NEXT) | instid1(VALU_DEP_1)
	v_sub_nc_u32_e32 v10, 0, v22
	v_max_i32_e32 v10, v22, v10
	s_delay_alu instid0(VALU_DEP_1) | instskip(SKIP_1) | instid1(VALU_DEP_2)
	v_mul_u64_e32 v[12:13], s[28:29], v[10:11]
	v_ashrrev_i32_e32 v12, 31, v22
	v_mul_lo_u32 v11, v13, s40
	s_delay_alu instid0(VALU_DEP_1) | instskip(NEXT) | instid1(VALU_DEP_1)
	v_sub_nc_u32_e32 v10, v10, v11
	v_subrev_nc_u32_e32 v11, s40, v10
	v_cmp_le_u32_e64 s5, s40, v10
	s_delay_alu instid0(VALU_DEP_1) | instskip(NEXT) | instid1(VALU_DEP_1)
	v_cndmask_b32_e64 v10, v10, v11, s5
	v_subrev_nc_u32_e32 v11, s40, v10
	v_cmp_le_u32_e64 s5, s40, v10
	s_delay_alu instid0(VALU_DEP_1) | instskip(NEXT) | instid1(VALU_DEP_1)
	v_cndmask_b32_e64 v10, v10, v11, s5
	v_xor_b32_e32 v10, v10, v12
	s_delay_alu instid0(VALU_DEP_1) | instskip(NEXT) | instid1(VALU_DEP_1)
	v_sub_nc_u32_e32 v10, v10, v12
	v_cmp_ne_u32_e64 s5, 0, v10
	s_and_b32 s5, s5, s6
	s_delay_alu instid0(SALU_CYCLE_1) | instskip(NEXT) | instid1(SALU_CYCLE_1)
	s_and_saveexec_b32 s6, s5
	s_xor_b32 s5, exec_lo, s6
	s_cbranch_execz .LBB240_16
; %bb.13:                               ;   in Loop: Header=BB240_12 Depth=1
	s_and_saveexec_b32 s6, s4
; %bb.14:                               ;   in Loop: Header=BB240_12 Depth=1
	ds_store_b32 v18, v19
; %bb.15:                               ;   in Loop: Header=BB240_12 Depth=1
	s_or_b32 exec_lo, exec_lo, s6
.LBB240_16:                             ;   in Loop: Header=BB240_12 Depth=1
	s_and_not1_saveexec_b32 s6, s5
	s_cbranch_execz .LBB240_11
; %bb.17:                               ;   in Loop: Header=BB240_12 Depth=1
	global_load_b32 v10, v[8:9], off
	v_dual_mov_b32 v22, 0 :: v_dual_mov_b32 v23, 0
	s_mov_b32 s42, exec_lo
	global_load_b32 v21, v22, s[8:9]
	s_wait_loadcnt 0x1
	v_mad_nc_i64_i32 v[10:11], v10, s19, v[6:7]
	global_load_u16 v12, v[10:11], off
	s_wait_loadcnt 0x0
	v_and_b32_e32 v13, 0xff, v12
	v_and_b32_e32 v12, 0xffff, v12
	s_delay_alu instid0(VALU_DEP_2)
	v_cmpx_ne_u16_e32 0, v13
	s_cbranch_execz .LBB240_25
; %bb.18:                               ;   in Loop: Header=BB240_12 Depth=1
	s_delay_alu instid0(VALU_DEP_2) | instskip(SKIP_2) | instid1(VALU_DEP_2)
	v_and_b32_e32 v13, 0xff, v12
	v_mov_b32_e32 v23, 0x8000
	s_mov_b32 s43, exec_lo
	v_cmpx_ne_u16_e32 0x80, v13
	s_cbranch_execz .LBB240_24
; %bb.19:                               ;   in Loop: Header=BB240_12 Depth=1
	v_and_b32_e32 v24, 0x7f, v12
	v_mov_b32_e32 v23, 0x7c01
	s_mov_b32 s44, exec_lo
	s_delay_alu instid0(VALU_DEP_2)
	v_cmpx_ne_u32_e32 0x7f, v24
	s_cbranch_execz .LBB240_23
; %bb.20:                               ;   in Loop: Header=BB240_12 Depth=1
	v_and_b32_e32 v13, 7, v12
	v_lshrrev_b32_e32 v23, 3, v24
	s_mov_b32 s45, exec_lo
	v_cmpx_gt_u32_e32 8, v24
; %bb.21:                               ;   in Loop: Header=BB240_12 Depth=1
	s_delay_alu instid0(VALU_DEP_3) | instskip(NEXT) | instid1(VALU_DEP_1)
	v_clz_i32_u32_e32 v13, v13
	v_min_u32_e32 v13, 32, v13
	s_delay_alu instid0(VALU_DEP_1) | instskip(NEXT) | instid1(VALU_DEP_1)
	v_subrev_nc_u32_e32 v23, 28, v13
	v_lshlrev_b64_e32 v[26:27], v23, v[12:13]
	s_delay_alu instid0(VALU_DEP_1)
	v_dual_sub_nc_u32 v23, 29, v13 :: v_dual_bitop2_b32 v13, 7, v26 bitop3:0x40
; %bb.22:                               ;   in Loop: Header=BB240_12 Depth=1
	s_or_b32 exec_lo, exec_lo, s45
	s_delay_alu instid0(VALU_DEP_1) | instskip(NEXT) | instid1(VALU_DEP_2)
	v_dual_lshlrev_b32 v24, 8, v12 :: v_dual_lshlrev_b32 v13, 7, v13
	v_lshl_add_u32 v23, v23, 10, 0x2000
	s_delay_alu instid0(VALU_DEP_2) | instskip(NEXT) | instid1(VALU_DEP_2)
	v_and_b32_e32 v24, 0x8000, v24
	v_and_b32_e32 v23, 0xfc00, v23
	s_delay_alu instid0(VALU_DEP_1)
	v_or3_b32 v23, v24, v23, v13
.LBB240_23:                             ;   in Loop: Header=BB240_12 Depth=1
	s_or_b32 exec_lo, exec_lo, s44
.LBB240_24:                             ;   in Loop: Header=BB240_12 Depth=1
	s_delay_alu instid0(SALU_CYCLE_1)
	s_or_b32 exec_lo, exec_lo, s43
.LBB240_25:                             ;   in Loop: Header=BB240_12 Depth=1
	s_delay_alu instid0(SALU_CYCLE_1) | instskip(NEXT) | instid1(VALU_DEP_2)
	s_or_b32 exec_lo, exec_lo, s42
	v_lshrrev_b16 v12, 8, v12
	s_mov_b32 s42, exec_lo
	s_delay_alu instid0(VALU_DEP_1)
	v_cmpx_ne_u16_e32 0, v12
	s_cbranch_execz .LBB240_33
; %bb.26:                               ;   in Loop: Header=BB240_12 Depth=1
	v_bfrev_b32_e32 v22, 1
	s_mov_b32 s43, exec_lo
	v_cmpx_ne_u16_e32 0x80, v12
	s_cbranch_execz .LBB240_32
; %bb.27:                               ;   in Loop: Header=BB240_12 Depth=1
	v_and_b32_e32 v24, 0xffff, v12
	v_mov_b32_e32 v22, 0x7c010000
	s_mov_b32 s44, exec_lo
	s_delay_alu instid0(VALU_DEP_2) | instskip(NEXT) | instid1(VALU_DEP_1)
	v_and_b32_e32 v26, 0x7f, v24
	v_cmpx_ne_u32_e32 0x7f, v26
	s_cbranch_execz .LBB240_31
; %bb.28:                               ;   in Loop: Header=BB240_12 Depth=1
	v_dual_lshrrev_b32 v22, 3, v26 :: v_dual_bitop2_b32 v13, 7, v24 bitop3:0x40
	s_mov_b32 s45, exec_lo
	v_cmpx_gt_u32_e32 8, v26
	s_cbranch_execz .LBB240_30
; %bb.29:                               ;   in Loop: Header=BB240_12 Depth=1
	s_delay_alu instid0(VALU_DEP_2) | instskip(NEXT) | instid1(VALU_DEP_1)
	v_clz_i32_u32_e32 v13, v13
	v_min_u32_e32 v22, 32, v13
	v_mov_b32_e32 v13, v5
	s_delay_alu instid0(VALU_DEP_2) | instskip(SKIP_1) | instid1(VALU_DEP_2)
	v_subrev_nc_u32_e32 v26, 28, v22
	v_sub_nc_u32_e32 v22, 29, v22
	v_lshlrev_b64_e32 v[12:13], v26, v[12:13]
	s_delay_alu instid0(VALU_DEP_1)
	v_and_b32_e32 v13, 7, v12
.LBB240_30:                             ;   in Loop: Header=BB240_12 Depth=1
	s_or_b32 exec_lo, exec_lo, s45
	s_delay_alu instid0(VALU_DEP_1) | instskip(SKIP_1) | instid1(VALU_DEP_1)
	v_dual_lshlrev_b32 v12, 8, v24 :: v_dual_lshlrev_b32 v13, 23, v13
	v_lshl_add_u32 v22, v22, 10, 0x2000
	v_and_or_b32 v12, 0x8000, v12, v22
	s_delay_alu instid0(VALU_DEP_1)
	v_lshl_or_b32 v22, v12, 16, v13
.LBB240_31:                             ;   in Loop: Header=BB240_12 Depth=1
	s_or_b32 exec_lo, exec_lo, s44
.LBB240_32:                             ;   in Loop: Header=BB240_12 Depth=1
	s_delay_alu instid0(SALU_CYCLE_1)
	s_or_b32 exec_lo, exec_lo, s43
.LBB240_33:                             ;   in Loop: Header=BB240_12 Depth=1
	s_delay_alu instid0(SALU_CYCLE_1)
	s_or_b32 exec_lo, exec_lo, s42
	global_load_u16 v12, v[10:11], off offset:8
	v_dual_mov_b32 v24, 0 :: v_dual_mov_b32 v26, 0
	s_mov_b32 s42, exec_lo
	s_wait_loadcnt 0x0
	v_and_b32_e32 v13, 0xff, v12
	v_and_b32_e32 v12, 0xffff, v12
	s_delay_alu instid0(VALU_DEP_2)
	v_cmpx_ne_u16_e32 0, v13
	s_cbranch_execz .LBB240_41
; %bb.34:                               ;   in Loop: Header=BB240_12 Depth=1
	s_delay_alu instid0(VALU_DEP_2) | instskip(SKIP_2) | instid1(VALU_DEP_2)
	v_and_b32_e32 v13, 0xff, v12
	v_mov_b32_e32 v26, 0x8000
	s_mov_b32 s43, exec_lo
	v_cmpx_ne_u16_e32 0x80, v13
	s_cbranch_execz .LBB240_40
; %bb.35:                               ;   in Loop: Header=BB240_12 Depth=1
	v_and_b32_e32 v27, 0x7f, v12
	v_mov_b32_e32 v26, 0x7c01
	s_mov_b32 s44, exec_lo
	s_delay_alu instid0(VALU_DEP_2)
	v_cmpx_ne_u32_e32 0x7f, v27
	s_cbranch_execz .LBB240_39
; %bb.36:                               ;   in Loop: Header=BB240_12 Depth=1
	v_dual_lshrrev_b32 v26, 3, v27 :: v_dual_bitop2_b32 v13, 7, v12 bitop3:0x40
	s_mov_b32 s45, exec_lo
	v_cmpx_gt_u32_e32 8, v27
; %bb.37:                               ;   in Loop: Header=BB240_12 Depth=1
	s_delay_alu instid0(VALU_DEP_2) | instskip(NEXT) | instid1(VALU_DEP_1)
	v_clz_i32_u32_e32 v13, v13
	v_min_u32_e32 v13, 32, v13
	s_delay_alu instid0(VALU_DEP_1) | instskip(NEXT) | instid1(VALU_DEP_1)
	v_subrev_nc_u32_e32 v26, 28, v13
	v_lshlrev_b64_e32 v[28:29], v26, v[12:13]
	s_delay_alu instid0(VALU_DEP_1)
	v_dual_sub_nc_u32 v26, 29, v13 :: v_dual_bitop2_b32 v13, 7, v28 bitop3:0x40
; %bb.38:                               ;   in Loop: Header=BB240_12 Depth=1
	s_or_b32 exec_lo, exec_lo, s45
	s_delay_alu instid0(VALU_DEP_1) | instskip(NEXT) | instid1(VALU_DEP_2)
	v_dual_lshlrev_b32 v27, 8, v12 :: v_dual_lshlrev_b32 v13, 7, v13
	v_lshl_add_u32 v26, v26, 10, 0x2000
	s_delay_alu instid0(VALU_DEP_2) | instskip(NEXT) | instid1(VALU_DEP_2)
	v_and_b32_e32 v27, 0x8000, v27
	v_and_b32_e32 v26, 0xfc00, v26
	s_delay_alu instid0(VALU_DEP_1)
	v_or3_b32 v26, v27, v26, v13
.LBB240_39:                             ;   in Loop: Header=BB240_12 Depth=1
	s_or_b32 exec_lo, exec_lo, s44
.LBB240_40:                             ;   in Loop: Header=BB240_12 Depth=1
	s_delay_alu instid0(SALU_CYCLE_1)
	s_or_b32 exec_lo, exec_lo, s43
.LBB240_41:                             ;   in Loop: Header=BB240_12 Depth=1
	s_delay_alu instid0(SALU_CYCLE_1) | instskip(NEXT) | instid1(VALU_DEP_2)
	s_or_b32 exec_lo, exec_lo, s42
	v_lshrrev_b16 v12, 8, v12
	s_mov_b32 s42, exec_lo
	s_delay_alu instid0(VALU_DEP_1)
	v_cmpx_ne_u16_e32 0, v12
	s_cbranch_execz .LBB240_49
; %bb.42:                               ;   in Loop: Header=BB240_12 Depth=1
	v_bfrev_b32_e32 v24, 1
	s_mov_b32 s43, exec_lo
	v_cmpx_ne_u16_e32 0x80, v12
	s_cbranch_execz .LBB240_48
; %bb.43:                               ;   in Loop: Header=BB240_12 Depth=1
	v_and_b32_e32 v27, 0xffff, v12
	v_mov_b32_e32 v24, 0x7c010000
	s_mov_b32 s44, exec_lo
	s_delay_alu instid0(VALU_DEP_2) | instskip(NEXT) | instid1(VALU_DEP_1)
	v_and_b32_e32 v28, 0x7f, v27
	v_cmpx_ne_u32_e32 0x7f, v28
	s_cbranch_execz .LBB240_47
; %bb.44:                               ;   in Loop: Header=BB240_12 Depth=1
	v_dual_lshrrev_b32 v24, 3, v28 :: v_dual_bitop2_b32 v13, 7, v27 bitop3:0x40
	s_mov_b32 s45, exec_lo
	v_cmpx_gt_u32_e32 8, v28
	s_cbranch_execz .LBB240_46
; %bb.45:                               ;   in Loop: Header=BB240_12 Depth=1
	s_delay_alu instid0(VALU_DEP_2) | instskip(NEXT) | instid1(VALU_DEP_1)
	v_clz_i32_u32_e32 v13, v13
	v_min_u32_e32 v24, 32, v13
	v_mov_b32_e32 v13, v5
	s_delay_alu instid0(VALU_DEP_2) | instskip(SKIP_1) | instid1(VALU_DEP_2)
	v_subrev_nc_u32_e32 v28, 28, v24
	v_sub_nc_u32_e32 v24, 29, v24
	v_lshlrev_b64_e32 v[12:13], v28, v[12:13]
	s_delay_alu instid0(VALU_DEP_1)
	v_and_b32_e32 v13, 7, v12
.LBB240_46:                             ;   in Loop: Header=BB240_12 Depth=1
	s_or_b32 exec_lo, exec_lo, s45
	s_delay_alu instid0(VALU_DEP_1) | instskip(SKIP_1) | instid1(VALU_DEP_1)
	v_dual_lshlrev_b32 v12, 8, v27 :: v_dual_lshlrev_b32 v13, 23, v13
	v_lshl_add_u32 v24, v24, 10, 0x2000
	v_and_or_b32 v12, 0x8000, v12, v24
	s_delay_alu instid0(VALU_DEP_1)
	v_lshl_or_b32 v24, v12, 16, v13
.LBB240_47:                             ;   in Loop: Header=BB240_12 Depth=1
	s_or_b32 exec_lo, exec_lo, s44
.LBB240_48:                             ;   in Loop: Header=BB240_12 Depth=1
	s_delay_alu instid0(SALU_CYCLE_1)
	s_or_b32 exec_lo, exec_lo, s43
.LBB240_49:                             ;   in Loop: Header=BB240_12 Depth=1
	s_delay_alu instid0(SALU_CYCLE_1)
	s_or_b32 exec_lo, exec_lo, s42
	global_load_u16 v12, v[10:11], off offset:128
	v_dual_mov_b32 v27, 0 :: v_dual_mov_b32 v28, 0
	s_mov_b32 s42, exec_lo
	s_wait_loadcnt 0x0
	v_and_b32_e32 v13, 0xff, v12
	v_and_b32_e32 v12, 0xffff, v12
	s_delay_alu instid0(VALU_DEP_2)
	v_cmpx_ne_u16_e32 0, v13
	s_cbranch_execz .LBB240_57
; %bb.50:                               ;   in Loop: Header=BB240_12 Depth=1
	s_delay_alu instid0(VALU_DEP_2) | instskip(SKIP_2) | instid1(VALU_DEP_2)
	v_and_b32_e32 v13, 0xff, v12
	v_mov_b32_e32 v28, 0x8000
	s_mov_b32 s43, exec_lo
	v_cmpx_ne_u16_e32 0x80, v13
	s_cbranch_execz .LBB240_56
; %bb.51:                               ;   in Loop: Header=BB240_12 Depth=1
	v_and_b32_e32 v29, 0x7f, v12
	v_mov_b32_e32 v28, 0x7c01
	s_mov_b32 s44, exec_lo
	s_delay_alu instid0(VALU_DEP_2)
	v_cmpx_ne_u32_e32 0x7f, v29
	s_cbranch_execz .LBB240_55
; %bb.52:                               ;   in Loop: Header=BB240_12 Depth=1
	v_dual_lshrrev_b32 v28, 3, v29 :: v_dual_bitop2_b32 v13, 7, v12 bitop3:0x40
	s_mov_b32 s45, exec_lo
	v_cmpx_gt_u32_e32 8, v29
; %bb.53:                               ;   in Loop: Header=BB240_12 Depth=1
	s_delay_alu instid0(VALU_DEP_2) | instskip(NEXT) | instid1(VALU_DEP_1)
	v_clz_i32_u32_e32 v13, v13
	v_min_u32_e32 v13, 32, v13
	s_delay_alu instid0(VALU_DEP_1) | instskip(NEXT) | instid1(VALU_DEP_1)
	v_subrev_nc_u32_e32 v28, 28, v13
	v_lshlrev_b64_e32 v[30:31], v28, v[12:13]
	s_delay_alu instid0(VALU_DEP_1)
	v_dual_sub_nc_u32 v28, 29, v13 :: v_dual_bitop2_b32 v13, 7, v30 bitop3:0x40
; %bb.54:                               ;   in Loop: Header=BB240_12 Depth=1
	s_or_b32 exec_lo, exec_lo, s45
	s_delay_alu instid0(VALU_DEP_1) | instskip(NEXT) | instid1(VALU_DEP_2)
	v_dual_lshlrev_b32 v29, 8, v12 :: v_dual_lshlrev_b32 v13, 7, v13
	v_lshl_add_u32 v28, v28, 10, 0x2000
	s_delay_alu instid0(VALU_DEP_2) | instskip(NEXT) | instid1(VALU_DEP_2)
	v_and_b32_e32 v29, 0x8000, v29
	v_and_b32_e32 v28, 0xfc00, v28
	s_delay_alu instid0(VALU_DEP_1)
	v_or3_b32 v28, v29, v28, v13
.LBB240_55:                             ;   in Loop: Header=BB240_12 Depth=1
	s_or_b32 exec_lo, exec_lo, s44
.LBB240_56:                             ;   in Loop: Header=BB240_12 Depth=1
	s_delay_alu instid0(SALU_CYCLE_1)
	s_or_b32 exec_lo, exec_lo, s43
.LBB240_57:                             ;   in Loop: Header=BB240_12 Depth=1
	s_delay_alu instid0(SALU_CYCLE_1) | instskip(NEXT) | instid1(VALU_DEP_2)
	s_or_b32 exec_lo, exec_lo, s42
	v_lshrrev_b16 v12, 8, v12
	s_mov_b32 s42, exec_lo
	s_delay_alu instid0(VALU_DEP_1)
	v_cmpx_ne_u16_e32 0, v12
	s_cbranch_execz .LBB240_65
; %bb.58:                               ;   in Loop: Header=BB240_12 Depth=1
	v_bfrev_b32_e32 v27, 1
	s_mov_b32 s43, exec_lo
	v_cmpx_ne_u16_e32 0x80, v12
	s_cbranch_execz .LBB240_64
; %bb.59:                               ;   in Loop: Header=BB240_12 Depth=1
	v_and_b32_e32 v29, 0xffff, v12
	v_mov_b32_e32 v27, 0x7c010000
	s_mov_b32 s44, exec_lo
	s_delay_alu instid0(VALU_DEP_2) | instskip(NEXT) | instid1(VALU_DEP_1)
	v_and_b32_e32 v30, 0x7f, v29
	v_cmpx_ne_u32_e32 0x7f, v30
	s_cbranch_execz .LBB240_63
; %bb.60:                               ;   in Loop: Header=BB240_12 Depth=1
	v_dual_lshrrev_b32 v27, 3, v30 :: v_dual_bitop2_b32 v13, 7, v29 bitop3:0x40
	s_mov_b32 s45, exec_lo
	v_cmpx_gt_u32_e32 8, v30
	s_cbranch_execz .LBB240_62
; %bb.61:                               ;   in Loop: Header=BB240_12 Depth=1
	s_delay_alu instid0(VALU_DEP_2) | instskip(NEXT) | instid1(VALU_DEP_1)
	v_clz_i32_u32_e32 v13, v13
	v_min_u32_e32 v27, 32, v13
	v_mov_b32_e32 v13, v5
	s_delay_alu instid0(VALU_DEP_2) | instskip(SKIP_1) | instid1(VALU_DEP_2)
	v_subrev_nc_u32_e32 v30, 28, v27
	v_sub_nc_u32_e32 v27, 29, v27
	v_lshlrev_b64_e32 v[12:13], v30, v[12:13]
	s_delay_alu instid0(VALU_DEP_1)
	v_and_b32_e32 v13, 7, v12
.LBB240_62:                             ;   in Loop: Header=BB240_12 Depth=1
	s_or_b32 exec_lo, exec_lo, s45
	v_lshlrev_b32_e32 v12, 8, v29
	v_lshl_add_u32 v27, v27, 10, 0x2000
	s_delay_alu instid0(VALU_DEP_3) | instskip(NEXT) | instid1(VALU_DEP_2)
	v_lshlrev_b32_e32 v13, 23, v13
	v_and_or_b32 v12, 0x8000, v12, v27
	s_delay_alu instid0(VALU_DEP_1)
	v_lshl_or_b32 v27, v12, 16, v13
.LBB240_63:                             ;   in Loop: Header=BB240_12 Depth=1
	s_or_b32 exec_lo, exec_lo, s44
.LBB240_64:                             ;   in Loop: Header=BB240_12 Depth=1
	s_delay_alu instid0(SALU_CYCLE_1)
	s_or_b32 exec_lo, exec_lo, s43
.LBB240_65:                             ;   in Loop: Header=BB240_12 Depth=1
	s_delay_alu instid0(SALU_CYCLE_1)
	s_or_b32 exec_lo, exec_lo, s42
	global_load_u16 v12, v[10:11], off offset:136
	v_dual_mov_b32 v29, 0 :: v_dual_mov_b32 v30, 0
	s_mov_b32 s42, exec_lo
	s_wait_loadcnt 0x0
	v_and_b32_e32 v13, 0xff, v12
	v_and_b32_e32 v12, 0xffff, v12
	s_delay_alu instid0(VALU_DEP_2)
	v_cmpx_ne_u16_e32 0, v13
	s_cbranch_execz .LBB240_73
; %bb.66:                               ;   in Loop: Header=BB240_12 Depth=1
	s_delay_alu instid0(VALU_DEP_2) | instskip(SKIP_2) | instid1(VALU_DEP_2)
	v_and_b32_e32 v13, 0xff, v12
	v_mov_b32_e32 v30, 0x8000
	s_mov_b32 s43, exec_lo
	v_cmpx_ne_u16_e32 0x80, v13
	s_cbranch_execz .LBB240_72
; %bb.67:                               ;   in Loop: Header=BB240_12 Depth=1
	v_and_b32_e32 v31, 0x7f, v12
	v_mov_b32_e32 v30, 0x7c01
	s_mov_b32 s44, exec_lo
	s_delay_alu instid0(VALU_DEP_2)
	v_cmpx_ne_u32_e32 0x7f, v31
	s_cbranch_execz .LBB240_71
; %bb.68:                               ;   in Loop: Header=BB240_12 Depth=1
	v_dual_lshrrev_b32 v30, 3, v31 :: v_dual_bitop2_b32 v13, 7, v12 bitop3:0x40
	s_mov_b32 s45, exec_lo
	v_cmpx_gt_u32_e32 8, v31
; %bb.69:                               ;   in Loop: Header=BB240_12 Depth=1
	s_delay_alu instid0(VALU_DEP_2) | instskip(NEXT) | instid1(VALU_DEP_1)
	v_clz_i32_u32_e32 v13, v13
	v_min_u32_e32 v13, 32, v13
	s_delay_alu instid0(VALU_DEP_1) | instskip(NEXT) | instid1(VALU_DEP_1)
	v_subrev_nc_u32_e32 v30, 28, v13
	v_lshlrev_b64_e32 v[32:33], v30, v[12:13]
	s_delay_alu instid0(VALU_DEP_1)
	v_dual_sub_nc_u32 v30, 29, v13 :: v_dual_bitop2_b32 v13, 7, v32 bitop3:0x40
; %bb.70:                               ;   in Loop: Header=BB240_12 Depth=1
	s_or_b32 exec_lo, exec_lo, s45
	s_delay_alu instid0(VALU_DEP_1) | instskip(NEXT) | instid1(VALU_DEP_2)
	v_dual_lshlrev_b32 v31, 8, v12 :: v_dual_lshlrev_b32 v13, 7, v13
	v_lshl_add_u32 v30, v30, 10, 0x2000
	s_delay_alu instid0(VALU_DEP_2) | instskip(NEXT) | instid1(VALU_DEP_2)
	v_and_b32_e32 v31, 0x8000, v31
	v_and_b32_e32 v30, 0xfc00, v30
	s_delay_alu instid0(VALU_DEP_1)
	v_or3_b32 v30, v31, v30, v13
.LBB240_71:                             ;   in Loop: Header=BB240_12 Depth=1
	s_or_b32 exec_lo, exec_lo, s44
.LBB240_72:                             ;   in Loop: Header=BB240_12 Depth=1
	s_delay_alu instid0(SALU_CYCLE_1)
	s_or_b32 exec_lo, exec_lo, s43
.LBB240_73:                             ;   in Loop: Header=BB240_12 Depth=1
	s_delay_alu instid0(SALU_CYCLE_1) | instskip(NEXT) | instid1(VALU_DEP_2)
	s_or_b32 exec_lo, exec_lo, s42
	v_lshrrev_b16 v12, 8, v12
	s_mov_b32 s42, exec_lo
	s_delay_alu instid0(VALU_DEP_1)
	v_cmpx_ne_u16_e32 0, v12
	s_cbranch_execz .LBB240_81
; %bb.74:                               ;   in Loop: Header=BB240_12 Depth=1
	v_bfrev_b32_e32 v29, 1
	s_mov_b32 s43, exec_lo
	v_cmpx_ne_u16_e32 0x80, v12
	s_cbranch_execz .LBB240_80
; %bb.75:                               ;   in Loop: Header=BB240_12 Depth=1
	v_and_b32_e32 v31, 0xffff, v12
	v_mov_b32_e32 v29, 0x7c010000
	s_mov_b32 s44, exec_lo
	s_delay_alu instid0(VALU_DEP_2) | instskip(NEXT) | instid1(VALU_DEP_1)
	v_and_b32_e32 v32, 0x7f, v31
	v_cmpx_ne_u32_e32 0x7f, v32
	s_cbranch_execz .LBB240_79
; %bb.76:                               ;   in Loop: Header=BB240_12 Depth=1
	v_dual_lshrrev_b32 v29, 3, v32 :: v_dual_bitop2_b32 v13, 7, v31 bitop3:0x40
	s_mov_b32 s45, exec_lo
	v_cmpx_gt_u32_e32 8, v32
	s_cbranch_execz .LBB240_78
; %bb.77:                               ;   in Loop: Header=BB240_12 Depth=1
	s_delay_alu instid0(VALU_DEP_2) | instskip(NEXT) | instid1(VALU_DEP_1)
	v_clz_i32_u32_e32 v13, v13
	v_min_u32_e32 v29, 32, v13
	v_mov_b32_e32 v13, v5
	s_delay_alu instid0(VALU_DEP_2) | instskip(SKIP_1) | instid1(VALU_DEP_2)
	v_subrev_nc_u32_e32 v32, 28, v29
	v_sub_nc_u32_e32 v29, 29, v29
	v_lshlrev_b64_e32 v[12:13], v32, v[12:13]
	s_delay_alu instid0(VALU_DEP_1)
	v_and_b32_e32 v13, 7, v12
.LBB240_78:                             ;   in Loop: Header=BB240_12 Depth=1
	s_or_b32 exec_lo, exec_lo, s45
	s_delay_alu instid0(VALU_DEP_1) | instskip(SKIP_1) | instid1(VALU_DEP_1)
	v_dual_lshlrev_b32 v12, 8, v31 :: v_dual_lshlrev_b32 v13, 23, v13
	v_lshl_add_u32 v29, v29, 10, 0x2000
	v_and_or_b32 v12, 0x8000, v12, v29
	s_delay_alu instid0(VALU_DEP_1)
	v_lshl_or_b32 v29, v12, 16, v13
.LBB240_79:                             ;   in Loop: Header=BB240_12 Depth=1
	s_or_b32 exec_lo, exec_lo, s44
.LBB240_80:                             ;   in Loop: Header=BB240_12 Depth=1
	s_delay_alu instid0(SALU_CYCLE_1)
	s_or_b32 exec_lo, exec_lo, s43
.LBB240_81:                             ;   in Loop: Header=BB240_12 Depth=1
	s_delay_alu instid0(SALU_CYCLE_1)
	s_or_b32 exec_lo, exec_lo, s42
	global_load_u16 v12, v[10:11], off offset:256
	v_dual_mov_b32 v31, 0 :: v_dual_mov_b32 v32, 0
	s_mov_b32 s42, exec_lo
	s_wait_loadcnt 0x0
	v_and_b32_e32 v13, 0xff, v12
	v_and_b32_e32 v12, 0xffff, v12
	s_delay_alu instid0(VALU_DEP_2)
	v_cmpx_ne_u16_e32 0, v13
	s_cbranch_execz .LBB240_89
; %bb.82:                               ;   in Loop: Header=BB240_12 Depth=1
	s_delay_alu instid0(VALU_DEP_2) | instskip(SKIP_2) | instid1(VALU_DEP_2)
	v_and_b32_e32 v13, 0xff, v12
	v_mov_b32_e32 v32, 0x8000
	s_mov_b32 s43, exec_lo
	v_cmpx_ne_u16_e32 0x80, v13
	s_cbranch_execz .LBB240_88
; %bb.83:                               ;   in Loop: Header=BB240_12 Depth=1
	v_and_b32_e32 v33, 0x7f, v12
	v_mov_b32_e32 v32, 0x7c01
	s_mov_b32 s44, exec_lo
	s_delay_alu instid0(VALU_DEP_2)
	v_cmpx_ne_u32_e32 0x7f, v33
	s_cbranch_execz .LBB240_87
; %bb.84:                               ;   in Loop: Header=BB240_12 Depth=1
	v_dual_lshrrev_b32 v32, 3, v33 :: v_dual_bitop2_b32 v13, 7, v12 bitop3:0x40
	s_mov_b32 s45, exec_lo
	v_cmpx_gt_u32_e32 8, v33
; %bb.85:                               ;   in Loop: Header=BB240_12 Depth=1
	s_delay_alu instid0(VALU_DEP_2) | instskip(NEXT) | instid1(VALU_DEP_1)
	v_clz_i32_u32_e32 v13, v13
	v_min_u32_e32 v13, 32, v13
	s_delay_alu instid0(VALU_DEP_1) | instskip(NEXT) | instid1(VALU_DEP_1)
	v_subrev_nc_u32_e32 v32, 28, v13
	v_lshlrev_b64_e32 v[34:35], v32, v[12:13]
	s_delay_alu instid0(VALU_DEP_1)
	v_dual_sub_nc_u32 v32, 29, v13 :: v_dual_bitop2_b32 v13, 7, v34 bitop3:0x40
; %bb.86:                               ;   in Loop: Header=BB240_12 Depth=1
	s_or_b32 exec_lo, exec_lo, s45
	s_delay_alu instid0(VALU_DEP_1) | instskip(NEXT) | instid1(VALU_DEP_2)
	v_dual_lshlrev_b32 v33, 8, v12 :: v_dual_lshlrev_b32 v13, 7, v13
	v_lshl_add_u32 v32, v32, 10, 0x2000
	s_delay_alu instid0(VALU_DEP_2) | instskip(NEXT) | instid1(VALU_DEP_2)
	v_and_b32_e32 v33, 0x8000, v33
	v_and_b32_e32 v32, 0xfc00, v32
	s_delay_alu instid0(VALU_DEP_1)
	v_or3_b32 v32, v33, v32, v13
.LBB240_87:                             ;   in Loop: Header=BB240_12 Depth=1
	s_or_b32 exec_lo, exec_lo, s44
.LBB240_88:                             ;   in Loop: Header=BB240_12 Depth=1
	s_delay_alu instid0(SALU_CYCLE_1)
	s_or_b32 exec_lo, exec_lo, s43
.LBB240_89:                             ;   in Loop: Header=BB240_12 Depth=1
	s_delay_alu instid0(SALU_CYCLE_1) | instskip(NEXT) | instid1(VALU_DEP_2)
	s_or_b32 exec_lo, exec_lo, s42
	v_lshrrev_b16 v12, 8, v12
	s_mov_b32 s42, exec_lo
	s_delay_alu instid0(VALU_DEP_1)
	v_cmpx_ne_u16_e32 0, v12
	s_cbranch_execz .LBB240_97
; %bb.90:                               ;   in Loop: Header=BB240_12 Depth=1
	v_bfrev_b32_e32 v31, 1
	s_mov_b32 s43, exec_lo
	v_cmpx_ne_u16_e32 0x80, v12
	s_cbranch_execz .LBB240_96
; %bb.91:                               ;   in Loop: Header=BB240_12 Depth=1
	v_and_b32_e32 v33, 0xffff, v12
	v_mov_b32_e32 v31, 0x7c010000
	s_mov_b32 s44, exec_lo
	s_delay_alu instid0(VALU_DEP_2) | instskip(NEXT) | instid1(VALU_DEP_1)
	v_and_b32_e32 v34, 0x7f, v33
	v_cmpx_ne_u32_e32 0x7f, v34
	s_cbranch_execz .LBB240_95
; %bb.92:                               ;   in Loop: Header=BB240_12 Depth=1
	v_dual_lshrrev_b32 v31, 3, v34 :: v_dual_bitop2_b32 v13, 7, v33 bitop3:0x40
	s_mov_b32 s45, exec_lo
	v_cmpx_gt_u32_e32 8, v34
	s_cbranch_execz .LBB240_94
; %bb.93:                               ;   in Loop: Header=BB240_12 Depth=1
	s_delay_alu instid0(VALU_DEP_2) | instskip(NEXT) | instid1(VALU_DEP_1)
	v_clz_i32_u32_e32 v13, v13
	v_min_u32_e32 v31, 32, v13
	v_mov_b32_e32 v13, v5
	s_delay_alu instid0(VALU_DEP_2) | instskip(SKIP_1) | instid1(VALU_DEP_2)
	v_subrev_nc_u32_e32 v34, 28, v31
	v_sub_nc_u32_e32 v31, 29, v31
	v_lshlrev_b64_e32 v[12:13], v34, v[12:13]
	s_delay_alu instid0(VALU_DEP_1)
	v_and_b32_e32 v13, 7, v12
.LBB240_94:                             ;   in Loop: Header=BB240_12 Depth=1
	s_or_b32 exec_lo, exec_lo, s45
	v_lshlrev_b32_e32 v12, 8, v33
	v_lshl_add_u32 v31, v31, 10, 0x2000
	s_delay_alu instid0(VALU_DEP_3) | instskip(NEXT) | instid1(VALU_DEP_2)
	v_lshlrev_b32_e32 v13, 23, v13
	v_and_or_b32 v12, 0x8000, v12, v31
	s_delay_alu instid0(VALU_DEP_1)
	v_lshl_or_b32 v31, v12, 16, v13
.LBB240_95:                             ;   in Loop: Header=BB240_12 Depth=1
	s_or_b32 exec_lo, exec_lo, s44
.LBB240_96:                             ;   in Loop: Header=BB240_12 Depth=1
	s_delay_alu instid0(SALU_CYCLE_1)
	s_or_b32 exec_lo, exec_lo, s43
.LBB240_97:                             ;   in Loop: Header=BB240_12 Depth=1
	s_delay_alu instid0(SALU_CYCLE_1)
	s_or_b32 exec_lo, exec_lo, s42
	global_load_u16 v12, v[10:11], off offset:264
	v_dual_mov_b32 v33, 0 :: v_dual_mov_b32 v34, 0
	s_mov_b32 s42, exec_lo
	s_wait_loadcnt 0x0
	v_and_b32_e32 v13, 0xff, v12
	v_and_b32_e32 v12, 0xffff, v12
	s_delay_alu instid0(VALU_DEP_2)
	v_cmpx_ne_u16_e32 0, v13
	s_cbranch_execz .LBB240_105
; %bb.98:                               ;   in Loop: Header=BB240_12 Depth=1
	s_delay_alu instid0(VALU_DEP_2) | instskip(SKIP_2) | instid1(VALU_DEP_2)
	v_and_b32_e32 v13, 0xff, v12
	v_mov_b32_e32 v34, 0x8000
	s_mov_b32 s43, exec_lo
	v_cmpx_ne_u16_e32 0x80, v13
	s_cbranch_execz .LBB240_104
; %bb.99:                               ;   in Loop: Header=BB240_12 Depth=1
	v_and_b32_e32 v35, 0x7f, v12
	v_mov_b32_e32 v34, 0x7c01
	s_mov_b32 s44, exec_lo
	s_delay_alu instid0(VALU_DEP_2)
	v_cmpx_ne_u32_e32 0x7f, v35
	s_cbranch_execz .LBB240_103
; %bb.100:                              ;   in Loop: Header=BB240_12 Depth=1
	v_dual_lshrrev_b32 v34, 3, v35 :: v_dual_bitop2_b32 v13, 7, v12 bitop3:0x40
	s_mov_b32 s45, exec_lo
	v_cmpx_gt_u32_e32 8, v35
; %bb.101:                              ;   in Loop: Header=BB240_12 Depth=1
	s_delay_alu instid0(VALU_DEP_2) | instskip(NEXT) | instid1(VALU_DEP_1)
	v_clz_i32_u32_e32 v13, v13
	v_min_u32_e32 v13, 32, v13
	s_delay_alu instid0(VALU_DEP_1) | instskip(NEXT) | instid1(VALU_DEP_1)
	v_subrev_nc_u32_e32 v34, 28, v13
	v_lshlrev_b64_e32 v[36:37], v34, v[12:13]
	s_delay_alu instid0(VALU_DEP_1)
	v_dual_sub_nc_u32 v34, 29, v13 :: v_dual_bitop2_b32 v13, 7, v36 bitop3:0x40
; %bb.102:                              ;   in Loop: Header=BB240_12 Depth=1
	s_or_b32 exec_lo, exec_lo, s45
	s_delay_alu instid0(VALU_DEP_1) | instskip(NEXT) | instid1(VALU_DEP_2)
	v_dual_lshlrev_b32 v35, 8, v12 :: v_dual_lshlrev_b32 v13, 7, v13
	v_lshl_add_u32 v34, v34, 10, 0x2000
	s_delay_alu instid0(VALU_DEP_2) | instskip(NEXT) | instid1(VALU_DEP_2)
	v_and_b32_e32 v35, 0x8000, v35
	v_and_b32_e32 v34, 0xfc00, v34
	s_delay_alu instid0(VALU_DEP_1)
	v_or3_b32 v34, v35, v34, v13
.LBB240_103:                            ;   in Loop: Header=BB240_12 Depth=1
	s_or_b32 exec_lo, exec_lo, s44
.LBB240_104:                            ;   in Loop: Header=BB240_12 Depth=1
	s_delay_alu instid0(SALU_CYCLE_1)
	s_or_b32 exec_lo, exec_lo, s43
.LBB240_105:                            ;   in Loop: Header=BB240_12 Depth=1
	s_delay_alu instid0(SALU_CYCLE_1) | instskip(NEXT) | instid1(VALU_DEP_2)
	s_or_b32 exec_lo, exec_lo, s42
	v_lshrrev_b16 v12, 8, v12
	s_mov_b32 s42, exec_lo
	s_delay_alu instid0(VALU_DEP_1)
	v_cmpx_ne_u16_e32 0, v12
	s_cbranch_execz .LBB240_113
; %bb.106:                              ;   in Loop: Header=BB240_12 Depth=1
	v_bfrev_b32_e32 v33, 1
	s_mov_b32 s43, exec_lo
	v_cmpx_ne_u16_e32 0x80, v12
	s_cbranch_execz .LBB240_112
; %bb.107:                              ;   in Loop: Header=BB240_12 Depth=1
	v_and_b32_e32 v35, 0xffff, v12
	v_mov_b32_e32 v33, 0x7c010000
	s_mov_b32 s44, exec_lo
	s_delay_alu instid0(VALU_DEP_2) | instskip(NEXT) | instid1(VALU_DEP_1)
	v_and_b32_e32 v36, 0x7f, v35
	v_cmpx_ne_u32_e32 0x7f, v36
	s_cbranch_execz .LBB240_111
; %bb.108:                              ;   in Loop: Header=BB240_12 Depth=1
	v_dual_lshrrev_b32 v33, 3, v36 :: v_dual_bitop2_b32 v13, 7, v35 bitop3:0x40
	s_mov_b32 s45, exec_lo
	v_cmpx_gt_u32_e32 8, v36
	s_cbranch_execz .LBB240_110
; %bb.109:                              ;   in Loop: Header=BB240_12 Depth=1
	s_delay_alu instid0(VALU_DEP_2) | instskip(NEXT) | instid1(VALU_DEP_1)
	v_clz_i32_u32_e32 v13, v13
	v_min_u32_e32 v33, 32, v13
	v_mov_b32_e32 v13, v5
	s_delay_alu instid0(VALU_DEP_2) | instskip(SKIP_1) | instid1(VALU_DEP_2)
	v_subrev_nc_u32_e32 v36, 28, v33
	v_sub_nc_u32_e32 v33, 29, v33
	v_lshlrev_b64_e32 v[12:13], v36, v[12:13]
	s_delay_alu instid0(VALU_DEP_1)
	v_and_b32_e32 v13, 7, v12
.LBB240_110:                            ;   in Loop: Header=BB240_12 Depth=1
	s_or_b32 exec_lo, exec_lo, s45
	s_delay_alu instid0(VALU_DEP_1) | instskip(SKIP_1) | instid1(VALU_DEP_1)
	v_dual_lshlrev_b32 v12, 8, v35 :: v_dual_lshlrev_b32 v13, 23, v13
	v_lshl_add_u32 v33, v33, 10, 0x2000
	v_and_or_b32 v12, 0x8000, v12, v33
	s_delay_alu instid0(VALU_DEP_1)
	v_lshl_or_b32 v33, v12, 16, v13
.LBB240_111:                            ;   in Loop: Header=BB240_12 Depth=1
	s_or_b32 exec_lo, exec_lo, s44
.LBB240_112:                            ;   in Loop: Header=BB240_12 Depth=1
	s_delay_alu instid0(SALU_CYCLE_1)
	s_or_b32 exec_lo, exec_lo, s43
.LBB240_113:                            ;   in Loop: Header=BB240_12 Depth=1
	s_delay_alu instid0(SALU_CYCLE_1)
	s_or_b32 exec_lo, exec_lo, s42
	global_load_u16 v12, v[10:11], off offset:384
	v_dual_mov_b32 v35, 0 :: v_dual_mov_b32 v36, 0
	s_mov_b32 s42, exec_lo
	s_wait_loadcnt 0x0
	v_and_b32_e32 v13, 0xff, v12
	v_and_b32_e32 v12, 0xffff, v12
	s_delay_alu instid0(VALU_DEP_2)
	v_cmpx_ne_u16_e32 0, v13
	s_cbranch_execz .LBB240_121
; %bb.114:                              ;   in Loop: Header=BB240_12 Depth=1
	s_delay_alu instid0(VALU_DEP_2) | instskip(SKIP_2) | instid1(VALU_DEP_2)
	v_and_b32_e32 v13, 0xff, v12
	v_mov_b32_e32 v36, 0x8000
	s_mov_b32 s43, exec_lo
	v_cmpx_ne_u16_e32 0x80, v13
	s_cbranch_execz .LBB240_120
; %bb.115:                              ;   in Loop: Header=BB240_12 Depth=1
	v_and_b32_e32 v37, 0x7f, v12
	v_mov_b32_e32 v36, 0x7c01
	s_mov_b32 s44, exec_lo
	s_delay_alu instid0(VALU_DEP_2)
	v_cmpx_ne_u32_e32 0x7f, v37
	s_cbranch_execz .LBB240_119
; %bb.116:                              ;   in Loop: Header=BB240_12 Depth=1
	v_dual_lshrrev_b32 v36, 3, v37 :: v_dual_bitop2_b32 v13, 7, v12 bitop3:0x40
	s_mov_b32 s45, exec_lo
	v_cmpx_gt_u32_e32 8, v37
; %bb.117:                              ;   in Loop: Header=BB240_12 Depth=1
	s_delay_alu instid0(VALU_DEP_2) | instskip(NEXT) | instid1(VALU_DEP_1)
	v_clz_i32_u32_e32 v13, v13
	v_min_u32_e32 v13, 32, v13
	s_delay_alu instid0(VALU_DEP_1) | instskip(NEXT) | instid1(VALU_DEP_1)
	v_subrev_nc_u32_e32 v36, 28, v13
	v_lshlrev_b64_e32 v[38:39], v36, v[12:13]
	s_delay_alu instid0(VALU_DEP_1)
	v_dual_sub_nc_u32 v36, 29, v13 :: v_dual_bitop2_b32 v13, 7, v38 bitop3:0x40
; %bb.118:                              ;   in Loop: Header=BB240_12 Depth=1
	s_or_b32 exec_lo, exec_lo, s45
	s_delay_alu instid0(VALU_DEP_1) | instskip(NEXT) | instid1(VALU_DEP_2)
	v_dual_lshlrev_b32 v37, 8, v12 :: v_dual_lshlrev_b32 v13, 7, v13
	v_lshl_add_u32 v36, v36, 10, 0x2000
	s_delay_alu instid0(VALU_DEP_2) | instskip(NEXT) | instid1(VALU_DEP_2)
	v_and_b32_e32 v37, 0x8000, v37
	v_and_b32_e32 v36, 0xfc00, v36
	s_delay_alu instid0(VALU_DEP_1)
	v_or3_b32 v36, v37, v36, v13
.LBB240_119:                            ;   in Loop: Header=BB240_12 Depth=1
	s_or_b32 exec_lo, exec_lo, s44
.LBB240_120:                            ;   in Loop: Header=BB240_12 Depth=1
	s_delay_alu instid0(SALU_CYCLE_1)
	s_or_b32 exec_lo, exec_lo, s43
.LBB240_121:                            ;   in Loop: Header=BB240_12 Depth=1
	s_delay_alu instid0(SALU_CYCLE_1) | instskip(NEXT) | instid1(VALU_DEP_2)
	s_or_b32 exec_lo, exec_lo, s42
	v_lshrrev_b16 v12, 8, v12
	s_mov_b32 s42, exec_lo
	s_delay_alu instid0(VALU_DEP_1)
	v_cmpx_ne_u16_e32 0, v12
	s_cbranch_execz .LBB240_129
; %bb.122:                              ;   in Loop: Header=BB240_12 Depth=1
	v_bfrev_b32_e32 v35, 1
	s_mov_b32 s43, exec_lo
	v_cmpx_ne_u16_e32 0x80, v12
	s_cbranch_execz .LBB240_128
; %bb.123:                              ;   in Loop: Header=BB240_12 Depth=1
	v_and_b32_e32 v37, 0xffff, v12
	v_mov_b32_e32 v35, 0x7c010000
	s_mov_b32 s44, exec_lo
	s_delay_alu instid0(VALU_DEP_2) | instskip(NEXT) | instid1(VALU_DEP_1)
	v_and_b32_e32 v38, 0x7f, v37
	v_cmpx_ne_u32_e32 0x7f, v38
	s_cbranch_execz .LBB240_127
; %bb.124:                              ;   in Loop: Header=BB240_12 Depth=1
	v_dual_lshrrev_b32 v35, 3, v38 :: v_dual_bitop2_b32 v13, 7, v37 bitop3:0x40
	s_mov_b32 s45, exec_lo
	v_cmpx_gt_u32_e32 8, v38
	s_cbranch_execz .LBB240_126
; %bb.125:                              ;   in Loop: Header=BB240_12 Depth=1
	s_delay_alu instid0(VALU_DEP_2) | instskip(NEXT) | instid1(VALU_DEP_1)
	v_clz_i32_u32_e32 v13, v13
	v_min_u32_e32 v35, 32, v13
	v_mov_b32_e32 v13, v5
	s_delay_alu instid0(VALU_DEP_2) | instskip(SKIP_1) | instid1(VALU_DEP_2)
	v_subrev_nc_u32_e32 v38, 28, v35
	v_sub_nc_u32_e32 v35, 29, v35
	v_lshlrev_b64_e32 v[12:13], v38, v[12:13]
	s_delay_alu instid0(VALU_DEP_1)
	v_and_b32_e32 v13, 7, v12
.LBB240_126:                            ;   in Loop: Header=BB240_12 Depth=1
	s_or_b32 exec_lo, exec_lo, s45
	v_lshlrev_b32_e32 v12, 8, v37
	v_lshl_add_u32 v35, v35, 10, 0x2000
	s_delay_alu instid0(VALU_DEP_3) | instskip(NEXT) | instid1(VALU_DEP_2)
	v_lshlrev_b32_e32 v13, 23, v13
	v_and_or_b32 v12, 0x8000, v12, v35
	s_delay_alu instid0(VALU_DEP_1)
	v_lshl_or_b32 v35, v12, 16, v13
.LBB240_127:                            ;   in Loop: Header=BB240_12 Depth=1
	s_or_b32 exec_lo, exec_lo, s44
.LBB240_128:                            ;   in Loop: Header=BB240_12 Depth=1
	s_delay_alu instid0(SALU_CYCLE_1)
	s_or_b32 exec_lo, exec_lo, s43
.LBB240_129:                            ;   in Loop: Header=BB240_12 Depth=1
	s_delay_alu instid0(SALU_CYCLE_1)
	s_or_b32 exec_lo, exec_lo, s42
	global_load_u16 v12, v[10:11], off offset:392
	v_dual_mov_b32 v37, 0 :: v_dual_mov_b32 v38, 0
	s_mov_b32 s42, exec_lo
	s_wait_loadcnt 0x0
	v_and_b32_e32 v13, 0xff, v12
	v_and_b32_e32 v12, 0xffff, v12
	s_delay_alu instid0(VALU_DEP_2)
	v_cmpx_ne_u16_e32 0, v13
	s_cbranch_execz .LBB240_137
; %bb.130:                              ;   in Loop: Header=BB240_12 Depth=1
	s_delay_alu instid0(VALU_DEP_2) | instskip(SKIP_2) | instid1(VALU_DEP_2)
	v_and_b32_e32 v13, 0xff, v12
	v_mov_b32_e32 v38, 0x8000
	s_mov_b32 s43, exec_lo
	v_cmpx_ne_u16_e32 0x80, v13
	s_cbranch_execz .LBB240_136
; %bb.131:                              ;   in Loop: Header=BB240_12 Depth=1
	v_and_b32_e32 v39, 0x7f, v12
	v_mov_b32_e32 v38, 0x7c01
	s_mov_b32 s44, exec_lo
	s_delay_alu instid0(VALU_DEP_2)
	v_cmpx_ne_u32_e32 0x7f, v39
	s_cbranch_execz .LBB240_135
; %bb.132:                              ;   in Loop: Header=BB240_12 Depth=1
	v_dual_lshrrev_b32 v38, 3, v39 :: v_dual_bitop2_b32 v13, 7, v12 bitop3:0x40
	s_mov_b32 s45, exec_lo
	v_cmpx_gt_u32_e32 8, v39
; %bb.133:                              ;   in Loop: Header=BB240_12 Depth=1
	s_delay_alu instid0(VALU_DEP_2) | instskip(NEXT) | instid1(VALU_DEP_1)
	v_clz_i32_u32_e32 v13, v13
	v_min_u32_e32 v13, 32, v13
	s_delay_alu instid0(VALU_DEP_1) | instskip(NEXT) | instid1(VALU_DEP_1)
	v_subrev_nc_u32_e32 v38, 28, v13
	v_lshlrev_b64_e32 v[40:41], v38, v[12:13]
	s_delay_alu instid0(VALU_DEP_1)
	v_dual_sub_nc_u32 v38, 29, v13 :: v_dual_bitop2_b32 v13, 7, v40 bitop3:0x40
; %bb.134:                              ;   in Loop: Header=BB240_12 Depth=1
	s_or_b32 exec_lo, exec_lo, s45
	s_delay_alu instid0(VALU_DEP_1) | instskip(NEXT) | instid1(VALU_DEP_2)
	v_dual_lshlrev_b32 v39, 8, v12 :: v_dual_lshlrev_b32 v13, 7, v13
	v_lshl_add_u32 v38, v38, 10, 0x2000
	s_delay_alu instid0(VALU_DEP_2) | instskip(NEXT) | instid1(VALU_DEP_2)
	v_and_b32_e32 v39, 0x8000, v39
	v_and_b32_e32 v38, 0xfc00, v38
	s_delay_alu instid0(VALU_DEP_1)
	v_or3_b32 v38, v39, v38, v13
.LBB240_135:                            ;   in Loop: Header=BB240_12 Depth=1
	s_or_b32 exec_lo, exec_lo, s44
.LBB240_136:                            ;   in Loop: Header=BB240_12 Depth=1
	s_delay_alu instid0(SALU_CYCLE_1)
	s_or_b32 exec_lo, exec_lo, s43
.LBB240_137:                            ;   in Loop: Header=BB240_12 Depth=1
	s_delay_alu instid0(SALU_CYCLE_1) | instskip(NEXT) | instid1(VALU_DEP_2)
	s_or_b32 exec_lo, exec_lo, s42
	v_lshrrev_b16 v12, 8, v12
	s_mov_b32 s42, exec_lo
	s_delay_alu instid0(VALU_DEP_1)
	v_cmpx_ne_u16_e32 0, v12
	s_cbranch_execz .LBB240_145
; %bb.138:                              ;   in Loop: Header=BB240_12 Depth=1
	v_bfrev_b32_e32 v37, 1
	s_mov_b32 s43, exec_lo
	v_cmpx_ne_u16_e32 0x80, v12
	s_cbranch_execz .LBB240_144
; %bb.139:                              ;   in Loop: Header=BB240_12 Depth=1
	v_and_b32_e32 v39, 0xffff, v12
	v_mov_b32_e32 v37, 0x7c010000
	s_mov_b32 s44, exec_lo
	s_delay_alu instid0(VALU_DEP_2) | instskip(NEXT) | instid1(VALU_DEP_1)
	v_and_b32_e32 v40, 0x7f, v39
	v_cmpx_ne_u32_e32 0x7f, v40
	s_cbranch_execz .LBB240_143
; %bb.140:                              ;   in Loop: Header=BB240_12 Depth=1
	v_dual_lshrrev_b32 v37, 3, v40 :: v_dual_bitop2_b32 v13, 7, v39 bitop3:0x40
	s_mov_b32 s45, exec_lo
	v_cmpx_gt_u32_e32 8, v40
	s_cbranch_execz .LBB240_142
; %bb.141:                              ;   in Loop: Header=BB240_12 Depth=1
	s_delay_alu instid0(VALU_DEP_2) | instskip(NEXT) | instid1(VALU_DEP_1)
	v_clz_i32_u32_e32 v13, v13
	v_min_u32_e32 v37, 32, v13
	v_mov_b32_e32 v13, v5
	s_delay_alu instid0(VALU_DEP_2) | instskip(SKIP_1) | instid1(VALU_DEP_2)
	v_subrev_nc_u32_e32 v40, 28, v37
	v_sub_nc_u32_e32 v37, 29, v37
	v_lshlrev_b64_e32 v[12:13], v40, v[12:13]
	s_delay_alu instid0(VALU_DEP_1)
	v_and_b32_e32 v13, 7, v12
.LBB240_142:                            ;   in Loop: Header=BB240_12 Depth=1
	s_or_b32 exec_lo, exec_lo, s45
	s_delay_alu instid0(VALU_DEP_1) | instskip(SKIP_1) | instid1(VALU_DEP_1)
	v_dual_lshlrev_b32 v12, 8, v39 :: v_dual_lshlrev_b32 v13, 23, v13
	v_lshl_add_u32 v37, v37, 10, 0x2000
	v_and_or_b32 v12, 0x8000, v12, v37
	s_delay_alu instid0(VALU_DEP_1)
	v_lshl_or_b32 v37, v12, 16, v13
.LBB240_143:                            ;   in Loop: Header=BB240_12 Depth=1
	s_or_b32 exec_lo, exec_lo, s44
.LBB240_144:                            ;   in Loop: Header=BB240_12 Depth=1
	s_delay_alu instid0(SALU_CYCLE_1)
	s_or_b32 exec_lo, exec_lo, s43
.LBB240_145:                            ;   in Loop: Header=BB240_12 Depth=1
	s_delay_alu instid0(SALU_CYCLE_1)
	s_or_b32 exec_lo, exec_lo, s42
	global_load_u16 v12, v[10:11], off offset:512
	v_dual_mov_b32 v39, 0 :: v_dual_mov_b32 v40, 0
	s_mov_b32 s42, exec_lo
	s_wait_loadcnt 0x0
	v_and_b32_e32 v13, 0xff, v12
	v_and_b32_e32 v12, 0xffff, v12
	s_delay_alu instid0(VALU_DEP_2)
	v_cmpx_ne_u16_e32 0, v13
	s_cbranch_execz .LBB240_153
; %bb.146:                              ;   in Loop: Header=BB240_12 Depth=1
	s_delay_alu instid0(VALU_DEP_2) | instskip(SKIP_2) | instid1(VALU_DEP_2)
	v_and_b32_e32 v13, 0xff, v12
	v_mov_b32_e32 v40, 0x8000
	s_mov_b32 s43, exec_lo
	v_cmpx_ne_u16_e32 0x80, v13
	s_cbranch_execz .LBB240_152
; %bb.147:                              ;   in Loop: Header=BB240_12 Depth=1
	v_and_b32_e32 v41, 0x7f, v12
	v_mov_b32_e32 v40, 0x7c01
	s_mov_b32 s44, exec_lo
	s_delay_alu instid0(VALU_DEP_2)
	v_cmpx_ne_u32_e32 0x7f, v41
	s_cbranch_execz .LBB240_151
; %bb.148:                              ;   in Loop: Header=BB240_12 Depth=1
	v_dual_lshrrev_b32 v40, 3, v41 :: v_dual_bitop2_b32 v13, 7, v12 bitop3:0x40
	s_mov_b32 s45, exec_lo
	v_cmpx_gt_u32_e32 8, v41
; %bb.149:                              ;   in Loop: Header=BB240_12 Depth=1
	s_delay_alu instid0(VALU_DEP_2) | instskip(NEXT) | instid1(VALU_DEP_1)
	v_clz_i32_u32_e32 v13, v13
	v_min_u32_e32 v13, 32, v13
	s_delay_alu instid0(VALU_DEP_1) | instskip(NEXT) | instid1(VALU_DEP_1)
	v_subrev_nc_u32_e32 v40, 28, v13
	v_lshlrev_b64_e32 v[42:43], v40, v[12:13]
	s_delay_alu instid0(VALU_DEP_1)
	v_dual_sub_nc_u32 v40, 29, v13 :: v_dual_bitop2_b32 v13, 7, v42 bitop3:0x40
; %bb.150:                              ;   in Loop: Header=BB240_12 Depth=1
	s_or_b32 exec_lo, exec_lo, s45
	s_delay_alu instid0(VALU_DEP_1) | instskip(NEXT) | instid1(VALU_DEP_2)
	v_dual_lshlrev_b32 v41, 8, v12 :: v_dual_lshlrev_b32 v13, 7, v13
	v_lshl_add_u32 v40, v40, 10, 0x2000
	s_delay_alu instid0(VALU_DEP_2) | instskip(NEXT) | instid1(VALU_DEP_2)
	v_and_b32_e32 v41, 0x8000, v41
	v_and_b32_e32 v40, 0xfc00, v40
	s_delay_alu instid0(VALU_DEP_1)
	v_or3_b32 v40, v41, v40, v13
.LBB240_151:                            ;   in Loop: Header=BB240_12 Depth=1
	s_or_b32 exec_lo, exec_lo, s44
.LBB240_152:                            ;   in Loop: Header=BB240_12 Depth=1
	s_delay_alu instid0(SALU_CYCLE_1)
	s_or_b32 exec_lo, exec_lo, s43
.LBB240_153:                            ;   in Loop: Header=BB240_12 Depth=1
	s_delay_alu instid0(SALU_CYCLE_1) | instskip(NEXT) | instid1(VALU_DEP_2)
	s_or_b32 exec_lo, exec_lo, s42
	v_lshrrev_b16 v12, 8, v12
	s_mov_b32 s42, exec_lo
	s_delay_alu instid0(VALU_DEP_1)
	v_cmpx_ne_u16_e32 0, v12
	s_cbranch_execz .LBB240_161
; %bb.154:                              ;   in Loop: Header=BB240_12 Depth=1
	v_bfrev_b32_e32 v39, 1
	s_mov_b32 s43, exec_lo
	v_cmpx_ne_u16_e32 0x80, v12
	s_cbranch_execz .LBB240_160
; %bb.155:                              ;   in Loop: Header=BB240_12 Depth=1
	v_and_b32_e32 v41, 0xffff, v12
	v_mov_b32_e32 v39, 0x7c010000
	s_mov_b32 s44, exec_lo
	s_delay_alu instid0(VALU_DEP_2) | instskip(NEXT) | instid1(VALU_DEP_1)
	v_and_b32_e32 v42, 0x7f, v41
	v_cmpx_ne_u32_e32 0x7f, v42
	s_cbranch_execz .LBB240_159
; %bb.156:                              ;   in Loop: Header=BB240_12 Depth=1
	v_dual_lshrrev_b32 v39, 3, v42 :: v_dual_bitop2_b32 v13, 7, v41 bitop3:0x40
	s_mov_b32 s45, exec_lo
	v_cmpx_gt_u32_e32 8, v42
	s_cbranch_execz .LBB240_158
; %bb.157:                              ;   in Loop: Header=BB240_12 Depth=1
	s_delay_alu instid0(VALU_DEP_2) | instskip(NEXT) | instid1(VALU_DEP_1)
	v_clz_i32_u32_e32 v13, v13
	v_min_u32_e32 v39, 32, v13
	v_mov_b32_e32 v13, v5
	s_delay_alu instid0(VALU_DEP_2) | instskip(SKIP_1) | instid1(VALU_DEP_2)
	v_subrev_nc_u32_e32 v42, 28, v39
	v_sub_nc_u32_e32 v39, 29, v39
	v_lshlrev_b64_e32 v[12:13], v42, v[12:13]
	s_delay_alu instid0(VALU_DEP_1)
	v_and_b32_e32 v13, 7, v12
.LBB240_158:                            ;   in Loop: Header=BB240_12 Depth=1
	s_or_b32 exec_lo, exec_lo, s45
	v_lshlrev_b32_e32 v12, 8, v41
	v_lshl_add_u32 v39, v39, 10, 0x2000
	s_delay_alu instid0(VALU_DEP_3) | instskip(NEXT) | instid1(VALU_DEP_2)
	v_lshlrev_b32_e32 v13, 23, v13
	v_and_or_b32 v12, 0x8000, v12, v39
	s_delay_alu instid0(VALU_DEP_1)
	v_lshl_or_b32 v39, v12, 16, v13
.LBB240_159:                            ;   in Loop: Header=BB240_12 Depth=1
	s_or_b32 exec_lo, exec_lo, s44
.LBB240_160:                            ;   in Loop: Header=BB240_12 Depth=1
	s_delay_alu instid0(SALU_CYCLE_1)
	s_or_b32 exec_lo, exec_lo, s43
.LBB240_161:                            ;   in Loop: Header=BB240_12 Depth=1
	s_delay_alu instid0(SALU_CYCLE_1)
	s_or_b32 exec_lo, exec_lo, s42
	global_load_u16 v12, v[10:11], off offset:520
	v_dual_mov_b32 v41, 0 :: v_dual_mov_b32 v42, 0
	s_mov_b32 s42, exec_lo
	s_wait_loadcnt 0x0
	v_and_b32_e32 v13, 0xff, v12
	v_and_b32_e32 v12, 0xffff, v12
	s_delay_alu instid0(VALU_DEP_2)
	v_cmpx_ne_u16_e32 0, v13
	s_cbranch_execz .LBB240_169
; %bb.162:                              ;   in Loop: Header=BB240_12 Depth=1
	s_delay_alu instid0(VALU_DEP_2) | instskip(SKIP_2) | instid1(VALU_DEP_2)
	v_and_b32_e32 v13, 0xff, v12
	v_mov_b32_e32 v42, 0x8000
	s_mov_b32 s43, exec_lo
	v_cmpx_ne_u16_e32 0x80, v13
	s_cbranch_execz .LBB240_168
; %bb.163:                              ;   in Loop: Header=BB240_12 Depth=1
	v_and_b32_e32 v43, 0x7f, v12
	v_mov_b32_e32 v42, 0x7c01
	s_mov_b32 s44, exec_lo
	s_delay_alu instid0(VALU_DEP_2)
	v_cmpx_ne_u32_e32 0x7f, v43
	s_cbranch_execz .LBB240_167
; %bb.164:                              ;   in Loop: Header=BB240_12 Depth=1
	v_dual_lshrrev_b32 v42, 3, v43 :: v_dual_bitop2_b32 v13, 7, v12 bitop3:0x40
	s_mov_b32 s45, exec_lo
	v_cmpx_gt_u32_e32 8, v43
; %bb.165:                              ;   in Loop: Header=BB240_12 Depth=1
	s_delay_alu instid0(VALU_DEP_2) | instskip(NEXT) | instid1(VALU_DEP_1)
	v_clz_i32_u32_e32 v13, v13
	v_min_u32_e32 v13, 32, v13
	s_delay_alu instid0(VALU_DEP_1) | instskip(NEXT) | instid1(VALU_DEP_1)
	v_subrev_nc_u32_e32 v42, 28, v13
	v_lshlrev_b64_e32 v[44:45], v42, v[12:13]
	s_delay_alu instid0(VALU_DEP_1)
	v_dual_sub_nc_u32 v42, 29, v13 :: v_dual_bitop2_b32 v13, 7, v44 bitop3:0x40
; %bb.166:                              ;   in Loop: Header=BB240_12 Depth=1
	s_or_b32 exec_lo, exec_lo, s45
	s_delay_alu instid0(VALU_DEP_1) | instskip(NEXT) | instid1(VALU_DEP_2)
	v_dual_lshlrev_b32 v43, 8, v12 :: v_dual_lshlrev_b32 v13, 7, v13
	v_lshl_add_u32 v42, v42, 10, 0x2000
	s_delay_alu instid0(VALU_DEP_2) | instskip(NEXT) | instid1(VALU_DEP_2)
	v_and_b32_e32 v43, 0x8000, v43
	v_and_b32_e32 v42, 0xfc00, v42
	s_delay_alu instid0(VALU_DEP_1)
	v_or3_b32 v42, v43, v42, v13
.LBB240_167:                            ;   in Loop: Header=BB240_12 Depth=1
	s_or_b32 exec_lo, exec_lo, s44
.LBB240_168:                            ;   in Loop: Header=BB240_12 Depth=1
	s_delay_alu instid0(SALU_CYCLE_1)
	s_or_b32 exec_lo, exec_lo, s43
.LBB240_169:                            ;   in Loop: Header=BB240_12 Depth=1
	s_delay_alu instid0(SALU_CYCLE_1) | instskip(NEXT) | instid1(VALU_DEP_2)
	s_or_b32 exec_lo, exec_lo, s42
	v_lshrrev_b16 v12, 8, v12
	s_mov_b32 s42, exec_lo
	s_delay_alu instid0(VALU_DEP_1)
	v_cmpx_ne_u16_e32 0, v12
	s_cbranch_execz .LBB240_177
; %bb.170:                              ;   in Loop: Header=BB240_12 Depth=1
	v_bfrev_b32_e32 v41, 1
	s_mov_b32 s43, exec_lo
	v_cmpx_ne_u16_e32 0x80, v12
	s_cbranch_execz .LBB240_176
; %bb.171:                              ;   in Loop: Header=BB240_12 Depth=1
	v_and_b32_e32 v43, 0xffff, v12
	v_mov_b32_e32 v41, 0x7c010000
	s_mov_b32 s44, exec_lo
	s_delay_alu instid0(VALU_DEP_2) | instskip(NEXT) | instid1(VALU_DEP_1)
	v_and_b32_e32 v44, 0x7f, v43
	v_cmpx_ne_u32_e32 0x7f, v44
	s_cbranch_execz .LBB240_175
; %bb.172:                              ;   in Loop: Header=BB240_12 Depth=1
	v_dual_lshrrev_b32 v41, 3, v44 :: v_dual_bitop2_b32 v13, 7, v43 bitop3:0x40
	s_mov_b32 s45, exec_lo
	v_cmpx_gt_u32_e32 8, v44
	s_cbranch_execz .LBB240_174
; %bb.173:                              ;   in Loop: Header=BB240_12 Depth=1
	s_delay_alu instid0(VALU_DEP_2) | instskip(NEXT) | instid1(VALU_DEP_1)
	v_clz_i32_u32_e32 v13, v13
	v_min_u32_e32 v41, 32, v13
	v_mov_b32_e32 v13, v5
	s_delay_alu instid0(VALU_DEP_2) | instskip(SKIP_1) | instid1(VALU_DEP_2)
	v_subrev_nc_u32_e32 v44, 28, v41
	v_sub_nc_u32_e32 v41, 29, v41
	v_lshlrev_b64_e32 v[12:13], v44, v[12:13]
	s_delay_alu instid0(VALU_DEP_1)
	v_and_b32_e32 v13, 7, v12
.LBB240_174:                            ;   in Loop: Header=BB240_12 Depth=1
	s_or_b32 exec_lo, exec_lo, s45
	s_delay_alu instid0(VALU_DEP_1) | instskip(SKIP_1) | instid1(VALU_DEP_1)
	v_dual_lshlrev_b32 v12, 8, v43 :: v_dual_lshlrev_b32 v13, 23, v13
	v_lshl_add_u32 v41, v41, 10, 0x2000
	v_and_or_b32 v12, 0x8000, v12, v41
	s_delay_alu instid0(VALU_DEP_1)
	v_lshl_or_b32 v41, v12, 16, v13
.LBB240_175:                            ;   in Loop: Header=BB240_12 Depth=1
	s_or_b32 exec_lo, exec_lo, s44
.LBB240_176:                            ;   in Loop: Header=BB240_12 Depth=1
	s_delay_alu instid0(SALU_CYCLE_1)
	s_or_b32 exec_lo, exec_lo, s43
.LBB240_177:                            ;   in Loop: Header=BB240_12 Depth=1
	s_delay_alu instid0(SALU_CYCLE_1)
	s_or_b32 exec_lo, exec_lo, s42
	global_load_u16 v12, v[10:11], off offset:640
	v_dual_mov_b32 v43, 0 :: v_dual_mov_b32 v44, 0
	s_mov_b32 s42, exec_lo
	s_wait_loadcnt 0x0
	v_and_b32_e32 v13, 0xff, v12
	v_and_b32_e32 v12, 0xffff, v12
	s_delay_alu instid0(VALU_DEP_2)
	v_cmpx_ne_u16_e32 0, v13
	s_cbranch_execz .LBB240_185
; %bb.178:                              ;   in Loop: Header=BB240_12 Depth=1
	s_delay_alu instid0(VALU_DEP_2) | instskip(SKIP_2) | instid1(VALU_DEP_2)
	v_and_b32_e32 v13, 0xff, v12
	v_mov_b32_e32 v44, 0x8000
	s_mov_b32 s43, exec_lo
	v_cmpx_ne_u16_e32 0x80, v13
	s_cbranch_execz .LBB240_184
; %bb.179:                              ;   in Loop: Header=BB240_12 Depth=1
	v_and_b32_e32 v45, 0x7f, v12
	v_mov_b32_e32 v44, 0x7c01
	s_mov_b32 s44, exec_lo
	s_delay_alu instid0(VALU_DEP_2)
	v_cmpx_ne_u32_e32 0x7f, v45
	s_cbranch_execz .LBB240_183
; %bb.180:                              ;   in Loop: Header=BB240_12 Depth=1
	v_dual_lshrrev_b32 v44, 3, v45 :: v_dual_bitop2_b32 v13, 7, v12 bitop3:0x40
	s_mov_b32 s45, exec_lo
	v_cmpx_gt_u32_e32 8, v45
; %bb.181:                              ;   in Loop: Header=BB240_12 Depth=1
	s_delay_alu instid0(VALU_DEP_2) | instskip(NEXT) | instid1(VALU_DEP_1)
	v_clz_i32_u32_e32 v13, v13
	v_min_u32_e32 v13, 32, v13
	s_delay_alu instid0(VALU_DEP_1) | instskip(NEXT) | instid1(VALU_DEP_1)
	v_subrev_nc_u32_e32 v44, 28, v13
	v_lshlrev_b64_e32 v[46:47], v44, v[12:13]
	s_delay_alu instid0(VALU_DEP_1)
	v_dual_sub_nc_u32 v44, 29, v13 :: v_dual_bitop2_b32 v13, 7, v46 bitop3:0x40
; %bb.182:                              ;   in Loop: Header=BB240_12 Depth=1
	s_or_b32 exec_lo, exec_lo, s45
	s_delay_alu instid0(VALU_DEP_1) | instskip(NEXT) | instid1(VALU_DEP_2)
	v_dual_lshlrev_b32 v45, 8, v12 :: v_dual_lshlrev_b32 v13, 7, v13
	v_lshl_add_u32 v44, v44, 10, 0x2000
	s_delay_alu instid0(VALU_DEP_2) | instskip(NEXT) | instid1(VALU_DEP_2)
	v_and_b32_e32 v45, 0x8000, v45
	v_and_b32_e32 v44, 0xfc00, v44
	s_delay_alu instid0(VALU_DEP_1)
	v_or3_b32 v44, v45, v44, v13
.LBB240_183:                            ;   in Loop: Header=BB240_12 Depth=1
	s_or_b32 exec_lo, exec_lo, s44
.LBB240_184:                            ;   in Loop: Header=BB240_12 Depth=1
	s_delay_alu instid0(SALU_CYCLE_1)
	s_or_b32 exec_lo, exec_lo, s43
.LBB240_185:                            ;   in Loop: Header=BB240_12 Depth=1
	s_delay_alu instid0(SALU_CYCLE_1) | instskip(NEXT) | instid1(VALU_DEP_2)
	s_or_b32 exec_lo, exec_lo, s42
	v_lshrrev_b16 v12, 8, v12
	s_mov_b32 s42, exec_lo
	s_delay_alu instid0(VALU_DEP_1)
	v_cmpx_ne_u16_e32 0, v12
	s_cbranch_execz .LBB240_193
; %bb.186:                              ;   in Loop: Header=BB240_12 Depth=1
	v_bfrev_b32_e32 v43, 1
	s_mov_b32 s43, exec_lo
	v_cmpx_ne_u16_e32 0x80, v12
	s_cbranch_execz .LBB240_192
; %bb.187:                              ;   in Loop: Header=BB240_12 Depth=1
	v_and_b32_e32 v45, 0xffff, v12
	v_mov_b32_e32 v43, 0x7c010000
	s_mov_b32 s44, exec_lo
	s_delay_alu instid0(VALU_DEP_2) | instskip(NEXT) | instid1(VALU_DEP_1)
	v_and_b32_e32 v46, 0x7f, v45
	v_cmpx_ne_u32_e32 0x7f, v46
	s_cbranch_execz .LBB240_191
; %bb.188:                              ;   in Loop: Header=BB240_12 Depth=1
	v_dual_lshrrev_b32 v43, 3, v46 :: v_dual_bitop2_b32 v13, 7, v45 bitop3:0x40
	s_mov_b32 s45, exec_lo
	v_cmpx_gt_u32_e32 8, v46
	s_cbranch_execz .LBB240_190
; %bb.189:                              ;   in Loop: Header=BB240_12 Depth=1
	s_delay_alu instid0(VALU_DEP_2) | instskip(NEXT) | instid1(VALU_DEP_1)
	v_clz_i32_u32_e32 v13, v13
	v_min_u32_e32 v43, 32, v13
	v_mov_b32_e32 v13, v5
	s_delay_alu instid0(VALU_DEP_2) | instskip(SKIP_1) | instid1(VALU_DEP_2)
	v_subrev_nc_u32_e32 v46, 28, v43
	v_sub_nc_u32_e32 v43, 29, v43
	v_lshlrev_b64_e32 v[12:13], v46, v[12:13]
	s_delay_alu instid0(VALU_DEP_1)
	v_and_b32_e32 v13, 7, v12
.LBB240_190:                            ;   in Loop: Header=BB240_12 Depth=1
	s_or_b32 exec_lo, exec_lo, s45
	v_lshlrev_b32_e32 v12, 8, v45
	v_lshl_add_u32 v43, v43, 10, 0x2000
	s_delay_alu instid0(VALU_DEP_3) | instskip(NEXT) | instid1(VALU_DEP_2)
	v_lshlrev_b32_e32 v13, 23, v13
	v_and_or_b32 v12, 0x8000, v12, v43
	s_delay_alu instid0(VALU_DEP_1)
	v_lshl_or_b32 v43, v12, 16, v13
.LBB240_191:                            ;   in Loop: Header=BB240_12 Depth=1
	s_or_b32 exec_lo, exec_lo, s44
.LBB240_192:                            ;   in Loop: Header=BB240_12 Depth=1
	s_delay_alu instid0(SALU_CYCLE_1)
	s_or_b32 exec_lo, exec_lo, s43
.LBB240_193:                            ;   in Loop: Header=BB240_12 Depth=1
	s_delay_alu instid0(SALU_CYCLE_1)
	s_or_b32 exec_lo, exec_lo, s42
	global_load_u16 v12, v[10:11], off offset:648
	v_dual_mov_b32 v45, 0 :: v_dual_mov_b32 v46, 0
	s_mov_b32 s42, exec_lo
	s_wait_loadcnt 0x0
	v_and_b32_e32 v13, 0xff, v12
	v_and_b32_e32 v12, 0xffff, v12
	s_delay_alu instid0(VALU_DEP_2)
	v_cmpx_ne_u16_e32 0, v13
	s_cbranch_execz .LBB240_201
; %bb.194:                              ;   in Loop: Header=BB240_12 Depth=1
	s_delay_alu instid0(VALU_DEP_2) | instskip(SKIP_2) | instid1(VALU_DEP_2)
	v_and_b32_e32 v13, 0xff, v12
	v_mov_b32_e32 v46, 0x8000
	s_mov_b32 s43, exec_lo
	v_cmpx_ne_u16_e32 0x80, v13
	s_cbranch_execz .LBB240_200
; %bb.195:                              ;   in Loop: Header=BB240_12 Depth=1
	v_and_b32_e32 v47, 0x7f, v12
	v_mov_b32_e32 v46, 0x7c01
	s_mov_b32 s44, exec_lo
	s_delay_alu instid0(VALU_DEP_2)
	v_cmpx_ne_u32_e32 0x7f, v47
	s_cbranch_execz .LBB240_199
; %bb.196:                              ;   in Loop: Header=BB240_12 Depth=1
	v_dual_lshrrev_b32 v46, 3, v47 :: v_dual_bitop2_b32 v13, 7, v12 bitop3:0x40
	s_mov_b32 s45, exec_lo
	v_cmpx_gt_u32_e32 8, v47
; %bb.197:                              ;   in Loop: Header=BB240_12 Depth=1
	s_delay_alu instid0(VALU_DEP_2) | instskip(NEXT) | instid1(VALU_DEP_1)
	v_clz_i32_u32_e32 v13, v13
	v_min_u32_e32 v13, 32, v13
	s_delay_alu instid0(VALU_DEP_1) | instskip(NEXT) | instid1(VALU_DEP_1)
	v_subrev_nc_u32_e32 v46, 28, v13
	v_lshlrev_b64_e32 v[48:49], v46, v[12:13]
	s_delay_alu instid0(VALU_DEP_1)
	v_dual_sub_nc_u32 v46, 29, v13 :: v_dual_bitop2_b32 v13, 7, v48 bitop3:0x40
; %bb.198:                              ;   in Loop: Header=BB240_12 Depth=1
	s_or_b32 exec_lo, exec_lo, s45
	s_delay_alu instid0(VALU_DEP_1) | instskip(NEXT) | instid1(VALU_DEP_2)
	v_dual_lshlrev_b32 v47, 8, v12 :: v_dual_lshlrev_b32 v13, 7, v13
	v_lshl_add_u32 v46, v46, 10, 0x2000
	s_delay_alu instid0(VALU_DEP_2) | instskip(NEXT) | instid1(VALU_DEP_2)
	v_and_b32_e32 v47, 0x8000, v47
	v_and_b32_e32 v46, 0xfc00, v46
	s_delay_alu instid0(VALU_DEP_1)
	v_or3_b32 v46, v47, v46, v13
.LBB240_199:                            ;   in Loop: Header=BB240_12 Depth=1
	s_or_b32 exec_lo, exec_lo, s44
.LBB240_200:                            ;   in Loop: Header=BB240_12 Depth=1
	s_delay_alu instid0(SALU_CYCLE_1)
	s_or_b32 exec_lo, exec_lo, s43
.LBB240_201:                            ;   in Loop: Header=BB240_12 Depth=1
	s_delay_alu instid0(SALU_CYCLE_1) | instskip(NEXT) | instid1(VALU_DEP_2)
	s_or_b32 exec_lo, exec_lo, s42
	v_lshrrev_b16 v12, 8, v12
	s_mov_b32 s42, exec_lo
	s_delay_alu instid0(VALU_DEP_1)
	v_cmpx_ne_u16_e32 0, v12
	s_cbranch_execz .LBB240_209
; %bb.202:                              ;   in Loop: Header=BB240_12 Depth=1
	v_bfrev_b32_e32 v45, 1
	s_mov_b32 s43, exec_lo
	v_cmpx_ne_u16_e32 0x80, v12
	s_cbranch_execz .LBB240_208
; %bb.203:                              ;   in Loop: Header=BB240_12 Depth=1
	v_and_b32_e32 v47, 0xffff, v12
	v_mov_b32_e32 v45, 0x7c010000
	s_mov_b32 s44, exec_lo
	s_delay_alu instid0(VALU_DEP_2) | instskip(NEXT) | instid1(VALU_DEP_1)
	v_and_b32_e32 v48, 0x7f, v47
	v_cmpx_ne_u32_e32 0x7f, v48
	s_cbranch_execz .LBB240_207
; %bb.204:                              ;   in Loop: Header=BB240_12 Depth=1
	v_dual_lshrrev_b32 v45, 3, v48 :: v_dual_bitop2_b32 v13, 7, v47 bitop3:0x40
	s_mov_b32 s45, exec_lo
	v_cmpx_gt_u32_e32 8, v48
	s_cbranch_execz .LBB240_206
; %bb.205:                              ;   in Loop: Header=BB240_12 Depth=1
	s_delay_alu instid0(VALU_DEP_2) | instskip(NEXT) | instid1(VALU_DEP_1)
	v_clz_i32_u32_e32 v13, v13
	v_min_u32_e32 v45, 32, v13
	v_mov_b32_e32 v13, v5
	s_delay_alu instid0(VALU_DEP_2) | instskip(SKIP_1) | instid1(VALU_DEP_2)
	v_subrev_nc_u32_e32 v48, 28, v45
	v_sub_nc_u32_e32 v45, 29, v45
	v_lshlrev_b64_e32 v[12:13], v48, v[12:13]
	s_delay_alu instid0(VALU_DEP_1)
	v_and_b32_e32 v13, 7, v12
.LBB240_206:                            ;   in Loop: Header=BB240_12 Depth=1
	s_or_b32 exec_lo, exec_lo, s45
	s_delay_alu instid0(VALU_DEP_1) | instskip(SKIP_1) | instid1(VALU_DEP_1)
	v_dual_lshlrev_b32 v12, 8, v47 :: v_dual_lshlrev_b32 v13, 23, v13
	v_lshl_add_u32 v45, v45, 10, 0x2000
	v_and_or_b32 v12, 0x8000, v12, v45
	s_delay_alu instid0(VALU_DEP_1)
	v_lshl_or_b32 v45, v12, 16, v13
.LBB240_207:                            ;   in Loop: Header=BB240_12 Depth=1
	s_or_b32 exec_lo, exec_lo, s44
.LBB240_208:                            ;   in Loop: Header=BB240_12 Depth=1
	s_delay_alu instid0(SALU_CYCLE_1)
	s_or_b32 exec_lo, exec_lo, s43
.LBB240_209:                            ;   in Loop: Header=BB240_12 Depth=1
	s_delay_alu instid0(SALU_CYCLE_1)
	s_or_b32 exec_lo, exec_lo, s42
	global_load_u16 v12, v[10:11], off offset:768
	v_dual_mov_b32 v47, 0 :: v_dual_mov_b32 v48, 0
	s_mov_b32 s42, exec_lo
	s_wait_loadcnt 0x0
	v_and_b32_e32 v13, 0xff, v12
	v_and_b32_e32 v12, 0xffff, v12
	s_delay_alu instid0(VALU_DEP_2)
	v_cmpx_ne_u16_e32 0, v13
	s_cbranch_execz .LBB240_217
; %bb.210:                              ;   in Loop: Header=BB240_12 Depth=1
	s_delay_alu instid0(VALU_DEP_2) | instskip(SKIP_2) | instid1(VALU_DEP_2)
	v_and_b32_e32 v13, 0xff, v12
	v_mov_b32_e32 v48, 0x8000
	s_mov_b32 s43, exec_lo
	v_cmpx_ne_u16_e32 0x80, v13
	s_cbranch_execz .LBB240_216
; %bb.211:                              ;   in Loop: Header=BB240_12 Depth=1
	v_and_b32_e32 v49, 0x7f, v12
	v_mov_b32_e32 v48, 0x7c01
	s_mov_b32 s44, exec_lo
	s_delay_alu instid0(VALU_DEP_2)
	v_cmpx_ne_u32_e32 0x7f, v49
	s_cbranch_execz .LBB240_215
; %bb.212:                              ;   in Loop: Header=BB240_12 Depth=1
	v_dual_lshrrev_b32 v48, 3, v49 :: v_dual_bitop2_b32 v13, 7, v12 bitop3:0x40
	s_mov_b32 s45, exec_lo
	v_cmpx_gt_u32_e32 8, v49
; %bb.213:                              ;   in Loop: Header=BB240_12 Depth=1
	s_delay_alu instid0(VALU_DEP_2) | instskip(NEXT) | instid1(VALU_DEP_1)
	v_clz_i32_u32_e32 v13, v13
	v_min_u32_e32 v13, 32, v13
	s_delay_alu instid0(VALU_DEP_1) | instskip(NEXT) | instid1(VALU_DEP_1)
	v_subrev_nc_u32_e32 v48, 28, v13
	v_lshlrev_b64_e32 v[50:51], v48, v[12:13]
	s_delay_alu instid0(VALU_DEP_1)
	v_dual_sub_nc_u32 v48, 29, v13 :: v_dual_bitop2_b32 v13, 7, v50 bitop3:0x40
; %bb.214:                              ;   in Loop: Header=BB240_12 Depth=1
	s_or_b32 exec_lo, exec_lo, s45
	s_delay_alu instid0(VALU_DEP_1) | instskip(NEXT) | instid1(VALU_DEP_2)
	v_dual_lshlrev_b32 v49, 8, v12 :: v_dual_lshlrev_b32 v13, 7, v13
	v_lshl_add_u32 v48, v48, 10, 0x2000
	s_delay_alu instid0(VALU_DEP_2) | instskip(NEXT) | instid1(VALU_DEP_2)
	v_and_b32_e32 v49, 0x8000, v49
	v_and_b32_e32 v48, 0xfc00, v48
	s_delay_alu instid0(VALU_DEP_1)
	v_or3_b32 v48, v49, v48, v13
.LBB240_215:                            ;   in Loop: Header=BB240_12 Depth=1
	s_or_b32 exec_lo, exec_lo, s44
.LBB240_216:                            ;   in Loop: Header=BB240_12 Depth=1
	s_delay_alu instid0(SALU_CYCLE_1)
	s_or_b32 exec_lo, exec_lo, s43
.LBB240_217:                            ;   in Loop: Header=BB240_12 Depth=1
	s_delay_alu instid0(SALU_CYCLE_1) | instskip(NEXT) | instid1(VALU_DEP_2)
	s_or_b32 exec_lo, exec_lo, s42
	v_lshrrev_b16 v12, 8, v12
	s_mov_b32 s42, exec_lo
	s_delay_alu instid0(VALU_DEP_1)
	v_cmpx_ne_u16_e32 0, v12
	s_cbranch_execz .LBB240_225
; %bb.218:                              ;   in Loop: Header=BB240_12 Depth=1
	v_bfrev_b32_e32 v47, 1
	s_mov_b32 s43, exec_lo
	v_cmpx_ne_u16_e32 0x80, v12
	s_cbranch_execz .LBB240_224
; %bb.219:                              ;   in Loop: Header=BB240_12 Depth=1
	v_and_b32_e32 v49, 0xffff, v12
	v_mov_b32_e32 v47, 0x7c010000
	s_mov_b32 s44, exec_lo
	s_delay_alu instid0(VALU_DEP_2) | instskip(NEXT) | instid1(VALU_DEP_1)
	v_and_b32_e32 v50, 0x7f, v49
	v_cmpx_ne_u32_e32 0x7f, v50
	s_cbranch_execz .LBB240_223
; %bb.220:                              ;   in Loop: Header=BB240_12 Depth=1
	v_dual_lshrrev_b32 v47, 3, v50 :: v_dual_bitop2_b32 v13, 7, v49 bitop3:0x40
	s_mov_b32 s45, exec_lo
	v_cmpx_gt_u32_e32 8, v50
	s_cbranch_execz .LBB240_222
; %bb.221:                              ;   in Loop: Header=BB240_12 Depth=1
	s_delay_alu instid0(VALU_DEP_2) | instskip(NEXT) | instid1(VALU_DEP_1)
	v_clz_i32_u32_e32 v13, v13
	v_min_u32_e32 v47, 32, v13
	v_mov_b32_e32 v13, v5
	s_delay_alu instid0(VALU_DEP_2) | instskip(SKIP_1) | instid1(VALU_DEP_2)
	v_subrev_nc_u32_e32 v50, 28, v47
	v_sub_nc_u32_e32 v47, 29, v47
	v_lshlrev_b64_e32 v[12:13], v50, v[12:13]
	s_delay_alu instid0(VALU_DEP_1)
	v_and_b32_e32 v13, 7, v12
.LBB240_222:                            ;   in Loop: Header=BB240_12 Depth=1
	s_or_b32 exec_lo, exec_lo, s45
	v_lshlrev_b32_e32 v12, 8, v49
	v_lshl_add_u32 v47, v47, 10, 0x2000
	s_delay_alu instid0(VALU_DEP_3) | instskip(NEXT) | instid1(VALU_DEP_2)
	v_lshlrev_b32_e32 v13, 23, v13
	v_and_or_b32 v12, 0x8000, v12, v47
	s_delay_alu instid0(VALU_DEP_1)
	v_lshl_or_b32 v47, v12, 16, v13
.LBB240_223:                            ;   in Loop: Header=BB240_12 Depth=1
	s_or_b32 exec_lo, exec_lo, s44
.LBB240_224:                            ;   in Loop: Header=BB240_12 Depth=1
	s_delay_alu instid0(SALU_CYCLE_1)
	s_or_b32 exec_lo, exec_lo, s43
.LBB240_225:                            ;   in Loop: Header=BB240_12 Depth=1
	s_delay_alu instid0(SALU_CYCLE_1)
	s_or_b32 exec_lo, exec_lo, s42
	global_load_u16 v12, v[10:11], off offset:776
	v_dual_mov_b32 v49, 0 :: v_dual_mov_b32 v50, 0
	s_mov_b32 s42, exec_lo
	s_wait_loadcnt 0x0
	v_and_b32_e32 v13, 0xff, v12
	v_and_b32_e32 v12, 0xffff, v12
	s_delay_alu instid0(VALU_DEP_2)
	v_cmpx_ne_u16_e32 0, v13
	s_cbranch_execz .LBB240_233
; %bb.226:                              ;   in Loop: Header=BB240_12 Depth=1
	s_delay_alu instid0(VALU_DEP_2) | instskip(SKIP_2) | instid1(VALU_DEP_2)
	v_and_b32_e32 v13, 0xff, v12
	v_mov_b32_e32 v50, 0x8000
	s_mov_b32 s43, exec_lo
	v_cmpx_ne_u16_e32 0x80, v13
	s_cbranch_execz .LBB240_232
; %bb.227:                              ;   in Loop: Header=BB240_12 Depth=1
	v_and_b32_e32 v51, 0x7f, v12
	v_mov_b32_e32 v50, 0x7c01
	s_mov_b32 s44, exec_lo
	s_delay_alu instid0(VALU_DEP_2)
	v_cmpx_ne_u32_e32 0x7f, v51
	s_cbranch_execz .LBB240_231
; %bb.228:                              ;   in Loop: Header=BB240_12 Depth=1
	v_dual_lshrrev_b32 v50, 3, v51 :: v_dual_bitop2_b32 v13, 7, v12 bitop3:0x40
	s_mov_b32 s45, exec_lo
	v_cmpx_gt_u32_e32 8, v51
; %bb.229:                              ;   in Loop: Header=BB240_12 Depth=1
	s_delay_alu instid0(VALU_DEP_2) | instskip(NEXT) | instid1(VALU_DEP_1)
	v_clz_i32_u32_e32 v13, v13
	v_min_u32_e32 v13, 32, v13
	s_delay_alu instid0(VALU_DEP_1) | instskip(NEXT) | instid1(VALU_DEP_1)
	v_subrev_nc_u32_e32 v50, 28, v13
	v_lshlrev_b64_e32 v[52:53], v50, v[12:13]
	s_delay_alu instid0(VALU_DEP_1)
	v_dual_sub_nc_u32 v50, 29, v13 :: v_dual_bitop2_b32 v13, 7, v52 bitop3:0x40
; %bb.230:                              ;   in Loop: Header=BB240_12 Depth=1
	s_or_b32 exec_lo, exec_lo, s45
	s_delay_alu instid0(VALU_DEP_1) | instskip(NEXT) | instid1(VALU_DEP_2)
	v_dual_lshlrev_b32 v51, 8, v12 :: v_dual_lshlrev_b32 v13, 7, v13
	v_lshl_add_u32 v50, v50, 10, 0x2000
	s_delay_alu instid0(VALU_DEP_2) | instskip(NEXT) | instid1(VALU_DEP_2)
	v_and_b32_e32 v51, 0x8000, v51
	v_and_b32_e32 v50, 0xfc00, v50
	s_delay_alu instid0(VALU_DEP_1)
	v_or3_b32 v50, v51, v50, v13
.LBB240_231:                            ;   in Loop: Header=BB240_12 Depth=1
	s_or_b32 exec_lo, exec_lo, s44
.LBB240_232:                            ;   in Loop: Header=BB240_12 Depth=1
	s_delay_alu instid0(SALU_CYCLE_1)
	s_or_b32 exec_lo, exec_lo, s43
.LBB240_233:                            ;   in Loop: Header=BB240_12 Depth=1
	s_delay_alu instid0(SALU_CYCLE_1) | instskip(NEXT) | instid1(VALU_DEP_2)
	s_or_b32 exec_lo, exec_lo, s42
	v_lshrrev_b16 v12, 8, v12
	s_mov_b32 s42, exec_lo
	s_delay_alu instid0(VALU_DEP_1)
	v_cmpx_ne_u16_e32 0, v12
	s_cbranch_execz .LBB240_241
; %bb.234:                              ;   in Loop: Header=BB240_12 Depth=1
	v_bfrev_b32_e32 v49, 1
	s_mov_b32 s43, exec_lo
	v_cmpx_ne_u16_e32 0x80, v12
	s_cbranch_execz .LBB240_240
; %bb.235:                              ;   in Loop: Header=BB240_12 Depth=1
	v_and_b32_e32 v51, 0xffff, v12
	v_mov_b32_e32 v49, 0x7c010000
	s_mov_b32 s44, exec_lo
	s_delay_alu instid0(VALU_DEP_2) | instskip(NEXT) | instid1(VALU_DEP_1)
	v_and_b32_e32 v52, 0x7f, v51
	v_cmpx_ne_u32_e32 0x7f, v52
	s_cbranch_execz .LBB240_239
; %bb.236:                              ;   in Loop: Header=BB240_12 Depth=1
	v_dual_lshrrev_b32 v49, 3, v52 :: v_dual_bitop2_b32 v13, 7, v51 bitop3:0x40
	s_mov_b32 s45, exec_lo
	v_cmpx_gt_u32_e32 8, v52
	s_cbranch_execz .LBB240_238
; %bb.237:                              ;   in Loop: Header=BB240_12 Depth=1
	s_delay_alu instid0(VALU_DEP_2) | instskip(NEXT) | instid1(VALU_DEP_1)
	v_clz_i32_u32_e32 v13, v13
	v_min_u32_e32 v49, 32, v13
	v_mov_b32_e32 v13, v5
	s_delay_alu instid0(VALU_DEP_2) | instskip(SKIP_1) | instid1(VALU_DEP_2)
	v_subrev_nc_u32_e32 v52, 28, v49
	v_sub_nc_u32_e32 v49, 29, v49
	v_lshlrev_b64_e32 v[12:13], v52, v[12:13]
	s_delay_alu instid0(VALU_DEP_1)
	v_and_b32_e32 v13, 7, v12
.LBB240_238:                            ;   in Loop: Header=BB240_12 Depth=1
	s_or_b32 exec_lo, exec_lo, s45
	s_delay_alu instid0(VALU_DEP_1) | instskip(SKIP_1) | instid1(VALU_DEP_1)
	v_dual_lshlrev_b32 v12, 8, v51 :: v_dual_lshlrev_b32 v13, 23, v13
	v_lshl_add_u32 v49, v49, 10, 0x2000
	v_and_or_b32 v12, 0x8000, v12, v49
	s_delay_alu instid0(VALU_DEP_1)
	v_lshl_or_b32 v49, v12, 16, v13
.LBB240_239:                            ;   in Loop: Header=BB240_12 Depth=1
	s_or_b32 exec_lo, exec_lo, s44
.LBB240_240:                            ;   in Loop: Header=BB240_12 Depth=1
	s_delay_alu instid0(SALU_CYCLE_1)
	s_or_b32 exec_lo, exec_lo, s43
.LBB240_241:                            ;   in Loop: Header=BB240_12 Depth=1
	s_delay_alu instid0(SALU_CYCLE_1)
	s_or_b32 exec_lo, exec_lo, s42
	global_load_u16 v12, v[10:11], off offset:896
	v_mov_b32_e32 v13, 0
	s_wait_loadcnt 0x0
	v_and_b32_e32 v51, 0xff, v12
	v_and_b32_e32 v12, 0xffff, v12
	s_delay_alu instid0(VALU_DEP_2)
	v_cmp_ne_u16_e64 s5, 0, v51
	v_mov_b32_e32 v51, 0
	s_and_saveexec_b32 s42, s5
	s_cbranch_execz .LBB240_249
; %bb.242:                              ;   in Loop: Header=BB240_12 Depth=1
	v_and_b32_e32 v51, 0xff, v12
	s_delay_alu instid0(VALU_DEP_1)
	v_cmp_ne_u16_e64 s5, 0x80, v51
	v_mov_b32_e32 v51, 0x8000
	s_and_saveexec_b32 s43, s5
	s_cbranch_execz .LBB240_248
; %bb.243:                              ;   in Loop: Header=BB240_12 Depth=1
	v_and_b32_e32 v53, 0x7f, v12
	v_mov_b32_e32 v51, 0x7c01
	s_mov_b32 s44, exec_lo
	s_delay_alu instid0(VALU_DEP_2)
	v_cmpx_ne_u32_e32 0x7f, v53
	s_cbranch_execz .LBB240_247
; %bb.244:                              ;   in Loop: Header=BB240_12 Depth=1
	v_dual_lshrrev_b32 v52, 3, v53 :: v_dual_bitop2_b32 v51, 7, v12 bitop3:0x40
	s_mov_b32 s45, exec_lo
	v_cmpx_gt_u32_e32 8, v53
; %bb.245:                              ;   in Loop: Header=BB240_12 Depth=1
	s_delay_alu instid0(VALU_DEP_2) | instskip(NEXT) | instid1(VALU_DEP_1)
	v_clz_i32_u32_e32 v51, v51
	v_min_u32_e32 v51, 32, v51
	s_delay_alu instid0(VALU_DEP_1) | instskip(NEXT) | instid1(VALU_DEP_1)
	v_subrev_nc_u32_e32 v52, 28, v51
	v_lshlrev_b64_e32 v[54:55], v52, v[12:13]
	s_delay_alu instid0(VALU_DEP_1)
	v_dual_sub_nc_u32 v52, 29, v51 :: v_dual_bitop2_b32 v51, 7, v54 bitop3:0x40
; %bb.246:                              ;   in Loop: Header=BB240_12 Depth=1
	s_or_b32 exec_lo, exec_lo, s45
	s_delay_alu instid0(VALU_DEP_1) | instskip(NEXT) | instid1(VALU_DEP_2)
	v_dual_lshlrev_b32 v53, 8, v12 :: v_dual_lshlrev_b32 v51, 7, v51
	v_lshl_add_u32 v52, v52, 10, 0x2000
	s_delay_alu instid0(VALU_DEP_2) | instskip(NEXT) | instid1(VALU_DEP_2)
	v_and_b32_e32 v53, 0x8000, v53
	v_and_b32_e32 v52, 0xfc00, v52
	s_delay_alu instid0(VALU_DEP_1)
	v_or3_b32 v51, v53, v52, v51
.LBB240_247:                            ;   in Loop: Header=BB240_12 Depth=1
	s_or_b32 exec_lo, exec_lo, s44
.LBB240_248:                            ;   in Loop: Header=BB240_12 Depth=1
	s_delay_alu instid0(SALU_CYCLE_1)
	s_or_b32 exec_lo, exec_lo, s43
.LBB240_249:                            ;   in Loop: Header=BB240_12 Depth=1
	s_delay_alu instid0(SALU_CYCLE_1) | instskip(SKIP_2) | instid1(VALU_DEP_1)
	s_or_b32 exec_lo, exec_lo, s42
	v_lshrrev_b16 v12, 8, v12
	s_mov_b32 s42, exec_lo
	v_cmpx_ne_u16_e32 0, v12
	s_cbranch_execz .LBB240_257
; %bb.250:                              ;   in Loop: Header=BB240_12 Depth=1
	v_bfrev_b32_e32 v13, 1
	s_mov_b32 s43, exec_lo
	v_cmpx_ne_u16_e32 0x80, v12
	s_cbranch_execz .LBB240_256
; %bb.251:                              ;   in Loop: Header=BB240_12 Depth=1
	v_and_b32_e32 v52, 0xffff, v12
	v_mov_b32_e32 v13, 0x7c010000
	s_mov_b32 s44, exec_lo
	s_delay_alu instid0(VALU_DEP_2) | instskip(NEXT) | instid1(VALU_DEP_1)
	v_and_b32_e32 v54, 0x7f, v52
	v_cmpx_ne_u32_e32 0x7f, v54
	s_cbranch_execz .LBB240_255
; %bb.252:                              ;   in Loop: Header=BB240_12 Depth=1
	v_dual_lshrrev_b32 v53, 3, v54 :: v_dual_bitop2_b32 v13, 7, v52 bitop3:0x40
	s_mov_b32 s45, exec_lo
	v_cmpx_gt_u32_e32 8, v54
	s_cbranch_execz .LBB240_254
; %bb.253:                              ;   in Loop: Header=BB240_12 Depth=1
	s_delay_alu instid0(VALU_DEP_2) | instskip(NEXT) | instid1(VALU_DEP_1)
	v_clz_i32_u32_e32 v13, v13
	v_min_u32_e32 v53, 32, v13
	v_mov_b32_e32 v13, v5
	s_delay_alu instid0(VALU_DEP_2) | instskip(SKIP_1) | instid1(VALU_DEP_2)
	v_subrev_nc_u32_e32 v54, 28, v53
	v_sub_nc_u32_e32 v53, 29, v53
	v_lshlrev_b64_e32 v[12:13], v54, v[12:13]
	s_delay_alu instid0(VALU_DEP_1)
	v_and_b32_e32 v13, 7, v12
.LBB240_254:                            ;   in Loop: Header=BB240_12 Depth=1
	s_or_b32 exec_lo, exec_lo, s45
	s_delay_alu instid0(VALU_DEP_1) | instskip(SKIP_1) | instid1(VALU_DEP_1)
	v_dual_lshlrev_b32 v12, 8, v52 :: v_dual_lshlrev_b32 v13, 23, v13
	v_lshl_add_u32 v52, v53, 10, 0x2000
	v_and_or_b32 v12, 0x8000, v12, v52
	s_delay_alu instid0(VALU_DEP_1)
	v_lshl_or_b32 v13, v12, 16, v13
.LBB240_255:                            ;   in Loop: Header=BB240_12 Depth=1
	s_or_b32 exec_lo, exec_lo, s44
.LBB240_256:                            ;   in Loop: Header=BB240_12 Depth=1
	s_delay_alu instid0(SALU_CYCLE_1)
	s_or_b32 exec_lo, exec_lo, s43
.LBB240_257:                            ;   in Loop: Header=BB240_12 Depth=1
	s_delay_alu instid0(SALU_CYCLE_1)
	s_or_b32 exec_lo, exec_lo, s42
	global_load_u16 v10, v[10:11], off offset:904
	s_wait_xcnt 0x0
	v_mov_b32_e32 v11, 0
	s_wait_loadcnt 0x0
	v_and_b32_e32 v12, 0xff, v10
	v_and_b32_e32 v10, 0xffff, v10
	s_delay_alu instid0(VALU_DEP_2)
	v_cmp_ne_u16_e64 s5, 0, v12
	v_mov_b32_e32 v12, 0
	s_and_saveexec_b32 s42, s5
	s_cbranch_execz .LBB240_265
; %bb.258:                              ;   in Loop: Header=BB240_12 Depth=1
	v_and_b32_e32 v12, 0xff, v10
	s_delay_alu instid0(VALU_DEP_1)
	v_cmp_ne_u16_e64 s5, 0x80, v12
	v_mov_b32_e32 v12, 0x8000
	s_and_saveexec_b32 s43, s5
	s_cbranch_execz .LBB240_264
; %bb.259:                              ;   in Loop: Header=BB240_12 Depth=1
	v_and_b32_e32 v53, 0x7f, v10
	v_mov_b32_e32 v12, 0x7c01
	s_mov_b32 s44, exec_lo
	s_delay_alu instid0(VALU_DEP_2)
	v_cmpx_ne_u32_e32 0x7f, v53
	s_cbranch_execz .LBB240_263
; %bb.260:                              ;   in Loop: Header=BB240_12 Depth=1
	v_dual_lshrrev_b32 v52, 3, v53 :: v_dual_bitop2_b32 v12, 7, v10 bitop3:0x40
	s_mov_b32 s45, exec_lo
	v_cmpx_gt_u32_e32 8, v53
; %bb.261:                              ;   in Loop: Header=BB240_12 Depth=1
	s_delay_alu instid0(VALU_DEP_2) | instskip(NEXT) | instid1(VALU_DEP_1)
	v_clz_i32_u32_e32 v12, v12
	v_min_u32_e32 v12, 32, v12
	s_delay_alu instid0(VALU_DEP_1) | instskip(NEXT) | instid1(VALU_DEP_1)
	v_subrev_nc_u32_e32 v52, 28, v12
	v_lshlrev_b64_e32 v[54:55], v52, v[10:11]
	s_delay_alu instid0(VALU_DEP_1)
	v_dual_sub_nc_u32 v52, 29, v12 :: v_dual_bitop2_b32 v12, 7, v54 bitop3:0x40
; %bb.262:                              ;   in Loop: Header=BB240_12 Depth=1
	s_or_b32 exec_lo, exec_lo, s45
	s_delay_alu instid0(VALU_DEP_1) | instskip(NEXT) | instid1(VALU_DEP_2)
	v_dual_lshlrev_b32 v53, 8, v10 :: v_dual_lshlrev_b32 v12, 7, v12
	v_lshl_add_u32 v52, v52, 10, 0x2000
	s_delay_alu instid0(VALU_DEP_2) | instskip(NEXT) | instid1(VALU_DEP_2)
	v_and_b32_e32 v53, 0x8000, v53
	v_and_b32_e32 v52, 0xfc00, v52
	s_delay_alu instid0(VALU_DEP_1)
	v_or3_b32 v12, v53, v52, v12
.LBB240_263:                            ;   in Loop: Header=BB240_12 Depth=1
	s_or_b32 exec_lo, exec_lo, s44
.LBB240_264:                            ;   in Loop: Header=BB240_12 Depth=1
	s_delay_alu instid0(SALU_CYCLE_1)
	s_or_b32 exec_lo, exec_lo, s43
.LBB240_265:                            ;   in Loop: Header=BB240_12 Depth=1
	s_delay_alu instid0(SALU_CYCLE_1) | instskip(SKIP_2) | instid1(VALU_DEP_1)
	s_or_b32 exec_lo, exec_lo, s42
	v_lshrrev_b16 v10, 8, v10
	s_mov_b32 s42, exec_lo
	v_cmpx_ne_u16_e32 0, v10
	s_cbranch_execz .LBB240_273
; %bb.266:                              ;   in Loop: Header=BB240_12 Depth=1
	v_bfrev_b32_e32 v11, 1
	s_mov_b32 s43, exec_lo
	v_cmpx_ne_u16_e32 0x80, v10
	s_cbranch_execz .LBB240_272
; %bb.267:                              ;   in Loop: Header=BB240_12 Depth=1
	v_and_b32_e32 v52, 0xffff, v10
	v_mov_b32_e32 v11, 0x7c010000
	s_mov_b32 s44, exec_lo
	s_delay_alu instid0(VALU_DEP_2) | instskip(NEXT) | instid1(VALU_DEP_1)
	v_and_b32_e32 v54, 0x7f, v52
	v_cmpx_ne_u32_e32 0x7f, v54
	s_cbranch_execz .LBB240_271
; %bb.268:                              ;   in Loop: Header=BB240_12 Depth=1
	v_dual_lshrrev_b32 v53, 3, v54 :: v_dual_bitop2_b32 v11, 7, v52 bitop3:0x40
	s_mov_b32 s45, exec_lo
	v_cmpx_gt_u32_e32 8, v54
	s_cbranch_execz .LBB240_270
; %bb.269:                              ;   in Loop: Header=BB240_12 Depth=1
	s_delay_alu instid0(VALU_DEP_2) | instskip(NEXT) | instid1(VALU_DEP_1)
	v_clz_i32_u32_e32 v11, v11
	v_min_u32_e32 v53, 32, v11
	v_mov_b32_e32 v11, v5
	s_delay_alu instid0(VALU_DEP_2) | instskip(SKIP_1) | instid1(VALU_DEP_2)
	v_subrev_nc_u32_e32 v54, 28, v53
	v_sub_nc_u32_e32 v53, 29, v53
	v_lshlrev_b64_e32 v[10:11], v54, v[10:11]
	s_delay_alu instid0(VALU_DEP_1)
	v_and_b32_e32 v11, 7, v10
.LBB240_270:                            ;   in Loop: Header=BB240_12 Depth=1
	s_or_b32 exec_lo, exec_lo, s45
	s_delay_alu instid0(VALU_DEP_1) | instskip(SKIP_1) | instid1(VALU_DEP_1)
	v_dual_lshlrev_b32 v10, 8, v52 :: v_dual_lshlrev_b32 v11, 23, v11
	v_lshl_add_u32 v52, v53, 10, 0x2000
	v_and_or_b32 v10, 0x8000, v10, v52
	s_delay_alu instid0(VALU_DEP_1)
	v_lshl_or_b32 v11, v10, 16, v11
.LBB240_271:                            ;   in Loop: Header=BB240_12 Depth=1
	s_or_b32 exec_lo, exec_lo, s44
.LBB240_272:                            ;   in Loop: Header=BB240_12 Depth=1
	s_delay_alu instid0(SALU_CYCLE_1)
	s_or_b32 exec_lo, exec_lo, s43
.LBB240_273:                            ;   in Loop: Header=BB240_12 Depth=1
	s_delay_alu instid0(SALU_CYCLE_1) | instskip(SKIP_3) | instid1(VALU_DEP_1)
	s_or_b32 exec_lo, exec_lo, s42
	ds_load_b32 v10, v15
	v_or_b32_e32 v23, v22, v23
	v_fma_mixlo_f16 v22, v21, v22, 0 op_sel:[0,1,0] op_sel_hi:[0,1,0]
	v_and_b32_e32 v54, 0xffff, v22
	s_wait_dscnt 0x0
	v_lshrrev_b32_e32 v53, 16, v10
	v_fma_mixlo_f16 v23, v21, v23, 0 op_sel_hi:[0,1,0]
	v_and_b32_e32 v52, 0xffff, v10
	;;#ASMSTART
	v_cvt_f32_f16 v10, v52;
	;;#ASMEND
	;;#ASMSTART
	v_cvt_f32_f16 v22, v53;
	;;#ASMEND
	s_delay_alu instid0(VALU_DEP_2)
	v_and_b32_e32 v23, 0xffff, v23
	;;#ASMSTART
	v_cvt_f32_f16 v23, v23;
	;;#ASMEND
	;;#ASMSTART
	v_cvt_f32_f16 v52, v54;
	;;#ASMEND
	ds_load_b32 v53, v15 offset:4
	v_or_b32_e32 v26, v24, v26
	v_fma_mixlo_f16 v24, v21, v24, 0 op_sel:[0,1,0] op_sel_hi:[0,1,0]
	s_delay_alu instid0(VALU_DEP_1)
	v_and_b32_e32 v56, 0xffff, v24
	s_wait_dscnt 0x0
	v_and_b32_e32 v54, 0xffff, v53
	v_lshrrev_b32_e32 v53, 16, v53
	v_fma_mixlo_f16 v26, v21, v26, 0 op_sel_hi:[0,1,0]
	;;#ASMSTART
	v_cvt_f32_f16 v24, v54;
	;;#ASMEND
	s_delay_alu instid0(VALU_DEP_1)
	v_and_b32_e32 v55, 0xffff, v26
	;;#ASMSTART
	v_cvt_f32_f16 v26, v53;
	;;#ASMEND
	;;#ASMSTART
	v_cvt_f32_f16 v53, v55;
	;;#ASMEND
	;; [unrolled: 3-line block ×3, first 2 shown]
	ds_load_b32 v55, v15 offset:8
	v_or_b32_e32 v28, v27, v28
	v_fma_mixlo_f16 v27, v21, v27, 0 op_sel:[0,1,0] op_sel_hi:[0,1,0]
	v_dual_mul_f32 v24, v24, v53 :: v_dual_mul_f32 v26, v26, v54
	s_delay_alu instid0(VALU_DEP_2) | instskip(NEXT) | instid1(VALU_DEP_2)
	v_and_b32_e32 v58, 0xffff, v27
	v_dual_fmac_f32 v24, v10, v23 :: v_dual_bitop2_b32 v10, v49, v50 bitop3:0x54
	s_delay_alu instid0(VALU_DEP_1) | instskip(NEXT) | instid1(VALU_DEP_1)
	v_fma_mixlo_f16 v10, v21, v10, 0 op_sel_hi:[0,1,0]
	v_and_b32_e32 v10, 0xffff, v10
	s_wait_dscnt 0x0
	v_and_b32_e32 v56, 0xffff, v55
	v_lshrrev_b32_e32 v55, 16, v55
	v_fma_mixlo_f16 v28, v21, v28, 0 op_sel_hi:[0,1,0]
	;;#ASMSTART
	v_cvt_f32_f16 v27, v56;
	;;#ASMEND
	s_delay_alu instid0(VALU_DEP_1)
	v_and_b32_e32 v57, 0xffff, v28
	;;#ASMSTART
	v_cvt_f32_f16 v28, v55;
	;;#ASMEND
	;;#ASMSTART
	v_cvt_f32_f16 v55, v57;
	;;#ASMEND
	;; [unrolled: 3-line block ×3, first 2 shown]
	ds_load_b32 v57, v15 offset:12
	v_or_b32_e32 v30, v29, v30
	v_fma_mixlo_f16 v29, v21, v29, 0 op_sel:[0,1,0] op_sel_hi:[0,1,0]
	v_dual_fmac_f32 v26, v22, v52 :: v_dual_fmac_f32 v24, v27, v55
	v_fma_mixlo_f16 v22, v21, v49, 0 op_sel:[0,1,0] op_sel_hi:[0,1,0]
	s_delay_alu instid0(VALU_DEP_3) | instskip(NEXT) | instid1(VALU_DEP_2)
	v_and_b32_e32 v60, 0xffff, v29
	v_and_b32_e32 v22, 0xffff, v22
	s_wait_dscnt 0x0
	v_and_b32_e32 v58, 0xffff, v57
	v_lshrrev_b32_e32 v57, 16, v57
	v_fma_mixlo_f16 v30, v21, v30, 0 op_sel_hi:[0,1,0]
	;;#ASMSTART
	v_cvt_f32_f16 v29, v58;
	;;#ASMEND
	s_delay_alu instid0(VALU_DEP_1)
	v_and_b32_e32 v59, 0xffff, v30
	;;#ASMSTART
	v_cvt_f32_f16 v30, v57;
	;;#ASMEND
	;;#ASMSTART
	v_cvt_f32_f16 v57, v59;
	;;#ASMEND
	;; [unrolled: 3-line block ×3, first 2 shown]
	ds_load_b32 v59, v15 offset:16
	v_or_b32_e32 v32, v31, v32
	v_fma_mixlo_f16 v31, v21, v31, 0 op_sel:[0,1,0] op_sel_hi:[0,1,0]
	v_dual_fmac_f32 v26, v28, v56 :: v_dual_fmac_f32 v24, v29, v57
	s_delay_alu instid0(VALU_DEP_2)
	v_and_b32_e32 v62, 0xffff, v31
	s_wait_dscnt 0x0
	v_and_b32_e32 v60, 0xffff, v59
	v_lshrrev_b32_e32 v59, 16, v59
	v_fma_mixlo_f16 v32, v21, v32, 0 op_sel_hi:[0,1,0]
	;;#ASMSTART
	v_cvt_f32_f16 v31, v60;
	;;#ASMEND
	s_delay_alu instid0(VALU_DEP_1)
	v_and_b32_e32 v61, 0xffff, v32
	;;#ASMSTART
	v_cvt_f32_f16 v32, v59;
	;;#ASMEND
	;;#ASMSTART
	v_cvt_f32_f16 v59, v61;
	;;#ASMEND
	;; [unrolled: 3-line block ×3, first 2 shown]
	ds_load_b32 v61, v15 offset:20
	v_or_b32_e32 v34, v33, v34
	v_fma_mixlo_f16 v33, v21, v33, 0 op_sel:[0,1,0] op_sel_hi:[0,1,0]
	s_delay_alu instid0(VALU_DEP_1)
	v_and_b32_e32 v64, 0xffff, v33
	s_wait_dscnt 0x0
	v_and_b32_e32 v62, 0xffff, v61
	v_lshrrev_b32_e32 v61, 16, v61
	v_fma_mixlo_f16 v34, v21, v34, 0 op_sel_hi:[0,1,0]
	;;#ASMSTART
	v_cvt_f32_f16 v33, v62;
	;;#ASMEND
	s_delay_alu instid0(VALU_DEP_1)
	v_and_b32_e32 v63, 0xffff, v34
	;;#ASMSTART
	v_cvt_f32_f16 v34, v61;
	;;#ASMEND
	;;#ASMSTART
	v_cvt_f32_f16 v61, v63;
	;;#ASMEND
	;; [unrolled: 3-line block ×3, first 2 shown]
	ds_load_b32 v63, v15 offset:24
	v_or_b32_e32 v36, v35, v36
	v_fma_mixlo_f16 v35, v21, v35, 0 op_sel:[0,1,0] op_sel_hi:[0,1,0]
	s_delay_alu instid0(VALU_DEP_1)
	v_and_b32_e32 v35, 0xffff, v35
	s_wait_dscnt 0x0
	v_and_b32_e32 v64, 0xffff, v63
	v_lshrrev_b32_e32 v63, 16, v63
	v_fma_mixlo_f16 v36, v21, v36, 0 op_sel_hi:[0,1,0]
	;;#ASMSTART
	v_cvt_f32_f16 v64, v64;
	;;#ASMEND
	;;#ASMSTART
	v_cvt_f32_f16 v63, v63;
	;;#ASMEND
	s_delay_alu instid0(VALU_DEP_1)
	v_and_b32_e32 v36, 0xffff, v36
	;;#ASMSTART
	v_cvt_f32_f16 v65, v36;
	;;#ASMEND
	;;#ASMSTART
	v_cvt_f32_f16 v66, v35;
	;;#ASMEND
	ds_load_b32 v35, v15 offset:28
	v_or_b32_e32 v36, v37, v38
	v_fma_mixlo_f16 v37, v21, v37, 0 op_sel:[0,1,0] op_sel_hi:[0,1,0]
	s_delay_alu instid0(VALU_DEP_1)
	v_and_b32_e32 v37, 0xffff, v37
	s_wait_dscnt 0x0
	v_and_b32_e32 v38, 0xffff, v35
	v_lshrrev_b32_e32 v35, 16, v35
	v_fma_mixlo_f16 v36, v21, v36, 0 op_sel_hi:[0,1,0]
	;;#ASMSTART
	v_cvt_f32_f16 v38, v38;
	;;#ASMEND
	;;#ASMSTART
	v_cvt_f32_f16 v67, v35;
	;;#ASMEND
	s_delay_alu instid0(VALU_DEP_1)
	v_and_b32_e32 v36, 0xffff, v36
	;;#ASMSTART
	v_cvt_f32_f16 v68, v36;
	;;#ASMEND
	;;#ASMSTART
	v_cvt_f32_f16 v69, v37;
	;;#ASMEND
	;; [unrolled: 23-line block ×7, first 2 shown]
	ds_load_b32 v35, v15 offset:52
	s_wait_dscnt 0x0
	v_dual_fmac_f32 v26, v30, v58 :: v_dual_lshrrev_b32 v27, 16, v35
	v_and_b32_e32 v23, 0xffff, v35
	s_delay_alu instid0(VALU_DEP_2)
	v_dual_fmac_f32 v24, v31, v59 :: v_dual_fmac_f32 v26, v32, v60
	;;#ASMSTART
	v_cvt_f32_f16 v23, v23;
	;;#ASMEND
	;;#ASMSTART
	v_cvt_f32_f16 v27, v27;
	;;#ASMEND
	;; [unrolled: 3-line block ×4, first 2 shown]
	ds_load_b32 v10, v15 offset:56
	v_dual_fmac_f32 v24, v33, v61 :: v_dual_fmac_f32 v26, v34, v62
	s_delay_alu instid0(VALU_DEP_1) | instskip(SKIP_2) | instid1(VALU_DEP_3)
	v_dual_fmac_f32 v24, v64, v65 :: v_dual_fmac_f32 v26, v63, v66
	v_or_b32_e32 v22, v13, v51
	v_fma_mixlo_f16 v13, v21, v13, 0 op_sel:[0,1,0] op_sel_hi:[0,1,0]
	v_dual_fmac_f32 v24, v38, v68 :: v_dual_fmac_f32 v26, v67, v69
	s_delay_alu instid0(VALU_DEP_3) | instskip(NEXT) | instid1(VALU_DEP_3)
	v_fma_mixlo_f16 v22, v21, v22, 0 op_sel_hi:[0,1,0]
	v_and_b32_e32 v13, 0xffff, v13
	s_delay_alu instid0(VALU_DEP_2)
	v_and_b32_e32 v22, 0xffff, v22
	s_wait_dscnt 0x0
	v_and_b32_e32 v30, 0xffff, v10
	v_lshrrev_b32_e32 v10, 16, v10
	v_dual_fmac_f32 v24, v39, v70 :: v_dual_fmac_f32 v26, v40, v71
	;;#ASMSTART
	v_cvt_f32_f16 v30, v30;
	;;#ASMEND
	;;#ASMSTART
	v_cvt_f32_f16 v31, v10;
	;;#ASMEND
	;;#ASMSTART
	v_cvt_f32_f16 v22, v22;
	;;#ASMEND
	s_delay_alu instid0(VALU_DEP_1)
	v_dual_fmac_f32 v24, v41, v72 :: v_dual_fmac_f32 v26, v42, v73
	;;#ASMSTART
	v_cvt_f32_f16 v32, v13;
	;;#ASMEND
	ds_load_b32 v10, v15 offset:60
	v_dual_fmac_f32 v24, v43, v74 :: v_dual_bitop2_b32 v13, 2, v3 bitop3:0x14
	v_dual_fmac_f32 v26, v44, v75 :: v_dual_bitop2_b32 v12, v11, v12 bitop3:0x54
	v_fma_mixlo_f16 v11, v21, v11, 0 op_sel:[0,1,0] op_sel_hi:[0,1,0]
	s_delay_alu instid0(VALU_DEP_3) | instskip(NEXT) | instid1(VALU_DEP_3)
	v_cmp_gt_i32_e64 s5, 32, v13
	v_dual_fmac_f32 v24, v45, v76 :: v_dual_fmac_f32 v26, v46, v77
	s_delay_alu instid0(VALU_DEP_4) | instskip(NEXT) | instid1(VALU_DEP_4)
	v_fma_mixlo_f16 v12, v21, v12, 0 op_sel_hi:[0,1,0]
	v_and_b32_e32 v21, 0xffff, v11
	s_delay_alu instid0(VALU_DEP_4) | instskip(NEXT) | instid1(VALU_DEP_4)
	v_cndmask_b32_e64 v11, v3, v13, s5
	v_dual_fmac_f32 v24, v47, v36 :: v_dual_fmac_f32 v26, v48, v37
	s_delay_alu instid0(VALU_DEP_4) | instskip(NEXT) | instid1(VALU_DEP_2)
	v_and_b32_e32 v12, 0xffff, v12
	v_fmac_f32_e32 v26, v27, v29
	s_wait_dscnt 0x0
	v_and_b32_e32 v13, 0xffff, v10
	v_lshrrev_b32_e32 v10, 16, v10
	;;#ASMSTART
	v_cvt_f32_f16 v13, v13;
	;;#ASMEND
	v_fmac_f32_e32 v26, v31, v32
	;;#ASMSTART
	v_cvt_f32_f16 v10, v10;
	;;#ASMEND
	;;#ASMSTART
	v_cvt_f32_f16 v12, v12;
	;;#ASMEND
	;; [unrolled: 3-line block ×3, first 2 shown]
	s_delay_alu instid0(VALU_DEP_1) | instskip(NEXT) | instid1(VALU_DEP_1)
	v_dual_fmac_f32 v24, v23, v28 :: v_dual_fmac_f32 v26, v10, v21
	v_dual_lshlrev_b32 v10, 2, v11 :: v_dual_fmac_f32 v24, v30, v22
	s_delay_alu instid0(VALU_DEP_1) | instskip(NEXT) | instid1(VALU_DEP_1)
	v_dual_fmac_f32 v24, v13, v12 :: v_dual_bitop2_b32 v12, 1, v3 bitop3:0x14
	v_cmp_gt_i32_e64 s5, 32, v12
	s_delay_alu instid0(VALU_DEP_1)
	v_dual_add_f32 v11, v24, v26 :: v_dual_cndmask_b32 v12, v3, v12, s5
	ds_bpermute_b32 v10, v10, v11
	s_wait_dscnt 0x0
	v_dual_add_f32 v10, v11, v10 :: v_dual_lshlrev_b32 v11, 2, v12
	ds_bpermute_b32 v11, v11, v10
	s_and_saveexec_b32 s42, s4
	s_cbranch_execz .LBB240_10
; %bb.274:                              ;   in Loop: Header=BB240_12 Depth=1
	s_wait_dscnt 0x0
	v_dual_add_nc_u32 v12, v17, v4 :: v_dual_add_f32 v10, v10, v11
	s_delay_alu instid0(VALU_DEP_1) | instskip(NEXT) | instid1(VALU_DEP_1)
	v_cvt_f32_i32_e32 v12, v12
	v_mul_f32_e32 v12, s37, v12
	s_delay_alu instid0(VALU_DEP_1) | instskip(NEXT) | instid1(VALU_DEP_1)
	v_cndmask_b32_e32 v11, 0, v12, vcc_lo
	v_dual_fmac_f32 v11, s7, v10 :: v_dual_add_nc_u32 v10, v14, v4
	s_delay_alu instid0(VALU_DEP_1) | instskip(NEXT) | instid1(VALU_DEP_1)
	v_cmp_gt_i32_e64 s5, s34, v10
	v_dual_max_num_f32 v12, v16, v16 :: v_dual_cndmask_b32 v10, 0, v11, s5
	s_delay_alu instid0(VALU_DEP_1)
	v_max_num_f32_e32 v12, v12, v11
	ds_store_b32 v18, v10
	v_cndmask_b32_e64 v16, v16, v12, s5
	s_branch .LBB240_10
.LBB240_275:
	s_or_b32 exec_lo, exec_lo, s41
.LBB240_276:
	s_delay_alu instid0(SALU_CYCLE_1)
	s_or_b32 exec_lo, exec_lo, s38
	v_dual_max_num_f32 v7, v16, v16 :: v_dual_bitop2_b32 v4, 16, v3 bitop3:0x14
	s_clause 0x1
	s_load_b64 s[6:7], s[0:1], 0x0
	s_load_b64 s[28:29], s[0:1], 0x18
	v_and_b32_e32 v26, 31, v0
	v_xor_b32_e32 v6, 8, v3
	v_cmp_gt_i32_e32 vcc_lo, 32, v4
	v_cndmask_b32_e32 v4, v3, v4, vcc_lo
	s_delay_alu instid0(VALU_DEP_3) | instskip(NEXT) | instid1(VALU_DEP_2)
	v_cmp_gt_i32_e32 vcc_lo, 32, v6
	v_dual_lshlrev_b32 v4, 2, v4 :: v_dual_cndmask_b32 v6, v3, v6, vcc_lo
	ds_bpermute_b32 v5, v4, v16
	s_wait_dscnt 0x0
	v_dual_max_num_f32 v8, v5, v5 :: v_dual_lshlrev_b32 v5, 2, v6
	s_delay_alu instid0(VALU_DEP_1) | instskip(SKIP_4) | instid1(VALU_DEP_1)
	v_dual_max_num_f32 v6, v7, v8 :: v_dual_bitop2_b32 v8, 4, v3 bitop3:0x14
	ds_bpermute_b32 v7, v5, v6
	v_cmp_gt_i32_e32 vcc_lo, 32, v8
	v_cndmask_b32_e32 v8, v3, v8, vcc_lo
	s_wait_dscnt 0x0
	v_dual_max_num_f32 v7, v7, v7 :: v_dual_lshlrev_b32 v8, 2, v8
	s_delay_alu instid0(VALU_DEP_1)
	v_dual_max_num_f32 v7, v6, v7 :: v_dual_lshlrev_b32 v6, 2, v25
	v_cmp_eq_u32_e32 vcc_lo, 0, v26
	ds_bpermute_b32 v9, v8, v7
	s_wait_xcnt 0x0
	s_and_saveexec_b32 s0, vcc_lo
	s_cbranch_execz .LBB240_278
; %bb.277:
	s_wait_dscnt 0x0
	v_dual_max_num_f32 v9, v9, v9 :: v_dual_max_num_f32 v7, v7, v7
	s_delay_alu instid0(VALU_DEP_1)
	v_max_num_f32_e32 v7, v7, v9
	ds_store_b32 v6, v7 offset:256
.LBB240_278:
	s_or_b32 exec_lo, exec_lo, s0
	v_cmp_gt_u32_e64 s0, 4, v26
	v_dual_mov_b32 v10, 0xff7fffff :: v_dual_lshlrev_b32 v7, 2, v26
	s_wait_dscnt 0x0
	s_barrier_signal -1
	s_barrier_wait -1
	s_and_saveexec_b32 s1, s0
; %bb.279:
	ds_load_b32 v10, v7 offset:256
; %bb.280:
	s_or_b32 exec_lo, exec_lo, s1
	v_xor_b32_e32 v9, 2, v3
	v_xor_b32_e32 v12, 1, v3
	s_delay_alu instid0(VALU_DEP_2) | instskip(NEXT) | instid1(VALU_DEP_1)
	v_cmp_gt_i32_e64 s1, 32, v9
	v_cndmask_b32_e64 v9, v3, v9, s1
	s_delay_alu instid0(VALU_DEP_3) | instskip(NEXT) | instid1(VALU_DEP_1)
	v_cmp_gt_i32_e64 s1, 32, v12
	v_dual_lshlrev_b32 v9, 2, v9 :: v_dual_cndmask_b32 v3, v3, v12, s1
	s_lshl_b32 s1, s35, 3
	s_delay_alu instid0(SALU_CYCLE_1)
	s_min_i32 s5, s1, s34
	s_wait_dscnt 0x0
	ds_bpermute_b32 v11, v9, v10
	v_max_num_f32_e32 v10, v10, v10
	v_cmp_gt_i32_e64 s1, s5, v0
	v_lshlrev_b32_e32 v3, 2, v3
	s_wait_dscnt 0x0
	v_max_num_f32_e32 v11, v11, v11
	s_delay_alu instid0(VALU_DEP_1) | instskip(SKIP_3) | instid1(VALU_DEP_1)
	v_max_num_f32_e32 v10, v10, v11
	ds_bpermute_b32 v11, v3, v10
	s_wait_dscnt 0x0
	v_max_num_f32_e32 v11, v11, v11
	v_dual_max_num_f32 v11, v10, v11 :: v_dual_mov_b32 v10, 0
	ds_bpermute_b32 v11, v10, v11
	s_and_saveexec_b32 s8, s1
	s_cbranch_execz .LBB240_284
; %bb.281:
	v_lshl_add_u32 v12, v0, 2, 0x120
	v_dual_mov_b32 v10, 0 :: v_dual_mov_b32 v13, v0
	s_mov_b32 s9, 0
.LBB240_282:                            ; =>This Inner Loop Header: Depth=1
	ds_load_b32 v14, v12
	v_add_nc_u32_e32 v13, 0x80, v13
	s_delay_alu instid0(VALU_DEP_1) | instskip(SKIP_3) | instid1(VALU_DEP_1)
	v_cmp_le_i32_e64 s4, s5, v13
	s_or_b32 s9, s4, s9
	s_wait_dscnt 0x0
	v_sub_f32_e32 v14, v14, v11
	v_mul_f32_e32 v14, 0x3fb8aa3b, v14
	s_delay_alu instid0(VALU_DEP_1)
	v_exp_f32_e32 v14, v14
	ds_store_b32 v12, v14
	v_nop
	v_add_f32_e32 v10, v10, v14
	v_add_nc_u32_e32 v12, 0x200, v12
	s_and_not1_b32 exec_lo, exec_lo, s9
	s_cbranch_execnz .LBB240_282
; %bb.283:
	s_or_b32 exec_lo, exec_lo, s9
.LBB240_284:
	s_delay_alu instid0(SALU_CYCLE_1)
	s_or_b32 exec_lo, exec_lo, s8
	ds_bpermute_b32 v4, v4, v10
	s_wait_dscnt 0x0
	v_add_f32_e32 v4, v10, v4
	ds_bpermute_b32 v5, v5, v4
	s_wait_dscnt 0x0
	v_add_f32_e32 v4, v4, v5
	;; [unrolled: 3-line block ×5, first 2 shown]
	s_and_saveexec_b32 s4, vcc_lo
; %bb.285:
	ds_store_b32 v6, v4 offset:272
; %bb.286:
	s_or_b32 exec_lo, exec_lo, s4
	s_wait_dscnt 0x0
	s_barrier_signal -1
	s_barrier_wait -1
	s_and_saveexec_b32 s4, s0
; %bb.287:
	ds_load_b32 v4, v7 offset:272
; %bb.288:
	s_or_b32 exec_lo, exec_lo, s4
	s_wait_dscnt 0x0
	ds_bpermute_b32 v5, v9, v4
	s_wait_dscnt 0x0
	v_add_f32_e32 v4, v4, v5
	ds_bpermute_b32 v3, v3, v4
	s_wait_dscnt 0x0
	v_dual_add_f32 v3, v4, v3 :: v_dual_mov_b32 v4, 0
	ds_bpermute_b32 v3, v4, v3
	s_and_saveexec_b32 s0, s1
	s_cbranch_execz .LBB240_301
; %bb.289:
	s_wait_dscnt 0x0
	v_add_f32_e32 v3, 0x358637bd, v3
	s_mov_b32 s4, -1
	s_mov_b32 s1, exec_lo
	s_delay_alu instid0(VALU_DEP_1) | instskip(NEXT) | instid1(VALU_DEP_1)
	v_div_scale_f32 v4, null, v3, v3, 1.0
	v_rcp_f32_e32 v6, v4
	v_nop
	s_delay_alu instid0(TRANS32_DEP_1) | instskip(NEXT) | instid1(VALU_DEP_1)
	v_fma_f32 v5, -v4, v6, 1.0
	v_fmac_f32_e32 v6, v5, v6
	v_div_scale_f32 v7, vcc_lo, 1.0, v3, 1.0
	s_delay_alu instid0(VALU_DEP_1) | instskip(NEXT) | instid1(VALU_DEP_1)
	v_mul_f32_e32 v8, v7, v6
	v_fma_f32 v5, -v4, v8, v7
	s_delay_alu instid0(VALU_DEP_1) | instskip(SKIP_1) | instid1(VALU_DEP_2)
	v_fmac_f32_e32 v8, v5, v6
	v_xad_u32 v5, v0, -1, s5
	v_fma_f32 v4, -v4, v8, v7
	s_delay_alu instid0(VALU_DEP_1) | instskip(NEXT) | instid1(VALU_DEP_1)
	v_div_fmas_f32 v4, v4, v6, v8
	v_div_fixup_f32 v4, v4, v3, 1.0
	v_mov_b32_e32 v3, v0
	v_cmpx_lt_u32_e32 0x7f, v5
	s_cbranch_execz .LBB240_298
; %bb.290:
	s_delay_alu instid0(VALU_DEP_3) | instskip(NEXT) | instid1(VALU_DEP_1)
	v_dual_lshrrev_b32 v3, 7, v5 :: v_dual_mov_b32 v5, v4
	v_dual_mov_b32 v9, 0 :: v_dual_add_nc_u32 v6, -1, v3
	s_delay_alu instid0(VALU_DEP_1) | instskip(SKIP_1) | instid1(VALU_DEP_2)
	v_lshrrev_b32_e32 v7, 1, v6
	v_cmp_lt_u32_e32 vcc_lo, 13, v6
	v_add_nc_u32_e32 v6, 1, v7
	s_and_saveexec_b32 s4, vcc_lo
	s_cbranch_execz .LBB240_294
; %bb.291:
	s_delay_alu instid0(VALU_DEP_1)
	v_and_b32_e32 v7, -8, v6
	v_lshl_add_u32 v8, v0, 2, 0x120
	s_mov_b32 s8, 0
	s_mov_b32 s9, 0
.LBB240_292:                            ; =>This Inner Loop Header: Depth=1
	ds_load_2addr_stride64_b32 v[10:11], v8 offset1:2
	ds_load_2addr_stride64_b32 v[12:13], v8 offset0:4 offset1:6
	ds_load_2addr_stride64_b32 v[14:15], v8 offset0:8 offset1:10
	ds_load_2addr_stride64_b32 v[16:17], v8 offset0:12 offset1:14
	ds_load_2addr_stride64_b32 v[18:19], v8 offset0:16 offset1:18
	ds_load_2addr_stride64_b32 v[20:21], v8 offset0:20 offset1:22
	ds_load_2addr_stride64_b32 v[22:23], v8 offset0:24 offset1:26
	ds_load_2addr_stride64_b32 v[28:29], v8 offset0:28 offset1:30
	s_add_co_i32 s9, s9, 16
	s_delay_alu instid0(SALU_CYCLE_1) | instskip(NEXT) | instid1(VALU_DEP_1)
	v_dual_add_nc_u32 v7, -8, v7 :: v_dual_mov_b32 v9, s9
	v_cmp_eq_u32_e32 vcc_lo, 0, v7
	s_or_b32 s8, vcc_lo, s8
	s_wait_dscnt 0x7
	v_pk_mul_f32 v[10:11], v[4:5], v[10:11]
	s_wait_dscnt 0x6
	v_pk_mul_f32 v[12:13], v[4:5], v[12:13]
	;; [unrolled: 2-line block ×8, first 2 shown]
	ds_store_2addr_stride64_b32 v8, v10, v11 offset1:2
	ds_store_2addr_stride64_b32 v8, v12, v13 offset0:4 offset1:6
	ds_store_2addr_stride64_b32 v8, v14, v15 offset0:8 offset1:10
	;; [unrolled: 1-line block ×7, first 2 shown]
	v_add_nc_u32_e32 v8, 0x2000, v8
	s_and_not1_b32 exec_lo, exec_lo, s8
	s_cbranch_execnz .LBB240_292
; %bb.293:
	s_or_b32 exec_lo, exec_lo, s8
.LBB240_294:
	s_delay_alu instid0(SALU_CYCLE_1) | instskip(NEXT) | instid1(VALU_DEP_1)
	s_or_b32 exec_lo, exec_lo, s4
	v_and_b32_e32 v6, 7, v6
	s_mov_b32 s8, 0
	s_mov_b32 s4, exec_lo
	s_delay_alu instid0(VALU_DEP_1)
	v_cmpx_ne_u32_e32 0, v6
	s_cbranch_execz .LBB240_297
; %bb.295:
	v_dual_lshlrev_b32 v7, 9, v9 :: v_dual_lshlrev_b32 v8, 2, v0
	s_delay_alu instid0(VALU_DEP_1)
	v_add3_u32 v7, v7, v8, 0x120
.LBB240_296:                            ; =>This Inner Loop Header: Depth=1
	ds_load_2addr_stride64_b32 v[8:9], v7 offset1:2
	v_add_nc_u32_e32 v6, -1, v6
	s_delay_alu instid0(VALU_DEP_1)
	v_cmp_eq_u32_e32 vcc_lo, 0, v6
	s_or_b32 s8, vcc_lo, s8
	s_wait_dscnt 0x0
	v_pk_mul_f32 v[8:9], v[4:5], v[8:9]
	ds_store_2addr_stride64_b32 v7, v8, v9 offset1:2
	v_add_nc_u32_e32 v7, 0x400, v7
	s_and_not1_b32 exec_lo, exec_lo, s8
	s_cbranch_execnz .LBB240_296
.LBB240_297:
	s_or_b32 exec_lo, exec_lo, s4
	v_add_nc_u32_e32 v3, 1, v3
	s_delay_alu instid0(VALU_DEP_1) | instskip(NEXT) | instid1(VALU_DEP_1)
	v_and_b32_e32 v5, 0x3fffffe, v3
	v_cmp_ne_u32_e32 vcc_lo, v3, v5
	v_lshl_add_u32 v3, v5, 7, v0
	s_or_not1_b32 s4, vcc_lo, exec_lo
.LBB240_298:
	s_or_b32 exec_lo, exec_lo, s1
	s_delay_alu instid0(SALU_CYCLE_1)
	s_and_b32 exec_lo, exec_lo, s4
	s_cbranch_execz .LBB240_301
; %bb.299:
	v_lshl_add_u32 v5, v3, 2, 0x120
	s_mov_b32 s1, 0
.LBB240_300:                            ; =>This Inner Loop Header: Depth=1
	ds_load_b32 v6, v5
	s_wait_dscnt 0x0
	v_dual_mul_f32 v6, v4, v6 :: v_dual_add_nc_u32 v3, 0x80, v3
	s_delay_alu instid0(VALU_DEP_1) | instskip(SKIP_3) | instid1(SALU_CYCLE_1)
	v_cmp_le_i32_e32 vcc_lo, s5, v3
	ds_store_b32 v5, v6
	v_add_nc_u32_e32 v5, 0x200, v5
	s_or_b32 s1, vcc_lo, s1
	s_and_not1_b32 exec_lo, exec_lo, s1
	s_cbranch_execnz .LBB240_300
.LBB240_301:
	s_or_b32 exec_lo, exec_lo, s0
	v_mov_b64_e32 v[6:7], 0
	v_mov_b64_e32 v[4:5], 0
	s_wait_dscnt 0x0
	s_barrier_signal -1
	s_barrier_wait -1
	s_and_saveexec_b32 s1, s3
	s_cbranch_execz .LBB240_571
; %bb.302:
	s_abs_i32 s3, s14
	v_dual_mov_b32 v9, 0 :: v_dual_lshlrev_b32 v8, 3, v26
	s_cvt_f32_u32 s0, s3
	s_ashr_i32 s19, s18, 31
	s_lshl_b64 s[26:27], s[26:27], 2
	s_wait_kmcnt 0x0
	s_add_nc_u64 s[18:19], s[28:29], s[18:19]
	v_rcp_iflag_f32_e32 v3, s0
	v_add_nc_u64_e32 v[10:11], s[18:19], v[8:9]
	v_and_b32_e32 v8, 0x7c, v1
	s_add_nc_u64 s[18:19], s[24:25], s[26:27]
	s_sub_co_i32 s4, 0, s3
	v_mov_b64_e32 v[4:5], 0
	v_mov_b64_e32 v[6:7], 0
	v_readfirstlane_b32 s0, v3
	v_add_nc_u64_e32 v[12:13], s[18:19], v[8:9]
	v_lshl_add_u32 v27, v25, 5, 0x120
	v_mov_b32_e32 v28, v25
	s_mov_b32 s5, 0
	s_mul_f32 s0, s0, 0x4f7ffffe
	s_sub_co_i32 s13, s36, s13
	s_mov_b32 s14, s17
	s_add_co_i32 s17, s35, -1
	s_cvt_u32_f32 s0, s0
	s_mov_b64 s[8:9], 0xffffffffffffff
	s_mov_b32 s18, s34
	s_mov_b32 s19, s5
	s_mul_i32 s4, s4, s0
	s_delay_alu instid0(SALU_CYCLE_1) | instskip(NEXT) | instid1(SALU_CYCLE_1)
	s_mul_hi_u32 s4, s0, s4
	s_add_co_i32 s4, s0, s4
	s_branch .LBB240_305
.LBB240_303:                            ;   in Loop: Header=BB240_305 Depth=1
	s_or_b32 exec_lo, exec_lo, s0
	;;#ASMSTART
	v_pk_mul_f16 v1, v42, v15;

	;;#ASMEND
	;;#ASMSTART
	v_pk_mul_f16 v8, v40, v16;

	;;#ASMEND
	;; [unrolled: 4-line block ×4, first 2 shown]
	;;#ASMSTART
	v_pk_add_f16 v1, v1, v8;

	;;#ASMEND
	;;#ASMSTART
	v_pk_add_f16 v1, v1, v3;

	;;#ASMEND
	;; [unrolled: 4-line block ×3, first 2 shown]
	v_and_b32_e32 v14, 0xffff, v1
	v_dual_add_f32 v8, v41, v43 :: v_dual_lshrrev_b32 v15, 16, v1
	;;#ASMSTART
	v_cvt_f32_f16 v14, v14;
	;;#ASMEND
	;;#ASMSTART
	v_cvt_f32_f16 v15, v15;
	;;#ASMEND
	s_delay_alu instid0(VALU_DEP_1) | instskip(SKIP_1) | instid1(VALU_DEP_2)
	v_dual_add_f32 v1, v36, v37 :: v_dual_add_f32 v14, v14, v15
	v_add_f32_e32 v3, v44, v45
	v_dual_add_f32 v4, v4, v8 :: v_dual_add_f32 v7, v7, v14
	s_delay_alu instid0(VALU_DEP_2)
	v_dual_add_f32 v6, v6, v1 :: v_dual_add_f32 v5, v5, v3
.LBB240_304:                            ;   in Loop: Header=BB240_305 Depth=1
	s_or_b32 exec_lo, exec_lo, s24
	v_dual_add_nc_u32 v28, 4, v28 :: v_dual_add_nc_u32 v2, 32, v2
	v_add_nc_u64_e32 v[12:13], 16, v[12:13]
	v_add_nc_u32_e32 v27, 0x80, v27
	s_delay_alu instid0(VALU_DEP_3) | instskip(SKIP_1) | instid1(SALU_CYCLE_1)
	v_cmp_le_i32_e32 vcc_lo, s35, v28
	s_or_b32 s19, vcc_lo, s19
	s_and_not1_b32 exec_lo, exec_lo, s19
	s_cbranch_execz .LBB240_570
.LBB240_305:                            ; =>This Inner Loop Header: Depth=1
	v_mov_b32_e32 v3, v9
	s_delay_alu instid0(VALU_DEP_1) | instskip(NEXT) | instid1(VALU_DEP_1)
	v_mul_u64_e32 v[14:15], s[22:23], v[2:3]
	v_mul_lo_u32 v1, v15, s16
	s_delay_alu instid0(VALU_DEP_1) | instskip(NEXT) | instid1(VALU_DEP_1)
	v_sub_nc_u32_e32 v1, v2, v1
	v_subrev_nc_u32_e32 v8, s16, v1
	v_cmp_le_u32_e32 vcc_lo, s16, v1
	s_delay_alu instid0(VALU_DEP_2) | instskip(NEXT) | instid1(VALU_DEP_1)
	v_dual_add_nc_u32 v3, 1, v15 :: v_dual_cndmask_b32 v1, v1, v8, vcc_lo
	v_cndmask_b32_e32 v3, v15, v3, vcc_lo
	s_delay_alu instid0(VALU_DEP_2) | instskip(NEXT) | instid1(VALU_DEP_2)
	v_cmp_le_u32_e32 vcc_lo, s16, v1
	v_add_nc_u32_e32 v8, 1, v3
	s_delay_alu instid0(VALU_DEP_1) | instskip(NEXT) | instid1(VALU_DEP_1)
	v_cndmask_b32_e32 v1, v3, v8, vcc_lo
	v_xor_b32_e32 v1, s15, v1
	s_delay_alu instid0(VALU_DEP_1) | instskip(NEXT) | instid1(VALU_DEP_1)
	v_subrev_nc_u32_e32 v1, s15, v1
	v_add_nc_u32_e32 v3, s21, v1
	v_cmp_lt_i32_e64 s0, s13, v1
	s_delay_alu instid0(VALU_DEP_2) | instskip(NEXT) | instid1(VALU_DEP_1)
	v_sub_nc_u32_e32 v8, 0, v3
	v_dual_ashrrev_i32 v3, 31, v3 :: v_dual_max_i32 v8, v3, v8
	s_delay_alu instid0(VALU_DEP_1) | instskip(NEXT) | instid1(VALU_DEP_1)
	v_mul_u64_e32 v[14:15], s[4:5], v[8:9]
	v_mul_lo_u32 v14, v15, s3
	s_delay_alu instid0(VALU_DEP_1) | instskip(NEXT) | instid1(VALU_DEP_1)
	v_sub_nc_u32_e32 v8, v8, v14
	v_subrev_nc_u32_e32 v14, s3, v8
	v_cmp_le_u32_e32 vcc_lo, s3, v8
	s_delay_alu instid0(VALU_DEP_2) | instskip(NEXT) | instid1(VALU_DEP_1)
	v_cndmask_b32_e32 v8, v8, v14, vcc_lo
	v_subrev_nc_u32_e32 v14, s3, v8
	v_cmp_le_u32_e32 vcc_lo, s3, v8
	s_delay_alu instid0(VALU_DEP_2) | instskip(NEXT) | instid1(VALU_DEP_1)
	v_cndmask_b32_e32 v8, v8, v14, vcc_lo
	v_xor_b32_e32 v8, v8, v3
	s_delay_alu instid0(VALU_DEP_1) | instskip(NEXT) | instid1(VALU_DEP_1)
	v_sub_nc_u32_e32 v3, v8, v3
	v_cmp_eq_u32_e32 vcc_lo, 0, v3
	s_or_b32 s0, vcc_lo, s0
	s_delay_alu instid0(SALU_CYCLE_1)
	s_and_saveexec_b32 s24, s0
	s_cbranch_execz .LBB240_304
; %bb.306:                              ;   in Loop: Header=BB240_305 Depth=1
	global_load_b32 v1, v[12:13], off
	ds_load_2addr_b64 v[16:19], v27 offset1:1
	ds_load_2addr_b64 v[20:23], v27 offset0:2 offset1:3
	s_mov_b32 s0, exec_lo
	s_wait_dscnt 0x1
	;;#ASMSTART
	v_cvt_f16_f32 v39, v16;

	;;#ASMEND
	;;#ASMSTART
	v_cvt_f16_f32 v36, v17;

	;;#ASMEND
	;; [unrolled: 4-line block ×4, first 2 shown]
	s_wait_dscnt 0x0
	;;#ASMSTART
	v_cvt_f16_f32 v42, v20;

	;;#ASMEND
	;;#ASMSTART
	v_cvt_f16_f32 v38, v21;

	;;#ASMEND
	;; [unrolled: 4-line block ×4, first 2 shown]
	v_mov_b32_e32 v3, 0
	s_wait_loadcnt 0x0
	v_mad_nc_i64_i32 v[14:15], v1, s14, v[10:11]
	v_mov_b32_e32 v1, 0
	global_load_b32 v16, v1, s[10:11]
	global_load_b64 v[18:19], v[14:15], off
	s_wait_loadcnt 0x0
	v_and_b32_e32 v8, 0xff, v18
	s_delay_alu instid0(VALU_DEP_1)
	v_cmpx_ne_u16_e32 0, v8
	s_cbranch_execz .LBB240_314
; %bb.307:                              ;   in Loop: Header=BB240_305 Depth=1
	v_mov_b32_e32 v3, 0x8000
	s_mov_b32 s25, exec_lo
	v_cmpx_ne_u16_e32 0x80, v8
	s_cbranch_execz .LBB240_313
; %bb.308:                              ;   in Loop: Header=BB240_305 Depth=1
	v_and_b32_e32 v17, 0x7f, v18
	v_mov_b32_e32 v3, 0x7c01
	s_mov_b32 s26, exec_lo
	s_delay_alu instid0(VALU_DEP_2)
	v_cmpx_ne_u32_e32 0x7f, v17
	s_cbranch_execz .LBB240_312
; %bb.309:                              ;   in Loop: Header=BB240_305 Depth=1
	v_dual_lshrrev_b32 v8, 3, v17 :: v_dual_bitop2_b32 v3, 7, v18 bitop3:0x40
	s_mov_b32 s27, exec_lo
	v_cmpx_gt_u32_e32 8, v17
; %bb.310:                              ;   in Loop: Header=BB240_305 Depth=1
	s_delay_alu instid0(VALU_DEP_2) | instskip(NEXT) | instid1(VALU_DEP_1)
	v_clz_i32_u32_e32 v3, v3
	v_min_u32_e32 v3, 32, v3
	s_delay_alu instid0(VALU_DEP_1) | instskip(NEXT) | instid1(VALU_DEP_1)
	v_subrev_nc_u32_e32 v8, 28, v3
	v_lshlrev_b64_e32 v[20:21], v8, v[18:19]
	s_delay_alu instid0(VALU_DEP_1)
	v_dual_sub_nc_u32 v8, 29, v3 :: v_dual_bitop2_b32 v3, 7, v20 bitop3:0x40
; %bb.311:                              ;   in Loop: Header=BB240_305 Depth=1
	s_or_b32 exec_lo, exec_lo, s27
	s_delay_alu instid0(VALU_DEP_1) | instskip(NEXT) | instid1(VALU_DEP_2)
	v_dual_lshlrev_b32 v17, 8, v18 :: v_dual_lshlrev_b32 v3, 7, v3
	v_lshl_add_u32 v8, v8, 10, 0x2000
	s_delay_alu instid0(VALU_DEP_2) | instskip(NEXT) | instid1(VALU_DEP_2)
	v_and_b32_e32 v17, 0x8000, v17
	v_and_b32_e32 v8, 0xfc00, v8
	s_delay_alu instid0(VALU_DEP_1)
	v_or3_b32 v3, v17, v8, v3
.LBB240_312:                            ;   in Loop: Header=BB240_305 Depth=1
	s_or_b32 exec_lo, exec_lo, s26
.LBB240_313:                            ;   in Loop: Header=BB240_305 Depth=1
	s_delay_alu instid0(SALU_CYCLE_1)
	s_or_b32 exec_lo, exec_lo, s25
.LBB240_314:                            ;   in Loop: Header=BB240_305 Depth=1
	s_delay_alu instid0(SALU_CYCLE_1) | instskip(SKIP_2) | instid1(VALU_DEP_1)
	s_or_b32 exec_lo, exec_lo, s0
	v_lshrrev_b16 v8, 8, v18
	s_mov_b32 s0, exec_lo
	v_cmpx_ne_u16_e32 0, v8
	s_cbranch_execz .LBB240_322
; %bb.315:                              ;   in Loop: Header=BB240_305 Depth=1
	v_bfrev_b32_e32 v1, 1
	s_mov_b32 s25, exec_lo
	v_cmpx_ne_u16_e32 0x80, v8
	s_cbranch_execz .LBB240_321
; %bb.316:                              ;   in Loop: Header=BB240_305 Depth=1
	v_and_b32_e32 v17, 0xffff, v8
	v_mov_b32_e32 v1, 0x7c010000
	s_mov_b32 s26, exec_lo
	s_delay_alu instid0(VALU_DEP_2) | instskip(NEXT) | instid1(VALU_DEP_1)
	v_and_b32_e32 v21, 0x7f, v17
	v_cmpx_ne_u32_e32 0x7f, v21
	s_cbranch_execz .LBB240_320
; %bb.317:                              ;   in Loop: Header=BB240_305 Depth=1
	v_and_b32_e32 v1, 7, v17
	v_lshrrev_b32_e32 v20, 3, v21
	s_mov_b32 s27, exec_lo
	v_cmpx_gt_u32_e32 8, v21
; %bb.318:                              ;   in Loop: Header=BB240_305 Depth=1
	s_delay_alu instid0(VALU_DEP_3) | instskip(NEXT) | instid1(VALU_DEP_1)
	v_clz_i32_u32_e32 v1, v1
	v_min_u32_e32 v1, 32, v1
	s_delay_alu instid0(VALU_DEP_1) | instskip(NEXT) | instid1(VALU_DEP_1)
	v_subrev_nc_u32_e32 v20, 28, v1
	v_lshlrev_b64_e32 v[22:23], v20, v[8:9]
	s_delay_alu instid0(VALU_DEP_1)
	v_dual_sub_nc_u32 v20, 29, v1 :: v_dual_bitop2_b32 v1, 7, v22 bitop3:0x40
; %bb.319:                              ;   in Loop: Header=BB240_305 Depth=1
	s_or_b32 exec_lo, exec_lo, s27
	v_lshlrev_b32_e32 v8, 8, v17
	s_delay_alu instid0(VALU_DEP_2) | instskip(NEXT) | instid1(VALU_DEP_3)
	v_lshl_add_u32 v17, v20, 10, 0x2000
	v_lshlrev_b32_e32 v1, 23, v1
	s_delay_alu instid0(VALU_DEP_2) | instskip(NEXT) | instid1(VALU_DEP_1)
	v_and_or_b32 v8, 0x8000, v8, v17
	v_lshl_or_b32 v1, v8, 16, v1
.LBB240_320:                            ;   in Loop: Header=BB240_305 Depth=1
	s_or_b32 exec_lo, exec_lo, s26
.LBB240_321:                            ;   in Loop: Header=BB240_305 Depth=1
	s_delay_alu instid0(SALU_CYCLE_1)
	s_or_b32 exec_lo, exec_lo, s25
.LBB240_322:                            ;   in Loop: Header=BB240_305 Depth=1
	s_delay_alu instid0(SALU_CYCLE_1) | instskip(SKIP_3) | instid1(VALU_DEP_2)
	s_or_b32 exec_lo, exec_lo, s0
	v_dual_mov_b32 v17, 0 :: v_dual_lshrrev_b32 v8, 16, v18
	v_mov_b32_e32 v20, 0
	s_mov_b32 s0, exec_lo
	v_and_b32_e32 v21, 0xff, v8
	s_delay_alu instid0(VALU_DEP_1)
	v_cmpx_ne_u16_e32 0, v21
	s_cbranch_execz .LBB240_330
; %bb.323:                              ;   in Loop: Header=BB240_305 Depth=1
	v_mov_b32_e32 v20, 0x8000
	s_mov_b32 s25, exec_lo
	v_cmpx_ne_u16_e32 0x80, v21
	s_cbranch_execz .LBB240_329
; %bb.324:                              ;   in Loop: Header=BB240_305 Depth=1
	v_bfe_u32 v22, v18, 16, 7
	v_mov_b32_e32 v20, 0x7c01
	s_mov_b32 s26, exec_lo
	s_delay_alu instid0(VALU_DEP_2)
	v_cmpx_ne_u32_e32 0x7f, v22
	s_cbranch_execz .LBB240_328
; %bb.325:                              ;   in Loop: Header=BB240_305 Depth=1
	v_dual_lshrrev_b32 v21, 3, v22 :: v_dual_bitop2_b32 v20, 7, v8 bitop3:0x40
	s_mov_b32 s27, exec_lo
	v_cmpx_gt_u32_e32 8, v22
; %bb.326:                              ;   in Loop: Header=BB240_305 Depth=1
	s_delay_alu instid0(VALU_DEP_2) | instskip(NEXT) | instid1(VALU_DEP_1)
	v_clz_i32_u32_e32 v20, v20
	v_min_u32_e32 v22, 32, v20
	s_delay_alu instid0(VALU_DEP_1) | instskip(NEXT) | instid1(VALU_DEP_1)
	v_subrev_nc_u32_e32 v20, 28, v22
	v_lshlrev_b64_e32 v[20:21], v20, v[8:9]
	s_delay_alu instid0(VALU_DEP_1)
	v_dual_sub_nc_u32 v21, 29, v22 :: v_dual_bitop2_b32 v20, 7, v20 bitop3:0x40
; %bb.327:                              ;   in Loop: Header=BB240_305 Depth=1
	s_or_b32 exec_lo, exec_lo, s27
	v_lshlrev_b32_e32 v8, 8, v8
	s_delay_alu instid0(VALU_DEP_2) | instskip(NEXT) | instid1(VALU_DEP_3)
	v_lshl_add_u32 v21, v21, 10, 0x2000
	v_lshlrev_b32_e32 v20, 7, v20
	s_delay_alu instid0(VALU_DEP_3) | instskip(NEXT) | instid1(VALU_DEP_3)
	v_and_b32_e32 v8, 0x8000, v8
	v_and_b32_e32 v21, 0xfc00, v21
	s_delay_alu instid0(VALU_DEP_1)
	v_or3_b32 v20, v8, v21, v20
.LBB240_328:                            ;   in Loop: Header=BB240_305 Depth=1
	s_or_b32 exec_lo, exec_lo, s26
.LBB240_329:                            ;   in Loop: Header=BB240_305 Depth=1
	s_delay_alu instid0(SALU_CYCLE_1)
	s_or_b32 exec_lo, exec_lo, s25
.LBB240_330:                            ;   in Loop: Header=BB240_305 Depth=1
	s_delay_alu instid0(SALU_CYCLE_1) | instskip(NEXT) | instid1(SALU_CYCLE_1)
	s_or_b32 exec_lo, exec_lo, s0
	s_mov_b32 s0, exec_lo
	v_cmpx_lt_u32_e32 0xffffff, v18
	s_cbranch_execz .LBB240_338
; %bb.331:                              ;   in Loop: Header=BB240_305 Depth=1
	v_lshrrev_b32_e32 v8, 24, v18
	v_bfrev_b32_e32 v17, 1
	s_mov_b32 s25, exec_lo
	s_delay_alu instid0(VALU_DEP_2)
	v_cmpx_ne_u32_e32 0x80, v8
	s_cbranch_execz .LBB240_337
; %bb.332:                              ;   in Loop: Header=BB240_305 Depth=1
	v_and_b32_e32 v22, 0x7f, v8
	v_mov_b32_e32 v17, 0x7c010000
	s_mov_b32 s26, exec_lo
	s_delay_alu instid0(VALU_DEP_2)
	v_cmpx_ne_u32_e32 0x7f, v22
	s_cbranch_execz .LBB240_336
; %bb.333:                              ;   in Loop: Header=BB240_305 Depth=1
	v_dual_lshrrev_b32 v21, 3, v22 :: v_dual_bitop2_b32 v17, 7, v8 bitop3:0x40
	s_mov_b32 s27, exec_lo
	v_cmpx_gt_u32_e32 8, v22
; %bb.334:                              ;   in Loop: Header=BB240_305 Depth=1
	s_delay_alu instid0(VALU_DEP_2) | instskip(NEXT) | instid1(VALU_DEP_1)
	v_clz_i32_u32_e32 v17, v17
	v_min_u32_e32 v17, 32, v17
	s_delay_alu instid0(VALU_DEP_1) | instskip(NEXT) | instid1(VALU_DEP_1)
	v_subrev_nc_u32_e32 v21, 28, v17
	v_lshlrev_b64_e32 v[22:23], v21, v[8:9]
	s_delay_alu instid0(VALU_DEP_1)
	v_dual_sub_nc_u32 v21, 29, v17 :: v_dual_bitop2_b32 v17, 7, v22 bitop3:0x40
; %bb.335:                              ;   in Loop: Header=BB240_305 Depth=1
	s_or_b32 exec_lo, exec_lo, s27
	s_delay_alu instid0(VALU_DEP_1) | instskip(NEXT) | instid1(VALU_DEP_2)
	v_dual_lshlrev_b32 v8, 8, v8 :: v_dual_lshlrev_b32 v17, 23, v17
	v_lshl_add_u32 v21, v21, 10, 0x2000
	s_delay_alu instid0(VALU_DEP_1) | instskip(NEXT) | instid1(VALU_DEP_1)
	v_and_or_b32 v8, 0x8000, v8, v21
	v_lshl_or_b32 v17, v8, 16, v17
.LBB240_336:                            ;   in Loop: Header=BB240_305 Depth=1
	s_or_b32 exec_lo, exec_lo, s26
.LBB240_337:                            ;   in Loop: Header=BB240_305 Depth=1
	s_delay_alu instid0(SALU_CYCLE_1)
	s_or_b32 exec_lo, exec_lo, s25
.LBB240_338:                            ;   in Loop: Header=BB240_305 Depth=1
	s_delay_alu instid0(SALU_CYCLE_1) | instskip(SKIP_4) | instid1(VALU_DEP_3)
	s_or_b32 exec_lo, exec_lo, s0
	v_and_b32_e32 v23, 0xff, v19
	v_dual_mov_b32 v8, v19 :: v_dual_mov_b32 v22, 0
	v_mov_b32_e32 v21, 0
	s_mov_b32 s0, exec_lo
	v_cmpx_ne_u16_e32 0, v23
	s_cbranch_execz .LBB240_346
; %bb.339:                              ;   in Loop: Header=BB240_305 Depth=1
	v_mov_b32_e32 v21, 0x8000
	s_mov_b32 s25, exec_lo
	v_cmpx_ne_u16_e32 0x80, v23
	s_cbranch_execz .LBB240_345
; %bb.340:                              ;   in Loop: Header=BB240_305 Depth=1
	v_and_b32_e32 v24, 0x7f, v19
	v_mov_b32_e32 v21, 0x7c01
	s_mov_b32 s26, exec_lo
	s_delay_alu instid0(VALU_DEP_2)
	v_cmpx_ne_u32_e32 0x7f, v24
	s_cbranch_execz .LBB240_344
; %bb.341:                              ;   in Loop: Header=BB240_305 Depth=1
	v_dual_lshrrev_b32 v23, 3, v24 :: v_dual_bitop2_b32 v21, 7, v19 bitop3:0x40
	s_mov_b32 s27, exec_lo
	v_cmpx_gt_u32_e32 8, v24
; %bb.342:                              ;   in Loop: Header=BB240_305 Depth=1
	s_delay_alu instid0(VALU_DEP_2) | instskip(NEXT) | instid1(VALU_DEP_1)
	v_clz_i32_u32_e32 v21, v21
	v_min_u32_e32 v21, 32, v21
	s_delay_alu instid0(VALU_DEP_1) | instskip(NEXT) | instid1(VALU_DEP_1)
	v_subrev_nc_u32_e32 v23, 28, v21
	v_lshlrev_b64_e32 v[30:31], v23, v[8:9]
	s_delay_alu instid0(VALU_DEP_1)
	v_dual_sub_nc_u32 v23, 29, v21 :: v_dual_bitop2_b32 v21, 7, v30 bitop3:0x40
; %bb.343:                              ;   in Loop: Header=BB240_305 Depth=1
	s_or_b32 exec_lo, exec_lo, s27
	s_delay_alu instid0(VALU_DEP_1) | instskip(NEXT) | instid1(VALU_DEP_2)
	v_dual_lshlrev_b32 v24, 8, v19 :: v_dual_lshlrev_b32 v21, 7, v21
	v_lshl_add_u32 v23, v23, 10, 0x2000
	s_delay_alu instid0(VALU_DEP_2) | instskip(NEXT) | instid1(VALU_DEP_2)
	v_and_b32_e32 v24, 0x8000, v24
	v_and_b32_e32 v23, 0xfc00, v23
	s_delay_alu instid0(VALU_DEP_1)
	v_or3_b32 v21, v24, v23, v21
.LBB240_344:                            ;   in Loop: Header=BB240_305 Depth=1
	s_or_b32 exec_lo, exec_lo, s26
.LBB240_345:                            ;   in Loop: Header=BB240_305 Depth=1
	s_delay_alu instid0(SALU_CYCLE_1)
	s_or_b32 exec_lo, exec_lo, s25
.LBB240_346:                            ;   in Loop: Header=BB240_305 Depth=1
	s_delay_alu instid0(SALU_CYCLE_1) | instskip(SKIP_3) | instid1(VALU_DEP_2)
	s_or_b32 exec_lo, exec_lo, s0
	v_lshrrev_b16 v8, 8, v8
	v_mov_b32_e32 v23, 0
	s_mov_b32 s0, exec_lo
	v_cmpx_ne_u16_e32 0, v8
	s_cbranch_execz .LBB240_354
; %bb.347:                              ;   in Loop: Header=BB240_305 Depth=1
	v_bfrev_b32_e32 v23, 1
	s_mov_b32 s25, exec_lo
	v_cmpx_ne_u16_e32 0x80, v8
	s_cbranch_execz .LBB240_353
; %bb.348:                              ;   in Loop: Header=BB240_305 Depth=1
	v_and_b32_e32 v24, 0xffff, v8
	v_mov_b32_e32 v23, 0x7c010000
	s_mov_b32 s26, exec_lo
	s_delay_alu instid0(VALU_DEP_2) | instskip(NEXT) | instid1(VALU_DEP_1)
	v_and_b32_e32 v30, 0x7f, v24
	v_cmpx_ne_u32_e32 0x7f, v30
	s_cbranch_execz .LBB240_352
; %bb.349:                              ;   in Loop: Header=BB240_305 Depth=1
	v_dual_lshrrev_b32 v29, 3, v30 :: v_dual_bitop2_b32 v23, 7, v24 bitop3:0x40
	s_mov_b32 s27, exec_lo
	v_cmpx_gt_u32_e32 8, v30
; %bb.350:                              ;   in Loop: Header=BB240_305 Depth=1
	s_delay_alu instid0(VALU_DEP_2) | instskip(NEXT) | instid1(VALU_DEP_1)
	v_clz_i32_u32_e32 v23, v23
	v_min_u32_e32 v23, 32, v23
	s_delay_alu instid0(VALU_DEP_1) | instskip(NEXT) | instid1(VALU_DEP_1)
	v_subrev_nc_u32_e32 v29, 28, v23
	v_lshlrev_b64_e32 v[30:31], v29, v[8:9]
	s_delay_alu instid0(VALU_DEP_1)
	v_dual_sub_nc_u32 v29, 29, v23 :: v_dual_bitop2_b32 v23, 7, v30 bitop3:0x40
; %bb.351:                              ;   in Loop: Header=BB240_305 Depth=1
	s_or_b32 exec_lo, exec_lo, s27
	s_delay_alu instid0(VALU_DEP_1) | instskip(NEXT) | instid1(VALU_DEP_2)
	v_dual_lshlrev_b32 v8, 8, v24 :: v_dual_lshlrev_b32 v23, 23, v23
	v_lshl_add_u32 v24, v29, 10, 0x2000
	s_delay_alu instid0(VALU_DEP_1) | instskip(NEXT) | instid1(VALU_DEP_1)
	v_and_or_b32 v8, 0x8000, v8, v24
	v_lshl_or_b32 v23, v8, 16, v23
.LBB240_352:                            ;   in Loop: Header=BB240_305 Depth=1
	s_or_b32 exec_lo, exec_lo, s26
.LBB240_353:                            ;   in Loop: Header=BB240_305 Depth=1
	s_delay_alu instid0(SALU_CYCLE_1)
	s_or_b32 exec_lo, exec_lo, s25
.LBB240_354:                            ;   in Loop: Header=BB240_305 Depth=1
	s_delay_alu instid0(SALU_CYCLE_1) | instskip(SKIP_2) | instid1(VALU_DEP_1)
	s_or_b32 exec_lo, exec_lo, s0
	v_lshrrev_b32_e32 v8, 16, v19
	s_mov_b32 s0, exec_lo
	v_and_b32_e32 v24, 0xff, v8
	s_delay_alu instid0(VALU_DEP_1)
	v_cmpx_ne_u16_e32 0, v24
	s_cbranch_execz .LBB240_362
; %bb.355:                              ;   in Loop: Header=BB240_305 Depth=1
	v_mov_b32_e32 v22, 0x8000
	s_mov_b32 s25, exec_lo
	v_cmpx_ne_u16_e32 0x80, v24
	s_cbranch_execz .LBB240_361
; %bb.356:                              ;   in Loop: Header=BB240_305 Depth=1
	v_bfe_u32 v29, v19, 16, 7
	v_mov_b32_e32 v22, 0x7c01
	s_mov_b32 s26, exec_lo
	s_delay_alu instid0(VALU_DEP_2)
	v_cmpx_ne_u32_e32 0x7f, v29
	s_cbranch_execz .LBB240_360
; %bb.357:                              ;   in Loop: Header=BB240_305 Depth=1
	v_dual_lshrrev_b32 v24, 3, v29 :: v_dual_bitop2_b32 v22, 7, v8 bitop3:0x40
	s_mov_b32 s27, exec_lo
	v_cmpx_gt_u32_e32 8, v29
; %bb.358:                              ;   in Loop: Header=BB240_305 Depth=1
	s_delay_alu instid0(VALU_DEP_2) | instskip(NEXT) | instid1(VALU_DEP_1)
	v_clz_i32_u32_e32 v22, v22
	v_min_u32_e32 v22, 32, v22
	s_delay_alu instid0(VALU_DEP_1) | instskip(NEXT) | instid1(VALU_DEP_1)
	v_subrev_nc_u32_e32 v24, 28, v22
	v_lshlrev_b64_e32 v[30:31], v24, v[8:9]
	v_sub_nc_u32_e32 v24, 29, v22
	s_delay_alu instid0(VALU_DEP_2)
	v_and_b32_e32 v22, 7, v30
; %bb.359:                              ;   in Loop: Header=BB240_305 Depth=1
	s_or_b32 exec_lo, exec_lo, s27
	s_delay_alu instid0(VALU_DEP_1) | instskip(NEXT) | instid1(VALU_DEP_3)
	v_dual_lshlrev_b32 v8, 8, v8 :: v_dual_lshlrev_b32 v22, 7, v22
	v_lshl_add_u32 v24, v24, 10, 0x2000
	s_delay_alu instid0(VALU_DEP_2) | instskip(NEXT) | instid1(VALU_DEP_2)
	v_and_b32_e32 v8, 0x8000, v8
	v_and_b32_e32 v24, 0xfc00, v24
	s_delay_alu instid0(VALU_DEP_1)
	v_or3_b32 v22, v8, v24, v22
.LBB240_360:                            ;   in Loop: Header=BB240_305 Depth=1
	s_or_b32 exec_lo, exec_lo, s26
.LBB240_361:                            ;   in Loop: Header=BB240_305 Depth=1
	s_delay_alu instid0(SALU_CYCLE_1)
	s_or_b32 exec_lo, exec_lo, s25
.LBB240_362:                            ;   in Loop: Header=BB240_305 Depth=1
	s_delay_alu instid0(SALU_CYCLE_1)
	s_or_b32 exec_lo, exec_lo, s0
	v_cmp_lt_u64_e32 vcc_lo, s[8:9], v[18:19]
	v_mov_b32_e32 v18, 0
	s_and_saveexec_b32 s0, vcc_lo
	s_cbranch_execz .LBB240_370
; %bb.363:                              ;   in Loop: Header=BB240_305 Depth=1
	v_lshrrev_b32_e32 v8, 24, v19
	v_bfrev_b32_e32 v18, 1
	s_mov_b32 s25, exec_lo
	s_delay_alu instid0(VALU_DEP_2)
	v_cmpx_ne_u32_e32 0x80, v8
	s_cbranch_execz .LBB240_369
; %bb.364:                              ;   in Loop: Header=BB240_305 Depth=1
	v_and_b32_e32 v24, 0x7f, v8
	v_mov_b32_e32 v18, 0x7c010000
	s_mov_b32 s26, exec_lo
	s_delay_alu instid0(VALU_DEP_2)
	v_cmpx_ne_u32_e32 0x7f, v24
	s_cbranch_execz .LBB240_368
; %bb.365:                              ;   in Loop: Header=BB240_305 Depth=1
	v_and_b32_e32 v18, 7, v8
	v_lshrrev_b32_e32 v19, 3, v24
	s_mov_b32 s27, exec_lo
	v_cmpx_gt_u32_e32 8, v24
; %bb.366:                              ;   in Loop: Header=BB240_305 Depth=1
	s_delay_alu instid0(VALU_DEP_3) | instskip(NEXT) | instid1(VALU_DEP_1)
	v_clz_i32_u32_e32 v18, v18
	v_min_u32_e32 v24, 32, v18
	s_delay_alu instid0(VALU_DEP_1) | instskip(NEXT) | instid1(VALU_DEP_1)
	v_subrev_nc_u32_e32 v18, 28, v24
	v_lshlrev_b64_e32 v[18:19], v18, v[8:9]
	s_delay_alu instid0(VALU_DEP_1)
	v_dual_sub_nc_u32 v19, 29, v24 :: v_dual_bitop2_b32 v18, 7, v18 bitop3:0x40
; %bb.367:                              ;   in Loop: Header=BB240_305 Depth=1
	s_or_b32 exec_lo, exec_lo, s27
	s_delay_alu instid0(VALU_DEP_1) | instskip(NEXT) | instid1(VALU_DEP_2)
	v_dual_lshlrev_b32 v8, 8, v8 :: v_dual_lshlrev_b32 v18, 23, v18
	v_lshl_add_u32 v19, v19, 10, 0x2000
	s_delay_alu instid0(VALU_DEP_1) | instskip(NEXT) | instid1(VALU_DEP_1)
	v_and_or_b32 v8, 0x8000, v8, v19
	v_lshl_or_b32 v18, v8, 16, v18
.LBB240_368:                            ;   in Loop: Header=BB240_305 Depth=1
	s_or_b32 exec_lo, exec_lo, s26
.LBB240_369:                            ;   in Loop: Header=BB240_305 Depth=1
	s_delay_alu instid0(SALU_CYCLE_1)
	s_or_b32 exec_lo, exec_lo, s25
.LBB240_370:                            ;   in Loop: Header=BB240_305 Depth=1
	s_delay_alu instid0(SALU_CYCLE_1) | instskip(SKIP_3) | instid1(VALU_DEP_3)
	s_or_b32 exec_lo, exec_lo, s0
	v_dual_lshrrev_b32 v8, 16, v1 :: v_dual_bitop2_b32 v1, v1, v3 bitop3:0x54
	v_dual_lshrrev_b32 v19, 16, v17 :: v_dual_bitop2_b32 v3, v17, v20 bitop3:0x54
	v_lshrrev_b32_e32 v20, 16, v18
	v_cvt_f32_f16_e32 v31, v8
	v_dual_lshrrev_b32 v17, 16, v23 :: v_dual_bitop2_b32 v8, v18, v22 bitop3:0x54
	s_delay_alu instid0(VALU_DEP_4)
	v_cvt_f32_f16_e32 v30, v19
	v_cvt_f32_f16_e32 v18, v3
	v_or_b32_e32 v3, v23, v21
	v_cvt_f32_f16_e32 v19, v1
	v_cvt_f32_f16_e32 v21, v17
	v_pk_mul_f32 v[30:31], v[16:17], v[30:31] op_sel_hi:[0,1]
	v_cvt_f32_f16_e32 v20, v20
	v_cvt_f32_f16_e32 v22, v8
	;; [unrolled: 1-line block ×3, first 2 shown]
	v_pk_mul_f32 v[18:19], v[16:17], v[18:19] op_sel_hi:[0,1]
	v_cvt_pk_f16_f32 v1, v30, v31
	v_pk_mul_f32 v[30:31], v[16:17], v[20:21] op_sel_hi:[0,1]
	v_cmp_eq_u32_e32 vcc_lo, s17, v28
	v_pk_mul_f32 v[16:17], v[16:17], v[22:23] op_sel_hi:[0,1]
	v_cvt_pk_f16_f32 v3, v18, v19
	v_and_b32_e32 v21, 0xffff0000, v1
	v_cvt_pk_f16_f32 v8, v30, v31
	v_lshlrev_b32_e32 v22, 16, v1
	v_cvt_pk_f16_f32 v16, v16, v17
	v_lshrrev_b32_e32 v23, 16, v3
	v_and_b32_e32 v24, 0xffff, v3
	v_and_b32_e32 v1, 0xffff0000, v8
	v_lshlrev_b32_e32 v8, 16, v8
	v_dual_lshrrev_b32 v19, 16, v16 :: v_dual_add_nc_u32 v35, 2, v2
	v_and_b32_e32 v20, 0xffff, v16
	v_or_b32_e32 v17, v21, v23
	v_or_b32_e32 v18, v22, v24
	s_delay_alu instid0(VALU_DEP_4)
	v_or_b32_e32 v3, v1, v19
	v_or_b32_e32 v34, 1, v2
	;; [unrolled: 1-line block ×8, first 2 shown]
	s_and_saveexec_b32 s25, vcc_lo
	s_cbranch_execz .LBB240_372
; %bb.371:                              ;   in Loop: Header=BB240_305 Depth=1
	v_cmp_gt_i32_e64 s0, s18, v2
	s_delay_alu instid0(VALU_DEP_1) | instskip(SKIP_1) | instid1(VALU_DEP_1)
	v_cndmask_b32_e64 v3, 0, v23, s0
	v_cmp_gt_i32_e64 s0, s34, v35
	v_cndmask_b32_e64 v16, 0, v24, s0
	v_cmp_gt_i32_e64 s0, s18, v34
	s_delay_alu instid0(VALU_DEP_1) | instskip(SKIP_1) | instid1(VALU_DEP_1)
	v_cndmask_b32_e64 v17, 0, v21, s0
	v_cmp_gt_i32_e64 s0, s34, v33
	v_cndmask_b32_e64 v18, 0, v22, s0
	v_cmp_gt_i32_e64 s0, s18, v32
	s_delay_alu instid0(VALU_DEP_4) | instskip(NEXT) | instid1(VALU_DEP_2)
	v_or_b32_e32 v17, v17, v3
	v_dual_cndmask_b32 v19, 0, v19, s0 :: v_dual_bitop2_b32 v18, v18, v16 bitop3:0x54
	v_cmp_gt_i32_e64 s0, s34, v31
	s_delay_alu instid0(VALU_DEP_1) | instskip(SKIP_1) | instid1(VALU_DEP_1)
	v_cndmask_b32_e64 v20, 0, v20, s0
	v_cmp_gt_i32_e64 s0, s18, v30
	v_cndmask_b32_e64 v1, 0, v1, s0
	v_cmp_gt_i32_e64 s0, s34, v29
	s_delay_alu instid0(VALU_DEP_1) | instskip(NEXT) | instid1(VALU_DEP_1)
	v_dual_cndmask_b32 v8, 0, v8, s0 :: v_dual_bitop2_b32 v3, v1, v19 bitop3:0x54
	v_or_b32_e32 v16, v8, v20
.LBB240_372:                            ;   in Loop: Header=BB240_305 Depth=1
	s_or_b32 exec_lo, exec_lo, s25
	v_and_b32_e32 v1, 0xffff, v39
	v_and_b32_e32 v8, 0xffff, v40
	;; [unrolled: 1-line block ×4, first 2 shown]
	s_mov_b32 s25, exec_lo
	v_lshl_or_b32 v42, v36, 16, v1
	;;#ASMSTART
	v_pk_mul_f16 v1, v42, v17;

	;;#ASMEND
	v_lshl_or_b32 v40, v37, 16, v8
	v_lshl_or_b32 v39, v38, 16, v19
	;; [unrolled: 1-line block ×3, first 2 shown]
	;;#ASMSTART
	v_pk_mul_f16 v8, v40, v18;

	;;#ASMEND
	;;#ASMSTART
	v_pk_mul_f16 v3, v39, v3;

	;;#ASMEND
	;; [unrolled: 4-line block ×3, first 2 shown]
	;;#ASMSTART
	v_pk_add_f16 v1, v1, v8;

	;;#ASMEND
	;;#ASMSTART
	v_pk_add_f16 v1, v1, v3;

	;;#ASMEND
	;; [unrolled: 4-line block ×3, first 2 shown]
	v_and_b32_e32 v3, 0xffff, v1
	v_lshrrev_b32_e32 v1, 16, v1
	;;#ASMSTART
	v_cvt_f32_f16 v41, v3;
	;;#ASMEND
	v_mov_b32_e32 v3, 0
	;;#ASMSTART
	v_cvt_f32_f16 v43, v1;
	;;#ASMEND
	global_load_b64 v[18:19], v[14:15], off offset:256
	v_mov_b32_e32 v1, 0
	global_load_b32 v16, v1, s[10:11]
	s_wait_loadcnt 0x1
	v_and_b32_e32 v8, 0xff, v18
	s_wait_xcnt 0x0
	s_delay_alu instid0(VALU_DEP_1)
	v_cmpx_ne_u16_e32 0, v8
	s_cbranch_execz .LBB240_380
; %bb.373:                              ;   in Loop: Header=BB240_305 Depth=1
	v_mov_b32_e32 v3, 0x8000
	s_mov_b32 s26, exec_lo
	v_cmpx_ne_u16_e32 0x80, v8
	s_cbranch_execz .LBB240_379
; %bb.374:                              ;   in Loop: Header=BB240_305 Depth=1
	v_and_b32_e32 v17, 0x7f, v18
	v_mov_b32_e32 v3, 0x7c01
	s_mov_b32 s27, exec_lo
	s_delay_alu instid0(VALU_DEP_2)
	v_cmpx_ne_u32_e32 0x7f, v17
	s_cbranch_execz .LBB240_378
; %bb.375:                              ;   in Loop: Header=BB240_305 Depth=1
	v_dual_lshrrev_b32 v8, 3, v17 :: v_dual_bitop2_b32 v3, 7, v18 bitop3:0x40
	s_mov_b32 s28, exec_lo
	v_cmpx_gt_u32_e32 8, v17
; %bb.376:                              ;   in Loop: Header=BB240_305 Depth=1
	s_delay_alu instid0(VALU_DEP_2) | instskip(NEXT) | instid1(VALU_DEP_1)
	v_clz_i32_u32_e32 v3, v3
	v_min_u32_e32 v3, 32, v3
	s_delay_alu instid0(VALU_DEP_1) | instskip(NEXT) | instid1(VALU_DEP_1)
	v_subrev_nc_u32_e32 v8, 28, v3
	v_lshlrev_b64_e32 v[20:21], v8, v[18:19]
	s_delay_alu instid0(VALU_DEP_1)
	v_dual_sub_nc_u32 v8, 29, v3 :: v_dual_bitop2_b32 v3, 7, v20 bitop3:0x40
; %bb.377:                              ;   in Loop: Header=BB240_305 Depth=1
	s_or_b32 exec_lo, exec_lo, s28
	s_delay_alu instid0(VALU_DEP_1) | instskip(NEXT) | instid1(VALU_DEP_2)
	v_dual_lshlrev_b32 v17, 8, v18 :: v_dual_lshlrev_b32 v3, 7, v3
	v_lshl_add_u32 v8, v8, 10, 0x2000
	s_delay_alu instid0(VALU_DEP_2) | instskip(NEXT) | instid1(VALU_DEP_2)
	v_and_b32_e32 v17, 0x8000, v17
	v_and_b32_e32 v8, 0xfc00, v8
	s_delay_alu instid0(VALU_DEP_1)
	v_or3_b32 v3, v17, v8, v3
.LBB240_378:                            ;   in Loop: Header=BB240_305 Depth=1
	s_or_b32 exec_lo, exec_lo, s27
.LBB240_379:                            ;   in Loop: Header=BB240_305 Depth=1
	s_delay_alu instid0(SALU_CYCLE_1)
	s_or_b32 exec_lo, exec_lo, s26
.LBB240_380:                            ;   in Loop: Header=BB240_305 Depth=1
	s_delay_alu instid0(SALU_CYCLE_1) | instskip(SKIP_2) | instid1(VALU_DEP_1)
	s_or_b32 exec_lo, exec_lo, s25
	v_lshrrev_b16 v8, 8, v18
	s_mov_b32 s25, exec_lo
	v_cmpx_ne_u16_e32 0, v8
	s_cbranch_execz .LBB240_388
; %bb.381:                              ;   in Loop: Header=BB240_305 Depth=1
	v_bfrev_b32_e32 v1, 1
	s_mov_b32 s26, exec_lo
	v_cmpx_ne_u16_e32 0x80, v8
	s_cbranch_execz .LBB240_387
; %bb.382:                              ;   in Loop: Header=BB240_305 Depth=1
	v_and_b32_e32 v17, 0xffff, v8
	v_mov_b32_e32 v1, 0x7c010000
	s_mov_b32 s27, exec_lo
	s_delay_alu instid0(VALU_DEP_2) | instskip(NEXT) | instid1(VALU_DEP_1)
	v_and_b32_e32 v21, 0x7f, v17
	v_cmpx_ne_u32_e32 0x7f, v21
	s_cbranch_execz .LBB240_386
; %bb.383:                              ;   in Loop: Header=BB240_305 Depth=1
	v_and_b32_e32 v1, 7, v17
	v_lshrrev_b32_e32 v20, 3, v21
	s_mov_b32 s28, exec_lo
	v_cmpx_gt_u32_e32 8, v21
; %bb.384:                              ;   in Loop: Header=BB240_305 Depth=1
	s_delay_alu instid0(VALU_DEP_3) | instskip(NEXT) | instid1(VALU_DEP_1)
	v_clz_i32_u32_e32 v1, v1
	v_min_u32_e32 v1, 32, v1
	s_delay_alu instid0(VALU_DEP_1) | instskip(NEXT) | instid1(VALU_DEP_1)
	v_subrev_nc_u32_e32 v20, 28, v1
	v_lshlrev_b64_e32 v[22:23], v20, v[8:9]
	s_delay_alu instid0(VALU_DEP_1)
	v_dual_sub_nc_u32 v20, 29, v1 :: v_dual_bitop2_b32 v1, 7, v22 bitop3:0x40
; %bb.385:                              ;   in Loop: Header=BB240_305 Depth=1
	s_or_b32 exec_lo, exec_lo, s28
	v_lshlrev_b32_e32 v8, 8, v17
	s_delay_alu instid0(VALU_DEP_2) | instskip(NEXT) | instid1(VALU_DEP_3)
	v_lshl_add_u32 v17, v20, 10, 0x2000
	v_lshlrev_b32_e32 v1, 23, v1
	s_delay_alu instid0(VALU_DEP_2) | instskip(NEXT) | instid1(VALU_DEP_1)
	v_and_or_b32 v8, 0x8000, v8, v17
	v_lshl_or_b32 v1, v8, 16, v1
.LBB240_386:                            ;   in Loop: Header=BB240_305 Depth=1
	s_or_b32 exec_lo, exec_lo, s27
.LBB240_387:                            ;   in Loop: Header=BB240_305 Depth=1
	s_delay_alu instid0(SALU_CYCLE_1)
	s_or_b32 exec_lo, exec_lo, s26
.LBB240_388:                            ;   in Loop: Header=BB240_305 Depth=1
	s_delay_alu instid0(SALU_CYCLE_1) | instskip(SKIP_3) | instid1(VALU_DEP_2)
	s_or_b32 exec_lo, exec_lo, s25
	v_dual_mov_b32 v17, 0 :: v_dual_lshrrev_b32 v8, 16, v18
	v_mov_b32_e32 v20, 0
	s_mov_b32 s25, exec_lo
	v_and_b32_e32 v21, 0xff, v8
	s_delay_alu instid0(VALU_DEP_1)
	v_cmpx_ne_u16_e32 0, v21
	s_cbranch_execz .LBB240_396
; %bb.389:                              ;   in Loop: Header=BB240_305 Depth=1
	v_mov_b32_e32 v20, 0x8000
	s_mov_b32 s26, exec_lo
	v_cmpx_ne_u16_e32 0x80, v21
	s_cbranch_execz .LBB240_395
; %bb.390:                              ;   in Loop: Header=BB240_305 Depth=1
	v_bfe_u32 v22, v18, 16, 7
	v_mov_b32_e32 v20, 0x7c01
	s_mov_b32 s27, exec_lo
	s_delay_alu instid0(VALU_DEP_2)
	v_cmpx_ne_u32_e32 0x7f, v22
	s_cbranch_execz .LBB240_394
; %bb.391:                              ;   in Loop: Header=BB240_305 Depth=1
	v_dual_lshrrev_b32 v21, 3, v22 :: v_dual_bitop2_b32 v20, 7, v8 bitop3:0x40
	s_mov_b32 s28, exec_lo
	v_cmpx_gt_u32_e32 8, v22
; %bb.392:                              ;   in Loop: Header=BB240_305 Depth=1
	s_delay_alu instid0(VALU_DEP_2) | instskip(NEXT) | instid1(VALU_DEP_1)
	v_clz_i32_u32_e32 v20, v20
	v_min_u32_e32 v22, 32, v20
	s_delay_alu instid0(VALU_DEP_1) | instskip(NEXT) | instid1(VALU_DEP_1)
	v_subrev_nc_u32_e32 v20, 28, v22
	v_lshlrev_b64_e32 v[20:21], v20, v[8:9]
	s_delay_alu instid0(VALU_DEP_1)
	v_dual_sub_nc_u32 v21, 29, v22 :: v_dual_bitop2_b32 v20, 7, v20 bitop3:0x40
; %bb.393:                              ;   in Loop: Header=BB240_305 Depth=1
	s_or_b32 exec_lo, exec_lo, s28
	v_lshlrev_b32_e32 v8, 8, v8
	s_delay_alu instid0(VALU_DEP_2) | instskip(NEXT) | instid1(VALU_DEP_3)
	v_lshl_add_u32 v21, v21, 10, 0x2000
	v_lshlrev_b32_e32 v20, 7, v20
	s_delay_alu instid0(VALU_DEP_3) | instskip(NEXT) | instid1(VALU_DEP_3)
	v_and_b32_e32 v8, 0x8000, v8
	v_and_b32_e32 v21, 0xfc00, v21
	s_delay_alu instid0(VALU_DEP_1)
	v_or3_b32 v20, v8, v21, v20
.LBB240_394:                            ;   in Loop: Header=BB240_305 Depth=1
	s_or_b32 exec_lo, exec_lo, s27
.LBB240_395:                            ;   in Loop: Header=BB240_305 Depth=1
	s_delay_alu instid0(SALU_CYCLE_1)
	s_or_b32 exec_lo, exec_lo, s26
.LBB240_396:                            ;   in Loop: Header=BB240_305 Depth=1
	s_delay_alu instid0(SALU_CYCLE_1) | instskip(NEXT) | instid1(SALU_CYCLE_1)
	s_or_b32 exec_lo, exec_lo, s25
	s_mov_b32 s25, exec_lo
	v_cmpx_lt_u32_e32 0xffffff, v18
	s_cbranch_execz .LBB240_404
; %bb.397:                              ;   in Loop: Header=BB240_305 Depth=1
	v_lshrrev_b32_e32 v8, 24, v18
	v_bfrev_b32_e32 v17, 1
	s_mov_b32 s26, exec_lo
	s_delay_alu instid0(VALU_DEP_2)
	v_cmpx_ne_u32_e32 0x80, v8
	s_cbranch_execz .LBB240_403
; %bb.398:                              ;   in Loop: Header=BB240_305 Depth=1
	v_and_b32_e32 v22, 0x7f, v8
	v_mov_b32_e32 v17, 0x7c010000
	s_mov_b32 s27, exec_lo
	s_delay_alu instid0(VALU_DEP_2)
	v_cmpx_ne_u32_e32 0x7f, v22
	s_cbranch_execz .LBB240_402
; %bb.399:                              ;   in Loop: Header=BB240_305 Depth=1
	v_dual_lshrrev_b32 v21, 3, v22 :: v_dual_bitop2_b32 v17, 7, v8 bitop3:0x40
	s_mov_b32 s28, exec_lo
	v_cmpx_gt_u32_e32 8, v22
; %bb.400:                              ;   in Loop: Header=BB240_305 Depth=1
	s_delay_alu instid0(VALU_DEP_2) | instskip(NEXT) | instid1(VALU_DEP_1)
	v_clz_i32_u32_e32 v17, v17
	v_min_u32_e32 v17, 32, v17
	s_delay_alu instid0(VALU_DEP_1) | instskip(NEXT) | instid1(VALU_DEP_1)
	v_subrev_nc_u32_e32 v21, 28, v17
	v_lshlrev_b64_e32 v[22:23], v21, v[8:9]
	s_delay_alu instid0(VALU_DEP_1)
	v_dual_sub_nc_u32 v21, 29, v17 :: v_dual_bitop2_b32 v17, 7, v22 bitop3:0x40
; %bb.401:                              ;   in Loop: Header=BB240_305 Depth=1
	s_or_b32 exec_lo, exec_lo, s28
	s_delay_alu instid0(VALU_DEP_1) | instskip(NEXT) | instid1(VALU_DEP_2)
	v_dual_lshlrev_b32 v8, 8, v8 :: v_dual_lshlrev_b32 v17, 23, v17
	v_lshl_add_u32 v21, v21, 10, 0x2000
	s_delay_alu instid0(VALU_DEP_1) | instskip(NEXT) | instid1(VALU_DEP_1)
	v_and_or_b32 v8, 0x8000, v8, v21
	v_lshl_or_b32 v17, v8, 16, v17
.LBB240_402:                            ;   in Loop: Header=BB240_305 Depth=1
	s_or_b32 exec_lo, exec_lo, s27
.LBB240_403:                            ;   in Loop: Header=BB240_305 Depth=1
	s_delay_alu instid0(SALU_CYCLE_1)
	s_or_b32 exec_lo, exec_lo, s26
.LBB240_404:                            ;   in Loop: Header=BB240_305 Depth=1
	s_delay_alu instid0(SALU_CYCLE_1) | instskip(SKIP_4) | instid1(VALU_DEP_3)
	s_or_b32 exec_lo, exec_lo, s25
	v_and_b32_e32 v23, 0xff, v19
	v_dual_mov_b32 v8, v19 :: v_dual_mov_b32 v22, 0
	v_mov_b32_e32 v21, 0
	s_mov_b32 s25, exec_lo
	v_cmpx_ne_u16_e32 0, v23
	s_cbranch_execz .LBB240_412
; %bb.405:                              ;   in Loop: Header=BB240_305 Depth=1
	v_mov_b32_e32 v21, 0x8000
	s_mov_b32 s26, exec_lo
	v_cmpx_ne_u16_e32 0x80, v23
	s_cbranch_execz .LBB240_411
; %bb.406:                              ;   in Loop: Header=BB240_305 Depth=1
	v_and_b32_e32 v24, 0x7f, v19
	v_mov_b32_e32 v21, 0x7c01
	s_mov_b32 s27, exec_lo
	s_delay_alu instid0(VALU_DEP_2)
	v_cmpx_ne_u32_e32 0x7f, v24
	s_cbranch_execz .LBB240_410
; %bb.407:                              ;   in Loop: Header=BB240_305 Depth=1
	v_dual_lshrrev_b32 v23, 3, v24 :: v_dual_bitop2_b32 v21, 7, v19 bitop3:0x40
	s_mov_b32 s28, exec_lo
	v_cmpx_gt_u32_e32 8, v24
; %bb.408:                              ;   in Loop: Header=BB240_305 Depth=1
	s_delay_alu instid0(VALU_DEP_2) | instskip(NEXT) | instid1(VALU_DEP_1)
	v_clz_i32_u32_e32 v21, v21
	v_min_u32_e32 v21, 32, v21
	s_delay_alu instid0(VALU_DEP_1) | instskip(NEXT) | instid1(VALU_DEP_1)
	v_subrev_nc_u32_e32 v23, 28, v21
	v_lshlrev_b64_e32 v[36:37], v23, v[8:9]
	s_delay_alu instid0(VALU_DEP_1)
	v_dual_sub_nc_u32 v23, 29, v21 :: v_dual_bitop2_b32 v21, 7, v36 bitop3:0x40
; %bb.409:                              ;   in Loop: Header=BB240_305 Depth=1
	s_or_b32 exec_lo, exec_lo, s28
	s_delay_alu instid0(VALU_DEP_1) | instskip(NEXT) | instid1(VALU_DEP_2)
	v_dual_lshlrev_b32 v24, 8, v19 :: v_dual_lshlrev_b32 v21, 7, v21
	v_lshl_add_u32 v23, v23, 10, 0x2000
	s_delay_alu instid0(VALU_DEP_2) | instskip(NEXT) | instid1(VALU_DEP_2)
	v_and_b32_e32 v24, 0x8000, v24
	v_and_b32_e32 v23, 0xfc00, v23
	s_delay_alu instid0(VALU_DEP_1)
	v_or3_b32 v21, v24, v23, v21
.LBB240_410:                            ;   in Loop: Header=BB240_305 Depth=1
	s_or_b32 exec_lo, exec_lo, s27
.LBB240_411:                            ;   in Loop: Header=BB240_305 Depth=1
	s_delay_alu instid0(SALU_CYCLE_1)
	s_or_b32 exec_lo, exec_lo, s26
.LBB240_412:                            ;   in Loop: Header=BB240_305 Depth=1
	s_delay_alu instid0(SALU_CYCLE_1) | instskip(SKIP_3) | instid1(VALU_DEP_2)
	s_or_b32 exec_lo, exec_lo, s25
	v_lshrrev_b16 v8, 8, v8
	v_mov_b32_e32 v23, 0
	s_mov_b32 s25, exec_lo
	v_cmpx_ne_u16_e32 0, v8
	s_cbranch_execz .LBB240_420
; %bb.413:                              ;   in Loop: Header=BB240_305 Depth=1
	v_bfrev_b32_e32 v23, 1
	s_mov_b32 s26, exec_lo
	v_cmpx_ne_u16_e32 0x80, v8
	s_cbranch_execz .LBB240_419
; %bb.414:                              ;   in Loop: Header=BB240_305 Depth=1
	v_and_b32_e32 v24, 0xffff, v8
	v_mov_b32_e32 v23, 0x7c010000
	s_mov_b32 s27, exec_lo
	s_delay_alu instid0(VALU_DEP_2) | instskip(NEXT) | instid1(VALU_DEP_1)
	v_and_b32_e32 v37, 0x7f, v24
	v_cmpx_ne_u32_e32 0x7f, v37
	s_cbranch_execz .LBB240_418
; %bb.415:                              ;   in Loop: Header=BB240_305 Depth=1
	v_dual_lshrrev_b32 v36, 3, v37 :: v_dual_bitop2_b32 v23, 7, v24 bitop3:0x40
	s_mov_b32 s28, exec_lo
	v_cmpx_gt_u32_e32 8, v37
; %bb.416:                              ;   in Loop: Header=BB240_305 Depth=1
	s_delay_alu instid0(VALU_DEP_2) | instskip(NEXT) | instid1(VALU_DEP_1)
	v_clz_i32_u32_e32 v23, v23
	v_min_u32_e32 v23, 32, v23
	s_delay_alu instid0(VALU_DEP_1) | instskip(NEXT) | instid1(VALU_DEP_1)
	v_subrev_nc_u32_e32 v36, 28, v23
	v_lshlrev_b64_e32 v[44:45], v36, v[8:9]
	s_delay_alu instid0(VALU_DEP_1)
	v_dual_sub_nc_u32 v36, 29, v23 :: v_dual_bitop2_b32 v23, 7, v44 bitop3:0x40
; %bb.417:                              ;   in Loop: Header=BB240_305 Depth=1
	s_or_b32 exec_lo, exec_lo, s28
	s_delay_alu instid0(VALU_DEP_1) | instskip(NEXT) | instid1(VALU_DEP_2)
	v_dual_lshlrev_b32 v8, 8, v24 :: v_dual_lshlrev_b32 v23, 23, v23
	v_lshl_add_u32 v24, v36, 10, 0x2000
	s_delay_alu instid0(VALU_DEP_1) | instskip(NEXT) | instid1(VALU_DEP_1)
	v_and_or_b32 v8, 0x8000, v8, v24
	v_lshl_or_b32 v23, v8, 16, v23
.LBB240_418:                            ;   in Loop: Header=BB240_305 Depth=1
	s_or_b32 exec_lo, exec_lo, s27
.LBB240_419:                            ;   in Loop: Header=BB240_305 Depth=1
	s_delay_alu instid0(SALU_CYCLE_1)
	s_or_b32 exec_lo, exec_lo, s26
.LBB240_420:                            ;   in Loop: Header=BB240_305 Depth=1
	s_delay_alu instid0(SALU_CYCLE_1) | instskip(SKIP_2) | instid1(VALU_DEP_1)
	s_or_b32 exec_lo, exec_lo, s25
	v_lshrrev_b32_e32 v8, 16, v19
	s_mov_b32 s25, exec_lo
	v_and_b32_e32 v24, 0xff, v8
	s_delay_alu instid0(VALU_DEP_1)
	v_cmpx_ne_u16_e32 0, v24
	s_cbranch_execz .LBB240_428
; %bb.421:                              ;   in Loop: Header=BB240_305 Depth=1
	v_mov_b32_e32 v22, 0x8000
	s_mov_b32 s26, exec_lo
	v_cmpx_ne_u16_e32 0x80, v24
	s_cbranch_execz .LBB240_427
; %bb.422:                              ;   in Loop: Header=BB240_305 Depth=1
	v_bfe_u32 v36, v19, 16, 7
	v_mov_b32_e32 v22, 0x7c01
	s_mov_b32 s27, exec_lo
	s_delay_alu instid0(VALU_DEP_2)
	v_cmpx_ne_u32_e32 0x7f, v36
	s_cbranch_execz .LBB240_426
; %bb.423:                              ;   in Loop: Header=BB240_305 Depth=1
	v_and_b32_e32 v22, 7, v8
	v_lshrrev_b32_e32 v24, 3, v36
	s_mov_b32 s28, exec_lo
	v_cmpx_gt_u32_e32 8, v36
; %bb.424:                              ;   in Loop: Header=BB240_305 Depth=1
	s_delay_alu instid0(VALU_DEP_3) | instskip(NEXT) | instid1(VALU_DEP_1)
	v_clz_i32_u32_e32 v22, v22
	v_min_u32_e32 v22, 32, v22
	s_delay_alu instid0(VALU_DEP_1) | instskip(NEXT) | instid1(VALU_DEP_1)
	v_subrev_nc_u32_e32 v24, 28, v22
	v_lshlrev_b64_e32 v[36:37], v24, v[8:9]
	s_delay_alu instid0(VALU_DEP_1)
	v_dual_sub_nc_u32 v24, 29, v22 :: v_dual_bitop2_b32 v22, 7, v36 bitop3:0x40
; %bb.425:                              ;   in Loop: Header=BB240_305 Depth=1
	s_or_b32 exec_lo, exec_lo, s28
	s_delay_alu instid0(VALU_DEP_1) | instskip(NEXT) | instid1(VALU_DEP_2)
	v_dual_lshlrev_b32 v8, 8, v8 :: v_dual_lshlrev_b32 v22, 7, v22
	v_lshl_add_u32 v24, v24, 10, 0x2000
	s_delay_alu instid0(VALU_DEP_2) | instskip(NEXT) | instid1(VALU_DEP_2)
	v_and_b32_e32 v8, 0x8000, v8
	v_and_b32_e32 v24, 0xfc00, v24
	s_delay_alu instid0(VALU_DEP_1)
	v_or3_b32 v22, v8, v24, v22
.LBB240_426:                            ;   in Loop: Header=BB240_305 Depth=1
	s_or_b32 exec_lo, exec_lo, s27
.LBB240_427:                            ;   in Loop: Header=BB240_305 Depth=1
	s_delay_alu instid0(SALU_CYCLE_1)
	s_or_b32 exec_lo, exec_lo, s26
.LBB240_428:                            ;   in Loop: Header=BB240_305 Depth=1
	s_delay_alu instid0(SALU_CYCLE_1)
	s_or_b32 exec_lo, exec_lo, s25
	v_cmp_lt_u64_e64 s0, s[8:9], v[18:19]
	v_mov_b32_e32 v18, 0
	s_and_saveexec_b32 s25, s0
	s_cbranch_execz .LBB240_436
; %bb.429:                              ;   in Loop: Header=BB240_305 Depth=1
	v_lshrrev_b32_e32 v8, 24, v19
	v_bfrev_b32_e32 v18, 1
	s_mov_b32 s26, exec_lo
	s_delay_alu instid0(VALU_DEP_2)
	v_cmpx_ne_u32_e32 0x80, v8
	s_cbranch_execz .LBB240_435
; %bb.430:                              ;   in Loop: Header=BB240_305 Depth=1
	v_and_b32_e32 v24, 0x7f, v8
	v_mov_b32_e32 v18, 0x7c010000
	s_mov_b32 s27, exec_lo
	s_delay_alu instid0(VALU_DEP_2)
	v_cmpx_ne_u32_e32 0x7f, v24
	s_cbranch_execz .LBB240_434
; %bb.431:                              ;   in Loop: Header=BB240_305 Depth=1
	v_and_b32_e32 v18, 7, v8
	v_lshrrev_b32_e32 v19, 3, v24
	s_mov_b32 s28, exec_lo
	v_cmpx_gt_u32_e32 8, v24
; %bb.432:                              ;   in Loop: Header=BB240_305 Depth=1
	s_delay_alu instid0(VALU_DEP_3) | instskip(NEXT) | instid1(VALU_DEP_1)
	v_clz_i32_u32_e32 v18, v18
	v_min_u32_e32 v24, 32, v18
	s_delay_alu instid0(VALU_DEP_1) | instskip(NEXT) | instid1(VALU_DEP_1)
	v_subrev_nc_u32_e32 v18, 28, v24
	v_lshlrev_b64_e32 v[18:19], v18, v[8:9]
	s_delay_alu instid0(VALU_DEP_1)
	v_dual_sub_nc_u32 v19, 29, v24 :: v_dual_bitop2_b32 v18, 7, v18 bitop3:0x40
; %bb.433:                              ;   in Loop: Header=BB240_305 Depth=1
	s_or_b32 exec_lo, exec_lo, s28
	s_delay_alu instid0(VALU_DEP_1) | instskip(NEXT) | instid1(VALU_DEP_2)
	v_dual_lshlrev_b32 v8, 8, v8 :: v_dual_lshlrev_b32 v18, 23, v18
	v_lshl_add_u32 v19, v19, 10, 0x2000
	s_delay_alu instid0(VALU_DEP_1) | instskip(NEXT) | instid1(VALU_DEP_1)
	v_and_or_b32 v8, 0x8000, v8, v19
	v_lshl_or_b32 v18, v8, 16, v18
.LBB240_434:                            ;   in Loop: Header=BB240_305 Depth=1
	s_or_b32 exec_lo, exec_lo, s27
.LBB240_435:                            ;   in Loop: Header=BB240_305 Depth=1
	s_delay_alu instid0(SALU_CYCLE_1)
	s_or_b32 exec_lo, exec_lo, s26
.LBB240_436:                            ;   in Loop: Header=BB240_305 Depth=1
	s_delay_alu instid0(SALU_CYCLE_1) | instskip(SKIP_3) | instid1(VALU_DEP_3)
	s_or_b32 exec_lo, exec_lo, s25
	v_dual_lshrrev_b32 v8, 16, v1 :: v_dual_bitop2_b32 v1, v1, v3 bitop3:0x54
	v_dual_lshrrev_b32 v19, 16, v17 :: v_dual_bitop2_b32 v3, v17, v20 bitop3:0x54
	v_lshrrev_b32_e32 v20, 16, v18
	v_cvt_f32_f16_e32 v37, v8
	v_dual_lshrrev_b32 v17, 16, v23 :: v_dual_bitop2_b32 v8, v18, v22 bitop3:0x54
	s_delay_alu instid0(VALU_DEP_4)
	v_cvt_f32_f16_e32 v36, v19
	v_cvt_f32_f16_e32 v18, v3
	v_or_b32_e32 v3, v23, v21
	v_cvt_f32_f16_e32 v19, v1
	v_cvt_f32_f16_e32 v21, v17
	s_wait_loadcnt 0x0
	v_pk_mul_f32 v[36:37], v[16:17], v[36:37] op_sel_hi:[0,1]
	v_cvt_f32_f16_e32 v20, v20
	v_cvt_f32_f16_e32 v22, v8
	;; [unrolled: 1-line block ×3, first 2 shown]
	v_pk_mul_f32 v[18:19], v[16:17], v[18:19] op_sel_hi:[0,1]
	v_cvt_pk_f16_f32 v1, v36, v37
	v_pk_mul_f32 v[20:21], v[16:17], v[20:21] op_sel_hi:[0,1]
	s_delay_alu instid0(VALU_DEP_4) | instskip(NEXT) | instid1(VALU_DEP_4)
	v_pk_mul_f32 v[22:23], v[16:17], v[22:23] op_sel_hi:[0,1]
	v_cvt_pk_f16_f32 v3, v18, v19
	s_delay_alu instid0(VALU_DEP_4) | instskip(NEXT) | instid1(VALU_DEP_4)
	v_and_b32_e32 v17, 0xffff0000, v1
	v_cvt_pk_f16_f32 v8, v20, v21
	v_lshlrev_b32_e32 v18, 16, v1
	v_cvt_pk_f16_f32 v16, v22, v23
	v_lshrrev_b32_e32 v23, 16, v3
	v_and_b32_e32 v24, 0xffff, v3
	v_and_b32_e32 v1, 0xffff0000, v8
	s_delay_alu instid0(VALU_DEP_3) | instskip(SKIP_3) | instid1(VALU_DEP_2)
	v_dual_lshlrev_b32 v8, 16, v8 :: v_dual_bitop2_b32 v21, v17, v23 bitop3:0x54
	v_lshrrev_b32_e32 v3, 16, v16
	v_and_b32_e32 v16, 0xffff, v16
	v_or_b32_e32 v22, v18, v24
	v_or_b32_e32 v20, v8, v16
	s_delay_alu instid0(VALU_DEP_4)
	v_or_b32_e32 v19, v1, v3
	s_and_saveexec_b32 s25, vcc_lo
	s_cbranch_execz .LBB240_438
; %bb.437:                              ;   in Loop: Header=BB240_305 Depth=1
	v_cmp_gt_i32_e64 s0, s18, v2
	s_delay_alu instid0(VALU_DEP_1) | instskip(SKIP_1) | instid1(VALU_DEP_1)
	v_cndmask_b32_e64 v19, 0, v23, s0
	v_cmp_gt_i32_e64 s0, s34, v35
	v_cndmask_b32_e64 v20, 0, v24, s0
	v_cmp_gt_i32_e64 s0, s18, v34
	s_delay_alu instid0(VALU_DEP_1) | instskip(SKIP_1) | instid1(VALU_DEP_1)
	v_cndmask_b32_e64 v17, 0, v17, s0
	v_cmp_gt_i32_e64 s0, s34, v33
	v_cndmask_b32_e64 v18, 0, v18, s0
	v_cmp_gt_i32_e64 s0, s18, v32
	s_delay_alu instid0(VALU_DEP_4) | instskip(NEXT) | instid1(VALU_DEP_2)
	v_or_b32_e32 v21, v17, v19
	v_dual_cndmask_b32 v3, 0, v3, s0 :: v_dual_bitop2_b32 v22, v18, v20 bitop3:0x54
	v_cmp_gt_i32_e64 s0, s34, v31
	s_delay_alu instid0(VALU_DEP_1) | instskip(SKIP_1) | instid1(VALU_DEP_1)
	v_cndmask_b32_e64 v16, 0, v16, s0
	v_cmp_gt_i32_e64 s0, s18, v30
	v_cndmask_b32_e64 v1, 0, v1, s0
	v_cmp_gt_i32_e64 s0, s34, v29
	s_delay_alu instid0(VALU_DEP_1) | instskip(NEXT) | instid1(VALU_DEP_1)
	v_dual_cndmask_b32 v8, 0, v8, s0 :: v_dual_bitop2_b32 v19, v1, v3 bitop3:0x54
	v_or_b32_e32 v20, v8, v16
.LBB240_438:                            ;   in Loop: Header=BB240_305 Depth=1
	s_or_b32 exec_lo, exec_lo, s25
	;;#ASMSTART
	v_pk_mul_f16 v1, v42, v21;

	;;#ASMEND
	;;#ASMSTART
	v_pk_mul_f16 v3, v40, v22;

	;;#ASMEND
	;;#ASMSTART
	v_pk_mul_f16 v8, v39, v19;

	;;#ASMEND
	;;#ASMSTART
	v_pk_mul_f16 v16, v38, v20;

	;;#ASMEND
	;;#ASMSTART
	v_pk_add_f16 v1, v1, v3;

	;;#ASMEND
	;;#ASMSTART
	v_pk_add_f16 v1, v1, v8;

	;;#ASMEND
	;; [unrolled: 4-line block ×3, first 2 shown]
	v_and_b32_e32 v3, 0xffff, v1
	v_lshrrev_b32_e32 v1, 16, v1
	;;#ASMSTART
	v_cvt_f32_f16 v44, v3;
	;;#ASMEND
	v_mov_b32_e32 v3, 0
	;;#ASMSTART
	v_cvt_f32_f16 v45, v1;
	;;#ASMEND
	global_load_b64 v[18:19], v[14:15], off offset:512
	v_mov_b32_e32 v1, 0
	s_mov_b32 s25, exec_lo
	global_load_b32 v16, v1, s[10:11]
	s_wait_loadcnt 0x1
	v_and_b32_e32 v8, 0xff, v18
	s_wait_xcnt 0x0
	s_delay_alu instid0(VALU_DEP_1)
	v_cmpx_ne_u16_e32 0, v8
	s_cbranch_execz .LBB240_446
; %bb.439:                              ;   in Loop: Header=BB240_305 Depth=1
	v_mov_b32_e32 v3, 0x8000
	s_mov_b32 s26, exec_lo
	v_cmpx_ne_u16_e32 0x80, v8
	s_cbranch_execz .LBB240_445
; %bb.440:                              ;   in Loop: Header=BB240_305 Depth=1
	v_and_b32_e32 v17, 0x7f, v18
	v_mov_b32_e32 v3, 0x7c01
	s_mov_b32 s27, exec_lo
	s_delay_alu instid0(VALU_DEP_2)
	v_cmpx_ne_u32_e32 0x7f, v17
	s_cbranch_execz .LBB240_444
; %bb.441:                              ;   in Loop: Header=BB240_305 Depth=1
	v_dual_lshrrev_b32 v8, 3, v17 :: v_dual_bitop2_b32 v3, 7, v18 bitop3:0x40
	s_mov_b32 s28, exec_lo
	v_cmpx_gt_u32_e32 8, v17
; %bb.442:                              ;   in Loop: Header=BB240_305 Depth=1
	s_delay_alu instid0(VALU_DEP_2) | instskip(NEXT) | instid1(VALU_DEP_1)
	v_clz_i32_u32_e32 v3, v3
	v_min_u32_e32 v3, 32, v3
	s_delay_alu instid0(VALU_DEP_1) | instskip(NEXT) | instid1(VALU_DEP_1)
	v_subrev_nc_u32_e32 v8, 28, v3
	v_lshlrev_b64_e32 v[20:21], v8, v[18:19]
	s_delay_alu instid0(VALU_DEP_1)
	v_dual_sub_nc_u32 v8, 29, v3 :: v_dual_bitop2_b32 v3, 7, v20 bitop3:0x40
; %bb.443:                              ;   in Loop: Header=BB240_305 Depth=1
	s_or_b32 exec_lo, exec_lo, s28
	s_delay_alu instid0(VALU_DEP_1) | instskip(NEXT) | instid1(VALU_DEP_2)
	v_dual_lshlrev_b32 v17, 8, v18 :: v_dual_lshlrev_b32 v3, 7, v3
	v_lshl_add_u32 v8, v8, 10, 0x2000
	s_delay_alu instid0(VALU_DEP_2) | instskip(NEXT) | instid1(VALU_DEP_2)
	v_and_b32_e32 v17, 0x8000, v17
	v_and_b32_e32 v8, 0xfc00, v8
	s_delay_alu instid0(VALU_DEP_1)
	v_or3_b32 v3, v17, v8, v3
.LBB240_444:                            ;   in Loop: Header=BB240_305 Depth=1
	s_or_b32 exec_lo, exec_lo, s27
.LBB240_445:                            ;   in Loop: Header=BB240_305 Depth=1
	s_delay_alu instid0(SALU_CYCLE_1)
	s_or_b32 exec_lo, exec_lo, s26
.LBB240_446:                            ;   in Loop: Header=BB240_305 Depth=1
	s_delay_alu instid0(SALU_CYCLE_1) | instskip(SKIP_2) | instid1(VALU_DEP_1)
	s_or_b32 exec_lo, exec_lo, s25
	v_lshrrev_b16 v8, 8, v18
	s_mov_b32 s25, exec_lo
	v_cmpx_ne_u16_e32 0, v8
	s_cbranch_execz .LBB240_454
; %bb.447:                              ;   in Loop: Header=BB240_305 Depth=1
	v_bfrev_b32_e32 v1, 1
	s_mov_b32 s26, exec_lo
	v_cmpx_ne_u16_e32 0x80, v8
	s_cbranch_execz .LBB240_453
; %bb.448:                              ;   in Loop: Header=BB240_305 Depth=1
	v_and_b32_e32 v17, 0xffff, v8
	v_mov_b32_e32 v1, 0x7c010000
	s_mov_b32 s27, exec_lo
	s_delay_alu instid0(VALU_DEP_2) | instskip(NEXT) | instid1(VALU_DEP_1)
	v_and_b32_e32 v21, 0x7f, v17
	v_cmpx_ne_u32_e32 0x7f, v21
	s_cbranch_execz .LBB240_452
; %bb.449:                              ;   in Loop: Header=BB240_305 Depth=1
	v_and_b32_e32 v1, 7, v17
	v_lshrrev_b32_e32 v20, 3, v21
	s_mov_b32 s28, exec_lo
	v_cmpx_gt_u32_e32 8, v21
; %bb.450:                              ;   in Loop: Header=BB240_305 Depth=1
	s_delay_alu instid0(VALU_DEP_3) | instskip(NEXT) | instid1(VALU_DEP_1)
	v_clz_i32_u32_e32 v1, v1
	v_min_u32_e32 v1, 32, v1
	s_delay_alu instid0(VALU_DEP_1) | instskip(NEXT) | instid1(VALU_DEP_1)
	v_subrev_nc_u32_e32 v20, 28, v1
	v_lshlrev_b64_e32 v[22:23], v20, v[8:9]
	s_delay_alu instid0(VALU_DEP_1)
	v_dual_sub_nc_u32 v20, 29, v1 :: v_dual_bitop2_b32 v1, 7, v22 bitop3:0x40
; %bb.451:                              ;   in Loop: Header=BB240_305 Depth=1
	s_or_b32 exec_lo, exec_lo, s28
	v_lshlrev_b32_e32 v8, 8, v17
	s_delay_alu instid0(VALU_DEP_2) | instskip(NEXT) | instid1(VALU_DEP_3)
	v_lshl_add_u32 v17, v20, 10, 0x2000
	v_lshlrev_b32_e32 v1, 23, v1
	s_delay_alu instid0(VALU_DEP_2) | instskip(NEXT) | instid1(VALU_DEP_1)
	v_and_or_b32 v8, 0x8000, v8, v17
	v_lshl_or_b32 v1, v8, 16, v1
.LBB240_452:                            ;   in Loop: Header=BB240_305 Depth=1
	s_or_b32 exec_lo, exec_lo, s27
.LBB240_453:                            ;   in Loop: Header=BB240_305 Depth=1
	s_delay_alu instid0(SALU_CYCLE_1)
	s_or_b32 exec_lo, exec_lo, s26
.LBB240_454:                            ;   in Loop: Header=BB240_305 Depth=1
	s_delay_alu instid0(SALU_CYCLE_1) | instskip(SKIP_3) | instid1(VALU_DEP_2)
	s_or_b32 exec_lo, exec_lo, s25
	v_dual_mov_b32 v17, 0 :: v_dual_lshrrev_b32 v8, 16, v18
	v_mov_b32_e32 v20, 0
	s_mov_b32 s25, exec_lo
	v_and_b32_e32 v21, 0xff, v8
	s_delay_alu instid0(VALU_DEP_1)
	v_cmpx_ne_u16_e32 0, v21
	s_cbranch_execz .LBB240_462
; %bb.455:                              ;   in Loop: Header=BB240_305 Depth=1
	v_mov_b32_e32 v20, 0x8000
	s_mov_b32 s26, exec_lo
	v_cmpx_ne_u16_e32 0x80, v21
	s_cbranch_execz .LBB240_461
; %bb.456:                              ;   in Loop: Header=BB240_305 Depth=1
	v_bfe_u32 v22, v18, 16, 7
	v_mov_b32_e32 v20, 0x7c01
	s_mov_b32 s27, exec_lo
	s_delay_alu instid0(VALU_DEP_2)
	v_cmpx_ne_u32_e32 0x7f, v22
	s_cbranch_execz .LBB240_460
; %bb.457:                              ;   in Loop: Header=BB240_305 Depth=1
	v_dual_lshrrev_b32 v21, 3, v22 :: v_dual_bitop2_b32 v20, 7, v8 bitop3:0x40
	s_mov_b32 s28, exec_lo
	v_cmpx_gt_u32_e32 8, v22
; %bb.458:                              ;   in Loop: Header=BB240_305 Depth=1
	s_delay_alu instid0(VALU_DEP_2) | instskip(NEXT) | instid1(VALU_DEP_1)
	v_clz_i32_u32_e32 v20, v20
	v_min_u32_e32 v22, 32, v20
	s_delay_alu instid0(VALU_DEP_1) | instskip(NEXT) | instid1(VALU_DEP_1)
	v_subrev_nc_u32_e32 v20, 28, v22
	v_lshlrev_b64_e32 v[20:21], v20, v[8:9]
	s_delay_alu instid0(VALU_DEP_1)
	v_dual_sub_nc_u32 v21, 29, v22 :: v_dual_bitop2_b32 v20, 7, v20 bitop3:0x40
; %bb.459:                              ;   in Loop: Header=BB240_305 Depth=1
	s_or_b32 exec_lo, exec_lo, s28
	v_lshlrev_b32_e32 v8, 8, v8
	s_delay_alu instid0(VALU_DEP_2) | instskip(NEXT) | instid1(VALU_DEP_3)
	v_lshl_add_u32 v21, v21, 10, 0x2000
	v_lshlrev_b32_e32 v20, 7, v20
	s_delay_alu instid0(VALU_DEP_3) | instskip(NEXT) | instid1(VALU_DEP_3)
	v_and_b32_e32 v8, 0x8000, v8
	v_and_b32_e32 v21, 0xfc00, v21
	s_delay_alu instid0(VALU_DEP_1)
	v_or3_b32 v20, v8, v21, v20
.LBB240_460:                            ;   in Loop: Header=BB240_305 Depth=1
	s_or_b32 exec_lo, exec_lo, s27
.LBB240_461:                            ;   in Loop: Header=BB240_305 Depth=1
	s_delay_alu instid0(SALU_CYCLE_1)
	s_or_b32 exec_lo, exec_lo, s26
.LBB240_462:                            ;   in Loop: Header=BB240_305 Depth=1
	s_delay_alu instid0(SALU_CYCLE_1) | instskip(NEXT) | instid1(SALU_CYCLE_1)
	s_or_b32 exec_lo, exec_lo, s25
	s_mov_b32 s25, exec_lo
	v_cmpx_lt_u32_e32 0xffffff, v18
	s_cbranch_execz .LBB240_470
; %bb.463:                              ;   in Loop: Header=BB240_305 Depth=1
	v_lshrrev_b32_e32 v8, 24, v18
	v_bfrev_b32_e32 v17, 1
	s_mov_b32 s26, exec_lo
	s_delay_alu instid0(VALU_DEP_2)
	v_cmpx_ne_u32_e32 0x80, v8
	s_cbranch_execz .LBB240_469
; %bb.464:                              ;   in Loop: Header=BB240_305 Depth=1
	v_and_b32_e32 v22, 0x7f, v8
	v_mov_b32_e32 v17, 0x7c010000
	s_mov_b32 s27, exec_lo
	s_delay_alu instid0(VALU_DEP_2)
	v_cmpx_ne_u32_e32 0x7f, v22
	s_cbranch_execz .LBB240_468
; %bb.465:                              ;   in Loop: Header=BB240_305 Depth=1
	v_dual_lshrrev_b32 v21, 3, v22 :: v_dual_bitop2_b32 v17, 7, v8 bitop3:0x40
	s_mov_b32 s28, exec_lo
	v_cmpx_gt_u32_e32 8, v22
; %bb.466:                              ;   in Loop: Header=BB240_305 Depth=1
	s_delay_alu instid0(VALU_DEP_2) | instskip(NEXT) | instid1(VALU_DEP_1)
	v_clz_i32_u32_e32 v17, v17
	v_min_u32_e32 v17, 32, v17
	s_delay_alu instid0(VALU_DEP_1) | instskip(NEXT) | instid1(VALU_DEP_1)
	v_subrev_nc_u32_e32 v21, 28, v17
	v_lshlrev_b64_e32 v[22:23], v21, v[8:9]
	s_delay_alu instid0(VALU_DEP_1)
	v_dual_sub_nc_u32 v21, 29, v17 :: v_dual_bitop2_b32 v17, 7, v22 bitop3:0x40
; %bb.467:                              ;   in Loop: Header=BB240_305 Depth=1
	s_or_b32 exec_lo, exec_lo, s28
	s_delay_alu instid0(VALU_DEP_1) | instskip(NEXT) | instid1(VALU_DEP_2)
	v_dual_lshlrev_b32 v8, 8, v8 :: v_dual_lshlrev_b32 v17, 23, v17
	v_lshl_add_u32 v21, v21, 10, 0x2000
	s_delay_alu instid0(VALU_DEP_1) | instskip(NEXT) | instid1(VALU_DEP_1)
	v_and_or_b32 v8, 0x8000, v8, v21
	v_lshl_or_b32 v17, v8, 16, v17
.LBB240_468:                            ;   in Loop: Header=BB240_305 Depth=1
	s_or_b32 exec_lo, exec_lo, s27
.LBB240_469:                            ;   in Loop: Header=BB240_305 Depth=1
	s_delay_alu instid0(SALU_CYCLE_1)
	s_or_b32 exec_lo, exec_lo, s26
.LBB240_470:                            ;   in Loop: Header=BB240_305 Depth=1
	s_delay_alu instid0(SALU_CYCLE_1) | instskip(SKIP_4) | instid1(VALU_DEP_3)
	s_or_b32 exec_lo, exec_lo, s25
	v_and_b32_e32 v23, 0xff, v19
	v_dual_mov_b32 v8, v19 :: v_dual_mov_b32 v22, 0
	v_mov_b32_e32 v21, 0
	s_mov_b32 s25, exec_lo
	v_cmpx_ne_u16_e32 0, v23
	s_cbranch_execz .LBB240_478
; %bb.471:                              ;   in Loop: Header=BB240_305 Depth=1
	v_mov_b32_e32 v21, 0x8000
	s_mov_b32 s26, exec_lo
	v_cmpx_ne_u16_e32 0x80, v23
	s_cbranch_execz .LBB240_477
; %bb.472:                              ;   in Loop: Header=BB240_305 Depth=1
	v_and_b32_e32 v24, 0x7f, v19
	v_mov_b32_e32 v21, 0x7c01
	s_mov_b32 s27, exec_lo
	s_delay_alu instid0(VALU_DEP_2)
	v_cmpx_ne_u32_e32 0x7f, v24
	s_cbranch_execz .LBB240_476
; %bb.473:                              ;   in Loop: Header=BB240_305 Depth=1
	v_dual_lshrrev_b32 v23, 3, v24 :: v_dual_bitop2_b32 v21, 7, v19 bitop3:0x40
	s_mov_b32 s28, exec_lo
	v_cmpx_gt_u32_e32 8, v24
; %bb.474:                              ;   in Loop: Header=BB240_305 Depth=1
	s_delay_alu instid0(VALU_DEP_2) | instskip(NEXT) | instid1(VALU_DEP_1)
	v_clz_i32_u32_e32 v21, v21
	v_min_u32_e32 v21, 32, v21
	s_delay_alu instid0(VALU_DEP_1) | instskip(NEXT) | instid1(VALU_DEP_1)
	v_subrev_nc_u32_e32 v23, 28, v21
	v_lshlrev_b64_e32 v[36:37], v23, v[8:9]
	s_delay_alu instid0(VALU_DEP_1)
	v_dual_sub_nc_u32 v23, 29, v21 :: v_dual_bitop2_b32 v21, 7, v36 bitop3:0x40
; %bb.475:                              ;   in Loop: Header=BB240_305 Depth=1
	s_or_b32 exec_lo, exec_lo, s28
	s_delay_alu instid0(VALU_DEP_1) | instskip(NEXT) | instid1(VALU_DEP_2)
	v_dual_lshlrev_b32 v24, 8, v19 :: v_dual_lshlrev_b32 v21, 7, v21
	v_lshl_add_u32 v23, v23, 10, 0x2000
	s_delay_alu instid0(VALU_DEP_2) | instskip(NEXT) | instid1(VALU_DEP_2)
	v_and_b32_e32 v24, 0x8000, v24
	v_and_b32_e32 v23, 0xfc00, v23
	s_delay_alu instid0(VALU_DEP_1)
	v_or3_b32 v21, v24, v23, v21
.LBB240_476:                            ;   in Loop: Header=BB240_305 Depth=1
	s_or_b32 exec_lo, exec_lo, s27
.LBB240_477:                            ;   in Loop: Header=BB240_305 Depth=1
	s_delay_alu instid0(SALU_CYCLE_1)
	s_or_b32 exec_lo, exec_lo, s26
.LBB240_478:                            ;   in Loop: Header=BB240_305 Depth=1
	s_delay_alu instid0(SALU_CYCLE_1) | instskip(SKIP_3) | instid1(VALU_DEP_2)
	s_or_b32 exec_lo, exec_lo, s25
	v_lshrrev_b16 v8, 8, v8
	v_mov_b32_e32 v23, 0
	s_mov_b32 s25, exec_lo
	v_cmpx_ne_u16_e32 0, v8
	s_cbranch_execz .LBB240_486
; %bb.479:                              ;   in Loop: Header=BB240_305 Depth=1
	v_bfrev_b32_e32 v23, 1
	s_mov_b32 s26, exec_lo
	v_cmpx_ne_u16_e32 0x80, v8
	s_cbranch_execz .LBB240_485
; %bb.480:                              ;   in Loop: Header=BB240_305 Depth=1
	v_and_b32_e32 v24, 0xffff, v8
	v_mov_b32_e32 v23, 0x7c010000
	s_mov_b32 s27, exec_lo
	s_delay_alu instid0(VALU_DEP_2) | instskip(NEXT) | instid1(VALU_DEP_1)
	v_and_b32_e32 v37, 0x7f, v24
	v_cmpx_ne_u32_e32 0x7f, v37
	s_cbranch_execz .LBB240_484
; %bb.481:                              ;   in Loop: Header=BB240_305 Depth=1
	v_dual_lshrrev_b32 v36, 3, v37 :: v_dual_bitop2_b32 v23, 7, v24 bitop3:0x40
	s_mov_b32 s28, exec_lo
	v_cmpx_gt_u32_e32 8, v37
; %bb.482:                              ;   in Loop: Header=BB240_305 Depth=1
	s_delay_alu instid0(VALU_DEP_2) | instskip(NEXT) | instid1(VALU_DEP_1)
	v_clz_i32_u32_e32 v23, v23
	v_min_u32_e32 v23, 32, v23
	s_delay_alu instid0(VALU_DEP_1) | instskip(NEXT) | instid1(VALU_DEP_1)
	v_subrev_nc_u32_e32 v36, 28, v23
	v_lshlrev_b64_e32 v[46:47], v36, v[8:9]
	s_delay_alu instid0(VALU_DEP_1)
	v_dual_sub_nc_u32 v36, 29, v23 :: v_dual_bitop2_b32 v23, 7, v46 bitop3:0x40
; %bb.483:                              ;   in Loop: Header=BB240_305 Depth=1
	s_or_b32 exec_lo, exec_lo, s28
	s_delay_alu instid0(VALU_DEP_1) | instskip(NEXT) | instid1(VALU_DEP_2)
	v_dual_lshlrev_b32 v8, 8, v24 :: v_dual_lshlrev_b32 v23, 23, v23
	v_lshl_add_u32 v24, v36, 10, 0x2000
	s_delay_alu instid0(VALU_DEP_1) | instskip(NEXT) | instid1(VALU_DEP_1)
	v_and_or_b32 v8, 0x8000, v8, v24
	v_lshl_or_b32 v23, v8, 16, v23
.LBB240_484:                            ;   in Loop: Header=BB240_305 Depth=1
	s_or_b32 exec_lo, exec_lo, s27
.LBB240_485:                            ;   in Loop: Header=BB240_305 Depth=1
	s_delay_alu instid0(SALU_CYCLE_1)
	s_or_b32 exec_lo, exec_lo, s26
.LBB240_486:                            ;   in Loop: Header=BB240_305 Depth=1
	s_delay_alu instid0(SALU_CYCLE_1) | instskip(SKIP_2) | instid1(VALU_DEP_1)
	s_or_b32 exec_lo, exec_lo, s25
	v_lshrrev_b32_e32 v8, 16, v19
	s_mov_b32 s25, exec_lo
	v_and_b32_e32 v24, 0xff, v8
	s_delay_alu instid0(VALU_DEP_1)
	v_cmpx_ne_u16_e32 0, v24
	s_cbranch_execz .LBB240_494
; %bb.487:                              ;   in Loop: Header=BB240_305 Depth=1
	v_mov_b32_e32 v22, 0x8000
	s_mov_b32 s26, exec_lo
	v_cmpx_ne_u16_e32 0x80, v24
	s_cbranch_execz .LBB240_493
; %bb.488:                              ;   in Loop: Header=BB240_305 Depth=1
	v_bfe_u32 v36, v19, 16, 7
	v_mov_b32_e32 v22, 0x7c01
	s_mov_b32 s27, exec_lo
	s_delay_alu instid0(VALU_DEP_2)
	v_cmpx_ne_u32_e32 0x7f, v36
	s_cbranch_execz .LBB240_492
; %bb.489:                              ;   in Loop: Header=BB240_305 Depth=1
	v_and_b32_e32 v22, 7, v8
	v_lshrrev_b32_e32 v24, 3, v36
	s_mov_b32 s28, exec_lo
	v_cmpx_gt_u32_e32 8, v36
; %bb.490:                              ;   in Loop: Header=BB240_305 Depth=1
	s_delay_alu instid0(VALU_DEP_3) | instskip(NEXT) | instid1(VALU_DEP_1)
	v_clz_i32_u32_e32 v22, v22
	v_min_u32_e32 v22, 32, v22
	s_delay_alu instid0(VALU_DEP_1) | instskip(NEXT) | instid1(VALU_DEP_1)
	v_subrev_nc_u32_e32 v24, 28, v22
	v_lshlrev_b64_e32 v[36:37], v24, v[8:9]
	s_delay_alu instid0(VALU_DEP_1)
	v_dual_sub_nc_u32 v24, 29, v22 :: v_dual_bitop2_b32 v22, 7, v36 bitop3:0x40
; %bb.491:                              ;   in Loop: Header=BB240_305 Depth=1
	s_or_b32 exec_lo, exec_lo, s28
	s_delay_alu instid0(VALU_DEP_1) | instskip(NEXT) | instid1(VALU_DEP_2)
	v_dual_lshlrev_b32 v8, 8, v8 :: v_dual_lshlrev_b32 v22, 7, v22
	v_lshl_add_u32 v24, v24, 10, 0x2000
	s_delay_alu instid0(VALU_DEP_2) | instskip(NEXT) | instid1(VALU_DEP_2)
	v_and_b32_e32 v8, 0x8000, v8
	v_and_b32_e32 v24, 0xfc00, v24
	s_delay_alu instid0(VALU_DEP_1)
	v_or3_b32 v22, v8, v24, v22
.LBB240_492:                            ;   in Loop: Header=BB240_305 Depth=1
	s_or_b32 exec_lo, exec_lo, s27
.LBB240_493:                            ;   in Loop: Header=BB240_305 Depth=1
	s_delay_alu instid0(SALU_CYCLE_1)
	s_or_b32 exec_lo, exec_lo, s26
.LBB240_494:                            ;   in Loop: Header=BB240_305 Depth=1
	s_delay_alu instid0(SALU_CYCLE_1)
	s_or_b32 exec_lo, exec_lo, s25
	v_cmp_lt_u64_e64 s0, s[8:9], v[18:19]
	v_mov_b32_e32 v18, 0
	s_and_saveexec_b32 s25, s0
	s_cbranch_execz .LBB240_502
; %bb.495:                              ;   in Loop: Header=BB240_305 Depth=1
	v_lshrrev_b32_e32 v8, 24, v19
	v_bfrev_b32_e32 v18, 1
	s_mov_b32 s26, exec_lo
	s_delay_alu instid0(VALU_DEP_2)
	v_cmpx_ne_u32_e32 0x80, v8
	s_cbranch_execz .LBB240_501
; %bb.496:                              ;   in Loop: Header=BB240_305 Depth=1
	v_and_b32_e32 v24, 0x7f, v8
	v_mov_b32_e32 v18, 0x7c010000
	s_mov_b32 s27, exec_lo
	s_delay_alu instid0(VALU_DEP_2)
	v_cmpx_ne_u32_e32 0x7f, v24
	s_cbranch_execz .LBB240_500
; %bb.497:                              ;   in Loop: Header=BB240_305 Depth=1
	v_and_b32_e32 v18, 7, v8
	v_lshrrev_b32_e32 v19, 3, v24
	s_mov_b32 s28, exec_lo
	v_cmpx_gt_u32_e32 8, v24
; %bb.498:                              ;   in Loop: Header=BB240_305 Depth=1
	s_delay_alu instid0(VALU_DEP_3) | instskip(NEXT) | instid1(VALU_DEP_1)
	v_clz_i32_u32_e32 v18, v18
	v_min_u32_e32 v24, 32, v18
	s_delay_alu instid0(VALU_DEP_1) | instskip(NEXT) | instid1(VALU_DEP_1)
	v_subrev_nc_u32_e32 v18, 28, v24
	v_lshlrev_b64_e32 v[18:19], v18, v[8:9]
	s_delay_alu instid0(VALU_DEP_1)
	v_dual_sub_nc_u32 v19, 29, v24 :: v_dual_bitop2_b32 v18, 7, v18 bitop3:0x40
; %bb.499:                              ;   in Loop: Header=BB240_305 Depth=1
	s_or_b32 exec_lo, exec_lo, s28
	s_delay_alu instid0(VALU_DEP_1) | instskip(NEXT) | instid1(VALU_DEP_2)
	v_dual_lshlrev_b32 v8, 8, v8 :: v_dual_lshlrev_b32 v18, 23, v18
	v_lshl_add_u32 v19, v19, 10, 0x2000
	s_delay_alu instid0(VALU_DEP_1) | instskip(NEXT) | instid1(VALU_DEP_1)
	v_and_or_b32 v8, 0x8000, v8, v19
	v_lshl_or_b32 v18, v8, 16, v18
.LBB240_500:                            ;   in Loop: Header=BB240_305 Depth=1
	s_or_b32 exec_lo, exec_lo, s27
.LBB240_501:                            ;   in Loop: Header=BB240_305 Depth=1
	s_delay_alu instid0(SALU_CYCLE_1)
	s_or_b32 exec_lo, exec_lo, s26
.LBB240_502:                            ;   in Loop: Header=BB240_305 Depth=1
	s_delay_alu instid0(SALU_CYCLE_1) | instskip(SKIP_3) | instid1(VALU_DEP_3)
	s_or_b32 exec_lo, exec_lo, s25
	v_dual_lshrrev_b32 v8, 16, v1 :: v_dual_bitop2_b32 v1, v1, v3 bitop3:0x54
	v_dual_lshrrev_b32 v19, 16, v17 :: v_dual_bitop2_b32 v3, v17, v20 bitop3:0x54
	v_lshrrev_b32_e32 v20, 16, v18
	v_cvt_f32_f16_e32 v37, v8
	v_dual_lshrrev_b32 v17, 16, v23 :: v_dual_bitop2_b32 v8, v18, v22 bitop3:0x54
	s_delay_alu instid0(VALU_DEP_4)
	v_cvt_f32_f16_e32 v36, v19
	v_cvt_f32_f16_e32 v18, v3
	v_or_b32_e32 v3, v23, v21
	v_cvt_f32_f16_e32 v19, v1
	v_cvt_f32_f16_e32 v21, v17
	s_wait_loadcnt 0x0
	v_pk_mul_f32 v[36:37], v[16:17], v[36:37] op_sel_hi:[0,1]
	v_cvt_f32_f16_e32 v20, v20
	v_cvt_f32_f16_e32 v22, v8
	;; [unrolled: 1-line block ×3, first 2 shown]
	v_pk_mul_f32 v[18:19], v[16:17], v[18:19] op_sel_hi:[0,1]
	v_cvt_pk_f16_f32 v1, v36, v37
	v_pk_mul_f32 v[20:21], v[16:17], v[20:21] op_sel_hi:[0,1]
	s_delay_alu instid0(VALU_DEP_4) | instskip(NEXT) | instid1(VALU_DEP_4)
	v_pk_mul_f32 v[22:23], v[16:17], v[22:23] op_sel_hi:[0,1]
	v_cvt_pk_f16_f32 v3, v18, v19
	s_delay_alu instid0(VALU_DEP_4) | instskip(NEXT) | instid1(VALU_DEP_4)
	v_and_b32_e32 v17, 0xffff0000, v1
	v_cvt_pk_f16_f32 v8, v20, v21
	v_lshlrev_b32_e32 v18, 16, v1
	v_cvt_pk_f16_f32 v16, v22, v23
	v_lshrrev_b32_e32 v23, 16, v3
	v_and_b32_e32 v24, 0xffff, v3
	v_and_b32_e32 v1, 0xffff0000, v8
	s_delay_alu instid0(VALU_DEP_3) | instskip(SKIP_3) | instid1(VALU_DEP_2)
	v_dual_lshlrev_b32 v8, 16, v8 :: v_dual_bitop2_b32 v21, v17, v23 bitop3:0x54
	v_lshrrev_b32_e32 v3, 16, v16
	v_and_b32_e32 v16, 0xffff, v16
	v_or_b32_e32 v22, v18, v24
	v_or_b32_e32 v20, v8, v16
	s_delay_alu instid0(VALU_DEP_4)
	v_or_b32_e32 v19, v1, v3
	s_and_saveexec_b32 s25, vcc_lo
	s_cbranch_execz .LBB240_504
; %bb.503:                              ;   in Loop: Header=BB240_305 Depth=1
	v_cmp_gt_i32_e64 s0, s18, v2
	s_delay_alu instid0(VALU_DEP_1) | instskip(SKIP_1) | instid1(VALU_DEP_1)
	v_cndmask_b32_e64 v19, 0, v23, s0
	v_cmp_gt_i32_e64 s0, s34, v35
	v_cndmask_b32_e64 v20, 0, v24, s0
	v_cmp_gt_i32_e64 s0, s18, v34
	s_delay_alu instid0(VALU_DEP_1) | instskip(SKIP_1) | instid1(VALU_DEP_1)
	v_cndmask_b32_e64 v17, 0, v17, s0
	v_cmp_gt_i32_e64 s0, s34, v33
	v_cndmask_b32_e64 v18, 0, v18, s0
	v_cmp_gt_i32_e64 s0, s18, v32
	s_delay_alu instid0(VALU_DEP_4) | instskip(NEXT) | instid1(VALU_DEP_2)
	v_or_b32_e32 v21, v17, v19
	v_dual_cndmask_b32 v3, 0, v3, s0 :: v_dual_bitop2_b32 v22, v18, v20 bitop3:0x54
	v_cmp_gt_i32_e64 s0, s34, v31
	s_delay_alu instid0(VALU_DEP_1) | instskip(SKIP_1) | instid1(VALU_DEP_1)
	v_cndmask_b32_e64 v16, 0, v16, s0
	v_cmp_gt_i32_e64 s0, s18, v30
	v_cndmask_b32_e64 v1, 0, v1, s0
	v_cmp_gt_i32_e64 s0, s34, v29
	s_delay_alu instid0(VALU_DEP_1) | instskip(NEXT) | instid1(VALU_DEP_1)
	v_dual_cndmask_b32 v8, 0, v8, s0 :: v_dual_bitop2_b32 v19, v1, v3 bitop3:0x54
	v_or_b32_e32 v20, v8, v16
.LBB240_504:                            ;   in Loop: Header=BB240_305 Depth=1
	s_or_b32 exec_lo, exec_lo, s25
	;;#ASMSTART
	v_pk_mul_f16 v1, v42, v21;

	;;#ASMEND
	;;#ASMSTART
	v_pk_mul_f16 v3, v40, v22;

	;;#ASMEND
	;; [unrolled: 4-line block ×4, first 2 shown]
	;;#ASMSTART
	v_pk_add_f16 v1, v1, v3;

	;;#ASMEND
	;;#ASMSTART
	v_pk_add_f16 v1, v1, v8;

	;;#ASMEND
	;; [unrolled: 4-line block ×3, first 2 shown]
	v_and_b32_e32 v3, 0xffff, v1
	v_lshrrev_b32_e32 v1, 16, v1
	;;#ASMSTART
	v_cvt_f32_f16 v36, v3;
	;;#ASMEND
	v_mov_b32_e32 v3, 0
	;;#ASMSTART
	v_cvt_f32_f16 v37, v1;
	;;#ASMEND
	global_load_b64 v[16:17], v[14:15], off offset:768
	v_mov_b32_e32 v1, 0
	s_mov_b32 s25, exec_lo
	global_load_b32 v14, v1, s[10:11]
	s_wait_loadcnt 0x1
	v_and_b32_e32 v8, 0xff, v16
	s_wait_xcnt 0x0
	s_delay_alu instid0(VALU_DEP_1)
	v_cmpx_ne_u16_e32 0, v8
	s_cbranch_execz .LBB240_512
; %bb.505:                              ;   in Loop: Header=BB240_305 Depth=1
	v_mov_b32_e32 v3, 0x8000
	s_mov_b32 s26, exec_lo
	v_cmpx_ne_u16_e32 0x80, v8
	s_cbranch_execz .LBB240_511
; %bb.506:                              ;   in Loop: Header=BB240_305 Depth=1
	v_and_b32_e32 v15, 0x7f, v16
	v_mov_b32_e32 v3, 0x7c01
	s_mov_b32 s27, exec_lo
	s_delay_alu instid0(VALU_DEP_2)
	v_cmpx_ne_u32_e32 0x7f, v15
	s_cbranch_execz .LBB240_510
; %bb.507:                              ;   in Loop: Header=BB240_305 Depth=1
	v_dual_lshrrev_b32 v8, 3, v15 :: v_dual_bitop2_b32 v3, 7, v16 bitop3:0x40
	s_mov_b32 s28, exec_lo
	v_cmpx_gt_u32_e32 8, v15
; %bb.508:                              ;   in Loop: Header=BB240_305 Depth=1
	s_delay_alu instid0(VALU_DEP_2) | instskip(NEXT) | instid1(VALU_DEP_1)
	v_clz_i32_u32_e32 v3, v3
	v_min_u32_e32 v3, 32, v3
	s_delay_alu instid0(VALU_DEP_1) | instskip(NEXT) | instid1(VALU_DEP_1)
	v_subrev_nc_u32_e32 v8, 28, v3
	v_lshlrev_b64_e32 v[18:19], v8, v[16:17]
	s_delay_alu instid0(VALU_DEP_1)
	v_dual_sub_nc_u32 v8, 29, v3 :: v_dual_bitop2_b32 v3, 7, v18 bitop3:0x40
; %bb.509:                              ;   in Loop: Header=BB240_305 Depth=1
	s_or_b32 exec_lo, exec_lo, s28
	s_delay_alu instid0(VALU_DEP_1) | instskip(NEXT) | instid1(VALU_DEP_2)
	v_dual_lshlrev_b32 v15, 8, v16 :: v_dual_lshlrev_b32 v3, 7, v3
	v_lshl_add_u32 v8, v8, 10, 0x2000
	s_delay_alu instid0(VALU_DEP_2) | instskip(NEXT) | instid1(VALU_DEP_2)
	v_and_b32_e32 v15, 0x8000, v15
	v_and_b32_e32 v8, 0xfc00, v8
	s_delay_alu instid0(VALU_DEP_1)
	v_or3_b32 v3, v15, v8, v3
.LBB240_510:                            ;   in Loop: Header=BB240_305 Depth=1
	s_or_b32 exec_lo, exec_lo, s27
.LBB240_511:                            ;   in Loop: Header=BB240_305 Depth=1
	s_delay_alu instid0(SALU_CYCLE_1)
	s_or_b32 exec_lo, exec_lo, s26
.LBB240_512:                            ;   in Loop: Header=BB240_305 Depth=1
	s_delay_alu instid0(SALU_CYCLE_1) | instskip(SKIP_2) | instid1(VALU_DEP_1)
	s_or_b32 exec_lo, exec_lo, s25
	v_lshrrev_b16 v8, 8, v16
	s_mov_b32 s25, exec_lo
	v_cmpx_ne_u16_e32 0, v8
	s_cbranch_execz .LBB240_520
; %bb.513:                              ;   in Loop: Header=BB240_305 Depth=1
	v_bfrev_b32_e32 v1, 1
	s_mov_b32 s26, exec_lo
	v_cmpx_ne_u16_e32 0x80, v8
	s_cbranch_execz .LBB240_519
; %bb.514:                              ;   in Loop: Header=BB240_305 Depth=1
	v_and_b32_e32 v15, 0xffff, v8
	v_mov_b32_e32 v1, 0x7c010000
	s_mov_b32 s27, exec_lo
	s_delay_alu instid0(VALU_DEP_2) | instskip(NEXT) | instid1(VALU_DEP_1)
	v_and_b32_e32 v19, 0x7f, v15
	v_cmpx_ne_u32_e32 0x7f, v19
	s_cbranch_execz .LBB240_518
; %bb.515:                              ;   in Loop: Header=BB240_305 Depth=1
	v_and_b32_e32 v1, 7, v15
	v_lshrrev_b32_e32 v18, 3, v19
	s_mov_b32 s28, exec_lo
	v_cmpx_gt_u32_e32 8, v19
; %bb.516:                              ;   in Loop: Header=BB240_305 Depth=1
	s_delay_alu instid0(VALU_DEP_3) | instskip(NEXT) | instid1(VALU_DEP_1)
	v_clz_i32_u32_e32 v1, v1
	v_min_u32_e32 v1, 32, v1
	s_delay_alu instid0(VALU_DEP_1) | instskip(NEXT) | instid1(VALU_DEP_1)
	v_subrev_nc_u32_e32 v18, 28, v1
	v_lshlrev_b64_e32 v[20:21], v18, v[8:9]
	s_delay_alu instid0(VALU_DEP_1)
	v_dual_sub_nc_u32 v18, 29, v1 :: v_dual_bitop2_b32 v1, 7, v20 bitop3:0x40
; %bb.517:                              ;   in Loop: Header=BB240_305 Depth=1
	s_or_b32 exec_lo, exec_lo, s28
	s_delay_alu instid0(VALU_DEP_1) | instskip(NEXT) | instid1(VALU_DEP_2)
	v_dual_lshlrev_b32 v8, 8, v15 :: v_dual_lshlrev_b32 v1, 23, v1
	v_lshl_add_u32 v15, v18, 10, 0x2000
	s_delay_alu instid0(VALU_DEP_1) | instskip(NEXT) | instid1(VALU_DEP_1)
	v_and_or_b32 v8, 0x8000, v8, v15
	v_lshl_or_b32 v1, v8, 16, v1
.LBB240_518:                            ;   in Loop: Header=BB240_305 Depth=1
	s_or_b32 exec_lo, exec_lo, s27
.LBB240_519:                            ;   in Loop: Header=BB240_305 Depth=1
	s_delay_alu instid0(SALU_CYCLE_1)
	s_or_b32 exec_lo, exec_lo, s26
.LBB240_520:                            ;   in Loop: Header=BB240_305 Depth=1
	s_delay_alu instid0(SALU_CYCLE_1) | instskip(SKIP_3) | instid1(VALU_DEP_2)
	s_or_b32 exec_lo, exec_lo, s25
	v_dual_mov_b32 v15, 0 :: v_dual_lshrrev_b32 v8, 16, v16
	v_mov_b32_e32 v18, 0
	s_mov_b32 s25, exec_lo
	v_and_b32_e32 v19, 0xff, v8
	s_delay_alu instid0(VALU_DEP_1)
	v_cmpx_ne_u16_e32 0, v19
	s_cbranch_execz .LBB240_528
; %bb.521:                              ;   in Loop: Header=BB240_305 Depth=1
	v_mov_b32_e32 v18, 0x8000
	s_mov_b32 s26, exec_lo
	v_cmpx_ne_u16_e32 0x80, v19
	s_cbranch_execz .LBB240_527
; %bb.522:                              ;   in Loop: Header=BB240_305 Depth=1
	v_bfe_u32 v20, v16, 16, 7
	v_mov_b32_e32 v18, 0x7c01
	s_mov_b32 s27, exec_lo
	s_delay_alu instid0(VALU_DEP_2)
	v_cmpx_ne_u32_e32 0x7f, v20
	s_cbranch_execz .LBB240_526
; %bb.523:                              ;   in Loop: Header=BB240_305 Depth=1
	v_and_b32_e32 v18, 7, v8
	v_lshrrev_b32_e32 v19, 3, v20
	s_mov_b32 s28, exec_lo
	v_cmpx_gt_u32_e32 8, v20
; %bb.524:                              ;   in Loop: Header=BB240_305 Depth=1
	s_delay_alu instid0(VALU_DEP_3) | instskip(NEXT) | instid1(VALU_DEP_1)
	v_clz_i32_u32_e32 v18, v18
	v_min_u32_e32 v20, 32, v18
	s_delay_alu instid0(VALU_DEP_1) | instskip(NEXT) | instid1(VALU_DEP_1)
	v_subrev_nc_u32_e32 v18, 28, v20
	v_lshlrev_b64_e32 v[18:19], v18, v[8:9]
	s_delay_alu instid0(VALU_DEP_1)
	v_dual_sub_nc_u32 v19, 29, v20 :: v_dual_bitop2_b32 v18, 7, v18 bitop3:0x40
; %bb.525:                              ;   in Loop: Header=BB240_305 Depth=1
	s_or_b32 exec_lo, exec_lo, s28
	s_delay_alu instid0(VALU_DEP_1) | instskip(NEXT) | instid1(VALU_DEP_2)
	v_dual_lshlrev_b32 v8, 8, v8 :: v_dual_lshlrev_b32 v18, 7, v18
	v_lshl_add_u32 v19, v19, 10, 0x2000
	s_delay_alu instid0(VALU_DEP_2) | instskip(NEXT) | instid1(VALU_DEP_2)
	v_and_b32_e32 v8, 0x8000, v8
	v_and_b32_e32 v19, 0xfc00, v19
	s_delay_alu instid0(VALU_DEP_1)
	v_or3_b32 v18, v8, v19, v18
.LBB240_526:                            ;   in Loop: Header=BB240_305 Depth=1
	s_or_b32 exec_lo, exec_lo, s27
.LBB240_527:                            ;   in Loop: Header=BB240_305 Depth=1
	s_delay_alu instid0(SALU_CYCLE_1)
	s_or_b32 exec_lo, exec_lo, s26
.LBB240_528:                            ;   in Loop: Header=BB240_305 Depth=1
	s_delay_alu instid0(SALU_CYCLE_1) | instskip(NEXT) | instid1(SALU_CYCLE_1)
	s_or_b32 exec_lo, exec_lo, s25
	s_mov_b32 s25, exec_lo
	v_cmpx_lt_u32_e32 0xffffff, v16
	s_cbranch_execz .LBB240_536
; %bb.529:                              ;   in Loop: Header=BB240_305 Depth=1
	v_lshrrev_b32_e32 v8, 24, v16
	v_bfrev_b32_e32 v15, 1
	s_mov_b32 s26, exec_lo
	s_delay_alu instid0(VALU_DEP_2)
	v_cmpx_ne_u32_e32 0x80, v8
	s_cbranch_execz .LBB240_535
; %bb.530:                              ;   in Loop: Header=BB240_305 Depth=1
	v_and_b32_e32 v20, 0x7f, v8
	v_mov_b32_e32 v15, 0x7c010000
	s_mov_b32 s27, exec_lo
	s_delay_alu instid0(VALU_DEP_2)
	v_cmpx_ne_u32_e32 0x7f, v20
	s_cbranch_execz .LBB240_534
; %bb.531:                              ;   in Loop: Header=BB240_305 Depth=1
	v_and_b32_e32 v15, 7, v8
	v_lshrrev_b32_e32 v19, 3, v20
	s_mov_b32 s28, exec_lo
	v_cmpx_gt_u32_e32 8, v20
; %bb.532:                              ;   in Loop: Header=BB240_305 Depth=1
	s_delay_alu instid0(VALU_DEP_3) | instskip(NEXT) | instid1(VALU_DEP_1)
	v_clz_i32_u32_e32 v15, v15
	v_min_u32_e32 v15, 32, v15
	s_delay_alu instid0(VALU_DEP_1) | instskip(NEXT) | instid1(VALU_DEP_1)
	v_subrev_nc_u32_e32 v19, 28, v15
	v_lshlrev_b64_e32 v[20:21], v19, v[8:9]
	s_delay_alu instid0(VALU_DEP_1)
	v_dual_sub_nc_u32 v19, 29, v15 :: v_dual_bitop2_b32 v15, 7, v20 bitop3:0x40
; %bb.533:                              ;   in Loop: Header=BB240_305 Depth=1
	s_or_b32 exec_lo, exec_lo, s28
	s_delay_alu instid0(VALU_DEP_1) | instskip(NEXT) | instid1(VALU_DEP_2)
	v_dual_lshlrev_b32 v8, 8, v8 :: v_dual_lshlrev_b32 v15, 23, v15
	v_lshl_add_u32 v19, v19, 10, 0x2000
	s_delay_alu instid0(VALU_DEP_1) | instskip(NEXT) | instid1(VALU_DEP_1)
	v_and_or_b32 v8, 0x8000, v8, v19
	v_lshl_or_b32 v15, v8, 16, v15
.LBB240_534:                            ;   in Loop: Header=BB240_305 Depth=1
	s_or_b32 exec_lo, exec_lo, s27
.LBB240_535:                            ;   in Loop: Header=BB240_305 Depth=1
	s_delay_alu instid0(SALU_CYCLE_1)
	s_or_b32 exec_lo, exec_lo, s26
.LBB240_536:                            ;   in Loop: Header=BB240_305 Depth=1
	s_delay_alu instid0(SALU_CYCLE_1) | instskip(SKIP_4) | instid1(VALU_DEP_3)
	s_or_b32 exec_lo, exec_lo, s25
	v_and_b32_e32 v21, 0xff, v17
	v_dual_mov_b32 v8, v17 :: v_dual_mov_b32 v20, 0
	v_mov_b32_e32 v19, 0
	s_mov_b32 s25, exec_lo
	v_cmpx_ne_u16_e32 0, v21
	s_cbranch_execz .LBB240_544
; %bb.537:                              ;   in Loop: Header=BB240_305 Depth=1
	v_mov_b32_e32 v19, 0x8000
	s_mov_b32 s26, exec_lo
	v_cmpx_ne_u16_e32 0x80, v21
	s_cbranch_execz .LBB240_543
; %bb.538:                              ;   in Loop: Header=BB240_305 Depth=1
	v_and_b32_e32 v22, 0x7f, v17
	v_mov_b32_e32 v19, 0x7c01
	s_mov_b32 s27, exec_lo
	s_delay_alu instid0(VALU_DEP_2)
	v_cmpx_ne_u32_e32 0x7f, v22
	s_cbranch_execz .LBB240_542
; %bb.539:                              ;   in Loop: Header=BB240_305 Depth=1
	v_dual_lshrrev_b32 v21, 3, v22 :: v_dual_bitop2_b32 v19, 7, v17 bitop3:0x40
	s_mov_b32 s28, exec_lo
	v_cmpx_gt_u32_e32 8, v22
; %bb.540:                              ;   in Loop: Header=BB240_305 Depth=1
	s_delay_alu instid0(VALU_DEP_2) | instskip(NEXT) | instid1(VALU_DEP_1)
	v_clz_i32_u32_e32 v19, v19
	v_min_u32_e32 v19, 32, v19
	s_delay_alu instid0(VALU_DEP_1) | instskip(NEXT) | instid1(VALU_DEP_1)
	v_subrev_nc_u32_e32 v21, 28, v19
	v_lshlrev_b64_e32 v[22:23], v21, v[8:9]
	s_delay_alu instid0(VALU_DEP_1)
	v_dual_sub_nc_u32 v21, 29, v19 :: v_dual_bitop2_b32 v19, 7, v22 bitop3:0x40
; %bb.541:                              ;   in Loop: Header=BB240_305 Depth=1
	s_or_b32 exec_lo, exec_lo, s28
	s_delay_alu instid0(VALU_DEP_1) | instskip(NEXT) | instid1(VALU_DEP_2)
	v_dual_lshlrev_b32 v22, 8, v17 :: v_dual_lshlrev_b32 v19, 7, v19
	v_lshl_add_u32 v21, v21, 10, 0x2000
	s_delay_alu instid0(VALU_DEP_2) | instskip(NEXT) | instid1(VALU_DEP_2)
	v_and_b32_e32 v22, 0x8000, v22
	v_and_b32_e32 v21, 0xfc00, v21
	s_delay_alu instid0(VALU_DEP_1)
	v_or3_b32 v19, v22, v21, v19
.LBB240_542:                            ;   in Loop: Header=BB240_305 Depth=1
	s_or_b32 exec_lo, exec_lo, s27
.LBB240_543:                            ;   in Loop: Header=BB240_305 Depth=1
	s_delay_alu instid0(SALU_CYCLE_1)
	s_or_b32 exec_lo, exec_lo, s26
.LBB240_544:                            ;   in Loop: Header=BB240_305 Depth=1
	s_delay_alu instid0(SALU_CYCLE_1) | instskip(SKIP_3) | instid1(VALU_DEP_2)
	s_or_b32 exec_lo, exec_lo, s25
	v_lshrrev_b16 v8, 8, v8
	v_mov_b32_e32 v21, 0
	s_mov_b32 s25, exec_lo
	v_cmpx_ne_u16_e32 0, v8
	s_cbranch_execz .LBB240_552
; %bb.545:                              ;   in Loop: Header=BB240_305 Depth=1
	v_bfrev_b32_e32 v21, 1
	s_mov_b32 s26, exec_lo
	v_cmpx_ne_u16_e32 0x80, v8
	s_cbranch_execz .LBB240_551
; %bb.546:                              ;   in Loop: Header=BB240_305 Depth=1
	v_and_b32_e32 v22, 0xffff, v8
	v_mov_b32_e32 v21, 0x7c010000
	s_mov_b32 s27, exec_lo
	s_delay_alu instid0(VALU_DEP_2) | instskip(NEXT) | instid1(VALU_DEP_1)
	v_and_b32_e32 v24, 0x7f, v22
	v_cmpx_ne_u32_e32 0x7f, v24
	s_cbranch_execz .LBB240_550
; %bb.547:                              ;   in Loop: Header=BB240_305 Depth=1
	v_dual_lshrrev_b32 v23, 3, v24 :: v_dual_bitop2_b32 v21, 7, v22 bitop3:0x40
	s_mov_b32 s28, exec_lo
	v_cmpx_gt_u32_e32 8, v24
; %bb.548:                              ;   in Loop: Header=BB240_305 Depth=1
	s_delay_alu instid0(VALU_DEP_2) | instskip(NEXT) | instid1(VALU_DEP_1)
	v_clz_i32_u32_e32 v21, v21
	v_min_u32_e32 v21, 32, v21
	s_delay_alu instid0(VALU_DEP_1) | instskip(NEXT) | instid1(VALU_DEP_1)
	v_subrev_nc_u32_e32 v23, 28, v21
	v_lshlrev_b64_e32 v[46:47], v23, v[8:9]
	s_delay_alu instid0(VALU_DEP_1)
	v_dual_sub_nc_u32 v23, 29, v21 :: v_dual_bitop2_b32 v21, 7, v46 bitop3:0x40
; %bb.549:                              ;   in Loop: Header=BB240_305 Depth=1
	s_or_b32 exec_lo, exec_lo, s28
	s_delay_alu instid0(VALU_DEP_1) | instskip(NEXT) | instid1(VALU_DEP_2)
	v_dual_lshlrev_b32 v8, 8, v22 :: v_dual_lshlrev_b32 v21, 23, v21
	v_lshl_add_u32 v22, v23, 10, 0x2000
	s_delay_alu instid0(VALU_DEP_1) | instskip(NEXT) | instid1(VALU_DEP_1)
	v_and_or_b32 v8, 0x8000, v8, v22
	v_lshl_or_b32 v21, v8, 16, v21
.LBB240_550:                            ;   in Loop: Header=BB240_305 Depth=1
	s_or_b32 exec_lo, exec_lo, s27
.LBB240_551:                            ;   in Loop: Header=BB240_305 Depth=1
	s_delay_alu instid0(SALU_CYCLE_1)
	s_or_b32 exec_lo, exec_lo, s26
.LBB240_552:                            ;   in Loop: Header=BB240_305 Depth=1
	s_delay_alu instid0(SALU_CYCLE_1) | instskip(SKIP_2) | instid1(VALU_DEP_1)
	s_or_b32 exec_lo, exec_lo, s25
	v_lshrrev_b32_e32 v8, 16, v17
	s_mov_b32 s25, exec_lo
	v_and_b32_e32 v22, 0xff, v8
	s_delay_alu instid0(VALU_DEP_1)
	v_cmpx_ne_u16_e32 0, v22
	s_cbranch_execz .LBB240_560
; %bb.553:                              ;   in Loop: Header=BB240_305 Depth=1
	v_mov_b32_e32 v20, 0x8000
	s_mov_b32 s26, exec_lo
	v_cmpx_ne_u16_e32 0x80, v22
	s_cbranch_execz .LBB240_559
; %bb.554:                              ;   in Loop: Header=BB240_305 Depth=1
	v_bfe_u32 v23, v17, 16, 7
	v_mov_b32_e32 v20, 0x7c01
	s_mov_b32 s27, exec_lo
	s_delay_alu instid0(VALU_DEP_2)
	v_cmpx_ne_u32_e32 0x7f, v23
	s_cbranch_execz .LBB240_558
; %bb.555:                              ;   in Loop: Header=BB240_305 Depth=1
	v_dual_lshrrev_b32 v22, 3, v23 :: v_dual_bitop2_b32 v20, 7, v8 bitop3:0x40
	s_mov_b32 s28, exec_lo
	v_cmpx_gt_u32_e32 8, v23
; %bb.556:                              ;   in Loop: Header=BB240_305 Depth=1
	s_delay_alu instid0(VALU_DEP_2) | instskip(NEXT) | instid1(VALU_DEP_1)
	v_clz_i32_u32_e32 v20, v20
	v_min_u32_e32 v20, 32, v20
	s_delay_alu instid0(VALU_DEP_1) | instskip(NEXT) | instid1(VALU_DEP_1)
	v_subrev_nc_u32_e32 v22, 28, v20
	v_lshlrev_b64_e32 v[46:47], v22, v[8:9]
	s_delay_alu instid0(VALU_DEP_1)
	v_dual_sub_nc_u32 v22, 29, v20 :: v_dual_bitop2_b32 v20, 7, v46 bitop3:0x40
; %bb.557:                              ;   in Loop: Header=BB240_305 Depth=1
	s_or_b32 exec_lo, exec_lo, s28
	v_lshlrev_b32_e32 v8, 8, v8
	s_delay_alu instid0(VALU_DEP_2) | instskip(NEXT) | instid1(VALU_DEP_3)
	v_lshl_add_u32 v22, v22, 10, 0x2000
	v_lshlrev_b32_e32 v20, 7, v20
	s_delay_alu instid0(VALU_DEP_3) | instskip(NEXT) | instid1(VALU_DEP_3)
	v_and_b32_e32 v8, 0x8000, v8
	v_and_b32_e32 v22, 0xfc00, v22
	s_delay_alu instid0(VALU_DEP_1)
	v_or3_b32 v20, v8, v22, v20
.LBB240_558:                            ;   in Loop: Header=BB240_305 Depth=1
	s_or_b32 exec_lo, exec_lo, s27
.LBB240_559:                            ;   in Loop: Header=BB240_305 Depth=1
	s_delay_alu instid0(SALU_CYCLE_1)
	s_or_b32 exec_lo, exec_lo, s26
.LBB240_560:                            ;   in Loop: Header=BB240_305 Depth=1
	s_delay_alu instid0(SALU_CYCLE_1)
	s_or_b32 exec_lo, exec_lo, s25
	v_cmp_lt_u64_e64 s0, s[8:9], v[16:17]
	v_mov_b32_e32 v16, 0
	s_and_saveexec_b32 s25, s0
	s_cbranch_execz .LBB240_568
; %bb.561:                              ;   in Loop: Header=BB240_305 Depth=1
	v_lshrrev_b32_e32 v8, 24, v17
	v_bfrev_b32_e32 v16, 1
	s_mov_b32 s26, exec_lo
	s_delay_alu instid0(VALU_DEP_2)
	v_cmpx_ne_u32_e32 0x80, v8
	s_cbranch_execz .LBB240_567
; %bb.562:                              ;   in Loop: Header=BB240_305 Depth=1
	v_and_b32_e32 v22, 0x7f, v8
	v_mov_b32_e32 v16, 0x7c010000
	s_mov_b32 s27, exec_lo
	s_delay_alu instid0(VALU_DEP_2)
	v_cmpx_ne_u32_e32 0x7f, v22
	s_cbranch_execz .LBB240_566
; %bb.563:                              ;   in Loop: Header=BB240_305 Depth=1
	v_dual_lshrrev_b32 v17, 3, v22 :: v_dual_bitop2_b32 v16, 7, v8 bitop3:0x40
	s_mov_b32 s28, exec_lo
	v_cmpx_gt_u32_e32 8, v22
; %bb.564:                              ;   in Loop: Header=BB240_305 Depth=1
	s_delay_alu instid0(VALU_DEP_2) | instskip(NEXT) | instid1(VALU_DEP_1)
	v_clz_i32_u32_e32 v16, v16
	v_min_u32_e32 v22, 32, v16
	s_delay_alu instid0(VALU_DEP_1) | instskip(NEXT) | instid1(VALU_DEP_1)
	v_subrev_nc_u32_e32 v16, 28, v22
	v_lshlrev_b64_e32 v[16:17], v16, v[8:9]
	s_delay_alu instid0(VALU_DEP_1)
	v_dual_sub_nc_u32 v17, 29, v22 :: v_dual_bitop2_b32 v16, 7, v16 bitop3:0x40
; %bb.565:                              ;   in Loop: Header=BB240_305 Depth=1
	s_or_b32 exec_lo, exec_lo, s28
	v_lshlrev_b32_e32 v8, 8, v8
	s_delay_alu instid0(VALU_DEP_2) | instskip(NEXT) | instid1(VALU_DEP_3)
	v_lshl_add_u32 v17, v17, 10, 0x2000
	v_lshlrev_b32_e32 v16, 23, v16
	s_delay_alu instid0(VALU_DEP_2) | instskip(NEXT) | instid1(VALU_DEP_1)
	v_and_or_b32 v8, 0x8000, v8, v17
	v_lshl_or_b32 v16, v8, 16, v16
.LBB240_566:                            ;   in Loop: Header=BB240_305 Depth=1
	s_or_b32 exec_lo, exec_lo, s27
.LBB240_567:                            ;   in Loop: Header=BB240_305 Depth=1
	s_delay_alu instid0(SALU_CYCLE_1)
	s_or_b32 exec_lo, exec_lo, s26
.LBB240_568:                            ;   in Loop: Header=BB240_305 Depth=1
	s_delay_alu instid0(SALU_CYCLE_1) | instskip(SKIP_3) | instid1(VALU_DEP_3)
	s_or_b32 exec_lo, exec_lo, s25
	v_dual_lshrrev_b32 v8, 16, v1 :: v_dual_lshrrev_b32 v17, 16, v15
	v_or_b32_e32 v1, v1, v3
	v_dual_lshrrev_b32 v18, 16, v16 :: v_dual_bitop2_b32 v3, v15, v18 bitop3:0x54
	v_cvt_f32_f16_e32 v23, v8
	s_delay_alu instid0(VALU_DEP_4) | instskip(SKIP_4) | instid1(VALU_DEP_3)
	v_cvt_f32_f16_e32 v22, v17
	v_lshrrev_b32_e32 v15, 16, v21
	v_cvt_f32_f16_e32 v17, v1
	v_cvt_f32_f16_e32 v18, v18
	s_wait_loadcnt 0x0
	v_pk_mul_f32 v[22:23], v[14:15], v[22:23] op_sel_hi:[0,1]
	s_delay_alu instid0(VALU_DEP_1) | instskip(SKIP_4) | instid1(VALU_DEP_4)
	v_cvt_pk_f16_f32 v1, v22, v23
	v_or_b32_e32 v8, v16, v20
	v_cvt_f32_f16_e32 v16, v3
	v_or_b32_e32 v3, v21, v19
	v_cvt_f32_f16_e32 v19, v15
	v_cvt_f32_f16_e32 v20, v8
	s_delay_alu instid0(VALU_DEP_4) | instskip(NEXT) | instid1(VALU_DEP_4)
	v_pk_mul_f32 v[16:17], v[14:15], v[16:17] op_sel_hi:[0,1]
	v_cvt_f32_f16_e32 v21, v3
	s_delay_alu instid0(VALU_DEP_4) | instskip(SKIP_1) | instid1(VALU_DEP_4)
	v_pk_mul_f32 v[22:23], v[14:15], v[18:19] op_sel_hi:[0,1]
	v_and_b32_e32 v19, 0xffff0000, v1
	v_cvt_pk_f16_f32 v3, v16, v17
	s_delay_alu instid0(VALU_DEP_4) | instskip(NEXT) | instid1(VALU_DEP_4)
	v_pk_mul_f32 v[14:15], v[14:15], v[20:21] op_sel_hi:[0,1]
	v_cvt_pk_f16_f32 v8, v22, v23
	v_lshlrev_b32_e32 v20, 16, v1
	s_delay_alu instid0(VALU_DEP_4) | instskip(NEXT) | instid1(VALU_DEP_4)
	v_and_b32_e32 v22, 0xffff, v3
	v_cvt_pk_f16_f32 v14, v14, v15
	v_lshrrev_b32_e32 v21, 16, v3
	v_and_b32_e32 v1, 0xffff0000, v8
	s_delay_alu instid0(VALU_DEP_4) | instskip(NEXT) | instid1(VALU_DEP_4)
	v_dual_lshlrev_b32 v8, 16, v8 :: v_dual_bitop2_b32 v16, v20, v22 bitop3:0x54
	v_lshrrev_b32_e32 v17, 16, v14
	v_and_b32_e32 v18, 0xffff, v14
	v_or_b32_e32 v15, v19, v21
	s_delay_alu instid0(VALU_DEP_3) | instskip(NEXT) | instid1(VALU_DEP_3)
	v_or_b32_e32 v3, v1, v17
	v_or_b32_e32 v14, v8, v18
	s_and_saveexec_b32 s0, vcc_lo
	s_cbranch_execz .LBB240_303
; %bb.569:                              ;   in Loop: Header=BB240_305 Depth=1
	v_cmp_gt_i32_e32 vcc_lo, s18, v2
	v_cndmask_b32_e32 v3, 0, v21, vcc_lo
	v_cmp_gt_i32_e32 vcc_lo, s34, v35
	v_cndmask_b32_e32 v14, 0, v22, vcc_lo
	;; [unrolled: 2-line block ×4, first 2 shown]
	v_cmp_gt_i32_e32 vcc_lo, s18, v32
	s_delay_alu instid0(VALU_DEP_4) | instskip(NEXT) | instid1(VALU_DEP_3)
	v_or_b32_e32 v15, v15, v3
	v_dual_cndmask_b32 v17, 0, v17, vcc_lo :: v_dual_bitop2_b32 v16, v16, v14 bitop3:0x54
	v_cmp_gt_i32_e32 vcc_lo, s34, v31
	v_cndmask_b32_e32 v18, 0, v18, vcc_lo
	v_cmp_gt_i32_e32 vcc_lo, s18, v30
	v_cndmask_b32_e32 v1, 0, v1, vcc_lo
	v_cmp_gt_i32_e32 vcc_lo, s34, v29
	s_delay_alu instid0(VALU_DEP_2) | instskip(NEXT) | instid1(VALU_DEP_1)
	v_dual_cndmask_b32 v8, 0, v8, vcc_lo :: v_dual_bitop2_b32 v3, v1, v17 bitop3:0x54
	v_or_b32_e32 v14, v8, v18
	s_branch .LBB240_303
.LBB240_570:
	s_or_b32 exec_lo, exec_lo, s19
.LBB240_571:
	s_delay_alu instid0(SALU_CYCLE_1) | instskip(SKIP_4) | instid1(VALU_DEP_2)
	s_or_b32 exec_lo, exec_lo, s1
	v_lshl_add_u32 v2, v26, 2, 0x120
	v_and_b32_e32 v3, 0x3c0, v0
	s_mov_b32 s0, exec_lo
	s_barrier_signal -1
	v_lshl_add_u32 v1, v25, 9, v2
	s_barrier_wait -1
	v_cmpx_eq_u32_e32 64, v3
	s_cbranch_execz .LBB240_573
; %bb.572:
	s_delay_alu instid0(VALU_DEP_2)
	v_add_nc_u32_e32 v3, 0xfffffc00, v1
	v_add_nc_u32_e32 v8, 0xfffffc80, v1
	;; [unrolled: 1-line block ×4, first 2 shown]
	ds_store_b32 v3, v4
	ds_store_b32 v8, v5
	;; [unrolled: 1-line block ×4, first 2 shown]
.LBB240_573:
	s_or_b32 exec_lo, exec_lo, s0
	s_wait_dscnt 0x0
	s_barrier_signal -1
	s_barrier_wait -1
	s_and_saveexec_b32 s0, s2
	s_cbranch_execz .LBB240_575
; %bb.574:
	ds_load_2addr_b32 v[8:9], v1 offset1:32
	ds_load_2addr_b32 v[10:11], v1 offset0:64 offset1:96
	s_wait_dscnt 0x1
	v_pk_add_f32 v[4:5], v[4:5], v[8:9]
	s_wait_dscnt 0x0
	v_pk_add_f32 v[6:7], v[6:7], v[10:11]
.LBB240_575:
	s_or_b32 exec_lo, exec_lo, s0
	v_and_b32_e32 v3, 0x3e0, v0
	s_mov_b32 s0, exec_lo
	s_barrier_signal -1
	s_barrier_wait -1
	s_delay_alu instid0(VALU_DEP_1)
	v_cmpx_eq_u32_e32 32, v3
	s_cbranch_execz .LBB240_577
; %bb.576:
	ds_store_2addr_b32 v2, v4, v5 offset1:32
	ds_store_2addr_b32 v2, v6, v7 offset0:64 offset1:96
.LBB240_577:
	s_or_b32 exec_lo, exec_lo, s0
	v_cmp_gt_u32_e32 vcc_lo, 32, v0
	s_wait_dscnt 0x0
	s_barrier_signal -1
	s_barrier_wait -1
	s_and_saveexec_b32 s0, vcc_lo
	s_cbranch_execz .LBB240_579
; %bb.578:
	ds_load_2addr_b32 v[2:3], v1 offset1:32
	ds_load_2addr_b32 v[8:9], v1 offset0:64 offset1:96
	s_wait_dscnt 0x1
	v_pk_add_f32 v[4:5], v[4:5], v[2:3]
	s_wait_dscnt 0x0
	v_pk_add_f32 v[6:7], v[6:7], v[8:9]
.LBB240_579:
	s_or_b32 exec_lo, exec_lo, s0
	s_barrier_signal -1
	s_barrier_wait -1
	s_and_saveexec_b32 s0, vcc_lo
	s_cbranch_execz .LBB240_581
; %bb.580:
	s_mul_i32 s1, s33, s12
	s_bfe_u32 s5, ttmp6, 0x40014
	s_mul_i32 s1, s1, s31
	s_mul_i32 s0, s12, s20
	s_lshl_b32 s2, s1, 7
	s_lshr_b32 s4, ttmp7, 16
	s_ashr_i32 s3, s2, 31
	s_add_co_i32 s5, s5, 1
	s_lshl_b64 s[2:3], s[2:3], 1
	s_ashr_i32 s1, s0, 31
	s_wait_kmcnt 0x0
	s_add_nc_u64 s[2:3], s[6:7], s[2:3]
	s_mul_i32 s5, s4, s5
	s_bfe_u32 s6, ttmp6, 0x40008
	s_lshl_b64 s[0:1], s[0:1], 1
	s_add_co_i32 s6, s6, s5
	s_cmp_eq_u32 s30, 0
	s_add_nc_u64 s[0:1], s[2:3], s[0:1]
	s_cselect_b32 s2, s4, s6
	s_mov_b32 s3, 0
	s_lshl_b32 s2, s2, 8
	;;#ASMSTART
	v_cvt_f16_f32 v1, v4;

	;;#ASMEND
	s_add_nc_u64 s[0:1], s[0:1], s[2:3]
	global_store_b16 v0, v1, s[0:1] scale_offset
	s_wait_xcnt 0x0
	;;#ASMSTART
	v_cvt_f16_f32 v1, v5;

	;;#ASMEND
	global_store_b16 v0, v1, s[0:1] offset:64 scale_offset
	s_wait_xcnt 0x0
	;;#ASMSTART
	v_cvt_f16_f32 v1, v6;

	;;#ASMEND
	global_store_b16 v0, v1, s[0:1] offset:128 scale_offset
	;; [unrolled: 6-line block ×3, first 2 shown]
.LBB240_581:
	s_sendmsg sendmsg(MSG_DEALLOC_VGPRS)
	s_endpgm
	.section	.rodata,"a",@progbits
	.p2align	6, 0x0
	.amdhsa_kernel _ZN4vllm25paged_attention_v1_kernelIthLi128ELi8ELi128ELNS_18Fp8KVCacheDataTypeE1ELb1EEEvPT_PKS2_PKT0_S8_ifPKiSA_iPKfiiiSC_SC_iiiii
		.amdhsa_group_segment_fixed_size 288
		.amdhsa_private_segment_fixed_size 0
		.amdhsa_kernarg_size 384
		.amdhsa_user_sgpr_count 2
		.amdhsa_user_sgpr_dispatch_ptr 0
		.amdhsa_user_sgpr_queue_ptr 0
		.amdhsa_user_sgpr_kernarg_segment_ptr 1
		.amdhsa_user_sgpr_dispatch_id 0
		.amdhsa_user_sgpr_kernarg_preload_length 0
		.amdhsa_user_sgpr_kernarg_preload_offset 0
		.amdhsa_user_sgpr_private_segment_size 0
		.amdhsa_wavefront_size32 1
		.amdhsa_uses_dynamic_stack 0
		.amdhsa_enable_private_segment 0
		.amdhsa_system_sgpr_workgroup_id_x 1
		.amdhsa_system_sgpr_workgroup_id_y 1
		.amdhsa_system_sgpr_workgroup_id_z 1
		.amdhsa_system_sgpr_workgroup_info 0
		.amdhsa_system_vgpr_workitem_id 0
		.amdhsa_next_free_vgpr 78
		.amdhsa_next_free_sgpr 46
		.amdhsa_named_barrier_count 0
		.amdhsa_reserve_vcc 1
		.amdhsa_float_round_mode_32 0
		.amdhsa_float_round_mode_16_64 0
		.amdhsa_float_denorm_mode_32 3
		.amdhsa_float_denorm_mode_16_64 3
		.amdhsa_fp16_overflow 0
		.amdhsa_memory_ordered 1
		.amdhsa_forward_progress 1
		.amdhsa_inst_pref_size 176
		.amdhsa_round_robin_scheduling 0
		.amdhsa_exception_fp_ieee_invalid_op 0
		.amdhsa_exception_fp_denorm_src 0
		.amdhsa_exception_fp_ieee_div_zero 0
		.amdhsa_exception_fp_ieee_overflow 0
		.amdhsa_exception_fp_ieee_underflow 0
		.amdhsa_exception_fp_ieee_inexact 0
		.amdhsa_exception_int_div_zero 0
	.end_amdhsa_kernel
	.section	.text._ZN4vllm25paged_attention_v1_kernelIthLi128ELi8ELi128ELNS_18Fp8KVCacheDataTypeE1ELb1EEEvPT_PKS2_PKT0_S8_ifPKiSA_iPKfiiiSC_SC_iiiii,"axG",@progbits,_ZN4vllm25paged_attention_v1_kernelIthLi128ELi8ELi128ELNS_18Fp8KVCacheDataTypeE1ELb1EEEvPT_PKS2_PKT0_S8_ifPKiSA_iPKfiiiSC_SC_iiiii,comdat
.Lfunc_end240:
	.size	_ZN4vllm25paged_attention_v1_kernelIthLi128ELi8ELi128ELNS_18Fp8KVCacheDataTypeE1ELb1EEEvPT_PKS2_PKT0_S8_ifPKiSA_iPKfiiiSC_SC_iiiii, .Lfunc_end240-_ZN4vllm25paged_attention_v1_kernelIthLi128ELi8ELi128ELNS_18Fp8KVCacheDataTypeE1ELb1EEEvPT_PKS2_PKT0_S8_ifPKiSA_iPKfiiiSC_SC_iiiii
                                        ; -- End function
	.set _ZN4vllm25paged_attention_v1_kernelIthLi128ELi8ELi128ELNS_18Fp8KVCacheDataTypeE1ELb1EEEvPT_PKS2_PKT0_S8_ifPKiSA_iPKfiiiSC_SC_iiiii.num_vgpr, 78
	.set _ZN4vllm25paged_attention_v1_kernelIthLi128ELi8ELi128ELNS_18Fp8KVCacheDataTypeE1ELb1EEEvPT_PKS2_PKT0_S8_ifPKiSA_iPKfiiiSC_SC_iiiii.num_agpr, 0
	.set _ZN4vllm25paged_attention_v1_kernelIthLi128ELi8ELi128ELNS_18Fp8KVCacheDataTypeE1ELb1EEEvPT_PKS2_PKT0_S8_ifPKiSA_iPKfiiiSC_SC_iiiii.numbered_sgpr, 46
	.set _ZN4vllm25paged_attention_v1_kernelIthLi128ELi8ELi128ELNS_18Fp8KVCacheDataTypeE1ELb1EEEvPT_PKS2_PKT0_S8_ifPKiSA_iPKfiiiSC_SC_iiiii.num_named_barrier, 0
	.set _ZN4vllm25paged_attention_v1_kernelIthLi128ELi8ELi128ELNS_18Fp8KVCacheDataTypeE1ELb1EEEvPT_PKS2_PKT0_S8_ifPKiSA_iPKfiiiSC_SC_iiiii.private_seg_size, 0
	.set _ZN4vllm25paged_attention_v1_kernelIthLi128ELi8ELi128ELNS_18Fp8KVCacheDataTypeE1ELb1EEEvPT_PKS2_PKT0_S8_ifPKiSA_iPKfiiiSC_SC_iiiii.uses_vcc, 1
	.set _ZN4vllm25paged_attention_v1_kernelIthLi128ELi8ELi128ELNS_18Fp8KVCacheDataTypeE1ELb1EEEvPT_PKS2_PKT0_S8_ifPKiSA_iPKfiiiSC_SC_iiiii.uses_flat_scratch, 0
	.set _ZN4vllm25paged_attention_v1_kernelIthLi128ELi8ELi128ELNS_18Fp8KVCacheDataTypeE1ELb1EEEvPT_PKS2_PKT0_S8_ifPKiSA_iPKfiiiSC_SC_iiiii.has_dyn_sized_stack, 0
	.set _ZN4vllm25paged_attention_v1_kernelIthLi128ELi8ELi128ELNS_18Fp8KVCacheDataTypeE1ELb1EEEvPT_PKS2_PKT0_S8_ifPKiSA_iPKfiiiSC_SC_iiiii.has_recursion, 0
	.set _ZN4vllm25paged_attention_v1_kernelIthLi128ELi8ELi128ELNS_18Fp8KVCacheDataTypeE1ELb1EEEvPT_PKS2_PKT0_S8_ifPKiSA_iPKfiiiSC_SC_iiiii.has_indirect_call, 0
	.section	.AMDGPU.csdata,"",@progbits
; Kernel info:
; codeLenInByte = 22524
; TotalNumSgprs: 48
; NumVgprs: 78
; ScratchSize: 0
; MemoryBound: 0
; FloatMode: 240
; IeeeMode: 1
; LDSByteSize: 288 bytes/workgroup (compile time only)
; SGPRBlocks: 0
; VGPRBlocks: 4
; NumSGPRsForWavesPerEU: 48
; NumVGPRsForWavesPerEU: 78
; NamedBarCnt: 0
; Occupancy: 12
; WaveLimiterHint : 1
; COMPUTE_PGM_RSRC2:SCRATCH_EN: 0
; COMPUTE_PGM_RSRC2:USER_SGPR: 2
; COMPUTE_PGM_RSRC2:TRAP_HANDLER: 0
; COMPUTE_PGM_RSRC2:TGID_X_EN: 1
; COMPUTE_PGM_RSRC2:TGID_Y_EN: 1
; COMPUTE_PGM_RSRC2:TGID_Z_EN: 1
; COMPUTE_PGM_RSRC2:TIDIG_COMP_CNT: 0
	.section	.text._ZN4vllm25paged_attention_v1_kernelIthLi192ELi8ELi128ELNS_18Fp8KVCacheDataTypeE1ELb1EEEvPT_PKS2_PKT0_S8_ifPKiSA_iPKfiiiSC_SC_iiiii,"axG",@progbits,_ZN4vllm25paged_attention_v1_kernelIthLi192ELi8ELi128ELNS_18Fp8KVCacheDataTypeE1ELb1EEEvPT_PKS2_PKT0_S8_ifPKiSA_iPKfiiiSC_SC_iiiii,comdat
	.protected	_ZN4vllm25paged_attention_v1_kernelIthLi192ELi8ELi128ELNS_18Fp8KVCacheDataTypeE1ELb1EEEvPT_PKS2_PKT0_S8_ifPKiSA_iPKfiiiSC_SC_iiiii ; -- Begin function _ZN4vllm25paged_attention_v1_kernelIthLi192ELi8ELi128ELNS_18Fp8KVCacheDataTypeE1ELb1EEEvPT_PKS2_PKT0_S8_ifPKiSA_iPKfiiiSC_SC_iiiii
	.globl	_ZN4vllm25paged_attention_v1_kernelIthLi192ELi8ELi128ELNS_18Fp8KVCacheDataTypeE1ELb1EEEvPT_PKS2_PKT0_S8_ifPKiSA_iPKfiiiSC_SC_iiiii
	.p2align	8
	.type	_ZN4vllm25paged_attention_v1_kernelIthLi192ELi8ELi128ELNS_18Fp8KVCacheDataTypeE1ELb1EEEvPT_PKS2_PKT0_S8_ifPKiSA_iPKfiiiSC_SC_iiiii,@function
_ZN4vllm25paged_attention_v1_kernelIthLi192ELi8ELi128ELNS_18Fp8KVCacheDataTypeE1ELb1EEEvPT_PKS2_PKT0_S8_ifPKiSA_iPKfiiiSC_SC_iiiii: ; @_ZN4vllm25paged_attention_v1_kernelIthLi192ELi8ELi128ELNS_18Fp8KVCacheDataTypeE1ELb1EEEvPT_PKS2_PKT0_S8_ifPKiSA_iPKfiiiSC_SC_iiiii
; %bb.0:
	s_load_b64 s[26:27], s[0:1], 0x20
	s_bfe_u32 s3, ttmp6, 0x4000c
	s_bfe_u32 s4, ttmp6, 0x40010
	s_and_b32 s6, ttmp7, 0xffff
	s_add_co_i32 s3, s3, 1
	s_add_co_i32 s4, s4, 1
	s_and_b32 s2, ttmp6, 15
	s_bfe_u32 s5, ttmp6, 0x40004
	s_mul_i32 s3, ttmp9, s3
	s_mul_i32 s4, s6, s4
	s_getreg_b32 s30, hwreg(HW_REG_IB_STS2, 6, 4)
	s_add_co_i32 s2, s2, s3
	s_add_co_i32 s3, s5, s4
	s_cmp_eq_u32 s30, 0
	s_clause 0x1
	s_load_b32 s31, s[0:1], 0x80
	s_load_b64 s[4:5], s[0:1], 0x30
	s_cselect_b32 s33, s6, s3
	s_cselect_b32 s2, ttmp9, s2
	s_wait_kmcnt 0x0
	s_abs_i32 s3, s26
	s_delay_alu instid0(SALU_CYCLE_1) | instskip(SKIP_1) | instid1(SALU_CYCLE_2)
	s_cvt_f32_u32 s6, s3
	s_sub_co_i32 s7, 0, s3
	v_rcp_iflag_f32_e32 v1, s6
	s_abs_i32 s8, s31
	v_nop
	s_delay_alu instid0(TRANS32_DEP_1) | instskip(SKIP_1) | instid1(SALU_CYCLE_3)
	v_readfirstlane_b32 s6, v1
	s_mul_f32 s6, s6, 0x4f7ffffe
	s_cvt_u32_f32 s6, s6
	s_delay_alu instid0(SALU_CYCLE_3) | instskip(NEXT) | instid1(SALU_CYCLE_1)
	s_mul_i32 s7, s7, s6
	s_mul_hi_u32 s7, s6, s7
	s_delay_alu instid0(SALU_CYCLE_1) | instskip(SKIP_4) | instid1(SALU_CYCLE_1)
	s_add_co_i32 s6, s6, s7
	s_xor_b32 s7, s31, s26
	s_mul_hi_u32 s6, s8, s6
	s_ashr_i32 s7, s7, 31
	s_mul_i32 s9, s6, s3
	s_sub_co_i32 s8, s8, s9
	s_add_co_i32 s9, s6, 1
	s_sub_co_i32 s10, s8, s3
	s_cmp_ge_u32 s8, s3
	s_cselect_b32 s6, s9, s6
	s_cselect_b32 s8, s10, s8
	s_add_co_i32 s9, s6, 1
	s_cmp_ge_u32 s8, s3
	s_load_b64 s[10:11], s[0:1], 0x40
	s_cselect_b32 s3, s9, s6
	s_mov_b32 s9, 0
	s_xor_b32 s3, s3, s7
	s_abs_i32 s8, s2
	s_sub_co_i32 s12, s3, s7
	s_mov_b32 s7, s9
	s_abs_i32 s19, s12
	s_mov_b32 s37, s9
	s_cvt_f32_u32 s3, s19
	s_sub_co_i32 s6, 0, s19
	s_delay_alu instid0(SALU_CYCLE_2) | instskip(SKIP_1) | instid1(TRANS32_DEP_1)
	v_rcp_iflag_f32_e32 v1, s3
	v_nop
	v_readfirstlane_b32 s3, v1
	s_mul_f32 s3, s3, 0x4f7ffffe
	s_delay_alu instid0(SALU_CYCLE_3) | instskip(NEXT) | instid1(SALU_CYCLE_3)
	s_cvt_u32_f32 s3, s3
	s_mul_i32 s6, s6, s3
	s_delay_alu instid0(SALU_CYCLE_1) | instskip(NEXT) | instid1(SALU_CYCLE_1)
	s_mul_hi_u32 s6, s3, s6
	s_add_co_i32 s6, s3, s6
	s_wait_kmcnt 0x0
	s_cmp_eq_u64 s[10:11], 0
	s_cbranch_scc1 .LBB241_2
; %bb.1:
	s_ashr_i32 s3, s2, 31
	s_delay_alu instid0(SALU_CYCLE_1) | instskip(NEXT) | instid1(SALU_CYCLE_1)
	s_lshl_b64 s[14:15], s[2:3], 2
	s_add_nc_u64 s[10:11], s[10:11], s[14:15]
	s_load_b32 s37, s[10:11], 0x0
.LBB241_2:
	s_load_b32 s34, s[4:5], s33 offset:0x0 scale_offset
	s_load_b96 s[16:18], s[0:1], 0x48
	v_and_b32_e32 v6, 3, v0
	s_wait_xcnt 0x0
	s_mul_u64 s[4:5], s[8:9], s[6:7]
	s_ashr_i32 s3, s2, 31
	s_ashr_i32 s10, s12, 31
	s_mul_i32 s6, s2, 0xc0
	s_mov_b32 s4, exec_lo
	v_cmpx_gt_u32_e32 0x60, v0
	s_cbranch_execz .LBB241_4
; %bb.3:
	s_load_b64 s[12:13], s[0:1], 0x8
	s_wait_kmcnt 0x0
	s_mul_i32 s14, s16, s33
	s_ashr_i32 s7, s6, 31
	s_ashr_i32 s15, s14, 31
	v_and_b32_e32 v2, 0x3fc, v0
	s_lshl_b64 s[14:15], s[14:15], 1
	s_delay_alu instid0(VALU_DEP_1) | instskip(SKIP_2) | instid1(SALU_CYCLE_1)
	v_mad_u32_u24 v2, 0x60, v6, v2
	s_add_nc_u64 s[12:13], s[12:13], s[14:15]
	s_lshl_b64 s[14:15], s[6:7], 1
	s_add_nc_u64 s[12:13], s[12:13], s[14:15]
	global_load_b32 v1, v0, s[12:13] scale_offset
	s_wait_loadcnt 0x0
	ds_store_b32 v2, v1
.LBB241_4:
	s_or_b32 exec_lo, exec_lo, s4
	s_load_b128 s[12:15], s[0:1], 0x68
	s_mul_i32 s4, s5, s19
	s_xor_b32 s3, s3, s10
	s_sub_co_i32 s4, s8, s4
	s_add_co_i32 s7, s5, 1
	s_sub_co_i32 s8, s4, s19
	s_cmp_ge_u32 s4, s19
	s_mov_b32 s9, -1
	s_cselect_b32 s5, s7, s5
	s_cselect_b32 s4, s8, s4
	s_add_co_i32 s8, s5, 1
	s_cmp_ge_u32 s4, s19
	s_load_b32 s7, s[0:1], 0x78
	s_cselect_b32 s4, s8, s5
	s_wait_kmcnt 0x0
	s_add_co_i32 s8, s34, -1
	s_xor_b32 s4, s4, s3
	s_wait_dscnt 0x0
	s_sub_co_i32 s3, s4, s3
	s_barrier_signal -1
	s_barrier_wait -1
	s_abs_i32 s16, s15
	s_delay_alu instid0(SALU_CYCLE_1) | instskip(NEXT) | instid1(SALU_CYCLE_3)
	s_cvt_f32_u32 s5, s16
                                        ; implicit-def: $sgpr35
	v_rcp_iflag_f32_e32 v1, s5
	v_nop
	s_delay_alu instid0(TRANS32_DEP_1) | instskip(SKIP_1) | instid1(SALU_CYCLE_3)
	v_readfirstlane_b32 s5, v1
	s_mul_f32 s4, s5, 0x4f7ffffe
	s_cvt_u32_f32 s10, s4
	s_sub_co_i32 s4, 0, s16
	s_delay_alu instid0(SALU_CYCLE_2)
	s_mul_i32 s5, s4, s10
	s_abs_i32 s4, s8
	s_mul_hi_u32 s11, s10, s5
	s_mov_b32 s5, 0
	s_add_co_i32 s20, s10, s11
	s_cmp_lt_i32 s7, 0
	s_mov_b32 s21, s5
	s_cbranch_scc0 .LBB241_6
; %bb.5:
	s_mul_i32 s9, s12, s26
	s_delay_alu instid0(SALU_CYCLE_1) | instskip(NEXT) | instid1(SALU_CYCLE_1)
	s_add_co_i32 s9, s3, s9
	s_mul_i32 s9, s9, s7
	s_delay_alu instid0(SALU_CYCLE_1)
	s_sub_co_i32 s35, 1, s9
	s_mov_b32 s9, s5
.LBB241_6:
	s_ashr_i32 s8, s8, 31
	s_ashr_i32 s15, s15, 31
	s_and_not1_b32 vcc_lo, exec_lo, s9
	s_mul_u64 s[28:29], s[4:5], s[20:21]
	s_cbranch_vccnz .LBB241_8
; %bb.7:
	s_mul_i32 s5, s31, s12
	s_delay_alu instid0(SALU_CYCLE_1) | instskip(NEXT) | instid1(SALU_CYCLE_1)
	s_add_co_i32 s2, s5, s2
	s_mul_i32 s2, s2, s7
	s_delay_alu instid0(SALU_CYCLE_1)
	s_add_co_i32 s35, s2, 1
.LBB241_8:
	s_clause 0x1
	s_load_b32 s2, s[0:1], 0x38
	s_load_b64 s[22:23], s[0:1], 0x28
	s_mul_i32 s7, s29, s16
	s_xor_b32 s5, s8, s15
	s_sub_co_i32 s4, s4, s7
	s_add_co_i32 s12, s29, 1
	s_clause 0x1
	s_load_b32 s7, s[0:1], 0x88
	s_load_b128 s[8:11], s[0:1], 0x58
	v_dual_mov_b32 v16, 0xff7fffff :: v_dual_lshrrev_b32 v27, 5, v0
	v_lshrrev_b32_e32 v1, 3, v0
	v_mbcnt_lo_u32_b32 v3, -1, 0
	s_mul_i32 s18, s3, s18
	s_delay_alu instid0(VALU_DEP_3)
	v_lshlrev_b32_e32 v2, 3, v27
	s_wait_kmcnt 0x0
	s_mul_i32 s24, s2, s33
	s_sub_co_i32 s2, s4, s16
	s_ashr_i32 s25, s24, 31
	s_cmp_ge_u32 s4, s16
	s_cselect_b32 s12, s12, s29
	s_cselect_b32 s2, s2, s4
	s_add_co_i32 s4, s12, 1
	s_cmp_ge_u32 s2, s16
	s_cselect_b32 s2, s4, s12
	s_add_co_i32 s4, s34, 7
	s_delay_alu instid0(SALU_CYCLE_1) | instskip(NEXT) | instid1(SALU_CYCLE_1)
	s_ashr_i32 s12, s4, 31
	s_lshr_b32 s12, s12, 29
	s_delay_alu instid0(SALU_CYCLE_1) | instskip(NEXT) | instid1(SALU_CYCLE_1)
	s_add_co_i32 s4, s4, s12
	s_ashr_i32 s12, s4, 3
	s_xor_b32 s4, s2, s5
	v_cmp_gt_i32_e64 s2, s12, v27
	s_sub_co_i32 s36, s4, s5
	s_and_saveexec_b32 s26, s2
	s_cbranch_execz .LBB241_404
; %bb.9:
	s_load_b64 s[4:5], s[0:1], 0x10
	s_sub_co_i32 s38, s36, s13
	s_ashr_i32 s19, s18, 31
	s_cmp_neq_f32 s37, 0
	v_bfe_u32 v14, v0, 2, 3
	v_mov_b32_e32 v5, 0
	v_mul_u32_u24_e32 v15, 0x60, v6
	s_cselect_b32 vcc_lo, -1, 0
	s_abs_i32 s39, s14
	v_lshlrev_b32_e32 v4, 4, v14
	s_cvt_f32_u32 s3, s39
	s_lshl_b64 s[40:41], s[24:25], 2
	v_subrev_nc_u32_e32 v10, s34, v14
	v_mov_b32_e32 v16, 0xff7fffff
	v_rcp_iflag_f32_e32 v7, s3
	v_cmp_eq_u32_e64 s3, 0, v6
	s_delay_alu instid0(VALU_DEP_3)
	v_dual_mov_b32 v20, v27 :: v_dual_add_nc_u32 v17, 1, v10
	s_mov_b32 s29, 0
	v_mov_b32_e32 v19, 0xff7fffff
	s_wait_kmcnt 0x0
	s_add_nc_u64 s[4:5], s[4:5], s[18:19]
	v_readfirstlane_b32 s28, v7
	v_add_nc_u64_e32 v[8:9], s[4:5], v[4:5]
	v_lshlrev_b32_e32 v7, 2, v14
	v_lshlrev_b32_e32 v4, 1, v6
	s_add_nc_u64 s[4:5], s[22:23], s[40:41]
	s_mul_f32 s19, s28, 0x4f7ffffe
	s_sub_co_i32 s28, 0, s39
	v_lshl_or_b32 v11, v27, 5, v7
	v_add_nc_u64_e32 v[6:7], v[8:9], v[4:5]
	v_and_b32_e32 v4, 0x7c, v1
	s_cvt_u32_f32 s40, s19
	s_mov_b32 s19, s17
	v_add_nc_u32_e32 v18, 0x1a0, v11
	s_delay_alu instid0(VALU_DEP_2) | instskip(SKIP_3) | instid1(SALU_CYCLE_1)
	v_add_nc_u64_e32 v[8:9], s[4:5], v[4:5]
	s_mul_i32 s28, s28, s40
	v_lshlrev_b32_e32 v4, 3, v27
	s_mul_hi_u32 s28, s40, s28
	s_add_co_i32 s28, s40, s28
	s_mov_b32 s40, s29
	s_branch .LBB241_12
.LBB241_10:                             ;   in Loop: Header=BB241_12 Depth=1
	s_or_b32 exec_lo, exec_lo, s41
.LBB241_11:                             ;   in Loop: Header=BB241_12 Depth=1
	s_delay_alu instid0(SALU_CYCLE_1) | instskip(SKIP_4) | instid1(VALU_DEP_4)
	s_or_b32 exec_lo, exec_lo, s5
	v_add_nc_u32_e32 v20, 4, v20
	v_add_nc_u64_e32 v[8:9], 16, v[8:9]
	v_add_nc_u32_e32 v4, 32, v4
	v_add_nc_u32_e32 v18, 0x80, v18
	v_cmp_le_i32_e64 s4, s12, v20
	s_or_b32 s40, s4, s40
	s_delay_alu instid0(SALU_CYCLE_1)
	s_and_not1_b32 exec_lo, exec_lo, s40
	s_cbranch_execz .LBB241_403
.LBB241_12:                             ; =>This Inner Loop Header: Depth=1
	s_wait_dscnt 0x0
	v_mul_u64_e32 v[10:11], s[20:21], v[4:5]
	s_delay_alu instid0(VALU_DEP_1) | instskip(NEXT) | instid1(VALU_DEP_1)
	v_mul_lo_u32 v10, v11, s16
	v_dual_add_nc_u32 v12, 1, v11 :: v_dual_sub_nc_u32 v10, v4, v10
	s_delay_alu instid0(VALU_DEP_1) | instskip(SKIP_1) | instid1(VALU_DEP_1)
	v_subrev_nc_u32_e32 v13, s16, v10
	v_cmp_le_u32_e64 s4, s16, v10
	v_dual_cndmask_b32 v11, v11, v12, s4 :: v_dual_cndmask_b32 v10, v10, v13, s4
	s_delay_alu instid0(VALU_DEP_1) | instskip(NEXT) | instid1(VALU_DEP_2)
	v_add_nc_u32_e32 v12, 1, v11
	v_cmp_le_u32_e64 s4, s16, v10
	s_delay_alu instid0(VALU_DEP_1) | instskip(NEXT) | instid1(VALU_DEP_1)
	v_dual_cndmask_b32 v10, v11, v12, s4 :: v_dual_mov_b32 v11, v5
	v_xor_b32_e32 v10, s15, v10
	s_delay_alu instid0(VALU_DEP_1) | instskip(NEXT) | instid1(VALU_DEP_1)
	v_subrev_nc_u32_e32 v21, s15, v10
	v_add_nc_u32_e32 v22, s35, v21
	v_cmp_ge_i32_e64 s5, s38, v21
	s_delay_alu instid0(VALU_DEP_2) | instskip(NEXT) | instid1(VALU_DEP_1)
	v_sub_nc_u32_e32 v10, 0, v22
	v_max_i32_e32 v10, v22, v10
	s_delay_alu instid0(VALU_DEP_1) | instskip(SKIP_1) | instid1(VALU_DEP_2)
	v_mul_u64_e32 v[12:13], s[28:29], v[10:11]
	v_ashrrev_i32_e32 v12, 31, v22
	v_mul_lo_u32 v11, v13, s39
	s_delay_alu instid0(VALU_DEP_1) | instskip(NEXT) | instid1(VALU_DEP_1)
	v_sub_nc_u32_e32 v10, v10, v11
	v_subrev_nc_u32_e32 v11, s39, v10
	v_cmp_le_u32_e64 s4, s39, v10
	s_delay_alu instid0(VALU_DEP_1) | instskip(NEXT) | instid1(VALU_DEP_1)
	v_cndmask_b32_e64 v10, v10, v11, s4
	v_subrev_nc_u32_e32 v11, s39, v10
	v_cmp_le_u32_e64 s4, s39, v10
	s_delay_alu instid0(VALU_DEP_1) | instskip(NEXT) | instid1(VALU_DEP_1)
	v_cndmask_b32_e64 v10, v10, v11, s4
	v_xor_b32_e32 v10, v10, v12
	s_delay_alu instid0(VALU_DEP_1) | instskip(NEXT) | instid1(VALU_DEP_1)
	v_sub_nc_u32_e32 v10, v10, v12
	v_cmp_ne_u32_e64 s4, 0, v10
	s_and_b32 s4, s4, s5
	s_delay_alu instid0(SALU_CYCLE_1) | instskip(NEXT) | instid1(SALU_CYCLE_1)
	s_and_saveexec_b32 s5, s4
	s_xor_b32 s4, exec_lo, s5
	s_cbranch_execz .LBB241_16
; %bb.13:                               ;   in Loop: Header=BB241_12 Depth=1
	s_and_saveexec_b32 s5, s3
; %bb.14:                               ;   in Loop: Header=BB241_12 Depth=1
	ds_store_b32 v18, v19
; %bb.15:                               ;   in Loop: Header=BB241_12 Depth=1
	s_or_b32 exec_lo, exec_lo, s5
.LBB241_16:                             ;   in Loop: Header=BB241_12 Depth=1
	s_and_not1_saveexec_b32 s5, s4
	s_cbranch_execz .LBB241_11
; %bb.17:                               ;   in Loop: Header=BB241_12 Depth=1
	global_load_b32 v10, v[8:9], off
	v_dual_mov_b32 v22, 0 :: v_dual_mov_b32 v23, 0
	s_mov_b32 s41, exec_lo
	global_load_b32 v21, v22, s[8:9]
	s_wait_loadcnt 0x1
	v_mad_nc_i64_i32 v[10:11], v10, s19, v[6:7]
	global_load_u16 v12, v[10:11], off
	s_wait_loadcnt 0x0
	v_and_b32_e32 v13, 0xff, v12
	v_and_b32_e32 v12, 0xffff, v12
	s_delay_alu instid0(VALU_DEP_2)
	v_cmpx_ne_u16_e32 0, v13
	s_cbranch_execz .LBB241_25
; %bb.18:                               ;   in Loop: Header=BB241_12 Depth=1
	s_delay_alu instid0(VALU_DEP_2) | instskip(SKIP_2) | instid1(VALU_DEP_2)
	v_and_b32_e32 v13, 0xff, v12
	v_mov_b32_e32 v23, 0x8000
	s_mov_b32 s42, exec_lo
	v_cmpx_ne_u16_e32 0x80, v13
	s_cbranch_execz .LBB241_24
; %bb.19:                               ;   in Loop: Header=BB241_12 Depth=1
	v_and_b32_e32 v24, 0x7f, v12
	v_mov_b32_e32 v23, 0x7c01
	s_mov_b32 s43, exec_lo
	s_delay_alu instid0(VALU_DEP_2)
	v_cmpx_ne_u32_e32 0x7f, v24
	s_cbranch_execz .LBB241_23
; %bb.20:                               ;   in Loop: Header=BB241_12 Depth=1
	v_and_b32_e32 v13, 7, v12
	v_lshrrev_b32_e32 v23, 3, v24
	s_mov_b32 s44, exec_lo
	v_cmpx_gt_u32_e32 8, v24
; %bb.21:                               ;   in Loop: Header=BB241_12 Depth=1
	s_delay_alu instid0(VALU_DEP_3) | instskip(NEXT) | instid1(VALU_DEP_1)
	v_clz_i32_u32_e32 v13, v13
	v_min_u32_e32 v13, 32, v13
	s_delay_alu instid0(VALU_DEP_1) | instskip(NEXT) | instid1(VALU_DEP_1)
	v_subrev_nc_u32_e32 v23, 28, v13
	v_lshlrev_b64_e32 v[24:25], v23, v[12:13]
	s_delay_alu instid0(VALU_DEP_1)
	v_dual_sub_nc_u32 v23, 29, v13 :: v_dual_bitop2_b32 v13, 7, v24 bitop3:0x40
; %bb.22:                               ;   in Loop: Header=BB241_12 Depth=1
	s_or_b32 exec_lo, exec_lo, s44
	s_delay_alu instid0(VALU_DEP_1) | instskip(NEXT) | instid1(VALU_DEP_2)
	v_dual_lshlrev_b32 v24, 8, v12 :: v_dual_lshlrev_b32 v13, 7, v13
	v_lshl_add_u32 v23, v23, 10, 0x2000
	s_delay_alu instid0(VALU_DEP_2) | instskip(NEXT) | instid1(VALU_DEP_2)
	v_and_b32_e32 v24, 0x8000, v24
	v_and_b32_e32 v23, 0xfc00, v23
	s_delay_alu instid0(VALU_DEP_1)
	v_or3_b32 v23, v24, v23, v13
.LBB241_23:                             ;   in Loop: Header=BB241_12 Depth=1
	s_or_b32 exec_lo, exec_lo, s43
.LBB241_24:                             ;   in Loop: Header=BB241_12 Depth=1
	s_delay_alu instid0(SALU_CYCLE_1)
	s_or_b32 exec_lo, exec_lo, s42
.LBB241_25:                             ;   in Loop: Header=BB241_12 Depth=1
	s_delay_alu instid0(SALU_CYCLE_1) | instskip(NEXT) | instid1(VALU_DEP_2)
	s_or_b32 exec_lo, exec_lo, s41
	v_lshrrev_b16 v12, 8, v12
	s_mov_b32 s41, exec_lo
	s_delay_alu instid0(VALU_DEP_1)
	v_cmpx_ne_u16_e32 0, v12
	s_cbranch_execz .LBB241_33
; %bb.26:                               ;   in Loop: Header=BB241_12 Depth=1
	v_bfrev_b32_e32 v22, 1
	s_mov_b32 s42, exec_lo
	v_cmpx_ne_u16_e32 0x80, v12
	s_cbranch_execz .LBB241_32
; %bb.27:                               ;   in Loop: Header=BB241_12 Depth=1
	v_and_b32_e32 v24, 0xffff, v12
	v_mov_b32_e32 v22, 0x7c010000
	s_mov_b32 s43, exec_lo
	s_delay_alu instid0(VALU_DEP_2) | instskip(NEXT) | instid1(VALU_DEP_1)
	v_and_b32_e32 v25, 0x7f, v24
	v_cmpx_ne_u32_e32 0x7f, v25
	s_cbranch_execz .LBB241_31
; %bb.28:                               ;   in Loop: Header=BB241_12 Depth=1
	v_dual_lshrrev_b32 v22, 3, v25 :: v_dual_bitop2_b32 v13, 7, v24 bitop3:0x40
	s_mov_b32 s44, exec_lo
	v_cmpx_gt_u32_e32 8, v25
	s_cbranch_execz .LBB241_30
; %bb.29:                               ;   in Loop: Header=BB241_12 Depth=1
	s_delay_alu instid0(VALU_DEP_2) | instskip(NEXT) | instid1(VALU_DEP_1)
	v_clz_i32_u32_e32 v13, v13
	v_min_u32_e32 v22, 32, v13
	v_mov_b32_e32 v13, v5
	s_delay_alu instid0(VALU_DEP_2) | instskip(SKIP_1) | instid1(VALU_DEP_2)
	v_subrev_nc_u32_e32 v25, 28, v22
	v_sub_nc_u32_e32 v22, 29, v22
	v_lshlrev_b64_e32 v[12:13], v25, v[12:13]
	s_delay_alu instid0(VALU_DEP_1)
	v_and_b32_e32 v13, 7, v12
.LBB241_30:                             ;   in Loop: Header=BB241_12 Depth=1
	s_or_b32 exec_lo, exec_lo, s44
	s_delay_alu instid0(VALU_DEP_1) | instskip(SKIP_1) | instid1(VALU_DEP_1)
	v_dual_lshlrev_b32 v12, 8, v24 :: v_dual_lshlrev_b32 v13, 23, v13
	v_lshl_add_u32 v22, v22, 10, 0x2000
	v_and_or_b32 v12, 0x8000, v12, v22
	s_delay_alu instid0(VALU_DEP_1)
	v_lshl_or_b32 v22, v12, 16, v13
.LBB241_31:                             ;   in Loop: Header=BB241_12 Depth=1
	s_or_b32 exec_lo, exec_lo, s43
.LBB241_32:                             ;   in Loop: Header=BB241_12 Depth=1
	s_delay_alu instid0(SALU_CYCLE_1)
	s_or_b32 exec_lo, exec_lo, s42
.LBB241_33:                             ;   in Loop: Header=BB241_12 Depth=1
	s_delay_alu instid0(SALU_CYCLE_1)
	s_or_b32 exec_lo, exec_lo, s41
	global_load_u16 v12, v[10:11], off offset:8
	v_dual_mov_b32 v24, 0 :: v_dual_mov_b32 v25, 0
	s_mov_b32 s41, exec_lo
	s_wait_loadcnt 0x0
	v_and_b32_e32 v13, 0xff, v12
	v_and_b32_e32 v12, 0xffff, v12
	s_delay_alu instid0(VALU_DEP_2)
	v_cmpx_ne_u16_e32 0, v13
	s_cbranch_execz .LBB241_41
; %bb.34:                               ;   in Loop: Header=BB241_12 Depth=1
	s_delay_alu instid0(VALU_DEP_2) | instskip(SKIP_2) | instid1(VALU_DEP_2)
	v_and_b32_e32 v13, 0xff, v12
	v_mov_b32_e32 v25, 0x8000
	s_mov_b32 s42, exec_lo
	v_cmpx_ne_u16_e32 0x80, v13
	s_cbranch_execz .LBB241_40
; %bb.35:                               ;   in Loop: Header=BB241_12 Depth=1
	v_and_b32_e32 v26, 0x7f, v12
	v_mov_b32_e32 v25, 0x7c01
	s_mov_b32 s43, exec_lo
	s_delay_alu instid0(VALU_DEP_2)
	v_cmpx_ne_u32_e32 0x7f, v26
	s_cbranch_execz .LBB241_39
; %bb.36:                               ;   in Loop: Header=BB241_12 Depth=1
	v_dual_lshrrev_b32 v25, 3, v26 :: v_dual_bitop2_b32 v13, 7, v12 bitop3:0x40
	s_mov_b32 s44, exec_lo
	v_cmpx_gt_u32_e32 8, v26
; %bb.37:                               ;   in Loop: Header=BB241_12 Depth=1
	s_delay_alu instid0(VALU_DEP_2) | instskip(NEXT) | instid1(VALU_DEP_1)
	v_clz_i32_u32_e32 v13, v13
	v_min_u32_e32 v13, 32, v13
	s_delay_alu instid0(VALU_DEP_1) | instskip(NEXT) | instid1(VALU_DEP_1)
	v_subrev_nc_u32_e32 v25, 28, v13
	v_lshlrev_b64_e32 v[28:29], v25, v[12:13]
	s_delay_alu instid0(VALU_DEP_1)
	v_dual_sub_nc_u32 v25, 29, v13 :: v_dual_bitop2_b32 v13, 7, v28 bitop3:0x40
; %bb.38:                               ;   in Loop: Header=BB241_12 Depth=1
	s_or_b32 exec_lo, exec_lo, s44
	s_delay_alu instid0(VALU_DEP_1) | instskip(NEXT) | instid1(VALU_DEP_2)
	v_dual_lshlrev_b32 v26, 8, v12 :: v_dual_lshlrev_b32 v13, 7, v13
	v_lshl_add_u32 v25, v25, 10, 0x2000
	s_delay_alu instid0(VALU_DEP_2) | instskip(NEXT) | instid1(VALU_DEP_2)
	v_and_b32_e32 v26, 0x8000, v26
	v_and_b32_e32 v25, 0xfc00, v25
	s_delay_alu instid0(VALU_DEP_1)
	v_or3_b32 v25, v26, v25, v13
.LBB241_39:                             ;   in Loop: Header=BB241_12 Depth=1
	s_or_b32 exec_lo, exec_lo, s43
.LBB241_40:                             ;   in Loop: Header=BB241_12 Depth=1
	s_delay_alu instid0(SALU_CYCLE_1)
	s_or_b32 exec_lo, exec_lo, s42
.LBB241_41:                             ;   in Loop: Header=BB241_12 Depth=1
	s_delay_alu instid0(SALU_CYCLE_1) | instskip(NEXT) | instid1(VALU_DEP_2)
	s_or_b32 exec_lo, exec_lo, s41
	v_lshrrev_b16 v12, 8, v12
	s_mov_b32 s41, exec_lo
	s_delay_alu instid0(VALU_DEP_1)
	v_cmpx_ne_u16_e32 0, v12
	s_cbranch_execz .LBB241_49
; %bb.42:                               ;   in Loop: Header=BB241_12 Depth=1
	v_bfrev_b32_e32 v24, 1
	s_mov_b32 s42, exec_lo
	v_cmpx_ne_u16_e32 0x80, v12
	s_cbranch_execz .LBB241_48
; %bb.43:                               ;   in Loop: Header=BB241_12 Depth=1
	v_and_b32_e32 v26, 0xffff, v12
	v_mov_b32_e32 v24, 0x7c010000
	s_mov_b32 s43, exec_lo
	s_delay_alu instid0(VALU_DEP_2) | instskip(NEXT) | instid1(VALU_DEP_1)
	v_and_b32_e32 v28, 0x7f, v26
	v_cmpx_ne_u32_e32 0x7f, v28
	s_cbranch_execz .LBB241_47
; %bb.44:                               ;   in Loop: Header=BB241_12 Depth=1
	v_dual_lshrrev_b32 v24, 3, v28 :: v_dual_bitop2_b32 v13, 7, v26 bitop3:0x40
	s_mov_b32 s44, exec_lo
	v_cmpx_gt_u32_e32 8, v28
	s_cbranch_execz .LBB241_46
; %bb.45:                               ;   in Loop: Header=BB241_12 Depth=1
	s_delay_alu instid0(VALU_DEP_2) | instskip(NEXT) | instid1(VALU_DEP_1)
	v_clz_i32_u32_e32 v13, v13
	v_min_u32_e32 v24, 32, v13
	v_mov_b32_e32 v13, v5
	s_delay_alu instid0(VALU_DEP_2) | instskip(SKIP_1) | instid1(VALU_DEP_2)
	v_subrev_nc_u32_e32 v28, 28, v24
	v_sub_nc_u32_e32 v24, 29, v24
	v_lshlrev_b64_e32 v[12:13], v28, v[12:13]
	s_delay_alu instid0(VALU_DEP_1)
	v_and_b32_e32 v13, 7, v12
.LBB241_46:                             ;   in Loop: Header=BB241_12 Depth=1
	s_or_b32 exec_lo, exec_lo, s44
	s_delay_alu instid0(VALU_DEP_1) | instskip(SKIP_1) | instid1(VALU_DEP_1)
	v_dual_lshlrev_b32 v12, 8, v26 :: v_dual_lshlrev_b32 v13, 23, v13
	v_lshl_add_u32 v24, v24, 10, 0x2000
	v_and_or_b32 v12, 0x8000, v12, v24
	s_delay_alu instid0(VALU_DEP_1)
	v_lshl_or_b32 v24, v12, 16, v13
.LBB241_47:                             ;   in Loop: Header=BB241_12 Depth=1
	s_or_b32 exec_lo, exec_lo, s43
.LBB241_48:                             ;   in Loop: Header=BB241_12 Depth=1
	s_delay_alu instid0(SALU_CYCLE_1)
	s_or_b32 exec_lo, exec_lo, s42
.LBB241_49:                             ;   in Loop: Header=BB241_12 Depth=1
	s_delay_alu instid0(SALU_CYCLE_1)
	s_or_b32 exec_lo, exec_lo, s41
	global_load_u16 v12, v[10:11], off offset:128
	v_dual_mov_b32 v26, 0 :: v_dual_mov_b32 v28, 0
	s_mov_b32 s41, exec_lo
	s_wait_loadcnt 0x0
	v_and_b32_e32 v13, 0xff, v12
	v_and_b32_e32 v12, 0xffff, v12
	s_delay_alu instid0(VALU_DEP_2)
	v_cmpx_ne_u16_e32 0, v13
	s_cbranch_execz .LBB241_57
; %bb.50:                               ;   in Loop: Header=BB241_12 Depth=1
	s_delay_alu instid0(VALU_DEP_2) | instskip(SKIP_2) | instid1(VALU_DEP_2)
	v_and_b32_e32 v13, 0xff, v12
	v_mov_b32_e32 v28, 0x8000
	s_mov_b32 s42, exec_lo
	v_cmpx_ne_u16_e32 0x80, v13
	s_cbranch_execz .LBB241_56
; %bb.51:                               ;   in Loop: Header=BB241_12 Depth=1
	v_and_b32_e32 v29, 0x7f, v12
	v_mov_b32_e32 v28, 0x7c01
	s_mov_b32 s43, exec_lo
	s_delay_alu instid0(VALU_DEP_2)
	v_cmpx_ne_u32_e32 0x7f, v29
	s_cbranch_execz .LBB241_55
; %bb.52:                               ;   in Loop: Header=BB241_12 Depth=1
	v_dual_lshrrev_b32 v28, 3, v29 :: v_dual_bitop2_b32 v13, 7, v12 bitop3:0x40
	s_mov_b32 s44, exec_lo
	v_cmpx_gt_u32_e32 8, v29
; %bb.53:                               ;   in Loop: Header=BB241_12 Depth=1
	s_delay_alu instid0(VALU_DEP_2) | instskip(NEXT) | instid1(VALU_DEP_1)
	v_clz_i32_u32_e32 v13, v13
	v_min_u32_e32 v13, 32, v13
	s_delay_alu instid0(VALU_DEP_1) | instskip(NEXT) | instid1(VALU_DEP_1)
	v_subrev_nc_u32_e32 v28, 28, v13
	v_lshlrev_b64_e32 v[30:31], v28, v[12:13]
	s_delay_alu instid0(VALU_DEP_1)
	v_dual_sub_nc_u32 v28, 29, v13 :: v_dual_bitop2_b32 v13, 7, v30 bitop3:0x40
; %bb.54:                               ;   in Loop: Header=BB241_12 Depth=1
	s_or_b32 exec_lo, exec_lo, s44
	s_delay_alu instid0(VALU_DEP_1) | instskip(NEXT) | instid1(VALU_DEP_2)
	v_dual_lshlrev_b32 v29, 8, v12 :: v_dual_lshlrev_b32 v13, 7, v13
	v_lshl_add_u32 v28, v28, 10, 0x2000
	s_delay_alu instid0(VALU_DEP_2) | instskip(NEXT) | instid1(VALU_DEP_2)
	v_and_b32_e32 v29, 0x8000, v29
	v_and_b32_e32 v28, 0xfc00, v28
	s_delay_alu instid0(VALU_DEP_1)
	v_or3_b32 v28, v29, v28, v13
.LBB241_55:                             ;   in Loop: Header=BB241_12 Depth=1
	s_or_b32 exec_lo, exec_lo, s43
.LBB241_56:                             ;   in Loop: Header=BB241_12 Depth=1
	s_delay_alu instid0(SALU_CYCLE_1)
	s_or_b32 exec_lo, exec_lo, s42
.LBB241_57:                             ;   in Loop: Header=BB241_12 Depth=1
	s_delay_alu instid0(SALU_CYCLE_1) | instskip(NEXT) | instid1(VALU_DEP_2)
	s_or_b32 exec_lo, exec_lo, s41
	v_lshrrev_b16 v12, 8, v12
	s_mov_b32 s41, exec_lo
	s_delay_alu instid0(VALU_DEP_1)
	v_cmpx_ne_u16_e32 0, v12
	s_cbranch_execz .LBB241_65
; %bb.58:                               ;   in Loop: Header=BB241_12 Depth=1
	v_bfrev_b32_e32 v26, 1
	s_mov_b32 s42, exec_lo
	v_cmpx_ne_u16_e32 0x80, v12
	s_cbranch_execz .LBB241_64
; %bb.59:                               ;   in Loop: Header=BB241_12 Depth=1
	v_and_b32_e32 v29, 0xffff, v12
	v_mov_b32_e32 v26, 0x7c010000
	s_mov_b32 s43, exec_lo
	s_delay_alu instid0(VALU_DEP_2) | instskip(NEXT) | instid1(VALU_DEP_1)
	v_and_b32_e32 v30, 0x7f, v29
	v_cmpx_ne_u32_e32 0x7f, v30
	s_cbranch_execz .LBB241_63
; %bb.60:                               ;   in Loop: Header=BB241_12 Depth=1
	v_dual_lshrrev_b32 v26, 3, v30 :: v_dual_bitop2_b32 v13, 7, v29 bitop3:0x40
	s_mov_b32 s44, exec_lo
	v_cmpx_gt_u32_e32 8, v30
	s_cbranch_execz .LBB241_62
; %bb.61:                               ;   in Loop: Header=BB241_12 Depth=1
	s_delay_alu instid0(VALU_DEP_2) | instskip(NEXT) | instid1(VALU_DEP_1)
	v_clz_i32_u32_e32 v13, v13
	v_min_u32_e32 v26, 32, v13
	v_mov_b32_e32 v13, v5
	s_delay_alu instid0(VALU_DEP_2) | instskip(SKIP_1) | instid1(VALU_DEP_2)
	v_subrev_nc_u32_e32 v30, 28, v26
	v_sub_nc_u32_e32 v26, 29, v26
	v_lshlrev_b64_e32 v[12:13], v30, v[12:13]
	s_delay_alu instid0(VALU_DEP_1)
	v_and_b32_e32 v13, 7, v12
.LBB241_62:                             ;   in Loop: Header=BB241_12 Depth=1
	s_or_b32 exec_lo, exec_lo, s44
	v_lshlrev_b32_e32 v12, 8, v29
	v_lshl_add_u32 v26, v26, 10, 0x2000
	s_delay_alu instid0(VALU_DEP_3) | instskip(NEXT) | instid1(VALU_DEP_2)
	v_lshlrev_b32_e32 v13, 23, v13
	v_and_or_b32 v12, 0x8000, v12, v26
	s_delay_alu instid0(VALU_DEP_1)
	v_lshl_or_b32 v26, v12, 16, v13
.LBB241_63:                             ;   in Loop: Header=BB241_12 Depth=1
	s_or_b32 exec_lo, exec_lo, s43
.LBB241_64:                             ;   in Loop: Header=BB241_12 Depth=1
	s_delay_alu instid0(SALU_CYCLE_1)
	s_or_b32 exec_lo, exec_lo, s42
.LBB241_65:                             ;   in Loop: Header=BB241_12 Depth=1
	s_delay_alu instid0(SALU_CYCLE_1)
	s_or_b32 exec_lo, exec_lo, s41
	global_load_u16 v12, v[10:11], off offset:136
	v_dual_mov_b32 v29, 0 :: v_dual_mov_b32 v30, 0
	s_mov_b32 s41, exec_lo
	s_wait_loadcnt 0x0
	v_and_b32_e32 v13, 0xff, v12
	v_and_b32_e32 v12, 0xffff, v12
	s_delay_alu instid0(VALU_DEP_2)
	v_cmpx_ne_u16_e32 0, v13
	s_cbranch_execz .LBB241_73
; %bb.66:                               ;   in Loop: Header=BB241_12 Depth=1
	s_delay_alu instid0(VALU_DEP_2) | instskip(SKIP_2) | instid1(VALU_DEP_2)
	v_and_b32_e32 v13, 0xff, v12
	v_mov_b32_e32 v30, 0x8000
	s_mov_b32 s42, exec_lo
	v_cmpx_ne_u16_e32 0x80, v13
	s_cbranch_execz .LBB241_72
; %bb.67:                               ;   in Loop: Header=BB241_12 Depth=1
	v_and_b32_e32 v31, 0x7f, v12
	v_mov_b32_e32 v30, 0x7c01
	s_mov_b32 s43, exec_lo
	s_delay_alu instid0(VALU_DEP_2)
	v_cmpx_ne_u32_e32 0x7f, v31
	s_cbranch_execz .LBB241_71
; %bb.68:                               ;   in Loop: Header=BB241_12 Depth=1
	v_dual_lshrrev_b32 v30, 3, v31 :: v_dual_bitop2_b32 v13, 7, v12 bitop3:0x40
	s_mov_b32 s44, exec_lo
	v_cmpx_gt_u32_e32 8, v31
; %bb.69:                               ;   in Loop: Header=BB241_12 Depth=1
	s_delay_alu instid0(VALU_DEP_2) | instskip(NEXT) | instid1(VALU_DEP_1)
	v_clz_i32_u32_e32 v13, v13
	v_min_u32_e32 v13, 32, v13
	s_delay_alu instid0(VALU_DEP_1) | instskip(NEXT) | instid1(VALU_DEP_1)
	v_subrev_nc_u32_e32 v30, 28, v13
	v_lshlrev_b64_e32 v[32:33], v30, v[12:13]
	s_delay_alu instid0(VALU_DEP_1)
	v_dual_sub_nc_u32 v30, 29, v13 :: v_dual_bitop2_b32 v13, 7, v32 bitop3:0x40
; %bb.70:                               ;   in Loop: Header=BB241_12 Depth=1
	s_or_b32 exec_lo, exec_lo, s44
	s_delay_alu instid0(VALU_DEP_1) | instskip(NEXT) | instid1(VALU_DEP_2)
	v_dual_lshlrev_b32 v31, 8, v12 :: v_dual_lshlrev_b32 v13, 7, v13
	v_lshl_add_u32 v30, v30, 10, 0x2000
	s_delay_alu instid0(VALU_DEP_2) | instskip(NEXT) | instid1(VALU_DEP_2)
	v_and_b32_e32 v31, 0x8000, v31
	v_and_b32_e32 v30, 0xfc00, v30
	s_delay_alu instid0(VALU_DEP_1)
	v_or3_b32 v30, v31, v30, v13
.LBB241_71:                             ;   in Loop: Header=BB241_12 Depth=1
	s_or_b32 exec_lo, exec_lo, s43
.LBB241_72:                             ;   in Loop: Header=BB241_12 Depth=1
	s_delay_alu instid0(SALU_CYCLE_1)
	s_or_b32 exec_lo, exec_lo, s42
.LBB241_73:                             ;   in Loop: Header=BB241_12 Depth=1
	s_delay_alu instid0(SALU_CYCLE_1) | instskip(NEXT) | instid1(VALU_DEP_2)
	s_or_b32 exec_lo, exec_lo, s41
	v_lshrrev_b16 v12, 8, v12
	s_mov_b32 s41, exec_lo
	s_delay_alu instid0(VALU_DEP_1)
	v_cmpx_ne_u16_e32 0, v12
	s_cbranch_execz .LBB241_81
; %bb.74:                               ;   in Loop: Header=BB241_12 Depth=1
	v_bfrev_b32_e32 v29, 1
	s_mov_b32 s42, exec_lo
	v_cmpx_ne_u16_e32 0x80, v12
	s_cbranch_execz .LBB241_80
; %bb.75:                               ;   in Loop: Header=BB241_12 Depth=1
	v_and_b32_e32 v31, 0xffff, v12
	v_mov_b32_e32 v29, 0x7c010000
	s_mov_b32 s43, exec_lo
	s_delay_alu instid0(VALU_DEP_2) | instskip(NEXT) | instid1(VALU_DEP_1)
	v_and_b32_e32 v32, 0x7f, v31
	v_cmpx_ne_u32_e32 0x7f, v32
	s_cbranch_execz .LBB241_79
; %bb.76:                               ;   in Loop: Header=BB241_12 Depth=1
	v_dual_lshrrev_b32 v29, 3, v32 :: v_dual_bitop2_b32 v13, 7, v31 bitop3:0x40
	s_mov_b32 s44, exec_lo
	v_cmpx_gt_u32_e32 8, v32
	s_cbranch_execz .LBB241_78
; %bb.77:                               ;   in Loop: Header=BB241_12 Depth=1
	s_delay_alu instid0(VALU_DEP_2) | instskip(NEXT) | instid1(VALU_DEP_1)
	v_clz_i32_u32_e32 v13, v13
	v_min_u32_e32 v29, 32, v13
	v_mov_b32_e32 v13, v5
	s_delay_alu instid0(VALU_DEP_2) | instskip(SKIP_1) | instid1(VALU_DEP_2)
	v_subrev_nc_u32_e32 v32, 28, v29
	v_sub_nc_u32_e32 v29, 29, v29
	v_lshlrev_b64_e32 v[12:13], v32, v[12:13]
	s_delay_alu instid0(VALU_DEP_1)
	v_and_b32_e32 v13, 7, v12
.LBB241_78:                             ;   in Loop: Header=BB241_12 Depth=1
	s_or_b32 exec_lo, exec_lo, s44
	s_delay_alu instid0(VALU_DEP_1) | instskip(SKIP_1) | instid1(VALU_DEP_1)
	v_dual_lshlrev_b32 v12, 8, v31 :: v_dual_lshlrev_b32 v13, 23, v13
	v_lshl_add_u32 v29, v29, 10, 0x2000
	v_and_or_b32 v12, 0x8000, v12, v29
	s_delay_alu instid0(VALU_DEP_1)
	v_lshl_or_b32 v29, v12, 16, v13
.LBB241_79:                             ;   in Loop: Header=BB241_12 Depth=1
	s_or_b32 exec_lo, exec_lo, s43
.LBB241_80:                             ;   in Loop: Header=BB241_12 Depth=1
	s_delay_alu instid0(SALU_CYCLE_1)
	s_or_b32 exec_lo, exec_lo, s42
.LBB241_81:                             ;   in Loop: Header=BB241_12 Depth=1
	s_delay_alu instid0(SALU_CYCLE_1)
	s_or_b32 exec_lo, exec_lo, s41
	global_load_u16 v12, v[10:11], off offset:256
	v_dual_mov_b32 v31, 0 :: v_dual_mov_b32 v32, 0
	s_mov_b32 s41, exec_lo
	s_wait_loadcnt 0x0
	v_and_b32_e32 v13, 0xff, v12
	v_and_b32_e32 v12, 0xffff, v12
	s_delay_alu instid0(VALU_DEP_2)
	v_cmpx_ne_u16_e32 0, v13
	s_cbranch_execz .LBB241_89
; %bb.82:                               ;   in Loop: Header=BB241_12 Depth=1
	s_delay_alu instid0(VALU_DEP_2) | instskip(SKIP_2) | instid1(VALU_DEP_2)
	v_and_b32_e32 v13, 0xff, v12
	v_mov_b32_e32 v32, 0x8000
	s_mov_b32 s42, exec_lo
	v_cmpx_ne_u16_e32 0x80, v13
	s_cbranch_execz .LBB241_88
; %bb.83:                               ;   in Loop: Header=BB241_12 Depth=1
	v_and_b32_e32 v33, 0x7f, v12
	v_mov_b32_e32 v32, 0x7c01
	s_mov_b32 s43, exec_lo
	s_delay_alu instid0(VALU_DEP_2)
	v_cmpx_ne_u32_e32 0x7f, v33
	s_cbranch_execz .LBB241_87
; %bb.84:                               ;   in Loop: Header=BB241_12 Depth=1
	v_dual_lshrrev_b32 v32, 3, v33 :: v_dual_bitop2_b32 v13, 7, v12 bitop3:0x40
	s_mov_b32 s44, exec_lo
	v_cmpx_gt_u32_e32 8, v33
; %bb.85:                               ;   in Loop: Header=BB241_12 Depth=1
	s_delay_alu instid0(VALU_DEP_2) | instskip(NEXT) | instid1(VALU_DEP_1)
	v_clz_i32_u32_e32 v13, v13
	v_min_u32_e32 v13, 32, v13
	s_delay_alu instid0(VALU_DEP_1) | instskip(NEXT) | instid1(VALU_DEP_1)
	v_subrev_nc_u32_e32 v32, 28, v13
	v_lshlrev_b64_e32 v[34:35], v32, v[12:13]
	s_delay_alu instid0(VALU_DEP_1)
	v_dual_sub_nc_u32 v32, 29, v13 :: v_dual_bitop2_b32 v13, 7, v34 bitop3:0x40
; %bb.86:                               ;   in Loop: Header=BB241_12 Depth=1
	s_or_b32 exec_lo, exec_lo, s44
	s_delay_alu instid0(VALU_DEP_1) | instskip(NEXT) | instid1(VALU_DEP_2)
	v_dual_lshlrev_b32 v33, 8, v12 :: v_dual_lshlrev_b32 v13, 7, v13
	v_lshl_add_u32 v32, v32, 10, 0x2000
	s_delay_alu instid0(VALU_DEP_2) | instskip(NEXT) | instid1(VALU_DEP_2)
	v_and_b32_e32 v33, 0x8000, v33
	v_and_b32_e32 v32, 0xfc00, v32
	s_delay_alu instid0(VALU_DEP_1)
	v_or3_b32 v32, v33, v32, v13
.LBB241_87:                             ;   in Loop: Header=BB241_12 Depth=1
	s_or_b32 exec_lo, exec_lo, s43
.LBB241_88:                             ;   in Loop: Header=BB241_12 Depth=1
	s_delay_alu instid0(SALU_CYCLE_1)
	s_or_b32 exec_lo, exec_lo, s42
.LBB241_89:                             ;   in Loop: Header=BB241_12 Depth=1
	s_delay_alu instid0(SALU_CYCLE_1) | instskip(NEXT) | instid1(VALU_DEP_2)
	s_or_b32 exec_lo, exec_lo, s41
	v_lshrrev_b16 v12, 8, v12
	s_mov_b32 s41, exec_lo
	s_delay_alu instid0(VALU_DEP_1)
	v_cmpx_ne_u16_e32 0, v12
	s_cbranch_execz .LBB241_97
; %bb.90:                               ;   in Loop: Header=BB241_12 Depth=1
	v_bfrev_b32_e32 v31, 1
	s_mov_b32 s42, exec_lo
	v_cmpx_ne_u16_e32 0x80, v12
	s_cbranch_execz .LBB241_96
; %bb.91:                               ;   in Loop: Header=BB241_12 Depth=1
	v_and_b32_e32 v33, 0xffff, v12
	v_mov_b32_e32 v31, 0x7c010000
	s_mov_b32 s43, exec_lo
	s_delay_alu instid0(VALU_DEP_2) | instskip(NEXT) | instid1(VALU_DEP_1)
	v_and_b32_e32 v34, 0x7f, v33
	v_cmpx_ne_u32_e32 0x7f, v34
	s_cbranch_execz .LBB241_95
; %bb.92:                               ;   in Loop: Header=BB241_12 Depth=1
	v_dual_lshrrev_b32 v31, 3, v34 :: v_dual_bitop2_b32 v13, 7, v33 bitop3:0x40
	s_mov_b32 s44, exec_lo
	v_cmpx_gt_u32_e32 8, v34
	s_cbranch_execz .LBB241_94
; %bb.93:                               ;   in Loop: Header=BB241_12 Depth=1
	s_delay_alu instid0(VALU_DEP_2) | instskip(NEXT) | instid1(VALU_DEP_1)
	v_clz_i32_u32_e32 v13, v13
	v_min_u32_e32 v31, 32, v13
	v_mov_b32_e32 v13, v5
	s_delay_alu instid0(VALU_DEP_2) | instskip(SKIP_1) | instid1(VALU_DEP_2)
	v_subrev_nc_u32_e32 v34, 28, v31
	v_sub_nc_u32_e32 v31, 29, v31
	v_lshlrev_b64_e32 v[12:13], v34, v[12:13]
	s_delay_alu instid0(VALU_DEP_1)
	v_and_b32_e32 v13, 7, v12
.LBB241_94:                             ;   in Loop: Header=BB241_12 Depth=1
	s_or_b32 exec_lo, exec_lo, s44
	v_lshlrev_b32_e32 v12, 8, v33
	v_lshl_add_u32 v31, v31, 10, 0x2000
	s_delay_alu instid0(VALU_DEP_3) | instskip(NEXT) | instid1(VALU_DEP_2)
	v_lshlrev_b32_e32 v13, 23, v13
	v_and_or_b32 v12, 0x8000, v12, v31
	s_delay_alu instid0(VALU_DEP_1)
	v_lshl_or_b32 v31, v12, 16, v13
.LBB241_95:                             ;   in Loop: Header=BB241_12 Depth=1
	s_or_b32 exec_lo, exec_lo, s43
.LBB241_96:                             ;   in Loop: Header=BB241_12 Depth=1
	s_delay_alu instid0(SALU_CYCLE_1)
	s_or_b32 exec_lo, exec_lo, s42
.LBB241_97:                             ;   in Loop: Header=BB241_12 Depth=1
	s_delay_alu instid0(SALU_CYCLE_1)
	s_or_b32 exec_lo, exec_lo, s41
	global_load_u16 v12, v[10:11], off offset:264
	v_dual_mov_b32 v33, 0 :: v_dual_mov_b32 v34, 0
	s_mov_b32 s41, exec_lo
	s_wait_loadcnt 0x0
	v_and_b32_e32 v13, 0xff, v12
	v_and_b32_e32 v12, 0xffff, v12
	s_delay_alu instid0(VALU_DEP_2)
	v_cmpx_ne_u16_e32 0, v13
	s_cbranch_execz .LBB241_105
; %bb.98:                               ;   in Loop: Header=BB241_12 Depth=1
	s_delay_alu instid0(VALU_DEP_2) | instskip(SKIP_2) | instid1(VALU_DEP_2)
	v_and_b32_e32 v13, 0xff, v12
	v_mov_b32_e32 v34, 0x8000
	s_mov_b32 s42, exec_lo
	v_cmpx_ne_u16_e32 0x80, v13
	s_cbranch_execz .LBB241_104
; %bb.99:                               ;   in Loop: Header=BB241_12 Depth=1
	v_and_b32_e32 v35, 0x7f, v12
	v_mov_b32_e32 v34, 0x7c01
	s_mov_b32 s43, exec_lo
	s_delay_alu instid0(VALU_DEP_2)
	v_cmpx_ne_u32_e32 0x7f, v35
	s_cbranch_execz .LBB241_103
; %bb.100:                              ;   in Loop: Header=BB241_12 Depth=1
	v_dual_lshrrev_b32 v34, 3, v35 :: v_dual_bitop2_b32 v13, 7, v12 bitop3:0x40
	s_mov_b32 s44, exec_lo
	v_cmpx_gt_u32_e32 8, v35
; %bb.101:                              ;   in Loop: Header=BB241_12 Depth=1
	s_delay_alu instid0(VALU_DEP_2) | instskip(NEXT) | instid1(VALU_DEP_1)
	v_clz_i32_u32_e32 v13, v13
	v_min_u32_e32 v13, 32, v13
	s_delay_alu instid0(VALU_DEP_1) | instskip(NEXT) | instid1(VALU_DEP_1)
	v_subrev_nc_u32_e32 v34, 28, v13
	v_lshlrev_b64_e32 v[36:37], v34, v[12:13]
	s_delay_alu instid0(VALU_DEP_1)
	v_dual_sub_nc_u32 v34, 29, v13 :: v_dual_bitop2_b32 v13, 7, v36 bitop3:0x40
; %bb.102:                              ;   in Loop: Header=BB241_12 Depth=1
	s_or_b32 exec_lo, exec_lo, s44
	s_delay_alu instid0(VALU_DEP_1) | instskip(NEXT) | instid1(VALU_DEP_2)
	v_dual_lshlrev_b32 v35, 8, v12 :: v_dual_lshlrev_b32 v13, 7, v13
	v_lshl_add_u32 v34, v34, 10, 0x2000
	s_delay_alu instid0(VALU_DEP_2) | instskip(NEXT) | instid1(VALU_DEP_2)
	v_and_b32_e32 v35, 0x8000, v35
	v_and_b32_e32 v34, 0xfc00, v34
	s_delay_alu instid0(VALU_DEP_1)
	v_or3_b32 v34, v35, v34, v13
.LBB241_103:                            ;   in Loop: Header=BB241_12 Depth=1
	s_or_b32 exec_lo, exec_lo, s43
.LBB241_104:                            ;   in Loop: Header=BB241_12 Depth=1
	s_delay_alu instid0(SALU_CYCLE_1)
	s_or_b32 exec_lo, exec_lo, s42
.LBB241_105:                            ;   in Loop: Header=BB241_12 Depth=1
	s_delay_alu instid0(SALU_CYCLE_1) | instskip(NEXT) | instid1(VALU_DEP_2)
	s_or_b32 exec_lo, exec_lo, s41
	v_lshrrev_b16 v12, 8, v12
	s_mov_b32 s41, exec_lo
	s_delay_alu instid0(VALU_DEP_1)
	v_cmpx_ne_u16_e32 0, v12
	s_cbranch_execz .LBB241_113
; %bb.106:                              ;   in Loop: Header=BB241_12 Depth=1
	v_bfrev_b32_e32 v33, 1
	s_mov_b32 s42, exec_lo
	v_cmpx_ne_u16_e32 0x80, v12
	s_cbranch_execz .LBB241_112
; %bb.107:                              ;   in Loop: Header=BB241_12 Depth=1
	v_and_b32_e32 v35, 0xffff, v12
	v_mov_b32_e32 v33, 0x7c010000
	s_mov_b32 s43, exec_lo
	s_delay_alu instid0(VALU_DEP_2) | instskip(NEXT) | instid1(VALU_DEP_1)
	v_and_b32_e32 v36, 0x7f, v35
	v_cmpx_ne_u32_e32 0x7f, v36
	s_cbranch_execz .LBB241_111
; %bb.108:                              ;   in Loop: Header=BB241_12 Depth=1
	v_dual_lshrrev_b32 v33, 3, v36 :: v_dual_bitop2_b32 v13, 7, v35 bitop3:0x40
	s_mov_b32 s44, exec_lo
	v_cmpx_gt_u32_e32 8, v36
	s_cbranch_execz .LBB241_110
; %bb.109:                              ;   in Loop: Header=BB241_12 Depth=1
	s_delay_alu instid0(VALU_DEP_2) | instskip(NEXT) | instid1(VALU_DEP_1)
	v_clz_i32_u32_e32 v13, v13
	v_min_u32_e32 v33, 32, v13
	v_mov_b32_e32 v13, v5
	s_delay_alu instid0(VALU_DEP_2) | instskip(SKIP_1) | instid1(VALU_DEP_2)
	v_subrev_nc_u32_e32 v36, 28, v33
	v_sub_nc_u32_e32 v33, 29, v33
	v_lshlrev_b64_e32 v[12:13], v36, v[12:13]
	s_delay_alu instid0(VALU_DEP_1)
	v_and_b32_e32 v13, 7, v12
.LBB241_110:                            ;   in Loop: Header=BB241_12 Depth=1
	s_or_b32 exec_lo, exec_lo, s44
	s_delay_alu instid0(VALU_DEP_1) | instskip(SKIP_1) | instid1(VALU_DEP_1)
	v_dual_lshlrev_b32 v12, 8, v35 :: v_dual_lshlrev_b32 v13, 23, v13
	v_lshl_add_u32 v33, v33, 10, 0x2000
	v_and_or_b32 v12, 0x8000, v12, v33
	s_delay_alu instid0(VALU_DEP_1)
	v_lshl_or_b32 v33, v12, 16, v13
.LBB241_111:                            ;   in Loop: Header=BB241_12 Depth=1
	s_or_b32 exec_lo, exec_lo, s43
.LBB241_112:                            ;   in Loop: Header=BB241_12 Depth=1
	s_delay_alu instid0(SALU_CYCLE_1)
	s_or_b32 exec_lo, exec_lo, s42
.LBB241_113:                            ;   in Loop: Header=BB241_12 Depth=1
	s_delay_alu instid0(SALU_CYCLE_1)
	s_or_b32 exec_lo, exec_lo, s41
	global_load_u16 v12, v[10:11], off offset:384
	v_dual_mov_b32 v35, 0 :: v_dual_mov_b32 v36, 0
	s_mov_b32 s41, exec_lo
	s_wait_loadcnt 0x0
	v_and_b32_e32 v13, 0xff, v12
	v_and_b32_e32 v12, 0xffff, v12
	s_delay_alu instid0(VALU_DEP_2)
	v_cmpx_ne_u16_e32 0, v13
	s_cbranch_execz .LBB241_121
; %bb.114:                              ;   in Loop: Header=BB241_12 Depth=1
	s_delay_alu instid0(VALU_DEP_2) | instskip(SKIP_2) | instid1(VALU_DEP_2)
	v_and_b32_e32 v13, 0xff, v12
	v_mov_b32_e32 v36, 0x8000
	s_mov_b32 s42, exec_lo
	v_cmpx_ne_u16_e32 0x80, v13
	s_cbranch_execz .LBB241_120
; %bb.115:                              ;   in Loop: Header=BB241_12 Depth=1
	v_and_b32_e32 v37, 0x7f, v12
	v_mov_b32_e32 v36, 0x7c01
	s_mov_b32 s43, exec_lo
	s_delay_alu instid0(VALU_DEP_2)
	v_cmpx_ne_u32_e32 0x7f, v37
	s_cbranch_execz .LBB241_119
; %bb.116:                              ;   in Loop: Header=BB241_12 Depth=1
	v_dual_lshrrev_b32 v36, 3, v37 :: v_dual_bitop2_b32 v13, 7, v12 bitop3:0x40
	s_mov_b32 s44, exec_lo
	v_cmpx_gt_u32_e32 8, v37
; %bb.117:                              ;   in Loop: Header=BB241_12 Depth=1
	s_delay_alu instid0(VALU_DEP_2) | instskip(NEXT) | instid1(VALU_DEP_1)
	v_clz_i32_u32_e32 v13, v13
	v_min_u32_e32 v13, 32, v13
	s_delay_alu instid0(VALU_DEP_1) | instskip(NEXT) | instid1(VALU_DEP_1)
	v_subrev_nc_u32_e32 v36, 28, v13
	v_lshlrev_b64_e32 v[38:39], v36, v[12:13]
	s_delay_alu instid0(VALU_DEP_1)
	v_dual_sub_nc_u32 v36, 29, v13 :: v_dual_bitop2_b32 v13, 7, v38 bitop3:0x40
; %bb.118:                              ;   in Loop: Header=BB241_12 Depth=1
	s_or_b32 exec_lo, exec_lo, s44
	s_delay_alu instid0(VALU_DEP_1) | instskip(NEXT) | instid1(VALU_DEP_2)
	v_dual_lshlrev_b32 v37, 8, v12 :: v_dual_lshlrev_b32 v13, 7, v13
	v_lshl_add_u32 v36, v36, 10, 0x2000
	s_delay_alu instid0(VALU_DEP_2) | instskip(NEXT) | instid1(VALU_DEP_2)
	v_and_b32_e32 v37, 0x8000, v37
	v_and_b32_e32 v36, 0xfc00, v36
	s_delay_alu instid0(VALU_DEP_1)
	v_or3_b32 v36, v37, v36, v13
.LBB241_119:                            ;   in Loop: Header=BB241_12 Depth=1
	s_or_b32 exec_lo, exec_lo, s43
.LBB241_120:                            ;   in Loop: Header=BB241_12 Depth=1
	s_delay_alu instid0(SALU_CYCLE_1)
	s_or_b32 exec_lo, exec_lo, s42
.LBB241_121:                            ;   in Loop: Header=BB241_12 Depth=1
	s_delay_alu instid0(SALU_CYCLE_1) | instskip(NEXT) | instid1(VALU_DEP_2)
	s_or_b32 exec_lo, exec_lo, s41
	v_lshrrev_b16 v12, 8, v12
	s_mov_b32 s41, exec_lo
	s_delay_alu instid0(VALU_DEP_1)
	v_cmpx_ne_u16_e32 0, v12
	s_cbranch_execz .LBB241_129
; %bb.122:                              ;   in Loop: Header=BB241_12 Depth=1
	v_bfrev_b32_e32 v35, 1
	s_mov_b32 s42, exec_lo
	v_cmpx_ne_u16_e32 0x80, v12
	s_cbranch_execz .LBB241_128
; %bb.123:                              ;   in Loop: Header=BB241_12 Depth=1
	v_and_b32_e32 v37, 0xffff, v12
	v_mov_b32_e32 v35, 0x7c010000
	s_mov_b32 s43, exec_lo
	s_delay_alu instid0(VALU_DEP_2) | instskip(NEXT) | instid1(VALU_DEP_1)
	v_and_b32_e32 v38, 0x7f, v37
	v_cmpx_ne_u32_e32 0x7f, v38
	s_cbranch_execz .LBB241_127
; %bb.124:                              ;   in Loop: Header=BB241_12 Depth=1
	v_dual_lshrrev_b32 v35, 3, v38 :: v_dual_bitop2_b32 v13, 7, v37 bitop3:0x40
	s_mov_b32 s44, exec_lo
	v_cmpx_gt_u32_e32 8, v38
	s_cbranch_execz .LBB241_126
; %bb.125:                              ;   in Loop: Header=BB241_12 Depth=1
	s_delay_alu instid0(VALU_DEP_2) | instskip(NEXT) | instid1(VALU_DEP_1)
	v_clz_i32_u32_e32 v13, v13
	v_min_u32_e32 v35, 32, v13
	v_mov_b32_e32 v13, v5
	s_delay_alu instid0(VALU_DEP_2) | instskip(SKIP_1) | instid1(VALU_DEP_2)
	v_subrev_nc_u32_e32 v38, 28, v35
	v_sub_nc_u32_e32 v35, 29, v35
	v_lshlrev_b64_e32 v[12:13], v38, v[12:13]
	s_delay_alu instid0(VALU_DEP_1)
	v_and_b32_e32 v13, 7, v12
.LBB241_126:                            ;   in Loop: Header=BB241_12 Depth=1
	s_or_b32 exec_lo, exec_lo, s44
	v_lshlrev_b32_e32 v12, 8, v37
	v_lshl_add_u32 v35, v35, 10, 0x2000
	s_delay_alu instid0(VALU_DEP_3) | instskip(NEXT) | instid1(VALU_DEP_2)
	v_lshlrev_b32_e32 v13, 23, v13
	v_and_or_b32 v12, 0x8000, v12, v35
	s_delay_alu instid0(VALU_DEP_1)
	v_lshl_or_b32 v35, v12, 16, v13
.LBB241_127:                            ;   in Loop: Header=BB241_12 Depth=1
	s_or_b32 exec_lo, exec_lo, s43
.LBB241_128:                            ;   in Loop: Header=BB241_12 Depth=1
	s_delay_alu instid0(SALU_CYCLE_1)
	s_or_b32 exec_lo, exec_lo, s42
.LBB241_129:                            ;   in Loop: Header=BB241_12 Depth=1
	s_delay_alu instid0(SALU_CYCLE_1)
	s_or_b32 exec_lo, exec_lo, s41
	global_load_u16 v12, v[10:11], off offset:392
	v_dual_mov_b32 v37, 0 :: v_dual_mov_b32 v38, 0
	s_mov_b32 s41, exec_lo
	s_wait_loadcnt 0x0
	v_and_b32_e32 v13, 0xff, v12
	v_and_b32_e32 v12, 0xffff, v12
	s_delay_alu instid0(VALU_DEP_2)
	v_cmpx_ne_u16_e32 0, v13
	s_cbranch_execz .LBB241_137
; %bb.130:                              ;   in Loop: Header=BB241_12 Depth=1
	s_delay_alu instid0(VALU_DEP_2) | instskip(SKIP_2) | instid1(VALU_DEP_2)
	v_and_b32_e32 v13, 0xff, v12
	v_mov_b32_e32 v38, 0x8000
	s_mov_b32 s42, exec_lo
	v_cmpx_ne_u16_e32 0x80, v13
	s_cbranch_execz .LBB241_136
; %bb.131:                              ;   in Loop: Header=BB241_12 Depth=1
	v_and_b32_e32 v39, 0x7f, v12
	v_mov_b32_e32 v38, 0x7c01
	s_mov_b32 s43, exec_lo
	s_delay_alu instid0(VALU_DEP_2)
	v_cmpx_ne_u32_e32 0x7f, v39
	s_cbranch_execz .LBB241_135
; %bb.132:                              ;   in Loop: Header=BB241_12 Depth=1
	v_dual_lshrrev_b32 v38, 3, v39 :: v_dual_bitop2_b32 v13, 7, v12 bitop3:0x40
	s_mov_b32 s44, exec_lo
	v_cmpx_gt_u32_e32 8, v39
; %bb.133:                              ;   in Loop: Header=BB241_12 Depth=1
	s_delay_alu instid0(VALU_DEP_2) | instskip(NEXT) | instid1(VALU_DEP_1)
	v_clz_i32_u32_e32 v13, v13
	v_min_u32_e32 v13, 32, v13
	s_delay_alu instid0(VALU_DEP_1) | instskip(NEXT) | instid1(VALU_DEP_1)
	v_subrev_nc_u32_e32 v38, 28, v13
	v_lshlrev_b64_e32 v[40:41], v38, v[12:13]
	s_delay_alu instid0(VALU_DEP_1)
	v_dual_sub_nc_u32 v38, 29, v13 :: v_dual_bitop2_b32 v13, 7, v40 bitop3:0x40
; %bb.134:                              ;   in Loop: Header=BB241_12 Depth=1
	s_or_b32 exec_lo, exec_lo, s44
	s_delay_alu instid0(VALU_DEP_1) | instskip(NEXT) | instid1(VALU_DEP_2)
	v_dual_lshlrev_b32 v39, 8, v12 :: v_dual_lshlrev_b32 v13, 7, v13
	v_lshl_add_u32 v38, v38, 10, 0x2000
	s_delay_alu instid0(VALU_DEP_2) | instskip(NEXT) | instid1(VALU_DEP_2)
	v_and_b32_e32 v39, 0x8000, v39
	v_and_b32_e32 v38, 0xfc00, v38
	s_delay_alu instid0(VALU_DEP_1)
	v_or3_b32 v38, v39, v38, v13
.LBB241_135:                            ;   in Loop: Header=BB241_12 Depth=1
	s_or_b32 exec_lo, exec_lo, s43
.LBB241_136:                            ;   in Loop: Header=BB241_12 Depth=1
	s_delay_alu instid0(SALU_CYCLE_1)
	s_or_b32 exec_lo, exec_lo, s42
.LBB241_137:                            ;   in Loop: Header=BB241_12 Depth=1
	s_delay_alu instid0(SALU_CYCLE_1) | instskip(NEXT) | instid1(VALU_DEP_2)
	s_or_b32 exec_lo, exec_lo, s41
	v_lshrrev_b16 v12, 8, v12
	s_mov_b32 s41, exec_lo
	s_delay_alu instid0(VALU_DEP_1)
	v_cmpx_ne_u16_e32 0, v12
	s_cbranch_execz .LBB241_145
; %bb.138:                              ;   in Loop: Header=BB241_12 Depth=1
	v_bfrev_b32_e32 v37, 1
	s_mov_b32 s42, exec_lo
	v_cmpx_ne_u16_e32 0x80, v12
	s_cbranch_execz .LBB241_144
; %bb.139:                              ;   in Loop: Header=BB241_12 Depth=1
	v_and_b32_e32 v39, 0xffff, v12
	v_mov_b32_e32 v37, 0x7c010000
	s_mov_b32 s43, exec_lo
	s_delay_alu instid0(VALU_DEP_2) | instskip(NEXT) | instid1(VALU_DEP_1)
	v_and_b32_e32 v40, 0x7f, v39
	v_cmpx_ne_u32_e32 0x7f, v40
	s_cbranch_execz .LBB241_143
; %bb.140:                              ;   in Loop: Header=BB241_12 Depth=1
	v_dual_lshrrev_b32 v37, 3, v40 :: v_dual_bitop2_b32 v13, 7, v39 bitop3:0x40
	s_mov_b32 s44, exec_lo
	v_cmpx_gt_u32_e32 8, v40
	s_cbranch_execz .LBB241_142
; %bb.141:                              ;   in Loop: Header=BB241_12 Depth=1
	s_delay_alu instid0(VALU_DEP_2) | instskip(NEXT) | instid1(VALU_DEP_1)
	v_clz_i32_u32_e32 v13, v13
	v_min_u32_e32 v37, 32, v13
	v_mov_b32_e32 v13, v5
	s_delay_alu instid0(VALU_DEP_2) | instskip(SKIP_1) | instid1(VALU_DEP_2)
	v_subrev_nc_u32_e32 v40, 28, v37
	v_sub_nc_u32_e32 v37, 29, v37
	v_lshlrev_b64_e32 v[12:13], v40, v[12:13]
	s_delay_alu instid0(VALU_DEP_1)
	v_and_b32_e32 v13, 7, v12
.LBB241_142:                            ;   in Loop: Header=BB241_12 Depth=1
	s_or_b32 exec_lo, exec_lo, s44
	s_delay_alu instid0(VALU_DEP_1) | instskip(SKIP_1) | instid1(VALU_DEP_1)
	v_dual_lshlrev_b32 v12, 8, v39 :: v_dual_lshlrev_b32 v13, 23, v13
	v_lshl_add_u32 v37, v37, 10, 0x2000
	v_and_or_b32 v12, 0x8000, v12, v37
	s_delay_alu instid0(VALU_DEP_1)
	v_lshl_or_b32 v37, v12, 16, v13
.LBB241_143:                            ;   in Loop: Header=BB241_12 Depth=1
	s_or_b32 exec_lo, exec_lo, s43
.LBB241_144:                            ;   in Loop: Header=BB241_12 Depth=1
	s_delay_alu instid0(SALU_CYCLE_1)
	s_or_b32 exec_lo, exec_lo, s42
.LBB241_145:                            ;   in Loop: Header=BB241_12 Depth=1
	s_delay_alu instid0(SALU_CYCLE_1)
	s_or_b32 exec_lo, exec_lo, s41
	global_load_u16 v12, v[10:11], off offset:512
	v_dual_mov_b32 v39, 0 :: v_dual_mov_b32 v40, 0
	s_mov_b32 s41, exec_lo
	s_wait_loadcnt 0x0
	v_and_b32_e32 v13, 0xff, v12
	v_and_b32_e32 v12, 0xffff, v12
	s_delay_alu instid0(VALU_DEP_2)
	v_cmpx_ne_u16_e32 0, v13
	s_cbranch_execz .LBB241_153
; %bb.146:                              ;   in Loop: Header=BB241_12 Depth=1
	s_delay_alu instid0(VALU_DEP_2) | instskip(SKIP_2) | instid1(VALU_DEP_2)
	v_and_b32_e32 v13, 0xff, v12
	v_mov_b32_e32 v40, 0x8000
	s_mov_b32 s42, exec_lo
	v_cmpx_ne_u16_e32 0x80, v13
	s_cbranch_execz .LBB241_152
; %bb.147:                              ;   in Loop: Header=BB241_12 Depth=1
	v_and_b32_e32 v41, 0x7f, v12
	v_mov_b32_e32 v40, 0x7c01
	s_mov_b32 s43, exec_lo
	s_delay_alu instid0(VALU_DEP_2)
	v_cmpx_ne_u32_e32 0x7f, v41
	s_cbranch_execz .LBB241_151
; %bb.148:                              ;   in Loop: Header=BB241_12 Depth=1
	v_dual_lshrrev_b32 v40, 3, v41 :: v_dual_bitop2_b32 v13, 7, v12 bitop3:0x40
	s_mov_b32 s44, exec_lo
	v_cmpx_gt_u32_e32 8, v41
; %bb.149:                              ;   in Loop: Header=BB241_12 Depth=1
	s_delay_alu instid0(VALU_DEP_2) | instskip(NEXT) | instid1(VALU_DEP_1)
	v_clz_i32_u32_e32 v13, v13
	v_min_u32_e32 v13, 32, v13
	s_delay_alu instid0(VALU_DEP_1) | instskip(NEXT) | instid1(VALU_DEP_1)
	v_subrev_nc_u32_e32 v40, 28, v13
	v_lshlrev_b64_e32 v[42:43], v40, v[12:13]
	s_delay_alu instid0(VALU_DEP_1)
	v_dual_sub_nc_u32 v40, 29, v13 :: v_dual_bitop2_b32 v13, 7, v42 bitop3:0x40
; %bb.150:                              ;   in Loop: Header=BB241_12 Depth=1
	s_or_b32 exec_lo, exec_lo, s44
	s_delay_alu instid0(VALU_DEP_1) | instskip(NEXT) | instid1(VALU_DEP_2)
	v_dual_lshlrev_b32 v41, 8, v12 :: v_dual_lshlrev_b32 v13, 7, v13
	v_lshl_add_u32 v40, v40, 10, 0x2000
	s_delay_alu instid0(VALU_DEP_2) | instskip(NEXT) | instid1(VALU_DEP_2)
	v_and_b32_e32 v41, 0x8000, v41
	v_and_b32_e32 v40, 0xfc00, v40
	s_delay_alu instid0(VALU_DEP_1)
	v_or3_b32 v40, v41, v40, v13
.LBB241_151:                            ;   in Loop: Header=BB241_12 Depth=1
	s_or_b32 exec_lo, exec_lo, s43
.LBB241_152:                            ;   in Loop: Header=BB241_12 Depth=1
	s_delay_alu instid0(SALU_CYCLE_1)
	s_or_b32 exec_lo, exec_lo, s42
.LBB241_153:                            ;   in Loop: Header=BB241_12 Depth=1
	s_delay_alu instid0(SALU_CYCLE_1) | instskip(NEXT) | instid1(VALU_DEP_2)
	s_or_b32 exec_lo, exec_lo, s41
	v_lshrrev_b16 v12, 8, v12
	s_mov_b32 s41, exec_lo
	s_delay_alu instid0(VALU_DEP_1)
	v_cmpx_ne_u16_e32 0, v12
	s_cbranch_execz .LBB241_161
; %bb.154:                              ;   in Loop: Header=BB241_12 Depth=1
	v_bfrev_b32_e32 v39, 1
	s_mov_b32 s42, exec_lo
	v_cmpx_ne_u16_e32 0x80, v12
	s_cbranch_execz .LBB241_160
; %bb.155:                              ;   in Loop: Header=BB241_12 Depth=1
	v_and_b32_e32 v41, 0xffff, v12
	v_mov_b32_e32 v39, 0x7c010000
	s_mov_b32 s43, exec_lo
	s_delay_alu instid0(VALU_DEP_2) | instskip(NEXT) | instid1(VALU_DEP_1)
	v_and_b32_e32 v42, 0x7f, v41
	v_cmpx_ne_u32_e32 0x7f, v42
	s_cbranch_execz .LBB241_159
; %bb.156:                              ;   in Loop: Header=BB241_12 Depth=1
	v_dual_lshrrev_b32 v39, 3, v42 :: v_dual_bitop2_b32 v13, 7, v41 bitop3:0x40
	s_mov_b32 s44, exec_lo
	v_cmpx_gt_u32_e32 8, v42
	s_cbranch_execz .LBB241_158
; %bb.157:                              ;   in Loop: Header=BB241_12 Depth=1
	s_delay_alu instid0(VALU_DEP_2) | instskip(NEXT) | instid1(VALU_DEP_1)
	v_clz_i32_u32_e32 v13, v13
	v_min_u32_e32 v39, 32, v13
	v_mov_b32_e32 v13, v5
	s_delay_alu instid0(VALU_DEP_2) | instskip(SKIP_1) | instid1(VALU_DEP_2)
	v_subrev_nc_u32_e32 v42, 28, v39
	v_sub_nc_u32_e32 v39, 29, v39
	v_lshlrev_b64_e32 v[12:13], v42, v[12:13]
	s_delay_alu instid0(VALU_DEP_1)
	v_and_b32_e32 v13, 7, v12
.LBB241_158:                            ;   in Loop: Header=BB241_12 Depth=1
	s_or_b32 exec_lo, exec_lo, s44
	v_lshlrev_b32_e32 v12, 8, v41
	v_lshl_add_u32 v39, v39, 10, 0x2000
	s_delay_alu instid0(VALU_DEP_3) | instskip(NEXT) | instid1(VALU_DEP_2)
	v_lshlrev_b32_e32 v13, 23, v13
	v_and_or_b32 v12, 0x8000, v12, v39
	s_delay_alu instid0(VALU_DEP_1)
	v_lshl_or_b32 v39, v12, 16, v13
.LBB241_159:                            ;   in Loop: Header=BB241_12 Depth=1
	s_or_b32 exec_lo, exec_lo, s43
.LBB241_160:                            ;   in Loop: Header=BB241_12 Depth=1
	s_delay_alu instid0(SALU_CYCLE_1)
	s_or_b32 exec_lo, exec_lo, s42
.LBB241_161:                            ;   in Loop: Header=BB241_12 Depth=1
	s_delay_alu instid0(SALU_CYCLE_1)
	s_or_b32 exec_lo, exec_lo, s41
	global_load_u16 v12, v[10:11], off offset:520
	v_dual_mov_b32 v41, 0 :: v_dual_mov_b32 v42, 0
	s_mov_b32 s41, exec_lo
	s_wait_loadcnt 0x0
	v_and_b32_e32 v13, 0xff, v12
	v_and_b32_e32 v12, 0xffff, v12
	s_delay_alu instid0(VALU_DEP_2)
	v_cmpx_ne_u16_e32 0, v13
	s_cbranch_execz .LBB241_169
; %bb.162:                              ;   in Loop: Header=BB241_12 Depth=1
	s_delay_alu instid0(VALU_DEP_2) | instskip(SKIP_2) | instid1(VALU_DEP_2)
	v_and_b32_e32 v13, 0xff, v12
	v_mov_b32_e32 v42, 0x8000
	s_mov_b32 s42, exec_lo
	v_cmpx_ne_u16_e32 0x80, v13
	s_cbranch_execz .LBB241_168
; %bb.163:                              ;   in Loop: Header=BB241_12 Depth=1
	v_and_b32_e32 v43, 0x7f, v12
	v_mov_b32_e32 v42, 0x7c01
	s_mov_b32 s43, exec_lo
	s_delay_alu instid0(VALU_DEP_2)
	v_cmpx_ne_u32_e32 0x7f, v43
	s_cbranch_execz .LBB241_167
; %bb.164:                              ;   in Loop: Header=BB241_12 Depth=1
	v_dual_lshrrev_b32 v42, 3, v43 :: v_dual_bitop2_b32 v13, 7, v12 bitop3:0x40
	s_mov_b32 s44, exec_lo
	v_cmpx_gt_u32_e32 8, v43
; %bb.165:                              ;   in Loop: Header=BB241_12 Depth=1
	s_delay_alu instid0(VALU_DEP_2) | instskip(NEXT) | instid1(VALU_DEP_1)
	v_clz_i32_u32_e32 v13, v13
	v_min_u32_e32 v13, 32, v13
	s_delay_alu instid0(VALU_DEP_1) | instskip(NEXT) | instid1(VALU_DEP_1)
	v_subrev_nc_u32_e32 v42, 28, v13
	v_lshlrev_b64_e32 v[44:45], v42, v[12:13]
	s_delay_alu instid0(VALU_DEP_1)
	v_dual_sub_nc_u32 v42, 29, v13 :: v_dual_bitop2_b32 v13, 7, v44 bitop3:0x40
; %bb.166:                              ;   in Loop: Header=BB241_12 Depth=1
	s_or_b32 exec_lo, exec_lo, s44
	s_delay_alu instid0(VALU_DEP_1) | instskip(NEXT) | instid1(VALU_DEP_2)
	v_dual_lshlrev_b32 v43, 8, v12 :: v_dual_lshlrev_b32 v13, 7, v13
	v_lshl_add_u32 v42, v42, 10, 0x2000
	s_delay_alu instid0(VALU_DEP_2) | instskip(NEXT) | instid1(VALU_DEP_2)
	v_and_b32_e32 v43, 0x8000, v43
	v_and_b32_e32 v42, 0xfc00, v42
	s_delay_alu instid0(VALU_DEP_1)
	v_or3_b32 v42, v43, v42, v13
.LBB241_167:                            ;   in Loop: Header=BB241_12 Depth=1
	s_or_b32 exec_lo, exec_lo, s43
.LBB241_168:                            ;   in Loop: Header=BB241_12 Depth=1
	s_delay_alu instid0(SALU_CYCLE_1)
	s_or_b32 exec_lo, exec_lo, s42
.LBB241_169:                            ;   in Loop: Header=BB241_12 Depth=1
	s_delay_alu instid0(SALU_CYCLE_1) | instskip(NEXT) | instid1(VALU_DEP_2)
	s_or_b32 exec_lo, exec_lo, s41
	v_lshrrev_b16 v12, 8, v12
	s_mov_b32 s41, exec_lo
	s_delay_alu instid0(VALU_DEP_1)
	v_cmpx_ne_u16_e32 0, v12
	s_cbranch_execz .LBB241_177
; %bb.170:                              ;   in Loop: Header=BB241_12 Depth=1
	v_bfrev_b32_e32 v41, 1
	s_mov_b32 s42, exec_lo
	v_cmpx_ne_u16_e32 0x80, v12
	s_cbranch_execz .LBB241_176
; %bb.171:                              ;   in Loop: Header=BB241_12 Depth=1
	v_and_b32_e32 v43, 0xffff, v12
	v_mov_b32_e32 v41, 0x7c010000
	s_mov_b32 s43, exec_lo
	s_delay_alu instid0(VALU_DEP_2) | instskip(NEXT) | instid1(VALU_DEP_1)
	v_and_b32_e32 v44, 0x7f, v43
	v_cmpx_ne_u32_e32 0x7f, v44
	s_cbranch_execz .LBB241_175
; %bb.172:                              ;   in Loop: Header=BB241_12 Depth=1
	v_dual_lshrrev_b32 v41, 3, v44 :: v_dual_bitop2_b32 v13, 7, v43 bitop3:0x40
	s_mov_b32 s44, exec_lo
	v_cmpx_gt_u32_e32 8, v44
	s_cbranch_execz .LBB241_174
; %bb.173:                              ;   in Loop: Header=BB241_12 Depth=1
	s_delay_alu instid0(VALU_DEP_2) | instskip(NEXT) | instid1(VALU_DEP_1)
	v_clz_i32_u32_e32 v13, v13
	v_min_u32_e32 v41, 32, v13
	v_mov_b32_e32 v13, v5
	s_delay_alu instid0(VALU_DEP_2) | instskip(SKIP_1) | instid1(VALU_DEP_2)
	v_subrev_nc_u32_e32 v44, 28, v41
	v_sub_nc_u32_e32 v41, 29, v41
	v_lshlrev_b64_e32 v[12:13], v44, v[12:13]
	s_delay_alu instid0(VALU_DEP_1)
	v_and_b32_e32 v13, 7, v12
.LBB241_174:                            ;   in Loop: Header=BB241_12 Depth=1
	s_or_b32 exec_lo, exec_lo, s44
	s_delay_alu instid0(VALU_DEP_1) | instskip(SKIP_1) | instid1(VALU_DEP_1)
	v_dual_lshlrev_b32 v12, 8, v43 :: v_dual_lshlrev_b32 v13, 23, v13
	v_lshl_add_u32 v41, v41, 10, 0x2000
	v_and_or_b32 v12, 0x8000, v12, v41
	s_delay_alu instid0(VALU_DEP_1)
	v_lshl_or_b32 v41, v12, 16, v13
.LBB241_175:                            ;   in Loop: Header=BB241_12 Depth=1
	s_or_b32 exec_lo, exec_lo, s43
.LBB241_176:                            ;   in Loop: Header=BB241_12 Depth=1
	s_delay_alu instid0(SALU_CYCLE_1)
	s_or_b32 exec_lo, exec_lo, s42
.LBB241_177:                            ;   in Loop: Header=BB241_12 Depth=1
	s_delay_alu instid0(SALU_CYCLE_1)
	s_or_b32 exec_lo, exec_lo, s41
	global_load_u16 v12, v[10:11], off offset:640
	v_dual_mov_b32 v43, 0 :: v_dual_mov_b32 v44, 0
	s_mov_b32 s41, exec_lo
	s_wait_loadcnt 0x0
	v_and_b32_e32 v13, 0xff, v12
	v_and_b32_e32 v12, 0xffff, v12
	s_delay_alu instid0(VALU_DEP_2)
	v_cmpx_ne_u16_e32 0, v13
	s_cbranch_execz .LBB241_185
; %bb.178:                              ;   in Loop: Header=BB241_12 Depth=1
	s_delay_alu instid0(VALU_DEP_2) | instskip(SKIP_2) | instid1(VALU_DEP_2)
	v_and_b32_e32 v13, 0xff, v12
	v_mov_b32_e32 v44, 0x8000
	s_mov_b32 s42, exec_lo
	v_cmpx_ne_u16_e32 0x80, v13
	s_cbranch_execz .LBB241_184
; %bb.179:                              ;   in Loop: Header=BB241_12 Depth=1
	v_and_b32_e32 v45, 0x7f, v12
	v_mov_b32_e32 v44, 0x7c01
	s_mov_b32 s43, exec_lo
	s_delay_alu instid0(VALU_DEP_2)
	v_cmpx_ne_u32_e32 0x7f, v45
	s_cbranch_execz .LBB241_183
; %bb.180:                              ;   in Loop: Header=BB241_12 Depth=1
	v_dual_lshrrev_b32 v44, 3, v45 :: v_dual_bitop2_b32 v13, 7, v12 bitop3:0x40
	s_mov_b32 s44, exec_lo
	v_cmpx_gt_u32_e32 8, v45
; %bb.181:                              ;   in Loop: Header=BB241_12 Depth=1
	s_delay_alu instid0(VALU_DEP_2) | instskip(NEXT) | instid1(VALU_DEP_1)
	v_clz_i32_u32_e32 v13, v13
	v_min_u32_e32 v13, 32, v13
	s_delay_alu instid0(VALU_DEP_1) | instskip(NEXT) | instid1(VALU_DEP_1)
	v_subrev_nc_u32_e32 v44, 28, v13
	v_lshlrev_b64_e32 v[46:47], v44, v[12:13]
	s_delay_alu instid0(VALU_DEP_1)
	v_dual_sub_nc_u32 v44, 29, v13 :: v_dual_bitop2_b32 v13, 7, v46 bitop3:0x40
; %bb.182:                              ;   in Loop: Header=BB241_12 Depth=1
	s_or_b32 exec_lo, exec_lo, s44
	s_delay_alu instid0(VALU_DEP_1) | instskip(NEXT) | instid1(VALU_DEP_2)
	v_dual_lshlrev_b32 v45, 8, v12 :: v_dual_lshlrev_b32 v13, 7, v13
	v_lshl_add_u32 v44, v44, 10, 0x2000
	s_delay_alu instid0(VALU_DEP_2) | instskip(NEXT) | instid1(VALU_DEP_2)
	v_and_b32_e32 v45, 0x8000, v45
	v_and_b32_e32 v44, 0xfc00, v44
	s_delay_alu instid0(VALU_DEP_1)
	v_or3_b32 v44, v45, v44, v13
.LBB241_183:                            ;   in Loop: Header=BB241_12 Depth=1
	s_or_b32 exec_lo, exec_lo, s43
.LBB241_184:                            ;   in Loop: Header=BB241_12 Depth=1
	s_delay_alu instid0(SALU_CYCLE_1)
	s_or_b32 exec_lo, exec_lo, s42
.LBB241_185:                            ;   in Loop: Header=BB241_12 Depth=1
	s_delay_alu instid0(SALU_CYCLE_1) | instskip(NEXT) | instid1(VALU_DEP_2)
	s_or_b32 exec_lo, exec_lo, s41
	v_lshrrev_b16 v12, 8, v12
	s_mov_b32 s41, exec_lo
	s_delay_alu instid0(VALU_DEP_1)
	v_cmpx_ne_u16_e32 0, v12
	s_cbranch_execz .LBB241_193
; %bb.186:                              ;   in Loop: Header=BB241_12 Depth=1
	v_bfrev_b32_e32 v43, 1
	s_mov_b32 s42, exec_lo
	v_cmpx_ne_u16_e32 0x80, v12
	s_cbranch_execz .LBB241_192
; %bb.187:                              ;   in Loop: Header=BB241_12 Depth=1
	v_and_b32_e32 v45, 0xffff, v12
	v_mov_b32_e32 v43, 0x7c010000
	s_mov_b32 s43, exec_lo
	s_delay_alu instid0(VALU_DEP_2) | instskip(NEXT) | instid1(VALU_DEP_1)
	v_and_b32_e32 v46, 0x7f, v45
	v_cmpx_ne_u32_e32 0x7f, v46
	s_cbranch_execz .LBB241_191
; %bb.188:                              ;   in Loop: Header=BB241_12 Depth=1
	v_dual_lshrrev_b32 v43, 3, v46 :: v_dual_bitop2_b32 v13, 7, v45 bitop3:0x40
	s_mov_b32 s44, exec_lo
	v_cmpx_gt_u32_e32 8, v46
	s_cbranch_execz .LBB241_190
; %bb.189:                              ;   in Loop: Header=BB241_12 Depth=1
	s_delay_alu instid0(VALU_DEP_2) | instskip(NEXT) | instid1(VALU_DEP_1)
	v_clz_i32_u32_e32 v13, v13
	v_min_u32_e32 v43, 32, v13
	v_mov_b32_e32 v13, v5
	s_delay_alu instid0(VALU_DEP_2) | instskip(SKIP_1) | instid1(VALU_DEP_2)
	v_subrev_nc_u32_e32 v46, 28, v43
	v_sub_nc_u32_e32 v43, 29, v43
	v_lshlrev_b64_e32 v[12:13], v46, v[12:13]
	s_delay_alu instid0(VALU_DEP_1)
	v_and_b32_e32 v13, 7, v12
.LBB241_190:                            ;   in Loop: Header=BB241_12 Depth=1
	s_or_b32 exec_lo, exec_lo, s44
	v_lshlrev_b32_e32 v12, 8, v45
	v_lshl_add_u32 v43, v43, 10, 0x2000
	s_delay_alu instid0(VALU_DEP_3) | instskip(NEXT) | instid1(VALU_DEP_2)
	v_lshlrev_b32_e32 v13, 23, v13
	v_and_or_b32 v12, 0x8000, v12, v43
	s_delay_alu instid0(VALU_DEP_1)
	v_lshl_or_b32 v43, v12, 16, v13
.LBB241_191:                            ;   in Loop: Header=BB241_12 Depth=1
	s_or_b32 exec_lo, exec_lo, s43
.LBB241_192:                            ;   in Loop: Header=BB241_12 Depth=1
	s_delay_alu instid0(SALU_CYCLE_1)
	s_or_b32 exec_lo, exec_lo, s42
.LBB241_193:                            ;   in Loop: Header=BB241_12 Depth=1
	s_delay_alu instid0(SALU_CYCLE_1)
	s_or_b32 exec_lo, exec_lo, s41
	global_load_u16 v12, v[10:11], off offset:648
	v_dual_mov_b32 v45, 0 :: v_dual_mov_b32 v46, 0
	s_mov_b32 s41, exec_lo
	s_wait_loadcnt 0x0
	v_and_b32_e32 v13, 0xff, v12
	v_and_b32_e32 v12, 0xffff, v12
	s_delay_alu instid0(VALU_DEP_2)
	v_cmpx_ne_u16_e32 0, v13
	s_cbranch_execz .LBB241_201
; %bb.194:                              ;   in Loop: Header=BB241_12 Depth=1
	s_delay_alu instid0(VALU_DEP_2) | instskip(SKIP_2) | instid1(VALU_DEP_2)
	v_and_b32_e32 v13, 0xff, v12
	v_mov_b32_e32 v46, 0x8000
	s_mov_b32 s42, exec_lo
	v_cmpx_ne_u16_e32 0x80, v13
	s_cbranch_execz .LBB241_200
; %bb.195:                              ;   in Loop: Header=BB241_12 Depth=1
	v_and_b32_e32 v47, 0x7f, v12
	v_mov_b32_e32 v46, 0x7c01
	s_mov_b32 s43, exec_lo
	s_delay_alu instid0(VALU_DEP_2)
	v_cmpx_ne_u32_e32 0x7f, v47
	s_cbranch_execz .LBB241_199
; %bb.196:                              ;   in Loop: Header=BB241_12 Depth=1
	v_dual_lshrrev_b32 v46, 3, v47 :: v_dual_bitop2_b32 v13, 7, v12 bitop3:0x40
	s_mov_b32 s44, exec_lo
	v_cmpx_gt_u32_e32 8, v47
; %bb.197:                              ;   in Loop: Header=BB241_12 Depth=1
	s_delay_alu instid0(VALU_DEP_2) | instskip(NEXT) | instid1(VALU_DEP_1)
	v_clz_i32_u32_e32 v13, v13
	v_min_u32_e32 v13, 32, v13
	s_delay_alu instid0(VALU_DEP_1) | instskip(NEXT) | instid1(VALU_DEP_1)
	v_subrev_nc_u32_e32 v46, 28, v13
	v_lshlrev_b64_e32 v[48:49], v46, v[12:13]
	s_delay_alu instid0(VALU_DEP_1)
	v_dual_sub_nc_u32 v46, 29, v13 :: v_dual_bitop2_b32 v13, 7, v48 bitop3:0x40
; %bb.198:                              ;   in Loop: Header=BB241_12 Depth=1
	s_or_b32 exec_lo, exec_lo, s44
	s_delay_alu instid0(VALU_DEP_1) | instskip(NEXT) | instid1(VALU_DEP_2)
	v_dual_lshlrev_b32 v47, 8, v12 :: v_dual_lshlrev_b32 v13, 7, v13
	v_lshl_add_u32 v46, v46, 10, 0x2000
	s_delay_alu instid0(VALU_DEP_2) | instskip(NEXT) | instid1(VALU_DEP_2)
	v_and_b32_e32 v47, 0x8000, v47
	v_and_b32_e32 v46, 0xfc00, v46
	s_delay_alu instid0(VALU_DEP_1)
	v_or3_b32 v46, v47, v46, v13
.LBB241_199:                            ;   in Loop: Header=BB241_12 Depth=1
	s_or_b32 exec_lo, exec_lo, s43
.LBB241_200:                            ;   in Loop: Header=BB241_12 Depth=1
	s_delay_alu instid0(SALU_CYCLE_1)
	s_or_b32 exec_lo, exec_lo, s42
.LBB241_201:                            ;   in Loop: Header=BB241_12 Depth=1
	s_delay_alu instid0(SALU_CYCLE_1) | instskip(NEXT) | instid1(VALU_DEP_2)
	s_or_b32 exec_lo, exec_lo, s41
	v_lshrrev_b16 v12, 8, v12
	s_mov_b32 s41, exec_lo
	s_delay_alu instid0(VALU_DEP_1)
	v_cmpx_ne_u16_e32 0, v12
	s_cbranch_execz .LBB241_209
; %bb.202:                              ;   in Loop: Header=BB241_12 Depth=1
	v_bfrev_b32_e32 v45, 1
	s_mov_b32 s42, exec_lo
	v_cmpx_ne_u16_e32 0x80, v12
	s_cbranch_execz .LBB241_208
; %bb.203:                              ;   in Loop: Header=BB241_12 Depth=1
	v_and_b32_e32 v47, 0xffff, v12
	v_mov_b32_e32 v45, 0x7c010000
	s_mov_b32 s43, exec_lo
	s_delay_alu instid0(VALU_DEP_2) | instskip(NEXT) | instid1(VALU_DEP_1)
	v_and_b32_e32 v48, 0x7f, v47
	v_cmpx_ne_u32_e32 0x7f, v48
	s_cbranch_execz .LBB241_207
; %bb.204:                              ;   in Loop: Header=BB241_12 Depth=1
	v_dual_lshrrev_b32 v45, 3, v48 :: v_dual_bitop2_b32 v13, 7, v47 bitop3:0x40
	s_mov_b32 s44, exec_lo
	v_cmpx_gt_u32_e32 8, v48
	s_cbranch_execz .LBB241_206
; %bb.205:                              ;   in Loop: Header=BB241_12 Depth=1
	s_delay_alu instid0(VALU_DEP_2) | instskip(NEXT) | instid1(VALU_DEP_1)
	v_clz_i32_u32_e32 v13, v13
	v_min_u32_e32 v45, 32, v13
	v_mov_b32_e32 v13, v5
	s_delay_alu instid0(VALU_DEP_2) | instskip(SKIP_1) | instid1(VALU_DEP_2)
	v_subrev_nc_u32_e32 v48, 28, v45
	v_sub_nc_u32_e32 v45, 29, v45
	v_lshlrev_b64_e32 v[12:13], v48, v[12:13]
	s_delay_alu instid0(VALU_DEP_1)
	v_and_b32_e32 v13, 7, v12
.LBB241_206:                            ;   in Loop: Header=BB241_12 Depth=1
	s_or_b32 exec_lo, exec_lo, s44
	s_delay_alu instid0(VALU_DEP_1) | instskip(SKIP_1) | instid1(VALU_DEP_1)
	v_dual_lshlrev_b32 v12, 8, v47 :: v_dual_lshlrev_b32 v13, 23, v13
	v_lshl_add_u32 v45, v45, 10, 0x2000
	v_and_or_b32 v12, 0x8000, v12, v45
	s_delay_alu instid0(VALU_DEP_1)
	v_lshl_or_b32 v45, v12, 16, v13
.LBB241_207:                            ;   in Loop: Header=BB241_12 Depth=1
	s_or_b32 exec_lo, exec_lo, s43
.LBB241_208:                            ;   in Loop: Header=BB241_12 Depth=1
	s_delay_alu instid0(SALU_CYCLE_1)
	s_or_b32 exec_lo, exec_lo, s42
.LBB241_209:                            ;   in Loop: Header=BB241_12 Depth=1
	s_delay_alu instid0(SALU_CYCLE_1)
	s_or_b32 exec_lo, exec_lo, s41
	global_load_u16 v12, v[10:11], off offset:768
	v_dual_mov_b32 v47, 0 :: v_dual_mov_b32 v48, 0
	s_mov_b32 s41, exec_lo
	s_wait_loadcnt 0x0
	v_and_b32_e32 v13, 0xff, v12
	v_and_b32_e32 v12, 0xffff, v12
	s_delay_alu instid0(VALU_DEP_2)
	v_cmpx_ne_u16_e32 0, v13
	s_cbranch_execz .LBB241_217
; %bb.210:                              ;   in Loop: Header=BB241_12 Depth=1
	s_delay_alu instid0(VALU_DEP_2) | instskip(SKIP_2) | instid1(VALU_DEP_2)
	v_and_b32_e32 v13, 0xff, v12
	v_mov_b32_e32 v48, 0x8000
	s_mov_b32 s42, exec_lo
	v_cmpx_ne_u16_e32 0x80, v13
	s_cbranch_execz .LBB241_216
; %bb.211:                              ;   in Loop: Header=BB241_12 Depth=1
	v_and_b32_e32 v49, 0x7f, v12
	v_mov_b32_e32 v48, 0x7c01
	s_mov_b32 s43, exec_lo
	s_delay_alu instid0(VALU_DEP_2)
	v_cmpx_ne_u32_e32 0x7f, v49
	s_cbranch_execz .LBB241_215
; %bb.212:                              ;   in Loop: Header=BB241_12 Depth=1
	v_dual_lshrrev_b32 v48, 3, v49 :: v_dual_bitop2_b32 v13, 7, v12 bitop3:0x40
	s_mov_b32 s44, exec_lo
	v_cmpx_gt_u32_e32 8, v49
; %bb.213:                              ;   in Loop: Header=BB241_12 Depth=1
	s_delay_alu instid0(VALU_DEP_2) | instskip(NEXT) | instid1(VALU_DEP_1)
	v_clz_i32_u32_e32 v13, v13
	v_min_u32_e32 v13, 32, v13
	s_delay_alu instid0(VALU_DEP_1) | instskip(NEXT) | instid1(VALU_DEP_1)
	v_subrev_nc_u32_e32 v48, 28, v13
	v_lshlrev_b64_e32 v[50:51], v48, v[12:13]
	s_delay_alu instid0(VALU_DEP_1)
	v_dual_sub_nc_u32 v48, 29, v13 :: v_dual_bitop2_b32 v13, 7, v50 bitop3:0x40
; %bb.214:                              ;   in Loop: Header=BB241_12 Depth=1
	s_or_b32 exec_lo, exec_lo, s44
	s_delay_alu instid0(VALU_DEP_1) | instskip(NEXT) | instid1(VALU_DEP_2)
	v_dual_lshlrev_b32 v49, 8, v12 :: v_dual_lshlrev_b32 v13, 7, v13
	v_lshl_add_u32 v48, v48, 10, 0x2000
	s_delay_alu instid0(VALU_DEP_2) | instskip(NEXT) | instid1(VALU_DEP_2)
	v_and_b32_e32 v49, 0x8000, v49
	v_and_b32_e32 v48, 0xfc00, v48
	s_delay_alu instid0(VALU_DEP_1)
	v_or3_b32 v48, v49, v48, v13
.LBB241_215:                            ;   in Loop: Header=BB241_12 Depth=1
	s_or_b32 exec_lo, exec_lo, s43
.LBB241_216:                            ;   in Loop: Header=BB241_12 Depth=1
	s_delay_alu instid0(SALU_CYCLE_1)
	s_or_b32 exec_lo, exec_lo, s42
.LBB241_217:                            ;   in Loop: Header=BB241_12 Depth=1
	s_delay_alu instid0(SALU_CYCLE_1) | instskip(NEXT) | instid1(VALU_DEP_2)
	s_or_b32 exec_lo, exec_lo, s41
	v_lshrrev_b16 v12, 8, v12
	s_mov_b32 s41, exec_lo
	s_delay_alu instid0(VALU_DEP_1)
	v_cmpx_ne_u16_e32 0, v12
	s_cbranch_execz .LBB241_225
; %bb.218:                              ;   in Loop: Header=BB241_12 Depth=1
	v_bfrev_b32_e32 v47, 1
	s_mov_b32 s42, exec_lo
	v_cmpx_ne_u16_e32 0x80, v12
	s_cbranch_execz .LBB241_224
; %bb.219:                              ;   in Loop: Header=BB241_12 Depth=1
	v_and_b32_e32 v49, 0xffff, v12
	v_mov_b32_e32 v47, 0x7c010000
	s_mov_b32 s43, exec_lo
	s_delay_alu instid0(VALU_DEP_2) | instskip(NEXT) | instid1(VALU_DEP_1)
	v_and_b32_e32 v50, 0x7f, v49
	v_cmpx_ne_u32_e32 0x7f, v50
	s_cbranch_execz .LBB241_223
; %bb.220:                              ;   in Loop: Header=BB241_12 Depth=1
	v_dual_lshrrev_b32 v47, 3, v50 :: v_dual_bitop2_b32 v13, 7, v49 bitop3:0x40
	s_mov_b32 s44, exec_lo
	v_cmpx_gt_u32_e32 8, v50
	s_cbranch_execz .LBB241_222
; %bb.221:                              ;   in Loop: Header=BB241_12 Depth=1
	s_delay_alu instid0(VALU_DEP_2) | instskip(NEXT) | instid1(VALU_DEP_1)
	v_clz_i32_u32_e32 v13, v13
	v_min_u32_e32 v47, 32, v13
	v_mov_b32_e32 v13, v5
	s_delay_alu instid0(VALU_DEP_2) | instskip(SKIP_1) | instid1(VALU_DEP_2)
	v_subrev_nc_u32_e32 v50, 28, v47
	v_sub_nc_u32_e32 v47, 29, v47
	v_lshlrev_b64_e32 v[12:13], v50, v[12:13]
	s_delay_alu instid0(VALU_DEP_1)
	v_and_b32_e32 v13, 7, v12
.LBB241_222:                            ;   in Loop: Header=BB241_12 Depth=1
	s_or_b32 exec_lo, exec_lo, s44
	v_lshlrev_b32_e32 v12, 8, v49
	v_lshl_add_u32 v47, v47, 10, 0x2000
	s_delay_alu instid0(VALU_DEP_3) | instskip(NEXT) | instid1(VALU_DEP_2)
	v_lshlrev_b32_e32 v13, 23, v13
	v_and_or_b32 v12, 0x8000, v12, v47
	s_delay_alu instid0(VALU_DEP_1)
	v_lshl_or_b32 v47, v12, 16, v13
.LBB241_223:                            ;   in Loop: Header=BB241_12 Depth=1
	s_or_b32 exec_lo, exec_lo, s43
.LBB241_224:                            ;   in Loop: Header=BB241_12 Depth=1
	s_delay_alu instid0(SALU_CYCLE_1)
	s_or_b32 exec_lo, exec_lo, s42
.LBB241_225:                            ;   in Loop: Header=BB241_12 Depth=1
	s_delay_alu instid0(SALU_CYCLE_1)
	s_or_b32 exec_lo, exec_lo, s41
	global_load_u16 v12, v[10:11], off offset:776
	v_dual_mov_b32 v49, 0 :: v_dual_mov_b32 v50, 0
	s_mov_b32 s41, exec_lo
	s_wait_loadcnt 0x0
	v_and_b32_e32 v13, 0xff, v12
	v_and_b32_e32 v12, 0xffff, v12
	s_delay_alu instid0(VALU_DEP_2)
	v_cmpx_ne_u16_e32 0, v13
	s_cbranch_execz .LBB241_233
; %bb.226:                              ;   in Loop: Header=BB241_12 Depth=1
	s_delay_alu instid0(VALU_DEP_2) | instskip(SKIP_2) | instid1(VALU_DEP_2)
	v_and_b32_e32 v13, 0xff, v12
	v_mov_b32_e32 v50, 0x8000
	s_mov_b32 s42, exec_lo
	v_cmpx_ne_u16_e32 0x80, v13
	s_cbranch_execz .LBB241_232
; %bb.227:                              ;   in Loop: Header=BB241_12 Depth=1
	v_and_b32_e32 v51, 0x7f, v12
	v_mov_b32_e32 v50, 0x7c01
	s_mov_b32 s43, exec_lo
	s_delay_alu instid0(VALU_DEP_2)
	v_cmpx_ne_u32_e32 0x7f, v51
	s_cbranch_execz .LBB241_231
; %bb.228:                              ;   in Loop: Header=BB241_12 Depth=1
	v_dual_lshrrev_b32 v50, 3, v51 :: v_dual_bitop2_b32 v13, 7, v12 bitop3:0x40
	s_mov_b32 s44, exec_lo
	v_cmpx_gt_u32_e32 8, v51
; %bb.229:                              ;   in Loop: Header=BB241_12 Depth=1
	s_delay_alu instid0(VALU_DEP_2) | instskip(NEXT) | instid1(VALU_DEP_1)
	v_clz_i32_u32_e32 v13, v13
	v_min_u32_e32 v13, 32, v13
	s_delay_alu instid0(VALU_DEP_1) | instskip(NEXT) | instid1(VALU_DEP_1)
	v_subrev_nc_u32_e32 v50, 28, v13
	v_lshlrev_b64_e32 v[52:53], v50, v[12:13]
	s_delay_alu instid0(VALU_DEP_1)
	v_dual_sub_nc_u32 v50, 29, v13 :: v_dual_bitop2_b32 v13, 7, v52 bitop3:0x40
; %bb.230:                              ;   in Loop: Header=BB241_12 Depth=1
	s_or_b32 exec_lo, exec_lo, s44
	s_delay_alu instid0(VALU_DEP_1) | instskip(NEXT) | instid1(VALU_DEP_2)
	v_dual_lshlrev_b32 v51, 8, v12 :: v_dual_lshlrev_b32 v13, 7, v13
	v_lshl_add_u32 v50, v50, 10, 0x2000
	s_delay_alu instid0(VALU_DEP_2) | instskip(NEXT) | instid1(VALU_DEP_2)
	v_and_b32_e32 v51, 0x8000, v51
	v_and_b32_e32 v50, 0xfc00, v50
	s_delay_alu instid0(VALU_DEP_1)
	v_or3_b32 v50, v51, v50, v13
.LBB241_231:                            ;   in Loop: Header=BB241_12 Depth=1
	s_or_b32 exec_lo, exec_lo, s43
.LBB241_232:                            ;   in Loop: Header=BB241_12 Depth=1
	s_delay_alu instid0(SALU_CYCLE_1)
	s_or_b32 exec_lo, exec_lo, s42
.LBB241_233:                            ;   in Loop: Header=BB241_12 Depth=1
	s_delay_alu instid0(SALU_CYCLE_1) | instskip(NEXT) | instid1(VALU_DEP_2)
	s_or_b32 exec_lo, exec_lo, s41
	v_lshrrev_b16 v12, 8, v12
	s_mov_b32 s41, exec_lo
	s_delay_alu instid0(VALU_DEP_1)
	v_cmpx_ne_u16_e32 0, v12
	s_cbranch_execz .LBB241_241
; %bb.234:                              ;   in Loop: Header=BB241_12 Depth=1
	v_bfrev_b32_e32 v49, 1
	s_mov_b32 s42, exec_lo
	v_cmpx_ne_u16_e32 0x80, v12
	s_cbranch_execz .LBB241_240
; %bb.235:                              ;   in Loop: Header=BB241_12 Depth=1
	v_and_b32_e32 v51, 0xffff, v12
	v_mov_b32_e32 v49, 0x7c010000
	s_mov_b32 s43, exec_lo
	s_delay_alu instid0(VALU_DEP_2) | instskip(NEXT) | instid1(VALU_DEP_1)
	v_and_b32_e32 v52, 0x7f, v51
	v_cmpx_ne_u32_e32 0x7f, v52
	s_cbranch_execz .LBB241_239
; %bb.236:                              ;   in Loop: Header=BB241_12 Depth=1
	v_dual_lshrrev_b32 v49, 3, v52 :: v_dual_bitop2_b32 v13, 7, v51 bitop3:0x40
	s_mov_b32 s44, exec_lo
	v_cmpx_gt_u32_e32 8, v52
	s_cbranch_execz .LBB241_238
; %bb.237:                              ;   in Loop: Header=BB241_12 Depth=1
	s_delay_alu instid0(VALU_DEP_2) | instskip(NEXT) | instid1(VALU_DEP_1)
	v_clz_i32_u32_e32 v13, v13
	v_min_u32_e32 v49, 32, v13
	v_mov_b32_e32 v13, v5
	s_delay_alu instid0(VALU_DEP_2) | instskip(SKIP_1) | instid1(VALU_DEP_2)
	v_subrev_nc_u32_e32 v52, 28, v49
	v_sub_nc_u32_e32 v49, 29, v49
	v_lshlrev_b64_e32 v[12:13], v52, v[12:13]
	s_delay_alu instid0(VALU_DEP_1)
	v_and_b32_e32 v13, 7, v12
.LBB241_238:                            ;   in Loop: Header=BB241_12 Depth=1
	s_or_b32 exec_lo, exec_lo, s44
	s_delay_alu instid0(VALU_DEP_1) | instskip(SKIP_1) | instid1(VALU_DEP_1)
	v_dual_lshlrev_b32 v12, 8, v51 :: v_dual_lshlrev_b32 v13, 23, v13
	v_lshl_add_u32 v49, v49, 10, 0x2000
	v_and_or_b32 v12, 0x8000, v12, v49
	s_delay_alu instid0(VALU_DEP_1)
	v_lshl_or_b32 v49, v12, 16, v13
.LBB241_239:                            ;   in Loop: Header=BB241_12 Depth=1
	s_or_b32 exec_lo, exec_lo, s43
.LBB241_240:                            ;   in Loop: Header=BB241_12 Depth=1
	s_delay_alu instid0(SALU_CYCLE_1)
	s_or_b32 exec_lo, exec_lo, s42
.LBB241_241:                            ;   in Loop: Header=BB241_12 Depth=1
	s_delay_alu instid0(SALU_CYCLE_1)
	s_or_b32 exec_lo, exec_lo, s41
	global_load_u16 v12, v[10:11], off offset:896
	v_dual_mov_b32 v51, 0 :: v_dual_mov_b32 v52, 0
	s_mov_b32 s41, exec_lo
	s_wait_loadcnt 0x0
	v_and_b32_e32 v13, 0xff, v12
	v_and_b32_e32 v12, 0xffff, v12
	s_delay_alu instid0(VALU_DEP_2)
	v_cmpx_ne_u16_e32 0, v13
	s_cbranch_execz .LBB241_249
; %bb.242:                              ;   in Loop: Header=BB241_12 Depth=1
	s_delay_alu instid0(VALU_DEP_2) | instskip(SKIP_2) | instid1(VALU_DEP_2)
	v_and_b32_e32 v13, 0xff, v12
	v_mov_b32_e32 v52, 0x8000
	s_mov_b32 s42, exec_lo
	v_cmpx_ne_u16_e32 0x80, v13
	s_cbranch_execz .LBB241_248
; %bb.243:                              ;   in Loop: Header=BB241_12 Depth=1
	v_and_b32_e32 v53, 0x7f, v12
	v_mov_b32_e32 v52, 0x7c01
	s_mov_b32 s43, exec_lo
	s_delay_alu instid0(VALU_DEP_2)
	v_cmpx_ne_u32_e32 0x7f, v53
	s_cbranch_execz .LBB241_247
; %bb.244:                              ;   in Loop: Header=BB241_12 Depth=1
	v_dual_lshrrev_b32 v52, 3, v53 :: v_dual_bitop2_b32 v13, 7, v12 bitop3:0x40
	s_mov_b32 s44, exec_lo
	v_cmpx_gt_u32_e32 8, v53
; %bb.245:                              ;   in Loop: Header=BB241_12 Depth=1
	s_delay_alu instid0(VALU_DEP_2) | instskip(NEXT) | instid1(VALU_DEP_1)
	v_clz_i32_u32_e32 v13, v13
	v_min_u32_e32 v13, 32, v13
	s_delay_alu instid0(VALU_DEP_1) | instskip(NEXT) | instid1(VALU_DEP_1)
	v_subrev_nc_u32_e32 v52, 28, v13
	v_lshlrev_b64_e32 v[54:55], v52, v[12:13]
	s_delay_alu instid0(VALU_DEP_1)
	v_dual_sub_nc_u32 v52, 29, v13 :: v_dual_bitop2_b32 v13, 7, v54 bitop3:0x40
; %bb.246:                              ;   in Loop: Header=BB241_12 Depth=1
	s_or_b32 exec_lo, exec_lo, s44
	s_delay_alu instid0(VALU_DEP_1) | instskip(NEXT) | instid1(VALU_DEP_2)
	v_dual_lshlrev_b32 v53, 8, v12 :: v_dual_lshlrev_b32 v13, 7, v13
	v_lshl_add_u32 v52, v52, 10, 0x2000
	s_delay_alu instid0(VALU_DEP_2) | instskip(NEXT) | instid1(VALU_DEP_2)
	v_and_b32_e32 v53, 0x8000, v53
	v_and_b32_e32 v52, 0xfc00, v52
	s_delay_alu instid0(VALU_DEP_1)
	v_or3_b32 v52, v53, v52, v13
.LBB241_247:                            ;   in Loop: Header=BB241_12 Depth=1
	s_or_b32 exec_lo, exec_lo, s43
.LBB241_248:                            ;   in Loop: Header=BB241_12 Depth=1
	s_delay_alu instid0(SALU_CYCLE_1)
	s_or_b32 exec_lo, exec_lo, s42
.LBB241_249:                            ;   in Loop: Header=BB241_12 Depth=1
	s_delay_alu instid0(SALU_CYCLE_1) | instskip(NEXT) | instid1(VALU_DEP_2)
	s_or_b32 exec_lo, exec_lo, s41
	v_lshrrev_b16 v12, 8, v12
	s_mov_b32 s41, exec_lo
	s_delay_alu instid0(VALU_DEP_1)
	v_cmpx_ne_u16_e32 0, v12
	s_cbranch_execz .LBB241_257
; %bb.250:                              ;   in Loop: Header=BB241_12 Depth=1
	v_bfrev_b32_e32 v51, 1
	s_mov_b32 s42, exec_lo
	v_cmpx_ne_u16_e32 0x80, v12
	s_cbranch_execz .LBB241_256
; %bb.251:                              ;   in Loop: Header=BB241_12 Depth=1
	v_and_b32_e32 v53, 0xffff, v12
	v_mov_b32_e32 v51, 0x7c010000
	s_mov_b32 s43, exec_lo
	s_delay_alu instid0(VALU_DEP_2) | instskip(NEXT) | instid1(VALU_DEP_1)
	v_and_b32_e32 v54, 0x7f, v53
	v_cmpx_ne_u32_e32 0x7f, v54
	s_cbranch_execz .LBB241_255
; %bb.252:                              ;   in Loop: Header=BB241_12 Depth=1
	v_dual_lshrrev_b32 v51, 3, v54 :: v_dual_bitop2_b32 v13, 7, v53 bitop3:0x40
	s_mov_b32 s44, exec_lo
	v_cmpx_gt_u32_e32 8, v54
	s_cbranch_execz .LBB241_254
; %bb.253:                              ;   in Loop: Header=BB241_12 Depth=1
	s_delay_alu instid0(VALU_DEP_2) | instskip(NEXT) | instid1(VALU_DEP_1)
	v_clz_i32_u32_e32 v13, v13
	v_min_u32_e32 v51, 32, v13
	v_mov_b32_e32 v13, v5
	s_delay_alu instid0(VALU_DEP_2) | instskip(SKIP_1) | instid1(VALU_DEP_2)
	v_subrev_nc_u32_e32 v54, 28, v51
	v_sub_nc_u32_e32 v51, 29, v51
	v_lshlrev_b64_e32 v[12:13], v54, v[12:13]
	s_delay_alu instid0(VALU_DEP_1)
	v_and_b32_e32 v13, 7, v12
.LBB241_254:                            ;   in Loop: Header=BB241_12 Depth=1
	s_or_b32 exec_lo, exec_lo, s44
	v_lshlrev_b32_e32 v12, 8, v53
	v_lshl_add_u32 v51, v51, 10, 0x2000
	s_delay_alu instid0(VALU_DEP_3) | instskip(NEXT) | instid1(VALU_DEP_2)
	v_lshlrev_b32_e32 v13, 23, v13
	v_and_or_b32 v12, 0x8000, v12, v51
	s_delay_alu instid0(VALU_DEP_1)
	v_lshl_or_b32 v51, v12, 16, v13
.LBB241_255:                            ;   in Loop: Header=BB241_12 Depth=1
	s_or_b32 exec_lo, exec_lo, s43
.LBB241_256:                            ;   in Loop: Header=BB241_12 Depth=1
	s_delay_alu instid0(SALU_CYCLE_1)
	s_or_b32 exec_lo, exec_lo, s42
.LBB241_257:                            ;   in Loop: Header=BB241_12 Depth=1
	s_delay_alu instid0(SALU_CYCLE_1)
	s_or_b32 exec_lo, exec_lo, s41
	global_load_u16 v12, v[10:11], off offset:904
	v_dual_mov_b32 v53, 0 :: v_dual_mov_b32 v54, 0
	s_mov_b32 s41, exec_lo
	s_wait_loadcnt 0x0
	v_and_b32_e32 v13, 0xff, v12
	v_and_b32_e32 v12, 0xffff, v12
	s_delay_alu instid0(VALU_DEP_2)
	v_cmpx_ne_u16_e32 0, v13
	s_cbranch_execz .LBB241_265
; %bb.258:                              ;   in Loop: Header=BB241_12 Depth=1
	s_delay_alu instid0(VALU_DEP_2) | instskip(SKIP_2) | instid1(VALU_DEP_2)
	v_and_b32_e32 v13, 0xff, v12
	v_mov_b32_e32 v54, 0x8000
	s_mov_b32 s42, exec_lo
	v_cmpx_ne_u16_e32 0x80, v13
	s_cbranch_execz .LBB241_264
; %bb.259:                              ;   in Loop: Header=BB241_12 Depth=1
	v_and_b32_e32 v55, 0x7f, v12
	v_mov_b32_e32 v54, 0x7c01
	s_mov_b32 s43, exec_lo
	s_delay_alu instid0(VALU_DEP_2)
	v_cmpx_ne_u32_e32 0x7f, v55
	s_cbranch_execz .LBB241_263
; %bb.260:                              ;   in Loop: Header=BB241_12 Depth=1
	v_dual_lshrrev_b32 v54, 3, v55 :: v_dual_bitop2_b32 v13, 7, v12 bitop3:0x40
	s_mov_b32 s44, exec_lo
	v_cmpx_gt_u32_e32 8, v55
; %bb.261:                              ;   in Loop: Header=BB241_12 Depth=1
	s_delay_alu instid0(VALU_DEP_2) | instskip(NEXT) | instid1(VALU_DEP_1)
	v_clz_i32_u32_e32 v13, v13
	v_min_u32_e32 v13, 32, v13
	s_delay_alu instid0(VALU_DEP_1) | instskip(NEXT) | instid1(VALU_DEP_1)
	v_subrev_nc_u32_e32 v54, 28, v13
	v_lshlrev_b64_e32 v[56:57], v54, v[12:13]
	s_delay_alu instid0(VALU_DEP_1)
	v_dual_sub_nc_u32 v54, 29, v13 :: v_dual_bitop2_b32 v13, 7, v56 bitop3:0x40
; %bb.262:                              ;   in Loop: Header=BB241_12 Depth=1
	s_or_b32 exec_lo, exec_lo, s44
	s_delay_alu instid0(VALU_DEP_1) | instskip(NEXT) | instid1(VALU_DEP_2)
	v_dual_lshlrev_b32 v55, 8, v12 :: v_dual_lshlrev_b32 v13, 7, v13
	v_lshl_add_u32 v54, v54, 10, 0x2000
	s_delay_alu instid0(VALU_DEP_2) | instskip(NEXT) | instid1(VALU_DEP_2)
	v_and_b32_e32 v55, 0x8000, v55
	v_and_b32_e32 v54, 0xfc00, v54
	s_delay_alu instid0(VALU_DEP_1)
	v_or3_b32 v54, v55, v54, v13
.LBB241_263:                            ;   in Loop: Header=BB241_12 Depth=1
	s_or_b32 exec_lo, exec_lo, s43
.LBB241_264:                            ;   in Loop: Header=BB241_12 Depth=1
	s_delay_alu instid0(SALU_CYCLE_1)
	s_or_b32 exec_lo, exec_lo, s42
.LBB241_265:                            ;   in Loop: Header=BB241_12 Depth=1
	s_delay_alu instid0(SALU_CYCLE_1) | instskip(NEXT) | instid1(VALU_DEP_2)
	s_or_b32 exec_lo, exec_lo, s41
	v_lshrrev_b16 v12, 8, v12
	s_mov_b32 s41, exec_lo
	s_delay_alu instid0(VALU_DEP_1)
	v_cmpx_ne_u16_e32 0, v12
	s_cbranch_execz .LBB241_273
; %bb.266:                              ;   in Loop: Header=BB241_12 Depth=1
	v_bfrev_b32_e32 v53, 1
	s_mov_b32 s42, exec_lo
	v_cmpx_ne_u16_e32 0x80, v12
	s_cbranch_execz .LBB241_272
; %bb.267:                              ;   in Loop: Header=BB241_12 Depth=1
	v_and_b32_e32 v55, 0xffff, v12
	v_mov_b32_e32 v53, 0x7c010000
	s_mov_b32 s43, exec_lo
	s_delay_alu instid0(VALU_DEP_2) | instskip(NEXT) | instid1(VALU_DEP_1)
	v_and_b32_e32 v56, 0x7f, v55
	v_cmpx_ne_u32_e32 0x7f, v56
	s_cbranch_execz .LBB241_271
; %bb.268:                              ;   in Loop: Header=BB241_12 Depth=1
	v_dual_lshrrev_b32 v53, 3, v56 :: v_dual_bitop2_b32 v13, 7, v55 bitop3:0x40
	s_mov_b32 s44, exec_lo
	v_cmpx_gt_u32_e32 8, v56
	s_cbranch_execz .LBB241_270
; %bb.269:                              ;   in Loop: Header=BB241_12 Depth=1
	s_delay_alu instid0(VALU_DEP_2) | instskip(NEXT) | instid1(VALU_DEP_1)
	v_clz_i32_u32_e32 v13, v13
	v_min_u32_e32 v53, 32, v13
	v_mov_b32_e32 v13, v5
	s_delay_alu instid0(VALU_DEP_2) | instskip(SKIP_1) | instid1(VALU_DEP_2)
	v_subrev_nc_u32_e32 v56, 28, v53
	v_sub_nc_u32_e32 v53, 29, v53
	v_lshlrev_b64_e32 v[12:13], v56, v[12:13]
	s_delay_alu instid0(VALU_DEP_1)
	v_and_b32_e32 v13, 7, v12
.LBB241_270:                            ;   in Loop: Header=BB241_12 Depth=1
	s_or_b32 exec_lo, exec_lo, s44
	s_delay_alu instid0(VALU_DEP_1) | instskip(SKIP_1) | instid1(VALU_DEP_1)
	v_dual_lshlrev_b32 v12, 8, v55 :: v_dual_lshlrev_b32 v13, 23, v13
	v_lshl_add_u32 v53, v53, 10, 0x2000
	v_and_or_b32 v12, 0x8000, v12, v53
	s_delay_alu instid0(VALU_DEP_1)
	v_lshl_or_b32 v53, v12, 16, v13
.LBB241_271:                            ;   in Loop: Header=BB241_12 Depth=1
	s_or_b32 exec_lo, exec_lo, s43
.LBB241_272:                            ;   in Loop: Header=BB241_12 Depth=1
	s_delay_alu instid0(SALU_CYCLE_1)
	s_or_b32 exec_lo, exec_lo, s42
.LBB241_273:                            ;   in Loop: Header=BB241_12 Depth=1
	s_delay_alu instid0(SALU_CYCLE_1)
	s_or_b32 exec_lo, exec_lo, s41
	global_load_u16 v12, v[10:11], off offset:1024
	v_dual_mov_b32 v55, 0 :: v_dual_mov_b32 v56, 0
	s_mov_b32 s41, exec_lo
	s_wait_loadcnt 0x0
	v_and_b32_e32 v13, 0xff, v12
	v_and_b32_e32 v12, 0xffff, v12
	s_delay_alu instid0(VALU_DEP_2)
	v_cmpx_ne_u16_e32 0, v13
	s_cbranch_execz .LBB241_281
; %bb.274:                              ;   in Loop: Header=BB241_12 Depth=1
	s_delay_alu instid0(VALU_DEP_2) | instskip(SKIP_2) | instid1(VALU_DEP_2)
	v_and_b32_e32 v13, 0xff, v12
	v_mov_b32_e32 v56, 0x8000
	s_mov_b32 s42, exec_lo
	v_cmpx_ne_u16_e32 0x80, v13
	s_cbranch_execz .LBB241_280
; %bb.275:                              ;   in Loop: Header=BB241_12 Depth=1
	v_and_b32_e32 v57, 0x7f, v12
	v_mov_b32_e32 v56, 0x7c01
	s_mov_b32 s43, exec_lo
	s_delay_alu instid0(VALU_DEP_2)
	v_cmpx_ne_u32_e32 0x7f, v57
	s_cbranch_execz .LBB241_279
; %bb.276:                              ;   in Loop: Header=BB241_12 Depth=1
	v_dual_lshrrev_b32 v56, 3, v57 :: v_dual_bitop2_b32 v13, 7, v12 bitop3:0x40
	s_mov_b32 s44, exec_lo
	v_cmpx_gt_u32_e32 8, v57
; %bb.277:                              ;   in Loop: Header=BB241_12 Depth=1
	s_delay_alu instid0(VALU_DEP_2) | instskip(NEXT) | instid1(VALU_DEP_1)
	v_clz_i32_u32_e32 v13, v13
	v_min_u32_e32 v13, 32, v13
	s_delay_alu instid0(VALU_DEP_1) | instskip(NEXT) | instid1(VALU_DEP_1)
	v_subrev_nc_u32_e32 v56, 28, v13
	v_lshlrev_b64_e32 v[58:59], v56, v[12:13]
	s_delay_alu instid0(VALU_DEP_1)
	v_dual_sub_nc_u32 v56, 29, v13 :: v_dual_bitop2_b32 v13, 7, v58 bitop3:0x40
; %bb.278:                              ;   in Loop: Header=BB241_12 Depth=1
	s_or_b32 exec_lo, exec_lo, s44
	s_delay_alu instid0(VALU_DEP_1) | instskip(NEXT) | instid1(VALU_DEP_2)
	v_dual_lshlrev_b32 v57, 8, v12 :: v_dual_lshlrev_b32 v13, 7, v13
	v_lshl_add_u32 v56, v56, 10, 0x2000
	s_delay_alu instid0(VALU_DEP_2) | instskip(NEXT) | instid1(VALU_DEP_2)
	v_and_b32_e32 v57, 0x8000, v57
	v_and_b32_e32 v56, 0xfc00, v56
	s_delay_alu instid0(VALU_DEP_1)
	v_or3_b32 v56, v57, v56, v13
.LBB241_279:                            ;   in Loop: Header=BB241_12 Depth=1
	s_or_b32 exec_lo, exec_lo, s43
.LBB241_280:                            ;   in Loop: Header=BB241_12 Depth=1
	s_delay_alu instid0(SALU_CYCLE_1)
	s_or_b32 exec_lo, exec_lo, s42
.LBB241_281:                            ;   in Loop: Header=BB241_12 Depth=1
	s_delay_alu instid0(SALU_CYCLE_1) | instskip(NEXT) | instid1(VALU_DEP_2)
	s_or_b32 exec_lo, exec_lo, s41
	v_lshrrev_b16 v12, 8, v12
	s_mov_b32 s41, exec_lo
	s_delay_alu instid0(VALU_DEP_1)
	v_cmpx_ne_u16_e32 0, v12
	s_cbranch_execz .LBB241_289
; %bb.282:                              ;   in Loop: Header=BB241_12 Depth=1
	v_bfrev_b32_e32 v55, 1
	s_mov_b32 s42, exec_lo
	v_cmpx_ne_u16_e32 0x80, v12
	s_cbranch_execz .LBB241_288
; %bb.283:                              ;   in Loop: Header=BB241_12 Depth=1
	v_and_b32_e32 v57, 0xffff, v12
	v_mov_b32_e32 v55, 0x7c010000
	s_mov_b32 s43, exec_lo
	s_delay_alu instid0(VALU_DEP_2) | instskip(NEXT) | instid1(VALU_DEP_1)
	v_and_b32_e32 v58, 0x7f, v57
	v_cmpx_ne_u32_e32 0x7f, v58
	s_cbranch_execz .LBB241_287
; %bb.284:                              ;   in Loop: Header=BB241_12 Depth=1
	v_dual_lshrrev_b32 v55, 3, v58 :: v_dual_bitop2_b32 v13, 7, v57 bitop3:0x40
	s_mov_b32 s44, exec_lo
	v_cmpx_gt_u32_e32 8, v58
	s_cbranch_execz .LBB241_286
; %bb.285:                              ;   in Loop: Header=BB241_12 Depth=1
	s_delay_alu instid0(VALU_DEP_2) | instskip(NEXT) | instid1(VALU_DEP_1)
	v_clz_i32_u32_e32 v13, v13
	v_min_u32_e32 v55, 32, v13
	v_mov_b32_e32 v13, v5
	s_delay_alu instid0(VALU_DEP_2) | instskip(SKIP_1) | instid1(VALU_DEP_2)
	v_subrev_nc_u32_e32 v58, 28, v55
	v_sub_nc_u32_e32 v55, 29, v55
	v_lshlrev_b64_e32 v[12:13], v58, v[12:13]
	s_delay_alu instid0(VALU_DEP_1)
	v_and_b32_e32 v13, 7, v12
.LBB241_286:                            ;   in Loop: Header=BB241_12 Depth=1
	s_or_b32 exec_lo, exec_lo, s44
	v_lshlrev_b32_e32 v12, 8, v57
	v_lshl_add_u32 v55, v55, 10, 0x2000
	s_delay_alu instid0(VALU_DEP_3) | instskip(NEXT) | instid1(VALU_DEP_2)
	v_lshlrev_b32_e32 v13, 23, v13
	v_and_or_b32 v12, 0x8000, v12, v55
	s_delay_alu instid0(VALU_DEP_1)
	v_lshl_or_b32 v55, v12, 16, v13
.LBB241_287:                            ;   in Loop: Header=BB241_12 Depth=1
	s_or_b32 exec_lo, exec_lo, s43
.LBB241_288:                            ;   in Loop: Header=BB241_12 Depth=1
	s_delay_alu instid0(SALU_CYCLE_1)
	s_or_b32 exec_lo, exec_lo, s42
.LBB241_289:                            ;   in Loop: Header=BB241_12 Depth=1
	s_delay_alu instid0(SALU_CYCLE_1)
	s_or_b32 exec_lo, exec_lo, s41
	global_load_u16 v12, v[10:11], off offset:1032
	v_dual_mov_b32 v57, 0 :: v_dual_mov_b32 v58, 0
	s_mov_b32 s41, exec_lo
	s_wait_loadcnt 0x0
	v_and_b32_e32 v13, 0xff, v12
	v_and_b32_e32 v12, 0xffff, v12
	s_delay_alu instid0(VALU_DEP_2)
	v_cmpx_ne_u16_e32 0, v13
	s_cbranch_execz .LBB241_297
; %bb.290:                              ;   in Loop: Header=BB241_12 Depth=1
	s_delay_alu instid0(VALU_DEP_2) | instskip(SKIP_2) | instid1(VALU_DEP_2)
	v_and_b32_e32 v13, 0xff, v12
	v_mov_b32_e32 v58, 0x8000
	s_mov_b32 s42, exec_lo
	v_cmpx_ne_u16_e32 0x80, v13
	s_cbranch_execz .LBB241_296
; %bb.291:                              ;   in Loop: Header=BB241_12 Depth=1
	v_and_b32_e32 v59, 0x7f, v12
	v_mov_b32_e32 v58, 0x7c01
	s_mov_b32 s43, exec_lo
	s_delay_alu instid0(VALU_DEP_2)
	v_cmpx_ne_u32_e32 0x7f, v59
	s_cbranch_execz .LBB241_295
; %bb.292:                              ;   in Loop: Header=BB241_12 Depth=1
	v_dual_lshrrev_b32 v58, 3, v59 :: v_dual_bitop2_b32 v13, 7, v12 bitop3:0x40
	s_mov_b32 s44, exec_lo
	v_cmpx_gt_u32_e32 8, v59
; %bb.293:                              ;   in Loop: Header=BB241_12 Depth=1
	s_delay_alu instid0(VALU_DEP_2) | instskip(NEXT) | instid1(VALU_DEP_1)
	v_clz_i32_u32_e32 v13, v13
	v_min_u32_e32 v13, 32, v13
	s_delay_alu instid0(VALU_DEP_1) | instskip(NEXT) | instid1(VALU_DEP_1)
	v_subrev_nc_u32_e32 v58, 28, v13
	v_lshlrev_b64_e32 v[60:61], v58, v[12:13]
	s_delay_alu instid0(VALU_DEP_1)
	v_dual_sub_nc_u32 v58, 29, v13 :: v_dual_bitop2_b32 v13, 7, v60 bitop3:0x40
; %bb.294:                              ;   in Loop: Header=BB241_12 Depth=1
	s_or_b32 exec_lo, exec_lo, s44
	s_delay_alu instid0(VALU_DEP_1) | instskip(NEXT) | instid1(VALU_DEP_2)
	v_dual_lshlrev_b32 v59, 8, v12 :: v_dual_lshlrev_b32 v13, 7, v13
	v_lshl_add_u32 v58, v58, 10, 0x2000
	s_delay_alu instid0(VALU_DEP_2) | instskip(NEXT) | instid1(VALU_DEP_2)
	v_and_b32_e32 v59, 0x8000, v59
	v_and_b32_e32 v58, 0xfc00, v58
	s_delay_alu instid0(VALU_DEP_1)
	v_or3_b32 v58, v59, v58, v13
.LBB241_295:                            ;   in Loop: Header=BB241_12 Depth=1
	s_or_b32 exec_lo, exec_lo, s43
.LBB241_296:                            ;   in Loop: Header=BB241_12 Depth=1
	s_delay_alu instid0(SALU_CYCLE_1)
	s_or_b32 exec_lo, exec_lo, s42
.LBB241_297:                            ;   in Loop: Header=BB241_12 Depth=1
	s_delay_alu instid0(SALU_CYCLE_1) | instskip(NEXT) | instid1(VALU_DEP_2)
	s_or_b32 exec_lo, exec_lo, s41
	v_lshrrev_b16 v12, 8, v12
	s_mov_b32 s41, exec_lo
	s_delay_alu instid0(VALU_DEP_1)
	v_cmpx_ne_u16_e32 0, v12
	s_cbranch_execz .LBB241_305
; %bb.298:                              ;   in Loop: Header=BB241_12 Depth=1
	v_bfrev_b32_e32 v57, 1
	s_mov_b32 s42, exec_lo
	v_cmpx_ne_u16_e32 0x80, v12
	s_cbranch_execz .LBB241_304
; %bb.299:                              ;   in Loop: Header=BB241_12 Depth=1
	v_and_b32_e32 v59, 0xffff, v12
	v_mov_b32_e32 v57, 0x7c010000
	s_mov_b32 s43, exec_lo
	s_delay_alu instid0(VALU_DEP_2) | instskip(NEXT) | instid1(VALU_DEP_1)
	v_and_b32_e32 v60, 0x7f, v59
	v_cmpx_ne_u32_e32 0x7f, v60
	s_cbranch_execz .LBB241_303
; %bb.300:                              ;   in Loop: Header=BB241_12 Depth=1
	v_dual_lshrrev_b32 v57, 3, v60 :: v_dual_bitop2_b32 v13, 7, v59 bitop3:0x40
	s_mov_b32 s44, exec_lo
	v_cmpx_gt_u32_e32 8, v60
	s_cbranch_execz .LBB241_302
; %bb.301:                              ;   in Loop: Header=BB241_12 Depth=1
	s_delay_alu instid0(VALU_DEP_2) | instskip(NEXT) | instid1(VALU_DEP_1)
	v_clz_i32_u32_e32 v13, v13
	v_min_u32_e32 v57, 32, v13
	v_mov_b32_e32 v13, v5
	s_delay_alu instid0(VALU_DEP_2) | instskip(SKIP_1) | instid1(VALU_DEP_2)
	v_subrev_nc_u32_e32 v60, 28, v57
	v_sub_nc_u32_e32 v57, 29, v57
	v_lshlrev_b64_e32 v[12:13], v60, v[12:13]
	s_delay_alu instid0(VALU_DEP_1)
	v_and_b32_e32 v13, 7, v12
.LBB241_302:                            ;   in Loop: Header=BB241_12 Depth=1
	s_or_b32 exec_lo, exec_lo, s44
	s_delay_alu instid0(VALU_DEP_1) | instskip(SKIP_1) | instid1(VALU_DEP_1)
	v_dual_lshlrev_b32 v12, 8, v59 :: v_dual_lshlrev_b32 v13, 23, v13
	v_lshl_add_u32 v57, v57, 10, 0x2000
	v_and_or_b32 v12, 0x8000, v12, v57
	s_delay_alu instid0(VALU_DEP_1)
	v_lshl_or_b32 v57, v12, 16, v13
.LBB241_303:                            ;   in Loop: Header=BB241_12 Depth=1
	s_or_b32 exec_lo, exec_lo, s43
.LBB241_304:                            ;   in Loop: Header=BB241_12 Depth=1
	s_delay_alu instid0(SALU_CYCLE_1)
	s_or_b32 exec_lo, exec_lo, s42
.LBB241_305:                            ;   in Loop: Header=BB241_12 Depth=1
	s_delay_alu instid0(SALU_CYCLE_1)
	s_or_b32 exec_lo, exec_lo, s41
	global_load_u16 v12, v[10:11], off offset:1152
	v_dual_mov_b32 v59, 0 :: v_dual_mov_b32 v60, 0
	s_mov_b32 s41, exec_lo
	s_wait_loadcnt 0x0
	v_and_b32_e32 v13, 0xff, v12
	v_and_b32_e32 v12, 0xffff, v12
	s_delay_alu instid0(VALU_DEP_2)
	v_cmpx_ne_u16_e32 0, v13
	s_cbranch_execz .LBB241_313
; %bb.306:                              ;   in Loop: Header=BB241_12 Depth=1
	s_delay_alu instid0(VALU_DEP_2) | instskip(SKIP_2) | instid1(VALU_DEP_2)
	v_and_b32_e32 v13, 0xff, v12
	v_mov_b32_e32 v60, 0x8000
	s_mov_b32 s42, exec_lo
	v_cmpx_ne_u16_e32 0x80, v13
	s_cbranch_execz .LBB241_312
; %bb.307:                              ;   in Loop: Header=BB241_12 Depth=1
	v_and_b32_e32 v61, 0x7f, v12
	v_mov_b32_e32 v60, 0x7c01
	s_mov_b32 s43, exec_lo
	s_delay_alu instid0(VALU_DEP_2)
	v_cmpx_ne_u32_e32 0x7f, v61
	s_cbranch_execz .LBB241_311
; %bb.308:                              ;   in Loop: Header=BB241_12 Depth=1
	v_dual_lshrrev_b32 v60, 3, v61 :: v_dual_bitop2_b32 v13, 7, v12 bitop3:0x40
	s_mov_b32 s44, exec_lo
	v_cmpx_gt_u32_e32 8, v61
; %bb.309:                              ;   in Loop: Header=BB241_12 Depth=1
	s_delay_alu instid0(VALU_DEP_2) | instskip(NEXT) | instid1(VALU_DEP_1)
	v_clz_i32_u32_e32 v13, v13
	v_min_u32_e32 v13, 32, v13
	s_delay_alu instid0(VALU_DEP_1) | instskip(NEXT) | instid1(VALU_DEP_1)
	v_subrev_nc_u32_e32 v60, 28, v13
	v_lshlrev_b64_e32 v[62:63], v60, v[12:13]
	s_delay_alu instid0(VALU_DEP_1)
	v_dual_sub_nc_u32 v60, 29, v13 :: v_dual_bitop2_b32 v13, 7, v62 bitop3:0x40
; %bb.310:                              ;   in Loop: Header=BB241_12 Depth=1
	s_or_b32 exec_lo, exec_lo, s44
	s_delay_alu instid0(VALU_DEP_1) | instskip(NEXT) | instid1(VALU_DEP_2)
	v_dual_lshlrev_b32 v61, 8, v12 :: v_dual_lshlrev_b32 v13, 7, v13
	v_lshl_add_u32 v60, v60, 10, 0x2000
	s_delay_alu instid0(VALU_DEP_2) | instskip(NEXT) | instid1(VALU_DEP_2)
	v_and_b32_e32 v61, 0x8000, v61
	v_and_b32_e32 v60, 0xfc00, v60
	s_delay_alu instid0(VALU_DEP_1)
	v_or3_b32 v60, v61, v60, v13
.LBB241_311:                            ;   in Loop: Header=BB241_12 Depth=1
	s_or_b32 exec_lo, exec_lo, s43
.LBB241_312:                            ;   in Loop: Header=BB241_12 Depth=1
	s_delay_alu instid0(SALU_CYCLE_1)
	s_or_b32 exec_lo, exec_lo, s42
.LBB241_313:                            ;   in Loop: Header=BB241_12 Depth=1
	s_delay_alu instid0(SALU_CYCLE_1) | instskip(NEXT) | instid1(VALU_DEP_2)
	s_or_b32 exec_lo, exec_lo, s41
	v_lshrrev_b16 v12, 8, v12
	s_mov_b32 s41, exec_lo
	s_delay_alu instid0(VALU_DEP_1)
	v_cmpx_ne_u16_e32 0, v12
	s_cbranch_execz .LBB241_321
; %bb.314:                              ;   in Loop: Header=BB241_12 Depth=1
	v_bfrev_b32_e32 v59, 1
	s_mov_b32 s42, exec_lo
	v_cmpx_ne_u16_e32 0x80, v12
	s_cbranch_execz .LBB241_320
; %bb.315:                              ;   in Loop: Header=BB241_12 Depth=1
	v_and_b32_e32 v61, 0xffff, v12
	v_mov_b32_e32 v59, 0x7c010000
	s_mov_b32 s43, exec_lo
	s_delay_alu instid0(VALU_DEP_2) | instskip(NEXT) | instid1(VALU_DEP_1)
	v_and_b32_e32 v62, 0x7f, v61
	v_cmpx_ne_u32_e32 0x7f, v62
	s_cbranch_execz .LBB241_319
; %bb.316:                              ;   in Loop: Header=BB241_12 Depth=1
	v_dual_lshrrev_b32 v59, 3, v62 :: v_dual_bitop2_b32 v13, 7, v61 bitop3:0x40
	s_mov_b32 s44, exec_lo
	v_cmpx_gt_u32_e32 8, v62
	s_cbranch_execz .LBB241_318
; %bb.317:                              ;   in Loop: Header=BB241_12 Depth=1
	s_delay_alu instid0(VALU_DEP_2) | instskip(NEXT) | instid1(VALU_DEP_1)
	v_clz_i32_u32_e32 v13, v13
	v_min_u32_e32 v59, 32, v13
	v_mov_b32_e32 v13, v5
	s_delay_alu instid0(VALU_DEP_2) | instskip(SKIP_1) | instid1(VALU_DEP_2)
	v_subrev_nc_u32_e32 v62, 28, v59
	v_sub_nc_u32_e32 v59, 29, v59
	v_lshlrev_b64_e32 v[12:13], v62, v[12:13]
	s_delay_alu instid0(VALU_DEP_1)
	v_and_b32_e32 v13, 7, v12
.LBB241_318:                            ;   in Loop: Header=BB241_12 Depth=1
	s_or_b32 exec_lo, exec_lo, s44
	v_lshlrev_b32_e32 v12, 8, v61
	v_lshl_add_u32 v59, v59, 10, 0x2000
	s_delay_alu instid0(VALU_DEP_3) | instskip(NEXT) | instid1(VALU_DEP_2)
	v_lshlrev_b32_e32 v13, 23, v13
	v_and_or_b32 v12, 0x8000, v12, v59
	s_delay_alu instid0(VALU_DEP_1)
	v_lshl_or_b32 v59, v12, 16, v13
.LBB241_319:                            ;   in Loop: Header=BB241_12 Depth=1
	s_or_b32 exec_lo, exec_lo, s43
.LBB241_320:                            ;   in Loop: Header=BB241_12 Depth=1
	s_delay_alu instid0(SALU_CYCLE_1)
	s_or_b32 exec_lo, exec_lo, s42
.LBB241_321:                            ;   in Loop: Header=BB241_12 Depth=1
	s_delay_alu instid0(SALU_CYCLE_1)
	s_or_b32 exec_lo, exec_lo, s41
	global_load_u16 v12, v[10:11], off offset:1160
	v_dual_mov_b32 v61, 0 :: v_dual_mov_b32 v62, 0
	s_mov_b32 s41, exec_lo
	s_wait_loadcnt 0x0
	v_and_b32_e32 v13, 0xff, v12
	v_and_b32_e32 v12, 0xffff, v12
	s_delay_alu instid0(VALU_DEP_2)
	v_cmpx_ne_u16_e32 0, v13
	s_cbranch_execz .LBB241_329
; %bb.322:                              ;   in Loop: Header=BB241_12 Depth=1
	s_delay_alu instid0(VALU_DEP_2) | instskip(SKIP_2) | instid1(VALU_DEP_2)
	v_and_b32_e32 v13, 0xff, v12
	v_mov_b32_e32 v62, 0x8000
	s_mov_b32 s42, exec_lo
	v_cmpx_ne_u16_e32 0x80, v13
	s_cbranch_execz .LBB241_328
; %bb.323:                              ;   in Loop: Header=BB241_12 Depth=1
	v_and_b32_e32 v63, 0x7f, v12
	v_mov_b32_e32 v62, 0x7c01
	s_mov_b32 s43, exec_lo
	s_delay_alu instid0(VALU_DEP_2)
	v_cmpx_ne_u32_e32 0x7f, v63
	s_cbranch_execz .LBB241_327
; %bb.324:                              ;   in Loop: Header=BB241_12 Depth=1
	v_dual_lshrrev_b32 v62, 3, v63 :: v_dual_bitop2_b32 v13, 7, v12 bitop3:0x40
	s_mov_b32 s44, exec_lo
	v_cmpx_gt_u32_e32 8, v63
; %bb.325:                              ;   in Loop: Header=BB241_12 Depth=1
	s_delay_alu instid0(VALU_DEP_2) | instskip(NEXT) | instid1(VALU_DEP_1)
	v_clz_i32_u32_e32 v13, v13
	v_min_u32_e32 v13, 32, v13
	s_delay_alu instid0(VALU_DEP_1) | instskip(NEXT) | instid1(VALU_DEP_1)
	v_subrev_nc_u32_e32 v62, 28, v13
	v_lshlrev_b64_e32 v[64:65], v62, v[12:13]
	s_delay_alu instid0(VALU_DEP_1)
	v_dual_sub_nc_u32 v62, 29, v13 :: v_dual_bitop2_b32 v13, 7, v64 bitop3:0x40
; %bb.326:                              ;   in Loop: Header=BB241_12 Depth=1
	s_or_b32 exec_lo, exec_lo, s44
	s_delay_alu instid0(VALU_DEP_1) | instskip(NEXT) | instid1(VALU_DEP_2)
	v_dual_lshlrev_b32 v63, 8, v12 :: v_dual_lshlrev_b32 v13, 7, v13
	v_lshl_add_u32 v62, v62, 10, 0x2000
	s_delay_alu instid0(VALU_DEP_2) | instskip(NEXT) | instid1(VALU_DEP_2)
	v_and_b32_e32 v63, 0x8000, v63
	v_and_b32_e32 v62, 0xfc00, v62
	s_delay_alu instid0(VALU_DEP_1)
	v_or3_b32 v62, v63, v62, v13
.LBB241_327:                            ;   in Loop: Header=BB241_12 Depth=1
	s_or_b32 exec_lo, exec_lo, s43
.LBB241_328:                            ;   in Loop: Header=BB241_12 Depth=1
	s_delay_alu instid0(SALU_CYCLE_1)
	s_or_b32 exec_lo, exec_lo, s42
.LBB241_329:                            ;   in Loop: Header=BB241_12 Depth=1
	s_delay_alu instid0(SALU_CYCLE_1) | instskip(NEXT) | instid1(VALU_DEP_2)
	s_or_b32 exec_lo, exec_lo, s41
	v_lshrrev_b16 v12, 8, v12
	s_mov_b32 s41, exec_lo
	s_delay_alu instid0(VALU_DEP_1)
	v_cmpx_ne_u16_e32 0, v12
	s_cbranch_execz .LBB241_337
; %bb.330:                              ;   in Loop: Header=BB241_12 Depth=1
	v_bfrev_b32_e32 v61, 1
	s_mov_b32 s42, exec_lo
	v_cmpx_ne_u16_e32 0x80, v12
	s_cbranch_execz .LBB241_336
; %bb.331:                              ;   in Loop: Header=BB241_12 Depth=1
	v_and_b32_e32 v63, 0xffff, v12
	v_mov_b32_e32 v61, 0x7c010000
	s_mov_b32 s43, exec_lo
	s_delay_alu instid0(VALU_DEP_2) | instskip(NEXT) | instid1(VALU_DEP_1)
	v_and_b32_e32 v64, 0x7f, v63
	v_cmpx_ne_u32_e32 0x7f, v64
	s_cbranch_execz .LBB241_335
; %bb.332:                              ;   in Loop: Header=BB241_12 Depth=1
	v_dual_lshrrev_b32 v61, 3, v64 :: v_dual_bitop2_b32 v13, 7, v63 bitop3:0x40
	s_mov_b32 s44, exec_lo
	v_cmpx_gt_u32_e32 8, v64
	s_cbranch_execz .LBB241_334
; %bb.333:                              ;   in Loop: Header=BB241_12 Depth=1
	s_delay_alu instid0(VALU_DEP_2) | instskip(NEXT) | instid1(VALU_DEP_1)
	v_clz_i32_u32_e32 v13, v13
	v_min_u32_e32 v61, 32, v13
	v_mov_b32_e32 v13, v5
	s_delay_alu instid0(VALU_DEP_2) | instskip(SKIP_1) | instid1(VALU_DEP_2)
	v_subrev_nc_u32_e32 v64, 28, v61
	v_sub_nc_u32_e32 v61, 29, v61
	v_lshlrev_b64_e32 v[12:13], v64, v[12:13]
	s_delay_alu instid0(VALU_DEP_1)
	v_and_b32_e32 v13, 7, v12
.LBB241_334:                            ;   in Loop: Header=BB241_12 Depth=1
	s_or_b32 exec_lo, exec_lo, s44
	s_delay_alu instid0(VALU_DEP_1) | instskip(SKIP_1) | instid1(VALU_DEP_1)
	v_dual_lshlrev_b32 v12, 8, v63 :: v_dual_lshlrev_b32 v13, 23, v13
	v_lshl_add_u32 v61, v61, 10, 0x2000
	v_and_or_b32 v12, 0x8000, v12, v61
	s_delay_alu instid0(VALU_DEP_1)
	v_lshl_or_b32 v61, v12, 16, v13
.LBB241_335:                            ;   in Loop: Header=BB241_12 Depth=1
	s_or_b32 exec_lo, exec_lo, s43
.LBB241_336:                            ;   in Loop: Header=BB241_12 Depth=1
	s_delay_alu instid0(SALU_CYCLE_1)
	s_or_b32 exec_lo, exec_lo, s42
.LBB241_337:                            ;   in Loop: Header=BB241_12 Depth=1
	s_delay_alu instid0(SALU_CYCLE_1)
	s_or_b32 exec_lo, exec_lo, s41
	global_load_u16 v12, v[10:11], off offset:1280
	v_dual_mov_b32 v63, 0 :: v_dual_mov_b32 v64, 0
	s_mov_b32 s41, exec_lo
	s_wait_loadcnt 0x0
	v_and_b32_e32 v13, 0xff, v12
	v_and_b32_e32 v12, 0xffff, v12
	s_delay_alu instid0(VALU_DEP_2)
	v_cmpx_ne_u16_e32 0, v13
	s_cbranch_execz .LBB241_345
; %bb.338:                              ;   in Loop: Header=BB241_12 Depth=1
	s_delay_alu instid0(VALU_DEP_2) | instskip(SKIP_2) | instid1(VALU_DEP_2)
	v_and_b32_e32 v13, 0xff, v12
	v_mov_b32_e32 v64, 0x8000
	s_mov_b32 s42, exec_lo
	v_cmpx_ne_u16_e32 0x80, v13
	s_cbranch_execz .LBB241_344
; %bb.339:                              ;   in Loop: Header=BB241_12 Depth=1
	v_and_b32_e32 v65, 0x7f, v12
	v_mov_b32_e32 v64, 0x7c01
	s_mov_b32 s43, exec_lo
	s_delay_alu instid0(VALU_DEP_2)
	v_cmpx_ne_u32_e32 0x7f, v65
	s_cbranch_execz .LBB241_343
; %bb.340:                              ;   in Loop: Header=BB241_12 Depth=1
	v_dual_lshrrev_b32 v64, 3, v65 :: v_dual_bitop2_b32 v13, 7, v12 bitop3:0x40
	s_mov_b32 s44, exec_lo
	v_cmpx_gt_u32_e32 8, v65
; %bb.341:                              ;   in Loop: Header=BB241_12 Depth=1
	s_delay_alu instid0(VALU_DEP_2) | instskip(NEXT) | instid1(VALU_DEP_1)
	v_clz_i32_u32_e32 v13, v13
	v_min_u32_e32 v13, 32, v13
	s_delay_alu instid0(VALU_DEP_1) | instskip(NEXT) | instid1(VALU_DEP_1)
	v_subrev_nc_u32_e32 v64, 28, v13
	v_lshlrev_b64_e32 v[66:67], v64, v[12:13]
	s_delay_alu instid0(VALU_DEP_1)
	v_dual_sub_nc_u32 v64, 29, v13 :: v_dual_bitop2_b32 v13, 7, v66 bitop3:0x40
; %bb.342:                              ;   in Loop: Header=BB241_12 Depth=1
	s_or_b32 exec_lo, exec_lo, s44
	s_delay_alu instid0(VALU_DEP_1) | instskip(NEXT) | instid1(VALU_DEP_2)
	v_dual_lshlrev_b32 v65, 8, v12 :: v_dual_lshlrev_b32 v13, 7, v13
	v_lshl_add_u32 v64, v64, 10, 0x2000
	s_delay_alu instid0(VALU_DEP_2) | instskip(NEXT) | instid1(VALU_DEP_2)
	v_and_b32_e32 v65, 0x8000, v65
	v_and_b32_e32 v64, 0xfc00, v64
	s_delay_alu instid0(VALU_DEP_1)
	v_or3_b32 v64, v65, v64, v13
.LBB241_343:                            ;   in Loop: Header=BB241_12 Depth=1
	s_or_b32 exec_lo, exec_lo, s43
.LBB241_344:                            ;   in Loop: Header=BB241_12 Depth=1
	s_delay_alu instid0(SALU_CYCLE_1)
	s_or_b32 exec_lo, exec_lo, s42
.LBB241_345:                            ;   in Loop: Header=BB241_12 Depth=1
	s_delay_alu instid0(SALU_CYCLE_1) | instskip(NEXT) | instid1(VALU_DEP_2)
	s_or_b32 exec_lo, exec_lo, s41
	v_lshrrev_b16 v12, 8, v12
	s_mov_b32 s41, exec_lo
	s_delay_alu instid0(VALU_DEP_1)
	v_cmpx_ne_u16_e32 0, v12
	s_cbranch_execz .LBB241_353
; %bb.346:                              ;   in Loop: Header=BB241_12 Depth=1
	v_bfrev_b32_e32 v63, 1
	s_mov_b32 s42, exec_lo
	v_cmpx_ne_u16_e32 0x80, v12
	s_cbranch_execz .LBB241_352
; %bb.347:                              ;   in Loop: Header=BB241_12 Depth=1
	v_and_b32_e32 v65, 0xffff, v12
	v_mov_b32_e32 v63, 0x7c010000
	s_mov_b32 s43, exec_lo
	s_delay_alu instid0(VALU_DEP_2) | instskip(NEXT) | instid1(VALU_DEP_1)
	v_and_b32_e32 v66, 0x7f, v65
	v_cmpx_ne_u32_e32 0x7f, v66
	s_cbranch_execz .LBB241_351
; %bb.348:                              ;   in Loop: Header=BB241_12 Depth=1
	v_dual_lshrrev_b32 v63, 3, v66 :: v_dual_bitop2_b32 v13, 7, v65 bitop3:0x40
	s_mov_b32 s44, exec_lo
	v_cmpx_gt_u32_e32 8, v66
	s_cbranch_execz .LBB241_350
; %bb.349:                              ;   in Loop: Header=BB241_12 Depth=1
	s_delay_alu instid0(VALU_DEP_2) | instskip(NEXT) | instid1(VALU_DEP_1)
	v_clz_i32_u32_e32 v13, v13
	v_min_u32_e32 v63, 32, v13
	v_mov_b32_e32 v13, v5
	s_delay_alu instid0(VALU_DEP_2) | instskip(SKIP_1) | instid1(VALU_DEP_2)
	v_subrev_nc_u32_e32 v66, 28, v63
	v_sub_nc_u32_e32 v63, 29, v63
	v_lshlrev_b64_e32 v[12:13], v66, v[12:13]
	s_delay_alu instid0(VALU_DEP_1)
	v_and_b32_e32 v13, 7, v12
.LBB241_350:                            ;   in Loop: Header=BB241_12 Depth=1
	s_or_b32 exec_lo, exec_lo, s44
	v_lshlrev_b32_e32 v12, 8, v65
	v_lshl_add_u32 v63, v63, 10, 0x2000
	s_delay_alu instid0(VALU_DEP_3) | instskip(NEXT) | instid1(VALU_DEP_2)
	v_lshlrev_b32_e32 v13, 23, v13
	v_and_or_b32 v12, 0x8000, v12, v63
	s_delay_alu instid0(VALU_DEP_1)
	v_lshl_or_b32 v63, v12, 16, v13
.LBB241_351:                            ;   in Loop: Header=BB241_12 Depth=1
	s_or_b32 exec_lo, exec_lo, s43
.LBB241_352:                            ;   in Loop: Header=BB241_12 Depth=1
	s_delay_alu instid0(SALU_CYCLE_1)
	s_or_b32 exec_lo, exec_lo, s42
.LBB241_353:                            ;   in Loop: Header=BB241_12 Depth=1
	s_delay_alu instid0(SALU_CYCLE_1)
	s_or_b32 exec_lo, exec_lo, s41
	global_load_u16 v12, v[10:11], off offset:1288
	v_dual_mov_b32 v65, 0 :: v_dual_mov_b32 v66, 0
	s_mov_b32 s41, exec_lo
	s_wait_loadcnt 0x0
	v_and_b32_e32 v13, 0xff, v12
	v_and_b32_e32 v12, 0xffff, v12
	s_delay_alu instid0(VALU_DEP_2)
	v_cmpx_ne_u16_e32 0, v13
	s_cbranch_execz .LBB241_361
; %bb.354:                              ;   in Loop: Header=BB241_12 Depth=1
	s_delay_alu instid0(VALU_DEP_2) | instskip(SKIP_2) | instid1(VALU_DEP_2)
	v_and_b32_e32 v13, 0xff, v12
	v_mov_b32_e32 v66, 0x8000
	s_mov_b32 s42, exec_lo
	v_cmpx_ne_u16_e32 0x80, v13
	s_cbranch_execz .LBB241_360
; %bb.355:                              ;   in Loop: Header=BB241_12 Depth=1
	v_and_b32_e32 v67, 0x7f, v12
	v_mov_b32_e32 v66, 0x7c01
	s_mov_b32 s43, exec_lo
	s_delay_alu instid0(VALU_DEP_2)
	v_cmpx_ne_u32_e32 0x7f, v67
	s_cbranch_execz .LBB241_359
; %bb.356:                              ;   in Loop: Header=BB241_12 Depth=1
	v_dual_lshrrev_b32 v66, 3, v67 :: v_dual_bitop2_b32 v13, 7, v12 bitop3:0x40
	s_mov_b32 s44, exec_lo
	v_cmpx_gt_u32_e32 8, v67
; %bb.357:                              ;   in Loop: Header=BB241_12 Depth=1
	s_delay_alu instid0(VALU_DEP_2) | instskip(NEXT) | instid1(VALU_DEP_1)
	v_clz_i32_u32_e32 v13, v13
	v_min_u32_e32 v13, 32, v13
	s_delay_alu instid0(VALU_DEP_1) | instskip(NEXT) | instid1(VALU_DEP_1)
	v_subrev_nc_u32_e32 v66, 28, v13
	v_lshlrev_b64_e32 v[68:69], v66, v[12:13]
	s_delay_alu instid0(VALU_DEP_1)
	v_dual_sub_nc_u32 v66, 29, v13 :: v_dual_bitop2_b32 v13, 7, v68 bitop3:0x40
; %bb.358:                              ;   in Loop: Header=BB241_12 Depth=1
	s_or_b32 exec_lo, exec_lo, s44
	s_delay_alu instid0(VALU_DEP_1) | instskip(NEXT) | instid1(VALU_DEP_2)
	v_dual_lshlrev_b32 v67, 8, v12 :: v_dual_lshlrev_b32 v13, 7, v13
	v_lshl_add_u32 v66, v66, 10, 0x2000
	s_delay_alu instid0(VALU_DEP_2) | instskip(NEXT) | instid1(VALU_DEP_2)
	v_and_b32_e32 v67, 0x8000, v67
	v_and_b32_e32 v66, 0xfc00, v66
	s_delay_alu instid0(VALU_DEP_1)
	v_or3_b32 v66, v67, v66, v13
.LBB241_359:                            ;   in Loop: Header=BB241_12 Depth=1
	s_or_b32 exec_lo, exec_lo, s43
.LBB241_360:                            ;   in Loop: Header=BB241_12 Depth=1
	s_delay_alu instid0(SALU_CYCLE_1)
	s_or_b32 exec_lo, exec_lo, s42
.LBB241_361:                            ;   in Loop: Header=BB241_12 Depth=1
	s_delay_alu instid0(SALU_CYCLE_1) | instskip(NEXT) | instid1(VALU_DEP_2)
	s_or_b32 exec_lo, exec_lo, s41
	v_lshrrev_b16 v12, 8, v12
	s_mov_b32 s41, exec_lo
	s_delay_alu instid0(VALU_DEP_1)
	v_cmpx_ne_u16_e32 0, v12
	s_cbranch_execz .LBB241_369
; %bb.362:                              ;   in Loop: Header=BB241_12 Depth=1
	v_bfrev_b32_e32 v65, 1
	s_mov_b32 s42, exec_lo
	v_cmpx_ne_u16_e32 0x80, v12
	s_cbranch_execz .LBB241_368
; %bb.363:                              ;   in Loop: Header=BB241_12 Depth=1
	v_and_b32_e32 v67, 0xffff, v12
	v_mov_b32_e32 v65, 0x7c010000
	s_mov_b32 s43, exec_lo
	s_delay_alu instid0(VALU_DEP_2) | instskip(NEXT) | instid1(VALU_DEP_1)
	v_and_b32_e32 v68, 0x7f, v67
	v_cmpx_ne_u32_e32 0x7f, v68
	s_cbranch_execz .LBB241_367
; %bb.364:                              ;   in Loop: Header=BB241_12 Depth=1
	v_dual_lshrrev_b32 v65, 3, v68 :: v_dual_bitop2_b32 v13, 7, v67 bitop3:0x40
	s_mov_b32 s44, exec_lo
	v_cmpx_gt_u32_e32 8, v68
	s_cbranch_execz .LBB241_366
; %bb.365:                              ;   in Loop: Header=BB241_12 Depth=1
	s_delay_alu instid0(VALU_DEP_2) | instskip(NEXT) | instid1(VALU_DEP_1)
	v_clz_i32_u32_e32 v13, v13
	v_min_u32_e32 v65, 32, v13
	v_mov_b32_e32 v13, v5
	s_delay_alu instid0(VALU_DEP_2) | instskip(SKIP_1) | instid1(VALU_DEP_2)
	v_subrev_nc_u32_e32 v68, 28, v65
	v_sub_nc_u32_e32 v65, 29, v65
	v_lshlrev_b64_e32 v[12:13], v68, v[12:13]
	s_delay_alu instid0(VALU_DEP_1)
	v_and_b32_e32 v13, 7, v12
.LBB241_366:                            ;   in Loop: Header=BB241_12 Depth=1
	s_or_b32 exec_lo, exec_lo, s44
	s_delay_alu instid0(VALU_DEP_1) | instskip(SKIP_1) | instid1(VALU_DEP_1)
	v_dual_lshlrev_b32 v12, 8, v67 :: v_dual_lshlrev_b32 v13, 23, v13
	v_lshl_add_u32 v65, v65, 10, 0x2000
	v_and_or_b32 v12, 0x8000, v12, v65
	s_delay_alu instid0(VALU_DEP_1)
	v_lshl_or_b32 v65, v12, 16, v13
.LBB241_367:                            ;   in Loop: Header=BB241_12 Depth=1
	s_or_b32 exec_lo, exec_lo, s43
.LBB241_368:                            ;   in Loop: Header=BB241_12 Depth=1
	s_delay_alu instid0(SALU_CYCLE_1)
	s_or_b32 exec_lo, exec_lo, s42
.LBB241_369:                            ;   in Loop: Header=BB241_12 Depth=1
	s_delay_alu instid0(SALU_CYCLE_1)
	s_or_b32 exec_lo, exec_lo, s41
	global_load_u16 v12, v[10:11], off offset:1408
	v_mov_b32_e32 v13, 0
	s_wait_loadcnt 0x0
	v_and_b32_e32 v67, 0xff, v12
	v_and_b32_e32 v12, 0xffff, v12
	s_delay_alu instid0(VALU_DEP_2)
	v_cmp_ne_u16_e64 s4, 0, v67
	v_mov_b32_e32 v67, 0
	s_and_saveexec_b32 s41, s4
	s_cbranch_execz .LBB241_377
; %bb.370:                              ;   in Loop: Header=BB241_12 Depth=1
	v_and_b32_e32 v67, 0xff, v12
	s_delay_alu instid0(VALU_DEP_1)
	v_cmp_ne_u16_e64 s4, 0x80, v67
	v_mov_b32_e32 v67, 0x8000
	s_and_saveexec_b32 s42, s4
	s_cbranch_execz .LBB241_376
; %bb.371:                              ;   in Loop: Header=BB241_12 Depth=1
	v_and_b32_e32 v69, 0x7f, v12
	v_mov_b32_e32 v67, 0x7c01
	s_mov_b32 s43, exec_lo
	s_delay_alu instid0(VALU_DEP_2)
	v_cmpx_ne_u32_e32 0x7f, v69
	s_cbranch_execz .LBB241_375
; %bb.372:                              ;   in Loop: Header=BB241_12 Depth=1
	v_dual_lshrrev_b32 v68, 3, v69 :: v_dual_bitop2_b32 v67, 7, v12 bitop3:0x40
	s_mov_b32 s44, exec_lo
	v_cmpx_gt_u32_e32 8, v69
; %bb.373:                              ;   in Loop: Header=BB241_12 Depth=1
	s_delay_alu instid0(VALU_DEP_2) | instskip(NEXT) | instid1(VALU_DEP_1)
	v_clz_i32_u32_e32 v67, v67
	v_min_u32_e32 v67, 32, v67
	s_delay_alu instid0(VALU_DEP_1) | instskip(NEXT) | instid1(VALU_DEP_1)
	v_subrev_nc_u32_e32 v68, 28, v67
	v_lshlrev_b64_e32 v[70:71], v68, v[12:13]
	s_delay_alu instid0(VALU_DEP_1)
	v_dual_sub_nc_u32 v68, 29, v67 :: v_dual_bitop2_b32 v67, 7, v70 bitop3:0x40
; %bb.374:                              ;   in Loop: Header=BB241_12 Depth=1
	s_or_b32 exec_lo, exec_lo, s44
	s_delay_alu instid0(VALU_DEP_1) | instskip(NEXT) | instid1(VALU_DEP_2)
	v_dual_lshlrev_b32 v69, 8, v12 :: v_dual_lshlrev_b32 v67, 7, v67
	v_lshl_add_u32 v68, v68, 10, 0x2000
	s_delay_alu instid0(VALU_DEP_2) | instskip(NEXT) | instid1(VALU_DEP_2)
	v_and_b32_e32 v69, 0x8000, v69
	v_and_b32_e32 v68, 0xfc00, v68
	s_delay_alu instid0(VALU_DEP_1)
	v_or3_b32 v67, v69, v68, v67
.LBB241_375:                            ;   in Loop: Header=BB241_12 Depth=1
	s_or_b32 exec_lo, exec_lo, s43
.LBB241_376:                            ;   in Loop: Header=BB241_12 Depth=1
	s_delay_alu instid0(SALU_CYCLE_1)
	s_or_b32 exec_lo, exec_lo, s42
.LBB241_377:                            ;   in Loop: Header=BB241_12 Depth=1
	s_delay_alu instid0(SALU_CYCLE_1) | instskip(SKIP_2) | instid1(VALU_DEP_1)
	s_or_b32 exec_lo, exec_lo, s41
	v_lshrrev_b16 v12, 8, v12
	s_mov_b32 s41, exec_lo
	v_cmpx_ne_u16_e32 0, v12
	s_cbranch_execz .LBB241_385
; %bb.378:                              ;   in Loop: Header=BB241_12 Depth=1
	v_bfrev_b32_e32 v13, 1
	s_mov_b32 s42, exec_lo
	v_cmpx_ne_u16_e32 0x80, v12
	s_cbranch_execz .LBB241_384
; %bb.379:                              ;   in Loop: Header=BB241_12 Depth=1
	v_and_b32_e32 v68, 0xffff, v12
	v_mov_b32_e32 v13, 0x7c010000
	s_mov_b32 s43, exec_lo
	s_delay_alu instid0(VALU_DEP_2) | instskip(NEXT) | instid1(VALU_DEP_1)
	v_and_b32_e32 v70, 0x7f, v68
	v_cmpx_ne_u32_e32 0x7f, v70
	s_cbranch_execz .LBB241_383
; %bb.380:                              ;   in Loop: Header=BB241_12 Depth=1
	v_dual_lshrrev_b32 v69, 3, v70 :: v_dual_bitop2_b32 v13, 7, v68 bitop3:0x40
	s_mov_b32 s44, exec_lo
	v_cmpx_gt_u32_e32 8, v70
	s_cbranch_execz .LBB241_382
; %bb.381:                              ;   in Loop: Header=BB241_12 Depth=1
	s_delay_alu instid0(VALU_DEP_2) | instskip(NEXT) | instid1(VALU_DEP_1)
	v_clz_i32_u32_e32 v13, v13
	v_min_u32_e32 v69, 32, v13
	v_mov_b32_e32 v13, v5
	s_delay_alu instid0(VALU_DEP_2) | instskip(SKIP_1) | instid1(VALU_DEP_2)
	v_subrev_nc_u32_e32 v70, 28, v69
	v_sub_nc_u32_e32 v69, 29, v69
	v_lshlrev_b64_e32 v[12:13], v70, v[12:13]
	s_delay_alu instid0(VALU_DEP_1)
	v_and_b32_e32 v13, 7, v12
.LBB241_382:                            ;   in Loop: Header=BB241_12 Depth=1
	s_or_b32 exec_lo, exec_lo, s44
	s_delay_alu instid0(VALU_DEP_1) | instskip(SKIP_1) | instid1(VALU_DEP_1)
	v_dual_lshlrev_b32 v12, 8, v68 :: v_dual_lshlrev_b32 v13, 23, v13
	v_lshl_add_u32 v68, v69, 10, 0x2000
	v_and_or_b32 v12, 0x8000, v12, v68
	s_delay_alu instid0(VALU_DEP_1)
	v_lshl_or_b32 v13, v12, 16, v13
.LBB241_383:                            ;   in Loop: Header=BB241_12 Depth=1
	s_or_b32 exec_lo, exec_lo, s43
.LBB241_384:                            ;   in Loop: Header=BB241_12 Depth=1
	s_delay_alu instid0(SALU_CYCLE_1)
	s_or_b32 exec_lo, exec_lo, s42
.LBB241_385:                            ;   in Loop: Header=BB241_12 Depth=1
	s_delay_alu instid0(SALU_CYCLE_1)
	s_or_b32 exec_lo, exec_lo, s41
	global_load_u16 v10, v[10:11], off offset:1416
	s_wait_xcnt 0x0
	v_mov_b32_e32 v11, 0
	s_wait_loadcnt 0x0
	v_and_b32_e32 v12, 0xff, v10
	v_and_b32_e32 v10, 0xffff, v10
	s_delay_alu instid0(VALU_DEP_2)
	v_cmp_ne_u16_e64 s4, 0, v12
	v_mov_b32_e32 v12, 0
	s_and_saveexec_b32 s41, s4
	s_cbranch_execz .LBB241_393
; %bb.386:                              ;   in Loop: Header=BB241_12 Depth=1
	v_and_b32_e32 v12, 0xff, v10
	s_delay_alu instid0(VALU_DEP_1)
	v_cmp_ne_u16_e64 s4, 0x80, v12
	v_mov_b32_e32 v12, 0x8000
	s_and_saveexec_b32 s42, s4
	s_cbranch_execz .LBB241_392
; %bb.387:                              ;   in Loop: Header=BB241_12 Depth=1
	v_and_b32_e32 v69, 0x7f, v10
	v_mov_b32_e32 v12, 0x7c01
	s_mov_b32 s43, exec_lo
	s_delay_alu instid0(VALU_DEP_2)
	v_cmpx_ne_u32_e32 0x7f, v69
	s_cbranch_execz .LBB241_391
; %bb.388:                              ;   in Loop: Header=BB241_12 Depth=1
	v_dual_lshrrev_b32 v68, 3, v69 :: v_dual_bitop2_b32 v12, 7, v10 bitop3:0x40
	s_mov_b32 s44, exec_lo
	v_cmpx_gt_u32_e32 8, v69
; %bb.389:                              ;   in Loop: Header=BB241_12 Depth=1
	s_delay_alu instid0(VALU_DEP_2) | instskip(NEXT) | instid1(VALU_DEP_1)
	v_clz_i32_u32_e32 v12, v12
	v_min_u32_e32 v12, 32, v12
	s_delay_alu instid0(VALU_DEP_1) | instskip(NEXT) | instid1(VALU_DEP_1)
	v_subrev_nc_u32_e32 v68, 28, v12
	v_lshlrev_b64_e32 v[70:71], v68, v[10:11]
	s_delay_alu instid0(VALU_DEP_1)
	v_dual_sub_nc_u32 v68, 29, v12 :: v_dual_bitop2_b32 v12, 7, v70 bitop3:0x40
; %bb.390:                              ;   in Loop: Header=BB241_12 Depth=1
	s_or_b32 exec_lo, exec_lo, s44
	s_delay_alu instid0(VALU_DEP_1) | instskip(NEXT) | instid1(VALU_DEP_2)
	v_dual_lshlrev_b32 v69, 8, v10 :: v_dual_lshlrev_b32 v12, 7, v12
	v_lshl_add_u32 v68, v68, 10, 0x2000
	s_delay_alu instid0(VALU_DEP_2) | instskip(NEXT) | instid1(VALU_DEP_2)
	v_and_b32_e32 v69, 0x8000, v69
	v_and_b32_e32 v68, 0xfc00, v68
	s_delay_alu instid0(VALU_DEP_1)
	v_or3_b32 v12, v69, v68, v12
.LBB241_391:                            ;   in Loop: Header=BB241_12 Depth=1
	s_or_b32 exec_lo, exec_lo, s43
.LBB241_392:                            ;   in Loop: Header=BB241_12 Depth=1
	s_delay_alu instid0(SALU_CYCLE_1)
	s_or_b32 exec_lo, exec_lo, s42
.LBB241_393:                            ;   in Loop: Header=BB241_12 Depth=1
	s_delay_alu instid0(SALU_CYCLE_1) | instskip(SKIP_2) | instid1(VALU_DEP_1)
	s_or_b32 exec_lo, exec_lo, s41
	v_lshrrev_b16 v10, 8, v10
	s_mov_b32 s41, exec_lo
	v_cmpx_ne_u16_e32 0, v10
	s_cbranch_execz .LBB241_401
; %bb.394:                              ;   in Loop: Header=BB241_12 Depth=1
	v_bfrev_b32_e32 v11, 1
	s_mov_b32 s42, exec_lo
	v_cmpx_ne_u16_e32 0x80, v10
	s_cbranch_execz .LBB241_400
; %bb.395:                              ;   in Loop: Header=BB241_12 Depth=1
	v_and_b32_e32 v68, 0xffff, v10
	v_mov_b32_e32 v11, 0x7c010000
	s_mov_b32 s43, exec_lo
	s_delay_alu instid0(VALU_DEP_2) | instskip(NEXT) | instid1(VALU_DEP_1)
	v_and_b32_e32 v70, 0x7f, v68
	v_cmpx_ne_u32_e32 0x7f, v70
	s_cbranch_execz .LBB241_399
; %bb.396:                              ;   in Loop: Header=BB241_12 Depth=1
	v_dual_lshrrev_b32 v69, 3, v70 :: v_dual_bitop2_b32 v11, 7, v68 bitop3:0x40
	s_mov_b32 s44, exec_lo
	v_cmpx_gt_u32_e32 8, v70
	s_cbranch_execz .LBB241_398
; %bb.397:                              ;   in Loop: Header=BB241_12 Depth=1
	s_delay_alu instid0(VALU_DEP_2) | instskip(NEXT) | instid1(VALU_DEP_1)
	v_clz_i32_u32_e32 v11, v11
	v_min_u32_e32 v69, 32, v11
	v_mov_b32_e32 v11, v5
	s_delay_alu instid0(VALU_DEP_2) | instskip(SKIP_1) | instid1(VALU_DEP_2)
	v_subrev_nc_u32_e32 v70, 28, v69
	v_sub_nc_u32_e32 v69, 29, v69
	v_lshlrev_b64_e32 v[10:11], v70, v[10:11]
	s_delay_alu instid0(VALU_DEP_1)
	v_and_b32_e32 v11, 7, v10
.LBB241_398:                            ;   in Loop: Header=BB241_12 Depth=1
	s_or_b32 exec_lo, exec_lo, s44
	s_delay_alu instid0(VALU_DEP_1) | instskip(SKIP_1) | instid1(VALU_DEP_1)
	v_dual_lshlrev_b32 v10, 8, v68 :: v_dual_lshlrev_b32 v11, 23, v11
	v_lshl_add_u32 v68, v69, 10, 0x2000
	v_and_or_b32 v10, 0x8000, v10, v68
	s_delay_alu instid0(VALU_DEP_1)
	v_lshl_or_b32 v11, v10, 16, v11
.LBB241_399:                            ;   in Loop: Header=BB241_12 Depth=1
	s_or_b32 exec_lo, exec_lo, s43
.LBB241_400:                            ;   in Loop: Header=BB241_12 Depth=1
	s_delay_alu instid0(SALU_CYCLE_1)
	s_or_b32 exec_lo, exec_lo, s42
.LBB241_401:                            ;   in Loop: Header=BB241_12 Depth=1
	s_delay_alu instid0(SALU_CYCLE_1)
	s_or_b32 exec_lo, exec_lo, s41
	ds_load_b32 v10, v15
	v_or_b32_e32 v23, v22, v23
	v_fma_mixlo_f16 v22, v21, v22, 0 op_sel:[0,1,0] op_sel_hi:[0,1,0]
	v_or_b32_e32 v25, v24, v25
	v_fma_mixlo_f16 v24, v21, v24, 0 op_sel:[0,1,0] op_sel_hi:[0,1,0]
	;; [unrolled: 2-line block ×3, first 2 shown]
	v_and_b32_e32 v70, 0xffff, v22
	v_fma_mixlo_f16 v25, v21, v25, 0 op_sel_hi:[0,1,0]
	v_and_b32_e32 v72, 0xffff, v24
	v_fma_mixlo_f16 v28, v21, v28, 0 op_sel_hi:[0,1,0]
	v_and_b32_e32 v74, 0xffff, v26
	s_delay_alu instid0(VALU_DEP_4) | instskip(NEXT) | instid1(VALU_DEP_3)
	v_and_b32_e32 v71, 0xffff, v25
	v_and_b32_e32 v73, 0xffff, v28
	s_wait_dscnt 0x0
	v_lshrrev_b32_e32 v69, 16, v10
	v_fma_mixlo_f16 v23, v21, v23, 0 op_sel_hi:[0,1,0]
	v_and_b32_e32 v68, 0xffff, v10
	;;#ASMSTART
	v_cvt_f32_f16 v10, v68;
	;;#ASMEND
	;;#ASMSTART
	v_cvt_f32_f16 v22, v69;
	;;#ASMEND
	s_delay_alu instid0(VALU_DEP_2)
	v_and_b32_e32 v23, 0xffff, v23
	;;#ASMSTART
	v_cvt_f32_f16 v23, v23;
	;;#ASMEND
	;;#ASMSTART
	v_cvt_f32_f16 v68, v70;
	;;#ASMEND
	ds_load_b32 v69, v15 offset:4
	s_wait_dscnt 0x0
	v_and_b32_e32 v70, 0xffff, v69
	v_lshrrev_b32_e32 v69, 16, v69
	;;#ASMSTART
	v_cvt_f32_f16 v24, v70;
	;;#ASMEND
	;;#ASMSTART
	v_cvt_f32_f16 v25, v69;
	;;#ASMEND
	;; [unrolled: 3-line block ×4, first 2 shown]
	ds_load_b32 v71, v15 offset:8
	v_dual_mul_f32 v24, v24, v69 :: v_dual_mul_f32 v25, v25, v70
	s_delay_alu instid0(VALU_DEP_1)
	v_fmac_f32_e32 v24, v10, v23
	s_wait_dscnt 0x0
	v_and_b32_e32 v72, 0xffff, v71
	v_lshrrev_b32_e32 v71, 16, v71
	;;#ASMSTART
	v_cvt_f32_f16 v26, v72;
	;;#ASMEND
	;;#ASMSTART
	v_cvt_f32_f16 v28, v71;
	;;#ASMEND
	;; [unrolled: 3-line block ×4, first 2 shown]
	ds_load_b32 v73, v15 offset:12
	v_or_b32_e32 v30, v29, v30
	v_fma_mixlo_f16 v29, v21, v29, 0 op_sel:[0,1,0] op_sel_hi:[0,1,0]
	s_delay_alu instid0(VALU_DEP_1)
	v_and_b32_e32 v76, 0xffff, v29
	s_wait_dscnt 0x0
	v_and_b32_e32 v74, 0xffff, v73
	v_lshrrev_b32_e32 v73, 16, v73
	v_fma_mixlo_f16 v30, v21, v30, 0 op_sel_hi:[0,1,0]
	;;#ASMSTART
	v_cvt_f32_f16 v29, v74;
	;;#ASMEND
	s_delay_alu instid0(VALU_DEP_1)
	v_and_b32_e32 v75, 0xffff, v30
	;;#ASMSTART
	v_cvt_f32_f16 v30, v73;
	;;#ASMEND
	;;#ASMSTART
	v_cvt_f32_f16 v73, v75;
	;;#ASMEND
	;;#ASMSTART
	v_cvt_f32_f16 v74, v76;
	;;#ASMEND
	ds_load_b32 v75, v15 offset:16
	v_or_b32_e32 v32, v31, v32
	v_fma_mixlo_f16 v31, v21, v31, 0 op_sel:[0,1,0] op_sel_hi:[0,1,0]
	s_delay_alu instid0(VALU_DEP_1)
	v_and_b32_e32 v78, 0xffff, v31
	s_wait_dscnt 0x0
	v_and_b32_e32 v76, 0xffff, v75
	v_lshrrev_b32_e32 v75, 16, v75
	v_fma_mixlo_f16 v32, v21, v32, 0 op_sel_hi:[0,1,0]
	;;#ASMSTART
	v_cvt_f32_f16 v31, v76;
	;;#ASMEND
	s_delay_alu instid0(VALU_DEP_1)
	v_and_b32_e32 v77, 0xffff, v32
	;;#ASMSTART
	v_cvt_f32_f16 v32, v75;
	;;#ASMEND
	;;#ASMSTART
	v_cvt_f32_f16 v75, v77;
	;;#ASMEND
	;;#ASMSTART
	v_cvt_f32_f16 v76, v78;
	;;#ASMEND
	;; [unrolled: 23-line block ×10, first 2 shown]
	ds_load_b32 v93, v15 offset:52
	v_or_b32_e32 v50, v49, v50
	v_fma_mixlo_f16 v49, v21, v49, 0 op_sel:[0,1,0] op_sel_hi:[0,1,0]
	s_delay_alu instid0(VALU_DEP_1)
	v_and_b32_e32 v49, 0xffff, v49
	s_wait_dscnt 0x0
	v_and_b32_e32 v94, 0xffff, v93
	v_lshrrev_b32_e32 v93, 16, v93
	v_fma_mixlo_f16 v50, v21, v50, 0 op_sel_hi:[0,1,0]
	;;#ASMSTART
	v_cvt_f32_f16 v94, v94;
	;;#ASMEND
	;;#ASMSTART
	v_cvt_f32_f16 v93, v93;
	;;#ASMEND
	s_delay_alu instid0(VALU_DEP_1)
	v_and_b32_e32 v50, 0xffff, v50
	;;#ASMSTART
	v_cvt_f32_f16 v95, v50;
	;;#ASMEND
	;;#ASMSTART
	v_cvt_f32_f16 v96, v49;
	;;#ASMEND
	ds_load_b32 v49, v15 offset:56
	v_or_b32_e32 v50, v51, v52
	v_fma_mixlo_f16 v51, v21, v51, 0 op_sel:[0,1,0] op_sel_hi:[0,1,0]
	s_delay_alu instid0(VALU_DEP_1)
	v_and_b32_e32 v51, 0xffff, v51
	s_wait_dscnt 0x0
	v_and_b32_e32 v52, 0xffff, v49
	v_lshrrev_b32_e32 v49, 16, v49
	v_fma_mixlo_f16 v50, v21, v50, 0 op_sel_hi:[0,1,0]
	;;#ASMSTART
	v_cvt_f32_f16 v52, v52;
	;;#ASMEND
	;;#ASMSTART
	v_cvt_f32_f16 v97, v49;
	;;#ASMEND
	s_delay_alu instid0(VALU_DEP_1)
	v_and_b32_e32 v50, 0xffff, v50
	;;#ASMSTART
	v_cvt_f32_f16 v98, v50;
	;;#ASMEND
	;;#ASMSTART
	v_cvt_f32_f16 v99, v51;
	;;#ASMEND
	;; [unrolled: 23-line block ×6, first 2 shown]
	ds_load_b32 v49, v15 offset:76
	v_dual_fmac_f32 v25, v22, v68 :: v_dual_bitop2_b32 v50, v61, v62 bitop3:0x54
	v_fma_mixlo_f16 v51, v21, v61, 0 op_sel:[0,1,0] op_sel_hi:[0,1,0]
	s_delay_alu instid0(VALU_DEP_2) | instskip(NEXT) | instid1(VALU_DEP_2)
	v_fma_mixlo_f16 v50, v21, v50, 0 op_sel_hi:[0,1,0]
	v_and_b32_e32 v51, 0xffff, v51
	s_delay_alu instid0(VALU_DEP_2)
	v_and_b32_e32 v23, 0xffff, v50
	s_wait_dscnt 0x0
	v_dual_lshrrev_b32 v22, 16, v49 :: v_dual_fmac_f32 v24, v26, v71
	v_fmac_f32_e32 v25, v28, v72
	v_and_b32_e32 v10, 0xffff, v49
	;;#ASMSTART
	v_cvt_f32_f16 v26, v10;
	;;#ASMEND
	;;#ASMSTART
	v_cvt_f32_f16 v28, v22;
	;;#ASMEND
	;; [unrolled: 3-line block ×4, first 2 shown]
	ds_load_b32 v10, v15 offset:80
	v_dual_fmac_f32 v24, v29, v73 :: v_dual_fmac_f32 v25, v30, v74
	v_fma_mixlo_f16 v23, v21, v63, 0 op_sel:[0,1,0] op_sel_hi:[0,1,0]
	s_delay_alu instid0(VALU_DEP_2) | instskip(SKIP_1) | instid1(VALU_DEP_3)
	v_dual_fmac_f32 v24, v31, v75 :: v_dual_fmac_f32 v25, v32, v76
	v_or_b32_e32 v22, v63, v64
	v_and_b32_e32 v23, 0xffff, v23
	s_delay_alu instid0(VALU_DEP_3) | instskip(NEXT) | instid1(VALU_DEP_3)
	v_dual_fmac_f32 v24, v33, v77 :: v_dual_fmac_f32 v25, v34, v78
	v_fma_mixlo_f16 v22, v21, v22, 0 op_sel_hi:[0,1,0]
	s_delay_alu instid0(VALU_DEP_2) | instskip(NEXT) | instid1(VALU_DEP_2)
	v_dual_fmac_f32 v24, v35, v79 :: v_dual_fmac_f32 v25, v36, v80
	v_and_b32_e32 v22, 0xffff, v22
	s_wait_dscnt 0x0
	v_and_b32_e32 v29, 0xffff, v10
	s_delay_alu instid0(VALU_DEP_3)
	v_dual_lshrrev_b32 v10, 16, v10 :: v_dual_fmac_f32 v24, v37, v81
	v_fmac_f32_e32 v25, v38, v82
	;;#ASMSTART
	v_cvt_f32_f16 v29, v29;
	;;#ASMEND
	;;#ASMSTART
	v_cvt_f32_f16 v30, v10;
	;;#ASMEND
	;; [unrolled: 3-line block ×4, first 2 shown]
	ds_load_b32 v10, v15 offset:84
	v_dual_fmac_f32 v24, v39, v83 :: v_dual_fmac_f32 v25, v40, v84
	v_fma_mixlo_f16 v23, v21, v65, 0 op_sel:[0,1,0] op_sel_hi:[0,1,0]
	s_delay_alu instid0(VALU_DEP_2) | instskip(SKIP_1) | instid1(VALU_DEP_3)
	v_dual_fmac_f32 v24, v41, v85 :: v_dual_fmac_f32 v25, v42, v86
	v_or_b32_e32 v22, v65, v66
	v_and_b32_e32 v23, 0xffff, v23
	s_delay_alu instid0(VALU_DEP_3) | instskip(NEXT) | instid1(VALU_DEP_3)
	v_dual_fmac_f32 v24, v43, v87 :: v_dual_fmac_f32 v25, v44, v88
	v_fma_mixlo_f16 v22, v21, v22, 0 op_sel_hi:[0,1,0]
	s_delay_alu instid0(VALU_DEP_2) | instskip(NEXT) | instid1(VALU_DEP_2)
	v_dual_fmac_f32 v24, v45, v89 :: v_dual_fmac_f32 v25, v46, v90
	v_and_b32_e32 v22, 0xffff, v22
	s_wait_dscnt 0x0
	v_and_b32_e32 v33, 0xffff, v10
	s_delay_alu instid0(VALU_DEP_3)
	v_dual_fmac_f32 v24, v47, v91 :: v_dual_lshrrev_b32 v10, 16, v10
	v_fmac_f32_e32 v25, v48, v92
	;;#ASMSTART
	v_cvt_f32_f16 v33, v33;
	;;#ASMEND
	;;#ASMSTART
	v_cvt_f32_f16 v34, v10;
	;;#ASMEND
	;;#ASMSTART
	v_cvt_f32_f16 v35, v22;
	;;#ASMEND
	;;#ASMSTART
	v_cvt_f32_f16 v23, v23;
	;;#ASMEND
	ds_load_b32 v10, v15 offset:88
	v_dual_fmac_f32 v24, v94, v95 :: v_dual_fmac_f32 v25, v93, v96
	s_delay_alu instid0(VALU_DEP_1) | instskip(SKIP_2) | instid1(VALU_DEP_3)
	v_dual_fmac_f32 v24, v52, v98 :: v_dual_fmac_f32 v25, v97, v99
	v_or_b32_e32 v22, v13, v67
	v_fma_mixlo_f16 v13, v21, v13, 0 op_sel:[0,1,0] op_sel_hi:[0,1,0]
	v_dual_fmac_f32 v25, v54, v101 :: v_dual_fmac_f32 v24, v53, v100
	s_delay_alu instid0(VALU_DEP_3) | instskip(NEXT) | instid1(VALU_DEP_3)
	v_fma_mixlo_f16 v22, v21, v22, 0 op_sel_hi:[0,1,0]
	v_and_b32_e32 v13, 0xffff, v13
	s_delay_alu instid0(VALU_DEP_3) | instskip(NEXT) | instid1(VALU_DEP_3)
	v_dual_fmac_f32 v25, v56, v103 :: v_dual_fmac_f32 v24, v55, v102
	v_and_b32_e32 v22, 0xffff, v22
	s_wait_dscnt 0x0
	v_and_b32_e32 v36, 0xffff, v10
	;;#ASMSTART
	v_cvt_f32_f16 v36, v36;
	;;#ASMEND
	v_dual_fmac_f32 v25, v58, v105 :: v_dual_lshrrev_b32 v10, 16, v10
	v_fmac_f32_e32 v24, v57, v104
	;;#ASMSTART
	v_cvt_f32_f16 v37, v10;
	;;#ASMEND
	;;#ASMSTART
	v_cvt_f32_f16 v22, v22;
	;;#ASMEND
	;; [unrolled: 3-line block ×3, first 2 shown]
	ds_load_b32 v10, v15 offset:92
	v_dual_fmac_f32 v24, v59, v106 :: v_dual_fmac_f32 v25, v60, v107
	v_or_b32_e32 v12, v11, v12
	v_xor_b32_e32 v13, 2, v3
	v_fma_mixlo_f16 v11, v21, v11, 0 op_sel:[0,1,0] op_sel_hi:[0,1,0]
	s_delay_alu instid0(VALU_DEP_4) | instskip(NEXT) | instid1(VALU_DEP_4)
	v_dual_fmac_f32 v24, v26, v49 :: v_dual_fmac_f32 v25, v28, v50
	v_fma_mixlo_f16 v12, v21, v12, 0 op_sel_hi:[0,1,0]
	s_delay_alu instid0(VALU_DEP_4) | instskip(NEXT) | instid1(VALU_DEP_4)
	v_cmp_gt_i32_e64 s4, 32, v13
	v_and_b32_e32 v21, 0xffff, v11
	s_delay_alu instid0(VALU_DEP_4) | instskip(NEXT) | instid1(VALU_DEP_4)
	v_dual_fmac_f32 v24, v29, v31 :: v_dual_fmac_f32 v25, v30, v32
	v_and_b32_e32 v12, 0xffff, v12
	s_delay_alu instid0(VALU_DEP_2) | instskip(NEXT) | instid1(VALU_DEP_3)
	v_dual_cndmask_b32 v11, v3, v13, s4 :: v_dual_fmac_f32 v24, v33, v35
	v_fmac_f32_e32 v25, v34, v23
	s_wait_dscnt 0x0
	v_and_b32_e32 v13, 0xffff, v10
	v_lshrrev_b32_e32 v10, 16, v10
	s_delay_alu instid0(VALU_DEP_3)
	v_fmac_f32_e32 v25, v37, v38
	;;#ASMSTART
	v_cvt_f32_f16 v13, v13;
	;;#ASMEND
	;;#ASMSTART
	v_cvt_f32_f16 v10, v10;
	;;#ASMEND
	;; [unrolled: 3-line block ×4, first 2 shown]
	v_dual_fmac_f32 v24, v36, v22 :: v_dual_fmac_f32 v25, v10, v21
	s_delay_alu instid0(VALU_DEP_1) | instskip(SKIP_1) | instid1(VALU_DEP_1)
	v_dual_lshlrev_b32 v10, 2, v11 :: v_dual_fmac_f32 v24, v13, v12
	v_xor_b32_e32 v12, 1, v3
	v_cmp_gt_i32_e64 s4, 32, v12
	s_delay_alu instid0(VALU_DEP_1)
	v_dual_add_f32 v11, v24, v25 :: v_dual_cndmask_b32 v12, v3, v12, s4
	ds_bpermute_b32 v10, v10, v11
	s_wait_dscnt 0x0
	v_dual_add_f32 v10, v11, v10 :: v_dual_lshlrev_b32 v11, 2, v12
	ds_bpermute_b32 v11, v11, v10
	s_and_saveexec_b32 s41, s3
	s_cbranch_execz .LBB241_10
; %bb.402:                              ;   in Loop: Header=BB241_12 Depth=1
	s_wait_dscnt 0x0
	v_dual_add_nc_u32 v12, v17, v4 :: v_dual_add_f32 v10, v10, v11
	s_delay_alu instid0(VALU_DEP_1) | instskip(NEXT) | instid1(VALU_DEP_1)
	v_cvt_f32_i32_e32 v12, v12
	v_mul_f32_e32 v12, s37, v12
	s_delay_alu instid0(VALU_DEP_1) | instskip(NEXT) | instid1(VALU_DEP_1)
	v_cndmask_b32_e32 v11, 0, v12, vcc_lo
	v_dual_fmac_f32 v11, s27, v10 :: v_dual_add_nc_u32 v10, v14, v4
	s_delay_alu instid0(VALU_DEP_1) | instskip(NEXT) | instid1(VALU_DEP_1)
	v_cmp_gt_i32_e64 s4, s34, v10
	v_dual_max_num_f32 v12, v16, v16 :: v_dual_cndmask_b32 v10, 0, v11, s4
	s_delay_alu instid0(VALU_DEP_1)
	v_max_num_f32_e32 v12, v12, v11
	ds_store_b32 v18, v10
	v_cndmask_b32_e64 v16, v16, v12, s4
	s_branch .LBB241_10
.LBB241_403:
	s_or_b32 exec_lo, exec_lo, s40
.LBB241_404:
	s_delay_alu instid0(SALU_CYCLE_1)
	s_or_b32 exec_lo, exec_lo, s26
	v_dual_max_num_f32 v7, v16, v16 :: v_dual_bitop2_b32 v4, 16, v3 bitop3:0x14
	s_clause 0x1
	s_load_b64 s[4:5], s[0:1], 0x0
	s_load_b64 s[26:27], s[0:1], 0x18
	v_and_b32_e32 v28, 31, v0
	v_xor_b32_e32 v6, 8, v3
	v_cmp_gt_i32_e32 vcc_lo, 32, v4
	v_cndmask_b32_e32 v4, v3, v4, vcc_lo
	s_delay_alu instid0(VALU_DEP_3) | instskip(NEXT) | instid1(VALU_DEP_2)
	v_cmp_gt_i32_e32 vcc_lo, 32, v6
	v_dual_lshlrev_b32 v4, 2, v4 :: v_dual_cndmask_b32 v6, v3, v6, vcc_lo
	ds_bpermute_b32 v5, v4, v16
	s_wait_dscnt 0x0
	v_dual_max_num_f32 v8, v5, v5 :: v_dual_lshlrev_b32 v5, 2, v6
	s_delay_alu instid0(VALU_DEP_1) | instskip(SKIP_4) | instid1(VALU_DEP_1)
	v_dual_max_num_f32 v6, v7, v8 :: v_dual_bitop2_b32 v8, 4, v3 bitop3:0x14
	ds_bpermute_b32 v7, v5, v6
	v_cmp_gt_i32_e32 vcc_lo, 32, v8
	v_cndmask_b32_e32 v8, v3, v8, vcc_lo
	s_wait_dscnt 0x0
	v_dual_max_num_f32 v7, v7, v7 :: v_dual_lshlrev_b32 v8, 2, v8
	s_delay_alu instid0(VALU_DEP_1)
	v_max_num_f32_e32 v7, v6, v7
	v_lshlrev_b32_e32 v6, 2, v27
	v_cmp_eq_u32_e32 vcc_lo, 0, v28
	ds_bpermute_b32 v9, v8, v7
	s_wait_xcnt 0x0
	s_and_saveexec_b32 s0, vcc_lo
	s_cbranch_execz .LBB241_406
; %bb.405:
	s_wait_dscnt 0x0
	v_dual_max_num_f32 v9, v9, v9 :: v_dual_max_num_f32 v7, v7, v7
	s_delay_alu instid0(VALU_DEP_1)
	v_max_num_f32_e32 v7, v7, v9
	ds_store_b32 v6, v7 offset:384
.LBB241_406:
	s_or_b32 exec_lo, exec_lo, s0
	v_cmp_gt_u32_e64 s0, 4, v28
	v_dual_mov_b32 v10, 0xff7fffff :: v_dual_lshlrev_b32 v7, 2, v28
	s_wait_dscnt 0x0
	s_barrier_signal -1
	s_barrier_wait -1
	s_and_saveexec_b32 s1, s0
; %bb.407:
	ds_load_b32 v10, v7 offset:384
; %bb.408:
	s_or_b32 exec_lo, exec_lo, s1
	v_xor_b32_e32 v9, 2, v3
	v_xor_b32_e32 v12, 1, v3
	s_delay_alu instid0(VALU_DEP_2) | instskip(NEXT) | instid1(VALU_DEP_1)
	v_cmp_gt_i32_e64 s1, 32, v9
	v_cndmask_b32_e64 v9, v3, v9, s1
	s_delay_alu instid0(VALU_DEP_3) | instskip(NEXT) | instid1(VALU_DEP_1)
	v_cmp_gt_i32_e64 s1, 32, v12
	v_dual_lshlrev_b32 v9, 2, v9 :: v_dual_cndmask_b32 v3, v3, v12, s1
	s_lshl_b32 s1, s12, 3
	s_delay_alu instid0(SALU_CYCLE_1)
	s_min_i32 s8, s1, s34
	s_wait_dscnt 0x0
	ds_bpermute_b32 v11, v9, v10
	v_max_num_f32_e32 v10, v10, v10
	v_cmp_gt_i32_e64 s1, s8, v0
	v_lshlrev_b32_e32 v3, 2, v3
	s_wait_dscnt 0x0
	v_max_num_f32_e32 v11, v11, v11
	s_delay_alu instid0(VALU_DEP_1) | instskip(SKIP_3) | instid1(VALU_DEP_1)
	v_max_num_f32_e32 v10, v10, v11
	ds_bpermute_b32 v11, v3, v10
	s_wait_dscnt 0x0
	v_max_num_f32_e32 v11, v11, v11
	v_dual_max_num_f32 v11, v10, v11 :: v_dual_mov_b32 v10, 0
	ds_bpermute_b32 v11, v10, v11
	s_and_saveexec_b32 s9, s1
	s_cbranch_execz .LBB241_412
; %bb.409:
	v_lshl_add_u32 v12, v0, 2, 0x1a0
	v_dual_mov_b32 v10, 0 :: v_dual_mov_b32 v13, v0
	s_mov_b32 s19, 0
.LBB241_410:                            ; =>This Inner Loop Header: Depth=1
	ds_load_b32 v14, v12
	v_add_nc_u32_e32 v13, 0x80, v13
	s_delay_alu instid0(VALU_DEP_1) | instskip(SKIP_3) | instid1(VALU_DEP_1)
	v_cmp_le_i32_e64 s3, s8, v13
	s_or_b32 s19, s3, s19
	s_wait_dscnt 0x0
	v_sub_f32_e32 v14, v14, v11
	v_mul_f32_e32 v14, 0x3fb8aa3b, v14
	s_delay_alu instid0(VALU_DEP_1)
	v_exp_f32_e32 v14, v14
	ds_store_b32 v12, v14
	v_nop
	v_add_f32_e32 v10, v10, v14
	v_add_nc_u32_e32 v12, 0x200, v12
	s_and_not1_b32 exec_lo, exec_lo, s19
	s_cbranch_execnz .LBB241_410
; %bb.411:
	s_or_b32 exec_lo, exec_lo, s19
.LBB241_412:
	s_delay_alu instid0(SALU_CYCLE_1)
	s_or_b32 exec_lo, exec_lo, s9
	ds_bpermute_b32 v4, v4, v10
	s_wait_dscnt 0x0
	v_add_f32_e32 v4, v10, v4
	ds_bpermute_b32 v5, v5, v4
	s_wait_dscnt 0x0
	v_add_f32_e32 v4, v4, v5
	ds_bpermute_b32 v5, v8, v4
	s_wait_dscnt 0x0
	v_add_f32_e32 v4, v4, v5
	ds_bpermute_b32 v5, v9, v4
	s_wait_dscnt 0x0
	v_add_f32_e32 v4, v4, v5
	ds_bpermute_b32 v5, v3, v4
	s_wait_dscnt 0x0
	v_add_f32_e32 v4, v4, v5
	s_and_saveexec_b32 s3, vcc_lo
; %bb.413:
	ds_store_b32 v6, v4 offset:400
; %bb.414:
	s_or_b32 exec_lo, exec_lo, s3
	s_wait_dscnt 0x0
	s_barrier_signal -1
	s_barrier_wait -1
	s_and_saveexec_b32 s3, s0
; %bb.415:
	ds_load_b32 v4, v7 offset:400
; %bb.416:
	s_or_b32 exec_lo, exec_lo, s3
	s_wait_dscnt 0x0
	ds_bpermute_b32 v5, v9, v4
	s_wait_dscnt 0x0
	v_add_f32_e32 v4, v4, v5
	ds_bpermute_b32 v3, v3, v4
	s_wait_dscnt 0x0
	v_dual_add_f32 v3, v4, v3 :: v_dual_mov_b32 v4, 0
	ds_bpermute_b32 v3, v4, v3
	s_and_saveexec_b32 s0, s1
	s_cbranch_execz .LBB241_429
; %bb.417:
	s_wait_dscnt 0x0
	v_add_f32_e32 v3, 0x358637bd, v3
	s_mov_b32 s3, -1
	s_mov_b32 s1, exec_lo
	s_delay_alu instid0(VALU_DEP_1) | instskip(NEXT) | instid1(VALU_DEP_1)
	v_div_scale_f32 v4, null, v3, v3, 1.0
	v_rcp_f32_e32 v6, v4
	v_nop
	s_delay_alu instid0(TRANS32_DEP_1) | instskip(NEXT) | instid1(VALU_DEP_1)
	v_fma_f32 v5, -v4, v6, 1.0
	v_fmac_f32_e32 v6, v5, v6
	v_div_scale_f32 v7, vcc_lo, 1.0, v3, 1.0
	s_delay_alu instid0(VALU_DEP_1) | instskip(NEXT) | instid1(VALU_DEP_1)
	v_mul_f32_e32 v8, v7, v6
	v_fma_f32 v5, -v4, v8, v7
	s_delay_alu instid0(VALU_DEP_1) | instskip(SKIP_1) | instid1(VALU_DEP_2)
	v_fmac_f32_e32 v8, v5, v6
	v_xad_u32 v5, v0, -1, s8
	v_fma_f32 v4, -v4, v8, v7
	s_delay_alu instid0(VALU_DEP_1) | instskip(NEXT) | instid1(VALU_DEP_1)
	v_div_fmas_f32 v4, v4, v6, v8
	v_div_fixup_f32 v4, v4, v3, 1.0
	v_mov_b32_e32 v3, v0
	v_cmpx_lt_u32_e32 0x7f, v5
	s_cbranch_execz .LBB241_426
; %bb.418:
	s_delay_alu instid0(VALU_DEP_3) | instskip(NEXT) | instid1(VALU_DEP_1)
	v_dual_lshrrev_b32 v3, 7, v5 :: v_dual_mov_b32 v5, v4
	v_dual_mov_b32 v9, 0 :: v_dual_add_nc_u32 v6, -1, v3
	s_delay_alu instid0(VALU_DEP_1) | instskip(SKIP_1) | instid1(VALU_DEP_2)
	v_lshrrev_b32_e32 v7, 1, v6
	v_cmp_lt_u32_e32 vcc_lo, 13, v6
	v_add_nc_u32_e32 v6, 1, v7
	s_and_saveexec_b32 s3, vcc_lo
	s_cbranch_execz .LBB241_422
; %bb.419:
	s_delay_alu instid0(VALU_DEP_1)
	v_and_b32_e32 v7, -8, v6
	v_lshl_add_u32 v8, v0, 2, 0x1a0
	s_mov_b32 s9, 0
	s_mov_b32 s19, 0
.LBB241_420:                            ; =>This Inner Loop Header: Depth=1
	ds_load_2addr_stride64_b32 v[10:11], v8 offset1:2
	ds_load_2addr_stride64_b32 v[12:13], v8 offset0:4 offset1:6
	ds_load_2addr_stride64_b32 v[14:15], v8 offset0:8 offset1:10
	;; [unrolled: 1-line block ×7, first 2 shown]
	s_add_co_i32 s19, s19, 16
	s_delay_alu instid0(SALU_CYCLE_1) | instskip(NEXT) | instid1(VALU_DEP_1)
	v_dual_add_nc_u32 v7, -8, v7 :: v_dual_mov_b32 v9, s19
	v_cmp_eq_u32_e32 vcc_lo, 0, v7
	s_or_b32 s9, vcc_lo, s9
	s_wait_dscnt 0x7
	v_pk_mul_f32 v[10:11], v[4:5], v[10:11]
	s_wait_dscnt 0x6
	v_pk_mul_f32 v[12:13], v[4:5], v[12:13]
	;; [unrolled: 2-line block ×8, first 2 shown]
	ds_store_2addr_stride64_b32 v8, v10, v11 offset1:2
	ds_store_2addr_stride64_b32 v8, v12, v13 offset0:4 offset1:6
	ds_store_2addr_stride64_b32 v8, v14, v15 offset0:8 offset1:10
	;; [unrolled: 1-line block ×7, first 2 shown]
	v_add_nc_u32_e32 v8, 0x2000, v8
	s_and_not1_b32 exec_lo, exec_lo, s9
	s_cbranch_execnz .LBB241_420
; %bb.421:
	s_or_b32 exec_lo, exec_lo, s9
.LBB241_422:
	s_delay_alu instid0(SALU_CYCLE_1) | instskip(NEXT) | instid1(VALU_DEP_1)
	s_or_b32 exec_lo, exec_lo, s3
	v_and_b32_e32 v6, 7, v6
	s_mov_b32 s9, 0
	s_mov_b32 s3, exec_lo
	s_delay_alu instid0(VALU_DEP_1)
	v_cmpx_ne_u32_e32 0, v6
	s_cbranch_execz .LBB241_425
; %bb.423:
	v_dual_lshlrev_b32 v7, 9, v9 :: v_dual_lshlrev_b32 v8, 2, v0
	s_delay_alu instid0(VALU_DEP_1)
	v_add3_u32 v7, v7, v8, 0x1a0
.LBB241_424:                            ; =>This Inner Loop Header: Depth=1
	ds_load_2addr_stride64_b32 v[8:9], v7 offset1:2
	v_add_nc_u32_e32 v6, -1, v6
	s_delay_alu instid0(VALU_DEP_1)
	v_cmp_eq_u32_e32 vcc_lo, 0, v6
	s_or_b32 s9, vcc_lo, s9
	s_wait_dscnt 0x0
	v_pk_mul_f32 v[8:9], v[4:5], v[8:9]
	ds_store_2addr_stride64_b32 v7, v8, v9 offset1:2
	v_add_nc_u32_e32 v7, 0x400, v7
	s_and_not1_b32 exec_lo, exec_lo, s9
	s_cbranch_execnz .LBB241_424
.LBB241_425:
	s_or_b32 exec_lo, exec_lo, s3
	v_add_nc_u32_e32 v3, 1, v3
	s_delay_alu instid0(VALU_DEP_1) | instskip(NEXT) | instid1(VALU_DEP_1)
	v_and_b32_e32 v5, 0x3fffffe, v3
	v_cmp_ne_u32_e32 vcc_lo, v3, v5
	v_lshl_add_u32 v3, v5, 7, v0
	s_or_not1_b32 s3, vcc_lo, exec_lo
.LBB241_426:
	s_or_b32 exec_lo, exec_lo, s1
	s_delay_alu instid0(SALU_CYCLE_1)
	s_and_b32 exec_lo, exec_lo, s3
	s_cbranch_execz .LBB241_429
; %bb.427:
	v_lshl_add_u32 v5, v3, 2, 0x1a0
	s_mov_b32 s1, 0
.LBB241_428:                            ; =>This Inner Loop Header: Depth=1
	ds_load_b32 v6, v5
	s_wait_dscnt 0x0
	v_dual_mul_f32 v6, v4, v6 :: v_dual_add_nc_u32 v3, 0x80, v3
	s_delay_alu instid0(VALU_DEP_1) | instskip(SKIP_3) | instid1(SALU_CYCLE_1)
	v_cmp_le_i32_e32 vcc_lo, s8, v3
	ds_store_b32 v5, v6
	v_add_nc_u32_e32 v5, 0x200, v5
	s_or_b32 s1, vcc_lo, s1
	s_and_not1_b32 exec_lo, exec_lo, s1
	s_cbranch_execnz .LBB241_428
.LBB241_429:
	s_or_b32 exec_lo, exec_lo, s0
	v_mov_b64_e32 v[4:5], 0
	v_mov_b64_e32 v[8:9], 0
	v_mov_b64_e32 v[6:7], 0
	s_wait_dscnt 0x0
	s_barrier_signal -1
	s_barrier_wait -1
	s_and_saveexec_b32 s1, s2
	s_cbranch_execz .LBB241_831
; %bb.430:
	s_abs_i32 s14, s14
	v_dual_mov_b32 v11, 0 :: v_dual_lshlrev_b32 v10, 3, v28
	s_cvt_f32_u32 s0, s14
	s_ashr_i32 s19, s18, 31
	s_lshl_b64 s[24:25], s[24:25], 2
	s_wait_kmcnt 0x0
	s_add_nc_u64 s[18:19], s[26:27], s[18:19]
	v_rcp_iflag_f32_e32 v3, s0
	v_add_nc_u64_e32 v[12:13], s[18:19], v[10:11]
	v_and_b32_e32 v10, 0x7c, v1
	s_add_nc_u64 s[18:19], s[22:23], s[24:25]
	s_sub_co_i32 s2, 0, s14
	v_mov_b64_e32 v[6:7], 0
	v_mov_b64_e32 v[8:9], 0
	v_readfirstlane_b32 s0, v3
	v_mov_b64_e32 v[4:5], 0
	v_add_nc_u64_e32 v[14:15], s[18:19], v[10:11]
	v_lshl_add_u32 v29, v27, 5, 0x1a0
	v_mov_b32_e32 v30, v27
	s_mul_f32 s0, s0, 0x4f7ffffe
	s_mov_b32 s3, 0
	s_sub_co_i32 s13, s36, s13
	s_add_co_i32 s28, s12, -1
	s_cvt_u32_f32 s0, s0
	s_mov_b64 s[8:9], 0xffffffffffffff
	s_mov_b32 s18, s34
	s_mov_b32 s19, s3
	s_mul_i32 s2, s2, s0
	s_delay_alu instid0(SALU_CYCLE_1) | instskip(NEXT) | instid1(SALU_CYCLE_1)
	s_mul_hi_u32 s2, s0, s2
	s_add_co_i32 s2, s0, s2
	s_branch .LBB241_433
.LBB241_431:                            ;   in Loop: Header=BB241_433 Depth=1
	s_or_b32 exec_lo, exec_lo, s0
	v_add_f32_e32 v1, v38, v39
	v_add_f32_e32 v10, v50, v51
	;;#ASMSTART
	v_pk_mul_f16 v17, v45, v17;

	;;#ASMEND
	;;#ASMSTART
	v_pk_mul_f16 v18, v43, v18;

	;;#ASMEND
	;; [unrolled: 4-line block ×3, first 2 shown]
	v_add_f32_e32 v4, v4, v1
	;;#ASMSTART
	v_pk_mul_f16 v1, v40, v16;

	;;#ASMEND
	;;#ASMSTART
	v_pk_add_f16 v16, v17, v18;

	;;#ASMEND
	;;#ASMSTART
	v_pk_add_f16 v3, v16, v3;
	;; [unrolled: 4-line block ×3, first 2 shown]

	;;#ASMEND
	v_and_b32_e32 v17, 0xffff, v1
	v_dual_add_f32 v3, v46, v47 :: v_dual_lshrrev_b32 v18, 16, v1
	;;#ASMSTART
	v_cvt_f32_f16 v17, v17;
	;;#ASMEND
	v_dual_add_f32 v1, v48, v49 :: v_dual_add_f32 v16, v42, v44
	;;#ASMSTART
	v_cvt_f32_f16 v18, v18;
	;;#ASMEND
	s_delay_alu instid0(VALU_DEP_2) | instskip(NEXT) | instid1(VALU_DEP_2)
	v_add_f32_e32 v17, v17, v18
	v_dual_add_f32 v9, v9, v10 :: v_dual_add_f32 v8, v8, v1
	s_delay_alu instid0(VALU_DEP_3) | instskip(NEXT) | instid1(VALU_DEP_3)
	v_dual_add_f32 v7, v7, v3 :: v_dual_add_f32 v6, v6, v16
	v_add_f32_e32 v5, v5, v17
.LBB241_432:                            ;   in Loop: Header=BB241_433 Depth=1
	s_or_b32 exec_lo, exec_lo, s22
	v_add_nc_u32_e32 v30, 4, v30
	v_add_nc_u64_e32 v[14:15], 16, v[14:15]
	v_add_nc_u32_e32 v2, 32, v2
	v_add_nc_u32_e32 v29, 0x80, v29
	s_delay_alu instid0(VALU_DEP_4) | instskip(SKIP_1) | instid1(SALU_CYCLE_1)
	v_cmp_le_i32_e32 vcc_lo, s12, v30
	s_or_b32 s19, vcc_lo, s19
	s_and_not1_b32 exec_lo, exec_lo, s19
	s_cbranch_execz .LBB241_830
.LBB241_433:                            ; =>This Inner Loop Header: Depth=1
	v_mov_b32_e32 v3, v11
	s_delay_alu instid0(VALU_DEP_1) | instskip(NEXT) | instid1(VALU_DEP_1)
	v_mul_u64_e32 v[16:17], s[20:21], v[2:3]
	v_mul_lo_u32 v1, v17, s16
	s_delay_alu instid0(VALU_DEP_1) | instskip(NEXT) | instid1(VALU_DEP_1)
	v_sub_nc_u32_e32 v1, v2, v1
	v_subrev_nc_u32_e32 v10, s16, v1
	v_cmp_le_u32_e32 vcc_lo, s16, v1
	s_delay_alu instid0(VALU_DEP_2) | instskip(NEXT) | instid1(VALU_DEP_1)
	v_dual_add_nc_u32 v3, 1, v17 :: v_dual_cndmask_b32 v1, v1, v10, vcc_lo
	v_cndmask_b32_e32 v3, v17, v3, vcc_lo
	s_delay_alu instid0(VALU_DEP_2) | instskip(NEXT) | instid1(VALU_DEP_2)
	v_cmp_le_u32_e32 vcc_lo, s16, v1
	v_add_nc_u32_e32 v10, 1, v3
	s_delay_alu instid0(VALU_DEP_1) | instskip(NEXT) | instid1(VALU_DEP_1)
	v_cndmask_b32_e32 v1, v3, v10, vcc_lo
	v_xor_b32_e32 v1, s15, v1
	s_delay_alu instid0(VALU_DEP_1) | instskip(NEXT) | instid1(VALU_DEP_1)
	v_subrev_nc_u32_e32 v1, s15, v1
	v_add_nc_u32_e32 v3, s35, v1
	v_cmp_lt_i32_e64 s0, s13, v1
	s_delay_alu instid0(VALU_DEP_2) | instskip(NEXT) | instid1(VALU_DEP_1)
	v_sub_nc_u32_e32 v10, 0, v3
	v_dual_ashrrev_i32 v3, 31, v3 :: v_dual_max_i32 v10, v3, v10
	s_delay_alu instid0(VALU_DEP_1) | instskip(NEXT) | instid1(VALU_DEP_1)
	v_mul_u64_e32 v[16:17], s[2:3], v[10:11]
	v_mul_lo_u32 v16, v17, s14
	s_delay_alu instid0(VALU_DEP_1) | instskip(NEXT) | instid1(VALU_DEP_1)
	v_sub_nc_u32_e32 v10, v10, v16
	v_subrev_nc_u32_e32 v16, s14, v10
	v_cmp_le_u32_e32 vcc_lo, s14, v10
	s_delay_alu instid0(VALU_DEP_2) | instskip(NEXT) | instid1(VALU_DEP_1)
	v_cndmask_b32_e32 v10, v10, v16, vcc_lo
	v_subrev_nc_u32_e32 v16, s14, v10
	v_cmp_le_u32_e32 vcc_lo, s14, v10
	s_delay_alu instid0(VALU_DEP_2) | instskip(NEXT) | instid1(VALU_DEP_1)
	v_cndmask_b32_e32 v10, v10, v16, vcc_lo
	v_xor_b32_e32 v10, v10, v3
	s_delay_alu instid0(VALU_DEP_1) | instskip(NEXT) | instid1(VALU_DEP_1)
	v_sub_nc_u32_e32 v3, v10, v3
	v_cmp_eq_u32_e32 vcc_lo, 0, v3
	s_or_b32 s0, vcc_lo, s0
	s_delay_alu instid0(SALU_CYCLE_1)
	s_and_saveexec_b32 s22, s0
	s_cbranch_execz .LBB241_432
; %bb.434:                              ;   in Loop: Header=BB241_433 Depth=1
	global_load_b32 v1, v[14:15], off
	ds_load_2addr_b64 v[18:21], v29 offset1:1
	ds_load_2addr_b64 v[22:25], v29 offset0:2 offset1:3
	s_mov_b32 s0, exec_lo
	s_wait_dscnt 0x1
	;;#ASMSTART
	v_cvt_f16_f32 v41, v18;

	;;#ASMEND
	;;#ASMSTART
	v_cvt_f16_f32 v38, v19;

	;;#ASMEND
	;; [unrolled: 4-line block ×4, first 2 shown]
	s_wait_dscnt 0x0
	;;#ASMSTART
	v_cvt_f16_f32 v44, v22;

	;;#ASMEND
	;;#ASMSTART
	v_cvt_f16_f32 v40, v23;

	;;#ASMEND
	;; [unrolled: 4-line block ×4, first 2 shown]
	v_mov_b32_e32 v3, 0
	s_wait_loadcnt 0x0
	v_mad_nc_i64_i32 v[16:17], v1, s17, v[12:13]
	v_mov_b32_e32 v1, 0
	global_load_b32 v18, v1, s[10:11]
	global_load_b64 v[20:21], v[16:17], off
	s_wait_loadcnt 0x0
	v_and_b32_e32 v10, 0xff, v20
	s_delay_alu instid0(VALU_DEP_1)
	v_cmpx_ne_u16_e32 0, v10
	s_cbranch_execz .LBB241_442
; %bb.435:                              ;   in Loop: Header=BB241_433 Depth=1
	v_mov_b32_e32 v3, 0x8000
	s_mov_b32 s23, exec_lo
	v_cmpx_ne_u16_e32 0x80, v10
	s_cbranch_execz .LBB241_441
; %bb.436:                              ;   in Loop: Header=BB241_433 Depth=1
	v_and_b32_e32 v19, 0x7f, v20
	v_mov_b32_e32 v3, 0x7c01
	s_mov_b32 s24, exec_lo
	s_delay_alu instid0(VALU_DEP_2)
	v_cmpx_ne_u32_e32 0x7f, v19
	s_cbranch_execz .LBB241_440
; %bb.437:                              ;   in Loop: Header=BB241_433 Depth=1
	v_dual_lshrrev_b32 v10, 3, v19 :: v_dual_bitop2_b32 v3, 7, v20 bitop3:0x40
	s_mov_b32 s25, exec_lo
	v_cmpx_gt_u32_e32 8, v19
; %bb.438:                              ;   in Loop: Header=BB241_433 Depth=1
	s_delay_alu instid0(VALU_DEP_2) | instskip(NEXT) | instid1(VALU_DEP_1)
	v_clz_i32_u32_e32 v3, v3
	v_min_u32_e32 v3, 32, v3
	s_delay_alu instid0(VALU_DEP_1) | instskip(NEXT) | instid1(VALU_DEP_1)
	v_subrev_nc_u32_e32 v10, 28, v3
	v_lshlrev_b64_e32 v[22:23], v10, v[20:21]
	s_delay_alu instid0(VALU_DEP_1)
	v_dual_sub_nc_u32 v10, 29, v3 :: v_dual_bitop2_b32 v3, 7, v22 bitop3:0x40
; %bb.439:                              ;   in Loop: Header=BB241_433 Depth=1
	s_or_b32 exec_lo, exec_lo, s25
	s_delay_alu instid0(VALU_DEP_1) | instskip(NEXT) | instid1(VALU_DEP_2)
	v_dual_lshlrev_b32 v19, 8, v20 :: v_dual_lshlrev_b32 v3, 7, v3
	v_lshl_add_u32 v10, v10, 10, 0x2000
	s_delay_alu instid0(VALU_DEP_2) | instskip(NEXT) | instid1(VALU_DEP_2)
	v_and_b32_e32 v19, 0x8000, v19
	v_and_b32_e32 v10, 0xfc00, v10
	s_delay_alu instid0(VALU_DEP_1)
	v_or3_b32 v3, v19, v10, v3
.LBB241_440:                            ;   in Loop: Header=BB241_433 Depth=1
	s_or_b32 exec_lo, exec_lo, s24
.LBB241_441:                            ;   in Loop: Header=BB241_433 Depth=1
	s_delay_alu instid0(SALU_CYCLE_1)
	s_or_b32 exec_lo, exec_lo, s23
.LBB241_442:                            ;   in Loop: Header=BB241_433 Depth=1
	s_delay_alu instid0(SALU_CYCLE_1) | instskip(SKIP_2) | instid1(VALU_DEP_1)
	s_or_b32 exec_lo, exec_lo, s0
	v_lshrrev_b16 v10, 8, v20
	s_mov_b32 s0, exec_lo
	v_cmpx_ne_u16_e32 0, v10
	s_cbranch_execz .LBB241_450
; %bb.443:                              ;   in Loop: Header=BB241_433 Depth=1
	v_bfrev_b32_e32 v1, 1
	s_mov_b32 s23, exec_lo
	v_cmpx_ne_u16_e32 0x80, v10
	s_cbranch_execz .LBB241_449
; %bb.444:                              ;   in Loop: Header=BB241_433 Depth=1
	v_and_b32_e32 v19, 0xffff, v10
	v_mov_b32_e32 v1, 0x7c010000
	s_mov_b32 s24, exec_lo
	s_delay_alu instid0(VALU_DEP_2) | instskip(NEXT) | instid1(VALU_DEP_1)
	v_and_b32_e32 v23, 0x7f, v19
	v_cmpx_ne_u32_e32 0x7f, v23
	s_cbranch_execz .LBB241_448
; %bb.445:                              ;   in Loop: Header=BB241_433 Depth=1
	v_and_b32_e32 v1, 7, v19
	v_lshrrev_b32_e32 v22, 3, v23
	s_mov_b32 s25, exec_lo
	v_cmpx_gt_u32_e32 8, v23
; %bb.446:                              ;   in Loop: Header=BB241_433 Depth=1
	s_delay_alu instid0(VALU_DEP_3) | instskip(NEXT) | instid1(VALU_DEP_1)
	v_clz_i32_u32_e32 v1, v1
	v_min_u32_e32 v1, 32, v1
	s_delay_alu instid0(VALU_DEP_1) | instskip(NEXT) | instid1(VALU_DEP_1)
	v_subrev_nc_u32_e32 v22, 28, v1
	v_lshlrev_b64_e32 v[24:25], v22, v[10:11]
	s_delay_alu instid0(VALU_DEP_1)
	v_dual_sub_nc_u32 v22, 29, v1 :: v_dual_bitop2_b32 v1, 7, v24 bitop3:0x40
; %bb.447:                              ;   in Loop: Header=BB241_433 Depth=1
	s_or_b32 exec_lo, exec_lo, s25
	s_delay_alu instid0(VALU_DEP_1) | instskip(NEXT) | instid1(VALU_DEP_2)
	v_dual_lshlrev_b32 v10, 8, v19 :: v_dual_lshlrev_b32 v1, 23, v1
	v_lshl_add_u32 v19, v22, 10, 0x2000
	s_delay_alu instid0(VALU_DEP_1) | instskip(NEXT) | instid1(VALU_DEP_1)
	v_and_or_b32 v10, 0x8000, v10, v19
	v_lshl_or_b32 v1, v10, 16, v1
.LBB241_448:                            ;   in Loop: Header=BB241_433 Depth=1
	s_or_b32 exec_lo, exec_lo, s24
.LBB241_449:                            ;   in Loop: Header=BB241_433 Depth=1
	s_delay_alu instid0(SALU_CYCLE_1)
	s_or_b32 exec_lo, exec_lo, s23
.LBB241_450:                            ;   in Loop: Header=BB241_433 Depth=1
	s_delay_alu instid0(SALU_CYCLE_1) | instskip(SKIP_3) | instid1(VALU_DEP_2)
	s_or_b32 exec_lo, exec_lo, s0
	v_dual_mov_b32 v19, 0 :: v_dual_lshrrev_b32 v10, 16, v20
	v_mov_b32_e32 v22, 0
	s_mov_b32 s0, exec_lo
	v_and_b32_e32 v23, 0xff, v10
	s_delay_alu instid0(VALU_DEP_1)
	v_cmpx_ne_u16_e32 0, v23
	s_cbranch_execz .LBB241_458
; %bb.451:                              ;   in Loop: Header=BB241_433 Depth=1
	v_mov_b32_e32 v22, 0x8000
	s_mov_b32 s23, exec_lo
	v_cmpx_ne_u16_e32 0x80, v23
	s_cbranch_execz .LBB241_457
; %bb.452:                              ;   in Loop: Header=BB241_433 Depth=1
	v_bfe_u32 v24, v20, 16, 7
	v_mov_b32_e32 v22, 0x7c01
	s_mov_b32 s24, exec_lo
	s_delay_alu instid0(VALU_DEP_2)
	v_cmpx_ne_u32_e32 0x7f, v24
	s_cbranch_execz .LBB241_456
; %bb.453:                              ;   in Loop: Header=BB241_433 Depth=1
	v_dual_lshrrev_b32 v23, 3, v24 :: v_dual_bitop2_b32 v22, 7, v10 bitop3:0x40
	s_mov_b32 s25, exec_lo
	v_cmpx_gt_u32_e32 8, v24
; %bb.454:                              ;   in Loop: Header=BB241_433 Depth=1
	s_delay_alu instid0(VALU_DEP_2) | instskip(NEXT) | instid1(VALU_DEP_1)
	v_clz_i32_u32_e32 v22, v22
	v_min_u32_e32 v24, 32, v22
	s_delay_alu instid0(VALU_DEP_1) | instskip(NEXT) | instid1(VALU_DEP_1)
	v_subrev_nc_u32_e32 v22, 28, v24
	v_lshlrev_b64_e32 v[22:23], v22, v[10:11]
	s_delay_alu instid0(VALU_DEP_1)
	v_dual_sub_nc_u32 v23, 29, v24 :: v_dual_bitop2_b32 v22, 7, v22 bitop3:0x40
; %bb.455:                              ;   in Loop: Header=BB241_433 Depth=1
	s_or_b32 exec_lo, exec_lo, s25
	v_lshlrev_b32_e32 v10, 8, v10
	s_delay_alu instid0(VALU_DEP_2) | instskip(NEXT) | instid1(VALU_DEP_3)
	v_lshl_add_u32 v23, v23, 10, 0x2000
	v_lshlrev_b32_e32 v22, 7, v22
	s_delay_alu instid0(VALU_DEP_3) | instskip(NEXT) | instid1(VALU_DEP_3)
	v_and_b32_e32 v10, 0x8000, v10
	v_and_b32_e32 v23, 0xfc00, v23
	s_delay_alu instid0(VALU_DEP_1)
	v_or3_b32 v22, v10, v23, v22
.LBB241_456:                            ;   in Loop: Header=BB241_433 Depth=1
	s_or_b32 exec_lo, exec_lo, s24
.LBB241_457:                            ;   in Loop: Header=BB241_433 Depth=1
	s_delay_alu instid0(SALU_CYCLE_1)
	s_or_b32 exec_lo, exec_lo, s23
.LBB241_458:                            ;   in Loop: Header=BB241_433 Depth=1
	s_delay_alu instid0(SALU_CYCLE_1) | instskip(NEXT) | instid1(SALU_CYCLE_1)
	s_or_b32 exec_lo, exec_lo, s0
	s_mov_b32 s0, exec_lo
	v_cmpx_lt_u32_e32 0xffffff, v20
	s_cbranch_execz .LBB241_466
; %bb.459:                              ;   in Loop: Header=BB241_433 Depth=1
	v_lshrrev_b32_e32 v10, 24, v20
	v_bfrev_b32_e32 v19, 1
	s_mov_b32 s23, exec_lo
	s_delay_alu instid0(VALU_DEP_2)
	v_cmpx_ne_u32_e32 0x80, v10
	s_cbranch_execz .LBB241_465
; %bb.460:                              ;   in Loop: Header=BB241_433 Depth=1
	v_and_b32_e32 v24, 0x7f, v10
	v_mov_b32_e32 v19, 0x7c010000
	s_mov_b32 s24, exec_lo
	s_delay_alu instid0(VALU_DEP_2)
	v_cmpx_ne_u32_e32 0x7f, v24
	s_cbranch_execz .LBB241_464
; %bb.461:                              ;   in Loop: Header=BB241_433 Depth=1
	v_dual_lshrrev_b32 v23, 3, v24 :: v_dual_bitop2_b32 v19, 7, v10 bitop3:0x40
	s_mov_b32 s25, exec_lo
	v_cmpx_gt_u32_e32 8, v24
; %bb.462:                              ;   in Loop: Header=BB241_433 Depth=1
	s_delay_alu instid0(VALU_DEP_2) | instskip(NEXT) | instid1(VALU_DEP_1)
	v_clz_i32_u32_e32 v19, v19
	v_min_u32_e32 v19, 32, v19
	s_delay_alu instid0(VALU_DEP_1) | instskip(NEXT) | instid1(VALU_DEP_1)
	v_subrev_nc_u32_e32 v23, 28, v19
	v_lshlrev_b64_e32 v[24:25], v23, v[10:11]
	s_delay_alu instid0(VALU_DEP_1)
	v_dual_sub_nc_u32 v23, 29, v19 :: v_dual_bitop2_b32 v19, 7, v24 bitop3:0x40
; %bb.463:                              ;   in Loop: Header=BB241_433 Depth=1
	s_or_b32 exec_lo, exec_lo, s25
	s_delay_alu instid0(VALU_DEP_1) | instskip(NEXT) | instid1(VALU_DEP_2)
	v_dual_lshlrev_b32 v10, 8, v10 :: v_dual_lshlrev_b32 v19, 23, v19
	v_lshl_add_u32 v23, v23, 10, 0x2000
	s_delay_alu instid0(VALU_DEP_1) | instskip(NEXT) | instid1(VALU_DEP_1)
	v_and_or_b32 v10, 0x8000, v10, v23
	v_lshl_or_b32 v19, v10, 16, v19
.LBB241_464:                            ;   in Loop: Header=BB241_433 Depth=1
	s_or_b32 exec_lo, exec_lo, s24
.LBB241_465:                            ;   in Loop: Header=BB241_433 Depth=1
	s_delay_alu instid0(SALU_CYCLE_1)
	s_or_b32 exec_lo, exec_lo, s23
.LBB241_466:                            ;   in Loop: Header=BB241_433 Depth=1
	s_delay_alu instid0(SALU_CYCLE_1) | instskip(SKIP_4) | instid1(VALU_DEP_3)
	s_or_b32 exec_lo, exec_lo, s0
	v_and_b32_e32 v25, 0xff, v21
	v_dual_mov_b32 v10, v21 :: v_dual_mov_b32 v24, 0
	v_mov_b32_e32 v23, 0
	s_mov_b32 s0, exec_lo
	v_cmpx_ne_u16_e32 0, v25
	s_cbranch_execz .LBB241_474
; %bb.467:                              ;   in Loop: Header=BB241_433 Depth=1
	v_mov_b32_e32 v23, 0x8000
	s_mov_b32 s23, exec_lo
	v_cmpx_ne_u16_e32 0x80, v25
	s_cbranch_execz .LBB241_473
; %bb.468:                              ;   in Loop: Header=BB241_433 Depth=1
	v_and_b32_e32 v26, 0x7f, v21
	v_mov_b32_e32 v23, 0x7c01
	s_mov_b32 s24, exec_lo
	s_delay_alu instid0(VALU_DEP_2)
	v_cmpx_ne_u32_e32 0x7f, v26
	s_cbranch_execz .LBB241_472
; %bb.469:                              ;   in Loop: Header=BB241_433 Depth=1
	v_dual_lshrrev_b32 v25, 3, v26 :: v_dual_bitop2_b32 v23, 7, v21 bitop3:0x40
	s_mov_b32 s25, exec_lo
	v_cmpx_gt_u32_e32 8, v26
; %bb.470:                              ;   in Loop: Header=BB241_433 Depth=1
	s_delay_alu instid0(VALU_DEP_2) | instskip(NEXT) | instid1(VALU_DEP_1)
	v_clz_i32_u32_e32 v23, v23
	v_min_u32_e32 v23, 32, v23
	s_delay_alu instid0(VALU_DEP_1) | instskip(NEXT) | instid1(VALU_DEP_1)
	v_subrev_nc_u32_e32 v25, 28, v23
	v_lshlrev_b64_e32 v[32:33], v25, v[10:11]
	s_delay_alu instid0(VALU_DEP_1)
	v_dual_sub_nc_u32 v25, 29, v23 :: v_dual_bitop2_b32 v23, 7, v32 bitop3:0x40
; %bb.471:                              ;   in Loop: Header=BB241_433 Depth=1
	s_or_b32 exec_lo, exec_lo, s25
	s_delay_alu instid0(VALU_DEP_1) | instskip(NEXT) | instid1(VALU_DEP_2)
	v_dual_lshlrev_b32 v26, 8, v21 :: v_dual_lshlrev_b32 v23, 7, v23
	v_lshl_add_u32 v25, v25, 10, 0x2000
	s_delay_alu instid0(VALU_DEP_2) | instskip(NEXT) | instid1(VALU_DEP_2)
	v_and_b32_e32 v26, 0x8000, v26
	v_and_b32_e32 v25, 0xfc00, v25
	s_delay_alu instid0(VALU_DEP_1)
	v_or3_b32 v23, v26, v25, v23
.LBB241_472:                            ;   in Loop: Header=BB241_433 Depth=1
	s_or_b32 exec_lo, exec_lo, s24
.LBB241_473:                            ;   in Loop: Header=BB241_433 Depth=1
	s_delay_alu instid0(SALU_CYCLE_1)
	s_or_b32 exec_lo, exec_lo, s23
.LBB241_474:                            ;   in Loop: Header=BB241_433 Depth=1
	s_delay_alu instid0(SALU_CYCLE_1) | instskip(SKIP_3) | instid1(VALU_DEP_2)
	s_or_b32 exec_lo, exec_lo, s0
	v_lshrrev_b16 v10, 8, v10
	v_mov_b32_e32 v25, 0
	s_mov_b32 s0, exec_lo
	v_cmpx_ne_u16_e32 0, v10
	s_cbranch_execz .LBB241_482
; %bb.475:                              ;   in Loop: Header=BB241_433 Depth=1
	v_bfrev_b32_e32 v25, 1
	s_mov_b32 s23, exec_lo
	v_cmpx_ne_u16_e32 0x80, v10
	s_cbranch_execz .LBB241_481
; %bb.476:                              ;   in Loop: Header=BB241_433 Depth=1
	v_and_b32_e32 v26, 0xffff, v10
	v_mov_b32_e32 v25, 0x7c010000
	s_mov_b32 s24, exec_lo
	s_delay_alu instid0(VALU_DEP_2) | instskip(NEXT) | instid1(VALU_DEP_1)
	v_and_b32_e32 v32, 0x7f, v26
	v_cmpx_ne_u32_e32 0x7f, v32
	s_cbranch_execz .LBB241_480
; %bb.477:                              ;   in Loop: Header=BB241_433 Depth=1
	v_dual_lshrrev_b32 v31, 3, v32 :: v_dual_bitop2_b32 v25, 7, v26 bitop3:0x40
	s_mov_b32 s25, exec_lo
	v_cmpx_gt_u32_e32 8, v32
; %bb.478:                              ;   in Loop: Header=BB241_433 Depth=1
	s_delay_alu instid0(VALU_DEP_2) | instskip(NEXT) | instid1(VALU_DEP_1)
	v_clz_i32_u32_e32 v25, v25
	v_min_u32_e32 v25, 32, v25
	s_delay_alu instid0(VALU_DEP_1) | instskip(NEXT) | instid1(VALU_DEP_1)
	v_subrev_nc_u32_e32 v31, 28, v25
	v_lshlrev_b64_e32 v[32:33], v31, v[10:11]
	s_delay_alu instid0(VALU_DEP_1)
	v_dual_sub_nc_u32 v31, 29, v25 :: v_dual_bitop2_b32 v25, 7, v32 bitop3:0x40
; %bb.479:                              ;   in Loop: Header=BB241_433 Depth=1
	s_or_b32 exec_lo, exec_lo, s25
	s_delay_alu instid0(VALU_DEP_1) | instskip(NEXT) | instid1(VALU_DEP_2)
	v_dual_lshlrev_b32 v10, 8, v26 :: v_dual_lshlrev_b32 v25, 23, v25
	v_lshl_add_u32 v26, v31, 10, 0x2000
	s_delay_alu instid0(VALU_DEP_1) | instskip(NEXT) | instid1(VALU_DEP_1)
	v_and_or_b32 v10, 0x8000, v10, v26
	v_lshl_or_b32 v25, v10, 16, v25
.LBB241_480:                            ;   in Loop: Header=BB241_433 Depth=1
	s_or_b32 exec_lo, exec_lo, s24
.LBB241_481:                            ;   in Loop: Header=BB241_433 Depth=1
	s_delay_alu instid0(SALU_CYCLE_1)
	s_or_b32 exec_lo, exec_lo, s23
.LBB241_482:                            ;   in Loop: Header=BB241_433 Depth=1
	s_delay_alu instid0(SALU_CYCLE_1) | instskip(SKIP_2) | instid1(VALU_DEP_1)
	s_or_b32 exec_lo, exec_lo, s0
	v_lshrrev_b32_e32 v10, 16, v21
	s_mov_b32 s0, exec_lo
	v_and_b32_e32 v26, 0xff, v10
	s_delay_alu instid0(VALU_DEP_1)
	v_cmpx_ne_u16_e32 0, v26
	s_cbranch_execz .LBB241_490
; %bb.483:                              ;   in Loop: Header=BB241_433 Depth=1
	v_mov_b32_e32 v24, 0x8000
	s_mov_b32 s23, exec_lo
	v_cmpx_ne_u16_e32 0x80, v26
	s_cbranch_execz .LBB241_489
; %bb.484:                              ;   in Loop: Header=BB241_433 Depth=1
	v_bfe_u32 v31, v21, 16, 7
	v_mov_b32_e32 v24, 0x7c01
	s_mov_b32 s24, exec_lo
	s_delay_alu instid0(VALU_DEP_2)
	v_cmpx_ne_u32_e32 0x7f, v31
	s_cbranch_execz .LBB241_488
; %bb.485:                              ;   in Loop: Header=BB241_433 Depth=1
	v_dual_lshrrev_b32 v26, 3, v31 :: v_dual_bitop2_b32 v24, 7, v10 bitop3:0x40
	s_mov_b32 s25, exec_lo
	v_cmpx_gt_u32_e32 8, v31
; %bb.486:                              ;   in Loop: Header=BB241_433 Depth=1
	s_delay_alu instid0(VALU_DEP_2) | instskip(NEXT) | instid1(VALU_DEP_1)
	v_clz_i32_u32_e32 v24, v24
	v_min_u32_e32 v24, 32, v24
	s_delay_alu instid0(VALU_DEP_1) | instskip(NEXT) | instid1(VALU_DEP_1)
	v_subrev_nc_u32_e32 v26, 28, v24
	v_lshlrev_b64_e32 v[32:33], v26, v[10:11]
	v_sub_nc_u32_e32 v26, 29, v24
	s_delay_alu instid0(VALU_DEP_2)
	v_and_b32_e32 v24, 7, v32
; %bb.487:                              ;   in Loop: Header=BB241_433 Depth=1
	s_or_b32 exec_lo, exec_lo, s25
	s_delay_alu instid0(VALU_DEP_1) | instskip(NEXT) | instid1(VALU_DEP_3)
	v_dual_lshlrev_b32 v10, 8, v10 :: v_dual_lshlrev_b32 v24, 7, v24
	v_lshl_add_u32 v26, v26, 10, 0x2000
	s_delay_alu instid0(VALU_DEP_2) | instskip(NEXT) | instid1(VALU_DEP_2)
	v_and_b32_e32 v10, 0x8000, v10
	v_and_b32_e32 v26, 0xfc00, v26
	s_delay_alu instid0(VALU_DEP_1)
	v_or3_b32 v24, v10, v26, v24
.LBB241_488:                            ;   in Loop: Header=BB241_433 Depth=1
	s_or_b32 exec_lo, exec_lo, s24
.LBB241_489:                            ;   in Loop: Header=BB241_433 Depth=1
	s_delay_alu instid0(SALU_CYCLE_1)
	s_or_b32 exec_lo, exec_lo, s23
.LBB241_490:                            ;   in Loop: Header=BB241_433 Depth=1
	s_delay_alu instid0(SALU_CYCLE_1)
	s_or_b32 exec_lo, exec_lo, s0
	v_cmp_lt_u64_e32 vcc_lo, s[8:9], v[20:21]
	v_mov_b32_e32 v20, 0
	s_and_saveexec_b32 s0, vcc_lo
	s_cbranch_execz .LBB241_498
; %bb.491:                              ;   in Loop: Header=BB241_433 Depth=1
	v_lshrrev_b32_e32 v10, 24, v21
	v_bfrev_b32_e32 v20, 1
	s_mov_b32 s23, exec_lo
	s_delay_alu instid0(VALU_DEP_2)
	v_cmpx_ne_u32_e32 0x80, v10
	s_cbranch_execz .LBB241_497
; %bb.492:                              ;   in Loop: Header=BB241_433 Depth=1
	v_and_b32_e32 v26, 0x7f, v10
	v_mov_b32_e32 v20, 0x7c010000
	s_mov_b32 s24, exec_lo
	s_delay_alu instid0(VALU_DEP_2)
	v_cmpx_ne_u32_e32 0x7f, v26
	s_cbranch_execz .LBB241_496
; %bb.493:                              ;   in Loop: Header=BB241_433 Depth=1
	v_and_b32_e32 v20, 7, v10
	v_lshrrev_b32_e32 v21, 3, v26
	s_mov_b32 s25, exec_lo
	v_cmpx_gt_u32_e32 8, v26
; %bb.494:                              ;   in Loop: Header=BB241_433 Depth=1
	s_delay_alu instid0(VALU_DEP_3) | instskip(NEXT) | instid1(VALU_DEP_1)
	v_clz_i32_u32_e32 v20, v20
	v_min_u32_e32 v26, 32, v20
	s_delay_alu instid0(VALU_DEP_1) | instskip(NEXT) | instid1(VALU_DEP_1)
	v_subrev_nc_u32_e32 v20, 28, v26
	v_lshlrev_b64_e32 v[20:21], v20, v[10:11]
	s_delay_alu instid0(VALU_DEP_1)
	v_dual_sub_nc_u32 v21, 29, v26 :: v_dual_bitop2_b32 v20, 7, v20 bitop3:0x40
; %bb.495:                              ;   in Loop: Header=BB241_433 Depth=1
	s_or_b32 exec_lo, exec_lo, s25
	s_delay_alu instid0(VALU_DEP_1) | instskip(NEXT) | instid1(VALU_DEP_2)
	v_dual_lshlrev_b32 v10, 8, v10 :: v_dual_lshlrev_b32 v20, 23, v20
	v_lshl_add_u32 v21, v21, 10, 0x2000
	s_delay_alu instid0(VALU_DEP_1) | instskip(NEXT) | instid1(VALU_DEP_1)
	v_and_or_b32 v10, 0x8000, v10, v21
	v_lshl_or_b32 v20, v10, 16, v20
.LBB241_496:                            ;   in Loop: Header=BB241_433 Depth=1
	s_or_b32 exec_lo, exec_lo, s24
.LBB241_497:                            ;   in Loop: Header=BB241_433 Depth=1
	s_delay_alu instid0(SALU_CYCLE_1)
	s_or_b32 exec_lo, exec_lo, s23
.LBB241_498:                            ;   in Loop: Header=BB241_433 Depth=1
	s_delay_alu instid0(SALU_CYCLE_1) | instskip(SKIP_3) | instid1(VALU_DEP_3)
	s_or_b32 exec_lo, exec_lo, s0
	v_dual_lshrrev_b32 v10, 16, v1 :: v_dual_lshrrev_b32 v21, 16, v19
	v_or_b32_e32 v1, v1, v3
	v_dual_lshrrev_b32 v22, 16, v20 :: v_dual_bitop2_b32 v3, v19, v22 bitop3:0x54
	v_cvt_f32_f16_e32 v33, v10
	s_delay_alu instid0(VALU_DEP_4)
	v_cvt_f32_f16_e32 v32, v21
	v_lshrrev_b32_e32 v19, 16, v25
	v_cvt_f32_f16_e32 v21, v1
	v_cvt_f32_f16_e32 v22, v22
	v_cmp_eq_u32_e32 vcc_lo, s28, v30
	v_or_b32_e32 v36, 1, v2
	v_pk_mul_f32 v[32:33], v[18:19], v[32:33] op_sel_hi:[0,1]
	v_or_b32_e32 v35, 3, v2
	v_or_b32_e32 v34, 4, v2
	v_dual_add_nc_u32 v37, 2, v2 :: v_dual_bitop2_b32 v31, 7, v2 bitop3:0x54
	s_delay_alu instid0(VALU_DEP_4) | instskip(SKIP_4) | instid1(VALU_DEP_4)
	v_cvt_pk_f16_f32 v1, v32, v33
	v_or_b32_e32 v10, v20, v24
	v_cvt_f32_f16_e32 v20, v3
	v_or_b32_e32 v3, v25, v23
	v_cvt_f32_f16_e32 v23, v19
	v_cvt_f32_f16_e32 v24, v10
	s_delay_alu instid0(VALU_DEP_4) | instskip(NEXT) | instid1(VALU_DEP_4)
	v_pk_mul_f32 v[20:21], v[18:19], v[20:21] op_sel_hi:[0,1]
	v_cvt_f32_f16_e32 v25, v3
	s_delay_alu instid0(VALU_DEP_4) | instskip(SKIP_1) | instid1(VALU_DEP_4)
	v_pk_mul_f32 v[32:33], v[18:19], v[22:23] op_sel_hi:[0,1]
	v_and_b32_e32 v23, 0xffff0000, v1
	v_cvt_pk_f16_f32 v3, v20, v21
	s_delay_alu instid0(VALU_DEP_4) | instskip(NEXT) | instid1(VALU_DEP_4)
	v_pk_mul_f32 v[18:19], v[18:19], v[24:25] op_sel_hi:[0,1]
	v_cvt_pk_f16_f32 v10, v32, v33
	v_dual_lshlrev_b32 v24, 16, v1 :: v_dual_bitop2_b32 v33, 6, v2 bitop3:0x54
	s_delay_alu instid0(VALU_DEP_4) | instskip(NEXT) | instid1(VALU_DEP_4)
	v_and_b32_e32 v26, 0xffff, v3
	v_cvt_pk_f16_f32 v18, v18, v19
	v_lshrrev_b32_e32 v25, 16, v3
	v_and_b32_e32 v1, 0xffff0000, v10
	v_lshlrev_b32_e32 v10, 16, v10
	v_or_b32_e32 v20, v24, v26
	v_lshrrev_b32_e32 v21, 16, v18
	v_and_b32_e32 v22, 0xffff, v18
	v_or_b32_e32 v19, v23, v25
	v_or_b32_e32 v32, 5, v2
	s_delay_alu instid0(VALU_DEP_4) | instskip(NEXT) | instid1(VALU_DEP_4)
	v_or_b32_e32 v3, v1, v21
	v_or_b32_e32 v18, v10, v22
	s_and_saveexec_b32 s23, vcc_lo
	s_cbranch_execz .LBB241_500
; %bb.499:                              ;   in Loop: Header=BB241_433 Depth=1
	v_cmp_gt_i32_e64 s0, s18, v2
	s_delay_alu instid0(VALU_DEP_1) | instskip(SKIP_1) | instid1(VALU_DEP_1)
	v_cndmask_b32_e64 v3, 0, v25, s0
	v_cmp_gt_i32_e64 s0, s34, v37
	v_cndmask_b32_e64 v18, 0, v26, s0
	v_cmp_gt_i32_e64 s0, s18, v36
	s_delay_alu instid0(VALU_DEP_1) | instskip(SKIP_1) | instid1(VALU_DEP_1)
	v_cndmask_b32_e64 v19, 0, v23, s0
	v_cmp_gt_i32_e64 s0, s34, v35
	v_cndmask_b32_e64 v20, 0, v24, s0
	v_cmp_gt_i32_e64 s0, s18, v34
	s_delay_alu instid0(VALU_DEP_4) | instskip(NEXT) | instid1(VALU_DEP_2)
	v_or_b32_e32 v19, v19, v3
	v_dual_cndmask_b32 v21, 0, v21, s0 :: v_dual_bitop2_b32 v20, v20, v18 bitop3:0x54
	v_cmp_gt_i32_e64 s0, s34, v33
	s_delay_alu instid0(VALU_DEP_1) | instskip(SKIP_1) | instid1(VALU_DEP_1)
	v_cndmask_b32_e64 v22, 0, v22, s0
	v_cmp_gt_i32_e64 s0, s18, v32
	v_cndmask_b32_e64 v1, 0, v1, s0
	v_cmp_gt_i32_e64 s0, s34, v31
	s_delay_alu instid0(VALU_DEP_1) | instskip(NEXT) | instid1(VALU_DEP_1)
	v_dual_cndmask_b32 v10, 0, v10, s0 :: v_dual_bitop2_b32 v3, v1, v21 bitop3:0x54
	v_or_b32_e32 v18, v10, v22
.LBB241_500:                            ;   in Loop: Header=BB241_433 Depth=1
	s_or_b32 exec_lo, exec_lo, s23
	v_and_b32_e32 v1, 0xffff, v41
	v_and_b32_e32 v10, 0xffff, v43
	;; [unrolled: 1-line block ×4, first 2 shown]
	s_mov_b32 s23, exec_lo
	v_lshl_or_b32 v45, v38, 16, v1
	;;#ASMSTART
	v_pk_mul_f16 v1, v45, v19;

	;;#ASMEND
	v_lshl_or_b32 v43, v39, 16, v10
	v_lshl_or_b32 v41, v40, 16, v21
	;; [unrolled: 1-line block ×3, first 2 shown]
	;;#ASMSTART
	v_pk_mul_f16 v10, v43, v20;

	;;#ASMEND
	;;#ASMSTART
	v_pk_mul_f16 v3, v41, v3;

	;;#ASMEND
	;;#ASMSTART
	v_pk_mul_f16 v18, v40, v18;

	;;#ASMEND
	;;#ASMSTART
	v_pk_add_f16 v1, v1, v10;

	;;#ASMEND
	;;#ASMSTART
	v_pk_add_f16 v1, v1, v3;

	;;#ASMEND
	;;#ASMSTART
	v_pk_add_f16 v1, v1, v18;

	;;#ASMEND
	v_and_b32_e32 v3, 0xffff, v1
	v_lshrrev_b32_e32 v1, 16, v1
	;;#ASMSTART
	v_cvt_f32_f16 v42, v3;
	;;#ASMEND
	v_mov_b32_e32 v3, 0
	;;#ASMSTART
	v_cvt_f32_f16 v44, v1;
	;;#ASMEND
	global_load_b64 v[20:21], v[16:17], off offset:256
	v_mov_b32_e32 v1, 0
	global_load_b32 v18, v1, s[10:11]
	s_wait_loadcnt 0x1
	v_and_b32_e32 v10, 0xff, v20
	s_wait_xcnt 0x0
	s_delay_alu instid0(VALU_DEP_1)
	v_cmpx_ne_u16_e32 0, v10
	s_cbranch_execz .LBB241_508
; %bb.501:                              ;   in Loop: Header=BB241_433 Depth=1
	v_mov_b32_e32 v3, 0x8000
	s_mov_b32 s24, exec_lo
	v_cmpx_ne_u16_e32 0x80, v10
	s_cbranch_execz .LBB241_507
; %bb.502:                              ;   in Loop: Header=BB241_433 Depth=1
	v_and_b32_e32 v19, 0x7f, v20
	v_mov_b32_e32 v3, 0x7c01
	s_mov_b32 s25, exec_lo
	s_delay_alu instid0(VALU_DEP_2)
	v_cmpx_ne_u32_e32 0x7f, v19
	s_cbranch_execz .LBB241_506
; %bb.503:                              ;   in Loop: Header=BB241_433 Depth=1
	v_dual_lshrrev_b32 v10, 3, v19 :: v_dual_bitop2_b32 v3, 7, v20 bitop3:0x40
	s_mov_b32 s26, exec_lo
	v_cmpx_gt_u32_e32 8, v19
; %bb.504:                              ;   in Loop: Header=BB241_433 Depth=1
	s_delay_alu instid0(VALU_DEP_2) | instskip(NEXT) | instid1(VALU_DEP_1)
	v_clz_i32_u32_e32 v3, v3
	v_min_u32_e32 v3, 32, v3
	s_delay_alu instid0(VALU_DEP_1) | instskip(NEXT) | instid1(VALU_DEP_1)
	v_subrev_nc_u32_e32 v10, 28, v3
	v_lshlrev_b64_e32 v[22:23], v10, v[20:21]
	s_delay_alu instid0(VALU_DEP_1)
	v_dual_sub_nc_u32 v10, 29, v3 :: v_dual_bitop2_b32 v3, 7, v22 bitop3:0x40
; %bb.505:                              ;   in Loop: Header=BB241_433 Depth=1
	s_or_b32 exec_lo, exec_lo, s26
	s_delay_alu instid0(VALU_DEP_1) | instskip(NEXT) | instid1(VALU_DEP_2)
	v_dual_lshlrev_b32 v19, 8, v20 :: v_dual_lshlrev_b32 v3, 7, v3
	v_lshl_add_u32 v10, v10, 10, 0x2000
	s_delay_alu instid0(VALU_DEP_2) | instskip(NEXT) | instid1(VALU_DEP_2)
	v_and_b32_e32 v19, 0x8000, v19
	v_and_b32_e32 v10, 0xfc00, v10
	s_delay_alu instid0(VALU_DEP_1)
	v_or3_b32 v3, v19, v10, v3
.LBB241_506:                            ;   in Loop: Header=BB241_433 Depth=1
	s_or_b32 exec_lo, exec_lo, s25
.LBB241_507:                            ;   in Loop: Header=BB241_433 Depth=1
	s_delay_alu instid0(SALU_CYCLE_1)
	s_or_b32 exec_lo, exec_lo, s24
.LBB241_508:                            ;   in Loop: Header=BB241_433 Depth=1
	s_delay_alu instid0(SALU_CYCLE_1) | instskip(SKIP_2) | instid1(VALU_DEP_1)
	s_or_b32 exec_lo, exec_lo, s23
	v_lshrrev_b16 v10, 8, v20
	s_mov_b32 s23, exec_lo
	v_cmpx_ne_u16_e32 0, v10
	s_cbranch_execz .LBB241_516
; %bb.509:                              ;   in Loop: Header=BB241_433 Depth=1
	v_bfrev_b32_e32 v1, 1
	s_mov_b32 s24, exec_lo
	v_cmpx_ne_u16_e32 0x80, v10
	s_cbranch_execz .LBB241_515
; %bb.510:                              ;   in Loop: Header=BB241_433 Depth=1
	v_and_b32_e32 v19, 0xffff, v10
	v_mov_b32_e32 v1, 0x7c010000
	s_mov_b32 s25, exec_lo
	s_delay_alu instid0(VALU_DEP_2) | instskip(NEXT) | instid1(VALU_DEP_1)
	v_and_b32_e32 v23, 0x7f, v19
	v_cmpx_ne_u32_e32 0x7f, v23
	s_cbranch_execz .LBB241_514
; %bb.511:                              ;   in Loop: Header=BB241_433 Depth=1
	v_and_b32_e32 v1, 7, v19
	v_lshrrev_b32_e32 v22, 3, v23
	s_mov_b32 s26, exec_lo
	v_cmpx_gt_u32_e32 8, v23
; %bb.512:                              ;   in Loop: Header=BB241_433 Depth=1
	s_delay_alu instid0(VALU_DEP_3) | instskip(NEXT) | instid1(VALU_DEP_1)
	v_clz_i32_u32_e32 v1, v1
	v_min_u32_e32 v1, 32, v1
	s_delay_alu instid0(VALU_DEP_1) | instskip(NEXT) | instid1(VALU_DEP_1)
	v_subrev_nc_u32_e32 v22, 28, v1
	v_lshlrev_b64_e32 v[24:25], v22, v[10:11]
	s_delay_alu instid0(VALU_DEP_1)
	v_dual_sub_nc_u32 v22, 29, v1 :: v_dual_bitop2_b32 v1, 7, v24 bitop3:0x40
; %bb.513:                              ;   in Loop: Header=BB241_433 Depth=1
	s_or_b32 exec_lo, exec_lo, s26
	s_delay_alu instid0(VALU_DEP_1) | instskip(NEXT) | instid1(VALU_DEP_2)
	v_dual_lshlrev_b32 v10, 8, v19 :: v_dual_lshlrev_b32 v1, 23, v1
	v_lshl_add_u32 v19, v22, 10, 0x2000
	s_delay_alu instid0(VALU_DEP_1) | instskip(NEXT) | instid1(VALU_DEP_1)
	v_and_or_b32 v10, 0x8000, v10, v19
	v_lshl_or_b32 v1, v10, 16, v1
.LBB241_514:                            ;   in Loop: Header=BB241_433 Depth=1
	s_or_b32 exec_lo, exec_lo, s25
.LBB241_515:                            ;   in Loop: Header=BB241_433 Depth=1
	s_delay_alu instid0(SALU_CYCLE_1)
	s_or_b32 exec_lo, exec_lo, s24
.LBB241_516:                            ;   in Loop: Header=BB241_433 Depth=1
	s_delay_alu instid0(SALU_CYCLE_1) | instskip(SKIP_3) | instid1(VALU_DEP_2)
	s_or_b32 exec_lo, exec_lo, s23
	v_dual_mov_b32 v19, 0 :: v_dual_lshrrev_b32 v10, 16, v20
	v_mov_b32_e32 v22, 0
	s_mov_b32 s23, exec_lo
	v_and_b32_e32 v23, 0xff, v10
	s_delay_alu instid0(VALU_DEP_1)
	v_cmpx_ne_u16_e32 0, v23
	s_cbranch_execz .LBB241_524
; %bb.517:                              ;   in Loop: Header=BB241_433 Depth=1
	v_mov_b32_e32 v22, 0x8000
	s_mov_b32 s24, exec_lo
	v_cmpx_ne_u16_e32 0x80, v23
	s_cbranch_execz .LBB241_523
; %bb.518:                              ;   in Loop: Header=BB241_433 Depth=1
	v_bfe_u32 v24, v20, 16, 7
	v_mov_b32_e32 v22, 0x7c01
	s_mov_b32 s25, exec_lo
	s_delay_alu instid0(VALU_DEP_2)
	v_cmpx_ne_u32_e32 0x7f, v24
	s_cbranch_execz .LBB241_522
; %bb.519:                              ;   in Loop: Header=BB241_433 Depth=1
	v_dual_lshrrev_b32 v23, 3, v24 :: v_dual_bitop2_b32 v22, 7, v10 bitop3:0x40
	s_mov_b32 s26, exec_lo
	v_cmpx_gt_u32_e32 8, v24
; %bb.520:                              ;   in Loop: Header=BB241_433 Depth=1
	s_delay_alu instid0(VALU_DEP_2) | instskip(NEXT) | instid1(VALU_DEP_1)
	v_clz_i32_u32_e32 v22, v22
	v_min_u32_e32 v24, 32, v22
	s_delay_alu instid0(VALU_DEP_1) | instskip(NEXT) | instid1(VALU_DEP_1)
	v_subrev_nc_u32_e32 v22, 28, v24
	v_lshlrev_b64_e32 v[22:23], v22, v[10:11]
	s_delay_alu instid0(VALU_DEP_1)
	v_dual_sub_nc_u32 v23, 29, v24 :: v_dual_bitop2_b32 v22, 7, v22 bitop3:0x40
; %bb.521:                              ;   in Loop: Header=BB241_433 Depth=1
	s_or_b32 exec_lo, exec_lo, s26
	v_lshlrev_b32_e32 v10, 8, v10
	s_delay_alu instid0(VALU_DEP_2) | instskip(NEXT) | instid1(VALU_DEP_3)
	v_lshl_add_u32 v23, v23, 10, 0x2000
	v_lshlrev_b32_e32 v22, 7, v22
	s_delay_alu instid0(VALU_DEP_3) | instskip(NEXT) | instid1(VALU_DEP_3)
	v_and_b32_e32 v10, 0x8000, v10
	v_and_b32_e32 v23, 0xfc00, v23
	s_delay_alu instid0(VALU_DEP_1)
	v_or3_b32 v22, v10, v23, v22
.LBB241_522:                            ;   in Loop: Header=BB241_433 Depth=1
	s_or_b32 exec_lo, exec_lo, s25
.LBB241_523:                            ;   in Loop: Header=BB241_433 Depth=1
	s_delay_alu instid0(SALU_CYCLE_1)
	s_or_b32 exec_lo, exec_lo, s24
.LBB241_524:                            ;   in Loop: Header=BB241_433 Depth=1
	s_delay_alu instid0(SALU_CYCLE_1) | instskip(NEXT) | instid1(SALU_CYCLE_1)
	s_or_b32 exec_lo, exec_lo, s23
	s_mov_b32 s23, exec_lo
	v_cmpx_lt_u32_e32 0xffffff, v20
	s_cbranch_execz .LBB241_532
; %bb.525:                              ;   in Loop: Header=BB241_433 Depth=1
	v_lshrrev_b32_e32 v10, 24, v20
	v_bfrev_b32_e32 v19, 1
	s_mov_b32 s24, exec_lo
	s_delay_alu instid0(VALU_DEP_2)
	v_cmpx_ne_u32_e32 0x80, v10
	s_cbranch_execz .LBB241_531
; %bb.526:                              ;   in Loop: Header=BB241_433 Depth=1
	v_and_b32_e32 v24, 0x7f, v10
	v_mov_b32_e32 v19, 0x7c010000
	s_mov_b32 s25, exec_lo
	s_delay_alu instid0(VALU_DEP_2)
	v_cmpx_ne_u32_e32 0x7f, v24
	s_cbranch_execz .LBB241_530
; %bb.527:                              ;   in Loop: Header=BB241_433 Depth=1
	v_dual_lshrrev_b32 v23, 3, v24 :: v_dual_bitop2_b32 v19, 7, v10 bitop3:0x40
	s_mov_b32 s26, exec_lo
	v_cmpx_gt_u32_e32 8, v24
; %bb.528:                              ;   in Loop: Header=BB241_433 Depth=1
	s_delay_alu instid0(VALU_DEP_2) | instskip(NEXT) | instid1(VALU_DEP_1)
	v_clz_i32_u32_e32 v19, v19
	v_min_u32_e32 v19, 32, v19
	s_delay_alu instid0(VALU_DEP_1) | instskip(NEXT) | instid1(VALU_DEP_1)
	v_subrev_nc_u32_e32 v23, 28, v19
	v_lshlrev_b64_e32 v[24:25], v23, v[10:11]
	s_delay_alu instid0(VALU_DEP_1)
	v_dual_sub_nc_u32 v23, 29, v19 :: v_dual_bitop2_b32 v19, 7, v24 bitop3:0x40
; %bb.529:                              ;   in Loop: Header=BB241_433 Depth=1
	s_or_b32 exec_lo, exec_lo, s26
	s_delay_alu instid0(VALU_DEP_1) | instskip(NEXT) | instid1(VALU_DEP_2)
	v_dual_lshlrev_b32 v10, 8, v10 :: v_dual_lshlrev_b32 v19, 23, v19
	v_lshl_add_u32 v23, v23, 10, 0x2000
	s_delay_alu instid0(VALU_DEP_1) | instskip(NEXT) | instid1(VALU_DEP_1)
	v_and_or_b32 v10, 0x8000, v10, v23
	v_lshl_or_b32 v19, v10, 16, v19
.LBB241_530:                            ;   in Loop: Header=BB241_433 Depth=1
	s_or_b32 exec_lo, exec_lo, s25
.LBB241_531:                            ;   in Loop: Header=BB241_433 Depth=1
	s_delay_alu instid0(SALU_CYCLE_1)
	s_or_b32 exec_lo, exec_lo, s24
.LBB241_532:                            ;   in Loop: Header=BB241_433 Depth=1
	s_delay_alu instid0(SALU_CYCLE_1) | instskip(SKIP_4) | instid1(VALU_DEP_3)
	s_or_b32 exec_lo, exec_lo, s23
	v_and_b32_e32 v25, 0xff, v21
	v_dual_mov_b32 v10, v21 :: v_dual_mov_b32 v24, 0
	v_mov_b32_e32 v23, 0
	s_mov_b32 s23, exec_lo
	v_cmpx_ne_u16_e32 0, v25
	s_cbranch_execz .LBB241_540
; %bb.533:                              ;   in Loop: Header=BB241_433 Depth=1
	v_mov_b32_e32 v23, 0x8000
	s_mov_b32 s24, exec_lo
	v_cmpx_ne_u16_e32 0x80, v25
	s_cbranch_execz .LBB241_539
; %bb.534:                              ;   in Loop: Header=BB241_433 Depth=1
	v_and_b32_e32 v26, 0x7f, v21
	v_mov_b32_e32 v23, 0x7c01
	s_mov_b32 s25, exec_lo
	s_delay_alu instid0(VALU_DEP_2)
	v_cmpx_ne_u32_e32 0x7f, v26
	s_cbranch_execz .LBB241_538
; %bb.535:                              ;   in Loop: Header=BB241_433 Depth=1
	v_dual_lshrrev_b32 v25, 3, v26 :: v_dual_bitop2_b32 v23, 7, v21 bitop3:0x40
	s_mov_b32 s26, exec_lo
	v_cmpx_gt_u32_e32 8, v26
; %bb.536:                              ;   in Loop: Header=BB241_433 Depth=1
	s_delay_alu instid0(VALU_DEP_2) | instskip(NEXT) | instid1(VALU_DEP_1)
	v_clz_i32_u32_e32 v23, v23
	v_min_u32_e32 v23, 32, v23
	s_delay_alu instid0(VALU_DEP_1) | instskip(NEXT) | instid1(VALU_DEP_1)
	v_subrev_nc_u32_e32 v25, 28, v23
	v_lshlrev_b64_e32 v[38:39], v25, v[10:11]
	s_delay_alu instid0(VALU_DEP_1)
	v_dual_sub_nc_u32 v25, 29, v23 :: v_dual_bitop2_b32 v23, 7, v38 bitop3:0x40
; %bb.537:                              ;   in Loop: Header=BB241_433 Depth=1
	s_or_b32 exec_lo, exec_lo, s26
	s_delay_alu instid0(VALU_DEP_1) | instskip(NEXT) | instid1(VALU_DEP_2)
	v_dual_lshlrev_b32 v26, 8, v21 :: v_dual_lshlrev_b32 v23, 7, v23
	v_lshl_add_u32 v25, v25, 10, 0x2000
	s_delay_alu instid0(VALU_DEP_2) | instskip(NEXT) | instid1(VALU_DEP_2)
	v_and_b32_e32 v26, 0x8000, v26
	v_and_b32_e32 v25, 0xfc00, v25
	s_delay_alu instid0(VALU_DEP_1)
	v_or3_b32 v23, v26, v25, v23
.LBB241_538:                            ;   in Loop: Header=BB241_433 Depth=1
	s_or_b32 exec_lo, exec_lo, s25
.LBB241_539:                            ;   in Loop: Header=BB241_433 Depth=1
	s_delay_alu instid0(SALU_CYCLE_1)
	s_or_b32 exec_lo, exec_lo, s24
.LBB241_540:                            ;   in Loop: Header=BB241_433 Depth=1
	s_delay_alu instid0(SALU_CYCLE_1) | instskip(SKIP_3) | instid1(VALU_DEP_2)
	s_or_b32 exec_lo, exec_lo, s23
	v_lshrrev_b16 v10, 8, v10
	v_mov_b32_e32 v25, 0
	s_mov_b32 s23, exec_lo
	v_cmpx_ne_u16_e32 0, v10
	s_cbranch_execz .LBB241_548
; %bb.541:                              ;   in Loop: Header=BB241_433 Depth=1
	v_bfrev_b32_e32 v25, 1
	s_mov_b32 s24, exec_lo
	v_cmpx_ne_u16_e32 0x80, v10
	s_cbranch_execz .LBB241_547
; %bb.542:                              ;   in Loop: Header=BB241_433 Depth=1
	v_and_b32_e32 v26, 0xffff, v10
	v_mov_b32_e32 v25, 0x7c010000
	s_mov_b32 s25, exec_lo
	s_delay_alu instid0(VALU_DEP_2) | instskip(NEXT) | instid1(VALU_DEP_1)
	v_and_b32_e32 v39, 0x7f, v26
	v_cmpx_ne_u32_e32 0x7f, v39
	s_cbranch_execz .LBB241_546
; %bb.543:                              ;   in Loop: Header=BB241_433 Depth=1
	v_dual_lshrrev_b32 v38, 3, v39 :: v_dual_bitop2_b32 v25, 7, v26 bitop3:0x40
	s_mov_b32 s26, exec_lo
	v_cmpx_gt_u32_e32 8, v39
; %bb.544:                              ;   in Loop: Header=BB241_433 Depth=1
	s_delay_alu instid0(VALU_DEP_2) | instskip(NEXT) | instid1(VALU_DEP_1)
	v_clz_i32_u32_e32 v25, v25
	v_min_u32_e32 v25, 32, v25
	s_delay_alu instid0(VALU_DEP_1) | instskip(NEXT) | instid1(VALU_DEP_1)
	v_subrev_nc_u32_e32 v38, 28, v25
	v_lshlrev_b64_e32 v[46:47], v38, v[10:11]
	s_delay_alu instid0(VALU_DEP_1)
	v_dual_sub_nc_u32 v38, 29, v25 :: v_dual_bitop2_b32 v25, 7, v46 bitop3:0x40
; %bb.545:                              ;   in Loop: Header=BB241_433 Depth=1
	s_or_b32 exec_lo, exec_lo, s26
	s_delay_alu instid0(VALU_DEP_1) | instskip(NEXT) | instid1(VALU_DEP_2)
	v_dual_lshlrev_b32 v10, 8, v26 :: v_dual_lshlrev_b32 v25, 23, v25
	v_lshl_add_u32 v26, v38, 10, 0x2000
	s_delay_alu instid0(VALU_DEP_1) | instskip(NEXT) | instid1(VALU_DEP_1)
	v_and_or_b32 v10, 0x8000, v10, v26
	v_lshl_or_b32 v25, v10, 16, v25
.LBB241_546:                            ;   in Loop: Header=BB241_433 Depth=1
	s_or_b32 exec_lo, exec_lo, s25
.LBB241_547:                            ;   in Loop: Header=BB241_433 Depth=1
	s_delay_alu instid0(SALU_CYCLE_1)
	s_or_b32 exec_lo, exec_lo, s24
.LBB241_548:                            ;   in Loop: Header=BB241_433 Depth=1
	s_delay_alu instid0(SALU_CYCLE_1) | instskip(SKIP_2) | instid1(VALU_DEP_1)
	s_or_b32 exec_lo, exec_lo, s23
	v_lshrrev_b32_e32 v10, 16, v21
	s_mov_b32 s23, exec_lo
	v_and_b32_e32 v26, 0xff, v10
	s_delay_alu instid0(VALU_DEP_1)
	v_cmpx_ne_u16_e32 0, v26
	s_cbranch_execz .LBB241_556
; %bb.549:                              ;   in Loop: Header=BB241_433 Depth=1
	v_mov_b32_e32 v24, 0x8000
	s_mov_b32 s24, exec_lo
	v_cmpx_ne_u16_e32 0x80, v26
	s_cbranch_execz .LBB241_555
; %bb.550:                              ;   in Loop: Header=BB241_433 Depth=1
	v_bfe_u32 v38, v21, 16, 7
	v_mov_b32_e32 v24, 0x7c01
	s_mov_b32 s25, exec_lo
	s_delay_alu instid0(VALU_DEP_2)
	v_cmpx_ne_u32_e32 0x7f, v38
	s_cbranch_execz .LBB241_554
; %bb.551:                              ;   in Loop: Header=BB241_433 Depth=1
	v_and_b32_e32 v24, 7, v10
	v_lshrrev_b32_e32 v26, 3, v38
	s_mov_b32 s26, exec_lo
	v_cmpx_gt_u32_e32 8, v38
; %bb.552:                              ;   in Loop: Header=BB241_433 Depth=1
	s_delay_alu instid0(VALU_DEP_3) | instskip(NEXT) | instid1(VALU_DEP_1)
	v_clz_i32_u32_e32 v24, v24
	v_min_u32_e32 v24, 32, v24
	s_delay_alu instid0(VALU_DEP_1) | instskip(NEXT) | instid1(VALU_DEP_1)
	v_subrev_nc_u32_e32 v26, 28, v24
	v_lshlrev_b64_e32 v[38:39], v26, v[10:11]
	s_delay_alu instid0(VALU_DEP_1)
	v_dual_sub_nc_u32 v26, 29, v24 :: v_dual_bitop2_b32 v24, 7, v38 bitop3:0x40
; %bb.553:                              ;   in Loop: Header=BB241_433 Depth=1
	s_or_b32 exec_lo, exec_lo, s26
	s_delay_alu instid0(VALU_DEP_1) | instskip(NEXT) | instid1(VALU_DEP_2)
	v_dual_lshlrev_b32 v10, 8, v10 :: v_dual_lshlrev_b32 v24, 7, v24
	v_lshl_add_u32 v26, v26, 10, 0x2000
	s_delay_alu instid0(VALU_DEP_2) | instskip(NEXT) | instid1(VALU_DEP_2)
	v_and_b32_e32 v10, 0x8000, v10
	v_and_b32_e32 v26, 0xfc00, v26
	s_delay_alu instid0(VALU_DEP_1)
	v_or3_b32 v24, v10, v26, v24
.LBB241_554:                            ;   in Loop: Header=BB241_433 Depth=1
	s_or_b32 exec_lo, exec_lo, s25
.LBB241_555:                            ;   in Loop: Header=BB241_433 Depth=1
	s_delay_alu instid0(SALU_CYCLE_1)
	s_or_b32 exec_lo, exec_lo, s24
.LBB241_556:                            ;   in Loop: Header=BB241_433 Depth=1
	s_delay_alu instid0(SALU_CYCLE_1)
	s_or_b32 exec_lo, exec_lo, s23
	v_cmp_lt_u64_e64 s0, s[8:9], v[20:21]
	v_mov_b32_e32 v20, 0
	s_and_saveexec_b32 s23, s0
	s_cbranch_execz .LBB241_564
; %bb.557:                              ;   in Loop: Header=BB241_433 Depth=1
	v_lshrrev_b32_e32 v10, 24, v21
	v_bfrev_b32_e32 v20, 1
	s_mov_b32 s24, exec_lo
	s_delay_alu instid0(VALU_DEP_2)
	v_cmpx_ne_u32_e32 0x80, v10
	s_cbranch_execz .LBB241_563
; %bb.558:                              ;   in Loop: Header=BB241_433 Depth=1
	v_and_b32_e32 v26, 0x7f, v10
	v_mov_b32_e32 v20, 0x7c010000
	s_mov_b32 s25, exec_lo
	s_delay_alu instid0(VALU_DEP_2)
	v_cmpx_ne_u32_e32 0x7f, v26
	s_cbranch_execz .LBB241_562
; %bb.559:                              ;   in Loop: Header=BB241_433 Depth=1
	v_and_b32_e32 v20, 7, v10
	v_lshrrev_b32_e32 v21, 3, v26
	s_mov_b32 s26, exec_lo
	v_cmpx_gt_u32_e32 8, v26
; %bb.560:                              ;   in Loop: Header=BB241_433 Depth=1
	s_delay_alu instid0(VALU_DEP_3) | instskip(NEXT) | instid1(VALU_DEP_1)
	v_clz_i32_u32_e32 v20, v20
	v_min_u32_e32 v26, 32, v20
	s_delay_alu instid0(VALU_DEP_1) | instskip(NEXT) | instid1(VALU_DEP_1)
	v_subrev_nc_u32_e32 v20, 28, v26
	v_lshlrev_b64_e32 v[20:21], v20, v[10:11]
	s_delay_alu instid0(VALU_DEP_1)
	v_dual_sub_nc_u32 v21, 29, v26 :: v_dual_bitop2_b32 v20, 7, v20 bitop3:0x40
; %bb.561:                              ;   in Loop: Header=BB241_433 Depth=1
	s_or_b32 exec_lo, exec_lo, s26
	s_delay_alu instid0(VALU_DEP_1) | instskip(NEXT) | instid1(VALU_DEP_2)
	v_dual_lshlrev_b32 v10, 8, v10 :: v_dual_lshlrev_b32 v20, 23, v20
	v_lshl_add_u32 v21, v21, 10, 0x2000
	s_delay_alu instid0(VALU_DEP_1) | instskip(NEXT) | instid1(VALU_DEP_1)
	v_and_or_b32 v10, 0x8000, v10, v21
	v_lshl_or_b32 v20, v10, 16, v20
.LBB241_562:                            ;   in Loop: Header=BB241_433 Depth=1
	s_or_b32 exec_lo, exec_lo, s25
.LBB241_563:                            ;   in Loop: Header=BB241_433 Depth=1
	s_delay_alu instid0(SALU_CYCLE_1)
	s_or_b32 exec_lo, exec_lo, s24
.LBB241_564:                            ;   in Loop: Header=BB241_433 Depth=1
	s_delay_alu instid0(SALU_CYCLE_1) | instskip(SKIP_3) | instid1(VALU_DEP_3)
	s_or_b32 exec_lo, exec_lo, s23
	v_dual_lshrrev_b32 v10, 16, v1 :: v_dual_lshrrev_b32 v21, 16, v19
	v_or_b32_e32 v1, v1, v3
	v_dual_lshrrev_b32 v22, 16, v20 :: v_dual_bitop2_b32 v3, v19, v22 bitop3:0x54
	v_cvt_f32_f16_e32 v39, v10
	s_delay_alu instid0(VALU_DEP_4) | instskip(SKIP_4) | instid1(VALU_DEP_3)
	v_cvt_f32_f16_e32 v38, v21
	v_lshrrev_b32_e32 v19, 16, v25
	v_cvt_f32_f16_e32 v21, v1
	v_cvt_f32_f16_e32 v22, v22
	s_wait_loadcnt 0x0
	v_pk_mul_f32 v[38:39], v[18:19], v[38:39] op_sel_hi:[0,1]
	s_delay_alu instid0(VALU_DEP_1) | instskip(SKIP_4) | instid1(VALU_DEP_3)
	v_cvt_pk_f16_f32 v1, v38, v39
	v_or_b32_e32 v10, v20, v24
	v_cvt_f32_f16_e32 v20, v3
	v_or_b32_e32 v3, v25, v23
	v_cvt_f32_f16_e32 v23, v19
	v_pk_mul_f32 v[20:21], v[18:19], v[20:21] op_sel_hi:[0,1]
	s_delay_alu instid0(VALU_DEP_3) | instskip(NEXT) | instid1(VALU_DEP_3)
	v_cvt_f32_f16_e32 v25, v3
	v_pk_mul_f32 v[22:23], v[18:19], v[22:23] op_sel_hi:[0,1]
	s_delay_alu instid0(VALU_DEP_3) | instskip(SKIP_2) | instid1(VALU_DEP_4)
	v_cvt_pk_f16_f32 v3, v20, v21
	v_lshlrev_b32_e32 v20, 16, v1
	v_cvt_f32_f16_e32 v24, v10
	v_cvt_pk_f16_f32 v10, v22, v23
	s_delay_alu instid0(VALU_DEP_4) | instskip(NEXT) | instid1(VALU_DEP_3)
	v_and_b32_e32 v26, 0xffff, v3
	v_pk_mul_f32 v[24:25], v[18:19], v[24:25] op_sel_hi:[0,1]
	v_and_b32_e32 v19, 0xffff0000, v1
	s_delay_alu instid0(VALU_DEP_4) | instskip(SKIP_1) | instid1(VALU_DEP_4)
	v_and_b32_e32 v1, 0xffff0000, v10
	v_lshlrev_b32_e32 v10, 16, v10
	v_cvt_pk_f16_f32 v18, v24, v25
	v_dual_lshrrev_b32 v25, 16, v3 :: v_dual_bitop2_b32 v24, v20, v26 bitop3:0x54
	s_delay_alu instid0(VALU_DEP_2) | instskip(SKIP_1) | instid1(VALU_DEP_3)
	v_lshrrev_b32_e32 v3, 16, v18
	v_and_b32_e32 v18, 0xffff, v18
	v_or_b32_e32 v23, v19, v25
	s_delay_alu instid0(VALU_DEP_3) | instskip(NEXT) | instid1(VALU_DEP_3)
	v_or_b32_e32 v21, v1, v3
	v_or_b32_e32 v22, v10, v18
	s_and_saveexec_b32 s23, vcc_lo
	s_cbranch_execz .LBB241_566
; %bb.565:                              ;   in Loop: Header=BB241_433 Depth=1
	v_cmp_gt_i32_e64 s0, s18, v2
	s_delay_alu instid0(VALU_DEP_1) | instskip(SKIP_1) | instid1(VALU_DEP_1)
	v_cndmask_b32_e64 v21, 0, v25, s0
	v_cmp_gt_i32_e64 s0, s34, v37
	v_cndmask_b32_e64 v22, 0, v26, s0
	v_cmp_gt_i32_e64 s0, s18, v36
	s_delay_alu instid0(VALU_DEP_1) | instskip(SKIP_1) | instid1(VALU_DEP_1)
	v_cndmask_b32_e64 v19, 0, v19, s0
	v_cmp_gt_i32_e64 s0, s34, v35
	v_cndmask_b32_e64 v20, 0, v20, s0
	v_cmp_gt_i32_e64 s0, s18, v34
	s_delay_alu instid0(VALU_DEP_4) | instskip(NEXT) | instid1(VALU_DEP_2)
	v_or_b32_e32 v23, v19, v21
	v_dual_cndmask_b32 v3, 0, v3, s0 :: v_dual_bitop2_b32 v24, v20, v22 bitop3:0x54
	v_cmp_gt_i32_e64 s0, s34, v33
	s_delay_alu instid0(VALU_DEP_1) | instskip(SKIP_1) | instid1(VALU_DEP_1)
	v_cndmask_b32_e64 v18, 0, v18, s0
	v_cmp_gt_i32_e64 s0, s18, v32
	v_cndmask_b32_e64 v1, 0, v1, s0
	v_cmp_gt_i32_e64 s0, s34, v31
	s_delay_alu instid0(VALU_DEP_1) | instskip(NEXT) | instid1(VALU_DEP_1)
	v_dual_cndmask_b32 v10, 0, v10, s0 :: v_dual_bitop2_b32 v21, v1, v3 bitop3:0x54
	v_or_b32_e32 v22, v10, v18
.LBB241_566:                            ;   in Loop: Header=BB241_433 Depth=1
	s_or_b32 exec_lo, exec_lo, s23
	;;#ASMSTART
	v_pk_mul_f16 v1, v45, v23;

	;;#ASMEND
	;;#ASMSTART
	v_pk_mul_f16 v3, v43, v24;

	;;#ASMEND
	;;#ASMSTART
	v_pk_mul_f16 v10, v41, v21;

	;;#ASMEND
	;;#ASMSTART
	v_pk_mul_f16 v18, v40, v22;

	;;#ASMEND
	;;#ASMSTART
	v_pk_add_f16 v1, v1, v3;

	;;#ASMEND
	;;#ASMSTART
	v_pk_add_f16 v1, v1, v10;

	;;#ASMEND
	;; [unrolled: 4-line block ×3, first 2 shown]
	v_and_b32_e32 v3, 0xffff, v1
	v_lshrrev_b32_e32 v1, 16, v1
	;;#ASMSTART
	v_cvt_f32_f16 v46, v3;
	;;#ASMEND
	v_mov_b32_e32 v3, 0
	;;#ASMSTART
	v_cvt_f32_f16 v47, v1;
	;;#ASMEND
	global_load_b64 v[20:21], v[16:17], off offset:512
	v_mov_b32_e32 v1, 0
	s_mov_b32 s23, exec_lo
	global_load_b32 v18, v1, s[10:11]
	s_wait_loadcnt 0x1
	v_and_b32_e32 v10, 0xff, v20
	s_wait_xcnt 0x0
	s_delay_alu instid0(VALU_DEP_1)
	v_cmpx_ne_u16_e32 0, v10
	s_cbranch_execz .LBB241_574
; %bb.567:                              ;   in Loop: Header=BB241_433 Depth=1
	v_mov_b32_e32 v3, 0x8000
	s_mov_b32 s24, exec_lo
	v_cmpx_ne_u16_e32 0x80, v10
	s_cbranch_execz .LBB241_573
; %bb.568:                              ;   in Loop: Header=BB241_433 Depth=1
	v_and_b32_e32 v19, 0x7f, v20
	v_mov_b32_e32 v3, 0x7c01
	s_mov_b32 s25, exec_lo
	s_delay_alu instid0(VALU_DEP_2)
	v_cmpx_ne_u32_e32 0x7f, v19
	s_cbranch_execz .LBB241_572
; %bb.569:                              ;   in Loop: Header=BB241_433 Depth=1
	v_dual_lshrrev_b32 v10, 3, v19 :: v_dual_bitop2_b32 v3, 7, v20 bitop3:0x40
	s_mov_b32 s26, exec_lo
	v_cmpx_gt_u32_e32 8, v19
; %bb.570:                              ;   in Loop: Header=BB241_433 Depth=1
	s_delay_alu instid0(VALU_DEP_2) | instskip(NEXT) | instid1(VALU_DEP_1)
	v_clz_i32_u32_e32 v3, v3
	v_min_u32_e32 v3, 32, v3
	s_delay_alu instid0(VALU_DEP_1) | instskip(NEXT) | instid1(VALU_DEP_1)
	v_subrev_nc_u32_e32 v10, 28, v3
	v_lshlrev_b64_e32 v[22:23], v10, v[20:21]
	s_delay_alu instid0(VALU_DEP_1)
	v_dual_sub_nc_u32 v10, 29, v3 :: v_dual_bitop2_b32 v3, 7, v22 bitop3:0x40
; %bb.571:                              ;   in Loop: Header=BB241_433 Depth=1
	s_or_b32 exec_lo, exec_lo, s26
	s_delay_alu instid0(VALU_DEP_1) | instskip(NEXT) | instid1(VALU_DEP_2)
	v_dual_lshlrev_b32 v19, 8, v20 :: v_dual_lshlrev_b32 v3, 7, v3
	v_lshl_add_u32 v10, v10, 10, 0x2000
	s_delay_alu instid0(VALU_DEP_2) | instskip(NEXT) | instid1(VALU_DEP_2)
	v_and_b32_e32 v19, 0x8000, v19
	v_and_b32_e32 v10, 0xfc00, v10
	s_delay_alu instid0(VALU_DEP_1)
	v_or3_b32 v3, v19, v10, v3
.LBB241_572:                            ;   in Loop: Header=BB241_433 Depth=1
	s_or_b32 exec_lo, exec_lo, s25
.LBB241_573:                            ;   in Loop: Header=BB241_433 Depth=1
	s_delay_alu instid0(SALU_CYCLE_1)
	s_or_b32 exec_lo, exec_lo, s24
.LBB241_574:                            ;   in Loop: Header=BB241_433 Depth=1
	s_delay_alu instid0(SALU_CYCLE_1) | instskip(SKIP_2) | instid1(VALU_DEP_1)
	s_or_b32 exec_lo, exec_lo, s23
	v_lshrrev_b16 v10, 8, v20
	s_mov_b32 s23, exec_lo
	v_cmpx_ne_u16_e32 0, v10
	s_cbranch_execz .LBB241_582
; %bb.575:                              ;   in Loop: Header=BB241_433 Depth=1
	v_bfrev_b32_e32 v1, 1
	s_mov_b32 s24, exec_lo
	v_cmpx_ne_u16_e32 0x80, v10
	s_cbranch_execz .LBB241_581
; %bb.576:                              ;   in Loop: Header=BB241_433 Depth=1
	v_and_b32_e32 v19, 0xffff, v10
	v_mov_b32_e32 v1, 0x7c010000
	s_mov_b32 s25, exec_lo
	s_delay_alu instid0(VALU_DEP_2) | instskip(NEXT) | instid1(VALU_DEP_1)
	v_and_b32_e32 v23, 0x7f, v19
	v_cmpx_ne_u32_e32 0x7f, v23
	s_cbranch_execz .LBB241_580
; %bb.577:                              ;   in Loop: Header=BB241_433 Depth=1
	v_and_b32_e32 v1, 7, v19
	v_lshrrev_b32_e32 v22, 3, v23
	s_mov_b32 s26, exec_lo
	v_cmpx_gt_u32_e32 8, v23
; %bb.578:                              ;   in Loop: Header=BB241_433 Depth=1
	s_delay_alu instid0(VALU_DEP_3) | instskip(NEXT) | instid1(VALU_DEP_1)
	v_clz_i32_u32_e32 v1, v1
	v_min_u32_e32 v1, 32, v1
	s_delay_alu instid0(VALU_DEP_1) | instskip(NEXT) | instid1(VALU_DEP_1)
	v_subrev_nc_u32_e32 v22, 28, v1
	v_lshlrev_b64_e32 v[24:25], v22, v[10:11]
	s_delay_alu instid0(VALU_DEP_1)
	v_dual_sub_nc_u32 v22, 29, v1 :: v_dual_bitop2_b32 v1, 7, v24 bitop3:0x40
; %bb.579:                              ;   in Loop: Header=BB241_433 Depth=1
	s_or_b32 exec_lo, exec_lo, s26
	s_delay_alu instid0(VALU_DEP_1) | instskip(NEXT) | instid1(VALU_DEP_2)
	v_dual_lshlrev_b32 v10, 8, v19 :: v_dual_lshlrev_b32 v1, 23, v1
	v_lshl_add_u32 v19, v22, 10, 0x2000
	s_delay_alu instid0(VALU_DEP_1) | instskip(NEXT) | instid1(VALU_DEP_1)
	v_and_or_b32 v10, 0x8000, v10, v19
	v_lshl_or_b32 v1, v10, 16, v1
.LBB241_580:                            ;   in Loop: Header=BB241_433 Depth=1
	s_or_b32 exec_lo, exec_lo, s25
.LBB241_581:                            ;   in Loop: Header=BB241_433 Depth=1
	s_delay_alu instid0(SALU_CYCLE_1)
	s_or_b32 exec_lo, exec_lo, s24
.LBB241_582:                            ;   in Loop: Header=BB241_433 Depth=1
	s_delay_alu instid0(SALU_CYCLE_1) | instskip(SKIP_3) | instid1(VALU_DEP_2)
	s_or_b32 exec_lo, exec_lo, s23
	v_dual_mov_b32 v19, 0 :: v_dual_lshrrev_b32 v10, 16, v20
	v_mov_b32_e32 v22, 0
	s_mov_b32 s23, exec_lo
	v_and_b32_e32 v23, 0xff, v10
	s_delay_alu instid0(VALU_DEP_1)
	v_cmpx_ne_u16_e32 0, v23
	s_cbranch_execz .LBB241_590
; %bb.583:                              ;   in Loop: Header=BB241_433 Depth=1
	v_mov_b32_e32 v22, 0x8000
	s_mov_b32 s24, exec_lo
	v_cmpx_ne_u16_e32 0x80, v23
	s_cbranch_execz .LBB241_589
; %bb.584:                              ;   in Loop: Header=BB241_433 Depth=1
	v_bfe_u32 v24, v20, 16, 7
	v_mov_b32_e32 v22, 0x7c01
	s_mov_b32 s25, exec_lo
	s_delay_alu instid0(VALU_DEP_2)
	v_cmpx_ne_u32_e32 0x7f, v24
	s_cbranch_execz .LBB241_588
; %bb.585:                              ;   in Loop: Header=BB241_433 Depth=1
	v_dual_lshrrev_b32 v23, 3, v24 :: v_dual_bitop2_b32 v22, 7, v10 bitop3:0x40
	s_mov_b32 s26, exec_lo
	v_cmpx_gt_u32_e32 8, v24
; %bb.586:                              ;   in Loop: Header=BB241_433 Depth=1
	s_delay_alu instid0(VALU_DEP_2) | instskip(NEXT) | instid1(VALU_DEP_1)
	v_clz_i32_u32_e32 v22, v22
	v_min_u32_e32 v24, 32, v22
	s_delay_alu instid0(VALU_DEP_1) | instskip(NEXT) | instid1(VALU_DEP_1)
	v_subrev_nc_u32_e32 v22, 28, v24
	v_lshlrev_b64_e32 v[22:23], v22, v[10:11]
	s_delay_alu instid0(VALU_DEP_1)
	v_dual_sub_nc_u32 v23, 29, v24 :: v_dual_bitop2_b32 v22, 7, v22 bitop3:0x40
; %bb.587:                              ;   in Loop: Header=BB241_433 Depth=1
	s_or_b32 exec_lo, exec_lo, s26
	v_lshlrev_b32_e32 v10, 8, v10
	s_delay_alu instid0(VALU_DEP_2) | instskip(NEXT) | instid1(VALU_DEP_3)
	v_lshl_add_u32 v23, v23, 10, 0x2000
	v_lshlrev_b32_e32 v22, 7, v22
	s_delay_alu instid0(VALU_DEP_3) | instskip(NEXT) | instid1(VALU_DEP_3)
	v_and_b32_e32 v10, 0x8000, v10
	v_and_b32_e32 v23, 0xfc00, v23
	s_delay_alu instid0(VALU_DEP_1)
	v_or3_b32 v22, v10, v23, v22
.LBB241_588:                            ;   in Loop: Header=BB241_433 Depth=1
	s_or_b32 exec_lo, exec_lo, s25
.LBB241_589:                            ;   in Loop: Header=BB241_433 Depth=1
	s_delay_alu instid0(SALU_CYCLE_1)
	s_or_b32 exec_lo, exec_lo, s24
.LBB241_590:                            ;   in Loop: Header=BB241_433 Depth=1
	s_delay_alu instid0(SALU_CYCLE_1) | instskip(NEXT) | instid1(SALU_CYCLE_1)
	s_or_b32 exec_lo, exec_lo, s23
	s_mov_b32 s23, exec_lo
	v_cmpx_lt_u32_e32 0xffffff, v20
	s_cbranch_execz .LBB241_598
; %bb.591:                              ;   in Loop: Header=BB241_433 Depth=1
	v_lshrrev_b32_e32 v10, 24, v20
	v_bfrev_b32_e32 v19, 1
	s_mov_b32 s24, exec_lo
	s_delay_alu instid0(VALU_DEP_2)
	v_cmpx_ne_u32_e32 0x80, v10
	s_cbranch_execz .LBB241_597
; %bb.592:                              ;   in Loop: Header=BB241_433 Depth=1
	v_and_b32_e32 v24, 0x7f, v10
	v_mov_b32_e32 v19, 0x7c010000
	s_mov_b32 s25, exec_lo
	s_delay_alu instid0(VALU_DEP_2)
	v_cmpx_ne_u32_e32 0x7f, v24
	s_cbranch_execz .LBB241_596
; %bb.593:                              ;   in Loop: Header=BB241_433 Depth=1
	v_dual_lshrrev_b32 v23, 3, v24 :: v_dual_bitop2_b32 v19, 7, v10 bitop3:0x40
	s_mov_b32 s26, exec_lo
	v_cmpx_gt_u32_e32 8, v24
; %bb.594:                              ;   in Loop: Header=BB241_433 Depth=1
	s_delay_alu instid0(VALU_DEP_2) | instskip(NEXT) | instid1(VALU_DEP_1)
	v_clz_i32_u32_e32 v19, v19
	v_min_u32_e32 v19, 32, v19
	s_delay_alu instid0(VALU_DEP_1) | instskip(NEXT) | instid1(VALU_DEP_1)
	v_subrev_nc_u32_e32 v23, 28, v19
	v_lshlrev_b64_e32 v[24:25], v23, v[10:11]
	s_delay_alu instid0(VALU_DEP_1)
	v_dual_sub_nc_u32 v23, 29, v19 :: v_dual_bitop2_b32 v19, 7, v24 bitop3:0x40
; %bb.595:                              ;   in Loop: Header=BB241_433 Depth=1
	s_or_b32 exec_lo, exec_lo, s26
	s_delay_alu instid0(VALU_DEP_1) | instskip(NEXT) | instid1(VALU_DEP_2)
	v_dual_lshlrev_b32 v10, 8, v10 :: v_dual_lshlrev_b32 v19, 23, v19
	v_lshl_add_u32 v23, v23, 10, 0x2000
	s_delay_alu instid0(VALU_DEP_1) | instskip(NEXT) | instid1(VALU_DEP_1)
	v_and_or_b32 v10, 0x8000, v10, v23
	v_lshl_or_b32 v19, v10, 16, v19
.LBB241_596:                            ;   in Loop: Header=BB241_433 Depth=1
	s_or_b32 exec_lo, exec_lo, s25
.LBB241_597:                            ;   in Loop: Header=BB241_433 Depth=1
	s_delay_alu instid0(SALU_CYCLE_1)
	s_or_b32 exec_lo, exec_lo, s24
.LBB241_598:                            ;   in Loop: Header=BB241_433 Depth=1
	s_delay_alu instid0(SALU_CYCLE_1) | instskip(SKIP_4) | instid1(VALU_DEP_3)
	s_or_b32 exec_lo, exec_lo, s23
	v_and_b32_e32 v25, 0xff, v21
	v_dual_mov_b32 v10, v21 :: v_dual_mov_b32 v24, 0
	v_mov_b32_e32 v23, 0
	s_mov_b32 s23, exec_lo
	v_cmpx_ne_u16_e32 0, v25
	s_cbranch_execz .LBB241_606
; %bb.599:                              ;   in Loop: Header=BB241_433 Depth=1
	v_mov_b32_e32 v23, 0x8000
	s_mov_b32 s24, exec_lo
	v_cmpx_ne_u16_e32 0x80, v25
	s_cbranch_execz .LBB241_605
; %bb.600:                              ;   in Loop: Header=BB241_433 Depth=1
	v_and_b32_e32 v26, 0x7f, v21
	v_mov_b32_e32 v23, 0x7c01
	s_mov_b32 s25, exec_lo
	s_delay_alu instid0(VALU_DEP_2)
	v_cmpx_ne_u32_e32 0x7f, v26
	s_cbranch_execz .LBB241_604
; %bb.601:                              ;   in Loop: Header=BB241_433 Depth=1
	v_dual_lshrrev_b32 v25, 3, v26 :: v_dual_bitop2_b32 v23, 7, v21 bitop3:0x40
	s_mov_b32 s26, exec_lo
	v_cmpx_gt_u32_e32 8, v26
; %bb.602:                              ;   in Loop: Header=BB241_433 Depth=1
	s_delay_alu instid0(VALU_DEP_2) | instskip(NEXT) | instid1(VALU_DEP_1)
	v_clz_i32_u32_e32 v23, v23
	v_min_u32_e32 v23, 32, v23
	s_delay_alu instid0(VALU_DEP_1) | instskip(NEXT) | instid1(VALU_DEP_1)
	v_subrev_nc_u32_e32 v25, 28, v23
	v_lshlrev_b64_e32 v[38:39], v25, v[10:11]
	s_delay_alu instid0(VALU_DEP_1)
	v_dual_sub_nc_u32 v25, 29, v23 :: v_dual_bitop2_b32 v23, 7, v38 bitop3:0x40
; %bb.603:                              ;   in Loop: Header=BB241_433 Depth=1
	s_or_b32 exec_lo, exec_lo, s26
	s_delay_alu instid0(VALU_DEP_1) | instskip(NEXT) | instid1(VALU_DEP_2)
	v_dual_lshlrev_b32 v26, 8, v21 :: v_dual_lshlrev_b32 v23, 7, v23
	v_lshl_add_u32 v25, v25, 10, 0x2000
	s_delay_alu instid0(VALU_DEP_2) | instskip(NEXT) | instid1(VALU_DEP_2)
	v_and_b32_e32 v26, 0x8000, v26
	v_and_b32_e32 v25, 0xfc00, v25
	s_delay_alu instid0(VALU_DEP_1)
	v_or3_b32 v23, v26, v25, v23
.LBB241_604:                            ;   in Loop: Header=BB241_433 Depth=1
	s_or_b32 exec_lo, exec_lo, s25
.LBB241_605:                            ;   in Loop: Header=BB241_433 Depth=1
	s_delay_alu instid0(SALU_CYCLE_1)
	s_or_b32 exec_lo, exec_lo, s24
.LBB241_606:                            ;   in Loop: Header=BB241_433 Depth=1
	s_delay_alu instid0(SALU_CYCLE_1) | instskip(SKIP_3) | instid1(VALU_DEP_2)
	s_or_b32 exec_lo, exec_lo, s23
	v_lshrrev_b16 v10, 8, v10
	v_mov_b32_e32 v25, 0
	s_mov_b32 s23, exec_lo
	v_cmpx_ne_u16_e32 0, v10
	s_cbranch_execz .LBB241_614
; %bb.607:                              ;   in Loop: Header=BB241_433 Depth=1
	v_bfrev_b32_e32 v25, 1
	s_mov_b32 s24, exec_lo
	v_cmpx_ne_u16_e32 0x80, v10
	s_cbranch_execz .LBB241_613
; %bb.608:                              ;   in Loop: Header=BB241_433 Depth=1
	v_and_b32_e32 v26, 0xffff, v10
	v_mov_b32_e32 v25, 0x7c010000
	s_mov_b32 s25, exec_lo
	s_delay_alu instid0(VALU_DEP_2) | instskip(NEXT) | instid1(VALU_DEP_1)
	v_and_b32_e32 v39, 0x7f, v26
	v_cmpx_ne_u32_e32 0x7f, v39
	s_cbranch_execz .LBB241_612
; %bb.609:                              ;   in Loop: Header=BB241_433 Depth=1
	v_dual_lshrrev_b32 v38, 3, v39 :: v_dual_bitop2_b32 v25, 7, v26 bitop3:0x40
	s_mov_b32 s26, exec_lo
	v_cmpx_gt_u32_e32 8, v39
; %bb.610:                              ;   in Loop: Header=BB241_433 Depth=1
	s_delay_alu instid0(VALU_DEP_2) | instskip(NEXT) | instid1(VALU_DEP_1)
	v_clz_i32_u32_e32 v25, v25
	v_min_u32_e32 v25, 32, v25
	s_delay_alu instid0(VALU_DEP_1) | instskip(NEXT) | instid1(VALU_DEP_1)
	v_subrev_nc_u32_e32 v38, 28, v25
	v_lshlrev_b64_e32 v[48:49], v38, v[10:11]
	s_delay_alu instid0(VALU_DEP_1)
	v_dual_sub_nc_u32 v38, 29, v25 :: v_dual_bitop2_b32 v25, 7, v48 bitop3:0x40
; %bb.611:                              ;   in Loop: Header=BB241_433 Depth=1
	s_or_b32 exec_lo, exec_lo, s26
	s_delay_alu instid0(VALU_DEP_1) | instskip(NEXT) | instid1(VALU_DEP_2)
	v_dual_lshlrev_b32 v10, 8, v26 :: v_dual_lshlrev_b32 v25, 23, v25
	v_lshl_add_u32 v26, v38, 10, 0x2000
	s_delay_alu instid0(VALU_DEP_1) | instskip(NEXT) | instid1(VALU_DEP_1)
	v_and_or_b32 v10, 0x8000, v10, v26
	v_lshl_or_b32 v25, v10, 16, v25
.LBB241_612:                            ;   in Loop: Header=BB241_433 Depth=1
	s_or_b32 exec_lo, exec_lo, s25
.LBB241_613:                            ;   in Loop: Header=BB241_433 Depth=1
	s_delay_alu instid0(SALU_CYCLE_1)
	s_or_b32 exec_lo, exec_lo, s24
.LBB241_614:                            ;   in Loop: Header=BB241_433 Depth=1
	s_delay_alu instid0(SALU_CYCLE_1) | instskip(SKIP_2) | instid1(VALU_DEP_1)
	s_or_b32 exec_lo, exec_lo, s23
	v_lshrrev_b32_e32 v10, 16, v21
	s_mov_b32 s23, exec_lo
	v_and_b32_e32 v26, 0xff, v10
	s_delay_alu instid0(VALU_DEP_1)
	v_cmpx_ne_u16_e32 0, v26
	s_cbranch_execz .LBB241_622
; %bb.615:                              ;   in Loop: Header=BB241_433 Depth=1
	v_mov_b32_e32 v24, 0x8000
	s_mov_b32 s24, exec_lo
	v_cmpx_ne_u16_e32 0x80, v26
	s_cbranch_execz .LBB241_621
; %bb.616:                              ;   in Loop: Header=BB241_433 Depth=1
	v_bfe_u32 v38, v21, 16, 7
	v_mov_b32_e32 v24, 0x7c01
	s_mov_b32 s25, exec_lo
	s_delay_alu instid0(VALU_DEP_2)
	v_cmpx_ne_u32_e32 0x7f, v38
	s_cbranch_execz .LBB241_620
; %bb.617:                              ;   in Loop: Header=BB241_433 Depth=1
	v_and_b32_e32 v24, 7, v10
	v_lshrrev_b32_e32 v26, 3, v38
	s_mov_b32 s26, exec_lo
	v_cmpx_gt_u32_e32 8, v38
; %bb.618:                              ;   in Loop: Header=BB241_433 Depth=1
	s_delay_alu instid0(VALU_DEP_3) | instskip(NEXT) | instid1(VALU_DEP_1)
	v_clz_i32_u32_e32 v24, v24
	v_min_u32_e32 v24, 32, v24
	s_delay_alu instid0(VALU_DEP_1) | instskip(NEXT) | instid1(VALU_DEP_1)
	v_subrev_nc_u32_e32 v26, 28, v24
	v_lshlrev_b64_e32 v[38:39], v26, v[10:11]
	s_delay_alu instid0(VALU_DEP_1)
	v_dual_sub_nc_u32 v26, 29, v24 :: v_dual_bitop2_b32 v24, 7, v38 bitop3:0x40
; %bb.619:                              ;   in Loop: Header=BB241_433 Depth=1
	s_or_b32 exec_lo, exec_lo, s26
	s_delay_alu instid0(VALU_DEP_1) | instskip(NEXT) | instid1(VALU_DEP_2)
	v_dual_lshlrev_b32 v10, 8, v10 :: v_dual_lshlrev_b32 v24, 7, v24
	v_lshl_add_u32 v26, v26, 10, 0x2000
	s_delay_alu instid0(VALU_DEP_2) | instskip(NEXT) | instid1(VALU_DEP_2)
	v_and_b32_e32 v10, 0x8000, v10
	v_and_b32_e32 v26, 0xfc00, v26
	s_delay_alu instid0(VALU_DEP_1)
	v_or3_b32 v24, v10, v26, v24
.LBB241_620:                            ;   in Loop: Header=BB241_433 Depth=1
	s_or_b32 exec_lo, exec_lo, s25
.LBB241_621:                            ;   in Loop: Header=BB241_433 Depth=1
	s_delay_alu instid0(SALU_CYCLE_1)
	s_or_b32 exec_lo, exec_lo, s24
.LBB241_622:                            ;   in Loop: Header=BB241_433 Depth=1
	s_delay_alu instid0(SALU_CYCLE_1)
	s_or_b32 exec_lo, exec_lo, s23
	v_cmp_lt_u64_e64 s0, s[8:9], v[20:21]
	v_mov_b32_e32 v20, 0
	s_and_saveexec_b32 s23, s0
	s_cbranch_execz .LBB241_630
; %bb.623:                              ;   in Loop: Header=BB241_433 Depth=1
	v_lshrrev_b32_e32 v10, 24, v21
	v_bfrev_b32_e32 v20, 1
	s_mov_b32 s24, exec_lo
	s_delay_alu instid0(VALU_DEP_2)
	v_cmpx_ne_u32_e32 0x80, v10
	s_cbranch_execz .LBB241_629
; %bb.624:                              ;   in Loop: Header=BB241_433 Depth=1
	v_and_b32_e32 v26, 0x7f, v10
	v_mov_b32_e32 v20, 0x7c010000
	s_mov_b32 s25, exec_lo
	s_delay_alu instid0(VALU_DEP_2)
	v_cmpx_ne_u32_e32 0x7f, v26
	s_cbranch_execz .LBB241_628
; %bb.625:                              ;   in Loop: Header=BB241_433 Depth=1
	v_and_b32_e32 v20, 7, v10
	v_lshrrev_b32_e32 v21, 3, v26
	s_mov_b32 s26, exec_lo
	v_cmpx_gt_u32_e32 8, v26
; %bb.626:                              ;   in Loop: Header=BB241_433 Depth=1
	s_delay_alu instid0(VALU_DEP_3) | instskip(NEXT) | instid1(VALU_DEP_1)
	v_clz_i32_u32_e32 v20, v20
	v_min_u32_e32 v26, 32, v20
	s_delay_alu instid0(VALU_DEP_1) | instskip(NEXT) | instid1(VALU_DEP_1)
	v_subrev_nc_u32_e32 v20, 28, v26
	v_lshlrev_b64_e32 v[20:21], v20, v[10:11]
	s_delay_alu instid0(VALU_DEP_1)
	v_dual_sub_nc_u32 v21, 29, v26 :: v_dual_bitop2_b32 v20, 7, v20 bitop3:0x40
; %bb.627:                              ;   in Loop: Header=BB241_433 Depth=1
	s_or_b32 exec_lo, exec_lo, s26
	s_delay_alu instid0(VALU_DEP_1) | instskip(NEXT) | instid1(VALU_DEP_2)
	v_dual_lshlrev_b32 v10, 8, v10 :: v_dual_lshlrev_b32 v20, 23, v20
	v_lshl_add_u32 v21, v21, 10, 0x2000
	s_delay_alu instid0(VALU_DEP_1) | instskip(NEXT) | instid1(VALU_DEP_1)
	v_and_or_b32 v10, 0x8000, v10, v21
	v_lshl_or_b32 v20, v10, 16, v20
.LBB241_628:                            ;   in Loop: Header=BB241_433 Depth=1
	s_or_b32 exec_lo, exec_lo, s25
.LBB241_629:                            ;   in Loop: Header=BB241_433 Depth=1
	s_delay_alu instid0(SALU_CYCLE_1)
	s_or_b32 exec_lo, exec_lo, s24
.LBB241_630:                            ;   in Loop: Header=BB241_433 Depth=1
	s_delay_alu instid0(SALU_CYCLE_1) | instskip(SKIP_3) | instid1(VALU_DEP_3)
	s_or_b32 exec_lo, exec_lo, s23
	v_dual_lshrrev_b32 v10, 16, v1 :: v_dual_lshrrev_b32 v21, 16, v19
	v_or_b32_e32 v1, v1, v3
	v_dual_lshrrev_b32 v22, 16, v20 :: v_dual_bitop2_b32 v3, v19, v22 bitop3:0x54
	v_cvt_f32_f16_e32 v39, v10
	s_delay_alu instid0(VALU_DEP_4) | instskip(SKIP_4) | instid1(VALU_DEP_3)
	v_cvt_f32_f16_e32 v38, v21
	v_lshrrev_b32_e32 v19, 16, v25
	v_cvt_f32_f16_e32 v21, v1
	v_cvt_f32_f16_e32 v22, v22
	s_wait_loadcnt 0x0
	v_pk_mul_f32 v[38:39], v[18:19], v[38:39] op_sel_hi:[0,1]
	s_delay_alu instid0(VALU_DEP_1) | instskip(SKIP_4) | instid1(VALU_DEP_3)
	v_cvt_pk_f16_f32 v1, v38, v39
	v_or_b32_e32 v10, v20, v24
	v_cvt_f32_f16_e32 v20, v3
	v_or_b32_e32 v3, v25, v23
	v_cvt_f32_f16_e32 v23, v19
	v_pk_mul_f32 v[20:21], v[18:19], v[20:21] op_sel_hi:[0,1]
	s_delay_alu instid0(VALU_DEP_3) | instskip(NEXT) | instid1(VALU_DEP_3)
	v_cvt_f32_f16_e32 v25, v3
	v_pk_mul_f32 v[22:23], v[18:19], v[22:23] op_sel_hi:[0,1]
	s_delay_alu instid0(VALU_DEP_3) | instskip(SKIP_2) | instid1(VALU_DEP_4)
	v_cvt_pk_f16_f32 v3, v20, v21
	v_lshlrev_b32_e32 v20, 16, v1
	v_cvt_f32_f16_e32 v24, v10
	v_cvt_pk_f16_f32 v10, v22, v23
	s_delay_alu instid0(VALU_DEP_4) | instskip(NEXT) | instid1(VALU_DEP_3)
	v_and_b32_e32 v26, 0xffff, v3
	v_pk_mul_f32 v[24:25], v[18:19], v[24:25] op_sel_hi:[0,1]
	v_and_b32_e32 v19, 0xffff0000, v1
	s_delay_alu instid0(VALU_DEP_4) | instskip(SKIP_1) | instid1(VALU_DEP_4)
	v_and_b32_e32 v1, 0xffff0000, v10
	v_lshlrev_b32_e32 v10, 16, v10
	v_cvt_pk_f16_f32 v18, v24, v25
	v_dual_lshrrev_b32 v25, 16, v3 :: v_dual_bitop2_b32 v24, v20, v26 bitop3:0x54
	s_delay_alu instid0(VALU_DEP_2) | instskip(SKIP_1) | instid1(VALU_DEP_3)
	v_lshrrev_b32_e32 v3, 16, v18
	v_and_b32_e32 v18, 0xffff, v18
	v_or_b32_e32 v23, v19, v25
	s_delay_alu instid0(VALU_DEP_3) | instskip(NEXT) | instid1(VALU_DEP_3)
	v_or_b32_e32 v21, v1, v3
	v_or_b32_e32 v22, v10, v18
	s_and_saveexec_b32 s23, vcc_lo
	s_cbranch_execz .LBB241_632
; %bb.631:                              ;   in Loop: Header=BB241_433 Depth=1
	v_cmp_gt_i32_e64 s0, s18, v2
	s_delay_alu instid0(VALU_DEP_1) | instskip(SKIP_1) | instid1(VALU_DEP_1)
	v_cndmask_b32_e64 v21, 0, v25, s0
	v_cmp_gt_i32_e64 s0, s34, v37
	v_cndmask_b32_e64 v22, 0, v26, s0
	v_cmp_gt_i32_e64 s0, s18, v36
	s_delay_alu instid0(VALU_DEP_1) | instskip(SKIP_1) | instid1(VALU_DEP_1)
	v_cndmask_b32_e64 v19, 0, v19, s0
	v_cmp_gt_i32_e64 s0, s34, v35
	v_cndmask_b32_e64 v20, 0, v20, s0
	v_cmp_gt_i32_e64 s0, s18, v34
	s_delay_alu instid0(VALU_DEP_4) | instskip(NEXT) | instid1(VALU_DEP_2)
	v_or_b32_e32 v23, v19, v21
	v_dual_cndmask_b32 v3, 0, v3, s0 :: v_dual_bitop2_b32 v24, v20, v22 bitop3:0x54
	v_cmp_gt_i32_e64 s0, s34, v33
	s_delay_alu instid0(VALU_DEP_1) | instskip(SKIP_1) | instid1(VALU_DEP_1)
	v_cndmask_b32_e64 v18, 0, v18, s0
	v_cmp_gt_i32_e64 s0, s18, v32
	v_cndmask_b32_e64 v1, 0, v1, s0
	v_cmp_gt_i32_e64 s0, s34, v31
	s_delay_alu instid0(VALU_DEP_1) | instskip(NEXT) | instid1(VALU_DEP_1)
	v_dual_cndmask_b32 v10, 0, v10, s0 :: v_dual_bitop2_b32 v21, v1, v3 bitop3:0x54
	v_or_b32_e32 v22, v10, v18
.LBB241_632:                            ;   in Loop: Header=BB241_433 Depth=1
	s_or_b32 exec_lo, exec_lo, s23
	;;#ASMSTART
	v_pk_mul_f16 v1, v45, v23;

	;;#ASMEND
	;;#ASMSTART
	v_pk_mul_f16 v3, v43, v24;

	;;#ASMEND
	;; [unrolled: 4-line block ×4, first 2 shown]
	;;#ASMSTART
	v_pk_add_f16 v1, v1, v3;

	;;#ASMEND
	;;#ASMSTART
	v_pk_add_f16 v1, v1, v10;

	;;#ASMEND
	;; [unrolled: 4-line block ×3, first 2 shown]
	v_and_b32_e32 v3, 0xffff, v1
	v_lshrrev_b32_e32 v1, 16, v1
	;;#ASMSTART
	v_cvt_f32_f16 v48, v3;
	;;#ASMEND
	v_mov_b32_e32 v3, 0
	;;#ASMSTART
	v_cvt_f32_f16 v49, v1;
	;;#ASMEND
	global_load_b64 v[20:21], v[16:17], off offset:768
	v_mov_b32_e32 v1, 0
	s_mov_b32 s23, exec_lo
	global_load_b32 v18, v1, s[10:11]
	s_wait_loadcnt 0x1
	v_and_b32_e32 v10, 0xff, v20
	s_wait_xcnt 0x0
	s_delay_alu instid0(VALU_DEP_1)
	v_cmpx_ne_u16_e32 0, v10
	s_cbranch_execz .LBB241_640
; %bb.633:                              ;   in Loop: Header=BB241_433 Depth=1
	v_mov_b32_e32 v3, 0x8000
	s_mov_b32 s24, exec_lo
	v_cmpx_ne_u16_e32 0x80, v10
	s_cbranch_execz .LBB241_639
; %bb.634:                              ;   in Loop: Header=BB241_433 Depth=1
	v_and_b32_e32 v19, 0x7f, v20
	v_mov_b32_e32 v3, 0x7c01
	s_mov_b32 s25, exec_lo
	s_delay_alu instid0(VALU_DEP_2)
	v_cmpx_ne_u32_e32 0x7f, v19
	s_cbranch_execz .LBB241_638
; %bb.635:                              ;   in Loop: Header=BB241_433 Depth=1
	v_dual_lshrrev_b32 v10, 3, v19 :: v_dual_bitop2_b32 v3, 7, v20 bitop3:0x40
	s_mov_b32 s26, exec_lo
	v_cmpx_gt_u32_e32 8, v19
; %bb.636:                              ;   in Loop: Header=BB241_433 Depth=1
	s_delay_alu instid0(VALU_DEP_2) | instskip(NEXT) | instid1(VALU_DEP_1)
	v_clz_i32_u32_e32 v3, v3
	v_min_u32_e32 v3, 32, v3
	s_delay_alu instid0(VALU_DEP_1) | instskip(NEXT) | instid1(VALU_DEP_1)
	v_subrev_nc_u32_e32 v10, 28, v3
	v_lshlrev_b64_e32 v[22:23], v10, v[20:21]
	s_delay_alu instid0(VALU_DEP_1)
	v_dual_sub_nc_u32 v10, 29, v3 :: v_dual_bitop2_b32 v3, 7, v22 bitop3:0x40
; %bb.637:                              ;   in Loop: Header=BB241_433 Depth=1
	s_or_b32 exec_lo, exec_lo, s26
	s_delay_alu instid0(VALU_DEP_1) | instskip(NEXT) | instid1(VALU_DEP_2)
	v_dual_lshlrev_b32 v19, 8, v20 :: v_dual_lshlrev_b32 v3, 7, v3
	v_lshl_add_u32 v10, v10, 10, 0x2000
	s_delay_alu instid0(VALU_DEP_2) | instskip(NEXT) | instid1(VALU_DEP_2)
	v_and_b32_e32 v19, 0x8000, v19
	v_and_b32_e32 v10, 0xfc00, v10
	s_delay_alu instid0(VALU_DEP_1)
	v_or3_b32 v3, v19, v10, v3
.LBB241_638:                            ;   in Loop: Header=BB241_433 Depth=1
	s_or_b32 exec_lo, exec_lo, s25
.LBB241_639:                            ;   in Loop: Header=BB241_433 Depth=1
	s_delay_alu instid0(SALU_CYCLE_1)
	s_or_b32 exec_lo, exec_lo, s24
.LBB241_640:                            ;   in Loop: Header=BB241_433 Depth=1
	s_delay_alu instid0(SALU_CYCLE_1) | instskip(SKIP_2) | instid1(VALU_DEP_1)
	s_or_b32 exec_lo, exec_lo, s23
	v_lshrrev_b16 v10, 8, v20
	s_mov_b32 s23, exec_lo
	v_cmpx_ne_u16_e32 0, v10
	s_cbranch_execz .LBB241_648
; %bb.641:                              ;   in Loop: Header=BB241_433 Depth=1
	v_bfrev_b32_e32 v1, 1
	s_mov_b32 s24, exec_lo
	v_cmpx_ne_u16_e32 0x80, v10
	s_cbranch_execz .LBB241_647
; %bb.642:                              ;   in Loop: Header=BB241_433 Depth=1
	v_and_b32_e32 v19, 0xffff, v10
	v_mov_b32_e32 v1, 0x7c010000
	s_mov_b32 s25, exec_lo
	s_delay_alu instid0(VALU_DEP_2) | instskip(NEXT) | instid1(VALU_DEP_1)
	v_and_b32_e32 v23, 0x7f, v19
	v_cmpx_ne_u32_e32 0x7f, v23
	s_cbranch_execz .LBB241_646
; %bb.643:                              ;   in Loop: Header=BB241_433 Depth=1
	v_and_b32_e32 v1, 7, v19
	v_lshrrev_b32_e32 v22, 3, v23
	s_mov_b32 s26, exec_lo
	v_cmpx_gt_u32_e32 8, v23
; %bb.644:                              ;   in Loop: Header=BB241_433 Depth=1
	s_delay_alu instid0(VALU_DEP_3) | instskip(NEXT) | instid1(VALU_DEP_1)
	v_clz_i32_u32_e32 v1, v1
	v_min_u32_e32 v1, 32, v1
	s_delay_alu instid0(VALU_DEP_1) | instskip(NEXT) | instid1(VALU_DEP_1)
	v_subrev_nc_u32_e32 v22, 28, v1
	v_lshlrev_b64_e32 v[24:25], v22, v[10:11]
	s_delay_alu instid0(VALU_DEP_1)
	v_dual_sub_nc_u32 v22, 29, v1 :: v_dual_bitop2_b32 v1, 7, v24 bitop3:0x40
; %bb.645:                              ;   in Loop: Header=BB241_433 Depth=1
	s_or_b32 exec_lo, exec_lo, s26
	s_delay_alu instid0(VALU_DEP_1) | instskip(NEXT) | instid1(VALU_DEP_2)
	v_dual_lshlrev_b32 v10, 8, v19 :: v_dual_lshlrev_b32 v1, 23, v1
	v_lshl_add_u32 v19, v22, 10, 0x2000
	s_delay_alu instid0(VALU_DEP_1) | instskip(NEXT) | instid1(VALU_DEP_1)
	v_and_or_b32 v10, 0x8000, v10, v19
	v_lshl_or_b32 v1, v10, 16, v1
.LBB241_646:                            ;   in Loop: Header=BB241_433 Depth=1
	s_or_b32 exec_lo, exec_lo, s25
.LBB241_647:                            ;   in Loop: Header=BB241_433 Depth=1
	s_delay_alu instid0(SALU_CYCLE_1)
	s_or_b32 exec_lo, exec_lo, s24
.LBB241_648:                            ;   in Loop: Header=BB241_433 Depth=1
	s_delay_alu instid0(SALU_CYCLE_1) | instskip(SKIP_3) | instid1(VALU_DEP_2)
	s_or_b32 exec_lo, exec_lo, s23
	v_dual_mov_b32 v19, 0 :: v_dual_lshrrev_b32 v10, 16, v20
	v_mov_b32_e32 v22, 0
	s_mov_b32 s23, exec_lo
	v_and_b32_e32 v23, 0xff, v10
	s_delay_alu instid0(VALU_DEP_1)
	v_cmpx_ne_u16_e32 0, v23
	s_cbranch_execz .LBB241_656
; %bb.649:                              ;   in Loop: Header=BB241_433 Depth=1
	v_mov_b32_e32 v22, 0x8000
	s_mov_b32 s24, exec_lo
	v_cmpx_ne_u16_e32 0x80, v23
	s_cbranch_execz .LBB241_655
; %bb.650:                              ;   in Loop: Header=BB241_433 Depth=1
	v_bfe_u32 v24, v20, 16, 7
	v_mov_b32_e32 v22, 0x7c01
	s_mov_b32 s25, exec_lo
	s_delay_alu instid0(VALU_DEP_2)
	v_cmpx_ne_u32_e32 0x7f, v24
	s_cbranch_execz .LBB241_654
; %bb.651:                              ;   in Loop: Header=BB241_433 Depth=1
	v_dual_lshrrev_b32 v23, 3, v24 :: v_dual_bitop2_b32 v22, 7, v10 bitop3:0x40
	s_mov_b32 s26, exec_lo
	v_cmpx_gt_u32_e32 8, v24
; %bb.652:                              ;   in Loop: Header=BB241_433 Depth=1
	s_delay_alu instid0(VALU_DEP_2) | instskip(NEXT) | instid1(VALU_DEP_1)
	v_clz_i32_u32_e32 v22, v22
	v_min_u32_e32 v24, 32, v22
	s_delay_alu instid0(VALU_DEP_1) | instskip(NEXT) | instid1(VALU_DEP_1)
	v_subrev_nc_u32_e32 v22, 28, v24
	v_lshlrev_b64_e32 v[22:23], v22, v[10:11]
	s_delay_alu instid0(VALU_DEP_1)
	v_dual_sub_nc_u32 v23, 29, v24 :: v_dual_bitop2_b32 v22, 7, v22 bitop3:0x40
; %bb.653:                              ;   in Loop: Header=BB241_433 Depth=1
	s_or_b32 exec_lo, exec_lo, s26
	v_lshlrev_b32_e32 v10, 8, v10
	s_delay_alu instid0(VALU_DEP_2) | instskip(NEXT) | instid1(VALU_DEP_3)
	v_lshl_add_u32 v23, v23, 10, 0x2000
	v_lshlrev_b32_e32 v22, 7, v22
	s_delay_alu instid0(VALU_DEP_3) | instskip(NEXT) | instid1(VALU_DEP_3)
	v_and_b32_e32 v10, 0x8000, v10
	v_and_b32_e32 v23, 0xfc00, v23
	s_delay_alu instid0(VALU_DEP_1)
	v_or3_b32 v22, v10, v23, v22
.LBB241_654:                            ;   in Loop: Header=BB241_433 Depth=1
	s_or_b32 exec_lo, exec_lo, s25
.LBB241_655:                            ;   in Loop: Header=BB241_433 Depth=1
	s_delay_alu instid0(SALU_CYCLE_1)
	s_or_b32 exec_lo, exec_lo, s24
.LBB241_656:                            ;   in Loop: Header=BB241_433 Depth=1
	s_delay_alu instid0(SALU_CYCLE_1) | instskip(NEXT) | instid1(SALU_CYCLE_1)
	s_or_b32 exec_lo, exec_lo, s23
	s_mov_b32 s23, exec_lo
	v_cmpx_lt_u32_e32 0xffffff, v20
	s_cbranch_execz .LBB241_664
; %bb.657:                              ;   in Loop: Header=BB241_433 Depth=1
	v_lshrrev_b32_e32 v10, 24, v20
	v_bfrev_b32_e32 v19, 1
	s_mov_b32 s24, exec_lo
	s_delay_alu instid0(VALU_DEP_2)
	v_cmpx_ne_u32_e32 0x80, v10
	s_cbranch_execz .LBB241_663
; %bb.658:                              ;   in Loop: Header=BB241_433 Depth=1
	v_and_b32_e32 v24, 0x7f, v10
	v_mov_b32_e32 v19, 0x7c010000
	s_mov_b32 s25, exec_lo
	s_delay_alu instid0(VALU_DEP_2)
	v_cmpx_ne_u32_e32 0x7f, v24
	s_cbranch_execz .LBB241_662
; %bb.659:                              ;   in Loop: Header=BB241_433 Depth=1
	v_dual_lshrrev_b32 v23, 3, v24 :: v_dual_bitop2_b32 v19, 7, v10 bitop3:0x40
	s_mov_b32 s26, exec_lo
	v_cmpx_gt_u32_e32 8, v24
; %bb.660:                              ;   in Loop: Header=BB241_433 Depth=1
	s_delay_alu instid0(VALU_DEP_2) | instskip(NEXT) | instid1(VALU_DEP_1)
	v_clz_i32_u32_e32 v19, v19
	v_min_u32_e32 v19, 32, v19
	s_delay_alu instid0(VALU_DEP_1) | instskip(NEXT) | instid1(VALU_DEP_1)
	v_subrev_nc_u32_e32 v23, 28, v19
	v_lshlrev_b64_e32 v[24:25], v23, v[10:11]
	s_delay_alu instid0(VALU_DEP_1)
	v_dual_sub_nc_u32 v23, 29, v19 :: v_dual_bitop2_b32 v19, 7, v24 bitop3:0x40
; %bb.661:                              ;   in Loop: Header=BB241_433 Depth=1
	s_or_b32 exec_lo, exec_lo, s26
	s_delay_alu instid0(VALU_DEP_1) | instskip(NEXT) | instid1(VALU_DEP_2)
	v_dual_lshlrev_b32 v10, 8, v10 :: v_dual_lshlrev_b32 v19, 23, v19
	v_lshl_add_u32 v23, v23, 10, 0x2000
	s_delay_alu instid0(VALU_DEP_1) | instskip(NEXT) | instid1(VALU_DEP_1)
	v_and_or_b32 v10, 0x8000, v10, v23
	v_lshl_or_b32 v19, v10, 16, v19
.LBB241_662:                            ;   in Loop: Header=BB241_433 Depth=1
	s_or_b32 exec_lo, exec_lo, s25
.LBB241_663:                            ;   in Loop: Header=BB241_433 Depth=1
	s_delay_alu instid0(SALU_CYCLE_1)
	s_or_b32 exec_lo, exec_lo, s24
.LBB241_664:                            ;   in Loop: Header=BB241_433 Depth=1
	s_delay_alu instid0(SALU_CYCLE_1) | instskip(SKIP_4) | instid1(VALU_DEP_3)
	s_or_b32 exec_lo, exec_lo, s23
	v_and_b32_e32 v25, 0xff, v21
	v_dual_mov_b32 v10, v21 :: v_dual_mov_b32 v24, 0
	v_mov_b32_e32 v23, 0
	s_mov_b32 s23, exec_lo
	v_cmpx_ne_u16_e32 0, v25
	s_cbranch_execz .LBB241_672
; %bb.665:                              ;   in Loop: Header=BB241_433 Depth=1
	v_mov_b32_e32 v23, 0x8000
	s_mov_b32 s24, exec_lo
	v_cmpx_ne_u16_e32 0x80, v25
	s_cbranch_execz .LBB241_671
; %bb.666:                              ;   in Loop: Header=BB241_433 Depth=1
	v_and_b32_e32 v26, 0x7f, v21
	v_mov_b32_e32 v23, 0x7c01
	s_mov_b32 s25, exec_lo
	s_delay_alu instid0(VALU_DEP_2)
	v_cmpx_ne_u32_e32 0x7f, v26
	s_cbranch_execz .LBB241_670
; %bb.667:                              ;   in Loop: Header=BB241_433 Depth=1
	v_dual_lshrrev_b32 v25, 3, v26 :: v_dual_bitop2_b32 v23, 7, v21 bitop3:0x40
	s_mov_b32 s26, exec_lo
	v_cmpx_gt_u32_e32 8, v26
; %bb.668:                              ;   in Loop: Header=BB241_433 Depth=1
	s_delay_alu instid0(VALU_DEP_2) | instskip(NEXT) | instid1(VALU_DEP_1)
	v_clz_i32_u32_e32 v23, v23
	v_min_u32_e32 v23, 32, v23
	s_delay_alu instid0(VALU_DEP_1) | instskip(NEXT) | instid1(VALU_DEP_1)
	v_subrev_nc_u32_e32 v25, 28, v23
	v_lshlrev_b64_e32 v[38:39], v25, v[10:11]
	s_delay_alu instid0(VALU_DEP_1)
	v_dual_sub_nc_u32 v25, 29, v23 :: v_dual_bitop2_b32 v23, 7, v38 bitop3:0x40
; %bb.669:                              ;   in Loop: Header=BB241_433 Depth=1
	s_or_b32 exec_lo, exec_lo, s26
	s_delay_alu instid0(VALU_DEP_1) | instskip(NEXT) | instid1(VALU_DEP_2)
	v_dual_lshlrev_b32 v26, 8, v21 :: v_dual_lshlrev_b32 v23, 7, v23
	v_lshl_add_u32 v25, v25, 10, 0x2000
	s_delay_alu instid0(VALU_DEP_2) | instskip(NEXT) | instid1(VALU_DEP_2)
	v_and_b32_e32 v26, 0x8000, v26
	v_and_b32_e32 v25, 0xfc00, v25
	s_delay_alu instid0(VALU_DEP_1)
	v_or3_b32 v23, v26, v25, v23
.LBB241_670:                            ;   in Loop: Header=BB241_433 Depth=1
	s_or_b32 exec_lo, exec_lo, s25
.LBB241_671:                            ;   in Loop: Header=BB241_433 Depth=1
	s_delay_alu instid0(SALU_CYCLE_1)
	s_or_b32 exec_lo, exec_lo, s24
.LBB241_672:                            ;   in Loop: Header=BB241_433 Depth=1
	s_delay_alu instid0(SALU_CYCLE_1) | instskip(SKIP_3) | instid1(VALU_DEP_2)
	s_or_b32 exec_lo, exec_lo, s23
	v_lshrrev_b16 v10, 8, v10
	v_mov_b32_e32 v25, 0
	s_mov_b32 s23, exec_lo
	v_cmpx_ne_u16_e32 0, v10
	s_cbranch_execz .LBB241_680
; %bb.673:                              ;   in Loop: Header=BB241_433 Depth=1
	v_bfrev_b32_e32 v25, 1
	s_mov_b32 s24, exec_lo
	v_cmpx_ne_u16_e32 0x80, v10
	s_cbranch_execz .LBB241_679
; %bb.674:                              ;   in Loop: Header=BB241_433 Depth=1
	v_and_b32_e32 v26, 0xffff, v10
	v_mov_b32_e32 v25, 0x7c010000
	s_mov_b32 s25, exec_lo
	s_delay_alu instid0(VALU_DEP_2) | instskip(NEXT) | instid1(VALU_DEP_1)
	v_and_b32_e32 v39, 0x7f, v26
	v_cmpx_ne_u32_e32 0x7f, v39
	s_cbranch_execz .LBB241_678
; %bb.675:                              ;   in Loop: Header=BB241_433 Depth=1
	v_dual_lshrrev_b32 v38, 3, v39 :: v_dual_bitop2_b32 v25, 7, v26 bitop3:0x40
	s_mov_b32 s26, exec_lo
	v_cmpx_gt_u32_e32 8, v39
; %bb.676:                              ;   in Loop: Header=BB241_433 Depth=1
	s_delay_alu instid0(VALU_DEP_2) | instskip(NEXT) | instid1(VALU_DEP_1)
	v_clz_i32_u32_e32 v25, v25
	v_min_u32_e32 v25, 32, v25
	s_delay_alu instid0(VALU_DEP_1) | instskip(NEXT) | instid1(VALU_DEP_1)
	v_subrev_nc_u32_e32 v38, 28, v25
	v_lshlrev_b64_e32 v[50:51], v38, v[10:11]
	s_delay_alu instid0(VALU_DEP_1)
	v_dual_sub_nc_u32 v38, 29, v25 :: v_dual_bitop2_b32 v25, 7, v50 bitop3:0x40
; %bb.677:                              ;   in Loop: Header=BB241_433 Depth=1
	s_or_b32 exec_lo, exec_lo, s26
	s_delay_alu instid0(VALU_DEP_1) | instskip(NEXT) | instid1(VALU_DEP_2)
	v_dual_lshlrev_b32 v10, 8, v26 :: v_dual_lshlrev_b32 v25, 23, v25
	v_lshl_add_u32 v26, v38, 10, 0x2000
	s_delay_alu instid0(VALU_DEP_1) | instskip(NEXT) | instid1(VALU_DEP_1)
	v_and_or_b32 v10, 0x8000, v10, v26
	v_lshl_or_b32 v25, v10, 16, v25
.LBB241_678:                            ;   in Loop: Header=BB241_433 Depth=1
	s_or_b32 exec_lo, exec_lo, s25
.LBB241_679:                            ;   in Loop: Header=BB241_433 Depth=1
	s_delay_alu instid0(SALU_CYCLE_1)
	s_or_b32 exec_lo, exec_lo, s24
.LBB241_680:                            ;   in Loop: Header=BB241_433 Depth=1
	s_delay_alu instid0(SALU_CYCLE_1) | instskip(SKIP_2) | instid1(VALU_DEP_1)
	s_or_b32 exec_lo, exec_lo, s23
	v_lshrrev_b32_e32 v10, 16, v21
	s_mov_b32 s23, exec_lo
	v_and_b32_e32 v26, 0xff, v10
	s_delay_alu instid0(VALU_DEP_1)
	v_cmpx_ne_u16_e32 0, v26
	s_cbranch_execz .LBB241_688
; %bb.681:                              ;   in Loop: Header=BB241_433 Depth=1
	v_mov_b32_e32 v24, 0x8000
	s_mov_b32 s24, exec_lo
	v_cmpx_ne_u16_e32 0x80, v26
	s_cbranch_execz .LBB241_687
; %bb.682:                              ;   in Loop: Header=BB241_433 Depth=1
	v_bfe_u32 v38, v21, 16, 7
	v_mov_b32_e32 v24, 0x7c01
	s_mov_b32 s25, exec_lo
	s_delay_alu instid0(VALU_DEP_2)
	v_cmpx_ne_u32_e32 0x7f, v38
	s_cbranch_execz .LBB241_686
; %bb.683:                              ;   in Loop: Header=BB241_433 Depth=1
	v_and_b32_e32 v24, 7, v10
	v_lshrrev_b32_e32 v26, 3, v38
	s_mov_b32 s26, exec_lo
	v_cmpx_gt_u32_e32 8, v38
; %bb.684:                              ;   in Loop: Header=BB241_433 Depth=1
	s_delay_alu instid0(VALU_DEP_3) | instskip(NEXT) | instid1(VALU_DEP_1)
	v_clz_i32_u32_e32 v24, v24
	v_min_u32_e32 v24, 32, v24
	s_delay_alu instid0(VALU_DEP_1) | instskip(NEXT) | instid1(VALU_DEP_1)
	v_subrev_nc_u32_e32 v26, 28, v24
	v_lshlrev_b64_e32 v[38:39], v26, v[10:11]
	s_delay_alu instid0(VALU_DEP_1)
	v_dual_sub_nc_u32 v26, 29, v24 :: v_dual_bitop2_b32 v24, 7, v38 bitop3:0x40
; %bb.685:                              ;   in Loop: Header=BB241_433 Depth=1
	s_or_b32 exec_lo, exec_lo, s26
	s_delay_alu instid0(VALU_DEP_1) | instskip(NEXT) | instid1(VALU_DEP_2)
	v_dual_lshlrev_b32 v10, 8, v10 :: v_dual_lshlrev_b32 v24, 7, v24
	v_lshl_add_u32 v26, v26, 10, 0x2000
	s_delay_alu instid0(VALU_DEP_2) | instskip(NEXT) | instid1(VALU_DEP_2)
	v_and_b32_e32 v10, 0x8000, v10
	v_and_b32_e32 v26, 0xfc00, v26
	s_delay_alu instid0(VALU_DEP_1)
	v_or3_b32 v24, v10, v26, v24
.LBB241_686:                            ;   in Loop: Header=BB241_433 Depth=1
	s_or_b32 exec_lo, exec_lo, s25
.LBB241_687:                            ;   in Loop: Header=BB241_433 Depth=1
	s_delay_alu instid0(SALU_CYCLE_1)
	s_or_b32 exec_lo, exec_lo, s24
.LBB241_688:                            ;   in Loop: Header=BB241_433 Depth=1
	s_delay_alu instid0(SALU_CYCLE_1)
	s_or_b32 exec_lo, exec_lo, s23
	v_cmp_lt_u64_e64 s0, s[8:9], v[20:21]
	v_mov_b32_e32 v20, 0
	s_and_saveexec_b32 s23, s0
	s_cbranch_execz .LBB241_696
; %bb.689:                              ;   in Loop: Header=BB241_433 Depth=1
	v_lshrrev_b32_e32 v10, 24, v21
	v_bfrev_b32_e32 v20, 1
	s_mov_b32 s24, exec_lo
	s_delay_alu instid0(VALU_DEP_2)
	v_cmpx_ne_u32_e32 0x80, v10
	s_cbranch_execz .LBB241_695
; %bb.690:                              ;   in Loop: Header=BB241_433 Depth=1
	v_and_b32_e32 v26, 0x7f, v10
	v_mov_b32_e32 v20, 0x7c010000
	s_mov_b32 s25, exec_lo
	s_delay_alu instid0(VALU_DEP_2)
	v_cmpx_ne_u32_e32 0x7f, v26
	s_cbranch_execz .LBB241_694
; %bb.691:                              ;   in Loop: Header=BB241_433 Depth=1
	v_and_b32_e32 v20, 7, v10
	v_lshrrev_b32_e32 v21, 3, v26
	s_mov_b32 s26, exec_lo
	v_cmpx_gt_u32_e32 8, v26
; %bb.692:                              ;   in Loop: Header=BB241_433 Depth=1
	s_delay_alu instid0(VALU_DEP_3) | instskip(NEXT) | instid1(VALU_DEP_1)
	v_clz_i32_u32_e32 v20, v20
	v_min_u32_e32 v26, 32, v20
	s_delay_alu instid0(VALU_DEP_1) | instskip(NEXT) | instid1(VALU_DEP_1)
	v_subrev_nc_u32_e32 v20, 28, v26
	v_lshlrev_b64_e32 v[20:21], v20, v[10:11]
	s_delay_alu instid0(VALU_DEP_1)
	v_dual_sub_nc_u32 v21, 29, v26 :: v_dual_bitop2_b32 v20, 7, v20 bitop3:0x40
; %bb.693:                              ;   in Loop: Header=BB241_433 Depth=1
	s_or_b32 exec_lo, exec_lo, s26
	s_delay_alu instid0(VALU_DEP_1) | instskip(NEXT) | instid1(VALU_DEP_2)
	v_dual_lshlrev_b32 v10, 8, v10 :: v_dual_lshlrev_b32 v20, 23, v20
	v_lshl_add_u32 v21, v21, 10, 0x2000
	s_delay_alu instid0(VALU_DEP_1) | instskip(NEXT) | instid1(VALU_DEP_1)
	v_and_or_b32 v10, 0x8000, v10, v21
	v_lshl_or_b32 v20, v10, 16, v20
.LBB241_694:                            ;   in Loop: Header=BB241_433 Depth=1
	s_or_b32 exec_lo, exec_lo, s25
.LBB241_695:                            ;   in Loop: Header=BB241_433 Depth=1
	s_delay_alu instid0(SALU_CYCLE_1)
	s_or_b32 exec_lo, exec_lo, s24
.LBB241_696:                            ;   in Loop: Header=BB241_433 Depth=1
	s_delay_alu instid0(SALU_CYCLE_1) | instskip(SKIP_3) | instid1(VALU_DEP_3)
	s_or_b32 exec_lo, exec_lo, s23
	v_dual_lshrrev_b32 v10, 16, v1 :: v_dual_lshrrev_b32 v21, 16, v19
	v_or_b32_e32 v1, v1, v3
	v_dual_lshrrev_b32 v22, 16, v20 :: v_dual_bitop2_b32 v3, v19, v22 bitop3:0x54
	v_cvt_f32_f16_e32 v39, v10
	s_delay_alu instid0(VALU_DEP_4) | instskip(SKIP_4) | instid1(VALU_DEP_3)
	v_cvt_f32_f16_e32 v38, v21
	v_lshrrev_b32_e32 v19, 16, v25
	v_cvt_f32_f16_e32 v21, v1
	v_cvt_f32_f16_e32 v22, v22
	s_wait_loadcnt 0x0
	v_pk_mul_f32 v[38:39], v[18:19], v[38:39] op_sel_hi:[0,1]
	s_delay_alu instid0(VALU_DEP_1) | instskip(SKIP_4) | instid1(VALU_DEP_3)
	v_cvt_pk_f16_f32 v1, v38, v39
	v_or_b32_e32 v10, v20, v24
	v_cvt_f32_f16_e32 v20, v3
	v_or_b32_e32 v3, v25, v23
	v_cvt_f32_f16_e32 v23, v19
	v_pk_mul_f32 v[20:21], v[18:19], v[20:21] op_sel_hi:[0,1]
	s_delay_alu instid0(VALU_DEP_3) | instskip(NEXT) | instid1(VALU_DEP_3)
	v_cvt_f32_f16_e32 v25, v3
	v_pk_mul_f32 v[22:23], v[18:19], v[22:23] op_sel_hi:[0,1]
	s_delay_alu instid0(VALU_DEP_3) | instskip(SKIP_2) | instid1(VALU_DEP_4)
	v_cvt_pk_f16_f32 v3, v20, v21
	v_lshlrev_b32_e32 v20, 16, v1
	v_cvt_f32_f16_e32 v24, v10
	v_cvt_pk_f16_f32 v10, v22, v23
	s_delay_alu instid0(VALU_DEP_4) | instskip(NEXT) | instid1(VALU_DEP_3)
	v_and_b32_e32 v26, 0xffff, v3
	v_pk_mul_f32 v[24:25], v[18:19], v[24:25] op_sel_hi:[0,1]
	v_and_b32_e32 v19, 0xffff0000, v1
	s_delay_alu instid0(VALU_DEP_4) | instskip(SKIP_1) | instid1(VALU_DEP_4)
	v_and_b32_e32 v1, 0xffff0000, v10
	v_lshlrev_b32_e32 v10, 16, v10
	v_cvt_pk_f16_f32 v18, v24, v25
	v_dual_lshrrev_b32 v25, 16, v3 :: v_dual_bitop2_b32 v24, v20, v26 bitop3:0x54
	s_delay_alu instid0(VALU_DEP_2) | instskip(SKIP_1) | instid1(VALU_DEP_3)
	v_lshrrev_b32_e32 v3, 16, v18
	v_and_b32_e32 v18, 0xffff, v18
	v_or_b32_e32 v23, v19, v25
	s_delay_alu instid0(VALU_DEP_3) | instskip(NEXT) | instid1(VALU_DEP_3)
	v_or_b32_e32 v21, v1, v3
	v_or_b32_e32 v22, v10, v18
	s_and_saveexec_b32 s23, vcc_lo
	s_cbranch_execz .LBB241_698
; %bb.697:                              ;   in Loop: Header=BB241_433 Depth=1
	v_cmp_gt_i32_e64 s0, s18, v2
	s_delay_alu instid0(VALU_DEP_1) | instskip(SKIP_1) | instid1(VALU_DEP_1)
	v_cndmask_b32_e64 v21, 0, v25, s0
	v_cmp_gt_i32_e64 s0, s34, v37
	v_cndmask_b32_e64 v22, 0, v26, s0
	v_cmp_gt_i32_e64 s0, s18, v36
	s_delay_alu instid0(VALU_DEP_1) | instskip(SKIP_1) | instid1(VALU_DEP_1)
	v_cndmask_b32_e64 v19, 0, v19, s0
	v_cmp_gt_i32_e64 s0, s34, v35
	v_cndmask_b32_e64 v20, 0, v20, s0
	v_cmp_gt_i32_e64 s0, s18, v34
	s_delay_alu instid0(VALU_DEP_4) | instskip(NEXT) | instid1(VALU_DEP_2)
	v_or_b32_e32 v23, v19, v21
	v_dual_cndmask_b32 v3, 0, v3, s0 :: v_dual_bitop2_b32 v24, v20, v22 bitop3:0x54
	v_cmp_gt_i32_e64 s0, s34, v33
	s_delay_alu instid0(VALU_DEP_1) | instskip(SKIP_1) | instid1(VALU_DEP_1)
	v_cndmask_b32_e64 v18, 0, v18, s0
	v_cmp_gt_i32_e64 s0, s18, v32
	v_cndmask_b32_e64 v1, 0, v1, s0
	v_cmp_gt_i32_e64 s0, s34, v31
	s_delay_alu instid0(VALU_DEP_1) | instskip(NEXT) | instid1(VALU_DEP_1)
	v_dual_cndmask_b32 v10, 0, v10, s0 :: v_dual_bitop2_b32 v21, v1, v3 bitop3:0x54
	v_or_b32_e32 v22, v10, v18
.LBB241_698:                            ;   in Loop: Header=BB241_433 Depth=1
	s_or_b32 exec_lo, exec_lo, s23
	;;#ASMSTART
	v_pk_mul_f16 v1, v45, v23;

	;;#ASMEND
	;;#ASMSTART
	v_pk_mul_f16 v3, v43, v24;

	;;#ASMEND
	;;#ASMSTART
	v_pk_mul_f16 v10, v41, v21;

	;;#ASMEND
	;;#ASMSTART
	v_pk_mul_f16 v18, v40, v22;

	;;#ASMEND
	;;#ASMSTART
	v_pk_add_f16 v1, v1, v3;

	;;#ASMEND
	;;#ASMSTART
	v_pk_add_f16 v1, v1, v10;

	;;#ASMEND
	;; [unrolled: 4-line block ×3, first 2 shown]
	v_and_b32_e32 v3, 0xffff, v1
	v_lshrrev_b32_e32 v1, 16, v1
	;;#ASMSTART
	v_cvt_f32_f16 v50, v3;
	;;#ASMEND
	v_mov_b32_e32 v3, 0
	;;#ASMSTART
	v_cvt_f32_f16 v51, v1;
	;;#ASMEND
	global_load_b64 v[20:21], v[16:17], off offset:1024
	v_mov_b32_e32 v1, 0
	s_mov_b32 s23, exec_lo
	global_load_b32 v18, v1, s[10:11]
	s_wait_loadcnt 0x1
	v_and_b32_e32 v10, 0xff, v20
	s_wait_xcnt 0x0
	s_delay_alu instid0(VALU_DEP_1)
	v_cmpx_ne_u16_e32 0, v10
	s_cbranch_execz .LBB241_706
; %bb.699:                              ;   in Loop: Header=BB241_433 Depth=1
	v_mov_b32_e32 v3, 0x8000
	s_mov_b32 s24, exec_lo
	v_cmpx_ne_u16_e32 0x80, v10
	s_cbranch_execz .LBB241_705
; %bb.700:                              ;   in Loop: Header=BB241_433 Depth=1
	v_and_b32_e32 v19, 0x7f, v20
	v_mov_b32_e32 v3, 0x7c01
	s_mov_b32 s25, exec_lo
	s_delay_alu instid0(VALU_DEP_2)
	v_cmpx_ne_u32_e32 0x7f, v19
	s_cbranch_execz .LBB241_704
; %bb.701:                              ;   in Loop: Header=BB241_433 Depth=1
	v_dual_lshrrev_b32 v10, 3, v19 :: v_dual_bitop2_b32 v3, 7, v20 bitop3:0x40
	s_mov_b32 s26, exec_lo
	v_cmpx_gt_u32_e32 8, v19
; %bb.702:                              ;   in Loop: Header=BB241_433 Depth=1
	s_delay_alu instid0(VALU_DEP_2) | instskip(NEXT) | instid1(VALU_DEP_1)
	v_clz_i32_u32_e32 v3, v3
	v_min_u32_e32 v3, 32, v3
	s_delay_alu instid0(VALU_DEP_1) | instskip(NEXT) | instid1(VALU_DEP_1)
	v_subrev_nc_u32_e32 v10, 28, v3
	v_lshlrev_b64_e32 v[22:23], v10, v[20:21]
	s_delay_alu instid0(VALU_DEP_1)
	v_dual_sub_nc_u32 v10, 29, v3 :: v_dual_bitop2_b32 v3, 7, v22 bitop3:0x40
; %bb.703:                              ;   in Loop: Header=BB241_433 Depth=1
	s_or_b32 exec_lo, exec_lo, s26
	s_delay_alu instid0(VALU_DEP_1) | instskip(NEXT) | instid1(VALU_DEP_2)
	v_dual_lshlrev_b32 v19, 8, v20 :: v_dual_lshlrev_b32 v3, 7, v3
	v_lshl_add_u32 v10, v10, 10, 0x2000
	s_delay_alu instid0(VALU_DEP_2) | instskip(NEXT) | instid1(VALU_DEP_2)
	v_and_b32_e32 v19, 0x8000, v19
	v_and_b32_e32 v10, 0xfc00, v10
	s_delay_alu instid0(VALU_DEP_1)
	v_or3_b32 v3, v19, v10, v3
.LBB241_704:                            ;   in Loop: Header=BB241_433 Depth=1
	s_or_b32 exec_lo, exec_lo, s25
.LBB241_705:                            ;   in Loop: Header=BB241_433 Depth=1
	s_delay_alu instid0(SALU_CYCLE_1)
	s_or_b32 exec_lo, exec_lo, s24
.LBB241_706:                            ;   in Loop: Header=BB241_433 Depth=1
	s_delay_alu instid0(SALU_CYCLE_1) | instskip(SKIP_2) | instid1(VALU_DEP_1)
	s_or_b32 exec_lo, exec_lo, s23
	v_lshrrev_b16 v10, 8, v20
	s_mov_b32 s23, exec_lo
	v_cmpx_ne_u16_e32 0, v10
	s_cbranch_execz .LBB241_714
; %bb.707:                              ;   in Loop: Header=BB241_433 Depth=1
	v_bfrev_b32_e32 v1, 1
	s_mov_b32 s24, exec_lo
	v_cmpx_ne_u16_e32 0x80, v10
	s_cbranch_execz .LBB241_713
; %bb.708:                              ;   in Loop: Header=BB241_433 Depth=1
	v_and_b32_e32 v19, 0xffff, v10
	v_mov_b32_e32 v1, 0x7c010000
	s_mov_b32 s25, exec_lo
	s_delay_alu instid0(VALU_DEP_2) | instskip(NEXT) | instid1(VALU_DEP_1)
	v_and_b32_e32 v23, 0x7f, v19
	v_cmpx_ne_u32_e32 0x7f, v23
	s_cbranch_execz .LBB241_712
; %bb.709:                              ;   in Loop: Header=BB241_433 Depth=1
	v_and_b32_e32 v1, 7, v19
	v_lshrrev_b32_e32 v22, 3, v23
	s_mov_b32 s26, exec_lo
	v_cmpx_gt_u32_e32 8, v23
; %bb.710:                              ;   in Loop: Header=BB241_433 Depth=1
	s_delay_alu instid0(VALU_DEP_3) | instskip(NEXT) | instid1(VALU_DEP_1)
	v_clz_i32_u32_e32 v1, v1
	v_min_u32_e32 v1, 32, v1
	s_delay_alu instid0(VALU_DEP_1) | instskip(NEXT) | instid1(VALU_DEP_1)
	v_subrev_nc_u32_e32 v22, 28, v1
	v_lshlrev_b64_e32 v[24:25], v22, v[10:11]
	s_delay_alu instid0(VALU_DEP_1)
	v_dual_sub_nc_u32 v22, 29, v1 :: v_dual_bitop2_b32 v1, 7, v24 bitop3:0x40
; %bb.711:                              ;   in Loop: Header=BB241_433 Depth=1
	s_or_b32 exec_lo, exec_lo, s26
	s_delay_alu instid0(VALU_DEP_1) | instskip(NEXT) | instid1(VALU_DEP_2)
	v_dual_lshlrev_b32 v10, 8, v19 :: v_dual_lshlrev_b32 v1, 23, v1
	v_lshl_add_u32 v19, v22, 10, 0x2000
	s_delay_alu instid0(VALU_DEP_1) | instskip(NEXT) | instid1(VALU_DEP_1)
	v_and_or_b32 v10, 0x8000, v10, v19
	v_lshl_or_b32 v1, v10, 16, v1
.LBB241_712:                            ;   in Loop: Header=BB241_433 Depth=1
	s_or_b32 exec_lo, exec_lo, s25
.LBB241_713:                            ;   in Loop: Header=BB241_433 Depth=1
	s_delay_alu instid0(SALU_CYCLE_1)
	s_or_b32 exec_lo, exec_lo, s24
.LBB241_714:                            ;   in Loop: Header=BB241_433 Depth=1
	s_delay_alu instid0(SALU_CYCLE_1) | instskip(SKIP_3) | instid1(VALU_DEP_2)
	s_or_b32 exec_lo, exec_lo, s23
	v_dual_mov_b32 v19, 0 :: v_dual_lshrrev_b32 v10, 16, v20
	v_mov_b32_e32 v22, 0
	s_mov_b32 s23, exec_lo
	v_and_b32_e32 v23, 0xff, v10
	s_delay_alu instid0(VALU_DEP_1)
	v_cmpx_ne_u16_e32 0, v23
	s_cbranch_execz .LBB241_722
; %bb.715:                              ;   in Loop: Header=BB241_433 Depth=1
	v_mov_b32_e32 v22, 0x8000
	s_mov_b32 s24, exec_lo
	v_cmpx_ne_u16_e32 0x80, v23
	s_cbranch_execz .LBB241_721
; %bb.716:                              ;   in Loop: Header=BB241_433 Depth=1
	v_bfe_u32 v24, v20, 16, 7
	v_mov_b32_e32 v22, 0x7c01
	s_mov_b32 s25, exec_lo
	s_delay_alu instid0(VALU_DEP_2)
	v_cmpx_ne_u32_e32 0x7f, v24
	s_cbranch_execz .LBB241_720
; %bb.717:                              ;   in Loop: Header=BB241_433 Depth=1
	v_dual_lshrrev_b32 v23, 3, v24 :: v_dual_bitop2_b32 v22, 7, v10 bitop3:0x40
	s_mov_b32 s26, exec_lo
	v_cmpx_gt_u32_e32 8, v24
; %bb.718:                              ;   in Loop: Header=BB241_433 Depth=1
	s_delay_alu instid0(VALU_DEP_2) | instskip(NEXT) | instid1(VALU_DEP_1)
	v_clz_i32_u32_e32 v22, v22
	v_min_u32_e32 v24, 32, v22
	s_delay_alu instid0(VALU_DEP_1) | instskip(NEXT) | instid1(VALU_DEP_1)
	v_subrev_nc_u32_e32 v22, 28, v24
	v_lshlrev_b64_e32 v[22:23], v22, v[10:11]
	s_delay_alu instid0(VALU_DEP_1)
	v_dual_sub_nc_u32 v23, 29, v24 :: v_dual_bitop2_b32 v22, 7, v22 bitop3:0x40
; %bb.719:                              ;   in Loop: Header=BB241_433 Depth=1
	s_or_b32 exec_lo, exec_lo, s26
	v_lshlrev_b32_e32 v10, 8, v10
	s_delay_alu instid0(VALU_DEP_2) | instskip(NEXT) | instid1(VALU_DEP_3)
	v_lshl_add_u32 v23, v23, 10, 0x2000
	v_lshlrev_b32_e32 v22, 7, v22
	s_delay_alu instid0(VALU_DEP_3) | instskip(NEXT) | instid1(VALU_DEP_3)
	v_and_b32_e32 v10, 0x8000, v10
	v_and_b32_e32 v23, 0xfc00, v23
	s_delay_alu instid0(VALU_DEP_1)
	v_or3_b32 v22, v10, v23, v22
.LBB241_720:                            ;   in Loop: Header=BB241_433 Depth=1
	s_or_b32 exec_lo, exec_lo, s25
.LBB241_721:                            ;   in Loop: Header=BB241_433 Depth=1
	s_delay_alu instid0(SALU_CYCLE_1)
	s_or_b32 exec_lo, exec_lo, s24
.LBB241_722:                            ;   in Loop: Header=BB241_433 Depth=1
	s_delay_alu instid0(SALU_CYCLE_1) | instskip(NEXT) | instid1(SALU_CYCLE_1)
	s_or_b32 exec_lo, exec_lo, s23
	s_mov_b32 s23, exec_lo
	v_cmpx_lt_u32_e32 0xffffff, v20
	s_cbranch_execz .LBB241_730
; %bb.723:                              ;   in Loop: Header=BB241_433 Depth=1
	v_lshrrev_b32_e32 v10, 24, v20
	v_bfrev_b32_e32 v19, 1
	s_mov_b32 s24, exec_lo
	s_delay_alu instid0(VALU_DEP_2)
	v_cmpx_ne_u32_e32 0x80, v10
	s_cbranch_execz .LBB241_729
; %bb.724:                              ;   in Loop: Header=BB241_433 Depth=1
	v_and_b32_e32 v24, 0x7f, v10
	v_mov_b32_e32 v19, 0x7c010000
	s_mov_b32 s25, exec_lo
	s_delay_alu instid0(VALU_DEP_2)
	v_cmpx_ne_u32_e32 0x7f, v24
	s_cbranch_execz .LBB241_728
; %bb.725:                              ;   in Loop: Header=BB241_433 Depth=1
	v_dual_lshrrev_b32 v23, 3, v24 :: v_dual_bitop2_b32 v19, 7, v10 bitop3:0x40
	s_mov_b32 s26, exec_lo
	v_cmpx_gt_u32_e32 8, v24
; %bb.726:                              ;   in Loop: Header=BB241_433 Depth=1
	s_delay_alu instid0(VALU_DEP_2) | instskip(NEXT) | instid1(VALU_DEP_1)
	v_clz_i32_u32_e32 v19, v19
	v_min_u32_e32 v19, 32, v19
	s_delay_alu instid0(VALU_DEP_1) | instskip(NEXT) | instid1(VALU_DEP_1)
	v_subrev_nc_u32_e32 v23, 28, v19
	v_lshlrev_b64_e32 v[24:25], v23, v[10:11]
	s_delay_alu instid0(VALU_DEP_1)
	v_dual_sub_nc_u32 v23, 29, v19 :: v_dual_bitop2_b32 v19, 7, v24 bitop3:0x40
; %bb.727:                              ;   in Loop: Header=BB241_433 Depth=1
	s_or_b32 exec_lo, exec_lo, s26
	s_delay_alu instid0(VALU_DEP_1) | instskip(NEXT) | instid1(VALU_DEP_2)
	v_dual_lshlrev_b32 v10, 8, v10 :: v_dual_lshlrev_b32 v19, 23, v19
	v_lshl_add_u32 v23, v23, 10, 0x2000
	s_delay_alu instid0(VALU_DEP_1) | instskip(NEXT) | instid1(VALU_DEP_1)
	v_and_or_b32 v10, 0x8000, v10, v23
	v_lshl_or_b32 v19, v10, 16, v19
.LBB241_728:                            ;   in Loop: Header=BB241_433 Depth=1
	s_or_b32 exec_lo, exec_lo, s25
.LBB241_729:                            ;   in Loop: Header=BB241_433 Depth=1
	s_delay_alu instid0(SALU_CYCLE_1)
	s_or_b32 exec_lo, exec_lo, s24
.LBB241_730:                            ;   in Loop: Header=BB241_433 Depth=1
	s_delay_alu instid0(SALU_CYCLE_1) | instskip(SKIP_4) | instid1(VALU_DEP_3)
	s_or_b32 exec_lo, exec_lo, s23
	v_and_b32_e32 v25, 0xff, v21
	v_dual_mov_b32 v10, v21 :: v_dual_mov_b32 v24, 0
	v_mov_b32_e32 v23, 0
	s_mov_b32 s23, exec_lo
	v_cmpx_ne_u16_e32 0, v25
	s_cbranch_execz .LBB241_738
; %bb.731:                              ;   in Loop: Header=BB241_433 Depth=1
	v_mov_b32_e32 v23, 0x8000
	s_mov_b32 s24, exec_lo
	v_cmpx_ne_u16_e32 0x80, v25
	s_cbranch_execz .LBB241_737
; %bb.732:                              ;   in Loop: Header=BB241_433 Depth=1
	v_and_b32_e32 v26, 0x7f, v21
	v_mov_b32_e32 v23, 0x7c01
	s_mov_b32 s25, exec_lo
	s_delay_alu instid0(VALU_DEP_2)
	v_cmpx_ne_u32_e32 0x7f, v26
	s_cbranch_execz .LBB241_736
; %bb.733:                              ;   in Loop: Header=BB241_433 Depth=1
	v_dual_lshrrev_b32 v25, 3, v26 :: v_dual_bitop2_b32 v23, 7, v21 bitop3:0x40
	s_mov_b32 s26, exec_lo
	v_cmpx_gt_u32_e32 8, v26
; %bb.734:                              ;   in Loop: Header=BB241_433 Depth=1
	s_delay_alu instid0(VALU_DEP_2) | instskip(NEXT) | instid1(VALU_DEP_1)
	v_clz_i32_u32_e32 v23, v23
	v_min_u32_e32 v23, 32, v23
	s_delay_alu instid0(VALU_DEP_1) | instskip(NEXT) | instid1(VALU_DEP_1)
	v_subrev_nc_u32_e32 v25, 28, v23
	v_lshlrev_b64_e32 v[38:39], v25, v[10:11]
	s_delay_alu instid0(VALU_DEP_1)
	v_dual_sub_nc_u32 v25, 29, v23 :: v_dual_bitop2_b32 v23, 7, v38 bitop3:0x40
; %bb.735:                              ;   in Loop: Header=BB241_433 Depth=1
	s_or_b32 exec_lo, exec_lo, s26
	s_delay_alu instid0(VALU_DEP_1) | instskip(NEXT) | instid1(VALU_DEP_2)
	v_dual_lshlrev_b32 v26, 8, v21 :: v_dual_lshlrev_b32 v23, 7, v23
	v_lshl_add_u32 v25, v25, 10, 0x2000
	s_delay_alu instid0(VALU_DEP_2) | instskip(NEXT) | instid1(VALU_DEP_2)
	v_and_b32_e32 v26, 0x8000, v26
	v_and_b32_e32 v25, 0xfc00, v25
	s_delay_alu instid0(VALU_DEP_1)
	v_or3_b32 v23, v26, v25, v23
.LBB241_736:                            ;   in Loop: Header=BB241_433 Depth=1
	s_or_b32 exec_lo, exec_lo, s25
.LBB241_737:                            ;   in Loop: Header=BB241_433 Depth=1
	s_delay_alu instid0(SALU_CYCLE_1)
	s_or_b32 exec_lo, exec_lo, s24
.LBB241_738:                            ;   in Loop: Header=BB241_433 Depth=1
	s_delay_alu instid0(SALU_CYCLE_1) | instskip(SKIP_3) | instid1(VALU_DEP_2)
	s_or_b32 exec_lo, exec_lo, s23
	v_lshrrev_b16 v10, 8, v10
	v_mov_b32_e32 v25, 0
	s_mov_b32 s23, exec_lo
	v_cmpx_ne_u16_e32 0, v10
	s_cbranch_execz .LBB241_746
; %bb.739:                              ;   in Loop: Header=BB241_433 Depth=1
	v_bfrev_b32_e32 v25, 1
	s_mov_b32 s24, exec_lo
	v_cmpx_ne_u16_e32 0x80, v10
	s_cbranch_execz .LBB241_745
; %bb.740:                              ;   in Loop: Header=BB241_433 Depth=1
	v_and_b32_e32 v26, 0xffff, v10
	v_mov_b32_e32 v25, 0x7c010000
	s_mov_b32 s25, exec_lo
	s_delay_alu instid0(VALU_DEP_2) | instskip(NEXT) | instid1(VALU_DEP_1)
	v_and_b32_e32 v39, 0x7f, v26
	v_cmpx_ne_u32_e32 0x7f, v39
	s_cbranch_execz .LBB241_744
; %bb.741:                              ;   in Loop: Header=BB241_433 Depth=1
	v_dual_lshrrev_b32 v38, 3, v39 :: v_dual_bitop2_b32 v25, 7, v26 bitop3:0x40
	s_mov_b32 s26, exec_lo
	v_cmpx_gt_u32_e32 8, v39
; %bb.742:                              ;   in Loop: Header=BB241_433 Depth=1
	s_delay_alu instid0(VALU_DEP_2) | instskip(NEXT) | instid1(VALU_DEP_1)
	v_clz_i32_u32_e32 v25, v25
	v_min_u32_e32 v25, 32, v25
	s_delay_alu instid0(VALU_DEP_1) | instskip(NEXT) | instid1(VALU_DEP_1)
	v_subrev_nc_u32_e32 v38, 28, v25
	v_lshlrev_b64_e32 v[52:53], v38, v[10:11]
	s_delay_alu instid0(VALU_DEP_1)
	v_dual_sub_nc_u32 v38, 29, v25 :: v_dual_bitop2_b32 v25, 7, v52 bitop3:0x40
; %bb.743:                              ;   in Loop: Header=BB241_433 Depth=1
	s_or_b32 exec_lo, exec_lo, s26
	s_delay_alu instid0(VALU_DEP_1) | instskip(NEXT) | instid1(VALU_DEP_2)
	v_dual_lshlrev_b32 v10, 8, v26 :: v_dual_lshlrev_b32 v25, 23, v25
	v_lshl_add_u32 v26, v38, 10, 0x2000
	s_delay_alu instid0(VALU_DEP_1) | instskip(NEXT) | instid1(VALU_DEP_1)
	v_and_or_b32 v10, 0x8000, v10, v26
	v_lshl_or_b32 v25, v10, 16, v25
.LBB241_744:                            ;   in Loop: Header=BB241_433 Depth=1
	s_or_b32 exec_lo, exec_lo, s25
.LBB241_745:                            ;   in Loop: Header=BB241_433 Depth=1
	s_delay_alu instid0(SALU_CYCLE_1)
	s_or_b32 exec_lo, exec_lo, s24
.LBB241_746:                            ;   in Loop: Header=BB241_433 Depth=1
	s_delay_alu instid0(SALU_CYCLE_1) | instskip(SKIP_2) | instid1(VALU_DEP_1)
	s_or_b32 exec_lo, exec_lo, s23
	v_lshrrev_b32_e32 v10, 16, v21
	s_mov_b32 s23, exec_lo
	v_and_b32_e32 v26, 0xff, v10
	s_delay_alu instid0(VALU_DEP_1)
	v_cmpx_ne_u16_e32 0, v26
	s_cbranch_execz .LBB241_754
; %bb.747:                              ;   in Loop: Header=BB241_433 Depth=1
	v_mov_b32_e32 v24, 0x8000
	s_mov_b32 s24, exec_lo
	v_cmpx_ne_u16_e32 0x80, v26
	s_cbranch_execz .LBB241_753
; %bb.748:                              ;   in Loop: Header=BB241_433 Depth=1
	v_bfe_u32 v38, v21, 16, 7
	v_mov_b32_e32 v24, 0x7c01
	s_mov_b32 s25, exec_lo
	s_delay_alu instid0(VALU_DEP_2)
	v_cmpx_ne_u32_e32 0x7f, v38
	s_cbranch_execz .LBB241_752
; %bb.749:                              ;   in Loop: Header=BB241_433 Depth=1
	v_and_b32_e32 v24, 7, v10
	v_lshrrev_b32_e32 v26, 3, v38
	s_mov_b32 s26, exec_lo
	v_cmpx_gt_u32_e32 8, v38
; %bb.750:                              ;   in Loop: Header=BB241_433 Depth=1
	s_delay_alu instid0(VALU_DEP_3) | instskip(NEXT) | instid1(VALU_DEP_1)
	v_clz_i32_u32_e32 v24, v24
	v_min_u32_e32 v24, 32, v24
	s_delay_alu instid0(VALU_DEP_1) | instskip(NEXT) | instid1(VALU_DEP_1)
	v_subrev_nc_u32_e32 v26, 28, v24
	v_lshlrev_b64_e32 v[38:39], v26, v[10:11]
	s_delay_alu instid0(VALU_DEP_1)
	v_dual_sub_nc_u32 v26, 29, v24 :: v_dual_bitop2_b32 v24, 7, v38 bitop3:0x40
; %bb.751:                              ;   in Loop: Header=BB241_433 Depth=1
	s_or_b32 exec_lo, exec_lo, s26
	s_delay_alu instid0(VALU_DEP_1) | instskip(NEXT) | instid1(VALU_DEP_2)
	v_dual_lshlrev_b32 v10, 8, v10 :: v_dual_lshlrev_b32 v24, 7, v24
	v_lshl_add_u32 v26, v26, 10, 0x2000
	s_delay_alu instid0(VALU_DEP_2) | instskip(NEXT) | instid1(VALU_DEP_2)
	v_and_b32_e32 v10, 0x8000, v10
	v_and_b32_e32 v26, 0xfc00, v26
	s_delay_alu instid0(VALU_DEP_1)
	v_or3_b32 v24, v10, v26, v24
.LBB241_752:                            ;   in Loop: Header=BB241_433 Depth=1
	s_or_b32 exec_lo, exec_lo, s25
.LBB241_753:                            ;   in Loop: Header=BB241_433 Depth=1
	s_delay_alu instid0(SALU_CYCLE_1)
	s_or_b32 exec_lo, exec_lo, s24
.LBB241_754:                            ;   in Loop: Header=BB241_433 Depth=1
	s_delay_alu instid0(SALU_CYCLE_1)
	s_or_b32 exec_lo, exec_lo, s23
	v_cmp_lt_u64_e64 s0, s[8:9], v[20:21]
	v_mov_b32_e32 v20, 0
	s_and_saveexec_b32 s23, s0
	s_cbranch_execz .LBB241_762
; %bb.755:                              ;   in Loop: Header=BB241_433 Depth=1
	v_lshrrev_b32_e32 v10, 24, v21
	v_bfrev_b32_e32 v20, 1
	s_mov_b32 s24, exec_lo
	s_delay_alu instid0(VALU_DEP_2)
	v_cmpx_ne_u32_e32 0x80, v10
	s_cbranch_execz .LBB241_761
; %bb.756:                              ;   in Loop: Header=BB241_433 Depth=1
	v_and_b32_e32 v26, 0x7f, v10
	v_mov_b32_e32 v20, 0x7c010000
	s_mov_b32 s25, exec_lo
	s_delay_alu instid0(VALU_DEP_2)
	v_cmpx_ne_u32_e32 0x7f, v26
	s_cbranch_execz .LBB241_760
; %bb.757:                              ;   in Loop: Header=BB241_433 Depth=1
	v_and_b32_e32 v20, 7, v10
	v_lshrrev_b32_e32 v21, 3, v26
	s_mov_b32 s26, exec_lo
	v_cmpx_gt_u32_e32 8, v26
; %bb.758:                              ;   in Loop: Header=BB241_433 Depth=1
	s_delay_alu instid0(VALU_DEP_3) | instskip(NEXT) | instid1(VALU_DEP_1)
	v_clz_i32_u32_e32 v20, v20
	v_min_u32_e32 v26, 32, v20
	s_delay_alu instid0(VALU_DEP_1) | instskip(NEXT) | instid1(VALU_DEP_1)
	v_subrev_nc_u32_e32 v20, 28, v26
	v_lshlrev_b64_e32 v[20:21], v20, v[10:11]
	s_delay_alu instid0(VALU_DEP_1)
	v_dual_sub_nc_u32 v21, 29, v26 :: v_dual_bitop2_b32 v20, 7, v20 bitop3:0x40
; %bb.759:                              ;   in Loop: Header=BB241_433 Depth=1
	s_or_b32 exec_lo, exec_lo, s26
	s_delay_alu instid0(VALU_DEP_1) | instskip(NEXT) | instid1(VALU_DEP_2)
	v_dual_lshlrev_b32 v10, 8, v10 :: v_dual_lshlrev_b32 v20, 23, v20
	v_lshl_add_u32 v21, v21, 10, 0x2000
	s_delay_alu instid0(VALU_DEP_1) | instskip(NEXT) | instid1(VALU_DEP_1)
	v_and_or_b32 v10, 0x8000, v10, v21
	v_lshl_or_b32 v20, v10, 16, v20
.LBB241_760:                            ;   in Loop: Header=BB241_433 Depth=1
	s_or_b32 exec_lo, exec_lo, s25
.LBB241_761:                            ;   in Loop: Header=BB241_433 Depth=1
	s_delay_alu instid0(SALU_CYCLE_1)
	s_or_b32 exec_lo, exec_lo, s24
.LBB241_762:                            ;   in Loop: Header=BB241_433 Depth=1
	s_delay_alu instid0(SALU_CYCLE_1) | instskip(SKIP_3) | instid1(VALU_DEP_3)
	s_or_b32 exec_lo, exec_lo, s23
	v_dual_lshrrev_b32 v10, 16, v1 :: v_dual_lshrrev_b32 v21, 16, v19
	v_or_b32_e32 v1, v1, v3
	v_dual_lshrrev_b32 v22, 16, v20 :: v_dual_bitop2_b32 v3, v19, v22 bitop3:0x54
	v_cvt_f32_f16_e32 v39, v10
	s_delay_alu instid0(VALU_DEP_4) | instskip(SKIP_4) | instid1(VALU_DEP_3)
	v_cvt_f32_f16_e32 v38, v21
	v_lshrrev_b32_e32 v19, 16, v25
	v_cvt_f32_f16_e32 v21, v1
	v_cvt_f32_f16_e32 v22, v22
	s_wait_loadcnt 0x0
	v_pk_mul_f32 v[38:39], v[18:19], v[38:39] op_sel_hi:[0,1]
	s_delay_alu instid0(VALU_DEP_1) | instskip(SKIP_4) | instid1(VALU_DEP_3)
	v_cvt_pk_f16_f32 v1, v38, v39
	v_or_b32_e32 v10, v20, v24
	v_cvt_f32_f16_e32 v20, v3
	v_or_b32_e32 v3, v25, v23
	v_cvt_f32_f16_e32 v23, v19
	v_pk_mul_f32 v[20:21], v[18:19], v[20:21] op_sel_hi:[0,1]
	s_delay_alu instid0(VALU_DEP_3) | instskip(NEXT) | instid1(VALU_DEP_3)
	v_cvt_f32_f16_e32 v25, v3
	v_pk_mul_f32 v[22:23], v[18:19], v[22:23] op_sel_hi:[0,1]
	s_delay_alu instid0(VALU_DEP_3) | instskip(SKIP_2) | instid1(VALU_DEP_4)
	v_cvt_pk_f16_f32 v3, v20, v21
	v_lshlrev_b32_e32 v20, 16, v1
	v_cvt_f32_f16_e32 v24, v10
	v_cvt_pk_f16_f32 v10, v22, v23
	s_delay_alu instid0(VALU_DEP_4) | instskip(NEXT) | instid1(VALU_DEP_3)
	v_and_b32_e32 v26, 0xffff, v3
	v_pk_mul_f32 v[24:25], v[18:19], v[24:25] op_sel_hi:[0,1]
	v_and_b32_e32 v19, 0xffff0000, v1
	s_delay_alu instid0(VALU_DEP_4) | instskip(SKIP_1) | instid1(VALU_DEP_4)
	v_and_b32_e32 v1, 0xffff0000, v10
	v_lshlrev_b32_e32 v10, 16, v10
	v_cvt_pk_f16_f32 v18, v24, v25
	v_dual_lshrrev_b32 v25, 16, v3 :: v_dual_bitop2_b32 v24, v20, v26 bitop3:0x54
	s_delay_alu instid0(VALU_DEP_2) | instskip(SKIP_1) | instid1(VALU_DEP_3)
	v_lshrrev_b32_e32 v3, 16, v18
	v_and_b32_e32 v18, 0xffff, v18
	v_or_b32_e32 v23, v19, v25
	s_delay_alu instid0(VALU_DEP_3) | instskip(NEXT) | instid1(VALU_DEP_3)
	v_or_b32_e32 v21, v1, v3
	v_or_b32_e32 v22, v10, v18
	s_and_saveexec_b32 s23, vcc_lo
	s_cbranch_execz .LBB241_764
; %bb.763:                              ;   in Loop: Header=BB241_433 Depth=1
	v_cmp_gt_i32_e64 s0, s18, v2
	s_delay_alu instid0(VALU_DEP_1) | instskip(SKIP_1) | instid1(VALU_DEP_1)
	v_cndmask_b32_e64 v21, 0, v25, s0
	v_cmp_gt_i32_e64 s0, s34, v37
	v_cndmask_b32_e64 v22, 0, v26, s0
	v_cmp_gt_i32_e64 s0, s18, v36
	s_delay_alu instid0(VALU_DEP_1) | instskip(SKIP_1) | instid1(VALU_DEP_1)
	v_cndmask_b32_e64 v19, 0, v19, s0
	v_cmp_gt_i32_e64 s0, s34, v35
	v_cndmask_b32_e64 v20, 0, v20, s0
	v_cmp_gt_i32_e64 s0, s18, v34
	s_delay_alu instid0(VALU_DEP_4) | instskip(NEXT) | instid1(VALU_DEP_2)
	v_or_b32_e32 v23, v19, v21
	v_dual_cndmask_b32 v3, 0, v3, s0 :: v_dual_bitop2_b32 v24, v20, v22 bitop3:0x54
	v_cmp_gt_i32_e64 s0, s34, v33
	s_delay_alu instid0(VALU_DEP_1) | instskip(SKIP_1) | instid1(VALU_DEP_1)
	v_cndmask_b32_e64 v18, 0, v18, s0
	v_cmp_gt_i32_e64 s0, s18, v32
	v_cndmask_b32_e64 v1, 0, v1, s0
	v_cmp_gt_i32_e64 s0, s34, v31
	s_delay_alu instid0(VALU_DEP_1) | instskip(NEXT) | instid1(VALU_DEP_1)
	v_dual_cndmask_b32 v10, 0, v10, s0 :: v_dual_bitop2_b32 v21, v1, v3 bitop3:0x54
	v_or_b32_e32 v22, v10, v18
.LBB241_764:                            ;   in Loop: Header=BB241_433 Depth=1
	s_or_b32 exec_lo, exec_lo, s23
	;;#ASMSTART
	v_pk_mul_f16 v1, v45, v23;

	;;#ASMEND
	;;#ASMSTART
	v_pk_mul_f16 v3, v43, v24;

	;;#ASMEND
	;; [unrolled: 4-line block ×4, first 2 shown]
	;;#ASMSTART
	v_pk_add_f16 v1, v1, v3;

	;;#ASMEND
	;;#ASMSTART
	v_pk_add_f16 v1, v1, v10;

	;;#ASMEND
	;; [unrolled: 4-line block ×3, first 2 shown]
	v_and_b32_e32 v3, 0xffff, v1
	v_lshrrev_b32_e32 v1, 16, v1
	;;#ASMSTART
	v_cvt_f32_f16 v38, v3;
	;;#ASMEND
	v_mov_b32_e32 v3, 0
	;;#ASMSTART
	v_cvt_f32_f16 v39, v1;
	;;#ASMEND
	global_load_b64 v[18:19], v[16:17], off offset:1280
	v_mov_b32_e32 v1, 0
	s_mov_b32 s23, exec_lo
	global_load_b32 v16, v1, s[10:11]
	s_wait_loadcnt 0x1
	v_and_b32_e32 v10, 0xff, v18
	s_wait_xcnt 0x0
	s_delay_alu instid0(VALU_DEP_1)
	v_cmpx_ne_u16_e32 0, v10
	s_cbranch_execz .LBB241_772
; %bb.765:                              ;   in Loop: Header=BB241_433 Depth=1
	v_mov_b32_e32 v3, 0x8000
	s_mov_b32 s24, exec_lo
	v_cmpx_ne_u16_e32 0x80, v10
	s_cbranch_execz .LBB241_771
; %bb.766:                              ;   in Loop: Header=BB241_433 Depth=1
	v_and_b32_e32 v17, 0x7f, v18
	v_mov_b32_e32 v3, 0x7c01
	s_mov_b32 s25, exec_lo
	s_delay_alu instid0(VALU_DEP_2)
	v_cmpx_ne_u32_e32 0x7f, v17
	s_cbranch_execz .LBB241_770
; %bb.767:                              ;   in Loop: Header=BB241_433 Depth=1
	v_dual_lshrrev_b32 v10, 3, v17 :: v_dual_bitop2_b32 v3, 7, v18 bitop3:0x40
	s_mov_b32 s26, exec_lo
	v_cmpx_gt_u32_e32 8, v17
; %bb.768:                              ;   in Loop: Header=BB241_433 Depth=1
	s_delay_alu instid0(VALU_DEP_2) | instskip(NEXT) | instid1(VALU_DEP_1)
	v_clz_i32_u32_e32 v3, v3
	v_min_u32_e32 v3, 32, v3
	s_delay_alu instid0(VALU_DEP_1) | instskip(NEXT) | instid1(VALU_DEP_1)
	v_subrev_nc_u32_e32 v10, 28, v3
	v_lshlrev_b64_e32 v[20:21], v10, v[18:19]
	s_delay_alu instid0(VALU_DEP_1)
	v_dual_sub_nc_u32 v10, 29, v3 :: v_dual_bitop2_b32 v3, 7, v20 bitop3:0x40
; %bb.769:                              ;   in Loop: Header=BB241_433 Depth=1
	s_or_b32 exec_lo, exec_lo, s26
	s_delay_alu instid0(VALU_DEP_1) | instskip(NEXT) | instid1(VALU_DEP_2)
	v_dual_lshlrev_b32 v17, 8, v18 :: v_dual_lshlrev_b32 v3, 7, v3
	v_lshl_add_u32 v10, v10, 10, 0x2000
	s_delay_alu instid0(VALU_DEP_2) | instskip(NEXT) | instid1(VALU_DEP_2)
	v_and_b32_e32 v17, 0x8000, v17
	v_and_b32_e32 v10, 0xfc00, v10
	s_delay_alu instid0(VALU_DEP_1)
	v_or3_b32 v3, v17, v10, v3
.LBB241_770:                            ;   in Loop: Header=BB241_433 Depth=1
	s_or_b32 exec_lo, exec_lo, s25
.LBB241_771:                            ;   in Loop: Header=BB241_433 Depth=1
	s_delay_alu instid0(SALU_CYCLE_1)
	s_or_b32 exec_lo, exec_lo, s24
.LBB241_772:                            ;   in Loop: Header=BB241_433 Depth=1
	s_delay_alu instid0(SALU_CYCLE_1) | instskip(SKIP_2) | instid1(VALU_DEP_1)
	s_or_b32 exec_lo, exec_lo, s23
	v_lshrrev_b16 v10, 8, v18
	s_mov_b32 s23, exec_lo
	v_cmpx_ne_u16_e32 0, v10
	s_cbranch_execz .LBB241_780
; %bb.773:                              ;   in Loop: Header=BB241_433 Depth=1
	v_bfrev_b32_e32 v1, 1
	s_mov_b32 s24, exec_lo
	v_cmpx_ne_u16_e32 0x80, v10
	s_cbranch_execz .LBB241_779
; %bb.774:                              ;   in Loop: Header=BB241_433 Depth=1
	v_and_b32_e32 v17, 0xffff, v10
	v_mov_b32_e32 v1, 0x7c010000
	s_mov_b32 s25, exec_lo
	s_delay_alu instid0(VALU_DEP_2) | instskip(NEXT) | instid1(VALU_DEP_1)
	v_and_b32_e32 v21, 0x7f, v17
	v_cmpx_ne_u32_e32 0x7f, v21
	s_cbranch_execz .LBB241_778
; %bb.775:                              ;   in Loop: Header=BB241_433 Depth=1
	v_and_b32_e32 v1, 7, v17
	v_lshrrev_b32_e32 v20, 3, v21
	s_mov_b32 s26, exec_lo
	v_cmpx_gt_u32_e32 8, v21
; %bb.776:                              ;   in Loop: Header=BB241_433 Depth=1
	s_delay_alu instid0(VALU_DEP_3) | instskip(NEXT) | instid1(VALU_DEP_1)
	v_clz_i32_u32_e32 v1, v1
	v_min_u32_e32 v1, 32, v1
	s_delay_alu instid0(VALU_DEP_1) | instskip(NEXT) | instid1(VALU_DEP_1)
	v_subrev_nc_u32_e32 v20, 28, v1
	v_lshlrev_b64_e32 v[22:23], v20, v[10:11]
	s_delay_alu instid0(VALU_DEP_1)
	v_dual_sub_nc_u32 v20, 29, v1 :: v_dual_bitop2_b32 v1, 7, v22 bitop3:0x40
; %bb.777:                              ;   in Loop: Header=BB241_433 Depth=1
	s_or_b32 exec_lo, exec_lo, s26
	v_lshlrev_b32_e32 v10, 8, v17
	s_delay_alu instid0(VALU_DEP_2) | instskip(NEXT) | instid1(VALU_DEP_3)
	v_lshl_add_u32 v17, v20, 10, 0x2000
	v_lshlrev_b32_e32 v1, 23, v1
	s_delay_alu instid0(VALU_DEP_2) | instskip(NEXT) | instid1(VALU_DEP_1)
	v_and_or_b32 v10, 0x8000, v10, v17
	v_lshl_or_b32 v1, v10, 16, v1
.LBB241_778:                            ;   in Loop: Header=BB241_433 Depth=1
	s_or_b32 exec_lo, exec_lo, s25
.LBB241_779:                            ;   in Loop: Header=BB241_433 Depth=1
	s_delay_alu instid0(SALU_CYCLE_1)
	s_or_b32 exec_lo, exec_lo, s24
.LBB241_780:                            ;   in Loop: Header=BB241_433 Depth=1
	s_delay_alu instid0(SALU_CYCLE_1) | instskip(SKIP_3) | instid1(VALU_DEP_2)
	s_or_b32 exec_lo, exec_lo, s23
	v_dual_mov_b32 v17, 0 :: v_dual_lshrrev_b32 v10, 16, v18
	v_mov_b32_e32 v20, 0
	s_mov_b32 s23, exec_lo
	v_and_b32_e32 v21, 0xff, v10
	s_delay_alu instid0(VALU_DEP_1)
	v_cmpx_ne_u16_e32 0, v21
	s_cbranch_execz .LBB241_788
; %bb.781:                              ;   in Loop: Header=BB241_433 Depth=1
	v_mov_b32_e32 v20, 0x8000
	s_mov_b32 s24, exec_lo
	v_cmpx_ne_u16_e32 0x80, v21
	s_cbranch_execz .LBB241_787
; %bb.782:                              ;   in Loop: Header=BB241_433 Depth=1
	v_bfe_u32 v22, v18, 16, 7
	v_mov_b32_e32 v20, 0x7c01
	s_mov_b32 s25, exec_lo
	s_delay_alu instid0(VALU_DEP_2)
	v_cmpx_ne_u32_e32 0x7f, v22
	s_cbranch_execz .LBB241_786
; %bb.783:                              ;   in Loop: Header=BB241_433 Depth=1
	v_and_b32_e32 v20, 7, v10
	v_lshrrev_b32_e32 v21, 3, v22
	s_mov_b32 s26, exec_lo
	v_cmpx_gt_u32_e32 8, v22
; %bb.784:                              ;   in Loop: Header=BB241_433 Depth=1
	s_delay_alu instid0(VALU_DEP_3) | instskip(NEXT) | instid1(VALU_DEP_1)
	v_clz_i32_u32_e32 v20, v20
	v_min_u32_e32 v22, 32, v20
	s_delay_alu instid0(VALU_DEP_1) | instskip(NEXT) | instid1(VALU_DEP_1)
	v_subrev_nc_u32_e32 v20, 28, v22
	v_lshlrev_b64_e32 v[20:21], v20, v[10:11]
	s_delay_alu instid0(VALU_DEP_1)
	v_dual_sub_nc_u32 v21, 29, v22 :: v_dual_bitop2_b32 v20, 7, v20 bitop3:0x40
; %bb.785:                              ;   in Loop: Header=BB241_433 Depth=1
	s_or_b32 exec_lo, exec_lo, s26
	s_delay_alu instid0(VALU_DEP_1) | instskip(NEXT) | instid1(VALU_DEP_2)
	v_dual_lshlrev_b32 v10, 8, v10 :: v_dual_lshlrev_b32 v20, 7, v20
	v_lshl_add_u32 v21, v21, 10, 0x2000
	s_delay_alu instid0(VALU_DEP_2) | instskip(NEXT) | instid1(VALU_DEP_2)
	v_and_b32_e32 v10, 0x8000, v10
	v_and_b32_e32 v21, 0xfc00, v21
	s_delay_alu instid0(VALU_DEP_1)
	v_or3_b32 v20, v10, v21, v20
.LBB241_786:                            ;   in Loop: Header=BB241_433 Depth=1
	s_or_b32 exec_lo, exec_lo, s25
.LBB241_787:                            ;   in Loop: Header=BB241_433 Depth=1
	s_delay_alu instid0(SALU_CYCLE_1)
	s_or_b32 exec_lo, exec_lo, s24
.LBB241_788:                            ;   in Loop: Header=BB241_433 Depth=1
	s_delay_alu instid0(SALU_CYCLE_1) | instskip(NEXT) | instid1(SALU_CYCLE_1)
	s_or_b32 exec_lo, exec_lo, s23
	s_mov_b32 s23, exec_lo
	v_cmpx_lt_u32_e32 0xffffff, v18
	s_cbranch_execz .LBB241_796
; %bb.789:                              ;   in Loop: Header=BB241_433 Depth=1
	v_lshrrev_b32_e32 v10, 24, v18
	v_bfrev_b32_e32 v17, 1
	s_mov_b32 s24, exec_lo
	s_delay_alu instid0(VALU_DEP_2)
	v_cmpx_ne_u32_e32 0x80, v10
	s_cbranch_execz .LBB241_795
; %bb.790:                              ;   in Loop: Header=BB241_433 Depth=1
	v_and_b32_e32 v22, 0x7f, v10
	v_mov_b32_e32 v17, 0x7c010000
	s_mov_b32 s25, exec_lo
	s_delay_alu instid0(VALU_DEP_2)
	v_cmpx_ne_u32_e32 0x7f, v22
	s_cbranch_execz .LBB241_794
; %bb.791:                              ;   in Loop: Header=BB241_433 Depth=1
	v_and_b32_e32 v17, 7, v10
	v_lshrrev_b32_e32 v21, 3, v22
	s_mov_b32 s26, exec_lo
	v_cmpx_gt_u32_e32 8, v22
; %bb.792:                              ;   in Loop: Header=BB241_433 Depth=1
	s_delay_alu instid0(VALU_DEP_3) | instskip(NEXT) | instid1(VALU_DEP_1)
	v_clz_i32_u32_e32 v17, v17
	v_min_u32_e32 v17, 32, v17
	s_delay_alu instid0(VALU_DEP_1) | instskip(NEXT) | instid1(VALU_DEP_1)
	v_subrev_nc_u32_e32 v21, 28, v17
	v_lshlrev_b64_e32 v[22:23], v21, v[10:11]
	s_delay_alu instid0(VALU_DEP_1)
	v_dual_sub_nc_u32 v21, 29, v17 :: v_dual_bitop2_b32 v17, 7, v22 bitop3:0x40
; %bb.793:                              ;   in Loop: Header=BB241_433 Depth=1
	s_or_b32 exec_lo, exec_lo, s26
	s_delay_alu instid0(VALU_DEP_1) | instskip(NEXT) | instid1(VALU_DEP_2)
	v_dual_lshlrev_b32 v10, 8, v10 :: v_dual_lshlrev_b32 v17, 23, v17
	v_lshl_add_u32 v21, v21, 10, 0x2000
	s_delay_alu instid0(VALU_DEP_1) | instskip(NEXT) | instid1(VALU_DEP_1)
	v_and_or_b32 v10, 0x8000, v10, v21
	v_lshl_or_b32 v17, v10, 16, v17
.LBB241_794:                            ;   in Loop: Header=BB241_433 Depth=1
	s_or_b32 exec_lo, exec_lo, s25
.LBB241_795:                            ;   in Loop: Header=BB241_433 Depth=1
	s_delay_alu instid0(SALU_CYCLE_1)
	s_or_b32 exec_lo, exec_lo, s24
.LBB241_796:                            ;   in Loop: Header=BB241_433 Depth=1
	s_delay_alu instid0(SALU_CYCLE_1) | instskip(SKIP_4) | instid1(VALU_DEP_3)
	s_or_b32 exec_lo, exec_lo, s23
	v_and_b32_e32 v23, 0xff, v19
	v_dual_mov_b32 v10, v19 :: v_dual_mov_b32 v22, 0
	v_mov_b32_e32 v21, 0
	s_mov_b32 s23, exec_lo
	v_cmpx_ne_u16_e32 0, v23
	s_cbranch_execz .LBB241_804
; %bb.797:                              ;   in Loop: Header=BB241_433 Depth=1
	v_mov_b32_e32 v21, 0x8000
	s_mov_b32 s24, exec_lo
	v_cmpx_ne_u16_e32 0x80, v23
	s_cbranch_execz .LBB241_803
; %bb.798:                              ;   in Loop: Header=BB241_433 Depth=1
	v_and_b32_e32 v24, 0x7f, v19
	v_mov_b32_e32 v21, 0x7c01
	s_mov_b32 s25, exec_lo
	s_delay_alu instid0(VALU_DEP_2)
	v_cmpx_ne_u32_e32 0x7f, v24
	s_cbranch_execz .LBB241_802
; %bb.799:                              ;   in Loop: Header=BB241_433 Depth=1
	v_dual_lshrrev_b32 v23, 3, v24 :: v_dual_bitop2_b32 v21, 7, v19 bitop3:0x40
	s_mov_b32 s26, exec_lo
	v_cmpx_gt_u32_e32 8, v24
; %bb.800:                              ;   in Loop: Header=BB241_433 Depth=1
	s_delay_alu instid0(VALU_DEP_2) | instskip(NEXT) | instid1(VALU_DEP_1)
	v_clz_i32_u32_e32 v21, v21
	v_min_u32_e32 v21, 32, v21
	s_delay_alu instid0(VALU_DEP_1) | instskip(NEXT) | instid1(VALU_DEP_1)
	v_subrev_nc_u32_e32 v23, 28, v21
	v_lshlrev_b64_e32 v[24:25], v23, v[10:11]
	s_delay_alu instid0(VALU_DEP_1)
	v_dual_sub_nc_u32 v23, 29, v21 :: v_dual_bitop2_b32 v21, 7, v24 bitop3:0x40
; %bb.801:                              ;   in Loop: Header=BB241_433 Depth=1
	s_or_b32 exec_lo, exec_lo, s26
	s_delay_alu instid0(VALU_DEP_1) | instskip(NEXT) | instid1(VALU_DEP_2)
	v_dual_lshlrev_b32 v24, 8, v19 :: v_dual_lshlrev_b32 v21, 7, v21
	v_lshl_add_u32 v23, v23, 10, 0x2000
	s_delay_alu instid0(VALU_DEP_2) | instskip(NEXT) | instid1(VALU_DEP_2)
	v_and_b32_e32 v24, 0x8000, v24
	v_and_b32_e32 v23, 0xfc00, v23
	s_delay_alu instid0(VALU_DEP_1)
	v_or3_b32 v21, v24, v23, v21
.LBB241_802:                            ;   in Loop: Header=BB241_433 Depth=1
	s_or_b32 exec_lo, exec_lo, s25
.LBB241_803:                            ;   in Loop: Header=BB241_433 Depth=1
	s_delay_alu instid0(SALU_CYCLE_1)
	s_or_b32 exec_lo, exec_lo, s24
.LBB241_804:                            ;   in Loop: Header=BB241_433 Depth=1
	s_delay_alu instid0(SALU_CYCLE_1) | instskip(SKIP_3) | instid1(VALU_DEP_2)
	s_or_b32 exec_lo, exec_lo, s23
	v_lshrrev_b16 v10, 8, v10
	v_mov_b32_e32 v23, 0
	s_mov_b32 s23, exec_lo
	v_cmpx_ne_u16_e32 0, v10
	s_cbranch_execz .LBB241_812
; %bb.805:                              ;   in Loop: Header=BB241_433 Depth=1
	v_bfrev_b32_e32 v23, 1
	s_mov_b32 s24, exec_lo
	v_cmpx_ne_u16_e32 0x80, v10
	s_cbranch_execz .LBB241_811
; %bb.806:                              ;   in Loop: Header=BB241_433 Depth=1
	v_and_b32_e32 v24, 0xffff, v10
	v_mov_b32_e32 v23, 0x7c010000
	s_mov_b32 s25, exec_lo
	s_delay_alu instid0(VALU_DEP_2) | instskip(NEXT) | instid1(VALU_DEP_1)
	v_and_b32_e32 v26, 0x7f, v24
	v_cmpx_ne_u32_e32 0x7f, v26
	s_cbranch_execz .LBB241_810
; %bb.807:                              ;   in Loop: Header=BB241_433 Depth=1
	v_dual_lshrrev_b32 v25, 3, v26 :: v_dual_bitop2_b32 v23, 7, v24 bitop3:0x40
	s_mov_b32 s26, exec_lo
	v_cmpx_gt_u32_e32 8, v26
; %bb.808:                              ;   in Loop: Header=BB241_433 Depth=1
	s_delay_alu instid0(VALU_DEP_2) | instskip(NEXT) | instid1(VALU_DEP_1)
	v_clz_i32_u32_e32 v23, v23
	v_min_u32_e32 v23, 32, v23
	s_delay_alu instid0(VALU_DEP_1) | instskip(NEXT) | instid1(VALU_DEP_1)
	v_subrev_nc_u32_e32 v25, 28, v23
	v_lshlrev_b64_e32 v[52:53], v25, v[10:11]
	s_delay_alu instid0(VALU_DEP_1)
	v_dual_sub_nc_u32 v25, 29, v23 :: v_dual_bitop2_b32 v23, 7, v52 bitop3:0x40
; %bb.809:                              ;   in Loop: Header=BB241_433 Depth=1
	s_or_b32 exec_lo, exec_lo, s26
	s_delay_alu instid0(VALU_DEP_1) | instskip(NEXT) | instid1(VALU_DEP_2)
	v_dual_lshlrev_b32 v10, 8, v24 :: v_dual_lshlrev_b32 v23, 23, v23
	v_lshl_add_u32 v24, v25, 10, 0x2000
	s_delay_alu instid0(VALU_DEP_1) | instskip(NEXT) | instid1(VALU_DEP_1)
	v_and_or_b32 v10, 0x8000, v10, v24
	v_lshl_or_b32 v23, v10, 16, v23
.LBB241_810:                            ;   in Loop: Header=BB241_433 Depth=1
	s_or_b32 exec_lo, exec_lo, s25
.LBB241_811:                            ;   in Loop: Header=BB241_433 Depth=1
	s_delay_alu instid0(SALU_CYCLE_1)
	s_or_b32 exec_lo, exec_lo, s24
.LBB241_812:                            ;   in Loop: Header=BB241_433 Depth=1
	s_delay_alu instid0(SALU_CYCLE_1) | instskip(SKIP_2) | instid1(VALU_DEP_1)
	s_or_b32 exec_lo, exec_lo, s23
	v_lshrrev_b32_e32 v10, 16, v19
	s_mov_b32 s23, exec_lo
	v_and_b32_e32 v24, 0xff, v10
	s_delay_alu instid0(VALU_DEP_1)
	v_cmpx_ne_u16_e32 0, v24
	s_cbranch_execz .LBB241_820
; %bb.813:                              ;   in Loop: Header=BB241_433 Depth=1
	v_mov_b32_e32 v22, 0x8000
	s_mov_b32 s24, exec_lo
	v_cmpx_ne_u16_e32 0x80, v24
	s_cbranch_execz .LBB241_819
; %bb.814:                              ;   in Loop: Header=BB241_433 Depth=1
	v_bfe_u32 v25, v19, 16, 7
	v_mov_b32_e32 v22, 0x7c01
	s_mov_b32 s25, exec_lo
	s_delay_alu instid0(VALU_DEP_2)
	v_cmpx_ne_u32_e32 0x7f, v25
	s_cbranch_execz .LBB241_818
; %bb.815:                              ;   in Loop: Header=BB241_433 Depth=1
	v_dual_lshrrev_b32 v24, 3, v25 :: v_dual_bitop2_b32 v22, 7, v10 bitop3:0x40
	s_mov_b32 s26, exec_lo
	v_cmpx_gt_u32_e32 8, v25
; %bb.816:                              ;   in Loop: Header=BB241_433 Depth=1
	s_delay_alu instid0(VALU_DEP_2) | instskip(NEXT) | instid1(VALU_DEP_1)
	v_clz_i32_u32_e32 v22, v22
	v_min_u32_e32 v22, 32, v22
	s_delay_alu instid0(VALU_DEP_1) | instskip(NEXT) | instid1(VALU_DEP_1)
	v_subrev_nc_u32_e32 v24, 28, v22
	v_lshlrev_b64_e32 v[52:53], v24, v[10:11]
	s_delay_alu instid0(VALU_DEP_1)
	v_dual_sub_nc_u32 v24, 29, v22 :: v_dual_bitop2_b32 v22, 7, v52 bitop3:0x40
; %bb.817:                              ;   in Loop: Header=BB241_433 Depth=1
	s_or_b32 exec_lo, exec_lo, s26
	v_lshlrev_b32_e32 v10, 8, v10
	s_delay_alu instid0(VALU_DEP_2) | instskip(NEXT) | instid1(VALU_DEP_3)
	v_lshl_add_u32 v24, v24, 10, 0x2000
	v_lshlrev_b32_e32 v22, 7, v22
	s_delay_alu instid0(VALU_DEP_3) | instskip(NEXT) | instid1(VALU_DEP_3)
	v_and_b32_e32 v10, 0x8000, v10
	v_and_b32_e32 v24, 0xfc00, v24
	s_delay_alu instid0(VALU_DEP_1)
	v_or3_b32 v22, v10, v24, v22
.LBB241_818:                            ;   in Loop: Header=BB241_433 Depth=1
	s_or_b32 exec_lo, exec_lo, s25
.LBB241_819:                            ;   in Loop: Header=BB241_433 Depth=1
	s_delay_alu instid0(SALU_CYCLE_1)
	s_or_b32 exec_lo, exec_lo, s24
.LBB241_820:                            ;   in Loop: Header=BB241_433 Depth=1
	s_delay_alu instid0(SALU_CYCLE_1)
	s_or_b32 exec_lo, exec_lo, s23
	v_cmp_lt_u64_e64 s0, s[8:9], v[18:19]
	v_mov_b32_e32 v18, 0
	s_and_saveexec_b32 s23, s0
	s_cbranch_execz .LBB241_828
; %bb.821:                              ;   in Loop: Header=BB241_433 Depth=1
	v_lshrrev_b32_e32 v10, 24, v19
	v_bfrev_b32_e32 v18, 1
	s_mov_b32 s24, exec_lo
	s_delay_alu instid0(VALU_DEP_2)
	v_cmpx_ne_u32_e32 0x80, v10
	s_cbranch_execz .LBB241_827
; %bb.822:                              ;   in Loop: Header=BB241_433 Depth=1
	v_and_b32_e32 v24, 0x7f, v10
	v_mov_b32_e32 v18, 0x7c010000
	s_mov_b32 s25, exec_lo
	s_delay_alu instid0(VALU_DEP_2)
	v_cmpx_ne_u32_e32 0x7f, v24
	s_cbranch_execz .LBB241_826
; %bb.823:                              ;   in Loop: Header=BB241_433 Depth=1
	v_dual_lshrrev_b32 v19, 3, v24 :: v_dual_bitop2_b32 v18, 7, v10 bitop3:0x40
	s_mov_b32 s26, exec_lo
	v_cmpx_gt_u32_e32 8, v24
; %bb.824:                              ;   in Loop: Header=BB241_433 Depth=1
	s_delay_alu instid0(VALU_DEP_2) | instskip(NEXT) | instid1(VALU_DEP_1)
	v_clz_i32_u32_e32 v18, v18
	v_min_u32_e32 v24, 32, v18
	s_delay_alu instid0(VALU_DEP_1) | instskip(NEXT) | instid1(VALU_DEP_1)
	v_subrev_nc_u32_e32 v18, 28, v24
	v_lshlrev_b64_e32 v[18:19], v18, v[10:11]
	s_delay_alu instid0(VALU_DEP_1)
	v_dual_sub_nc_u32 v19, 29, v24 :: v_dual_bitop2_b32 v18, 7, v18 bitop3:0x40
; %bb.825:                              ;   in Loop: Header=BB241_433 Depth=1
	s_or_b32 exec_lo, exec_lo, s26
	v_lshlrev_b32_e32 v10, 8, v10
	s_delay_alu instid0(VALU_DEP_2) | instskip(NEXT) | instid1(VALU_DEP_3)
	v_lshl_add_u32 v19, v19, 10, 0x2000
	v_lshlrev_b32_e32 v18, 23, v18
	s_delay_alu instid0(VALU_DEP_2) | instskip(NEXT) | instid1(VALU_DEP_1)
	v_and_or_b32 v10, 0x8000, v10, v19
	v_lshl_or_b32 v18, v10, 16, v18
.LBB241_826:                            ;   in Loop: Header=BB241_433 Depth=1
	s_or_b32 exec_lo, exec_lo, s25
.LBB241_827:                            ;   in Loop: Header=BB241_433 Depth=1
	s_delay_alu instid0(SALU_CYCLE_1)
	s_or_b32 exec_lo, exec_lo, s24
.LBB241_828:                            ;   in Loop: Header=BB241_433 Depth=1
	s_delay_alu instid0(SALU_CYCLE_1) | instskip(SKIP_3) | instid1(VALU_DEP_3)
	s_or_b32 exec_lo, exec_lo, s23
	v_dual_lshrrev_b32 v10, 16, v1 :: v_dual_bitop2_b32 v1, v1, v3 bitop3:0x54
	v_dual_lshrrev_b32 v19, 16, v17 :: v_dual_bitop2_b32 v3, v17, v20 bitop3:0x54
	v_lshrrev_b32_e32 v20, 16, v18
	v_cvt_f32_f16_e32 v25, v10
	v_dual_lshrrev_b32 v17, 16, v23 :: v_dual_bitop2_b32 v10, v18, v22 bitop3:0x54
	s_delay_alu instid0(VALU_DEP_4)
	v_cvt_f32_f16_e32 v24, v19
	v_cvt_f32_f16_e32 v18, v3
	v_or_b32_e32 v3, v23, v21
	v_cvt_f32_f16_e32 v19, v1
	v_cvt_f32_f16_e32 v21, v17
	s_wait_loadcnt 0x0
	v_pk_mul_f32 v[24:25], v[16:17], v[24:25] op_sel_hi:[0,1]
	v_cvt_f32_f16_e32 v20, v20
	v_cvt_f32_f16_e32 v22, v10
	;; [unrolled: 1-line block ×3, first 2 shown]
	v_pk_mul_f32 v[18:19], v[16:17], v[18:19] op_sel_hi:[0,1]
	v_cvt_pk_f16_f32 v1, v24, v25
	v_pk_mul_f32 v[24:25], v[16:17], v[20:21] op_sel_hi:[0,1]
	s_delay_alu instid0(VALU_DEP_4) | instskip(NEXT) | instid1(VALU_DEP_4)
	v_pk_mul_f32 v[16:17], v[16:17], v[22:23] op_sel_hi:[0,1]
	v_cvt_pk_f16_f32 v3, v18, v19
	s_delay_alu instid0(VALU_DEP_4) | instskip(NEXT) | instid1(VALU_DEP_4)
	v_and_b32_e32 v21, 0xffff0000, v1
	v_cvt_pk_f16_f32 v10, v24, v25
	v_lshlrev_b32_e32 v22, 16, v1
	v_cvt_pk_f16_f32 v16, v16, v17
	v_lshrrev_b32_e32 v23, 16, v3
	v_and_b32_e32 v24, 0xffff, v3
	v_and_b32_e32 v1, 0xffff0000, v10
	s_delay_alu instid0(VALU_DEP_4) | instskip(SKIP_3) | instid1(VALU_DEP_4)
	v_dual_lshlrev_b32 v10, 16, v10 :: v_dual_lshrrev_b32 v19, 16, v16
	v_and_b32_e32 v20, 0xffff, v16
	v_or_b32_e32 v17, v21, v23
	v_or_b32_e32 v18, v22, v24
	;; [unrolled: 1-line block ×3, first 2 shown]
	s_delay_alu instid0(VALU_DEP_4)
	v_or_b32_e32 v16, v10, v20
	s_and_saveexec_b32 s0, vcc_lo
	s_cbranch_execz .LBB241_431
; %bb.829:                              ;   in Loop: Header=BB241_433 Depth=1
	v_cmp_gt_i32_e32 vcc_lo, s18, v2
	v_cndmask_b32_e32 v3, 0, v23, vcc_lo
	v_cmp_gt_i32_e32 vcc_lo, s34, v37
	v_cndmask_b32_e32 v16, 0, v24, vcc_lo
	;; [unrolled: 2-line block ×4, first 2 shown]
	v_cmp_gt_i32_e32 vcc_lo, s18, v34
	s_delay_alu instid0(VALU_DEP_4) | instskip(NEXT) | instid1(VALU_DEP_3)
	v_or_b32_e32 v17, v17, v3
	v_dual_cndmask_b32 v19, 0, v19, vcc_lo :: v_dual_bitop2_b32 v18, v18, v16 bitop3:0x54
	v_cmp_gt_i32_e32 vcc_lo, s34, v33
	v_cndmask_b32_e32 v20, 0, v20, vcc_lo
	v_cmp_gt_i32_e32 vcc_lo, s18, v32
	v_cndmask_b32_e32 v1, 0, v1, vcc_lo
	v_cmp_gt_i32_e32 vcc_lo, s34, v31
	s_delay_alu instid0(VALU_DEP_2) | instskip(NEXT) | instid1(VALU_DEP_1)
	v_dual_cndmask_b32 v10, 0, v10, vcc_lo :: v_dual_bitop2_b32 v3, v1, v19 bitop3:0x54
	v_or_b32_e32 v16, v10, v20
	s_branch .LBB241_431
.LBB241_830:
	s_or_b32 exec_lo, exec_lo, s19
.LBB241_831:
	s_delay_alu instid0(SALU_CYCLE_1) | instskip(SKIP_4) | instid1(VALU_DEP_2)
	s_or_b32 exec_lo, exec_lo, s1
	v_lshl_add_u32 v2, v28, 2, 0x1a0
	v_and_b32_e32 v3, 0x3c0, v0
	s_mov_b32 s0, exec_lo
	s_barrier_signal -1
	v_mad_u32_u24 v1, 0x300, v27, v2
	s_barrier_wait -1
	v_cmpx_eq_u32_e32 64, v3
	s_cbranch_execz .LBB241_833
; %bb.832:
	s_delay_alu instid0(VALU_DEP_2)
	v_add_nc_u32_e32 v3, 0xfffffa00, v1
	v_add_nc_u32_e32 v10, 0xfffffa80, v1
	;; [unrolled: 1-line block ×6, first 2 shown]
	ds_store_b32 v3, v6
	ds_store_b32 v10, v7
	;; [unrolled: 1-line block ×6, first 2 shown]
.LBB241_833:
	s_or_b32 exec_lo, exec_lo, s0
	s_delay_alu instid0(SALU_CYCLE_1)
	s_mov_b32 s0, exec_lo
	s_wait_dscnt 0x0
	s_barrier_signal -1
	s_barrier_wait -1
	v_cmpx_gt_u32_e32 64, v0
	s_cbranch_execz .LBB241_835
; %bb.834:
	ds_load_2addr_b32 v[10:11], v1 offset1:32
	ds_load_2addr_b32 v[12:13], v1 offset0:64 offset1:96
	ds_load_2addr_b32 v[14:15], v1 offset0:128 offset1:160
	s_wait_dscnt 0x2
	v_pk_add_f32 v[6:7], v[6:7], v[10:11]
	s_wait_dscnt 0x1
	v_pk_add_f32 v[8:9], v[8:9], v[12:13]
	;; [unrolled: 2-line block ×3, first 2 shown]
.LBB241_835:
	s_or_b32 exec_lo, exec_lo, s0
	v_and_b32_e32 v3, 0x3e0, v0
	s_mov_b32 s0, exec_lo
	s_barrier_signal -1
	s_barrier_wait -1
	s_delay_alu instid0(VALU_DEP_1)
	v_cmpx_eq_u32_e32 32, v3
	s_cbranch_execz .LBB241_837
; %bb.836:
	ds_store_2addr_b32 v2, v6, v7 offset1:32
	ds_store_2addr_b32 v2, v8, v9 offset0:64 offset1:96
	ds_store_2addr_b32 v2, v4, v5 offset0:128 offset1:160
.LBB241_837:
	s_or_b32 exec_lo, exec_lo, s0
	v_cmp_gt_u32_e32 vcc_lo, 32, v0
	s_wait_dscnt 0x0
	s_barrier_signal -1
	s_barrier_wait -1
	s_and_saveexec_b32 s0, vcc_lo
	s_cbranch_execz .LBB241_839
; %bb.838:
	ds_load_2addr_b32 v[2:3], v1 offset1:32
	ds_load_2addr_b32 v[10:11], v1 offset0:64 offset1:96
	ds_load_2addr_b32 v[12:13], v1 offset0:128 offset1:160
	s_wait_dscnt 0x2
	v_pk_add_f32 v[6:7], v[6:7], v[2:3]
	s_wait_dscnt 0x1
	v_pk_add_f32 v[8:9], v[8:9], v[10:11]
	;; [unrolled: 2-line block ×3, first 2 shown]
.LBB241_839:
	s_or_b32 exec_lo, exec_lo, s0
	s_barrier_signal -1
	s_barrier_wait -1
	s_and_saveexec_b32 s0, vcc_lo
	s_cbranch_execz .LBB241_841
; %bb.840:
	s_mul_i32 s1, s33, s7
	s_mul_i32 s0, s7, s6
	s_mul_i32 s1, s1, s31
	s_bfe_u32 s7, ttmp6, 0x40014
	s_mul_i32 s2, s1, 0xc0
	s_lshr_b32 s6, ttmp7, 16
	s_ashr_i32 s3, s2, 31
	s_add_co_i32 s7, s7, 1
	s_lshl_b64 s[2:3], s[2:3], 1
	s_ashr_i32 s1, s0, 31
	s_wait_kmcnt 0x0
	s_add_nc_u64 s[2:3], s[4:5], s[2:3]
	s_mul_i32 s4, s6, s7
	s_bfe_u32 s5, ttmp6, 0x40008
	s_lshl_b64 s[0:1], s[0:1], 1
	s_add_co_i32 s5, s5, s4
	s_cmp_eq_u32 s30, 0
	s_add_nc_u64 s[0:1], s[2:3], s[0:1]
	s_cselect_b32 s2, s6, s5
	s_mov_b32 s3, 0
	s_mulk_i32 s2, 0x180
	;;#ASMSTART
	v_cvt_f16_f32 v1, v6;

	;;#ASMEND
	s_add_nc_u64 s[0:1], s[0:1], s[2:3]
	global_store_b16 v0, v1, s[0:1] scale_offset
	s_wait_xcnt 0x0
	;;#ASMSTART
	v_cvt_f16_f32 v1, v7;

	;;#ASMEND
	global_store_b16 v0, v1, s[0:1] offset:64 scale_offset
	s_wait_xcnt 0x0
	;;#ASMSTART
	v_cvt_f16_f32 v1, v8;

	;;#ASMEND
	global_store_b16 v0, v1, s[0:1] offset:128 scale_offset
	;; [unrolled: 6-line block ×5, first 2 shown]
.LBB241_841:
	s_sendmsg sendmsg(MSG_DEALLOC_VGPRS)
	s_endpgm
	.section	.rodata,"a",@progbits
	.p2align	6, 0x0
	.amdhsa_kernel _ZN4vllm25paged_attention_v1_kernelIthLi192ELi8ELi128ELNS_18Fp8KVCacheDataTypeE1ELb1EEEvPT_PKS2_PKT0_S8_ifPKiSA_iPKfiiiSC_SC_iiiii
		.amdhsa_group_segment_fixed_size 416
		.amdhsa_private_segment_fixed_size 0
		.amdhsa_kernarg_size 384
		.amdhsa_user_sgpr_count 2
		.amdhsa_user_sgpr_dispatch_ptr 0
		.amdhsa_user_sgpr_queue_ptr 0
		.amdhsa_user_sgpr_kernarg_segment_ptr 1
		.amdhsa_user_sgpr_dispatch_id 0
		.amdhsa_user_sgpr_kernarg_preload_length 0
		.amdhsa_user_sgpr_kernarg_preload_offset 0
		.amdhsa_user_sgpr_private_segment_size 0
		.amdhsa_wavefront_size32 1
		.amdhsa_uses_dynamic_stack 0
		.amdhsa_enable_private_segment 0
		.amdhsa_system_sgpr_workgroup_id_x 1
		.amdhsa_system_sgpr_workgroup_id_y 1
		.amdhsa_system_sgpr_workgroup_id_z 1
		.amdhsa_system_sgpr_workgroup_info 0
		.amdhsa_system_vgpr_workitem_id 0
		.amdhsa_next_free_vgpr 108
		.amdhsa_next_free_sgpr 45
		.amdhsa_named_barrier_count 0
		.amdhsa_reserve_vcc 1
		.amdhsa_float_round_mode_32 0
		.amdhsa_float_round_mode_16_64 0
		.amdhsa_float_denorm_mode_32 3
		.amdhsa_float_denorm_mode_16_64 3
		.amdhsa_fp16_overflow 0
		.amdhsa_memory_ordered 1
		.amdhsa_forward_progress 1
		.amdhsa_inst_pref_size 249
		.amdhsa_round_robin_scheduling 0
		.amdhsa_exception_fp_ieee_invalid_op 0
		.amdhsa_exception_fp_denorm_src 0
		.amdhsa_exception_fp_ieee_div_zero 0
		.amdhsa_exception_fp_ieee_overflow 0
		.amdhsa_exception_fp_ieee_underflow 0
		.amdhsa_exception_fp_ieee_inexact 0
		.amdhsa_exception_int_div_zero 0
	.end_amdhsa_kernel
	.section	.text._ZN4vllm25paged_attention_v1_kernelIthLi192ELi8ELi128ELNS_18Fp8KVCacheDataTypeE1ELb1EEEvPT_PKS2_PKT0_S8_ifPKiSA_iPKfiiiSC_SC_iiiii,"axG",@progbits,_ZN4vllm25paged_attention_v1_kernelIthLi192ELi8ELi128ELNS_18Fp8KVCacheDataTypeE1ELb1EEEvPT_PKS2_PKT0_S8_ifPKiSA_iPKfiiiSC_SC_iiiii,comdat
.Lfunc_end241:
	.size	_ZN4vllm25paged_attention_v1_kernelIthLi192ELi8ELi128ELNS_18Fp8KVCacheDataTypeE1ELb1EEEvPT_PKS2_PKT0_S8_ifPKiSA_iPKfiiiSC_SC_iiiii, .Lfunc_end241-_ZN4vllm25paged_attention_v1_kernelIthLi192ELi8ELi128ELNS_18Fp8KVCacheDataTypeE1ELb1EEEvPT_PKS2_PKT0_S8_ifPKiSA_iPKfiiiSC_SC_iiiii
                                        ; -- End function
	.set _ZN4vllm25paged_attention_v1_kernelIthLi192ELi8ELi128ELNS_18Fp8KVCacheDataTypeE1ELb1EEEvPT_PKS2_PKT0_S8_ifPKiSA_iPKfiiiSC_SC_iiiii.num_vgpr, 108
	.set _ZN4vllm25paged_attention_v1_kernelIthLi192ELi8ELi128ELNS_18Fp8KVCacheDataTypeE1ELb1EEEvPT_PKS2_PKT0_S8_ifPKiSA_iPKfiiiSC_SC_iiiii.num_agpr, 0
	.set _ZN4vllm25paged_attention_v1_kernelIthLi192ELi8ELi128ELNS_18Fp8KVCacheDataTypeE1ELb1EEEvPT_PKS2_PKT0_S8_ifPKiSA_iPKfiiiSC_SC_iiiii.numbered_sgpr, 45
	.set _ZN4vllm25paged_attention_v1_kernelIthLi192ELi8ELi128ELNS_18Fp8KVCacheDataTypeE1ELb1EEEvPT_PKS2_PKT0_S8_ifPKiSA_iPKfiiiSC_SC_iiiii.num_named_barrier, 0
	.set _ZN4vllm25paged_attention_v1_kernelIthLi192ELi8ELi128ELNS_18Fp8KVCacheDataTypeE1ELb1EEEvPT_PKS2_PKT0_S8_ifPKiSA_iPKfiiiSC_SC_iiiii.private_seg_size, 0
	.set _ZN4vllm25paged_attention_v1_kernelIthLi192ELi8ELi128ELNS_18Fp8KVCacheDataTypeE1ELb1EEEvPT_PKS2_PKT0_S8_ifPKiSA_iPKfiiiSC_SC_iiiii.uses_vcc, 1
	.set _ZN4vllm25paged_attention_v1_kernelIthLi192ELi8ELi128ELNS_18Fp8KVCacheDataTypeE1ELb1EEEvPT_PKS2_PKT0_S8_ifPKiSA_iPKfiiiSC_SC_iiiii.uses_flat_scratch, 0
	.set _ZN4vllm25paged_attention_v1_kernelIthLi192ELi8ELi128ELNS_18Fp8KVCacheDataTypeE1ELb1EEEvPT_PKS2_PKT0_S8_ifPKiSA_iPKfiiiSC_SC_iiiii.has_dyn_sized_stack, 0
	.set _ZN4vllm25paged_attention_v1_kernelIthLi192ELi8ELi128ELNS_18Fp8KVCacheDataTypeE1ELb1EEEvPT_PKS2_PKT0_S8_ifPKiSA_iPKfiiiSC_SC_iiiii.has_recursion, 0
	.set _ZN4vllm25paged_attention_v1_kernelIthLi192ELi8ELi128ELNS_18Fp8KVCacheDataTypeE1ELb1EEEvPT_PKS2_PKT0_S8_ifPKiSA_iPKfiiiSC_SC_iiiii.has_indirect_call, 0
	.section	.AMDGPU.csdata,"",@progbits
; Kernel info:
; codeLenInByte = 31796
; TotalNumSgprs: 47
; NumVgprs: 108
; ScratchSize: 0
; MemoryBound: 0
; FloatMode: 240
; IeeeMode: 1
; LDSByteSize: 416 bytes/workgroup (compile time only)
; SGPRBlocks: 0
; VGPRBlocks: 6
; NumSGPRsForWavesPerEU: 47
; NumVGPRsForWavesPerEU: 108
; NamedBarCnt: 0
; Occupancy: 9
; WaveLimiterHint : 1
; COMPUTE_PGM_RSRC2:SCRATCH_EN: 0
; COMPUTE_PGM_RSRC2:USER_SGPR: 2
; COMPUTE_PGM_RSRC2:TRAP_HANDLER: 0
; COMPUTE_PGM_RSRC2:TGID_X_EN: 1
; COMPUTE_PGM_RSRC2:TGID_Y_EN: 1
; COMPUTE_PGM_RSRC2:TGID_Z_EN: 1
; COMPUTE_PGM_RSRC2:TIDIG_COMP_CNT: 0
	.section	.text._ZN4vllm25paged_attention_v1_kernelIthLi256ELi8ELi128ELNS_18Fp8KVCacheDataTypeE1ELb1EEEvPT_PKS2_PKT0_S8_ifPKiSA_iPKfiiiSC_SC_iiiii,"axG",@progbits,_ZN4vllm25paged_attention_v1_kernelIthLi256ELi8ELi128ELNS_18Fp8KVCacheDataTypeE1ELb1EEEvPT_PKS2_PKT0_S8_ifPKiSA_iPKfiiiSC_SC_iiiii,comdat
	.protected	_ZN4vllm25paged_attention_v1_kernelIthLi256ELi8ELi128ELNS_18Fp8KVCacheDataTypeE1ELb1EEEvPT_PKS2_PKT0_S8_ifPKiSA_iPKfiiiSC_SC_iiiii ; -- Begin function _ZN4vllm25paged_attention_v1_kernelIthLi256ELi8ELi128ELNS_18Fp8KVCacheDataTypeE1ELb1EEEvPT_PKS2_PKT0_S8_ifPKiSA_iPKfiiiSC_SC_iiiii
	.globl	_ZN4vllm25paged_attention_v1_kernelIthLi256ELi8ELi128ELNS_18Fp8KVCacheDataTypeE1ELb1EEEvPT_PKS2_PKT0_S8_ifPKiSA_iPKfiiiSC_SC_iiiii
	.p2align	8
	.type	_ZN4vllm25paged_attention_v1_kernelIthLi256ELi8ELi128ELNS_18Fp8KVCacheDataTypeE1ELb1EEEvPT_PKS2_PKT0_S8_ifPKiSA_iPKfiiiSC_SC_iiiii,@function
_ZN4vllm25paged_attention_v1_kernelIthLi256ELi8ELi128ELNS_18Fp8KVCacheDataTypeE1ELb1EEEvPT_PKS2_PKT0_S8_ifPKiSA_iPKfiiiSC_SC_iiiii: ; @_ZN4vllm25paged_attention_v1_kernelIthLi256ELi8ELi128ELNS_18Fp8KVCacheDataTypeE1ELb1EEEvPT_PKS2_PKT0_S8_ifPKiSA_iPKfiiiSC_SC_iiiii
; %bb.0:
	s_load_b64 s[26:27], s[0:1], 0x20
	s_bfe_u32 s3, ttmp6, 0x4000c
	s_bfe_u32 s4, ttmp6, 0x40010
	s_and_b32 s6, ttmp7, 0xffff
	s_add_co_i32 s3, s3, 1
	s_add_co_i32 s4, s4, 1
	s_and_b32 s2, ttmp6, 15
	s_bfe_u32 s5, ttmp6, 0x40004
	s_mul_i32 s3, ttmp9, s3
	s_mul_i32 s4, s6, s4
	s_getreg_b32 s30, hwreg(HW_REG_IB_STS2, 6, 4)
	s_add_co_i32 s2, s2, s3
	s_add_co_i32 s3, s5, s4
	s_cmp_eq_u32 s30, 0
	s_clause 0x1
	s_load_b32 s31, s[0:1], 0x80
	s_load_b64 s[4:5], s[0:1], 0x30
	s_cselect_b32 s33, s6, s3
	s_cselect_b32 s2, ttmp9, s2
	s_wait_kmcnt 0x0
	s_abs_i32 s3, s26
	s_delay_alu instid0(SALU_CYCLE_1) | instskip(SKIP_1) | instid1(SALU_CYCLE_2)
	s_cvt_f32_u32 s6, s3
	s_sub_co_i32 s7, 0, s3
	v_rcp_iflag_f32_e32 v1, s6
	s_abs_i32 s8, s31
	v_nop
	s_delay_alu instid0(TRANS32_DEP_1) | instskip(SKIP_1) | instid1(SALU_CYCLE_3)
	v_readfirstlane_b32 s6, v1
	s_mul_f32 s6, s6, 0x4f7ffffe
	s_cvt_u32_f32 s6, s6
	s_delay_alu instid0(SALU_CYCLE_3) | instskip(NEXT) | instid1(SALU_CYCLE_1)
	s_mul_i32 s7, s7, s6
	s_mul_hi_u32 s7, s6, s7
	s_delay_alu instid0(SALU_CYCLE_1) | instskip(SKIP_4) | instid1(SALU_CYCLE_1)
	s_add_co_i32 s6, s6, s7
	s_xor_b32 s7, s31, s26
	s_mul_hi_u32 s6, s8, s6
	s_ashr_i32 s7, s7, 31
	s_mul_i32 s9, s6, s3
	s_sub_co_i32 s8, s8, s9
	s_add_co_i32 s9, s6, 1
	s_sub_co_i32 s10, s8, s3
	s_cmp_ge_u32 s8, s3
	s_cselect_b32 s6, s9, s6
	s_cselect_b32 s8, s10, s8
	s_add_co_i32 s9, s6, 1
	s_cmp_ge_u32 s8, s3
	s_load_b64 s[10:11], s[0:1], 0x40
	s_cselect_b32 s3, s9, s6
	s_mov_b32 s9, 0
	s_xor_b32 s3, s3, s7
	s_abs_i32 s8, s2
	s_sub_co_i32 s12, s3, s7
	s_mov_b32 s7, s9
	s_abs_i32 s19, s12
	s_mov_b32 s37, s9
	s_cvt_f32_u32 s3, s19
	s_sub_co_i32 s6, 0, s19
	s_delay_alu instid0(SALU_CYCLE_2) | instskip(SKIP_1) | instid1(TRANS32_DEP_1)
	v_rcp_iflag_f32_e32 v1, s3
	v_nop
	v_readfirstlane_b32 s3, v1
	s_mul_f32 s3, s3, 0x4f7ffffe
	s_delay_alu instid0(SALU_CYCLE_3) | instskip(NEXT) | instid1(SALU_CYCLE_3)
	s_cvt_u32_f32 s3, s3
	s_mul_i32 s6, s6, s3
	s_delay_alu instid0(SALU_CYCLE_1) | instskip(NEXT) | instid1(SALU_CYCLE_1)
	s_mul_hi_u32 s6, s3, s6
	s_add_co_i32 s6, s3, s6
	s_wait_kmcnt 0x0
	s_cmp_eq_u64 s[10:11], 0
	s_cbranch_scc1 .LBB242_2
; %bb.1:
	s_ashr_i32 s3, s2, 31
	s_delay_alu instid0(SALU_CYCLE_1) | instskip(NEXT) | instid1(SALU_CYCLE_1)
	s_lshl_b64 s[14:15], s[2:3], 2
	s_add_nc_u64 s[10:11], s[10:11], s[14:15]
	s_load_b32 s37, s[10:11], 0x0
.LBB242_2:
	s_load_b32 s34, s[4:5], s33 offset:0x0 scale_offset
	s_load_b96 s[16:18], s[0:1], 0x48
	v_and_b32_e32 v6, 3, v0
	s_wait_xcnt 0x0
	s_mul_u64 s[4:5], s[8:9], s[6:7]
	s_ashr_i32 s3, s2, 31
	s_ashr_i32 s10, s12, 31
	s_lshl_b32 s6, s2, 8
	s_mov_b32 s4, exec_lo
	v_cmpx_gt_u32_e32 0x80, v0
	s_cbranch_execz .LBB242_4
; %bb.3:
	s_load_b64 s[12:13], s[0:1], 0x8
	s_wait_kmcnt 0x0
	s_mul_i32 s14, s16, s33
	s_ashr_i32 s7, s6, 31
	s_ashr_i32 s15, s14, 31
	v_and_b32_e32 v2, 0x3fc, v0
	s_lshl_b64 s[14:15], s[14:15], 1
	s_delay_alu instid0(VALU_DEP_1) | instskip(SKIP_2) | instid1(SALU_CYCLE_1)
	v_lshl_add_u32 v2, v6, 7, v2
	s_add_nc_u64 s[12:13], s[12:13], s[14:15]
	s_lshl_b64 s[14:15], s[6:7], 1
	s_add_nc_u64 s[12:13], s[12:13], s[14:15]
	global_load_b32 v1, v0, s[12:13] scale_offset
	s_wait_loadcnt 0x0
	ds_store_b32 v2, v1
.LBB242_4:
	s_or_b32 exec_lo, exec_lo, s4
	s_load_b128 s[12:15], s[0:1], 0x68
	s_mul_i32 s4, s5, s19
	s_xor_b32 s3, s3, s10
	s_sub_co_i32 s4, s8, s4
	s_add_co_i32 s7, s5, 1
	s_sub_co_i32 s8, s4, s19
	s_cmp_ge_u32 s4, s19
	s_mov_b32 s9, -1
	s_cselect_b32 s5, s7, s5
	s_cselect_b32 s4, s8, s4
	s_add_co_i32 s8, s5, 1
	s_cmp_ge_u32 s4, s19
	s_load_b32 s7, s[0:1], 0x78
	s_cselect_b32 s4, s8, s5
	s_wait_kmcnt 0x0
	s_add_co_i32 s8, s34, -1
	s_xor_b32 s4, s4, s3
	s_wait_dscnt 0x0
	s_sub_co_i32 s3, s4, s3
	s_barrier_signal -1
	s_barrier_wait -1
	s_abs_i32 s16, s15
	s_delay_alu instid0(SALU_CYCLE_1) | instskip(NEXT) | instid1(SALU_CYCLE_3)
	s_cvt_f32_u32 s5, s16
                                        ; implicit-def: $sgpr35
	v_rcp_iflag_f32_e32 v1, s5
	v_nop
	s_delay_alu instid0(TRANS32_DEP_1) | instskip(SKIP_1) | instid1(SALU_CYCLE_3)
	v_readfirstlane_b32 s5, v1
	s_mul_f32 s4, s5, 0x4f7ffffe
	s_cvt_u32_f32 s10, s4
	s_sub_co_i32 s4, 0, s16
	s_delay_alu instid0(SALU_CYCLE_2)
	s_mul_i32 s5, s4, s10
	s_abs_i32 s4, s8
	s_mul_hi_u32 s11, s10, s5
	s_mov_b32 s5, 0
	s_add_co_i32 s20, s10, s11
	s_cmp_lt_i32 s7, 0
	s_mov_b32 s21, s5
	s_cbranch_scc0 .LBB242_6
; %bb.5:
	s_mul_i32 s9, s12, s26
	s_delay_alu instid0(SALU_CYCLE_1) | instskip(NEXT) | instid1(SALU_CYCLE_1)
	s_add_co_i32 s9, s3, s9
	s_mul_i32 s9, s9, s7
	s_delay_alu instid0(SALU_CYCLE_1)
	s_sub_co_i32 s35, 1, s9
	s_mov_b32 s9, s5
.LBB242_6:
	s_ashr_i32 s8, s8, 31
	s_ashr_i32 s15, s15, 31
	s_and_not1_b32 vcc_lo, exec_lo, s9
	s_mul_u64 s[28:29], s[4:5], s[20:21]
	s_cbranch_vccnz .LBB242_8
; %bb.7:
	s_mul_i32 s5, s31, s12
	s_delay_alu instid0(SALU_CYCLE_1) | instskip(NEXT) | instid1(SALU_CYCLE_1)
	s_add_co_i32 s2, s5, s2
	s_mul_i32 s2, s2, s7
	s_delay_alu instid0(SALU_CYCLE_1)
	s_add_co_i32 s35, s2, 1
.LBB242_8:
	s_clause 0x1
	s_load_b32 s2, s[0:1], 0x38
	s_load_b64 s[22:23], s[0:1], 0x28
	s_mul_i32 s7, s29, s16
	s_xor_b32 s5, s8, s15
	s_sub_co_i32 s4, s4, s7
	s_add_co_i32 s12, s29, 1
	s_clause 0x1
	s_load_b32 s7, s[0:1], 0x88
	s_load_b128 s[8:11], s[0:1], 0x58
	v_dual_mov_b32 v16, 0xff7fffff :: v_dual_lshrrev_b32 v29, 5, v0
	v_lshrrev_b32_e32 v1, 3, v0
	v_mbcnt_lo_u32_b32 v3, -1, 0
	s_mul_i32 s18, s3, s18
	s_delay_alu instid0(VALU_DEP_3)
	v_lshlrev_b32_e32 v2, 3, v29
	s_wait_kmcnt 0x0
	s_mul_i32 s24, s2, s33
	s_sub_co_i32 s2, s4, s16
	s_ashr_i32 s25, s24, 31
	s_cmp_ge_u32 s4, s16
	s_cselect_b32 s12, s12, s29
	s_cselect_b32 s2, s2, s4
	s_add_co_i32 s4, s12, 1
	s_cmp_ge_u32 s2, s16
	s_cselect_b32 s2, s4, s12
	s_add_co_i32 s4, s34, 7
	s_delay_alu instid0(SALU_CYCLE_1) | instskip(NEXT) | instid1(SALU_CYCLE_1)
	s_ashr_i32 s12, s4, 31
	s_lshr_b32 s12, s12, 29
	s_delay_alu instid0(SALU_CYCLE_1) | instskip(NEXT) | instid1(SALU_CYCLE_1)
	s_add_co_i32 s4, s4, s12
	s_ashr_i32 s12, s4, 3
	s_xor_b32 s4, s2, s5
	v_cmp_gt_i32_e64 s2, s12, v29
	s_sub_co_i32 s36, s4, s5
	s_and_saveexec_b32 s26, s2
	s_cbranch_execz .LBB242_532
; %bb.9:
	s_load_b64 s[4:5], s[0:1], 0x10
	s_sub_co_i32 s38, s36, s13
	s_ashr_i32 s19, s18, 31
	s_cmp_neq_f32 s37, 0
	v_bfe_u32 v14, v0, 2, 3
	v_dual_mov_b32 v5, 0 :: v_dual_lshlrev_b32 v15, 7, v6
	s_cselect_b32 vcc_lo, -1, 0
	s_abs_i32 s39, s14
	s_delay_alu instid0(VALU_DEP_2)
	v_lshlrev_b32_e32 v4, 4, v14
	s_cvt_f32_u32 s3, s39
	s_lshl_b64 s[40:41], s[24:25], 2
	v_subrev_nc_u32_e32 v10, s34, v14
	v_mov_b32_e32 v16, 0xff7fffff
	v_rcp_iflag_f32_e32 v7, s3
	v_cmp_eq_u32_e64 s3, 0, v6
	s_delay_alu instid0(VALU_DEP_3)
	v_dual_mov_b32 v20, v29 :: v_dual_add_nc_u32 v17, 1, v10
	s_mov_b32 s29, 0
	v_mov_b32_e32 v19, 0xff7fffff
	s_wait_kmcnt 0x0
	s_add_nc_u64 s[4:5], s[4:5], s[18:19]
	v_readfirstlane_b32 s28, v7
	v_lshlrev_b32_e32 v7, 2, v14
	v_add_nc_u64_e32 v[8:9], s[4:5], v[4:5]
	v_lshlrev_b32_e32 v4, 1, v6
	s_add_nc_u64 s[4:5], s[22:23], s[40:41]
	s_mul_f32 s19, s28, 0x4f7ffffe
	v_lshl_or_b32 v11, v29, 5, v7
	s_sub_co_i32 s28, 0, s39
	s_delay_alu instid0(VALU_DEP_3) | instskip(SKIP_4) | instid1(VALU_DEP_2)
	v_add_nc_u64_e32 v[6:7], v[8:9], v[4:5]
	v_and_b32_e32 v4, 0x7c, v1
	s_cvt_u32_f32 s40, s19
	v_add_nc_u32_e32 v18, 0x220, v11
	s_mov_b32 s19, s17
	v_add_nc_u64_e32 v[8:9], s[4:5], v[4:5]
	s_mul_i32 s28, s28, s40
	v_lshlrev_b32_e32 v4, 3, v29
	s_mul_hi_u32 s28, s40, s28
	s_delay_alu instid0(SALU_CYCLE_1)
	s_add_co_i32 s28, s40, s28
	s_mov_b32 s40, s29
	s_branch .LBB242_12
.LBB242_10:                             ;   in Loop: Header=BB242_12 Depth=1
	s_or_b32 exec_lo, exec_lo, s41
.LBB242_11:                             ;   in Loop: Header=BB242_12 Depth=1
	s_delay_alu instid0(SALU_CYCLE_1) | instskip(SKIP_4) | instid1(VALU_DEP_4)
	s_or_b32 exec_lo, exec_lo, s5
	v_add_nc_u32_e32 v20, 4, v20
	v_add_nc_u64_e32 v[8:9], 16, v[8:9]
	v_add_nc_u32_e32 v4, 32, v4
	v_add_nc_u32_e32 v18, 0x80, v18
	v_cmp_le_i32_e64 s4, s12, v20
	s_or_b32 s40, s4, s40
	s_delay_alu instid0(SALU_CYCLE_1)
	s_and_not1_b32 exec_lo, exec_lo, s40
	s_cbranch_execz .LBB242_531
.LBB242_12:                             ; =>This Inner Loop Header: Depth=1
	s_wait_dscnt 0x0
	v_mul_u64_e32 v[10:11], s[20:21], v[4:5]
	s_delay_alu instid0(VALU_DEP_1) | instskip(NEXT) | instid1(VALU_DEP_1)
	v_mul_lo_u32 v10, v11, s16
	v_dual_add_nc_u32 v12, 1, v11 :: v_dual_sub_nc_u32 v10, v4, v10
	s_delay_alu instid0(VALU_DEP_1) | instskip(SKIP_1) | instid1(VALU_DEP_1)
	v_subrev_nc_u32_e32 v13, s16, v10
	v_cmp_le_u32_e64 s4, s16, v10
	v_dual_cndmask_b32 v11, v11, v12, s4 :: v_dual_cndmask_b32 v10, v10, v13, s4
	s_delay_alu instid0(VALU_DEP_1) | instskip(NEXT) | instid1(VALU_DEP_2)
	v_add_nc_u32_e32 v12, 1, v11
	v_cmp_le_u32_e64 s4, s16, v10
	s_delay_alu instid0(VALU_DEP_1) | instskip(NEXT) | instid1(VALU_DEP_1)
	v_dual_cndmask_b32 v10, v11, v12, s4 :: v_dual_mov_b32 v11, v5
	v_xor_b32_e32 v10, s15, v10
	s_delay_alu instid0(VALU_DEP_1) | instskip(NEXT) | instid1(VALU_DEP_1)
	v_subrev_nc_u32_e32 v21, s15, v10
	v_add_nc_u32_e32 v22, s35, v21
	v_cmp_ge_i32_e64 s5, s38, v21
	s_delay_alu instid0(VALU_DEP_2) | instskip(NEXT) | instid1(VALU_DEP_1)
	v_sub_nc_u32_e32 v10, 0, v22
	v_max_i32_e32 v10, v22, v10
	s_delay_alu instid0(VALU_DEP_1) | instskip(SKIP_1) | instid1(VALU_DEP_2)
	v_mul_u64_e32 v[12:13], s[28:29], v[10:11]
	v_ashrrev_i32_e32 v12, 31, v22
	v_mul_lo_u32 v11, v13, s39
	s_delay_alu instid0(VALU_DEP_1) | instskip(NEXT) | instid1(VALU_DEP_1)
	v_sub_nc_u32_e32 v10, v10, v11
	v_subrev_nc_u32_e32 v11, s39, v10
	v_cmp_le_u32_e64 s4, s39, v10
	s_delay_alu instid0(VALU_DEP_1) | instskip(NEXT) | instid1(VALU_DEP_1)
	v_cndmask_b32_e64 v10, v10, v11, s4
	v_subrev_nc_u32_e32 v11, s39, v10
	v_cmp_le_u32_e64 s4, s39, v10
	s_delay_alu instid0(VALU_DEP_1) | instskip(NEXT) | instid1(VALU_DEP_1)
	v_cndmask_b32_e64 v10, v10, v11, s4
	v_xor_b32_e32 v10, v10, v12
	s_delay_alu instid0(VALU_DEP_1) | instskip(NEXT) | instid1(VALU_DEP_1)
	v_sub_nc_u32_e32 v10, v10, v12
	v_cmp_ne_u32_e64 s4, 0, v10
	s_and_b32 s4, s4, s5
	s_delay_alu instid0(SALU_CYCLE_1) | instskip(NEXT) | instid1(SALU_CYCLE_1)
	s_and_saveexec_b32 s5, s4
	s_xor_b32 s4, exec_lo, s5
	s_cbranch_execz .LBB242_16
; %bb.13:                               ;   in Loop: Header=BB242_12 Depth=1
	s_and_saveexec_b32 s5, s3
; %bb.14:                               ;   in Loop: Header=BB242_12 Depth=1
	ds_store_b32 v18, v19
; %bb.15:                               ;   in Loop: Header=BB242_12 Depth=1
	s_or_b32 exec_lo, exec_lo, s5
.LBB242_16:                             ;   in Loop: Header=BB242_12 Depth=1
	s_and_not1_saveexec_b32 s5, s4
	s_cbranch_execz .LBB242_11
; %bb.17:                               ;   in Loop: Header=BB242_12 Depth=1
	global_load_b32 v10, v[8:9], off
	v_dual_mov_b32 v22, 0 :: v_dual_mov_b32 v23, 0
	s_mov_b32 s41, exec_lo
	global_load_b32 v21, v22, s[8:9]
	s_wait_loadcnt 0x1
	v_mad_nc_i64_i32 v[10:11], v10, s19, v[6:7]
	global_load_u16 v12, v[10:11], off
	s_wait_loadcnt 0x0
	v_and_b32_e32 v13, 0xff, v12
	v_and_b32_e32 v12, 0xffff, v12
	s_delay_alu instid0(VALU_DEP_2)
	v_cmpx_ne_u16_e32 0, v13
	s_cbranch_execz .LBB242_25
; %bb.18:                               ;   in Loop: Header=BB242_12 Depth=1
	s_delay_alu instid0(VALU_DEP_2) | instskip(SKIP_2) | instid1(VALU_DEP_2)
	v_and_b32_e32 v13, 0xff, v12
	v_mov_b32_e32 v23, 0x8000
	s_mov_b32 s42, exec_lo
	v_cmpx_ne_u16_e32 0x80, v13
	s_cbranch_execz .LBB242_24
; %bb.19:                               ;   in Loop: Header=BB242_12 Depth=1
	v_and_b32_e32 v24, 0x7f, v12
	v_mov_b32_e32 v23, 0x7c01
	s_mov_b32 s43, exec_lo
	s_delay_alu instid0(VALU_DEP_2)
	v_cmpx_ne_u32_e32 0x7f, v24
	s_cbranch_execz .LBB242_23
; %bb.20:                               ;   in Loop: Header=BB242_12 Depth=1
	v_and_b32_e32 v13, 7, v12
	v_lshrrev_b32_e32 v23, 3, v24
	s_mov_b32 s44, exec_lo
	v_cmpx_gt_u32_e32 8, v24
; %bb.21:                               ;   in Loop: Header=BB242_12 Depth=1
	s_delay_alu instid0(VALU_DEP_3) | instskip(NEXT) | instid1(VALU_DEP_1)
	v_clz_i32_u32_e32 v13, v13
	v_min_u32_e32 v13, 32, v13
	s_delay_alu instid0(VALU_DEP_1) | instskip(NEXT) | instid1(VALU_DEP_1)
	v_subrev_nc_u32_e32 v23, 28, v13
	v_lshlrev_b64_e32 v[24:25], v23, v[12:13]
	s_delay_alu instid0(VALU_DEP_1)
	v_dual_sub_nc_u32 v23, 29, v13 :: v_dual_bitop2_b32 v13, 7, v24 bitop3:0x40
; %bb.22:                               ;   in Loop: Header=BB242_12 Depth=1
	s_or_b32 exec_lo, exec_lo, s44
	s_delay_alu instid0(VALU_DEP_1) | instskip(NEXT) | instid1(VALU_DEP_2)
	v_dual_lshlrev_b32 v24, 8, v12 :: v_dual_lshlrev_b32 v13, 7, v13
	v_lshl_add_u32 v23, v23, 10, 0x2000
	s_delay_alu instid0(VALU_DEP_2) | instskip(NEXT) | instid1(VALU_DEP_2)
	v_and_b32_e32 v24, 0x8000, v24
	v_and_b32_e32 v23, 0xfc00, v23
	s_delay_alu instid0(VALU_DEP_1)
	v_or3_b32 v23, v24, v23, v13
.LBB242_23:                             ;   in Loop: Header=BB242_12 Depth=1
	s_or_b32 exec_lo, exec_lo, s43
.LBB242_24:                             ;   in Loop: Header=BB242_12 Depth=1
	s_delay_alu instid0(SALU_CYCLE_1)
	s_or_b32 exec_lo, exec_lo, s42
.LBB242_25:                             ;   in Loop: Header=BB242_12 Depth=1
	s_delay_alu instid0(SALU_CYCLE_1) | instskip(NEXT) | instid1(VALU_DEP_2)
	s_or_b32 exec_lo, exec_lo, s41
	v_lshrrev_b16 v12, 8, v12
	s_mov_b32 s41, exec_lo
	s_delay_alu instid0(VALU_DEP_1)
	v_cmpx_ne_u16_e32 0, v12
	s_cbranch_execz .LBB242_33
; %bb.26:                               ;   in Loop: Header=BB242_12 Depth=1
	v_bfrev_b32_e32 v22, 1
	s_mov_b32 s42, exec_lo
	v_cmpx_ne_u16_e32 0x80, v12
	s_cbranch_execz .LBB242_32
; %bb.27:                               ;   in Loop: Header=BB242_12 Depth=1
	v_and_b32_e32 v24, 0xffff, v12
	v_mov_b32_e32 v22, 0x7c010000
	s_mov_b32 s43, exec_lo
	s_delay_alu instid0(VALU_DEP_2) | instskip(NEXT) | instid1(VALU_DEP_1)
	v_and_b32_e32 v25, 0x7f, v24
	v_cmpx_ne_u32_e32 0x7f, v25
	s_cbranch_execz .LBB242_31
; %bb.28:                               ;   in Loop: Header=BB242_12 Depth=1
	v_dual_lshrrev_b32 v22, 3, v25 :: v_dual_bitop2_b32 v13, 7, v24 bitop3:0x40
	s_mov_b32 s44, exec_lo
	v_cmpx_gt_u32_e32 8, v25
	s_cbranch_execz .LBB242_30
; %bb.29:                               ;   in Loop: Header=BB242_12 Depth=1
	s_delay_alu instid0(VALU_DEP_2) | instskip(NEXT) | instid1(VALU_DEP_1)
	v_clz_i32_u32_e32 v13, v13
	v_min_u32_e32 v22, 32, v13
	v_mov_b32_e32 v13, v5
	s_delay_alu instid0(VALU_DEP_2) | instskip(SKIP_1) | instid1(VALU_DEP_2)
	v_subrev_nc_u32_e32 v25, 28, v22
	v_sub_nc_u32_e32 v22, 29, v22
	v_lshlrev_b64_e32 v[12:13], v25, v[12:13]
	s_delay_alu instid0(VALU_DEP_1)
	v_and_b32_e32 v13, 7, v12
.LBB242_30:                             ;   in Loop: Header=BB242_12 Depth=1
	s_or_b32 exec_lo, exec_lo, s44
	s_delay_alu instid0(VALU_DEP_1) | instskip(SKIP_1) | instid1(VALU_DEP_1)
	v_dual_lshlrev_b32 v12, 8, v24 :: v_dual_lshlrev_b32 v13, 23, v13
	v_lshl_add_u32 v22, v22, 10, 0x2000
	v_and_or_b32 v12, 0x8000, v12, v22
	s_delay_alu instid0(VALU_DEP_1)
	v_lshl_or_b32 v22, v12, 16, v13
.LBB242_31:                             ;   in Loop: Header=BB242_12 Depth=1
	s_or_b32 exec_lo, exec_lo, s43
.LBB242_32:                             ;   in Loop: Header=BB242_12 Depth=1
	s_delay_alu instid0(SALU_CYCLE_1)
	s_or_b32 exec_lo, exec_lo, s42
.LBB242_33:                             ;   in Loop: Header=BB242_12 Depth=1
	s_delay_alu instid0(SALU_CYCLE_1)
	s_or_b32 exec_lo, exec_lo, s41
	global_load_u16 v12, v[10:11], off offset:8
	v_dual_mov_b32 v24, 0 :: v_dual_mov_b32 v25, 0
	s_mov_b32 s41, exec_lo
	s_wait_loadcnt 0x0
	v_and_b32_e32 v13, 0xff, v12
	v_and_b32_e32 v12, 0xffff, v12
	s_delay_alu instid0(VALU_DEP_2)
	v_cmpx_ne_u16_e32 0, v13
	s_cbranch_execz .LBB242_41
; %bb.34:                               ;   in Loop: Header=BB242_12 Depth=1
	s_delay_alu instid0(VALU_DEP_2) | instskip(SKIP_2) | instid1(VALU_DEP_2)
	v_and_b32_e32 v13, 0xff, v12
	v_mov_b32_e32 v25, 0x8000
	s_mov_b32 s42, exec_lo
	v_cmpx_ne_u16_e32 0x80, v13
	s_cbranch_execz .LBB242_40
; %bb.35:                               ;   in Loop: Header=BB242_12 Depth=1
	v_and_b32_e32 v26, 0x7f, v12
	v_mov_b32_e32 v25, 0x7c01
	s_mov_b32 s43, exec_lo
	s_delay_alu instid0(VALU_DEP_2)
	v_cmpx_ne_u32_e32 0x7f, v26
	s_cbranch_execz .LBB242_39
; %bb.36:                               ;   in Loop: Header=BB242_12 Depth=1
	v_dual_lshrrev_b32 v25, 3, v26 :: v_dual_bitop2_b32 v13, 7, v12 bitop3:0x40
	s_mov_b32 s44, exec_lo
	v_cmpx_gt_u32_e32 8, v26
; %bb.37:                               ;   in Loop: Header=BB242_12 Depth=1
	s_delay_alu instid0(VALU_DEP_2) | instskip(NEXT) | instid1(VALU_DEP_1)
	v_clz_i32_u32_e32 v13, v13
	v_min_u32_e32 v13, 32, v13
	s_delay_alu instid0(VALU_DEP_1) | instskip(NEXT) | instid1(VALU_DEP_1)
	v_subrev_nc_u32_e32 v25, 28, v13
	v_lshlrev_b64_e32 v[26:27], v25, v[12:13]
	s_delay_alu instid0(VALU_DEP_1)
	v_dual_sub_nc_u32 v25, 29, v13 :: v_dual_bitop2_b32 v13, 7, v26 bitop3:0x40
; %bb.38:                               ;   in Loop: Header=BB242_12 Depth=1
	s_or_b32 exec_lo, exec_lo, s44
	s_delay_alu instid0(VALU_DEP_1) | instskip(NEXT) | instid1(VALU_DEP_2)
	v_dual_lshlrev_b32 v26, 8, v12 :: v_dual_lshlrev_b32 v13, 7, v13
	v_lshl_add_u32 v25, v25, 10, 0x2000
	s_delay_alu instid0(VALU_DEP_2) | instskip(NEXT) | instid1(VALU_DEP_2)
	v_and_b32_e32 v26, 0x8000, v26
	v_and_b32_e32 v25, 0xfc00, v25
	s_delay_alu instid0(VALU_DEP_1)
	v_or3_b32 v25, v26, v25, v13
.LBB242_39:                             ;   in Loop: Header=BB242_12 Depth=1
	s_or_b32 exec_lo, exec_lo, s43
.LBB242_40:                             ;   in Loop: Header=BB242_12 Depth=1
	s_delay_alu instid0(SALU_CYCLE_1)
	s_or_b32 exec_lo, exec_lo, s42
.LBB242_41:                             ;   in Loop: Header=BB242_12 Depth=1
	s_delay_alu instid0(SALU_CYCLE_1) | instskip(NEXT) | instid1(VALU_DEP_2)
	s_or_b32 exec_lo, exec_lo, s41
	v_lshrrev_b16 v12, 8, v12
	s_mov_b32 s41, exec_lo
	s_delay_alu instid0(VALU_DEP_1)
	v_cmpx_ne_u16_e32 0, v12
	s_cbranch_execz .LBB242_49
; %bb.42:                               ;   in Loop: Header=BB242_12 Depth=1
	v_bfrev_b32_e32 v24, 1
	s_mov_b32 s42, exec_lo
	v_cmpx_ne_u16_e32 0x80, v12
	s_cbranch_execz .LBB242_48
; %bb.43:                               ;   in Loop: Header=BB242_12 Depth=1
	v_and_b32_e32 v26, 0xffff, v12
	v_mov_b32_e32 v24, 0x7c010000
	s_mov_b32 s43, exec_lo
	s_delay_alu instid0(VALU_DEP_2) | instskip(NEXT) | instid1(VALU_DEP_1)
	v_and_b32_e32 v27, 0x7f, v26
	v_cmpx_ne_u32_e32 0x7f, v27
	s_cbranch_execz .LBB242_47
; %bb.44:                               ;   in Loop: Header=BB242_12 Depth=1
	v_dual_lshrrev_b32 v24, 3, v27 :: v_dual_bitop2_b32 v13, 7, v26 bitop3:0x40
	s_mov_b32 s44, exec_lo
	v_cmpx_gt_u32_e32 8, v27
	s_cbranch_execz .LBB242_46
; %bb.45:                               ;   in Loop: Header=BB242_12 Depth=1
	s_delay_alu instid0(VALU_DEP_2) | instskip(NEXT) | instid1(VALU_DEP_1)
	v_clz_i32_u32_e32 v13, v13
	v_min_u32_e32 v24, 32, v13
	v_mov_b32_e32 v13, v5
	s_delay_alu instid0(VALU_DEP_2) | instskip(SKIP_1) | instid1(VALU_DEP_2)
	v_subrev_nc_u32_e32 v27, 28, v24
	v_sub_nc_u32_e32 v24, 29, v24
	v_lshlrev_b64_e32 v[12:13], v27, v[12:13]
	s_delay_alu instid0(VALU_DEP_1)
	v_and_b32_e32 v13, 7, v12
.LBB242_46:                             ;   in Loop: Header=BB242_12 Depth=1
	s_or_b32 exec_lo, exec_lo, s44
	s_delay_alu instid0(VALU_DEP_1) | instskip(SKIP_1) | instid1(VALU_DEP_1)
	v_dual_lshlrev_b32 v12, 8, v26 :: v_dual_lshlrev_b32 v13, 23, v13
	v_lshl_add_u32 v24, v24, 10, 0x2000
	v_and_or_b32 v12, 0x8000, v12, v24
	s_delay_alu instid0(VALU_DEP_1)
	v_lshl_or_b32 v24, v12, 16, v13
.LBB242_47:                             ;   in Loop: Header=BB242_12 Depth=1
	s_or_b32 exec_lo, exec_lo, s43
.LBB242_48:                             ;   in Loop: Header=BB242_12 Depth=1
	s_delay_alu instid0(SALU_CYCLE_1)
	s_or_b32 exec_lo, exec_lo, s42
.LBB242_49:                             ;   in Loop: Header=BB242_12 Depth=1
	s_delay_alu instid0(SALU_CYCLE_1)
	s_or_b32 exec_lo, exec_lo, s41
	global_load_u16 v12, v[10:11], off offset:128
	v_dual_mov_b32 v26, 0 :: v_dual_mov_b32 v27, 0
	s_mov_b32 s41, exec_lo
	s_wait_loadcnt 0x0
	v_and_b32_e32 v13, 0xff, v12
	v_and_b32_e32 v12, 0xffff, v12
	s_delay_alu instid0(VALU_DEP_2)
	v_cmpx_ne_u16_e32 0, v13
	s_cbranch_execz .LBB242_57
; %bb.50:                               ;   in Loop: Header=BB242_12 Depth=1
	s_delay_alu instid0(VALU_DEP_2) | instskip(SKIP_2) | instid1(VALU_DEP_2)
	v_and_b32_e32 v13, 0xff, v12
	v_mov_b32_e32 v27, 0x8000
	s_mov_b32 s42, exec_lo
	v_cmpx_ne_u16_e32 0x80, v13
	s_cbranch_execz .LBB242_56
; %bb.51:                               ;   in Loop: Header=BB242_12 Depth=1
	v_and_b32_e32 v28, 0x7f, v12
	v_mov_b32_e32 v27, 0x7c01
	s_mov_b32 s43, exec_lo
	s_delay_alu instid0(VALU_DEP_2)
	v_cmpx_ne_u32_e32 0x7f, v28
	s_cbranch_execz .LBB242_55
; %bb.52:                               ;   in Loop: Header=BB242_12 Depth=1
	v_and_b32_e32 v13, 7, v12
	v_lshrrev_b32_e32 v27, 3, v28
	s_mov_b32 s44, exec_lo
	v_cmpx_gt_u32_e32 8, v28
; %bb.53:                               ;   in Loop: Header=BB242_12 Depth=1
	s_delay_alu instid0(VALU_DEP_3) | instskip(NEXT) | instid1(VALU_DEP_1)
	v_clz_i32_u32_e32 v13, v13
	v_min_u32_e32 v13, 32, v13
	s_delay_alu instid0(VALU_DEP_1) | instskip(NEXT) | instid1(VALU_DEP_1)
	v_subrev_nc_u32_e32 v27, 28, v13
	v_lshlrev_b64_e32 v[30:31], v27, v[12:13]
	s_delay_alu instid0(VALU_DEP_1)
	v_dual_sub_nc_u32 v27, 29, v13 :: v_dual_bitop2_b32 v13, 7, v30 bitop3:0x40
; %bb.54:                               ;   in Loop: Header=BB242_12 Depth=1
	s_or_b32 exec_lo, exec_lo, s44
	s_delay_alu instid0(VALU_DEP_1) | instskip(NEXT) | instid1(VALU_DEP_2)
	v_dual_lshlrev_b32 v28, 8, v12 :: v_dual_lshlrev_b32 v13, 7, v13
	v_lshl_add_u32 v27, v27, 10, 0x2000
	s_delay_alu instid0(VALU_DEP_2) | instskip(NEXT) | instid1(VALU_DEP_2)
	v_and_b32_e32 v28, 0x8000, v28
	v_and_b32_e32 v27, 0xfc00, v27
	s_delay_alu instid0(VALU_DEP_1)
	v_or3_b32 v27, v28, v27, v13
.LBB242_55:                             ;   in Loop: Header=BB242_12 Depth=1
	s_or_b32 exec_lo, exec_lo, s43
.LBB242_56:                             ;   in Loop: Header=BB242_12 Depth=1
	s_delay_alu instid0(SALU_CYCLE_1)
	s_or_b32 exec_lo, exec_lo, s42
.LBB242_57:                             ;   in Loop: Header=BB242_12 Depth=1
	s_delay_alu instid0(SALU_CYCLE_1) | instskip(NEXT) | instid1(VALU_DEP_2)
	s_or_b32 exec_lo, exec_lo, s41
	v_lshrrev_b16 v12, 8, v12
	s_mov_b32 s41, exec_lo
	s_delay_alu instid0(VALU_DEP_1)
	v_cmpx_ne_u16_e32 0, v12
	s_cbranch_execz .LBB242_65
; %bb.58:                               ;   in Loop: Header=BB242_12 Depth=1
	v_bfrev_b32_e32 v26, 1
	s_mov_b32 s42, exec_lo
	v_cmpx_ne_u16_e32 0x80, v12
	s_cbranch_execz .LBB242_64
; %bb.59:                               ;   in Loop: Header=BB242_12 Depth=1
	v_and_b32_e32 v28, 0xffff, v12
	v_mov_b32_e32 v26, 0x7c010000
	s_mov_b32 s43, exec_lo
	s_delay_alu instid0(VALU_DEP_2) | instskip(NEXT) | instid1(VALU_DEP_1)
	v_and_b32_e32 v30, 0x7f, v28
	v_cmpx_ne_u32_e32 0x7f, v30
	s_cbranch_execz .LBB242_63
; %bb.60:                               ;   in Loop: Header=BB242_12 Depth=1
	v_dual_lshrrev_b32 v26, 3, v30 :: v_dual_bitop2_b32 v13, 7, v28 bitop3:0x40
	s_mov_b32 s44, exec_lo
	v_cmpx_gt_u32_e32 8, v30
	s_cbranch_execz .LBB242_62
; %bb.61:                               ;   in Loop: Header=BB242_12 Depth=1
	s_delay_alu instid0(VALU_DEP_2) | instskip(NEXT) | instid1(VALU_DEP_1)
	v_clz_i32_u32_e32 v13, v13
	v_min_u32_e32 v26, 32, v13
	v_mov_b32_e32 v13, v5
	s_delay_alu instid0(VALU_DEP_2) | instskip(SKIP_1) | instid1(VALU_DEP_2)
	v_subrev_nc_u32_e32 v30, 28, v26
	v_sub_nc_u32_e32 v26, 29, v26
	v_lshlrev_b64_e32 v[12:13], v30, v[12:13]
	s_delay_alu instid0(VALU_DEP_1)
	v_and_b32_e32 v13, 7, v12
.LBB242_62:                             ;   in Loop: Header=BB242_12 Depth=1
	s_or_b32 exec_lo, exec_lo, s44
	s_delay_alu instid0(VALU_DEP_1) | instskip(SKIP_1) | instid1(VALU_DEP_1)
	v_dual_lshlrev_b32 v12, 8, v28 :: v_dual_lshlrev_b32 v13, 23, v13
	v_lshl_add_u32 v26, v26, 10, 0x2000
	v_and_or_b32 v12, 0x8000, v12, v26
	s_delay_alu instid0(VALU_DEP_1)
	v_lshl_or_b32 v26, v12, 16, v13
.LBB242_63:                             ;   in Loop: Header=BB242_12 Depth=1
	s_or_b32 exec_lo, exec_lo, s43
.LBB242_64:                             ;   in Loop: Header=BB242_12 Depth=1
	s_delay_alu instid0(SALU_CYCLE_1)
	s_or_b32 exec_lo, exec_lo, s42
.LBB242_65:                             ;   in Loop: Header=BB242_12 Depth=1
	s_delay_alu instid0(SALU_CYCLE_1)
	s_or_b32 exec_lo, exec_lo, s41
	global_load_u16 v12, v[10:11], off offset:136
	v_dual_mov_b32 v28, 0 :: v_dual_mov_b32 v30, 0
	s_mov_b32 s41, exec_lo
	s_wait_loadcnt 0x0
	v_and_b32_e32 v13, 0xff, v12
	v_and_b32_e32 v12, 0xffff, v12
	s_delay_alu instid0(VALU_DEP_2)
	v_cmpx_ne_u16_e32 0, v13
	s_cbranch_execz .LBB242_73
; %bb.66:                               ;   in Loop: Header=BB242_12 Depth=1
	s_delay_alu instid0(VALU_DEP_2) | instskip(SKIP_2) | instid1(VALU_DEP_2)
	v_and_b32_e32 v13, 0xff, v12
	v_mov_b32_e32 v30, 0x8000
	s_mov_b32 s42, exec_lo
	v_cmpx_ne_u16_e32 0x80, v13
	s_cbranch_execz .LBB242_72
; %bb.67:                               ;   in Loop: Header=BB242_12 Depth=1
	v_and_b32_e32 v31, 0x7f, v12
	v_mov_b32_e32 v30, 0x7c01
	s_mov_b32 s43, exec_lo
	s_delay_alu instid0(VALU_DEP_2)
	v_cmpx_ne_u32_e32 0x7f, v31
	s_cbranch_execz .LBB242_71
; %bb.68:                               ;   in Loop: Header=BB242_12 Depth=1
	v_dual_lshrrev_b32 v30, 3, v31 :: v_dual_bitop2_b32 v13, 7, v12 bitop3:0x40
	s_mov_b32 s44, exec_lo
	v_cmpx_gt_u32_e32 8, v31
; %bb.69:                               ;   in Loop: Header=BB242_12 Depth=1
	s_delay_alu instid0(VALU_DEP_2) | instskip(NEXT) | instid1(VALU_DEP_1)
	v_clz_i32_u32_e32 v13, v13
	v_min_u32_e32 v13, 32, v13
	s_delay_alu instid0(VALU_DEP_1) | instskip(NEXT) | instid1(VALU_DEP_1)
	v_subrev_nc_u32_e32 v30, 28, v13
	v_lshlrev_b64_e32 v[32:33], v30, v[12:13]
	s_delay_alu instid0(VALU_DEP_1)
	v_dual_sub_nc_u32 v30, 29, v13 :: v_dual_bitop2_b32 v13, 7, v32 bitop3:0x40
; %bb.70:                               ;   in Loop: Header=BB242_12 Depth=1
	s_or_b32 exec_lo, exec_lo, s44
	s_delay_alu instid0(VALU_DEP_1) | instskip(NEXT) | instid1(VALU_DEP_2)
	v_dual_lshlrev_b32 v31, 8, v12 :: v_dual_lshlrev_b32 v13, 7, v13
	v_lshl_add_u32 v30, v30, 10, 0x2000
	s_delay_alu instid0(VALU_DEP_2) | instskip(NEXT) | instid1(VALU_DEP_2)
	v_and_b32_e32 v31, 0x8000, v31
	v_and_b32_e32 v30, 0xfc00, v30
	s_delay_alu instid0(VALU_DEP_1)
	v_or3_b32 v30, v31, v30, v13
.LBB242_71:                             ;   in Loop: Header=BB242_12 Depth=1
	s_or_b32 exec_lo, exec_lo, s43
.LBB242_72:                             ;   in Loop: Header=BB242_12 Depth=1
	s_delay_alu instid0(SALU_CYCLE_1)
	s_or_b32 exec_lo, exec_lo, s42
.LBB242_73:                             ;   in Loop: Header=BB242_12 Depth=1
	s_delay_alu instid0(SALU_CYCLE_1) | instskip(NEXT) | instid1(VALU_DEP_2)
	s_or_b32 exec_lo, exec_lo, s41
	v_lshrrev_b16 v12, 8, v12
	s_mov_b32 s41, exec_lo
	s_delay_alu instid0(VALU_DEP_1)
	v_cmpx_ne_u16_e32 0, v12
	s_cbranch_execz .LBB242_81
; %bb.74:                               ;   in Loop: Header=BB242_12 Depth=1
	v_bfrev_b32_e32 v28, 1
	s_mov_b32 s42, exec_lo
	v_cmpx_ne_u16_e32 0x80, v12
	s_cbranch_execz .LBB242_80
; %bb.75:                               ;   in Loop: Header=BB242_12 Depth=1
	v_and_b32_e32 v31, 0xffff, v12
	v_mov_b32_e32 v28, 0x7c010000
	s_mov_b32 s43, exec_lo
	s_delay_alu instid0(VALU_DEP_2) | instskip(NEXT) | instid1(VALU_DEP_1)
	v_and_b32_e32 v32, 0x7f, v31
	v_cmpx_ne_u32_e32 0x7f, v32
	s_cbranch_execz .LBB242_79
; %bb.76:                               ;   in Loop: Header=BB242_12 Depth=1
	v_dual_lshrrev_b32 v28, 3, v32 :: v_dual_bitop2_b32 v13, 7, v31 bitop3:0x40
	s_mov_b32 s44, exec_lo
	v_cmpx_gt_u32_e32 8, v32
	s_cbranch_execz .LBB242_78
; %bb.77:                               ;   in Loop: Header=BB242_12 Depth=1
	s_delay_alu instid0(VALU_DEP_2) | instskip(NEXT) | instid1(VALU_DEP_1)
	v_clz_i32_u32_e32 v13, v13
	v_min_u32_e32 v28, 32, v13
	v_mov_b32_e32 v13, v5
	s_delay_alu instid0(VALU_DEP_2) | instskip(SKIP_1) | instid1(VALU_DEP_2)
	v_subrev_nc_u32_e32 v32, 28, v28
	v_sub_nc_u32_e32 v28, 29, v28
	v_lshlrev_b64_e32 v[12:13], v32, v[12:13]
	s_delay_alu instid0(VALU_DEP_1)
	v_and_b32_e32 v13, 7, v12
.LBB242_78:                             ;   in Loop: Header=BB242_12 Depth=1
	s_or_b32 exec_lo, exec_lo, s44
	s_delay_alu instid0(VALU_DEP_1) | instskip(SKIP_1) | instid1(VALU_DEP_1)
	v_dual_lshlrev_b32 v12, 8, v31 :: v_dual_lshlrev_b32 v13, 23, v13
	v_lshl_add_u32 v28, v28, 10, 0x2000
	v_and_or_b32 v12, 0x8000, v12, v28
	s_delay_alu instid0(VALU_DEP_1)
	v_lshl_or_b32 v28, v12, 16, v13
.LBB242_79:                             ;   in Loop: Header=BB242_12 Depth=1
	s_or_b32 exec_lo, exec_lo, s43
.LBB242_80:                             ;   in Loop: Header=BB242_12 Depth=1
	s_delay_alu instid0(SALU_CYCLE_1)
	s_or_b32 exec_lo, exec_lo, s42
.LBB242_81:                             ;   in Loop: Header=BB242_12 Depth=1
	s_delay_alu instid0(SALU_CYCLE_1)
	s_or_b32 exec_lo, exec_lo, s41
	global_load_u16 v12, v[10:11], off offset:256
	v_dual_mov_b32 v31, 0 :: v_dual_mov_b32 v32, 0
	s_mov_b32 s41, exec_lo
	s_wait_loadcnt 0x0
	v_and_b32_e32 v13, 0xff, v12
	v_and_b32_e32 v12, 0xffff, v12
	s_delay_alu instid0(VALU_DEP_2)
	v_cmpx_ne_u16_e32 0, v13
	s_cbranch_execz .LBB242_89
; %bb.82:                               ;   in Loop: Header=BB242_12 Depth=1
	s_delay_alu instid0(VALU_DEP_2) | instskip(SKIP_2) | instid1(VALU_DEP_2)
	v_and_b32_e32 v13, 0xff, v12
	v_mov_b32_e32 v32, 0x8000
	s_mov_b32 s42, exec_lo
	v_cmpx_ne_u16_e32 0x80, v13
	s_cbranch_execz .LBB242_88
; %bb.83:                               ;   in Loop: Header=BB242_12 Depth=1
	v_and_b32_e32 v33, 0x7f, v12
	v_mov_b32_e32 v32, 0x7c01
	s_mov_b32 s43, exec_lo
	s_delay_alu instid0(VALU_DEP_2)
	v_cmpx_ne_u32_e32 0x7f, v33
	s_cbranch_execz .LBB242_87
; %bb.84:                               ;   in Loop: Header=BB242_12 Depth=1
	v_dual_lshrrev_b32 v32, 3, v33 :: v_dual_bitop2_b32 v13, 7, v12 bitop3:0x40
	s_mov_b32 s44, exec_lo
	v_cmpx_gt_u32_e32 8, v33
; %bb.85:                               ;   in Loop: Header=BB242_12 Depth=1
	s_delay_alu instid0(VALU_DEP_2) | instskip(NEXT) | instid1(VALU_DEP_1)
	v_clz_i32_u32_e32 v13, v13
	v_min_u32_e32 v13, 32, v13
	s_delay_alu instid0(VALU_DEP_1) | instskip(NEXT) | instid1(VALU_DEP_1)
	v_subrev_nc_u32_e32 v32, 28, v13
	v_lshlrev_b64_e32 v[34:35], v32, v[12:13]
	s_delay_alu instid0(VALU_DEP_1)
	v_dual_sub_nc_u32 v32, 29, v13 :: v_dual_bitop2_b32 v13, 7, v34 bitop3:0x40
; %bb.86:                               ;   in Loop: Header=BB242_12 Depth=1
	s_or_b32 exec_lo, exec_lo, s44
	s_delay_alu instid0(VALU_DEP_1) | instskip(NEXT) | instid1(VALU_DEP_2)
	v_dual_lshlrev_b32 v33, 8, v12 :: v_dual_lshlrev_b32 v13, 7, v13
	v_lshl_add_u32 v32, v32, 10, 0x2000
	s_delay_alu instid0(VALU_DEP_2) | instskip(NEXT) | instid1(VALU_DEP_2)
	v_and_b32_e32 v33, 0x8000, v33
	v_and_b32_e32 v32, 0xfc00, v32
	s_delay_alu instid0(VALU_DEP_1)
	v_or3_b32 v32, v33, v32, v13
.LBB242_87:                             ;   in Loop: Header=BB242_12 Depth=1
	s_or_b32 exec_lo, exec_lo, s43
.LBB242_88:                             ;   in Loop: Header=BB242_12 Depth=1
	s_delay_alu instid0(SALU_CYCLE_1)
	s_or_b32 exec_lo, exec_lo, s42
.LBB242_89:                             ;   in Loop: Header=BB242_12 Depth=1
	s_delay_alu instid0(SALU_CYCLE_1) | instskip(NEXT) | instid1(VALU_DEP_2)
	s_or_b32 exec_lo, exec_lo, s41
	v_lshrrev_b16 v12, 8, v12
	s_mov_b32 s41, exec_lo
	s_delay_alu instid0(VALU_DEP_1)
	v_cmpx_ne_u16_e32 0, v12
	s_cbranch_execz .LBB242_97
; %bb.90:                               ;   in Loop: Header=BB242_12 Depth=1
	v_bfrev_b32_e32 v31, 1
	s_mov_b32 s42, exec_lo
	v_cmpx_ne_u16_e32 0x80, v12
	s_cbranch_execz .LBB242_96
; %bb.91:                               ;   in Loop: Header=BB242_12 Depth=1
	v_and_b32_e32 v33, 0xffff, v12
	v_mov_b32_e32 v31, 0x7c010000
	s_mov_b32 s43, exec_lo
	s_delay_alu instid0(VALU_DEP_2) | instskip(NEXT) | instid1(VALU_DEP_1)
	v_and_b32_e32 v34, 0x7f, v33
	v_cmpx_ne_u32_e32 0x7f, v34
	s_cbranch_execz .LBB242_95
; %bb.92:                               ;   in Loop: Header=BB242_12 Depth=1
	v_dual_lshrrev_b32 v31, 3, v34 :: v_dual_bitop2_b32 v13, 7, v33 bitop3:0x40
	s_mov_b32 s44, exec_lo
	v_cmpx_gt_u32_e32 8, v34
	s_cbranch_execz .LBB242_94
; %bb.93:                               ;   in Loop: Header=BB242_12 Depth=1
	s_delay_alu instid0(VALU_DEP_2) | instskip(NEXT) | instid1(VALU_DEP_1)
	v_clz_i32_u32_e32 v13, v13
	v_min_u32_e32 v31, 32, v13
	v_mov_b32_e32 v13, v5
	s_delay_alu instid0(VALU_DEP_2) | instskip(SKIP_1) | instid1(VALU_DEP_2)
	v_subrev_nc_u32_e32 v34, 28, v31
	v_sub_nc_u32_e32 v31, 29, v31
	v_lshlrev_b64_e32 v[12:13], v34, v[12:13]
	s_delay_alu instid0(VALU_DEP_1)
	v_and_b32_e32 v13, 7, v12
.LBB242_94:                             ;   in Loop: Header=BB242_12 Depth=1
	s_or_b32 exec_lo, exec_lo, s44
	v_lshlrev_b32_e32 v12, 8, v33
	v_lshl_add_u32 v31, v31, 10, 0x2000
	s_delay_alu instid0(VALU_DEP_3) | instskip(NEXT) | instid1(VALU_DEP_2)
	v_lshlrev_b32_e32 v13, 23, v13
	v_and_or_b32 v12, 0x8000, v12, v31
	s_delay_alu instid0(VALU_DEP_1)
	v_lshl_or_b32 v31, v12, 16, v13
.LBB242_95:                             ;   in Loop: Header=BB242_12 Depth=1
	s_or_b32 exec_lo, exec_lo, s43
.LBB242_96:                             ;   in Loop: Header=BB242_12 Depth=1
	s_delay_alu instid0(SALU_CYCLE_1)
	s_or_b32 exec_lo, exec_lo, s42
.LBB242_97:                             ;   in Loop: Header=BB242_12 Depth=1
	s_delay_alu instid0(SALU_CYCLE_1)
	s_or_b32 exec_lo, exec_lo, s41
	global_load_u16 v12, v[10:11], off offset:264
	v_dual_mov_b32 v33, 0 :: v_dual_mov_b32 v34, 0
	s_mov_b32 s41, exec_lo
	s_wait_loadcnt 0x0
	v_and_b32_e32 v13, 0xff, v12
	v_and_b32_e32 v12, 0xffff, v12
	s_delay_alu instid0(VALU_DEP_2)
	v_cmpx_ne_u16_e32 0, v13
	s_cbranch_execz .LBB242_105
; %bb.98:                               ;   in Loop: Header=BB242_12 Depth=1
	s_delay_alu instid0(VALU_DEP_2) | instskip(SKIP_2) | instid1(VALU_DEP_2)
	v_and_b32_e32 v13, 0xff, v12
	v_mov_b32_e32 v34, 0x8000
	s_mov_b32 s42, exec_lo
	v_cmpx_ne_u16_e32 0x80, v13
	s_cbranch_execz .LBB242_104
; %bb.99:                               ;   in Loop: Header=BB242_12 Depth=1
	v_and_b32_e32 v35, 0x7f, v12
	v_mov_b32_e32 v34, 0x7c01
	s_mov_b32 s43, exec_lo
	s_delay_alu instid0(VALU_DEP_2)
	v_cmpx_ne_u32_e32 0x7f, v35
	s_cbranch_execz .LBB242_103
; %bb.100:                              ;   in Loop: Header=BB242_12 Depth=1
	v_dual_lshrrev_b32 v34, 3, v35 :: v_dual_bitop2_b32 v13, 7, v12 bitop3:0x40
	s_mov_b32 s44, exec_lo
	v_cmpx_gt_u32_e32 8, v35
; %bb.101:                              ;   in Loop: Header=BB242_12 Depth=1
	s_delay_alu instid0(VALU_DEP_2) | instskip(NEXT) | instid1(VALU_DEP_1)
	v_clz_i32_u32_e32 v13, v13
	v_min_u32_e32 v13, 32, v13
	s_delay_alu instid0(VALU_DEP_1) | instskip(NEXT) | instid1(VALU_DEP_1)
	v_subrev_nc_u32_e32 v34, 28, v13
	v_lshlrev_b64_e32 v[36:37], v34, v[12:13]
	s_delay_alu instid0(VALU_DEP_1)
	v_dual_sub_nc_u32 v34, 29, v13 :: v_dual_bitop2_b32 v13, 7, v36 bitop3:0x40
; %bb.102:                              ;   in Loop: Header=BB242_12 Depth=1
	s_or_b32 exec_lo, exec_lo, s44
	s_delay_alu instid0(VALU_DEP_1) | instskip(NEXT) | instid1(VALU_DEP_2)
	v_dual_lshlrev_b32 v35, 8, v12 :: v_dual_lshlrev_b32 v13, 7, v13
	v_lshl_add_u32 v34, v34, 10, 0x2000
	s_delay_alu instid0(VALU_DEP_2) | instskip(NEXT) | instid1(VALU_DEP_2)
	v_and_b32_e32 v35, 0x8000, v35
	v_and_b32_e32 v34, 0xfc00, v34
	s_delay_alu instid0(VALU_DEP_1)
	v_or3_b32 v34, v35, v34, v13
.LBB242_103:                            ;   in Loop: Header=BB242_12 Depth=1
	s_or_b32 exec_lo, exec_lo, s43
.LBB242_104:                            ;   in Loop: Header=BB242_12 Depth=1
	s_delay_alu instid0(SALU_CYCLE_1)
	s_or_b32 exec_lo, exec_lo, s42
.LBB242_105:                            ;   in Loop: Header=BB242_12 Depth=1
	s_delay_alu instid0(SALU_CYCLE_1) | instskip(NEXT) | instid1(VALU_DEP_2)
	s_or_b32 exec_lo, exec_lo, s41
	v_lshrrev_b16 v12, 8, v12
	s_mov_b32 s41, exec_lo
	s_delay_alu instid0(VALU_DEP_1)
	v_cmpx_ne_u16_e32 0, v12
	s_cbranch_execz .LBB242_113
; %bb.106:                              ;   in Loop: Header=BB242_12 Depth=1
	v_bfrev_b32_e32 v33, 1
	s_mov_b32 s42, exec_lo
	v_cmpx_ne_u16_e32 0x80, v12
	s_cbranch_execz .LBB242_112
; %bb.107:                              ;   in Loop: Header=BB242_12 Depth=1
	v_and_b32_e32 v35, 0xffff, v12
	v_mov_b32_e32 v33, 0x7c010000
	s_mov_b32 s43, exec_lo
	s_delay_alu instid0(VALU_DEP_2) | instskip(NEXT) | instid1(VALU_DEP_1)
	v_and_b32_e32 v36, 0x7f, v35
	v_cmpx_ne_u32_e32 0x7f, v36
	s_cbranch_execz .LBB242_111
; %bb.108:                              ;   in Loop: Header=BB242_12 Depth=1
	v_dual_lshrrev_b32 v33, 3, v36 :: v_dual_bitop2_b32 v13, 7, v35 bitop3:0x40
	s_mov_b32 s44, exec_lo
	v_cmpx_gt_u32_e32 8, v36
	s_cbranch_execz .LBB242_110
; %bb.109:                              ;   in Loop: Header=BB242_12 Depth=1
	s_delay_alu instid0(VALU_DEP_2) | instskip(NEXT) | instid1(VALU_DEP_1)
	v_clz_i32_u32_e32 v13, v13
	v_min_u32_e32 v33, 32, v13
	v_mov_b32_e32 v13, v5
	s_delay_alu instid0(VALU_DEP_2) | instskip(SKIP_1) | instid1(VALU_DEP_2)
	v_subrev_nc_u32_e32 v36, 28, v33
	v_sub_nc_u32_e32 v33, 29, v33
	v_lshlrev_b64_e32 v[12:13], v36, v[12:13]
	s_delay_alu instid0(VALU_DEP_1)
	v_and_b32_e32 v13, 7, v12
.LBB242_110:                            ;   in Loop: Header=BB242_12 Depth=1
	s_or_b32 exec_lo, exec_lo, s44
	s_delay_alu instid0(VALU_DEP_1) | instskip(SKIP_1) | instid1(VALU_DEP_1)
	v_dual_lshlrev_b32 v12, 8, v35 :: v_dual_lshlrev_b32 v13, 23, v13
	v_lshl_add_u32 v33, v33, 10, 0x2000
	v_and_or_b32 v12, 0x8000, v12, v33
	s_delay_alu instid0(VALU_DEP_1)
	v_lshl_or_b32 v33, v12, 16, v13
.LBB242_111:                            ;   in Loop: Header=BB242_12 Depth=1
	s_or_b32 exec_lo, exec_lo, s43
.LBB242_112:                            ;   in Loop: Header=BB242_12 Depth=1
	s_delay_alu instid0(SALU_CYCLE_1)
	s_or_b32 exec_lo, exec_lo, s42
.LBB242_113:                            ;   in Loop: Header=BB242_12 Depth=1
	s_delay_alu instid0(SALU_CYCLE_1)
	s_or_b32 exec_lo, exec_lo, s41
	global_load_u16 v12, v[10:11], off offset:384
	v_dual_mov_b32 v35, 0 :: v_dual_mov_b32 v36, 0
	s_mov_b32 s41, exec_lo
	s_wait_loadcnt 0x0
	v_and_b32_e32 v13, 0xff, v12
	v_and_b32_e32 v12, 0xffff, v12
	s_delay_alu instid0(VALU_DEP_2)
	v_cmpx_ne_u16_e32 0, v13
	s_cbranch_execz .LBB242_121
; %bb.114:                              ;   in Loop: Header=BB242_12 Depth=1
	s_delay_alu instid0(VALU_DEP_2) | instskip(SKIP_2) | instid1(VALU_DEP_2)
	v_and_b32_e32 v13, 0xff, v12
	v_mov_b32_e32 v36, 0x8000
	s_mov_b32 s42, exec_lo
	v_cmpx_ne_u16_e32 0x80, v13
	s_cbranch_execz .LBB242_120
; %bb.115:                              ;   in Loop: Header=BB242_12 Depth=1
	v_and_b32_e32 v37, 0x7f, v12
	v_mov_b32_e32 v36, 0x7c01
	s_mov_b32 s43, exec_lo
	s_delay_alu instid0(VALU_DEP_2)
	v_cmpx_ne_u32_e32 0x7f, v37
	s_cbranch_execz .LBB242_119
; %bb.116:                              ;   in Loop: Header=BB242_12 Depth=1
	v_dual_lshrrev_b32 v36, 3, v37 :: v_dual_bitop2_b32 v13, 7, v12 bitop3:0x40
	s_mov_b32 s44, exec_lo
	v_cmpx_gt_u32_e32 8, v37
; %bb.117:                              ;   in Loop: Header=BB242_12 Depth=1
	s_delay_alu instid0(VALU_DEP_2) | instskip(NEXT) | instid1(VALU_DEP_1)
	v_clz_i32_u32_e32 v13, v13
	v_min_u32_e32 v13, 32, v13
	s_delay_alu instid0(VALU_DEP_1) | instskip(NEXT) | instid1(VALU_DEP_1)
	v_subrev_nc_u32_e32 v36, 28, v13
	v_lshlrev_b64_e32 v[38:39], v36, v[12:13]
	s_delay_alu instid0(VALU_DEP_1)
	v_dual_sub_nc_u32 v36, 29, v13 :: v_dual_bitop2_b32 v13, 7, v38 bitop3:0x40
; %bb.118:                              ;   in Loop: Header=BB242_12 Depth=1
	s_or_b32 exec_lo, exec_lo, s44
	s_delay_alu instid0(VALU_DEP_1) | instskip(NEXT) | instid1(VALU_DEP_2)
	v_dual_lshlrev_b32 v37, 8, v12 :: v_dual_lshlrev_b32 v13, 7, v13
	v_lshl_add_u32 v36, v36, 10, 0x2000
	s_delay_alu instid0(VALU_DEP_2) | instskip(NEXT) | instid1(VALU_DEP_2)
	v_and_b32_e32 v37, 0x8000, v37
	v_and_b32_e32 v36, 0xfc00, v36
	s_delay_alu instid0(VALU_DEP_1)
	v_or3_b32 v36, v37, v36, v13
.LBB242_119:                            ;   in Loop: Header=BB242_12 Depth=1
	s_or_b32 exec_lo, exec_lo, s43
.LBB242_120:                            ;   in Loop: Header=BB242_12 Depth=1
	s_delay_alu instid0(SALU_CYCLE_1)
	s_or_b32 exec_lo, exec_lo, s42
.LBB242_121:                            ;   in Loop: Header=BB242_12 Depth=1
	s_delay_alu instid0(SALU_CYCLE_1) | instskip(NEXT) | instid1(VALU_DEP_2)
	s_or_b32 exec_lo, exec_lo, s41
	v_lshrrev_b16 v12, 8, v12
	s_mov_b32 s41, exec_lo
	s_delay_alu instid0(VALU_DEP_1)
	v_cmpx_ne_u16_e32 0, v12
	s_cbranch_execz .LBB242_129
; %bb.122:                              ;   in Loop: Header=BB242_12 Depth=1
	v_bfrev_b32_e32 v35, 1
	s_mov_b32 s42, exec_lo
	v_cmpx_ne_u16_e32 0x80, v12
	s_cbranch_execz .LBB242_128
; %bb.123:                              ;   in Loop: Header=BB242_12 Depth=1
	v_and_b32_e32 v37, 0xffff, v12
	v_mov_b32_e32 v35, 0x7c010000
	s_mov_b32 s43, exec_lo
	s_delay_alu instid0(VALU_DEP_2) | instskip(NEXT) | instid1(VALU_DEP_1)
	v_and_b32_e32 v38, 0x7f, v37
	v_cmpx_ne_u32_e32 0x7f, v38
	s_cbranch_execz .LBB242_127
; %bb.124:                              ;   in Loop: Header=BB242_12 Depth=1
	v_dual_lshrrev_b32 v35, 3, v38 :: v_dual_bitop2_b32 v13, 7, v37 bitop3:0x40
	s_mov_b32 s44, exec_lo
	v_cmpx_gt_u32_e32 8, v38
	s_cbranch_execz .LBB242_126
; %bb.125:                              ;   in Loop: Header=BB242_12 Depth=1
	s_delay_alu instid0(VALU_DEP_2) | instskip(NEXT) | instid1(VALU_DEP_1)
	v_clz_i32_u32_e32 v13, v13
	v_min_u32_e32 v35, 32, v13
	v_mov_b32_e32 v13, v5
	s_delay_alu instid0(VALU_DEP_2) | instskip(SKIP_1) | instid1(VALU_DEP_2)
	v_subrev_nc_u32_e32 v38, 28, v35
	v_sub_nc_u32_e32 v35, 29, v35
	v_lshlrev_b64_e32 v[12:13], v38, v[12:13]
	s_delay_alu instid0(VALU_DEP_1)
	v_and_b32_e32 v13, 7, v12
.LBB242_126:                            ;   in Loop: Header=BB242_12 Depth=1
	s_or_b32 exec_lo, exec_lo, s44
	v_lshlrev_b32_e32 v12, 8, v37
	v_lshl_add_u32 v35, v35, 10, 0x2000
	s_delay_alu instid0(VALU_DEP_3) | instskip(NEXT) | instid1(VALU_DEP_2)
	v_lshlrev_b32_e32 v13, 23, v13
	v_and_or_b32 v12, 0x8000, v12, v35
	s_delay_alu instid0(VALU_DEP_1)
	v_lshl_or_b32 v35, v12, 16, v13
.LBB242_127:                            ;   in Loop: Header=BB242_12 Depth=1
	s_or_b32 exec_lo, exec_lo, s43
.LBB242_128:                            ;   in Loop: Header=BB242_12 Depth=1
	s_delay_alu instid0(SALU_CYCLE_1)
	s_or_b32 exec_lo, exec_lo, s42
.LBB242_129:                            ;   in Loop: Header=BB242_12 Depth=1
	s_delay_alu instid0(SALU_CYCLE_1)
	s_or_b32 exec_lo, exec_lo, s41
	global_load_u16 v12, v[10:11], off offset:392
	v_dual_mov_b32 v37, 0 :: v_dual_mov_b32 v38, 0
	s_mov_b32 s41, exec_lo
	s_wait_loadcnt 0x0
	v_and_b32_e32 v13, 0xff, v12
	v_and_b32_e32 v12, 0xffff, v12
	s_delay_alu instid0(VALU_DEP_2)
	v_cmpx_ne_u16_e32 0, v13
	s_cbranch_execz .LBB242_137
; %bb.130:                              ;   in Loop: Header=BB242_12 Depth=1
	s_delay_alu instid0(VALU_DEP_2) | instskip(SKIP_2) | instid1(VALU_DEP_2)
	v_and_b32_e32 v13, 0xff, v12
	v_mov_b32_e32 v38, 0x8000
	s_mov_b32 s42, exec_lo
	v_cmpx_ne_u16_e32 0x80, v13
	s_cbranch_execz .LBB242_136
; %bb.131:                              ;   in Loop: Header=BB242_12 Depth=1
	v_and_b32_e32 v39, 0x7f, v12
	v_mov_b32_e32 v38, 0x7c01
	s_mov_b32 s43, exec_lo
	s_delay_alu instid0(VALU_DEP_2)
	v_cmpx_ne_u32_e32 0x7f, v39
	s_cbranch_execz .LBB242_135
; %bb.132:                              ;   in Loop: Header=BB242_12 Depth=1
	v_dual_lshrrev_b32 v38, 3, v39 :: v_dual_bitop2_b32 v13, 7, v12 bitop3:0x40
	s_mov_b32 s44, exec_lo
	v_cmpx_gt_u32_e32 8, v39
; %bb.133:                              ;   in Loop: Header=BB242_12 Depth=1
	s_delay_alu instid0(VALU_DEP_2) | instskip(NEXT) | instid1(VALU_DEP_1)
	v_clz_i32_u32_e32 v13, v13
	v_min_u32_e32 v13, 32, v13
	s_delay_alu instid0(VALU_DEP_1) | instskip(NEXT) | instid1(VALU_DEP_1)
	v_subrev_nc_u32_e32 v38, 28, v13
	v_lshlrev_b64_e32 v[40:41], v38, v[12:13]
	s_delay_alu instid0(VALU_DEP_1)
	v_dual_sub_nc_u32 v38, 29, v13 :: v_dual_bitop2_b32 v13, 7, v40 bitop3:0x40
; %bb.134:                              ;   in Loop: Header=BB242_12 Depth=1
	s_or_b32 exec_lo, exec_lo, s44
	s_delay_alu instid0(VALU_DEP_1) | instskip(NEXT) | instid1(VALU_DEP_2)
	v_dual_lshlrev_b32 v39, 8, v12 :: v_dual_lshlrev_b32 v13, 7, v13
	v_lshl_add_u32 v38, v38, 10, 0x2000
	s_delay_alu instid0(VALU_DEP_2) | instskip(NEXT) | instid1(VALU_DEP_2)
	v_and_b32_e32 v39, 0x8000, v39
	v_and_b32_e32 v38, 0xfc00, v38
	s_delay_alu instid0(VALU_DEP_1)
	v_or3_b32 v38, v39, v38, v13
.LBB242_135:                            ;   in Loop: Header=BB242_12 Depth=1
	s_or_b32 exec_lo, exec_lo, s43
.LBB242_136:                            ;   in Loop: Header=BB242_12 Depth=1
	s_delay_alu instid0(SALU_CYCLE_1)
	s_or_b32 exec_lo, exec_lo, s42
.LBB242_137:                            ;   in Loop: Header=BB242_12 Depth=1
	s_delay_alu instid0(SALU_CYCLE_1) | instskip(NEXT) | instid1(VALU_DEP_2)
	s_or_b32 exec_lo, exec_lo, s41
	v_lshrrev_b16 v12, 8, v12
	s_mov_b32 s41, exec_lo
	s_delay_alu instid0(VALU_DEP_1)
	v_cmpx_ne_u16_e32 0, v12
	s_cbranch_execz .LBB242_145
; %bb.138:                              ;   in Loop: Header=BB242_12 Depth=1
	v_bfrev_b32_e32 v37, 1
	s_mov_b32 s42, exec_lo
	v_cmpx_ne_u16_e32 0x80, v12
	s_cbranch_execz .LBB242_144
; %bb.139:                              ;   in Loop: Header=BB242_12 Depth=1
	v_and_b32_e32 v39, 0xffff, v12
	v_mov_b32_e32 v37, 0x7c010000
	s_mov_b32 s43, exec_lo
	s_delay_alu instid0(VALU_DEP_2) | instskip(NEXT) | instid1(VALU_DEP_1)
	v_and_b32_e32 v40, 0x7f, v39
	v_cmpx_ne_u32_e32 0x7f, v40
	s_cbranch_execz .LBB242_143
; %bb.140:                              ;   in Loop: Header=BB242_12 Depth=1
	v_dual_lshrrev_b32 v37, 3, v40 :: v_dual_bitop2_b32 v13, 7, v39 bitop3:0x40
	s_mov_b32 s44, exec_lo
	v_cmpx_gt_u32_e32 8, v40
	s_cbranch_execz .LBB242_142
; %bb.141:                              ;   in Loop: Header=BB242_12 Depth=1
	s_delay_alu instid0(VALU_DEP_2) | instskip(NEXT) | instid1(VALU_DEP_1)
	v_clz_i32_u32_e32 v13, v13
	v_min_u32_e32 v37, 32, v13
	v_mov_b32_e32 v13, v5
	s_delay_alu instid0(VALU_DEP_2) | instskip(SKIP_1) | instid1(VALU_DEP_2)
	v_subrev_nc_u32_e32 v40, 28, v37
	v_sub_nc_u32_e32 v37, 29, v37
	v_lshlrev_b64_e32 v[12:13], v40, v[12:13]
	s_delay_alu instid0(VALU_DEP_1)
	v_and_b32_e32 v13, 7, v12
.LBB242_142:                            ;   in Loop: Header=BB242_12 Depth=1
	s_or_b32 exec_lo, exec_lo, s44
	s_delay_alu instid0(VALU_DEP_1) | instskip(SKIP_1) | instid1(VALU_DEP_1)
	v_dual_lshlrev_b32 v12, 8, v39 :: v_dual_lshlrev_b32 v13, 23, v13
	v_lshl_add_u32 v37, v37, 10, 0x2000
	v_and_or_b32 v12, 0x8000, v12, v37
	s_delay_alu instid0(VALU_DEP_1)
	v_lshl_or_b32 v37, v12, 16, v13
.LBB242_143:                            ;   in Loop: Header=BB242_12 Depth=1
	s_or_b32 exec_lo, exec_lo, s43
.LBB242_144:                            ;   in Loop: Header=BB242_12 Depth=1
	s_delay_alu instid0(SALU_CYCLE_1)
	s_or_b32 exec_lo, exec_lo, s42
.LBB242_145:                            ;   in Loop: Header=BB242_12 Depth=1
	s_delay_alu instid0(SALU_CYCLE_1)
	s_or_b32 exec_lo, exec_lo, s41
	global_load_u16 v12, v[10:11], off offset:512
	v_dual_mov_b32 v39, 0 :: v_dual_mov_b32 v40, 0
	s_mov_b32 s41, exec_lo
	s_wait_loadcnt 0x0
	v_and_b32_e32 v13, 0xff, v12
	v_and_b32_e32 v12, 0xffff, v12
	s_delay_alu instid0(VALU_DEP_2)
	v_cmpx_ne_u16_e32 0, v13
	s_cbranch_execz .LBB242_153
; %bb.146:                              ;   in Loop: Header=BB242_12 Depth=1
	s_delay_alu instid0(VALU_DEP_2) | instskip(SKIP_2) | instid1(VALU_DEP_2)
	v_and_b32_e32 v13, 0xff, v12
	v_mov_b32_e32 v40, 0x8000
	s_mov_b32 s42, exec_lo
	v_cmpx_ne_u16_e32 0x80, v13
	s_cbranch_execz .LBB242_152
; %bb.147:                              ;   in Loop: Header=BB242_12 Depth=1
	v_and_b32_e32 v41, 0x7f, v12
	v_mov_b32_e32 v40, 0x7c01
	s_mov_b32 s43, exec_lo
	s_delay_alu instid0(VALU_DEP_2)
	v_cmpx_ne_u32_e32 0x7f, v41
	s_cbranch_execz .LBB242_151
; %bb.148:                              ;   in Loop: Header=BB242_12 Depth=1
	v_dual_lshrrev_b32 v40, 3, v41 :: v_dual_bitop2_b32 v13, 7, v12 bitop3:0x40
	s_mov_b32 s44, exec_lo
	v_cmpx_gt_u32_e32 8, v41
; %bb.149:                              ;   in Loop: Header=BB242_12 Depth=1
	s_delay_alu instid0(VALU_DEP_2) | instskip(NEXT) | instid1(VALU_DEP_1)
	v_clz_i32_u32_e32 v13, v13
	v_min_u32_e32 v13, 32, v13
	s_delay_alu instid0(VALU_DEP_1) | instskip(NEXT) | instid1(VALU_DEP_1)
	v_subrev_nc_u32_e32 v40, 28, v13
	v_lshlrev_b64_e32 v[42:43], v40, v[12:13]
	s_delay_alu instid0(VALU_DEP_1)
	v_dual_sub_nc_u32 v40, 29, v13 :: v_dual_bitop2_b32 v13, 7, v42 bitop3:0x40
; %bb.150:                              ;   in Loop: Header=BB242_12 Depth=1
	s_or_b32 exec_lo, exec_lo, s44
	s_delay_alu instid0(VALU_DEP_1) | instskip(NEXT) | instid1(VALU_DEP_2)
	v_dual_lshlrev_b32 v41, 8, v12 :: v_dual_lshlrev_b32 v13, 7, v13
	v_lshl_add_u32 v40, v40, 10, 0x2000
	s_delay_alu instid0(VALU_DEP_2) | instskip(NEXT) | instid1(VALU_DEP_2)
	v_and_b32_e32 v41, 0x8000, v41
	v_and_b32_e32 v40, 0xfc00, v40
	s_delay_alu instid0(VALU_DEP_1)
	v_or3_b32 v40, v41, v40, v13
.LBB242_151:                            ;   in Loop: Header=BB242_12 Depth=1
	s_or_b32 exec_lo, exec_lo, s43
.LBB242_152:                            ;   in Loop: Header=BB242_12 Depth=1
	s_delay_alu instid0(SALU_CYCLE_1)
	s_or_b32 exec_lo, exec_lo, s42
.LBB242_153:                            ;   in Loop: Header=BB242_12 Depth=1
	s_delay_alu instid0(SALU_CYCLE_1) | instskip(NEXT) | instid1(VALU_DEP_2)
	s_or_b32 exec_lo, exec_lo, s41
	v_lshrrev_b16 v12, 8, v12
	s_mov_b32 s41, exec_lo
	s_delay_alu instid0(VALU_DEP_1)
	v_cmpx_ne_u16_e32 0, v12
	s_cbranch_execz .LBB242_161
; %bb.154:                              ;   in Loop: Header=BB242_12 Depth=1
	v_bfrev_b32_e32 v39, 1
	s_mov_b32 s42, exec_lo
	v_cmpx_ne_u16_e32 0x80, v12
	s_cbranch_execz .LBB242_160
; %bb.155:                              ;   in Loop: Header=BB242_12 Depth=1
	v_and_b32_e32 v41, 0xffff, v12
	v_mov_b32_e32 v39, 0x7c010000
	s_mov_b32 s43, exec_lo
	s_delay_alu instid0(VALU_DEP_2) | instskip(NEXT) | instid1(VALU_DEP_1)
	v_and_b32_e32 v42, 0x7f, v41
	v_cmpx_ne_u32_e32 0x7f, v42
	s_cbranch_execz .LBB242_159
; %bb.156:                              ;   in Loop: Header=BB242_12 Depth=1
	v_dual_lshrrev_b32 v39, 3, v42 :: v_dual_bitop2_b32 v13, 7, v41 bitop3:0x40
	s_mov_b32 s44, exec_lo
	v_cmpx_gt_u32_e32 8, v42
	s_cbranch_execz .LBB242_158
; %bb.157:                              ;   in Loop: Header=BB242_12 Depth=1
	s_delay_alu instid0(VALU_DEP_2) | instskip(NEXT) | instid1(VALU_DEP_1)
	v_clz_i32_u32_e32 v13, v13
	v_min_u32_e32 v39, 32, v13
	v_mov_b32_e32 v13, v5
	s_delay_alu instid0(VALU_DEP_2) | instskip(SKIP_1) | instid1(VALU_DEP_2)
	v_subrev_nc_u32_e32 v42, 28, v39
	v_sub_nc_u32_e32 v39, 29, v39
	v_lshlrev_b64_e32 v[12:13], v42, v[12:13]
	s_delay_alu instid0(VALU_DEP_1)
	v_and_b32_e32 v13, 7, v12
.LBB242_158:                            ;   in Loop: Header=BB242_12 Depth=1
	s_or_b32 exec_lo, exec_lo, s44
	v_lshlrev_b32_e32 v12, 8, v41
	v_lshl_add_u32 v39, v39, 10, 0x2000
	s_delay_alu instid0(VALU_DEP_3) | instskip(NEXT) | instid1(VALU_DEP_2)
	v_lshlrev_b32_e32 v13, 23, v13
	v_and_or_b32 v12, 0x8000, v12, v39
	s_delay_alu instid0(VALU_DEP_1)
	v_lshl_or_b32 v39, v12, 16, v13
.LBB242_159:                            ;   in Loop: Header=BB242_12 Depth=1
	s_or_b32 exec_lo, exec_lo, s43
.LBB242_160:                            ;   in Loop: Header=BB242_12 Depth=1
	s_delay_alu instid0(SALU_CYCLE_1)
	s_or_b32 exec_lo, exec_lo, s42
.LBB242_161:                            ;   in Loop: Header=BB242_12 Depth=1
	s_delay_alu instid0(SALU_CYCLE_1)
	s_or_b32 exec_lo, exec_lo, s41
	global_load_u16 v12, v[10:11], off offset:520
	v_dual_mov_b32 v41, 0 :: v_dual_mov_b32 v42, 0
	s_mov_b32 s41, exec_lo
	s_wait_loadcnt 0x0
	v_and_b32_e32 v13, 0xff, v12
	v_and_b32_e32 v12, 0xffff, v12
	s_delay_alu instid0(VALU_DEP_2)
	v_cmpx_ne_u16_e32 0, v13
	s_cbranch_execz .LBB242_169
; %bb.162:                              ;   in Loop: Header=BB242_12 Depth=1
	s_delay_alu instid0(VALU_DEP_2) | instskip(SKIP_2) | instid1(VALU_DEP_2)
	v_and_b32_e32 v13, 0xff, v12
	v_mov_b32_e32 v42, 0x8000
	s_mov_b32 s42, exec_lo
	v_cmpx_ne_u16_e32 0x80, v13
	s_cbranch_execz .LBB242_168
; %bb.163:                              ;   in Loop: Header=BB242_12 Depth=1
	v_and_b32_e32 v43, 0x7f, v12
	v_mov_b32_e32 v42, 0x7c01
	s_mov_b32 s43, exec_lo
	s_delay_alu instid0(VALU_DEP_2)
	v_cmpx_ne_u32_e32 0x7f, v43
	s_cbranch_execz .LBB242_167
; %bb.164:                              ;   in Loop: Header=BB242_12 Depth=1
	v_dual_lshrrev_b32 v42, 3, v43 :: v_dual_bitop2_b32 v13, 7, v12 bitop3:0x40
	s_mov_b32 s44, exec_lo
	v_cmpx_gt_u32_e32 8, v43
; %bb.165:                              ;   in Loop: Header=BB242_12 Depth=1
	s_delay_alu instid0(VALU_DEP_2) | instskip(NEXT) | instid1(VALU_DEP_1)
	v_clz_i32_u32_e32 v13, v13
	v_min_u32_e32 v13, 32, v13
	s_delay_alu instid0(VALU_DEP_1) | instskip(NEXT) | instid1(VALU_DEP_1)
	v_subrev_nc_u32_e32 v42, 28, v13
	v_lshlrev_b64_e32 v[44:45], v42, v[12:13]
	s_delay_alu instid0(VALU_DEP_1)
	v_dual_sub_nc_u32 v42, 29, v13 :: v_dual_bitop2_b32 v13, 7, v44 bitop3:0x40
; %bb.166:                              ;   in Loop: Header=BB242_12 Depth=1
	s_or_b32 exec_lo, exec_lo, s44
	s_delay_alu instid0(VALU_DEP_1) | instskip(NEXT) | instid1(VALU_DEP_2)
	v_dual_lshlrev_b32 v43, 8, v12 :: v_dual_lshlrev_b32 v13, 7, v13
	v_lshl_add_u32 v42, v42, 10, 0x2000
	s_delay_alu instid0(VALU_DEP_2) | instskip(NEXT) | instid1(VALU_DEP_2)
	v_and_b32_e32 v43, 0x8000, v43
	v_and_b32_e32 v42, 0xfc00, v42
	s_delay_alu instid0(VALU_DEP_1)
	v_or3_b32 v42, v43, v42, v13
.LBB242_167:                            ;   in Loop: Header=BB242_12 Depth=1
	s_or_b32 exec_lo, exec_lo, s43
.LBB242_168:                            ;   in Loop: Header=BB242_12 Depth=1
	s_delay_alu instid0(SALU_CYCLE_1)
	s_or_b32 exec_lo, exec_lo, s42
.LBB242_169:                            ;   in Loop: Header=BB242_12 Depth=1
	s_delay_alu instid0(SALU_CYCLE_1) | instskip(NEXT) | instid1(VALU_DEP_2)
	s_or_b32 exec_lo, exec_lo, s41
	v_lshrrev_b16 v12, 8, v12
	s_mov_b32 s41, exec_lo
	s_delay_alu instid0(VALU_DEP_1)
	v_cmpx_ne_u16_e32 0, v12
	s_cbranch_execz .LBB242_177
; %bb.170:                              ;   in Loop: Header=BB242_12 Depth=1
	v_bfrev_b32_e32 v41, 1
	s_mov_b32 s42, exec_lo
	v_cmpx_ne_u16_e32 0x80, v12
	s_cbranch_execz .LBB242_176
; %bb.171:                              ;   in Loop: Header=BB242_12 Depth=1
	v_and_b32_e32 v43, 0xffff, v12
	v_mov_b32_e32 v41, 0x7c010000
	s_mov_b32 s43, exec_lo
	s_delay_alu instid0(VALU_DEP_2) | instskip(NEXT) | instid1(VALU_DEP_1)
	v_and_b32_e32 v44, 0x7f, v43
	v_cmpx_ne_u32_e32 0x7f, v44
	s_cbranch_execz .LBB242_175
; %bb.172:                              ;   in Loop: Header=BB242_12 Depth=1
	v_dual_lshrrev_b32 v41, 3, v44 :: v_dual_bitop2_b32 v13, 7, v43 bitop3:0x40
	s_mov_b32 s44, exec_lo
	v_cmpx_gt_u32_e32 8, v44
	s_cbranch_execz .LBB242_174
; %bb.173:                              ;   in Loop: Header=BB242_12 Depth=1
	s_delay_alu instid0(VALU_DEP_2) | instskip(NEXT) | instid1(VALU_DEP_1)
	v_clz_i32_u32_e32 v13, v13
	v_min_u32_e32 v41, 32, v13
	v_mov_b32_e32 v13, v5
	s_delay_alu instid0(VALU_DEP_2) | instskip(SKIP_1) | instid1(VALU_DEP_2)
	v_subrev_nc_u32_e32 v44, 28, v41
	v_sub_nc_u32_e32 v41, 29, v41
	v_lshlrev_b64_e32 v[12:13], v44, v[12:13]
	s_delay_alu instid0(VALU_DEP_1)
	v_and_b32_e32 v13, 7, v12
.LBB242_174:                            ;   in Loop: Header=BB242_12 Depth=1
	s_or_b32 exec_lo, exec_lo, s44
	s_delay_alu instid0(VALU_DEP_1) | instskip(SKIP_1) | instid1(VALU_DEP_1)
	v_dual_lshlrev_b32 v12, 8, v43 :: v_dual_lshlrev_b32 v13, 23, v13
	v_lshl_add_u32 v41, v41, 10, 0x2000
	v_and_or_b32 v12, 0x8000, v12, v41
	s_delay_alu instid0(VALU_DEP_1)
	v_lshl_or_b32 v41, v12, 16, v13
.LBB242_175:                            ;   in Loop: Header=BB242_12 Depth=1
	s_or_b32 exec_lo, exec_lo, s43
.LBB242_176:                            ;   in Loop: Header=BB242_12 Depth=1
	s_delay_alu instid0(SALU_CYCLE_1)
	s_or_b32 exec_lo, exec_lo, s42
.LBB242_177:                            ;   in Loop: Header=BB242_12 Depth=1
	s_delay_alu instid0(SALU_CYCLE_1)
	s_or_b32 exec_lo, exec_lo, s41
	global_load_u16 v12, v[10:11], off offset:640
	v_dual_mov_b32 v43, 0 :: v_dual_mov_b32 v44, 0
	s_mov_b32 s41, exec_lo
	s_wait_loadcnt 0x0
	v_and_b32_e32 v13, 0xff, v12
	v_and_b32_e32 v12, 0xffff, v12
	s_delay_alu instid0(VALU_DEP_2)
	v_cmpx_ne_u16_e32 0, v13
	s_cbranch_execz .LBB242_185
; %bb.178:                              ;   in Loop: Header=BB242_12 Depth=1
	s_delay_alu instid0(VALU_DEP_2) | instskip(SKIP_2) | instid1(VALU_DEP_2)
	v_and_b32_e32 v13, 0xff, v12
	v_mov_b32_e32 v44, 0x8000
	s_mov_b32 s42, exec_lo
	v_cmpx_ne_u16_e32 0x80, v13
	s_cbranch_execz .LBB242_184
; %bb.179:                              ;   in Loop: Header=BB242_12 Depth=1
	v_and_b32_e32 v45, 0x7f, v12
	v_mov_b32_e32 v44, 0x7c01
	s_mov_b32 s43, exec_lo
	s_delay_alu instid0(VALU_DEP_2)
	v_cmpx_ne_u32_e32 0x7f, v45
	s_cbranch_execz .LBB242_183
; %bb.180:                              ;   in Loop: Header=BB242_12 Depth=1
	v_dual_lshrrev_b32 v44, 3, v45 :: v_dual_bitop2_b32 v13, 7, v12 bitop3:0x40
	s_mov_b32 s44, exec_lo
	v_cmpx_gt_u32_e32 8, v45
; %bb.181:                              ;   in Loop: Header=BB242_12 Depth=1
	s_delay_alu instid0(VALU_DEP_2) | instskip(NEXT) | instid1(VALU_DEP_1)
	v_clz_i32_u32_e32 v13, v13
	v_min_u32_e32 v13, 32, v13
	s_delay_alu instid0(VALU_DEP_1) | instskip(NEXT) | instid1(VALU_DEP_1)
	v_subrev_nc_u32_e32 v44, 28, v13
	v_lshlrev_b64_e32 v[46:47], v44, v[12:13]
	s_delay_alu instid0(VALU_DEP_1)
	v_dual_sub_nc_u32 v44, 29, v13 :: v_dual_bitop2_b32 v13, 7, v46 bitop3:0x40
; %bb.182:                              ;   in Loop: Header=BB242_12 Depth=1
	s_or_b32 exec_lo, exec_lo, s44
	s_delay_alu instid0(VALU_DEP_1) | instskip(NEXT) | instid1(VALU_DEP_2)
	v_dual_lshlrev_b32 v45, 8, v12 :: v_dual_lshlrev_b32 v13, 7, v13
	v_lshl_add_u32 v44, v44, 10, 0x2000
	s_delay_alu instid0(VALU_DEP_2) | instskip(NEXT) | instid1(VALU_DEP_2)
	v_and_b32_e32 v45, 0x8000, v45
	v_and_b32_e32 v44, 0xfc00, v44
	s_delay_alu instid0(VALU_DEP_1)
	v_or3_b32 v44, v45, v44, v13
.LBB242_183:                            ;   in Loop: Header=BB242_12 Depth=1
	s_or_b32 exec_lo, exec_lo, s43
.LBB242_184:                            ;   in Loop: Header=BB242_12 Depth=1
	s_delay_alu instid0(SALU_CYCLE_1)
	s_or_b32 exec_lo, exec_lo, s42
.LBB242_185:                            ;   in Loop: Header=BB242_12 Depth=1
	s_delay_alu instid0(SALU_CYCLE_1) | instskip(NEXT) | instid1(VALU_DEP_2)
	s_or_b32 exec_lo, exec_lo, s41
	v_lshrrev_b16 v12, 8, v12
	s_mov_b32 s41, exec_lo
	s_delay_alu instid0(VALU_DEP_1)
	v_cmpx_ne_u16_e32 0, v12
	s_cbranch_execz .LBB242_193
; %bb.186:                              ;   in Loop: Header=BB242_12 Depth=1
	v_bfrev_b32_e32 v43, 1
	s_mov_b32 s42, exec_lo
	v_cmpx_ne_u16_e32 0x80, v12
	s_cbranch_execz .LBB242_192
; %bb.187:                              ;   in Loop: Header=BB242_12 Depth=1
	v_and_b32_e32 v45, 0xffff, v12
	v_mov_b32_e32 v43, 0x7c010000
	s_mov_b32 s43, exec_lo
	s_delay_alu instid0(VALU_DEP_2) | instskip(NEXT) | instid1(VALU_DEP_1)
	v_and_b32_e32 v46, 0x7f, v45
	v_cmpx_ne_u32_e32 0x7f, v46
	s_cbranch_execz .LBB242_191
; %bb.188:                              ;   in Loop: Header=BB242_12 Depth=1
	v_dual_lshrrev_b32 v43, 3, v46 :: v_dual_bitop2_b32 v13, 7, v45 bitop3:0x40
	s_mov_b32 s44, exec_lo
	v_cmpx_gt_u32_e32 8, v46
	s_cbranch_execz .LBB242_190
; %bb.189:                              ;   in Loop: Header=BB242_12 Depth=1
	s_delay_alu instid0(VALU_DEP_2) | instskip(NEXT) | instid1(VALU_DEP_1)
	v_clz_i32_u32_e32 v13, v13
	v_min_u32_e32 v43, 32, v13
	v_mov_b32_e32 v13, v5
	s_delay_alu instid0(VALU_DEP_2) | instskip(SKIP_1) | instid1(VALU_DEP_2)
	v_subrev_nc_u32_e32 v46, 28, v43
	v_sub_nc_u32_e32 v43, 29, v43
	v_lshlrev_b64_e32 v[12:13], v46, v[12:13]
	s_delay_alu instid0(VALU_DEP_1)
	v_and_b32_e32 v13, 7, v12
.LBB242_190:                            ;   in Loop: Header=BB242_12 Depth=1
	s_or_b32 exec_lo, exec_lo, s44
	v_lshlrev_b32_e32 v12, 8, v45
	v_lshl_add_u32 v43, v43, 10, 0x2000
	s_delay_alu instid0(VALU_DEP_3) | instskip(NEXT) | instid1(VALU_DEP_2)
	v_lshlrev_b32_e32 v13, 23, v13
	v_and_or_b32 v12, 0x8000, v12, v43
	s_delay_alu instid0(VALU_DEP_1)
	v_lshl_or_b32 v43, v12, 16, v13
.LBB242_191:                            ;   in Loop: Header=BB242_12 Depth=1
	s_or_b32 exec_lo, exec_lo, s43
.LBB242_192:                            ;   in Loop: Header=BB242_12 Depth=1
	s_delay_alu instid0(SALU_CYCLE_1)
	s_or_b32 exec_lo, exec_lo, s42
.LBB242_193:                            ;   in Loop: Header=BB242_12 Depth=1
	s_delay_alu instid0(SALU_CYCLE_1)
	s_or_b32 exec_lo, exec_lo, s41
	global_load_u16 v12, v[10:11], off offset:648
	v_dual_mov_b32 v45, 0 :: v_dual_mov_b32 v46, 0
	s_mov_b32 s41, exec_lo
	s_wait_loadcnt 0x0
	v_and_b32_e32 v13, 0xff, v12
	v_and_b32_e32 v12, 0xffff, v12
	s_delay_alu instid0(VALU_DEP_2)
	v_cmpx_ne_u16_e32 0, v13
	s_cbranch_execz .LBB242_201
; %bb.194:                              ;   in Loop: Header=BB242_12 Depth=1
	s_delay_alu instid0(VALU_DEP_2) | instskip(SKIP_2) | instid1(VALU_DEP_2)
	v_and_b32_e32 v13, 0xff, v12
	v_mov_b32_e32 v46, 0x8000
	s_mov_b32 s42, exec_lo
	v_cmpx_ne_u16_e32 0x80, v13
	s_cbranch_execz .LBB242_200
; %bb.195:                              ;   in Loop: Header=BB242_12 Depth=1
	v_and_b32_e32 v47, 0x7f, v12
	v_mov_b32_e32 v46, 0x7c01
	s_mov_b32 s43, exec_lo
	s_delay_alu instid0(VALU_DEP_2)
	v_cmpx_ne_u32_e32 0x7f, v47
	s_cbranch_execz .LBB242_199
; %bb.196:                              ;   in Loop: Header=BB242_12 Depth=1
	v_dual_lshrrev_b32 v46, 3, v47 :: v_dual_bitop2_b32 v13, 7, v12 bitop3:0x40
	s_mov_b32 s44, exec_lo
	v_cmpx_gt_u32_e32 8, v47
; %bb.197:                              ;   in Loop: Header=BB242_12 Depth=1
	s_delay_alu instid0(VALU_DEP_2) | instskip(NEXT) | instid1(VALU_DEP_1)
	v_clz_i32_u32_e32 v13, v13
	v_min_u32_e32 v13, 32, v13
	s_delay_alu instid0(VALU_DEP_1) | instskip(NEXT) | instid1(VALU_DEP_1)
	v_subrev_nc_u32_e32 v46, 28, v13
	v_lshlrev_b64_e32 v[48:49], v46, v[12:13]
	s_delay_alu instid0(VALU_DEP_1)
	v_dual_sub_nc_u32 v46, 29, v13 :: v_dual_bitop2_b32 v13, 7, v48 bitop3:0x40
; %bb.198:                              ;   in Loop: Header=BB242_12 Depth=1
	s_or_b32 exec_lo, exec_lo, s44
	s_delay_alu instid0(VALU_DEP_1) | instskip(NEXT) | instid1(VALU_DEP_2)
	v_dual_lshlrev_b32 v47, 8, v12 :: v_dual_lshlrev_b32 v13, 7, v13
	v_lshl_add_u32 v46, v46, 10, 0x2000
	s_delay_alu instid0(VALU_DEP_2) | instskip(NEXT) | instid1(VALU_DEP_2)
	v_and_b32_e32 v47, 0x8000, v47
	v_and_b32_e32 v46, 0xfc00, v46
	s_delay_alu instid0(VALU_DEP_1)
	v_or3_b32 v46, v47, v46, v13
.LBB242_199:                            ;   in Loop: Header=BB242_12 Depth=1
	s_or_b32 exec_lo, exec_lo, s43
.LBB242_200:                            ;   in Loop: Header=BB242_12 Depth=1
	s_delay_alu instid0(SALU_CYCLE_1)
	s_or_b32 exec_lo, exec_lo, s42
.LBB242_201:                            ;   in Loop: Header=BB242_12 Depth=1
	s_delay_alu instid0(SALU_CYCLE_1) | instskip(NEXT) | instid1(VALU_DEP_2)
	s_or_b32 exec_lo, exec_lo, s41
	v_lshrrev_b16 v12, 8, v12
	s_mov_b32 s41, exec_lo
	s_delay_alu instid0(VALU_DEP_1)
	v_cmpx_ne_u16_e32 0, v12
	s_cbranch_execz .LBB242_209
; %bb.202:                              ;   in Loop: Header=BB242_12 Depth=1
	v_bfrev_b32_e32 v45, 1
	s_mov_b32 s42, exec_lo
	v_cmpx_ne_u16_e32 0x80, v12
	s_cbranch_execz .LBB242_208
; %bb.203:                              ;   in Loop: Header=BB242_12 Depth=1
	v_and_b32_e32 v47, 0xffff, v12
	v_mov_b32_e32 v45, 0x7c010000
	s_mov_b32 s43, exec_lo
	s_delay_alu instid0(VALU_DEP_2) | instskip(NEXT) | instid1(VALU_DEP_1)
	v_and_b32_e32 v48, 0x7f, v47
	v_cmpx_ne_u32_e32 0x7f, v48
	s_cbranch_execz .LBB242_207
; %bb.204:                              ;   in Loop: Header=BB242_12 Depth=1
	v_dual_lshrrev_b32 v45, 3, v48 :: v_dual_bitop2_b32 v13, 7, v47 bitop3:0x40
	s_mov_b32 s44, exec_lo
	v_cmpx_gt_u32_e32 8, v48
	s_cbranch_execz .LBB242_206
; %bb.205:                              ;   in Loop: Header=BB242_12 Depth=1
	s_delay_alu instid0(VALU_DEP_2) | instskip(NEXT) | instid1(VALU_DEP_1)
	v_clz_i32_u32_e32 v13, v13
	v_min_u32_e32 v45, 32, v13
	v_mov_b32_e32 v13, v5
	s_delay_alu instid0(VALU_DEP_2) | instskip(SKIP_1) | instid1(VALU_DEP_2)
	v_subrev_nc_u32_e32 v48, 28, v45
	v_sub_nc_u32_e32 v45, 29, v45
	v_lshlrev_b64_e32 v[12:13], v48, v[12:13]
	s_delay_alu instid0(VALU_DEP_1)
	v_and_b32_e32 v13, 7, v12
.LBB242_206:                            ;   in Loop: Header=BB242_12 Depth=1
	s_or_b32 exec_lo, exec_lo, s44
	s_delay_alu instid0(VALU_DEP_1) | instskip(SKIP_1) | instid1(VALU_DEP_1)
	v_dual_lshlrev_b32 v12, 8, v47 :: v_dual_lshlrev_b32 v13, 23, v13
	v_lshl_add_u32 v45, v45, 10, 0x2000
	v_and_or_b32 v12, 0x8000, v12, v45
	s_delay_alu instid0(VALU_DEP_1)
	v_lshl_or_b32 v45, v12, 16, v13
.LBB242_207:                            ;   in Loop: Header=BB242_12 Depth=1
	s_or_b32 exec_lo, exec_lo, s43
.LBB242_208:                            ;   in Loop: Header=BB242_12 Depth=1
	s_delay_alu instid0(SALU_CYCLE_1)
	s_or_b32 exec_lo, exec_lo, s42
.LBB242_209:                            ;   in Loop: Header=BB242_12 Depth=1
	s_delay_alu instid0(SALU_CYCLE_1)
	s_or_b32 exec_lo, exec_lo, s41
	global_load_u16 v12, v[10:11], off offset:768
	v_dual_mov_b32 v47, 0 :: v_dual_mov_b32 v48, 0
	s_mov_b32 s41, exec_lo
	s_wait_loadcnt 0x0
	v_and_b32_e32 v13, 0xff, v12
	v_and_b32_e32 v12, 0xffff, v12
	s_delay_alu instid0(VALU_DEP_2)
	v_cmpx_ne_u16_e32 0, v13
	s_cbranch_execz .LBB242_217
; %bb.210:                              ;   in Loop: Header=BB242_12 Depth=1
	s_delay_alu instid0(VALU_DEP_2) | instskip(SKIP_2) | instid1(VALU_DEP_2)
	v_and_b32_e32 v13, 0xff, v12
	v_mov_b32_e32 v48, 0x8000
	s_mov_b32 s42, exec_lo
	v_cmpx_ne_u16_e32 0x80, v13
	s_cbranch_execz .LBB242_216
; %bb.211:                              ;   in Loop: Header=BB242_12 Depth=1
	v_and_b32_e32 v49, 0x7f, v12
	v_mov_b32_e32 v48, 0x7c01
	s_mov_b32 s43, exec_lo
	s_delay_alu instid0(VALU_DEP_2)
	v_cmpx_ne_u32_e32 0x7f, v49
	s_cbranch_execz .LBB242_215
; %bb.212:                              ;   in Loop: Header=BB242_12 Depth=1
	v_dual_lshrrev_b32 v48, 3, v49 :: v_dual_bitop2_b32 v13, 7, v12 bitop3:0x40
	s_mov_b32 s44, exec_lo
	v_cmpx_gt_u32_e32 8, v49
; %bb.213:                              ;   in Loop: Header=BB242_12 Depth=1
	s_delay_alu instid0(VALU_DEP_2) | instskip(NEXT) | instid1(VALU_DEP_1)
	v_clz_i32_u32_e32 v13, v13
	v_min_u32_e32 v13, 32, v13
	s_delay_alu instid0(VALU_DEP_1) | instskip(NEXT) | instid1(VALU_DEP_1)
	v_subrev_nc_u32_e32 v48, 28, v13
	v_lshlrev_b64_e32 v[50:51], v48, v[12:13]
	s_delay_alu instid0(VALU_DEP_1)
	v_dual_sub_nc_u32 v48, 29, v13 :: v_dual_bitop2_b32 v13, 7, v50 bitop3:0x40
; %bb.214:                              ;   in Loop: Header=BB242_12 Depth=1
	s_or_b32 exec_lo, exec_lo, s44
	s_delay_alu instid0(VALU_DEP_1) | instskip(NEXT) | instid1(VALU_DEP_2)
	v_dual_lshlrev_b32 v49, 8, v12 :: v_dual_lshlrev_b32 v13, 7, v13
	v_lshl_add_u32 v48, v48, 10, 0x2000
	s_delay_alu instid0(VALU_DEP_2) | instskip(NEXT) | instid1(VALU_DEP_2)
	v_and_b32_e32 v49, 0x8000, v49
	v_and_b32_e32 v48, 0xfc00, v48
	s_delay_alu instid0(VALU_DEP_1)
	v_or3_b32 v48, v49, v48, v13
.LBB242_215:                            ;   in Loop: Header=BB242_12 Depth=1
	s_or_b32 exec_lo, exec_lo, s43
.LBB242_216:                            ;   in Loop: Header=BB242_12 Depth=1
	s_delay_alu instid0(SALU_CYCLE_1)
	s_or_b32 exec_lo, exec_lo, s42
.LBB242_217:                            ;   in Loop: Header=BB242_12 Depth=1
	s_delay_alu instid0(SALU_CYCLE_1) | instskip(NEXT) | instid1(VALU_DEP_2)
	s_or_b32 exec_lo, exec_lo, s41
	v_lshrrev_b16 v12, 8, v12
	s_mov_b32 s41, exec_lo
	s_delay_alu instid0(VALU_DEP_1)
	v_cmpx_ne_u16_e32 0, v12
	s_cbranch_execz .LBB242_225
; %bb.218:                              ;   in Loop: Header=BB242_12 Depth=1
	v_bfrev_b32_e32 v47, 1
	s_mov_b32 s42, exec_lo
	v_cmpx_ne_u16_e32 0x80, v12
	s_cbranch_execz .LBB242_224
; %bb.219:                              ;   in Loop: Header=BB242_12 Depth=1
	v_and_b32_e32 v49, 0xffff, v12
	v_mov_b32_e32 v47, 0x7c010000
	s_mov_b32 s43, exec_lo
	s_delay_alu instid0(VALU_DEP_2) | instskip(NEXT) | instid1(VALU_DEP_1)
	v_and_b32_e32 v50, 0x7f, v49
	v_cmpx_ne_u32_e32 0x7f, v50
	s_cbranch_execz .LBB242_223
; %bb.220:                              ;   in Loop: Header=BB242_12 Depth=1
	v_dual_lshrrev_b32 v47, 3, v50 :: v_dual_bitop2_b32 v13, 7, v49 bitop3:0x40
	s_mov_b32 s44, exec_lo
	v_cmpx_gt_u32_e32 8, v50
	s_cbranch_execz .LBB242_222
; %bb.221:                              ;   in Loop: Header=BB242_12 Depth=1
	s_delay_alu instid0(VALU_DEP_2) | instskip(NEXT) | instid1(VALU_DEP_1)
	v_clz_i32_u32_e32 v13, v13
	v_min_u32_e32 v47, 32, v13
	v_mov_b32_e32 v13, v5
	s_delay_alu instid0(VALU_DEP_2) | instskip(SKIP_1) | instid1(VALU_DEP_2)
	v_subrev_nc_u32_e32 v50, 28, v47
	v_sub_nc_u32_e32 v47, 29, v47
	v_lshlrev_b64_e32 v[12:13], v50, v[12:13]
	s_delay_alu instid0(VALU_DEP_1)
	v_and_b32_e32 v13, 7, v12
.LBB242_222:                            ;   in Loop: Header=BB242_12 Depth=1
	s_or_b32 exec_lo, exec_lo, s44
	v_lshlrev_b32_e32 v12, 8, v49
	v_lshl_add_u32 v47, v47, 10, 0x2000
	s_delay_alu instid0(VALU_DEP_3) | instskip(NEXT) | instid1(VALU_DEP_2)
	v_lshlrev_b32_e32 v13, 23, v13
	v_and_or_b32 v12, 0x8000, v12, v47
	s_delay_alu instid0(VALU_DEP_1)
	v_lshl_or_b32 v47, v12, 16, v13
.LBB242_223:                            ;   in Loop: Header=BB242_12 Depth=1
	s_or_b32 exec_lo, exec_lo, s43
.LBB242_224:                            ;   in Loop: Header=BB242_12 Depth=1
	s_delay_alu instid0(SALU_CYCLE_1)
	s_or_b32 exec_lo, exec_lo, s42
.LBB242_225:                            ;   in Loop: Header=BB242_12 Depth=1
	s_delay_alu instid0(SALU_CYCLE_1)
	s_or_b32 exec_lo, exec_lo, s41
	global_load_u16 v12, v[10:11], off offset:776
	v_dual_mov_b32 v49, 0 :: v_dual_mov_b32 v50, 0
	s_mov_b32 s41, exec_lo
	s_wait_loadcnt 0x0
	v_and_b32_e32 v13, 0xff, v12
	v_and_b32_e32 v12, 0xffff, v12
	s_delay_alu instid0(VALU_DEP_2)
	v_cmpx_ne_u16_e32 0, v13
	s_cbranch_execz .LBB242_233
; %bb.226:                              ;   in Loop: Header=BB242_12 Depth=1
	s_delay_alu instid0(VALU_DEP_2) | instskip(SKIP_2) | instid1(VALU_DEP_2)
	v_and_b32_e32 v13, 0xff, v12
	v_mov_b32_e32 v50, 0x8000
	s_mov_b32 s42, exec_lo
	v_cmpx_ne_u16_e32 0x80, v13
	s_cbranch_execz .LBB242_232
; %bb.227:                              ;   in Loop: Header=BB242_12 Depth=1
	v_and_b32_e32 v51, 0x7f, v12
	v_mov_b32_e32 v50, 0x7c01
	s_mov_b32 s43, exec_lo
	s_delay_alu instid0(VALU_DEP_2)
	v_cmpx_ne_u32_e32 0x7f, v51
	s_cbranch_execz .LBB242_231
; %bb.228:                              ;   in Loop: Header=BB242_12 Depth=1
	v_dual_lshrrev_b32 v50, 3, v51 :: v_dual_bitop2_b32 v13, 7, v12 bitop3:0x40
	s_mov_b32 s44, exec_lo
	v_cmpx_gt_u32_e32 8, v51
; %bb.229:                              ;   in Loop: Header=BB242_12 Depth=1
	s_delay_alu instid0(VALU_DEP_2) | instskip(NEXT) | instid1(VALU_DEP_1)
	v_clz_i32_u32_e32 v13, v13
	v_min_u32_e32 v13, 32, v13
	s_delay_alu instid0(VALU_DEP_1) | instskip(NEXT) | instid1(VALU_DEP_1)
	v_subrev_nc_u32_e32 v50, 28, v13
	v_lshlrev_b64_e32 v[52:53], v50, v[12:13]
	s_delay_alu instid0(VALU_DEP_1)
	v_dual_sub_nc_u32 v50, 29, v13 :: v_dual_bitop2_b32 v13, 7, v52 bitop3:0x40
; %bb.230:                              ;   in Loop: Header=BB242_12 Depth=1
	s_or_b32 exec_lo, exec_lo, s44
	s_delay_alu instid0(VALU_DEP_1) | instskip(NEXT) | instid1(VALU_DEP_2)
	v_dual_lshlrev_b32 v51, 8, v12 :: v_dual_lshlrev_b32 v13, 7, v13
	v_lshl_add_u32 v50, v50, 10, 0x2000
	s_delay_alu instid0(VALU_DEP_2) | instskip(NEXT) | instid1(VALU_DEP_2)
	v_and_b32_e32 v51, 0x8000, v51
	v_and_b32_e32 v50, 0xfc00, v50
	s_delay_alu instid0(VALU_DEP_1)
	v_or3_b32 v50, v51, v50, v13
.LBB242_231:                            ;   in Loop: Header=BB242_12 Depth=1
	s_or_b32 exec_lo, exec_lo, s43
.LBB242_232:                            ;   in Loop: Header=BB242_12 Depth=1
	s_delay_alu instid0(SALU_CYCLE_1)
	s_or_b32 exec_lo, exec_lo, s42
.LBB242_233:                            ;   in Loop: Header=BB242_12 Depth=1
	s_delay_alu instid0(SALU_CYCLE_1) | instskip(NEXT) | instid1(VALU_DEP_2)
	s_or_b32 exec_lo, exec_lo, s41
	v_lshrrev_b16 v12, 8, v12
	s_mov_b32 s41, exec_lo
	s_delay_alu instid0(VALU_DEP_1)
	v_cmpx_ne_u16_e32 0, v12
	s_cbranch_execz .LBB242_241
; %bb.234:                              ;   in Loop: Header=BB242_12 Depth=1
	v_bfrev_b32_e32 v49, 1
	s_mov_b32 s42, exec_lo
	v_cmpx_ne_u16_e32 0x80, v12
	s_cbranch_execz .LBB242_240
; %bb.235:                              ;   in Loop: Header=BB242_12 Depth=1
	v_and_b32_e32 v51, 0xffff, v12
	v_mov_b32_e32 v49, 0x7c010000
	s_mov_b32 s43, exec_lo
	s_delay_alu instid0(VALU_DEP_2) | instskip(NEXT) | instid1(VALU_DEP_1)
	v_and_b32_e32 v52, 0x7f, v51
	v_cmpx_ne_u32_e32 0x7f, v52
	s_cbranch_execz .LBB242_239
; %bb.236:                              ;   in Loop: Header=BB242_12 Depth=1
	v_dual_lshrrev_b32 v49, 3, v52 :: v_dual_bitop2_b32 v13, 7, v51 bitop3:0x40
	s_mov_b32 s44, exec_lo
	v_cmpx_gt_u32_e32 8, v52
	s_cbranch_execz .LBB242_238
; %bb.237:                              ;   in Loop: Header=BB242_12 Depth=1
	s_delay_alu instid0(VALU_DEP_2) | instskip(NEXT) | instid1(VALU_DEP_1)
	v_clz_i32_u32_e32 v13, v13
	v_min_u32_e32 v49, 32, v13
	v_mov_b32_e32 v13, v5
	s_delay_alu instid0(VALU_DEP_2) | instskip(SKIP_1) | instid1(VALU_DEP_2)
	v_subrev_nc_u32_e32 v52, 28, v49
	v_sub_nc_u32_e32 v49, 29, v49
	v_lshlrev_b64_e32 v[12:13], v52, v[12:13]
	s_delay_alu instid0(VALU_DEP_1)
	v_and_b32_e32 v13, 7, v12
.LBB242_238:                            ;   in Loop: Header=BB242_12 Depth=1
	s_or_b32 exec_lo, exec_lo, s44
	s_delay_alu instid0(VALU_DEP_1) | instskip(SKIP_1) | instid1(VALU_DEP_1)
	v_dual_lshlrev_b32 v12, 8, v51 :: v_dual_lshlrev_b32 v13, 23, v13
	v_lshl_add_u32 v49, v49, 10, 0x2000
	v_and_or_b32 v12, 0x8000, v12, v49
	s_delay_alu instid0(VALU_DEP_1)
	v_lshl_or_b32 v49, v12, 16, v13
.LBB242_239:                            ;   in Loop: Header=BB242_12 Depth=1
	s_or_b32 exec_lo, exec_lo, s43
.LBB242_240:                            ;   in Loop: Header=BB242_12 Depth=1
	s_delay_alu instid0(SALU_CYCLE_1)
	s_or_b32 exec_lo, exec_lo, s42
.LBB242_241:                            ;   in Loop: Header=BB242_12 Depth=1
	s_delay_alu instid0(SALU_CYCLE_1)
	s_or_b32 exec_lo, exec_lo, s41
	global_load_u16 v12, v[10:11], off offset:896
	v_dual_mov_b32 v51, 0 :: v_dual_mov_b32 v52, 0
	s_mov_b32 s41, exec_lo
	s_wait_loadcnt 0x0
	v_and_b32_e32 v13, 0xff, v12
	v_and_b32_e32 v12, 0xffff, v12
	s_delay_alu instid0(VALU_DEP_2)
	v_cmpx_ne_u16_e32 0, v13
	s_cbranch_execz .LBB242_249
; %bb.242:                              ;   in Loop: Header=BB242_12 Depth=1
	s_delay_alu instid0(VALU_DEP_2) | instskip(SKIP_2) | instid1(VALU_DEP_2)
	v_and_b32_e32 v13, 0xff, v12
	v_mov_b32_e32 v52, 0x8000
	s_mov_b32 s42, exec_lo
	v_cmpx_ne_u16_e32 0x80, v13
	s_cbranch_execz .LBB242_248
; %bb.243:                              ;   in Loop: Header=BB242_12 Depth=1
	v_and_b32_e32 v53, 0x7f, v12
	v_mov_b32_e32 v52, 0x7c01
	s_mov_b32 s43, exec_lo
	s_delay_alu instid0(VALU_DEP_2)
	v_cmpx_ne_u32_e32 0x7f, v53
	s_cbranch_execz .LBB242_247
; %bb.244:                              ;   in Loop: Header=BB242_12 Depth=1
	v_dual_lshrrev_b32 v52, 3, v53 :: v_dual_bitop2_b32 v13, 7, v12 bitop3:0x40
	s_mov_b32 s44, exec_lo
	v_cmpx_gt_u32_e32 8, v53
; %bb.245:                              ;   in Loop: Header=BB242_12 Depth=1
	s_delay_alu instid0(VALU_DEP_2) | instskip(NEXT) | instid1(VALU_DEP_1)
	v_clz_i32_u32_e32 v13, v13
	v_min_u32_e32 v13, 32, v13
	s_delay_alu instid0(VALU_DEP_1) | instskip(NEXT) | instid1(VALU_DEP_1)
	v_subrev_nc_u32_e32 v52, 28, v13
	v_lshlrev_b64_e32 v[54:55], v52, v[12:13]
	s_delay_alu instid0(VALU_DEP_1)
	v_dual_sub_nc_u32 v52, 29, v13 :: v_dual_bitop2_b32 v13, 7, v54 bitop3:0x40
; %bb.246:                              ;   in Loop: Header=BB242_12 Depth=1
	s_or_b32 exec_lo, exec_lo, s44
	s_delay_alu instid0(VALU_DEP_1) | instskip(NEXT) | instid1(VALU_DEP_2)
	v_dual_lshlrev_b32 v53, 8, v12 :: v_dual_lshlrev_b32 v13, 7, v13
	v_lshl_add_u32 v52, v52, 10, 0x2000
	s_delay_alu instid0(VALU_DEP_2) | instskip(NEXT) | instid1(VALU_DEP_2)
	v_and_b32_e32 v53, 0x8000, v53
	v_and_b32_e32 v52, 0xfc00, v52
	s_delay_alu instid0(VALU_DEP_1)
	v_or3_b32 v52, v53, v52, v13
.LBB242_247:                            ;   in Loop: Header=BB242_12 Depth=1
	s_or_b32 exec_lo, exec_lo, s43
.LBB242_248:                            ;   in Loop: Header=BB242_12 Depth=1
	s_delay_alu instid0(SALU_CYCLE_1)
	s_or_b32 exec_lo, exec_lo, s42
.LBB242_249:                            ;   in Loop: Header=BB242_12 Depth=1
	s_delay_alu instid0(SALU_CYCLE_1) | instskip(NEXT) | instid1(VALU_DEP_2)
	s_or_b32 exec_lo, exec_lo, s41
	v_lshrrev_b16 v12, 8, v12
	s_mov_b32 s41, exec_lo
	s_delay_alu instid0(VALU_DEP_1)
	v_cmpx_ne_u16_e32 0, v12
	s_cbranch_execz .LBB242_257
; %bb.250:                              ;   in Loop: Header=BB242_12 Depth=1
	v_bfrev_b32_e32 v51, 1
	s_mov_b32 s42, exec_lo
	v_cmpx_ne_u16_e32 0x80, v12
	s_cbranch_execz .LBB242_256
; %bb.251:                              ;   in Loop: Header=BB242_12 Depth=1
	v_and_b32_e32 v53, 0xffff, v12
	v_mov_b32_e32 v51, 0x7c010000
	s_mov_b32 s43, exec_lo
	s_delay_alu instid0(VALU_DEP_2) | instskip(NEXT) | instid1(VALU_DEP_1)
	v_and_b32_e32 v54, 0x7f, v53
	v_cmpx_ne_u32_e32 0x7f, v54
	s_cbranch_execz .LBB242_255
; %bb.252:                              ;   in Loop: Header=BB242_12 Depth=1
	v_dual_lshrrev_b32 v51, 3, v54 :: v_dual_bitop2_b32 v13, 7, v53 bitop3:0x40
	s_mov_b32 s44, exec_lo
	v_cmpx_gt_u32_e32 8, v54
	s_cbranch_execz .LBB242_254
; %bb.253:                              ;   in Loop: Header=BB242_12 Depth=1
	s_delay_alu instid0(VALU_DEP_2) | instskip(NEXT) | instid1(VALU_DEP_1)
	v_clz_i32_u32_e32 v13, v13
	v_min_u32_e32 v51, 32, v13
	v_mov_b32_e32 v13, v5
	s_delay_alu instid0(VALU_DEP_2) | instskip(SKIP_1) | instid1(VALU_DEP_2)
	v_subrev_nc_u32_e32 v54, 28, v51
	v_sub_nc_u32_e32 v51, 29, v51
	v_lshlrev_b64_e32 v[12:13], v54, v[12:13]
	s_delay_alu instid0(VALU_DEP_1)
	v_and_b32_e32 v13, 7, v12
.LBB242_254:                            ;   in Loop: Header=BB242_12 Depth=1
	s_or_b32 exec_lo, exec_lo, s44
	v_lshlrev_b32_e32 v12, 8, v53
	v_lshl_add_u32 v51, v51, 10, 0x2000
	s_delay_alu instid0(VALU_DEP_3) | instskip(NEXT) | instid1(VALU_DEP_2)
	v_lshlrev_b32_e32 v13, 23, v13
	v_and_or_b32 v12, 0x8000, v12, v51
	s_delay_alu instid0(VALU_DEP_1)
	v_lshl_or_b32 v51, v12, 16, v13
.LBB242_255:                            ;   in Loop: Header=BB242_12 Depth=1
	s_or_b32 exec_lo, exec_lo, s43
.LBB242_256:                            ;   in Loop: Header=BB242_12 Depth=1
	s_delay_alu instid0(SALU_CYCLE_1)
	s_or_b32 exec_lo, exec_lo, s42
.LBB242_257:                            ;   in Loop: Header=BB242_12 Depth=1
	s_delay_alu instid0(SALU_CYCLE_1)
	s_or_b32 exec_lo, exec_lo, s41
	global_load_u16 v12, v[10:11], off offset:904
	v_dual_mov_b32 v53, 0 :: v_dual_mov_b32 v54, 0
	s_mov_b32 s41, exec_lo
	s_wait_loadcnt 0x0
	v_and_b32_e32 v13, 0xff, v12
	v_and_b32_e32 v12, 0xffff, v12
	s_delay_alu instid0(VALU_DEP_2)
	v_cmpx_ne_u16_e32 0, v13
	s_cbranch_execz .LBB242_265
; %bb.258:                              ;   in Loop: Header=BB242_12 Depth=1
	s_delay_alu instid0(VALU_DEP_2) | instskip(SKIP_2) | instid1(VALU_DEP_2)
	v_and_b32_e32 v13, 0xff, v12
	v_mov_b32_e32 v54, 0x8000
	s_mov_b32 s42, exec_lo
	v_cmpx_ne_u16_e32 0x80, v13
	s_cbranch_execz .LBB242_264
; %bb.259:                              ;   in Loop: Header=BB242_12 Depth=1
	v_and_b32_e32 v55, 0x7f, v12
	v_mov_b32_e32 v54, 0x7c01
	s_mov_b32 s43, exec_lo
	s_delay_alu instid0(VALU_DEP_2)
	v_cmpx_ne_u32_e32 0x7f, v55
	s_cbranch_execz .LBB242_263
; %bb.260:                              ;   in Loop: Header=BB242_12 Depth=1
	v_dual_lshrrev_b32 v54, 3, v55 :: v_dual_bitop2_b32 v13, 7, v12 bitop3:0x40
	s_mov_b32 s44, exec_lo
	v_cmpx_gt_u32_e32 8, v55
; %bb.261:                              ;   in Loop: Header=BB242_12 Depth=1
	s_delay_alu instid0(VALU_DEP_2) | instskip(NEXT) | instid1(VALU_DEP_1)
	v_clz_i32_u32_e32 v13, v13
	v_min_u32_e32 v13, 32, v13
	s_delay_alu instid0(VALU_DEP_1) | instskip(NEXT) | instid1(VALU_DEP_1)
	v_subrev_nc_u32_e32 v54, 28, v13
	v_lshlrev_b64_e32 v[56:57], v54, v[12:13]
	s_delay_alu instid0(VALU_DEP_1)
	v_dual_sub_nc_u32 v54, 29, v13 :: v_dual_bitop2_b32 v13, 7, v56 bitop3:0x40
; %bb.262:                              ;   in Loop: Header=BB242_12 Depth=1
	s_or_b32 exec_lo, exec_lo, s44
	s_delay_alu instid0(VALU_DEP_1) | instskip(NEXT) | instid1(VALU_DEP_2)
	v_dual_lshlrev_b32 v55, 8, v12 :: v_dual_lshlrev_b32 v13, 7, v13
	v_lshl_add_u32 v54, v54, 10, 0x2000
	s_delay_alu instid0(VALU_DEP_2) | instskip(NEXT) | instid1(VALU_DEP_2)
	v_and_b32_e32 v55, 0x8000, v55
	v_and_b32_e32 v54, 0xfc00, v54
	s_delay_alu instid0(VALU_DEP_1)
	v_or3_b32 v54, v55, v54, v13
.LBB242_263:                            ;   in Loop: Header=BB242_12 Depth=1
	s_or_b32 exec_lo, exec_lo, s43
.LBB242_264:                            ;   in Loop: Header=BB242_12 Depth=1
	s_delay_alu instid0(SALU_CYCLE_1)
	s_or_b32 exec_lo, exec_lo, s42
.LBB242_265:                            ;   in Loop: Header=BB242_12 Depth=1
	s_delay_alu instid0(SALU_CYCLE_1) | instskip(NEXT) | instid1(VALU_DEP_2)
	s_or_b32 exec_lo, exec_lo, s41
	v_lshrrev_b16 v12, 8, v12
	s_mov_b32 s41, exec_lo
	s_delay_alu instid0(VALU_DEP_1)
	v_cmpx_ne_u16_e32 0, v12
	s_cbranch_execz .LBB242_273
; %bb.266:                              ;   in Loop: Header=BB242_12 Depth=1
	v_bfrev_b32_e32 v53, 1
	s_mov_b32 s42, exec_lo
	v_cmpx_ne_u16_e32 0x80, v12
	s_cbranch_execz .LBB242_272
; %bb.267:                              ;   in Loop: Header=BB242_12 Depth=1
	v_and_b32_e32 v55, 0xffff, v12
	v_mov_b32_e32 v53, 0x7c010000
	s_mov_b32 s43, exec_lo
	s_delay_alu instid0(VALU_DEP_2) | instskip(NEXT) | instid1(VALU_DEP_1)
	v_and_b32_e32 v56, 0x7f, v55
	v_cmpx_ne_u32_e32 0x7f, v56
	s_cbranch_execz .LBB242_271
; %bb.268:                              ;   in Loop: Header=BB242_12 Depth=1
	v_dual_lshrrev_b32 v53, 3, v56 :: v_dual_bitop2_b32 v13, 7, v55 bitop3:0x40
	s_mov_b32 s44, exec_lo
	v_cmpx_gt_u32_e32 8, v56
	s_cbranch_execz .LBB242_270
; %bb.269:                              ;   in Loop: Header=BB242_12 Depth=1
	s_delay_alu instid0(VALU_DEP_2) | instskip(NEXT) | instid1(VALU_DEP_1)
	v_clz_i32_u32_e32 v13, v13
	v_min_u32_e32 v53, 32, v13
	v_mov_b32_e32 v13, v5
	s_delay_alu instid0(VALU_DEP_2) | instskip(SKIP_1) | instid1(VALU_DEP_2)
	v_subrev_nc_u32_e32 v56, 28, v53
	v_sub_nc_u32_e32 v53, 29, v53
	v_lshlrev_b64_e32 v[12:13], v56, v[12:13]
	s_delay_alu instid0(VALU_DEP_1)
	v_and_b32_e32 v13, 7, v12
.LBB242_270:                            ;   in Loop: Header=BB242_12 Depth=1
	s_or_b32 exec_lo, exec_lo, s44
	s_delay_alu instid0(VALU_DEP_1) | instskip(SKIP_1) | instid1(VALU_DEP_1)
	v_dual_lshlrev_b32 v12, 8, v55 :: v_dual_lshlrev_b32 v13, 23, v13
	v_lshl_add_u32 v53, v53, 10, 0x2000
	v_and_or_b32 v12, 0x8000, v12, v53
	s_delay_alu instid0(VALU_DEP_1)
	v_lshl_or_b32 v53, v12, 16, v13
.LBB242_271:                            ;   in Loop: Header=BB242_12 Depth=1
	s_or_b32 exec_lo, exec_lo, s43
.LBB242_272:                            ;   in Loop: Header=BB242_12 Depth=1
	s_delay_alu instid0(SALU_CYCLE_1)
	s_or_b32 exec_lo, exec_lo, s42
.LBB242_273:                            ;   in Loop: Header=BB242_12 Depth=1
	s_delay_alu instid0(SALU_CYCLE_1)
	s_or_b32 exec_lo, exec_lo, s41
	global_load_u16 v12, v[10:11], off offset:1024
	v_dual_mov_b32 v55, 0 :: v_dual_mov_b32 v56, 0
	s_mov_b32 s41, exec_lo
	s_wait_loadcnt 0x0
	v_and_b32_e32 v13, 0xff, v12
	v_and_b32_e32 v12, 0xffff, v12
	s_delay_alu instid0(VALU_DEP_2)
	v_cmpx_ne_u16_e32 0, v13
	s_cbranch_execz .LBB242_281
; %bb.274:                              ;   in Loop: Header=BB242_12 Depth=1
	s_delay_alu instid0(VALU_DEP_2) | instskip(SKIP_2) | instid1(VALU_DEP_2)
	v_and_b32_e32 v13, 0xff, v12
	v_mov_b32_e32 v56, 0x8000
	s_mov_b32 s42, exec_lo
	v_cmpx_ne_u16_e32 0x80, v13
	s_cbranch_execz .LBB242_280
; %bb.275:                              ;   in Loop: Header=BB242_12 Depth=1
	v_and_b32_e32 v57, 0x7f, v12
	v_mov_b32_e32 v56, 0x7c01
	s_mov_b32 s43, exec_lo
	s_delay_alu instid0(VALU_DEP_2)
	v_cmpx_ne_u32_e32 0x7f, v57
	s_cbranch_execz .LBB242_279
; %bb.276:                              ;   in Loop: Header=BB242_12 Depth=1
	v_dual_lshrrev_b32 v56, 3, v57 :: v_dual_bitop2_b32 v13, 7, v12 bitop3:0x40
	s_mov_b32 s44, exec_lo
	v_cmpx_gt_u32_e32 8, v57
; %bb.277:                              ;   in Loop: Header=BB242_12 Depth=1
	s_delay_alu instid0(VALU_DEP_2) | instskip(NEXT) | instid1(VALU_DEP_1)
	v_clz_i32_u32_e32 v13, v13
	v_min_u32_e32 v13, 32, v13
	s_delay_alu instid0(VALU_DEP_1) | instskip(NEXT) | instid1(VALU_DEP_1)
	v_subrev_nc_u32_e32 v56, 28, v13
	v_lshlrev_b64_e32 v[58:59], v56, v[12:13]
	s_delay_alu instid0(VALU_DEP_1)
	v_dual_sub_nc_u32 v56, 29, v13 :: v_dual_bitop2_b32 v13, 7, v58 bitop3:0x40
; %bb.278:                              ;   in Loop: Header=BB242_12 Depth=1
	s_or_b32 exec_lo, exec_lo, s44
	s_delay_alu instid0(VALU_DEP_1) | instskip(NEXT) | instid1(VALU_DEP_2)
	v_dual_lshlrev_b32 v57, 8, v12 :: v_dual_lshlrev_b32 v13, 7, v13
	v_lshl_add_u32 v56, v56, 10, 0x2000
	s_delay_alu instid0(VALU_DEP_2) | instskip(NEXT) | instid1(VALU_DEP_2)
	v_and_b32_e32 v57, 0x8000, v57
	v_and_b32_e32 v56, 0xfc00, v56
	s_delay_alu instid0(VALU_DEP_1)
	v_or3_b32 v56, v57, v56, v13
.LBB242_279:                            ;   in Loop: Header=BB242_12 Depth=1
	s_or_b32 exec_lo, exec_lo, s43
.LBB242_280:                            ;   in Loop: Header=BB242_12 Depth=1
	s_delay_alu instid0(SALU_CYCLE_1)
	s_or_b32 exec_lo, exec_lo, s42
.LBB242_281:                            ;   in Loop: Header=BB242_12 Depth=1
	s_delay_alu instid0(SALU_CYCLE_1) | instskip(NEXT) | instid1(VALU_DEP_2)
	s_or_b32 exec_lo, exec_lo, s41
	v_lshrrev_b16 v12, 8, v12
	s_mov_b32 s41, exec_lo
	s_delay_alu instid0(VALU_DEP_1)
	v_cmpx_ne_u16_e32 0, v12
	s_cbranch_execz .LBB242_289
; %bb.282:                              ;   in Loop: Header=BB242_12 Depth=1
	v_bfrev_b32_e32 v55, 1
	s_mov_b32 s42, exec_lo
	v_cmpx_ne_u16_e32 0x80, v12
	s_cbranch_execz .LBB242_288
; %bb.283:                              ;   in Loop: Header=BB242_12 Depth=1
	v_and_b32_e32 v57, 0xffff, v12
	v_mov_b32_e32 v55, 0x7c010000
	s_mov_b32 s43, exec_lo
	s_delay_alu instid0(VALU_DEP_2) | instskip(NEXT) | instid1(VALU_DEP_1)
	v_and_b32_e32 v58, 0x7f, v57
	v_cmpx_ne_u32_e32 0x7f, v58
	s_cbranch_execz .LBB242_287
; %bb.284:                              ;   in Loop: Header=BB242_12 Depth=1
	v_dual_lshrrev_b32 v55, 3, v58 :: v_dual_bitop2_b32 v13, 7, v57 bitop3:0x40
	s_mov_b32 s44, exec_lo
	v_cmpx_gt_u32_e32 8, v58
	s_cbranch_execz .LBB242_286
; %bb.285:                              ;   in Loop: Header=BB242_12 Depth=1
	s_delay_alu instid0(VALU_DEP_2) | instskip(NEXT) | instid1(VALU_DEP_1)
	v_clz_i32_u32_e32 v13, v13
	v_min_u32_e32 v55, 32, v13
	v_mov_b32_e32 v13, v5
	s_delay_alu instid0(VALU_DEP_2) | instskip(SKIP_1) | instid1(VALU_DEP_2)
	v_subrev_nc_u32_e32 v58, 28, v55
	v_sub_nc_u32_e32 v55, 29, v55
	v_lshlrev_b64_e32 v[12:13], v58, v[12:13]
	s_delay_alu instid0(VALU_DEP_1)
	v_and_b32_e32 v13, 7, v12
.LBB242_286:                            ;   in Loop: Header=BB242_12 Depth=1
	s_or_b32 exec_lo, exec_lo, s44
	v_lshlrev_b32_e32 v12, 8, v57
	v_lshl_add_u32 v55, v55, 10, 0x2000
	s_delay_alu instid0(VALU_DEP_3) | instskip(NEXT) | instid1(VALU_DEP_2)
	v_lshlrev_b32_e32 v13, 23, v13
	v_and_or_b32 v12, 0x8000, v12, v55
	s_delay_alu instid0(VALU_DEP_1)
	v_lshl_or_b32 v55, v12, 16, v13
.LBB242_287:                            ;   in Loop: Header=BB242_12 Depth=1
	s_or_b32 exec_lo, exec_lo, s43
.LBB242_288:                            ;   in Loop: Header=BB242_12 Depth=1
	s_delay_alu instid0(SALU_CYCLE_1)
	s_or_b32 exec_lo, exec_lo, s42
.LBB242_289:                            ;   in Loop: Header=BB242_12 Depth=1
	s_delay_alu instid0(SALU_CYCLE_1)
	s_or_b32 exec_lo, exec_lo, s41
	global_load_u16 v12, v[10:11], off offset:1032
	v_dual_mov_b32 v57, 0 :: v_dual_mov_b32 v58, 0
	s_mov_b32 s41, exec_lo
	s_wait_loadcnt 0x0
	v_and_b32_e32 v13, 0xff, v12
	v_and_b32_e32 v12, 0xffff, v12
	s_delay_alu instid0(VALU_DEP_2)
	v_cmpx_ne_u16_e32 0, v13
	s_cbranch_execz .LBB242_297
; %bb.290:                              ;   in Loop: Header=BB242_12 Depth=1
	s_delay_alu instid0(VALU_DEP_2) | instskip(SKIP_2) | instid1(VALU_DEP_2)
	v_and_b32_e32 v13, 0xff, v12
	v_mov_b32_e32 v58, 0x8000
	s_mov_b32 s42, exec_lo
	v_cmpx_ne_u16_e32 0x80, v13
	s_cbranch_execz .LBB242_296
; %bb.291:                              ;   in Loop: Header=BB242_12 Depth=1
	v_and_b32_e32 v59, 0x7f, v12
	v_mov_b32_e32 v58, 0x7c01
	s_mov_b32 s43, exec_lo
	s_delay_alu instid0(VALU_DEP_2)
	v_cmpx_ne_u32_e32 0x7f, v59
	s_cbranch_execz .LBB242_295
; %bb.292:                              ;   in Loop: Header=BB242_12 Depth=1
	v_dual_lshrrev_b32 v58, 3, v59 :: v_dual_bitop2_b32 v13, 7, v12 bitop3:0x40
	s_mov_b32 s44, exec_lo
	v_cmpx_gt_u32_e32 8, v59
; %bb.293:                              ;   in Loop: Header=BB242_12 Depth=1
	s_delay_alu instid0(VALU_DEP_2) | instskip(NEXT) | instid1(VALU_DEP_1)
	v_clz_i32_u32_e32 v13, v13
	v_min_u32_e32 v13, 32, v13
	s_delay_alu instid0(VALU_DEP_1) | instskip(NEXT) | instid1(VALU_DEP_1)
	v_subrev_nc_u32_e32 v58, 28, v13
	v_lshlrev_b64_e32 v[60:61], v58, v[12:13]
	s_delay_alu instid0(VALU_DEP_1)
	v_dual_sub_nc_u32 v58, 29, v13 :: v_dual_bitop2_b32 v13, 7, v60 bitop3:0x40
; %bb.294:                              ;   in Loop: Header=BB242_12 Depth=1
	s_or_b32 exec_lo, exec_lo, s44
	s_delay_alu instid0(VALU_DEP_1) | instskip(NEXT) | instid1(VALU_DEP_2)
	v_dual_lshlrev_b32 v59, 8, v12 :: v_dual_lshlrev_b32 v13, 7, v13
	v_lshl_add_u32 v58, v58, 10, 0x2000
	s_delay_alu instid0(VALU_DEP_2) | instskip(NEXT) | instid1(VALU_DEP_2)
	v_and_b32_e32 v59, 0x8000, v59
	v_and_b32_e32 v58, 0xfc00, v58
	s_delay_alu instid0(VALU_DEP_1)
	v_or3_b32 v58, v59, v58, v13
.LBB242_295:                            ;   in Loop: Header=BB242_12 Depth=1
	s_or_b32 exec_lo, exec_lo, s43
.LBB242_296:                            ;   in Loop: Header=BB242_12 Depth=1
	s_delay_alu instid0(SALU_CYCLE_1)
	s_or_b32 exec_lo, exec_lo, s42
.LBB242_297:                            ;   in Loop: Header=BB242_12 Depth=1
	s_delay_alu instid0(SALU_CYCLE_1) | instskip(NEXT) | instid1(VALU_DEP_2)
	s_or_b32 exec_lo, exec_lo, s41
	v_lshrrev_b16 v12, 8, v12
	s_mov_b32 s41, exec_lo
	s_delay_alu instid0(VALU_DEP_1)
	v_cmpx_ne_u16_e32 0, v12
	s_cbranch_execz .LBB242_305
; %bb.298:                              ;   in Loop: Header=BB242_12 Depth=1
	v_bfrev_b32_e32 v57, 1
	s_mov_b32 s42, exec_lo
	v_cmpx_ne_u16_e32 0x80, v12
	s_cbranch_execz .LBB242_304
; %bb.299:                              ;   in Loop: Header=BB242_12 Depth=1
	v_and_b32_e32 v59, 0xffff, v12
	v_mov_b32_e32 v57, 0x7c010000
	s_mov_b32 s43, exec_lo
	s_delay_alu instid0(VALU_DEP_2) | instskip(NEXT) | instid1(VALU_DEP_1)
	v_and_b32_e32 v60, 0x7f, v59
	v_cmpx_ne_u32_e32 0x7f, v60
	s_cbranch_execz .LBB242_303
; %bb.300:                              ;   in Loop: Header=BB242_12 Depth=1
	v_dual_lshrrev_b32 v57, 3, v60 :: v_dual_bitop2_b32 v13, 7, v59 bitop3:0x40
	s_mov_b32 s44, exec_lo
	v_cmpx_gt_u32_e32 8, v60
	s_cbranch_execz .LBB242_302
; %bb.301:                              ;   in Loop: Header=BB242_12 Depth=1
	s_delay_alu instid0(VALU_DEP_2) | instskip(NEXT) | instid1(VALU_DEP_1)
	v_clz_i32_u32_e32 v13, v13
	v_min_u32_e32 v57, 32, v13
	v_mov_b32_e32 v13, v5
	s_delay_alu instid0(VALU_DEP_2) | instskip(SKIP_1) | instid1(VALU_DEP_2)
	v_subrev_nc_u32_e32 v60, 28, v57
	v_sub_nc_u32_e32 v57, 29, v57
	v_lshlrev_b64_e32 v[12:13], v60, v[12:13]
	s_delay_alu instid0(VALU_DEP_1)
	v_and_b32_e32 v13, 7, v12
.LBB242_302:                            ;   in Loop: Header=BB242_12 Depth=1
	s_or_b32 exec_lo, exec_lo, s44
	s_delay_alu instid0(VALU_DEP_1) | instskip(SKIP_1) | instid1(VALU_DEP_1)
	v_dual_lshlrev_b32 v12, 8, v59 :: v_dual_lshlrev_b32 v13, 23, v13
	v_lshl_add_u32 v57, v57, 10, 0x2000
	v_and_or_b32 v12, 0x8000, v12, v57
	s_delay_alu instid0(VALU_DEP_1)
	v_lshl_or_b32 v57, v12, 16, v13
.LBB242_303:                            ;   in Loop: Header=BB242_12 Depth=1
	s_or_b32 exec_lo, exec_lo, s43
.LBB242_304:                            ;   in Loop: Header=BB242_12 Depth=1
	s_delay_alu instid0(SALU_CYCLE_1)
	s_or_b32 exec_lo, exec_lo, s42
.LBB242_305:                            ;   in Loop: Header=BB242_12 Depth=1
	s_delay_alu instid0(SALU_CYCLE_1)
	s_or_b32 exec_lo, exec_lo, s41
	global_load_u16 v12, v[10:11], off offset:1152
	v_dual_mov_b32 v59, 0 :: v_dual_mov_b32 v60, 0
	s_mov_b32 s41, exec_lo
	s_wait_loadcnt 0x0
	v_and_b32_e32 v13, 0xff, v12
	v_and_b32_e32 v12, 0xffff, v12
	s_delay_alu instid0(VALU_DEP_2)
	v_cmpx_ne_u16_e32 0, v13
	s_cbranch_execz .LBB242_313
; %bb.306:                              ;   in Loop: Header=BB242_12 Depth=1
	s_delay_alu instid0(VALU_DEP_2) | instskip(SKIP_2) | instid1(VALU_DEP_2)
	v_and_b32_e32 v13, 0xff, v12
	v_mov_b32_e32 v60, 0x8000
	s_mov_b32 s42, exec_lo
	v_cmpx_ne_u16_e32 0x80, v13
	s_cbranch_execz .LBB242_312
; %bb.307:                              ;   in Loop: Header=BB242_12 Depth=1
	v_and_b32_e32 v61, 0x7f, v12
	v_mov_b32_e32 v60, 0x7c01
	s_mov_b32 s43, exec_lo
	s_delay_alu instid0(VALU_DEP_2)
	v_cmpx_ne_u32_e32 0x7f, v61
	s_cbranch_execz .LBB242_311
; %bb.308:                              ;   in Loop: Header=BB242_12 Depth=1
	v_dual_lshrrev_b32 v60, 3, v61 :: v_dual_bitop2_b32 v13, 7, v12 bitop3:0x40
	s_mov_b32 s44, exec_lo
	v_cmpx_gt_u32_e32 8, v61
; %bb.309:                              ;   in Loop: Header=BB242_12 Depth=1
	s_delay_alu instid0(VALU_DEP_2) | instskip(NEXT) | instid1(VALU_DEP_1)
	v_clz_i32_u32_e32 v13, v13
	v_min_u32_e32 v13, 32, v13
	s_delay_alu instid0(VALU_DEP_1) | instskip(NEXT) | instid1(VALU_DEP_1)
	v_subrev_nc_u32_e32 v60, 28, v13
	v_lshlrev_b64_e32 v[62:63], v60, v[12:13]
	s_delay_alu instid0(VALU_DEP_1)
	v_dual_sub_nc_u32 v60, 29, v13 :: v_dual_bitop2_b32 v13, 7, v62 bitop3:0x40
; %bb.310:                              ;   in Loop: Header=BB242_12 Depth=1
	s_or_b32 exec_lo, exec_lo, s44
	s_delay_alu instid0(VALU_DEP_1) | instskip(NEXT) | instid1(VALU_DEP_2)
	v_dual_lshlrev_b32 v61, 8, v12 :: v_dual_lshlrev_b32 v13, 7, v13
	v_lshl_add_u32 v60, v60, 10, 0x2000
	s_delay_alu instid0(VALU_DEP_2) | instskip(NEXT) | instid1(VALU_DEP_2)
	v_and_b32_e32 v61, 0x8000, v61
	v_and_b32_e32 v60, 0xfc00, v60
	s_delay_alu instid0(VALU_DEP_1)
	v_or3_b32 v60, v61, v60, v13
.LBB242_311:                            ;   in Loop: Header=BB242_12 Depth=1
	s_or_b32 exec_lo, exec_lo, s43
.LBB242_312:                            ;   in Loop: Header=BB242_12 Depth=1
	s_delay_alu instid0(SALU_CYCLE_1)
	s_or_b32 exec_lo, exec_lo, s42
.LBB242_313:                            ;   in Loop: Header=BB242_12 Depth=1
	s_delay_alu instid0(SALU_CYCLE_1) | instskip(NEXT) | instid1(VALU_DEP_2)
	s_or_b32 exec_lo, exec_lo, s41
	v_lshrrev_b16 v12, 8, v12
	s_mov_b32 s41, exec_lo
	s_delay_alu instid0(VALU_DEP_1)
	v_cmpx_ne_u16_e32 0, v12
	s_cbranch_execz .LBB242_321
; %bb.314:                              ;   in Loop: Header=BB242_12 Depth=1
	v_bfrev_b32_e32 v59, 1
	s_mov_b32 s42, exec_lo
	v_cmpx_ne_u16_e32 0x80, v12
	s_cbranch_execz .LBB242_320
; %bb.315:                              ;   in Loop: Header=BB242_12 Depth=1
	v_and_b32_e32 v61, 0xffff, v12
	v_mov_b32_e32 v59, 0x7c010000
	s_mov_b32 s43, exec_lo
	s_delay_alu instid0(VALU_DEP_2) | instskip(NEXT) | instid1(VALU_DEP_1)
	v_and_b32_e32 v62, 0x7f, v61
	v_cmpx_ne_u32_e32 0x7f, v62
	s_cbranch_execz .LBB242_319
; %bb.316:                              ;   in Loop: Header=BB242_12 Depth=1
	v_dual_lshrrev_b32 v59, 3, v62 :: v_dual_bitop2_b32 v13, 7, v61 bitop3:0x40
	s_mov_b32 s44, exec_lo
	v_cmpx_gt_u32_e32 8, v62
	s_cbranch_execz .LBB242_318
; %bb.317:                              ;   in Loop: Header=BB242_12 Depth=1
	s_delay_alu instid0(VALU_DEP_2) | instskip(NEXT) | instid1(VALU_DEP_1)
	v_clz_i32_u32_e32 v13, v13
	v_min_u32_e32 v59, 32, v13
	v_mov_b32_e32 v13, v5
	s_delay_alu instid0(VALU_DEP_2) | instskip(SKIP_1) | instid1(VALU_DEP_2)
	v_subrev_nc_u32_e32 v62, 28, v59
	v_sub_nc_u32_e32 v59, 29, v59
	v_lshlrev_b64_e32 v[12:13], v62, v[12:13]
	s_delay_alu instid0(VALU_DEP_1)
	v_and_b32_e32 v13, 7, v12
.LBB242_318:                            ;   in Loop: Header=BB242_12 Depth=1
	s_or_b32 exec_lo, exec_lo, s44
	v_lshlrev_b32_e32 v12, 8, v61
	v_lshl_add_u32 v59, v59, 10, 0x2000
	s_delay_alu instid0(VALU_DEP_3) | instskip(NEXT) | instid1(VALU_DEP_2)
	v_lshlrev_b32_e32 v13, 23, v13
	v_and_or_b32 v12, 0x8000, v12, v59
	s_delay_alu instid0(VALU_DEP_1)
	v_lshl_or_b32 v59, v12, 16, v13
.LBB242_319:                            ;   in Loop: Header=BB242_12 Depth=1
	s_or_b32 exec_lo, exec_lo, s43
.LBB242_320:                            ;   in Loop: Header=BB242_12 Depth=1
	s_delay_alu instid0(SALU_CYCLE_1)
	s_or_b32 exec_lo, exec_lo, s42
.LBB242_321:                            ;   in Loop: Header=BB242_12 Depth=1
	s_delay_alu instid0(SALU_CYCLE_1)
	s_or_b32 exec_lo, exec_lo, s41
	global_load_u16 v12, v[10:11], off offset:1160
	v_dual_mov_b32 v61, 0 :: v_dual_mov_b32 v62, 0
	s_mov_b32 s41, exec_lo
	s_wait_loadcnt 0x0
	v_and_b32_e32 v13, 0xff, v12
	v_and_b32_e32 v12, 0xffff, v12
	s_delay_alu instid0(VALU_DEP_2)
	v_cmpx_ne_u16_e32 0, v13
	s_cbranch_execz .LBB242_329
; %bb.322:                              ;   in Loop: Header=BB242_12 Depth=1
	s_delay_alu instid0(VALU_DEP_2) | instskip(SKIP_2) | instid1(VALU_DEP_2)
	v_and_b32_e32 v13, 0xff, v12
	v_mov_b32_e32 v62, 0x8000
	s_mov_b32 s42, exec_lo
	v_cmpx_ne_u16_e32 0x80, v13
	s_cbranch_execz .LBB242_328
; %bb.323:                              ;   in Loop: Header=BB242_12 Depth=1
	v_and_b32_e32 v63, 0x7f, v12
	v_mov_b32_e32 v62, 0x7c01
	s_mov_b32 s43, exec_lo
	s_delay_alu instid0(VALU_DEP_2)
	v_cmpx_ne_u32_e32 0x7f, v63
	s_cbranch_execz .LBB242_327
; %bb.324:                              ;   in Loop: Header=BB242_12 Depth=1
	v_dual_lshrrev_b32 v62, 3, v63 :: v_dual_bitop2_b32 v13, 7, v12 bitop3:0x40
	s_mov_b32 s44, exec_lo
	v_cmpx_gt_u32_e32 8, v63
; %bb.325:                              ;   in Loop: Header=BB242_12 Depth=1
	s_delay_alu instid0(VALU_DEP_2) | instskip(NEXT) | instid1(VALU_DEP_1)
	v_clz_i32_u32_e32 v13, v13
	v_min_u32_e32 v13, 32, v13
	s_delay_alu instid0(VALU_DEP_1) | instskip(NEXT) | instid1(VALU_DEP_1)
	v_subrev_nc_u32_e32 v62, 28, v13
	v_lshlrev_b64_e32 v[64:65], v62, v[12:13]
	s_delay_alu instid0(VALU_DEP_1)
	v_dual_sub_nc_u32 v62, 29, v13 :: v_dual_bitop2_b32 v13, 7, v64 bitop3:0x40
; %bb.326:                              ;   in Loop: Header=BB242_12 Depth=1
	s_or_b32 exec_lo, exec_lo, s44
	s_delay_alu instid0(VALU_DEP_1) | instskip(NEXT) | instid1(VALU_DEP_2)
	v_dual_lshlrev_b32 v63, 8, v12 :: v_dual_lshlrev_b32 v13, 7, v13
	v_lshl_add_u32 v62, v62, 10, 0x2000
	s_delay_alu instid0(VALU_DEP_2) | instskip(NEXT) | instid1(VALU_DEP_2)
	v_and_b32_e32 v63, 0x8000, v63
	v_and_b32_e32 v62, 0xfc00, v62
	s_delay_alu instid0(VALU_DEP_1)
	v_or3_b32 v62, v63, v62, v13
.LBB242_327:                            ;   in Loop: Header=BB242_12 Depth=1
	s_or_b32 exec_lo, exec_lo, s43
.LBB242_328:                            ;   in Loop: Header=BB242_12 Depth=1
	s_delay_alu instid0(SALU_CYCLE_1)
	s_or_b32 exec_lo, exec_lo, s42
.LBB242_329:                            ;   in Loop: Header=BB242_12 Depth=1
	s_delay_alu instid0(SALU_CYCLE_1) | instskip(NEXT) | instid1(VALU_DEP_2)
	s_or_b32 exec_lo, exec_lo, s41
	v_lshrrev_b16 v12, 8, v12
	s_mov_b32 s41, exec_lo
	s_delay_alu instid0(VALU_DEP_1)
	v_cmpx_ne_u16_e32 0, v12
	s_cbranch_execz .LBB242_337
; %bb.330:                              ;   in Loop: Header=BB242_12 Depth=1
	v_bfrev_b32_e32 v61, 1
	s_mov_b32 s42, exec_lo
	v_cmpx_ne_u16_e32 0x80, v12
	s_cbranch_execz .LBB242_336
; %bb.331:                              ;   in Loop: Header=BB242_12 Depth=1
	v_and_b32_e32 v63, 0xffff, v12
	v_mov_b32_e32 v61, 0x7c010000
	s_mov_b32 s43, exec_lo
	s_delay_alu instid0(VALU_DEP_2) | instskip(NEXT) | instid1(VALU_DEP_1)
	v_and_b32_e32 v64, 0x7f, v63
	v_cmpx_ne_u32_e32 0x7f, v64
	s_cbranch_execz .LBB242_335
; %bb.332:                              ;   in Loop: Header=BB242_12 Depth=1
	v_dual_lshrrev_b32 v61, 3, v64 :: v_dual_bitop2_b32 v13, 7, v63 bitop3:0x40
	s_mov_b32 s44, exec_lo
	v_cmpx_gt_u32_e32 8, v64
	s_cbranch_execz .LBB242_334
; %bb.333:                              ;   in Loop: Header=BB242_12 Depth=1
	s_delay_alu instid0(VALU_DEP_2) | instskip(NEXT) | instid1(VALU_DEP_1)
	v_clz_i32_u32_e32 v13, v13
	v_min_u32_e32 v61, 32, v13
	v_mov_b32_e32 v13, v5
	s_delay_alu instid0(VALU_DEP_2) | instskip(SKIP_1) | instid1(VALU_DEP_2)
	v_subrev_nc_u32_e32 v64, 28, v61
	v_sub_nc_u32_e32 v61, 29, v61
	v_lshlrev_b64_e32 v[12:13], v64, v[12:13]
	s_delay_alu instid0(VALU_DEP_1)
	v_and_b32_e32 v13, 7, v12
.LBB242_334:                            ;   in Loop: Header=BB242_12 Depth=1
	s_or_b32 exec_lo, exec_lo, s44
	s_delay_alu instid0(VALU_DEP_1) | instskip(SKIP_1) | instid1(VALU_DEP_1)
	v_dual_lshlrev_b32 v12, 8, v63 :: v_dual_lshlrev_b32 v13, 23, v13
	v_lshl_add_u32 v61, v61, 10, 0x2000
	v_and_or_b32 v12, 0x8000, v12, v61
	s_delay_alu instid0(VALU_DEP_1)
	v_lshl_or_b32 v61, v12, 16, v13
.LBB242_335:                            ;   in Loop: Header=BB242_12 Depth=1
	s_or_b32 exec_lo, exec_lo, s43
.LBB242_336:                            ;   in Loop: Header=BB242_12 Depth=1
	s_delay_alu instid0(SALU_CYCLE_1)
	s_or_b32 exec_lo, exec_lo, s42
.LBB242_337:                            ;   in Loop: Header=BB242_12 Depth=1
	s_delay_alu instid0(SALU_CYCLE_1)
	s_or_b32 exec_lo, exec_lo, s41
	global_load_u16 v12, v[10:11], off offset:1280
	v_dual_mov_b32 v63, 0 :: v_dual_mov_b32 v64, 0
	s_mov_b32 s41, exec_lo
	s_wait_loadcnt 0x0
	v_and_b32_e32 v13, 0xff, v12
	v_and_b32_e32 v12, 0xffff, v12
	s_delay_alu instid0(VALU_DEP_2)
	v_cmpx_ne_u16_e32 0, v13
	s_cbranch_execz .LBB242_345
; %bb.338:                              ;   in Loop: Header=BB242_12 Depth=1
	s_delay_alu instid0(VALU_DEP_2) | instskip(SKIP_2) | instid1(VALU_DEP_2)
	v_and_b32_e32 v13, 0xff, v12
	v_mov_b32_e32 v64, 0x8000
	s_mov_b32 s42, exec_lo
	v_cmpx_ne_u16_e32 0x80, v13
	s_cbranch_execz .LBB242_344
; %bb.339:                              ;   in Loop: Header=BB242_12 Depth=1
	v_and_b32_e32 v65, 0x7f, v12
	v_mov_b32_e32 v64, 0x7c01
	s_mov_b32 s43, exec_lo
	s_delay_alu instid0(VALU_DEP_2)
	v_cmpx_ne_u32_e32 0x7f, v65
	s_cbranch_execz .LBB242_343
; %bb.340:                              ;   in Loop: Header=BB242_12 Depth=1
	v_dual_lshrrev_b32 v64, 3, v65 :: v_dual_bitop2_b32 v13, 7, v12 bitop3:0x40
	s_mov_b32 s44, exec_lo
	v_cmpx_gt_u32_e32 8, v65
; %bb.341:                              ;   in Loop: Header=BB242_12 Depth=1
	s_delay_alu instid0(VALU_DEP_2) | instskip(NEXT) | instid1(VALU_DEP_1)
	v_clz_i32_u32_e32 v13, v13
	v_min_u32_e32 v13, 32, v13
	s_delay_alu instid0(VALU_DEP_1) | instskip(NEXT) | instid1(VALU_DEP_1)
	v_subrev_nc_u32_e32 v64, 28, v13
	v_lshlrev_b64_e32 v[66:67], v64, v[12:13]
	s_delay_alu instid0(VALU_DEP_1)
	v_dual_sub_nc_u32 v64, 29, v13 :: v_dual_bitop2_b32 v13, 7, v66 bitop3:0x40
; %bb.342:                              ;   in Loop: Header=BB242_12 Depth=1
	s_or_b32 exec_lo, exec_lo, s44
	s_delay_alu instid0(VALU_DEP_1) | instskip(NEXT) | instid1(VALU_DEP_2)
	v_dual_lshlrev_b32 v65, 8, v12 :: v_dual_lshlrev_b32 v13, 7, v13
	v_lshl_add_u32 v64, v64, 10, 0x2000
	s_delay_alu instid0(VALU_DEP_2) | instskip(NEXT) | instid1(VALU_DEP_2)
	v_and_b32_e32 v65, 0x8000, v65
	v_and_b32_e32 v64, 0xfc00, v64
	s_delay_alu instid0(VALU_DEP_1)
	v_or3_b32 v64, v65, v64, v13
.LBB242_343:                            ;   in Loop: Header=BB242_12 Depth=1
	s_or_b32 exec_lo, exec_lo, s43
.LBB242_344:                            ;   in Loop: Header=BB242_12 Depth=1
	s_delay_alu instid0(SALU_CYCLE_1)
	s_or_b32 exec_lo, exec_lo, s42
.LBB242_345:                            ;   in Loop: Header=BB242_12 Depth=1
	s_delay_alu instid0(SALU_CYCLE_1) | instskip(NEXT) | instid1(VALU_DEP_2)
	s_or_b32 exec_lo, exec_lo, s41
	v_lshrrev_b16 v12, 8, v12
	s_mov_b32 s41, exec_lo
	s_delay_alu instid0(VALU_DEP_1)
	v_cmpx_ne_u16_e32 0, v12
	s_cbranch_execz .LBB242_353
; %bb.346:                              ;   in Loop: Header=BB242_12 Depth=1
	v_bfrev_b32_e32 v63, 1
	s_mov_b32 s42, exec_lo
	v_cmpx_ne_u16_e32 0x80, v12
	s_cbranch_execz .LBB242_352
; %bb.347:                              ;   in Loop: Header=BB242_12 Depth=1
	v_and_b32_e32 v65, 0xffff, v12
	v_mov_b32_e32 v63, 0x7c010000
	s_mov_b32 s43, exec_lo
	s_delay_alu instid0(VALU_DEP_2) | instskip(NEXT) | instid1(VALU_DEP_1)
	v_and_b32_e32 v66, 0x7f, v65
	v_cmpx_ne_u32_e32 0x7f, v66
	s_cbranch_execz .LBB242_351
; %bb.348:                              ;   in Loop: Header=BB242_12 Depth=1
	v_dual_lshrrev_b32 v63, 3, v66 :: v_dual_bitop2_b32 v13, 7, v65 bitop3:0x40
	s_mov_b32 s44, exec_lo
	v_cmpx_gt_u32_e32 8, v66
	s_cbranch_execz .LBB242_350
; %bb.349:                              ;   in Loop: Header=BB242_12 Depth=1
	s_delay_alu instid0(VALU_DEP_2) | instskip(NEXT) | instid1(VALU_DEP_1)
	v_clz_i32_u32_e32 v13, v13
	v_min_u32_e32 v63, 32, v13
	v_mov_b32_e32 v13, v5
	s_delay_alu instid0(VALU_DEP_2) | instskip(SKIP_1) | instid1(VALU_DEP_2)
	v_subrev_nc_u32_e32 v66, 28, v63
	v_sub_nc_u32_e32 v63, 29, v63
	v_lshlrev_b64_e32 v[12:13], v66, v[12:13]
	s_delay_alu instid0(VALU_DEP_1)
	v_and_b32_e32 v13, 7, v12
.LBB242_350:                            ;   in Loop: Header=BB242_12 Depth=1
	s_or_b32 exec_lo, exec_lo, s44
	v_lshlrev_b32_e32 v12, 8, v65
	v_lshl_add_u32 v63, v63, 10, 0x2000
	s_delay_alu instid0(VALU_DEP_3) | instskip(NEXT) | instid1(VALU_DEP_2)
	v_lshlrev_b32_e32 v13, 23, v13
	v_and_or_b32 v12, 0x8000, v12, v63
	s_delay_alu instid0(VALU_DEP_1)
	v_lshl_or_b32 v63, v12, 16, v13
.LBB242_351:                            ;   in Loop: Header=BB242_12 Depth=1
	s_or_b32 exec_lo, exec_lo, s43
.LBB242_352:                            ;   in Loop: Header=BB242_12 Depth=1
	s_delay_alu instid0(SALU_CYCLE_1)
	s_or_b32 exec_lo, exec_lo, s42
.LBB242_353:                            ;   in Loop: Header=BB242_12 Depth=1
	s_delay_alu instid0(SALU_CYCLE_1)
	s_or_b32 exec_lo, exec_lo, s41
	global_load_u16 v12, v[10:11], off offset:1288
	v_dual_mov_b32 v65, 0 :: v_dual_mov_b32 v66, 0
	s_mov_b32 s41, exec_lo
	s_wait_loadcnt 0x0
	v_and_b32_e32 v13, 0xff, v12
	v_and_b32_e32 v12, 0xffff, v12
	s_delay_alu instid0(VALU_DEP_2)
	v_cmpx_ne_u16_e32 0, v13
	s_cbranch_execz .LBB242_361
; %bb.354:                              ;   in Loop: Header=BB242_12 Depth=1
	s_delay_alu instid0(VALU_DEP_2) | instskip(SKIP_2) | instid1(VALU_DEP_2)
	v_and_b32_e32 v13, 0xff, v12
	v_mov_b32_e32 v66, 0x8000
	s_mov_b32 s42, exec_lo
	v_cmpx_ne_u16_e32 0x80, v13
	s_cbranch_execz .LBB242_360
; %bb.355:                              ;   in Loop: Header=BB242_12 Depth=1
	v_and_b32_e32 v67, 0x7f, v12
	v_mov_b32_e32 v66, 0x7c01
	s_mov_b32 s43, exec_lo
	s_delay_alu instid0(VALU_DEP_2)
	v_cmpx_ne_u32_e32 0x7f, v67
	s_cbranch_execz .LBB242_359
; %bb.356:                              ;   in Loop: Header=BB242_12 Depth=1
	v_dual_lshrrev_b32 v66, 3, v67 :: v_dual_bitop2_b32 v13, 7, v12 bitop3:0x40
	s_mov_b32 s44, exec_lo
	v_cmpx_gt_u32_e32 8, v67
; %bb.357:                              ;   in Loop: Header=BB242_12 Depth=1
	s_delay_alu instid0(VALU_DEP_2) | instskip(NEXT) | instid1(VALU_DEP_1)
	v_clz_i32_u32_e32 v13, v13
	v_min_u32_e32 v13, 32, v13
	s_delay_alu instid0(VALU_DEP_1) | instskip(NEXT) | instid1(VALU_DEP_1)
	v_subrev_nc_u32_e32 v66, 28, v13
	v_lshlrev_b64_e32 v[68:69], v66, v[12:13]
	s_delay_alu instid0(VALU_DEP_1)
	v_dual_sub_nc_u32 v66, 29, v13 :: v_dual_bitop2_b32 v13, 7, v68 bitop3:0x40
; %bb.358:                              ;   in Loop: Header=BB242_12 Depth=1
	s_or_b32 exec_lo, exec_lo, s44
	s_delay_alu instid0(VALU_DEP_1) | instskip(NEXT) | instid1(VALU_DEP_2)
	v_dual_lshlrev_b32 v67, 8, v12 :: v_dual_lshlrev_b32 v13, 7, v13
	v_lshl_add_u32 v66, v66, 10, 0x2000
	s_delay_alu instid0(VALU_DEP_2) | instskip(NEXT) | instid1(VALU_DEP_2)
	v_and_b32_e32 v67, 0x8000, v67
	v_and_b32_e32 v66, 0xfc00, v66
	s_delay_alu instid0(VALU_DEP_1)
	v_or3_b32 v66, v67, v66, v13
.LBB242_359:                            ;   in Loop: Header=BB242_12 Depth=1
	s_or_b32 exec_lo, exec_lo, s43
.LBB242_360:                            ;   in Loop: Header=BB242_12 Depth=1
	s_delay_alu instid0(SALU_CYCLE_1)
	s_or_b32 exec_lo, exec_lo, s42
.LBB242_361:                            ;   in Loop: Header=BB242_12 Depth=1
	s_delay_alu instid0(SALU_CYCLE_1) | instskip(NEXT) | instid1(VALU_DEP_2)
	s_or_b32 exec_lo, exec_lo, s41
	v_lshrrev_b16 v12, 8, v12
	s_mov_b32 s41, exec_lo
	s_delay_alu instid0(VALU_DEP_1)
	v_cmpx_ne_u16_e32 0, v12
	s_cbranch_execz .LBB242_369
; %bb.362:                              ;   in Loop: Header=BB242_12 Depth=1
	v_bfrev_b32_e32 v65, 1
	s_mov_b32 s42, exec_lo
	v_cmpx_ne_u16_e32 0x80, v12
	s_cbranch_execz .LBB242_368
; %bb.363:                              ;   in Loop: Header=BB242_12 Depth=1
	v_and_b32_e32 v67, 0xffff, v12
	v_mov_b32_e32 v65, 0x7c010000
	s_mov_b32 s43, exec_lo
	s_delay_alu instid0(VALU_DEP_2) | instskip(NEXT) | instid1(VALU_DEP_1)
	v_and_b32_e32 v68, 0x7f, v67
	v_cmpx_ne_u32_e32 0x7f, v68
	s_cbranch_execz .LBB242_367
; %bb.364:                              ;   in Loop: Header=BB242_12 Depth=1
	v_dual_lshrrev_b32 v65, 3, v68 :: v_dual_bitop2_b32 v13, 7, v67 bitop3:0x40
	s_mov_b32 s44, exec_lo
	v_cmpx_gt_u32_e32 8, v68
	s_cbranch_execz .LBB242_366
; %bb.365:                              ;   in Loop: Header=BB242_12 Depth=1
	s_delay_alu instid0(VALU_DEP_2) | instskip(NEXT) | instid1(VALU_DEP_1)
	v_clz_i32_u32_e32 v13, v13
	v_min_u32_e32 v65, 32, v13
	v_mov_b32_e32 v13, v5
	s_delay_alu instid0(VALU_DEP_2) | instskip(SKIP_1) | instid1(VALU_DEP_2)
	v_subrev_nc_u32_e32 v68, 28, v65
	v_sub_nc_u32_e32 v65, 29, v65
	v_lshlrev_b64_e32 v[12:13], v68, v[12:13]
	s_delay_alu instid0(VALU_DEP_1)
	v_and_b32_e32 v13, 7, v12
.LBB242_366:                            ;   in Loop: Header=BB242_12 Depth=1
	s_or_b32 exec_lo, exec_lo, s44
	s_delay_alu instid0(VALU_DEP_1) | instskip(SKIP_1) | instid1(VALU_DEP_1)
	v_dual_lshlrev_b32 v12, 8, v67 :: v_dual_lshlrev_b32 v13, 23, v13
	v_lshl_add_u32 v65, v65, 10, 0x2000
	v_and_or_b32 v12, 0x8000, v12, v65
	s_delay_alu instid0(VALU_DEP_1)
	v_lshl_or_b32 v65, v12, 16, v13
.LBB242_367:                            ;   in Loop: Header=BB242_12 Depth=1
	s_or_b32 exec_lo, exec_lo, s43
.LBB242_368:                            ;   in Loop: Header=BB242_12 Depth=1
	s_delay_alu instid0(SALU_CYCLE_1)
	s_or_b32 exec_lo, exec_lo, s42
.LBB242_369:                            ;   in Loop: Header=BB242_12 Depth=1
	s_delay_alu instid0(SALU_CYCLE_1)
	s_or_b32 exec_lo, exec_lo, s41
	global_load_u16 v12, v[10:11], off offset:1408
	v_dual_mov_b32 v67, 0 :: v_dual_mov_b32 v68, 0
	s_mov_b32 s41, exec_lo
	s_wait_loadcnt 0x0
	v_and_b32_e32 v13, 0xff, v12
	v_and_b32_e32 v12, 0xffff, v12
	s_delay_alu instid0(VALU_DEP_2)
	v_cmpx_ne_u16_e32 0, v13
	s_cbranch_execz .LBB242_377
; %bb.370:                              ;   in Loop: Header=BB242_12 Depth=1
	s_delay_alu instid0(VALU_DEP_2) | instskip(SKIP_2) | instid1(VALU_DEP_2)
	v_and_b32_e32 v13, 0xff, v12
	v_mov_b32_e32 v68, 0x8000
	s_mov_b32 s42, exec_lo
	v_cmpx_ne_u16_e32 0x80, v13
	s_cbranch_execz .LBB242_376
; %bb.371:                              ;   in Loop: Header=BB242_12 Depth=1
	v_and_b32_e32 v69, 0x7f, v12
	v_mov_b32_e32 v68, 0x7c01
	s_mov_b32 s43, exec_lo
	s_delay_alu instid0(VALU_DEP_2)
	v_cmpx_ne_u32_e32 0x7f, v69
	s_cbranch_execz .LBB242_375
; %bb.372:                              ;   in Loop: Header=BB242_12 Depth=1
	v_dual_lshrrev_b32 v68, 3, v69 :: v_dual_bitop2_b32 v13, 7, v12 bitop3:0x40
	s_mov_b32 s44, exec_lo
	v_cmpx_gt_u32_e32 8, v69
; %bb.373:                              ;   in Loop: Header=BB242_12 Depth=1
	s_delay_alu instid0(VALU_DEP_2) | instskip(NEXT) | instid1(VALU_DEP_1)
	v_clz_i32_u32_e32 v13, v13
	v_min_u32_e32 v13, 32, v13
	s_delay_alu instid0(VALU_DEP_1) | instskip(NEXT) | instid1(VALU_DEP_1)
	v_subrev_nc_u32_e32 v68, 28, v13
	v_lshlrev_b64_e32 v[70:71], v68, v[12:13]
	s_delay_alu instid0(VALU_DEP_1)
	v_dual_sub_nc_u32 v68, 29, v13 :: v_dual_bitop2_b32 v13, 7, v70 bitop3:0x40
; %bb.374:                              ;   in Loop: Header=BB242_12 Depth=1
	s_or_b32 exec_lo, exec_lo, s44
	s_delay_alu instid0(VALU_DEP_1) | instskip(NEXT) | instid1(VALU_DEP_2)
	v_dual_lshlrev_b32 v69, 8, v12 :: v_dual_lshlrev_b32 v13, 7, v13
	v_lshl_add_u32 v68, v68, 10, 0x2000
	s_delay_alu instid0(VALU_DEP_2) | instskip(NEXT) | instid1(VALU_DEP_2)
	v_and_b32_e32 v69, 0x8000, v69
	v_and_b32_e32 v68, 0xfc00, v68
	s_delay_alu instid0(VALU_DEP_1)
	v_or3_b32 v68, v69, v68, v13
.LBB242_375:                            ;   in Loop: Header=BB242_12 Depth=1
	s_or_b32 exec_lo, exec_lo, s43
.LBB242_376:                            ;   in Loop: Header=BB242_12 Depth=1
	s_delay_alu instid0(SALU_CYCLE_1)
	s_or_b32 exec_lo, exec_lo, s42
.LBB242_377:                            ;   in Loop: Header=BB242_12 Depth=1
	s_delay_alu instid0(SALU_CYCLE_1) | instskip(NEXT) | instid1(VALU_DEP_2)
	s_or_b32 exec_lo, exec_lo, s41
	v_lshrrev_b16 v12, 8, v12
	s_mov_b32 s41, exec_lo
	s_delay_alu instid0(VALU_DEP_1)
	v_cmpx_ne_u16_e32 0, v12
	s_cbranch_execz .LBB242_385
; %bb.378:                              ;   in Loop: Header=BB242_12 Depth=1
	v_bfrev_b32_e32 v67, 1
	s_mov_b32 s42, exec_lo
	v_cmpx_ne_u16_e32 0x80, v12
	s_cbranch_execz .LBB242_384
; %bb.379:                              ;   in Loop: Header=BB242_12 Depth=1
	v_and_b32_e32 v69, 0xffff, v12
	v_mov_b32_e32 v67, 0x7c010000
	s_mov_b32 s43, exec_lo
	s_delay_alu instid0(VALU_DEP_2) | instskip(NEXT) | instid1(VALU_DEP_1)
	v_and_b32_e32 v70, 0x7f, v69
	v_cmpx_ne_u32_e32 0x7f, v70
	s_cbranch_execz .LBB242_383
; %bb.380:                              ;   in Loop: Header=BB242_12 Depth=1
	v_dual_lshrrev_b32 v67, 3, v70 :: v_dual_bitop2_b32 v13, 7, v69 bitop3:0x40
	s_mov_b32 s44, exec_lo
	v_cmpx_gt_u32_e32 8, v70
	s_cbranch_execz .LBB242_382
; %bb.381:                              ;   in Loop: Header=BB242_12 Depth=1
	s_delay_alu instid0(VALU_DEP_2) | instskip(NEXT) | instid1(VALU_DEP_1)
	v_clz_i32_u32_e32 v13, v13
	v_min_u32_e32 v67, 32, v13
	v_mov_b32_e32 v13, v5
	s_delay_alu instid0(VALU_DEP_2) | instskip(SKIP_1) | instid1(VALU_DEP_2)
	v_subrev_nc_u32_e32 v70, 28, v67
	v_sub_nc_u32_e32 v67, 29, v67
	v_lshlrev_b64_e32 v[12:13], v70, v[12:13]
	s_delay_alu instid0(VALU_DEP_1)
	v_and_b32_e32 v13, 7, v12
.LBB242_382:                            ;   in Loop: Header=BB242_12 Depth=1
	s_or_b32 exec_lo, exec_lo, s44
	v_lshlrev_b32_e32 v12, 8, v69
	v_lshl_add_u32 v67, v67, 10, 0x2000
	s_delay_alu instid0(VALU_DEP_3) | instskip(NEXT) | instid1(VALU_DEP_2)
	v_lshlrev_b32_e32 v13, 23, v13
	v_and_or_b32 v12, 0x8000, v12, v67
	s_delay_alu instid0(VALU_DEP_1)
	v_lshl_or_b32 v67, v12, 16, v13
.LBB242_383:                            ;   in Loop: Header=BB242_12 Depth=1
	s_or_b32 exec_lo, exec_lo, s43
.LBB242_384:                            ;   in Loop: Header=BB242_12 Depth=1
	s_delay_alu instid0(SALU_CYCLE_1)
	s_or_b32 exec_lo, exec_lo, s42
.LBB242_385:                            ;   in Loop: Header=BB242_12 Depth=1
	s_delay_alu instid0(SALU_CYCLE_1)
	s_or_b32 exec_lo, exec_lo, s41
	global_load_u16 v12, v[10:11], off offset:1416
	v_dual_mov_b32 v69, 0 :: v_dual_mov_b32 v70, 0
	s_mov_b32 s41, exec_lo
	s_wait_loadcnt 0x0
	v_and_b32_e32 v13, 0xff, v12
	v_and_b32_e32 v12, 0xffff, v12
	s_delay_alu instid0(VALU_DEP_2)
	v_cmpx_ne_u16_e32 0, v13
	s_cbranch_execz .LBB242_393
; %bb.386:                              ;   in Loop: Header=BB242_12 Depth=1
	s_delay_alu instid0(VALU_DEP_2) | instskip(SKIP_2) | instid1(VALU_DEP_2)
	v_and_b32_e32 v13, 0xff, v12
	v_mov_b32_e32 v70, 0x8000
	s_mov_b32 s42, exec_lo
	v_cmpx_ne_u16_e32 0x80, v13
	s_cbranch_execz .LBB242_392
; %bb.387:                              ;   in Loop: Header=BB242_12 Depth=1
	v_and_b32_e32 v71, 0x7f, v12
	v_mov_b32_e32 v70, 0x7c01
	s_mov_b32 s43, exec_lo
	s_delay_alu instid0(VALU_DEP_2)
	v_cmpx_ne_u32_e32 0x7f, v71
	s_cbranch_execz .LBB242_391
; %bb.388:                              ;   in Loop: Header=BB242_12 Depth=1
	v_dual_lshrrev_b32 v70, 3, v71 :: v_dual_bitop2_b32 v13, 7, v12 bitop3:0x40
	s_mov_b32 s44, exec_lo
	v_cmpx_gt_u32_e32 8, v71
; %bb.389:                              ;   in Loop: Header=BB242_12 Depth=1
	s_delay_alu instid0(VALU_DEP_2) | instskip(NEXT) | instid1(VALU_DEP_1)
	v_clz_i32_u32_e32 v13, v13
	v_min_u32_e32 v13, 32, v13
	s_delay_alu instid0(VALU_DEP_1) | instskip(NEXT) | instid1(VALU_DEP_1)
	v_subrev_nc_u32_e32 v70, 28, v13
	v_lshlrev_b64_e32 v[72:73], v70, v[12:13]
	s_delay_alu instid0(VALU_DEP_1)
	v_dual_sub_nc_u32 v70, 29, v13 :: v_dual_bitop2_b32 v13, 7, v72 bitop3:0x40
; %bb.390:                              ;   in Loop: Header=BB242_12 Depth=1
	s_or_b32 exec_lo, exec_lo, s44
	s_delay_alu instid0(VALU_DEP_1) | instskip(NEXT) | instid1(VALU_DEP_2)
	v_dual_lshlrev_b32 v71, 8, v12 :: v_dual_lshlrev_b32 v13, 7, v13
	v_lshl_add_u32 v70, v70, 10, 0x2000
	s_delay_alu instid0(VALU_DEP_2) | instskip(NEXT) | instid1(VALU_DEP_2)
	v_and_b32_e32 v71, 0x8000, v71
	v_and_b32_e32 v70, 0xfc00, v70
	s_delay_alu instid0(VALU_DEP_1)
	v_or3_b32 v70, v71, v70, v13
.LBB242_391:                            ;   in Loop: Header=BB242_12 Depth=1
	s_or_b32 exec_lo, exec_lo, s43
.LBB242_392:                            ;   in Loop: Header=BB242_12 Depth=1
	s_delay_alu instid0(SALU_CYCLE_1)
	s_or_b32 exec_lo, exec_lo, s42
.LBB242_393:                            ;   in Loop: Header=BB242_12 Depth=1
	s_delay_alu instid0(SALU_CYCLE_1) | instskip(NEXT) | instid1(VALU_DEP_2)
	s_or_b32 exec_lo, exec_lo, s41
	v_lshrrev_b16 v12, 8, v12
	s_mov_b32 s41, exec_lo
	s_delay_alu instid0(VALU_DEP_1)
	v_cmpx_ne_u16_e32 0, v12
	s_cbranch_execz .LBB242_401
; %bb.394:                              ;   in Loop: Header=BB242_12 Depth=1
	v_bfrev_b32_e32 v69, 1
	s_mov_b32 s42, exec_lo
	v_cmpx_ne_u16_e32 0x80, v12
	s_cbranch_execz .LBB242_400
; %bb.395:                              ;   in Loop: Header=BB242_12 Depth=1
	v_and_b32_e32 v71, 0xffff, v12
	v_mov_b32_e32 v69, 0x7c010000
	s_mov_b32 s43, exec_lo
	s_delay_alu instid0(VALU_DEP_2) | instskip(NEXT) | instid1(VALU_DEP_1)
	v_and_b32_e32 v72, 0x7f, v71
	v_cmpx_ne_u32_e32 0x7f, v72
	s_cbranch_execz .LBB242_399
; %bb.396:                              ;   in Loop: Header=BB242_12 Depth=1
	v_dual_lshrrev_b32 v69, 3, v72 :: v_dual_bitop2_b32 v13, 7, v71 bitop3:0x40
	s_mov_b32 s44, exec_lo
	v_cmpx_gt_u32_e32 8, v72
	s_cbranch_execz .LBB242_398
; %bb.397:                              ;   in Loop: Header=BB242_12 Depth=1
	s_delay_alu instid0(VALU_DEP_2) | instskip(NEXT) | instid1(VALU_DEP_1)
	v_clz_i32_u32_e32 v13, v13
	v_min_u32_e32 v69, 32, v13
	v_mov_b32_e32 v13, v5
	s_delay_alu instid0(VALU_DEP_2) | instskip(SKIP_1) | instid1(VALU_DEP_2)
	v_subrev_nc_u32_e32 v72, 28, v69
	v_sub_nc_u32_e32 v69, 29, v69
	v_lshlrev_b64_e32 v[12:13], v72, v[12:13]
	s_delay_alu instid0(VALU_DEP_1)
	v_and_b32_e32 v13, 7, v12
.LBB242_398:                            ;   in Loop: Header=BB242_12 Depth=1
	s_or_b32 exec_lo, exec_lo, s44
	s_delay_alu instid0(VALU_DEP_1) | instskip(SKIP_1) | instid1(VALU_DEP_1)
	v_dual_lshlrev_b32 v12, 8, v71 :: v_dual_lshlrev_b32 v13, 23, v13
	v_lshl_add_u32 v69, v69, 10, 0x2000
	v_and_or_b32 v12, 0x8000, v12, v69
	s_delay_alu instid0(VALU_DEP_1)
	v_lshl_or_b32 v69, v12, 16, v13
.LBB242_399:                            ;   in Loop: Header=BB242_12 Depth=1
	s_or_b32 exec_lo, exec_lo, s43
.LBB242_400:                            ;   in Loop: Header=BB242_12 Depth=1
	s_delay_alu instid0(SALU_CYCLE_1)
	s_or_b32 exec_lo, exec_lo, s42
.LBB242_401:                            ;   in Loop: Header=BB242_12 Depth=1
	s_delay_alu instid0(SALU_CYCLE_1)
	s_or_b32 exec_lo, exec_lo, s41
	global_load_u16 v12, v[10:11], off offset:1536
	v_dual_mov_b32 v71, 0 :: v_dual_mov_b32 v72, 0
	s_mov_b32 s41, exec_lo
	s_wait_loadcnt 0x0
	v_and_b32_e32 v13, 0xff, v12
	v_and_b32_e32 v12, 0xffff, v12
	s_delay_alu instid0(VALU_DEP_2)
	v_cmpx_ne_u16_e32 0, v13
	s_cbranch_execz .LBB242_409
; %bb.402:                              ;   in Loop: Header=BB242_12 Depth=1
	s_delay_alu instid0(VALU_DEP_2) | instskip(SKIP_2) | instid1(VALU_DEP_2)
	v_and_b32_e32 v13, 0xff, v12
	v_mov_b32_e32 v72, 0x8000
	s_mov_b32 s42, exec_lo
	v_cmpx_ne_u16_e32 0x80, v13
	s_cbranch_execz .LBB242_408
; %bb.403:                              ;   in Loop: Header=BB242_12 Depth=1
	v_and_b32_e32 v73, 0x7f, v12
	v_mov_b32_e32 v72, 0x7c01
	s_mov_b32 s43, exec_lo
	s_delay_alu instid0(VALU_DEP_2)
	v_cmpx_ne_u32_e32 0x7f, v73
	s_cbranch_execz .LBB242_407
; %bb.404:                              ;   in Loop: Header=BB242_12 Depth=1
	v_dual_lshrrev_b32 v72, 3, v73 :: v_dual_bitop2_b32 v13, 7, v12 bitop3:0x40
	s_mov_b32 s44, exec_lo
	v_cmpx_gt_u32_e32 8, v73
; %bb.405:                              ;   in Loop: Header=BB242_12 Depth=1
	s_delay_alu instid0(VALU_DEP_2) | instskip(NEXT) | instid1(VALU_DEP_1)
	v_clz_i32_u32_e32 v13, v13
	v_min_u32_e32 v13, 32, v13
	s_delay_alu instid0(VALU_DEP_1) | instskip(NEXT) | instid1(VALU_DEP_1)
	v_subrev_nc_u32_e32 v72, 28, v13
	v_lshlrev_b64_e32 v[74:75], v72, v[12:13]
	s_delay_alu instid0(VALU_DEP_1)
	v_dual_sub_nc_u32 v72, 29, v13 :: v_dual_bitop2_b32 v13, 7, v74 bitop3:0x40
; %bb.406:                              ;   in Loop: Header=BB242_12 Depth=1
	s_or_b32 exec_lo, exec_lo, s44
	s_delay_alu instid0(VALU_DEP_1) | instskip(NEXT) | instid1(VALU_DEP_2)
	v_dual_lshlrev_b32 v73, 8, v12 :: v_dual_lshlrev_b32 v13, 7, v13
	v_lshl_add_u32 v72, v72, 10, 0x2000
	s_delay_alu instid0(VALU_DEP_2) | instskip(NEXT) | instid1(VALU_DEP_2)
	v_and_b32_e32 v73, 0x8000, v73
	v_and_b32_e32 v72, 0xfc00, v72
	s_delay_alu instid0(VALU_DEP_1)
	v_or3_b32 v72, v73, v72, v13
.LBB242_407:                            ;   in Loop: Header=BB242_12 Depth=1
	s_or_b32 exec_lo, exec_lo, s43
.LBB242_408:                            ;   in Loop: Header=BB242_12 Depth=1
	s_delay_alu instid0(SALU_CYCLE_1)
	s_or_b32 exec_lo, exec_lo, s42
.LBB242_409:                            ;   in Loop: Header=BB242_12 Depth=1
	s_delay_alu instid0(SALU_CYCLE_1) | instskip(NEXT) | instid1(VALU_DEP_2)
	s_or_b32 exec_lo, exec_lo, s41
	v_lshrrev_b16 v12, 8, v12
	s_mov_b32 s41, exec_lo
	s_delay_alu instid0(VALU_DEP_1)
	v_cmpx_ne_u16_e32 0, v12
	s_cbranch_execz .LBB242_417
; %bb.410:                              ;   in Loop: Header=BB242_12 Depth=1
	v_bfrev_b32_e32 v71, 1
	s_mov_b32 s42, exec_lo
	v_cmpx_ne_u16_e32 0x80, v12
	s_cbranch_execz .LBB242_416
; %bb.411:                              ;   in Loop: Header=BB242_12 Depth=1
	v_and_b32_e32 v73, 0xffff, v12
	v_mov_b32_e32 v71, 0x7c010000
	s_mov_b32 s43, exec_lo
	s_delay_alu instid0(VALU_DEP_2) | instskip(NEXT) | instid1(VALU_DEP_1)
	v_and_b32_e32 v74, 0x7f, v73
	v_cmpx_ne_u32_e32 0x7f, v74
	s_cbranch_execz .LBB242_415
; %bb.412:                              ;   in Loop: Header=BB242_12 Depth=1
	v_dual_lshrrev_b32 v71, 3, v74 :: v_dual_bitop2_b32 v13, 7, v73 bitop3:0x40
	s_mov_b32 s44, exec_lo
	v_cmpx_gt_u32_e32 8, v74
	s_cbranch_execz .LBB242_414
; %bb.413:                              ;   in Loop: Header=BB242_12 Depth=1
	s_delay_alu instid0(VALU_DEP_2) | instskip(NEXT) | instid1(VALU_DEP_1)
	v_clz_i32_u32_e32 v13, v13
	v_min_u32_e32 v71, 32, v13
	v_mov_b32_e32 v13, v5
	s_delay_alu instid0(VALU_DEP_2) | instskip(SKIP_1) | instid1(VALU_DEP_2)
	v_subrev_nc_u32_e32 v74, 28, v71
	v_sub_nc_u32_e32 v71, 29, v71
	v_lshlrev_b64_e32 v[12:13], v74, v[12:13]
	s_delay_alu instid0(VALU_DEP_1)
	v_and_b32_e32 v13, 7, v12
.LBB242_414:                            ;   in Loop: Header=BB242_12 Depth=1
	s_or_b32 exec_lo, exec_lo, s44
	v_lshlrev_b32_e32 v12, 8, v73
	v_lshl_add_u32 v71, v71, 10, 0x2000
	s_delay_alu instid0(VALU_DEP_3) | instskip(NEXT) | instid1(VALU_DEP_2)
	v_lshlrev_b32_e32 v13, 23, v13
	v_and_or_b32 v12, 0x8000, v12, v71
	s_delay_alu instid0(VALU_DEP_1)
	v_lshl_or_b32 v71, v12, 16, v13
.LBB242_415:                            ;   in Loop: Header=BB242_12 Depth=1
	s_or_b32 exec_lo, exec_lo, s43
.LBB242_416:                            ;   in Loop: Header=BB242_12 Depth=1
	s_delay_alu instid0(SALU_CYCLE_1)
	s_or_b32 exec_lo, exec_lo, s42
.LBB242_417:                            ;   in Loop: Header=BB242_12 Depth=1
	s_delay_alu instid0(SALU_CYCLE_1)
	s_or_b32 exec_lo, exec_lo, s41
	global_load_u16 v12, v[10:11], off offset:1544
	v_dual_mov_b32 v73, 0 :: v_dual_mov_b32 v74, 0
	s_mov_b32 s41, exec_lo
	s_wait_loadcnt 0x0
	v_and_b32_e32 v13, 0xff, v12
	v_and_b32_e32 v12, 0xffff, v12
	s_delay_alu instid0(VALU_DEP_2)
	v_cmpx_ne_u16_e32 0, v13
	s_cbranch_execz .LBB242_425
; %bb.418:                              ;   in Loop: Header=BB242_12 Depth=1
	s_delay_alu instid0(VALU_DEP_2) | instskip(SKIP_2) | instid1(VALU_DEP_2)
	v_and_b32_e32 v13, 0xff, v12
	v_mov_b32_e32 v74, 0x8000
	s_mov_b32 s42, exec_lo
	v_cmpx_ne_u16_e32 0x80, v13
	s_cbranch_execz .LBB242_424
; %bb.419:                              ;   in Loop: Header=BB242_12 Depth=1
	v_and_b32_e32 v75, 0x7f, v12
	v_mov_b32_e32 v74, 0x7c01
	s_mov_b32 s43, exec_lo
	s_delay_alu instid0(VALU_DEP_2)
	v_cmpx_ne_u32_e32 0x7f, v75
	s_cbranch_execz .LBB242_423
; %bb.420:                              ;   in Loop: Header=BB242_12 Depth=1
	v_dual_lshrrev_b32 v74, 3, v75 :: v_dual_bitop2_b32 v13, 7, v12 bitop3:0x40
	s_mov_b32 s44, exec_lo
	v_cmpx_gt_u32_e32 8, v75
; %bb.421:                              ;   in Loop: Header=BB242_12 Depth=1
	s_delay_alu instid0(VALU_DEP_2) | instskip(NEXT) | instid1(VALU_DEP_1)
	v_clz_i32_u32_e32 v13, v13
	v_min_u32_e32 v13, 32, v13
	s_delay_alu instid0(VALU_DEP_1) | instskip(NEXT) | instid1(VALU_DEP_1)
	v_subrev_nc_u32_e32 v74, 28, v13
	v_lshlrev_b64_e32 v[76:77], v74, v[12:13]
	s_delay_alu instid0(VALU_DEP_1)
	v_dual_sub_nc_u32 v74, 29, v13 :: v_dual_bitop2_b32 v13, 7, v76 bitop3:0x40
; %bb.422:                              ;   in Loop: Header=BB242_12 Depth=1
	s_or_b32 exec_lo, exec_lo, s44
	s_delay_alu instid0(VALU_DEP_1) | instskip(NEXT) | instid1(VALU_DEP_2)
	v_dual_lshlrev_b32 v75, 8, v12 :: v_dual_lshlrev_b32 v13, 7, v13
	v_lshl_add_u32 v74, v74, 10, 0x2000
	s_delay_alu instid0(VALU_DEP_2) | instskip(NEXT) | instid1(VALU_DEP_2)
	v_and_b32_e32 v75, 0x8000, v75
	v_and_b32_e32 v74, 0xfc00, v74
	s_delay_alu instid0(VALU_DEP_1)
	v_or3_b32 v74, v75, v74, v13
.LBB242_423:                            ;   in Loop: Header=BB242_12 Depth=1
	s_or_b32 exec_lo, exec_lo, s43
.LBB242_424:                            ;   in Loop: Header=BB242_12 Depth=1
	s_delay_alu instid0(SALU_CYCLE_1)
	s_or_b32 exec_lo, exec_lo, s42
.LBB242_425:                            ;   in Loop: Header=BB242_12 Depth=1
	s_delay_alu instid0(SALU_CYCLE_1) | instskip(NEXT) | instid1(VALU_DEP_2)
	s_or_b32 exec_lo, exec_lo, s41
	v_lshrrev_b16 v12, 8, v12
	s_mov_b32 s41, exec_lo
	s_delay_alu instid0(VALU_DEP_1)
	v_cmpx_ne_u16_e32 0, v12
	s_cbranch_execz .LBB242_433
; %bb.426:                              ;   in Loop: Header=BB242_12 Depth=1
	v_bfrev_b32_e32 v73, 1
	s_mov_b32 s42, exec_lo
	v_cmpx_ne_u16_e32 0x80, v12
	s_cbranch_execz .LBB242_432
; %bb.427:                              ;   in Loop: Header=BB242_12 Depth=1
	v_and_b32_e32 v75, 0xffff, v12
	v_mov_b32_e32 v73, 0x7c010000
	s_mov_b32 s43, exec_lo
	s_delay_alu instid0(VALU_DEP_2) | instskip(NEXT) | instid1(VALU_DEP_1)
	v_and_b32_e32 v76, 0x7f, v75
	v_cmpx_ne_u32_e32 0x7f, v76
	s_cbranch_execz .LBB242_431
; %bb.428:                              ;   in Loop: Header=BB242_12 Depth=1
	v_dual_lshrrev_b32 v73, 3, v76 :: v_dual_bitop2_b32 v13, 7, v75 bitop3:0x40
	s_mov_b32 s44, exec_lo
	v_cmpx_gt_u32_e32 8, v76
	s_cbranch_execz .LBB242_430
; %bb.429:                              ;   in Loop: Header=BB242_12 Depth=1
	s_delay_alu instid0(VALU_DEP_2) | instskip(NEXT) | instid1(VALU_DEP_1)
	v_clz_i32_u32_e32 v13, v13
	v_min_u32_e32 v73, 32, v13
	v_mov_b32_e32 v13, v5
	s_delay_alu instid0(VALU_DEP_2) | instskip(SKIP_1) | instid1(VALU_DEP_2)
	v_subrev_nc_u32_e32 v76, 28, v73
	v_sub_nc_u32_e32 v73, 29, v73
	v_lshlrev_b64_e32 v[12:13], v76, v[12:13]
	s_delay_alu instid0(VALU_DEP_1)
	v_and_b32_e32 v13, 7, v12
.LBB242_430:                            ;   in Loop: Header=BB242_12 Depth=1
	s_or_b32 exec_lo, exec_lo, s44
	s_delay_alu instid0(VALU_DEP_1) | instskip(SKIP_1) | instid1(VALU_DEP_1)
	v_dual_lshlrev_b32 v12, 8, v75 :: v_dual_lshlrev_b32 v13, 23, v13
	v_lshl_add_u32 v73, v73, 10, 0x2000
	v_and_or_b32 v12, 0x8000, v12, v73
	s_delay_alu instid0(VALU_DEP_1)
	v_lshl_or_b32 v73, v12, 16, v13
.LBB242_431:                            ;   in Loop: Header=BB242_12 Depth=1
	s_or_b32 exec_lo, exec_lo, s43
.LBB242_432:                            ;   in Loop: Header=BB242_12 Depth=1
	s_delay_alu instid0(SALU_CYCLE_1)
	s_or_b32 exec_lo, exec_lo, s42
.LBB242_433:                            ;   in Loop: Header=BB242_12 Depth=1
	s_delay_alu instid0(SALU_CYCLE_1)
	s_or_b32 exec_lo, exec_lo, s41
	global_load_u16 v12, v[10:11], off offset:1664
	v_dual_mov_b32 v75, 0 :: v_dual_mov_b32 v76, 0
	s_mov_b32 s41, exec_lo
	s_wait_loadcnt 0x0
	v_and_b32_e32 v13, 0xff, v12
	v_and_b32_e32 v12, 0xffff, v12
	s_delay_alu instid0(VALU_DEP_2)
	v_cmpx_ne_u16_e32 0, v13
	s_cbranch_execz .LBB242_441
; %bb.434:                              ;   in Loop: Header=BB242_12 Depth=1
	s_delay_alu instid0(VALU_DEP_2) | instskip(SKIP_2) | instid1(VALU_DEP_2)
	v_and_b32_e32 v13, 0xff, v12
	v_mov_b32_e32 v76, 0x8000
	s_mov_b32 s42, exec_lo
	v_cmpx_ne_u16_e32 0x80, v13
	s_cbranch_execz .LBB242_440
; %bb.435:                              ;   in Loop: Header=BB242_12 Depth=1
	v_and_b32_e32 v77, 0x7f, v12
	v_mov_b32_e32 v76, 0x7c01
	s_mov_b32 s43, exec_lo
	s_delay_alu instid0(VALU_DEP_2)
	v_cmpx_ne_u32_e32 0x7f, v77
	s_cbranch_execz .LBB242_439
; %bb.436:                              ;   in Loop: Header=BB242_12 Depth=1
	v_dual_lshrrev_b32 v76, 3, v77 :: v_dual_bitop2_b32 v13, 7, v12 bitop3:0x40
	s_mov_b32 s44, exec_lo
	v_cmpx_gt_u32_e32 8, v77
; %bb.437:                              ;   in Loop: Header=BB242_12 Depth=1
	s_delay_alu instid0(VALU_DEP_2) | instskip(NEXT) | instid1(VALU_DEP_1)
	v_clz_i32_u32_e32 v13, v13
	v_min_u32_e32 v13, 32, v13
	s_delay_alu instid0(VALU_DEP_1) | instskip(NEXT) | instid1(VALU_DEP_1)
	v_subrev_nc_u32_e32 v76, 28, v13
	v_lshlrev_b64_e32 v[78:79], v76, v[12:13]
	s_delay_alu instid0(VALU_DEP_1)
	v_dual_sub_nc_u32 v76, 29, v13 :: v_dual_bitop2_b32 v13, 7, v78 bitop3:0x40
; %bb.438:                              ;   in Loop: Header=BB242_12 Depth=1
	s_or_b32 exec_lo, exec_lo, s44
	s_delay_alu instid0(VALU_DEP_1) | instskip(NEXT) | instid1(VALU_DEP_2)
	v_dual_lshlrev_b32 v77, 8, v12 :: v_dual_lshlrev_b32 v13, 7, v13
	v_lshl_add_u32 v76, v76, 10, 0x2000
	s_delay_alu instid0(VALU_DEP_2) | instskip(NEXT) | instid1(VALU_DEP_2)
	v_and_b32_e32 v77, 0x8000, v77
	v_and_b32_e32 v76, 0xfc00, v76
	s_delay_alu instid0(VALU_DEP_1)
	v_or3_b32 v76, v77, v76, v13
.LBB242_439:                            ;   in Loop: Header=BB242_12 Depth=1
	s_or_b32 exec_lo, exec_lo, s43
.LBB242_440:                            ;   in Loop: Header=BB242_12 Depth=1
	s_delay_alu instid0(SALU_CYCLE_1)
	s_or_b32 exec_lo, exec_lo, s42
.LBB242_441:                            ;   in Loop: Header=BB242_12 Depth=1
	s_delay_alu instid0(SALU_CYCLE_1) | instskip(NEXT) | instid1(VALU_DEP_2)
	s_or_b32 exec_lo, exec_lo, s41
	v_lshrrev_b16 v12, 8, v12
	s_mov_b32 s41, exec_lo
	s_delay_alu instid0(VALU_DEP_1)
	v_cmpx_ne_u16_e32 0, v12
	s_cbranch_execz .LBB242_449
; %bb.442:                              ;   in Loop: Header=BB242_12 Depth=1
	v_bfrev_b32_e32 v75, 1
	s_mov_b32 s42, exec_lo
	v_cmpx_ne_u16_e32 0x80, v12
	s_cbranch_execz .LBB242_448
; %bb.443:                              ;   in Loop: Header=BB242_12 Depth=1
	v_and_b32_e32 v77, 0xffff, v12
	v_mov_b32_e32 v75, 0x7c010000
	s_mov_b32 s43, exec_lo
	s_delay_alu instid0(VALU_DEP_2) | instskip(NEXT) | instid1(VALU_DEP_1)
	v_and_b32_e32 v78, 0x7f, v77
	v_cmpx_ne_u32_e32 0x7f, v78
	s_cbranch_execz .LBB242_447
; %bb.444:                              ;   in Loop: Header=BB242_12 Depth=1
	v_dual_lshrrev_b32 v75, 3, v78 :: v_dual_bitop2_b32 v13, 7, v77 bitop3:0x40
	s_mov_b32 s44, exec_lo
	v_cmpx_gt_u32_e32 8, v78
	s_cbranch_execz .LBB242_446
; %bb.445:                              ;   in Loop: Header=BB242_12 Depth=1
	s_delay_alu instid0(VALU_DEP_2) | instskip(NEXT) | instid1(VALU_DEP_1)
	v_clz_i32_u32_e32 v13, v13
	v_min_u32_e32 v75, 32, v13
	v_mov_b32_e32 v13, v5
	s_delay_alu instid0(VALU_DEP_2) | instskip(SKIP_1) | instid1(VALU_DEP_2)
	v_subrev_nc_u32_e32 v78, 28, v75
	v_sub_nc_u32_e32 v75, 29, v75
	v_lshlrev_b64_e32 v[12:13], v78, v[12:13]
	s_delay_alu instid0(VALU_DEP_1)
	v_and_b32_e32 v13, 7, v12
.LBB242_446:                            ;   in Loop: Header=BB242_12 Depth=1
	s_or_b32 exec_lo, exec_lo, s44
	v_lshlrev_b32_e32 v12, 8, v77
	v_lshl_add_u32 v75, v75, 10, 0x2000
	s_delay_alu instid0(VALU_DEP_3) | instskip(NEXT) | instid1(VALU_DEP_2)
	v_lshlrev_b32_e32 v13, 23, v13
	v_and_or_b32 v12, 0x8000, v12, v75
	s_delay_alu instid0(VALU_DEP_1)
	v_lshl_or_b32 v75, v12, 16, v13
.LBB242_447:                            ;   in Loop: Header=BB242_12 Depth=1
	s_or_b32 exec_lo, exec_lo, s43
.LBB242_448:                            ;   in Loop: Header=BB242_12 Depth=1
	s_delay_alu instid0(SALU_CYCLE_1)
	s_or_b32 exec_lo, exec_lo, s42
.LBB242_449:                            ;   in Loop: Header=BB242_12 Depth=1
	s_delay_alu instid0(SALU_CYCLE_1)
	s_or_b32 exec_lo, exec_lo, s41
	global_load_u16 v12, v[10:11], off offset:1672
	v_dual_mov_b32 v77, 0 :: v_dual_mov_b32 v78, 0
	s_mov_b32 s41, exec_lo
	s_wait_loadcnt 0x0
	v_and_b32_e32 v13, 0xff, v12
	v_and_b32_e32 v12, 0xffff, v12
	s_delay_alu instid0(VALU_DEP_2)
	v_cmpx_ne_u16_e32 0, v13
	s_cbranch_execz .LBB242_457
; %bb.450:                              ;   in Loop: Header=BB242_12 Depth=1
	s_delay_alu instid0(VALU_DEP_2) | instskip(SKIP_2) | instid1(VALU_DEP_2)
	v_and_b32_e32 v13, 0xff, v12
	v_mov_b32_e32 v78, 0x8000
	s_mov_b32 s42, exec_lo
	v_cmpx_ne_u16_e32 0x80, v13
	s_cbranch_execz .LBB242_456
; %bb.451:                              ;   in Loop: Header=BB242_12 Depth=1
	v_and_b32_e32 v79, 0x7f, v12
	v_mov_b32_e32 v78, 0x7c01
	s_mov_b32 s43, exec_lo
	s_delay_alu instid0(VALU_DEP_2)
	v_cmpx_ne_u32_e32 0x7f, v79
	s_cbranch_execz .LBB242_455
; %bb.452:                              ;   in Loop: Header=BB242_12 Depth=1
	v_dual_lshrrev_b32 v78, 3, v79 :: v_dual_bitop2_b32 v13, 7, v12 bitop3:0x40
	s_mov_b32 s44, exec_lo
	v_cmpx_gt_u32_e32 8, v79
; %bb.453:                              ;   in Loop: Header=BB242_12 Depth=1
	s_delay_alu instid0(VALU_DEP_2) | instskip(NEXT) | instid1(VALU_DEP_1)
	v_clz_i32_u32_e32 v13, v13
	v_min_u32_e32 v13, 32, v13
	s_delay_alu instid0(VALU_DEP_1) | instskip(NEXT) | instid1(VALU_DEP_1)
	v_subrev_nc_u32_e32 v78, 28, v13
	v_lshlrev_b64_e32 v[80:81], v78, v[12:13]
	s_delay_alu instid0(VALU_DEP_1)
	v_dual_sub_nc_u32 v78, 29, v13 :: v_dual_bitop2_b32 v13, 7, v80 bitop3:0x40
; %bb.454:                              ;   in Loop: Header=BB242_12 Depth=1
	s_or_b32 exec_lo, exec_lo, s44
	s_delay_alu instid0(VALU_DEP_1) | instskip(NEXT) | instid1(VALU_DEP_2)
	v_dual_lshlrev_b32 v79, 8, v12 :: v_dual_lshlrev_b32 v13, 7, v13
	v_lshl_add_u32 v78, v78, 10, 0x2000
	s_delay_alu instid0(VALU_DEP_2) | instskip(NEXT) | instid1(VALU_DEP_2)
	v_and_b32_e32 v79, 0x8000, v79
	v_and_b32_e32 v78, 0xfc00, v78
	s_delay_alu instid0(VALU_DEP_1)
	v_or3_b32 v78, v79, v78, v13
.LBB242_455:                            ;   in Loop: Header=BB242_12 Depth=1
	s_or_b32 exec_lo, exec_lo, s43
.LBB242_456:                            ;   in Loop: Header=BB242_12 Depth=1
	s_delay_alu instid0(SALU_CYCLE_1)
	s_or_b32 exec_lo, exec_lo, s42
.LBB242_457:                            ;   in Loop: Header=BB242_12 Depth=1
	s_delay_alu instid0(SALU_CYCLE_1) | instskip(NEXT) | instid1(VALU_DEP_2)
	s_or_b32 exec_lo, exec_lo, s41
	v_lshrrev_b16 v12, 8, v12
	s_mov_b32 s41, exec_lo
	s_delay_alu instid0(VALU_DEP_1)
	v_cmpx_ne_u16_e32 0, v12
	s_cbranch_execz .LBB242_465
; %bb.458:                              ;   in Loop: Header=BB242_12 Depth=1
	v_bfrev_b32_e32 v77, 1
	s_mov_b32 s42, exec_lo
	v_cmpx_ne_u16_e32 0x80, v12
	s_cbranch_execz .LBB242_464
; %bb.459:                              ;   in Loop: Header=BB242_12 Depth=1
	v_and_b32_e32 v79, 0xffff, v12
	v_mov_b32_e32 v77, 0x7c010000
	s_mov_b32 s43, exec_lo
	s_delay_alu instid0(VALU_DEP_2) | instskip(NEXT) | instid1(VALU_DEP_1)
	v_and_b32_e32 v80, 0x7f, v79
	v_cmpx_ne_u32_e32 0x7f, v80
	s_cbranch_execz .LBB242_463
; %bb.460:                              ;   in Loop: Header=BB242_12 Depth=1
	v_dual_lshrrev_b32 v77, 3, v80 :: v_dual_bitop2_b32 v13, 7, v79 bitop3:0x40
	s_mov_b32 s44, exec_lo
	v_cmpx_gt_u32_e32 8, v80
	s_cbranch_execz .LBB242_462
; %bb.461:                              ;   in Loop: Header=BB242_12 Depth=1
	s_delay_alu instid0(VALU_DEP_2) | instskip(NEXT) | instid1(VALU_DEP_1)
	v_clz_i32_u32_e32 v13, v13
	v_min_u32_e32 v77, 32, v13
	v_mov_b32_e32 v13, v5
	s_delay_alu instid0(VALU_DEP_2) | instskip(SKIP_1) | instid1(VALU_DEP_2)
	v_subrev_nc_u32_e32 v80, 28, v77
	v_sub_nc_u32_e32 v77, 29, v77
	v_lshlrev_b64_e32 v[12:13], v80, v[12:13]
	s_delay_alu instid0(VALU_DEP_1)
	v_and_b32_e32 v13, 7, v12
.LBB242_462:                            ;   in Loop: Header=BB242_12 Depth=1
	s_or_b32 exec_lo, exec_lo, s44
	s_delay_alu instid0(VALU_DEP_1) | instskip(SKIP_1) | instid1(VALU_DEP_1)
	v_dual_lshlrev_b32 v12, 8, v79 :: v_dual_lshlrev_b32 v13, 23, v13
	v_lshl_add_u32 v77, v77, 10, 0x2000
	v_and_or_b32 v12, 0x8000, v12, v77
	s_delay_alu instid0(VALU_DEP_1)
	v_lshl_or_b32 v77, v12, 16, v13
.LBB242_463:                            ;   in Loop: Header=BB242_12 Depth=1
	s_or_b32 exec_lo, exec_lo, s43
.LBB242_464:                            ;   in Loop: Header=BB242_12 Depth=1
	s_delay_alu instid0(SALU_CYCLE_1)
	s_or_b32 exec_lo, exec_lo, s42
.LBB242_465:                            ;   in Loop: Header=BB242_12 Depth=1
	s_delay_alu instid0(SALU_CYCLE_1)
	s_or_b32 exec_lo, exec_lo, s41
	global_load_u16 v12, v[10:11], off offset:1792
	v_dual_mov_b32 v79, 0 :: v_dual_mov_b32 v80, 0
	s_mov_b32 s41, exec_lo
	s_wait_loadcnt 0x0
	v_and_b32_e32 v13, 0xff, v12
	v_and_b32_e32 v12, 0xffff, v12
	s_delay_alu instid0(VALU_DEP_2)
	v_cmpx_ne_u16_e32 0, v13
	s_cbranch_execz .LBB242_473
; %bb.466:                              ;   in Loop: Header=BB242_12 Depth=1
	s_delay_alu instid0(VALU_DEP_2) | instskip(SKIP_2) | instid1(VALU_DEP_2)
	v_and_b32_e32 v13, 0xff, v12
	v_mov_b32_e32 v80, 0x8000
	s_mov_b32 s42, exec_lo
	v_cmpx_ne_u16_e32 0x80, v13
	s_cbranch_execz .LBB242_472
; %bb.467:                              ;   in Loop: Header=BB242_12 Depth=1
	v_and_b32_e32 v81, 0x7f, v12
	v_mov_b32_e32 v80, 0x7c01
	s_mov_b32 s43, exec_lo
	s_delay_alu instid0(VALU_DEP_2)
	v_cmpx_ne_u32_e32 0x7f, v81
	s_cbranch_execz .LBB242_471
; %bb.468:                              ;   in Loop: Header=BB242_12 Depth=1
	v_dual_lshrrev_b32 v80, 3, v81 :: v_dual_bitop2_b32 v13, 7, v12 bitop3:0x40
	s_mov_b32 s44, exec_lo
	v_cmpx_gt_u32_e32 8, v81
; %bb.469:                              ;   in Loop: Header=BB242_12 Depth=1
	s_delay_alu instid0(VALU_DEP_2) | instskip(NEXT) | instid1(VALU_DEP_1)
	v_clz_i32_u32_e32 v13, v13
	v_min_u32_e32 v13, 32, v13
	s_delay_alu instid0(VALU_DEP_1) | instskip(NEXT) | instid1(VALU_DEP_1)
	v_subrev_nc_u32_e32 v80, 28, v13
	v_lshlrev_b64_e32 v[82:83], v80, v[12:13]
	s_delay_alu instid0(VALU_DEP_1)
	v_dual_sub_nc_u32 v80, 29, v13 :: v_dual_bitop2_b32 v13, 7, v82 bitop3:0x40
; %bb.470:                              ;   in Loop: Header=BB242_12 Depth=1
	s_or_b32 exec_lo, exec_lo, s44
	s_delay_alu instid0(VALU_DEP_1) | instskip(NEXT) | instid1(VALU_DEP_2)
	v_dual_lshlrev_b32 v81, 8, v12 :: v_dual_lshlrev_b32 v13, 7, v13
	v_lshl_add_u32 v80, v80, 10, 0x2000
	s_delay_alu instid0(VALU_DEP_2) | instskip(NEXT) | instid1(VALU_DEP_2)
	v_and_b32_e32 v81, 0x8000, v81
	v_and_b32_e32 v80, 0xfc00, v80
	s_delay_alu instid0(VALU_DEP_1)
	v_or3_b32 v80, v81, v80, v13
.LBB242_471:                            ;   in Loop: Header=BB242_12 Depth=1
	s_or_b32 exec_lo, exec_lo, s43
.LBB242_472:                            ;   in Loop: Header=BB242_12 Depth=1
	s_delay_alu instid0(SALU_CYCLE_1)
	s_or_b32 exec_lo, exec_lo, s42
.LBB242_473:                            ;   in Loop: Header=BB242_12 Depth=1
	s_delay_alu instid0(SALU_CYCLE_1) | instskip(NEXT) | instid1(VALU_DEP_2)
	s_or_b32 exec_lo, exec_lo, s41
	v_lshrrev_b16 v12, 8, v12
	s_mov_b32 s41, exec_lo
	s_delay_alu instid0(VALU_DEP_1)
	v_cmpx_ne_u16_e32 0, v12
	s_cbranch_execz .LBB242_481
; %bb.474:                              ;   in Loop: Header=BB242_12 Depth=1
	v_bfrev_b32_e32 v79, 1
	s_mov_b32 s42, exec_lo
	v_cmpx_ne_u16_e32 0x80, v12
	s_cbranch_execz .LBB242_480
; %bb.475:                              ;   in Loop: Header=BB242_12 Depth=1
	v_and_b32_e32 v81, 0xffff, v12
	v_mov_b32_e32 v79, 0x7c010000
	s_mov_b32 s43, exec_lo
	s_delay_alu instid0(VALU_DEP_2) | instskip(NEXT) | instid1(VALU_DEP_1)
	v_and_b32_e32 v82, 0x7f, v81
	v_cmpx_ne_u32_e32 0x7f, v82
	s_cbranch_execz .LBB242_479
; %bb.476:                              ;   in Loop: Header=BB242_12 Depth=1
	v_dual_lshrrev_b32 v79, 3, v82 :: v_dual_bitop2_b32 v13, 7, v81 bitop3:0x40
	s_mov_b32 s44, exec_lo
	v_cmpx_gt_u32_e32 8, v82
	s_cbranch_execz .LBB242_478
; %bb.477:                              ;   in Loop: Header=BB242_12 Depth=1
	s_delay_alu instid0(VALU_DEP_2) | instskip(NEXT) | instid1(VALU_DEP_1)
	v_clz_i32_u32_e32 v13, v13
	v_min_u32_e32 v79, 32, v13
	v_mov_b32_e32 v13, v5
	s_delay_alu instid0(VALU_DEP_2) | instskip(SKIP_1) | instid1(VALU_DEP_2)
	v_subrev_nc_u32_e32 v82, 28, v79
	v_sub_nc_u32_e32 v79, 29, v79
	v_lshlrev_b64_e32 v[12:13], v82, v[12:13]
	s_delay_alu instid0(VALU_DEP_1)
	v_and_b32_e32 v13, 7, v12
.LBB242_478:                            ;   in Loop: Header=BB242_12 Depth=1
	s_or_b32 exec_lo, exec_lo, s44
	v_lshlrev_b32_e32 v12, 8, v81
	v_lshl_add_u32 v79, v79, 10, 0x2000
	s_delay_alu instid0(VALU_DEP_3) | instskip(NEXT) | instid1(VALU_DEP_2)
	v_lshlrev_b32_e32 v13, 23, v13
	v_and_or_b32 v12, 0x8000, v12, v79
	s_delay_alu instid0(VALU_DEP_1)
	v_lshl_or_b32 v79, v12, 16, v13
.LBB242_479:                            ;   in Loop: Header=BB242_12 Depth=1
	s_or_b32 exec_lo, exec_lo, s43
.LBB242_480:                            ;   in Loop: Header=BB242_12 Depth=1
	s_delay_alu instid0(SALU_CYCLE_1)
	s_or_b32 exec_lo, exec_lo, s42
.LBB242_481:                            ;   in Loop: Header=BB242_12 Depth=1
	s_delay_alu instid0(SALU_CYCLE_1)
	s_or_b32 exec_lo, exec_lo, s41
	global_load_u16 v12, v[10:11], off offset:1800
	v_dual_mov_b32 v81, 0 :: v_dual_mov_b32 v82, 0
	s_mov_b32 s41, exec_lo
	s_wait_loadcnt 0x0
	v_and_b32_e32 v13, 0xff, v12
	v_and_b32_e32 v12, 0xffff, v12
	s_delay_alu instid0(VALU_DEP_2)
	v_cmpx_ne_u16_e32 0, v13
	s_cbranch_execz .LBB242_489
; %bb.482:                              ;   in Loop: Header=BB242_12 Depth=1
	s_delay_alu instid0(VALU_DEP_2) | instskip(SKIP_2) | instid1(VALU_DEP_2)
	v_and_b32_e32 v13, 0xff, v12
	v_mov_b32_e32 v82, 0x8000
	s_mov_b32 s42, exec_lo
	v_cmpx_ne_u16_e32 0x80, v13
	s_cbranch_execz .LBB242_488
; %bb.483:                              ;   in Loop: Header=BB242_12 Depth=1
	v_and_b32_e32 v83, 0x7f, v12
	v_mov_b32_e32 v82, 0x7c01
	s_mov_b32 s43, exec_lo
	s_delay_alu instid0(VALU_DEP_2)
	v_cmpx_ne_u32_e32 0x7f, v83
	s_cbranch_execz .LBB242_487
; %bb.484:                              ;   in Loop: Header=BB242_12 Depth=1
	v_dual_lshrrev_b32 v82, 3, v83 :: v_dual_bitop2_b32 v13, 7, v12 bitop3:0x40
	s_mov_b32 s44, exec_lo
	v_cmpx_gt_u32_e32 8, v83
; %bb.485:                              ;   in Loop: Header=BB242_12 Depth=1
	s_delay_alu instid0(VALU_DEP_2) | instskip(NEXT) | instid1(VALU_DEP_1)
	v_clz_i32_u32_e32 v13, v13
	v_min_u32_e32 v13, 32, v13
	s_delay_alu instid0(VALU_DEP_1) | instskip(NEXT) | instid1(VALU_DEP_1)
	v_subrev_nc_u32_e32 v82, 28, v13
	v_lshlrev_b64_e32 v[84:85], v82, v[12:13]
	s_delay_alu instid0(VALU_DEP_1)
	v_dual_sub_nc_u32 v82, 29, v13 :: v_dual_bitop2_b32 v13, 7, v84 bitop3:0x40
; %bb.486:                              ;   in Loop: Header=BB242_12 Depth=1
	s_or_b32 exec_lo, exec_lo, s44
	s_delay_alu instid0(VALU_DEP_1) | instskip(NEXT) | instid1(VALU_DEP_2)
	v_dual_lshlrev_b32 v83, 8, v12 :: v_dual_lshlrev_b32 v13, 7, v13
	v_lshl_add_u32 v82, v82, 10, 0x2000
	s_delay_alu instid0(VALU_DEP_2) | instskip(NEXT) | instid1(VALU_DEP_2)
	v_and_b32_e32 v83, 0x8000, v83
	v_and_b32_e32 v82, 0xfc00, v82
	s_delay_alu instid0(VALU_DEP_1)
	v_or3_b32 v82, v83, v82, v13
.LBB242_487:                            ;   in Loop: Header=BB242_12 Depth=1
	s_or_b32 exec_lo, exec_lo, s43
.LBB242_488:                            ;   in Loop: Header=BB242_12 Depth=1
	s_delay_alu instid0(SALU_CYCLE_1)
	s_or_b32 exec_lo, exec_lo, s42
.LBB242_489:                            ;   in Loop: Header=BB242_12 Depth=1
	s_delay_alu instid0(SALU_CYCLE_1) | instskip(NEXT) | instid1(VALU_DEP_2)
	s_or_b32 exec_lo, exec_lo, s41
	v_lshrrev_b16 v12, 8, v12
	s_mov_b32 s41, exec_lo
	s_delay_alu instid0(VALU_DEP_1)
	v_cmpx_ne_u16_e32 0, v12
	s_cbranch_execz .LBB242_497
; %bb.490:                              ;   in Loop: Header=BB242_12 Depth=1
	v_bfrev_b32_e32 v81, 1
	s_mov_b32 s42, exec_lo
	v_cmpx_ne_u16_e32 0x80, v12
	s_cbranch_execz .LBB242_496
; %bb.491:                              ;   in Loop: Header=BB242_12 Depth=1
	v_and_b32_e32 v83, 0xffff, v12
	v_mov_b32_e32 v81, 0x7c010000
	s_mov_b32 s43, exec_lo
	s_delay_alu instid0(VALU_DEP_2) | instskip(NEXT) | instid1(VALU_DEP_1)
	v_and_b32_e32 v84, 0x7f, v83
	v_cmpx_ne_u32_e32 0x7f, v84
	s_cbranch_execz .LBB242_495
; %bb.492:                              ;   in Loop: Header=BB242_12 Depth=1
	v_dual_lshrrev_b32 v81, 3, v84 :: v_dual_bitop2_b32 v13, 7, v83 bitop3:0x40
	s_mov_b32 s44, exec_lo
	v_cmpx_gt_u32_e32 8, v84
	s_cbranch_execz .LBB242_494
; %bb.493:                              ;   in Loop: Header=BB242_12 Depth=1
	s_delay_alu instid0(VALU_DEP_2) | instskip(NEXT) | instid1(VALU_DEP_1)
	v_clz_i32_u32_e32 v13, v13
	v_min_u32_e32 v81, 32, v13
	v_mov_b32_e32 v13, v5
	s_delay_alu instid0(VALU_DEP_2) | instskip(SKIP_1) | instid1(VALU_DEP_2)
	v_subrev_nc_u32_e32 v84, 28, v81
	v_sub_nc_u32_e32 v81, 29, v81
	v_lshlrev_b64_e32 v[12:13], v84, v[12:13]
	s_delay_alu instid0(VALU_DEP_1)
	v_and_b32_e32 v13, 7, v12
.LBB242_494:                            ;   in Loop: Header=BB242_12 Depth=1
	s_or_b32 exec_lo, exec_lo, s44
	s_delay_alu instid0(VALU_DEP_1) | instskip(SKIP_1) | instid1(VALU_DEP_1)
	v_dual_lshlrev_b32 v12, 8, v83 :: v_dual_lshlrev_b32 v13, 23, v13
	v_lshl_add_u32 v81, v81, 10, 0x2000
	v_and_or_b32 v12, 0x8000, v12, v81
	s_delay_alu instid0(VALU_DEP_1)
	v_lshl_or_b32 v81, v12, 16, v13
.LBB242_495:                            ;   in Loop: Header=BB242_12 Depth=1
	s_or_b32 exec_lo, exec_lo, s43
.LBB242_496:                            ;   in Loop: Header=BB242_12 Depth=1
	s_delay_alu instid0(SALU_CYCLE_1)
	s_or_b32 exec_lo, exec_lo, s42
.LBB242_497:                            ;   in Loop: Header=BB242_12 Depth=1
	s_delay_alu instid0(SALU_CYCLE_1)
	s_or_b32 exec_lo, exec_lo, s41
	global_load_u16 v12, v[10:11], off offset:1920
	v_mov_b32_e32 v13, 0
	s_wait_loadcnt 0x0
	v_and_b32_e32 v83, 0xff, v12
	v_and_b32_e32 v12, 0xffff, v12
	s_delay_alu instid0(VALU_DEP_2)
	v_cmp_ne_u16_e64 s4, 0, v83
	v_mov_b32_e32 v83, 0
	s_and_saveexec_b32 s41, s4
	s_cbranch_execz .LBB242_505
; %bb.498:                              ;   in Loop: Header=BB242_12 Depth=1
	v_and_b32_e32 v83, 0xff, v12
	s_delay_alu instid0(VALU_DEP_1)
	v_cmp_ne_u16_e64 s4, 0x80, v83
	v_mov_b32_e32 v83, 0x8000
	s_and_saveexec_b32 s42, s4
	s_cbranch_execz .LBB242_504
; %bb.499:                              ;   in Loop: Header=BB242_12 Depth=1
	v_and_b32_e32 v85, 0x7f, v12
	v_mov_b32_e32 v83, 0x7c01
	s_mov_b32 s43, exec_lo
	s_delay_alu instid0(VALU_DEP_2)
	v_cmpx_ne_u32_e32 0x7f, v85
	s_cbranch_execz .LBB242_503
; %bb.500:                              ;   in Loop: Header=BB242_12 Depth=1
	v_dual_lshrrev_b32 v84, 3, v85 :: v_dual_bitop2_b32 v83, 7, v12 bitop3:0x40
	s_mov_b32 s44, exec_lo
	v_cmpx_gt_u32_e32 8, v85
; %bb.501:                              ;   in Loop: Header=BB242_12 Depth=1
	s_delay_alu instid0(VALU_DEP_2) | instskip(NEXT) | instid1(VALU_DEP_1)
	v_clz_i32_u32_e32 v83, v83
	v_min_u32_e32 v83, 32, v83
	s_delay_alu instid0(VALU_DEP_1) | instskip(NEXT) | instid1(VALU_DEP_1)
	v_subrev_nc_u32_e32 v84, 28, v83
	v_lshlrev_b64_e32 v[86:87], v84, v[12:13]
	s_delay_alu instid0(VALU_DEP_1)
	v_dual_sub_nc_u32 v84, 29, v83 :: v_dual_bitop2_b32 v83, 7, v86 bitop3:0x40
; %bb.502:                              ;   in Loop: Header=BB242_12 Depth=1
	s_or_b32 exec_lo, exec_lo, s44
	s_delay_alu instid0(VALU_DEP_1) | instskip(NEXT) | instid1(VALU_DEP_2)
	v_dual_lshlrev_b32 v85, 8, v12 :: v_dual_lshlrev_b32 v83, 7, v83
	v_lshl_add_u32 v84, v84, 10, 0x2000
	s_delay_alu instid0(VALU_DEP_2) | instskip(NEXT) | instid1(VALU_DEP_2)
	v_and_b32_e32 v85, 0x8000, v85
	v_and_b32_e32 v84, 0xfc00, v84
	s_delay_alu instid0(VALU_DEP_1)
	v_or3_b32 v83, v85, v84, v83
.LBB242_503:                            ;   in Loop: Header=BB242_12 Depth=1
	s_or_b32 exec_lo, exec_lo, s43
.LBB242_504:                            ;   in Loop: Header=BB242_12 Depth=1
	s_delay_alu instid0(SALU_CYCLE_1)
	s_or_b32 exec_lo, exec_lo, s42
.LBB242_505:                            ;   in Loop: Header=BB242_12 Depth=1
	s_delay_alu instid0(SALU_CYCLE_1) | instskip(SKIP_2) | instid1(VALU_DEP_1)
	s_or_b32 exec_lo, exec_lo, s41
	v_lshrrev_b16 v12, 8, v12
	s_mov_b32 s41, exec_lo
	v_cmpx_ne_u16_e32 0, v12
	s_cbranch_execz .LBB242_513
; %bb.506:                              ;   in Loop: Header=BB242_12 Depth=1
	v_bfrev_b32_e32 v13, 1
	s_mov_b32 s42, exec_lo
	v_cmpx_ne_u16_e32 0x80, v12
	s_cbranch_execz .LBB242_512
; %bb.507:                              ;   in Loop: Header=BB242_12 Depth=1
	v_and_b32_e32 v84, 0xffff, v12
	v_mov_b32_e32 v13, 0x7c010000
	s_mov_b32 s43, exec_lo
	s_delay_alu instid0(VALU_DEP_2) | instskip(NEXT) | instid1(VALU_DEP_1)
	v_and_b32_e32 v86, 0x7f, v84
	v_cmpx_ne_u32_e32 0x7f, v86
	s_cbranch_execz .LBB242_511
; %bb.508:                              ;   in Loop: Header=BB242_12 Depth=1
	v_dual_lshrrev_b32 v85, 3, v86 :: v_dual_bitop2_b32 v13, 7, v84 bitop3:0x40
	s_mov_b32 s44, exec_lo
	v_cmpx_gt_u32_e32 8, v86
	s_cbranch_execz .LBB242_510
; %bb.509:                              ;   in Loop: Header=BB242_12 Depth=1
	s_delay_alu instid0(VALU_DEP_2) | instskip(NEXT) | instid1(VALU_DEP_1)
	v_clz_i32_u32_e32 v13, v13
	v_min_u32_e32 v85, 32, v13
	v_mov_b32_e32 v13, v5
	s_delay_alu instid0(VALU_DEP_2) | instskip(SKIP_1) | instid1(VALU_DEP_2)
	v_subrev_nc_u32_e32 v86, 28, v85
	v_sub_nc_u32_e32 v85, 29, v85
	v_lshlrev_b64_e32 v[12:13], v86, v[12:13]
	s_delay_alu instid0(VALU_DEP_1)
	v_and_b32_e32 v13, 7, v12
.LBB242_510:                            ;   in Loop: Header=BB242_12 Depth=1
	s_or_b32 exec_lo, exec_lo, s44
	s_delay_alu instid0(VALU_DEP_1) | instskip(SKIP_1) | instid1(VALU_DEP_1)
	v_dual_lshlrev_b32 v12, 8, v84 :: v_dual_lshlrev_b32 v13, 23, v13
	v_lshl_add_u32 v84, v85, 10, 0x2000
	v_and_or_b32 v12, 0x8000, v12, v84
	s_delay_alu instid0(VALU_DEP_1)
	v_lshl_or_b32 v13, v12, 16, v13
.LBB242_511:                            ;   in Loop: Header=BB242_12 Depth=1
	s_or_b32 exec_lo, exec_lo, s43
.LBB242_512:                            ;   in Loop: Header=BB242_12 Depth=1
	s_delay_alu instid0(SALU_CYCLE_1)
	s_or_b32 exec_lo, exec_lo, s42
.LBB242_513:                            ;   in Loop: Header=BB242_12 Depth=1
	s_delay_alu instid0(SALU_CYCLE_1)
	s_or_b32 exec_lo, exec_lo, s41
	global_load_u16 v10, v[10:11], off offset:1928
	s_wait_xcnt 0x0
	v_mov_b32_e32 v11, 0
	s_wait_loadcnt 0x0
	v_and_b32_e32 v12, 0xff, v10
	v_and_b32_e32 v10, 0xffff, v10
	s_delay_alu instid0(VALU_DEP_2)
	v_cmp_ne_u16_e64 s4, 0, v12
	v_mov_b32_e32 v12, 0
	s_and_saveexec_b32 s41, s4
	s_cbranch_execz .LBB242_521
; %bb.514:                              ;   in Loop: Header=BB242_12 Depth=1
	v_and_b32_e32 v12, 0xff, v10
	s_delay_alu instid0(VALU_DEP_1)
	v_cmp_ne_u16_e64 s4, 0x80, v12
	v_mov_b32_e32 v12, 0x8000
	s_and_saveexec_b32 s42, s4
	s_cbranch_execz .LBB242_520
; %bb.515:                              ;   in Loop: Header=BB242_12 Depth=1
	v_and_b32_e32 v85, 0x7f, v10
	v_mov_b32_e32 v12, 0x7c01
	s_mov_b32 s43, exec_lo
	s_delay_alu instid0(VALU_DEP_2)
	v_cmpx_ne_u32_e32 0x7f, v85
	s_cbranch_execz .LBB242_519
; %bb.516:                              ;   in Loop: Header=BB242_12 Depth=1
	v_dual_lshrrev_b32 v84, 3, v85 :: v_dual_bitop2_b32 v12, 7, v10 bitop3:0x40
	s_mov_b32 s44, exec_lo
	v_cmpx_gt_u32_e32 8, v85
; %bb.517:                              ;   in Loop: Header=BB242_12 Depth=1
	s_delay_alu instid0(VALU_DEP_2) | instskip(NEXT) | instid1(VALU_DEP_1)
	v_clz_i32_u32_e32 v12, v12
	v_min_u32_e32 v12, 32, v12
	s_delay_alu instid0(VALU_DEP_1) | instskip(NEXT) | instid1(VALU_DEP_1)
	v_subrev_nc_u32_e32 v84, 28, v12
	v_lshlrev_b64_e32 v[86:87], v84, v[10:11]
	s_delay_alu instid0(VALU_DEP_1)
	v_dual_sub_nc_u32 v84, 29, v12 :: v_dual_bitop2_b32 v12, 7, v86 bitop3:0x40
; %bb.518:                              ;   in Loop: Header=BB242_12 Depth=1
	s_or_b32 exec_lo, exec_lo, s44
	s_delay_alu instid0(VALU_DEP_1) | instskip(NEXT) | instid1(VALU_DEP_2)
	v_dual_lshlrev_b32 v85, 8, v10 :: v_dual_lshlrev_b32 v12, 7, v12
	v_lshl_add_u32 v84, v84, 10, 0x2000
	s_delay_alu instid0(VALU_DEP_2) | instskip(NEXT) | instid1(VALU_DEP_2)
	v_and_b32_e32 v85, 0x8000, v85
	v_and_b32_e32 v84, 0xfc00, v84
	s_delay_alu instid0(VALU_DEP_1)
	v_or3_b32 v12, v85, v84, v12
.LBB242_519:                            ;   in Loop: Header=BB242_12 Depth=1
	s_or_b32 exec_lo, exec_lo, s43
.LBB242_520:                            ;   in Loop: Header=BB242_12 Depth=1
	s_delay_alu instid0(SALU_CYCLE_1)
	s_or_b32 exec_lo, exec_lo, s42
.LBB242_521:                            ;   in Loop: Header=BB242_12 Depth=1
	s_delay_alu instid0(SALU_CYCLE_1) | instskip(SKIP_2) | instid1(VALU_DEP_1)
	s_or_b32 exec_lo, exec_lo, s41
	v_lshrrev_b16 v10, 8, v10
	s_mov_b32 s41, exec_lo
	v_cmpx_ne_u16_e32 0, v10
	s_cbranch_execz .LBB242_529
; %bb.522:                              ;   in Loop: Header=BB242_12 Depth=1
	v_bfrev_b32_e32 v11, 1
	s_mov_b32 s42, exec_lo
	v_cmpx_ne_u16_e32 0x80, v10
	s_cbranch_execz .LBB242_528
; %bb.523:                              ;   in Loop: Header=BB242_12 Depth=1
	v_and_b32_e32 v84, 0xffff, v10
	v_mov_b32_e32 v11, 0x7c010000
	s_mov_b32 s43, exec_lo
	s_delay_alu instid0(VALU_DEP_2) | instskip(NEXT) | instid1(VALU_DEP_1)
	v_and_b32_e32 v86, 0x7f, v84
	v_cmpx_ne_u32_e32 0x7f, v86
	s_cbranch_execz .LBB242_527
; %bb.524:                              ;   in Loop: Header=BB242_12 Depth=1
	v_dual_lshrrev_b32 v85, 3, v86 :: v_dual_bitop2_b32 v11, 7, v84 bitop3:0x40
	s_mov_b32 s44, exec_lo
	v_cmpx_gt_u32_e32 8, v86
	s_cbranch_execz .LBB242_526
; %bb.525:                              ;   in Loop: Header=BB242_12 Depth=1
	s_delay_alu instid0(VALU_DEP_2) | instskip(NEXT) | instid1(VALU_DEP_1)
	v_clz_i32_u32_e32 v11, v11
	v_min_u32_e32 v85, 32, v11
	v_mov_b32_e32 v11, v5
	s_delay_alu instid0(VALU_DEP_2) | instskip(SKIP_1) | instid1(VALU_DEP_2)
	v_subrev_nc_u32_e32 v86, 28, v85
	v_sub_nc_u32_e32 v85, 29, v85
	v_lshlrev_b64_e32 v[10:11], v86, v[10:11]
	s_delay_alu instid0(VALU_DEP_1)
	v_and_b32_e32 v11, 7, v10
.LBB242_526:                            ;   in Loop: Header=BB242_12 Depth=1
	s_or_b32 exec_lo, exec_lo, s44
	s_delay_alu instid0(VALU_DEP_1) | instskip(SKIP_1) | instid1(VALU_DEP_1)
	v_dual_lshlrev_b32 v10, 8, v84 :: v_dual_lshlrev_b32 v11, 23, v11
	v_lshl_add_u32 v84, v85, 10, 0x2000
	v_and_or_b32 v10, 0x8000, v10, v84
	s_delay_alu instid0(VALU_DEP_1)
	v_lshl_or_b32 v11, v10, 16, v11
.LBB242_527:                            ;   in Loop: Header=BB242_12 Depth=1
	s_or_b32 exec_lo, exec_lo, s43
.LBB242_528:                            ;   in Loop: Header=BB242_12 Depth=1
	s_delay_alu instid0(SALU_CYCLE_1)
	s_or_b32 exec_lo, exec_lo, s42
.LBB242_529:                            ;   in Loop: Header=BB242_12 Depth=1
	s_delay_alu instid0(SALU_CYCLE_1)
	s_or_b32 exec_lo, exec_lo, s41
	ds_load_b32 v10, v15
	v_or_b32_e32 v23, v22, v23
	v_fma_mixlo_f16 v22, v21, v22, 0 op_sel:[0,1,0] op_sel_hi:[0,1,0]
	v_or_b32_e32 v12, v11, v12
	v_fma_mixlo_f16 v11, v21, v11, 0 op_sel:[0,1,0] op_sel_hi:[0,1,0]
	s_delay_alu instid0(VALU_DEP_3) | instskip(NEXT) | instid1(VALU_DEP_3)
	v_and_b32_e32 v22, 0xffff, v22
	v_fma_mixlo_f16 v12, v21, v12, 0 op_sel_hi:[0,1,0]
	s_delay_alu instid0(VALU_DEP_1)
	v_and_b32_e32 v12, 0xffff, v12
	s_wait_dscnt 0x0
	v_and_b32_e32 v84, 0xffff, v10
	v_lshrrev_b32_e32 v10, 16, v10
	v_fma_mixlo_f16 v23, v21, v23, 0 op_sel_hi:[0,1,0]
	;;#ASMSTART
	v_cvt_f32_f16 v96, v84;
	;;#ASMEND
	;;#ASMSTART
	v_cvt_f32_f16 v87, v10;
	;;#ASMEND
	s_delay_alu instid0(VALU_DEP_1)
	v_and_b32_e32 v23, 0xffff, v23
	;;#ASMSTART
	v_cvt_f32_f16 v97, v23;
	;;#ASMEND
	;;#ASMSTART
	v_cvt_f32_f16 v88, v22;
	;;#ASMEND
	ds_load_b32 v10, v15 offset:4
	v_or_b32_e32 v22, v24, v25
	v_fma_mixlo_f16 v23, v21, v24, 0 op_sel:[0,1,0] op_sel_hi:[0,1,0]
	s_delay_alu instid0(VALU_DEP_1)
	v_and_b32_e32 v23, 0xffff, v23
	s_wait_dscnt 0x0
	v_lshrrev_b32_e32 v25, 16, v10
	v_fma_mixlo_f16 v22, v21, v22, 0 op_sel_hi:[0,1,0]
	v_and_b32_e32 v24, 0xffff, v10
	;;#ASMSTART
	v_cvt_f32_f16 v10, v24;
	;;#ASMEND
	v_or_b32_e32 v24, v26, v27
	s_delay_alu instid0(VALU_DEP_3)
	v_and_b32_e32 v84, 0xffff, v22
	;;#ASMSTART
	v_cvt_f32_f16 v22, v25;
	;;#ASMEND
	;;#ASMSTART
	v_cvt_f32_f16 v98, v84;
	;;#ASMEND
	;; [unrolled: 3-line block ×3, first 2 shown]
	ds_load_b32 v23, v15 offset:8
	v_fma_mixlo_f16 v24, v21, v24, 0 op_sel_hi:[0,1,0]
	v_fma_mixlo_f16 v25, v21, v26, 0 op_sel:[0,1,0] op_sel_hi:[0,1,0]
	v_dual_mul_f32 v10, v10, v98 :: v_dual_bitop2_b32 v64, v63, v64 bitop3:0x54
	v_fma_mixlo_f16 v63, v21, v63, 0 op_sel:[0,1,0] op_sel_hi:[0,1,0]
	s_delay_alu instid0(VALU_DEP_4) | instskip(NEXT) | instid1(VALU_DEP_4)
	v_and_b32_e32 v24, 0xffff, v24
	v_and_b32_e32 v27, 0xffff, v25
	s_delay_alu instid0(VALU_DEP_4) | instskip(SKIP_4) | instid1(VALU_DEP_2)
	v_fma_mixlo_f16 v64, v21, v64, 0 op_sel_hi:[0,1,0]
	v_fmac_f32_e32 v10, v96, v97
	v_and_b32_e32 v125, 0xffff, v63
	v_dual_mul_f32 v22, v22, v95 :: v_dual_bitop2_b32 v66, v65, v66 bitop3:0x54
	v_fma_mixlo_f16 v65, v21, v65, 0 op_sel:[0,1,0] op_sel_hi:[0,1,0]
	v_fma_mixlo_f16 v66, v21, v66, 0 op_sel_hi:[0,1,0]
	s_delay_alu instid0(VALU_DEP_2)
	v_and_b32_e32 v65, 0xffff, v65
	s_wait_dscnt 0x0
	v_and_b32_e32 v26, 0xffff, v23
	v_lshrrev_b32_e32 v23, 16, v23
	;;#ASMSTART
	v_cvt_f32_f16 v89, v26;
	;;#ASMEND
	;;#ASMSTART
	v_cvt_f32_f16 v25, v23;
	;;#ASMEND
	;; [unrolled: 3-line block ×4, first 2 shown]
	ds_load_b32 v23, v15 offset:12
	v_or_b32_e32 v24, v28, v30
	v_fma_mixlo_f16 v26, v21, v28, 0 op_sel:[0,1,0] op_sel_hi:[0,1,0]
	v_fma_mixlo_f16 v28, v21, v31, 0 op_sel:[0,1,0] op_sel_hi:[0,1,0]
	v_and_b32_e32 v66, 0xffff, v66
	v_fmac_f32_e32 v10, v89, v90
	v_fma_mixlo_f16 v24, v21, v24, 0 op_sel_hi:[0,1,0]
	v_and_b32_e32 v26, 0xffff, v26
	v_and_b32_e32 v91, 0xffff, v28
	s_delay_alu instid0(VALU_DEP_3)
	v_and_b32_e32 v24, 0xffff, v24
	s_wait_dscnt 0x0
	v_and_b32_e32 v27, 0xffff, v23
	v_lshrrev_b32_e32 v23, 16, v23
	;;#ASMSTART
	v_cvt_f32_f16 v85, v27;
	;;#ASMEND
	v_or_b32_e32 v27, v31, v32
	;;#ASMSTART
	v_cvt_f32_f16 v23, v23;
	;;#ASMEND
	;;#ASMSTART
	v_cvt_f32_f16 v86, v24;
	;;#ASMEND
	;; [unrolled: 3-line block ×3, first 2 shown]
	ds_load_b32 v26, v15 offset:16
	v_fma_mixlo_f16 v27, v21, v27, 0 op_sel_hi:[0,1,0]
	s_delay_alu instid0(VALU_DEP_1)
	v_and_b32_e32 v32, 0xffff, v27
	s_wait_dscnt 0x0
	v_and_b32_e32 v30, 0xffff, v26
	v_lshrrev_b32_e32 v31, 16, v26
	;;#ASMSTART
	v_cvt_f32_f16 v26, v30;
	;;#ASMEND
	;;#ASMSTART
	v_cvt_f32_f16 v27, v31;
	;;#ASMEND
	;; [unrolled: 3-line block ×4, first 2 shown]
	ds_load_b32 v31, v15 offset:20
	v_or_b32_e32 v32, v33, v34
	v_fma_mixlo_f16 v33, v21, v33, 0 op_sel:[0,1,0] op_sel_hi:[0,1,0]
	s_delay_alu instid0(VALU_DEP_1)
	v_and_b32_e32 v93, 0xffff, v33
	s_wait_dscnt 0x0
	v_lshrrev_b32_e32 v91, 16, v31
	v_fma_mixlo_f16 v32, v21, v32, 0 op_sel_hi:[0,1,0]
	v_and_b32_e32 v34, 0xffff, v31
	;;#ASMSTART
	v_cvt_f32_f16 v31, v34;
	;;#ASMEND
	s_delay_alu instid0(VALU_DEP_2)
	v_and_b32_e32 v92, 0xffff, v32
	;;#ASMSTART
	v_cvt_f32_f16 v32, v91;
	;;#ASMEND
	;;#ASMSTART
	v_cvt_f32_f16 v33, v92;
	;;#ASMEND
	;;#ASMSTART
	v_cvt_f32_f16 v34, v93;
	;;#ASMEND
	ds_load_b32 v91, v15 offset:24
	v_or_b32_e32 v36, v35, v36
	v_fma_mixlo_f16 v35, v21, v35, 0 op_sel:[0,1,0] op_sel_hi:[0,1,0]
	s_delay_alu instid0(VALU_DEP_1)
	v_and_b32_e32 v94, 0xffff, v35
	s_wait_dscnt 0x0
	v_and_b32_e32 v92, 0xffff, v91
	v_lshrrev_b32_e32 v91, 16, v91
	v_fma_mixlo_f16 v36, v21, v36, 0 op_sel_hi:[0,1,0]
	;;#ASMSTART
	v_cvt_f32_f16 v35, v92;
	;;#ASMEND
	s_delay_alu instid0(VALU_DEP_1)
	v_and_b32_e32 v93, 0xffff, v36
	;;#ASMSTART
	v_cvt_f32_f16 v36, v91;
	;;#ASMEND
	;;#ASMSTART
	v_cvt_f32_f16 v91, v93;
	;;#ASMEND
	;;#ASMSTART
	v_cvt_f32_f16 v92, v94;
	;;#ASMEND
	ds_load_b32 v93, v15 offset:28
	v_or_b32_e32 v38, v37, v38
	v_fma_mixlo_f16 v37, v21, v37, 0 op_sel:[0,1,0] op_sel_hi:[0,1,0]
	s_delay_alu instid0(VALU_DEP_1)
	v_and_b32_e32 v100, 0xffff, v37
	s_wait_dscnt 0x0
	v_and_b32_e32 v94, 0xffff, v93
	v_lshrrev_b32_e32 v93, 16, v93
	v_fma_mixlo_f16 v38, v21, v38, 0 op_sel_hi:[0,1,0]
	;;#ASMSTART
	v_cvt_f32_f16 v37, v94;
	;;#ASMEND
	s_delay_alu instid0(VALU_DEP_1)
	;; [unrolled: 23-line block ×14, first 2 shown]
	v_and_b32_e32 v123, 0xffff, v62
	;;#ASMSTART
	v_cvt_f32_f16 v62, v121;
	;;#ASMEND
	;;#ASMSTART
	v_cvt_f32_f16 v121, v123;
	;;#ASMEND
	;; [unrolled: 3-line block ×3, first 2 shown]
	ds_load_b32 v123, v15 offset:80
	v_and_b32_e32 v124, 0xffff, v64
	s_wait_dscnt 0x0
	v_and_b32_e32 v98, 0xffff, v123
	v_lshrrev_b32_e32 v123, 16, v123
	;;#ASMSTART
	v_cvt_f32_f16 v63, v98;
	;;#ASMEND
	;;#ASMSTART
	v_cvt_f32_f16 v64, v123;
	;;#ASMEND
	;; [unrolled: 3-line block ×4, first 2 shown]
	ds_load_b32 v98, v15 offset:84
	s_wait_dscnt 0x0
	v_and_b32_e32 v123, 0xffff, v98
	v_lshrrev_b32_e32 v98, 16, v98
	;;#ASMSTART
	v_cvt_f32_f16 v95, v123;
	;;#ASMEND
	;;#ASMSTART
	v_cvt_f32_f16 v98, v98;
	;;#ASMEND
	;; [unrolled: 3-line block ×4, first 2 shown]
	ds_load_b32 v65, v15 offset:88
	v_or_b32_e32 v66, v67, v68
	v_fma_mixlo_f16 v67, v21, v67, 0 op_sel:[0,1,0] op_sel_hi:[0,1,0]
	v_fmac_f32_e32 v22, v87, v88
	s_delay_alu instid0(VALU_DEP_3) | instskip(NEXT) | instid1(VALU_DEP_3)
	v_fma_mixlo_f16 v66, v21, v66, 0 op_sel_hi:[0,1,0]
	v_and_b32_e32 v67, 0xffff, v67
	s_delay_alu instid0(VALU_DEP_2)
	v_and_b32_e32 v66, 0xffff, v66
	s_wait_dscnt 0x0
	v_and_b32_e32 v68, 0xffff, v65
	v_lshrrev_b32_e32 v65, 16, v65
	;;#ASMSTART
	v_cvt_f32_f16 v68, v68;
	;;#ASMEND
	;;#ASMSTART
	v_cvt_f32_f16 v87, v65;
	;;#ASMEND
	;; [unrolled: 3-line block ×4, first 2 shown]
	ds_load_b32 v65, v15 offset:92
	v_or_b32_e32 v66, v69, v70
	v_fma_mixlo_f16 v67, v21, v69, 0 op_sel:[0,1,0] op_sel_hi:[0,1,0]
	s_delay_alu instid0(VALU_DEP_1)
	v_and_b32_e32 v67, 0xffff, v67
	s_wait_dscnt 0x0
	v_and_b32_e32 v69, 0xffff, v65
	v_lshrrev_b32_e32 v65, 16, v65
	v_fma_mixlo_f16 v66, v21, v66, 0 op_sel_hi:[0,1,0]
	;;#ASMSTART
	v_cvt_f32_f16 v69, v69;
	;;#ASMEND
	;;#ASMSTART
	v_cvt_f32_f16 v70, v65;
	;;#ASMEND
	s_delay_alu instid0(VALU_DEP_1)
	v_and_b32_e32 v66, 0xffff, v66
	;;#ASMSTART
	v_cvt_f32_f16 v89, v66;
	;;#ASMEND
	;;#ASMSTART
	v_cvt_f32_f16 v90, v67;
	;;#ASMEND
	ds_load_b32 v65, v15 offset:96
	v_or_b32_e32 v66, v71, v72
	v_fma_mixlo_f16 v67, v21, v71, 0 op_sel:[0,1,0] op_sel_hi:[0,1,0]
	v_fmac_f32_e32 v22, v25, v84
	v_fmac_f32_e32 v10, v85, v86
	s_delay_alu instid0(VALU_DEP_4) | instskip(NEXT) | instid1(VALU_DEP_4)
	v_fma_mixlo_f16 v66, v21, v66, 0 op_sel_hi:[0,1,0]
	v_and_b32_e32 v67, 0xffff, v67
	s_delay_alu instid0(VALU_DEP_2)
	v_and_b32_e32 v66, 0xffff, v66
	s_wait_dscnt 0x0
	v_and_b32_e32 v25, 0xffff, v65
	v_lshrrev_b32_e32 v65, 16, v65
	;;#ASMSTART
	v_cvt_f32_f16 v71, v25;
	;;#ASMEND
	;;#ASMSTART
	v_cvt_f32_f16 v72, v65;
	;;#ASMEND
	;;#ASMSTART
	v_cvt_f32_f16 v84, v66;
	;;#ASMEND
	;;#ASMSTART
	v_cvt_f32_f16 v67, v67;
	;;#ASMEND
	ds_load_b32 v25, v15 offset:100
	v_or_b32_e32 v65, v73, v74
	v_fma_mixlo_f16 v66, v21, v73, 0 op_sel:[0,1,0] op_sel_hi:[0,1,0]
	s_delay_alu instid0(VALU_DEP_1)
	v_and_b32_e32 v66, 0xffff, v66
	s_wait_dscnt 0x0
	v_and_b32_e32 v73, 0xffff, v25
	v_lshrrev_b32_e32 v25, 16, v25
	v_fma_mixlo_f16 v65, v21, v65, 0 op_sel_hi:[0,1,0]
	;;#ASMSTART
	v_cvt_f32_f16 v73, v73;
	;;#ASMEND
	;;#ASMSTART
	v_cvt_f32_f16 v74, v25;
	;;#ASMEND
	s_delay_alu instid0(VALU_DEP_1)
	v_and_b32_e32 v65, 0xffff, v65
	;;#ASMSTART
	v_cvt_f32_f16 v85, v65;
	;;#ASMEND
	;;#ASMSTART
	v_cvt_f32_f16 v86, v66;
	;;#ASMEND
	ds_load_b32 v25, v15 offset:104
	v_or_b32_e32 v65, v75, v76
	v_fma_mixlo_f16 v66, v21, v75, 0 op_sel:[0,1,0] op_sel_hi:[0,1,0]
	v_fmac_f32_e32 v22, v23, v24
	v_fmac_f32_e32 v10, v26, v28
	s_delay_alu instid0(VALU_DEP_4) | instskip(NEXT) | instid1(VALU_DEP_4)
	v_fma_mixlo_f16 v23, v21, v65, 0 op_sel_hi:[0,1,0]
	v_and_b32_e32 v24, 0xffff, v66
	s_delay_alu instid0(VALU_DEP_2)
	v_and_b32_e32 v23, 0xffff, v23
	s_wait_dscnt 0x0
	v_and_b32_e32 v26, 0xffff, v25
	v_dual_fmac_f32 v22, v27, v30 :: v_dual_lshrrev_b32 v25, 16, v25
	;;#ASMSTART
	v_cvt_f32_f16 v26, v26;
	;;#ASMEND
	;;#ASMSTART
	v_cvt_f32_f16 v27, v25;
	;;#ASMEND
	;; [unrolled: 3-line block ×4, first 2 shown]
	v_dual_fmac_f32 v10, v31, v33 :: v_dual_bitop2_b32 v24, v77, v78 bitop3:0x54
	ds_load_b32 v23, v15 offset:108
	v_fma_mixlo_f16 v25, v21, v77, 0 op_sel:[0,1,0] op_sel_hi:[0,1,0]
	v_fma_mixlo_f16 v24, v21, v24, 0 op_sel_hi:[0,1,0]
	v_fmac_f32_e32 v10, v35, v91
	s_delay_alu instid0(VALU_DEP_3) | instskip(NEXT) | instid1(VALU_DEP_3)
	v_and_b32_e32 v25, 0xffff, v25
	v_and_b32_e32 v24, 0xffff, v24
	s_delay_alu instid0(VALU_DEP_3) | instskip(NEXT) | instid1(VALU_DEP_1)
	v_fmac_f32_e32 v10, v37, v93
	v_fmac_f32_e32 v10, v39, v99
	s_delay_alu instid0(VALU_DEP_1)
	v_fmac_f32_e32 v10, v41, v101
	s_wait_dscnt 0x0
	v_and_b32_e32 v31, 0xffff, v23
	v_dual_fmac_f32 v22, v32, v34 :: v_dual_lshrrev_b32 v23, 16, v23
	;;#ASMSTART
	v_cvt_f32_f16 v31, v31;
	;;#ASMEND
	v_fmac_f32_e32 v10, v43, v103
	;;#ASMSTART
	v_cvt_f32_f16 v32, v23;
	;;#ASMEND
	;;#ASMSTART
	v_cvt_f32_f16 v33, v24;
	;;#ASMEND
	;; [unrolled: 3-line block ×3, first 2 shown]
	ds_load_b32 v23, v15 offset:112
	v_dual_fmac_f32 v10, v45, v105 :: v_dual_bitop2_b32 v24, v79, v80 bitop3:0x54
	v_fmac_f32_e32 v22, v36, v92
	v_fma_mixlo_f16 v25, v21, v79, 0 op_sel:[0,1,0] op_sel_hi:[0,1,0]
	s_delay_alu instid0(VALU_DEP_3) | instskip(NEXT) | instid1(VALU_DEP_4)
	v_fmac_f32_e32 v10, v47, v107
	v_fma_mixlo_f16 v24, v21, v24, 0 op_sel_hi:[0,1,0]
	s_delay_alu instid0(VALU_DEP_4) | instskip(NEXT) | instid1(VALU_DEP_4)
	v_fmac_f32_e32 v22, v38, v94
	v_and_b32_e32 v25, 0xffff, v25
	s_delay_alu instid0(VALU_DEP_4) | instskip(NEXT) | instid1(VALU_DEP_4)
	v_fmac_f32_e32 v10, v49, v109
	v_and_b32_e32 v24, 0xffff, v24
	s_delay_alu instid0(VALU_DEP_4) | instskip(NEXT) | instid1(VALU_DEP_3)
	v_fmac_f32_e32 v22, v40, v100
	v_fmac_f32_e32 v10, v51, v111
	s_delay_alu instid0(VALU_DEP_2) | instskip(SKIP_2) | instid1(VALU_DEP_3)
	v_fmac_f32_e32 v22, v42, v102
	s_wait_dscnt 0x0
	v_and_b32_e32 v35, 0xffff, v23
	v_dual_fmac_f32 v10, v53, v113 :: v_dual_lshrrev_b32 v23, 16, v23
	;;#ASMSTART
	v_cvt_f32_f16 v35, v35;
	;;#ASMEND
	;;#ASMSTART
	v_cvt_f32_f16 v36, v23;
	;;#ASMEND
	;; [unrolled: 3-line block ×3, first 2 shown]
	s_delay_alu instid0(VALU_DEP_1)
	v_fmac_f32_e32 v10, v55, v115
	;;#ASMSTART
	v_cvt_f32_f16 v38, v25;
	;;#ASMEND
	ds_load_b32 v23, v15 offset:116
	v_or_b32_e32 v24, v81, v82
	v_fma_mixlo_f16 v25, v21, v81, 0 op_sel:[0,1,0] op_sel_hi:[0,1,0]
	v_fmac_f32_e32 v10, v57, v117
	s_delay_alu instid0(VALU_DEP_3) | instskip(NEXT) | instid1(VALU_DEP_3)
	v_fma_mixlo_f16 v24, v21, v24, 0 op_sel_hi:[0,1,0]
	v_and_b32_e32 v25, 0xffff, v25
	s_delay_alu instid0(VALU_DEP_3) | instskip(NEXT) | instid1(VALU_DEP_3)
	v_fmac_f32_e32 v10, v59, v119
	v_and_b32_e32 v24, 0xffff, v24
	s_delay_alu instid0(VALU_DEP_2) | instskip(NEXT) | instid1(VALU_DEP_1)
	v_fmac_f32_e32 v10, v61, v121
	v_fmac_f32_e32 v10, v63, v96
	s_wait_dscnt 0x0
	v_and_b32_e32 v39, 0xffff, v23
	v_lshrrev_b32_e32 v23, 16, v23
	;;#ASMSTART
	v_cvt_f32_f16 v39, v39;
	;;#ASMEND
	;;#ASMSTART
	v_cvt_f32_f16 v40, v23;
	;;#ASMEND
	;; [unrolled: 3-line block ×4, first 2 shown]
	ds_load_b32 v23, v15 offset:120
	v_fmac_f32_e32 v10, v95, v123
	v_or_b32_e32 v24, v13, v83
	v_fma_mixlo_f16 v13, v21, v13, 0 op_sel:[0,1,0] op_sel_hi:[0,1,0]
	s_delay_alu instid0(VALU_DEP_3) | instskip(NEXT) | instid1(VALU_DEP_3)
	v_fmac_f32_e32 v10, v68, v88
	v_fma_mixlo_f16 v24, v21, v24, 0 op_sel_hi:[0,1,0]
	s_delay_alu instid0(VALU_DEP_3) | instskip(SKIP_1) | instid1(VALU_DEP_4)
	v_and_b32_e32 v13, 0xffff, v13
	v_and_b32_e32 v21, 0xffff, v11
	v_fmac_f32_e32 v10, v69, v89
	s_delay_alu instid0(VALU_DEP_4) | instskip(NEXT) | instid1(VALU_DEP_2)
	v_and_b32_e32 v24, 0xffff, v24
	v_fmac_f32_e32 v10, v71, v84
	s_wait_dscnt 0x0
	v_and_b32_e32 v42, 0xffff, v23
	v_lshrrev_b32_e32 v23, 16, v23
	;;#ASMSTART
	v_cvt_f32_f16 v42, v42;
	;;#ASMEND
	;;#ASMSTART
	v_cvt_f32_f16 v43, v23;
	;;#ASMEND
	v_dual_fmac_f32 v10, v73, v85 :: v_dual_bitop2_b32 v23, 2, v3 bitop3:0x14
	;;#ASMSTART
	v_cvt_f32_f16 v24, v24;
	;;#ASMEND
	s_delay_alu instid0(VALU_DEP_1) | instskip(NEXT) | instid1(VALU_DEP_1)
	v_cmp_gt_i32_e64 s4, 32, v23
	v_dual_fmac_f32 v10, v26, v28 :: v_dual_cndmask_b32 v11, v3, v23, s4
	v_fmac_f32_e32 v22, v44, v104
	;;#ASMSTART
	v_cvt_f32_f16 v44, v13;
	;;#ASMEND
	ds_load_b32 v13, v15 offset:124
	v_dual_fmac_f32 v10, v31, v33 :: v_dual_lshlrev_b32 v11, 2, v11
	s_delay_alu instid0(VALU_DEP_1) | instskip(NEXT) | instid1(VALU_DEP_1)
	v_fmac_f32_e32 v10, v35, v37
	v_fmac_f32_e32 v10, v39, v41
	s_delay_alu instid0(VALU_DEP_1)
	v_fmac_f32_e32 v10, v42, v24
	s_wait_dscnt 0x0
	v_and_b32_e32 v23, 0xffff, v13
	v_lshrrev_b32_e32 v13, 16, v13
	;;#ASMSTART
	v_cvt_f32_f16 v23, v23;
	;;#ASMEND
	;;#ASMSTART
	v_cvt_f32_f16 v13, v13;
	;;#ASMEND
	;; [unrolled: 3-line block ×3, first 2 shown]
	v_dual_fmac_f32 v10, v23, v12 :: v_dual_bitop2_b32 v12, 1, v3 bitop3:0x14
	;;#ASMSTART
	v_cvt_f32_f16 v21, v21;
	;;#ASMEND
	s_delay_alu instid0(VALU_DEP_1) | instskip(NEXT) | instid1(VALU_DEP_1)
	v_cmp_gt_i32_e64 s4, 32, v12
	v_dual_fmac_f32 v22, v46, v106 :: v_dual_cndmask_b32 v12, v3, v12, s4
	s_delay_alu instid0(VALU_DEP_1) | instskip(NEXT) | instid1(VALU_DEP_1)
	v_fmac_f32_e32 v22, v48, v108
	v_fmac_f32_e32 v22, v50, v110
	s_delay_alu instid0(VALU_DEP_1) | instskip(NEXT) | instid1(VALU_DEP_1)
	v_fmac_f32_e32 v22, v52, v112
	v_fmac_f32_e32 v22, v54, v114
	;; [unrolled: 3-line block ×10, first 2 shown]
	s_delay_alu instid0(VALU_DEP_1)
	v_add_f32_e32 v10, v10, v22
	ds_bpermute_b32 v11, v11, v10
	s_wait_dscnt 0x0
	v_dual_add_f32 v10, v10, v11 :: v_dual_lshlrev_b32 v11, 2, v12
	ds_bpermute_b32 v11, v11, v10
	s_and_saveexec_b32 s41, s3
	s_cbranch_execz .LBB242_10
; %bb.530:                              ;   in Loop: Header=BB242_12 Depth=1
	s_wait_dscnt 0x0
	v_dual_add_nc_u32 v12, v17, v4 :: v_dual_add_f32 v10, v10, v11
	s_delay_alu instid0(VALU_DEP_1) | instskip(NEXT) | instid1(VALU_DEP_1)
	v_cvt_f32_i32_e32 v12, v12
	v_mul_f32_e32 v12, s37, v12
	s_delay_alu instid0(VALU_DEP_1) | instskip(NEXT) | instid1(VALU_DEP_1)
	v_cndmask_b32_e32 v11, 0, v12, vcc_lo
	v_dual_fmac_f32 v11, s27, v10 :: v_dual_add_nc_u32 v10, v14, v4
	s_delay_alu instid0(VALU_DEP_1) | instskip(NEXT) | instid1(VALU_DEP_1)
	v_cmp_gt_i32_e64 s4, s34, v10
	v_dual_max_num_f32 v12, v16, v16 :: v_dual_cndmask_b32 v10, 0, v11, s4
	s_delay_alu instid0(VALU_DEP_1)
	v_max_num_f32_e32 v12, v12, v11
	ds_store_b32 v18, v10
	v_cndmask_b32_e64 v16, v16, v12, s4
	s_branch .LBB242_10
.LBB242_531:
	s_or_b32 exec_lo, exec_lo, s40
.LBB242_532:
	s_delay_alu instid0(SALU_CYCLE_1)
	s_or_b32 exec_lo, exec_lo, s26
	v_dual_max_num_f32 v7, v16, v16 :: v_dual_bitop2_b32 v4, 16, v3 bitop3:0x14
	s_clause 0x1
	s_load_b64 s[4:5], s[0:1], 0x0
	s_load_b64 s[26:27], s[0:1], 0x18
	v_and_b32_e32 v30, 31, v0
	v_xor_b32_e32 v6, 8, v3
	v_cmp_gt_i32_e32 vcc_lo, 32, v4
	v_cndmask_b32_e32 v4, v3, v4, vcc_lo
	s_delay_alu instid0(VALU_DEP_3) | instskip(NEXT) | instid1(VALU_DEP_2)
	v_cmp_gt_i32_e32 vcc_lo, 32, v6
	v_dual_lshlrev_b32 v4, 2, v4 :: v_dual_cndmask_b32 v6, v3, v6, vcc_lo
	ds_bpermute_b32 v5, v4, v16
	s_wait_dscnt 0x0
	v_dual_max_num_f32 v8, v5, v5 :: v_dual_lshlrev_b32 v5, 2, v6
	s_delay_alu instid0(VALU_DEP_1) | instskip(SKIP_4) | instid1(VALU_DEP_1)
	v_dual_max_num_f32 v6, v7, v8 :: v_dual_bitop2_b32 v8, 4, v3 bitop3:0x14
	ds_bpermute_b32 v7, v5, v6
	v_cmp_gt_i32_e32 vcc_lo, 32, v8
	v_cndmask_b32_e32 v8, v3, v8, vcc_lo
	s_wait_dscnt 0x0
	v_dual_max_num_f32 v7, v7, v7 :: v_dual_lshlrev_b32 v8, 2, v8
	s_delay_alu instid0(VALU_DEP_1)
	v_dual_max_num_f32 v7, v6, v7 :: v_dual_lshlrev_b32 v6, 2, v29
	v_cmp_eq_u32_e32 vcc_lo, 0, v30
	ds_bpermute_b32 v9, v8, v7
	s_wait_xcnt 0x0
	s_and_saveexec_b32 s0, vcc_lo
	s_cbranch_execz .LBB242_534
; %bb.533:
	s_wait_dscnt 0x0
	v_dual_max_num_f32 v9, v9, v9 :: v_dual_max_num_f32 v7, v7, v7
	s_delay_alu instid0(VALU_DEP_1)
	v_max_num_f32_e32 v7, v7, v9
	ds_store_b32 v6, v7 offset:512
.LBB242_534:
	s_or_b32 exec_lo, exec_lo, s0
	v_cmp_gt_u32_e64 s0, 4, v30
	v_dual_mov_b32 v10, 0xff7fffff :: v_dual_lshlrev_b32 v7, 2, v30
	s_wait_dscnt 0x0
	s_barrier_signal -1
	s_barrier_wait -1
	s_and_saveexec_b32 s1, s0
; %bb.535:
	ds_load_b32 v10, v7 offset:512
; %bb.536:
	s_or_b32 exec_lo, exec_lo, s1
	v_xor_b32_e32 v9, 2, v3
	v_xor_b32_e32 v12, 1, v3
	s_delay_alu instid0(VALU_DEP_2) | instskip(NEXT) | instid1(VALU_DEP_1)
	v_cmp_gt_i32_e64 s1, 32, v9
	v_cndmask_b32_e64 v9, v3, v9, s1
	s_delay_alu instid0(VALU_DEP_3) | instskip(NEXT) | instid1(VALU_DEP_1)
	v_cmp_gt_i32_e64 s1, 32, v12
	v_dual_lshlrev_b32 v9, 2, v9 :: v_dual_cndmask_b32 v3, v3, v12, s1
	s_lshl_b32 s1, s12, 3
	s_delay_alu instid0(SALU_CYCLE_1)
	s_min_i32 s8, s1, s34
	s_wait_dscnt 0x0
	ds_bpermute_b32 v11, v9, v10
	v_max_num_f32_e32 v10, v10, v10
	v_cmp_gt_i32_e64 s1, s8, v0
	v_lshlrev_b32_e32 v3, 2, v3
	s_wait_dscnt 0x0
	v_max_num_f32_e32 v11, v11, v11
	s_delay_alu instid0(VALU_DEP_1) | instskip(SKIP_3) | instid1(VALU_DEP_1)
	v_max_num_f32_e32 v10, v10, v11
	ds_bpermute_b32 v11, v3, v10
	s_wait_dscnt 0x0
	v_max_num_f32_e32 v11, v11, v11
	v_dual_max_num_f32 v11, v10, v11 :: v_dual_mov_b32 v10, 0
	ds_bpermute_b32 v11, v10, v11
	s_and_saveexec_b32 s9, s1
	s_cbranch_execz .LBB242_540
; %bb.537:
	v_lshl_add_u32 v12, v0, 2, 0x220
	v_dual_mov_b32 v10, 0 :: v_dual_mov_b32 v13, v0
	s_mov_b32 s19, 0
.LBB242_538:                            ; =>This Inner Loop Header: Depth=1
	ds_load_b32 v14, v12
	v_add_nc_u32_e32 v13, 0x80, v13
	s_delay_alu instid0(VALU_DEP_1) | instskip(SKIP_3) | instid1(VALU_DEP_1)
	v_cmp_le_i32_e64 s3, s8, v13
	s_or_b32 s19, s3, s19
	s_wait_dscnt 0x0
	v_sub_f32_e32 v14, v14, v11
	v_mul_f32_e32 v14, 0x3fb8aa3b, v14
	s_delay_alu instid0(VALU_DEP_1)
	v_exp_f32_e32 v14, v14
	ds_store_b32 v12, v14
	v_nop
	v_add_f32_e32 v10, v10, v14
	v_add_nc_u32_e32 v12, 0x200, v12
	s_and_not1_b32 exec_lo, exec_lo, s19
	s_cbranch_execnz .LBB242_538
; %bb.539:
	s_or_b32 exec_lo, exec_lo, s19
.LBB242_540:
	s_delay_alu instid0(SALU_CYCLE_1)
	s_or_b32 exec_lo, exec_lo, s9
	ds_bpermute_b32 v4, v4, v10
	s_wait_dscnt 0x0
	v_add_f32_e32 v4, v10, v4
	ds_bpermute_b32 v5, v5, v4
	s_wait_dscnt 0x0
	v_add_f32_e32 v4, v4, v5
	;; [unrolled: 3-line block ×5, first 2 shown]
	s_and_saveexec_b32 s3, vcc_lo
; %bb.541:
	ds_store_b32 v6, v4 offset:528
; %bb.542:
	s_or_b32 exec_lo, exec_lo, s3
	s_wait_dscnt 0x0
	s_barrier_signal -1
	s_barrier_wait -1
	s_and_saveexec_b32 s3, s0
; %bb.543:
	ds_load_b32 v4, v7 offset:528
; %bb.544:
	s_or_b32 exec_lo, exec_lo, s3
	s_wait_dscnt 0x0
	ds_bpermute_b32 v5, v9, v4
	s_wait_dscnt 0x0
	v_add_f32_e32 v4, v4, v5
	ds_bpermute_b32 v3, v3, v4
	s_wait_dscnt 0x0
	v_dual_add_f32 v3, v4, v3 :: v_dual_mov_b32 v4, 0
	ds_bpermute_b32 v3, v4, v3
	s_and_saveexec_b32 s0, s1
	s_cbranch_execz .LBB242_557
; %bb.545:
	s_wait_dscnt 0x0
	v_add_f32_e32 v3, 0x358637bd, v3
	s_mov_b32 s3, -1
	s_mov_b32 s1, exec_lo
	s_delay_alu instid0(VALU_DEP_1) | instskip(NEXT) | instid1(VALU_DEP_1)
	v_div_scale_f32 v4, null, v3, v3, 1.0
	v_rcp_f32_e32 v6, v4
	v_nop
	s_delay_alu instid0(TRANS32_DEP_1) | instskip(NEXT) | instid1(VALU_DEP_1)
	v_fma_f32 v5, -v4, v6, 1.0
	v_fmac_f32_e32 v6, v5, v6
	v_div_scale_f32 v7, vcc_lo, 1.0, v3, 1.0
	s_delay_alu instid0(VALU_DEP_1) | instskip(NEXT) | instid1(VALU_DEP_1)
	v_mul_f32_e32 v8, v7, v6
	v_fma_f32 v5, -v4, v8, v7
	s_delay_alu instid0(VALU_DEP_1) | instskip(SKIP_1) | instid1(VALU_DEP_2)
	v_fmac_f32_e32 v8, v5, v6
	v_xad_u32 v5, v0, -1, s8
	v_fma_f32 v4, -v4, v8, v7
	s_delay_alu instid0(VALU_DEP_1) | instskip(NEXT) | instid1(VALU_DEP_1)
	v_div_fmas_f32 v4, v4, v6, v8
	v_div_fixup_f32 v4, v4, v3, 1.0
	v_mov_b32_e32 v3, v0
	v_cmpx_lt_u32_e32 0x7f, v5
	s_cbranch_execz .LBB242_554
; %bb.546:
	s_delay_alu instid0(VALU_DEP_3) | instskip(NEXT) | instid1(VALU_DEP_1)
	v_dual_lshrrev_b32 v3, 7, v5 :: v_dual_mov_b32 v5, v4
	v_dual_mov_b32 v9, 0 :: v_dual_add_nc_u32 v6, -1, v3
	s_delay_alu instid0(VALU_DEP_1) | instskip(SKIP_1) | instid1(VALU_DEP_2)
	v_lshrrev_b32_e32 v7, 1, v6
	v_cmp_lt_u32_e32 vcc_lo, 13, v6
	v_add_nc_u32_e32 v6, 1, v7
	s_and_saveexec_b32 s3, vcc_lo
	s_cbranch_execz .LBB242_550
; %bb.547:
	s_delay_alu instid0(VALU_DEP_1)
	v_and_b32_e32 v7, -8, v6
	v_lshl_add_u32 v8, v0, 2, 0x220
	s_mov_b32 s9, 0
	s_mov_b32 s19, 0
.LBB242_548:                            ; =>This Inner Loop Header: Depth=1
	ds_load_2addr_stride64_b32 v[10:11], v8 offset1:2
	ds_load_2addr_stride64_b32 v[12:13], v8 offset0:4 offset1:6
	ds_load_2addr_stride64_b32 v[14:15], v8 offset0:8 offset1:10
	;; [unrolled: 1-line block ×7, first 2 shown]
	s_add_co_i32 s19, s19, 16
	s_delay_alu instid0(SALU_CYCLE_1) | instskip(NEXT) | instid1(VALU_DEP_1)
	v_dual_add_nc_u32 v7, -8, v7 :: v_dual_mov_b32 v9, s19
	v_cmp_eq_u32_e32 vcc_lo, 0, v7
	s_or_b32 s9, vcc_lo, s9
	s_wait_dscnt 0x7
	v_pk_mul_f32 v[10:11], v[4:5], v[10:11]
	s_wait_dscnt 0x6
	v_pk_mul_f32 v[12:13], v[4:5], v[12:13]
	;; [unrolled: 2-line block ×8, first 2 shown]
	ds_store_2addr_stride64_b32 v8, v10, v11 offset1:2
	ds_store_2addr_stride64_b32 v8, v12, v13 offset0:4 offset1:6
	ds_store_2addr_stride64_b32 v8, v14, v15 offset0:8 offset1:10
	;; [unrolled: 1-line block ×7, first 2 shown]
	v_add_nc_u32_e32 v8, 0x2000, v8
	s_and_not1_b32 exec_lo, exec_lo, s9
	s_cbranch_execnz .LBB242_548
; %bb.549:
	s_or_b32 exec_lo, exec_lo, s9
.LBB242_550:
	s_delay_alu instid0(SALU_CYCLE_1) | instskip(NEXT) | instid1(VALU_DEP_1)
	s_or_b32 exec_lo, exec_lo, s3
	v_and_b32_e32 v6, 7, v6
	s_mov_b32 s9, 0
	s_mov_b32 s3, exec_lo
	s_delay_alu instid0(VALU_DEP_1)
	v_cmpx_ne_u32_e32 0, v6
	s_cbranch_execz .LBB242_553
; %bb.551:
	v_dual_lshlrev_b32 v7, 9, v9 :: v_dual_lshlrev_b32 v8, 2, v0
	s_delay_alu instid0(VALU_DEP_1)
	v_add3_u32 v7, v7, v8, 0x220
.LBB242_552:                            ; =>This Inner Loop Header: Depth=1
	ds_load_2addr_stride64_b32 v[8:9], v7 offset1:2
	v_add_nc_u32_e32 v6, -1, v6
	s_delay_alu instid0(VALU_DEP_1)
	v_cmp_eq_u32_e32 vcc_lo, 0, v6
	s_or_b32 s9, vcc_lo, s9
	s_wait_dscnt 0x0
	v_pk_mul_f32 v[8:9], v[4:5], v[8:9]
	ds_store_2addr_stride64_b32 v7, v8, v9 offset1:2
	v_add_nc_u32_e32 v7, 0x400, v7
	s_and_not1_b32 exec_lo, exec_lo, s9
	s_cbranch_execnz .LBB242_552
.LBB242_553:
	s_or_b32 exec_lo, exec_lo, s3
	v_add_nc_u32_e32 v3, 1, v3
	s_delay_alu instid0(VALU_DEP_1) | instskip(NEXT) | instid1(VALU_DEP_1)
	v_and_b32_e32 v5, 0x3fffffe, v3
	v_cmp_ne_u32_e32 vcc_lo, v3, v5
	v_lshl_add_u32 v3, v5, 7, v0
	s_or_not1_b32 s3, vcc_lo, exec_lo
.LBB242_554:
	s_or_b32 exec_lo, exec_lo, s1
	s_delay_alu instid0(SALU_CYCLE_1)
	s_and_b32 exec_lo, exec_lo, s3
	s_cbranch_execz .LBB242_557
; %bb.555:
	v_lshl_add_u32 v5, v3, 2, 0x220
	s_mov_b32 s1, 0
.LBB242_556:                            ; =>This Inner Loop Header: Depth=1
	ds_load_b32 v6, v5
	s_wait_dscnt 0x0
	v_dual_mul_f32 v6, v4, v6 :: v_dual_add_nc_u32 v3, 0x80, v3
	s_delay_alu instid0(VALU_DEP_1) | instskip(SKIP_3) | instid1(SALU_CYCLE_1)
	v_cmp_le_i32_e32 vcc_lo, s8, v3
	ds_store_b32 v5, v6
	v_add_nc_u32_e32 v5, 0x200, v5
	s_or_b32 s1, vcc_lo, s1
	s_and_not1_b32 exec_lo, exec_lo, s1
	s_cbranch_execnz .LBB242_556
.LBB242_557:
	s_or_b32 exec_lo, exec_lo, s0
	v_mov_b64_e32 v[4:5], 0
	v_mov_b64_e32 v[6:7], 0
	;; [unrolled: 1-line block ×4, first 2 shown]
	s_wait_dscnt 0x0
	s_barrier_signal -1
	s_barrier_wait -1
	s_and_saveexec_b32 s1, s2
	s_cbranch_execz .LBB242_1091
; %bb.558:
	s_abs_i32 s14, s14
	v_dual_mov_b32 v13, 0 :: v_dual_lshlrev_b32 v12, 3, v30
	s_cvt_f32_u32 s0, s14
	s_ashr_i32 s19, s18, 31
	s_lshl_b64 s[24:25], s[24:25], 2
	s_wait_kmcnt 0x0
	s_add_nc_u64 s[18:19], s[26:27], s[18:19]
	v_rcp_iflag_f32_e32 v3, s0
	v_add_nc_u64_e32 v[14:15], s[18:19], v[12:13]
	v_and_b32_e32 v12, 0x7c, v1
	s_add_nc_u64 s[18:19], s[22:23], s[24:25]
	s_sub_co_i32 s2, 0, s14
	v_mov_b64_e32 v[8:9], 0
	v_mov_b64_e32 v[10:11], 0
	v_readfirstlane_b32 s0, v3
	v_mov_b64_e32 v[6:7], 0
	v_mov_b64_e32 v[4:5], 0
	v_add_nc_u64_e32 v[16:17], s[18:19], v[12:13]
	v_lshl_add_u32 v31, v29, 5, 0x220
	s_mul_f32 s0, s0, 0x4f7ffffe
	v_mov_b32_e32 v32, v29
	s_mov_b32 s3, 0
	s_sub_co_i32 s13, s36, s13
	s_cvt_u32_f32 s0, s0
	s_add_co_i32 s28, s12, -1
	s_mov_b64 s[8:9], 0xffffffffffffff
	s_mov_b32 s18, s34
	s_mul_i32 s2, s2, s0
	s_mov_b32 s19, s3
	s_mul_hi_u32 s2, s0, s2
	s_delay_alu instid0(SALU_CYCLE_1)
	s_add_co_i32 s2, s0, s2
	s_branch .LBB242_561
.LBB242_559:                            ;   in Loop: Header=BB242_561 Depth=1
	s_or_b32 exec_lo, exec_lo, s0
	v_dual_add_f32 v19, v40, v41 :: v_dual_add_f32 v21, v54, v55
	v_add_f32_e32 v20, v56, v57
	;;#ASMSTART
	v_pk_mul_f16 v3, v46, v3;

	;;#ASMEND
	;;#ASMSTART
	v_pk_mul_f16 v18, v44, v18;

	;;#ASMEND
	;; [unrolled: 4-line block ×4, first 2 shown]
	;;#ASMSTART
	v_pk_add_f16 v3, v3, v18;

	;;#ASMEND
	;;#ASMSTART
	v_pk_add_f16 v1, v3, v1;

	;;#ASMEND
	;; [unrolled: 4-line block ×3, first 2 shown]
	v_and_b32_e32 v18, 0xffff, v1
	v_dual_add_f32 v4, v4, v19 :: v_dual_add_f32 v7, v7, v20
	v_lshrrev_b32_e32 v20, 16, v1
	;;#ASMSTART
	v_cvt_f32_f16 v18, v18;
	;;#ASMEND
	v_dual_add_f32 v6, v6, v21 :: v_dual_add_f32 v12, v45, v47
	v_add_f32_e32 v1, v50, v51
	;;#ASMSTART
	v_cvt_f32_f16 v20, v20;
	;;#ASMEND
	v_dual_add_f32 v19, v52, v53 :: v_dual_add_f32 v18, v18, v20
	v_add_f32_e32 v3, v48, v49
	s_delay_alu instid0(VALU_DEP_2) | instskip(NEXT) | instid1(VALU_DEP_3)
	v_dual_add_f32 v8, v8, v12 :: v_dual_add_f32 v11, v11, v19
	v_dual_add_f32 v5, v5, v18 :: v_dual_add_f32 v10, v10, v1
	s_delay_alu instid0(VALU_DEP_3)
	v_add_f32_e32 v9, v9, v3
.LBB242_560:                            ;   in Loop: Header=BB242_561 Depth=1
	s_or_b32 exec_lo, exec_lo, s22
	v_dual_add_nc_u32 v32, 4, v32 :: v_dual_add_nc_u32 v2, 32, v2
	v_add_nc_u64_e32 v[16:17], 16, v[16:17]
	v_add_nc_u32_e32 v31, 0x80, v31
	s_delay_alu instid0(VALU_DEP_3) | instskip(SKIP_1) | instid1(SALU_CYCLE_1)
	v_cmp_le_i32_e32 vcc_lo, s12, v32
	s_or_b32 s19, vcc_lo, s19
	s_and_not1_b32 exec_lo, exec_lo, s19
	s_cbranch_execz .LBB242_1090
.LBB242_561:                            ; =>This Inner Loop Header: Depth=1
	v_mov_b32_e32 v3, v13
	s_delay_alu instid0(VALU_DEP_1) | instskip(NEXT) | instid1(VALU_DEP_1)
	v_mul_u64_e32 v[18:19], s[20:21], v[2:3]
	v_mul_lo_u32 v1, v19, s16
	s_delay_alu instid0(VALU_DEP_1) | instskip(NEXT) | instid1(VALU_DEP_1)
	v_sub_nc_u32_e32 v1, v2, v1
	v_subrev_nc_u32_e32 v12, s16, v1
	v_cmp_le_u32_e32 vcc_lo, s16, v1
	s_delay_alu instid0(VALU_DEP_2) | instskip(NEXT) | instid1(VALU_DEP_1)
	v_dual_add_nc_u32 v3, 1, v19 :: v_dual_cndmask_b32 v1, v1, v12, vcc_lo
	v_cndmask_b32_e32 v3, v19, v3, vcc_lo
	s_delay_alu instid0(VALU_DEP_2) | instskip(NEXT) | instid1(VALU_DEP_2)
	v_cmp_le_u32_e32 vcc_lo, s16, v1
	v_add_nc_u32_e32 v12, 1, v3
	s_delay_alu instid0(VALU_DEP_1) | instskip(NEXT) | instid1(VALU_DEP_1)
	v_cndmask_b32_e32 v1, v3, v12, vcc_lo
	v_xor_b32_e32 v1, s15, v1
	s_delay_alu instid0(VALU_DEP_1) | instskip(NEXT) | instid1(VALU_DEP_1)
	v_subrev_nc_u32_e32 v1, s15, v1
	v_add_nc_u32_e32 v3, s35, v1
	v_cmp_lt_i32_e64 s0, s13, v1
	s_delay_alu instid0(VALU_DEP_2) | instskip(NEXT) | instid1(VALU_DEP_1)
	v_sub_nc_u32_e32 v12, 0, v3
	v_dual_ashrrev_i32 v3, 31, v3 :: v_dual_max_i32 v12, v3, v12
	s_delay_alu instid0(VALU_DEP_1) | instskip(NEXT) | instid1(VALU_DEP_1)
	v_mul_u64_e32 v[18:19], s[2:3], v[12:13]
	v_mul_lo_u32 v18, v19, s14
	s_delay_alu instid0(VALU_DEP_1) | instskip(NEXT) | instid1(VALU_DEP_1)
	v_sub_nc_u32_e32 v12, v12, v18
	v_subrev_nc_u32_e32 v18, s14, v12
	v_cmp_le_u32_e32 vcc_lo, s14, v12
	s_delay_alu instid0(VALU_DEP_2) | instskip(NEXT) | instid1(VALU_DEP_1)
	v_cndmask_b32_e32 v12, v12, v18, vcc_lo
	v_subrev_nc_u32_e32 v18, s14, v12
	v_cmp_le_u32_e32 vcc_lo, s14, v12
	s_delay_alu instid0(VALU_DEP_2) | instskip(NEXT) | instid1(VALU_DEP_1)
	v_cndmask_b32_e32 v12, v12, v18, vcc_lo
	v_xor_b32_e32 v12, v12, v3
	s_delay_alu instid0(VALU_DEP_1) | instskip(NEXT) | instid1(VALU_DEP_1)
	v_sub_nc_u32_e32 v3, v12, v3
	v_cmp_eq_u32_e32 vcc_lo, 0, v3
	s_or_b32 s0, vcc_lo, s0
	s_delay_alu instid0(SALU_CYCLE_1)
	s_and_saveexec_b32 s22, s0
	s_cbranch_execz .LBB242_560
; %bb.562:                              ;   in Loop: Header=BB242_561 Depth=1
	global_load_b32 v1, v[16:17], off
	ds_load_2addr_b64 v[20:23], v31 offset1:1
	ds_load_2addr_b64 v[24:27], v31 offset0:2 offset1:3
	s_mov_b32 s0, exec_lo
	s_wait_dscnt 0x1
	;;#ASMSTART
	v_cvt_f16_f32 v43, v20;

	;;#ASMEND
	;;#ASMSTART
	v_cvt_f16_f32 v40, v21;

	;;#ASMEND
	;; [unrolled: 4-line block ×4, first 2 shown]
	s_wait_dscnt 0x0
	;;#ASMSTART
	v_cvt_f16_f32 v46, v24;

	;;#ASMEND
	;;#ASMSTART
	v_cvt_f16_f32 v42, v25;

	;;#ASMEND
	;; [unrolled: 4-line block ×4, first 2 shown]
	v_mov_b32_e32 v3, 0
	s_wait_loadcnt 0x0
	v_mad_nc_i64_i32 v[18:19], v1, s17, v[14:15]
	v_mov_b32_e32 v1, 0
	global_load_b32 v20, v1, s[10:11]
	global_load_b64 v[22:23], v[18:19], off
	s_wait_loadcnt 0x0
	v_and_b32_e32 v12, 0xff, v22
	s_delay_alu instid0(VALU_DEP_1)
	v_cmpx_ne_u16_e32 0, v12
	s_cbranch_execz .LBB242_570
; %bb.563:                              ;   in Loop: Header=BB242_561 Depth=1
	v_mov_b32_e32 v3, 0x8000
	s_mov_b32 s23, exec_lo
	v_cmpx_ne_u16_e32 0x80, v12
	s_cbranch_execz .LBB242_569
; %bb.564:                              ;   in Loop: Header=BB242_561 Depth=1
	v_and_b32_e32 v21, 0x7f, v22
	v_mov_b32_e32 v3, 0x7c01
	s_mov_b32 s24, exec_lo
	s_delay_alu instid0(VALU_DEP_2)
	v_cmpx_ne_u32_e32 0x7f, v21
	s_cbranch_execz .LBB242_568
; %bb.565:                              ;   in Loop: Header=BB242_561 Depth=1
	v_dual_lshrrev_b32 v12, 3, v21 :: v_dual_bitop2_b32 v3, 7, v22 bitop3:0x40
	s_mov_b32 s25, exec_lo
	v_cmpx_gt_u32_e32 8, v21
; %bb.566:                              ;   in Loop: Header=BB242_561 Depth=1
	s_delay_alu instid0(VALU_DEP_2) | instskip(NEXT) | instid1(VALU_DEP_1)
	v_clz_i32_u32_e32 v3, v3
	v_min_u32_e32 v3, 32, v3
	s_delay_alu instid0(VALU_DEP_1) | instskip(NEXT) | instid1(VALU_DEP_1)
	v_subrev_nc_u32_e32 v12, 28, v3
	v_lshlrev_b64_e32 v[24:25], v12, v[22:23]
	s_delay_alu instid0(VALU_DEP_1)
	v_dual_sub_nc_u32 v12, 29, v3 :: v_dual_bitop2_b32 v3, 7, v24 bitop3:0x40
; %bb.567:                              ;   in Loop: Header=BB242_561 Depth=1
	s_or_b32 exec_lo, exec_lo, s25
	s_delay_alu instid0(VALU_DEP_1) | instskip(NEXT) | instid1(VALU_DEP_2)
	v_dual_lshlrev_b32 v21, 8, v22 :: v_dual_lshlrev_b32 v3, 7, v3
	v_lshl_add_u32 v12, v12, 10, 0x2000
	s_delay_alu instid0(VALU_DEP_2) | instskip(NEXT) | instid1(VALU_DEP_2)
	v_and_b32_e32 v21, 0x8000, v21
	v_and_b32_e32 v12, 0xfc00, v12
	s_delay_alu instid0(VALU_DEP_1)
	v_or3_b32 v3, v21, v12, v3
.LBB242_568:                            ;   in Loop: Header=BB242_561 Depth=1
	s_or_b32 exec_lo, exec_lo, s24
.LBB242_569:                            ;   in Loop: Header=BB242_561 Depth=1
	s_delay_alu instid0(SALU_CYCLE_1)
	s_or_b32 exec_lo, exec_lo, s23
.LBB242_570:                            ;   in Loop: Header=BB242_561 Depth=1
	s_delay_alu instid0(SALU_CYCLE_1) | instskip(SKIP_2) | instid1(VALU_DEP_1)
	s_or_b32 exec_lo, exec_lo, s0
	v_lshrrev_b16 v12, 8, v22
	s_mov_b32 s0, exec_lo
	v_cmpx_ne_u16_e32 0, v12
	s_cbranch_execz .LBB242_578
; %bb.571:                              ;   in Loop: Header=BB242_561 Depth=1
	v_bfrev_b32_e32 v1, 1
	s_mov_b32 s23, exec_lo
	v_cmpx_ne_u16_e32 0x80, v12
	s_cbranch_execz .LBB242_577
; %bb.572:                              ;   in Loop: Header=BB242_561 Depth=1
	v_and_b32_e32 v21, 0xffff, v12
	v_mov_b32_e32 v1, 0x7c010000
	s_mov_b32 s24, exec_lo
	s_delay_alu instid0(VALU_DEP_2) | instskip(NEXT) | instid1(VALU_DEP_1)
	v_and_b32_e32 v25, 0x7f, v21
	v_cmpx_ne_u32_e32 0x7f, v25
	s_cbranch_execz .LBB242_576
; %bb.573:                              ;   in Loop: Header=BB242_561 Depth=1
	v_and_b32_e32 v1, 7, v21
	v_lshrrev_b32_e32 v24, 3, v25
	s_mov_b32 s25, exec_lo
	v_cmpx_gt_u32_e32 8, v25
; %bb.574:                              ;   in Loop: Header=BB242_561 Depth=1
	s_delay_alu instid0(VALU_DEP_3) | instskip(NEXT) | instid1(VALU_DEP_1)
	v_clz_i32_u32_e32 v1, v1
	v_min_u32_e32 v1, 32, v1
	s_delay_alu instid0(VALU_DEP_1) | instskip(NEXT) | instid1(VALU_DEP_1)
	v_subrev_nc_u32_e32 v24, 28, v1
	v_lshlrev_b64_e32 v[26:27], v24, v[12:13]
	s_delay_alu instid0(VALU_DEP_1)
	v_dual_sub_nc_u32 v24, 29, v1 :: v_dual_bitop2_b32 v1, 7, v26 bitop3:0x40
; %bb.575:                              ;   in Loop: Header=BB242_561 Depth=1
	s_or_b32 exec_lo, exec_lo, s25
	v_lshlrev_b32_e32 v12, 8, v21
	s_delay_alu instid0(VALU_DEP_2) | instskip(NEXT) | instid1(VALU_DEP_3)
	v_lshl_add_u32 v21, v24, 10, 0x2000
	v_lshlrev_b32_e32 v1, 23, v1
	s_delay_alu instid0(VALU_DEP_2) | instskip(NEXT) | instid1(VALU_DEP_1)
	v_and_or_b32 v12, 0x8000, v12, v21
	v_lshl_or_b32 v1, v12, 16, v1
.LBB242_576:                            ;   in Loop: Header=BB242_561 Depth=1
	s_or_b32 exec_lo, exec_lo, s24
.LBB242_577:                            ;   in Loop: Header=BB242_561 Depth=1
	s_delay_alu instid0(SALU_CYCLE_1)
	s_or_b32 exec_lo, exec_lo, s23
.LBB242_578:                            ;   in Loop: Header=BB242_561 Depth=1
	s_delay_alu instid0(SALU_CYCLE_1) | instskip(SKIP_3) | instid1(VALU_DEP_2)
	s_or_b32 exec_lo, exec_lo, s0
	v_dual_mov_b32 v21, 0 :: v_dual_lshrrev_b32 v12, 16, v22
	v_mov_b32_e32 v24, 0
	s_mov_b32 s0, exec_lo
	v_and_b32_e32 v25, 0xff, v12
	s_delay_alu instid0(VALU_DEP_1)
	v_cmpx_ne_u16_e32 0, v25
	s_cbranch_execz .LBB242_586
; %bb.579:                              ;   in Loop: Header=BB242_561 Depth=1
	v_mov_b32_e32 v24, 0x8000
	s_mov_b32 s23, exec_lo
	v_cmpx_ne_u16_e32 0x80, v25
	s_cbranch_execz .LBB242_585
; %bb.580:                              ;   in Loop: Header=BB242_561 Depth=1
	v_bfe_u32 v26, v22, 16, 7
	v_mov_b32_e32 v24, 0x7c01
	s_mov_b32 s24, exec_lo
	s_delay_alu instid0(VALU_DEP_2)
	v_cmpx_ne_u32_e32 0x7f, v26
	s_cbranch_execz .LBB242_584
; %bb.581:                              ;   in Loop: Header=BB242_561 Depth=1
	v_dual_lshrrev_b32 v25, 3, v26 :: v_dual_bitop2_b32 v24, 7, v12 bitop3:0x40
	s_mov_b32 s25, exec_lo
	v_cmpx_gt_u32_e32 8, v26
; %bb.582:                              ;   in Loop: Header=BB242_561 Depth=1
	s_delay_alu instid0(VALU_DEP_2) | instskip(NEXT) | instid1(VALU_DEP_1)
	v_clz_i32_u32_e32 v24, v24
	v_min_u32_e32 v26, 32, v24
	s_delay_alu instid0(VALU_DEP_1) | instskip(NEXT) | instid1(VALU_DEP_1)
	v_subrev_nc_u32_e32 v24, 28, v26
	v_lshlrev_b64_e32 v[24:25], v24, v[12:13]
	s_delay_alu instid0(VALU_DEP_1)
	v_dual_sub_nc_u32 v25, 29, v26 :: v_dual_bitop2_b32 v24, 7, v24 bitop3:0x40
; %bb.583:                              ;   in Loop: Header=BB242_561 Depth=1
	s_or_b32 exec_lo, exec_lo, s25
	v_lshlrev_b32_e32 v12, 8, v12
	s_delay_alu instid0(VALU_DEP_2) | instskip(NEXT) | instid1(VALU_DEP_3)
	v_lshl_add_u32 v25, v25, 10, 0x2000
	v_lshlrev_b32_e32 v24, 7, v24
	s_delay_alu instid0(VALU_DEP_3) | instskip(NEXT) | instid1(VALU_DEP_3)
	v_and_b32_e32 v12, 0x8000, v12
	v_and_b32_e32 v25, 0xfc00, v25
	s_delay_alu instid0(VALU_DEP_1)
	v_or3_b32 v24, v12, v25, v24
.LBB242_584:                            ;   in Loop: Header=BB242_561 Depth=1
	s_or_b32 exec_lo, exec_lo, s24
.LBB242_585:                            ;   in Loop: Header=BB242_561 Depth=1
	s_delay_alu instid0(SALU_CYCLE_1)
	s_or_b32 exec_lo, exec_lo, s23
.LBB242_586:                            ;   in Loop: Header=BB242_561 Depth=1
	s_delay_alu instid0(SALU_CYCLE_1) | instskip(NEXT) | instid1(SALU_CYCLE_1)
	s_or_b32 exec_lo, exec_lo, s0
	s_mov_b32 s0, exec_lo
	v_cmpx_lt_u32_e32 0xffffff, v22
	s_cbranch_execz .LBB242_594
; %bb.587:                              ;   in Loop: Header=BB242_561 Depth=1
	v_lshrrev_b32_e32 v12, 24, v22
	v_bfrev_b32_e32 v21, 1
	s_mov_b32 s23, exec_lo
	s_delay_alu instid0(VALU_DEP_2)
	v_cmpx_ne_u32_e32 0x80, v12
	s_cbranch_execz .LBB242_593
; %bb.588:                              ;   in Loop: Header=BB242_561 Depth=1
	v_and_b32_e32 v26, 0x7f, v12
	v_mov_b32_e32 v21, 0x7c010000
	s_mov_b32 s24, exec_lo
	s_delay_alu instid0(VALU_DEP_2)
	v_cmpx_ne_u32_e32 0x7f, v26
	s_cbranch_execz .LBB242_592
; %bb.589:                              ;   in Loop: Header=BB242_561 Depth=1
	v_dual_lshrrev_b32 v25, 3, v26 :: v_dual_bitop2_b32 v21, 7, v12 bitop3:0x40
	s_mov_b32 s25, exec_lo
	v_cmpx_gt_u32_e32 8, v26
; %bb.590:                              ;   in Loop: Header=BB242_561 Depth=1
	s_delay_alu instid0(VALU_DEP_2) | instskip(NEXT) | instid1(VALU_DEP_1)
	v_clz_i32_u32_e32 v21, v21
	v_min_u32_e32 v21, 32, v21
	s_delay_alu instid0(VALU_DEP_1) | instskip(NEXT) | instid1(VALU_DEP_1)
	v_subrev_nc_u32_e32 v25, 28, v21
	v_lshlrev_b64_e32 v[26:27], v25, v[12:13]
	s_delay_alu instid0(VALU_DEP_1)
	v_dual_sub_nc_u32 v25, 29, v21 :: v_dual_bitop2_b32 v21, 7, v26 bitop3:0x40
; %bb.591:                              ;   in Loop: Header=BB242_561 Depth=1
	s_or_b32 exec_lo, exec_lo, s25
	s_delay_alu instid0(VALU_DEP_1) | instskip(NEXT) | instid1(VALU_DEP_2)
	v_dual_lshlrev_b32 v12, 8, v12 :: v_dual_lshlrev_b32 v21, 23, v21
	v_lshl_add_u32 v25, v25, 10, 0x2000
	s_delay_alu instid0(VALU_DEP_1) | instskip(NEXT) | instid1(VALU_DEP_1)
	v_and_or_b32 v12, 0x8000, v12, v25
	v_lshl_or_b32 v21, v12, 16, v21
.LBB242_592:                            ;   in Loop: Header=BB242_561 Depth=1
	s_or_b32 exec_lo, exec_lo, s24
.LBB242_593:                            ;   in Loop: Header=BB242_561 Depth=1
	s_delay_alu instid0(SALU_CYCLE_1)
	s_or_b32 exec_lo, exec_lo, s23
.LBB242_594:                            ;   in Loop: Header=BB242_561 Depth=1
	s_delay_alu instid0(SALU_CYCLE_1) | instskip(SKIP_4) | instid1(VALU_DEP_3)
	s_or_b32 exec_lo, exec_lo, s0
	v_and_b32_e32 v27, 0xff, v23
	v_dual_mov_b32 v12, v23 :: v_dual_mov_b32 v26, 0
	v_mov_b32_e32 v25, 0
	s_mov_b32 s0, exec_lo
	v_cmpx_ne_u16_e32 0, v27
	s_cbranch_execz .LBB242_602
; %bb.595:                              ;   in Loop: Header=BB242_561 Depth=1
	v_mov_b32_e32 v25, 0x8000
	s_mov_b32 s23, exec_lo
	v_cmpx_ne_u16_e32 0x80, v27
	s_cbranch_execz .LBB242_601
; %bb.596:                              ;   in Loop: Header=BB242_561 Depth=1
	v_and_b32_e32 v28, 0x7f, v23
	v_mov_b32_e32 v25, 0x7c01
	s_mov_b32 s24, exec_lo
	s_delay_alu instid0(VALU_DEP_2)
	v_cmpx_ne_u32_e32 0x7f, v28
	s_cbranch_execz .LBB242_600
; %bb.597:                              ;   in Loop: Header=BB242_561 Depth=1
	v_dual_lshrrev_b32 v27, 3, v28 :: v_dual_bitop2_b32 v25, 7, v23 bitop3:0x40
	s_mov_b32 s25, exec_lo
	v_cmpx_gt_u32_e32 8, v28
; %bb.598:                              ;   in Loop: Header=BB242_561 Depth=1
	s_delay_alu instid0(VALU_DEP_2) | instskip(NEXT) | instid1(VALU_DEP_1)
	v_clz_i32_u32_e32 v25, v25
	v_min_u32_e32 v25, 32, v25
	s_delay_alu instid0(VALU_DEP_1) | instskip(NEXT) | instid1(VALU_DEP_1)
	v_subrev_nc_u32_e32 v27, 28, v25
	v_lshlrev_b64_e32 v[34:35], v27, v[12:13]
	s_delay_alu instid0(VALU_DEP_1)
	v_dual_sub_nc_u32 v27, 29, v25 :: v_dual_bitop2_b32 v25, 7, v34 bitop3:0x40
; %bb.599:                              ;   in Loop: Header=BB242_561 Depth=1
	s_or_b32 exec_lo, exec_lo, s25
	s_delay_alu instid0(VALU_DEP_1) | instskip(NEXT) | instid1(VALU_DEP_2)
	v_dual_lshlrev_b32 v28, 8, v23 :: v_dual_lshlrev_b32 v25, 7, v25
	v_lshl_add_u32 v27, v27, 10, 0x2000
	s_delay_alu instid0(VALU_DEP_2) | instskip(NEXT) | instid1(VALU_DEP_2)
	v_and_b32_e32 v28, 0x8000, v28
	v_and_b32_e32 v27, 0xfc00, v27
	s_delay_alu instid0(VALU_DEP_1)
	v_or3_b32 v25, v28, v27, v25
.LBB242_600:                            ;   in Loop: Header=BB242_561 Depth=1
	s_or_b32 exec_lo, exec_lo, s24
.LBB242_601:                            ;   in Loop: Header=BB242_561 Depth=1
	s_delay_alu instid0(SALU_CYCLE_1)
	s_or_b32 exec_lo, exec_lo, s23
.LBB242_602:                            ;   in Loop: Header=BB242_561 Depth=1
	s_delay_alu instid0(SALU_CYCLE_1) | instskip(SKIP_3) | instid1(VALU_DEP_2)
	s_or_b32 exec_lo, exec_lo, s0
	v_lshrrev_b16 v12, 8, v12
	v_mov_b32_e32 v27, 0
	s_mov_b32 s0, exec_lo
	v_cmpx_ne_u16_e32 0, v12
	s_cbranch_execz .LBB242_610
; %bb.603:                              ;   in Loop: Header=BB242_561 Depth=1
	v_bfrev_b32_e32 v27, 1
	s_mov_b32 s23, exec_lo
	v_cmpx_ne_u16_e32 0x80, v12
	s_cbranch_execz .LBB242_609
; %bb.604:                              ;   in Loop: Header=BB242_561 Depth=1
	v_and_b32_e32 v28, 0xffff, v12
	v_mov_b32_e32 v27, 0x7c010000
	s_mov_b32 s24, exec_lo
	s_delay_alu instid0(VALU_DEP_2) | instskip(NEXT) | instid1(VALU_DEP_1)
	v_and_b32_e32 v34, 0x7f, v28
	v_cmpx_ne_u32_e32 0x7f, v34
	s_cbranch_execz .LBB242_608
; %bb.605:                              ;   in Loop: Header=BB242_561 Depth=1
	v_dual_lshrrev_b32 v33, 3, v34 :: v_dual_bitop2_b32 v27, 7, v28 bitop3:0x40
	s_mov_b32 s25, exec_lo
	v_cmpx_gt_u32_e32 8, v34
; %bb.606:                              ;   in Loop: Header=BB242_561 Depth=1
	s_delay_alu instid0(VALU_DEP_2) | instskip(NEXT) | instid1(VALU_DEP_1)
	v_clz_i32_u32_e32 v27, v27
	v_min_u32_e32 v27, 32, v27
	s_delay_alu instid0(VALU_DEP_1) | instskip(NEXT) | instid1(VALU_DEP_1)
	v_subrev_nc_u32_e32 v33, 28, v27
	v_lshlrev_b64_e32 v[34:35], v33, v[12:13]
	s_delay_alu instid0(VALU_DEP_1)
	v_dual_sub_nc_u32 v33, 29, v27 :: v_dual_bitop2_b32 v27, 7, v34 bitop3:0x40
; %bb.607:                              ;   in Loop: Header=BB242_561 Depth=1
	s_or_b32 exec_lo, exec_lo, s25
	s_delay_alu instid0(VALU_DEP_1) | instskip(NEXT) | instid1(VALU_DEP_2)
	v_dual_lshlrev_b32 v12, 8, v28 :: v_dual_lshlrev_b32 v27, 23, v27
	v_lshl_add_u32 v28, v33, 10, 0x2000
	s_delay_alu instid0(VALU_DEP_1) | instskip(NEXT) | instid1(VALU_DEP_1)
	v_and_or_b32 v12, 0x8000, v12, v28
	v_lshl_or_b32 v27, v12, 16, v27
.LBB242_608:                            ;   in Loop: Header=BB242_561 Depth=1
	s_or_b32 exec_lo, exec_lo, s24
.LBB242_609:                            ;   in Loop: Header=BB242_561 Depth=1
	s_delay_alu instid0(SALU_CYCLE_1)
	s_or_b32 exec_lo, exec_lo, s23
.LBB242_610:                            ;   in Loop: Header=BB242_561 Depth=1
	s_delay_alu instid0(SALU_CYCLE_1) | instskip(SKIP_2) | instid1(VALU_DEP_1)
	s_or_b32 exec_lo, exec_lo, s0
	v_lshrrev_b32_e32 v12, 16, v23
	s_mov_b32 s0, exec_lo
	v_and_b32_e32 v28, 0xff, v12
	s_delay_alu instid0(VALU_DEP_1)
	v_cmpx_ne_u16_e32 0, v28
	s_cbranch_execz .LBB242_618
; %bb.611:                              ;   in Loop: Header=BB242_561 Depth=1
	v_mov_b32_e32 v26, 0x8000
	s_mov_b32 s23, exec_lo
	v_cmpx_ne_u16_e32 0x80, v28
	s_cbranch_execz .LBB242_617
; %bb.612:                              ;   in Loop: Header=BB242_561 Depth=1
	v_bfe_u32 v33, v23, 16, 7
	v_mov_b32_e32 v26, 0x7c01
	s_mov_b32 s24, exec_lo
	s_delay_alu instid0(VALU_DEP_2)
	v_cmpx_ne_u32_e32 0x7f, v33
	s_cbranch_execz .LBB242_616
; %bb.613:                              ;   in Loop: Header=BB242_561 Depth=1
	v_dual_lshrrev_b32 v28, 3, v33 :: v_dual_bitop2_b32 v26, 7, v12 bitop3:0x40
	s_mov_b32 s25, exec_lo
	v_cmpx_gt_u32_e32 8, v33
; %bb.614:                              ;   in Loop: Header=BB242_561 Depth=1
	s_delay_alu instid0(VALU_DEP_2) | instskip(NEXT) | instid1(VALU_DEP_1)
	v_clz_i32_u32_e32 v26, v26
	v_min_u32_e32 v26, 32, v26
	s_delay_alu instid0(VALU_DEP_1) | instskip(NEXT) | instid1(VALU_DEP_1)
	v_subrev_nc_u32_e32 v28, 28, v26
	v_lshlrev_b64_e32 v[34:35], v28, v[12:13]
	v_sub_nc_u32_e32 v28, 29, v26
	s_delay_alu instid0(VALU_DEP_2)
	v_and_b32_e32 v26, 7, v34
; %bb.615:                              ;   in Loop: Header=BB242_561 Depth=1
	s_or_b32 exec_lo, exec_lo, s25
	s_delay_alu instid0(VALU_DEP_1) | instskip(NEXT) | instid1(VALU_DEP_3)
	v_dual_lshlrev_b32 v12, 8, v12 :: v_dual_lshlrev_b32 v26, 7, v26
	v_lshl_add_u32 v28, v28, 10, 0x2000
	s_delay_alu instid0(VALU_DEP_2) | instskip(NEXT) | instid1(VALU_DEP_2)
	v_and_b32_e32 v12, 0x8000, v12
	v_and_b32_e32 v28, 0xfc00, v28
	s_delay_alu instid0(VALU_DEP_1)
	v_or3_b32 v26, v12, v28, v26
.LBB242_616:                            ;   in Loop: Header=BB242_561 Depth=1
	s_or_b32 exec_lo, exec_lo, s24
.LBB242_617:                            ;   in Loop: Header=BB242_561 Depth=1
	s_delay_alu instid0(SALU_CYCLE_1)
	s_or_b32 exec_lo, exec_lo, s23
.LBB242_618:                            ;   in Loop: Header=BB242_561 Depth=1
	s_delay_alu instid0(SALU_CYCLE_1)
	s_or_b32 exec_lo, exec_lo, s0
	v_cmp_lt_u64_e32 vcc_lo, s[8:9], v[22:23]
	v_mov_b32_e32 v22, 0
	s_and_saveexec_b32 s0, vcc_lo
	s_cbranch_execz .LBB242_626
; %bb.619:                              ;   in Loop: Header=BB242_561 Depth=1
	v_lshrrev_b32_e32 v12, 24, v23
	v_bfrev_b32_e32 v22, 1
	s_mov_b32 s23, exec_lo
	s_delay_alu instid0(VALU_DEP_2)
	v_cmpx_ne_u32_e32 0x80, v12
	s_cbranch_execz .LBB242_625
; %bb.620:                              ;   in Loop: Header=BB242_561 Depth=1
	v_and_b32_e32 v28, 0x7f, v12
	v_mov_b32_e32 v22, 0x7c010000
	s_mov_b32 s24, exec_lo
	s_delay_alu instid0(VALU_DEP_2)
	v_cmpx_ne_u32_e32 0x7f, v28
	s_cbranch_execz .LBB242_624
; %bb.621:                              ;   in Loop: Header=BB242_561 Depth=1
	v_and_b32_e32 v22, 7, v12
	v_lshrrev_b32_e32 v23, 3, v28
	s_mov_b32 s25, exec_lo
	v_cmpx_gt_u32_e32 8, v28
; %bb.622:                              ;   in Loop: Header=BB242_561 Depth=1
	s_delay_alu instid0(VALU_DEP_3) | instskip(NEXT) | instid1(VALU_DEP_1)
	v_clz_i32_u32_e32 v22, v22
	v_min_u32_e32 v28, 32, v22
	s_delay_alu instid0(VALU_DEP_1) | instskip(NEXT) | instid1(VALU_DEP_1)
	v_subrev_nc_u32_e32 v22, 28, v28
	v_lshlrev_b64_e32 v[22:23], v22, v[12:13]
	s_delay_alu instid0(VALU_DEP_1)
	v_dual_sub_nc_u32 v23, 29, v28 :: v_dual_bitop2_b32 v22, 7, v22 bitop3:0x40
; %bb.623:                              ;   in Loop: Header=BB242_561 Depth=1
	s_or_b32 exec_lo, exec_lo, s25
	s_delay_alu instid0(VALU_DEP_1) | instskip(NEXT) | instid1(VALU_DEP_2)
	v_dual_lshlrev_b32 v12, 8, v12 :: v_dual_lshlrev_b32 v22, 23, v22
	v_lshl_add_u32 v23, v23, 10, 0x2000
	s_delay_alu instid0(VALU_DEP_1) | instskip(NEXT) | instid1(VALU_DEP_1)
	v_and_or_b32 v12, 0x8000, v12, v23
	v_lshl_or_b32 v22, v12, 16, v22
.LBB242_624:                            ;   in Loop: Header=BB242_561 Depth=1
	s_or_b32 exec_lo, exec_lo, s24
.LBB242_625:                            ;   in Loop: Header=BB242_561 Depth=1
	s_delay_alu instid0(SALU_CYCLE_1)
	s_or_b32 exec_lo, exec_lo, s23
.LBB242_626:                            ;   in Loop: Header=BB242_561 Depth=1
	s_delay_alu instid0(SALU_CYCLE_1) | instskip(SKIP_3) | instid1(VALU_DEP_3)
	s_or_b32 exec_lo, exec_lo, s0
	v_dual_lshrrev_b32 v12, 16, v1 :: v_dual_bitop2_b32 v1, v1, v3 bitop3:0x54
	v_dual_lshrrev_b32 v23, 16, v21 :: v_dual_bitop2_b32 v3, v21, v24 bitop3:0x54
	v_lshrrev_b32_e32 v24, 16, v22
	v_cvt_f32_f16_e32 v35, v12
	v_dual_lshrrev_b32 v21, 16, v27 :: v_dual_bitop2_b32 v12, v22, v26 bitop3:0x54
	s_delay_alu instid0(VALU_DEP_4)
	v_cvt_f32_f16_e32 v34, v23
	v_cvt_f32_f16_e32 v22, v3
	v_or_b32_e32 v3, v27, v25
	v_cvt_f32_f16_e32 v23, v1
	v_cvt_f32_f16_e32 v25, v21
	v_pk_mul_f32 v[34:35], v[20:21], v[34:35] op_sel_hi:[0,1]
	v_cvt_f32_f16_e32 v24, v24
	v_cvt_f32_f16_e32 v26, v12
	;; [unrolled: 1-line block ×3, first 2 shown]
	v_pk_mul_f32 v[22:23], v[20:21], v[22:23] op_sel_hi:[0,1]
	v_cvt_pk_f16_f32 v1, v34, v35
	v_pk_mul_f32 v[34:35], v[20:21], v[24:25] op_sel_hi:[0,1]
	v_cmp_eq_u32_e32 vcc_lo, s28, v32
	v_pk_mul_f32 v[20:21], v[20:21], v[26:27] op_sel_hi:[0,1]
	v_cvt_pk_f16_f32 v3, v22, v23
	v_and_b32_e32 v25, 0xffff0000, v1
	v_cvt_pk_f16_f32 v12, v34, v35
	v_lshlrev_b32_e32 v26, 16, v1
	v_cvt_pk_f16_f32 v20, v20, v21
	v_lshrrev_b32_e32 v27, 16, v3
	v_and_b32_e32 v28, 0xffff, v3
	v_and_b32_e32 v1, 0xffff0000, v12
	v_lshlrev_b32_e32 v12, 16, v12
	v_dual_lshrrev_b32 v23, 16, v20 :: v_dual_add_nc_u32 v39, 2, v2
	v_and_b32_e32 v24, 0xffff, v20
	v_or_b32_e32 v21, v25, v27
	v_or_b32_e32 v22, v26, v28
	s_delay_alu instid0(VALU_DEP_4)
	v_or_b32_e32 v3, v1, v23
	v_or_b32_e32 v38, 1, v2
	;; [unrolled: 1-line block ×8, first 2 shown]
	s_and_saveexec_b32 s23, vcc_lo
	s_cbranch_execz .LBB242_628
; %bb.627:                              ;   in Loop: Header=BB242_561 Depth=1
	v_cmp_gt_i32_e64 s0, s18, v2
	s_delay_alu instid0(VALU_DEP_1) | instskip(SKIP_1) | instid1(VALU_DEP_1)
	v_cndmask_b32_e64 v3, 0, v27, s0
	v_cmp_gt_i32_e64 s0, s34, v39
	v_cndmask_b32_e64 v20, 0, v28, s0
	v_cmp_gt_i32_e64 s0, s18, v38
	s_delay_alu instid0(VALU_DEP_1) | instskip(SKIP_1) | instid1(VALU_DEP_1)
	v_cndmask_b32_e64 v21, 0, v25, s0
	v_cmp_gt_i32_e64 s0, s34, v37
	v_cndmask_b32_e64 v22, 0, v26, s0
	v_cmp_gt_i32_e64 s0, s18, v36
	s_delay_alu instid0(VALU_DEP_4) | instskip(NEXT) | instid1(VALU_DEP_2)
	v_or_b32_e32 v21, v21, v3
	v_dual_cndmask_b32 v23, 0, v23, s0 :: v_dual_bitop2_b32 v22, v22, v20 bitop3:0x54
	v_cmp_gt_i32_e64 s0, s34, v35
	s_delay_alu instid0(VALU_DEP_1) | instskip(SKIP_1) | instid1(VALU_DEP_1)
	v_cndmask_b32_e64 v24, 0, v24, s0
	v_cmp_gt_i32_e64 s0, s18, v34
	v_cndmask_b32_e64 v1, 0, v1, s0
	v_cmp_gt_i32_e64 s0, s34, v33
	s_delay_alu instid0(VALU_DEP_1) | instskip(NEXT) | instid1(VALU_DEP_1)
	v_dual_cndmask_b32 v12, 0, v12, s0 :: v_dual_bitop2_b32 v3, v1, v23 bitop3:0x54
	v_or_b32_e32 v20, v12, v24
.LBB242_628:                            ;   in Loop: Header=BB242_561 Depth=1
	s_or_b32 exec_lo, exec_lo, s23
	v_and_b32_e32 v1, 0xffff, v43
	v_and_b32_e32 v12, 0xffff, v44
	;; [unrolled: 1-line block ×4, first 2 shown]
	s_mov_b32 s23, exec_lo
	v_lshl_or_b32 v46, v40, 16, v1
	;;#ASMSTART
	v_pk_mul_f16 v1, v46, v21;

	;;#ASMEND
	v_lshl_or_b32 v44, v41, 16, v12
	v_lshl_or_b32 v43, v42, 16, v23
	;; [unrolled: 1-line block ×3, first 2 shown]
	;;#ASMSTART
	v_pk_mul_f16 v12, v44, v22;

	;;#ASMEND
	;;#ASMSTART
	v_pk_mul_f16 v3, v43, v3;

	;;#ASMEND
	;;#ASMSTART
	v_pk_mul_f16 v20, v42, v20;

	;;#ASMEND
	;;#ASMSTART
	v_pk_add_f16 v1, v1, v12;

	;;#ASMEND
	;;#ASMSTART
	v_pk_add_f16 v1, v1, v3;

	;;#ASMEND
	;; [unrolled: 4-line block ×3, first 2 shown]
	v_and_b32_e32 v3, 0xffff, v1
	v_lshrrev_b32_e32 v1, 16, v1
	;;#ASMSTART
	v_cvt_f32_f16 v45, v3;
	;;#ASMEND
	v_mov_b32_e32 v3, 0
	;;#ASMSTART
	v_cvt_f32_f16 v47, v1;
	;;#ASMEND
	global_load_b64 v[22:23], v[18:19], off offset:256
	v_mov_b32_e32 v1, 0
	global_load_b32 v20, v1, s[10:11]
	s_wait_loadcnt 0x1
	v_and_b32_e32 v12, 0xff, v22
	s_wait_xcnt 0x0
	s_delay_alu instid0(VALU_DEP_1)
	v_cmpx_ne_u16_e32 0, v12
	s_cbranch_execz .LBB242_636
; %bb.629:                              ;   in Loop: Header=BB242_561 Depth=1
	v_mov_b32_e32 v3, 0x8000
	s_mov_b32 s24, exec_lo
	v_cmpx_ne_u16_e32 0x80, v12
	s_cbranch_execz .LBB242_635
; %bb.630:                              ;   in Loop: Header=BB242_561 Depth=1
	v_and_b32_e32 v21, 0x7f, v22
	v_mov_b32_e32 v3, 0x7c01
	s_mov_b32 s25, exec_lo
	s_delay_alu instid0(VALU_DEP_2)
	v_cmpx_ne_u32_e32 0x7f, v21
	s_cbranch_execz .LBB242_634
; %bb.631:                              ;   in Loop: Header=BB242_561 Depth=1
	v_dual_lshrrev_b32 v12, 3, v21 :: v_dual_bitop2_b32 v3, 7, v22 bitop3:0x40
	s_mov_b32 s26, exec_lo
	v_cmpx_gt_u32_e32 8, v21
; %bb.632:                              ;   in Loop: Header=BB242_561 Depth=1
	s_delay_alu instid0(VALU_DEP_2) | instskip(NEXT) | instid1(VALU_DEP_1)
	v_clz_i32_u32_e32 v3, v3
	v_min_u32_e32 v3, 32, v3
	s_delay_alu instid0(VALU_DEP_1) | instskip(NEXT) | instid1(VALU_DEP_1)
	v_subrev_nc_u32_e32 v12, 28, v3
	v_lshlrev_b64_e32 v[24:25], v12, v[22:23]
	s_delay_alu instid0(VALU_DEP_1)
	v_dual_sub_nc_u32 v12, 29, v3 :: v_dual_bitop2_b32 v3, 7, v24 bitop3:0x40
; %bb.633:                              ;   in Loop: Header=BB242_561 Depth=1
	s_or_b32 exec_lo, exec_lo, s26
	s_delay_alu instid0(VALU_DEP_1) | instskip(NEXT) | instid1(VALU_DEP_2)
	v_dual_lshlrev_b32 v21, 8, v22 :: v_dual_lshlrev_b32 v3, 7, v3
	v_lshl_add_u32 v12, v12, 10, 0x2000
	s_delay_alu instid0(VALU_DEP_2) | instskip(NEXT) | instid1(VALU_DEP_2)
	v_and_b32_e32 v21, 0x8000, v21
	v_and_b32_e32 v12, 0xfc00, v12
	s_delay_alu instid0(VALU_DEP_1)
	v_or3_b32 v3, v21, v12, v3
.LBB242_634:                            ;   in Loop: Header=BB242_561 Depth=1
	s_or_b32 exec_lo, exec_lo, s25
.LBB242_635:                            ;   in Loop: Header=BB242_561 Depth=1
	s_delay_alu instid0(SALU_CYCLE_1)
	s_or_b32 exec_lo, exec_lo, s24
.LBB242_636:                            ;   in Loop: Header=BB242_561 Depth=1
	s_delay_alu instid0(SALU_CYCLE_1) | instskip(SKIP_2) | instid1(VALU_DEP_1)
	s_or_b32 exec_lo, exec_lo, s23
	v_lshrrev_b16 v12, 8, v22
	s_mov_b32 s23, exec_lo
	v_cmpx_ne_u16_e32 0, v12
	s_cbranch_execz .LBB242_644
; %bb.637:                              ;   in Loop: Header=BB242_561 Depth=1
	v_bfrev_b32_e32 v1, 1
	s_mov_b32 s24, exec_lo
	v_cmpx_ne_u16_e32 0x80, v12
	s_cbranch_execz .LBB242_643
; %bb.638:                              ;   in Loop: Header=BB242_561 Depth=1
	v_and_b32_e32 v21, 0xffff, v12
	v_mov_b32_e32 v1, 0x7c010000
	s_mov_b32 s25, exec_lo
	s_delay_alu instid0(VALU_DEP_2) | instskip(NEXT) | instid1(VALU_DEP_1)
	v_and_b32_e32 v25, 0x7f, v21
	v_cmpx_ne_u32_e32 0x7f, v25
	s_cbranch_execz .LBB242_642
; %bb.639:                              ;   in Loop: Header=BB242_561 Depth=1
	v_and_b32_e32 v1, 7, v21
	v_lshrrev_b32_e32 v24, 3, v25
	s_mov_b32 s26, exec_lo
	v_cmpx_gt_u32_e32 8, v25
; %bb.640:                              ;   in Loop: Header=BB242_561 Depth=1
	s_delay_alu instid0(VALU_DEP_3) | instskip(NEXT) | instid1(VALU_DEP_1)
	v_clz_i32_u32_e32 v1, v1
	v_min_u32_e32 v1, 32, v1
	s_delay_alu instid0(VALU_DEP_1) | instskip(NEXT) | instid1(VALU_DEP_1)
	v_subrev_nc_u32_e32 v24, 28, v1
	v_lshlrev_b64_e32 v[26:27], v24, v[12:13]
	s_delay_alu instid0(VALU_DEP_1)
	v_dual_sub_nc_u32 v24, 29, v1 :: v_dual_bitop2_b32 v1, 7, v26 bitop3:0x40
; %bb.641:                              ;   in Loop: Header=BB242_561 Depth=1
	s_or_b32 exec_lo, exec_lo, s26
	v_lshlrev_b32_e32 v12, 8, v21
	s_delay_alu instid0(VALU_DEP_2) | instskip(NEXT) | instid1(VALU_DEP_3)
	v_lshl_add_u32 v21, v24, 10, 0x2000
	v_lshlrev_b32_e32 v1, 23, v1
	s_delay_alu instid0(VALU_DEP_2) | instskip(NEXT) | instid1(VALU_DEP_1)
	v_and_or_b32 v12, 0x8000, v12, v21
	v_lshl_or_b32 v1, v12, 16, v1
.LBB242_642:                            ;   in Loop: Header=BB242_561 Depth=1
	s_or_b32 exec_lo, exec_lo, s25
.LBB242_643:                            ;   in Loop: Header=BB242_561 Depth=1
	s_delay_alu instid0(SALU_CYCLE_1)
	s_or_b32 exec_lo, exec_lo, s24
.LBB242_644:                            ;   in Loop: Header=BB242_561 Depth=1
	s_delay_alu instid0(SALU_CYCLE_1) | instskip(SKIP_3) | instid1(VALU_DEP_2)
	s_or_b32 exec_lo, exec_lo, s23
	v_dual_mov_b32 v21, 0 :: v_dual_lshrrev_b32 v12, 16, v22
	v_mov_b32_e32 v24, 0
	s_mov_b32 s23, exec_lo
	v_and_b32_e32 v25, 0xff, v12
	s_delay_alu instid0(VALU_DEP_1)
	v_cmpx_ne_u16_e32 0, v25
	s_cbranch_execz .LBB242_652
; %bb.645:                              ;   in Loop: Header=BB242_561 Depth=1
	v_mov_b32_e32 v24, 0x8000
	s_mov_b32 s24, exec_lo
	v_cmpx_ne_u16_e32 0x80, v25
	s_cbranch_execz .LBB242_651
; %bb.646:                              ;   in Loop: Header=BB242_561 Depth=1
	v_bfe_u32 v26, v22, 16, 7
	v_mov_b32_e32 v24, 0x7c01
	s_mov_b32 s25, exec_lo
	s_delay_alu instid0(VALU_DEP_2)
	v_cmpx_ne_u32_e32 0x7f, v26
	s_cbranch_execz .LBB242_650
; %bb.647:                              ;   in Loop: Header=BB242_561 Depth=1
	v_dual_lshrrev_b32 v25, 3, v26 :: v_dual_bitop2_b32 v24, 7, v12 bitop3:0x40
	s_mov_b32 s26, exec_lo
	v_cmpx_gt_u32_e32 8, v26
; %bb.648:                              ;   in Loop: Header=BB242_561 Depth=1
	s_delay_alu instid0(VALU_DEP_2) | instskip(NEXT) | instid1(VALU_DEP_1)
	v_clz_i32_u32_e32 v24, v24
	v_min_u32_e32 v26, 32, v24
	s_delay_alu instid0(VALU_DEP_1) | instskip(NEXT) | instid1(VALU_DEP_1)
	v_subrev_nc_u32_e32 v24, 28, v26
	v_lshlrev_b64_e32 v[24:25], v24, v[12:13]
	s_delay_alu instid0(VALU_DEP_1)
	v_dual_sub_nc_u32 v25, 29, v26 :: v_dual_bitop2_b32 v24, 7, v24 bitop3:0x40
; %bb.649:                              ;   in Loop: Header=BB242_561 Depth=1
	s_or_b32 exec_lo, exec_lo, s26
	v_lshlrev_b32_e32 v12, 8, v12
	s_delay_alu instid0(VALU_DEP_2) | instskip(NEXT) | instid1(VALU_DEP_3)
	v_lshl_add_u32 v25, v25, 10, 0x2000
	v_lshlrev_b32_e32 v24, 7, v24
	s_delay_alu instid0(VALU_DEP_3) | instskip(NEXT) | instid1(VALU_DEP_3)
	v_and_b32_e32 v12, 0x8000, v12
	v_and_b32_e32 v25, 0xfc00, v25
	s_delay_alu instid0(VALU_DEP_1)
	v_or3_b32 v24, v12, v25, v24
.LBB242_650:                            ;   in Loop: Header=BB242_561 Depth=1
	s_or_b32 exec_lo, exec_lo, s25
.LBB242_651:                            ;   in Loop: Header=BB242_561 Depth=1
	s_delay_alu instid0(SALU_CYCLE_1)
	s_or_b32 exec_lo, exec_lo, s24
.LBB242_652:                            ;   in Loop: Header=BB242_561 Depth=1
	s_delay_alu instid0(SALU_CYCLE_1) | instskip(NEXT) | instid1(SALU_CYCLE_1)
	s_or_b32 exec_lo, exec_lo, s23
	s_mov_b32 s23, exec_lo
	v_cmpx_lt_u32_e32 0xffffff, v22
	s_cbranch_execz .LBB242_660
; %bb.653:                              ;   in Loop: Header=BB242_561 Depth=1
	v_lshrrev_b32_e32 v12, 24, v22
	v_bfrev_b32_e32 v21, 1
	s_mov_b32 s24, exec_lo
	s_delay_alu instid0(VALU_DEP_2)
	v_cmpx_ne_u32_e32 0x80, v12
	s_cbranch_execz .LBB242_659
; %bb.654:                              ;   in Loop: Header=BB242_561 Depth=1
	v_and_b32_e32 v26, 0x7f, v12
	v_mov_b32_e32 v21, 0x7c010000
	s_mov_b32 s25, exec_lo
	s_delay_alu instid0(VALU_DEP_2)
	v_cmpx_ne_u32_e32 0x7f, v26
	s_cbranch_execz .LBB242_658
; %bb.655:                              ;   in Loop: Header=BB242_561 Depth=1
	v_dual_lshrrev_b32 v25, 3, v26 :: v_dual_bitop2_b32 v21, 7, v12 bitop3:0x40
	s_mov_b32 s26, exec_lo
	v_cmpx_gt_u32_e32 8, v26
; %bb.656:                              ;   in Loop: Header=BB242_561 Depth=1
	s_delay_alu instid0(VALU_DEP_2) | instskip(NEXT) | instid1(VALU_DEP_1)
	v_clz_i32_u32_e32 v21, v21
	v_min_u32_e32 v21, 32, v21
	s_delay_alu instid0(VALU_DEP_1) | instskip(NEXT) | instid1(VALU_DEP_1)
	v_subrev_nc_u32_e32 v25, 28, v21
	v_lshlrev_b64_e32 v[26:27], v25, v[12:13]
	s_delay_alu instid0(VALU_DEP_1)
	v_dual_sub_nc_u32 v25, 29, v21 :: v_dual_bitop2_b32 v21, 7, v26 bitop3:0x40
; %bb.657:                              ;   in Loop: Header=BB242_561 Depth=1
	s_or_b32 exec_lo, exec_lo, s26
	s_delay_alu instid0(VALU_DEP_1) | instskip(NEXT) | instid1(VALU_DEP_2)
	v_dual_lshlrev_b32 v12, 8, v12 :: v_dual_lshlrev_b32 v21, 23, v21
	v_lshl_add_u32 v25, v25, 10, 0x2000
	s_delay_alu instid0(VALU_DEP_1) | instskip(NEXT) | instid1(VALU_DEP_1)
	v_and_or_b32 v12, 0x8000, v12, v25
	v_lshl_or_b32 v21, v12, 16, v21
.LBB242_658:                            ;   in Loop: Header=BB242_561 Depth=1
	s_or_b32 exec_lo, exec_lo, s25
.LBB242_659:                            ;   in Loop: Header=BB242_561 Depth=1
	s_delay_alu instid0(SALU_CYCLE_1)
	s_or_b32 exec_lo, exec_lo, s24
.LBB242_660:                            ;   in Loop: Header=BB242_561 Depth=1
	s_delay_alu instid0(SALU_CYCLE_1) | instskip(SKIP_4) | instid1(VALU_DEP_3)
	s_or_b32 exec_lo, exec_lo, s23
	v_and_b32_e32 v27, 0xff, v23
	v_dual_mov_b32 v12, v23 :: v_dual_mov_b32 v26, 0
	v_mov_b32_e32 v25, 0
	s_mov_b32 s23, exec_lo
	v_cmpx_ne_u16_e32 0, v27
	s_cbranch_execz .LBB242_668
; %bb.661:                              ;   in Loop: Header=BB242_561 Depth=1
	v_mov_b32_e32 v25, 0x8000
	s_mov_b32 s24, exec_lo
	v_cmpx_ne_u16_e32 0x80, v27
	s_cbranch_execz .LBB242_667
; %bb.662:                              ;   in Loop: Header=BB242_561 Depth=1
	v_and_b32_e32 v28, 0x7f, v23
	v_mov_b32_e32 v25, 0x7c01
	s_mov_b32 s25, exec_lo
	s_delay_alu instid0(VALU_DEP_2)
	v_cmpx_ne_u32_e32 0x7f, v28
	s_cbranch_execz .LBB242_666
; %bb.663:                              ;   in Loop: Header=BB242_561 Depth=1
	v_dual_lshrrev_b32 v27, 3, v28 :: v_dual_bitop2_b32 v25, 7, v23 bitop3:0x40
	s_mov_b32 s26, exec_lo
	v_cmpx_gt_u32_e32 8, v28
; %bb.664:                              ;   in Loop: Header=BB242_561 Depth=1
	s_delay_alu instid0(VALU_DEP_2) | instskip(NEXT) | instid1(VALU_DEP_1)
	v_clz_i32_u32_e32 v25, v25
	v_min_u32_e32 v25, 32, v25
	s_delay_alu instid0(VALU_DEP_1) | instskip(NEXT) | instid1(VALU_DEP_1)
	v_subrev_nc_u32_e32 v27, 28, v25
	v_lshlrev_b64_e32 v[40:41], v27, v[12:13]
	s_delay_alu instid0(VALU_DEP_1)
	v_dual_sub_nc_u32 v27, 29, v25 :: v_dual_bitop2_b32 v25, 7, v40 bitop3:0x40
; %bb.665:                              ;   in Loop: Header=BB242_561 Depth=1
	s_or_b32 exec_lo, exec_lo, s26
	s_delay_alu instid0(VALU_DEP_1) | instskip(NEXT) | instid1(VALU_DEP_2)
	v_dual_lshlrev_b32 v28, 8, v23 :: v_dual_lshlrev_b32 v25, 7, v25
	v_lshl_add_u32 v27, v27, 10, 0x2000
	s_delay_alu instid0(VALU_DEP_2) | instskip(NEXT) | instid1(VALU_DEP_2)
	v_and_b32_e32 v28, 0x8000, v28
	v_and_b32_e32 v27, 0xfc00, v27
	s_delay_alu instid0(VALU_DEP_1)
	v_or3_b32 v25, v28, v27, v25
.LBB242_666:                            ;   in Loop: Header=BB242_561 Depth=1
	s_or_b32 exec_lo, exec_lo, s25
.LBB242_667:                            ;   in Loop: Header=BB242_561 Depth=1
	s_delay_alu instid0(SALU_CYCLE_1)
	s_or_b32 exec_lo, exec_lo, s24
.LBB242_668:                            ;   in Loop: Header=BB242_561 Depth=1
	s_delay_alu instid0(SALU_CYCLE_1) | instskip(SKIP_3) | instid1(VALU_DEP_2)
	s_or_b32 exec_lo, exec_lo, s23
	v_lshrrev_b16 v12, 8, v12
	v_mov_b32_e32 v27, 0
	s_mov_b32 s23, exec_lo
	v_cmpx_ne_u16_e32 0, v12
	s_cbranch_execz .LBB242_676
; %bb.669:                              ;   in Loop: Header=BB242_561 Depth=1
	v_bfrev_b32_e32 v27, 1
	s_mov_b32 s24, exec_lo
	v_cmpx_ne_u16_e32 0x80, v12
	s_cbranch_execz .LBB242_675
; %bb.670:                              ;   in Loop: Header=BB242_561 Depth=1
	v_and_b32_e32 v28, 0xffff, v12
	v_mov_b32_e32 v27, 0x7c010000
	s_mov_b32 s25, exec_lo
	s_delay_alu instid0(VALU_DEP_2) | instskip(NEXT) | instid1(VALU_DEP_1)
	v_and_b32_e32 v41, 0x7f, v28
	v_cmpx_ne_u32_e32 0x7f, v41
	s_cbranch_execz .LBB242_674
; %bb.671:                              ;   in Loop: Header=BB242_561 Depth=1
	v_dual_lshrrev_b32 v40, 3, v41 :: v_dual_bitop2_b32 v27, 7, v28 bitop3:0x40
	s_mov_b32 s26, exec_lo
	v_cmpx_gt_u32_e32 8, v41
; %bb.672:                              ;   in Loop: Header=BB242_561 Depth=1
	s_delay_alu instid0(VALU_DEP_2) | instskip(NEXT) | instid1(VALU_DEP_1)
	v_clz_i32_u32_e32 v27, v27
	v_min_u32_e32 v27, 32, v27
	s_delay_alu instid0(VALU_DEP_1) | instskip(NEXT) | instid1(VALU_DEP_1)
	v_subrev_nc_u32_e32 v40, 28, v27
	v_lshlrev_b64_e32 v[48:49], v40, v[12:13]
	s_delay_alu instid0(VALU_DEP_1)
	v_dual_sub_nc_u32 v40, 29, v27 :: v_dual_bitop2_b32 v27, 7, v48 bitop3:0x40
; %bb.673:                              ;   in Loop: Header=BB242_561 Depth=1
	s_or_b32 exec_lo, exec_lo, s26
	s_delay_alu instid0(VALU_DEP_1) | instskip(NEXT) | instid1(VALU_DEP_2)
	v_dual_lshlrev_b32 v12, 8, v28 :: v_dual_lshlrev_b32 v27, 23, v27
	v_lshl_add_u32 v28, v40, 10, 0x2000
	s_delay_alu instid0(VALU_DEP_1) | instskip(NEXT) | instid1(VALU_DEP_1)
	v_and_or_b32 v12, 0x8000, v12, v28
	v_lshl_or_b32 v27, v12, 16, v27
.LBB242_674:                            ;   in Loop: Header=BB242_561 Depth=1
	s_or_b32 exec_lo, exec_lo, s25
.LBB242_675:                            ;   in Loop: Header=BB242_561 Depth=1
	s_delay_alu instid0(SALU_CYCLE_1)
	s_or_b32 exec_lo, exec_lo, s24
.LBB242_676:                            ;   in Loop: Header=BB242_561 Depth=1
	s_delay_alu instid0(SALU_CYCLE_1) | instskip(SKIP_2) | instid1(VALU_DEP_1)
	s_or_b32 exec_lo, exec_lo, s23
	v_lshrrev_b32_e32 v12, 16, v23
	s_mov_b32 s23, exec_lo
	v_and_b32_e32 v28, 0xff, v12
	s_delay_alu instid0(VALU_DEP_1)
	v_cmpx_ne_u16_e32 0, v28
	s_cbranch_execz .LBB242_684
; %bb.677:                              ;   in Loop: Header=BB242_561 Depth=1
	v_mov_b32_e32 v26, 0x8000
	s_mov_b32 s24, exec_lo
	v_cmpx_ne_u16_e32 0x80, v28
	s_cbranch_execz .LBB242_683
; %bb.678:                              ;   in Loop: Header=BB242_561 Depth=1
	v_bfe_u32 v40, v23, 16, 7
	v_mov_b32_e32 v26, 0x7c01
	s_mov_b32 s25, exec_lo
	s_delay_alu instid0(VALU_DEP_2)
	v_cmpx_ne_u32_e32 0x7f, v40
	s_cbranch_execz .LBB242_682
; %bb.679:                              ;   in Loop: Header=BB242_561 Depth=1
	v_and_b32_e32 v26, 7, v12
	v_lshrrev_b32_e32 v28, 3, v40
	s_mov_b32 s26, exec_lo
	v_cmpx_gt_u32_e32 8, v40
; %bb.680:                              ;   in Loop: Header=BB242_561 Depth=1
	s_delay_alu instid0(VALU_DEP_3) | instskip(NEXT) | instid1(VALU_DEP_1)
	v_clz_i32_u32_e32 v26, v26
	v_min_u32_e32 v26, 32, v26
	s_delay_alu instid0(VALU_DEP_1) | instskip(NEXT) | instid1(VALU_DEP_1)
	v_subrev_nc_u32_e32 v28, 28, v26
	v_lshlrev_b64_e32 v[40:41], v28, v[12:13]
	s_delay_alu instid0(VALU_DEP_1)
	v_dual_sub_nc_u32 v28, 29, v26 :: v_dual_bitop2_b32 v26, 7, v40 bitop3:0x40
; %bb.681:                              ;   in Loop: Header=BB242_561 Depth=1
	s_or_b32 exec_lo, exec_lo, s26
	s_delay_alu instid0(VALU_DEP_1) | instskip(NEXT) | instid1(VALU_DEP_2)
	v_dual_lshlrev_b32 v12, 8, v12 :: v_dual_lshlrev_b32 v26, 7, v26
	v_lshl_add_u32 v28, v28, 10, 0x2000
	s_delay_alu instid0(VALU_DEP_2) | instskip(NEXT) | instid1(VALU_DEP_2)
	v_and_b32_e32 v12, 0x8000, v12
	v_and_b32_e32 v28, 0xfc00, v28
	s_delay_alu instid0(VALU_DEP_1)
	v_or3_b32 v26, v12, v28, v26
.LBB242_682:                            ;   in Loop: Header=BB242_561 Depth=1
	s_or_b32 exec_lo, exec_lo, s25
.LBB242_683:                            ;   in Loop: Header=BB242_561 Depth=1
	s_delay_alu instid0(SALU_CYCLE_1)
	s_or_b32 exec_lo, exec_lo, s24
.LBB242_684:                            ;   in Loop: Header=BB242_561 Depth=1
	s_delay_alu instid0(SALU_CYCLE_1)
	s_or_b32 exec_lo, exec_lo, s23
	v_cmp_lt_u64_e64 s0, s[8:9], v[22:23]
	v_mov_b32_e32 v22, 0
	s_and_saveexec_b32 s23, s0
	s_cbranch_execz .LBB242_692
; %bb.685:                              ;   in Loop: Header=BB242_561 Depth=1
	v_lshrrev_b32_e32 v12, 24, v23
	v_bfrev_b32_e32 v22, 1
	s_mov_b32 s24, exec_lo
	s_delay_alu instid0(VALU_DEP_2)
	v_cmpx_ne_u32_e32 0x80, v12
	s_cbranch_execz .LBB242_691
; %bb.686:                              ;   in Loop: Header=BB242_561 Depth=1
	v_and_b32_e32 v28, 0x7f, v12
	v_mov_b32_e32 v22, 0x7c010000
	s_mov_b32 s25, exec_lo
	s_delay_alu instid0(VALU_DEP_2)
	v_cmpx_ne_u32_e32 0x7f, v28
	s_cbranch_execz .LBB242_690
; %bb.687:                              ;   in Loop: Header=BB242_561 Depth=1
	v_and_b32_e32 v22, 7, v12
	v_lshrrev_b32_e32 v23, 3, v28
	s_mov_b32 s26, exec_lo
	v_cmpx_gt_u32_e32 8, v28
; %bb.688:                              ;   in Loop: Header=BB242_561 Depth=1
	s_delay_alu instid0(VALU_DEP_3) | instskip(NEXT) | instid1(VALU_DEP_1)
	v_clz_i32_u32_e32 v22, v22
	v_min_u32_e32 v28, 32, v22
	s_delay_alu instid0(VALU_DEP_1) | instskip(NEXT) | instid1(VALU_DEP_1)
	v_subrev_nc_u32_e32 v22, 28, v28
	v_lshlrev_b64_e32 v[22:23], v22, v[12:13]
	s_delay_alu instid0(VALU_DEP_1)
	v_dual_sub_nc_u32 v23, 29, v28 :: v_dual_bitop2_b32 v22, 7, v22 bitop3:0x40
; %bb.689:                              ;   in Loop: Header=BB242_561 Depth=1
	s_or_b32 exec_lo, exec_lo, s26
	s_delay_alu instid0(VALU_DEP_1) | instskip(NEXT) | instid1(VALU_DEP_2)
	v_dual_lshlrev_b32 v12, 8, v12 :: v_dual_lshlrev_b32 v22, 23, v22
	v_lshl_add_u32 v23, v23, 10, 0x2000
	s_delay_alu instid0(VALU_DEP_1) | instskip(NEXT) | instid1(VALU_DEP_1)
	v_and_or_b32 v12, 0x8000, v12, v23
	v_lshl_or_b32 v22, v12, 16, v22
.LBB242_690:                            ;   in Loop: Header=BB242_561 Depth=1
	s_or_b32 exec_lo, exec_lo, s25
.LBB242_691:                            ;   in Loop: Header=BB242_561 Depth=1
	s_delay_alu instid0(SALU_CYCLE_1)
	s_or_b32 exec_lo, exec_lo, s24
.LBB242_692:                            ;   in Loop: Header=BB242_561 Depth=1
	s_delay_alu instid0(SALU_CYCLE_1) | instskip(SKIP_3) | instid1(VALU_DEP_3)
	s_or_b32 exec_lo, exec_lo, s23
	v_dual_lshrrev_b32 v12, 16, v1 :: v_dual_bitop2_b32 v1, v1, v3 bitop3:0x54
	v_dual_lshrrev_b32 v23, 16, v21 :: v_dual_bitop2_b32 v3, v21, v24 bitop3:0x54
	v_lshrrev_b32_e32 v24, 16, v22
	v_cvt_f32_f16_e32 v41, v12
	v_dual_lshrrev_b32 v21, 16, v27 :: v_dual_bitop2_b32 v12, v22, v26 bitop3:0x54
	s_delay_alu instid0(VALU_DEP_4)
	v_cvt_f32_f16_e32 v40, v23
	v_cvt_f32_f16_e32 v22, v3
	v_or_b32_e32 v3, v27, v25
	v_cvt_f32_f16_e32 v23, v1
	v_cvt_f32_f16_e32 v25, v21
	s_wait_loadcnt 0x0
	v_pk_mul_f32 v[40:41], v[20:21], v[40:41] op_sel_hi:[0,1]
	v_cvt_f32_f16_e32 v24, v24
	v_cvt_f32_f16_e32 v26, v12
	;; [unrolled: 1-line block ×3, first 2 shown]
	v_pk_mul_f32 v[22:23], v[20:21], v[22:23] op_sel_hi:[0,1]
	v_cvt_pk_f16_f32 v1, v40, v41
	v_pk_mul_f32 v[24:25], v[20:21], v[24:25] op_sel_hi:[0,1]
	s_delay_alu instid0(VALU_DEP_4) | instskip(NEXT) | instid1(VALU_DEP_4)
	v_pk_mul_f32 v[26:27], v[20:21], v[26:27] op_sel_hi:[0,1]
	v_cvt_pk_f16_f32 v3, v22, v23
	s_delay_alu instid0(VALU_DEP_4) | instskip(NEXT) | instid1(VALU_DEP_4)
	v_and_b32_e32 v21, 0xffff0000, v1
	v_cvt_pk_f16_f32 v12, v24, v25
	v_lshlrev_b32_e32 v22, 16, v1
	v_cvt_pk_f16_f32 v20, v26, v27
	v_lshrrev_b32_e32 v27, 16, v3
	v_and_b32_e32 v28, 0xffff, v3
	v_and_b32_e32 v1, 0xffff0000, v12
	s_delay_alu instid0(VALU_DEP_3) | instskip(SKIP_3) | instid1(VALU_DEP_2)
	v_dual_lshlrev_b32 v12, 16, v12 :: v_dual_bitop2_b32 v25, v21, v27 bitop3:0x54
	v_lshrrev_b32_e32 v3, 16, v20
	v_and_b32_e32 v20, 0xffff, v20
	v_or_b32_e32 v26, v22, v28
	v_or_b32_e32 v24, v12, v20
	s_delay_alu instid0(VALU_DEP_4)
	v_or_b32_e32 v23, v1, v3
	s_and_saveexec_b32 s23, vcc_lo
	s_cbranch_execz .LBB242_694
; %bb.693:                              ;   in Loop: Header=BB242_561 Depth=1
	v_cmp_gt_i32_e64 s0, s18, v2
	s_delay_alu instid0(VALU_DEP_1) | instskip(SKIP_1) | instid1(VALU_DEP_1)
	v_cndmask_b32_e64 v23, 0, v27, s0
	v_cmp_gt_i32_e64 s0, s34, v39
	v_cndmask_b32_e64 v24, 0, v28, s0
	v_cmp_gt_i32_e64 s0, s18, v38
	s_delay_alu instid0(VALU_DEP_1) | instskip(SKIP_1) | instid1(VALU_DEP_1)
	v_cndmask_b32_e64 v21, 0, v21, s0
	v_cmp_gt_i32_e64 s0, s34, v37
	v_cndmask_b32_e64 v22, 0, v22, s0
	v_cmp_gt_i32_e64 s0, s18, v36
	s_delay_alu instid0(VALU_DEP_4) | instskip(NEXT) | instid1(VALU_DEP_2)
	v_or_b32_e32 v25, v21, v23
	v_dual_cndmask_b32 v3, 0, v3, s0 :: v_dual_bitop2_b32 v26, v22, v24 bitop3:0x54
	v_cmp_gt_i32_e64 s0, s34, v35
	s_delay_alu instid0(VALU_DEP_1) | instskip(SKIP_1) | instid1(VALU_DEP_1)
	v_cndmask_b32_e64 v20, 0, v20, s0
	v_cmp_gt_i32_e64 s0, s18, v34
	v_cndmask_b32_e64 v1, 0, v1, s0
	v_cmp_gt_i32_e64 s0, s34, v33
	s_delay_alu instid0(VALU_DEP_1) | instskip(NEXT) | instid1(VALU_DEP_1)
	v_dual_cndmask_b32 v12, 0, v12, s0 :: v_dual_bitop2_b32 v23, v1, v3 bitop3:0x54
	v_or_b32_e32 v24, v12, v20
.LBB242_694:                            ;   in Loop: Header=BB242_561 Depth=1
	s_or_b32 exec_lo, exec_lo, s23
	;;#ASMSTART
	v_pk_mul_f16 v1, v46, v25;

	;;#ASMEND
	;;#ASMSTART
	v_pk_mul_f16 v3, v44, v26;

	;;#ASMEND
	;; [unrolled: 4-line block ×4, first 2 shown]
	;;#ASMSTART
	v_pk_add_f16 v1, v1, v3;

	;;#ASMEND
	;;#ASMSTART
	v_pk_add_f16 v1, v1, v12;

	;;#ASMEND
	;; [unrolled: 4-line block ×3, first 2 shown]
	v_and_b32_e32 v3, 0xffff, v1
	v_lshrrev_b32_e32 v1, 16, v1
	;;#ASMSTART
	v_cvt_f32_f16 v48, v3;
	;;#ASMEND
	v_mov_b32_e32 v3, 0
	;;#ASMSTART
	v_cvt_f32_f16 v49, v1;
	;;#ASMEND
	global_load_b64 v[22:23], v[18:19], off offset:512
	v_mov_b32_e32 v1, 0
	s_mov_b32 s23, exec_lo
	global_load_b32 v20, v1, s[10:11]
	s_wait_loadcnt 0x1
	v_and_b32_e32 v12, 0xff, v22
	s_wait_xcnt 0x0
	s_delay_alu instid0(VALU_DEP_1)
	v_cmpx_ne_u16_e32 0, v12
	s_cbranch_execz .LBB242_702
; %bb.695:                              ;   in Loop: Header=BB242_561 Depth=1
	v_mov_b32_e32 v3, 0x8000
	s_mov_b32 s24, exec_lo
	v_cmpx_ne_u16_e32 0x80, v12
	s_cbranch_execz .LBB242_701
; %bb.696:                              ;   in Loop: Header=BB242_561 Depth=1
	v_and_b32_e32 v21, 0x7f, v22
	v_mov_b32_e32 v3, 0x7c01
	s_mov_b32 s25, exec_lo
	s_delay_alu instid0(VALU_DEP_2)
	v_cmpx_ne_u32_e32 0x7f, v21
	s_cbranch_execz .LBB242_700
; %bb.697:                              ;   in Loop: Header=BB242_561 Depth=1
	v_dual_lshrrev_b32 v12, 3, v21 :: v_dual_bitop2_b32 v3, 7, v22 bitop3:0x40
	s_mov_b32 s26, exec_lo
	v_cmpx_gt_u32_e32 8, v21
; %bb.698:                              ;   in Loop: Header=BB242_561 Depth=1
	s_delay_alu instid0(VALU_DEP_2) | instskip(NEXT) | instid1(VALU_DEP_1)
	v_clz_i32_u32_e32 v3, v3
	v_min_u32_e32 v3, 32, v3
	s_delay_alu instid0(VALU_DEP_1) | instskip(NEXT) | instid1(VALU_DEP_1)
	v_subrev_nc_u32_e32 v12, 28, v3
	v_lshlrev_b64_e32 v[24:25], v12, v[22:23]
	s_delay_alu instid0(VALU_DEP_1)
	v_dual_sub_nc_u32 v12, 29, v3 :: v_dual_bitop2_b32 v3, 7, v24 bitop3:0x40
; %bb.699:                              ;   in Loop: Header=BB242_561 Depth=1
	s_or_b32 exec_lo, exec_lo, s26
	s_delay_alu instid0(VALU_DEP_1) | instskip(NEXT) | instid1(VALU_DEP_2)
	v_dual_lshlrev_b32 v21, 8, v22 :: v_dual_lshlrev_b32 v3, 7, v3
	v_lshl_add_u32 v12, v12, 10, 0x2000
	s_delay_alu instid0(VALU_DEP_2) | instskip(NEXT) | instid1(VALU_DEP_2)
	v_and_b32_e32 v21, 0x8000, v21
	v_and_b32_e32 v12, 0xfc00, v12
	s_delay_alu instid0(VALU_DEP_1)
	v_or3_b32 v3, v21, v12, v3
.LBB242_700:                            ;   in Loop: Header=BB242_561 Depth=1
	s_or_b32 exec_lo, exec_lo, s25
.LBB242_701:                            ;   in Loop: Header=BB242_561 Depth=1
	s_delay_alu instid0(SALU_CYCLE_1)
	s_or_b32 exec_lo, exec_lo, s24
.LBB242_702:                            ;   in Loop: Header=BB242_561 Depth=1
	s_delay_alu instid0(SALU_CYCLE_1) | instskip(SKIP_2) | instid1(VALU_DEP_1)
	s_or_b32 exec_lo, exec_lo, s23
	v_lshrrev_b16 v12, 8, v22
	s_mov_b32 s23, exec_lo
	v_cmpx_ne_u16_e32 0, v12
	s_cbranch_execz .LBB242_710
; %bb.703:                              ;   in Loop: Header=BB242_561 Depth=1
	v_bfrev_b32_e32 v1, 1
	s_mov_b32 s24, exec_lo
	v_cmpx_ne_u16_e32 0x80, v12
	s_cbranch_execz .LBB242_709
; %bb.704:                              ;   in Loop: Header=BB242_561 Depth=1
	v_and_b32_e32 v21, 0xffff, v12
	v_mov_b32_e32 v1, 0x7c010000
	s_mov_b32 s25, exec_lo
	s_delay_alu instid0(VALU_DEP_2) | instskip(NEXT) | instid1(VALU_DEP_1)
	v_and_b32_e32 v25, 0x7f, v21
	v_cmpx_ne_u32_e32 0x7f, v25
	s_cbranch_execz .LBB242_708
; %bb.705:                              ;   in Loop: Header=BB242_561 Depth=1
	v_and_b32_e32 v1, 7, v21
	v_lshrrev_b32_e32 v24, 3, v25
	s_mov_b32 s26, exec_lo
	v_cmpx_gt_u32_e32 8, v25
; %bb.706:                              ;   in Loop: Header=BB242_561 Depth=1
	s_delay_alu instid0(VALU_DEP_3) | instskip(NEXT) | instid1(VALU_DEP_1)
	v_clz_i32_u32_e32 v1, v1
	v_min_u32_e32 v1, 32, v1
	s_delay_alu instid0(VALU_DEP_1) | instskip(NEXT) | instid1(VALU_DEP_1)
	v_subrev_nc_u32_e32 v24, 28, v1
	v_lshlrev_b64_e32 v[26:27], v24, v[12:13]
	s_delay_alu instid0(VALU_DEP_1)
	v_dual_sub_nc_u32 v24, 29, v1 :: v_dual_bitop2_b32 v1, 7, v26 bitop3:0x40
; %bb.707:                              ;   in Loop: Header=BB242_561 Depth=1
	s_or_b32 exec_lo, exec_lo, s26
	v_lshlrev_b32_e32 v12, 8, v21
	s_delay_alu instid0(VALU_DEP_2) | instskip(NEXT) | instid1(VALU_DEP_3)
	v_lshl_add_u32 v21, v24, 10, 0x2000
	v_lshlrev_b32_e32 v1, 23, v1
	s_delay_alu instid0(VALU_DEP_2) | instskip(NEXT) | instid1(VALU_DEP_1)
	v_and_or_b32 v12, 0x8000, v12, v21
	v_lshl_or_b32 v1, v12, 16, v1
.LBB242_708:                            ;   in Loop: Header=BB242_561 Depth=1
	s_or_b32 exec_lo, exec_lo, s25
.LBB242_709:                            ;   in Loop: Header=BB242_561 Depth=1
	s_delay_alu instid0(SALU_CYCLE_1)
	s_or_b32 exec_lo, exec_lo, s24
.LBB242_710:                            ;   in Loop: Header=BB242_561 Depth=1
	s_delay_alu instid0(SALU_CYCLE_1) | instskip(SKIP_3) | instid1(VALU_DEP_2)
	s_or_b32 exec_lo, exec_lo, s23
	v_dual_mov_b32 v21, 0 :: v_dual_lshrrev_b32 v12, 16, v22
	v_mov_b32_e32 v24, 0
	s_mov_b32 s23, exec_lo
	v_and_b32_e32 v25, 0xff, v12
	s_delay_alu instid0(VALU_DEP_1)
	v_cmpx_ne_u16_e32 0, v25
	s_cbranch_execz .LBB242_718
; %bb.711:                              ;   in Loop: Header=BB242_561 Depth=1
	v_mov_b32_e32 v24, 0x8000
	s_mov_b32 s24, exec_lo
	v_cmpx_ne_u16_e32 0x80, v25
	s_cbranch_execz .LBB242_717
; %bb.712:                              ;   in Loop: Header=BB242_561 Depth=1
	v_bfe_u32 v26, v22, 16, 7
	v_mov_b32_e32 v24, 0x7c01
	s_mov_b32 s25, exec_lo
	s_delay_alu instid0(VALU_DEP_2)
	v_cmpx_ne_u32_e32 0x7f, v26
	s_cbranch_execz .LBB242_716
; %bb.713:                              ;   in Loop: Header=BB242_561 Depth=1
	v_dual_lshrrev_b32 v25, 3, v26 :: v_dual_bitop2_b32 v24, 7, v12 bitop3:0x40
	s_mov_b32 s26, exec_lo
	v_cmpx_gt_u32_e32 8, v26
; %bb.714:                              ;   in Loop: Header=BB242_561 Depth=1
	s_delay_alu instid0(VALU_DEP_2) | instskip(NEXT) | instid1(VALU_DEP_1)
	v_clz_i32_u32_e32 v24, v24
	v_min_u32_e32 v26, 32, v24
	s_delay_alu instid0(VALU_DEP_1) | instskip(NEXT) | instid1(VALU_DEP_1)
	v_subrev_nc_u32_e32 v24, 28, v26
	v_lshlrev_b64_e32 v[24:25], v24, v[12:13]
	s_delay_alu instid0(VALU_DEP_1)
	v_dual_sub_nc_u32 v25, 29, v26 :: v_dual_bitop2_b32 v24, 7, v24 bitop3:0x40
; %bb.715:                              ;   in Loop: Header=BB242_561 Depth=1
	s_or_b32 exec_lo, exec_lo, s26
	v_lshlrev_b32_e32 v12, 8, v12
	s_delay_alu instid0(VALU_DEP_2) | instskip(NEXT) | instid1(VALU_DEP_3)
	v_lshl_add_u32 v25, v25, 10, 0x2000
	v_lshlrev_b32_e32 v24, 7, v24
	s_delay_alu instid0(VALU_DEP_3) | instskip(NEXT) | instid1(VALU_DEP_3)
	v_and_b32_e32 v12, 0x8000, v12
	v_and_b32_e32 v25, 0xfc00, v25
	s_delay_alu instid0(VALU_DEP_1)
	v_or3_b32 v24, v12, v25, v24
.LBB242_716:                            ;   in Loop: Header=BB242_561 Depth=1
	s_or_b32 exec_lo, exec_lo, s25
.LBB242_717:                            ;   in Loop: Header=BB242_561 Depth=1
	s_delay_alu instid0(SALU_CYCLE_1)
	s_or_b32 exec_lo, exec_lo, s24
.LBB242_718:                            ;   in Loop: Header=BB242_561 Depth=1
	s_delay_alu instid0(SALU_CYCLE_1) | instskip(NEXT) | instid1(SALU_CYCLE_1)
	s_or_b32 exec_lo, exec_lo, s23
	s_mov_b32 s23, exec_lo
	v_cmpx_lt_u32_e32 0xffffff, v22
	s_cbranch_execz .LBB242_726
; %bb.719:                              ;   in Loop: Header=BB242_561 Depth=1
	v_lshrrev_b32_e32 v12, 24, v22
	v_bfrev_b32_e32 v21, 1
	s_mov_b32 s24, exec_lo
	s_delay_alu instid0(VALU_DEP_2)
	v_cmpx_ne_u32_e32 0x80, v12
	s_cbranch_execz .LBB242_725
; %bb.720:                              ;   in Loop: Header=BB242_561 Depth=1
	v_and_b32_e32 v26, 0x7f, v12
	v_mov_b32_e32 v21, 0x7c010000
	s_mov_b32 s25, exec_lo
	s_delay_alu instid0(VALU_DEP_2)
	v_cmpx_ne_u32_e32 0x7f, v26
	s_cbranch_execz .LBB242_724
; %bb.721:                              ;   in Loop: Header=BB242_561 Depth=1
	v_dual_lshrrev_b32 v25, 3, v26 :: v_dual_bitop2_b32 v21, 7, v12 bitop3:0x40
	s_mov_b32 s26, exec_lo
	v_cmpx_gt_u32_e32 8, v26
; %bb.722:                              ;   in Loop: Header=BB242_561 Depth=1
	s_delay_alu instid0(VALU_DEP_2) | instskip(NEXT) | instid1(VALU_DEP_1)
	v_clz_i32_u32_e32 v21, v21
	v_min_u32_e32 v21, 32, v21
	s_delay_alu instid0(VALU_DEP_1) | instskip(NEXT) | instid1(VALU_DEP_1)
	v_subrev_nc_u32_e32 v25, 28, v21
	v_lshlrev_b64_e32 v[26:27], v25, v[12:13]
	s_delay_alu instid0(VALU_DEP_1)
	v_dual_sub_nc_u32 v25, 29, v21 :: v_dual_bitop2_b32 v21, 7, v26 bitop3:0x40
; %bb.723:                              ;   in Loop: Header=BB242_561 Depth=1
	s_or_b32 exec_lo, exec_lo, s26
	s_delay_alu instid0(VALU_DEP_1) | instskip(NEXT) | instid1(VALU_DEP_2)
	v_dual_lshlrev_b32 v12, 8, v12 :: v_dual_lshlrev_b32 v21, 23, v21
	v_lshl_add_u32 v25, v25, 10, 0x2000
	s_delay_alu instid0(VALU_DEP_1) | instskip(NEXT) | instid1(VALU_DEP_1)
	v_and_or_b32 v12, 0x8000, v12, v25
	v_lshl_or_b32 v21, v12, 16, v21
.LBB242_724:                            ;   in Loop: Header=BB242_561 Depth=1
	s_or_b32 exec_lo, exec_lo, s25
.LBB242_725:                            ;   in Loop: Header=BB242_561 Depth=1
	s_delay_alu instid0(SALU_CYCLE_1)
	s_or_b32 exec_lo, exec_lo, s24
.LBB242_726:                            ;   in Loop: Header=BB242_561 Depth=1
	s_delay_alu instid0(SALU_CYCLE_1) | instskip(SKIP_4) | instid1(VALU_DEP_3)
	s_or_b32 exec_lo, exec_lo, s23
	v_and_b32_e32 v27, 0xff, v23
	v_dual_mov_b32 v12, v23 :: v_dual_mov_b32 v26, 0
	v_mov_b32_e32 v25, 0
	s_mov_b32 s23, exec_lo
	v_cmpx_ne_u16_e32 0, v27
	s_cbranch_execz .LBB242_734
; %bb.727:                              ;   in Loop: Header=BB242_561 Depth=1
	v_mov_b32_e32 v25, 0x8000
	s_mov_b32 s24, exec_lo
	v_cmpx_ne_u16_e32 0x80, v27
	s_cbranch_execz .LBB242_733
; %bb.728:                              ;   in Loop: Header=BB242_561 Depth=1
	v_and_b32_e32 v28, 0x7f, v23
	v_mov_b32_e32 v25, 0x7c01
	s_mov_b32 s25, exec_lo
	s_delay_alu instid0(VALU_DEP_2)
	v_cmpx_ne_u32_e32 0x7f, v28
	s_cbranch_execz .LBB242_732
; %bb.729:                              ;   in Loop: Header=BB242_561 Depth=1
	v_dual_lshrrev_b32 v27, 3, v28 :: v_dual_bitop2_b32 v25, 7, v23 bitop3:0x40
	s_mov_b32 s26, exec_lo
	v_cmpx_gt_u32_e32 8, v28
; %bb.730:                              ;   in Loop: Header=BB242_561 Depth=1
	s_delay_alu instid0(VALU_DEP_2) | instskip(NEXT) | instid1(VALU_DEP_1)
	v_clz_i32_u32_e32 v25, v25
	v_min_u32_e32 v25, 32, v25
	s_delay_alu instid0(VALU_DEP_1) | instskip(NEXT) | instid1(VALU_DEP_1)
	v_subrev_nc_u32_e32 v27, 28, v25
	v_lshlrev_b64_e32 v[40:41], v27, v[12:13]
	s_delay_alu instid0(VALU_DEP_1)
	v_dual_sub_nc_u32 v27, 29, v25 :: v_dual_bitop2_b32 v25, 7, v40 bitop3:0x40
; %bb.731:                              ;   in Loop: Header=BB242_561 Depth=1
	s_or_b32 exec_lo, exec_lo, s26
	s_delay_alu instid0(VALU_DEP_1) | instskip(NEXT) | instid1(VALU_DEP_2)
	v_dual_lshlrev_b32 v28, 8, v23 :: v_dual_lshlrev_b32 v25, 7, v25
	v_lshl_add_u32 v27, v27, 10, 0x2000
	s_delay_alu instid0(VALU_DEP_2) | instskip(NEXT) | instid1(VALU_DEP_2)
	v_and_b32_e32 v28, 0x8000, v28
	v_and_b32_e32 v27, 0xfc00, v27
	s_delay_alu instid0(VALU_DEP_1)
	v_or3_b32 v25, v28, v27, v25
.LBB242_732:                            ;   in Loop: Header=BB242_561 Depth=1
	s_or_b32 exec_lo, exec_lo, s25
.LBB242_733:                            ;   in Loop: Header=BB242_561 Depth=1
	s_delay_alu instid0(SALU_CYCLE_1)
	s_or_b32 exec_lo, exec_lo, s24
.LBB242_734:                            ;   in Loop: Header=BB242_561 Depth=1
	s_delay_alu instid0(SALU_CYCLE_1) | instskip(SKIP_3) | instid1(VALU_DEP_2)
	s_or_b32 exec_lo, exec_lo, s23
	v_lshrrev_b16 v12, 8, v12
	v_mov_b32_e32 v27, 0
	s_mov_b32 s23, exec_lo
	v_cmpx_ne_u16_e32 0, v12
	s_cbranch_execz .LBB242_742
; %bb.735:                              ;   in Loop: Header=BB242_561 Depth=1
	v_bfrev_b32_e32 v27, 1
	s_mov_b32 s24, exec_lo
	v_cmpx_ne_u16_e32 0x80, v12
	s_cbranch_execz .LBB242_741
; %bb.736:                              ;   in Loop: Header=BB242_561 Depth=1
	v_and_b32_e32 v28, 0xffff, v12
	v_mov_b32_e32 v27, 0x7c010000
	s_mov_b32 s25, exec_lo
	s_delay_alu instid0(VALU_DEP_2) | instskip(NEXT) | instid1(VALU_DEP_1)
	v_and_b32_e32 v41, 0x7f, v28
	v_cmpx_ne_u32_e32 0x7f, v41
	s_cbranch_execz .LBB242_740
; %bb.737:                              ;   in Loop: Header=BB242_561 Depth=1
	v_dual_lshrrev_b32 v40, 3, v41 :: v_dual_bitop2_b32 v27, 7, v28 bitop3:0x40
	s_mov_b32 s26, exec_lo
	v_cmpx_gt_u32_e32 8, v41
; %bb.738:                              ;   in Loop: Header=BB242_561 Depth=1
	s_delay_alu instid0(VALU_DEP_2) | instskip(NEXT) | instid1(VALU_DEP_1)
	v_clz_i32_u32_e32 v27, v27
	v_min_u32_e32 v27, 32, v27
	s_delay_alu instid0(VALU_DEP_1) | instskip(NEXT) | instid1(VALU_DEP_1)
	v_subrev_nc_u32_e32 v40, 28, v27
	v_lshlrev_b64_e32 v[50:51], v40, v[12:13]
	s_delay_alu instid0(VALU_DEP_1)
	v_dual_sub_nc_u32 v40, 29, v27 :: v_dual_bitop2_b32 v27, 7, v50 bitop3:0x40
; %bb.739:                              ;   in Loop: Header=BB242_561 Depth=1
	s_or_b32 exec_lo, exec_lo, s26
	s_delay_alu instid0(VALU_DEP_1) | instskip(NEXT) | instid1(VALU_DEP_2)
	v_dual_lshlrev_b32 v12, 8, v28 :: v_dual_lshlrev_b32 v27, 23, v27
	v_lshl_add_u32 v28, v40, 10, 0x2000
	s_delay_alu instid0(VALU_DEP_1) | instskip(NEXT) | instid1(VALU_DEP_1)
	v_and_or_b32 v12, 0x8000, v12, v28
	v_lshl_or_b32 v27, v12, 16, v27
.LBB242_740:                            ;   in Loop: Header=BB242_561 Depth=1
	s_or_b32 exec_lo, exec_lo, s25
.LBB242_741:                            ;   in Loop: Header=BB242_561 Depth=1
	s_delay_alu instid0(SALU_CYCLE_1)
	s_or_b32 exec_lo, exec_lo, s24
.LBB242_742:                            ;   in Loop: Header=BB242_561 Depth=1
	s_delay_alu instid0(SALU_CYCLE_1) | instskip(SKIP_2) | instid1(VALU_DEP_1)
	s_or_b32 exec_lo, exec_lo, s23
	v_lshrrev_b32_e32 v12, 16, v23
	s_mov_b32 s23, exec_lo
	v_and_b32_e32 v28, 0xff, v12
	s_delay_alu instid0(VALU_DEP_1)
	v_cmpx_ne_u16_e32 0, v28
	s_cbranch_execz .LBB242_750
; %bb.743:                              ;   in Loop: Header=BB242_561 Depth=1
	v_mov_b32_e32 v26, 0x8000
	s_mov_b32 s24, exec_lo
	v_cmpx_ne_u16_e32 0x80, v28
	s_cbranch_execz .LBB242_749
; %bb.744:                              ;   in Loop: Header=BB242_561 Depth=1
	v_bfe_u32 v40, v23, 16, 7
	v_mov_b32_e32 v26, 0x7c01
	s_mov_b32 s25, exec_lo
	s_delay_alu instid0(VALU_DEP_2)
	v_cmpx_ne_u32_e32 0x7f, v40
	s_cbranch_execz .LBB242_748
; %bb.745:                              ;   in Loop: Header=BB242_561 Depth=1
	v_and_b32_e32 v26, 7, v12
	v_lshrrev_b32_e32 v28, 3, v40
	s_mov_b32 s26, exec_lo
	v_cmpx_gt_u32_e32 8, v40
; %bb.746:                              ;   in Loop: Header=BB242_561 Depth=1
	s_delay_alu instid0(VALU_DEP_3) | instskip(NEXT) | instid1(VALU_DEP_1)
	v_clz_i32_u32_e32 v26, v26
	v_min_u32_e32 v26, 32, v26
	s_delay_alu instid0(VALU_DEP_1) | instskip(NEXT) | instid1(VALU_DEP_1)
	v_subrev_nc_u32_e32 v28, 28, v26
	v_lshlrev_b64_e32 v[40:41], v28, v[12:13]
	s_delay_alu instid0(VALU_DEP_1)
	v_dual_sub_nc_u32 v28, 29, v26 :: v_dual_bitop2_b32 v26, 7, v40 bitop3:0x40
; %bb.747:                              ;   in Loop: Header=BB242_561 Depth=1
	s_or_b32 exec_lo, exec_lo, s26
	s_delay_alu instid0(VALU_DEP_1) | instskip(NEXT) | instid1(VALU_DEP_2)
	v_dual_lshlrev_b32 v12, 8, v12 :: v_dual_lshlrev_b32 v26, 7, v26
	v_lshl_add_u32 v28, v28, 10, 0x2000
	s_delay_alu instid0(VALU_DEP_2) | instskip(NEXT) | instid1(VALU_DEP_2)
	v_and_b32_e32 v12, 0x8000, v12
	v_and_b32_e32 v28, 0xfc00, v28
	s_delay_alu instid0(VALU_DEP_1)
	v_or3_b32 v26, v12, v28, v26
.LBB242_748:                            ;   in Loop: Header=BB242_561 Depth=1
	s_or_b32 exec_lo, exec_lo, s25
.LBB242_749:                            ;   in Loop: Header=BB242_561 Depth=1
	s_delay_alu instid0(SALU_CYCLE_1)
	s_or_b32 exec_lo, exec_lo, s24
.LBB242_750:                            ;   in Loop: Header=BB242_561 Depth=1
	s_delay_alu instid0(SALU_CYCLE_1)
	s_or_b32 exec_lo, exec_lo, s23
	v_cmp_lt_u64_e64 s0, s[8:9], v[22:23]
	v_mov_b32_e32 v22, 0
	s_and_saveexec_b32 s23, s0
	s_cbranch_execz .LBB242_758
; %bb.751:                              ;   in Loop: Header=BB242_561 Depth=1
	v_lshrrev_b32_e32 v12, 24, v23
	v_bfrev_b32_e32 v22, 1
	s_mov_b32 s24, exec_lo
	s_delay_alu instid0(VALU_DEP_2)
	v_cmpx_ne_u32_e32 0x80, v12
	s_cbranch_execz .LBB242_757
; %bb.752:                              ;   in Loop: Header=BB242_561 Depth=1
	v_and_b32_e32 v28, 0x7f, v12
	v_mov_b32_e32 v22, 0x7c010000
	s_mov_b32 s25, exec_lo
	s_delay_alu instid0(VALU_DEP_2)
	v_cmpx_ne_u32_e32 0x7f, v28
	s_cbranch_execz .LBB242_756
; %bb.753:                              ;   in Loop: Header=BB242_561 Depth=1
	v_and_b32_e32 v22, 7, v12
	v_lshrrev_b32_e32 v23, 3, v28
	s_mov_b32 s26, exec_lo
	v_cmpx_gt_u32_e32 8, v28
; %bb.754:                              ;   in Loop: Header=BB242_561 Depth=1
	s_delay_alu instid0(VALU_DEP_3) | instskip(NEXT) | instid1(VALU_DEP_1)
	v_clz_i32_u32_e32 v22, v22
	v_min_u32_e32 v28, 32, v22
	s_delay_alu instid0(VALU_DEP_1) | instskip(NEXT) | instid1(VALU_DEP_1)
	v_subrev_nc_u32_e32 v22, 28, v28
	v_lshlrev_b64_e32 v[22:23], v22, v[12:13]
	s_delay_alu instid0(VALU_DEP_1)
	v_dual_sub_nc_u32 v23, 29, v28 :: v_dual_bitop2_b32 v22, 7, v22 bitop3:0x40
; %bb.755:                              ;   in Loop: Header=BB242_561 Depth=1
	s_or_b32 exec_lo, exec_lo, s26
	s_delay_alu instid0(VALU_DEP_1) | instskip(NEXT) | instid1(VALU_DEP_2)
	v_dual_lshlrev_b32 v12, 8, v12 :: v_dual_lshlrev_b32 v22, 23, v22
	v_lshl_add_u32 v23, v23, 10, 0x2000
	s_delay_alu instid0(VALU_DEP_1) | instskip(NEXT) | instid1(VALU_DEP_1)
	v_and_or_b32 v12, 0x8000, v12, v23
	v_lshl_or_b32 v22, v12, 16, v22
.LBB242_756:                            ;   in Loop: Header=BB242_561 Depth=1
	s_or_b32 exec_lo, exec_lo, s25
.LBB242_757:                            ;   in Loop: Header=BB242_561 Depth=1
	s_delay_alu instid0(SALU_CYCLE_1)
	s_or_b32 exec_lo, exec_lo, s24
.LBB242_758:                            ;   in Loop: Header=BB242_561 Depth=1
	s_delay_alu instid0(SALU_CYCLE_1) | instskip(SKIP_3) | instid1(VALU_DEP_3)
	s_or_b32 exec_lo, exec_lo, s23
	v_dual_lshrrev_b32 v12, 16, v1 :: v_dual_bitop2_b32 v1, v1, v3 bitop3:0x54
	v_dual_lshrrev_b32 v23, 16, v21 :: v_dual_bitop2_b32 v3, v21, v24 bitop3:0x54
	v_lshrrev_b32_e32 v24, 16, v22
	v_cvt_f32_f16_e32 v41, v12
	v_dual_lshrrev_b32 v21, 16, v27 :: v_dual_bitop2_b32 v12, v22, v26 bitop3:0x54
	s_delay_alu instid0(VALU_DEP_4)
	v_cvt_f32_f16_e32 v40, v23
	v_cvt_f32_f16_e32 v22, v3
	v_or_b32_e32 v3, v27, v25
	v_cvt_f32_f16_e32 v23, v1
	v_cvt_f32_f16_e32 v25, v21
	s_wait_loadcnt 0x0
	v_pk_mul_f32 v[40:41], v[20:21], v[40:41] op_sel_hi:[0,1]
	v_cvt_f32_f16_e32 v24, v24
	v_cvt_f32_f16_e32 v26, v12
	;; [unrolled: 1-line block ×3, first 2 shown]
	v_pk_mul_f32 v[22:23], v[20:21], v[22:23] op_sel_hi:[0,1]
	v_cvt_pk_f16_f32 v1, v40, v41
	v_pk_mul_f32 v[24:25], v[20:21], v[24:25] op_sel_hi:[0,1]
	s_delay_alu instid0(VALU_DEP_4) | instskip(NEXT) | instid1(VALU_DEP_4)
	v_pk_mul_f32 v[26:27], v[20:21], v[26:27] op_sel_hi:[0,1]
	v_cvt_pk_f16_f32 v3, v22, v23
	s_delay_alu instid0(VALU_DEP_4) | instskip(NEXT) | instid1(VALU_DEP_4)
	v_and_b32_e32 v21, 0xffff0000, v1
	v_cvt_pk_f16_f32 v12, v24, v25
	v_lshlrev_b32_e32 v22, 16, v1
	v_cvt_pk_f16_f32 v20, v26, v27
	v_lshrrev_b32_e32 v27, 16, v3
	v_and_b32_e32 v28, 0xffff, v3
	v_and_b32_e32 v1, 0xffff0000, v12
	s_delay_alu instid0(VALU_DEP_3) | instskip(SKIP_3) | instid1(VALU_DEP_2)
	v_dual_lshlrev_b32 v12, 16, v12 :: v_dual_bitop2_b32 v25, v21, v27 bitop3:0x54
	v_lshrrev_b32_e32 v3, 16, v20
	v_and_b32_e32 v20, 0xffff, v20
	v_or_b32_e32 v26, v22, v28
	v_or_b32_e32 v24, v12, v20
	s_delay_alu instid0(VALU_DEP_4)
	v_or_b32_e32 v23, v1, v3
	s_and_saveexec_b32 s23, vcc_lo
	s_cbranch_execz .LBB242_760
; %bb.759:                              ;   in Loop: Header=BB242_561 Depth=1
	v_cmp_gt_i32_e64 s0, s18, v2
	s_delay_alu instid0(VALU_DEP_1) | instskip(SKIP_1) | instid1(VALU_DEP_1)
	v_cndmask_b32_e64 v23, 0, v27, s0
	v_cmp_gt_i32_e64 s0, s34, v39
	v_cndmask_b32_e64 v24, 0, v28, s0
	v_cmp_gt_i32_e64 s0, s18, v38
	s_delay_alu instid0(VALU_DEP_1) | instskip(SKIP_1) | instid1(VALU_DEP_1)
	v_cndmask_b32_e64 v21, 0, v21, s0
	v_cmp_gt_i32_e64 s0, s34, v37
	v_cndmask_b32_e64 v22, 0, v22, s0
	v_cmp_gt_i32_e64 s0, s18, v36
	s_delay_alu instid0(VALU_DEP_4) | instskip(NEXT) | instid1(VALU_DEP_2)
	v_or_b32_e32 v25, v21, v23
	v_dual_cndmask_b32 v3, 0, v3, s0 :: v_dual_bitop2_b32 v26, v22, v24 bitop3:0x54
	v_cmp_gt_i32_e64 s0, s34, v35
	s_delay_alu instid0(VALU_DEP_1) | instskip(SKIP_1) | instid1(VALU_DEP_1)
	v_cndmask_b32_e64 v20, 0, v20, s0
	v_cmp_gt_i32_e64 s0, s18, v34
	v_cndmask_b32_e64 v1, 0, v1, s0
	v_cmp_gt_i32_e64 s0, s34, v33
	s_delay_alu instid0(VALU_DEP_1) | instskip(NEXT) | instid1(VALU_DEP_1)
	v_dual_cndmask_b32 v12, 0, v12, s0 :: v_dual_bitop2_b32 v23, v1, v3 bitop3:0x54
	v_or_b32_e32 v24, v12, v20
.LBB242_760:                            ;   in Loop: Header=BB242_561 Depth=1
	s_or_b32 exec_lo, exec_lo, s23
	;;#ASMSTART
	v_pk_mul_f16 v1, v46, v25;

	;;#ASMEND
	;;#ASMSTART
	v_pk_mul_f16 v3, v44, v26;

	;;#ASMEND
	;; [unrolled: 4-line block ×4, first 2 shown]
	;;#ASMSTART
	v_pk_add_f16 v1, v1, v3;

	;;#ASMEND
	;;#ASMSTART
	v_pk_add_f16 v1, v1, v12;

	;;#ASMEND
	;; [unrolled: 4-line block ×3, first 2 shown]
	v_and_b32_e32 v3, 0xffff, v1
	v_lshrrev_b32_e32 v1, 16, v1
	;;#ASMSTART
	v_cvt_f32_f16 v50, v3;
	;;#ASMEND
	v_mov_b32_e32 v3, 0
	;;#ASMSTART
	v_cvt_f32_f16 v51, v1;
	;;#ASMEND
	global_load_b64 v[22:23], v[18:19], off offset:768
	v_mov_b32_e32 v1, 0
	s_mov_b32 s23, exec_lo
	global_load_b32 v20, v1, s[10:11]
	s_wait_loadcnt 0x1
	v_and_b32_e32 v12, 0xff, v22
	s_wait_xcnt 0x0
	s_delay_alu instid0(VALU_DEP_1)
	v_cmpx_ne_u16_e32 0, v12
	s_cbranch_execz .LBB242_768
; %bb.761:                              ;   in Loop: Header=BB242_561 Depth=1
	v_mov_b32_e32 v3, 0x8000
	s_mov_b32 s24, exec_lo
	v_cmpx_ne_u16_e32 0x80, v12
	s_cbranch_execz .LBB242_767
; %bb.762:                              ;   in Loop: Header=BB242_561 Depth=1
	v_and_b32_e32 v21, 0x7f, v22
	v_mov_b32_e32 v3, 0x7c01
	s_mov_b32 s25, exec_lo
	s_delay_alu instid0(VALU_DEP_2)
	v_cmpx_ne_u32_e32 0x7f, v21
	s_cbranch_execz .LBB242_766
; %bb.763:                              ;   in Loop: Header=BB242_561 Depth=1
	v_dual_lshrrev_b32 v12, 3, v21 :: v_dual_bitop2_b32 v3, 7, v22 bitop3:0x40
	s_mov_b32 s26, exec_lo
	v_cmpx_gt_u32_e32 8, v21
; %bb.764:                              ;   in Loop: Header=BB242_561 Depth=1
	s_delay_alu instid0(VALU_DEP_2) | instskip(NEXT) | instid1(VALU_DEP_1)
	v_clz_i32_u32_e32 v3, v3
	v_min_u32_e32 v3, 32, v3
	s_delay_alu instid0(VALU_DEP_1) | instskip(NEXT) | instid1(VALU_DEP_1)
	v_subrev_nc_u32_e32 v12, 28, v3
	v_lshlrev_b64_e32 v[24:25], v12, v[22:23]
	s_delay_alu instid0(VALU_DEP_1)
	v_dual_sub_nc_u32 v12, 29, v3 :: v_dual_bitop2_b32 v3, 7, v24 bitop3:0x40
; %bb.765:                              ;   in Loop: Header=BB242_561 Depth=1
	s_or_b32 exec_lo, exec_lo, s26
	s_delay_alu instid0(VALU_DEP_1) | instskip(NEXT) | instid1(VALU_DEP_2)
	v_dual_lshlrev_b32 v21, 8, v22 :: v_dual_lshlrev_b32 v3, 7, v3
	v_lshl_add_u32 v12, v12, 10, 0x2000
	s_delay_alu instid0(VALU_DEP_2) | instskip(NEXT) | instid1(VALU_DEP_2)
	v_and_b32_e32 v21, 0x8000, v21
	v_and_b32_e32 v12, 0xfc00, v12
	s_delay_alu instid0(VALU_DEP_1)
	v_or3_b32 v3, v21, v12, v3
.LBB242_766:                            ;   in Loop: Header=BB242_561 Depth=1
	s_or_b32 exec_lo, exec_lo, s25
.LBB242_767:                            ;   in Loop: Header=BB242_561 Depth=1
	s_delay_alu instid0(SALU_CYCLE_1)
	s_or_b32 exec_lo, exec_lo, s24
.LBB242_768:                            ;   in Loop: Header=BB242_561 Depth=1
	s_delay_alu instid0(SALU_CYCLE_1) | instskip(SKIP_2) | instid1(VALU_DEP_1)
	s_or_b32 exec_lo, exec_lo, s23
	v_lshrrev_b16 v12, 8, v22
	s_mov_b32 s23, exec_lo
	v_cmpx_ne_u16_e32 0, v12
	s_cbranch_execz .LBB242_776
; %bb.769:                              ;   in Loop: Header=BB242_561 Depth=1
	v_bfrev_b32_e32 v1, 1
	s_mov_b32 s24, exec_lo
	v_cmpx_ne_u16_e32 0x80, v12
	s_cbranch_execz .LBB242_775
; %bb.770:                              ;   in Loop: Header=BB242_561 Depth=1
	v_and_b32_e32 v21, 0xffff, v12
	v_mov_b32_e32 v1, 0x7c010000
	s_mov_b32 s25, exec_lo
	s_delay_alu instid0(VALU_DEP_2) | instskip(NEXT) | instid1(VALU_DEP_1)
	v_and_b32_e32 v25, 0x7f, v21
	v_cmpx_ne_u32_e32 0x7f, v25
	s_cbranch_execz .LBB242_774
; %bb.771:                              ;   in Loop: Header=BB242_561 Depth=1
	v_and_b32_e32 v1, 7, v21
	v_lshrrev_b32_e32 v24, 3, v25
	s_mov_b32 s26, exec_lo
	v_cmpx_gt_u32_e32 8, v25
; %bb.772:                              ;   in Loop: Header=BB242_561 Depth=1
	s_delay_alu instid0(VALU_DEP_3) | instskip(NEXT) | instid1(VALU_DEP_1)
	v_clz_i32_u32_e32 v1, v1
	v_min_u32_e32 v1, 32, v1
	s_delay_alu instid0(VALU_DEP_1) | instskip(NEXT) | instid1(VALU_DEP_1)
	v_subrev_nc_u32_e32 v24, 28, v1
	v_lshlrev_b64_e32 v[26:27], v24, v[12:13]
	s_delay_alu instid0(VALU_DEP_1)
	v_dual_sub_nc_u32 v24, 29, v1 :: v_dual_bitop2_b32 v1, 7, v26 bitop3:0x40
; %bb.773:                              ;   in Loop: Header=BB242_561 Depth=1
	s_or_b32 exec_lo, exec_lo, s26
	v_lshlrev_b32_e32 v12, 8, v21
	s_delay_alu instid0(VALU_DEP_2) | instskip(NEXT) | instid1(VALU_DEP_3)
	v_lshl_add_u32 v21, v24, 10, 0x2000
	v_lshlrev_b32_e32 v1, 23, v1
	s_delay_alu instid0(VALU_DEP_2) | instskip(NEXT) | instid1(VALU_DEP_1)
	v_and_or_b32 v12, 0x8000, v12, v21
	v_lshl_or_b32 v1, v12, 16, v1
.LBB242_774:                            ;   in Loop: Header=BB242_561 Depth=1
	s_or_b32 exec_lo, exec_lo, s25
.LBB242_775:                            ;   in Loop: Header=BB242_561 Depth=1
	s_delay_alu instid0(SALU_CYCLE_1)
	s_or_b32 exec_lo, exec_lo, s24
.LBB242_776:                            ;   in Loop: Header=BB242_561 Depth=1
	s_delay_alu instid0(SALU_CYCLE_1) | instskip(SKIP_3) | instid1(VALU_DEP_2)
	s_or_b32 exec_lo, exec_lo, s23
	v_dual_mov_b32 v21, 0 :: v_dual_lshrrev_b32 v12, 16, v22
	v_mov_b32_e32 v24, 0
	s_mov_b32 s23, exec_lo
	v_and_b32_e32 v25, 0xff, v12
	s_delay_alu instid0(VALU_DEP_1)
	v_cmpx_ne_u16_e32 0, v25
	s_cbranch_execz .LBB242_784
; %bb.777:                              ;   in Loop: Header=BB242_561 Depth=1
	v_mov_b32_e32 v24, 0x8000
	s_mov_b32 s24, exec_lo
	v_cmpx_ne_u16_e32 0x80, v25
	s_cbranch_execz .LBB242_783
; %bb.778:                              ;   in Loop: Header=BB242_561 Depth=1
	v_bfe_u32 v26, v22, 16, 7
	v_mov_b32_e32 v24, 0x7c01
	s_mov_b32 s25, exec_lo
	s_delay_alu instid0(VALU_DEP_2)
	v_cmpx_ne_u32_e32 0x7f, v26
	s_cbranch_execz .LBB242_782
; %bb.779:                              ;   in Loop: Header=BB242_561 Depth=1
	v_dual_lshrrev_b32 v25, 3, v26 :: v_dual_bitop2_b32 v24, 7, v12 bitop3:0x40
	s_mov_b32 s26, exec_lo
	v_cmpx_gt_u32_e32 8, v26
; %bb.780:                              ;   in Loop: Header=BB242_561 Depth=1
	s_delay_alu instid0(VALU_DEP_2) | instskip(NEXT) | instid1(VALU_DEP_1)
	v_clz_i32_u32_e32 v24, v24
	v_min_u32_e32 v26, 32, v24
	s_delay_alu instid0(VALU_DEP_1) | instskip(NEXT) | instid1(VALU_DEP_1)
	v_subrev_nc_u32_e32 v24, 28, v26
	v_lshlrev_b64_e32 v[24:25], v24, v[12:13]
	s_delay_alu instid0(VALU_DEP_1)
	v_dual_sub_nc_u32 v25, 29, v26 :: v_dual_bitop2_b32 v24, 7, v24 bitop3:0x40
; %bb.781:                              ;   in Loop: Header=BB242_561 Depth=1
	s_or_b32 exec_lo, exec_lo, s26
	v_lshlrev_b32_e32 v12, 8, v12
	s_delay_alu instid0(VALU_DEP_2) | instskip(NEXT) | instid1(VALU_DEP_3)
	v_lshl_add_u32 v25, v25, 10, 0x2000
	v_lshlrev_b32_e32 v24, 7, v24
	s_delay_alu instid0(VALU_DEP_3) | instskip(NEXT) | instid1(VALU_DEP_3)
	v_and_b32_e32 v12, 0x8000, v12
	v_and_b32_e32 v25, 0xfc00, v25
	s_delay_alu instid0(VALU_DEP_1)
	v_or3_b32 v24, v12, v25, v24
.LBB242_782:                            ;   in Loop: Header=BB242_561 Depth=1
	s_or_b32 exec_lo, exec_lo, s25
.LBB242_783:                            ;   in Loop: Header=BB242_561 Depth=1
	s_delay_alu instid0(SALU_CYCLE_1)
	s_or_b32 exec_lo, exec_lo, s24
.LBB242_784:                            ;   in Loop: Header=BB242_561 Depth=1
	s_delay_alu instid0(SALU_CYCLE_1) | instskip(NEXT) | instid1(SALU_CYCLE_1)
	s_or_b32 exec_lo, exec_lo, s23
	s_mov_b32 s23, exec_lo
	v_cmpx_lt_u32_e32 0xffffff, v22
	s_cbranch_execz .LBB242_792
; %bb.785:                              ;   in Loop: Header=BB242_561 Depth=1
	v_lshrrev_b32_e32 v12, 24, v22
	v_bfrev_b32_e32 v21, 1
	s_mov_b32 s24, exec_lo
	s_delay_alu instid0(VALU_DEP_2)
	v_cmpx_ne_u32_e32 0x80, v12
	s_cbranch_execz .LBB242_791
; %bb.786:                              ;   in Loop: Header=BB242_561 Depth=1
	v_and_b32_e32 v26, 0x7f, v12
	v_mov_b32_e32 v21, 0x7c010000
	s_mov_b32 s25, exec_lo
	s_delay_alu instid0(VALU_DEP_2)
	v_cmpx_ne_u32_e32 0x7f, v26
	s_cbranch_execz .LBB242_790
; %bb.787:                              ;   in Loop: Header=BB242_561 Depth=1
	v_dual_lshrrev_b32 v25, 3, v26 :: v_dual_bitop2_b32 v21, 7, v12 bitop3:0x40
	s_mov_b32 s26, exec_lo
	v_cmpx_gt_u32_e32 8, v26
; %bb.788:                              ;   in Loop: Header=BB242_561 Depth=1
	s_delay_alu instid0(VALU_DEP_2) | instskip(NEXT) | instid1(VALU_DEP_1)
	v_clz_i32_u32_e32 v21, v21
	v_min_u32_e32 v21, 32, v21
	s_delay_alu instid0(VALU_DEP_1) | instskip(NEXT) | instid1(VALU_DEP_1)
	v_subrev_nc_u32_e32 v25, 28, v21
	v_lshlrev_b64_e32 v[26:27], v25, v[12:13]
	s_delay_alu instid0(VALU_DEP_1)
	v_dual_sub_nc_u32 v25, 29, v21 :: v_dual_bitop2_b32 v21, 7, v26 bitop3:0x40
; %bb.789:                              ;   in Loop: Header=BB242_561 Depth=1
	s_or_b32 exec_lo, exec_lo, s26
	s_delay_alu instid0(VALU_DEP_1) | instskip(NEXT) | instid1(VALU_DEP_2)
	v_dual_lshlrev_b32 v12, 8, v12 :: v_dual_lshlrev_b32 v21, 23, v21
	v_lshl_add_u32 v25, v25, 10, 0x2000
	s_delay_alu instid0(VALU_DEP_1) | instskip(NEXT) | instid1(VALU_DEP_1)
	v_and_or_b32 v12, 0x8000, v12, v25
	v_lshl_or_b32 v21, v12, 16, v21
.LBB242_790:                            ;   in Loop: Header=BB242_561 Depth=1
	s_or_b32 exec_lo, exec_lo, s25
.LBB242_791:                            ;   in Loop: Header=BB242_561 Depth=1
	s_delay_alu instid0(SALU_CYCLE_1)
	s_or_b32 exec_lo, exec_lo, s24
.LBB242_792:                            ;   in Loop: Header=BB242_561 Depth=1
	s_delay_alu instid0(SALU_CYCLE_1) | instskip(SKIP_4) | instid1(VALU_DEP_3)
	s_or_b32 exec_lo, exec_lo, s23
	v_and_b32_e32 v27, 0xff, v23
	v_dual_mov_b32 v12, v23 :: v_dual_mov_b32 v26, 0
	v_mov_b32_e32 v25, 0
	s_mov_b32 s23, exec_lo
	v_cmpx_ne_u16_e32 0, v27
	s_cbranch_execz .LBB242_800
; %bb.793:                              ;   in Loop: Header=BB242_561 Depth=1
	v_mov_b32_e32 v25, 0x8000
	s_mov_b32 s24, exec_lo
	v_cmpx_ne_u16_e32 0x80, v27
	s_cbranch_execz .LBB242_799
; %bb.794:                              ;   in Loop: Header=BB242_561 Depth=1
	v_and_b32_e32 v28, 0x7f, v23
	v_mov_b32_e32 v25, 0x7c01
	s_mov_b32 s25, exec_lo
	s_delay_alu instid0(VALU_DEP_2)
	v_cmpx_ne_u32_e32 0x7f, v28
	s_cbranch_execz .LBB242_798
; %bb.795:                              ;   in Loop: Header=BB242_561 Depth=1
	v_dual_lshrrev_b32 v27, 3, v28 :: v_dual_bitop2_b32 v25, 7, v23 bitop3:0x40
	s_mov_b32 s26, exec_lo
	v_cmpx_gt_u32_e32 8, v28
; %bb.796:                              ;   in Loop: Header=BB242_561 Depth=1
	s_delay_alu instid0(VALU_DEP_2) | instskip(NEXT) | instid1(VALU_DEP_1)
	v_clz_i32_u32_e32 v25, v25
	v_min_u32_e32 v25, 32, v25
	s_delay_alu instid0(VALU_DEP_1) | instskip(NEXT) | instid1(VALU_DEP_1)
	v_subrev_nc_u32_e32 v27, 28, v25
	v_lshlrev_b64_e32 v[40:41], v27, v[12:13]
	s_delay_alu instid0(VALU_DEP_1)
	v_dual_sub_nc_u32 v27, 29, v25 :: v_dual_bitop2_b32 v25, 7, v40 bitop3:0x40
; %bb.797:                              ;   in Loop: Header=BB242_561 Depth=1
	s_or_b32 exec_lo, exec_lo, s26
	s_delay_alu instid0(VALU_DEP_1) | instskip(NEXT) | instid1(VALU_DEP_2)
	v_dual_lshlrev_b32 v28, 8, v23 :: v_dual_lshlrev_b32 v25, 7, v25
	v_lshl_add_u32 v27, v27, 10, 0x2000
	s_delay_alu instid0(VALU_DEP_2) | instskip(NEXT) | instid1(VALU_DEP_2)
	v_and_b32_e32 v28, 0x8000, v28
	v_and_b32_e32 v27, 0xfc00, v27
	s_delay_alu instid0(VALU_DEP_1)
	v_or3_b32 v25, v28, v27, v25
.LBB242_798:                            ;   in Loop: Header=BB242_561 Depth=1
	s_or_b32 exec_lo, exec_lo, s25
.LBB242_799:                            ;   in Loop: Header=BB242_561 Depth=1
	s_delay_alu instid0(SALU_CYCLE_1)
	s_or_b32 exec_lo, exec_lo, s24
.LBB242_800:                            ;   in Loop: Header=BB242_561 Depth=1
	s_delay_alu instid0(SALU_CYCLE_1) | instskip(SKIP_3) | instid1(VALU_DEP_2)
	s_or_b32 exec_lo, exec_lo, s23
	v_lshrrev_b16 v12, 8, v12
	v_mov_b32_e32 v27, 0
	s_mov_b32 s23, exec_lo
	v_cmpx_ne_u16_e32 0, v12
	s_cbranch_execz .LBB242_808
; %bb.801:                              ;   in Loop: Header=BB242_561 Depth=1
	v_bfrev_b32_e32 v27, 1
	s_mov_b32 s24, exec_lo
	v_cmpx_ne_u16_e32 0x80, v12
	s_cbranch_execz .LBB242_807
; %bb.802:                              ;   in Loop: Header=BB242_561 Depth=1
	v_and_b32_e32 v28, 0xffff, v12
	v_mov_b32_e32 v27, 0x7c010000
	s_mov_b32 s25, exec_lo
	s_delay_alu instid0(VALU_DEP_2) | instskip(NEXT) | instid1(VALU_DEP_1)
	v_and_b32_e32 v41, 0x7f, v28
	v_cmpx_ne_u32_e32 0x7f, v41
	s_cbranch_execz .LBB242_806
; %bb.803:                              ;   in Loop: Header=BB242_561 Depth=1
	v_dual_lshrrev_b32 v40, 3, v41 :: v_dual_bitop2_b32 v27, 7, v28 bitop3:0x40
	s_mov_b32 s26, exec_lo
	v_cmpx_gt_u32_e32 8, v41
; %bb.804:                              ;   in Loop: Header=BB242_561 Depth=1
	s_delay_alu instid0(VALU_DEP_2) | instskip(NEXT) | instid1(VALU_DEP_1)
	v_clz_i32_u32_e32 v27, v27
	v_min_u32_e32 v27, 32, v27
	s_delay_alu instid0(VALU_DEP_1) | instskip(NEXT) | instid1(VALU_DEP_1)
	v_subrev_nc_u32_e32 v40, 28, v27
	v_lshlrev_b64_e32 v[52:53], v40, v[12:13]
	s_delay_alu instid0(VALU_DEP_1)
	v_dual_sub_nc_u32 v40, 29, v27 :: v_dual_bitop2_b32 v27, 7, v52 bitop3:0x40
; %bb.805:                              ;   in Loop: Header=BB242_561 Depth=1
	s_or_b32 exec_lo, exec_lo, s26
	s_delay_alu instid0(VALU_DEP_1) | instskip(NEXT) | instid1(VALU_DEP_2)
	v_dual_lshlrev_b32 v12, 8, v28 :: v_dual_lshlrev_b32 v27, 23, v27
	v_lshl_add_u32 v28, v40, 10, 0x2000
	s_delay_alu instid0(VALU_DEP_1) | instskip(NEXT) | instid1(VALU_DEP_1)
	v_and_or_b32 v12, 0x8000, v12, v28
	v_lshl_or_b32 v27, v12, 16, v27
.LBB242_806:                            ;   in Loop: Header=BB242_561 Depth=1
	s_or_b32 exec_lo, exec_lo, s25
.LBB242_807:                            ;   in Loop: Header=BB242_561 Depth=1
	s_delay_alu instid0(SALU_CYCLE_1)
	s_or_b32 exec_lo, exec_lo, s24
.LBB242_808:                            ;   in Loop: Header=BB242_561 Depth=1
	s_delay_alu instid0(SALU_CYCLE_1) | instskip(SKIP_2) | instid1(VALU_DEP_1)
	s_or_b32 exec_lo, exec_lo, s23
	v_lshrrev_b32_e32 v12, 16, v23
	s_mov_b32 s23, exec_lo
	v_and_b32_e32 v28, 0xff, v12
	s_delay_alu instid0(VALU_DEP_1)
	v_cmpx_ne_u16_e32 0, v28
	s_cbranch_execz .LBB242_816
; %bb.809:                              ;   in Loop: Header=BB242_561 Depth=1
	v_mov_b32_e32 v26, 0x8000
	s_mov_b32 s24, exec_lo
	v_cmpx_ne_u16_e32 0x80, v28
	s_cbranch_execz .LBB242_815
; %bb.810:                              ;   in Loop: Header=BB242_561 Depth=1
	v_bfe_u32 v40, v23, 16, 7
	v_mov_b32_e32 v26, 0x7c01
	s_mov_b32 s25, exec_lo
	s_delay_alu instid0(VALU_DEP_2)
	v_cmpx_ne_u32_e32 0x7f, v40
	s_cbranch_execz .LBB242_814
; %bb.811:                              ;   in Loop: Header=BB242_561 Depth=1
	v_and_b32_e32 v26, 7, v12
	v_lshrrev_b32_e32 v28, 3, v40
	s_mov_b32 s26, exec_lo
	v_cmpx_gt_u32_e32 8, v40
; %bb.812:                              ;   in Loop: Header=BB242_561 Depth=1
	s_delay_alu instid0(VALU_DEP_3) | instskip(NEXT) | instid1(VALU_DEP_1)
	v_clz_i32_u32_e32 v26, v26
	v_min_u32_e32 v26, 32, v26
	s_delay_alu instid0(VALU_DEP_1) | instskip(NEXT) | instid1(VALU_DEP_1)
	v_subrev_nc_u32_e32 v28, 28, v26
	v_lshlrev_b64_e32 v[40:41], v28, v[12:13]
	s_delay_alu instid0(VALU_DEP_1)
	v_dual_sub_nc_u32 v28, 29, v26 :: v_dual_bitop2_b32 v26, 7, v40 bitop3:0x40
; %bb.813:                              ;   in Loop: Header=BB242_561 Depth=1
	s_or_b32 exec_lo, exec_lo, s26
	s_delay_alu instid0(VALU_DEP_1) | instskip(NEXT) | instid1(VALU_DEP_2)
	v_dual_lshlrev_b32 v12, 8, v12 :: v_dual_lshlrev_b32 v26, 7, v26
	v_lshl_add_u32 v28, v28, 10, 0x2000
	s_delay_alu instid0(VALU_DEP_2) | instskip(NEXT) | instid1(VALU_DEP_2)
	v_and_b32_e32 v12, 0x8000, v12
	v_and_b32_e32 v28, 0xfc00, v28
	s_delay_alu instid0(VALU_DEP_1)
	v_or3_b32 v26, v12, v28, v26
.LBB242_814:                            ;   in Loop: Header=BB242_561 Depth=1
	s_or_b32 exec_lo, exec_lo, s25
.LBB242_815:                            ;   in Loop: Header=BB242_561 Depth=1
	s_delay_alu instid0(SALU_CYCLE_1)
	s_or_b32 exec_lo, exec_lo, s24
.LBB242_816:                            ;   in Loop: Header=BB242_561 Depth=1
	s_delay_alu instid0(SALU_CYCLE_1)
	s_or_b32 exec_lo, exec_lo, s23
	v_cmp_lt_u64_e64 s0, s[8:9], v[22:23]
	v_mov_b32_e32 v22, 0
	s_and_saveexec_b32 s23, s0
	s_cbranch_execz .LBB242_824
; %bb.817:                              ;   in Loop: Header=BB242_561 Depth=1
	v_lshrrev_b32_e32 v12, 24, v23
	v_bfrev_b32_e32 v22, 1
	s_mov_b32 s24, exec_lo
	s_delay_alu instid0(VALU_DEP_2)
	v_cmpx_ne_u32_e32 0x80, v12
	s_cbranch_execz .LBB242_823
; %bb.818:                              ;   in Loop: Header=BB242_561 Depth=1
	v_and_b32_e32 v28, 0x7f, v12
	v_mov_b32_e32 v22, 0x7c010000
	s_mov_b32 s25, exec_lo
	s_delay_alu instid0(VALU_DEP_2)
	v_cmpx_ne_u32_e32 0x7f, v28
	s_cbranch_execz .LBB242_822
; %bb.819:                              ;   in Loop: Header=BB242_561 Depth=1
	v_and_b32_e32 v22, 7, v12
	v_lshrrev_b32_e32 v23, 3, v28
	s_mov_b32 s26, exec_lo
	v_cmpx_gt_u32_e32 8, v28
; %bb.820:                              ;   in Loop: Header=BB242_561 Depth=1
	s_delay_alu instid0(VALU_DEP_3) | instskip(NEXT) | instid1(VALU_DEP_1)
	v_clz_i32_u32_e32 v22, v22
	v_min_u32_e32 v28, 32, v22
	s_delay_alu instid0(VALU_DEP_1) | instskip(NEXT) | instid1(VALU_DEP_1)
	v_subrev_nc_u32_e32 v22, 28, v28
	v_lshlrev_b64_e32 v[22:23], v22, v[12:13]
	s_delay_alu instid0(VALU_DEP_1)
	v_dual_sub_nc_u32 v23, 29, v28 :: v_dual_bitop2_b32 v22, 7, v22 bitop3:0x40
; %bb.821:                              ;   in Loop: Header=BB242_561 Depth=1
	s_or_b32 exec_lo, exec_lo, s26
	s_delay_alu instid0(VALU_DEP_1) | instskip(NEXT) | instid1(VALU_DEP_2)
	v_dual_lshlrev_b32 v12, 8, v12 :: v_dual_lshlrev_b32 v22, 23, v22
	v_lshl_add_u32 v23, v23, 10, 0x2000
	s_delay_alu instid0(VALU_DEP_1) | instskip(NEXT) | instid1(VALU_DEP_1)
	v_and_or_b32 v12, 0x8000, v12, v23
	v_lshl_or_b32 v22, v12, 16, v22
.LBB242_822:                            ;   in Loop: Header=BB242_561 Depth=1
	s_or_b32 exec_lo, exec_lo, s25
.LBB242_823:                            ;   in Loop: Header=BB242_561 Depth=1
	s_delay_alu instid0(SALU_CYCLE_1)
	s_or_b32 exec_lo, exec_lo, s24
.LBB242_824:                            ;   in Loop: Header=BB242_561 Depth=1
	s_delay_alu instid0(SALU_CYCLE_1) | instskip(SKIP_3) | instid1(VALU_DEP_3)
	s_or_b32 exec_lo, exec_lo, s23
	v_dual_lshrrev_b32 v12, 16, v1 :: v_dual_bitop2_b32 v1, v1, v3 bitop3:0x54
	v_dual_lshrrev_b32 v23, 16, v21 :: v_dual_bitop2_b32 v3, v21, v24 bitop3:0x54
	v_lshrrev_b32_e32 v24, 16, v22
	v_cvt_f32_f16_e32 v41, v12
	v_dual_lshrrev_b32 v21, 16, v27 :: v_dual_bitop2_b32 v12, v22, v26 bitop3:0x54
	s_delay_alu instid0(VALU_DEP_4)
	v_cvt_f32_f16_e32 v40, v23
	v_cvt_f32_f16_e32 v22, v3
	v_or_b32_e32 v3, v27, v25
	v_cvt_f32_f16_e32 v23, v1
	v_cvt_f32_f16_e32 v25, v21
	s_wait_loadcnt 0x0
	v_pk_mul_f32 v[40:41], v[20:21], v[40:41] op_sel_hi:[0,1]
	v_cvt_f32_f16_e32 v24, v24
	v_cvt_f32_f16_e32 v26, v12
	;; [unrolled: 1-line block ×3, first 2 shown]
	v_pk_mul_f32 v[22:23], v[20:21], v[22:23] op_sel_hi:[0,1]
	v_cvt_pk_f16_f32 v1, v40, v41
	v_pk_mul_f32 v[24:25], v[20:21], v[24:25] op_sel_hi:[0,1]
	s_delay_alu instid0(VALU_DEP_4) | instskip(NEXT) | instid1(VALU_DEP_4)
	v_pk_mul_f32 v[26:27], v[20:21], v[26:27] op_sel_hi:[0,1]
	v_cvt_pk_f16_f32 v3, v22, v23
	s_delay_alu instid0(VALU_DEP_4) | instskip(NEXT) | instid1(VALU_DEP_4)
	v_and_b32_e32 v21, 0xffff0000, v1
	v_cvt_pk_f16_f32 v12, v24, v25
	v_lshlrev_b32_e32 v22, 16, v1
	v_cvt_pk_f16_f32 v20, v26, v27
	v_lshrrev_b32_e32 v27, 16, v3
	v_and_b32_e32 v28, 0xffff, v3
	v_and_b32_e32 v1, 0xffff0000, v12
	s_delay_alu instid0(VALU_DEP_3) | instskip(SKIP_3) | instid1(VALU_DEP_2)
	v_dual_lshlrev_b32 v12, 16, v12 :: v_dual_bitop2_b32 v25, v21, v27 bitop3:0x54
	v_lshrrev_b32_e32 v3, 16, v20
	v_and_b32_e32 v20, 0xffff, v20
	v_or_b32_e32 v26, v22, v28
	v_or_b32_e32 v24, v12, v20
	s_delay_alu instid0(VALU_DEP_4)
	v_or_b32_e32 v23, v1, v3
	s_and_saveexec_b32 s23, vcc_lo
	s_cbranch_execz .LBB242_826
; %bb.825:                              ;   in Loop: Header=BB242_561 Depth=1
	v_cmp_gt_i32_e64 s0, s18, v2
	s_delay_alu instid0(VALU_DEP_1) | instskip(SKIP_1) | instid1(VALU_DEP_1)
	v_cndmask_b32_e64 v23, 0, v27, s0
	v_cmp_gt_i32_e64 s0, s34, v39
	v_cndmask_b32_e64 v24, 0, v28, s0
	v_cmp_gt_i32_e64 s0, s18, v38
	s_delay_alu instid0(VALU_DEP_1) | instskip(SKIP_1) | instid1(VALU_DEP_1)
	v_cndmask_b32_e64 v21, 0, v21, s0
	v_cmp_gt_i32_e64 s0, s34, v37
	v_cndmask_b32_e64 v22, 0, v22, s0
	v_cmp_gt_i32_e64 s0, s18, v36
	s_delay_alu instid0(VALU_DEP_4) | instskip(NEXT) | instid1(VALU_DEP_2)
	v_or_b32_e32 v25, v21, v23
	v_dual_cndmask_b32 v3, 0, v3, s0 :: v_dual_bitop2_b32 v26, v22, v24 bitop3:0x54
	v_cmp_gt_i32_e64 s0, s34, v35
	s_delay_alu instid0(VALU_DEP_1) | instskip(SKIP_1) | instid1(VALU_DEP_1)
	v_cndmask_b32_e64 v20, 0, v20, s0
	v_cmp_gt_i32_e64 s0, s18, v34
	v_cndmask_b32_e64 v1, 0, v1, s0
	v_cmp_gt_i32_e64 s0, s34, v33
	s_delay_alu instid0(VALU_DEP_1) | instskip(NEXT) | instid1(VALU_DEP_1)
	v_dual_cndmask_b32 v12, 0, v12, s0 :: v_dual_bitop2_b32 v23, v1, v3 bitop3:0x54
	v_or_b32_e32 v24, v12, v20
.LBB242_826:                            ;   in Loop: Header=BB242_561 Depth=1
	s_or_b32 exec_lo, exec_lo, s23
	;;#ASMSTART
	v_pk_mul_f16 v1, v46, v25;

	;;#ASMEND
	;;#ASMSTART
	v_pk_mul_f16 v3, v44, v26;

	;;#ASMEND
	;; [unrolled: 4-line block ×4, first 2 shown]
	;;#ASMSTART
	v_pk_add_f16 v1, v1, v3;

	;;#ASMEND
	;;#ASMSTART
	v_pk_add_f16 v1, v1, v12;

	;;#ASMEND
	;; [unrolled: 4-line block ×3, first 2 shown]
	v_and_b32_e32 v3, 0xffff, v1
	v_lshrrev_b32_e32 v1, 16, v1
	;;#ASMSTART
	v_cvt_f32_f16 v52, v3;
	;;#ASMEND
	v_mov_b32_e32 v3, 0
	;;#ASMSTART
	v_cvt_f32_f16 v53, v1;
	;;#ASMEND
	global_load_b64 v[22:23], v[18:19], off offset:1024
	v_mov_b32_e32 v1, 0
	s_mov_b32 s23, exec_lo
	global_load_b32 v20, v1, s[10:11]
	s_wait_loadcnt 0x1
	v_and_b32_e32 v12, 0xff, v22
	s_wait_xcnt 0x0
	s_delay_alu instid0(VALU_DEP_1)
	v_cmpx_ne_u16_e32 0, v12
	s_cbranch_execz .LBB242_834
; %bb.827:                              ;   in Loop: Header=BB242_561 Depth=1
	v_mov_b32_e32 v3, 0x8000
	s_mov_b32 s24, exec_lo
	v_cmpx_ne_u16_e32 0x80, v12
	s_cbranch_execz .LBB242_833
; %bb.828:                              ;   in Loop: Header=BB242_561 Depth=1
	v_and_b32_e32 v21, 0x7f, v22
	v_mov_b32_e32 v3, 0x7c01
	s_mov_b32 s25, exec_lo
	s_delay_alu instid0(VALU_DEP_2)
	v_cmpx_ne_u32_e32 0x7f, v21
	s_cbranch_execz .LBB242_832
; %bb.829:                              ;   in Loop: Header=BB242_561 Depth=1
	v_dual_lshrrev_b32 v12, 3, v21 :: v_dual_bitop2_b32 v3, 7, v22 bitop3:0x40
	s_mov_b32 s26, exec_lo
	v_cmpx_gt_u32_e32 8, v21
; %bb.830:                              ;   in Loop: Header=BB242_561 Depth=1
	s_delay_alu instid0(VALU_DEP_2) | instskip(NEXT) | instid1(VALU_DEP_1)
	v_clz_i32_u32_e32 v3, v3
	v_min_u32_e32 v3, 32, v3
	s_delay_alu instid0(VALU_DEP_1) | instskip(NEXT) | instid1(VALU_DEP_1)
	v_subrev_nc_u32_e32 v12, 28, v3
	v_lshlrev_b64_e32 v[24:25], v12, v[22:23]
	s_delay_alu instid0(VALU_DEP_1)
	v_dual_sub_nc_u32 v12, 29, v3 :: v_dual_bitop2_b32 v3, 7, v24 bitop3:0x40
; %bb.831:                              ;   in Loop: Header=BB242_561 Depth=1
	s_or_b32 exec_lo, exec_lo, s26
	s_delay_alu instid0(VALU_DEP_1) | instskip(NEXT) | instid1(VALU_DEP_2)
	v_dual_lshlrev_b32 v21, 8, v22 :: v_dual_lshlrev_b32 v3, 7, v3
	v_lshl_add_u32 v12, v12, 10, 0x2000
	s_delay_alu instid0(VALU_DEP_2) | instskip(NEXT) | instid1(VALU_DEP_2)
	v_and_b32_e32 v21, 0x8000, v21
	v_and_b32_e32 v12, 0xfc00, v12
	s_delay_alu instid0(VALU_DEP_1)
	v_or3_b32 v3, v21, v12, v3
.LBB242_832:                            ;   in Loop: Header=BB242_561 Depth=1
	s_or_b32 exec_lo, exec_lo, s25
.LBB242_833:                            ;   in Loop: Header=BB242_561 Depth=1
	s_delay_alu instid0(SALU_CYCLE_1)
	s_or_b32 exec_lo, exec_lo, s24
.LBB242_834:                            ;   in Loop: Header=BB242_561 Depth=1
	s_delay_alu instid0(SALU_CYCLE_1) | instskip(SKIP_2) | instid1(VALU_DEP_1)
	s_or_b32 exec_lo, exec_lo, s23
	v_lshrrev_b16 v12, 8, v22
	s_mov_b32 s23, exec_lo
	v_cmpx_ne_u16_e32 0, v12
	s_cbranch_execz .LBB242_842
; %bb.835:                              ;   in Loop: Header=BB242_561 Depth=1
	v_bfrev_b32_e32 v1, 1
	s_mov_b32 s24, exec_lo
	v_cmpx_ne_u16_e32 0x80, v12
	s_cbranch_execz .LBB242_841
; %bb.836:                              ;   in Loop: Header=BB242_561 Depth=1
	v_and_b32_e32 v21, 0xffff, v12
	v_mov_b32_e32 v1, 0x7c010000
	s_mov_b32 s25, exec_lo
	s_delay_alu instid0(VALU_DEP_2) | instskip(NEXT) | instid1(VALU_DEP_1)
	v_and_b32_e32 v25, 0x7f, v21
	v_cmpx_ne_u32_e32 0x7f, v25
	s_cbranch_execz .LBB242_840
; %bb.837:                              ;   in Loop: Header=BB242_561 Depth=1
	v_and_b32_e32 v1, 7, v21
	v_lshrrev_b32_e32 v24, 3, v25
	s_mov_b32 s26, exec_lo
	v_cmpx_gt_u32_e32 8, v25
; %bb.838:                              ;   in Loop: Header=BB242_561 Depth=1
	s_delay_alu instid0(VALU_DEP_3) | instskip(NEXT) | instid1(VALU_DEP_1)
	v_clz_i32_u32_e32 v1, v1
	v_min_u32_e32 v1, 32, v1
	s_delay_alu instid0(VALU_DEP_1) | instskip(NEXT) | instid1(VALU_DEP_1)
	v_subrev_nc_u32_e32 v24, 28, v1
	v_lshlrev_b64_e32 v[26:27], v24, v[12:13]
	s_delay_alu instid0(VALU_DEP_1)
	v_dual_sub_nc_u32 v24, 29, v1 :: v_dual_bitop2_b32 v1, 7, v26 bitop3:0x40
; %bb.839:                              ;   in Loop: Header=BB242_561 Depth=1
	s_or_b32 exec_lo, exec_lo, s26
	v_lshlrev_b32_e32 v12, 8, v21
	s_delay_alu instid0(VALU_DEP_2) | instskip(NEXT) | instid1(VALU_DEP_3)
	v_lshl_add_u32 v21, v24, 10, 0x2000
	v_lshlrev_b32_e32 v1, 23, v1
	s_delay_alu instid0(VALU_DEP_2) | instskip(NEXT) | instid1(VALU_DEP_1)
	v_and_or_b32 v12, 0x8000, v12, v21
	v_lshl_or_b32 v1, v12, 16, v1
.LBB242_840:                            ;   in Loop: Header=BB242_561 Depth=1
	s_or_b32 exec_lo, exec_lo, s25
.LBB242_841:                            ;   in Loop: Header=BB242_561 Depth=1
	s_delay_alu instid0(SALU_CYCLE_1)
	s_or_b32 exec_lo, exec_lo, s24
.LBB242_842:                            ;   in Loop: Header=BB242_561 Depth=1
	s_delay_alu instid0(SALU_CYCLE_1) | instskip(SKIP_3) | instid1(VALU_DEP_2)
	s_or_b32 exec_lo, exec_lo, s23
	v_dual_mov_b32 v21, 0 :: v_dual_lshrrev_b32 v12, 16, v22
	v_mov_b32_e32 v24, 0
	s_mov_b32 s23, exec_lo
	v_and_b32_e32 v25, 0xff, v12
	s_delay_alu instid0(VALU_DEP_1)
	v_cmpx_ne_u16_e32 0, v25
	s_cbranch_execz .LBB242_850
; %bb.843:                              ;   in Loop: Header=BB242_561 Depth=1
	v_mov_b32_e32 v24, 0x8000
	s_mov_b32 s24, exec_lo
	v_cmpx_ne_u16_e32 0x80, v25
	s_cbranch_execz .LBB242_849
; %bb.844:                              ;   in Loop: Header=BB242_561 Depth=1
	v_bfe_u32 v26, v22, 16, 7
	v_mov_b32_e32 v24, 0x7c01
	s_mov_b32 s25, exec_lo
	s_delay_alu instid0(VALU_DEP_2)
	v_cmpx_ne_u32_e32 0x7f, v26
	s_cbranch_execz .LBB242_848
; %bb.845:                              ;   in Loop: Header=BB242_561 Depth=1
	v_dual_lshrrev_b32 v25, 3, v26 :: v_dual_bitop2_b32 v24, 7, v12 bitop3:0x40
	s_mov_b32 s26, exec_lo
	v_cmpx_gt_u32_e32 8, v26
; %bb.846:                              ;   in Loop: Header=BB242_561 Depth=1
	s_delay_alu instid0(VALU_DEP_2) | instskip(NEXT) | instid1(VALU_DEP_1)
	v_clz_i32_u32_e32 v24, v24
	v_min_u32_e32 v26, 32, v24
	s_delay_alu instid0(VALU_DEP_1) | instskip(NEXT) | instid1(VALU_DEP_1)
	v_subrev_nc_u32_e32 v24, 28, v26
	v_lshlrev_b64_e32 v[24:25], v24, v[12:13]
	s_delay_alu instid0(VALU_DEP_1)
	v_dual_sub_nc_u32 v25, 29, v26 :: v_dual_bitop2_b32 v24, 7, v24 bitop3:0x40
; %bb.847:                              ;   in Loop: Header=BB242_561 Depth=1
	s_or_b32 exec_lo, exec_lo, s26
	v_lshlrev_b32_e32 v12, 8, v12
	s_delay_alu instid0(VALU_DEP_2) | instskip(NEXT) | instid1(VALU_DEP_3)
	v_lshl_add_u32 v25, v25, 10, 0x2000
	v_lshlrev_b32_e32 v24, 7, v24
	s_delay_alu instid0(VALU_DEP_3) | instskip(NEXT) | instid1(VALU_DEP_3)
	v_and_b32_e32 v12, 0x8000, v12
	v_and_b32_e32 v25, 0xfc00, v25
	s_delay_alu instid0(VALU_DEP_1)
	v_or3_b32 v24, v12, v25, v24
.LBB242_848:                            ;   in Loop: Header=BB242_561 Depth=1
	s_or_b32 exec_lo, exec_lo, s25
.LBB242_849:                            ;   in Loop: Header=BB242_561 Depth=1
	s_delay_alu instid0(SALU_CYCLE_1)
	s_or_b32 exec_lo, exec_lo, s24
.LBB242_850:                            ;   in Loop: Header=BB242_561 Depth=1
	s_delay_alu instid0(SALU_CYCLE_1) | instskip(NEXT) | instid1(SALU_CYCLE_1)
	s_or_b32 exec_lo, exec_lo, s23
	s_mov_b32 s23, exec_lo
	v_cmpx_lt_u32_e32 0xffffff, v22
	s_cbranch_execz .LBB242_858
; %bb.851:                              ;   in Loop: Header=BB242_561 Depth=1
	v_lshrrev_b32_e32 v12, 24, v22
	v_bfrev_b32_e32 v21, 1
	s_mov_b32 s24, exec_lo
	s_delay_alu instid0(VALU_DEP_2)
	v_cmpx_ne_u32_e32 0x80, v12
	s_cbranch_execz .LBB242_857
; %bb.852:                              ;   in Loop: Header=BB242_561 Depth=1
	v_and_b32_e32 v26, 0x7f, v12
	v_mov_b32_e32 v21, 0x7c010000
	s_mov_b32 s25, exec_lo
	s_delay_alu instid0(VALU_DEP_2)
	v_cmpx_ne_u32_e32 0x7f, v26
	s_cbranch_execz .LBB242_856
; %bb.853:                              ;   in Loop: Header=BB242_561 Depth=1
	v_dual_lshrrev_b32 v25, 3, v26 :: v_dual_bitop2_b32 v21, 7, v12 bitop3:0x40
	s_mov_b32 s26, exec_lo
	v_cmpx_gt_u32_e32 8, v26
; %bb.854:                              ;   in Loop: Header=BB242_561 Depth=1
	s_delay_alu instid0(VALU_DEP_2) | instskip(NEXT) | instid1(VALU_DEP_1)
	v_clz_i32_u32_e32 v21, v21
	v_min_u32_e32 v21, 32, v21
	s_delay_alu instid0(VALU_DEP_1) | instskip(NEXT) | instid1(VALU_DEP_1)
	v_subrev_nc_u32_e32 v25, 28, v21
	v_lshlrev_b64_e32 v[26:27], v25, v[12:13]
	s_delay_alu instid0(VALU_DEP_1)
	v_dual_sub_nc_u32 v25, 29, v21 :: v_dual_bitop2_b32 v21, 7, v26 bitop3:0x40
; %bb.855:                              ;   in Loop: Header=BB242_561 Depth=1
	s_or_b32 exec_lo, exec_lo, s26
	s_delay_alu instid0(VALU_DEP_1) | instskip(NEXT) | instid1(VALU_DEP_2)
	v_dual_lshlrev_b32 v12, 8, v12 :: v_dual_lshlrev_b32 v21, 23, v21
	v_lshl_add_u32 v25, v25, 10, 0x2000
	s_delay_alu instid0(VALU_DEP_1) | instskip(NEXT) | instid1(VALU_DEP_1)
	v_and_or_b32 v12, 0x8000, v12, v25
	v_lshl_or_b32 v21, v12, 16, v21
.LBB242_856:                            ;   in Loop: Header=BB242_561 Depth=1
	s_or_b32 exec_lo, exec_lo, s25
.LBB242_857:                            ;   in Loop: Header=BB242_561 Depth=1
	s_delay_alu instid0(SALU_CYCLE_1)
	s_or_b32 exec_lo, exec_lo, s24
.LBB242_858:                            ;   in Loop: Header=BB242_561 Depth=1
	s_delay_alu instid0(SALU_CYCLE_1) | instskip(SKIP_4) | instid1(VALU_DEP_3)
	s_or_b32 exec_lo, exec_lo, s23
	v_and_b32_e32 v27, 0xff, v23
	v_dual_mov_b32 v12, v23 :: v_dual_mov_b32 v26, 0
	v_mov_b32_e32 v25, 0
	s_mov_b32 s23, exec_lo
	v_cmpx_ne_u16_e32 0, v27
	s_cbranch_execz .LBB242_866
; %bb.859:                              ;   in Loop: Header=BB242_561 Depth=1
	v_mov_b32_e32 v25, 0x8000
	s_mov_b32 s24, exec_lo
	v_cmpx_ne_u16_e32 0x80, v27
	s_cbranch_execz .LBB242_865
; %bb.860:                              ;   in Loop: Header=BB242_561 Depth=1
	v_and_b32_e32 v28, 0x7f, v23
	v_mov_b32_e32 v25, 0x7c01
	s_mov_b32 s25, exec_lo
	s_delay_alu instid0(VALU_DEP_2)
	v_cmpx_ne_u32_e32 0x7f, v28
	s_cbranch_execz .LBB242_864
; %bb.861:                              ;   in Loop: Header=BB242_561 Depth=1
	v_dual_lshrrev_b32 v27, 3, v28 :: v_dual_bitop2_b32 v25, 7, v23 bitop3:0x40
	s_mov_b32 s26, exec_lo
	v_cmpx_gt_u32_e32 8, v28
; %bb.862:                              ;   in Loop: Header=BB242_561 Depth=1
	s_delay_alu instid0(VALU_DEP_2) | instskip(NEXT) | instid1(VALU_DEP_1)
	v_clz_i32_u32_e32 v25, v25
	v_min_u32_e32 v25, 32, v25
	s_delay_alu instid0(VALU_DEP_1) | instskip(NEXT) | instid1(VALU_DEP_1)
	v_subrev_nc_u32_e32 v27, 28, v25
	v_lshlrev_b64_e32 v[40:41], v27, v[12:13]
	s_delay_alu instid0(VALU_DEP_1)
	v_dual_sub_nc_u32 v27, 29, v25 :: v_dual_bitop2_b32 v25, 7, v40 bitop3:0x40
; %bb.863:                              ;   in Loop: Header=BB242_561 Depth=1
	s_or_b32 exec_lo, exec_lo, s26
	s_delay_alu instid0(VALU_DEP_1) | instskip(NEXT) | instid1(VALU_DEP_2)
	v_dual_lshlrev_b32 v28, 8, v23 :: v_dual_lshlrev_b32 v25, 7, v25
	v_lshl_add_u32 v27, v27, 10, 0x2000
	s_delay_alu instid0(VALU_DEP_2) | instskip(NEXT) | instid1(VALU_DEP_2)
	v_and_b32_e32 v28, 0x8000, v28
	v_and_b32_e32 v27, 0xfc00, v27
	s_delay_alu instid0(VALU_DEP_1)
	v_or3_b32 v25, v28, v27, v25
.LBB242_864:                            ;   in Loop: Header=BB242_561 Depth=1
	s_or_b32 exec_lo, exec_lo, s25
.LBB242_865:                            ;   in Loop: Header=BB242_561 Depth=1
	s_delay_alu instid0(SALU_CYCLE_1)
	s_or_b32 exec_lo, exec_lo, s24
.LBB242_866:                            ;   in Loop: Header=BB242_561 Depth=1
	s_delay_alu instid0(SALU_CYCLE_1) | instskip(SKIP_3) | instid1(VALU_DEP_2)
	s_or_b32 exec_lo, exec_lo, s23
	v_lshrrev_b16 v12, 8, v12
	v_mov_b32_e32 v27, 0
	s_mov_b32 s23, exec_lo
	v_cmpx_ne_u16_e32 0, v12
	s_cbranch_execz .LBB242_874
; %bb.867:                              ;   in Loop: Header=BB242_561 Depth=1
	v_bfrev_b32_e32 v27, 1
	s_mov_b32 s24, exec_lo
	v_cmpx_ne_u16_e32 0x80, v12
	s_cbranch_execz .LBB242_873
; %bb.868:                              ;   in Loop: Header=BB242_561 Depth=1
	v_and_b32_e32 v28, 0xffff, v12
	v_mov_b32_e32 v27, 0x7c010000
	s_mov_b32 s25, exec_lo
	s_delay_alu instid0(VALU_DEP_2) | instskip(NEXT) | instid1(VALU_DEP_1)
	v_and_b32_e32 v41, 0x7f, v28
	v_cmpx_ne_u32_e32 0x7f, v41
	s_cbranch_execz .LBB242_872
; %bb.869:                              ;   in Loop: Header=BB242_561 Depth=1
	v_dual_lshrrev_b32 v40, 3, v41 :: v_dual_bitop2_b32 v27, 7, v28 bitop3:0x40
	s_mov_b32 s26, exec_lo
	v_cmpx_gt_u32_e32 8, v41
; %bb.870:                              ;   in Loop: Header=BB242_561 Depth=1
	s_delay_alu instid0(VALU_DEP_2) | instskip(NEXT) | instid1(VALU_DEP_1)
	v_clz_i32_u32_e32 v27, v27
	v_min_u32_e32 v27, 32, v27
	s_delay_alu instid0(VALU_DEP_1) | instskip(NEXT) | instid1(VALU_DEP_1)
	v_subrev_nc_u32_e32 v40, 28, v27
	v_lshlrev_b64_e32 v[54:55], v40, v[12:13]
	s_delay_alu instid0(VALU_DEP_1)
	v_dual_sub_nc_u32 v40, 29, v27 :: v_dual_bitop2_b32 v27, 7, v54 bitop3:0x40
; %bb.871:                              ;   in Loop: Header=BB242_561 Depth=1
	s_or_b32 exec_lo, exec_lo, s26
	s_delay_alu instid0(VALU_DEP_1) | instskip(NEXT) | instid1(VALU_DEP_2)
	v_dual_lshlrev_b32 v12, 8, v28 :: v_dual_lshlrev_b32 v27, 23, v27
	v_lshl_add_u32 v28, v40, 10, 0x2000
	s_delay_alu instid0(VALU_DEP_1) | instskip(NEXT) | instid1(VALU_DEP_1)
	v_and_or_b32 v12, 0x8000, v12, v28
	v_lshl_or_b32 v27, v12, 16, v27
.LBB242_872:                            ;   in Loop: Header=BB242_561 Depth=1
	s_or_b32 exec_lo, exec_lo, s25
.LBB242_873:                            ;   in Loop: Header=BB242_561 Depth=1
	s_delay_alu instid0(SALU_CYCLE_1)
	s_or_b32 exec_lo, exec_lo, s24
.LBB242_874:                            ;   in Loop: Header=BB242_561 Depth=1
	s_delay_alu instid0(SALU_CYCLE_1) | instskip(SKIP_2) | instid1(VALU_DEP_1)
	s_or_b32 exec_lo, exec_lo, s23
	v_lshrrev_b32_e32 v12, 16, v23
	s_mov_b32 s23, exec_lo
	v_and_b32_e32 v28, 0xff, v12
	s_delay_alu instid0(VALU_DEP_1)
	v_cmpx_ne_u16_e32 0, v28
	s_cbranch_execz .LBB242_882
; %bb.875:                              ;   in Loop: Header=BB242_561 Depth=1
	v_mov_b32_e32 v26, 0x8000
	s_mov_b32 s24, exec_lo
	v_cmpx_ne_u16_e32 0x80, v28
	s_cbranch_execz .LBB242_881
; %bb.876:                              ;   in Loop: Header=BB242_561 Depth=1
	v_bfe_u32 v40, v23, 16, 7
	v_mov_b32_e32 v26, 0x7c01
	s_mov_b32 s25, exec_lo
	s_delay_alu instid0(VALU_DEP_2)
	v_cmpx_ne_u32_e32 0x7f, v40
	s_cbranch_execz .LBB242_880
; %bb.877:                              ;   in Loop: Header=BB242_561 Depth=1
	v_and_b32_e32 v26, 7, v12
	v_lshrrev_b32_e32 v28, 3, v40
	s_mov_b32 s26, exec_lo
	v_cmpx_gt_u32_e32 8, v40
; %bb.878:                              ;   in Loop: Header=BB242_561 Depth=1
	s_delay_alu instid0(VALU_DEP_3) | instskip(NEXT) | instid1(VALU_DEP_1)
	v_clz_i32_u32_e32 v26, v26
	v_min_u32_e32 v26, 32, v26
	s_delay_alu instid0(VALU_DEP_1) | instskip(NEXT) | instid1(VALU_DEP_1)
	v_subrev_nc_u32_e32 v28, 28, v26
	v_lshlrev_b64_e32 v[40:41], v28, v[12:13]
	s_delay_alu instid0(VALU_DEP_1)
	v_dual_sub_nc_u32 v28, 29, v26 :: v_dual_bitop2_b32 v26, 7, v40 bitop3:0x40
; %bb.879:                              ;   in Loop: Header=BB242_561 Depth=1
	s_or_b32 exec_lo, exec_lo, s26
	s_delay_alu instid0(VALU_DEP_1) | instskip(NEXT) | instid1(VALU_DEP_2)
	v_dual_lshlrev_b32 v12, 8, v12 :: v_dual_lshlrev_b32 v26, 7, v26
	v_lshl_add_u32 v28, v28, 10, 0x2000
	s_delay_alu instid0(VALU_DEP_2) | instskip(NEXT) | instid1(VALU_DEP_2)
	v_and_b32_e32 v12, 0x8000, v12
	v_and_b32_e32 v28, 0xfc00, v28
	s_delay_alu instid0(VALU_DEP_1)
	v_or3_b32 v26, v12, v28, v26
.LBB242_880:                            ;   in Loop: Header=BB242_561 Depth=1
	s_or_b32 exec_lo, exec_lo, s25
.LBB242_881:                            ;   in Loop: Header=BB242_561 Depth=1
	s_delay_alu instid0(SALU_CYCLE_1)
	s_or_b32 exec_lo, exec_lo, s24
.LBB242_882:                            ;   in Loop: Header=BB242_561 Depth=1
	s_delay_alu instid0(SALU_CYCLE_1)
	s_or_b32 exec_lo, exec_lo, s23
	v_cmp_lt_u64_e64 s0, s[8:9], v[22:23]
	v_mov_b32_e32 v22, 0
	s_and_saveexec_b32 s23, s0
	s_cbranch_execz .LBB242_890
; %bb.883:                              ;   in Loop: Header=BB242_561 Depth=1
	v_lshrrev_b32_e32 v12, 24, v23
	v_bfrev_b32_e32 v22, 1
	s_mov_b32 s24, exec_lo
	s_delay_alu instid0(VALU_DEP_2)
	v_cmpx_ne_u32_e32 0x80, v12
	s_cbranch_execz .LBB242_889
; %bb.884:                              ;   in Loop: Header=BB242_561 Depth=1
	v_and_b32_e32 v28, 0x7f, v12
	v_mov_b32_e32 v22, 0x7c010000
	s_mov_b32 s25, exec_lo
	s_delay_alu instid0(VALU_DEP_2)
	v_cmpx_ne_u32_e32 0x7f, v28
	s_cbranch_execz .LBB242_888
; %bb.885:                              ;   in Loop: Header=BB242_561 Depth=1
	v_and_b32_e32 v22, 7, v12
	v_lshrrev_b32_e32 v23, 3, v28
	s_mov_b32 s26, exec_lo
	v_cmpx_gt_u32_e32 8, v28
; %bb.886:                              ;   in Loop: Header=BB242_561 Depth=1
	s_delay_alu instid0(VALU_DEP_3) | instskip(NEXT) | instid1(VALU_DEP_1)
	v_clz_i32_u32_e32 v22, v22
	v_min_u32_e32 v28, 32, v22
	s_delay_alu instid0(VALU_DEP_1) | instskip(NEXT) | instid1(VALU_DEP_1)
	v_subrev_nc_u32_e32 v22, 28, v28
	v_lshlrev_b64_e32 v[22:23], v22, v[12:13]
	s_delay_alu instid0(VALU_DEP_1)
	v_dual_sub_nc_u32 v23, 29, v28 :: v_dual_bitop2_b32 v22, 7, v22 bitop3:0x40
; %bb.887:                              ;   in Loop: Header=BB242_561 Depth=1
	s_or_b32 exec_lo, exec_lo, s26
	s_delay_alu instid0(VALU_DEP_1) | instskip(NEXT) | instid1(VALU_DEP_2)
	v_dual_lshlrev_b32 v12, 8, v12 :: v_dual_lshlrev_b32 v22, 23, v22
	v_lshl_add_u32 v23, v23, 10, 0x2000
	s_delay_alu instid0(VALU_DEP_1) | instskip(NEXT) | instid1(VALU_DEP_1)
	v_and_or_b32 v12, 0x8000, v12, v23
	v_lshl_or_b32 v22, v12, 16, v22
.LBB242_888:                            ;   in Loop: Header=BB242_561 Depth=1
	s_or_b32 exec_lo, exec_lo, s25
.LBB242_889:                            ;   in Loop: Header=BB242_561 Depth=1
	s_delay_alu instid0(SALU_CYCLE_1)
	s_or_b32 exec_lo, exec_lo, s24
.LBB242_890:                            ;   in Loop: Header=BB242_561 Depth=1
	s_delay_alu instid0(SALU_CYCLE_1) | instskip(SKIP_3) | instid1(VALU_DEP_3)
	s_or_b32 exec_lo, exec_lo, s23
	v_dual_lshrrev_b32 v12, 16, v1 :: v_dual_bitop2_b32 v1, v1, v3 bitop3:0x54
	v_dual_lshrrev_b32 v23, 16, v21 :: v_dual_bitop2_b32 v3, v21, v24 bitop3:0x54
	v_lshrrev_b32_e32 v24, 16, v22
	v_cvt_f32_f16_e32 v41, v12
	v_dual_lshrrev_b32 v21, 16, v27 :: v_dual_bitop2_b32 v12, v22, v26 bitop3:0x54
	s_delay_alu instid0(VALU_DEP_4)
	v_cvt_f32_f16_e32 v40, v23
	v_cvt_f32_f16_e32 v22, v3
	v_or_b32_e32 v3, v27, v25
	v_cvt_f32_f16_e32 v23, v1
	v_cvt_f32_f16_e32 v25, v21
	s_wait_loadcnt 0x0
	v_pk_mul_f32 v[40:41], v[20:21], v[40:41] op_sel_hi:[0,1]
	v_cvt_f32_f16_e32 v24, v24
	v_cvt_f32_f16_e32 v26, v12
	;; [unrolled: 1-line block ×3, first 2 shown]
	v_pk_mul_f32 v[22:23], v[20:21], v[22:23] op_sel_hi:[0,1]
	v_cvt_pk_f16_f32 v1, v40, v41
	v_pk_mul_f32 v[24:25], v[20:21], v[24:25] op_sel_hi:[0,1]
	s_delay_alu instid0(VALU_DEP_4) | instskip(NEXT) | instid1(VALU_DEP_4)
	v_pk_mul_f32 v[26:27], v[20:21], v[26:27] op_sel_hi:[0,1]
	v_cvt_pk_f16_f32 v3, v22, v23
	s_delay_alu instid0(VALU_DEP_4) | instskip(NEXT) | instid1(VALU_DEP_4)
	v_and_b32_e32 v21, 0xffff0000, v1
	v_cvt_pk_f16_f32 v12, v24, v25
	v_lshlrev_b32_e32 v22, 16, v1
	v_cvt_pk_f16_f32 v20, v26, v27
	v_lshrrev_b32_e32 v27, 16, v3
	v_and_b32_e32 v28, 0xffff, v3
	v_and_b32_e32 v1, 0xffff0000, v12
	s_delay_alu instid0(VALU_DEP_3) | instskip(SKIP_3) | instid1(VALU_DEP_2)
	v_dual_lshlrev_b32 v12, 16, v12 :: v_dual_bitop2_b32 v25, v21, v27 bitop3:0x54
	v_lshrrev_b32_e32 v3, 16, v20
	v_and_b32_e32 v20, 0xffff, v20
	v_or_b32_e32 v26, v22, v28
	v_or_b32_e32 v24, v12, v20
	s_delay_alu instid0(VALU_DEP_4)
	v_or_b32_e32 v23, v1, v3
	s_and_saveexec_b32 s23, vcc_lo
	s_cbranch_execz .LBB242_892
; %bb.891:                              ;   in Loop: Header=BB242_561 Depth=1
	v_cmp_gt_i32_e64 s0, s18, v2
	s_delay_alu instid0(VALU_DEP_1) | instskip(SKIP_1) | instid1(VALU_DEP_1)
	v_cndmask_b32_e64 v23, 0, v27, s0
	v_cmp_gt_i32_e64 s0, s34, v39
	v_cndmask_b32_e64 v24, 0, v28, s0
	v_cmp_gt_i32_e64 s0, s18, v38
	s_delay_alu instid0(VALU_DEP_1) | instskip(SKIP_1) | instid1(VALU_DEP_1)
	v_cndmask_b32_e64 v21, 0, v21, s0
	v_cmp_gt_i32_e64 s0, s34, v37
	v_cndmask_b32_e64 v22, 0, v22, s0
	v_cmp_gt_i32_e64 s0, s18, v36
	s_delay_alu instid0(VALU_DEP_4) | instskip(NEXT) | instid1(VALU_DEP_2)
	v_or_b32_e32 v25, v21, v23
	v_dual_cndmask_b32 v3, 0, v3, s0 :: v_dual_bitop2_b32 v26, v22, v24 bitop3:0x54
	v_cmp_gt_i32_e64 s0, s34, v35
	s_delay_alu instid0(VALU_DEP_1) | instskip(SKIP_1) | instid1(VALU_DEP_1)
	v_cndmask_b32_e64 v20, 0, v20, s0
	v_cmp_gt_i32_e64 s0, s18, v34
	v_cndmask_b32_e64 v1, 0, v1, s0
	v_cmp_gt_i32_e64 s0, s34, v33
	s_delay_alu instid0(VALU_DEP_1) | instskip(NEXT) | instid1(VALU_DEP_1)
	v_dual_cndmask_b32 v12, 0, v12, s0 :: v_dual_bitop2_b32 v23, v1, v3 bitop3:0x54
	v_or_b32_e32 v24, v12, v20
.LBB242_892:                            ;   in Loop: Header=BB242_561 Depth=1
	s_or_b32 exec_lo, exec_lo, s23
	;;#ASMSTART
	v_pk_mul_f16 v1, v46, v25;

	;;#ASMEND
	;;#ASMSTART
	v_pk_mul_f16 v3, v44, v26;

	;;#ASMEND
	;; [unrolled: 4-line block ×4, first 2 shown]
	;;#ASMSTART
	v_pk_add_f16 v1, v1, v3;

	;;#ASMEND
	;;#ASMSTART
	v_pk_add_f16 v1, v1, v12;

	;;#ASMEND
	;; [unrolled: 4-line block ×3, first 2 shown]
	v_and_b32_e32 v3, 0xffff, v1
	v_lshrrev_b32_e32 v1, 16, v1
	;;#ASMSTART
	v_cvt_f32_f16 v54, v3;
	;;#ASMEND
	v_mov_b32_e32 v3, 0
	;;#ASMSTART
	v_cvt_f32_f16 v55, v1;
	;;#ASMEND
	global_load_b64 v[22:23], v[18:19], off offset:1280
	v_mov_b32_e32 v1, 0
	s_mov_b32 s23, exec_lo
	global_load_b32 v20, v1, s[10:11]
	s_wait_loadcnt 0x1
	v_and_b32_e32 v12, 0xff, v22
	s_wait_xcnt 0x0
	s_delay_alu instid0(VALU_DEP_1)
	v_cmpx_ne_u16_e32 0, v12
	s_cbranch_execz .LBB242_900
; %bb.893:                              ;   in Loop: Header=BB242_561 Depth=1
	v_mov_b32_e32 v3, 0x8000
	s_mov_b32 s24, exec_lo
	v_cmpx_ne_u16_e32 0x80, v12
	s_cbranch_execz .LBB242_899
; %bb.894:                              ;   in Loop: Header=BB242_561 Depth=1
	v_and_b32_e32 v21, 0x7f, v22
	v_mov_b32_e32 v3, 0x7c01
	s_mov_b32 s25, exec_lo
	s_delay_alu instid0(VALU_DEP_2)
	v_cmpx_ne_u32_e32 0x7f, v21
	s_cbranch_execz .LBB242_898
; %bb.895:                              ;   in Loop: Header=BB242_561 Depth=1
	v_dual_lshrrev_b32 v12, 3, v21 :: v_dual_bitop2_b32 v3, 7, v22 bitop3:0x40
	s_mov_b32 s26, exec_lo
	v_cmpx_gt_u32_e32 8, v21
; %bb.896:                              ;   in Loop: Header=BB242_561 Depth=1
	s_delay_alu instid0(VALU_DEP_2) | instskip(NEXT) | instid1(VALU_DEP_1)
	v_clz_i32_u32_e32 v3, v3
	v_min_u32_e32 v3, 32, v3
	s_delay_alu instid0(VALU_DEP_1) | instskip(NEXT) | instid1(VALU_DEP_1)
	v_subrev_nc_u32_e32 v12, 28, v3
	v_lshlrev_b64_e32 v[24:25], v12, v[22:23]
	s_delay_alu instid0(VALU_DEP_1)
	v_dual_sub_nc_u32 v12, 29, v3 :: v_dual_bitop2_b32 v3, 7, v24 bitop3:0x40
; %bb.897:                              ;   in Loop: Header=BB242_561 Depth=1
	s_or_b32 exec_lo, exec_lo, s26
	s_delay_alu instid0(VALU_DEP_1) | instskip(NEXT) | instid1(VALU_DEP_2)
	v_dual_lshlrev_b32 v21, 8, v22 :: v_dual_lshlrev_b32 v3, 7, v3
	v_lshl_add_u32 v12, v12, 10, 0x2000
	s_delay_alu instid0(VALU_DEP_2) | instskip(NEXT) | instid1(VALU_DEP_2)
	v_and_b32_e32 v21, 0x8000, v21
	v_and_b32_e32 v12, 0xfc00, v12
	s_delay_alu instid0(VALU_DEP_1)
	v_or3_b32 v3, v21, v12, v3
.LBB242_898:                            ;   in Loop: Header=BB242_561 Depth=1
	s_or_b32 exec_lo, exec_lo, s25
.LBB242_899:                            ;   in Loop: Header=BB242_561 Depth=1
	s_delay_alu instid0(SALU_CYCLE_1)
	s_or_b32 exec_lo, exec_lo, s24
.LBB242_900:                            ;   in Loop: Header=BB242_561 Depth=1
	s_delay_alu instid0(SALU_CYCLE_1) | instskip(SKIP_2) | instid1(VALU_DEP_1)
	s_or_b32 exec_lo, exec_lo, s23
	v_lshrrev_b16 v12, 8, v22
	s_mov_b32 s23, exec_lo
	v_cmpx_ne_u16_e32 0, v12
	s_cbranch_execz .LBB242_908
; %bb.901:                              ;   in Loop: Header=BB242_561 Depth=1
	v_bfrev_b32_e32 v1, 1
	s_mov_b32 s24, exec_lo
	v_cmpx_ne_u16_e32 0x80, v12
	s_cbranch_execz .LBB242_907
; %bb.902:                              ;   in Loop: Header=BB242_561 Depth=1
	v_and_b32_e32 v21, 0xffff, v12
	v_mov_b32_e32 v1, 0x7c010000
	s_mov_b32 s25, exec_lo
	s_delay_alu instid0(VALU_DEP_2) | instskip(NEXT) | instid1(VALU_DEP_1)
	v_and_b32_e32 v25, 0x7f, v21
	v_cmpx_ne_u32_e32 0x7f, v25
	s_cbranch_execz .LBB242_906
; %bb.903:                              ;   in Loop: Header=BB242_561 Depth=1
	v_and_b32_e32 v1, 7, v21
	v_lshrrev_b32_e32 v24, 3, v25
	s_mov_b32 s26, exec_lo
	v_cmpx_gt_u32_e32 8, v25
; %bb.904:                              ;   in Loop: Header=BB242_561 Depth=1
	s_delay_alu instid0(VALU_DEP_3) | instskip(NEXT) | instid1(VALU_DEP_1)
	v_clz_i32_u32_e32 v1, v1
	v_min_u32_e32 v1, 32, v1
	s_delay_alu instid0(VALU_DEP_1) | instskip(NEXT) | instid1(VALU_DEP_1)
	v_subrev_nc_u32_e32 v24, 28, v1
	v_lshlrev_b64_e32 v[26:27], v24, v[12:13]
	s_delay_alu instid0(VALU_DEP_1)
	v_dual_sub_nc_u32 v24, 29, v1 :: v_dual_bitop2_b32 v1, 7, v26 bitop3:0x40
; %bb.905:                              ;   in Loop: Header=BB242_561 Depth=1
	s_or_b32 exec_lo, exec_lo, s26
	v_lshlrev_b32_e32 v12, 8, v21
	s_delay_alu instid0(VALU_DEP_2) | instskip(NEXT) | instid1(VALU_DEP_3)
	v_lshl_add_u32 v21, v24, 10, 0x2000
	v_lshlrev_b32_e32 v1, 23, v1
	s_delay_alu instid0(VALU_DEP_2) | instskip(NEXT) | instid1(VALU_DEP_1)
	v_and_or_b32 v12, 0x8000, v12, v21
	v_lshl_or_b32 v1, v12, 16, v1
.LBB242_906:                            ;   in Loop: Header=BB242_561 Depth=1
	s_or_b32 exec_lo, exec_lo, s25
.LBB242_907:                            ;   in Loop: Header=BB242_561 Depth=1
	s_delay_alu instid0(SALU_CYCLE_1)
	s_or_b32 exec_lo, exec_lo, s24
.LBB242_908:                            ;   in Loop: Header=BB242_561 Depth=1
	s_delay_alu instid0(SALU_CYCLE_1) | instskip(SKIP_3) | instid1(VALU_DEP_2)
	s_or_b32 exec_lo, exec_lo, s23
	v_dual_mov_b32 v21, 0 :: v_dual_lshrrev_b32 v12, 16, v22
	v_mov_b32_e32 v24, 0
	s_mov_b32 s23, exec_lo
	v_and_b32_e32 v25, 0xff, v12
	s_delay_alu instid0(VALU_DEP_1)
	v_cmpx_ne_u16_e32 0, v25
	s_cbranch_execz .LBB242_916
; %bb.909:                              ;   in Loop: Header=BB242_561 Depth=1
	v_mov_b32_e32 v24, 0x8000
	s_mov_b32 s24, exec_lo
	v_cmpx_ne_u16_e32 0x80, v25
	s_cbranch_execz .LBB242_915
; %bb.910:                              ;   in Loop: Header=BB242_561 Depth=1
	v_bfe_u32 v26, v22, 16, 7
	v_mov_b32_e32 v24, 0x7c01
	s_mov_b32 s25, exec_lo
	s_delay_alu instid0(VALU_DEP_2)
	v_cmpx_ne_u32_e32 0x7f, v26
	s_cbranch_execz .LBB242_914
; %bb.911:                              ;   in Loop: Header=BB242_561 Depth=1
	v_dual_lshrrev_b32 v25, 3, v26 :: v_dual_bitop2_b32 v24, 7, v12 bitop3:0x40
	s_mov_b32 s26, exec_lo
	v_cmpx_gt_u32_e32 8, v26
; %bb.912:                              ;   in Loop: Header=BB242_561 Depth=1
	s_delay_alu instid0(VALU_DEP_2) | instskip(NEXT) | instid1(VALU_DEP_1)
	v_clz_i32_u32_e32 v24, v24
	v_min_u32_e32 v26, 32, v24
	s_delay_alu instid0(VALU_DEP_1) | instskip(NEXT) | instid1(VALU_DEP_1)
	v_subrev_nc_u32_e32 v24, 28, v26
	v_lshlrev_b64_e32 v[24:25], v24, v[12:13]
	s_delay_alu instid0(VALU_DEP_1)
	v_dual_sub_nc_u32 v25, 29, v26 :: v_dual_bitop2_b32 v24, 7, v24 bitop3:0x40
; %bb.913:                              ;   in Loop: Header=BB242_561 Depth=1
	s_or_b32 exec_lo, exec_lo, s26
	v_lshlrev_b32_e32 v12, 8, v12
	s_delay_alu instid0(VALU_DEP_2) | instskip(NEXT) | instid1(VALU_DEP_3)
	v_lshl_add_u32 v25, v25, 10, 0x2000
	v_lshlrev_b32_e32 v24, 7, v24
	s_delay_alu instid0(VALU_DEP_3) | instskip(NEXT) | instid1(VALU_DEP_3)
	v_and_b32_e32 v12, 0x8000, v12
	v_and_b32_e32 v25, 0xfc00, v25
	s_delay_alu instid0(VALU_DEP_1)
	v_or3_b32 v24, v12, v25, v24
.LBB242_914:                            ;   in Loop: Header=BB242_561 Depth=1
	s_or_b32 exec_lo, exec_lo, s25
.LBB242_915:                            ;   in Loop: Header=BB242_561 Depth=1
	s_delay_alu instid0(SALU_CYCLE_1)
	s_or_b32 exec_lo, exec_lo, s24
.LBB242_916:                            ;   in Loop: Header=BB242_561 Depth=1
	s_delay_alu instid0(SALU_CYCLE_1) | instskip(NEXT) | instid1(SALU_CYCLE_1)
	s_or_b32 exec_lo, exec_lo, s23
	s_mov_b32 s23, exec_lo
	v_cmpx_lt_u32_e32 0xffffff, v22
	s_cbranch_execz .LBB242_924
; %bb.917:                              ;   in Loop: Header=BB242_561 Depth=1
	v_lshrrev_b32_e32 v12, 24, v22
	v_bfrev_b32_e32 v21, 1
	s_mov_b32 s24, exec_lo
	s_delay_alu instid0(VALU_DEP_2)
	v_cmpx_ne_u32_e32 0x80, v12
	s_cbranch_execz .LBB242_923
; %bb.918:                              ;   in Loop: Header=BB242_561 Depth=1
	v_and_b32_e32 v26, 0x7f, v12
	v_mov_b32_e32 v21, 0x7c010000
	s_mov_b32 s25, exec_lo
	s_delay_alu instid0(VALU_DEP_2)
	v_cmpx_ne_u32_e32 0x7f, v26
	s_cbranch_execz .LBB242_922
; %bb.919:                              ;   in Loop: Header=BB242_561 Depth=1
	v_dual_lshrrev_b32 v25, 3, v26 :: v_dual_bitop2_b32 v21, 7, v12 bitop3:0x40
	s_mov_b32 s26, exec_lo
	v_cmpx_gt_u32_e32 8, v26
; %bb.920:                              ;   in Loop: Header=BB242_561 Depth=1
	s_delay_alu instid0(VALU_DEP_2) | instskip(NEXT) | instid1(VALU_DEP_1)
	v_clz_i32_u32_e32 v21, v21
	v_min_u32_e32 v21, 32, v21
	s_delay_alu instid0(VALU_DEP_1) | instskip(NEXT) | instid1(VALU_DEP_1)
	v_subrev_nc_u32_e32 v25, 28, v21
	v_lshlrev_b64_e32 v[26:27], v25, v[12:13]
	s_delay_alu instid0(VALU_DEP_1)
	v_dual_sub_nc_u32 v25, 29, v21 :: v_dual_bitop2_b32 v21, 7, v26 bitop3:0x40
; %bb.921:                              ;   in Loop: Header=BB242_561 Depth=1
	s_or_b32 exec_lo, exec_lo, s26
	s_delay_alu instid0(VALU_DEP_1) | instskip(NEXT) | instid1(VALU_DEP_2)
	v_dual_lshlrev_b32 v12, 8, v12 :: v_dual_lshlrev_b32 v21, 23, v21
	v_lshl_add_u32 v25, v25, 10, 0x2000
	s_delay_alu instid0(VALU_DEP_1) | instskip(NEXT) | instid1(VALU_DEP_1)
	v_and_or_b32 v12, 0x8000, v12, v25
	v_lshl_or_b32 v21, v12, 16, v21
.LBB242_922:                            ;   in Loop: Header=BB242_561 Depth=1
	s_or_b32 exec_lo, exec_lo, s25
.LBB242_923:                            ;   in Loop: Header=BB242_561 Depth=1
	s_delay_alu instid0(SALU_CYCLE_1)
	s_or_b32 exec_lo, exec_lo, s24
.LBB242_924:                            ;   in Loop: Header=BB242_561 Depth=1
	s_delay_alu instid0(SALU_CYCLE_1) | instskip(SKIP_4) | instid1(VALU_DEP_3)
	s_or_b32 exec_lo, exec_lo, s23
	v_and_b32_e32 v27, 0xff, v23
	v_dual_mov_b32 v12, v23 :: v_dual_mov_b32 v26, 0
	v_mov_b32_e32 v25, 0
	s_mov_b32 s23, exec_lo
	v_cmpx_ne_u16_e32 0, v27
	s_cbranch_execz .LBB242_932
; %bb.925:                              ;   in Loop: Header=BB242_561 Depth=1
	v_mov_b32_e32 v25, 0x8000
	s_mov_b32 s24, exec_lo
	v_cmpx_ne_u16_e32 0x80, v27
	s_cbranch_execz .LBB242_931
; %bb.926:                              ;   in Loop: Header=BB242_561 Depth=1
	v_and_b32_e32 v28, 0x7f, v23
	v_mov_b32_e32 v25, 0x7c01
	s_mov_b32 s25, exec_lo
	s_delay_alu instid0(VALU_DEP_2)
	v_cmpx_ne_u32_e32 0x7f, v28
	s_cbranch_execz .LBB242_930
; %bb.927:                              ;   in Loop: Header=BB242_561 Depth=1
	v_dual_lshrrev_b32 v27, 3, v28 :: v_dual_bitop2_b32 v25, 7, v23 bitop3:0x40
	s_mov_b32 s26, exec_lo
	v_cmpx_gt_u32_e32 8, v28
; %bb.928:                              ;   in Loop: Header=BB242_561 Depth=1
	s_delay_alu instid0(VALU_DEP_2) | instskip(NEXT) | instid1(VALU_DEP_1)
	v_clz_i32_u32_e32 v25, v25
	v_min_u32_e32 v25, 32, v25
	s_delay_alu instid0(VALU_DEP_1) | instskip(NEXT) | instid1(VALU_DEP_1)
	v_subrev_nc_u32_e32 v27, 28, v25
	v_lshlrev_b64_e32 v[40:41], v27, v[12:13]
	s_delay_alu instid0(VALU_DEP_1)
	v_dual_sub_nc_u32 v27, 29, v25 :: v_dual_bitop2_b32 v25, 7, v40 bitop3:0x40
; %bb.929:                              ;   in Loop: Header=BB242_561 Depth=1
	s_or_b32 exec_lo, exec_lo, s26
	s_delay_alu instid0(VALU_DEP_1) | instskip(NEXT) | instid1(VALU_DEP_2)
	v_dual_lshlrev_b32 v28, 8, v23 :: v_dual_lshlrev_b32 v25, 7, v25
	v_lshl_add_u32 v27, v27, 10, 0x2000
	s_delay_alu instid0(VALU_DEP_2) | instskip(NEXT) | instid1(VALU_DEP_2)
	v_and_b32_e32 v28, 0x8000, v28
	v_and_b32_e32 v27, 0xfc00, v27
	s_delay_alu instid0(VALU_DEP_1)
	v_or3_b32 v25, v28, v27, v25
.LBB242_930:                            ;   in Loop: Header=BB242_561 Depth=1
	s_or_b32 exec_lo, exec_lo, s25
.LBB242_931:                            ;   in Loop: Header=BB242_561 Depth=1
	s_delay_alu instid0(SALU_CYCLE_1)
	s_or_b32 exec_lo, exec_lo, s24
.LBB242_932:                            ;   in Loop: Header=BB242_561 Depth=1
	s_delay_alu instid0(SALU_CYCLE_1) | instskip(SKIP_3) | instid1(VALU_DEP_2)
	s_or_b32 exec_lo, exec_lo, s23
	v_lshrrev_b16 v12, 8, v12
	v_mov_b32_e32 v27, 0
	s_mov_b32 s23, exec_lo
	v_cmpx_ne_u16_e32 0, v12
	s_cbranch_execz .LBB242_940
; %bb.933:                              ;   in Loop: Header=BB242_561 Depth=1
	v_bfrev_b32_e32 v27, 1
	s_mov_b32 s24, exec_lo
	v_cmpx_ne_u16_e32 0x80, v12
	s_cbranch_execz .LBB242_939
; %bb.934:                              ;   in Loop: Header=BB242_561 Depth=1
	v_and_b32_e32 v28, 0xffff, v12
	v_mov_b32_e32 v27, 0x7c010000
	s_mov_b32 s25, exec_lo
	s_delay_alu instid0(VALU_DEP_2) | instskip(NEXT) | instid1(VALU_DEP_1)
	v_and_b32_e32 v41, 0x7f, v28
	v_cmpx_ne_u32_e32 0x7f, v41
	s_cbranch_execz .LBB242_938
; %bb.935:                              ;   in Loop: Header=BB242_561 Depth=1
	v_dual_lshrrev_b32 v40, 3, v41 :: v_dual_bitop2_b32 v27, 7, v28 bitop3:0x40
	s_mov_b32 s26, exec_lo
	v_cmpx_gt_u32_e32 8, v41
; %bb.936:                              ;   in Loop: Header=BB242_561 Depth=1
	s_delay_alu instid0(VALU_DEP_2) | instskip(NEXT) | instid1(VALU_DEP_1)
	v_clz_i32_u32_e32 v27, v27
	v_min_u32_e32 v27, 32, v27
	s_delay_alu instid0(VALU_DEP_1) | instskip(NEXT) | instid1(VALU_DEP_1)
	v_subrev_nc_u32_e32 v40, 28, v27
	v_lshlrev_b64_e32 v[56:57], v40, v[12:13]
	s_delay_alu instid0(VALU_DEP_1)
	v_dual_sub_nc_u32 v40, 29, v27 :: v_dual_bitop2_b32 v27, 7, v56 bitop3:0x40
; %bb.937:                              ;   in Loop: Header=BB242_561 Depth=1
	s_or_b32 exec_lo, exec_lo, s26
	s_delay_alu instid0(VALU_DEP_1) | instskip(NEXT) | instid1(VALU_DEP_2)
	v_dual_lshlrev_b32 v12, 8, v28 :: v_dual_lshlrev_b32 v27, 23, v27
	v_lshl_add_u32 v28, v40, 10, 0x2000
	s_delay_alu instid0(VALU_DEP_1) | instskip(NEXT) | instid1(VALU_DEP_1)
	v_and_or_b32 v12, 0x8000, v12, v28
	v_lshl_or_b32 v27, v12, 16, v27
.LBB242_938:                            ;   in Loop: Header=BB242_561 Depth=1
	s_or_b32 exec_lo, exec_lo, s25
.LBB242_939:                            ;   in Loop: Header=BB242_561 Depth=1
	s_delay_alu instid0(SALU_CYCLE_1)
	s_or_b32 exec_lo, exec_lo, s24
.LBB242_940:                            ;   in Loop: Header=BB242_561 Depth=1
	s_delay_alu instid0(SALU_CYCLE_1) | instskip(SKIP_2) | instid1(VALU_DEP_1)
	s_or_b32 exec_lo, exec_lo, s23
	v_lshrrev_b32_e32 v12, 16, v23
	s_mov_b32 s23, exec_lo
	v_and_b32_e32 v28, 0xff, v12
	s_delay_alu instid0(VALU_DEP_1)
	v_cmpx_ne_u16_e32 0, v28
	s_cbranch_execz .LBB242_948
; %bb.941:                              ;   in Loop: Header=BB242_561 Depth=1
	v_mov_b32_e32 v26, 0x8000
	s_mov_b32 s24, exec_lo
	v_cmpx_ne_u16_e32 0x80, v28
	s_cbranch_execz .LBB242_947
; %bb.942:                              ;   in Loop: Header=BB242_561 Depth=1
	v_bfe_u32 v40, v23, 16, 7
	v_mov_b32_e32 v26, 0x7c01
	s_mov_b32 s25, exec_lo
	s_delay_alu instid0(VALU_DEP_2)
	v_cmpx_ne_u32_e32 0x7f, v40
	s_cbranch_execz .LBB242_946
; %bb.943:                              ;   in Loop: Header=BB242_561 Depth=1
	v_and_b32_e32 v26, 7, v12
	v_lshrrev_b32_e32 v28, 3, v40
	s_mov_b32 s26, exec_lo
	v_cmpx_gt_u32_e32 8, v40
; %bb.944:                              ;   in Loop: Header=BB242_561 Depth=1
	s_delay_alu instid0(VALU_DEP_3) | instskip(NEXT) | instid1(VALU_DEP_1)
	v_clz_i32_u32_e32 v26, v26
	v_min_u32_e32 v26, 32, v26
	s_delay_alu instid0(VALU_DEP_1) | instskip(NEXT) | instid1(VALU_DEP_1)
	v_subrev_nc_u32_e32 v28, 28, v26
	v_lshlrev_b64_e32 v[40:41], v28, v[12:13]
	s_delay_alu instid0(VALU_DEP_1)
	v_dual_sub_nc_u32 v28, 29, v26 :: v_dual_bitop2_b32 v26, 7, v40 bitop3:0x40
; %bb.945:                              ;   in Loop: Header=BB242_561 Depth=1
	s_or_b32 exec_lo, exec_lo, s26
	s_delay_alu instid0(VALU_DEP_1) | instskip(NEXT) | instid1(VALU_DEP_2)
	v_dual_lshlrev_b32 v12, 8, v12 :: v_dual_lshlrev_b32 v26, 7, v26
	v_lshl_add_u32 v28, v28, 10, 0x2000
	s_delay_alu instid0(VALU_DEP_2) | instskip(NEXT) | instid1(VALU_DEP_2)
	v_and_b32_e32 v12, 0x8000, v12
	v_and_b32_e32 v28, 0xfc00, v28
	s_delay_alu instid0(VALU_DEP_1)
	v_or3_b32 v26, v12, v28, v26
.LBB242_946:                            ;   in Loop: Header=BB242_561 Depth=1
	s_or_b32 exec_lo, exec_lo, s25
.LBB242_947:                            ;   in Loop: Header=BB242_561 Depth=1
	s_delay_alu instid0(SALU_CYCLE_1)
	s_or_b32 exec_lo, exec_lo, s24
.LBB242_948:                            ;   in Loop: Header=BB242_561 Depth=1
	s_delay_alu instid0(SALU_CYCLE_1)
	s_or_b32 exec_lo, exec_lo, s23
	v_cmp_lt_u64_e64 s0, s[8:9], v[22:23]
	v_mov_b32_e32 v22, 0
	s_and_saveexec_b32 s23, s0
	s_cbranch_execz .LBB242_956
; %bb.949:                              ;   in Loop: Header=BB242_561 Depth=1
	v_lshrrev_b32_e32 v12, 24, v23
	v_bfrev_b32_e32 v22, 1
	s_mov_b32 s24, exec_lo
	s_delay_alu instid0(VALU_DEP_2)
	v_cmpx_ne_u32_e32 0x80, v12
	s_cbranch_execz .LBB242_955
; %bb.950:                              ;   in Loop: Header=BB242_561 Depth=1
	v_and_b32_e32 v28, 0x7f, v12
	v_mov_b32_e32 v22, 0x7c010000
	s_mov_b32 s25, exec_lo
	s_delay_alu instid0(VALU_DEP_2)
	v_cmpx_ne_u32_e32 0x7f, v28
	s_cbranch_execz .LBB242_954
; %bb.951:                              ;   in Loop: Header=BB242_561 Depth=1
	v_and_b32_e32 v22, 7, v12
	v_lshrrev_b32_e32 v23, 3, v28
	s_mov_b32 s26, exec_lo
	v_cmpx_gt_u32_e32 8, v28
; %bb.952:                              ;   in Loop: Header=BB242_561 Depth=1
	s_delay_alu instid0(VALU_DEP_3) | instskip(NEXT) | instid1(VALU_DEP_1)
	v_clz_i32_u32_e32 v22, v22
	v_min_u32_e32 v28, 32, v22
	s_delay_alu instid0(VALU_DEP_1) | instskip(NEXT) | instid1(VALU_DEP_1)
	v_subrev_nc_u32_e32 v22, 28, v28
	v_lshlrev_b64_e32 v[22:23], v22, v[12:13]
	s_delay_alu instid0(VALU_DEP_1)
	v_dual_sub_nc_u32 v23, 29, v28 :: v_dual_bitop2_b32 v22, 7, v22 bitop3:0x40
; %bb.953:                              ;   in Loop: Header=BB242_561 Depth=1
	s_or_b32 exec_lo, exec_lo, s26
	s_delay_alu instid0(VALU_DEP_1) | instskip(NEXT) | instid1(VALU_DEP_2)
	v_dual_lshlrev_b32 v12, 8, v12 :: v_dual_lshlrev_b32 v22, 23, v22
	v_lshl_add_u32 v23, v23, 10, 0x2000
	s_delay_alu instid0(VALU_DEP_1) | instskip(NEXT) | instid1(VALU_DEP_1)
	v_and_or_b32 v12, 0x8000, v12, v23
	v_lshl_or_b32 v22, v12, 16, v22
.LBB242_954:                            ;   in Loop: Header=BB242_561 Depth=1
	s_or_b32 exec_lo, exec_lo, s25
.LBB242_955:                            ;   in Loop: Header=BB242_561 Depth=1
	s_delay_alu instid0(SALU_CYCLE_1)
	s_or_b32 exec_lo, exec_lo, s24
.LBB242_956:                            ;   in Loop: Header=BB242_561 Depth=1
	s_delay_alu instid0(SALU_CYCLE_1) | instskip(SKIP_3) | instid1(VALU_DEP_3)
	s_or_b32 exec_lo, exec_lo, s23
	v_dual_lshrrev_b32 v12, 16, v1 :: v_dual_bitop2_b32 v1, v1, v3 bitop3:0x54
	v_dual_lshrrev_b32 v23, 16, v21 :: v_dual_bitop2_b32 v3, v21, v24 bitop3:0x54
	v_lshrrev_b32_e32 v24, 16, v22
	v_cvt_f32_f16_e32 v41, v12
	v_dual_lshrrev_b32 v21, 16, v27 :: v_dual_bitop2_b32 v12, v22, v26 bitop3:0x54
	s_delay_alu instid0(VALU_DEP_4)
	v_cvt_f32_f16_e32 v40, v23
	v_cvt_f32_f16_e32 v22, v3
	v_or_b32_e32 v3, v27, v25
	v_cvt_f32_f16_e32 v23, v1
	v_cvt_f32_f16_e32 v25, v21
	s_wait_loadcnt 0x0
	v_pk_mul_f32 v[40:41], v[20:21], v[40:41] op_sel_hi:[0,1]
	v_cvt_f32_f16_e32 v24, v24
	v_cvt_f32_f16_e32 v26, v12
	;; [unrolled: 1-line block ×3, first 2 shown]
	v_pk_mul_f32 v[22:23], v[20:21], v[22:23] op_sel_hi:[0,1]
	v_cvt_pk_f16_f32 v1, v40, v41
	v_pk_mul_f32 v[24:25], v[20:21], v[24:25] op_sel_hi:[0,1]
	s_delay_alu instid0(VALU_DEP_4) | instskip(NEXT) | instid1(VALU_DEP_4)
	v_pk_mul_f32 v[26:27], v[20:21], v[26:27] op_sel_hi:[0,1]
	v_cvt_pk_f16_f32 v3, v22, v23
	s_delay_alu instid0(VALU_DEP_4) | instskip(NEXT) | instid1(VALU_DEP_4)
	v_and_b32_e32 v21, 0xffff0000, v1
	v_cvt_pk_f16_f32 v12, v24, v25
	v_lshlrev_b32_e32 v22, 16, v1
	v_cvt_pk_f16_f32 v20, v26, v27
	v_lshrrev_b32_e32 v27, 16, v3
	v_and_b32_e32 v28, 0xffff, v3
	v_and_b32_e32 v1, 0xffff0000, v12
	s_delay_alu instid0(VALU_DEP_3) | instskip(SKIP_3) | instid1(VALU_DEP_2)
	v_dual_lshlrev_b32 v12, 16, v12 :: v_dual_bitop2_b32 v25, v21, v27 bitop3:0x54
	v_lshrrev_b32_e32 v3, 16, v20
	v_and_b32_e32 v20, 0xffff, v20
	v_or_b32_e32 v26, v22, v28
	v_or_b32_e32 v24, v12, v20
	s_delay_alu instid0(VALU_DEP_4)
	v_or_b32_e32 v23, v1, v3
	s_and_saveexec_b32 s23, vcc_lo
	s_cbranch_execz .LBB242_958
; %bb.957:                              ;   in Loop: Header=BB242_561 Depth=1
	v_cmp_gt_i32_e64 s0, s18, v2
	s_delay_alu instid0(VALU_DEP_1) | instskip(SKIP_1) | instid1(VALU_DEP_1)
	v_cndmask_b32_e64 v23, 0, v27, s0
	v_cmp_gt_i32_e64 s0, s34, v39
	v_cndmask_b32_e64 v24, 0, v28, s0
	v_cmp_gt_i32_e64 s0, s18, v38
	s_delay_alu instid0(VALU_DEP_1) | instskip(SKIP_1) | instid1(VALU_DEP_1)
	v_cndmask_b32_e64 v21, 0, v21, s0
	v_cmp_gt_i32_e64 s0, s34, v37
	v_cndmask_b32_e64 v22, 0, v22, s0
	v_cmp_gt_i32_e64 s0, s18, v36
	s_delay_alu instid0(VALU_DEP_4) | instskip(NEXT) | instid1(VALU_DEP_2)
	v_or_b32_e32 v25, v21, v23
	v_dual_cndmask_b32 v3, 0, v3, s0 :: v_dual_bitop2_b32 v26, v22, v24 bitop3:0x54
	v_cmp_gt_i32_e64 s0, s34, v35
	s_delay_alu instid0(VALU_DEP_1) | instskip(SKIP_1) | instid1(VALU_DEP_1)
	v_cndmask_b32_e64 v20, 0, v20, s0
	v_cmp_gt_i32_e64 s0, s18, v34
	v_cndmask_b32_e64 v1, 0, v1, s0
	v_cmp_gt_i32_e64 s0, s34, v33
	s_delay_alu instid0(VALU_DEP_1) | instskip(NEXT) | instid1(VALU_DEP_1)
	v_dual_cndmask_b32 v12, 0, v12, s0 :: v_dual_bitop2_b32 v23, v1, v3 bitop3:0x54
	v_or_b32_e32 v24, v12, v20
.LBB242_958:                            ;   in Loop: Header=BB242_561 Depth=1
	s_or_b32 exec_lo, exec_lo, s23
	;;#ASMSTART
	v_pk_mul_f16 v1, v46, v25;

	;;#ASMEND
	;;#ASMSTART
	v_pk_mul_f16 v3, v44, v26;

	;;#ASMEND
	;; [unrolled: 4-line block ×4, first 2 shown]
	;;#ASMSTART
	v_pk_add_f16 v1, v1, v3;

	;;#ASMEND
	;;#ASMSTART
	v_pk_add_f16 v1, v1, v12;

	;;#ASMEND
	;; [unrolled: 4-line block ×3, first 2 shown]
	v_and_b32_e32 v3, 0xffff, v1
	v_lshrrev_b32_e32 v1, 16, v1
	;;#ASMSTART
	v_cvt_f32_f16 v56, v3;
	;;#ASMEND
	v_mov_b32_e32 v3, 0
	;;#ASMSTART
	v_cvt_f32_f16 v57, v1;
	;;#ASMEND
	global_load_b64 v[22:23], v[18:19], off offset:1536
	v_mov_b32_e32 v1, 0
	s_mov_b32 s23, exec_lo
	global_load_b32 v20, v1, s[10:11]
	s_wait_loadcnt 0x1
	v_and_b32_e32 v12, 0xff, v22
	s_wait_xcnt 0x0
	s_delay_alu instid0(VALU_DEP_1)
	v_cmpx_ne_u16_e32 0, v12
	s_cbranch_execz .LBB242_966
; %bb.959:                              ;   in Loop: Header=BB242_561 Depth=1
	v_mov_b32_e32 v3, 0x8000
	s_mov_b32 s24, exec_lo
	v_cmpx_ne_u16_e32 0x80, v12
	s_cbranch_execz .LBB242_965
; %bb.960:                              ;   in Loop: Header=BB242_561 Depth=1
	v_and_b32_e32 v21, 0x7f, v22
	v_mov_b32_e32 v3, 0x7c01
	s_mov_b32 s25, exec_lo
	s_delay_alu instid0(VALU_DEP_2)
	v_cmpx_ne_u32_e32 0x7f, v21
	s_cbranch_execz .LBB242_964
; %bb.961:                              ;   in Loop: Header=BB242_561 Depth=1
	v_dual_lshrrev_b32 v12, 3, v21 :: v_dual_bitop2_b32 v3, 7, v22 bitop3:0x40
	s_mov_b32 s26, exec_lo
	v_cmpx_gt_u32_e32 8, v21
; %bb.962:                              ;   in Loop: Header=BB242_561 Depth=1
	s_delay_alu instid0(VALU_DEP_2) | instskip(NEXT) | instid1(VALU_DEP_1)
	v_clz_i32_u32_e32 v3, v3
	v_min_u32_e32 v3, 32, v3
	s_delay_alu instid0(VALU_DEP_1) | instskip(NEXT) | instid1(VALU_DEP_1)
	v_subrev_nc_u32_e32 v12, 28, v3
	v_lshlrev_b64_e32 v[24:25], v12, v[22:23]
	s_delay_alu instid0(VALU_DEP_1)
	v_dual_sub_nc_u32 v12, 29, v3 :: v_dual_bitop2_b32 v3, 7, v24 bitop3:0x40
; %bb.963:                              ;   in Loop: Header=BB242_561 Depth=1
	s_or_b32 exec_lo, exec_lo, s26
	s_delay_alu instid0(VALU_DEP_1) | instskip(NEXT) | instid1(VALU_DEP_2)
	v_dual_lshlrev_b32 v21, 8, v22 :: v_dual_lshlrev_b32 v3, 7, v3
	v_lshl_add_u32 v12, v12, 10, 0x2000
	s_delay_alu instid0(VALU_DEP_2) | instskip(NEXT) | instid1(VALU_DEP_2)
	v_and_b32_e32 v21, 0x8000, v21
	v_and_b32_e32 v12, 0xfc00, v12
	s_delay_alu instid0(VALU_DEP_1)
	v_or3_b32 v3, v21, v12, v3
.LBB242_964:                            ;   in Loop: Header=BB242_561 Depth=1
	s_or_b32 exec_lo, exec_lo, s25
.LBB242_965:                            ;   in Loop: Header=BB242_561 Depth=1
	s_delay_alu instid0(SALU_CYCLE_1)
	s_or_b32 exec_lo, exec_lo, s24
.LBB242_966:                            ;   in Loop: Header=BB242_561 Depth=1
	s_delay_alu instid0(SALU_CYCLE_1) | instskip(SKIP_2) | instid1(VALU_DEP_1)
	s_or_b32 exec_lo, exec_lo, s23
	v_lshrrev_b16 v12, 8, v22
	s_mov_b32 s23, exec_lo
	v_cmpx_ne_u16_e32 0, v12
	s_cbranch_execz .LBB242_974
; %bb.967:                              ;   in Loop: Header=BB242_561 Depth=1
	v_bfrev_b32_e32 v1, 1
	s_mov_b32 s24, exec_lo
	v_cmpx_ne_u16_e32 0x80, v12
	s_cbranch_execz .LBB242_973
; %bb.968:                              ;   in Loop: Header=BB242_561 Depth=1
	v_and_b32_e32 v21, 0xffff, v12
	v_mov_b32_e32 v1, 0x7c010000
	s_mov_b32 s25, exec_lo
	s_delay_alu instid0(VALU_DEP_2) | instskip(NEXT) | instid1(VALU_DEP_1)
	v_and_b32_e32 v25, 0x7f, v21
	v_cmpx_ne_u32_e32 0x7f, v25
	s_cbranch_execz .LBB242_972
; %bb.969:                              ;   in Loop: Header=BB242_561 Depth=1
	v_and_b32_e32 v1, 7, v21
	v_lshrrev_b32_e32 v24, 3, v25
	s_mov_b32 s26, exec_lo
	v_cmpx_gt_u32_e32 8, v25
; %bb.970:                              ;   in Loop: Header=BB242_561 Depth=1
	s_delay_alu instid0(VALU_DEP_3) | instskip(NEXT) | instid1(VALU_DEP_1)
	v_clz_i32_u32_e32 v1, v1
	v_min_u32_e32 v1, 32, v1
	s_delay_alu instid0(VALU_DEP_1) | instskip(NEXT) | instid1(VALU_DEP_1)
	v_subrev_nc_u32_e32 v24, 28, v1
	v_lshlrev_b64_e32 v[26:27], v24, v[12:13]
	s_delay_alu instid0(VALU_DEP_1)
	v_dual_sub_nc_u32 v24, 29, v1 :: v_dual_bitop2_b32 v1, 7, v26 bitop3:0x40
; %bb.971:                              ;   in Loop: Header=BB242_561 Depth=1
	s_or_b32 exec_lo, exec_lo, s26
	v_lshlrev_b32_e32 v12, 8, v21
	s_delay_alu instid0(VALU_DEP_2) | instskip(NEXT) | instid1(VALU_DEP_3)
	v_lshl_add_u32 v21, v24, 10, 0x2000
	v_lshlrev_b32_e32 v1, 23, v1
	s_delay_alu instid0(VALU_DEP_2) | instskip(NEXT) | instid1(VALU_DEP_1)
	v_and_or_b32 v12, 0x8000, v12, v21
	v_lshl_or_b32 v1, v12, 16, v1
.LBB242_972:                            ;   in Loop: Header=BB242_561 Depth=1
	s_or_b32 exec_lo, exec_lo, s25
.LBB242_973:                            ;   in Loop: Header=BB242_561 Depth=1
	s_delay_alu instid0(SALU_CYCLE_1)
	s_or_b32 exec_lo, exec_lo, s24
.LBB242_974:                            ;   in Loop: Header=BB242_561 Depth=1
	s_delay_alu instid0(SALU_CYCLE_1) | instskip(SKIP_3) | instid1(VALU_DEP_2)
	s_or_b32 exec_lo, exec_lo, s23
	v_dual_mov_b32 v21, 0 :: v_dual_lshrrev_b32 v12, 16, v22
	v_mov_b32_e32 v24, 0
	s_mov_b32 s23, exec_lo
	v_and_b32_e32 v25, 0xff, v12
	s_delay_alu instid0(VALU_DEP_1)
	v_cmpx_ne_u16_e32 0, v25
	s_cbranch_execz .LBB242_982
; %bb.975:                              ;   in Loop: Header=BB242_561 Depth=1
	v_mov_b32_e32 v24, 0x8000
	s_mov_b32 s24, exec_lo
	v_cmpx_ne_u16_e32 0x80, v25
	s_cbranch_execz .LBB242_981
; %bb.976:                              ;   in Loop: Header=BB242_561 Depth=1
	v_bfe_u32 v26, v22, 16, 7
	v_mov_b32_e32 v24, 0x7c01
	s_mov_b32 s25, exec_lo
	s_delay_alu instid0(VALU_DEP_2)
	v_cmpx_ne_u32_e32 0x7f, v26
	s_cbranch_execz .LBB242_980
; %bb.977:                              ;   in Loop: Header=BB242_561 Depth=1
	v_dual_lshrrev_b32 v25, 3, v26 :: v_dual_bitop2_b32 v24, 7, v12 bitop3:0x40
	s_mov_b32 s26, exec_lo
	v_cmpx_gt_u32_e32 8, v26
; %bb.978:                              ;   in Loop: Header=BB242_561 Depth=1
	s_delay_alu instid0(VALU_DEP_2) | instskip(NEXT) | instid1(VALU_DEP_1)
	v_clz_i32_u32_e32 v24, v24
	v_min_u32_e32 v26, 32, v24
	s_delay_alu instid0(VALU_DEP_1) | instskip(NEXT) | instid1(VALU_DEP_1)
	v_subrev_nc_u32_e32 v24, 28, v26
	v_lshlrev_b64_e32 v[24:25], v24, v[12:13]
	s_delay_alu instid0(VALU_DEP_1)
	v_dual_sub_nc_u32 v25, 29, v26 :: v_dual_bitop2_b32 v24, 7, v24 bitop3:0x40
; %bb.979:                              ;   in Loop: Header=BB242_561 Depth=1
	s_or_b32 exec_lo, exec_lo, s26
	v_lshlrev_b32_e32 v12, 8, v12
	s_delay_alu instid0(VALU_DEP_2) | instskip(NEXT) | instid1(VALU_DEP_3)
	v_lshl_add_u32 v25, v25, 10, 0x2000
	v_lshlrev_b32_e32 v24, 7, v24
	s_delay_alu instid0(VALU_DEP_3) | instskip(NEXT) | instid1(VALU_DEP_3)
	v_and_b32_e32 v12, 0x8000, v12
	v_and_b32_e32 v25, 0xfc00, v25
	s_delay_alu instid0(VALU_DEP_1)
	v_or3_b32 v24, v12, v25, v24
.LBB242_980:                            ;   in Loop: Header=BB242_561 Depth=1
	s_or_b32 exec_lo, exec_lo, s25
.LBB242_981:                            ;   in Loop: Header=BB242_561 Depth=1
	s_delay_alu instid0(SALU_CYCLE_1)
	s_or_b32 exec_lo, exec_lo, s24
.LBB242_982:                            ;   in Loop: Header=BB242_561 Depth=1
	s_delay_alu instid0(SALU_CYCLE_1) | instskip(NEXT) | instid1(SALU_CYCLE_1)
	s_or_b32 exec_lo, exec_lo, s23
	s_mov_b32 s23, exec_lo
	v_cmpx_lt_u32_e32 0xffffff, v22
	s_cbranch_execz .LBB242_990
; %bb.983:                              ;   in Loop: Header=BB242_561 Depth=1
	v_lshrrev_b32_e32 v12, 24, v22
	v_bfrev_b32_e32 v21, 1
	s_mov_b32 s24, exec_lo
	s_delay_alu instid0(VALU_DEP_2)
	v_cmpx_ne_u32_e32 0x80, v12
	s_cbranch_execz .LBB242_989
; %bb.984:                              ;   in Loop: Header=BB242_561 Depth=1
	v_and_b32_e32 v26, 0x7f, v12
	v_mov_b32_e32 v21, 0x7c010000
	s_mov_b32 s25, exec_lo
	s_delay_alu instid0(VALU_DEP_2)
	v_cmpx_ne_u32_e32 0x7f, v26
	s_cbranch_execz .LBB242_988
; %bb.985:                              ;   in Loop: Header=BB242_561 Depth=1
	v_dual_lshrrev_b32 v25, 3, v26 :: v_dual_bitop2_b32 v21, 7, v12 bitop3:0x40
	s_mov_b32 s26, exec_lo
	v_cmpx_gt_u32_e32 8, v26
; %bb.986:                              ;   in Loop: Header=BB242_561 Depth=1
	s_delay_alu instid0(VALU_DEP_2) | instskip(NEXT) | instid1(VALU_DEP_1)
	v_clz_i32_u32_e32 v21, v21
	v_min_u32_e32 v21, 32, v21
	s_delay_alu instid0(VALU_DEP_1) | instskip(NEXT) | instid1(VALU_DEP_1)
	v_subrev_nc_u32_e32 v25, 28, v21
	v_lshlrev_b64_e32 v[26:27], v25, v[12:13]
	s_delay_alu instid0(VALU_DEP_1)
	v_dual_sub_nc_u32 v25, 29, v21 :: v_dual_bitop2_b32 v21, 7, v26 bitop3:0x40
; %bb.987:                              ;   in Loop: Header=BB242_561 Depth=1
	s_or_b32 exec_lo, exec_lo, s26
	s_delay_alu instid0(VALU_DEP_1) | instskip(NEXT) | instid1(VALU_DEP_2)
	v_dual_lshlrev_b32 v12, 8, v12 :: v_dual_lshlrev_b32 v21, 23, v21
	v_lshl_add_u32 v25, v25, 10, 0x2000
	s_delay_alu instid0(VALU_DEP_1) | instskip(NEXT) | instid1(VALU_DEP_1)
	v_and_or_b32 v12, 0x8000, v12, v25
	v_lshl_or_b32 v21, v12, 16, v21
.LBB242_988:                            ;   in Loop: Header=BB242_561 Depth=1
	s_or_b32 exec_lo, exec_lo, s25
.LBB242_989:                            ;   in Loop: Header=BB242_561 Depth=1
	s_delay_alu instid0(SALU_CYCLE_1)
	s_or_b32 exec_lo, exec_lo, s24
.LBB242_990:                            ;   in Loop: Header=BB242_561 Depth=1
	s_delay_alu instid0(SALU_CYCLE_1) | instskip(SKIP_4) | instid1(VALU_DEP_3)
	s_or_b32 exec_lo, exec_lo, s23
	v_and_b32_e32 v27, 0xff, v23
	v_dual_mov_b32 v12, v23 :: v_dual_mov_b32 v26, 0
	v_mov_b32_e32 v25, 0
	s_mov_b32 s23, exec_lo
	v_cmpx_ne_u16_e32 0, v27
	s_cbranch_execz .LBB242_998
; %bb.991:                              ;   in Loop: Header=BB242_561 Depth=1
	v_mov_b32_e32 v25, 0x8000
	s_mov_b32 s24, exec_lo
	v_cmpx_ne_u16_e32 0x80, v27
	s_cbranch_execz .LBB242_997
; %bb.992:                              ;   in Loop: Header=BB242_561 Depth=1
	v_and_b32_e32 v28, 0x7f, v23
	v_mov_b32_e32 v25, 0x7c01
	s_mov_b32 s25, exec_lo
	s_delay_alu instid0(VALU_DEP_2)
	v_cmpx_ne_u32_e32 0x7f, v28
	s_cbranch_execz .LBB242_996
; %bb.993:                              ;   in Loop: Header=BB242_561 Depth=1
	v_dual_lshrrev_b32 v27, 3, v28 :: v_dual_bitop2_b32 v25, 7, v23 bitop3:0x40
	s_mov_b32 s26, exec_lo
	v_cmpx_gt_u32_e32 8, v28
; %bb.994:                              ;   in Loop: Header=BB242_561 Depth=1
	s_delay_alu instid0(VALU_DEP_2) | instskip(NEXT) | instid1(VALU_DEP_1)
	v_clz_i32_u32_e32 v25, v25
	v_min_u32_e32 v25, 32, v25
	s_delay_alu instid0(VALU_DEP_1) | instskip(NEXT) | instid1(VALU_DEP_1)
	v_subrev_nc_u32_e32 v27, 28, v25
	v_lshlrev_b64_e32 v[40:41], v27, v[12:13]
	s_delay_alu instid0(VALU_DEP_1)
	v_dual_sub_nc_u32 v27, 29, v25 :: v_dual_bitop2_b32 v25, 7, v40 bitop3:0x40
; %bb.995:                              ;   in Loop: Header=BB242_561 Depth=1
	s_or_b32 exec_lo, exec_lo, s26
	s_delay_alu instid0(VALU_DEP_1) | instskip(NEXT) | instid1(VALU_DEP_2)
	v_dual_lshlrev_b32 v28, 8, v23 :: v_dual_lshlrev_b32 v25, 7, v25
	v_lshl_add_u32 v27, v27, 10, 0x2000
	s_delay_alu instid0(VALU_DEP_2) | instskip(NEXT) | instid1(VALU_DEP_2)
	v_and_b32_e32 v28, 0x8000, v28
	v_and_b32_e32 v27, 0xfc00, v27
	s_delay_alu instid0(VALU_DEP_1)
	v_or3_b32 v25, v28, v27, v25
.LBB242_996:                            ;   in Loop: Header=BB242_561 Depth=1
	s_or_b32 exec_lo, exec_lo, s25
.LBB242_997:                            ;   in Loop: Header=BB242_561 Depth=1
	s_delay_alu instid0(SALU_CYCLE_1)
	s_or_b32 exec_lo, exec_lo, s24
.LBB242_998:                            ;   in Loop: Header=BB242_561 Depth=1
	s_delay_alu instid0(SALU_CYCLE_1) | instskip(SKIP_3) | instid1(VALU_DEP_2)
	s_or_b32 exec_lo, exec_lo, s23
	v_lshrrev_b16 v12, 8, v12
	v_mov_b32_e32 v27, 0
	s_mov_b32 s23, exec_lo
	v_cmpx_ne_u16_e32 0, v12
	s_cbranch_execz .LBB242_1006
; %bb.999:                              ;   in Loop: Header=BB242_561 Depth=1
	v_bfrev_b32_e32 v27, 1
	s_mov_b32 s24, exec_lo
	v_cmpx_ne_u16_e32 0x80, v12
	s_cbranch_execz .LBB242_1005
; %bb.1000:                             ;   in Loop: Header=BB242_561 Depth=1
	v_and_b32_e32 v28, 0xffff, v12
	v_mov_b32_e32 v27, 0x7c010000
	s_mov_b32 s25, exec_lo
	s_delay_alu instid0(VALU_DEP_2) | instskip(NEXT) | instid1(VALU_DEP_1)
	v_and_b32_e32 v41, 0x7f, v28
	v_cmpx_ne_u32_e32 0x7f, v41
	s_cbranch_execz .LBB242_1004
; %bb.1001:                             ;   in Loop: Header=BB242_561 Depth=1
	v_dual_lshrrev_b32 v40, 3, v41 :: v_dual_bitop2_b32 v27, 7, v28 bitop3:0x40
	s_mov_b32 s26, exec_lo
	v_cmpx_gt_u32_e32 8, v41
; %bb.1002:                             ;   in Loop: Header=BB242_561 Depth=1
	s_delay_alu instid0(VALU_DEP_2) | instskip(NEXT) | instid1(VALU_DEP_1)
	v_clz_i32_u32_e32 v27, v27
	v_min_u32_e32 v27, 32, v27
	s_delay_alu instid0(VALU_DEP_1) | instskip(NEXT) | instid1(VALU_DEP_1)
	v_subrev_nc_u32_e32 v40, 28, v27
	v_lshlrev_b64_e32 v[58:59], v40, v[12:13]
	s_delay_alu instid0(VALU_DEP_1)
	v_dual_sub_nc_u32 v40, 29, v27 :: v_dual_bitop2_b32 v27, 7, v58 bitop3:0x40
; %bb.1003:                             ;   in Loop: Header=BB242_561 Depth=1
	s_or_b32 exec_lo, exec_lo, s26
	s_delay_alu instid0(VALU_DEP_1) | instskip(NEXT) | instid1(VALU_DEP_2)
	v_dual_lshlrev_b32 v12, 8, v28 :: v_dual_lshlrev_b32 v27, 23, v27
	v_lshl_add_u32 v28, v40, 10, 0x2000
	s_delay_alu instid0(VALU_DEP_1) | instskip(NEXT) | instid1(VALU_DEP_1)
	v_and_or_b32 v12, 0x8000, v12, v28
	v_lshl_or_b32 v27, v12, 16, v27
.LBB242_1004:                           ;   in Loop: Header=BB242_561 Depth=1
	s_or_b32 exec_lo, exec_lo, s25
.LBB242_1005:                           ;   in Loop: Header=BB242_561 Depth=1
	s_delay_alu instid0(SALU_CYCLE_1)
	s_or_b32 exec_lo, exec_lo, s24
.LBB242_1006:                           ;   in Loop: Header=BB242_561 Depth=1
	s_delay_alu instid0(SALU_CYCLE_1) | instskip(SKIP_2) | instid1(VALU_DEP_1)
	s_or_b32 exec_lo, exec_lo, s23
	v_lshrrev_b32_e32 v12, 16, v23
	s_mov_b32 s23, exec_lo
	v_and_b32_e32 v28, 0xff, v12
	s_delay_alu instid0(VALU_DEP_1)
	v_cmpx_ne_u16_e32 0, v28
	s_cbranch_execz .LBB242_1014
; %bb.1007:                             ;   in Loop: Header=BB242_561 Depth=1
	v_mov_b32_e32 v26, 0x8000
	s_mov_b32 s24, exec_lo
	v_cmpx_ne_u16_e32 0x80, v28
	s_cbranch_execz .LBB242_1013
; %bb.1008:                             ;   in Loop: Header=BB242_561 Depth=1
	v_bfe_u32 v40, v23, 16, 7
	v_mov_b32_e32 v26, 0x7c01
	s_mov_b32 s25, exec_lo
	s_delay_alu instid0(VALU_DEP_2)
	v_cmpx_ne_u32_e32 0x7f, v40
	s_cbranch_execz .LBB242_1012
; %bb.1009:                             ;   in Loop: Header=BB242_561 Depth=1
	v_and_b32_e32 v26, 7, v12
	v_lshrrev_b32_e32 v28, 3, v40
	s_mov_b32 s26, exec_lo
	v_cmpx_gt_u32_e32 8, v40
; %bb.1010:                             ;   in Loop: Header=BB242_561 Depth=1
	s_delay_alu instid0(VALU_DEP_3) | instskip(NEXT) | instid1(VALU_DEP_1)
	v_clz_i32_u32_e32 v26, v26
	v_min_u32_e32 v26, 32, v26
	s_delay_alu instid0(VALU_DEP_1) | instskip(NEXT) | instid1(VALU_DEP_1)
	v_subrev_nc_u32_e32 v28, 28, v26
	v_lshlrev_b64_e32 v[40:41], v28, v[12:13]
	s_delay_alu instid0(VALU_DEP_1)
	v_dual_sub_nc_u32 v28, 29, v26 :: v_dual_bitop2_b32 v26, 7, v40 bitop3:0x40
; %bb.1011:                             ;   in Loop: Header=BB242_561 Depth=1
	s_or_b32 exec_lo, exec_lo, s26
	s_delay_alu instid0(VALU_DEP_1) | instskip(NEXT) | instid1(VALU_DEP_2)
	v_dual_lshlrev_b32 v12, 8, v12 :: v_dual_lshlrev_b32 v26, 7, v26
	v_lshl_add_u32 v28, v28, 10, 0x2000
	s_delay_alu instid0(VALU_DEP_2) | instskip(NEXT) | instid1(VALU_DEP_2)
	v_and_b32_e32 v12, 0x8000, v12
	v_and_b32_e32 v28, 0xfc00, v28
	s_delay_alu instid0(VALU_DEP_1)
	v_or3_b32 v26, v12, v28, v26
.LBB242_1012:                           ;   in Loop: Header=BB242_561 Depth=1
	s_or_b32 exec_lo, exec_lo, s25
.LBB242_1013:                           ;   in Loop: Header=BB242_561 Depth=1
	s_delay_alu instid0(SALU_CYCLE_1)
	s_or_b32 exec_lo, exec_lo, s24
.LBB242_1014:                           ;   in Loop: Header=BB242_561 Depth=1
	s_delay_alu instid0(SALU_CYCLE_1)
	s_or_b32 exec_lo, exec_lo, s23
	v_cmp_lt_u64_e64 s0, s[8:9], v[22:23]
	v_mov_b32_e32 v22, 0
	s_and_saveexec_b32 s23, s0
	s_cbranch_execz .LBB242_1022
; %bb.1015:                             ;   in Loop: Header=BB242_561 Depth=1
	v_lshrrev_b32_e32 v12, 24, v23
	v_bfrev_b32_e32 v22, 1
	s_mov_b32 s24, exec_lo
	s_delay_alu instid0(VALU_DEP_2)
	v_cmpx_ne_u32_e32 0x80, v12
	s_cbranch_execz .LBB242_1021
; %bb.1016:                             ;   in Loop: Header=BB242_561 Depth=1
	v_and_b32_e32 v28, 0x7f, v12
	v_mov_b32_e32 v22, 0x7c010000
	s_mov_b32 s25, exec_lo
	s_delay_alu instid0(VALU_DEP_2)
	v_cmpx_ne_u32_e32 0x7f, v28
	s_cbranch_execz .LBB242_1020
; %bb.1017:                             ;   in Loop: Header=BB242_561 Depth=1
	v_and_b32_e32 v22, 7, v12
	v_lshrrev_b32_e32 v23, 3, v28
	s_mov_b32 s26, exec_lo
	v_cmpx_gt_u32_e32 8, v28
; %bb.1018:                             ;   in Loop: Header=BB242_561 Depth=1
	s_delay_alu instid0(VALU_DEP_3) | instskip(NEXT) | instid1(VALU_DEP_1)
	v_clz_i32_u32_e32 v22, v22
	v_min_u32_e32 v28, 32, v22
	s_delay_alu instid0(VALU_DEP_1) | instskip(NEXT) | instid1(VALU_DEP_1)
	v_subrev_nc_u32_e32 v22, 28, v28
	v_lshlrev_b64_e32 v[22:23], v22, v[12:13]
	s_delay_alu instid0(VALU_DEP_1)
	v_dual_sub_nc_u32 v23, 29, v28 :: v_dual_bitop2_b32 v22, 7, v22 bitop3:0x40
; %bb.1019:                             ;   in Loop: Header=BB242_561 Depth=1
	s_or_b32 exec_lo, exec_lo, s26
	s_delay_alu instid0(VALU_DEP_1) | instskip(NEXT) | instid1(VALU_DEP_2)
	v_dual_lshlrev_b32 v12, 8, v12 :: v_dual_lshlrev_b32 v22, 23, v22
	v_lshl_add_u32 v23, v23, 10, 0x2000
	s_delay_alu instid0(VALU_DEP_1) | instskip(NEXT) | instid1(VALU_DEP_1)
	v_and_or_b32 v12, 0x8000, v12, v23
	v_lshl_or_b32 v22, v12, 16, v22
.LBB242_1020:                           ;   in Loop: Header=BB242_561 Depth=1
	s_or_b32 exec_lo, exec_lo, s25
.LBB242_1021:                           ;   in Loop: Header=BB242_561 Depth=1
	s_delay_alu instid0(SALU_CYCLE_1)
	s_or_b32 exec_lo, exec_lo, s24
.LBB242_1022:                           ;   in Loop: Header=BB242_561 Depth=1
	s_delay_alu instid0(SALU_CYCLE_1) | instskip(SKIP_3) | instid1(VALU_DEP_3)
	s_or_b32 exec_lo, exec_lo, s23
	v_dual_lshrrev_b32 v12, 16, v1 :: v_dual_bitop2_b32 v1, v1, v3 bitop3:0x54
	v_dual_lshrrev_b32 v23, 16, v21 :: v_dual_bitop2_b32 v3, v21, v24 bitop3:0x54
	v_lshrrev_b32_e32 v24, 16, v22
	v_cvt_f32_f16_e32 v41, v12
	v_dual_lshrrev_b32 v21, 16, v27 :: v_dual_bitop2_b32 v12, v22, v26 bitop3:0x54
	s_delay_alu instid0(VALU_DEP_4)
	v_cvt_f32_f16_e32 v40, v23
	v_cvt_f32_f16_e32 v22, v3
	v_or_b32_e32 v3, v27, v25
	v_cvt_f32_f16_e32 v23, v1
	v_cvt_f32_f16_e32 v25, v21
	s_wait_loadcnt 0x0
	v_pk_mul_f32 v[40:41], v[20:21], v[40:41] op_sel_hi:[0,1]
	v_cvt_f32_f16_e32 v24, v24
	v_cvt_f32_f16_e32 v26, v12
	;; [unrolled: 1-line block ×3, first 2 shown]
	v_pk_mul_f32 v[22:23], v[20:21], v[22:23] op_sel_hi:[0,1]
	v_cvt_pk_f16_f32 v1, v40, v41
	v_pk_mul_f32 v[24:25], v[20:21], v[24:25] op_sel_hi:[0,1]
	s_delay_alu instid0(VALU_DEP_4) | instskip(NEXT) | instid1(VALU_DEP_4)
	v_pk_mul_f32 v[26:27], v[20:21], v[26:27] op_sel_hi:[0,1]
	v_cvt_pk_f16_f32 v3, v22, v23
	s_delay_alu instid0(VALU_DEP_4) | instskip(NEXT) | instid1(VALU_DEP_4)
	v_and_b32_e32 v21, 0xffff0000, v1
	v_cvt_pk_f16_f32 v12, v24, v25
	v_lshlrev_b32_e32 v22, 16, v1
	v_cvt_pk_f16_f32 v20, v26, v27
	v_lshrrev_b32_e32 v27, 16, v3
	v_and_b32_e32 v28, 0xffff, v3
	v_and_b32_e32 v1, 0xffff0000, v12
	s_delay_alu instid0(VALU_DEP_3) | instskip(SKIP_3) | instid1(VALU_DEP_2)
	v_dual_lshlrev_b32 v12, 16, v12 :: v_dual_bitop2_b32 v25, v21, v27 bitop3:0x54
	v_lshrrev_b32_e32 v3, 16, v20
	v_and_b32_e32 v20, 0xffff, v20
	v_or_b32_e32 v26, v22, v28
	v_or_b32_e32 v24, v12, v20
	s_delay_alu instid0(VALU_DEP_4)
	v_or_b32_e32 v23, v1, v3
	s_and_saveexec_b32 s23, vcc_lo
	s_cbranch_execz .LBB242_1024
; %bb.1023:                             ;   in Loop: Header=BB242_561 Depth=1
	v_cmp_gt_i32_e64 s0, s18, v2
	s_delay_alu instid0(VALU_DEP_1) | instskip(SKIP_1) | instid1(VALU_DEP_1)
	v_cndmask_b32_e64 v23, 0, v27, s0
	v_cmp_gt_i32_e64 s0, s34, v39
	v_cndmask_b32_e64 v24, 0, v28, s0
	v_cmp_gt_i32_e64 s0, s18, v38
	s_delay_alu instid0(VALU_DEP_1) | instskip(SKIP_1) | instid1(VALU_DEP_1)
	v_cndmask_b32_e64 v21, 0, v21, s0
	v_cmp_gt_i32_e64 s0, s34, v37
	v_cndmask_b32_e64 v22, 0, v22, s0
	v_cmp_gt_i32_e64 s0, s18, v36
	s_delay_alu instid0(VALU_DEP_4) | instskip(NEXT) | instid1(VALU_DEP_2)
	v_or_b32_e32 v25, v21, v23
	v_dual_cndmask_b32 v3, 0, v3, s0 :: v_dual_bitop2_b32 v26, v22, v24 bitop3:0x54
	v_cmp_gt_i32_e64 s0, s34, v35
	s_delay_alu instid0(VALU_DEP_1) | instskip(SKIP_1) | instid1(VALU_DEP_1)
	v_cndmask_b32_e64 v20, 0, v20, s0
	v_cmp_gt_i32_e64 s0, s18, v34
	v_cndmask_b32_e64 v1, 0, v1, s0
	v_cmp_gt_i32_e64 s0, s34, v33
	s_delay_alu instid0(VALU_DEP_1) | instskip(NEXT) | instid1(VALU_DEP_1)
	v_dual_cndmask_b32 v12, 0, v12, s0 :: v_dual_bitop2_b32 v23, v1, v3 bitop3:0x54
	v_or_b32_e32 v24, v12, v20
.LBB242_1024:                           ;   in Loop: Header=BB242_561 Depth=1
	s_or_b32 exec_lo, exec_lo, s23
	;;#ASMSTART
	v_pk_mul_f16 v1, v46, v25;

	;;#ASMEND
	;;#ASMSTART
	v_pk_mul_f16 v3, v44, v26;

	;;#ASMEND
	;; [unrolled: 4-line block ×4, first 2 shown]
	;;#ASMSTART
	v_pk_add_f16 v1, v1, v3;

	;;#ASMEND
	;;#ASMSTART
	v_pk_add_f16 v1, v1, v12;

	;;#ASMEND
	;;#ASMSTART
	v_pk_add_f16 v1, v1, v20;

	;;#ASMEND
	v_and_b32_e32 v3, 0xffff, v1
	v_lshrrev_b32_e32 v1, 16, v1
	;;#ASMSTART
	v_cvt_f32_f16 v40, v3;
	;;#ASMEND
	v_mov_b32_e32 v3, 0
	;;#ASMSTART
	v_cvt_f32_f16 v41, v1;
	;;#ASMEND
	global_load_b64 v[20:21], v[18:19], off offset:1792
	v_mov_b32_e32 v1, 0
	s_mov_b32 s23, exec_lo
	global_load_b32 v18, v1, s[10:11]
	s_wait_loadcnt 0x1
	v_and_b32_e32 v12, 0xff, v20
	s_wait_xcnt 0x0
	s_delay_alu instid0(VALU_DEP_1)
	v_cmpx_ne_u16_e32 0, v12
	s_cbranch_execz .LBB242_1032
; %bb.1025:                             ;   in Loop: Header=BB242_561 Depth=1
	v_mov_b32_e32 v3, 0x8000
	s_mov_b32 s24, exec_lo
	v_cmpx_ne_u16_e32 0x80, v12
	s_cbranch_execz .LBB242_1031
; %bb.1026:                             ;   in Loop: Header=BB242_561 Depth=1
	v_and_b32_e32 v19, 0x7f, v20
	v_mov_b32_e32 v3, 0x7c01
	s_mov_b32 s25, exec_lo
	s_delay_alu instid0(VALU_DEP_2)
	v_cmpx_ne_u32_e32 0x7f, v19
	s_cbranch_execz .LBB242_1030
; %bb.1027:                             ;   in Loop: Header=BB242_561 Depth=1
	v_dual_lshrrev_b32 v12, 3, v19 :: v_dual_bitop2_b32 v3, 7, v20 bitop3:0x40
	s_mov_b32 s26, exec_lo
	v_cmpx_gt_u32_e32 8, v19
; %bb.1028:                             ;   in Loop: Header=BB242_561 Depth=1
	s_delay_alu instid0(VALU_DEP_2) | instskip(NEXT) | instid1(VALU_DEP_1)
	v_clz_i32_u32_e32 v3, v3
	v_min_u32_e32 v3, 32, v3
	s_delay_alu instid0(VALU_DEP_1) | instskip(NEXT) | instid1(VALU_DEP_1)
	v_subrev_nc_u32_e32 v12, 28, v3
	v_lshlrev_b64_e32 v[22:23], v12, v[20:21]
	s_delay_alu instid0(VALU_DEP_1)
	v_dual_sub_nc_u32 v12, 29, v3 :: v_dual_bitop2_b32 v3, 7, v22 bitop3:0x40
; %bb.1029:                             ;   in Loop: Header=BB242_561 Depth=1
	s_or_b32 exec_lo, exec_lo, s26
	s_delay_alu instid0(VALU_DEP_1) | instskip(NEXT) | instid1(VALU_DEP_2)
	v_dual_lshlrev_b32 v19, 8, v20 :: v_dual_lshlrev_b32 v3, 7, v3
	v_lshl_add_u32 v12, v12, 10, 0x2000
	s_delay_alu instid0(VALU_DEP_2) | instskip(NEXT) | instid1(VALU_DEP_2)
	v_and_b32_e32 v19, 0x8000, v19
	v_and_b32_e32 v12, 0xfc00, v12
	s_delay_alu instid0(VALU_DEP_1)
	v_or3_b32 v3, v19, v12, v3
.LBB242_1030:                           ;   in Loop: Header=BB242_561 Depth=1
	s_or_b32 exec_lo, exec_lo, s25
.LBB242_1031:                           ;   in Loop: Header=BB242_561 Depth=1
	s_delay_alu instid0(SALU_CYCLE_1)
	s_or_b32 exec_lo, exec_lo, s24
.LBB242_1032:                           ;   in Loop: Header=BB242_561 Depth=1
	s_delay_alu instid0(SALU_CYCLE_1) | instskip(SKIP_2) | instid1(VALU_DEP_1)
	s_or_b32 exec_lo, exec_lo, s23
	v_lshrrev_b16 v12, 8, v20
	s_mov_b32 s23, exec_lo
	v_cmpx_ne_u16_e32 0, v12
	s_cbranch_execz .LBB242_1040
; %bb.1033:                             ;   in Loop: Header=BB242_561 Depth=1
	v_bfrev_b32_e32 v1, 1
	s_mov_b32 s24, exec_lo
	v_cmpx_ne_u16_e32 0x80, v12
	s_cbranch_execz .LBB242_1039
; %bb.1034:                             ;   in Loop: Header=BB242_561 Depth=1
	v_and_b32_e32 v19, 0xffff, v12
	v_mov_b32_e32 v1, 0x7c010000
	s_mov_b32 s25, exec_lo
	s_delay_alu instid0(VALU_DEP_2) | instskip(NEXT) | instid1(VALU_DEP_1)
	v_and_b32_e32 v23, 0x7f, v19
	v_cmpx_ne_u32_e32 0x7f, v23
	s_cbranch_execz .LBB242_1038
; %bb.1035:                             ;   in Loop: Header=BB242_561 Depth=1
	v_and_b32_e32 v1, 7, v19
	v_lshrrev_b32_e32 v22, 3, v23
	s_mov_b32 s26, exec_lo
	v_cmpx_gt_u32_e32 8, v23
; %bb.1036:                             ;   in Loop: Header=BB242_561 Depth=1
	s_delay_alu instid0(VALU_DEP_3) | instskip(NEXT) | instid1(VALU_DEP_1)
	v_clz_i32_u32_e32 v1, v1
	v_min_u32_e32 v1, 32, v1
	s_delay_alu instid0(VALU_DEP_1) | instskip(NEXT) | instid1(VALU_DEP_1)
	v_subrev_nc_u32_e32 v22, 28, v1
	v_lshlrev_b64_e32 v[24:25], v22, v[12:13]
	s_delay_alu instid0(VALU_DEP_1)
	v_dual_sub_nc_u32 v22, 29, v1 :: v_dual_bitop2_b32 v1, 7, v24 bitop3:0x40
; %bb.1037:                             ;   in Loop: Header=BB242_561 Depth=1
	s_or_b32 exec_lo, exec_lo, s26
	s_delay_alu instid0(VALU_DEP_1) | instskip(NEXT) | instid1(VALU_DEP_2)
	v_dual_lshlrev_b32 v12, 8, v19 :: v_dual_lshlrev_b32 v1, 23, v1
	v_lshl_add_u32 v19, v22, 10, 0x2000
	s_delay_alu instid0(VALU_DEP_1) | instskip(NEXT) | instid1(VALU_DEP_1)
	v_and_or_b32 v12, 0x8000, v12, v19
	v_lshl_or_b32 v1, v12, 16, v1
.LBB242_1038:                           ;   in Loop: Header=BB242_561 Depth=1
	s_or_b32 exec_lo, exec_lo, s25
.LBB242_1039:                           ;   in Loop: Header=BB242_561 Depth=1
	s_delay_alu instid0(SALU_CYCLE_1)
	s_or_b32 exec_lo, exec_lo, s24
.LBB242_1040:                           ;   in Loop: Header=BB242_561 Depth=1
	s_delay_alu instid0(SALU_CYCLE_1) | instskip(SKIP_3) | instid1(VALU_DEP_2)
	s_or_b32 exec_lo, exec_lo, s23
	v_dual_mov_b32 v19, 0 :: v_dual_lshrrev_b32 v12, 16, v20
	v_mov_b32_e32 v22, 0
	s_mov_b32 s23, exec_lo
	v_and_b32_e32 v23, 0xff, v12
	s_delay_alu instid0(VALU_DEP_1)
	v_cmpx_ne_u16_e32 0, v23
	s_cbranch_execz .LBB242_1048
; %bb.1041:                             ;   in Loop: Header=BB242_561 Depth=1
	v_mov_b32_e32 v22, 0x8000
	s_mov_b32 s24, exec_lo
	v_cmpx_ne_u16_e32 0x80, v23
	s_cbranch_execz .LBB242_1047
; %bb.1042:                             ;   in Loop: Header=BB242_561 Depth=1
	v_bfe_u32 v24, v20, 16, 7
	v_mov_b32_e32 v22, 0x7c01
	s_mov_b32 s25, exec_lo
	s_delay_alu instid0(VALU_DEP_2)
	v_cmpx_ne_u32_e32 0x7f, v24
	s_cbranch_execz .LBB242_1046
; %bb.1043:                             ;   in Loop: Header=BB242_561 Depth=1
	v_and_b32_e32 v22, 7, v12
	v_lshrrev_b32_e32 v23, 3, v24
	s_mov_b32 s26, exec_lo
	v_cmpx_gt_u32_e32 8, v24
; %bb.1044:                             ;   in Loop: Header=BB242_561 Depth=1
	s_delay_alu instid0(VALU_DEP_3) | instskip(NEXT) | instid1(VALU_DEP_1)
	v_clz_i32_u32_e32 v22, v22
	v_min_u32_e32 v24, 32, v22
	s_delay_alu instid0(VALU_DEP_1) | instskip(NEXT) | instid1(VALU_DEP_1)
	v_subrev_nc_u32_e32 v22, 28, v24
	v_lshlrev_b64_e32 v[22:23], v22, v[12:13]
	s_delay_alu instid0(VALU_DEP_1)
	v_dual_sub_nc_u32 v23, 29, v24 :: v_dual_bitop2_b32 v22, 7, v22 bitop3:0x40
; %bb.1045:                             ;   in Loop: Header=BB242_561 Depth=1
	s_or_b32 exec_lo, exec_lo, s26
	s_delay_alu instid0(VALU_DEP_1) | instskip(NEXT) | instid1(VALU_DEP_2)
	v_dual_lshlrev_b32 v12, 8, v12 :: v_dual_lshlrev_b32 v22, 7, v22
	v_lshl_add_u32 v23, v23, 10, 0x2000
	s_delay_alu instid0(VALU_DEP_2) | instskip(NEXT) | instid1(VALU_DEP_2)
	v_and_b32_e32 v12, 0x8000, v12
	v_and_b32_e32 v23, 0xfc00, v23
	s_delay_alu instid0(VALU_DEP_1)
	v_or3_b32 v22, v12, v23, v22
.LBB242_1046:                           ;   in Loop: Header=BB242_561 Depth=1
	s_or_b32 exec_lo, exec_lo, s25
.LBB242_1047:                           ;   in Loop: Header=BB242_561 Depth=1
	s_delay_alu instid0(SALU_CYCLE_1)
	s_or_b32 exec_lo, exec_lo, s24
.LBB242_1048:                           ;   in Loop: Header=BB242_561 Depth=1
	s_delay_alu instid0(SALU_CYCLE_1) | instskip(NEXT) | instid1(SALU_CYCLE_1)
	s_or_b32 exec_lo, exec_lo, s23
	s_mov_b32 s23, exec_lo
	v_cmpx_lt_u32_e32 0xffffff, v20
	s_cbranch_execz .LBB242_1056
; %bb.1049:                             ;   in Loop: Header=BB242_561 Depth=1
	v_lshrrev_b32_e32 v12, 24, v20
	v_bfrev_b32_e32 v19, 1
	s_mov_b32 s24, exec_lo
	s_delay_alu instid0(VALU_DEP_2)
	v_cmpx_ne_u32_e32 0x80, v12
	s_cbranch_execz .LBB242_1055
; %bb.1050:                             ;   in Loop: Header=BB242_561 Depth=1
	v_and_b32_e32 v24, 0x7f, v12
	v_mov_b32_e32 v19, 0x7c010000
	s_mov_b32 s25, exec_lo
	s_delay_alu instid0(VALU_DEP_2)
	v_cmpx_ne_u32_e32 0x7f, v24
	s_cbranch_execz .LBB242_1054
; %bb.1051:                             ;   in Loop: Header=BB242_561 Depth=1
	v_and_b32_e32 v19, 7, v12
	v_lshrrev_b32_e32 v23, 3, v24
	s_mov_b32 s26, exec_lo
	v_cmpx_gt_u32_e32 8, v24
; %bb.1052:                             ;   in Loop: Header=BB242_561 Depth=1
	s_delay_alu instid0(VALU_DEP_3) | instskip(NEXT) | instid1(VALU_DEP_1)
	v_clz_i32_u32_e32 v19, v19
	v_min_u32_e32 v19, 32, v19
	s_delay_alu instid0(VALU_DEP_1) | instskip(NEXT) | instid1(VALU_DEP_1)
	v_subrev_nc_u32_e32 v23, 28, v19
	v_lshlrev_b64_e32 v[24:25], v23, v[12:13]
	s_delay_alu instid0(VALU_DEP_1)
	v_dual_sub_nc_u32 v23, 29, v19 :: v_dual_bitop2_b32 v19, 7, v24 bitop3:0x40
; %bb.1053:                             ;   in Loop: Header=BB242_561 Depth=1
	s_or_b32 exec_lo, exec_lo, s26
	s_delay_alu instid0(VALU_DEP_1) | instskip(NEXT) | instid1(VALU_DEP_2)
	v_dual_lshlrev_b32 v12, 8, v12 :: v_dual_lshlrev_b32 v19, 23, v19
	v_lshl_add_u32 v23, v23, 10, 0x2000
	s_delay_alu instid0(VALU_DEP_1) | instskip(NEXT) | instid1(VALU_DEP_1)
	v_and_or_b32 v12, 0x8000, v12, v23
	v_lshl_or_b32 v19, v12, 16, v19
.LBB242_1054:                           ;   in Loop: Header=BB242_561 Depth=1
	s_or_b32 exec_lo, exec_lo, s25
.LBB242_1055:                           ;   in Loop: Header=BB242_561 Depth=1
	s_delay_alu instid0(SALU_CYCLE_1)
	s_or_b32 exec_lo, exec_lo, s24
.LBB242_1056:                           ;   in Loop: Header=BB242_561 Depth=1
	s_delay_alu instid0(SALU_CYCLE_1) | instskip(SKIP_4) | instid1(VALU_DEP_3)
	s_or_b32 exec_lo, exec_lo, s23
	v_and_b32_e32 v25, 0xff, v21
	v_dual_mov_b32 v12, v21 :: v_dual_mov_b32 v24, 0
	v_mov_b32_e32 v23, 0
	s_mov_b32 s23, exec_lo
	v_cmpx_ne_u16_e32 0, v25
	s_cbranch_execz .LBB242_1064
; %bb.1057:                             ;   in Loop: Header=BB242_561 Depth=1
	v_mov_b32_e32 v23, 0x8000
	s_mov_b32 s24, exec_lo
	v_cmpx_ne_u16_e32 0x80, v25
	s_cbranch_execz .LBB242_1063
; %bb.1058:                             ;   in Loop: Header=BB242_561 Depth=1
	v_and_b32_e32 v26, 0x7f, v21
	v_mov_b32_e32 v23, 0x7c01
	s_mov_b32 s25, exec_lo
	s_delay_alu instid0(VALU_DEP_2)
	v_cmpx_ne_u32_e32 0x7f, v26
	s_cbranch_execz .LBB242_1062
; %bb.1059:                             ;   in Loop: Header=BB242_561 Depth=1
	v_dual_lshrrev_b32 v25, 3, v26 :: v_dual_bitop2_b32 v23, 7, v21 bitop3:0x40
	s_mov_b32 s26, exec_lo
	v_cmpx_gt_u32_e32 8, v26
; %bb.1060:                             ;   in Loop: Header=BB242_561 Depth=1
	s_delay_alu instid0(VALU_DEP_2) | instskip(NEXT) | instid1(VALU_DEP_1)
	v_clz_i32_u32_e32 v23, v23
	v_min_u32_e32 v23, 32, v23
	s_delay_alu instid0(VALU_DEP_1) | instskip(NEXT) | instid1(VALU_DEP_1)
	v_subrev_nc_u32_e32 v25, 28, v23
	v_lshlrev_b64_e32 v[26:27], v25, v[12:13]
	s_delay_alu instid0(VALU_DEP_1)
	v_dual_sub_nc_u32 v25, 29, v23 :: v_dual_bitop2_b32 v23, 7, v26 bitop3:0x40
; %bb.1061:                             ;   in Loop: Header=BB242_561 Depth=1
	s_or_b32 exec_lo, exec_lo, s26
	s_delay_alu instid0(VALU_DEP_1) | instskip(NEXT) | instid1(VALU_DEP_2)
	v_dual_lshlrev_b32 v26, 8, v21 :: v_dual_lshlrev_b32 v23, 7, v23
	v_lshl_add_u32 v25, v25, 10, 0x2000
	s_delay_alu instid0(VALU_DEP_2) | instskip(NEXT) | instid1(VALU_DEP_2)
	v_and_b32_e32 v26, 0x8000, v26
	v_and_b32_e32 v25, 0xfc00, v25
	s_delay_alu instid0(VALU_DEP_1)
	v_or3_b32 v23, v26, v25, v23
.LBB242_1062:                           ;   in Loop: Header=BB242_561 Depth=1
	s_or_b32 exec_lo, exec_lo, s25
.LBB242_1063:                           ;   in Loop: Header=BB242_561 Depth=1
	s_delay_alu instid0(SALU_CYCLE_1)
	s_or_b32 exec_lo, exec_lo, s24
.LBB242_1064:                           ;   in Loop: Header=BB242_561 Depth=1
	s_delay_alu instid0(SALU_CYCLE_1) | instskip(SKIP_3) | instid1(VALU_DEP_2)
	s_or_b32 exec_lo, exec_lo, s23
	v_lshrrev_b16 v12, 8, v12
	v_mov_b32_e32 v25, 0
	s_mov_b32 s23, exec_lo
	v_cmpx_ne_u16_e32 0, v12
	s_cbranch_execz .LBB242_1072
; %bb.1065:                             ;   in Loop: Header=BB242_561 Depth=1
	v_bfrev_b32_e32 v25, 1
	s_mov_b32 s24, exec_lo
	v_cmpx_ne_u16_e32 0x80, v12
	s_cbranch_execz .LBB242_1071
; %bb.1066:                             ;   in Loop: Header=BB242_561 Depth=1
	v_and_b32_e32 v26, 0xffff, v12
	v_mov_b32_e32 v25, 0x7c010000
	s_mov_b32 s25, exec_lo
	s_delay_alu instid0(VALU_DEP_2) | instskip(NEXT) | instid1(VALU_DEP_1)
	v_and_b32_e32 v28, 0x7f, v26
	v_cmpx_ne_u32_e32 0x7f, v28
	s_cbranch_execz .LBB242_1070
; %bb.1067:                             ;   in Loop: Header=BB242_561 Depth=1
	v_dual_lshrrev_b32 v27, 3, v28 :: v_dual_bitop2_b32 v25, 7, v26 bitop3:0x40
	s_mov_b32 s26, exec_lo
	v_cmpx_gt_u32_e32 8, v28
; %bb.1068:                             ;   in Loop: Header=BB242_561 Depth=1
	s_delay_alu instid0(VALU_DEP_2) | instskip(NEXT) | instid1(VALU_DEP_1)
	v_clz_i32_u32_e32 v25, v25
	v_min_u32_e32 v25, 32, v25
	s_delay_alu instid0(VALU_DEP_1) | instskip(NEXT) | instid1(VALU_DEP_1)
	v_subrev_nc_u32_e32 v27, 28, v25
	v_lshlrev_b64_e32 v[58:59], v27, v[12:13]
	s_delay_alu instid0(VALU_DEP_1)
	v_dual_sub_nc_u32 v27, 29, v25 :: v_dual_bitop2_b32 v25, 7, v58 bitop3:0x40
; %bb.1069:                             ;   in Loop: Header=BB242_561 Depth=1
	s_or_b32 exec_lo, exec_lo, s26
	s_delay_alu instid0(VALU_DEP_1) | instskip(NEXT) | instid1(VALU_DEP_2)
	v_dual_lshlrev_b32 v12, 8, v26 :: v_dual_lshlrev_b32 v25, 23, v25
	v_lshl_add_u32 v26, v27, 10, 0x2000
	s_delay_alu instid0(VALU_DEP_1) | instskip(NEXT) | instid1(VALU_DEP_1)
	v_and_or_b32 v12, 0x8000, v12, v26
	v_lshl_or_b32 v25, v12, 16, v25
.LBB242_1070:                           ;   in Loop: Header=BB242_561 Depth=1
	s_or_b32 exec_lo, exec_lo, s25
.LBB242_1071:                           ;   in Loop: Header=BB242_561 Depth=1
	s_delay_alu instid0(SALU_CYCLE_1)
	s_or_b32 exec_lo, exec_lo, s24
.LBB242_1072:                           ;   in Loop: Header=BB242_561 Depth=1
	s_delay_alu instid0(SALU_CYCLE_1) | instskip(SKIP_2) | instid1(VALU_DEP_1)
	s_or_b32 exec_lo, exec_lo, s23
	v_lshrrev_b32_e32 v12, 16, v21
	s_mov_b32 s23, exec_lo
	v_and_b32_e32 v26, 0xff, v12
	s_delay_alu instid0(VALU_DEP_1)
	v_cmpx_ne_u16_e32 0, v26
	s_cbranch_execz .LBB242_1080
; %bb.1073:                             ;   in Loop: Header=BB242_561 Depth=1
	v_mov_b32_e32 v24, 0x8000
	s_mov_b32 s24, exec_lo
	v_cmpx_ne_u16_e32 0x80, v26
	s_cbranch_execz .LBB242_1079
; %bb.1074:                             ;   in Loop: Header=BB242_561 Depth=1
	v_bfe_u32 v27, v21, 16, 7
	v_mov_b32_e32 v24, 0x7c01
	s_mov_b32 s25, exec_lo
	s_delay_alu instid0(VALU_DEP_2)
	v_cmpx_ne_u32_e32 0x7f, v27
	s_cbranch_execz .LBB242_1078
; %bb.1075:                             ;   in Loop: Header=BB242_561 Depth=1
	v_dual_lshrrev_b32 v26, 3, v27 :: v_dual_bitop2_b32 v24, 7, v12 bitop3:0x40
	s_mov_b32 s26, exec_lo
	v_cmpx_gt_u32_e32 8, v27
; %bb.1076:                             ;   in Loop: Header=BB242_561 Depth=1
	s_delay_alu instid0(VALU_DEP_2) | instskip(NEXT) | instid1(VALU_DEP_1)
	v_clz_i32_u32_e32 v24, v24
	v_min_u32_e32 v24, 32, v24
	s_delay_alu instid0(VALU_DEP_1) | instskip(NEXT) | instid1(VALU_DEP_1)
	v_subrev_nc_u32_e32 v26, 28, v24
	v_lshlrev_b64_e32 v[58:59], v26, v[12:13]
	s_delay_alu instid0(VALU_DEP_1)
	v_dual_sub_nc_u32 v26, 29, v24 :: v_dual_bitop2_b32 v24, 7, v58 bitop3:0x40
; %bb.1077:                             ;   in Loop: Header=BB242_561 Depth=1
	s_or_b32 exec_lo, exec_lo, s26
	v_lshlrev_b32_e32 v12, 8, v12
	s_delay_alu instid0(VALU_DEP_2) | instskip(NEXT) | instid1(VALU_DEP_3)
	v_lshl_add_u32 v26, v26, 10, 0x2000
	v_lshlrev_b32_e32 v24, 7, v24
	s_delay_alu instid0(VALU_DEP_3) | instskip(NEXT) | instid1(VALU_DEP_3)
	v_and_b32_e32 v12, 0x8000, v12
	v_and_b32_e32 v26, 0xfc00, v26
	s_delay_alu instid0(VALU_DEP_1)
	v_or3_b32 v24, v12, v26, v24
.LBB242_1078:                           ;   in Loop: Header=BB242_561 Depth=1
	s_or_b32 exec_lo, exec_lo, s25
.LBB242_1079:                           ;   in Loop: Header=BB242_561 Depth=1
	s_delay_alu instid0(SALU_CYCLE_1)
	s_or_b32 exec_lo, exec_lo, s24
.LBB242_1080:                           ;   in Loop: Header=BB242_561 Depth=1
	s_delay_alu instid0(SALU_CYCLE_1)
	s_or_b32 exec_lo, exec_lo, s23
	v_cmp_lt_u64_e64 s0, s[8:9], v[20:21]
	v_mov_b32_e32 v20, 0
	s_and_saveexec_b32 s23, s0
	s_cbranch_execz .LBB242_1088
; %bb.1081:                             ;   in Loop: Header=BB242_561 Depth=1
	v_lshrrev_b32_e32 v12, 24, v21
	v_bfrev_b32_e32 v20, 1
	s_mov_b32 s24, exec_lo
	s_delay_alu instid0(VALU_DEP_2)
	v_cmpx_ne_u32_e32 0x80, v12
	s_cbranch_execz .LBB242_1087
; %bb.1082:                             ;   in Loop: Header=BB242_561 Depth=1
	v_and_b32_e32 v26, 0x7f, v12
	v_mov_b32_e32 v20, 0x7c010000
	s_mov_b32 s25, exec_lo
	s_delay_alu instid0(VALU_DEP_2)
	v_cmpx_ne_u32_e32 0x7f, v26
	s_cbranch_execz .LBB242_1086
; %bb.1083:                             ;   in Loop: Header=BB242_561 Depth=1
	v_dual_lshrrev_b32 v21, 3, v26 :: v_dual_bitop2_b32 v20, 7, v12 bitop3:0x40
	s_mov_b32 s26, exec_lo
	v_cmpx_gt_u32_e32 8, v26
; %bb.1084:                             ;   in Loop: Header=BB242_561 Depth=1
	s_delay_alu instid0(VALU_DEP_2) | instskip(NEXT) | instid1(VALU_DEP_1)
	v_clz_i32_u32_e32 v20, v20
	v_min_u32_e32 v26, 32, v20
	s_delay_alu instid0(VALU_DEP_1) | instskip(NEXT) | instid1(VALU_DEP_1)
	v_subrev_nc_u32_e32 v20, 28, v26
	v_lshlrev_b64_e32 v[20:21], v20, v[12:13]
	s_delay_alu instid0(VALU_DEP_1)
	v_dual_sub_nc_u32 v21, 29, v26 :: v_dual_bitop2_b32 v20, 7, v20 bitop3:0x40
; %bb.1085:                             ;   in Loop: Header=BB242_561 Depth=1
	s_or_b32 exec_lo, exec_lo, s26
	v_lshlrev_b32_e32 v12, 8, v12
	s_delay_alu instid0(VALU_DEP_2) | instskip(NEXT) | instid1(VALU_DEP_3)
	v_lshl_add_u32 v21, v21, 10, 0x2000
	v_lshlrev_b32_e32 v20, 23, v20
	s_delay_alu instid0(VALU_DEP_2) | instskip(NEXT) | instid1(VALU_DEP_1)
	v_and_or_b32 v12, 0x8000, v12, v21
	v_lshl_or_b32 v20, v12, 16, v20
.LBB242_1086:                           ;   in Loop: Header=BB242_561 Depth=1
	s_or_b32 exec_lo, exec_lo, s25
.LBB242_1087:                           ;   in Loop: Header=BB242_561 Depth=1
	s_delay_alu instid0(SALU_CYCLE_1)
	s_or_b32 exec_lo, exec_lo, s24
.LBB242_1088:                           ;   in Loop: Header=BB242_561 Depth=1
	s_delay_alu instid0(SALU_CYCLE_1) | instskip(SKIP_3) | instid1(VALU_DEP_3)
	s_or_b32 exec_lo, exec_lo, s23
	v_dual_lshrrev_b32 v12, 16, v1 :: v_dual_lshrrev_b32 v21, 16, v19
	v_or_b32_e32 v1, v1, v3
	v_dual_lshrrev_b32 v22, 16, v20 :: v_dual_bitop2_b32 v3, v19, v22 bitop3:0x54
	v_cvt_f32_f16_e32 v27, v12
	s_delay_alu instid0(VALU_DEP_4) | instskip(SKIP_4) | instid1(VALU_DEP_3)
	v_cvt_f32_f16_e32 v26, v21
	v_lshrrev_b32_e32 v19, 16, v25
	v_cvt_f32_f16_e32 v21, v1
	v_cvt_f32_f16_e32 v22, v22
	s_wait_loadcnt 0x0
	v_pk_mul_f32 v[26:27], v[18:19], v[26:27] op_sel_hi:[0,1]
	s_delay_alu instid0(VALU_DEP_1) | instskip(SKIP_4) | instid1(VALU_DEP_4)
	v_cvt_pk_f16_f32 v1, v26, v27
	v_or_b32_e32 v12, v20, v24
	v_cvt_f32_f16_e32 v20, v3
	v_or_b32_e32 v3, v25, v23
	v_cvt_f32_f16_e32 v23, v19
	v_cvt_f32_f16_e32 v24, v12
	s_delay_alu instid0(VALU_DEP_4) | instskip(NEXT) | instid1(VALU_DEP_4)
	v_pk_mul_f32 v[20:21], v[18:19], v[20:21] op_sel_hi:[0,1]
	v_cvt_f32_f16_e32 v25, v3
	s_delay_alu instid0(VALU_DEP_4) | instskip(SKIP_1) | instid1(VALU_DEP_4)
	v_pk_mul_f32 v[26:27], v[18:19], v[22:23] op_sel_hi:[0,1]
	v_and_b32_e32 v23, 0xffff0000, v1
	v_cvt_pk_f16_f32 v3, v20, v21
	s_delay_alu instid0(VALU_DEP_4) | instskip(NEXT) | instid1(VALU_DEP_4)
	v_pk_mul_f32 v[18:19], v[18:19], v[24:25] op_sel_hi:[0,1]
	v_cvt_pk_f16_f32 v12, v26, v27
	v_lshlrev_b32_e32 v24, 16, v1
	s_delay_alu instid0(VALU_DEP_4) | instskip(NEXT) | instid1(VALU_DEP_4)
	v_and_b32_e32 v26, 0xffff, v3
	v_cvt_pk_f16_f32 v1, v18, v19
	v_lshrrev_b32_e32 v25, 16, v3
	v_and_b32_e32 v19, 0xffff0000, v12
	s_delay_alu instid0(VALU_DEP_4) | instskip(NEXT) | instid1(VALU_DEP_4)
	v_dual_lshlrev_b32 v20, 16, v12 :: v_dual_bitop2_b32 v18, v24, v26 bitop3:0x54
	v_lshrrev_b32_e32 v21, 16, v1
	v_and_b32_e32 v22, 0xffff, v1
	v_or_b32_e32 v3, v23, v25
	s_delay_alu instid0(VALU_DEP_3) | instskip(NEXT) | instid1(VALU_DEP_3)
	v_or_b32_e32 v1, v19, v21
	v_or_b32_e32 v12, v20, v22
	s_and_saveexec_b32 s0, vcc_lo
	s_cbranch_execz .LBB242_559
; %bb.1089:                             ;   in Loop: Header=BB242_561 Depth=1
	v_cmp_gt_i32_e32 vcc_lo, s18, v2
	v_cndmask_b32_e32 v1, 0, v25, vcc_lo
	v_cmp_gt_i32_e32 vcc_lo, s34, v39
	v_cndmask_b32_e32 v12, 0, v26, vcc_lo
	;; [unrolled: 2-line block ×4, first 2 shown]
	v_cmp_gt_i32_e32 vcc_lo, s18, v36
	s_delay_alu instid0(VALU_DEP_4) | instskip(NEXT) | instid1(VALU_DEP_3)
	v_or_b32_e32 v3, v3, v1
	v_dual_cndmask_b32 v21, 0, v21, vcc_lo :: v_dual_bitop2_b32 v18, v18, v12 bitop3:0x54
	v_cmp_gt_i32_e32 vcc_lo, s34, v35
	v_cndmask_b32_e32 v22, 0, v22, vcc_lo
	v_cmp_gt_i32_e32 vcc_lo, s18, v34
	v_cndmask_b32_e32 v19, 0, v19, vcc_lo
	v_cmp_gt_i32_e32 vcc_lo, s34, v33
	s_delay_alu instid0(VALU_DEP_2) | instskip(NEXT) | instid1(VALU_DEP_1)
	v_dual_cndmask_b32 v20, 0, v20, vcc_lo :: v_dual_bitop2_b32 v1, v19, v21 bitop3:0x54
	v_or_b32_e32 v12, v20, v22
	s_branch .LBB242_559
.LBB242_1090:
	s_or_b32 exec_lo, exec_lo, s19
.LBB242_1091:
	s_delay_alu instid0(SALU_CYCLE_1) | instskip(SKIP_4) | instid1(VALU_DEP_2)
	s_or_b32 exec_lo, exec_lo, s1
	v_lshl_add_u32 v2, v30, 2, 0x220
	v_and_b32_e32 v3, 0x3c0, v0
	s_mov_b32 s0, exec_lo
	s_barrier_signal -1
	v_lshl_add_u32 v1, v29, 10, v2
	s_barrier_wait -1
	v_cmpx_eq_u32_e32 64, v3
	s_cbranch_execz .LBB242_1093
; %bb.1092:
	s_delay_alu instid0(VALU_DEP_2)
	v_add_nc_u32_e32 v3, 0xfffff800, v1
	v_add_nc_u32_e32 v12, 0xfffff880, v1
	;; [unrolled: 1-line block ×8, first 2 shown]
	ds_store_b32 v3, v8
	ds_store_b32 v12, v9
	;; [unrolled: 1-line block ×8, first 2 shown]
.LBB242_1093:
	s_or_b32 exec_lo, exec_lo, s0
	s_delay_alu instid0(SALU_CYCLE_1)
	s_mov_b32 s0, exec_lo
	s_wait_dscnt 0x0
	s_barrier_signal -1
	s_barrier_wait -1
	v_cmpx_gt_u32_e32 64, v0
	s_cbranch_execz .LBB242_1095
; %bb.1094:
	ds_load_2addr_b32 v[12:13], v1 offset1:32
	ds_load_2addr_b32 v[14:15], v1 offset0:64 offset1:96
	ds_load_2addr_b32 v[16:17], v1 offset0:128 offset1:160
	;; [unrolled: 1-line block ×3, first 2 shown]
	s_wait_dscnt 0x3
	v_pk_add_f32 v[8:9], v[8:9], v[12:13]
	s_wait_dscnt 0x2
	v_pk_add_f32 v[10:11], v[10:11], v[14:15]
	;; [unrolled: 2-line block ×4, first 2 shown]
.LBB242_1095:
	s_or_b32 exec_lo, exec_lo, s0
	v_and_b32_e32 v3, 0x3e0, v0
	s_mov_b32 s0, exec_lo
	s_barrier_signal -1
	s_barrier_wait -1
	s_delay_alu instid0(VALU_DEP_1)
	v_cmpx_eq_u32_e32 32, v3
	s_cbranch_execz .LBB242_1097
; %bb.1096:
	ds_store_2addr_b32 v2, v8, v9 offset1:32
	ds_store_2addr_b32 v2, v10, v11 offset0:64 offset1:96
	ds_store_2addr_b32 v2, v6, v7 offset0:128 offset1:160
	;; [unrolled: 1-line block ×3, first 2 shown]
.LBB242_1097:
	s_or_b32 exec_lo, exec_lo, s0
	v_cmp_gt_u32_e32 vcc_lo, 32, v0
	s_wait_dscnt 0x0
	s_barrier_signal -1
	s_barrier_wait -1
	s_and_saveexec_b32 s0, vcc_lo
	s_cbranch_execz .LBB242_1099
; %bb.1098:
	ds_load_2addr_b32 v[2:3], v1 offset1:32
	ds_load_2addr_b32 v[12:13], v1 offset0:64 offset1:96
	ds_load_2addr_b32 v[14:15], v1 offset0:128 offset1:160
	;; [unrolled: 1-line block ×3, first 2 shown]
	s_wait_dscnt 0x3
	v_pk_add_f32 v[8:9], v[8:9], v[2:3]
	s_wait_dscnt 0x2
	v_pk_add_f32 v[10:11], v[10:11], v[12:13]
	;; [unrolled: 2-line block ×4, first 2 shown]
.LBB242_1099:
	s_or_b32 exec_lo, exec_lo, s0
	s_barrier_signal -1
	s_barrier_wait -1
	s_and_saveexec_b32 s0, vcc_lo
	s_cbranch_execz .LBB242_1101
; %bb.1100:
	s_mul_i32 s1, s33, s7
	s_mul_i32 s0, s7, s6
	;; [unrolled: 1-line block ×3, first 2 shown]
	s_bfe_u32 s7, ttmp6, 0x40014
	s_lshl_b32 s2, s1, 8
	s_lshr_b32 s6, ttmp7, 16
	s_ashr_i32 s3, s2, 31
	s_add_co_i32 s7, s7, 1
	s_lshl_b64 s[2:3], s[2:3], 1
	s_ashr_i32 s1, s0, 31
	s_wait_kmcnt 0x0
	s_add_nc_u64 s[2:3], s[4:5], s[2:3]
	s_mul_i32 s4, s6, s7
	s_bfe_u32 s5, ttmp6, 0x40008
	s_lshl_b64 s[0:1], s[0:1], 1
	s_add_co_i32 s5, s5, s4
	s_cmp_eq_u32 s30, 0
	s_add_nc_u64 s[0:1], s[2:3], s[0:1]
	s_cselect_b32 s2, s6, s5
	s_mov_b32 s3, 0
	s_lshl_b32 s2, s2, 9
	;;#ASMSTART
	v_cvt_f16_f32 v1, v8;

	;;#ASMEND
	s_add_nc_u64 s[0:1], s[0:1], s[2:3]
	global_store_b16 v0, v1, s[0:1] scale_offset
	s_wait_xcnt 0x0
	;;#ASMSTART
	v_cvt_f16_f32 v1, v9;

	;;#ASMEND
	global_store_b16 v0, v1, s[0:1] offset:64 scale_offset
	s_wait_xcnt 0x0
	;;#ASMSTART
	v_cvt_f16_f32 v1, v10;

	;;#ASMEND
	global_store_b16 v0, v1, s[0:1] offset:128 scale_offset
	;; [unrolled: 6-line block ×7, first 2 shown]
.LBB242_1101:
	s_sendmsg sendmsg(MSG_DEALLOC_VGPRS)
	s_endpgm
	.section	.rodata,"a",@progbits
	.p2align	6, 0x0
	.amdhsa_kernel _ZN4vllm25paged_attention_v1_kernelIthLi256ELi8ELi128ELNS_18Fp8KVCacheDataTypeE1ELb1EEEvPT_PKS2_PKT0_S8_ifPKiSA_iPKfiiiSC_SC_iiiii
		.amdhsa_group_segment_fixed_size 544
		.amdhsa_private_segment_fixed_size 0
		.amdhsa_kernarg_size 384
		.amdhsa_user_sgpr_count 2
		.amdhsa_user_sgpr_dispatch_ptr 0
		.amdhsa_user_sgpr_queue_ptr 0
		.amdhsa_user_sgpr_kernarg_segment_ptr 1
		.amdhsa_user_sgpr_dispatch_id 0
		.amdhsa_user_sgpr_kernarg_preload_length 0
		.amdhsa_user_sgpr_kernarg_preload_offset 0
		.amdhsa_user_sgpr_private_segment_size 0
		.amdhsa_wavefront_size32 1
		.amdhsa_uses_dynamic_stack 0
		.amdhsa_enable_private_segment 0
		.amdhsa_system_sgpr_workgroup_id_x 1
		.amdhsa_system_sgpr_workgroup_id_y 1
		.amdhsa_system_sgpr_workgroup_id_z 1
		.amdhsa_system_sgpr_workgroup_info 0
		.amdhsa_system_vgpr_workitem_id 0
		.amdhsa_next_free_vgpr 126
		.amdhsa_next_free_sgpr 45
		.amdhsa_named_barrier_count 0
		.amdhsa_reserve_vcc 1
		.amdhsa_float_round_mode_32 0
		.amdhsa_float_round_mode_16_64 0
		.amdhsa_float_denorm_mode_32 3
		.amdhsa_float_denorm_mode_16_64 3
		.amdhsa_fp16_overflow 0
		.amdhsa_memory_ordered 1
		.amdhsa_forward_progress 1
		.amdhsa_inst_pref_size 255
		.amdhsa_round_robin_scheduling 0
		.amdhsa_exception_fp_ieee_invalid_op 0
		.amdhsa_exception_fp_denorm_src 0
		.amdhsa_exception_fp_ieee_div_zero 0
		.amdhsa_exception_fp_ieee_overflow 0
		.amdhsa_exception_fp_ieee_underflow 0
		.amdhsa_exception_fp_ieee_inexact 0
		.amdhsa_exception_int_div_zero 0
	.end_amdhsa_kernel
	.section	.text._ZN4vllm25paged_attention_v1_kernelIthLi256ELi8ELi128ELNS_18Fp8KVCacheDataTypeE1ELb1EEEvPT_PKS2_PKT0_S8_ifPKiSA_iPKfiiiSC_SC_iiiii,"axG",@progbits,_ZN4vllm25paged_attention_v1_kernelIthLi256ELi8ELi128ELNS_18Fp8KVCacheDataTypeE1ELb1EEEvPT_PKS2_PKT0_S8_ifPKiSA_iPKfiiiSC_SC_iiiii,comdat
.Lfunc_end242:
	.size	_ZN4vllm25paged_attention_v1_kernelIthLi256ELi8ELi128ELNS_18Fp8KVCacheDataTypeE1ELb1EEEvPT_PKS2_PKT0_S8_ifPKiSA_iPKfiiiSC_SC_iiiii, .Lfunc_end242-_ZN4vllm25paged_attention_v1_kernelIthLi256ELi8ELi128ELNS_18Fp8KVCacheDataTypeE1ELb1EEEvPT_PKS2_PKT0_S8_ifPKiSA_iPKfiiiSC_SC_iiiii
                                        ; -- End function
	.set _ZN4vllm25paged_attention_v1_kernelIthLi256ELi8ELi128ELNS_18Fp8KVCacheDataTypeE1ELb1EEEvPT_PKS2_PKT0_S8_ifPKiSA_iPKfiiiSC_SC_iiiii.num_vgpr, 126
	.set _ZN4vllm25paged_attention_v1_kernelIthLi256ELi8ELi128ELNS_18Fp8KVCacheDataTypeE1ELb1EEEvPT_PKS2_PKT0_S8_ifPKiSA_iPKfiiiSC_SC_iiiii.num_agpr, 0
	.set _ZN4vllm25paged_attention_v1_kernelIthLi256ELi8ELi128ELNS_18Fp8KVCacheDataTypeE1ELb1EEEvPT_PKS2_PKT0_S8_ifPKiSA_iPKfiiiSC_SC_iiiii.numbered_sgpr, 45
	.set _ZN4vllm25paged_attention_v1_kernelIthLi256ELi8ELi128ELNS_18Fp8KVCacheDataTypeE1ELb1EEEvPT_PKS2_PKT0_S8_ifPKiSA_iPKfiiiSC_SC_iiiii.num_named_barrier, 0
	.set _ZN4vllm25paged_attention_v1_kernelIthLi256ELi8ELi128ELNS_18Fp8KVCacheDataTypeE1ELb1EEEvPT_PKS2_PKT0_S8_ifPKiSA_iPKfiiiSC_SC_iiiii.private_seg_size, 0
	.set _ZN4vllm25paged_attention_v1_kernelIthLi256ELi8ELi128ELNS_18Fp8KVCacheDataTypeE1ELb1EEEvPT_PKS2_PKT0_S8_ifPKiSA_iPKfiiiSC_SC_iiiii.uses_vcc, 1
	.set _ZN4vllm25paged_attention_v1_kernelIthLi256ELi8ELi128ELNS_18Fp8KVCacheDataTypeE1ELb1EEEvPT_PKS2_PKT0_S8_ifPKiSA_iPKfiiiSC_SC_iiiii.uses_flat_scratch, 0
	.set _ZN4vllm25paged_attention_v1_kernelIthLi256ELi8ELi128ELNS_18Fp8KVCacheDataTypeE1ELb1EEEvPT_PKS2_PKT0_S8_ifPKiSA_iPKfiiiSC_SC_iiiii.has_dyn_sized_stack, 0
	.set _ZN4vllm25paged_attention_v1_kernelIthLi256ELi8ELi128ELNS_18Fp8KVCacheDataTypeE1ELb1EEEvPT_PKS2_PKT0_S8_ifPKiSA_iPKfiiiSC_SC_iiiii.has_recursion, 0
	.set _ZN4vllm25paged_attention_v1_kernelIthLi256ELi8ELi128ELNS_18Fp8KVCacheDataTypeE1ELb1EEEvPT_PKS2_PKT0_S8_ifPKiSA_iPKfiiiSC_SC_iiiii.has_indirect_call, 0
	.section	.AMDGPU.csdata,"",@progbits
; Kernel info:
; codeLenInByte = 41028
; TotalNumSgprs: 47
; NumVgprs: 126
; ScratchSize: 0
; MemoryBound: 0
; FloatMode: 240
; IeeeMode: 1
; LDSByteSize: 544 bytes/workgroup (compile time only)
; SGPRBlocks: 0
; VGPRBlocks: 7
; NumSGPRsForWavesPerEU: 47
; NumVGPRsForWavesPerEU: 126
; NamedBarCnt: 0
; Occupancy: 8
; WaveLimiterHint : 1
; COMPUTE_PGM_RSRC2:SCRATCH_EN: 0
; COMPUTE_PGM_RSRC2:USER_SGPR: 2
; COMPUTE_PGM_RSRC2:TRAP_HANDLER: 0
; COMPUTE_PGM_RSRC2:TGID_X_EN: 1
; COMPUTE_PGM_RSRC2:TGID_Y_EN: 1
; COMPUTE_PGM_RSRC2:TGID_Z_EN: 1
; COMPUTE_PGM_RSRC2:TIDIG_COMP_CNT: 0
	.section	.text._ZN4vllm25paged_attention_v1_kernelIthLi32ELi8ELi128ELNS_18Fp8KVCacheDataTypeE1ELb0EEEvPT_PKS2_PKT0_S8_ifPKiSA_iPKfiiiSC_SC_iiiii,"axG",@progbits,_ZN4vllm25paged_attention_v1_kernelIthLi32ELi8ELi128ELNS_18Fp8KVCacheDataTypeE1ELb0EEEvPT_PKS2_PKT0_S8_ifPKiSA_iPKfiiiSC_SC_iiiii,comdat
	.protected	_ZN4vllm25paged_attention_v1_kernelIthLi32ELi8ELi128ELNS_18Fp8KVCacheDataTypeE1ELb0EEEvPT_PKS2_PKT0_S8_ifPKiSA_iPKfiiiSC_SC_iiiii ; -- Begin function _ZN4vllm25paged_attention_v1_kernelIthLi32ELi8ELi128ELNS_18Fp8KVCacheDataTypeE1ELb0EEEvPT_PKS2_PKT0_S8_ifPKiSA_iPKfiiiSC_SC_iiiii
	.globl	_ZN4vllm25paged_attention_v1_kernelIthLi32ELi8ELi128ELNS_18Fp8KVCacheDataTypeE1ELb0EEEvPT_PKS2_PKT0_S8_ifPKiSA_iPKfiiiSC_SC_iiiii
	.p2align	8
	.type	_ZN4vllm25paged_attention_v1_kernelIthLi32ELi8ELi128ELNS_18Fp8KVCacheDataTypeE1ELb0EEEvPT_PKS2_PKT0_S8_ifPKiSA_iPKfiiiSC_SC_iiiii,@function
_ZN4vllm25paged_attention_v1_kernelIthLi32ELi8ELi128ELNS_18Fp8KVCacheDataTypeE1ELb0EEEvPT_PKS2_PKT0_S8_ifPKiSA_iPKfiiiSC_SC_iiiii: ; @_ZN4vllm25paged_attention_v1_kernelIthLi32ELi8ELi128ELNS_18Fp8KVCacheDataTypeE1ELb0EEEvPT_PKS2_PKT0_S8_ifPKiSA_iPKfiiiSC_SC_iiiii
; %bb.0:
	s_load_b64 s[6:7], s[0:1], 0x20
	s_bfe_u32 s3, ttmp6, 0x4000c
	s_bfe_u32 s5, ttmp6, 0x40010
	s_and_b32 s4, ttmp7, 0xffff
	s_add_co_i32 s3, s3, 1
	s_add_co_i32 s5, s5, 1
	s_and_b32 s2, ttmp6, 15
	s_bfe_u32 s8, ttmp6, 0x40004
	s_mul_i32 s3, ttmp9, s3
	s_mul_i32 s5, s4, s5
	s_getreg_b32 s20, hwreg(HW_REG_IB_STS2, 6, 4)
	s_add_co_i32 s2, s2, s3
	s_add_co_i32 s8, s8, s5
	s_cmp_eq_u32 s20, 0
	s_clause 0x1
	s_load_b32 s21, s[0:1], 0x80
	s_load_b64 s[10:11], s[0:1], 0x30
	s_cselect_b32 s22, s4, s8
	s_cselect_b32 s2, ttmp9, s2
	s_wait_kmcnt 0x0
	s_abs_i32 s3, s6
	s_delay_alu instid0(SALU_CYCLE_1) | instskip(SKIP_1) | instid1(SALU_CYCLE_2)
	s_cvt_f32_u32 s4, s3
	s_sub_co_i32 s5, 0, s3
	v_rcp_iflag_f32_e32 v1, s4
	s_abs_i32 s8, s21
	v_nop
	s_delay_alu instid0(TRANS32_DEP_1) | instskip(SKIP_1) | instid1(SALU_CYCLE_3)
	v_readfirstlane_b32 s4, v1
	s_mul_f32 s4, s4, 0x4f7ffffe
	s_cvt_u32_f32 s4, s4
	s_delay_alu instid0(SALU_CYCLE_3) | instskip(NEXT) | instid1(SALU_CYCLE_1)
	s_mul_i32 s5, s5, s4
	s_mul_hi_u32 s5, s4, s5
	s_delay_alu instid0(SALU_CYCLE_1) | instskip(SKIP_4) | instid1(SALU_CYCLE_1)
	s_add_co_i32 s4, s4, s5
	s_xor_b32 s5, s21, s6
	s_mul_hi_u32 s4, s8, s4
	s_ashr_i32 s5, s5, 31
	s_mul_i32 s6, s4, s3
	s_sub_co_i32 s6, s8, s6
	s_add_co_i32 s8, s4, 1
	s_sub_co_i32 s9, s6, s3
	s_cmp_ge_u32 s6, s3
	s_cselect_b32 s4, s8, s4
	s_cselect_b32 s6, s9, s6
	s_add_co_i32 s8, s4, 1
	s_cmp_ge_u32 s6, s3
	s_mov_b32 s9, 0
	s_cselect_b32 s3, s8, s4
	s_abs_i32 s8, s2
	s_xor_b32 s3, s3, s5
	s_mov_b32 s13, s9
	s_sub_co_i32 s15, s3, s5
	s_load_b64 s[4:5], s[0:1], 0x40
	s_abs_i32 s14, s15
	s_mov_b32 s25, s9
	s_cvt_f32_u32 s3, s14
	s_sub_co_i32 s6, 0, s14
	s_delay_alu instid0(SALU_CYCLE_2) | instskip(SKIP_1) | instid1(TRANS32_DEP_1)
	v_rcp_iflag_f32_e32 v1, s3
	v_nop
	v_readfirstlane_b32 s3, v1
	s_mul_f32 s3, s3, 0x4f7ffffe
	s_delay_alu instid0(SALU_CYCLE_3) | instskip(NEXT) | instid1(SALU_CYCLE_3)
	s_cvt_u32_f32 s3, s3
	s_mul_i32 s6, s6, s3
	s_delay_alu instid0(SALU_CYCLE_1) | instskip(NEXT) | instid1(SALU_CYCLE_1)
	s_mul_hi_u32 s6, s3, s6
	s_add_co_i32 s12, s3, s6
	s_wait_kmcnt 0x0
	s_cmp_eq_u64 s[4:5], 0
	s_cbranch_scc1 .LBB243_2
; %bb.1:
	s_ashr_i32 s3, s2, 31
	s_delay_alu instid0(SALU_CYCLE_1) | instskip(NEXT) | instid1(SALU_CYCLE_1)
	s_lshl_b64 s[16:17], s[2:3], 2
	s_add_nc_u64 s[4:5], s[4:5], s[16:17]
	s_load_b32 s25, s[4:5], 0x0
.LBB243_2:
	s_load_b32 s23, s[10:11], s22 offset:0x0 scale_offset
	s_wait_xcnt 0x0
	s_load_b96 s[4:6], s[0:1], 0x48
	v_and_b32_e32 v4, 3, v0
	s_ashr_i32 s3, s2, 31
	s_ashr_i32 s15, s15, 31
	s_mul_u64 s[10:11], s[8:9], s[12:13]
	s_lshl_b32 s12, s2, 5
	s_mov_b32 s2, exec_lo
	v_cmpx_gt_u32_e32 16, v0
	s_cbranch_execz .LBB243_4
; %bb.3:
	s_load_b64 s[16:17], s[0:1], 0x8
	s_wait_kmcnt 0x0
	s_mul_i32 s18, s4, s22
	s_ashr_i32 s13, s12, 31
	s_ashr_i32 s19, s18, 31
	v_and_b32_e32 v2, 0x3fc, v0
	s_lshl_b64 s[18:19], s[18:19], 1
	s_delay_alu instid0(VALU_DEP_1) | instskip(SKIP_2) | instid1(SALU_CYCLE_1)
	v_lshl_add_u32 v2, v4, 4, v2
	s_add_nc_u64 s[16:17], s[16:17], s[18:19]
	s_lshl_b64 s[18:19], s[12:13], 1
	s_add_nc_u64 s[16:17], s[16:17], s[18:19]
	global_load_b32 v1, v0, s[16:17] scale_offset
	s_wait_loadcnt 0x0
	ds_store_b32 v2, v1
.LBB243_4:
	s_or_b32 exec_lo, exec_lo, s2
	s_wait_kmcnt 0x0
	s_add_co_i32 s2, s23, 7
	s_load_b32 s4, s[0:1], 0x38
	s_ashr_i32 s9, s2, 31
	s_mul_i32 s10, s11, s14
	s_lshr_b32 s9, s9, 29
	s_sub_co_i32 s8, s8, s10
	s_add_co_i32 s2, s2, s9
	s_xor_b32 s3, s3, s15
	s_ashr_i32 s24, s2, 3
	s_add_co_i32 s2, s11, 1
	s_sub_co_i32 s9, s8, s14
	s_cmp_ge_u32 s8, s14
	v_lshrrev_b32_e32 v18, 5, v0
	s_cselect_b32 s2, s2, s11
	s_cselect_b32 s8, s9, s8
	s_add_co_i32 s9, s2, 1
	s_cmp_ge_u32 s8, s14
	v_mbcnt_lo_u32_b32 v10, -1, 0
	s_cselect_b32 s2, s9, s2
	s_wait_dscnt 0x0
	s_xor_b32 s2, s2, s3
	s_wait_kmcnt 0x0
	s_mul_i32 s14, s4, s22
	s_sub_co_i32 s3, s2, s3
	v_cmp_gt_i32_e64 s2, s24, v18
	s_ashr_i32 s15, s14, 31
	s_mov_b32 s4, exec_lo
	s_barrier_signal -1
	s_barrier_wait -1
                                        ; implicit-def: $vgpr3
                                        ; implicit-def: $vgpr11
	v_cmpx_le_i32_e64 s24, v18
	s_xor_b32 s4, exec_lo, s4
; %bb.5:
	v_dual_mov_b32 v3, 0 :: v_dual_mov_b32 v11, 32
	v_mbcnt_lo_u32_b32 v10, -1, 0
                                        ; implicit-def: $vgpr4
; %bb.6:
	s_or_saveexec_b32 s26, s4
	s_clause 0x2
	s_load_b32 s13, s[0:1], 0x88
	s_load_b64 s[16:17], s[0:1], 0x28
	s_load_b128 s[8:11], s[0:1], 0x58
	v_dual_mov_b32 v12, 0xff7fffff :: v_dual_lshrrev_b32 v1, 3, v0
	s_mul_i32 s18, s3, s6
	s_xor_b32 exec_lo, exec_lo, s26
	s_cbranch_execz .LBB243_76
; %bb.7:
	s_load_b64 s[28:29], s[0:1], 0x10
	v_bfe_u32 v8, v0, 2, 3
	v_mov_b32_e32 v3, 0
	s_ashr_i32 s19, s18, 31
	s_cmp_neq_f32 s25, 0
	v_cmp_eq_u32_e32 vcc_lo, 0, v4
	v_dual_lshlrev_b32 v2, 4, v8 :: v_dual_lshlrev_b32 v5, 2, v8
	v_mov_b32_e32 v12, 0xff7fffff
	s_cselect_b32 s3, -1, 0
	v_lshl_or_b32 v14, v18, 3, v8
	v_mov_b32_e32 v11, 32
	v_lshl_or_b32 v9, v18, 5, v5
	s_mov_b32 s6, 0
	s_sub_co_i32 s27, 1, s23
	v_dual_mov_b32 v16, v18 :: v_dual_lshlrev_b32 v13, 4, v4
	s_delay_alu instid0(VALU_DEP_2)
	v_add_nc_u32_e32 v15, 0x60, v9
	s_wait_kmcnt 0x0
	s_add_nc_u64 s[28:29], s[28:29], s[18:19]
	s_mov_b32 s19, s5
	v_add_nc_u64_e32 v[6:7], s[28:29], v[2:3]
	v_lshlrev_b32_e32 v2, 1, v4
	s_lshl_b64 s[28:29], s[14:15], 2
	s_delay_alu instid0(SALU_CYCLE_1) | instskip(NEXT) | instid1(VALU_DEP_1)
	s_add_nc_u64 s[28:29], s[16:17], s[28:29]
	v_add_nc_u64_e32 v[4:5], v[6:7], v[2:3]
	v_and_b32_e32 v2, 0x7c, v1
	s_delay_alu instid0(VALU_DEP_1)
	v_add_nc_u64_e32 v[6:7], s[28:29], v[2:3]
	s_branch .LBB243_9
.LBB243_8:                              ;   in Loop: Header=BB243_9 Depth=1
	s_or_b32 exec_lo, exec_lo, s28
	v_dual_add_nc_u32 v16, 4, v16 :: v_dual_add_nc_u32 v14, 32, v14
	v_add_nc_u64_e32 v[6:7], 16, v[6:7]
	v_add_nc_u32_e32 v15, 0x80, v15
	s_delay_alu instid0(VALU_DEP_3) | instskip(SKIP_1) | instid1(SALU_CYCLE_1)
	v_cmp_le_i32_e64 s4, s24, v16
	s_or_b32 s6, s4, s6
	s_and_not1_b32 exec_lo, exec_lo, s6
	s_cbranch_execz .LBB243_75
.LBB243_9:                              ; =>This Inner Loop Header: Depth=1
	global_load_b32 v2, v[6:7], off
	v_mov_b32_e32 v19, 0
	s_wait_loadcnt_dscnt 0x0
	v_mad_nc_i64_i32 v[8:9], v2, s19, v[4:5]
	global_load_u16 v2, v[8:9], off
	s_wait_loadcnt 0x0
	v_and_b32_e32 v20, 0xff, v2
	v_and_b32_e32 v2, 0xffff, v2
	s_delay_alu instid0(VALU_DEP_2)
	v_cmp_ne_u16_e64 s4, 0, v20
	v_mov_b32_e32 v20, 0
	global_load_b32 v17, v19, s[8:9]
	s_wait_xcnt 0x0
	s_and_saveexec_b32 s28, s4
	s_cbranch_execz .LBB243_17
; %bb.10:                               ;   in Loop: Header=BB243_9 Depth=1
	v_and_b32_e32 v20, 0xff, v2
	s_delay_alu instid0(VALU_DEP_1)
	v_cmp_ne_u16_e64 s4, 0x80, v20
	v_mov_b32_e32 v20, 0x8000
	s_and_saveexec_b32 s29, s4
	s_cbranch_execz .LBB243_16
; %bb.11:                               ;   in Loop: Header=BB243_9 Depth=1
	v_and_b32_e32 v22, 0x7f, v2
	v_mov_b32_e32 v20, 0x7c01
	s_mov_b32 s30, exec_lo
	s_delay_alu instid0(VALU_DEP_2)
	v_cmpx_ne_u32_e32 0x7f, v22
	s_cbranch_execz .LBB243_15
; %bb.12:                               ;   in Loop: Header=BB243_9 Depth=1
	v_and_b32_e32 v20, 7, v2
	v_lshrrev_b32_e32 v21, 3, v22
	s_mov_b32 s31, exec_lo
	v_cmpx_gt_u32_e32 8, v22
; %bb.13:                               ;   in Loop: Header=BB243_9 Depth=1
	s_delay_alu instid0(VALU_DEP_3) | instskip(NEXT) | instid1(VALU_DEP_1)
	v_clz_i32_u32_e32 v20, v20
	v_min_u32_e32 v22, 32, v20
	s_delay_alu instid0(VALU_DEP_1) | instskip(NEXT) | instid1(VALU_DEP_1)
	v_subrev_nc_u32_e32 v20, 28, v22
	v_lshlrev_b64_e32 v[20:21], v20, v[2:3]
	s_delay_alu instid0(VALU_DEP_1)
	v_dual_sub_nc_u32 v21, 29, v22 :: v_dual_bitop2_b32 v20, 7, v20 bitop3:0x40
; %bb.14:                               ;   in Loop: Header=BB243_9 Depth=1
	s_or_b32 exec_lo, exec_lo, s31
	s_delay_alu instid0(VALU_DEP_1) | instskip(NEXT) | instid1(VALU_DEP_2)
	v_dual_lshlrev_b32 v22, 8, v2 :: v_dual_lshlrev_b32 v20, 7, v20
	v_lshl_add_u32 v21, v21, 10, 0x2000
	s_delay_alu instid0(VALU_DEP_2) | instskip(NEXT) | instid1(VALU_DEP_2)
	v_and_b32_e32 v22, 0x8000, v22
	v_and_b32_e32 v21, 0xfc00, v21
	s_delay_alu instid0(VALU_DEP_1)
	v_or3_b32 v20, v22, v21, v20
.LBB243_15:                             ;   in Loop: Header=BB243_9 Depth=1
	s_or_b32 exec_lo, exec_lo, s30
.LBB243_16:                             ;   in Loop: Header=BB243_9 Depth=1
	s_delay_alu instid0(SALU_CYCLE_1)
	s_or_b32 exec_lo, exec_lo, s29
.LBB243_17:                             ;   in Loop: Header=BB243_9 Depth=1
	s_delay_alu instid0(SALU_CYCLE_1) | instskip(SKIP_2) | instid1(VALU_DEP_1)
	s_or_b32 exec_lo, exec_lo, s28
	v_lshrrev_b16 v2, 8, v2
	s_mov_b32 s28, exec_lo
	v_cmpx_ne_u16_e32 0, v2
	s_cbranch_execz .LBB243_25
; %bb.18:                               ;   in Loop: Header=BB243_9 Depth=1
	v_bfrev_b32_e32 v19, 1
	s_mov_b32 s29, exec_lo
	v_cmpx_ne_u16_e32 0x80, v2
	s_cbranch_execz .LBB243_24
; %bb.19:                               ;   in Loop: Header=BB243_9 Depth=1
	v_and_b32_e32 v21, 0xffff, v2
	v_mov_b32_e32 v19, 0x7c010000
	s_mov_b32 s30, exec_lo
	s_delay_alu instid0(VALU_DEP_2) | instskip(NEXT) | instid1(VALU_DEP_1)
	v_and_b32_e32 v23, 0x7f, v21
	v_cmpx_ne_u32_e32 0x7f, v23
	s_cbranch_execz .LBB243_23
; %bb.20:                               ;   in Loop: Header=BB243_9 Depth=1
	v_dual_lshrrev_b32 v22, 3, v23 :: v_dual_bitop2_b32 v19, 7, v21 bitop3:0x40
	s_mov_b32 s31, exec_lo
	v_cmpx_gt_u32_e32 8, v23
; %bb.21:                               ;   in Loop: Header=BB243_9 Depth=1
	s_delay_alu instid0(VALU_DEP_2) | instskip(NEXT) | instid1(VALU_DEP_1)
	v_clz_i32_u32_e32 v19, v19
	v_min_u32_e32 v19, 32, v19
	s_delay_alu instid0(VALU_DEP_1) | instskip(NEXT) | instid1(VALU_DEP_1)
	v_subrev_nc_u32_e32 v22, 28, v19
	v_lshlrev_b64_e32 v[24:25], v22, v[2:3]
	s_delay_alu instid0(VALU_DEP_1)
	v_dual_sub_nc_u32 v22, 29, v19 :: v_dual_bitop2_b32 v19, 7, v24 bitop3:0x40
; %bb.22:                               ;   in Loop: Header=BB243_9 Depth=1
	s_or_b32 exec_lo, exec_lo, s31
	s_delay_alu instid0(VALU_DEP_1) | instskip(NEXT) | instid1(VALU_DEP_2)
	v_dual_lshlrev_b32 v2, 8, v21 :: v_dual_lshlrev_b32 v19, 23, v19
	v_lshl_add_u32 v21, v22, 10, 0x2000
	s_delay_alu instid0(VALU_DEP_1) | instskip(NEXT) | instid1(VALU_DEP_1)
	v_and_or_b32 v2, 0x8000, v2, v21
	v_lshl_or_b32 v19, v2, 16, v19
.LBB243_23:                             ;   in Loop: Header=BB243_9 Depth=1
	s_or_b32 exec_lo, exec_lo, s30
.LBB243_24:                             ;   in Loop: Header=BB243_9 Depth=1
	s_delay_alu instid0(SALU_CYCLE_1)
	s_or_b32 exec_lo, exec_lo, s29
.LBB243_25:                             ;   in Loop: Header=BB243_9 Depth=1
	s_delay_alu instid0(SALU_CYCLE_1)
	s_or_b32 exec_lo, exec_lo, s28
	global_load_u16 v2, v[8:9], off offset:8
	v_mov_b32_e32 v21, 0
	s_wait_loadcnt 0x0
	v_and_b32_e32 v22, 0xff, v2
	v_and_b32_e32 v2, 0xffff, v2
	s_delay_alu instid0(VALU_DEP_2)
	v_cmp_ne_u16_e64 s4, 0, v22
	v_mov_b32_e32 v22, 0
	s_and_saveexec_b32 s28, s4
	s_cbranch_execz .LBB243_33
; %bb.26:                               ;   in Loop: Header=BB243_9 Depth=1
	v_and_b32_e32 v22, 0xff, v2
	s_delay_alu instid0(VALU_DEP_1)
	v_cmp_ne_u16_e64 s4, 0x80, v22
	v_mov_b32_e32 v22, 0x8000
	s_and_saveexec_b32 s29, s4
	s_cbranch_execz .LBB243_32
; %bb.27:                               ;   in Loop: Header=BB243_9 Depth=1
	v_and_b32_e32 v24, 0x7f, v2
	v_mov_b32_e32 v22, 0x7c01
	s_mov_b32 s30, exec_lo
	s_delay_alu instid0(VALU_DEP_2)
	v_cmpx_ne_u32_e32 0x7f, v24
	s_cbranch_execz .LBB243_31
; %bb.28:                               ;   in Loop: Header=BB243_9 Depth=1
	v_dual_lshrrev_b32 v23, 3, v24 :: v_dual_bitop2_b32 v22, 7, v2 bitop3:0x40
	s_mov_b32 s31, exec_lo
	v_cmpx_gt_u32_e32 8, v24
; %bb.29:                               ;   in Loop: Header=BB243_9 Depth=1
	s_delay_alu instid0(VALU_DEP_2) | instskip(NEXT) | instid1(VALU_DEP_1)
	v_clz_i32_u32_e32 v22, v22
	v_min_u32_e32 v24, 32, v22
	s_delay_alu instid0(VALU_DEP_1) | instskip(NEXT) | instid1(VALU_DEP_1)
	v_subrev_nc_u32_e32 v22, 28, v24
	v_lshlrev_b64_e32 v[22:23], v22, v[2:3]
	s_delay_alu instid0(VALU_DEP_1)
	v_dual_sub_nc_u32 v23, 29, v24 :: v_dual_bitop2_b32 v22, 7, v22 bitop3:0x40
; %bb.30:                               ;   in Loop: Header=BB243_9 Depth=1
	s_or_b32 exec_lo, exec_lo, s31
	v_lshlrev_b32_e32 v24, 8, v2
	s_delay_alu instid0(VALU_DEP_2) | instskip(NEXT) | instid1(VALU_DEP_3)
	v_lshl_add_u32 v23, v23, 10, 0x2000
	v_lshlrev_b32_e32 v22, 7, v22
	s_delay_alu instid0(VALU_DEP_3) | instskip(NEXT) | instid1(VALU_DEP_3)
	v_and_b32_e32 v24, 0x8000, v24
	v_and_b32_e32 v23, 0xfc00, v23
	s_delay_alu instid0(VALU_DEP_1)
	v_or3_b32 v22, v24, v23, v22
.LBB243_31:                             ;   in Loop: Header=BB243_9 Depth=1
	s_or_b32 exec_lo, exec_lo, s30
.LBB243_32:                             ;   in Loop: Header=BB243_9 Depth=1
	s_delay_alu instid0(SALU_CYCLE_1)
	s_or_b32 exec_lo, exec_lo, s29
.LBB243_33:                             ;   in Loop: Header=BB243_9 Depth=1
	s_delay_alu instid0(SALU_CYCLE_1) | instskip(SKIP_2) | instid1(VALU_DEP_1)
	s_or_b32 exec_lo, exec_lo, s28
	v_lshrrev_b16 v2, 8, v2
	s_mov_b32 s28, exec_lo
	v_cmpx_ne_u16_e32 0, v2
	s_cbranch_execz .LBB243_41
; %bb.34:                               ;   in Loop: Header=BB243_9 Depth=1
	v_bfrev_b32_e32 v21, 1
	s_mov_b32 s29, exec_lo
	v_cmpx_ne_u16_e32 0x80, v2
	s_cbranch_execz .LBB243_40
; %bb.35:                               ;   in Loop: Header=BB243_9 Depth=1
	v_and_b32_e32 v23, 0xffff, v2
	v_mov_b32_e32 v21, 0x7c010000
	s_mov_b32 s30, exec_lo
	s_delay_alu instid0(VALU_DEP_2) | instskip(NEXT) | instid1(VALU_DEP_1)
	v_and_b32_e32 v25, 0x7f, v23
	v_cmpx_ne_u32_e32 0x7f, v25
	s_cbranch_execz .LBB243_39
; %bb.36:                               ;   in Loop: Header=BB243_9 Depth=1
	v_dual_lshrrev_b32 v24, 3, v25 :: v_dual_bitop2_b32 v21, 7, v23 bitop3:0x40
	s_mov_b32 s31, exec_lo
	v_cmpx_gt_u32_e32 8, v25
; %bb.37:                               ;   in Loop: Header=BB243_9 Depth=1
	s_delay_alu instid0(VALU_DEP_2) | instskip(NEXT) | instid1(VALU_DEP_1)
	v_clz_i32_u32_e32 v21, v21
	v_min_u32_e32 v21, 32, v21
	s_delay_alu instid0(VALU_DEP_1) | instskip(NEXT) | instid1(VALU_DEP_1)
	v_subrev_nc_u32_e32 v24, 28, v21
	v_lshlrev_b64_e32 v[26:27], v24, v[2:3]
	s_delay_alu instid0(VALU_DEP_1)
	v_dual_sub_nc_u32 v24, 29, v21 :: v_dual_bitop2_b32 v21, 7, v26 bitop3:0x40
; %bb.38:                               ;   in Loop: Header=BB243_9 Depth=1
	s_or_b32 exec_lo, exec_lo, s31
	s_delay_alu instid0(VALU_DEP_1) | instskip(NEXT) | instid1(VALU_DEP_2)
	v_dual_lshlrev_b32 v2, 8, v23 :: v_dual_lshlrev_b32 v21, 23, v21
	v_lshl_add_u32 v23, v24, 10, 0x2000
	s_delay_alu instid0(VALU_DEP_1) | instskip(NEXT) | instid1(VALU_DEP_1)
	v_and_or_b32 v2, 0x8000, v2, v23
	v_lshl_or_b32 v21, v2, 16, v21
.LBB243_39:                             ;   in Loop: Header=BB243_9 Depth=1
	s_or_b32 exec_lo, exec_lo, s30
.LBB243_40:                             ;   in Loop: Header=BB243_9 Depth=1
	s_delay_alu instid0(SALU_CYCLE_1)
	s_or_b32 exec_lo, exec_lo, s29
.LBB243_41:                             ;   in Loop: Header=BB243_9 Depth=1
	s_delay_alu instid0(SALU_CYCLE_1)
	s_or_b32 exec_lo, exec_lo, s28
	global_load_u16 v2, v[8:9], off offset:128
	v_mov_b32_e32 v23, 0
	s_wait_loadcnt 0x0
	v_and_b32_e32 v24, 0xff, v2
	v_and_b32_e32 v2, 0xffff, v2
	s_delay_alu instid0(VALU_DEP_2)
	v_cmp_ne_u16_e64 s4, 0, v24
	v_mov_b32_e32 v24, 0
	s_and_saveexec_b32 s28, s4
	s_cbranch_execz .LBB243_49
; %bb.42:                               ;   in Loop: Header=BB243_9 Depth=1
	v_and_b32_e32 v24, 0xff, v2
	s_delay_alu instid0(VALU_DEP_1)
	v_cmp_ne_u16_e64 s4, 0x80, v24
	v_mov_b32_e32 v24, 0x8000
	s_and_saveexec_b32 s29, s4
	s_cbranch_execz .LBB243_48
; %bb.43:                               ;   in Loop: Header=BB243_9 Depth=1
	v_and_b32_e32 v26, 0x7f, v2
	v_mov_b32_e32 v24, 0x7c01
	s_mov_b32 s30, exec_lo
	s_delay_alu instid0(VALU_DEP_2)
	v_cmpx_ne_u32_e32 0x7f, v26
	s_cbranch_execz .LBB243_47
; %bb.44:                               ;   in Loop: Header=BB243_9 Depth=1
	v_and_b32_e32 v24, 7, v2
	v_lshrrev_b32_e32 v25, 3, v26
	s_mov_b32 s31, exec_lo
	v_cmpx_gt_u32_e32 8, v26
; %bb.45:                               ;   in Loop: Header=BB243_9 Depth=1
	s_delay_alu instid0(VALU_DEP_3) | instskip(NEXT) | instid1(VALU_DEP_1)
	v_clz_i32_u32_e32 v24, v24
	v_min_u32_e32 v26, 32, v24
	s_delay_alu instid0(VALU_DEP_1) | instskip(NEXT) | instid1(VALU_DEP_1)
	v_subrev_nc_u32_e32 v24, 28, v26
	v_lshlrev_b64_e32 v[24:25], v24, v[2:3]
	s_delay_alu instid0(VALU_DEP_1)
	v_dual_sub_nc_u32 v25, 29, v26 :: v_dual_bitop2_b32 v24, 7, v24 bitop3:0x40
; %bb.46:                               ;   in Loop: Header=BB243_9 Depth=1
	s_or_b32 exec_lo, exec_lo, s31
	s_delay_alu instid0(VALU_DEP_1) | instskip(NEXT) | instid1(VALU_DEP_2)
	v_dual_lshlrev_b32 v26, 8, v2 :: v_dual_lshlrev_b32 v24, 7, v24
	v_lshl_add_u32 v25, v25, 10, 0x2000
	s_delay_alu instid0(VALU_DEP_2) | instskip(NEXT) | instid1(VALU_DEP_2)
	v_and_b32_e32 v26, 0x8000, v26
	v_and_b32_e32 v25, 0xfc00, v25
	s_delay_alu instid0(VALU_DEP_1)
	v_or3_b32 v24, v26, v25, v24
.LBB243_47:                             ;   in Loop: Header=BB243_9 Depth=1
	s_or_b32 exec_lo, exec_lo, s30
.LBB243_48:                             ;   in Loop: Header=BB243_9 Depth=1
	s_delay_alu instid0(SALU_CYCLE_1)
	s_or_b32 exec_lo, exec_lo, s29
.LBB243_49:                             ;   in Loop: Header=BB243_9 Depth=1
	s_delay_alu instid0(SALU_CYCLE_1) | instskip(SKIP_2) | instid1(VALU_DEP_1)
	s_or_b32 exec_lo, exec_lo, s28
	v_lshrrev_b16 v2, 8, v2
	s_mov_b32 s28, exec_lo
	v_cmpx_ne_u16_e32 0, v2
	s_cbranch_execz .LBB243_57
; %bb.50:                               ;   in Loop: Header=BB243_9 Depth=1
	v_bfrev_b32_e32 v23, 1
	s_mov_b32 s29, exec_lo
	v_cmpx_ne_u16_e32 0x80, v2
	s_cbranch_execz .LBB243_56
; %bb.51:                               ;   in Loop: Header=BB243_9 Depth=1
	v_and_b32_e32 v25, 0xffff, v2
	v_mov_b32_e32 v23, 0x7c010000
	s_mov_b32 s30, exec_lo
	s_delay_alu instid0(VALU_DEP_2) | instskip(NEXT) | instid1(VALU_DEP_1)
	v_and_b32_e32 v27, 0x7f, v25
	v_cmpx_ne_u32_e32 0x7f, v27
	s_cbranch_execz .LBB243_55
; %bb.52:                               ;   in Loop: Header=BB243_9 Depth=1
	v_dual_lshrrev_b32 v26, 3, v27 :: v_dual_bitop2_b32 v23, 7, v25 bitop3:0x40
	s_mov_b32 s31, exec_lo
	v_cmpx_gt_u32_e32 8, v27
; %bb.53:                               ;   in Loop: Header=BB243_9 Depth=1
	s_delay_alu instid0(VALU_DEP_2) | instskip(NEXT) | instid1(VALU_DEP_1)
	v_clz_i32_u32_e32 v23, v23
	v_min_u32_e32 v23, 32, v23
	s_delay_alu instid0(VALU_DEP_1) | instskip(NEXT) | instid1(VALU_DEP_1)
	v_subrev_nc_u32_e32 v26, 28, v23
	v_lshlrev_b64_e32 v[28:29], v26, v[2:3]
	s_delay_alu instid0(VALU_DEP_1)
	v_dual_sub_nc_u32 v26, 29, v23 :: v_dual_bitop2_b32 v23, 7, v28 bitop3:0x40
; %bb.54:                               ;   in Loop: Header=BB243_9 Depth=1
	s_or_b32 exec_lo, exec_lo, s31
	s_delay_alu instid0(VALU_DEP_1) | instskip(NEXT) | instid1(VALU_DEP_2)
	v_dual_lshlrev_b32 v2, 8, v25 :: v_dual_lshlrev_b32 v23, 23, v23
	v_lshl_add_u32 v25, v26, 10, 0x2000
	s_delay_alu instid0(VALU_DEP_1) | instskip(NEXT) | instid1(VALU_DEP_1)
	v_and_or_b32 v2, 0x8000, v2, v25
	v_lshl_or_b32 v23, v2, 16, v23
.LBB243_55:                             ;   in Loop: Header=BB243_9 Depth=1
	s_or_b32 exec_lo, exec_lo, s30
.LBB243_56:                             ;   in Loop: Header=BB243_9 Depth=1
	s_delay_alu instid0(SALU_CYCLE_1)
	s_or_b32 exec_lo, exec_lo, s29
.LBB243_57:                             ;   in Loop: Header=BB243_9 Depth=1
	s_delay_alu instid0(SALU_CYCLE_1)
	s_or_b32 exec_lo, exec_lo, s28
	global_load_u16 v2, v[8:9], off offset:136
	s_wait_xcnt 0x0
	v_mov_b32_e32 v8, 0
	s_wait_loadcnt 0x0
	v_and_b32_e32 v9, 0xff, v2
	v_and_b32_e32 v2, 0xffff, v2
	s_delay_alu instid0(VALU_DEP_2)
	v_cmp_ne_u16_e64 s4, 0, v9
	v_mov_b32_e32 v9, 0
	s_and_saveexec_b32 s28, s4
	s_cbranch_execz .LBB243_65
; %bb.58:                               ;   in Loop: Header=BB243_9 Depth=1
	v_and_b32_e32 v9, 0xff, v2
	s_delay_alu instid0(VALU_DEP_1)
	v_cmp_ne_u16_e64 s4, 0x80, v9
	v_mov_b32_e32 v9, 0x8000
	s_and_saveexec_b32 s29, s4
	s_cbranch_execz .LBB243_64
; %bb.59:                               ;   in Loop: Header=BB243_9 Depth=1
	v_and_b32_e32 v26, 0x7f, v2
	v_mov_b32_e32 v9, 0x7c01
	s_mov_b32 s30, exec_lo
	s_delay_alu instid0(VALU_DEP_2)
	v_cmpx_ne_u32_e32 0x7f, v26
	s_cbranch_execz .LBB243_63
; %bb.60:                               ;   in Loop: Header=BB243_9 Depth=1
	v_and_b32_e32 v9, 7, v2
	v_lshrrev_b32_e32 v25, 3, v26
	s_mov_b32 s31, exec_lo
	v_cmpx_gt_u32_e32 8, v26
; %bb.61:                               ;   in Loop: Header=BB243_9 Depth=1
	s_delay_alu instid0(VALU_DEP_3) | instskip(NEXT) | instid1(VALU_DEP_1)
	v_clz_i32_u32_e32 v9, v9
	v_min_u32_e32 v9, 32, v9
	s_delay_alu instid0(VALU_DEP_1) | instskip(NEXT) | instid1(VALU_DEP_1)
	v_subrev_nc_u32_e32 v25, 28, v9
	v_lshlrev_b64_e32 v[26:27], v25, v[2:3]
	s_delay_alu instid0(VALU_DEP_1)
	v_dual_sub_nc_u32 v25, 29, v9 :: v_dual_bitop2_b32 v9, 7, v26 bitop3:0x40
; %bb.62:                               ;   in Loop: Header=BB243_9 Depth=1
	s_or_b32 exec_lo, exec_lo, s31
	s_delay_alu instid0(VALU_DEP_1) | instskip(NEXT) | instid1(VALU_DEP_2)
	v_dual_lshlrev_b32 v26, 8, v2 :: v_dual_lshlrev_b32 v9, 7, v9
	v_lshl_add_u32 v25, v25, 10, 0x2000
	s_delay_alu instid0(VALU_DEP_2) | instskip(NEXT) | instid1(VALU_DEP_2)
	v_and_b32_e32 v26, 0x8000, v26
	v_and_b32_e32 v25, 0xfc00, v25
	s_delay_alu instid0(VALU_DEP_1)
	v_or3_b32 v9, v26, v25, v9
.LBB243_63:                             ;   in Loop: Header=BB243_9 Depth=1
	s_or_b32 exec_lo, exec_lo, s30
.LBB243_64:                             ;   in Loop: Header=BB243_9 Depth=1
	s_delay_alu instid0(SALU_CYCLE_1)
	s_or_b32 exec_lo, exec_lo, s29
.LBB243_65:                             ;   in Loop: Header=BB243_9 Depth=1
	s_delay_alu instid0(SALU_CYCLE_1) | instskip(SKIP_2) | instid1(VALU_DEP_1)
	s_or_b32 exec_lo, exec_lo, s28
	v_lshrrev_b16 v2, 8, v2
	s_mov_b32 s28, exec_lo
	v_cmpx_ne_u16_e32 0, v2
	s_cbranch_execz .LBB243_73
; %bb.66:                               ;   in Loop: Header=BB243_9 Depth=1
	v_bfrev_b32_e32 v8, 1
	s_mov_b32 s29, exec_lo
	v_cmpx_ne_u16_e32 0x80, v2
	s_cbranch_execz .LBB243_72
; %bb.67:                               ;   in Loop: Header=BB243_9 Depth=1
	v_and_b32_e32 v25, 0xffff, v2
	v_mov_b32_e32 v8, 0x7c010000
	s_mov_b32 s30, exec_lo
	s_delay_alu instid0(VALU_DEP_2) | instskip(NEXT) | instid1(VALU_DEP_1)
	v_and_b32_e32 v27, 0x7f, v25
	v_cmpx_ne_u32_e32 0x7f, v27
	s_cbranch_execz .LBB243_71
; %bb.68:                               ;   in Loop: Header=BB243_9 Depth=1
	v_dual_lshrrev_b32 v26, 3, v27 :: v_dual_bitop2_b32 v8, 7, v25 bitop3:0x40
	s_mov_b32 s31, exec_lo
	v_cmpx_gt_u32_e32 8, v27
; %bb.69:                               ;   in Loop: Header=BB243_9 Depth=1
	s_delay_alu instid0(VALU_DEP_2) | instskip(NEXT) | instid1(VALU_DEP_1)
	v_clz_i32_u32_e32 v8, v8
	v_min_u32_e32 v8, 32, v8
	s_delay_alu instid0(VALU_DEP_1) | instskip(NEXT) | instid1(VALU_DEP_1)
	v_subrev_nc_u32_e32 v26, 28, v8
	v_lshlrev_b64_e32 v[28:29], v26, v[2:3]
	v_sub_nc_u32_e32 v26, 29, v8
	s_delay_alu instid0(VALU_DEP_2)
	v_and_b32_e32 v8, 7, v28
; %bb.70:                               ;   in Loop: Header=BB243_9 Depth=1
	s_or_b32 exec_lo, exec_lo, s31
	s_delay_alu instid0(VALU_DEP_1) | instskip(NEXT) | instid1(VALU_DEP_3)
	v_dual_lshlrev_b32 v2, 8, v25 :: v_dual_lshlrev_b32 v8, 23, v8
	v_lshl_add_u32 v25, v26, 10, 0x2000
	s_delay_alu instid0(VALU_DEP_1) | instskip(NEXT) | instid1(VALU_DEP_1)
	v_and_or_b32 v2, 0x8000, v2, v25
	v_lshl_or_b32 v8, v2, 16, v8
.LBB243_71:                             ;   in Loop: Header=BB243_9 Depth=1
	s_or_b32 exec_lo, exec_lo, s30
.LBB243_72:                             ;   in Loop: Header=BB243_9 Depth=1
	s_delay_alu instid0(SALU_CYCLE_1)
	s_or_b32 exec_lo, exec_lo, s29
.LBB243_73:                             ;   in Loop: Header=BB243_9 Depth=1
	s_delay_alu instid0(SALU_CYCLE_1)
	s_or_b32 exec_lo, exec_lo, s28
	ds_load_b32 v2, v13
	v_or_b32_e32 v20, v19, v20
	v_fma_mixlo_f16 v19, v17, v19, 0 op_sel:[0,1,0] op_sel_hi:[0,1,0]
	v_or_b32_e32 v9, v8, v9
	v_fma_mixlo_f16 v8, v17, v8, 0 op_sel:[0,1,0] op_sel_hi:[0,1,0]
	s_delay_alu instid0(VALU_DEP_3) | instskip(NEXT) | instid1(VALU_DEP_3)
	v_and_b32_e32 v19, 0xffff, v19
	v_fma_mixlo_f16 v9, v17, v9, 0 op_sel_hi:[0,1,0]
	s_delay_alu instid0(VALU_DEP_1)
	v_and_b32_e32 v9, 0xffff, v9
	s_wait_dscnt 0x0
	v_and_b32_e32 v25, 0xffff, v2
	v_lshrrev_b32_e32 v2, 16, v2
	v_fma_mixlo_f16 v20, v17, v20, 0 op_sel_hi:[0,1,0]
	;;#ASMSTART
	v_cvt_f32_f16 v25, v25;
	;;#ASMEND
	;;#ASMSTART
	v_cvt_f32_f16 v26, v2;
	;;#ASMEND
	s_delay_alu instid0(VALU_DEP_1)
	v_and_b32_e32 v20, 0xffff, v20
	;;#ASMSTART
	v_cvt_f32_f16 v27, v20;
	;;#ASMEND
	;;#ASMSTART
	v_cvt_f32_f16 v28, v19;
	;;#ASMEND
	ds_load_b32 v2, v13 offset:4
	v_or_b32_e32 v19, v21, v22
	v_fma_mixlo_f16 v20, v17, v21, 0 op_sel:[0,1,0] op_sel_hi:[0,1,0]
	s_delay_alu instid0(VALU_DEP_2) | instskip(NEXT) | instid1(VALU_DEP_2)
	v_fma_mixlo_f16 v19, v17, v19, 0 op_sel_hi:[0,1,0]
	v_and_b32_e32 v20, 0xffff, v20
	s_delay_alu instid0(VALU_DEP_2)
	v_and_b32_e32 v19, 0xffff, v19
	s_wait_dscnt 0x0
	v_and_b32_e32 v21, 0xffff, v2
	v_lshrrev_b32_e32 v2, 16, v2
	;;#ASMSTART
	v_cvt_f32_f16 v21, v21;
	;;#ASMEND
	;;#ASMSTART
	v_cvt_f32_f16 v22, v2;
	;;#ASMEND
	;; [unrolled: 3-line block ×4, first 2 shown]
	ds_load_b32 v2, v13 offset:8
	v_or_b32_e32 v19, v23, v24
	v_fma_mixlo_f16 v20, v17, v23, 0 op_sel:[0,1,0] op_sel_hi:[0,1,0]
	s_delay_alu instid0(VALU_DEP_2) | instskip(NEXT) | instid1(VALU_DEP_2)
	v_fma_mixlo_f16 v19, v17, v19, 0 op_sel_hi:[0,1,0]
	v_and_b32_e32 v20, 0xffff, v20
	v_mul_f32_e32 v17, v21, v29
	v_and_b32_e32 v21, 0xffff, v8
	s_delay_alu instid0(VALU_DEP_4) | instskip(NEXT) | instid1(VALU_DEP_3)
	v_and_b32_e32 v19, 0xffff, v19
	v_fmac_f32_e32 v17, v25, v27
	s_wait_dscnt 0x0
	v_and_b32_e32 v23, 0xffff, v2
	v_lshrrev_b32_e32 v2, 16, v2
	;;#ASMSTART
	v_cvt_f32_f16 v23, v23;
	;;#ASMEND
	;;#ASMSTART
	v_cvt_f32_f16 v24, v2;
	;;#ASMEND
	;; [unrolled: 3-line block ×4, first 2 shown]
	ds_load_b32 v2, v13 offset:12
	v_xor_b32_e32 v19, 2, v10
	v_dual_mul_f32 v20, v22, v30 :: v_dual_fmac_f32 v17, v23, v31
	s_delay_alu instid0(VALU_DEP_2) | instskip(NEXT) | instid1(VALU_DEP_1)
	v_cmp_gt_i32_e64 s4, 32, v19
	v_cndmask_b32_e64 v8, v10, v19, s4
	s_wait_dscnt 0x0
	v_and_b32_e32 v19, 0xffff, v2
	v_lshrrev_b32_e32 v2, 16, v2
	;;#ASMSTART
	v_cvt_f32_f16 v19, v19;
	;;#ASMEND
	;;#ASMSTART
	v_cvt_f32_f16 v2, v2;
	;;#ASMEND
	;;#ASMSTART
	v_cvt_f32_f16 v9, v9;
	;;#ASMEND
	v_dual_fmac_f32 v20, v26, v28 :: v_dual_fmac_f32 v17, v19, v9
	;;#ASMSTART
	v_cvt_f32_f16 v21, v21;
	;;#ASMEND
	s_delay_alu instid0(VALU_DEP_1) | instskip(NEXT) | instid1(VALU_DEP_1)
	v_dual_fmac_f32 v20, v24, v32 :: v_dual_bitop2_b32 v9, 1, v10 bitop3:0x14
	v_cmp_gt_i32_e64 s4, 32, v9
	s_delay_alu instid0(VALU_DEP_2) | instskip(NEXT) | instid1(VALU_DEP_1)
	v_dual_fmac_f32 v20, v2, v21 :: v_dual_lshlrev_b32 v2, 2, v8
	v_dual_cndmask_b32 v9, v10, v9, s4 :: v_dual_add_f32 v8, v17, v20
	ds_bpermute_b32 v2, v2, v8
	s_wait_dscnt 0x0
	v_dual_add_f32 v2, v8, v2 :: v_dual_lshlrev_b32 v8, 2, v9
	ds_bpermute_b32 v8, v8, v2
	s_and_saveexec_b32 s28, vcc_lo
	s_cbranch_execz .LBB243_8
; %bb.74:                               ;   in Loop: Header=BB243_9 Depth=1
	s_wait_dscnt 0x0
	v_dual_add_f32 v2, v2, v8 :: v_dual_add_nc_u32 v9, s27, v14
	v_cmp_gt_i32_e64 s4, s23, v14
	s_delay_alu instid0(VALU_DEP_2) | instskip(NEXT) | instid1(VALU_DEP_1)
	v_cvt_f32_i32_e32 v9, v9
	v_mul_f32_e32 v9, s25, v9
	s_delay_alu instid0(VALU_DEP_1) | instskip(NEXT) | instid1(VALU_DEP_1)
	v_dual_cndmask_b32 v8, 0, v9, s3 :: v_dual_max_num_f32 v9, v12, v12
	v_fmac_f32_e32 v8, s7, v2
	s_delay_alu instid0(VALU_DEP_1) | instskip(NEXT) | instid1(VALU_DEP_1)
	v_dual_max_num_f32 v2, v9, v8 :: v_dual_cndmask_b32 v8, 0, v8, s4
	v_cndmask_b32_e64 v12, v12, v2, s4
	ds_store_b32 v15, v8
	s_branch .LBB243_8
.LBB243_75:
	s_or_b32 exec_lo, exec_lo, s6
.LBB243_76:
	s_delay_alu instid0(SALU_CYCLE_1)
	s_or_b32 exec_lo, exec_lo, s26
	v_dual_max_num_f32 v6, v12, v12 :: v_dual_bitop2_b32 v2, 16, v10 bitop3:0x14
	v_xor_b32_e32 v5, 8, v10
	s_load_b64 s[6:7], s[0:1], 0x0
	s_wait_kmcnt 0x0
	s_load_b64 s[8:9], s[0:1], 0x18
	v_and_b32_e32 v19, 31, v0
	v_cmp_lt_i32_e32 vcc_lo, v2, v11
	v_cndmask_b32_e32 v2, v10, v2, vcc_lo
	v_cmp_lt_i32_e32 vcc_lo, v5, v11
	s_delay_alu instid0(VALU_DEP_2) | instskip(SKIP_3) | instid1(VALU_DEP_1)
	v_dual_cndmask_b32 v5, v10, v5 :: v_dual_lshlrev_b32 v2, 2, v2
	ds_bpermute_b32 v4, v2, v12
	s_wait_dscnt 0x0
	v_dual_max_num_f32 v7, v4, v4 :: v_dual_lshlrev_b32 v4, 2, v5
	v_dual_max_num_f32 v5, v6, v7 :: v_dual_bitop2_b32 v7, 4, v10 bitop3:0x14
	ds_bpermute_b32 v6, v4, v5
	v_cmp_lt_i32_e32 vcc_lo, v7, v11
	v_cndmask_b32_e32 v7, v10, v7, vcc_lo
	v_cmp_eq_u32_e32 vcc_lo, 0, v19
	s_wait_dscnt 0x0
	s_delay_alu instid0(VALU_DEP_2) | instskip(NEXT) | instid1(VALU_DEP_1)
	v_dual_max_num_f32 v6, v6, v6 :: v_dual_lshlrev_b32 v7, 2, v7
	v_max_num_f32_e32 v6, v5, v6
	v_lshlrev_b32_e32 v5, 2, v18
	ds_bpermute_b32 v8, v7, v6
	s_wait_xcnt 0x0
	s_and_saveexec_b32 s0, vcc_lo
	s_cbranch_execz .LBB243_78
; %bb.77:
	s_wait_dscnt 0x0
	v_dual_max_num_f32 v8, v8, v8 :: v_dual_max_num_f32 v6, v6, v6
	s_delay_alu instid0(VALU_DEP_1)
	v_max_num_f32_e32 v6, v6, v8
	ds_store_b32 v5, v6 offset:64
.LBB243_78:
	s_or_b32 exec_lo, exec_lo, s0
	v_cmp_gt_u32_e64 s0, 4, v19
	v_dual_mov_b32 v9, 0xff7fffff :: v_dual_lshlrev_b32 v6, 2, v19
	s_wait_dscnt 0x0
	s_barrier_signal -1
	s_barrier_wait -1
	s_and_saveexec_b32 s1, s0
; %bb.79:
	ds_load_b32 v9, v6 offset:64
; %bb.80:
	s_or_b32 exec_lo, exec_lo, s1
	s_wait_dscnt 0x0
	v_dual_max_num_f32 v14, v9, v9 :: v_dual_bitop2_b32 v8, 2, v10 bitop3:0x14
	v_dual_lshlrev_b32 v3, 2, v3 :: v_dual_bitop2_b32 v13, 1, v10 bitop3:0x14
	s_delay_alu instid0(VALU_DEP_2) | instskip(NEXT) | instid1(VALU_DEP_1)
	v_cmp_lt_i32_e64 s1, v8, v11
	v_cndmask_b32_e64 v8, v10, v8, s1
	s_delay_alu instid0(VALU_DEP_3) | instskip(NEXT) | instid1(VALU_DEP_2)
	v_cmp_lt_i32_e64 s1, v13, v11
	v_lshlrev_b32_e32 v8, 2, v8
	ds_bpermute_b32 v12, v8, v9
	v_cndmask_b32_e64 v9, v10, v13, s1
	s_lshl_b32 s1, s24, 3
	s_delay_alu instid0(SALU_CYCLE_1) | instskip(NEXT) | instid1(VALU_DEP_1)
	s_min_i32 s4, s1, s23
	v_lshlrev_b32_e32 v9, 2, v9
	v_cmp_gt_i32_e64 s1, s4, v0
	s_wait_dscnt 0x0
	v_max_num_f32_e32 v11, v12, v12
	s_delay_alu instid0(VALU_DEP_1) | instskip(SKIP_3) | instid1(VALU_DEP_1)
	v_max_num_f32_e32 v11, v14, v11
	ds_bpermute_b32 v12, v9, v11
	s_wait_dscnt 0x0
	v_max_num_f32_e32 v12, v12, v12
	v_max_num_f32_e32 v11, v11, v12
	ds_bpermute_b32 v11, v3, v11
	v_mov_b32_e32 v3, 0
	s_and_saveexec_b32 s19, s1
	s_cbranch_execz .LBB243_84
; %bb.81:
	v_lshl_add_u32 v12, v0, 2, 0x60
	v_dual_mov_b32 v3, 0 :: v_dual_mov_b32 v13, v0
	s_mov_b32 s25, 0
.LBB243_82:                             ; =>This Inner Loop Header: Depth=1
	ds_load_b32 v14, v12
	v_add_nc_u32_e32 v13, 0x80, v13
	s_delay_alu instid0(VALU_DEP_1) | instskip(SKIP_3) | instid1(VALU_DEP_1)
	v_cmp_le_i32_e64 s3, s4, v13
	s_or_b32 s25, s3, s25
	s_wait_dscnt 0x0
	v_sub_f32_e32 v14, v14, v11
	v_mul_f32_e32 v14, 0x3fb8aa3b, v14
	s_delay_alu instid0(VALU_DEP_1)
	v_exp_f32_e32 v14, v14
	ds_store_b32 v12, v14
	v_nop
	v_dual_add_f32 v3, v3, v14 :: v_dual_add_nc_u32 v12, 0x200, v12
	s_and_not1_b32 exec_lo, exec_lo, s25
	s_cbranch_execnz .LBB243_82
; %bb.83:
	s_or_b32 exec_lo, exec_lo, s25
.LBB243_84:
	s_delay_alu instid0(SALU_CYCLE_1)
	s_or_b32 exec_lo, exec_lo, s19
	ds_bpermute_b32 v2, v2, v3
	s_wait_dscnt 0x0
	v_add_f32_e32 v2, v3, v2
	ds_bpermute_b32 v3, v4, v2
	s_wait_dscnt 0x0
	v_add_f32_e32 v2, v2, v3
	;; [unrolled: 3-line block ×5, first 2 shown]
	s_and_saveexec_b32 s3, vcc_lo
; %bb.85:
	ds_store_b32 v5, v2 offset:80
; %bb.86:
	s_or_b32 exec_lo, exec_lo, s3
	s_wait_dscnt 0x0
	s_barrier_signal -1
	s_barrier_wait -1
	s_and_saveexec_b32 s3, s0
; %bb.87:
	ds_load_b32 v2, v6 offset:80
; %bb.88:
	s_or_b32 exec_lo, exec_lo, s3
	s_wait_dscnt 0x0
	ds_bpermute_b32 v3, v8, v2
	s_wait_dscnt 0x0
	v_dual_lshlrev_b32 v4, 2, v10 :: v_dual_add_f32 v2, v2, v3
	ds_bpermute_b32 v3, v9, v2
	s_wait_dscnt 0x0
	v_add_f32_e32 v2, v2, v3
	v_and_b32_e32 v3, 0xffffff80, v4
	ds_bpermute_b32 v2, v3, v2
	s_and_saveexec_b32 s0, s1
	s_cbranch_execz .LBB243_101
; %bb.89:
	s_wait_dscnt 0x0
	v_add_f32_e32 v2, 0x358637bd, v2
	s_mov_b32 s3, -1
	s_mov_b32 s1, exec_lo
	s_delay_alu instid0(VALU_DEP_1) | instskip(NEXT) | instid1(VALU_DEP_1)
	v_div_scale_f32 v3, null, v2, v2, 1.0
	v_rcp_f32_e32 v5, v3
	v_nop
	s_delay_alu instid0(TRANS32_DEP_1) | instskip(NEXT) | instid1(VALU_DEP_1)
	v_fma_f32 v4, -v3, v5, 1.0
	v_fmac_f32_e32 v5, v4, v5
	v_div_scale_f32 v6, vcc_lo, 1.0, v2, 1.0
	s_delay_alu instid0(VALU_DEP_1) | instskip(NEXT) | instid1(VALU_DEP_1)
	v_mul_f32_e32 v7, v6, v5
	v_fma_f32 v4, -v3, v7, v6
	s_delay_alu instid0(VALU_DEP_1) | instskip(SKIP_1) | instid1(VALU_DEP_2)
	v_fmac_f32_e32 v7, v4, v5
	v_xad_u32 v4, v0, -1, s4
	v_fma_f32 v3, -v3, v7, v6
	s_delay_alu instid0(VALU_DEP_1) | instskip(NEXT) | instid1(VALU_DEP_1)
	v_div_fmas_f32 v3, v3, v5, v7
	v_div_fixup_f32 v2, v3, v2, 1.0
	v_mov_b32_e32 v3, v0
	v_cmpx_lt_u32_e32 0x7f, v4
	s_cbranch_execz .LBB243_98
; %bb.90:
	s_delay_alu instid0(VALU_DEP_3) | instskip(NEXT) | instid1(VALU_DEP_1)
	v_dual_mov_b32 v3, v2 :: v_dual_lshrrev_b32 v4, 7, v4
	v_dual_mov_b32 v8, 0 :: v_dual_add_nc_u32 v5, -1, v4
	s_delay_alu instid0(VALU_DEP_1) | instskip(SKIP_1) | instid1(VALU_DEP_2)
	v_lshrrev_b32_e32 v6, 1, v5
	v_cmp_lt_u32_e32 vcc_lo, 13, v5
	v_add_nc_u32_e32 v5, 1, v6
	s_and_saveexec_b32 s3, vcc_lo
	s_cbranch_execz .LBB243_94
; %bb.91:
	s_delay_alu instid0(VALU_DEP_1)
	v_and_b32_e32 v6, -8, v5
	v_lshl_add_u32 v7, v0, 2, 0x60
	s_mov_b32 s19, 0
	s_mov_b32 s25, 0
.LBB243_92:                             ; =>This Inner Loop Header: Depth=1
	ds_load_2addr_stride64_b32 v[8:9], v7 offset1:2
	ds_load_2addr_stride64_b32 v[10:11], v7 offset0:4 offset1:6
	ds_load_2addr_stride64_b32 v[12:13], v7 offset0:8 offset1:10
	;; [unrolled: 1-line block ×7, first 2 shown]
	s_add_co_i32 s25, s25, 16
	v_add_nc_u32_e32 v6, -8, v6
	s_wait_dscnt 0x7
	v_pk_mul_f32 v[8:9], v[2:3], v[8:9]
	s_wait_dscnt 0x6
	v_pk_mul_f32 v[10:11], v[2:3], v[10:11]
	;; [unrolled: 2-line block ×8, first 2 shown]
	ds_store_2addr_stride64_b32 v7, v8, v9 offset1:2
	ds_store_2addr_stride64_b32 v7, v10, v11 offset0:4 offset1:6
	ds_store_2addr_stride64_b32 v7, v12, v13 offset0:8 offset1:10
	;; [unrolled: 1-line block ×7, first 2 shown]
	v_mov_b32_e32 v8, s25
	v_cmp_eq_u32_e32 vcc_lo, 0, v6
	v_add_nc_u32_e32 v7, 0x2000, v7
	s_or_b32 s19, vcc_lo, s19
	s_delay_alu instid0(SALU_CYCLE_1)
	s_and_not1_b32 exec_lo, exec_lo, s19
	s_cbranch_execnz .LBB243_92
; %bb.93:
	s_or_b32 exec_lo, exec_lo, s19
.LBB243_94:
	s_delay_alu instid0(SALU_CYCLE_1) | instskip(NEXT) | instid1(VALU_DEP_1)
	s_or_b32 exec_lo, exec_lo, s3
	v_and_b32_e32 v5, 7, v5
	s_mov_b32 s19, 0
	s_mov_b32 s3, exec_lo
	s_delay_alu instid0(VALU_DEP_1)
	v_cmpx_ne_u32_e32 0, v5
	s_cbranch_execz .LBB243_97
; %bb.95:
	v_lshlrev_b32_e32 v6, 9, v8
	v_lshlrev_b32_e32 v7, 2, v0
	s_delay_alu instid0(VALU_DEP_1)
	v_add3_u32 v6, v6, v7, 0x60
.LBB243_96:                             ; =>This Inner Loop Header: Depth=1
	ds_load_2addr_stride64_b32 v[8:9], v6 offset1:2
	v_add_nc_u32_e32 v5, -1, v5
	s_delay_alu instid0(VALU_DEP_1)
	v_cmp_eq_u32_e32 vcc_lo, 0, v5
	s_or_b32 s19, vcc_lo, s19
	s_wait_dscnt 0x0
	v_pk_mul_f32 v[8:9], v[2:3], v[8:9]
	ds_store_2addr_stride64_b32 v6, v8, v9 offset1:2
	v_add_nc_u32_e32 v6, 0x400, v6
	s_and_not1_b32 exec_lo, exec_lo, s19
	s_cbranch_execnz .LBB243_96
.LBB243_97:
	s_or_b32 exec_lo, exec_lo, s3
	v_add_nc_u32_e32 v3, 1, v4
	s_delay_alu instid0(VALU_DEP_1) | instskip(NEXT) | instid1(VALU_DEP_1)
	v_and_b32_e32 v4, 0x3fffffe, v3
	v_cmp_ne_u32_e32 vcc_lo, v3, v4
	v_lshl_add_u32 v3, v4, 7, v0
	s_or_not1_b32 s3, vcc_lo, exec_lo
.LBB243_98:
	s_or_b32 exec_lo, exec_lo, s1
	s_delay_alu instid0(SALU_CYCLE_1)
	s_and_b32 exec_lo, exec_lo, s3
	s_cbranch_execz .LBB243_101
; %bb.99:
	v_lshl_add_u32 v4, v3, 2, 0x60
	s_mov_b32 s1, 0
.LBB243_100:                            ; =>This Inner Loop Header: Depth=1
	ds_load_b32 v5, v4
	v_add_nc_u32_e32 v3, 0x80, v3
	s_delay_alu instid0(VALU_DEP_1)
	v_cmp_le_i32_e32 vcc_lo, s4, v3
	s_or_b32 s1, vcc_lo, s1
	s_wait_dscnt 0x0
	v_mul_f32_e32 v5, v2, v5
	ds_store_b32 v4, v5
	v_add_nc_u32_e32 v4, 0x200, v4
	s_and_not1_b32 exec_lo, exec_lo, s1
	s_cbranch_execnz .LBB243_100
.LBB243_101:
	s_or_b32 exec_lo, exec_lo, s0
	v_mov_b32_e32 v24, 0
	s_wait_dscnt 0x0
	s_barrier_signal -1
	s_barrier_wait -1
	s_and_saveexec_b32 s4, s2
	s_cbranch_execz .LBB243_171
; %bb.102:
	v_dual_mov_b32 v3, 0 :: v_dual_lshlrev_b32 v2, 3, v19
	s_ashr_i32 s19, s18, 31
	v_dual_mov_b32 v23, v18 :: v_dual_lshlrev_b32 v20, 3, v18
	s_wait_kmcnt 0x0
	s_add_nc_u64 s[0:1], s[8:9], s[18:19]
	v_lshl_add_u32 v21, v18, 5, 0x60
	v_add_nc_u64_e32 v[4:5], s[0:1], v[2:3]
	v_and_b32_e32 v2, 0x7c, v1
	s_lshl_b64 s[0:1], s[14:15], 2
	v_bfrev_b32_e32 v22, 1
	s_add_nc_u64 s[0:1], s[16:17], s[0:1]
	v_mov_b32_e32 v24, 0
	v_add_nc_u64_e32 v[6:7], s[0:1], v[2:3]
	s_mov_b64 s[2:3], 0x100000000000000
	s_add_co_i32 s8, s24, -1
	s_mov_b32 s14, s23
	s_mov_b32 s9, 0
	s_branch .LBB243_104
.LBB243_103:                            ;   in Loop: Header=BB243_104 Depth=1
	s_or_b32 exec_lo, exec_lo, s0
	v_and_b32_e32 v1, 0xffff, v29
	v_and_b32_e32 v2, 0xffff, v30
	;; [unrolled: 1-line block ×4, first 2 shown]
	v_add_nc_u64_e32 v[6:7], 16, v[6:7]
	v_lshl_or_b32 v1, v25, 16, v1
	v_lshl_or_b32 v2, v26, 16, v2
	;; [unrolled: 1-line block ×4, first 2 shown]
	;;#ASMSTART
	v_pk_mul_f16 v1, v1, v15;

	;;#ASMEND
	;;#ASMSTART
	v_pk_mul_f16 v2, v2, v14;

	;;#ASMEND
	;; [unrolled: 4-line block ×4, first 2 shown]
	;;#ASMSTART
	v_pk_add_f16 v1, v1, v2;

	;;#ASMEND
	;;#ASMSTART
	v_pk_add_f16 v1, v1, v8;

	;;#ASMEND
	;; [unrolled: 4-line block ×3, first 2 shown]
	v_and_b32_e32 v2, 0xffff, v1
	v_dual_lshrrev_b32 v1, 16, v1 :: v_dual_add_nc_u32 v23, 4, v23
	;;#ASMSTART
	v_cvt_f32_f16 v2, v2;
	;;#ASMEND
	;;#ASMSTART
	v_cvt_f32_f16 v1, v1;
	;;#ASMEND
	s_delay_alu instid0(VALU_DEP_1) | instskip(NEXT) | instid1(VALU_DEP_2)
	v_dual_add_f32 v1, v2, v1 :: v_dual_add_nc_u32 v20, 32, v20
	v_cmp_le_i32_e32 vcc_lo, s24, v23
	v_add_nc_u32_e32 v21, 0x80, v21
	s_delay_alu instid0(VALU_DEP_3) | instskip(SKIP_1) | instid1(SALU_CYCLE_1)
	v_add_f32_e32 v24, v24, v1
	s_or_b32 s9, vcc_lo, s9
	s_and_not1_b32 exec_lo, exec_lo, s9
	s_cbranch_execz .LBB243_170
.LBB243_104:                            ; =>This Inner Loop Header: Depth=1
	ds_load_2addr_b64 v[8:11], v21 offset1:1
	ds_load_2addr_b64 v[12:15], v21 offset0:2 offset1:3
	s_mov_b32 s1, 0
	s_mov_b32 s0, exec_lo
	s_wait_dscnt 0x1
	;;#ASMSTART
	v_cvt_f16_f32 v29, v8;

	;;#ASMEND
	;;#ASMSTART
	v_cvt_f16_f32 v25, v9;

	;;#ASMEND
	;; [unrolled: 4-line block ×4, first 2 shown]
	s_wait_dscnt 0x0
	;;#ASMSTART
	v_cvt_f16_f32 v31, v12;

	;;#ASMEND
	;;#ASMSTART
	v_cvt_f16_f32 v27, v13;

	;;#ASMEND
	;; [unrolled: 4-line block ×4, first 2 shown]
	global_load_b32 v1, v[6:7], off
	s_wait_loadcnt 0x0
	v_mad_nc_i64_i32 v[12:13], v1, s5, v[4:5]
	global_load_b64 v[10:11], v[12:13], off
	global_load_b32 v8, v3, s[10:11]
	s_wait_loadcnt 0x1
	v_and_b32_e32 v2, 0xff, v10
	s_wait_xcnt 0x0
	s_delay_alu instid0(VALU_DEP_1)
	v_cmpx_lt_i16_e32 0x7f, v2
	s_xor_b32 s0, exec_lo, s0
	s_cbranch_execnz .LBB243_107
; %bb.105:                              ;   in Loop: Header=BB243_104 Depth=1
	s_or_saveexec_b32 s0, s0
	v_mov_b32_e32 v1, 0x8000
	s_xor_b32 exec_lo, exec_lo, s0
	s_cbranch_execnz .LBB243_110
.LBB243_106:                            ;   in Loop: Header=BB243_104 Depth=1
	s_or_b32 exec_lo, exec_lo, s0
	s_and_saveexec_b32 s0, s1
	s_cbranch_execnz .LBB243_111
	s_branch .LBB243_114
.LBB243_107:                            ;   in Loop: Header=BB243_104 Depth=1
	s_mov_b32 s1, -1
	s_mov_b32 s15, exec_lo
	v_cmpx_eq_u16_e32 0x80, v2
; %bb.108:                              ;   in Loop: Header=BB243_104 Depth=1
	s_xor_b32 s1, exec_lo, -1
; %bb.109:                              ;   in Loop: Header=BB243_104 Depth=1
	s_or_b32 exec_lo, exec_lo, s15
	s_delay_alu instid0(SALU_CYCLE_1)
	s_and_b32 s1, s1, exec_lo
                                        ; implicit-def: $vgpr2
	s_or_saveexec_b32 s0, s0
	v_mov_b32_e32 v1, 0x8000
	s_xor_b32 exec_lo, exec_lo, s0
	s_cbranch_execz .LBB243_106
.LBB243_110:                            ;   in Loop: Header=BB243_104 Depth=1
	v_cmp_ne_u16_e32 vcc_lo, 0, v2
	v_and_b32_e32 v1, 0xffff, v2
	s_and_not1_b32 s1, s1, exec_lo
	s_and_b32 s15, vcc_lo, exec_lo
	s_delay_alu instid0(SALU_CYCLE_1)
	s_or_b32 s1, s1, s15
	s_or_b32 exec_lo, exec_lo, s0
	s_and_saveexec_b32 s0, s1
	s_cbranch_execz .LBB243_114
.LBB243_111:                            ;   in Loop: Header=BB243_104 Depth=1
	v_and_b32_e32 v2, 0x7f, v10
	v_mov_b32_e32 v1, 0x7c01
	s_mov_b32 s1, exec_lo
	s_delay_alu instid0(VALU_DEP_2)
	v_cmpx_ne_u32_e32 0x7f, v2
	s_cbranch_execz .LBB243_113
; %bb.112:                              ;   in Loop: Header=BB243_104 Depth=1
	v_and_b32_e32 v1, 7, v10
	v_cmp_gt_u32_e32 vcc_lo, 8, v2
	s_delay_alu instid0(VALU_DEP_2) | instskip(NEXT) | instid1(VALU_DEP_1)
	v_clz_i32_u32_e32 v9, v1
	v_min_u32_e32 v9, 32, v9
	s_delay_alu instid0(VALU_DEP_1) | instskip(SKIP_1) | instid1(VALU_DEP_2)
	v_subrev_nc_u32_e32 v12, 28, v9
	v_sub_nc_u32_e32 v9, 29, v9
	v_lshlrev_b64_e32 v[12:13], v12, v[10:11]
	s_delay_alu instid0(VALU_DEP_1) | instskip(NEXT) | instid1(VALU_DEP_1)
	v_dual_lshrrev_b32 v13, 3, v2 :: v_dual_bitop2_b32 v12, 7, v12 bitop3:0x40
	v_dual_cndmask_b32 v2, v13, v9 :: v_dual_lshlrev_b32 v9, 8, v10
	s_delay_alu instid0(VALU_DEP_2) | instskip(NEXT) | instid1(VALU_DEP_2)
	v_cndmask_b32_e32 v1, v1, v12, vcc_lo
	v_lshl_add_u32 v2, v2, 10, 0x2000
	s_delay_alu instid0(VALU_DEP_1) | instskip(NEXT) | instid1(VALU_DEP_1)
	v_and_b32_e32 v2, 0xfc00, v2
	v_and_or_b32 v2, 0x8000, v9, v2
	s_delay_alu instid0(VALU_DEP_1)
	v_lshl_or_b32 v1, v1, 7, v2
.LBB243_113:                            ;   in Loop: Header=BB243_104 Depth=1
	s_or_b32 exec_lo, exec_lo, s1
.LBB243_114:                            ;   in Loop: Header=BB243_104 Depth=1
	s_delay_alu instid0(SALU_CYCLE_1) | instskip(SKIP_3) | instid1(VALU_DEP_1)
	s_or_b32 exec_lo, exec_lo, s0
	v_lshrrev_b16 v2, 8, v10
	s_mov_b32 s1, 0
	s_mov_b32 s0, exec_lo
	v_cmpx_lt_i16_e32 0x7f, v2
	s_xor_b32 s0, exec_lo, s0
	s_cbranch_execz .LBB243_118
; %bb.115:                              ;   in Loop: Header=BB243_104 Depth=1
	s_mov_b32 s1, -1
	s_mov_b32 s15, exec_lo
	v_cmpx_eq_u16_e32 0x80, v2
; %bb.116:                              ;   in Loop: Header=BB243_104 Depth=1
	s_xor_b32 s1, exec_lo, -1
; %bb.117:                              ;   in Loop: Header=BB243_104 Depth=1
	s_or_b32 exec_lo, exec_lo, s15
	s_delay_alu instid0(SALU_CYCLE_1)
	s_and_b32 s1, s1, exec_lo
.LBB243_118:                            ;   in Loop: Header=BB243_104 Depth=1
	s_or_saveexec_b32 s0, s0
	v_bfrev_b32_e32 v9, 1
	v_and_b32_e32 v12, 0xffff, v2
	s_xor_b32 exec_lo, exec_lo, s0
; %bb.119:                              ;   in Loop: Header=BB243_104 Depth=1
	v_cmp_ne_u16_e32 vcc_lo, 0, v2
	s_delay_alu instid0(VALU_DEP_2) | instskip(SKIP_2) | instid1(SALU_CYCLE_1)
	v_mov_b32_e32 v9, v12
	s_and_not1_b32 s1, s1, exec_lo
	s_and_b32 s15, vcc_lo, exec_lo
	s_or_b32 s1, s1, s15
; %bb.120:                              ;   in Loop: Header=BB243_104 Depth=1
	s_or_b32 exec_lo, exec_lo, s0
	s_and_saveexec_b32 s0, s1
	s_cbranch_execz .LBB243_124
; %bb.121:                              ;   in Loop: Header=BB243_104 Depth=1
	v_and_b32_e32 v13, 0x7f, v12
	v_mov_b32_e32 v9, 0x7c010000
	s_mov_b32 s1, exec_lo
	s_delay_alu instid0(VALU_DEP_2)
	v_cmpx_ne_u32_e32 0x7f, v13
	s_cbranch_execz .LBB243_123
; %bb.122:                              ;   in Loop: Header=BB243_104 Depth=1
	v_and_b32_e32 v9, 7, v12
	v_cmp_gt_u32_e32 vcc_lo, 8, v13
	v_lshlrev_b32_e32 v12, 8, v12
	s_delay_alu instid0(VALU_DEP_3) | instskip(NEXT) | instid1(VALU_DEP_1)
	v_clz_i32_u32_e32 v14, v9
	v_min_u32_e32 v16, 32, v14
	s_delay_alu instid0(VALU_DEP_1) | instskip(NEXT) | instid1(VALU_DEP_1)
	v_subrev_nc_u32_e32 v14, 28, v16
	v_lshlrev_b64_e32 v[14:15], v14, v[2:3]
	v_dual_lshrrev_b32 v2, 3, v13 :: v_dual_sub_nc_u32 v15, 29, v16
	s_delay_alu instid0(VALU_DEP_1) | instskip(NEXT) | instid1(VALU_DEP_1)
	v_dual_cndmask_b32 v2, v2, v15, vcc_lo :: v_dual_bitop2_b32 v14, 7, v14 bitop3:0x40
	v_cndmask_b32_e32 v9, v9, v14, vcc_lo
	s_delay_alu instid0(VALU_DEP_2) | instskip(NEXT) | instid1(VALU_DEP_1)
	v_lshl_add_u32 v2, v2, 10, 0x2000
	v_and_or_b32 v2, 0x8000, v12, v2
	s_delay_alu instid0(VALU_DEP_1) | instskip(NEXT) | instid1(VALU_DEP_1)
	v_lshlrev_b32_e32 v2, 16, v2
	v_lshl_or_b32 v9, v9, 23, v2
.LBB243_123:                            ;   in Loop: Header=BB243_104 Depth=1
	s_or_b32 exec_lo, exec_lo, s1
.LBB243_124:                            ;   in Loop: Header=BB243_104 Depth=1
	s_delay_alu instid0(SALU_CYCLE_1) | instskip(SKIP_3) | instid1(VALU_DEP_1)
	s_or_b32 exec_lo, exec_lo, s0
	v_lshrrev_b32_e32 v2, 16, v10
	s_mov_b32 s1, 0
	s_mov_b32 s0, exec_lo
	v_and_b32_e32 v13, 0xff, v2
	s_delay_alu instid0(VALU_DEP_1)
	v_cmpx_lt_i16_e32 0x7f, v13
	s_xor_b32 s0, exec_lo, s0
	s_cbranch_execnz .LBB243_127
; %bb.125:                              ;   in Loop: Header=BB243_104 Depth=1
	s_or_saveexec_b32 s0, s0
	v_mov_b32_e32 v12, 0x8000
	s_xor_b32 exec_lo, exec_lo, s0
	s_cbranch_execnz .LBB243_130
.LBB243_126:                            ;   in Loop: Header=BB243_104 Depth=1
	s_or_b32 exec_lo, exec_lo, s0
	s_and_saveexec_b32 s0, s1
	s_cbranch_execnz .LBB243_131
	s_branch .LBB243_134
.LBB243_127:                            ;   in Loop: Header=BB243_104 Depth=1
	s_mov_b32 s1, -1
	s_mov_b32 s15, exec_lo
	v_cmpx_eq_u16_e32 0x80, v13
; %bb.128:                              ;   in Loop: Header=BB243_104 Depth=1
	s_xor_b32 s1, exec_lo, -1
; %bb.129:                              ;   in Loop: Header=BB243_104 Depth=1
	s_or_b32 exec_lo, exec_lo, s15
	s_delay_alu instid0(SALU_CYCLE_1)
	s_and_b32 s1, s1, exec_lo
                                        ; implicit-def: $vgpr13
	s_or_saveexec_b32 s0, s0
	v_mov_b32_e32 v12, 0x8000
	s_xor_b32 exec_lo, exec_lo, s0
	s_cbranch_execz .LBB243_126
.LBB243_130:                            ;   in Loop: Header=BB243_104 Depth=1
	v_cmp_ne_u16_e32 vcc_lo, 0, v13
	v_and_b32_e32 v12, 0xffff, v13
	s_and_not1_b32 s1, s1, exec_lo
	s_and_b32 s15, vcc_lo, exec_lo
	s_delay_alu instid0(SALU_CYCLE_1)
	s_or_b32 s1, s1, s15
	s_or_b32 exec_lo, exec_lo, s0
	s_and_saveexec_b32 s0, s1
	s_cbranch_execz .LBB243_134
.LBB243_131:                            ;   in Loop: Header=BB243_104 Depth=1
	v_and_b32_e32 v13, 0x7f, v2
	v_mov_b32_e32 v12, 0x7c01
	s_mov_b32 s1, exec_lo
	s_delay_alu instid0(VALU_DEP_2)
	v_cmpx_ne_u32_e32 0x7f, v13
	s_cbranch_execz .LBB243_133
; %bb.132:                              ;   in Loop: Header=BB243_104 Depth=1
	v_and_b32_e32 v12, 7, v2
	v_cmp_gt_u32_e32 vcc_lo, 8, v13
	s_delay_alu instid0(VALU_DEP_2) | instskip(NEXT) | instid1(VALU_DEP_1)
	v_clz_i32_u32_e32 v14, v12
	v_min_u32_e32 v16, 32, v14
	s_delay_alu instid0(VALU_DEP_1) | instskip(NEXT) | instid1(VALU_DEP_1)
	v_subrev_nc_u32_e32 v14, 28, v16
	v_lshlrev_b64_e32 v[14:15], v14, v[2:3]
	v_dual_lshrrev_b32 v15, 3, v13 :: v_dual_sub_nc_u32 v16, 29, v16
	v_lshlrev_b32_e32 v2, 8, v2
	s_delay_alu instid0(VALU_DEP_2) | instskip(NEXT) | instid1(VALU_DEP_1)
	v_dual_cndmask_b32 v13, v15, v16, vcc_lo :: v_dual_bitop2_b32 v14, 7, v14 bitop3:0x40
	v_cndmask_b32_e32 v12, v12, v14, vcc_lo
	s_delay_alu instid0(VALU_DEP_2) | instskip(NEXT) | instid1(VALU_DEP_1)
	v_lshl_add_u32 v13, v13, 10, 0x2000
	v_and_b32_e32 v13, 0xfc00, v13
	s_delay_alu instid0(VALU_DEP_1) | instskip(NEXT) | instid1(VALU_DEP_1)
	v_and_or_b32 v2, 0x8000, v2, v13
	v_lshl_or_b32 v12, v12, 7, v2
.LBB243_133:                            ;   in Loop: Header=BB243_104 Depth=1
	s_or_b32 exec_lo, exec_lo, s1
.LBB243_134:                            ;   in Loop: Header=BB243_104 Depth=1
	s_delay_alu instid0(SALU_CYCLE_1) | instskip(SKIP_3) | instid1(VALU_DEP_3)
	s_or_b32 exec_lo, exec_lo, s0
	v_lshrrev_b32_e32 v2, 24, v10
	v_bfe_u32 v14, v10, 24, 7
	v_cmp_gt_u32_e64 s1, 0x1000000, v10
	v_cmp_eq_u32_e32 vcc_lo, 0x80, v2
	s_delay_alu instid0(VALU_DEP_3) | instskip(SKIP_2) | instid1(VALU_DEP_1)
	v_cmp_eq_u32_e64 s0, 0x7f, v14
	v_cndmask_b32_e32 v13, 0x7c010000, v22, vcc_lo
	s_or_b32 s0, vcc_lo, s0
	v_cndmask_b32_e64 v13, v13, 0, s1
	s_nor_b32 s1, s1, s0
	s_delay_alu instid0(SALU_CYCLE_1)
	s_and_saveexec_b32 s0, s1
	s_cbranch_execz .LBB243_136
; %bb.135:                              ;   in Loop: Header=BB243_104 Depth=1
	v_and_b32_e32 v13, 7, v2
	v_cmp_gt_u32_e32 vcc_lo, 8, v14
	s_delay_alu instid0(VALU_DEP_2) | instskip(NEXT) | instid1(VALU_DEP_1)
	v_clz_i32_u32_e32 v15, v13
	v_min_u32_e32 v15, 32, v15
	s_delay_alu instid0(VALU_DEP_1) | instskip(SKIP_1) | instid1(VALU_DEP_2)
	v_subrev_nc_u32_e32 v16, 28, v15
	v_sub_nc_u32_e32 v15, 29, v15
	v_lshlrev_b64_e32 v[16:17], v16, v[2:3]
	v_lshrrev_b32_e32 v17, 3, v14
	s_delay_alu instid0(VALU_DEP_2) | instskip(NEXT) | instid1(VALU_DEP_2)
	v_dual_lshlrev_b32 v2, 8, v2 :: v_dual_bitop2_b32 v16, 7, v16 bitop3:0x40
	v_cndmask_b32_e32 v14, v17, v15, vcc_lo
	s_delay_alu instid0(VALU_DEP_2) | instskip(NEXT) | instid1(VALU_DEP_2)
	v_cndmask_b32_e32 v13, v13, v16, vcc_lo
	v_lshl_add_u32 v14, v14, 10, 0x2000
	s_delay_alu instid0(VALU_DEP_1) | instskip(NEXT) | instid1(VALU_DEP_1)
	v_and_or_b32 v2, 0x8000, v2, v14
	v_lshlrev_b32_e32 v2, 16, v2
	s_delay_alu instid0(VALU_DEP_1)
	v_lshl_or_b32 v13, v13, 23, v2
.LBB243_136:                            ;   in Loop: Header=BB243_104 Depth=1
	s_or_b32 exec_lo, exec_lo, s0
	v_and_b32_e32 v15, 0xff, v11
	v_mov_b32_e32 v2, v11
	s_mov_b32 s1, 0
	s_mov_b32 s0, exec_lo
	s_delay_alu instid0(VALU_DEP_2)
	v_cmpx_lt_i16_e32 0x7f, v15
	s_xor_b32 s0, exec_lo, s0
	s_cbranch_execnz .LBB243_139
; %bb.137:                              ;   in Loop: Header=BB243_104 Depth=1
	s_or_saveexec_b32 s0, s0
	v_mov_b32_e32 v14, 0x8000
	s_xor_b32 exec_lo, exec_lo, s0
	s_cbranch_execnz .LBB243_142
.LBB243_138:                            ;   in Loop: Header=BB243_104 Depth=1
	s_or_b32 exec_lo, exec_lo, s0
	s_and_saveexec_b32 s0, s1
	s_cbranch_execnz .LBB243_143
	s_branch .LBB243_146
.LBB243_139:                            ;   in Loop: Header=BB243_104 Depth=1
	s_mov_b32 s1, -1
	s_mov_b32 s15, exec_lo
	v_cmpx_eq_u16_e32 0x80, v15
; %bb.140:                              ;   in Loop: Header=BB243_104 Depth=1
	s_xor_b32 s1, exec_lo, -1
; %bb.141:                              ;   in Loop: Header=BB243_104 Depth=1
	s_or_b32 exec_lo, exec_lo, s15
	s_delay_alu instid0(SALU_CYCLE_1)
	s_and_b32 s1, s1, exec_lo
                                        ; implicit-def: $vgpr15
	s_or_saveexec_b32 s0, s0
	v_mov_b32_e32 v14, 0x8000
	s_xor_b32 exec_lo, exec_lo, s0
	s_cbranch_execz .LBB243_138
.LBB243_142:                            ;   in Loop: Header=BB243_104 Depth=1
	v_cmp_ne_u16_e32 vcc_lo, 0, v15
	v_and_b32_e32 v14, 0xffff, v15
	s_and_not1_b32 s1, s1, exec_lo
	s_and_b32 s15, vcc_lo, exec_lo
	s_delay_alu instid0(SALU_CYCLE_1)
	s_or_b32 s1, s1, s15
	s_or_b32 exec_lo, exec_lo, s0
	s_and_saveexec_b32 s0, s1
	s_cbranch_execz .LBB243_146
.LBB243_143:                            ;   in Loop: Header=BB243_104 Depth=1
	v_and_b32_e32 v15, 0x7f, v11
	v_mov_b32_e32 v14, 0x7c01
	s_mov_b32 s1, exec_lo
	s_delay_alu instid0(VALU_DEP_2)
	v_cmpx_ne_u32_e32 0x7f, v15
	s_cbranch_execz .LBB243_145
; %bb.144:                              ;   in Loop: Header=BB243_104 Depth=1
	v_and_b32_e32 v14, 7, v11
	v_cmp_gt_u32_e32 vcc_lo, 8, v15
	s_delay_alu instid0(VALU_DEP_2) | instskip(NEXT) | instid1(VALU_DEP_1)
	v_clz_i32_u32_e32 v16, v14
	v_min_u32_e32 v33, 32, v16
	s_delay_alu instid0(VALU_DEP_1) | instskip(SKIP_1) | instid1(VALU_DEP_2)
	v_subrev_nc_u32_e32 v16, 28, v33
	v_sub_nc_u32_e32 v33, 29, v33
	v_lshlrev_b64_e32 v[16:17], v16, v[2:3]
	s_delay_alu instid0(VALU_DEP_1) | instskip(NEXT) | instid1(VALU_DEP_1)
	v_dual_lshrrev_b32 v17, 3, v15 :: v_dual_bitop2_b32 v16, 7, v16 bitop3:0x40
	v_dual_cndmask_b32 v15, v17, v33 :: v_dual_cndmask_b32 v14, v14, v16
	v_lshlrev_b32_e32 v16, 8, v11
	s_delay_alu instid0(VALU_DEP_2) | instskip(NEXT) | instid1(VALU_DEP_1)
	v_lshl_add_u32 v15, v15, 10, 0x2000
	v_and_b32_e32 v15, 0xfc00, v15
	s_delay_alu instid0(VALU_DEP_1) | instskip(NEXT) | instid1(VALU_DEP_1)
	v_and_or_b32 v15, 0x8000, v16, v15
	v_lshl_or_b32 v14, v14, 7, v15
.LBB243_145:                            ;   in Loop: Header=BB243_104 Depth=1
	s_or_b32 exec_lo, exec_lo, s1
.LBB243_146:                            ;   in Loop: Header=BB243_104 Depth=1
	s_delay_alu instid0(SALU_CYCLE_1) | instskip(SKIP_3) | instid1(VALU_DEP_1)
	s_or_b32 exec_lo, exec_lo, s0
	v_lshrrev_b16 v2, 8, v2
	s_mov_b32 s1, 0
	s_mov_b32 s0, exec_lo
	v_cmpx_lt_i16_e32 0x7f, v2
	s_xor_b32 s0, exec_lo, s0
	s_cbranch_execz .LBB243_150
; %bb.147:                              ;   in Loop: Header=BB243_104 Depth=1
	s_mov_b32 s1, -1
	s_mov_b32 s15, exec_lo
	v_cmpx_eq_u16_e32 0x80, v2
; %bb.148:                              ;   in Loop: Header=BB243_104 Depth=1
	s_xor_b32 s1, exec_lo, -1
; %bb.149:                              ;   in Loop: Header=BB243_104 Depth=1
	s_or_b32 exec_lo, exec_lo, s15
	s_delay_alu instid0(SALU_CYCLE_1)
	s_and_b32 s1, s1, exec_lo
.LBB243_150:                            ;   in Loop: Header=BB243_104 Depth=1
	s_or_saveexec_b32 s0, s0
	v_bfrev_b32_e32 v15, 1
	v_and_b32_e32 v16, 0xffff, v2
	s_xor_b32 exec_lo, exec_lo, s0
; %bb.151:                              ;   in Loop: Header=BB243_104 Depth=1
	v_cmp_ne_u16_e32 vcc_lo, 0, v2
	s_delay_alu instid0(VALU_DEP_2) | instskip(SKIP_2) | instid1(SALU_CYCLE_1)
	v_mov_b32_e32 v15, v16
	s_and_not1_b32 s1, s1, exec_lo
	s_and_b32 s15, vcc_lo, exec_lo
	s_or_b32 s1, s1, s15
; %bb.152:                              ;   in Loop: Header=BB243_104 Depth=1
	s_or_b32 exec_lo, exec_lo, s0
	s_and_saveexec_b32 s0, s1
	s_cbranch_execz .LBB243_156
; %bb.153:                              ;   in Loop: Header=BB243_104 Depth=1
	v_and_b32_e32 v17, 0x7f, v16
	v_mov_b32_e32 v15, 0x7c010000
	s_mov_b32 s1, exec_lo
	s_delay_alu instid0(VALU_DEP_2)
	v_cmpx_ne_u32_e32 0x7f, v17
	s_cbranch_execz .LBB243_155
; %bb.154:                              ;   in Loop: Header=BB243_104 Depth=1
	v_and_b32_e32 v15, 7, v16
	v_cmp_gt_u32_e32 vcc_lo, 8, v17
	v_lshlrev_b32_e32 v16, 8, v16
	s_delay_alu instid0(VALU_DEP_3) | instskip(NEXT) | instid1(VALU_DEP_1)
	v_clz_i32_u32_e32 v33, v15
	v_min_u32_e32 v33, 32, v33
	s_delay_alu instid0(VALU_DEP_1) | instskip(NEXT) | instid1(VALU_DEP_1)
	v_subrev_nc_u32_e32 v34, 28, v33
	v_lshlrev_b64_e32 v[34:35], v34, v[2:3]
	v_lshrrev_b32_e32 v2, 3, v17
	s_delay_alu instid0(VALU_DEP_2) | instskip(NEXT) | instid1(VALU_DEP_1)
	v_dual_sub_nc_u32 v33, 29, v33 :: v_dual_bitop2_b32 v34, 7, v34 bitop3:0x40
	v_dual_cndmask_b32 v2, v2, v33 :: v_dual_cndmask_b32 v15, v15, v34
	s_delay_alu instid0(VALU_DEP_1) | instskip(NEXT) | instid1(VALU_DEP_1)
	v_lshl_add_u32 v2, v2, 10, 0x2000
	v_and_or_b32 v2, 0x8000, v16, v2
	s_delay_alu instid0(VALU_DEP_1) | instskip(NEXT) | instid1(VALU_DEP_1)
	v_lshlrev_b32_e32 v2, 16, v2
	v_lshl_or_b32 v15, v15, 23, v2
.LBB243_155:                            ;   in Loop: Header=BB243_104 Depth=1
	s_or_b32 exec_lo, exec_lo, s1
.LBB243_156:                            ;   in Loop: Header=BB243_104 Depth=1
	s_delay_alu instid0(SALU_CYCLE_1) | instskip(SKIP_3) | instid1(VALU_DEP_1)
	s_or_b32 exec_lo, exec_lo, s0
	v_lshrrev_b32_e32 v2, 16, v11
	s_mov_b32 s1, 0
	s_mov_b32 s0, exec_lo
	v_and_b32_e32 v17, 0xff, v2
	s_delay_alu instid0(VALU_DEP_1)
	v_cmpx_lt_i16_e32 0x7f, v17
	s_xor_b32 s0, exec_lo, s0
	s_cbranch_execnz .LBB243_159
; %bb.157:                              ;   in Loop: Header=BB243_104 Depth=1
	s_or_saveexec_b32 s0, s0
	v_mov_b32_e32 v16, 0x8000
	s_xor_b32 exec_lo, exec_lo, s0
	s_cbranch_execnz .LBB243_162
.LBB243_158:                            ;   in Loop: Header=BB243_104 Depth=1
	s_or_b32 exec_lo, exec_lo, s0
	s_and_saveexec_b32 s0, s1
	s_cbranch_execnz .LBB243_163
	s_branch .LBB243_166
.LBB243_159:                            ;   in Loop: Header=BB243_104 Depth=1
	s_mov_b32 s1, -1
	s_mov_b32 s15, exec_lo
	v_cmpx_eq_u16_e32 0x80, v17
; %bb.160:                              ;   in Loop: Header=BB243_104 Depth=1
	s_xor_b32 s1, exec_lo, -1
; %bb.161:                              ;   in Loop: Header=BB243_104 Depth=1
	s_or_b32 exec_lo, exec_lo, s15
	s_delay_alu instid0(SALU_CYCLE_1)
	s_and_b32 s1, s1, exec_lo
                                        ; implicit-def: $vgpr17
	s_or_saveexec_b32 s0, s0
	v_mov_b32_e32 v16, 0x8000
	s_xor_b32 exec_lo, exec_lo, s0
	s_cbranch_execz .LBB243_158
.LBB243_162:                            ;   in Loop: Header=BB243_104 Depth=1
	v_cmp_ne_u16_e32 vcc_lo, 0, v17
	v_and_b32_e32 v16, 0xffff, v17
	s_and_not1_b32 s1, s1, exec_lo
	s_and_b32 s15, vcc_lo, exec_lo
	s_delay_alu instid0(SALU_CYCLE_1)
	s_or_b32 s1, s1, s15
	s_or_b32 exec_lo, exec_lo, s0
	s_and_saveexec_b32 s0, s1
	s_cbranch_execz .LBB243_166
.LBB243_163:                            ;   in Loop: Header=BB243_104 Depth=1
	v_and_b32_e32 v17, 0x7f, v2
	v_mov_b32_e32 v16, 0x7c01
	s_mov_b32 s1, exec_lo
	s_delay_alu instid0(VALU_DEP_2)
	v_cmpx_ne_u32_e32 0x7f, v17
	s_cbranch_execz .LBB243_165
; %bb.164:                              ;   in Loop: Header=BB243_104 Depth=1
	v_and_b32_e32 v16, 7, v2
	v_cmp_gt_u32_e32 vcc_lo, 8, v17
	s_delay_alu instid0(VALU_DEP_2) | instskip(NEXT) | instid1(VALU_DEP_1)
	v_clz_i32_u32_e32 v33, v16
	v_min_u32_e32 v33, 32, v33
	s_delay_alu instid0(VALU_DEP_1) | instskip(NEXT) | instid1(VALU_DEP_1)
	v_subrev_nc_u32_e32 v34, 28, v33
	v_lshlrev_b64_e32 v[34:35], v34, v[2:3]
	v_lshrrev_b32_e32 v35, 3, v17
	v_dual_sub_nc_u32 v33, 29, v33 :: v_dual_lshlrev_b32 v2, 8, v2
	s_delay_alu instid0(VALU_DEP_1) | instskip(NEXT) | instid1(VALU_DEP_1)
	v_dual_cndmask_b32 v17, v35, v33, vcc_lo :: v_dual_bitop2_b32 v34, 7, v34 bitop3:0x40
	v_cndmask_b32_e32 v16, v16, v34, vcc_lo
	s_delay_alu instid0(VALU_DEP_2) | instskip(NEXT) | instid1(VALU_DEP_1)
	v_lshl_add_u32 v17, v17, 10, 0x2000
	v_and_b32_e32 v17, 0xfc00, v17
	s_delay_alu instid0(VALU_DEP_1) | instskip(NEXT) | instid1(VALU_DEP_1)
	v_and_or_b32 v2, 0x8000, v2, v17
	v_lshl_or_b32 v16, v16, 7, v2
.LBB243_165:                            ;   in Loop: Header=BB243_104 Depth=1
	s_or_b32 exec_lo, exec_lo, s1
.LBB243_166:                            ;   in Loop: Header=BB243_104 Depth=1
	s_delay_alu instid0(SALU_CYCLE_1) | instskip(SKIP_3) | instid1(VALU_DEP_3)
	s_or_b32 exec_lo, exec_lo, s0
	v_lshrrev_b32_e32 v2, 24, v11
	v_bfe_u32 v17, v11, 24, 7
	v_cmp_gt_u64_e64 s1, s[2:3], v[10:11]
	v_cmp_eq_u32_e64 s0, 0x80, v2
	s_delay_alu instid0(VALU_DEP_3) | instskip(NEXT) | instid1(VALU_DEP_2)
	v_cmp_eq_u32_e32 vcc_lo, 0x7f, v17
	v_cndmask_b32_e64 v33, 0x7c010000, v22, s0
	s_or_b32 s0, s0, vcc_lo
	s_delay_alu instid0(VALU_DEP_1) | instskip(SKIP_1) | instid1(SALU_CYCLE_1)
	v_cndmask_b32_e64 v10, v33, 0, s1
	s_nor_b32 s1, s1, s0
	s_and_saveexec_b32 s0, s1
	s_cbranch_execz .LBB243_168
; %bb.167:                              ;   in Loop: Header=BB243_104 Depth=1
	v_and_b32_e32 v33, 7, v2
	v_cmp_gt_u32_e32 vcc_lo, 8, v17
	s_delay_alu instid0(VALU_DEP_2) | instskip(NEXT) | instid1(VALU_DEP_1)
	v_clz_i32_u32_e32 v10, v33
	v_min_u32_e32 v34, 32, v10
	s_delay_alu instid0(VALU_DEP_1) | instskip(SKIP_1) | instid1(VALU_DEP_2)
	v_subrev_nc_u32_e32 v10, 28, v34
	v_sub_nc_u32_e32 v34, 29, v34
	v_lshlrev_b64_e32 v[10:11], v10, v[2:3]
	v_dual_lshrrev_b32 v11, 3, v17 :: v_dual_lshlrev_b32 v2, 8, v2
	s_delay_alu instid0(VALU_DEP_1) | instskip(NEXT) | instid1(VALU_DEP_3)
	v_cndmask_b32_e32 v11, v11, v34, vcc_lo
	v_and_b32_e32 v10, 7, v10
	s_delay_alu instid0(VALU_DEP_2) | instskip(NEXT) | instid1(VALU_DEP_2)
	v_lshl_add_u32 v11, v11, 10, 0x2000
	v_cndmask_b32_e32 v10, v33, v10, vcc_lo
	s_delay_alu instid0(VALU_DEP_2) | instskip(NEXT) | instid1(VALU_DEP_1)
	v_and_or_b32 v2, 0x8000, v2, v11
	v_lshlrev_b32_e32 v2, 16, v2
	s_delay_alu instid0(VALU_DEP_1)
	v_lshl_or_b32 v10, v10, 23, v2
.LBB243_168:                            ;   in Loop: Header=BB243_104 Depth=1
	s_or_b32 exec_lo, exec_lo, s0
	v_lshrrev_b32_e32 v2, 16, v9
	v_lshrrev_b32_e32 v11, 16, v13
	v_or_b32_e32 v1, v9, v1
	v_or_b32_e32 v9, v13, v12
	s_mov_b32 s0, exec_lo
	v_cvt_f32_f16_e32 v13, v2
	v_or_b32_e32 v2, v10, v16
	v_cvt_f32_f16_e32 v12, v11
	v_lshrrev_b32_e32 v16, 16, v15
	v_cvt_f32_f16_e32 v11, v1
	s_wait_loadcnt 0x0
	s_delay_alu instid0(VALU_DEP_3) | instskip(NEXT) | instid1(VALU_DEP_1)
	v_pk_mul_f32 v[12:13], v[8:9], v[12:13] op_sel_hi:[0,1]
	v_cvt_pk_f16_f32 v1, v12, v13
	v_lshrrev_b32_e32 v17, 16, v10
	v_cvt_f32_f16_e32 v10, v9
	v_or_b32_e32 v9, v15, v14
	v_cvt_f32_f16_e32 v15, v16
	v_cvt_f32_f16_e32 v16, v2
	;; [unrolled: 1-line block ×3, first 2 shown]
	s_delay_alu instid0(VALU_DEP_4) | instskip(SKIP_1) | instid1(VALU_DEP_3)
	v_cvt_f32_f16_e32 v17, v9
	v_pk_mul_f32 v[10:11], v[8:9], v[10:11] op_sel_hi:[0,1]
	v_pk_mul_f32 v[12:13], v[8:9], v[14:15] op_sel_hi:[0,1]
	s_delay_alu instid0(VALU_DEP_3) | instskip(NEXT) | instid1(VALU_DEP_3)
	v_pk_mul_f32 v[14:15], v[8:9], v[16:17] op_sel_hi:[0,1]
	v_cvt_pk_f16_f32 v2, v10, v11
	v_and_b32_e32 v11, 0xffff0000, v1
	s_delay_alu instid0(VALU_DEP_4)
	v_cvt_pk_f16_f32 v9, v12, v13
	v_lshlrev_b32_e32 v8, 16, v1
	v_cvt_pk_f16_f32 v10, v14, v15
	v_lshrrev_b32_e32 v17, 16, v2
	v_and_b32_e32 v16, 0xffff, v2
	v_and_b32_e32 v1, 0xffff0000, v9
	s_delay_alu instid0(VALU_DEP_4) | instskip(NEXT) | instid1(VALU_DEP_4)
	v_dual_lshlrev_b32 v2, 16, v9 :: v_dual_lshrrev_b32 v9, 16, v10
	v_or_b32_e32 v15, v11, v17
	v_and_b32_e32 v10, 0xffff, v10
	v_or_b32_e32 v14, v8, v16
	s_delay_alu instid0(VALU_DEP_4) | instskip(NEXT) | instid1(VALU_DEP_3)
	v_or_b32_e32 v13, v1, v9
	v_or_b32_e32 v12, v2, v10
	v_cmpx_eq_u32_e64 s8, v23
	s_cbranch_execz .LBB243_103
; %bb.169:                              ;   in Loop: Header=BB243_104 Depth=1
	v_dual_add_nc_u32 v12, 2, v20 :: v_dual_bitop2_b32 v13, 1, v20 bitop3:0x54
	v_cmp_gt_i32_e32 vcc_lo, s14, v20
	v_dual_cndmask_b32 v15, 0, v17, vcc_lo :: v_dual_bitop2_b32 v14, 3, v20 bitop3:0x54
	s_delay_alu instid0(VALU_DEP_3)
	v_cmp_gt_i32_e32 vcc_lo, s23, v12
	v_or_b32_e32 v17, 7, v20
	v_cndmask_b32_e32 v12, 0, v16, vcc_lo
	v_cmp_gt_i32_e32 vcc_lo, s14, v13
	v_or_b32_e32 v13, 4, v20
	v_dual_cndmask_b32 v11, 0, v11, vcc_lo :: v_dual_bitop2_b32 v16, 5, v20 bitop3:0x54
	v_cmp_gt_i32_e32 vcc_lo, s23, v14
	v_or_b32_e32 v14, 6, v20
	s_delay_alu instid0(VALU_DEP_3) | instskip(SKIP_2) | instid1(VALU_DEP_4)
	v_dual_cndmask_b32 v8, 0, v8, vcc_lo :: v_dual_bitop2_b32 v15, v11, v15 bitop3:0x54
	v_cmp_gt_i32_e32 vcc_lo, s14, v13
	v_cndmask_b32_e32 v9, 0, v9, vcc_lo
	v_cmp_gt_i32_e32 vcc_lo, s23, v14
	v_cndmask_b32_e32 v10, 0, v10, vcc_lo
	v_cmp_gt_i32_e32 vcc_lo, s14, v16
	v_dual_cndmask_b32 v1, 0, v1, vcc_lo :: v_dual_bitop2_b32 v14, v8, v12 bitop3:0x54
	v_cmp_gt_i32_e32 vcc_lo, s23, v17
	s_delay_alu instid0(VALU_DEP_2) | instskip(NEXT) | instid1(VALU_DEP_1)
	v_dual_cndmask_b32 v2, 0, v2, vcc_lo :: v_dual_bitop2_b32 v13, v1, v9 bitop3:0x54
	v_or_b32_e32 v12, v2, v10
	s_branch .LBB243_103
.LBB243_170:
	s_or_b32 exec_lo, exec_lo, s9
.LBB243_171:
	s_delay_alu instid0(SALU_CYCLE_1)
	s_or_b32 exec_lo, exec_lo, s4
	v_and_b32_e32 v1, 0x3c0, v0
	v_lshl_add_u32 v2, v19, 2, 0x60
	s_mov_b32 s0, exec_lo
	s_barrier_signal -1
	s_barrier_wait -1
	v_cmpx_eq_u32_e32 64, v1
; %bb.172:
	v_lshlrev_b32_e32 v1, 7, v18
	s_delay_alu instid0(VALU_DEP_1)
	v_add3_u32 v1, v2, v1, 0xffffff00
	ds_store_b32 v1, v24
; %bb.173:
	s_or_b32 exec_lo, exec_lo, s0
	v_and_b32_e32 v3, 0x3e0, v0
	s_mov_b32 s0, exec_lo
	s_wait_dscnt 0x0
	s_barrier_signal -1
	s_barrier_wait -1
	v_lshl_add_u32 v1, v3, 2, v2
	v_cmpx_gt_u32_e32 64, v0
	s_cbranch_execz .LBB243_175
; %bb.174:
	ds_load_b32 v4, v1
	s_wait_dscnt 0x0
	v_add_f32_e32 v24, v24, v4
.LBB243_175:
	s_or_b32 exec_lo, exec_lo, s0
	s_delay_alu instid0(SALU_CYCLE_1)
	s_mov_b32 s0, exec_lo
	s_barrier_signal -1
	s_barrier_wait -1
	v_cmpx_eq_u32_e32 32, v3
; %bb.176:
	ds_store_b32 v2, v24
; %bb.177:
	s_or_b32 exec_lo, exec_lo, s0
	v_cmp_gt_u32_e32 vcc_lo, 32, v0
	s_wait_dscnt 0x0
	s_barrier_signal -1
	s_barrier_wait -1
	s_and_saveexec_b32 s0, vcc_lo
	s_cbranch_execz .LBB243_179
; %bb.178:
	ds_load_b32 v0, v1
	s_wait_dscnt 0x0
	v_add_f32_e32 v24, v24, v0
.LBB243_179:
	s_or_b32 exec_lo, exec_lo, s0
	s_barrier_signal -1
	s_barrier_wait -1
	s_and_saveexec_b32 s0, vcc_lo
	s_cbranch_execz .LBB243_181
; %bb.180:
	s_mul_i32 s1, s22, s13
	s_bfe_u32 s5, ttmp6, 0x40014
	s_mul_i32 s1, s1, s21
	s_mul_i32 s0, s13, s12
	s_lshl_b32 s2, s1, 5
	s_lshr_b32 s4, ttmp7, 16
	s_ashr_i32 s3, s2, 31
	s_add_co_i32 s5, s5, 1
	s_lshl_b64 s[2:3], s[2:3], 1
	s_ashr_i32 s1, s0, 31
	s_add_nc_u64 s[2:3], s[6:7], s[2:3]
	s_mul_i32 s5, s4, s5
	s_bfe_u32 s6, ttmp6, 0x40008
	s_lshl_b64 s[0:1], s[0:1], 1
	s_add_co_i32 s6, s6, s5
	s_cmp_eq_u32 s20, 0
	s_add_nc_u64 s[0:1], s[2:3], s[0:1]
	s_cselect_b32 s2, s4, s6
	s_mov_b32 s3, 0
	s_lshl_b32 s2, s2, 6
	;;#ASMSTART
	v_cvt_f16_f32 v0, v24;

	;;#ASMEND
	s_add_nc_u64 s[0:1], s[0:1], s[2:3]
	global_store_b16 v19, v0, s[0:1] scale_offset
.LBB243_181:
	s_endpgm
	.section	.rodata,"a",@progbits
	.p2align	6, 0x0
	.amdhsa_kernel _ZN4vllm25paged_attention_v1_kernelIthLi32ELi8ELi128ELNS_18Fp8KVCacheDataTypeE1ELb0EEEvPT_PKS2_PKT0_S8_ifPKiSA_iPKfiiiSC_SC_iiiii
		.amdhsa_group_segment_fixed_size 96
		.amdhsa_private_segment_fixed_size 0
		.amdhsa_kernarg_size 384
		.amdhsa_user_sgpr_count 2
		.amdhsa_user_sgpr_dispatch_ptr 0
		.amdhsa_user_sgpr_queue_ptr 0
		.amdhsa_user_sgpr_kernarg_segment_ptr 1
		.amdhsa_user_sgpr_dispatch_id 0
		.amdhsa_user_sgpr_kernarg_preload_length 0
		.amdhsa_user_sgpr_kernarg_preload_offset 0
		.amdhsa_user_sgpr_private_segment_size 0
		.amdhsa_wavefront_size32 1
		.amdhsa_uses_dynamic_stack 0
		.amdhsa_enable_private_segment 0
		.amdhsa_system_sgpr_workgroup_id_x 1
		.amdhsa_system_sgpr_workgroup_id_y 1
		.amdhsa_system_sgpr_workgroup_id_z 1
		.amdhsa_system_sgpr_workgroup_info 0
		.amdhsa_system_vgpr_workitem_id 0
		.amdhsa_next_free_vgpr 36
		.amdhsa_next_free_sgpr 32
		.amdhsa_named_barrier_count 0
		.amdhsa_reserve_vcc 1
		.amdhsa_float_round_mode_32 0
		.amdhsa_float_round_mode_16_64 0
		.amdhsa_float_denorm_mode_32 3
		.amdhsa_float_denorm_mode_16_64 3
		.amdhsa_fp16_overflow 0
		.amdhsa_memory_ordered 1
		.amdhsa_forward_progress 1
		.amdhsa_inst_pref_size 65
		.amdhsa_round_robin_scheduling 0
		.amdhsa_exception_fp_ieee_invalid_op 0
		.amdhsa_exception_fp_denorm_src 0
		.amdhsa_exception_fp_ieee_div_zero 0
		.amdhsa_exception_fp_ieee_overflow 0
		.amdhsa_exception_fp_ieee_underflow 0
		.amdhsa_exception_fp_ieee_inexact 0
		.amdhsa_exception_int_div_zero 0
	.end_amdhsa_kernel
	.section	.text._ZN4vllm25paged_attention_v1_kernelIthLi32ELi8ELi128ELNS_18Fp8KVCacheDataTypeE1ELb0EEEvPT_PKS2_PKT0_S8_ifPKiSA_iPKfiiiSC_SC_iiiii,"axG",@progbits,_ZN4vllm25paged_attention_v1_kernelIthLi32ELi8ELi128ELNS_18Fp8KVCacheDataTypeE1ELb0EEEvPT_PKS2_PKT0_S8_ifPKiSA_iPKfiiiSC_SC_iiiii,comdat
.Lfunc_end243:
	.size	_ZN4vllm25paged_attention_v1_kernelIthLi32ELi8ELi128ELNS_18Fp8KVCacheDataTypeE1ELb0EEEvPT_PKS2_PKT0_S8_ifPKiSA_iPKfiiiSC_SC_iiiii, .Lfunc_end243-_ZN4vllm25paged_attention_v1_kernelIthLi32ELi8ELi128ELNS_18Fp8KVCacheDataTypeE1ELb0EEEvPT_PKS2_PKT0_S8_ifPKiSA_iPKfiiiSC_SC_iiiii
                                        ; -- End function
	.set _ZN4vllm25paged_attention_v1_kernelIthLi32ELi8ELi128ELNS_18Fp8KVCacheDataTypeE1ELb0EEEvPT_PKS2_PKT0_S8_ifPKiSA_iPKfiiiSC_SC_iiiii.num_vgpr, 36
	.set _ZN4vllm25paged_attention_v1_kernelIthLi32ELi8ELi128ELNS_18Fp8KVCacheDataTypeE1ELb0EEEvPT_PKS2_PKT0_S8_ifPKiSA_iPKfiiiSC_SC_iiiii.num_agpr, 0
	.set _ZN4vllm25paged_attention_v1_kernelIthLi32ELi8ELi128ELNS_18Fp8KVCacheDataTypeE1ELb0EEEvPT_PKS2_PKT0_S8_ifPKiSA_iPKfiiiSC_SC_iiiii.numbered_sgpr, 32
	.set _ZN4vllm25paged_attention_v1_kernelIthLi32ELi8ELi128ELNS_18Fp8KVCacheDataTypeE1ELb0EEEvPT_PKS2_PKT0_S8_ifPKiSA_iPKfiiiSC_SC_iiiii.num_named_barrier, 0
	.set _ZN4vllm25paged_attention_v1_kernelIthLi32ELi8ELi128ELNS_18Fp8KVCacheDataTypeE1ELb0EEEvPT_PKS2_PKT0_S8_ifPKiSA_iPKfiiiSC_SC_iiiii.private_seg_size, 0
	.set _ZN4vllm25paged_attention_v1_kernelIthLi32ELi8ELi128ELNS_18Fp8KVCacheDataTypeE1ELb0EEEvPT_PKS2_PKT0_S8_ifPKiSA_iPKfiiiSC_SC_iiiii.uses_vcc, 1
	.set _ZN4vllm25paged_attention_v1_kernelIthLi32ELi8ELi128ELNS_18Fp8KVCacheDataTypeE1ELb0EEEvPT_PKS2_PKT0_S8_ifPKiSA_iPKfiiiSC_SC_iiiii.uses_flat_scratch, 0
	.set _ZN4vllm25paged_attention_v1_kernelIthLi32ELi8ELi128ELNS_18Fp8KVCacheDataTypeE1ELb0EEEvPT_PKS2_PKT0_S8_ifPKiSA_iPKfiiiSC_SC_iiiii.has_dyn_sized_stack, 0
	.set _ZN4vllm25paged_attention_v1_kernelIthLi32ELi8ELi128ELNS_18Fp8KVCacheDataTypeE1ELb0EEEvPT_PKS2_PKT0_S8_ifPKiSA_iPKfiiiSC_SC_iiiii.has_recursion, 0
	.set _ZN4vllm25paged_attention_v1_kernelIthLi32ELi8ELi128ELNS_18Fp8KVCacheDataTypeE1ELb0EEEvPT_PKS2_PKT0_S8_ifPKiSA_iPKfiiiSC_SC_iiiii.has_indirect_call, 0
	.section	.AMDGPU.csdata,"",@progbits
; Kernel info:
; codeLenInByte = 8256
; TotalNumSgprs: 34
; NumVgprs: 36
; ScratchSize: 0
; MemoryBound: 0
; FloatMode: 240
; IeeeMode: 1
; LDSByteSize: 96 bytes/workgroup (compile time only)
; SGPRBlocks: 0
; VGPRBlocks: 2
; NumSGPRsForWavesPerEU: 34
; NumVGPRsForWavesPerEU: 36
; NamedBarCnt: 0
; Occupancy: 16
; WaveLimiterHint : 1
; COMPUTE_PGM_RSRC2:SCRATCH_EN: 0
; COMPUTE_PGM_RSRC2:USER_SGPR: 2
; COMPUTE_PGM_RSRC2:TRAP_HANDLER: 0
; COMPUTE_PGM_RSRC2:TGID_X_EN: 1
; COMPUTE_PGM_RSRC2:TGID_Y_EN: 1
; COMPUTE_PGM_RSRC2:TGID_Z_EN: 1
; COMPUTE_PGM_RSRC2:TIDIG_COMP_CNT: 0
	.section	.text._ZN4vllm25paged_attention_v1_kernelIthLi64ELi8ELi128ELNS_18Fp8KVCacheDataTypeE1ELb0EEEvPT_PKS2_PKT0_S8_ifPKiSA_iPKfiiiSC_SC_iiiii,"axG",@progbits,_ZN4vllm25paged_attention_v1_kernelIthLi64ELi8ELi128ELNS_18Fp8KVCacheDataTypeE1ELb0EEEvPT_PKS2_PKT0_S8_ifPKiSA_iPKfiiiSC_SC_iiiii,comdat
	.protected	_ZN4vllm25paged_attention_v1_kernelIthLi64ELi8ELi128ELNS_18Fp8KVCacheDataTypeE1ELb0EEEvPT_PKS2_PKT0_S8_ifPKiSA_iPKfiiiSC_SC_iiiii ; -- Begin function _ZN4vllm25paged_attention_v1_kernelIthLi64ELi8ELi128ELNS_18Fp8KVCacheDataTypeE1ELb0EEEvPT_PKS2_PKT0_S8_ifPKiSA_iPKfiiiSC_SC_iiiii
	.globl	_ZN4vllm25paged_attention_v1_kernelIthLi64ELi8ELi128ELNS_18Fp8KVCacheDataTypeE1ELb0EEEvPT_PKS2_PKT0_S8_ifPKiSA_iPKfiiiSC_SC_iiiii
	.p2align	8
	.type	_ZN4vllm25paged_attention_v1_kernelIthLi64ELi8ELi128ELNS_18Fp8KVCacheDataTypeE1ELb0EEEvPT_PKS2_PKT0_S8_ifPKiSA_iPKfiiiSC_SC_iiiii,@function
_ZN4vllm25paged_attention_v1_kernelIthLi64ELi8ELi128ELNS_18Fp8KVCacheDataTypeE1ELb0EEEvPT_PKS2_PKT0_S8_ifPKiSA_iPKfiiiSC_SC_iiiii: ; @_ZN4vllm25paged_attention_v1_kernelIthLi64ELi8ELi128ELNS_18Fp8KVCacheDataTypeE1ELb0EEEvPT_PKS2_PKT0_S8_ifPKiSA_iPKfiiiSC_SC_iiiii
; %bb.0:
	s_load_b64 s[20:21], s[0:1], 0x20
	s_bfe_u32 s3, ttmp6, 0x4000c
	s_bfe_u32 s5, ttmp6, 0x40010
	s_and_b32 s4, ttmp7, 0xffff
	s_add_co_i32 s3, s3, 1
	s_add_co_i32 s5, s5, 1
	s_and_b32 s2, ttmp6, 15
	s_bfe_u32 s6, ttmp6, 0x40004
	s_mul_i32 s3, ttmp9, s3
	s_mul_i32 s5, s4, s5
	s_getreg_b32 s22, hwreg(HW_REG_IB_STS2, 6, 4)
	s_add_co_i32 s7, s2, s3
	s_add_co_i32 s6, s6, s5
	s_cmp_eq_u32 s22, 0
	s_clause 0x1
	s_load_b32 s23, s[0:1], 0x80
	s_load_b64 s[2:3], s[0:1], 0x30
	s_cselect_b32 s24, s4, s6
	s_cselect_b32 s4, ttmp9, s7
	s_wait_kmcnt 0x0
	s_abs_i32 s5, s20
	s_delay_alu instid0(SALU_CYCLE_1) | instskip(SKIP_1) | instid1(SALU_CYCLE_2)
	s_cvt_f32_u32 s6, s5
	s_sub_co_i32 s7, 0, s5
	v_rcp_iflag_f32_e32 v1, s6
	s_abs_i32 s8, s23
	v_nop
	s_delay_alu instid0(TRANS32_DEP_1) | instskip(SKIP_1) | instid1(SALU_CYCLE_3)
	v_readfirstlane_b32 s6, v1
	s_mul_f32 s6, s6, 0x4f7ffffe
	s_cvt_u32_f32 s6, s6
	s_delay_alu instid0(SALU_CYCLE_3) | instskip(NEXT) | instid1(SALU_CYCLE_1)
	s_mul_i32 s7, s7, s6
	s_mul_hi_u32 s7, s6, s7
	s_delay_alu instid0(SALU_CYCLE_1) | instskip(SKIP_4) | instid1(SALU_CYCLE_1)
	s_add_co_i32 s6, s6, s7
	s_xor_b32 s7, s23, s20
	s_mul_hi_u32 s6, s8, s6
	s_ashr_i32 s7, s7, 31
	s_mul_i32 s9, s6, s5
	s_sub_co_i32 s8, s8, s9
	s_add_co_i32 s9, s6, 1
	s_sub_co_i32 s10, s8, s5
	s_cmp_ge_u32 s8, s5
	s_cselect_b32 s6, s9, s6
	s_cselect_b32 s8, s10, s8
	s_add_co_i32 s9, s6, 1
	s_cmp_ge_u32 s8, s5
	s_load_b64 s[10:11], s[0:1], 0x40
	s_cselect_b32 s5, s9, s6
	s_mov_b32 s9, 0
	s_xor_b32 s5, s5, s7
	s_abs_i32 s8, s4
	s_sub_co_i32 s16, s5, s7
	s_mov_b32 s7, s9
	s_abs_i32 s15, s16
	s_mov_b32 s20, s9
	s_cvt_f32_u32 s5, s15
	s_sub_co_i32 s6, 0, s15
	s_delay_alu instid0(SALU_CYCLE_2) | instskip(SKIP_1) | instid1(TRANS32_DEP_1)
	v_rcp_iflag_f32_e32 v1, s5
	v_nop
	v_readfirstlane_b32 s5, v1
	s_mul_f32 s5, s5, 0x4f7ffffe
	s_delay_alu instid0(SALU_CYCLE_3) | instskip(NEXT) | instid1(SALU_CYCLE_3)
	s_cvt_u32_f32 s5, s5
	s_mul_i32 s6, s6, s5
	s_delay_alu instid0(SALU_CYCLE_1) | instskip(NEXT) | instid1(SALU_CYCLE_1)
	s_mul_hi_u32 s6, s5, s6
	s_add_co_i32 s6, s5, s6
	s_wait_kmcnt 0x0
	s_cmp_eq_u64 s[10:11], 0
	s_cbranch_scc1 .LBB244_2
; %bb.1:
	s_ashr_i32 s5, s4, 31
	s_delay_alu instid0(SALU_CYCLE_1) | instskip(NEXT) | instid1(SALU_CYCLE_1)
	s_lshl_b64 s[12:13], s[4:5], 2
	s_add_nc_u64 s[10:11], s[10:11], s[12:13]
	s_load_b32 s20, s[10:11], 0x0
.LBB244_2:
	s_load_b32 s25, s[2:3], s24 offset:0x0 scale_offset
	s_load_b96 s[12:14], s[0:1], 0x48
	v_and_b32_e32 v4, 3, v0
	s_wait_xcnt 0x0
	v_cmp_gt_u32_e64 s2, 32, v0
	s_ashr_i32 s3, s4, 31
	s_ashr_i32 s5, s16, 31
	s_mul_u64 s[10:11], s[8:9], s[6:7]
	s_lshl_b32 s6, s4, 6
	s_and_saveexec_b32 s4, s2
	s_cbranch_execz .LBB244_4
; %bb.3:
	s_load_b64 s[16:17], s[0:1], 0x8
	s_wait_kmcnt 0x0
	s_mul_i32 s18, s12, s24
	s_ashr_i32 s7, s6, 31
	s_ashr_i32 s19, s18, 31
	v_and_b32_e32 v2, 0x3fc, v0
	s_lshl_b64 s[18:19], s[18:19], 1
	s_delay_alu instid0(VALU_DEP_1) | instskip(SKIP_2) | instid1(SALU_CYCLE_1)
	v_lshl_add_u32 v2, v4, 5, v2
	s_add_nc_u64 s[16:17], s[16:17], s[18:19]
	s_lshl_b64 s[18:19], s[6:7], 1
	s_add_nc_u64 s[16:17], s[16:17], s[18:19]
	global_load_b32 v1, v0, s[16:17] scale_offset
	s_wait_loadcnt 0x0
	ds_store_b32 v2, v1
.LBB244_4:
	s_or_b32 exec_lo, exec_lo, s4
	s_wait_kmcnt 0x0
	s_add_co_i32 s4, s25, 7
	s_load_b32 s7, s[0:1], 0x38
	s_ashr_i32 s9, s4, 31
	s_xor_b32 s3, s3, s5
	s_lshr_b32 s5, s9, 29
	s_mul_i32 s9, s11, s15
	s_add_co_i32 s4, s4, s5
	s_sub_co_i32 s5, s8, s9
	s_ashr_i32 s12, s4, 3
	s_add_co_i32 s4, s11, 1
	s_sub_co_i32 s8, s5, s15
	s_cmp_ge_u32 s5, s15
	v_lshrrev_b32_e32 v22, 5, v0
	s_cselect_b32 s4, s4, s11
	s_cselect_b32 s5, s8, s5
	s_add_co_i32 s8, s4, 1
	s_cmp_ge_u32 s5, s15
	v_mbcnt_lo_u32_b32 v10, -1, 0
	s_cselect_b32 s4, s8, s4
	s_mov_b32 s5, exec_lo
	s_xor_b32 s4, s4, s3
	s_wait_kmcnt 0x0
	s_mul_i32 s16, s7, s24
	s_sub_co_i32 s4, s4, s3
	v_cmp_gt_i32_e64 s3, s12, v22
	s_ashr_i32 s17, s16, 31
	s_wait_dscnt 0x0
	s_barrier_signal -1
	s_barrier_wait -1
                                        ; implicit-def: $vgpr3
                                        ; implicit-def: $vgpr11
	v_cmpx_le_i32_e64 s12, v22
	s_xor_b32 s5, exec_lo, s5
; %bb.5:
	v_dual_mov_b32 v3, 0 :: v_dual_mov_b32 v11, 32
	v_mbcnt_lo_u32_b32 v10, -1, 0
                                        ; implicit-def: $vgpr4
; %bb.6:
	s_or_saveexec_b32 s26, s5
	s_clause 0x2
	s_load_b32 s7, s[0:1], 0x88
	s_load_b64 s[18:19], s[0:1], 0x28
	s_load_b128 s[8:11], s[0:1], 0x58
	v_dual_mov_b32 v12, 0xff7fffff :: v_dual_lshrrev_b32 v1, 3, v0
	s_mul_i32 s14, s4, s14
	s_xor_b32 exec_lo, exec_lo, s26
	s_cbranch_execz .LBB244_140
; %bb.7:
	s_load_b64 s[4:5], s[0:1], 0x10
	v_bfe_u32 v8, v0, 2, 3
	v_mov_b32_e32 v3, 0
	s_ashr_i32 s15, s14, 31
	s_cmp_neq_f32 s20, 0
	v_cmp_eq_u32_e32 vcc_lo, 0, v4
	v_dual_lshlrev_b32 v2, 4, v8 :: v_dual_lshlrev_b32 v5, 2, v8
	v_mov_b32_e32 v12, 0xff7fffff
	v_lshl_or_b32 v14, v22, 3, v8
	v_mov_b32_e32 v11, 32
	s_mov_b32 s27, s13
	v_lshl_or_b32 v9, v22, 5, v5
	v_dual_mov_b32 v16, v22 :: v_dual_lshlrev_b32 v13, 5, v4
	s_delay_alu instid0(VALU_DEP_2)
	v_add_nc_u32_e32 v15, 0xa0, v9
	s_wait_kmcnt 0x0
	s_add_nc_u64 s[4:5], s[4:5], s[14:15]
	s_mov_b32 s15, 0
	v_add_nc_u64_e32 v[6:7], s[4:5], v[2:3]
	v_lshlrev_b32_e32 v2, 1, v4
	s_cselect_b32 s4, -1, 0
	s_lshl_b64 s[28:29], s[16:17], 2
	s_delay_alu instid0(SALU_CYCLE_1) | instskip(NEXT) | instid1(VALU_DEP_1)
	s_add_nc_u64 s[28:29], s[18:19], s[28:29]
	v_add_nc_u64_e32 v[4:5], v[6:7], v[2:3]
	v_and_b32_e32 v2, 0x7c, v1
	s_delay_alu instid0(VALU_DEP_1)
	v_add_nc_u64_e32 v[6:7], s[28:29], v[2:3]
	s_sub_co_i32 s28, 1, s25
	s_branch .LBB244_9
.LBB244_8:                              ;   in Loop: Header=BB244_9 Depth=1
	s_or_b32 exec_lo, exec_lo, s29
	v_dual_add_nc_u32 v16, 4, v16 :: v_dual_add_nc_u32 v14, 32, v14
	v_add_nc_u64_e32 v[6:7], 16, v[6:7]
	v_add_nc_u32_e32 v15, 0x80, v15
	s_delay_alu instid0(VALU_DEP_3) | instskip(SKIP_1) | instid1(SALU_CYCLE_1)
	v_cmp_le_i32_e64 s5, s12, v16
	s_or_b32 s15, s5, s15
	s_and_not1_b32 exec_lo, exec_lo, s15
	s_cbranch_execz .LBB244_139
.LBB244_9:                              ; =>This Inner Loop Header: Depth=1
	global_load_b32 v2, v[6:7], off
	v_mov_b32_e32 v18, 0
	s_wait_loadcnt_dscnt 0x0
	v_mad_nc_i64_i32 v[8:9], v2, s27, v[4:5]
	global_load_u16 v2, v[8:9], off
	s_wait_loadcnt 0x0
	v_and_b32_e32 v19, 0xff, v2
	v_and_b32_e32 v2, 0xffff, v2
	s_delay_alu instid0(VALU_DEP_2)
	v_cmp_ne_u16_e64 s5, 0, v19
	v_mov_b32_e32 v19, 0
	global_load_b32 v17, v18, s[8:9]
	s_wait_xcnt 0x0
	s_and_saveexec_b32 s29, s5
	s_cbranch_execz .LBB244_17
; %bb.10:                               ;   in Loop: Header=BB244_9 Depth=1
	v_and_b32_e32 v19, 0xff, v2
	s_delay_alu instid0(VALU_DEP_1)
	v_cmp_ne_u16_e64 s5, 0x80, v19
	v_mov_b32_e32 v19, 0x8000
	s_and_saveexec_b32 s30, s5
	s_cbranch_execz .LBB244_16
; %bb.11:                               ;   in Loop: Header=BB244_9 Depth=1
	v_and_b32_e32 v21, 0x7f, v2
	v_mov_b32_e32 v19, 0x7c01
	s_mov_b32 s31, exec_lo
	s_delay_alu instid0(VALU_DEP_2)
	v_cmpx_ne_u32_e32 0x7f, v21
	s_cbranch_execz .LBB244_15
; %bb.12:                               ;   in Loop: Header=BB244_9 Depth=1
	v_dual_lshrrev_b32 v20, 3, v21 :: v_dual_bitop2_b32 v19, 7, v2 bitop3:0x40
	s_mov_b32 s33, exec_lo
	v_cmpx_gt_u32_e32 8, v21
; %bb.13:                               ;   in Loop: Header=BB244_9 Depth=1
	s_delay_alu instid0(VALU_DEP_2) | instskip(NEXT) | instid1(VALU_DEP_1)
	v_clz_i32_u32_e32 v19, v19
	v_min_u32_e32 v19, 32, v19
	s_delay_alu instid0(VALU_DEP_1) | instskip(NEXT) | instid1(VALU_DEP_1)
	v_subrev_nc_u32_e32 v20, 28, v19
	v_lshlrev_b64_e32 v[24:25], v20, v[2:3]
	s_delay_alu instid0(VALU_DEP_1)
	v_dual_sub_nc_u32 v20, 29, v19 :: v_dual_bitop2_b32 v19, 7, v24 bitop3:0x40
; %bb.14:                               ;   in Loop: Header=BB244_9 Depth=1
	s_or_b32 exec_lo, exec_lo, s33
	s_delay_alu instid0(VALU_DEP_1) | instskip(NEXT) | instid1(VALU_DEP_2)
	v_dual_lshlrev_b32 v21, 8, v2 :: v_dual_lshlrev_b32 v19, 7, v19
	v_lshl_add_u32 v20, v20, 10, 0x2000
	s_delay_alu instid0(VALU_DEP_2) | instskip(NEXT) | instid1(VALU_DEP_2)
	v_and_b32_e32 v21, 0x8000, v21
	v_and_b32_e32 v20, 0xfc00, v20
	s_delay_alu instid0(VALU_DEP_1)
	v_or3_b32 v19, v21, v20, v19
.LBB244_15:                             ;   in Loop: Header=BB244_9 Depth=1
	s_or_b32 exec_lo, exec_lo, s31
.LBB244_16:                             ;   in Loop: Header=BB244_9 Depth=1
	s_delay_alu instid0(SALU_CYCLE_1)
	s_or_b32 exec_lo, exec_lo, s30
.LBB244_17:                             ;   in Loop: Header=BB244_9 Depth=1
	s_delay_alu instid0(SALU_CYCLE_1) | instskip(SKIP_2) | instid1(VALU_DEP_1)
	s_or_b32 exec_lo, exec_lo, s29
	v_lshrrev_b16 v2, 8, v2
	s_mov_b32 s29, exec_lo
	v_cmpx_ne_u16_e32 0, v2
	s_cbranch_execz .LBB244_25
; %bb.18:                               ;   in Loop: Header=BB244_9 Depth=1
	v_bfrev_b32_e32 v18, 1
	s_mov_b32 s30, exec_lo
	v_cmpx_ne_u16_e32 0x80, v2
	s_cbranch_execz .LBB244_24
; %bb.19:                               ;   in Loop: Header=BB244_9 Depth=1
	v_and_b32_e32 v20, 0xffff, v2
	v_mov_b32_e32 v18, 0x7c010000
	s_mov_b32 s31, exec_lo
	s_delay_alu instid0(VALU_DEP_2) | instskip(NEXT) | instid1(VALU_DEP_1)
	v_and_b32_e32 v23, 0x7f, v20
	v_cmpx_ne_u32_e32 0x7f, v23
	s_cbranch_execz .LBB244_23
; %bb.20:                               ;   in Loop: Header=BB244_9 Depth=1
	v_dual_lshrrev_b32 v21, 3, v23 :: v_dual_bitop2_b32 v18, 7, v20 bitop3:0x40
	s_mov_b32 s33, exec_lo
	v_cmpx_gt_u32_e32 8, v23
; %bb.21:                               ;   in Loop: Header=BB244_9 Depth=1
	s_delay_alu instid0(VALU_DEP_2) | instskip(NEXT) | instid1(VALU_DEP_1)
	v_clz_i32_u32_e32 v18, v18
	v_min_u32_e32 v18, 32, v18
	s_delay_alu instid0(VALU_DEP_1) | instskip(NEXT) | instid1(VALU_DEP_1)
	v_subrev_nc_u32_e32 v21, 28, v18
	v_lshlrev_b64_e32 v[24:25], v21, v[2:3]
	s_delay_alu instid0(VALU_DEP_1)
	v_dual_sub_nc_u32 v21, 29, v18 :: v_dual_bitop2_b32 v18, 7, v24 bitop3:0x40
; %bb.22:                               ;   in Loop: Header=BB244_9 Depth=1
	s_or_b32 exec_lo, exec_lo, s33
	s_delay_alu instid0(VALU_DEP_1) | instskip(NEXT) | instid1(VALU_DEP_2)
	v_dual_lshlrev_b32 v2, 8, v20 :: v_dual_lshlrev_b32 v18, 23, v18
	v_lshl_add_u32 v20, v21, 10, 0x2000
	s_delay_alu instid0(VALU_DEP_1) | instskip(NEXT) | instid1(VALU_DEP_1)
	v_and_or_b32 v2, 0x8000, v2, v20
	v_lshl_or_b32 v18, v2, 16, v18
.LBB244_23:                             ;   in Loop: Header=BB244_9 Depth=1
	s_or_b32 exec_lo, exec_lo, s31
.LBB244_24:                             ;   in Loop: Header=BB244_9 Depth=1
	s_delay_alu instid0(SALU_CYCLE_1)
	s_or_b32 exec_lo, exec_lo, s30
.LBB244_25:                             ;   in Loop: Header=BB244_9 Depth=1
	s_delay_alu instid0(SALU_CYCLE_1)
	s_or_b32 exec_lo, exec_lo, s29
	global_load_u16 v2, v[8:9], off offset:8
	v_mov_b32_e32 v20, 0
	s_wait_loadcnt 0x0
	v_and_b32_e32 v21, 0xff, v2
	v_and_b32_e32 v2, 0xffff, v2
	s_delay_alu instid0(VALU_DEP_2)
	v_cmp_ne_u16_e64 s5, 0, v21
	v_mov_b32_e32 v21, 0
	s_and_saveexec_b32 s29, s5
	s_cbranch_execz .LBB244_33
; %bb.26:                               ;   in Loop: Header=BB244_9 Depth=1
	v_and_b32_e32 v21, 0xff, v2
	s_delay_alu instid0(VALU_DEP_1)
	v_cmp_ne_u16_e64 s5, 0x80, v21
	v_mov_b32_e32 v21, 0x8000
	s_and_saveexec_b32 s30, s5
	s_cbranch_execz .LBB244_32
; %bb.27:                               ;   in Loop: Header=BB244_9 Depth=1
	v_and_b32_e32 v24, 0x7f, v2
	v_mov_b32_e32 v21, 0x7c01
	s_mov_b32 s31, exec_lo
	s_delay_alu instid0(VALU_DEP_2)
	v_cmpx_ne_u32_e32 0x7f, v24
	s_cbranch_execz .LBB244_31
; %bb.28:                               ;   in Loop: Header=BB244_9 Depth=1
	v_dual_lshrrev_b32 v23, 3, v24 :: v_dual_bitop2_b32 v21, 7, v2 bitop3:0x40
	s_mov_b32 s33, exec_lo
	v_cmpx_gt_u32_e32 8, v24
; %bb.29:                               ;   in Loop: Header=BB244_9 Depth=1
	s_delay_alu instid0(VALU_DEP_2) | instskip(NEXT) | instid1(VALU_DEP_1)
	v_clz_i32_u32_e32 v21, v21
	v_min_u32_e32 v21, 32, v21
	s_delay_alu instid0(VALU_DEP_1) | instskip(NEXT) | instid1(VALU_DEP_1)
	v_subrev_nc_u32_e32 v23, 28, v21
	v_lshlrev_b64_e32 v[24:25], v23, v[2:3]
	s_delay_alu instid0(VALU_DEP_1)
	v_dual_sub_nc_u32 v23, 29, v21 :: v_dual_bitop2_b32 v21, 7, v24 bitop3:0x40
; %bb.30:                               ;   in Loop: Header=BB244_9 Depth=1
	s_or_b32 exec_lo, exec_lo, s33
	s_delay_alu instid0(VALU_DEP_1) | instskip(NEXT) | instid1(VALU_DEP_2)
	v_dual_lshlrev_b32 v24, 8, v2 :: v_dual_lshlrev_b32 v21, 7, v21
	v_lshl_add_u32 v23, v23, 10, 0x2000
	s_delay_alu instid0(VALU_DEP_2) | instskip(NEXT) | instid1(VALU_DEP_2)
	v_and_b32_e32 v24, 0x8000, v24
	v_and_b32_e32 v23, 0xfc00, v23
	s_delay_alu instid0(VALU_DEP_1)
	v_or3_b32 v21, v24, v23, v21
.LBB244_31:                             ;   in Loop: Header=BB244_9 Depth=1
	s_or_b32 exec_lo, exec_lo, s31
.LBB244_32:                             ;   in Loop: Header=BB244_9 Depth=1
	s_delay_alu instid0(SALU_CYCLE_1)
	s_or_b32 exec_lo, exec_lo, s30
.LBB244_33:                             ;   in Loop: Header=BB244_9 Depth=1
	s_delay_alu instid0(SALU_CYCLE_1) | instskip(SKIP_2) | instid1(VALU_DEP_1)
	s_or_b32 exec_lo, exec_lo, s29
	v_lshrrev_b16 v2, 8, v2
	s_mov_b32 s29, exec_lo
	v_cmpx_ne_u16_e32 0, v2
	s_cbranch_execz .LBB244_41
; %bb.34:                               ;   in Loop: Header=BB244_9 Depth=1
	v_bfrev_b32_e32 v20, 1
	s_mov_b32 s30, exec_lo
	v_cmpx_ne_u16_e32 0x80, v2
	s_cbranch_execz .LBB244_40
; %bb.35:                               ;   in Loop: Header=BB244_9 Depth=1
	v_and_b32_e32 v23, 0xffff, v2
	v_mov_b32_e32 v20, 0x7c010000
	s_mov_b32 s31, exec_lo
	s_delay_alu instid0(VALU_DEP_2) | instskip(NEXT) | instid1(VALU_DEP_1)
	v_and_b32_e32 v25, 0x7f, v23
	v_cmpx_ne_u32_e32 0x7f, v25
	s_cbranch_execz .LBB244_39
; %bb.36:                               ;   in Loop: Header=BB244_9 Depth=1
	v_dual_lshrrev_b32 v24, 3, v25 :: v_dual_bitop2_b32 v20, 7, v23 bitop3:0x40
	s_mov_b32 s33, exec_lo
	v_cmpx_gt_u32_e32 8, v25
; %bb.37:                               ;   in Loop: Header=BB244_9 Depth=1
	s_delay_alu instid0(VALU_DEP_2) | instskip(NEXT) | instid1(VALU_DEP_1)
	v_clz_i32_u32_e32 v20, v20
	v_min_u32_e32 v20, 32, v20
	s_delay_alu instid0(VALU_DEP_1) | instskip(NEXT) | instid1(VALU_DEP_1)
	v_subrev_nc_u32_e32 v24, 28, v20
	v_lshlrev_b64_e32 v[26:27], v24, v[2:3]
	s_delay_alu instid0(VALU_DEP_1)
	v_dual_sub_nc_u32 v24, 29, v20 :: v_dual_bitop2_b32 v20, 7, v26 bitop3:0x40
; %bb.38:                               ;   in Loop: Header=BB244_9 Depth=1
	s_or_b32 exec_lo, exec_lo, s33
	s_delay_alu instid0(VALU_DEP_1) | instskip(NEXT) | instid1(VALU_DEP_2)
	v_dual_lshlrev_b32 v2, 8, v23 :: v_dual_lshlrev_b32 v20, 23, v20
	v_lshl_add_u32 v23, v24, 10, 0x2000
	s_delay_alu instid0(VALU_DEP_1) | instskip(NEXT) | instid1(VALU_DEP_1)
	v_and_or_b32 v2, 0x8000, v2, v23
	v_lshl_or_b32 v20, v2, 16, v20
.LBB244_39:                             ;   in Loop: Header=BB244_9 Depth=1
	s_or_b32 exec_lo, exec_lo, s31
.LBB244_40:                             ;   in Loop: Header=BB244_9 Depth=1
	s_delay_alu instid0(SALU_CYCLE_1)
	s_or_b32 exec_lo, exec_lo, s30
.LBB244_41:                             ;   in Loop: Header=BB244_9 Depth=1
	s_delay_alu instid0(SALU_CYCLE_1)
	s_or_b32 exec_lo, exec_lo, s29
	global_load_u16 v2, v[8:9], off offset:128
	v_mov_b32_e32 v23, 0
	s_wait_loadcnt 0x0
	v_and_b32_e32 v24, 0xff, v2
	v_and_b32_e32 v2, 0xffff, v2
	s_delay_alu instid0(VALU_DEP_2)
	v_cmp_ne_u16_e64 s5, 0, v24
	v_mov_b32_e32 v24, 0
	s_and_saveexec_b32 s29, s5
	s_cbranch_execz .LBB244_49
; %bb.42:                               ;   in Loop: Header=BB244_9 Depth=1
	v_and_b32_e32 v24, 0xff, v2
	s_delay_alu instid0(VALU_DEP_1)
	v_cmp_ne_u16_e64 s5, 0x80, v24
	v_mov_b32_e32 v24, 0x8000
	s_and_saveexec_b32 s30, s5
	s_cbranch_execz .LBB244_48
; %bb.43:                               ;   in Loop: Header=BB244_9 Depth=1
	v_and_b32_e32 v26, 0x7f, v2
	v_mov_b32_e32 v24, 0x7c01
	s_mov_b32 s31, exec_lo
	s_delay_alu instid0(VALU_DEP_2)
	v_cmpx_ne_u32_e32 0x7f, v26
	s_cbranch_execz .LBB244_47
; %bb.44:                               ;   in Loop: Header=BB244_9 Depth=1
	v_and_b32_e32 v24, 7, v2
	v_lshrrev_b32_e32 v25, 3, v26
	s_mov_b32 s33, exec_lo
	v_cmpx_gt_u32_e32 8, v26
; %bb.45:                               ;   in Loop: Header=BB244_9 Depth=1
	s_delay_alu instid0(VALU_DEP_3) | instskip(NEXT) | instid1(VALU_DEP_1)
	v_clz_i32_u32_e32 v24, v24
	v_min_u32_e32 v26, 32, v24
	s_delay_alu instid0(VALU_DEP_1) | instskip(NEXT) | instid1(VALU_DEP_1)
	v_subrev_nc_u32_e32 v24, 28, v26
	v_lshlrev_b64_e32 v[24:25], v24, v[2:3]
	s_delay_alu instid0(VALU_DEP_1)
	v_dual_sub_nc_u32 v25, 29, v26 :: v_dual_bitop2_b32 v24, 7, v24 bitop3:0x40
; %bb.46:                               ;   in Loop: Header=BB244_9 Depth=1
	s_or_b32 exec_lo, exec_lo, s33
	s_delay_alu instid0(VALU_DEP_1) | instskip(NEXT) | instid1(VALU_DEP_2)
	v_dual_lshlrev_b32 v26, 8, v2 :: v_dual_lshlrev_b32 v24, 7, v24
	v_lshl_add_u32 v25, v25, 10, 0x2000
	s_delay_alu instid0(VALU_DEP_2) | instskip(NEXT) | instid1(VALU_DEP_2)
	v_and_b32_e32 v26, 0x8000, v26
	v_and_b32_e32 v25, 0xfc00, v25
	s_delay_alu instid0(VALU_DEP_1)
	v_or3_b32 v24, v26, v25, v24
.LBB244_47:                             ;   in Loop: Header=BB244_9 Depth=1
	s_or_b32 exec_lo, exec_lo, s31
.LBB244_48:                             ;   in Loop: Header=BB244_9 Depth=1
	s_delay_alu instid0(SALU_CYCLE_1)
	s_or_b32 exec_lo, exec_lo, s30
.LBB244_49:                             ;   in Loop: Header=BB244_9 Depth=1
	s_delay_alu instid0(SALU_CYCLE_1) | instskip(SKIP_2) | instid1(VALU_DEP_1)
	s_or_b32 exec_lo, exec_lo, s29
	v_lshrrev_b16 v2, 8, v2
	s_mov_b32 s29, exec_lo
	v_cmpx_ne_u16_e32 0, v2
	s_cbranch_execz .LBB244_57
; %bb.50:                               ;   in Loop: Header=BB244_9 Depth=1
	v_bfrev_b32_e32 v23, 1
	s_mov_b32 s30, exec_lo
	v_cmpx_ne_u16_e32 0x80, v2
	s_cbranch_execz .LBB244_56
; %bb.51:                               ;   in Loop: Header=BB244_9 Depth=1
	v_and_b32_e32 v25, 0xffff, v2
	v_mov_b32_e32 v23, 0x7c010000
	s_mov_b32 s31, exec_lo
	s_delay_alu instid0(VALU_DEP_2) | instskip(NEXT) | instid1(VALU_DEP_1)
	v_and_b32_e32 v27, 0x7f, v25
	v_cmpx_ne_u32_e32 0x7f, v27
	s_cbranch_execz .LBB244_55
; %bb.52:                               ;   in Loop: Header=BB244_9 Depth=1
	v_dual_lshrrev_b32 v26, 3, v27 :: v_dual_bitop2_b32 v23, 7, v25 bitop3:0x40
	s_mov_b32 s33, exec_lo
	v_cmpx_gt_u32_e32 8, v27
; %bb.53:                               ;   in Loop: Header=BB244_9 Depth=1
	s_delay_alu instid0(VALU_DEP_2) | instskip(NEXT) | instid1(VALU_DEP_1)
	v_clz_i32_u32_e32 v23, v23
	v_min_u32_e32 v23, 32, v23
	s_delay_alu instid0(VALU_DEP_1) | instskip(NEXT) | instid1(VALU_DEP_1)
	v_subrev_nc_u32_e32 v26, 28, v23
	v_lshlrev_b64_e32 v[28:29], v26, v[2:3]
	s_delay_alu instid0(VALU_DEP_1)
	v_dual_sub_nc_u32 v26, 29, v23 :: v_dual_bitop2_b32 v23, 7, v28 bitop3:0x40
; %bb.54:                               ;   in Loop: Header=BB244_9 Depth=1
	s_or_b32 exec_lo, exec_lo, s33
	s_delay_alu instid0(VALU_DEP_1) | instskip(NEXT) | instid1(VALU_DEP_2)
	v_dual_lshlrev_b32 v2, 8, v25 :: v_dual_lshlrev_b32 v23, 23, v23
	v_lshl_add_u32 v25, v26, 10, 0x2000
	s_delay_alu instid0(VALU_DEP_1) | instskip(NEXT) | instid1(VALU_DEP_1)
	v_and_or_b32 v2, 0x8000, v2, v25
	v_lshl_or_b32 v23, v2, 16, v23
.LBB244_55:                             ;   in Loop: Header=BB244_9 Depth=1
	s_or_b32 exec_lo, exec_lo, s31
.LBB244_56:                             ;   in Loop: Header=BB244_9 Depth=1
	s_delay_alu instid0(SALU_CYCLE_1)
	s_or_b32 exec_lo, exec_lo, s30
.LBB244_57:                             ;   in Loop: Header=BB244_9 Depth=1
	s_delay_alu instid0(SALU_CYCLE_1)
	s_or_b32 exec_lo, exec_lo, s29
	global_load_u16 v2, v[8:9], off offset:136
	v_mov_b32_e32 v25, 0
	s_wait_loadcnt 0x0
	v_and_b32_e32 v26, 0xff, v2
	v_and_b32_e32 v2, 0xffff, v2
	s_delay_alu instid0(VALU_DEP_2)
	v_cmp_ne_u16_e64 s5, 0, v26
	v_mov_b32_e32 v26, 0
	s_and_saveexec_b32 s29, s5
	s_cbranch_execz .LBB244_65
; %bb.58:                               ;   in Loop: Header=BB244_9 Depth=1
	v_and_b32_e32 v26, 0xff, v2
	s_delay_alu instid0(VALU_DEP_1)
	v_cmp_ne_u16_e64 s5, 0x80, v26
	v_mov_b32_e32 v26, 0x8000
	s_and_saveexec_b32 s30, s5
	s_cbranch_execz .LBB244_64
; %bb.59:                               ;   in Loop: Header=BB244_9 Depth=1
	v_and_b32_e32 v28, 0x7f, v2
	v_mov_b32_e32 v26, 0x7c01
	s_mov_b32 s31, exec_lo
	s_delay_alu instid0(VALU_DEP_2)
	v_cmpx_ne_u32_e32 0x7f, v28
	s_cbranch_execz .LBB244_63
; %bb.60:                               ;   in Loop: Header=BB244_9 Depth=1
	v_dual_lshrrev_b32 v27, 3, v28 :: v_dual_bitop2_b32 v26, 7, v2 bitop3:0x40
	s_mov_b32 s33, exec_lo
	v_cmpx_gt_u32_e32 8, v28
; %bb.61:                               ;   in Loop: Header=BB244_9 Depth=1
	s_delay_alu instid0(VALU_DEP_2) | instskip(NEXT) | instid1(VALU_DEP_1)
	v_clz_i32_u32_e32 v26, v26
	v_min_u32_e32 v28, 32, v26
	s_delay_alu instid0(VALU_DEP_1) | instskip(NEXT) | instid1(VALU_DEP_1)
	v_subrev_nc_u32_e32 v26, 28, v28
	v_lshlrev_b64_e32 v[26:27], v26, v[2:3]
	s_delay_alu instid0(VALU_DEP_1)
	v_dual_sub_nc_u32 v27, 29, v28 :: v_dual_bitop2_b32 v26, 7, v26 bitop3:0x40
; %bb.62:                               ;   in Loop: Header=BB244_9 Depth=1
	s_or_b32 exec_lo, exec_lo, s33
	v_lshlrev_b32_e32 v28, 8, v2
	s_delay_alu instid0(VALU_DEP_2) | instskip(NEXT) | instid1(VALU_DEP_3)
	v_lshl_add_u32 v27, v27, 10, 0x2000
	v_lshlrev_b32_e32 v26, 7, v26
	s_delay_alu instid0(VALU_DEP_3) | instskip(NEXT) | instid1(VALU_DEP_3)
	v_and_b32_e32 v28, 0x8000, v28
	v_and_b32_e32 v27, 0xfc00, v27
	s_delay_alu instid0(VALU_DEP_1)
	v_or3_b32 v26, v28, v27, v26
.LBB244_63:                             ;   in Loop: Header=BB244_9 Depth=1
	s_or_b32 exec_lo, exec_lo, s31
.LBB244_64:                             ;   in Loop: Header=BB244_9 Depth=1
	s_delay_alu instid0(SALU_CYCLE_1)
	s_or_b32 exec_lo, exec_lo, s30
.LBB244_65:                             ;   in Loop: Header=BB244_9 Depth=1
	s_delay_alu instid0(SALU_CYCLE_1) | instskip(SKIP_2) | instid1(VALU_DEP_1)
	s_or_b32 exec_lo, exec_lo, s29
	v_lshrrev_b16 v2, 8, v2
	s_mov_b32 s29, exec_lo
	v_cmpx_ne_u16_e32 0, v2
	s_cbranch_execz .LBB244_73
; %bb.66:                               ;   in Loop: Header=BB244_9 Depth=1
	v_bfrev_b32_e32 v25, 1
	s_mov_b32 s30, exec_lo
	v_cmpx_ne_u16_e32 0x80, v2
	s_cbranch_execz .LBB244_72
; %bb.67:                               ;   in Loop: Header=BB244_9 Depth=1
	v_and_b32_e32 v27, 0xffff, v2
	v_mov_b32_e32 v25, 0x7c010000
	s_mov_b32 s31, exec_lo
	s_delay_alu instid0(VALU_DEP_2) | instskip(NEXT) | instid1(VALU_DEP_1)
	v_and_b32_e32 v29, 0x7f, v27
	v_cmpx_ne_u32_e32 0x7f, v29
	s_cbranch_execz .LBB244_71
; %bb.68:                               ;   in Loop: Header=BB244_9 Depth=1
	v_dual_lshrrev_b32 v28, 3, v29 :: v_dual_bitop2_b32 v25, 7, v27 bitop3:0x40
	s_mov_b32 s33, exec_lo
	v_cmpx_gt_u32_e32 8, v29
; %bb.69:                               ;   in Loop: Header=BB244_9 Depth=1
	s_delay_alu instid0(VALU_DEP_2) | instskip(NEXT) | instid1(VALU_DEP_1)
	v_clz_i32_u32_e32 v25, v25
	v_min_u32_e32 v25, 32, v25
	s_delay_alu instid0(VALU_DEP_1) | instskip(NEXT) | instid1(VALU_DEP_1)
	v_subrev_nc_u32_e32 v28, 28, v25
	v_lshlrev_b64_e32 v[30:31], v28, v[2:3]
	s_delay_alu instid0(VALU_DEP_1)
	v_dual_sub_nc_u32 v28, 29, v25 :: v_dual_bitop2_b32 v25, 7, v30 bitop3:0x40
; %bb.70:                               ;   in Loop: Header=BB244_9 Depth=1
	s_or_b32 exec_lo, exec_lo, s33
	s_delay_alu instid0(VALU_DEP_1) | instskip(NEXT) | instid1(VALU_DEP_2)
	v_dual_lshlrev_b32 v2, 8, v27 :: v_dual_lshlrev_b32 v25, 23, v25
	v_lshl_add_u32 v27, v28, 10, 0x2000
	s_delay_alu instid0(VALU_DEP_1) | instskip(NEXT) | instid1(VALU_DEP_1)
	v_and_or_b32 v2, 0x8000, v2, v27
	v_lshl_or_b32 v25, v2, 16, v25
.LBB244_71:                             ;   in Loop: Header=BB244_9 Depth=1
	s_or_b32 exec_lo, exec_lo, s31
.LBB244_72:                             ;   in Loop: Header=BB244_9 Depth=1
	s_delay_alu instid0(SALU_CYCLE_1)
	s_or_b32 exec_lo, exec_lo, s30
.LBB244_73:                             ;   in Loop: Header=BB244_9 Depth=1
	s_delay_alu instid0(SALU_CYCLE_1)
	s_or_b32 exec_lo, exec_lo, s29
	global_load_u16 v2, v[8:9], off offset:256
	v_mov_b32_e32 v27, 0
	s_wait_loadcnt 0x0
	v_and_b32_e32 v28, 0xff, v2
	v_and_b32_e32 v2, 0xffff, v2
	s_delay_alu instid0(VALU_DEP_2)
	v_cmp_ne_u16_e64 s5, 0, v28
	v_mov_b32_e32 v28, 0
	s_and_saveexec_b32 s29, s5
	s_cbranch_execz .LBB244_81
; %bb.74:                               ;   in Loop: Header=BB244_9 Depth=1
	v_and_b32_e32 v28, 0xff, v2
	s_delay_alu instid0(VALU_DEP_1)
	v_cmp_ne_u16_e64 s5, 0x80, v28
	v_mov_b32_e32 v28, 0x8000
	s_and_saveexec_b32 s30, s5
	s_cbranch_execz .LBB244_80
; %bb.75:                               ;   in Loop: Header=BB244_9 Depth=1
	v_and_b32_e32 v30, 0x7f, v2
	v_mov_b32_e32 v28, 0x7c01
	s_mov_b32 s31, exec_lo
	s_delay_alu instid0(VALU_DEP_2)
	v_cmpx_ne_u32_e32 0x7f, v30
	s_cbranch_execz .LBB244_79
; %bb.76:                               ;   in Loop: Header=BB244_9 Depth=1
	v_and_b32_e32 v28, 7, v2
	v_lshrrev_b32_e32 v29, 3, v30
	s_mov_b32 s33, exec_lo
	v_cmpx_gt_u32_e32 8, v30
; %bb.77:                               ;   in Loop: Header=BB244_9 Depth=1
	s_delay_alu instid0(VALU_DEP_3) | instskip(NEXT) | instid1(VALU_DEP_1)
	v_clz_i32_u32_e32 v28, v28
	v_min_u32_e32 v30, 32, v28
	s_delay_alu instid0(VALU_DEP_1) | instskip(NEXT) | instid1(VALU_DEP_1)
	v_subrev_nc_u32_e32 v28, 28, v30
	v_lshlrev_b64_e32 v[28:29], v28, v[2:3]
	s_delay_alu instid0(VALU_DEP_1)
	v_dual_sub_nc_u32 v29, 29, v30 :: v_dual_bitop2_b32 v28, 7, v28 bitop3:0x40
; %bb.78:                               ;   in Loop: Header=BB244_9 Depth=1
	s_or_b32 exec_lo, exec_lo, s33
	s_delay_alu instid0(VALU_DEP_1) | instskip(NEXT) | instid1(VALU_DEP_2)
	v_dual_lshlrev_b32 v30, 8, v2 :: v_dual_lshlrev_b32 v28, 7, v28
	v_lshl_add_u32 v29, v29, 10, 0x2000
	s_delay_alu instid0(VALU_DEP_2) | instskip(NEXT) | instid1(VALU_DEP_2)
	v_and_b32_e32 v30, 0x8000, v30
	v_and_b32_e32 v29, 0xfc00, v29
	s_delay_alu instid0(VALU_DEP_1)
	v_or3_b32 v28, v30, v29, v28
.LBB244_79:                             ;   in Loop: Header=BB244_9 Depth=1
	s_or_b32 exec_lo, exec_lo, s31
.LBB244_80:                             ;   in Loop: Header=BB244_9 Depth=1
	s_delay_alu instid0(SALU_CYCLE_1)
	s_or_b32 exec_lo, exec_lo, s30
.LBB244_81:                             ;   in Loop: Header=BB244_9 Depth=1
	s_delay_alu instid0(SALU_CYCLE_1) | instskip(SKIP_2) | instid1(VALU_DEP_1)
	s_or_b32 exec_lo, exec_lo, s29
	v_lshrrev_b16 v2, 8, v2
	s_mov_b32 s29, exec_lo
	v_cmpx_ne_u16_e32 0, v2
	s_cbranch_execz .LBB244_89
; %bb.82:                               ;   in Loop: Header=BB244_9 Depth=1
	v_bfrev_b32_e32 v27, 1
	s_mov_b32 s30, exec_lo
	v_cmpx_ne_u16_e32 0x80, v2
	s_cbranch_execz .LBB244_88
; %bb.83:                               ;   in Loop: Header=BB244_9 Depth=1
	v_and_b32_e32 v29, 0xffff, v2
	v_mov_b32_e32 v27, 0x7c010000
	s_mov_b32 s31, exec_lo
	s_delay_alu instid0(VALU_DEP_2) | instskip(NEXT) | instid1(VALU_DEP_1)
	v_and_b32_e32 v31, 0x7f, v29
	v_cmpx_ne_u32_e32 0x7f, v31
	s_cbranch_execz .LBB244_87
; %bb.84:                               ;   in Loop: Header=BB244_9 Depth=1
	v_dual_lshrrev_b32 v30, 3, v31 :: v_dual_bitop2_b32 v27, 7, v29 bitop3:0x40
	s_mov_b32 s33, exec_lo
	v_cmpx_gt_u32_e32 8, v31
; %bb.85:                               ;   in Loop: Header=BB244_9 Depth=1
	s_delay_alu instid0(VALU_DEP_2) | instskip(NEXT) | instid1(VALU_DEP_1)
	v_clz_i32_u32_e32 v27, v27
	v_min_u32_e32 v27, 32, v27
	s_delay_alu instid0(VALU_DEP_1) | instskip(NEXT) | instid1(VALU_DEP_1)
	v_subrev_nc_u32_e32 v30, 28, v27
	v_lshlrev_b64_e32 v[32:33], v30, v[2:3]
	s_delay_alu instid0(VALU_DEP_1)
	v_dual_sub_nc_u32 v30, 29, v27 :: v_dual_bitop2_b32 v27, 7, v32 bitop3:0x40
; %bb.86:                               ;   in Loop: Header=BB244_9 Depth=1
	s_or_b32 exec_lo, exec_lo, s33
	s_delay_alu instid0(VALU_DEP_1) | instskip(NEXT) | instid1(VALU_DEP_2)
	v_dual_lshlrev_b32 v2, 8, v29 :: v_dual_lshlrev_b32 v27, 23, v27
	v_lshl_add_u32 v29, v30, 10, 0x2000
	s_delay_alu instid0(VALU_DEP_1) | instskip(NEXT) | instid1(VALU_DEP_1)
	v_and_or_b32 v2, 0x8000, v2, v29
	v_lshl_or_b32 v27, v2, 16, v27
.LBB244_87:                             ;   in Loop: Header=BB244_9 Depth=1
	s_or_b32 exec_lo, exec_lo, s31
.LBB244_88:                             ;   in Loop: Header=BB244_9 Depth=1
	s_delay_alu instid0(SALU_CYCLE_1)
	s_or_b32 exec_lo, exec_lo, s30
.LBB244_89:                             ;   in Loop: Header=BB244_9 Depth=1
	s_delay_alu instid0(SALU_CYCLE_1)
	s_or_b32 exec_lo, exec_lo, s29
	global_load_u16 v2, v[8:9], off offset:264
	v_mov_b32_e32 v29, 0
	s_wait_loadcnt 0x0
	v_and_b32_e32 v30, 0xff, v2
	v_and_b32_e32 v2, 0xffff, v2
	s_delay_alu instid0(VALU_DEP_2)
	v_cmp_ne_u16_e64 s5, 0, v30
	v_mov_b32_e32 v30, 0
	s_and_saveexec_b32 s29, s5
	s_cbranch_execz .LBB244_97
; %bb.90:                               ;   in Loop: Header=BB244_9 Depth=1
	v_and_b32_e32 v30, 0xff, v2
	s_delay_alu instid0(VALU_DEP_1)
	v_cmp_ne_u16_e64 s5, 0x80, v30
	v_mov_b32_e32 v30, 0x8000
	s_and_saveexec_b32 s30, s5
	s_cbranch_execz .LBB244_96
; %bb.91:                               ;   in Loop: Header=BB244_9 Depth=1
	v_and_b32_e32 v32, 0x7f, v2
	v_mov_b32_e32 v30, 0x7c01
	s_mov_b32 s31, exec_lo
	s_delay_alu instid0(VALU_DEP_2)
	v_cmpx_ne_u32_e32 0x7f, v32
	s_cbranch_execz .LBB244_95
; %bb.92:                               ;   in Loop: Header=BB244_9 Depth=1
	v_dual_lshrrev_b32 v31, 3, v32 :: v_dual_bitop2_b32 v30, 7, v2 bitop3:0x40
	s_mov_b32 s33, exec_lo
	v_cmpx_gt_u32_e32 8, v32
; %bb.93:                               ;   in Loop: Header=BB244_9 Depth=1
	s_delay_alu instid0(VALU_DEP_2) | instskip(NEXT) | instid1(VALU_DEP_1)
	v_clz_i32_u32_e32 v30, v30
	v_min_u32_e32 v32, 32, v30
	s_delay_alu instid0(VALU_DEP_1) | instskip(NEXT) | instid1(VALU_DEP_1)
	v_subrev_nc_u32_e32 v30, 28, v32
	v_lshlrev_b64_e32 v[30:31], v30, v[2:3]
	s_delay_alu instid0(VALU_DEP_1)
	v_dual_sub_nc_u32 v31, 29, v32 :: v_dual_bitop2_b32 v30, 7, v30 bitop3:0x40
; %bb.94:                               ;   in Loop: Header=BB244_9 Depth=1
	s_or_b32 exec_lo, exec_lo, s33
	v_lshlrev_b32_e32 v32, 8, v2
	s_delay_alu instid0(VALU_DEP_2) | instskip(NEXT) | instid1(VALU_DEP_3)
	v_lshl_add_u32 v31, v31, 10, 0x2000
	v_lshlrev_b32_e32 v30, 7, v30
	s_delay_alu instid0(VALU_DEP_3) | instskip(NEXT) | instid1(VALU_DEP_3)
	v_and_b32_e32 v32, 0x8000, v32
	v_and_b32_e32 v31, 0xfc00, v31
	s_delay_alu instid0(VALU_DEP_1)
	v_or3_b32 v30, v32, v31, v30
.LBB244_95:                             ;   in Loop: Header=BB244_9 Depth=1
	s_or_b32 exec_lo, exec_lo, s31
.LBB244_96:                             ;   in Loop: Header=BB244_9 Depth=1
	s_delay_alu instid0(SALU_CYCLE_1)
	s_or_b32 exec_lo, exec_lo, s30
.LBB244_97:                             ;   in Loop: Header=BB244_9 Depth=1
	s_delay_alu instid0(SALU_CYCLE_1) | instskip(SKIP_2) | instid1(VALU_DEP_1)
	s_or_b32 exec_lo, exec_lo, s29
	v_lshrrev_b16 v2, 8, v2
	s_mov_b32 s29, exec_lo
	v_cmpx_ne_u16_e32 0, v2
	s_cbranch_execz .LBB244_105
; %bb.98:                               ;   in Loop: Header=BB244_9 Depth=1
	v_bfrev_b32_e32 v29, 1
	s_mov_b32 s30, exec_lo
	v_cmpx_ne_u16_e32 0x80, v2
	s_cbranch_execz .LBB244_104
; %bb.99:                               ;   in Loop: Header=BB244_9 Depth=1
	v_and_b32_e32 v31, 0xffff, v2
	v_mov_b32_e32 v29, 0x7c010000
	s_mov_b32 s31, exec_lo
	s_delay_alu instid0(VALU_DEP_2) | instskip(NEXT) | instid1(VALU_DEP_1)
	v_and_b32_e32 v33, 0x7f, v31
	v_cmpx_ne_u32_e32 0x7f, v33
	s_cbranch_execz .LBB244_103
; %bb.100:                              ;   in Loop: Header=BB244_9 Depth=1
	v_dual_lshrrev_b32 v32, 3, v33 :: v_dual_bitop2_b32 v29, 7, v31 bitop3:0x40
	s_mov_b32 s33, exec_lo
	v_cmpx_gt_u32_e32 8, v33
; %bb.101:                              ;   in Loop: Header=BB244_9 Depth=1
	s_delay_alu instid0(VALU_DEP_2) | instskip(NEXT) | instid1(VALU_DEP_1)
	v_clz_i32_u32_e32 v29, v29
	v_min_u32_e32 v29, 32, v29
	s_delay_alu instid0(VALU_DEP_1) | instskip(NEXT) | instid1(VALU_DEP_1)
	v_subrev_nc_u32_e32 v32, 28, v29
	v_lshlrev_b64_e32 v[34:35], v32, v[2:3]
	s_delay_alu instid0(VALU_DEP_1)
	v_dual_sub_nc_u32 v32, 29, v29 :: v_dual_bitop2_b32 v29, 7, v34 bitop3:0x40
; %bb.102:                              ;   in Loop: Header=BB244_9 Depth=1
	s_or_b32 exec_lo, exec_lo, s33
	s_delay_alu instid0(VALU_DEP_1) | instskip(NEXT) | instid1(VALU_DEP_2)
	v_dual_lshlrev_b32 v2, 8, v31 :: v_dual_lshlrev_b32 v29, 23, v29
	v_lshl_add_u32 v31, v32, 10, 0x2000
	s_delay_alu instid0(VALU_DEP_1) | instskip(NEXT) | instid1(VALU_DEP_1)
	v_and_or_b32 v2, 0x8000, v2, v31
	v_lshl_or_b32 v29, v2, 16, v29
.LBB244_103:                            ;   in Loop: Header=BB244_9 Depth=1
	s_or_b32 exec_lo, exec_lo, s31
.LBB244_104:                            ;   in Loop: Header=BB244_9 Depth=1
	s_delay_alu instid0(SALU_CYCLE_1)
	s_or_b32 exec_lo, exec_lo, s30
.LBB244_105:                            ;   in Loop: Header=BB244_9 Depth=1
	s_delay_alu instid0(SALU_CYCLE_1)
	s_or_b32 exec_lo, exec_lo, s29
	global_load_u16 v2, v[8:9], off offset:384
	v_mov_b32_e32 v31, 0
	s_wait_loadcnt 0x0
	v_and_b32_e32 v32, 0xff, v2
	v_and_b32_e32 v2, 0xffff, v2
	s_delay_alu instid0(VALU_DEP_2)
	v_cmp_ne_u16_e64 s5, 0, v32
	v_mov_b32_e32 v32, 0
	s_and_saveexec_b32 s29, s5
	s_cbranch_execz .LBB244_113
; %bb.106:                              ;   in Loop: Header=BB244_9 Depth=1
	v_and_b32_e32 v32, 0xff, v2
	s_delay_alu instid0(VALU_DEP_1)
	v_cmp_ne_u16_e64 s5, 0x80, v32
	v_mov_b32_e32 v32, 0x8000
	s_and_saveexec_b32 s30, s5
	s_cbranch_execz .LBB244_112
; %bb.107:                              ;   in Loop: Header=BB244_9 Depth=1
	v_and_b32_e32 v34, 0x7f, v2
	v_mov_b32_e32 v32, 0x7c01
	s_mov_b32 s31, exec_lo
	s_delay_alu instid0(VALU_DEP_2)
	v_cmpx_ne_u32_e32 0x7f, v34
	s_cbranch_execz .LBB244_111
; %bb.108:                              ;   in Loop: Header=BB244_9 Depth=1
	v_and_b32_e32 v32, 7, v2
	v_lshrrev_b32_e32 v33, 3, v34
	s_mov_b32 s33, exec_lo
	v_cmpx_gt_u32_e32 8, v34
; %bb.109:                              ;   in Loop: Header=BB244_9 Depth=1
	s_delay_alu instid0(VALU_DEP_3) | instskip(NEXT) | instid1(VALU_DEP_1)
	v_clz_i32_u32_e32 v32, v32
	v_min_u32_e32 v34, 32, v32
	s_delay_alu instid0(VALU_DEP_1) | instskip(NEXT) | instid1(VALU_DEP_1)
	v_subrev_nc_u32_e32 v32, 28, v34
	v_lshlrev_b64_e32 v[32:33], v32, v[2:3]
	s_delay_alu instid0(VALU_DEP_1)
	v_dual_sub_nc_u32 v33, 29, v34 :: v_dual_bitop2_b32 v32, 7, v32 bitop3:0x40
; %bb.110:                              ;   in Loop: Header=BB244_9 Depth=1
	s_or_b32 exec_lo, exec_lo, s33
	s_delay_alu instid0(VALU_DEP_1) | instskip(NEXT) | instid1(VALU_DEP_2)
	v_dual_lshlrev_b32 v34, 8, v2 :: v_dual_lshlrev_b32 v32, 7, v32
	v_lshl_add_u32 v33, v33, 10, 0x2000
	s_delay_alu instid0(VALU_DEP_2) | instskip(NEXT) | instid1(VALU_DEP_2)
	v_and_b32_e32 v34, 0x8000, v34
	v_and_b32_e32 v33, 0xfc00, v33
	s_delay_alu instid0(VALU_DEP_1)
	v_or3_b32 v32, v34, v33, v32
.LBB244_111:                            ;   in Loop: Header=BB244_9 Depth=1
	s_or_b32 exec_lo, exec_lo, s31
.LBB244_112:                            ;   in Loop: Header=BB244_9 Depth=1
	s_delay_alu instid0(SALU_CYCLE_1)
	s_or_b32 exec_lo, exec_lo, s30
.LBB244_113:                            ;   in Loop: Header=BB244_9 Depth=1
	s_delay_alu instid0(SALU_CYCLE_1) | instskip(SKIP_2) | instid1(VALU_DEP_1)
	s_or_b32 exec_lo, exec_lo, s29
	v_lshrrev_b16 v2, 8, v2
	s_mov_b32 s29, exec_lo
	v_cmpx_ne_u16_e32 0, v2
	s_cbranch_execz .LBB244_121
; %bb.114:                              ;   in Loop: Header=BB244_9 Depth=1
	v_bfrev_b32_e32 v31, 1
	s_mov_b32 s30, exec_lo
	v_cmpx_ne_u16_e32 0x80, v2
	s_cbranch_execz .LBB244_120
; %bb.115:                              ;   in Loop: Header=BB244_9 Depth=1
	v_and_b32_e32 v33, 0xffff, v2
	v_mov_b32_e32 v31, 0x7c010000
	s_mov_b32 s31, exec_lo
	s_delay_alu instid0(VALU_DEP_2) | instskip(NEXT) | instid1(VALU_DEP_1)
	v_and_b32_e32 v35, 0x7f, v33
	v_cmpx_ne_u32_e32 0x7f, v35
	s_cbranch_execz .LBB244_119
; %bb.116:                              ;   in Loop: Header=BB244_9 Depth=1
	v_dual_lshrrev_b32 v34, 3, v35 :: v_dual_bitop2_b32 v31, 7, v33 bitop3:0x40
	s_mov_b32 s33, exec_lo
	v_cmpx_gt_u32_e32 8, v35
; %bb.117:                              ;   in Loop: Header=BB244_9 Depth=1
	s_delay_alu instid0(VALU_DEP_2) | instskip(NEXT) | instid1(VALU_DEP_1)
	v_clz_i32_u32_e32 v31, v31
	v_min_u32_e32 v31, 32, v31
	s_delay_alu instid0(VALU_DEP_1) | instskip(NEXT) | instid1(VALU_DEP_1)
	v_subrev_nc_u32_e32 v34, 28, v31
	v_lshlrev_b64_e32 v[36:37], v34, v[2:3]
	s_delay_alu instid0(VALU_DEP_1)
	v_dual_sub_nc_u32 v34, 29, v31 :: v_dual_bitop2_b32 v31, 7, v36 bitop3:0x40
; %bb.118:                              ;   in Loop: Header=BB244_9 Depth=1
	s_or_b32 exec_lo, exec_lo, s33
	s_delay_alu instid0(VALU_DEP_1) | instskip(NEXT) | instid1(VALU_DEP_2)
	v_dual_lshlrev_b32 v2, 8, v33 :: v_dual_lshlrev_b32 v31, 23, v31
	v_lshl_add_u32 v33, v34, 10, 0x2000
	s_delay_alu instid0(VALU_DEP_1) | instskip(NEXT) | instid1(VALU_DEP_1)
	v_and_or_b32 v2, 0x8000, v2, v33
	v_lshl_or_b32 v31, v2, 16, v31
.LBB244_119:                            ;   in Loop: Header=BB244_9 Depth=1
	s_or_b32 exec_lo, exec_lo, s31
.LBB244_120:                            ;   in Loop: Header=BB244_9 Depth=1
	s_delay_alu instid0(SALU_CYCLE_1)
	s_or_b32 exec_lo, exec_lo, s30
.LBB244_121:                            ;   in Loop: Header=BB244_9 Depth=1
	s_delay_alu instid0(SALU_CYCLE_1)
	s_or_b32 exec_lo, exec_lo, s29
	global_load_u16 v2, v[8:9], off offset:392
	s_wait_xcnt 0x0
	v_mov_b32_e32 v8, 0
	s_wait_loadcnt 0x0
	v_and_b32_e32 v9, 0xff, v2
	v_and_b32_e32 v2, 0xffff, v2
	s_delay_alu instid0(VALU_DEP_2)
	v_cmp_ne_u16_e64 s5, 0, v9
	v_mov_b32_e32 v9, 0
	s_and_saveexec_b32 s29, s5
	s_cbranch_execz .LBB244_129
; %bb.122:                              ;   in Loop: Header=BB244_9 Depth=1
	v_and_b32_e32 v9, 0xff, v2
	s_delay_alu instid0(VALU_DEP_1)
	v_cmp_ne_u16_e64 s5, 0x80, v9
	v_mov_b32_e32 v9, 0x8000
	s_and_saveexec_b32 s30, s5
	s_cbranch_execz .LBB244_128
; %bb.123:                              ;   in Loop: Header=BB244_9 Depth=1
	v_and_b32_e32 v34, 0x7f, v2
	v_mov_b32_e32 v9, 0x7c01
	s_mov_b32 s31, exec_lo
	s_delay_alu instid0(VALU_DEP_2)
	v_cmpx_ne_u32_e32 0x7f, v34
	s_cbranch_execz .LBB244_127
; %bb.124:                              ;   in Loop: Header=BB244_9 Depth=1
	v_and_b32_e32 v9, 7, v2
	v_lshrrev_b32_e32 v33, 3, v34
	s_mov_b32 s33, exec_lo
	v_cmpx_gt_u32_e32 8, v34
; %bb.125:                              ;   in Loop: Header=BB244_9 Depth=1
	s_delay_alu instid0(VALU_DEP_3) | instskip(NEXT) | instid1(VALU_DEP_1)
	v_clz_i32_u32_e32 v9, v9
	v_min_u32_e32 v9, 32, v9
	s_delay_alu instid0(VALU_DEP_1) | instskip(NEXT) | instid1(VALU_DEP_1)
	v_subrev_nc_u32_e32 v33, 28, v9
	v_lshlrev_b64_e32 v[34:35], v33, v[2:3]
	s_delay_alu instid0(VALU_DEP_1)
	v_dual_sub_nc_u32 v33, 29, v9 :: v_dual_bitop2_b32 v9, 7, v34 bitop3:0x40
; %bb.126:                              ;   in Loop: Header=BB244_9 Depth=1
	s_or_b32 exec_lo, exec_lo, s33
	s_delay_alu instid0(VALU_DEP_1) | instskip(NEXT) | instid1(VALU_DEP_2)
	v_dual_lshlrev_b32 v34, 8, v2 :: v_dual_lshlrev_b32 v9, 7, v9
	v_lshl_add_u32 v33, v33, 10, 0x2000
	s_delay_alu instid0(VALU_DEP_2) | instskip(NEXT) | instid1(VALU_DEP_2)
	v_and_b32_e32 v34, 0x8000, v34
	v_and_b32_e32 v33, 0xfc00, v33
	s_delay_alu instid0(VALU_DEP_1)
	v_or3_b32 v9, v34, v33, v9
.LBB244_127:                            ;   in Loop: Header=BB244_9 Depth=1
	s_or_b32 exec_lo, exec_lo, s31
.LBB244_128:                            ;   in Loop: Header=BB244_9 Depth=1
	s_delay_alu instid0(SALU_CYCLE_1)
	s_or_b32 exec_lo, exec_lo, s30
.LBB244_129:                            ;   in Loop: Header=BB244_9 Depth=1
	s_delay_alu instid0(SALU_CYCLE_1) | instskip(SKIP_2) | instid1(VALU_DEP_1)
	s_or_b32 exec_lo, exec_lo, s29
	v_lshrrev_b16 v2, 8, v2
	s_mov_b32 s29, exec_lo
	v_cmpx_ne_u16_e32 0, v2
	s_cbranch_execz .LBB244_137
; %bb.130:                              ;   in Loop: Header=BB244_9 Depth=1
	v_bfrev_b32_e32 v8, 1
	s_mov_b32 s30, exec_lo
	v_cmpx_ne_u16_e32 0x80, v2
	s_cbranch_execz .LBB244_136
; %bb.131:                              ;   in Loop: Header=BB244_9 Depth=1
	v_and_b32_e32 v33, 0xffff, v2
	v_mov_b32_e32 v8, 0x7c010000
	s_mov_b32 s31, exec_lo
	s_delay_alu instid0(VALU_DEP_2) | instskip(NEXT) | instid1(VALU_DEP_1)
	v_and_b32_e32 v35, 0x7f, v33
	v_cmpx_ne_u32_e32 0x7f, v35
	s_cbranch_execz .LBB244_135
; %bb.132:                              ;   in Loop: Header=BB244_9 Depth=1
	v_dual_lshrrev_b32 v34, 3, v35 :: v_dual_bitop2_b32 v8, 7, v33 bitop3:0x40
	s_mov_b32 s33, exec_lo
	v_cmpx_gt_u32_e32 8, v35
; %bb.133:                              ;   in Loop: Header=BB244_9 Depth=1
	s_delay_alu instid0(VALU_DEP_2) | instskip(NEXT) | instid1(VALU_DEP_1)
	v_clz_i32_u32_e32 v8, v8
	v_min_u32_e32 v8, 32, v8
	s_delay_alu instid0(VALU_DEP_1) | instskip(NEXT) | instid1(VALU_DEP_1)
	v_subrev_nc_u32_e32 v34, 28, v8
	v_lshlrev_b64_e32 v[36:37], v34, v[2:3]
	v_sub_nc_u32_e32 v34, 29, v8
	s_delay_alu instid0(VALU_DEP_2)
	v_and_b32_e32 v8, 7, v36
; %bb.134:                              ;   in Loop: Header=BB244_9 Depth=1
	s_or_b32 exec_lo, exec_lo, s33
	s_delay_alu instid0(VALU_DEP_1) | instskip(NEXT) | instid1(VALU_DEP_3)
	v_dual_lshlrev_b32 v2, 8, v33 :: v_dual_lshlrev_b32 v8, 23, v8
	v_lshl_add_u32 v33, v34, 10, 0x2000
	s_delay_alu instid0(VALU_DEP_1) | instskip(NEXT) | instid1(VALU_DEP_1)
	v_and_or_b32 v2, 0x8000, v2, v33
	v_lshl_or_b32 v8, v2, 16, v8
.LBB244_135:                            ;   in Loop: Header=BB244_9 Depth=1
	s_or_b32 exec_lo, exec_lo, s31
.LBB244_136:                            ;   in Loop: Header=BB244_9 Depth=1
	s_delay_alu instid0(SALU_CYCLE_1)
	s_or_b32 exec_lo, exec_lo, s30
.LBB244_137:                            ;   in Loop: Header=BB244_9 Depth=1
	s_delay_alu instid0(SALU_CYCLE_1) | instskip(SKIP_3) | instid1(VALU_DEP_1)
	s_or_b32 exec_lo, exec_lo, s29
	ds_load_b32 v2, v13
	v_or_b32_e32 v19, v18, v19
	v_fma_mixlo_f16 v18, v17, v18, 0 op_sel:[0,1,0] op_sel_hi:[0,1,0]
	v_and_b32_e32 v18, 0xffff, v18
	s_wait_dscnt 0x0
	v_and_b32_e32 v33, 0xffff, v2
	v_lshrrev_b32_e32 v2, 16, v2
	v_fma_mixlo_f16 v19, v17, v19, 0 op_sel_hi:[0,1,0]
	;;#ASMSTART
	v_cvt_f32_f16 v33, v33;
	;;#ASMEND
	;;#ASMSTART
	v_cvt_f32_f16 v34, v2;
	;;#ASMEND
	s_delay_alu instid0(VALU_DEP_1)
	v_and_b32_e32 v19, 0xffff, v19
	;;#ASMSTART
	v_cvt_f32_f16 v35, v19;
	;;#ASMEND
	;;#ASMSTART
	v_cvt_f32_f16 v36, v18;
	;;#ASMEND
	ds_load_b32 v2, v13 offset:4
	v_or_b32_e32 v18, v20, v21
	v_fma_mixlo_f16 v19, v17, v20, 0 op_sel:[0,1,0] op_sel_hi:[0,1,0]
	s_delay_alu instid0(VALU_DEP_1)
	v_and_b32_e32 v19, 0xffff, v19
	s_wait_dscnt 0x0
	v_and_b32_e32 v20, 0xffff, v2
	v_lshrrev_b32_e32 v2, 16, v2
	v_fma_mixlo_f16 v18, v17, v18, 0 op_sel_hi:[0,1,0]
	;;#ASMSTART
	v_cvt_f32_f16 v20, v20;
	;;#ASMEND
	;;#ASMSTART
	v_cvt_f32_f16 v21, v2;
	;;#ASMEND
	s_delay_alu instid0(VALU_DEP_1)
	v_and_b32_e32 v18, 0xffff, v18
	;;#ASMSTART
	v_cvt_f32_f16 v37, v18;
	;;#ASMEND
	;;#ASMSTART
	v_cvt_f32_f16 v38, v19;
	;;#ASMEND
	ds_load_b32 v2, v13 offset:8
	v_or_b32_e32 v18, v23, v24
	v_fma_mixlo_f16 v19, v17, v23, 0 op_sel:[0,1,0] op_sel_hi:[0,1,0]
	s_delay_alu instid0(VALU_DEP_1)
	v_and_b32_e32 v19, 0xffff, v19
	s_wait_dscnt 0x0
	v_and_b32_e32 v23, 0xffff, v2
	v_lshrrev_b32_e32 v2, 16, v2
	v_fma_mixlo_f16 v18, v17, v18, 0 op_sel_hi:[0,1,0]
	;;#ASMSTART
	v_cvt_f32_f16 v23, v23;
	;;#ASMEND
	;;#ASMSTART
	v_cvt_f32_f16 v24, v2;
	;;#ASMEND
	s_delay_alu instid0(VALU_DEP_1)
	v_and_b32_e32 v18, 0xffff, v18
	;;#ASMSTART
	v_cvt_f32_f16 v39, v18;
	;;#ASMEND
	;;#ASMSTART
	v_cvt_f32_f16 v40, v19;
	;;#ASMEND
	ds_load_b32 v2, v13 offset:12
	v_or_b32_e32 v18, v25, v26
	v_fma_mixlo_f16 v19, v17, v25, 0 op_sel:[0,1,0] op_sel_hi:[0,1,0]
	s_delay_alu instid0(VALU_DEP_2) | instskip(NEXT) | instid1(VALU_DEP_2)
	v_fma_mixlo_f16 v18, v17, v18, 0 op_sel_hi:[0,1,0]
	v_and_b32_e32 v19, 0xffff, v19
	s_delay_alu instid0(VALU_DEP_2)
	v_and_b32_e32 v18, 0xffff, v18
	s_wait_dscnt 0x0
	v_and_b32_e32 v25, 0xffff, v2
	v_lshrrev_b32_e32 v2, 16, v2
	;;#ASMSTART
	v_cvt_f32_f16 v25, v25;
	;;#ASMEND
	;;#ASMSTART
	v_cvt_f32_f16 v26, v2;
	;;#ASMEND
	;;#ASMSTART
	v_cvt_f32_f16 v41, v18;
	;;#ASMEND
	;;#ASMSTART
	v_cvt_f32_f16 v42, v19;
	;;#ASMEND
	ds_load_b32 v2, v13 offset:16
	v_or_b32_e32 v18, v27, v28
	v_fma_mixlo_f16 v19, v17, v27, 0 op_sel:[0,1,0] op_sel_hi:[0,1,0]
	s_delay_alu instid0(VALU_DEP_2) | instskip(NEXT) | instid1(VALU_DEP_2)
	v_fma_mixlo_f16 v18, v17, v18, 0 op_sel_hi:[0,1,0]
	v_and_b32_e32 v19, 0xffff, v19
	s_delay_alu instid0(VALU_DEP_2)
	v_and_b32_e32 v18, 0xffff, v18
	s_wait_dscnt 0x0
	v_and_b32_e32 v27, 0xffff, v2
	v_lshrrev_b32_e32 v2, 16, v2
	;;#ASMSTART
	v_cvt_f32_f16 v27, v27;
	;;#ASMEND
	;;#ASMSTART
	v_cvt_f32_f16 v28, v2;
	;;#ASMEND
	;; [unrolled: 23-line block ×3, first 2 shown]
	;;#ASMSTART
	v_cvt_f32_f16 v45, v18;
	;;#ASMEND
	;;#ASMSTART
	v_cvt_f32_f16 v46, v19;
	;;#ASMEND
	ds_load_b32 v2, v13 offset:24
	v_fma_mixlo_f16 v19, v17, v31, 0 op_sel:[0,1,0] op_sel_hi:[0,1,0]
	v_or_b32_e32 v18, v31, v32
	s_delay_alu instid0(VALU_DEP_2) | instskip(SKIP_1) | instid1(VALU_DEP_3)
	v_and_b32_e32 v31, 0xffff, v19
	v_mul_f32_e32 v19, v20, v37
	v_fma_mixlo_f16 v18, v17, v18, 0 op_sel_hi:[0,1,0]
	s_delay_alu instid0(VALU_DEP_2) | instskip(SKIP_1) | instid1(VALU_DEP_3)
	v_fmac_f32_e32 v19, v33, v35
	v_mul_f32_e32 v20, v21, v38
	v_and_b32_e32 v18, 0xffff, v18
	s_delay_alu instid0(VALU_DEP_2)
	v_dual_fmac_f32 v19, v23, v39 :: v_dual_fmac_f32 v20, v34, v36
	s_wait_dscnt 0x0
	v_and_b32_e32 v21, 0xffff, v2
	v_lshrrev_b32_e32 v2, 16, v2
	;;#ASMSTART
	v_cvt_f32_f16 v21, v21;
	;;#ASMEND
	v_fmac_f32_e32 v20, v24, v40
	;;#ASMSTART
	v_cvt_f32_f16 v32, v2;
	;;#ASMEND
	;;#ASMSTART
	v_cvt_f32_f16 v33, v18;
	;;#ASMEND
	;; [unrolled: 3-line block ×3, first 2 shown]
	ds_load_b32 v2, v13 offset:28
	v_dual_fmac_f32 v20, v26, v42 :: v_dual_bitop2_b32 v9, v8, v9 bitop3:0x54
	v_dual_fmac_f32 v19, v25, v41 :: v_dual_bitop2_b32 v18, 2, v10 bitop3:0x14
	v_fma_mixlo_f16 v8, v17, v8, 0 op_sel:[0,1,0] op_sel_hi:[0,1,0]
	s_delay_alu instid0(VALU_DEP_3) | instskip(NEXT) | instid1(VALU_DEP_3)
	v_fma_mixlo_f16 v9, v17, v9, 0 op_sel_hi:[0,1,0]
	v_dual_fmac_f32 v20, v28, v44 :: v_dual_fmac_f32 v19, v27, v43
	s_delay_alu instid0(VALU_DEP_4) | instskip(NEXT) | instid1(VALU_DEP_4)
	v_cmp_gt_i32_e64 s5, 32, v18
	v_and_b32_e32 v17, 0xffff, v8
	s_delay_alu instid0(VALU_DEP_4) | instskip(NEXT) | instid1(VALU_DEP_3)
	v_and_b32_e32 v9, 0xffff, v9
	v_dual_fmac_f32 v19, v29, v45 :: v_dual_cndmask_b32 v8, v10, v18, s5
	s_delay_alu instid0(VALU_DEP_1) | instskip(SKIP_2) | instid1(VALU_DEP_2)
	v_dual_fmac_f32 v20, v30, v46 :: v_dual_fmac_f32 v19, v21, v33
	s_wait_dscnt 0x0
	v_and_b32_e32 v18, 0xffff, v2
	v_dual_lshrrev_b32 v2, 16, v2 :: v_dual_fmac_f32 v20, v32, v31
	;;#ASMSTART
	v_cvt_f32_f16 v18, v18;
	;;#ASMEND
	;;#ASMSTART
	v_cvt_f32_f16 v2, v2;
	;;#ASMEND
	;; [unrolled: 3-line block ×4, first 2 shown]
	v_fmac_f32_e32 v19, v18, v9
	v_dual_fmac_f32 v20, v2, v17 :: v_dual_bitop2_b32 v9, 1, v10 bitop3:0x14
	v_lshlrev_b32_e32 v2, 2, v8
	s_delay_alu instid0(VALU_DEP_2) | instskip(NEXT) | instid1(VALU_DEP_1)
	v_cmp_gt_i32_e64 s5, 32, v9
	v_dual_add_f32 v8, v19, v20 :: v_dual_cndmask_b32 v9, v10, v9, s5
	ds_bpermute_b32 v2, v2, v8
	s_wait_dscnt 0x0
	v_dual_add_f32 v2, v8, v2 :: v_dual_lshlrev_b32 v8, 2, v9
	ds_bpermute_b32 v8, v8, v2
	s_and_saveexec_b32 s29, vcc_lo
	s_cbranch_execz .LBB244_8
; %bb.138:                              ;   in Loop: Header=BB244_9 Depth=1
	s_wait_dscnt 0x0
	v_dual_add_f32 v2, v2, v8 :: v_dual_add_nc_u32 v9, s28, v14
	v_cmp_gt_i32_e64 s5, s25, v14
	s_delay_alu instid0(VALU_DEP_2) | instskip(NEXT) | instid1(VALU_DEP_1)
	v_cvt_f32_i32_e32 v9, v9
	v_mul_f32_e32 v9, s20, v9
	s_delay_alu instid0(VALU_DEP_1) | instskip(NEXT) | instid1(VALU_DEP_1)
	v_dual_cndmask_b32 v8, 0, v9, s4 :: v_dual_max_num_f32 v9, v12, v12
	v_fmac_f32_e32 v8, s21, v2
	s_delay_alu instid0(VALU_DEP_1) | instskip(NEXT) | instid1(VALU_DEP_1)
	v_dual_max_num_f32 v2, v9, v8 :: v_dual_cndmask_b32 v8, 0, v8, s5
	v_cndmask_b32_e64 v12, v12, v2, s5
	ds_store_b32 v15, v8
	s_branch .LBB244_8
.LBB244_139:
	s_or_b32 exec_lo, exec_lo, s15
.LBB244_140:
	s_delay_alu instid0(SALU_CYCLE_1)
	s_or_b32 exec_lo, exec_lo, s26
	v_dual_max_num_f32 v6, v12, v12 :: v_dual_bitop2_b32 v2, 16, v10 bitop3:0x14
	v_xor_b32_e32 v5, 8, v10
	s_wait_kmcnt 0x0
	s_clause 0x1
	s_load_b64 s[8:9], s[0:1], 0x0
	s_load_b64 s[20:21], s[0:1], 0x18
	v_and_b32_e32 v23, 31, v0
	v_cmp_lt_i32_e32 vcc_lo, v2, v11
	v_cndmask_b32_e32 v2, v10, v2, vcc_lo
	v_cmp_lt_i32_e32 vcc_lo, v5, v11
	s_delay_alu instid0(VALU_DEP_2) | instskip(SKIP_3) | instid1(VALU_DEP_1)
	v_dual_cndmask_b32 v5, v10, v5 :: v_dual_lshlrev_b32 v2, 2, v2
	ds_bpermute_b32 v4, v2, v12
	s_wait_dscnt 0x0
	v_dual_max_num_f32 v7, v4, v4 :: v_dual_lshlrev_b32 v4, 2, v5
	v_dual_max_num_f32 v5, v6, v7 :: v_dual_bitop2_b32 v7, 4, v10 bitop3:0x14
	ds_bpermute_b32 v6, v4, v5
	v_cmp_lt_i32_e32 vcc_lo, v7, v11
	v_cndmask_b32_e32 v7, v10, v7, vcc_lo
	v_cmp_eq_u32_e32 vcc_lo, 0, v23
	s_wait_dscnt 0x0
	s_delay_alu instid0(VALU_DEP_2) | instskip(NEXT) | instid1(VALU_DEP_1)
	v_dual_max_num_f32 v6, v6, v6 :: v_dual_lshlrev_b32 v7, 2, v7
	v_max_num_f32_e32 v6, v5, v6
	v_lshlrev_b32_e32 v5, 2, v22
	ds_bpermute_b32 v8, v7, v6
	s_wait_xcnt 0x0
	s_and_saveexec_b32 s0, vcc_lo
	s_cbranch_execz .LBB244_142
; %bb.141:
	s_wait_dscnt 0x0
	v_dual_max_num_f32 v8, v8, v8 :: v_dual_max_num_f32 v6, v6, v6
	s_delay_alu instid0(VALU_DEP_1)
	v_max_num_f32_e32 v6, v6, v8
	ds_store_b32 v5, v6 offset:128
.LBB244_142:
	s_or_b32 exec_lo, exec_lo, s0
	v_cmp_gt_u32_e64 s0, 4, v23
	v_dual_mov_b32 v9, 0xff7fffff :: v_dual_lshlrev_b32 v6, 2, v23
	s_wait_dscnt 0x0
	s_barrier_signal -1
	s_barrier_wait -1
	s_and_saveexec_b32 s1, s0
; %bb.143:
	ds_load_b32 v9, v6 offset:128
; %bb.144:
	s_or_b32 exec_lo, exec_lo, s1
	s_wait_dscnt 0x0
	v_dual_max_num_f32 v14, v9, v9 :: v_dual_bitop2_b32 v8, 2, v10 bitop3:0x14
	v_dual_lshlrev_b32 v3, 2, v3 :: v_dual_bitop2_b32 v13, 1, v10 bitop3:0x14
	s_delay_alu instid0(VALU_DEP_2) | instskip(NEXT) | instid1(VALU_DEP_1)
	v_cmp_lt_i32_e64 s1, v8, v11
	v_cndmask_b32_e64 v8, v10, v8, s1
	s_delay_alu instid0(VALU_DEP_3) | instskip(NEXT) | instid1(VALU_DEP_2)
	v_cmp_lt_i32_e64 s1, v13, v11
	v_lshlrev_b32_e32 v8, 2, v8
	ds_bpermute_b32 v12, v8, v9
	v_cndmask_b32_e64 v9, v10, v13, s1
	s_lshl_b32 s1, s12, 3
	s_delay_alu instid0(SALU_CYCLE_1) | instskip(NEXT) | instid1(VALU_DEP_1)
	s_min_i32 s5, s1, s25
	v_lshlrev_b32_e32 v9, 2, v9
	v_cmp_gt_i32_e64 s1, s5, v0
	s_wait_dscnt 0x0
	v_max_num_f32_e32 v11, v12, v12
	s_delay_alu instid0(VALU_DEP_1) | instskip(SKIP_3) | instid1(VALU_DEP_1)
	v_max_num_f32_e32 v11, v14, v11
	ds_bpermute_b32 v12, v9, v11
	s_wait_dscnt 0x0
	v_max_num_f32_e32 v12, v12, v12
	v_max_num_f32_e32 v11, v11, v12
	ds_bpermute_b32 v11, v3, v11
	v_mov_b32_e32 v3, 0
	s_and_saveexec_b32 s15, s1
	s_cbranch_execz .LBB244_148
; %bb.145:
	v_lshl_add_u32 v12, v0, 2, 0xa0
	v_dual_mov_b32 v3, 0 :: v_dual_mov_b32 v13, v0
	s_mov_b32 s26, 0
.LBB244_146:                            ; =>This Inner Loop Header: Depth=1
	ds_load_b32 v14, v12
	v_add_nc_u32_e32 v13, 0x80, v13
	s_delay_alu instid0(VALU_DEP_1) | instskip(SKIP_3) | instid1(VALU_DEP_1)
	v_cmp_le_i32_e64 s4, s5, v13
	s_or_b32 s26, s4, s26
	s_wait_dscnt 0x0
	v_sub_f32_e32 v14, v14, v11
	v_mul_f32_e32 v14, 0x3fb8aa3b, v14
	s_delay_alu instid0(VALU_DEP_1)
	v_exp_f32_e32 v14, v14
	ds_store_b32 v12, v14
	v_nop
	v_dual_add_f32 v3, v3, v14 :: v_dual_add_nc_u32 v12, 0x200, v12
	s_and_not1_b32 exec_lo, exec_lo, s26
	s_cbranch_execnz .LBB244_146
; %bb.147:
	s_or_b32 exec_lo, exec_lo, s26
.LBB244_148:
	s_delay_alu instid0(SALU_CYCLE_1)
	s_or_b32 exec_lo, exec_lo, s15
	ds_bpermute_b32 v2, v2, v3
	s_wait_dscnt 0x0
	v_add_f32_e32 v2, v3, v2
	ds_bpermute_b32 v3, v4, v2
	s_wait_dscnt 0x0
	v_add_f32_e32 v2, v2, v3
	;; [unrolled: 3-line block ×5, first 2 shown]
	s_and_saveexec_b32 s4, vcc_lo
; %bb.149:
	ds_store_b32 v5, v2 offset:144
; %bb.150:
	s_or_b32 exec_lo, exec_lo, s4
	s_wait_dscnt 0x0
	s_barrier_signal -1
	s_barrier_wait -1
	s_and_saveexec_b32 s4, s0
; %bb.151:
	ds_load_b32 v2, v6 offset:144
; %bb.152:
	s_or_b32 exec_lo, exec_lo, s4
	s_wait_dscnt 0x0
	ds_bpermute_b32 v3, v8, v2
	s_wait_dscnt 0x0
	v_dual_lshlrev_b32 v4, 2, v10 :: v_dual_add_f32 v2, v2, v3
	ds_bpermute_b32 v3, v9, v2
	s_wait_dscnt 0x0
	v_add_f32_e32 v2, v2, v3
	v_and_b32_e32 v3, 0xffffff80, v4
	ds_bpermute_b32 v2, v3, v2
	s_and_saveexec_b32 s0, s1
	s_cbranch_execz .LBB244_165
; %bb.153:
	s_wait_dscnt 0x0
	v_add_f32_e32 v2, 0x358637bd, v2
	s_mov_b32 s4, -1
	s_mov_b32 s1, exec_lo
	s_delay_alu instid0(VALU_DEP_1) | instskip(NEXT) | instid1(VALU_DEP_1)
	v_div_scale_f32 v3, null, v2, v2, 1.0
	v_rcp_f32_e32 v5, v3
	v_nop
	s_delay_alu instid0(TRANS32_DEP_1) | instskip(NEXT) | instid1(VALU_DEP_1)
	v_fma_f32 v4, -v3, v5, 1.0
	v_fmac_f32_e32 v5, v4, v5
	v_div_scale_f32 v6, vcc_lo, 1.0, v2, 1.0
	s_delay_alu instid0(VALU_DEP_1) | instskip(NEXT) | instid1(VALU_DEP_1)
	v_mul_f32_e32 v7, v6, v5
	v_fma_f32 v4, -v3, v7, v6
	s_delay_alu instid0(VALU_DEP_1) | instskip(SKIP_1) | instid1(VALU_DEP_2)
	v_fmac_f32_e32 v7, v4, v5
	v_xad_u32 v4, v0, -1, s5
	v_fma_f32 v3, -v3, v7, v6
	s_delay_alu instid0(VALU_DEP_1) | instskip(NEXT) | instid1(VALU_DEP_1)
	v_div_fmas_f32 v3, v3, v5, v7
	v_div_fixup_f32 v2, v3, v2, 1.0
	v_mov_b32_e32 v3, v0
	v_cmpx_lt_u32_e32 0x7f, v4
	s_cbranch_execz .LBB244_162
; %bb.154:
	s_delay_alu instid0(VALU_DEP_3) | instskip(NEXT) | instid1(VALU_DEP_1)
	v_dual_mov_b32 v3, v2 :: v_dual_lshrrev_b32 v4, 7, v4
	v_dual_mov_b32 v8, 0 :: v_dual_add_nc_u32 v5, -1, v4
	s_delay_alu instid0(VALU_DEP_1) | instskip(SKIP_1) | instid1(VALU_DEP_2)
	v_lshrrev_b32_e32 v6, 1, v5
	v_cmp_lt_u32_e32 vcc_lo, 13, v5
	v_add_nc_u32_e32 v5, 1, v6
	s_and_saveexec_b32 s4, vcc_lo
	s_cbranch_execz .LBB244_158
; %bb.155:
	s_delay_alu instid0(VALU_DEP_1)
	v_and_b32_e32 v6, -8, v5
	v_lshl_add_u32 v7, v0, 2, 0xa0
	s_mov_b32 s15, 0
	s_mov_b32 s26, 0
.LBB244_156:                            ; =>This Inner Loop Header: Depth=1
	ds_load_2addr_stride64_b32 v[8:9], v7 offset1:2
	ds_load_2addr_stride64_b32 v[10:11], v7 offset0:4 offset1:6
	ds_load_2addr_stride64_b32 v[12:13], v7 offset0:8 offset1:10
	;; [unrolled: 1-line block ×7, first 2 shown]
	s_add_co_i32 s26, s26, 16
	v_add_nc_u32_e32 v6, -8, v6
	s_wait_dscnt 0x7
	v_pk_mul_f32 v[8:9], v[2:3], v[8:9]
	s_wait_dscnt 0x6
	v_pk_mul_f32 v[10:11], v[2:3], v[10:11]
	;; [unrolled: 2-line block ×8, first 2 shown]
	ds_store_2addr_stride64_b32 v7, v8, v9 offset1:2
	ds_store_2addr_stride64_b32 v7, v10, v11 offset0:4 offset1:6
	ds_store_2addr_stride64_b32 v7, v12, v13 offset0:8 offset1:10
	;; [unrolled: 1-line block ×7, first 2 shown]
	v_mov_b32_e32 v8, s26
	v_cmp_eq_u32_e32 vcc_lo, 0, v6
	v_add_nc_u32_e32 v7, 0x2000, v7
	s_or_b32 s15, vcc_lo, s15
	s_delay_alu instid0(SALU_CYCLE_1)
	s_and_not1_b32 exec_lo, exec_lo, s15
	s_cbranch_execnz .LBB244_156
; %bb.157:
	s_or_b32 exec_lo, exec_lo, s15
.LBB244_158:
	s_delay_alu instid0(SALU_CYCLE_1) | instskip(NEXT) | instid1(VALU_DEP_1)
	s_or_b32 exec_lo, exec_lo, s4
	v_and_b32_e32 v5, 7, v5
	s_mov_b32 s15, 0
	s_mov_b32 s4, exec_lo
	s_delay_alu instid0(VALU_DEP_1)
	v_cmpx_ne_u32_e32 0, v5
	s_cbranch_execz .LBB244_161
; %bb.159:
	v_lshlrev_b32_e32 v6, 9, v8
	v_lshlrev_b32_e32 v7, 2, v0
	s_delay_alu instid0(VALU_DEP_1)
	v_add3_u32 v6, v6, v7, 0xa0
.LBB244_160:                            ; =>This Inner Loop Header: Depth=1
	ds_load_2addr_stride64_b32 v[8:9], v6 offset1:2
	v_add_nc_u32_e32 v5, -1, v5
	s_delay_alu instid0(VALU_DEP_1)
	v_cmp_eq_u32_e32 vcc_lo, 0, v5
	s_or_b32 s15, vcc_lo, s15
	s_wait_dscnt 0x0
	v_pk_mul_f32 v[8:9], v[2:3], v[8:9]
	ds_store_2addr_stride64_b32 v6, v8, v9 offset1:2
	v_add_nc_u32_e32 v6, 0x400, v6
	s_and_not1_b32 exec_lo, exec_lo, s15
	s_cbranch_execnz .LBB244_160
.LBB244_161:
	s_or_b32 exec_lo, exec_lo, s4
	v_add_nc_u32_e32 v3, 1, v4
	s_delay_alu instid0(VALU_DEP_1) | instskip(NEXT) | instid1(VALU_DEP_1)
	v_and_b32_e32 v4, 0x3fffffe, v3
	v_cmp_ne_u32_e32 vcc_lo, v3, v4
	v_lshl_add_u32 v3, v4, 7, v0
	s_or_not1_b32 s4, vcc_lo, exec_lo
.LBB244_162:
	s_or_b32 exec_lo, exec_lo, s1
	s_delay_alu instid0(SALU_CYCLE_1)
	s_and_b32 exec_lo, exec_lo, s4
	s_cbranch_execz .LBB244_165
; %bb.163:
	v_lshl_add_u32 v4, v3, 2, 0xa0
	s_mov_b32 s1, 0
.LBB244_164:                            ; =>This Inner Loop Header: Depth=1
	ds_load_b32 v5, v4
	v_add_nc_u32_e32 v3, 0x80, v3
	s_delay_alu instid0(VALU_DEP_1)
	v_cmp_le_i32_e32 vcc_lo, s5, v3
	s_or_b32 s1, vcc_lo, s1
	s_wait_dscnt 0x0
	v_mul_f32_e32 v5, v2, v5
	ds_store_b32 v4, v5
	v_add_nc_u32_e32 v4, 0x200, v4
	s_and_not1_b32 exec_lo, exec_lo, s1
	s_cbranch_execnz .LBB244_164
.LBB244_165:
	s_or_b32 exec_lo, exec_lo, s0
	s_wait_dscnt 0x0
	v_mov_b64_e32 v[2:3], 0
	s_barrier_signal -1
	s_barrier_wait -1
	s_and_saveexec_b32 s1, s3
	s_cbranch_execz .LBB244_301
; %bb.166:
	v_dual_mov_b32 v5, 0 :: v_dual_lshlrev_b32 v4, 3, v23
	s_ashr_i32 s15, s14, 31
	v_dual_mov_b32 v3, 0 :: v_dual_lshlrev_b32 v24, 3, v22
	s_wait_kmcnt 0x0
	s_add_nc_u64 s[4:5], s[20:21], s[14:15]
	v_lshl_add_u32 v25, v22, 5, 0xa0
	v_add_nc_u64_e32 v[6:7], s[4:5], v[4:5]
	v_and_b32_e32 v4, 0x7c, v1
	s_lshl_b64 s[4:5], s[16:17], 2
	v_dual_mov_b32 v2, 0 :: v_dual_mov_b32 v26, v22
	s_add_nc_u64 s[4:5], s[18:19], s[4:5]
	s_mov_b32 s3, s13
	v_add_nc_u64_e32 v[8:9], s[4:5], v[4:5]
	s_mov_b64 s[4:5], 0xffffffffffffff
	s_add_co_i32 s13, s12, -1
	s_mov_b32 s15, s25
	s_mov_b32 s14, 0
	s_branch .LBB244_168
.LBB244_167:                            ;   in Loop: Header=BB244_168 Depth=1
	s_or_b32 exec_lo, exec_lo, s0
	;;#ASMSTART
	v_pk_mul_f16 v1, v37, v17;

	;;#ASMEND
	;;#ASMSTART
	v_pk_mul_f16 v4, v36, v16;

	;;#ASMEND
	;; [unrolled: 4-line block ×4, first 2 shown]
	;;#ASMSTART
	v_pk_add_f16 v1, v1, v4;

	;;#ASMEND
	;;#ASMSTART
	v_pk_add_f16 v1, v1, v10;

	;;#ASMEND
	;; [unrolled: 4-line block ×3, first 2 shown]
	v_and_b32_e32 v4, 0xffff, v1
	v_dual_add_f32 v1, v38, v39 :: v_dual_lshrrev_b32 v10, 16, v1
	;;#ASMSTART
	v_cvt_f32_f16 v4, v4;
	;;#ASMEND
	;;#ASMSTART
	v_cvt_f32_f16 v10, v10;
	;;#ASMEND
	s_delay_alu instid0(VALU_DEP_1) | instskip(SKIP_3) | instid1(VALU_DEP_4)
	v_add_f32_e32 v4, v4, v10
	v_add_nc_u64_e32 v[8:9], 16, v[8:9]
	v_dual_add_f32 v2, v2, v1 :: v_dual_add_nc_u32 v26, 4, v26
	v_add_nc_u32_e32 v24, 32, v24
	v_add_f32_e32 v3, v3, v4
	v_add_nc_u32_e32 v25, 0x80, v25
	s_delay_alu instid0(VALU_DEP_4) | instskip(SKIP_1) | instid1(SALU_CYCLE_1)
	v_cmp_le_i32_e32 vcc_lo, s12, v26
	s_or_b32 s14, vcc_lo, s14
	s_and_not1_b32 exec_lo, exec_lo, s14
	s_cbranch_execz .LBB244_300
.LBB244_168:                            ; =>This Inner Loop Header: Depth=1
	global_load_b32 v1, v[8:9], off
	ds_load_2addr_b64 v[12:15], v25 offset1:1
	ds_load_2addr_b64 v[16:19], v25 offset0:2 offset1:3
	s_mov_b32 s0, exec_lo
	s_wait_dscnt 0x1
	;;#ASMSTART
	v_cvt_f16_f32 v36, v12;

	;;#ASMEND
	;;#ASMSTART
	v_cvt_f16_f32 v34, v13;

	;;#ASMEND
	;; [unrolled: 4-line block ×4, first 2 shown]
	s_wait_dscnt 0x0
	;;#ASMSTART
	v_cvt_f16_f32 v40, v16;

	;;#ASMEND
	;;#ASMSTART
	v_cvt_f16_f32 v38, v17;

	;;#ASMEND
	;; [unrolled: 4-line block ×4, first 2 shown]
	s_wait_loadcnt 0x0
	v_mad_nc_i64_i32 v[10:11], v1, s3, v[6:7]
	v_mov_b32_e32 v1, 0
	global_load_b64 v[14:15], v[10:11], off
	global_load_b32 v12, v5, s[10:11]
	s_wait_loadcnt 0x1
	v_and_b32_e32 v4, 0xff, v14
	s_wait_xcnt 0x0
	s_delay_alu instid0(VALU_DEP_1)
	v_cmpx_ne_u16_e32 0, v4
	s_cbranch_execz .LBB244_176
; %bb.169:                              ;   in Loop: Header=BB244_168 Depth=1
	v_mov_b32_e32 v1, 0x8000
	s_mov_b32 s16, exec_lo
	v_cmpx_ne_u16_e32 0x80, v4
	s_cbranch_execz .LBB244_175
; %bb.170:                              ;   in Loop: Header=BB244_168 Depth=1
	v_and_b32_e32 v13, 0x7f, v14
	v_mov_b32_e32 v1, 0x7c01
	s_mov_b32 s17, exec_lo
	s_delay_alu instid0(VALU_DEP_2)
	v_cmpx_ne_u32_e32 0x7f, v13
	s_cbranch_execz .LBB244_174
; %bb.171:                              ;   in Loop: Header=BB244_168 Depth=1
	v_dual_lshrrev_b32 v4, 3, v13 :: v_dual_bitop2_b32 v1, 7, v14 bitop3:0x40
	s_mov_b32 s18, exec_lo
	v_cmpx_gt_u32_e32 8, v13
; %bb.172:                              ;   in Loop: Header=BB244_168 Depth=1
	s_delay_alu instid0(VALU_DEP_2) | instskip(NEXT) | instid1(VALU_DEP_1)
	v_clz_i32_u32_e32 v1, v1
	v_min_u32_e32 v1, 32, v1
	s_delay_alu instid0(VALU_DEP_1) | instskip(NEXT) | instid1(VALU_DEP_1)
	v_subrev_nc_u32_e32 v4, 28, v1
	v_lshlrev_b64_e32 v[16:17], v4, v[14:15]
	s_delay_alu instid0(VALU_DEP_1)
	v_dual_sub_nc_u32 v4, 29, v1 :: v_dual_bitop2_b32 v1, 7, v16 bitop3:0x40
; %bb.173:                              ;   in Loop: Header=BB244_168 Depth=1
	s_or_b32 exec_lo, exec_lo, s18
	s_delay_alu instid0(VALU_DEP_1) | instskip(NEXT) | instid1(VALU_DEP_2)
	v_dual_lshlrev_b32 v13, 8, v14 :: v_dual_lshlrev_b32 v1, 7, v1
	v_lshl_add_u32 v4, v4, 10, 0x2000
	s_delay_alu instid0(VALU_DEP_2) | instskip(NEXT) | instid1(VALU_DEP_2)
	v_and_b32_e32 v13, 0x8000, v13
	v_and_b32_e32 v4, 0xfc00, v4
	s_delay_alu instid0(VALU_DEP_1)
	v_or3_b32 v1, v13, v4, v1
.LBB244_174:                            ;   in Loop: Header=BB244_168 Depth=1
	s_or_b32 exec_lo, exec_lo, s17
.LBB244_175:                            ;   in Loop: Header=BB244_168 Depth=1
	s_delay_alu instid0(SALU_CYCLE_1)
	s_or_b32 exec_lo, exec_lo, s16
.LBB244_176:                            ;   in Loop: Header=BB244_168 Depth=1
	s_delay_alu instid0(SALU_CYCLE_1) | instskip(SKIP_3) | instid1(VALU_DEP_2)
	s_or_b32 exec_lo, exec_lo, s0
	v_lshrrev_b16 v4, 8, v14
	v_dual_mov_b32 v13, 0 :: v_dual_mov_b32 v16, 0
	s_mov_b32 s0, exec_lo
	v_cmpx_ne_u16_e32 0, v4
	s_cbranch_execz .LBB244_184
; %bb.177:                              ;   in Loop: Header=BB244_168 Depth=1
	v_bfrev_b32_e32 v16, 1
	s_mov_b32 s16, exec_lo
	v_cmpx_ne_u16_e32 0x80, v4
	s_cbranch_execz .LBB244_183
; %bb.178:                              ;   in Loop: Header=BB244_168 Depth=1
	v_and_b32_e32 v17, 0xffff, v4
	v_mov_b32_e32 v16, 0x7c010000
	s_mov_b32 s17, exec_lo
	s_delay_alu instid0(VALU_DEP_2) | instskip(NEXT) | instid1(VALU_DEP_1)
	v_and_b32_e32 v19, 0x7f, v17
	v_cmpx_ne_u32_e32 0x7f, v19
	s_cbranch_execz .LBB244_182
; %bb.179:                              ;   in Loop: Header=BB244_168 Depth=1
	v_dual_lshrrev_b32 v18, 3, v19 :: v_dual_bitop2_b32 v16, 7, v17 bitop3:0x40
	s_mov_b32 s18, exec_lo
	v_cmpx_gt_u32_e32 8, v19
; %bb.180:                              ;   in Loop: Header=BB244_168 Depth=1
	s_delay_alu instid0(VALU_DEP_2) | instskip(NEXT) | instid1(VALU_DEP_1)
	v_clz_i32_u32_e32 v16, v16
	v_min_u32_e32 v16, 32, v16
	s_delay_alu instid0(VALU_DEP_1) | instskip(NEXT) | instid1(VALU_DEP_1)
	v_subrev_nc_u32_e32 v18, 28, v16
	v_lshlrev_b64_e32 v[20:21], v18, v[4:5]
	v_sub_nc_u32_e32 v18, 29, v16
	s_delay_alu instid0(VALU_DEP_2)
	v_and_b32_e32 v16, 7, v20
; %bb.181:                              ;   in Loop: Header=BB244_168 Depth=1
	s_or_b32 exec_lo, exec_lo, s18
	s_delay_alu instid0(VALU_DEP_1) | instskip(NEXT) | instid1(VALU_DEP_3)
	v_dual_lshlrev_b32 v4, 8, v17 :: v_dual_lshlrev_b32 v16, 23, v16
	v_lshl_add_u32 v17, v18, 10, 0x2000
	s_delay_alu instid0(VALU_DEP_1) | instskip(NEXT) | instid1(VALU_DEP_1)
	v_and_or_b32 v4, 0x8000, v4, v17
	v_lshl_or_b32 v16, v4, 16, v16
.LBB244_182:                            ;   in Loop: Header=BB244_168 Depth=1
	s_or_b32 exec_lo, exec_lo, s17
.LBB244_183:                            ;   in Loop: Header=BB244_168 Depth=1
	s_delay_alu instid0(SALU_CYCLE_1)
	s_or_b32 exec_lo, exec_lo, s16
.LBB244_184:                            ;   in Loop: Header=BB244_168 Depth=1
	s_delay_alu instid0(SALU_CYCLE_1) | instskip(SKIP_2) | instid1(VALU_DEP_1)
	s_or_b32 exec_lo, exec_lo, s0
	v_lshrrev_b32_e32 v4, 16, v14
	s_mov_b32 s0, exec_lo
	v_and_b32_e32 v17, 0xff, v4
	s_delay_alu instid0(VALU_DEP_1)
	v_cmpx_ne_u16_e32 0, v17
	s_cbranch_execz .LBB244_192
; %bb.185:                              ;   in Loop: Header=BB244_168 Depth=1
	v_mov_b32_e32 v13, 0x8000
	s_mov_b32 s16, exec_lo
	v_cmpx_ne_u16_e32 0x80, v17
	s_cbranch_execz .LBB244_191
; %bb.186:                              ;   in Loop: Header=BB244_168 Depth=1
	v_bfe_u32 v18, v14, 16, 7
	v_mov_b32_e32 v13, 0x7c01
	s_mov_b32 s17, exec_lo
	s_delay_alu instid0(VALU_DEP_2)
	v_cmpx_ne_u32_e32 0x7f, v18
	s_cbranch_execz .LBB244_190
; %bb.187:                              ;   in Loop: Header=BB244_168 Depth=1
	v_dual_lshrrev_b32 v17, 3, v18 :: v_dual_bitop2_b32 v13, 7, v4 bitop3:0x40
	s_mov_b32 s18, exec_lo
	v_cmpx_gt_u32_e32 8, v18
; %bb.188:                              ;   in Loop: Header=BB244_168 Depth=1
	s_delay_alu instid0(VALU_DEP_2) | instskip(NEXT) | instid1(VALU_DEP_1)
	v_clz_i32_u32_e32 v13, v13
	v_min_u32_e32 v13, 32, v13
	s_delay_alu instid0(VALU_DEP_1) | instskip(NEXT) | instid1(VALU_DEP_1)
	v_subrev_nc_u32_e32 v17, 28, v13
	v_lshlrev_b64_e32 v[18:19], v17, v[4:5]
	s_delay_alu instid0(VALU_DEP_1)
	v_dual_sub_nc_u32 v17, 29, v13 :: v_dual_bitop2_b32 v13, 7, v18 bitop3:0x40
; %bb.189:                              ;   in Loop: Header=BB244_168 Depth=1
	s_or_b32 exec_lo, exec_lo, s18
	s_delay_alu instid0(VALU_DEP_1) | instskip(NEXT) | instid1(VALU_DEP_2)
	v_dual_lshlrev_b32 v4, 8, v4 :: v_dual_lshlrev_b32 v13, 7, v13
	v_lshl_add_u32 v17, v17, 10, 0x2000
	s_delay_alu instid0(VALU_DEP_2) | instskip(NEXT) | instid1(VALU_DEP_2)
	v_and_b32_e32 v4, 0x8000, v4
	v_and_b32_e32 v17, 0xfc00, v17
	s_delay_alu instid0(VALU_DEP_1)
	v_or3_b32 v13, v4, v17, v13
.LBB244_190:                            ;   in Loop: Header=BB244_168 Depth=1
	s_or_b32 exec_lo, exec_lo, s17
.LBB244_191:                            ;   in Loop: Header=BB244_168 Depth=1
	s_delay_alu instid0(SALU_CYCLE_1)
	s_or_b32 exec_lo, exec_lo, s16
.LBB244_192:                            ;   in Loop: Header=BB244_168 Depth=1
	s_delay_alu instid0(SALU_CYCLE_1)
	s_or_b32 exec_lo, exec_lo, s0
	v_dual_mov_b32 v17, 0 :: v_dual_mov_b32 v18, 0
	s_mov_b32 s0, exec_lo
	v_cmpx_lt_u32_e32 0xffffff, v14
	s_cbranch_execz .LBB244_200
; %bb.193:                              ;   in Loop: Header=BB244_168 Depth=1
	v_lshrrev_b32_e32 v4, 24, v14
	v_bfrev_b32_e32 v18, 1
	s_mov_b32 s16, exec_lo
	s_delay_alu instid0(VALU_DEP_2)
	v_cmpx_ne_u32_e32 0x80, v4
	s_cbranch_execz .LBB244_199
; %bb.194:                              ;   in Loop: Header=BB244_168 Depth=1
	v_and_b32_e32 v20, 0x7f, v4
	v_mov_b32_e32 v18, 0x7c010000
	s_mov_b32 s17, exec_lo
	s_delay_alu instid0(VALU_DEP_2)
	v_cmpx_ne_u32_e32 0x7f, v20
	s_cbranch_execz .LBB244_198
; %bb.195:                              ;   in Loop: Header=BB244_168 Depth=1
	v_and_b32_e32 v18, 7, v4
	v_lshrrev_b32_e32 v19, 3, v20
	s_mov_b32 s18, exec_lo
	v_cmpx_gt_u32_e32 8, v20
; %bb.196:                              ;   in Loop: Header=BB244_168 Depth=1
	s_delay_alu instid0(VALU_DEP_3) | instskip(NEXT) | instid1(VALU_DEP_1)
	v_clz_i32_u32_e32 v18, v18
	v_min_u32_e32 v20, 32, v18
	s_delay_alu instid0(VALU_DEP_1) | instskip(NEXT) | instid1(VALU_DEP_1)
	v_subrev_nc_u32_e32 v18, 28, v20
	v_lshlrev_b64_e32 v[18:19], v18, v[4:5]
	s_delay_alu instid0(VALU_DEP_1)
	v_dual_sub_nc_u32 v19, 29, v20 :: v_dual_bitop2_b32 v18, 7, v18 bitop3:0x40
; %bb.197:                              ;   in Loop: Header=BB244_168 Depth=1
	s_or_b32 exec_lo, exec_lo, s18
	s_delay_alu instid0(VALU_DEP_1) | instskip(NEXT) | instid1(VALU_DEP_2)
	v_dual_lshlrev_b32 v4, 8, v4 :: v_dual_lshlrev_b32 v18, 23, v18
	v_lshl_add_u32 v19, v19, 10, 0x2000
	s_delay_alu instid0(VALU_DEP_1) | instskip(NEXT) | instid1(VALU_DEP_1)
	v_and_or_b32 v4, 0x8000, v4, v19
	v_lshl_or_b32 v18, v4, 16, v18
.LBB244_198:                            ;   in Loop: Header=BB244_168 Depth=1
	s_or_b32 exec_lo, exec_lo, s17
.LBB244_199:                            ;   in Loop: Header=BB244_168 Depth=1
	s_delay_alu instid0(SALU_CYCLE_1)
	s_or_b32 exec_lo, exec_lo, s16
.LBB244_200:                            ;   in Loop: Header=BB244_168 Depth=1
	s_delay_alu instid0(SALU_CYCLE_1) | instskip(SKIP_3) | instid1(VALU_DEP_2)
	s_or_b32 exec_lo, exec_lo, s0
	v_and_b32_e32 v19, 0xff, v15
	v_mov_b32_e32 v4, v15
	s_mov_b32 s0, exec_lo
	v_cmpx_ne_u16_e32 0, v19
	s_cbranch_execz .LBB244_208
; %bb.201:                              ;   in Loop: Header=BB244_168 Depth=1
	v_mov_b32_e32 v17, 0x8000
	s_mov_b32 s16, exec_lo
	v_cmpx_ne_u16_e32 0x80, v19
	s_cbranch_execz .LBB244_207
; %bb.202:                              ;   in Loop: Header=BB244_168 Depth=1
	v_and_b32_e32 v20, 0x7f, v15
	v_mov_b32_e32 v17, 0x7c01
	s_mov_b32 s17, exec_lo
	s_delay_alu instid0(VALU_DEP_2)
	v_cmpx_ne_u32_e32 0x7f, v20
	s_cbranch_execz .LBB244_206
; %bb.203:                              ;   in Loop: Header=BB244_168 Depth=1
	v_dual_lshrrev_b32 v19, 3, v20 :: v_dual_bitop2_b32 v17, 7, v15 bitop3:0x40
	s_mov_b32 s18, exec_lo
	v_cmpx_gt_u32_e32 8, v20
; %bb.204:                              ;   in Loop: Header=BB244_168 Depth=1
	s_delay_alu instid0(VALU_DEP_2) | instskip(NEXT) | instid1(VALU_DEP_1)
	v_clz_i32_u32_e32 v17, v17
	v_min_u32_e32 v17, 32, v17
	s_delay_alu instid0(VALU_DEP_1) | instskip(NEXT) | instid1(VALU_DEP_1)
	v_subrev_nc_u32_e32 v19, 28, v17
	v_lshlrev_b64_e32 v[20:21], v19, v[4:5]
	s_delay_alu instid0(VALU_DEP_1)
	v_dual_sub_nc_u32 v19, 29, v17 :: v_dual_bitop2_b32 v17, 7, v20 bitop3:0x40
; %bb.205:                              ;   in Loop: Header=BB244_168 Depth=1
	s_or_b32 exec_lo, exec_lo, s18
	s_delay_alu instid0(VALU_DEP_1) | instskip(NEXT) | instid1(VALU_DEP_2)
	v_dual_lshlrev_b32 v20, 8, v15 :: v_dual_lshlrev_b32 v17, 7, v17
	v_lshl_add_u32 v19, v19, 10, 0x2000
	s_delay_alu instid0(VALU_DEP_2) | instskip(NEXT) | instid1(VALU_DEP_2)
	v_and_b32_e32 v20, 0x8000, v20
	v_and_b32_e32 v19, 0xfc00, v19
	s_delay_alu instid0(VALU_DEP_1)
	v_or3_b32 v17, v20, v19, v17
.LBB244_206:                            ;   in Loop: Header=BB244_168 Depth=1
	s_or_b32 exec_lo, exec_lo, s17
.LBB244_207:                            ;   in Loop: Header=BB244_168 Depth=1
	s_delay_alu instid0(SALU_CYCLE_1)
	s_or_b32 exec_lo, exec_lo, s16
.LBB244_208:                            ;   in Loop: Header=BB244_168 Depth=1
	s_delay_alu instid0(SALU_CYCLE_1) | instskip(SKIP_3) | instid1(VALU_DEP_2)
	s_or_b32 exec_lo, exec_lo, s0
	v_lshrrev_b16 v4, 8, v4
	v_dual_mov_b32 v20, 0 :: v_dual_mov_b32 v19, 0
	s_mov_b32 s0, exec_lo
	v_cmpx_ne_u16_e32 0, v4
	s_cbranch_execz .LBB244_216
; %bb.209:                              ;   in Loop: Header=BB244_168 Depth=1
	v_bfrev_b32_e32 v19, 1
	s_mov_b32 s16, exec_lo
	v_cmpx_ne_u16_e32 0x80, v4
	s_cbranch_execz .LBB244_215
; %bb.210:                              ;   in Loop: Header=BB244_168 Depth=1
	v_and_b32_e32 v21, 0xffff, v4
	v_mov_b32_e32 v19, 0x7c010000
	s_mov_b32 s17, exec_lo
	s_delay_alu instid0(VALU_DEP_2) | instskip(NEXT) | instid1(VALU_DEP_1)
	v_and_b32_e32 v28, 0x7f, v21
	v_cmpx_ne_u32_e32 0x7f, v28
	s_cbranch_execz .LBB244_214
; %bb.211:                              ;   in Loop: Header=BB244_168 Depth=1
	v_dual_lshrrev_b32 v27, 3, v28 :: v_dual_bitop2_b32 v19, 7, v21 bitop3:0x40
	s_mov_b32 s18, exec_lo
	v_cmpx_gt_u32_e32 8, v28
; %bb.212:                              ;   in Loop: Header=BB244_168 Depth=1
	s_delay_alu instid0(VALU_DEP_2) | instskip(NEXT) | instid1(VALU_DEP_1)
	v_clz_i32_u32_e32 v19, v19
	v_min_u32_e32 v19, 32, v19
	s_delay_alu instid0(VALU_DEP_1) | instskip(NEXT) | instid1(VALU_DEP_1)
	v_subrev_nc_u32_e32 v27, 28, v19
	v_lshlrev_b64_e32 v[28:29], v27, v[4:5]
	s_delay_alu instid0(VALU_DEP_1)
	v_dual_sub_nc_u32 v27, 29, v19 :: v_dual_bitop2_b32 v19, 7, v28 bitop3:0x40
; %bb.213:                              ;   in Loop: Header=BB244_168 Depth=1
	s_or_b32 exec_lo, exec_lo, s18
	s_delay_alu instid0(VALU_DEP_1) | instskip(NEXT) | instid1(VALU_DEP_2)
	v_dual_lshlrev_b32 v4, 8, v21 :: v_dual_lshlrev_b32 v19, 23, v19
	v_lshl_add_u32 v21, v27, 10, 0x2000
	s_delay_alu instid0(VALU_DEP_1) | instskip(NEXT) | instid1(VALU_DEP_1)
	v_and_or_b32 v4, 0x8000, v4, v21
	v_lshl_or_b32 v19, v4, 16, v19
.LBB244_214:                            ;   in Loop: Header=BB244_168 Depth=1
	s_or_b32 exec_lo, exec_lo, s17
.LBB244_215:                            ;   in Loop: Header=BB244_168 Depth=1
	s_delay_alu instid0(SALU_CYCLE_1)
	s_or_b32 exec_lo, exec_lo, s16
.LBB244_216:                            ;   in Loop: Header=BB244_168 Depth=1
	s_delay_alu instid0(SALU_CYCLE_1) | instskip(SKIP_2) | instid1(VALU_DEP_1)
	s_or_b32 exec_lo, exec_lo, s0
	v_lshrrev_b32_e32 v4, 16, v15
	s_mov_b32 s0, exec_lo
	v_and_b32_e32 v21, 0xff, v4
	s_delay_alu instid0(VALU_DEP_1)
	v_cmpx_ne_u16_e32 0, v21
	s_cbranch_execz .LBB244_224
; %bb.217:                              ;   in Loop: Header=BB244_168 Depth=1
	v_mov_b32_e32 v20, 0x8000
	s_mov_b32 s16, exec_lo
	v_cmpx_ne_u16_e32 0x80, v21
	s_cbranch_execz .LBB244_223
; %bb.218:                              ;   in Loop: Header=BB244_168 Depth=1
	v_bfe_u32 v27, v15, 16, 7
	v_mov_b32_e32 v20, 0x7c01
	s_mov_b32 s17, exec_lo
	s_delay_alu instid0(VALU_DEP_2)
	v_cmpx_ne_u32_e32 0x7f, v27
	s_cbranch_execz .LBB244_222
; %bb.219:                              ;   in Loop: Header=BB244_168 Depth=1
	v_dual_lshrrev_b32 v21, 3, v27 :: v_dual_bitop2_b32 v20, 7, v4 bitop3:0x40
	s_mov_b32 s18, exec_lo
	v_cmpx_gt_u32_e32 8, v27
; %bb.220:                              ;   in Loop: Header=BB244_168 Depth=1
	s_delay_alu instid0(VALU_DEP_2) | instskip(NEXT) | instid1(VALU_DEP_1)
	v_clz_i32_u32_e32 v20, v20
	v_min_u32_e32 v27, 32, v20
	s_delay_alu instid0(VALU_DEP_1) | instskip(NEXT) | instid1(VALU_DEP_1)
	v_subrev_nc_u32_e32 v20, 28, v27
	v_lshlrev_b64_e32 v[20:21], v20, v[4:5]
	s_delay_alu instid0(VALU_DEP_1)
	v_dual_sub_nc_u32 v21, 29, v27 :: v_dual_bitop2_b32 v20, 7, v20 bitop3:0x40
; %bb.221:                              ;   in Loop: Header=BB244_168 Depth=1
	s_or_b32 exec_lo, exec_lo, s18
	v_lshlrev_b32_e32 v4, 8, v4
	s_delay_alu instid0(VALU_DEP_2) | instskip(NEXT) | instid1(VALU_DEP_3)
	v_lshl_add_u32 v21, v21, 10, 0x2000
	v_lshlrev_b32_e32 v20, 7, v20
	s_delay_alu instid0(VALU_DEP_3) | instskip(NEXT) | instid1(VALU_DEP_3)
	v_and_b32_e32 v4, 0x8000, v4
	v_and_b32_e32 v21, 0xfc00, v21
	s_delay_alu instid0(VALU_DEP_1)
	v_or3_b32 v20, v4, v21, v20
.LBB244_222:                            ;   in Loop: Header=BB244_168 Depth=1
	s_or_b32 exec_lo, exec_lo, s17
.LBB244_223:                            ;   in Loop: Header=BB244_168 Depth=1
	s_delay_alu instid0(SALU_CYCLE_1)
	s_or_b32 exec_lo, exec_lo, s16
.LBB244_224:                            ;   in Loop: Header=BB244_168 Depth=1
	s_delay_alu instid0(SALU_CYCLE_1)
	s_or_b32 exec_lo, exec_lo, s0
	v_cmp_lt_u64_e32 vcc_lo, s[4:5], v[14:15]
	v_mov_b32_e32 v14, 0
	s_and_saveexec_b32 s0, vcc_lo
	s_cbranch_execz .LBB244_232
; %bb.225:                              ;   in Loop: Header=BB244_168 Depth=1
	v_lshrrev_b32_e32 v4, 24, v15
	v_bfrev_b32_e32 v14, 1
	s_mov_b32 s16, exec_lo
	s_delay_alu instid0(VALU_DEP_2)
	v_cmpx_ne_u32_e32 0x80, v4
	s_cbranch_execz .LBB244_231
; %bb.226:                              ;   in Loop: Header=BB244_168 Depth=1
	v_and_b32_e32 v21, 0x7f, v4
	v_mov_b32_e32 v14, 0x7c010000
	s_mov_b32 s17, exec_lo
	s_delay_alu instid0(VALU_DEP_2)
	v_cmpx_ne_u32_e32 0x7f, v21
	s_cbranch_execz .LBB244_230
; %bb.227:                              ;   in Loop: Header=BB244_168 Depth=1
	v_dual_lshrrev_b32 v15, 3, v21 :: v_dual_bitop2_b32 v14, 7, v4 bitop3:0x40
	s_mov_b32 s18, exec_lo
	v_cmpx_gt_u32_e32 8, v21
; %bb.228:                              ;   in Loop: Header=BB244_168 Depth=1
	s_delay_alu instid0(VALU_DEP_2) | instskip(NEXT) | instid1(VALU_DEP_1)
	v_clz_i32_u32_e32 v14, v14
	v_min_u32_e32 v21, 32, v14
	s_delay_alu instid0(VALU_DEP_1) | instskip(NEXT) | instid1(VALU_DEP_1)
	v_subrev_nc_u32_e32 v14, 28, v21
	v_lshlrev_b64_e32 v[14:15], v14, v[4:5]
	s_delay_alu instid0(VALU_DEP_1)
	v_dual_sub_nc_u32 v15, 29, v21 :: v_dual_bitop2_b32 v14, 7, v14 bitop3:0x40
; %bb.229:                              ;   in Loop: Header=BB244_168 Depth=1
	s_or_b32 exec_lo, exec_lo, s18
	s_delay_alu instid0(VALU_DEP_1) | instskip(NEXT) | instid1(VALU_DEP_2)
	v_dual_lshlrev_b32 v4, 8, v4 :: v_dual_lshlrev_b32 v14, 23, v14
	v_lshl_add_u32 v15, v15, 10, 0x2000
	s_delay_alu instid0(VALU_DEP_1) | instskip(NEXT) | instid1(VALU_DEP_1)
	v_and_or_b32 v4, 0x8000, v4, v15
	v_lshl_or_b32 v14, v4, 16, v14
.LBB244_230:                            ;   in Loop: Header=BB244_168 Depth=1
	s_or_b32 exec_lo, exec_lo, s17
.LBB244_231:                            ;   in Loop: Header=BB244_168 Depth=1
	s_delay_alu instid0(SALU_CYCLE_1)
	s_or_b32 exec_lo, exec_lo, s16
.LBB244_232:                            ;   in Loop: Header=BB244_168 Depth=1
	s_delay_alu instid0(SALU_CYCLE_1) | instskip(SKIP_3) | instid1(VALU_DEP_3)
	s_or_b32 exec_lo, exec_lo, s0
	v_dual_lshrrev_b32 v4, 16, v16 :: v_dual_lshrrev_b32 v15, 16, v18
	v_dual_lshrrev_b32 v16, 16, v19 :: v_dual_bitop2_b32 v1, v16, v1 bitop3:0x54
	v_dual_lshrrev_b32 v18, 16, v14 :: v_dual_bitop2_b32 v13, v18, v13 bitop3:0x54
	v_cvt_f32_f16_e32 v29, v4
	s_delay_alu instid0(VALU_DEP_4) | instskip(SKIP_1) | instid1(VALU_DEP_4)
	v_cvt_f32_f16_e32 v28, v15
	v_or_b32_e32 v4, v14, v20
	v_cvt_f32_f16_e32 v14, v13
	v_cvt_f32_f16_e32 v15, v1
	v_cmp_eq_u32_e32 vcc_lo, s13, v26
	s_wait_loadcnt 0x0
	v_pk_mul_f32 v[20:21], v[12:13], v[28:29] op_sel_hi:[0,1]
	v_or_b32_e32 v13, v19, v17
	v_cvt_f32_f16_e32 v17, v16
	v_cvt_f32_f16_e32 v16, v18
	;; [unrolled: 1-line block ×3, first 2 shown]
	v_cvt_pk_f16_f32 v1, v20, v21
	v_pk_mul_f32 v[14:15], v[12:13], v[14:15] op_sel_hi:[0,1]
	v_or_b32_e32 v32, 1, v24
	v_or_b32_e32 v31, 3, v24
	;; [unrolled: 1-line block ×4, first 2 shown]
	v_cvt_pk_f16_f32 v4, v14, v15
	v_or_b32_e32 v28, 5, v24
	v_dual_add_nc_u32 v33, 2, v24 :: v_dual_bitop2_b32 v27, 7, v24 bitop3:0x54
	s_delay_alu instid0(VALU_DEP_3) | instskip(SKIP_3) | instid1(VALU_DEP_3)
	v_lshrrev_b32_e32 v21, 16, v4
	v_cvt_f32_f16_e32 v19, v13
	v_pk_mul_f32 v[16:17], v[12:13], v[16:17] op_sel_hi:[0,1]
	v_and_b32_e32 v20, 0xffff, v4
	v_pk_mul_f32 v[12:13], v[12:13], v[18:19] op_sel_hi:[0,1]
	s_delay_alu instid0(VALU_DEP_3) | instskip(SKIP_2) | instid1(VALU_DEP_4)
	v_cvt_pk_f16_f32 v14, v16, v17
	v_and_b32_e32 v19, 0xffff0000, v1
	v_lshlrev_b32_e32 v18, 16, v1
	v_cvt_pk_f16_f32 v12, v12, v13
	s_delay_alu instid0(VALU_DEP_4) | instskip(NEXT) | instid1(VALU_DEP_4)
	v_and_b32_e32 v1, 0xffff0000, v14
	v_dual_lshlrev_b32 v4, 16, v14 :: v_dual_bitop2_b32 v15, v19, v21 bitop3:0x54
	s_delay_alu instid0(VALU_DEP_4) | instskip(NEXT) | instid1(VALU_DEP_4)
	v_or_b32_e32 v14, v18, v20
	v_lshrrev_b32_e32 v17, 16, v12
	v_and_b32_e32 v16, 0xffff, v12
	s_delay_alu instid0(VALU_DEP_2) | instskip(NEXT) | instid1(VALU_DEP_2)
	v_or_b32_e32 v13, v1, v17
	v_or_b32_e32 v12, v4, v16
	s_and_saveexec_b32 s16, vcc_lo
	s_cbranch_execz .LBB244_234
; %bb.233:                              ;   in Loop: Header=BB244_168 Depth=1
	v_cmp_gt_i32_e64 s0, s15, v24
	s_delay_alu instid0(VALU_DEP_1) | instskip(SKIP_1) | instid1(VALU_DEP_1)
	v_cndmask_b32_e64 v12, 0, v21, s0
	v_cmp_gt_i32_e64 s0, s25, v33
	v_cndmask_b32_e64 v13, 0, v20, s0
	v_cmp_gt_i32_e64 s0, s15, v32
	s_delay_alu instid0(VALU_DEP_1) | instskip(SKIP_1) | instid1(VALU_DEP_1)
	v_cndmask_b32_e64 v14, 0, v19, s0
	v_cmp_gt_i32_e64 s0, s25, v31
	v_cndmask_b32_e64 v18, 0, v18, s0
	v_cmp_gt_i32_e64 s0, s15, v30
	s_delay_alu instid0(VALU_DEP_4) | instskip(NEXT) | instid1(VALU_DEP_3)
	v_or_b32_e32 v15, v14, v12
	v_or_b32_e32 v14, v18, v13
	s_delay_alu instid0(VALU_DEP_3) | instskip(SKIP_1) | instid1(VALU_DEP_1)
	v_cndmask_b32_e64 v17, 0, v17, s0
	v_cmp_gt_i32_e64 s0, s25, v29
	v_cndmask_b32_e64 v16, 0, v16, s0
	v_cmp_gt_i32_e64 s0, s15, v28
	s_delay_alu instid0(VALU_DEP_1) | instskip(SKIP_1) | instid1(VALU_DEP_1)
	v_cndmask_b32_e64 v1, 0, v1, s0
	v_cmp_gt_i32_e64 s0, s25, v27
	v_dual_cndmask_b32 v4, 0, v4, s0 :: v_dual_bitop2_b32 v13, v1, v17 bitop3:0x54
	s_delay_alu instid0(VALU_DEP_1)
	v_or_b32_e32 v12, v4, v16
.LBB244_234:                            ;   in Loop: Header=BB244_168 Depth=1
	s_or_b32 exec_lo, exec_lo, s16
	v_and_b32_e32 v1, 0xffff, v36
	v_and_b32_e32 v4, 0xffff, v37
	;; [unrolled: 1-line block ×4, first 2 shown]
	s_mov_b32 s16, exec_lo
	v_lshl_or_b32 v37, v34, 16, v1
	;;#ASMSTART
	v_pk_mul_f16 v1, v37, v15;

	;;#ASMEND
	v_lshl_or_b32 v36, v35, 16, v4
	v_lshl_or_b32 v35, v38, 16, v16
	;; [unrolled: 1-line block ×3, first 2 shown]
	;;#ASMSTART
	v_pk_mul_f16 v4, v36, v14;

	;;#ASMEND
	;;#ASMSTART
	v_pk_mul_f16 v13, v35, v13;

	;;#ASMEND
	;; [unrolled: 4-line block ×3, first 2 shown]
	;;#ASMSTART
	v_pk_add_f16 v1, v1, v4;

	;;#ASMEND
	;;#ASMSTART
	v_pk_add_f16 v1, v1, v13;

	;;#ASMEND
	;; [unrolled: 4-line block ×3, first 2 shown]
	v_and_b32_e32 v4, 0xffff, v1
	v_lshrrev_b32_e32 v1, 16, v1
	;;#ASMSTART
	v_cvt_f32_f16 v38, v4;
	;;#ASMEND
	;;#ASMSTART
	v_cvt_f32_f16 v39, v1;
	;;#ASMEND
	global_load_b64 v[12:13], v[10:11], off offset:256
	s_wait_xcnt 0x0
	v_dual_mov_b32 v1, 0 :: v_dual_mov_b32 v11, 0
	global_load_b32 v10, v1, s[10:11]
	s_wait_loadcnt 0x1
	v_and_b32_e32 v4, 0xff, v12
	s_wait_xcnt 0x0
	s_delay_alu instid0(VALU_DEP_1)
	v_cmpx_ne_u16_e32 0, v4
	s_cbranch_execz .LBB244_242
; %bb.235:                              ;   in Loop: Header=BB244_168 Depth=1
	v_mov_b32_e32 v11, 0x8000
	s_mov_b32 s17, exec_lo
	v_cmpx_ne_u16_e32 0x80, v4
	s_cbranch_execz .LBB244_241
; %bb.236:                              ;   in Loop: Header=BB244_168 Depth=1
	v_and_b32_e32 v14, 0x7f, v12
	v_mov_b32_e32 v11, 0x7c01
	s_mov_b32 s18, exec_lo
	s_delay_alu instid0(VALU_DEP_2)
	v_cmpx_ne_u32_e32 0x7f, v14
	s_cbranch_execz .LBB244_240
; %bb.237:                              ;   in Loop: Header=BB244_168 Depth=1
	v_dual_lshrrev_b32 v11, 3, v14 :: v_dual_bitop2_b32 v4, 7, v12 bitop3:0x40
	s_mov_b32 s19, exec_lo
	v_cmpx_gt_u32_e32 8, v14
; %bb.238:                              ;   in Loop: Header=BB244_168 Depth=1
	s_delay_alu instid0(VALU_DEP_2) | instskip(NEXT) | instid1(VALU_DEP_1)
	v_clz_i32_u32_e32 v4, v4
	v_min_u32_e32 v4, 32, v4
	s_delay_alu instid0(VALU_DEP_1) | instskip(NEXT) | instid1(VALU_DEP_1)
	v_subrev_nc_u32_e32 v11, 28, v4
	v_lshlrev_b64_e32 v[14:15], v11, v[12:13]
	s_delay_alu instid0(VALU_DEP_1)
	v_dual_sub_nc_u32 v11, 29, v4 :: v_dual_bitop2_b32 v4, 7, v14 bitop3:0x40
; %bb.239:                              ;   in Loop: Header=BB244_168 Depth=1
	s_or_b32 exec_lo, exec_lo, s19
	v_lshlrev_b32_e32 v14, 8, v12
	s_delay_alu instid0(VALU_DEP_2) | instskip(NEXT) | instid1(VALU_DEP_3)
	v_lshl_add_u32 v11, v11, 10, 0x2000
	v_lshlrev_b32_e32 v4, 7, v4
	s_delay_alu instid0(VALU_DEP_3) | instskip(NEXT) | instid1(VALU_DEP_3)
	v_and_b32_e32 v14, 0x8000, v14
	v_and_b32_e32 v11, 0xfc00, v11
	s_delay_alu instid0(VALU_DEP_1)
	v_or3_b32 v11, v14, v11, v4
.LBB244_240:                            ;   in Loop: Header=BB244_168 Depth=1
	s_or_b32 exec_lo, exec_lo, s18
.LBB244_241:                            ;   in Loop: Header=BB244_168 Depth=1
	s_delay_alu instid0(SALU_CYCLE_1)
	s_or_b32 exec_lo, exec_lo, s17
.LBB244_242:                            ;   in Loop: Header=BB244_168 Depth=1
	s_delay_alu instid0(SALU_CYCLE_1) | instskip(SKIP_2) | instid1(VALU_DEP_1)
	s_or_b32 exec_lo, exec_lo, s16
	v_lshrrev_b16 v4, 8, v12
	s_mov_b32 s16, exec_lo
	v_cmpx_ne_u16_e32 0, v4
	s_cbranch_execz .LBB244_250
; %bb.243:                              ;   in Loop: Header=BB244_168 Depth=1
	v_bfrev_b32_e32 v1, 1
	s_mov_b32 s17, exec_lo
	v_cmpx_ne_u16_e32 0x80, v4
	s_cbranch_execz .LBB244_249
; %bb.244:                              ;   in Loop: Header=BB244_168 Depth=1
	v_and_b32_e32 v14, 0xffff, v4
	v_mov_b32_e32 v1, 0x7c010000
	s_mov_b32 s18, exec_lo
	s_delay_alu instid0(VALU_DEP_2) | instskip(NEXT) | instid1(VALU_DEP_1)
	v_and_b32_e32 v16, 0x7f, v14
	v_cmpx_ne_u32_e32 0x7f, v16
	s_cbranch_execz .LBB244_248
; %bb.245:                              ;   in Loop: Header=BB244_168 Depth=1
	v_dual_lshrrev_b32 v15, 3, v16 :: v_dual_bitop2_b32 v1, 7, v14 bitop3:0x40
	s_mov_b32 s19, exec_lo
	v_cmpx_gt_u32_e32 8, v16
; %bb.246:                              ;   in Loop: Header=BB244_168 Depth=1
	s_delay_alu instid0(VALU_DEP_2) | instskip(NEXT) | instid1(VALU_DEP_1)
	v_clz_i32_u32_e32 v1, v1
	v_min_u32_e32 v1, 32, v1
	s_delay_alu instid0(VALU_DEP_1) | instskip(NEXT) | instid1(VALU_DEP_1)
	v_subrev_nc_u32_e32 v15, 28, v1
	v_lshlrev_b64_e32 v[16:17], v15, v[4:5]
	s_delay_alu instid0(VALU_DEP_1)
	v_dual_sub_nc_u32 v15, 29, v1 :: v_dual_bitop2_b32 v1, 7, v16 bitop3:0x40
; %bb.247:                              ;   in Loop: Header=BB244_168 Depth=1
	s_or_b32 exec_lo, exec_lo, s19
	s_delay_alu instid0(VALU_DEP_1) | instskip(NEXT) | instid1(VALU_DEP_2)
	v_dual_lshlrev_b32 v4, 8, v14 :: v_dual_lshlrev_b32 v1, 23, v1
	v_lshl_add_u32 v14, v15, 10, 0x2000
	s_delay_alu instid0(VALU_DEP_1) | instskip(NEXT) | instid1(VALU_DEP_1)
	v_and_or_b32 v4, 0x8000, v4, v14
	v_lshl_or_b32 v1, v4, 16, v1
.LBB244_248:                            ;   in Loop: Header=BB244_168 Depth=1
	s_or_b32 exec_lo, exec_lo, s18
.LBB244_249:                            ;   in Loop: Header=BB244_168 Depth=1
	s_delay_alu instid0(SALU_CYCLE_1)
	s_or_b32 exec_lo, exec_lo, s17
.LBB244_250:                            ;   in Loop: Header=BB244_168 Depth=1
	s_delay_alu instid0(SALU_CYCLE_1) | instskip(SKIP_3) | instid1(VALU_DEP_2)
	s_or_b32 exec_lo, exec_lo, s16
	v_dual_lshrrev_b32 v4, 16, v12 :: v_dual_mov_b32 v14, 0
	v_mov_b32_e32 v15, 0
	s_mov_b32 s16, exec_lo
	v_and_b32_e32 v16, 0xff, v4
	s_delay_alu instid0(VALU_DEP_1)
	v_cmpx_ne_u16_e32 0, v16
	s_cbranch_execz .LBB244_258
; %bb.251:                              ;   in Loop: Header=BB244_168 Depth=1
	v_mov_b32_e32 v15, 0x8000
	s_mov_b32 s17, exec_lo
	v_cmpx_ne_u16_e32 0x80, v16
	s_cbranch_execz .LBB244_257
; %bb.252:                              ;   in Loop: Header=BB244_168 Depth=1
	v_bfe_u32 v17, v12, 16, 7
	v_mov_b32_e32 v15, 0x7c01
	s_mov_b32 s18, exec_lo
	s_delay_alu instid0(VALU_DEP_2)
	v_cmpx_ne_u32_e32 0x7f, v17
	s_cbranch_execz .LBB244_256
; %bb.253:                              ;   in Loop: Header=BB244_168 Depth=1
	v_dual_lshrrev_b32 v16, 3, v17 :: v_dual_bitop2_b32 v15, 7, v4 bitop3:0x40
	s_mov_b32 s19, exec_lo
	v_cmpx_gt_u32_e32 8, v17
; %bb.254:                              ;   in Loop: Header=BB244_168 Depth=1
	s_delay_alu instid0(VALU_DEP_2) | instskip(NEXT) | instid1(VALU_DEP_1)
	v_clz_i32_u32_e32 v15, v15
	v_min_u32_e32 v15, 32, v15
	s_delay_alu instid0(VALU_DEP_1) | instskip(NEXT) | instid1(VALU_DEP_1)
	v_subrev_nc_u32_e32 v16, 28, v15
	v_lshlrev_b64_e32 v[18:19], v16, v[4:5]
	s_delay_alu instid0(VALU_DEP_1)
	v_dual_sub_nc_u32 v16, 29, v15 :: v_dual_bitop2_b32 v15, 7, v18 bitop3:0x40
; %bb.255:                              ;   in Loop: Header=BB244_168 Depth=1
	s_or_b32 exec_lo, exec_lo, s19
	s_delay_alu instid0(VALU_DEP_1) | instskip(NEXT) | instid1(VALU_DEP_2)
	v_dual_lshlrev_b32 v4, 8, v4 :: v_dual_lshlrev_b32 v15, 7, v15
	v_lshl_add_u32 v16, v16, 10, 0x2000
	s_delay_alu instid0(VALU_DEP_2) | instskip(NEXT) | instid1(VALU_DEP_2)
	v_and_b32_e32 v4, 0x8000, v4
	v_and_b32_e32 v16, 0xfc00, v16
	s_delay_alu instid0(VALU_DEP_1)
	v_or3_b32 v15, v4, v16, v15
.LBB244_256:                            ;   in Loop: Header=BB244_168 Depth=1
	s_or_b32 exec_lo, exec_lo, s18
.LBB244_257:                            ;   in Loop: Header=BB244_168 Depth=1
	s_delay_alu instid0(SALU_CYCLE_1)
	s_or_b32 exec_lo, exec_lo, s17
.LBB244_258:                            ;   in Loop: Header=BB244_168 Depth=1
	s_delay_alu instid0(SALU_CYCLE_1) | instskip(NEXT) | instid1(SALU_CYCLE_1)
	s_or_b32 exec_lo, exec_lo, s16
	s_mov_b32 s16, exec_lo
	v_cmpx_lt_u32_e32 0xffffff, v12
	s_cbranch_execz .LBB244_266
; %bb.259:                              ;   in Loop: Header=BB244_168 Depth=1
	v_lshrrev_b32_e32 v4, 24, v12
	v_bfrev_b32_e32 v14, 1
	s_mov_b32 s17, exec_lo
	s_delay_alu instid0(VALU_DEP_2)
	v_cmpx_ne_u32_e32 0x80, v4
	s_cbranch_execz .LBB244_265
; %bb.260:                              ;   in Loop: Header=BB244_168 Depth=1
	v_and_b32_e32 v17, 0x7f, v4
	v_mov_b32_e32 v14, 0x7c010000
	s_mov_b32 s18, exec_lo
	s_delay_alu instid0(VALU_DEP_2)
	v_cmpx_ne_u32_e32 0x7f, v17
	s_cbranch_execz .LBB244_264
; %bb.261:                              ;   in Loop: Header=BB244_168 Depth=1
	v_dual_lshrrev_b32 v16, 3, v17 :: v_dual_bitop2_b32 v14, 7, v4 bitop3:0x40
	s_mov_b32 s19, exec_lo
	v_cmpx_gt_u32_e32 8, v17
; %bb.262:                              ;   in Loop: Header=BB244_168 Depth=1
	s_delay_alu instid0(VALU_DEP_2) | instskip(NEXT) | instid1(VALU_DEP_1)
	v_clz_i32_u32_e32 v14, v14
	v_min_u32_e32 v14, 32, v14
	s_delay_alu instid0(VALU_DEP_1) | instskip(NEXT) | instid1(VALU_DEP_1)
	v_subrev_nc_u32_e32 v16, 28, v14
	v_lshlrev_b64_e32 v[18:19], v16, v[4:5]
	v_sub_nc_u32_e32 v16, 29, v14
	s_delay_alu instid0(VALU_DEP_2)
	v_and_b32_e32 v14, 7, v18
; %bb.263:                              ;   in Loop: Header=BB244_168 Depth=1
	s_or_b32 exec_lo, exec_lo, s19
	s_delay_alu instid0(VALU_DEP_1) | instskip(NEXT) | instid1(VALU_DEP_3)
	v_dual_lshlrev_b32 v4, 8, v4 :: v_dual_lshlrev_b32 v14, 23, v14
	v_lshl_add_u32 v16, v16, 10, 0x2000
	s_delay_alu instid0(VALU_DEP_1) | instskip(NEXT) | instid1(VALU_DEP_1)
	v_and_or_b32 v4, 0x8000, v4, v16
	v_lshl_or_b32 v14, v4, 16, v14
.LBB244_264:                            ;   in Loop: Header=BB244_168 Depth=1
	s_or_b32 exec_lo, exec_lo, s18
.LBB244_265:                            ;   in Loop: Header=BB244_168 Depth=1
	s_delay_alu instid0(SALU_CYCLE_1)
	s_or_b32 exec_lo, exec_lo, s17
.LBB244_266:                            ;   in Loop: Header=BB244_168 Depth=1
	s_delay_alu instid0(SALU_CYCLE_1) | instskip(SKIP_4) | instid1(VALU_DEP_3)
	s_or_b32 exec_lo, exec_lo, s16
	v_and_b32_e32 v18, 0xff, v13
	v_dual_mov_b32 v4, v13 :: v_dual_mov_b32 v17, 0
	v_mov_b32_e32 v16, 0
	s_mov_b32 s16, exec_lo
	v_cmpx_ne_u16_e32 0, v18
	s_cbranch_execz .LBB244_274
; %bb.267:                              ;   in Loop: Header=BB244_168 Depth=1
	v_mov_b32_e32 v16, 0x8000
	s_mov_b32 s17, exec_lo
	v_cmpx_ne_u16_e32 0x80, v18
	s_cbranch_execz .LBB244_273
; %bb.268:                              ;   in Loop: Header=BB244_168 Depth=1
	v_and_b32_e32 v19, 0x7f, v13
	v_mov_b32_e32 v16, 0x7c01
	s_mov_b32 s18, exec_lo
	s_delay_alu instid0(VALU_DEP_2)
	v_cmpx_ne_u32_e32 0x7f, v19
	s_cbranch_execz .LBB244_272
; %bb.269:                              ;   in Loop: Header=BB244_168 Depth=1
	v_dual_lshrrev_b32 v18, 3, v19 :: v_dual_bitop2_b32 v16, 7, v13 bitop3:0x40
	s_mov_b32 s19, exec_lo
	v_cmpx_gt_u32_e32 8, v19
; %bb.270:                              ;   in Loop: Header=BB244_168 Depth=1
	s_delay_alu instid0(VALU_DEP_2) | instskip(NEXT) | instid1(VALU_DEP_1)
	v_clz_i32_u32_e32 v16, v16
	v_min_u32_e32 v16, 32, v16
	s_delay_alu instid0(VALU_DEP_1) | instskip(NEXT) | instid1(VALU_DEP_1)
	v_subrev_nc_u32_e32 v18, 28, v16
	v_lshlrev_b64_e32 v[20:21], v18, v[4:5]
	v_sub_nc_u32_e32 v18, 29, v16
	s_delay_alu instid0(VALU_DEP_2)
	v_and_b32_e32 v16, 7, v20
; %bb.271:                              ;   in Loop: Header=BB244_168 Depth=1
	s_or_b32 exec_lo, exec_lo, s19
	s_delay_alu instid0(VALU_DEP_1) | instskip(NEXT) | instid1(VALU_DEP_3)
	v_dual_lshlrev_b32 v19, 8, v13 :: v_dual_lshlrev_b32 v16, 7, v16
	v_lshl_add_u32 v18, v18, 10, 0x2000
	s_delay_alu instid0(VALU_DEP_2) | instskip(NEXT) | instid1(VALU_DEP_2)
	v_and_b32_e32 v19, 0x8000, v19
	v_and_b32_e32 v18, 0xfc00, v18
	s_delay_alu instid0(VALU_DEP_1)
	v_or3_b32 v16, v19, v18, v16
.LBB244_272:                            ;   in Loop: Header=BB244_168 Depth=1
	s_or_b32 exec_lo, exec_lo, s18
.LBB244_273:                            ;   in Loop: Header=BB244_168 Depth=1
	s_delay_alu instid0(SALU_CYCLE_1)
	s_or_b32 exec_lo, exec_lo, s17
.LBB244_274:                            ;   in Loop: Header=BB244_168 Depth=1
	s_delay_alu instid0(SALU_CYCLE_1) | instskip(SKIP_3) | instid1(VALU_DEP_2)
	s_or_b32 exec_lo, exec_lo, s16
	v_lshrrev_b16 v4, 8, v4
	v_mov_b32_e32 v18, 0
	s_mov_b32 s16, exec_lo
	v_cmpx_ne_u16_e32 0, v4
	s_cbranch_execz .LBB244_282
; %bb.275:                              ;   in Loop: Header=BB244_168 Depth=1
	v_bfrev_b32_e32 v18, 1
	s_mov_b32 s17, exec_lo
	v_cmpx_ne_u16_e32 0x80, v4
	s_cbranch_execz .LBB244_281
; %bb.276:                              ;   in Loop: Header=BB244_168 Depth=1
	v_and_b32_e32 v19, 0xffff, v4
	v_mov_b32_e32 v18, 0x7c010000
	s_mov_b32 s18, exec_lo
	s_delay_alu instid0(VALU_DEP_2) | instskip(NEXT) | instid1(VALU_DEP_1)
	v_and_b32_e32 v21, 0x7f, v19
	v_cmpx_ne_u32_e32 0x7f, v21
	s_cbranch_execz .LBB244_280
; %bb.277:                              ;   in Loop: Header=BB244_168 Depth=1
	v_dual_lshrrev_b32 v20, 3, v21 :: v_dual_bitop2_b32 v18, 7, v19 bitop3:0x40
	s_mov_b32 s19, exec_lo
	v_cmpx_gt_u32_e32 8, v21
; %bb.278:                              ;   in Loop: Header=BB244_168 Depth=1
	s_delay_alu instid0(VALU_DEP_2) | instskip(NEXT) | instid1(VALU_DEP_1)
	v_clz_i32_u32_e32 v18, v18
	v_min_u32_e32 v18, 32, v18
	s_delay_alu instid0(VALU_DEP_1) | instskip(NEXT) | instid1(VALU_DEP_1)
	v_subrev_nc_u32_e32 v20, 28, v18
	v_lshlrev_b64_e32 v[40:41], v20, v[4:5]
	s_delay_alu instid0(VALU_DEP_1)
	v_dual_sub_nc_u32 v20, 29, v18 :: v_dual_bitop2_b32 v18, 7, v40 bitop3:0x40
; %bb.279:                              ;   in Loop: Header=BB244_168 Depth=1
	s_or_b32 exec_lo, exec_lo, s19
	s_delay_alu instid0(VALU_DEP_1) | instskip(NEXT) | instid1(VALU_DEP_2)
	v_dual_lshlrev_b32 v4, 8, v19 :: v_dual_lshlrev_b32 v18, 23, v18
	v_lshl_add_u32 v19, v20, 10, 0x2000
	s_delay_alu instid0(VALU_DEP_1) | instskip(NEXT) | instid1(VALU_DEP_1)
	v_and_or_b32 v4, 0x8000, v4, v19
	v_lshl_or_b32 v18, v4, 16, v18
.LBB244_280:                            ;   in Loop: Header=BB244_168 Depth=1
	s_or_b32 exec_lo, exec_lo, s18
.LBB244_281:                            ;   in Loop: Header=BB244_168 Depth=1
	s_delay_alu instid0(SALU_CYCLE_1)
	s_or_b32 exec_lo, exec_lo, s17
.LBB244_282:                            ;   in Loop: Header=BB244_168 Depth=1
	s_delay_alu instid0(SALU_CYCLE_1) | instskip(SKIP_2) | instid1(VALU_DEP_1)
	s_or_b32 exec_lo, exec_lo, s16
	v_lshrrev_b32_e32 v4, 16, v13
	s_mov_b32 s16, exec_lo
	v_and_b32_e32 v19, 0xff, v4
	s_delay_alu instid0(VALU_DEP_1)
	v_cmpx_ne_u16_e32 0, v19
	s_cbranch_execz .LBB244_290
; %bb.283:                              ;   in Loop: Header=BB244_168 Depth=1
	v_mov_b32_e32 v17, 0x8000
	s_mov_b32 s17, exec_lo
	v_cmpx_ne_u16_e32 0x80, v19
	s_cbranch_execz .LBB244_289
; %bb.284:                              ;   in Loop: Header=BB244_168 Depth=1
	v_bfe_u32 v20, v13, 16, 7
	v_mov_b32_e32 v17, 0x7c01
	s_mov_b32 s18, exec_lo
	s_delay_alu instid0(VALU_DEP_2)
	v_cmpx_ne_u32_e32 0x7f, v20
	s_cbranch_execz .LBB244_288
; %bb.285:                              ;   in Loop: Header=BB244_168 Depth=1
	v_and_b32_e32 v17, 7, v4
	v_lshrrev_b32_e32 v19, 3, v20
	s_mov_b32 s19, exec_lo
	v_cmpx_gt_u32_e32 8, v20
; %bb.286:                              ;   in Loop: Header=BB244_168 Depth=1
	s_delay_alu instid0(VALU_DEP_3) | instskip(NEXT) | instid1(VALU_DEP_1)
	v_clz_i32_u32_e32 v17, v17
	v_min_u32_e32 v17, 32, v17
	s_delay_alu instid0(VALU_DEP_1) | instskip(NEXT) | instid1(VALU_DEP_1)
	v_subrev_nc_u32_e32 v19, 28, v17
	v_lshlrev_b64_e32 v[20:21], v19, v[4:5]
	s_delay_alu instid0(VALU_DEP_1)
	v_dual_sub_nc_u32 v19, 29, v17 :: v_dual_bitop2_b32 v17, 7, v20 bitop3:0x40
; %bb.287:                              ;   in Loop: Header=BB244_168 Depth=1
	s_or_b32 exec_lo, exec_lo, s19
	s_delay_alu instid0(VALU_DEP_1) | instskip(NEXT) | instid1(VALU_DEP_2)
	v_dual_lshlrev_b32 v4, 8, v4 :: v_dual_lshlrev_b32 v17, 7, v17
	v_lshl_add_u32 v19, v19, 10, 0x2000
	s_delay_alu instid0(VALU_DEP_2) | instskip(NEXT) | instid1(VALU_DEP_2)
	v_and_b32_e32 v4, 0x8000, v4
	v_and_b32_e32 v19, 0xfc00, v19
	s_delay_alu instid0(VALU_DEP_1)
	v_or3_b32 v17, v4, v19, v17
.LBB244_288:                            ;   in Loop: Header=BB244_168 Depth=1
	s_or_b32 exec_lo, exec_lo, s18
.LBB244_289:                            ;   in Loop: Header=BB244_168 Depth=1
	s_delay_alu instid0(SALU_CYCLE_1)
	s_or_b32 exec_lo, exec_lo, s17
.LBB244_290:                            ;   in Loop: Header=BB244_168 Depth=1
	s_delay_alu instid0(SALU_CYCLE_1)
	s_or_b32 exec_lo, exec_lo, s16
	v_cmp_lt_u64_e64 s0, s[4:5], v[12:13]
	v_mov_b32_e32 v12, 0
	s_and_saveexec_b32 s16, s0
	s_cbranch_execz .LBB244_298
; %bb.291:                              ;   in Loop: Header=BB244_168 Depth=1
	v_lshrrev_b32_e32 v4, 24, v13
	v_bfrev_b32_e32 v12, 1
	s_mov_b32 s17, exec_lo
	s_delay_alu instid0(VALU_DEP_2)
	v_cmpx_ne_u32_e32 0x80, v4
	s_cbranch_execz .LBB244_297
; %bb.292:                              ;   in Loop: Header=BB244_168 Depth=1
	v_and_b32_e32 v19, 0x7f, v4
	v_mov_b32_e32 v12, 0x7c010000
	s_mov_b32 s18, exec_lo
	s_delay_alu instid0(VALU_DEP_2)
	v_cmpx_ne_u32_e32 0x7f, v19
	s_cbranch_execz .LBB244_296
; %bb.293:                              ;   in Loop: Header=BB244_168 Depth=1
	v_dual_lshrrev_b32 v13, 3, v19 :: v_dual_bitop2_b32 v12, 7, v4 bitop3:0x40
	s_mov_b32 s19, exec_lo
	v_cmpx_gt_u32_e32 8, v19
; %bb.294:                              ;   in Loop: Header=BB244_168 Depth=1
	s_delay_alu instid0(VALU_DEP_2) | instskip(NEXT) | instid1(VALU_DEP_1)
	v_clz_i32_u32_e32 v12, v12
	v_min_u32_e32 v19, 32, v12
	s_delay_alu instid0(VALU_DEP_1) | instskip(NEXT) | instid1(VALU_DEP_1)
	v_subrev_nc_u32_e32 v12, 28, v19
	v_lshlrev_b64_e32 v[12:13], v12, v[4:5]
	s_delay_alu instid0(VALU_DEP_1)
	v_dual_sub_nc_u32 v13, 29, v19 :: v_dual_bitop2_b32 v12, 7, v12 bitop3:0x40
; %bb.295:                              ;   in Loop: Header=BB244_168 Depth=1
	s_or_b32 exec_lo, exec_lo, s19
	v_lshlrev_b32_e32 v4, 8, v4
	s_delay_alu instid0(VALU_DEP_2) | instskip(NEXT) | instid1(VALU_DEP_3)
	v_lshl_add_u32 v13, v13, 10, 0x2000
	v_lshlrev_b32_e32 v12, 23, v12
	s_delay_alu instid0(VALU_DEP_2) | instskip(NEXT) | instid1(VALU_DEP_1)
	v_and_or_b32 v4, 0x8000, v4, v13
	v_lshl_or_b32 v12, v4, 16, v12
.LBB244_296:                            ;   in Loop: Header=BB244_168 Depth=1
	s_or_b32 exec_lo, exec_lo, s18
.LBB244_297:                            ;   in Loop: Header=BB244_168 Depth=1
	s_delay_alu instid0(SALU_CYCLE_1)
	s_or_b32 exec_lo, exec_lo, s17
.LBB244_298:                            ;   in Loop: Header=BB244_168 Depth=1
	s_delay_alu instid0(SALU_CYCLE_1) | instskip(SKIP_3) | instid1(VALU_DEP_3)
	s_or_b32 exec_lo, exec_lo, s16
	v_dual_lshrrev_b32 v4, 16, v1 :: v_dual_lshrrev_b32 v13, 16, v14
	v_or_b32_e32 v1, v1, v11
	v_dual_lshrrev_b32 v19, 16, v12 :: v_dual_bitop2_b32 v11, v14, v15 bitop3:0x54
	v_cvt_f32_f16_e32 v15, v4
	s_delay_alu instid0(VALU_DEP_4) | instskip(SKIP_1) | instid1(VALU_DEP_4)
	v_cvt_f32_f16_e32 v14, v13
	v_dual_lshrrev_b32 v17, 16, v18 :: v_dual_bitop2_b32 v4, v12, v17 bitop3:0x54
	v_cvt_f32_f16_e32 v12, v11
	v_cvt_f32_f16_e32 v13, v1
	s_wait_loadcnt 0x0
	v_pk_mul_f32 v[14:15], v[10:11], v[14:15] op_sel_hi:[0,1]
	v_cvt_f32_f16_e32 v17, v17
	s_delay_alu instid0(VALU_DEP_2) | instskip(SKIP_3) | instid1(VALU_DEP_3)
	v_cvt_pk_f16_f32 v1, v14, v15
	v_or_b32_e32 v11, v18, v16
	v_cvt_f32_f16_e32 v16, v19
	v_cvt_f32_f16_e32 v18, v4
	v_pk_mul_f32 v[12:13], v[10:11], v[12:13] op_sel_hi:[0,1]
	s_delay_alu instid0(VALU_DEP_1) | instskip(SKIP_4) | instid1(VALU_DEP_3)
	v_cvt_pk_f16_f32 v4, v12, v13
	v_lshlrev_b32_e32 v12, 16, v1
	v_cvt_f32_f16_e32 v19, v11
	v_pk_mul_f32 v[14:15], v[10:11], v[16:17] op_sel_hi:[0,1]
	v_and_b32_e32 v13, 0xffff0000, v1
	v_pk_mul_f32 v[10:11], v[10:11], v[18:19] op_sel_hi:[0,1]
	s_delay_alu instid0(VALU_DEP_3) | instskip(SKIP_2) | instid1(VALU_DEP_4)
	v_cvt_pk_f16_f32 v14, v14, v15
	v_lshrrev_b32_e32 v19, 16, v4
	v_and_b32_e32 v18, 0xffff, v4
	v_cvt_pk_f16_f32 v10, v10, v11
	s_delay_alu instid0(VALU_DEP_4) | instskip(NEXT) | instid1(VALU_DEP_4)
	v_and_b32_e32 v1, 0xffff0000, v14
	v_dual_lshlrev_b32 v4, 16, v14 :: v_dual_bitop2_b32 v17, v13, v19 bitop3:0x54
	s_delay_alu instid0(VALU_DEP_4) | instskip(NEXT) | instid1(VALU_DEP_4)
	v_or_b32_e32 v16, v12, v18
	v_lshrrev_b32_e32 v11, 16, v10
	v_and_b32_e32 v10, 0xffff, v10
	s_delay_alu instid0(VALU_DEP_2) | instskip(NEXT) | instid1(VALU_DEP_2)
	v_or_b32_e32 v15, v1, v11
	v_or_b32_e32 v14, v4, v10
	s_and_saveexec_b32 s0, vcc_lo
	s_cbranch_execz .LBB244_167
; %bb.299:                              ;   in Loop: Header=BB244_168 Depth=1
	v_cmp_gt_i32_e32 vcc_lo, s15, v24
	v_cndmask_b32_e32 v14, 0, v19, vcc_lo
	v_cmp_gt_i32_e32 vcc_lo, s25, v33
	v_cndmask_b32_e32 v15, 0, v18, vcc_lo
	;; [unrolled: 2-line block ×4, first 2 shown]
	v_cmp_gt_i32_e32 vcc_lo, s15, v30
	s_delay_alu instid0(VALU_DEP_4) | instskip(NEXT) | instid1(VALU_DEP_3)
	v_or_b32_e32 v17, v13, v14
	v_or_b32_e32 v16, v12, v15
	v_cndmask_b32_e32 v11, 0, v11, vcc_lo
	v_cmp_gt_i32_e32 vcc_lo, s25, v29
	v_cndmask_b32_e32 v10, 0, v10, vcc_lo
	v_cmp_gt_i32_e32 vcc_lo, s15, v28
	;; [unrolled: 2-line block ×3, first 2 shown]
	s_delay_alu instid0(VALU_DEP_2) | instskip(NEXT) | instid1(VALU_DEP_1)
	v_dual_cndmask_b32 v4, 0, v4, vcc_lo :: v_dual_bitop2_b32 v15, v1, v11 bitop3:0x54
	v_or_b32_e32 v14, v4, v10
	s_branch .LBB244_167
.LBB244_300:
	s_or_b32 exec_lo, exec_lo, s14
.LBB244_301:
	s_delay_alu instid0(SALU_CYCLE_1) | instskip(SKIP_4) | instid1(VALU_DEP_2)
	s_or_b32 exec_lo, exec_lo, s1
	v_lshl_add_u32 v4, v23, 2, 0xa0
	v_and_b32_e32 v5, 0x3c0, v0
	s_mov_b32 s0, exec_lo
	s_barrier_signal -1
	v_lshl_add_u32 v1, v22, 8, v4
	s_barrier_wait -1
	v_cmpx_eq_u32_e32 64, v5
	s_cbranch_execz .LBB244_303
; %bb.302:
	s_delay_alu instid0(VALU_DEP_2)
	v_add_nc_u32_e32 v5, 0xfffffe00, v1
	v_add_nc_u32_e32 v6, 0xfffffe80, v1
	ds_store_b32 v5, v2
	ds_store_b32 v6, v3
.LBB244_303:
	s_or_b32 exec_lo, exec_lo, s0
	s_delay_alu instid0(SALU_CYCLE_1)
	s_mov_b32 s0, exec_lo
	s_wait_dscnt 0x0
	s_barrier_signal -1
	s_barrier_wait -1
	v_cmpx_gt_u32_e32 64, v0
	s_cbranch_execz .LBB244_305
; %bb.304:
	ds_load_2addr_b32 v[6:7], v1 offset1:32
	s_wait_dscnt 0x0
	v_pk_add_f32 v[2:3], v[2:3], v[6:7]
.LBB244_305:
	s_or_b32 exec_lo, exec_lo, s0
	v_and_b32_e32 v5, 0x3e0, v0
	s_mov_b32 s0, exec_lo
	s_barrier_signal -1
	s_barrier_wait -1
	s_delay_alu instid0(VALU_DEP_1)
	v_cmpx_eq_u32_e32 32, v5
; %bb.306:
	ds_store_2addr_b32 v4, v2, v3 offset1:32
; %bb.307:
	s_or_b32 exec_lo, exec_lo, s0
	s_wait_dscnt 0x0
	s_barrier_signal -1
	s_barrier_wait -1
	s_and_saveexec_b32 s0, s2
	s_cbranch_execz .LBB244_309
; %bb.308:
	ds_load_2addr_b32 v[4:5], v1 offset1:32
	s_wait_dscnt 0x0
	v_pk_add_f32 v[2:3], v[2:3], v[4:5]
.LBB244_309:
	s_or_b32 exec_lo, exec_lo, s0
	s_barrier_signal -1
	s_barrier_wait -1
	s_and_saveexec_b32 s0, s2
	s_cbranch_execz .LBB244_311
; %bb.310:
	s_mul_i32 s1, s24, s7
	s_bfe_u32 s5, ttmp6, 0x40014
	s_mul_i32 s1, s1, s23
	s_mul_i32 s0, s7, s6
	s_lshl_b32 s2, s1, 6
	s_lshr_b32 s4, ttmp7, 16
	s_add_co_i32 s5, s5, 1
	s_ashr_i32 s3, s2, 31
	s_ashr_i32 s1, s0, 31
	s_mul_i32 s5, s4, s5
	s_bfe_u32 s6, ttmp6, 0x40008
	s_lshl_b64 s[2:3], s[2:3], 1
	s_lshl_b64 s[0:1], s[0:1], 1
	s_add_co_i32 s6, s6, s5
	s_wait_kmcnt 0x0
	s_add_nc_u64 s[2:3], s[8:9], s[2:3]
	s_cmp_eq_u32 s22, 0
	s_add_nc_u64 s[0:1], s[2:3], s[0:1]
	s_cselect_b32 s2, s4, s6
	s_mov_b32 s3, 0
	s_lshl_b32 s2, s2, 7
	;;#ASMSTART
	v_cvt_f16_f32 v1, v2;

	;;#ASMEND
	s_add_nc_u64 s[0:1], s[0:1], s[2:3]
	global_store_b16 v0, v1, s[0:1] scale_offset
	s_wait_xcnt 0x0
	;;#ASMSTART
	v_cvt_f16_f32 v1, v3;

	;;#ASMEND
	global_store_b16 v0, v1, s[0:1] offset:64 scale_offset
.LBB244_311:
	s_endpgm
	.section	.rodata,"a",@progbits
	.p2align	6, 0x0
	.amdhsa_kernel _ZN4vllm25paged_attention_v1_kernelIthLi64ELi8ELi128ELNS_18Fp8KVCacheDataTypeE1ELb0EEEvPT_PKS2_PKT0_S8_ifPKiSA_iPKfiiiSC_SC_iiiii
		.amdhsa_group_segment_fixed_size 160
		.amdhsa_private_segment_fixed_size 0
		.amdhsa_kernarg_size 384
		.amdhsa_user_sgpr_count 2
		.amdhsa_user_sgpr_dispatch_ptr 0
		.amdhsa_user_sgpr_queue_ptr 0
		.amdhsa_user_sgpr_kernarg_segment_ptr 1
		.amdhsa_user_sgpr_dispatch_id 0
		.amdhsa_user_sgpr_kernarg_preload_length 0
		.amdhsa_user_sgpr_kernarg_preload_offset 0
		.amdhsa_user_sgpr_private_segment_size 0
		.amdhsa_wavefront_size32 1
		.amdhsa_uses_dynamic_stack 0
		.amdhsa_enable_private_segment 0
		.amdhsa_system_sgpr_workgroup_id_x 1
		.amdhsa_system_sgpr_workgroup_id_y 1
		.amdhsa_system_sgpr_workgroup_id_z 1
		.amdhsa_system_sgpr_workgroup_info 0
		.amdhsa_system_vgpr_workitem_id 0
		.amdhsa_next_free_vgpr 47
		.amdhsa_next_free_sgpr 34
		.amdhsa_named_barrier_count 0
		.amdhsa_reserve_vcc 1
		.amdhsa_float_round_mode_32 0
		.amdhsa_float_round_mode_16_64 0
		.amdhsa_float_denorm_mode_32 3
		.amdhsa_float_denorm_mode_16_64 3
		.amdhsa_fp16_overflow 0
		.amdhsa_memory_ordered 1
		.amdhsa_forward_progress 1
		.amdhsa_inst_pref_size 98
		.amdhsa_round_robin_scheduling 0
		.amdhsa_exception_fp_ieee_invalid_op 0
		.amdhsa_exception_fp_denorm_src 0
		.amdhsa_exception_fp_ieee_div_zero 0
		.amdhsa_exception_fp_ieee_overflow 0
		.amdhsa_exception_fp_ieee_underflow 0
		.amdhsa_exception_fp_ieee_inexact 0
		.amdhsa_exception_int_div_zero 0
	.end_amdhsa_kernel
	.section	.text._ZN4vllm25paged_attention_v1_kernelIthLi64ELi8ELi128ELNS_18Fp8KVCacheDataTypeE1ELb0EEEvPT_PKS2_PKT0_S8_ifPKiSA_iPKfiiiSC_SC_iiiii,"axG",@progbits,_ZN4vllm25paged_attention_v1_kernelIthLi64ELi8ELi128ELNS_18Fp8KVCacheDataTypeE1ELb0EEEvPT_PKS2_PKT0_S8_ifPKiSA_iPKfiiiSC_SC_iiiii,comdat
.Lfunc_end244:
	.size	_ZN4vllm25paged_attention_v1_kernelIthLi64ELi8ELi128ELNS_18Fp8KVCacheDataTypeE1ELb0EEEvPT_PKS2_PKT0_S8_ifPKiSA_iPKfiiiSC_SC_iiiii, .Lfunc_end244-_ZN4vllm25paged_attention_v1_kernelIthLi64ELi8ELi128ELNS_18Fp8KVCacheDataTypeE1ELb0EEEvPT_PKS2_PKT0_S8_ifPKiSA_iPKfiiiSC_SC_iiiii
                                        ; -- End function
	.set _ZN4vllm25paged_attention_v1_kernelIthLi64ELi8ELi128ELNS_18Fp8KVCacheDataTypeE1ELb0EEEvPT_PKS2_PKT0_S8_ifPKiSA_iPKfiiiSC_SC_iiiii.num_vgpr, 47
	.set _ZN4vllm25paged_attention_v1_kernelIthLi64ELi8ELi128ELNS_18Fp8KVCacheDataTypeE1ELb0EEEvPT_PKS2_PKT0_S8_ifPKiSA_iPKfiiiSC_SC_iiiii.num_agpr, 0
	.set _ZN4vllm25paged_attention_v1_kernelIthLi64ELi8ELi128ELNS_18Fp8KVCacheDataTypeE1ELb0EEEvPT_PKS2_PKT0_S8_ifPKiSA_iPKfiiiSC_SC_iiiii.numbered_sgpr, 34
	.set _ZN4vllm25paged_attention_v1_kernelIthLi64ELi8ELi128ELNS_18Fp8KVCacheDataTypeE1ELb0EEEvPT_PKS2_PKT0_S8_ifPKiSA_iPKfiiiSC_SC_iiiii.num_named_barrier, 0
	.set _ZN4vllm25paged_attention_v1_kernelIthLi64ELi8ELi128ELNS_18Fp8KVCacheDataTypeE1ELb0EEEvPT_PKS2_PKT0_S8_ifPKiSA_iPKfiiiSC_SC_iiiii.private_seg_size, 0
	.set _ZN4vllm25paged_attention_v1_kernelIthLi64ELi8ELi128ELNS_18Fp8KVCacheDataTypeE1ELb0EEEvPT_PKS2_PKT0_S8_ifPKiSA_iPKfiiiSC_SC_iiiii.uses_vcc, 1
	.set _ZN4vllm25paged_attention_v1_kernelIthLi64ELi8ELi128ELNS_18Fp8KVCacheDataTypeE1ELb0EEEvPT_PKS2_PKT0_S8_ifPKiSA_iPKfiiiSC_SC_iiiii.uses_flat_scratch, 0
	.set _ZN4vllm25paged_attention_v1_kernelIthLi64ELi8ELi128ELNS_18Fp8KVCacheDataTypeE1ELb0EEEvPT_PKS2_PKT0_S8_ifPKiSA_iPKfiiiSC_SC_iiiii.has_dyn_sized_stack, 0
	.set _ZN4vllm25paged_attention_v1_kernelIthLi64ELi8ELi128ELNS_18Fp8KVCacheDataTypeE1ELb0EEEvPT_PKS2_PKT0_S8_ifPKiSA_iPKfiiiSC_SC_iiiii.has_recursion, 0
	.set _ZN4vllm25paged_attention_v1_kernelIthLi64ELi8ELi128ELNS_18Fp8KVCacheDataTypeE1ELb0EEEvPT_PKS2_PKT0_S8_ifPKiSA_iPKfiiiSC_SC_iiiii.has_indirect_call, 0
	.section	.AMDGPU.csdata,"",@progbits
; Kernel info:
; codeLenInByte = 12428
; TotalNumSgprs: 36
; NumVgprs: 47
; ScratchSize: 0
; MemoryBound: 0
; FloatMode: 240
; IeeeMode: 1
; LDSByteSize: 160 bytes/workgroup (compile time only)
; SGPRBlocks: 0
; VGPRBlocks: 2
; NumSGPRsForWavesPerEU: 36
; NumVGPRsForWavesPerEU: 47
; NamedBarCnt: 0
; Occupancy: 16
; WaveLimiterHint : 1
; COMPUTE_PGM_RSRC2:SCRATCH_EN: 0
; COMPUTE_PGM_RSRC2:USER_SGPR: 2
; COMPUTE_PGM_RSRC2:TRAP_HANDLER: 0
; COMPUTE_PGM_RSRC2:TGID_X_EN: 1
; COMPUTE_PGM_RSRC2:TGID_Y_EN: 1
; COMPUTE_PGM_RSRC2:TGID_Z_EN: 1
; COMPUTE_PGM_RSRC2:TIDIG_COMP_CNT: 0
	.section	.text._ZN4vllm25paged_attention_v1_kernelIthLi80ELi8ELi128ELNS_18Fp8KVCacheDataTypeE1ELb0EEEvPT_PKS2_PKT0_S8_ifPKiSA_iPKfiiiSC_SC_iiiii,"axG",@progbits,_ZN4vllm25paged_attention_v1_kernelIthLi80ELi8ELi128ELNS_18Fp8KVCacheDataTypeE1ELb0EEEvPT_PKS2_PKT0_S8_ifPKiSA_iPKfiiiSC_SC_iiiii,comdat
	.protected	_ZN4vllm25paged_attention_v1_kernelIthLi80ELi8ELi128ELNS_18Fp8KVCacheDataTypeE1ELb0EEEvPT_PKS2_PKT0_S8_ifPKiSA_iPKfiiiSC_SC_iiiii ; -- Begin function _ZN4vllm25paged_attention_v1_kernelIthLi80ELi8ELi128ELNS_18Fp8KVCacheDataTypeE1ELb0EEEvPT_PKS2_PKT0_S8_ifPKiSA_iPKfiiiSC_SC_iiiii
	.globl	_ZN4vllm25paged_attention_v1_kernelIthLi80ELi8ELi128ELNS_18Fp8KVCacheDataTypeE1ELb0EEEvPT_PKS2_PKT0_S8_ifPKiSA_iPKfiiiSC_SC_iiiii
	.p2align	8
	.type	_ZN4vllm25paged_attention_v1_kernelIthLi80ELi8ELi128ELNS_18Fp8KVCacheDataTypeE1ELb0EEEvPT_PKS2_PKT0_S8_ifPKiSA_iPKfiiiSC_SC_iiiii,@function
_ZN4vllm25paged_attention_v1_kernelIthLi80ELi8ELi128ELNS_18Fp8KVCacheDataTypeE1ELb0EEEvPT_PKS2_PKT0_S8_ifPKiSA_iPKfiiiSC_SC_iiiii: ; @_ZN4vllm25paged_attention_v1_kernelIthLi80ELi8ELi128ELNS_18Fp8KVCacheDataTypeE1ELb0EEEvPT_PKS2_PKT0_S8_ifPKiSA_iPKfiiiSC_SC_iiiii
; %bb.0:
	s_load_b64 s[6:7], s[0:1], 0x20
	s_bfe_u32 s3, ttmp6, 0x4000c
	s_bfe_u32 s5, ttmp6, 0x40010
	s_and_b32 s4, ttmp7, 0xffff
	s_add_co_i32 s3, s3, 1
	s_add_co_i32 s5, s5, 1
	s_and_b32 s2, ttmp6, 15
	s_bfe_u32 s8, ttmp6, 0x40004
	s_mul_i32 s3, ttmp9, s3
	s_mul_i32 s5, s4, s5
	s_getreg_b32 s20, hwreg(HW_REG_IB_STS2, 6, 4)
	s_add_co_i32 s2, s2, s3
	s_add_co_i32 s8, s8, s5
	s_cmp_eq_u32 s20, 0
	s_clause 0x1
	s_load_b32 s21, s[0:1], 0x80
	s_load_b64 s[10:11], s[0:1], 0x30
	s_cselect_b32 s22, s4, s8
	s_cselect_b32 s2, ttmp9, s2
	s_wait_kmcnt 0x0
	s_abs_i32 s3, s6
	s_delay_alu instid0(SALU_CYCLE_1) | instskip(SKIP_1) | instid1(SALU_CYCLE_2)
	s_cvt_f32_u32 s4, s3
	s_sub_co_i32 s5, 0, s3
	v_rcp_iflag_f32_e32 v1, s4
	s_abs_i32 s8, s21
	v_nop
	s_delay_alu instid0(TRANS32_DEP_1) | instskip(SKIP_1) | instid1(SALU_CYCLE_3)
	v_readfirstlane_b32 s4, v1
	s_mul_f32 s4, s4, 0x4f7ffffe
	s_cvt_u32_f32 s4, s4
	s_delay_alu instid0(SALU_CYCLE_3) | instskip(NEXT) | instid1(SALU_CYCLE_1)
	s_mul_i32 s5, s5, s4
	s_mul_hi_u32 s5, s4, s5
	s_delay_alu instid0(SALU_CYCLE_1) | instskip(SKIP_4) | instid1(SALU_CYCLE_1)
	s_add_co_i32 s4, s4, s5
	s_xor_b32 s5, s21, s6
	s_mul_hi_u32 s4, s8, s4
	s_ashr_i32 s5, s5, 31
	s_mul_i32 s6, s4, s3
	s_sub_co_i32 s6, s8, s6
	s_add_co_i32 s8, s4, 1
	s_sub_co_i32 s9, s6, s3
	s_cmp_ge_u32 s6, s3
	s_cselect_b32 s4, s8, s4
	s_cselect_b32 s6, s9, s6
	s_add_co_i32 s8, s4, 1
	s_cmp_ge_u32 s6, s3
	s_mov_b32 s9, 0
	s_cselect_b32 s3, s8, s4
	s_abs_i32 s8, s2
	s_xor_b32 s3, s3, s5
	s_mov_b32 s13, s9
	s_sub_co_i32 s15, s3, s5
	s_load_b64 s[4:5], s[0:1], 0x40
	s_abs_i32 s14, s15
	s_mov_b32 s25, s9
	s_cvt_f32_u32 s3, s14
	s_sub_co_i32 s6, 0, s14
	s_delay_alu instid0(SALU_CYCLE_2) | instskip(SKIP_1) | instid1(TRANS32_DEP_1)
	v_rcp_iflag_f32_e32 v1, s3
	v_nop
	v_readfirstlane_b32 s3, v1
	s_mul_f32 s3, s3, 0x4f7ffffe
	s_delay_alu instid0(SALU_CYCLE_3) | instskip(NEXT) | instid1(SALU_CYCLE_3)
	s_cvt_u32_f32 s3, s3
	s_mul_i32 s6, s6, s3
	s_delay_alu instid0(SALU_CYCLE_1) | instskip(NEXT) | instid1(SALU_CYCLE_1)
	s_mul_hi_u32 s6, s3, s6
	s_add_co_i32 s12, s3, s6
	s_wait_kmcnt 0x0
	s_cmp_eq_u64 s[4:5], 0
	s_cbranch_scc1 .LBB245_2
; %bb.1:
	s_ashr_i32 s3, s2, 31
	s_delay_alu instid0(SALU_CYCLE_1) | instskip(NEXT) | instid1(SALU_CYCLE_1)
	s_lshl_b64 s[16:17], s[2:3], 2
	s_add_nc_u64 s[4:5], s[4:5], s[16:17]
	s_load_b32 s25, s[4:5], 0x0
.LBB245_2:
	s_load_b32 s23, s[10:11], s22 offset:0x0 scale_offset
	s_wait_xcnt 0x0
	s_load_b96 s[4:6], s[0:1], 0x48
	v_and_b32_e32 v4, 3, v0
	s_ashr_i32 s3, s2, 31
	s_ashr_i32 s15, s15, 31
	s_mul_u64 s[10:11], s[8:9], s[12:13]
	s_mul_i32 s12, s2, 0x50
	s_mov_b32 s2, exec_lo
	v_cmpx_gt_u32_e32 40, v0
	s_cbranch_execz .LBB245_4
; %bb.3:
	s_load_b64 s[16:17], s[0:1], 0x8
	s_wait_kmcnt 0x0
	s_mul_i32 s18, s4, s22
	s_ashr_i32 s13, s12, 31
	s_ashr_i32 s19, s18, 31
	v_and_b32_e32 v2, 0x3fc, v0
	s_lshl_b64 s[18:19], s[18:19], 1
	s_delay_alu instid0(VALU_DEP_1) | instskip(SKIP_2) | instid1(SALU_CYCLE_1)
	v_mad_u32_u24 v2, v4, 40, v2
	s_add_nc_u64 s[16:17], s[16:17], s[18:19]
	s_lshl_b64 s[18:19], s[12:13], 1
	s_add_nc_u64 s[16:17], s[16:17], s[18:19]
	global_load_b32 v1, v0, s[16:17] scale_offset
	s_wait_loadcnt 0x0
	ds_store_b32 v2, v1
.LBB245_4:
	s_or_b32 exec_lo, exec_lo, s2
	s_wait_kmcnt 0x0
	s_add_co_i32 s2, s23, 7
	s_load_b32 s4, s[0:1], 0x38
	s_ashr_i32 s9, s2, 31
	s_mul_i32 s10, s11, s14
	s_lshr_b32 s9, s9, 29
	s_sub_co_i32 s8, s8, s10
	s_add_co_i32 s2, s2, s9
	s_xor_b32 s3, s3, s15
	s_ashr_i32 s24, s2, 3
	s_add_co_i32 s2, s11, 1
	s_sub_co_i32 s9, s8, s14
	s_cmp_ge_u32 s8, s14
	v_lshrrev_b32_e32 v26, 5, v0
	s_cselect_b32 s2, s2, s11
	s_cselect_b32 s8, s9, s8
	s_add_co_i32 s9, s2, 1
	s_cmp_ge_u32 s8, s14
	v_mbcnt_lo_u32_b32 v10, -1, 0
	s_cselect_b32 s2, s9, s2
	s_wait_dscnt 0x0
	s_xor_b32 s2, s2, s3
	s_wait_kmcnt 0x0
	s_mul_i32 s14, s4, s22
	s_sub_co_i32 s3, s2, s3
	v_cmp_gt_i32_e64 s2, s24, v26
	s_ashr_i32 s15, s14, 31
	s_mov_b32 s4, exec_lo
	s_barrier_signal -1
	s_barrier_wait -1
                                        ; implicit-def: $vgpr3
                                        ; implicit-def: $vgpr11
	v_cmpx_le_i32_e64 s24, v26
	s_xor_b32 s4, exec_lo, s4
; %bb.5:
	v_dual_mov_b32 v3, 0 :: v_dual_mov_b32 v11, 32
	v_mbcnt_lo_u32_b32 v10, -1, 0
                                        ; implicit-def: $vgpr4
; %bb.6:
	s_or_saveexec_b32 s26, s4
	s_clause 0x2
	s_load_b32 s13, s[0:1], 0x88
	s_load_b64 s[16:17], s[0:1], 0x28
	s_load_b128 s[8:11], s[0:1], 0x58
	v_dual_mov_b32 v12, 0xff7fffff :: v_dual_lshrrev_b32 v1, 3, v0
	s_mul_i32 s18, s3, s6
	s_xor_b32 exec_lo, exec_lo, s26
	s_cbranch_execz .LBB245_172
; %bb.7:
	s_load_b64 s[28:29], s[0:1], 0x10
	v_bfe_u32 v8, v0, 2, 3
	v_mov_b32_e32 v3, 0
	s_ashr_i32 s19, s18, 31
	s_cmp_neq_f32 s25, 0
	v_mul_u32_u24_e32 v13, 40, v4
	v_dual_lshlrev_b32 v2, 4, v8 :: v_dual_lshlrev_b32 v5, 2, v8
	v_mov_b32_e32 v12, 0xff7fffff
	v_cmp_eq_u32_e32 vcc_lo, 0, v4
	s_cselect_b32 s3, -1, 0
	v_lshl_or_b32 v14, v26, 3, v8
	v_lshl_or_b32 v9, v26, 5, v5
	s_mov_b32 s6, 0
	s_sub_co_i32 s27, 1, s23
	v_dual_mov_b32 v16, v26 :: v_dual_mov_b32 v11, 32
	s_delay_alu instid0(VALU_DEP_2)
	v_add_nc_u32_e32 v15, 0xc0, v9
	s_wait_kmcnt 0x0
	s_add_nc_u64 s[28:29], s[28:29], s[18:19]
	s_mov_b32 s19, s5
	v_add_nc_u64_e32 v[6:7], s[28:29], v[2:3]
	v_lshlrev_b32_e32 v2, 1, v4
	s_lshl_b64 s[28:29], s[14:15], 2
	s_delay_alu instid0(SALU_CYCLE_1) | instskip(NEXT) | instid1(VALU_DEP_1)
	s_add_nc_u64 s[28:29], s[16:17], s[28:29]
	v_add_nc_u64_e32 v[4:5], v[6:7], v[2:3]
	v_and_b32_e32 v2, 0x7c, v1
	s_delay_alu instid0(VALU_DEP_1)
	v_add_nc_u64_e32 v[6:7], s[28:29], v[2:3]
	s_branch .LBB245_9
.LBB245_8:                              ;   in Loop: Header=BB245_9 Depth=1
	s_or_b32 exec_lo, exec_lo, s28
	v_dual_add_nc_u32 v16, 4, v16 :: v_dual_add_nc_u32 v14, 32, v14
	v_add_nc_u64_e32 v[6:7], 16, v[6:7]
	v_add_nc_u32_e32 v15, 0x80, v15
	s_delay_alu instid0(VALU_DEP_3) | instskip(SKIP_1) | instid1(SALU_CYCLE_1)
	v_cmp_le_i32_e64 s4, s24, v16
	s_or_b32 s6, s4, s6
	s_and_not1_b32 exec_lo, exec_lo, s6
	s_cbranch_execz .LBB245_171
.LBB245_9:                              ; =>This Inner Loop Header: Depth=1
	global_load_b32 v2, v[6:7], off
	v_mov_b32_e32 v18, 0
	s_wait_loadcnt_dscnt 0x0
	v_mad_nc_i64_i32 v[8:9], v2, s19, v[4:5]
	global_load_u16 v2, v[8:9], off
	s_wait_loadcnt 0x0
	v_and_b32_e32 v19, 0xff, v2
	v_and_b32_e32 v2, 0xffff, v2
	s_delay_alu instid0(VALU_DEP_2)
	v_cmp_ne_u16_e64 s4, 0, v19
	v_mov_b32_e32 v19, 0
	global_load_b32 v17, v18, s[8:9]
	s_wait_xcnt 0x0
	s_and_saveexec_b32 s28, s4
	s_cbranch_execz .LBB245_17
; %bb.10:                               ;   in Loop: Header=BB245_9 Depth=1
	v_and_b32_e32 v19, 0xff, v2
	s_delay_alu instid0(VALU_DEP_1)
	v_cmp_ne_u16_e64 s4, 0x80, v19
	v_mov_b32_e32 v19, 0x8000
	s_and_saveexec_b32 s29, s4
	s_cbranch_execz .LBB245_16
; %bb.11:                               ;   in Loop: Header=BB245_9 Depth=1
	v_and_b32_e32 v21, 0x7f, v2
	v_mov_b32_e32 v19, 0x7c01
	s_mov_b32 s30, exec_lo
	s_delay_alu instid0(VALU_DEP_2)
	v_cmpx_ne_u32_e32 0x7f, v21
	s_cbranch_execz .LBB245_15
; %bb.12:                               ;   in Loop: Header=BB245_9 Depth=1
	v_dual_lshrrev_b32 v20, 3, v21 :: v_dual_bitop2_b32 v19, 7, v2 bitop3:0x40
	s_mov_b32 s31, exec_lo
	v_cmpx_gt_u32_e32 8, v21
; %bb.13:                               ;   in Loop: Header=BB245_9 Depth=1
	s_delay_alu instid0(VALU_DEP_2) | instskip(NEXT) | instid1(VALU_DEP_1)
	v_clz_i32_u32_e32 v19, v19
	v_min_u32_e32 v19, 32, v19
	s_delay_alu instid0(VALU_DEP_1) | instskip(NEXT) | instid1(VALU_DEP_1)
	v_subrev_nc_u32_e32 v20, 28, v19
	v_lshlrev_b64_e32 v[22:23], v20, v[2:3]
	s_delay_alu instid0(VALU_DEP_1)
	v_dual_sub_nc_u32 v20, 29, v19 :: v_dual_bitop2_b32 v19, 7, v22 bitop3:0x40
; %bb.14:                               ;   in Loop: Header=BB245_9 Depth=1
	s_or_b32 exec_lo, exec_lo, s31
	s_delay_alu instid0(VALU_DEP_1) | instskip(NEXT) | instid1(VALU_DEP_2)
	v_dual_lshlrev_b32 v21, 8, v2 :: v_dual_lshlrev_b32 v19, 7, v19
	v_lshl_add_u32 v20, v20, 10, 0x2000
	s_delay_alu instid0(VALU_DEP_2) | instskip(NEXT) | instid1(VALU_DEP_2)
	v_and_b32_e32 v21, 0x8000, v21
	v_and_b32_e32 v20, 0xfc00, v20
	s_delay_alu instid0(VALU_DEP_1)
	v_or3_b32 v19, v21, v20, v19
.LBB245_15:                             ;   in Loop: Header=BB245_9 Depth=1
	s_or_b32 exec_lo, exec_lo, s30
.LBB245_16:                             ;   in Loop: Header=BB245_9 Depth=1
	s_delay_alu instid0(SALU_CYCLE_1)
	s_or_b32 exec_lo, exec_lo, s29
.LBB245_17:                             ;   in Loop: Header=BB245_9 Depth=1
	s_delay_alu instid0(SALU_CYCLE_1) | instskip(SKIP_2) | instid1(VALU_DEP_1)
	s_or_b32 exec_lo, exec_lo, s28
	v_lshrrev_b16 v2, 8, v2
	s_mov_b32 s28, exec_lo
	v_cmpx_ne_u16_e32 0, v2
	s_cbranch_execz .LBB245_25
; %bb.18:                               ;   in Loop: Header=BB245_9 Depth=1
	v_bfrev_b32_e32 v18, 1
	s_mov_b32 s29, exec_lo
	v_cmpx_ne_u16_e32 0x80, v2
	s_cbranch_execz .LBB245_24
; %bb.19:                               ;   in Loop: Header=BB245_9 Depth=1
	v_and_b32_e32 v20, 0xffff, v2
	v_mov_b32_e32 v18, 0x7c010000
	s_mov_b32 s30, exec_lo
	s_delay_alu instid0(VALU_DEP_2) | instskip(NEXT) | instid1(VALU_DEP_1)
	v_and_b32_e32 v22, 0x7f, v20
	v_cmpx_ne_u32_e32 0x7f, v22
	s_cbranch_execz .LBB245_23
; %bb.20:                               ;   in Loop: Header=BB245_9 Depth=1
	v_dual_lshrrev_b32 v21, 3, v22 :: v_dual_bitop2_b32 v18, 7, v20 bitop3:0x40
	s_mov_b32 s31, exec_lo
	v_cmpx_gt_u32_e32 8, v22
; %bb.21:                               ;   in Loop: Header=BB245_9 Depth=1
	s_delay_alu instid0(VALU_DEP_2) | instskip(NEXT) | instid1(VALU_DEP_1)
	v_clz_i32_u32_e32 v18, v18
	v_min_u32_e32 v18, 32, v18
	s_delay_alu instid0(VALU_DEP_1) | instskip(NEXT) | instid1(VALU_DEP_1)
	v_subrev_nc_u32_e32 v21, 28, v18
	v_lshlrev_b64_e32 v[22:23], v21, v[2:3]
	v_sub_nc_u32_e32 v21, 29, v18
	s_delay_alu instid0(VALU_DEP_2)
	v_and_b32_e32 v18, 7, v22
; %bb.22:                               ;   in Loop: Header=BB245_9 Depth=1
	s_or_b32 exec_lo, exec_lo, s31
	s_delay_alu instid0(VALU_DEP_1) | instskip(NEXT) | instid1(VALU_DEP_3)
	v_dual_lshlrev_b32 v2, 8, v20 :: v_dual_lshlrev_b32 v18, 23, v18
	v_lshl_add_u32 v20, v21, 10, 0x2000
	s_delay_alu instid0(VALU_DEP_1) | instskip(NEXT) | instid1(VALU_DEP_1)
	v_and_or_b32 v2, 0x8000, v2, v20
	v_lshl_or_b32 v18, v2, 16, v18
.LBB245_23:                             ;   in Loop: Header=BB245_9 Depth=1
	s_or_b32 exec_lo, exec_lo, s30
.LBB245_24:                             ;   in Loop: Header=BB245_9 Depth=1
	s_delay_alu instid0(SALU_CYCLE_1)
	s_or_b32 exec_lo, exec_lo, s29
.LBB245_25:                             ;   in Loop: Header=BB245_9 Depth=1
	s_delay_alu instid0(SALU_CYCLE_1)
	s_or_b32 exec_lo, exec_lo, s28
	global_load_u16 v2, v[8:9], off offset:8
	v_mov_b32_e32 v20, 0
	s_wait_loadcnt 0x0
	v_and_b32_e32 v21, 0xff, v2
	v_and_b32_e32 v2, 0xffff, v2
	s_delay_alu instid0(VALU_DEP_2)
	v_cmp_ne_u16_e64 s4, 0, v21
	v_mov_b32_e32 v21, 0
	s_and_saveexec_b32 s28, s4
	s_cbranch_execz .LBB245_33
; %bb.26:                               ;   in Loop: Header=BB245_9 Depth=1
	v_and_b32_e32 v21, 0xff, v2
	s_delay_alu instid0(VALU_DEP_1)
	v_cmp_ne_u16_e64 s4, 0x80, v21
	v_mov_b32_e32 v21, 0x8000
	s_and_saveexec_b32 s29, s4
	s_cbranch_execz .LBB245_32
; %bb.27:                               ;   in Loop: Header=BB245_9 Depth=1
	v_and_b32_e32 v23, 0x7f, v2
	v_mov_b32_e32 v21, 0x7c01
	s_mov_b32 s30, exec_lo
	s_delay_alu instid0(VALU_DEP_2)
	v_cmpx_ne_u32_e32 0x7f, v23
	s_cbranch_execz .LBB245_31
; %bb.28:                               ;   in Loop: Header=BB245_9 Depth=1
	v_dual_lshrrev_b32 v22, 3, v23 :: v_dual_bitop2_b32 v21, 7, v2 bitop3:0x40
	s_mov_b32 s31, exec_lo
	v_cmpx_gt_u32_e32 8, v23
; %bb.29:                               ;   in Loop: Header=BB245_9 Depth=1
	s_delay_alu instid0(VALU_DEP_2) | instskip(NEXT) | instid1(VALU_DEP_1)
	v_clz_i32_u32_e32 v21, v21
	v_min_u32_e32 v21, 32, v21
	s_delay_alu instid0(VALU_DEP_1) | instskip(NEXT) | instid1(VALU_DEP_1)
	v_subrev_nc_u32_e32 v22, 28, v21
	v_lshlrev_b64_e32 v[24:25], v22, v[2:3]
	s_delay_alu instid0(VALU_DEP_1)
	v_dual_sub_nc_u32 v22, 29, v21 :: v_dual_bitop2_b32 v21, 7, v24 bitop3:0x40
; %bb.30:                               ;   in Loop: Header=BB245_9 Depth=1
	s_or_b32 exec_lo, exec_lo, s31
	s_delay_alu instid0(VALU_DEP_1) | instskip(NEXT) | instid1(VALU_DEP_2)
	v_dual_lshlrev_b32 v23, 8, v2 :: v_dual_lshlrev_b32 v21, 7, v21
	v_lshl_add_u32 v22, v22, 10, 0x2000
	s_delay_alu instid0(VALU_DEP_2) | instskip(NEXT) | instid1(VALU_DEP_2)
	v_and_b32_e32 v23, 0x8000, v23
	v_and_b32_e32 v22, 0xfc00, v22
	s_delay_alu instid0(VALU_DEP_1)
	v_or3_b32 v21, v23, v22, v21
.LBB245_31:                             ;   in Loop: Header=BB245_9 Depth=1
	s_or_b32 exec_lo, exec_lo, s30
.LBB245_32:                             ;   in Loop: Header=BB245_9 Depth=1
	s_delay_alu instid0(SALU_CYCLE_1)
	s_or_b32 exec_lo, exec_lo, s29
.LBB245_33:                             ;   in Loop: Header=BB245_9 Depth=1
	s_delay_alu instid0(SALU_CYCLE_1) | instskip(SKIP_2) | instid1(VALU_DEP_1)
	s_or_b32 exec_lo, exec_lo, s28
	v_lshrrev_b16 v2, 8, v2
	s_mov_b32 s28, exec_lo
	v_cmpx_ne_u16_e32 0, v2
	s_cbranch_execz .LBB245_41
; %bb.34:                               ;   in Loop: Header=BB245_9 Depth=1
	v_bfrev_b32_e32 v20, 1
	s_mov_b32 s29, exec_lo
	v_cmpx_ne_u16_e32 0x80, v2
	s_cbranch_execz .LBB245_40
; %bb.35:                               ;   in Loop: Header=BB245_9 Depth=1
	v_and_b32_e32 v22, 0xffff, v2
	v_mov_b32_e32 v20, 0x7c010000
	s_mov_b32 s30, exec_lo
	s_delay_alu instid0(VALU_DEP_2) | instskip(NEXT) | instid1(VALU_DEP_1)
	v_and_b32_e32 v24, 0x7f, v22
	v_cmpx_ne_u32_e32 0x7f, v24
	s_cbranch_execz .LBB245_39
; %bb.36:                               ;   in Loop: Header=BB245_9 Depth=1
	v_dual_lshrrev_b32 v23, 3, v24 :: v_dual_bitop2_b32 v20, 7, v22 bitop3:0x40
	s_mov_b32 s31, exec_lo
	v_cmpx_gt_u32_e32 8, v24
; %bb.37:                               ;   in Loop: Header=BB245_9 Depth=1
	s_delay_alu instid0(VALU_DEP_2) | instskip(NEXT) | instid1(VALU_DEP_1)
	v_clz_i32_u32_e32 v20, v20
	v_min_u32_e32 v20, 32, v20
	s_delay_alu instid0(VALU_DEP_1) | instskip(NEXT) | instid1(VALU_DEP_1)
	v_subrev_nc_u32_e32 v23, 28, v20
	v_lshlrev_b64_e32 v[24:25], v23, v[2:3]
	v_sub_nc_u32_e32 v23, 29, v20
	s_delay_alu instid0(VALU_DEP_2)
	v_and_b32_e32 v20, 7, v24
; %bb.38:                               ;   in Loop: Header=BB245_9 Depth=1
	s_or_b32 exec_lo, exec_lo, s31
	s_delay_alu instid0(VALU_DEP_1) | instskip(NEXT) | instid1(VALU_DEP_3)
	v_dual_lshlrev_b32 v2, 8, v22 :: v_dual_lshlrev_b32 v20, 23, v20
	v_lshl_add_u32 v22, v23, 10, 0x2000
	s_delay_alu instid0(VALU_DEP_1) | instskip(NEXT) | instid1(VALU_DEP_1)
	v_and_or_b32 v2, 0x8000, v2, v22
	v_lshl_or_b32 v20, v2, 16, v20
.LBB245_39:                             ;   in Loop: Header=BB245_9 Depth=1
	s_or_b32 exec_lo, exec_lo, s30
.LBB245_40:                             ;   in Loop: Header=BB245_9 Depth=1
	s_delay_alu instid0(SALU_CYCLE_1)
	s_or_b32 exec_lo, exec_lo, s29
.LBB245_41:                             ;   in Loop: Header=BB245_9 Depth=1
	s_delay_alu instid0(SALU_CYCLE_1)
	s_or_b32 exec_lo, exec_lo, s28
	global_load_u16 v2, v[8:9], off offset:128
	v_mov_b32_e32 v22, 0
	s_wait_loadcnt 0x0
	v_and_b32_e32 v23, 0xff, v2
	v_and_b32_e32 v2, 0xffff, v2
	s_delay_alu instid0(VALU_DEP_2)
	v_cmp_ne_u16_e64 s4, 0, v23
	v_mov_b32_e32 v23, 0
	s_and_saveexec_b32 s28, s4
	s_cbranch_execz .LBB245_49
; %bb.42:                               ;   in Loop: Header=BB245_9 Depth=1
	v_and_b32_e32 v23, 0xff, v2
	s_delay_alu instid0(VALU_DEP_1)
	v_cmp_ne_u16_e64 s4, 0x80, v23
	v_mov_b32_e32 v23, 0x8000
	s_and_saveexec_b32 s29, s4
	s_cbranch_execz .LBB245_48
; %bb.43:                               ;   in Loop: Header=BB245_9 Depth=1
	v_and_b32_e32 v25, 0x7f, v2
	v_mov_b32_e32 v23, 0x7c01
	s_mov_b32 s30, exec_lo
	s_delay_alu instid0(VALU_DEP_2)
	v_cmpx_ne_u32_e32 0x7f, v25
	s_cbranch_execz .LBB245_47
; %bb.44:                               ;   in Loop: Header=BB245_9 Depth=1
	v_dual_lshrrev_b32 v24, 3, v25 :: v_dual_bitop2_b32 v23, 7, v2 bitop3:0x40
	s_mov_b32 s31, exec_lo
	v_cmpx_gt_u32_e32 8, v25
; %bb.45:                               ;   in Loop: Header=BB245_9 Depth=1
	s_delay_alu instid0(VALU_DEP_2) | instskip(NEXT) | instid1(VALU_DEP_1)
	v_clz_i32_u32_e32 v23, v23
	v_min_u32_e32 v23, 32, v23
	s_delay_alu instid0(VALU_DEP_1) | instskip(NEXT) | instid1(VALU_DEP_1)
	v_subrev_nc_u32_e32 v24, 28, v23
	v_lshlrev_b64_e32 v[28:29], v24, v[2:3]
	s_delay_alu instid0(VALU_DEP_1)
	v_dual_sub_nc_u32 v24, 29, v23 :: v_dual_bitop2_b32 v23, 7, v28 bitop3:0x40
; %bb.46:                               ;   in Loop: Header=BB245_9 Depth=1
	s_or_b32 exec_lo, exec_lo, s31
	s_delay_alu instid0(VALU_DEP_1) | instskip(NEXT) | instid1(VALU_DEP_2)
	v_dual_lshlrev_b32 v25, 8, v2 :: v_dual_lshlrev_b32 v23, 7, v23
	v_lshl_add_u32 v24, v24, 10, 0x2000
	s_delay_alu instid0(VALU_DEP_2) | instskip(NEXT) | instid1(VALU_DEP_2)
	v_and_b32_e32 v25, 0x8000, v25
	v_and_b32_e32 v24, 0xfc00, v24
	s_delay_alu instid0(VALU_DEP_1)
	v_or3_b32 v23, v25, v24, v23
.LBB245_47:                             ;   in Loop: Header=BB245_9 Depth=1
	s_or_b32 exec_lo, exec_lo, s30
.LBB245_48:                             ;   in Loop: Header=BB245_9 Depth=1
	s_delay_alu instid0(SALU_CYCLE_1)
	s_or_b32 exec_lo, exec_lo, s29
.LBB245_49:                             ;   in Loop: Header=BB245_9 Depth=1
	s_delay_alu instid0(SALU_CYCLE_1) | instskip(SKIP_2) | instid1(VALU_DEP_1)
	s_or_b32 exec_lo, exec_lo, s28
	v_lshrrev_b16 v2, 8, v2
	s_mov_b32 s28, exec_lo
	v_cmpx_ne_u16_e32 0, v2
	s_cbranch_execz .LBB245_57
; %bb.50:                               ;   in Loop: Header=BB245_9 Depth=1
	v_bfrev_b32_e32 v22, 1
	s_mov_b32 s29, exec_lo
	v_cmpx_ne_u16_e32 0x80, v2
	s_cbranch_execz .LBB245_56
; %bb.51:                               ;   in Loop: Header=BB245_9 Depth=1
	v_and_b32_e32 v24, 0xffff, v2
	v_mov_b32_e32 v22, 0x7c010000
	s_mov_b32 s30, exec_lo
	s_delay_alu instid0(VALU_DEP_2) | instskip(NEXT) | instid1(VALU_DEP_1)
	v_and_b32_e32 v27, 0x7f, v24
	v_cmpx_ne_u32_e32 0x7f, v27
	s_cbranch_execz .LBB245_55
; %bb.52:                               ;   in Loop: Header=BB245_9 Depth=1
	v_dual_lshrrev_b32 v25, 3, v27 :: v_dual_bitop2_b32 v22, 7, v24 bitop3:0x40
	s_mov_b32 s31, exec_lo
	v_cmpx_gt_u32_e32 8, v27
; %bb.53:                               ;   in Loop: Header=BB245_9 Depth=1
	s_delay_alu instid0(VALU_DEP_2) | instskip(NEXT) | instid1(VALU_DEP_1)
	v_clz_i32_u32_e32 v22, v22
	v_min_u32_e32 v22, 32, v22
	s_delay_alu instid0(VALU_DEP_1) | instskip(NEXT) | instid1(VALU_DEP_1)
	v_subrev_nc_u32_e32 v25, 28, v22
	v_lshlrev_b64_e32 v[28:29], v25, v[2:3]
	s_delay_alu instid0(VALU_DEP_1)
	v_dual_sub_nc_u32 v25, 29, v22 :: v_dual_bitop2_b32 v22, 7, v28 bitop3:0x40
; %bb.54:                               ;   in Loop: Header=BB245_9 Depth=1
	s_or_b32 exec_lo, exec_lo, s31
	s_delay_alu instid0(VALU_DEP_1) | instskip(NEXT) | instid1(VALU_DEP_2)
	v_dual_lshlrev_b32 v2, 8, v24 :: v_dual_lshlrev_b32 v22, 23, v22
	v_lshl_add_u32 v24, v25, 10, 0x2000
	s_delay_alu instid0(VALU_DEP_1) | instskip(NEXT) | instid1(VALU_DEP_1)
	v_and_or_b32 v2, 0x8000, v2, v24
	v_lshl_or_b32 v22, v2, 16, v22
.LBB245_55:                             ;   in Loop: Header=BB245_9 Depth=1
	s_or_b32 exec_lo, exec_lo, s30
.LBB245_56:                             ;   in Loop: Header=BB245_9 Depth=1
	s_delay_alu instid0(SALU_CYCLE_1)
	s_or_b32 exec_lo, exec_lo, s29
.LBB245_57:                             ;   in Loop: Header=BB245_9 Depth=1
	s_delay_alu instid0(SALU_CYCLE_1)
	s_or_b32 exec_lo, exec_lo, s28
	global_load_u16 v2, v[8:9], off offset:136
	v_mov_b32_e32 v24, 0
	s_wait_loadcnt 0x0
	v_and_b32_e32 v25, 0xff, v2
	v_and_b32_e32 v2, 0xffff, v2
	s_delay_alu instid0(VALU_DEP_2)
	v_cmp_ne_u16_e64 s4, 0, v25
	v_mov_b32_e32 v25, 0
	s_and_saveexec_b32 s28, s4
	s_cbranch_execz .LBB245_65
; %bb.58:                               ;   in Loop: Header=BB245_9 Depth=1
	v_and_b32_e32 v25, 0xff, v2
	s_delay_alu instid0(VALU_DEP_1)
	v_cmp_ne_u16_e64 s4, 0x80, v25
	v_mov_b32_e32 v25, 0x8000
	s_and_saveexec_b32 s29, s4
	s_cbranch_execz .LBB245_64
; %bb.59:                               ;   in Loop: Header=BB245_9 Depth=1
	v_and_b32_e32 v28, 0x7f, v2
	v_mov_b32_e32 v25, 0x7c01
	s_mov_b32 s30, exec_lo
	s_delay_alu instid0(VALU_DEP_2)
	v_cmpx_ne_u32_e32 0x7f, v28
	s_cbranch_execz .LBB245_63
; %bb.60:                               ;   in Loop: Header=BB245_9 Depth=1
	v_dual_lshrrev_b32 v27, 3, v28 :: v_dual_bitop2_b32 v25, 7, v2 bitop3:0x40
	s_mov_b32 s31, exec_lo
	v_cmpx_gt_u32_e32 8, v28
; %bb.61:                               ;   in Loop: Header=BB245_9 Depth=1
	s_delay_alu instid0(VALU_DEP_2) | instskip(NEXT) | instid1(VALU_DEP_1)
	v_clz_i32_u32_e32 v25, v25
	v_min_u32_e32 v25, 32, v25
	s_delay_alu instid0(VALU_DEP_1) | instskip(NEXT) | instid1(VALU_DEP_1)
	v_subrev_nc_u32_e32 v27, 28, v25
	v_lshlrev_b64_e32 v[28:29], v27, v[2:3]
	s_delay_alu instid0(VALU_DEP_1)
	v_dual_sub_nc_u32 v27, 29, v25 :: v_dual_bitop2_b32 v25, 7, v28 bitop3:0x40
; %bb.62:                               ;   in Loop: Header=BB245_9 Depth=1
	s_or_b32 exec_lo, exec_lo, s31
	s_delay_alu instid0(VALU_DEP_1) | instskip(NEXT) | instid1(VALU_DEP_2)
	v_dual_lshlrev_b32 v28, 8, v2 :: v_dual_lshlrev_b32 v25, 7, v25
	v_lshl_add_u32 v27, v27, 10, 0x2000
	s_delay_alu instid0(VALU_DEP_2) | instskip(NEXT) | instid1(VALU_DEP_2)
	v_and_b32_e32 v28, 0x8000, v28
	v_and_b32_e32 v27, 0xfc00, v27
	s_delay_alu instid0(VALU_DEP_1)
	v_or3_b32 v25, v28, v27, v25
.LBB245_63:                             ;   in Loop: Header=BB245_9 Depth=1
	s_or_b32 exec_lo, exec_lo, s30
.LBB245_64:                             ;   in Loop: Header=BB245_9 Depth=1
	s_delay_alu instid0(SALU_CYCLE_1)
	s_or_b32 exec_lo, exec_lo, s29
.LBB245_65:                             ;   in Loop: Header=BB245_9 Depth=1
	s_delay_alu instid0(SALU_CYCLE_1) | instskip(SKIP_2) | instid1(VALU_DEP_1)
	s_or_b32 exec_lo, exec_lo, s28
	v_lshrrev_b16 v2, 8, v2
	s_mov_b32 s28, exec_lo
	v_cmpx_ne_u16_e32 0, v2
	s_cbranch_execz .LBB245_73
; %bb.66:                               ;   in Loop: Header=BB245_9 Depth=1
	v_bfrev_b32_e32 v24, 1
	s_mov_b32 s29, exec_lo
	v_cmpx_ne_u16_e32 0x80, v2
	s_cbranch_execz .LBB245_72
; %bb.67:                               ;   in Loop: Header=BB245_9 Depth=1
	v_and_b32_e32 v27, 0xffff, v2
	v_mov_b32_e32 v24, 0x7c010000
	s_mov_b32 s30, exec_lo
	s_delay_alu instid0(VALU_DEP_2) | instskip(NEXT) | instid1(VALU_DEP_1)
	v_and_b32_e32 v29, 0x7f, v27
	v_cmpx_ne_u32_e32 0x7f, v29
	s_cbranch_execz .LBB245_71
; %bb.68:                               ;   in Loop: Header=BB245_9 Depth=1
	v_dual_lshrrev_b32 v28, 3, v29 :: v_dual_bitop2_b32 v24, 7, v27 bitop3:0x40
	s_mov_b32 s31, exec_lo
	v_cmpx_gt_u32_e32 8, v29
; %bb.69:                               ;   in Loop: Header=BB245_9 Depth=1
	s_delay_alu instid0(VALU_DEP_2) | instskip(NEXT) | instid1(VALU_DEP_1)
	v_clz_i32_u32_e32 v24, v24
	v_min_u32_e32 v24, 32, v24
	s_delay_alu instid0(VALU_DEP_1) | instskip(NEXT) | instid1(VALU_DEP_1)
	v_subrev_nc_u32_e32 v28, 28, v24
	v_lshlrev_b64_e32 v[30:31], v28, v[2:3]
	s_delay_alu instid0(VALU_DEP_1)
	v_dual_sub_nc_u32 v28, 29, v24 :: v_dual_bitop2_b32 v24, 7, v30 bitop3:0x40
; %bb.70:                               ;   in Loop: Header=BB245_9 Depth=1
	s_or_b32 exec_lo, exec_lo, s31
	s_delay_alu instid0(VALU_DEP_1) | instskip(NEXT) | instid1(VALU_DEP_2)
	v_dual_lshlrev_b32 v2, 8, v27 :: v_dual_lshlrev_b32 v24, 23, v24
	v_lshl_add_u32 v27, v28, 10, 0x2000
	s_delay_alu instid0(VALU_DEP_1) | instskip(NEXT) | instid1(VALU_DEP_1)
	v_and_or_b32 v2, 0x8000, v2, v27
	v_lshl_or_b32 v24, v2, 16, v24
.LBB245_71:                             ;   in Loop: Header=BB245_9 Depth=1
	s_or_b32 exec_lo, exec_lo, s30
.LBB245_72:                             ;   in Loop: Header=BB245_9 Depth=1
	s_delay_alu instid0(SALU_CYCLE_1)
	s_or_b32 exec_lo, exec_lo, s29
.LBB245_73:                             ;   in Loop: Header=BB245_9 Depth=1
	s_delay_alu instid0(SALU_CYCLE_1)
	s_or_b32 exec_lo, exec_lo, s28
	global_load_u16 v2, v[8:9], off offset:256
	v_mov_b32_e32 v27, 0
	s_wait_loadcnt 0x0
	v_and_b32_e32 v28, 0xff, v2
	v_and_b32_e32 v2, 0xffff, v2
	s_delay_alu instid0(VALU_DEP_2)
	v_cmp_ne_u16_e64 s4, 0, v28
	v_mov_b32_e32 v28, 0
	s_and_saveexec_b32 s28, s4
	s_cbranch_execz .LBB245_81
; %bb.74:                               ;   in Loop: Header=BB245_9 Depth=1
	v_and_b32_e32 v28, 0xff, v2
	s_delay_alu instid0(VALU_DEP_1)
	v_cmp_ne_u16_e64 s4, 0x80, v28
	v_mov_b32_e32 v28, 0x8000
	s_and_saveexec_b32 s29, s4
	s_cbranch_execz .LBB245_80
; %bb.75:                               ;   in Loop: Header=BB245_9 Depth=1
	v_and_b32_e32 v30, 0x7f, v2
	v_mov_b32_e32 v28, 0x7c01
	s_mov_b32 s30, exec_lo
	s_delay_alu instid0(VALU_DEP_2)
	v_cmpx_ne_u32_e32 0x7f, v30
	s_cbranch_execz .LBB245_79
; %bb.76:                               ;   in Loop: Header=BB245_9 Depth=1
	v_and_b32_e32 v28, 7, v2
	v_lshrrev_b32_e32 v29, 3, v30
	s_mov_b32 s31, exec_lo
	v_cmpx_gt_u32_e32 8, v30
; %bb.77:                               ;   in Loop: Header=BB245_9 Depth=1
	s_delay_alu instid0(VALU_DEP_3) | instskip(NEXT) | instid1(VALU_DEP_1)
	v_clz_i32_u32_e32 v28, v28
	v_min_u32_e32 v30, 32, v28
	s_delay_alu instid0(VALU_DEP_1) | instskip(NEXT) | instid1(VALU_DEP_1)
	v_subrev_nc_u32_e32 v28, 28, v30
	v_lshlrev_b64_e32 v[28:29], v28, v[2:3]
	s_delay_alu instid0(VALU_DEP_1)
	v_dual_sub_nc_u32 v29, 29, v30 :: v_dual_bitop2_b32 v28, 7, v28 bitop3:0x40
; %bb.78:                               ;   in Loop: Header=BB245_9 Depth=1
	s_or_b32 exec_lo, exec_lo, s31
	s_delay_alu instid0(VALU_DEP_1) | instskip(NEXT) | instid1(VALU_DEP_2)
	v_dual_lshlrev_b32 v30, 8, v2 :: v_dual_lshlrev_b32 v28, 7, v28
	v_lshl_add_u32 v29, v29, 10, 0x2000
	s_delay_alu instid0(VALU_DEP_2) | instskip(NEXT) | instid1(VALU_DEP_2)
	v_and_b32_e32 v30, 0x8000, v30
	v_and_b32_e32 v29, 0xfc00, v29
	s_delay_alu instid0(VALU_DEP_1)
	v_or3_b32 v28, v30, v29, v28
.LBB245_79:                             ;   in Loop: Header=BB245_9 Depth=1
	s_or_b32 exec_lo, exec_lo, s30
.LBB245_80:                             ;   in Loop: Header=BB245_9 Depth=1
	s_delay_alu instid0(SALU_CYCLE_1)
	s_or_b32 exec_lo, exec_lo, s29
.LBB245_81:                             ;   in Loop: Header=BB245_9 Depth=1
	s_delay_alu instid0(SALU_CYCLE_1) | instskip(SKIP_2) | instid1(VALU_DEP_1)
	s_or_b32 exec_lo, exec_lo, s28
	v_lshrrev_b16 v2, 8, v2
	s_mov_b32 s28, exec_lo
	v_cmpx_ne_u16_e32 0, v2
	s_cbranch_execz .LBB245_89
; %bb.82:                               ;   in Loop: Header=BB245_9 Depth=1
	v_bfrev_b32_e32 v27, 1
	s_mov_b32 s29, exec_lo
	v_cmpx_ne_u16_e32 0x80, v2
	s_cbranch_execz .LBB245_88
; %bb.83:                               ;   in Loop: Header=BB245_9 Depth=1
	v_and_b32_e32 v29, 0xffff, v2
	v_mov_b32_e32 v27, 0x7c010000
	s_mov_b32 s30, exec_lo
	s_delay_alu instid0(VALU_DEP_2) | instskip(NEXT) | instid1(VALU_DEP_1)
	v_and_b32_e32 v31, 0x7f, v29
	v_cmpx_ne_u32_e32 0x7f, v31
	s_cbranch_execz .LBB245_87
; %bb.84:                               ;   in Loop: Header=BB245_9 Depth=1
	v_dual_lshrrev_b32 v30, 3, v31 :: v_dual_bitop2_b32 v27, 7, v29 bitop3:0x40
	s_mov_b32 s31, exec_lo
	v_cmpx_gt_u32_e32 8, v31
; %bb.85:                               ;   in Loop: Header=BB245_9 Depth=1
	s_delay_alu instid0(VALU_DEP_2) | instskip(NEXT) | instid1(VALU_DEP_1)
	v_clz_i32_u32_e32 v27, v27
	v_min_u32_e32 v27, 32, v27
	s_delay_alu instid0(VALU_DEP_1) | instskip(NEXT) | instid1(VALU_DEP_1)
	v_subrev_nc_u32_e32 v30, 28, v27
	v_lshlrev_b64_e32 v[32:33], v30, v[2:3]
	s_delay_alu instid0(VALU_DEP_1)
	v_dual_sub_nc_u32 v30, 29, v27 :: v_dual_bitop2_b32 v27, 7, v32 bitop3:0x40
; %bb.86:                               ;   in Loop: Header=BB245_9 Depth=1
	s_or_b32 exec_lo, exec_lo, s31
	s_delay_alu instid0(VALU_DEP_1) | instskip(NEXT) | instid1(VALU_DEP_2)
	v_dual_lshlrev_b32 v2, 8, v29 :: v_dual_lshlrev_b32 v27, 23, v27
	v_lshl_add_u32 v29, v30, 10, 0x2000
	s_delay_alu instid0(VALU_DEP_1) | instskip(NEXT) | instid1(VALU_DEP_1)
	v_and_or_b32 v2, 0x8000, v2, v29
	v_lshl_or_b32 v27, v2, 16, v27
.LBB245_87:                             ;   in Loop: Header=BB245_9 Depth=1
	s_or_b32 exec_lo, exec_lo, s30
.LBB245_88:                             ;   in Loop: Header=BB245_9 Depth=1
	s_delay_alu instid0(SALU_CYCLE_1)
	s_or_b32 exec_lo, exec_lo, s29
.LBB245_89:                             ;   in Loop: Header=BB245_9 Depth=1
	s_delay_alu instid0(SALU_CYCLE_1)
	s_or_b32 exec_lo, exec_lo, s28
	global_load_u16 v2, v[8:9], off offset:264
	v_mov_b32_e32 v29, 0
	s_wait_loadcnt 0x0
	v_and_b32_e32 v30, 0xff, v2
	v_and_b32_e32 v2, 0xffff, v2
	s_delay_alu instid0(VALU_DEP_2)
	v_cmp_ne_u16_e64 s4, 0, v30
	v_mov_b32_e32 v30, 0
	s_and_saveexec_b32 s28, s4
	s_cbranch_execz .LBB245_97
; %bb.90:                               ;   in Loop: Header=BB245_9 Depth=1
	v_and_b32_e32 v30, 0xff, v2
	s_delay_alu instid0(VALU_DEP_1)
	v_cmp_ne_u16_e64 s4, 0x80, v30
	v_mov_b32_e32 v30, 0x8000
	s_and_saveexec_b32 s29, s4
	s_cbranch_execz .LBB245_96
; %bb.91:                               ;   in Loop: Header=BB245_9 Depth=1
	v_and_b32_e32 v32, 0x7f, v2
	v_mov_b32_e32 v30, 0x7c01
	s_mov_b32 s30, exec_lo
	s_delay_alu instid0(VALU_DEP_2)
	v_cmpx_ne_u32_e32 0x7f, v32
	s_cbranch_execz .LBB245_95
; %bb.92:                               ;   in Loop: Header=BB245_9 Depth=1
	v_dual_lshrrev_b32 v31, 3, v32 :: v_dual_bitop2_b32 v30, 7, v2 bitop3:0x40
	s_mov_b32 s31, exec_lo
	v_cmpx_gt_u32_e32 8, v32
; %bb.93:                               ;   in Loop: Header=BB245_9 Depth=1
	s_delay_alu instid0(VALU_DEP_2) | instskip(NEXT) | instid1(VALU_DEP_1)
	v_clz_i32_u32_e32 v30, v30
	v_min_u32_e32 v32, 32, v30
	s_delay_alu instid0(VALU_DEP_1) | instskip(NEXT) | instid1(VALU_DEP_1)
	v_subrev_nc_u32_e32 v30, 28, v32
	v_lshlrev_b64_e32 v[30:31], v30, v[2:3]
	s_delay_alu instid0(VALU_DEP_1)
	v_dual_sub_nc_u32 v31, 29, v32 :: v_dual_bitop2_b32 v30, 7, v30 bitop3:0x40
; %bb.94:                               ;   in Loop: Header=BB245_9 Depth=1
	s_or_b32 exec_lo, exec_lo, s31
	v_lshlrev_b32_e32 v32, 8, v2
	s_delay_alu instid0(VALU_DEP_2) | instskip(NEXT) | instid1(VALU_DEP_3)
	v_lshl_add_u32 v31, v31, 10, 0x2000
	v_lshlrev_b32_e32 v30, 7, v30
	s_delay_alu instid0(VALU_DEP_3) | instskip(NEXT) | instid1(VALU_DEP_3)
	v_and_b32_e32 v32, 0x8000, v32
	v_and_b32_e32 v31, 0xfc00, v31
	s_delay_alu instid0(VALU_DEP_1)
	v_or3_b32 v30, v32, v31, v30
.LBB245_95:                             ;   in Loop: Header=BB245_9 Depth=1
	s_or_b32 exec_lo, exec_lo, s30
.LBB245_96:                             ;   in Loop: Header=BB245_9 Depth=1
	s_delay_alu instid0(SALU_CYCLE_1)
	s_or_b32 exec_lo, exec_lo, s29
.LBB245_97:                             ;   in Loop: Header=BB245_9 Depth=1
	s_delay_alu instid0(SALU_CYCLE_1) | instskip(SKIP_2) | instid1(VALU_DEP_1)
	s_or_b32 exec_lo, exec_lo, s28
	v_lshrrev_b16 v2, 8, v2
	s_mov_b32 s28, exec_lo
	v_cmpx_ne_u16_e32 0, v2
	s_cbranch_execz .LBB245_105
; %bb.98:                               ;   in Loop: Header=BB245_9 Depth=1
	v_bfrev_b32_e32 v29, 1
	s_mov_b32 s29, exec_lo
	v_cmpx_ne_u16_e32 0x80, v2
	s_cbranch_execz .LBB245_104
; %bb.99:                               ;   in Loop: Header=BB245_9 Depth=1
	v_and_b32_e32 v31, 0xffff, v2
	v_mov_b32_e32 v29, 0x7c010000
	s_mov_b32 s30, exec_lo
	s_delay_alu instid0(VALU_DEP_2) | instskip(NEXT) | instid1(VALU_DEP_1)
	v_and_b32_e32 v33, 0x7f, v31
	v_cmpx_ne_u32_e32 0x7f, v33
	s_cbranch_execz .LBB245_103
; %bb.100:                              ;   in Loop: Header=BB245_9 Depth=1
	v_dual_lshrrev_b32 v32, 3, v33 :: v_dual_bitop2_b32 v29, 7, v31 bitop3:0x40
	s_mov_b32 s31, exec_lo
	v_cmpx_gt_u32_e32 8, v33
; %bb.101:                              ;   in Loop: Header=BB245_9 Depth=1
	s_delay_alu instid0(VALU_DEP_2) | instskip(NEXT) | instid1(VALU_DEP_1)
	v_clz_i32_u32_e32 v29, v29
	v_min_u32_e32 v29, 32, v29
	s_delay_alu instid0(VALU_DEP_1) | instskip(NEXT) | instid1(VALU_DEP_1)
	v_subrev_nc_u32_e32 v32, 28, v29
	v_lshlrev_b64_e32 v[34:35], v32, v[2:3]
	s_delay_alu instid0(VALU_DEP_1)
	v_dual_sub_nc_u32 v32, 29, v29 :: v_dual_bitop2_b32 v29, 7, v34 bitop3:0x40
; %bb.102:                              ;   in Loop: Header=BB245_9 Depth=1
	s_or_b32 exec_lo, exec_lo, s31
	s_delay_alu instid0(VALU_DEP_1) | instskip(NEXT) | instid1(VALU_DEP_2)
	v_dual_lshlrev_b32 v2, 8, v31 :: v_dual_lshlrev_b32 v29, 23, v29
	v_lshl_add_u32 v31, v32, 10, 0x2000
	s_delay_alu instid0(VALU_DEP_1) | instskip(NEXT) | instid1(VALU_DEP_1)
	v_and_or_b32 v2, 0x8000, v2, v31
	v_lshl_or_b32 v29, v2, 16, v29
.LBB245_103:                            ;   in Loop: Header=BB245_9 Depth=1
	s_or_b32 exec_lo, exec_lo, s30
.LBB245_104:                            ;   in Loop: Header=BB245_9 Depth=1
	s_delay_alu instid0(SALU_CYCLE_1)
	s_or_b32 exec_lo, exec_lo, s29
.LBB245_105:                            ;   in Loop: Header=BB245_9 Depth=1
	s_delay_alu instid0(SALU_CYCLE_1)
	s_or_b32 exec_lo, exec_lo, s28
	global_load_u16 v2, v[8:9], off offset:384
	v_mov_b32_e32 v31, 0
	s_wait_loadcnt 0x0
	v_and_b32_e32 v32, 0xff, v2
	v_and_b32_e32 v2, 0xffff, v2
	s_delay_alu instid0(VALU_DEP_2)
	v_cmp_ne_u16_e64 s4, 0, v32
	v_mov_b32_e32 v32, 0
	s_and_saveexec_b32 s28, s4
	s_cbranch_execz .LBB245_113
; %bb.106:                              ;   in Loop: Header=BB245_9 Depth=1
	v_and_b32_e32 v32, 0xff, v2
	s_delay_alu instid0(VALU_DEP_1)
	v_cmp_ne_u16_e64 s4, 0x80, v32
	v_mov_b32_e32 v32, 0x8000
	s_and_saveexec_b32 s29, s4
	s_cbranch_execz .LBB245_112
; %bb.107:                              ;   in Loop: Header=BB245_9 Depth=1
	v_and_b32_e32 v34, 0x7f, v2
	v_mov_b32_e32 v32, 0x7c01
	s_mov_b32 s30, exec_lo
	s_delay_alu instid0(VALU_DEP_2)
	v_cmpx_ne_u32_e32 0x7f, v34
	s_cbranch_execz .LBB245_111
; %bb.108:                              ;   in Loop: Header=BB245_9 Depth=1
	v_and_b32_e32 v32, 7, v2
	v_lshrrev_b32_e32 v33, 3, v34
	s_mov_b32 s31, exec_lo
	v_cmpx_gt_u32_e32 8, v34
; %bb.109:                              ;   in Loop: Header=BB245_9 Depth=1
	s_delay_alu instid0(VALU_DEP_3) | instskip(NEXT) | instid1(VALU_DEP_1)
	v_clz_i32_u32_e32 v32, v32
	v_min_u32_e32 v34, 32, v32
	s_delay_alu instid0(VALU_DEP_1) | instskip(NEXT) | instid1(VALU_DEP_1)
	v_subrev_nc_u32_e32 v32, 28, v34
	v_lshlrev_b64_e32 v[32:33], v32, v[2:3]
	s_delay_alu instid0(VALU_DEP_1)
	v_dual_sub_nc_u32 v33, 29, v34 :: v_dual_bitop2_b32 v32, 7, v32 bitop3:0x40
; %bb.110:                              ;   in Loop: Header=BB245_9 Depth=1
	s_or_b32 exec_lo, exec_lo, s31
	s_delay_alu instid0(VALU_DEP_1) | instskip(NEXT) | instid1(VALU_DEP_2)
	v_dual_lshlrev_b32 v34, 8, v2 :: v_dual_lshlrev_b32 v32, 7, v32
	v_lshl_add_u32 v33, v33, 10, 0x2000
	s_delay_alu instid0(VALU_DEP_2) | instskip(NEXT) | instid1(VALU_DEP_2)
	v_and_b32_e32 v34, 0x8000, v34
	v_and_b32_e32 v33, 0xfc00, v33
	s_delay_alu instid0(VALU_DEP_1)
	v_or3_b32 v32, v34, v33, v32
.LBB245_111:                            ;   in Loop: Header=BB245_9 Depth=1
	s_or_b32 exec_lo, exec_lo, s30
.LBB245_112:                            ;   in Loop: Header=BB245_9 Depth=1
	s_delay_alu instid0(SALU_CYCLE_1)
	s_or_b32 exec_lo, exec_lo, s29
.LBB245_113:                            ;   in Loop: Header=BB245_9 Depth=1
	s_delay_alu instid0(SALU_CYCLE_1) | instskip(SKIP_2) | instid1(VALU_DEP_1)
	s_or_b32 exec_lo, exec_lo, s28
	v_lshrrev_b16 v2, 8, v2
	s_mov_b32 s28, exec_lo
	v_cmpx_ne_u16_e32 0, v2
	s_cbranch_execz .LBB245_121
; %bb.114:                              ;   in Loop: Header=BB245_9 Depth=1
	v_bfrev_b32_e32 v31, 1
	s_mov_b32 s29, exec_lo
	v_cmpx_ne_u16_e32 0x80, v2
	s_cbranch_execz .LBB245_120
; %bb.115:                              ;   in Loop: Header=BB245_9 Depth=1
	v_and_b32_e32 v33, 0xffff, v2
	v_mov_b32_e32 v31, 0x7c010000
	s_mov_b32 s30, exec_lo
	s_delay_alu instid0(VALU_DEP_2) | instskip(NEXT) | instid1(VALU_DEP_1)
	v_and_b32_e32 v35, 0x7f, v33
	v_cmpx_ne_u32_e32 0x7f, v35
	s_cbranch_execz .LBB245_119
; %bb.116:                              ;   in Loop: Header=BB245_9 Depth=1
	v_dual_lshrrev_b32 v34, 3, v35 :: v_dual_bitop2_b32 v31, 7, v33 bitop3:0x40
	s_mov_b32 s31, exec_lo
	v_cmpx_gt_u32_e32 8, v35
; %bb.117:                              ;   in Loop: Header=BB245_9 Depth=1
	s_delay_alu instid0(VALU_DEP_2) | instskip(NEXT) | instid1(VALU_DEP_1)
	v_clz_i32_u32_e32 v31, v31
	v_min_u32_e32 v31, 32, v31
	s_delay_alu instid0(VALU_DEP_1) | instskip(NEXT) | instid1(VALU_DEP_1)
	v_subrev_nc_u32_e32 v34, 28, v31
	v_lshlrev_b64_e32 v[36:37], v34, v[2:3]
	s_delay_alu instid0(VALU_DEP_1)
	v_dual_sub_nc_u32 v34, 29, v31 :: v_dual_bitop2_b32 v31, 7, v36 bitop3:0x40
; %bb.118:                              ;   in Loop: Header=BB245_9 Depth=1
	s_or_b32 exec_lo, exec_lo, s31
	s_delay_alu instid0(VALU_DEP_1) | instskip(NEXT) | instid1(VALU_DEP_2)
	v_dual_lshlrev_b32 v2, 8, v33 :: v_dual_lshlrev_b32 v31, 23, v31
	v_lshl_add_u32 v33, v34, 10, 0x2000
	s_delay_alu instid0(VALU_DEP_1) | instskip(NEXT) | instid1(VALU_DEP_1)
	v_and_or_b32 v2, 0x8000, v2, v33
	v_lshl_or_b32 v31, v2, 16, v31
.LBB245_119:                            ;   in Loop: Header=BB245_9 Depth=1
	s_or_b32 exec_lo, exec_lo, s30
.LBB245_120:                            ;   in Loop: Header=BB245_9 Depth=1
	s_delay_alu instid0(SALU_CYCLE_1)
	s_or_b32 exec_lo, exec_lo, s29
.LBB245_121:                            ;   in Loop: Header=BB245_9 Depth=1
	s_delay_alu instid0(SALU_CYCLE_1)
	s_or_b32 exec_lo, exec_lo, s28
	global_load_u16 v2, v[8:9], off offset:392
	v_mov_b32_e32 v33, 0
	s_wait_loadcnt 0x0
	v_and_b32_e32 v34, 0xff, v2
	v_and_b32_e32 v2, 0xffff, v2
	s_delay_alu instid0(VALU_DEP_2)
	v_cmp_ne_u16_e64 s4, 0, v34
	v_mov_b32_e32 v34, 0
	s_and_saveexec_b32 s28, s4
	s_cbranch_execz .LBB245_129
; %bb.122:                              ;   in Loop: Header=BB245_9 Depth=1
	v_and_b32_e32 v34, 0xff, v2
	s_delay_alu instid0(VALU_DEP_1)
	v_cmp_ne_u16_e64 s4, 0x80, v34
	v_mov_b32_e32 v34, 0x8000
	s_and_saveexec_b32 s29, s4
	s_cbranch_execz .LBB245_128
; %bb.123:                              ;   in Loop: Header=BB245_9 Depth=1
	v_and_b32_e32 v36, 0x7f, v2
	v_mov_b32_e32 v34, 0x7c01
	s_mov_b32 s30, exec_lo
	s_delay_alu instid0(VALU_DEP_2)
	v_cmpx_ne_u32_e32 0x7f, v36
	s_cbranch_execz .LBB245_127
; %bb.124:                              ;   in Loop: Header=BB245_9 Depth=1
	v_dual_lshrrev_b32 v35, 3, v36 :: v_dual_bitop2_b32 v34, 7, v2 bitop3:0x40
	s_mov_b32 s31, exec_lo
	v_cmpx_gt_u32_e32 8, v36
; %bb.125:                              ;   in Loop: Header=BB245_9 Depth=1
	s_delay_alu instid0(VALU_DEP_2) | instskip(NEXT) | instid1(VALU_DEP_1)
	v_clz_i32_u32_e32 v34, v34
	v_min_u32_e32 v36, 32, v34
	s_delay_alu instid0(VALU_DEP_1) | instskip(NEXT) | instid1(VALU_DEP_1)
	v_subrev_nc_u32_e32 v34, 28, v36
	v_lshlrev_b64_e32 v[34:35], v34, v[2:3]
	s_delay_alu instid0(VALU_DEP_1)
	v_dual_sub_nc_u32 v35, 29, v36 :: v_dual_bitop2_b32 v34, 7, v34 bitop3:0x40
; %bb.126:                              ;   in Loop: Header=BB245_9 Depth=1
	s_or_b32 exec_lo, exec_lo, s31
	v_lshlrev_b32_e32 v36, 8, v2
	s_delay_alu instid0(VALU_DEP_2) | instskip(NEXT) | instid1(VALU_DEP_3)
	v_lshl_add_u32 v35, v35, 10, 0x2000
	v_lshlrev_b32_e32 v34, 7, v34
	s_delay_alu instid0(VALU_DEP_3) | instskip(NEXT) | instid1(VALU_DEP_3)
	v_and_b32_e32 v36, 0x8000, v36
	v_and_b32_e32 v35, 0xfc00, v35
	s_delay_alu instid0(VALU_DEP_1)
	v_or3_b32 v34, v36, v35, v34
.LBB245_127:                            ;   in Loop: Header=BB245_9 Depth=1
	s_or_b32 exec_lo, exec_lo, s30
.LBB245_128:                            ;   in Loop: Header=BB245_9 Depth=1
	s_delay_alu instid0(SALU_CYCLE_1)
	s_or_b32 exec_lo, exec_lo, s29
.LBB245_129:                            ;   in Loop: Header=BB245_9 Depth=1
	s_delay_alu instid0(SALU_CYCLE_1) | instskip(SKIP_2) | instid1(VALU_DEP_1)
	s_or_b32 exec_lo, exec_lo, s28
	v_lshrrev_b16 v2, 8, v2
	s_mov_b32 s28, exec_lo
	v_cmpx_ne_u16_e32 0, v2
	s_cbranch_execz .LBB245_137
; %bb.130:                              ;   in Loop: Header=BB245_9 Depth=1
	v_bfrev_b32_e32 v33, 1
	s_mov_b32 s29, exec_lo
	v_cmpx_ne_u16_e32 0x80, v2
	s_cbranch_execz .LBB245_136
; %bb.131:                              ;   in Loop: Header=BB245_9 Depth=1
	v_and_b32_e32 v35, 0xffff, v2
	v_mov_b32_e32 v33, 0x7c010000
	s_mov_b32 s30, exec_lo
	s_delay_alu instid0(VALU_DEP_2) | instskip(NEXT) | instid1(VALU_DEP_1)
	v_and_b32_e32 v37, 0x7f, v35
	v_cmpx_ne_u32_e32 0x7f, v37
	s_cbranch_execz .LBB245_135
; %bb.132:                              ;   in Loop: Header=BB245_9 Depth=1
	v_dual_lshrrev_b32 v36, 3, v37 :: v_dual_bitop2_b32 v33, 7, v35 bitop3:0x40
	s_mov_b32 s31, exec_lo
	v_cmpx_gt_u32_e32 8, v37
; %bb.133:                              ;   in Loop: Header=BB245_9 Depth=1
	s_delay_alu instid0(VALU_DEP_2) | instskip(NEXT) | instid1(VALU_DEP_1)
	v_clz_i32_u32_e32 v33, v33
	v_min_u32_e32 v33, 32, v33
	s_delay_alu instid0(VALU_DEP_1) | instskip(NEXT) | instid1(VALU_DEP_1)
	v_subrev_nc_u32_e32 v36, 28, v33
	v_lshlrev_b64_e32 v[38:39], v36, v[2:3]
	s_delay_alu instid0(VALU_DEP_1)
	v_dual_sub_nc_u32 v36, 29, v33 :: v_dual_bitop2_b32 v33, 7, v38 bitop3:0x40
; %bb.134:                              ;   in Loop: Header=BB245_9 Depth=1
	s_or_b32 exec_lo, exec_lo, s31
	s_delay_alu instid0(VALU_DEP_1) | instskip(NEXT) | instid1(VALU_DEP_2)
	v_dual_lshlrev_b32 v2, 8, v35 :: v_dual_lshlrev_b32 v33, 23, v33
	v_lshl_add_u32 v35, v36, 10, 0x2000
	s_delay_alu instid0(VALU_DEP_1) | instskip(NEXT) | instid1(VALU_DEP_1)
	v_and_or_b32 v2, 0x8000, v2, v35
	v_lshl_or_b32 v33, v2, 16, v33
.LBB245_135:                            ;   in Loop: Header=BB245_9 Depth=1
	s_or_b32 exec_lo, exec_lo, s30
.LBB245_136:                            ;   in Loop: Header=BB245_9 Depth=1
	s_delay_alu instid0(SALU_CYCLE_1)
	s_or_b32 exec_lo, exec_lo, s29
.LBB245_137:                            ;   in Loop: Header=BB245_9 Depth=1
	s_delay_alu instid0(SALU_CYCLE_1)
	s_or_b32 exec_lo, exec_lo, s28
	global_load_u16 v2, v[8:9], off offset:512
	v_mov_b32_e32 v35, 0
	s_wait_loadcnt 0x0
	v_and_b32_e32 v36, 0xff, v2
	v_and_b32_e32 v2, 0xffff, v2
	s_delay_alu instid0(VALU_DEP_2)
	v_cmp_ne_u16_e64 s4, 0, v36
	v_mov_b32_e32 v36, 0
	s_and_saveexec_b32 s28, s4
	s_cbranch_execz .LBB245_145
; %bb.138:                              ;   in Loop: Header=BB245_9 Depth=1
	v_and_b32_e32 v36, 0xff, v2
	s_delay_alu instid0(VALU_DEP_1)
	v_cmp_ne_u16_e64 s4, 0x80, v36
	v_mov_b32_e32 v36, 0x8000
	s_and_saveexec_b32 s29, s4
	s_cbranch_execz .LBB245_144
; %bb.139:                              ;   in Loop: Header=BB245_9 Depth=1
	v_and_b32_e32 v38, 0x7f, v2
	v_mov_b32_e32 v36, 0x7c01
	s_mov_b32 s30, exec_lo
	s_delay_alu instid0(VALU_DEP_2)
	v_cmpx_ne_u32_e32 0x7f, v38
	s_cbranch_execz .LBB245_143
; %bb.140:                              ;   in Loop: Header=BB245_9 Depth=1
	v_and_b32_e32 v36, 7, v2
	v_lshrrev_b32_e32 v37, 3, v38
	s_mov_b32 s31, exec_lo
	v_cmpx_gt_u32_e32 8, v38
; %bb.141:                              ;   in Loop: Header=BB245_9 Depth=1
	s_delay_alu instid0(VALU_DEP_3) | instskip(NEXT) | instid1(VALU_DEP_1)
	v_clz_i32_u32_e32 v36, v36
	v_min_u32_e32 v38, 32, v36
	s_delay_alu instid0(VALU_DEP_1) | instskip(NEXT) | instid1(VALU_DEP_1)
	v_subrev_nc_u32_e32 v36, 28, v38
	v_lshlrev_b64_e32 v[36:37], v36, v[2:3]
	s_delay_alu instid0(VALU_DEP_1)
	v_dual_sub_nc_u32 v37, 29, v38 :: v_dual_bitop2_b32 v36, 7, v36 bitop3:0x40
; %bb.142:                              ;   in Loop: Header=BB245_9 Depth=1
	s_or_b32 exec_lo, exec_lo, s31
	s_delay_alu instid0(VALU_DEP_1) | instskip(NEXT) | instid1(VALU_DEP_2)
	v_dual_lshlrev_b32 v38, 8, v2 :: v_dual_lshlrev_b32 v36, 7, v36
	v_lshl_add_u32 v37, v37, 10, 0x2000
	s_delay_alu instid0(VALU_DEP_2) | instskip(NEXT) | instid1(VALU_DEP_2)
	v_and_b32_e32 v38, 0x8000, v38
	v_and_b32_e32 v37, 0xfc00, v37
	s_delay_alu instid0(VALU_DEP_1)
	v_or3_b32 v36, v38, v37, v36
.LBB245_143:                            ;   in Loop: Header=BB245_9 Depth=1
	s_or_b32 exec_lo, exec_lo, s30
.LBB245_144:                            ;   in Loop: Header=BB245_9 Depth=1
	s_delay_alu instid0(SALU_CYCLE_1)
	s_or_b32 exec_lo, exec_lo, s29
.LBB245_145:                            ;   in Loop: Header=BB245_9 Depth=1
	s_delay_alu instid0(SALU_CYCLE_1) | instskip(SKIP_2) | instid1(VALU_DEP_1)
	s_or_b32 exec_lo, exec_lo, s28
	v_lshrrev_b16 v2, 8, v2
	s_mov_b32 s28, exec_lo
	v_cmpx_ne_u16_e32 0, v2
	s_cbranch_execz .LBB245_153
; %bb.146:                              ;   in Loop: Header=BB245_9 Depth=1
	v_bfrev_b32_e32 v35, 1
	s_mov_b32 s29, exec_lo
	v_cmpx_ne_u16_e32 0x80, v2
	s_cbranch_execz .LBB245_152
; %bb.147:                              ;   in Loop: Header=BB245_9 Depth=1
	v_and_b32_e32 v37, 0xffff, v2
	v_mov_b32_e32 v35, 0x7c010000
	s_mov_b32 s30, exec_lo
	s_delay_alu instid0(VALU_DEP_2) | instskip(NEXT) | instid1(VALU_DEP_1)
	v_and_b32_e32 v39, 0x7f, v37
	v_cmpx_ne_u32_e32 0x7f, v39
	s_cbranch_execz .LBB245_151
; %bb.148:                              ;   in Loop: Header=BB245_9 Depth=1
	v_dual_lshrrev_b32 v38, 3, v39 :: v_dual_bitop2_b32 v35, 7, v37 bitop3:0x40
	s_mov_b32 s31, exec_lo
	v_cmpx_gt_u32_e32 8, v39
; %bb.149:                              ;   in Loop: Header=BB245_9 Depth=1
	s_delay_alu instid0(VALU_DEP_2) | instskip(NEXT) | instid1(VALU_DEP_1)
	v_clz_i32_u32_e32 v35, v35
	v_min_u32_e32 v35, 32, v35
	s_delay_alu instid0(VALU_DEP_1) | instskip(NEXT) | instid1(VALU_DEP_1)
	v_subrev_nc_u32_e32 v38, 28, v35
	v_lshlrev_b64_e32 v[40:41], v38, v[2:3]
	s_delay_alu instid0(VALU_DEP_1)
	v_dual_sub_nc_u32 v38, 29, v35 :: v_dual_bitop2_b32 v35, 7, v40 bitop3:0x40
; %bb.150:                              ;   in Loop: Header=BB245_9 Depth=1
	s_or_b32 exec_lo, exec_lo, s31
	s_delay_alu instid0(VALU_DEP_1) | instskip(NEXT) | instid1(VALU_DEP_2)
	v_dual_lshlrev_b32 v2, 8, v37 :: v_dual_lshlrev_b32 v35, 23, v35
	v_lshl_add_u32 v37, v38, 10, 0x2000
	s_delay_alu instid0(VALU_DEP_1) | instskip(NEXT) | instid1(VALU_DEP_1)
	v_and_or_b32 v2, 0x8000, v2, v37
	v_lshl_or_b32 v35, v2, 16, v35
.LBB245_151:                            ;   in Loop: Header=BB245_9 Depth=1
	s_or_b32 exec_lo, exec_lo, s30
.LBB245_152:                            ;   in Loop: Header=BB245_9 Depth=1
	s_delay_alu instid0(SALU_CYCLE_1)
	s_or_b32 exec_lo, exec_lo, s29
.LBB245_153:                            ;   in Loop: Header=BB245_9 Depth=1
	s_delay_alu instid0(SALU_CYCLE_1)
	s_or_b32 exec_lo, exec_lo, s28
	global_load_u16 v2, v[8:9], off offset:520
	s_wait_xcnt 0x0
	v_mov_b32_e32 v8, 0
	s_wait_loadcnt 0x0
	v_and_b32_e32 v9, 0xff, v2
	v_and_b32_e32 v2, 0xffff, v2
	s_delay_alu instid0(VALU_DEP_2)
	v_cmp_ne_u16_e64 s4, 0, v9
	v_mov_b32_e32 v9, 0
	s_and_saveexec_b32 s28, s4
	s_cbranch_execz .LBB245_161
; %bb.154:                              ;   in Loop: Header=BB245_9 Depth=1
	v_and_b32_e32 v9, 0xff, v2
	s_delay_alu instid0(VALU_DEP_1)
	v_cmp_ne_u16_e64 s4, 0x80, v9
	v_mov_b32_e32 v9, 0x8000
	s_and_saveexec_b32 s29, s4
	s_cbranch_execz .LBB245_160
; %bb.155:                              ;   in Loop: Header=BB245_9 Depth=1
	v_and_b32_e32 v38, 0x7f, v2
	v_mov_b32_e32 v9, 0x7c01
	s_mov_b32 s30, exec_lo
	s_delay_alu instid0(VALU_DEP_2)
	v_cmpx_ne_u32_e32 0x7f, v38
	s_cbranch_execz .LBB245_159
; %bb.156:                              ;   in Loop: Header=BB245_9 Depth=1
	v_and_b32_e32 v9, 7, v2
	v_lshrrev_b32_e32 v37, 3, v38
	s_mov_b32 s31, exec_lo
	v_cmpx_gt_u32_e32 8, v38
; %bb.157:                              ;   in Loop: Header=BB245_9 Depth=1
	s_delay_alu instid0(VALU_DEP_3) | instskip(NEXT) | instid1(VALU_DEP_1)
	v_clz_i32_u32_e32 v9, v9
	v_min_u32_e32 v9, 32, v9
	s_delay_alu instid0(VALU_DEP_1) | instskip(NEXT) | instid1(VALU_DEP_1)
	v_subrev_nc_u32_e32 v37, 28, v9
	v_lshlrev_b64_e32 v[38:39], v37, v[2:3]
	s_delay_alu instid0(VALU_DEP_1)
	v_dual_sub_nc_u32 v37, 29, v9 :: v_dual_bitop2_b32 v9, 7, v38 bitop3:0x40
; %bb.158:                              ;   in Loop: Header=BB245_9 Depth=1
	s_or_b32 exec_lo, exec_lo, s31
	s_delay_alu instid0(VALU_DEP_1) | instskip(NEXT) | instid1(VALU_DEP_2)
	v_dual_lshlrev_b32 v38, 8, v2 :: v_dual_lshlrev_b32 v9, 7, v9
	v_lshl_add_u32 v37, v37, 10, 0x2000
	s_delay_alu instid0(VALU_DEP_2) | instskip(NEXT) | instid1(VALU_DEP_2)
	v_and_b32_e32 v38, 0x8000, v38
	v_and_b32_e32 v37, 0xfc00, v37
	s_delay_alu instid0(VALU_DEP_1)
	v_or3_b32 v9, v38, v37, v9
.LBB245_159:                            ;   in Loop: Header=BB245_9 Depth=1
	s_or_b32 exec_lo, exec_lo, s30
.LBB245_160:                            ;   in Loop: Header=BB245_9 Depth=1
	s_delay_alu instid0(SALU_CYCLE_1)
	s_or_b32 exec_lo, exec_lo, s29
.LBB245_161:                            ;   in Loop: Header=BB245_9 Depth=1
	s_delay_alu instid0(SALU_CYCLE_1) | instskip(SKIP_2) | instid1(VALU_DEP_1)
	s_or_b32 exec_lo, exec_lo, s28
	v_lshrrev_b16 v2, 8, v2
	s_mov_b32 s28, exec_lo
	v_cmpx_ne_u16_e32 0, v2
	s_cbranch_execz .LBB245_169
; %bb.162:                              ;   in Loop: Header=BB245_9 Depth=1
	v_bfrev_b32_e32 v8, 1
	s_mov_b32 s29, exec_lo
	v_cmpx_ne_u16_e32 0x80, v2
	s_cbranch_execz .LBB245_168
; %bb.163:                              ;   in Loop: Header=BB245_9 Depth=1
	v_and_b32_e32 v37, 0xffff, v2
	v_mov_b32_e32 v8, 0x7c010000
	s_mov_b32 s30, exec_lo
	s_delay_alu instid0(VALU_DEP_2) | instskip(NEXT) | instid1(VALU_DEP_1)
	v_and_b32_e32 v39, 0x7f, v37
	v_cmpx_ne_u32_e32 0x7f, v39
	s_cbranch_execz .LBB245_167
; %bb.164:                              ;   in Loop: Header=BB245_9 Depth=1
	v_dual_lshrrev_b32 v38, 3, v39 :: v_dual_bitop2_b32 v8, 7, v37 bitop3:0x40
	s_mov_b32 s31, exec_lo
	v_cmpx_gt_u32_e32 8, v39
; %bb.165:                              ;   in Loop: Header=BB245_9 Depth=1
	s_delay_alu instid0(VALU_DEP_2) | instskip(NEXT) | instid1(VALU_DEP_1)
	v_clz_i32_u32_e32 v8, v8
	v_min_u32_e32 v8, 32, v8
	s_delay_alu instid0(VALU_DEP_1) | instskip(NEXT) | instid1(VALU_DEP_1)
	v_subrev_nc_u32_e32 v38, 28, v8
	v_lshlrev_b64_e32 v[40:41], v38, v[2:3]
	v_sub_nc_u32_e32 v38, 29, v8
	s_delay_alu instid0(VALU_DEP_2)
	v_and_b32_e32 v8, 7, v40
; %bb.166:                              ;   in Loop: Header=BB245_9 Depth=1
	s_or_b32 exec_lo, exec_lo, s31
	s_delay_alu instid0(VALU_DEP_1) | instskip(NEXT) | instid1(VALU_DEP_3)
	v_dual_lshlrev_b32 v2, 8, v37 :: v_dual_lshlrev_b32 v8, 23, v8
	v_lshl_add_u32 v37, v38, 10, 0x2000
	s_delay_alu instid0(VALU_DEP_1) | instskip(NEXT) | instid1(VALU_DEP_1)
	v_and_or_b32 v2, 0x8000, v2, v37
	v_lshl_or_b32 v8, v2, 16, v8
.LBB245_167:                            ;   in Loop: Header=BB245_9 Depth=1
	s_or_b32 exec_lo, exec_lo, s30
.LBB245_168:                            ;   in Loop: Header=BB245_9 Depth=1
	s_delay_alu instid0(SALU_CYCLE_1)
	s_or_b32 exec_lo, exec_lo, s29
.LBB245_169:                            ;   in Loop: Header=BB245_9 Depth=1
	s_delay_alu instid0(SALU_CYCLE_1) | instskip(SKIP_3) | instid1(VALU_DEP_1)
	s_or_b32 exec_lo, exec_lo, s28
	ds_load_b32 v2, v13
	v_or_b32_e32 v19, v18, v19
	v_fma_mixlo_f16 v18, v17, v18, 0 op_sel:[0,1,0] op_sel_hi:[0,1,0]
	v_and_b32_e32 v18, 0xffff, v18
	s_wait_dscnt 0x0
	v_and_b32_e32 v37, 0xffff, v2
	v_lshrrev_b32_e32 v2, 16, v2
	v_fma_mixlo_f16 v19, v17, v19, 0 op_sel_hi:[0,1,0]
	;;#ASMSTART
	v_cvt_f32_f16 v37, v37;
	;;#ASMEND
	;;#ASMSTART
	v_cvt_f32_f16 v38, v2;
	;;#ASMEND
	s_delay_alu instid0(VALU_DEP_1)
	v_and_b32_e32 v19, 0xffff, v19
	;;#ASMSTART
	v_cvt_f32_f16 v39, v19;
	;;#ASMEND
	;;#ASMSTART
	v_cvt_f32_f16 v40, v18;
	;;#ASMEND
	ds_load_b32 v2, v13 offset:4
	v_or_b32_e32 v18, v20, v21
	v_fma_mixlo_f16 v19, v17, v20, 0 op_sel:[0,1,0] op_sel_hi:[0,1,0]
	s_delay_alu instid0(VALU_DEP_1)
	v_and_b32_e32 v19, 0xffff, v19
	s_wait_dscnt 0x0
	v_and_b32_e32 v20, 0xffff, v2
	v_lshrrev_b32_e32 v2, 16, v2
	v_fma_mixlo_f16 v18, v17, v18, 0 op_sel_hi:[0,1,0]
	;;#ASMSTART
	v_cvt_f32_f16 v20, v20;
	;;#ASMEND
	;;#ASMSTART
	v_cvt_f32_f16 v21, v2;
	;;#ASMEND
	s_delay_alu instid0(VALU_DEP_1)
	v_and_b32_e32 v18, 0xffff, v18
	;;#ASMSTART
	v_cvt_f32_f16 v41, v18;
	;;#ASMEND
	;;#ASMSTART
	v_cvt_f32_f16 v42, v19;
	;;#ASMEND
	ds_load_b32 v2, v13 offset:8
	v_or_b32_e32 v18, v22, v23
	v_fma_mixlo_f16 v19, v17, v22, 0 op_sel:[0,1,0] op_sel_hi:[0,1,0]
	s_delay_alu instid0(VALU_DEP_1)
	;; [unrolled: 23-line block ×4, first 2 shown]
	v_and_b32_e32 v19, 0xffff, v19
	s_wait_dscnt 0x0
	v_and_b32_e32 v27, 0xffff, v2
	v_lshrrev_b32_e32 v2, 16, v2
	v_fma_mixlo_f16 v18, v17, v18, 0 op_sel_hi:[0,1,0]
	;;#ASMSTART
	v_cvt_f32_f16 v27, v27;
	;;#ASMEND
	;;#ASMSTART
	v_cvt_f32_f16 v28, v2;
	;;#ASMEND
	s_delay_alu instid0(VALU_DEP_1)
	v_and_b32_e32 v18, 0xffff, v18
	;;#ASMSTART
	v_cvt_f32_f16 v47, v18;
	;;#ASMEND
	;;#ASMSTART
	v_cvt_f32_f16 v48, v19;
	;;#ASMEND
	ds_load_b32 v2, v13 offset:20
	v_or_b32_e32 v18, v29, v30
	v_fma_mixlo_f16 v19, v17, v29, 0 op_sel:[0,1,0] op_sel_hi:[0,1,0]
	s_delay_alu instid0(VALU_DEP_2) | instskip(NEXT) | instid1(VALU_DEP_2)
	v_fma_mixlo_f16 v18, v17, v18, 0 op_sel_hi:[0,1,0]
	v_and_b32_e32 v19, 0xffff, v19
	s_delay_alu instid0(VALU_DEP_2)
	v_and_b32_e32 v18, 0xffff, v18
	s_wait_dscnt 0x0
	v_and_b32_e32 v29, 0xffff, v2
	v_lshrrev_b32_e32 v2, 16, v2
	;;#ASMSTART
	v_cvt_f32_f16 v29, v29;
	;;#ASMEND
	;;#ASMSTART
	v_cvt_f32_f16 v30, v2;
	;;#ASMEND
	;;#ASMSTART
	v_cvt_f32_f16 v49, v18;
	;;#ASMEND
	;;#ASMSTART
	v_cvt_f32_f16 v50, v19;
	;;#ASMEND
	ds_load_b32 v2, v13 offset:24
	v_or_b32_e32 v18, v31, v32
	v_fma_mixlo_f16 v19, v17, v31, 0 op_sel:[0,1,0] op_sel_hi:[0,1,0]
	s_delay_alu instid0(VALU_DEP_2) | instskip(NEXT) | instid1(VALU_DEP_2)
	v_fma_mixlo_f16 v18, v17, v18, 0 op_sel_hi:[0,1,0]
	v_and_b32_e32 v19, 0xffff, v19
	s_delay_alu instid0(VALU_DEP_2)
	v_and_b32_e32 v18, 0xffff, v18
	s_wait_dscnt 0x0
	v_and_b32_e32 v31, 0xffff, v2
	v_lshrrev_b32_e32 v2, 16, v2
	;;#ASMSTART
	v_cvt_f32_f16 v31, v31;
	;;#ASMEND
	;;#ASMSTART
	v_cvt_f32_f16 v32, v2;
	;;#ASMEND
	;; [unrolled: 23-line block ×3, first 2 shown]
	;;#ASMSTART
	v_cvt_f32_f16 v53, v18;
	;;#ASMEND
	;;#ASMSTART
	v_cvt_f32_f16 v54, v19;
	;;#ASMEND
	ds_load_b32 v2, v13 offset:32
	v_dual_mul_f32 v18, v20, v41 :: v_dual_bitop2_b32 v20, v35, v36 bitop3:0x54
	s_delay_alu instid0(VALU_DEP_1) | instskip(SKIP_2) | instid1(VALU_DEP_4)
	v_fmac_f32_e32 v18, v37, v39
	v_mul_f32_e32 v19, v21, v42
	v_fma_mixlo_f16 v21, v17, v35, 0 op_sel:[0,1,0] op_sel_hi:[0,1,0]
	v_fma_mixlo_f16 v20, v17, v20, 0 op_sel_hi:[0,1,0]
	s_delay_alu instid0(VALU_DEP_4) | instskip(NEXT) | instid1(VALU_DEP_4)
	v_fmac_f32_e32 v18, v22, v43
	v_fmac_f32_e32 v19, v38, v40
	s_delay_alu instid0(VALU_DEP_4) | instskip(NEXT) | instid1(VALU_DEP_4)
	v_and_b32_e32 v21, 0xffff, v21
	v_and_b32_e32 v20, 0xffff, v20
	s_delay_alu instid0(VALU_DEP_3)
	v_dual_fmac_f32 v19, v23, v44 :: v_dual_fmac_f32 v18, v24, v45
	s_wait_dscnt 0x0
	v_and_b32_e32 v22, 0xffff, v2
	v_lshrrev_b32_e32 v2, 16, v2
	;;#ASMSTART
	v_cvt_f32_f16 v22, v22;
	;;#ASMEND
	;;#ASMSTART
	v_cvt_f32_f16 v23, v2;
	;;#ASMEND
	;; [unrolled: 3-line block ×4, first 2 shown]
	ds_load_b32 v2, v13 offset:36
	v_dual_fmac_f32 v19, v25, v46 :: v_dual_fmac_f32 v18, v27, v47
	s_delay_alu instid0(VALU_DEP_1) | instskip(NEXT) | instid1(VALU_DEP_2)
	v_dual_fmac_f32 v19, v28, v48 :: v_dual_bitop2_b32 v20, 2, v10 bitop3:0x14
	v_fmac_f32_e32 v18, v29, v49
	v_or_b32_e32 v9, v8, v9
	v_fma_mixlo_f16 v8, v17, v8, 0 op_sel:[0,1,0] op_sel_hi:[0,1,0]
	s_delay_alu instid0(VALU_DEP_4) | instskip(NEXT) | instid1(VALU_DEP_4)
	v_cmp_gt_i32_e64 s4, 32, v20
	v_dual_fmac_f32 v19, v30, v50 :: v_dual_fmac_f32 v18, v31, v51
	s_delay_alu instid0(VALU_DEP_4) | instskip(NEXT) | instid1(VALU_DEP_4)
	v_fma_mixlo_f16 v9, v17, v9, 0 op_sel_hi:[0,1,0]
	v_and_b32_e32 v17, 0xffff, v8
	s_delay_alu instid0(VALU_DEP_3) | instskip(NEXT) | instid1(VALU_DEP_4)
	v_fmac_f32_e32 v19, v32, v52
	v_dual_cndmask_b32 v8, v10, v20, s4 :: v_dual_fmac_f32 v18, v33, v53
	s_delay_alu instid0(VALU_DEP_4)
	v_and_b32_e32 v9, 0xffff, v9
	s_wait_dscnt 0x0
	v_and_b32_e32 v20, 0xffff, v2
	v_lshrrev_b32_e32 v2, 16, v2
	;;#ASMSTART
	v_cvt_f32_f16 v20, v20;
	;;#ASMEND
	v_fmac_f32_e32 v18, v22, v24
	;;#ASMSTART
	v_cvt_f32_f16 v2, v2;
	;;#ASMEND
	;;#ASMSTART
	v_cvt_f32_f16 v9, v9;
	;;#ASMEND
	v_fmac_f32_e32 v19, v34, v54
	;;#ASMSTART
	v_cvt_f32_f16 v17, v17;
	;;#ASMEND
	v_dual_fmac_f32 v18, v20, v9 :: v_dual_bitop2_b32 v9, 1, v10 bitop3:0x14
	s_delay_alu instid0(VALU_DEP_2) | instskip(NEXT) | instid1(VALU_DEP_2)
	v_fmac_f32_e32 v19, v23, v21
	v_cmp_gt_i32_e64 s4, 32, v9
	s_delay_alu instid0(VALU_DEP_2) | instskip(NEXT) | instid1(VALU_DEP_1)
	v_dual_fmac_f32 v19, v2, v17 :: v_dual_lshlrev_b32 v2, 2, v8
	v_add_f32_e32 v8, v18, v19
	ds_bpermute_b32 v2, v2, v8
	s_wait_dscnt 0x0
	v_dual_cndmask_b32 v9, v10, v9, s4 :: v_dual_add_f32 v2, v8, v2
	s_delay_alu instid0(VALU_DEP_1)
	v_lshlrev_b32_e32 v8, 2, v9
	ds_bpermute_b32 v8, v8, v2
	s_and_saveexec_b32 s28, vcc_lo
	s_cbranch_execz .LBB245_8
; %bb.170:                              ;   in Loop: Header=BB245_9 Depth=1
	s_wait_dscnt 0x0
	v_dual_add_f32 v2, v2, v8 :: v_dual_add_nc_u32 v9, s27, v14
	v_cmp_gt_i32_e64 s4, s23, v14
	s_delay_alu instid0(VALU_DEP_2) | instskip(NEXT) | instid1(VALU_DEP_1)
	v_cvt_f32_i32_e32 v9, v9
	v_mul_f32_e32 v9, s25, v9
	s_delay_alu instid0(VALU_DEP_1) | instskip(NEXT) | instid1(VALU_DEP_1)
	v_dual_cndmask_b32 v8, 0, v9, s3 :: v_dual_max_num_f32 v9, v12, v12
	v_fmac_f32_e32 v8, s7, v2
	s_delay_alu instid0(VALU_DEP_1) | instskip(NEXT) | instid1(VALU_DEP_1)
	v_dual_max_num_f32 v2, v9, v8 :: v_dual_cndmask_b32 v8, 0, v8, s4
	v_cndmask_b32_e64 v12, v12, v2, s4
	ds_store_b32 v15, v8
	s_branch .LBB245_8
.LBB245_171:
	s_or_b32 exec_lo, exec_lo, s6
.LBB245_172:
	s_delay_alu instid0(SALU_CYCLE_1)
	s_or_b32 exec_lo, exec_lo, s26
	v_dual_max_num_f32 v6, v12, v12 :: v_dual_bitop2_b32 v2, 16, v10 bitop3:0x14
	v_xor_b32_e32 v5, 8, v10
	s_load_b64 s[6:7], s[0:1], 0x0
	s_wait_kmcnt 0x0
	s_load_b64 s[8:9], s[0:1], 0x18
	v_and_b32_e32 v27, 31, v0
	v_cmp_lt_i32_e32 vcc_lo, v2, v11
	v_cndmask_b32_e32 v2, v10, v2, vcc_lo
	v_cmp_lt_i32_e32 vcc_lo, v5, v11
	s_delay_alu instid0(VALU_DEP_2) | instskip(SKIP_3) | instid1(VALU_DEP_1)
	v_dual_cndmask_b32 v5, v10, v5 :: v_dual_lshlrev_b32 v2, 2, v2
	ds_bpermute_b32 v4, v2, v12
	s_wait_dscnt 0x0
	v_dual_max_num_f32 v7, v4, v4 :: v_dual_lshlrev_b32 v4, 2, v5
	v_dual_max_num_f32 v5, v6, v7 :: v_dual_bitop2_b32 v7, 4, v10 bitop3:0x14
	ds_bpermute_b32 v6, v4, v5
	v_cmp_lt_i32_e32 vcc_lo, v7, v11
	v_cndmask_b32_e32 v7, v10, v7, vcc_lo
	v_cmp_eq_u32_e32 vcc_lo, 0, v27
	s_wait_dscnt 0x0
	s_delay_alu instid0(VALU_DEP_2) | instskip(NEXT) | instid1(VALU_DEP_1)
	v_dual_max_num_f32 v6, v6, v6 :: v_dual_lshlrev_b32 v7, 2, v7
	v_max_num_f32_e32 v6, v5, v6
	v_lshlrev_b32_e32 v5, 2, v26
	ds_bpermute_b32 v8, v7, v6
	s_wait_xcnt 0x0
	s_and_saveexec_b32 s0, vcc_lo
	s_cbranch_execz .LBB245_174
; %bb.173:
	s_wait_dscnt 0x0
	v_dual_max_num_f32 v8, v8, v8 :: v_dual_max_num_f32 v6, v6, v6
	s_delay_alu instid0(VALU_DEP_1)
	v_max_num_f32_e32 v6, v6, v8
	ds_store_b32 v5, v6 offset:160
.LBB245_174:
	s_or_b32 exec_lo, exec_lo, s0
	v_cmp_gt_u32_e64 s0, 4, v27
	v_dual_mov_b32 v9, 0xff7fffff :: v_dual_lshlrev_b32 v6, 2, v27
	s_wait_dscnt 0x0
	s_barrier_signal -1
	s_barrier_wait -1
	s_and_saveexec_b32 s1, s0
; %bb.175:
	ds_load_b32 v9, v6 offset:160
; %bb.176:
	s_or_b32 exec_lo, exec_lo, s1
	s_wait_dscnt 0x0
	v_dual_max_num_f32 v14, v9, v9 :: v_dual_bitop2_b32 v8, 2, v10 bitop3:0x14
	v_lshl_add_u32 v28, v0, 2, 0xc0
	v_dual_lshlrev_b32 v3, 2, v3 :: v_dual_bitop2_b32 v13, 1, v10 bitop3:0x14
	s_delay_alu instid0(VALU_DEP_3) | instskip(NEXT) | instid1(VALU_DEP_1)
	v_cmp_lt_i32_e64 s1, v8, v11
	v_cndmask_b32_e64 v8, v10, v8, s1
	s_delay_alu instid0(VALU_DEP_3) | instskip(NEXT) | instid1(VALU_DEP_2)
	v_cmp_lt_i32_e64 s1, v13, v11
	v_lshlrev_b32_e32 v8, 2, v8
	ds_bpermute_b32 v12, v8, v9
	v_cndmask_b32_e64 v9, v10, v13, s1
	s_lshl_b32 s1, s24, 3
	s_delay_alu instid0(SALU_CYCLE_1) | instskip(NEXT) | instid1(VALU_DEP_1)
	s_min_i32 s4, s1, s23
	v_lshlrev_b32_e32 v9, 2, v9
	v_cmp_gt_i32_e64 s1, s4, v0
	s_wait_dscnt 0x0
	v_max_num_f32_e32 v11, v12, v12
	s_delay_alu instid0(VALU_DEP_1) | instskip(SKIP_3) | instid1(VALU_DEP_1)
	v_max_num_f32_e32 v11, v14, v11
	ds_bpermute_b32 v12, v9, v11
	s_wait_dscnt 0x0
	v_max_num_f32_e32 v12, v12, v12
	v_max_num_f32_e32 v11, v11, v12
	ds_bpermute_b32 v11, v3, v11
	v_mov_b32_e32 v3, 0
	s_and_saveexec_b32 s19, s1
	s_cbranch_execz .LBB245_180
; %bb.177:
	v_lshl_add_u32 v12, v0, 2, 0xc0
	v_dual_mov_b32 v3, 0 :: v_dual_mov_b32 v13, v0
	s_mov_b32 s25, 0
.LBB245_178:                            ; =>This Inner Loop Header: Depth=1
	ds_load_b32 v14, v12
	v_add_nc_u32_e32 v13, 0x80, v13
	s_delay_alu instid0(VALU_DEP_1) | instskip(SKIP_3) | instid1(VALU_DEP_1)
	v_cmp_le_i32_e64 s3, s4, v13
	s_or_b32 s25, s3, s25
	s_wait_dscnt 0x0
	v_sub_f32_e32 v14, v14, v11
	v_mul_f32_e32 v14, 0x3fb8aa3b, v14
	s_delay_alu instid0(VALU_DEP_1)
	v_exp_f32_e32 v14, v14
	ds_store_b32 v12, v14
	v_nop
	v_dual_add_f32 v3, v3, v14 :: v_dual_add_nc_u32 v12, 0x200, v12
	s_and_not1_b32 exec_lo, exec_lo, s25
	s_cbranch_execnz .LBB245_178
; %bb.179:
	s_or_b32 exec_lo, exec_lo, s25
.LBB245_180:
	s_delay_alu instid0(SALU_CYCLE_1)
	s_or_b32 exec_lo, exec_lo, s19
	ds_bpermute_b32 v2, v2, v3
	s_wait_dscnt 0x0
	v_add_f32_e32 v2, v3, v2
	ds_bpermute_b32 v3, v4, v2
	s_wait_dscnt 0x0
	v_add_f32_e32 v2, v2, v3
	;; [unrolled: 3-line block ×5, first 2 shown]
	s_and_saveexec_b32 s3, vcc_lo
; %bb.181:
	ds_store_b32 v5, v2 offset:176
; %bb.182:
	s_or_b32 exec_lo, exec_lo, s3
	s_wait_dscnt 0x0
	s_barrier_signal -1
	s_barrier_wait -1
	s_and_saveexec_b32 s3, s0
; %bb.183:
	ds_load_b32 v2, v6 offset:176
; %bb.184:
	s_or_b32 exec_lo, exec_lo, s3
	s_wait_dscnt 0x0
	ds_bpermute_b32 v3, v8, v2
	s_wait_dscnt 0x0
	v_dual_lshlrev_b32 v4, 2, v10 :: v_dual_add_f32 v2, v2, v3
	ds_bpermute_b32 v3, v9, v2
	s_wait_dscnt 0x0
	v_add_f32_e32 v2, v2, v3
	v_and_b32_e32 v3, 0xffffff80, v4
	ds_bpermute_b32 v2, v3, v2
	s_and_saveexec_b32 s0, s1
	s_cbranch_execz .LBB245_197
; %bb.185:
	s_wait_dscnt 0x0
	v_add_f32_e32 v2, 0x358637bd, v2
	s_mov_b32 s3, -1
	s_mov_b32 s1, exec_lo
	s_delay_alu instid0(VALU_DEP_1) | instskip(NEXT) | instid1(VALU_DEP_1)
	v_div_scale_f32 v3, null, v2, v2, 1.0
	v_rcp_f32_e32 v5, v3
	v_nop
	s_delay_alu instid0(TRANS32_DEP_1) | instskip(NEXT) | instid1(VALU_DEP_1)
	v_fma_f32 v4, -v3, v5, 1.0
	v_fmac_f32_e32 v5, v4, v5
	v_div_scale_f32 v6, vcc_lo, 1.0, v2, 1.0
	s_delay_alu instid0(VALU_DEP_1) | instskip(NEXT) | instid1(VALU_DEP_1)
	v_mul_f32_e32 v7, v6, v5
	v_fma_f32 v4, -v3, v7, v6
	s_delay_alu instid0(VALU_DEP_1) | instskip(SKIP_1) | instid1(VALU_DEP_2)
	v_fmac_f32_e32 v7, v4, v5
	v_xad_u32 v4, v0, -1, s4
	v_fma_f32 v3, -v3, v7, v6
	s_delay_alu instid0(VALU_DEP_1) | instskip(NEXT) | instid1(VALU_DEP_1)
	v_div_fmas_f32 v3, v3, v5, v7
	v_div_fixup_f32 v2, v3, v2, 1.0
	v_mov_b32_e32 v3, v0
	v_cmpx_lt_u32_e32 0x7f, v4
	s_cbranch_execz .LBB245_194
; %bb.186:
	s_delay_alu instid0(VALU_DEP_3) | instskip(NEXT) | instid1(VALU_DEP_1)
	v_dual_mov_b32 v3, v2 :: v_dual_lshrrev_b32 v4, 7, v4
	v_dual_mov_b32 v8, 0 :: v_dual_add_nc_u32 v5, -1, v4
	s_delay_alu instid0(VALU_DEP_1) | instskip(SKIP_1) | instid1(VALU_DEP_2)
	v_lshrrev_b32_e32 v6, 1, v5
	v_cmp_lt_u32_e32 vcc_lo, 13, v5
	v_add_nc_u32_e32 v5, 1, v6
	s_and_saveexec_b32 s3, vcc_lo
	s_cbranch_execz .LBB245_190
; %bb.187:
	s_delay_alu instid0(VALU_DEP_1)
	v_dual_mov_b32 v7, v28 :: v_dual_bitop2_b32 v6, -8, v5 bitop3:0x40
	s_mov_b32 s19, 0
	s_mov_b32 s25, 0
.LBB245_188:                            ; =>This Inner Loop Header: Depth=1
	ds_load_2addr_stride64_b32 v[8:9], v7 offset1:2
	ds_load_2addr_stride64_b32 v[10:11], v7 offset0:4 offset1:6
	ds_load_2addr_stride64_b32 v[12:13], v7 offset0:8 offset1:10
	ds_load_2addr_stride64_b32 v[14:15], v7 offset0:12 offset1:14
	ds_load_2addr_stride64_b32 v[16:17], v7 offset0:16 offset1:18
	ds_load_2addr_stride64_b32 v[18:19], v7 offset0:20 offset1:22
	ds_load_2addr_stride64_b32 v[20:21], v7 offset0:24 offset1:26
	ds_load_2addr_stride64_b32 v[22:23], v7 offset0:28 offset1:30
	s_add_co_i32 s25, s25, 16
	v_add_nc_u32_e32 v6, -8, v6
	s_wait_dscnt 0x7
	v_pk_mul_f32 v[8:9], v[2:3], v[8:9]
	s_wait_dscnt 0x6
	v_pk_mul_f32 v[10:11], v[2:3], v[10:11]
	s_wait_dscnt 0x5
	v_pk_mul_f32 v[12:13], v[2:3], v[12:13]
	s_wait_dscnt 0x4
	v_pk_mul_f32 v[14:15], v[2:3], v[14:15]
	s_wait_dscnt 0x3
	v_pk_mul_f32 v[16:17], v[2:3], v[16:17]
	s_wait_dscnt 0x2
	v_pk_mul_f32 v[18:19], v[2:3], v[18:19]
	s_wait_dscnt 0x1
	v_pk_mul_f32 v[20:21], v[2:3], v[20:21]
	s_wait_dscnt 0x0
	v_pk_mul_f32 v[22:23], v[2:3], v[22:23]
	ds_store_2addr_stride64_b32 v7, v8, v9 offset1:2
	ds_store_2addr_stride64_b32 v7, v10, v11 offset0:4 offset1:6
	ds_store_2addr_stride64_b32 v7, v12, v13 offset0:8 offset1:10
	;; [unrolled: 1-line block ×7, first 2 shown]
	v_mov_b32_e32 v8, s25
	v_cmp_eq_u32_e32 vcc_lo, 0, v6
	v_add_nc_u32_e32 v7, 0x2000, v7
	s_or_b32 s19, vcc_lo, s19
	s_delay_alu instid0(SALU_CYCLE_1)
	s_and_not1_b32 exec_lo, exec_lo, s19
	s_cbranch_execnz .LBB245_188
; %bb.189:
	s_or_b32 exec_lo, exec_lo, s19
.LBB245_190:
	s_delay_alu instid0(SALU_CYCLE_1) | instskip(NEXT) | instid1(VALU_DEP_1)
	s_or_b32 exec_lo, exec_lo, s3
	v_and_b32_e32 v5, 7, v5
	s_mov_b32 s19, 0
	s_mov_b32 s3, exec_lo
	s_delay_alu instid0(VALU_DEP_1)
	v_cmpx_ne_u32_e32 0, v5
	s_cbranch_execz .LBB245_193
; %bb.191:
	v_lshlrev_b32_e32 v6, 9, v8
	v_lshlrev_b32_e32 v7, 2, v0
	s_delay_alu instid0(VALU_DEP_1)
	v_add3_u32 v6, v6, v7, 0xc0
.LBB245_192:                            ; =>This Inner Loop Header: Depth=1
	ds_load_2addr_stride64_b32 v[8:9], v6 offset1:2
	v_add_nc_u32_e32 v5, -1, v5
	s_delay_alu instid0(VALU_DEP_1)
	v_cmp_eq_u32_e32 vcc_lo, 0, v5
	s_or_b32 s19, vcc_lo, s19
	s_wait_dscnt 0x0
	v_pk_mul_f32 v[8:9], v[2:3], v[8:9]
	ds_store_2addr_stride64_b32 v6, v8, v9 offset1:2
	v_add_nc_u32_e32 v6, 0x400, v6
	s_and_not1_b32 exec_lo, exec_lo, s19
	s_cbranch_execnz .LBB245_192
.LBB245_193:
	s_or_b32 exec_lo, exec_lo, s3
	v_add_nc_u32_e32 v3, 1, v4
	s_delay_alu instid0(VALU_DEP_1) | instskip(NEXT) | instid1(VALU_DEP_1)
	v_and_b32_e32 v4, 0x3fffffe, v3
	v_cmp_ne_u32_e32 vcc_lo, v3, v4
	v_lshl_add_u32 v3, v4, 7, v0
	s_or_not1_b32 s3, vcc_lo, exec_lo
.LBB245_194:
	s_or_b32 exec_lo, exec_lo, s1
	s_delay_alu instid0(SALU_CYCLE_1)
	s_and_b32 exec_lo, exec_lo, s3
	s_cbranch_execz .LBB245_197
; %bb.195:
	v_lshl_add_u32 v4, v3, 2, 0xc0
	s_mov_b32 s1, 0
.LBB245_196:                            ; =>This Inner Loop Header: Depth=1
	ds_load_b32 v5, v4
	v_add_nc_u32_e32 v3, 0x80, v3
	s_delay_alu instid0(VALU_DEP_1)
	v_cmp_le_i32_e32 vcc_lo, s4, v3
	s_or_b32 s1, vcc_lo, s1
	s_wait_dscnt 0x0
	v_mul_f32_e32 v5, v2, v5
	ds_store_b32 v4, v5
	v_add_nc_u32_e32 v4, 0x200, v4
	s_and_not1_b32 exec_lo, exec_lo, s1
	s_cbranch_execnz .LBB245_196
.LBB245_197:
	s_or_b32 exec_lo, exec_lo, s0
	s_wait_dscnt 0x0
	v_mov_b64_e32 v[2:3], 0
	v_dual_mov_b32 v35, 0 :: v_dual_bitop2_b32 v29, 64, v27 bitop3:0x54
	s_barrier_signal -1
	s_barrier_wait -1
	s_and_saveexec_b32 s25, s2
	s_cbranch_execz .LBB245_401
; %bb.198:
	v_dual_mov_b32 v5, 0 :: v_dual_lshlrev_b32 v6, 3, v27
	v_and_b32_e32 v4, 0x7c, v1
	s_lshl_b64 s[0:1], s[14:15], 2
	v_lshl_add_u32 v31, v26, 5, 0xc0
	s_add_nc_u64 s[0:1], s[16:17], s[0:1]
	v_dual_mov_b32 v7, v5 :: v_dual_lshlrev_b32 v8, 3, v29
	v_add_nc_u64_e32 v[10:11], s[0:1], v[4:5]
	v_dual_mov_b32 v9, v5 :: v_dual_lshlrev_b32 v30, 3, v26
	v_dual_mov_b32 v35, 0 :: v_dual_mov_b32 v3, 0
	v_dual_mov_b32 v2, 0 :: v_dual_mov_b32 v32, v26
	s_ashr_i32 s19, s18, 31
	s_mov_b32 s26, s5
	s_wait_kmcnt 0x0
	s_add_nc_u64 s[2:3], s[8:9], s[18:19]
	s_mov_b64 s[4:5], 0xffffffffffffff
	s_add_co_i32 s8, s24, -1
	s_mov_b32 s14, s23
	s_mov_b32 s9, 0
	v_cmp_gt_u32_e32 vcc_lo, 0x50, v29
	s_branch .LBB245_201
.LBB245_199:                            ;   in Loop: Header=BB245_201 Depth=1
	s_or_b32 exec_lo, exec_lo, s1
	;;#ASMSTART
	v_pk_mul_f16 v1, v39, v21;

	;;#ASMEND
	;;#ASMSTART
	v_pk_mul_f16 v4, v38, v20;

	;;#ASMEND
	;; [unrolled: 4-line block ×4, first 2 shown]
	;;#ASMSTART
	v_pk_add_f16 v1, v1, v4;

	;;#ASMEND
	;;#ASMSTART
	v_pk_add_f16 v1, v1, v12;

	;;#ASMEND
	;;#ASMSTART
	v_pk_add_f16 v1, v1, v13;

	;;#ASMEND
	v_and_b32_e32 v4, 0xffff, v1
	v_lshrrev_b32_e32 v1, 16, v1
	;;#ASMSTART
	v_cvt_f32_f16 v4, v4;
	;;#ASMEND
	;;#ASMSTART
	v_cvt_f32_f16 v1, v1;
	;;#ASMEND
	s_delay_alu instid0(VALU_DEP_1) | instskip(NEXT) | instid1(VALU_DEP_1)
	v_add_f32_e32 v1, v4, v1
	v_add_f32_e32 v35, v35, v1
.LBB245_200:                            ;   in Loop: Header=BB245_201 Depth=1
	s_or_b32 exec_lo, exec_lo, s15
	v_dual_add_f32 v1, v24, v25 :: v_dual_add_f32 v4, v33, v34
	v_add_nc_u32_e32 v32, 4, v32
	v_add_nc_u64_e32 v[10:11], 16, v[10:11]
	v_add_nc_u32_e32 v31, 0x80, v31
	s_delay_alu instid0(VALU_DEP_4) | instskip(SKIP_3) | instid1(SALU_CYCLE_1)
	v_dual_add_f32 v3, v3, v1 :: v_dual_add_f32 v2, v2, v4
	v_add_nc_u32_e32 v30, 32, v30
	v_cmp_le_i32_e64 s0, s24, v32
	s_or_b32 s9, s0, s9
	s_and_not1_b32 exec_lo, exec_lo, s9
	s_cbranch_execz .LBB245_400
.LBB245_201:                            ; =>This Inner Loop Header: Depth=1
	global_load_b32 v1, v[10:11], off
	ds_load_2addr_b64 v[14:17], v31 offset1:1
	ds_load_2addr_b64 v[18:21], v31 offset0:2 offset1:3
	s_mov_b32 s1, exec_lo
	s_wait_dscnt 0x1
	;;#ASMSTART
	v_cvt_f16_f32 v38, v14;

	;;#ASMEND
	;;#ASMSTART
	v_cvt_f16_f32 v36, v15;

	;;#ASMEND
	;; [unrolled: 4-line block ×4, first 2 shown]
	s_wait_dscnt 0x0
	;;#ASMSTART
	v_cvt_f16_f32 v42, v18;

	;;#ASMEND
	;;#ASMSTART
	v_cvt_f16_f32 v40, v19;

	;;#ASMEND
	;; [unrolled: 4-line block ×4, first 2 shown]
	s_wait_loadcnt 0x0
	v_mad_nc_i64_i32 v[12:13], v1, s26, s[2:3]
	v_mov_b32_e32 v1, 0
	s_delay_alu instid0(VALU_DEP_2)
	v_add_nc_u64_e32 v[14:15], v[12:13], v[6:7]
	global_load_b64 v[18:19], v[14:15], off
	global_load_b32 v16, v5, s[10:11]
	s_wait_loadcnt 0x1
	v_and_b32_e32 v4, 0xff, v18
	s_wait_xcnt 0x0
	s_delay_alu instid0(VALU_DEP_1)
	v_cmpx_ne_u16_e32 0, v4
	s_cbranch_execz .LBB245_209
; %bb.202:                              ;   in Loop: Header=BB245_201 Depth=1
	v_mov_b32_e32 v1, 0x8000
	s_mov_b32 s15, exec_lo
	v_cmpx_ne_u16_e32 0x80, v4
	s_cbranch_execz .LBB245_208
; %bb.203:                              ;   in Loop: Header=BB245_201 Depth=1
	v_and_b32_e32 v17, 0x7f, v18
	v_mov_b32_e32 v1, 0x7c01
	s_mov_b32 s16, exec_lo
	s_delay_alu instid0(VALU_DEP_2)
	v_cmpx_ne_u32_e32 0x7f, v17
	s_cbranch_execz .LBB245_207
; %bb.204:                              ;   in Loop: Header=BB245_201 Depth=1
	v_dual_lshrrev_b32 v4, 3, v17 :: v_dual_bitop2_b32 v1, 7, v18 bitop3:0x40
	s_mov_b32 s17, exec_lo
	v_cmpx_gt_u32_e32 8, v17
; %bb.205:                              ;   in Loop: Header=BB245_201 Depth=1
	s_delay_alu instid0(VALU_DEP_2) | instskip(NEXT) | instid1(VALU_DEP_1)
	v_clz_i32_u32_e32 v1, v1
	v_min_u32_e32 v1, 32, v1
	s_delay_alu instid0(VALU_DEP_1) | instskip(NEXT) | instid1(VALU_DEP_1)
	v_subrev_nc_u32_e32 v4, 28, v1
	v_lshlrev_b64_e32 v[20:21], v4, v[18:19]
	s_delay_alu instid0(VALU_DEP_1)
	v_dual_sub_nc_u32 v4, 29, v1 :: v_dual_bitop2_b32 v1, 7, v20 bitop3:0x40
; %bb.206:                              ;   in Loop: Header=BB245_201 Depth=1
	s_or_b32 exec_lo, exec_lo, s17
	s_delay_alu instid0(VALU_DEP_1) | instskip(NEXT) | instid1(VALU_DEP_2)
	v_dual_lshlrev_b32 v17, 8, v18 :: v_dual_lshlrev_b32 v1, 7, v1
	v_lshl_add_u32 v4, v4, 10, 0x2000
	s_delay_alu instid0(VALU_DEP_2) | instskip(NEXT) | instid1(VALU_DEP_2)
	v_and_b32_e32 v17, 0x8000, v17
	v_and_b32_e32 v4, 0xfc00, v4
	s_delay_alu instid0(VALU_DEP_1)
	v_or3_b32 v1, v17, v4, v1
.LBB245_207:                            ;   in Loop: Header=BB245_201 Depth=1
	s_or_b32 exec_lo, exec_lo, s16
.LBB245_208:                            ;   in Loop: Header=BB245_201 Depth=1
	s_delay_alu instid0(SALU_CYCLE_1)
	s_or_b32 exec_lo, exec_lo, s15
.LBB245_209:                            ;   in Loop: Header=BB245_201 Depth=1
	s_delay_alu instid0(SALU_CYCLE_1) | instskip(SKIP_3) | instid1(VALU_DEP_2)
	s_or_b32 exec_lo, exec_lo, s1
	v_lshrrev_b16 v4, 8, v18
	v_dual_mov_b32 v17, 0 :: v_dual_mov_b32 v20, 0
	s_mov_b32 s1, exec_lo
	v_cmpx_ne_u16_e32 0, v4
	s_cbranch_execz .LBB245_217
; %bb.210:                              ;   in Loop: Header=BB245_201 Depth=1
	v_bfrev_b32_e32 v20, 1
	s_mov_b32 s15, exec_lo
	v_cmpx_ne_u16_e32 0x80, v4
	s_cbranch_execz .LBB245_216
; %bb.211:                              ;   in Loop: Header=BB245_201 Depth=1
	v_and_b32_e32 v21, 0xffff, v4
	v_mov_b32_e32 v20, 0x7c010000
	s_mov_b32 s16, exec_lo
	s_delay_alu instid0(VALU_DEP_2) | instskip(NEXT) | instid1(VALU_DEP_1)
	v_and_b32_e32 v23, 0x7f, v21
	v_cmpx_ne_u32_e32 0x7f, v23
	s_cbranch_execz .LBB245_215
; %bb.212:                              ;   in Loop: Header=BB245_201 Depth=1
	v_dual_lshrrev_b32 v22, 3, v23 :: v_dual_bitop2_b32 v20, 7, v21 bitop3:0x40
	s_mov_b32 s17, exec_lo
	v_cmpx_gt_u32_e32 8, v23
; %bb.213:                              ;   in Loop: Header=BB245_201 Depth=1
	s_delay_alu instid0(VALU_DEP_2) | instskip(NEXT) | instid1(VALU_DEP_1)
	v_clz_i32_u32_e32 v20, v20
	v_min_u32_e32 v20, 32, v20
	s_delay_alu instid0(VALU_DEP_1) | instskip(NEXT) | instid1(VALU_DEP_1)
	v_subrev_nc_u32_e32 v22, 28, v20
	v_lshlrev_b64_e32 v[24:25], v22, v[4:5]
	v_sub_nc_u32_e32 v22, 29, v20
	s_delay_alu instid0(VALU_DEP_2)
	v_and_b32_e32 v20, 7, v24
; %bb.214:                              ;   in Loop: Header=BB245_201 Depth=1
	s_or_b32 exec_lo, exec_lo, s17
	s_delay_alu instid0(VALU_DEP_1) | instskip(NEXT) | instid1(VALU_DEP_3)
	v_dual_lshlrev_b32 v4, 8, v21 :: v_dual_lshlrev_b32 v20, 23, v20
	v_lshl_add_u32 v21, v22, 10, 0x2000
	s_delay_alu instid0(VALU_DEP_1) | instskip(NEXT) | instid1(VALU_DEP_1)
	v_and_or_b32 v4, 0x8000, v4, v21
	v_lshl_or_b32 v20, v4, 16, v20
.LBB245_215:                            ;   in Loop: Header=BB245_201 Depth=1
	s_or_b32 exec_lo, exec_lo, s16
.LBB245_216:                            ;   in Loop: Header=BB245_201 Depth=1
	s_delay_alu instid0(SALU_CYCLE_1)
	s_or_b32 exec_lo, exec_lo, s15
.LBB245_217:                            ;   in Loop: Header=BB245_201 Depth=1
	s_delay_alu instid0(SALU_CYCLE_1) | instskip(SKIP_2) | instid1(VALU_DEP_1)
	s_or_b32 exec_lo, exec_lo, s1
	v_lshrrev_b32_e32 v4, 16, v18
	s_mov_b32 s1, exec_lo
	v_and_b32_e32 v21, 0xff, v4
	s_delay_alu instid0(VALU_DEP_1)
	v_cmpx_ne_u16_e32 0, v21
	s_cbranch_execz .LBB245_225
; %bb.218:                              ;   in Loop: Header=BB245_201 Depth=1
	v_mov_b32_e32 v17, 0x8000
	s_mov_b32 s15, exec_lo
	v_cmpx_ne_u16_e32 0x80, v21
	s_cbranch_execz .LBB245_224
; %bb.219:                              ;   in Loop: Header=BB245_201 Depth=1
	v_bfe_u32 v22, v18, 16, 7
	v_mov_b32_e32 v17, 0x7c01
	s_mov_b32 s16, exec_lo
	s_delay_alu instid0(VALU_DEP_2)
	v_cmpx_ne_u32_e32 0x7f, v22
	s_cbranch_execz .LBB245_223
; %bb.220:                              ;   in Loop: Header=BB245_201 Depth=1
	v_dual_lshrrev_b32 v21, 3, v22 :: v_dual_bitop2_b32 v17, 7, v4 bitop3:0x40
	s_mov_b32 s17, exec_lo
	v_cmpx_gt_u32_e32 8, v22
; %bb.221:                              ;   in Loop: Header=BB245_201 Depth=1
	s_delay_alu instid0(VALU_DEP_2) | instskip(NEXT) | instid1(VALU_DEP_1)
	v_clz_i32_u32_e32 v17, v17
	v_min_u32_e32 v17, 32, v17
	s_delay_alu instid0(VALU_DEP_1) | instskip(NEXT) | instid1(VALU_DEP_1)
	v_subrev_nc_u32_e32 v21, 28, v17
	v_lshlrev_b64_e32 v[22:23], v21, v[4:5]
	s_delay_alu instid0(VALU_DEP_1)
	v_dual_sub_nc_u32 v21, 29, v17 :: v_dual_bitop2_b32 v17, 7, v22 bitop3:0x40
; %bb.222:                              ;   in Loop: Header=BB245_201 Depth=1
	s_or_b32 exec_lo, exec_lo, s17
	s_delay_alu instid0(VALU_DEP_1) | instskip(NEXT) | instid1(VALU_DEP_2)
	v_dual_lshlrev_b32 v4, 8, v4 :: v_dual_lshlrev_b32 v17, 7, v17
	v_lshl_add_u32 v21, v21, 10, 0x2000
	s_delay_alu instid0(VALU_DEP_2) | instskip(NEXT) | instid1(VALU_DEP_2)
	v_and_b32_e32 v4, 0x8000, v4
	v_and_b32_e32 v21, 0xfc00, v21
	s_delay_alu instid0(VALU_DEP_1)
	v_or3_b32 v17, v4, v21, v17
.LBB245_223:                            ;   in Loop: Header=BB245_201 Depth=1
	s_or_b32 exec_lo, exec_lo, s16
.LBB245_224:                            ;   in Loop: Header=BB245_201 Depth=1
	s_delay_alu instid0(SALU_CYCLE_1)
	s_or_b32 exec_lo, exec_lo, s15
.LBB245_225:                            ;   in Loop: Header=BB245_201 Depth=1
	s_delay_alu instid0(SALU_CYCLE_1)
	s_or_b32 exec_lo, exec_lo, s1
	v_dual_mov_b32 v21, 0 :: v_dual_mov_b32 v22, 0
	s_mov_b32 s1, exec_lo
	v_cmpx_lt_u32_e32 0xffffff, v18
	s_cbranch_execz .LBB245_233
; %bb.226:                              ;   in Loop: Header=BB245_201 Depth=1
	v_lshrrev_b32_e32 v4, 24, v18
	v_bfrev_b32_e32 v22, 1
	s_mov_b32 s15, exec_lo
	s_delay_alu instid0(VALU_DEP_2)
	v_cmpx_ne_u32_e32 0x80, v4
	s_cbranch_execz .LBB245_232
; %bb.227:                              ;   in Loop: Header=BB245_201 Depth=1
	v_and_b32_e32 v24, 0x7f, v4
	v_mov_b32_e32 v22, 0x7c010000
	s_mov_b32 s16, exec_lo
	s_delay_alu instid0(VALU_DEP_2)
	v_cmpx_ne_u32_e32 0x7f, v24
	s_cbranch_execz .LBB245_231
; %bb.228:                              ;   in Loop: Header=BB245_201 Depth=1
	v_and_b32_e32 v22, 7, v4
	v_lshrrev_b32_e32 v23, 3, v24
	s_mov_b32 s17, exec_lo
	v_cmpx_gt_u32_e32 8, v24
; %bb.229:                              ;   in Loop: Header=BB245_201 Depth=1
	s_delay_alu instid0(VALU_DEP_3) | instskip(NEXT) | instid1(VALU_DEP_1)
	v_clz_i32_u32_e32 v22, v22
	v_min_u32_e32 v24, 32, v22
	s_delay_alu instid0(VALU_DEP_1) | instskip(NEXT) | instid1(VALU_DEP_1)
	v_subrev_nc_u32_e32 v22, 28, v24
	v_lshlrev_b64_e32 v[22:23], v22, v[4:5]
	s_delay_alu instid0(VALU_DEP_1)
	v_dual_sub_nc_u32 v23, 29, v24 :: v_dual_bitop2_b32 v22, 7, v22 bitop3:0x40
; %bb.230:                              ;   in Loop: Header=BB245_201 Depth=1
	s_or_b32 exec_lo, exec_lo, s17
	s_delay_alu instid0(VALU_DEP_1) | instskip(NEXT) | instid1(VALU_DEP_2)
	v_dual_lshlrev_b32 v4, 8, v4 :: v_dual_lshlrev_b32 v22, 23, v22
	v_lshl_add_u32 v23, v23, 10, 0x2000
	s_delay_alu instid0(VALU_DEP_1) | instskip(NEXT) | instid1(VALU_DEP_1)
	v_and_or_b32 v4, 0x8000, v4, v23
	v_lshl_or_b32 v22, v4, 16, v22
.LBB245_231:                            ;   in Loop: Header=BB245_201 Depth=1
	s_or_b32 exec_lo, exec_lo, s16
.LBB245_232:                            ;   in Loop: Header=BB245_201 Depth=1
	s_delay_alu instid0(SALU_CYCLE_1)
	s_or_b32 exec_lo, exec_lo, s15
.LBB245_233:                            ;   in Loop: Header=BB245_201 Depth=1
	s_delay_alu instid0(SALU_CYCLE_1) | instskip(SKIP_3) | instid1(VALU_DEP_2)
	s_or_b32 exec_lo, exec_lo, s1
	v_and_b32_e32 v23, 0xff, v19
	v_mov_b32_e32 v4, v19
	s_mov_b32 s1, exec_lo
	v_cmpx_ne_u16_e32 0, v23
	s_cbranch_execz .LBB245_241
; %bb.234:                              ;   in Loop: Header=BB245_201 Depth=1
	v_mov_b32_e32 v21, 0x8000
	s_mov_b32 s15, exec_lo
	v_cmpx_ne_u16_e32 0x80, v23
	s_cbranch_execz .LBB245_240
; %bb.235:                              ;   in Loop: Header=BB245_201 Depth=1
	v_and_b32_e32 v24, 0x7f, v19
	v_mov_b32_e32 v21, 0x7c01
	s_mov_b32 s16, exec_lo
	s_delay_alu instid0(VALU_DEP_2)
	v_cmpx_ne_u32_e32 0x7f, v24
	s_cbranch_execz .LBB245_239
; %bb.236:                              ;   in Loop: Header=BB245_201 Depth=1
	v_dual_lshrrev_b32 v23, 3, v24 :: v_dual_bitop2_b32 v21, 7, v19 bitop3:0x40
	s_mov_b32 s17, exec_lo
	v_cmpx_gt_u32_e32 8, v24
; %bb.237:                              ;   in Loop: Header=BB245_201 Depth=1
	s_delay_alu instid0(VALU_DEP_2) | instskip(NEXT) | instid1(VALU_DEP_1)
	v_clz_i32_u32_e32 v21, v21
	v_min_u32_e32 v21, 32, v21
	s_delay_alu instid0(VALU_DEP_1) | instskip(NEXT) | instid1(VALU_DEP_1)
	v_subrev_nc_u32_e32 v23, 28, v21
	v_lshlrev_b64_e32 v[24:25], v23, v[4:5]
	s_delay_alu instid0(VALU_DEP_1)
	v_dual_sub_nc_u32 v23, 29, v21 :: v_dual_bitop2_b32 v21, 7, v24 bitop3:0x40
; %bb.238:                              ;   in Loop: Header=BB245_201 Depth=1
	s_or_b32 exec_lo, exec_lo, s17
	s_delay_alu instid0(VALU_DEP_1) | instskip(NEXT) | instid1(VALU_DEP_2)
	v_dual_lshlrev_b32 v24, 8, v19 :: v_dual_lshlrev_b32 v21, 7, v21
	v_lshl_add_u32 v23, v23, 10, 0x2000
	s_delay_alu instid0(VALU_DEP_2) | instskip(NEXT) | instid1(VALU_DEP_2)
	v_and_b32_e32 v24, 0x8000, v24
	v_and_b32_e32 v23, 0xfc00, v23
	s_delay_alu instid0(VALU_DEP_1)
	v_or3_b32 v21, v24, v23, v21
.LBB245_239:                            ;   in Loop: Header=BB245_201 Depth=1
	s_or_b32 exec_lo, exec_lo, s16
.LBB245_240:                            ;   in Loop: Header=BB245_201 Depth=1
	s_delay_alu instid0(SALU_CYCLE_1)
	s_or_b32 exec_lo, exec_lo, s15
.LBB245_241:                            ;   in Loop: Header=BB245_201 Depth=1
	s_delay_alu instid0(SALU_CYCLE_1) | instskip(SKIP_3) | instid1(VALU_DEP_2)
	s_or_b32 exec_lo, exec_lo, s1
	v_lshrrev_b16 v4, 8, v4
	v_dual_mov_b32 v24, 0 :: v_dual_mov_b32 v23, 0
	s_mov_b32 s1, exec_lo
	v_cmpx_ne_u16_e32 0, v4
	s_cbranch_execz .LBB245_249
; %bb.242:                              ;   in Loop: Header=BB245_201 Depth=1
	v_bfrev_b32_e32 v23, 1
	s_mov_b32 s15, exec_lo
	v_cmpx_ne_u16_e32 0x80, v4
	s_cbranch_execz .LBB245_248
; %bb.243:                              ;   in Loop: Header=BB245_201 Depth=1
	v_and_b32_e32 v25, 0xffff, v4
	v_mov_b32_e32 v23, 0x7c010000
	s_mov_b32 s16, exec_lo
	s_delay_alu instid0(VALU_DEP_2) | instskip(NEXT) | instid1(VALU_DEP_1)
	v_and_b32_e32 v34, 0x7f, v25
	v_cmpx_ne_u32_e32 0x7f, v34
	s_cbranch_execz .LBB245_247
; %bb.244:                              ;   in Loop: Header=BB245_201 Depth=1
	v_dual_lshrrev_b32 v33, 3, v34 :: v_dual_bitop2_b32 v23, 7, v25 bitop3:0x40
	s_mov_b32 s17, exec_lo
	v_cmpx_gt_u32_e32 8, v34
; %bb.245:                              ;   in Loop: Header=BB245_201 Depth=1
	s_delay_alu instid0(VALU_DEP_2) | instskip(NEXT) | instid1(VALU_DEP_1)
	v_clz_i32_u32_e32 v23, v23
	v_min_u32_e32 v23, 32, v23
	s_delay_alu instid0(VALU_DEP_1) | instskip(NEXT) | instid1(VALU_DEP_1)
	v_subrev_nc_u32_e32 v33, 28, v23
	v_lshlrev_b64_e32 v[44:45], v33, v[4:5]
	s_delay_alu instid0(VALU_DEP_1)
	v_dual_sub_nc_u32 v33, 29, v23 :: v_dual_bitop2_b32 v23, 7, v44 bitop3:0x40
; %bb.246:                              ;   in Loop: Header=BB245_201 Depth=1
	s_or_b32 exec_lo, exec_lo, s17
	s_delay_alu instid0(VALU_DEP_1) | instskip(NEXT) | instid1(VALU_DEP_2)
	v_dual_lshlrev_b32 v4, 8, v25 :: v_dual_lshlrev_b32 v23, 23, v23
	v_lshl_add_u32 v25, v33, 10, 0x2000
	s_delay_alu instid0(VALU_DEP_1) | instskip(NEXT) | instid1(VALU_DEP_1)
	v_and_or_b32 v4, 0x8000, v4, v25
	v_lshl_or_b32 v23, v4, 16, v23
.LBB245_247:                            ;   in Loop: Header=BB245_201 Depth=1
	s_or_b32 exec_lo, exec_lo, s16
.LBB245_248:                            ;   in Loop: Header=BB245_201 Depth=1
	s_delay_alu instid0(SALU_CYCLE_1)
	s_or_b32 exec_lo, exec_lo, s15
.LBB245_249:                            ;   in Loop: Header=BB245_201 Depth=1
	s_delay_alu instid0(SALU_CYCLE_1) | instskip(SKIP_2) | instid1(VALU_DEP_1)
	s_or_b32 exec_lo, exec_lo, s1
	v_lshrrev_b32_e32 v4, 16, v19
	s_mov_b32 s1, exec_lo
	v_and_b32_e32 v25, 0xff, v4
	s_delay_alu instid0(VALU_DEP_1)
	v_cmpx_ne_u16_e32 0, v25
	s_cbranch_execz .LBB245_257
; %bb.250:                              ;   in Loop: Header=BB245_201 Depth=1
	v_mov_b32_e32 v24, 0x8000
	s_mov_b32 s15, exec_lo
	v_cmpx_ne_u16_e32 0x80, v25
	s_cbranch_execz .LBB245_256
; %bb.251:                              ;   in Loop: Header=BB245_201 Depth=1
	v_bfe_u32 v33, v19, 16, 7
	v_mov_b32_e32 v24, 0x7c01
	s_mov_b32 s16, exec_lo
	s_delay_alu instid0(VALU_DEP_2)
	v_cmpx_ne_u32_e32 0x7f, v33
	s_cbranch_execz .LBB245_255
; %bb.252:                              ;   in Loop: Header=BB245_201 Depth=1
	v_dual_lshrrev_b32 v25, 3, v33 :: v_dual_bitop2_b32 v24, 7, v4 bitop3:0x40
	s_mov_b32 s17, exec_lo
	v_cmpx_gt_u32_e32 8, v33
; %bb.253:                              ;   in Loop: Header=BB245_201 Depth=1
	s_delay_alu instid0(VALU_DEP_2) | instskip(NEXT) | instid1(VALU_DEP_1)
	v_clz_i32_u32_e32 v24, v24
	v_min_u32_e32 v33, 32, v24
	s_delay_alu instid0(VALU_DEP_1) | instskip(NEXT) | instid1(VALU_DEP_1)
	v_subrev_nc_u32_e32 v24, 28, v33
	v_lshlrev_b64_e32 v[24:25], v24, v[4:5]
	s_delay_alu instid0(VALU_DEP_1)
	v_dual_sub_nc_u32 v25, 29, v33 :: v_dual_bitop2_b32 v24, 7, v24 bitop3:0x40
; %bb.254:                              ;   in Loop: Header=BB245_201 Depth=1
	s_or_b32 exec_lo, exec_lo, s17
	v_lshlrev_b32_e32 v4, 8, v4
	s_delay_alu instid0(VALU_DEP_2) | instskip(NEXT) | instid1(VALU_DEP_3)
	v_lshl_add_u32 v25, v25, 10, 0x2000
	v_lshlrev_b32_e32 v24, 7, v24
	s_delay_alu instid0(VALU_DEP_3) | instskip(NEXT) | instid1(VALU_DEP_3)
	v_and_b32_e32 v4, 0x8000, v4
	v_and_b32_e32 v25, 0xfc00, v25
	s_delay_alu instid0(VALU_DEP_1)
	v_or3_b32 v24, v4, v25, v24
.LBB245_255:                            ;   in Loop: Header=BB245_201 Depth=1
	s_or_b32 exec_lo, exec_lo, s16
.LBB245_256:                            ;   in Loop: Header=BB245_201 Depth=1
	s_delay_alu instid0(SALU_CYCLE_1)
	s_or_b32 exec_lo, exec_lo, s15
.LBB245_257:                            ;   in Loop: Header=BB245_201 Depth=1
	s_delay_alu instid0(SALU_CYCLE_1)
	s_or_b32 exec_lo, exec_lo, s1
	v_cmp_lt_u64_e64 s0, s[4:5], v[18:19]
	v_mov_b32_e32 v18, 0
	s_and_saveexec_b32 s1, s0
	s_cbranch_execz .LBB245_265
; %bb.258:                              ;   in Loop: Header=BB245_201 Depth=1
	v_lshrrev_b32_e32 v4, 24, v19
	v_bfrev_b32_e32 v18, 1
	s_mov_b32 s15, exec_lo
	s_delay_alu instid0(VALU_DEP_2)
	v_cmpx_ne_u32_e32 0x80, v4
	s_cbranch_execz .LBB245_264
; %bb.259:                              ;   in Loop: Header=BB245_201 Depth=1
	v_and_b32_e32 v25, 0x7f, v4
	v_mov_b32_e32 v18, 0x7c010000
	s_mov_b32 s16, exec_lo
	s_delay_alu instid0(VALU_DEP_2)
	v_cmpx_ne_u32_e32 0x7f, v25
	s_cbranch_execz .LBB245_263
; %bb.260:                              ;   in Loop: Header=BB245_201 Depth=1
	v_dual_lshrrev_b32 v19, 3, v25 :: v_dual_bitop2_b32 v18, 7, v4 bitop3:0x40
	s_mov_b32 s17, exec_lo
	v_cmpx_gt_u32_e32 8, v25
; %bb.261:                              ;   in Loop: Header=BB245_201 Depth=1
	s_delay_alu instid0(VALU_DEP_2) | instskip(NEXT) | instid1(VALU_DEP_1)
	v_clz_i32_u32_e32 v18, v18
	v_min_u32_e32 v25, 32, v18
	s_delay_alu instid0(VALU_DEP_1) | instskip(NEXT) | instid1(VALU_DEP_1)
	v_subrev_nc_u32_e32 v18, 28, v25
	v_lshlrev_b64_e32 v[18:19], v18, v[4:5]
	s_delay_alu instid0(VALU_DEP_1)
	v_dual_sub_nc_u32 v19, 29, v25 :: v_dual_bitop2_b32 v18, 7, v18 bitop3:0x40
; %bb.262:                              ;   in Loop: Header=BB245_201 Depth=1
	s_or_b32 exec_lo, exec_lo, s17
	s_delay_alu instid0(VALU_DEP_1) | instskip(NEXT) | instid1(VALU_DEP_2)
	v_dual_lshlrev_b32 v4, 8, v4 :: v_dual_lshlrev_b32 v18, 23, v18
	v_lshl_add_u32 v19, v19, 10, 0x2000
	s_delay_alu instid0(VALU_DEP_1) | instskip(NEXT) | instid1(VALU_DEP_1)
	v_and_or_b32 v4, 0x8000, v4, v19
	v_lshl_or_b32 v18, v4, 16, v18
.LBB245_263:                            ;   in Loop: Header=BB245_201 Depth=1
	s_or_b32 exec_lo, exec_lo, s16
.LBB245_264:                            ;   in Loop: Header=BB245_201 Depth=1
	s_delay_alu instid0(SALU_CYCLE_1)
	s_or_b32 exec_lo, exec_lo, s15
.LBB245_265:                            ;   in Loop: Header=BB245_201 Depth=1
	s_delay_alu instid0(SALU_CYCLE_1) | instskip(SKIP_3) | instid1(VALU_DEP_3)
	s_or_b32 exec_lo, exec_lo, s1
	v_dual_lshrrev_b32 v4, 16, v20 :: v_dual_lshrrev_b32 v19, 16, v22
	v_dual_lshrrev_b32 v20, 16, v23 :: v_dual_bitop2_b32 v1, v20, v1 bitop3:0x54
	v_dual_lshrrev_b32 v22, 16, v18 :: v_dual_bitop2_b32 v17, v22, v17 bitop3:0x54
	v_cvt_f32_f16_e32 v45, v4
	s_delay_alu instid0(VALU_DEP_4) | instskip(SKIP_1) | instid1(VALU_DEP_4)
	v_cvt_f32_f16_e32 v44, v19
	v_or_b32_e32 v4, v18, v24
	v_cvt_f32_f16_e32 v18, v17
	v_cvt_f32_f16_e32 v19, v1
	v_cmp_eq_u32_e64 s0, s8, v32
	s_wait_loadcnt 0x0
	v_pk_mul_f32 v[24:25], v[16:17], v[44:45] op_sel_hi:[0,1]
	v_or_b32_e32 v17, v23, v21
	v_cvt_f32_f16_e32 v21, v20
	v_cvt_f32_f16_e32 v20, v22
	v_cvt_f32_f16_e32 v22, v4
	v_cvt_pk_f16_f32 v1, v24, v25
	v_pk_mul_f32 v[18:19], v[16:17], v[18:19] op_sel_hi:[0,1]
	s_delay_alu instid0(VALU_DEP_1) | instskip(NEXT) | instid1(VALU_DEP_3)
	v_cvt_pk_f16_f32 v4, v18, v19
	v_and_b32_e32 v19, 0xffff0000, v1
	s_delay_alu instid0(VALU_DEP_2) | instskip(SKIP_3) | instid1(VALU_DEP_3)
	v_lshrrev_b32_e32 v25, 16, v4
	v_cvt_f32_f16_e32 v23, v17
	v_pk_mul_f32 v[20:21], v[16:17], v[20:21] op_sel_hi:[0,1]
	v_and_b32_e32 v24, 0xffff, v4
	v_pk_mul_f32 v[22:23], v[16:17], v[22:23] op_sel_hi:[0,1]
	s_delay_alu instid0(VALU_DEP_3) | instskip(SKIP_1) | instid1(VALU_DEP_3)
	v_cvt_pk_f16_f32 v17, v20, v21
	v_lshlrev_b32_e32 v16, 16, v1
	v_cvt_pk_f16_f32 v18, v22, v23
	s_delay_alu instid0(VALU_DEP_3) | instskip(SKIP_2) | instid1(VALU_DEP_4)
	v_and_b32_e32 v1, 0xffff0000, v17
	v_lshlrev_b32_e32 v4, 16, v17
	v_or_b32_e32 v23, v19, v25
	v_dual_lshrrev_b32 v17, 16, v18 :: v_dual_bitop2_b32 v22, v16, v24 bitop3:0x54
	v_and_b32_e32 v18, 0xffff, v18
	s_delay_alu instid0(VALU_DEP_2) | instskip(NEXT) | instid1(VALU_DEP_2)
	v_or_b32_e32 v21, v1, v17
	v_or_b32_e32 v20, v4, v18
	s_and_saveexec_b32 s15, s0
	s_cbranch_execz .LBB245_267
; %bb.266:                              ;   in Loop: Header=BB245_201 Depth=1
	v_dual_add_nc_u32 v20, 2, v30 :: v_dual_bitop2_b32 v21, 1, v30 bitop3:0x54
	v_cmp_gt_i32_e64 s1, s14, v30
	s_delay_alu instid0(VALU_DEP_1) | instskip(NEXT) | instid1(VALU_DEP_3)
	v_dual_cndmask_b32 v23, 0, v25, s1 :: v_dual_bitop2_b32 v22, 3, v30 bitop3:0x54
	v_cmp_gt_i32_e64 s1, s23, v20
	s_delay_alu instid0(VALU_DEP_1) | instskip(SKIP_1) | instid1(VALU_DEP_1)
	v_dual_cndmask_b32 v20, 0, v24, s1 :: v_dual_bitop2_b32 v25, 7, v30 bitop3:0x54
	v_cmp_gt_i32_e64 s1, s14, v21
	v_dual_cndmask_b32 v19, 0, v19, s1 :: v_dual_bitop2_b32 v24, 5, v30 bitop3:0x54
	v_cmp_gt_i32_e64 s1, s23, v22
	v_or_b32_e32 v21, 4, v30
	s_delay_alu instid0(VALU_DEP_2) | instskip(NEXT) | instid1(VALU_DEP_2)
	v_dual_cndmask_b32 v16, 0, v16, s1 :: v_dual_bitop2_b32 v23, v19, v23 bitop3:0x54
	v_cmp_gt_i32_e64 s1, s14, v21
	s_delay_alu instid0(VALU_DEP_1) | instskip(NEXT) | instid1(VALU_DEP_1)
	v_dual_cndmask_b32 v17, 0, v17, s1 :: v_dual_bitop2_b32 v22, 6, v30 bitop3:0x54
	v_cmp_gt_i32_e64 s1, s23, v22
	s_delay_alu instid0(VALU_DEP_1) | instskip(SKIP_1) | instid1(VALU_DEP_1)
	v_dual_cndmask_b32 v18, 0, v18, s1 :: v_dual_bitop2_b32 v22, v16, v20 bitop3:0x54
	v_cmp_gt_i32_e64 s1, s14, v24
	v_cndmask_b32_e64 v1, 0, v1, s1
	v_cmp_gt_i32_e64 s1, s23, v25
	s_delay_alu instid0(VALU_DEP_1) | instskip(NEXT) | instid1(VALU_DEP_1)
	v_dual_cndmask_b32 v4, 0, v4, s1 :: v_dual_bitop2_b32 v21, v1, v17 bitop3:0x54
	v_or_b32_e32 v20, v4, v18
.LBB245_267:                            ;   in Loop: Header=BB245_201 Depth=1
	s_or_b32 exec_lo, exec_lo, s15
	v_and_b32_e32 v1, 0xffff, v38
	v_and_b32_e32 v4, 0xffff, v39
	;; [unrolled: 1-line block ×4, first 2 shown]
	s_mov_b32 s15, exec_lo
	v_lshl_or_b32 v39, v36, 16, v1
	;;#ASMSTART
	v_pk_mul_f16 v1, v39, v23;

	;;#ASMEND
	v_lshl_or_b32 v38, v37, 16, v4
	v_lshl_or_b32 v37, v40, 16, v16
	;; [unrolled: 1-line block ×3, first 2 shown]
	;;#ASMSTART
	v_pk_mul_f16 v4, v38, v22;

	;;#ASMEND
	;;#ASMSTART
	v_pk_mul_f16 v16, v37, v21;

	;;#ASMEND
	;; [unrolled: 4-line block ×3, first 2 shown]
	;;#ASMSTART
	v_pk_add_f16 v1, v1, v4;

	;;#ASMEND
	;;#ASMSTART
	v_pk_add_f16 v1, v1, v16;

	;;#ASMEND
	;; [unrolled: 4-line block ×3, first 2 shown]
	v_and_b32_e32 v4, 0xffff, v1
	v_lshrrev_b32_e32 v1, 16, v1
	;;#ASMSTART
	v_cvt_f32_f16 v33, v4;
	;;#ASMEND
	;;#ASMSTART
	v_cvt_f32_f16 v34, v1;
	;;#ASMEND
	global_load_b64 v[16:17], v[14:15], off offset:256
	s_wait_xcnt 0x0
	v_dual_mov_b32 v1, 0 :: v_dual_mov_b32 v15, 0
	global_load_b32 v14, v1, s[10:11]
	s_wait_loadcnt 0x1
	v_and_b32_e32 v4, 0xff, v16
	s_wait_xcnt 0x0
	s_delay_alu instid0(VALU_DEP_1)
	v_cmpx_ne_u16_e32 0, v4
	s_cbranch_execz .LBB245_275
; %bb.268:                              ;   in Loop: Header=BB245_201 Depth=1
	v_mov_b32_e32 v15, 0x8000
	s_mov_b32 s16, exec_lo
	v_cmpx_ne_u16_e32 0x80, v4
	s_cbranch_execz .LBB245_274
; %bb.269:                              ;   in Loop: Header=BB245_201 Depth=1
	v_and_b32_e32 v18, 0x7f, v16
	v_mov_b32_e32 v15, 0x7c01
	s_mov_b32 s17, exec_lo
	s_delay_alu instid0(VALU_DEP_2)
	v_cmpx_ne_u32_e32 0x7f, v18
	s_cbranch_execz .LBB245_273
; %bb.270:                              ;   in Loop: Header=BB245_201 Depth=1
	v_dual_lshrrev_b32 v15, 3, v18 :: v_dual_bitop2_b32 v4, 7, v16 bitop3:0x40
	s_mov_b32 s18, exec_lo
	v_cmpx_gt_u32_e32 8, v18
; %bb.271:                              ;   in Loop: Header=BB245_201 Depth=1
	s_delay_alu instid0(VALU_DEP_2) | instskip(NEXT) | instid1(VALU_DEP_1)
	v_clz_i32_u32_e32 v4, v4
	v_min_u32_e32 v4, 32, v4
	s_delay_alu instid0(VALU_DEP_1) | instskip(NEXT) | instid1(VALU_DEP_1)
	v_subrev_nc_u32_e32 v15, 28, v4
	v_lshlrev_b64_e32 v[18:19], v15, v[16:17]
	s_delay_alu instid0(VALU_DEP_1)
	v_dual_sub_nc_u32 v15, 29, v4 :: v_dual_bitop2_b32 v4, 7, v18 bitop3:0x40
; %bb.272:                              ;   in Loop: Header=BB245_201 Depth=1
	s_or_b32 exec_lo, exec_lo, s18
	v_lshlrev_b32_e32 v18, 8, v16
	s_delay_alu instid0(VALU_DEP_2) | instskip(NEXT) | instid1(VALU_DEP_3)
	v_lshl_add_u32 v15, v15, 10, 0x2000
	v_lshlrev_b32_e32 v4, 7, v4
	s_delay_alu instid0(VALU_DEP_3) | instskip(NEXT) | instid1(VALU_DEP_3)
	v_and_b32_e32 v18, 0x8000, v18
	v_and_b32_e32 v15, 0xfc00, v15
	s_delay_alu instid0(VALU_DEP_1)
	v_or3_b32 v15, v18, v15, v4
.LBB245_273:                            ;   in Loop: Header=BB245_201 Depth=1
	s_or_b32 exec_lo, exec_lo, s17
.LBB245_274:                            ;   in Loop: Header=BB245_201 Depth=1
	s_delay_alu instid0(SALU_CYCLE_1)
	s_or_b32 exec_lo, exec_lo, s16
.LBB245_275:                            ;   in Loop: Header=BB245_201 Depth=1
	s_delay_alu instid0(SALU_CYCLE_1) | instskip(SKIP_2) | instid1(VALU_DEP_1)
	s_or_b32 exec_lo, exec_lo, s15
	v_lshrrev_b16 v4, 8, v16
	s_mov_b32 s15, exec_lo
	v_cmpx_ne_u16_e32 0, v4
	s_cbranch_execz .LBB245_283
; %bb.276:                              ;   in Loop: Header=BB245_201 Depth=1
	v_bfrev_b32_e32 v1, 1
	s_mov_b32 s16, exec_lo
	v_cmpx_ne_u16_e32 0x80, v4
	s_cbranch_execz .LBB245_282
; %bb.277:                              ;   in Loop: Header=BB245_201 Depth=1
	v_and_b32_e32 v18, 0xffff, v4
	v_mov_b32_e32 v1, 0x7c010000
	s_mov_b32 s17, exec_lo
	s_delay_alu instid0(VALU_DEP_2) | instskip(NEXT) | instid1(VALU_DEP_1)
	v_and_b32_e32 v20, 0x7f, v18
	v_cmpx_ne_u32_e32 0x7f, v20
	s_cbranch_execz .LBB245_281
; %bb.278:                              ;   in Loop: Header=BB245_201 Depth=1
	v_dual_lshrrev_b32 v19, 3, v20 :: v_dual_bitop2_b32 v1, 7, v18 bitop3:0x40
	s_mov_b32 s18, exec_lo
	v_cmpx_gt_u32_e32 8, v20
; %bb.279:                              ;   in Loop: Header=BB245_201 Depth=1
	s_delay_alu instid0(VALU_DEP_2) | instskip(NEXT) | instid1(VALU_DEP_1)
	v_clz_i32_u32_e32 v1, v1
	v_min_u32_e32 v1, 32, v1
	s_delay_alu instid0(VALU_DEP_1) | instskip(NEXT) | instid1(VALU_DEP_1)
	v_subrev_nc_u32_e32 v19, 28, v1
	v_lshlrev_b64_e32 v[20:21], v19, v[4:5]
	s_delay_alu instid0(VALU_DEP_1)
	v_dual_sub_nc_u32 v19, 29, v1 :: v_dual_bitop2_b32 v1, 7, v20 bitop3:0x40
; %bb.280:                              ;   in Loop: Header=BB245_201 Depth=1
	s_or_b32 exec_lo, exec_lo, s18
	s_delay_alu instid0(VALU_DEP_1) | instskip(NEXT) | instid1(VALU_DEP_2)
	v_dual_lshlrev_b32 v4, 8, v18 :: v_dual_lshlrev_b32 v1, 23, v1
	v_lshl_add_u32 v18, v19, 10, 0x2000
	s_delay_alu instid0(VALU_DEP_1) | instskip(NEXT) | instid1(VALU_DEP_1)
	v_and_or_b32 v4, 0x8000, v4, v18
	v_lshl_or_b32 v1, v4, 16, v1
.LBB245_281:                            ;   in Loop: Header=BB245_201 Depth=1
	s_or_b32 exec_lo, exec_lo, s17
.LBB245_282:                            ;   in Loop: Header=BB245_201 Depth=1
	s_delay_alu instid0(SALU_CYCLE_1)
	s_or_b32 exec_lo, exec_lo, s16
.LBB245_283:                            ;   in Loop: Header=BB245_201 Depth=1
	s_delay_alu instid0(SALU_CYCLE_1) | instskip(SKIP_3) | instid1(VALU_DEP_2)
	s_or_b32 exec_lo, exec_lo, s15
	v_dual_lshrrev_b32 v4, 16, v16 :: v_dual_mov_b32 v18, 0
	v_mov_b32_e32 v19, 0
	s_mov_b32 s15, exec_lo
	v_and_b32_e32 v20, 0xff, v4
	s_delay_alu instid0(VALU_DEP_1)
	v_cmpx_ne_u16_e32 0, v20
	s_cbranch_execz .LBB245_291
; %bb.284:                              ;   in Loop: Header=BB245_201 Depth=1
	v_mov_b32_e32 v19, 0x8000
	s_mov_b32 s16, exec_lo
	v_cmpx_ne_u16_e32 0x80, v20
	s_cbranch_execz .LBB245_290
; %bb.285:                              ;   in Loop: Header=BB245_201 Depth=1
	v_bfe_u32 v21, v16, 16, 7
	v_mov_b32_e32 v19, 0x7c01
	s_mov_b32 s17, exec_lo
	s_delay_alu instid0(VALU_DEP_2)
	v_cmpx_ne_u32_e32 0x7f, v21
	s_cbranch_execz .LBB245_289
; %bb.286:                              ;   in Loop: Header=BB245_201 Depth=1
	v_dual_lshrrev_b32 v20, 3, v21 :: v_dual_bitop2_b32 v19, 7, v4 bitop3:0x40
	s_mov_b32 s18, exec_lo
	v_cmpx_gt_u32_e32 8, v21
; %bb.287:                              ;   in Loop: Header=BB245_201 Depth=1
	s_delay_alu instid0(VALU_DEP_2) | instskip(NEXT) | instid1(VALU_DEP_1)
	v_clz_i32_u32_e32 v19, v19
	v_min_u32_e32 v19, 32, v19
	s_delay_alu instid0(VALU_DEP_1) | instskip(NEXT) | instid1(VALU_DEP_1)
	v_subrev_nc_u32_e32 v20, 28, v19
	v_lshlrev_b64_e32 v[22:23], v20, v[4:5]
	s_delay_alu instid0(VALU_DEP_1)
	v_dual_sub_nc_u32 v20, 29, v19 :: v_dual_bitop2_b32 v19, 7, v22 bitop3:0x40
; %bb.288:                              ;   in Loop: Header=BB245_201 Depth=1
	s_or_b32 exec_lo, exec_lo, s18
	s_delay_alu instid0(VALU_DEP_1) | instskip(NEXT) | instid1(VALU_DEP_2)
	v_dual_lshlrev_b32 v4, 8, v4 :: v_dual_lshlrev_b32 v19, 7, v19
	v_lshl_add_u32 v20, v20, 10, 0x2000
	s_delay_alu instid0(VALU_DEP_2) | instskip(NEXT) | instid1(VALU_DEP_2)
	v_and_b32_e32 v4, 0x8000, v4
	v_and_b32_e32 v20, 0xfc00, v20
	s_delay_alu instid0(VALU_DEP_1)
	v_or3_b32 v19, v4, v20, v19
.LBB245_289:                            ;   in Loop: Header=BB245_201 Depth=1
	s_or_b32 exec_lo, exec_lo, s17
.LBB245_290:                            ;   in Loop: Header=BB245_201 Depth=1
	s_delay_alu instid0(SALU_CYCLE_1)
	s_or_b32 exec_lo, exec_lo, s16
.LBB245_291:                            ;   in Loop: Header=BB245_201 Depth=1
	s_delay_alu instid0(SALU_CYCLE_1) | instskip(NEXT) | instid1(SALU_CYCLE_1)
	s_or_b32 exec_lo, exec_lo, s15
	s_mov_b32 s15, exec_lo
	v_cmpx_lt_u32_e32 0xffffff, v16
	s_cbranch_execz .LBB245_299
; %bb.292:                              ;   in Loop: Header=BB245_201 Depth=1
	v_lshrrev_b32_e32 v4, 24, v16
	v_bfrev_b32_e32 v18, 1
	s_mov_b32 s16, exec_lo
	s_delay_alu instid0(VALU_DEP_2)
	v_cmpx_ne_u32_e32 0x80, v4
	s_cbranch_execz .LBB245_298
; %bb.293:                              ;   in Loop: Header=BB245_201 Depth=1
	v_and_b32_e32 v21, 0x7f, v4
	v_mov_b32_e32 v18, 0x7c010000
	s_mov_b32 s17, exec_lo
	s_delay_alu instid0(VALU_DEP_2)
	v_cmpx_ne_u32_e32 0x7f, v21
	s_cbranch_execz .LBB245_297
; %bb.294:                              ;   in Loop: Header=BB245_201 Depth=1
	v_dual_lshrrev_b32 v20, 3, v21 :: v_dual_bitop2_b32 v18, 7, v4 bitop3:0x40
	s_mov_b32 s18, exec_lo
	v_cmpx_gt_u32_e32 8, v21
; %bb.295:                              ;   in Loop: Header=BB245_201 Depth=1
	s_delay_alu instid0(VALU_DEP_2) | instskip(NEXT) | instid1(VALU_DEP_1)
	v_clz_i32_u32_e32 v18, v18
	v_min_u32_e32 v18, 32, v18
	s_delay_alu instid0(VALU_DEP_1) | instskip(NEXT) | instid1(VALU_DEP_1)
	v_subrev_nc_u32_e32 v20, 28, v18
	v_lshlrev_b64_e32 v[22:23], v20, v[4:5]
	v_sub_nc_u32_e32 v20, 29, v18
	s_delay_alu instid0(VALU_DEP_2)
	v_and_b32_e32 v18, 7, v22
; %bb.296:                              ;   in Loop: Header=BB245_201 Depth=1
	s_or_b32 exec_lo, exec_lo, s18
	s_delay_alu instid0(VALU_DEP_1) | instskip(NEXT) | instid1(VALU_DEP_3)
	v_dual_lshlrev_b32 v4, 8, v4 :: v_dual_lshlrev_b32 v18, 23, v18
	v_lshl_add_u32 v20, v20, 10, 0x2000
	s_delay_alu instid0(VALU_DEP_1) | instskip(NEXT) | instid1(VALU_DEP_1)
	v_and_or_b32 v4, 0x8000, v4, v20
	v_lshl_or_b32 v18, v4, 16, v18
.LBB245_297:                            ;   in Loop: Header=BB245_201 Depth=1
	s_or_b32 exec_lo, exec_lo, s17
.LBB245_298:                            ;   in Loop: Header=BB245_201 Depth=1
	s_delay_alu instid0(SALU_CYCLE_1)
	s_or_b32 exec_lo, exec_lo, s16
.LBB245_299:                            ;   in Loop: Header=BB245_201 Depth=1
	s_delay_alu instid0(SALU_CYCLE_1) | instskip(SKIP_4) | instid1(VALU_DEP_3)
	s_or_b32 exec_lo, exec_lo, s15
	v_and_b32_e32 v22, 0xff, v17
	v_dual_mov_b32 v4, v17 :: v_dual_mov_b32 v21, 0
	v_mov_b32_e32 v20, 0
	s_mov_b32 s15, exec_lo
	v_cmpx_ne_u16_e32 0, v22
	s_cbranch_execz .LBB245_307
; %bb.300:                              ;   in Loop: Header=BB245_201 Depth=1
	v_mov_b32_e32 v20, 0x8000
	s_mov_b32 s16, exec_lo
	v_cmpx_ne_u16_e32 0x80, v22
	s_cbranch_execz .LBB245_306
; %bb.301:                              ;   in Loop: Header=BB245_201 Depth=1
	v_and_b32_e32 v23, 0x7f, v17
	v_mov_b32_e32 v20, 0x7c01
	s_mov_b32 s17, exec_lo
	s_delay_alu instid0(VALU_DEP_2)
	v_cmpx_ne_u32_e32 0x7f, v23
	s_cbranch_execz .LBB245_305
; %bb.302:                              ;   in Loop: Header=BB245_201 Depth=1
	v_dual_lshrrev_b32 v22, 3, v23 :: v_dual_bitop2_b32 v20, 7, v17 bitop3:0x40
	s_mov_b32 s18, exec_lo
	v_cmpx_gt_u32_e32 8, v23
; %bb.303:                              ;   in Loop: Header=BB245_201 Depth=1
	s_delay_alu instid0(VALU_DEP_2) | instskip(NEXT) | instid1(VALU_DEP_1)
	v_clz_i32_u32_e32 v20, v20
	v_min_u32_e32 v20, 32, v20
	s_delay_alu instid0(VALU_DEP_1) | instskip(NEXT) | instid1(VALU_DEP_1)
	v_subrev_nc_u32_e32 v22, 28, v20
	v_lshlrev_b64_e32 v[24:25], v22, v[4:5]
	v_sub_nc_u32_e32 v22, 29, v20
	s_delay_alu instid0(VALU_DEP_2)
	v_and_b32_e32 v20, 7, v24
; %bb.304:                              ;   in Loop: Header=BB245_201 Depth=1
	s_or_b32 exec_lo, exec_lo, s18
	s_delay_alu instid0(VALU_DEP_1) | instskip(NEXT) | instid1(VALU_DEP_3)
	v_dual_lshlrev_b32 v23, 8, v17 :: v_dual_lshlrev_b32 v20, 7, v20
	v_lshl_add_u32 v22, v22, 10, 0x2000
	s_delay_alu instid0(VALU_DEP_2) | instskip(NEXT) | instid1(VALU_DEP_2)
	v_and_b32_e32 v23, 0x8000, v23
	v_and_b32_e32 v22, 0xfc00, v22
	s_delay_alu instid0(VALU_DEP_1)
	v_or3_b32 v20, v23, v22, v20
.LBB245_305:                            ;   in Loop: Header=BB245_201 Depth=1
	s_or_b32 exec_lo, exec_lo, s17
.LBB245_306:                            ;   in Loop: Header=BB245_201 Depth=1
	s_delay_alu instid0(SALU_CYCLE_1)
	s_or_b32 exec_lo, exec_lo, s16
.LBB245_307:                            ;   in Loop: Header=BB245_201 Depth=1
	s_delay_alu instid0(SALU_CYCLE_1) | instskip(SKIP_3) | instid1(VALU_DEP_2)
	s_or_b32 exec_lo, exec_lo, s15
	v_lshrrev_b16 v4, 8, v4
	v_mov_b32_e32 v22, 0
	s_mov_b32 s15, exec_lo
	v_cmpx_ne_u16_e32 0, v4
	s_cbranch_execz .LBB245_315
; %bb.308:                              ;   in Loop: Header=BB245_201 Depth=1
	v_bfrev_b32_e32 v22, 1
	s_mov_b32 s16, exec_lo
	v_cmpx_ne_u16_e32 0x80, v4
	s_cbranch_execz .LBB245_314
; %bb.309:                              ;   in Loop: Header=BB245_201 Depth=1
	v_and_b32_e32 v23, 0xffff, v4
	v_mov_b32_e32 v22, 0x7c010000
	s_mov_b32 s17, exec_lo
	s_delay_alu instid0(VALU_DEP_2) | instskip(NEXT) | instid1(VALU_DEP_1)
	v_and_b32_e32 v25, 0x7f, v23
	v_cmpx_ne_u32_e32 0x7f, v25
	s_cbranch_execz .LBB245_313
; %bb.310:                              ;   in Loop: Header=BB245_201 Depth=1
	v_dual_lshrrev_b32 v24, 3, v25 :: v_dual_bitop2_b32 v22, 7, v23 bitop3:0x40
	s_mov_b32 s18, exec_lo
	v_cmpx_gt_u32_e32 8, v25
; %bb.311:                              ;   in Loop: Header=BB245_201 Depth=1
	s_delay_alu instid0(VALU_DEP_2) | instskip(NEXT) | instid1(VALU_DEP_1)
	v_clz_i32_u32_e32 v22, v22
	v_min_u32_e32 v22, 32, v22
	s_delay_alu instid0(VALU_DEP_1) | instskip(NEXT) | instid1(VALU_DEP_1)
	v_subrev_nc_u32_e32 v24, 28, v22
	v_lshlrev_b64_e32 v[40:41], v24, v[4:5]
	s_delay_alu instid0(VALU_DEP_1)
	v_dual_sub_nc_u32 v24, 29, v22 :: v_dual_bitop2_b32 v22, 7, v40 bitop3:0x40
; %bb.312:                              ;   in Loop: Header=BB245_201 Depth=1
	s_or_b32 exec_lo, exec_lo, s18
	s_delay_alu instid0(VALU_DEP_1) | instskip(NEXT) | instid1(VALU_DEP_2)
	v_dual_lshlrev_b32 v4, 8, v23 :: v_dual_lshlrev_b32 v22, 23, v22
	v_lshl_add_u32 v23, v24, 10, 0x2000
	s_delay_alu instid0(VALU_DEP_1) | instskip(NEXT) | instid1(VALU_DEP_1)
	v_and_or_b32 v4, 0x8000, v4, v23
	v_lshl_or_b32 v22, v4, 16, v22
.LBB245_313:                            ;   in Loop: Header=BB245_201 Depth=1
	s_or_b32 exec_lo, exec_lo, s17
.LBB245_314:                            ;   in Loop: Header=BB245_201 Depth=1
	s_delay_alu instid0(SALU_CYCLE_1)
	s_or_b32 exec_lo, exec_lo, s16
.LBB245_315:                            ;   in Loop: Header=BB245_201 Depth=1
	s_delay_alu instid0(SALU_CYCLE_1) | instskip(SKIP_2) | instid1(VALU_DEP_1)
	s_or_b32 exec_lo, exec_lo, s15
	v_lshrrev_b32_e32 v4, 16, v17
	s_mov_b32 s15, exec_lo
	v_and_b32_e32 v23, 0xff, v4
	s_delay_alu instid0(VALU_DEP_1)
	v_cmpx_ne_u16_e32 0, v23
	s_cbranch_execz .LBB245_323
; %bb.316:                              ;   in Loop: Header=BB245_201 Depth=1
	v_mov_b32_e32 v21, 0x8000
	s_mov_b32 s16, exec_lo
	v_cmpx_ne_u16_e32 0x80, v23
	s_cbranch_execz .LBB245_322
; %bb.317:                              ;   in Loop: Header=BB245_201 Depth=1
	v_bfe_u32 v24, v17, 16, 7
	v_mov_b32_e32 v21, 0x7c01
	s_mov_b32 s17, exec_lo
	s_delay_alu instid0(VALU_DEP_2)
	v_cmpx_ne_u32_e32 0x7f, v24
	s_cbranch_execz .LBB245_321
; %bb.318:                              ;   in Loop: Header=BB245_201 Depth=1
	v_and_b32_e32 v21, 7, v4
	v_lshrrev_b32_e32 v23, 3, v24
	s_mov_b32 s18, exec_lo
	v_cmpx_gt_u32_e32 8, v24
; %bb.319:                              ;   in Loop: Header=BB245_201 Depth=1
	s_delay_alu instid0(VALU_DEP_3) | instskip(NEXT) | instid1(VALU_DEP_1)
	v_clz_i32_u32_e32 v21, v21
	v_min_u32_e32 v21, 32, v21
	s_delay_alu instid0(VALU_DEP_1) | instskip(NEXT) | instid1(VALU_DEP_1)
	v_subrev_nc_u32_e32 v23, 28, v21
	v_lshlrev_b64_e32 v[24:25], v23, v[4:5]
	s_delay_alu instid0(VALU_DEP_1)
	v_dual_sub_nc_u32 v23, 29, v21 :: v_dual_bitop2_b32 v21, 7, v24 bitop3:0x40
; %bb.320:                              ;   in Loop: Header=BB245_201 Depth=1
	s_or_b32 exec_lo, exec_lo, s18
	s_delay_alu instid0(VALU_DEP_1) | instskip(NEXT) | instid1(VALU_DEP_2)
	v_dual_lshlrev_b32 v4, 8, v4 :: v_dual_lshlrev_b32 v21, 7, v21
	v_lshl_add_u32 v23, v23, 10, 0x2000
	s_delay_alu instid0(VALU_DEP_2) | instskip(NEXT) | instid1(VALU_DEP_2)
	v_and_b32_e32 v4, 0x8000, v4
	v_and_b32_e32 v23, 0xfc00, v23
	s_delay_alu instid0(VALU_DEP_1)
	v_or3_b32 v21, v4, v23, v21
.LBB245_321:                            ;   in Loop: Header=BB245_201 Depth=1
	s_or_b32 exec_lo, exec_lo, s17
.LBB245_322:                            ;   in Loop: Header=BB245_201 Depth=1
	s_delay_alu instid0(SALU_CYCLE_1)
	s_or_b32 exec_lo, exec_lo, s16
.LBB245_323:                            ;   in Loop: Header=BB245_201 Depth=1
	s_delay_alu instid0(SALU_CYCLE_1)
	s_or_b32 exec_lo, exec_lo, s15
	v_cmp_lt_u64_e64 s1, s[4:5], v[16:17]
	v_mov_b32_e32 v16, 0
	s_and_saveexec_b32 s15, s1
	s_cbranch_execz .LBB245_331
; %bb.324:                              ;   in Loop: Header=BB245_201 Depth=1
	v_lshrrev_b32_e32 v4, 24, v17
	v_bfrev_b32_e32 v16, 1
	s_mov_b32 s16, exec_lo
	s_delay_alu instid0(VALU_DEP_2)
	v_cmpx_ne_u32_e32 0x80, v4
	s_cbranch_execz .LBB245_330
; %bb.325:                              ;   in Loop: Header=BB245_201 Depth=1
	v_and_b32_e32 v23, 0x7f, v4
	v_mov_b32_e32 v16, 0x7c010000
	s_mov_b32 s17, exec_lo
	s_delay_alu instid0(VALU_DEP_2)
	v_cmpx_ne_u32_e32 0x7f, v23
	s_cbranch_execz .LBB245_329
; %bb.326:                              ;   in Loop: Header=BB245_201 Depth=1
	v_dual_lshrrev_b32 v17, 3, v23 :: v_dual_bitop2_b32 v16, 7, v4 bitop3:0x40
	s_mov_b32 s18, exec_lo
	v_cmpx_gt_u32_e32 8, v23
; %bb.327:                              ;   in Loop: Header=BB245_201 Depth=1
	s_delay_alu instid0(VALU_DEP_2) | instskip(NEXT) | instid1(VALU_DEP_1)
	v_clz_i32_u32_e32 v16, v16
	v_min_u32_e32 v23, 32, v16
	s_delay_alu instid0(VALU_DEP_1) | instskip(NEXT) | instid1(VALU_DEP_1)
	v_subrev_nc_u32_e32 v16, 28, v23
	v_lshlrev_b64_e32 v[16:17], v16, v[4:5]
	s_delay_alu instid0(VALU_DEP_1)
	v_dual_sub_nc_u32 v17, 29, v23 :: v_dual_bitop2_b32 v16, 7, v16 bitop3:0x40
; %bb.328:                              ;   in Loop: Header=BB245_201 Depth=1
	s_or_b32 exec_lo, exec_lo, s18
	v_lshlrev_b32_e32 v4, 8, v4
	s_delay_alu instid0(VALU_DEP_2) | instskip(NEXT) | instid1(VALU_DEP_3)
	v_lshl_add_u32 v17, v17, 10, 0x2000
	v_lshlrev_b32_e32 v16, 23, v16
	s_delay_alu instid0(VALU_DEP_2) | instskip(NEXT) | instid1(VALU_DEP_1)
	v_and_or_b32 v4, 0x8000, v4, v17
	v_lshl_or_b32 v16, v4, 16, v16
.LBB245_329:                            ;   in Loop: Header=BB245_201 Depth=1
	s_or_b32 exec_lo, exec_lo, s17
.LBB245_330:                            ;   in Loop: Header=BB245_201 Depth=1
	s_delay_alu instid0(SALU_CYCLE_1)
	s_or_b32 exec_lo, exec_lo, s16
.LBB245_331:                            ;   in Loop: Header=BB245_201 Depth=1
	s_delay_alu instid0(SALU_CYCLE_1) | instskip(SKIP_3) | instid1(VALU_DEP_3)
	s_or_b32 exec_lo, exec_lo, s15
	v_dual_lshrrev_b32 v4, 16, v1 :: v_dual_lshrrev_b32 v17, 16, v18
	v_or_b32_e32 v1, v1, v15
	v_dual_lshrrev_b32 v23, 16, v16 :: v_dual_bitop2_b32 v15, v18, v19 bitop3:0x54
	v_cvt_f32_f16_e32 v19, v4
	s_delay_alu instid0(VALU_DEP_4) | instskip(SKIP_1) | instid1(VALU_DEP_4)
	v_cvt_f32_f16_e32 v18, v17
	v_dual_lshrrev_b32 v21, 16, v22 :: v_dual_bitop2_b32 v4, v16, v21 bitop3:0x54
	v_cvt_f32_f16_e32 v16, v15
	v_cvt_f32_f16_e32 v17, v1
	s_wait_loadcnt 0x0
	v_pk_mul_f32 v[18:19], v[14:15], v[18:19] op_sel_hi:[0,1]
	v_cvt_f32_f16_e32 v21, v21
	s_delay_alu instid0(VALU_DEP_2) | instskip(SKIP_3) | instid1(VALU_DEP_3)
	v_cvt_pk_f16_f32 v1, v18, v19
	v_or_b32_e32 v15, v22, v20
	v_cvt_f32_f16_e32 v20, v23
	v_cvt_f32_f16_e32 v22, v4
	;; [unrolled: 1-line block ×3, first 2 shown]
	v_pk_mul_f32 v[16:17], v[14:15], v[16:17] op_sel_hi:[0,1]
	s_delay_alu instid0(VALU_DEP_4) | instskip(NEXT) | instid1(VALU_DEP_3)
	v_pk_mul_f32 v[18:19], v[14:15], v[20:21] op_sel_hi:[0,1]
	v_pk_mul_f32 v[20:21], v[14:15], v[22:23] op_sel_hi:[0,1]
	s_delay_alu instid0(VALU_DEP_3) | instskip(NEXT) | instid1(VALU_DEP_3)
	v_cvt_pk_f16_f32 v4, v16, v17
	v_cvt_pk_f16_f32 v15, v18, v19
	v_and_b32_e32 v17, 0xffff0000, v1
	v_lshlrev_b32_e32 v14, 16, v1
	v_cvt_pk_f16_f32 v16, v20, v21
	v_lshrrev_b32_e32 v19, 16, v4
	v_and_b32_e32 v18, 0xffff, v4
	v_and_b32_e32 v1, 0xffff0000, v15
	s_delay_alu instid0(VALU_DEP_4) | instskip(SKIP_3) | instid1(VALU_DEP_4)
	v_dual_lshlrev_b32 v4, 16, v15 :: v_dual_lshrrev_b32 v15, 16, v16
	v_and_b32_e32 v16, 0xffff, v16
	v_or_b32_e32 v23, v17, v19
	v_or_b32_e32 v22, v14, v18
	v_or_b32_e32 v21, v1, v15
	s_delay_alu instid0(VALU_DEP_4)
	v_or_b32_e32 v20, v4, v16
	s_and_saveexec_b32 s15, s0
	s_cbranch_execz .LBB245_333
; %bb.332:                              ;   in Loop: Header=BB245_201 Depth=1
	v_dual_add_nc_u32 v20, 2, v30 :: v_dual_bitop2_b32 v21, 1, v30 bitop3:0x54
	v_cmp_gt_i32_e64 s1, s14, v30
	v_or_b32_e32 v22, 3, v30
	s_delay_alu instid0(VALU_DEP_2) | instskip(NEXT) | instid1(VALU_DEP_4)
	v_dual_cndmask_b32 v19, 0, v19, s1 :: v_dual_bitop2_b32 v23, 7, v30 bitop3:0x54
	v_cmp_gt_i32_e64 s1, s23, v20
	v_or_b32_e32 v20, 4, v30
	s_delay_alu instid0(VALU_DEP_2) | instskip(SKIP_1) | instid1(VALU_DEP_1)
	v_cndmask_b32_e64 v18, 0, v18, s1
	v_cmp_gt_i32_e64 s1, s14, v21
	v_dual_cndmask_b32 v17, 0, v17, s1 :: v_dual_bitop2_b32 v21, 6, v30 bitop3:0x54
	v_cmp_gt_i32_e64 s1, s23, v22
	v_or_b32_e32 v22, 5, v30
	s_delay_alu instid0(VALU_DEP_2) | instskip(SKIP_1) | instid1(VALU_DEP_1)
	v_cndmask_b32_e64 v14, 0, v14, s1
	v_cmp_gt_i32_e64 s1, s14, v20
	v_cndmask_b32_e64 v15, 0, v15, s1
	v_cmp_gt_i32_e64 s1, s23, v21
	s_delay_alu instid0(VALU_DEP_1) | instskip(SKIP_1) | instid1(VALU_DEP_1)
	v_cndmask_b32_e64 v16, 0, v16, s1
	v_cmp_gt_i32_e64 s1, s14, v22
	v_dual_cndmask_b32 v1, 0, v1, s1 :: v_dual_bitop2_b32 v22, v14, v18 bitop3:0x54
	v_cmp_gt_i32_e64 s1, s23, v23
	v_or_b32_e32 v23, v17, v19
	s_delay_alu instid0(VALU_DEP_2) | instskip(NEXT) | instid1(VALU_DEP_1)
	v_dual_cndmask_b32 v4, 0, v4, s1 :: v_dual_bitop2_b32 v21, v1, v15 bitop3:0x54
	v_or_b32_e32 v20, v4, v16
.LBB245_333:                            ;   in Loop: Header=BB245_201 Depth=1
	s_or_b32 exec_lo, exec_lo, s15
	;;#ASMSTART
	v_pk_mul_f16 v1, v39, v23;

	;;#ASMEND
	;;#ASMSTART
	v_pk_mul_f16 v4, v38, v22;

	;;#ASMEND
	;; [unrolled: 4-line block ×4, first 2 shown]
	;;#ASMSTART
	v_pk_add_f16 v1, v1, v4;

	;;#ASMEND
	;;#ASMSTART
	v_pk_add_f16 v1, v1, v14;

	;;#ASMEND
	;; [unrolled: 4-line block ×3, first 2 shown]
	v_and_b32_e32 v4, 0xffff, v1
	v_lshrrev_b32_e32 v1, 16, v1
	;;#ASMSTART
	v_cvt_f32_f16 v24, v4;
	;;#ASMEND
	;;#ASMSTART
	v_cvt_f32_f16 v25, v1;
	;;#ASMEND
	s_and_saveexec_b32 s15, vcc_lo
	s_cbranch_execz .LBB245_200
; %bb.334:                              ;   in Loop: Header=BB245_201 Depth=1
	v_add_nc_u64_e32 v[12:13], v[12:13], v[8:9]
	v_mov_b32_e32 v1, 0
	s_mov_b32 s16, exec_lo
	global_load_b64 v[14:15], v[12:13], off
	s_wait_xcnt 0x0
	v_mov_b32_e32 v13, 0
	global_load_b32 v12, v1, s[10:11]
	s_wait_loadcnt 0x1
	v_and_b32_e32 v4, 0xff, v14
	s_wait_xcnt 0x0
	s_delay_alu instid0(VALU_DEP_1)
	v_cmpx_ne_u16_e32 0, v4
	s_cbranch_execz .LBB245_342
; %bb.335:                              ;   in Loop: Header=BB245_201 Depth=1
	v_mov_b32_e32 v13, 0x8000
	s_mov_b32 s17, exec_lo
	v_cmpx_ne_u16_e32 0x80, v4
	s_cbranch_execz .LBB245_341
; %bb.336:                              ;   in Loop: Header=BB245_201 Depth=1
	v_and_b32_e32 v16, 0x7f, v14
	v_mov_b32_e32 v13, 0x7c01
	s_mov_b32 s18, exec_lo
	s_delay_alu instid0(VALU_DEP_2)
	v_cmpx_ne_u32_e32 0x7f, v16
	s_cbranch_execz .LBB245_340
; %bb.337:                              ;   in Loop: Header=BB245_201 Depth=1
	v_dual_lshrrev_b32 v13, 3, v16 :: v_dual_bitop2_b32 v4, 7, v14 bitop3:0x40
	s_mov_b32 s19, exec_lo
	v_cmpx_gt_u32_e32 8, v16
; %bb.338:                              ;   in Loop: Header=BB245_201 Depth=1
	s_delay_alu instid0(VALU_DEP_2) | instskip(NEXT) | instid1(VALU_DEP_1)
	v_clz_i32_u32_e32 v4, v4
	v_min_u32_e32 v4, 32, v4
	s_delay_alu instid0(VALU_DEP_1) | instskip(NEXT) | instid1(VALU_DEP_1)
	v_subrev_nc_u32_e32 v13, 28, v4
	v_lshlrev_b64_e32 v[16:17], v13, v[14:15]
	v_sub_nc_u32_e32 v13, 29, v4
	s_delay_alu instid0(VALU_DEP_2)
	v_and_b32_e32 v4, 7, v16
; %bb.339:                              ;   in Loop: Header=BB245_201 Depth=1
	s_or_b32 exec_lo, exec_lo, s19
	s_delay_alu instid0(VALU_DEP_1) | instskip(NEXT) | instid1(VALU_DEP_3)
	v_dual_lshlrev_b32 v16, 8, v14 :: v_dual_lshlrev_b32 v4, 7, v4
	v_lshl_add_u32 v13, v13, 10, 0x2000
	s_delay_alu instid0(VALU_DEP_2) | instskip(NEXT) | instid1(VALU_DEP_2)
	v_and_b32_e32 v16, 0x8000, v16
	v_and_b32_e32 v13, 0xfc00, v13
	s_delay_alu instid0(VALU_DEP_1)
	v_or3_b32 v13, v16, v13, v4
.LBB245_340:                            ;   in Loop: Header=BB245_201 Depth=1
	s_or_b32 exec_lo, exec_lo, s18
.LBB245_341:                            ;   in Loop: Header=BB245_201 Depth=1
	s_delay_alu instid0(SALU_CYCLE_1)
	s_or_b32 exec_lo, exec_lo, s17
.LBB245_342:                            ;   in Loop: Header=BB245_201 Depth=1
	s_delay_alu instid0(SALU_CYCLE_1) | instskip(SKIP_2) | instid1(VALU_DEP_1)
	s_or_b32 exec_lo, exec_lo, s16
	v_lshrrev_b16 v4, 8, v14
	s_mov_b32 s16, exec_lo
	v_cmpx_ne_u16_e32 0, v4
	s_cbranch_execz .LBB245_350
; %bb.343:                              ;   in Loop: Header=BB245_201 Depth=1
	v_bfrev_b32_e32 v1, 1
	s_mov_b32 s17, exec_lo
	v_cmpx_ne_u16_e32 0x80, v4
	s_cbranch_execz .LBB245_349
; %bb.344:                              ;   in Loop: Header=BB245_201 Depth=1
	v_and_b32_e32 v16, 0xffff, v4
	v_mov_b32_e32 v1, 0x7c010000
	s_mov_b32 s18, exec_lo
	s_delay_alu instid0(VALU_DEP_2) | instskip(NEXT) | instid1(VALU_DEP_1)
	v_and_b32_e32 v18, 0x7f, v16
	v_cmpx_ne_u32_e32 0x7f, v18
	s_cbranch_execz .LBB245_348
; %bb.345:                              ;   in Loop: Header=BB245_201 Depth=1
	v_dual_lshrrev_b32 v17, 3, v18 :: v_dual_bitop2_b32 v1, 7, v16 bitop3:0x40
	s_mov_b32 s19, exec_lo
	v_cmpx_gt_u32_e32 8, v18
; %bb.346:                              ;   in Loop: Header=BB245_201 Depth=1
	s_delay_alu instid0(VALU_DEP_2) | instskip(NEXT) | instid1(VALU_DEP_1)
	v_clz_i32_u32_e32 v1, v1
	v_min_u32_e32 v1, 32, v1
	s_delay_alu instid0(VALU_DEP_1) | instskip(NEXT) | instid1(VALU_DEP_1)
	v_subrev_nc_u32_e32 v17, 28, v1
	v_lshlrev_b64_e32 v[18:19], v17, v[4:5]
	s_delay_alu instid0(VALU_DEP_1)
	v_dual_sub_nc_u32 v17, 29, v1 :: v_dual_bitop2_b32 v1, 7, v18 bitop3:0x40
; %bb.347:                              ;   in Loop: Header=BB245_201 Depth=1
	s_or_b32 exec_lo, exec_lo, s19
	s_delay_alu instid0(VALU_DEP_1) | instskip(NEXT) | instid1(VALU_DEP_2)
	v_dual_lshlrev_b32 v4, 8, v16 :: v_dual_lshlrev_b32 v1, 23, v1
	v_lshl_add_u32 v16, v17, 10, 0x2000
	s_delay_alu instid0(VALU_DEP_1) | instskip(NEXT) | instid1(VALU_DEP_1)
	v_and_or_b32 v4, 0x8000, v4, v16
	v_lshl_or_b32 v1, v4, 16, v1
.LBB245_348:                            ;   in Loop: Header=BB245_201 Depth=1
	s_or_b32 exec_lo, exec_lo, s18
.LBB245_349:                            ;   in Loop: Header=BB245_201 Depth=1
	s_delay_alu instid0(SALU_CYCLE_1)
	s_or_b32 exec_lo, exec_lo, s17
.LBB245_350:                            ;   in Loop: Header=BB245_201 Depth=1
	s_delay_alu instid0(SALU_CYCLE_1) | instskip(SKIP_3) | instid1(VALU_DEP_2)
	s_or_b32 exec_lo, exec_lo, s16
	v_dual_lshrrev_b32 v4, 16, v14 :: v_dual_mov_b32 v16, 0
	v_mov_b32_e32 v17, 0
	s_mov_b32 s16, exec_lo
	v_and_b32_e32 v18, 0xff, v4
	s_delay_alu instid0(VALU_DEP_1)
	v_cmpx_ne_u16_e32 0, v18
	s_cbranch_execz .LBB245_358
; %bb.351:                              ;   in Loop: Header=BB245_201 Depth=1
	v_mov_b32_e32 v17, 0x8000
	s_mov_b32 s17, exec_lo
	v_cmpx_ne_u16_e32 0x80, v18
	s_cbranch_execz .LBB245_357
; %bb.352:                              ;   in Loop: Header=BB245_201 Depth=1
	v_bfe_u32 v19, v14, 16, 7
	v_mov_b32_e32 v17, 0x7c01
	s_mov_b32 s18, exec_lo
	s_delay_alu instid0(VALU_DEP_2)
	v_cmpx_ne_u32_e32 0x7f, v19
	s_cbranch_execz .LBB245_356
; %bb.353:                              ;   in Loop: Header=BB245_201 Depth=1
	v_dual_lshrrev_b32 v18, 3, v19 :: v_dual_bitop2_b32 v17, 7, v4 bitop3:0x40
	s_mov_b32 s19, exec_lo
	v_cmpx_gt_u32_e32 8, v19
; %bb.354:                              ;   in Loop: Header=BB245_201 Depth=1
	s_delay_alu instid0(VALU_DEP_2) | instskip(NEXT) | instid1(VALU_DEP_1)
	v_clz_i32_u32_e32 v17, v17
	v_min_u32_e32 v17, 32, v17
	s_delay_alu instid0(VALU_DEP_1) | instskip(NEXT) | instid1(VALU_DEP_1)
	v_subrev_nc_u32_e32 v18, 28, v17
	v_lshlrev_b64_e32 v[20:21], v18, v[4:5]
	s_delay_alu instid0(VALU_DEP_1)
	v_dual_sub_nc_u32 v18, 29, v17 :: v_dual_bitop2_b32 v17, 7, v20 bitop3:0x40
; %bb.355:                              ;   in Loop: Header=BB245_201 Depth=1
	s_or_b32 exec_lo, exec_lo, s19
	s_delay_alu instid0(VALU_DEP_1) | instskip(NEXT) | instid1(VALU_DEP_2)
	v_dual_lshlrev_b32 v4, 8, v4 :: v_dual_lshlrev_b32 v17, 7, v17
	v_lshl_add_u32 v18, v18, 10, 0x2000
	s_delay_alu instid0(VALU_DEP_2) | instskip(NEXT) | instid1(VALU_DEP_2)
	v_and_b32_e32 v4, 0x8000, v4
	v_and_b32_e32 v18, 0xfc00, v18
	s_delay_alu instid0(VALU_DEP_1)
	v_or3_b32 v17, v4, v18, v17
.LBB245_356:                            ;   in Loop: Header=BB245_201 Depth=1
	s_or_b32 exec_lo, exec_lo, s18
.LBB245_357:                            ;   in Loop: Header=BB245_201 Depth=1
	s_delay_alu instid0(SALU_CYCLE_1)
	s_or_b32 exec_lo, exec_lo, s17
.LBB245_358:                            ;   in Loop: Header=BB245_201 Depth=1
	s_delay_alu instid0(SALU_CYCLE_1) | instskip(NEXT) | instid1(SALU_CYCLE_1)
	s_or_b32 exec_lo, exec_lo, s16
	s_mov_b32 s16, exec_lo
	v_cmpx_lt_u32_e32 0xffffff, v14
	s_cbranch_execz .LBB245_366
; %bb.359:                              ;   in Loop: Header=BB245_201 Depth=1
	v_lshrrev_b32_e32 v4, 24, v14
	v_bfrev_b32_e32 v16, 1
	s_mov_b32 s17, exec_lo
	s_delay_alu instid0(VALU_DEP_2)
	v_cmpx_ne_u32_e32 0x80, v4
	s_cbranch_execz .LBB245_365
; %bb.360:                              ;   in Loop: Header=BB245_201 Depth=1
	v_and_b32_e32 v19, 0x7f, v4
	v_mov_b32_e32 v16, 0x7c010000
	s_mov_b32 s18, exec_lo
	s_delay_alu instid0(VALU_DEP_2)
	v_cmpx_ne_u32_e32 0x7f, v19
	s_cbranch_execz .LBB245_364
; %bb.361:                              ;   in Loop: Header=BB245_201 Depth=1
	v_dual_lshrrev_b32 v18, 3, v19 :: v_dual_bitop2_b32 v16, 7, v4 bitop3:0x40
	s_mov_b32 s19, exec_lo
	v_cmpx_gt_u32_e32 8, v19
; %bb.362:                              ;   in Loop: Header=BB245_201 Depth=1
	s_delay_alu instid0(VALU_DEP_2) | instskip(NEXT) | instid1(VALU_DEP_1)
	v_clz_i32_u32_e32 v16, v16
	v_min_u32_e32 v16, 32, v16
	s_delay_alu instid0(VALU_DEP_1) | instskip(NEXT) | instid1(VALU_DEP_1)
	v_subrev_nc_u32_e32 v18, 28, v16
	v_lshlrev_b64_e32 v[20:21], v18, v[4:5]
	v_sub_nc_u32_e32 v18, 29, v16
	s_delay_alu instid0(VALU_DEP_2)
	v_and_b32_e32 v16, 7, v20
; %bb.363:                              ;   in Loop: Header=BB245_201 Depth=1
	s_or_b32 exec_lo, exec_lo, s19
	v_lshlrev_b32_e32 v4, 8, v4
	s_delay_alu instid0(VALU_DEP_3) | instskip(NEXT) | instid1(VALU_DEP_3)
	v_lshl_add_u32 v18, v18, 10, 0x2000
	v_lshlrev_b32_e32 v16, 23, v16
	s_delay_alu instid0(VALU_DEP_2) | instskip(NEXT) | instid1(VALU_DEP_1)
	v_and_or_b32 v4, 0x8000, v4, v18
	v_lshl_or_b32 v16, v4, 16, v16
.LBB245_364:                            ;   in Loop: Header=BB245_201 Depth=1
	s_or_b32 exec_lo, exec_lo, s18
.LBB245_365:                            ;   in Loop: Header=BB245_201 Depth=1
	s_delay_alu instid0(SALU_CYCLE_1)
	s_or_b32 exec_lo, exec_lo, s17
.LBB245_366:                            ;   in Loop: Header=BB245_201 Depth=1
	s_delay_alu instid0(SALU_CYCLE_1) | instskip(SKIP_4) | instid1(VALU_DEP_3)
	s_or_b32 exec_lo, exec_lo, s16
	v_and_b32_e32 v20, 0xff, v15
	v_dual_mov_b32 v4, v15 :: v_dual_mov_b32 v19, 0
	v_mov_b32_e32 v18, 0
	s_mov_b32 s16, exec_lo
	v_cmpx_ne_u16_e32 0, v20
	s_cbranch_execz .LBB245_374
; %bb.367:                              ;   in Loop: Header=BB245_201 Depth=1
	v_mov_b32_e32 v18, 0x8000
	s_mov_b32 s17, exec_lo
	v_cmpx_ne_u16_e32 0x80, v20
	s_cbranch_execz .LBB245_373
; %bb.368:                              ;   in Loop: Header=BB245_201 Depth=1
	v_and_b32_e32 v21, 0x7f, v15
	v_mov_b32_e32 v18, 0x7c01
	s_mov_b32 s18, exec_lo
	s_delay_alu instid0(VALU_DEP_2)
	v_cmpx_ne_u32_e32 0x7f, v21
	s_cbranch_execz .LBB245_372
; %bb.369:                              ;   in Loop: Header=BB245_201 Depth=1
	v_dual_lshrrev_b32 v20, 3, v21 :: v_dual_bitop2_b32 v18, 7, v15 bitop3:0x40
	s_mov_b32 s19, exec_lo
	v_cmpx_gt_u32_e32 8, v21
; %bb.370:                              ;   in Loop: Header=BB245_201 Depth=1
	s_delay_alu instid0(VALU_DEP_2) | instskip(NEXT) | instid1(VALU_DEP_1)
	v_clz_i32_u32_e32 v18, v18
	v_min_u32_e32 v18, 32, v18
	s_delay_alu instid0(VALU_DEP_1) | instskip(NEXT) | instid1(VALU_DEP_1)
	v_subrev_nc_u32_e32 v20, 28, v18
	v_lshlrev_b64_e32 v[22:23], v20, v[4:5]
	v_sub_nc_u32_e32 v20, 29, v18
	s_delay_alu instid0(VALU_DEP_2)
	v_and_b32_e32 v18, 7, v22
; %bb.371:                              ;   in Loop: Header=BB245_201 Depth=1
	s_or_b32 exec_lo, exec_lo, s19
	s_delay_alu instid0(VALU_DEP_1) | instskip(NEXT) | instid1(VALU_DEP_3)
	v_dual_lshlrev_b32 v21, 8, v15 :: v_dual_lshlrev_b32 v18, 7, v18
	v_lshl_add_u32 v20, v20, 10, 0x2000
	s_delay_alu instid0(VALU_DEP_2) | instskip(NEXT) | instid1(VALU_DEP_2)
	v_and_b32_e32 v21, 0x8000, v21
	v_and_b32_e32 v20, 0xfc00, v20
	s_delay_alu instid0(VALU_DEP_1)
	v_or3_b32 v18, v21, v20, v18
.LBB245_372:                            ;   in Loop: Header=BB245_201 Depth=1
	s_or_b32 exec_lo, exec_lo, s18
.LBB245_373:                            ;   in Loop: Header=BB245_201 Depth=1
	s_delay_alu instid0(SALU_CYCLE_1)
	s_or_b32 exec_lo, exec_lo, s17
.LBB245_374:                            ;   in Loop: Header=BB245_201 Depth=1
	s_delay_alu instid0(SALU_CYCLE_1) | instskip(SKIP_3) | instid1(VALU_DEP_2)
	s_or_b32 exec_lo, exec_lo, s16
	v_lshrrev_b16 v4, 8, v4
	v_mov_b32_e32 v20, 0
	s_mov_b32 s16, exec_lo
	v_cmpx_ne_u16_e32 0, v4
	s_cbranch_execz .LBB245_382
; %bb.375:                              ;   in Loop: Header=BB245_201 Depth=1
	v_bfrev_b32_e32 v20, 1
	s_mov_b32 s17, exec_lo
	v_cmpx_ne_u16_e32 0x80, v4
	s_cbranch_execz .LBB245_381
; %bb.376:                              ;   in Loop: Header=BB245_201 Depth=1
	v_and_b32_e32 v21, 0xffff, v4
	v_mov_b32_e32 v20, 0x7c010000
	s_mov_b32 s18, exec_lo
	s_delay_alu instid0(VALU_DEP_2) | instskip(NEXT) | instid1(VALU_DEP_1)
	v_and_b32_e32 v23, 0x7f, v21
	v_cmpx_ne_u32_e32 0x7f, v23
	s_cbranch_execz .LBB245_380
; %bb.377:                              ;   in Loop: Header=BB245_201 Depth=1
	v_dual_lshrrev_b32 v22, 3, v23 :: v_dual_bitop2_b32 v20, 7, v21 bitop3:0x40
	s_mov_b32 s19, exec_lo
	v_cmpx_gt_u32_e32 8, v23
; %bb.378:                              ;   in Loop: Header=BB245_201 Depth=1
	s_delay_alu instid0(VALU_DEP_2) | instskip(NEXT) | instid1(VALU_DEP_1)
	v_clz_i32_u32_e32 v20, v20
	v_min_u32_e32 v20, 32, v20
	s_delay_alu instid0(VALU_DEP_1) | instskip(NEXT) | instid1(VALU_DEP_1)
	v_subrev_nc_u32_e32 v22, 28, v20
	v_lshlrev_b64_e32 v[40:41], v22, v[4:5]
	v_sub_nc_u32_e32 v22, 29, v20
	s_delay_alu instid0(VALU_DEP_2)
	v_and_b32_e32 v20, 7, v40
; %bb.379:                              ;   in Loop: Header=BB245_201 Depth=1
	s_or_b32 exec_lo, exec_lo, s19
	s_delay_alu instid0(VALU_DEP_1) | instskip(NEXT) | instid1(VALU_DEP_3)
	v_dual_lshlrev_b32 v4, 8, v21 :: v_dual_lshlrev_b32 v20, 23, v20
	v_lshl_add_u32 v21, v22, 10, 0x2000
	s_delay_alu instid0(VALU_DEP_1) | instskip(NEXT) | instid1(VALU_DEP_1)
	v_and_or_b32 v4, 0x8000, v4, v21
	v_lshl_or_b32 v20, v4, 16, v20
.LBB245_380:                            ;   in Loop: Header=BB245_201 Depth=1
	s_or_b32 exec_lo, exec_lo, s18
.LBB245_381:                            ;   in Loop: Header=BB245_201 Depth=1
	s_delay_alu instid0(SALU_CYCLE_1)
	s_or_b32 exec_lo, exec_lo, s17
.LBB245_382:                            ;   in Loop: Header=BB245_201 Depth=1
	s_delay_alu instid0(SALU_CYCLE_1) | instskip(SKIP_2) | instid1(VALU_DEP_1)
	s_or_b32 exec_lo, exec_lo, s16
	v_lshrrev_b32_e32 v4, 16, v15
	s_mov_b32 s16, exec_lo
	v_and_b32_e32 v21, 0xff, v4
	s_delay_alu instid0(VALU_DEP_1)
	v_cmpx_ne_u16_e32 0, v21
	s_cbranch_execz .LBB245_390
; %bb.383:                              ;   in Loop: Header=BB245_201 Depth=1
	v_mov_b32_e32 v19, 0x8000
	s_mov_b32 s17, exec_lo
	v_cmpx_ne_u16_e32 0x80, v21
	s_cbranch_execz .LBB245_389
; %bb.384:                              ;   in Loop: Header=BB245_201 Depth=1
	v_bfe_u32 v22, v15, 16, 7
	v_mov_b32_e32 v19, 0x7c01
	s_mov_b32 s18, exec_lo
	s_delay_alu instid0(VALU_DEP_2)
	v_cmpx_ne_u32_e32 0x7f, v22
	s_cbranch_execz .LBB245_388
; %bb.385:                              ;   in Loop: Header=BB245_201 Depth=1
	v_dual_lshrrev_b32 v21, 3, v22 :: v_dual_bitop2_b32 v19, 7, v4 bitop3:0x40
	s_mov_b32 s19, exec_lo
	v_cmpx_gt_u32_e32 8, v22
; %bb.386:                              ;   in Loop: Header=BB245_201 Depth=1
	s_delay_alu instid0(VALU_DEP_2) | instskip(NEXT) | instid1(VALU_DEP_1)
	v_clz_i32_u32_e32 v19, v19
	v_min_u32_e32 v19, 32, v19
	s_delay_alu instid0(VALU_DEP_1) | instskip(NEXT) | instid1(VALU_DEP_1)
	v_subrev_nc_u32_e32 v21, 28, v19
	v_lshlrev_b64_e32 v[22:23], v21, v[4:5]
	s_delay_alu instid0(VALU_DEP_1)
	v_dual_sub_nc_u32 v21, 29, v19 :: v_dual_bitop2_b32 v19, 7, v22 bitop3:0x40
; %bb.387:                              ;   in Loop: Header=BB245_201 Depth=1
	s_or_b32 exec_lo, exec_lo, s19
	s_delay_alu instid0(VALU_DEP_1) | instskip(NEXT) | instid1(VALU_DEP_2)
	v_dual_lshlrev_b32 v4, 8, v4 :: v_dual_lshlrev_b32 v19, 7, v19
	v_lshl_add_u32 v21, v21, 10, 0x2000
	s_delay_alu instid0(VALU_DEP_2) | instskip(NEXT) | instid1(VALU_DEP_2)
	v_and_b32_e32 v4, 0x8000, v4
	v_and_b32_e32 v21, 0xfc00, v21
	s_delay_alu instid0(VALU_DEP_1)
	v_or3_b32 v19, v4, v21, v19
.LBB245_388:                            ;   in Loop: Header=BB245_201 Depth=1
	s_or_b32 exec_lo, exec_lo, s18
.LBB245_389:                            ;   in Loop: Header=BB245_201 Depth=1
	s_delay_alu instid0(SALU_CYCLE_1)
	s_or_b32 exec_lo, exec_lo, s17
.LBB245_390:                            ;   in Loop: Header=BB245_201 Depth=1
	s_delay_alu instid0(SALU_CYCLE_1)
	s_or_b32 exec_lo, exec_lo, s16
	v_cmp_lt_u64_e64 s1, s[4:5], v[14:15]
	v_mov_b32_e32 v14, 0
	s_and_saveexec_b32 s16, s1
	s_cbranch_execz .LBB245_398
; %bb.391:                              ;   in Loop: Header=BB245_201 Depth=1
	v_lshrrev_b32_e32 v4, 24, v15
	v_bfrev_b32_e32 v14, 1
	s_mov_b32 s17, exec_lo
	s_delay_alu instid0(VALU_DEP_2)
	v_cmpx_ne_u32_e32 0x80, v4
	s_cbranch_execz .LBB245_397
; %bb.392:                              ;   in Loop: Header=BB245_201 Depth=1
	v_and_b32_e32 v21, 0x7f, v4
	v_mov_b32_e32 v14, 0x7c010000
	s_mov_b32 s18, exec_lo
	s_delay_alu instid0(VALU_DEP_2)
	v_cmpx_ne_u32_e32 0x7f, v21
	s_cbranch_execz .LBB245_396
; %bb.393:                              ;   in Loop: Header=BB245_201 Depth=1
	v_dual_lshrrev_b32 v15, 3, v21 :: v_dual_bitop2_b32 v14, 7, v4 bitop3:0x40
	s_mov_b32 s19, exec_lo
	v_cmpx_gt_u32_e32 8, v21
; %bb.394:                              ;   in Loop: Header=BB245_201 Depth=1
	s_delay_alu instid0(VALU_DEP_2) | instskip(NEXT) | instid1(VALU_DEP_1)
	v_clz_i32_u32_e32 v14, v14
	v_min_u32_e32 v21, 32, v14
	s_delay_alu instid0(VALU_DEP_1) | instskip(NEXT) | instid1(VALU_DEP_1)
	v_subrev_nc_u32_e32 v14, 28, v21
	v_lshlrev_b64_e32 v[14:15], v14, v[4:5]
	s_delay_alu instid0(VALU_DEP_1)
	v_dual_sub_nc_u32 v15, 29, v21 :: v_dual_bitop2_b32 v14, 7, v14 bitop3:0x40
; %bb.395:                              ;   in Loop: Header=BB245_201 Depth=1
	s_or_b32 exec_lo, exec_lo, s19
	s_delay_alu instid0(VALU_DEP_1) | instskip(NEXT) | instid1(VALU_DEP_2)
	v_dual_lshlrev_b32 v4, 8, v4 :: v_dual_lshlrev_b32 v14, 23, v14
	v_lshl_add_u32 v15, v15, 10, 0x2000
	s_delay_alu instid0(VALU_DEP_1) | instskip(NEXT) | instid1(VALU_DEP_1)
	v_and_or_b32 v4, 0x8000, v4, v15
	v_lshl_or_b32 v14, v4, 16, v14
.LBB245_396:                            ;   in Loop: Header=BB245_201 Depth=1
	s_or_b32 exec_lo, exec_lo, s18
.LBB245_397:                            ;   in Loop: Header=BB245_201 Depth=1
	s_delay_alu instid0(SALU_CYCLE_1)
	s_or_b32 exec_lo, exec_lo, s17
.LBB245_398:                            ;   in Loop: Header=BB245_201 Depth=1
	s_delay_alu instid0(SALU_CYCLE_1) | instskip(SKIP_3) | instid1(VALU_DEP_3)
	s_or_b32 exec_lo, exec_lo, s16
	v_dual_lshrrev_b32 v4, 16, v1 :: v_dual_lshrrev_b32 v15, 16, v16
	v_or_b32_e32 v1, v1, v13
	v_dual_lshrrev_b32 v21, 16, v14 :: v_dual_bitop2_b32 v13, v16, v17 bitop3:0x54
	v_cvt_f32_f16_e32 v17, v4
	s_delay_alu instid0(VALU_DEP_4) | instskip(SKIP_1) | instid1(VALU_DEP_4)
	v_cvt_f32_f16_e32 v16, v15
	v_dual_lshrrev_b32 v19, 16, v20 :: v_dual_bitop2_b32 v4, v14, v19 bitop3:0x54
	v_cvt_f32_f16_e32 v14, v13
	v_cvt_f32_f16_e32 v15, v1
	s_wait_loadcnt 0x0
	v_pk_mul_f32 v[16:17], v[12:13], v[16:17] op_sel_hi:[0,1]
	v_or_b32_e32 v13, v20, v18
	v_cvt_f32_f16_e32 v19, v19
	v_cvt_f32_f16_e32 v18, v21
	;; [unrolled: 1-line block ×3, first 2 shown]
	v_cvt_pk_f16_f32 v1, v16, v17
	v_cvt_f32_f16_e32 v21, v13
	v_pk_mul_f32 v[14:15], v[12:13], v[14:15] op_sel_hi:[0,1]
	v_pk_mul_f32 v[16:17], v[12:13], v[18:19] op_sel_hi:[0,1]
	s_delay_alu instid0(VALU_DEP_3) | instskip(NEXT) | instid1(VALU_DEP_3)
	v_pk_mul_f32 v[18:19], v[12:13], v[20:21] op_sel_hi:[0,1]
	v_cvt_pk_f16_f32 v4, v14, v15
	s_delay_alu instid0(VALU_DEP_3)
	v_cvt_pk_f16_f32 v13, v16, v17
	v_and_b32_e32 v15, 0xffff0000, v1
	v_lshlrev_b32_e32 v12, 16, v1
	v_cvt_pk_f16_f32 v14, v18, v19
	v_lshrrev_b32_e32 v17, 16, v4
	v_and_b32_e32 v16, 0xffff, v4
	v_and_b32_e32 v1, 0xffff0000, v13
	s_delay_alu instid0(VALU_DEP_4) | instskip(SKIP_3) | instid1(VALU_DEP_4)
	v_dual_lshlrev_b32 v4, 16, v13 :: v_dual_lshrrev_b32 v13, 16, v14
	v_and_b32_e32 v14, 0xffff, v14
	v_or_b32_e32 v21, v15, v17
	v_or_b32_e32 v20, v12, v16
	;; [unrolled: 1-line block ×3, first 2 shown]
	s_delay_alu instid0(VALU_DEP_4)
	v_or_b32_e32 v18, v4, v14
	s_and_saveexec_b32 s1, s0
	s_cbranch_execz .LBB245_199
; %bb.399:                              ;   in Loop: Header=BB245_201 Depth=1
	v_dual_add_nc_u32 v18, 2, v30 :: v_dual_bitop2_b32 v19, 1, v30 bitop3:0x54
	v_cmp_gt_i32_e64 s0, s14, v30
	v_or_b32_e32 v20, 3, v30
	s_delay_alu instid0(VALU_DEP_2) | instskip(NEXT) | instid1(VALU_DEP_4)
	v_dual_cndmask_b32 v17, 0, v17, s0 :: v_dual_bitop2_b32 v21, 7, v30 bitop3:0x54
	v_cmp_gt_i32_e64 s0, s23, v18
	s_delay_alu instid0(VALU_DEP_1) | instskip(SKIP_1) | instid1(VALU_DEP_1)
	v_cndmask_b32_e64 v16, 0, v16, s0
	v_cmp_gt_i32_e64 s0, s14, v19
	v_cndmask_b32_e64 v15, 0, v15, s0
	v_cmp_gt_i32_e64 s0, s23, v20
	v_or_b32_e32 v18, 4, v30
	s_delay_alu instid0(VALU_DEP_2) | instskip(NEXT) | instid1(VALU_DEP_2)
	v_dual_cndmask_b32 v12, 0, v12, s0 :: v_dual_bitop2_b32 v20, 5, v30 bitop3:0x54
	v_cmp_gt_i32_e64 s0, s14, v18
	s_delay_alu instid0(VALU_DEP_1) | instskip(NEXT) | instid1(VALU_DEP_1)
	v_dual_cndmask_b32 v13, 0, v13, s0 :: v_dual_bitop2_b32 v19, 6, v30 bitop3:0x54
	v_cmp_gt_i32_e64 s0, s23, v19
	s_delay_alu instid0(VALU_DEP_1) | instskip(SKIP_1) | instid1(VALU_DEP_1)
	v_cndmask_b32_e64 v14, 0, v14, s0
	v_cmp_gt_i32_e64 s0, s14, v20
	v_dual_cndmask_b32 v1, 0, v1, s0 :: v_dual_bitop2_b32 v20, v12, v16 bitop3:0x54
	v_cmp_gt_i32_e64 s0, s23, v21
	v_or_b32_e32 v21, v15, v17
	s_delay_alu instid0(VALU_DEP_2) | instskip(NEXT) | instid1(VALU_DEP_1)
	v_dual_cndmask_b32 v4, 0, v4, s0 :: v_dual_bitop2_b32 v19, v1, v13 bitop3:0x54
	v_or_b32_e32 v18, v4, v14
	s_branch .LBB245_199
.LBB245_400:
	s_or_b32 exec_lo, exec_lo, s9
.LBB245_401:
	s_delay_alu instid0(SALU_CYCLE_1)
	s_or_b32 exec_lo, exec_lo, s25
	s_movk_i32 s0, 0x140
	v_and_b32_e32 v4, 0x3c0, v0
	v_mad_u32_u24 v1, v26, s0, 0xc0
	s_mov_b32 s0, exec_lo
	s_barrier_signal -1
	s_barrier_wait -1
	v_cmpx_eq_u32_e32 64, v4
	s_cbranch_execz .LBB245_404
; %bb.402:
	v_add_nc_u32_e32 v4, 0xfffffd80, v1
	v_cmp_gt_u32_e32 vcc_lo, 0x50, v29
	s_delay_alu instid0(VALU_DEP_2)
	v_lshl_add_u32 v5, v27, 2, v4
	ds_store_2addr_b32 v5, v2, v3 offset1:32
	s_and_b32 exec_lo, exec_lo, vcc_lo
; %bb.403:
	v_lshl_add_u32 v4, v29, 2, v4
	ds_store_b32 v4, v35
.LBB245_404:
	s_or_b32 exec_lo, exec_lo, s0
	v_lshl_add_u32 v7, v27, 2, v1
	s_mov_b32 s0, exec_lo
	s_wait_dscnt 0x0
	s_barrier_signal -1
	s_barrier_wait -1
	v_cmpx_gt_u32_e32 64, v0
	s_cbranch_execz .LBB245_408
; %bb.405:
	v_lshl_or_b32 v4, v0, 2, 0x80
	s_mov_b32 s1, exec_lo
	s_delay_alu instid0(VALU_DEP_1)
	v_add_nc_u32_e32 v5, v1, v4
	ds_load_b32 v4, v7
	ds_load_b32 v5, v5
	v_cmpx_gt_u32_e32 0x50, v29
	s_cbranch_execz .LBB245_407
; %bb.406:
	ds_load_b32 v6, v7 offset:256
	s_wait_dscnt 0x0
	v_add_f32_e32 v35, v35, v6
.LBB245_407:
	s_or_b32 exec_lo, exec_lo, s1
	s_wait_dscnt 0x0
	v_pk_add_f32 v[2:3], v[2:3], v[4:5]
.LBB245_408:
	s_or_b32 exec_lo, exec_lo, s0
	v_and_b32_e32 v4, 0x3e0, v0
	s_mov_b32 s0, exec_lo
	s_barrier_signal -1
	s_barrier_wait -1
	s_delay_alu instid0(VALU_DEP_1)
	v_cmpx_eq_u32_e32 32, v4
	s_cbranch_execz .LBB245_411
; %bb.409:
	v_lshl_add_u32 v4, v27, 2, 0xc0
	v_cmp_gt_u32_e32 vcc_lo, 0x50, v29
	ds_store_b32 v4, v2
	ds_store_b32 v28, v3
	s_and_b32 exec_lo, exec_lo, vcc_lo
; %bb.410:
	ds_store_b32 v4, v35 offset:256
.LBB245_411:
	s_or_b32 exec_lo, exec_lo, s0
	v_cmp_gt_u32_e32 vcc_lo, 32, v0
	v_or_b32_e32 v6, 64, v0
	s_wait_dscnt 0x0
	s_barrier_signal -1
	s_barrier_wait -1
	s_and_saveexec_b32 s1, vcc_lo
	s_cbranch_execz .LBB245_415
; %bb.412:
	v_lshl_add_u32 v1, v0, 2, v1
	s_mov_b32 s2, exec_lo
	ds_load_b32 v4, v7
	ds_load_b32 v5, v1 offset:128
	v_cmpx_gt_u32_e32 0x50, v6
	s_cbranch_execz .LBB245_414
; %bb.413:
	ds_load_b32 v1, v1 offset:256
	s_wait_dscnt 0x0
	v_add_f32_e32 v35, v35, v1
.LBB245_414:
	s_or_b32 exec_lo, exec_lo, s2
	s_wait_dscnt 0x0
	v_pk_add_f32 v[2:3], v[2:3], v[4:5]
.LBB245_415:
	s_or_b32 exec_lo, exec_lo, s1
	s_barrier_signal -1
	s_barrier_wait -1
	s_and_saveexec_b32 s0, vcc_lo
	s_cbranch_execz .LBB245_418
; %bb.416:
	s_mul_i32 s1, s22, s13
	s_bfe_u32 s5, ttmp6, 0x40014
	s_mul_i32 s1, s1, s21
	s_mul_i32 s0, s13, s12
	;; [unrolled: 1-line block ×3, first 2 shown]
	s_lshr_b32 s4, ttmp7, 16
	s_ashr_i32 s3, s2, 31
	s_add_co_i32 s5, s5, 1
	s_lshl_b64 s[2:3], s[2:3], 1
	s_ashr_i32 s1, s0, 31
	s_add_nc_u64 s[2:3], s[6:7], s[2:3]
	s_mul_i32 s5, s4, s5
	s_bfe_u32 s6, ttmp6, 0x40008
	s_lshl_b64 s[0:1], s[0:1], 1
	s_add_co_i32 s6, s6, s5
	s_cmp_eq_u32 s20, 0
	s_add_nc_u64 s[0:1], s[2:3], s[0:1]
	s_cselect_b32 s2, s4, s6
	v_cmp_gt_u32_e32 vcc_lo, 0x50, v6
	s_mov_b32 s3, 0
	s_mulk_i32 s2, 0xa0
	;;#ASMSTART
	v_cvt_f16_f32 v1, v2;

	;;#ASMEND
	s_add_nc_u64 s[0:1], s[0:1], s[2:3]
	global_store_b16 v0, v1, s[0:1] scale_offset
	s_wait_xcnt 0x0
	;;#ASMSTART
	v_cvt_f16_f32 v1, v3;

	;;#ASMEND
	global_store_b16 v0, v1, s[0:1] offset:64 scale_offset
	s_wait_xcnt 0x0
	s_and_b32 exec_lo, exec_lo, vcc_lo
	s_cbranch_execz .LBB245_418
; %bb.417:
	v_dual_mov_b32 v1, 0 :: v_dual_lshlrev_b32 v0, 1, v0
	;;#ASMSTART
	v_cvt_f16_f32 v2, v35;

	;;#ASMEND
	s_delay_alu instid0(VALU_DEP_1)
	v_add_nc_u64_e32 v[0:1], s[0:1], v[0:1]
	global_store_b16 v[0:1], v2, off offset:128
.LBB245_418:
	s_endpgm
	.section	.rodata,"a",@progbits
	.p2align	6, 0x0
	.amdhsa_kernel _ZN4vllm25paged_attention_v1_kernelIthLi80ELi8ELi128ELNS_18Fp8KVCacheDataTypeE1ELb0EEEvPT_PKS2_PKT0_S8_ifPKiSA_iPKfiiiSC_SC_iiiii
		.amdhsa_group_segment_fixed_size 192
		.amdhsa_private_segment_fixed_size 0
		.amdhsa_kernarg_size 384
		.amdhsa_user_sgpr_count 2
		.amdhsa_user_sgpr_dispatch_ptr 0
		.amdhsa_user_sgpr_queue_ptr 0
		.amdhsa_user_sgpr_kernarg_segment_ptr 1
		.amdhsa_user_sgpr_dispatch_id 0
		.amdhsa_user_sgpr_kernarg_preload_length 0
		.amdhsa_user_sgpr_kernarg_preload_offset 0
		.amdhsa_user_sgpr_private_segment_size 0
		.amdhsa_wavefront_size32 1
		.amdhsa_uses_dynamic_stack 0
		.amdhsa_enable_private_segment 0
		.amdhsa_system_sgpr_workgroup_id_x 1
		.amdhsa_system_sgpr_workgroup_id_y 1
		.amdhsa_system_sgpr_workgroup_id_z 1
		.amdhsa_system_sgpr_workgroup_info 0
		.amdhsa_system_vgpr_workitem_id 0
		.amdhsa_next_free_vgpr 55
		.amdhsa_next_free_sgpr 32
		.amdhsa_named_barrier_count 0
		.amdhsa_reserve_vcc 1
		.amdhsa_float_round_mode_32 0
		.amdhsa_float_round_mode_16_64 0
		.amdhsa_float_denorm_mode_32 3
		.amdhsa_float_denorm_mode_16_64 3
		.amdhsa_fp16_overflow 0
		.amdhsa_memory_ordered 1
		.amdhsa_forward_progress 1
		.amdhsa_inst_pref_size 128
		.amdhsa_round_robin_scheduling 0
		.amdhsa_exception_fp_ieee_invalid_op 0
		.amdhsa_exception_fp_denorm_src 0
		.amdhsa_exception_fp_ieee_div_zero 0
		.amdhsa_exception_fp_ieee_overflow 0
		.amdhsa_exception_fp_ieee_underflow 0
		.amdhsa_exception_fp_ieee_inexact 0
		.amdhsa_exception_int_div_zero 0
	.end_amdhsa_kernel
	.section	.text._ZN4vllm25paged_attention_v1_kernelIthLi80ELi8ELi128ELNS_18Fp8KVCacheDataTypeE1ELb0EEEvPT_PKS2_PKT0_S8_ifPKiSA_iPKfiiiSC_SC_iiiii,"axG",@progbits,_ZN4vllm25paged_attention_v1_kernelIthLi80ELi8ELi128ELNS_18Fp8KVCacheDataTypeE1ELb0EEEvPT_PKS2_PKT0_S8_ifPKiSA_iPKfiiiSC_SC_iiiii,comdat
.Lfunc_end245:
	.size	_ZN4vllm25paged_attention_v1_kernelIthLi80ELi8ELi128ELNS_18Fp8KVCacheDataTypeE1ELb0EEEvPT_PKS2_PKT0_S8_ifPKiSA_iPKfiiiSC_SC_iiiii, .Lfunc_end245-_ZN4vllm25paged_attention_v1_kernelIthLi80ELi8ELi128ELNS_18Fp8KVCacheDataTypeE1ELb0EEEvPT_PKS2_PKT0_S8_ifPKiSA_iPKfiiiSC_SC_iiiii
                                        ; -- End function
	.set _ZN4vllm25paged_attention_v1_kernelIthLi80ELi8ELi128ELNS_18Fp8KVCacheDataTypeE1ELb0EEEvPT_PKS2_PKT0_S8_ifPKiSA_iPKfiiiSC_SC_iiiii.num_vgpr, 55
	.set _ZN4vllm25paged_attention_v1_kernelIthLi80ELi8ELi128ELNS_18Fp8KVCacheDataTypeE1ELb0EEEvPT_PKS2_PKT0_S8_ifPKiSA_iPKfiiiSC_SC_iiiii.num_agpr, 0
	.set _ZN4vllm25paged_attention_v1_kernelIthLi80ELi8ELi128ELNS_18Fp8KVCacheDataTypeE1ELb0EEEvPT_PKS2_PKT0_S8_ifPKiSA_iPKfiiiSC_SC_iiiii.numbered_sgpr, 32
	.set _ZN4vllm25paged_attention_v1_kernelIthLi80ELi8ELi128ELNS_18Fp8KVCacheDataTypeE1ELb0EEEvPT_PKS2_PKT0_S8_ifPKiSA_iPKfiiiSC_SC_iiiii.num_named_barrier, 0
	.set _ZN4vllm25paged_attention_v1_kernelIthLi80ELi8ELi128ELNS_18Fp8KVCacheDataTypeE1ELb0EEEvPT_PKS2_PKT0_S8_ifPKiSA_iPKfiiiSC_SC_iiiii.private_seg_size, 0
	.set _ZN4vllm25paged_attention_v1_kernelIthLi80ELi8ELi128ELNS_18Fp8KVCacheDataTypeE1ELb0EEEvPT_PKS2_PKT0_S8_ifPKiSA_iPKfiiiSC_SC_iiiii.uses_vcc, 1
	.set _ZN4vllm25paged_attention_v1_kernelIthLi80ELi8ELi128ELNS_18Fp8KVCacheDataTypeE1ELb0EEEvPT_PKS2_PKT0_S8_ifPKiSA_iPKfiiiSC_SC_iiiii.uses_flat_scratch, 0
	.set _ZN4vllm25paged_attention_v1_kernelIthLi80ELi8ELi128ELNS_18Fp8KVCacheDataTypeE1ELb0EEEvPT_PKS2_PKT0_S8_ifPKiSA_iPKfiiiSC_SC_iiiii.has_dyn_sized_stack, 0
	.set _ZN4vllm25paged_attention_v1_kernelIthLi80ELi8ELi128ELNS_18Fp8KVCacheDataTypeE1ELb0EEEvPT_PKS2_PKT0_S8_ifPKiSA_iPKfiiiSC_SC_iiiii.has_recursion, 0
	.set _ZN4vllm25paged_attention_v1_kernelIthLi80ELi8ELi128ELNS_18Fp8KVCacheDataTypeE1ELb0EEEvPT_PKS2_PKT0_S8_ifPKiSA_iPKfiiiSC_SC_iiiii.has_indirect_call, 0
	.section	.AMDGPU.csdata,"",@progbits
; Kernel info:
; codeLenInByte = 16296
; TotalNumSgprs: 34
; NumVgprs: 55
; ScratchSize: 0
; MemoryBound: 0
; FloatMode: 240
; IeeeMode: 1
; LDSByteSize: 192 bytes/workgroup (compile time only)
; SGPRBlocks: 0
; VGPRBlocks: 3
; NumSGPRsForWavesPerEU: 34
; NumVGPRsForWavesPerEU: 55
; NamedBarCnt: 0
; Occupancy: 16
; WaveLimiterHint : 1
; COMPUTE_PGM_RSRC2:SCRATCH_EN: 0
; COMPUTE_PGM_RSRC2:USER_SGPR: 2
; COMPUTE_PGM_RSRC2:TRAP_HANDLER: 0
; COMPUTE_PGM_RSRC2:TGID_X_EN: 1
; COMPUTE_PGM_RSRC2:TGID_Y_EN: 1
; COMPUTE_PGM_RSRC2:TGID_Z_EN: 1
; COMPUTE_PGM_RSRC2:TIDIG_COMP_CNT: 0
	.section	.text._ZN4vllm25paged_attention_v1_kernelIthLi96ELi8ELi128ELNS_18Fp8KVCacheDataTypeE1ELb0EEEvPT_PKS2_PKT0_S8_ifPKiSA_iPKfiiiSC_SC_iiiii,"axG",@progbits,_ZN4vllm25paged_attention_v1_kernelIthLi96ELi8ELi128ELNS_18Fp8KVCacheDataTypeE1ELb0EEEvPT_PKS2_PKT0_S8_ifPKiSA_iPKfiiiSC_SC_iiiii,comdat
	.protected	_ZN4vllm25paged_attention_v1_kernelIthLi96ELi8ELi128ELNS_18Fp8KVCacheDataTypeE1ELb0EEEvPT_PKS2_PKT0_S8_ifPKiSA_iPKfiiiSC_SC_iiiii ; -- Begin function _ZN4vllm25paged_attention_v1_kernelIthLi96ELi8ELi128ELNS_18Fp8KVCacheDataTypeE1ELb0EEEvPT_PKS2_PKT0_S8_ifPKiSA_iPKfiiiSC_SC_iiiii
	.globl	_ZN4vllm25paged_attention_v1_kernelIthLi96ELi8ELi128ELNS_18Fp8KVCacheDataTypeE1ELb0EEEvPT_PKS2_PKT0_S8_ifPKiSA_iPKfiiiSC_SC_iiiii
	.p2align	8
	.type	_ZN4vllm25paged_attention_v1_kernelIthLi96ELi8ELi128ELNS_18Fp8KVCacheDataTypeE1ELb0EEEvPT_PKS2_PKT0_S8_ifPKiSA_iPKfiiiSC_SC_iiiii,@function
_ZN4vllm25paged_attention_v1_kernelIthLi96ELi8ELi128ELNS_18Fp8KVCacheDataTypeE1ELb0EEEvPT_PKS2_PKT0_S8_ifPKiSA_iPKfiiiSC_SC_iiiii: ; @_ZN4vllm25paged_attention_v1_kernelIthLi96ELi8ELi128ELNS_18Fp8KVCacheDataTypeE1ELb0EEEvPT_PKS2_PKT0_S8_ifPKiSA_iPKfiiiSC_SC_iiiii
; %bb.0:
	s_load_b64 s[6:7], s[0:1], 0x20
	s_bfe_u32 s3, ttmp6, 0x4000c
	s_bfe_u32 s5, ttmp6, 0x40010
	s_and_b32 s4, ttmp7, 0xffff
	s_add_co_i32 s3, s3, 1
	s_add_co_i32 s5, s5, 1
	s_and_b32 s2, ttmp6, 15
	s_bfe_u32 s8, ttmp6, 0x40004
	s_mul_i32 s3, ttmp9, s3
	s_mul_i32 s5, s4, s5
	s_getreg_b32 s20, hwreg(HW_REG_IB_STS2, 6, 4)
	s_add_co_i32 s2, s2, s3
	s_add_co_i32 s8, s8, s5
	s_cmp_eq_u32 s20, 0
	s_clause 0x1
	s_load_b32 s21, s[0:1], 0x80
	s_load_b64 s[10:11], s[0:1], 0x30
	s_cselect_b32 s22, s4, s8
	s_cselect_b32 s2, ttmp9, s2
	s_wait_kmcnt 0x0
	s_abs_i32 s3, s6
	s_delay_alu instid0(SALU_CYCLE_1) | instskip(SKIP_1) | instid1(SALU_CYCLE_2)
	s_cvt_f32_u32 s4, s3
	s_sub_co_i32 s5, 0, s3
	v_rcp_iflag_f32_e32 v1, s4
	s_abs_i32 s8, s21
	v_nop
	s_delay_alu instid0(TRANS32_DEP_1) | instskip(SKIP_1) | instid1(SALU_CYCLE_3)
	v_readfirstlane_b32 s4, v1
	s_mul_f32 s4, s4, 0x4f7ffffe
	s_cvt_u32_f32 s4, s4
	s_delay_alu instid0(SALU_CYCLE_3) | instskip(NEXT) | instid1(SALU_CYCLE_1)
	s_mul_i32 s5, s5, s4
	s_mul_hi_u32 s5, s4, s5
	s_delay_alu instid0(SALU_CYCLE_1) | instskip(SKIP_4) | instid1(SALU_CYCLE_1)
	s_add_co_i32 s4, s4, s5
	s_xor_b32 s5, s21, s6
	s_mul_hi_u32 s4, s8, s4
	s_ashr_i32 s5, s5, 31
	s_mul_i32 s6, s4, s3
	s_sub_co_i32 s6, s8, s6
	s_add_co_i32 s8, s4, 1
	s_sub_co_i32 s9, s6, s3
	s_cmp_ge_u32 s6, s3
	s_cselect_b32 s4, s8, s4
	s_cselect_b32 s6, s9, s6
	s_add_co_i32 s8, s4, 1
	s_cmp_ge_u32 s6, s3
	s_mov_b32 s9, 0
	s_cselect_b32 s3, s8, s4
	s_abs_i32 s8, s2
	s_xor_b32 s3, s3, s5
	s_mov_b32 s13, s9
	s_sub_co_i32 s15, s3, s5
	s_load_b64 s[4:5], s[0:1], 0x40
	s_abs_i32 s14, s15
	s_mov_b32 s25, s9
	s_cvt_f32_u32 s3, s14
	s_sub_co_i32 s6, 0, s14
	s_delay_alu instid0(SALU_CYCLE_2) | instskip(SKIP_1) | instid1(TRANS32_DEP_1)
	v_rcp_iflag_f32_e32 v1, s3
	v_nop
	v_readfirstlane_b32 s3, v1
	s_mul_f32 s3, s3, 0x4f7ffffe
	s_delay_alu instid0(SALU_CYCLE_3) | instskip(NEXT) | instid1(SALU_CYCLE_3)
	s_cvt_u32_f32 s3, s3
	s_mul_i32 s6, s6, s3
	s_delay_alu instid0(SALU_CYCLE_1) | instskip(NEXT) | instid1(SALU_CYCLE_1)
	s_mul_hi_u32 s6, s3, s6
	s_add_co_i32 s12, s3, s6
	s_wait_kmcnt 0x0
	s_cmp_eq_u64 s[4:5], 0
	s_cbranch_scc1 .LBB246_2
; %bb.1:
	s_ashr_i32 s3, s2, 31
	s_delay_alu instid0(SALU_CYCLE_1) | instskip(NEXT) | instid1(SALU_CYCLE_1)
	s_lshl_b64 s[16:17], s[2:3], 2
	s_add_nc_u64 s[4:5], s[4:5], s[16:17]
	s_load_b32 s25, s[4:5], 0x0
.LBB246_2:
	s_load_b32 s23, s[10:11], s22 offset:0x0 scale_offset
	s_wait_xcnt 0x0
	s_load_b96 s[4:6], s[0:1], 0x48
	v_and_b32_e32 v4, 3, v0
	s_ashr_i32 s3, s2, 31
	s_ashr_i32 s15, s15, 31
	s_mul_u64 s[10:11], s[8:9], s[12:13]
	s_mul_i32 s12, s2, 0x60
	s_mov_b32 s2, exec_lo
	v_cmpx_gt_u32_e32 48, v0
	s_cbranch_execz .LBB246_4
; %bb.3:
	s_load_b64 s[16:17], s[0:1], 0x8
	s_wait_kmcnt 0x0
	s_mul_i32 s18, s4, s22
	s_ashr_i32 s13, s12, 31
	s_ashr_i32 s19, s18, 31
	v_and_b32_e32 v2, 0x3fc, v0
	s_lshl_b64 s[18:19], s[18:19], 1
	s_delay_alu instid0(VALU_DEP_1) | instskip(SKIP_2) | instid1(SALU_CYCLE_1)
	v_mad_u32_u24 v2, v4, 48, v2
	s_add_nc_u64 s[16:17], s[16:17], s[18:19]
	s_lshl_b64 s[18:19], s[12:13], 1
	s_add_nc_u64 s[16:17], s[16:17], s[18:19]
	global_load_b32 v1, v0, s[16:17] scale_offset
	s_wait_loadcnt 0x0
	ds_store_b32 v2, v1
.LBB246_4:
	s_or_b32 exec_lo, exec_lo, s2
	s_wait_kmcnt 0x0
	s_add_co_i32 s2, s23, 7
	s_load_b32 s4, s[0:1], 0x38
	s_ashr_i32 s9, s2, 31
	s_mul_i32 s10, s11, s14
	s_lshr_b32 s9, s9, 29
	s_sub_co_i32 s8, s8, s10
	s_add_co_i32 s2, s2, s9
	s_xor_b32 s3, s3, s15
	s_ashr_i32 s24, s2, 3
	s_add_co_i32 s2, s11, 1
	s_sub_co_i32 s9, s8, s14
	s_cmp_ge_u32 s8, s14
	v_lshrrev_b32_e32 v22, 5, v0
	s_cselect_b32 s2, s2, s11
	s_cselect_b32 s8, s9, s8
	s_add_co_i32 s9, s2, 1
	s_cmp_ge_u32 s8, s14
	v_mbcnt_lo_u32_b32 v10, -1, 0
	s_cselect_b32 s2, s9, s2
	s_wait_dscnt 0x0
	s_xor_b32 s2, s2, s3
	s_wait_kmcnt 0x0
	s_mul_i32 s14, s4, s22
	s_sub_co_i32 s3, s2, s3
	v_cmp_gt_i32_e64 s2, s24, v22
	s_ashr_i32 s15, s14, 31
	s_mov_b32 s4, exec_lo
	s_barrier_signal -1
	s_barrier_wait -1
                                        ; implicit-def: $vgpr3
                                        ; implicit-def: $vgpr11
	v_cmpx_le_i32_e64 s24, v22
	s_xor_b32 s4, exec_lo, s4
; %bb.5:
	v_dual_mov_b32 v3, 0 :: v_dual_mov_b32 v11, 32
	v_mbcnt_lo_u32_b32 v10, -1, 0
                                        ; implicit-def: $vgpr4
; %bb.6:
	s_or_saveexec_b32 s26, s4
	s_clause 0x2
	s_load_b32 s13, s[0:1], 0x88
	s_load_b64 s[16:17], s[0:1], 0x28
	s_load_b128 s[8:11], s[0:1], 0x58
	v_dual_mov_b32 v12, 0xff7fffff :: v_dual_lshrrev_b32 v1, 3, v0
	s_mul_i32 s18, s3, s6
	s_xor_b32 exec_lo, exec_lo, s26
	s_cbranch_execz .LBB246_204
; %bb.7:
	s_load_b64 s[28:29], s[0:1], 0x10
	v_bfe_u32 v8, v0, 2, 3
	v_mov_b32_e32 v3, 0
	s_ashr_i32 s19, s18, 31
	s_cmp_neq_f32 s25, 0
	v_mul_u32_u24_e32 v13, 48, v4
	v_dual_lshlrev_b32 v2, 4, v8 :: v_dual_lshlrev_b32 v5, 2, v8
	v_mov_b32_e32 v12, 0xff7fffff
	v_cmp_eq_u32_e32 vcc_lo, 0, v4
	s_cselect_b32 s3, -1, 0
	v_lshl_or_b32 v14, v22, 3, v8
	v_lshl_or_b32 v9, v22, 5, v5
	s_mov_b32 s6, 0
	s_sub_co_i32 s27, 1, s23
	v_dual_mov_b32 v16, v22 :: v_dual_mov_b32 v11, 32
	s_delay_alu instid0(VALU_DEP_2)
	v_add_nc_u32_e32 v15, 0xe0, v9
	s_wait_kmcnt 0x0
	s_add_nc_u64 s[28:29], s[28:29], s[18:19]
	s_mov_b32 s19, s5
	v_add_nc_u64_e32 v[6:7], s[28:29], v[2:3]
	v_lshlrev_b32_e32 v2, 1, v4
	s_lshl_b64 s[28:29], s[14:15], 2
	s_delay_alu instid0(SALU_CYCLE_1) | instskip(NEXT) | instid1(VALU_DEP_1)
	s_add_nc_u64 s[28:29], s[16:17], s[28:29]
	v_add_nc_u64_e32 v[4:5], v[6:7], v[2:3]
	v_and_b32_e32 v2, 0x7c, v1
	s_delay_alu instid0(VALU_DEP_1)
	v_add_nc_u64_e32 v[6:7], s[28:29], v[2:3]
	s_branch .LBB246_9
.LBB246_8:                              ;   in Loop: Header=BB246_9 Depth=1
	s_or_b32 exec_lo, exec_lo, s28
	v_dual_add_nc_u32 v16, 4, v16 :: v_dual_add_nc_u32 v14, 32, v14
	v_add_nc_u64_e32 v[6:7], 16, v[6:7]
	v_add_nc_u32_e32 v15, 0x80, v15
	s_delay_alu instid0(VALU_DEP_3) | instskip(SKIP_1) | instid1(SALU_CYCLE_1)
	v_cmp_le_i32_e64 s4, s24, v16
	s_or_b32 s6, s4, s6
	s_and_not1_b32 exec_lo, exec_lo, s6
	s_cbranch_execz .LBB246_203
.LBB246_9:                              ; =>This Inner Loop Header: Depth=1
	global_load_b32 v2, v[6:7], off
	v_mov_b32_e32 v18, 0
	s_wait_loadcnt_dscnt 0x0
	v_mad_nc_i64_i32 v[8:9], v2, s19, v[4:5]
	global_load_u16 v2, v[8:9], off
	s_wait_loadcnt 0x0
	v_and_b32_e32 v19, 0xff, v2
	v_and_b32_e32 v2, 0xffff, v2
	s_delay_alu instid0(VALU_DEP_2)
	v_cmp_ne_u16_e64 s4, 0, v19
	v_mov_b32_e32 v19, 0
	global_load_b32 v17, v18, s[8:9]
	s_wait_xcnt 0x0
	s_and_saveexec_b32 s28, s4
	s_cbranch_execz .LBB246_17
; %bb.10:                               ;   in Loop: Header=BB246_9 Depth=1
	v_and_b32_e32 v19, 0xff, v2
	s_delay_alu instid0(VALU_DEP_1)
	v_cmp_ne_u16_e64 s4, 0x80, v19
	v_mov_b32_e32 v19, 0x8000
	s_and_saveexec_b32 s29, s4
	s_cbranch_execz .LBB246_16
; %bb.11:                               ;   in Loop: Header=BB246_9 Depth=1
	v_and_b32_e32 v21, 0x7f, v2
	v_mov_b32_e32 v19, 0x7c01
	s_mov_b32 s30, exec_lo
	s_delay_alu instid0(VALU_DEP_2)
	v_cmpx_ne_u32_e32 0x7f, v21
	s_cbranch_execz .LBB246_15
; %bb.12:                               ;   in Loop: Header=BB246_9 Depth=1
	v_dual_lshrrev_b32 v20, 3, v21 :: v_dual_bitop2_b32 v19, 7, v2 bitop3:0x40
	s_mov_b32 s31, exec_lo
	v_cmpx_gt_u32_e32 8, v21
; %bb.13:                               ;   in Loop: Header=BB246_9 Depth=1
	s_delay_alu instid0(VALU_DEP_2) | instskip(NEXT) | instid1(VALU_DEP_1)
	v_clz_i32_u32_e32 v19, v19
	v_min_u32_e32 v19, 32, v19
	s_delay_alu instid0(VALU_DEP_1) | instskip(NEXT) | instid1(VALU_DEP_1)
	v_subrev_nc_u32_e32 v20, 28, v19
	v_lshlrev_b64_e32 v[24:25], v20, v[2:3]
	s_delay_alu instid0(VALU_DEP_1)
	v_dual_sub_nc_u32 v20, 29, v19 :: v_dual_bitop2_b32 v19, 7, v24 bitop3:0x40
; %bb.14:                               ;   in Loop: Header=BB246_9 Depth=1
	s_or_b32 exec_lo, exec_lo, s31
	s_delay_alu instid0(VALU_DEP_1) | instskip(NEXT) | instid1(VALU_DEP_2)
	v_dual_lshlrev_b32 v21, 8, v2 :: v_dual_lshlrev_b32 v19, 7, v19
	v_lshl_add_u32 v20, v20, 10, 0x2000
	s_delay_alu instid0(VALU_DEP_2) | instskip(NEXT) | instid1(VALU_DEP_2)
	v_and_b32_e32 v21, 0x8000, v21
	v_and_b32_e32 v20, 0xfc00, v20
	s_delay_alu instid0(VALU_DEP_1)
	v_or3_b32 v19, v21, v20, v19
.LBB246_15:                             ;   in Loop: Header=BB246_9 Depth=1
	s_or_b32 exec_lo, exec_lo, s30
.LBB246_16:                             ;   in Loop: Header=BB246_9 Depth=1
	s_delay_alu instid0(SALU_CYCLE_1)
	s_or_b32 exec_lo, exec_lo, s29
.LBB246_17:                             ;   in Loop: Header=BB246_9 Depth=1
	s_delay_alu instid0(SALU_CYCLE_1) | instskip(SKIP_2) | instid1(VALU_DEP_1)
	s_or_b32 exec_lo, exec_lo, s28
	v_lshrrev_b16 v2, 8, v2
	s_mov_b32 s28, exec_lo
	v_cmpx_ne_u16_e32 0, v2
	s_cbranch_execz .LBB246_25
; %bb.18:                               ;   in Loop: Header=BB246_9 Depth=1
	v_bfrev_b32_e32 v18, 1
	s_mov_b32 s29, exec_lo
	v_cmpx_ne_u16_e32 0x80, v2
	s_cbranch_execz .LBB246_24
; %bb.19:                               ;   in Loop: Header=BB246_9 Depth=1
	v_and_b32_e32 v20, 0xffff, v2
	v_mov_b32_e32 v18, 0x7c010000
	s_mov_b32 s30, exec_lo
	s_delay_alu instid0(VALU_DEP_2) | instskip(NEXT) | instid1(VALU_DEP_1)
	v_and_b32_e32 v23, 0x7f, v20
	v_cmpx_ne_u32_e32 0x7f, v23
	s_cbranch_execz .LBB246_23
; %bb.20:                               ;   in Loop: Header=BB246_9 Depth=1
	v_dual_lshrrev_b32 v21, 3, v23 :: v_dual_bitop2_b32 v18, 7, v20 bitop3:0x40
	s_mov_b32 s31, exec_lo
	v_cmpx_gt_u32_e32 8, v23
; %bb.21:                               ;   in Loop: Header=BB246_9 Depth=1
	s_delay_alu instid0(VALU_DEP_2) | instskip(NEXT) | instid1(VALU_DEP_1)
	v_clz_i32_u32_e32 v18, v18
	v_min_u32_e32 v18, 32, v18
	s_delay_alu instid0(VALU_DEP_1) | instskip(NEXT) | instid1(VALU_DEP_1)
	v_subrev_nc_u32_e32 v21, 28, v18
	v_lshlrev_b64_e32 v[24:25], v21, v[2:3]
	s_delay_alu instid0(VALU_DEP_1)
	v_dual_sub_nc_u32 v21, 29, v18 :: v_dual_bitop2_b32 v18, 7, v24 bitop3:0x40
; %bb.22:                               ;   in Loop: Header=BB246_9 Depth=1
	s_or_b32 exec_lo, exec_lo, s31
	s_delay_alu instid0(VALU_DEP_1) | instskip(NEXT) | instid1(VALU_DEP_2)
	v_dual_lshlrev_b32 v2, 8, v20 :: v_dual_lshlrev_b32 v18, 23, v18
	v_lshl_add_u32 v20, v21, 10, 0x2000
	s_delay_alu instid0(VALU_DEP_1) | instskip(NEXT) | instid1(VALU_DEP_1)
	v_and_or_b32 v2, 0x8000, v2, v20
	v_lshl_or_b32 v18, v2, 16, v18
.LBB246_23:                             ;   in Loop: Header=BB246_9 Depth=1
	s_or_b32 exec_lo, exec_lo, s30
.LBB246_24:                             ;   in Loop: Header=BB246_9 Depth=1
	s_delay_alu instid0(SALU_CYCLE_1)
	s_or_b32 exec_lo, exec_lo, s29
.LBB246_25:                             ;   in Loop: Header=BB246_9 Depth=1
	s_delay_alu instid0(SALU_CYCLE_1)
	s_or_b32 exec_lo, exec_lo, s28
	global_load_u16 v2, v[8:9], off offset:8
	v_mov_b32_e32 v20, 0
	s_wait_loadcnt 0x0
	v_and_b32_e32 v21, 0xff, v2
	v_and_b32_e32 v2, 0xffff, v2
	s_delay_alu instid0(VALU_DEP_2)
	v_cmp_ne_u16_e64 s4, 0, v21
	v_mov_b32_e32 v21, 0
	s_and_saveexec_b32 s28, s4
	s_cbranch_execz .LBB246_33
; %bb.26:                               ;   in Loop: Header=BB246_9 Depth=1
	v_and_b32_e32 v21, 0xff, v2
	s_delay_alu instid0(VALU_DEP_1)
	v_cmp_ne_u16_e64 s4, 0x80, v21
	v_mov_b32_e32 v21, 0x8000
	s_and_saveexec_b32 s29, s4
	s_cbranch_execz .LBB246_32
; %bb.27:                               ;   in Loop: Header=BB246_9 Depth=1
	v_and_b32_e32 v24, 0x7f, v2
	v_mov_b32_e32 v21, 0x7c01
	s_mov_b32 s30, exec_lo
	s_delay_alu instid0(VALU_DEP_2)
	v_cmpx_ne_u32_e32 0x7f, v24
	s_cbranch_execz .LBB246_31
; %bb.28:                               ;   in Loop: Header=BB246_9 Depth=1
	v_dual_lshrrev_b32 v23, 3, v24 :: v_dual_bitop2_b32 v21, 7, v2 bitop3:0x40
	s_mov_b32 s31, exec_lo
	v_cmpx_gt_u32_e32 8, v24
; %bb.29:                               ;   in Loop: Header=BB246_9 Depth=1
	s_delay_alu instid0(VALU_DEP_2) | instskip(NEXT) | instid1(VALU_DEP_1)
	v_clz_i32_u32_e32 v21, v21
	v_min_u32_e32 v21, 32, v21
	s_delay_alu instid0(VALU_DEP_1) | instskip(NEXT) | instid1(VALU_DEP_1)
	v_subrev_nc_u32_e32 v23, 28, v21
	v_lshlrev_b64_e32 v[24:25], v23, v[2:3]
	s_delay_alu instid0(VALU_DEP_1)
	v_dual_sub_nc_u32 v23, 29, v21 :: v_dual_bitop2_b32 v21, 7, v24 bitop3:0x40
; %bb.30:                               ;   in Loop: Header=BB246_9 Depth=1
	s_or_b32 exec_lo, exec_lo, s31
	s_delay_alu instid0(VALU_DEP_1) | instskip(NEXT) | instid1(VALU_DEP_2)
	v_dual_lshlrev_b32 v24, 8, v2 :: v_dual_lshlrev_b32 v21, 7, v21
	v_lshl_add_u32 v23, v23, 10, 0x2000
	s_delay_alu instid0(VALU_DEP_2) | instskip(NEXT) | instid1(VALU_DEP_2)
	v_and_b32_e32 v24, 0x8000, v24
	v_and_b32_e32 v23, 0xfc00, v23
	s_delay_alu instid0(VALU_DEP_1)
	v_or3_b32 v21, v24, v23, v21
.LBB246_31:                             ;   in Loop: Header=BB246_9 Depth=1
	s_or_b32 exec_lo, exec_lo, s30
.LBB246_32:                             ;   in Loop: Header=BB246_9 Depth=1
	s_delay_alu instid0(SALU_CYCLE_1)
	s_or_b32 exec_lo, exec_lo, s29
.LBB246_33:                             ;   in Loop: Header=BB246_9 Depth=1
	s_delay_alu instid0(SALU_CYCLE_1) | instskip(SKIP_2) | instid1(VALU_DEP_1)
	s_or_b32 exec_lo, exec_lo, s28
	v_lshrrev_b16 v2, 8, v2
	s_mov_b32 s28, exec_lo
	v_cmpx_ne_u16_e32 0, v2
	s_cbranch_execz .LBB246_41
; %bb.34:                               ;   in Loop: Header=BB246_9 Depth=1
	v_bfrev_b32_e32 v20, 1
	s_mov_b32 s29, exec_lo
	v_cmpx_ne_u16_e32 0x80, v2
	s_cbranch_execz .LBB246_40
; %bb.35:                               ;   in Loop: Header=BB246_9 Depth=1
	v_and_b32_e32 v23, 0xffff, v2
	v_mov_b32_e32 v20, 0x7c010000
	s_mov_b32 s30, exec_lo
	s_delay_alu instid0(VALU_DEP_2) | instskip(NEXT) | instid1(VALU_DEP_1)
	v_and_b32_e32 v25, 0x7f, v23
	v_cmpx_ne_u32_e32 0x7f, v25
	s_cbranch_execz .LBB246_39
; %bb.36:                               ;   in Loop: Header=BB246_9 Depth=1
	v_dual_lshrrev_b32 v24, 3, v25 :: v_dual_bitop2_b32 v20, 7, v23 bitop3:0x40
	s_mov_b32 s31, exec_lo
	v_cmpx_gt_u32_e32 8, v25
; %bb.37:                               ;   in Loop: Header=BB246_9 Depth=1
	s_delay_alu instid0(VALU_DEP_2) | instskip(NEXT) | instid1(VALU_DEP_1)
	v_clz_i32_u32_e32 v20, v20
	v_min_u32_e32 v20, 32, v20
	s_delay_alu instid0(VALU_DEP_1) | instskip(NEXT) | instid1(VALU_DEP_1)
	v_subrev_nc_u32_e32 v24, 28, v20
	v_lshlrev_b64_e32 v[26:27], v24, v[2:3]
	s_delay_alu instid0(VALU_DEP_1)
	v_dual_sub_nc_u32 v24, 29, v20 :: v_dual_bitop2_b32 v20, 7, v26 bitop3:0x40
; %bb.38:                               ;   in Loop: Header=BB246_9 Depth=1
	s_or_b32 exec_lo, exec_lo, s31
	s_delay_alu instid0(VALU_DEP_1) | instskip(NEXT) | instid1(VALU_DEP_2)
	v_dual_lshlrev_b32 v2, 8, v23 :: v_dual_lshlrev_b32 v20, 23, v20
	v_lshl_add_u32 v23, v24, 10, 0x2000
	s_delay_alu instid0(VALU_DEP_1) | instskip(NEXT) | instid1(VALU_DEP_1)
	v_and_or_b32 v2, 0x8000, v2, v23
	v_lshl_or_b32 v20, v2, 16, v20
.LBB246_39:                             ;   in Loop: Header=BB246_9 Depth=1
	s_or_b32 exec_lo, exec_lo, s30
.LBB246_40:                             ;   in Loop: Header=BB246_9 Depth=1
	s_delay_alu instid0(SALU_CYCLE_1)
	s_or_b32 exec_lo, exec_lo, s29
.LBB246_41:                             ;   in Loop: Header=BB246_9 Depth=1
	s_delay_alu instid0(SALU_CYCLE_1)
	s_or_b32 exec_lo, exec_lo, s28
	global_load_u16 v2, v[8:9], off offset:128
	v_mov_b32_e32 v23, 0
	s_wait_loadcnt 0x0
	v_and_b32_e32 v24, 0xff, v2
	v_and_b32_e32 v2, 0xffff, v2
	s_delay_alu instid0(VALU_DEP_2)
	v_cmp_ne_u16_e64 s4, 0, v24
	v_mov_b32_e32 v24, 0
	s_and_saveexec_b32 s28, s4
	s_cbranch_execz .LBB246_49
; %bb.42:                               ;   in Loop: Header=BB246_9 Depth=1
	v_and_b32_e32 v24, 0xff, v2
	s_delay_alu instid0(VALU_DEP_1)
	v_cmp_ne_u16_e64 s4, 0x80, v24
	v_mov_b32_e32 v24, 0x8000
	s_and_saveexec_b32 s29, s4
	s_cbranch_execz .LBB246_48
; %bb.43:                               ;   in Loop: Header=BB246_9 Depth=1
	v_and_b32_e32 v26, 0x7f, v2
	v_mov_b32_e32 v24, 0x7c01
	s_mov_b32 s30, exec_lo
	s_delay_alu instid0(VALU_DEP_2)
	v_cmpx_ne_u32_e32 0x7f, v26
	s_cbranch_execz .LBB246_47
; %bb.44:                               ;   in Loop: Header=BB246_9 Depth=1
	v_and_b32_e32 v24, 7, v2
	v_lshrrev_b32_e32 v25, 3, v26
	s_mov_b32 s31, exec_lo
	v_cmpx_gt_u32_e32 8, v26
; %bb.45:                               ;   in Loop: Header=BB246_9 Depth=1
	s_delay_alu instid0(VALU_DEP_3) | instskip(NEXT) | instid1(VALU_DEP_1)
	v_clz_i32_u32_e32 v24, v24
	v_min_u32_e32 v26, 32, v24
	s_delay_alu instid0(VALU_DEP_1) | instskip(NEXT) | instid1(VALU_DEP_1)
	v_subrev_nc_u32_e32 v24, 28, v26
	v_lshlrev_b64_e32 v[24:25], v24, v[2:3]
	s_delay_alu instid0(VALU_DEP_1)
	v_dual_sub_nc_u32 v25, 29, v26 :: v_dual_bitop2_b32 v24, 7, v24 bitop3:0x40
; %bb.46:                               ;   in Loop: Header=BB246_9 Depth=1
	s_or_b32 exec_lo, exec_lo, s31
	s_delay_alu instid0(VALU_DEP_1) | instskip(NEXT) | instid1(VALU_DEP_2)
	v_dual_lshlrev_b32 v26, 8, v2 :: v_dual_lshlrev_b32 v24, 7, v24
	v_lshl_add_u32 v25, v25, 10, 0x2000
	s_delay_alu instid0(VALU_DEP_2) | instskip(NEXT) | instid1(VALU_DEP_2)
	v_and_b32_e32 v26, 0x8000, v26
	v_and_b32_e32 v25, 0xfc00, v25
	s_delay_alu instid0(VALU_DEP_1)
	v_or3_b32 v24, v26, v25, v24
.LBB246_47:                             ;   in Loop: Header=BB246_9 Depth=1
	s_or_b32 exec_lo, exec_lo, s30
.LBB246_48:                             ;   in Loop: Header=BB246_9 Depth=1
	s_delay_alu instid0(SALU_CYCLE_1)
	s_or_b32 exec_lo, exec_lo, s29
.LBB246_49:                             ;   in Loop: Header=BB246_9 Depth=1
	s_delay_alu instid0(SALU_CYCLE_1) | instskip(SKIP_2) | instid1(VALU_DEP_1)
	s_or_b32 exec_lo, exec_lo, s28
	v_lshrrev_b16 v2, 8, v2
	s_mov_b32 s28, exec_lo
	v_cmpx_ne_u16_e32 0, v2
	s_cbranch_execz .LBB246_57
; %bb.50:                               ;   in Loop: Header=BB246_9 Depth=1
	v_bfrev_b32_e32 v23, 1
	s_mov_b32 s29, exec_lo
	v_cmpx_ne_u16_e32 0x80, v2
	s_cbranch_execz .LBB246_56
; %bb.51:                               ;   in Loop: Header=BB246_9 Depth=1
	v_and_b32_e32 v25, 0xffff, v2
	v_mov_b32_e32 v23, 0x7c010000
	s_mov_b32 s30, exec_lo
	s_delay_alu instid0(VALU_DEP_2) | instskip(NEXT) | instid1(VALU_DEP_1)
	v_and_b32_e32 v27, 0x7f, v25
	v_cmpx_ne_u32_e32 0x7f, v27
	s_cbranch_execz .LBB246_55
; %bb.52:                               ;   in Loop: Header=BB246_9 Depth=1
	v_dual_lshrrev_b32 v26, 3, v27 :: v_dual_bitop2_b32 v23, 7, v25 bitop3:0x40
	s_mov_b32 s31, exec_lo
	v_cmpx_gt_u32_e32 8, v27
; %bb.53:                               ;   in Loop: Header=BB246_9 Depth=1
	s_delay_alu instid0(VALU_DEP_2) | instskip(NEXT) | instid1(VALU_DEP_1)
	v_clz_i32_u32_e32 v23, v23
	v_min_u32_e32 v23, 32, v23
	s_delay_alu instid0(VALU_DEP_1) | instskip(NEXT) | instid1(VALU_DEP_1)
	v_subrev_nc_u32_e32 v26, 28, v23
	v_lshlrev_b64_e32 v[28:29], v26, v[2:3]
	s_delay_alu instid0(VALU_DEP_1)
	v_dual_sub_nc_u32 v26, 29, v23 :: v_dual_bitop2_b32 v23, 7, v28 bitop3:0x40
; %bb.54:                               ;   in Loop: Header=BB246_9 Depth=1
	s_or_b32 exec_lo, exec_lo, s31
	s_delay_alu instid0(VALU_DEP_1) | instskip(NEXT) | instid1(VALU_DEP_2)
	v_dual_lshlrev_b32 v2, 8, v25 :: v_dual_lshlrev_b32 v23, 23, v23
	v_lshl_add_u32 v25, v26, 10, 0x2000
	s_delay_alu instid0(VALU_DEP_1) | instskip(NEXT) | instid1(VALU_DEP_1)
	v_and_or_b32 v2, 0x8000, v2, v25
	v_lshl_or_b32 v23, v2, 16, v23
.LBB246_55:                             ;   in Loop: Header=BB246_9 Depth=1
	s_or_b32 exec_lo, exec_lo, s30
.LBB246_56:                             ;   in Loop: Header=BB246_9 Depth=1
	s_delay_alu instid0(SALU_CYCLE_1)
	s_or_b32 exec_lo, exec_lo, s29
.LBB246_57:                             ;   in Loop: Header=BB246_9 Depth=1
	s_delay_alu instid0(SALU_CYCLE_1)
	s_or_b32 exec_lo, exec_lo, s28
	global_load_u16 v2, v[8:9], off offset:136
	v_mov_b32_e32 v25, 0
	s_wait_loadcnt 0x0
	v_and_b32_e32 v26, 0xff, v2
	v_and_b32_e32 v2, 0xffff, v2
	s_delay_alu instid0(VALU_DEP_2)
	v_cmp_ne_u16_e64 s4, 0, v26
	v_mov_b32_e32 v26, 0
	s_and_saveexec_b32 s28, s4
	s_cbranch_execz .LBB246_65
; %bb.58:                               ;   in Loop: Header=BB246_9 Depth=1
	v_and_b32_e32 v26, 0xff, v2
	s_delay_alu instid0(VALU_DEP_1)
	v_cmp_ne_u16_e64 s4, 0x80, v26
	v_mov_b32_e32 v26, 0x8000
	s_and_saveexec_b32 s29, s4
	s_cbranch_execz .LBB246_64
; %bb.59:                               ;   in Loop: Header=BB246_9 Depth=1
	v_and_b32_e32 v28, 0x7f, v2
	v_mov_b32_e32 v26, 0x7c01
	s_mov_b32 s30, exec_lo
	s_delay_alu instid0(VALU_DEP_2)
	v_cmpx_ne_u32_e32 0x7f, v28
	s_cbranch_execz .LBB246_63
; %bb.60:                               ;   in Loop: Header=BB246_9 Depth=1
	v_dual_lshrrev_b32 v27, 3, v28 :: v_dual_bitop2_b32 v26, 7, v2 bitop3:0x40
	s_mov_b32 s31, exec_lo
	v_cmpx_gt_u32_e32 8, v28
; %bb.61:                               ;   in Loop: Header=BB246_9 Depth=1
	s_delay_alu instid0(VALU_DEP_2) | instskip(NEXT) | instid1(VALU_DEP_1)
	v_clz_i32_u32_e32 v26, v26
	v_min_u32_e32 v28, 32, v26
	s_delay_alu instid0(VALU_DEP_1) | instskip(NEXT) | instid1(VALU_DEP_1)
	v_subrev_nc_u32_e32 v26, 28, v28
	v_lshlrev_b64_e32 v[26:27], v26, v[2:3]
	s_delay_alu instid0(VALU_DEP_1)
	v_dual_sub_nc_u32 v27, 29, v28 :: v_dual_bitop2_b32 v26, 7, v26 bitop3:0x40
; %bb.62:                               ;   in Loop: Header=BB246_9 Depth=1
	s_or_b32 exec_lo, exec_lo, s31
	v_lshlrev_b32_e32 v28, 8, v2
	s_delay_alu instid0(VALU_DEP_2) | instskip(NEXT) | instid1(VALU_DEP_3)
	v_lshl_add_u32 v27, v27, 10, 0x2000
	v_lshlrev_b32_e32 v26, 7, v26
	s_delay_alu instid0(VALU_DEP_3) | instskip(NEXT) | instid1(VALU_DEP_3)
	v_and_b32_e32 v28, 0x8000, v28
	v_and_b32_e32 v27, 0xfc00, v27
	s_delay_alu instid0(VALU_DEP_1)
	v_or3_b32 v26, v28, v27, v26
.LBB246_63:                             ;   in Loop: Header=BB246_9 Depth=1
	s_or_b32 exec_lo, exec_lo, s30
.LBB246_64:                             ;   in Loop: Header=BB246_9 Depth=1
	s_delay_alu instid0(SALU_CYCLE_1)
	s_or_b32 exec_lo, exec_lo, s29
.LBB246_65:                             ;   in Loop: Header=BB246_9 Depth=1
	s_delay_alu instid0(SALU_CYCLE_1) | instskip(SKIP_2) | instid1(VALU_DEP_1)
	s_or_b32 exec_lo, exec_lo, s28
	v_lshrrev_b16 v2, 8, v2
	s_mov_b32 s28, exec_lo
	v_cmpx_ne_u16_e32 0, v2
	s_cbranch_execz .LBB246_73
; %bb.66:                               ;   in Loop: Header=BB246_9 Depth=1
	v_bfrev_b32_e32 v25, 1
	s_mov_b32 s29, exec_lo
	v_cmpx_ne_u16_e32 0x80, v2
	s_cbranch_execz .LBB246_72
; %bb.67:                               ;   in Loop: Header=BB246_9 Depth=1
	v_and_b32_e32 v27, 0xffff, v2
	v_mov_b32_e32 v25, 0x7c010000
	s_mov_b32 s30, exec_lo
	s_delay_alu instid0(VALU_DEP_2) | instskip(NEXT) | instid1(VALU_DEP_1)
	v_and_b32_e32 v29, 0x7f, v27
	v_cmpx_ne_u32_e32 0x7f, v29
	s_cbranch_execz .LBB246_71
; %bb.68:                               ;   in Loop: Header=BB246_9 Depth=1
	v_dual_lshrrev_b32 v28, 3, v29 :: v_dual_bitop2_b32 v25, 7, v27 bitop3:0x40
	s_mov_b32 s31, exec_lo
	v_cmpx_gt_u32_e32 8, v29
; %bb.69:                               ;   in Loop: Header=BB246_9 Depth=1
	s_delay_alu instid0(VALU_DEP_2) | instskip(NEXT) | instid1(VALU_DEP_1)
	v_clz_i32_u32_e32 v25, v25
	v_min_u32_e32 v25, 32, v25
	s_delay_alu instid0(VALU_DEP_1) | instskip(NEXT) | instid1(VALU_DEP_1)
	v_subrev_nc_u32_e32 v28, 28, v25
	v_lshlrev_b64_e32 v[30:31], v28, v[2:3]
	s_delay_alu instid0(VALU_DEP_1)
	v_dual_sub_nc_u32 v28, 29, v25 :: v_dual_bitop2_b32 v25, 7, v30 bitop3:0x40
; %bb.70:                               ;   in Loop: Header=BB246_9 Depth=1
	s_or_b32 exec_lo, exec_lo, s31
	s_delay_alu instid0(VALU_DEP_1) | instskip(NEXT) | instid1(VALU_DEP_2)
	v_dual_lshlrev_b32 v2, 8, v27 :: v_dual_lshlrev_b32 v25, 23, v25
	v_lshl_add_u32 v27, v28, 10, 0x2000
	s_delay_alu instid0(VALU_DEP_1) | instskip(NEXT) | instid1(VALU_DEP_1)
	v_and_or_b32 v2, 0x8000, v2, v27
	v_lshl_or_b32 v25, v2, 16, v25
.LBB246_71:                             ;   in Loop: Header=BB246_9 Depth=1
	s_or_b32 exec_lo, exec_lo, s30
.LBB246_72:                             ;   in Loop: Header=BB246_9 Depth=1
	s_delay_alu instid0(SALU_CYCLE_1)
	s_or_b32 exec_lo, exec_lo, s29
.LBB246_73:                             ;   in Loop: Header=BB246_9 Depth=1
	s_delay_alu instid0(SALU_CYCLE_1)
	s_or_b32 exec_lo, exec_lo, s28
	global_load_u16 v2, v[8:9], off offset:256
	v_mov_b32_e32 v27, 0
	s_wait_loadcnt 0x0
	v_and_b32_e32 v28, 0xff, v2
	v_and_b32_e32 v2, 0xffff, v2
	s_delay_alu instid0(VALU_DEP_2)
	v_cmp_ne_u16_e64 s4, 0, v28
	v_mov_b32_e32 v28, 0
	s_and_saveexec_b32 s28, s4
	s_cbranch_execz .LBB246_81
; %bb.74:                               ;   in Loop: Header=BB246_9 Depth=1
	v_and_b32_e32 v28, 0xff, v2
	s_delay_alu instid0(VALU_DEP_1)
	v_cmp_ne_u16_e64 s4, 0x80, v28
	v_mov_b32_e32 v28, 0x8000
	s_and_saveexec_b32 s29, s4
	s_cbranch_execz .LBB246_80
; %bb.75:                               ;   in Loop: Header=BB246_9 Depth=1
	v_and_b32_e32 v30, 0x7f, v2
	v_mov_b32_e32 v28, 0x7c01
	s_mov_b32 s30, exec_lo
	s_delay_alu instid0(VALU_DEP_2)
	v_cmpx_ne_u32_e32 0x7f, v30
	s_cbranch_execz .LBB246_79
; %bb.76:                               ;   in Loop: Header=BB246_9 Depth=1
	v_and_b32_e32 v28, 7, v2
	v_lshrrev_b32_e32 v29, 3, v30
	s_mov_b32 s31, exec_lo
	v_cmpx_gt_u32_e32 8, v30
; %bb.77:                               ;   in Loop: Header=BB246_9 Depth=1
	s_delay_alu instid0(VALU_DEP_3) | instskip(NEXT) | instid1(VALU_DEP_1)
	v_clz_i32_u32_e32 v28, v28
	v_min_u32_e32 v30, 32, v28
	s_delay_alu instid0(VALU_DEP_1) | instskip(NEXT) | instid1(VALU_DEP_1)
	v_subrev_nc_u32_e32 v28, 28, v30
	v_lshlrev_b64_e32 v[28:29], v28, v[2:3]
	s_delay_alu instid0(VALU_DEP_1)
	v_dual_sub_nc_u32 v29, 29, v30 :: v_dual_bitop2_b32 v28, 7, v28 bitop3:0x40
; %bb.78:                               ;   in Loop: Header=BB246_9 Depth=1
	s_or_b32 exec_lo, exec_lo, s31
	s_delay_alu instid0(VALU_DEP_1) | instskip(NEXT) | instid1(VALU_DEP_2)
	v_dual_lshlrev_b32 v30, 8, v2 :: v_dual_lshlrev_b32 v28, 7, v28
	v_lshl_add_u32 v29, v29, 10, 0x2000
	s_delay_alu instid0(VALU_DEP_2) | instskip(NEXT) | instid1(VALU_DEP_2)
	v_and_b32_e32 v30, 0x8000, v30
	v_and_b32_e32 v29, 0xfc00, v29
	s_delay_alu instid0(VALU_DEP_1)
	v_or3_b32 v28, v30, v29, v28
.LBB246_79:                             ;   in Loop: Header=BB246_9 Depth=1
	s_or_b32 exec_lo, exec_lo, s30
.LBB246_80:                             ;   in Loop: Header=BB246_9 Depth=1
	s_delay_alu instid0(SALU_CYCLE_1)
	s_or_b32 exec_lo, exec_lo, s29
.LBB246_81:                             ;   in Loop: Header=BB246_9 Depth=1
	s_delay_alu instid0(SALU_CYCLE_1) | instskip(SKIP_2) | instid1(VALU_DEP_1)
	s_or_b32 exec_lo, exec_lo, s28
	v_lshrrev_b16 v2, 8, v2
	s_mov_b32 s28, exec_lo
	v_cmpx_ne_u16_e32 0, v2
	s_cbranch_execz .LBB246_89
; %bb.82:                               ;   in Loop: Header=BB246_9 Depth=1
	v_bfrev_b32_e32 v27, 1
	s_mov_b32 s29, exec_lo
	v_cmpx_ne_u16_e32 0x80, v2
	s_cbranch_execz .LBB246_88
; %bb.83:                               ;   in Loop: Header=BB246_9 Depth=1
	v_and_b32_e32 v29, 0xffff, v2
	v_mov_b32_e32 v27, 0x7c010000
	s_mov_b32 s30, exec_lo
	s_delay_alu instid0(VALU_DEP_2) | instskip(NEXT) | instid1(VALU_DEP_1)
	v_and_b32_e32 v31, 0x7f, v29
	v_cmpx_ne_u32_e32 0x7f, v31
	s_cbranch_execz .LBB246_87
; %bb.84:                               ;   in Loop: Header=BB246_9 Depth=1
	v_dual_lshrrev_b32 v30, 3, v31 :: v_dual_bitop2_b32 v27, 7, v29 bitop3:0x40
	s_mov_b32 s31, exec_lo
	v_cmpx_gt_u32_e32 8, v31
; %bb.85:                               ;   in Loop: Header=BB246_9 Depth=1
	s_delay_alu instid0(VALU_DEP_2) | instskip(NEXT) | instid1(VALU_DEP_1)
	v_clz_i32_u32_e32 v27, v27
	v_min_u32_e32 v27, 32, v27
	s_delay_alu instid0(VALU_DEP_1) | instskip(NEXT) | instid1(VALU_DEP_1)
	v_subrev_nc_u32_e32 v30, 28, v27
	v_lshlrev_b64_e32 v[32:33], v30, v[2:3]
	s_delay_alu instid0(VALU_DEP_1)
	v_dual_sub_nc_u32 v30, 29, v27 :: v_dual_bitop2_b32 v27, 7, v32 bitop3:0x40
; %bb.86:                               ;   in Loop: Header=BB246_9 Depth=1
	s_or_b32 exec_lo, exec_lo, s31
	s_delay_alu instid0(VALU_DEP_1) | instskip(NEXT) | instid1(VALU_DEP_2)
	v_dual_lshlrev_b32 v2, 8, v29 :: v_dual_lshlrev_b32 v27, 23, v27
	v_lshl_add_u32 v29, v30, 10, 0x2000
	s_delay_alu instid0(VALU_DEP_1) | instskip(NEXT) | instid1(VALU_DEP_1)
	v_and_or_b32 v2, 0x8000, v2, v29
	v_lshl_or_b32 v27, v2, 16, v27
.LBB246_87:                             ;   in Loop: Header=BB246_9 Depth=1
	s_or_b32 exec_lo, exec_lo, s30
.LBB246_88:                             ;   in Loop: Header=BB246_9 Depth=1
	s_delay_alu instid0(SALU_CYCLE_1)
	s_or_b32 exec_lo, exec_lo, s29
.LBB246_89:                             ;   in Loop: Header=BB246_9 Depth=1
	s_delay_alu instid0(SALU_CYCLE_1)
	s_or_b32 exec_lo, exec_lo, s28
	global_load_u16 v2, v[8:9], off offset:264
	v_mov_b32_e32 v29, 0
	s_wait_loadcnt 0x0
	v_and_b32_e32 v30, 0xff, v2
	v_and_b32_e32 v2, 0xffff, v2
	s_delay_alu instid0(VALU_DEP_2)
	v_cmp_ne_u16_e64 s4, 0, v30
	v_mov_b32_e32 v30, 0
	s_and_saveexec_b32 s28, s4
	s_cbranch_execz .LBB246_97
; %bb.90:                               ;   in Loop: Header=BB246_9 Depth=1
	v_and_b32_e32 v30, 0xff, v2
	s_delay_alu instid0(VALU_DEP_1)
	v_cmp_ne_u16_e64 s4, 0x80, v30
	v_mov_b32_e32 v30, 0x8000
	s_and_saveexec_b32 s29, s4
	s_cbranch_execz .LBB246_96
; %bb.91:                               ;   in Loop: Header=BB246_9 Depth=1
	v_and_b32_e32 v32, 0x7f, v2
	v_mov_b32_e32 v30, 0x7c01
	s_mov_b32 s30, exec_lo
	s_delay_alu instid0(VALU_DEP_2)
	v_cmpx_ne_u32_e32 0x7f, v32
	s_cbranch_execz .LBB246_95
; %bb.92:                               ;   in Loop: Header=BB246_9 Depth=1
	v_dual_lshrrev_b32 v31, 3, v32 :: v_dual_bitop2_b32 v30, 7, v2 bitop3:0x40
	s_mov_b32 s31, exec_lo
	v_cmpx_gt_u32_e32 8, v32
; %bb.93:                               ;   in Loop: Header=BB246_9 Depth=1
	s_delay_alu instid0(VALU_DEP_2) | instskip(NEXT) | instid1(VALU_DEP_1)
	v_clz_i32_u32_e32 v30, v30
	v_min_u32_e32 v32, 32, v30
	s_delay_alu instid0(VALU_DEP_1) | instskip(NEXT) | instid1(VALU_DEP_1)
	v_subrev_nc_u32_e32 v30, 28, v32
	v_lshlrev_b64_e32 v[30:31], v30, v[2:3]
	s_delay_alu instid0(VALU_DEP_1)
	v_dual_sub_nc_u32 v31, 29, v32 :: v_dual_bitop2_b32 v30, 7, v30 bitop3:0x40
; %bb.94:                               ;   in Loop: Header=BB246_9 Depth=1
	s_or_b32 exec_lo, exec_lo, s31
	v_lshlrev_b32_e32 v32, 8, v2
	s_delay_alu instid0(VALU_DEP_2) | instskip(NEXT) | instid1(VALU_DEP_3)
	v_lshl_add_u32 v31, v31, 10, 0x2000
	v_lshlrev_b32_e32 v30, 7, v30
	s_delay_alu instid0(VALU_DEP_3) | instskip(NEXT) | instid1(VALU_DEP_3)
	v_and_b32_e32 v32, 0x8000, v32
	v_and_b32_e32 v31, 0xfc00, v31
	s_delay_alu instid0(VALU_DEP_1)
	v_or3_b32 v30, v32, v31, v30
.LBB246_95:                             ;   in Loop: Header=BB246_9 Depth=1
	s_or_b32 exec_lo, exec_lo, s30
.LBB246_96:                             ;   in Loop: Header=BB246_9 Depth=1
	s_delay_alu instid0(SALU_CYCLE_1)
	s_or_b32 exec_lo, exec_lo, s29
.LBB246_97:                             ;   in Loop: Header=BB246_9 Depth=1
	s_delay_alu instid0(SALU_CYCLE_1) | instskip(SKIP_2) | instid1(VALU_DEP_1)
	s_or_b32 exec_lo, exec_lo, s28
	v_lshrrev_b16 v2, 8, v2
	s_mov_b32 s28, exec_lo
	v_cmpx_ne_u16_e32 0, v2
	s_cbranch_execz .LBB246_105
; %bb.98:                               ;   in Loop: Header=BB246_9 Depth=1
	v_bfrev_b32_e32 v29, 1
	s_mov_b32 s29, exec_lo
	v_cmpx_ne_u16_e32 0x80, v2
	s_cbranch_execz .LBB246_104
; %bb.99:                               ;   in Loop: Header=BB246_9 Depth=1
	v_and_b32_e32 v31, 0xffff, v2
	v_mov_b32_e32 v29, 0x7c010000
	s_mov_b32 s30, exec_lo
	s_delay_alu instid0(VALU_DEP_2) | instskip(NEXT) | instid1(VALU_DEP_1)
	v_and_b32_e32 v33, 0x7f, v31
	v_cmpx_ne_u32_e32 0x7f, v33
	s_cbranch_execz .LBB246_103
; %bb.100:                              ;   in Loop: Header=BB246_9 Depth=1
	v_dual_lshrrev_b32 v32, 3, v33 :: v_dual_bitop2_b32 v29, 7, v31 bitop3:0x40
	s_mov_b32 s31, exec_lo
	v_cmpx_gt_u32_e32 8, v33
; %bb.101:                              ;   in Loop: Header=BB246_9 Depth=1
	s_delay_alu instid0(VALU_DEP_2) | instskip(NEXT) | instid1(VALU_DEP_1)
	v_clz_i32_u32_e32 v29, v29
	v_min_u32_e32 v29, 32, v29
	s_delay_alu instid0(VALU_DEP_1) | instskip(NEXT) | instid1(VALU_DEP_1)
	v_subrev_nc_u32_e32 v32, 28, v29
	v_lshlrev_b64_e32 v[34:35], v32, v[2:3]
	s_delay_alu instid0(VALU_DEP_1)
	v_dual_sub_nc_u32 v32, 29, v29 :: v_dual_bitop2_b32 v29, 7, v34 bitop3:0x40
; %bb.102:                              ;   in Loop: Header=BB246_9 Depth=1
	s_or_b32 exec_lo, exec_lo, s31
	s_delay_alu instid0(VALU_DEP_1) | instskip(NEXT) | instid1(VALU_DEP_2)
	v_dual_lshlrev_b32 v2, 8, v31 :: v_dual_lshlrev_b32 v29, 23, v29
	v_lshl_add_u32 v31, v32, 10, 0x2000
	s_delay_alu instid0(VALU_DEP_1) | instskip(NEXT) | instid1(VALU_DEP_1)
	v_and_or_b32 v2, 0x8000, v2, v31
	v_lshl_or_b32 v29, v2, 16, v29
.LBB246_103:                            ;   in Loop: Header=BB246_9 Depth=1
	s_or_b32 exec_lo, exec_lo, s30
.LBB246_104:                            ;   in Loop: Header=BB246_9 Depth=1
	s_delay_alu instid0(SALU_CYCLE_1)
	s_or_b32 exec_lo, exec_lo, s29
.LBB246_105:                            ;   in Loop: Header=BB246_9 Depth=1
	s_delay_alu instid0(SALU_CYCLE_1)
	s_or_b32 exec_lo, exec_lo, s28
	global_load_u16 v2, v[8:9], off offset:384
	v_mov_b32_e32 v31, 0
	s_wait_loadcnt 0x0
	v_and_b32_e32 v32, 0xff, v2
	v_and_b32_e32 v2, 0xffff, v2
	s_delay_alu instid0(VALU_DEP_2)
	v_cmp_ne_u16_e64 s4, 0, v32
	v_mov_b32_e32 v32, 0
	s_and_saveexec_b32 s28, s4
	s_cbranch_execz .LBB246_113
; %bb.106:                              ;   in Loop: Header=BB246_9 Depth=1
	v_and_b32_e32 v32, 0xff, v2
	s_delay_alu instid0(VALU_DEP_1)
	v_cmp_ne_u16_e64 s4, 0x80, v32
	v_mov_b32_e32 v32, 0x8000
	s_and_saveexec_b32 s29, s4
	s_cbranch_execz .LBB246_112
; %bb.107:                              ;   in Loop: Header=BB246_9 Depth=1
	v_and_b32_e32 v34, 0x7f, v2
	v_mov_b32_e32 v32, 0x7c01
	s_mov_b32 s30, exec_lo
	s_delay_alu instid0(VALU_DEP_2)
	v_cmpx_ne_u32_e32 0x7f, v34
	s_cbranch_execz .LBB246_111
; %bb.108:                              ;   in Loop: Header=BB246_9 Depth=1
	v_and_b32_e32 v32, 7, v2
	v_lshrrev_b32_e32 v33, 3, v34
	s_mov_b32 s31, exec_lo
	v_cmpx_gt_u32_e32 8, v34
; %bb.109:                              ;   in Loop: Header=BB246_9 Depth=1
	s_delay_alu instid0(VALU_DEP_3) | instskip(NEXT) | instid1(VALU_DEP_1)
	v_clz_i32_u32_e32 v32, v32
	v_min_u32_e32 v34, 32, v32
	s_delay_alu instid0(VALU_DEP_1) | instskip(NEXT) | instid1(VALU_DEP_1)
	v_subrev_nc_u32_e32 v32, 28, v34
	v_lshlrev_b64_e32 v[32:33], v32, v[2:3]
	s_delay_alu instid0(VALU_DEP_1)
	v_dual_sub_nc_u32 v33, 29, v34 :: v_dual_bitop2_b32 v32, 7, v32 bitop3:0x40
; %bb.110:                              ;   in Loop: Header=BB246_9 Depth=1
	s_or_b32 exec_lo, exec_lo, s31
	s_delay_alu instid0(VALU_DEP_1) | instskip(NEXT) | instid1(VALU_DEP_2)
	v_dual_lshlrev_b32 v34, 8, v2 :: v_dual_lshlrev_b32 v32, 7, v32
	v_lshl_add_u32 v33, v33, 10, 0x2000
	s_delay_alu instid0(VALU_DEP_2) | instskip(NEXT) | instid1(VALU_DEP_2)
	v_and_b32_e32 v34, 0x8000, v34
	v_and_b32_e32 v33, 0xfc00, v33
	s_delay_alu instid0(VALU_DEP_1)
	v_or3_b32 v32, v34, v33, v32
.LBB246_111:                            ;   in Loop: Header=BB246_9 Depth=1
	s_or_b32 exec_lo, exec_lo, s30
.LBB246_112:                            ;   in Loop: Header=BB246_9 Depth=1
	s_delay_alu instid0(SALU_CYCLE_1)
	s_or_b32 exec_lo, exec_lo, s29
.LBB246_113:                            ;   in Loop: Header=BB246_9 Depth=1
	s_delay_alu instid0(SALU_CYCLE_1) | instskip(SKIP_2) | instid1(VALU_DEP_1)
	s_or_b32 exec_lo, exec_lo, s28
	v_lshrrev_b16 v2, 8, v2
	s_mov_b32 s28, exec_lo
	v_cmpx_ne_u16_e32 0, v2
	s_cbranch_execz .LBB246_121
; %bb.114:                              ;   in Loop: Header=BB246_9 Depth=1
	v_bfrev_b32_e32 v31, 1
	s_mov_b32 s29, exec_lo
	v_cmpx_ne_u16_e32 0x80, v2
	s_cbranch_execz .LBB246_120
; %bb.115:                              ;   in Loop: Header=BB246_9 Depth=1
	v_and_b32_e32 v33, 0xffff, v2
	v_mov_b32_e32 v31, 0x7c010000
	s_mov_b32 s30, exec_lo
	s_delay_alu instid0(VALU_DEP_2) | instskip(NEXT) | instid1(VALU_DEP_1)
	v_and_b32_e32 v35, 0x7f, v33
	v_cmpx_ne_u32_e32 0x7f, v35
	s_cbranch_execz .LBB246_119
; %bb.116:                              ;   in Loop: Header=BB246_9 Depth=1
	v_dual_lshrrev_b32 v34, 3, v35 :: v_dual_bitop2_b32 v31, 7, v33 bitop3:0x40
	s_mov_b32 s31, exec_lo
	v_cmpx_gt_u32_e32 8, v35
; %bb.117:                              ;   in Loop: Header=BB246_9 Depth=1
	s_delay_alu instid0(VALU_DEP_2) | instskip(NEXT) | instid1(VALU_DEP_1)
	v_clz_i32_u32_e32 v31, v31
	v_min_u32_e32 v31, 32, v31
	s_delay_alu instid0(VALU_DEP_1) | instskip(NEXT) | instid1(VALU_DEP_1)
	v_subrev_nc_u32_e32 v34, 28, v31
	v_lshlrev_b64_e32 v[36:37], v34, v[2:3]
	s_delay_alu instid0(VALU_DEP_1)
	v_dual_sub_nc_u32 v34, 29, v31 :: v_dual_bitop2_b32 v31, 7, v36 bitop3:0x40
; %bb.118:                              ;   in Loop: Header=BB246_9 Depth=1
	s_or_b32 exec_lo, exec_lo, s31
	s_delay_alu instid0(VALU_DEP_1) | instskip(NEXT) | instid1(VALU_DEP_2)
	v_dual_lshlrev_b32 v2, 8, v33 :: v_dual_lshlrev_b32 v31, 23, v31
	v_lshl_add_u32 v33, v34, 10, 0x2000
	s_delay_alu instid0(VALU_DEP_1) | instskip(NEXT) | instid1(VALU_DEP_1)
	v_and_or_b32 v2, 0x8000, v2, v33
	v_lshl_or_b32 v31, v2, 16, v31
.LBB246_119:                            ;   in Loop: Header=BB246_9 Depth=1
	s_or_b32 exec_lo, exec_lo, s30
.LBB246_120:                            ;   in Loop: Header=BB246_9 Depth=1
	s_delay_alu instid0(SALU_CYCLE_1)
	s_or_b32 exec_lo, exec_lo, s29
.LBB246_121:                            ;   in Loop: Header=BB246_9 Depth=1
	s_delay_alu instid0(SALU_CYCLE_1)
	s_or_b32 exec_lo, exec_lo, s28
	global_load_u16 v2, v[8:9], off offset:392
	v_mov_b32_e32 v33, 0
	s_wait_loadcnt 0x0
	v_and_b32_e32 v34, 0xff, v2
	v_and_b32_e32 v2, 0xffff, v2
	s_delay_alu instid0(VALU_DEP_2)
	v_cmp_ne_u16_e64 s4, 0, v34
	v_mov_b32_e32 v34, 0
	s_and_saveexec_b32 s28, s4
	s_cbranch_execz .LBB246_129
; %bb.122:                              ;   in Loop: Header=BB246_9 Depth=1
	v_and_b32_e32 v34, 0xff, v2
	s_delay_alu instid0(VALU_DEP_1)
	v_cmp_ne_u16_e64 s4, 0x80, v34
	v_mov_b32_e32 v34, 0x8000
	s_and_saveexec_b32 s29, s4
	s_cbranch_execz .LBB246_128
; %bb.123:                              ;   in Loop: Header=BB246_9 Depth=1
	v_and_b32_e32 v36, 0x7f, v2
	v_mov_b32_e32 v34, 0x7c01
	s_mov_b32 s30, exec_lo
	s_delay_alu instid0(VALU_DEP_2)
	v_cmpx_ne_u32_e32 0x7f, v36
	s_cbranch_execz .LBB246_127
; %bb.124:                              ;   in Loop: Header=BB246_9 Depth=1
	v_dual_lshrrev_b32 v35, 3, v36 :: v_dual_bitop2_b32 v34, 7, v2 bitop3:0x40
	s_mov_b32 s31, exec_lo
	v_cmpx_gt_u32_e32 8, v36
; %bb.125:                              ;   in Loop: Header=BB246_9 Depth=1
	s_delay_alu instid0(VALU_DEP_2) | instskip(NEXT) | instid1(VALU_DEP_1)
	v_clz_i32_u32_e32 v34, v34
	v_min_u32_e32 v36, 32, v34
	s_delay_alu instid0(VALU_DEP_1) | instskip(NEXT) | instid1(VALU_DEP_1)
	v_subrev_nc_u32_e32 v34, 28, v36
	v_lshlrev_b64_e32 v[34:35], v34, v[2:3]
	s_delay_alu instid0(VALU_DEP_1)
	v_dual_sub_nc_u32 v35, 29, v36 :: v_dual_bitop2_b32 v34, 7, v34 bitop3:0x40
; %bb.126:                              ;   in Loop: Header=BB246_9 Depth=1
	s_or_b32 exec_lo, exec_lo, s31
	v_lshlrev_b32_e32 v36, 8, v2
	s_delay_alu instid0(VALU_DEP_2) | instskip(NEXT) | instid1(VALU_DEP_3)
	v_lshl_add_u32 v35, v35, 10, 0x2000
	v_lshlrev_b32_e32 v34, 7, v34
	s_delay_alu instid0(VALU_DEP_3) | instskip(NEXT) | instid1(VALU_DEP_3)
	v_and_b32_e32 v36, 0x8000, v36
	v_and_b32_e32 v35, 0xfc00, v35
	s_delay_alu instid0(VALU_DEP_1)
	v_or3_b32 v34, v36, v35, v34
.LBB246_127:                            ;   in Loop: Header=BB246_9 Depth=1
	s_or_b32 exec_lo, exec_lo, s30
.LBB246_128:                            ;   in Loop: Header=BB246_9 Depth=1
	s_delay_alu instid0(SALU_CYCLE_1)
	s_or_b32 exec_lo, exec_lo, s29
.LBB246_129:                            ;   in Loop: Header=BB246_9 Depth=1
	s_delay_alu instid0(SALU_CYCLE_1) | instskip(SKIP_2) | instid1(VALU_DEP_1)
	s_or_b32 exec_lo, exec_lo, s28
	v_lshrrev_b16 v2, 8, v2
	s_mov_b32 s28, exec_lo
	v_cmpx_ne_u16_e32 0, v2
	s_cbranch_execz .LBB246_137
; %bb.130:                              ;   in Loop: Header=BB246_9 Depth=1
	v_bfrev_b32_e32 v33, 1
	s_mov_b32 s29, exec_lo
	v_cmpx_ne_u16_e32 0x80, v2
	s_cbranch_execz .LBB246_136
; %bb.131:                              ;   in Loop: Header=BB246_9 Depth=1
	v_and_b32_e32 v35, 0xffff, v2
	v_mov_b32_e32 v33, 0x7c010000
	s_mov_b32 s30, exec_lo
	s_delay_alu instid0(VALU_DEP_2) | instskip(NEXT) | instid1(VALU_DEP_1)
	v_and_b32_e32 v37, 0x7f, v35
	v_cmpx_ne_u32_e32 0x7f, v37
	s_cbranch_execz .LBB246_135
; %bb.132:                              ;   in Loop: Header=BB246_9 Depth=1
	v_dual_lshrrev_b32 v36, 3, v37 :: v_dual_bitop2_b32 v33, 7, v35 bitop3:0x40
	s_mov_b32 s31, exec_lo
	v_cmpx_gt_u32_e32 8, v37
; %bb.133:                              ;   in Loop: Header=BB246_9 Depth=1
	s_delay_alu instid0(VALU_DEP_2) | instskip(NEXT) | instid1(VALU_DEP_1)
	v_clz_i32_u32_e32 v33, v33
	v_min_u32_e32 v33, 32, v33
	s_delay_alu instid0(VALU_DEP_1) | instskip(NEXT) | instid1(VALU_DEP_1)
	v_subrev_nc_u32_e32 v36, 28, v33
	v_lshlrev_b64_e32 v[38:39], v36, v[2:3]
	s_delay_alu instid0(VALU_DEP_1)
	v_dual_sub_nc_u32 v36, 29, v33 :: v_dual_bitop2_b32 v33, 7, v38 bitop3:0x40
; %bb.134:                              ;   in Loop: Header=BB246_9 Depth=1
	s_or_b32 exec_lo, exec_lo, s31
	s_delay_alu instid0(VALU_DEP_1) | instskip(NEXT) | instid1(VALU_DEP_2)
	v_dual_lshlrev_b32 v2, 8, v35 :: v_dual_lshlrev_b32 v33, 23, v33
	v_lshl_add_u32 v35, v36, 10, 0x2000
	s_delay_alu instid0(VALU_DEP_1) | instskip(NEXT) | instid1(VALU_DEP_1)
	v_and_or_b32 v2, 0x8000, v2, v35
	v_lshl_or_b32 v33, v2, 16, v33
.LBB246_135:                            ;   in Loop: Header=BB246_9 Depth=1
	s_or_b32 exec_lo, exec_lo, s30
.LBB246_136:                            ;   in Loop: Header=BB246_9 Depth=1
	s_delay_alu instid0(SALU_CYCLE_1)
	s_or_b32 exec_lo, exec_lo, s29
.LBB246_137:                            ;   in Loop: Header=BB246_9 Depth=1
	s_delay_alu instid0(SALU_CYCLE_1)
	s_or_b32 exec_lo, exec_lo, s28
	global_load_u16 v2, v[8:9], off offset:512
	v_mov_b32_e32 v35, 0
	s_wait_loadcnt 0x0
	v_and_b32_e32 v36, 0xff, v2
	v_and_b32_e32 v2, 0xffff, v2
	s_delay_alu instid0(VALU_DEP_2)
	v_cmp_ne_u16_e64 s4, 0, v36
	v_mov_b32_e32 v36, 0
	s_and_saveexec_b32 s28, s4
	s_cbranch_execz .LBB246_145
; %bb.138:                              ;   in Loop: Header=BB246_9 Depth=1
	v_and_b32_e32 v36, 0xff, v2
	s_delay_alu instid0(VALU_DEP_1)
	v_cmp_ne_u16_e64 s4, 0x80, v36
	v_mov_b32_e32 v36, 0x8000
	s_and_saveexec_b32 s29, s4
	s_cbranch_execz .LBB246_144
; %bb.139:                              ;   in Loop: Header=BB246_9 Depth=1
	v_and_b32_e32 v38, 0x7f, v2
	v_mov_b32_e32 v36, 0x7c01
	s_mov_b32 s30, exec_lo
	s_delay_alu instid0(VALU_DEP_2)
	v_cmpx_ne_u32_e32 0x7f, v38
	s_cbranch_execz .LBB246_143
; %bb.140:                              ;   in Loop: Header=BB246_9 Depth=1
	v_and_b32_e32 v36, 7, v2
	v_lshrrev_b32_e32 v37, 3, v38
	s_mov_b32 s31, exec_lo
	v_cmpx_gt_u32_e32 8, v38
; %bb.141:                              ;   in Loop: Header=BB246_9 Depth=1
	s_delay_alu instid0(VALU_DEP_3) | instskip(NEXT) | instid1(VALU_DEP_1)
	v_clz_i32_u32_e32 v36, v36
	v_min_u32_e32 v38, 32, v36
	s_delay_alu instid0(VALU_DEP_1) | instskip(NEXT) | instid1(VALU_DEP_1)
	v_subrev_nc_u32_e32 v36, 28, v38
	v_lshlrev_b64_e32 v[36:37], v36, v[2:3]
	s_delay_alu instid0(VALU_DEP_1)
	v_dual_sub_nc_u32 v37, 29, v38 :: v_dual_bitop2_b32 v36, 7, v36 bitop3:0x40
; %bb.142:                              ;   in Loop: Header=BB246_9 Depth=1
	s_or_b32 exec_lo, exec_lo, s31
	s_delay_alu instid0(VALU_DEP_1) | instskip(NEXT) | instid1(VALU_DEP_2)
	v_dual_lshlrev_b32 v38, 8, v2 :: v_dual_lshlrev_b32 v36, 7, v36
	v_lshl_add_u32 v37, v37, 10, 0x2000
	s_delay_alu instid0(VALU_DEP_2) | instskip(NEXT) | instid1(VALU_DEP_2)
	v_and_b32_e32 v38, 0x8000, v38
	v_and_b32_e32 v37, 0xfc00, v37
	s_delay_alu instid0(VALU_DEP_1)
	v_or3_b32 v36, v38, v37, v36
.LBB246_143:                            ;   in Loop: Header=BB246_9 Depth=1
	s_or_b32 exec_lo, exec_lo, s30
.LBB246_144:                            ;   in Loop: Header=BB246_9 Depth=1
	s_delay_alu instid0(SALU_CYCLE_1)
	s_or_b32 exec_lo, exec_lo, s29
.LBB246_145:                            ;   in Loop: Header=BB246_9 Depth=1
	s_delay_alu instid0(SALU_CYCLE_1) | instskip(SKIP_2) | instid1(VALU_DEP_1)
	s_or_b32 exec_lo, exec_lo, s28
	v_lshrrev_b16 v2, 8, v2
	s_mov_b32 s28, exec_lo
	v_cmpx_ne_u16_e32 0, v2
	s_cbranch_execz .LBB246_153
; %bb.146:                              ;   in Loop: Header=BB246_9 Depth=1
	v_bfrev_b32_e32 v35, 1
	s_mov_b32 s29, exec_lo
	v_cmpx_ne_u16_e32 0x80, v2
	s_cbranch_execz .LBB246_152
; %bb.147:                              ;   in Loop: Header=BB246_9 Depth=1
	v_and_b32_e32 v37, 0xffff, v2
	v_mov_b32_e32 v35, 0x7c010000
	s_mov_b32 s30, exec_lo
	s_delay_alu instid0(VALU_DEP_2) | instskip(NEXT) | instid1(VALU_DEP_1)
	v_and_b32_e32 v39, 0x7f, v37
	v_cmpx_ne_u32_e32 0x7f, v39
	s_cbranch_execz .LBB246_151
; %bb.148:                              ;   in Loop: Header=BB246_9 Depth=1
	v_dual_lshrrev_b32 v38, 3, v39 :: v_dual_bitop2_b32 v35, 7, v37 bitop3:0x40
	s_mov_b32 s31, exec_lo
	v_cmpx_gt_u32_e32 8, v39
; %bb.149:                              ;   in Loop: Header=BB246_9 Depth=1
	s_delay_alu instid0(VALU_DEP_2) | instskip(NEXT) | instid1(VALU_DEP_1)
	v_clz_i32_u32_e32 v35, v35
	v_min_u32_e32 v35, 32, v35
	s_delay_alu instid0(VALU_DEP_1) | instskip(NEXT) | instid1(VALU_DEP_1)
	v_subrev_nc_u32_e32 v38, 28, v35
	v_lshlrev_b64_e32 v[40:41], v38, v[2:3]
	s_delay_alu instid0(VALU_DEP_1)
	v_dual_sub_nc_u32 v38, 29, v35 :: v_dual_bitop2_b32 v35, 7, v40 bitop3:0x40
; %bb.150:                              ;   in Loop: Header=BB246_9 Depth=1
	s_or_b32 exec_lo, exec_lo, s31
	s_delay_alu instid0(VALU_DEP_1) | instskip(NEXT) | instid1(VALU_DEP_2)
	v_dual_lshlrev_b32 v2, 8, v37 :: v_dual_lshlrev_b32 v35, 23, v35
	v_lshl_add_u32 v37, v38, 10, 0x2000
	s_delay_alu instid0(VALU_DEP_1) | instskip(NEXT) | instid1(VALU_DEP_1)
	v_and_or_b32 v2, 0x8000, v2, v37
	v_lshl_or_b32 v35, v2, 16, v35
.LBB246_151:                            ;   in Loop: Header=BB246_9 Depth=1
	s_or_b32 exec_lo, exec_lo, s30
.LBB246_152:                            ;   in Loop: Header=BB246_9 Depth=1
	s_delay_alu instid0(SALU_CYCLE_1)
	s_or_b32 exec_lo, exec_lo, s29
.LBB246_153:                            ;   in Loop: Header=BB246_9 Depth=1
	s_delay_alu instid0(SALU_CYCLE_1)
	s_or_b32 exec_lo, exec_lo, s28
	global_load_u16 v2, v[8:9], off offset:520
	v_mov_b32_e32 v37, 0
	s_wait_loadcnt 0x0
	v_and_b32_e32 v38, 0xff, v2
	v_and_b32_e32 v2, 0xffff, v2
	s_delay_alu instid0(VALU_DEP_2)
	v_cmp_ne_u16_e64 s4, 0, v38
	v_mov_b32_e32 v38, 0
	s_and_saveexec_b32 s28, s4
	s_cbranch_execz .LBB246_161
; %bb.154:                              ;   in Loop: Header=BB246_9 Depth=1
	v_and_b32_e32 v38, 0xff, v2
	s_delay_alu instid0(VALU_DEP_1)
	v_cmp_ne_u16_e64 s4, 0x80, v38
	v_mov_b32_e32 v38, 0x8000
	s_and_saveexec_b32 s29, s4
	s_cbranch_execz .LBB246_160
; %bb.155:                              ;   in Loop: Header=BB246_9 Depth=1
	v_and_b32_e32 v40, 0x7f, v2
	v_mov_b32_e32 v38, 0x7c01
	s_mov_b32 s30, exec_lo
	s_delay_alu instid0(VALU_DEP_2)
	v_cmpx_ne_u32_e32 0x7f, v40
	s_cbranch_execz .LBB246_159
; %bb.156:                              ;   in Loop: Header=BB246_9 Depth=1
	v_dual_lshrrev_b32 v39, 3, v40 :: v_dual_bitop2_b32 v38, 7, v2 bitop3:0x40
	s_mov_b32 s31, exec_lo
	v_cmpx_gt_u32_e32 8, v40
; %bb.157:                              ;   in Loop: Header=BB246_9 Depth=1
	s_delay_alu instid0(VALU_DEP_2) | instskip(NEXT) | instid1(VALU_DEP_1)
	v_clz_i32_u32_e32 v38, v38
	v_min_u32_e32 v40, 32, v38
	s_delay_alu instid0(VALU_DEP_1) | instskip(NEXT) | instid1(VALU_DEP_1)
	v_subrev_nc_u32_e32 v38, 28, v40
	v_lshlrev_b64_e32 v[38:39], v38, v[2:3]
	s_delay_alu instid0(VALU_DEP_1)
	v_dual_sub_nc_u32 v39, 29, v40 :: v_dual_bitop2_b32 v38, 7, v38 bitop3:0x40
; %bb.158:                              ;   in Loop: Header=BB246_9 Depth=1
	s_or_b32 exec_lo, exec_lo, s31
	v_lshlrev_b32_e32 v40, 8, v2
	s_delay_alu instid0(VALU_DEP_2) | instskip(NEXT) | instid1(VALU_DEP_3)
	v_lshl_add_u32 v39, v39, 10, 0x2000
	v_lshlrev_b32_e32 v38, 7, v38
	s_delay_alu instid0(VALU_DEP_3) | instskip(NEXT) | instid1(VALU_DEP_3)
	v_and_b32_e32 v40, 0x8000, v40
	v_and_b32_e32 v39, 0xfc00, v39
	s_delay_alu instid0(VALU_DEP_1)
	v_or3_b32 v38, v40, v39, v38
.LBB246_159:                            ;   in Loop: Header=BB246_9 Depth=1
	s_or_b32 exec_lo, exec_lo, s30
.LBB246_160:                            ;   in Loop: Header=BB246_9 Depth=1
	s_delay_alu instid0(SALU_CYCLE_1)
	s_or_b32 exec_lo, exec_lo, s29
.LBB246_161:                            ;   in Loop: Header=BB246_9 Depth=1
	s_delay_alu instid0(SALU_CYCLE_1) | instskip(SKIP_2) | instid1(VALU_DEP_1)
	s_or_b32 exec_lo, exec_lo, s28
	v_lshrrev_b16 v2, 8, v2
	s_mov_b32 s28, exec_lo
	v_cmpx_ne_u16_e32 0, v2
	s_cbranch_execz .LBB246_169
; %bb.162:                              ;   in Loop: Header=BB246_9 Depth=1
	v_bfrev_b32_e32 v37, 1
	s_mov_b32 s29, exec_lo
	v_cmpx_ne_u16_e32 0x80, v2
	s_cbranch_execz .LBB246_168
; %bb.163:                              ;   in Loop: Header=BB246_9 Depth=1
	v_and_b32_e32 v39, 0xffff, v2
	v_mov_b32_e32 v37, 0x7c010000
	s_mov_b32 s30, exec_lo
	s_delay_alu instid0(VALU_DEP_2) | instskip(NEXT) | instid1(VALU_DEP_1)
	v_and_b32_e32 v41, 0x7f, v39
	v_cmpx_ne_u32_e32 0x7f, v41
	s_cbranch_execz .LBB246_167
; %bb.164:                              ;   in Loop: Header=BB246_9 Depth=1
	v_dual_lshrrev_b32 v40, 3, v41 :: v_dual_bitop2_b32 v37, 7, v39 bitop3:0x40
	s_mov_b32 s31, exec_lo
	v_cmpx_gt_u32_e32 8, v41
; %bb.165:                              ;   in Loop: Header=BB246_9 Depth=1
	s_delay_alu instid0(VALU_DEP_2) | instskip(NEXT) | instid1(VALU_DEP_1)
	v_clz_i32_u32_e32 v37, v37
	v_min_u32_e32 v37, 32, v37
	s_delay_alu instid0(VALU_DEP_1) | instskip(NEXT) | instid1(VALU_DEP_1)
	v_subrev_nc_u32_e32 v40, 28, v37
	v_lshlrev_b64_e32 v[42:43], v40, v[2:3]
	s_delay_alu instid0(VALU_DEP_1)
	v_dual_sub_nc_u32 v40, 29, v37 :: v_dual_bitop2_b32 v37, 7, v42 bitop3:0x40
; %bb.166:                              ;   in Loop: Header=BB246_9 Depth=1
	s_or_b32 exec_lo, exec_lo, s31
	s_delay_alu instid0(VALU_DEP_1) | instskip(NEXT) | instid1(VALU_DEP_2)
	v_dual_lshlrev_b32 v2, 8, v39 :: v_dual_lshlrev_b32 v37, 23, v37
	v_lshl_add_u32 v39, v40, 10, 0x2000
	s_delay_alu instid0(VALU_DEP_1) | instskip(NEXT) | instid1(VALU_DEP_1)
	v_and_or_b32 v2, 0x8000, v2, v39
	v_lshl_or_b32 v37, v2, 16, v37
.LBB246_167:                            ;   in Loop: Header=BB246_9 Depth=1
	s_or_b32 exec_lo, exec_lo, s30
.LBB246_168:                            ;   in Loop: Header=BB246_9 Depth=1
	s_delay_alu instid0(SALU_CYCLE_1)
	s_or_b32 exec_lo, exec_lo, s29
.LBB246_169:                            ;   in Loop: Header=BB246_9 Depth=1
	s_delay_alu instid0(SALU_CYCLE_1)
	s_or_b32 exec_lo, exec_lo, s28
	global_load_u16 v2, v[8:9], off offset:640
	v_mov_b32_e32 v39, 0
	s_wait_loadcnt 0x0
	v_and_b32_e32 v40, 0xff, v2
	v_and_b32_e32 v2, 0xffff, v2
	s_delay_alu instid0(VALU_DEP_2)
	v_cmp_ne_u16_e64 s4, 0, v40
	v_mov_b32_e32 v40, 0
	s_and_saveexec_b32 s28, s4
	s_cbranch_execz .LBB246_177
; %bb.170:                              ;   in Loop: Header=BB246_9 Depth=1
	v_and_b32_e32 v40, 0xff, v2
	s_delay_alu instid0(VALU_DEP_1)
	v_cmp_ne_u16_e64 s4, 0x80, v40
	v_mov_b32_e32 v40, 0x8000
	s_and_saveexec_b32 s29, s4
	s_cbranch_execz .LBB246_176
; %bb.171:                              ;   in Loop: Header=BB246_9 Depth=1
	v_and_b32_e32 v42, 0x7f, v2
	v_mov_b32_e32 v40, 0x7c01
	s_mov_b32 s30, exec_lo
	s_delay_alu instid0(VALU_DEP_2)
	v_cmpx_ne_u32_e32 0x7f, v42
	s_cbranch_execz .LBB246_175
; %bb.172:                              ;   in Loop: Header=BB246_9 Depth=1
	v_and_b32_e32 v40, 7, v2
	v_lshrrev_b32_e32 v41, 3, v42
	s_mov_b32 s31, exec_lo
	v_cmpx_gt_u32_e32 8, v42
; %bb.173:                              ;   in Loop: Header=BB246_9 Depth=1
	s_delay_alu instid0(VALU_DEP_3) | instskip(NEXT) | instid1(VALU_DEP_1)
	v_clz_i32_u32_e32 v40, v40
	v_min_u32_e32 v42, 32, v40
	s_delay_alu instid0(VALU_DEP_1) | instskip(NEXT) | instid1(VALU_DEP_1)
	v_subrev_nc_u32_e32 v40, 28, v42
	v_lshlrev_b64_e32 v[40:41], v40, v[2:3]
	s_delay_alu instid0(VALU_DEP_1)
	v_dual_sub_nc_u32 v41, 29, v42 :: v_dual_bitop2_b32 v40, 7, v40 bitop3:0x40
; %bb.174:                              ;   in Loop: Header=BB246_9 Depth=1
	s_or_b32 exec_lo, exec_lo, s31
	s_delay_alu instid0(VALU_DEP_1) | instskip(NEXT) | instid1(VALU_DEP_2)
	v_dual_lshlrev_b32 v42, 8, v2 :: v_dual_lshlrev_b32 v40, 7, v40
	v_lshl_add_u32 v41, v41, 10, 0x2000
	s_delay_alu instid0(VALU_DEP_2) | instskip(NEXT) | instid1(VALU_DEP_2)
	v_and_b32_e32 v42, 0x8000, v42
	v_and_b32_e32 v41, 0xfc00, v41
	s_delay_alu instid0(VALU_DEP_1)
	v_or3_b32 v40, v42, v41, v40
.LBB246_175:                            ;   in Loop: Header=BB246_9 Depth=1
	s_or_b32 exec_lo, exec_lo, s30
.LBB246_176:                            ;   in Loop: Header=BB246_9 Depth=1
	s_delay_alu instid0(SALU_CYCLE_1)
	s_or_b32 exec_lo, exec_lo, s29
.LBB246_177:                            ;   in Loop: Header=BB246_9 Depth=1
	s_delay_alu instid0(SALU_CYCLE_1) | instskip(SKIP_2) | instid1(VALU_DEP_1)
	s_or_b32 exec_lo, exec_lo, s28
	v_lshrrev_b16 v2, 8, v2
	s_mov_b32 s28, exec_lo
	v_cmpx_ne_u16_e32 0, v2
	s_cbranch_execz .LBB246_185
; %bb.178:                              ;   in Loop: Header=BB246_9 Depth=1
	v_bfrev_b32_e32 v39, 1
	s_mov_b32 s29, exec_lo
	v_cmpx_ne_u16_e32 0x80, v2
	s_cbranch_execz .LBB246_184
; %bb.179:                              ;   in Loop: Header=BB246_9 Depth=1
	v_and_b32_e32 v41, 0xffff, v2
	v_mov_b32_e32 v39, 0x7c010000
	s_mov_b32 s30, exec_lo
	s_delay_alu instid0(VALU_DEP_2) | instskip(NEXT) | instid1(VALU_DEP_1)
	v_and_b32_e32 v43, 0x7f, v41
	v_cmpx_ne_u32_e32 0x7f, v43
	s_cbranch_execz .LBB246_183
; %bb.180:                              ;   in Loop: Header=BB246_9 Depth=1
	v_dual_lshrrev_b32 v42, 3, v43 :: v_dual_bitop2_b32 v39, 7, v41 bitop3:0x40
	s_mov_b32 s31, exec_lo
	v_cmpx_gt_u32_e32 8, v43
; %bb.181:                              ;   in Loop: Header=BB246_9 Depth=1
	s_delay_alu instid0(VALU_DEP_2) | instskip(NEXT) | instid1(VALU_DEP_1)
	v_clz_i32_u32_e32 v39, v39
	v_min_u32_e32 v39, 32, v39
	s_delay_alu instid0(VALU_DEP_1) | instskip(NEXT) | instid1(VALU_DEP_1)
	v_subrev_nc_u32_e32 v42, 28, v39
	v_lshlrev_b64_e32 v[44:45], v42, v[2:3]
	s_delay_alu instid0(VALU_DEP_1)
	v_dual_sub_nc_u32 v42, 29, v39 :: v_dual_bitop2_b32 v39, 7, v44 bitop3:0x40
; %bb.182:                              ;   in Loop: Header=BB246_9 Depth=1
	s_or_b32 exec_lo, exec_lo, s31
	s_delay_alu instid0(VALU_DEP_1) | instskip(NEXT) | instid1(VALU_DEP_2)
	v_dual_lshlrev_b32 v2, 8, v41 :: v_dual_lshlrev_b32 v39, 23, v39
	v_lshl_add_u32 v41, v42, 10, 0x2000
	s_delay_alu instid0(VALU_DEP_1) | instskip(NEXT) | instid1(VALU_DEP_1)
	v_and_or_b32 v2, 0x8000, v2, v41
	v_lshl_or_b32 v39, v2, 16, v39
.LBB246_183:                            ;   in Loop: Header=BB246_9 Depth=1
	s_or_b32 exec_lo, exec_lo, s30
.LBB246_184:                            ;   in Loop: Header=BB246_9 Depth=1
	s_delay_alu instid0(SALU_CYCLE_1)
	s_or_b32 exec_lo, exec_lo, s29
.LBB246_185:                            ;   in Loop: Header=BB246_9 Depth=1
	s_delay_alu instid0(SALU_CYCLE_1)
	s_or_b32 exec_lo, exec_lo, s28
	global_load_u16 v2, v[8:9], off offset:648
	s_wait_xcnt 0x0
	v_mov_b32_e32 v8, 0
	s_wait_loadcnt 0x0
	v_and_b32_e32 v9, 0xff, v2
	v_and_b32_e32 v2, 0xffff, v2
	s_delay_alu instid0(VALU_DEP_2)
	v_cmp_ne_u16_e64 s4, 0, v9
	v_mov_b32_e32 v9, 0
	s_and_saveexec_b32 s28, s4
	s_cbranch_execz .LBB246_193
; %bb.186:                              ;   in Loop: Header=BB246_9 Depth=1
	v_and_b32_e32 v9, 0xff, v2
	s_delay_alu instid0(VALU_DEP_1)
	v_cmp_ne_u16_e64 s4, 0x80, v9
	v_mov_b32_e32 v9, 0x8000
	s_and_saveexec_b32 s29, s4
	s_cbranch_execz .LBB246_192
; %bb.187:                              ;   in Loop: Header=BB246_9 Depth=1
	v_and_b32_e32 v42, 0x7f, v2
	v_mov_b32_e32 v9, 0x7c01
	s_mov_b32 s30, exec_lo
	s_delay_alu instid0(VALU_DEP_2)
	v_cmpx_ne_u32_e32 0x7f, v42
	s_cbranch_execz .LBB246_191
; %bb.188:                              ;   in Loop: Header=BB246_9 Depth=1
	v_and_b32_e32 v9, 7, v2
	v_lshrrev_b32_e32 v41, 3, v42
	s_mov_b32 s31, exec_lo
	v_cmpx_gt_u32_e32 8, v42
; %bb.189:                              ;   in Loop: Header=BB246_9 Depth=1
	s_delay_alu instid0(VALU_DEP_3) | instskip(NEXT) | instid1(VALU_DEP_1)
	v_clz_i32_u32_e32 v9, v9
	v_min_u32_e32 v9, 32, v9
	s_delay_alu instid0(VALU_DEP_1) | instskip(NEXT) | instid1(VALU_DEP_1)
	v_subrev_nc_u32_e32 v41, 28, v9
	v_lshlrev_b64_e32 v[42:43], v41, v[2:3]
	s_delay_alu instid0(VALU_DEP_1)
	v_dual_sub_nc_u32 v41, 29, v9 :: v_dual_bitop2_b32 v9, 7, v42 bitop3:0x40
; %bb.190:                              ;   in Loop: Header=BB246_9 Depth=1
	s_or_b32 exec_lo, exec_lo, s31
	s_delay_alu instid0(VALU_DEP_1) | instskip(NEXT) | instid1(VALU_DEP_2)
	v_dual_lshlrev_b32 v42, 8, v2 :: v_dual_lshlrev_b32 v9, 7, v9
	v_lshl_add_u32 v41, v41, 10, 0x2000
	s_delay_alu instid0(VALU_DEP_2) | instskip(NEXT) | instid1(VALU_DEP_2)
	v_and_b32_e32 v42, 0x8000, v42
	v_and_b32_e32 v41, 0xfc00, v41
	s_delay_alu instid0(VALU_DEP_1)
	v_or3_b32 v9, v42, v41, v9
.LBB246_191:                            ;   in Loop: Header=BB246_9 Depth=1
	s_or_b32 exec_lo, exec_lo, s30
.LBB246_192:                            ;   in Loop: Header=BB246_9 Depth=1
	s_delay_alu instid0(SALU_CYCLE_1)
	s_or_b32 exec_lo, exec_lo, s29
.LBB246_193:                            ;   in Loop: Header=BB246_9 Depth=1
	s_delay_alu instid0(SALU_CYCLE_1) | instskip(SKIP_2) | instid1(VALU_DEP_1)
	s_or_b32 exec_lo, exec_lo, s28
	v_lshrrev_b16 v2, 8, v2
	s_mov_b32 s28, exec_lo
	v_cmpx_ne_u16_e32 0, v2
	s_cbranch_execz .LBB246_201
; %bb.194:                              ;   in Loop: Header=BB246_9 Depth=1
	v_bfrev_b32_e32 v8, 1
	s_mov_b32 s29, exec_lo
	v_cmpx_ne_u16_e32 0x80, v2
	s_cbranch_execz .LBB246_200
; %bb.195:                              ;   in Loop: Header=BB246_9 Depth=1
	v_and_b32_e32 v41, 0xffff, v2
	v_mov_b32_e32 v8, 0x7c010000
	s_mov_b32 s30, exec_lo
	s_delay_alu instid0(VALU_DEP_2) | instskip(NEXT) | instid1(VALU_DEP_1)
	v_and_b32_e32 v43, 0x7f, v41
	v_cmpx_ne_u32_e32 0x7f, v43
	s_cbranch_execz .LBB246_199
; %bb.196:                              ;   in Loop: Header=BB246_9 Depth=1
	v_dual_lshrrev_b32 v42, 3, v43 :: v_dual_bitop2_b32 v8, 7, v41 bitop3:0x40
	s_mov_b32 s31, exec_lo
	v_cmpx_gt_u32_e32 8, v43
; %bb.197:                              ;   in Loop: Header=BB246_9 Depth=1
	s_delay_alu instid0(VALU_DEP_2) | instskip(NEXT) | instid1(VALU_DEP_1)
	v_clz_i32_u32_e32 v8, v8
	v_min_u32_e32 v8, 32, v8
	s_delay_alu instid0(VALU_DEP_1) | instskip(NEXT) | instid1(VALU_DEP_1)
	v_subrev_nc_u32_e32 v42, 28, v8
	v_lshlrev_b64_e32 v[44:45], v42, v[2:3]
	v_sub_nc_u32_e32 v42, 29, v8
	s_delay_alu instid0(VALU_DEP_2)
	v_and_b32_e32 v8, 7, v44
; %bb.198:                              ;   in Loop: Header=BB246_9 Depth=1
	s_or_b32 exec_lo, exec_lo, s31
	s_delay_alu instid0(VALU_DEP_1) | instskip(NEXT) | instid1(VALU_DEP_3)
	v_dual_lshlrev_b32 v2, 8, v41 :: v_dual_lshlrev_b32 v8, 23, v8
	v_lshl_add_u32 v41, v42, 10, 0x2000
	s_delay_alu instid0(VALU_DEP_1) | instskip(NEXT) | instid1(VALU_DEP_1)
	v_and_or_b32 v2, 0x8000, v2, v41
	v_lshl_or_b32 v8, v2, 16, v8
.LBB246_199:                            ;   in Loop: Header=BB246_9 Depth=1
	s_or_b32 exec_lo, exec_lo, s30
.LBB246_200:                            ;   in Loop: Header=BB246_9 Depth=1
	s_delay_alu instid0(SALU_CYCLE_1)
	s_or_b32 exec_lo, exec_lo, s29
.LBB246_201:                            ;   in Loop: Header=BB246_9 Depth=1
	s_delay_alu instid0(SALU_CYCLE_1)
	s_or_b32 exec_lo, exec_lo, s28
	ds_load_b32 v2, v13
	v_or_b32_e32 v19, v18, v19
	v_fma_mixlo_f16 v18, v17, v18, 0 op_sel:[0,1,0] op_sel_hi:[0,1,0]
	v_or_b32_e32 v9, v8, v9
	v_fma_mixlo_f16 v8, v17, v8, 0 op_sel:[0,1,0] op_sel_hi:[0,1,0]
	s_delay_alu instid0(VALU_DEP_3) | instskip(NEXT) | instid1(VALU_DEP_3)
	v_and_b32_e32 v18, 0xffff, v18
	v_fma_mixlo_f16 v9, v17, v9, 0 op_sel_hi:[0,1,0]
	s_delay_alu instid0(VALU_DEP_1)
	v_and_b32_e32 v9, 0xffff, v9
	s_wait_dscnt 0x0
	v_and_b32_e32 v41, 0xffff, v2
	v_lshrrev_b32_e32 v2, 16, v2
	v_fma_mixlo_f16 v19, v17, v19, 0 op_sel_hi:[0,1,0]
	;;#ASMSTART
	v_cvt_f32_f16 v41, v41;
	;;#ASMEND
	;;#ASMSTART
	v_cvt_f32_f16 v42, v2;
	;;#ASMEND
	s_delay_alu instid0(VALU_DEP_1)
	v_and_b32_e32 v19, 0xffff, v19
	;;#ASMSTART
	v_cvt_f32_f16 v43, v19;
	;;#ASMEND
	;;#ASMSTART
	v_cvt_f32_f16 v44, v18;
	;;#ASMEND
	ds_load_b32 v2, v13 offset:4
	v_or_b32_e32 v18, v20, v21
	v_fma_mixlo_f16 v19, v17, v20, 0 op_sel:[0,1,0] op_sel_hi:[0,1,0]
	s_delay_alu instid0(VALU_DEP_1)
	v_and_b32_e32 v19, 0xffff, v19
	s_wait_dscnt 0x0
	v_and_b32_e32 v20, 0xffff, v2
	v_lshrrev_b32_e32 v2, 16, v2
	v_fma_mixlo_f16 v18, v17, v18, 0 op_sel_hi:[0,1,0]
	;;#ASMSTART
	v_cvt_f32_f16 v20, v20;
	;;#ASMEND
	;;#ASMSTART
	v_cvt_f32_f16 v21, v2;
	;;#ASMEND
	s_delay_alu instid0(VALU_DEP_1)
	v_and_b32_e32 v18, 0xffff, v18
	;;#ASMSTART
	v_cvt_f32_f16 v45, v18;
	;;#ASMEND
	;;#ASMSTART
	v_cvt_f32_f16 v46, v19;
	;;#ASMEND
	ds_load_b32 v2, v13 offset:8
	v_or_b32_e32 v18, v23, v24
	v_fma_mixlo_f16 v19, v17, v23, 0 op_sel:[0,1,0] op_sel_hi:[0,1,0]
	;; [unrolled: 23-line block ×3, first 2 shown]
	s_delay_alu instid0(VALU_DEP_2) | instskip(NEXT) | instid1(VALU_DEP_2)
	v_fma_mixlo_f16 v18, v17, v18, 0 op_sel_hi:[0,1,0]
	v_and_b32_e32 v19, 0xffff, v19
	s_delay_alu instid0(VALU_DEP_2)
	v_and_b32_e32 v18, 0xffff, v18
	s_wait_dscnt 0x0
	v_and_b32_e32 v25, 0xffff, v2
	v_lshrrev_b32_e32 v2, 16, v2
	;;#ASMSTART
	v_cvt_f32_f16 v25, v25;
	;;#ASMEND
	;;#ASMSTART
	v_cvt_f32_f16 v26, v2;
	;;#ASMEND
	;;#ASMSTART
	v_cvt_f32_f16 v49, v18;
	;;#ASMEND
	;;#ASMSTART
	v_cvt_f32_f16 v50, v19;
	;;#ASMEND
	ds_load_b32 v2, v13 offset:16
	v_or_b32_e32 v18, v27, v28
	v_fma_mixlo_f16 v19, v17, v27, 0 op_sel:[0,1,0] op_sel_hi:[0,1,0]
	s_delay_alu instid0(VALU_DEP_2) | instskip(NEXT) | instid1(VALU_DEP_2)
	v_fma_mixlo_f16 v18, v17, v18, 0 op_sel_hi:[0,1,0]
	v_and_b32_e32 v19, 0xffff, v19
	s_delay_alu instid0(VALU_DEP_2)
	v_and_b32_e32 v18, 0xffff, v18
	s_wait_dscnt 0x0
	v_and_b32_e32 v27, 0xffff, v2
	v_lshrrev_b32_e32 v2, 16, v2
	;;#ASMSTART
	v_cvt_f32_f16 v27, v27;
	;;#ASMEND
	;;#ASMSTART
	v_cvt_f32_f16 v28, v2;
	;;#ASMEND
	;;#ASMSTART
	v_cvt_f32_f16 v51, v18;
	;;#ASMEND
	;;#ASMSTART
	v_cvt_f32_f16 v52, v19;
	;;#ASMEND
	ds_load_b32 v2, v13 offset:20
	v_or_b32_e32 v18, v29, v30
	v_fma_mixlo_f16 v19, v17, v29, 0 op_sel:[0,1,0] op_sel_hi:[0,1,0]
	;; [unrolled: 23-line block ×6, first 2 shown]
	s_delay_alu instid0(VALU_DEP_2) | instskip(NEXT) | instid1(VALU_DEP_2)
	v_fma_mixlo_f16 v18, v17, v18, 0 op_sel_hi:[0,1,0]
	v_and_b32_e32 v19, 0xffff, v19
	s_delay_alu instid0(VALU_DEP_2) | instskip(SKIP_4) | instid1(VALU_DEP_1)
	v_and_b32_e32 v61, 0xffff, v18
	s_wait_dscnt 0x0
	v_and_b32_e32 v37, 0xffff, v2
	v_dual_lshrrev_b32 v38, 16, v2 :: v_dual_mul_f32 v2, v20, v45
	;;#ASMSTART
	v_cvt_f32_f16 v37, v37;
	;;#ASMEND
	v_dual_fmac_f32 v2, v41, v43 :: v_dual_bitop2_b32 v20, v39, v40 bitop3:0x54
	;;#ASMSTART
	v_cvt_f32_f16 v38, v38;
	;;#ASMEND
	;;#ASMSTART
	v_cvt_f32_f16 v45, v61;
	;;#ASMEND
	s_delay_alu instid0(VALU_DEP_1) | instskip(NEXT) | instid1(VALU_DEP_2)
	v_fma_mixlo_f16 v20, v17, v20, 0 op_sel_hi:[0,1,0]
	v_fmac_f32_e32 v2, v23, v47
	s_delay_alu instid0(VALU_DEP_2) | instskip(NEXT) | instid1(VALU_DEP_2)
	v_and_b32_e32 v20, 0xffff, v20
	v_fmac_f32_e32 v2, v25, v49
	s_delay_alu instid0(VALU_DEP_1) | instskip(NEXT) | instid1(VALU_DEP_1)
	v_fmac_f32_e32 v2, v27, v51
	v_fmac_f32_e32 v2, v29, v53
	v_mul_f32_e32 v18, v21, v46
	;;#ASMSTART
	v_cvt_f32_f16 v46, v19;
	;;#ASMEND
	ds_load_b32 v19, v13 offset:40
	v_fma_mixlo_f16 v21, v17, v39, 0 op_sel:[0,1,0] op_sel_hi:[0,1,0]
	v_fmac_f32_e32 v2, v31, v55
	v_fmac_f32_e32 v18, v42, v44
	v_and_b32_e32 v17, 0xffff, v8
	s_delay_alu instid0(VALU_DEP_4) | instskip(NEXT) | instid1(VALU_DEP_4)
	v_and_b32_e32 v21, 0xffff, v21
	v_fmac_f32_e32 v2, v33, v57
	s_delay_alu instid0(VALU_DEP_4) | instskip(NEXT) | instid1(VALU_DEP_2)
	v_fmac_f32_e32 v18, v24, v48
	v_fmac_f32_e32 v2, v35, v59
	s_delay_alu instid0(VALU_DEP_2) | instskip(NEXT) | instid1(VALU_DEP_2)
	v_fmac_f32_e32 v18, v26, v50
	v_fmac_f32_e32 v2, v37, v45
	s_wait_dscnt 0x0
	v_and_b32_e32 v23, 0xffff, v19
	v_lshrrev_b32_e32 v19, 16, v19
	;;#ASMSTART
	v_cvt_f32_f16 v23, v23;
	;;#ASMEND
	;;#ASMSTART
	v_cvt_f32_f16 v24, v19;
	;;#ASMEND
	;; [unrolled: 3-line block ×4, first 2 shown]
	ds_load_b32 v19, v13 offset:44
	v_dual_fmac_f32 v18, v28, v52 :: v_dual_bitop2_b32 v20, 2, v10 bitop3:0x14
	v_fmac_f32_e32 v2, v23, v25
	s_delay_alu instid0(VALU_DEP_2) | instskip(NEXT) | instid1(VALU_DEP_1)
	v_cmp_gt_i32_e64 s4, 32, v20
	v_cndmask_b32_e64 v8, v10, v20, s4
	s_delay_alu instid0(VALU_DEP_1)
	v_lshlrev_b32_e32 v8, 2, v8
	s_wait_dscnt 0x0
	v_and_b32_e32 v20, 0xffff, v19
	v_dual_fmac_f32 v18, v30, v54 :: v_dual_lshrrev_b32 v19, 16, v19
	;;#ASMSTART
	v_cvt_f32_f16 v20, v20;
	;;#ASMEND
	;;#ASMSTART
	v_cvt_f32_f16 v19, v19;
	;;#ASMEND
	;; [unrolled: 3-line block ×3, first 2 shown]
	v_fmac_f32_e32 v2, v20, v9
	v_dual_fmac_f32 v18, v32, v56 :: v_dual_bitop2_b32 v9, 1, v10 bitop3:0x14
	;;#ASMSTART
	v_cvt_f32_f16 v17, v17;
	;;#ASMEND
	s_delay_alu instid0(VALU_DEP_1) | instskip(NEXT) | instid1(VALU_DEP_1)
	v_cmp_gt_i32_e64 s4, 32, v9
	v_cndmask_b32_e64 v9, v10, v9, s4
	s_delay_alu instid0(VALU_DEP_3) | instskip(NEXT) | instid1(VALU_DEP_1)
	v_fmac_f32_e32 v18, v34, v58
	v_fmac_f32_e32 v18, v36, v60
	s_delay_alu instid0(VALU_DEP_1) | instskip(NEXT) | instid1(VALU_DEP_1)
	v_fmac_f32_e32 v18, v38, v46
	v_fmac_f32_e32 v18, v24, v21
	s_delay_alu instid0(VALU_DEP_1) | instskip(NEXT) | instid1(VALU_DEP_1)
	v_fmac_f32_e32 v18, v19, v17
	v_add_f32_e32 v2, v2, v18
	ds_bpermute_b32 v8, v8, v2
	s_wait_dscnt 0x0
	v_dual_add_f32 v2, v2, v8 :: v_dual_lshlrev_b32 v8, 2, v9
	ds_bpermute_b32 v8, v8, v2
	s_and_saveexec_b32 s28, vcc_lo
	s_cbranch_execz .LBB246_8
; %bb.202:                              ;   in Loop: Header=BB246_9 Depth=1
	s_wait_dscnt 0x0
	v_dual_add_f32 v2, v2, v8 :: v_dual_add_nc_u32 v9, s27, v14
	v_cmp_gt_i32_e64 s4, s23, v14
	s_delay_alu instid0(VALU_DEP_2) | instskip(NEXT) | instid1(VALU_DEP_1)
	v_cvt_f32_i32_e32 v9, v9
	v_mul_f32_e32 v9, s25, v9
	s_delay_alu instid0(VALU_DEP_1) | instskip(NEXT) | instid1(VALU_DEP_1)
	v_dual_cndmask_b32 v8, 0, v9, s3 :: v_dual_max_num_f32 v9, v12, v12
	v_fmac_f32_e32 v8, s7, v2
	s_delay_alu instid0(VALU_DEP_1) | instskip(NEXT) | instid1(VALU_DEP_1)
	v_dual_max_num_f32 v2, v9, v8 :: v_dual_cndmask_b32 v8, 0, v8, s4
	v_cndmask_b32_e64 v12, v12, v2, s4
	ds_store_b32 v15, v8
	s_branch .LBB246_8
.LBB246_203:
	s_or_b32 exec_lo, exec_lo, s6
.LBB246_204:
	s_delay_alu instid0(SALU_CYCLE_1)
	s_or_b32 exec_lo, exec_lo, s26
	v_dual_max_num_f32 v6, v12, v12 :: v_dual_bitop2_b32 v2, 16, v10 bitop3:0x14
	v_xor_b32_e32 v5, 8, v10
	s_load_b64 s[6:7], s[0:1], 0x0
	s_wait_kmcnt 0x0
	s_load_b64 s[8:9], s[0:1], 0x18
	v_and_b32_e32 v23, 31, v0
	v_cmp_lt_i32_e32 vcc_lo, v2, v11
	v_cndmask_b32_e32 v2, v10, v2, vcc_lo
	v_cmp_lt_i32_e32 vcc_lo, v5, v11
	s_delay_alu instid0(VALU_DEP_2) | instskip(SKIP_3) | instid1(VALU_DEP_1)
	v_dual_cndmask_b32 v5, v10, v5 :: v_dual_lshlrev_b32 v2, 2, v2
	ds_bpermute_b32 v4, v2, v12
	s_wait_dscnt 0x0
	v_dual_max_num_f32 v7, v4, v4 :: v_dual_lshlrev_b32 v4, 2, v5
	v_dual_max_num_f32 v5, v6, v7 :: v_dual_bitop2_b32 v7, 4, v10 bitop3:0x14
	ds_bpermute_b32 v6, v4, v5
	v_cmp_lt_i32_e32 vcc_lo, v7, v11
	v_cndmask_b32_e32 v7, v10, v7, vcc_lo
	v_cmp_eq_u32_e32 vcc_lo, 0, v23
	s_wait_dscnt 0x0
	s_delay_alu instid0(VALU_DEP_2) | instskip(NEXT) | instid1(VALU_DEP_1)
	v_dual_max_num_f32 v6, v6, v6 :: v_dual_lshlrev_b32 v7, 2, v7
	v_max_num_f32_e32 v6, v5, v6
	v_lshlrev_b32_e32 v5, 2, v22
	ds_bpermute_b32 v8, v7, v6
	s_wait_xcnt 0x0
	s_and_saveexec_b32 s0, vcc_lo
	s_cbranch_execz .LBB246_206
; %bb.205:
	s_wait_dscnt 0x0
	v_dual_max_num_f32 v8, v8, v8 :: v_dual_max_num_f32 v6, v6, v6
	s_delay_alu instid0(VALU_DEP_1)
	v_max_num_f32_e32 v6, v6, v8
	ds_store_b32 v5, v6 offset:192
.LBB246_206:
	s_or_b32 exec_lo, exec_lo, s0
	v_cmp_gt_u32_e64 s0, 4, v23
	v_dual_mov_b32 v9, 0xff7fffff :: v_dual_lshlrev_b32 v6, 2, v23
	s_wait_dscnt 0x0
	s_barrier_signal -1
	s_barrier_wait -1
	s_and_saveexec_b32 s1, s0
; %bb.207:
	ds_load_b32 v9, v6 offset:192
; %bb.208:
	s_or_b32 exec_lo, exec_lo, s1
	s_wait_dscnt 0x0
	v_dual_max_num_f32 v14, v9, v9 :: v_dual_bitop2_b32 v8, 2, v10 bitop3:0x14
	v_dual_lshlrev_b32 v3, 2, v3 :: v_dual_bitop2_b32 v13, 1, v10 bitop3:0x14
	s_delay_alu instid0(VALU_DEP_2) | instskip(NEXT) | instid1(VALU_DEP_1)
	v_cmp_lt_i32_e64 s1, v8, v11
	v_cndmask_b32_e64 v8, v10, v8, s1
	s_delay_alu instid0(VALU_DEP_3) | instskip(NEXT) | instid1(VALU_DEP_2)
	v_cmp_lt_i32_e64 s1, v13, v11
	v_lshlrev_b32_e32 v8, 2, v8
	ds_bpermute_b32 v12, v8, v9
	v_cndmask_b32_e64 v9, v10, v13, s1
	s_lshl_b32 s1, s24, 3
	s_delay_alu instid0(SALU_CYCLE_1) | instskip(NEXT) | instid1(VALU_DEP_1)
	s_min_i32 s4, s1, s23
	v_lshlrev_b32_e32 v9, 2, v9
	v_cmp_gt_i32_e64 s1, s4, v0
	s_wait_dscnt 0x0
	v_max_num_f32_e32 v11, v12, v12
	s_delay_alu instid0(VALU_DEP_1) | instskip(SKIP_3) | instid1(VALU_DEP_1)
	v_max_num_f32_e32 v11, v14, v11
	ds_bpermute_b32 v12, v9, v11
	s_wait_dscnt 0x0
	v_max_num_f32_e32 v12, v12, v12
	v_max_num_f32_e32 v11, v11, v12
	ds_bpermute_b32 v11, v3, v11
	v_mov_b32_e32 v3, 0
	s_and_saveexec_b32 s19, s1
	s_cbranch_execz .LBB246_212
; %bb.209:
	v_lshl_add_u32 v12, v0, 2, 0xe0
	v_dual_mov_b32 v3, 0 :: v_dual_mov_b32 v13, v0
	s_mov_b32 s25, 0
.LBB246_210:                            ; =>This Inner Loop Header: Depth=1
	ds_load_b32 v14, v12
	v_add_nc_u32_e32 v13, 0x80, v13
	s_delay_alu instid0(VALU_DEP_1) | instskip(SKIP_3) | instid1(VALU_DEP_1)
	v_cmp_le_i32_e64 s3, s4, v13
	s_or_b32 s25, s3, s25
	s_wait_dscnt 0x0
	v_sub_f32_e32 v14, v14, v11
	v_mul_f32_e32 v14, 0x3fb8aa3b, v14
	s_delay_alu instid0(VALU_DEP_1)
	v_exp_f32_e32 v14, v14
	ds_store_b32 v12, v14
	v_nop
	v_dual_add_f32 v3, v3, v14 :: v_dual_add_nc_u32 v12, 0x200, v12
	s_and_not1_b32 exec_lo, exec_lo, s25
	s_cbranch_execnz .LBB246_210
; %bb.211:
	s_or_b32 exec_lo, exec_lo, s25
.LBB246_212:
	s_delay_alu instid0(SALU_CYCLE_1)
	s_or_b32 exec_lo, exec_lo, s19
	ds_bpermute_b32 v2, v2, v3
	s_wait_dscnt 0x0
	v_add_f32_e32 v2, v3, v2
	ds_bpermute_b32 v3, v4, v2
	s_wait_dscnt 0x0
	v_add_f32_e32 v2, v2, v3
	;; [unrolled: 3-line block ×5, first 2 shown]
	s_and_saveexec_b32 s3, vcc_lo
; %bb.213:
	ds_store_b32 v5, v2 offset:208
; %bb.214:
	s_or_b32 exec_lo, exec_lo, s3
	s_wait_dscnt 0x0
	s_barrier_signal -1
	s_barrier_wait -1
	s_and_saveexec_b32 s3, s0
; %bb.215:
	ds_load_b32 v2, v6 offset:208
; %bb.216:
	s_or_b32 exec_lo, exec_lo, s3
	s_wait_dscnt 0x0
	ds_bpermute_b32 v3, v8, v2
	s_wait_dscnt 0x0
	v_dual_lshlrev_b32 v4, 2, v10 :: v_dual_add_f32 v2, v2, v3
	ds_bpermute_b32 v3, v9, v2
	s_wait_dscnt 0x0
	v_add_f32_e32 v2, v2, v3
	v_and_b32_e32 v3, 0xffffff80, v4
	ds_bpermute_b32 v2, v3, v2
	s_and_saveexec_b32 s0, s1
	s_cbranch_execz .LBB246_229
; %bb.217:
	s_wait_dscnt 0x0
	v_add_f32_e32 v2, 0x358637bd, v2
	s_mov_b32 s3, -1
	s_mov_b32 s1, exec_lo
	s_delay_alu instid0(VALU_DEP_1) | instskip(NEXT) | instid1(VALU_DEP_1)
	v_div_scale_f32 v3, null, v2, v2, 1.0
	v_rcp_f32_e32 v5, v3
	v_nop
	s_delay_alu instid0(TRANS32_DEP_1) | instskip(NEXT) | instid1(VALU_DEP_1)
	v_fma_f32 v4, -v3, v5, 1.0
	v_fmac_f32_e32 v5, v4, v5
	v_div_scale_f32 v6, vcc_lo, 1.0, v2, 1.0
	s_delay_alu instid0(VALU_DEP_1) | instskip(NEXT) | instid1(VALU_DEP_1)
	v_mul_f32_e32 v7, v6, v5
	v_fma_f32 v4, -v3, v7, v6
	s_delay_alu instid0(VALU_DEP_1) | instskip(SKIP_1) | instid1(VALU_DEP_2)
	v_fmac_f32_e32 v7, v4, v5
	v_xad_u32 v4, v0, -1, s4
	v_fma_f32 v3, -v3, v7, v6
	s_delay_alu instid0(VALU_DEP_1) | instskip(NEXT) | instid1(VALU_DEP_1)
	v_div_fmas_f32 v3, v3, v5, v7
	v_div_fixup_f32 v2, v3, v2, 1.0
	v_mov_b32_e32 v3, v0
	v_cmpx_lt_u32_e32 0x7f, v4
	s_cbranch_execz .LBB246_226
; %bb.218:
	s_delay_alu instid0(VALU_DEP_3) | instskip(NEXT) | instid1(VALU_DEP_1)
	v_dual_mov_b32 v3, v2 :: v_dual_lshrrev_b32 v4, 7, v4
	v_dual_mov_b32 v8, 0 :: v_dual_add_nc_u32 v5, -1, v4
	s_delay_alu instid0(VALU_DEP_1) | instskip(SKIP_1) | instid1(VALU_DEP_2)
	v_lshrrev_b32_e32 v6, 1, v5
	v_cmp_lt_u32_e32 vcc_lo, 13, v5
	v_add_nc_u32_e32 v5, 1, v6
	s_and_saveexec_b32 s3, vcc_lo
	s_cbranch_execz .LBB246_222
; %bb.219:
	s_delay_alu instid0(VALU_DEP_1)
	v_and_b32_e32 v6, -8, v5
	v_lshl_add_u32 v7, v0, 2, 0xe0
	s_mov_b32 s19, 0
	s_mov_b32 s25, 0
.LBB246_220:                            ; =>This Inner Loop Header: Depth=1
	ds_load_2addr_stride64_b32 v[8:9], v7 offset1:2
	ds_load_2addr_stride64_b32 v[10:11], v7 offset0:4 offset1:6
	ds_load_2addr_stride64_b32 v[12:13], v7 offset0:8 offset1:10
	;; [unrolled: 1-line block ×7, first 2 shown]
	s_add_co_i32 s25, s25, 16
	v_add_nc_u32_e32 v6, -8, v6
	s_wait_dscnt 0x7
	v_pk_mul_f32 v[8:9], v[2:3], v[8:9]
	s_wait_dscnt 0x6
	v_pk_mul_f32 v[10:11], v[2:3], v[10:11]
	;; [unrolled: 2-line block ×8, first 2 shown]
	ds_store_2addr_stride64_b32 v7, v8, v9 offset1:2
	ds_store_2addr_stride64_b32 v7, v10, v11 offset0:4 offset1:6
	ds_store_2addr_stride64_b32 v7, v12, v13 offset0:8 offset1:10
	;; [unrolled: 1-line block ×7, first 2 shown]
	v_mov_b32_e32 v8, s25
	v_cmp_eq_u32_e32 vcc_lo, 0, v6
	v_add_nc_u32_e32 v7, 0x2000, v7
	s_or_b32 s19, vcc_lo, s19
	s_delay_alu instid0(SALU_CYCLE_1)
	s_and_not1_b32 exec_lo, exec_lo, s19
	s_cbranch_execnz .LBB246_220
; %bb.221:
	s_or_b32 exec_lo, exec_lo, s19
.LBB246_222:
	s_delay_alu instid0(SALU_CYCLE_1) | instskip(NEXT) | instid1(VALU_DEP_1)
	s_or_b32 exec_lo, exec_lo, s3
	v_and_b32_e32 v5, 7, v5
	s_mov_b32 s19, 0
	s_mov_b32 s3, exec_lo
	s_delay_alu instid0(VALU_DEP_1)
	v_cmpx_ne_u32_e32 0, v5
	s_cbranch_execz .LBB246_225
; %bb.223:
	v_lshlrev_b32_e32 v6, 9, v8
	v_lshlrev_b32_e32 v7, 2, v0
	s_delay_alu instid0(VALU_DEP_1)
	v_add3_u32 v6, v6, v7, 0xe0
.LBB246_224:                            ; =>This Inner Loop Header: Depth=1
	ds_load_2addr_stride64_b32 v[8:9], v6 offset1:2
	v_add_nc_u32_e32 v5, -1, v5
	s_delay_alu instid0(VALU_DEP_1)
	v_cmp_eq_u32_e32 vcc_lo, 0, v5
	s_or_b32 s19, vcc_lo, s19
	s_wait_dscnt 0x0
	v_pk_mul_f32 v[8:9], v[2:3], v[8:9]
	ds_store_2addr_stride64_b32 v6, v8, v9 offset1:2
	v_add_nc_u32_e32 v6, 0x400, v6
	s_and_not1_b32 exec_lo, exec_lo, s19
	s_cbranch_execnz .LBB246_224
.LBB246_225:
	s_or_b32 exec_lo, exec_lo, s3
	v_add_nc_u32_e32 v3, 1, v4
	s_delay_alu instid0(VALU_DEP_1) | instskip(NEXT) | instid1(VALU_DEP_1)
	v_and_b32_e32 v4, 0x3fffffe, v3
	v_cmp_ne_u32_e32 vcc_lo, v3, v4
	v_lshl_add_u32 v3, v4, 7, v0
	s_or_not1_b32 s3, vcc_lo, exec_lo
.LBB246_226:
	s_or_b32 exec_lo, exec_lo, s1
	s_delay_alu instid0(SALU_CYCLE_1)
	s_and_b32 exec_lo, exec_lo, s3
	s_cbranch_execz .LBB246_229
; %bb.227:
	v_lshl_add_u32 v4, v3, 2, 0xe0
	s_mov_b32 s1, 0
.LBB246_228:                            ; =>This Inner Loop Header: Depth=1
	ds_load_b32 v5, v4
	v_add_nc_u32_e32 v3, 0x80, v3
	s_delay_alu instid0(VALU_DEP_1)
	v_cmp_le_i32_e32 vcc_lo, s4, v3
	s_or_b32 s1, vcc_lo, s1
	s_wait_dscnt 0x0
	v_mul_f32_e32 v5, v2, v5
	ds_store_b32 v4, v5
	v_add_nc_u32_e32 v4, 0x200, v4
	s_and_not1_b32 exec_lo, exec_lo, s1
	s_cbranch_execnz .LBB246_228
.LBB246_229:
	s_or_b32 exec_lo, exec_lo, s0
	s_wait_dscnt 0x0
	v_mov_b64_e32 v[2:3], 0
	v_mov_b32_e32 v36, 0
	s_barrier_signal -1
	s_barrier_wait -1
	s_and_saveexec_b32 s1, s2
	s_cbranch_execz .LBB246_431
; %bb.230:
	v_dual_mov_b32 v5, 0 :: v_dual_lshlrev_b32 v4, 3, v23
	s_ashr_i32 s19, s18, 31
	v_dual_lshlrev_b32 v24, 3, v22 :: v_dual_mov_b32 v36, 0
	s_wait_kmcnt 0x0
	s_add_nc_u64 s[2:3], s[8:9], s[18:19]
	v_lshl_add_u32 v25, v22, 5, 0xe0
	v_add_nc_u64_e32 v[6:7], s[2:3], v[4:5]
	v_and_b32_e32 v4, 0x7c, v1
	s_lshl_b64 s[2:3], s[14:15], 2
	v_dual_mov_b32 v3, 0 :: v_dual_mov_b32 v2, 0
	s_add_nc_u64 s[2:3], s[16:17], s[2:3]
	v_mov_b32_e32 v26, v22
	v_add_nc_u64_e32 v[8:9], s[2:3], v[4:5]
	s_mov_b32 s4, s5
	s_mov_b64 s[2:3], 0xffffffffffffff
	s_add_co_i32 s5, s24, -1
	s_mov_b32 s9, s23
	s_mov_b32 s8, 0
	s_branch .LBB246_232
.LBB246_231:                            ;   in Loop: Header=BB246_232 Depth=1
	s_or_b32 exec_lo, exec_lo, s0
	;;#ASMSTART
	v_pk_mul_f16 v1, v40, v17;

	;;#ASMEND
	;;#ASMSTART
	v_pk_mul_f16 v4, v39, v16;

	;;#ASMEND
	;; [unrolled: 4-line block ×4, first 2 shown]
	;;#ASMSTART
	v_pk_add_f16 v1, v1, v4;

	;;#ASMEND
	;;#ASMSTART
	v_pk_add_f16 v1, v1, v10;

	;;#ASMEND
	;; [unrolled: 4-line block ×3, first 2 shown]
	v_and_b32_e32 v10, 0xffff, v1
	v_dual_lshrrev_b32 v11, 16, v1 :: v_dual_add_f32 v1, v34, v35
	v_add_nc_u32_e32 v26, 4, v26
	;;#ASMSTART
	v_cvt_f32_f16 v10, v10;
	;;#ASMEND
	;;#ASMSTART
	v_cvt_f32_f16 v11, v11;
	;;#ASMEND
	s_delay_alu instid0(VALU_DEP_2) | instskip(SKIP_3) | instid1(VALU_DEP_4)
	v_dual_add_f32 v4, v41, v42 :: v_dual_add_f32 v10, v10, v11
	v_add_f32_e32 v3, v3, v1
	v_cmp_le_i32_e32 vcc_lo, s24, v26
	v_add_nc_u64_e32 v[8:9], 16, v[8:9]
	v_dual_add_f32 v2, v2, v4 :: v_dual_add_f32 v36, v36, v10
	v_add_nc_u32_e32 v24, 32, v24
	v_add_nc_u32_e32 v25, 0x80, v25
	s_or_b32 s8, vcc_lo, s8
	s_delay_alu instid0(SALU_CYCLE_1)
	s_and_not1_b32 exec_lo, exec_lo, s8
	s_cbranch_execz .LBB246_430
.LBB246_232:                            ; =>This Inner Loop Header: Depth=1
	global_load_b32 v1, v[8:9], off
	ds_load_2addr_b64 v[12:15], v25 offset1:1
	ds_load_2addr_b64 v[16:19], v25 offset0:2 offset1:3
	s_mov_b32 s0, exec_lo
	s_wait_dscnt 0x1
	;;#ASMSTART
	v_cvt_f16_f32 v38, v12;

	;;#ASMEND
	;;#ASMSTART
	v_cvt_f16_f32 v34, v13;

	;;#ASMEND
	;; [unrolled: 4-line block ×4, first 2 shown]
	s_wait_dscnt 0x0
	;;#ASMSTART
	v_cvt_f16_f32 v40, v16;

	;;#ASMEND
	;;#ASMSTART
	v_cvt_f16_f32 v37, v17;

	;;#ASMEND
	;; [unrolled: 4-line block ×4, first 2 shown]
	s_wait_loadcnt 0x0
	v_mad_nc_i64_i32 v[10:11], v1, s4, v[6:7]
	v_mov_b32_e32 v1, 0
	global_load_b64 v[14:15], v[10:11], off
	global_load_b32 v12, v5, s[10:11]
	s_wait_loadcnt 0x1
	v_and_b32_e32 v4, 0xff, v14
	s_wait_xcnt 0x0
	s_delay_alu instid0(VALU_DEP_1)
	v_cmpx_ne_u16_e32 0, v4
	s_cbranch_execz .LBB246_240
; %bb.233:                              ;   in Loop: Header=BB246_232 Depth=1
	v_mov_b32_e32 v1, 0x8000
	s_mov_b32 s14, exec_lo
	v_cmpx_ne_u16_e32 0x80, v4
	s_cbranch_execz .LBB246_239
; %bb.234:                              ;   in Loop: Header=BB246_232 Depth=1
	v_and_b32_e32 v13, 0x7f, v14
	v_mov_b32_e32 v1, 0x7c01
	s_mov_b32 s15, exec_lo
	s_delay_alu instid0(VALU_DEP_2)
	v_cmpx_ne_u32_e32 0x7f, v13
	s_cbranch_execz .LBB246_238
; %bb.235:                              ;   in Loop: Header=BB246_232 Depth=1
	v_dual_lshrrev_b32 v4, 3, v13 :: v_dual_bitop2_b32 v1, 7, v14 bitop3:0x40
	s_mov_b32 s16, exec_lo
	v_cmpx_gt_u32_e32 8, v13
; %bb.236:                              ;   in Loop: Header=BB246_232 Depth=1
	s_delay_alu instid0(VALU_DEP_2) | instskip(NEXT) | instid1(VALU_DEP_1)
	v_clz_i32_u32_e32 v1, v1
	v_min_u32_e32 v1, 32, v1
	s_delay_alu instid0(VALU_DEP_1) | instskip(NEXT) | instid1(VALU_DEP_1)
	v_subrev_nc_u32_e32 v4, 28, v1
	v_lshlrev_b64_e32 v[16:17], v4, v[14:15]
	s_delay_alu instid0(VALU_DEP_1)
	v_dual_sub_nc_u32 v4, 29, v1 :: v_dual_bitop2_b32 v1, 7, v16 bitop3:0x40
; %bb.237:                              ;   in Loop: Header=BB246_232 Depth=1
	s_or_b32 exec_lo, exec_lo, s16
	s_delay_alu instid0(VALU_DEP_1) | instskip(NEXT) | instid1(VALU_DEP_2)
	v_dual_lshlrev_b32 v13, 8, v14 :: v_dual_lshlrev_b32 v1, 7, v1
	v_lshl_add_u32 v4, v4, 10, 0x2000
	s_delay_alu instid0(VALU_DEP_2) | instskip(NEXT) | instid1(VALU_DEP_2)
	v_and_b32_e32 v13, 0x8000, v13
	v_and_b32_e32 v4, 0xfc00, v4
	s_delay_alu instid0(VALU_DEP_1)
	v_or3_b32 v1, v13, v4, v1
.LBB246_238:                            ;   in Loop: Header=BB246_232 Depth=1
	s_or_b32 exec_lo, exec_lo, s15
.LBB246_239:                            ;   in Loop: Header=BB246_232 Depth=1
	s_delay_alu instid0(SALU_CYCLE_1)
	s_or_b32 exec_lo, exec_lo, s14
.LBB246_240:                            ;   in Loop: Header=BB246_232 Depth=1
	s_delay_alu instid0(SALU_CYCLE_1) | instskip(SKIP_3) | instid1(VALU_DEP_2)
	s_or_b32 exec_lo, exec_lo, s0
	v_lshrrev_b16 v4, 8, v14
	v_dual_mov_b32 v13, 0 :: v_dual_mov_b32 v16, 0
	s_mov_b32 s0, exec_lo
	v_cmpx_ne_u16_e32 0, v4
	s_cbranch_execz .LBB246_248
; %bb.241:                              ;   in Loop: Header=BB246_232 Depth=1
	v_bfrev_b32_e32 v16, 1
	s_mov_b32 s14, exec_lo
	v_cmpx_ne_u16_e32 0x80, v4
	s_cbranch_execz .LBB246_247
; %bb.242:                              ;   in Loop: Header=BB246_232 Depth=1
	v_and_b32_e32 v17, 0xffff, v4
	v_mov_b32_e32 v16, 0x7c010000
	s_mov_b32 s15, exec_lo
	s_delay_alu instid0(VALU_DEP_2) | instskip(NEXT) | instid1(VALU_DEP_1)
	v_and_b32_e32 v19, 0x7f, v17
	v_cmpx_ne_u32_e32 0x7f, v19
	s_cbranch_execz .LBB246_246
; %bb.243:                              ;   in Loop: Header=BB246_232 Depth=1
	v_dual_lshrrev_b32 v18, 3, v19 :: v_dual_bitop2_b32 v16, 7, v17 bitop3:0x40
	s_mov_b32 s16, exec_lo
	v_cmpx_gt_u32_e32 8, v19
; %bb.244:                              ;   in Loop: Header=BB246_232 Depth=1
	s_delay_alu instid0(VALU_DEP_2) | instskip(NEXT) | instid1(VALU_DEP_1)
	v_clz_i32_u32_e32 v16, v16
	v_min_u32_e32 v16, 32, v16
	s_delay_alu instid0(VALU_DEP_1) | instskip(NEXT) | instid1(VALU_DEP_1)
	v_subrev_nc_u32_e32 v18, 28, v16
	v_lshlrev_b64_e32 v[20:21], v18, v[4:5]
	v_sub_nc_u32_e32 v18, 29, v16
	s_delay_alu instid0(VALU_DEP_2)
	v_and_b32_e32 v16, 7, v20
; %bb.245:                              ;   in Loop: Header=BB246_232 Depth=1
	s_or_b32 exec_lo, exec_lo, s16
	s_delay_alu instid0(VALU_DEP_1) | instskip(NEXT) | instid1(VALU_DEP_3)
	v_dual_lshlrev_b32 v4, 8, v17 :: v_dual_lshlrev_b32 v16, 23, v16
	v_lshl_add_u32 v17, v18, 10, 0x2000
	s_delay_alu instid0(VALU_DEP_1) | instskip(NEXT) | instid1(VALU_DEP_1)
	v_and_or_b32 v4, 0x8000, v4, v17
	v_lshl_or_b32 v16, v4, 16, v16
.LBB246_246:                            ;   in Loop: Header=BB246_232 Depth=1
	s_or_b32 exec_lo, exec_lo, s15
.LBB246_247:                            ;   in Loop: Header=BB246_232 Depth=1
	s_delay_alu instid0(SALU_CYCLE_1)
	s_or_b32 exec_lo, exec_lo, s14
.LBB246_248:                            ;   in Loop: Header=BB246_232 Depth=1
	s_delay_alu instid0(SALU_CYCLE_1) | instskip(SKIP_2) | instid1(VALU_DEP_1)
	s_or_b32 exec_lo, exec_lo, s0
	v_lshrrev_b32_e32 v4, 16, v14
	s_mov_b32 s0, exec_lo
	v_and_b32_e32 v17, 0xff, v4
	s_delay_alu instid0(VALU_DEP_1)
	v_cmpx_ne_u16_e32 0, v17
	s_cbranch_execz .LBB246_256
; %bb.249:                              ;   in Loop: Header=BB246_232 Depth=1
	v_mov_b32_e32 v13, 0x8000
	s_mov_b32 s14, exec_lo
	v_cmpx_ne_u16_e32 0x80, v17
	s_cbranch_execz .LBB246_255
; %bb.250:                              ;   in Loop: Header=BB246_232 Depth=1
	v_bfe_u32 v18, v14, 16, 7
	v_mov_b32_e32 v13, 0x7c01
	s_mov_b32 s15, exec_lo
	s_delay_alu instid0(VALU_DEP_2)
	v_cmpx_ne_u32_e32 0x7f, v18
	s_cbranch_execz .LBB246_254
; %bb.251:                              ;   in Loop: Header=BB246_232 Depth=1
	v_dual_lshrrev_b32 v17, 3, v18 :: v_dual_bitop2_b32 v13, 7, v4 bitop3:0x40
	s_mov_b32 s16, exec_lo
	v_cmpx_gt_u32_e32 8, v18
; %bb.252:                              ;   in Loop: Header=BB246_232 Depth=1
	s_delay_alu instid0(VALU_DEP_2) | instskip(NEXT) | instid1(VALU_DEP_1)
	v_clz_i32_u32_e32 v13, v13
	v_min_u32_e32 v13, 32, v13
	s_delay_alu instid0(VALU_DEP_1) | instskip(NEXT) | instid1(VALU_DEP_1)
	v_subrev_nc_u32_e32 v17, 28, v13
	v_lshlrev_b64_e32 v[18:19], v17, v[4:5]
	s_delay_alu instid0(VALU_DEP_1)
	v_dual_sub_nc_u32 v17, 29, v13 :: v_dual_bitop2_b32 v13, 7, v18 bitop3:0x40
; %bb.253:                              ;   in Loop: Header=BB246_232 Depth=1
	s_or_b32 exec_lo, exec_lo, s16
	s_delay_alu instid0(VALU_DEP_1) | instskip(NEXT) | instid1(VALU_DEP_2)
	v_dual_lshlrev_b32 v4, 8, v4 :: v_dual_lshlrev_b32 v13, 7, v13
	v_lshl_add_u32 v17, v17, 10, 0x2000
	s_delay_alu instid0(VALU_DEP_2) | instskip(NEXT) | instid1(VALU_DEP_2)
	v_and_b32_e32 v4, 0x8000, v4
	v_and_b32_e32 v17, 0xfc00, v17
	s_delay_alu instid0(VALU_DEP_1)
	v_or3_b32 v13, v4, v17, v13
.LBB246_254:                            ;   in Loop: Header=BB246_232 Depth=1
	s_or_b32 exec_lo, exec_lo, s15
.LBB246_255:                            ;   in Loop: Header=BB246_232 Depth=1
	s_delay_alu instid0(SALU_CYCLE_1)
	s_or_b32 exec_lo, exec_lo, s14
.LBB246_256:                            ;   in Loop: Header=BB246_232 Depth=1
	s_delay_alu instid0(SALU_CYCLE_1)
	s_or_b32 exec_lo, exec_lo, s0
	v_dual_mov_b32 v17, 0 :: v_dual_mov_b32 v18, 0
	s_mov_b32 s0, exec_lo
	v_cmpx_lt_u32_e32 0xffffff, v14
	s_cbranch_execz .LBB246_264
; %bb.257:                              ;   in Loop: Header=BB246_232 Depth=1
	v_lshrrev_b32_e32 v4, 24, v14
	v_bfrev_b32_e32 v18, 1
	s_mov_b32 s14, exec_lo
	s_delay_alu instid0(VALU_DEP_2)
	v_cmpx_ne_u32_e32 0x80, v4
	s_cbranch_execz .LBB246_263
; %bb.258:                              ;   in Loop: Header=BB246_232 Depth=1
	v_and_b32_e32 v20, 0x7f, v4
	v_mov_b32_e32 v18, 0x7c010000
	s_mov_b32 s15, exec_lo
	s_delay_alu instid0(VALU_DEP_2)
	v_cmpx_ne_u32_e32 0x7f, v20
	s_cbranch_execz .LBB246_262
; %bb.259:                              ;   in Loop: Header=BB246_232 Depth=1
	v_and_b32_e32 v18, 7, v4
	v_lshrrev_b32_e32 v19, 3, v20
	s_mov_b32 s16, exec_lo
	v_cmpx_gt_u32_e32 8, v20
; %bb.260:                              ;   in Loop: Header=BB246_232 Depth=1
	s_delay_alu instid0(VALU_DEP_3) | instskip(NEXT) | instid1(VALU_DEP_1)
	v_clz_i32_u32_e32 v18, v18
	v_min_u32_e32 v20, 32, v18
	s_delay_alu instid0(VALU_DEP_1) | instskip(NEXT) | instid1(VALU_DEP_1)
	v_subrev_nc_u32_e32 v18, 28, v20
	v_lshlrev_b64_e32 v[18:19], v18, v[4:5]
	s_delay_alu instid0(VALU_DEP_1)
	v_dual_sub_nc_u32 v19, 29, v20 :: v_dual_bitop2_b32 v18, 7, v18 bitop3:0x40
; %bb.261:                              ;   in Loop: Header=BB246_232 Depth=1
	s_or_b32 exec_lo, exec_lo, s16
	s_delay_alu instid0(VALU_DEP_1) | instskip(NEXT) | instid1(VALU_DEP_2)
	v_dual_lshlrev_b32 v4, 8, v4 :: v_dual_lshlrev_b32 v18, 23, v18
	v_lshl_add_u32 v19, v19, 10, 0x2000
	s_delay_alu instid0(VALU_DEP_1) | instskip(NEXT) | instid1(VALU_DEP_1)
	v_and_or_b32 v4, 0x8000, v4, v19
	v_lshl_or_b32 v18, v4, 16, v18
.LBB246_262:                            ;   in Loop: Header=BB246_232 Depth=1
	s_or_b32 exec_lo, exec_lo, s15
.LBB246_263:                            ;   in Loop: Header=BB246_232 Depth=1
	s_delay_alu instid0(SALU_CYCLE_1)
	s_or_b32 exec_lo, exec_lo, s14
.LBB246_264:                            ;   in Loop: Header=BB246_232 Depth=1
	s_delay_alu instid0(SALU_CYCLE_1) | instskip(SKIP_3) | instid1(VALU_DEP_2)
	s_or_b32 exec_lo, exec_lo, s0
	v_and_b32_e32 v19, 0xff, v15
	v_mov_b32_e32 v4, v15
	s_mov_b32 s0, exec_lo
	v_cmpx_ne_u16_e32 0, v19
	s_cbranch_execz .LBB246_272
; %bb.265:                              ;   in Loop: Header=BB246_232 Depth=1
	v_mov_b32_e32 v17, 0x8000
	s_mov_b32 s14, exec_lo
	v_cmpx_ne_u16_e32 0x80, v19
	s_cbranch_execz .LBB246_271
; %bb.266:                              ;   in Loop: Header=BB246_232 Depth=1
	v_and_b32_e32 v20, 0x7f, v15
	v_mov_b32_e32 v17, 0x7c01
	s_mov_b32 s15, exec_lo
	s_delay_alu instid0(VALU_DEP_2)
	v_cmpx_ne_u32_e32 0x7f, v20
	s_cbranch_execz .LBB246_270
; %bb.267:                              ;   in Loop: Header=BB246_232 Depth=1
	v_dual_lshrrev_b32 v19, 3, v20 :: v_dual_bitop2_b32 v17, 7, v15 bitop3:0x40
	s_mov_b32 s16, exec_lo
	v_cmpx_gt_u32_e32 8, v20
; %bb.268:                              ;   in Loop: Header=BB246_232 Depth=1
	s_delay_alu instid0(VALU_DEP_2) | instskip(NEXT) | instid1(VALU_DEP_1)
	v_clz_i32_u32_e32 v17, v17
	v_min_u32_e32 v17, 32, v17
	s_delay_alu instid0(VALU_DEP_1) | instskip(NEXT) | instid1(VALU_DEP_1)
	v_subrev_nc_u32_e32 v19, 28, v17
	v_lshlrev_b64_e32 v[20:21], v19, v[4:5]
	s_delay_alu instid0(VALU_DEP_1)
	v_dual_sub_nc_u32 v19, 29, v17 :: v_dual_bitop2_b32 v17, 7, v20 bitop3:0x40
; %bb.269:                              ;   in Loop: Header=BB246_232 Depth=1
	s_or_b32 exec_lo, exec_lo, s16
	s_delay_alu instid0(VALU_DEP_1) | instskip(NEXT) | instid1(VALU_DEP_2)
	v_dual_lshlrev_b32 v20, 8, v15 :: v_dual_lshlrev_b32 v17, 7, v17
	v_lshl_add_u32 v19, v19, 10, 0x2000
	s_delay_alu instid0(VALU_DEP_2) | instskip(NEXT) | instid1(VALU_DEP_2)
	v_and_b32_e32 v20, 0x8000, v20
	v_and_b32_e32 v19, 0xfc00, v19
	s_delay_alu instid0(VALU_DEP_1)
	v_or3_b32 v17, v20, v19, v17
.LBB246_270:                            ;   in Loop: Header=BB246_232 Depth=1
	s_or_b32 exec_lo, exec_lo, s15
.LBB246_271:                            ;   in Loop: Header=BB246_232 Depth=1
	s_delay_alu instid0(SALU_CYCLE_1)
	s_or_b32 exec_lo, exec_lo, s14
.LBB246_272:                            ;   in Loop: Header=BB246_232 Depth=1
	s_delay_alu instid0(SALU_CYCLE_1) | instskip(SKIP_3) | instid1(VALU_DEP_2)
	s_or_b32 exec_lo, exec_lo, s0
	v_lshrrev_b16 v4, 8, v4
	v_dual_mov_b32 v20, 0 :: v_dual_mov_b32 v19, 0
	s_mov_b32 s0, exec_lo
	v_cmpx_ne_u16_e32 0, v4
	s_cbranch_execz .LBB246_280
; %bb.273:                              ;   in Loop: Header=BB246_232 Depth=1
	v_bfrev_b32_e32 v19, 1
	s_mov_b32 s14, exec_lo
	v_cmpx_ne_u16_e32 0x80, v4
	s_cbranch_execz .LBB246_279
; %bb.274:                              ;   in Loop: Header=BB246_232 Depth=1
	v_and_b32_e32 v21, 0xffff, v4
	v_mov_b32_e32 v19, 0x7c010000
	s_mov_b32 s15, exec_lo
	s_delay_alu instid0(VALU_DEP_2) | instskip(NEXT) | instid1(VALU_DEP_1)
	v_and_b32_e32 v28, 0x7f, v21
	v_cmpx_ne_u32_e32 0x7f, v28
	s_cbranch_execz .LBB246_278
; %bb.275:                              ;   in Loop: Header=BB246_232 Depth=1
	v_dual_lshrrev_b32 v27, 3, v28 :: v_dual_bitop2_b32 v19, 7, v21 bitop3:0x40
	s_mov_b32 s16, exec_lo
	v_cmpx_gt_u32_e32 8, v28
; %bb.276:                              ;   in Loop: Header=BB246_232 Depth=1
	s_delay_alu instid0(VALU_DEP_2) | instskip(NEXT) | instid1(VALU_DEP_1)
	v_clz_i32_u32_e32 v19, v19
	v_min_u32_e32 v19, 32, v19
	s_delay_alu instid0(VALU_DEP_1) | instskip(NEXT) | instid1(VALU_DEP_1)
	v_subrev_nc_u32_e32 v27, 28, v19
	v_lshlrev_b64_e32 v[28:29], v27, v[4:5]
	s_delay_alu instid0(VALU_DEP_1)
	v_dual_sub_nc_u32 v27, 29, v19 :: v_dual_bitop2_b32 v19, 7, v28 bitop3:0x40
; %bb.277:                              ;   in Loop: Header=BB246_232 Depth=1
	s_or_b32 exec_lo, exec_lo, s16
	s_delay_alu instid0(VALU_DEP_1) | instskip(NEXT) | instid1(VALU_DEP_2)
	v_dual_lshlrev_b32 v4, 8, v21 :: v_dual_lshlrev_b32 v19, 23, v19
	v_lshl_add_u32 v21, v27, 10, 0x2000
	s_delay_alu instid0(VALU_DEP_1) | instskip(NEXT) | instid1(VALU_DEP_1)
	v_and_or_b32 v4, 0x8000, v4, v21
	v_lshl_or_b32 v19, v4, 16, v19
.LBB246_278:                            ;   in Loop: Header=BB246_232 Depth=1
	s_or_b32 exec_lo, exec_lo, s15
.LBB246_279:                            ;   in Loop: Header=BB246_232 Depth=1
	s_delay_alu instid0(SALU_CYCLE_1)
	s_or_b32 exec_lo, exec_lo, s14
.LBB246_280:                            ;   in Loop: Header=BB246_232 Depth=1
	s_delay_alu instid0(SALU_CYCLE_1) | instskip(SKIP_2) | instid1(VALU_DEP_1)
	s_or_b32 exec_lo, exec_lo, s0
	v_lshrrev_b32_e32 v4, 16, v15
	s_mov_b32 s0, exec_lo
	v_and_b32_e32 v21, 0xff, v4
	s_delay_alu instid0(VALU_DEP_1)
	v_cmpx_ne_u16_e32 0, v21
	s_cbranch_execz .LBB246_288
; %bb.281:                              ;   in Loop: Header=BB246_232 Depth=1
	v_mov_b32_e32 v20, 0x8000
	s_mov_b32 s14, exec_lo
	v_cmpx_ne_u16_e32 0x80, v21
	s_cbranch_execz .LBB246_287
; %bb.282:                              ;   in Loop: Header=BB246_232 Depth=1
	v_bfe_u32 v27, v15, 16, 7
	v_mov_b32_e32 v20, 0x7c01
	s_mov_b32 s15, exec_lo
	s_delay_alu instid0(VALU_DEP_2)
	v_cmpx_ne_u32_e32 0x7f, v27
	s_cbranch_execz .LBB246_286
; %bb.283:                              ;   in Loop: Header=BB246_232 Depth=1
	v_dual_lshrrev_b32 v21, 3, v27 :: v_dual_bitop2_b32 v20, 7, v4 bitop3:0x40
	s_mov_b32 s16, exec_lo
	v_cmpx_gt_u32_e32 8, v27
; %bb.284:                              ;   in Loop: Header=BB246_232 Depth=1
	s_delay_alu instid0(VALU_DEP_2) | instskip(NEXT) | instid1(VALU_DEP_1)
	v_clz_i32_u32_e32 v20, v20
	v_min_u32_e32 v27, 32, v20
	s_delay_alu instid0(VALU_DEP_1) | instskip(NEXT) | instid1(VALU_DEP_1)
	v_subrev_nc_u32_e32 v20, 28, v27
	v_lshlrev_b64_e32 v[20:21], v20, v[4:5]
	s_delay_alu instid0(VALU_DEP_1)
	v_dual_sub_nc_u32 v21, 29, v27 :: v_dual_bitop2_b32 v20, 7, v20 bitop3:0x40
; %bb.285:                              ;   in Loop: Header=BB246_232 Depth=1
	s_or_b32 exec_lo, exec_lo, s16
	v_lshlrev_b32_e32 v4, 8, v4
	s_delay_alu instid0(VALU_DEP_2) | instskip(NEXT) | instid1(VALU_DEP_3)
	v_lshl_add_u32 v21, v21, 10, 0x2000
	v_lshlrev_b32_e32 v20, 7, v20
	s_delay_alu instid0(VALU_DEP_3) | instskip(NEXT) | instid1(VALU_DEP_3)
	v_and_b32_e32 v4, 0x8000, v4
	v_and_b32_e32 v21, 0xfc00, v21
	s_delay_alu instid0(VALU_DEP_1)
	v_or3_b32 v20, v4, v21, v20
.LBB246_286:                            ;   in Loop: Header=BB246_232 Depth=1
	s_or_b32 exec_lo, exec_lo, s15
.LBB246_287:                            ;   in Loop: Header=BB246_232 Depth=1
	s_delay_alu instid0(SALU_CYCLE_1)
	s_or_b32 exec_lo, exec_lo, s14
.LBB246_288:                            ;   in Loop: Header=BB246_232 Depth=1
	s_delay_alu instid0(SALU_CYCLE_1)
	s_or_b32 exec_lo, exec_lo, s0
	v_cmp_lt_u64_e32 vcc_lo, s[2:3], v[14:15]
	v_mov_b32_e32 v14, 0
	s_and_saveexec_b32 s0, vcc_lo
	s_cbranch_execz .LBB246_296
; %bb.289:                              ;   in Loop: Header=BB246_232 Depth=1
	v_lshrrev_b32_e32 v4, 24, v15
	v_bfrev_b32_e32 v14, 1
	s_mov_b32 s14, exec_lo
	s_delay_alu instid0(VALU_DEP_2)
	v_cmpx_ne_u32_e32 0x80, v4
	s_cbranch_execz .LBB246_295
; %bb.290:                              ;   in Loop: Header=BB246_232 Depth=1
	v_and_b32_e32 v21, 0x7f, v4
	v_mov_b32_e32 v14, 0x7c010000
	s_mov_b32 s15, exec_lo
	s_delay_alu instid0(VALU_DEP_2)
	v_cmpx_ne_u32_e32 0x7f, v21
	s_cbranch_execz .LBB246_294
; %bb.291:                              ;   in Loop: Header=BB246_232 Depth=1
	v_dual_lshrrev_b32 v15, 3, v21 :: v_dual_bitop2_b32 v14, 7, v4 bitop3:0x40
	s_mov_b32 s16, exec_lo
	v_cmpx_gt_u32_e32 8, v21
; %bb.292:                              ;   in Loop: Header=BB246_232 Depth=1
	s_delay_alu instid0(VALU_DEP_2) | instskip(NEXT) | instid1(VALU_DEP_1)
	v_clz_i32_u32_e32 v14, v14
	v_min_u32_e32 v21, 32, v14
	s_delay_alu instid0(VALU_DEP_1) | instskip(NEXT) | instid1(VALU_DEP_1)
	v_subrev_nc_u32_e32 v14, 28, v21
	v_lshlrev_b64_e32 v[14:15], v14, v[4:5]
	s_delay_alu instid0(VALU_DEP_1)
	v_dual_sub_nc_u32 v15, 29, v21 :: v_dual_bitop2_b32 v14, 7, v14 bitop3:0x40
; %bb.293:                              ;   in Loop: Header=BB246_232 Depth=1
	s_or_b32 exec_lo, exec_lo, s16
	s_delay_alu instid0(VALU_DEP_1) | instskip(NEXT) | instid1(VALU_DEP_2)
	v_dual_lshlrev_b32 v4, 8, v4 :: v_dual_lshlrev_b32 v14, 23, v14
	v_lshl_add_u32 v15, v15, 10, 0x2000
	s_delay_alu instid0(VALU_DEP_1) | instskip(NEXT) | instid1(VALU_DEP_1)
	v_and_or_b32 v4, 0x8000, v4, v15
	v_lshl_or_b32 v14, v4, 16, v14
.LBB246_294:                            ;   in Loop: Header=BB246_232 Depth=1
	s_or_b32 exec_lo, exec_lo, s15
.LBB246_295:                            ;   in Loop: Header=BB246_232 Depth=1
	s_delay_alu instid0(SALU_CYCLE_1)
	s_or_b32 exec_lo, exec_lo, s14
.LBB246_296:                            ;   in Loop: Header=BB246_232 Depth=1
	s_delay_alu instid0(SALU_CYCLE_1) | instskip(SKIP_3) | instid1(VALU_DEP_3)
	s_or_b32 exec_lo, exec_lo, s0
	v_dual_lshrrev_b32 v4, 16, v16 :: v_dual_lshrrev_b32 v15, 16, v18
	v_dual_lshrrev_b32 v16, 16, v19 :: v_dual_bitop2_b32 v1, v16, v1 bitop3:0x54
	v_dual_lshrrev_b32 v18, 16, v14 :: v_dual_bitop2_b32 v13, v18, v13 bitop3:0x54
	v_cvt_f32_f16_e32 v29, v4
	s_delay_alu instid0(VALU_DEP_4) | instskip(SKIP_1) | instid1(VALU_DEP_4)
	v_cvt_f32_f16_e32 v28, v15
	v_or_b32_e32 v4, v14, v20
	v_cvt_f32_f16_e32 v14, v13
	v_cvt_f32_f16_e32 v15, v1
	v_cmp_eq_u32_e32 vcc_lo, s5, v26
	s_wait_loadcnt 0x0
	v_pk_mul_f32 v[20:21], v[12:13], v[28:29] op_sel_hi:[0,1]
	v_or_b32_e32 v13, v19, v17
	v_cvt_f32_f16_e32 v17, v16
	v_cvt_f32_f16_e32 v16, v18
	;; [unrolled: 1-line block ×3, first 2 shown]
	v_cvt_pk_f16_f32 v1, v20, v21
	v_pk_mul_f32 v[14:15], v[12:13], v[14:15] op_sel_hi:[0,1]
	v_or_b32_e32 v32, 1, v24
	v_or_b32_e32 v31, 3, v24
	;; [unrolled: 1-line block ×4, first 2 shown]
	v_cvt_pk_f16_f32 v4, v14, v15
	v_or_b32_e32 v28, 5, v24
	v_dual_add_nc_u32 v33, 2, v24 :: v_dual_bitop2_b32 v27, 7, v24 bitop3:0x54
	s_delay_alu instid0(VALU_DEP_3) | instskip(SKIP_3) | instid1(VALU_DEP_3)
	v_lshrrev_b32_e32 v21, 16, v4
	v_cvt_f32_f16_e32 v19, v13
	v_pk_mul_f32 v[16:17], v[12:13], v[16:17] op_sel_hi:[0,1]
	v_and_b32_e32 v20, 0xffff, v4
	v_pk_mul_f32 v[12:13], v[12:13], v[18:19] op_sel_hi:[0,1]
	s_delay_alu instid0(VALU_DEP_3) | instskip(SKIP_2) | instid1(VALU_DEP_4)
	v_cvt_pk_f16_f32 v14, v16, v17
	v_and_b32_e32 v19, 0xffff0000, v1
	v_lshlrev_b32_e32 v18, 16, v1
	v_cvt_pk_f16_f32 v12, v12, v13
	s_delay_alu instid0(VALU_DEP_4) | instskip(NEXT) | instid1(VALU_DEP_4)
	v_and_b32_e32 v1, 0xffff0000, v14
	v_dual_lshlrev_b32 v4, 16, v14 :: v_dual_bitop2_b32 v15, v19, v21 bitop3:0x54
	s_delay_alu instid0(VALU_DEP_4) | instskip(NEXT) | instid1(VALU_DEP_4)
	v_or_b32_e32 v14, v18, v20
	v_lshrrev_b32_e32 v17, 16, v12
	v_and_b32_e32 v16, 0xffff, v12
	s_delay_alu instid0(VALU_DEP_2) | instskip(NEXT) | instid1(VALU_DEP_2)
	v_or_b32_e32 v13, v1, v17
	v_or_b32_e32 v12, v4, v16
	s_and_saveexec_b32 s14, vcc_lo
	s_cbranch_execz .LBB246_298
; %bb.297:                              ;   in Loop: Header=BB246_232 Depth=1
	v_cmp_gt_i32_e64 s0, s9, v24
	s_delay_alu instid0(VALU_DEP_1) | instskip(SKIP_1) | instid1(VALU_DEP_1)
	v_cndmask_b32_e64 v12, 0, v21, s0
	v_cmp_gt_i32_e64 s0, s23, v33
	v_cndmask_b32_e64 v13, 0, v20, s0
	v_cmp_gt_i32_e64 s0, s9, v32
	s_delay_alu instid0(VALU_DEP_1) | instskip(SKIP_1) | instid1(VALU_DEP_1)
	v_cndmask_b32_e64 v14, 0, v19, s0
	v_cmp_gt_i32_e64 s0, s23, v31
	v_cndmask_b32_e64 v18, 0, v18, s0
	v_cmp_gt_i32_e64 s0, s9, v30
	s_delay_alu instid0(VALU_DEP_4) | instskip(NEXT) | instid1(VALU_DEP_3)
	v_or_b32_e32 v15, v14, v12
	v_or_b32_e32 v14, v18, v13
	s_delay_alu instid0(VALU_DEP_3) | instskip(SKIP_1) | instid1(VALU_DEP_1)
	v_cndmask_b32_e64 v17, 0, v17, s0
	v_cmp_gt_i32_e64 s0, s23, v29
	v_cndmask_b32_e64 v16, 0, v16, s0
	v_cmp_gt_i32_e64 s0, s9, v28
	s_delay_alu instid0(VALU_DEP_1) | instskip(SKIP_1) | instid1(VALU_DEP_1)
	v_cndmask_b32_e64 v1, 0, v1, s0
	v_cmp_gt_i32_e64 s0, s23, v27
	v_dual_cndmask_b32 v4, 0, v4, s0 :: v_dual_bitop2_b32 v13, v1, v17 bitop3:0x54
	s_delay_alu instid0(VALU_DEP_1)
	v_or_b32_e32 v12, v4, v16
.LBB246_298:                            ;   in Loop: Header=BB246_232 Depth=1
	s_or_b32 exec_lo, exec_lo, s14
	v_and_b32_e32 v1, 0xffff, v38
	v_and_b32_e32 v4, 0xffff, v39
	;; [unrolled: 1-line block ×4, first 2 shown]
	s_mov_b32 s14, exec_lo
	v_lshl_or_b32 v40, v34, 16, v1
	;;#ASMSTART
	v_pk_mul_f16 v1, v40, v15;

	;;#ASMEND
	v_lshl_or_b32 v39, v35, 16, v4
	v_lshl_or_b32 v38, v37, 16, v16
	;; [unrolled: 1-line block ×3, first 2 shown]
	;;#ASMSTART
	v_pk_mul_f16 v4, v39, v14;

	;;#ASMEND
	;;#ASMSTART
	v_pk_mul_f16 v13, v38, v13;

	;;#ASMEND
	;; [unrolled: 4-line block ×3, first 2 shown]
	;;#ASMSTART
	v_pk_add_f16 v1, v1, v4;

	;;#ASMEND
	;;#ASMSTART
	v_pk_add_f16 v1, v1, v13;

	;;#ASMEND
	;; [unrolled: 4-line block ×3, first 2 shown]
	v_and_b32_e32 v4, 0xffff, v1
	v_dual_lshrrev_b32 v1, 16, v1 :: v_dual_mov_b32 v13, 0
	;;#ASMSTART
	v_cvt_f32_f16 v41, v4;
	;;#ASMEND
	;;#ASMSTART
	v_cvt_f32_f16 v42, v1;
	;;#ASMEND
	global_load_b64 v[14:15], v[10:11], off offset:256
	v_mov_b32_e32 v1, 0
	global_load_b32 v12, v1, s[10:11]
	s_wait_loadcnt 0x1
	v_and_b32_e32 v4, 0xff, v14
	s_wait_xcnt 0x0
	s_delay_alu instid0(VALU_DEP_1)
	v_cmpx_ne_u16_e32 0, v4
	s_cbranch_execz .LBB246_306
; %bb.299:                              ;   in Loop: Header=BB246_232 Depth=1
	v_mov_b32_e32 v13, 0x8000
	s_mov_b32 s15, exec_lo
	v_cmpx_ne_u16_e32 0x80, v4
	s_cbranch_execz .LBB246_305
; %bb.300:                              ;   in Loop: Header=BB246_232 Depth=1
	v_and_b32_e32 v16, 0x7f, v14
	v_mov_b32_e32 v13, 0x7c01
	s_mov_b32 s16, exec_lo
	s_delay_alu instid0(VALU_DEP_2)
	v_cmpx_ne_u32_e32 0x7f, v16
	s_cbranch_execz .LBB246_304
; %bb.301:                              ;   in Loop: Header=BB246_232 Depth=1
	v_dual_lshrrev_b32 v13, 3, v16 :: v_dual_bitop2_b32 v4, 7, v14 bitop3:0x40
	s_mov_b32 s17, exec_lo
	v_cmpx_gt_u32_e32 8, v16
; %bb.302:                              ;   in Loop: Header=BB246_232 Depth=1
	s_delay_alu instid0(VALU_DEP_2) | instskip(NEXT) | instid1(VALU_DEP_1)
	v_clz_i32_u32_e32 v4, v4
	v_min_u32_e32 v4, 32, v4
	s_delay_alu instid0(VALU_DEP_1) | instskip(NEXT) | instid1(VALU_DEP_1)
	v_subrev_nc_u32_e32 v13, 28, v4
	v_lshlrev_b64_e32 v[16:17], v13, v[14:15]
	v_sub_nc_u32_e32 v13, 29, v4
	s_delay_alu instid0(VALU_DEP_2)
	v_and_b32_e32 v4, 7, v16
; %bb.303:                              ;   in Loop: Header=BB246_232 Depth=1
	s_or_b32 exec_lo, exec_lo, s17
	s_delay_alu instid0(VALU_DEP_1) | instskip(NEXT) | instid1(VALU_DEP_3)
	v_dual_lshlrev_b32 v16, 8, v14 :: v_dual_lshlrev_b32 v4, 7, v4
	v_lshl_add_u32 v13, v13, 10, 0x2000
	s_delay_alu instid0(VALU_DEP_2) | instskip(NEXT) | instid1(VALU_DEP_2)
	v_and_b32_e32 v16, 0x8000, v16
	v_and_b32_e32 v13, 0xfc00, v13
	s_delay_alu instid0(VALU_DEP_1)
	v_or3_b32 v13, v16, v13, v4
.LBB246_304:                            ;   in Loop: Header=BB246_232 Depth=1
	s_or_b32 exec_lo, exec_lo, s16
.LBB246_305:                            ;   in Loop: Header=BB246_232 Depth=1
	s_delay_alu instid0(SALU_CYCLE_1)
	s_or_b32 exec_lo, exec_lo, s15
.LBB246_306:                            ;   in Loop: Header=BB246_232 Depth=1
	s_delay_alu instid0(SALU_CYCLE_1) | instskip(SKIP_2) | instid1(VALU_DEP_1)
	s_or_b32 exec_lo, exec_lo, s14
	v_lshrrev_b16 v4, 8, v14
	s_mov_b32 s14, exec_lo
	v_cmpx_ne_u16_e32 0, v4
	s_cbranch_execz .LBB246_314
; %bb.307:                              ;   in Loop: Header=BB246_232 Depth=1
	v_bfrev_b32_e32 v1, 1
	s_mov_b32 s15, exec_lo
	v_cmpx_ne_u16_e32 0x80, v4
	s_cbranch_execz .LBB246_313
; %bb.308:                              ;   in Loop: Header=BB246_232 Depth=1
	v_and_b32_e32 v16, 0xffff, v4
	v_mov_b32_e32 v1, 0x7c010000
	s_mov_b32 s16, exec_lo
	s_delay_alu instid0(VALU_DEP_2) | instskip(NEXT) | instid1(VALU_DEP_1)
	v_and_b32_e32 v18, 0x7f, v16
	v_cmpx_ne_u32_e32 0x7f, v18
	s_cbranch_execz .LBB246_312
; %bb.309:                              ;   in Loop: Header=BB246_232 Depth=1
	v_dual_lshrrev_b32 v17, 3, v18 :: v_dual_bitop2_b32 v1, 7, v16 bitop3:0x40
	s_mov_b32 s17, exec_lo
	v_cmpx_gt_u32_e32 8, v18
; %bb.310:                              ;   in Loop: Header=BB246_232 Depth=1
	s_delay_alu instid0(VALU_DEP_2) | instskip(NEXT) | instid1(VALU_DEP_1)
	v_clz_i32_u32_e32 v1, v1
	v_min_u32_e32 v1, 32, v1
	s_delay_alu instid0(VALU_DEP_1) | instskip(NEXT) | instid1(VALU_DEP_1)
	v_subrev_nc_u32_e32 v17, 28, v1
	v_lshlrev_b64_e32 v[18:19], v17, v[4:5]
	s_delay_alu instid0(VALU_DEP_1)
	v_dual_sub_nc_u32 v17, 29, v1 :: v_dual_bitop2_b32 v1, 7, v18 bitop3:0x40
; %bb.311:                              ;   in Loop: Header=BB246_232 Depth=1
	s_or_b32 exec_lo, exec_lo, s17
	s_delay_alu instid0(VALU_DEP_1) | instskip(NEXT) | instid1(VALU_DEP_2)
	v_dual_lshlrev_b32 v4, 8, v16 :: v_dual_lshlrev_b32 v1, 23, v1
	v_lshl_add_u32 v16, v17, 10, 0x2000
	s_delay_alu instid0(VALU_DEP_1) | instskip(NEXT) | instid1(VALU_DEP_1)
	v_and_or_b32 v4, 0x8000, v4, v16
	v_lshl_or_b32 v1, v4, 16, v1
.LBB246_312:                            ;   in Loop: Header=BB246_232 Depth=1
	s_or_b32 exec_lo, exec_lo, s16
.LBB246_313:                            ;   in Loop: Header=BB246_232 Depth=1
	s_delay_alu instid0(SALU_CYCLE_1)
	s_or_b32 exec_lo, exec_lo, s15
.LBB246_314:                            ;   in Loop: Header=BB246_232 Depth=1
	s_delay_alu instid0(SALU_CYCLE_1) | instskip(SKIP_3) | instid1(VALU_DEP_2)
	s_or_b32 exec_lo, exec_lo, s14
	v_dual_lshrrev_b32 v4, 16, v14 :: v_dual_mov_b32 v16, 0
	v_mov_b32_e32 v17, 0
	s_mov_b32 s14, exec_lo
	v_and_b32_e32 v18, 0xff, v4
	s_delay_alu instid0(VALU_DEP_1)
	v_cmpx_ne_u16_e32 0, v18
	s_cbranch_execz .LBB246_322
; %bb.315:                              ;   in Loop: Header=BB246_232 Depth=1
	v_mov_b32_e32 v17, 0x8000
	s_mov_b32 s15, exec_lo
	v_cmpx_ne_u16_e32 0x80, v18
	s_cbranch_execz .LBB246_321
; %bb.316:                              ;   in Loop: Header=BB246_232 Depth=1
	v_bfe_u32 v19, v14, 16, 7
	v_mov_b32_e32 v17, 0x7c01
	s_mov_b32 s16, exec_lo
	s_delay_alu instid0(VALU_DEP_2)
	v_cmpx_ne_u32_e32 0x7f, v19
	s_cbranch_execz .LBB246_320
; %bb.317:                              ;   in Loop: Header=BB246_232 Depth=1
	v_dual_lshrrev_b32 v18, 3, v19 :: v_dual_bitop2_b32 v17, 7, v4 bitop3:0x40
	s_mov_b32 s17, exec_lo
	v_cmpx_gt_u32_e32 8, v19
; %bb.318:                              ;   in Loop: Header=BB246_232 Depth=1
	s_delay_alu instid0(VALU_DEP_2) | instskip(NEXT) | instid1(VALU_DEP_1)
	v_clz_i32_u32_e32 v17, v17
	v_min_u32_e32 v17, 32, v17
	s_delay_alu instid0(VALU_DEP_1) | instskip(NEXT) | instid1(VALU_DEP_1)
	v_subrev_nc_u32_e32 v18, 28, v17
	v_lshlrev_b64_e32 v[20:21], v18, v[4:5]
	s_delay_alu instid0(VALU_DEP_1)
	v_dual_sub_nc_u32 v18, 29, v17 :: v_dual_bitop2_b32 v17, 7, v20 bitop3:0x40
; %bb.319:                              ;   in Loop: Header=BB246_232 Depth=1
	s_or_b32 exec_lo, exec_lo, s17
	s_delay_alu instid0(VALU_DEP_1) | instskip(NEXT) | instid1(VALU_DEP_2)
	v_dual_lshlrev_b32 v4, 8, v4 :: v_dual_lshlrev_b32 v17, 7, v17
	v_lshl_add_u32 v18, v18, 10, 0x2000
	s_delay_alu instid0(VALU_DEP_2) | instskip(NEXT) | instid1(VALU_DEP_2)
	v_and_b32_e32 v4, 0x8000, v4
	v_and_b32_e32 v18, 0xfc00, v18
	s_delay_alu instid0(VALU_DEP_1)
	v_or3_b32 v17, v4, v18, v17
.LBB246_320:                            ;   in Loop: Header=BB246_232 Depth=1
	s_or_b32 exec_lo, exec_lo, s16
.LBB246_321:                            ;   in Loop: Header=BB246_232 Depth=1
	s_delay_alu instid0(SALU_CYCLE_1)
	s_or_b32 exec_lo, exec_lo, s15
.LBB246_322:                            ;   in Loop: Header=BB246_232 Depth=1
	s_delay_alu instid0(SALU_CYCLE_1) | instskip(NEXT) | instid1(SALU_CYCLE_1)
	s_or_b32 exec_lo, exec_lo, s14
	s_mov_b32 s14, exec_lo
	v_cmpx_lt_u32_e32 0xffffff, v14
	s_cbranch_execz .LBB246_330
; %bb.323:                              ;   in Loop: Header=BB246_232 Depth=1
	v_lshrrev_b32_e32 v4, 24, v14
	v_bfrev_b32_e32 v16, 1
	s_mov_b32 s15, exec_lo
	s_delay_alu instid0(VALU_DEP_2)
	v_cmpx_ne_u32_e32 0x80, v4
	s_cbranch_execz .LBB246_329
; %bb.324:                              ;   in Loop: Header=BB246_232 Depth=1
	v_and_b32_e32 v19, 0x7f, v4
	v_mov_b32_e32 v16, 0x7c010000
	s_mov_b32 s16, exec_lo
	s_delay_alu instid0(VALU_DEP_2)
	v_cmpx_ne_u32_e32 0x7f, v19
	s_cbranch_execz .LBB246_328
; %bb.325:                              ;   in Loop: Header=BB246_232 Depth=1
	v_dual_lshrrev_b32 v18, 3, v19 :: v_dual_bitop2_b32 v16, 7, v4 bitop3:0x40
	s_mov_b32 s17, exec_lo
	v_cmpx_gt_u32_e32 8, v19
; %bb.326:                              ;   in Loop: Header=BB246_232 Depth=1
	s_delay_alu instid0(VALU_DEP_2) | instskip(NEXT) | instid1(VALU_DEP_1)
	v_clz_i32_u32_e32 v16, v16
	v_min_u32_e32 v16, 32, v16
	s_delay_alu instid0(VALU_DEP_1) | instskip(NEXT) | instid1(VALU_DEP_1)
	v_subrev_nc_u32_e32 v18, 28, v16
	v_lshlrev_b64_e32 v[20:21], v18, v[4:5]
	v_sub_nc_u32_e32 v18, 29, v16
	s_delay_alu instid0(VALU_DEP_2)
	v_and_b32_e32 v16, 7, v20
; %bb.327:                              ;   in Loop: Header=BB246_232 Depth=1
	s_or_b32 exec_lo, exec_lo, s17
	v_lshlrev_b32_e32 v4, 8, v4
	s_delay_alu instid0(VALU_DEP_3) | instskip(NEXT) | instid1(VALU_DEP_3)
	v_lshl_add_u32 v18, v18, 10, 0x2000
	v_lshlrev_b32_e32 v16, 23, v16
	s_delay_alu instid0(VALU_DEP_2) | instskip(NEXT) | instid1(VALU_DEP_1)
	v_and_or_b32 v4, 0x8000, v4, v18
	v_lshl_or_b32 v16, v4, 16, v16
.LBB246_328:                            ;   in Loop: Header=BB246_232 Depth=1
	s_or_b32 exec_lo, exec_lo, s16
.LBB246_329:                            ;   in Loop: Header=BB246_232 Depth=1
	s_delay_alu instid0(SALU_CYCLE_1)
	s_or_b32 exec_lo, exec_lo, s15
.LBB246_330:                            ;   in Loop: Header=BB246_232 Depth=1
	s_delay_alu instid0(SALU_CYCLE_1) | instskip(SKIP_4) | instid1(VALU_DEP_3)
	s_or_b32 exec_lo, exec_lo, s14
	v_and_b32_e32 v20, 0xff, v15
	v_dual_mov_b32 v4, v15 :: v_dual_mov_b32 v19, 0
	v_mov_b32_e32 v18, 0
	s_mov_b32 s14, exec_lo
	v_cmpx_ne_u16_e32 0, v20
	s_cbranch_execz .LBB246_338
; %bb.331:                              ;   in Loop: Header=BB246_232 Depth=1
	v_mov_b32_e32 v18, 0x8000
	s_mov_b32 s15, exec_lo
	v_cmpx_ne_u16_e32 0x80, v20
	s_cbranch_execz .LBB246_337
; %bb.332:                              ;   in Loop: Header=BB246_232 Depth=1
	v_and_b32_e32 v21, 0x7f, v15
	v_mov_b32_e32 v18, 0x7c01
	s_mov_b32 s16, exec_lo
	s_delay_alu instid0(VALU_DEP_2)
	v_cmpx_ne_u32_e32 0x7f, v21
	s_cbranch_execz .LBB246_336
; %bb.333:                              ;   in Loop: Header=BB246_232 Depth=1
	v_dual_lshrrev_b32 v20, 3, v21 :: v_dual_bitop2_b32 v18, 7, v15 bitop3:0x40
	s_mov_b32 s17, exec_lo
	v_cmpx_gt_u32_e32 8, v21
; %bb.334:                              ;   in Loop: Header=BB246_232 Depth=1
	s_delay_alu instid0(VALU_DEP_2) | instskip(NEXT) | instid1(VALU_DEP_1)
	v_clz_i32_u32_e32 v18, v18
	v_min_u32_e32 v18, 32, v18
	s_delay_alu instid0(VALU_DEP_1) | instskip(NEXT) | instid1(VALU_DEP_1)
	v_subrev_nc_u32_e32 v20, 28, v18
	v_lshlrev_b64_e32 v[34:35], v20, v[4:5]
	v_sub_nc_u32_e32 v20, 29, v18
	s_delay_alu instid0(VALU_DEP_2)
	v_and_b32_e32 v18, 7, v34
; %bb.335:                              ;   in Loop: Header=BB246_232 Depth=1
	s_or_b32 exec_lo, exec_lo, s17
	s_delay_alu instid0(VALU_DEP_1) | instskip(NEXT) | instid1(VALU_DEP_3)
	v_dual_lshlrev_b32 v21, 8, v15 :: v_dual_lshlrev_b32 v18, 7, v18
	v_lshl_add_u32 v20, v20, 10, 0x2000
	s_delay_alu instid0(VALU_DEP_2) | instskip(NEXT) | instid1(VALU_DEP_2)
	v_and_b32_e32 v21, 0x8000, v21
	v_and_b32_e32 v20, 0xfc00, v20
	s_delay_alu instid0(VALU_DEP_1)
	v_or3_b32 v18, v21, v20, v18
.LBB246_336:                            ;   in Loop: Header=BB246_232 Depth=1
	s_or_b32 exec_lo, exec_lo, s16
.LBB246_337:                            ;   in Loop: Header=BB246_232 Depth=1
	s_delay_alu instid0(SALU_CYCLE_1)
	s_or_b32 exec_lo, exec_lo, s15
.LBB246_338:                            ;   in Loop: Header=BB246_232 Depth=1
	s_delay_alu instid0(SALU_CYCLE_1) | instskip(SKIP_3) | instid1(VALU_DEP_2)
	s_or_b32 exec_lo, exec_lo, s14
	v_lshrrev_b16 v4, 8, v4
	v_mov_b32_e32 v20, 0
	s_mov_b32 s14, exec_lo
	v_cmpx_ne_u16_e32 0, v4
	s_cbranch_execz .LBB246_346
; %bb.339:                              ;   in Loop: Header=BB246_232 Depth=1
	v_bfrev_b32_e32 v20, 1
	s_mov_b32 s15, exec_lo
	v_cmpx_ne_u16_e32 0x80, v4
	s_cbranch_execz .LBB246_345
; %bb.340:                              ;   in Loop: Header=BB246_232 Depth=1
	v_and_b32_e32 v21, 0xffff, v4
	v_mov_b32_e32 v20, 0x7c010000
	s_mov_b32 s16, exec_lo
	s_delay_alu instid0(VALU_DEP_2) | instskip(NEXT) | instid1(VALU_DEP_1)
	v_and_b32_e32 v35, 0x7f, v21
	v_cmpx_ne_u32_e32 0x7f, v35
	s_cbranch_execz .LBB246_344
; %bb.341:                              ;   in Loop: Header=BB246_232 Depth=1
	v_dual_lshrrev_b32 v34, 3, v35 :: v_dual_bitop2_b32 v20, 7, v21 bitop3:0x40
	s_mov_b32 s17, exec_lo
	v_cmpx_gt_u32_e32 8, v35
; %bb.342:                              ;   in Loop: Header=BB246_232 Depth=1
	s_delay_alu instid0(VALU_DEP_2) | instskip(NEXT) | instid1(VALU_DEP_1)
	v_clz_i32_u32_e32 v20, v20
	v_min_u32_e32 v20, 32, v20
	s_delay_alu instid0(VALU_DEP_1) | instskip(NEXT) | instid1(VALU_DEP_1)
	v_subrev_nc_u32_e32 v34, 28, v20
	v_lshlrev_b64_e32 v[44:45], v34, v[4:5]
	v_sub_nc_u32_e32 v34, 29, v20
	s_delay_alu instid0(VALU_DEP_2)
	v_and_b32_e32 v20, 7, v44
; %bb.343:                              ;   in Loop: Header=BB246_232 Depth=1
	s_or_b32 exec_lo, exec_lo, s17
	s_delay_alu instid0(VALU_DEP_1) | instskip(NEXT) | instid1(VALU_DEP_3)
	v_dual_lshlrev_b32 v4, 8, v21 :: v_dual_lshlrev_b32 v20, 23, v20
	v_lshl_add_u32 v21, v34, 10, 0x2000
	s_delay_alu instid0(VALU_DEP_1) | instskip(NEXT) | instid1(VALU_DEP_1)
	v_and_or_b32 v4, 0x8000, v4, v21
	v_lshl_or_b32 v20, v4, 16, v20
.LBB246_344:                            ;   in Loop: Header=BB246_232 Depth=1
	s_or_b32 exec_lo, exec_lo, s16
.LBB246_345:                            ;   in Loop: Header=BB246_232 Depth=1
	s_delay_alu instid0(SALU_CYCLE_1)
	s_or_b32 exec_lo, exec_lo, s15
.LBB246_346:                            ;   in Loop: Header=BB246_232 Depth=1
	s_delay_alu instid0(SALU_CYCLE_1) | instskip(SKIP_2) | instid1(VALU_DEP_1)
	s_or_b32 exec_lo, exec_lo, s14
	v_lshrrev_b32_e32 v4, 16, v15
	s_mov_b32 s14, exec_lo
	v_and_b32_e32 v21, 0xff, v4
	s_delay_alu instid0(VALU_DEP_1)
	v_cmpx_ne_u16_e32 0, v21
	s_cbranch_execz .LBB246_354
; %bb.347:                              ;   in Loop: Header=BB246_232 Depth=1
	v_mov_b32_e32 v19, 0x8000
	s_mov_b32 s15, exec_lo
	v_cmpx_ne_u16_e32 0x80, v21
	s_cbranch_execz .LBB246_353
; %bb.348:                              ;   in Loop: Header=BB246_232 Depth=1
	v_bfe_u32 v34, v15, 16, 7
	v_mov_b32_e32 v19, 0x7c01
	s_mov_b32 s16, exec_lo
	s_delay_alu instid0(VALU_DEP_2)
	v_cmpx_ne_u32_e32 0x7f, v34
	s_cbranch_execz .LBB246_352
; %bb.349:                              ;   in Loop: Header=BB246_232 Depth=1
	v_dual_lshrrev_b32 v21, 3, v34 :: v_dual_bitop2_b32 v19, 7, v4 bitop3:0x40
	s_mov_b32 s17, exec_lo
	v_cmpx_gt_u32_e32 8, v34
; %bb.350:                              ;   in Loop: Header=BB246_232 Depth=1
	s_delay_alu instid0(VALU_DEP_2) | instskip(NEXT) | instid1(VALU_DEP_1)
	v_clz_i32_u32_e32 v19, v19
	v_min_u32_e32 v19, 32, v19
	s_delay_alu instid0(VALU_DEP_1) | instskip(NEXT) | instid1(VALU_DEP_1)
	v_subrev_nc_u32_e32 v21, 28, v19
	v_lshlrev_b64_e32 v[34:35], v21, v[4:5]
	s_delay_alu instid0(VALU_DEP_1)
	v_dual_sub_nc_u32 v21, 29, v19 :: v_dual_bitop2_b32 v19, 7, v34 bitop3:0x40
; %bb.351:                              ;   in Loop: Header=BB246_232 Depth=1
	s_or_b32 exec_lo, exec_lo, s17
	s_delay_alu instid0(VALU_DEP_1) | instskip(NEXT) | instid1(VALU_DEP_2)
	v_dual_lshlrev_b32 v4, 8, v4 :: v_dual_lshlrev_b32 v19, 7, v19
	v_lshl_add_u32 v21, v21, 10, 0x2000
	s_delay_alu instid0(VALU_DEP_2) | instskip(NEXT) | instid1(VALU_DEP_2)
	v_and_b32_e32 v4, 0x8000, v4
	v_and_b32_e32 v21, 0xfc00, v21
	s_delay_alu instid0(VALU_DEP_1)
	v_or3_b32 v19, v4, v21, v19
.LBB246_352:                            ;   in Loop: Header=BB246_232 Depth=1
	s_or_b32 exec_lo, exec_lo, s16
.LBB246_353:                            ;   in Loop: Header=BB246_232 Depth=1
	s_delay_alu instid0(SALU_CYCLE_1)
	s_or_b32 exec_lo, exec_lo, s15
.LBB246_354:                            ;   in Loop: Header=BB246_232 Depth=1
	s_delay_alu instid0(SALU_CYCLE_1)
	s_or_b32 exec_lo, exec_lo, s14
	v_cmp_lt_u64_e64 s0, s[2:3], v[14:15]
	v_mov_b32_e32 v14, 0
	s_and_saveexec_b32 s14, s0
	s_cbranch_execz .LBB246_362
; %bb.355:                              ;   in Loop: Header=BB246_232 Depth=1
	v_lshrrev_b32_e32 v4, 24, v15
	v_bfrev_b32_e32 v14, 1
	s_mov_b32 s15, exec_lo
	s_delay_alu instid0(VALU_DEP_2)
	v_cmpx_ne_u32_e32 0x80, v4
	s_cbranch_execz .LBB246_361
; %bb.356:                              ;   in Loop: Header=BB246_232 Depth=1
	v_and_b32_e32 v21, 0x7f, v4
	v_mov_b32_e32 v14, 0x7c010000
	s_mov_b32 s16, exec_lo
	s_delay_alu instid0(VALU_DEP_2)
	v_cmpx_ne_u32_e32 0x7f, v21
	s_cbranch_execz .LBB246_360
; %bb.357:                              ;   in Loop: Header=BB246_232 Depth=1
	v_dual_lshrrev_b32 v15, 3, v21 :: v_dual_bitop2_b32 v14, 7, v4 bitop3:0x40
	s_mov_b32 s17, exec_lo
	v_cmpx_gt_u32_e32 8, v21
; %bb.358:                              ;   in Loop: Header=BB246_232 Depth=1
	s_delay_alu instid0(VALU_DEP_2) | instskip(NEXT) | instid1(VALU_DEP_1)
	v_clz_i32_u32_e32 v14, v14
	v_min_u32_e32 v21, 32, v14
	s_delay_alu instid0(VALU_DEP_1) | instskip(NEXT) | instid1(VALU_DEP_1)
	v_subrev_nc_u32_e32 v14, 28, v21
	v_lshlrev_b64_e32 v[14:15], v14, v[4:5]
	s_delay_alu instid0(VALU_DEP_1)
	v_dual_sub_nc_u32 v15, 29, v21 :: v_dual_bitop2_b32 v14, 7, v14 bitop3:0x40
; %bb.359:                              ;   in Loop: Header=BB246_232 Depth=1
	s_or_b32 exec_lo, exec_lo, s17
	s_delay_alu instid0(VALU_DEP_1) | instskip(NEXT) | instid1(VALU_DEP_2)
	v_dual_lshlrev_b32 v4, 8, v4 :: v_dual_lshlrev_b32 v14, 23, v14
	v_lshl_add_u32 v15, v15, 10, 0x2000
	s_delay_alu instid0(VALU_DEP_1) | instskip(NEXT) | instid1(VALU_DEP_1)
	v_and_or_b32 v4, 0x8000, v4, v15
	v_lshl_or_b32 v14, v4, 16, v14
.LBB246_360:                            ;   in Loop: Header=BB246_232 Depth=1
	s_or_b32 exec_lo, exec_lo, s16
.LBB246_361:                            ;   in Loop: Header=BB246_232 Depth=1
	s_delay_alu instid0(SALU_CYCLE_1)
	s_or_b32 exec_lo, exec_lo, s15
.LBB246_362:                            ;   in Loop: Header=BB246_232 Depth=1
	s_delay_alu instid0(SALU_CYCLE_1) | instskip(SKIP_3) | instid1(VALU_DEP_3)
	s_or_b32 exec_lo, exec_lo, s14
	v_dual_lshrrev_b32 v4, 16, v1 :: v_dual_lshrrev_b32 v15, 16, v16
	v_or_b32_e32 v1, v1, v13
	v_dual_lshrrev_b32 v21, 16, v14 :: v_dual_bitop2_b32 v13, v16, v17 bitop3:0x54
	v_cvt_f32_f16_e32 v17, v4
	s_delay_alu instid0(VALU_DEP_4) | instskip(SKIP_1) | instid1(VALU_DEP_4)
	v_cvt_f32_f16_e32 v16, v15
	v_dual_lshrrev_b32 v19, 16, v20 :: v_dual_bitop2_b32 v4, v14, v19 bitop3:0x54
	v_cvt_f32_f16_e32 v14, v13
	v_cvt_f32_f16_e32 v15, v1
	s_wait_loadcnt 0x0
	v_pk_mul_f32 v[16:17], v[12:13], v[16:17] op_sel_hi:[0,1]
	v_or_b32_e32 v13, v20, v18
	v_cvt_f32_f16_e32 v19, v19
	v_cvt_f32_f16_e32 v18, v21
	;; [unrolled: 1-line block ×3, first 2 shown]
	v_cvt_pk_f16_f32 v1, v16, v17
	v_cvt_f32_f16_e32 v21, v13
	v_pk_mul_f32 v[14:15], v[12:13], v[14:15] op_sel_hi:[0,1]
	v_pk_mul_f32 v[16:17], v[12:13], v[18:19] op_sel_hi:[0,1]
	s_delay_alu instid0(VALU_DEP_3) | instskip(NEXT) | instid1(VALU_DEP_3)
	v_pk_mul_f32 v[12:13], v[12:13], v[20:21] op_sel_hi:[0,1]
	v_cvt_pk_f16_f32 v4, v14, v15
	v_and_b32_e32 v15, 0xffff0000, v1
	s_delay_alu instid0(VALU_DEP_4)
	v_cvt_pk_f16_f32 v16, v16, v17
	v_lshlrev_b32_e32 v14, 16, v1
	v_cvt_pk_f16_f32 v12, v12, v13
	v_lshrrev_b32_e32 v21, 16, v4
	v_and_b32_e32 v20, 0xffff, v4
	v_and_b32_e32 v1, 0xffff0000, v16
	s_delay_alu instid0(VALU_DEP_3) | instskip(SKIP_3) | instid1(VALU_DEP_2)
	v_dual_lshlrev_b32 v4, 16, v16 :: v_dual_bitop2_b32 v19, v15, v21 bitop3:0x54
	v_lshrrev_b32_e32 v13, 16, v12
	v_and_b32_e32 v12, 0xffff, v12
	v_or_b32_e32 v18, v14, v20
	v_or_b32_e32 v16, v4, v12
	s_delay_alu instid0(VALU_DEP_4)
	v_or_b32_e32 v17, v1, v13
	s_and_saveexec_b32 s14, vcc_lo
	s_cbranch_execz .LBB246_364
; %bb.363:                              ;   in Loop: Header=BB246_232 Depth=1
	v_cmp_gt_i32_e64 s0, s9, v24
	s_delay_alu instid0(VALU_DEP_1) | instskip(SKIP_1) | instid1(VALU_DEP_1)
	v_cndmask_b32_e64 v16, 0, v21, s0
	v_cmp_gt_i32_e64 s0, s23, v33
	v_cndmask_b32_e64 v17, 0, v20, s0
	v_cmp_gt_i32_e64 s0, s9, v32
	s_delay_alu instid0(VALU_DEP_1) | instskip(SKIP_1) | instid1(VALU_DEP_1)
	v_cndmask_b32_e64 v15, 0, v15, s0
	v_cmp_gt_i32_e64 s0, s23, v31
	v_cndmask_b32_e64 v14, 0, v14, s0
	v_cmp_gt_i32_e64 s0, s9, v30
	s_delay_alu instid0(VALU_DEP_4) | instskip(NEXT) | instid1(VALU_DEP_3)
	v_or_b32_e32 v19, v15, v16
	v_or_b32_e32 v18, v14, v17
	s_delay_alu instid0(VALU_DEP_3) | instskip(SKIP_1) | instid1(VALU_DEP_1)
	v_cndmask_b32_e64 v13, 0, v13, s0
	v_cmp_gt_i32_e64 s0, s23, v29
	v_cndmask_b32_e64 v12, 0, v12, s0
	v_cmp_gt_i32_e64 s0, s9, v28
	s_delay_alu instid0(VALU_DEP_1) | instskip(SKIP_1) | instid1(VALU_DEP_1)
	v_cndmask_b32_e64 v1, 0, v1, s0
	v_cmp_gt_i32_e64 s0, s23, v27
	v_dual_cndmask_b32 v4, 0, v4, s0 :: v_dual_bitop2_b32 v17, v1, v13 bitop3:0x54
	s_delay_alu instid0(VALU_DEP_1)
	v_or_b32_e32 v16, v4, v12
.LBB246_364:                            ;   in Loop: Header=BB246_232 Depth=1
	s_or_b32 exec_lo, exec_lo, s14
	;;#ASMSTART
	v_pk_mul_f16 v1, v40, v19;

	;;#ASMEND
	;;#ASMSTART
	v_pk_mul_f16 v4, v39, v18;

	;;#ASMEND
	;; [unrolled: 4-line block ×4, first 2 shown]
	;;#ASMSTART
	v_pk_add_f16 v1, v1, v4;

	;;#ASMEND
	;;#ASMSTART
	v_pk_add_f16 v1, v1, v12;

	;;#ASMEND
	;; [unrolled: 4-line block ×3, first 2 shown]
	v_and_b32_e32 v4, 0xffff, v1
	v_lshrrev_b32_e32 v1, 16, v1
	;;#ASMSTART
	v_cvt_f32_f16 v34, v4;
	;;#ASMEND
	;;#ASMSTART
	v_cvt_f32_f16 v35, v1;
	;;#ASMEND
	global_load_b64 v[12:13], v[10:11], off offset:512
	s_wait_xcnt 0x0
	v_dual_mov_b32 v1, 0 :: v_dual_mov_b32 v11, 0
	s_mov_b32 s14, exec_lo
	global_load_b32 v10, v1, s[10:11]
	s_wait_loadcnt 0x1
	v_and_b32_e32 v4, 0xff, v12
	s_wait_xcnt 0x0
	s_delay_alu instid0(VALU_DEP_1)
	v_cmpx_ne_u16_e32 0, v4
	s_cbranch_execz .LBB246_372
; %bb.365:                              ;   in Loop: Header=BB246_232 Depth=1
	v_mov_b32_e32 v11, 0x8000
	s_mov_b32 s15, exec_lo
	v_cmpx_ne_u16_e32 0x80, v4
	s_cbranch_execz .LBB246_371
; %bb.366:                              ;   in Loop: Header=BB246_232 Depth=1
	v_and_b32_e32 v14, 0x7f, v12
	v_mov_b32_e32 v11, 0x7c01
	s_mov_b32 s16, exec_lo
	s_delay_alu instid0(VALU_DEP_2)
	v_cmpx_ne_u32_e32 0x7f, v14
	s_cbranch_execz .LBB246_370
; %bb.367:                              ;   in Loop: Header=BB246_232 Depth=1
	v_dual_lshrrev_b32 v11, 3, v14 :: v_dual_bitop2_b32 v4, 7, v12 bitop3:0x40
	s_mov_b32 s17, exec_lo
	v_cmpx_gt_u32_e32 8, v14
; %bb.368:                              ;   in Loop: Header=BB246_232 Depth=1
	s_delay_alu instid0(VALU_DEP_2) | instskip(NEXT) | instid1(VALU_DEP_1)
	v_clz_i32_u32_e32 v4, v4
	v_min_u32_e32 v4, 32, v4
	s_delay_alu instid0(VALU_DEP_1) | instskip(NEXT) | instid1(VALU_DEP_1)
	v_subrev_nc_u32_e32 v11, 28, v4
	v_lshlrev_b64_e32 v[14:15], v11, v[12:13]
	s_delay_alu instid0(VALU_DEP_1)
	v_dual_sub_nc_u32 v11, 29, v4 :: v_dual_bitop2_b32 v4, 7, v14 bitop3:0x40
; %bb.369:                              ;   in Loop: Header=BB246_232 Depth=1
	s_or_b32 exec_lo, exec_lo, s17
	v_lshlrev_b32_e32 v14, 8, v12
	s_delay_alu instid0(VALU_DEP_2) | instskip(NEXT) | instid1(VALU_DEP_3)
	v_lshl_add_u32 v11, v11, 10, 0x2000
	v_lshlrev_b32_e32 v4, 7, v4
	s_delay_alu instid0(VALU_DEP_3) | instskip(NEXT) | instid1(VALU_DEP_3)
	v_and_b32_e32 v14, 0x8000, v14
	v_and_b32_e32 v11, 0xfc00, v11
	s_delay_alu instid0(VALU_DEP_1)
	v_or3_b32 v11, v14, v11, v4
.LBB246_370:                            ;   in Loop: Header=BB246_232 Depth=1
	s_or_b32 exec_lo, exec_lo, s16
.LBB246_371:                            ;   in Loop: Header=BB246_232 Depth=1
	s_delay_alu instid0(SALU_CYCLE_1)
	s_or_b32 exec_lo, exec_lo, s15
.LBB246_372:                            ;   in Loop: Header=BB246_232 Depth=1
	s_delay_alu instid0(SALU_CYCLE_1) | instskip(SKIP_2) | instid1(VALU_DEP_1)
	s_or_b32 exec_lo, exec_lo, s14
	v_lshrrev_b16 v4, 8, v12
	s_mov_b32 s14, exec_lo
	v_cmpx_ne_u16_e32 0, v4
	s_cbranch_execz .LBB246_380
; %bb.373:                              ;   in Loop: Header=BB246_232 Depth=1
	v_bfrev_b32_e32 v1, 1
	s_mov_b32 s15, exec_lo
	v_cmpx_ne_u16_e32 0x80, v4
	s_cbranch_execz .LBB246_379
; %bb.374:                              ;   in Loop: Header=BB246_232 Depth=1
	v_and_b32_e32 v14, 0xffff, v4
	v_mov_b32_e32 v1, 0x7c010000
	s_mov_b32 s16, exec_lo
	s_delay_alu instid0(VALU_DEP_2) | instskip(NEXT) | instid1(VALU_DEP_1)
	v_and_b32_e32 v16, 0x7f, v14
	v_cmpx_ne_u32_e32 0x7f, v16
	s_cbranch_execz .LBB246_378
; %bb.375:                              ;   in Loop: Header=BB246_232 Depth=1
	v_dual_lshrrev_b32 v15, 3, v16 :: v_dual_bitop2_b32 v1, 7, v14 bitop3:0x40
	s_mov_b32 s17, exec_lo
	v_cmpx_gt_u32_e32 8, v16
; %bb.376:                              ;   in Loop: Header=BB246_232 Depth=1
	s_delay_alu instid0(VALU_DEP_2) | instskip(NEXT) | instid1(VALU_DEP_1)
	v_clz_i32_u32_e32 v1, v1
	v_min_u32_e32 v1, 32, v1
	s_delay_alu instid0(VALU_DEP_1) | instskip(NEXT) | instid1(VALU_DEP_1)
	v_subrev_nc_u32_e32 v15, 28, v1
	v_lshlrev_b64_e32 v[16:17], v15, v[4:5]
	s_delay_alu instid0(VALU_DEP_1)
	v_dual_sub_nc_u32 v15, 29, v1 :: v_dual_bitop2_b32 v1, 7, v16 bitop3:0x40
; %bb.377:                              ;   in Loop: Header=BB246_232 Depth=1
	s_or_b32 exec_lo, exec_lo, s17
	s_delay_alu instid0(VALU_DEP_1) | instskip(NEXT) | instid1(VALU_DEP_2)
	v_dual_lshlrev_b32 v4, 8, v14 :: v_dual_lshlrev_b32 v1, 23, v1
	v_lshl_add_u32 v14, v15, 10, 0x2000
	s_delay_alu instid0(VALU_DEP_1) | instskip(NEXT) | instid1(VALU_DEP_1)
	v_and_or_b32 v4, 0x8000, v4, v14
	v_lshl_or_b32 v1, v4, 16, v1
.LBB246_378:                            ;   in Loop: Header=BB246_232 Depth=1
	s_or_b32 exec_lo, exec_lo, s16
.LBB246_379:                            ;   in Loop: Header=BB246_232 Depth=1
	s_delay_alu instid0(SALU_CYCLE_1)
	s_or_b32 exec_lo, exec_lo, s15
.LBB246_380:                            ;   in Loop: Header=BB246_232 Depth=1
	s_delay_alu instid0(SALU_CYCLE_1) | instskip(SKIP_3) | instid1(VALU_DEP_2)
	s_or_b32 exec_lo, exec_lo, s14
	v_dual_lshrrev_b32 v4, 16, v12 :: v_dual_mov_b32 v14, 0
	v_mov_b32_e32 v15, 0
	s_mov_b32 s14, exec_lo
	v_and_b32_e32 v16, 0xff, v4
	s_delay_alu instid0(VALU_DEP_1)
	v_cmpx_ne_u16_e32 0, v16
	s_cbranch_execz .LBB246_388
; %bb.381:                              ;   in Loop: Header=BB246_232 Depth=1
	v_mov_b32_e32 v15, 0x8000
	s_mov_b32 s15, exec_lo
	v_cmpx_ne_u16_e32 0x80, v16
	s_cbranch_execz .LBB246_387
; %bb.382:                              ;   in Loop: Header=BB246_232 Depth=1
	v_bfe_u32 v17, v12, 16, 7
	v_mov_b32_e32 v15, 0x7c01
	s_mov_b32 s16, exec_lo
	s_delay_alu instid0(VALU_DEP_2)
	v_cmpx_ne_u32_e32 0x7f, v17
	s_cbranch_execz .LBB246_386
; %bb.383:                              ;   in Loop: Header=BB246_232 Depth=1
	v_dual_lshrrev_b32 v16, 3, v17 :: v_dual_bitop2_b32 v15, 7, v4 bitop3:0x40
	s_mov_b32 s17, exec_lo
	v_cmpx_gt_u32_e32 8, v17
; %bb.384:                              ;   in Loop: Header=BB246_232 Depth=1
	s_delay_alu instid0(VALU_DEP_2) | instskip(NEXT) | instid1(VALU_DEP_1)
	v_clz_i32_u32_e32 v15, v15
	v_min_u32_e32 v15, 32, v15
	s_delay_alu instid0(VALU_DEP_1) | instskip(NEXT) | instid1(VALU_DEP_1)
	v_subrev_nc_u32_e32 v16, 28, v15
	v_lshlrev_b64_e32 v[18:19], v16, v[4:5]
	s_delay_alu instid0(VALU_DEP_1)
	v_dual_sub_nc_u32 v16, 29, v15 :: v_dual_bitop2_b32 v15, 7, v18 bitop3:0x40
; %bb.385:                              ;   in Loop: Header=BB246_232 Depth=1
	s_or_b32 exec_lo, exec_lo, s17
	s_delay_alu instid0(VALU_DEP_1) | instskip(NEXT) | instid1(VALU_DEP_2)
	v_dual_lshlrev_b32 v4, 8, v4 :: v_dual_lshlrev_b32 v15, 7, v15
	v_lshl_add_u32 v16, v16, 10, 0x2000
	s_delay_alu instid0(VALU_DEP_2) | instskip(NEXT) | instid1(VALU_DEP_2)
	v_and_b32_e32 v4, 0x8000, v4
	v_and_b32_e32 v16, 0xfc00, v16
	s_delay_alu instid0(VALU_DEP_1)
	v_or3_b32 v15, v4, v16, v15
.LBB246_386:                            ;   in Loop: Header=BB246_232 Depth=1
	s_or_b32 exec_lo, exec_lo, s16
.LBB246_387:                            ;   in Loop: Header=BB246_232 Depth=1
	s_delay_alu instid0(SALU_CYCLE_1)
	s_or_b32 exec_lo, exec_lo, s15
.LBB246_388:                            ;   in Loop: Header=BB246_232 Depth=1
	s_delay_alu instid0(SALU_CYCLE_1) | instskip(NEXT) | instid1(SALU_CYCLE_1)
	s_or_b32 exec_lo, exec_lo, s14
	s_mov_b32 s14, exec_lo
	v_cmpx_lt_u32_e32 0xffffff, v12
	s_cbranch_execz .LBB246_396
; %bb.389:                              ;   in Loop: Header=BB246_232 Depth=1
	v_lshrrev_b32_e32 v4, 24, v12
	v_bfrev_b32_e32 v14, 1
	s_mov_b32 s15, exec_lo
	s_delay_alu instid0(VALU_DEP_2)
	v_cmpx_ne_u32_e32 0x80, v4
	s_cbranch_execz .LBB246_395
; %bb.390:                              ;   in Loop: Header=BB246_232 Depth=1
	v_and_b32_e32 v17, 0x7f, v4
	v_mov_b32_e32 v14, 0x7c010000
	s_mov_b32 s16, exec_lo
	s_delay_alu instid0(VALU_DEP_2)
	v_cmpx_ne_u32_e32 0x7f, v17
	s_cbranch_execz .LBB246_394
; %bb.391:                              ;   in Loop: Header=BB246_232 Depth=1
	v_dual_lshrrev_b32 v16, 3, v17 :: v_dual_bitop2_b32 v14, 7, v4 bitop3:0x40
	s_mov_b32 s17, exec_lo
	v_cmpx_gt_u32_e32 8, v17
; %bb.392:                              ;   in Loop: Header=BB246_232 Depth=1
	s_delay_alu instid0(VALU_DEP_2) | instskip(NEXT) | instid1(VALU_DEP_1)
	v_clz_i32_u32_e32 v14, v14
	v_min_u32_e32 v14, 32, v14
	s_delay_alu instid0(VALU_DEP_1) | instskip(NEXT) | instid1(VALU_DEP_1)
	v_subrev_nc_u32_e32 v16, 28, v14
	v_lshlrev_b64_e32 v[18:19], v16, v[4:5]
	v_sub_nc_u32_e32 v16, 29, v14
	s_delay_alu instid0(VALU_DEP_2)
	v_and_b32_e32 v14, 7, v18
; %bb.393:                              ;   in Loop: Header=BB246_232 Depth=1
	s_or_b32 exec_lo, exec_lo, s17
	s_delay_alu instid0(VALU_DEP_1) | instskip(NEXT) | instid1(VALU_DEP_3)
	v_dual_lshlrev_b32 v4, 8, v4 :: v_dual_lshlrev_b32 v14, 23, v14
	v_lshl_add_u32 v16, v16, 10, 0x2000
	s_delay_alu instid0(VALU_DEP_1) | instskip(NEXT) | instid1(VALU_DEP_1)
	v_and_or_b32 v4, 0x8000, v4, v16
	v_lshl_or_b32 v14, v4, 16, v14
.LBB246_394:                            ;   in Loop: Header=BB246_232 Depth=1
	s_or_b32 exec_lo, exec_lo, s16
.LBB246_395:                            ;   in Loop: Header=BB246_232 Depth=1
	s_delay_alu instid0(SALU_CYCLE_1)
	s_or_b32 exec_lo, exec_lo, s15
.LBB246_396:                            ;   in Loop: Header=BB246_232 Depth=1
	s_delay_alu instid0(SALU_CYCLE_1) | instskip(SKIP_4) | instid1(VALU_DEP_3)
	s_or_b32 exec_lo, exec_lo, s14
	v_and_b32_e32 v18, 0xff, v13
	v_dual_mov_b32 v4, v13 :: v_dual_mov_b32 v17, 0
	v_mov_b32_e32 v16, 0
	s_mov_b32 s14, exec_lo
	v_cmpx_ne_u16_e32 0, v18
	s_cbranch_execz .LBB246_404
; %bb.397:                              ;   in Loop: Header=BB246_232 Depth=1
	v_mov_b32_e32 v16, 0x8000
	s_mov_b32 s15, exec_lo
	v_cmpx_ne_u16_e32 0x80, v18
	s_cbranch_execz .LBB246_403
; %bb.398:                              ;   in Loop: Header=BB246_232 Depth=1
	v_and_b32_e32 v19, 0x7f, v13
	v_mov_b32_e32 v16, 0x7c01
	s_mov_b32 s16, exec_lo
	s_delay_alu instid0(VALU_DEP_2)
	v_cmpx_ne_u32_e32 0x7f, v19
	s_cbranch_execz .LBB246_402
; %bb.399:                              ;   in Loop: Header=BB246_232 Depth=1
	v_dual_lshrrev_b32 v18, 3, v19 :: v_dual_bitop2_b32 v16, 7, v13 bitop3:0x40
	s_mov_b32 s17, exec_lo
	v_cmpx_gt_u32_e32 8, v19
; %bb.400:                              ;   in Loop: Header=BB246_232 Depth=1
	s_delay_alu instid0(VALU_DEP_2) | instskip(NEXT) | instid1(VALU_DEP_1)
	v_clz_i32_u32_e32 v16, v16
	v_min_u32_e32 v16, 32, v16
	s_delay_alu instid0(VALU_DEP_1) | instskip(NEXT) | instid1(VALU_DEP_1)
	v_subrev_nc_u32_e32 v18, 28, v16
	v_lshlrev_b64_e32 v[20:21], v18, v[4:5]
	v_sub_nc_u32_e32 v18, 29, v16
	s_delay_alu instid0(VALU_DEP_2)
	v_and_b32_e32 v16, 7, v20
; %bb.401:                              ;   in Loop: Header=BB246_232 Depth=1
	s_or_b32 exec_lo, exec_lo, s17
	s_delay_alu instid0(VALU_DEP_1) | instskip(NEXT) | instid1(VALU_DEP_3)
	v_dual_lshlrev_b32 v19, 8, v13 :: v_dual_lshlrev_b32 v16, 7, v16
	v_lshl_add_u32 v18, v18, 10, 0x2000
	s_delay_alu instid0(VALU_DEP_2) | instskip(NEXT) | instid1(VALU_DEP_2)
	v_and_b32_e32 v19, 0x8000, v19
	v_and_b32_e32 v18, 0xfc00, v18
	s_delay_alu instid0(VALU_DEP_1)
	v_or3_b32 v16, v19, v18, v16
.LBB246_402:                            ;   in Loop: Header=BB246_232 Depth=1
	s_or_b32 exec_lo, exec_lo, s16
.LBB246_403:                            ;   in Loop: Header=BB246_232 Depth=1
	s_delay_alu instid0(SALU_CYCLE_1)
	s_or_b32 exec_lo, exec_lo, s15
.LBB246_404:                            ;   in Loop: Header=BB246_232 Depth=1
	s_delay_alu instid0(SALU_CYCLE_1) | instskip(SKIP_3) | instid1(VALU_DEP_2)
	s_or_b32 exec_lo, exec_lo, s14
	v_lshrrev_b16 v4, 8, v4
	v_mov_b32_e32 v18, 0
	s_mov_b32 s14, exec_lo
	v_cmpx_ne_u16_e32 0, v4
	s_cbranch_execz .LBB246_412
; %bb.405:                              ;   in Loop: Header=BB246_232 Depth=1
	v_bfrev_b32_e32 v18, 1
	s_mov_b32 s15, exec_lo
	v_cmpx_ne_u16_e32 0x80, v4
	s_cbranch_execz .LBB246_411
; %bb.406:                              ;   in Loop: Header=BB246_232 Depth=1
	v_and_b32_e32 v19, 0xffff, v4
	v_mov_b32_e32 v18, 0x7c010000
	s_mov_b32 s16, exec_lo
	s_delay_alu instid0(VALU_DEP_2) | instskip(NEXT) | instid1(VALU_DEP_1)
	v_and_b32_e32 v21, 0x7f, v19
	v_cmpx_ne_u32_e32 0x7f, v21
	s_cbranch_execz .LBB246_410
; %bb.407:                              ;   in Loop: Header=BB246_232 Depth=1
	v_dual_lshrrev_b32 v20, 3, v21 :: v_dual_bitop2_b32 v18, 7, v19 bitop3:0x40
	s_mov_b32 s17, exec_lo
	v_cmpx_gt_u32_e32 8, v21
; %bb.408:                              ;   in Loop: Header=BB246_232 Depth=1
	s_delay_alu instid0(VALU_DEP_2) | instskip(NEXT) | instid1(VALU_DEP_1)
	v_clz_i32_u32_e32 v18, v18
	v_min_u32_e32 v18, 32, v18
	s_delay_alu instid0(VALU_DEP_1) | instskip(NEXT) | instid1(VALU_DEP_1)
	v_subrev_nc_u32_e32 v20, 28, v18
	v_lshlrev_b64_e32 v[44:45], v20, v[4:5]
	s_delay_alu instid0(VALU_DEP_1)
	v_dual_sub_nc_u32 v20, 29, v18 :: v_dual_bitop2_b32 v18, 7, v44 bitop3:0x40
; %bb.409:                              ;   in Loop: Header=BB246_232 Depth=1
	s_or_b32 exec_lo, exec_lo, s17
	s_delay_alu instid0(VALU_DEP_1) | instskip(NEXT) | instid1(VALU_DEP_2)
	v_dual_lshlrev_b32 v4, 8, v19 :: v_dual_lshlrev_b32 v18, 23, v18
	v_lshl_add_u32 v19, v20, 10, 0x2000
	s_delay_alu instid0(VALU_DEP_1) | instskip(NEXT) | instid1(VALU_DEP_1)
	v_and_or_b32 v4, 0x8000, v4, v19
	v_lshl_or_b32 v18, v4, 16, v18
.LBB246_410:                            ;   in Loop: Header=BB246_232 Depth=1
	s_or_b32 exec_lo, exec_lo, s16
.LBB246_411:                            ;   in Loop: Header=BB246_232 Depth=1
	s_delay_alu instid0(SALU_CYCLE_1)
	s_or_b32 exec_lo, exec_lo, s15
.LBB246_412:                            ;   in Loop: Header=BB246_232 Depth=1
	s_delay_alu instid0(SALU_CYCLE_1) | instskip(SKIP_2) | instid1(VALU_DEP_1)
	s_or_b32 exec_lo, exec_lo, s14
	v_lshrrev_b32_e32 v4, 16, v13
	s_mov_b32 s14, exec_lo
	v_and_b32_e32 v19, 0xff, v4
	s_delay_alu instid0(VALU_DEP_1)
	v_cmpx_ne_u16_e32 0, v19
	s_cbranch_execz .LBB246_420
; %bb.413:                              ;   in Loop: Header=BB246_232 Depth=1
	v_mov_b32_e32 v17, 0x8000
	s_mov_b32 s15, exec_lo
	v_cmpx_ne_u16_e32 0x80, v19
	s_cbranch_execz .LBB246_419
; %bb.414:                              ;   in Loop: Header=BB246_232 Depth=1
	v_bfe_u32 v20, v13, 16, 7
	v_mov_b32_e32 v17, 0x7c01
	s_mov_b32 s16, exec_lo
	s_delay_alu instid0(VALU_DEP_2)
	v_cmpx_ne_u32_e32 0x7f, v20
	s_cbranch_execz .LBB246_418
; %bb.415:                              ;   in Loop: Header=BB246_232 Depth=1
	v_and_b32_e32 v17, 7, v4
	v_lshrrev_b32_e32 v19, 3, v20
	s_mov_b32 s17, exec_lo
	v_cmpx_gt_u32_e32 8, v20
; %bb.416:                              ;   in Loop: Header=BB246_232 Depth=1
	s_delay_alu instid0(VALU_DEP_3) | instskip(NEXT) | instid1(VALU_DEP_1)
	v_clz_i32_u32_e32 v17, v17
	v_min_u32_e32 v17, 32, v17
	s_delay_alu instid0(VALU_DEP_1) | instskip(NEXT) | instid1(VALU_DEP_1)
	v_subrev_nc_u32_e32 v19, 28, v17
	v_lshlrev_b64_e32 v[20:21], v19, v[4:5]
	s_delay_alu instid0(VALU_DEP_1)
	v_dual_sub_nc_u32 v19, 29, v17 :: v_dual_bitop2_b32 v17, 7, v20 bitop3:0x40
; %bb.417:                              ;   in Loop: Header=BB246_232 Depth=1
	s_or_b32 exec_lo, exec_lo, s17
	s_delay_alu instid0(VALU_DEP_1) | instskip(NEXT) | instid1(VALU_DEP_2)
	v_dual_lshlrev_b32 v4, 8, v4 :: v_dual_lshlrev_b32 v17, 7, v17
	v_lshl_add_u32 v19, v19, 10, 0x2000
	s_delay_alu instid0(VALU_DEP_2) | instskip(NEXT) | instid1(VALU_DEP_2)
	v_and_b32_e32 v4, 0x8000, v4
	v_and_b32_e32 v19, 0xfc00, v19
	s_delay_alu instid0(VALU_DEP_1)
	v_or3_b32 v17, v4, v19, v17
.LBB246_418:                            ;   in Loop: Header=BB246_232 Depth=1
	s_or_b32 exec_lo, exec_lo, s16
.LBB246_419:                            ;   in Loop: Header=BB246_232 Depth=1
	s_delay_alu instid0(SALU_CYCLE_1)
	s_or_b32 exec_lo, exec_lo, s15
.LBB246_420:                            ;   in Loop: Header=BB246_232 Depth=1
	s_delay_alu instid0(SALU_CYCLE_1)
	s_or_b32 exec_lo, exec_lo, s14
	v_cmp_lt_u64_e64 s0, s[2:3], v[12:13]
	v_mov_b32_e32 v12, 0
	s_and_saveexec_b32 s14, s0
	s_cbranch_execz .LBB246_428
; %bb.421:                              ;   in Loop: Header=BB246_232 Depth=1
	v_lshrrev_b32_e32 v4, 24, v13
	v_bfrev_b32_e32 v12, 1
	s_mov_b32 s15, exec_lo
	s_delay_alu instid0(VALU_DEP_2)
	v_cmpx_ne_u32_e32 0x80, v4
	s_cbranch_execz .LBB246_427
; %bb.422:                              ;   in Loop: Header=BB246_232 Depth=1
	v_and_b32_e32 v19, 0x7f, v4
	v_mov_b32_e32 v12, 0x7c010000
	s_mov_b32 s16, exec_lo
	s_delay_alu instid0(VALU_DEP_2)
	v_cmpx_ne_u32_e32 0x7f, v19
	s_cbranch_execz .LBB246_426
; %bb.423:                              ;   in Loop: Header=BB246_232 Depth=1
	v_dual_lshrrev_b32 v13, 3, v19 :: v_dual_bitop2_b32 v12, 7, v4 bitop3:0x40
	s_mov_b32 s17, exec_lo
	v_cmpx_gt_u32_e32 8, v19
; %bb.424:                              ;   in Loop: Header=BB246_232 Depth=1
	s_delay_alu instid0(VALU_DEP_2) | instskip(NEXT) | instid1(VALU_DEP_1)
	v_clz_i32_u32_e32 v12, v12
	v_min_u32_e32 v19, 32, v12
	s_delay_alu instid0(VALU_DEP_1) | instskip(NEXT) | instid1(VALU_DEP_1)
	v_subrev_nc_u32_e32 v12, 28, v19
	v_lshlrev_b64_e32 v[12:13], v12, v[4:5]
	s_delay_alu instid0(VALU_DEP_1)
	v_dual_sub_nc_u32 v13, 29, v19 :: v_dual_bitop2_b32 v12, 7, v12 bitop3:0x40
; %bb.425:                              ;   in Loop: Header=BB246_232 Depth=1
	s_or_b32 exec_lo, exec_lo, s17
	v_lshlrev_b32_e32 v4, 8, v4
	s_delay_alu instid0(VALU_DEP_2) | instskip(NEXT) | instid1(VALU_DEP_3)
	v_lshl_add_u32 v13, v13, 10, 0x2000
	v_lshlrev_b32_e32 v12, 23, v12
	s_delay_alu instid0(VALU_DEP_2) | instskip(NEXT) | instid1(VALU_DEP_1)
	v_and_or_b32 v4, 0x8000, v4, v13
	v_lshl_or_b32 v12, v4, 16, v12
.LBB246_426:                            ;   in Loop: Header=BB246_232 Depth=1
	s_or_b32 exec_lo, exec_lo, s16
.LBB246_427:                            ;   in Loop: Header=BB246_232 Depth=1
	s_delay_alu instid0(SALU_CYCLE_1)
	s_or_b32 exec_lo, exec_lo, s15
.LBB246_428:                            ;   in Loop: Header=BB246_232 Depth=1
	s_delay_alu instid0(SALU_CYCLE_1) | instskip(SKIP_3) | instid1(VALU_DEP_3)
	s_or_b32 exec_lo, exec_lo, s14
	v_dual_lshrrev_b32 v4, 16, v1 :: v_dual_lshrrev_b32 v13, 16, v14
	v_or_b32_e32 v1, v1, v11
	v_dual_lshrrev_b32 v19, 16, v12 :: v_dual_bitop2_b32 v11, v14, v15 bitop3:0x54
	v_cvt_f32_f16_e32 v15, v4
	s_delay_alu instid0(VALU_DEP_4) | instskip(SKIP_1) | instid1(VALU_DEP_4)
	v_cvt_f32_f16_e32 v14, v13
	v_dual_lshrrev_b32 v17, 16, v18 :: v_dual_bitop2_b32 v4, v12, v17 bitop3:0x54
	v_cvt_f32_f16_e32 v12, v11
	v_cvt_f32_f16_e32 v13, v1
	s_wait_loadcnt 0x0
	v_pk_mul_f32 v[14:15], v[10:11], v[14:15] op_sel_hi:[0,1]
	v_cvt_f32_f16_e32 v17, v17
	s_delay_alu instid0(VALU_DEP_2) | instskip(SKIP_3) | instid1(VALU_DEP_3)
	v_cvt_pk_f16_f32 v1, v14, v15
	v_or_b32_e32 v11, v18, v16
	v_cvt_f32_f16_e32 v16, v19
	v_cvt_f32_f16_e32 v18, v4
	v_pk_mul_f32 v[12:13], v[10:11], v[12:13] op_sel_hi:[0,1]
	s_delay_alu instid0(VALU_DEP_1) | instskip(SKIP_4) | instid1(VALU_DEP_3)
	v_cvt_pk_f16_f32 v4, v12, v13
	v_lshlrev_b32_e32 v12, 16, v1
	v_cvt_f32_f16_e32 v19, v11
	v_pk_mul_f32 v[14:15], v[10:11], v[16:17] op_sel_hi:[0,1]
	v_and_b32_e32 v13, 0xffff0000, v1
	v_pk_mul_f32 v[10:11], v[10:11], v[18:19] op_sel_hi:[0,1]
	s_delay_alu instid0(VALU_DEP_3) | instskip(SKIP_2) | instid1(VALU_DEP_4)
	v_cvt_pk_f16_f32 v14, v14, v15
	v_lshrrev_b32_e32 v19, 16, v4
	v_and_b32_e32 v18, 0xffff, v4
	v_cvt_pk_f16_f32 v10, v10, v11
	s_delay_alu instid0(VALU_DEP_4) | instskip(NEXT) | instid1(VALU_DEP_4)
	v_and_b32_e32 v1, 0xffff0000, v14
	v_dual_lshlrev_b32 v4, 16, v14 :: v_dual_bitop2_b32 v17, v13, v19 bitop3:0x54
	s_delay_alu instid0(VALU_DEP_4) | instskip(NEXT) | instid1(VALU_DEP_4)
	v_or_b32_e32 v16, v12, v18
	v_lshrrev_b32_e32 v11, 16, v10
	v_and_b32_e32 v10, 0xffff, v10
	s_delay_alu instid0(VALU_DEP_2) | instskip(NEXT) | instid1(VALU_DEP_2)
	v_or_b32_e32 v15, v1, v11
	v_or_b32_e32 v14, v4, v10
	s_and_saveexec_b32 s0, vcc_lo
	s_cbranch_execz .LBB246_231
; %bb.429:                              ;   in Loop: Header=BB246_232 Depth=1
	v_cmp_gt_i32_e32 vcc_lo, s9, v24
	v_cndmask_b32_e32 v14, 0, v19, vcc_lo
	v_cmp_gt_i32_e32 vcc_lo, s23, v33
	v_cndmask_b32_e32 v15, 0, v18, vcc_lo
	;; [unrolled: 2-line block ×4, first 2 shown]
	v_cmp_gt_i32_e32 vcc_lo, s9, v30
	s_delay_alu instid0(VALU_DEP_4) | instskip(NEXT) | instid1(VALU_DEP_3)
	v_or_b32_e32 v17, v13, v14
	v_or_b32_e32 v16, v12, v15
	v_cndmask_b32_e32 v11, 0, v11, vcc_lo
	v_cmp_gt_i32_e32 vcc_lo, s23, v29
	v_cndmask_b32_e32 v10, 0, v10, vcc_lo
	v_cmp_gt_i32_e32 vcc_lo, s9, v28
	;; [unrolled: 2-line block ×3, first 2 shown]
	s_delay_alu instid0(VALU_DEP_2) | instskip(NEXT) | instid1(VALU_DEP_1)
	v_dual_cndmask_b32 v4, 0, v4, vcc_lo :: v_dual_bitop2_b32 v15, v1, v11 bitop3:0x54
	v_or_b32_e32 v14, v4, v10
	s_branch .LBB246_231
.LBB246_430:
	s_or_b32 exec_lo, exec_lo, s8
.LBB246_431:
	s_delay_alu instid0(SALU_CYCLE_1) | instskip(SKIP_4) | instid1(VALU_DEP_2)
	s_or_b32 exec_lo, exec_lo, s1
	v_lshl_add_u32 v4, v23, 2, 0xe0
	v_and_b32_e32 v5, 0x3c0, v0
	s_mov_b32 s0, exec_lo
	s_barrier_signal -1
	v_mad_u32_u24 v1, 0x180, v22, v4
	s_barrier_wait -1
	v_cmpx_eq_u32_e32 64, v5
	s_cbranch_execz .LBB246_433
; %bb.432:
	s_delay_alu instid0(VALU_DEP_2)
	v_add_nc_u32_e32 v5, 0xfffffd00, v1
	v_add_nc_u32_e32 v6, 0xfffffd80, v1
	;; [unrolled: 1-line block ×3, first 2 shown]
	ds_store_b32 v5, v2
	ds_store_b32 v6, v3
	;; [unrolled: 1-line block ×3, first 2 shown]
.LBB246_433:
	s_or_b32 exec_lo, exec_lo, s0
	s_delay_alu instid0(SALU_CYCLE_1)
	s_mov_b32 s0, exec_lo
	s_wait_dscnt 0x0
	s_barrier_signal -1
	s_barrier_wait -1
	v_cmpx_gt_u32_e32 64, v0
	s_cbranch_execz .LBB246_435
; %bb.434:
	ds_load_2addr_b32 v[6:7], v1 offset1:32
	ds_load_b32 v5, v1 offset:256
	s_wait_dscnt 0x1
	v_pk_add_f32 v[2:3], v[2:3], v[6:7]
	s_wait_dscnt 0x0
	v_add_f32_e32 v36, v36, v5
.LBB246_435:
	s_or_b32 exec_lo, exec_lo, s0
	v_and_b32_e32 v5, 0x3e0, v0
	s_mov_b32 s0, exec_lo
	s_barrier_signal -1
	s_barrier_wait -1
	s_delay_alu instid0(VALU_DEP_1)
	v_cmpx_eq_u32_e32 32, v5
	s_cbranch_execz .LBB246_437
; %bb.436:
	ds_store_2addr_b32 v4, v2, v3 offset1:32
	ds_store_b32 v4, v36 offset:256
.LBB246_437:
	s_or_b32 exec_lo, exec_lo, s0
	v_cmp_gt_u32_e32 vcc_lo, 32, v0
	s_wait_dscnt 0x0
	s_barrier_signal -1
	s_barrier_wait -1
	s_and_saveexec_b32 s0, vcc_lo
	s_cbranch_execz .LBB246_439
; %bb.438:
	ds_load_2addr_b32 v[4:5], v1 offset1:32
	ds_load_b32 v1, v1 offset:256
	s_wait_dscnt 0x1
	v_pk_add_f32 v[2:3], v[2:3], v[4:5]
	s_wait_dscnt 0x0
	v_add_f32_e32 v36, v36, v1
.LBB246_439:
	s_or_b32 exec_lo, exec_lo, s0
	s_barrier_signal -1
	s_barrier_wait -1
	s_and_saveexec_b32 s0, vcc_lo
	s_cbranch_execz .LBB246_441
; %bb.440:
	s_mul_i32 s1, s22, s13
	s_bfe_u32 s5, ttmp6, 0x40014
	s_mul_i32 s1, s1, s21
	s_mul_i32 s0, s13, s12
	;; [unrolled: 1-line block ×3, first 2 shown]
	s_lshr_b32 s4, ttmp7, 16
	s_ashr_i32 s3, s2, 31
	s_add_co_i32 s5, s5, 1
	s_lshl_b64 s[2:3], s[2:3], 1
	s_ashr_i32 s1, s0, 31
	s_add_nc_u64 s[2:3], s[6:7], s[2:3]
	s_mul_i32 s5, s4, s5
	s_bfe_u32 s6, ttmp6, 0x40008
	s_lshl_b64 s[0:1], s[0:1], 1
	s_add_co_i32 s6, s6, s5
	s_cmp_eq_u32 s20, 0
	s_add_nc_u64 s[0:1], s[2:3], s[0:1]
	s_cselect_b32 s2, s4, s6
	s_mov_b32 s3, 0
	s_mulk_i32 s2, 0xc0
	;;#ASMSTART
	v_cvt_f16_f32 v1, v2;

	;;#ASMEND
	s_add_nc_u64 s[0:1], s[0:1], s[2:3]
	global_store_b16 v0, v1, s[0:1] scale_offset
	s_wait_xcnt 0x0
	;;#ASMSTART
	v_cvt_f16_f32 v1, v3;

	;;#ASMEND
	global_store_b16 v0, v1, s[0:1] offset:64 scale_offset
	s_wait_xcnt 0x0
	;;#ASMSTART
	v_cvt_f16_f32 v1, v36;

	;;#ASMEND
	global_store_b16 v0, v1, s[0:1] offset:128 scale_offset
.LBB246_441:
	s_endpgm
	.section	.rodata,"a",@progbits
	.p2align	6, 0x0
	.amdhsa_kernel _ZN4vllm25paged_attention_v1_kernelIthLi96ELi8ELi128ELNS_18Fp8KVCacheDataTypeE1ELb0EEEvPT_PKS2_PKT0_S8_ifPKiSA_iPKfiiiSC_SC_iiiii
		.amdhsa_group_segment_fixed_size 224
		.amdhsa_private_segment_fixed_size 0
		.amdhsa_kernarg_size 384
		.amdhsa_user_sgpr_count 2
		.amdhsa_user_sgpr_dispatch_ptr 0
		.amdhsa_user_sgpr_queue_ptr 0
		.amdhsa_user_sgpr_kernarg_segment_ptr 1
		.amdhsa_user_sgpr_dispatch_id 0
		.amdhsa_user_sgpr_kernarg_preload_length 0
		.amdhsa_user_sgpr_kernarg_preload_offset 0
		.amdhsa_user_sgpr_private_segment_size 0
		.amdhsa_wavefront_size32 1
		.amdhsa_uses_dynamic_stack 0
		.amdhsa_enable_private_segment 0
		.amdhsa_system_sgpr_workgroup_id_x 1
		.amdhsa_system_sgpr_workgroup_id_y 1
		.amdhsa_system_sgpr_workgroup_id_z 1
		.amdhsa_system_sgpr_workgroup_info 0
		.amdhsa_system_vgpr_workitem_id 0
		.amdhsa_next_free_vgpr 62
		.amdhsa_next_free_sgpr 32
		.amdhsa_named_barrier_count 0
		.amdhsa_reserve_vcc 1
		.amdhsa_float_round_mode_32 0
		.amdhsa_float_round_mode_16_64 0
		.amdhsa_float_denorm_mode_32 3
		.amdhsa_float_denorm_mode_16_64 3
		.amdhsa_fp16_overflow 0
		.amdhsa_memory_ordered 1
		.amdhsa_forward_progress 1
		.amdhsa_inst_pref_size 134
		.amdhsa_round_robin_scheduling 0
		.amdhsa_exception_fp_ieee_invalid_op 0
		.amdhsa_exception_fp_denorm_src 0
		.amdhsa_exception_fp_ieee_div_zero 0
		.amdhsa_exception_fp_ieee_overflow 0
		.amdhsa_exception_fp_ieee_underflow 0
		.amdhsa_exception_fp_ieee_inexact 0
		.amdhsa_exception_int_div_zero 0
	.end_amdhsa_kernel
	.section	.text._ZN4vllm25paged_attention_v1_kernelIthLi96ELi8ELi128ELNS_18Fp8KVCacheDataTypeE1ELb0EEEvPT_PKS2_PKT0_S8_ifPKiSA_iPKfiiiSC_SC_iiiii,"axG",@progbits,_ZN4vllm25paged_attention_v1_kernelIthLi96ELi8ELi128ELNS_18Fp8KVCacheDataTypeE1ELb0EEEvPT_PKS2_PKT0_S8_ifPKiSA_iPKfiiiSC_SC_iiiii,comdat
.Lfunc_end246:
	.size	_ZN4vllm25paged_attention_v1_kernelIthLi96ELi8ELi128ELNS_18Fp8KVCacheDataTypeE1ELb0EEEvPT_PKS2_PKT0_S8_ifPKiSA_iPKfiiiSC_SC_iiiii, .Lfunc_end246-_ZN4vllm25paged_attention_v1_kernelIthLi96ELi8ELi128ELNS_18Fp8KVCacheDataTypeE1ELb0EEEvPT_PKS2_PKT0_S8_ifPKiSA_iPKfiiiSC_SC_iiiii
                                        ; -- End function
	.set _ZN4vllm25paged_attention_v1_kernelIthLi96ELi8ELi128ELNS_18Fp8KVCacheDataTypeE1ELb0EEEvPT_PKS2_PKT0_S8_ifPKiSA_iPKfiiiSC_SC_iiiii.num_vgpr, 62
	.set _ZN4vllm25paged_attention_v1_kernelIthLi96ELi8ELi128ELNS_18Fp8KVCacheDataTypeE1ELb0EEEvPT_PKS2_PKT0_S8_ifPKiSA_iPKfiiiSC_SC_iiiii.num_agpr, 0
	.set _ZN4vllm25paged_attention_v1_kernelIthLi96ELi8ELi128ELNS_18Fp8KVCacheDataTypeE1ELb0EEEvPT_PKS2_PKT0_S8_ifPKiSA_iPKfiiiSC_SC_iiiii.numbered_sgpr, 32
	.set _ZN4vllm25paged_attention_v1_kernelIthLi96ELi8ELi128ELNS_18Fp8KVCacheDataTypeE1ELb0EEEvPT_PKS2_PKT0_S8_ifPKiSA_iPKfiiiSC_SC_iiiii.num_named_barrier, 0
	.set _ZN4vllm25paged_attention_v1_kernelIthLi96ELi8ELi128ELNS_18Fp8KVCacheDataTypeE1ELb0EEEvPT_PKS2_PKT0_S8_ifPKiSA_iPKfiiiSC_SC_iiiii.private_seg_size, 0
	.set _ZN4vllm25paged_attention_v1_kernelIthLi96ELi8ELi128ELNS_18Fp8KVCacheDataTypeE1ELb0EEEvPT_PKS2_PKT0_S8_ifPKiSA_iPKfiiiSC_SC_iiiii.uses_vcc, 1
	.set _ZN4vllm25paged_attention_v1_kernelIthLi96ELi8ELi128ELNS_18Fp8KVCacheDataTypeE1ELb0EEEvPT_PKS2_PKT0_S8_ifPKiSA_iPKfiiiSC_SC_iiiii.uses_flat_scratch, 0
	.set _ZN4vllm25paged_attention_v1_kernelIthLi96ELi8ELi128ELNS_18Fp8KVCacheDataTypeE1ELb0EEEvPT_PKS2_PKT0_S8_ifPKiSA_iPKfiiiSC_SC_iiiii.has_dyn_sized_stack, 0
	.set _ZN4vllm25paged_attention_v1_kernelIthLi96ELi8ELi128ELNS_18Fp8KVCacheDataTypeE1ELb0EEEvPT_PKS2_PKT0_S8_ifPKiSA_iPKfiiiSC_SC_iiiii.has_recursion, 0
	.set _ZN4vllm25paged_attention_v1_kernelIthLi96ELi8ELi128ELNS_18Fp8KVCacheDataTypeE1ELb0EEEvPT_PKS2_PKT0_S8_ifPKiSA_iPKfiiiSC_SC_iiiii.has_indirect_call, 0
	.section	.AMDGPU.csdata,"",@progbits
; Kernel info:
; codeLenInByte = 17112
; TotalNumSgprs: 34
; NumVgprs: 62
; ScratchSize: 0
; MemoryBound: 0
; FloatMode: 240
; IeeeMode: 1
; LDSByteSize: 224 bytes/workgroup (compile time only)
; SGPRBlocks: 0
; VGPRBlocks: 3
; NumSGPRsForWavesPerEU: 34
; NumVGPRsForWavesPerEU: 62
; NamedBarCnt: 0
; Occupancy: 16
; WaveLimiterHint : 1
; COMPUTE_PGM_RSRC2:SCRATCH_EN: 0
; COMPUTE_PGM_RSRC2:USER_SGPR: 2
; COMPUTE_PGM_RSRC2:TRAP_HANDLER: 0
; COMPUTE_PGM_RSRC2:TGID_X_EN: 1
; COMPUTE_PGM_RSRC2:TGID_Y_EN: 1
; COMPUTE_PGM_RSRC2:TGID_Z_EN: 1
; COMPUTE_PGM_RSRC2:TIDIG_COMP_CNT: 0
	.section	.text._ZN4vllm25paged_attention_v1_kernelIthLi112ELi8ELi128ELNS_18Fp8KVCacheDataTypeE1ELb0EEEvPT_PKS2_PKT0_S8_ifPKiSA_iPKfiiiSC_SC_iiiii,"axG",@progbits,_ZN4vllm25paged_attention_v1_kernelIthLi112ELi8ELi128ELNS_18Fp8KVCacheDataTypeE1ELb0EEEvPT_PKS2_PKT0_S8_ifPKiSA_iPKfiiiSC_SC_iiiii,comdat
	.protected	_ZN4vllm25paged_attention_v1_kernelIthLi112ELi8ELi128ELNS_18Fp8KVCacheDataTypeE1ELb0EEEvPT_PKS2_PKT0_S8_ifPKiSA_iPKfiiiSC_SC_iiiii ; -- Begin function _ZN4vllm25paged_attention_v1_kernelIthLi112ELi8ELi128ELNS_18Fp8KVCacheDataTypeE1ELb0EEEvPT_PKS2_PKT0_S8_ifPKiSA_iPKfiiiSC_SC_iiiii
	.globl	_ZN4vllm25paged_attention_v1_kernelIthLi112ELi8ELi128ELNS_18Fp8KVCacheDataTypeE1ELb0EEEvPT_PKS2_PKT0_S8_ifPKiSA_iPKfiiiSC_SC_iiiii
	.p2align	8
	.type	_ZN4vllm25paged_attention_v1_kernelIthLi112ELi8ELi128ELNS_18Fp8KVCacheDataTypeE1ELb0EEEvPT_PKS2_PKT0_S8_ifPKiSA_iPKfiiiSC_SC_iiiii,@function
_ZN4vllm25paged_attention_v1_kernelIthLi112ELi8ELi128ELNS_18Fp8KVCacheDataTypeE1ELb0EEEvPT_PKS2_PKT0_S8_ifPKiSA_iPKfiiiSC_SC_iiiii: ; @_ZN4vllm25paged_attention_v1_kernelIthLi112ELi8ELi128ELNS_18Fp8KVCacheDataTypeE1ELb0EEEvPT_PKS2_PKT0_S8_ifPKiSA_iPKfiiiSC_SC_iiiii
; %bb.0:
	s_load_b64 s[6:7], s[0:1], 0x20
	s_bfe_u32 s3, ttmp6, 0x4000c
	s_bfe_u32 s5, ttmp6, 0x40010
	s_and_b32 s4, ttmp7, 0xffff
	s_add_co_i32 s3, s3, 1
	s_add_co_i32 s5, s5, 1
	s_and_b32 s2, ttmp6, 15
	s_bfe_u32 s8, ttmp6, 0x40004
	s_mul_i32 s3, ttmp9, s3
	s_mul_i32 s5, s4, s5
	s_getreg_b32 s20, hwreg(HW_REG_IB_STS2, 6, 4)
	s_add_co_i32 s2, s2, s3
	s_add_co_i32 s8, s8, s5
	s_cmp_eq_u32 s20, 0
	s_clause 0x1
	s_load_b32 s21, s[0:1], 0x80
	s_load_b64 s[10:11], s[0:1], 0x30
	s_cselect_b32 s22, s4, s8
	s_cselect_b32 s2, ttmp9, s2
	s_wait_kmcnt 0x0
	s_abs_i32 s3, s6
	s_delay_alu instid0(SALU_CYCLE_1) | instskip(SKIP_1) | instid1(SALU_CYCLE_2)
	s_cvt_f32_u32 s4, s3
	s_sub_co_i32 s5, 0, s3
	v_rcp_iflag_f32_e32 v1, s4
	s_abs_i32 s8, s21
	v_nop
	s_delay_alu instid0(TRANS32_DEP_1) | instskip(SKIP_1) | instid1(SALU_CYCLE_3)
	v_readfirstlane_b32 s4, v1
	s_mul_f32 s4, s4, 0x4f7ffffe
	s_cvt_u32_f32 s4, s4
	s_delay_alu instid0(SALU_CYCLE_3) | instskip(NEXT) | instid1(SALU_CYCLE_1)
	s_mul_i32 s5, s5, s4
	s_mul_hi_u32 s5, s4, s5
	s_delay_alu instid0(SALU_CYCLE_1) | instskip(SKIP_4) | instid1(SALU_CYCLE_1)
	s_add_co_i32 s4, s4, s5
	s_xor_b32 s5, s21, s6
	s_mul_hi_u32 s4, s8, s4
	s_ashr_i32 s5, s5, 31
	s_mul_i32 s6, s4, s3
	s_sub_co_i32 s6, s8, s6
	s_add_co_i32 s8, s4, 1
	s_sub_co_i32 s9, s6, s3
	s_cmp_ge_u32 s6, s3
	s_cselect_b32 s4, s8, s4
	s_cselect_b32 s6, s9, s6
	s_add_co_i32 s8, s4, 1
	s_cmp_ge_u32 s6, s3
	s_mov_b32 s9, 0
	s_cselect_b32 s3, s8, s4
	s_abs_i32 s8, s2
	s_xor_b32 s3, s3, s5
	s_mov_b32 s13, s9
	s_sub_co_i32 s15, s3, s5
	s_load_b64 s[4:5], s[0:1], 0x40
	s_abs_i32 s14, s15
	s_mov_b32 s25, s9
	s_cvt_f32_u32 s3, s14
	s_sub_co_i32 s6, 0, s14
	s_delay_alu instid0(SALU_CYCLE_2) | instskip(SKIP_1) | instid1(TRANS32_DEP_1)
	v_rcp_iflag_f32_e32 v1, s3
	v_nop
	v_readfirstlane_b32 s3, v1
	s_mul_f32 s3, s3, 0x4f7ffffe
	s_delay_alu instid0(SALU_CYCLE_3) | instskip(NEXT) | instid1(SALU_CYCLE_3)
	s_cvt_u32_f32 s3, s3
	s_mul_i32 s6, s6, s3
	s_delay_alu instid0(SALU_CYCLE_1) | instskip(NEXT) | instid1(SALU_CYCLE_1)
	s_mul_hi_u32 s6, s3, s6
	s_add_co_i32 s12, s3, s6
	s_wait_kmcnt 0x0
	s_cmp_eq_u64 s[4:5], 0
	s_cbranch_scc1 .LBB247_2
; %bb.1:
	s_ashr_i32 s3, s2, 31
	s_delay_alu instid0(SALU_CYCLE_1) | instskip(NEXT) | instid1(SALU_CYCLE_1)
	s_lshl_b64 s[16:17], s[2:3], 2
	s_add_nc_u64 s[4:5], s[4:5], s[16:17]
	s_load_b32 s25, s[4:5], 0x0
.LBB247_2:
	s_load_b32 s23, s[10:11], s22 offset:0x0 scale_offset
	s_wait_xcnt 0x0
	s_load_b96 s[4:6], s[0:1], 0x48
	v_and_b32_e32 v4, 3, v0
	s_ashr_i32 s3, s2, 31
	s_ashr_i32 s15, s15, 31
	s_mul_u64 s[10:11], s[8:9], s[12:13]
	s_mul_i32 s12, s2, 0x70
	s_mov_b32 s2, exec_lo
	v_cmpx_gt_u32_e32 56, v0
	s_cbranch_execz .LBB247_4
; %bb.3:
	s_load_b64 s[16:17], s[0:1], 0x8
	s_wait_kmcnt 0x0
	s_mul_i32 s18, s4, s22
	s_ashr_i32 s13, s12, 31
	s_ashr_i32 s19, s18, 31
	v_and_b32_e32 v2, 0x3fc, v0
	s_lshl_b64 s[18:19], s[18:19], 1
	s_delay_alu instid0(VALU_DEP_1) | instskip(SKIP_2) | instid1(SALU_CYCLE_1)
	v_mad_u32_u24 v2, v4, 56, v2
	s_add_nc_u64 s[16:17], s[16:17], s[18:19]
	s_lshl_b64 s[18:19], s[12:13], 1
	s_add_nc_u64 s[16:17], s[16:17], s[18:19]
	global_load_b32 v1, v0, s[16:17] scale_offset
	s_wait_loadcnt 0x0
	ds_store_b32 v2, v1
.LBB247_4:
	s_or_b32 exec_lo, exec_lo, s2
	s_wait_kmcnt 0x0
	s_add_co_i32 s2, s23, 7
	s_load_b32 s4, s[0:1], 0x38
	s_ashr_i32 s9, s2, 31
	s_mul_i32 s10, s11, s14
	s_lshr_b32 s9, s9, 29
	s_sub_co_i32 s8, s8, s10
	s_add_co_i32 s2, s2, s9
	s_xor_b32 s3, s3, s15
	s_ashr_i32 s24, s2, 3
	s_add_co_i32 s2, s11, 1
	s_sub_co_i32 s9, s8, s14
	s_cmp_ge_u32 s8, s14
	v_lshrrev_b32_e32 v26, 5, v0
	s_cselect_b32 s2, s2, s11
	s_cselect_b32 s8, s9, s8
	s_add_co_i32 s9, s2, 1
	s_cmp_ge_u32 s8, s14
	v_mbcnt_lo_u32_b32 v10, -1, 0
	s_cselect_b32 s2, s9, s2
	s_wait_dscnt 0x0
	s_xor_b32 s2, s2, s3
	s_wait_kmcnt 0x0
	s_mul_i32 s14, s4, s22
	s_sub_co_i32 s3, s2, s3
	v_cmp_gt_i32_e64 s2, s24, v26
	s_ashr_i32 s15, s14, 31
	s_mov_b32 s4, exec_lo
	s_barrier_signal -1
	s_barrier_wait -1
                                        ; implicit-def: $vgpr3
                                        ; implicit-def: $vgpr11
	v_cmpx_le_i32_e64 s24, v26
	s_xor_b32 s4, exec_lo, s4
; %bb.5:
	v_dual_mov_b32 v3, 0 :: v_dual_mov_b32 v11, 32
	v_mbcnt_lo_u32_b32 v10, -1, 0
                                        ; implicit-def: $vgpr4
; %bb.6:
	s_or_saveexec_b32 s26, s4
	s_clause 0x2
	s_load_b32 s13, s[0:1], 0x88
	s_load_b64 s[16:17], s[0:1], 0x28
	s_load_b128 s[8:11], s[0:1], 0x58
	v_dual_mov_b32 v12, 0xff7fffff :: v_dual_lshrrev_b32 v1, 3, v0
	s_mul_i32 s18, s3, s6
	s_xor_b32 exec_lo, exec_lo, s26
	s_cbranch_execz .LBB247_236
; %bb.7:
	s_load_b64 s[28:29], s[0:1], 0x10
	v_bfe_u32 v8, v0, 2, 3
	v_mov_b32_e32 v3, 0
	s_ashr_i32 s19, s18, 31
	s_cmp_neq_f32 s25, 0
	v_mul_u32_u24_e32 v13, 56, v4
	v_dual_lshlrev_b32 v2, 4, v8 :: v_dual_lshlrev_b32 v5, 2, v8
	v_mov_b32_e32 v12, 0xff7fffff
	v_cmp_eq_u32_e32 vcc_lo, 0, v4
	s_cselect_b32 s3, -1, 0
	v_lshl_or_b32 v14, v26, 3, v8
	v_lshl_or_b32 v9, v26, 5, v5
	s_mov_b32 s6, 0
	s_sub_co_i32 s27, 1, s23
	v_dual_mov_b32 v16, v26 :: v_dual_mov_b32 v11, 32
	s_delay_alu instid0(VALU_DEP_2)
	v_add_nc_u32_e32 v15, 0x100, v9
	s_wait_kmcnt 0x0
	s_add_nc_u64 s[28:29], s[28:29], s[18:19]
	s_mov_b32 s19, s5
	v_add_nc_u64_e32 v[6:7], s[28:29], v[2:3]
	v_lshlrev_b32_e32 v2, 1, v4
	s_lshl_b64 s[28:29], s[14:15], 2
	s_delay_alu instid0(SALU_CYCLE_1) | instskip(NEXT) | instid1(VALU_DEP_1)
	s_add_nc_u64 s[28:29], s[16:17], s[28:29]
	v_add_nc_u64_e32 v[4:5], v[6:7], v[2:3]
	v_and_b32_e32 v2, 0x7c, v1
	s_delay_alu instid0(VALU_DEP_1)
	v_add_nc_u64_e32 v[6:7], s[28:29], v[2:3]
	s_branch .LBB247_9
.LBB247_8:                              ;   in Loop: Header=BB247_9 Depth=1
	s_or_b32 exec_lo, exec_lo, s28
	v_dual_add_nc_u32 v16, 4, v16 :: v_dual_add_nc_u32 v14, 32, v14
	v_add_nc_u64_e32 v[6:7], 16, v[6:7]
	v_add_nc_u32_e32 v15, 0x80, v15
	s_delay_alu instid0(VALU_DEP_3) | instskip(SKIP_1) | instid1(SALU_CYCLE_1)
	v_cmp_le_i32_e64 s4, s24, v16
	s_or_b32 s6, s4, s6
	s_and_not1_b32 exec_lo, exec_lo, s6
	s_cbranch_execz .LBB247_235
.LBB247_9:                              ; =>This Inner Loop Header: Depth=1
	global_load_b32 v2, v[6:7], off
	v_mov_b32_e32 v18, 0
	s_wait_loadcnt_dscnt 0x0
	v_mad_nc_i64_i32 v[8:9], v2, s19, v[4:5]
	global_load_u16 v2, v[8:9], off
	s_wait_loadcnt 0x0
	v_and_b32_e32 v19, 0xff, v2
	v_and_b32_e32 v2, 0xffff, v2
	s_delay_alu instid0(VALU_DEP_2)
	v_cmp_ne_u16_e64 s4, 0, v19
	v_mov_b32_e32 v19, 0
	global_load_b32 v17, v18, s[8:9]
	s_wait_xcnt 0x0
	s_and_saveexec_b32 s28, s4
	s_cbranch_execz .LBB247_17
; %bb.10:                               ;   in Loop: Header=BB247_9 Depth=1
	v_and_b32_e32 v19, 0xff, v2
	s_delay_alu instid0(VALU_DEP_1)
	v_cmp_ne_u16_e64 s4, 0x80, v19
	v_mov_b32_e32 v19, 0x8000
	s_and_saveexec_b32 s29, s4
	s_cbranch_execz .LBB247_16
; %bb.11:                               ;   in Loop: Header=BB247_9 Depth=1
	v_and_b32_e32 v21, 0x7f, v2
	v_mov_b32_e32 v19, 0x7c01
	s_mov_b32 s30, exec_lo
	s_delay_alu instid0(VALU_DEP_2)
	v_cmpx_ne_u32_e32 0x7f, v21
	s_cbranch_execz .LBB247_15
; %bb.12:                               ;   in Loop: Header=BB247_9 Depth=1
	v_dual_lshrrev_b32 v20, 3, v21 :: v_dual_bitop2_b32 v19, 7, v2 bitop3:0x40
	s_mov_b32 s31, exec_lo
	v_cmpx_gt_u32_e32 8, v21
; %bb.13:                               ;   in Loop: Header=BB247_9 Depth=1
	s_delay_alu instid0(VALU_DEP_2) | instskip(NEXT) | instid1(VALU_DEP_1)
	v_clz_i32_u32_e32 v19, v19
	v_min_u32_e32 v19, 32, v19
	s_delay_alu instid0(VALU_DEP_1) | instskip(NEXT) | instid1(VALU_DEP_1)
	v_subrev_nc_u32_e32 v20, 28, v19
	v_lshlrev_b64_e32 v[22:23], v20, v[2:3]
	s_delay_alu instid0(VALU_DEP_1)
	v_dual_sub_nc_u32 v20, 29, v19 :: v_dual_bitop2_b32 v19, 7, v22 bitop3:0x40
; %bb.14:                               ;   in Loop: Header=BB247_9 Depth=1
	s_or_b32 exec_lo, exec_lo, s31
	s_delay_alu instid0(VALU_DEP_1) | instskip(NEXT) | instid1(VALU_DEP_2)
	v_dual_lshlrev_b32 v21, 8, v2 :: v_dual_lshlrev_b32 v19, 7, v19
	v_lshl_add_u32 v20, v20, 10, 0x2000
	s_delay_alu instid0(VALU_DEP_2) | instskip(NEXT) | instid1(VALU_DEP_2)
	v_and_b32_e32 v21, 0x8000, v21
	v_and_b32_e32 v20, 0xfc00, v20
	s_delay_alu instid0(VALU_DEP_1)
	v_or3_b32 v19, v21, v20, v19
.LBB247_15:                             ;   in Loop: Header=BB247_9 Depth=1
	s_or_b32 exec_lo, exec_lo, s30
.LBB247_16:                             ;   in Loop: Header=BB247_9 Depth=1
	s_delay_alu instid0(SALU_CYCLE_1)
	s_or_b32 exec_lo, exec_lo, s29
.LBB247_17:                             ;   in Loop: Header=BB247_9 Depth=1
	s_delay_alu instid0(SALU_CYCLE_1) | instskip(SKIP_2) | instid1(VALU_DEP_1)
	s_or_b32 exec_lo, exec_lo, s28
	v_lshrrev_b16 v2, 8, v2
	s_mov_b32 s28, exec_lo
	v_cmpx_ne_u16_e32 0, v2
	s_cbranch_execz .LBB247_25
; %bb.18:                               ;   in Loop: Header=BB247_9 Depth=1
	v_bfrev_b32_e32 v18, 1
	s_mov_b32 s29, exec_lo
	v_cmpx_ne_u16_e32 0x80, v2
	s_cbranch_execz .LBB247_24
; %bb.19:                               ;   in Loop: Header=BB247_9 Depth=1
	v_and_b32_e32 v20, 0xffff, v2
	v_mov_b32_e32 v18, 0x7c010000
	s_mov_b32 s30, exec_lo
	s_delay_alu instid0(VALU_DEP_2) | instskip(NEXT) | instid1(VALU_DEP_1)
	v_and_b32_e32 v22, 0x7f, v20
	v_cmpx_ne_u32_e32 0x7f, v22
	s_cbranch_execz .LBB247_23
; %bb.20:                               ;   in Loop: Header=BB247_9 Depth=1
	v_dual_lshrrev_b32 v21, 3, v22 :: v_dual_bitop2_b32 v18, 7, v20 bitop3:0x40
	s_mov_b32 s31, exec_lo
	v_cmpx_gt_u32_e32 8, v22
; %bb.21:                               ;   in Loop: Header=BB247_9 Depth=1
	s_delay_alu instid0(VALU_DEP_2) | instskip(NEXT) | instid1(VALU_DEP_1)
	v_clz_i32_u32_e32 v18, v18
	v_min_u32_e32 v18, 32, v18
	s_delay_alu instid0(VALU_DEP_1) | instskip(NEXT) | instid1(VALU_DEP_1)
	v_subrev_nc_u32_e32 v21, 28, v18
	v_lshlrev_b64_e32 v[22:23], v21, v[2:3]
	v_sub_nc_u32_e32 v21, 29, v18
	s_delay_alu instid0(VALU_DEP_2)
	v_and_b32_e32 v18, 7, v22
; %bb.22:                               ;   in Loop: Header=BB247_9 Depth=1
	s_or_b32 exec_lo, exec_lo, s31
	s_delay_alu instid0(VALU_DEP_1) | instskip(NEXT) | instid1(VALU_DEP_3)
	v_dual_lshlrev_b32 v2, 8, v20 :: v_dual_lshlrev_b32 v18, 23, v18
	v_lshl_add_u32 v20, v21, 10, 0x2000
	s_delay_alu instid0(VALU_DEP_1) | instskip(NEXT) | instid1(VALU_DEP_1)
	v_and_or_b32 v2, 0x8000, v2, v20
	v_lshl_or_b32 v18, v2, 16, v18
.LBB247_23:                             ;   in Loop: Header=BB247_9 Depth=1
	s_or_b32 exec_lo, exec_lo, s30
.LBB247_24:                             ;   in Loop: Header=BB247_9 Depth=1
	s_delay_alu instid0(SALU_CYCLE_1)
	s_or_b32 exec_lo, exec_lo, s29
.LBB247_25:                             ;   in Loop: Header=BB247_9 Depth=1
	s_delay_alu instid0(SALU_CYCLE_1)
	s_or_b32 exec_lo, exec_lo, s28
	global_load_u16 v2, v[8:9], off offset:8
	v_mov_b32_e32 v20, 0
	s_wait_loadcnt 0x0
	v_and_b32_e32 v21, 0xff, v2
	v_and_b32_e32 v2, 0xffff, v2
	s_delay_alu instid0(VALU_DEP_2)
	v_cmp_ne_u16_e64 s4, 0, v21
	v_mov_b32_e32 v21, 0
	s_and_saveexec_b32 s28, s4
	s_cbranch_execz .LBB247_33
; %bb.26:                               ;   in Loop: Header=BB247_9 Depth=1
	v_and_b32_e32 v21, 0xff, v2
	s_delay_alu instid0(VALU_DEP_1)
	v_cmp_ne_u16_e64 s4, 0x80, v21
	v_mov_b32_e32 v21, 0x8000
	s_and_saveexec_b32 s29, s4
	s_cbranch_execz .LBB247_32
; %bb.27:                               ;   in Loop: Header=BB247_9 Depth=1
	v_and_b32_e32 v23, 0x7f, v2
	v_mov_b32_e32 v21, 0x7c01
	s_mov_b32 s30, exec_lo
	s_delay_alu instid0(VALU_DEP_2)
	v_cmpx_ne_u32_e32 0x7f, v23
	s_cbranch_execz .LBB247_31
; %bb.28:                               ;   in Loop: Header=BB247_9 Depth=1
	v_dual_lshrrev_b32 v22, 3, v23 :: v_dual_bitop2_b32 v21, 7, v2 bitop3:0x40
	s_mov_b32 s31, exec_lo
	v_cmpx_gt_u32_e32 8, v23
; %bb.29:                               ;   in Loop: Header=BB247_9 Depth=1
	s_delay_alu instid0(VALU_DEP_2) | instskip(NEXT) | instid1(VALU_DEP_1)
	v_clz_i32_u32_e32 v21, v21
	v_min_u32_e32 v21, 32, v21
	s_delay_alu instid0(VALU_DEP_1) | instskip(NEXT) | instid1(VALU_DEP_1)
	v_subrev_nc_u32_e32 v22, 28, v21
	v_lshlrev_b64_e32 v[24:25], v22, v[2:3]
	s_delay_alu instid0(VALU_DEP_1)
	v_dual_sub_nc_u32 v22, 29, v21 :: v_dual_bitop2_b32 v21, 7, v24 bitop3:0x40
; %bb.30:                               ;   in Loop: Header=BB247_9 Depth=1
	s_or_b32 exec_lo, exec_lo, s31
	s_delay_alu instid0(VALU_DEP_1) | instskip(NEXT) | instid1(VALU_DEP_2)
	v_dual_lshlrev_b32 v23, 8, v2 :: v_dual_lshlrev_b32 v21, 7, v21
	v_lshl_add_u32 v22, v22, 10, 0x2000
	s_delay_alu instid0(VALU_DEP_2) | instskip(NEXT) | instid1(VALU_DEP_2)
	v_and_b32_e32 v23, 0x8000, v23
	v_and_b32_e32 v22, 0xfc00, v22
	s_delay_alu instid0(VALU_DEP_1)
	v_or3_b32 v21, v23, v22, v21
.LBB247_31:                             ;   in Loop: Header=BB247_9 Depth=1
	s_or_b32 exec_lo, exec_lo, s30
.LBB247_32:                             ;   in Loop: Header=BB247_9 Depth=1
	s_delay_alu instid0(SALU_CYCLE_1)
	s_or_b32 exec_lo, exec_lo, s29
.LBB247_33:                             ;   in Loop: Header=BB247_9 Depth=1
	s_delay_alu instid0(SALU_CYCLE_1) | instskip(SKIP_2) | instid1(VALU_DEP_1)
	s_or_b32 exec_lo, exec_lo, s28
	v_lshrrev_b16 v2, 8, v2
	s_mov_b32 s28, exec_lo
	v_cmpx_ne_u16_e32 0, v2
	s_cbranch_execz .LBB247_41
; %bb.34:                               ;   in Loop: Header=BB247_9 Depth=1
	v_bfrev_b32_e32 v20, 1
	s_mov_b32 s29, exec_lo
	v_cmpx_ne_u16_e32 0x80, v2
	s_cbranch_execz .LBB247_40
; %bb.35:                               ;   in Loop: Header=BB247_9 Depth=1
	v_and_b32_e32 v22, 0xffff, v2
	v_mov_b32_e32 v20, 0x7c010000
	s_mov_b32 s30, exec_lo
	s_delay_alu instid0(VALU_DEP_2) | instskip(NEXT) | instid1(VALU_DEP_1)
	v_and_b32_e32 v24, 0x7f, v22
	v_cmpx_ne_u32_e32 0x7f, v24
	s_cbranch_execz .LBB247_39
; %bb.36:                               ;   in Loop: Header=BB247_9 Depth=1
	v_dual_lshrrev_b32 v23, 3, v24 :: v_dual_bitop2_b32 v20, 7, v22 bitop3:0x40
	s_mov_b32 s31, exec_lo
	v_cmpx_gt_u32_e32 8, v24
; %bb.37:                               ;   in Loop: Header=BB247_9 Depth=1
	s_delay_alu instid0(VALU_DEP_2) | instskip(NEXT) | instid1(VALU_DEP_1)
	v_clz_i32_u32_e32 v20, v20
	v_min_u32_e32 v20, 32, v20
	s_delay_alu instid0(VALU_DEP_1) | instskip(NEXT) | instid1(VALU_DEP_1)
	v_subrev_nc_u32_e32 v23, 28, v20
	v_lshlrev_b64_e32 v[24:25], v23, v[2:3]
	v_sub_nc_u32_e32 v23, 29, v20
	s_delay_alu instid0(VALU_DEP_2)
	v_and_b32_e32 v20, 7, v24
; %bb.38:                               ;   in Loop: Header=BB247_9 Depth=1
	s_or_b32 exec_lo, exec_lo, s31
	s_delay_alu instid0(VALU_DEP_1) | instskip(NEXT) | instid1(VALU_DEP_3)
	v_dual_lshlrev_b32 v2, 8, v22 :: v_dual_lshlrev_b32 v20, 23, v20
	v_lshl_add_u32 v22, v23, 10, 0x2000
	s_delay_alu instid0(VALU_DEP_1) | instskip(NEXT) | instid1(VALU_DEP_1)
	v_and_or_b32 v2, 0x8000, v2, v22
	v_lshl_or_b32 v20, v2, 16, v20
.LBB247_39:                             ;   in Loop: Header=BB247_9 Depth=1
	s_or_b32 exec_lo, exec_lo, s30
.LBB247_40:                             ;   in Loop: Header=BB247_9 Depth=1
	s_delay_alu instid0(SALU_CYCLE_1)
	s_or_b32 exec_lo, exec_lo, s29
.LBB247_41:                             ;   in Loop: Header=BB247_9 Depth=1
	s_delay_alu instid0(SALU_CYCLE_1)
	s_or_b32 exec_lo, exec_lo, s28
	global_load_u16 v2, v[8:9], off offset:128
	v_mov_b32_e32 v22, 0
	s_wait_loadcnt 0x0
	v_and_b32_e32 v23, 0xff, v2
	v_and_b32_e32 v2, 0xffff, v2
	s_delay_alu instid0(VALU_DEP_2)
	v_cmp_ne_u16_e64 s4, 0, v23
	v_mov_b32_e32 v23, 0
	s_and_saveexec_b32 s28, s4
	s_cbranch_execz .LBB247_49
; %bb.42:                               ;   in Loop: Header=BB247_9 Depth=1
	v_and_b32_e32 v23, 0xff, v2
	s_delay_alu instid0(VALU_DEP_1)
	v_cmp_ne_u16_e64 s4, 0x80, v23
	v_mov_b32_e32 v23, 0x8000
	s_and_saveexec_b32 s29, s4
	s_cbranch_execz .LBB247_48
; %bb.43:                               ;   in Loop: Header=BB247_9 Depth=1
	v_and_b32_e32 v25, 0x7f, v2
	v_mov_b32_e32 v23, 0x7c01
	s_mov_b32 s30, exec_lo
	s_delay_alu instid0(VALU_DEP_2)
	v_cmpx_ne_u32_e32 0x7f, v25
	s_cbranch_execz .LBB247_47
; %bb.44:                               ;   in Loop: Header=BB247_9 Depth=1
	v_dual_lshrrev_b32 v24, 3, v25 :: v_dual_bitop2_b32 v23, 7, v2 bitop3:0x40
	s_mov_b32 s31, exec_lo
	v_cmpx_gt_u32_e32 8, v25
; %bb.45:                               ;   in Loop: Header=BB247_9 Depth=1
	s_delay_alu instid0(VALU_DEP_2) | instskip(NEXT) | instid1(VALU_DEP_1)
	v_clz_i32_u32_e32 v23, v23
	v_min_u32_e32 v23, 32, v23
	s_delay_alu instid0(VALU_DEP_1) | instskip(NEXT) | instid1(VALU_DEP_1)
	v_subrev_nc_u32_e32 v24, 28, v23
	v_lshlrev_b64_e32 v[28:29], v24, v[2:3]
	s_delay_alu instid0(VALU_DEP_1)
	v_dual_sub_nc_u32 v24, 29, v23 :: v_dual_bitop2_b32 v23, 7, v28 bitop3:0x40
; %bb.46:                               ;   in Loop: Header=BB247_9 Depth=1
	s_or_b32 exec_lo, exec_lo, s31
	s_delay_alu instid0(VALU_DEP_1) | instskip(NEXT) | instid1(VALU_DEP_2)
	v_dual_lshlrev_b32 v25, 8, v2 :: v_dual_lshlrev_b32 v23, 7, v23
	v_lshl_add_u32 v24, v24, 10, 0x2000
	s_delay_alu instid0(VALU_DEP_2) | instskip(NEXT) | instid1(VALU_DEP_2)
	v_and_b32_e32 v25, 0x8000, v25
	v_and_b32_e32 v24, 0xfc00, v24
	s_delay_alu instid0(VALU_DEP_1)
	v_or3_b32 v23, v25, v24, v23
.LBB247_47:                             ;   in Loop: Header=BB247_9 Depth=1
	s_or_b32 exec_lo, exec_lo, s30
.LBB247_48:                             ;   in Loop: Header=BB247_9 Depth=1
	s_delay_alu instid0(SALU_CYCLE_1)
	s_or_b32 exec_lo, exec_lo, s29
.LBB247_49:                             ;   in Loop: Header=BB247_9 Depth=1
	s_delay_alu instid0(SALU_CYCLE_1) | instskip(SKIP_2) | instid1(VALU_DEP_1)
	s_or_b32 exec_lo, exec_lo, s28
	v_lshrrev_b16 v2, 8, v2
	s_mov_b32 s28, exec_lo
	v_cmpx_ne_u16_e32 0, v2
	s_cbranch_execz .LBB247_57
; %bb.50:                               ;   in Loop: Header=BB247_9 Depth=1
	v_bfrev_b32_e32 v22, 1
	s_mov_b32 s29, exec_lo
	v_cmpx_ne_u16_e32 0x80, v2
	s_cbranch_execz .LBB247_56
; %bb.51:                               ;   in Loop: Header=BB247_9 Depth=1
	v_and_b32_e32 v24, 0xffff, v2
	v_mov_b32_e32 v22, 0x7c010000
	s_mov_b32 s30, exec_lo
	s_delay_alu instid0(VALU_DEP_2) | instskip(NEXT) | instid1(VALU_DEP_1)
	v_and_b32_e32 v27, 0x7f, v24
	v_cmpx_ne_u32_e32 0x7f, v27
	s_cbranch_execz .LBB247_55
; %bb.52:                               ;   in Loop: Header=BB247_9 Depth=1
	v_dual_lshrrev_b32 v25, 3, v27 :: v_dual_bitop2_b32 v22, 7, v24 bitop3:0x40
	s_mov_b32 s31, exec_lo
	v_cmpx_gt_u32_e32 8, v27
; %bb.53:                               ;   in Loop: Header=BB247_9 Depth=1
	s_delay_alu instid0(VALU_DEP_2) | instskip(NEXT) | instid1(VALU_DEP_1)
	v_clz_i32_u32_e32 v22, v22
	v_min_u32_e32 v22, 32, v22
	s_delay_alu instid0(VALU_DEP_1) | instskip(NEXT) | instid1(VALU_DEP_1)
	v_subrev_nc_u32_e32 v25, 28, v22
	v_lshlrev_b64_e32 v[28:29], v25, v[2:3]
	s_delay_alu instid0(VALU_DEP_1)
	v_dual_sub_nc_u32 v25, 29, v22 :: v_dual_bitop2_b32 v22, 7, v28 bitop3:0x40
; %bb.54:                               ;   in Loop: Header=BB247_9 Depth=1
	s_or_b32 exec_lo, exec_lo, s31
	s_delay_alu instid0(VALU_DEP_1) | instskip(NEXT) | instid1(VALU_DEP_2)
	v_dual_lshlrev_b32 v2, 8, v24 :: v_dual_lshlrev_b32 v22, 23, v22
	v_lshl_add_u32 v24, v25, 10, 0x2000
	s_delay_alu instid0(VALU_DEP_1) | instskip(NEXT) | instid1(VALU_DEP_1)
	v_and_or_b32 v2, 0x8000, v2, v24
	v_lshl_or_b32 v22, v2, 16, v22
.LBB247_55:                             ;   in Loop: Header=BB247_9 Depth=1
	s_or_b32 exec_lo, exec_lo, s30
.LBB247_56:                             ;   in Loop: Header=BB247_9 Depth=1
	s_delay_alu instid0(SALU_CYCLE_1)
	s_or_b32 exec_lo, exec_lo, s29
.LBB247_57:                             ;   in Loop: Header=BB247_9 Depth=1
	s_delay_alu instid0(SALU_CYCLE_1)
	s_or_b32 exec_lo, exec_lo, s28
	global_load_u16 v2, v[8:9], off offset:136
	v_mov_b32_e32 v24, 0
	s_wait_loadcnt 0x0
	v_and_b32_e32 v25, 0xff, v2
	v_and_b32_e32 v2, 0xffff, v2
	s_delay_alu instid0(VALU_DEP_2)
	v_cmp_ne_u16_e64 s4, 0, v25
	v_mov_b32_e32 v25, 0
	s_and_saveexec_b32 s28, s4
	s_cbranch_execz .LBB247_65
; %bb.58:                               ;   in Loop: Header=BB247_9 Depth=1
	v_and_b32_e32 v25, 0xff, v2
	s_delay_alu instid0(VALU_DEP_1)
	v_cmp_ne_u16_e64 s4, 0x80, v25
	v_mov_b32_e32 v25, 0x8000
	s_and_saveexec_b32 s29, s4
	s_cbranch_execz .LBB247_64
; %bb.59:                               ;   in Loop: Header=BB247_9 Depth=1
	v_and_b32_e32 v28, 0x7f, v2
	v_mov_b32_e32 v25, 0x7c01
	s_mov_b32 s30, exec_lo
	s_delay_alu instid0(VALU_DEP_2)
	v_cmpx_ne_u32_e32 0x7f, v28
	s_cbranch_execz .LBB247_63
; %bb.60:                               ;   in Loop: Header=BB247_9 Depth=1
	v_dual_lshrrev_b32 v27, 3, v28 :: v_dual_bitop2_b32 v25, 7, v2 bitop3:0x40
	s_mov_b32 s31, exec_lo
	v_cmpx_gt_u32_e32 8, v28
; %bb.61:                               ;   in Loop: Header=BB247_9 Depth=1
	s_delay_alu instid0(VALU_DEP_2) | instskip(NEXT) | instid1(VALU_DEP_1)
	v_clz_i32_u32_e32 v25, v25
	v_min_u32_e32 v25, 32, v25
	s_delay_alu instid0(VALU_DEP_1) | instskip(NEXT) | instid1(VALU_DEP_1)
	v_subrev_nc_u32_e32 v27, 28, v25
	v_lshlrev_b64_e32 v[28:29], v27, v[2:3]
	s_delay_alu instid0(VALU_DEP_1)
	v_dual_sub_nc_u32 v27, 29, v25 :: v_dual_bitop2_b32 v25, 7, v28 bitop3:0x40
; %bb.62:                               ;   in Loop: Header=BB247_9 Depth=1
	s_or_b32 exec_lo, exec_lo, s31
	s_delay_alu instid0(VALU_DEP_1) | instskip(NEXT) | instid1(VALU_DEP_2)
	v_dual_lshlrev_b32 v28, 8, v2 :: v_dual_lshlrev_b32 v25, 7, v25
	v_lshl_add_u32 v27, v27, 10, 0x2000
	s_delay_alu instid0(VALU_DEP_2) | instskip(NEXT) | instid1(VALU_DEP_2)
	v_and_b32_e32 v28, 0x8000, v28
	v_and_b32_e32 v27, 0xfc00, v27
	s_delay_alu instid0(VALU_DEP_1)
	v_or3_b32 v25, v28, v27, v25
.LBB247_63:                             ;   in Loop: Header=BB247_9 Depth=1
	s_or_b32 exec_lo, exec_lo, s30
.LBB247_64:                             ;   in Loop: Header=BB247_9 Depth=1
	s_delay_alu instid0(SALU_CYCLE_1)
	s_or_b32 exec_lo, exec_lo, s29
.LBB247_65:                             ;   in Loop: Header=BB247_9 Depth=1
	s_delay_alu instid0(SALU_CYCLE_1) | instskip(SKIP_2) | instid1(VALU_DEP_1)
	s_or_b32 exec_lo, exec_lo, s28
	v_lshrrev_b16 v2, 8, v2
	s_mov_b32 s28, exec_lo
	v_cmpx_ne_u16_e32 0, v2
	s_cbranch_execz .LBB247_73
; %bb.66:                               ;   in Loop: Header=BB247_9 Depth=1
	v_bfrev_b32_e32 v24, 1
	s_mov_b32 s29, exec_lo
	v_cmpx_ne_u16_e32 0x80, v2
	s_cbranch_execz .LBB247_72
; %bb.67:                               ;   in Loop: Header=BB247_9 Depth=1
	v_and_b32_e32 v27, 0xffff, v2
	v_mov_b32_e32 v24, 0x7c010000
	s_mov_b32 s30, exec_lo
	s_delay_alu instid0(VALU_DEP_2) | instskip(NEXT) | instid1(VALU_DEP_1)
	v_and_b32_e32 v29, 0x7f, v27
	v_cmpx_ne_u32_e32 0x7f, v29
	s_cbranch_execz .LBB247_71
; %bb.68:                               ;   in Loop: Header=BB247_9 Depth=1
	v_dual_lshrrev_b32 v28, 3, v29 :: v_dual_bitop2_b32 v24, 7, v27 bitop3:0x40
	s_mov_b32 s31, exec_lo
	v_cmpx_gt_u32_e32 8, v29
; %bb.69:                               ;   in Loop: Header=BB247_9 Depth=1
	s_delay_alu instid0(VALU_DEP_2) | instskip(NEXT) | instid1(VALU_DEP_1)
	v_clz_i32_u32_e32 v24, v24
	v_min_u32_e32 v24, 32, v24
	s_delay_alu instid0(VALU_DEP_1) | instskip(NEXT) | instid1(VALU_DEP_1)
	v_subrev_nc_u32_e32 v28, 28, v24
	v_lshlrev_b64_e32 v[30:31], v28, v[2:3]
	s_delay_alu instid0(VALU_DEP_1)
	v_dual_sub_nc_u32 v28, 29, v24 :: v_dual_bitop2_b32 v24, 7, v30 bitop3:0x40
; %bb.70:                               ;   in Loop: Header=BB247_9 Depth=1
	s_or_b32 exec_lo, exec_lo, s31
	s_delay_alu instid0(VALU_DEP_1) | instskip(NEXT) | instid1(VALU_DEP_2)
	v_dual_lshlrev_b32 v2, 8, v27 :: v_dual_lshlrev_b32 v24, 23, v24
	v_lshl_add_u32 v27, v28, 10, 0x2000
	s_delay_alu instid0(VALU_DEP_1) | instskip(NEXT) | instid1(VALU_DEP_1)
	v_and_or_b32 v2, 0x8000, v2, v27
	v_lshl_or_b32 v24, v2, 16, v24
.LBB247_71:                             ;   in Loop: Header=BB247_9 Depth=1
	s_or_b32 exec_lo, exec_lo, s30
.LBB247_72:                             ;   in Loop: Header=BB247_9 Depth=1
	s_delay_alu instid0(SALU_CYCLE_1)
	s_or_b32 exec_lo, exec_lo, s29
.LBB247_73:                             ;   in Loop: Header=BB247_9 Depth=1
	s_delay_alu instid0(SALU_CYCLE_1)
	s_or_b32 exec_lo, exec_lo, s28
	global_load_u16 v2, v[8:9], off offset:256
	v_mov_b32_e32 v27, 0
	s_wait_loadcnt 0x0
	v_and_b32_e32 v28, 0xff, v2
	v_and_b32_e32 v2, 0xffff, v2
	s_delay_alu instid0(VALU_DEP_2)
	v_cmp_ne_u16_e64 s4, 0, v28
	v_mov_b32_e32 v28, 0
	s_and_saveexec_b32 s28, s4
	s_cbranch_execz .LBB247_81
; %bb.74:                               ;   in Loop: Header=BB247_9 Depth=1
	v_and_b32_e32 v28, 0xff, v2
	s_delay_alu instid0(VALU_DEP_1)
	v_cmp_ne_u16_e64 s4, 0x80, v28
	v_mov_b32_e32 v28, 0x8000
	s_and_saveexec_b32 s29, s4
	s_cbranch_execz .LBB247_80
; %bb.75:                               ;   in Loop: Header=BB247_9 Depth=1
	v_and_b32_e32 v30, 0x7f, v2
	v_mov_b32_e32 v28, 0x7c01
	s_mov_b32 s30, exec_lo
	s_delay_alu instid0(VALU_DEP_2)
	v_cmpx_ne_u32_e32 0x7f, v30
	s_cbranch_execz .LBB247_79
; %bb.76:                               ;   in Loop: Header=BB247_9 Depth=1
	v_and_b32_e32 v28, 7, v2
	v_lshrrev_b32_e32 v29, 3, v30
	s_mov_b32 s31, exec_lo
	v_cmpx_gt_u32_e32 8, v30
; %bb.77:                               ;   in Loop: Header=BB247_9 Depth=1
	s_delay_alu instid0(VALU_DEP_3) | instskip(NEXT) | instid1(VALU_DEP_1)
	v_clz_i32_u32_e32 v28, v28
	v_min_u32_e32 v30, 32, v28
	s_delay_alu instid0(VALU_DEP_1) | instskip(NEXT) | instid1(VALU_DEP_1)
	v_subrev_nc_u32_e32 v28, 28, v30
	v_lshlrev_b64_e32 v[28:29], v28, v[2:3]
	s_delay_alu instid0(VALU_DEP_1)
	v_dual_sub_nc_u32 v29, 29, v30 :: v_dual_bitop2_b32 v28, 7, v28 bitop3:0x40
; %bb.78:                               ;   in Loop: Header=BB247_9 Depth=1
	s_or_b32 exec_lo, exec_lo, s31
	s_delay_alu instid0(VALU_DEP_1) | instskip(NEXT) | instid1(VALU_DEP_2)
	v_dual_lshlrev_b32 v30, 8, v2 :: v_dual_lshlrev_b32 v28, 7, v28
	v_lshl_add_u32 v29, v29, 10, 0x2000
	s_delay_alu instid0(VALU_DEP_2) | instskip(NEXT) | instid1(VALU_DEP_2)
	v_and_b32_e32 v30, 0x8000, v30
	v_and_b32_e32 v29, 0xfc00, v29
	s_delay_alu instid0(VALU_DEP_1)
	v_or3_b32 v28, v30, v29, v28
.LBB247_79:                             ;   in Loop: Header=BB247_9 Depth=1
	s_or_b32 exec_lo, exec_lo, s30
.LBB247_80:                             ;   in Loop: Header=BB247_9 Depth=1
	s_delay_alu instid0(SALU_CYCLE_1)
	s_or_b32 exec_lo, exec_lo, s29
.LBB247_81:                             ;   in Loop: Header=BB247_9 Depth=1
	s_delay_alu instid0(SALU_CYCLE_1) | instskip(SKIP_2) | instid1(VALU_DEP_1)
	s_or_b32 exec_lo, exec_lo, s28
	v_lshrrev_b16 v2, 8, v2
	s_mov_b32 s28, exec_lo
	v_cmpx_ne_u16_e32 0, v2
	s_cbranch_execz .LBB247_89
; %bb.82:                               ;   in Loop: Header=BB247_9 Depth=1
	v_bfrev_b32_e32 v27, 1
	s_mov_b32 s29, exec_lo
	v_cmpx_ne_u16_e32 0x80, v2
	s_cbranch_execz .LBB247_88
; %bb.83:                               ;   in Loop: Header=BB247_9 Depth=1
	v_and_b32_e32 v29, 0xffff, v2
	v_mov_b32_e32 v27, 0x7c010000
	s_mov_b32 s30, exec_lo
	s_delay_alu instid0(VALU_DEP_2) | instskip(NEXT) | instid1(VALU_DEP_1)
	v_and_b32_e32 v31, 0x7f, v29
	v_cmpx_ne_u32_e32 0x7f, v31
	s_cbranch_execz .LBB247_87
; %bb.84:                               ;   in Loop: Header=BB247_9 Depth=1
	v_dual_lshrrev_b32 v30, 3, v31 :: v_dual_bitop2_b32 v27, 7, v29 bitop3:0x40
	s_mov_b32 s31, exec_lo
	v_cmpx_gt_u32_e32 8, v31
; %bb.85:                               ;   in Loop: Header=BB247_9 Depth=1
	s_delay_alu instid0(VALU_DEP_2) | instskip(NEXT) | instid1(VALU_DEP_1)
	v_clz_i32_u32_e32 v27, v27
	v_min_u32_e32 v27, 32, v27
	s_delay_alu instid0(VALU_DEP_1) | instskip(NEXT) | instid1(VALU_DEP_1)
	v_subrev_nc_u32_e32 v30, 28, v27
	v_lshlrev_b64_e32 v[32:33], v30, v[2:3]
	s_delay_alu instid0(VALU_DEP_1)
	v_dual_sub_nc_u32 v30, 29, v27 :: v_dual_bitop2_b32 v27, 7, v32 bitop3:0x40
; %bb.86:                               ;   in Loop: Header=BB247_9 Depth=1
	s_or_b32 exec_lo, exec_lo, s31
	s_delay_alu instid0(VALU_DEP_1) | instskip(NEXT) | instid1(VALU_DEP_2)
	v_dual_lshlrev_b32 v2, 8, v29 :: v_dual_lshlrev_b32 v27, 23, v27
	v_lshl_add_u32 v29, v30, 10, 0x2000
	s_delay_alu instid0(VALU_DEP_1) | instskip(NEXT) | instid1(VALU_DEP_1)
	v_and_or_b32 v2, 0x8000, v2, v29
	v_lshl_or_b32 v27, v2, 16, v27
.LBB247_87:                             ;   in Loop: Header=BB247_9 Depth=1
	s_or_b32 exec_lo, exec_lo, s30
.LBB247_88:                             ;   in Loop: Header=BB247_9 Depth=1
	s_delay_alu instid0(SALU_CYCLE_1)
	s_or_b32 exec_lo, exec_lo, s29
.LBB247_89:                             ;   in Loop: Header=BB247_9 Depth=1
	s_delay_alu instid0(SALU_CYCLE_1)
	s_or_b32 exec_lo, exec_lo, s28
	global_load_u16 v2, v[8:9], off offset:264
	v_mov_b32_e32 v29, 0
	s_wait_loadcnt 0x0
	v_and_b32_e32 v30, 0xff, v2
	v_and_b32_e32 v2, 0xffff, v2
	s_delay_alu instid0(VALU_DEP_2)
	v_cmp_ne_u16_e64 s4, 0, v30
	v_mov_b32_e32 v30, 0
	s_and_saveexec_b32 s28, s4
	s_cbranch_execz .LBB247_97
; %bb.90:                               ;   in Loop: Header=BB247_9 Depth=1
	v_and_b32_e32 v30, 0xff, v2
	s_delay_alu instid0(VALU_DEP_1)
	v_cmp_ne_u16_e64 s4, 0x80, v30
	v_mov_b32_e32 v30, 0x8000
	s_and_saveexec_b32 s29, s4
	s_cbranch_execz .LBB247_96
; %bb.91:                               ;   in Loop: Header=BB247_9 Depth=1
	v_and_b32_e32 v32, 0x7f, v2
	v_mov_b32_e32 v30, 0x7c01
	s_mov_b32 s30, exec_lo
	s_delay_alu instid0(VALU_DEP_2)
	v_cmpx_ne_u32_e32 0x7f, v32
	s_cbranch_execz .LBB247_95
; %bb.92:                               ;   in Loop: Header=BB247_9 Depth=1
	v_dual_lshrrev_b32 v31, 3, v32 :: v_dual_bitop2_b32 v30, 7, v2 bitop3:0x40
	s_mov_b32 s31, exec_lo
	v_cmpx_gt_u32_e32 8, v32
; %bb.93:                               ;   in Loop: Header=BB247_9 Depth=1
	s_delay_alu instid0(VALU_DEP_2) | instskip(NEXT) | instid1(VALU_DEP_1)
	v_clz_i32_u32_e32 v30, v30
	v_min_u32_e32 v32, 32, v30
	s_delay_alu instid0(VALU_DEP_1) | instskip(NEXT) | instid1(VALU_DEP_1)
	v_subrev_nc_u32_e32 v30, 28, v32
	v_lshlrev_b64_e32 v[30:31], v30, v[2:3]
	s_delay_alu instid0(VALU_DEP_1)
	v_dual_sub_nc_u32 v31, 29, v32 :: v_dual_bitop2_b32 v30, 7, v30 bitop3:0x40
; %bb.94:                               ;   in Loop: Header=BB247_9 Depth=1
	s_or_b32 exec_lo, exec_lo, s31
	v_lshlrev_b32_e32 v32, 8, v2
	s_delay_alu instid0(VALU_DEP_2) | instskip(NEXT) | instid1(VALU_DEP_3)
	v_lshl_add_u32 v31, v31, 10, 0x2000
	v_lshlrev_b32_e32 v30, 7, v30
	s_delay_alu instid0(VALU_DEP_3) | instskip(NEXT) | instid1(VALU_DEP_3)
	v_and_b32_e32 v32, 0x8000, v32
	v_and_b32_e32 v31, 0xfc00, v31
	s_delay_alu instid0(VALU_DEP_1)
	v_or3_b32 v30, v32, v31, v30
.LBB247_95:                             ;   in Loop: Header=BB247_9 Depth=1
	s_or_b32 exec_lo, exec_lo, s30
.LBB247_96:                             ;   in Loop: Header=BB247_9 Depth=1
	s_delay_alu instid0(SALU_CYCLE_1)
	s_or_b32 exec_lo, exec_lo, s29
.LBB247_97:                             ;   in Loop: Header=BB247_9 Depth=1
	s_delay_alu instid0(SALU_CYCLE_1) | instskip(SKIP_2) | instid1(VALU_DEP_1)
	s_or_b32 exec_lo, exec_lo, s28
	v_lshrrev_b16 v2, 8, v2
	s_mov_b32 s28, exec_lo
	v_cmpx_ne_u16_e32 0, v2
	s_cbranch_execz .LBB247_105
; %bb.98:                               ;   in Loop: Header=BB247_9 Depth=1
	v_bfrev_b32_e32 v29, 1
	s_mov_b32 s29, exec_lo
	v_cmpx_ne_u16_e32 0x80, v2
	s_cbranch_execz .LBB247_104
; %bb.99:                               ;   in Loop: Header=BB247_9 Depth=1
	v_and_b32_e32 v31, 0xffff, v2
	v_mov_b32_e32 v29, 0x7c010000
	s_mov_b32 s30, exec_lo
	s_delay_alu instid0(VALU_DEP_2) | instskip(NEXT) | instid1(VALU_DEP_1)
	v_and_b32_e32 v33, 0x7f, v31
	v_cmpx_ne_u32_e32 0x7f, v33
	s_cbranch_execz .LBB247_103
; %bb.100:                              ;   in Loop: Header=BB247_9 Depth=1
	v_dual_lshrrev_b32 v32, 3, v33 :: v_dual_bitop2_b32 v29, 7, v31 bitop3:0x40
	s_mov_b32 s31, exec_lo
	v_cmpx_gt_u32_e32 8, v33
; %bb.101:                              ;   in Loop: Header=BB247_9 Depth=1
	s_delay_alu instid0(VALU_DEP_2) | instskip(NEXT) | instid1(VALU_DEP_1)
	v_clz_i32_u32_e32 v29, v29
	v_min_u32_e32 v29, 32, v29
	s_delay_alu instid0(VALU_DEP_1) | instskip(NEXT) | instid1(VALU_DEP_1)
	v_subrev_nc_u32_e32 v32, 28, v29
	v_lshlrev_b64_e32 v[34:35], v32, v[2:3]
	s_delay_alu instid0(VALU_DEP_1)
	v_dual_sub_nc_u32 v32, 29, v29 :: v_dual_bitop2_b32 v29, 7, v34 bitop3:0x40
; %bb.102:                              ;   in Loop: Header=BB247_9 Depth=1
	s_or_b32 exec_lo, exec_lo, s31
	s_delay_alu instid0(VALU_DEP_1) | instskip(NEXT) | instid1(VALU_DEP_2)
	v_dual_lshlrev_b32 v2, 8, v31 :: v_dual_lshlrev_b32 v29, 23, v29
	v_lshl_add_u32 v31, v32, 10, 0x2000
	s_delay_alu instid0(VALU_DEP_1) | instskip(NEXT) | instid1(VALU_DEP_1)
	v_and_or_b32 v2, 0x8000, v2, v31
	v_lshl_or_b32 v29, v2, 16, v29
.LBB247_103:                            ;   in Loop: Header=BB247_9 Depth=1
	s_or_b32 exec_lo, exec_lo, s30
.LBB247_104:                            ;   in Loop: Header=BB247_9 Depth=1
	s_delay_alu instid0(SALU_CYCLE_1)
	s_or_b32 exec_lo, exec_lo, s29
.LBB247_105:                            ;   in Loop: Header=BB247_9 Depth=1
	s_delay_alu instid0(SALU_CYCLE_1)
	s_or_b32 exec_lo, exec_lo, s28
	global_load_u16 v2, v[8:9], off offset:384
	v_mov_b32_e32 v31, 0
	s_wait_loadcnt 0x0
	v_and_b32_e32 v32, 0xff, v2
	v_and_b32_e32 v2, 0xffff, v2
	s_delay_alu instid0(VALU_DEP_2)
	v_cmp_ne_u16_e64 s4, 0, v32
	v_mov_b32_e32 v32, 0
	s_and_saveexec_b32 s28, s4
	s_cbranch_execz .LBB247_113
; %bb.106:                              ;   in Loop: Header=BB247_9 Depth=1
	v_and_b32_e32 v32, 0xff, v2
	s_delay_alu instid0(VALU_DEP_1)
	v_cmp_ne_u16_e64 s4, 0x80, v32
	v_mov_b32_e32 v32, 0x8000
	s_and_saveexec_b32 s29, s4
	s_cbranch_execz .LBB247_112
; %bb.107:                              ;   in Loop: Header=BB247_9 Depth=1
	v_and_b32_e32 v34, 0x7f, v2
	v_mov_b32_e32 v32, 0x7c01
	s_mov_b32 s30, exec_lo
	s_delay_alu instid0(VALU_DEP_2)
	v_cmpx_ne_u32_e32 0x7f, v34
	s_cbranch_execz .LBB247_111
; %bb.108:                              ;   in Loop: Header=BB247_9 Depth=1
	v_and_b32_e32 v32, 7, v2
	v_lshrrev_b32_e32 v33, 3, v34
	s_mov_b32 s31, exec_lo
	v_cmpx_gt_u32_e32 8, v34
; %bb.109:                              ;   in Loop: Header=BB247_9 Depth=1
	s_delay_alu instid0(VALU_DEP_3) | instskip(NEXT) | instid1(VALU_DEP_1)
	v_clz_i32_u32_e32 v32, v32
	v_min_u32_e32 v34, 32, v32
	s_delay_alu instid0(VALU_DEP_1) | instskip(NEXT) | instid1(VALU_DEP_1)
	v_subrev_nc_u32_e32 v32, 28, v34
	v_lshlrev_b64_e32 v[32:33], v32, v[2:3]
	s_delay_alu instid0(VALU_DEP_1)
	v_dual_sub_nc_u32 v33, 29, v34 :: v_dual_bitop2_b32 v32, 7, v32 bitop3:0x40
; %bb.110:                              ;   in Loop: Header=BB247_9 Depth=1
	s_or_b32 exec_lo, exec_lo, s31
	s_delay_alu instid0(VALU_DEP_1) | instskip(NEXT) | instid1(VALU_DEP_2)
	v_dual_lshlrev_b32 v34, 8, v2 :: v_dual_lshlrev_b32 v32, 7, v32
	v_lshl_add_u32 v33, v33, 10, 0x2000
	s_delay_alu instid0(VALU_DEP_2) | instskip(NEXT) | instid1(VALU_DEP_2)
	v_and_b32_e32 v34, 0x8000, v34
	v_and_b32_e32 v33, 0xfc00, v33
	s_delay_alu instid0(VALU_DEP_1)
	v_or3_b32 v32, v34, v33, v32
.LBB247_111:                            ;   in Loop: Header=BB247_9 Depth=1
	s_or_b32 exec_lo, exec_lo, s30
.LBB247_112:                            ;   in Loop: Header=BB247_9 Depth=1
	s_delay_alu instid0(SALU_CYCLE_1)
	s_or_b32 exec_lo, exec_lo, s29
.LBB247_113:                            ;   in Loop: Header=BB247_9 Depth=1
	s_delay_alu instid0(SALU_CYCLE_1) | instskip(SKIP_2) | instid1(VALU_DEP_1)
	s_or_b32 exec_lo, exec_lo, s28
	v_lshrrev_b16 v2, 8, v2
	s_mov_b32 s28, exec_lo
	v_cmpx_ne_u16_e32 0, v2
	s_cbranch_execz .LBB247_121
; %bb.114:                              ;   in Loop: Header=BB247_9 Depth=1
	v_bfrev_b32_e32 v31, 1
	s_mov_b32 s29, exec_lo
	v_cmpx_ne_u16_e32 0x80, v2
	s_cbranch_execz .LBB247_120
; %bb.115:                              ;   in Loop: Header=BB247_9 Depth=1
	v_and_b32_e32 v33, 0xffff, v2
	v_mov_b32_e32 v31, 0x7c010000
	s_mov_b32 s30, exec_lo
	s_delay_alu instid0(VALU_DEP_2) | instskip(NEXT) | instid1(VALU_DEP_1)
	v_and_b32_e32 v35, 0x7f, v33
	v_cmpx_ne_u32_e32 0x7f, v35
	s_cbranch_execz .LBB247_119
; %bb.116:                              ;   in Loop: Header=BB247_9 Depth=1
	v_dual_lshrrev_b32 v34, 3, v35 :: v_dual_bitop2_b32 v31, 7, v33 bitop3:0x40
	s_mov_b32 s31, exec_lo
	v_cmpx_gt_u32_e32 8, v35
; %bb.117:                              ;   in Loop: Header=BB247_9 Depth=1
	s_delay_alu instid0(VALU_DEP_2) | instskip(NEXT) | instid1(VALU_DEP_1)
	v_clz_i32_u32_e32 v31, v31
	v_min_u32_e32 v31, 32, v31
	s_delay_alu instid0(VALU_DEP_1) | instskip(NEXT) | instid1(VALU_DEP_1)
	v_subrev_nc_u32_e32 v34, 28, v31
	v_lshlrev_b64_e32 v[36:37], v34, v[2:3]
	s_delay_alu instid0(VALU_DEP_1)
	v_dual_sub_nc_u32 v34, 29, v31 :: v_dual_bitop2_b32 v31, 7, v36 bitop3:0x40
; %bb.118:                              ;   in Loop: Header=BB247_9 Depth=1
	s_or_b32 exec_lo, exec_lo, s31
	s_delay_alu instid0(VALU_DEP_1) | instskip(NEXT) | instid1(VALU_DEP_2)
	v_dual_lshlrev_b32 v2, 8, v33 :: v_dual_lshlrev_b32 v31, 23, v31
	v_lshl_add_u32 v33, v34, 10, 0x2000
	s_delay_alu instid0(VALU_DEP_1) | instskip(NEXT) | instid1(VALU_DEP_1)
	v_and_or_b32 v2, 0x8000, v2, v33
	v_lshl_or_b32 v31, v2, 16, v31
.LBB247_119:                            ;   in Loop: Header=BB247_9 Depth=1
	s_or_b32 exec_lo, exec_lo, s30
.LBB247_120:                            ;   in Loop: Header=BB247_9 Depth=1
	s_delay_alu instid0(SALU_CYCLE_1)
	s_or_b32 exec_lo, exec_lo, s29
.LBB247_121:                            ;   in Loop: Header=BB247_9 Depth=1
	s_delay_alu instid0(SALU_CYCLE_1)
	s_or_b32 exec_lo, exec_lo, s28
	global_load_u16 v2, v[8:9], off offset:392
	v_mov_b32_e32 v33, 0
	s_wait_loadcnt 0x0
	v_and_b32_e32 v34, 0xff, v2
	v_and_b32_e32 v2, 0xffff, v2
	s_delay_alu instid0(VALU_DEP_2)
	v_cmp_ne_u16_e64 s4, 0, v34
	v_mov_b32_e32 v34, 0
	s_and_saveexec_b32 s28, s4
	s_cbranch_execz .LBB247_129
; %bb.122:                              ;   in Loop: Header=BB247_9 Depth=1
	v_and_b32_e32 v34, 0xff, v2
	s_delay_alu instid0(VALU_DEP_1)
	v_cmp_ne_u16_e64 s4, 0x80, v34
	v_mov_b32_e32 v34, 0x8000
	s_and_saveexec_b32 s29, s4
	s_cbranch_execz .LBB247_128
; %bb.123:                              ;   in Loop: Header=BB247_9 Depth=1
	v_and_b32_e32 v36, 0x7f, v2
	v_mov_b32_e32 v34, 0x7c01
	s_mov_b32 s30, exec_lo
	s_delay_alu instid0(VALU_DEP_2)
	v_cmpx_ne_u32_e32 0x7f, v36
	s_cbranch_execz .LBB247_127
; %bb.124:                              ;   in Loop: Header=BB247_9 Depth=1
	v_dual_lshrrev_b32 v35, 3, v36 :: v_dual_bitop2_b32 v34, 7, v2 bitop3:0x40
	s_mov_b32 s31, exec_lo
	v_cmpx_gt_u32_e32 8, v36
; %bb.125:                              ;   in Loop: Header=BB247_9 Depth=1
	s_delay_alu instid0(VALU_DEP_2) | instskip(NEXT) | instid1(VALU_DEP_1)
	v_clz_i32_u32_e32 v34, v34
	v_min_u32_e32 v36, 32, v34
	s_delay_alu instid0(VALU_DEP_1) | instskip(NEXT) | instid1(VALU_DEP_1)
	v_subrev_nc_u32_e32 v34, 28, v36
	v_lshlrev_b64_e32 v[34:35], v34, v[2:3]
	s_delay_alu instid0(VALU_DEP_1)
	v_dual_sub_nc_u32 v35, 29, v36 :: v_dual_bitop2_b32 v34, 7, v34 bitop3:0x40
; %bb.126:                              ;   in Loop: Header=BB247_9 Depth=1
	s_or_b32 exec_lo, exec_lo, s31
	v_lshlrev_b32_e32 v36, 8, v2
	s_delay_alu instid0(VALU_DEP_2) | instskip(NEXT) | instid1(VALU_DEP_3)
	v_lshl_add_u32 v35, v35, 10, 0x2000
	v_lshlrev_b32_e32 v34, 7, v34
	s_delay_alu instid0(VALU_DEP_3) | instskip(NEXT) | instid1(VALU_DEP_3)
	v_and_b32_e32 v36, 0x8000, v36
	v_and_b32_e32 v35, 0xfc00, v35
	s_delay_alu instid0(VALU_DEP_1)
	v_or3_b32 v34, v36, v35, v34
.LBB247_127:                            ;   in Loop: Header=BB247_9 Depth=1
	s_or_b32 exec_lo, exec_lo, s30
.LBB247_128:                            ;   in Loop: Header=BB247_9 Depth=1
	s_delay_alu instid0(SALU_CYCLE_1)
	s_or_b32 exec_lo, exec_lo, s29
.LBB247_129:                            ;   in Loop: Header=BB247_9 Depth=1
	s_delay_alu instid0(SALU_CYCLE_1) | instskip(SKIP_2) | instid1(VALU_DEP_1)
	s_or_b32 exec_lo, exec_lo, s28
	v_lshrrev_b16 v2, 8, v2
	s_mov_b32 s28, exec_lo
	v_cmpx_ne_u16_e32 0, v2
	s_cbranch_execz .LBB247_137
; %bb.130:                              ;   in Loop: Header=BB247_9 Depth=1
	v_bfrev_b32_e32 v33, 1
	s_mov_b32 s29, exec_lo
	v_cmpx_ne_u16_e32 0x80, v2
	s_cbranch_execz .LBB247_136
; %bb.131:                              ;   in Loop: Header=BB247_9 Depth=1
	v_and_b32_e32 v35, 0xffff, v2
	v_mov_b32_e32 v33, 0x7c010000
	s_mov_b32 s30, exec_lo
	s_delay_alu instid0(VALU_DEP_2) | instskip(NEXT) | instid1(VALU_DEP_1)
	v_and_b32_e32 v37, 0x7f, v35
	v_cmpx_ne_u32_e32 0x7f, v37
	s_cbranch_execz .LBB247_135
; %bb.132:                              ;   in Loop: Header=BB247_9 Depth=1
	v_dual_lshrrev_b32 v36, 3, v37 :: v_dual_bitop2_b32 v33, 7, v35 bitop3:0x40
	s_mov_b32 s31, exec_lo
	v_cmpx_gt_u32_e32 8, v37
; %bb.133:                              ;   in Loop: Header=BB247_9 Depth=1
	s_delay_alu instid0(VALU_DEP_2) | instskip(NEXT) | instid1(VALU_DEP_1)
	v_clz_i32_u32_e32 v33, v33
	v_min_u32_e32 v33, 32, v33
	s_delay_alu instid0(VALU_DEP_1) | instskip(NEXT) | instid1(VALU_DEP_1)
	v_subrev_nc_u32_e32 v36, 28, v33
	v_lshlrev_b64_e32 v[38:39], v36, v[2:3]
	s_delay_alu instid0(VALU_DEP_1)
	v_dual_sub_nc_u32 v36, 29, v33 :: v_dual_bitop2_b32 v33, 7, v38 bitop3:0x40
; %bb.134:                              ;   in Loop: Header=BB247_9 Depth=1
	s_or_b32 exec_lo, exec_lo, s31
	s_delay_alu instid0(VALU_DEP_1) | instskip(NEXT) | instid1(VALU_DEP_2)
	v_dual_lshlrev_b32 v2, 8, v35 :: v_dual_lshlrev_b32 v33, 23, v33
	v_lshl_add_u32 v35, v36, 10, 0x2000
	s_delay_alu instid0(VALU_DEP_1) | instskip(NEXT) | instid1(VALU_DEP_1)
	v_and_or_b32 v2, 0x8000, v2, v35
	v_lshl_or_b32 v33, v2, 16, v33
.LBB247_135:                            ;   in Loop: Header=BB247_9 Depth=1
	s_or_b32 exec_lo, exec_lo, s30
.LBB247_136:                            ;   in Loop: Header=BB247_9 Depth=1
	s_delay_alu instid0(SALU_CYCLE_1)
	s_or_b32 exec_lo, exec_lo, s29
.LBB247_137:                            ;   in Loop: Header=BB247_9 Depth=1
	s_delay_alu instid0(SALU_CYCLE_1)
	s_or_b32 exec_lo, exec_lo, s28
	global_load_u16 v2, v[8:9], off offset:512
	v_mov_b32_e32 v35, 0
	s_wait_loadcnt 0x0
	v_and_b32_e32 v36, 0xff, v2
	v_and_b32_e32 v2, 0xffff, v2
	s_delay_alu instid0(VALU_DEP_2)
	v_cmp_ne_u16_e64 s4, 0, v36
	v_mov_b32_e32 v36, 0
	s_and_saveexec_b32 s28, s4
	s_cbranch_execz .LBB247_145
; %bb.138:                              ;   in Loop: Header=BB247_9 Depth=1
	v_and_b32_e32 v36, 0xff, v2
	s_delay_alu instid0(VALU_DEP_1)
	v_cmp_ne_u16_e64 s4, 0x80, v36
	v_mov_b32_e32 v36, 0x8000
	s_and_saveexec_b32 s29, s4
	s_cbranch_execz .LBB247_144
; %bb.139:                              ;   in Loop: Header=BB247_9 Depth=1
	v_and_b32_e32 v38, 0x7f, v2
	v_mov_b32_e32 v36, 0x7c01
	s_mov_b32 s30, exec_lo
	s_delay_alu instid0(VALU_DEP_2)
	v_cmpx_ne_u32_e32 0x7f, v38
	s_cbranch_execz .LBB247_143
; %bb.140:                              ;   in Loop: Header=BB247_9 Depth=1
	v_and_b32_e32 v36, 7, v2
	v_lshrrev_b32_e32 v37, 3, v38
	s_mov_b32 s31, exec_lo
	v_cmpx_gt_u32_e32 8, v38
; %bb.141:                              ;   in Loop: Header=BB247_9 Depth=1
	s_delay_alu instid0(VALU_DEP_3) | instskip(NEXT) | instid1(VALU_DEP_1)
	v_clz_i32_u32_e32 v36, v36
	v_min_u32_e32 v38, 32, v36
	s_delay_alu instid0(VALU_DEP_1) | instskip(NEXT) | instid1(VALU_DEP_1)
	v_subrev_nc_u32_e32 v36, 28, v38
	v_lshlrev_b64_e32 v[36:37], v36, v[2:3]
	s_delay_alu instid0(VALU_DEP_1)
	v_dual_sub_nc_u32 v37, 29, v38 :: v_dual_bitop2_b32 v36, 7, v36 bitop3:0x40
; %bb.142:                              ;   in Loop: Header=BB247_9 Depth=1
	s_or_b32 exec_lo, exec_lo, s31
	s_delay_alu instid0(VALU_DEP_1) | instskip(NEXT) | instid1(VALU_DEP_2)
	v_dual_lshlrev_b32 v38, 8, v2 :: v_dual_lshlrev_b32 v36, 7, v36
	v_lshl_add_u32 v37, v37, 10, 0x2000
	s_delay_alu instid0(VALU_DEP_2) | instskip(NEXT) | instid1(VALU_DEP_2)
	v_and_b32_e32 v38, 0x8000, v38
	v_and_b32_e32 v37, 0xfc00, v37
	s_delay_alu instid0(VALU_DEP_1)
	v_or3_b32 v36, v38, v37, v36
.LBB247_143:                            ;   in Loop: Header=BB247_9 Depth=1
	s_or_b32 exec_lo, exec_lo, s30
.LBB247_144:                            ;   in Loop: Header=BB247_9 Depth=1
	s_delay_alu instid0(SALU_CYCLE_1)
	s_or_b32 exec_lo, exec_lo, s29
.LBB247_145:                            ;   in Loop: Header=BB247_9 Depth=1
	s_delay_alu instid0(SALU_CYCLE_1) | instskip(SKIP_2) | instid1(VALU_DEP_1)
	s_or_b32 exec_lo, exec_lo, s28
	v_lshrrev_b16 v2, 8, v2
	s_mov_b32 s28, exec_lo
	v_cmpx_ne_u16_e32 0, v2
	s_cbranch_execz .LBB247_153
; %bb.146:                              ;   in Loop: Header=BB247_9 Depth=1
	v_bfrev_b32_e32 v35, 1
	s_mov_b32 s29, exec_lo
	v_cmpx_ne_u16_e32 0x80, v2
	s_cbranch_execz .LBB247_152
; %bb.147:                              ;   in Loop: Header=BB247_9 Depth=1
	v_and_b32_e32 v37, 0xffff, v2
	v_mov_b32_e32 v35, 0x7c010000
	s_mov_b32 s30, exec_lo
	s_delay_alu instid0(VALU_DEP_2) | instskip(NEXT) | instid1(VALU_DEP_1)
	v_and_b32_e32 v39, 0x7f, v37
	v_cmpx_ne_u32_e32 0x7f, v39
	s_cbranch_execz .LBB247_151
; %bb.148:                              ;   in Loop: Header=BB247_9 Depth=1
	v_dual_lshrrev_b32 v38, 3, v39 :: v_dual_bitop2_b32 v35, 7, v37 bitop3:0x40
	s_mov_b32 s31, exec_lo
	v_cmpx_gt_u32_e32 8, v39
; %bb.149:                              ;   in Loop: Header=BB247_9 Depth=1
	s_delay_alu instid0(VALU_DEP_2) | instskip(NEXT) | instid1(VALU_DEP_1)
	v_clz_i32_u32_e32 v35, v35
	v_min_u32_e32 v35, 32, v35
	s_delay_alu instid0(VALU_DEP_1) | instskip(NEXT) | instid1(VALU_DEP_1)
	v_subrev_nc_u32_e32 v38, 28, v35
	v_lshlrev_b64_e32 v[40:41], v38, v[2:3]
	s_delay_alu instid0(VALU_DEP_1)
	v_dual_sub_nc_u32 v38, 29, v35 :: v_dual_bitop2_b32 v35, 7, v40 bitop3:0x40
; %bb.150:                              ;   in Loop: Header=BB247_9 Depth=1
	s_or_b32 exec_lo, exec_lo, s31
	s_delay_alu instid0(VALU_DEP_1) | instskip(NEXT) | instid1(VALU_DEP_2)
	v_dual_lshlrev_b32 v2, 8, v37 :: v_dual_lshlrev_b32 v35, 23, v35
	v_lshl_add_u32 v37, v38, 10, 0x2000
	s_delay_alu instid0(VALU_DEP_1) | instskip(NEXT) | instid1(VALU_DEP_1)
	v_and_or_b32 v2, 0x8000, v2, v37
	v_lshl_or_b32 v35, v2, 16, v35
.LBB247_151:                            ;   in Loop: Header=BB247_9 Depth=1
	s_or_b32 exec_lo, exec_lo, s30
.LBB247_152:                            ;   in Loop: Header=BB247_9 Depth=1
	s_delay_alu instid0(SALU_CYCLE_1)
	s_or_b32 exec_lo, exec_lo, s29
.LBB247_153:                            ;   in Loop: Header=BB247_9 Depth=1
	s_delay_alu instid0(SALU_CYCLE_1)
	s_or_b32 exec_lo, exec_lo, s28
	global_load_u16 v2, v[8:9], off offset:520
	v_mov_b32_e32 v37, 0
	s_wait_loadcnt 0x0
	v_and_b32_e32 v38, 0xff, v2
	v_and_b32_e32 v2, 0xffff, v2
	s_delay_alu instid0(VALU_DEP_2)
	v_cmp_ne_u16_e64 s4, 0, v38
	v_mov_b32_e32 v38, 0
	s_and_saveexec_b32 s28, s4
	s_cbranch_execz .LBB247_161
; %bb.154:                              ;   in Loop: Header=BB247_9 Depth=1
	v_and_b32_e32 v38, 0xff, v2
	s_delay_alu instid0(VALU_DEP_1)
	v_cmp_ne_u16_e64 s4, 0x80, v38
	v_mov_b32_e32 v38, 0x8000
	s_and_saveexec_b32 s29, s4
	s_cbranch_execz .LBB247_160
; %bb.155:                              ;   in Loop: Header=BB247_9 Depth=1
	v_and_b32_e32 v40, 0x7f, v2
	v_mov_b32_e32 v38, 0x7c01
	s_mov_b32 s30, exec_lo
	s_delay_alu instid0(VALU_DEP_2)
	v_cmpx_ne_u32_e32 0x7f, v40
	s_cbranch_execz .LBB247_159
; %bb.156:                              ;   in Loop: Header=BB247_9 Depth=1
	v_dual_lshrrev_b32 v39, 3, v40 :: v_dual_bitop2_b32 v38, 7, v2 bitop3:0x40
	s_mov_b32 s31, exec_lo
	v_cmpx_gt_u32_e32 8, v40
; %bb.157:                              ;   in Loop: Header=BB247_9 Depth=1
	s_delay_alu instid0(VALU_DEP_2) | instskip(NEXT) | instid1(VALU_DEP_1)
	v_clz_i32_u32_e32 v38, v38
	v_min_u32_e32 v40, 32, v38
	s_delay_alu instid0(VALU_DEP_1) | instskip(NEXT) | instid1(VALU_DEP_1)
	v_subrev_nc_u32_e32 v38, 28, v40
	v_lshlrev_b64_e32 v[38:39], v38, v[2:3]
	s_delay_alu instid0(VALU_DEP_1)
	v_dual_sub_nc_u32 v39, 29, v40 :: v_dual_bitop2_b32 v38, 7, v38 bitop3:0x40
; %bb.158:                              ;   in Loop: Header=BB247_9 Depth=1
	s_or_b32 exec_lo, exec_lo, s31
	v_lshlrev_b32_e32 v40, 8, v2
	s_delay_alu instid0(VALU_DEP_2) | instskip(NEXT) | instid1(VALU_DEP_3)
	v_lshl_add_u32 v39, v39, 10, 0x2000
	v_lshlrev_b32_e32 v38, 7, v38
	s_delay_alu instid0(VALU_DEP_3) | instskip(NEXT) | instid1(VALU_DEP_3)
	v_and_b32_e32 v40, 0x8000, v40
	v_and_b32_e32 v39, 0xfc00, v39
	s_delay_alu instid0(VALU_DEP_1)
	v_or3_b32 v38, v40, v39, v38
.LBB247_159:                            ;   in Loop: Header=BB247_9 Depth=1
	s_or_b32 exec_lo, exec_lo, s30
.LBB247_160:                            ;   in Loop: Header=BB247_9 Depth=1
	s_delay_alu instid0(SALU_CYCLE_1)
	s_or_b32 exec_lo, exec_lo, s29
.LBB247_161:                            ;   in Loop: Header=BB247_9 Depth=1
	s_delay_alu instid0(SALU_CYCLE_1) | instskip(SKIP_2) | instid1(VALU_DEP_1)
	s_or_b32 exec_lo, exec_lo, s28
	v_lshrrev_b16 v2, 8, v2
	s_mov_b32 s28, exec_lo
	v_cmpx_ne_u16_e32 0, v2
	s_cbranch_execz .LBB247_169
; %bb.162:                              ;   in Loop: Header=BB247_9 Depth=1
	v_bfrev_b32_e32 v37, 1
	s_mov_b32 s29, exec_lo
	v_cmpx_ne_u16_e32 0x80, v2
	s_cbranch_execz .LBB247_168
; %bb.163:                              ;   in Loop: Header=BB247_9 Depth=1
	v_and_b32_e32 v39, 0xffff, v2
	v_mov_b32_e32 v37, 0x7c010000
	s_mov_b32 s30, exec_lo
	s_delay_alu instid0(VALU_DEP_2) | instskip(NEXT) | instid1(VALU_DEP_1)
	v_and_b32_e32 v41, 0x7f, v39
	v_cmpx_ne_u32_e32 0x7f, v41
	s_cbranch_execz .LBB247_167
; %bb.164:                              ;   in Loop: Header=BB247_9 Depth=1
	v_dual_lshrrev_b32 v40, 3, v41 :: v_dual_bitop2_b32 v37, 7, v39 bitop3:0x40
	s_mov_b32 s31, exec_lo
	v_cmpx_gt_u32_e32 8, v41
; %bb.165:                              ;   in Loop: Header=BB247_9 Depth=1
	s_delay_alu instid0(VALU_DEP_2) | instskip(NEXT) | instid1(VALU_DEP_1)
	v_clz_i32_u32_e32 v37, v37
	v_min_u32_e32 v37, 32, v37
	s_delay_alu instid0(VALU_DEP_1) | instskip(NEXT) | instid1(VALU_DEP_1)
	v_subrev_nc_u32_e32 v40, 28, v37
	v_lshlrev_b64_e32 v[42:43], v40, v[2:3]
	s_delay_alu instid0(VALU_DEP_1)
	v_dual_sub_nc_u32 v40, 29, v37 :: v_dual_bitop2_b32 v37, 7, v42 bitop3:0x40
; %bb.166:                              ;   in Loop: Header=BB247_9 Depth=1
	s_or_b32 exec_lo, exec_lo, s31
	s_delay_alu instid0(VALU_DEP_1) | instskip(NEXT) | instid1(VALU_DEP_2)
	v_dual_lshlrev_b32 v2, 8, v39 :: v_dual_lshlrev_b32 v37, 23, v37
	v_lshl_add_u32 v39, v40, 10, 0x2000
	s_delay_alu instid0(VALU_DEP_1) | instskip(NEXT) | instid1(VALU_DEP_1)
	v_and_or_b32 v2, 0x8000, v2, v39
	v_lshl_or_b32 v37, v2, 16, v37
.LBB247_167:                            ;   in Loop: Header=BB247_9 Depth=1
	s_or_b32 exec_lo, exec_lo, s30
.LBB247_168:                            ;   in Loop: Header=BB247_9 Depth=1
	s_delay_alu instid0(SALU_CYCLE_1)
	s_or_b32 exec_lo, exec_lo, s29
.LBB247_169:                            ;   in Loop: Header=BB247_9 Depth=1
	s_delay_alu instid0(SALU_CYCLE_1)
	s_or_b32 exec_lo, exec_lo, s28
	global_load_u16 v2, v[8:9], off offset:640
	v_mov_b32_e32 v39, 0
	s_wait_loadcnt 0x0
	v_and_b32_e32 v40, 0xff, v2
	v_and_b32_e32 v2, 0xffff, v2
	s_delay_alu instid0(VALU_DEP_2)
	v_cmp_ne_u16_e64 s4, 0, v40
	v_mov_b32_e32 v40, 0
	s_and_saveexec_b32 s28, s4
	s_cbranch_execz .LBB247_177
; %bb.170:                              ;   in Loop: Header=BB247_9 Depth=1
	v_and_b32_e32 v40, 0xff, v2
	s_delay_alu instid0(VALU_DEP_1)
	v_cmp_ne_u16_e64 s4, 0x80, v40
	v_mov_b32_e32 v40, 0x8000
	s_and_saveexec_b32 s29, s4
	s_cbranch_execz .LBB247_176
; %bb.171:                              ;   in Loop: Header=BB247_9 Depth=1
	v_and_b32_e32 v42, 0x7f, v2
	v_mov_b32_e32 v40, 0x7c01
	s_mov_b32 s30, exec_lo
	s_delay_alu instid0(VALU_DEP_2)
	v_cmpx_ne_u32_e32 0x7f, v42
	s_cbranch_execz .LBB247_175
; %bb.172:                              ;   in Loop: Header=BB247_9 Depth=1
	v_and_b32_e32 v40, 7, v2
	v_lshrrev_b32_e32 v41, 3, v42
	s_mov_b32 s31, exec_lo
	v_cmpx_gt_u32_e32 8, v42
; %bb.173:                              ;   in Loop: Header=BB247_9 Depth=1
	s_delay_alu instid0(VALU_DEP_3) | instskip(NEXT) | instid1(VALU_DEP_1)
	v_clz_i32_u32_e32 v40, v40
	v_min_u32_e32 v42, 32, v40
	s_delay_alu instid0(VALU_DEP_1) | instskip(NEXT) | instid1(VALU_DEP_1)
	v_subrev_nc_u32_e32 v40, 28, v42
	v_lshlrev_b64_e32 v[40:41], v40, v[2:3]
	s_delay_alu instid0(VALU_DEP_1)
	v_dual_sub_nc_u32 v41, 29, v42 :: v_dual_bitop2_b32 v40, 7, v40 bitop3:0x40
; %bb.174:                              ;   in Loop: Header=BB247_9 Depth=1
	s_or_b32 exec_lo, exec_lo, s31
	s_delay_alu instid0(VALU_DEP_1) | instskip(NEXT) | instid1(VALU_DEP_2)
	v_dual_lshlrev_b32 v42, 8, v2 :: v_dual_lshlrev_b32 v40, 7, v40
	v_lshl_add_u32 v41, v41, 10, 0x2000
	s_delay_alu instid0(VALU_DEP_2) | instskip(NEXT) | instid1(VALU_DEP_2)
	v_and_b32_e32 v42, 0x8000, v42
	v_and_b32_e32 v41, 0xfc00, v41
	s_delay_alu instid0(VALU_DEP_1)
	v_or3_b32 v40, v42, v41, v40
.LBB247_175:                            ;   in Loop: Header=BB247_9 Depth=1
	s_or_b32 exec_lo, exec_lo, s30
.LBB247_176:                            ;   in Loop: Header=BB247_9 Depth=1
	s_delay_alu instid0(SALU_CYCLE_1)
	s_or_b32 exec_lo, exec_lo, s29
.LBB247_177:                            ;   in Loop: Header=BB247_9 Depth=1
	s_delay_alu instid0(SALU_CYCLE_1) | instskip(SKIP_2) | instid1(VALU_DEP_1)
	s_or_b32 exec_lo, exec_lo, s28
	v_lshrrev_b16 v2, 8, v2
	s_mov_b32 s28, exec_lo
	v_cmpx_ne_u16_e32 0, v2
	s_cbranch_execz .LBB247_185
; %bb.178:                              ;   in Loop: Header=BB247_9 Depth=1
	v_bfrev_b32_e32 v39, 1
	s_mov_b32 s29, exec_lo
	v_cmpx_ne_u16_e32 0x80, v2
	s_cbranch_execz .LBB247_184
; %bb.179:                              ;   in Loop: Header=BB247_9 Depth=1
	v_and_b32_e32 v41, 0xffff, v2
	v_mov_b32_e32 v39, 0x7c010000
	s_mov_b32 s30, exec_lo
	s_delay_alu instid0(VALU_DEP_2) | instskip(NEXT) | instid1(VALU_DEP_1)
	v_and_b32_e32 v43, 0x7f, v41
	v_cmpx_ne_u32_e32 0x7f, v43
	s_cbranch_execz .LBB247_183
; %bb.180:                              ;   in Loop: Header=BB247_9 Depth=1
	v_dual_lshrrev_b32 v42, 3, v43 :: v_dual_bitop2_b32 v39, 7, v41 bitop3:0x40
	s_mov_b32 s31, exec_lo
	v_cmpx_gt_u32_e32 8, v43
; %bb.181:                              ;   in Loop: Header=BB247_9 Depth=1
	s_delay_alu instid0(VALU_DEP_2) | instskip(NEXT) | instid1(VALU_DEP_1)
	v_clz_i32_u32_e32 v39, v39
	v_min_u32_e32 v39, 32, v39
	s_delay_alu instid0(VALU_DEP_1) | instskip(NEXT) | instid1(VALU_DEP_1)
	v_subrev_nc_u32_e32 v42, 28, v39
	v_lshlrev_b64_e32 v[44:45], v42, v[2:3]
	s_delay_alu instid0(VALU_DEP_1)
	v_dual_sub_nc_u32 v42, 29, v39 :: v_dual_bitop2_b32 v39, 7, v44 bitop3:0x40
; %bb.182:                              ;   in Loop: Header=BB247_9 Depth=1
	s_or_b32 exec_lo, exec_lo, s31
	s_delay_alu instid0(VALU_DEP_1) | instskip(NEXT) | instid1(VALU_DEP_2)
	v_dual_lshlrev_b32 v2, 8, v41 :: v_dual_lshlrev_b32 v39, 23, v39
	v_lshl_add_u32 v41, v42, 10, 0x2000
	s_delay_alu instid0(VALU_DEP_1) | instskip(NEXT) | instid1(VALU_DEP_1)
	v_and_or_b32 v2, 0x8000, v2, v41
	v_lshl_or_b32 v39, v2, 16, v39
.LBB247_183:                            ;   in Loop: Header=BB247_9 Depth=1
	s_or_b32 exec_lo, exec_lo, s30
.LBB247_184:                            ;   in Loop: Header=BB247_9 Depth=1
	s_delay_alu instid0(SALU_CYCLE_1)
	s_or_b32 exec_lo, exec_lo, s29
.LBB247_185:                            ;   in Loop: Header=BB247_9 Depth=1
	s_delay_alu instid0(SALU_CYCLE_1)
	s_or_b32 exec_lo, exec_lo, s28
	global_load_u16 v2, v[8:9], off offset:648
	v_mov_b32_e32 v41, 0
	s_wait_loadcnt 0x0
	v_and_b32_e32 v42, 0xff, v2
	v_and_b32_e32 v2, 0xffff, v2
	s_delay_alu instid0(VALU_DEP_2)
	v_cmp_ne_u16_e64 s4, 0, v42
	v_mov_b32_e32 v42, 0
	s_and_saveexec_b32 s28, s4
	s_cbranch_execz .LBB247_193
; %bb.186:                              ;   in Loop: Header=BB247_9 Depth=1
	v_and_b32_e32 v42, 0xff, v2
	s_delay_alu instid0(VALU_DEP_1)
	v_cmp_ne_u16_e64 s4, 0x80, v42
	v_mov_b32_e32 v42, 0x8000
	s_and_saveexec_b32 s29, s4
	s_cbranch_execz .LBB247_192
; %bb.187:                              ;   in Loop: Header=BB247_9 Depth=1
	v_and_b32_e32 v44, 0x7f, v2
	v_mov_b32_e32 v42, 0x7c01
	s_mov_b32 s30, exec_lo
	s_delay_alu instid0(VALU_DEP_2)
	v_cmpx_ne_u32_e32 0x7f, v44
	s_cbranch_execz .LBB247_191
; %bb.188:                              ;   in Loop: Header=BB247_9 Depth=1
	v_dual_lshrrev_b32 v43, 3, v44 :: v_dual_bitop2_b32 v42, 7, v2 bitop3:0x40
	s_mov_b32 s31, exec_lo
	v_cmpx_gt_u32_e32 8, v44
; %bb.189:                              ;   in Loop: Header=BB247_9 Depth=1
	s_delay_alu instid0(VALU_DEP_2) | instskip(NEXT) | instid1(VALU_DEP_1)
	v_clz_i32_u32_e32 v42, v42
	v_min_u32_e32 v44, 32, v42
	s_delay_alu instid0(VALU_DEP_1) | instskip(NEXT) | instid1(VALU_DEP_1)
	v_subrev_nc_u32_e32 v42, 28, v44
	v_lshlrev_b64_e32 v[42:43], v42, v[2:3]
	s_delay_alu instid0(VALU_DEP_1)
	v_dual_sub_nc_u32 v43, 29, v44 :: v_dual_bitop2_b32 v42, 7, v42 bitop3:0x40
; %bb.190:                              ;   in Loop: Header=BB247_9 Depth=1
	s_or_b32 exec_lo, exec_lo, s31
	v_lshlrev_b32_e32 v44, 8, v2
	s_delay_alu instid0(VALU_DEP_2) | instskip(NEXT) | instid1(VALU_DEP_3)
	v_lshl_add_u32 v43, v43, 10, 0x2000
	v_lshlrev_b32_e32 v42, 7, v42
	s_delay_alu instid0(VALU_DEP_3) | instskip(NEXT) | instid1(VALU_DEP_3)
	v_and_b32_e32 v44, 0x8000, v44
	v_and_b32_e32 v43, 0xfc00, v43
	s_delay_alu instid0(VALU_DEP_1)
	v_or3_b32 v42, v44, v43, v42
.LBB247_191:                            ;   in Loop: Header=BB247_9 Depth=1
	s_or_b32 exec_lo, exec_lo, s30
.LBB247_192:                            ;   in Loop: Header=BB247_9 Depth=1
	s_delay_alu instid0(SALU_CYCLE_1)
	s_or_b32 exec_lo, exec_lo, s29
.LBB247_193:                            ;   in Loop: Header=BB247_9 Depth=1
	s_delay_alu instid0(SALU_CYCLE_1) | instskip(SKIP_2) | instid1(VALU_DEP_1)
	s_or_b32 exec_lo, exec_lo, s28
	v_lshrrev_b16 v2, 8, v2
	s_mov_b32 s28, exec_lo
	v_cmpx_ne_u16_e32 0, v2
	s_cbranch_execz .LBB247_201
; %bb.194:                              ;   in Loop: Header=BB247_9 Depth=1
	v_bfrev_b32_e32 v41, 1
	s_mov_b32 s29, exec_lo
	v_cmpx_ne_u16_e32 0x80, v2
	s_cbranch_execz .LBB247_200
; %bb.195:                              ;   in Loop: Header=BB247_9 Depth=1
	v_and_b32_e32 v43, 0xffff, v2
	v_mov_b32_e32 v41, 0x7c010000
	s_mov_b32 s30, exec_lo
	s_delay_alu instid0(VALU_DEP_2) | instskip(NEXT) | instid1(VALU_DEP_1)
	v_and_b32_e32 v45, 0x7f, v43
	v_cmpx_ne_u32_e32 0x7f, v45
	s_cbranch_execz .LBB247_199
; %bb.196:                              ;   in Loop: Header=BB247_9 Depth=1
	v_dual_lshrrev_b32 v44, 3, v45 :: v_dual_bitop2_b32 v41, 7, v43 bitop3:0x40
	s_mov_b32 s31, exec_lo
	v_cmpx_gt_u32_e32 8, v45
; %bb.197:                              ;   in Loop: Header=BB247_9 Depth=1
	s_delay_alu instid0(VALU_DEP_2) | instskip(NEXT) | instid1(VALU_DEP_1)
	v_clz_i32_u32_e32 v41, v41
	v_min_u32_e32 v41, 32, v41
	s_delay_alu instid0(VALU_DEP_1) | instskip(NEXT) | instid1(VALU_DEP_1)
	v_subrev_nc_u32_e32 v44, 28, v41
	v_lshlrev_b64_e32 v[46:47], v44, v[2:3]
	s_delay_alu instid0(VALU_DEP_1)
	v_dual_sub_nc_u32 v44, 29, v41 :: v_dual_bitop2_b32 v41, 7, v46 bitop3:0x40
; %bb.198:                              ;   in Loop: Header=BB247_9 Depth=1
	s_or_b32 exec_lo, exec_lo, s31
	s_delay_alu instid0(VALU_DEP_1) | instskip(NEXT) | instid1(VALU_DEP_2)
	v_dual_lshlrev_b32 v2, 8, v43 :: v_dual_lshlrev_b32 v41, 23, v41
	v_lshl_add_u32 v43, v44, 10, 0x2000
	s_delay_alu instid0(VALU_DEP_1) | instskip(NEXT) | instid1(VALU_DEP_1)
	v_and_or_b32 v2, 0x8000, v2, v43
	v_lshl_or_b32 v41, v2, 16, v41
.LBB247_199:                            ;   in Loop: Header=BB247_9 Depth=1
	s_or_b32 exec_lo, exec_lo, s30
.LBB247_200:                            ;   in Loop: Header=BB247_9 Depth=1
	s_delay_alu instid0(SALU_CYCLE_1)
	s_or_b32 exec_lo, exec_lo, s29
.LBB247_201:                            ;   in Loop: Header=BB247_9 Depth=1
	s_delay_alu instid0(SALU_CYCLE_1)
	s_or_b32 exec_lo, exec_lo, s28
	global_load_u16 v2, v[8:9], off offset:768
	v_mov_b32_e32 v43, 0
	s_wait_loadcnt 0x0
	v_and_b32_e32 v44, 0xff, v2
	v_and_b32_e32 v2, 0xffff, v2
	s_delay_alu instid0(VALU_DEP_2)
	v_cmp_ne_u16_e64 s4, 0, v44
	v_mov_b32_e32 v44, 0
	s_and_saveexec_b32 s28, s4
	s_cbranch_execz .LBB247_209
; %bb.202:                              ;   in Loop: Header=BB247_9 Depth=1
	v_and_b32_e32 v44, 0xff, v2
	s_delay_alu instid0(VALU_DEP_1)
	v_cmp_ne_u16_e64 s4, 0x80, v44
	v_mov_b32_e32 v44, 0x8000
	s_and_saveexec_b32 s29, s4
	s_cbranch_execz .LBB247_208
; %bb.203:                              ;   in Loop: Header=BB247_9 Depth=1
	v_and_b32_e32 v46, 0x7f, v2
	v_mov_b32_e32 v44, 0x7c01
	s_mov_b32 s30, exec_lo
	s_delay_alu instid0(VALU_DEP_2)
	v_cmpx_ne_u32_e32 0x7f, v46
	s_cbranch_execz .LBB247_207
; %bb.204:                              ;   in Loop: Header=BB247_9 Depth=1
	v_and_b32_e32 v44, 7, v2
	v_lshrrev_b32_e32 v45, 3, v46
	s_mov_b32 s31, exec_lo
	v_cmpx_gt_u32_e32 8, v46
; %bb.205:                              ;   in Loop: Header=BB247_9 Depth=1
	s_delay_alu instid0(VALU_DEP_3) | instskip(NEXT) | instid1(VALU_DEP_1)
	v_clz_i32_u32_e32 v44, v44
	v_min_u32_e32 v46, 32, v44
	s_delay_alu instid0(VALU_DEP_1) | instskip(NEXT) | instid1(VALU_DEP_1)
	v_subrev_nc_u32_e32 v44, 28, v46
	v_lshlrev_b64_e32 v[44:45], v44, v[2:3]
	s_delay_alu instid0(VALU_DEP_1)
	v_dual_sub_nc_u32 v45, 29, v46 :: v_dual_bitop2_b32 v44, 7, v44 bitop3:0x40
; %bb.206:                              ;   in Loop: Header=BB247_9 Depth=1
	s_or_b32 exec_lo, exec_lo, s31
	s_delay_alu instid0(VALU_DEP_1) | instskip(NEXT) | instid1(VALU_DEP_2)
	v_dual_lshlrev_b32 v46, 8, v2 :: v_dual_lshlrev_b32 v44, 7, v44
	v_lshl_add_u32 v45, v45, 10, 0x2000
	s_delay_alu instid0(VALU_DEP_2) | instskip(NEXT) | instid1(VALU_DEP_2)
	v_and_b32_e32 v46, 0x8000, v46
	v_and_b32_e32 v45, 0xfc00, v45
	s_delay_alu instid0(VALU_DEP_1)
	v_or3_b32 v44, v46, v45, v44
.LBB247_207:                            ;   in Loop: Header=BB247_9 Depth=1
	s_or_b32 exec_lo, exec_lo, s30
.LBB247_208:                            ;   in Loop: Header=BB247_9 Depth=1
	s_delay_alu instid0(SALU_CYCLE_1)
	s_or_b32 exec_lo, exec_lo, s29
.LBB247_209:                            ;   in Loop: Header=BB247_9 Depth=1
	s_delay_alu instid0(SALU_CYCLE_1) | instskip(SKIP_2) | instid1(VALU_DEP_1)
	s_or_b32 exec_lo, exec_lo, s28
	v_lshrrev_b16 v2, 8, v2
	s_mov_b32 s28, exec_lo
	v_cmpx_ne_u16_e32 0, v2
	s_cbranch_execz .LBB247_217
; %bb.210:                              ;   in Loop: Header=BB247_9 Depth=1
	v_bfrev_b32_e32 v43, 1
	s_mov_b32 s29, exec_lo
	v_cmpx_ne_u16_e32 0x80, v2
	s_cbranch_execz .LBB247_216
; %bb.211:                              ;   in Loop: Header=BB247_9 Depth=1
	v_and_b32_e32 v45, 0xffff, v2
	v_mov_b32_e32 v43, 0x7c010000
	s_mov_b32 s30, exec_lo
	s_delay_alu instid0(VALU_DEP_2) | instskip(NEXT) | instid1(VALU_DEP_1)
	v_and_b32_e32 v47, 0x7f, v45
	v_cmpx_ne_u32_e32 0x7f, v47
	s_cbranch_execz .LBB247_215
; %bb.212:                              ;   in Loop: Header=BB247_9 Depth=1
	v_dual_lshrrev_b32 v46, 3, v47 :: v_dual_bitop2_b32 v43, 7, v45 bitop3:0x40
	s_mov_b32 s31, exec_lo
	v_cmpx_gt_u32_e32 8, v47
; %bb.213:                              ;   in Loop: Header=BB247_9 Depth=1
	s_delay_alu instid0(VALU_DEP_2) | instskip(NEXT) | instid1(VALU_DEP_1)
	v_clz_i32_u32_e32 v43, v43
	v_min_u32_e32 v43, 32, v43
	s_delay_alu instid0(VALU_DEP_1) | instskip(NEXT) | instid1(VALU_DEP_1)
	v_subrev_nc_u32_e32 v46, 28, v43
	v_lshlrev_b64_e32 v[48:49], v46, v[2:3]
	s_delay_alu instid0(VALU_DEP_1)
	v_dual_sub_nc_u32 v46, 29, v43 :: v_dual_bitop2_b32 v43, 7, v48 bitop3:0x40
; %bb.214:                              ;   in Loop: Header=BB247_9 Depth=1
	s_or_b32 exec_lo, exec_lo, s31
	s_delay_alu instid0(VALU_DEP_1) | instskip(NEXT) | instid1(VALU_DEP_2)
	v_dual_lshlrev_b32 v2, 8, v45 :: v_dual_lshlrev_b32 v43, 23, v43
	v_lshl_add_u32 v45, v46, 10, 0x2000
	s_delay_alu instid0(VALU_DEP_1) | instskip(NEXT) | instid1(VALU_DEP_1)
	v_and_or_b32 v2, 0x8000, v2, v45
	v_lshl_or_b32 v43, v2, 16, v43
.LBB247_215:                            ;   in Loop: Header=BB247_9 Depth=1
	s_or_b32 exec_lo, exec_lo, s30
.LBB247_216:                            ;   in Loop: Header=BB247_9 Depth=1
	s_delay_alu instid0(SALU_CYCLE_1)
	s_or_b32 exec_lo, exec_lo, s29
.LBB247_217:                            ;   in Loop: Header=BB247_9 Depth=1
	s_delay_alu instid0(SALU_CYCLE_1)
	s_or_b32 exec_lo, exec_lo, s28
	global_load_u16 v2, v[8:9], off offset:776
	s_wait_xcnt 0x0
	v_mov_b32_e32 v8, 0
	s_wait_loadcnt 0x0
	v_and_b32_e32 v9, 0xff, v2
	v_and_b32_e32 v2, 0xffff, v2
	s_delay_alu instid0(VALU_DEP_2)
	v_cmp_ne_u16_e64 s4, 0, v9
	v_mov_b32_e32 v9, 0
	s_and_saveexec_b32 s28, s4
	s_cbranch_execz .LBB247_225
; %bb.218:                              ;   in Loop: Header=BB247_9 Depth=1
	v_and_b32_e32 v9, 0xff, v2
	s_delay_alu instid0(VALU_DEP_1)
	v_cmp_ne_u16_e64 s4, 0x80, v9
	v_mov_b32_e32 v9, 0x8000
	s_and_saveexec_b32 s29, s4
	s_cbranch_execz .LBB247_224
; %bb.219:                              ;   in Loop: Header=BB247_9 Depth=1
	v_and_b32_e32 v46, 0x7f, v2
	v_mov_b32_e32 v9, 0x7c01
	s_mov_b32 s30, exec_lo
	s_delay_alu instid0(VALU_DEP_2)
	v_cmpx_ne_u32_e32 0x7f, v46
	s_cbranch_execz .LBB247_223
; %bb.220:                              ;   in Loop: Header=BB247_9 Depth=1
	v_and_b32_e32 v9, 7, v2
	v_lshrrev_b32_e32 v45, 3, v46
	s_mov_b32 s31, exec_lo
	v_cmpx_gt_u32_e32 8, v46
; %bb.221:                              ;   in Loop: Header=BB247_9 Depth=1
	s_delay_alu instid0(VALU_DEP_3) | instskip(NEXT) | instid1(VALU_DEP_1)
	v_clz_i32_u32_e32 v9, v9
	v_min_u32_e32 v9, 32, v9
	s_delay_alu instid0(VALU_DEP_1) | instskip(NEXT) | instid1(VALU_DEP_1)
	v_subrev_nc_u32_e32 v45, 28, v9
	v_lshlrev_b64_e32 v[46:47], v45, v[2:3]
	s_delay_alu instid0(VALU_DEP_1)
	v_dual_sub_nc_u32 v45, 29, v9 :: v_dual_bitop2_b32 v9, 7, v46 bitop3:0x40
; %bb.222:                              ;   in Loop: Header=BB247_9 Depth=1
	s_or_b32 exec_lo, exec_lo, s31
	s_delay_alu instid0(VALU_DEP_1) | instskip(NEXT) | instid1(VALU_DEP_2)
	v_dual_lshlrev_b32 v46, 8, v2 :: v_dual_lshlrev_b32 v9, 7, v9
	v_lshl_add_u32 v45, v45, 10, 0x2000
	s_delay_alu instid0(VALU_DEP_2) | instskip(NEXT) | instid1(VALU_DEP_2)
	v_and_b32_e32 v46, 0x8000, v46
	v_and_b32_e32 v45, 0xfc00, v45
	s_delay_alu instid0(VALU_DEP_1)
	v_or3_b32 v9, v46, v45, v9
.LBB247_223:                            ;   in Loop: Header=BB247_9 Depth=1
	s_or_b32 exec_lo, exec_lo, s30
.LBB247_224:                            ;   in Loop: Header=BB247_9 Depth=1
	s_delay_alu instid0(SALU_CYCLE_1)
	s_or_b32 exec_lo, exec_lo, s29
.LBB247_225:                            ;   in Loop: Header=BB247_9 Depth=1
	s_delay_alu instid0(SALU_CYCLE_1) | instskip(SKIP_2) | instid1(VALU_DEP_1)
	s_or_b32 exec_lo, exec_lo, s28
	v_lshrrev_b16 v2, 8, v2
	s_mov_b32 s28, exec_lo
	v_cmpx_ne_u16_e32 0, v2
	s_cbranch_execz .LBB247_233
; %bb.226:                              ;   in Loop: Header=BB247_9 Depth=1
	v_bfrev_b32_e32 v8, 1
	s_mov_b32 s29, exec_lo
	v_cmpx_ne_u16_e32 0x80, v2
	s_cbranch_execz .LBB247_232
; %bb.227:                              ;   in Loop: Header=BB247_9 Depth=1
	v_and_b32_e32 v45, 0xffff, v2
	v_mov_b32_e32 v8, 0x7c010000
	s_mov_b32 s30, exec_lo
	s_delay_alu instid0(VALU_DEP_2) | instskip(NEXT) | instid1(VALU_DEP_1)
	v_and_b32_e32 v47, 0x7f, v45
	v_cmpx_ne_u32_e32 0x7f, v47
	s_cbranch_execz .LBB247_231
; %bb.228:                              ;   in Loop: Header=BB247_9 Depth=1
	v_dual_lshrrev_b32 v46, 3, v47 :: v_dual_bitop2_b32 v8, 7, v45 bitop3:0x40
	s_mov_b32 s31, exec_lo
	v_cmpx_gt_u32_e32 8, v47
; %bb.229:                              ;   in Loop: Header=BB247_9 Depth=1
	s_delay_alu instid0(VALU_DEP_2) | instskip(NEXT) | instid1(VALU_DEP_1)
	v_clz_i32_u32_e32 v8, v8
	v_min_u32_e32 v8, 32, v8
	s_delay_alu instid0(VALU_DEP_1) | instskip(NEXT) | instid1(VALU_DEP_1)
	v_subrev_nc_u32_e32 v46, 28, v8
	v_lshlrev_b64_e32 v[48:49], v46, v[2:3]
	v_sub_nc_u32_e32 v46, 29, v8
	s_delay_alu instid0(VALU_DEP_2)
	v_and_b32_e32 v8, 7, v48
; %bb.230:                              ;   in Loop: Header=BB247_9 Depth=1
	s_or_b32 exec_lo, exec_lo, s31
	s_delay_alu instid0(VALU_DEP_1) | instskip(NEXT) | instid1(VALU_DEP_3)
	v_dual_lshlrev_b32 v2, 8, v45 :: v_dual_lshlrev_b32 v8, 23, v8
	v_lshl_add_u32 v45, v46, 10, 0x2000
	s_delay_alu instid0(VALU_DEP_1) | instskip(NEXT) | instid1(VALU_DEP_1)
	v_and_or_b32 v2, 0x8000, v2, v45
	v_lshl_or_b32 v8, v2, 16, v8
.LBB247_231:                            ;   in Loop: Header=BB247_9 Depth=1
	s_or_b32 exec_lo, exec_lo, s30
.LBB247_232:                            ;   in Loop: Header=BB247_9 Depth=1
	s_delay_alu instid0(SALU_CYCLE_1)
	s_or_b32 exec_lo, exec_lo, s29
.LBB247_233:                            ;   in Loop: Header=BB247_9 Depth=1
	s_delay_alu instid0(SALU_CYCLE_1)
	s_or_b32 exec_lo, exec_lo, s28
	ds_load_b32 v2, v13
	v_or_b32_e32 v19, v18, v19
	v_fma_mixlo_f16 v18, v17, v18, 0 op_sel:[0,1,0] op_sel_hi:[0,1,0]
	v_or_b32_e32 v9, v8, v9
	v_fma_mixlo_f16 v8, v17, v8, 0 op_sel:[0,1,0] op_sel_hi:[0,1,0]
	s_delay_alu instid0(VALU_DEP_3) | instskip(NEXT) | instid1(VALU_DEP_3)
	v_and_b32_e32 v47, 0xffff, v18
	v_fma_mixlo_f16 v9, v17, v9, 0 op_sel_hi:[0,1,0]
	s_delay_alu instid0(VALU_DEP_1)
	v_and_b32_e32 v9, 0xffff, v9
	s_wait_dscnt 0x0
	v_lshrrev_b32_e32 v46, 16, v2
	v_fma_mixlo_f16 v19, v17, v19, 0 op_sel_hi:[0,1,0]
	v_and_b32_e32 v45, 0xffff, v2
	;;#ASMSTART
	v_cvt_f32_f16 v2, v45;
	;;#ASMEND
	;;#ASMSTART
	v_cvt_f32_f16 v18, v46;
	;;#ASMEND
	s_delay_alu instid0(VALU_DEP_2)
	v_and_b32_e32 v19, 0xffff, v19
	;;#ASMSTART
	v_cvt_f32_f16 v19, v19;
	;;#ASMEND
	;;#ASMSTART
	v_cvt_f32_f16 v45, v47;
	;;#ASMEND
	ds_load_b32 v46, v13 offset:4
	v_or_b32_e32 v21, v20, v21
	v_fma_mixlo_f16 v20, v17, v20, 0 op_sel:[0,1,0] op_sel_hi:[0,1,0]
	s_delay_alu instid0(VALU_DEP_1)
	v_and_b32_e32 v20, 0xffff, v20
	s_wait_dscnt 0x0
	v_and_b32_e32 v47, 0xffff, v46
	v_lshrrev_b32_e32 v46, 16, v46
	v_fma_mixlo_f16 v21, v17, v21, 0 op_sel_hi:[0,1,0]
	;;#ASMSTART
	v_cvt_f32_f16 v47, v47;
	;;#ASMEND
	;;#ASMSTART
	v_cvt_f32_f16 v46, v46;
	;;#ASMEND
	s_delay_alu instid0(VALU_DEP_1)
	v_and_b32_e32 v21, 0xffff, v21
	;;#ASMSTART
	v_cvt_f32_f16 v48, v21;
	;;#ASMEND
	;;#ASMSTART
	v_cvt_f32_f16 v49, v20;
	;;#ASMEND
	ds_load_b32 v20, v13 offset:8
	v_or_b32_e32 v21, v22, v23
	v_fma_mixlo_f16 v22, v17, v22, 0 op_sel:[0,1,0] op_sel_hi:[0,1,0]
	s_delay_alu instid0(VALU_DEP_1)
	v_and_b32_e32 v22, 0xffff, v22
	s_wait_dscnt 0x0
	v_and_b32_e32 v23, 0xffff, v20
	v_lshrrev_b32_e32 v20, 16, v20
	v_fma_mixlo_f16 v21, v17, v21, 0 op_sel_hi:[0,1,0]
	;;#ASMSTART
	v_cvt_f32_f16 v50, v23;
	;;#ASMEND
	;;#ASMSTART
	v_cvt_f32_f16 v51, v20;
	;;#ASMEND
	s_delay_alu instid0(VALU_DEP_1)
	v_and_b32_e32 v21, 0xffff, v21
	;;#ASMSTART
	v_cvt_f32_f16 v52, v21;
	;;#ASMEND
	;;#ASMSTART
	v_cvt_f32_f16 v53, v22;
	;;#ASMEND
	ds_load_b32 v20, v13 offset:12
	v_or_b32_e32 v21, v24, v25
	v_fma_mixlo_f16 v22, v17, v24, 0 op_sel:[0,1,0] op_sel_hi:[0,1,0]
	v_mul_f32_e32 v24, v46, v49
	s_delay_alu instid0(VALU_DEP_2) | instskip(NEXT) | instid1(VALU_DEP_2)
	v_and_b32_e32 v22, 0xffff, v22
	v_fmac_f32_e32 v24, v18, v45
	s_delay_alu instid0(VALU_DEP_1)
	v_fmac_f32_e32 v24, v51, v53
	s_wait_dscnt 0x0
	v_and_b32_e32 v23, 0xffff, v20
	v_lshrrev_b32_e32 v20, 16, v20
	v_fma_mixlo_f16 v21, v17, v21, 0 op_sel_hi:[0,1,0]
	;;#ASMSTART
	v_cvt_f32_f16 v25, v23;
	;;#ASMEND
	;;#ASMSTART
	v_cvt_f32_f16 v54, v20;
	;;#ASMEND
	s_delay_alu instid0(VALU_DEP_1)
	v_and_b32_e32 v21, 0xffff, v21
	;;#ASMSTART
	v_cvt_f32_f16 v55, v21;
	;;#ASMEND
	;;#ASMSTART
	v_cvt_f32_f16 v56, v22;
	;;#ASMEND
	ds_load_b32 v20, v13 offset:16
	v_or_b32_e32 v21, v27, v28
	v_fma_mixlo_f16 v22, v17, v27, 0 op_sel:[0,1,0] op_sel_hi:[0,1,0]
	s_delay_alu instid0(VALU_DEP_2) | instskip(NEXT) | instid1(VALU_DEP_2)
	v_fma_mixlo_f16 v21, v17, v21, 0 op_sel_hi:[0,1,0]
	v_and_b32_e32 v22, 0xffff, v22
	s_delay_alu instid0(VALU_DEP_2)
	v_and_b32_e32 v21, 0xffff, v21
	s_wait_dscnt 0x0
	v_and_b32_e32 v23, 0xffff, v20
	v_lshrrev_b32_e32 v20, 16, v20
	;;#ASMSTART
	v_cvt_f32_f16 v27, v23;
	;;#ASMEND
	;;#ASMSTART
	v_cvt_f32_f16 v28, v20;
	;;#ASMEND
	;;#ASMSTART
	v_cvt_f32_f16 v57, v21;
	;;#ASMEND
	;;#ASMSTART
	v_cvt_f32_f16 v58, v22;
	;;#ASMEND
	ds_load_b32 v20, v13 offset:20
	v_or_b32_e32 v21, v29, v30
	v_fma_mixlo_f16 v22, v17, v29, 0 op_sel:[0,1,0] op_sel_hi:[0,1,0]
	s_delay_alu instid0(VALU_DEP_2) | instskip(NEXT) | instid1(VALU_DEP_2)
	v_fma_mixlo_f16 v21, v17, v21, 0 op_sel_hi:[0,1,0]
	v_and_b32_e32 v22, 0xffff, v22
	s_delay_alu instid0(VALU_DEP_2)
	v_and_b32_e32 v21, 0xffff, v21
	s_wait_dscnt 0x0
	v_and_b32_e32 v23, 0xffff, v20
	v_lshrrev_b32_e32 v20, 16, v20
	;;#ASMSTART
	v_cvt_f32_f16 v29, v23;
	;;#ASMEND
	;;#ASMSTART
	v_cvt_f32_f16 v30, v20;
	;;#ASMEND
	;;#ASMSTART
	v_cvt_f32_f16 v59, v21;
	;;#ASMEND
	;;#ASMSTART
	v_cvt_f32_f16 v60, v22;
	;;#ASMEND
	ds_load_b32 v20, v13 offset:24
	v_or_b32_e32 v21, v31, v32
	v_fma_mixlo_f16 v22, v17, v31, 0 op_sel:[0,1,0] op_sel_hi:[0,1,0]
	s_delay_alu instid0(VALU_DEP_2) | instskip(NEXT) | instid1(VALU_DEP_2)
	v_fma_mixlo_f16 v21, v17, v21, 0 op_sel_hi:[0,1,0]
	v_and_b32_e32 v22, 0xffff, v22
	s_delay_alu instid0(VALU_DEP_2)
	v_and_b32_e32 v21, 0xffff, v21
	s_wait_dscnt 0x0
	v_and_b32_e32 v23, 0xffff, v20
	v_lshrrev_b32_e32 v20, 16, v20
	;;#ASMSTART
	v_cvt_f32_f16 v31, v23;
	;;#ASMEND
	;;#ASMSTART
	v_cvt_f32_f16 v32, v20;
	;;#ASMEND
	;;#ASMSTART
	v_cvt_f32_f16 v61, v21;
	;;#ASMEND
	;;#ASMSTART
	v_cvt_f32_f16 v62, v22;
	;;#ASMEND
	ds_load_b32 v20, v13 offset:28
	v_or_b32_e32 v21, v33, v34
	v_fma_mixlo_f16 v22, v17, v33, 0 op_sel:[0,1,0] op_sel_hi:[0,1,0]
	v_fmac_f32_e32 v24, v54, v56
	s_delay_alu instid0(VALU_DEP_3) | instskip(NEXT) | instid1(VALU_DEP_3)
	v_fma_mixlo_f16 v21, v17, v21, 0 op_sel_hi:[0,1,0]
	v_and_b32_e32 v22, 0xffff, v22
	s_delay_alu instid0(VALU_DEP_3) | instskip(NEXT) | instid1(VALU_DEP_3)
	v_fmac_f32_e32 v24, v28, v58
	v_and_b32_e32 v21, 0xffff, v21
	s_wait_dscnt 0x0
	v_and_b32_e32 v23, 0xffff, v20
	v_lshrrev_b32_e32 v20, 16, v20
	;;#ASMSTART
	v_cvt_f32_f16 v33, v23;
	;;#ASMEND
	;;#ASMSTART
	v_cvt_f32_f16 v34, v20;
	;;#ASMEND
	;; [unrolled: 3-line block ×4, first 2 shown]
	ds_load_b32 v20, v13 offset:32
	v_or_b32_e32 v21, v35, v36
	v_fma_mixlo_f16 v22, v17, v35, 0 op_sel:[0,1,0] op_sel_hi:[0,1,0]
	s_delay_alu instid0(VALU_DEP_2) | instskip(NEXT) | instid1(VALU_DEP_2)
	v_fma_mixlo_f16 v21, v17, v21, 0 op_sel_hi:[0,1,0]
	v_and_b32_e32 v22, 0xffff, v22
	s_delay_alu instid0(VALU_DEP_2)
	v_and_b32_e32 v21, 0xffff, v21
	s_wait_dscnt 0x0
	v_and_b32_e32 v23, 0xffff, v20
	v_lshrrev_b32_e32 v20, 16, v20
	;;#ASMSTART
	v_cvt_f32_f16 v35, v23;
	;;#ASMEND
	;;#ASMSTART
	v_cvt_f32_f16 v36, v20;
	;;#ASMEND
	;; [unrolled: 3-line block ×4, first 2 shown]
	ds_load_b32 v20, v13 offset:36
	v_or_b32_e32 v21, v37, v38
	v_fma_mixlo_f16 v22, v17, v37, 0 op_sel:[0,1,0] op_sel_hi:[0,1,0]
	v_fmac_f32_e32 v24, v30, v60
	s_delay_alu instid0(VALU_DEP_3) | instskip(NEXT) | instid1(VALU_DEP_3)
	v_fma_mixlo_f16 v21, v17, v21, 0 op_sel_hi:[0,1,0]
	v_and_b32_e32 v22, 0xffff, v22
	s_delay_alu instid0(VALU_DEP_3) | instskip(NEXT) | instid1(VALU_DEP_3)
	v_fmac_f32_e32 v24, v32, v62
	v_and_b32_e32 v21, 0xffff, v21
	s_delay_alu instid0(VALU_DEP_2)
	v_fmac_f32_e32 v24, v34, v64
	s_wait_dscnt 0x0
	v_and_b32_e32 v23, 0xffff, v20
	v_lshrrev_b32_e32 v20, 16, v20
	;;#ASMSTART
	v_cvt_f32_f16 v37, v23;
	;;#ASMEND
	;;#ASMSTART
	v_cvt_f32_f16 v38, v20;
	;;#ASMEND
	;; [unrolled: 3-line block ×4, first 2 shown]
	ds_load_b32 v20, v13 offset:40
	v_or_b32_e32 v21, v39, v40
	v_fma_mixlo_f16 v22, v17, v39, 0 op_sel:[0,1,0] op_sel_hi:[0,1,0]
	s_delay_alu instid0(VALU_DEP_2) | instskip(NEXT) | instid1(VALU_DEP_2)
	v_fma_mixlo_f16 v21, v17, v21, 0 op_sel_hi:[0,1,0]
	v_and_b32_e32 v22, 0xffff, v22
	s_delay_alu instid0(VALU_DEP_2) | instskip(SKIP_4) | instid1(VALU_DEP_1)
	v_and_b32_e32 v21, 0xffff, v21
	s_wait_dscnt 0x0
	v_and_b32_e32 v23, 0xffff, v20
	;;#ASMSTART
	v_cvt_f32_f16 v39, v23;
	;;#ASMEND
	v_mul_f32_e32 v23, v47, v48
	v_fmac_f32_e32 v23, v2, v19
	s_delay_alu instid0(VALU_DEP_1) | instskip(NEXT) | instid1(VALU_DEP_1)
	v_fmac_f32_e32 v23, v50, v52
	v_dual_fmac_f32 v23, v25, v55 :: v_dual_lshrrev_b32 v20, 16, v20
	s_delay_alu instid0(VALU_DEP_1)
	v_fmac_f32_e32 v23, v27, v57
	;;#ASMSTART
	v_cvt_f32_f16 v40, v20;
	;;#ASMEND
	;;#ASMSTART
	v_cvt_f32_f16 v69, v21;
	;;#ASMEND
	;;#ASMSTART
	v_cvt_f32_f16 v70, v22;
	;;#ASMEND
	ds_load_b32 v20, v13 offset:44
	v_or_b32_e32 v21, v41, v42
	v_fma_mixlo_f16 v22, v17, v41, 0 op_sel:[0,1,0] op_sel_hi:[0,1,0]
	v_fmac_f32_e32 v23, v29, v59
	s_delay_alu instid0(VALU_DEP_3) | instskip(NEXT) | instid1(VALU_DEP_3)
	v_fma_mixlo_f16 v21, v17, v21, 0 op_sel_hi:[0,1,0]
	v_and_b32_e32 v22, 0xffff, v22
	s_delay_alu instid0(VALU_DEP_3) | instskip(NEXT) | instid1(VALU_DEP_3)
	v_fmac_f32_e32 v23, v31, v61
	v_and_b32_e32 v19, 0xffff, v21
	s_delay_alu instid0(VALU_DEP_2) | instskip(NEXT) | instid1(VALU_DEP_1)
	v_fmac_f32_e32 v23, v33, v63
	v_dual_fmac_f32 v23, v35, v65 :: v_dual_fmac_f32 v24, v36, v66
	s_wait_dscnt 0x0
	v_and_b32_e32 v2, 0xffff, v20
	v_lshrrev_b32_e32 v18, 16, v20
	;;#ASMSTART
	v_cvt_f32_f16 v20, v2;
	;;#ASMEND
	;;#ASMSTART
	v_cvt_f32_f16 v21, v18;
	;;#ASMEND
	;; [unrolled: 3-line block ×4, first 2 shown]
	ds_load_b32 v2, v13 offset:48
	v_or_b32_e32 v18, v43, v44
	v_fma_mixlo_f16 v19, v17, v43, 0 op_sel:[0,1,0] op_sel_hi:[0,1,0]
	v_dual_fmac_f32 v23, v37, v67 :: v_dual_fmac_f32 v24, v38, v68
	s_delay_alu instid0(VALU_DEP_3) | instskip(NEXT) | instid1(VALU_DEP_3)
	v_fma_mixlo_f16 v18, v17, v18, 0 op_sel_hi:[0,1,0]
	v_and_b32_e32 v19, 0xffff, v19
	v_and_b32_e32 v17, 0xffff, v8
	s_delay_alu instid0(VALU_DEP_3)
	v_and_b32_e32 v18, 0xffff, v18
	s_wait_dscnt 0x0
	v_and_b32_e32 v25, 0xffff, v2
	v_lshrrev_b32_e32 v2, 16, v2
	;;#ASMSTART
	v_cvt_f32_f16 v25, v25;
	;;#ASMEND
	;;#ASMSTART
	v_cvt_f32_f16 v27, v2;
	;;#ASMEND
	;; [unrolled: 3-line block ×4, first 2 shown]
	ds_load_b32 v2, v13 offset:52
	v_dual_fmac_f32 v23, v39, v69 :: v_dual_bitop2_b32 v18, 2, v10 bitop3:0x14
	v_fmac_f32_e32 v24, v40, v70
	s_delay_alu instid0(VALU_DEP_2) | instskip(NEXT) | instid1(VALU_DEP_1)
	v_cmp_gt_i32_e64 s4, 32, v18
	v_dual_fmac_f32 v23, v20, v41 :: v_dual_cndmask_b32 v8, v10, v18, s4
	s_delay_alu instid0(VALU_DEP_1)
	v_fmac_f32_e32 v23, v25, v28
	s_wait_dscnt 0x0
	v_and_b32_e32 v18, 0xffff, v2
	v_lshrrev_b32_e32 v2, 16, v2
	;;#ASMSTART
	v_cvt_f32_f16 v18, v18;
	;;#ASMEND
	;;#ASMSTART
	v_cvt_f32_f16 v2, v2;
	;;#ASMEND
	;; [unrolled: 3-line block ×3, first 2 shown]
	v_dual_fmac_f32 v24, v21, v22 :: v_dual_fmac_f32 v23, v18, v9
	;;#ASMSTART
	v_cvt_f32_f16 v17, v17;
	;;#ASMEND
	s_delay_alu instid0(VALU_DEP_1) | instskip(NEXT) | instid1(VALU_DEP_1)
	v_dual_fmac_f32 v24, v27, v19 :: v_dual_bitop2_b32 v9, 1, v10 bitop3:0x14
	v_cmp_gt_i32_e64 s4, 32, v9
	s_delay_alu instid0(VALU_DEP_2) | instskip(NEXT) | instid1(VALU_DEP_1)
	v_dual_fmac_f32 v24, v2, v17 :: v_dual_lshlrev_b32 v2, 2, v8
	v_dual_cndmask_b32 v9, v10, v9, s4 :: v_dual_add_f32 v8, v23, v24
	ds_bpermute_b32 v2, v2, v8
	s_wait_dscnt 0x0
	v_dual_add_f32 v2, v8, v2 :: v_dual_lshlrev_b32 v8, 2, v9
	ds_bpermute_b32 v8, v8, v2
	s_and_saveexec_b32 s28, vcc_lo
	s_cbranch_execz .LBB247_8
; %bb.234:                              ;   in Loop: Header=BB247_9 Depth=1
	s_wait_dscnt 0x0
	v_dual_add_f32 v2, v2, v8 :: v_dual_add_nc_u32 v9, s27, v14
	v_cmp_gt_i32_e64 s4, s23, v14
	s_delay_alu instid0(VALU_DEP_2) | instskip(NEXT) | instid1(VALU_DEP_1)
	v_cvt_f32_i32_e32 v9, v9
	v_mul_f32_e32 v9, s25, v9
	s_delay_alu instid0(VALU_DEP_1) | instskip(NEXT) | instid1(VALU_DEP_1)
	v_dual_cndmask_b32 v8, 0, v9, s3 :: v_dual_max_num_f32 v9, v12, v12
	v_fmac_f32_e32 v8, s7, v2
	s_delay_alu instid0(VALU_DEP_1) | instskip(NEXT) | instid1(VALU_DEP_1)
	v_dual_max_num_f32 v2, v9, v8 :: v_dual_cndmask_b32 v8, 0, v8, s4
	v_cndmask_b32_e64 v12, v12, v2, s4
	ds_store_b32 v15, v8
	s_branch .LBB247_8
.LBB247_235:
	s_or_b32 exec_lo, exec_lo, s6
.LBB247_236:
	s_delay_alu instid0(SALU_CYCLE_1)
	s_or_b32 exec_lo, exec_lo, s26
	v_dual_max_num_f32 v6, v12, v12 :: v_dual_bitop2_b32 v2, 16, v10 bitop3:0x14
	v_xor_b32_e32 v5, 8, v10
	s_load_b64 s[6:7], s[0:1], 0x0
	s_wait_kmcnt 0x0
	s_load_b64 s[8:9], s[0:1], 0x18
	v_and_b32_e32 v27, 31, v0
	v_cmp_lt_i32_e32 vcc_lo, v2, v11
	v_cndmask_b32_e32 v2, v10, v2, vcc_lo
	v_cmp_lt_i32_e32 vcc_lo, v5, v11
	s_delay_alu instid0(VALU_DEP_2) | instskip(SKIP_3) | instid1(VALU_DEP_1)
	v_dual_cndmask_b32 v5, v10, v5 :: v_dual_lshlrev_b32 v2, 2, v2
	ds_bpermute_b32 v4, v2, v12
	s_wait_dscnt 0x0
	v_dual_max_num_f32 v7, v4, v4 :: v_dual_lshlrev_b32 v4, 2, v5
	v_dual_max_num_f32 v5, v6, v7 :: v_dual_bitop2_b32 v7, 4, v10 bitop3:0x14
	ds_bpermute_b32 v6, v4, v5
	v_cmp_lt_i32_e32 vcc_lo, v7, v11
	v_cndmask_b32_e32 v7, v10, v7, vcc_lo
	v_cmp_eq_u32_e32 vcc_lo, 0, v27
	s_wait_dscnt 0x0
	s_delay_alu instid0(VALU_DEP_2) | instskip(NEXT) | instid1(VALU_DEP_1)
	v_dual_max_num_f32 v6, v6, v6 :: v_dual_lshlrev_b32 v7, 2, v7
	v_max_num_f32_e32 v6, v5, v6
	v_lshlrev_b32_e32 v5, 2, v26
	ds_bpermute_b32 v8, v7, v6
	s_wait_xcnt 0x0
	s_and_saveexec_b32 s0, vcc_lo
	s_cbranch_execz .LBB247_238
; %bb.237:
	s_wait_dscnt 0x0
	v_dual_max_num_f32 v8, v8, v8 :: v_dual_max_num_f32 v6, v6, v6
	s_delay_alu instid0(VALU_DEP_1)
	v_max_num_f32_e32 v6, v6, v8
	ds_store_b32 v5, v6 offset:224
.LBB247_238:
	s_or_b32 exec_lo, exec_lo, s0
	v_cmp_gt_u32_e64 s0, 4, v27
	v_dual_mov_b32 v9, 0xff7fffff :: v_dual_lshlrev_b32 v6, 2, v27
	s_wait_dscnt 0x0
	s_barrier_signal -1
	s_barrier_wait -1
	s_and_saveexec_b32 s1, s0
; %bb.239:
	ds_load_b32 v9, v6 offset:224
; %bb.240:
	s_or_b32 exec_lo, exec_lo, s1
	s_wait_dscnt 0x0
	v_dual_max_num_f32 v14, v9, v9 :: v_dual_bitop2_b32 v8, 2, v10 bitop3:0x14
	v_lshl_add_u32 v28, v0, 2, 0x100
	v_dual_lshlrev_b32 v3, 2, v3 :: v_dual_bitop2_b32 v13, 1, v10 bitop3:0x14
	s_delay_alu instid0(VALU_DEP_3) | instskip(NEXT) | instid1(VALU_DEP_1)
	v_cmp_lt_i32_e64 s1, v8, v11
	v_cndmask_b32_e64 v8, v10, v8, s1
	s_delay_alu instid0(VALU_DEP_3) | instskip(NEXT) | instid1(VALU_DEP_2)
	v_cmp_lt_i32_e64 s1, v13, v11
	v_lshlrev_b32_e32 v8, 2, v8
	ds_bpermute_b32 v12, v8, v9
	v_cndmask_b32_e64 v9, v10, v13, s1
	s_lshl_b32 s1, s24, 3
	s_delay_alu instid0(SALU_CYCLE_1) | instskip(NEXT) | instid1(VALU_DEP_1)
	s_min_i32 s4, s1, s23
	v_lshlrev_b32_e32 v9, 2, v9
	v_cmp_gt_i32_e64 s1, s4, v0
	s_wait_dscnt 0x0
	v_max_num_f32_e32 v11, v12, v12
	s_delay_alu instid0(VALU_DEP_1) | instskip(SKIP_3) | instid1(VALU_DEP_1)
	v_max_num_f32_e32 v11, v14, v11
	ds_bpermute_b32 v12, v9, v11
	s_wait_dscnt 0x0
	v_max_num_f32_e32 v12, v12, v12
	v_max_num_f32_e32 v11, v11, v12
	ds_bpermute_b32 v11, v3, v11
	v_mov_b32_e32 v3, 0
	s_and_saveexec_b32 s19, s1
	s_cbranch_execz .LBB247_244
; %bb.241:
	v_lshl_add_u32 v12, v0, 2, 0x100
	v_dual_mov_b32 v3, 0 :: v_dual_mov_b32 v13, v0
	s_mov_b32 s25, 0
.LBB247_242:                            ; =>This Inner Loop Header: Depth=1
	ds_load_b32 v14, v12
	v_add_nc_u32_e32 v13, 0x80, v13
	s_delay_alu instid0(VALU_DEP_1) | instskip(SKIP_3) | instid1(VALU_DEP_1)
	v_cmp_le_i32_e64 s3, s4, v13
	s_or_b32 s25, s3, s25
	s_wait_dscnt 0x0
	v_sub_f32_e32 v14, v14, v11
	v_mul_f32_e32 v14, 0x3fb8aa3b, v14
	s_delay_alu instid0(VALU_DEP_1)
	v_exp_f32_e32 v14, v14
	ds_store_b32 v12, v14
	v_nop
	v_dual_add_f32 v3, v3, v14 :: v_dual_add_nc_u32 v12, 0x200, v12
	s_and_not1_b32 exec_lo, exec_lo, s25
	s_cbranch_execnz .LBB247_242
; %bb.243:
	s_or_b32 exec_lo, exec_lo, s25
.LBB247_244:
	s_delay_alu instid0(SALU_CYCLE_1)
	s_or_b32 exec_lo, exec_lo, s19
	ds_bpermute_b32 v2, v2, v3
	s_wait_dscnt 0x0
	v_add_f32_e32 v2, v3, v2
	ds_bpermute_b32 v3, v4, v2
	s_wait_dscnt 0x0
	v_add_f32_e32 v2, v2, v3
	;; [unrolled: 3-line block ×5, first 2 shown]
	s_and_saveexec_b32 s3, vcc_lo
; %bb.245:
	ds_store_b32 v5, v2 offset:240
; %bb.246:
	s_or_b32 exec_lo, exec_lo, s3
	s_wait_dscnt 0x0
	s_barrier_signal -1
	s_barrier_wait -1
	s_and_saveexec_b32 s3, s0
; %bb.247:
	ds_load_b32 v2, v6 offset:240
; %bb.248:
	s_or_b32 exec_lo, exec_lo, s3
	s_wait_dscnt 0x0
	ds_bpermute_b32 v3, v8, v2
	s_wait_dscnt 0x0
	v_dual_lshlrev_b32 v4, 2, v10 :: v_dual_add_f32 v2, v2, v3
	ds_bpermute_b32 v3, v9, v2
	s_wait_dscnt 0x0
	v_add_f32_e32 v2, v2, v3
	v_and_b32_e32 v3, 0xffffff80, v4
	ds_bpermute_b32 v2, v3, v2
	s_and_saveexec_b32 s0, s1
	s_cbranch_execz .LBB247_261
; %bb.249:
	s_wait_dscnt 0x0
	v_add_f32_e32 v2, 0x358637bd, v2
	s_mov_b32 s3, -1
	s_mov_b32 s1, exec_lo
	s_delay_alu instid0(VALU_DEP_1) | instskip(NEXT) | instid1(VALU_DEP_1)
	v_div_scale_f32 v3, null, v2, v2, 1.0
	v_rcp_f32_e32 v5, v3
	v_nop
	s_delay_alu instid0(TRANS32_DEP_1) | instskip(NEXT) | instid1(VALU_DEP_1)
	v_fma_f32 v4, -v3, v5, 1.0
	v_fmac_f32_e32 v5, v4, v5
	v_div_scale_f32 v6, vcc_lo, 1.0, v2, 1.0
	s_delay_alu instid0(VALU_DEP_1) | instskip(NEXT) | instid1(VALU_DEP_1)
	v_mul_f32_e32 v7, v6, v5
	v_fma_f32 v4, -v3, v7, v6
	s_delay_alu instid0(VALU_DEP_1) | instskip(SKIP_1) | instid1(VALU_DEP_2)
	v_fmac_f32_e32 v7, v4, v5
	v_xad_u32 v4, v0, -1, s4
	v_fma_f32 v3, -v3, v7, v6
	s_delay_alu instid0(VALU_DEP_1) | instskip(NEXT) | instid1(VALU_DEP_1)
	v_div_fmas_f32 v3, v3, v5, v7
	v_div_fixup_f32 v2, v3, v2, 1.0
	v_mov_b32_e32 v3, v0
	v_cmpx_lt_u32_e32 0x7f, v4
	s_cbranch_execz .LBB247_258
; %bb.250:
	s_delay_alu instid0(VALU_DEP_3) | instskip(NEXT) | instid1(VALU_DEP_1)
	v_dual_mov_b32 v3, v2 :: v_dual_lshrrev_b32 v4, 7, v4
	v_dual_mov_b32 v8, 0 :: v_dual_add_nc_u32 v5, -1, v4
	s_delay_alu instid0(VALU_DEP_1) | instskip(SKIP_1) | instid1(VALU_DEP_2)
	v_lshrrev_b32_e32 v6, 1, v5
	v_cmp_lt_u32_e32 vcc_lo, 13, v5
	v_add_nc_u32_e32 v5, 1, v6
	s_and_saveexec_b32 s3, vcc_lo
	s_cbranch_execz .LBB247_254
; %bb.251:
	s_delay_alu instid0(VALU_DEP_1)
	v_dual_mov_b32 v7, v28 :: v_dual_bitop2_b32 v6, -8, v5 bitop3:0x40
	s_mov_b32 s19, 0
	s_mov_b32 s25, 0
.LBB247_252:                            ; =>This Inner Loop Header: Depth=1
	ds_load_2addr_stride64_b32 v[8:9], v7 offset1:2
	ds_load_2addr_stride64_b32 v[10:11], v7 offset0:4 offset1:6
	ds_load_2addr_stride64_b32 v[12:13], v7 offset0:8 offset1:10
	ds_load_2addr_stride64_b32 v[14:15], v7 offset0:12 offset1:14
	ds_load_2addr_stride64_b32 v[16:17], v7 offset0:16 offset1:18
	ds_load_2addr_stride64_b32 v[18:19], v7 offset0:20 offset1:22
	ds_load_2addr_stride64_b32 v[20:21], v7 offset0:24 offset1:26
	ds_load_2addr_stride64_b32 v[22:23], v7 offset0:28 offset1:30
	s_add_co_i32 s25, s25, 16
	v_add_nc_u32_e32 v6, -8, v6
	s_wait_dscnt 0x7
	v_pk_mul_f32 v[8:9], v[2:3], v[8:9]
	s_wait_dscnt 0x6
	v_pk_mul_f32 v[10:11], v[2:3], v[10:11]
	;; [unrolled: 2-line block ×8, first 2 shown]
	ds_store_2addr_stride64_b32 v7, v8, v9 offset1:2
	ds_store_2addr_stride64_b32 v7, v10, v11 offset0:4 offset1:6
	ds_store_2addr_stride64_b32 v7, v12, v13 offset0:8 offset1:10
	;; [unrolled: 1-line block ×7, first 2 shown]
	v_mov_b32_e32 v8, s25
	v_cmp_eq_u32_e32 vcc_lo, 0, v6
	v_add_nc_u32_e32 v7, 0x2000, v7
	s_or_b32 s19, vcc_lo, s19
	s_delay_alu instid0(SALU_CYCLE_1)
	s_and_not1_b32 exec_lo, exec_lo, s19
	s_cbranch_execnz .LBB247_252
; %bb.253:
	s_or_b32 exec_lo, exec_lo, s19
.LBB247_254:
	s_delay_alu instid0(SALU_CYCLE_1) | instskip(NEXT) | instid1(VALU_DEP_1)
	s_or_b32 exec_lo, exec_lo, s3
	v_and_b32_e32 v5, 7, v5
	s_mov_b32 s19, 0
	s_mov_b32 s3, exec_lo
	s_delay_alu instid0(VALU_DEP_1)
	v_cmpx_ne_u32_e32 0, v5
	s_cbranch_execz .LBB247_257
; %bb.255:
	v_lshlrev_b32_e32 v6, 9, v8
	v_lshlrev_b32_e32 v7, 2, v0
	s_delay_alu instid0(VALU_DEP_1)
	v_add3_u32 v6, v6, v7, 0x100
.LBB247_256:                            ; =>This Inner Loop Header: Depth=1
	ds_load_2addr_stride64_b32 v[8:9], v6 offset1:2
	v_add_nc_u32_e32 v5, -1, v5
	s_delay_alu instid0(VALU_DEP_1)
	v_cmp_eq_u32_e32 vcc_lo, 0, v5
	s_or_b32 s19, vcc_lo, s19
	s_wait_dscnt 0x0
	v_pk_mul_f32 v[8:9], v[2:3], v[8:9]
	ds_store_2addr_stride64_b32 v6, v8, v9 offset1:2
	v_add_nc_u32_e32 v6, 0x400, v6
	s_and_not1_b32 exec_lo, exec_lo, s19
	s_cbranch_execnz .LBB247_256
.LBB247_257:
	s_or_b32 exec_lo, exec_lo, s3
	v_add_nc_u32_e32 v3, 1, v4
	s_delay_alu instid0(VALU_DEP_1) | instskip(NEXT) | instid1(VALU_DEP_1)
	v_and_b32_e32 v4, 0x3fffffe, v3
	v_cmp_ne_u32_e32 vcc_lo, v3, v4
	v_lshl_add_u32 v3, v4, 7, v0
	s_or_not1_b32 s3, vcc_lo, exec_lo
.LBB247_258:
	s_or_b32 exec_lo, exec_lo, s1
	s_delay_alu instid0(SALU_CYCLE_1)
	s_and_b32 exec_lo, exec_lo, s3
	s_cbranch_execz .LBB247_261
; %bb.259:
	v_lshl_add_u32 v4, v3, 2, 0x100
	s_mov_b32 s1, 0
.LBB247_260:                            ; =>This Inner Loop Header: Depth=1
	ds_load_b32 v5, v4
	v_add_nc_u32_e32 v3, 0x80, v3
	s_delay_alu instid0(VALU_DEP_1)
	v_cmp_le_i32_e32 vcc_lo, s4, v3
	s_or_b32 s1, vcc_lo, s1
	s_wait_dscnt 0x0
	v_mul_f32_e32 v5, v2, v5
	ds_store_b32 v4, v5
	v_add_nc_u32_e32 v4, 0x200, v4
	s_and_not1_b32 exec_lo, exec_lo, s1
	s_cbranch_execnz .LBB247_260
.LBB247_261:
	s_or_b32 exec_lo, exec_lo, s0
	s_wait_dscnt 0x0
	v_mov_b64_e32 v[2:3], 0
	v_dual_mov_b32 v35, 0 :: v_dual_mov_b32 v34, 0
	s_barrier_signal -1
	s_barrier_wait -1
	s_and_saveexec_b32 s25, s2
	s_cbranch_execz .LBB247_531
; %bb.262:
	v_dual_mov_b32 v5, 0 :: v_dual_lshlrev_b32 v6, 3, v27
	v_and_b32_e32 v4, 0x7c, v1
	s_lshl_b64 s[0:1], s[14:15], 2
	v_or_b32_e32 v2, 0x60, v27
	s_add_nc_u64 s[0:1], s[16:17], s[0:1]
	v_mov_b32_e32 v7, v5
	v_add_nc_u64_e32 v[10:11], s[0:1], v[4:5]
	v_dual_mov_b32 v9, v5 :: v_dual_lshlrev_b32 v29, 3, v26
	v_cmp_gt_u32_e32 vcc_lo, 0x70, v2
	v_lshlrev_b32_e32 v8, 3, v2
	v_lshl_add_u32 v30, v26, 5, 0x100
	v_dual_mov_b32 v34, 0 :: v_dual_mov_b32 v35, 0
	v_dual_mov_b32 v3, 0 :: v_dual_mov_b32 v2, 0
	v_mov_b32_e32 v31, v26
	s_ashr_i32 s19, s18, 31
	s_mov_b32 s26, s5
	s_wait_kmcnt 0x0
	s_add_nc_u64 s[2:3], s[8:9], s[18:19]
	s_mov_b64 s[4:5], 0xffffffffffffff
	s_add_co_i32 s8, s24, -1
	s_mov_b32 s14, s23
	s_mov_b32 s9, 0
	s_branch .LBB247_265
.LBB247_263:                            ;   in Loop: Header=BB247_265 Depth=1
	s_or_b32 exec_lo, exec_lo, s1
	;;#ASMSTART
	v_pk_mul_f16 v1, v41, v21;

	;;#ASMEND
	;;#ASMSTART
	v_pk_mul_f16 v4, v40, v20;

	;;#ASMEND
	;; [unrolled: 4-line block ×4, first 2 shown]
	;;#ASMSTART
	v_pk_add_f16 v1, v1, v4;

	;;#ASMEND
	;;#ASMSTART
	v_pk_add_f16 v1, v1, v12;

	;;#ASMEND
	;; [unrolled: 4-line block ×3, first 2 shown]
	v_and_b32_e32 v4, 0xffff, v1
	v_lshrrev_b32_e32 v1, 16, v1
	;;#ASMSTART
	v_cvt_f32_f16 v4, v4;
	;;#ASMEND
	;;#ASMSTART
	v_cvt_f32_f16 v1, v1;
	;;#ASMEND
	s_delay_alu instid0(VALU_DEP_1) | instskip(NEXT) | instid1(VALU_DEP_1)
	v_add_f32_e32 v1, v4, v1
	v_add_f32_e32 v34, v34, v1
.LBB247_264:                            ;   in Loop: Header=BB247_265 Depth=1
	s_or_b32 exec_lo, exec_lo, s15
	v_dual_add_f32 v1, v24, v25 :: v_dual_add_nc_u32 v31, 4, v31
	v_add_f32_e32 v12, v36, v37
	v_add_f32_e32 v4, v32, v33
	v_add_nc_u64_e32 v[10:11], 16, v[10:11]
	s_delay_alu instid0(VALU_DEP_4) | instskip(SKIP_4) | instid1(SALU_CYCLE_1)
	v_dual_add_f32 v35, v35, v1 :: v_dual_add_nc_u32 v30, 0x80, v30
	v_cmp_le_i32_e64 s0, s24, v31
	v_add_f32_e32 v2, v2, v12
	v_dual_add_f32 v3, v3, v4 :: v_dual_add_nc_u32 v29, 32, v29
	s_or_b32 s9, s0, s9
	s_and_not1_b32 exec_lo, exec_lo, s9
	s_cbranch_execz .LBB247_530
.LBB247_265:                            ; =>This Inner Loop Header: Depth=1
	global_load_b32 v1, v[10:11], off
	ds_load_2addr_b64 v[14:17], v30 offset1:1
	ds_load_2addr_b64 v[18:21], v30 offset0:2 offset1:3
	s_mov_b32 s1, exec_lo
	s_wait_dscnt 0x1
	;;#ASMSTART
	v_cvt_f16_f32 v39, v14;

	;;#ASMEND
	;;#ASMSTART
	v_cvt_f16_f32 v36, v15;

	;;#ASMEND
	;; [unrolled: 4-line block ×4, first 2 shown]
	s_wait_dscnt 0x0
	;;#ASMSTART
	v_cvt_f16_f32 v41, v18;

	;;#ASMEND
	;;#ASMSTART
	v_cvt_f16_f32 v38, v19;

	;;#ASMEND
	;; [unrolled: 4-line block ×4, first 2 shown]
	s_wait_loadcnt 0x0
	v_mad_nc_i64_i32 v[12:13], v1, s26, s[2:3]
	v_mov_b32_e32 v1, 0
	s_delay_alu instid0(VALU_DEP_2)
	v_add_nc_u64_e32 v[14:15], v[12:13], v[6:7]
	global_load_b64 v[18:19], v[14:15], off
	global_load_b32 v16, v5, s[10:11]
	s_wait_loadcnt 0x1
	v_and_b32_e32 v4, 0xff, v18
	s_wait_xcnt 0x0
	s_delay_alu instid0(VALU_DEP_1)
	v_cmpx_ne_u16_e32 0, v4
	s_cbranch_execz .LBB247_273
; %bb.266:                              ;   in Loop: Header=BB247_265 Depth=1
	v_mov_b32_e32 v1, 0x8000
	s_mov_b32 s15, exec_lo
	v_cmpx_ne_u16_e32 0x80, v4
	s_cbranch_execz .LBB247_272
; %bb.267:                              ;   in Loop: Header=BB247_265 Depth=1
	v_and_b32_e32 v17, 0x7f, v18
	v_mov_b32_e32 v1, 0x7c01
	s_mov_b32 s16, exec_lo
	s_delay_alu instid0(VALU_DEP_2)
	v_cmpx_ne_u32_e32 0x7f, v17
	s_cbranch_execz .LBB247_271
; %bb.268:                              ;   in Loop: Header=BB247_265 Depth=1
	v_dual_lshrrev_b32 v4, 3, v17 :: v_dual_bitop2_b32 v1, 7, v18 bitop3:0x40
	s_mov_b32 s17, exec_lo
	v_cmpx_gt_u32_e32 8, v17
; %bb.269:                              ;   in Loop: Header=BB247_265 Depth=1
	s_delay_alu instid0(VALU_DEP_2) | instskip(NEXT) | instid1(VALU_DEP_1)
	v_clz_i32_u32_e32 v1, v1
	v_min_u32_e32 v1, 32, v1
	s_delay_alu instid0(VALU_DEP_1) | instskip(NEXT) | instid1(VALU_DEP_1)
	v_subrev_nc_u32_e32 v4, 28, v1
	v_lshlrev_b64_e32 v[20:21], v4, v[18:19]
	s_delay_alu instid0(VALU_DEP_1)
	v_dual_sub_nc_u32 v4, 29, v1 :: v_dual_bitop2_b32 v1, 7, v20 bitop3:0x40
; %bb.270:                              ;   in Loop: Header=BB247_265 Depth=1
	s_or_b32 exec_lo, exec_lo, s17
	s_delay_alu instid0(VALU_DEP_1) | instskip(NEXT) | instid1(VALU_DEP_2)
	v_dual_lshlrev_b32 v17, 8, v18 :: v_dual_lshlrev_b32 v1, 7, v1
	v_lshl_add_u32 v4, v4, 10, 0x2000
	s_delay_alu instid0(VALU_DEP_2) | instskip(NEXT) | instid1(VALU_DEP_2)
	v_and_b32_e32 v17, 0x8000, v17
	v_and_b32_e32 v4, 0xfc00, v4
	s_delay_alu instid0(VALU_DEP_1)
	v_or3_b32 v1, v17, v4, v1
.LBB247_271:                            ;   in Loop: Header=BB247_265 Depth=1
	s_or_b32 exec_lo, exec_lo, s16
.LBB247_272:                            ;   in Loop: Header=BB247_265 Depth=1
	s_delay_alu instid0(SALU_CYCLE_1)
	s_or_b32 exec_lo, exec_lo, s15
.LBB247_273:                            ;   in Loop: Header=BB247_265 Depth=1
	s_delay_alu instid0(SALU_CYCLE_1) | instskip(SKIP_3) | instid1(VALU_DEP_2)
	s_or_b32 exec_lo, exec_lo, s1
	v_lshrrev_b16 v4, 8, v18
	v_dual_mov_b32 v17, 0 :: v_dual_mov_b32 v20, 0
	s_mov_b32 s1, exec_lo
	v_cmpx_ne_u16_e32 0, v4
	s_cbranch_execz .LBB247_281
; %bb.274:                              ;   in Loop: Header=BB247_265 Depth=1
	v_bfrev_b32_e32 v20, 1
	s_mov_b32 s15, exec_lo
	v_cmpx_ne_u16_e32 0x80, v4
	s_cbranch_execz .LBB247_280
; %bb.275:                              ;   in Loop: Header=BB247_265 Depth=1
	v_and_b32_e32 v21, 0xffff, v4
	v_mov_b32_e32 v20, 0x7c010000
	s_mov_b32 s16, exec_lo
	s_delay_alu instid0(VALU_DEP_2) | instskip(NEXT) | instid1(VALU_DEP_1)
	v_and_b32_e32 v23, 0x7f, v21
	v_cmpx_ne_u32_e32 0x7f, v23
	s_cbranch_execz .LBB247_279
; %bb.276:                              ;   in Loop: Header=BB247_265 Depth=1
	v_dual_lshrrev_b32 v22, 3, v23 :: v_dual_bitop2_b32 v20, 7, v21 bitop3:0x40
	s_mov_b32 s17, exec_lo
	v_cmpx_gt_u32_e32 8, v23
; %bb.277:                              ;   in Loop: Header=BB247_265 Depth=1
	s_delay_alu instid0(VALU_DEP_2) | instskip(NEXT) | instid1(VALU_DEP_1)
	v_clz_i32_u32_e32 v20, v20
	v_min_u32_e32 v20, 32, v20
	s_delay_alu instid0(VALU_DEP_1) | instskip(NEXT) | instid1(VALU_DEP_1)
	v_subrev_nc_u32_e32 v22, 28, v20
	v_lshlrev_b64_e32 v[24:25], v22, v[4:5]
	v_sub_nc_u32_e32 v22, 29, v20
	s_delay_alu instid0(VALU_DEP_2)
	v_and_b32_e32 v20, 7, v24
; %bb.278:                              ;   in Loop: Header=BB247_265 Depth=1
	s_or_b32 exec_lo, exec_lo, s17
	s_delay_alu instid0(VALU_DEP_1) | instskip(NEXT) | instid1(VALU_DEP_3)
	v_dual_lshlrev_b32 v4, 8, v21 :: v_dual_lshlrev_b32 v20, 23, v20
	v_lshl_add_u32 v21, v22, 10, 0x2000
	s_delay_alu instid0(VALU_DEP_1) | instskip(NEXT) | instid1(VALU_DEP_1)
	v_and_or_b32 v4, 0x8000, v4, v21
	v_lshl_or_b32 v20, v4, 16, v20
.LBB247_279:                            ;   in Loop: Header=BB247_265 Depth=1
	s_or_b32 exec_lo, exec_lo, s16
.LBB247_280:                            ;   in Loop: Header=BB247_265 Depth=1
	s_delay_alu instid0(SALU_CYCLE_1)
	s_or_b32 exec_lo, exec_lo, s15
.LBB247_281:                            ;   in Loop: Header=BB247_265 Depth=1
	s_delay_alu instid0(SALU_CYCLE_1) | instskip(SKIP_2) | instid1(VALU_DEP_1)
	s_or_b32 exec_lo, exec_lo, s1
	v_lshrrev_b32_e32 v4, 16, v18
	s_mov_b32 s1, exec_lo
	v_and_b32_e32 v21, 0xff, v4
	s_delay_alu instid0(VALU_DEP_1)
	v_cmpx_ne_u16_e32 0, v21
	s_cbranch_execz .LBB247_289
; %bb.282:                              ;   in Loop: Header=BB247_265 Depth=1
	v_mov_b32_e32 v17, 0x8000
	s_mov_b32 s15, exec_lo
	v_cmpx_ne_u16_e32 0x80, v21
	s_cbranch_execz .LBB247_288
; %bb.283:                              ;   in Loop: Header=BB247_265 Depth=1
	v_bfe_u32 v22, v18, 16, 7
	v_mov_b32_e32 v17, 0x7c01
	s_mov_b32 s16, exec_lo
	s_delay_alu instid0(VALU_DEP_2)
	v_cmpx_ne_u32_e32 0x7f, v22
	s_cbranch_execz .LBB247_287
; %bb.284:                              ;   in Loop: Header=BB247_265 Depth=1
	v_dual_lshrrev_b32 v21, 3, v22 :: v_dual_bitop2_b32 v17, 7, v4 bitop3:0x40
	s_mov_b32 s17, exec_lo
	v_cmpx_gt_u32_e32 8, v22
; %bb.285:                              ;   in Loop: Header=BB247_265 Depth=1
	s_delay_alu instid0(VALU_DEP_2) | instskip(NEXT) | instid1(VALU_DEP_1)
	v_clz_i32_u32_e32 v17, v17
	v_min_u32_e32 v17, 32, v17
	s_delay_alu instid0(VALU_DEP_1) | instskip(NEXT) | instid1(VALU_DEP_1)
	v_subrev_nc_u32_e32 v21, 28, v17
	v_lshlrev_b64_e32 v[22:23], v21, v[4:5]
	s_delay_alu instid0(VALU_DEP_1)
	v_dual_sub_nc_u32 v21, 29, v17 :: v_dual_bitop2_b32 v17, 7, v22 bitop3:0x40
; %bb.286:                              ;   in Loop: Header=BB247_265 Depth=1
	s_or_b32 exec_lo, exec_lo, s17
	s_delay_alu instid0(VALU_DEP_1) | instskip(NEXT) | instid1(VALU_DEP_2)
	v_dual_lshlrev_b32 v4, 8, v4 :: v_dual_lshlrev_b32 v17, 7, v17
	v_lshl_add_u32 v21, v21, 10, 0x2000
	s_delay_alu instid0(VALU_DEP_2) | instskip(NEXT) | instid1(VALU_DEP_2)
	v_and_b32_e32 v4, 0x8000, v4
	v_and_b32_e32 v21, 0xfc00, v21
	s_delay_alu instid0(VALU_DEP_1)
	v_or3_b32 v17, v4, v21, v17
.LBB247_287:                            ;   in Loop: Header=BB247_265 Depth=1
	s_or_b32 exec_lo, exec_lo, s16
.LBB247_288:                            ;   in Loop: Header=BB247_265 Depth=1
	s_delay_alu instid0(SALU_CYCLE_1)
	s_or_b32 exec_lo, exec_lo, s15
.LBB247_289:                            ;   in Loop: Header=BB247_265 Depth=1
	s_delay_alu instid0(SALU_CYCLE_1)
	s_or_b32 exec_lo, exec_lo, s1
	v_dual_mov_b32 v21, 0 :: v_dual_mov_b32 v22, 0
	s_mov_b32 s1, exec_lo
	v_cmpx_lt_u32_e32 0xffffff, v18
	s_cbranch_execz .LBB247_297
; %bb.290:                              ;   in Loop: Header=BB247_265 Depth=1
	v_lshrrev_b32_e32 v4, 24, v18
	v_bfrev_b32_e32 v22, 1
	s_mov_b32 s15, exec_lo
	s_delay_alu instid0(VALU_DEP_2)
	v_cmpx_ne_u32_e32 0x80, v4
	s_cbranch_execz .LBB247_296
; %bb.291:                              ;   in Loop: Header=BB247_265 Depth=1
	v_and_b32_e32 v24, 0x7f, v4
	v_mov_b32_e32 v22, 0x7c010000
	s_mov_b32 s16, exec_lo
	s_delay_alu instid0(VALU_DEP_2)
	v_cmpx_ne_u32_e32 0x7f, v24
	s_cbranch_execz .LBB247_295
; %bb.292:                              ;   in Loop: Header=BB247_265 Depth=1
	v_and_b32_e32 v22, 7, v4
	v_lshrrev_b32_e32 v23, 3, v24
	s_mov_b32 s17, exec_lo
	v_cmpx_gt_u32_e32 8, v24
; %bb.293:                              ;   in Loop: Header=BB247_265 Depth=1
	s_delay_alu instid0(VALU_DEP_3) | instskip(NEXT) | instid1(VALU_DEP_1)
	v_clz_i32_u32_e32 v22, v22
	v_min_u32_e32 v24, 32, v22
	s_delay_alu instid0(VALU_DEP_1) | instskip(NEXT) | instid1(VALU_DEP_1)
	v_subrev_nc_u32_e32 v22, 28, v24
	v_lshlrev_b64_e32 v[22:23], v22, v[4:5]
	s_delay_alu instid0(VALU_DEP_1)
	v_dual_sub_nc_u32 v23, 29, v24 :: v_dual_bitop2_b32 v22, 7, v22 bitop3:0x40
; %bb.294:                              ;   in Loop: Header=BB247_265 Depth=1
	s_or_b32 exec_lo, exec_lo, s17
	s_delay_alu instid0(VALU_DEP_1) | instskip(NEXT) | instid1(VALU_DEP_2)
	v_dual_lshlrev_b32 v4, 8, v4 :: v_dual_lshlrev_b32 v22, 23, v22
	v_lshl_add_u32 v23, v23, 10, 0x2000
	s_delay_alu instid0(VALU_DEP_1) | instskip(NEXT) | instid1(VALU_DEP_1)
	v_and_or_b32 v4, 0x8000, v4, v23
	v_lshl_or_b32 v22, v4, 16, v22
.LBB247_295:                            ;   in Loop: Header=BB247_265 Depth=1
	s_or_b32 exec_lo, exec_lo, s16
.LBB247_296:                            ;   in Loop: Header=BB247_265 Depth=1
	s_delay_alu instid0(SALU_CYCLE_1)
	s_or_b32 exec_lo, exec_lo, s15
.LBB247_297:                            ;   in Loop: Header=BB247_265 Depth=1
	s_delay_alu instid0(SALU_CYCLE_1) | instskip(SKIP_3) | instid1(VALU_DEP_2)
	s_or_b32 exec_lo, exec_lo, s1
	v_and_b32_e32 v23, 0xff, v19
	v_mov_b32_e32 v4, v19
	s_mov_b32 s1, exec_lo
	v_cmpx_ne_u16_e32 0, v23
	s_cbranch_execz .LBB247_305
; %bb.298:                              ;   in Loop: Header=BB247_265 Depth=1
	v_mov_b32_e32 v21, 0x8000
	s_mov_b32 s15, exec_lo
	v_cmpx_ne_u16_e32 0x80, v23
	s_cbranch_execz .LBB247_304
; %bb.299:                              ;   in Loop: Header=BB247_265 Depth=1
	v_and_b32_e32 v24, 0x7f, v19
	v_mov_b32_e32 v21, 0x7c01
	s_mov_b32 s16, exec_lo
	s_delay_alu instid0(VALU_DEP_2)
	v_cmpx_ne_u32_e32 0x7f, v24
	s_cbranch_execz .LBB247_303
; %bb.300:                              ;   in Loop: Header=BB247_265 Depth=1
	v_dual_lshrrev_b32 v23, 3, v24 :: v_dual_bitop2_b32 v21, 7, v19 bitop3:0x40
	s_mov_b32 s17, exec_lo
	v_cmpx_gt_u32_e32 8, v24
; %bb.301:                              ;   in Loop: Header=BB247_265 Depth=1
	s_delay_alu instid0(VALU_DEP_2) | instskip(NEXT) | instid1(VALU_DEP_1)
	v_clz_i32_u32_e32 v21, v21
	v_min_u32_e32 v21, 32, v21
	s_delay_alu instid0(VALU_DEP_1) | instskip(NEXT) | instid1(VALU_DEP_1)
	v_subrev_nc_u32_e32 v23, 28, v21
	v_lshlrev_b64_e32 v[24:25], v23, v[4:5]
	s_delay_alu instid0(VALU_DEP_1)
	v_dual_sub_nc_u32 v23, 29, v21 :: v_dual_bitop2_b32 v21, 7, v24 bitop3:0x40
; %bb.302:                              ;   in Loop: Header=BB247_265 Depth=1
	s_or_b32 exec_lo, exec_lo, s17
	s_delay_alu instid0(VALU_DEP_1) | instskip(NEXT) | instid1(VALU_DEP_2)
	v_dual_lshlrev_b32 v24, 8, v19 :: v_dual_lshlrev_b32 v21, 7, v21
	v_lshl_add_u32 v23, v23, 10, 0x2000
	s_delay_alu instid0(VALU_DEP_2) | instskip(NEXT) | instid1(VALU_DEP_2)
	v_and_b32_e32 v24, 0x8000, v24
	v_and_b32_e32 v23, 0xfc00, v23
	s_delay_alu instid0(VALU_DEP_1)
	v_or3_b32 v21, v24, v23, v21
.LBB247_303:                            ;   in Loop: Header=BB247_265 Depth=1
	s_or_b32 exec_lo, exec_lo, s16
.LBB247_304:                            ;   in Loop: Header=BB247_265 Depth=1
	s_delay_alu instid0(SALU_CYCLE_1)
	s_or_b32 exec_lo, exec_lo, s15
.LBB247_305:                            ;   in Loop: Header=BB247_265 Depth=1
	s_delay_alu instid0(SALU_CYCLE_1) | instskip(SKIP_3) | instid1(VALU_DEP_2)
	s_or_b32 exec_lo, exec_lo, s1
	v_lshrrev_b16 v4, 8, v4
	v_dual_mov_b32 v24, 0 :: v_dual_mov_b32 v23, 0
	s_mov_b32 s1, exec_lo
	v_cmpx_ne_u16_e32 0, v4
	s_cbranch_execz .LBB247_313
; %bb.306:                              ;   in Loop: Header=BB247_265 Depth=1
	v_bfrev_b32_e32 v23, 1
	s_mov_b32 s15, exec_lo
	v_cmpx_ne_u16_e32 0x80, v4
	s_cbranch_execz .LBB247_312
; %bb.307:                              ;   in Loop: Header=BB247_265 Depth=1
	v_and_b32_e32 v25, 0xffff, v4
	v_mov_b32_e32 v23, 0x7c010000
	s_mov_b32 s16, exec_lo
	s_delay_alu instid0(VALU_DEP_2) | instskip(NEXT) | instid1(VALU_DEP_1)
	v_and_b32_e32 v33, 0x7f, v25
	v_cmpx_ne_u32_e32 0x7f, v33
	s_cbranch_execz .LBB247_311
; %bb.308:                              ;   in Loop: Header=BB247_265 Depth=1
	v_and_b32_e32 v23, 7, v25
	v_lshrrev_b32_e32 v32, 3, v33
	s_mov_b32 s17, exec_lo
	v_cmpx_gt_u32_e32 8, v33
; %bb.309:                              ;   in Loop: Header=BB247_265 Depth=1
	s_delay_alu instid0(VALU_DEP_3) | instskip(NEXT) | instid1(VALU_DEP_1)
	v_clz_i32_u32_e32 v23, v23
	v_min_u32_e32 v23, 32, v23
	s_delay_alu instid0(VALU_DEP_1) | instskip(NEXT) | instid1(VALU_DEP_1)
	v_subrev_nc_u32_e32 v32, 28, v23
	v_lshlrev_b64_e32 v[44:45], v32, v[4:5]
	s_delay_alu instid0(VALU_DEP_1)
	v_dual_sub_nc_u32 v32, 29, v23 :: v_dual_bitop2_b32 v23, 7, v44 bitop3:0x40
; %bb.310:                              ;   in Loop: Header=BB247_265 Depth=1
	s_or_b32 exec_lo, exec_lo, s17
	s_delay_alu instid0(VALU_DEP_1) | instskip(NEXT) | instid1(VALU_DEP_2)
	v_dual_lshlrev_b32 v4, 8, v25 :: v_dual_lshlrev_b32 v23, 23, v23
	v_lshl_add_u32 v25, v32, 10, 0x2000
	s_delay_alu instid0(VALU_DEP_1) | instskip(NEXT) | instid1(VALU_DEP_1)
	v_and_or_b32 v4, 0x8000, v4, v25
	v_lshl_or_b32 v23, v4, 16, v23
.LBB247_311:                            ;   in Loop: Header=BB247_265 Depth=1
	s_or_b32 exec_lo, exec_lo, s16
.LBB247_312:                            ;   in Loop: Header=BB247_265 Depth=1
	s_delay_alu instid0(SALU_CYCLE_1)
	s_or_b32 exec_lo, exec_lo, s15
.LBB247_313:                            ;   in Loop: Header=BB247_265 Depth=1
	s_delay_alu instid0(SALU_CYCLE_1) | instskip(SKIP_2) | instid1(VALU_DEP_1)
	s_or_b32 exec_lo, exec_lo, s1
	v_lshrrev_b32_e32 v4, 16, v19
	s_mov_b32 s1, exec_lo
	v_and_b32_e32 v25, 0xff, v4
	s_delay_alu instid0(VALU_DEP_1)
	v_cmpx_ne_u16_e32 0, v25
	s_cbranch_execz .LBB247_321
; %bb.314:                              ;   in Loop: Header=BB247_265 Depth=1
	v_mov_b32_e32 v24, 0x8000
	s_mov_b32 s15, exec_lo
	v_cmpx_ne_u16_e32 0x80, v25
	s_cbranch_execz .LBB247_320
; %bb.315:                              ;   in Loop: Header=BB247_265 Depth=1
	v_bfe_u32 v32, v19, 16, 7
	v_mov_b32_e32 v24, 0x7c01
	s_mov_b32 s16, exec_lo
	s_delay_alu instid0(VALU_DEP_2)
	v_cmpx_ne_u32_e32 0x7f, v32
	s_cbranch_execz .LBB247_319
; %bb.316:                              ;   in Loop: Header=BB247_265 Depth=1
	v_and_b32_e32 v24, 7, v4
	v_lshrrev_b32_e32 v25, 3, v32
	s_mov_b32 s17, exec_lo
	v_cmpx_gt_u32_e32 8, v32
; %bb.317:                              ;   in Loop: Header=BB247_265 Depth=1
	s_delay_alu instid0(VALU_DEP_3) | instskip(NEXT) | instid1(VALU_DEP_1)
	v_clz_i32_u32_e32 v24, v24
	v_min_u32_e32 v32, 32, v24
	s_delay_alu instid0(VALU_DEP_1) | instskip(NEXT) | instid1(VALU_DEP_1)
	v_subrev_nc_u32_e32 v24, 28, v32
	v_lshlrev_b64_e32 v[24:25], v24, v[4:5]
	v_sub_nc_u32_e32 v25, 29, v32
	s_delay_alu instid0(VALU_DEP_2)
	v_and_b32_e32 v24, 7, v24
; %bb.318:                              ;   in Loop: Header=BB247_265 Depth=1
	s_or_b32 exec_lo, exec_lo, s17
	v_lshlrev_b32_e32 v4, 8, v4
	s_delay_alu instid0(VALU_DEP_3) | instskip(NEXT) | instid1(VALU_DEP_3)
	v_lshl_add_u32 v25, v25, 10, 0x2000
	v_lshlrev_b32_e32 v24, 7, v24
	s_delay_alu instid0(VALU_DEP_3) | instskip(NEXT) | instid1(VALU_DEP_3)
	v_and_b32_e32 v4, 0x8000, v4
	v_and_b32_e32 v25, 0xfc00, v25
	s_delay_alu instid0(VALU_DEP_1)
	v_or3_b32 v24, v4, v25, v24
.LBB247_319:                            ;   in Loop: Header=BB247_265 Depth=1
	s_or_b32 exec_lo, exec_lo, s16
.LBB247_320:                            ;   in Loop: Header=BB247_265 Depth=1
	s_delay_alu instid0(SALU_CYCLE_1)
	s_or_b32 exec_lo, exec_lo, s15
.LBB247_321:                            ;   in Loop: Header=BB247_265 Depth=1
	s_delay_alu instid0(SALU_CYCLE_1)
	s_or_b32 exec_lo, exec_lo, s1
	v_cmp_lt_u64_e64 s0, s[4:5], v[18:19]
	v_mov_b32_e32 v18, 0
	s_and_saveexec_b32 s1, s0
	s_cbranch_execz .LBB247_329
; %bb.322:                              ;   in Loop: Header=BB247_265 Depth=1
	v_lshrrev_b32_e32 v4, 24, v19
	v_bfrev_b32_e32 v18, 1
	s_mov_b32 s15, exec_lo
	s_delay_alu instid0(VALU_DEP_2)
	v_cmpx_ne_u32_e32 0x80, v4
	s_cbranch_execz .LBB247_328
; %bb.323:                              ;   in Loop: Header=BB247_265 Depth=1
	v_and_b32_e32 v25, 0x7f, v4
	v_mov_b32_e32 v18, 0x7c010000
	s_mov_b32 s16, exec_lo
	s_delay_alu instid0(VALU_DEP_2)
	v_cmpx_ne_u32_e32 0x7f, v25
	s_cbranch_execz .LBB247_327
; %bb.324:                              ;   in Loop: Header=BB247_265 Depth=1
	v_dual_lshrrev_b32 v19, 3, v25 :: v_dual_bitop2_b32 v18, 7, v4 bitop3:0x40
	s_mov_b32 s17, exec_lo
	v_cmpx_gt_u32_e32 8, v25
; %bb.325:                              ;   in Loop: Header=BB247_265 Depth=1
	s_delay_alu instid0(VALU_DEP_2) | instskip(NEXT) | instid1(VALU_DEP_1)
	v_clz_i32_u32_e32 v18, v18
	v_min_u32_e32 v25, 32, v18
	s_delay_alu instid0(VALU_DEP_1) | instskip(NEXT) | instid1(VALU_DEP_1)
	v_subrev_nc_u32_e32 v18, 28, v25
	v_lshlrev_b64_e32 v[18:19], v18, v[4:5]
	s_delay_alu instid0(VALU_DEP_1)
	v_dual_sub_nc_u32 v19, 29, v25 :: v_dual_bitop2_b32 v18, 7, v18 bitop3:0x40
; %bb.326:                              ;   in Loop: Header=BB247_265 Depth=1
	s_or_b32 exec_lo, exec_lo, s17
	s_delay_alu instid0(VALU_DEP_1) | instskip(NEXT) | instid1(VALU_DEP_2)
	v_dual_lshlrev_b32 v4, 8, v4 :: v_dual_lshlrev_b32 v18, 23, v18
	v_lshl_add_u32 v19, v19, 10, 0x2000
	s_delay_alu instid0(VALU_DEP_1) | instskip(NEXT) | instid1(VALU_DEP_1)
	v_and_or_b32 v4, 0x8000, v4, v19
	v_lshl_or_b32 v18, v4, 16, v18
.LBB247_327:                            ;   in Loop: Header=BB247_265 Depth=1
	s_or_b32 exec_lo, exec_lo, s16
.LBB247_328:                            ;   in Loop: Header=BB247_265 Depth=1
	s_delay_alu instid0(SALU_CYCLE_1)
	s_or_b32 exec_lo, exec_lo, s15
.LBB247_329:                            ;   in Loop: Header=BB247_265 Depth=1
	s_delay_alu instid0(SALU_CYCLE_1) | instskip(SKIP_3) | instid1(VALU_DEP_3)
	s_or_b32 exec_lo, exec_lo, s1
	v_dual_lshrrev_b32 v4, 16, v20 :: v_dual_lshrrev_b32 v19, 16, v22
	v_dual_lshrrev_b32 v20, 16, v23 :: v_dual_bitop2_b32 v1, v20, v1 bitop3:0x54
	v_dual_lshrrev_b32 v22, 16, v18 :: v_dual_bitop2_b32 v17, v22, v17 bitop3:0x54
	v_cvt_f32_f16_e32 v33, v4
	s_delay_alu instid0(VALU_DEP_4) | instskip(SKIP_1) | instid1(VALU_DEP_4)
	v_cvt_f32_f16_e32 v32, v19
	v_or_b32_e32 v4, v18, v24
	v_cvt_f32_f16_e32 v18, v17
	v_cvt_f32_f16_e32 v19, v1
	v_cmp_eq_u32_e64 s0, s8, v31
	s_wait_loadcnt 0x0
	v_pk_mul_f32 v[24:25], v[16:17], v[32:33] op_sel_hi:[0,1]
	v_or_b32_e32 v17, v23, v21
	v_cvt_f32_f16_e32 v21, v20
	v_cvt_f32_f16_e32 v20, v22
	v_cvt_f32_f16_e32 v22, v4
	v_cvt_pk_f16_f32 v1, v24, v25
	v_pk_mul_f32 v[18:19], v[16:17], v[18:19] op_sel_hi:[0,1]
	s_delay_alu instid0(VALU_DEP_1) | instskip(NEXT) | instid1(VALU_DEP_3)
	v_cvt_pk_f16_f32 v4, v18, v19
	v_and_b32_e32 v19, 0xffff0000, v1
	s_delay_alu instid0(VALU_DEP_2) | instskip(SKIP_3) | instid1(VALU_DEP_3)
	v_lshrrev_b32_e32 v25, 16, v4
	v_cvt_f32_f16_e32 v23, v17
	v_pk_mul_f32 v[20:21], v[16:17], v[20:21] op_sel_hi:[0,1]
	v_and_b32_e32 v24, 0xffff, v4
	v_pk_mul_f32 v[22:23], v[16:17], v[22:23] op_sel_hi:[0,1]
	s_delay_alu instid0(VALU_DEP_3) | instskip(SKIP_1) | instid1(VALU_DEP_3)
	v_cvt_pk_f16_f32 v17, v20, v21
	v_lshlrev_b32_e32 v16, 16, v1
	v_cvt_pk_f16_f32 v18, v22, v23
	s_delay_alu instid0(VALU_DEP_3) | instskip(SKIP_2) | instid1(VALU_DEP_4)
	v_and_b32_e32 v1, 0xffff0000, v17
	v_lshlrev_b32_e32 v4, 16, v17
	v_or_b32_e32 v23, v19, v25
	v_dual_lshrrev_b32 v17, 16, v18 :: v_dual_bitop2_b32 v22, v16, v24 bitop3:0x54
	v_and_b32_e32 v18, 0xffff, v18
	s_delay_alu instid0(VALU_DEP_2) | instskip(NEXT) | instid1(VALU_DEP_2)
	v_or_b32_e32 v21, v1, v17
	v_or_b32_e32 v20, v4, v18
	s_and_saveexec_b32 s15, s0
	s_cbranch_execz .LBB247_331
; %bb.330:                              ;   in Loop: Header=BB247_265 Depth=1
	v_dual_add_nc_u32 v20, 2, v29 :: v_dual_bitop2_b32 v21, 1, v29 bitop3:0x54
	v_cmp_gt_i32_e64 s1, s14, v29
	s_delay_alu instid0(VALU_DEP_1) | instskip(NEXT) | instid1(VALU_DEP_3)
	v_cndmask_b32_e64 v23, 0, v25, s1
	v_cmp_gt_i32_e64 s1, s23, v20
	v_or_b32_e32 v22, 3, v29
	s_delay_alu instid0(VALU_DEP_2) | instskip(SKIP_1) | instid1(VALU_DEP_1)
	v_dual_cndmask_b32 v20, 0, v24, s1 :: v_dual_bitop2_b32 v25, 7, v29 bitop3:0x54
	v_cmp_gt_i32_e64 s1, s14, v21
	v_dual_cndmask_b32 v19, 0, v19, s1 :: v_dual_bitop2_b32 v24, 5, v29 bitop3:0x54
	s_delay_alu instid0(VALU_DEP_4) | instskip(SKIP_2) | instid1(VALU_DEP_3)
	v_cmp_gt_i32_e64 s1, s23, v22
	v_or_b32_e32 v21, 4, v29
	v_or_b32_e32 v22, 6, v29
	v_dual_cndmask_b32 v16, 0, v16, s1 :: v_dual_bitop2_b32 v23, v19, v23 bitop3:0x54
	s_delay_alu instid0(VALU_DEP_3) | instskip(NEXT) | instid1(VALU_DEP_1)
	v_cmp_gt_i32_e64 s1, s14, v21
	v_cndmask_b32_e64 v17, 0, v17, s1
	s_delay_alu instid0(VALU_DEP_4) | instskip(NEXT) | instid1(VALU_DEP_1)
	v_cmp_gt_i32_e64 s1, s23, v22
	v_dual_cndmask_b32 v18, 0, v18, s1 :: v_dual_bitop2_b32 v22, v16, v20 bitop3:0x54
	v_cmp_gt_i32_e64 s1, s14, v24
	s_delay_alu instid0(VALU_DEP_1) | instskip(SKIP_1) | instid1(VALU_DEP_1)
	v_cndmask_b32_e64 v1, 0, v1, s1
	v_cmp_gt_i32_e64 s1, s23, v25
	v_dual_cndmask_b32 v4, 0, v4, s1 :: v_dual_bitop2_b32 v21, v1, v17 bitop3:0x54
	s_delay_alu instid0(VALU_DEP_1)
	v_or_b32_e32 v20, v4, v18
.LBB247_331:                            ;   in Loop: Header=BB247_265 Depth=1
	s_or_b32 exec_lo, exec_lo, s15
	v_and_b32_e32 v1, 0xffff, v39
	v_and_b32_e32 v4, 0xffff, v40
	;; [unrolled: 1-line block ×4, first 2 shown]
	s_mov_b32 s15, exec_lo
	v_lshl_or_b32 v41, v36, 16, v1
	;;#ASMSTART
	v_pk_mul_f16 v1, v41, v23;

	;;#ASMEND
	v_lshl_or_b32 v40, v37, 16, v4
	v_lshl_or_b32 v39, v38, 16, v16
	v_lshl_or_b32 v38, v42, 16, v17
	;;#ASMSTART
	v_pk_mul_f16 v4, v40, v22;

	;;#ASMEND
	;;#ASMSTART
	v_pk_mul_f16 v16, v39, v21;

	;;#ASMEND
	;; [unrolled: 4-line block ×3, first 2 shown]
	;;#ASMSTART
	v_pk_add_f16 v1, v1, v4;

	;;#ASMEND
	;;#ASMSTART
	v_pk_add_f16 v1, v1, v16;

	;;#ASMEND
	;; [unrolled: 4-line block ×3, first 2 shown]
	v_and_b32_e32 v4, 0xffff, v1
	v_dual_lshrrev_b32 v1, 16, v1 :: v_dual_mov_b32 v17, 0
	;;#ASMSTART
	v_cvt_f32_f16 v36, v4;
	;;#ASMEND
	;;#ASMSTART
	v_cvt_f32_f16 v37, v1;
	;;#ASMEND
	global_load_b64 v[18:19], v[14:15], off offset:256
	v_mov_b32_e32 v1, 0
	global_load_b32 v16, v1, s[10:11]
	s_wait_loadcnt 0x1
	v_and_b32_e32 v4, 0xff, v18
	s_wait_xcnt 0x0
	s_delay_alu instid0(VALU_DEP_1)
	v_cmpx_ne_u16_e32 0, v4
	s_cbranch_execz .LBB247_339
; %bb.332:                              ;   in Loop: Header=BB247_265 Depth=1
	v_mov_b32_e32 v17, 0x8000
	s_mov_b32 s16, exec_lo
	v_cmpx_ne_u16_e32 0x80, v4
	s_cbranch_execz .LBB247_338
; %bb.333:                              ;   in Loop: Header=BB247_265 Depth=1
	v_and_b32_e32 v20, 0x7f, v18
	v_mov_b32_e32 v17, 0x7c01
	s_mov_b32 s17, exec_lo
	s_delay_alu instid0(VALU_DEP_2)
	v_cmpx_ne_u32_e32 0x7f, v20
	s_cbranch_execz .LBB247_337
; %bb.334:                              ;   in Loop: Header=BB247_265 Depth=1
	v_dual_lshrrev_b32 v17, 3, v20 :: v_dual_bitop2_b32 v4, 7, v18 bitop3:0x40
	s_mov_b32 s18, exec_lo
	v_cmpx_gt_u32_e32 8, v20
; %bb.335:                              ;   in Loop: Header=BB247_265 Depth=1
	s_delay_alu instid0(VALU_DEP_2) | instskip(NEXT) | instid1(VALU_DEP_1)
	v_clz_i32_u32_e32 v4, v4
	v_min_u32_e32 v4, 32, v4
	s_delay_alu instid0(VALU_DEP_1) | instskip(NEXT) | instid1(VALU_DEP_1)
	v_subrev_nc_u32_e32 v17, 28, v4
	v_lshlrev_b64_e32 v[20:21], v17, v[18:19]
	v_sub_nc_u32_e32 v17, 29, v4
	s_delay_alu instid0(VALU_DEP_2)
	v_and_b32_e32 v4, 7, v20
; %bb.336:                              ;   in Loop: Header=BB247_265 Depth=1
	s_or_b32 exec_lo, exec_lo, s18
	s_delay_alu instid0(VALU_DEP_1) | instskip(NEXT) | instid1(VALU_DEP_3)
	v_dual_lshlrev_b32 v20, 8, v18 :: v_dual_lshlrev_b32 v4, 7, v4
	v_lshl_add_u32 v17, v17, 10, 0x2000
	s_delay_alu instid0(VALU_DEP_2) | instskip(NEXT) | instid1(VALU_DEP_2)
	v_and_b32_e32 v20, 0x8000, v20
	v_and_b32_e32 v17, 0xfc00, v17
	s_delay_alu instid0(VALU_DEP_1)
	v_or3_b32 v17, v20, v17, v4
.LBB247_337:                            ;   in Loop: Header=BB247_265 Depth=1
	s_or_b32 exec_lo, exec_lo, s17
.LBB247_338:                            ;   in Loop: Header=BB247_265 Depth=1
	s_delay_alu instid0(SALU_CYCLE_1)
	s_or_b32 exec_lo, exec_lo, s16
.LBB247_339:                            ;   in Loop: Header=BB247_265 Depth=1
	s_delay_alu instid0(SALU_CYCLE_1) | instskip(SKIP_2) | instid1(VALU_DEP_1)
	s_or_b32 exec_lo, exec_lo, s15
	v_lshrrev_b16 v4, 8, v18
	s_mov_b32 s15, exec_lo
	v_cmpx_ne_u16_e32 0, v4
	s_cbranch_execz .LBB247_347
; %bb.340:                              ;   in Loop: Header=BB247_265 Depth=1
	v_bfrev_b32_e32 v1, 1
	s_mov_b32 s16, exec_lo
	v_cmpx_ne_u16_e32 0x80, v4
	s_cbranch_execz .LBB247_346
; %bb.341:                              ;   in Loop: Header=BB247_265 Depth=1
	v_and_b32_e32 v20, 0xffff, v4
	v_mov_b32_e32 v1, 0x7c010000
	s_mov_b32 s17, exec_lo
	s_delay_alu instid0(VALU_DEP_2) | instskip(NEXT) | instid1(VALU_DEP_1)
	v_and_b32_e32 v22, 0x7f, v20
	v_cmpx_ne_u32_e32 0x7f, v22
	s_cbranch_execz .LBB247_345
; %bb.342:                              ;   in Loop: Header=BB247_265 Depth=1
	v_dual_lshrrev_b32 v21, 3, v22 :: v_dual_bitop2_b32 v1, 7, v20 bitop3:0x40
	s_mov_b32 s18, exec_lo
	v_cmpx_gt_u32_e32 8, v22
; %bb.343:                              ;   in Loop: Header=BB247_265 Depth=1
	s_delay_alu instid0(VALU_DEP_2) | instskip(NEXT) | instid1(VALU_DEP_1)
	v_clz_i32_u32_e32 v1, v1
	v_min_u32_e32 v1, 32, v1
	s_delay_alu instid0(VALU_DEP_1) | instskip(NEXT) | instid1(VALU_DEP_1)
	v_subrev_nc_u32_e32 v21, 28, v1
	v_lshlrev_b64_e32 v[22:23], v21, v[4:5]
	s_delay_alu instid0(VALU_DEP_1)
	v_dual_sub_nc_u32 v21, 29, v1 :: v_dual_bitop2_b32 v1, 7, v22 bitop3:0x40
; %bb.344:                              ;   in Loop: Header=BB247_265 Depth=1
	s_or_b32 exec_lo, exec_lo, s18
	s_delay_alu instid0(VALU_DEP_1) | instskip(NEXT) | instid1(VALU_DEP_2)
	v_dual_lshlrev_b32 v4, 8, v20 :: v_dual_lshlrev_b32 v1, 23, v1
	v_lshl_add_u32 v20, v21, 10, 0x2000
	s_delay_alu instid0(VALU_DEP_1) | instskip(NEXT) | instid1(VALU_DEP_1)
	v_and_or_b32 v4, 0x8000, v4, v20
	v_lshl_or_b32 v1, v4, 16, v1
.LBB247_345:                            ;   in Loop: Header=BB247_265 Depth=1
	s_or_b32 exec_lo, exec_lo, s17
.LBB247_346:                            ;   in Loop: Header=BB247_265 Depth=1
	s_delay_alu instid0(SALU_CYCLE_1)
	s_or_b32 exec_lo, exec_lo, s16
.LBB247_347:                            ;   in Loop: Header=BB247_265 Depth=1
	s_delay_alu instid0(SALU_CYCLE_1) | instskip(SKIP_3) | instid1(VALU_DEP_2)
	s_or_b32 exec_lo, exec_lo, s15
	v_dual_lshrrev_b32 v4, 16, v18 :: v_dual_mov_b32 v20, 0
	v_mov_b32_e32 v21, 0
	s_mov_b32 s15, exec_lo
	v_and_b32_e32 v22, 0xff, v4
	s_delay_alu instid0(VALU_DEP_1)
	v_cmpx_ne_u16_e32 0, v22
	s_cbranch_execz .LBB247_355
; %bb.348:                              ;   in Loop: Header=BB247_265 Depth=1
	v_mov_b32_e32 v21, 0x8000
	s_mov_b32 s16, exec_lo
	v_cmpx_ne_u16_e32 0x80, v22
	s_cbranch_execz .LBB247_354
; %bb.349:                              ;   in Loop: Header=BB247_265 Depth=1
	v_bfe_u32 v23, v18, 16, 7
	v_mov_b32_e32 v21, 0x7c01
	s_mov_b32 s17, exec_lo
	s_delay_alu instid0(VALU_DEP_2)
	v_cmpx_ne_u32_e32 0x7f, v23
	s_cbranch_execz .LBB247_353
; %bb.350:                              ;   in Loop: Header=BB247_265 Depth=1
	v_dual_lshrrev_b32 v22, 3, v23 :: v_dual_bitop2_b32 v21, 7, v4 bitop3:0x40
	s_mov_b32 s18, exec_lo
	v_cmpx_gt_u32_e32 8, v23
; %bb.351:                              ;   in Loop: Header=BB247_265 Depth=1
	s_delay_alu instid0(VALU_DEP_2) | instskip(NEXT) | instid1(VALU_DEP_1)
	v_clz_i32_u32_e32 v21, v21
	v_min_u32_e32 v21, 32, v21
	s_delay_alu instid0(VALU_DEP_1) | instskip(NEXT) | instid1(VALU_DEP_1)
	v_subrev_nc_u32_e32 v22, 28, v21
	v_lshlrev_b64_e32 v[24:25], v22, v[4:5]
	s_delay_alu instid0(VALU_DEP_1)
	v_dual_sub_nc_u32 v22, 29, v21 :: v_dual_bitop2_b32 v21, 7, v24 bitop3:0x40
; %bb.352:                              ;   in Loop: Header=BB247_265 Depth=1
	s_or_b32 exec_lo, exec_lo, s18
	s_delay_alu instid0(VALU_DEP_1) | instskip(NEXT) | instid1(VALU_DEP_2)
	v_dual_lshlrev_b32 v4, 8, v4 :: v_dual_lshlrev_b32 v21, 7, v21
	v_lshl_add_u32 v22, v22, 10, 0x2000
	s_delay_alu instid0(VALU_DEP_2) | instskip(NEXT) | instid1(VALU_DEP_2)
	v_and_b32_e32 v4, 0x8000, v4
	v_and_b32_e32 v22, 0xfc00, v22
	s_delay_alu instid0(VALU_DEP_1)
	v_or3_b32 v21, v4, v22, v21
.LBB247_353:                            ;   in Loop: Header=BB247_265 Depth=1
	s_or_b32 exec_lo, exec_lo, s17
.LBB247_354:                            ;   in Loop: Header=BB247_265 Depth=1
	s_delay_alu instid0(SALU_CYCLE_1)
	s_or_b32 exec_lo, exec_lo, s16
.LBB247_355:                            ;   in Loop: Header=BB247_265 Depth=1
	s_delay_alu instid0(SALU_CYCLE_1) | instskip(NEXT) | instid1(SALU_CYCLE_1)
	s_or_b32 exec_lo, exec_lo, s15
	s_mov_b32 s15, exec_lo
	v_cmpx_lt_u32_e32 0xffffff, v18
	s_cbranch_execz .LBB247_363
; %bb.356:                              ;   in Loop: Header=BB247_265 Depth=1
	v_lshrrev_b32_e32 v4, 24, v18
	v_bfrev_b32_e32 v20, 1
	s_mov_b32 s16, exec_lo
	s_delay_alu instid0(VALU_DEP_2)
	v_cmpx_ne_u32_e32 0x80, v4
	s_cbranch_execz .LBB247_362
; %bb.357:                              ;   in Loop: Header=BB247_265 Depth=1
	v_and_b32_e32 v23, 0x7f, v4
	v_mov_b32_e32 v20, 0x7c010000
	s_mov_b32 s17, exec_lo
	s_delay_alu instid0(VALU_DEP_2)
	v_cmpx_ne_u32_e32 0x7f, v23
	s_cbranch_execz .LBB247_361
; %bb.358:                              ;   in Loop: Header=BB247_265 Depth=1
	v_dual_lshrrev_b32 v22, 3, v23 :: v_dual_bitop2_b32 v20, 7, v4 bitop3:0x40
	s_mov_b32 s18, exec_lo
	v_cmpx_gt_u32_e32 8, v23
; %bb.359:                              ;   in Loop: Header=BB247_265 Depth=1
	s_delay_alu instid0(VALU_DEP_2) | instskip(NEXT) | instid1(VALU_DEP_1)
	v_clz_i32_u32_e32 v20, v20
	v_min_u32_e32 v20, 32, v20
	s_delay_alu instid0(VALU_DEP_1) | instskip(NEXT) | instid1(VALU_DEP_1)
	v_subrev_nc_u32_e32 v22, 28, v20
	v_lshlrev_b64_e32 v[24:25], v22, v[4:5]
	v_sub_nc_u32_e32 v22, 29, v20
	s_delay_alu instid0(VALU_DEP_2)
	v_and_b32_e32 v20, 7, v24
; %bb.360:                              ;   in Loop: Header=BB247_265 Depth=1
	s_or_b32 exec_lo, exec_lo, s18
	v_lshlrev_b32_e32 v4, 8, v4
	s_delay_alu instid0(VALU_DEP_3) | instskip(NEXT) | instid1(VALU_DEP_3)
	v_lshl_add_u32 v22, v22, 10, 0x2000
	v_lshlrev_b32_e32 v20, 23, v20
	s_delay_alu instid0(VALU_DEP_2) | instskip(NEXT) | instid1(VALU_DEP_1)
	v_and_or_b32 v4, 0x8000, v4, v22
	v_lshl_or_b32 v20, v4, 16, v20
.LBB247_361:                            ;   in Loop: Header=BB247_265 Depth=1
	s_or_b32 exec_lo, exec_lo, s17
.LBB247_362:                            ;   in Loop: Header=BB247_265 Depth=1
	s_delay_alu instid0(SALU_CYCLE_1)
	s_or_b32 exec_lo, exec_lo, s16
.LBB247_363:                            ;   in Loop: Header=BB247_265 Depth=1
	s_delay_alu instid0(SALU_CYCLE_1) | instskip(SKIP_4) | instid1(VALU_DEP_3)
	s_or_b32 exec_lo, exec_lo, s15
	v_and_b32_e32 v24, 0xff, v19
	v_dual_mov_b32 v4, v19 :: v_dual_mov_b32 v23, 0
	v_mov_b32_e32 v22, 0
	s_mov_b32 s15, exec_lo
	v_cmpx_ne_u16_e32 0, v24
	s_cbranch_execz .LBB247_371
; %bb.364:                              ;   in Loop: Header=BB247_265 Depth=1
	v_mov_b32_e32 v22, 0x8000
	s_mov_b32 s16, exec_lo
	v_cmpx_ne_u16_e32 0x80, v24
	s_cbranch_execz .LBB247_370
; %bb.365:                              ;   in Loop: Header=BB247_265 Depth=1
	v_and_b32_e32 v25, 0x7f, v19
	v_mov_b32_e32 v22, 0x7c01
	s_mov_b32 s17, exec_lo
	s_delay_alu instid0(VALU_DEP_2)
	v_cmpx_ne_u32_e32 0x7f, v25
	s_cbranch_execz .LBB247_369
; %bb.366:                              ;   in Loop: Header=BB247_265 Depth=1
	v_dual_lshrrev_b32 v24, 3, v25 :: v_dual_bitop2_b32 v22, 7, v19 bitop3:0x40
	s_mov_b32 s18, exec_lo
	v_cmpx_gt_u32_e32 8, v25
; %bb.367:                              ;   in Loop: Header=BB247_265 Depth=1
	s_delay_alu instid0(VALU_DEP_2) | instskip(NEXT) | instid1(VALU_DEP_1)
	v_clz_i32_u32_e32 v22, v22
	v_min_u32_e32 v22, 32, v22
	s_delay_alu instid0(VALU_DEP_1) | instskip(NEXT) | instid1(VALU_DEP_1)
	v_subrev_nc_u32_e32 v24, 28, v22
	v_lshlrev_b64_e32 v[32:33], v24, v[4:5]
	s_delay_alu instid0(VALU_DEP_1)
	v_dual_sub_nc_u32 v24, 29, v22 :: v_dual_bitop2_b32 v22, 7, v32 bitop3:0x40
; %bb.368:                              ;   in Loop: Header=BB247_265 Depth=1
	s_or_b32 exec_lo, exec_lo, s18
	s_delay_alu instid0(VALU_DEP_1) | instskip(NEXT) | instid1(VALU_DEP_2)
	v_dual_lshlrev_b32 v25, 8, v19 :: v_dual_lshlrev_b32 v22, 7, v22
	v_lshl_add_u32 v24, v24, 10, 0x2000
	s_delay_alu instid0(VALU_DEP_2) | instskip(NEXT) | instid1(VALU_DEP_2)
	v_and_b32_e32 v25, 0x8000, v25
	v_and_b32_e32 v24, 0xfc00, v24
	s_delay_alu instid0(VALU_DEP_1)
	v_or3_b32 v22, v25, v24, v22
.LBB247_369:                            ;   in Loop: Header=BB247_265 Depth=1
	s_or_b32 exec_lo, exec_lo, s17
.LBB247_370:                            ;   in Loop: Header=BB247_265 Depth=1
	s_delay_alu instid0(SALU_CYCLE_1)
	s_or_b32 exec_lo, exec_lo, s16
.LBB247_371:                            ;   in Loop: Header=BB247_265 Depth=1
	s_delay_alu instid0(SALU_CYCLE_1) | instskip(SKIP_3) | instid1(VALU_DEP_2)
	s_or_b32 exec_lo, exec_lo, s15
	v_lshrrev_b16 v4, 8, v4
	v_mov_b32_e32 v24, 0
	s_mov_b32 s15, exec_lo
	v_cmpx_ne_u16_e32 0, v4
	s_cbranch_execz .LBB247_379
; %bb.372:                              ;   in Loop: Header=BB247_265 Depth=1
	v_bfrev_b32_e32 v24, 1
	s_mov_b32 s16, exec_lo
	v_cmpx_ne_u16_e32 0x80, v4
	s_cbranch_execz .LBB247_378
; %bb.373:                              ;   in Loop: Header=BB247_265 Depth=1
	v_and_b32_e32 v25, 0xffff, v4
	v_mov_b32_e32 v24, 0x7c010000
	s_mov_b32 s17, exec_lo
	s_delay_alu instid0(VALU_DEP_2) | instskip(NEXT) | instid1(VALU_DEP_1)
	v_and_b32_e32 v33, 0x7f, v25
	v_cmpx_ne_u32_e32 0x7f, v33
	s_cbranch_execz .LBB247_377
; %bb.374:                              ;   in Loop: Header=BB247_265 Depth=1
	v_and_b32_e32 v24, 7, v25
	v_lshrrev_b32_e32 v32, 3, v33
	s_mov_b32 s18, exec_lo
	v_cmpx_gt_u32_e32 8, v33
; %bb.375:                              ;   in Loop: Header=BB247_265 Depth=1
	s_delay_alu instid0(VALU_DEP_3) | instskip(NEXT) | instid1(VALU_DEP_1)
	v_clz_i32_u32_e32 v24, v24
	v_min_u32_e32 v24, 32, v24
	s_delay_alu instid0(VALU_DEP_1) | instskip(NEXT) | instid1(VALU_DEP_1)
	v_subrev_nc_u32_e32 v32, 28, v24
	v_lshlrev_b64_e32 v[42:43], v32, v[4:5]
	s_delay_alu instid0(VALU_DEP_1)
	v_dual_sub_nc_u32 v32, 29, v24 :: v_dual_bitop2_b32 v24, 7, v42 bitop3:0x40
; %bb.376:                              ;   in Loop: Header=BB247_265 Depth=1
	s_or_b32 exec_lo, exec_lo, s18
	s_delay_alu instid0(VALU_DEP_1) | instskip(NEXT) | instid1(VALU_DEP_2)
	v_dual_lshlrev_b32 v4, 8, v25 :: v_dual_lshlrev_b32 v24, 23, v24
	v_lshl_add_u32 v25, v32, 10, 0x2000
	s_delay_alu instid0(VALU_DEP_1) | instskip(NEXT) | instid1(VALU_DEP_1)
	v_and_or_b32 v4, 0x8000, v4, v25
	v_lshl_or_b32 v24, v4, 16, v24
.LBB247_377:                            ;   in Loop: Header=BB247_265 Depth=1
	s_or_b32 exec_lo, exec_lo, s17
.LBB247_378:                            ;   in Loop: Header=BB247_265 Depth=1
	s_delay_alu instid0(SALU_CYCLE_1)
	s_or_b32 exec_lo, exec_lo, s16
.LBB247_379:                            ;   in Loop: Header=BB247_265 Depth=1
	s_delay_alu instid0(SALU_CYCLE_1) | instskip(SKIP_2) | instid1(VALU_DEP_1)
	s_or_b32 exec_lo, exec_lo, s15
	v_lshrrev_b32_e32 v4, 16, v19
	s_mov_b32 s15, exec_lo
	v_and_b32_e32 v25, 0xff, v4
	s_delay_alu instid0(VALU_DEP_1)
	v_cmpx_ne_u16_e32 0, v25
	s_cbranch_execz .LBB247_387
; %bb.380:                              ;   in Loop: Header=BB247_265 Depth=1
	v_mov_b32_e32 v23, 0x8000
	s_mov_b32 s16, exec_lo
	v_cmpx_ne_u16_e32 0x80, v25
	s_cbranch_execz .LBB247_386
; %bb.381:                              ;   in Loop: Header=BB247_265 Depth=1
	v_bfe_u32 v32, v19, 16, 7
	v_mov_b32_e32 v23, 0x7c01
	s_mov_b32 s17, exec_lo
	s_delay_alu instid0(VALU_DEP_2)
	v_cmpx_ne_u32_e32 0x7f, v32
	s_cbranch_execz .LBB247_385
; %bb.382:                              ;   in Loop: Header=BB247_265 Depth=1
	v_and_b32_e32 v23, 7, v4
	v_lshrrev_b32_e32 v25, 3, v32
	s_mov_b32 s18, exec_lo
	v_cmpx_gt_u32_e32 8, v32
; %bb.383:                              ;   in Loop: Header=BB247_265 Depth=1
	s_delay_alu instid0(VALU_DEP_3) | instskip(NEXT) | instid1(VALU_DEP_1)
	v_clz_i32_u32_e32 v23, v23
	v_min_u32_e32 v23, 32, v23
	s_delay_alu instid0(VALU_DEP_1) | instskip(NEXT) | instid1(VALU_DEP_1)
	v_subrev_nc_u32_e32 v25, 28, v23
	v_lshlrev_b64_e32 v[32:33], v25, v[4:5]
	s_delay_alu instid0(VALU_DEP_1)
	v_dual_sub_nc_u32 v25, 29, v23 :: v_dual_bitop2_b32 v23, 7, v32 bitop3:0x40
; %bb.384:                              ;   in Loop: Header=BB247_265 Depth=1
	s_or_b32 exec_lo, exec_lo, s18
	s_delay_alu instid0(VALU_DEP_1) | instskip(NEXT) | instid1(VALU_DEP_2)
	v_dual_lshlrev_b32 v4, 8, v4 :: v_dual_lshlrev_b32 v23, 7, v23
	v_lshl_add_u32 v25, v25, 10, 0x2000
	s_delay_alu instid0(VALU_DEP_2) | instskip(NEXT) | instid1(VALU_DEP_2)
	v_and_b32_e32 v4, 0x8000, v4
	v_and_b32_e32 v25, 0xfc00, v25
	s_delay_alu instid0(VALU_DEP_1)
	v_or3_b32 v23, v4, v25, v23
.LBB247_385:                            ;   in Loop: Header=BB247_265 Depth=1
	s_or_b32 exec_lo, exec_lo, s17
.LBB247_386:                            ;   in Loop: Header=BB247_265 Depth=1
	s_delay_alu instid0(SALU_CYCLE_1)
	s_or_b32 exec_lo, exec_lo, s16
.LBB247_387:                            ;   in Loop: Header=BB247_265 Depth=1
	s_delay_alu instid0(SALU_CYCLE_1)
	s_or_b32 exec_lo, exec_lo, s15
	v_cmp_lt_u64_e64 s1, s[4:5], v[18:19]
	v_mov_b32_e32 v18, 0
	s_and_saveexec_b32 s15, s1
	s_cbranch_execz .LBB247_395
; %bb.388:                              ;   in Loop: Header=BB247_265 Depth=1
	v_lshrrev_b32_e32 v4, 24, v19
	v_bfrev_b32_e32 v18, 1
	s_mov_b32 s16, exec_lo
	s_delay_alu instid0(VALU_DEP_2)
	v_cmpx_ne_u32_e32 0x80, v4
	s_cbranch_execz .LBB247_394
; %bb.389:                              ;   in Loop: Header=BB247_265 Depth=1
	v_and_b32_e32 v25, 0x7f, v4
	v_mov_b32_e32 v18, 0x7c010000
	s_mov_b32 s17, exec_lo
	s_delay_alu instid0(VALU_DEP_2)
	v_cmpx_ne_u32_e32 0x7f, v25
	s_cbranch_execz .LBB247_393
; %bb.390:                              ;   in Loop: Header=BB247_265 Depth=1
	v_dual_lshrrev_b32 v19, 3, v25 :: v_dual_bitop2_b32 v18, 7, v4 bitop3:0x40
	s_mov_b32 s18, exec_lo
	v_cmpx_gt_u32_e32 8, v25
; %bb.391:                              ;   in Loop: Header=BB247_265 Depth=1
	s_delay_alu instid0(VALU_DEP_2) | instskip(NEXT) | instid1(VALU_DEP_1)
	v_clz_i32_u32_e32 v18, v18
	v_min_u32_e32 v25, 32, v18
	s_delay_alu instid0(VALU_DEP_1) | instskip(NEXT) | instid1(VALU_DEP_1)
	v_subrev_nc_u32_e32 v18, 28, v25
	v_lshlrev_b64_e32 v[18:19], v18, v[4:5]
	s_delay_alu instid0(VALU_DEP_1)
	v_dual_sub_nc_u32 v19, 29, v25 :: v_dual_bitop2_b32 v18, 7, v18 bitop3:0x40
; %bb.392:                              ;   in Loop: Header=BB247_265 Depth=1
	s_or_b32 exec_lo, exec_lo, s18
	s_delay_alu instid0(VALU_DEP_1) | instskip(NEXT) | instid1(VALU_DEP_2)
	v_dual_lshlrev_b32 v4, 8, v4 :: v_dual_lshlrev_b32 v18, 23, v18
	v_lshl_add_u32 v19, v19, 10, 0x2000
	s_delay_alu instid0(VALU_DEP_1) | instskip(NEXT) | instid1(VALU_DEP_1)
	v_and_or_b32 v4, 0x8000, v4, v19
	v_lshl_or_b32 v18, v4, 16, v18
.LBB247_393:                            ;   in Loop: Header=BB247_265 Depth=1
	s_or_b32 exec_lo, exec_lo, s17
.LBB247_394:                            ;   in Loop: Header=BB247_265 Depth=1
	s_delay_alu instid0(SALU_CYCLE_1)
	s_or_b32 exec_lo, exec_lo, s16
.LBB247_395:                            ;   in Loop: Header=BB247_265 Depth=1
	s_delay_alu instid0(SALU_CYCLE_1) | instskip(SKIP_3) | instid1(VALU_DEP_3)
	s_or_b32 exec_lo, exec_lo, s15
	v_dual_lshrrev_b32 v4, 16, v1 :: v_dual_lshrrev_b32 v19, 16, v20
	v_or_b32_e32 v1, v1, v17
	v_dual_lshrrev_b32 v25, 16, v18 :: v_dual_bitop2_b32 v17, v20, v21 bitop3:0x54
	v_cvt_f32_f16_e32 v21, v4
	s_delay_alu instid0(VALU_DEP_4) | instskip(SKIP_1) | instid1(VALU_DEP_4)
	v_cvt_f32_f16_e32 v20, v19
	v_dual_lshrrev_b32 v23, 16, v24 :: v_dual_bitop2_b32 v4, v18, v23 bitop3:0x54
	v_cvt_f32_f16_e32 v18, v17
	v_cvt_f32_f16_e32 v19, v1
	s_wait_loadcnt 0x0
	v_pk_mul_f32 v[20:21], v[16:17], v[20:21] op_sel_hi:[0,1]
	v_or_b32_e32 v17, v24, v22
	v_cvt_f32_f16_e32 v23, v23
	v_cvt_f32_f16_e32 v22, v25
	;; [unrolled: 1-line block ×3, first 2 shown]
	v_cvt_pk_f16_f32 v1, v20, v21
	v_cvt_f32_f16_e32 v25, v17
	v_pk_mul_f32 v[18:19], v[16:17], v[18:19] op_sel_hi:[0,1]
	v_pk_mul_f32 v[20:21], v[16:17], v[22:23] op_sel_hi:[0,1]
	s_delay_alu instid0(VALU_DEP_3) | instskip(NEXT) | instid1(VALU_DEP_3)
	v_pk_mul_f32 v[22:23], v[16:17], v[24:25] op_sel_hi:[0,1]
	v_cvt_pk_f16_f32 v4, v18, v19
	s_delay_alu instid0(VALU_DEP_3)
	v_cvt_pk_f16_f32 v17, v20, v21
	v_and_b32_e32 v19, 0xffff0000, v1
	v_lshlrev_b32_e32 v16, 16, v1
	v_cvt_pk_f16_f32 v18, v22, v23
	v_lshrrev_b32_e32 v21, 16, v4
	v_and_b32_e32 v20, 0xffff, v4
	v_and_b32_e32 v1, 0xffff0000, v17
	s_delay_alu instid0(VALU_DEP_4) | instskip(SKIP_3) | instid1(VALU_DEP_4)
	v_dual_lshlrev_b32 v4, 16, v17 :: v_dual_lshrrev_b32 v17, 16, v18
	v_and_b32_e32 v18, 0xffff, v18
	v_or_b32_e32 v25, v19, v21
	v_or_b32_e32 v24, v16, v20
	;; [unrolled: 1-line block ×3, first 2 shown]
	s_delay_alu instid0(VALU_DEP_4)
	v_or_b32_e32 v22, v4, v18
	s_and_saveexec_b32 s15, s0
	s_cbranch_execz .LBB247_397
; %bb.396:                              ;   in Loop: Header=BB247_265 Depth=1
	v_dual_add_nc_u32 v22, 2, v29 :: v_dual_bitop2_b32 v23, 1, v29 bitop3:0x54
	v_cmp_gt_i32_e64 s1, s14, v29
	v_or_b32_e32 v25, 7, v29
	s_delay_alu instid0(VALU_DEP_2) | instskip(NEXT) | instid1(VALU_DEP_4)
	v_cndmask_b32_e64 v21, 0, v21, s1
	v_cmp_gt_i32_e64 s1, s23, v22
	s_delay_alu instid0(VALU_DEP_1) | instskip(SKIP_1) | instid1(VALU_DEP_1)
	v_dual_cndmask_b32 v20, 0, v20, s1 :: v_dual_bitop2_b32 v24, 3, v29 bitop3:0x54
	v_cmp_gt_i32_e64 s1, s14, v23
	v_dual_cndmask_b32 v19, 0, v19, s1 :: v_dual_bitop2_b32 v23, 6, v29 bitop3:0x54
	s_delay_alu instid0(VALU_DEP_3) | instskip(SKIP_1) | instid1(VALU_DEP_2)
	v_cmp_gt_i32_e64 s1, s23, v24
	v_or_b32_e32 v22, 4, v29
	v_dual_cndmask_b32 v16, 0, v16, s1 :: v_dual_bitop2_b32 v24, 5, v29 bitop3:0x54
	s_delay_alu instid0(VALU_DEP_2) | instskip(NEXT) | instid1(VALU_DEP_1)
	v_cmp_gt_i32_e64 s1, s14, v22
	v_cndmask_b32_e64 v17, 0, v17, s1
	v_cmp_gt_i32_e64 s1, s23, v23
	s_delay_alu instid0(VALU_DEP_1) | instskip(SKIP_1) | instid1(VALU_DEP_1)
	v_cndmask_b32_e64 v18, 0, v18, s1
	v_cmp_gt_i32_e64 s1, s14, v24
	v_dual_cndmask_b32 v1, 0, v1, s1 :: v_dual_bitop2_b32 v24, v16, v20 bitop3:0x54
	v_cmp_gt_i32_e64 s1, s23, v25
	s_delay_alu instid0(VALU_DEP_1) | instskip(NEXT) | instid1(VALU_DEP_1)
	v_dual_cndmask_b32 v4, 0, v4, s1 :: v_dual_bitop2_b32 v25, v19, v21 bitop3:0x54
	v_or_b32_e32 v22, v4, v18
	s_delay_alu instid0(VALU_DEP_4)
	v_or_b32_e32 v23, v1, v17
.LBB247_397:                            ;   in Loop: Header=BB247_265 Depth=1
	s_or_b32 exec_lo, exec_lo, s15
	;;#ASMSTART
	v_pk_mul_f16 v1, v41, v25;

	;;#ASMEND
	;;#ASMSTART
	v_pk_mul_f16 v4, v40, v24;

	;;#ASMEND
	;;#ASMSTART
	v_pk_mul_f16 v16, v39, v23;

	;;#ASMEND
	;;#ASMSTART
	v_pk_mul_f16 v17, v38, v22;

	;;#ASMEND
	;;#ASMSTART
	v_pk_add_f16 v1, v1, v4;

	;;#ASMEND
	;;#ASMSTART
	v_pk_add_f16 v1, v1, v16;

	;;#ASMEND
	;; [unrolled: 4-line block ×3, first 2 shown]
	v_and_b32_e32 v4, 0xffff, v1
	v_lshrrev_b32_e32 v1, 16, v1
	;;#ASMSTART
	v_cvt_f32_f16 v32, v4;
	;;#ASMEND
	;;#ASMSTART
	v_cvt_f32_f16 v33, v1;
	;;#ASMEND
	global_load_b64 v[16:17], v[14:15], off offset:512
	s_wait_xcnt 0x0
	v_dual_mov_b32 v1, 0 :: v_dual_mov_b32 v15, 0
	s_mov_b32 s15, exec_lo
	global_load_b32 v14, v1, s[10:11]
	s_wait_loadcnt 0x1
	v_and_b32_e32 v4, 0xff, v16
	s_wait_xcnt 0x0
	s_delay_alu instid0(VALU_DEP_1)
	v_cmpx_ne_u16_e32 0, v4
	s_cbranch_execz .LBB247_405
; %bb.398:                              ;   in Loop: Header=BB247_265 Depth=1
	v_mov_b32_e32 v15, 0x8000
	s_mov_b32 s16, exec_lo
	v_cmpx_ne_u16_e32 0x80, v4
	s_cbranch_execz .LBB247_404
; %bb.399:                              ;   in Loop: Header=BB247_265 Depth=1
	v_and_b32_e32 v18, 0x7f, v16
	v_mov_b32_e32 v15, 0x7c01
	s_mov_b32 s17, exec_lo
	s_delay_alu instid0(VALU_DEP_2)
	v_cmpx_ne_u32_e32 0x7f, v18
	s_cbranch_execz .LBB247_403
; %bb.400:                              ;   in Loop: Header=BB247_265 Depth=1
	v_dual_lshrrev_b32 v15, 3, v18 :: v_dual_bitop2_b32 v4, 7, v16 bitop3:0x40
	s_mov_b32 s18, exec_lo
	v_cmpx_gt_u32_e32 8, v18
; %bb.401:                              ;   in Loop: Header=BB247_265 Depth=1
	s_delay_alu instid0(VALU_DEP_2) | instskip(NEXT) | instid1(VALU_DEP_1)
	v_clz_i32_u32_e32 v4, v4
	v_min_u32_e32 v4, 32, v4
	s_delay_alu instid0(VALU_DEP_1) | instskip(NEXT) | instid1(VALU_DEP_1)
	v_subrev_nc_u32_e32 v15, 28, v4
	v_lshlrev_b64_e32 v[18:19], v15, v[16:17]
	s_delay_alu instid0(VALU_DEP_1)
	v_dual_sub_nc_u32 v15, 29, v4 :: v_dual_bitop2_b32 v4, 7, v18 bitop3:0x40
; %bb.402:                              ;   in Loop: Header=BB247_265 Depth=1
	s_or_b32 exec_lo, exec_lo, s18
	v_lshlrev_b32_e32 v18, 8, v16
	s_delay_alu instid0(VALU_DEP_2) | instskip(NEXT) | instid1(VALU_DEP_3)
	v_lshl_add_u32 v15, v15, 10, 0x2000
	v_lshlrev_b32_e32 v4, 7, v4
	s_delay_alu instid0(VALU_DEP_3) | instskip(NEXT) | instid1(VALU_DEP_3)
	v_and_b32_e32 v18, 0x8000, v18
	v_and_b32_e32 v15, 0xfc00, v15
	s_delay_alu instid0(VALU_DEP_1)
	v_or3_b32 v15, v18, v15, v4
.LBB247_403:                            ;   in Loop: Header=BB247_265 Depth=1
	s_or_b32 exec_lo, exec_lo, s17
.LBB247_404:                            ;   in Loop: Header=BB247_265 Depth=1
	s_delay_alu instid0(SALU_CYCLE_1)
	s_or_b32 exec_lo, exec_lo, s16
.LBB247_405:                            ;   in Loop: Header=BB247_265 Depth=1
	s_delay_alu instid0(SALU_CYCLE_1) | instskip(SKIP_2) | instid1(VALU_DEP_1)
	s_or_b32 exec_lo, exec_lo, s15
	v_lshrrev_b16 v4, 8, v16
	s_mov_b32 s15, exec_lo
	v_cmpx_ne_u16_e32 0, v4
	s_cbranch_execz .LBB247_413
; %bb.406:                              ;   in Loop: Header=BB247_265 Depth=1
	v_bfrev_b32_e32 v1, 1
	s_mov_b32 s16, exec_lo
	v_cmpx_ne_u16_e32 0x80, v4
	s_cbranch_execz .LBB247_412
; %bb.407:                              ;   in Loop: Header=BB247_265 Depth=1
	v_and_b32_e32 v18, 0xffff, v4
	v_mov_b32_e32 v1, 0x7c010000
	s_mov_b32 s17, exec_lo
	s_delay_alu instid0(VALU_DEP_2) | instskip(NEXT) | instid1(VALU_DEP_1)
	v_and_b32_e32 v20, 0x7f, v18
	v_cmpx_ne_u32_e32 0x7f, v20
	s_cbranch_execz .LBB247_411
; %bb.408:                              ;   in Loop: Header=BB247_265 Depth=1
	v_dual_lshrrev_b32 v19, 3, v20 :: v_dual_bitop2_b32 v1, 7, v18 bitop3:0x40
	s_mov_b32 s18, exec_lo
	v_cmpx_gt_u32_e32 8, v20
; %bb.409:                              ;   in Loop: Header=BB247_265 Depth=1
	s_delay_alu instid0(VALU_DEP_2) | instskip(NEXT) | instid1(VALU_DEP_1)
	v_clz_i32_u32_e32 v1, v1
	v_min_u32_e32 v1, 32, v1
	s_delay_alu instid0(VALU_DEP_1) | instskip(NEXT) | instid1(VALU_DEP_1)
	v_subrev_nc_u32_e32 v19, 28, v1
	v_lshlrev_b64_e32 v[20:21], v19, v[4:5]
	s_delay_alu instid0(VALU_DEP_1)
	v_dual_sub_nc_u32 v19, 29, v1 :: v_dual_bitop2_b32 v1, 7, v20 bitop3:0x40
; %bb.410:                              ;   in Loop: Header=BB247_265 Depth=1
	s_or_b32 exec_lo, exec_lo, s18
	s_delay_alu instid0(VALU_DEP_1) | instskip(NEXT) | instid1(VALU_DEP_2)
	v_dual_lshlrev_b32 v4, 8, v18 :: v_dual_lshlrev_b32 v1, 23, v1
	v_lshl_add_u32 v18, v19, 10, 0x2000
	s_delay_alu instid0(VALU_DEP_1) | instskip(NEXT) | instid1(VALU_DEP_1)
	v_and_or_b32 v4, 0x8000, v4, v18
	v_lshl_or_b32 v1, v4, 16, v1
.LBB247_411:                            ;   in Loop: Header=BB247_265 Depth=1
	s_or_b32 exec_lo, exec_lo, s17
.LBB247_412:                            ;   in Loop: Header=BB247_265 Depth=1
	s_delay_alu instid0(SALU_CYCLE_1)
	s_or_b32 exec_lo, exec_lo, s16
.LBB247_413:                            ;   in Loop: Header=BB247_265 Depth=1
	s_delay_alu instid0(SALU_CYCLE_1) | instskip(SKIP_3) | instid1(VALU_DEP_2)
	s_or_b32 exec_lo, exec_lo, s15
	v_dual_lshrrev_b32 v4, 16, v16 :: v_dual_mov_b32 v18, 0
	v_mov_b32_e32 v19, 0
	s_mov_b32 s15, exec_lo
	v_and_b32_e32 v20, 0xff, v4
	s_delay_alu instid0(VALU_DEP_1)
	v_cmpx_ne_u16_e32 0, v20
	s_cbranch_execz .LBB247_421
; %bb.414:                              ;   in Loop: Header=BB247_265 Depth=1
	v_mov_b32_e32 v19, 0x8000
	s_mov_b32 s16, exec_lo
	v_cmpx_ne_u16_e32 0x80, v20
	s_cbranch_execz .LBB247_420
; %bb.415:                              ;   in Loop: Header=BB247_265 Depth=1
	v_bfe_u32 v21, v16, 16, 7
	v_mov_b32_e32 v19, 0x7c01
	s_mov_b32 s17, exec_lo
	s_delay_alu instid0(VALU_DEP_2)
	v_cmpx_ne_u32_e32 0x7f, v21
	s_cbranch_execz .LBB247_419
; %bb.416:                              ;   in Loop: Header=BB247_265 Depth=1
	v_dual_lshrrev_b32 v20, 3, v21 :: v_dual_bitop2_b32 v19, 7, v4 bitop3:0x40
	s_mov_b32 s18, exec_lo
	v_cmpx_gt_u32_e32 8, v21
; %bb.417:                              ;   in Loop: Header=BB247_265 Depth=1
	s_delay_alu instid0(VALU_DEP_2) | instskip(NEXT) | instid1(VALU_DEP_1)
	v_clz_i32_u32_e32 v19, v19
	v_min_u32_e32 v19, 32, v19
	s_delay_alu instid0(VALU_DEP_1) | instskip(NEXT) | instid1(VALU_DEP_1)
	v_subrev_nc_u32_e32 v20, 28, v19
	v_lshlrev_b64_e32 v[22:23], v20, v[4:5]
	s_delay_alu instid0(VALU_DEP_1)
	v_dual_sub_nc_u32 v20, 29, v19 :: v_dual_bitop2_b32 v19, 7, v22 bitop3:0x40
; %bb.418:                              ;   in Loop: Header=BB247_265 Depth=1
	s_or_b32 exec_lo, exec_lo, s18
	s_delay_alu instid0(VALU_DEP_1) | instskip(NEXT) | instid1(VALU_DEP_2)
	v_dual_lshlrev_b32 v4, 8, v4 :: v_dual_lshlrev_b32 v19, 7, v19
	v_lshl_add_u32 v20, v20, 10, 0x2000
	s_delay_alu instid0(VALU_DEP_2) | instskip(NEXT) | instid1(VALU_DEP_2)
	v_and_b32_e32 v4, 0x8000, v4
	v_and_b32_e32 v20, 0xfc00, v20
	s_delay_alu instid0(VALU_DEP_1)
	v_or3_b32 v19, v4, v20, v19
.LBB247_419:                            ;   in Loop: Header=BB247_265 Depth=1
	s_or_b32 exec_lo, exec_lo, s17
.LBB247_420:                            ;   in Loop: Header=BB247_265 Depth=1
	s_delay_alu instid0(SALU_CYCLE_1)
	s_or_b32 exec_lo, exec_lo, s16
.LBB247_421:                            ;   in Loop: Header=BB247_265 Depth=1
	s_delay_alu instid0(SALU_CYCLE_1) | instskip(NEXT) | instid1(SALU_CYCLE_1)
	s_or_b32 exec_lo, exec_lo, s15
	s_mov_b32 s15, exec_lo
	v_cmpx_lt_u32_e32 0xffffff, v16
	s_cbranch_execz .LBB247_429
; %bb.422:                              ;   in Loop: Header=BB247_265 Depth=1
	v_lshrrev_b32_e32 v4, 24, v16
	v_bfrev_b32_e32 v18, 1
	s_mov_b32 s16, exec_lo
	s_delay_alu instid0(VALU_DEP_2)
	v_cmpx_ne_u32_e32 0x80, v4
	s_cbranch_execz .LBB247_428
; %bb.423:                              ;   in Loop: Header=BB247_265 Depth=1
	v_and_b32_e32 v21, 0x7f, v4
	v_mov_b32_e32 v18, 0x7c010000
	s_mov_b32 s17, exec_lo
	s_delay_alu instid0(VALU_DEP_2)
	v_cmpx_ne_u32_e32 0x7f, v21
	s_cbranch_execz .LBB247_427
; %bb.424:                              ;   in Loop: Header=BB247_265 Depth=1
	v_dual_lshrrev_b32 v20, 3, v21 :: v_dual_bitop2_b32 v18, 7, v4 bitop3:0x40
	s_mov_b32 s18, exec_lo
	v_cmpx_gt_u32_e32 8, v21
; %bb.425:                              ;   in Loop: Header=BB247_265 Depth=1
	s_delay_alu instid0(VALU_DEP_2) | instskip(NEXT) | instid1(VALU_DEP_1)
	v_clz_i32_u32_e32 v18, v18
	v_min_u32_e32 v18, 32, v18
	s_delay_alu instid0(VALU_DEP_1) | instskip(NEXT) | instid1(VALU_DEP_1)
	v_subrev_nc_u32_e32 v20, 28, v18
	v_lshlrev_b64_e32 v[22:23], v20, v[4:5]
	v_sub_nc_u32_e32 v20, 29, v18
	s_delay_alu instid0(VALU_DEP_2)
	v_and_b32_e32 v18, 7, v22
; %bb.426:                              ;   in Loop: Header=BB247_265 Depth=1
	s_or_b32 exec_lo, exec_lo, s18
	s_delay_alu instid0(VALU_DEP_1) | instskip(NEXT) | instid1(VALU_DEP_3)
	v_dual_lshlrev_b32 v4, 8, v4 :: v_dual_lshlrev_b32 v18, 23, v18
	v_lshl_add_u32 v20, v20, 10, 0x2000
	s_delay_alu instid0(VALU_DEP_1) | instskip(NEXT) | instid1(VALU_DEP_1)
	v_and_or_b32 v4, 0x8000, v4, v20
	v_lshl_or_b32 v18, v4, 16, v18
.LBB247_427:                            ;   in Loop: Header=BB247_265 Depth=1
	s_or_b32 exec_lo, exec_lo, s17
.LBB247_428:                            ;   in Loop: Header=BB247_265 Depth=1
	s_delay_alu instid0(SALU_CYCLE_1)
	s_or_b32 exec_lo, exec_lo, s16
.LBB247_429:                            ;   in Loop: Header=BB247_265 Depth=1
	s_delay_alu instid0(SALU_CYCLE_1) | instskip(SKIP_4) | instid1(VALU_DEP_3)
	s_or_b32 exec_lo, exec_lo, s15
	v_and_b32_e32 v22, 0xff, v17
	v_dual_mov_b32 v4, v17 :: v_dual_mov_b32 v21, 0
	v_mov_b32_e32 v20, 0
	s_mov_b32 s15, exec_lo
	v_cmpx_ne_u16_e32 0, v22
	s_cbranch_execz .LBB247_437
; %bb.430:                              ;   in Loop: Header=BB247_265 Depth=1
	v_mov_b32_e32 v20, 0x8000
	s_mov_b32 s16, exec_lo
	v_cmpx_ne_u16_e32 0x80, v22
	s_cbranch_execz .LBB247_436
; %bb.431:                              ;   in Loop: Header=BB247_265 Depth=1
	v_and_b32_e32 v23, 0x7f, v17
	v_mov_b32_e32 v20, 0x7c01
	s_mov_b32 s17, exec_lo
	s_delay_alu instid0(VALU_DEP_2)
	v_cmpx_ne_u32_e32 0x7f, v23
	s_cbranch_execz .LBB247_435
; %bb.432:                              ;   in Loop: Header=BB247_265 Depth=1
	v_dual_lshrrev_b32 v22, 3, v23 :: v_dual_bitop2_b32 v20, 7, v17 bitop3:0x40
	s_mov_b32 s18, exec_lo
	v_cmpx_gt_u32_e32 8, v23
; %bb.433:                              ;   in Loop: Header=BB247_265 Depth=1
	s_delay_alu instid0(VALU_DEP_2) | instskip(NEXT) | instid1(VALU_DEP_1)
	v_clz_i32_u32_e32 v20, v20
	v_min_u32_e32 v20, 32, v20
	s_delay_alu instid0(VALU_DEP_1) | instskip(NEXT) | instid1(VALU_DEP_1)
	v_subrev_nc_u32_e32 v22, 28, v20
	v_lshlrev_b64_e32 v[24:25], v22, v[4:5]
	v_sub_nc_u32_e32 v22, 29, v20
	s_delay_alu instid0(VALU_DEP_2)
	v_and_b32_e32 v20, 7, v24
; %bb.434:                              ;   in Loop: Header=BB247_265 Depth=1
	s_or_b32 exec_lo, exec_lo, s18
	s_delay_alu instid0(VALU_DEP_1) | instskip(NEXT) | instid1(VALU_DEP_3)
	v_dual_lshlrev_b32 v23, 8, v17 :: v_dual_lshlrev_b32 v20, 7, v20
	v_lshl_add_u32 v22, v22, 10, 0x2000
	s_delay_alu instid0(VALU_DEP_2) | instskip(NEXT) | instid1(VALU_DEP_2)
	v_and_b32_e32 v23, 0x8000, v23
	v_and_b32_e32 v22, 0xfc00, v22
	s_delay_alu instid0(VALU_DEP_1)
	v_or3_b32 v20, v23, v22, v20
.LBB247_435:                            ;   in Loop: Header=BB247_265 Depth=1
	s_or_b32 exec_lo, exec_lo, s17
.LBB247_436:                            ;   in Loop: Header=BB247_265 Depth=1
	s_delay_alu instid0(SALU_CYCLE_1)
	s_or_b32 exec_lo, exec_lo, s16
.LBB247_437:                            ;   in Loop: Header=BB247_265 Depth=1
	s_delay_alu instid0(SALU_CYCLE_1) | instskip(SKIP_3) | instid1(VALU_DEP_2)
	s_or_b32 exec_lo, exec_lo, s15
	v_lshrrev_b16 v4, 8, v4
	v_mov_b32_e32 v22, 0
	s_mov_b32 s15, exec_lo
	v_cmpx_ne_u16_e32 0, v4
	s_cbranch_execz .LBB247_445
; %bb.438:                              ;   in Loop: Header=BB247_265 Depth=1
	v_bfrev_b32_e32 v22, 1
	s_mov_b32 s16, exec_lo
	v_cmpx_ne_u16_e32 0x80, v4
	s_cbranch_execz .LBB247_444
; %bb.439:                              ;   in Loop: Header=BB247_265 Depth=1
	v_and_b32_e32 v23, 0xffff, v4
	v_mov_b32_e32 v22, 0x7c010000
	s_mov_b32 s17, exec_lo
	s_delay_alu instid0(VALU_DEP_2) | instskip(NEXT) | instid1(VALU_DEP_1)
	v_and_b32_e32 v25, 0x7f, v23
	v_cmpx_ne_u32_e32 0x7f, v25
	s_cbranch_execz .LBB247_443
; %bb.440:                              ;   in Loop: Header=BB247_265 Depth=1
	v_dual_lshrrev_b32 v24, 3, v25 :: v_dual_bitop2_b32 v22, 7, v23 bitop3:0x40
	s_mov_b32 s18, exec_lo
	v_cmpx_gt_u32_e32 8, v25
; %bb.441:                              ;   in Loop: Header=BB247_265 Depth=1
	s_delay_alu instid0(VALU_DEP_2) | instskip(NEXT) | instid1(VALU_DEP_1)
	v_clz_i32_u32_e32 v22, v22
	v_min_u32_e32 v22, 32, v22
	s_delay_alu instid0(VALU_DEP_1) | instskip(NEXT) | instid1(VALU_DEP_1)
	v_subrev_nc_u32_e32 v24, 28, v22
	v_lshlrev_b64_e32 v[42:43], v24, v[4:5]
	v_sub_nc_u32_e32 v24, 29, v22
	s_delay_alu instid0(VALU_DEP_2)
	v_and_b32_e32 v22, 7, v42
; %bb.442:                              ;   in Loop: Header=BB247_265 Depth=1
	s_or_b32 exec_lo, exec_lo, s18
	s_delay_alu instid0(VALU_DEP_1) | instskip(NEXT) | instid1(VALU_DEP_3)
	v_dual_lshlrev_b32 v4, 8, v23 :: v_dual_lshlrev_b32 v22, 23, v22
	v_lshl_add_u32 v23, v24, 10, 0x2000
	s_delay_alu instid0(VALU_DEP_1) | instskip(NEXT) | instid1(VALU_DEP_1)
	v_and_or_b32 v4, 0x8000, v4, v23
	v_lshl_or_b32 v22, v4, 16, v22
.LBB247_443:                            ;   in Loop: Header=BB247_265 Depth=1
	s_or_b32 exec_lo, exec_lo, s17
.LBB247_444:                            ;   in Loop: Header=BB247_265 Depth=1
	s_delay_alu instid0(SALU_CYCLE_1)
	s_or_b32 exec_lo, exec_lo, s16
.LBB247_445:                            ;   in Loop: Header=BB247_265 Depth=1
	s_delay_alu instid0(SALU_CYCLE_1) | instskip(SKIP_2) | instid1(VALU_DEP_1)
	s_or_b32 exec_lo, exec_lo, s15
	v_lshrrev_b32_e32 v4, 16, v17
	s_mov_b32 s15, exec_lo
	v_and_b32_e32 v23, 0xff, v4
	s_delay_alu instid0(VALU_DEP_1)
	v_cmpx_ne_u16_e32 0, v23
	s_cbranch_execz .LBB247_453
; %bb.446:                              ;   in Loop: Header=BB247_265 Depth=1
	v_mov_b32_e32 v21, 0x8000
	s_mov_b32 s16, exec_lo
	v_cmpx_ne_u16_e32 0x80, v23
	s_cbranch_execz .LBB247_452
; %bb.447:                              ;   in Loop: Header=BB247_265 Depth=1
	v_bfe_u32 v24, v17, 16, 7
	v_mov_b32_e32 v21, 0x7c01
	s_mov_b32 s17, exec_lo
	s_delay_alu instid0(VALU_DEP_2)
	v_cmpx_ne_u32_e32 0x7f, v24
	s_cbranch_execz .LBB247_451
; %bb.448:                              ;   in Loop: Header=BB247_265 Depth=1
	v_and_b32_e32 v21, 7, v4
	v_lshrrev_b32_e32 v23, 3, v24
	s_mov_b32 s18, exec_lo
	v_cmpx_gt_u32_e32 8, v24
; %bb.449:                              ;   in Loop: Header=BB247_265 Depth=1
	s_delay_alu instid0(VALU_DEP_3) | instskip(NEXT) | instid1(VALU_DEP_1)
	v_clz_i32_u32_e32 v21, v21
	v_min_u32_e32 v21, 32, v21
	s_delay_alu instid0(VALU_DEP_1) | instskip(NEXT) | instid1(VALU_DEP_1)
	v_subrev_nc_u32_e32 v23, 28, v21
	v_lshlrev_b64_e32 v[24:25], v23, v[4:5]
	s_delay_alu instid0(VALU_DEP_1)
	v_dual_sub_nc_u32 v23, 29, v21 :: v_dual_bitop2_b32 v21, 7, v24 bitop3:0x40
; %bb.450:                              ;   in Loop: Header=BB247_265 Depth=1
	s_or_b32 exec_lo, exec_lo, s18
	s_delay_alu instid0(VALU_DEP_1) | instskip(NEXT) | instid1(VALU_DEP_2)
	v_dual_lshlrev_b32 v4, 8, v4 :: v_dual_lshlrev_b32 v21, 7, v21
	v_lshl_add_u32 v23, v23, 10, 0x2000
	s_delay_alu instid0(VALU_DEP_2) | instskip(NEXT) | instid1(VALU_DEP_2)
	v_and_b32_e32 v4, 0x8000, v4
	v_and_b32_e32 v23, 0xfc00, v23
	s_delay_alu instid0(VALU_DEP_1)
	v_or3_b32 v21, v4, v23, v21
.LBB247_451:                            ;   in Loop: Header=BB247_265 Depth=1
	s_or_b32 exec_lo, exec_lo, s17
.LBB247_452:                            ;   in Loop: Header=BB247_265 Depth=1
	s_delay_alu instid0(SALU_CYCLE_1)
	s_or_b32 exec_lo, exec_lo, s16
.LBB247_453:                            ;   in Loop: Header=BB247_265 Depth=1
	s_delay_alu instid0(SALU_CYCLE_1)
	s_or_b32 exec_lo, exec_lo, s15
	v_cmp_lt_u64_e64 s1, s[4:5], v[16:17]
	v_mov_b32_e32 v16, 0
	s_and_saveexec_b32 s15, s1
	s_cbranch_execz .LBB247_461
; %bb.454:                              ;   in Loop: Header=BB247_265 Depth=1
	v_lshrrev_b32_e32 v4, 24, v17
	v_bfrev_b32_e32 v16, 1
	s_mov_b32 s16, exec_lo
	s_delay_alu instid0(VALU_DEP_2)
	v_cmpx_ne_u32_e32 0x80, v4
	s_cbranch_execz .LBB247_460
; %bb.455:                              ;   in Loop: Header=BB247_265 Depth=1
	v_and_b32_e32 v23, 0x7f, v4
	v_mov_b32_e32 v16, 0x7c010000
	s_mov_b32 s17, exec_lo
	s_delay_alu instid0(VALU_DEP_2)
	v_cmpx_ne_u32_e32 0x7f, v23
	s_cbranch_execz .LBB247_459
; %bb.456:                              ;   in Loop: Header=BB247_265 Depth=1
	v_dual_lshrrev_b32 v17, 3, v23 :: v_dual_bitop2_b32 v16, 7, v4 bitop3:0x40
	s_mov_b32 s18, exec_lo
	v_cmpx_gt_u32_e32 8, v23
; %bb.457:                              ;   in Loop: Header=BB247_265 Depth=1
	s_delay_alu instid0(VALU_DEP_2) | instskip(NEXT) | instid1(VALU_DEP_1)
	v_clz_i32_u32_e32 v16, v16
	v_min_u32_e32 v23, 32, v16
	s_delay_alu instid0(VALU_DEP_1) | instskip(NEXT) | instid1(VALU_DEP_1)
	v_subrev_nc_u32_e32 v16, 28, v23
	v_lshlrev_b64_e32 v[16:17], v16, v[4:5]
	s_delay_alu instid0(VALU_DEP_1)
	v_dual_sub_nc_u32 v17, 29, v23 :: v_dual_bitop2_b32 v16, 7, v16 bitop3:0x40
; %bb.458:                              ;   in Loop: Header=BB247_265 Depth=1
	s_or_b32 exec_lo, exec_lo, s18
	v_lshlrev_b32_e32 v4, 8, v4
	s_delay_alu instid0(VALU_DEP_2) | instskip(NEXT) | instid1(VALU_DEP_3)
	v_lshl_add_u32 v17, v17, 10, 0x2000
	v_lshlrev_b32_e32 v16, 23, v16
	s_delay_alu instid0(VALU_DEP_2) | instskip(NEXT) | instid1(VALU_DEP_1)
	v_and_or_b32 v4, 0x8000, v4, v17
	v_lshl_or_b32 v16, v4, 16, v16
.LBB247_459:                            ;   in Loop: Header=BB247_265 Depth=1
	s_or_b32 exec_lo, exec_lo, s17
.LBB247_460:                            ;   in Loop: Header=BB247_265 Depth=1
	s_delay_alu instid0(SALU_CYCLE_1)
	s_or_b32 exec_lo, exec_lo, s16
.LBB247_461:                            ;   in Loop: Header=BB247_265 Depth=1
	s_delay_alu instid0(SALU_CYCLE_1) | instskip(SKIP_3) | instid1(VALU_DEP_3)
	s_or_b32 exec_lo, exec_lo, s15
	v_dual_lshrrev_b32 v4, 16, v1 :: v_dual_lshrrev_b32 v17, 16, v18
	v_or_b32_e32 v1, v1, v15
	v_dual_lshrrev_b32 v23, 16, v16 :: v_dual_bitop2_b32 v15, v18, v19 bitop3:0x54
	v_cvt_f32_f16_e32 v19, v4
	s_delay_alu instid0(VALU_DEP_4) | instskip(SKIP_1) | instid1(VALU_DEP_4)
	v_cvt_f32_f16_e32 v18, v17
	v_dual_lshrrev_b32 v21, 16, v22 :: v_dual_bitop2_b32 v4, v16, v21 bitop3:0x54
	v_cvt_f32_f16_e32 v16, v15
	v_cvt_f32_f16_e32 v17, v1
	s_wait_loadcnt 0x0
	v_pk_mul_f32 v[18:19], v[14:15], v[18:19] op_sel_hi:[0,1]
	v_cvt_f32_f16_e32 v21, v21
	s_delay_alu instid0(VALU_DEP_2) | instskip(SKIP_3) | instid1(VALU_DEP_3)
	v_cvt_pk_f16_f32 v1, v18, v19
	v_or_b32_e32 v15, v22, v20
	v_cvt_f32_f16_e32 v20, v23
	v_cvt_f32_f16_e32 v22, v4
	;; [unrolled: 1-line block ×3, first 2 shown]
	v_pk_mul_f32 v[16:17], v[14:15], v[16:17] op_sel_hi:[0,1]
	s_delay_alu instid0(VALU_DEP_4) | instskip(NEXT) | instid1(VALU_DEP_3)
	v_pk_mul_f32 v[18:19], v[14:15], v[20:21] op_sel_hi:[0,1]
	v_pk_mul_f32 v[20:21], v[14:15], v[22:23] op_sel_hi:[0,1]
	s_delay_alu instid0(VALU_DEP_3) | instskip(NEXT) | instid1(VALU_DEP_3)
	v_cvt_pk_f16_f32 v4, v16, v17
	v_cvt_pk_f16_f32 v15, v18, v19
	v_and_b32_e32 v17, 0xffff0000, v1
	v_lshlrev_b32_e32 v14, 16, v1
	v_cvt_pk_f16_f32 v16, v20, v21
	v_lshrrev_b32_e32 v19, 16, v4
	v_and_b32_e32 v18, 0xffff, v4
	v_and_b32_e32 v1, 0xffff0000, v15
	s_delay_alu instid0(VALU_DEP_4) | instskip(SKIP_3) | instid1(VALU_DEP_4)
	v_dual_lshlrev_b32 v4, 16, v15 :: v_dual_lshrrev_b32 v15, 16, v16
	v_and_b32_e32 v16, 0xffff, v16
	v_or_b32_e32 v23, v17, v19
	v_or_b32_e32 v22, v14, v18
	;; [unrolled: 1-line block ×3, first 2 shown]
	s_delay_alu instid0(VALU_DEP_4)
	v_or_b32_e32 v20, v4, v16
	s_and_saveexec_b32 s15, s0
	s_cbranch_execz .LBB247_463
; %bb.462:                              ;   in Loop: Header=BB247_265 Depth=1
	v_dual_add_nc_u32 v20, 2, v29 :: v_dual_bitop2_b32 v21, 1, v29 bitop3:0x54
	v_cmp_gt_i32_e64 s1, s14, v29
	v_or_b32_e32 v22, 3, v29
	s_delay_alu instid0(VALU_DEP_2) | instskip(NEXT) | instid1(VALU_DEP_4)
	v_dual_cndmask_b32 v19, 0, v19, s1 :: v_dual_bitop2_b32 v23, 7, v29 bitop3:0x54
	v_cmp_gt_i32_e64 s1, s23, v20
	s_delay_alu instid0(VALU_DEP_1) | instskip(SKIP_1) | instid1(VALU_DEP_1)
	v_cndmask_b32_e64 v18, 0, v18, s1
	v_cmp_gt_i32_e64 s1, s14, v21
	v_cndmask_b32_e64 v17, 0, v17, s1
	v_cmp_gt_i32_e64 s1, s23, v22
	s_delay_alu instid0(VALU_DEP_1) | instskip(NEXT) | instid1(VALU_DEP_1)
	v_dual_cndmask_b32 v14, 0, v14, s1 :: v_dual_bitop2_b32 v20, 4, v29 bitop3:0x54
	v_cmp_gt_i32_e64 s1, s14, v20
	s_delay_alu instid0(VALU_DEP_1) | instskip(NEXT) | instid1(VALU_DEP_1)
	v_dual_cndmask_b32 v15, 0, v15, s1 :: v_dual_bitop2_b32 v21, 6, v29 bitop3:0x54
	;; [unrolled: 3-line block ×3, first 2 shown]
	v_cmp_gt_i32_e64 s1, s14, v22
	s_delay_alu instid0(VALU_DEP_1) | instskip(SKIP_2) | instid1(VALU_DEP_2)
	v_dual_cndmask_b32 v1, 0, v1, s1 :: v_dual_bitop2_b32 v22, v14, v18 bitop3:0x54
	v_cmp_gt_i32_e64 s1, s23, v23
	v_or_b32_e32 v23, v17, v19
	v_dual_cndmask_b32 v4, 0, v4, s1 :: v_dual_bitop2_b32 v21, v1, v15 bitop3:0x54
	s_delay_alu instid0(VALU_DEP_1)
	v_or_b32_e32 v20, v4, v16
.LBB247_463:                            ;   in Loop: Header=BB247_265 Depth=1
	s_or_b32 exec_lo, exec_lo, s15
	;;#ASMSTART
	v_pk_mul_f16 v1, v41, v23;

	;;#ASMEND
	;;#ASMSTART
	v_pk_mul_f16 v4, v40, v22;

	;;#ASMEND
	;; [unrolled: 4-line block ×4, first 2 shown]
	;;#ASMSTART
	v_pk_add_f16 v1, v1, v4;

	;;#ASMEND
	;;#ASMSTART
	v_pk_add_f16 v1, v1, v14;

	;;#ASMEND
	;; [unrolled: 4-line block ×3, first 2 shown]
	v_and_b32_e32 v4, 0xffff, v1
	v_lshrrev_b32_e32 v1, 16, v1
	;;#ASMSTART
	v_cvt_f32_f16 v24, v4;
	;;#ASMEND
	;;#ASMSTART
	v_cvt_f32_f16 v25, v1;
	;;#ASMEND
	s_and_saveexec_b32 s15, vcc_lo
	s_cbranch_execz .LBB247_264
; %bb.464:                              ;   in Loop: Header=BB247_265 Depth=1
	v_add_nc_u64_e32 v[12:13], v[12:13], v[8:9]
	v_mov_b32_e32 v1, 0
	s_mov_b32 s16, exec_lo
	global_load_b64 v[14:15], v[12:13], off
	s_wait_xcnt 0x0
	v_mov_b32_e32 v13, 0
	global_load_b32 v12, v1, s[10:11]
	s_wait_loadcnt 0x1
	v_and_b32_e32 v4, 0xff, v14
	s_wait_xcnt 0x0
	s_delay_alu instid0(VALU_DEP_1)
	v_cmpx_ne_u16_e32 0, v4
	s_cbranch_execz .LBB247_472
; %bb.465:                              ;   in Loop: Header=BB247_265 Depth=1
	v_mov_b32_e32 v13, 0x8000
	s_mov_b32 s17, exec_lo
	v_cmpx_ne_u16_e32 0x80, v4
	s_cbranch_execz .LBB247_471
; %bb.466:                              ;   in Loop: Header=BB247_265 Depth=1
	v_and_b32_e32 v16, 0x7f, v14
	v_mov_b32_e32 v13, 0x7c01
	s_mov_b32 s18, exec_lo
	s_delay_alu instid0(VALU_DEP_2)
	v_cmpx_ne_u32_e32 0x7f, v16
	s_cbranch_execz .LBB247_470
; %bb.467:                              ;   in Loop: Header=BB247_265 Depth=1
	v_dual_lshrrev_b32 v13, 3, v16 :: v_dual_bitop2_b32 v4, 7, v14 bitop3:0x40
	s_mov_b32 s19, exec_lo
	v_cmpx_gt_u32_e32 8, v16
; %bb.468:                              ;   in Loop: Header=BB247_265 Depth=1
	s_delay_alu instid0(VALU_DEP_2) | instskip(NEXT) | instid1(VALU_DEP_1)
	v_clz_i32_u32_e32 v4, v4
	v_min_u32_e32 v4, 32, v4
	s_delay_alu instid0(VALU_DEP_1) | instskip(NEXT) | instid1(VALU_DEP_1)
	v_subrev_nc_u32_e32 v13, 28, v4
	v_lshlrev_b64_e32 v[16:17], v13, v[14:15]
	v_sub_nc_u32_e32 v13, 29, v4
	s_delay_alu instid0(VALU_DEP_2)
	v_and_b32_e32 v4, 7, v16
; %bb.469:                              ;   in Loop: Header=BB247_265 Depth=1
	s_or_b32 exec_lo, exec_lo, s19
	s_delay_alu instid0(VALU_DEP_1) | instskip(NEXT) | instid1(VALU_DEP_3)
	v_dual_lshlrev_b32 v16, 8, v14 :: v_dual_lshlrev_b32 v4, 7, v4
	v_lshl_add_u32 v13, v13, 10, 0x2000
	s_delay_alu instid0(VALU_DEP_2) | instskip(NEXT) | instid1(VALU_DEP_2)
	v_and_b32_e32 v16, 0x8000, v16
	v_and_b32_e32 v13, 0xfc00, v13
	s_delay_alu instid0(VALU_DEP_1)
	v_or3_b32 v13, v16, v13, v4
.LBB247_470:                            ;   in Loop: Header=BB247_265 Depth=1
	s_or_b32 exec_lo, exec_lo, s18
.LBB247_471:                            ;   in Loop: Header=BB247_265 Depth=1
	s_delay_alu instid0(SALU_CYCLE_1)
	s_or_b32 exec_lo, exec_lo, s17
.LBB247_472:                            ;   in Loop: Header=BB247_265 Depth=1
	s_delay_alu instid0(SALU_CYCLE_1) | instskip(SKIP_2) | instid1(VALU_DEP_1)
	s_or_b32 exec_lo, exec_lo, s16
	v_lshrrev_b16 v4, 8, v14
	s_mov_b32 s16, exec_lo
	v_cmpx_ne_u16_e32 0, v4
	s_cbranch_execz .LBB247_480
; %bb.473:                              ;   in Loop: Header=BB247_265 Depth=1
	v_bfrev_b32_e32 v1, 1
	s_mov_b32 s17, exec_lo
	v_cmpx_ne_u16_e32 0x80, v4
	s_cbranch_execz .LBB247_479
; %bb.474:                              ;   in Loop: Header=BB247_265 Depth=1
	v_and_b32_e32 v16, 0xffff, v4
	v_mov_b32_e32 v1, 0x7c010000
	s_mov_b32 s18, exec_lo
	s_delay_alu instid0(VALU_DEP_2) | instskip(NEXT) | instid1(VALU_DEP_1)
	v_and_b32_e32 v18, 0x7f, v16
	v_cmpx_ne_u32_e32 0x7f, v18
	s_cbranch_execz .LBB247_478
; %bb.475:                              ;   in Loop: Header=BB247_265 Depth=1
	v_dual_lshrrev_b32 v17, 3, v18 :: v_dual_bitop2_b32 v1, 7, v16 bitop3:0x40
	s_mov_b32 s19, exec_lo
	v_cmpx_gt_u32_e32 8, v18
; %bb.476:                              ;   in Loop: Header=BB247_265 Depth=1
	s_delay_alu instid0(VALU_DEP_2) | instskip(NEXT) | instid1(VALU_DEP_1)
	v_clz_i32_u32_e32 v1, v1
	v_min_u32_e32 v1, 32, v1
	s_delay_alu instid0(VALU_DEP_1) | instskip(NEXT) | instid1(VALU_DEP_1)
	v_subrev_nc_u32_e32 v17, 28, v1
	v_lshlrev_b64_e32 v[18:19], v17, v[4:5]
	s_delay_alu instid0(VALU_DEP_1)
	v_dual_sub_nc_u32 v17, 29, v1 :: v_dual_bitop2_b32 v1, 7, v18 bitop3:0x40
; %bb.477:                              ;   in Loop: Header=BB247_265 Depth=1
	s_or_b32 exec_lo, exec_lo, s19
	s_delay_alu instid0(VALU_DEP_1) | instskip(NEXT) | instid1(VALU_DEP_2)
	v_dual_lshlrev_b32 v4, 8, v16 :: v_dual_lshlrev_b32 v1, 23, v1
	v_lshl_add_u32 v16, v17, 10, 0x2000
	s_delay_alu instid0(VALU_DEP_1) | instskip(NEXT) | instid1(VALU_DEP_1)
	v_and_or_b32 v4, 0x8000, v4, v16
	v_lshl_or_b32 v1, v4, 16, v1
.LBB247_478:                            ;   in Loop: Header=BB247_265 Depth=1
	s_or_b32 exec_lo, exec_lo, s18
.LBB247_479:                            ;   in Loop: Header=BB247_265 Depth=1
	s_delay_alu instid0(SALU_CYCLE_1)
	s_or_b32 exec_lo, exec_lo, s17
.LBB247_480:                            ;   in Loop: Header=BB247_265 Depth=1
	s_delay_alu instid0(SALU_CYCLE_1) | instskip(SKIP_3) | instid1(VALU_DEP_2)
	s_or_b32 exec_lo, exec_lo, s16
	v_dual_lshrrev_b32 v4, 16, v14 :: v_dual_mov_b32 v16, 0
	v_mov_b32_e32 v17, 0
	s_mov_b32 s16, exec_lo
	v_and_b32_e32 v18, 0xff, v4
	s_delay_alu instid0(VALU_DEP_1)
	v_cmpx_ne_u16_e32 0, v18
	s_cbranch_execz .LBB247_488
; %bb.481:                              ;   in Loop: Header=BB247_265 Depth=1
	v_mov_b32_e32 v17, 0x8000
	s_mov_b32 s17, exec_lo
	v_cmpx_ne_u16_e32 0x80, v18
	s_cbranch_execz .LBB247_487
; %bb.482:                              ;   in Loop: Header=BB247_265 Depth=1
	v_bfe_u32 v19, v14, 16, 7
	v_mov_b32_e32 v17, 0x7c01
	s_mov_b32 s18, exec_lo
	s_delay_alu instid0(VALU_DEP_2)
	v_cmpx_ne_u32_e32 0x7f, v19
	s_cbranch_execz .LBB247_486
; %bb.483:                              ;   in Loop: Header=BB247_265 Depth=1
	v_dual_lshrrev_b32 v18, 3, v19 :: v_dual_bitop2_b32 v17, 7, v4 bitop3:0x40
	s_mov_b32 s19, exec_lo
	v_cmpx_gt_u32_e32 8, v19
; %bb.484:                              ;   in Loop: Header=BB247_265 Depth=1
	s_delay_alu instid0(VALU_DEP_2) | instskip(NEXT) | instid1(VALU_DEP_1)
	v_clz_i32_u32_e32 v17, v17
	v_min_u32_e32 v17, 32, v17
	s_delay_alu instid0(VALU_DEP_1) | instskip(NEXT) | instid1(VALU_DEP_1)
	v_subrev_nc_u32_e32 v18, 28, v17
	v_lshlrev_b64_e32 v[20:21], v18, v[4:5]
	s_delay_alu instid0(VALU_DEP_1)
	v_dual_sub_nc_u32 v18, 29, v17 :: v_dual_bitop2_b32 v17, 7, v20 bitop3:0x40
; %bb.485:                              ;   in Loop: Header=BB247_265 Depth=1
	s_or_b32 exec_lo, exec_lo, s19
	s_delay_alu instid0(VALU_DEP_1) | instskip(NEXT) | instid1(VALU_DEP_2)
	v_dual_lshlrev_b32 v4, 8, v4 :: v_dual_lshlrev_b32 v17, 7, v17
	v_lshl_add_u32 v18, v18, 10, 0x2000
	s_delay_alu instid0(VALU_DEP_2) | instskip(NEXT) | instid1(VALU_DEP_2)
	v_and_b32_e32 v4, 0x8000, v4
	v_and_b32_e32 v18, 0xfc00, v18
	s_delay_alu instid0(VALU_DEP_1)
	v_or3_b32 v17, v4, v18, v17
.LBB247_486:                            ;   in Loop: Header=BB247_265 Depth=1
	s_or_b32 exec_lo, exec_lo, s18
.LBB247_487:                            ;   in Loop: Header=BB247_265 Depth=1
	s_delay_alu instid0(SALU_CYCLE_1)
	s_or_b32 exec_lo, exec_lo, s17
.LBB247_488:                            ;   in Loop: Header=BB247_265 Depth=1
	s_delay_alu instid0(SALU_CYCLE_1) | instskip(NEXT) | instid1(SALU_CYCLE_1)
	s_or_b32 exec_lo, exec_lo, s16
	s_mov_b32 s16, exec_lo
	v_cmpx_lt_u32_e32 0xffffff, v14
	s_cbranch_execz .LBB247_496
; %bb.489:                              ;   in Loop: Header=BB247_265 Depth=1
	v_lshrrev_b32_e32 v4, 24, v14
	v_bfrev_b32_e32 v16, 1
	s_mov_b32 s17, exec_lo
	s_delay_alu instid0(VALU_DEP_2)
	v_cmpx_ne_u32_e32 0x80, v4
	s_cbranch_execz .LBB247_495
; %bb.490:                              ;   in Loop: Header=BB247_265 Depth=1
	v_and_b32_e32 v19, 0x7f, v4
	v_mov_b32_e32 v16, 0x7c010000
	s_mov_b32 s18, exec_lo
	s_delay_alu instid0(VALU_DEP_2)
	v_cmpx_ne_u32_e32 0x7f, v19
	s_cbranch_execz .LBB247_494
; %bb.491:                              ;   in Loop: Header=BB247_265 Depth=1
	v_dual_lshrrev_b32 v18, 3, v19 :: v_dual_bitop2_b32 v16, 7, v4 bitop3:0x40
	s_mov_b32 s19, exec_lo
	v_cmpx_gt_u32_e32 8, v19
; %bb.492:                              ;   in Loop: Header=BB247_265 Depth=1
	s_delay_alu instid0(VALU_DEP_2) | instskip(NEXT) | instid1(VALU_DEP_1)
	v_clz_i32_u32_e32 v16, v16
	v_min_u32_e32 v16, 32, v16
	s_delay_alu instid0(VALU_DEP_1) | instskip(NEXT) | instid1(VALU_DEP_1)
	v_subrev_nc_u32_e32 v18, 28, v16
	v_lshlrev_b64_e32 v[20:21], v18, v[4:5]
	v_sub_nc_u32_e32 v18, 29, v16
	s_delay_alu instid0(VALU_DEP_2)
	v_and_b32_e32 v16, 7, v20
; %bb.493:                              ;   in Loop: Header=BB247_265 Depth=1
	s_or_b32 exec_lo, exec_lo, s19
	v_lshlrev_b32_e32 v4, 8, v4
	s_delay_alu instid0(VALU_DEP_3) | instskip(NEXT) | instid1(VALU_DEP_3)
	v_lshl_add_u32 v18, v18, 10, 0x2000
	v_lshlrev_b32_e32 v16, 23, v16
	s_delay_alu instid0(VALU_DEP_2) | instskip(NEXT) | instid1(VALU_DEP_1)
	v_and_or_b32 v4, 0x8000, v4, v18
	v_lshl_or_b32 v16, v4, 16, v16
.LBB247_494:                            ;   in Loop: Header=BB247_265 Depth=1
	s_or_b32 exec_lo, exec_lo, s18
.LBB247_495:                            ;   in Loop: Header=BB247_265 Depth=1
	s_delay_alu instid0(SALU_CYCLE_1)
	s_or_b32 exec_lo, exec_lo, s17
.LBB247_496:                            ;   in Loop: Header=BB247_265 Depth=1
	s_delay_alu instid0(SALU_CYCLE_1) | instskip(SKIP_4) | instid1(VALU_DEP_3)
	s_or_b32 exec_lo, exec_lo, s16
	v_and_b32_e32 v20, 0xff, v15
	v_dual_mov_b32 v4, v15 :: v_dual_mov_b32 v19, 0
	v_mov_b32_e32 v18, 0
	s_mov_b32 s16, exec_lo
	v_cmpx_ne_u16_e32 0, v20
	s_cbranch_execz .LBB247_504
; %bb.497:                              ;   in Loop: Header=BB247_265 Depth=1
	v_mov_b32_e32 v18, 0x8000
	s_mov_b32 s17, exec_lo
	v_cmpx_ne_u16_e32 0x80, v20
	s_cbranch_execz .LBB247_503
; %bb.498:                              ;   in Loop: Header=BB247_265 Depth=1
	v_and_b32_e32 v21, 0x7f, v15
	v_mov_b32_e32 v18, 0x7c01
	s_mov_b32 s18, exec_lo
	s_delay_alu instid0(VALU_DEP_2)
	v_cmpx_ne_u32_e32 0x7f, v21
	s_cbranch_execz .LBB247_502
; %bb.499:                              ;   in Loop: Header=BB247_265 Depth=1
	v_dual_lshrrev_b32 v20, 3, v21 :: v_dual_bitop2_b32 v18, 7, v15 bitop3:0x40
	s_mov_b32 s19, exec_lo
	v_cmpx_gt_u32_e32 8, v21
; %bb.500:                              ;   in Loop: Header=BB247_265 Depth=1
	s_delay_alu instid0(VALU_DEP_2) | instskip(NEXT) | instid1(VALU_DEP_1)
	v_clz_i32_u32_e32 v18, v18
	v_min_u32_e32 v18, 32, v18
	s_delay_alu instid0(VALU_DEP_1) | instskip(NEXT) | instid1(VALU_DEP_1)
	v_subrev_nc_u32_e32 v20, 28, v18
	v_lshlrev_b64_e32 v[22:23], v20, v[4:5]
	v_sub_nc_u32_e32 v20, 29, v18
	s_delay_alu instid0(VALU_DEP_2)
	v_and_b32_e32 v18, 7, v22
; %bb.501:                              ;   in Loop: Header=BB247_265 Depth=1
	s_or_b32 exec_lo, exec_lo, s19
	s_delay_alu instid0(VALU_DEP_1) | instskip(NEXT) | instid1(VALU_DEP_3)
	v_dual_lshlrev_b32 v21, 8, v15 :: v_dual_lshlrev_b32 v18, 7, v18
	v_lshl_add_u32 v20, v20, 10, 0x2000
	s_delay_alu instid0(VALU_DEP_2) | instskip(NEXT) | instid1(VALU_DEP_2)
	v_and_b32_e32 v21, 0x8000, v21
	v_and_b32_e32 v20, 0xfc00, v20
	s_delay_alu instid0(VALU_DEP_1)
	v_or3_b32 v18, v21, v20, v18
.LBB247_502:                            ;   in Loop: Header=BB247_265 Depth=1
	s_or_b32 exec_lo, exec_lo, s18
.LBB247_503:                            ;   in Loop: Header=BB247_265 Depth=1
	s_delay_alu instid0(SALU_CYCLE_1)
	s_or_b32 exec_lo, exec_lo, s17
.LBB247_504:                            ;   in Loop: Header=BB247_265 Depth=1
	s_delay_alu instid0(SALU_CYCLE_1) | instskip(SKIP_3) | instid1(VALU_DEP_2)
	s_or_b32 exec_lo, exec_lo, s16
	v_lshrrev_b16 v4, 8, v4
	v_mov_b32_e32 v20, 0
	s_mov_b32 s16, exec_lo
	v_cmpx_ne_u16_e32 0, v4
	s_cbranch_execz .LBB247_512
; %bb.505:                              ;   in Loop: Header=BB247_265 Depth=1
	v_bfrev_b32_e32 v20, 1
	s_mov_b32 s17, exec_lo
	v_cmpx_ne_u16_e32 0x80, v4
	s_cbranch_execz .LBB247_511
; %bb.506:                              ;   in Loop: Header=BB247_265 Depth=1
	v_and_b32_e32 v21, 0xffff, v4
	v_mov_b32_e32 v20, 0x7c010000
	s_mov_b32 s18, exec_lo
	s_delay_alu instid0(VALU_DEP_2) | instskip(NEXT) | instid1(VALU_DEP_1)
	v_and_b32_e32 v23, 0x7f, v21
	v_cmpx_ne_u32_e32 0x7f, v23
	s_cbranch_execz .LBB247_510
; %bb.507:                              ;   in Loop: Header=BB247_265 Depth=1
	v_dual_lshrrev_b32 v22, 3, v23 :: v_dual_bitop2_b32 v20, 7, v21 bitop3:0x40
	s_mov_b32 s19, exec_lo
	v_cmpx_gt_u32_e32 8, v23
; %bb.508:                              ;   in Loop: Header=BB247_265 Depth=1
	s_delay_alu instid0(VALU_DEP_2) | instskip(NEXT) | instid1(VALU_DEP_1)
	v_clz_i32_u32_e32 v20, v20
	v_min_u32_e32 v20, 32, v20
	s_delay_alu instid0(VALU_DEP_1) | instskip(NEXT) | instid1(VALU_DEP_1)
	v_subrev_nc_u32_e32 v22, 28, v20
	v_lshlrev_b64_e32 v[42:43], v22, v[4:5]
	s_delay_alu instid0(VALU_DEP_1)
	v_dual_sub_nc_u32 v22, 29, v20 :: v_dual_bitop2_b32 v20, 7, v42 bitop3:0x40
; %bb.509:                              ;   in Loop: Header=BB247_265 Depth=1
	s_or_b32 exec_lo, exec_lo, s19
	s_delay_alu instid0(VALU_DEP_1) | instskip(NEXT) | instid1(VALU_DEP_2)
	v_dual_lshlrev_b32 v4, 8, v21 :: v_dual_lshlrev_b32 v20, 23, v20
	v_lshl_add_u32 v21, v22, 10, 0x2000
	s_delay_alu instid0(VALU_DEP_1) | instskip(NEXT) | instid1(VALU_DEP_1)
	v_and_or_b32 v4, 0x8000, v4, v21
	v_lshl_or_b32 v20, v4, 16, v20
.LBB247_510:                            ;   in Loop: Header=BB247_265 Depth=1
	s_or_b32 exec_lo, exec_lo, s18
.LBB247_511:                            ;   in Loop: Header=BB247_265 Depth=1
	s_delay_alu instid0(SALU_CYCLE_1)
	s_or_b32 exec_lo, exec_lo, s17
.LBB247_512:                            ;   in Loop: Header=BB247_265 Depth=1
	s_delay_alu instid0(SALU_CYCLE_1) | instskip(SKIP_2) | instid1(VALU_DEP_1)
	s_or_b32 exec_lo, exec_lo, s16
	v_lshrrev_b32_e32 v4, 16, v15
	s_mov_b32 s16, exec_lo
	v_and_b32_e32 v21, 0xff, v4
	s_delay_alu instid0(VALU_DEP_1)
	v_cmpx_ne_u16_e32 0, v21
	s_cbranch_execz .LBB247_520
; %bb.513:                              ;   in Loop: Header=BB247_265 Depth=1
	v_mov_b32_e32 v19, 0x8000
	s_mov_b32 s17, exec_lo
	v_cmpx_ne_u16_e32 0x80, v21
	s_cbranch_execz .LBB247_519
; %bb.514:                              ;   in Loop: Header=BB247_265 Depth=1
	v_bfe_u32 v22, v15, 16, 7
	v_mov_b32_e32 v19, 0x7c01
	s_mov_b32 s18, exec_lo
	s_delay_alu instid0(VALU_DEP_2)
	v_cmpx_ne_u32_e32 0x7f, v22
	s_cbranch_execz .LBB247_518
; %bb.515:                              ;   in Loop: Header=BB247_265 Depth=1
	v_dual_lshrrev_b32 v21, 3, v22 :: v_dual_bitop2_b32 v19, 7, v4 bitop3:0x40
	s_mov_b32 s19, exec_lo
	v_cmpx_gt_u32_e32 8, v22
; %bb.516:                              ;   in Loop: Header=BB247_265 Depth=1
	s_delay_alu instid0(VALU_DEP_2) | instskip(NEXT) | instid1(VALU_DEP_1)
	v_clz_i32_u32_e32 v19, v19
	v_min_u32_e32 v19, 32, v19
	s_delay_alu instid0(VALU_DEP_1) | instskip(NEXT) | instid1(VALU_DEP_1)
	v_subrev_nc_u32_e32 v21, 28, v19
	v_lshlrev_b64_e32 v[22:23], v21, v[4:5]
	s_delay_alu instid0(VALU_DEP_1)
	v_dual_sub_nc_u32 v21, 29, v19 :: v_dual_bitop2_b32 v19, 7, v22 bitop3:0x40
; %bb.517:                              ;   in Loop: Header=BB247_265 Depth=1
	s_or_b32 exec_lo, exec_lo, s19
	s_delay_alu instid0(VALU_DEP_1) | instskip(NEXT) | instid1(VALU_DEP_2)
	v_dual_lshlrev_b32 v4, 8, v4 :: v_dual_lshlrev_b32 v19, 7, v19
	v_lshl_add_u32 v21, v21, 10, 0x2000
	s_delay_alu instid0(VALU_DEP_2) | instskip(NEXT) | instid1(VALU_DEP_2)
	v_and_b32_e32 v4, 0x8000, v4
	v_and_b32_e32 v21, 0xfc00, v21
	s_delay_alu instid0(VALU_DEP_1)
	v_or3_b32 v19, v4, v21, v19
.LBB247_518:                            ;   in Loop: Header=BB247_265 Depth=1
	s_or_b32 exec_lo, exec_lo, s18
.LBB247_519:                            ;   in Loop: Header=BB247_265 Depth=1
	s_delay_alu instid0(SALU_CYCLE_1)
	s_or_b32 exec_lo, exec_lo, s17
.LBB247_520:                            ;   in Loop: Header=BB247_265 Depth=1
	s_delay_alu instid0(SALU_CYCLE_1)
	s_or_b32 exec_lo, exec_lo, s16
	v_cmp_lt_u64_e64 s1, s[4:5], v[14:15]
	v_mov_b32_e32 v14, 0
	s_and_saveexec_b32 s16, s1
	s_cbranch_execz .LBB247_528
; %bb.521:                              ;   in Loop: Header=BB247_265 Depth=1
	v_lshrrev_b32_e32 v4, 24, v15
	v_bfrev_b32_e32 v14, 1
	s_mov_b32 s17, exec_lo
	s_delay_alu instid0(VALU_DEP_2)
	v_cmpx_ne_u32_e32 0x80, v4
	s_cbranch_execz .LBB247_527
; %bb.522:                              ;   in Loop: Header=BB247_265 Depth=1
	v_and_b32_e32 v21, 0x7f, v4
	v_mov_b32_e32 v14, 0x7c010000
	s_mov_b32 s18, exec_lo
	s_delay_alu instid0(VALU_DEP_2)
	v_cmpx_ne_u32_e32 0x7f, v21
	s_cbranch_execz .LBB247_526
; %bb.523:                              ;   in Loop: Header=BB247_265 Depth=1
	v_dual_lshrrev_b32 v15, 3, v21 :: v_dual_bitop2_b32 v14, 7, v4 bitop3:0x40
	s_mov_b32 s19, exec_lo
	v_cmpx_gt_u32_e32 8, v21
; %bb.524:                              ;   in Loop: Header=BB247_265 Depth=1
	s_delay_alu instid0(VALU_DEP_2) | instskip(NEXT) | instid1(VALU_DEP_1)
	v_clz_i32_u32_e32 v14, v14
	v_min_u32_e32 v21, 32, v14
	s_delay_alu instid0(VALU_DEP_1) | instskip(NEXT) | instid1(VALU_DEP_1)
	v_subrev_nc_u32_e32 v14, 28, v21
	v_lshlrev_b64_e32 v[14:15], v14, v[4:5]
	s_delay_alu instid0(VALU_DEP_1)
	v_dual_sub_nc_u32 v15, 29, v21 :: v_dual_bitop2_b32 v14, 7, v14 bitop3:0x40
; %bb.525:                              ;   in Loop: Header=BB247_265 Depth=1
	s_or_b32 exec_lo, exec_lo, s19
	s_delay_alu instid0(VALU_DEP_1) | instskip(NEXT) | instid1(VALU_DEP_2)
	v_dual_lshlrev_b32 v4, 8, v4 :: v_dual_lshlrev_b32 v14, 23, v14
	v_lshl_add_u32 v15, v15, 10, 0x2000
	s_delay_alu instid0(VALU_DEP_1) | instskip(NEXT) | instid1(VALU_DEP_1)
	v_and_or_b32 v4, 0x8000, v4, v15
	v_lshl_or_b32 v14, v4, 16, v14
.LBB247_526:                            ;   in Loop: Header=BB247_265 Depth=1
	s_or_b32 exec_lo, exec_lo, s18
.LBB247_527:                            ;   in Loop: Header=BB247_265 Depth=1
	s_delay_alu instid0(SALU_CYCLE_1)
	s_or_b32 exec_lo, exec_lo, s17
.LBB247_528:                            ;   in Loop: Header=BB247_265 Depth=1
	s_delay_alu instid0(SALU_CYCLE_1) | instskip(SKIP_3) | instid1(VALU_DEP_3)
	s_or_b32 exec_lo, exec_lo, s16
	v_dual_lshrrev_b32 v4, 16, v1 :: v_dual_lshrrev_b32 v15, 16, v16
	v_or_b32_e32 v1, v1, v13
	v_dual_lshrrev_b32 v21, 16, v14 :: v_dual_bitop2_b32 v13, v16, v17 bitop3:0x54
	v_cvt_f32_f16_e32 v17, v4
	s_delay_alu instid0(VALU_DEP_4) | instskip(SKIP_1) | instid1(VALU_DEP_4)
	v_cvt_f32_f16_e32 v16, v15
	v_dual_lshrrev_b32 v19, 16, v20 :: v_dual_bitop2_b32 v4, v14, v19 bitop3:0x54
	v_cvt_f32_f16_e32 v14, v13
	v_cvt_f32_f16_e32 v15, v1
	s_wait_loadcnt 0x0
	v_pk_mul_f32 v[16:17], v[12:13], v[16:17] op_sel_hi:[0,1]
	v_or_b32_e32 v13, v20, v18
	v_cvt_f32_f16_e32 v19, v19
	v_cvt_f32_f16_e32 v18, v21
	;; [unrolled: 1-line block ×3, first 2 shown]
	v_cvt_pk_f16_f32 v1, v16, v17
	v_cvt_f32_f16_e32 v21, v13
	v_pk_mul_f32 v[14:15], v[12:13], v[14:15] op_sel_hi:[0,1]
	v_pk_mul_f32 v[16:17], v[12:13], v[18:19] op_sel_hi:[0,1]
	s_delay_alu instid0(VALU_DEP_3) | instskip(NEXT) | instid1(VALU_DEP_3)
	v_pk_mul_f32 v[18:19], v[12:13], v[20:21] op_sel_hi:[0,1]
	v_cvt_pk_f16_f32 v4, v14, v15
	s_delay_alu instid0(VALU_DEP_3)
	v_cvt_pk_f16_f32 v13, v16, v17
	v_and_b32_e32 v15, 0xffff0000, v1
	v_lshlrev_b32_e32 v12, 16, v1
	v_cvt_pk_f16_f32 v14, v18, v19
	v_lshrrev_b32_e32 v17, 16, v4
	v_and_b32_e32 v16, 0xffff, v4
	v_and_b32_e32 v1, 0xffff0000, v13
	s_delay_alu instid0(VALU_DEP_4) | instskip(SKIP_3) | instid1(VALU_DEP_4)
	v_dual_lshlrev_b32 v4, 16, v13 :: v_dual_lshrrev_b32 v13, 16, v14
	v_and_b32_e32 v14, 0xffff, v14
	v_or_b32_e32 v21, v15, v17
	v_or_b32_e32 v20, v12, v16
	;; [unrolled: 1-line block ×3, first 2 shown]
	s_delay_alu instid0(VALU_DEP_4)
	v_or_b32_e32 v18, v4, v14
	s_and_saveexec_b32 s1, s0
	s_cbranch_execz .LBB247_263
; %bb.529:                              ;   in Loop: Header=BB247_265 Depth=1
	v_dual_add_nc_u32 v18, 2, v29 :: v_dual_bitop2_b32 v19, 1, v29 bitop3:0x54
	v_cmp_gt_i32_e64 s0, s14, v29
	v_or_b32_e32 v21, 7, v29
	s_delay_alu instid0(VALU_DEP_2) | instskip(NEXT) | instid1(VALU_DEP_4)
	v_cndmask_b32_e64 v17, 0, v17, s0
	v_cmp_gt_i32_e64 s0, s23, v18
	s_delay_alu instid0(VALU_DEP_1) | instskip(SKIP_1) | instid1(VALU_DEP_1)
	v_dual_cndmask_b32 v16, 0, v16, s0 :: v_dual_bitop2_b32 v20, 3, v29 bitop3:0x54
	v_cmp_gt_i32_e64 s0, s14, v19
	v_dual_cndmask_b32 v15, 0, v15, s0 :: v_dual_bitop2_b32 v19, 6, v29 bitop3:0x54
	s_delay_alu instid0(VALU_DEP_3) | instskip(SKIP_1) | instid1(VALU_DEP_2)
	v_cmp_gt_i32_e64 s0, s23, v20
	v_or_b32_e32 v18, 4, v29
	v_dual_cndmask_b32 v12, 0, v12, s0 :: v_dual_bitop2_b32 v20, 5, v29 bitop3:0x54
	s_delay_alu instid0(VALU_DEP_2) | instskip(NEXT) | instid1(VALU_DEP_1)
	v_cmp_gt_i32_e64 s0, s14, v18
	v_cndmask_b32_e64 v13, 0, v13, s0
	v_cmp_gt_i32_e64 s0, s23, v19
	s_delay_alu instid0(VALU_DEP_1) | instskip(SKIP_1) | instid1(VALU_DEP_1)
	v_cndmask_b32_e64 v14, 0, v14, s0
	v_cmp_gt_i32_e64 s0, s14, v20
	v_dual_cndmask_b32 v1, 0, v1, s0 :: v_dual_bitop2_b32 v20, v12, v16 bitop3:0x54
	v_cmp_gt_i32_e64 s0, s23, v21
	s_delay_alu instid0(VALU_DEP_1) | instskip(NEXT) | instid1(VALU_DEP_1)
	v_dual_cndmask_b32 v4, 0, v4, s0 :: v_dual_bitop2_b32 v21, v15, v17 bitop3:0x54
	v_or_b32_e32 v18, v4, v14
	s_delay_alu instid0(VALU_DEP_4)
	v_or_b32_e32 v19, v1, v13
	s_branch .LBB247_263
.LBB247_530:
	s_or_b32 exec_lo, exec_lo, s9
.LBB247_531:
	s_delay_alu instid0(SALU_CYCLE_1) | instskip(SKIP_2) | instid1(SALU_CYCLE_1)
	s_or_b32 exec_lo, exec_lo, s25
	v_and_b32_e32 v1, 0x3c0, v0
	s_movk_i32 s0, 0x1c0
	v_mad_u32_u24 v8, v26, s0, 0x100
	s_barrier_signal -1
	s_delay_alu instid0(VALU_DEP_2)
	v_cmp_eq_u32_e32 vcc_lo, 64, v1
	v_or_b32_e32 v1, 0x60, v0
	s_barrier_wait -1
	s_and_saveexec_b32 s0, vcc_lo
	s_cbranch_execz .LBB247_534
; %bb.532:
	v_add_nc_u32_e32 v4, 0xfffffc80, v8
	v_cmp_gt_u32_e32 vcc_lo, 0x70, v1
	s_delay_alu instid0(VALU_DEP_2)
	v_lshl_add_u32 v5, v27, 2, v4
	ds_store_2addr_b32 v5, v2, v3 offset1:32
	ds_store_b32 v5, v35 offset:256
	s_and_b32 exec_lo, exec_lo, vcc_lo
; %bb.533:
	v_lshl_add_u32 v4, v1, 2, v4
	ds_store_b32 v4, v34
.LBB247_534:
	s_or_b32 exec_lo, exec_lo, s0
	v_lshl_add_u32 v9, v27, 2, v8
	s_mov_b32 s0, exec_lo
	s_wait_dscnt 0x0
	s_barrier_signal -1
	s_barrier_wait -1
	v_cmpx_gt_u32_e32 64, v0
	s_cbranch_execz .LBB247_538
; %bb.535:
	v_lshl_or_b32 v6, v0, 2, 0x80
	ds_load_2addr_stride64_b32 v[4:5], v9 offset1:1
	s_mov_b32 s1, exec_lo
	v_add_nc_u32_e32 v6, v8, v6
	ds_load_b32 v7, v6
	s_wait_dscnt 0x1
	v_mov_b32_e32 v6, v4
	v_cmpx_gt_u32_e32 0x70, v1
	s_cbranch_execz .LBB247_537
; %bb.536:
	v_lshl_add_u32 v4, v1, 2, v8
	ds_load_b32 v4, v4
	s_wait_dscnt 0x0
	v_add_f32_e32 v34, v34, v4
.LBB247_537:
	s_or_b32 exec_lo, exec_lo, s1
	s_wait_dscnt 0x0
	v_pk_add_f32 v[2:3], v[2:3], v[6:7]
	v_add_f32_e32 v35, v35, v5
.LBB247_538:
	s_or_b32 exec_lo, exec_lo, s0
	v_and_b32_e32 v4, 0x3e0, v0
	s_mov_b32 s0, exec_lo
	s_barrier_signal -1
	s_barrier_wait -1
	s_delay_alu instid0(VALU_DEP_1)
	v_cmpx_eq_u32_e32 32, v4
	s_cbranch_execz .LBB247_541
; %bb.539:
	v_lshl_add_u32 v4, v27, 2, 0x100
	v_cmp_gt_u32_e32 vcc_lo, 0x70, v1
	ds_store_b32 v4, v2
	ds_store_b32 v28, v3
	ds_store_b32 v4, v35 offset:256
	s_and_b32 exec_lo, exec_lo, vcc_lo
; %bb.540:
	v_lshl_add_u32 v4, v1, 2, 0x100
	ds_store_b32 v4, v34
.LBB247_541:
	s_or_b32 exec_lo, exec_lo, s0
	v_cmp_gt_u32_e32 vcc_lo, 32, v0
	s_wait_dscnt 0x0
	s_barrier_signal -1
	s_barrier_wait -1
	s_and_saveexec_b32 s1, vcc_lo
	s_cbranch_execz .LBB247_545
; %bb.542:
	v_lshl_add_u32 v8, v0, 2, v8
	s_mov_b32 s2, exec_lo
	ds_load_2addr_b32 v[4:5], v8 offset0:32 offset1:64
	ds_load_b32 v6, v9
	s_wait_dscnt 0x1
	v_mov_b32_e32 v7, v4
	v_cmpx_gt_u32_e32 0x70, v1
	s_cbranch_execz .LBB247_544
; %bb.543:
	ds_load_b32 v4, v8 offset:384
	s_wait_dscnt 0x0
	v_add_f32_e32 v34, v34, v4
.LBB247_544:
	s_or_b32 exec_lo, exec_lo, s2
	s_wait_dscnt 0x0
	v_pk_add_f32 v[2:3], v[2:3], v[6:7]
	v_add_f32_e32 v35, v35, v5
.LBB247_545:
	s_or_b32 exec_lo, exec_lo, s1
	s_barrier_signal -1
	s_barrier_wait -1
	s_and_saveexec_b32 s0, vcc_lo
	s_cbranch_execz .LBB247_548
; %bb.546:
	s_mul_i32 s1, s22, s13
	s_bfe_u32 s5, ttmp6, 0x40014
	s_mul_i32 s1, s1, s21
	s_mul_i32 s0, s13, s12
	;; [unrolled: 1-line block ×3, first 2 shown]
	s_lshr_b32 s4, ttmp7, 16
	s_ashr_i32 s3, s2, 31
	s_add_co_i32 s5, s5, 1
	s_lshl_b64 s[2:3], s[2:3], 1
	s_ashr_i32 s1, s0, 31
	s_add_nc_u64 s[2:3], s[6:7], s[2:3]
	s_mul_i32 s5, s4, s5
	s_bfe_u32 s6, ttmp6, 0x40008
	s_lshl_b64 s[0:1], s[0:1], 1
	s_add_co_i32 s6, s6, s5
	s_cmp_eq_u32 s20, 0
	s_add_nc_u64 s[0:1], s[2:3], s[0:1]
	s_cselect_b32 s2, s4, s6
	s_mov_b32 s3, 0
	s_mulk_i32 s2, 0xe0
	v_cmp_gt_u32_e32 vcc_lo, 0x70, v1
	s_add_nc_u64 s[0:1], s[0:1], s[2:3]
	;;#ASMSTART
	v_cvt_f16_f32 v2, v2;

	;;#ASMEND
	global_store_b16 v0, v2, s[0:1] scale_offset
	;;#ASMSTART
	v_cvt_f16_f32 v1, v3;

	;;#ASMEND
	global_store_b16 v0, v1, s[0:1] offset:64 scale_offset
	s_wait_xcnt 0x0
	;;#ASMSTART
	v_cvt_f16_f32 v1, v35;

	;;#ASMEND
	global_store_b16 v0, v1, s[0:1] offset:128 scale_offset
	s_wait_xcnt 0x0
	s_and_b32 exec_lo, exec_lo, vcc_lo
	s_cbranch_execz .LBB247_548
; %bb.547:
	v_dual_mov_b32 v1, 0 :: v_dual_lshlrev_b32 v0, 1, v0
	;;#ASMSTART
	v_cvt_f16_f32 v2, v34;

	;;#ASMEND
	s_delay_alu instid0(VALU_DEP_1)
	v_add_nc_u64_e32 v[0:1], s[0:1], v[0:1]
	global_store_b16 v[0:1], v2, off offset:192
.LBB247_548:
	s_sendmsg sendmsg(MSG_DEALLOC_VGPRS)
	s_endpgm
	.section	.rodata,"a",@progbits
	.p2align	6, 0x0
	.amdhsa_kernel _ZN4vllm25paged_attention_v1_kernelIthLi112ELi8ELi128ELNS_18Fp8KVCacheDataTypeE1ELb0EEEvPT_PKS2_PKT0_S8_ifPKiSA_iPKfiiiSC_SC_iiiii
		.amdhsa_group_segment_fixed_size 256
		.amdhsa_private_segment_fixed_size 0
		.amdhsa_kernarg_size 384
		.amdhsa_user_sgpr_count 2
		.amdhsa_user_sgpr_dispatch_ptr 0
		.amdhsa_user_sgpr_queue_ptr 0
		.amdhsa_user_sgpr_kernarg_segment_ptr 1
		.amdhsa_user_sgpr_dispatch_id 0
		.amdhsa_user_sgpr_kernarg_preload_length 0
		.amdhsa_user_sgpr_kernarg_preload_offset 0
		.amdhsa_user_sgpr_private_segment_size 0
		.amdhsa_wavefront_size32 1
		.amdhsa_uses_dynamic_stack 0
		.amdhsa_enable_private_segment 0
		.amdhsa_system_sgpr_workgroup_id_x 1
		.amdhsa_system_sgpr_workgroup_id_y 1
		.amdhsa_system_sgpr_workgroup_id_z 1
		.amdhsa_system_sgpr_workgroup_info 0
		.amdhsa_system_vgpr_workitem_id 0
		.amdhsa_next_free_vgpr 71
		.amdhsa_next_free_sgpr 32
		.amdhsa_named_barrier_count 0
		.amdhsa_reserve_vcc 1
		.amdhsa_float_round_mode_32 0
		.amdhsa_float_round_mode_16_64 0
		.amdhsa_float_denorm_mode_32 3
		.amdhsa_float_denorm_mode_16_64 3
		.amdhsa_fp16_overflow 0
		.amdhsa_memory_ordered 1
		.amdhsa_forward_progress 1
		.amdhsa_inst_pref_size 165
		.amdhsa_round_robin_scheduling 0
		.amdhsa_exception_fp_ieee_invalid_op 0
		.amdhsa_exception_fp_denorm_src 0
		.amdhsa_exception_fp_ieee_div_zero 0
		.amdhsa_exception_fp_ieee_overflow 0
		.amdhsa_exception_fp_ieee_underflow 0
		.amdhsa_exception_fp_ieee_inexact 0
		.amdhsa_exception_int_div_zero 0
	.end_amdhsa_kernel
	.section	.text._ZN4vllm25paged_attention_v1_kernelIthLi112ELi8ELi128ELNS_18Fp8KVCacheDataTypeE1ELb0EEEvPT_PKS2_PKT0_S8_ifPKiSA_iPKfiiiSC_SC_iiiii,"axG",@progbits,_ZN4vllm25paged_attention_v1_kernelIthLi112ELi8ELi128ELNS_18Fp8KVCacheDataTypeE1ELb0EEEvPT_PKS2_PKT0_S8_ifPKiSA_iPKfiiiSC_SC_iiiii,comdat
.Lfunc_end247:
	.size	_ZN4vllm25paged_attention_v1_kernelIthLi112ELi8ELi128ELNS_18Fp8KVCacheDataTypeE1ELb0EEEvPT_PKS2_PKT0_S8_ifPKiSA_iPKfiiiSC_SC_iiiii, .Lfunc_end247-_ZN4vllm25paged_attention_v1_kernelIthLi112ELi8ELi128ELNS_18Fp8KVCacheDataTypeE1ELb0EEEvPT_PKS2_PKT0_S8_ifPKiSA_iPKfiiiSC_SC_iiiii
                                        ; -- End function
	.set _ZN4vllm25paged_attention_v1_kernelIthLi112ELi8ELi128ELNS_18Fp8KVCacheDataTypeE1ELb0EEEvPT_PKS2_PKT0_S8_ifPKiSA_iPKfiiiSC_SC_iiiii.num_vgpr, 71
	.set _ZN4vllm25paged_attention_v1_kernelIthLi112ELi8ELi128ELNS_18Fp8KVCacheDataTypeE1ELb0EEEvPT_PKS2_PKT0_S8_ifPKiSA_iPKfiiiSC_SC_iiiii.num_agpr, 0
	.set _ZN4vllm25paged_attention_v1_kernelIthLi112ELi8ELi128ELNS_18Fp8KVCacheDataTypeE1ELb0EEEvPT_PKS2_PKT0_S8_ifPKiSA_iPKfiiiSC_SC_iiiii.numbered_sgpr, 32
	.set _ZN4vllm25paged_attention_v1_kernelIthLi112ELi8ELi128ELNS_18Fp8KVCacheDataTypeE1ELb0EEEvPT_PKS2_PKT0_S8_ifPKiSA_iPKfiiiSC_SC_iiiii.num_named_barrier, 0
	.set _ZN4vllm25paged_attention_v1_kernelIthLi112ELi8ELi128ELNS_18Fp8KVCacheDataTypeE1ELb0EEEvPT_PKS2_PKT0_S8_ifPKiSA_iPKfiiiSC_SC_iiiii.private_seg_size, 0
	.set _ZN4vllm25paged_attention_v1_kernelIthLi112ELi8ELi128ELNS_18Fp8KVCacheDataTypeE1ELb0EEEvPT_PKS2_PKT0_S8_ifPKiSA_iPKfiiiSC_SC_iiiii.uses_vcc, 1
	.set _ZN4vllm25paged_attention_v1_kernelIthLi112ELi8ELi128ELNS_18Fp8KVCacheDataTypeE1ELb0EEEvPT_PKS2_PKT0_S8_ifPKiSA_iPKfiiiSC_SC_iiiii.uses_flat_scratch, 0
	.set _ZN4vllm25paged_attention_v1_kernelIthLi112ELi8ELi128ELNS_18Fp8KVCacheDataTypeE1ELb0EEEvPT_PKS2_PKT0_S8_ifPKiSA_iPKfiiiSC_SC_iiiii.has_dyn_sized_stack, 0
	.set _ZN4vllm25paged_attention_v1_kernelIthLi112ELi8ELi128ELNS_18Fp8KVCacheDataTypeE1ELb0EEEvPT_PKS2_PKT0_S8_ifPKiSA_iPKfiiiSC_SC_iiiii.has_recursion, 0
	.set _ZN4vllm25paged_attention_v1_kernelIthLi112ELi8ELi128ELNS_18Fp8KVCacheDataTypeE1ELb0EEEvPT_PKS2_PKT0_S8_ifPKiSA_iPKfiiiSC_SC_iiiii.has_indirect_call, 0
	.section	.AMDGPU.csdata,"",@progbits
; Kernel info:
; codeLenInByte = 21000
; TotalNumSgprs: 34
; NumVgprs: 71
; ScratchSize: 0
; MemoryBound: 0
; FloatMode: 240
; IeeeMode: 1
; LDSByteSize: 256 bytes/workgroup (compile time only)
; SGPRBlocks: 0
; VGPRBlocks: 4
; NumSGPRsForWavesPerEU: 34
; NumVGPRsForWavesPerEU: 71
; NamedBarCnt: 0
; Occupancy: 12
; WaveLimiterHint : 1
; COMPUTE_PGM_RSRC2:SCRATCH_EN: 0
; COMPUTE_PGM_RSRC2:USER_SGPR: 2
; COMPUTE_PGM_RSRC2:TRAP_HANDLER: 0
; COMPUTE_PGM_RSRC2:TGID_X_EN: 1
; COMPUTE_PGM_RSRC2:TGID_Y_EN: 1
; COMPUTE_PGM_RSRC2:TGID_Z_EN: 1
; COMPUTE_PGM_RSRC2:TIDIG_COMP_CNT: 0
	.section	.text._ZN4vllm25paged_attention_v1_kernelIthLi120ELi8ELi128ELNS_18Fp8KVCacheDataTypeE1ELb0EEEvPT_PKS2_PKT0_S8_ifPKiSA_iPKfiiiSC_SC_iiiii,"axG",@progbits,_ZN4vllm25paged_attention_v1_kernelIthLi120ELi8ELi128ELNS_18Fp8KVCacheDataTypeE1ELb0EEEvPT_PKS2_PKT0_S8_ifPKiSA_iPKfiiiSC_SC_iiiii,comdat
	.protected	_ZN4vllm25paged_attention_v1_kernelIthLi120ELi8ELi128ELNS_18Fp8KVCacheDataTypeE1ELb0EEEvPT_PKS2_PKT0_S8_ifPKiSA_iPKfiiiSC_SC_iiiii ; -- Begin function _ZN4vllm25paged_attention_v1_kernelIthLi120ELi8ELi128ELNS_18Fp8KVCacheDataTypeE1ELb0EEEvPT_PKS2_PKT0_S8_ifPKiSA_iPKfiiiSC_SC_iiiii
	.globl	_ZN4vllm25paged_attention_v1_kernelIthLi120ELi8ELi128ELNS_18Fp8KVCacheDataTypeE1ELb0EEEvPT_PKS2_PKT0_S8_ifPKiSA_iPKfiiiSC_SC_iiiii
	.p2align	8
	.type	_ZN4vllm25paged_attention_v1_kernelIthLi120ELi8ELi128ELNS_18Fp8KVCacheDataTypeE1ELb0EEEvPT_PKS2_PKT0_S8_ifPKiSA_iPKfiiiSC_SC_iiiii,@function
_ZN4vllm25paged_attention_v1_kernelIthLi120ELi8ELi128ELNS_18Fp8KVCacheDataTypeE1ELb0EEEvPT_PKS2_PKT0_S8_ifPKiSA_iPKfiiiSC_SC_iiiii: ; @_ZN4vllm25paged_attention_v1_kernelIthLi120ELi8ELi128ELNS_18Fp8KVCacheDataTypeE1ELb0EEEvPT_PKS2_PKT0_S8_ifPKiSA_iPKfiiiSC_SC_iiiii
; %bb.0:
	s_load_b64 s[6:7], s[0:1], 0x20
	s_bfe_u32 s3, ttmp6, 0x4000c
	s_bfe_u32 s5, ttmp6, 0x40010
	s_and_b32 s4, ttmp7, 0xffff
	s_add_co_i32 s3, s3, 1
	s_add_co_i32 s5, s5, 1
	s_and_b32 s2, ttmp6, 15
	s_bfe_u32 s8, ttmp6, 0x40004
	s_mul_i32 s3, ttmp9, s3
	s_mul_i32 s5, s4, s5
	s_getreg_b32 s20, hwreg(HW_REG_IB_STS2, 6, 4)
	s_add_co_i32 s2, s2, s3
	s_add_co_i32 s8, s8, s5
	s_cmp_eq_u32 s20, 0
	s_clause 0x1
	s_load_b32 s21, s[0:1], 0x80
	s_load_b64 s[10:11], s[0:1], 0x30
	s_cselect_b32 s22, s4, s8
	s_cselect_b32 s2, ttmp9, s2
	s_wait_kmcnt 0x0
	s_abs_i32 s3, s6
	s_delay_alu instid0(SALU_CYCLE_1) | instskip(SKIP_1) | instid1(SALU_CYCLE_2)
	s_cvt_f32_u32 s4, s3
	s_sub_co_i32 s5, 0, s3
	v_rcp_iflag_f32_e32 v1, s4
	s_abs_i32 s8, s21
	v_nop
	s_delay_alu instid0(TRANS32_DEP_1) | instskip(SKIP_1) | instid1(SALU_CYCLE_3)
	v_readfirstlane_b32 s4, v1
	s_mul_f32 s4, s4, 0x4f7ffffe
	s_cvt_u32_f32 s4, s4
	s_delay_alu instid0(SALU_CYCLE_3) | instskip(NEXT) | instid1(SALU_CYCLE_1)
	s_mul_i32 s5, s5, s4
	s_mul_hi_u32 s5, s4, s5
	s_delay_alu instid0(SALU_CYCLE_1) | instskip(SKIP_4) | instid1(SALU_CYCLE_1)
	s_add_co_i32 s4, s4, s5
	s_xor_b32 s5, s21, s6
	s_mul_hi_u32 s4, s8, s4
	s_ashr_i32 s5, s5, 31
	s_mul_i32 s6, s4, s3
	s_sub_co_i32 s6, s8, s6
	s_add_co_i32 s8, s4, 1
	s_sub_co_i32 s9, s6, s3
	s_cmp_ge_u32 s6, s3
	s_cselect_b32 s4, s8, s4
	s_cselect_b32 s6, s9, s6
	s_add_co_i32 s8, s4, 1
	s_cmp_ge_u32 s6, s3
	s_mov_b32 s9, 0
	s_cselect_b32 s3, s8, s4
	s_abs_i32 s8, s2
	s_xor_b32 s3, s3, s5
	s_mov_b32 s13, s9
	s_sub_co_i32 s15, s3, s5
	s_load_b64 s[4:5], s[0:1], 0x40
	s_abs_i32 s14, s15
	s_mov_b32 s25, s9
	s_cvt_f32_u32 s3, s14
	s_sub_co_i32 s6, 0, s14
	s_delay_alu instid0(SALU_CYCLE_2) | instskip(SKIP_1) | instid1(TRANS32_DEP_1)
	v_rcp_iflag_f32_e32 v1, s3
	v_nop
	v_readfirstlane_b32 s3, v1
	s_mul_f32 s3, s3, 0x4f7ffffe
	s_delay_alu instid0(SALU_CYCLE_3) | instskip(NEXT) | instid1(SALU_CYCLE_3)
	s_cvt_u32_f32 s3, s3
	s_mul_i32 s6, s6, s3
	s_delay_alu instid0(SALU_CYCLE_1) | instskip(NEXT) | instid1(SALU_CYCLE_1)
	s_mul_hi_u32 s6, s3, s6
	s_add_co_i32 s12, s3, s6
	s_wait_kmcnt 0x0
	s_cmp_eq_u64 s[4:5], 0
	s_cbranch_scc1 .LBB248_2
; %bb.1:
	s_ashr_i32 s3, s2, 31
	s_delay_alu instid0(SALU_CYCLE_1) | instskip(NEXT) | instid1(SALU_CYCLE_1)
	s_lshl_b64 s[16:17], s[2:3], 2
	s_add_nc_u64 s[4:5], s[4:5], s[16:17]
	s_load_b32 s25, s[4:5], 0x0
.LBB248_2:
	s_load_b32 s23, s[10:11], s22 offset:0x0 scale_offset
	s_wait_xcnt 0x0
	s_load_b96 s[4:6], s[0:1], 0x48
	v_and_b32_e32 v4, 3, v0
	s_ashr_i32 s3, s2, 31
	s_ashr_i32 s15, s15, 31
	s_mul_u64 s[10:11], s[8:9], s[12:13]
	s_mul_i32 s12, s2, 0x78
	s_mov_b32 s2, exec_lo
	v_cmpx_gt_u32_e32 60, v0
	s_cbranch_execz .LBB248_4
; %bb.3:
	s_load_b64 s[16:17], s[0:1], 0x8
	s_wait_kmcnt 0x0
	s_mul_i32 s18, s4, s22
	s_ashr_i32 s13, s12, 31
	s_ashr_i32 s19, s18, 31
	v_and_b32_e32 v2, 0x3fc, v0
	s_lshl_b64 s[18:19], s[18:19], 1
	s_delay_alu instid0(VALU_DEP_1) | instskip(SKIP_2) | instid1(SALU_CYCLE_1)
	v_mad_u32_u24 v2, v4, 60, v2
	s_add_nc_u64 s[16:17], s[16:17], s[18:19]
	s_lshl_b64 s[18:19], s[12:13], 1
	s_add_nc_u64 s[16:17], s[16:17], s[18:19]
	global_load_b32 v1, v0, s[16:17] scale_offset
	s_wait_loadcnt 0x0
	ds_store_b32 v2, v1
.LBB248_4:
	s_or_b32 exec_lo, exec_lo, s2
	s_wait_kmcnt 0x0
	s_add_co_i32 s2, s23, 7
	s_load_b32 s4, s[0:1], 0x38
	s_ashr_i32 s9, s2, 31
	s_mul_i32 s10, s11, s14
	s_lshr_b32 s9, s9, 29
	s_sub_co_i32 s8, s8, s10
	s_add_co_i32 s2, s2, s9
	s_xor_b32 s3, s3, s15
	s_ashr_i32 s24, s2, 3
	s_add_co_i32 s2, s11, 1
	s_sub_co_i32 s9, s8, s14
	s_cmp_ge_u32 s8, s14
	v_lshrrev_b32_e32 v26, 5, v0
	s_cselect_b32 s2, s2, s11
	s_cselect_b32 s8, s9, s8
	s_add_co_i32 s9, s2, 1
	s_cmp_ge_u32 s8, s14
	v_mbcnt_lo_u32_b32 v10, -1, 0
	s_cselect_b32 s2, s9, s2
	s_wait_dscnt 0x0
	s_xor_b32 s2, s2, s3
	s_wait_kmcnt 0x0
	s_mul_i32 s14, s4, s22
	s_sub_co_i32 s3, s2, s3
	v_cmp_gt_i32_e64 s2, s24, v26
	s_ashr_i32 s15, s14, 31
	s_mov_b32 s4, exec_lo
	s_barrier_signal -1
	s_barrier_wait -1
                                        ; implicit-def: $vgpr3
                                        ; implicit-def: $vgpr11
	v_cmpx_le_i32_e64 s24, v26
	s_xor_b32 s4, exec_lo, s4
; %bb.5:
	v_dual_mov_b32 v3, 0 :: v_dual_mov_b32 v11, 32
	v_mbcnt_lo_u32_b32 v10, -1, 0
                                        ; implicit-def: $vgpr4
; %bb.6:
	s_or_saveexec_b32 s26, s4
	s_clause 0x2
	s_load_b32 s13, s[0:1], 0x88
	s_load_b64 s[16:17], s[0:1], 0x28
	s_load_b128 s[8:11], s[0:1], 0x58
	v_dual_mov_b32 v12, 0xff7fffff :: v_dual_lshrrev_b32 v1, 3, v0
	s_mul_i32 s18, s3, s6
	s_xor_b32 exec_lo, exec_lo, s26
	s_cbranch_execz .LBB248_252
; %bb.7:
	s_load_b64 s[28:29], s[0:1], 0x10
	v_bfe_u32 v8, v0, 2, 3
	v_mov_b32_e32 v3, 0
	s_ashr_i32 s19, s18, 31
	s_cmp_neq_f32 s25, 0
	v_mul_u32_u24_e32 v13, 60, v4
	v_dual_lshlrev_b32 v2, 4, v8 :: v_dual_lshlrev_b32 v5, 2, v8
	v_mov_b32_e32 v12, 0xff7fffff
	v_cmp_eq_u32_e32 vcc_lo, 0, v4
	s_cselect_b32 s3, -1, 0
	v_lshl_or_b32 v14, v26, 3, v8
	v_lshl_or_b32 v9, v26, 5, v5
	s_mov_b32 s6, 0
	s_sub_co_i32 s27, 1, s23
	v_dual_mov_b32 v16, v26 :: v_dual_mov_b32 v11, 32
	s_delay_alu instid0(VALU_DEP_2)
	v_add_nc_u32_e32 v15, 0x110, v9
	s_wait_kmcnt 0x0
	s_add_nc_u64 s[28:29], s[28:29], s[18:19]
	s_mov_b32 s19, s5
	v_add_nc_u64_e32 v[6:7], s[28:29], v[2:3]
	v_lshlrev_b32_e32 v2, 1, v4
	s_lshl_b64 s[28:29], s[14:15], 2
	s_delay_alu instid0(SALU_CYCLE_1) | instskip(NEXT) | instid1(VALU_DEP_1)
	s_add_nc_u64 s[28:29], s[16:17], s[28:29]
	v_add_nc_u64_e32 v[4:5], v[6:7], v[2:3]
	v_and_b32_e32 v2, 0x7c, v1
	s_delay_alu instid0(VALU_DEP_1)
	v_add_nc_u64_e32 v[6:7], s[28:29], v[2:3]
	s_branch .LBB248_9
.LBB248_8:                              ;   in Loop: Header=BB248_9 Depth=1
	s_or_b32 exec_lo, exec_lo, s28
	v_dual_add_nc_u32 v16, 4, v16 :: v_dual_add_nc_u32 v14, 32, v14
	v_add_nc_u64_e32 v[6:7], 16, v[6:7]
	v_add_nc_u32_e32 v15, 0x80, v15
	s_delay_alu instid0(VALU_DEP_3) | instskip(SKIP_1) | instid1(SALU_CYCLE_1)
	v_cmp_le_i32_e64 s4, s24, v16
	s_or_b32 s6, s4, s6
	s_and_not1_b32 exec_lo, exec_lo, s6
	s_cbranch_execz .LBB248_251
.LBB248_9:                              ; =>This Inner Loop Header: Depth=1
	global_load_b32 v2, v[6:7], off
	v_mov_b32_e32 v18, 0
	s_wait_loadcnt_dscnt 0x0
	v_mad_nc_i64_i32 v[8:9], v2, s19, v[4:5]
	global_load_u16 v2, v[8:9], off
	s_wait_loadcnt 0x0
	v_and_b32_e32 v19, 0xff, v2
	v_and_b32_e32 v2, 0xffff, v2
	s_delay_alu instid0(VALU_DEP_2)
	v_cmp_ne_u16_e64 s4, 0, v19
	v_mov_b32_e32 v19, 0
	global_load_b32 v17, v18, s[8:9]
	s_wait_xcnt 0x0
	s_and_saveexec_b32 s28, s4
	s_cbranch_execz .LBB248_17
; %bb.10:                               ;   in Loop: Header=BB248_9 Depth=1
	v_and_b32_e32 v19, 0xff, v2
	s_delay_alu instid0(VALU_DEP_1)
	v_cmp_ne_u16_e64 s4, 0x80, v19
	v_mov_b32_e32 v19, 0x8000
	s_and_saveexec_b32 s29, s4
	s_cbranch_execz .LBB248_16
; %bb.11:                               ;   in Loop: Header=BB248_9 Depth=1
	v_and_b32_e32 v21, 0x7f, v2
	v_mov_b32_e32 v19, 0x7c01
	s_mov_b32 s30, exec_lo
	s_delay_alu instid0(VALU_DEP_2)
	v_cmpx_ne_u32_e32 0x7f, v21
	s_cbranch_execz .LBB248_15
; %bb.12:                               ;   in Loop: Header=BB248_9 Depth=1
	v_dual_lshrrev_b32 v20, 3, v21 :: v_dual_bitop2_b32 v19, 7, v2 bitop3:0x40
	s_mov_b32 s31, exec_lo
	v_cmpx_gt_u32_e32 8, v21
; %bb.13:                               ;   in Loop: Header=BB248_9 Depth=1
	s_delay_alu instid0(VALU_DEP_2) | instskip(NEXT) | instid1(VALU_DEP_1)
	v_clz_i32_u32_e32 v19, v19
	v_min_u32_e32 v19, 32, v19
	s_delay_alu instid0(VALU_DEP_1) | instskip(NEXT) | instid1(VALU_DEP_1)
	v_subrev_nc_u32_e32 v20, 28, v19
	v_lshlrev_b64_e32 v[22:23], v20, v[2:3]
	s_delay_alu instid0(VALU_DEP_1)
	v_dual_sub_nc_u32 v20, 29, v19 :: v_dual_bitop2_b32 v19, 7, v22 bitop3:0x40
; %bb.14:                               ;   in Loop: Header=BB248_9 Depth=1
	s_or_b32 exec_lo, exec_lo, s31
	s_delay_alu instid0(VALU_DEP_1) | instskip(NEXT) | instid1(VALU_DEP_2)
	v_dual_lshlrev_b32 v21, 8, v2 :: v_dual_lshlrev_b32 v19, 7, v19
	v_lshl_add_u32 v20, v20, 10, 0x2000
	s_delay_alu instid0(VALU_DEP_2) | instskip(NEXT) | instid1(VALU_DEP_2)
	v_and_b32_e32 v21, 0x8000, v21
	v_and_b32_e32 v20, 0xfc00, v20
	s_delay_alu instid0(VALU_DEP_1)
	v_or3_b32 v19, v21, v20, v19
.LBB248_15:                             ;   in Loop: Header=BB248_9 Depth=1
	s_or_b32 exec_lo, exec_lo, s30
.LBB248_16:                             ;   in Loop: Header=BB248_9 Depth=1
	s_delay_alu instid0(SALU_CYCLE_1)
	s_or_b32 exec_lo, exec_lo, s29
.LBB248_17:                             ;   in Loop: Header=BB248_9 Depth=1
	s_delay_alu instid0(SALU_CYCLE_1) | instskip(SKIP_2) | instid1(VALU_DEP_1)
	s_or_b32 exec_lo, exec_lo, s28
	v_lshrrev_b16 v2, 8, v2
	s_mov_b32 s28, exec_lo
	v_cmpx_ne_u16_e32 0, v2
	s_cbranch_execz .LBB248_25
; %bb.18:                               ;   in Loop: Header=BB248_9 Depth=1
	v_bfrev_b32_e32 v18, 1
	s_mov_b32 s29, exec_lo
	v_cmpx_ne_u16_e32 0x80, v2
	s_cbranch_execz .LBB248_24
; %bb.19:                               ;   in Loop: Header=BB248_9 Depth=1
	v_and_b32_e32 v20, 0xffff, v2
	v_mov_b32_e32 v18, 0x7c010000
	s_mov_b32 s30, exec_lo
	s_delay_alu instid0(VALU_DEP_2) | instskip(NEXT) | instid1(VALU_DEP_1)
	v_and_b32_e32 v22, 0x7f, v20
	v_cmpx_ne_u32_e32 0x7f, v22
	s_cbranch_execz .LBB248_23
; %bb.20:                               ;   in Loop: Header=BB248_9 Depth=1
	v_dual_lshrrev_b32 v21, 3, v22 :: v_dual_bitop2_b32 v18, 7, v20 bitop3:0x40
	s_mov_b32 s31, exec_lo
	v_cmpx_gt_u32_e32 8, v22
; %bb.21:                               ;   in Loop: Header=BB248_9 Depth=1
	s_delay_alu instid0(VALU_DEP_2) | instskip(NEXT) | instid1(VALU_DEP_1)
	v_clz_i32_u32_e32 v18, v18
	v_min_u32_e32 v18, 32, v18
	s_delay_alu instid0(VALU_DEP_1) | instskip(NEXT) | instid1(VALU_DEP_1)
	v_subrev_nc_u32_e32 v21, 28, v18
	v_lshlrev_b64_e32 v[22:23], v21, v[2:3]
	v_sub_nc_u32_e32 v21, 29, v18
	s_delay_alu instid0(VALU_DEP_2)
	v_and_b32_e32 v18, 7, v22
; %bb.22:                               ;   in Loop: Header=BB248_9 Depth=1
	s_or_b32 exec_lo, exec_lo, s31
	s_delay_alu instid0(VALU_DEP_1) | instskip(NEXT) | instid1(VALU_DEP_3)
	v_dual_lshlrev_b32 v2, 8, v20 :: v_dual_lshlrev_b32 v18, 23, v18
	v_lshl_add_u32 v20, v21, 10, 0x2000
	s_delay_alu instid0(VALU_DEP_1) | instskip(NEXT) | instid1(VALU_DEP_1)
	v_and_or_b32 v2, 0x8000, v2, v20
	v_lshl_or_b32 v18, v2, 16, v18
.LBB248_23:                             ;   in Loop: Header=BB248_9 Depth=1
	s_or_b32 exec_lo, exec_lo, s30
.LBB248_24:                             ;   in Loop: Header=BB248_9 Depth=1
	s_delay_alu instid0(SALU_CYCLE_1)
	s_or_b32 exec_lo, exec_lo, s29
.LBB248_25:                             ;   in Loop: Header=BB248_9 Depth=1
	s_delay_alu instid0(SALU_CYCLE_1)
	s_or_b32 exec_lo, exec_lo, s28
	global_load_u16 v2, v[8:9], off offset:8
	v_mov_b32_e32 v20, 0
	s_wait_loadcnt 0x0
	v_and_b32_e32 v21, 0xff, v2
	v_and_b32_e32 v2, 0xffff, v2
	s_delay_alu instid0(VALU_DEP_2)
	v_cmp_ne_u16_e64 s4, 0, v21
	v_mov_b32_e32 v21, 0
	s_and_saveexec_b32 s28, s4
	s_cbranch_execz .LBB248_33
; %bb.26:                               ;   in Loop: Header=BB248_9 Depth=1
	v_and_b32_e32 v21, 0xff, v2
	s_delay_alu instid0(VALU_DEP_1)
	v_cmp_ne_u16_e64 s4, 0x80, v21
	v_mov_b32_e32 v21, 0x8000
	s_and_saveexec_b32 s29, s4
	s_cbranch_execz .LBB248_32
; %bb.27:                               ;   in Loop: Header=BB248_9 Depth=1
	v_and_b32_e32 v23, 0x7f, v2
	v_mov_b32_e32 v21, 0x7c01
	s_mov_b32 s30, exec_lo
	s_delay_alu instid0(VALU_DEP_2)
	v_cmpx_ne_u32_e32 0x7f, v23
	s_cbranch_execz .LBB248_31
; %bb.28:                               ;   in Loop: Header=BB248_9 Depth=1
	v_dual_lshrrev_b32 v22, 3, v23 :: v_dual_bitop2_b32 v21, 7, v2 bitop3:0x40
	s_mov_b32 s31, exec_lo
	v_cmpx_gt_u32_e32 8, v23
; %bb.29:                               ;   in Loop: Header=BB248_9 Depth=1
	s_delay_alu instid0(VALU_DEP_2) | instskip(NEXT) | instid1(VALU_DEP_1)
	v_clz_i32_u32_e32 v21, v21
	v_min_u32_e32 v21, 32, v21
	s_delay_alu instid0(VALU_DEP_1) | instskip(NEXT) | instid1(VALU_DEP_1)
	v_subrev_nc_u32_e32 v22, 28, v21
	v_lshlrev_b64_e32 v[24:25], v22, v[2:3]
	s_delay_alu instid0(VALU_DEP_1)
	v_dual_sub_nc_u32 v22, 29, v21 :: v_dual_bitop2_b32 v21, 7, v24 bitop3:0x40
; %bb.30:                               ;   in Loop: Header=BB248_9 Depth=1
	s_or_b32 exec_lo, exec_lo, s31
	s_delay_alu instid0(VALU_DEP_1) | instskip(NEXT) | instid1(VALU_DEP_2)
	v_dual_lshlrev_b32 v23, 8, v2 :: v_dual_lshlrev_b32 v21, 7, v21
	v_lshl_add_u32 v22, v22, 10, 0x2000
	s_delay_alu instid0(VALU_DEP_2) | instskip(NEXT) | instid1(VALU_DEP_2)
	v_and_b32_e32 v23, 0x8000, v23
	v_and_b32_e32 v22, 0xfc00, v22
	s_delay_alu instid0(VALU_DEP_1)
	v_or3_b32 v21, v23, v22, v21
.LBB248_31:                             ;   in Loop: Header=BB248_9 Depth=1
	s_or_b32 exec_lo, exec_lo, s30
.LBB248_32:                             ;   in Loop: Header=BB248_9 Depth=1
	s_delay_alu instid0(SALU_CYCLE_1)
	s_or_b32 exec_lo, exec_lo, s29
.LBB248_33:                             ;   in Loop: Header=BB248_9 Depth=1
	s_delay_alu instid0(SALU_CYCLE_1) | instskip(SKIP_2) | instid1(VALU_DEP_1)
	s_or_b32 exec_lo, exec_lo, s28
	v_lshrrev_b16 v2, 8, v2
	s_mov_b32 s28, exec_lo
	v_cmpx_ne_u16_e32 0, v2
	s_cbranch_execz .LBB248_41
; %bb.34:                               ;   in Loop: Header=BB248_9 Depth=1
	v_bfrev_b32_e32 v20, 1
	s_mov_b32 s29, exec_lo
	v_cmpx_ne_u16_e32 0x80, v2
	s_cbranch_execz .LBB248_40
; %bb.35:                               ;   in Loop: Header=BB248_9 Depth=1
	v_and_b32_e32 v22, 0xffff, v2
	v_mov_b32_e32 v20, 0x7c010000
	s_mov_b32 s30, exec_lo
	s_delay_alu instid0(VALU_DEP_2) | instskip(NEXT) | instid1(VALU_DEP_1)
	v_and_b32_e32 v24, 0x7f, v22
	v_cmpx_ne_u32_e32 0x7f, v24
	s_cbranch_execz .LBB248_39
; %bb.36:                               ;   in Loop: Header=BB248_9 Depth=1
	v_dual_lshrrev_b32 v23, 3, v24 :: v_dual_bitop2_b32 v20, 7, v22 bitop3:0x40
	s_mov_b32 s31, exec_lo
	v_cmpx_gt_u32_e32 8, v24
; %bb.37:                               ;   in Loop: Header=BB248_9 Depth=1
	s_delay_alu instid0(VALU_DEP_2) | instskip(NEXT) | instid1(VALU_DEP_1)
	v_clz_i32_u32_e32 v20, v20
	v_min_u32_e32 v20, 32, v20
	s_delay_alu instid0(VALU_DEP_1) | instskip(NEXT) | instid1(VALU_DEP_1)
	v_subrev_nc_u32_e32 v23, 28, v20
	v_lshlrev_b64_e32 v[24:25], v23, v[2:3]
	v_sub_nc_u32_e32 v23, 29, v20
	s_delay_alu instid0(VALU_DEP_2)
	v_and_b32_e32 v20, 7, v24
; %bb.38:                               ;   in Loop: Header=BB248_9 Depth=1
	s_or_b32 exec_lo, exec_lo, s31
	s_delay_alu instid0(VALU_DEP_1) | instskip(NEXT) | instid1(VALU_DEP_3)
	v_dual_lshlrev_b32 v2, 8, v22 :: v_dual_lshlrev_b32 v20, 23, v20
	v_lshl_add_u32 v22, v23, 10, 0x2000
	s_delay_alu instid0(VALU_DEP_1) | instskip(NEXT) | instid1(VALU_DEP_1)
	v_and_or_b32 v2, 0x8000, v2, v22
	v_lshl_or_b32 v20, v2, 16, v20
.LBB248_39:                             ;   in Loop: Header=BB248_9 Depth=1
	s_or_b32 exec_lo, exec_lo, s30
.LBB248_40:                             ;   in Loop: Header=BB248_9 Depth=1
	s_delay_alu instid0(SALU_CYCLE_1)
	s_or_b32 exec_lo, exec_lo, s29
.LBB248_41:                             ;   in Loop: Header=BB248_9 Depth=1
	s_delay_alu instid0(SALU_CYCLE_1)
	s_or_b32 exec_lo, exec_lo, s28
	global_load_u16 v2, v[8:9], off offset:128
	v_mov_b32_e32 v22, 0
	s_wait_loadcnt 0x0
	v_and_b32_e32 v23, 0xff, v2
	v_and_b32_e32 v2, 0xffff, v2
	s_delay_alu instid0(VALU_DEP_2)
	v_cmp_ne_u16_e64 s4, 0, v23
	v_mov_b32_e32 v23, 0
	s_and_saveexec_b32 s28, s4
	s_cbranch_execz .LBB248_49
; %bb.42:                               ;   in Loop: Header=BB248_9 Depth=1
	v_and_b32_e32 v23, 0xff, v2
	s_delay_alu instid0(VALU_DEP_1)
	v_cmp_ne_u16_e64 s4, 0x80, v23
	v_mov_b32_e32 v23, 0x8000
	s_and_saveexec_b32 s29, s4
	s_cbranch_execz .LBB248_48
; %bb.43:                               ;   in Loop: Header=BB248_9 Depth=1
	v_and_b32_e32 v25, 0x7f, v2
	v_mov_b32_e32 v23, 0x7c01
	s_mov_b32 s30, exec_lo
	s_delay_alu instid0(VALU_DEP_2)
	v_cmpx_ne_u32_e32 0x7f, v25
	s_cbranch_execz .LBB248_47
; %bb.44:                               ;   in Loop: Header=BB248_9 Depth=1
	v_dual_lshrrev_b32 v24, 3, v25 :: v_dual_bitop2_b32 v23, 7, v2 bitop3:0x40
	s_mov_b32 s31, exec_lo
	v_cmpx_gt_u32_e32 8, v25
; %bb.45:                               ;   in Loop: Header=BB248_9 Depth=1
	s_delay_alu instid0(VALU_DEP_2) | instskip(NEXT) | instid1(VALU_DEP_1)
	v_clz_i32_u32_e32 v23, v23
	v_min_u32_e32 v23, 32, v23
	s_delay_alu instid0(VALU_DEP_1) | instskip(NEXT) | instid1(VALU_DEP_1)
	v_subrev_nc_u32_e32 v24, 28, v23
	v_lshlrev_b64_e32 v[28:29], v24, v[2:3]
	s_delay_alu instid0(VALU_DEP_1)
	v_dual_sub_nc_u32 v24, 29, v23 :: v_dual_bitop2_b32 v23, 7, v28 bitop3:0x40
; %bb.46:                               ;   in Loop: Header=BB248_9 Depth=1
	s_or_b32 exec_lo, exec_lo, s31
	s_delay_alu instid0(VALU_DEP_1) | instskip(NEXT) | instid1(VALU_DEP_2)
	v_dual_lshlrev_b32 v25, 8, v2 :: v_dual_lshlrev_b32 v23, 7, v23
	v_lshl_add_u32 v24, v24, 10, 0x2000
	s_delay_alu instid0(VALU_DEP_2) | instskip(NEXT) | instid1(VALU_DEP_2)
	v_and_b32_e32 v25, 0x8000, v25
	v_and_b32_e32 v24, 0xfc00, v24
	s_delay_alu instid0(VALU_DEP_1)
	v_or3_b32 v23, v25, v24, v23
.LBB248_47:                             ;   in Loop: Header=BB248_9 Depth=1
	s_or_b32 exec_lo, exec_lo, s30
.LBB248_48:                             ;   in Loop: Header=BB248_9 Depth=1
	s_delay_alu instid0(SALU_CYCLE_1)
	s_or_b32 exec_lo, exec_lo, s29
.LBB248_49:                             ;   in Loop: Header=BB248_9 Depth=1
	s_delay_alu instid0(SALU_CYCLE_1) | instskip(SKIP_2) | instid1(VALU_DEP_1)
	s_or_b32 exec_lo, exec_lo, s28
	v_lshrrev_b16 v2, 8, v2
	s_mov_b32 s28, exec_lo
	v_cmpx_ne_u16_e32 0, v2
	s_cbranch_execz .LBB248_57
; %bb.50:                               ;   in Loop: Header=BB248_9 Depth=1
	v_bfrev_b32_e32 v22, 1
	s_mov_b32 s29, exec_lo
	v_cmpx_ne_u16_e32 0x80, v2
	s_cbranch_execz .LBB248_56
; %bb.51:                               ;   in Loop: Header=BB248_9 Depth=1
	v_and_b32_e32 v24, 0xffff, v2
	v_mov_b32_e32 v22, 0x7c010000
	s_mov_b32 s30, exec_lo
	s_delay_alu instid0(VALU_DEP_2) | instskip(NEXT) | instid1(VALU_DEP_1)
	v_and_b32_e32 v27, 0x7f, v24
	v_cmpx_ne_u32_e32 0x7f, v27
	s_cbranch_execz .LBB248_55
; %bb.52:                               ;   in Loop: Header=BB248_9 Depth=1
	v_dual_lshrrev_b32 v25, 3, v27 :: v_dual_bitop2_b32 v22, 7, v24 bitop3:0x40
	s_mov_b32 s31, exec_lo
	v_cmpx_gt_u32_e32 8, v27
; %bb.53:                               ;   in Loop: Header=BB248_9 Depth=1
	s_delay_alu instid0(VALU_DEP_2) | instskip(NEXT) | instid1(VALU_DEP_1)
	v_clz_i32_u32_e32 v22, v22
	v_min_u32_e32 v22, 32, v22
	s_delay_alu instid0(VALU_DEP_1) | instskip(NEXT) | instid1(VALU_DEP_1)
	v_subrev_nc_u32_e32 v25, 28, v22
	v_lshlrev_b64_e32 v[28:29], v25, v[2:3]
	s_delay_alu instid0(VALU_DEP_1)
	v_dual_sub_nc_u32 v25, 29, v22 :: v_dual_bitop2_b32 v22, 7, v28 bitop3:0x40
; %bb.54:                               ;   in Loop: Header=BB248_9 Depth=1
	s_or_b32 exec_lo, exec_lo, s31
	s_delay_alu instid0(VALU_DEP_1) | instskip(NEXT) | instid1(VALU_DEP_2)
	v_dual_lshlrev_b32 v2, 8, v24 :: v_dual_lshlrev_b32 v22, 23, v22
	v_lshl_add_u32 v24, v25, 10, 0x2000
	s_delay_alu instid0(VALU_DEP_1) | instskip(NEXT) | instid1(VALU_DEP_1)
	v_and_or_b32 v2, 0x8000, v2, v24
	v_lshl_or_b32 v22, v2, 16, v22
.LBB248_55:                             ;   in Loop: Header=BB248_9 Depth=1
	s_or_b32 exec_lo, exec_lo, s30
.LBB248_56:                             ;   in Loop: Header=BB248_9 Depth=1
	s_delay_alu instid0(SALU_CYCLE_1)
	s_or_b32 exec_lo, exec_lo, s29
.LBB248_57:                             ;   in Loop: Header=BB248_9 Depth=1
	s_delay_alu instid0(SALU_CYCLE_1)
	s_or_b32 exec_lo, exec_lo, s28
	global_load_u16 v2, v[8:9], off offset:136
	v_mov_b32_e32 v24, 0
	s_wait_loadcnt 0x0
	v_and_b32_e32 v25, 0xff, v2
	v_and_b32_e32 v2, 0xffff, v2
	s_delay_alu instid0(VALU_DEP_2)
	v_cmp_ne_u16_e64 s4, 0, v25
	v_mov_b32_e32 v25, 0
	s_and_saveexec_b32 s28, s4
	s_cbranch_execz .LBB248_65
; %bb.58:                               ;   in Loop: Header=BB248_9 Depth=1
	v_and_b32_e32 v25, 0xff, v2
	s_delay_alu instid0(VALU_DEP_1)
	v_cmp_ne_u16_e64 s4, 0x80, v25
	v_mov_b32_e32 v25, 0x8000
	s_and_saveexec_b32 s29, s4
	s_cbranch_execz .LBB248_64
; %bb.59:                               ;   in Loop: Header=BB248_9 Depth=1
	v_and_b32_e32 v28, 0x7f, v2
	v_mov_b32_e32 v25, 0x7c01
	s_mov_b32 s30, exec_lo
	s_delay_alu instid0(VALU_DEP_2)
	v_cmpx_ne_u32_e32 0x7f, v28
	s_cbranch_execz .LBB248_63
; %bb.60:                               ;   in Loop: Header=BB248_9 Depth=1
	v_dual_lshrrev_b32 v27, 3, v28 :: v_dual_bitop2_b32 v25, 7, v2 bitop3:0x40
	s_mov_b32 s31, exec_lo
	v_cmpx_gt_u32_e32 8, v28
; %bb.61:                               ;   in Loop: Header=BB248_9 Depth=1
	s_delay_alu instid0(VALU_DEP_2) | instskip(NEXT) | instid1(VALU_DEP_1)
	v_clz_i32_u32_e32 v25, v25
	v_min_u32_e32 v25, 32, v25
	s_delay_alu instid0(VALU_DEP_1) | instskip(NEXT) | instid1(VALU_DEP_1)
	v_subrev_nc_u32_e32 v27, 28, v25
	v_lshlrev_b64_e32 v[28:29], v27, v[2:3]
	s_delay_alu instid0(VALU_DEP_1)
	v_dual_sub_nc_u32 v27, 29, v25 :: v_dual_bitop2_b32 v25, 7, v28 bitop3:0x40
; %bb.62:                               ;   in Loop: Header=BB248_9 Depth=1
	s_or_b32 exec_lo, exec_lo, s31
	s_delay_alu instid0(VALU_DEP_1) | instskip(NEXT) | instid1(VALU_DEP_2)
	v_dual_lshlrev_b32 v28, 8, v2 :: v_dual_lshlrev_b32 v25, 7, v25
	v_lshl_add_u32 v27, v27, 10, 0x2000
	s_delay_alu instid0(VALU_DEP_2) | instskip(NEXT) | instid1(VALU_DEP_2)
	v_and_b32_e32 v28, 0x8000, v28
	v_and_b32_e32 v27, 0xfc00, v27
	s_delay_alu instid0(VALU_DEP_1)
	v_or3_b32 v25, v28, v27, v25
.LBB248_63:                             ;   in Loop: Header=BB248_9 Depth=1
	s_or_b32 exec_lo, exec_lo, s30
.LBB248_64:                             ;   in Loop: Header=BB248_9 Depth=1
	s_delay_alu instid0(SALU_CYCLE_1)
	s_or_b32 exec_lo, exec_lo, s29
.LBB248_65:                             ;   in Loop: Header=BB248_9 Depth=1
	s_delay_alu instid0(SALU_CYCLE_1) | instskip(SKIP_2) | instid1(VALU_DEP_1)
	s_or_b32 exec_lo, exec_lo, s28
	v_lshrrev_b16 v2, 8, v2
	s_mov_b32 s28, exec_lo
	v_cmpx_ne_u16_e32 0, v2
	s_cbranch_execz .LBB248_73
; %bb.66:                               ;   in Loop: Header=BB248_9 Depth=1
	v_bfrev_b32_e32 v24, 1
	s_mov_b32 s29, exec_lo
	v_cmpx_ne_u16_e32 0x80, v2
	s_cbranch_execz .LBB248_72
; %bb.67:                               ;   in Loop: Header=BB248_9 Depth=1
	v_and_b32_e32 v27, 0xffff, v2
	v_mov_b32_e32 v24, 0x7c010000
	s_mov_b32 s30, exec_lo
	s_delay_alu instid0(VALU_DEP_2) | instskip(NEXT) | instid1(VALU_DEP_1)
	v_and_b32_e32 v29, 0x7f, v27
	v_cmpx_ne_u32_e32 0x7f, v29
	s_cbranch_execz .LBB248_71
; %bb.68:                               ;   in Loop: Header=BB248_9 Depth=1
	v_dual_lshrrev_b32 v28, 3, v29 :: v_dual_bitop2_b32 v24, 7, v27 bitop3:0x40
	s_mov_b32 s31, exec_lo
	v_cmpx_gt_u32_e32 8, v29
; %bb.69:                               ;   in Loop: Header=BB248_9 Depth=1
	s_delay_alu instid0(VALU_DEP_2) | instskip(NEXT) | instid1(VALU_DEP_1)
	v_clz_i32_u32_e32 v24, v24
	v_min_u32_e32 v24, 32, v24
	s_delay_alu instid0(VALU_DEP_1) | instskip(NEXT) | instid1(VALU_DEP_1)
	v_subrev_nc_u32_e32 v28, 28, v24
	v_lshlrev_b64_e32 v[30:31], v28, v[2:3]
	s_delay_alu instid0(VALU_DEP_1)
	v_dual_sub_nc_u32 v28, 29, v24 :: v_dual_bitop2_b32 v24, 7, v30 bitop3:0x40
; %bb.70:                               ;   in Loop: Header=BB248_9 Depth=1
	s_or_b32 exec_lo, exec_lo, s31
	s_delay_alu instid0(VALU_DEP_1) | instskip(NEXT) | instid1(VALU_DEP_2)
	v_dual_lshlrev_b32 v2, 8, v27 :: v_dual_lshlrev_b32 v24, 23, v24
	v_lshl_add_u32 v27, v28, 10, 0x2000
	s_delay_alu instid0(VALU_DEP_1) | instskip(NEXT) | instid1(VALU_DEP_1)
	v_and_or_b32 v2, 0x8000, v2, v27
	v_lshl_or_b32 v24, v2, 16, v24
.LBB248_71:                             ;   in Loop: Header=BB248_9 Depth=1
	s_or_b32 exec_lo, exec_lo, s30
.LBB248_72:                             ;   in Loop: Header=BB248_9 Depth=1
	s_delay_alu instid0(SALU_CYCLE_1)
	s_or_b32 exec_lo, exec_lo, s29
.LBB248_73:                             ;   in Loop: Header=BB248_9 Depth=1
	s_delay_alu instid0(SALU_CYCLE_1)
	s_or_b32 exec_lo, exec_lo, s28
	global_load_u16 v2, v[8:9], off offset:256
	v_mov_b32_e32 v27, 0
	s_wait_loadcnt 0x0
	v_and_b32_e32 v28, 0xff, v2
	v_and_b32_e32 v2, 0xffff, v2
	s_delay_alu instid0(VALU_DEP_2)
	v_cmp_ne_u16_e64 s4, 0, v28
	v_mov_b32_e32 v28, 0
	s_and_saveexec_b32 s28, s4
	s_cbranch_execz .LBB248_81
; %bb.74:                               ;   in Loop: Header=BB248_9 Depth=1
	v_and_b32_e32 v28, 0xff, v2
	s_delay_alu instid0(VALU_DEP_1)
	v_cmp_ne_u16_e64 s4, 0x80, v28
	v_mov_b32_e32 v28, 0x8000
	s_and_saveexec_b32 s29, s4
	s_cbranch_execz .LBB248_80
; %bb.75:                               ;   in Loop: Header=BB248_9 Depth=1
	v_and_b32_e32 v30, 0x7f, v2
	v_mov_b32_e32 v28, 0x7c01
	s_mov_b32 s30, exec_lo
	s_delay_alu instid0(VALU_DEP_2)
	v_cmpx_ne_u32_e32 0x7f, v30
	s_cbranch_execz .LBB248_79
; %bb.76:                               ;   in Loop: Header=BB248_9 Depth=1
	v_and_b32_e32 v28, 7, v2
	v_lshrrev_b32_e32 v29, 3, v30
	s_mov_b32 s31, exec_lo
	v_cmpx_gt_u32_e32 8, v30
; %bb.77:                               ;   in Loop: Header=BB248_9 Depth=1
	s_delay_alu instid0(VALU_DEP_3) | instskip(NEXT) | instid1(VALU_DEP_1)
	v_clz_i32_u32_e32 v28, v28
	v_min_u32_e32 v30, 32, v28
	s_delay_alu instid0(VALU_DEP_1) | instskip(NEXT) | instid1(VALU_DEP_1)
	v_subrev_nc_u32_e32 v28, 28, v30
	v_lshlrev_b64_e32 v[28:29], v28, v[2:3]
	s_delay_alu instid0(VALU_DEP_1)
	v_dual_sub_nc_u32 v29, 29, v30 :: v_dual_bitop2_b32 v28, 7, v28 bitop3:0x40
; %bb.78:                               ;   in Loop: Header=BB248_9 Depth=1
	s_or_b32 exec_lo, exec_lo, s31
	s_delay_alu instid0(VALU_DEP_1) | instskip(NEXT) | instid1(VALU_DEP_2)
	v_dual_lshlrev_b32 v30, 8, v2 :: v_dual_lshlrev_b32 v28, 7, v28
	v_lshl_add_u32 v29, v29, 10, 0x2000
	s_delay_alu instid0(VALU_DEP_2) | instskip(NEXT) | instid1(VALU_DEP_2)
	v_and_b32_e32 v30, 0x8000, v30
	v_and_b32_e32 v29, 0xfc00, v29
	s_delay_alu instid0(VALU_DEP_1)
	v_or3_b32 v28, v30, v29, v28
.LBB248_79:                             ;   in Loop: Header=BB248_9 Depth=1
	s_or_b32 exec_lo, exec_lo, s30
.LBB248_80:                             ;   in Loop: Header=BB248_9 Depth=1
	s_delay_alu instid0(SALU_CYCLE_1)
	s_or_b32 exec_lo, exec_lo, s29
.LBB248_81:                             ;   in Loop: Header=BB248_9 Depth=1
	s_delay_alu instid0(SALU_CYCLE_1) | instskip(SKIP_2) | instid1(VALU_DEP_1)
	s_or_b32 exec_lo, exec_lo, s28
	v_lshrrev_b16 v2, 8, v2
	s_mov_b32 s28, exec_lo
	v_cmpx_ne_u16_e32 0, v2
	s_cbranch_execz .LBB248_89
; %bb.82:                               ;   in Loop: Header=BB248_9 Depth=1
	v_bfrev_b32_e32 v27, 1
	s_mov_b32 s29, exec_lo
	v_cmpx_ne_u16_e32 0x80, v2
	s_cbranch_execz .LBB248_88
; %bb.83:                               ;   in Loop: Header=BB248_9 Depth=1
	v_and_b32_e32 v29, 0xffff, v2
	v_mov_b32_e32 v27, 0x7c010000
	s_mov_b32 s30, exec_lo
	s_delay_alu instid0(VALU_DEP_2) | instskip(NEXT) | instid1(VALU_DEP_1)
	v_and_b32_e32 v31, 0x7f, v29
	v_cmpx_ne_u32_e32 0x7f, v31
	s_cbranch_execz .LBB248_87
; %bb.84:                               ;   in Loop: Header=BB248_9 Depth=1
	v_dual_lshrrev_b32 v30, 3, v31 :: v_dual_bitop2_b32 v27, 7, v29 bitop3:0x40
	s_mov_b32 s31, exec_lo
	v_cmpx_gt_u32_e32 8, v31
; %bb.85:                               ;   in Loop: Header=BB248_9 Depth=1
	s_delay_alu instid0(VALU_DEP_2) | instskip(NEXT) | instid1(VALU_DEP_1)
	v_clz_i32_u32_e32 v27, v27
	v_min_u32_e32 v27, 32, v27
	s_delay_alu instid0(VALU_DEP_1) | instskip(NEXT) | instid1(VALU_DEP_1)
	v_subrev_nc_u32_e32 v30, 28, v27
	v_lshlrev_b64_e32 v[32:33], v30, v[2:3]
	s_delay_alu instid0(VALU_DEP_1)
	v_dual_sub_nc_u32 v30, 29, v27 :: v_dual_bitop2_b32 v27, 7, v32 bitop3:0x40
; %bb.86:                               ;   in Loop: Header=BB248_9 Depth=1
	s_or_b32 exec_lo, exec_lo, s31
	s_delay_alu instid0(VALU_DEP_1) | instskip(NEXT) | instid1(VALU_DEP_2)
	v_dual_lshlrev_b32 v2, 8, v29 :: v_dual_lshlrev_b32 v27, 23, v27
	v_lshl_add_u32 v29, v30, 10, 0x2000
	s_delay_alu instid0(VALU_DEP_1) | instskip(NEXT) | instid1(VALU_DEP_1)
	v_and_or_b32 v2, 0x8000, v2, v29
	v_lshl_or_b32 v27, v2, 16, v27
.LBB248_87:                             ;   in Loop: Header=BB248_9 Depth=1
	s_or_b32 exec_lo, exec_lo, s30
.LBB248_88:                             ;   in Loop: Header=BB248_9 Depth=1
	s_delay_alu instid0(SALU_CYCLE_1)
	s_or_b32 exec_lo, exec_lo, s29
.LBB248_89:                             ;   in Loop: Header=BB248_9 Depth=1
	s_delay_alu instid0(SALU_CYCLE_1)
	s_or_b32 exec_lo, exec_lo, s28
	global_load_u16 v2, v[8:9], off offset:264
	v_mov_b32_e32 v29, 0
	s_wait_loadcnt 0x0
	v_and_b32_e32 v30, 0xff, v2
	v_and_b32_e32 v2, 0xffff, v2
	s_delay_alu instid0(VALU_DEP_2)
	v_cmp_ne_u16_e64 s4, 0, v30
	v_mov_b32_e32 v30, 0
	s_and_saveexec_b32 s28, s4
	s_cbranch_execz .LBB248_97
; %bb.90:                               ;   in Loop: Header=BB248_9 Depth=1
	v_and_b32_e32 v30, 0xff, v2
	s_delay_alu instid0(VALU_DEP_1)
	v_cmp_ne_u16_e64 s4, 0x80, v30
	v_mov_b32_e32 v30, 0x8000
	s_and_saveexec_b32 s29, s4
	s_cbranch_execz .LBB248_96
; %bb.91:                               ;   in Loop: Header=BB248_9 Depth=1
	v_and_b32_e32 v32, 0x7f, v2
	v_mov_b32_e32 v30, 0x7c01
	s_mov_b32 s30, exec_lo
	s_delay_alu instid0(VALU_DEP_2)
	v_cmpx_ne_u32_e32 0x7f, v32
	s_cbranch_execz .LBB248_95
; %bb.92:                               ;   in Loop: Header=BB248_9 Depth=1
	v_dual_lshrrev_b32 v31, 3, v32 :: v_dual_bitop2_b32 v30, 7, v2 bitop3:0x40
	s_mov_b32 s31, exec_lo
	v_cmpx_gt_u32_e32 8, v32
; %bb.93:                               ;   in Loop: Header=BB248_9 Depth=1
	s_delay_alu instid0(VALU_DEP_2) | instskip(NEXT) | instid1(VALU_DEP_1)
	v_clz_i32_u32_e32 v30, v30
	v_min_u32_e32 v32, 32, v30
	s_delay_alu instid0(VALU_DEP_1) | instskip(NEXT) | instid1(VALU_DEP_1)
	v_subrev_nc_u32_e32 v30, 28, v32
	v_lshlrev_b64_e32 v[30:31], v30, v[2:3]
	s_delay_alu instid0(VALU_DEP_1)
	v_dual_sub_nc_u32 v31, 29, v32 :: v_dual_bitop2_b32 v30, 7, v30 bitop3:0x40
; %bb.94:                               ;   in Loop: Header=BB248_9 Depth=1
	s_or_b32 exec_lo, exec_lo, s31
	v_lshlrev_b32_e32 v32, 8, v2
	s_delay_alu instid0(VALU_DEP_2) | instskip(NEXT) | instid1(VALU_DEP_3)
	v_lshl_add_u32 v31, v31, 10, 0x2000
	v_lshlrev_b32_e32 v30, 7, v30
	s_delay_alu instid0(VALU_DEP_3) | instskip(NEXT) | instid1(VALU_DEP_3)
	v_and_b32_e32 v32, 0x8000, v32
	v_and_b32_e32 v31, 0xfc00, v31
	s_delay_alu instid0(VALU_DEP_1)
	v_or3_b32 v30, v32, v31, v30
.LBB248_95:                             ;   in Loop: Header=BB248_9 Depth=1
	s_or_b32 exec_lo, exec_lo, s30
.LBB248_96:                             ;   in Loop: Header=BB248_9 Depth=1
	s_delay_alu instid0(SALU_CYCLE_1)
	s_or_b32 exec_lo, exec_lo, s29
.LBB248_97:                             ;   in Loop: Header=BB248_9 Depth=1
	s_delay_alu instid0(SALU_CYCLE_1) | instskip(SKIP_2) | instid1(VALU_DEP_1)
	s_or_b32 exec_lo, exec_lo, s28
	v_lshrrev_b16 v2, 8, v2
	s_mov_b32 s28, exec_lo
	v_cmpx_ne_u16_e32 0, v2
	s_cbranch_execz .LBB248_105
; %bb.98:                               ;   in Loop: Header=BB248_9 Depth=1
	v_bfrev_b32_e32 v29, 1
	s_mov_b32 s29, exec_lo
	v_cmpx_ne_u16_e32 0x80, v2
	s_cbranch_execz .LBB248_104
; %bb.99:                               ;   in Loop: Header=BB248_9 Depth=1
	v_and_b32_e32 v31, 0xffff, v2
	v_mov_b32_e32 v29, 0x7c010000
	s_mov_b32 s30, exec_lo
	s_delay_alu instid0(VALU_DEP_2) | instskip(NEXT) | instid1(VALU_DEP_1)
	v_and_b32_e32 v33, 0x7f, v31
	v_cmpx_ne_u32_e32 0x7f, v33
	s_cbranch_execz .LBB248_103
; %bb.100:                              ;   in Loop: Header=BB248_9 Depth=1
	v_dual_lshrrev_b32 v32, 3, v33 :: v_dual_bitop2_b32 v29, 7, v31 bitop3:0x40
	s_mov_b32 s31, exec_lo
	v_cmpx_gt_u32_e32 8, v33
; %bb.101:                              ;   in Loop: Header=BB248_9 Depth=1
	s_delay_alu instid0(VALU_DEP_2) | instskip(NEXT) | instid1(VALU_DEP_1)
	v_clz_i32_u32_e32 v29, v29
	v_min_u32_e32 v29, 32, v29
	s_delay_alu instid0(VALU_DEP_1) | instskip(NEXT) | instid1(VALU_DEP_1)
	v_subrev_nc_u32_e32 v32, 28, v29
	v_lshlrev_b64_e32 v[34:35], v32, v[2:3]
	s_delay_alu instid0(VALU_DEP_1)
	v_dual_sub_nc_u32 v32, 29, v29 :: v_dual_bitop2_b32 v29, 7, v34 bitop3:0x40
; %bb.102:                              ;   in Loop: Header=BB248_9 Depth=1
	s_or_b32 exec_lo, exec_lo, s31
	s_delay_alu instid0(VALU_DEP_1) | instskip(NEXT) | instid1(VALU_DEP_2)
	v_dual_lshlrev_b32 v2, 8, v31 :: v_dual_lshlrev_b32 v29, 23, v29
	v_lshl_add_u32 v31, v32, 10, 0x2000
	s_delay_alu instid0(VALU_DEP_1) | instskip(NEXT) | instid1(VALU_DEP_1)
	v_and_or_b32 v2, 0x8000, v2, v31
	v_lshl_or_b32 v29, v2, 16, v29
.LBB248_103:                            ;   in Loop: Header=BB248_9 Depth=1
	s_or_b32 exec_lo, exec_lo, s30
.LBB248_104:                            ;   in Loop: Header=BB248_9 Depth=1
	s_delay_alu instid0(SALU_CYCLE_1)
	s_or_b32 exec_lo, exec_lo, s29
.LBB248_105:                            ;   in Loop: Header=BB248_9 Depth=1
	s_delay_alu instid0(SALU_CYCLE_1)
	s_or_b32 exec_lo, exec_lo, s28
	global_load_u16 v2, v[8:9], off offset:384
	v_mov_b32_e32 v31, 0
	s_wait_loadcnt 0x0
	v_and_b32_e32 v32, 0xff, v2
	v_and_b32_e32 v2, 0xffff, v2
	s_delay_alu instid0(VALU_DEP_2)
	v_cmp_ne_u16_e64 s4, 0, v32
	v_mov_b32_e32 v32, 0
	s_and_saveexec_b32 s28, s4
	s_cbranch_execz .LBB248_113
; %bb.106:                              ;   in Loop: Header=BB248_9 Depth=1
	v_and_b32_e32 v32, 0xff, v2
	s_delay_alu instid0(VALU_DEP_1)
	v_cmp_ne_u16_e64 s4, 0x80, v32
	v_mov_b32_e32 v32, 0x8000
	s_and_saveexec_b32 s29, s4
	s_cbranch_execz .LBB248_112
; %bb.107:                              ;   in Loop: Header=BB248_9 Depth=1
	v_and_b32_e32 v34, 0x7f, v2
	v_mov_b32_e32 v32, 0x7c01
	s_mov_b32 s30, exec_lo
	s_delay_alu instid0(VALU_DEP_2)
	v_cmpx_ne_u32_e32 0x7f, v34
	s_cbranch_execz .LBB248_111
; %bb.108:                              ;   in Loop: Header=BB248_9 Depth=1
	v_and_b32_e32 v32, 7, v2
	v_lshrrev_b32_e32 v33, 3, v34
	s_mov_b32 s31, exec_lo
	v_cmpx_gt_u32_e32 8, v34
; %bb.109:                              ;   in Loop: Header=BB248_9 Depth=1
	s_delay_alu instid0(VALU_DEP_3) | instskip(NEXT) | instid1(VALU_DEP_1)
	v_clz_i32_u32_e32 v32, v32
	v_min_u32_e32 v34, 32, v32
	s_delay_alu instid0(VALU_DEP_1) | instskip(NEXT) | instid1(VALU_DEP_1)
	v_subrev_nc_u32_e32 v32, 28, v34
	v_lshlrev_b64_e32 v[32:33], v32, v[2:3]
	s_delay_alu instid0(VALU_DEP_1)
	v_dual_sub_nc_u32 v33, 29, v34 :: v_dual_bitop2_b32 v32, 7, v32 bitop3:0x40
; %bb.110:                              ;   in Loop: Header=BB248_9 Depth=1
	s_or_b32 exec_lo, exec_lo, s31
	s_delay_alu instid0(VALU_DEP_1) | instskip(NEXT) | instid1(VALU_DEP_2)
	v_dual_lshlrev_b32 v34, 8, v2 :: v_dual_lshlrev_b32 v32, 7, v32
	v_lshl_add_u32 v33, v33, 10, 0x2000
	s_delay_alu instid0(VALU_DEP_2) | instskip(NEXT) | instid1(VALU_DEP_2)
	v_and_b32_e32 v34, 0x8000, v34
	v_and_b32_e32 v33, 0xfc00, v33
	s_delay_alu instid0(VALU_DEP_1)
	v_or3_b32 v32, v34, v33, v32
.LBB248_111:                            ;   in Loop: Header=BB248_9 Depth=1
	s_or_b32 exec_lo, exec_lo, s30
.LBB248_112:                            ;   in Loop: Header=BB248_9 Depth=1
	s_delay_alu instid0(SALU_CYCLE_1)
	s_or_b32 exec_lo, exec_lo, s29
.LBB248_113:                            ;   in Loop: Header=BB248_9 Depth=1
	s_delay_alu instid0(SALU_CYCLE_1) | instskip(SKIP_2) | instid1(VALU_DEP_1)
	s_or_b32 exec_lo, exec_lo, s28
	v_lshrrev_b16 v2, 8, v2
	s_mov_b32 s28, exec_lo
	v_cmpx_ne_u16_e32 0, v2
	s_cbranch_execz .LBB248_121
; %bb.114:                              ;   in Loop: Header=BB248_9 Depth=1
	v_bfrev_b32_e32 v31, 1
	s_mov_b32 s29, exec_lo
	v_cmpx_ne_u16_e32 0x80, v2
	s_cbranch_execz .LBB248_120
; %bb.115:                              ;   in Loop: Header=BB248_9 Depth=1
	v_and_b32_e32 v33, 0xffff, v2
	v_mov_b32_e32 v31, 0x7c010000
	s_mov_b32 s30, exec_lo
	s_delay_alu instid0(VALU_DEP_2) | instskip(NEXT) | instid1(VALU_DEP_1)
	v_and_b32_e32 v35, 0x7f, v33
	v_cmpx_ne_u32_e32 0x7f, v35
	s_cbranch_execz .LBB248_119
; %bb.116:                              ;   in Loop: Header=BB248_9 Depth=1
	v_dual_lshrrev_b32 v34, 3, v35 :: v_dual_bitop2_b32 v31, 7, v33 bitop3:0x40
	s_mov_b32 s31, exec_lo
	v_cmpx_gt_u32_e32 8, v35
; %bb.117:                              ;   in Loop: Header=BB248_9 Depth=1
	s_delay_alu instid0(VALU_DEP_2) | instskip(NEXT) | instid1(VALU_DEP_1)
	v_clz_i32_u32_e32 v31, v31
	v_min_u32_e32 v31, 32, v31
	s_delay_alu instid0(VALU_DEP_1) | instskip(NEXT) | instid1(VALU_DEP_1)
	v_subrev_nc_u32_e32 v34, 28, v31
	v_lshlrev_b64_e32 v[36:37], v34, v[2:3]
	s_delay_alu instid0(VALU_DEP_1)
	v_dual_sub_nc_u32 v34, 29, v31 :: v_dual_bitop2_b32 v31, 7, v36 bitop3:0x40
; %bb.118:                              ;   in Loop: Header=BB248_9 Depth=1
	s_or_b32 exec_lo, exec_lo, s31
	s_delay_alu instid0(VALU_DEP_1) | instskip(NEXT) | instid1(VALU_DEP_2)
	v_dual_lshlrev_b32 v2, 8, v33 :: v_dual_lshlrev_b32 v31, 23, v31
	v_lshl_add_u32 v33, v34, 10, 0x2000
	s_delay_alu instid0(VALU_DEP_1) | instskip(NEXT) | instid1(VALU_DEP_1)
	v_and_or_b32 v2, 0x8000, v2, v33
	v_lshl_or_b32 v31, v2, 16, v31
.LBB248_119:                            ;   in Loop: Header=BB248_9 Depth=1
	s_or_b32 exec_lo, exec_lo, s30
.LBB248_120:                            ;   in Loop: Header=BB248_9 Depth=1
	s_delay_alu instid0(SALU_CYCLE_1)
	s_or_b32 exec_lo, exec_lo, s29
.LBB248_121:                            ;   in Loop: Header=BB248_9 Depth=1
	s_delay_alu instid0(SALU_CYCLE_1)
	s_or_b32 exec_lo, exec_lo, s28
	global_load_u16 v2, v[8:9], off offset:392
	v_mov_b32_e32 v33, 0
	s_wait_loadcnt 0x0
	v_and_b32_e32 v34, 0xff, v2
	v_and_b32_e32 v2, 0xffff, v2
	s_delay_alu instid0(VALU_DEP_2)
	v_cmp_ne_u16_e64 s4, 0, v34
	v_mov_b32_e32 v34, 0
	s_and_saveexec_b32 s28, s4
	s_cbranch_execz .LBB248_129
; %bb.122:                              ;   in Loop: Header=BB248_9 Depth=1
	v_and_b32_e32 v34, 0xff, v2
	s_delay_alu instid0(VALU_DEP_1)
	v_cmp_ne_u16_e64 s4, 0x80, v34
	v_mov_b32_e32 v34, 0x8000
	s_and_saveexec_b32 s29, s4
	s_cbranch_execz .LBB248_128
; %bb.123:                              ;   in Loop: Header=BB248_9 Depth=1
	v_and_b32_e32 v36, 0x7f, v2
	v_mov_b32_e32 v34, 0x7c01
	s_mov_b32 s30, exec_lo
	s_delay_alu instid0(VALU_DEP_2)
	v_cmpx_ne_u32_e32 0x7f, v36
	s_cbranch_execz .LBB248_127
; %bb.124:                              ;   in Loop: Header=BB248_9 Depth=1
	v_dual_lshrrev_b32 v35, 3, v36 :: v_dual_bitop2_b32 v34, 7, v2 bitop3:0x40
	s_mov_b32 s31, exec_lo
	v_cmpx_gt_u32_e32 8, v36
; %bb.125:                              ;   in Loop: Header=BB248_9 Depth=1
	s_delay_alu instid0(VALU_DEP_2) | instskip(NEXT) | instid1(VALU_DEP_1)
	v_clz_i32_u32_e32 v34, v34
	v_min_u32_e32 v36, 32, v34
	s_delay_alu instid0(VALU_DEP_1) | instskip(NEXT) | instid1(VALU_DEP_1)
	v_subrev_nc_u32_e32 v34, 28, v36
	v_lshlrev_b64_e32 v[34:35], v34, v[2:3]
	s_delay_alu instid0(VALU_DEP_1)
	v_dual_sub_nc_u32 v35, 29, v36 :: v_dual_bitop2_b32 v34, 7, v34 bitop3:0x40
; %bb.126:                              ;   in Loop: Header=BB248_9 Depth=1
	s_or_b32 exec_lo, exec_lo, s31
	v_lshlrev_b32_e32 v36, 8, v2
	s_delay_alu instid0(VALU_DEP_2) | instskip(NEXT) | instid1(VALU_DEP_3)
	v_lshl_add_u32 v35, v35, 10, 0x2000
	v_lshlrev_b32_e32 v34, 7, v34
	s_delay_alu instid0(VALU_DEP_3) | instskip(NEXT) | instid1(VALU_DEP_3)
	v_and_b32_e32 v36, 0x8000, v36
	v_and_b32_e32 v35, 0xfc00, v35
	s_delay_alu instid0(VALU_DEP_1)
	v_or3_b32 v34, v36, v35, v34
.LBB248_127:                            ;   in Loop: Header=BB248_9 Depth=1
	s_or_b32 exec_lo, exec_lo, s30
.LBB248_128:                            ;   in Loop: Header=BB248_9 Depth=1
	s_delay_alu instid0(SALU_CYCLE_1)
	s_or_b32 exec_lo, exec_lo, s29
.LBB248_129:                            ;   in Loop: Header=BB248_9 Depth=1
	s_delay_alu instid0(SALU_CYCLE_1) | instskip(SKIP_2) | instid1(VALU_DEP_1)
	s_or_b32 exec_lo, exec_lo, s28
	v_lshrrev_b16 v2, 8, v2
	s_mov_b32 s28, exec_lo
	v_cmpx_ne_u16_e32 0, v2
	s_cbranch_execz .LBB248_137
; %bb.130:                              ;   in Loop: Header=BB248_9 Depth=1
	v_bfrev_b32_e32 v33, 1
	s_mov_b32 s29, exec_lo
	v_cmpx_ne_u16_e32 0x80, v2
	s_cbranch_execz .LBB248_136
; %bb.131:                              ;   in Loop: Header=BB248_9 Depth=1
	v_and_b32_e32 v35, 0xffff, v2
	v_mov_b32_e32 v33, 0x7c010000
	s_mov_b32 s30, exec_lo
	s_delay_alu instid0(VALU_DEP_2) | instskip(NEXT) | instid1(VALU_DEP_1)
	v_and_b32_e32 v37, 0x7f, v35
	v_cmpx_ne_u32_e32 0x7f, v37
	s_cbranch_execz .LBB248_135
; %bb.132:                              ;   in Loop: Header=BB248_9 Depth=1
	v_dual_lshrrev_b32 v36, 3, v37 :: v_dual_bitop2_b32 v33, 7, v35 bitop3:0x40
	s_mov_b32 s31, exec_lo
	v_cmpx_gt_u32_e32 8, v37
; %bb.133:                              ;   in Loop: Header=BB248_9 Depth=1
	s_delay_alu instid0(VALU_DEP_2) | instskip(NEXT) | instid1(VALU_DEP_1)
	v_clz_i32_u32_e32 v33, v33
	v_min_u32_e32 v33, 32, v33
	s_delay_alu instid0(VALU_DEP_1) | instskip(NEXT) | instid1(VALU_DEP_1)
	v_subrev_nc_u32_e32 v36, 28, v33
	v_lshlrev_b64_e32 v[38:39], v36, v[2:3]
	s_delay_alu instid0(VALU_DEP_1)
	v_dual_sub_nc_u32 v36, 29, v33 :: v_dual_bitop2_b32 v33, 7, v38 bitop3:0x40
; %bb.134:                              ;   in Loop: Header=BB248_9 Depth=1
	s_or_b32 exec_lo, exec_lo, s31
	s_delay_alu instid0(VALU_DEP_1) | instskip(NEXT) | instid1(VALU_DEP_2)
	v_dual_lshlrev_b32 v2, 8, v35 :: v_dual_lshlrev_b32 v33, 23, v33
	v_lshl_add_u32 v35, v36, 10, 0x2000
	s_delay_alu instid0(VALU_DEP_1) | instskip(NEXT) | instid1(VALU_DEP_1)
	v_and_or_b32 v2, 0x8000, v2, v35
	v_lshl_or_b32 v33, v2, 16, v33
.LBB248_135:                            ;   in Loop: Header=BB248_9 Depth=1
	s_or_b32 exec_lo, exec_lo, s30
.LBB248_136:                            ;   in Loop: Header=BB248_9 Depth=1
	s_delay_alu instid0(SALU_CYCLE_1)
	s_or_b32 exec_lo, exec_lo, s29
.LBB248_137:                            ;   in Loop: Header=BB248_9 Depth=1
	s_delay_alu instid0(SALU_CYCLE_1)
	s_or_b32 exec_lo, exec_lo, s28
	global_load_u16 v2, v[8:9], off offset:512
	v_mov_b32_e32 v35, 0
	s_wait_loadcnt 0x0
	v_and_b32_e32 v36, 0xff, v2
	v_and_b32_e32 v2, 0xffff, v2
	s_delay_alu instid0(VALU_DEP_2)
	v_cmp_ne_u16_e64 s4, 0, v36
	v_mov_b32_e32 v36, 0
	s_and_saveexec_b32 s28, s4
	s_cbranch_execz .LBB248_145
; %bb.138:                              ;   in Loop: Header=BB248_9 Depth=1
	v_and_b32_e32 v36, 0xff, v2
	s_delay_alu instid0(VALU_DEP_1)
	v_cmp_ne_u16_e64 s4, 0x80, v36
	v_mov_b32_e32 v36, 0x8000
	s_and_saveexec_b32 s29, s4
	s_cbranch_execz .LBB248_144
; %bb.139:                              ;   in Loop: Header=BB248_9 Depth=1
	v_and_b32_e32 v38, 0x7f, v2
	v_mov_b32_e32 v36, 0x7c01
	s_mov_b32 s30, exec_lo
	s_delay_alu instid0(VALU_DEP_2)
	v_cmpx_ne_u32_e32 0x7f, v38
	s_cbranch_execz .LBB248_143
; %bb.140:                              ;   in Loop: Header=BB248_9 Depth=1
	v_and_b32_e32 v36, 7, v2
	v_lshrrev_b32_e32 v37, 3, v38
	s_mov_b32 s31, exec_lo
	v_cmpx_gt_u32_e32 8, v38
; %bb.141:                              ;   in Loop: Header=BB248_9 Depth=1
	s_delay_alu instid0(VALU_DEP_3) | instskip(NEXT) | instid1(VALU_DEP_1)
	v_clz_i32_u32_e32 v36, v36
	v_min_u32_e32 v38, 32, v36
	s_delay_alu instid0(VALU_DEP_1) | instskip(NEXT) | instid1(VALU_DEP_1)
	v_subrev_nc_u32_e32 v36, 28, v38
	v_lshlrev_b64_e32 v[36:37], v36, v[2:3]
	s_delay_alu instid0(VALU_DEP_1)
	v_dual_sub_nc_u32 v37, 29, v38 :: v_dual_bitop2_b32 v36, 7, v36 bitop3:0x40
; %bb.142:                              ;   in Loop: Header=BB248_9 Depth=1
	s_or_b32 exec_lo, exec_lo, s31
	s_delay_alu instid0(VALU_DEP_1) | instskip(NEXT) | instid1(VALU_DEP_2)
	v_dual_lshlrev_b32 v38, 8, v2 :: v_dual_lshlrev_b32 v36, 7, v36
	v_lshl_add_u32 v37, v37, 10, 0x2000
	s_delay_alu instid0(VALU_DEP_2) | instskip(NEXT) | instid1(VALU_DEP_2)
	v_and_b32_e32 v38, 0x8000, v38
	v_and_b32_e32 v37, 0xfc00, v37
	s_delay_alu instid0(VALU_DEP_1)
	v_or3_b32 v36, v38, v37, v36
.LBB248_143:                            ;   in Loop: Header=BB248_9 Depth=1
	s_or_b32 exec_lo, exec_lo, s30
.LBB248_144:                            ;   in Loop: Header=BB248_9 Depth=1
	s_delay_alu instid0(SALU_CYCLE_1)
	s_or_b32 exec_lo, exec_lo, s29
.LBB248_145:                            ;   in Loop: Header=BB248_9 Depth=1
	s_delay_alu instid0(SALU_CYCLE_1) | instskip(SKIP_2) | instid1(VALU_DEP_1)
	s_or_b32 exec_lo, exec_lo, s28
	v_lshrrev_b16 v2, 8, v2
	s_mov_b32 s28, exec_lo
	v_cmpx_ne_u16_e32 0, v2
	s_cbranch_execz .LBB248_153
; %bb.146:                              ;   in Loop: Header=BB248_9 Depth=1
	v_bfrev_b32_e32 v35, 1
	s_mov_b32 s29, exec_lo
	v_cmpx_ne_u16_e32 0x80, v2
	s_cbranch_execz .LBB248_152
; %bb.147:                              ;   in Loop: Header=BB248_9 Depth=1
	v_and_b32_e32 v37, 0xffff, v2
	v_mov_b32_e32 v35, 0x7c010000
	s_mov_b32 s30, exec_lo
	s_delay_alu instid0(VALU_DEP_2) | instskip(NEXT) | instid1(VALU_DEP_1)
	v_and_b32_e32 v39, 0x7f, v37
	v_cmpx_ne_u32_e32 0x7f, v39
	s_cbranch_execz .LBB248_151
; %bb.148:                              ;   in Loop: Header=BB248_9 Depth=1
	v_dual_lshrrev_b32 v38, 3, v39 :: v_dual_bitop2_b32 v35, 7, v37 bitop3:0x40
	s_mov_b32 s31, exec_lo
	v_cmpx_gt_u32_e32 8, v39
; %bb.149:                              ;   in Loop: Header=BB248_9 Depth=1
	s_delay_alu instid0(VALU_DEP_2) | instskip(NEXT) | instid1(VALU_DEP_1)
	v_clz_i32_u32_e32 v35, v35
	v_min_u32_e32 v35, 32, v35
	s_delay_alu instid0(VALU_DEP_1) | instskip(NEXT) | instid1(VALU_DEP_1)
	v_subrev_nc_u32_e32 v38, 28, v35
	v_lshlrev_b64_e32 v[40:41], v38, v[2:3]
	s_delay_alu instid0(VALU_DEP_1)
	v_dual_sub_nc_u32 v38, 29, v35 :: v_dual_bitop2_b32 v35, 7, v40 bitop3:0x40
; %bb.150:                              ;   in Loop: Header=BB248_9 Depth=1
	s_or_b32 exec_lo, exec_lo, s31
	s_delay_alu instid0(VALU_DEP_1) | instskip(NEXT) | instid1(VALU_DEP_2)
	v_dual_lshlrev_b32 v2, 8, v37 :: v_dual_lshlrev_b32 v35, 23, v35
	v_lshl_add_u32 v37, v38, 10, 0x2000
	s_delay_alu instid0(VALU_DEP_1) | instskip(NEXT) | instid1(VALU_DEP_1)
	v_and_or_b32 v2, 0x8000, v2, v37
	v_lshl_or_b32 v35, v2, 16, v35
.LBB248_151:                            ;   in Loop: Header=BB248_9 Depth=1
	s_or_b32 exec_lo, exec_lo, s30
.LBB248_152:                            ;   in Loop: Header=BB248_9 Depth=1
	s_delay_alu instid0(SALU_CYCLE_1)
	s_or_b32 exec_lo, exec_lo, s29
.LBB248_153:                            ;   in Loop: Header=BB248_9 Depth=1
	s_delay_alu instid0(SALU_CYCLE_1)
	s_or_b32 exec_lo, exec_lo, s28
	global_load_u16 v2, v[8:9], off offset:520
	v_mov_b32_e32 v37, 0
	s_wait_loadcnt 0x0
	v_and_b32_e32 v38, 0xff, v2
	v_and_b32_e32 v2, 0xffff, v2
	s_delay_alu instid0(VALU_DEP_2)
	v_cmp_ne_u16_e64 s4, 0, v38
	v_mov_b32_e32 v38, 0
	s_and_saveexec_b32 s28, s4
	s_cbranch_execz .LBB248_161
; %bb.154:                              ;   in Loop: Header=BB248_9 Depth=1
	v_and_b32_e32 v38, 0xff, v2
	s_delay_alu instid0(VALU_DEP_1)
	v_cmp_ne_u16_e64 s4, 0x80, v38
	v_mov_b32_e32 v38, 0x8000
	s_and_saveexec_b32 s29, s4
	s_cbranch_execz .LBB248_160
; %bb.155:                              ;   in Loop: Header=BB248_9 Depth=1
	v_and_b32_e32 v40, 0x7f, v2
	v_mov_b32_e32 v38, 0x7c01
	s_mov_b32 s30, exec_lo
	s_delay_alu instid0(VALU_DEP_2)
	v_cmpx_ne_u32_e32 0x7f, v40
	s_cbranch_execz .LBB248_159
; %bb.156:                              ;   in Loop: Header=BB248_9 Depth=1
	v_dual_lshrrev_b32 v39, 3, v40 :: v_dual_bitop2_b32 v38, 7, v2 bitop3:0x40
	s_mov_b32 s31, exec_lo
	v_cmpx_gt_u32_e32 8, v40
; %bb.157:                              ;   in Loop: Header=BB248_9 Depth=1
	s_delay_alu instid0(VALU_DEP_2) | instskip(NEXT) | instid1(VALU_DEP_1)
	v_clz_i32_u32_e32 v38, v38
	v_min_u32_e32 v40, 32, v38
	s_delay_alu instid0(VALU_DEP_1) | instskip(NEXT) | instid1(VALU_DEP_1)
	v_subrev_nc_u32_e32 v38, 28, v40
	v_lshlrev_b64_e32 v[38:39], v38, v[2:3]
	s_delay_alu instid0(VALU_DEP_1)
	v_dual_sub_nc_u32 v39, 29, v40 :: v_dual_bitop2_b32 v38, 7, v38 bitop3:0x40
; %bb.158:                              ;   in Loop: Header=BB248_9 Depth=1
	s_or_b32 exec_lo, exec_lo, s31
	v_lshlrev_b32_e32 v40, 8, v2
	s_delay_alu instid0(VALU_DEP_2) | instskip(NEXT) | instid1(VALU_DEP_3)
	v_lshl_add_u32 v39, v39, 10, 0x2000
	v_lshlrev_b32_e32 v38, 7, v38
	s_delay_alu instid0(VALU_DEP_3) | instskip(NEXT) | instid1(VALU_DEP_3)
	v_and_b32_e32 v40, 0x8000, v40
	v_and_b32_e32 v39, 0xfc00, v39
	s_delay_alu instid0(VALU_DEP_1)
	v_or3_b32 v38, v40, v39, v38
.LBB248_159:                            ;   in Loop: Header=BB248_9 Depth=1
	s_or_b32 exec_lo, exec_lo, s30
.LBB248_160:                            ;   in Loop: Header=BB248_9 Depth=1
	s_delay_alu instid0(SALU_CYCLE_1)
	s_or_b32 exec_lo, exec_lo, s29
.LBB248_161:                            ;   in Loop: Header=BB248_9 Depth=1
	s_delay_alu instid0(SALU_CYCLE_1) | instskip(SKIP_2) | instid1(VALU_DEP_1)
	s_or_b32 exec_lo, exec_lo, s28
	v_lshrrev_b16 v2, 8, v2
	s_mov_b32 s28, exec_lo
	v_cmpx_ne_u16_e32 0, v2
	s_cbranch_execz .LBB248_169
; %bb.162:                              ;   in Loop: Header=BB248_9 Depth=1
	v_bfrev_b32_e32 v37, 1
	s_mov_b32 s29, exec_lo
	v_cmpx_ne_u16_e32 0x80, v2
	s_cbranch_execz .LBB248_168
; %bb.163:                              ;   in Loop: Header=BB248_9 Depth=1
	v_and_b32_e32 v39, 0xffff, v2
	v_mov_b32_e32 v37, 0x7c010000
	s_mov_b32 s30, exec_lo
	s_delay_alu instid0(VALU_DEP_2) | instskip(NEXT) | instid1(VALU_DEP_1)
	v_and_b32_e32 v41, 0x7f, v39
	v_cmpx_ne_u32_e32 0x7f, v41
	s_cbranch_execz .LBB248_167
; %bb.164:                              ;   in Loop: Header=BB248_9 Depth=1
	v_dual_lshrrev_b32 v40, 3, v41 :: v_dual_bitop2_b32 v37, 7, v39 bitop3:0x40
	s_mov_b32 s31, exec_lo
	v_cmpx_gt_u32_e32 8, v41
; %bb.165:                              ;   in Loop: Header=BB248_9 Depth=1
	s_delay_alu instid0(VALU_DEP_2) | instskip(NEXT) | instid1(VALU_DEP_1)
	v_clz_i32_u32_e32 v37, v37
	v_min_u32_e32 v37, 32, v37
	s_delay_alu instid0(VALU_DEP_1) | instskip(NEXT) | instid1(VALU_DEP_1)
	v_subrev_nc_u32_e32 v40, 28, v37
	v_lshlrev_b64_e32 v[42:43], v40, v[2:3]
	s_delay_alu instid0(VALU_DEP_1)
	v_dual_sub_nc_u32 v40, 29, v37 :: v_dual_bitop2_b32 v37, 7, v42 bitop3:0x40
; %bb.166:                              ;   in Loop: Header=BB248_9 Depth=1
	s_or_b32 exec_lo, exec_lo, s31
	s_delay_alu instid0(VALU_DEP_1) | instskip(NEXT) | instid1(VALU_DEP_2)
	v_dual_lshlrev_b32 v2, 8, v39 :: v_dual_lshlrev_b32 v37, 23, v37
	v_lshl_add_u32 v39, v40, 10, 0x2000
	s_delay_alu instid0(VALU_DEP_1) | instskip(NEXT) | instid1(VALU_DEP_1)
	v_and_or_b32 v2, 0x8000, v2, v39
	v_lshl_or_b32 v37, v2, 16, v37
.LBB248_167:                            ;   in Loop: Header=BB248_9 Depth=1
	s_or_b32 exec_lo, exec_lo, s30
.LBB248_168:                            ;   in Loop: Header=BB248_9 Depth=1
	s_delay_alu instid0(SALU_CYCLE_1)
	s_or_b32 exec_lo, exec_lo, s29
.LBB248_169:                            ;   in Loop: Header=BB248_9 Depth=1
	s_delay_alu instid0(SALU_CYCLE_1)
	s_or_b32 exec_lo, exec_lo, s28
	global_load_u16 v2, v[8:9], off offset:640
	v_mov_b32_e32 v39, 0
	s_wait_loadcnt 0x0
	v_and_b32_e32 v40, 0xff, v2
	v_and_b32_e32 v2, 0xffff, v2
	s_delay_alu instid0(VALU_DEP_2)
	v_cmp_ne_u16_e64 s4, 0, v40
	v_mov_b32_e32 v40, 0
	s_and_saveexec_b32 s28, s4
	s_cbranch_execz .LBB248_177
; %bb.170:                              ;   in Loop: Header=BB248_9 Depth=1
	v_and_b32_e32 v40, 0xff, v2
	s_delay_alu instid0(VALU_DEP_1)
	v_cmp_ne_u16_e64 s4, 0x80, v40
	v_mov_b32_e32 v40, 0x8000
	s_and_saveexec_b32 s29, s4
	s_cbranch_execz .LBB248_176
; %bb.171:                              ;   in Loop: Header=BB248_9 Depth=1
	v_and_b32_e32 v42, 0x7f, v2
	v_mov_b32_e32 v40, 0x7c01
	s_mov_b32 s30, exec_lo
	s_delay_alu instid0(VALU_DEP_2)
	v_cmpx_ne_u32_e32 0x7f, v42
	s_cbranch_execz .LBB248_175
; %bb.172:                              ;   in Loop: Header=BB248_9 Depth=1
	v_and_b32_e32 v40, 7, v2
	v_lshrrev_b32_e32 v41, 3, v42
	s_mov_b32 s31, exec_lo
	v_cmpx_gt_u32_e32 8, v42
; %bb.173:                              ;   in Loop: Header=BB248_9 Depth=1
	s_delay_alu instid0(VALU_DEP_3) | instskip(NEXT) | instid1(VALU_DEP_1)
	v_clz_i32_u32_e32 v40, v40
	v_min_u32_e32 v42, 32, v40
	s_delay_alu instid0(VALU_DEP_1) | instskip(NEXT) | instid1(VALU_DEP_1)
	v_subrev_nc_u32_e32 v40, 28, v42
	v_lshlrev_b64_e32 v[40:41], v40, v[2:3]
	s_delay_alu instid0(VALU_DEP_1)
	v_dual_sub_nc_u32 v41, 29, v42 :: v_dual_bitop2_b32 v40, 7, v40 bitop3:0x40
; %bb.174:                              ;   in Loop: Header=BB248_9 Depth=1
	s_or_b32 exec_lo, exec_lo, s31
	s_delay_alu instid0(VALU_DEP_1) | instskip(NEXT) | instid1(VALU_DEP_2)
	v_dual_lshlrev_b32 v42, 8, v2 :: v_dual_lshlrev_b32 v40, 7, v40
	v_lshl_add_u32 v41, v41, 10, 0x2000
	s_delay_alu instid0(VALU_DEP_2) | instskip(NEXT) | instid1(VALU_DEP_2)
	v_and_b32_e32 v42, 0x8000, v42
	v_and_b32_e32 v41, 0xfc00, v41
	s_delay_alu instid0(VALU_DEP_1)
	v_or3_b32 v40, v42, v41, v40
.LBB248_175:                            ;   in Loop: Header=BB248_9 Depth=1
	s_or_b32 exec_lo, exec_lo, s30
.LBB248_176:                            ;   in Loop: Header=BB248_9 Depth=1
	s_delay_alu instid0(SALU_CYCLE_1)
	s_or_b32 exec_lo, exec_lo, s29
.LBB248_177:                            ;   in Loop: Header=BB248_9 Depth=1
	s_delay_alu instid0(SALU_CYCLE_1) | instskip(SKIP_2) | instid1(VALU_DEP_1)
	s_or_b32 exec_lo, exec_lo, s28
	v_lshrrev_b16 v2, 8, v2
	s_mov_b32 s28, exec_lo
	v_cmpx_ne_u16_e32 0, v2
	s_cbranch_execz .LBB248_185
; %bb.178:                              ;   in Loop: Header=BB248_9 Depth=1
	v_bfrev_b32_e32 v39, 1
	s_mov_b32 s29, exec_lo
	v_cmpx_ne_u16_e32 0x80, v2
	s_cbranch_execz .LBB248_184
; %bb.179:                              ;   in Loop: Header=BB248_9 Depth=1
	v_and_b32_e32 v41, 0xffff, v2
	v_mov_b32_e32 v39, 0x7c010000
	s_mov_b32 s30, exec_lo
	s_delay_alu instid0(VALU_DEP_2) | instskip(NEXT) | instid1(VALU_DEP_1)
	v_and_b32_e32 v43, 0x7f, v41
	v_cmpx_ne_u32_e32 0x7f, v43
	s_cbranch_execz .LBB248_183
; %bb.180:                              ;   in Loop: Header=BB248_9 Depth=1
	v_dual_lshrrev_b32 v42, 3, v43 :: v_dual_bitop2_b32 v39, 7, v41 bitop3:0x40
	s_mov_b32 s31, exec_lo
	v_cmpx_gt_u32_e32 8, v43
; %bb.181:                              ;   in Loop: Header=BB248_9 Depth=1
	s_delay_alu instid0(VALU_DEP_2) | instskip(NEXT) | instid1(VALU_DEP_1)
	v_clz_i32_u32_e32 v39, v39
	v_min_u32_e32 v39, 32, v39
	s_delay_alu instid0(VALU_DEP_1) | instskip(NEXT) | instid1(VALU_DEP_1)
	v_subrev_nc_u32_e32 v42, 28, v39
	v_lshlrev_b64_e32 v[44:45], v42, v[2:3]
	s_delay_alu instid0(VALU_DEP_1)
	v_dual_sub_nc_u32 v42, 29, v39 :: v_dual_bitop2_b32 v39, 7, v44 bitop3:0x40
; %bb.182:                              ;   in Loop: Header=BB248_9 Depth=1
	s_or_b32 exec_lo, exec_lo, s31
	s_delay_alu instid0(VALU_DEP_1) | instskip(NEXT) | instid1(VALU_DEP_2)
	v_dual_lshlrev_b32 v2, 8, v41 :: v_dual_lshlrev_b32 v39, 23, v39
	v_lshl_add_u32 v41, v42, 10, 0x2000
	s_delay_alu instid0(VALU_DEP_1) | instskip(NEXT) | instid1(VALU_DEP_1)
	v_and_or_b32 v2, 0x8000, v2, v41
	v_lshl_or_b32 v39, v2, 16, v39
.LBB248_183:                            ;   in Loop: Header=BB248_9 Depth=1
	s_or_b32 exec_lo, exec_lo, s30
.LBB248_184:                            ;   in Loop: Header=BB248_9 Depth=1
	s_delay_alu instid0(SALU_CYCLE_1)
	s_or_b32 exec_lo, exec_lo, s29
.LBB248_185:                            ;   in Loop: Header=BB248_9 Depth=1
	s_delay_alu instid0(SALU_CYCLE_1)
	s_or_b32 exec_lo, exec_lo, s28
	global_load_u16 v2, v[8:9], off offset:648
	v_mov_b32_e32 v41, 0
	s_wait_loadcnt 0x0
	v_and_b32_e32 v42, 0xff, v2
	v_and_b32_e32 v2, 0xffff, v2
	s_delay_alu instid0(VALU_DEP_2)
	v_cmp_ne_u16_e64 s4, 0, v42
	v_mov_b32_e32 v42, 0
	s_and_saveexec_b32 s28, s4
	s_cbranch_execz .LBB248_193
; %bb.186:                              ;   in Loop: Header=BB248_9 Depth=1
	v_and_b32_e32 v42, 0xff, v2
	s_delay_alu instid0(VALU_DEP_1)
	v_cmp_ne_u16_e64 s4, 0x80, v42
	v_mov_b32_e32 v42, 0x8000
	s_and_saveexec_b32 s29, s4
	s_cbranch_execz .LBB248_192
; %bb.187:                              ;   in Loop: Header=BB248_9 Depth=1
	v_and_b32_e32 v44, 0x7f, v2
	v_mov_b32_e32 v42, 0x7c01
	s_mov_b32 s30, exec_lo
	s_delay_alu instid0(VALU_DEP_2)
	v_cmpx_ne_u32_e32 0x7f, v44
	s_cbranch_execz .LBB248_191
; %bb.188:                              ;   in Loop: Header=BB248_9 Depth=1
	v_dual_lshrrev_b32 v43, 3, v44 :: v_dual_bitop2_b32 v42, 7, v2 bitop3:0x40
	s_mov_b32 s31, exec_lo
	v_cmpx_gt_u32_e32 8, v44
; %bb.189:                              ;   in Loop: Header=BB248_9 Depth=1
	s_delay_alu instid0(VALU_DEP_2) | instskip(NEXT) | instid1(VALU_DEP_1)
	v_clz_i32_u32_e32 v42, v42
	v_min_u32_e32 v44, 32, v42
	s_delay_alu instid0(VALU_DEP_1) | instskip(NEXT) | instid1(VALU_DEP_1)
	v_subrev_nc_u32_e32 v42, 28, v44
	v_lshlrev_b64_e32 v[42:43], v42, v[2:3]
	s_delay_alu instid0(VALU_DEP_1)
	v_dual_sub_nc_u32 v43, 29, v44 :: v_dual_bitop2_b32 v42, 7, v42 bitop3:0x40
; %bb.190:                              ;   in Loop: Header=BB248_9 Depth=1
	s_or_b32 exec_lo, exec_lo, s31
	v_lshlrev_b32_e32 v44, 8, v2
	s_delay_alu instid0(VALU_DEP_2) | instskip(NEXT) | instid1(VALU_DEP_3)
	v_lshl_add_u32 v43, v43, 10, 0x2000
	v_lshlrev_b32_e32 v42, 7, v42
	s_delay_alu instid0(VALU_DEP_3) | instskip(NEXT) | instid1(VALU_DEP_3)
	v_and_b32_e32 v44, 0x8000, v44
	v_and_b32_e32 v43, 0xfc00, v43
	s_delay_alu instid0(VALU_DEP_1)
	v_or3_b32 v42, v44, v43, v42
.LBB248_191:                            ;   in Loop: Header=BB248_9 Depth=1
	s_or_b32 exec_lo, exec_lo, s30
.LBB248_192:                            ;   in Loop: Header=BB248_9 Depth=1
	s_delay_alu instid0(SALU_CYCLE_1)
	s_or_b32 exec_lo, exec_lo, s29
.LBB248_193:                            ;   in Loop: Header=BB248_9 Depth=1
	s_delay_alu instid0(SALU_CYCLE_1) | instskip(SKIP_2) | instid1(VALU_DEP_1)
	s_or_b32 exec_lo, exec_lo, s28
	v_lshrrev_b16 v2, 8, v2
	s_mov_b32 s28, exec_lo
	v_cmpx_ne_u16_e32 0, v2
	s_cbranch_execz .LBB248_201
; %bb.194:                              ;   in Loop: Header=BB248_9 Depth=1
	v_bfrev_b32_e32 v41, 1
	s_mov_b32 s29, exec_lo
	v_cmpx_ne_u16_e32 0x80, v2
	s_cbranch_execz .LBB248_200
; %bb.195:                              ;   in Loop: Header=BB248_9 Depth=1
	v_and_b32_e32 v43, 0xffff, v2
	v_mov_b32_e32 v41, 0x7c010000
	s_mov_b32 s30, exec_lo
	s_delay_alu instid0(VALU_DEP_2) | instskip(NEXT) | instid1(VALU_DEP_1)
	v_and_b32_e32 v45, 0x7f, v43
	v_cmpx_ne_u32_e32 0x7f, v45
	s_cbranch_execz .LBB248_199
; %bb.196:                              ;   in Loop: Header=BB248_9 Depth=1
	v_dual_lshrrev_b32 v44, 3, v45 :: v_dual_bitop2_b32 v41, 7, v43 bitop3:0x40
	s_mov_b32 s31, exec_lo
	v_cmpx_gt_u32_e32 8, v45
; %bb.197:                              ;   in Loop: Header=BB248_9 Depth=1
	s_delay_alu instid0(VALU_DEP_2) | instskip(NEXT) | instid1(VALU_DEP_1)
	v_clz_i32_u32_e32 v41, v41
	v_min_u32_e32 v41, 32, v41
	s_delay_alu instid0(VALU_DEP_1) | instskip(NEXT) | instid1(VALU_DEP_1)
	v_subrev_nc_u32_e32 v44, 28, v41
	v_lshlrev_b64_e32 v[46:47], v44, v[2:3]
	s_delay_alu instid0(VALU_DEP_1)
	v_dual_sub_nc_u32 v44, 29, v41 :: v_dual_bitop2_b32 v41, 7, v46 bitop3:0x40
; %bb.198:                              ;   in Loop: Header=BB248_9 Depth=1
	s_or_b32 exec_lo, exec_lo, s31
	s_delay_alu instid0(VALU_DEP_1) | instskip(NEXT) | instid1(VALU_DEP_2)
	v_dual_lshlrev_b32 v2, 8, v43 :: v_dual_lshlrev_b32 v41, 23, v41
	v_lshl_add_u32 v43, v44, 10, 0x2000
	s_delay_alu instid0(VALU_DEP_1) | instskip(NEXT) | instid1(VALU_DEP_1)
	v_and_or_b32 v2, 0x8000, v2, v43
	v_lshl_or_b32 v41, v2, 16, v41
.LBB248_199:                            ;   in Loop: Header=BB248_9 Depth=1
	s_or_b32 exec_lo, exec_lo, s30
.LBB248_200:                            ;   in Loop: Header=BB248_9 Depth=1
	s_delay_alu instid0(SALU_CYCLE_1)
	s_or_b32 exec_lo, exec_lo, s29
.LBB248_201:                            ;   in Loop: Header=BB248_9 Depth=1
	s_delay_alu instid0(SALU_CYCLE_1)
	s_or_b32 exec_lo, exec_lo, s28
	global_load_u16 v2, v[8:9], off offset:768
	v_mov_b32_e32 v43, 0
	s_wait_loadcnt 0x0
	v_and_b32_e32 v44, 0xff, v2
	v_and_b32_e32 v2, 0xffff, v2
	s_delay_alu instid0(VALU_DEP_2)
	v_cmp_ne_u16_e64 s4, 0, v44
	v_mov_b32_e32 v44, 0
	s_and_saveexec_b32 s28, s4
	s_cbranch_execz .LBB248_209
; %bb.202:                              ;   in Loop: Header=BB248_9 Depth=1
	v_and_b32_e32 v44, 0xff, v2
	s_delay_alu instid0(VALU_DEP_1)
	v_cmp_ne_u16_e64 s4, 0x80, v44
	v_mov_b32_e32 v44, 0x8000
	s_and_saveexec_b32 s29, s4
	s_cbranch_execz .LBB248_208
; %bb.203:                              ;   in Loop: Header=BB248_9 Depth=1
	v_and_b32_e32 v46, 0x7f, v2
	v_mov_b32_e32 v44, 0x7c01
	s_mov_b32 s30, exec_lo
	s_delay_alu instid0(VALU_DEP_2)
	v_cmpx_ne_u32_e32 0x7f, v46
	s_cbranch_execz .LBB248_207
; %bb.204:                              ;   in Loop: Header=BB248_9 Depth=1
	v_and_b32_e32 v44, 7, v2
	v_lshrrev_b32_e32 v45, 3, v46
	s_mov_b32 s31, exec_lo
	v_cmpx_gt_u32_e32 8, v46
; %bb.205:                              ;   in Loop: Header=BB248_9 Depth=1
	s_delay_alu instid0(VALU_DEP_3) | instskip(NEXT) | instid1(VALU_DEP_1)
	v_clz_i32_u32_e32 v44, v44
	v_min_u32_e32 v46, 32, v44
	s_delay_alu instid0(VALU_DEP_1) | instskip(NEXT) | instid1(VALU_DEP_1)
	v_subrev_nc_u32_e32 v44, 28, v46
	v_lshlrev_b64_e32 v[44:45], v44, v[2:3]
	s_delay_alu instid0(VALU_DEP_1)
	v_dual_sub_nc_u32 v45, 29, v46 :: v_dual_bitop2_b32 v44, 7, v44 bitop3:0x40
; %bb.206:                              ;   in Loop: Header=BB248_9 Depth=1
	s_or_b32 exec_lo, exec_lo, s31
	s_delay_alu instid0(VALU_DEP_1) | instskip(NEXT) | instid1(VALU_DEP_2)
	v_dual_lshlrev_b32 v46, 8, v2 :: v_dual_lshlrev_b32 v44, 7, v44
	v_lshl_add_u32 v45, v45, 10, 0x2000
	s_delay_alu instid0(VALU_DEP_2) | instskip(NEXT) | instid1(VALU_DEP_2)
	v_and_b32_e32 v46, 0x8000, v46
	v_and_b32_e32 v45, 0xfc00, v45
	s_delay_alu instid0(VALU_DEP_1)
	v_or3_b32 v44, v46, v45, v44
.LBB248_207:                            ;   in Loop: Header=BB248_9 Depth=1
	s_or_b32 exec_lo, exec_lo, s30
.LBB248_208:                            ;   in Loop: Header=BB248_9 Depth=1
	s_delay_alu instid0(SALU_CYCLE_1)
	s_or_b32 exec_lo, exec_lo, s29
.LBB248_209:                            ;   in Loop: Header=BB248_9 Depth=1
	s_delay_alu instid0(SALU_CYCLE_1) | instskip(SKIP_2) | instid1(VALU_DEP_1)
	s_or_b32 exec_lo, exec_lo, s28
	v_lshrrev_b16 v2, 8, v2
	s_mov_b32 s28, exec_lo
	v_cmpx_ne_u16_e32 0, v2
	s_cbranch_execz .LBB248_217
; %bb.210:                              ;   in Loop: Header=BB248_9 Depth=1
	v_bfrev_b32_e32 v43, 1
	s_mov_b32 s29, exec_lo
	v_cmpx_ne_u16_e32 0x80, v2
	s_cbranch_execz .LBB248_216
; %bb.211:                              ;   in Loop: Header=BB248_9 Depth=1
	v_and_b32_e32 v45, 0xffff, v2
	v_mov_b32_e32 v43, 0x7c010000
	s_mov_b32 s30, exec_lo
	s_delay_alu instid0(VALU_DEP_2) | instskip(NEXT) | instid1(VALU_DEP_1)
	v_and_b32_e32 v47, 0x7f, v45
	v_cmpx_ne_u32_e32 0x7f, v47
	s_cbranch_execz .LBB248_215
; %bb.212:                              ;   in Loop: Header=BB248_9 Depth=1
	v_dual_lshrrev_b32 v46, 3, v47 :: v_dual_bitop2_b32 v43, 7, v45 bitop3:0x40
	s_mov_b32 s31, exec_lo
	v_cmpx_gt_u32_e32 8, v47
; %bb.213:                              ;   in Loop: Header=BB248_9 Depth=1
	s_delay_alu instid0(VALU_DEP_2) | instskip(NEXT) | instid1(VALU_DEP_1)
	v_clz_i32_u32_e32 v43, v43
	v_min_u32_e32 v43, 32, v43
	s_delay_alu instid0(VALU_DEP_1) | instskip(NEXT) | instid1(VALU_DEP_1)
	v_subrev_nc_u32_e32 v46, 28, v43
	v_lshlrev_b64_e32 v[48:49], v46, v[2:3]
	s_delay_alu instid0(VALU_DEP_1)
	v_dual_sub_nc_u32 v46, 29, v43 :: v_dual_bitop2_b32 v43, 7, v48 bitop3:0x40
; %bb.214:                              ;   in Loop: Header=BB248_9 Depth=1
	s_or_b32 exec_lo, exec_lo, s31
	s_delay_alu instid0(VALU_DEP_1) | instskip(NEXT) | instid1(VALU_DEP_2)
	v_dual_lshlrev_b32 v2, 8, v45 :: v_dual_lshlrev_b32 v43, 23, v43
	v_lshl_add_u32 v45, v46, 10, 0x2000
	s_delay_alu instid0(VALU_DEP_1) | instskip(NEXT) | instid1(VALU_DEP_1)
	v_and_or_b32 v2, 0x8000, v2, v45
	v_lshl_or_b32 v43, v2, 16, v43
.LBB248_215:                            ;   in Loop: Header=BB248_9 Depth=1
	s_or_b32 exec_lo, exec_lo, s30
.LBB248_216:                            ;   in Loop: Header=BB248_9 Depth=1
	s_delay_alu instid0(SALU_CYCLE_1)
	s_or_b32 exec_lo, exec_lo, s29
.LBB248_217:                            ;   in Loop: Header=BB248_9 Depth=1
	s_delay_alu instid0(SALU_CYCLE_1)
	s_or_b32 exec_lo, exec_lo, s28
	global_load_u16 v2, v[8:9], off offset:776
	v_mov_b32_e32 v45, 0
	s_wait_loadcnt 0x0
	v_and_b32_e32 v46, 0xff, v2
	v_and_b32_e32 v2, 0xffff, v2
	s_delay_alu instid0(VALU_DEP_2)
	v_cmp_ne_u16_e64 s4, 0, v46
	v_mov_b32_e32 v46, 0
	s_and_saveexec_b32 s28, s4
	s_cbranch_execz .LBB248_225
; %bb.218:                              ;   in Loop: Header=BB248_9 Depth=1
	v_and_b32_e32 v46, 0xff, v2
	s_delay_alu instid0(VALU_DEP_1)
	v_cmp_ne_u16_e64 s4, 0x80, v46
	v_mov_b32_e32 v46, 0x8000
	s_and_saveexec_b32 s29, s4
	s_cbranch_execz .LBB248_224
; %bb.219:                              ;   in Loop: Header=BB248_9 Depth=1
	v_and_b32_e32 v48, 0x7f, v2
	v_mov_b32_e32 v46, 0x7c01
	s_mov_b32 s30, exec_lo
	s_delay_alu instid0(VALU_DEP_2)
	v_cmpx_ne_u32_e32 0x7f, v48
	s_cbranch_execz .LBB248_223
; %bb.220:                              ;   in Loop: Header=BB248_9 Depth=1
	v_dual_lshrrev_b32 v47, 3, v48 :: v_dual_bitop2_b32 v46, 7, v2 bitop3:0x40
	s_mov_b32 s31, exec_lo
	v_cmpx_gt_u32_e32 8, v48
; %bb.221:                              ;   in Loop: Header=BB248_9 Depth=1
	s_delay_alu instid0(VALU_DEP_2) | instskip(NEXT) | instid1(VALU_DEP_1)
	v_clz_i32_u32_e32 v46, v46
	v_min_u32_e32 v48, 32, v46
	s_delay_alu instid0(VALU_DEP_1) | instskip(NEXT) | instid1(VALU_DEP_1)
	v_subrev_nc_u32_e32 v46, 28, v48
	v_lshlrev_b64_e32 v[46:47], v46, v[2:3]
	s_delay_alu instid0(VALU_DEP_1)
	v_dual_sub_nc_u32 v47, 29, v48 :: v_dual_bitop2_b32 v46, 7, v46 bitop3:0x40
; %bb.222:                              ;   in Loop: Header=BB248_9 Depth=1
	s_or_b32 exec_lo, exec_lo, s31
	v_lshlrev_b32_e32 v48, 8, v2
	s_delay_alu instid0(VALU_DEP_2) | instskip(NEXT) | instid1(VALU_DEP_3)
	v_lshl_add_u32 v47, v47, 10, 0x2000
	v_lshlrev_b32_e32 v46, 7, v46
	s_delay_alu instid0(VALU_DEP_3) | instskip(NEXT) | instid1(VALU_DEP_3)
	v_and_b32_e32 v48, 0x8000, v48
	v_and_b32_e32 v47, 0xfc00, v47
	s_delay_alu instid0(VALU_DEP_1)
	v_or3_b32 v46, v48, v47, v46
.LBB248_223:                            ;   in Loop: Header=BB248_9 Depth=1
	s_or_b32 exec_lo, exec_lo, s30
.LBB248_224:                            ;   in Loop: Header=BB248_9 Depth=1
	s_delay_alu instid0(SALU_CYCLE_1)
	s_or_b32 exec_lo, exec_lo, s29
.LBB248_225:                            ;   in Loop: Header=BB248_9 Depth=1
	s_delay_alu instid0(SALU_CYCLE_1) | instskip(SKIP_2) | instid1(VALU_DEP_1)
	s_or_b32 exec_lo, exec_lo, s28
	v_lshrrev_b16 v2, 8, v2
	s_mov_b32 s28, exec_lo
	v_cmpx_ne_u16_e32 0, v2
	s_cbranch_execz .LBB248_233
; %bb.226:                              ;   in Loop: Header=BB248_9 Depth=1
	v_bfrev_b32_e32 v45, 1
	s_mov_b32 s29, exec_lo
	v_cmpx_ne_u16_e32 0x80, v2
	s_cbranch_execz .LBB248_232
; %bb.227:                              ;   in Loop: Header=BB248_9 Depth=1
	v_and_b32_e32 v47, 0xffff, v2
	v_mov_b32_e32 v45, 0x7c010000
	s_mov_b32 s30, exec_lo
	s_delay_alu instid0(VALU_DEP_2) | instskip(NEXT) | instid1(VALU_DEP_1)
	v_and_b32_e32 v49, 0x7f, v47
	v_cmpx_ne_u32_e32 0x7f, v49
	s_cbranch_execz .LBB248_231
; %bb.228:                              ;   in Loop: Header=BB248_9 Depth=1
	v_dual_lshrrev_b32 v48, 3, v49 :: v_dual_bitop2_b32 v45, 7, v47 bitop3:0x40
	s_mov_b32 s31, exec_lo
	v_cmpx_gt_u32_e32 8, v49
; %bb.229:                              ;   in Loop: Header=BB248_9 Depth=1
	s_delay_alu instid0(VALU_DEP_2) | instskip(NEXT) | instid1(VALU_DEP_1)
	v_clz_i32_u32_e32 v45, v45
	v_min_u32_e32 v45, 32, v45
	s_delay_alu instid0(VALU_DEP_1) | instskip(NEXT) | instid1(VALU_DEP_1)
	v_subrev_nc_u32_e32 v48, 28, v45
	v_lshlrev_b64_e32 v[50:51], v48, v[2:3]
	s_delay_alu instid0(VALU_DEP_1)
	v_dual_sub_nc_u32 v48, 29, v45 :: v_dual_bitop2_b32 v45, 7, v50 bitop3:0x40
; %bb.230:                              ;   in Loop: Header=BB248_9 Depth=1
	s_or_b32 exec_lo, exec_lo, s31
	s_delay_alu instid0(VALU_DEP_1) | instskip(NEXT) | instid1(VALU_DEP_2)
	v_dual_lshlrev_b32 v2, 8, v47 :: v_dual_lshlrev_b32 v45, 23, v45
	v_lshl_add_u32 v47, v48, 10, 0x2000
	s_delay_alu instid0(VALU_DEP_1) | instskip(NEXT) | instid1(VALU_DEP_1)
	v_and_or_b32 v2, 0x8000, v2, v47
	v_lshl_or_b32 v45, v2, 16, v45
.LBB248_231:                            ;   in Loop: Header=BB248_9 Depth=1
	s_or_b32 exec_lo, exec_lo, s30
.LBB248_232:                            ;   in Loop: Header=BB248_9 Depth=1
	s_delay_alu instid0(SALU_CYCLE_1)
	s_or_b32 exec_lo, exec_lo, s29
.LBB248_233:                            ;   in Loop: Header=BB248_9 Depth=1
	s_delay_alu instid0(SALU_CYCLE_1)
	s_or_b32 exec_lo, exec_lo, s28
	global_load_u16 v2, v[8:9], off offset:896
	s_wait_xcnt 0x0
	v_mov_b32_e32 v8, 0
	s_wait_loadcnt 0x0
	v_and_b32_e32 v9, 0xff, v2
	v_and_b32_e32 v2, 0xffff, v2
	s_delay_alu instid0(VALU_DEP_2)
	v_cmp_ne_u16_e64 s4, 0, v9
	v_mov_b32_e32 v9, 0
	s_and_saveexec_b32 s28, s4
	s_cbranch_execz .LBB248_241
; %bb.234:                              ;   in Loop: Header=BB248_9 Depth=1
	v_and_b32_e32 v9, 0xff, v2
	s_delay_alu instid0(VALU_DEP_1)
	v_cmp_ne_u16_e64 s4, 0x80, v9
	v_mov_b32_e32 v9, 0x8000
	s_and_saveexec_b32 s29, s4
	s_cbranch_execz .LBB248_240
; %bb.235:                              ;   in Loop: Header=BB248_9 Depth=1
	v_and_b32_e32 v48, 0x7f, v2
	v_mov_b32_e32 v9, 0x7c01
	s_mov_b32 s30, exec_lo
	s_delay_alu instid0(VALU_DEP_2)
	v_cmpx_ne_u32_e32 0x7f, v48
	s_cbranch_execz .LBB248_239
; %bb.236:                              ;   in Loop: Header=BB248_9 Depth=1
	v_dual_lshrrev_b32 v47, 3, v48 :: v_dual_bitop2_b32 v9, 7, v2 bitop3:0x40
	s_mov_b32 s31, exec_lo
	v_cmpx_gt_u32_e32 8, v48
; %bb.237:                              ;   in Loop: Header=BB248_9 Depth=1
	s_delay_alu instid0(VALU_DEP_2) | instskip(NEXT) | instid1(VALU_DEP_1)
	v_clz_i32_u32_e32 v9, v9
	v_min_u32_e32 v9, 32, v9
	s_delay_alu instid0(VALU_DEP_1) | instskip(NEXT) | instid1(VALU_DEP_1)
	v_subrev_nc_u32_e32 v47, 28, v9
	v_lshlrev_b64_e32 v[48:49], v47, v[2:3]
	s_delay_alu instid0(VALU_DEP_1)
	v_dual_sub_nc_u32 v47, 29, v9 :: v_dual_bitop2_b32 v9, 7, v48 bitop3:0x40
; %bb.238:                              ;   in Loop: Header=BB248_9 Depth=1
	s_or_b32 exec_lo, exec_lo, s31
	s_delay_alu instid0(VALU_DEP_1) | instskip(NEXT) | instid1(VALU_DEP_2)
	v_dual_lshlrev_b32 v48, 8, v2 :: v_dual_lshlrev_b32 v9, 7, v9
	v_lshl_add_u32 v47, v47, 10, 0x2000
	s_delay_alu instid0(VALU_DEP_2) | instskip(NEXT) | instid1(VALU_DEP_2)
	v_and_b32_e32 v48, 0x8000, v48
	v_and_b32_e32 v47, 0xfc00, v47
	s_delay_alu instid0(VALU_DEP_1)
	v_or3_b32 v9, v48, v47, v9
.LBB248_239:                            ;   in Loop: Header=BB248_9 Depth=1
	s_or_b32 exec_lo, exec_lo, s30
.LBB248_240:                            ;   in Loop: Header=BB248_9 Depth=1
	s_delay_alu instid0(SALU_CYCLE_1)
	s_or_b32 exec_lo, exec_lo, s29
.LBB248_241:                            ;   in Loop: Header=BB248_9 Depth=1
	s_delay_alu instid0(SALU_CYCLE_1) | instskip(SKIP_2) | instid1(VALU_DEP_1)
	s_or_b32 exec_lo, exec_lo, s28
	v_lshrrev_b16 v2, 8, v2
	s_mov_b32 s28, exec_lo
	v_cmpx_ne_u16_e32 0, v2
	s_cbranch_execz .LBB248_249
; %bb.242:                              ;   in Loop: Header=BB248_9 Depth=1
	v_bfrev_b32_e32 v8, 1
	s_mov_b32 s29, exec_lo
	v_cmpx_ne_u16_e32 0x80, v2
	s_cbranch_execz .LBB248_248
; %bb.243:                              ;   in Loop: Header=BB248_9 Depth=1
	v_and_b32_e32 v47, 0xffff, v2
	v_mov_b32_e32 v8, 0x7c010000
	s_mov_b32 s30, exec_lo
	s_delay_alu instid0(VALU_DEP_2) | instskip(NEXT) | instid1(VALU_DEP_1)
	v_and_b32_e32 v49, 0x7f, v47
	v_cmpx_ne_u32_e32 0x7f, v49
	s_cbranch_execz .LBB248_247
; %bb.244:                              ;   in Loop: Header=BB248_9 Depth=1
	v_dual_lshrrev_b32 v48, 3, v49 :: v_dual_bitop2_b32 v8, 7, v47 bitop3:0x40
	s_mov_b32 s31, exec_lo
	v_cmpx_gt_u32_e32 8, v49
; %bb.245:                              ;   in Loop: Header=BB248_9 Depth=1
	s_delay_alu instid0(VALU_DEP_2) | instskip(NEXT) | instid1(VALU_DEP_1)
	v_clz_i32_u32_e32 v8, v8
	v_min_u32_e32 v8, 32, v8
	s_delay_alu instid0(VALU_DEP_1) | instskip(NEXT) | instid1(VALU_DEP_1)
	v_subrev_nc_u32_e32 v48, 28, v8
	v_lshlrev_b64_e32 v[50:51], v48, v[2:3]
	s_delay_alu instid0(VALU_DEP_1)
	v_dual_sub_nc_u32 v48, 29, v8 :: v_dual_bitop2_b32 v8, 7, v50 bitop3:0x40
; %bb.246:                              ;   in Loop: Header=BB248_9 Depth=1
	s_or_b32 exec_lo, exec_lo, s31
	s_delay_alu instid0(VALU_DEP_1) | instskip(NEXT) | instid1(VALU_DEP_2)
	v_dual_lshlrev_b32 v2, 8, v47 :: v_dual_lshlrev_b32 v8, 23, v8
	v_lshl_add_u32 v47, v48, 10, 0x2000
	s_delay_alu instid0(VALU_DEP_1) | instskip(NEXT) | instid1(VALU_DEP_1)
	v_and_or_b32 v2, 0x8000, v2, v47
	v_lshl_or_b32 v8, v2, 16, v8
.LBB248_247:                            ;   in Loop: Header=BB248_9 Depth=1
	s_or_b32 exec_lo, exec_lo, s30
.LBB248_248:                            ;   in Loop: Header=BB248_9 Depth=1
	s_delay_alu instid0(SALU_CYCLE_1)
	s_or_b32 exec_lo, exec_lo, s29
.LBB248_249:                            ;   in Loop: Header=BB248_9 Depth=1
	s_delay_alu instid0(SALU_CYCLE_1) | instskip(SKIP_3) | instid1(VALU_DEP_1)
	s_or_b32 exec_lo, exec_lo, s28
	ds_load_b32 v2, v13
	v_or_b32_e32 v19, v18, v19
	v_fma_mixlo_f16 v18, v17, v18, 0 op_sel:[0,1,0] op_sel_hi:[0,1,0]
	v_and_b32_e32 v49, 0xffff, v18
	s_wait_dscnt 0x0
	v_lshrrev_b32_e32 v48, 16, v2
	v_fma_mixlo_f16 v19, v17, v19, 0 op_sel_hi:[0,1,0]
	v_and_b32_e32 v47, 0xffff, v2
	;;#ASMSTART
	v_cvt_f32_f16 v2, v47;
	;;#ASMEND
	;;#ASMSTART
	v_cvt_f32_f16 v18, v48;
	;;#ASMEND
	s_delay_alu instid0(VALU_DEP_2)
	v_and_b32_e32 v19, 0xffff, v19
	;;#ASMSTART
	v_cvt_f32_f16 v19, v19;
	;;#ASMEND
	;;#ASMSTART
	v_cvt_f32_f16 v47, v49;
	;;#ASMEND
	ds_load_b32 v48, v13 offset:4
	v_or_b32_e32 v21, v20, v21
	v_fma_mixlo_f16 v20, v17, v20, 0 op_sel:[0,1,0] op_sel_hi:[0,1,0]
	s_delay_alu instid0(VALU_DEP_1)
	v_and_b32_e32 v20, 0xffff, v20
	s_wait_dscnt 0x0
	v_and_b32_e32 v49, 0xffff, v48
	v_lshrrev_b32_e32 v48, 16, v48
	v_fma_mixlo_f16 v21, v17, v21, 0 op_sel_hi:[0,1,0]
	;;#ASMSTART
	v_cvt_f32_f16 v49, v49;
	;;#ASMEND
	;;#ASMSTART
	v_cvt_f32_f16 v48, v48;
	;;#ASMEND
	s_delay_alu instid0(VALU_DEP_1)
	v_and_b32_e32 v21, 0xffff, v21
	;;#ASMSTART
	v_cvt_f32_f16 v50, v21;
	;;#ASMEND
	;;#ASMSTART
	v_cvt_f32_f16 v51, v20;
	;;#ASMEND
	ds_load_b32 v20, v13 offset:8
	v_or_b32_e32 v21, v22, v23
	v_fma_mixlo_f16 v22, v17, v22, 0 op_sel:[0,1,0] op_sel_hi:[0,1,0]
	s_delay_alu instid0(VALU_DEP_1)
	v_and_b32_e32 v22, 0xffff, v22
	s_wait_dscnt 0x0
	v_and_b32_e32 v23, 0xffff, v20
	v_lshrrev_b32_e32 v20, 16, v20
	v_fma_mixlo_f16 v21, v17, v21, 0 op_sel_hi:[0,1,0]
	;;#ASMSTART
	v_cvt_f32_f16 v52, v23;
	;;#ASMEND
	;;#ASMSTART
	v_cvt_f32_f16 v53, v20;
	;;#ASMEND
	s_delay_alu instid0(VALU_DEP_1)
	v_and_b32_e32 v21, 0xffff, v21
	;;#ASMSTART
	v_cvt_f32_f16 v54, v21;
	;;#ASMEND
	;;#ASMSTART
	v_cvt_f32_f16 v55, v22;
	;;#ASMEND
	ds_load_b32 v20, v13 offset:12
	v_or_b32_e32 v21, v24, v25
	v_fma_mixlo_f16 v22, v17, v24, 0 op_sel:[0,1,0] op_sel_hi:[0,1,0]
	v_fma_mixlo_f16 v24, v17, v43, 0 op_sel:[0,1,0] op_sel_hi:[0,1,0]
	s_delay_alu instid0(VALU_DEP_2)
	v_and_b32_e32 v22, 0xffff, v22
	s_wait_dscnt 0x0
	v_and_b32_e32 v23, 0xffff, v20
	v_lshrrev_b32_e32 v20, 16, v20
	v_fma_mixlo_f16 v21, v17, v21, 0 op_sel_hi:[0,1,0]
	;;#ASMSTART
	v_cvt_f32_f16 v25, v23;
	;;#ASMEND
	;;#ASMSTART
	v_cvt_f32_f16 v56, v20;
	;;#ASMEND
	s_delay_alu instid0(VALU_DEP_1)
	v_and_b32_e32 v21, 0xffff, v21
	;;#ASMSTART
	v_cvt_f32_f16 v57, v21;
	;;#ASMEND
	;;#ASMSTART
	v_cvt_f32_f16 v58, v22;
	;;#ASMEND
	ds_load_b32 v20, v13 offset:16
	v_or_b32_e32 v21, v27, v28
	v_fma_mixlo_f16 v22, v17, v27, 0 op_sel:[0,1,0] op_sel_hi:[0,1,0]
	s_delay_alu instid0(VALU_DEP_2) | instskip(NEXT) | instid1(VALU_DEP_2)
	v_fma_mixlo_f16 v21, v17, v21, 0 op_sel_hi:[0,1,0]
	v_and_b32_e32 v22, 0xffff, v22
	s_delay_alu instid0(VALU_DEP_2)
	v_and_b32_e32 v21, 0xffff, v21
	s_wait_dscnt 0x0
	v_and_b32_e32 v23, 0xffff, v20
	v_lshrrev_b32_e32 v20, 16, v20
	;;#ASMSTART
	v_cvt_f32_f16 v27, v23;
	;;#ASMEND
	;;#ASMSTART
	v_cvt_f32_f16 v28, v20;
	;;#ASMEND
	;;#ASMSTART
	v_cvt_f32_f16 v59, v21;
	;;#ASMEND
	;;#ASMSTART
	v_cvt_f32_f16 v60, v22;
	;;#ASMEND
	ds_load_b32 v20, v13 offset:20
	v_or_b32_e32 v21, v29, v30
	v_fma_mixlo_f16 v22, v17, v29, 0 op_sel:[0,1,0] op_sel_hi:[0,1,0]
	s_delay_alu instid0(VALU_DEP_2) | instskip(NEXT) | instid1(VALU_DEP_2)
	v_fma_mixlo_f16 v21, v17, v21, 0 op_sel_hi:[0,1,0]
	v_and_b32_e32 v22, 0xffff, v22
	s_delay_alu instid0(VALU_DEP_2)
	v_and_b32_e32 v21, 0xffff, v21
	s_wait_dscnt 0x0
	v_and_b32_e32 v23, 0xffff, v20
	v_lshrrev_b32_e32 v20, 16, v20
	;;#ASMSTART
	v_cvt_f32_f16 v29, v23;
	;;#ASMEND
	;;#ASMSTART
	v_cvt_f32_f16 v30, v20;
	;;#ASMEND
	;; [unrolled: 23-line block ×8, first 2 shown]
	;;#ASMSTART
	v_cvt_f32_f16 v73, v21;
	;;#ASMEND
	;;#ASMSTART
	v_cvt_f32_f16 v74, v22;
	;;#ASMEND
	ds_load_b32 v20, v13 offset:48
	v_dual_mul_f32 v21, v49, v50 :: v_dual_mul_f32 v22, v48, v51
	s_delay_alu instid0(VALU_DEP_1) | instskip(NEXT) | instid1(VALU_DEP_2)
	v_fmac_f32_e32 v21, v2, v19
	v_fmac_f32_e32 v22, v18, v47
	v_and_b32_e32 v18, 0xffff, v24
	s_delay_alu instid0(VALU_DEP_2) | instskip(NEXT) | instid1(VALU_DEP_1)
	v_dual_fmac_f32 v21, v52, v54 :: v_dual_fmac_f32 v22, v53, v55
	v_dual_fmac_f32 v21, v25, v57 :: v_dual_fmac_f32 v22, v56, v58
	s_wait_dscnt 0x0
	v_and_b32_e32 v19, 0xffff, v20
	s_delay_alu instid0(VALU_DEP_2) | instskip(SKIP_1) | instid1(VALU_DEP_2)
	v_dual_fmac_f32 v21, v27, v59 :: v_dual_lshrrev_b32 v20, 16, v20
	v_or_b32_e32 v23, v43, v44
	v_dual_fmac_f32 v22, v28, v60 :: v_dual_fmac_f32 v21, v29, v61
	s_delay_alu instid0(VALU_DEP_2)
	v_fma_mixlo_f16 v2, v17, v23, 0 op_sel_hi:[0,1,0]
	;;#ASMSTART
	v_cvt_f32_f16 v23, v19;
	;;#ASMEND
	;;#ASMSTART
	v_cvt_f32_f16 v20, v20;
	;;#ASMEND
	v_fma_mixlo_f16 v19, v17, v45, 0 op_sel:[0,1,0] op_sel_hi:[0,1,0]
	v_fmac_f32_e32 v21, v31, v63
	v_and_b32_e32 v2, 0xffff, v2
	;;#ASMSTART
	v_cvt_f32_f16 v24, v2;
	;;#ASMEND
	;;#ASMSTART
	v_cvt_f32_f16 v25, v18;
	;;#ASMEND
	ds_load_b32 v2, v13 offset:52
	v_or_b32_e32 v18, v45, v46
	v_dual_fmac_f32 v22, v30, v62 :: v_dual_fmac_f32 v21, v33, v65
	v_and_b32_e32 v19, 0xffff, v19
	s_delay_alu instid0(VALU_DEP_3) | instskip(NEXT) | instid1(VALU_DEP_3)
	v_fma_mixlo_f16 v18, v17, v18, 0 op_sel_hi:[0,1,0]
	v_dual_fmac_f32 v22, v32, v64 :: v_dual_fmac_f32 v21, v35, v67
	s_delay_alu instid0(VALU_DEP_2) | instskip(NEXT) | instid1(VALU_DEP_2)
	v_and_b32_e32 v18, 0xffff, v18
	v_fmac_f32_e32 v22, v34, v66
	s_delay_alu instid0(VALU_DEP_1)
	v_dual_fmac_f32 v22, v36, v68 :: v_dual_fmac_f32 v21, v37, v69
	s_wait_dscnt 0x0
	v_and_b32_e32 v27, 0xffff, v2
	v_lshrrev_b32_e32 v2, 16, v2
	;;#ASMSTART
	v_cvt_f32_f16 v27, v27;
	;;#ASMEND
	;;#ASMSTART
	v_cvt_f32_f16 v28, v2;
	;;#ASMEND
	;; [unrolled: 3-line block ×4, first 2 shown]
	ds_load_b32 v2, v13 offset:56
	v_dual_fmac_f32 v22, v38, v70 :: v_dual_bitop2_b32 v9, v8, v9 bitop3:0x54
	v_dual_fmac_f32 v21, v39, v71 :: v_dual_bitop2_b32 v18, 2, v10 bitop3:0x14
	v_fma_mixlo_f16 v8, v17, v8, 0 op_sel:[0,1,0] op_sel_hi:[0,1,0]
	s_delay_alu instid0(VALU_DEP_3) | instskip(NEXT) | instid1(VALU_DEP_4)
	v_fmac_f32_e32 v22, v40, v72
	v_fma_mixlo_f16 v9, v17, v9, 0 op_sel_hi:[0,1,0]
	s_delay_alu instid0(VALU_DEP_4) | instskip(SKIP_4) | instid1(VALU_DEP_4)
	v_fmac_f32_e32 v21, v41, v73
	v_cmp_gt_i32_e64 s4, 32, v18
	v_and_b32_e32 v17, 0xffff, v8
	v_fmac_f32_e32 v22, v42, v74
	v_and_b32_e32 v9, 0xffff, v9
	v_dual_fmac_f32 v21, v23, v24 :: v_dual_cndmask_b32 v8, v10, v18, s4
	s_delay_alu instid0(VALU_DEP_3) | instskip(SKIP_2) | instid1(VALU_DEP_3)
	v_fmac_f32_e32 v22, v20, v25
	s_wait_dscnt 0x0
	v_and_b32_e32 v18, 0xffff, v2
	v_dual_fmac_f32 v21, v27, v29 :: v_dual_lshrrev_b32 v2, 16, v2
	s_delay_alu instid0(VALU_DEP_3)
	v_fmac_f32_e32 v22, v28, v19
	;;#ASMSTART
	v_cvt_f32_f16 v18, v18;
	;;#ASMEND
	;;#ASMSTART
	v_cvt_f32_f16 v2, v2;
	;;#ASMEND
	;; [unrolled: 3-line block ×4, first 2 shown]
	v_fmac_f32_e32 v21, v18, v9
	v_dual_fmac_f32 v22, v2, v17 :: v_dual_bitop2_b32 v9, 1, v10 bitop3:0x14
	v_lshlrev_b32_e32 v2, 2, v8
	s_delay_alu instid0(VALU_DEP_2) | instskip(NEXT) | instid1(VALU_DEP_1)
	v_cmp_gt_i32_e64 s4, 32, v9
	v_dual_add_f32 v8, v21, v22 :: v_dual_cndmask_b32 v9, v10, v9, s4
	ds_bpermute_b32 v2, v2, v8
	s_wait_dscnt 0x0
	v_dual_add_f32 v2, v8, v2 :: v_dual_lshlrev_b32 v8, 2, v9
	ds_bpermute_b32 v8, v8, v2
	s_and_saveexec_b32 s28, vcc_lo
	s_cbranch_execz .LBB248_8
; %bb.250:                              ;   in Loop: Header=BB248_9 Depth=1
	s_wait_dscnt 0x0
	v_dual_add_f32 v2, v2, v8 :: v_dual_add_nc_u32 v9, s27, v14
	v_cmp_gt_i32_e64 s4, s23, v14
	s_delay_alu instid0(VALU_DEP_2) | instskip(NEXT) | instid1(VALU_DEP_1)
	v_cvt_f32_i32_e32 v9, v9
	v_mul_f32_e32 v9, s25, v9
	s_delay_alu instid0(VALU_DEP_1) | instskip(NEXT) | instid1(VALU_DEP_1)
	v_dual_cndmask_b32 v8, 0, v9, s3 :: v_dual_max_num_f32 v9, v12, v12
	v_fmac_f32_e32 v8, s7, v2
	s_delay_alu instid0(VALU_DEP_1) | instskip(NEXT) | instid1(VALU_DEP_1)
	v_dual_max_num_f32 v2, v9, v8 :: v_dual_cndmask_b32 v8, 0, v8, s4
	v_cndmask_b32_e64 v12, v12, v2, s4
	ds_store_b32 v15, v8
	s_branch .LBB248_8
.LBB248_251:
	s_or_b32 exec_lo, exec_lo, s6
.LBB248_252:
	s_delay_alu instid0(SALU_CYCLE_1)
	s_or_b32 exec_lo, exec_lo, s26
	v_dual_max_num_f32 v6, v12, v12 :: v_dual_bitop2_b32 v2, 16, v10 bitop3:0x14
	v_xor_b32_e32 v5, 8, v10
	s_load_b64 s[6:7], s[0:1], 0x0
	s_wait_kmcnt 0x0
	s_load_b64 s[8:9], s[0:1], 0x18
	v_and_b32_e32 v27, 31, v0
	v_cmp_lt_i32_e32 vcc_lo, v2, v11
	v_cndmask_b32_e32 v2, v10, v2, vcc_lo
	v_cmp_lt_i32_e32 vcc_lo, v5, v11
	s_delay_alu instid0(VALU_DEP_2) | instskip(SKIP_3) | instid1(VALU_DEP_1)
	v_dual_cndmask_b32 v5, v10, v5 :: v_dual_lshlrev_b32 v2, 2, v2
	ds_bpermute_b32 v4, v2, v12
	s_wait_dscnt 0x0
	v_dual_max_num_f32 v7, v4, v4 :: v_dual_lshlrev_b32 v4, 2, v5
	v_dual_max_num_f32 v5, v6, v7 :: v_dual_bitop2_b32 v7, 4, v10 bitop3:0x14
	ds_bpermute_b32 v6, v4, v5
	v_cmp_lt_i32_e32 vcc_lo, v7, v11
	v_cndmask_b32_e32 v7, v10, v7, vcc_lo
	v_cmp_eq_u32_e32 vcc_lo, 0, v27
	s_wait_dscnt 0x0
	s_delay_alu instid0(VALU_DEP_2) | instskip(NEXT) | instid1(VALU_DEP_1)
	v_dual_max_num_f32 v6, v6, v6 :: v_dual_lshlrev_b32 v7, 2, v7
	v_max_num_f32_e32 v6, v5, v6
	v_lshlrev_b32_e32 v5, 2, v26
	ds_bpermute_b32 v8, v7, v6
	s_wait_xcnt 0x0
	s_and_saveexec_b32 s0, vcc_lo
	s_cbranch_execz .LBB248_254
; %bb.253:
	s_wait_dscnt 0x0
	v_dual_max_num_f32 v8, v8, v8 :: v_dual_max_num_f32 v6, v6, v6
	s_delay_alu instid0(VALU_DEP_1)
	v_max_num_f32_e32 v6, v6, v8
	ds_store_b32 v5, v6 offset:240
.LBB248_254:
	s_or_b32 exec_lo, exec_lo, s0
	v_cmp_gt_u32_e64 s0, 4, v27
	v_dual_mov_b32 v9, 0xff7fffff :: v_dual_lshlrev_b32 v6, 2, v27
	s_wait_dscnt 0x0
	s_barrier_signal -1
	s_barrier_wait -1
	s_and_saveexec_b32 s1, s0
; %bb.255:
	ds_load_b32 v9, v6 offset:240
; %bb.256:
	s_or_b32 exec_lo, exec_lo, s1
	s_wait_dscnt 0x0
	v_dual_max_num_f32 v14, v9, v9 :: v_dual_bitop2_b32 v8, 2, v10 bitop3:0x14
	v_lshl_add_u32 v28, v0, 2, 0x110
	v_dual_lshlrev_b32 v3, 2, v3 :: v_dual_bitop2_b32 v13, 1, v10 bitop3:0x14
	s_delay_alu instid0(VALU_DEP_3) | instskip(NEXT) | instid1(VALU_DEP_1)
	v_cmp_lt_i32_e64 s1, v8, v11
	v_cndmask_b32_e64 v8, v10, v8, s1
	s_delay_alu instid0(VALU_DEP_3) | instskip(NEXT) | instid1(VALU_DEP_2)
	v_cmp_lt_i32_e64 s1, v13, v11
	v_lshlrev_b32_e32 v8, 2, v8
	ds_bpermute_b32 v12, v8, v9
	v_cndmask_b32_e64 v9, v10, v13, s1
	s_lshl_b32 s1, s24, 3
	s_delay_alu instid0(SALU_CYCLE_1) | instskip(NEXT) | instid1(VALU_DEP_1)
	s_min_i32 s4, s1, s23
	v_lshlrev_b32_e32 v9, 2, v9
	v_cmp_gt_i32_e64 s1, s4, v0
	s_wait_dscnt 0x0
	v_max_num_f32_e32 v11, v12, v12
	s_delay_alu instid0(VALU_DEP_1) | instskip(SKIP_3) | instid1(VALU_DEP_1)
	v_max_num_f32_e32 v11, v14, v11
	ds_bpermute_b32 v12, v9, v11
	s_wait_dscnt 0x0
	v_max_num_f32_e32 v12, v12, v12
	v_max_num_f32_e32 v11, v11, v12
	ds_bpermute_b32 v11, v3, v11
	v_mov_b32_e32 v3, 0
	s_and_saveexec_b32 s19, s1
	s_cbranch_execz .LBB248_260
; %bb.257:
	v_lshl_add_u32 v12, v0, 2, 0x110
	v_dual_mov_b32 v3, 0 :: v_dual_mov_b32 v13, v0
	s_mov_b32 s25, 0
.LBB248_258:                            ; =>This Inner Loop Header: Depth=1
	ds_load_b32 v14, v12
	v_add_nc_u32_e32 v13, 0x80, v13
	s_delay_alu instid0(VALU_DEP_1) | instskip(SKIP_3) | instid1(VALU_DEP_1)
	v_cmp_le_i32_e64 s3, s4, v13
	s_or_b32 s25, s3, s25
	s_wait_dscnt 0x0
	v_sub_f32_e32 v14, v14, v11
	v_mul_f32_e32 v14, 0x3fb8aa3b, v14
	s_delay_alu instid0(VALU_DEP_1)
	v_exp_f32_e32 v14, v14
	ds_store_b32 v12, v14
	v_nop
	v_dual_add_f32 v3, v3, v14 :: v_dual_add_nc_u32 v12, 0x200, v12
	s_and_not1_b32 exec_lo, exec_lo, s25
	s_cbranch_execnz .LBB248_258
; %bb.259:
	s_or_b32 exec_lo, exec_lo, s25
.LBB248_260:
	s_delay_alu instid0(SALU_CYCLE_1)
	s_or_b32 exec_lo, exec_lo, s19
	ds_bpermute_b32 v2, v2, v3
	s_wait_dscnt 0x0
	v_add_f32_e32 v2, v3, v2
	ds_bpermute_b32 v3, v4, v2
	s_wait_dscnt 0x0
	v_add_f32_e32 v2, v2, v3
	;; [unrolled: 3-line block ×5, first 2 shown]
	s_and_saveexec_b32 s3, vcc_lo
; %bb.261:
	ds_store_b32 v5, v2 offset:256
; %bb.262:
	s_or_b32 exec_lo, exec_lo, s3
	s_wait_dscnt 0x0
	s_barrier_signal -1
	s_barrier_wait -1
	s_and_saveexec_b32 s3, s0
; %bb.263:
	ds_load_b32 v2, v6 offset:256
; %bb.264:
	s_or_b32 exec_lo, exec_lo, s3
	s_wait_dscnt 0x0
	ds_bpermute_b32 v3, v8, v2
	s_wait_dscnt 0x0
	v_dual_lshlrev_b32 v4, 2, v10 :: v_dual_add_f32 v2, v2, v3
	ds_bpermute_b32 v3, v9, v2
	s_wait_dscnt 0x0
	v_add_f32_e32 v2, v2, v3
	v_and_b32_e32 v3, 0xffffff80, v4
	ds_bpermute_b32 v2, v3, v2
	s_and_saveexec_b32 s0, s1
	s_cbranch_execz .LBB248_277
; %bb.265:
	s_wait_dscnt 0x0
	v_add_f32_e32 v2, 0x358637bd, v2
	s_mov_b32 s3, -1
	s_mov_b32 s1, exec_lo
	s_delay_alu instid0(VALU_DEP_1) | instskip(NEXT) | instid1(VALU_DEP_1)
	v_div_scale_f32 v3, null, v2, v2, 1.0
	v_rcp_f32_e32 v5, v3
	v_nop
	s_delay_alu instid0(TRANS32_DEP_1) | instskip(NEXT) | instid1(VALU_DEP_1)
	v_fma_f32 v4, -v3, v5, 1.0
	v_fmac_f32_e32 v5, v4, v5
	v_div_scale_f32 v6, vcc_lo, 1.0, v2, 1.0
	s_delay_alu instid0(VALU_DEP_1) | instskip(NEXT) | instid1(VALU_DEP_1)
	v_mul_f32_e32 v7, v6, v5
	v_fma_f32 v4, -v3, v7, v6
	s_delay_alu instid0(VALU_DEP_1) | instskip(SKIP_1) | instid1(VALU_DEP_2)
	v_fmac_f32_e32 v7, v4, v5
	v_xad_u32 v4, v0, -1, s4
	v_fma_f32 v3, -v3, v7, v6
	s_delay_alu instid0(VALU_DEP_1) | instskip(NEXT) | instid1(VALU_DEP_1)
	v_div_fmas_f32 v3, v3, v5, v7
	v_div_fixup_f32 v2, v3, v2, 1.0
	v_mov_b32_e32 v3, v0
	v_cmpx_lt_u32_e32 0x7f, v4
	s_cbranch_execz .LBB248_274
; %bb.266:
	s_delay_alu instid0(VALU_DEP_3) | instskip(NEXT) | instid1(VALU_DEP_1)
	v_dual_mov_b32 v3, v2 :: v_dual_lshrrev_b32 v4, 7, v4
	v_dual_mov_b32 v8, 0 :: v_dual_add_nc_u32 v5, -1, v4
	s_delay_alu instid0(VALU_DEP_1) | instskip(SKIP_1) | instid1(VALU_DEP_2)
	v_lshrrev_b32_e32 v6, 1, v5
	v_cmp_lt_u32_e32 vcc_lo, 13, v5
	v_add_nc_u32_e32 v5, 1, v6
	s_and_saveexec_b32 s3, vcc_lo
	s_cbranch_execz .LBB248_270
; %bb.267:
	s_delay_alu instid0(VALU_DEP_1)
	v_dual_mov_b32 v7, v28 :: v_dual_bitop2_b32 v6, -8, v5 bitop3:0x40
	s_mov_b32 s19, 0
	s_mov_b32 s25, 0
.LBB248_268:                            ; =>This Inner Loop Header: Depth=1
	ds_load_2addr_stride64_b32 v[8:9], v7 offset1:2
	ds_load_2addr_stride64_b32 v[10:11], v7 offset0:4 offset1:6
	ds_load_2addr_stride64_b32 v[12:13], v7 offset0:8 offset1:10
	;; [unrolled: 1-line block ×7, first 2 shown]
	s_add_co_i32 s25, s25, 16
	v_add_nc_u32_e32 v6, -8, v6
	s_wait_dscnt 0x7
	v_pk_mul_f32 v[8:9], v[2:3], v[8:9]
	s_wait_dscnt 0x6
	v_pk_mul_f32 v[10:11], v[2:3], v[10:11]
	;; [unrolled: 2-line block ×8, first 2 shown]
	ds_store_2addr_stride64_b32 v7, v8, v9 offset1:2
	ds_store_2addr_stride64_b32 v7, v10, v11 offset0:4 offset1:6
	ds_store_2addr_stride64_b32 v7, v12, v13 offset0:8 offset1:10
	;; [unrolled: 1-line block ×7, first 2 shown]
	v_mov_b32_e32 v8, s25
	v_cmp_eq_u32_e32 vcc_lo, 0, v6
	v_add_nc_u32_e32 v7, 0x2000, v7
	s_or_b32 s19, vcc_lo, s19
	s_delay_alu instid0(SALU_CYCLE_1)
	s_and_not1_b32 exec_lo, exec_lo, s19
	s_cbranch_execnz .LBB248_268
; %bb.269:
	s_or_b32 exec_lo, exec_lo, s19
.LBB248_270:
	s_delay_alu instid0(SALU_CYCLE_1) | instskip(NEXT) | instid1(VALU_DEP_1)
	s_or_b32 exec_lo, exec_lo, s3
	v_and_b32_e32 v5, 7, v5
	s_mov_b32 s19, 0
	s_mov_b32 s3, exec_lo
	s_delay_alu instid0(VALU_DEP_1)
	v_cmpx_ne_u32_e32 0, v5
	s_cbranch_execz .LBB248_273
; %bb.271:
	v_lshlrev_b32_e32 v6, 9, v8
	v_lshlrev_b32_e32 v7, 2, v0
	s_delay_alu instid0(VALU_DEP_1)
	v_add3_u32 v6, v6, v7, 0x110
.LBB248_272:                            ; =>This Inner Loop Header: Depth=1
	ds_load_2addr_stride64_b32 v[8:9], v6 offset1:2
	v_add_nc_u32_e32 v5, -1, v5
	s_delay_alu instid0(VALU_DEP_1)
	v_cmp_eq_u32_e32 vcc_lo, 0, v5
	s_or_b32 s19, vcc_lo, s19
	s_wait_dscnt 0x0
	v_pk_mul_f32 v[8:9], v[2:3], v[8:9]
	ds_store_2addr_stride64_b32 v6, v8, v9 offset1:2
	v_add_nc_u32_e32 v6, 0x400, v6
	s_and_not1_b32 exec_lo, exec_lo, s19
	s_cbranch_execnz .LBB248_272
.LBB248_273:
	s_or_b32 exec_lo, exec_lo, s3
	v_add_nc_u32_e32 v3, 1, v4
	s_delay_alu instid0(VALU_DEP_1) | instskip(NEXT) | instid1(VALU_DEP_1)
	v_and_b32_e32 v4, 0x3fffffe, v3
	v_cmp_ne_u32_e32 vcc_lo, v3, v4
	v_lshl_add_u32 v3, v4, 7, v0
	s_or_not1_b32 s3, vcc_lo, exec_lo
.LBB248_274:
	s_or_b32 exec_lo, exec_lo, s1
	s_delay_alu instid0(SALU_CYCLE_1)
	s_and_b32 exec_lo, exec_lo, s3
	s_cbranch_execz .LBB248_277
; %bb.275:
	v_lshl_add_u32 v4, v3, 2, 0x110
	s_mov_b32 s1, 0
.LBB248_276:                            ; =>This Inner Loop Header: Depth=1
	ds_load_b32 v5, v4
	v_add_nc_u32_e32 v3, 0x80, v3
	s_delay_alu instid0(VALU_DEP_1)
	v_cmp_le_i32_e32 vcc_lo, s4, v3
	s_or_b32 s1, vcc_lo, s1
	s_wait_dscnt 0x0
	v_mul_f32_e32 v5, v2, v5
	ds_store_b32 v4, v5
	v_add_nc_u32_e32 v4, 0x200, v4
	s_and_not1_b32 exec_lo, exec_lo, s1
	s_cbranch_execnz .LBB248_276
.LBB248_277:
	s_or_b32 exec_lo, exec_lo, s0
	s_wait_dscnt 0x0
	v_mov_b64_e32 v[2:3], 0
	v_dual_mov_b32 v35, 0 :: v_dual_mov_b32 v34, 0
	s_barrier_signal -1
	s_barrier_wait -1
	s_and_saveexec_b32 s25, s2
	s_cbranch_execz .LBB248_547
; %bb.278:
	v_dual_mov_b32 v5, 0 :: v_dual_lshlrev_b32 v6, 3, v27
	v_and_b32_e32 v4, 0x7c, v1
	s_lshl_b64 s[0:1], s[14:15], 2
	v_or_b32_e32 v2, 0x60, v27
	s_add_nc_u64 s[0:1], s[16:17], s[0:1]
	v_mov_b32_e32 v7, v5
	v_add_nc_u64_e32 v[10:11], s[0:1], v[4:5]
	v_dual_mov_b32 v9, v5 :: v_dual_lshlrev_b32 v29, 3, v26
	v_cmp_gt_u32_e32 vcc_lo, 0x78, v2
	v_lshlrev_b32_e32 v8, 3, v2
	v_lshl_add_u32 v30, v26, 5, 0x110
	v_dual_mov_b32 v34, 0 :: v_dual_mov_b32 v35, 0
	v_dual_mov_b32 v3, 0 :: v_dual_mov_b32 v2, 0
	v_mov_b32_e32 v31, v26
	s_ashr_i32 s19, s18, 31
	s_mov_b32 s26, s5
	s_wait_kmcnt 0x0
	s_add_nc_u64 s[2:3], s[8:9], s[18:19]
	s_mov_b64 s[4:5], 0xffffffffffffff
	s_add_co_i32 s8, s24, -1
	s_mov_b32 s14, s23
	s_mov_b32 s9, 0
	s_branch .LBB248_281
.LBB248_279:                            ;   in Loop: Header=BB248_281 Depth=1
	s_or_b32 exec_lo, exec_lo, s1
	;;#ASMSTART
	v_pk_mul_f16 v1, v41, v21;

	;;#ASMEND
	;;#ASMSTART
	v_pk_mul_f16 v4, v40, v20;

	;;#ASMEND
	;;#ASMSTART
	v_pk_mul_f16 v12, v39, v19;

	;;#ASMEND
	;;#ASMSTART
	v_pk_mul_f16 v13, v38, v18;

	;;#ASMEND
	;;#ASMSTART
	v_pk_add_f16 v1, v1, v4;

	;;#ASMEND
	;;#ASMSTART
	v_pk_add_f16 v1, v1, v12;

	;;#ASMEND
	;; [unrolled: 4-line block ×3, first 2 shown]
	v_and_b32_e32 v4, 0xffff, v1
	v_lshrrev_b32_e32 v1, 16, v1
	;;#ASMSTART
	v_cvt_f32_f16 v4, v4;
	;;#ASMEND
	;;#ASMSTART
	v_cvt_f32_f16 v1, v1;
	;;#ASMEND
	s_delay_alu instid0(VALU_DEP_1) | instskip(NEXT) | instid1(VALU_DEP_1)
	v_add_f32_e32 v1, v4, v1
	v_add_f32_e32 v34, v34, v1
.LBB248_280:                            ;   in Loop: Header=BB248_281 Depth=1
	s_or_b32 exec_lo, exec_lo, s15
	v_dual_add_f32 v1, v24, v25 :: v_dual_add_nc_u32 v31, 4, v31
	v_add_f32_e32 v12, v36, v37
	v_add_f32_e32 v4, v32, v33
	v_add_nc_u64_e32 v[10:11], 16, v[10:11]
	s_delay_alu instid0(VALU_DEP_4) | instskip(SKIP_4) | instid1(SALU_CYCLE_1)
	v_dual_add_f32 v35, v35, v1 :: v_dual_add_nc_u32 v30, 0x80, v30
	v_cmp_le_i32_e64 s0, s24, v31
	v_add_f32_e32 v2, v2, v12
	v_dual_add_f32 v3, v3, v4 :: v_dual_add_nc_u32 v29, 32, v29
	s_or_b32 s9, s0, s9
	s_and_not1_b32 exec_lo, exec_lo, s9
	s_cbranch_execz .LBB248_546
.LBB248_281:                            ; =>This Inner Loop Header: Depth=1
	global_load_b32 v1, v[10:11], off
	ds_load_2addr_b64 v[14:17], v30 offset1:1
	ds_load_2addr_b64 v[18:21], v30 offset0:2 offset1:3
	s_mov_b32 s1, exec_lo
	s_wait_dscnt 0x1
	;;#ASMSTART
	v_cvt_f16_f32 v39, v14;

	;;#ASMEND
	;;#ASMSTART
	v_cvt_f16_f32 v36, v15;

	;;#ASMEND
	;; [unrolled: 4-line block ×4, first 2 shown]
	s_wait_dscnt 0x0
	;;#ASMSTART
	v_cvt_f16_f32 v41, v18;

	;;#ASMEND
	;;#ASMSTART
	v_cvt_f16_f32 v38, v19;

	;;#ASMEND
	;; [unrolled: 4-line block ×4, first 2 shown]
	s_wait_loadcnt 0x0
	v_mad_nc_i64_i32 v[12:13], v1, s26, s[2:3]
	v_mov_b32_e32 v1, 0
	s_delay_alu instid0(VALU_DEP_2)
	v_add_nc_u64_e32 v[14:15], v[12:13], v[6:7]
	global_load_b64 v[18:19], v[14:15], off
	global_load_b32 v16, v5, s[10:11]
	s_wait_loadcnt 0x1
	v_and_b32_e32 v4, 0xff, v18
	s_wait_xcnt 0x0
	s_delay_alu instid0(VALU_DEP_1)
	v_cmpx_ne_u16_e32 0, v4
	s_cbranch_execz .LBB248_289
; %bb.282:                              ;   in Loop: Header=BB248_281 Depth=1
	v_mov_b32_e32 v1, 0x8000
	s_mov_b32 s15, exec_lo
	v_cmpx_ne_u16_e32 0x80, v4
	s_cbranch_execz .LBB248_288
; %bb.283:                              ;   in Loop: Header=BB248_281 Depth=1
	v_and_b32_e32 v17, 0x7f, v18
	v_mov_b32_e32 v1, 0x7c01
	s_mov_b32 s16, exec_lo
	s_delay_alu instid0(VALU_DEP_2)
	v_cmpx_ne_u32_e32 0x7f, v17
	s_cbranch_execz .LBB248_287
; %bb.284:                              ;   in Loop: Header=BB248_281 Depth=1
	v_dual_lshrrev_b32 v4, 3, v17 :: v_dual_bitop2_b32 v1, 7, v18 bitop3:0x40
	s_mov_b32 s17, exec_lo
	v_cmpx_gt_u32_e32 8, v17
; %bb.285:                              ;   in Loop: Header=BB248_281 Depth=1
	s_delay_alu instid0(VALU_DEP_2) | instskip(NEXT) | instid1(VALU_DEP_1)
	v_clz_i32_u32_e32 v1, v1
	v_min_u32_e32 v1, 32, v1
	s_delay_alu instid0(VALU_DEP_1) | instskip(NEXT) | instid1(VALU_DEP_1)
	v_subrev_nc_u32_e32 v4, 28, v1
	v_lshlrev_b64_e32 v[20:21], v4, v[18:19]
	s_delay_alu instid0(VALU_DEP_1)
	v_dual_sub_nc_u32 v4, 29, v1 :: v_dual_bitop2_b32 v1, 7, v20 bitop3:0x40
; %bb.286:                              ;   in Loop: Header=BB248_281 Depth=1
	s_or_b32 exec_lo, exec_lo, s17
	s_delay_alu instid0(VALU_DEP_1) | instskip(NEXT) | instid1(VALU_DEP_2)
	v_dual_lshlrev_b32 v17, 8, v18 :: v_dual_lshlrev_b32 v1, 7, v1
	v_lshl_add_u32 v4, v4, 10, 0x2000
	s_delay_alu instid0(VALU_DEP_2) | instskip(NEXT) | instid1(VALU_DEP_2)
	v_and_b32_e32 v17, 0x8000, v17
	v_and_b32_e32 v4, 0xfc00, v4
	s_delay_alu instid0(VALU_DEP_1)
	v_or3_b32 v1, v17, v4, v1
.LBB248_287:                            ;   in Loop: Header=BB248_281 Depth=1
	s_or_b32 exec_lo, exec_lo, s16
.LBB248_288:                            ;   in Loop: Header=BB248_281 Depth=1
	s_delay_alu instid0(SALU_CYCLE_1)
	s_or_b32 exec_lo, exec_lo, s15
.LBB248_289:                            ;   in Loop: Header=BB248_281 Depth=1
	s_delay_alu instid0(SALU_CYCLE_1) | instskip(SKIP_3) | instid1(VALU_DEP_2)
	s_or_b32 exec_lo, exec_lo, s1
	v_lshrrev_b16 v4, 8, v18
	v_dual_mov_b32 v17, 0 :: v_dual_mov_b32 v20, 0
	s_mov_b32 s1, exec_lo
	v_cmpx_ne_u16_e32 0, v4
	s_cbranch_execz .LBB248_297
; %bb.290:                              ;   in Loop: Header=BB248_281 Depth=1
	v_bfrev_b32_e32 v20, 1
	s_mov_b32 s15, exec_lo
	v_cmpx_ne_u16_e32 0x80, v4
	s_cbranch_execz .LBB248_296
; %bb.291:                              ;   in Loop: Header=BB248_281 Depth=1
	v_and_b32_e32 v21, 0xffff, v4
	v_mov_b32_e32 v20, 0x7c010000
	s_mov_b32 s16, exec_lo
	s_delay_alu instid0(VALU_DEP_2) | instskip(NEXT) | instid1(VALU_DEP_1)
	v_and_b32_e32 v23, 0x7f, v21
	v_cmpx_ne_u32_e32 0x7f, v23
	s_cbranch_execz .LBB248_295
; %bb.292:                              ;   in Loop: Header=BB248_281 Depth=1
	v_dual_lshrrev_b32 v22, 3, v23 :: v_dual_bitop2_b32 v20, 7, v21 bitop3:0x40
	s_mov_b32 s17, exec_lo
	v_cmpx_gt_u32_e32 8, v23
; %bb.293:                              ;   in Loop: Header=BB248_281 Depth=1
	s_delay_alu instid0(VALU_DEP_2) | instskip(NEXT) | instid1(VALU_DEP_1)
	v_clz_i32_u32_e32 v20, v20
	v_min_u32_e32 v20, 32, v20
	s_delay_alu instid0(VALU_DEP_1) | instskip(NEXT) | instid1(VALU_DEP_1)
	v_subrev_nc_u32_e32 v22, 28, v20
	v_lshlrev_b64_e32 v[24:25], v22, v[4:5]
	v_sub_nc_u32_e32 v22, 29, v20
	s_delay_alu instid0(VALU_DEP_2)
	v_and_b32_e32 v20, 7, v24
; %bb.294:                              ;   in Loop: Header=BB248_281 Depth=1
	s_or_b32 exec_lo, exec_lo, s17
	s_delay_alu instid0(VALU_DEP_1) | instskip(NEXT) | instid1(VALU_DEP_3)
	v_dual_lshlrev_b32 v4, 8, v21 :: v_dual_lshlrev_b32 v20, 23, v20
	v_lshl_add_u32 v21, v22, 10, 0x2000
	s_delay_alu instid0(VALU_DEP_1) | instskip(NEXT) | instid1(VALU_DEP_1)
	v_and_or_b32 v4, 0x8000, v4, v21
	v_lshl_or_b32 v20, v4, 16, v20
.LBB248_295:                            ;   in Loop: Header=BB248_281 Depth=1
	s_or_b32 exec_lo, exec_lo, s16
.LBB248_296:                            ;   in Loop: Header=BB248_281 Depth=1
	s_delay_alu instid0(SALU_CYCLE_1)
	s_or_b32 exec_lo, exec_lo, s15
.LBB248_297:                            ;   in Loop: Header=BB248_281 Depth=1
	s_delay_alu instid0(SALU_CYCLE_1) | instskip(SKIP_2) | instid1(VALU_DEP_1)
	s_or_b32 exec_lo, exec_lo, s1
	v_lshrrev_b32_e32 v4, 16, v18
	s_mov_b32 s1, exec_lo
	v_and_b32_e32 v21, 0xff, v4
	s_delay_alu instid0(VALU_DEP_1)
	v_cmpx_ne_u16_e32 0, v21
	s_cbranch_execz .LBB248_305
; %bb.298:                              ;   in Loop: Header=BB248_281 Depth=1
	v_mov_b32_e32 v17, 0x8000
	s_mov_b32 s15, exec_lo
	v_cmpx_ne_u16_e32 0x80, v21
	s_cbranch_execz .LBB248_304
; %bb.299:                              ;   in Loop: Header=BB248_281 Depth=1
	v_bfe_u32 v22, v18, 16, 7
	v_mov_b32_e32 v17, 0x7c01
	s_mov_b32 s16, exec_lo
	s_delay_alu instid0(VALU_DEP_2)
	v_cmpx_ne_u32_e32 0x7f, v22
	s_cbranch_execz .LBB248_303
; %bb.300:                              ;   in Loop: Header=BB248_281 Depth=1
	v_dual_lshrrev_b32 v21, 3, v22 :: v_dual_bitop2_b32 v17, 7, v4 bitop3:0x40
	s_mov_b32 s17, exec_lo
	v_cmpx_gt_u32_e32 8, v22
; %bb.301:                              ;   in Loop: Header=BB248_281 Depth=1
	s_delay_alu instid0(VALU_DEP_2) | instskip(NEXT) | instid1(VALU_DEP_1)
	v_clz_i32_u32_e32 v17, v17
	v_min_u32_e32 v17, 32, v17
	s_delay_alu instid0(VALU_DEP_1) | instskip(NEXT) | instid1(VALU_DEP_1)
	v_subrev_nc_u32_e32 v21, 28, v17
	v_lshlrev_b64_e32 v[22:23], v21, v[4:5]
	s_delay_alu instid0(VALU_DEP_1)
	v_dual_sub_nc_u32 v21, 29, v17 :: v_dual_bitop2_b32 v17, 7, v22 bitop3:0x40
; %bb.302:                              ;   in Loop: Header=BB248_281 Depth=1
	s_or_b32 exec_lo, exec_lo, s17
	s_delay_alu instid0(VALU_DEP_1) | instskip(NEXT) | instid1(VALU_DEP_2)
	v_dual_lshlrev_b32 v4, 8, v4 :: v_dual_lshlrev_b32 v17, 7, v17
	v_lshl_add_u32 v21, v21, 10, 0x2000
	s_delay_alu instid0(VALU_DEP_2) | instskip(NEXT) | instid1(VALU_DEP_2)
	v_and_b32_e32 v4, 0x8000, v4
	v_and_b32_e32 v21, 0xfc00, v21
	s_delay_alu instid0(VALU_DEP_1)
	v_or3_b32 v17, v4, v21, v17
.LBB248_303:                            ;   in Loop: Header=BB248_281 Depth=1
	s_or_b32 exec_lo, exec_lo, s16
.LBB248_304:                            ;   in Loop: Header=BB248_281 Depth=1
	s_delay_alu instid0(SALU_CYCLE_1)
	s_or_b32 exec_lo, exec_lo, s15
.LBB248_305:                            ;   in Loop: Header=BB248_281 Depth=1
	s_delay_alu instid0(SALU_CYCLE_1)
	s_or_b32 exec_lo, exec_lo, s1
	v_dual_mov_b32 v21, 0 :: v_dual_mov_b32 v22, 0
	s_mov_b32 s1, exec_lo
	v_cmpx_lt_u32_e32 0xffffff, v18
	s_cbranch_execz .LBB248_313
; %bb.306:                              ;   in Loop: Header=BB248_281 Depth=1
	v_lshrrev_b32_e32 v4, 24, v18
	v_bfrev_b32_e32 v22, 1
	s_mov_b32 s15, exec_lo
	s_delay_alu instid0(VALU_DEP_2)
	v_cmpx_ne_u32_e32 0x80, v4
	s_cbranch_execz .LBB248_312
; %bb.307:                              ;   in Loop: Header=BB248_281 Depth=1
	v_and_b32_e32 v24, 0x7f, v4
	v_mov_b32_e32 v22, 0x7c010000
	s_mov_b32 s16, exec_lo
	s_delay_alu instid0(VALU_DEP_2)
	v_cmpx_ne_u32_e32 0x7f, v24
	s_cbranch_execz .LBB248_311
; %bb.308:                              ;   in Loop: Header=BB248_281 Depth=1
	v_and_b32_e32 v22, 7, v4
	v_lshrrev_b32_e32 v23, 3, v24
	s_mov_b32 s17, exec_lo
	v_cmpx_gt_u32_e32 8, v24
; %bb.309:                              ;   in Loop: Header=BB248_281 Depth=1
	s_delay_alu instid0(VALU_DEP_3) | instskip(NEXT) | instid1(VALU_DEP_1)
	v_clz_i32_u32_e32 v22, v22
	v_min_u32_e32 v24, 32, v22
	s_delay_alu instid0(VALU_DEP_1) | instskip(NEXT) | instid1(VALU_DEP_1)
	v_subrev_nc_u32_e32 v22, 28, v24
	v_lshlrev_b64_e32 v[22:23], v22, v[4:5]
	s_delay_alu instid0(VALU_DEP_1)
	v_dual_sub_nc_u32 v23, 29, v24 :: v_dual_bitop2_b32 v22, 7, v22 bitop3:0x40
; %bb.310:                              ;   in Loop: Header=BB248_281 Depth=1
	s_or_b32 exec_lo, exec_lo, s17
	s_delay_alu instid0(VALU_DEP_1) | instskip(NEXT) | instid1(VALU_DEP_2)
	v_dual_lshlrev_b32 v4, 8, v4 :: v_dual_lshlrev_b32 v22, 23, v22
	v_lshl_add_u32 v23, v23, 10, 0x2000
	s_delay_alu instid0(VALU_DEP_1) | instskip(NEXT) | instid1(VALU_DEP_1)
	v_and_or_b32 v4, 0x8000, v4, v23
	v_lshl_or_b32 v22, v4, 16, v22
.LBB248_311:                            ;   in Loop: Header=BB248_281 Depth=1
	s_or_b32 exec_lo, exec_lo, s16
.LBB248_312:                            ;   in Loop: Header=BB248_281 Depth=1
	s_delay_alu instid0(SALU_CYCLE_1)
	s_or_b32 exec_lo, exec_lo, s15
.LBB248_313:                            ;   in Loop: Header=BB248_281 Depth=1
	s_delay_alu instid0(SALU_CYCLE_1) | instskip(SKIP_3) | instid1(VALU_DEP_2)
	s_or_b32 exec_lo, exec_lo, s1
	v_and_b32_e32 v23, 0xff, v19
	v_mov_b32_e32 v4, v19
	s_mov_b32 s1, exec_lo
	v_cmpx_ne_u16_e32 0, v23
	s_cbranch_execz .LBB248_321
; %bb.314:                              ;   in Loop: Header=BB248_281 Depth=1
	v_mov_b32_e32 v21, 0x8000
	s_mov_b32 s15, exec_lo
	v_cmpx_ne_u16_e32 0x80, v23
	s_cbranch_execz .LBB248_320
; %bb.315:                              ;   in Loop: Header=BB248_281 Depth=1
	v_and_b32_e32 v24, 0x7f, v19
	v_mov_b32_e32 v21, 0x7c01
	s_mov_b32 s16, exec_lo
	s_delay_alu instid0(VALU_DEP_2)
	v_cmpx_ne_u32_e32 0x7f, v24
	s_cbranch_execz .LBB248_319
; %bb.316:                              ;   in Loop: Header=BB248_281 Depth=1
	v_dual_lshrrev_b32 v23, 3, v24 :: v_dual_bitop2_b32 v21, 7, v19 bitop3:0x40
	s_mov_b32 s17, exec_lo
	v_cmpx_gt_u32_e32 8, v24
; %bb.317:                              ;   in Loop: Header=BB248_281 Depth=1
	s_delay_alu instid0(VALU_DEP_2) | instskip(NEXT) | instid1(VALU_DEP_1)
	v_clz_i32_u32_e32 v21, v21
	v_min_u32_e32 v21, 32, v21
	s_delay_alu instid0(VALU_DEP_1) | instskip(NEXT) | instid1(VALU_DEP_1)
	v_subrev_nc_u32_e32 v23, 28, v21
	v_lshlrev_b64_e32 v[24:25], v23, v[4:5]
	s_delay_alu instid0(VALU_DEP_1)
	v_dual_sub_nc_u32 v23, 29, v21 :: v_dual_bitop2_b32 v21, 7, v24 bitop3:0x40
; %bb.318:                              ;   in Loop: Header=BB248_281 Depth=1
	s_or_b32 exec_lo, exec_lo, s17
	s_delay_alu instid0(VALU_DEP_1) | instskip(NEXT) | instid1(VALU_DEP_2)
	v_dual_lshlrev_b32 v24, 8, v19 :: v_dual_lshlrev_b32 v21, 7, v21
	v_lshl_add_u32 v23, v23, 10, 0x2000
	s_delay_alu instid0(VALU_DEP_2) | instskip(NEXT) | instid1(VALU_DEP_2)
	v_and_b32_e32 v24, 0x8000, v24
	v_and_b32_e32 v23, 0xfc00, v23
	s_delay_alu instid0(VALU_DEP_1)
	v_or3_b32 v21, v24, v23, v21
.LBB248_319:                            ;   in Loop: Header=BB248_281 Depth=1
	s_or_b32 exec_lo, exec_lo, s16
.LBB248_320:                            ;   in Loop: Header=BB248_281 Depth=1
	s_delay_alu instid0(SALU_CYCLE_1)
	s_or_b32 exec_lo, exec_lo, s15
.LBB248_321:                            ;   in Loop: Header=BB248_281 Depth=1
	s_delay_alu instid0(SALU_CYCLE_1) | instskip(SKIP_3) | instid1(VALU_DEP_2)
	s_or_b32 exec_lo, exec_lo, s1
	v_lshrrev_b16 v4, 8, v4
	v_dual_mov_b32 v24, 0 :: v_dual_mov_b32 v23, 0
	s_mov_b32 s1, exec_lo
	v_cmpx_ne_u16_e32 0, v4
	s_cbranch_execz .LBB248_329
; %bb.322:                              ;   in Loop: Header=BB248_281 Depth=1
	v_bfrev_b32_e32 v23, 1
	s_mov_b32 s15, exec_lo
	v_cmpx_ne_u16_e32 0x80, v4
	s_cbranch_execz .LBB248_328
; %bb.323:                              ;   in Loop: Header=BB248_281 Depth=1
	v_and_b32_e32 v25, 0xffff, v4
	v_mov_b32_e32 v23, 0x7c010000
	s_mov_b32 s16, exec_lo
	s_delay_alu instid0(VALU_DEP_2) | instskip(NEXT) | instid1(VALU_DEP_1)
	v_and_b32_e32 v33, 0x7f, v25
	v_cmpx_ne_u32_e32 0x7f, v33
	s_cbranch_execz .LBB248_327
; %bb.324:                              ;   in Loop: Header=BB248_281 Depth=1
	v_and_b32_e32 v23, 7, v25
	v_lshrrev_b32_e32 v32, 3, v33
	s_mov_b32 s17, exec_lo
	v_cmpx_gt_u32_e32 8, v33
; %bb.325:                              ;   in Loop: Header=BB248_281 Depth=1
	s_delay_alu instid0(VALU_DEP_3) | instskip(NEXT) | instid1(VALU_DEP_1)
	v_clz_i32_u32_e32 v23, v23
	v_min_u32_e32 v23, 32, v23
	s_delay_alu instid0(VALU_DEP_1) | instskip(NEXT) | instid1(VALU_DEP_1)
	v_subrev_nc_u32_e32 v32, 28, v23
	v_lshlrev_b64_e32 v[44:45], v32, v[4:5]
	s_delay_alu instid0(VALU_DEP_1)
	v_dual_sub_nc_u32 v32, 29, v23 :: v_dual_bitop2_b32 v23, 7, v44 bitop3:0x40
; %bb.326:                              ;   in Loop: Header=BB248_281 Depth=1
	s_or_b32 exec_lo, exec_lo, s17
	s_delay_alu instid0(VALU_DEP_1) | instskip(NEXT) | instid1(VALU_DEP_2)
	v_dual_lshlrev_b32 v4, 8, v25 :: v_dual_lshlrev_b32 v23, 23, v23
	v_lshl_add_u32 v25, v32, 10, 0x2000
	s_delay_alu instid0(VALU_DEP_1) | instskip(NEXT) | instid1(VALU_DEP_1)
	v_and_or_b32 v4, 0x8000, v4, v25
	v_lshl_or_b32 v23, v4, 16, v23
.LBB248_327:                            ;   in Loop: Header=BB248_281 Depth=1
	s_or_b32 exec_lo, exec_lo, s16
.LBB248_328:                            ;   in Loop: Header=BB248_281 Depth=1
	s_delay_alu instid0(SALU_CYCLE_1)
	s_or_b32 exec_lo, exec_lo, s15
.LBB248_329:                            ;   in Loop: Header=BB248_281 Depth=1
	s_delay_alu instid0(SALU_CYCLE_1) | instskip(SKIP_2) | instid1(VALU_DEP_1)
	s_or_b32 exec_lo, exec_lo, s1
	v_lshrrev_b32_e32 v4, 16, v19
	s_mov_b32 s1, exec_lo
	v_and_b32_e32 v25, 0xff, v4
	s_delay_alu instid0(VALU_DEP_1)
	v_cmpx_ne_u16_e32 0, v25
	s_cbranch_execz .LBB248_337
; %bb.330:                              ;   in Loop: Header=BB248_281 Depth=1
	v_mov_b32_e32 v24, 0x8000
	s_mov_b32 s15, exec_lo
	v_cmpx_ne_u16_e32 0x80, v25
	s_cbranch_execz .LBB248_336
; %bb.331:                              ;   in Loop: Header=BB248_281 Depth=1
	v_bfe_u32 v32, v19, 16, 7
	v_mov_b32_e32 v24, 0x7c01
	s_mov_b32 s16, exec_lo
	s_delay_alu instid0(VALU_DEP_2)
	v_cmpx_ne_u32_e32 0x7f, v32
	s_cbranch_execz .LBB248_335
; %bb.332:                              ;   in Loop: Header=BB248_281 Depth=1
	v_and_b32_e32 v24, 7, v4
	v_lshrrev_b32_e32 v25, 3, v32
	s_mov_b32 s17, exec_lo
	v_cmpx_gt_u32_e32 8, v32
; %bb.333:                              ;   in Loop: Header=BB248_281 Depth=1
	s_delay_alu instid0(VALU_DEP_3) | instskip(NEXT) | instid1(VALU_DEP_1)
	v_clz_i32_u32_e32 v24, v24
	v_min_u32_e32 v32, 32, v24
	s_delay_alu instid0(VALU_DEP_1) | instskip(NEXT) | instid1(VALU_DEP_1)
	v_subrev_nc_u32_e32 v24, 28, v32
	v_lshlrev_b64_e32 v[24:25], v24, v[4:5]
	v_sub_nc_u32_e32 v25, 29, v32
	s_delay_alu instid0(VALU_DEP_2)
	v_and_b32_e32 v24, 7, v24
; %bb.334:                              ;   in Loop: Header=BB248_281 Depth=1
	s_or_b32 exec_lo, exec_lo, s17
	v_lshlrev_b32_e32 v4, 8, v4
	s_delay_alu instid0(VALU_DEP_3) | instskip(NEXT) | instid1(VALU_DEP_3)
	v_lshl_add_u32 v25, v25, 10, 0x2000
	v_lshlrev_b32_e32 v24, 7, v24
	s_delay_alu instid0(VALU_DEP_3) | instskip(NEXT) | instid1(VALU_DEP_3)
	v_and_b32_e32 v4, 0x8000, v4
	v_and_b32_e32 v25, 0xfc00, v25
	s_delay_alu instid0(VALU_DEP_1)
	v_or3_b32 v24, v4, v25, v24
.LBB248_335:                            ;   in Loop: Header=BB248_281 Depth=1
	s_or_b32 exec_lo, exec_lo, s16
.LBB248_336:                            ;   in Loop: Header=BB248_281 Depth=1
	s_delay_alu instid0(SALU_CYCLE_1)
	s_or_b32 exec_lo, exec_lo, s15
.LBB248_337:                            ;   in Loop: Header=BB248_281 Depth=1
	s_delay_alu instid0(SALU_CYCLE_1)
	s_or_b32 exec_lo, exec_lo, s1
	v_cmp_lt_u64_e64 s0, s[4:5], v[18:19]
	v_mov_b32_e32 v18, 0
	s_and_saveexec_b32 s1, s0
	s_cbranch_execz .LBB248_345
; %bb.338:                              ;   in Loop: Header=BB248_281 Depth=1
	v_lshrrev_b32_e32 v4, 24, v19
	v_bfrev_b32_e32 v18, 1
	s_mov_b32 s15, exec_lo
	s_delay_alu instid0(VALU_DEP_2)
	v_cmpx_ne_u32_e32 0x80, v4
	s_cbranch_execz .LBB248_344
; %bb.339:                              ;   in Loop: Header=BB248_281 Depth=1
	v_and_b32_e32 v25, 0x7f, v4
	v_mov_b32_e32 v18, 0x7c010000
	s_mov_b32 s16, exec_lo
	s_delay_alu instid0(VALU_DEP_2)
	v_cmpx_ne_u32_e32 0x7f, v25
	s_cbranch_execz .LBB248_343
; %bb.340:                              ;   in Loop: Header=BB248_281 Depth=1
	v_dual_lshrrev_b32 v19, 3, v25 :: v_dual_bitop2_b32 v18, 7, v4 bitop3:0x40
	s_mov_b32 s17, exec_lo
	v_cmpx_gt_u32_e32 8, v25
; %bb.341:                              ;   in Loop: Header=BB248_281 Depth=1
	s_delay_alu instid0(VALU_DEP_2) | instskip(NEXT) | instid1(VALU_DEP_1)
	v_clz_i32_u32_e32 v18, v18
	v_min_u32_e32 v25, 32, v18
	s_delay_alu instid0(VALU_DEP_1) | instskip(NEXT) | instid1(VALU_DEP_1)
	v_subrev_nc_u32_e32 v18, 28, v25
	v_lshlrev_b64_e32 v[18:19], v18, v[4:5]
	s_delay_alu instid0(VALU_DEP_1)
	v_dual_sub_nc_u32 v19, 29, v25 :: v_dual_bitop2_b32 v18, 7, v18 bitop3:0x40
; %bb.342:                              ;   in Loop: Header=BB248_281 Depth=1
	s_or_b32 exec_lo, exec_lo, s17
	s_delay_alu instid0(VALU_DEP_1) | instskip(NEXT) | instid1(VALU_DEP_2)
	v_dual_lshlrev_b32 v4, 8, v4 :: v_dual_lshlrev_b32 v18, 23, v18
	v_lshl_add_u32 v19, v19, 10, 0x2000
	s_delay_alu instid0(VALU_DEP_1) | instskip(NEXT) | instid1(VALU_DEP_1)
	v_and_or_b32 v4, 0x8000, v4, v19
	v_lshl_or_b32 v18, v4, 16, v18
.LBB248_343:                            ;   in Loop: Header=BB248_281 Depth=1
	s_or_b32 exec_lo, exec_lo, s16
.LBB248_344:                            ;   in Loop: Header=BB248_281 Depth=1
	s_delay_alu instid0(SALU_CYCLE_1)
	s_or_b32 exec_lo, exec_lo, s15
.LBB248_345:                            ;   in Loop: Header=BB248_281 Depth=1
	s_delay_alu instid0(SALU_CYCLE_1) | instskip(SKIP_3) | instid1(VALU_DEP_3)
	s_or_b32 exec_lo, exec_lo, s1
	v_dual_lshrrev_b32 v4, 16, v20 :: v_dual_lshrrev_b32 v19, 16, v22
	v_dual_lshrrev_b32 v20, 16, v23 :: v_dual_bitop2_b32 v1, v20, v1 bitop3:0x54
	v_dual_lshrrev_b32 v22, 16, v18 :: v_dual_bitop2_b32 v17, v22, v17 bitop3:0x54
	v_cvt_f32_f16_e32 v33, v4
	s_delay_alu instid0(VALU_DEP_4) | instskip(SKIP_1) | instid1(VALU_DEP_4)
	v_cvt_f32_f16_e32 v32, v19
	v_or_b32_e32 v4, v18, v24
	v_cvt_f32_f16_e32 v18, v17
	v_cvt_f32_f16_e32 v19, v1
	v_cmp_eq_u32_e64 s0, s8, v31
	s_wait_loadcnt 0x0
	v_pk_mul_f32 v[24:25], v[16:17], v[32:33] op_sel_hi:[0,1]
	v_or_b32_e32 v17, v23, v21
	v_cvt_f32_f16_e32 v21, v20
	v_cvt_f32_f16_e32 v20, v22
	;; [unrolled: 1-line block ×3, first 2 shown]
	v_cvt_pk_f16_f32 v1, v24, v25
	v_pk_mul_f32 v[18:19], v[16:17], v[18:19] op_sel_hi:[0,1]
	s_delay_alu instid0(VALU_DEP_1) | instskip(NEXT) | instid1(VALU_DEP_3)
	v_cvt_pk_f16_f32 v4, v18, v19
	v_and_b32_e32 v19, 0xffff0000, v1
	s_delay_alu instid0(VALU_DEP_2) | instskip(SKIP_3) | instid1(VALU_DEP_3)
	v_lshrrev_b32_e32 v25, 16, v4
	v_cvt_f32_f16_e32 v23, v17
	v_pk_mul_f32 v[20:21], v[16:17], v[20:21] op_sel_hi:[0,1]
	v_and_b32_e32 v24, 0xffff, v4
	v_pk_mul_f32 v[22:23], v[16:17], v[22:23] op_sel_hi:[0,1]
	s_delay_alu instid0(VALU_DEP_3) | instskip(SKIP_1) | instid1(VALU_DEP_3)
	v_cvt_pk_f16_f32 v17, v20, v21
	v_lshlrev_b32_e32 v16, 16, v1
	v_cvt_pk_f16_f32 v18, v22, v23
	s_delay_alu instid0(VALU_DEP_3) | instskip(SKIP_2) | instid1(VALU_DEP_4)
	v_and_b32_e32 v1, 0xffff0000, v17
	v_lshlrev_b32_e32 v4, 16, v17
	v_or_b32_e32 v23, v19, v25
	v_dual_lshrrev_b32 v17, 16, v18 :: v_dual_bitop2_b32 v22, v16, v24 bitop3:0x54
	v_and_b32_e32 v18, 0xffff, v18
	s_delay_alu instid0(VALU_DEP_2) | instskip(NEXT) | instid1(VALU_DEP_2)
	v_or_b32_e32 v21, v1, v17
	v_or_b32_e32 v20, v4, v18
	s_and_saveexec_b32 s15, s0
	s_cbranch_execz .LBB248_347
; %bb.346:                              ;   in Loop: Header=BB248_281 Depth=1
	v_dual_add_nc_u32 v20, 2, v29 :: v_dual_bitop2_b32 v21, 1, v29 bitop3:0x54
	v_cmp_gt_i32_e64 s1, s14, v29
	s_delay_alu instid0(VALU_DEP_1) | instskip(NEXT) | instid1(VALU_DEP_3)
	v_cndmask_b32_e64 v23, 0, v25, s1
	v_cmp_gt_i32_e64 s1, s23, v20
	v_or_b32_e32 v22, 3, v29
	s_delay_alu instid0(VALU_DEP_2) | instskip(SKIP_1) | instid1(VALU_DEP_1)
	v_dual_cndmask_b32 v20, 0, v24, s1 :: v_dual_bitop2_b32 v25, 7, v29 bitop3:0x54
	v_cmp_gt_i32_e64 s1, s14, v21
	v_dual_cndmask_b32 v19, 0, v19, s1 :: v_dual_bitop2_b32 v24, 5, v29 bitop3:0x54
	s_delay_alu instid0(VALU_DEP_4) | instskip(SKIP_2) | instid1(VALU_DEP_3)
	v_cmp_gt_i32_e64 s1, s23, v22
	v_or_b32_e32 v21, 4, v29
	v_or_b32_e32 v22, 6, v29
	v_dual_cndmask_b32 v16, 0, v16, s1 :: v_dual_bitop2_b32 v23, v19, v23 bitop3:0x54
	s_delay_alu instid0(VALU_DEP_3) | instskip(NEXT) | instid1(VALU_DEP_1)
	v_cmp_gt_i32_e64 s1, s14, v21
	v_cndmask_b32_e64 v17, 0, v17, s1
	s_delay_alu instid0(VALU_DEP_4) | instskip(NEXT) | instid1(VALU_DEP_1)
	v_cmp_gt_i32_e64 s1, s23, v22
	v_dual_cndmask_b32 v18, 0, v18, s1 :: v_dual_bitop2_b32 v22, v16, v20 bitop3:0x54
	v_cmp_gt_i32_e64 s1, s14, v24
	s_delay_alu instid0(VALU_DEP_1) | instskip(SKIP_1) | instid1(VALU_DEP_1)
	v_cndmask_b32_e64 v1, 0, v1, s1
	v_cmp_gt_i32_e64 s1, s23, v25
	v_dual_cndmask_b32 v4, 0, v4, s1 :: v_dual_bitop2_b32 v21, v1, v17 bitop3:0x54
	s_delay_alu instid0(VALU_DEP_1)
	v_or_b32_e32 v20, v4, v18
.LBB248_347:                            ;   in Loop: Header=BB248_281 Depth=1
	s_or_b32 exec_lo, exec_lo, s15
	v_and_b32_e32 v1, 0xffff, v39
	v_and_b32_e32 v4, 0xffff, v40
	;; [unrolled: 1-line block ×4, first 2 shown]
	s_mov_b32 s15, exec_lo
	v_lshl_or_b32 v41, v36, 16, v1
	;;#ASMSTART
	v_pk_mul_f16 v1, v41, v23;

	;;#ASMEND
	v_lshl_or_b32 v40, v37, 16, v4
	v_lshl_or_b32 v39, v38, 16, v16
	;; [unrolled: 1-line block ×3, first 2 shown]
	;;#ASMSTART
	v_pk_mul_f16 v4, v40, v22;

	;;#ASMEND
	;;#ASMSTART
	v_pk_mul_f16 v16, v39, v21;

	;;#ASMEND
	;; [unrolled: 4-line block ×3, first 2 shown]
	;;#ASMSTART
	v_pk_add_f16 v1, v1, v4;

	;;#ASMEND
	;;#ASMSTART
	v_pk_add_f16 v1, v1, v16;

	;;#ASMEND
	;; [unrolled: 4-line block ×3, first 2 shown]
	v_and_b32_e32 v4, 0xffff, v1
	v_dual_lshrrev_b32 v1, 16, v1 :: v_dual_mov_b32 v17, 0
	;;#ASMSTART
	v_cvt_f32_f16 v36, v4;
	;;#ASMEND
	;;#ASMSTART
	v_cvt_f32_f16 v37, v1;
	;;#ASMEND
	global_load_b64 v[18:19], v[14:15], off offset:256
	v_mov_b32_e32 v1, 0
	global_load_b32 v16, v1, s[10:11]
	s_wait_loadcnt 0x1
	v_and_b32_e32 v4, 0xff, v18
	s_wait_xcnt 0x0
	s_delay_alu instid0(VALU_DEP_1)
	v_cmpx_ne_u16_e32 0, v4
	s_cbranch_execz .LBB248_355
; %bb.348:                              ;   in Loop: Header=BB248_281 Depth=1
	v_mov_b32_e32 v17, 0x8000
	s_mov_b32 s16, exec_lo
	v_cmpx_ne_u16_e32 0x80, v4
	s_cbranch_execz .LBB248_354
; %bb.349:                              ;   in Loop: Header=BB248_281 Depth=1
	v_and_b32_e32 v20, 0x7f, v18
	v_mov_b32_e32 v17, 0x7c01
	s_mov_b32 s17, exec_lo
	s_delay_alu instid0(VALU_DEP_2)
	v_cmpx_ne_u32_e32 0x7f, v20
	s_cbranch_execz .LBB248_353
; %bb.350:                              ;   in Loop: Header=BB248_281 Depth=1
	v_dual_lshrrev_b32 v17, 3, v20 :: v_dual_bitop2_b32 v4, 7, v18 bitop3:0x40
	s_mov_b32 s18, exec_lo
	v_cmpx_gt_u32_e32 8, v20
; %bb.351:                              ;   in Loop: Header=BB248_281 Depth=1
	s_delay_alu instid0(VALU_DEP_2) | instskip(NEXT) | instid1(VALU_DEP_1)
	v_clz_i32_u32_e32 v4, v4
	v_min_u32_e32 v4, 32, v4
	s_delay_alu instid0(VALU_DEP_1) | instskip(NEXT) | instid1(VALU_DEP_1)
	v_subrev_nc_u32_e32 v17, 28, v4
	v_lshlrev_b64_e32 v[20:21], v17, v[18:19]
	v_sub_nc_u32_e32 v17, 29, v4
	s_delay_alu instid0(VALU_DEP_2)
	v_and_b32_e32 v4, 7, v20
; %bb.352:                              ;   in Loop: Header=BB248_281 Depth=1
	s_or_b32 exec_lo, exec_lo, s18
	s_delay_alu instid0(VALU_DEP_1) | instskip(NEXT) | instid1(VALU_DEP_3)
	v_dual_lshlrev_b32 v20, 8, v18 :: v_dual_lshlrev_b32 v4, 7, v4
	v_lshl_add_u32 v17, v17, 10, 0x2000
	s_delay_alu instid0(VALU_DEP_2) | instskip(NEXT) | instid1(VALU_DEP_2)
	v_and_b32_e32 v20, 0x8000, v20
	v_and_b32_e32 v17, 0xfc00, v17
	s_delay_alu instid0(VALU_DEP_1)
	v_or3_b32 v17, v20, v17, v4
.LBB248_353:                            ;   in Loop: Header=BB248_281 Depth=1
	s_or_b32 exec_lo, exec_lo, s17
.LBB248_354:                            ;   in Loop: Header=BB248_281 Depth=1
	s_delay_alu instid0(SALU_CYCLE_1)
	s_or_b32 exec_lo, exec_lo, s16
.LBB248_355:                            ;   in Loop: Header=BB248_281 Depth=1
	s_delay_alu instid0(SALU_CYCLE_1) | instskip(SKIP_2) | instid1(VALU_DEP_1)
	s_or_b32 exec_lo, exec_lo, s15
	v_lshrrev_b16 v4, 8, v18
	s_mov_b32 s15, exec_lo
	v_cmpx_ne_u16_e32 0, v4
	s_cbranch_execz .LBB248_363
; %bb.356:                              ;   in Loop: Header=BB248_281 Depth=1
	v_bfrev_b32_e32 v1, 1
	s_mov_b32 s16, exec_lo
	v_cmpx_ne_u16_e32 0x80, v4
	s_cbranch_execz .LBB248_362
; %bb.357:                              ;   in Loop: Header=BB248_281 Depth=1
	v_and_b32_e32 v20, 0xffff, v4
	v_mov_b32_e32 v1, 0x7c010000
	s_mov_b32 s17, exec_lo
	s_delay_alu instid0(VALU_DEP_2) | instskip(NEXT) | instid1(VALU_DEP_1)
	v_and_b32_e32 v22, 0x7f, v20
	v_cmpx_ne_u32_e32 0x7f, v22
	s_cbranch_execz .LBB248_361
; %bb.358:                              ;   in Loop: Header=BB248_281 Depth=1
	v_dual_lshrrev_b32 v21, 3, v22 :: v_dual_bitop2_b32 v1, 7, v20 bitop3:0x40
	s_mov_b32 s18, exec_lo
	v_cmpx_gt_u32_e32 8, v22
; %bb.359:                              ;   in Loop: Header=BB248_281 Depth=1
	s_delay_alu instid0(VALU_DEP_2) | instskip(NEXT) | instid1(VALU_DEP_1)
	v_clz_i32_u32_e32 v1, v1
	v_min_u32_e32 v1, 32, v1
	s_delay_alu instid0(VALU_DEP_1) | instskip(NEXT) | instid1(VALU_DEP_1)
	v_subrev_nc_u32_e32 v21, 28, v1
	v_lshlrev_b64_e32 v[22:23], v21, v[4:5]
	s_delay_alu instid0(VALU_DEP_1)
	v_dual_sub_nc_u32 v21, 29, v1 :: v_dual_bitop2_b32 v1, 7, v22 bitop3:0x40
; %bb.360:                              ;   in Loop: Header=BB248_281 Depth=1
	s_or_b32 exec_lo, exec_lo, s18
	s_delay_alu instid0(VALU_DEP_1) | instskip(NEXT) | instid1(VALU_DEP_2)
	v_dual_lshlrev_b32 v4, 8, v20 :: v_dual_lshlrev_b32 v1, 23, v1
	v_lshl_add_u32 v20, v21, 10, 0x2000
	s_delay_alu instid0(VALU_DEP_1) | instskip(NEXT) | instid1(VALU_DEP_1)
	v_and_or_b32 v4, 0x8000, v4, v20
	v_lshl_or_b32 v1, v4, 16, v1
.LBB248_361:                            ;   in Loop: Header=BB248_281 Depth=1
	s_or_b32 exec_lo, exec_lo, s17
.LBB248_362:                            ;   in Loop: Header=BB248_281 Depth=1
	s_delay_alu instid0(SALU_CYCLE_1)
	s_or_b32 exec_lo, exec_lo, s16
.LBB248_363:                            ;   in Loop: Header=BB248_281 Depth=1
	s_delay_alu instid0(SALU_CYCLE_1) | instskip(SKIP_3) | instid1(VALU_DEP_2)
	s_or_b32 exec_lo, exec_lo, s15
	v_dual_lshrrev_b32 v4, 16, v18 :: v_dual_mov_b32 v20, 0
	v_mov_b32_e32 v21, 0
	s_mov_b32 s15, exec_lo
	v_and_b32_e32 v22, 0xff, v4
	s_delay_alu instid0(VALU_DEP_1)
	v_cmpx_ne_u16_e32 0, v22
	s_cbranch_execz .LBB248_371
; %bb.364:                              ;   in Loop: Header=BB248_281 Depth=1
	v_mov_b32_e32 v21, 0x8000
	s_mov_b32 s16, exec_lo
	v_cmpx_ne_u16_e32 0x80, v22
	s_cbranch_execz .LBB248_370
; %bb.365:                              ;   in Loop: Header=BB248_281 Depth=1
	v_bfe_u32 v23, v18, 16, 7
	v_mov_b32_e32 v21, 0x7c01
	s_mov_b32 s17, exec_lo
	s_delay_alu instid0(VALU_DEP_2)
	v_cmpx_ne_u32_e32 0x7f, v23
	s_cbranch_execz .LBB248_369
; %bb.366:                              ;   in Loop: Header=BB248_281 Depth=1
	v_dual_lshrrev_b32 v22, 3, v23 :: v_dual_bitop2_b32 v21, 7, v4 bitop3:0x40
	s_mov_b32 s18, exec_lo
	v_cmpx_gt_u32_e32 8, v23
; %bb.367:                              ;   in Loop: Header=BB248_281 Depth=1
	s_delay_alu instid0(VALU_DEP_2) | instskip(NEXT) | instid1(VALU_DEP_1)
	v_clz_i32_u32_e32 v21, v21
	v_min_u32_e32 v21, 32, v21
	s_delay_alu instid0(VALU_DEP_1) | instskip(NEXT) | instid1(VALU_DEP_1)
	v_subrev_nc_u32_e32 v22, 28, v21
	v_lshlrev_b64_e32 v[24:25], v22, v[4:5]
	s_delay_alu instid0(VALU_DEP_1)
	v_dual_sub_nc_u32 v22, 29, v21 :: v_dual_bitop2_b32 v21, 7, v24 bitop3:0x40
; %bb.368:                              ;   in Loop: Header=BB248_281 Depth=1
	s_or_b32 exec_lo, exec_lo, s18
	s_delay_alu instid0(VALU_DEP_1) | instskip(NEXT) | instid1(VALU_DEP_2)
	v_dual_lshlrev_b32 v4, 8, v4 :: v_dual_lshlrev_b32 v21, 7, v21
	v_lshl_add_u32 v22, v22, 10, 0x2000
	s_delay_alu instid0(VALU_DEP_2) | instskip(NEXT) | instid1(VALU_DEP_2)
	v_and_b32_e32 v4, 0x8000, v4
	v_and_b32_e32 v22, 0xfc00, v22
	s_delay_alu instid0(VALU_DEP_1)
	v_or3_b32 v21, v4, v22, v21
.LBB248_369:                            ;   in Loop: Header=BB248_281 Depth=1
	s_or_b32 exec_lo, exec_lo, s17
.LBB248_370:                            ;   in Loop: Header=BB248_281 Depth=1
	s_delay_alu instid0(SALU_CYCLE_1)
	s_or_b32 exec_lo, exec_lo, s16
.LBB248_371:                            ;   in Loop: Header=BB248_281 Depth=1
	s_delay_alu instid0(SALU_CYCLE_1) | instskip(NEXT) | instid1(SALU_CYCLE_1)
	s_or_b32 exec_lo, exec_lo, s15
	s_mov_b32 s15, exec_lo
	v_cmpx_lt_u32_e32 0xffffff, v18
	s_cbranch_execz .LBB248_379
; %bb.372:                              ;   in Loop: Header=BB248_281 Depth=1
	v_lshrrev_b32_e32 v4, 24, v18
	v_bfrev_b32_e32 v20, 1
	s_mov_b32 s16, exec_lo
	s_delay_alu instid0(VALU_DEP_2)
	v_cmpx_ne_u32_e32 0x80, v4
	s_cbranch_execz .LBB248_378
; %bb.373:                              ;   in Loop: Header=BB248_281 Depth=1
	v_and_b32_e32 v23, 0x7f, v4
	v_mov_b32_e32 v20, 0x7c010000
	s_mov_b32 s17, exec_lo
	s_delay_alu instid0(VALU_DEP_2)
	v_cmpx_ne_u32_e32 0x7f, v23
	s_cbranch_execz .LBB248_377
; %bb.374:                              ;   in Loop: Header=BB248_281 Depth=1
	v_dual_lshrrev_b32 v22, 3, v23 :: v_dual_bitop2_b32 v20, 7, v4 bitop3:0x40
	s_mov_b32 s18, exec_lo
	v_cmpx_gt_u32_e32 8, v23
; %bb.375:                              ;   in Loop: Header=BB248_281 Depth=1
	s_delay_alu instid0(VALU_DEP_2) | instskip(NEXT) | instid1(VALU_DEP_1)
	v_clz_i32_u32_e32 v20, v20
	v_min_u32_e32 v20, 32, v20
	s_delay_alu instid0(VALU_DEP_1) | instskip(NEXT) | instid1(VALU_DEP_1)
	v_subrev_nc_u32_e32 v22, 28, v20
	v_lshlrev_b64_e32 v[24:25], v22, v[4:5]
	v_sub_nc_u32_e32 v22, 29, v20
	s_delay_alu instid0(VALU_DEP_2)
	v_and_b32_e32 v20, 7, v24
; %bb.376:                              ;   in Loop: Header=BB248_281 Depth=1
	s_or_b32 exec_lo, exec_lo, s18
	v_lshlrev_b32_e32 v4, 8, v4
	s_delay_alu instid0(VALU_DEP_3) | instskip(NEXT) | instid1(VALU_DEP_3)
	v_lshl_add_u32 v22, v22, 10, 0x2000
	v_lshlrev_b32_e32 v20, 23, v20
	s_delay_alu instid0(VALU_DEP_2) | instskip(NEXT) | instid1(VALU_DEP_1)
	v_and_or_b32 v4, 0x8000, v4, v22
	v_lshl_or_b32 v20, v4, 16, v20
.LBB248_377:                            ;   in Loop: Header=BB248_281 Depth=1
	s_or_b32 exec_lo, exec_lo, s17
.LBB248_378:                            ;   in Loop: Header=BB248_281 Depth=1
	s_delay_alu instid0(SALU_CYCLE_1)
	s_or_b32 exec_lo, exec_lo, s16
.LBB248_379:                            ;   in Loop: Header=BB248_281 Depth=1
	s_delay_alu instid0(SALU_CYCLE_1) | instskip(SKIP_4) | instid1(VALU_DEP_3)
	s_or_b32 exec_lo, exec_lo, s15
	v_and_b32_e32 v24, 0xff, v19
	v_dual_mov_b32 v4, v19 :: v_dual_mov_b32 v23, 0
	v_mov_b32_e32 v22, 0
	s_mov_b32 s15, exec_lo
	v_cmpx_ne_u16_e32 0, v24
	s_cbranch_execz .LBB248_387
; %bb.380:                              ;   in Loop: Header=BB248_281 Depth=1
	v_mov_b32_e32 v22, 0x8000
	s_mov_b32 s16, exec_lo
	v_cmpx_ne_u16_e32 0x80, v24
	s_cbranch_execz .LBB248_386
; %bb.381:                              ;   in Loop: Header=BB248_281 Depth=1
	v_and_b32_e32 v25, 0x7f, v19
	v_mov_b32_e32 v22, 0x7c01
	s_mov_b32 s17, exec_lo
	s_delay_alu instid0(VALU_DEP_2)
	v_cmpx_ne_u32_e32 0x7f, v25
	s_cbranch_execz .LBB248_385
; %bb.382:                              ;   in Loop: Header=BB248_281 Depth=1
	v_dual_lshrrev_b32 v24, 3, v25 :: v_dual_bitop2_b32 v22, 7, v19 bitop3:0x40
	s_mov_b32 s18, exec_lo
	v_cmpx_gt_u32_e32 8, v25
; %bb.383:                              ;   in Loop: Header=BB248_281 Depth=1
	s_delay_alu instid0(VALU_DEP_2) | instskip(NEXT) | instid1(VALU_DEP_1)
	v_clz_i32_u32_e32 v22, v22
	v_min_u32_e32 v22, 32, v22
	s_delay_alu instid0(VALU_DEP_1) | instskip(NEXT) | instid1(VALU_DEP_1)
	v_subrev_nc_u32_e32 v24, 28, v22
	v_lshlrev_b64_e32 v[32:33], v24, v[4:5]
	s_delay_alu instid0(VALU_DEP_1)
	v_dual_sub_nc_u32 v24, 29, v22 :: v_dual_bitop2_b32 v22, 7, v32 bitop3:0x40
; %bb.384:                              ;   in Loop: Header=BB248_281 Depth=1
	s_or_b32 exec_lo, exec_lo, s18
	s_delay_alu instid0(VALU_DEP_1) | instskip(NEXT) | instid1(VALU_DEP_2)
	v_dual_lshlrev_b32 v25, 8, v19 :: v_dual_lshlrev_b32 v22, 7, v22
	v_lshl_add_u32 v24, v24, 10, 0x2000
	s_delay_alu instid0(VALU_DEP_2) | instskip(NEXT) | instid1(VALU_DEP_2)
	v_and_b32_e32 v25, 0x8000, v25
	v_and_b32_e32 v24, 0xfc00, v24
	s_delay_alu instid0(VALU_DEP_1)
	v_or3_b32 v22, v25, v24, v22
.LBB248_385:                            ;   in Loop: Header=BB248_281 Depth=1
	s_or_b32 exec_lo, exec_lo, s17
.LBB248_386:                            ;   in Loop: Header=BB248_281 Depth=1
	s_delay_alu instid0(SALU_CYCLE_1)
	s_or_b32 exec_lo, exec_lo, s16
.LBB248_387:                            ;   in Loop: Header=BB248_281 Depth=1
	s_delay_alu instid0(SALU_CYCLE_1) | instskip(SKIP_3) | instid1(VALU_DEP_2)
	s_or_b32 exec_lo, exec_lo, s15
	v_lshrrev_b16 v4, 8, v4
	v_mov_b32_e32 v24, 0
	s_mov_b32 s15, exec_lo
	v_cmpx_ne_u16_e32 0, v4
	s_cbranch_execz .LBB248_395
; %bb.388:                              ;   in Loop: Header=BB248_281 Depth=1
	v_bfrev_b32_e32 v24, 1
	s_mov_b32 s16, exec_lo
	v_cmpx_ne_u16_e32 0x80, v4
	s_cbranch_execz .LBB248_394
; %bb.389:                              ;   in Loop: Header=BB248_281 Depth=1
	v_and_b32_e32 v25, 0xffff, v4
	v_mov_b32_e32 v24, 0x7c010000
	s_mov_b32 s17, exec_lo
	s_delay_alu instid0(VALU_DEP_2) | instskip(NEXT) | instid1(VALU_DEP_1)
	v_and_b32_e32 v33, 0x7f, v25
	v_cmpx_ne_u32_e32 0x7f, v33
	s_cbranch_execz .LBB248_393
; %bb.390:                              ;   in Loop: Header=BB248_281 Depth=1
	v_and_b32_e32 v24, 7, v25
	v_lshrrev_b32_e32 v32, 3, v33
	s_mov_b32 s18, exec_lo
	v_cmpx_gt_u32_e32 8, v33
; %bb.391:                              ;   in Loop: Header=BB248_281 Depth=1
	s_delay_alu instid0(VALU_DEP_3) | instskip(NEXT) | instid1(VALU_DEP_1)
	v_clz_i32_u32_e32 v24, v24
	v_min_u32_e32 v24, 32, v24
	s_delay_alu instid0(VALU_DEP_1) | instskip(NEXT) | instid1(VALU_DEP_1)
	v_subrev_nc_u32_e32 v32, 28, v24
	v_lshlrev_b64_e32 v[42:43], v32, v[4:5]
	s_delay_alu instid0(VALU_DEP_1)
	v_dual_sub_nc_u32 v32, 29, v24 :: v_dual_bitop2_b32 v24, 7, v42 bitop3:0x40
; %bb.392:                              ;   in Loop: Header=BB248_281 Depth=1
	s_or_b32 exec_lo, exec_lo, s18
	s_delay_alu instid0(VALU_DEP_1) | instskip(NEXT) | instid1(VALU_DEP_2)
	v_dual_lshlrev_b32 v4, 8, v25 :: v_dual_lshlrev_b32 v24, 23, v24
	v_lshl_add_u32 v25, v32, 10, 0x2000
	s_delay_alu instid0(VALU_DEP_1) | instskip(NEXT) | instid1(VALU_DEP_1)
	v_and_or_b32 v4, 0x8000, v4, v25
	v_lshl_or_b32 v24, v4, 16, v24
.LBB248_393:                            ;   in Loop: Header=BB248_281 Depth=1
	s_or_b32 exec_lo, exec_lo, s17
.LBB248_394:                            ;   in Loop: Header=BB248_281 Depth=1
	s_delay_alu instid0(SALU_CYCLE_1)
	s_or_b32 exec_lo, exec_lo, s16
.LBB248_395:                            ;   in Loop: Header=BB248_281 Depth=1
	s_delay_alu instid0(SALU_CYCLE_1) | instskip(SKIP_2) | instid1(VALU_DEP_1)
	s_or_b32 exec_lo, exec_lo, s15
	v_lshrrev_b32_e32 v4, 16, v19
	s_mov_b32 s15, exec_lo
	v_and_b32_e32 v25, 0xff, v4
	s_delay_alu instid0(VALU_DEP_1)
	v_cmpx_ne_u16_e32 0, v25
	s_cbranch_execz .LBB248_403
; %bb.396:                              ;   in Loop: Header=BB248_281 Depth=1
	v_mov_b32_e32 v23, 0x8000
	s_mov_b32 s16, exec_lo
	v_cmpx_ne_u16_e32 0x80, v25
	s_cbranch_execz .LBB248_402
; %bb.397:                              ;   in Loop: Header=BB248_281 Depth=1
	v_bfe_u32 v32, v19, 16, 7
	v_mov_b32_e32 v23, 0x7c01
	s_mov_b32 s17, exec_lo
	s_delay_alu instid0(VALU_DEP_2)
	v_cmpx_ne_u32_e32 0x7f, v32
	s_cbranch_execz .LBB248_401
; %bb.398:                              ;   in Loop: Header=BB248_281 Depth=1
	v_and_b32_e32 v23, 7, v4
	v_lshrrev_b32_e32 v25, 3, v32
	s_mov_b32 s18, exec_lo
	v_cmpx_gt_u32_e32 8, v32
; %bb.399:                              ;   in Loop: Header=BB248_281 Depth=1
	s_delay_alu instid0(VALU_DEP_3) | instskip(NEXT) | instid1(VALU_DEP_1)
	v_clz_i32_u32_e32 v23, v23
	v_min_u32_e32 v23, 32, v23
	s_delay_alu instid0(VALU_DEP_1) | instskip(NEXT) | instid1(VALU_DEP_1)
	v_subrev_nc_u32_e32 v25, 28, v23
	v_lshlrev_b64_e32 v[32:33], v25, v[4:5]
	s_delay_alu instid0(VALU_DEP_1)
	v_dual_sub_nc_u32 v25, 29, v23 :: v_dual_bitop2_b32 v23, 7, v32 bitop3:0x40
; %bb.400:                              ;   in Loop: Header=BB248_281 Depth=1
	s_or_b32 exec_lo, exec_lo, s18
	s_delay_alu instid0(VALU_DEP_1) | instskip(NEXT) | instid1(VALU_DEP_2)
	v_dual_lshlrev_b32 v4, 8, v4 :: v_dual_lshlrev_b32 v23, 7, v23
	v_lshl_add_u32 v25, v25, 10, 0x2000
	s_delay_alu instid0(VALU_DEP_2) | instskip(NEXT) | instid1(VALU_DEP_2)
	v_and_b32_e32 v4, 0x8000, v4
	v_and_b32_e32 v25, 0xfc00, v25
	s_delay_alu instid0(VALU_DEP_1)
	v_or3_b32 v23, v4, v25, v23
.LBB248_401:                            ;   in Loop: Header=BB248_281 Depth=1
	s_or_b32 exec_lo, exec_lo, s17
.LBB248_402:                            ;   in Loop: Header=BB248_281 Depth=1
	s_delay_alu instid0(SALU_CYCLE_1)
	s_or_b32 exec_lo, exec_lo, s16
.LBB248_403:                            ;   in Loop: Header=BB248_281 Depth=1
	s_delay_alu instid0(SALU_CYCLE_1)
	s_or_b32 exec_lo, exec_lo, s15
	v_cmp_lt_u64_e64 s1, s[4:5], v[18:19]
	v_mov_b32_e32 v18, 0
	s_and_saveexec_b32 s15, s1
	s_cbranch_execz .LBB248_411
; %bb.404:                              ;   in Loop: Header=BB248_281 Depth=1
	v_lshrrev_b32_e32 v4, 24, v19
	v_bfrev_b32_e32 v18, 1
	s_mov_b32 s16, exec_lo
	s_delay_alu instid0(VALU_DEP_2)
	v_cmpx_ne_u32_e32 0x80, v4
	s_cbranch_execz .LBB248_410
; %bb.405:                              ;   in Loop: Header=BB248_281 Depth=1
	v_and_b32_e32 v25, 0x7f, v4
	v_mov_b32_e32 v18, 0x7c010000
	s_mov_b32 s17, exec_lo
	s_delay_alu instid0(VALU_DEP_2)
	v_cmpx_ne_u32_e32 0x7f, v25
	s_cbranch_execz .LBB248_409
; %bb.406:                              ;   in Loop: Header=BB248_281 Depth=1
	v_dual_lshrrev_b32 v19, 3, v25 :: v_dual_bitop2_b32 v18, 7, v4 bitop3:0x40
	s_mov_b32 s18, exec_lo
	v_cmpx_gt_u32_e32 8, v25
; %bb.407:                              ;   in Loop: Header=BB248_281 Depth=1
	s_delay_alu instid0(VALU_DEP_2) | instskip(NEXT) | instid1(VALU_DEP_1)
	v_clz_i32_u32_e32 v18, v18
	v_min_u32_e32 v25, 32, v18
	s_delay_alu instid0(VALU_DEP_1) | instskip(NEXT) | instid1(VALU_DEP_1)
	v_subrev_nc_u32_e32 v18, 28, v25
	v_lshlrev_b64_e32 v[18:19], v18, v[4:5]
	s_delay_alu instid0(VALU_DEP_1)
	v_dual_sub_nc_u32 v19, 29, v25 :: v_dual_bitop2_b32 v18, 7, v18 bitop3:0x40
; %bb.408:                              ;   in Loop: Header=BB248_281 Depth=1
	s_or_b32 exec_lo, exec_lo, s18
	s_delay_alu instid0(VALU_DEP_1) | instskip(NEXT) | instid1(VALU_DEP_2)
	v_dual_lshlrev_b32 v4, 8, v4 :: v_dual_lshlrev_b32 v18, 23, v18
	v_lshl_add_u32 v19, v19, 10, 0x2000
	s_delay_alu instid0(VALU_DEP_1) | instskip(NEXT) | instid1(VALU_DEP_1)
	v_and_or_b32 v4, 0x8000, v4, v19
	v_lshl_or_b32 v18, v4, 16, v18
.LBB248_409:                            ;   in Loop: Header=BB248_281 Depth=1
	s_or_b32 exec_lo, exec_lo, s17
.LBB248_410:                            ;   in Loop: Header=BB248_281 Depth=1
	s_delay_alu instid0(SALU_CYCLE_1)
	s_or_b32 exec_lo, exec_lo, s16
.LBB248_411:                            ;   in Loop: Header=BB248_281 Depth=1
	s_delay_alu instid0(SALU_CYCLE_1) | instskip(SKIP_3) | instid1(VALU_DEP_3)
	s_or_b32 exec_lo, exec_lo, s15
	v_dual_lshrrev_b32 v4, 16, v1 :: v_dual_lshrrev_b32 v19, 16, v20
	v_or_b32_e32 v1, v1, v17
	v_dual_lshrrev_b32 v25, 16, v18 :: v_dual_bitop2_b32 v17, v20, v21 bitop3:0x54
	v_cvt_f32_f16_e32 v21, v4
	s_delay_alu instid0(VALU_DEP_4) | instskip(SKIP_1) | instid1(VALU_DEP_4)
	v_cvt_f32_f16_e32 v20, v19
	v_dual_lshrrev_b32 v23, 16, v24 :: v_dual_bitop2_b32 v4, v18, v23 bitop3:0x54
	v_cvt_f32_f16_e32 v18, v17
	v_cvt_f32_f16_e32 v19, v1
	s_wait_loadcnt 0x0
	v_pk_mul_f32 v[20:21], v[16:17], v[20:21] op_sel_hi:[0,1]
	v_or_b32_e32 v17, v24, v22
	v_cvt_f32_f16_e32 v23, v23
	v_cvt_f32_f16_e32 v22, v25
	;; [unrolled: 1-line block ×3, first 2 shown]
	v_cvt_pk_f16_f32 v1, v20, v21
	v_cvt_f32_f16_e32 v25, v17
	v_pk_mul_f32 v[18:19], v[16:17], v[18:19] op_sel_hi:[0,1]
	v_pk_mul_f32 v[20:21], v[16:17], v[22:23] op_sel_hi:[0,1]
	s_delay_alu instid0(VALU_DEP_3) | instskip(NEXT) | instid1(VALU_DEP_3)
	v_pk_mul_f32 v[22:23], v[16:17], v[24:25] op_sel_hi:[0,1]
	v_cvt_pk_f16_f32 v4, v18, v19
	s_delay_alu instid0(VALU_DEP_3)
	v_cvt_pk_f16_f32 v17, v20, v21
	v_and_b32_e32 v19, 0xffff0000, v1
	v_lshlrev_b32_e32 v16, 16, v1
	v_cvt_pk_f16_f32 v18, v22, v23
	v_lshrrev_b32_e32 v21, 16, v4
	v_and_b32_e32 v20, 0xffff, v4
	v_and_b32_e32 v1, 0xffff0000, v17
	s_delay_alu instid0(VALU_DEP_4) | instskip(SKIP_3) | instid1(VALU_DEP_4)
	v_dual_lshlrev_b32 v4, 16, v17 :: v_dual_lshrrev_b32 v17, 16, v18
	v_and_b32_e32 v18, 0xffff, v18
	v_or_b32_e32 v25, v19, v21
	v_or_b32_e32 v24, v16, v20
	;; [unrolled: 1-line block ×3, first 2 shown]
	s_delay_alu instid0(VALU_DEP_4)
	v_or_b32_e32 v22, v4, v18
	s_and_saveexec_b32 s15, s0
	s_cbranch_execz .LBB248_413
; %bb.412:                              ;   in Loop: Header=BB248_281 Depth=1
	v_dual_add_nc_u32 v22, 2, v29 :: v_dual_bitop2_b32 v23, 1, v29 bitop3:0x54
	v_cmp_gt_i32_e64 s1, s14, v29
	v_or_b32_e32 v25, 7, v29
	s_delay_alu instid0(VALU_DEP_2) | instskip(NEXT) | instid1(VALU_DEP_4)
	v_cndmask_b32_e64 v21, 0, v21, s1
	v_cmp_gt_i32_e64 s1, s23, v22
	s_delay_alu instid0(VALU_DEP_1) | instskip(SKIP_1) | instid1(VALU_DEP_1)
	v_dual_cndmask_b32 v20, 0, v20, s1 :: v_dual_bitop2_b32 v24, 3, v29 bitop3:0x54
	v_cmp_gt_i32_e64 s1, s14, v23
	v_dual_cndmask_b32 v19, 0, v19, s1 :: v_dual_bitop2_b32 v23, 6, v29 bitop3:0x54
	s_delay_alu instid0(VALU_DEP_3) | instskip(SKIP_1) | instid1(VALU_DEP_2)
	v_cmp_gt_i32_e64 s1, s23, v24
	v_or_b32_e32 v22, 4, v29
	v_dual_cndmask_b32 v16, 0, v16, s1 :: v_dual_bitop2_b32 v24, 5, v29 bitop3:0x54
	s_delay_alu instid0(VALU_DEP_2) | instskip(NEXT) | instid1(VALU_DEP_1)
	v_cmp_gt_i32_e64 s1, s14, v22
	v_cndmask_b32_e64 v17, 0, v17, s1
	v_cmp_gt_i32_e64 s1, s23, v23
	s_delay_alu instid0(VALU_DEP_1) | instskip(SKIP_1) | instid1(VALU_DEP_1)
	v_cndmask_b32_e64 v18, 0, v18, s1
	v_cmp_gt_i32_e64 s1, s14, v24
	v_dual_cndmask_b32 v1, 0, v1, s1 :: v_dual_bitop2_b32 v24, v16, v20 bitop3:0x54
	v_cmp_gt_i32_e64 s1, s23, v25
	s_delay_alu instid0(VALU_DEP_1) | instskip(NEXT) | instid1(VALU_DEP_1)
	v_dual_cndmask_b32 v4, 0, v4, s1 :: v_dual_bitop2_b32 v25, v19, v21 bitop3:0x54
	v_or_b32_e32 v22, v4, v18
	s_delay_alu instid0(VALU_DEP_4)
	v_or_b32_e32 v23, v1, v17
.LBB248_413:                            ;   in Loop: Header=BB248_281 Depth=1
	s_or_b32 exec_lo, exec_lo, s15
	;;#ASMSTART
	v_pk_mul_f16 v1, v41, v25;

	;;#ASMEND
	;;#ASMSTART
	v_pk_mul_f16 v4, v40, v24;

	;;#ASMEND
	;; [unrolled: 4-line block ×4, first 2 shown]
	;;#ASMSTART
	v_pk_add_f16 v1, v1, v4;

	;;#ASMEND
	;;#ASMSTART
	v_pk_add_f16 v1, v1, v16;

	;;#ASMEND
	;; [unrolled: 4-line block ×3, first 2 shown]
	v_and_b32_e32 v4, 0xffff, v1
	v_lshrrev_b32_e32 v1, 16, v1
	;;#ASMSTART
	v_cvt_f32_f16 v32, v4;
	;;#ASMEND
	;;#ASMSTART
	v_cvt_f32_f16 v33, v1;
	;;#ASMEND
	global_load_b64 v[16:17], v[14:15], off offset:512
	s_wait_xcnt 0x0
	v_dual_mov_b32 v1, 0 :: v_dual_mov_b32 v15, 0
	s_mov_b32 s15, exec_lo
	global_load_b32 v14, v1, s[10:11]
	s_wait_loadcnt 0x1
	v_and_b32_e32 v4, 0xff, v16
	s_wait_xcnt 0x0
	s_delay_alu instid0(VALU_DEP_1)
	v_cmpx_ne_u16_e32 0, v4
	s_cbranch_execz .LBB248_421
; %bb.414:                              ;   in Loop: Header=BB248_281 Depth=1
	v_mov_b32_e32 v15, 0x8000
	s_mov_b32 s16, exec_lo
	v_cmpx_ne_u16_e32 0x80, v4
	s_cbranch_execz .LBB248_420
; %bb.415:                              ;   in Loop: Header=BB248_281 Depth=1
	v_and_b32_e32 v18, 0x7f, v16
	v_mov_b32_e32 v15, 0x7c01
	s_mov_b32 s17, exec_lo
	s_delay_alu instid0(VALU_DEP_2)
	v_cmpx_ne_u32_e32 0x7f, v18
	s_cbranch_execz .LBB248_419
; %bb.416:                              ;   in Loop: Header=BB248_281 Depth=1
	v_dual_lshrrev_b32 v15, 3, v18 :: v_dual_bitop2_b32 v4, 7, v16 bitop3:0x40
	s_mov_b32 s18, exec_lo
	v_cmpx_gt_u32_e32 8, v18
; %bb.417:                              ;   in Loop: Header=BB248_281 Depth=1
	s_delay_alu instid0(VALU_DEP_2) | instskip(NEXT) | instid1(VALU_DEP_1)
	v_clz_i32_u32_e32 v4, v4
	v_min_u32_e32 v4, 32, v4
	s_delay_alu instid0(VALU_DEP_1) | instskip(NEXT) | instid1(VALU_DEP_1)
	v_subrev_nc_u32_e32 v15, 28, v4
	v_lshlrev_b64_e32 v[18:19], v15, v[16:17]
	s_delay_alu instid0(VALU_DEP_1)
	v_dual_sub_nc_u32 v15, 29, v4 :: v_dual_bitop2_b32 v4, 7, v18 bitop3:0x40
; %bb.418:                              ;   in Loop: Header=BB248_281 Depth=1
	s_or_b32 exec_lo, exec_lo, s18
	v_lshlrev_b32_e32 v18, 8, v16
	s_delay_alu instid0(VALU_DEP_2) | instskip(NEXT) | instid1(VALU_DEP_3)
	v_lshl_add_u32 v15, v15, 10, 0x2000
	v_lshlrev_b32_e32 v4, 7, v4
	s_delay_alu instid0(VALU_DEP_3) | instskip(NEXT) | instid1(VALU_DEP_3)
	v_and_b32_e32 v18, 0x8000, v18
	v_and_b32_e32 v15, 0xfc00, v15
	s_delay_alu instid0(VALU_DEP_1)
	v_or3_b32 v15, v18, v15, v4
.LBB248_419:                            ;   in Loop: Header=BB248_281 Depth=1
	s_or_b32 exec_lo, exec_lo, s17
.LBB248_420:                            ;   in Loop: Header=BB248_281 Depth=1
	s_delay_alu instid0(SALU_CYCLE_1)
	s_or_b32 exec_lo, exec_lo, s16
.LBB248_421:                            ;   in Loop: Header=BB248_281 Depth=1
	s_delay_alu instid0(SALU_CYCLE_1) | instskip(SKIP_2) | instid1(VALU_DEP_1)
	s_or_b32 exec_lo, exec_lo, s15
	v_lshrrev_b16 v4, 8, v16
	s_mov_b32 s15, exec_lo
	v_cmpx_ne_u16_e32 0, v4
	s_cbranch_execz .LBB248_429
; %bb.422:                              ;   in Loop: Header=BB248_281 Depth=1
	v_bfrev_b32_e32 v1, 1
	s_mov_b32 s16, exec_lo
	v_cmpx_ne_u16_e32 0x80, v4
	s_cbranch_execz .LBB248_428
; %bb.423:                              ;   in Loop: Header=BB248_281 Depth=1
	v_and_b32_e32 v18, 0xffff, v4
	v_mov_b32_e32 v1, 0x7c010000
	s_mov_b32 s17, exec_lo
	s_delay_alu instid0(VALU_DEP_2) | instskip(NEXT) | instid1(VALU_DEP_1)
	v_and_b32_e32 v20, 0x7f, v18
	v_cmpx_ne_u32_e32 0x7f, v20
	s_cbranch_execz .LBB248_427
; %bb.424:                              ;   in Loop: Header=BB248_281 Depth=1
	v_dual_lshrrev_b32 v19, 3, v20 :: v_dual_bitop2_b32 v1, 7, v18 bitop3:0x40
	s_mov_b32 s18, exec_lo
	v_cmpx_gt_u32_e32 8, v20
; %bb.425:                              ;   in Loop: Header=BB248_281 Depth=1
	s_delay_alu instid0(VALU_DEP_2) | instskip(NEXT) | instid1(VALU_DEP_1)
	v_clz_i32_u32_e32 v1, v1
	v_min_u32_e32 v1, 32, v1
	s_delay_alu instid0(VALU_DEP_1) | instskip(NEXT) | instid1(VALU_DEP_1)
	v_subrev_nc_u32_e32 v19, 28, v1
	v_lshlrev_b64_e32 v[20:21], v19, v[4:5]
	s_delay_alu instid0(VALU_DEP_1)
	v_dual_sub_nc_u32 v19, 29, v1 :: v_dual_bitop2_b32 v1, 7, v20 bitop3:0x40
; %bb.426:                              ;   in Loop: Header=BB248_281 Depth=1
	s_or_b32 exec_lo, exec_lo, s18
	s_delay_alu instid0(VALU_DEP_1) | instskip(NEXT) | instid1(VALU_DEP_2)
	v_dual_lshlrev_b32 v4, 8, v18 :: v_dual_lshlrev_b32 v1, 23, v1
	v_lshl_add_u32 v18, v19, 10, 0x2000
	s_delay_alu instid0(VALU_DEP_1) | instskip(NEXT) | instid1(VALU_DEP_1)
	v_and_or_b32 v4, 0x8000, v4, v18
	v_lshl_or_b32 v1, v4, 16, v1
.LBB248_427:                            ;   in Loop: Header=BB248_281 Depth=1
	s_or_b32 exec_lo, exec_lo, s17
.LBB248_428:                            ;   in Loop: Header=BB248_281 Depth=1
	s_delay_alu instid0(SALU_CYCLE_1)
	s_or_b32 exec_lo, exec_lo, s16
.LBB248_429:                            ;   in Loop: Header=BB248_281 Depth=1
	s_delay_alu instid0(SALU_CYCLE_1) | instskip(SKIP_3) | instid1(VALU_DEP_2)
	s_or_b32 exec_lo, exec_lo, s15
	v_dual_lshrrev_b32 v4, 16, v16 :: v_dual_mov_b32 v18, 0
	v_mov_b32_e32 v19, 0
	s_mov_b32 s15, exec_lo
	v_and_b32_e32 v20, 0xff, v4
	s_delay_alu instid0(VALU_DEP_1)
	v_cmpx_ne_u16_e32 0, v20
	s_cbranch_execz .LBB248_437
; %bb.430:                              ;   in Loop: Header=BB248_281 Depth=1
	v_mov_b32_e32 v19, 0x8000
	s_mov_b32 s16, exec_lo
	v_cmpx_ne_u16_e32 0x80, v20
	s_cbranch_execz .LBB248_436
; %bb.431:                              ;   in Loop: Header=BB248_281 Depth=1
	v_bfe_u32 v21, v16, 16, 7
	v_mov_b32_e32 v19, 0x7c01
	s_mov_b32 s17, exec_lo
	s_delay_alu instid0(VALU_DEP_2)
	v_cmpx_ne_u32_e32 0x7f, v21
	s_cbranch_execz .LBB248_435
; %bb.432:                              ;   in Loop: Header=BB248_281 Depth=1
	v_dual_lshrrev_b32 v20, 3, v21 :: v_dual_bitop2_b32 v19, 7, v4 bitop3:0x40
	s_mov_b32 s18, exec_lo
	v_cmpx_gt_u32_e32 8, v21
; %bb.433:                              ;   in Loop: Header=BB248_281 Depth=1
	s_delay_alu instid0(VALU_DEP_2) | instskip(NEXT) | instid1(VALU_DEP_1)
	v_clz_i32_u32_e32 v19, v19
	v_min_u32_e32 v19, 32, v19
	s_delay_alu instid0(VALU_DEP_1) | instskip(NEXT) | instid1(VALU_DEP_1)
	v_subrev_nc_u32_e32 v20, 28, v19
	v_lshlrev_b64_e32 v[22:23], v20, v[4:5]
	s_delay_alu instid0(VALU_DEP_1)
	v_dual_sub_nc_u32 v20, 29, v19 :: v_dual_bitop2_b32 v19, 7, v22 bitop3:0x40
; %bb.434:                              ;   in Loop: Header=BB248_281 Depth=1
	s_or_b32 exec_lo, exec_lo, s18
	s_delay_alu instid0(VALU_DEP_1) | instskip(NEXT) | instid1(VALU_DEP_2)
	v_dual_lshlrev_b32 v4, 8, v4 :: v_dual_lshlrev_b32 v19, 7, v19
	v_lshl_add_u32 v20, v20, 10, 0x2000
	s_delay_alu instid0(VALU_DEP_2) | instskip(NEXT) | instid1(VALU_DEP_2)
	v_and_b32_e32 v4, 0x8000, v4
	v_and_b32_e32 v20, 0xfc00, v20
	s_delay_alu instid0(VALU_DEP_1)
	v_or3_b32 v19, v4, v20, v19
.LBB248_435:                            ;   in Loop: Header=BB248_281 Depth=1
	s_or_b32 exec_lo, exec_lo, s17
.LBB248_436:                            ;   in Loop: Header=BB248_281 Depth=1
	s_delay_alu instid0(SALU_CYCLE_1)
	s_or_b32 exec_lo, exec_lo, s16
.LBB248_437:                            ;   in Loop: Header=BB248_281 Depth=1
	s_delay_alu instid0(SALU_CYCLE_1) | instskip(NEXT) | instid1(SALU_CYCLE_1)
	s_or_b32 exec_lo, exec_lo, s15
	s_mov_b32 s15, exec_lo
	v_cmpx_lt_u32_e32 0xffffff, v16
	s_cbranch_execz .LBB248_445
; %bb.438:                              ;   in Loop: Header=BB248_281 Depth=1
	v_lshrrev_b32_e32 v4, 24, v16
	v_bfrev_b32_e32 v18, 1
	s_mov_b32 s16, exec_lo
	s_delay_alu instid0(VALU_DEP_2)
	v_cmpx_ne_u32_e32 0x80, v4
	s_cbranch_execz .LBB248_444
; %bb.439:                              ;   in Loop: Header=BB248_281 Depth=1
	v_and_b32_e32 v21, 0x7f, v4
	v_mov_b32_e32 v18, 0x7c010000
	s_mov_b32 s17, exec_lo
	s_delay_alu instid0(VALU_DEP_2)
	v_cmpx_ne_u32_e32 0x7f, v21
	s_cbranch_execz .LBB248_443
; %bb.440:                              ;   in Loop: Header=BB248_281 Depth=1
	v_dual_lshrrev_b32 v20, 3, v21 :: v_dual_bitop2_b32 v18, 7, v4 bitop3:0x40
	s_mov_b32 s18, exec_lo
	v_cmpx_gt_u32_e32 8, v21
; %bb.441:                              ;   in Loop: Header=BB248_281 Depth=1
	s_delay_alu instid0(VALU_DEP_2) | instskip(NEXT) | instid1(VALU_DEP_1)
	v_clz_i32_u32_e32 v18, v18
	v_min_u32_e32 v18, 32, v18
	s_delay_alu instid0(VALU_DEP_1) | instskip(NEXT) | instid1(VALU_DEP_1)
	v_subrev_nc_u32_e32 v20, 28, v18
	v_lshlrev_b64_e32 v[22:23], v20, v[4:5]
	v_sub_nc_u32_e32 v20, 29, v18
	s_delay_alu instid0(VALU_DEP_2)
	v_and_b32_e32 v18, 7, v22
; %bb.442:                              ;   in Loop: Header=BB248_281 Depth=1
	s_or_b32 exec_lo, exec_lo, s18
	s_delay_alu instid0(VALU_DEP_1) | instskip(NEXT) | instid1(VALU_DEP_3)
	v_dual_lshlrev_b32 v4, 8, v4 :: v_dual_lshlrev_b32 v18, 23, v18
	v_lshl_add_u32 v20, v20, 10, 0x2000
	s_delay_alu instid0(VALU_DEP_1) | instskip(NEXT) | instid1(VALU_DEP_1)
	v_and_or_b32 v4, 0x8000, v4, v20
	v_lshl_or_b32 v18, v4, 16, v18
.LBB248_443:                            ;   in Loop: Header=BB248_281 Depth=1
	s_or_b32 exec_lo, exec_lo, s17
.LBB248_444:                            ;   in Loop: Header=BB248_281 Depth=1
	s_delay_alu instid0(SALU_CYCLE_1)
	s_or_b32 exec_lo, exec_lo, s16
.LBB248_445:                            ;   in Loop: Header=BB248_281 Depth=1
	s_delay_alu instid0(SALU_CYCLE_1) | instskip(SKIP_4) | instid1(VALU_DEP_3)
	s_or_b32 exec_lo, exec_lo, s15
	v_and_b32_e32 v22, 0xff, v17
	v_dual_mov_b32 v4, v17 :: v_dual_mov_b32 v21, 0
	v_mov_b32_e32 v20, 0
	s_mov_b32 s15, exec_lo
	v_cmpx_ne_u16_e32 0, v22
	s_cbranch_execz .LBB248_453
; %bb.446:                              ;   in Loop: Header=BB248_281 Depth=1
	v_mov_b32_e32 v20, 0x8000
	s_mov_b32 s16, exec_lo
	v_cmpx_ne_u16_e32 0x80, v22
	s_cbranch_execz .LBB248_452
; %bb.447:                              ;   in Loop: Header=BB248_281 Depth=1
	v_and_b32_e32 v23, 0x7f, v17
	v_mov_b32_e32 v20, 0x7c01
	s_mov_b32 s17, exec_lo
	s_delay_alu instid0(VALU_DEP_2)
	v_cmpx_ne_u32_e32 0x7f, v23
	s_cbranch_execz .LBB248_451
; %bb.448:                              ;   in Loop: Header=BB248_281 Depth=1
	v_dual_lshrrev_b32 v22, 3, v23 :: v_dual_bitop2_b32 v20, 7, v17 bitop3:0x40
	s_mov_b32 s18, exec_lo
	v_cmpx_gt_u32_e32 8, v23
; %bb.449:                              ;   in Loop: Header=BB248_281 Depth=1
	s_delay_alu instid0(VALU_DEP_2) | instskip(NEXT) | instid1(VALU_DEP_1)
	v_clz_i32_u32_e32 v20, v20
	v_min_u32_e32 v20, 32, v20
	s_delay_alu instid0(VALU_DEP_1) | instskip(NEXT) | instid1(VALU_DEP_1)
	v_subrev_nc_u32_e32 v22, 28, v20
	v_lshlrev_b64_e32 v[24:25], v22, v[4:5]
	v_sub_nc_u32_e32 v22, 29, v20
	s_delay_alu instid0(VALU_DEP_2)
	v_and_b32_e32 v20, 7, v24
; %bb.450:                              ;   in Loop: Header=BB248_281 Depth=1
	s_or_b32 exec_lo, exec_lo, s18
	s_delay_alu instid0(VALU_DEP_1) | instskip(NEXT) | instid1(VALU_DEP_3)
	v_dual_lshlrev_b32 v23, 8, v17 :: v_dual_lshlrev_b32 v20, 7, v20
	v_lshl_add_u32 v22, v22, 10, 0x2000
	s_delay_alu instid0(VALU_DEP_2) | instskip(NEXT) | instid1(VALU_DEP_2)
	v_and_b32_e32 v23, 0x8000, v23
	v_and_b32_e32 v22, 0xfc00, v22
	s_delay_alu instid0(VALU_DEP_1)
	v_or3_b32 v20, v23, v22, v20
.LBB248_451:                            ;   in Loop: Header=BB248_281 Depth=1
	s_or_b32 exec_lo, exec_lo, s17
.LBB248_452:                            ;   in Loop: Header=BB248_281 Depth=1
	s_delay_alu instid0(SALU_CYCLE_1)
	s_or_b32 exec_lo, exec_lo, s16
.LBB248_453:                            ;   in Loop: Header=BB248_281 Depth=1
	s_delay_alu instid0(SALU_CYCLE_1) | instskip(SKIP_3) | instid1(VALU_DEP_2)
	s_or_b32 exec_lo, exec_lo, s15
	v_lshrrev_b16 v4, 8, v4
	v_mov_b32_e32 v22, 0
	s_mov_b32 s15, exec_lo
	v_cmpx_ne_u16_e32 0, v4
	s_cbranch_execz .LBB248_461
; %bb.454:                              ;   in Loop: Header=BB248_281 Depth=1
	v_bfrev_b32_e32 v22, 1
	s_mov_b32 s16, exec_lo
	v_cmpx_ne_u16_e32 0x80, v4
	s_cbranch_execz .LBB248_460
; %bb.455:                              ;   in Loop: Header=BB248_281 Depth=1
	v_and_b32_e32 v23, 0xffff, v4
	v_mov_b32_e32 v22, 0x7c010000
	s_mov_b32 s17, exec_lo
	s_delay_alu instid0(VALU_DEP_2) | instskip(NEXT) | instid1(VALU_DEP_1)
	v_and_b32_e32 v25, 0x7f, v23
	v_cmpx_ne_u32_e32 0x7f, v25
	s_cbranch_execz .LBB248_459
; %bb.456:                              ;   in Loop: Header=BB248_281 Depth=1
	v_dual_lshrrev_b32 v24, 3, v25 :: v_dual_bitop2_b32 v22, 7, v23 bitop3:0x40
	s_mov_b32 s18, exec_lo
	v_cmpx_gt_u32_e32 8, v25
; %bb.457:                              ;   in Loop: Header=BB248_281 Depth=1
	s_delay_alu instid0(VALU_DEP_2) | instskip(NEXT) | instid1(VALU_DEP_1)
	v_clz_i32_u32_e32 v22, v22
	v_min_u32_e32 v22, 32, v22
	s_delay_alu instid0(VALU_DEP_1) | instskip(NEXT) | instid1(VALU_DEP_1)
	v_subrev_nc_u32_e32 v24, 28, v22
	v_lshlrev_b64_e32 v[42:43], v24, v[4:5]
	v_sub_nc_u32_e32 v24, 29, v22
	s_delay_alu instid0(VALU_DEP_2)
	v_and_b32_e32 v22, 7, v42
; %bb.458:                              ;   in Loop: Header=BB248_281 Depth=1
	s_or_b32 exec_lo, exec_lo, s18
	s_delay_alu instid0(VALU_DEP_1) | instskip(NEXT) | instid1(VALU_DEP_3)
	v_dual_lshlrev_b32 v4, 8, v23 :: v_dual_lshlrev_b32 v22, 23, v22
	v_lshl_add_u32 v23, v24, 10, 0x2000
	s_delay_alu instid0(VALU_DEP_1) | instskip(NEXT) | instid1(VALU_DEP_1)
	v_and_or_b32 v4, 0x8000, v4, v23
	v_lshl_or_b32 v22, v4, 16, v22
.LBB248_459:                            ;   in Loop: Header=BB248_281 Depth=1
	s_or_b32 exec_lo, exec_lo, s17
.LBB248_460:                            ;   in Loop: Header=BB248_281 Depth=1
	s_delay_alu instid0(SALU_CYCLE_1)
	s_or_b32 exec_lo, exec_lo, s16
.LBB248_461:                            ;   in Loop: Header=BB248_281 Depth=1
	s_delay_alu instid0(SALU_CYCLE_1) | instskip(SKIP_2) | instid1(VALU_DEP_1)
	s_or_b32 exec_lo, exec_lo, s15
	v_lshrrev_b32_e32 v4, 16, v17
	s_mov_b32 s15, exec_lo
	v_and_b32_e32 v23, 0xff, v4
	s_delay_alu instid0(VALU_DEP_1)
	v_cmpx_ne_u16_e32 0, v23
	s_cbranch_execz .LBB248_469
; %bb.462:                              ;   in Loop: Header=BB248_281 Depth=1
	v_mov_b32_e32 v21, 0x8000
	s_mov_b32 s16, exec_lo
	v_cmpx_ne_u16_e32 0x80, v23
	s_cbranch_execz .LBB248_468
; %bb.463:                              ;   in Loop: Header=BB248_281 Depth=1
	v_bfe_u32 v24, v17, 16, 7
	v_mov_b32_e32 v21, 0x7c01
	s_mov_b32 s17, exec_lo
	s_delay_alu instid0(VALU_DEP_2)
	v_cmpx_ne_u32_e32 0x7f, v24
	s_cbranch_execz .LBB248_467
; %bb.464:                              ;   in Loop: Header=BB248_281 Depth=1
	v_and_b32_e32 v21, 7, v4
	v_lshrrev_b32_e32 v23, 3, v24
	s_mov_b32 s18, exec_lo
	v_cmpx_gt_u32_e32 8, v24
; %bb.465:                              ;   in Loop: Header=BB248_281 Depth=1
	s_delay_alu instid0(VALU_DEP_3) | instskip(NEXT) | instid1(VALU_DEP_1)
	v_clz_i32_u32_e32 v21, v21
	v_min_u32_e32 v21, 32, v21
	s_delay_alu instid0(VALU_DEP_1) | instskip(NEXT) | instid1(VALU_DEP_1)
	v_subrev_nc_u32_e32 v23, 28, v21
	v_lshlrev_b64_e32 v[24:25], v23, v[4:5]
	s_delay_alu instid0(VALU_DEP_1)
	v_dual_sub_nc_u32 v23, 29, v21 :: v_dual_bitop2_b32 v21, 7, v24 bitop3:0x40
; %bb.466:                              ;   in Loop: Header=BB248_281 Depth=1
	s_or_b32 exec_lo, exec_lo, s18
	s_delay_alu instid0(VALU_DEP_1) | instskip(NEXT) | instid1(VALU_DEP_2)
	v_dual_lshlrev_b32 v4, 8, v4 :: v_dual_lshlrev_b32 v21, 7, v21
	v_lshl_add_u32 v23, v23, 10, 0x2000
	s_delay_alu instid0(VALU_DEP_2) | instskip(NEXT) | instid1(VALU_DEP_2)
	v_and_b32_e32 v4, 0x8000, v4
	v_and_b32_e32 v23, 0xfc00, v23
	s_delay_alu instid0(VALU_DEP_1)
	v_or3_b32 v21, v4, v23, v21
.LBB248_467:                            ;   in Loop: Header=BB248_281 Depth=1
	s_or_b32 exec_lo, exec_lo, s17
.LBB248_468:                            ;   in Loop: Header=BB248_281 Depth=1
	s_delay_alu instid0(SALU_CYCLE_1)
	s_or_b32 exec_lo, exec_lo, s16
.LBB248_469:                            ;   in Loop: Header=BB248_281 Depth=1
	s_delay_alu instid0(SALU_CYCLE_1)
	s_or_b32 exec_lo, exec_lo, s15
	v_cmp_lt_u64_e64 s1, s[4:5], v[16:17]
	v_mov_b32_e32 v16, 0
	s_and_saveexec_b32 s15, s1
	s_cbranch_execz .LBB248_477
; %bb.470:                              ;   in Loop: Header=BB248_281 Depth=1
	v_lshrrev_b32_e32 v4, 24, v17
	v_bfrev_b32_e32 v16, 1
	s_mov_b32 s16, exec_lo
	s_delay_alu instid0(VALU_DEP_2)
	v_cmpx_ne_u32_e32 0x80, v4
	s_cbranch_execz .LBB248_476
; %bb.471:                              ;   in Loop: Header=BB248_281 Depth=1
	v_and_b32_e32 v23, 0x7f, v4
	v_mov_b32_e32 v16, 0x7c010000
	s_mov_b32 s17, exec_lo
	s_delay_alu instid0(VALU_DEP_2)
	v_cmpx_ne_u32_e32 0x7f, v23
	s_cbranch_execz .LBB248_475
; %bb.472:                              ;   in Loop: Header=BB248_281 Depth=1
	v_dual_lshrrev_b32 v17, 3, v23 :: v_dual_bitop2_b32 v16, 7, v4 bitop3:0x40
	s_mov_b32 s18, exec_lo
	v_cmpx_gt_u32_e32 8, v23
; %bb.473:                              ;   in Loop: Header=BB248_281 Depth=1
	s_delay_alu instid0(VALU_DEP_2) | instskip(NEXT) | instid1(VALU_DEP_1)
	v_clz_i32_u32_e32 v16, v16
	v_min_u32_e32 v23, 32, v16
	s_delay_alu instid0(VALU_DEP_1) | instskip(NEXT) | instid1(VALU_DEP_1)
	v_subrev_nc_u32_e32 v16, 28, v23
	v_lshlrev_b64_e32 v[16:17], v16, v[4:5]
	s_delay_alu instid0(VALU_DEP_1)
	v_dual_sub_nc_u32 v17, 29, v23 :: v_dual_bitop2_b32 v16, 7, v16 bitop3:0x40
; %bb.474:                              ;   in Loop: Header=BB248_281 Depth=1
	s_or_b32 exec_lo, exec_lo, s18
	v_lshlrev_b32_e32 v4, 8, v4
	s_delay_alu instid0(VALU_DEP_2) | instskip(NEXT) | instid1(VALU_DEP_3)
	v_lshl_add_u32 v17, v17, 10, 0x2000
	v_lshlrev_b32_e32 v16, 23, v16
	s_delay_alu instid0(VALU_DEP_2) | instskip(NEXT) | instid1(VALU_DEP_1)
	v_and_or_b32 v4, 0x8000, v4, v17
	v_lshl_or_b32 v16, v4, 16, v16
.LBB248_475:                            ;   in Loop: Header=BB248_281 Depth=1
	s_or_b32 exec_lo, exec_lo, s17
.LBB248_476:                            ;   in Loop: Header=BB248_281 Depth=1
	s_delay_alu instid0(SALU_CYCLE_1)
	s_or_b32 exec_lo, exec_lo, s16
.LBB248_477:                            ;   in Loop: Header=BB248_281 Depth=1
	s_delay_alu instid0(SALU_CYCLE_1) | instskip(SKIP_3) | instid1(VALU_DEP_3)
	s_or_b32 exec_lo, exec_lo, s15
	v_dual_lshrrev_b32 v4, 16, v1 :: v_dual_lshrrev_b32 v17, 16, v18
	v_or_b32_e32 v1, v1, v15
	v_dual_lshrrev_b32 v23, 16, v16 :: v_dual_bitop2_b32 v15, v18, v19 bitop3:0x54
	v_cvt_f32_f16_e32 v19, v4
	s_delay_alu instid0(VALU_DEP_4) | instskip(SKIP_1) | instid1(VALU_DEP_4)
	v_cvt_f32_f16_e32 v18, v17
	v_dual_lshrrev_b32 v21, 16, v22 :: v_dual_bitop2_b32 v4, v16, v21 bitop3:0x54
	v_cvt_f32_f16_e32 v16, v15
	v_cvt_f32_f16_e32 v17, v1
	s_wait_loadcnt 0x0
	v_pk_mul_f32 v[18:19], v[14:15], v[18:19] op_sel_hi:[0,1]
	v_cvt_f32_f16_e32 v21, v21
	s_delay_alu instid0(VALU_DEP_2) | instskip(SKIP_3) | instid1(VALU_DEP_3)
	v_cvt_pk_f16_f32 v1, v18, v19
	v_or_b32_e32 v15, v22, v20
	v_cvt_f32_f16_e32 v20, v23
	v_cvt_f32_f16_e32 v22, v4
	v_cvt_f32_f16_e32 v23, v15
	v_pk_mul_f32 v[16:17], v[14:15], v[16:17] op_sel_hi:[0,1]
	s_delay_alu instid0(VALU_DEP_4) | instskip(NEXT) | instid1(VALU_DEP_3)
	v_pk_mul_f32 v[18:19], v[14:15], v[20:21] op_sel_hi:[0,1]
	v_pk_mul_f32 v[20:21], v[14:15], v[22:23] op_sel_hi:[0,1]
	s_delay_alu instid0(VALU_DEP_3) | instskip(NEXT) | instid1(VALU_DEP_3)
	v_cvt_pk_f16_f32 v4, v16, v17
	v_cvt_pk_f16_f32 v15, v18, v19
	v_and_b32_e32 v17, 0xffff0000, v1
	v_lshlrev_b32_e32 v14, 16, v1
	v_cvt_pk_f16_f32 v16, v20, v21
	v_lshrrev_b32_e32 v19, 16, v4
	v_and_b32_e32 v18, 0xffff, v4
	v_and_b32_e32 v1, 0xffff0000, v15
	s_delay_alu instid0(VALU_DEP_4) | instskip(SKIP_3) | instid1(VALU_DEP_4)
	v_dual_lshlrev_b32 v4, 16, v15 :: v_dual_lshrrev_b32 v15, 16, v16
	v_and_b32_e32 v16, 0xffff, v16
	v_or_b32_e32 v23, v17, v19
	v_or_b32_e32 v22, v14, v18
	;; [unrolled: 1-line block ×3, first 2 shown]
	s_delay_alu instid0(VALU_DEP_4)
	v_or_b32_e32 v20, v4, v16
	s_and_saveexec_b32 s15, s0
	s_cbranch_execz .LBB248_479
; %bb.478:                              ;   in Loop: Header=BB248_281 Depth=1
	v_dual_add_nc_u32 v20, 2, v29 :: v_dual_bitop2_b32 v21, 1, v29 bitop3:0x54
	v_cmp_gt_i32_e64 s1, s14, v29
	v_or_b32_e32 v22, 3, v29
	s_delay_alu instid0(VALU_DEP_2) | instskip(NEXT) | instid1(VALU_DEP_4)
	v_dual_cndmask_b32 v19, 0, v19, s1 :: v_dual_bitop2_b32 v23, 7, v29 bitop3:0x54
	v_cmp_gt_i32_e64 s1, s23, v20
	s_delay_alu instid0(VALU_DEP_1) | instskip(SKIP_1) | instid1(VALU_DEP_1)
	v_cndmask_b32_e64 v18, 0, v18, s1
	v_cmp_gt_i32_e64 s1, s14, v21
	v_cndmask_b32_e64 v17, 0, v17, s1
	v_cmp_gt_i32_e64 s1, s23, v22
	s_delay_alu instid0(VALU_DEP_1) | instskip(NEXT) | instid1(VALU_DEP_1)
	v_dual_cndmask_b32 v14, 0, v14, s1 :: v_dual_bitop2_b32 v20, 4, v29 bitop3:0x54
	v_cmp_gt_i32_e64 s1, s14, v20
	s_delay_alu instid0(VALU_DEP_1) | instskip(NEXT) | instid1(VALU_DEP_1)
	v_dual_cndmask_b32 v15, 0, v15, s1 :: v_dual_bitop2_b32 v21, 6, v29 bitop3:0x54
	;; [unrolled: 3-line block ×3, first 2 shown]
	v_cmp_gt_i32_e64 s1, s14, v22
	s_delay_alu instid0(VALU_DEP_1) | instskip(SKIP_2) | instid1(VALU_DEP_2)
	v_dual_cndmask_b32 v1, 0, v1, s1 :: v_dual_bitop2_b32 v22, v14, v18 bitop3:0x54
	v_cmp_gt_i32_e64 s1, s23, v23
	v_or_b32_e32 v23, v17, v19
	v_dual_cndmask_b32 v4, 0, v4, s1 :: v_dual_bitop2_b32 v21, v1, v15 bitop3:0x54
	s_delay_alu instid0(VALU_DEP_1)
	v_or_b32_e32 v20, v4, v16
.LBB248_479:                            ;   in Loop: Header=BB248_281 Depth=1
	s_or_b32 exec_lo, exec_lo, s15
	;;#ASMSTART
	v_pk_mul_f16 v1, v41, v23;

	;;#ASMEND
	;;#ASMSTART
	v_pk_mul_f16 v4, v40, v22;

	;;#ASMEND
	;; [unrolled: 4-line block ×4, first 2 shown]
	;;#ASMSTART
	v_pk_add_f16 v1, v1, v4;

	;;#ASMEND
	;;#ASMSTART
	v_pk_add_f16 v1, v1, v14;

	;;#ASMEND
	;; [unrolled: 4-line block ×3, first 2 shown]
	v_and_b32_e32 v4, 0xffff, v1
	v_lshrrev_b32_e32 v1, 16, v1
	;;#ASMSTART
	v_cvt_f32_f16 v24, v4;
	;;#ASMEND
	;;#ASMSTART
	v_cvt_f32_f16 v25, v1;
	;;#ASMEND
	s_and_saveexec_b32 s15, vcc_lo
	s_cbranch_execz .LBB248_280
; %bb.480:                              ;   in Loop: Header=BB248_281 Depth=1
	v_add_nc_u64_e32 v[12:13], v[12:13], v[8:9]
	v_mov_b32_e32 v1, 0
	s_mov_b32 s16, exec_lo
	global_load_b64 v[14:15], v[12:13], off
	s_wait_xcnt 0x0
	v_mov_b32_e32 v13, 0
	global_load_b32 v12, v1, s[10:11]
	s_wait_loadcnt 0x1
	v_and_b32_e32 v4, 0xff, v14
	s_wait_xcnt 0x0
	s_delay_alu instid0(VALU_DEP_1)
	v_cmpx_ne_u16_e32 0, v4
	s_cbranch_execz .LBB248_488
; %bb.481:                              ;   in Loop: Header=BB248_281 Depth=1
	v_mov_b32_e32 v13, 0x8000
	s_mov_b32 s17, exec_lo
	v_cmpx_ne_u16_e32 0x80, v4
	s_cbranch_execz .LBB248_487
; %bb.482:                              ;   in Loop: Header=BB248_281 Depth=1
	v_and_b32_e32 v16, 0x7f, v14
	v_mov_b32_e32 v13, 0x7c01
	s_mov_b32 s18, exec_lo
	s_delay_alu instid0(VALU_DEP_2)
	v_cmpx_ne_u32_e32 0x7f, v16
	s_cbranch_execz .LBB248_486
; %bb.483:                              ;   in Loop: Header=BB248_281 Depth=1
	v_dual_lshrrev_b32 v13, 3, v16 :: v_dual_bitop2_b32 v4, 7, v14 bitop3:0x40
	s_mov_b32 s19, exec_lo
	v_cmpx_gt_u32_e32 8, v16
; %bb.484:                              ;   in Loop: Header=BB248_281 Depth=1
	s_delay_alu instid0(VALU_DEP_2) | instskip(NEXT) | instid1(VALU_DEP_1)
	v_clz_i32_u32_e32 v4, v4
	v_min_u32_e32 v4, 32, v4
	s_delay_alu instid0(VALU_DEP_1) | instskip(NEXT) | instid1(VALU_DEP_1)
	v_subrev_nc_u32_e32 v13, 28, v4
	v_lshlrev_b64_e32 v[16:17], v13, v[14:15]
	v_sub_nc_u32_e32 v13, 29, v4
	s_delay_alu instid0(VALU_DEP_2)
	v_and_b32_e32 v4, 7, v16
; %bb.485:                              ;   in Loop: Header=BB248_281 Depth=1
	s_or_b32 exec_lo, exec_lo, s19
	s_delay_alu instid0(VALU_DEP_1) | instskip(NEXT) | instid1(VALU_DEP_3)
	v_dual_lshlrev_b32 v16, 8, v14 :: v_dual_lshlrev_b32 v4, 7, v4
	v_lshl_add_u32 v13, v13, 10, 0x2000
	s_delay_alu instid0(VALU_DEP_2) | instskip(NEXT) | instid1(VALU_DEP_2)
	v_and_b32_e32 v16, 0x8000, v16
	v_and_b32_e32 v13, 0xfc00, v13
	s_delay_alu instid0(VALU_DEP_1)
	v_or3_b32 v13, v16, v13, v4
.LBB248_486:                            ;   in Loop: Header=BB248_281 Depth=1
	s_or_b32 exec_lo, exec_lo, s18
.LBB248_487:                            ;   in Loop: Header=BB248_281 Depth=1
	s_delay_alu instid0(SALU_CYCLE_1)
	s_or_b32 exec_lo, exec_lo, s17
.LBB248_488:                            ;   in Loop: Header=BB248_281 Depth=1
	s_delay_alu instid0(SALU_CYCLE_1) | instskip(SKIP_2) | instid1(VALU_DEP_1)
	s_or_b32 exec_lo, exec_lo, s16
	v_lshrrev_b16 v4, 8, v14
	s_mov_b32 s16, exec_lo
	v_cmpx_ne_u16_e32 0, v4
	s_cbranch_execz .LBB248_496
; %bb.489:                              ;   in Loop: Header=BB248_281 Depth=1
	v_bfrev_b32_e32 v1, 1
	s_mov_b32 s17, exec_lo
	v_cmpx_ne_u16_e32 0x80, v4
	s_cbranch_execz .LBB248_495
; %bb.490:                              ;   in Loop: Header=BB248_281 Depth=1
	v_and_b32_e32 v16, 0xffff, v4
	v_mov_b32_e32 v1, 0x7c010000
	s_mov_b32 s18, exec_lo
	s_delay_alu instid0(VALU_DEP_2) | instskip(NEXT) | instid1(VALU_DEP_1)
	v_and_b32_e32 v18, 0x7f, v16
	v_cmpx_ne_u32_e32 0x7f, v18
	s_cbranch_execz .LBB248_494
; %bb.491:                              ;   in Loop: Header=BB248_281 Depth=1
	v_dual_lshrrev_b32 v17, 3, v18 :: v_dual_bitop2_b32 v1, 7, v16 bitop3:0x40
	s_mov_b32 s19, exec_lo
	v_cmpx_gt_u32_e32 8, v18
; %bb.492:                              ;   in Loop: Header=BB248_281 Depth=1
	s_delay_alu instid0(VALU_DEP_2) | instskip(NEXT) | instid1(VALU_DEP_1)
	v_clz_i32_u32_e32 v1, v1
	v_min_u32_e32 v1, 32, v1
	s_delay_alu instid0(VALU_DEP_1) | instskip(NEXT) | instid1(VALU_DEP_1)
	v_subrev_nc_u32_e32 v17, 28, v1
	v_lshlrev_b64_e32 v[18:19], v17, v[4:5]
	s_delay_alu instid0(VALU_DEP_1)
	v_dual_sub_nc_u32 v17, 29, v1 :: v_dual_bitop2_b32 v1, 7, v18 bitop3:0x40
; %bb.493:                              ;   in Loop: Header=BB248_281 Depth=1
	s_or_b32 exec_lo, exec_lo, s19
	s_delay_alu instid0(VALU_DEP_1) | instskip(NEXT) | instid1(VALU_DEP_2)
	v_dual_lshlrev_b32 v4, 8, v16 :: v_dual_lshlrev_b32 v1, 23, v1
	v_lshl_add_u32 v16, v17, 10, 0x2000
	s_delay_alu instid0(VALU_DEP_1) | instskip(NEXT) | instid1(VALU_DEP_1)
	v_and_or_b32 v4, 0x8000, v4, v16
	v_lshl_or_b32 v1, v4, 16, v1
.LBB248_494:                            ;   in Loop: Header=BB248_281 Depth=1
	s_or_b32 exec_lo, exec_lo, s18
.LBB248_495:                            ;   in Loop: Header=BB248_281 Depth=1
	s_delay_alu instid0(SALU_CYCLE_1)
	s_or_b32 exec_lo, exec_lo, s17
.LBB248_496:                            ;   in Loop: Header=BB248_281 Depth=1
	s_delay_alu instid0(SALU_CYCLE_1) | instskip(SKIP_3) | instid1(VALU_DEP_2)
	s_or_b32 exec_lo, exec_lo, s16
	v_dual_lshrrev_b32 v4, 16, v14 :: v_dual_mov_b32 v16, 0
	v_mov_b32_e32 v17, 0
	s_mov_b32 s16, exec_lo
	v_and_b32_e32 v18, 0xff, v4
	s_delay_alu instid0(VALU_DEP_1)
	v_cmpx_ne_u16_e32 0, v18
	s_cbranch_execz .LBB248_504
; %bb.497:                              ;   in Loop: Header=BB248_281 Depth=1
	v_mov_b32_e32 v17, 0x8000
	s_mov_b32 s17, exec_lo
	v_cmpx_ne_u16_e32 0x80, v18
	s_cbranch_execz .LBB248_503
; %bb.498:                              ;   in Loop: Header=BB248_281 Depth=1
	v_bfe_u32 v19, v14, 16, 7
	v_mov_b32_e32 v17, 0x7c01
	s_mov_b32 s18, exec_lo
	s_delay_alu instid0(VALU_DEP_2)
	v_cmpx_ne_u32_e32 0x7f, v19
	s_cbranch_execz .LBB248_502
; %bb.499:                              ;   in Loop: Header=BB248_281 Depth=1
	v_dual_lshrrev_b32 v18, 3, v19 :: v_dual_bitop2_b32 v17, 7, v4 bitop3:0x40
	s_mov_b32 s19, exec_lo
	v_cmpx_gt_u32_e32 8, v19
; %bb.500:                              ;   in Loop: Header=BB248_281 Depth=1
	s_delay_alu instid0(VALU_DEP_2) | instskip(NEXT) | instid1(VALU_DEP_1)
	v_clz_i32_u32_e32 v17, v17
	v_min_u32_e32 v17, 32, v17
	s_delay_alu instid0(VALU_DEP_1) | instskip(NEXT) | instid1(VALU_DEP_1)
	v_subrev_nc_u32_e32 v18, 28, v17
	v_lshlrev_b64_e32 v[20:21], v18, v[4:5]
	s_delay_alu instid0(VALU_DEP_1)
	v_dual_sub_nc_u32 v18, 29, v17 :: v_dual_bitop2_b32 v17, 7, v20 bitop3:0x40
; %bb.501:                              ;   in Loop: Header=BB248_281 Depth=1
	s_or_b32 exec_lo, exec_lo, s19
	s_delay_alu instid0(VALU_DEP_1) | instskip(NEXT) | instid1(VALU_DEP_2)
	v_dual_lshlrev_b32 v4, 8, v4 :: v_dual_lshlrev_b32 v17, 7, v17
	v_lshl_add_u32 v18, v18, 10, 0x2000
	s_delay_alu instid0(VALU_DEP_2) | instskip(NEXT) | instid1(VALU_DEP_2)
	v_and_b32_e32 v4, 0x8000, v4
	v_and_b32_e32 v18, 0xfc00, v18
	s_delay_alu instid0(VALU_DEP_1)
	v_or3_b32 v17, v4, v18, v17
.LBB248_502:                            ;   in Loop: Header=BB248_281 Depth=1
	s_or_b32 exec_lo, exec_lo, s18
.LBB248_503:                            ;   in Loop: Header=BB248_281 Depth=1
	s_delay_alu instid0(SALU_CYCLE_1)
	s_or_b32 exec_lo, exec_lo, s17
.LBB248_504:                            ;   in Loop: Header=BB248_281 Depth=1
	s_delay_alu instid0(SALU_CYCLE_1) | instskip(NEXT) | instid1(SALU_CYCLE_1)
	s_or_b32 exec_lo, exec_lo, s16
	s_mov_b32 s16, exec_lo
	v_cmpx_lt_u32_e32 0xffffff, v14
	s_cbranch_execz .LBB248_512
; %bb.505:                              ;   in Loop: Header=BB248_281 Depth=1
	v_lshrrev_b32_e32 v4, 24, v14
	v_bfrev_b32_e32 v16, 1
	s_mov_b32 s17, exec_lo
	s_delay_alu instid0(VALU_DEP_2)
	v_cmpx_ne_u32_e32 0x80, v4
	s_cbranch_execz .LBB248_511
; %bb.506:                              ;   in Loop: Header=BB248_281 Depth=1
	v_and_b32_e32 v19, 0x7f, v4
	v_mov_b32_e32 v16, 0x7c010000
	s_mov_b32 s18, exec_lo
	s_delay_alu instid0(VALU_DEP_2)
	v_cmpx_ne_u32_e32 0x7f, v19
	s_cbranch_execz .LBB248_510
; %bb.507:                              ;   in Loop: Header=BB248_281 Depth=1
	v_dual_lshrrev_b32 v18, 3, v19 :: v_dual_bitop2_b32 v16, 7, v4 bitop3:0x40
	s_mov_b32 s19, exec_lo
	v_cmpx_gt_u32_e32 8, v19
; %bb.508:                              ;   in Loop: Header=BB248_281 Depth=1
	s_delay_alu instid0(VALU_DEP_2) | instskip(NEXT) | instid1(VALU_DEP_1)
	v_clz_i32_u32_e32 v16, v16
	v_min_u32_e32 v16, 32, v16
	s_delay_alu instid0(VALU_DEP_1) | instskip(NEXT) | instid1(VALU_DEP_1)
	v_subrev_nc_u32_e32 v18, 28, v16
	v_lshlrev_b64_e32 v[20:21], v18, v[4:5]
	v_sub_nc_u32_e32 v18, 29, v16
	s_delay_alu instid0(VALU_DEP_2)
	v_and_b32_e32 v16, 7, v20
; %bb.509:                              ;   in Loop: Header=BB248_281 Depth=1
	s_or_b32 exec_lo, exec_lo, s19
	v_lshlrev_b32_e32 v4, 8, v4
	s_delay_alu instid0(VALU_DEP_3) | instskip(NEXT) | instid1(VALU_DEP_3)
	v_lshl_add_u32 v18, v18, 10, 0x2000
	v_lshlrev_b32_e32 v16, 23, v16
	s_delay_alu instid0(VALU_DEP_2) | instskip(NEXT) | instid1(VALU_DEP_1)
	v_and_or_b32 v4, 0x8000, v4, v18
	v_lshl_or_b32 v16, v4, 16, v16
.LBB248_510:                            ;   in Loop: Header=BB248_281 Depth=1
	s_or_b32 exec_lo, exec_lo, s18
.LBB248_511:                            ;   in Loop: Header=BB248_281 Depth=1
	s_delay_alu instid0(SALU_CYCLE_1)
	s_or_b32 exec_lo, exec_lo, s17
.LBB248_512:                            ;   in Loop: Header=BB248_281 Depth=1
	s_delay_alu instid0(SALU_CYCLE_1) | instskip(SKIP_4) | instid1(VALU_DEP_3)
	s_or_b32 exec_lo, exec_lo, s16
	v_and_b32_e32 v20, 0xff, v15
	v_dual_mov_b32 v4, v15 :: v_dual_mov_b32 v19, 0
	v_mov_b32_e32 v18, 0
	s_mov_b32 s16, exec_lo
	v_cmpx_ne_u16_e32 0, v20
	s_cbranch_execz .LBB248_520
; %bb.513:                              ;   in Loop: Header=BB248_281 Depth=1
	v_mov_b32_e32 v18, 0x8000
	s_mov_b32 s17, exec_lo
	v_cmpx_ne_u16_e32 0x80, v20
	s_cbranch_execz .LBB248_519
; %bb.514:                              ;   in Loop: Header=BB248_281 Depth=1
	v_and_b32_e32 v21, 0x7f, v15
	v_mov_b32_e32 v18, 0x7c01
	s_mov_b32 s18, exec_lo
	s_delay_alu instid0(VALU_DEP_2)
	v_cmpx_ne_u32_e32 0x7f, v21
	s_cbranch_execz .LBB248_518
; %bb.515:                              ;   in Loop: Header=BB248_281 Depth=1
	v_dual_lshrrev_b32 v20, 3, v21 :: v_dual_bitop2_b32 v18, 7, v15 bitop3:0x40
	s_mov_b32 s19, exec_lo
	v_cmpx_gt_u32_e32 8, v21
; %bb.516:                              ;   in Loop: Header=BB248_281 Depth=1
	s_delay_alu instid0(VALU_DEP_2) | instskip(NEXT) | instid1(VALU_DEP_1)
	v_clz_i32_u32_e32 v18, v18
	v_min_u32_e32 v18, 32, v18
	s_delay_alu instid0(VALU_DEP_1) | instskip(NEXT) | instid1(VALU_DEP_1)
	v_subrev_nc_u32_e32 v20, 28, v18
	v_lshlrev_b64_e32 v[22:23], v20, v[4:5]
	v_sub_nc_u32_e32 v20, 29, v18
	s_delay_alu instid0(VALU_DEP_2)
	v_and_b32_e32 v18, 7, v22
; %bb.517:                              ;   in Loop: Header=BB248_281 Depth=1
	s_or_b32 exec_lo, exec_lo, s19
	s_delay_alu instid0(VALU_DEP_1) | instskip(NEXT) | instid1(VALU_DEP_3)
	v_dual_lshlrev_b32 v21, 8, v15 :: v_dual_lshlrev_b32 v18, 7, v18
	v_lshl_add_u32 v20, v20, 10, 0x2000
	s_delay_alu instid0(VALU_DEP_2) | instskip(NEXT) | instid1(VALU_DEP_2)
	v_and_b32_e32 v21, 0x8000, v21
	v_and_b32_e32 v20, 0xfc00, v20
	s_delay_alu instid0(VALU_DEP_1)
	v_or3_b32 v18, v21, v20, v18
.LBB248_518:                            ;   in Loop: Header=BB248_281 Depth=1
	s_or_b32 exec_lo, exec_lo, s18
.LBB248_519:                            ;   in Loop: Header=BB248_281 Depth=1
	s_delay_alu instid0(SALU_CYCLE_1)
	s_or_b32 exec_lo, exec_lo, s17
.LBB248_520:                            ;   in Loop: Header=BB248_281 Depth=1
	s_delay_alu instid0(SALU_CYCLE_1) | instskip(SKIP_3) | instid1(VALU_DEP_2)
	s_or_b32 exec_lo, exec_lo, s16
	v_lshrrev_b16 v4, 8, v4
	v_mov_b32_e32 v20, 0
	s_mov_b32 s16, exec_lo
	v_cmpx_ne_u16_e32 0, v4
	s_cbranch_execz .LBB248_528
; %bb.521:                              ;   in Loop: Header=BB248_281 Depth=1
	v_bfrev_b32_e32 v20, 1
	s_mov_b32 s17, exec_lo
	v_cmpx_ne_u16_e32 0x80, v4
	s_cbranch_execz .LBB248_527
; %bb.522:                              ;   in Loop: Header=BB248_281 Depth=1
	v_and_b32_e32 v21, 0xffff, v4
	v_mov_b32_e32 v20, 0x7c010000
	s_mov_b32 s18, exec_lo
	s_delay_alu instid0(VALU_DEP_2) | instskip(NEXT) | instid1(VALU_DEP_1)
	v_and_b32_e32 v23, 0x7f, v21
	v_cmpx_ne_u32_e32 0x7f, v23
	s_cbranch_execz .LBB248_526
; %bb.523:                              ;   in Loop: Header=BB248_281 Depth=1
	v_dual_lshrrev_b32 v22, 3, v23 :: v_dual_bitop2_b32 v20, 7, v21 bitop3:0x40
	s_mov_b32 s19, exec_lo
	v_cmpx_gt_u32_e32 8, v23
; %bb.524:                              ;   in Loop: Header=BB248_281 Depth=1
	s_delay_alu instid0(VALU_DEP_2) | instskip(NEXT) | instid1(VALU_DEP_1)
	v_clz_i32_u32_e32 v20, v20
	v_min_u32_e32 v20, 32, v20
	s_delay_alu instid0(VALU_DEP_1) | instskip(NEXT) | instid1(VALU_DEP_1)
	v_subrev_nc_u32_e32 v22, 28, v20
	v_lshlrev_b64_e32 v[42:43], v22, v[4:5]
	s_delay_alu instid0(VALU_DEP_1)
	v_dual_sub_nc_u32 v22, 29, v20 :: v_dual_bitop2_b32 v20, 7, v42 bitop3:0x40
; %bb.525:                              ;   in Loop: Header=BB248_281 Depth=1
	s_or_b32 exec_lo, exec_lo, s19
	s_delay_alu instid0(VALU_DEP_1) | instskip(NEXT) | instid1(VALU_DEP_2)
	v_dual_lshlrev_b32 v4, 8, v21 :: v_dual_lshlrev_b32 v20, 23, v20
	v_lshl_add_u32 v21, v22, 10, 0x2000
	s_delay_alu instid0(VALU_DEP_1) | instskip(NEXT) | instid1(VALU_DEP_1)
	v_and_or_b32 v4, 0x8000, v4, v21
	v_lshl_or_b32 v20, v4, 16, v20
.LBB248_526:                            ;   in Loop: Header=BB248_281 Depth=1
	s_or_b32 exec_lo, exec_lo, s18
.LBB248_527:                            ;   in Loop: Header=BB248_281 Depth=1
	s_delay_alu instid0(SALU_CYCLE_1)
	s_or_b32 exec_lo, exec_lo, s17
.LBB248_528:                            ;   in Loop: Header=BB248_281 Depth=1
	s_delay_alu instid0(SALU_CYCLE_1) | instskip(SKIP_2) | instid1(VALU_DEP_1)
	s_or_b32 exec_lo, exec_lo, s16
	v_lshrrev_b32_e32 v4, 16, v15
	s_mov_b32 s16, exec_lo
	v_and_b32_e32 v21, 0xff, v4
	s_delay_alu instid0(VALU_DEP_1)
	v_cmpx_ne_u16_e32 0, v21
	s_cbranch_execz .LBB248_536
; %bb.529:                              ;   in Loop: Header=BB248_281 Depth=1
	v_mov_b32_e32 v19, 0x8000
	s_mov_b32 s17, exec_lo
	v_cmpx_ne_u16_e32 0x80, v21
	s_cbranch_execz .LBB248_535
; %bb.530:                              ;   in Loop: Header=BB248_281 Depth=1
	v_bfe_u32 v22, v15, 16, 7
	v_mov_b32_e32 v19, 0x7c01
	s_mov_b32 s18, exec_lo
	s_delay_alu instid0(VALU_DEP_2)
	v_cmpx_ne_u32_e32 0x7f, v22
	s_cbranch_execz .LBB248_534
; %bb.531:                              ;   in Loop: Header=BB248_281 Depth=1
	v_dual_lshrrev_b32 v21, 3, v22 :: v_dual_bitop2_b32 v19, 7, v4 bitop3:0x40
	s_mov_b32 s19, exec_lo
	v_cmpx_gt_u32_e32 8, v22
; %bb.532:                              ;   in Loop: Header=BB248_281 Depth=1
	s_delay_alu instid0(VALU_DEP_2) | instskip(NEXT) | instid1(VALU_DEP_1)
	v_clz_i32_u32_e32 v19, v19
	v_min_u32_e32 v19, 32, v19
	s_delay_alu instid0(VALU_DEP_1) | instskip(NEXT) | instid1(VALU_DEP_1)
	v_subrev_nc_u32_e32 v21, 28, v19
	v_lshlrev_b64_e32 v[22:23], v21, v[4:5]
	s_delay_alu instid0(VALU_DEP_1)
	v_dual_sub_nc_u32 v21, 29, v19 :: v_dual_bitop2_b32 v19, 7, v22 bitop3:0x40
; %bb.533:                              ;   in Loop: Header=BB248_281 Depth=1
	s_or_b32 exec_lo, exec_lo, s19
	s_delay_alu instid0(VALU_DEP_1) | instskip(NEXT) | instid1(VALU_DEP_2)
	v_dual_lshlrev_b32 v4, 8, v4 :: v_dual_lshlrev_b32 v19, 7, v19
	v_lshl_add_u32 v21, v21, 10, 0x2000
	s_delay_alu instid0(VALU_DEP_2) | instskip(NEXT) | instid1(VALU_DEP_2)
	v_and_b32_e32 v4, 0x8000, v4
	v_and_b32_e32 v21, 0xfc00, v21
	s_delay_alu instid0(VALU_DEP_1)
	v_or3_b32 v19, v4, v21, v19
.LBB248_534:                            ;   in Loop: Header=BB248_281 Depth=1
	s_or_b32 exec_lo, exec_lo, s18
.LBB248_535:                            ;   in Loop: Header=BB248_281 Depth=1
	s_delay_alu instid0(SALU_CYCLE_1)
	s_or_b32 exec_lo, exec_lo, s17
.LBB248_536:                            ;   in Loop: Header=BB248_281 Depth=1
	s_delay_alu instid0(SALU_CYCLE_1)
	s_or_b32 exec_lo, exec_lo, s16
	v_cmp_lt_u64_e64 s1, s[4:5], v[14:15]
	v_mov_b32_e32 v14, 0
	s_and_saveexec_b32 s16, s1
	s_cbranch_execz .LBB248_544
; %bb.537:                              ;   in Loop: Header=BB248_281 Depth=1
	v_lshrrev_b32_e32 v4, 24, v15
	v_bfrev_b32_e32 v14, 1
	s_mov_b32 s17, exec_lo
	s_delay_alu instid0(VALU_DEP_2)
	v_cmpx_ne_u32_e32 0x80, v4
	s_cbranch_execz .LBB248_543
; %bb.538:                              ;   in Loop: Header=BB248_281 Depth=1
	v_and_b32_e32 v21, 0x7f, v4
	v_mov_b32_e32 v14, 0x7c010000
	s_mov_b32 s18, exec_lo
	s_delay_alu instid0(VALU_DEP_2)
	v_cmpx_ne_u32_e32 0x7f, v21
	s_cbranch_execz .LBB248_542
; %bb.539:                              ;   in Loop: Header=BB248_281 Depth=1
	v_dual_lshrrev_b32 v15, 3, v21 :: v_dual_bitop2_b32 v14, 7, v4 bitop3:0x40
	s_mov_b32 s19, exec_lo
	v_cmpx_gt_u32_e32 8, v21
; %bb.540:                              ;   in Loop: Header=BB248_281 Depth=1
	s_delay_alu instid0(VALU_DEP_2) | instskip(NEXT) | instid1(VALU_DEP_1)
	v_clz_i32_u32_e32 v14, v14
	v_min_u32_e32 v21, 32, v14
	s_delay_alu instid0(VALU_DEP_1) | instskip(NEXT) | instid1(VALU_DEP_1)
	v_subrev_nc_u32_e32 v14, 28, v21
	v_lshlrev_b64_e32 v[14:15], v14, v[4:5]
	s_delay_alu instid0(VALU_DEP_1)
	v_dual_sub_nc_u32 v15, 29, v21 :: v_dual_bitop2_b32 v14, 7, v14 bitop3:0x40
; %bb.541:                              ;   in Loop: Header=BB248_281 Depth=1
	s_or_b32 exec_lo, exec_lo, s19
	s_delay_alu instid0(VALU_DEP_1) | instskip(NEXT) | instid1(VALU_DEP_2)
	v_dual_lshlrev_b32 v4, 8, v4 :: v_dual_lshlrev_b32 v14, 23, v14
	v_lshl_add_u32 v15, v15, 10, 0x2000
	s_delay_alu instid0(VALU_DEP_1) | instskip(NEXT) | instid1(VALU_DEP_1)
	v_and_or_b32 v4, 0x8000, v4, v15
	v_lshl_or_b32 v14, v4, 16, v14
.LBB248_542:                            ;   in Loop: Header=BB248_281 Depth=1
	s_or_b32 exec_lo, exec_lo, s18
.LBB248_543:                            ;   in Loop: Header=BB248_281 Depth=1
	s_delay_alu instid0(SALU_CYCLE_1)
	s_or_b32 exec_lo, exec_lo, s17
.LBB248_544:                            ;   in Loop: Header=BB248_281 Depth=1
	s_delay_alu instid0(SALU_CYCLE_1) | instskip(SKIP_3) | instid1(VALU_DEP_3)
	s_or_b32 exec_lo, exec_lo, s16
	v_dual_lshrrev_b32 v4, 16, v1 :: v_dual_lshrrev_b32 v15, 16, v16
	v_or_b32_e32 v1, v1, v13
	v_dual_lshrrev_b32 v21, 16, v14 :: v_dual_bitop2_b32 v13, v16, v17 bitop3:0x54
	v_cvt_f32_f16_e32 v17, v4
	s_delay_alu instid0(VALU_DEP_4) | instskip(SKIP_1) | instid1(VALU_DEP_4)
	v_cvt_f32_f16_e32 v16, v15
	v_dual_lshrrev_b32 v19, 16, v20 :: v_dual_bitop2_b32 v4, v14, v19 bitop3:0x54
	v_cvt_f32_f16_e32 v14, v13
	v_cvt_f32_f16_e32 v15, v1
	s_wait_loadcnt 0x0
	v_pk_mul_f32 v[16:17], v[12:13], v[16:17] op_sel_hi:[0,1]
	v_or_b32_e32 v13, v20, v18
	v_cvt_f32_f16_e32 v19, v19
	v_cvt_f32_f16_e32 v18, v21
	;; [unrolled: 1-line block ×3, first 2 shown]
	v_cvt_pk_f16_f32 v1, v16, v17
	v_cvt_f32_f16_e32 v21, v13
	v_pk_mul_f32 v[14:15], v[12:13], v[14:15] op_sel_hi:[0,1]
	v_pk_mul_f32 v[16:17], v[12:13], v[18:19] op_sel_hi:[0,1]
	s_delay_alu instid0(VALU_DEP_3) | instskip(NEXT) | instid1(VALU_DEP_3)
	v_pk_mul_f32 v[18:19], v[12:13], v[20:21] op_sel_hi:[0,1]
	v_cvt_pk_f16_f32 v4, v14, v15
	s_delay_alu instid0(VALU_DEP_3)
	v_cvt_pk_f16_f32 v13, v16, v17
	v_and_b32_e32 v15, 0xffff0000, v1
	v_lshlrev_b32_e32 v12, 16, v1
	v_cvt_pk_f16_f32 v14, v18, v19
	v_lshrrev_b32_e32 v17, 16, v4
	v_and_b32_e32 v16, 0xffff, v4
	v_and_b32_e32 v1, 0xffff0000, v13
	s_delay_alu instid0(VALU_DEP_4) | instskip(SKIP_3) | instid1(VALU_DEP_4)
	v_dual_lshlrev_b32 v4, 16, v13 :: v_dual_lshrrev_b32 v13, 16, v14
	v_and_b32_e32 v14, 0xffff, v14
	v_or_b32_e32 v21, v15, v17
	v_or_b32_e32 v20, v12, v16
	;; [unrolled: 1-line block ×3, first 2 shown]
	s_delay_alu instid0(VALU_DEP_4)
	v_or_b32_e32 v18, v4, v14
	s_and_saveexec_b32 s1, s0
	s_cbranch_execz .LBB248_279
; %bb.545:                              ;   in Loop: Header=BB248_281 Depth=1
	v_dual_add_nc_u32 v18, 2, v29 :: v_dual_bitop2_b32 v19, 1, v29 bitop3:0x54
	v_cmp_gt_i32_e64 s0, s14, v29
	v_or_b32_e32 v21, 7, v29
	s_delay_alu instid0(VALU_DEP_2) | instskip(NEXT) | instid1(VALU_DEP_4)
	v_cndmask_b32_e64 v17, 0, v17, s0
	v_cmp_gt_i32_e64 s0, s23, v18
	s_delay_alu instid0(VALU_DEP_1) | instskip(SKIP_1) | instid1(VALU_DEP_1)
	v_dual_cndmask_b32 v16, 0, v16, s0 :: v_dual_bitop2_b32 v20, 3, v29 bitop3:0x54
	v_cmp_gt_i32_e64 s0, s14, v19
	v_dual_cndmask_b32 v15, 0, v15, s0 :: v_dual_bitop2_b32 v19, 6, v29 bitop3:0x54
	s_delay_alu instid0(VALU_DEP_3) | instskip(SKIP_1) | instid1(VALU_DEP_2)
	v_cmp_gt_i32_e64 s0, s23, v20
	v_or_b32_e32 v18, 4, v29
	v_dual_cndmask_b32 v12, 0, v12, s0 :: v_dual_bitop2_b32 v20, 5, v29 bitop3:0x54
	s_delay_alu instid0(VALU_DEP_2) | instskip(NEXT) | instid1(VALU_DEP_1)
	v_cmp_gt_i32_e64 s0, s14, v18
	v_cndmask_b32_e64 v13, 0, v13, s0
	v_cmp_gt_i32_e64 s0, s23, v19
	s_delay_alu instid0(VALU_DEP_1) | instskip(SKIP_1) | instid1(VALU_DEP_1)
	v_cndmask_b32_e64 v14, 0, v14, s0
	v_cmp_gt_i32_e64 s0, s14, v20
	v_dual_cndmask_b32 v1, 0, v1, s0 :: v_dual_bitop2_b32 v20, v12, v16 bitop3:0x54
	v_cmp_gt_i32_e64 s0, s23, v21
	s_delay_alu instid0(VALU_DEP_1) | instskip(NEXT) | instid1(VALU_DEP_1)
	v_dual_cndmask_b32 v4, 0, v4, s0 :: v_dual_bitop2_b32 v21, v15, v17 bitop3:0x54
	v_or_b32_e32 v18, v4, v14
	s_delay_alu instid0(VALU_DEP_4)
	v_or_b32_e32 v19, v1, v13
	s_branch .LBB248_279
.LBB248_546:
	s_or_b32 exec_lo, exec_lo, s9
.LBB248_547:
	s_delay_alu instid0(SALU_CYCLE_1) | instskip(SKIP_2) | instid1(SALU_CYCLE_1)
	s_or_b32 exec_lo, exec_lo, s25
	v_and_b32_e32 v1, 0x3c0, v0
	s_movk_i32 s0, 0x1e0
	v_mad_u32_u24 v8, v26, s0, 0x110
	s_barrier_signal -1
	s_delay_alu instid0(VALU_DEP_2)
	v_cmp_eq_u32_e32 vcc_lo, 64, v1
	v_or_b32_e32 v1, 0x60, v0
	s_barrier_wait -1
	s_and_saveexec_b32 s0, vcc_lo
	s_cbranch_execz .LBB248_550
; %bb.548:
	v_add_nc_u32_e32 v4, 0xfffffc40, v8
	v_cmp_gt_u32_e32 vcc_lo, 0x78, v1
	s_delay_alu instid0(VALU_DEP_2)
	v_lshl_add_u32 v5, v27, 2, v4
	ds_store_2addr_b32 v5, v2, v3 offset1:32
	ds_store_b32 v5, v35 offset:256
	s_and_b32 exec_lo, exec_lo, vcc_lo
; %bb.549:
	v_lshl_add_u32 v4, v1, 2, v4
	ds_store_b32 v4, v34
.LBB248_550:
	s_or_b32 exec_lo, exec_lo, s0
	v_lshl_add_u32 v9, v27, 2, v8
	s_mov_b32 s0, exec_lo
	s_wait_dscnt 0x0
	s_barrier_signal -1
	s_barrier_wait -1
	v_cmpx_gt_u32_e32 64, v0
	s_cbranch_execz .LBB248_554
; %bb.551:
	v_lshl_or_b32 v6, v0, 2, 0x80
	ds_load_2addr_stride64_b32 v[4:5], v9 offset1:1
	s_mov_b32 s1, exec_lo
	v_add_nc_u32_e32 v6, v8, v6
	ds_load_b32 v7, v6
	s_wait_dscnt 0x1
	v_mov_b32_e32 v6, v4
	v_cmpx_gt_u32_e32 0x78, v1
	s_cbranch_execz .LBB248_553
; %bb.552:
	v_lshl_add_u32 v4, v1, 2, v8
	ds_load_b32 v4, v4
	s_wait_dscnt 0x0
	v_add_f32_e32 v34, v34, v4
.LBB248_553:
	s_or_b32 exec_lo, exec_lo, s1
	s_wait_dscnt 0x0
	v_pk_add_f32 v[2:3], v[2:3], v[6:7]
	v_add_f32_e32 v35, v35, v5
.LBB248_554:
	s_or_b32 exec_lo, exec_lo, s0
	v_and_b32_e32 v4, 0x3e0, v0
	s_mov_b32 s0, exec_lo
	s_barrier_signal -1
	s_barrier_wait -1
	s_delay_alu instid0(VALU_DEP_1)
	v_cmpx_eq_u32_e32 32, v4
	s_cbranch_execz .LBB248_557
; %bb.555:
	v_lshl_add_u32 v4, v27, 2, 0x110
	v_cmp_gt_u32_e32 vcc_lo, 0x78, v1
	ds_store_b32 v4, v2
	ds_store_b32 v28, v3
	ds_store_b32 v4, v35 offset:256
	s_and_b32 exec_lo, exec_lo, vcc_lo
; %bb.556:
	v_lshl_add_u32 v4, v1, 2, 0x110
	ds_store_b32 v4, v34
.LBB248_557:
	s_or_b32 exec_lo, exec_lo, s0
	v_cmp_gt_u32_e32 vcc_lo, 32, v0
	s_wait_dscnt 0x0
	s_barrier_signal -1
	s_barrier_wait -1
	s_and_saveexec_b32 s1, vcc_lo
	s_cbranch_execz .LBB248_561
; %bb.558:
	v_lshl_add_u32 v8, v0, 2, v8
	s_mov_b32 s2, exec_lo
	ds_load_2addr_b32 v[4:5], v8 offset0:32 offset1:64
	ds_load_b32 v6, v9
	s_wait_dscnt 0x1
	v_mov_b32_e32 v7, v4
	v_cmpx_gt_u32_e32 0x78, v1
	s_cbranch_execz .LBB248_560
; %bb.559:
	ds_load_b32 v4, v8 offset:384
	s_wait_dscnt 0x0
	v_add_f32_e32 v34, v34, v4
.LBB248_560:
	s_or_b32 exec_lo, exec_lo, s2
	s_wait_dscnt 0x0
	v_pk_add_f32 v[2:3], v[2:3], v[6:7]
	v_add_f32_e32 v35, v35, v5
.LBB248_561:
	s_or_b32 exec_lo, exec_lo, s1
	s_barrier_signal -1
	s_barrier_wait -1
	s_and_saveexec_b32 s0, vcc_lo
	s_cbranch_execz .LBB248_564
; %bb.562:
	s_mul_i32 s1, s22, s13
	s_bfe_u32 s5, ttmp6, 0x40014
	s_mul_i32 s1, s1, s21
	s_mul_i32 s0, s13, s12
	;; [unrolled: 1-line block ×3, first 2 shown]
	s_lshr_b32 s4, ttmp7, 16
	s_ashr_i32 s3, s2, 31
	s_add_co_i32 s5, s5, 1
	s_lshl_b64 s[2:3], s[2:3], 1
	s_ashr_i32 s1, s0, 31
	s_add_nc_u64 s[2:3], s[6:7], s[2:3]
	s_mul_i32 s5, s4, s5
	s_bfe_u32 s6, ttmp6, 0x40008
	s_lshl_b64 s[0:1], s[0:1], 1
	s_add_co_i32 s6, s6, s5
	s_cmp_eq_u32 s20, 0
	s_add_nc_u64 s[0:1], s[2:3], s[0:1]
	s_cselect_b32 s2, s4, s6
	s_mov_b32 s3, 0
	s_mulk_i32 s2, 0xf0
	v_cmp_gt_u32_e32 vcc_lo, 0x78, v1
	s_add_nc_u64 s[0:1], s[0:1], s[2:3]
	;;#ASMSTART
	v_cvt_f16_f32 v2, v2;

	;;#ASMEND
	global_store_b16 v0, v2, s[0:1] scale_offset
	;;#ASMSTART
	v_cvt_f16_f32 v1, v3;

	;;#ASMEND
	global_store_b16 v0, v1, s[0:1] offset:64 scale_offset
	s_wait_xcnt 0x0
	;;#ASMSTART
	v_cvt_f16_f32 v1, v35;

	;;#ASMEND
	global_store_b16 v0, v1, s[0:1] offset:128 scale_offset
	s_wait_xcnt 0x0
	s_and_b32 exec_lo, exec_lo, vcc_lo
	s_cbranch_execz .LBB248_564
; %bb.563:
	v_dual_mov_b32 v1, 0 :: v_dual_lshlrev_b32 v0, 1, v0
	;;#ASMSTART
	v_cvt_f16_f32 v2, v34;

	;;#ASMEND
	s_delay_alu instid0(VALU_DEP_1)
	v_add_nc_u64_e32 v[0:1], s[0:1], v[0:1]
	global_store_b16 v[0:1], v2, off offset:192
.LBB248_564:
	s_sendmsg sendmsg(MSG_DEALLOC_VGPRS)
	s_endpgm
	.section	.rodata,"a",@progbits
	.p2align	6, 0x0
	.amdhsa_kernel _ZN4vllm25paged_attention_v1_kernelIthLi120ELi8ELi128ELNS_18Fp8KVCacheDataTypeE1ELb0EEEvPT_PKS2_PKT0_S8_ifPKiSA_iPKfiiiSC_SC_iiiii
		.amdhsa_group_segment_fixed_size 272
		.amdhsa_private_segment_fixed_size 0
		.amdhsa_kernarg_size 384
		.amdhsa_user_sgpr_count 2
		.amdhsa_user_sgpr_dispatch_ptr 0
		.amdhsa_user_sgpr_queue_ptr 0
		.amdhsa_user_sgpr_kernarg_segment_ptr 1
		.amdhsa_user_sgpr_dispatch_id 0
		.amdhsa_user_sgpr_kernarg_preload_length 0
		.amdhsa_user_sgpr_kernarg_preload_offset 0
		.amdhsa_user_sgpr_private_segment_size 0
		.amdhsa_wavefront_size32 1
		.amdhsa_uses_dynamic_stack 0
		.amdhsa_enable_private_segment 0
		.amdhsa_system_sgpr_workgroup_id_x 1
		.amdhsa_system_sgpr_workgroup_id_y 1
		.amdhsa_system_sgpr_workgroup_id_z 1
		.amdhsa_system_sgpr_workgroup_info 0
		.amdhsa_system_vgpr_workitem_id 0
		.amdhsa_next_free_vgpr 75
		.amdhsa_next_free_sgpr 32
		.amdhsa_named_barrier_count 0
		.amdhsa_reserve_vcc 1
		.amdhsa_float_round_mode_32 0
		.amdhsa_float_round_mode_16_64 0
		.amdhsa_float_denorm_mode_32 3
		.amdhsa_float_denorm_mode_16_64 3
		.amdhsa_fp16_overflow 0
		.amdhsa_memory_ordered 1
		.amdhsa_forward_progress 1
		.amdhsa_inst_pref_size 169
		.amdhsa_round_robin_scheduling 0
		.amdhsa_exception_fp_ieee_invalid_op 0
		.amdhsa_exception_fp_denorm_src 0
		.amdhsa_exception_fp_ieee_div_zero 0
		.amdhsa_exception_fp_ieee_overflow 0
		.amdhsa_exception_fp_ieee_underflow 0
		.amdhsa_exception_fp_ieee_inexact 0
		.amdhsa_exception_int_div_zero 0
	.end_amdhsa_kernel
	.section	.text._ZN4vllm25paged_attention_v1_kernelIthLi120ELi8ELi128ELNS_18Fp8KVCacheDataTypeE1ELb0EEEvPT_PKS2_PKT0_S8_ifPKiSA_iPKfiiiSC_SC_iiiii,"axG",@progbits,_ZN4vllm25paged_attention_v1_kernelIthLi120ELi8ELi128ELNS_18Fp8KVCacheDataTypeE1ELb0EEEvPT_PKS2_PKT0_S8_ifPKiSA_iPKfiiiSC_SC_iiiii,comdat
.Lfunc_end248:
	.size	_ZN4vllm25paged_attention_v1_kernelIthLi120ELi8ELi128ELNS_18Fp8KVCacheDataTypeE1ELb0EEEvPT_PKS2_PKT0_S8_ifPKiSA_iPKfiiiSC_SC_iiiii, .Lfunc_end248-_ZN4vllm25paged_attention_v1_kernelIthLi120ELi8ELi128ELNS_18Fp8KVCacheDataTypeE1ELb0EEEvPT_PKS2_PKT0_S8_ifPKiSA_iPKfiiiSC_SC_iiiii
                                        ; -- End function
	.set _ZN4vllm25paged_attention_v1_kernelIthLi120ELi8ELi128ELNS_18Fp8KVCacheDataTypeE1ELb0EEEvPT_PKS2_PKT0_S8_ifPKiSA_iPKfiiiSC_SC_iiiii.num_vgpr, 75
	.set _ZN4vllm25paged_attention_v1_kernelIthLi120ELi8ELi128ELNS_18Fp8KVCacheDataTypeE1ELb0EEEvPT_PKS2_PKT0_S8_ifPKiSA_iPKfiiiSC_SC_iiiii.num_agpr, 0
	.set _ZN4vllm25paged_attention_v1_kernelIthLi120ELi8ELi128ELNS_18Fp8KVCacheDataTypeE1ELb0EEEvPT_PKS2_PKT0_S8_ifPKiSA_iPKfiiiSC_SC_iiiii.numbered_sgpr, 32
	.set _ZN4vllm25paged_attention_v1_kernelIthLi120ELi8ELi128ELNS_18Fp8KVCacheDataTypeE1ELb0EEEvPT_PKS2_PKT0_S8_ifPKiSA_iPKfiiiSC_SC_iiiii.num_named_barrier, 0
	.set _ZN4vllm25paged_attention_v1_kernelIthLi120ELi8ELi128ELNS_18Fp8KVCacheDataTypeE1ELb0EEEvPT_PKS2_PKT0_S8_ifPKiSA_iPKfiiiSC_SC_iiiii.private_seg_size, 0
	.set _ZN4vllm25paged_attention_v1_kernelIthLi120ELi8ELi128ELNS_18Fp8KVCacheDataTypeE1ELb0EEEvPT_PKS2_PKT0_S8_ifPKiSA_iPKfiiiSC_SC_iiiii.uses_vcc, 1
	.set _ZN4vllm25paged_attention_v1_kernelIthLi120ELi8ELi128ELNS_18Fp8KVCacheDataTypeE1ELb0EEEvPT_PKS2_PKT0_S8_ifPKiSA_iPKfiiiSC_SC_iiiii.uses_flat_scratch, 0
	.set _ZN4vllm25paged_attention_v1_kernelIthLi120ELi8ELi128ELNS_18Fp8KVCacheDataTypeE1ELb0EEEvPT_PKS2_PKT0_S8_ifPKiSA_iPKfiiiSC_SC_iiiii.has_dyn_sized_stack, 0
	.set _ZN4vllm25paged_attention_v1_kernelIthLi120ELi8ELi128ELNS_18Fp8KVCacheDataTypeE1ELb0EEEvPT_PKS2_PKT0_S8_ifPKiSA_iPKfiiiSC_SC_iiiii.has_recursion, 0
	.set _ZN4vllm25paged_attention_v1_kernelIthLi120ELi8ELi128ELNS_18Fp8KVCacheDataTypeE1ELb0EEEvPT_PKS2_PKT0_S8_ifPKiSA_iPKfiiiSC_SC_iiiii.has_indirect_call, 0
	.section	.AMDGPU.csdata,"",@progbits
; Kernel info:
; codeLenInByte = 21568
; TotalNumSgprs: 34
; NumVgprs: 75
; ScratchSize: 0
; MemoryBound: 0
; FloatMode: 240
; IeeeMode: 1
; LDSByteSize: 272 bytes/workgroup (compile time only)
; SGPRBlocks: 0
; VGPRBlocks: 4
; NumSGPRsForWavesPerEU: 34
; NumVGPRsForWavesPerEU: 75
; NamedBarCnt: 0
; Occupancy: 12
; WaveLimiterHint : 1
; COMPUTE_PGM_RSRC2:SCRATCH_EN: 0
; COMPUTE_PGM_RSRC2:USER_SGPR: 2
; COMPUTE_PGM_RSRC2:TRAP_HANDLER: 0
; COMPUTE_PGM_RSRC2:TGID_X_EN: 1
; COMPUTE_PGM_RSRC2:TGID_Y_EN: 1
; COMPUTE_PGM_RSRC2:TGID_Z_EN: 1
; COMPUTE_PGM_RSRC2:TIDIG_COMP_CNT: 0
	.section	.text._ZN4vllm25paged_attention_v1_kernelIthLi128ELi8ELi128ELNS_18Fp8KVCacheDataTypeE1ELb0EEEvPT_PKS2_PKT0_S8_ifPKiSA_iPKfiiiSC_SC_iiiii,"axG",@progbits,_ZN4vllm25paged_attention_v1_kernelIthLi128ELi8ELi128ELNS_18Fp8KVCacheDataTypeE1ELb0EEEvPT_PKS2_PKT0_S8_ifPKiSA_iPKfiiiSC_SC_iiiii,comdat
	.protected	_ZN4vllm25paged_attention_v1_kernelIthLi128ELi8ELi128ELNS_18Fp8KVCacheDataTypeE1ELb0EEEvPT_PKS2_PKT0_S8_ifPKiSA_iPKfiiiSC_SC_iiiii ; -- Begin function _ZN4vllm25paged_attention_v1_kernelIthLi128ELi8ELi128ELNS_18Fp8KVCacheDataTypeE1ELb0EEEvPT_PKS2_PKT0_S8_ifPKiSA_iPKfiiiSC_SC_iiiii
	.globl	_ZN4vllm25paged_attention_v1_kernelIthLi128ELi8ELi128ELNS_18Fp8KVCacheDataTypeE1ELb0EEEvPT_PKS2_PKT0_S8_ifPKiSA_iPKfiiiSC_SC_iiiii
	.p2align	8
	.type	_ZN4vllm25paged_attention_v1_kernelIthLi128ELi8ELi128ELNS_18Fp8KVCacheDataTypeE1ELb0EEEvPT_PKS2_PKT0_S8_ifPKiSA_iPKfiiiSC_SC_iiiii,@function
_ZN4vllm25paged_attention_v1_kernelIthLi128ELi8ELi128ELNS_18Fp8KVCacheDataTypeE1ELb0EEEvPT_PKS2_PKT0_S8_ifPKiSA_iPKfiiiSC_SC_iiiii: ; @_ZN4vllm25paged_attention_v1_kernelIthLi128ELi8ELi128ELNS_18Fp8KVCacheDataTypeE1ELb0EEEvPT_PKS2_PKT0_S8_ifPKiSA_iPKfiiiSC_SC_iiiii
; %bb.0:
	s_load_b64 s[20:21], s[0:1], 0x20
	s_bfe_u32 s3, ttmp6, 0x4000c
	s_bfe_u32 s5, ttmp6, 0x40010
	s_and_b32 s4, ttmp7, 0xffff
	s_add_co_i32 s3, s3, 1
	s_add_co_i32 s5, s5, 1
	s_and_b32 s2, ttmp6, 15
	s_bfe_u32 s6, ttmp6, 0x40004
	s_mul_i32 s3, ttmp9, s3
	s_mul_i32 s5, s4, s5
	s_getreg_b32 s22, hwreg(HW_REG_IB_STS2, 6, 4)
	s_add_co_i32 s7, s2, s3
	s_add_co_i32 s6, s6, s5
	s_cmp_eq_u32 s22, 0
	s_clause 0x1
	s_load_b32 s23, s[0:1], 0x80
	s_load_b64 s[2:3], s[0:1], 0x30
	s_cselect_b32 s24, s4, s6
	s_cselect_b32 s4, ttmp9, s7
	s_wait_kmcnt 0x0
	s_abs_i32 s5, s20
	s_delay_alu instid0(SALU_CYCLE_1) | instskip(SKIP_1) | instid1(SALU_CYCLE_2)
	s_cvt_f32_u32 s6, s5
	s_sub_co_i32 s7, 0, s5
	v_rcp_iflag_f32_e32 v1, s6
	s_abs_i32 s8, s23
	v_nop
	s_delay_alu instid0(TRANS32_DEP_1) | instskip(SKIP_1) | instid1(SALU_CYCLE_3)
	v_readfirstlane_b32 s6, v1
	s_mul_f32 s6, s6, 0x4f7ffffe
	s_cvt_u32_f32 s6, s6
	s_delay_alu instid0(SALU_CYCLE_3) | instskip(NEXT) | instid1(SALU_CYCLE_1)
	s_mul_i32 s7, s7, s6
	s_mul_hi_u32 s7, s6, s7
	s_delay_alu instid0(SALU_CYCLE_1) | instskip(SKIP_4) | instid1(SALU_CYCLE_1)
	s_add_co_i32 s6, s6, s7
	s_xor_b32 s7, s23, s20
	s_mul_hi_u32 s6, s8, s6
	s_ashr_i32 s7, s7, 31
	s_mul_i32 s9, s6, s5
	s_sub_co_i32 s8, s8, s9
	s_add_co_i32 s9, s6, 1
	s_sub_co_i32 s10, s8, s5
	s_cmp_ge_u32 s8, s5
	s_cselect_b32 s6, s9, s6
	s_cselect_b32 s8, s10, s8
	s_add_co_i32 s9, s6, 1
	s_cmp_ge_u32 s8, s5
	s_load_b64 s[10:11], s[0:1], 0x40
	s_cselect_b32 s5, s9, s6
	s_mov_b32 s9, 0
	s_xor_b32 s5, s5, s7
	s_abs_i32 s8, s4
	s_sub_co_i32 s16, s5, s7
	s_mov_b32 s7, s9
	s_abs_i32 s15, s16
	s_mov_b32 s20, s9
	s_cvt_f32_u32 s5, s15
	s_sub_co_i32 s6, 0, s15
	s_delay_alu instid0(SALU_CYCLE_2) | instskip(SKIP_1) | instid1(TRANS32_DEP_1)
	v_rcp_iflag_f32_e32 v1, s5
	v_nop
	v_readfirstlane_b32 s5, v1
	s_mul_f32 s5, s5, 0x4f7ffffe
	s_delay_alu instid0(SALU_CYCLE_3) | instskip(NEXT) | instid1(SALU_CYCLE_3)
	s_cvt_u32_f32 s5, s5
	s_mul_i32 s6, s6, s5
	s_delay_alu instid0(SALU_CYCLE_1) | instskip(NEXT) | instid1(SALU_CYCLE_1)
	s_mul_hi_u32 s6, s5, s6
	s_add_co_i32 s6, s5, s6
	s_wait_kmcnt 0x0
	s_cmp_eq_u64 s[10:11], 0
	s_cbranch_scc1 .LBB249_2
; %bb.1:
	s_ashr_i32 s5, s4, 31
	s_delay_alu instid0(SALU_CYCLE_1) | instskip(NEXT) | instid1(SALU_CYCLE_1)
	s_lshl_b64 s[12:13], s[4:5], 2
	s_add_nc_u64 s[10:11], s[10:11], s[12:13]
	s_load_b32 s20, s[10:11], 0x0
.LBB249_2:
	s_load_b32 s25, s[2:3], s24 offset:0x0 scale_offset
	s_load_b96 s[12:14], s[0:1], 0x48
	v_and_b32_e32 v4, 3, v0
	s_wait_xcnt 0x0
	v_cmp_gt_u32_e64 s2, 64, v0
	s_ashr_i32 s3, s4, 31
	s_ashr_i32 s5, s16, 31
	s_mul_u64 s[10:11], s[8:9], s[6:7]
	s_lshl_b32 s6, s4, 7
	s_and_saveexec_b32 s4, s2
	s_cbranch_execz .LBB249_4
; %bb.3:
	s_load_b64 s[16:17], s[0:1], 0x8
	s_wait_kmcnt 0x0
	s_mul_i32 s18, s12, s24
	s_ashr_i32 s7, s6, 31
	s_ashr_i32 s19, s18, 31
	v_and_b32_e32 v2, 0x3fc, v0
	s_lshl_b64 s[18:19], s[18:19], 1
	s_delay_alu instid0(VALU_DEP_1) | instskip(SKIP_2) | instid1(SALU_CYCLE_1)
	v_lshl_add_u32 v2, v4, 6, v2
	s_add_nc_u64 s[16:17], s[16:17], s[18:19]
	s_lshl_b64 s[18:19], s[6:7], 1
	s_add_nc_u64 s[16:17], s[16:17], s[18:19]
	global_load_b32 v1, v0, s[16:17] scale_offset
	s_wait_loadcnt 0x0
	ds_store_b32 v2, v1
.LBB249_4:
	s_or_b32 exec_lo, exec_lo, s4
	s_wait_kmcnt 0x0
	s_add_co_i32 s4, s25, 7
	s_load_b32 s7, s[0:1], 0x38
	s_ashr_i32 s9, s4, 31
	s_xor_b32 s3, s3, s5
	s_lshr_b32 s5, s9, 29
	s_mul_i32 s9, s11, s15
	s_add_co_i32 s4, s4, s5
	s_sub_co_i32 s5, s8, s9
	s_ashr_i32 s12, s4, 3
	s_add_co_i32 s4, s11, 1
	s_sub_co_i32 s8, s5, s15
	s_cmp_ge_u32 s5, s15
	v_lshrrev_b32_e32 v24, 5, v0
	s_cselect_b32 s4, s4, s11
	s_cselect_b32 s5, s8, s5
	s_add_co_i32 s8, s4, 1
	s_cmp_ge_u32 s5, s15
	v_mbcnt_lo_u32_b32 v10, -1, 0
	s_cselect_b32 s4, s8, s4
	s_mov_b32 s5, exec_lo
	s_xor_b32 s4, s4, s3
	s_wait_kmcnt 0x0
	s_mul_i32 s16, s7, s24
	s_sub_co_i32 s4, s4, s3
	v_cmp_gt_i32_e64 s3, s12, v24
	s_ashr_i32 s17, s16, 31
	s_wait_dscnt 0x0
	s_barrier_signal -1
	s_barrier_wait -1
                                        ; implicit-def: $vgpr3
                                        ; implicit-def: $vgpr11
	v_cmpx_le_i32_e64 s12, v24
	s_xor_b32 s5, exec_lo, s5
; %bb.5:
	v_dual_mov_b32 v3, 0 :: v_dual_mov_b32 v11, 32
	v_mbcnt_lo_u32_b32 v10, -1, 0
                                        ; implicit-def: $vgpr4
; %bb.6:
	s_or_saveexec_b32 s26, s5
	s_clause 0x2
	s_load_b32 s7, s[0:1], 0x88
	s_load_b64 s[18:19], s[0:1], 0x28
	s_load_b128 s[8:11], s[0:1], 0x58
	v_dual_mov_b32 v12, 0xff7fffff :: v_dual_lshrrev_b32 v1, 3, v0
	s_mul_i32 s14, s4, s14
	s_xor_b32 exec_lo, exec_lo, s26
	s_cbranch_execz .LBB249_268
; %bb.7:
	s_load_b64 s[4:5], s[0:1], 0x10
	v_bfe_u32 v8, v0, 2, 3
	v_mov_b32_e32 v3, 0
	s_ashr_i32 s15, s14, 31
	s_cmp_neq_f32 s20, 0
	v_cmp_eq_u32_e32 vcc_lo, 0, v4
	v_dual_lshlrev_b32 v2, 4, v8 :: v_dual_lshlrev_b32 v5, 2, v8
	v_mov_b32_e32 v12, 0xff7fffff
	v_lshl_or_b32 v14, v24, 3, v8
	v_mov_b32_e32 v11, 32
	s_mov_b32 s27, s13
	v_lshl_or_b32 v9, v24, 5, v5
	v_dual_mov_b32 v16, v24 :: v_dual_lshlrev_b32 v13, 6, v4
	s_delay_alu instid0(VALU_DEP_2)
	v_add_nc_u32_e32 v15, 0x120, v9
	s_wait_kmcnt 0x0
	s_add_nc_u64 s[4:5], s[4:5], s[14:15]
	s_mov_b32 s15, 0
	v_add_nc_u64_e32 v[6:7], s[4:5], v[2:3]
	v_lshlrev_b32_e32 v2, 1, v4
	s_cselect_b32 s4, -1, 0
	s_lshl_b64 s[28:29], s[16:17], 2
	s_delay_alu instid0(SALU_CYCLE_1) | instskip(NEXT) | instid1(VALU_DEP_1)
	s_add_nc_u64 s[28:29], s[18:19], s[28:29]
	v_add_nc_u64_e32 v[4:5], v[6:7], v[2:3]
	v_and_b32_e32 v2, 0x7c, v1
	s_delay_alu instid0(VALU_DEP_1)
	v_add_nc_u64_e32 v[6:7], s[28:29], v[2:3]
	s_sub_co_i32 s28, 1, s25
	s_branch .LBB249_9
.LBB249_8:                              ;   in Loop: Header=BB249_9 Depth=1
	s_or_b32 exec_lo, exec_lo, s29
	v_dual_add_nc_u32 v16, 4, v16 :: v_dual_add_nc_u32 v14, 32, v14
	v_add_nc_u64_e32 v[6:7], 16, v[6:7]
	v_add_nc_u32_e32 v15, 0x80, v15
	s_delay_alu instid0(VALU_DEP_3) | instskip(SKIP_1) | instid1(SALU_CYCLE_1)
	v_cmp_le_i32_e64 s5, s12, v16
	s_or_b32 s15, s5, s15
	s_and_not1_b32 exec_lo, exec_lo, s15
	s_cbranch_execz .LBB249_267
.LBB249_9:                              ; =>This Inner Loop Header: Depth=1
	global_load_b32 v2, v[6:7], off
	v_mov_b32_e32 v18, 0
	s_wait_loadcnt_dscnt 0x0
	v_mad_nc_i64_i32 v[8:9], v2, s27, v[4:5]
	global_load_u16 v2, v[8:9], off
	s_wait_loadcnt 0x0
	v_and_b32_e32 v19, 0xff, v2
	v_and_b32_e32 v2, 0xffff, v2
	s_delay_alu instid0(VALU_DEP_2)
	v_cmp_ne_u16_e64 s5, 0, v19
	v_mov_b32_e32 v19, 0
	global_load_b32 v17, v18, s[8:9]
	s_wait_xcnt 0x0
	s_and_saveexec_b32 s29, s5
	s_cbranch_execz .LBB249_17
; %bb.10:                               ;   in Loop: Header=BB249_9 Depth=1
	v_and_b32_e32 v19, 0xff, v2
	s_delay_alu instid0(VALU_DEP_1)
	v_cmp_ne_u16_e64 s5, 0x80, v19
	v_mov_b32_e32 v19, 0x8000
	s_and_saveexec_b32 s30, s5
	s_cbranch_execz .LBB249_16
; %bb.11:                               ;   in Loop: Header=BB249_9 Depth=1
	v_and_b32_e32 v21, 0x7f, v2
	v_mov_b32_e32 v19, 0x7c01
	s_mov_b32 s31, exec_lo
	s_delay_alu instid0(VALU_DEP_2)
	v_cmpx_ne_u32_e32 0x7f, v21
	s_cbranch_execz .LBB249_15
; %bb.12:                               ;   in Loop: Header=BB249_9 Depth=1
	v_dual_lshrrev_b32 v20, 3, v21 :: v_dual_bitop2_b32 v19, 7, v2 bitop3:0x40
	s_mov_b32 s33, exec_lo
	v_cmpx_gt_u32_e32 8, v21
; %bb.13:                               ;   in Loop: Header=BB249_9 Depth=1
	s_delay_alu instid0(VALU_DEP_2) | instskip(NEXT) | instid1(VALU_DEP_1)
	v_clz_i32_u32_e32 v19, v19
	v_min_u32_e32 v19, 32, v19
	s_delay_alu instid0(VALU_DEP_1) | instskip(NEXT) | instid1(VALU_DEP_1)
	v_subrev_nc_u32_e32 v20, 28, v19
	v_lshlrev_b64_e32 v[22:23], v20, v[2:3]
	s_delay_alu instid0(VALU_DEP_1)
	v_dual_sub_nc_u32 v20, 29, v19 :: v_dual_bitop2_b32 v19, 7, v22 bitop3:0x40
; %bb.14:                               ;   in Loop: Header=BB249_9 Depth=1
	s_or_b32 exec_lo, exec_lo, s33
	s_delay_alu instid0(VALU_DEP_1) | instskip(NEXT) | instid1(VALU_DEP_2)
	v_dual_lshlrev_b32 v21, 8, v2 :: v_dual_lshlrev_b32 v19, 7, v19
	v_lshl_add_u32 v20, v20, 10, 0x2000
	s_delay_alu instid0(VALU_DEP_2) | instskip(NEXT) | instid1(VALU_DEP_2)
	v_and_b32_e32 v21, 0x8000, v21
	v_and_b32_e32 v20, 0xfc00, v20
	s_delay_alu instid0(VALU_DEP_1)
	v_or3_b32 v19, v21, v20, v19
.LBB249_15:                             ;   in Loop: Header=BB249_9 Depth=1
	s_or_b32 exec_lo, exec_lo, s31
.LBB249_16:                             ;   in Loop: Header=BB249_9 Depth=1
	s_delay_alu instid0(SALU_CYCLE_1)
	s_or_b32 exec_lo, exec_lo, s30
.LBB249_17:                             ;   in Loop: Header=BB249_9 Depth=1
	s_delay_alu instid0(SALU_CYCLE_1) | instskip(SKIP_2) | instid1(VALU_DEP_1)
	s_or_b32 exec_lo, exec_lo, s29
	v_lshrrev_b16 v2, 8, v2
	s_mov_b32 s29, exec_lo
	v_cmpx_ne_u16_e32 0, v2
	s_cbranch_execz .LBB249_25
; %bb.18:                               ;   in Loop: Header=BB249_9 Depth=1
	v_bfrev_b32_e32 v18, 1
	s_mov_b32 s30, exec_lo
	v_cmpx_ne_u16_e32 0x80, v2
	s_cbranch_execz .LBB249_24
; %bb.19:                               ;   in Loop: Header=BB249_9 Depth=1
	v_and_b32_e32 v20, 0xffff, v2
	v_mov_b32_e32 v18, 0x7c010000
	s_mov_b32 s31, exec_lo
	s_delay_alu instid0(VALU_DEP_2) | instskip(NEXT) | instid1(VALU_DEP_1)
	v_and_b32_e32 v22, 0x7f, v20
	v_cmpx_ne_u32_e32 0x7f, v22
	s_cbranch_execz .LBB249_23
; %bb.20:                               ;   in Loop: Header=BB249_9 Depth=1
	v_dual_lshrrev_b32 v21, 3, v22 :: v_dual_bitop2_b32 v18, 7, v20 bitop3:0x40
	s_mov_b32 s33, exec_lo
	v_cmpx_gt_u32_e32 8, v22
; %bb.21:                               ;   in Loop: Header=BB249_9 Depth=1
	s_delay_alu instid0(VALU_DEP_2) | instskip(NEXT) | instid1(VALU_DEP_1)
	v_clz_i32_u32_e32 v18, v18
	v_min_u32_e32 v18, 32, v18
	s_delay_alu instid0(VALU_DEP_1) | instskip(NEXT) | instid1(VALU_DEP_1)
	v_subrev_nc_u32_e32 v21, 28, v18
	v_lshlrev_b64_e32 v[22:23], v21, v[2:3]
	v_sub_nc_u32_e32 v21, 29, v18
	s_delay_alu instid0(VALU_DEP_2)
	v_and_b32_e32 v18, 7, v22
; %bb.22:                               ;   in Loop: Header=BB249_9 Depth=1
	s_or_b32 exec_lo, exec_lo, s33
	s_delay_alu instid0(VALU_DEP_1) | instskip(NEXT) | instid1(VALU_DEP_3)
	v_dual_lshlrev_b32 v2, 8, v20 :: v_dual_lshlrev_b32 v18, 23, v18
	v_lshl_add_u32 v20, v21, 10, 0x2000
	s_delay_alu instid0(VALU_DEP_1) | instskip(NEXT) | instid1(VALU_DEP_1)
	v_and_or_b32 v2, 0x8000, v2, v20
	v_lshl_or_b32 v18, v2, 16, v18
.LBB249_23:                             ;   in Loop: Header=BB249_9 Depth=1
	s_or_b32 exec_lo, exec_lo, s31
.LBB249_24:                             ;   in Loop: Header=BB249_9 Depth=1
	s_delay_alu instid0(SALU_CYCLE_1)
	s_or_b32 exec_lo, exec_lo, s30
.LBB249_25:                             ;   in Loop: Header=BB249_9 Depth=1
	s_delay_alu instid0(SALU_CYCLE_1)
	s_or_b32 exec_lo, exec_lo, s29
	global_load_u16 v2, v[8:9], off offset:8
	v_mov_b32_e32 v20, 0
	s_wait_loadcnt 0x0
	v_and_b32_e32 v21, 0xff, v2
	v_and_b32_e32 v2, 0xffff, v2
	s_delay_alu instid0(VALU_DEP_2)
	v_cmp_ne_u16_e64 s5, 0, v21
	v_mov_b32_e32 v21, 0
	s_and_saveexec_b32 s29, s5
	s_cbranch_execz .LBB249_33
; %bb.26:                               ;   in Loop: Header=BB249_9 Depth=1
	v_and_b32_e32 v21, 0xff, v2
	s_delay_alu instid0(VALU_DEP_1)
	v_cmp_ne_u16_e64 s5, 0x80, v21
	v_mov_b32_e32 v21, 0x8000
	s_and_saveexec_b32 s30, s5
	s_cbranch_execz .LBB249_32
; %bb.27:                               ;   in Loop: Header=BB249_9 Depth=1
	v_and_b32_e32 v23, 0x7f, v2
	v_mov_b32_e32 v21, 0x7c01
	s_mov_b32 s31, exec_lo
	s_delay_alu instid0(VALU_DEP_2)
	v_cmpx_ne_u32_e32 0x7f, v23
	s_cbranch_execz .LBB249_31
; %bb.28:                               ;   in Loop: Header=BB249_9 Depth=1
	v_dual_lshrrev_b32 v22, 3, v23 :: v_dual_bitop2_b32 v21, 7, v2 bitop3:0x40
	s_mov_b32 s33, exec_lo
	v_cmpx_gt_u32_e32 8, v23
; %bb.29:                               ;   in Loop: Header=BB249_9 Depth=1
	s_delay_alu instid0(VALU_DEP_2) | instskip(NEXT) | instid1(VALU_DEP_1)
	v_clz_i32_u32_e32 v21, v21
	v_min_u32_e32 v21, 32, v21
	s_delay_alu instid0(VALU_DEP_1) | instskip(NEXT) | instid1(VALU_DEP_1)
	v_subrev_nc_u32_e32 v22, 28, v21
	v_lshlrev_b64_e32 v[26:27], v22, v[2:3]
	s_delay_alu instid0(VALU_DEP_1)
	v_dual_sub_nc_u32 v22, 29, v21 :: v_dual_bitop2_b32 v21, 7, v26 bitop3:0x40
; %bb.30:                               ;   in Loop: Header=BB249_9 Depth=1
	s_or_b32 exec_lo, exec_lo, s33
	s_delay_alu instid0(VALU_DEP_1) | instskip(NEXT) | instid1(VALU_DEP_2)
	v_dual_lshlrev_b32 v23, 8, v2 :: v_dual_lshlrev_b32 v21, 7, v21
	v_lshl_add_u32 v22, v22, 10, 0x2000
	s_delay_alu instid0(VALU_DEP_2) | instskip(NEXT) | instid1(VALU_DEP_2)
	v_and_b32_e32 v23, 0x8000, v23
	v_and_b32_e32 v22, 0xfc00, v22
	s_delay_alu instid0(VALU_DEP_1)
	v_or3_b32 v21, v23, v22, v21
.LBB249_31:                             ;   in Loop: Header=BB249_9 Depth=1
	s_or_b32 exec_lo, exec_lo, s31
.LBB249_32:                             ;   in Loop: Header=BB249_9 Depth=1
	s_delay_alu instid0(SALU_CYCLE_1)
	s_or_b32 exec_lo, exec_lo, s30
.LBB249_33:                             ;   in Loop: Header=BB249_9 Depth=1
	s_delay_alu instid0(SALU_CYCLE_1) | instskip(SKIP_2) | instid1(VALU_DEP_1)
	s_or_b32 exec_lo, exec_lo, s29
	v_lshrrev_b16 v2, 8, v2
	s_mov_b32 s29, exec_lo
	v_cmpx_ne_u16_e32 0, v2
	s_cbranch_execz .LBB249_41
; %bb.34:                               ;   in Loop: Header=BB249_9 Depth=1
	v_bfrev_b32_e32 v20, 1
	s_mov_b32 s30, exec_lo
	v_cmpx_ne_u16_e32 0x80, v2
	s_cbranch_execz .LBB249_40
; %bb.35:                               ;   in Loop: Header=BB249_9 Depth=1
	v_and_b32_e32 v22, 0xffff, v2
	v_mov_b32_e32 v20, 0x7c010000
	s_mov_b32 s31, exec_lo
	s_delay_alu instid0(VALU_DEP_2) | instskip(NEXT) | instid1(VALU_DEP_1)
	v_and_b32_e32 v25, 0x7f, v22
	v_cmpx_ne_u32_e32 0x7f, v25
	s_cbranch_execz .LBB249_39
; %bb.36:                               ;   in Loop: Header=BB249_9 Depth=1
	v_dual_lshrrev_b32 v23, 3, v25 :: v_dual_bitop2_b32 v20, 7, v22 bitop3:0x40
	s_mov_b32 s33, exec_lo
	v_cmpx_gt_u32_e32 8, v25
; %bb.37:                               ;   in Loop: Header=BB249_9 Depth=1
	s_delay_alu instid0(VALU_DEP_2) | instskip(NEXT) | instid1(VALU_DEP_1)
	v_clz_i32_u32_e32 v20, v20
	v_min_u32_e32 v20, 32, v20
	s_delay_alu instid0(VALU_DEP_1) | instskip(NEXT) | instid1(VALU_DEP_1)
	v_subrev_nc_u32_e32 v23, 28, v20
	v_lshlrev_b64_e32 v[26:27], v23, v[2:3]
	s_delay_alu instid0(VALU_DEP_1)
	v_dual_sub_nc_u32 v23, 29, v20 :: v_dual_bitop2_b32 v20, 7, v26 bitop3:0x40
; %bb.38:                               ;   in Loop: Header=BB249_9 Depth=1
	s_or_b32 exec_lo, exec_lo, s33
	s_delay_alu instid0(VALU_DEP_1) | instskip(NEXT) | instid1(VALU_DEP_2)
	v_dual_lshlrev_b32 v2, 8, v22 :: v_dual_lshlrev_b32 v20, 23, v20
	v_lshl_add_u32 v22, v23, 10, 0x2000
	s_delay_alu instid0(VALU_DEP_1) | instskip(NEXT) | instid1(VALU_DEP_1)
	v_and_or_b32 v2, 0x8000, v2, v22
	v_lshl_or_b32 v20, v2, 16, v20
.LBB249_39:                             ;   in Loop: Header=BB249_9 Depth=1
	s_or_b32 exec_lo, exec_lo, s31
.LBB249_40:                             ;   in Loop: Header=BB249_9 Depth=1
	s_delay_alu instid0(SALU_CYCLE_1)
	s_or_b32 exec_lo, exec_lo, s30
.LBB249_41:                             ;   in Loop: Header=BB249_9 Depth=1
	s_delay_alu instid0(SALU_CYCLE_1)
	s_or_b32 exec_lo, exec_lo, s29
	global_load_u16 v2, v[8:9], off offset:128
	v_mov_b32_e32 v22, 0
	s_wait_loadcnt 0x0
	v_and_b32_e32 v23, 0xff, v2
	v_and_b32_e32 v2, 0xffff, v2
	s_delay_alu instid0(VALU_DEP_2)
	v_cmp_ne_u16_e64 s5, 0, v23
	v_mov_b32_e32 v23, 0
	s_and_saveexec_b32 s29, s5
	s_cbranch_execz .LBB249_49
; %bb.42:                               ;   in Loop: Header=BB249_9 Depth=1
	v_and_b32_e32 v23, 0xff, v2
	s_delay_alu instid0(VALU_DEP_1)
	v_cmp_ne_u16_e64 s5, 0x80, v23
	v_mov_b32_e32 v23, 0x8000
	s_and_saveexec_b32 s30, s5
	s_cbranch_execz .LBB249_48
; %bb.43:                               ;   in Loop: Header=BB249_9 Depth=1
	v_and_b32_e32 v26, 0x7f, v2
	v_mov_b32_e32 v23, 0x7c01
	s_mov_b32 s31, exec_lo
	s_delay_alu instid0(VALU_DEP_2)
	v_cmpx_ne_u32_e32 0x7f, v26
	s_cbranch_execz .LBB249_47
; %bb.44:                               ;   in Loop: Header=BB249_9 Depth=1
	v_and_b32_e32 v23, 7, v2
	v_lshrrev_b32_e32 v25, 3, v26
	s_mov_b32 s33, exec_lo
	v_cmpx_gt_u32_e32 8, v26
; %bb.45:                               ;   in Loop: Header=BB249_9 Depth=1
	s_delay_alu instid0(VALU_DEP_3) | instskip(NEXT) | instid1(VALU_DEP_1)
	v_clz_i32_u32_e32 v23, v23
	v_min_u32_e32 v23, 32, v23
	s_delay_alu instid0(VALU_DEP_1) | instskip(NEXT) | instid1(VALU_DEP_1)
	v_subrev_nc_u32_e32 v25, 28, v23
	v_lshlrev_b64_e32 v[26:27], v25, v[2:3]
	s_delay_alu instid0(VALU_DEP_1)
	v_dual_sub_nc_u32 v25, 29, v23 :: v_dual_bitop2_b32 v23, 7, v26 bitop3:0x40
; %bb.46:                               ;   in Loop: Header=BB249_9 Depth=1
	s_or_b32 exec_lo, exec_lo, s33
	s_delay_alu instid0(VALU_DEP_1) | instskip(NEXT) | instid1(VALU_DEP_2)
	v_dual_lshlrev_b32 v26, 8, v2 :: v_dual_lshlrev_b32 v23, 7, v23
	v_lshl_add_u32 v25, v25, 10, 0x2000
	s_delay_alu instid0(VALU_DEP_2) | instskip(NEXT) | instid1(VALU_DEP_2)
	v_and_b32_e32 v26, 0x8000, v26
	v_and_b32_e32 v25, 0xfc00, v25
	s_delay_alu instid0(VALU_DEP_1)
	v_or3_b32 v23, v26, v25, v23
.LBB249_47:                             ;   in Loop: Header=BB249_9 Depth=1
	s_or_b32 exec_lo, exec_lo, s31
.LBB249_48:                             ;   in Loop: Header=BB249_9 Depth=1
	s_delay_alu instid0(SALU_CYCLE_1)
	s_or_b32 exec_lo, exec_lo, s30
.LBB249_49:                             ;   in Loop: Header=BB249_9 Depth=1
	s_delay_alu instid0(SALU_CYCLE_1) | instskip(SKIP_2) | instid1(VALU_DEP_1)
	s_or_b32 exec_lo, exec_lo, s29
	v_lshrrev_b16 v2, 8, v2
	s_mov_b32 s29, exec_lo
	v_cmpx_ne_u16_e32 0, v2
	s_cbranch_execz .LBB249_57
; %bb.50:                               ;   in Loop: Header=BB249_9 Depth=1
	v_bfrev_b32_e32 v22, 1
	s_mov_b32 s30, exec_lo
	v_cmpx_ne_u16_e32 0x80, v2
	s_cbranch_execz .LBB249_56
; %bb.51:                               ;   in Loop: Header=BB249_9 Depth=1
	v_and_b32_e32 v25, 0xffff, v2
	v_mov_b32_e32 v22, 0x7c010000
	s_mov_b32 s31, exec_lo
	s_delay_alu instid0(VALU_DEP_2) | instskip(NEXT) | instid1(VALU_DEP_1)
	v_and_b32_e32 v27, 0x7f, v25
	v_cmpx_ne_u32_e32 0x7f, v27
	s_cbranch_execz .LBB249_55
; %bb.52:                               ;   in Loop: Header=BB249_9 Depth=1
	v_dual_lshrrev_b32 v26, 3, v27 :: v_dual_bitop2_b32 v22, 7, v25 bitop3:0x40
	s_mov_b32 s33, exec_lo
	v_cmpx_gt_u32_e32 8, v27
; %bb.53:                               ;   in Loop: Header=BB249_9 Depth=1
	s_delay_alu instid0(VALU_DEP_2) | instskip(NEXT) | instid1(VALU_DEP_1)
	v_clz_i32_u32_e32 v22, v22
	v_min_u32_e32 v22, 32, v22
	s_delay_alu instid0(VALU_DEP_1) | instskip(NEXT) | instid1(VALU_DEP_1)
	v_subrev_nc_u32_e32 v26, 28, v22
	v_lshlrev_b64_e32 v[28:29], v26, v[2:3]
	s_delay_alu instid0(VALU_DEP_1)
	v_dual_sub_nc_u32 v26, 29, v22 :: v_dual_bitop2_b32 v22, 7, v28 bitop3:0x40
; %bb.54:                               ;   in Loop: Header=BB249_9 Depth=1
	s_or_b32 exec_lo, exec_lo, s33
	s_delay_alu instid0(VALU_DEP_1) | instskip(NEXT) | instid1(VALU_DEP_2)
	v_dual_lshlrev_b32 v2, 8, v25 :: v_dual_lshlrev_b32 v22, 23, v22
	v_lshl_add_u32 v25, v26, 10, 0x2000
	s_delay_alu instid0(VALU_DEP_1) | instskip(NEXT) | instid1(VALU_DEP_1)
	v_and_or_b32 v2, 0x8000, v2, v25
	v_lshl_or_b32 v22, v2, 16, v22
.LBB249_55:                             ;   in Loop: Header=BB249_9 Depth=1
	s_or_b32 exec_lo, exec_lo, s31
.LBB249_56:                             ;   in Loop: Header=BB249_9 Depth=1
	s_delay_alu instid0(SALU_CYCLE_1)
	s_or_b32 exec_lo, exec_lo, s30
.LBB249_57:                             ;   in Loop: Header=BB249_9 Depth=1
	s_delay_alu instid0(SALU_CYCLE_1)
	s_or_b32 exec_lo, exec_lo, s29
	global_load_u16 v2, v[8:9], off offset:136
	v_mov_b32_e32 v25, 0
	s_wait_loadcnt 0x0
	v_and_b32_e32 v26, 0xff, v2
	v_and_b32_e32 v2, 0xffff, v2
	s_delay_alu instid0(VALU_DEP_2)
	v_cmp_ne_u16_e64 s5, 0, v26
	v_mov_b32_e32 v26, 0
	s_and_saveexec_b32 s29, s5
	s_cbranch_execz .LBB249_65
; %bb.58:                               ;   in Loop: Header=BB249_9 Depth=1
	v_and_b32_e32 v26, 0xff, v2
	s_delay_alu instid0(VALU_DEP_1)
	v_cmp_ne_u16_e64 s5, 0x80, v26
	v_mov_b32_e32 v26, 0x8000
	s_and_saveexec_b32 s30, s5
	s_cbranch_execz .LBB249_64
; %bb.59:                               ;   in Loop: Header=BB249_9 Depth=1
	v_and_b32_e32 v28, 0x7f, v2
	v_mov_b32_e32 v26, 0x7c01
	s_mov_b32 s31, exec_lo
	s_delay_alu instid0(VALU_DEP_2)
	v_cmpx_ne_u32_e32 0x7f, v28
	s_cbranch_execz .LBB249_63
; %bb.60:                               ;   in Loop: Header=BB249_9 Depth=1
	v_dual_lshrrev_b32 v27, 3, v28 :: v_dual_bitop2_b32 v26, 7, v2 bitop3:0x40
	s_mov_b32 s33, exec_lo
	v_cmpx_gt_u32_e32 8, v28
; %bb.61:                               ;   in Loop: Header=BB249_9 Depth=1
	s_delay_alu instid0(VALU_DEP_2) | instskip(NEXT) | instid1(VALU_DEP_1)
	v_clz_i32_u32_e32 v26, v26
	v_min_u32_e32 v28, 32, v26
	s_delay_alu instid0(VALU_DEP_1) | instskip(NEXT) | instid1(VALU_DEP_1)
	v_subrev_nc_u32_e32 v26, 28, v28
	v_lshlrev_b64_e32 v[26:27], v26, v[2:3]
	s_delay_alu instid0(VALU_DEP_1)
	v_dual_sub_nc_u32 v27, 29, v28 :: v_dual_bitop2_b32 v26, 7, v26 bitop3:0x40
; %bb.62:                               ;   in Loop: Header=BB249_9 Depth=1
	s_or_b32 exec_lo, exec_lo, s33
	v_lshlrev_b32_e32 v28, 8, v2
	s_delay_alu instid0(VALU_DEP_2) | instskip(NEXT) | instid1(VALU_DEP_3)
	v_lshl_add_u32 v27, v27, 10, 0x2000
	v_lshlrev_b32_e32 v26, 7, v26
	s_delay_alu instid0(VALU_DEP_3) | instskip(NEXT) | instid1(VALU_DEP_3)
	v_and_b32_e32 v28, 0x8000, v28
	v_and_b32_e32 v27, 0xfc00, v27
	s_delay_alu instid0(VALU_DEP_1)
	v_or3_b32 v26, v28, v27, v26
.LBB249_63:                             ;   in Loop: Header=BB249_9 Depth=1
	s_or_b32 exec_lo, exec_lo, s31
.LBB249_64:                             ;   in Loop: Header=BB249_9 Depth=1
	s_delay_alu instid0(SALU_CYCLE_1)
	s_or_b32 exec_lo, exec_lo, s30
.LBB249_65:                             ;   in Loop: Header=BB249_9 Depth=1
	s_delay_alu instid0(SALU_CYCLE_1) | instskip(SKIP_2) | instid1(VALU_DEP_1)
	s_or_b32 exec_lo, exec_lo, s29
	v_lshrrev_b16 v2, 8, v2
	s_mov_b32 s29, exec_lo
	v_cmpx_ne_u16_e32 0, v2
	s_cbranch_execz .LBB249_73
; %bb.66:                               ;   in Loop: Header=BB249_9 Depth=1
	v_bfrev_b32_e32 v25, 1
	s_mov_b32 s30, exec_lo
	v_cmpx_ne_u16_e32 0x80, v2
	s_cbranch_execz .LBB249_72
; %bb.67:                               ;   in Loop: Header=BB249_9 Depth=1
	v_and_b32_e32 v27, 0xffff, v2
	v_mov_b32_e32 v25, 0x7c010000
	s_mov_b32 s31, exec_lo
	s_delay_alu instid0(VALU_DEP_2) | instskip(NEXT) | instid1(VALU_DEP_1)
	v_and_b32_e32 v29, 0x7f, v27
	v_cmpx_ne_u32_e32 0x7f, v29
	s_cbranch_execz .LBB249_71
; %bb.68:                               ;   in Loop: Header=BB249_9 Depth=1
	v_dual_lshrrev_b32 v28, 3, v29 :: v_dual_bitop2_b32 v25, 7, v27 bitop3:0x40
	s_mov_b32 s33, exec_lo
	v_cmpx_gt_u32_e32 8, v29
; %bb.69:                               ;   in Loop: Header=BB249_9 Depth=1
	s_delay_alu instid0(VALU_DEP_2) | instskip(NEXT) | instid1(VALU_DEP_1)
	v_clz_i32_u32_e32 v25, v25
	v_min_u32_e32 v25, 32, v25
	s_delay_alu instid0(VALU_DEP_1) | instskip(NEXT) | instid1(VALU_DEP_1)
	v_subrev_nc_u32_e32 v28, 28, v25
	v_lshlrev_b64_e32 v[30:31], v28, v[2:3]
	s_delay_alu instid0(VALU_DEP_1)
	v_dual_sub_nc_u32 v28, 29, v25 :: v_dual_bitop2_b32 v25, 7, v30 bitop3:0x40
; %bb.70:                               ;   in Loop: Header=BB249_9 Depth=1
	s_or_b32 exec_lo, exec_lo, s33
	s_delay_alu instid0(VALU_DEP_1) | instskip(NEXT) | instid1(VALU_DEP_2)
	v_dual_lshlrev_b32 v2, 8, v27 :: v_dual_lshlrev_b32 v25, 23, v25
	v_lshl_add_u32 v27, v28, 10, 0x2000
	s_delay_alu instid0(VALU_DEP_1) | instskip(NEXT) | instid1(VALU_DEP_1)
	v_and_or_b32 v2, 0x8000, v2, v27
	v_lshl_or_b32 v25, v2, 16, v25
.LBB249_71:                             ;   in Loop: Header=BB249_9 Depth=1
	s_or_b32 exec_lo, exec_lo, s31
.LBB249_72:                             ;   in Loop: Header=BB249_9 Depth=1
	s_delay_alu instid0(SALU_CYCLE_1)
	s_or_b32 exec_lo, exec_lo, s30
.LBB249_73:                             ;   in Loop: Header=BB249_9 Depth=1
	s_delay_alu instid0(SALU_CYCLE_1)
	s_or_b32 exec_lo, exec_lo, s29
	global_load_u16 v2, v[8:9], off offset:256
	v_mov_b32_e32 v27, 0
	s_wait_loadcnt 0x0
	v_and_b32_e32 v28, 0xff, v2
	v_and_b32_e32 v2, 0xffff, v2
	s_delay_alu instid0(VALU_DEP_2)
	v_cmp_ne_u16_e64 s5, 0, v28
	v_mov_b32_e32 v28, 0
	s_and_saveexec_b32 s29, s5
	s_cbranch_execz .LBB249_81
; %bb.74:                               ;   in Loop: Header=BB249_9 Depth=1
	v_and_b32_e32 v28, 0xff, v2
	s_delay_alu instid0(VALU_DEP_1)
	v_cmp_ne_u16_e64 s5, 0x80, v28
	v_mov_b32_e32 v28, 0x8000
	s_and_saveexec_b32 s30, s5
	s_cbranch_execz .LBB249_80
; %bb.75:                               ;   in Loop: Header=BB249_9 Depth=1
	v_and_b32_e32 v30, 0x7f, v2
	v_mov_b32_e32 v28, 0x7c01
	s_mov_b32 s31, exec_lo
	s_delay_alu instid0(VALU_DEP_2)
	v_cmpx_ne_u32_e32 0x7f, v30
	s_cbranch_execz .LBB249_79
; %bb.76:                               ;   in Loop: Header=BB249_9 Depth=1
	v_and_b32_e32 v28, 7, v2
	v_lshrrev_b32_e32 v29, 3, v30
	s_mov_b32 s33, exec_lo
	v_cmpx_gt_u32_e32 8, v30
; %bb.77:                               ;   in Loop: Header=BB249_9 Depth=1
	s_delay_alu instid0(VALU_DEP_3) | instskip(NEXT) | instid1(VALU_DEP_1)
	v_clz_i32_u32_e32 v28, v28
	v_min_u32_e32 v30, 32, v28
	s_delay_alu instid0(VALU_DEP_1) | instskip(NEXT) | instid1(VALU_DEP_1)
	v_subrev_nc_u32_e32 v28, 28, v30
	v_lshlrev_b64_e32 v[28:29], v28, v[2:3]
	s_delay_alu instid0(VALU_DEP_1)
	v_dual_sub_nc_u32 v29, 29, v30 :: v_dual_bitop2_b32 v28, 7, v28 bitop3:0x40
; %bb.78:                               ;   in Loop: Header=BB249_9 Depth=1
	s_or_b32 exec_lo, exec_lo, s33
	s_delay_alu instid0(VALU_DEP_1) | instskip(NEXT) | instid1(VALU_DEP_2)
	v_dual_lshlrev_b32 v30, 8, v2 :: v_dual_lshlrev_b32 v28, 7, v28
	v_lshl_add_u32 v29, v29, 10, 0x2000
	s_delay_alu instid0(VALU_DEP_2) | instskip(NEXT) | instid1(VALU_DEP_2)
	v_and_b32_e32 v30, 0x8000, v30
	v_and_b32_e32 v29, 0xfc00, v29
	s_delay_alu instid0(VALU_DEP_1)
	v_or3_b32 v28, v30, v29, v28
.LBB249_79:                             ;   in Loop: Header=BB249_9 Depth=1
	s_or_b32 exec_lo, exec_lo, s31
.LBB249_80:                             ;   in Loop: Header=BB249_9 Depth=1
	s_delay_alu instid0(SALU_CYCLE_1)
	s_or_b32 exec_lo, exec_lo, s30
.LBB249_81:                             ;   in Loop: Header=BB249_9 Depth=1
	s_delay_alu instid0(SALU_CYCLE_1) | instskip(SKIP_2) | instid1(VALU_DEP_1)
	s_or_b32 exec_lo, exec_lo, s29
	v_lshrrev_b16 v2, 8, v2
	s_mov_b32 s29, exec_lo
	v_cmpx_ne_u16_e32 0, v2
	s_cbranch_execz .LBB249_89
; %bb.82:                               ;   in Loop: Header=BB249_9 Depth=1
	v_bfrev_b32_e32 v27, 1
	s_mov_b32 s30, exec_lo
	v_cmpx_ne_u16_e32 0x80, v2
	s_cbranch_execz .LBB249_88
; %bb.83:                               ;   in Loop: Header=BB249_9 Depth=1
	v_and_b32_e32 v29, 0xffff, v2
	v_mov_b32_e32 v27, 0x7c010000
	s_mov_b32 s31, exec_lo
	s_delay_alu instid0(VALU_DEP_2) | instskip(NEXT) | instid1(VALU_DEP_1)
	v_and_b32_e32 v31, 0x7f, v29
	v_cmpx_ne_u32_e32 0x7f, v31
	s_cbranch_execz .LBB249_87
; %bb.84:                               ;   in Loop: Header=BB249_9 Depth=1
	v_dual_lshrrev_b32 v30, 3, v31 :: v_dual_bitop2_b32 v27, 7, v29 bitop3:0x40
	s_mov_b32 s33, exec_lo
	v_cmpx_gt_u32_e32 8, v31
; %bb.85:                               ;   in Loop: Header=BB249_9 Depth=1
	s_delay_alu instid0(VALU_DEP_2) | instskip(NEXT) | instid1(VALU_DEP_1)
	v_clz_i32_u32_e32 v27, v27
	v_min_u32_e32 v27, 32, v27
	s_delay_alu instid0(VALU_DEP_1) | instskip(NEXT) | instid1(VALU_DEP_1)
	v_subrev_nc_u32_e32 v30, 28, v27
	v_lshlrev_b64_e32 v[32:33], v30, v[2:3]
	s_delay_alu instid0(VALU_DEP_1)
	v_dual_sub_nc_u32 v30, 29, v27 :: v_dual_bitop2_b32 v27, 7, v32 bitop3:0x40
; %bb.86:                               ;   in Loop: Header=BB249_9 Depth=1
	s_or_b32 exec_lo, exec_lo, s33
	s_delay_alu instid0(VALU_DEP_1) | instskip(NEXT) | instid1(VALU_DEP_2)
	v_dual_lshlrev_b32 v2, 8, v29 :: v_dual_lshlrev_b32 v27, 23, v27
	v_lshl_add_u32 v29, v30, 10, 0x2000
	s_delay_alu instid0(VALU_DEP_1) | instskip(NEXT) | instid1(VALU_DEP_1)
	v_and_or_b32 v2, 0x8000, v2, v29
	v_lshl_or_b32 v27, v2, 16, v27
.LBB249_87:                             ;   in Loop: Header=BB249_9 Depth=1
	s_or_b32 exec_lo, exec_lo, s31
.LBB249_88:                             ;   in Loop: Header=BB249_9 Depth=1
	s_delay_alu instid0(SALU_CYCLE_1)
	s_or_b32 exec_lo, exec_lo, s30
.LBB249_89:                             ;   in Loop: Header=BB249_9 Depth=1
	s_delay_alu instid0(SALU_CYCLE_1)
	s_or_b32 exec_lo, exec_lo, s29
	global_load_u16 v2, v[8:9], off offset:264
	v_mov_b32_e32 v29, 0
	s_wait_loadcnt 0x0
	v_and_b32_e32 v30, 0xff, v2
	v_and_b32_e32 v2, 0xffff, v2
	s_delay_alu instid0(VALU_DEP_2)
	v_cmp_ne_u16_e64 s5, 0, v30
	v_mov_b32_e32 v30, 0
	s_and_saveexec_b32 s29, s5
	s_cbranch_execz .LBB249_97
; %bb.90:                               ;   in Loop: Header=BB249_9 Depth=1
	v_and_b32_e32 v30, 0xff, v2
	s_delay_alu instid0(VALU_DEP_1)
	v_cmp_ne_u16_e64 s5, 0x80, v30
	v_mov_b32_e32 v30, 0x8000
	s_and_saveexec_b32 s30, s5
	s_cbranch_execz .LBB249_96
; %bb.91:                               ;   in Loop: Header=BB249_9 Depth=1
	v_and_b32_e32 v32, 0x7f, v2
	v_mov_b32_e32 v30, 0x7c01
	s_mov_b32 s31, exec_lo
	s_delay_alu instid0(VALU_DEP_2)
	v_cmpx_ne_u32_e32 0x7f, v32
	s_cbranch_execz .LBB249_95
; %bb.92:                               ;   in Loop: Header=BB249_9 Depth=1
	v_dual_lshrrev_b32 v31, 3, v32 :: v_dual_bitop2_b32 v30, 7, v2 bitop3:0x40
	s_mov_b32 s33, exec_lo
	v_cmpx_gt_u32_e32 8, v32
; %bb.93:                               ;   in Loop: Header=BB249_9 Depth=1
	s_delay_alu instid0(VALU_DEP_2) | instskip(NEXT) | instid1(VALU_DEP_1)
	v_clz_i32_u32_e32 v30, v30
	v_min_u32_e32 v32, 32, v30
	s_delay_alu instid0(VALU_DEP_1) | instskip(NEXT) | instid1(VALU_DEP_1)
	v_subrev_nc_u32_e32 v30, 28, v32
	v_lshlrev_b64_e32 v[30:31], v30, v[2:3]
	s_delay_alu instid0(VALU_DEP_1)
	v_dual_sub_nc_u32 v31, 29, v32 :: v_dual_bitop2_b32 v30, 7, v30 bitop3:0x40
; %bb.94:                               ;   in Loop: Header=BB249_9 Depth=1
	s_or_b32 exec_lo, exec_lo, s33
	v_lshlrev_b32_e32 v32, 8, v2
	s_delay_alu instid0(VALU_DEP_2) | instskip(NEXT) | instid1(VALU_DEP_3)
	v_lshl_add_u32 v31, v31, 10, 0x2000
	v_lshlrev_b32_e32 v30, 7, v30
	s_delay_alu instid0(VALU_DEP_3) | instskip(NEXT) | instid1(VALU_DEP_3)
	v_and_b32_e32 v32, 0x8000, v32
	v_and_b32_e32 v31, 0xfc00, v31
	s_delay_alu instid0(VALU_DEP_1)
	v_or3_b32 v30, v32, v31, v30
.LBB249_95:                             ;   in Loop: Header=BB249_9 Depth=1
	s_or_b32 exec_lo, exec_lo, s31
.LBB249_96:                             ;   in Loop: Header=BB249_9 Depth=1
	s_delay_alu instid0(SALU_CYCLE_1)
	s_or_b32 exec_lo, exec_lo, s30
.LBB249_97:                             ;   in Loop: Header=BB249_9 Depth=1
	s_delay_alu instid0(SALU_CYCLE_1) | instskip(SKIP_2) | instid1(VALU_DEP_1)
	s_or_b32 exec_lo, exec_lo, s29
	v_lshrrev_b16 v2, 8, v2
	s_mov_b32 s29, exec_lo
	v_cmpx_ne_u16_e32 0, v2
	s_cbranch_execz .LBB249_105
; %bb.98:                               ;   in Loop: Header=BB249_9 Depth=1
	v_bfrev_b32_e32 v29, 1
	s_mov_b32 s30, exec_lo
	v_cmpx_ne_u16_e32 0x80, v2
	s_cbranch_execz .LBB249_104
; %bb.99:                               ;   in Loop: Header=BB249_9 Depth=1
	v_and_b32_e32 v31, 0xffff, v2
	v_mov_b32_e32 v29, 0x7c010000
	s_mov_b32 s31, exec_lo
	s_delay_alu instid0(VALU_DEP_2) | instskip(NEXT) | instid1(VALU_DEP_1)
	v_and_b32_e32 v33, 0x7f, v31
	v_cmpx_ne_u32_e32 0x7f, v33
	s_cbranch_execz .LBB249_103
; %bb.100:                              ;   in Loop: Header=BB249_9 Depth=1
	v_dual_lshrrev_b32 v32, 3, v33 :: v_dual_bitop2_b32 v29, 7, v31 bitop3:0x40
	s_mov_b32 s33, exec_lo
	v_cmpx_gt_u32_e32 8, v33
; %bb.101:                              ;   in Loop: Header=BB249_9 Depth=1
	s_delay_alu instid0(VALU_DEP_2) | instskip(NEXT) | instid1(VALU_DEP_1)
	v_clz_i32_u32_e32 v29, v29
	v_min_u32_e32 v29, 32, v29
	s_delay_alu instid0(VALU_DEP_1) | instskip(NEXT) | instid1(VALU_DEP_1)
	v_subrev_nc_u32_e32 v32, 28, v29
	v_lshlrev_b64_e32 v[34:35], v32, v[2:3]
	s_delay_alu instid0(VALU_DEP_1)
	v_dual_sub_nc_u32 v32, 29, v29 :: v_dual_bitop2_b32 v29, 7, v34 bitop3:0x40
; %bb.102:                              ;   in Loop: Header=BB249_9 Depth=1
	s_or_b32 exec_lo, exec_lo, s33
	s_delay_alu instid0(VALU_DEP_1) | instskip(NEXT) | instid1(VALU_DEP_2)
	v_dual_lshlrev_b32 v2, 8, v31 :: v_dual_lshlrev_b32 v29, 23, v29
	v_lshl_add_u32 v31, v32, 10, 0x2000
	s_delay_alu instid0(VALU_DEP_1) | instskip(NEXT) | instid1(VALU_DEP_1)
	v_and_or_b32 v2, 0x8000, v2, v31
	v_lshl_or_b32 v29, v2, 16, v29
.LBB249_103:                            ;   in Loop: Header=BB249_9 Depth=1
	s_or_b32 exec_lo, exec_lo, s31
.LBB249_104:                            ;   in Loop: Header=BB249_9 Depth=1
	s_delay_alu instid0(SALU_CYCLE_1)
	s_or_b32 exec_lo, exec_lo, s30
.LBB249_105:                            ;   in Loop: Header=BB249_9 Depth=1
	s_delay_alu instid0(SALU_CYCLE_1)
	s_or_b32 exec_lo, exec_lo, s29
	global_load_u16 v2, v[8:9], off offset:384
	v_mov_b32_e32 v31, 0
	s_wait_loadcnt 0x0
	v_and_b32_e32 v32, 0xff, v2
	v_and_b32_e32 v2, 0xffff, v2
	s_delay_alu instid0(VALU_DEP_2)
	v_cmp_ne_u16_e64 s5, 0, v32
	v_mov_b32_e32 v32, 0
	s_and_saveexec_b32 s29, s5
	s_cbranch_execz .LBB249_113
; %bb.106:                              ;   in Loop: Header=BB249_9 Depth=1
	v_and_b32_e32 v32, 0xff, v2
	s_delay_alu instid0(VALU_DEP_1)
	v_cmp_ne_u16_e64 s5, 0x80, v32
	v_mov_b32_e32 v32, 0x8000
	s_and_saveexec_b32 s30, s5
	s_cbranch_execz .LBB249_112
; %bb.107:                              ;   in Loop: Header=BB249_9 Depth=1
	v_and_b32_e32 v34, 0x7f, v2
	v_mov_b32_e32 v32, 0x7c01
	s_mov_b32 s31, exec_lo
	s_delay_alu instid0(VALU_DEP_2)
	v_cmpx_ne_u32_e32 0x7f, v34
	s_cbranch_execz .LBB249_111
; %bb.108:                              ;   in Loop: Header=BB249_9 Depth=1
	v_and_b32_e32 v32, 7, v2
	v_lshrrev_b32_e32 v33, 3, v34
	s_mov_b32 s33, exec_lo
	v_cmpx_gt_u32_e32 8, v34
; %bb.109:                              ;   in Loop: Header=BB249_9 Depth=1
	s_delay_alu instid0(VALU_DEP_3) | instskip(NEXT) | instid1(VALU_DEP_1)
	v_clz_i32_u32_e32 v32, v32
	v_min_u32_e32 v34, 32, v32
	s_delay_alu instid0(VALU_DEP_1) | instskip(NEXT) | instid1(VALU_DEP_1)
	v_subrev_nc_u32_e32 v32, 28, v34
	v_lshlrev_b64_e32 v[32:33], v32, v[2:3]
	s_delay_alu instid0(VALU_DEP_1)
	v_dual_sub_nc_u32 v33, 29, v34 :: v_dual_bitop2_b32 v32, 7, v32 bitop3:0x40
; %bb.110:                              ;   in Loop: Header=BB249_9 Depth=1
	s_or_b32 exec_lo, exec_lo, s33
	s_delay_alu instid0(VALU_DEP_1) | instskip(NEXT) | instid1(VALU_DEP_2)
	v_dual_lshlrev_b32 v34, 8, v2 :: v_dual_lshlrev_b32 v32, 7, v32
	v_lshl_add_u32 v33, v33, 10, 0x2000
	s_delay_alu instid0(VALU_DEP_2) | instskip(NEXT) | instid1(VALU_DEP_2)
	v_and_b32_e32 v34, 0x8000, v34
	v_and_b32_e32 v33, 0xfc00, v33
	s_delay_alu instid0(VALU_DEP_1)
	v_or3_b32 v32, v34, v33, v32
.LBB249_111:                            ;   in Loop: Header=BB249_9 Depth=1
	s_or_b32 exec_lo, exec_lo, s31
.LBB249_112:                            ;   in Loop: Header=BB249_9 Depth=1
	s_delay_alu instid0(SALU_CYCLE_1)
	s_or_b32 exec_lo, exec_lo, s30
.LBB249_113:                            ;   in Loop: Header=BB249_9 Depth=1
	s_delay_alu instid0(SALU_CYCLE_1) | instskip(SKIP_2) | instid1(VALU_DEP_1)
	s_or_b32 exec_lo, exec_lo, s29
	v_lshrrev_b16 v2, 8, v2
	s_mov_b32 s29, exec_lo
	v_cmpx_ne_u16_e32 0, v2
	s_cbranch_execz .LBB249_121
; %bb.114:                              ;   in Loop: Header=BB249_9 Depth=1
	v_bfrev_b32_e32 v31, 1
	s_mov_b32 s30, exec_lo
	v_cmpx_ne_u16_e32 0x80, v2
	s_cbranch_execz .LBB249_120
; %bb.115:                              ;   in Loop: Header=BB249_9 Depth=1
	v_and_b32_e32 v33, 0xffff, v2
	v_mov_b32_e32 v31, 0x7c010000
	s_mov_b32 s31, exec_lo
	s_delay_alu instid0(VALU_DEP_2) | instskip(NEXT) | instid1(VALU_DEP_1)
	v_and_b32_e32 v35, 0x7f, v33
	v_cmpx_ne_u32_e32 0x7f, v35
	s_cbranch_execz .LBB249_119
; %bb.116:                              ;   in Loop: Header=BB249_9 Depth=1
	v_dual_lshrrev_b32 v34, 3, v35 :: v_dual_bitop2_b32 v31, 7, v33 bitop3:0x40
	s_mov_b32 s33, exec_lo
	v_cmpx_gt_u32_e32 8, v35
; %bb.117:                              ;   in Loop: Header=BB249_9 Depth=1
	s_delay_alu instid0(VALU_DEP_2) | instskip(NEXT) | instid1(VALU_DEP_1)
	v_clz_i32_u32_e32 v31, v31
	v_min_u32_e32 v31, 32, v31
	s_delay_alu instid0(VALU_DEP_1) | instskip(NEXT) | instid1(VALU_DEP_1)
	v_subrev_nc_u32_e32 v34, 28, v31
	v_lshlrev_b64_e32 v[36:37], v34, v[2:3]
	s_delay_alu instid0(VALU_DEP_1)
	v_dual_sub_nc_u32 v34, 29, v31 :: v_dual_bitop2_b32 v31, 7, v36 bitop3:0x40
; %bb.118:                              ;   in Loop: Header=BB249_9 Depth=1
	s_or_b32 exec_lo, exec_lo, s33
	s_delay_alu instid0(VALU_DEP_1) | instskip(NEXT) | instid1(VALU_DEP_2)
	v_dual_lshlrev_b32 v2, 8, v33 :: v_dual_lshlrev_b32 v31, 23, v31
	v_lshl_add_u32 v33, v34, 10, 0x2000
	s_delay_alu instid0(VALU_DEP_1) | instskip(NEXT) | instid1(VALU_DEP_1)
	v_and_or_b32 v2, 0x8000, v2, v33
	v_lshl_or_b32 v31, v2, 16, v31
.LBB249_119:                            ;   in Loop: Header=BB249_9 Depth=1
	s_or_b32 exec_lo, exec_lo, s31
.LBB249_120:                            ;   in Loop: Header=BB249_9 Depth=1
	s_delay_alu instid0(SALU_CYCLE_1)
	s_or_b32 exec_lo, exec_lo, s30
.LBB249_121:                            ;   in Loop: Header=BB249_9 Depth=1
	s_delay_alu instid0(SALU_CYCLE_1)
	s_or_b32 exec_lo, exec_lo, s29
	global_load_u16 v2, v[8:9], off offset:392
	v_mov_b32_e32 v33, 0
	s_wait_loadcnt 0x0
	v_and_b32_e32 v34, 0xff, v2
	v_and_b32_e32 v2, 0xffff, v2
	s_delay_alu instid0(VALU_DEP_2)
	v_cmp_ne_u16_e64 s5, 0, v34
	v_mov_b32_e32 v34, 0
	s_and_saveexec_b32 s29, s5
	s_cbranch_execz .LBB249_129
; %bb.122:                              ;   in Loop: Header=BB249_9 Depth=1
	v_and_b32_e32 v34, 0xff, v2
	s_delay_alu instid0(VALU_DEP_1)
	v_cmp_ne_u16_e64 s5, 0x80, v34
	v_mov_b32_e32 v34, 0x8000
	s_and_saveexec_b32 s30, s5
	s_cbranch_execz .LBB249_128
; %bb.123:                              ;   in Loop: Header=BB249_9 Depth=1
	v_and_b32_e32 v36, 0x7f, v2
	v_mov_b32_e32 v34, 0x7c01
	s_mov_b32 s31, exec_lo
	s_delay_alu instid0(VALU_DEP_2)
	v_cmpx_ne_u32_e32 0x7f, v36
	s_cbranch_execz .LBB249_127
; %bb.124:                              ;   in Loop: Header=BB249_9 Depth=1
	v_dual_lshrrev_b32 v35, 3, v36 :: v_dual_bitop2_b32 v34, 7, v2 bitop3:0x40
	s_mov_b32 s33, exec_lo
	v_cmpx_gt_u32_e32 8, v36
; %bb.125:                              ;   in Loop: Header=BB249_9 Depth=1
	s_delay_alu instid0(VALU_DEP_2) | instskip(NEXT) | instid1(VALU_DEP_1)
	v_clz_i32_u32_e32 v34, v34
	v_min_u32_e32 v36, 32, v34
	s_delay_alu instid0(VALU_DEP_1) | instskip(NEXT) | instid1(VALU_DEP_1)
	v_subrev_nc_u32_e32 v34, 28, v36
	v_lshlrev_b64_e32 v[34:35], v34, v[2:3]
	s_delay_alu instid0(VALU_DEP_1)
	v_dual_sub_nc_u32 v35, 29, v36 :: v_dual_bitop2_b32 v34, 7, v34 bitop3:0x40
; %bb.126:                              ;   in Loop: Header=BB249_9 Depth=1
	s_or_b32 exec_lo, exec_lo, s33
	v_lshlrev_b32_e32 v36, 8, v2
	s_delay_alu instid0(VALU_DEP_2) | instskip(NEXT) | instid1(VALU_DEP_3)
	v_lshl_add_u32 v35, v35, 10, 0x2000
	v_lshlrev_b32_e32 v34, 7, v34
	s_delay_alu instid0(VALU_DEP_3) | instskip(NEXT) | instid1(VALU_DEP_3)
	v_and_b32_e32 v36, 0x8000, v36
	v_and_b32_e32 v35, 0xfc00, v35
	s_delay_alu instid0(VALU_DEP_1)
	v_or3_b32 v34, v36, v35, v34
.LBB249_127:                            ;   in Loop: Header=BB249_9 Depth=1
	s_or_b32 exec_lo, exec_lo, s31
.LBB249_128:                            ;   in Loop: Header=BB249_9 Depth=1
	s_delay_alu instid0(SALU_CYCLE_1)
	s_or_b32 exec_lo, exec_lo, s30
.LBB249_129:                            ;   in Loop: Header=BB249_9 Depth=1
	s_delay_alu instid0(SALU_CYCLE_1) | instskip(SKIP_2) | instid1(VALU_DEP_1)
	s_or_b32 exec_lo, exec_lo, s29
	v_lshrrev_b16 v2, 8, v2
	s_mov_b32 s29, exec_lo
	v_cmpx_ne_u16_e32 0, v2
	s_cbranch_execz .LBB249_137
; %bb.130:                              ;   in Loop: Header=BB249_9 Depth=1
	v_bfrev_b32_e32 v33, 1
	s_mov_b32 s30, exec_lo
	v_cmpx_ne_u16_e32 0x80, v2
	s_cbranch_execz .LBB249_136
; %bb.131:                              ;   in Loop: Header=BB249_9 Depth=1
	v_and_b32_e32 v35, 0xffff, v2
	v_mov_b32_e32 v33, 0x7c010000
	s_mov_b32 s31, exec_lo
	s_delay_alu instid0(VALU_DEP_2) | instskip(NEXT) | instid1(VALU_DEP_1)
	v_and_b32_e32 v37, 0x7f, v35
	v_cmpx_ne_u32_e32 0x7f, v37
	s_cbranch_execz .LBB249_135
; %bb.132:                              ;   in Loop: Header=BB249_9 Depth=1
	v_dual_lshrrev_b32 v36, 3, v37 :: v_dual_bitop2_b32 v33, 7, v35 bitop3:0x40
	s_mov_b32 s33, exec_lo
	v_cmpx_gt_u32_e32 8, v37
; %bb.133:                              ;   in Loop: Header=BB249_9 Depth=1
	s_delay_alu instid0(VALU_DEP_2) | instskip(NEXT) | instid1(VALU_DEP_1)
	v_clz_i32_u32_e32 v33, v33
	v_min_u32_e32 v33, 32, v33
	s_delay_alu instid0(VALU_DEP_1) | instskip(NEXT) | instid1(VALU_DEP_1)
	v_subrev_nc_u32_e32 v36, 28, v33
	v_lshlrev_b64_e32 v[38:39], v36, v[2:3]
	s_delay_alu instid0(VALU_DEP_1)
	v_dual_sub_nc_u32 v36, 29, v33 :: v_dual_bitop2_b32 v33, 7, v38 bitop3:0x40
; %bb.134:                              ;   in Loop: Header=BB249_9 Depth=1
	s_or_b32 exec_lo, exec_lo, s33
	s_delay_alu instid0(VALU_DEP_1) | instskip(NEXT) | instid1(VALU_DEP_2)
	v_dual_lshlrev_b32 v2, 8, v35 :: v_dual_lshlrev_b32 v33, 23, v33
	v_lshl_add_u32 v35, v36, 10, 0x2000
	s_delay_alu instid0(VALU_DEP_1) | instskip(NEXT) | instid1(VALU_DEP_1)
	v_and_or_b32 v2, 0x8000, v2, v35
	v_lshl_or_b32 v33, v2, 16, v33
.LBB249_135:                            ;   in Loop: Header=BB249_9 Depth=1
	s_or_b32 exec_lo, exec_lo, s31
.LBB249_136:                            ;   in Loop: Header=BB249_9 Depth=1
	s_delay_alu instid0(SALU_CYCLE_1)
	s_or_b32 exec_lo, exec_lo, s30
.LBB249_137:                            ;   in Loop: Header=BB249_9 Depth=1
	s_delay_alu instid0(SALU_CYCLE_1)
	s_or_b32 exec_lo, exec_lo, s29
	global_load_u16 v2, v[8:9], off offset:512
	v_mov_b32_e32 v35, 0
	s_wait_loadcnt 0x0
	v_and_b32_e32 v36, 0xff, v2
	v_and_b32_e32 v2, 0xffff, v2
	s_delay_alu instid0(VALU_DEP_2)
	v_cmp_ne_u16_e64 s5, 0, v36
	v_mov_b32_e32 v36, 0
	s_and_saveexec_b32 s29, s5
	s_cbranch_execz .LBB249_145
; %bb.138:                              ;   in Loop: Header=BB249_9 Depth=1
	v_and_b32_e32 v36, 0xff, v2
	s_delay_alu instid0(VALU_DEP_1)
	v_cmp_ne_u16_e64 s5, 0x80, v36
	v_mov_b32_e32 v36, 0x8000
	s_and_saveexec_b32 s30, s5
	s_cbranch_execz .LBB249_144
; %bb.139:                              ;   in Loop: Header=BB249_9 Depth=1
	v_and_b32_e32 v38, 0x7f, v2
	v_mov_b32_e32 v36, 0x7c01
	s_mov_b32 s31, exec_lo
	s_delay_alu instid0(VALU_DEP_2)
	v_cmpx_ne_u32_e32 0x7f, v38
	s_cbranch_execz .LBB249_143
; %bb.140:                              ;   in Loop: Header=BB249_9 Depth=1
	v_and_b32_e32 v36, 7, v2
	v_lshrrev_b32_e32 v37, 3, v38
	s_mov_b32 s33, exec_lo
	v_cmpx_gt_u32_e32 8, v38
; %bb.141:                              ;   in Loop: Header=BB249_9 Depth=1
	s_delay_alu instid0(VALU_DEP_3) | instskip(NEXT) | instid1(VALU_DEP_1)
	v_clz_i32_u32_e32 v36, v36
	v_min_u32_e32 v38, 32, v36
	s_delay_alu instid0(VALU_DEP_1) | instskip(NEXT) | instid1(VALU_DEP_1)
	v_subrev_nc_u32_e32 v36, 28, v38
	v_lshlrev_b64_e32 v[36:37], v36, v[2:3]
	s_delay_alu instid0(VALU_DEP_1)
	v_dual_sub_nc_u32 v37, 29, v38 :: v_dual_bitop2_b32 v36, 7, v36 bitop3:0x40
; %bb.142:                              ;   in Loop: Header=BB249_9 Depth=1
	s_or_b32 exec_lo, exec_lo, s33
	s_delay_alu instid0(VALU_DEP_1) | instskip(NEXT) | instid1(VALU_DEP_2)
	v_dual_lshlrev_b32 v38, 8, v2 :: v_dual_lshlrev_b32 v36, 7, v36
	v_lshl_add_u32 v37, v37, 10, 0x2000
	s_delay_alu instid0(VALU_DEP_2) | instskip(NEXT) | instid1(VALU_DEP_2)
	v_and_b32_e32 v38, 0x8000, v38
	v_and_b32_e32 v37, 0xfc00, v37
	s_delay_alu instid0(VALU_DEP_1)
	v_or3_b32 v36, v38, v37, v36
.LBB249_143:                            ;   in Loop: Header=BB249_9 Depth=1
	s_or_b32 exec_lo, exec_lo, s31
.LBB249_144:                            ;   in Loop: Header=BB249_9 Depth=1
	s_delay_alu instid0(SALU_CYCLE_1)
	s_or_b32 exec_lo, exec_lo, s30
.LBB249_145:                            ;   in Loop: Header=BB249_9 Depth=1
	s_delay_alu instid0(SALU_CYCLE_1) | instskip(SKIP_2) | instid1(VALU_DEP_1)
	s_or_b32 exec_lo, exec_lo, s29
	v_lshrrev_b16 v2, 8, v2
	s_mov_b32 s29, exec_lo
	v_cmpx_ne_u16_e32 0, v2
	s_cbranch_execz .LBB249_153
; %bb.146:                              ;   in Loop: Header=BB249_9 Depth=1
	v_bfrev_b32_e32 v35, 1
	s_mov_b32 s30, exec_lo
	v_cmpx_ne_u16_e32 0x80, v2
	s_cbranch_execz .LBB249_152
; %bb.147:                              ;   in Loop: Header=BB249_9 Depth=1
	v_and_b32_e32 v37, 0xffff, v2
	v_mov_b32_e32 v35, 0x7c010000
	s_mov_b32 s31, exec_lo
	s_delay_alu instid0(VALU_DEP_2) | instskip(NEXT) | instid1(VALU_DEP_1)
	v_and_b32_e32 v39, 0x7f, v37
	v_cmpx_ne_u32_e32 0x7f, v39
	s_cbranch_execz .LBB249_151
; %bb.148:                              ;   in Loop: Header=BB249_9 Depth=1
	v_dual_lshrrev_b32 v38, 3, v39 :: v_dual_bitop2_b32 v35, 7, v37 bitop3:0x40
	s_mov_b32 s33, exec_lo
	v_cmpx_gt_u32_e32 8, v39
; %bb.149:                              ;   in Loop: Header=BB249_9 Depth=1
	s_delay_alu instid0(VALU_DEP_2) | instskip(NEXT) | instid1(VALU_DEP_1)
	v_clz_i32_u32_e32 v35, v35
	v_min_u32_e32 v35, 32, v35
	s_delay_alu instid0(VALU_DEP_1) | instskip(NEXT) | instid1(VALU_DEP_1)
	v_subrev_nc_u32_e32 v38, 28, v35
	v_lshlrev_b64_e32 v[40:41], v38, v[2:3]
	s_delay_alu instid0(VALU_DEP_1)
	v_dual_sub_nc_u32 v38, 29, v35 :: v_dual_bitop2_b32 v35, 7, v40 bitop3:0x40
; %bb.150:                              ;   in Loop: Header=BB249_9 Depth=1
	s_or_b32 exec_lo, exec_lo, s33
	s_delay_alu instid0(VALU_DEP_1) | instskip(NEXT) | instid1(VALU_DEP_2)
	v_dual_lshlrev_b32 v2, 8, v37 :: v_dual_lshlrev_b32 v35, 23, v35
	v_lshl_add_u32 v37, v38, 10, 0x2000
	s_delay_alu instid0(VALU_DEP_1) | instskip(NEXT) | instid1(VALU_DEP_1)
	v_and_or_b32 v2, 0x8000, v2, v37
	v_lshl_or_b32 v35, v2, 16, v35
.LBB249_151:                            ;   in Loop: Header=BB249_9 Depth=1
	s_or_b32 exec_lo, exec_lo, s31
.LBB249_152:                            ;   in Loop: Header=BB249_9 Depth=1
	s_delay_alu instid0(SALU_CYCLE_1)
	s_or_b32 exec_lo, exec_lo, s30
.LBB249_153:                            ;   in Loop: Header=BB249_9 Depth=1
	s_delay_alu instid0(SALU_CYCLE_1)
	s_or_b32 exec_lo, exec_lo, s29
	global_load_u16 v2, v[8:9], off offset:520
	v_mov_b32_e32 v37, 0
	s_wait_loadcnt 0x0
	v_and_b32_e32 v38, 0xff, v2
	v_and_b32_e32 v2, 0xffff, v2
	s_delay_alu instid0(VALU_DEP_2)
	v_cmp_ne_u16_e64 s5, 0, v38
	v_mov_b32_e32 v38, 0
	s_and_saveexec_b32 s29, s5
	s_cbranch_execz .LBB249_161
; %bb.154:                              ;   in Loop: Header=BB249_9 Depth=1
	v_and_b32_e32 v38, 0xff, v2
	s_delay_alu instid0(VALU_DEP_1)
	v_cmp_ne_u16_e64 s5, 0x80, v38
	v_mov_b32_e32 v38, 0x8000
	s_and_saveexec_b32 s30, s5
	s_cbranch_execz .LBB249_160
; %bb.155:                              ;   in Loop: Header=BB249_9 Depth=1
	v_and_b32_e32 v40, 0x7f, v2
	v_mov_b32_e32 v38, 0x7c01
	s_mov_b32 s31, exec_lo
	s_delay_alu instid0(VALU_DEP_2)
	v_cmpx_ne_u32_e32 0x7f, v40
	s_cbranch_execz .LBB249_159
; %bb.156:                              ;   in Loop: Header=BB249_9 Depth=1
	v_dual_lshrrev_b32 v39, 3, v40 :: v_dual_bitop2_b32 v38, 7, v2 bitop3:0x40
	s_mov_b32 s33, exec_lo
	v_cmpx_gt_u32_e32 8, v40
; %bb.157:                              ;   in Loop: Header=BB249_9 Depth=1
	s_delay_alu instid0(VALU_DEP_2) | instskip(NEXT) | instid1(VALU_DEP_1)
	v_clz_i32_u32_e32 v38, v38
	v_min_u32_e32 v40, 32, v38
	s_delay_alu instid0(VALU_DEP_1) | instskip(NEXT) | instid1(VALU_DEP_1)
	v_subrev_nc_u32_e32 v38, 28, v40
	v_lshlrev_b64_e32 v[38:39], v38, v[2:3]
	s_delay_alu instid0(VALU_DEP_1)
	v_dual_sub_nc_u32 v39, 29, v40 :: v_dual_bitop2_b32 v38, 7, v38 bitop3:0x40
; %bb.158:                              ;   in Loop: Header=BB249_9 Depth=1
	s_or_b32 exec_lo, exec_lo, s33
	v_lshlrev_b32_e32 v40, 8, v2
	s_delay_alu instid0(VALU_DEP_2) | instskip(NEXT) | instid1(VALU_DEP_3)
	v_lshl_add_u32 v39, v39, 10, 0x2000
	v_lshlrev_b32_e32 v38, 7, v38
	s_delay_alu instid0(VALU_DEP_3) | instskip(NEXT) | instid1(VALU_DEP_3)
	v_and_b32_e32 v40, 0x8000, v40
	v_and_b32_e32 v39, 0xfc00, v39
	s_delay_alu instid0(VALU_DEP_1)
	v_or3_b32 v38, v40, v39, v38
.LBB249_159:                            ;   in Loop: Header=BB249_9 Depth=1
	s_or_b32 exec_lo, exec_lo, s31
.LBB249_160:                            ;   in Loop: Header=BB249_9 Depth=1
	s_delay_alu instid0(SALU_CYCLE_1)
	s_or_b32 exec_lo, exec_lo, s30
.LBB249_161:                            ;   in Loop: Header=BB249_9 Depth=1
	s_delay_alu instid0(SALU_CYCLE_1) | instskip(SKIP_2) | instid1(VALU_DEP_1)
	s_or_b32 exec_lo, exec_lo, s29
	v_lshrrev_b16 v2, 8, v2
	s_mov_b32 s29, exec_lo
	v_cmpx_ne_u16_e32 0, v2
	s_cbranch_execz .LBB249_169
; %bb.162:                              ;   in Loop: Header=BB249_9 Depth=1
	v_bfrev_b32_e32 v37, 1
	s_mov_b32 s30, exec_lo
	v_cmpx_ne_u16_e32 0x80, v2
	s_cbranch_execz .LBB249_168
; %bb.163:                              ;   in Loop: Header=BB249_9 Depth=1
	v_and_b32_e32 v39, 0xffff, v2
	v_mov_b32_e32 v37, 0x7c010000
	s_mov_b32 s31, exec_lo
	s_delay_alu instid0(VALU_DEP_2) | instskip(NEXT) | instid1(VALU_DEP_1)
	v_and_b32_e32 v41, 0x7f, v39
	v_cmpx_ne_u32_e32 0x7f, v41
	s_cbranch_execz .LBB249_167
; %bb.164:                              ;   in Loop: Header=BB249_9 Depth=1
	v_dual_lshrrev_b32 v40, 3, v41 :: v_dual_bitop2_b32 v37, 7, v39 bitop3:0x40
	s_mov_b32 s33, exec_lo
	v_cmpx_gt_u32_e32 8, v41
; %bb.165:                              ;   in Loop: Header=BB249_9 Depth=1
	s_delay_alu instid0(VALU_DEP_2) | instskip(NEXT) | instid1(VALU_DEP_1)
	v_clz_i32_u32_e32 v37, v37
	v_min_u32_e32 v37, 32, v37
	s_delay_alu instid0(VALU_DEP_1) | instskip(NEXT) | instid1(VALU_DEP_1)
	v_subrev_nc_u32_e32 v40, 28, v37
	v_lshlrev_b64_e32 v[42:43], v40, v[2:3]
	s_delay_alu instid0(VALU_DEP_1)
	v_dual_sub_nc_u32 v40, 29, v37 :: v_dual_bitop2_b32 v37, 7, v42 bitop3:0x40
; %bb.166:                              ;   in Loop: Header=BB249_9 Depth=1
	s_or_b32 exec_lo, exec_lo, s33
	s_delay_alu instid0(VALU_DEP_1) | instskip(NEXT) | instid1(VALU_DEP_2)
	v_dual_lshlrev_b32 v2, 8, v39 :: v_dual_lshlrev_b32 v37, 23, v37
	v_lshl_add_u32 v39, v40, 10, 0x2000
	s_delay_alu instid0(VALU_DEP_1) | instskip(NEXT) | instid1(VALU_DEP_1)
	v_and_or_b32 v2, 0x8000, v2, v39
	v_lshl_or_b32 v37, v2, 16, v37
.LBB249_167:                            ;   in Loop: Header=BB249_9 Depth=1
	s_or_b32 exec_lo, exec_lo, s31
.LBB249_168:                            ;   in Loop: Header=BB249_9 Depth=1
	s_delay_alu instid0(SALU_CYCLE_1)
	s_or_b32 exec_lo, exec_lo, s30
.LBB249_169:                            ;   in Loop: Header=BB249_9 Depth=1
	s_delay_alu instid0(SALU_CYCLE_1)
	s_or_b32 exec_lo, exec_lo, s29
	global_load_u16 v2, v[8:9], off offset:640
	v_mov_b32_e32 v39, 0
	s_wait_loadcnt 0x0
	v_and_b32_e32 v40, 0xff, v2
	v_and_b32_e32 v2, 0xffff, v2
	s_delay_alu instid0(VALU_DEP_2)
	v_cmp_ne_u16_e64 s5, 0, v40
	v_mov_b32_e32 v40, 0
	s_and_saveexec_b32 s29, s5
	s_cbranch_execz .LBB249_177
; %bb.170:                              ;   in Loop: Header=BB249_9 Depth=1
	v_and_b32_e32 v40, 0xff, v2
	s_delay_alu instid0(VALU_DEP_1)
	v_cmp_ne_u16_e64 s5, 0x80, v40
	v_mov_b32_e32 v40, 0x8000
	s_and_saveexec_b32 s30, s5
	s_cbranch_execz .LBB249_176
; %bb.171:                              ;   in Loop: Header=BB249_9 Depth=1
	v_and_b32_e32 v42, 0x7f, v2
	v_mov_b32_e32 v40, 0x7c01
	s_mov_b32 s31, exec_lo
	s_delay_alu instid0(VALU_DEP_2)
	v_cmpx_ne_u32_e32 0x7f, v42
	s_cbranch_execz .LBB249_175
; %bb.172:                              ;   in Loop: Header=BB249_9 Depth=1
	v_and_b32_e32 v40, 7, v2
	v_lshrrev_b32_e32 v41, 3, v42
	s_mov_b32 s33, exec_lo
	v_cmpx_gt_u32_e32 8, v42
; %bb.173:                              ;   in Loop: Header=BB249_9 Depth=1
	s_delay_alu instid0(VALU_DEP_3) | instskip(NEXT) | instid1(VALU_DEP_1)
	v_clz_i32_u32_e32 v40, v40
	v_min_u32_e32 v42, 32, v40
	s_delay_alu instid0(VALU_DEP_1) | instskip(NEXT) | instid1(VALU_DEP_1)
	v_subrev_nc_u32_e32 v40, 28, v42
	v_lshlrev_b64_e32 v[40:41], v40, v[2:3]
	s_delay_alu instid0(VALU_DEP_1)
	v_dual_sub_nc_u32 v41, 29, v42 :: v_dual_bitop2_b32 v40, 7, v40 bitop3:0x40
; %bb.174:                              ;   in Loop: Header=BB249_9 Depth=1
	s_or_b32 exec_lo, exec_lo, s33
	s_delay_alu instid0(VALU_DEP_1) | instskip(NEXT) | instid1(VALU_DEP_2)
	v_dual_lshlrev_b32 v42, 8, v2 :: v_dual_lshlrev_b32 v40, 7, v40
	v_lshl_add_u32 v41, v41, 10, 0x2000
	s_delay_alu instid0(VALU_DEP_2) | instskip(NEXT) | instid1(VALU_DEP_2)
	v_and_b32_e32 v42, 0x8000, v42
	v_and_b32_e32 v41, 0xfc00, v41
	s_delay_alu instid0(VALU_DEP_1)
	v_or3_b32 v40, v42, v41, v40
.LBB249_175:                            ;   in Loop: Header=BB249_9 Depth=1
	s_or_b32 exec_lo, exec_lo, s31
.LBB249_176:                            ;   in Loop: Header=BB249_9 Depth=1
	s_delay_alu instid0(SALU_CYCLE_1)
	s_or_b32 exec_lo, exec_lo, s30
.LBB249_177:                            ;   in Loop: Header=BB249_9 Depth=1
	s_delay_alu instid0(SALU_CYCLE_1) | instskip(SKIP_2) | instid1(VALU_DEP_1)
	s_or_b32 exec_lo, exec_lo, s29
	v_lshrrev_b16 v2, 8, v2
	s_mov_b32 s29, exec_lo
	v_cmpx_ne_u16_e32 0, v2
	s_cbranch_execz .LBB249_185
; %bb.178:                              ;   in Loop: Header=BB249_9 Depth=1
	v_bfrev_b32_e32 v39, 1
	s_mov_b32 s30, exec_lo
	v_cmpx_ne_u16_e32 0x80, v2
	s_cbranch_execz .LBB249_184
; %bb.179:                              ;   in Loop: Header=BB249_9 Depth=1
	v_and_b32_e32 v41, 0xffff, v2
	v_mov_b32_e32 v39, 0x7c010000
	s_mov_b32 s31, exec_lo
	s_delay_alu instid0(VALU_DEP_2) | instskip(NEXT) | instid1(VALU_DEP_1)
	v_and_b32_e32 v43, 0x7f, v41
	v_cmpx_ne_u32_e32 0x7f, v43
	s_cbranch_execz .LBB249_183
; %bb.180:                              ;   in Loop: Header=BB249_9 Depth=1
	v_dual_lshrrev_b32 v42, 3, v43 :: v_dual_bitop2_b32 v39, 7, v41 bitop3:0x40
	s_mov_b32 s33, exec_lo
	v_cmpx_gt_u32_e32 8, v43
; %bb.181:                              ;   in Loop: Header=BB249_9 Depth=1
	s_delay_alu instid0(VALU_DEP_2) | instskip(NEXT) | instid1(VALU_DEP_1)
	v_clz_i32_u32_e32 v39, v39
	v_min_u32_e32 v39, 32, v39
	s_delay_alu instid0(VALU_DEP_1) | instskip(NEXT) | instid1(VALU_DEP_1)
	v_subrev_nc_u32_e32 v42, 28, v39
	v_lshlrev_b64_e32 v[44:45], v42, v[2:3]
	s_delay_alu instid0(VALU_DEP_1)
	v_dual_sub_nc_u32 v42, 29, v39 :: v_dual_bitop2_b32 v39, 7, v44 bitop3:0x40
; %bb.182:                              ;   in Loop: Header=BB249_9 Depth=1
	s_or_b32 exec_lo, exec_lo, s33
	s_delay_alu instid0(VALU_DEP_1) | instskip(NEXT) | instid1(VALU_DEP_2)
	v_dual_lshlrev_b32 v2, 8, v41 :: v_dual_lshlrev_b32 v39, 23, v39
	v_lshl_add_u32 v41, v42, 10, 0x2000
	s_delay_alu instid0(VALU_DEP_1) | instskip(NEXT) | instid1(VALU_DEP_1)
	v_and_or_b32 v2, 0x8000, v2, v41
	v_lshl_or_b32 v39, v2, 16, v39
.LBB249_183:                            ;   in Loop: Header=BB249_9 Depth=1
	s_or_b32 exec_lo, exec_lo, s31
.LBB249_184:                            ;   in Loop: Header=BB249_9 Depth=1
	s_delay_alu instid0(SALU_CYCLE_1)
	s_or_b32 exec_lo, exec_lo, s30
.LBB249_185:                            ;   in Loop: Header=BB249_9 Depth=1
	s_delay_alu instid0(SALU_CYCLE_1)
	s_or_b32 exec_lo, exec_lo, s29
	global_load_u16 v2, v[8:9], off offset:648
	v_mov_b32_e32 v41, 0
	s_wait_loadcnt 0x0
	v_and_b32_e32 v42, 0xff, v2
	v_and_b32_e32 v2, 0xffff, v2
	s_delay_alu instid0(VALU_DEP_2)
	v_cmp_ne_u16_e64 s5, 0, v42
	v_mov_b32_e32 v42, 0
	s_and_saveexec_b32 s29, s5
	s_cbranch_execz .LBB249_193
; %bb.186:                              ;   in Loop: Header=BB249_9 Depth=1
	v_and_b32_e32 v42, 0xff, v2
	s_delay_alu instid0(VALU_DEP_1)
	v_cmp_ne_u16_e64 s5, 0x80, v42
	v_mov_b32_e32 v42, 0x8000
	s_and_saveexec_b32 s30, s5
	s_cbranch_execz .LBB249_192
; %bb.187:                              ;   in Loop: Header=BB249_9 Depth=1
	v_and_b32_e32 v44, 0x7f, v2
	v_mov_b32_e32 v42, 0x7c01
	s_mov_b32 s31, exec_lo
	s_delay_alu instid0(VALU_DEP_2)
	v_cmpx_ne_u32_e32 0x7f, v44
	s_cbranch_execz .LBB249_191
; %bb.188:                              ;   in Loop: Header=BB249_9 Depth=1
	v_dual_lshrrev_b32 v43, 3, v44 :: v_dual_bitop2_b32 v42, 7, v2 bitop3:0x40
	s_mov_b32 s33, exec_lo
	v_cmpx_gt_u32_e32 8, v44
; %bb.189:                              ;   in Loop: Header=BB249_9 Depth=1
	s_delay_alu instid0(VALU_DEP_2) | instskip(NEXT) | instid1(VALU_DEP_1)
	v_clz_i32_u32_e32 v42, v42
	v_min_u32_e32 v44, 32, v42
	s_delay_alu instid0(VALU_DEP_1) | instskip(NEXT) | instid1(VALU_DEP_1)
	v_subrev_nc_u32_e32 v42, 28, v44
	v_lshlrev_b64_e32 v[42:43], v42, v[2:3]
	s_delay_alu instid0(VALU_DEP_1)
	v_dual_sub_nc_u32 v43, 29, v44 :: v_dual_bitop2_b32 v42, 7, v42 bitop3:0x40
; %bb.190:                              ;   in Loop: Header=BB249_9 Depth=1
	s_or_b32 exec_lo, exec_lo, s33
	v_lshlrev_b32_e32 v44, 8, v2
	s_delay_alu instid0(VALU_DEP_2) | instskip(NEXT) | instid1(VALU_DEP_3)
	v_lshl_add_u32 v43, v43, 10, 0x2000
	v_lshlrev_b32_e32 v42, 7, v42
	s_delay_alu instid0(VALU_DEP_3) | instskip(NEXT) | instid1(VALU_DEP_3)
	v_and_b32_e32 v44, 0x8000, v44
	v_and_b32_e32 v43, 0xfc00, v43
	s_delay_alu instid0(VALU_DEP_1)
	v_or3_b32 v42, v44, v43, v42
.LBB249_191:                            ;   in Loop: Header=BB249_9 Depth=1
	s_or_b32 exec_lo, exec_lo, s31
.LBB249_192:                            ;   in Loop: Header=BB249_9 Depth=1
	s_delay_alu instid0(SALU_CYCLE_1)
	s_or_b32 exec_lo, exec_lo, s30
.LBB249_193:                            ;   in Loop: Header=BB249_9 Depth=1
	s_delay_alu instid0(SALU_CYCLE_1) | instskip(SKIP_2) | instid1(VALU_DEP_1)
	s_or_b32 exec_lo, exec_lo, s29
	v_lshrrev_b16 v2, 8, v2
	s_mov_b32 s29, exec_lo
	v_cmpx_ne_u16_e32 0, v2
	s_cbranch_execz .LBB249_201
; %bb.194:                              ;   in Loop: Header=BB249_9 Depth=1
	v_bfrev_b32_e32 v41, 1
	s_mov_b32 s30, exec_lo
	v_cmpx_ne_u16_e32 0x80, v2
	s_cbranch_execz .LBB249_200
; %bb.195:                              ;   in Loop: Header=BB249_9 Depth=1
	v_and_b32_e32 v43, 0xffff, v2
	v_mov_b32_e32 v41, 0x7c010000
	s_mov_b32 s31, exec_lo
	s_delay_alu instid0(VALU_DEP_2) | instskip(NEXT) | instid1(VALU_DEP_1)
	v_and_b32_e32 v45, 0x7f, v43
	v_cmpx_ne_u32_e32 0x7f, v45
	s_cbranch_execz .LBB249_199
; %bb.196:                              ;   in Loop: Header=BB249_9 Depth=1
	v_dual_lshrrev_b32 v44, 3, v45 :: v_dual_bitop2_b32 v41, 7, v43 bitop3:0x40
	s_mov_b32 s33, exec_lo
	v_cmpx_gt_u32_e32 8, v45
; %bb.197:                              ;   in Loop: Header=BB249_9 Depth=1
	s_delay_alu instid0(VALU_DEP_2) | instskip(NEXT) | instid1(VALU_DEP_1)
	v_clz_i32_u32_e32 v41, v41
	v_min_u32_e32 v41, 32, v41
	s_delay_alu instid0(VALU_DEP_1) | instskip(NEXT) | instid1(VALU_DEP_1)
	v_subrev_nc_u32_e32 v44, 28, v41
	v_lshlrev_b64_e32 v[46:47], v44, v[2:3]
	s_delay_alu instid0(VALU_DEP_1)
	v_dual_sub_nc_u32 v44, 29, v41 :: v_dual_bitop2_b32 v41, 7, v46 bitop3:0x40
; %bb.198:                              ;   in Loop: Header=BB249_9 Depth=1
	s_or_b32 exec_lo, exec_lo, s33
	s_delay_alu instid0(VALU_DEP_1) | instskip(NEXT) | instid1(VALU_DEP_2)
	v_dual_lshlrev_b32 v2, 8, v43 :: v_dual_lshlrev_b32 v41, 23, v41
	v_lshl_add_u32 v43, v44, 10, 0x2000
	s_delay_alu instid0(VALU_DEP_1) | instskip(NEXT) | instid1(VALU_DEP_1)
	v_and_or_b32 v2, 0x8000, v2, v43
	v_lshl_or_b32 v41, v2, 16, v41
.LBB249_199:                            ;   in Loop: Header=BB249_9 Depth=1
	s_or_b32 exec_lo, exec_lo, s31
.LBB249_200:                            ;   in Loop: Header=BB249_9 Depth=1
	s_delay_alu instid0(SALU_CYCLE_1)
	s_or_b32 exec_lo, exec_lo, s30
.LBB249_201:                            ;   in Loop: Header=BB249_9 Depth=1
	s_delay_alu instid0(SALU_CYCLE_1)
	s_or_b32 exec_lo, exec_lo, s29
	global_load_u16 v2, v[8:9], off offset:768
	v_mov_b32_e32 v43, 0
	s_wait_loadcnt 0x0
	v_and_b32_e32 v44, 0xff, v2
	v_and_b32_e32 v2, 0xffff, v2
	s_delay_alu instid0(VALU_DEP_2)
	v_cmp_ne_u16_e64 s5, 0, v44
	v_mov_b32_e32 v44, 0
	s_and_saveexec_b32 s29, s5
	s_cbranch_execz .LBB249_209
; %bb.202:                              ;   in Loop: Header=BB249_9 Depth=1
	v_and_b32_e32 v44, 0xff, v2
	s_delay_alu instid0(VALU_DEP_1)
	v_cmp_ne_u16_e64 s5, 0x80, v44
	v_mov_b32_e32 v44, 0x8000
	s_and_saveexec_b32 s30, s5
	s_cbranch_execz .LBB249_208
; %bb.203:                              ;   in Loop: Header=BB249_9 Depth=1
	v_and_b32_e32 v46, 0x7f, v2
	v_mov_b32_e32 v44, 0x7c01
	s_mov_b32 s31, exec_lo
	s_delay_alu instid0(VALU_DEP_2)
	v_cmpx_ne_u32_e32 0x7f, v46
	s_cbranch_execz .LBB249_207
; %bb.204:                              ;   in Loop: Header=BB249_9 Depth=1
	v_and_b32_e32 v44, 7, v2
	v_lshrrev_b32_e32 v45, 3, v46
	s_mov_b32 s33, exec_lo
	v_cmpx_gt_u32_e32 8, v46
; %bb.205:                              ;   in Loop: Header=BB249_9 Depth=1
	s_delay_alu instid0(VALU_DEP_3) | instskip(NEXT) | instid1(VALU_DEP_1)
	v_clz_i32_u32_e32 v44, v44
	v_min_u32_e32 v46, 32, v44
	s_delay_alu instid0(VALU_DEP_1) | instskip(NEXT) | instid1(VALU_DEP_1)
	v_subrev_nc_u32_e32 v44, 28, v46
	v_lshlrev_b64_e32 v[44:45], v44, v[2:3]
	s_delay_alu instid0(VALU_DEP_1)
	v_dual_sub_nc_u32 v45, 29, v46 :: v_dual_bitop2_b32 v44, 7, v44 bitop3:0x40
; %bb.206:                              ;   in Loop: Header=BB249_9 Depth=1
	s_or_b32 exec_lo, exec_lo, s33
	s_delay_alu instid0(VALU_DEP_1) | instskip(NEXT) | instid1(VALU_DEP_2)
	v_dual_lshlrev_b32 v46, 8, v2 :: v_dual_lshlrev_b32 v44, 7, v44
	v_lshl_add_u32 v45, v45, 10, 0x2000
	s_delay_alu instid0(VALU_DEP_2) | instskip(NEXT) | instid1(VALU_DEP_2)
	v_and_b32_e32 v46, 0x8000, v46
	v_and_b32_e32 v45, 0xfc00, v45
	s_delay_alu instid0(VALU_DEP_1)
	v_or3_b32 v44, v46, v45, v44
.LBB249_207:                            ;   in Loop: Header=BB249_9 Depth=1
	s_or_b32 exec_lo, exec_lo, s31
.LBB249_208:                            ;   in Loop: Header=BB249_9 Depth=1
	s_delay_alu instid0(SALU_CYCLE_1)
	s_or_b32 exec_lo, exec_lo, s30
.LBB249_209:                            ;   in Loop: Header=BB249_9 Depth=1
	s_delay_alu instid0(SALU_CYCLE_1) | instskip(SKIP_2) | instid1(VALU_DEP_1)
	s_or_b32 exec_lo, exec_lo, s29
	v_lshrrev_b16 v2, 8, v2
	s_mov_b32 s29, exec_lo
	v_cmpx_ne_u16_e32 0, v2
	s_cbranch_execz .LBB249_217
; %bb.210:                              ;   in Loop: Header=BB249_9 Depth=1
	v_bfrev_b32_e32 v43, 1
	s_mov_b32 s30, exec_lo
	v_cmpx_ne_u16_e32 0x80, v2
	s_cbranch_execz .LBB249_216
; %bb.211:                              ;   in Loop: Header=BB249_9 Depth=1
	v_and_b32_e32 v45, 0xffff, v2
	v_mov_b32_e32 v43, 0x7c010000
	s_mov_b32 s31, exec_lo
	s_delay_alu instid0(VALU_DEP_2) | instskip(NEXT) | instid1(VALU_DEP_1)
	v_and_b32_e32 v47, 0x7f, v45
	v_cmpx_ne_u32_e32 0x7f, v47
	s_cbranch_execz .LBB249_215
; %bb.212:                              ;   in Loop: Header=BB249_9 Depth=1
	v_dual_lshrrev_b32 v46, 3, v47 :: v_dual_bitop2_b32 v43, 7, v45 bitop3:0x40
	s_mov_b32 s33, exec_lo
	v_cmpx_gt_u32_e32 8, v47
; %bb.213:                              ;   in Loop: Header=BB249_9 Depth=1
	s_delay_alu instid0(VALU_DEP_2) | instskip(NEXT) | instid1(VALU_DEP_1)
	v_clz_i32_u32_e32 v43, v43
	v_min_u32_e32 v43, 32, v43
	s_delay_alu instid0(VALU_DEP_1) | instskip(NEXT) | instid1(VALU_DEP_1)
	v_subrev_nc_u32_e32 v46, 28, v43
	v_lshlrev_b64_e32 v[48:49], v46, v[2:3]
	s_delay_alu instid0(VALU_DEP_1)
	v_dual_sub_nc_u32 v46, 29, v43 :: v_dual_bitop2_b32 v43, 7, v48 bitop3:0x40
; %bb.214:                              ;   in Loop: Header=BB249_9 Depth=1
	s_or_b32 exec_lo, exec_lo, s33
	s_delay_alu instid0(VALU_DEP_1) | instskip(NEXT) | instid1(VALU_DEP_2)
	v_dual_lshlrev_b32 v2, 8, v45 :: v_dual_lshlrev_b32 v43, 23, v43
	v_lshl_add_u32 v45, v46, 10, 0x2000
	s_delay_alu instid0(VALU_DEP_1) | instskip(NEXT) | instid1(VALU_DEP_1)
	v_and_or_b32 v2, 0x8000, v2, v45
	v_lshl_or_b32 v43, v2, 16, v43
.LBB249_215:                            ;   in Loop: Header=BB249_9 Depth=1
	s_or_b32 exec_lo, exec_lo, s31
.LBB249_216:                            ;   in Loop: Header=BB249_9 Depth=1
	s_delay_alu instid0(SALU_CYCLE_1)
	s_or_b32 exec_lo, exec_lo, s30
.LBB249_217:                            ;   in Loop: Header=BB249_9 Depth=1
	s_delay_alu instid0(SALU_CYCLE_1)
	s_or_b32 exec_lo, exec_lo, s29
	global_load_u16 v2, v[8:9], off offset:776
	v_mov_b32_e32 v45, 0
	s_wait_loadcnt 0x0
	v_and_b32_e32 v46, 0xff, v2
	v_and_b32_e32 v2, 0xffff, v2
	s_delay_alu instid0(VALU_DEP_2)
	v_cmp_ne_u16_e64 s5, 0, v46
	v_mov_b32_e32 v46, 0
	s_and_saveexec_b32 s29, s5
	s_cbranch_execz .LBB249_225
; %bb.218:                              ;   in Loop: Header=BB249_9 Depth=1
	v_and_b32_e32 v46, 0xff, v2
	s_delay_alu instid0(VALU_DEP_1)
	v_cmp_ne_u16_e64 s5, 0x80, v46
	v_mov_b32_e32 v46, 0x8000
	s_and_saveexec_b32 s30, s5
	s_cbranch_execz .LBB249_224
; %bb.219:                              ;   in Loop: Header=BB249_9 Depth=1
	v_and_b32_e32 v48, 0x7f, v2
	v_mov_b32_e32 v46, 0x7c01
	s_mov_b32 s31, exec_lo
	s_delay_alu instid0(VALU_DEP_2)
	v_cmpx_ne_u32_e32 0x7f, v48
	s_cbranch_execz .LBB249_223
; %bb.220:                              ;   in Loop: Header=BB249_9 Depth=1
	v_dual_lshrrev_b32 v47, 3, v48 :: v_dual_bitop2_b32 v46, 7, v2 bitop3:0x40
	s_mov_b32 s33, exec_lo
	v_cmpx_gt_u32_e32 8, v48
; %bb.221:                              ;   in Loop: Header=BB249_9 Depth=1
	s_delay_alu instid0(VALU_DEP_2) | instskip(NEXT) | instid1(VALU_DEP_1)
	v_clz_i32_u32_e32 v46, v46
	v_min_u32_e32 v48, 32, v46
	s_delay_alu instid0(VALU_DEP_1) | instskip(NEXT) | instid1(VALU_DEP_1)
	v_subrev_nc_u32_e32 v46, 28, v48
	v_lshlrev_b64_e32 v[46:47], v46, v[2:3]
	s_delay_alu instid0(VALU_DEP_1)
	v_dual_sub_nc_u32 v47, 29, v48 :: v_dual_bitop2_b32 v46, 7, v46 bitop3:0x40
; %bb.222:                              ;   in Loop: Header=BB249_9 Depth=1
	s_or_b32 exec_lo, exec_lo, s33
	v_lshlrev_b32_e32 v48, 8, v2
	s_delay_alu instid0(VALU_DEP_2) | instskip(NEXT) | instid1(VALU_DEP_3)
	v_lshl_add_u32 v47, v47, 10, 0x2000
	v_lshlrev_b32_e32 v46, 7, v46
	s_delay_alu instid0(VALU_DEP_3) | instskip(NEXT) | instid1(VALU_DEP_3)
	v_and_b32_e32 v48, 0x8000, v48
	v_and_b32_e32 v47, 0xfc00, v47
	s_delay_alu instid0(VALU_DEP_1)
	v_or3_b32 v46, v48, v47, v46
.LBB249_223:                            ;   in Loop: Header=BB249_9 Depth=1
	s_or_b32 exec_lo, exec_lo, s31
.LBB249_224:                            ;   in Loop: Header=BB249_9 Depth=1
	s_delay_alu instid0(SALU_CYCLE_1)
	s_or_b32 exec_lo, exec_lo, s30
.LBB249_225:                            ;   in Loop: Header=BB249_9 Depth=1
	s_delay_alu instid0(SALU_CYCLE_1) | instskip(SKIP_2) | instid1(VALU_DEP_1)
	s_or_b32 exec_lo, exec_lo, s29
	v_lshrrev_b16 v2, 8, v2
	s_mov_b32 s29, exec_lo
	v_cmpx_ne_u16_e32 0, v2
	s_cbranch_execz .LBB249_233
; %bb.226:                              ;   in Loop: Header=BB249_9 Depth=1
	v_bfrev_b32_e32 v45, 1
	s_mov_b32 s30, exec_lo
	v_cmpx_ne_u16_e32 0x80, v2
	s_cbranch_execz .LBB249_232
; %bb.227:                              ;   in Loop: Header=BB249_9 Depth=1
	v_and_b32_e32 v47, 0xffff, v2
	v_mov_b32_e32 v45, 0x7c010000
	s_mov_b32 s31, exec_lo
	s_delay_alu instid0(VALU_DEP_2) | instskip(NEXT) | instid1(VALU_DEP_1)
	v_and_b32_e32 v49, 0x7f, v47
	v_cmpx_ne_u32_e32 0x7f, v49
	s_cbranch_execz .LBB249_231
; %bb.228:                              ;   in Loop: Header=BB249_9 Depth=1
	v_dual_lshrrev_b32 v48, 3, v49 :: v_dual_bitop2_b32 v45, 7, v47 bitop3:0x40
	s_mov_b32 s33, exec_lo
	v_cmpx_gt_u32_e32 8, v49
; %bb.229:                              ;   in Loop: Header=BB249_9 Depth=1
	s_delay_alu instid0(VALU_DEP_2) | instskip(NEXT) | instid1(VALU_DEP_1)
	v_clz_i32_u32_e32 v45, v45
	v_min_u32_e32 v45, 32, v45
	s_delay_alu instid0(VALU_DEP_1) | instskip(NEXT) | instid1(VALU_DEP_1)
	v_subrev_nc_u32_e32 v48, 28, v45
	v_lshlrev_b64_e32 v[50:51], v48, v[2:3]
	s_delay_alu instid0(VALU_DEP_1)
	v_dual_sub_nc_u32 v48, 29, v45 :: v_dual_bitop2_b32 v45, 7, v50 bitop3:0x40
; %bb.230:                              ;   in Loop: Header=BB249_9 Depth=1
	s_or_b32 exec_lo, exec_lo, s33
	s_delay_alu instid0(VALU_DEP_1) | instskip(NEXT) | instid1(VALU_DEP_2)
	v_dual_lshlrev_b32 v2, 8, v47 :: v_dual_lshlrev_b32 v45, 23, v45
	v_lshl_add_u32 v47, v48, 10, 0x2000
	s_delay_alu instid0(VALU_DEP_1) | instskip(NEXT) | instid1(VALU_DEP_1)
	v_and_or_b32 v2, 0x8000, v2, v47
	v_lshl_or_b32 v45, v2, 16, v45
.LBB249_231:                            ;   in Loop: Header=BB249_9 Depth=1
	s_or_b32 exec_lo, exec_lo, s31
.LBB249_232:                            ;   in Loop: Header=BB249_9 Depth=1
	s_delay_alu instid0(SALU_CYCLE_1)
	s_or_b32 exec_lo, exec_lo, s30
.LBB249_233:                            ;   in Loop: Header=BB249_9 Depth=1
	s_delay_alu instid0(SALU_CYCLE_1)
	s_or_b32 exec_lo, exec_lo, s29
	global_load_u16 v2, v[8:9], off offset:896
	v_mov_b32_e32 v47, 0
	s_wait_loadcnt 0x0
	v_and_b32_e32 v48, 0xff, v2
	v_and_b32_e32 v2, 0xffff, v2
	s_delay_alu instid0(VALU_DEP_2)
	v_cmp_ne_u16_e64 s5, 0, v48
	v_mov_b32_e32 v48, 0
	s_and_saveexec_b32 s29, s5
	s_cbranch_execz .LBB249_241
; %bb.234:                              ;   in Loop: Header=BB249_9 Depth=1
	v_and_b32_e32 v48, 0xff, v2
	s_delay_alu instid0(VALU_DEP_1)
	v_cmp_ne_u16_e64 s5, 0x80, v48
	v_mov_b32_e32 v48, 0x8000
	s_and_saveexec_b32 s30, s5
	s_cbranch_execz .LBB249_240
; %bb.235:                              ;   in Loop: Header=BB249_9 Depth=1
	v_and_b32_e32 v50, 0x7f, v2
	v_mov_b32_e32 v48, 0x7c01
	s_mov_b32 s31, exec_lo
	s_delay_alu instid0(VALU_DEP_2)
	v_cmpx_ne_u32_e32 0x7f, v50
	s_cbranch_execz .LBB249_239
; %bb.236:                              ;   in Loop: Header=BB249_9 Depth=1
	v_and_b32_e32 v48, 7, v2
	v_lshrrev_b32_e32 v49, 3, v50
	s_mov_b32 s33, exec_lo
	v_cmpx_gt_u32_e32 8, v50
; %bb.237:                              ;   in Loop: Header=BB249_9 Depth=1
	s_delay_alu instid0(VALU_DEP_3) | instskip(NEXT) | instid1(VALU_DEP_1)
	v_clz_i32_u32_e32 v48, v48
	v_min_u32_e32 v50, 32, v48
	s_delay_alu instid0(VALU_DEP_1) | instskip(NEXT) | instid1(VALU_DEP_1)
	v_subrev_nc_u32_e32 v48, 28, v50
	v_lshlrev_b64_e32 v[48:49], v48, v[2:3]
	s_delay_alu instid0(VALU_DEP_1)
	v_dual_sub_nc_u32 v49, 29, v50 :: v_dual_bitop2_b32 v48, 7, v48 bitop3:0x40
; %bb.238:                              ;   in Loop: Header=BB249_9 Depth=1
	s_or_b32 exec_lo, exec_lo, s33
	s_delay_alu instid0(VALU_DEP_1) | instskip(NEXT) | instid1(VALU_DEP_2)
	v_dual_lshlrev_b32 v50, 8, v2 :: v_dual_lshlrev_b32 v48, 7, v48
	v_lshl_add_u32 v49, v49, 10, 0x2000
	s_delay_alu instid0(VALU_DEP_2) | instskip(NEXT) | instid1(VALU_DEP_2)
	v_and_b32_e32 v50, 0x8000, v50
	v_and_b32_e32 v49, 0xfc00, v49
	s_delay_alu instid0(VALU_DEP_1)
	v_or3_b32 v48, v50, v49, v48
.LBB249_239:                            ;   in Loop: Header=BB249_9 Depth=1
	s_or_b32 exec_lo, exec_lo, s31
.LBB249_240:                            ;   in Loop: Header=BB249_9 Depth=1
	s_delay_alu instid0(SALU_CYCLE_1)
	s_or_b32 exec_lo, exec_lo, s30
.LBB249_241:                            ;   in Loop: Header=BB249_9 Depth=1
	s_delay_alu instid0(SALU_CYCLE_1) | instskip(SKIP_2) | instid1(VALU_DEP_1)
	s_or_b32 exec_lo, exec_lo, s29
	v_lshrrev_b16 v2, 8, v2
	s_mov_b32 s29, exec_lo
	v_cmpx_ne_u16_e32 0, v2
	s_cbranch_execz .LBB249_249
; %bb.242:                              ;   in Loop: Header=BB249_9 Depth=1
	v_bfrev_b32_e32 v47, 1
	s_mov_b32 s30, exec_lo
	v_cmpx_ne_u16_e32 0x80, v2
	s_cbranch_execz .LBB249_248
; %bb.243:                              ;   in Loop: Header=BB249_9 Depth=1
	v_and_b32_e32 v49, 0xffff, v2
	v_mov_b32_e32 v47, 0x7c010000
	s_mov_b32 s31, exec_lo
	s_delay_alu instid0(VALU_DEP_2) | instskip(NEXT) | instid1(VALU_DEP_1)
	v_and_b32_e32 v51, 0x7f, v49
	v_cmpx_ne_u32_e32 0x7f, v51
	s_cbranch_execz .LBB249_247
; %bb.244:                              ;   in Loop: Header=BB249_9 Depth=1
	v_dual_lshrrev_b32 v50, 3, v51 :: v_dual_bitop2_b32 v47, 7, v49 bitop3:0x40
	s_mov_b32 s33, exec_lo
	v_cmpx_gt_u32_e32 8, v51
; %bb.245:                              ;   in Loop: Header=BB249_9 Depth=1
	s_delay_alu instid0(VALU_DEP_2) | instskip(NEXT) | instid1(VALU_DEP_1)
	v_clz_i32_u32_e32 v47, v47
	v_min_u32_e32 v47, 32, v47
	s_delay_alu instid0(VALU_DEP_1) | instskip(NEXT) | instid1(VALU_DEP_1)
	v_subrev_nc_u32_e32 v50, 28, v47
	v_lshlrev_b64_e32 v[52:53], v50, v[2:3]
	s_delay_alu instid0(VALU_DEP_1)
	v_dual_sub_nc_u32 v50, 29, v47 :: v_dual_bitop2_b32 v47, 7, v52 bitop3:0x40
; %bb.246:                              ;   in Loop: Header=BB249_9 Depth=1
	s_or_b32 exec_lo, exec_lo, s33
	s_delay_alu instid0(VALU_DEP_1) | instskip(NEXT) | instid1(VALU_DEP_2)
	v_dual_lshlrev_b32 v2, 8, v49 :: v_dual_lshlrev_b32 v47, 23, v47
	v_lshl_add_u32 v49, v50, 10, 0x2000
	s_delay_alu instid0(VALU_DEP_1) | instskip(NEXT) | instid1(VALU_DEP_1)
	v_and_or_b32 v2, 0x8000, v2, v49
	v_lshl_or_b32 v47, v2, 16, v47
.LBB249_247:                            ;   in Loop: Header=BB249_9 Depth=1
	s_or_b32 exec_lo, exec_lo, s31
.LBB249_248:                            ;   in Loop: Header=BB249_9 Depth=1
	s_delay_alu instid0(SALU_CYCLE_1)
	s_or_b32 exec_lo, exec_lo, s30
.LBB249_249:                            ;   in Loop: Header=BB249_9 Depth=1
	s_delay_alu instid0(SALU_CYCLE_1)
	s_or_b32 exec_lo, exec_lo, s29
	global_load_u16 v2, v[8:9], off offset:904
	s_wait_xcnt 0x0
	v_mov_b32_e32 v8, 0
	s_wait_loadcnt 0x0
	v_and_b32_e32 v9, 0xff, v2
	v_and_b32_e32 v2, 0xffff, v2
	s_delay_alu instid0(VALU_DEP_2)
	v_cmp_ne_u16_e64 s5, 0, v9
	v_mov_b32_e32 v9, 0
	s_and_saveexec_b32 s29, s5
	s_cbranch_execz .LBB249_257
; %bb.250:                              ;   in Loop: Header=BB249_9 Depth=1
	v_and_b32_e32 v9, 0xff, v2
	s_delay_alu instid0(VALU_DEP_1)
	v_cmp_ne_u16_e64 s5, 0x80, v9
	v_mov_b32_e32 v9, 0x8000
	s_and_saveexec_b32 s30, s5
	s_cbranch_execz .LBB249_256
; %bb.251:                              ;   in Loop: Header=BB249_9 Depth=1
	v_and_b32_e32 v50, 0x7f, v2
	v_mov_b32_e32 v9, 0x7c01
	s_mov_b32 s31, exec_lo
	s_delay_alu instid0(VALU_DEP_2)
	v_cmpx_ne_u32_e32 0x7f, v50
	s_cbranch_execz .LBB249_255
; %bb.252:                              ;   in Loop: Header=BB249_9 Depth=1
	v_and_b32_e32 v9, 7, v2
	v_lshrrev_b32_e32 v49, 3, v50
	s_mov_b32 s33, exec_lo
	v_cmpx_gt_u32_e32 8, v50
; %bb.253:                              ;   in Loop: Header=BB249_9 Depth=1
	s_delay_alu instid0(VALU_DEP_3) | instskip(NEXT) | instid1(VALU_DEP_1)
	v_clz_i32_u32_e32 v9, v9
	v_min_u32_e32 v9, 32, v9
	s_delay_alu instid0(VALU_DEP_1) | instskip(NEXT) | instid1(VALU_DEP_1)
	v_subrev_nc_u32_e32 v49, 28, v9
	v_lshlrev_b64_e32 v[50:51], v49, v[2:3]
	s_delay_alu instid0(VALU_DEP_1)
	v_dual_sub_nc_u32 v49, 29, v9 :: v_dual_bitop2_b32 v9, 7, v50 bitop3:0x40
; %bb.254:                              ;   in Loop: Header=BB249_9 Depth=1
	s_or_b32 exec_lo, exec_lo, s33
	s_delay_alu instid0(VALU_DEP_1) | instskip(NEXT) | instid1(VALU_DEP_2)
	v_dual_lshlrev_b32 v50, 8, v2 :: v_dual_lshlrev_b32 v9, 7, v9
	v_lshl_add_u32 v49, v49, 10, 0x2000
	s_delay_alu instid0(VALU_DEP_2) | instskip(NEXT) | instid1(VALU_DEP_2)
	v_and_b32_e32 v50, 0x8000, v50
	v_and_b32_e32 v49, 0xfc00, v49
	s_delay_alu instid0(VALU_DEP_1)
	v_or3_b32 v9, v50, v49, v9
.LBB249_255:                            ;   in Loop: Header=BB249_9 Depth=1
	s_or_b32 exec_lo, exec_lo, s31
.LBB249_256:                            ;   in Loop: Header=BB249_9 Depth=1
	s_delay_alu instid0(SALU_CYCLE_1)
	s_or_b32 exec_lo, exec_lo, s30
.LBB249_257:                            ;   in Loop: Header=BB249_9 Depth=1
	s_delay_alu instid0(SALU_CYCLE_1) | instskip(SKIP_2) | instid1(VALU_DEP_1)
	s_or_b32 exec_lo, exec_lo, s29
	v_lshrrev_b16 v2, 8, v2
	s_mov_b32 s29, exec_lo
	v_cmpx_ne_u16_e32 0, v2
	s_cbranch_execz .LBB249_265
; %bb.258:                              ;   in Loop: Header=BB249_9 Depth=1
	v_bfrev_b32_e32 v8, 1
	s_mov_b32 s30, exec_lo
	v_cmpx_ne_u16_e32 0x80, v2
	s_cbranch_execz .LBB249_264
; %bb.259:                              ;   in Loop: Header=BB249_9 Depth=1
	v_and_b32_e32 v49, 0xffff, v2
	v_mov_b32_e32 v8, 0x7c010000
	s_mov_b32 s31, exec_lo
	s_delay_alu instid0(VALU_DEP_2) | instskip(NEXT) | instid1(VALU_DEP_1)
	v_and_b32_e32 v51, 0x7f, v49
	v_cmpx_ne_u32_e32 0x7f, v51
	s_cbranch_execz .LBB249_263
; %bb.260:                              ;   in Loop: Header=BB249_9 Depth=1
	v_dual_lshrrev_b32 v50, 3, v51 :: v_dual_bitop2_b32 v8, 7, v49 bitop3:0x40
	s_mov_b32 s33, exec_lo
	v_cmpx_gt_u32_e32 8, v51
; %bb.261:                              ;   in Loop: Header=BB249_9 Depth=1
	s_delay_alu instid0(VALU_DEP_2) | instskip(NEXT) | instid1(VALU_DEP_1)
	v_clz_i32_u32_e32 v8, v8
	v_min_u32_e32 v8, 32, v8
	s_delay_alu instid0(VALU_DEP_1) | instskip(NEXT) | instid1(VALU_DEP_1)
	v_subrev_nc_u32_e32 v50, 28, v8
	v_lshlrev_b64_e32 v[52:53], v50, v[2:3]
	v_sub_nc_u32_e32 v50, 29, v8
	s_delay_alu instid0(VALU_DEP_2)
	v_and_b32_e32 v8, 7, v52
; %bb.262:                              ;   in Loop: Header=BB249_9 Depth=1
	s_or_b32 exec_lo, exec_lo, s33
	s_delay_alu instid0(VALU_DEP_1) | instskip(NEXT) | instid1(VALU_DEP_3)
	v_dual_lshlrev_b32 v2, 8, v49 :: v_dual_lshlrev_b32 v8, 23, v8
	v_lshl_add_u32 v49, v50, 10, 0x2000
	s_delay_alu instid0(VALU_DEP_1) | instskip(NEXT) | instid1(VALU_DEP_1)
	v_and_or_b32 v2, 0x8000, v2, v49
	v_lshl_or_b32 v8, v2, 16, v8
.LBB249_263:                            ;   in Loop: Header=BB249_9 Depth=1
	s_or_b32 exec_lo, exec_lo, s31
.LBB249_264:                            ;   in Loop: Header=BB249_9 Depth=1
	s_delay_alu instid0(SALU_CYCLE_1)
	s_or_b32 exec_lo, exec_lo, s30
.LBB249_265:                            ;   in Loop: Header=BB249_9 Depth=1
	s_delay_alu instid0(SALU_CYCLE_1)
	s_or_b32 exec_lo, exec_lo, s29
	ds_load_b32 v2, v13
	v_or_b32_e32 v19, v18, v19
	v_fma_mixlo_f16 v18, v17, v18, 0 op_sel:[0,1,0] op_sel_hi:[0,1,0]
	v_or_b32_e32 v26, v25, v26
	v_fma_mixlo_f16 v25, v17, v25, 0 op_sel:[0,1,0] op_sel_hi:[0,1,0]
	;; [unrolled: 2-line block ×3, first 2 shown]
	v_and_b32_e32 v51, 0xffff, v18
	v_fma_mixlo_f16 v26, v17, v26, 0 op_sel_hi:[0,1,0]
	v_and_b32_e32 v57, 0xffff, v25
	v_fma_mixlo_f16 v30, v17, v30, 0 op_sel_hi:[0,1,0]
	v_and_b32_e32 v61, 0xffff, v29
	v_or_b32_e32 v28, v27, v28
	v_and_b32_e32 v56, 0xffff, v26
	v_fma_mixlo_f16 v27, v17, v27, 0 op_sel:[0,1,0] op_sel_hi:[0,1,0]
	v_and_b32_e32 v60, 0xffff, v30
	v_or_b32_e32 v32, v31, v32
	v_fma_mixlo_f16 v28, v17, v28, 0 op_sel_hi:[0,1,0]
	v_fma_mixlo_f16 v31, v17, v31, 0 op_sel:[0,1,0] op_sel_hi:[0,1,0]
	v_and_b32_e32 v59, 0xffff, v27
	s_wait_dscnt 0x0
	v_lshrrev_b32_e32 v50, 16, v2
	v_fma_mixlo_f16 v19, v17, v19, 0 op_sel_hi:[0,1,0]
	v_and_b32_e32 v49, 0xffff, v2
	;;#ASMSTART
	v_cvt_f32_f16 v2, v49;
	;;#ASMEND
	;;#ASMSTART
	v_cvt_f32_f16 v18, v50;
	;;#ASMEND
	v_and_b32_e32 v58, 0xffff, v28
	v_and_b32_e32 v19, 0xffff, v19
	;;#ASMSTART
	v_cvt_f32_f16 v19, v19;
	;;#ASMEND
	;;#ASMSTART
	v_cvt_f32_f16 v49, v51;
	;;#ASMEND
	ds_load_b32 v50, v13 offset:4
	v_or_b32_e32 v21, v20, v21
	v_fma_mixlo_f16 v20, v17, v20, 0 op_sel:[0,1,0] op_sel_hi:[0,1,0]
	v_fma_mixlo_f16 v32, v17, v32, 0 op_sel_hi:[0,1,0]
	v_and_b32_e32 v31, 0xffff, v31
	s_delay_alu instid0(VALU_DEP_3) | instskip(NEXT) | instid1(VALU_DEP_3)
	v_and_b32_e32 v53, 0xffff, v20
	v_and_b32_e32 v32, 0xffff, v32
	s_wait_dscnt 0x0
	v_and_b32_e32 v51, 0xffff, v50
	v_lshrrev_b32_e32 v50, 16, v50
	v_fma_mixlo_f16 v21, v17, v21, 0 op_sel_hi:[0,1,0]
	;;#ASMSTART
	v_cvt_f32_f16 v20, v51;
	;;#ASMEND
	s_delay_alu instid0(VALU_DEP_1)
	v_and_b32_e32 v52, 0xffff, v21
	;;#ASMSTART
	v_cvt_f32_f16 v21, v50;
	;;#ASMEND
	;;#ASMSTART
	v_cvt_f32_f16 v50, v52;
	;;#ASMEND
	;;#ASMSTART
	v_cvt_f32_f16 v51, v53;
	;;#ASMEND
	ds_load_b32 v52, v13 offset:8
	v_or_b32_e32 v23, v22, v23
	v_fma_mixlo_f16 v22, v17, v22, 0 op_sel:[0,1,0] op_sel_hi:[0,1,0]
	v_dual_mul_f32 v20, v20, v50 :: v_dual_mul_f32 v21, v21, v51
	s_delay_alu instid0(VALU_DEP_2) | instskip(NEXT) | instid1(VALU_DEP_2)
	v_and_b32_e32 v55, 0xffff, v22
	v_dual_fmac_f32 v20, v2, v19 :: v_dual_bitop2_b32 v2, v45, v46 bitop3:0x54
	s_delay_alu instid0(VALU_DEP_1) | instskip(NEXT) | instid1(VALU_DEP_1)
	v_fma_mixlo_f16 v2, v17, v2, 0 op_sel_hi:[0,1,0]
	v_and_b32_e32 v2, 0xffff, v2
	s_wait_dscnt 0x0
	v_and_b32_e32 v53, 0xffff, v52
	v_lshrrev_b32_e32 v52, 16, v52
	v_fma_mixlo_f16 v23, v17, v23, 0 op_sel_hi:[0,1,0]
	;;#ASMSTART
	v_cvt_f32_f16 v22, v53;
	;;#ASMEND
	s_delay_alu instid0(VALU_DEP_1)
	v_and_b32_e32 v54, 0xffff, v23
	;;#ASMSTART
	v_cvt_f32_f16 v23, v52;
	;;#ASMEND
	;;#ASMSTART
	v_cvt_f32_f16 v52, v54;
	;;#ASMEND
	;; [unrolled: 3-line block ×3, first 2 shown]
	ds_load_b32 v54, v13 offset:12
	v_fmac_f32_e32 v20, v22, v52
	s_wait_dscnt 0x0
	v_and_b32_e32 v55, 0xffff, v54
	v_lshrrev_b32_e32 v54, 16, v54
	;;#ASMSTART
	v_cvt_f32_f16 v25, v55;
	;;#ASMEND
	;;#ASMSTART
	v_cvt_f32_f16 v26, v54;
	;;#ASMEND
	;; [unrolled: 3-line block ×4, first 2 shown]
	ds_load_b32 v56, v13 offset:16
	v_dual_fmac_f32 v21, v18, v49 :: v_dual_fmac_f32 v20, v25, v54
	v_fma_mixlo_f16 v18, v17, v45, 0 op_sel:[0,1,0] op_sel_hi:[0,1,0]
	s_delay_alu instid0(VALU_DEP_2) | instskip(NEXT) | instid1(VALU_DEP_2)
	v_fmac_f32_e32 v21, v23, v53
	v_and_b32_e32 v18, 0xffff, v18
	s_wait_dscnt 0x0
	v_and_b32_e32 v57, 0xffff, v56
	v_lshrrev_b32_e32 v56, 16, v56
	;;#ASMSTART
	v_cvt_f32_f16 v27, v57;
	;;#ASMEND
	;;#ASMSTART
	v_cvt_f32_f16 v28, v56;
	;;#ASMEND
	;; [unrolled: 3-line block ×4, first 2 shown]
	ds_load_b32 v58, v13 offset:20
	v_dual_fmac_f32 v21, v26, v55 :: v_dual_fmac_f32 v20, v27, v56
	s_delay_alu instid0(VALU_DEP_1)
	v_fmac_f32_e32 v21, v28, v57
	s_wait_dscnt 0x0
	v_and_b32_e32 v59, 0xffff, v58
	v_lshrrev_b32_e32 v58, 16, v58
	;;#ASMSTART
	v_cvt_f32_f16 v29, v59;
	;;#ASMEND
	;;#ASMSTART
	v_cvt_f32_f16 v30, v58;
	;;#ASMEND
	;; [unrolled: 3-line block ×4, first 2 shown]
	ds_load_b32 v60, v13 offset:24
	v_dual_fmac_f32 v20, v29, v58 :: v_dual_fmac_f32 v21, v30, v59
	s_wait_dscnt 0x0
	v_and_b32_e32 v61, 0xffff, v60
	v_lshrrev_b32_e32 v60, 16, v60
	;;#ASMSTART
	v_cvt_f32_f16 v61, v61;
	;;#ASMEND
	;;#ASMSTART
	v_cvt_f32_f16 v60, v60;
	;;#ASMEND
	;; [unrolled: 3-line block ×4, first 2 shown]
	ds_load_b32 v31, v13 offset:28
	v_or_b32_e32 v32, v33, v34
	v_fma_mixlo_f16 v33, v17, v33, 0 op_sel:[0,1,0] op_sel_hi:[0,1,0]
	v_dual_fmac_f32 v20, v61, v62 :: v_dual_fmac_f32 v21, v60, v63
	s_delay_alu instid0(VALU_DEP_2)
	v_and_b32_e32 v33, 0xffff, v33
	s_wait_dscnt 0x0
	v_and_b32_e32 v34, 0xffff, v31
	v_lshrrev_b32_e32 v31, 16, v31
	v_fma_mixlo_f16 v32, v17, v32, 0 op_sel_hi:[0,1,0]
	;;#ASMSTART
	v_cvt_f32_f16 v34, v34;
	;;#ASMEND
	;;#ASMSTART
	v_cvt_f32_f16 v64, v31;
	;;#ASMEND
	s_delay_alu instid0(VALU_DEP_1)
	v_and_b32_e32 v32, 0xffff, v32
	;;#ASMSTART
	v_cvt_f32_f16 v65, v32;
	;;#ASMEND
	;;#ASMSTART
	v_cvt_f32_f16 v66, v33;
	;;#ASMEND
	ds_load_b32 v31, v13 offset:32
	v_or_b32_e32 v32, v35, v36
	v_fma_mixlo_f16 v33, v17, v35, 0 op_sel:[0,1,0] op_sel_hi:[0,1,0]
	v_fmac_f32_e32 v20, v34, v65
	s_delay_alu instid0(VALU_DEP_2)
	v_and_b32_e32 v33, 0xffff, v33
	s_wait_dscnt 0x0
	v_and_b32_e32 v35, 0xffff, v31
	v_lshrrev_b32_e32 v31, 16, v31
	v_fma_mixlo_f16 v32, v17, v32, 0 op_sel_hi:[0,1,0]
	;;#ASMSTART
	v_cvt_f32_f16 v35, v35;
	;;#ASMEND
	;;#ASMSTART
	v_cvt_f32_f16 v36, v31;
	;;#ASMEND
	s_delay_alu instid0(VALU_DEP_1)
	v_and_b32_e32 v32, 0xffff, v32
	;;#ASMSTART
	v_cvt_f32_f16 v67, v32;
	;;#ASMEND
	;;#ASMSTART
	v_cvt_f32_f16 v68, v33;
	;;#ASMEND
	ds_load_b32 v31, v13 offset:36
	v_or_b32_e32 v32, v37, v38
	v_fma_mixlo_f16 v33, v17, v37, 0 op_sel:[0,1,0] op_sel_hi:[0,1,0]
	v_dual_fmac_f32 v21, v64, v66 :: v_dual_fmac_f32 v20, v35, v67
	s_delay_alu instid0(VALU_DEP_2)
	v_and_b32_e32 v33, 0xffff, v33
	s_wait_dscnt 0x0
	v_and_b32_e32 v37, 0xffff, v31
	v_lshrrev_b32_e32 v31, 16, v31
	v_fma_mixlo_f16 v32, v17, v32, 0 op_sel_hi:[0,1,0]
	;;#ASMSTART
	v_cvt_f32_f16 v37, v37;
	;;#ASMEND
	;;#ASMSTART
	v_cvt_f32_f16 v38, v31;
	;;#ASMEND
	s_delay_alu instid0(VALU_DEP_1)
	v_and_b32_e32 v32, 0xffff, v32
	;;#ASMSTART
	v_cvt_f32_f16 v69, v32;
	;;#ASMEND
	;;#ASMSTART
	v_cvt_f32_f16 v70, v33;
	;;#ASMEND
	ds_load_b32 v31, v13 offset:40
	v_or_b32_e32 v32, v39, v40
	v_fma_mixlo_f16 v33, v17, v39, 0 op_sel:[0,1,0] op_sel_hi:[0,1,0]
	s_delay_alu instid0(VALU_DEP_1)
	v_and_b32_e32 v33, 0xffff, v33
	s_wait_dscnt 0x0
	v_and_b32_e32 v39, 0xffff, v31
	v_lshrrev_b32_e32 v31, 16, v31
	v_fma_mixlo_f16 v32, v17, v32, 0 op_sel_hi:[0,1,0]
	;;#ASMSTART
	v_cvt_f32_f16 v39, v39;
	;;#ASMEND
	;;#ASMSTART
	v_cvt_f32_f16 v40, v31;
	;;#ASMEND
	s_delay_alu instid0(VALU_DEP_1)
	v_and_b32_e32 v32, 0xffff, v32
	;;#ASMSTART
	v_cvt_f32_f16 v71, v32;
	;;#ASMEND
	;;#ASMSTART
	v_cvt_f32_f16 v72, v33;
	;;#ASMEND
	ds_load_b32 v31, v13 offset:44
	v_or_b32_e32 v32, v41, v42
	v_fma_mixlo_f16 v33, v17, v41, 0 op_sel:[0,1,0] op_sel_hi:[0,1,0]
	s_delay_alu instid0(VALU_DEP_1)
	;; [unrolled: 23-line block ×3, first 2 shown]
	v_and_b32_e32 v33, 0xffff, v33
	s_wait_dscnt 0x0
	v_and_b32_e32 v43, 0xffff, v31
	v_lshrrev_b32_e32 v31, 16, v31
	v_fma_mixlo_f16 v32, v17, v32, 0 op_sel_hi:[0,1,0]
	;;#ASMSTART
	v_cvt_f32_f16 v43, v43;
	;;#ASMEND
	;;#ASMSTART
	v_cvt_f32_f16 v44, v31;
	;;#ASMEND
	s_delay_alu instid0(VALU_DEP_1)
	v_and_b32_e32 v32, 0xffff, v32
	;;#ASMSTART
	v_cvt_f32_f16 v32, v32;
	;;#ASMEND
	;;#ASMSTART
	v_cvt_f32_f16 v33, v33;
	;;#ASMEND
	ds_load_b32 v31, v13 offset:52
	s_wait_dscnt 0x0
	v_lshrrev_b32_e32 v22, 16, v31
	v_and_b32_e32 v19, 0xffff, v31
	;;#ASMSTART
	v_cvt_f32_f16 v23, v19;
	;;#ASMEND
	;;#ASMSTART
	v_cvt_f32_f16 v22, v22;
	;;#ASMEND
	;; [unrolled: 3-line block ×4, first 2 shown]
	ds_load_b32 v2, v13 offset:56
	v_or_b32_e32 v18, v47, v48
	v_fmac_f32_e32 v21, v36, v68
	v_fma_mixlo_f16 v19, v17, v47, 0 op_sel:[0,1,0] op_sel_hi:[0,1,0]
	s_delay_alu instid0(VALU_DEP_3) | instskip(NEXT) | instid1(VALU_DEP_2)
	v_fma_mixlo_f16 v18, v17, v18, 0 op_sel_hi:[0,1,0]
	v_and_b32_e32 v19, 0xffff, v19
	s_delay_alu instid0(VALU_DEP_2)
	v_and_b32_e32 v18, 0xffff, v18
	s_wait_dscnt 0x0
	v_and_b32_e32 v27, 0xffff, v2
	v_dual_lshrrev_b32 v2, 16, v2 :: v_dual_fmac_f32 v20, v37, v69
	v_fmac_f32_e32 v21, v38, v70
	;;#ASMSTART
	v_cvt_f32_f16 v27, v27;
	;;#ASMEND
	;;#ASMSTART
	v_cvt_f32_f16 v28, v2;
	;;#ASMEND
	;; [unrolled: 3-line block ×4, first 2 shown]
	ds_load_b32 v2, v13 offset:60
	v_dual_fmac_f32 v20, v39, v71 :: v_dual_fmac_f32 v21, v40, v72
	v_or_b32_e32 v9, v8, v9
	v_xor_b32_e32 v18, 2, v10
	v_fma_mixlo_f16 v8, v17, v8, 0 op_sel:[0,1,0] op_sel_hi:[0,1,0]
	s_delay_alu instid0(VALU_DEP_4) | instskip(NEXT) | instid1(VALU_DEP_4)
	v_dual_fmac_f32 v20, v41, v73 :: v_dual_fmac_f32 v21, v42, v74
	v_fma_mixlo_f16 v9, v17, v9, 0 op_sel_hi:[0,1,0]
	s_delay_alu instid0(VALU_DEP_4) | instskip(NEXT) | instid1(VALU_DEP_4)
	v_cmp_gt_i32_e64 s5, 32, v18
	v_and_b32_e32 v17, 0xffff, v8
	s_delay_alu instid0(VALU_DEP_4) | instskip(NEXT) | instid1(VALU_DEP_4)
	v_dual_fmac_f32 v20, v43, v32 :: v_dual_fmac_f32 v21, v44, v33
	v_and_b32_e32 v9, 0xffff, v9
	s_delay_alu instid0(VALU_DEP_2) | instskip(NEXT) | instid1(VALU_DEP_3)
	v_dual_cndmask_b32 v8, v10, v18, s5 :: v_dual_fmac_f32 v20, v23, v25
	v_fmac_f32_e32 v21, v22, v26
	s_wait_dscnt 0x0
	v_and_b32_e32 v18, 0xffff, v2
	s_delay_alu instid0(VALU_DEP_3) | instskip(NEXT) | instid1(VALU_DEP_3)
	v_dual_fmac_f32 v20, v27, v29 :: v_dual_lshrrev_b32 v2, 16, v2
	v_fmac_f32_e32 v21, v28, v19
	;;#ASMSTART
	v_cvt_f32_f16 v18, v18;
	;;#ASMEND
	;;#ASMSTART
	v_cvt_f32_f16 v2, v2;
	;;#ASMEND
	;; [unrolled: 3-line block ×4, first 2 shown]
	v_fmac_f32_e32 v20, v18, v9
	v_dual_fmac_f32 v21, v2, v17 :: v_dual_bitop2_b32 v9, 1, v10 bitop3:0x14
	s_delay_alu instid0(VALU_DEP_1) | instskip(NEXT) | instid1(VALU_DEP_2)
	v_dual_lshlrev_b32 v2, 2, v8 :: v_dual_add_f32 v8, v20, v21
	v_cmp_gt_i32_e64 s5, 32, v9
	ds_bpermute_b32 v2, v2, v8
	s_wait_dscnt 0x0
	v_dual_cndmask_b32 v9, v10, v9, s5 :: v_dual_add_f32 v2, v8, v2
	s_delay_alu instid0(VALU_DEP_1)
	v_lshlrev_b32_e32 v8, 2, v9
	ds_bpermute_b32 v8, v8, v2
	s_and_saveexec_b32 s29, vcc_lo
	s_cbranch_execz .LBB249_8
; %bb.266:                              ;   in Loop: Header=BB249_9 Depth=1
	s_wait_dscnt 0x0
	v_dual_add_f32 v2, v2, v8 :: v_dual_add_nc_u32 v9, s28, v14
	v_cmp_gt_i32_e64 s5, s25, v14
	s_delay_alu instid0(VALU_DEP_2) | instskip(NEXT) | instid1(VALU_DEP_1)
	v_cvt_f32_i32_e32 v9, v9
	v_mul_f32_e32 v9, s20, v9
	s_delay_alu instid0(VALU_DEP_1) | instskip(NEXT) | instid1(VALU_DEP_1)
	v_dual_cndmask_b32 v8, 0, v9, s4 :: v_dual_max_num_f32 v9, v12, v12
	v_fmac_f32_e32 v8, s21, v2
	s_delay_alu instid0(VALU_DEP_1) | instskip(NEXT) | instid1(VALU_DEP_1)
	v_dual_max_num_f32 v2, v9, v8 :: v_dual_cndmask_b32 v8, 0, v8, s5
	v_cndmask_b32_e64 v12, v12, v2, s5
	ds_store_b32 v15, v8
	s_branch .LBB249_8
.LBB249_267:
	s_or_b32 exec_lo, exec_lo, s15
.LBB249_268:
	s_delay_alu instid0(SALU_CYCLE_1)
	s_or_b32 exec_lo, exec_lo, s26
	v_dual_max_num_f32 v6, v12, v12 :: v_dual_bitop2_b32 v2, 16, v10 bitop3:0x14
	v_xor_b32_e32 v5, 8, v10
	s_wait_kmcnt 0x0
	s_clause 0x1
	s_load_b64 s[8:9], s[0:1], 0x0
	s_load_b64 s[20:21], s[0:1], 0x18
	v_and_b32_e32 v25, 31, v0
	v_cmp_lt_i32_e32 vcc_lo, v2, v11
	v_cndmask_b32_e32 v2, v10, v2, vcc_lo
	v_cmp_lt_i32_e32 vcc_lo, v5, v11
	s_delay_alu instid0(VALU_DEP_2) | instskip(SKIP_3) | instid1(VALU_DEP_1)
	v_dual_cndmask_b32 v5, v10, v5 :: v_dual_lshlrev_b32 v2, 2, v2
	ds_bpermute_b32 v4, v2, v12
	s_wait_dscnt 0x0
	v_dual_max_num_f32 v7, v4, v4 :: v_dual_lshlrev_b32 v4, 2, v5
	v_dual_max_num_f32 v5, v6, v7 :: v_dual_bitop2_b32 v7, 4, v10 bitop3:0x14
	ds_bpermute_b32 v6, v4, v5
	s_wait_dscnt 0x0
	v_max_num_f32_e32 v6, v6, v6
	s_delay_alu instid0(VALU_DEP_1) | instskip(SKIP_3) | instid1(VALU_DEP_2)
	v_dual_max_num_f32 v6, v5, v6 :: v_dual_lshlrev_b32 v5, 2, v24
	v_cmp_lt_i32_e32 vcc_lo, v7, v11
	v_cndmask_b32_e32 v7, v10, v7, vcc_lo
	v_cmp_eq_u32_e32 vcc_lo, 0, v25
	v_lshlrev_b32_e32 v7, 2, v7
	ds_bpermute_b32 v8, v7, v6
	s_wait_xcnt 0x0
	s_and_saveexec_b32 s0, vcc_lo
	s_cbranch_execz .LBB249_270
; %bb.269:
	s_wait_dscnt 0x0
	v_dual_max_num_f32 v8, v8, v8 :: v_dual_max_num_f32 v6, v6, v6
	s_delay_alu instid0(VALU_DEP_1)
	v_max_num_f32_e32 v6, v6, v8
	ds_store_b32 v5, v6 offset:256
.LBB249_270:
	s_or_b32 exec_lo, exec_lo, s0
	v_cmp_gt_u32_e64 s0, 4, v25
	v_dual_mov_b32 v9, 0xff7fffff :: v_dual_lshlrev_b32 v6, 2, v25
	s_wait_dscnt 0x0
	s_barrier_signal -1
	s_barrier_wait -1
	s_and_saveexec_b32 s1, s0
; %bb.271:
	ds_load_b32 v9, v6 offset:256
; %bb.272:
	s_or_b32 exec_lo, exec_lo, s1
	s_wait_dscnt 0x0
	v_dual_max_num_f32 v14, v9, v9 :: v_dual_bitop2_b32 v8, 2, v10 bitop3:0x14
	v_dual_lshlrev_b32 v3, 2, v3 :: v_dual_bitop2_b32 v13, 1, v10 bitop3:0x14
	s_delay_alu instid0(VALU_DEP_2) | instskip(NEXT) | instid1(VALU_DEP_1)
	v_cmp_lt_i32_e64 s1, v8, v11
	v_cndmask_b32_e64 v8, v10, v8, s1
	s_delay_alu instid0(VALU_DEP_3) | instskip(NEXT) | instid1(VALU_DEP_2)
	v_cmp_lt_i32_e64 s1, v13, v11
	v_lshlrev_b32_e32 v8, 2, v8
	ds_bpermute_b32 v12, v8, v9
	v_cndmask_b32_e64 v9, v10, v13, s1
	s_lshl_b32 s1, s12, 3
	s_delay_alu instid0(SALU_CYCLE_1) | instskip(NEXT) | instid1(VALU_DEP_1)
	s_min_i32 s5, s1, s25
	v_lshlrev_b32_e32 v9, 2, v9
	v_cmp_gt_i32_e64 s1, s5, v0
	s_wait_dscnt 0x0
	v_max_num_f32_e32 v11, v12, v12
	s_delay_alu instid0(VALU_DEP_1) | instskip(SKIP_3) | instid1(VALU_DEP_1)
	v_max_num_f32_e32 v11, v14, v11
	ds_bpermute_b32 v12, v9, v11
	s_wait_dscnt 0x0
	v_max_num_f32_e32 v12, v12, v12
	v_max_num_f32_e32 v11, v11, v12
	ds_bpermute_b32 v11, v3, v11
	v_mov_b32_e32 v3, 0
	s_and_saveexec_b32 s15, s1
	s_cbranch_execz .LBB249_276
; %bb.273:
	v_lshl_add_u32 v12, v0, 2, 0x120
	v_dual_mov_b32 v3, 0 :: v_dual_mov_b32 v13, v0
	s_mov_b32 s26, 0
.LBB249_274:                            ; =>This Inner Loop Header: Depth=1
	ds_load_b32 v14, v12
	v_add_nc_u32_e32 v13, 0x80, v13
	s_delay_alu instid0(VALU_DEP_1) | instskip(SKIP_3) | instid1(VALU_DEP_1)
	v_cmp_le_i32_e64 s4, s5, v13
	s_or_b32 s26, s4, s26
	s_wait_dscnt 0x0
	v_sub_f32_e32 v14, v14, v11
	v_mul_f32_e32 v14, 0x3fb8aa3b, v14
	s_delay_alu instid0(VALU_DEP_1)
	v_exp_f32_e32 v14, v14
	ds_store_b32 v12, v14
	v_nop
	v_dual_add_f32 v3, v3, v14 :: v_dual_add_nc_u32 v12, 0x200, v12
	s_and_not1_b32 exec_lo, exec_lo, s26
	s_cbranch_execnz .LBB249_274
; %bb.275:
	s_or_b32 exec_lo, exec_lo, s26
.LBB249_276:
	s_delay_alu instid0(SALU_CYCLE_1)
	s_or_b32 exec_lo, exec_lo, s15
	ds_bpermute_b32 v2, v2, v3
	s_wait_dscnt 0x0
	v_add_f32_e32 v2, v3, v2
	ds_bpermute_b32 v3, v4, v2
	s_wait_dscnt 0x0
	v_add_f32_e32 v2, v2, v3
	ds_bpermute_b32 v3, v7, v2
	s_wait_dscnt 0x0
	v_add_f32_e32 v2, v2, v3
	ds_bpermute_b32 v3, v8, v2
	s_wait_dscnt 0x0
	v_add_f32_e32 v2, v2, v3
	ds_bpermute_b32 v3, v9, v2
	s_wait_dscnt 0x0
	v_add_f32_e32 v2, v2, v3
	s_and_saveexec_b32 s4, vcc_lo
; %bb.277:
	ds_store_b32 v5, v2 offset:272
; %bb.278:
	s_or_b32 exec_lo, exec_lo, s4
	s_wait_dscnt 0x0
	s_barrier_signal -1
	s_barrier_wait -1
	s_and_saveexec_b32 s4, s0
; %bb.279:
	ds_load_b32 v2, v6 offset:272
; %bb.280:
	s_or_b32 exec_lo, exec_lo, s4
	s_wait_dscnt 0x0
	ds_bpermute_b32 v3, v8, v2
	s_wait_dscnt 0x0
	v_dual_lshlrev_b32 v4, 2, v10 :: v_dual_add_f32 v2, v2, v3
	ds_bpermute_b32 v3, v9, v2
	s_wait_dscnt 0x0
	v_add_f32_e32 v2, v2, v3
	v_and_b32_e32 v3, 0xffffff80, v4
	ds_bpermute_b32 v2, v3, v2
	s_and_saveexec_b32 s0, s1
	s_cbranch_execz .LBB249_293
; %bb.281:
	s_wait_dscnt 0x0
	v_add_f32_e32 v2, 0x358637bd, v2
	s_mov_b32 s4, -1
	s_mov_b32 s1, exec_lo
	s_delay_alu instid0(VALU_DEP_1) | instskip(NEXT) | instid1(VALU_DEP_1)
	v_div_scale_f32 v3, null, v2, v2, 1.0
	v_rcp_f32_e32 v5, v3
	v_nop
	s_delay_alu instid0(TRANS32_DEP_1) | instskip(NEXT) | instid1(VALU_DEP_1)
	v_fma_f32 v4, -v3, v5, 1.0
	v_fmac_f32_e32 v5, v4, v5
	v_div_scale_f32 v6, vcc_lo, 1.0, v2, 1.0
	s_delay_alu instid0(VALU_DEP_1) | instskip(NEXT) | instid1(VALU_DEP_1)
	v_mul_f32_e32 v7, v6, v5
	v_fma_f32 v4, -v3, v7, v6
	s_delay_alu instid0(VALU_DEP_1) | instskip(SKIP_1) | instid1(VALU_DEP_2)
	v_fmac_f32_e32 v7, v4, v5
	v_xad_u32 v4, v0, -1, s5
	v_fma_f32 v3, -v3, v7, v6
	s_delay_alu instid0(VALU_DEP_1) | instskip(NEXT) | instid1(VALU_DEP_1)
	v_div_fmas_f32 v3, v3, v5, v7
	v_div_fixup_f32 v2, v3, v2, 1.0
	v_mov_b32_e32 v3, v0
	v_cmpx_lt_u32_e32 0x7f, v4
	s_cbranch_execz .LBB249_290
; %bb.282:
	s_delay_alu instid0(VALU_DEP_3) | instskip(NEXT) | instid1(VALU_DEP_1)
	v_dual_mov_b32 v3, v2 :: v_dual_lshrrev_b32 v4, 7, v4
	v_dual_mov_b32 v8, 0 :: v_dual_add_nc_u32 v5, -1, v4
	s_delay_alu instid0(VALU_DEP_1) | instskip(SKIP_1) | instid1(VALU_DEP_2)
	v_lshrrev_b32_e32 v6, 1, v5
	v_cmp_lt_u32_e32 vcc_lo, 13, v5
	v_add_nc_u32_e32 v5, 1, v6
	s_and_saveexec_b32 s4, vcc_lo
	s_cbranch_execz .LBB249_286
; %bb.283:
	s_delay_alu instid0(VALU_DEP_1)
	v_and_b32_e32 v6, -8, v5
	v_lshl_add_u32 v7, v0, 2, 0x120
	s_mov_b32 s15, 0
	s_mov_b32 s26, 0
.LBB249_284:                            ; =>This Inner Loop Header: Depth=1
	ds_load_2addr_stride64_b32 v[8:9], v7 offset1:2
	ds_load_2addr_stride64_b32 v[10:11], v7 offset0:4 offset1:6
	ds_load_2addr_stride64_b32 v[12:13], v7 offset0:8 offset1:10
	;; [unrolled: 1-line block ×7, first 2 shown]
	s_add_co_i32 s26, s26, 16
	v_add_nc_u32_e32 v6, -8, v6
	s_wait_dscnt 0x7
	v_pk_mul_f32 v[8:9], v[2:3], v[8:9]
	s_wait_dscnt 0x6
	v_pk_mul_f32 v[10:11], v[2:3], v[10:11]
	;; [unrolled: 2-line block ×8, first 2 shown]
	ds_store_2addr_stride64_b32 v7, v8, v9 offset1:2
	ds_store_2addr_stride64_b32 v7, v10, v11 offset0:4 offset1:6
	ds_store_2addr_stride64_b32 v7, v12, v13 offset0:8 offset1:10
	;; [unrolled: 1-line block ×7, first 2 shown]
	v_mov_b32_e32 v8, s26
	v_cmp_eq_u32_e32 vcc_lo, 0, v6
	v_add_nc_u32_e32 v7, 0x2000, v7
	s_or_b32 s15, vcc_lo, s15
	s_delay_alu instid0(SALU_CYCLE_1)
	s_and_not1_b32 exec_lo, exec_lo, s15
	s_cbranch_execnz .LBB249_284
; %bb.285:
	s_or_b32 exec_lo, exec_lo, s15
.LBB249_286:
	s_delay_alu instid0(SALU_CYCLE_1) | instskip(NEXT) | instid1(VALU_DEP_1)
	s_or_b32 exec_lo, exec_lo, s4
	v_and_b32_e32 v5, 7, v5
	s_mov_b32 s15, 0
	s_mov_b32 s4, exec_lo
	s_delay_alu instid0(VALU_DEP_1)
	v_cmpx_ne_u32_e32 0, v5
	s_cbranch_execz .LBB249_289
; %bb.287:
	v_lshlrev_b32_e32 v6, 9, v8
	v_lshlrev_b32_e32 v7, 2, v0
	s_delay_alu instid0(VALU_DEP_1)
	v_add3_u32 v6, v6, v7, 0x120
.LBB249_288:                            ; =>This Inner Loop Header: Depth=1
	ds_load_2addr_stride64_b32 v[8:9], v6 offset1:2
	v_add_nc_u32_e32 v5, -1, v5
	s_delay_alu instid0(VALU_DEP_1)
	v_cmp_eq_u32_e32 vcc_lo, 0, v5
	s_or_b32 s15, vcc_lo, s15
	s_wait_dscnt 0x0
	v_pk_mul_f32 v[8:9], v[2:3], v[8:9]
	ds_store_2addr_stride64_b32 v6, v8, v9 offset1:2
	v_add_nc_u32_e32 v6, 0x400, v6
	s_and_not1_b32 exec_lo, exec_lo, s15
	s_cbranch_execnz .LBB249_288
.LBB249_289:
	s_or_b32 exec_lo, exec_lo, s4
	v_add_nc_u32_e32 v3, 1, v4
	s_delay_alu instid0(VALU_DEP_1) | instskip(NEXT) | instid1(VALU_DEP_1)
	v_and_b32_e32 v4, 0x3fffffe, v3
	v_cmp_ne_u32_e32 vcc_lo, v3, v4
	v_lshl_add_u32 v3, v4, 7, v0
	s_or_not1_b32 s4, vcc_lo, exec_lo
.LBB249_290:
	s_or_b32 exec_lo, exec_lo, s1
	s_delay_alu instid0(SALU_CYCLE_1)
	s_and_b32 exec_lo, exec_lo, s4
	s_cbranch_execz .LBB249_293
; %bb.291:
	v_lshl_add_u32 v4, v3, 2, 0x120
	s_mov_b32 s1, 0
.LBB249_292:                            ; =>This Inner Loop Header: Depth=1
	ds_load_b32 v5, v4
	v_add_nc_u32_e32 v3, 0x80, v3
	s_delay_alu instid0(VALU_DEP_1)
	v_cmp_le_i32_e32 vcc_lo, s5, v3
	s_or_b32 s1, vcc_lo, s1
	s_wait_dscnt 0x0
	v_mul_f32_e32 v5, v2, v5
	ds_store_b32 v4, v5
	v_add_nc_u32_e32 v4, 0x200, v4
	s_and_not1_b32 exec_lo, exec_lo, s1
	s_cbranch_execnz .LBB249_292
.LBB249_293:
	s_or_b32 exec_lo, exec_lo, s0
	s_wait_dscnt 0x0
	v_mov_b64_e32 v[2:3], 0
	v_mov_b64_e32 v[4:5], 0
	s_barrier_signal -1
	s_barrier_wait -1
	s_and_saveexec_b32 s1, s3
	s_cbranch_execz .LBB249_561
; %bb.294:
	v_dual_mov_b32 v7, 0 :: v_dual_lshlrev_b32 v6, 3, v25
	s_ashr_i32 s15, s14, 31
	v_dual_mov_b32 v3, 0 :: v_dual_lshlrev_b32 v26, 3, v24
	s_wait_kmcnt 0x0
	s_add_nc_u64 s[4:5], s[20:21], s[14:15]
	v_lshl_add_u32 v27, v24, 5, 0x120
	v_add_nc_u64_e32 v[8:9], s[4:5], v[6:7]
	v_and_b32_e32 v6, 0x7c, v1
	s_lshl_b64 s[4:5], s[16:17], 2
	v_dual_mov_b32 v2, 0 :: v_dual_mov_b32 v5, 0
	s_add_nc_u64 s[4:5], s[18:19], s[4:5]
	v_dual_mov_b32 v4, 0 :: v_dual_mov_b32 v28, v24
	v_add_nc_u64_e32 v[10:11], s[4:5], v[6:7]
	s_mov_b32 s3, s13
	s_mov_b64 s[4:5], 0xffffffffffffff
	s_add_co_i32 s13, s12, -1
	s_mov_b32 s15, s25
	s_mov_b32 s14, 0
	s_branch .LBB249_296
.LBB249_295:                            ;   in Loop: Header=BB249_296 Depth=1
	s_or_b32 exec_lo, exec_lo, s0
	;;#ASMSTART
	v_pk_mul_f16 v1, v41, v15;

	;;#ASMEND
	;;#ASMSTART
	v_pk_mul_f16 v6, v40, v14;

	;;#ASMEND
	;; [unrolled: 4-line block ×4, first 2 shown]
	;;#ASMSTART
	v_pk_add_f16 v1, v1, v6;

	;;#ASMEND
	;;#ASMSTART
	v_pk_add_f16 v1, v1, v13;

	;;#ASMEND
	;; [unrolled: 4-line block ×3, first 2 shown]
	v_and_b32_e32 v13, 0xffff, v1
	v_dual_add_f32 v6, v44, v45 :: v_dual_add_nc_u32 v28, 4, v28
	v_dual_lshrrev_b32 v14, 16, v1 :: v_dual_add_f32 v12, v42, v43
	;;#ASMSTART
	v_cvt_f32_f16 v13, v13;
	;;#ASMEND
	;;#ASMSTART
	v_cvt_f32_f16 v14, v14;
	;;#ASMEND
	s_delay_alu instid0(VALU_DEP_1) | instskip(SKIP_2) | instid1(VALU_DEP_3)
	v_dual_add_f32 v1, v36, v37 :: v_dual_add_f32 v13, v13, v14
	v_cmp_le_i32_e32 vcc_lo, s12, v28
	v_add_nc_u64_e32 v[10:11], 16, v[10:11]
	v_dual_add_f32 v5, v5, v6 :: v_dual_add_f32 v2, v2, v1
	s_delay_alu instid0(VALU_DEP_4) | instskip(SKIP_3) | instid1(SALU_CYCLE_1)
	v_dual_add_f32 v4, v4, v12 :: v_dual_add_f32 v3, v3, v13
	v_add_nc_u32_e32 v26, 32, v26
	v_add_nc_u32_e32 v27, 0x80, v27
	s_or_b32 s14, vcc_lo, s14
	s_and_not1_b32 exec_lo, exec_lo, s14
	s_cbranch_execz .LBB249_560
.LBB249_296:                            ; =>This Inner Loop Header: Depth=1
	global_load_b32 v1, v[10:11], off
	ds_load_2addr_b64 v[14:17], v27 offset1:1
	ds_load_2addr_b64 v[18:21], v27 offset0:2 offset1:3
	s_mov_b32 s0, exec_lo
	s_wait_dscnt 0x1
	;;#ASMSTART
	v_cvt_f16_f32 v39, v14;

	;;#ASMEND
	;;#ASMSTART
	v_cvt_f16_f32 v36, v15;

	;;#ASMEND
	;; [unrolled: 4-line block ×4, first 2 shown]
	s_wait_dscnt 0x0
	;;#ASMSTART
	v_cvt_f16_f32 v41, v18;

	;;#ASMEND
	;;#ASMSTART
	v_cvt_f16_f32 v38, v19;

	;;#ASMEND
	;; [unrolled: 4-line block ×4, first 2 shown]
	s_wait_loadcnt 0x0
	v_mad_nc_i64_i32 v[12:13], v1, s3, v[8:9]
	v_mov_b32_e32 v1, 0
	global_load_b64 v[16:17], v[12:13], off
	global_load_b32 v14, v7, s[10:11]
	s_wait_loadcnt 0x1
	v_and_b32_e32 v6, 0xff, v16
	s_wait_xcnt 0x0
	s_delay_alu instid0(VALU_DEP_1)
	v_cmpx_ne_u16_e32 0, v6
	s_cbranch_execz .LBB249_304
; %bb.297:                              ;   in Loop: Header=BB249_296 Depth=1
	v_mov_b32_e32 v1, 0x8000
	s_mov_b32 s16, exec_lo
	v_cmpx_ne_u16_e32 0x80, v6
	s_cbranch_execz .LBB249_303
; %bb.298:                              ;   in Loop: Header=BB249_296 Depth=1
	v_and_b32_e32 v15, 0x7f, v16
	v_mov_b32_e32 v1, 0x7c01
	s_mov_b32 s17, exec_lo
	s_delay_alu instid0(VALU_DEP_2)
	v_cmpx_ne_u32_e32 0x7f, v15
	s_cbranch_execz .LBB249_302
; %bb.299:                              ;   in Loop: Header=BB249_296 Depth=1
	v_dual_lshrrev_b32 v6, 3, v15 :: v_dual_bitop2_b32 v1, 7, v16 bitop3:0x40
	s_mov_b32 s18, exec_lo
	v_cmpx_gt_u32_e32 8, v15
; %bb.300:                              ;   in Loop: Header=BB249_296 Depth=1
	s_delay_alu instid0(VALU_DEP_2) | instskip(NEXT) | instid1(VALU_DEP_1)
	v_clz_i32_u32_e32 v1, v1
	v_min_u32_e32 v1, 32, v1
	s_delay_alu instid0(VALU_DEP_1) | instskip(NEXT) | instid1(VALU_DEP_1)
	v_subrev_nc_u32_e32 v6, 28, v1
	v_lshlrev_b64_e32 v[18:19], v6, v[16:17]
	s_delay_alu instid0(VALU_DEP_1)
	v_dual_sub_nc_u32 v6, 29, v1 :: v_dual_bitop2_b32 v1, 7, v18 bitop3:0x40
; %bb.301:                              ;   in Loop: Header=BB249_296 Depth=1
	s_or_b32 exec_lo, exec_lo, s18
	s_delay_alu instid0(VALU_DEP_1) | instskip(NEXT) | instid1(VALU_DEP_2)
	v_dual_lshlrev_b32 v15, 8, v16 :: v_dual_lshlrev_b32 v1, 7, v1
	v_lshl_add_u32 v6, v6, 10, 0x2000
	s_delay_alu instid0(VALU_DEP_2) | instskip(NEXT) | instid1(VALU_DEP_2)
	v_and_b32_e32 v15, 0x8000, v15
	v_and_b32_e32 v6, 0xfc00, v6
	s_delay_alu instid0(VALU_DEP_1)
	v_or3_b32 v1, v15, v6, v1
.LBB249_302:                            ;   in Loop: Header=BB249_296 Depth=1
	s_or_b32 exec_lo, exec_lo, s17
.LBB249_303:                            ;   in Loop: Header=BB249_296 Depth=1
	s_delay_alu instid0(SALU_CYCLE_1)
	s_or_b32 exec_lo, exec_lo, s16
.LBB249_304:                            ;   in Loop: Header=BB249_296 Depth=1
	s_delay_alu instid0(SALU_CYCLE_1) | instskip(SKIP_3) | instid1(VALU_DEP_2)
	s_or_b32 exec_lo, exec_lo, s0
	v_lshrrev_b16 v6, 8, v16
	v_dual_mov_b32 v15, 0 :: v_dual_mov_b32 v18, 0
	s_mov_b32 s0, exec_lo
	v_cmpx_ne_u16_e32 0, v6
	s_cbranch_execz .LBB249_312
; %bb.305:                              ;   in Loop: Header=BB249_296 Depth=1
	v_bfrev_b32_e32 v18, 1
	s_mov_b32 s16, exec_lo
	v_cmpx_ne_u16_e32 0x80, v6
	s_cbranch_execz .LBB249_311
; %bb.306:                              ;   in Loop: Header=BB249_296 Depth=1
	v_and_b32_e32 v19, 0xffff, v6
	v_mov_b32_e32 v18, 0x7c010000
	s_mov_b32 s17, exec_lo
	s_delay_alu instid0(VALU_DEP_2) | instskip(NEXT) | instid1(VALU_DEP_1)
	v_and_b32_e32 v21, 0x7f, v19
	v_cmpx_ne_u32_e32 0x7f, v21
	s_cbranch_execz .LBB249_310
; %bb.307:                              ;   in Loop: Header=BB249_296 Depth=1
	v_dual_lshrrev_b32 v20, 3, v21 :: v_dual_bitop2_b32 v18, 7, v19 bitop3:0x40
	s_mov_b32 s18, exec_lo
	v_cmpx_gt_u32_e32 8, v21
; %bb.308:                              ;   in Loop: Header=BB249_296 Depth=1
	s_delay_alu instid0(VALU_DEP_2) | instskip(NEXT) | instid1(VALU_DEP_1)
	v_clz_i32_u32_e32 v18, v18
	v_min_u32_e32 v18, 32, v18
	s_delay_alu instid0(VALU_DEP_1) | instskip(NEXT) | instid1(VALU_DEP_1)
	v_subrev_nc_u32_e32 v20, 28, v18
	v_lshlrev_b64_e32 v[22:23], v20, v[6:7]
	v_sub_nc_u32_e32 v20, 29, v18
	s_delay_alu instid0(VALU_DEP_2)
	v_and_b32_e32 v18, 7, v22
; %bb.309:                              ;   in Loop: Header=BB249_296 Depth=1
	s_or_b32 exec_lo, exec_lo, s18
	s_delay_alu instid0(VALU_DEP_1) | instskip(NEXT) | instid1(VALU_DEP_3)
	v_dual_lshlrev_b32 v6, 8, v19 :: v_dual_lshlrev_b32 v18, 23, v18
	v_lshl_add_u32 v19, v20, 10, 0x2000
	s_delay_alu instid0(VALU_DEP_1) | instskip(NEXT) | instid1(VALU_DEP_1)
	v_and_or_b32 v6, 0x8000, v6, v19
	v_lshl_or_b32 v18, v6, 16, v18
.LBB249_310:                            ;   in Loop: Header=BB249_296 Depth=1
	s_or_b32 exec_lo, exec_lo, s17
.LBB249_311:                            ;   in Loop: Header=BB249_296 Depth=1
	s_delay_alu instid0(SALU_CYCLE_1)
	s_or_b32 exec_lo, exec_lo, s16
.LBB249_312:                            ;   in Loop: Header=BB249_296 Depth=1
	s_delay_alu instid0(SALU_CYCLE_1) | instskip(SKIP_2) | instid1(VALU_DEP_1)
	s_or_b32 exec_lo, exec_lo, s0
	v_lshrrev_b32_e32 v6, 16, v16
	s_mov_b32 s0, exec_lo
	v_and_b32_e32 v19, 0xff, v6
	s_delay_alu instid0(VALU_DEP_1)
	v_cmpx_ne_u16_e32 0, v19
	s_cbranch_execz .LBB249_320
; %bb.313:                              ;   in Loop: Header=BB249_296 Depth=1
	v_mov_b32_e32 v15, 0x8000
	s_mov_b32 s16, exec_lo
	v_cmpx_ne_u16_e32 0x80, v19
	s_cbranch_execz .LBB249_319
; %bb.314:                              ;   in Loop: Header=BB249_296 Depth=1
	v_bfe_u32 v20, v16, 16, 7
	v_mov_b32_e32 v15, 0x7c01
	s_mov_b32 s17, exec_lo
	s_delay_alu instid0(VALU_DEP_2)
	v_cmpx_ne_u32_e32 0x7f, v20
	s_cbranch_execz .LBB249_318
; %bb.315:                              ;   in Loop: Header=BB249_296 Depth=1
	v_dual_lshrrev_b32 v19, 3, v20 :: v_dual_bitop2_b32 v15, 7, v6 bitop3:0x40
	s_mov_b32 s18, exec_lo
	v_cmpx_gt_u32_e32 8, v20
; %bb.316:                              ;   in Loop: Header=BB249_296 Depth=1
	s_delay_alu instid0(VALU_DEP_2) | instskip(NEXT) | instid1(VALU_DEP_1)
	v_clz_i32_u32_e32 v15, v15
	v_min_u32_e32 v15, 32, v15
	s_delay_alu instid0(VALU_DEP_1) | instskip(NEXT) | instid1(VALU_DEP_1)
	v_subrev_nc_u32_e32 v19, 28, v15
	v_lshlrev_b64_e32 v[20:21], v19, v[6:7]
	s_delay_alu instid0(VALU_DEP_1)
	v_dual_sub_nc_u32 v19, 29, v15 :: v_dual_bitop2_b32 v15, 7, v20 bitop3:0x40
; %bb.317:                              ;   in Loop: Header=BB249_296 Depth=1
	s_or_b32 exec_lo, exec_lo, s18
	s_delay_alu instid0(VALU_DEP_1) | instskip(NEXT) | instid1(VALU_DEP_2)
	v_dual_lshlrev_b32 v6, 8, v6 :: v_dual_lshlrev_b32 v15, 7, v15
	v_lshl_add_u32 v19, v19, 10, 0x2000
	s_delay_alu instid0(VALU_DEP_2) | instskip(NEXT) | instid1(VALU_DEP_2)
	v_and_b32_e32 v6, 0x8000, v6
	v_and_b32_e32 v19, 0xfc00, v19
	s_delay_alu instid0(VALU_DEP_1)
	v_or3_b32 v15, v6, v19, v15
.LBB249_318:                            ;   in Loop: Header=BB249_296 Depth=1
	s_or_b32 exec_lo, exec_lo, s17
.LBB249_319:                            ;   in Loop: Header=BB249_296 Depth=1
	s_delay_alu instid0(SALU_CYCLE_1)
	s_or_b32 exec_lo, exec_lo, s16
.LBB249_320:                            ;   in Loop: Header=BB249_296 Depth=1
	s_delay_alu instid0(SALU_CYCLE_1)
	s_or_b32 exec_lo, exec_lo, s0
	v_dual_mov_b32 v19, 0 :: v_dual_mov_b32 v20, 0
	s_mov_b32 s0, exec_lo
	v_cmpx_lt_u32_e32 0xffffff, v16
	s_cbranch_execz .LBB249_328
; %bb.321:                              ;   in Loop: Header=BB249_296 Depth=1
	v_lshrrev_b32_e32 v6, 24, v16
	v_bfrev_b32_e32 v20, 1
	s_mov_b32 s16, exec_lo
	s_delay_alu instid0(VALU_DEP_2)
	v_cmpx_ne_u32_e32 0x80, v6
	s_cbranch_execz .LBB249_327
; %bb.322:                              ;   in Loop: Header=BB249_296 Depth=1
	v_and_b32_e32 v22, 0x7f, v6
	v_mov_b32_e32 v20, 0x7c010000
	s_mov_b32 s17, exec_lo
	s_delay_alu instid0(VALU_DEP_2)
	v_cmpx_ne_u32_e32 0x7f, v22
	s_cbranch_execz .LBB249_326
; %bb.323:                              ;   in Loop: Header=BB249_296 Depth=1
	v_and_b32_e32 v20, 7, v6
	v_lshrrev_b32_e32 v21, 3, v22
	s_mov_b32 s18, exec_lo
	v_cmpx_gt_u32_e32 8, v22
; %bb.324:                              ;   in Loop: Header=BB249_296 Depth=1
	s_delay_alu instid0(VALU_DEP_3) | instskip(NEXT) | instid1(VALU_DEP_1)
	v_clz_i32_u32_e32 v20, v20
	v_min_u32_e32 v22, 32, v20
	s_delay_alu instid0(VALU_DEP_1) | instskip(NEXT) | instid1(VALU_DEP_1)
	v_subrev_nc_u32_e32 v20, 28, v22
	v_lshlrev_b64_e32 v[20:21], v20, v[6:7]
	s_delay_alu instid0(VALU_DEP_1)
	v_dual_sub_nc_u32 v21, 29, v22 :: v_dual_bitop2_b32 v20, 7, v20 bitop3:0x40
; %bb.325:                              ;   in Loop: Header=BB249_296 Depth=1
	s_or_b32 exec_lo, exec_lo, s18
	s_delay_alu instid0(VALU_DEP_1) | instskip(NEXT) | instid1(VALU_DEP_2)
	v_dual_lshlrev_b32 v6, 8, v6 :: v_dual_lshlrev_b32 v20, 23, v20
	v_lshl_add_u32 v21, v21, 10, 0x2000
	s_delay_alu instid0(VALU_DEP_1) | instskip(NEXT) | instid1(VALU_DEP_1)
	v_and_or_b32 v6, 0x8000, v6, v21
	v_lshl_or_b32 v20, v6, 16, v20
.LBB249_326:                            ;   in Loop: Header=BB249_296 Depth=1
	s_or_b32 exec_lo, exec_lo, s17
.LBB249_327:                            ;   in Loop: Header=BB249_296 Depth=1
	s_delay_alu instid0(SALU_CYCLE_1)
	s_or_b32 exec_lo, exec_lo, s16
.LBB249_328:                            ;   in Loop: Header=BB249_296 Depth=1
	s_delay_alu instid0(SALU_CYCLE_1) | instskip(SKIP_3) | instid1(VALU_DEP_2)
	s_or_b32 exec_lo, exec_lo, s0
	v_and_b32_e32 v21, 0xff, v17
	v_mov_b32_e32 v6, v17
	s_mov_b32 s0, exec_lo
	v_cmpx_ne_u16_e32 0, v21
	s_cbranch_execz .LBB249_336
; %bb.329:                              ;   in Loop: Header=BB249_296 Depth=1
	v_mov_b32_e32 v19, 0x8000
	s_mov_b32 s16, exec_lo
	v_cmpx_ne_u16_e32 0x80, v21
	s_cbranch_execz .LBB249_335
; %bb.330:                              ;   in Loop: Header=BB249_296 Depth=1
	v_and_b32_e32 v22, 0x7f, v17
	v_mov_b32_e32 v19, 0x7c01
	s_mov_b32 s17, exec_lo
	s_delay_alu instid0(VALU_DEP_2)
	v_cmpx_ne_u32_e32 0x7f, v22
	s_cbranch_execz .LBB249_334
; %bb.331:                              ;   in Loop: Header=BB249_296 Depth=1
	v_dual_lshrrev_b32 v21, 3, v22 :: v_dual_bitop2_b32 v19, 7, v17 bitop3:0x40
	s_mov_b32 s18, exec_lo
	v_cmpx_gt_u32_e32 8, v22
; %bb.332:                              ;   in Loop: Header=BB249_296 Depth=1
	s_delay_alu instid0(VALU_DEP_2) | instskip(NEXT) | instid1(VALU_DEP_1)
	v_clz_i32_u32_e32 v19, v19
	v_min_u32_e32 v19, 32, v19
	s_delay_alu instid0(VALU_DEP_1) | instskip(NEXT) | instid1(VALU_DEP_1)
	v_subrev_nc_u32_e32 v21, 28, v19
	v_lshlrev_b64_e32 v[22:23], v21, v[6:7]
	s_delay_alu instid0(VALU_DEP_1)
	v_dual_sub_nc_u32 v21, 29, v19 :: v_dual_bitop2_b32 v19, 7, v22 bitop3:0x40
; %bb.333:                              ;   in Loop: Header=BB249_296 Depth=1
	s_or_b32 exec_lo, exec_lo, s18
	s_delay_alu instid0(VALU_DEP_1) | instskip(NEXT) | instid1(VALU_DEP_2)
	v_dual_lshlrev_b32 v22, 8, v17 :: v_dual_lshlrev_b32 v19, 7, v19
	v_lshl_add_u32 v21, v21, 10, 0x2000
	s_delay_alu instid0(VALU_DEP_2) | instskip(NEXT) | instid1(VALU_DEP_2)
	v_and_b32_e32 v22, 0x8000, v22
	v_and_b32_e32 v21, 0xfc00, v21
	s_delay_alu instid0(VALU_DEP_1)
	v_or3_b32 v19, v22, v21, v19
.LBB249_334:                            ;   in Loop: Header=BB249_296 Depth=1
	s_or_b32 exec_lo, exec_lo, s17
.LBB249_335:                            ;   in Loop: Header=BB249_296 Depth=1
	s_delay_alu instid0(SALU_CYCLE_1)
	s_or_b32 exec_lo, exec_lo, s16
.LBB249_336:                            ;   in Loop: Header=BB249_296 Depth=1
	s_delay_alu instid0(SALU_CYCLE_1) | instskip(SKIP_3) | instid1(VALU_DEP_2)
	s_or_b32 exec_lo, exec_lo, s0
	v_lshrrev_b16 v6, 8, v6
	v_dual_mov_b32 v22, 0 :: v_dual_mov_b32 v21, 0
	s_mov_b32 s0, exec_lo
	v_cmpx_ne_u16_e32 0, v6
	s_cbranch_execz .LBB249_344
; %bb.337:                              ;   in Loop: Header=BB249_296 Depth=1
	v_bfrev_b32_e32 v21, 1
	s_mov_b32 s16, exec_lo
	v_cmpx_ne_u16_e32 0x80, v6
	s_cbranch_execz .LBB249_343
; %bb.338:                              ;   in Loop: Header=BB249_296 Depth=1
	v_and_b32_e32 v23, 0xffff, v6
	v_mov_b32_e32 v21, 0x7c010000
	s_mov_b32 s17, exec_lo
	s_delay_alu instid0(VALU_DEP_2) | instskip(NEXT) | instid1(VALU_DEP_1)
	v_and_b32_e32 v30, 0x7f, v23
	v_cmpx_ne_u32_e32 0x7f, v30
	s_cbranch_execz .LBB249_342
; %bb.339:                              ;   in Loop: Header=BB249_296 Depth=1
	v_dual_lshrrev_b32 v29, 3, v30 :: v_dual_bitop2_b32 v21, 7, v23 bitop3:0x40
	s_mov_b32 s18, exec_lo
	v_cmpx_gt_u32_e32 8, v30
; %bb.340:                              ;   in Loop: Header=BB249_296 Depth=1
	s_delay_alu instid0(VALU_DEP_2) | instskip(NEXT) | instid1(VALU_DEP_1)
	v_clz_i32_u32_e32 v21, v21
	v_min_u32_e32 v21, 32, v21
	s_delay_alu instid0(VALU_DEP_1) | instskip(NEXT) | instid1(VALU_DEP_1)
	v_subrev_nc_u32_e32 v29, 28, v21
	v_lshlrev_b64_e32 v[30:31], v29, v[6:7]
	s_delay_alu instid0(VALU_DEP_1)
	v_dual_sub_nc_u32 v29, 29, v21 :: v_dual_bitop2_b32 v21, 7, v30 bitop3:0x40
; %bb.341:                              ;   in Loop: Header=BB249_296 Depth=1
	s_or_b32 exec_lo, exec_lo, s18
	s_delay_alu instid0(VALU_DEP_1) | instskip(NEXT) | instid1(VALU_DEP_2)
	v_dual_lshlrev_b32 v6, 8, v23 :: v_dual_lshlrev_b32 v21, 23, v21
	v_lshl_add_u32 v23, v29, 10, 0x2000
	s_delay_alu instid0(VALU_DEP_1) | instskip(NEXT) | instid1(VALU_DEP_1)
	v_and_or_b32 v6, 0x8000, v6, v23
	v_lshl_or_b32 v21, v6, 16, v21
.LBB249_342:                            ;   in Loop: Header=BB249_296 Depth=1
	s_or_b32 exec_lo, exec_lo, s17
.LBB249_343:                            ;   in Loop: Header=BB249_296 Depth=1
	s_delay_alu instid0(SALU_CYCLE_1)
	s_or_b32 exec_lo, exec_lo, s16
.LBB249_344:                            ;   in Loop: Header=BB249_296 Depth=1
	s_delay_alu instid0(SALU_CYCLE_1) | instskip(SKIP_2) | instid1(VALU_DEP_1)
	s_or_b32 exec_lo, exec_lo, s0
	v_lshrrev_b32_e32 v6, 16, v17
	s_mov_b32 s0, exec_lo
	v_and_b32_e32 v23, 0xff, v6
	s_delay_alu instid0(VALU_DEP_1)
	v_cmpx_ne_u16_e32 0, v23
	s_cbranch_execz .LBB249_352
; %bb.345:                              ;   in Loop: Header=BB249_296 Depth=1
	v_mov_b32_e32 v22, 0x8000
	s_mov_b32 s16, exec_lo
	v_cmpx_ne_u16_e32 0x80, v23
	s_cbranch_execz .LBB249_351
; %bb.346:                              ;   in Loop: Header=BB249_296 Depth=1
	v_bfe_u32 v29, v17, 16, 7
	v_mov_b32_e32 v22, 0x7c01
	s_mov_b32 s17, exec_lo
	s_delay_alu instid0(VALU_DEP_2)
	v_cmpx_ne_u32_e32 0x7f, v29
	s_cbranch_execz .LBB249_350
; %bb.347:                              ;   in Loop: Header=BB249_296 Depth=1
	v_dual_lshrrev_b32 v23, 3, v29 :: v_dual_bitop2_b32 v22, 7, v6 bitop3:0x40
	s_mov_b32 s18, exec_lo
	v_cmpx_gt_u32_e32 8, v29
; %bb.348:                              ;   in Loop: Header=BB249_296 Depth=1
	s_delay_alu instid0(VALU_DEP_2) | instskip(NEXT) | instid1(VALU_DEP_1)
	v_clz_i32_u32_e32 v22, v22
	v_min_u32_e32 v29, 32, v22
	s_delay_alu instid0(VALU_DEP_1) | instskip(NEXT) | instid1(VALU_DEP_1)
	v_subrev_nc_u32_e32 v22, 28, v29
	v_lshlrev_b64_e32 v[22:23], v22, v[6:7]
	s_delay_alu instid0(VALU_DEP_1)
	v_dual_sub_nc_u32 v23, 29, v29 :: v_dual_bitop2_b32 v22, 7, v22 bitop3:0x40
; %bb.349:                              ;   in Loop: Header=BB249_296 Depth=1
	s_or_b32 exec_lo, exec_lo, s18
	v_lshlrev_b32_e32 v6, 8, v6
	s_delay_alu instid0(VALU_DEP_2) | instskip(NEXT) | instid1(VALU_DEP_3)
	v_lshl_add_u32 v23, v23, 10, 0x2000
	v_lshlrev_b32_e32 v22, 7, v22
	s_delay_alu instid0(VALU_DEP_3) | instskip(NEXT) | instid1(VALU_DEP_3)
	v_and_b32_e32 v6, 0x8000, v6
	v_and_b32_e32 v23, 0xfc00, v23
	s_delay_alu instid0(VALU_DEP_1)
	v_or3_b32 v22, v6, v23, v22
.LBB249_350:                            ;   in Loop: Header=BB249_296 Depth=1
	s_or_b32 exec_lo, exec_lo, s17
.LBB249_351:                            ;   in Loop: Header=BB249_296 Depth=1
	s_delay_alu instid0(SALU_CYCLE_1)
	s_or_b32 exec_lo, exec_lo, s16
.LBB249_352:                            ;   in Loop: Header=BB249_296 Depth=1
	s_delay_alu instid0(SALU_CYCLE_1)
	s_or_b32 exec_lo, exec_lo, s0
	v_cmp_lt_u64_e32 vcc_lo, s[4:5], v[16:17]
	v_mov_b32_e32 v16, 0
	s_and_saveexec_b32 s0, vcc_lo
	s_cbranch_execz .LBB249_360
; %bb.353:                              ;   in Loop: Header=BB249_296 Depth=1
	v_lshrrev_b32_e32 v6, 24, v17
	v_bfrev_b32_e32 v16, 1
	s_mov_b32 s16, exec_lo
	s_delay_alu instid0(VALU_DEP_2)
	v_cmpx_ne_u32_e32 0x80, v6
	s_cbranch_execz .LBB249_359
; %bb.354:                              ;   in Loop: Header=BB249_296 Depth=1
	v_and_b32_e32 v23, 0x7f, v6
	v_mov_b32_e32 v16, 0x7c010000
	s_mov_b32 s17, exec_lo
	s_delay_alu instid0(VALU_DEP_2)
	v_cmpx_ne_u32_e32 0x7f, v23
	s_cbranch_execz .LBB249_358
; %bb.355:                              ;   in Loop: Header=BB249_296 Depth=1
	v_dual_lshrrev_b32 v17, 3, v23 :: v_dual_bitop2_b32 v16, 7, v6 bitop3:0x40
	s_mov_b32 s18, exec_lo
	v_cmpx_gt_u32_e32 8, v23
; %bb.356:                              ;   in Loop: Header=BB249_296 Depth=1
	s_delay_alu instid0(VALU_DEP_2) | instskip(NEXT) | instid1(VALU_DEP_1)
	v_clz_i32_u32_e32 v16, v16
	v_min_u32_e32 v23, 32, v16
	s_delay_alu instid0(VALU_DEP_1) | instskip(NEXT) | instid1(VALU_DEP_1)
	v_subrev_nc_u32_e32 v16, 28, v23
	v_lshlrev_b64_e32 v[16:17], v16, v[6:7]
	s_delay_alu instid0(VALU_DEP_1)
	v_dual_sub_nc_u32 v17, 29, v23 :: v_dual_bitop2_b32 v16, 7, v16 bitop3:0x40
; %bb.357:                              ;   in Loop: Header=BB249_296 Depth=1
	s_or_b32 exec_lo, exec_lo, s18
	s_delay_alu instid0(VALU_DEP_1) | instskip(NEXT) | instid1(VALU_DEP_2)
	v_dual_lshlrev_b32 v6, 8, v6 :: v_dual_lshlrev_b32 v16, 23, v16
	v_lshl_add_u32 v17, v17, 10, 0x2000
	s_delay_alu instid0(VALU_DEP_1) | instskip(NEXT) | instid1(VALU_DEP_1)
	v_and_or_b32 v6, 0x8000, v6, v17
	v_lshl_or_b32 v16, v6, 16, v16
.LBB249_358:                            ;   in Loop: Header=BB249_296 Depth=1
	s_or_b32 exec_lo, exec_lo, s17
.LBB249_359:                            ;   in Loop: Header=BB249_296 Depth=1
	s_delay_alu instid0(SALU_CYCLE_1)
	s_or_b32 exec_lo, exec_lo, s16
.LBB249_360:                            ;   in Loop: Header=BB249_296 Depth=1
	s_delay_alu instid0(SALU_CYCLE_1) | instskip(SKIP_3) | instid1(VALU_DEP_3)
	s_or_b32 exec_lo, exec_lo, s0
	v_dual_lshrrev_b32 v6, 16, v18 :: v_dual_lshrrev_b32 v17, 16, v20
	v_or_b32_e32 v1, v18, v1
	v_dual_lshrrev_b32 v18, 16, v21 :: v_dual_bitop2_b32 v15, v20, v15 bitop3:0x54
	v_cvt_f32_f16_e32 v31, v6
	s_delay_alu instid0(VALU_DEP_4) | instskip(SKIP_1) | instid1(VALU_DEP_4)
	v_cvt_f32_f16_e32 v30, v17
	v_dual_lshrrev_b32 v20, 16, v16 :: v_dual_bitop2_b32 v6, v16, v22 bitop3:0x54
	v_cvt_f32_f16_e32 v16, v15
	v_cvt_f32_f16_e32 v17, v1
	s_wait_loadcnt 0x0
	v_pk_mul_f32 v[22:23], v[14:15], v[30:31] op_sel_hi:[0,1]
	v_or_b32_e32 v15, v21, v19
	v_cvt_f32_f16_e32 v19, v18
	v_cvt_f32_f16_e32 v18, v20
	;; [unrolled: 1-line block ×3, first 2 shown]
	v_cvt_pk_f16_f32 v1, v22, v23
	v_pk_mul_f32 v[16:17], v[14:15], v[16:17] op_sel_hi:[0,1]
	v_cmp_eq_u32_e32 vcc_lo, s13, v28
	v_or_b32_e32 v34, 1, v26
	v_or_b32_e32 v33, 3, v26
	v_or_b32_e32 v32, 4, v26
	v_cvt_pk_f16_f32 v6, v16, v17
	v_or_b32_e32 v31, 6, v26
	v_or_b32_e32 v30, 5, v26
	v_dual_add_nc_u32 v35, 2, v26 :: v_dual_bitop2_b32 v29, 7, v26 bitop3:0x54
	s_delay_alu instid0(VALU_DEP_4) | instskip(SKIP_3) | instid1(VALU_DEP_3)
	v_lshrrev_b32_e32 v23, 16, v6
	v_cvt_f32_f16_e32 v21, v15
	v_pk_mul_f32 v[18:19], v[14:15], v[18:19] op_sel_hi:[0,1]
	v_and_b32_e32 v22, 0xffff, v6
	v_pk_mul_f32 v[14:15], v[14:15], v[20:21] op_sel_hi:[0,1]
	s_delay_alu instid0(VALU_DEP_3) | instskip(SKIP_2) | instid1(VALU_DEP_4)
	v_cvt_pk_f16_f32 v16, v18, v19
	v_and_b32_e32 v21, 0xffff0000, v1
	v_lshlrev_b32_e32 v20, 16, v1
	v_cvt_pk_f16_f32 v14, v14, v15
	s_delay_alu instid0(VALU_DEP_4) | instskip(NEXT) | instid1(VALU_DEP_4)
	v_and_b32_e32 v1, 0xffff0000, v16
	v_dual_lshlrev_b32 v6, 16, v16 :: v_dual_bitop2_b32 v17, v21, v23 bitop3:0x54
	s_delay_alu instid0(VALU_DEP_4) | instskip(NEXT) | instid1(VALU_DEP_4)
	v_or_b32_e32 v16, v20, v22
	v_lshrrev_b32_e32 v19, 16, v14
	v_and_b32_e32 v18, 0xffff, v14
	s_delay_alu instid0(VALU_DEP_2) | instskip(NEXT) | instid1(VALU_DEP_2)
	v_or_b32_e32 v15, v1, v19
	v_or_b32_e32 v14, v6, v18
	s_and_saveexec_b32 s16, vcc_lo
	s_cbranch_execz .LBB249_362
; %bb.361:                              ;   in Loop: Header=BB249_296 Depth=1
	v_cmp_gt_i32_e64 s0, s15, v26
	s_delay_alu instid0(VALU_DEP_1) | instskip(SKIP_1) | instid1(VALU_DEP_1)
	v_cndmask_b32_e64 v14, 0, v23, s0
	v_cmp_gt_i32_e64 s0, s25, v35
	v_cndmask_b32_e64 v15, 0, v22, s0
	v_cmp_gt_i32_e64 s0, s15, v34
	s_delay_alu instid0(VALU_DEP_1) | instskip(SKIP_1) | instid1(VALU_DEP_1)
	v_cndmask_b32_e64 v16, 0, v21, s0
	v_cmp_gt_i32_e64 s0, s25, v33
	v_cndmask_b32_e64 v20, 0, v20, s0
	v_cmp_gt_i32_e64 s0, s15, v32
	s_delay_alu instid0(VALU_DEP_4) | instskip(NEXT) | instid1(VALU_DEP_3)
	v_or_b32_e32 v17, v16, v14
	v_or_b32_e32 v16, v20, v15
	s_delay_alu instid0(VALU_DEP_3) | instskip(SKIP_1) | instid1(VALU_DEP_1)
	v_cndmask_b32_e64 v19, 0, v19, s0
	v_cmp_gt_i32_e64 s0, s25, v31
	v_cndmask_b32_e64 v18, 0, v18, s0
	v_cmp_gt_i32_e64 s0, s15, v30
	s_delay_alu instid0(VALU_DEP_1) | instskip(SKIP_1) | instid1(VALU_DEP_1)
	v_cndmask_b32_e64 v1, 0, v1, s0
	v_cmp_gt_i32_e64 s0, s25, v29
	v_dual_cndmask_b32 v6, 0, v6, s0 :: v_dual_bitop2_b32 v15, v1, v19 bitop3:0x54
	s_delay_alu instid0(VALU_DEP_1)
	v_or_b32_e32 v14, v6, v18
.LBB249_362:                            ;   in Loop: Header=BB249_296 Depth=1
	s_or_b32 exec_lo, exec_lo, s16
	v_and_b32_e32 v1, 0xffff, v39
	v_and_b32_e32 v6, 0xffff, v40
	;; [unrolled: 1-line block ×4, first 2 shown]
	s_mov_b32 s16, exec_lo
	v_lshl_or_b32 v41, v36, 16, v1
	;;#ASMSTART
	v_pk_mul_f16 v1, v41, v17;

	;;#ASMEND
	v_lshl_or_b32 v40, v37, 16, v6
	v_lshl_or_b32 v39, v38, 16, v18
	;; [unrolled: 1-line block ×3, first 2 shown]
	;;#ASMSTART
	v_pk_mul_f16 v6, v40, v16;

	;;#ASMEND
	;;#ASMSTART
	v_pk_mul_f16 v15, v39, v15;

	;;#ASMEND
	;; [unrolled: 4-line block ×3, first 2 shown]
	;;#ASMSTART
	v_pk_add_f16 v1, v1, v6;

	;;#ASMEND
	;;#ASMSTART
	v_pk_add_f16 v1, v1, v15;

	;;#ASMEND
	;; [unrolled: 4-line block ×3, first 2 shown]
	v_and_b32_e32 v6, 0xffff, v1
	v_dual_lshrrev_b32 v1, 16, v1 :: v_dual_mov_b32 v15, 0
	;;#ASMSTART
	v_cvt_f32_f16 v42, v6;
	;;#ASMEND
	;;#ASMSTART
	v_cvt_f32_f16 v43, v1;
	;;#ASMEND
	global_load_b64 v[16:17], v[12:13], off offset:256
	v_mov_b32_e32 v1, 0
	global_load_b32 v14, v1, s[10:11]
	s_wait_loadcnt 0x1
	v_and_b32_e32 v6, 0xff, v16
	s_wait_xcnt 0x0
	s_delay_alu instid0(VALU_DEP_1)
	v_cmpx_ne_u16_e32 0, v6
	s_cbranch_execz .LBB249_370
; %bb.363:                              ;   in Loop: Header=BB249_296 Depth=1
	v_mov_b32_e32 v15, 0x8000
	s_mov_b32 s17, exec_lo
	v_cmpx_ne_u16_e32 0x80, v6
	s_cbranch_execz .LBB249_369
; %bb.364:                              ;   in Loop: Header=BB249_296 Depth=1
	v_and_b32_e32 v18, 0x7f, v16
	v_mov_b32_e32 v15, 0x7c01
	s_mov_b32 s18, exec_lo
	s_delay_alu instid0(VALU_DEP_2)
	v_cmpx_ne_u32_e32 0x7f, v18
	s_cbranch_execz .LBB249_368
; %bb.365:                              ;   in Loop: Header=BB249_296 Depth=1
	v_dual_lshrrev_b32 v15, 3, v18 :: v_dual_bitop2_b32 v6, 7, v16 bitop3:0x40
	s_mov_b32 s19, exec_lo
	v_cmpx_gt_u32_e32 8, v18
; %bb.366:                              ;   in Loop: Header=BB249_296 Depth=1
	s_delay_alu instid0(VALU_DEP_2) | instskip(NEXT) | instid1(VALU_DEP_1)
	v_clz_i32_u32_e32 v6, v6
	v_min_u32_e32 v6, 32, v6
	s_delay_alu instid0(VALU_DEP_1) | instskip(NEXT) | instid1(VALU_DEP_1)
	v_subrev_nc_u32_e32 v15, 28, v6
	v_lshlrev_b64_e32 v[18:19], v15, v[16:17]
	v_sub_nc_u32_e32 v15, 29, v6
	s_delay_alu instid0(VALU_DEP_2)
	v_and_b32_e32 v6, 7, v18
; %bb.367:                              ;   in Loop: Header=BB249_296 Depth=1
	s_or_b32 exec_lo, exec_lo, s19
	s_delay_alu instid0(VALU_DEP_1) | instskip(NEXT) | instid1(VALU_DEP_3)
	v_dual_lshlrev_b32 v18, 8, v16 :: v_dual_lshlrev_b32 v6, 7, v6
	v_lshl_add_u32 v15, v15, 10, 0x2000
	s_delay_alu instid0(VALU_DEP_2) | instskip(NEXT) | instid1(VALU_DEP_2)
	v_and_b32_e32 v18, 0x8000, v18
	v_and_b32_e32 v15, 0xfc00, v15
	s_delay_alu instid0(VALU_DEP_1)
	v_or3_b32 v15, v18, v15, v6
.LBB249_368:                            ;   in Loop: Header=BB249_296 Depth=1
	s_or_b32 exec_lo, exec_lo, s18
.LBB249_369:                            ;   in Loop: Header=BB249_296 Depth=1
	s_delay_alu instid0(SALU_CYCLE_1)
	s_or_b32 exec_lo, exec_lo, s17
.LBB249_370:                            ;   in Loop: Header=BB249_296 Depth=1
	s_delay_alu instid0(SALU_CYCLE_1) | instskip(SKIP_2) | instid1(VALU_DEP_1)
	s_or_b32 exec_lo, exec_lo, s16
	v_lshrrev_b16 v6, 8, v16
	s_mov_b32 s16, exec_lo
	v_cmpx_ne_u16_e32 0, v6
	s_cbranch_execz .LBB249_378
; %bb.371:                              ;   in Loop: Header=BB249_296 Depth=1
	v_bfrev_b32_e32 v1, 1
	s_mov_b32 s17, exec_lo
	v_cmpx_ne_u16_e32 0x80, v6
	s_cbranch_execz .LBB249_377
; %bb.372:                              ;   in Loop: Header=BB249_296 Depth=1
	v_and_b32_e32 v18, 0xffff, v6
	v_mov_b32_e32 v1, 0x7c010000
	s_mov_b32 s18, exec_lo
	s_delay_alu instid0(VALU_DEP_2) | instskip(NEXT) | instid1(VALU_DEP_1)
	v_and_b32_e32 v20, 0x7f, v18
	v_cmpx_ne_u32_e32 0x7f, v20
	s_cbranch_execz .LBB249_376
; %bb.373:                              ;   in Loop: Header=BB249_296 Depth=1
	v_dual_lshrrev_b32 v19, 3, v20 :: v_dual_bitop2_b32 v1, 7, v18 bitop3:0x40
	s_mov_b32 s19, exec_lo
	v_cmpx_gt_u32_e32 8, v20
; %bb.374:                              ;   in Loop: Header=BB249_296 Depth=1
	s_delay_alu instid0(VALU_DEP_2) | instskip(NEXT) | instid1(VALU_DEP_1)
	v_clz_i32_u32_e32 v1, v1
	v_min_u32_e32 v1, 32, v1
	s_delay_alu instid0(VALU_DEP_1) | instskip(NEXT) | instid1(VALU_DEP_1)
	v_subrev_nc_u32_e32 v19, 28, v1
	v_lshlrev_b64_e32 v[20:21], v19, v[6:7]
	s_delay_alu instid0(VALU_DEP_1)
	v_dual_sub_nc_u32 v19, 29, v1 :: v_dual_bitop2_b32 v1, 7, v20 bitop3:0x40
; %bb.375:                              ;   in Loop: Header=BB249_296 Depth=1
	s_or_b32 exec_lo, exec_lo, s19
	s_delay_alu instid0(VALU_DEP_1) | instskip(NEXT) | instid1(VALU_DEP_2)
	v_dual_lshlrev_b32 v6, 8, v18 :: v_dual_lshlrev_b32 v1, 23, v1
	v_lshl_add_u32 v18, v19, 10, 0x2000
	s_delay_alu instid0(VALU_DEP_1) | instskip(NEXT) | instid1(VALU_DEP_1)
	v_and_or_b32 v6, 0x8000, v6, v18
	v_lshl_or_b32 v1, v6, 16, v1
.LBB249_376:                            ;   in Loop: Header=BB249_296 Depth=1
	s_or_b32 exec_lo, exec_lo, s18
.LBB249_377:                            ;   in Loop: Header=BB249_296 Depth=1
	s_delay_alu instid0(SALU_CYCLE_1)
	s_or_b32 exec_lo, exec_lo, s17
.LBB249_378:                            ;   in Loop: Header=BB249_296 Depth=1
	s_delay_alu instid0(SALU_CYCLE_1) | instskip(SKIP_3) | instid1(VALU_DEP_2)
	s_or_b32 exec_lo, exec_lo, s16
	v_dual_lshrrev_b32 v6, 16, v16 :: v_dual_mov_b32 v18, 0
	v_mov_b32_e32 v19, 0
	s_mov_b32 s16, exec_lo
	v_and_b32_e32 v20, 0xff, v6
	s_delay_alu instid0(VALU_DEP_1)
	v_cmpx_ne_u16_e32 0, v20
	s_cbranch_execz .LBB249_386
; %bb.379:                              ;   in Loop: Header=BB249_296 Depth=1
	v_mov_b32_e32 v19, 0x8000
	s_mov_b32 s17, exec_lo
	v_cmpx_ne_u16_e32 0x80, v20
	s_cbranch_execz .LBB249_385
; %bb.380:                              ;   in Loop: Header=BB249_296 Depth=1
	v_bfe_u32 v21, v16, 16, 7
	v_mov_b32_e32 v19, 0x7c01
	s_mov_b32 s18, exec_lo
	s_delay_alu instid0(VALU_DEP_2)
	v_cmpx_ne_u32_e32 0x7f, v21
	s_cbranch_execz .LBB249_384
; %bb.381:                              ;   in Loop: Header=BB249_296 Depth=1
	v_dual_lshrrev_b32 v20, 3, v21 :: v_dual_bitop2_b32 v19, 7, v6 bitop3:0x40
	s_mov_b32 s19, exec_lo
	v_cmpx_gt_u32_e32 8, v21
; %bb.382:                              ;   in Loop: Header=BB249_296 Depth=1
	s_delay_alu instid0(VALU_DEP_2) | instskip(NEXT) | instid1(VALU_DEP_1)
	v_clz_i32_u32_e32 v19, v19
	v_min_u32_e32 v19, 32, v19
	s_delay_alu instid0(VALU_DEP_1) | instskip(NEXT) | instid1(VALU_DEP_1)
	v_subrev_nc_u32_e32 v20, 28, v19
	v_lshlrev_b64_e32 v[22:23], v20, v[6:7]
	s_delay_alu instid0(VALU_DEP_1)
	v_dual_sub_nc_u32 v20, 29, v19 :: v_dual_bitop2_b32 v19, 7, v22 bitop3:0x40
; %bb.383:                              ;   in Loop: Header=BB249_296 Depth=1
	s_or_b32 exec_lo, exec_lo, s19
	s_delay_alu instid0(VALU_DEP_1) | instskip(NEXT) | instid1(VALU_DEP_2)
	v_dual_lshlrev_b32 v6, 8, v6 :: v_dual_lshlrev_b32 v19, 7, v19
	v_lshl_add_u32 v20, v20, 10, 0x2000
	s_delay_alu instid0(VALU_DEP_2) | instskip(NEXT) | instid1(VALU_DEP_2)
	v_and_b32_e32 v6, 0x8000, v6
	v_and_b32_e32 v20, 0xfc00, v20
	s_delay_alu instid0(VALU_DEP_1)
	v_or3_b32 v19, v6, v20, v19
.LBB249_384:                            ;   in Loop: Header=BB249_296 Depth=1
	s_or_b32 exec_lo, exec_lo, s18
.LBB249_385:                            ;   in Loop: Header=BB249_296 Depth=1
	s_delay_alu instid0(SALU_CYCLE_1)
	s_or_b32 exec_lo, exec_lo, s17
.LBB249_386:                            ;   in Loop: Header=BB249_296 Depth=1
	s_delay_alu instid0(SALU_CYCLE_1) | instskip(NEXT) | instid1(SALU_CYCLE_1)
	s_or_b32 exec_lo, exec_lo, s16
	s_mov_b32 s16, exec_lo
	v_cmpx_lt_u32_e32 0xffffff, v16
	s_cbranch_execz .LBB249_394
; %bb.387:                              ;   in Loop: Header=BB249_296 Depth=1
	v_lshrrev_b32_e32 v6, 24, v16
	v_bfrev_b32_e32 v18, 1
	s_mov_b32 s17, exec_lo
	s_delay_alu instid0(VALU_DEP_2)
	v_cmpx_ne_u32_e32 0x80, v6
	s_cbranch_execz .LBB249_393
; %bb.388:                              ;   in Loop: Header=BB249_296 Depth=1
	v_and_b32_e32 v21, 0x7f, v6
	v_mov_b32_e32 v18, 0x7c010000
	s_mov_b32 s18, exec_lo
	s_delay_alu instid0(VALU_DEP_2)
	v_cmpx_ne_u32_e32 0x7f, v21
	s_cbranch_execz .LBB249_392
; %bb.389:                              ;   in Loop: Header=BB249_296 Depth=1
	v_dual_lshrrev_b32 v20, 3, v21 :: v_dual_bitop2_b32 v18, 7, v6 bitop3:0x40
	s_mov_b32 s19, exec_lo
	v_cmpx_gt_u32_e32 8, v21
; %bb.390:                              ;   in Loop: Header=BB249_296 Depth=1
	s_delay_alu instid0(VALU_DEP_2) | instskip(NEXT) | instid1(VALU_DEP_1)
	v_clz_i32_u32_e32 v18, v18
	v_min_u32_e32 v18, 32, v18
	s_delay_alu instid0(VALU_DEP_1) | instskip(NEXT) | instid1(VALU_DEP_1)
	v_subrev_nc_u32_e32 v20, 28, v18
	v_lshlrev_b64_e32 v[22:23], v20, v[6:7]
	v_sub_nc_u32_e32 v20, 29, v18
	s_delay_alu instid0(VALU_DEP_2)
	v_and_b32_e32 v18, 7, v22
; %bb.391:                              ;   in Loop: Header=BB249_296 Depth=1
	s_or_b32 exec_lo, exec_lo, s19
	v_lshlrev_b32_e32 v6, 8, v6
	s_delay_alu instid0(VALU_DEP_3) | instskip(NEXT) | instid1(VALU_DEP_3)
	v_lshl_add_u32 v20, v20, 10, 0x2000
	v_lshlrev_b32_e32 v18, 23, v18
	s_delay_alu instid0(VALU_DEP_2) | instskip(NEXT) | instid1(VALU_DEP_1)
	v_and_or_b32 v6, 0x8000, v6, v20
	v_lshl_or_b32 v18, v6, 16, v18
.LBB249_392:                            ;   in Loop: Header=BB249_296 Depth=1
	s_or_b32 exec_lo, exec_lo, s18
.LBB249_393:                            ;   in Loop: Header=BB249_296 Depth=1
	s_delay_alu instid0(SALU_CYCLE_1)
	s_or_b32 exec_lo, exec_lo, s17
.LBB249_394:                            ;   in Loop: Header=BB249_296 Depth=1
	s_delay_alu instid0(SALU_CYCLE_1) | instskip(SKIP_4) | instid1(VALU_DEP_3)
	s_or_b32 exec_lo, exec_lo, s16
	v_and_b32_e32 v22, 0xff, v17
	v_dual_mov_b32 v6, v17 :: v_dual_mov_b32 v21, 0
	v_mov_b32_e32 v20, 0
	s_mov_b32 s16, exec_lo
	v_cmpx_ne_u16_e32 0, v22
	s_cbranch_execz .LBB249_402
; %bb.395:                              ;   in Loop: Header=BB249_296 Depth=1
	v_mov_b32_e32 v20, 0x8000
	s_mov_b32 s17, exec_lo
	v_cmpx_ne_u16_e32 0x80, v22
	s_cbranch_execz .LBB249_401
; %bb.396:                              ;   in Loop: Header=BB249_296 Depth=1
	v_and_b32_e32 v23, 0x7f, v17
	v_mov_b32_e32 v20, 0x7c01
	s_mov_b32 s18, exec_lo
	s_delay_alu instid0(VALU_DEP_2)
	v_cmpx_ne_u32_e32 0x7f, v23
	s_cbranch_execz .LBB249_400
; %bb.397:                              ;   in Loop: Header=BB249_296 Depth=1
	v_dual_lshrrev_b32 v22, 3, v23 :: v_dual_bitop2_b32 v20, 7, v17 bitop3:0x40
	s_mov_b32 s19, exec_lo
	v_cmpx_gt_u32_e32 8, v23
; %bb.398:                              ;   in Loop: Header=BB249_296 Depth=1
	s_delay_alu instid0(VALU_DEP_2) | instskip(NEXT) | instid1(VALU_DEP_1)
	v_clz_i32_u32_e32 v20, v20
	v_min_u32_e32 v20, 32, v20
	s_delay_alu instid0(VALU_DEP_1) | instskip(NEXT) | instid1(VALU_DEP_1)
	v_subrev_nc_u32_e32 v22, 28, v20
	v_lshlrev_b64_e32 v[36:37], v22, v[6:7]
	v_sub_nc_u32_e32 v22, 29, v20
	s_delay_alu instid0(VALU_DEP_2)
	v_and_b32_e32 v20, 7, v36
; %bb.399:                              ;   in Loop: Header=BB249_296 Depth=1
	s_or_b32 exec_lo, exec_lo, s19
	s_delay_alu instid0(VALU_DEP_1) | instskip(NEXT) | instid1(VALU_DEP_3)
	v_dual_lshlrev_b32 v23, 8, v17 :: v_dual_lshlrev_b32 v20, 7, v20
	v_lshl_add_u32 v22, v22, 10, 0x2000
	s_delay_alu instid0(VALU_DEP_2) | instskip(NEXT) | instid1(VALU_DEP_2)
	v_and_b32_e32 v23, 0x8000, v23
	v_and_b32_e32 v22, 0xfc00, v22
	s_delay_alu instid0(VALU_DEP_1)
	v_or3_b32 v20, v23, v22, v20
.LBB249_400:                            ;   in Loop: Header=BB249_296 Depth=1
	s_or_b32 exec_lo, exec_lo, s18
.LBB249_401:                            ;   in Loop: Header=BB249_296 Depth=1
	s_delay_alu instid0(SALU_CYCLE_1)
	s_or_b32 exec_lo, exec_lo, s17
.LBB249_402:                            ;   in Loop: Header=BB249_296 Depth=1
	s_delay_alu instid0(SALU_CYCLE_1) | instskip(SKIP_3) | instid1(VALU_DEP_2)
	s_or_b32 exec_lo, exec_lo, s16
	v_lshrrev_b16 v6, 8, v6
	v_mov_b32_e32 v22, 0
	s_mov_b32 s16, exec_lo
	v_cmpx_ne_u16_e32 0, v6
	s_cbranch_execz .LBB249_410
; %bb.403:                              ;   in Loop: Header=BB249_296 Depth=1
	v_bfrev_b32_e32 v22, 1
	s_mov_b32 s17, exec_lo
	v_cmpx_ne_u16_e32 0x80, v6
	s_cbranch_execz .LBB249_409
; %bb.404:                              ;   in Loop: Header=BB249_296 Depth=1
	v_and_b32_e32 v23, 0xffff, v6
	v_mov_b32_e32 v22, 0x7c010000
	s_mov_b32 s18, exec_lo
	s_delay_alu instid0(VALU_DEP_2) | instskip(NEXT) | instid1(VALU_DEP_1)
	v_and_b32_e32 v37, 0x7f, v23
	v_cmpx_ne_u32_e32 0x7f, v37
	s_cbranch_execz .LBB249_408
; %bb.405:                              ;   in Loop: Header=BB249_296 Depth=1
	v_dual_lshrrev_b32 v36, 3, v37 :: v_dual_bitop2_b32 v22, 7, v23 bitop3:0x40
	s_mov_b32 s19, exec_lo
	v_cmpx_gt_u32_e32 8, v37
; %bb.406:                              ;   in Loop: Header=BB249_296 Depth=1
	s_delay_alu instid0(VALU_DEP_2) | instskip(NEXT) | instid1(VALU_DEP_1)
	v_clz_i32_u32_e32 v22, v22
	v_min_u32_e32 v22, 32, v22
	s_delay_alu instid0(VALU_DEP_1) | instskip(NEXT) | instid1(VALU_DEP_1)
	v_subrev_nc_u32_e32 v36, 28, v22
	v_lshlrev_b64_e32 v[44:45], v36, v[6:7]
	s_delay_alu instid0(VALU_DEP_1)
	v_dual_sub_nc_u32 v36, 29, v22 :: v_dual_bitop2_b32 v22, 7, v44 bitop3:0x40
; %bb.407:                              ;   in Loop: Header=BB249_296 Depth=1
	s_or_b32 exec_lo, exec_lo, s19
	s_delay_alu instid0(VALU_DEP_1) | instskip(NEXT) | instid1(VALU_DEP_2)
	v_dual_lshlrev_b32 v6, 8, v23 :: v_dual_lshlrev_b32 v22, 23, v22
	v_lshl_add_u32 v23, v36, 10, 0x2000
	s_delay_alu instid0(VALU_DEP_1) | instskip(NEXT) | instid1(VALU_DEP_1)
	v_and_or_b32 v6, 0x8000, v6, v23
	v_lshl_or_b32 v22, v6, 16, v22
.LBB249_408:                            ;   in Loop: Header=BB249_296 Depth=1
	s_or_b32 exec_lo, exec_lo, s18
.LBB249_409:                            ;   in Loop: Header=BB249_296 Depth=1
	s_delay_alu instid0(SALU_CYCLE_1)
	s_or_b32 exec_lo, exec_lo, s17
.LBB249_410:                            ;   in Loop: Header=BB249_296 Depth=1
	s_delay_alu instid0(SALU_CYCLE_1) | instskip(SKIP_2) | instid1(VALU_DEP_1)
	s_or_b32 exec_lo, exec_lo, s16
	v_lshrrev_b32_e32 v6, 16, v17
	s_mov_b32 s16, exec_lo
	v_and_b32_e32 v23, 0xff, v6
	s_delay_alu instid0(VALU_DEP_1)
	v_cmpx_ne_u16_e32 0, v23
	s_cbranch_execz .LBB249_418
; %bb.411:                              ;   in Loop: Header=BB249_296 Depth=1
	v_mov_b32_e32 v21, 0x8000
	s_mov_b32 s17, exec_lo
	v_cmpx_ne_u16_e32 0x80, v23
	s_cbranch_execz .LBB249_417
; %bb.412:                              ;   in Loop: Header=BB249_296 Depth=1
	v_bfe_u32 v36, v17, 16, 7
	v_mov_b32_e32 v21, 0x7c01
	s_mov_b32 s18, exec_lo
	s_delay_alu instid0(VALU_DEP_2)
	v_cmpx_ne_u32_e32 0x7f, v36
	s_cbranch_execz .LBB249_416
; %bb.413:                              ;   in Loop: Header=BB249_296 Depth=1
	v_dual_lshrrev_b32 v23, 3, v36 :: v_dual_bitop2_b32 v21, 7, v6 bitop3:0x40
	s_mov_b32 s19, exec_lo
	v_cmpx_gt_u32_e32 8, v36
; %bb.414:                              ;   in Loop: Header=BB249_296 Depth=1
	s_delay_alu instid0(VALU_DEP_2) | instskip(NEXT) | instid1(VALU_DEP_1)
	v_clz_i32_u32_e32 v21, v21
	v_min_u32_e32 v21, 32, v21
	s_delay_alu instid0(VALU_DEP_1) | instskip(NEXT) | instid1(VALU_DEP_1)
	v_subrev_nc_u32_e32 v23, 28, v21
	v_lshlrev_b64_e32 v[36:37], v23, v[6:7]
	s_delay_alu instid0(VALU_DEP_1)
	v_dual_sub_nc_u32 v23, 29, v21 :: v_dual_bitop2_b32 v21, 7, v36 bitop3:0x40
; %bb.415:                              ;   in Loop: Header=BB249_296 Depth=1
	s_or_b32 exec_lo, exec_lo, s19
	s_delay_alu instid0(VALU_DEP_1) | instskip(NEXT) | instid1(VALU_DEP_2)
	v_dual_lshlrev_b32 v6, 8, v6 :: v_dual_lshlrev_b32 v21, 7, v21
	v_lshl_add_u32 v23, v23, 10, 0x2000
	s_delay_alu instid0(VALU_DEP_2) | instskip(NEXT) | instid1(VALU_DEP_2)
	v_and_b32_e32 v6, 0x8000, v6
	v_and_b32_e32 v23, 0xfc00, v23
	s_delay_alu instid0(VALU_DEP_1)
	v_or3_b32 v21, v6, v23, v21
.LBB249_416:                            ;   in Loop: Header=BB249_296 Depth=1
	s_or_b32 exec_lo, exec_lo, s18
.LBB249_417:                            ;   in Loop: Header=BB249_296 Depth=1
	s_delay_alu instid0(SALU_CYCLE_1)
	s_or_b32 exec_lo, exec_lo, s17
.LBB249_418:                            ;   in Loop: Header=BB249_296 Depth=1
	s_delay_alu instid0(SALU_CYCLE_1)
	s_or_b32 exec_lo, exec_lo, s16
	v_cmp_lt_u64_e64 s0, s[4:5], v[16:17]
	v_mov_b32_e32 v16, 0
	s_and_saveexec_b32 s16, s0
	s_cbranch_execz .LBB249_426
; %bb.419:                              ;   in Loop: Header=BB249_296 Depth=1
	v_lshrrev_b32_e32 v6, 24, v17
	v_bfrev_b32_e32 v16, 1
	s_mov_b32 s17, exec_lo
	s_delay_alu instid0(VALU_DEP_2)
	v_cmpx_ne_u32_e32 0x80, v6
	s_cbranch_execz .LBB249_425
; %bb.420:                              ;   in Loop: Header=BB249_296 Depth=1
	v_and_b32_e32 v23, 0x7f, v6
	v_mov_b32_e32 v16, 0x7c010000
	s_mov_b32 s18, exec_lo
	s_delay_alu instid0(VALU_DEP_2)
	v_cmpx_ne_u32_e32 0x7f, v23
	s_cbranch_execz .LBB249_424
; %bb.421:                              ;   in Loop: Header=BB249_296 Depth=1
	v_dual_lshrrev_b32 v17, 3, v23 :: v_dual_bitop2_b32 v16, 7, v6 bitop3:0x40
	s_mov_b32 s19, exec_lo
	v_cmpx_gt_u32_e32 8, v23
; %bb.422:                              ;   in Loop: Header=BB249_296 Depth=1
	s_delay_alu instid0(VALU_DEP_2) | instskip(NEXT) | instid1(VALU_DEP_1)
	v_clz_i32_u32_e32 v16, v16
	v_min_u32_e32 v23, 32, v16
	s_delay_alu instid0(VALU_DEP_1) | instskip(NEXT) | instid1(VALU_DEP_1)
	v_subrev_nc_u32_e32 v16, 28, v23
	v_lshlrev_b64_e32 v[16:17], v16, v[6:7]
	s_delay_alu instid0(VALU_DEP_1)
	v_dual_sub_nc_u32 v17, 29, v23 :: v_dual_bitop2_b32 v16, 7, v16 bitop3:0x40
; %bb.423:                              ;   in Loop: Header=BB249_296 Depth=1
	s_or_b32 exec_lo, exec_lo, s19
	s_delay_alu instid0(VALU_DEP_1) | instskip(NEXT) | instid1(VALU_DEP_2)
	v_dual_lshlrev_b32 v6, 8, v6 :: v_dual_lshlrev_b32 v16, 23, v16
	v_lshl_add_u32 v17, v17, 10, 0x2000
	s_delay_alu instid0(VALU_DEP_1) | instskip(NEXT) | instid1(VALU_DEP_1)
	v_and_or_b32 v6, 0x8000, v6, v17
	v_lshl_or_b32 v16, v6, 16, v16
.LBB249_424:                            ;   in Loop: Header=BB249_296 Depth=1
	s_or_b32 exec_lo, exec_lo, s18
.LBB249_425:                            ;   in Loop: Header=BB249_296 Depth=1
	s_delay_alu instid0(SALU_CYCLE_1)
	s_or_b32 exec_lo, exec_lo, s17
.LBB249_426:                            ;   in Loop: Header=BB249_296 Depth=1
	s_delay_alu instid0(SALU_CYCLE_1) | instskip(SKIP_3) | instid1(VALU_DEP_3)
	s_or_b32 exec_lo, exec_lo, s16
	v_dual_lshrrev_b32 v6, 16, v1 :: v_dual_lshrrev_b32 v17, 16, v18
	v_or_b32_e32 v1, v1, v15
	v_dual_lshrrev_b32 v23, 16, v16 :: v_dual_bitop2_b32 v15, v18, v19 bitop3:0x54
	v_cvt_f32_f16_e32 v19, v6
	s_delay_alu instid0(VALU_DEP_4) | instskip(SKIP_1) | instid1(VALU_DEP_4)
	v_cvt_f32_f16_e32 v18, v17
	v_dual_lshrrev_b32 v21, 16, v22 :: v_dual_bitop2_b32 v6, v16, v21 bitop3:0x54
	v_cvt_f32_f16_e32 v16, v15
	v_cvt_f32_f16_e32 v17, v1
	s_wait_loadcnt 0x0
	v_pk_mul_f32 v[18:19], v[14:15], v[18:19] op_sel_hi:[0,1]
	v_cvt_f32_f16_e32 v21, v21
	s_delay_alu instid0(VALU_DEP_2) | instskip(SKIP_3) | instid1(VALU_DEP_3)
	v_cvt_pk_f16_f32 v1, v18, v19
	v_or_b32_e32 v15, v22, v20
	v_cvt_f32_f16_e32 v20, v23
	v_cvt_f32_f16_e32 v22, v6
	v_pk_mul_f32 v[16:17], v[14:15], v[16:17] op_sel_hi:[0,1]
	s_delay_alu instid0(VALU_DEP_1) | instskip(SKIP_4) | instid1(VALU_DEP_3)
	v_cvt_pk_f16_f32 v6, v16, v17
	v_lshlrev_b32_e32 v16, 16, v1
	v_cvt_f32_f16_e32 v23, v15
	v_pk_mul_f32 v[18:19], v[14:15], v[20:21] op_sel_hi:[0,1]
	v_and_b32_e32 v17, 0xffff0000, v1
	v_pk_mul_f32 v[14:15], v[14:15], v[22:23] op_sel_hi:[0,1]
	s_delay_alu instid0(VALU_DEP_3) | instskip(SKIP_1) | instid1(VALU_DEP_3)
	v_cvt_pk_f16_f32 v18, v18, v19
	v_and_b32_e32 v22, 0xffff, v6
	v_cvt_pk_f16_f32 v14, v14, v15
	s_delay_alu instid0(VALU_DEP_3) | instskip(NEXT) | instid1(VALU_DEP_3)
	v_and_b32_e32 v1, 0xffff0000, v18
	v_or_b32_e32 v20, v16, v22
	s_delay_alu instid0(VALU_DEP_3) | instskip(SKIP_2) | instid1(VALU_DEP_3)
	v_lshrrev_b32_e32 v15, 16, v14
	v_lshrrev_b32_e32 v23, 16, v6
	v_and_b32_e32 v14, 0xffff, v14
	v_dual_lshlrev_b32 v6, 16, v18 :: v_dual_bitop2_b32 v19, v1, v15 bitop3:0x54
	s_delay_alu instid0(VALU_DEP_3) | instskip(NEXT) | instid1(VALU_DEP_2)
	v_or_b32_e32 v21, v17, v23
	v_or_b32_e32 v18, v6, v14
	s_and_saveexec_b32 s16, vcc_lo
	s_cbranch_execz .LBB249_428
; %bb.427:                              ;   in Loop: Header=BB249_296 Depth=1
	v_cmp_gt_i32_e64 s0, s15, v26
	s_delay_alu instid0(VALU_DEP_1) | instskip(SKIP_1) | instid1(VALU_DEP_1)
	v_cndmask_b32_e64 v18, 0, v23, s0
	v_cmp_gt_i32_e64 s0, s25, v35
	v_cndmask_b32_e64 v19, 0, v22, s0
	v_cmp_gt_i32_e64 s0, s15, v34
	s_delay_alu instid0(VALU_DEP_1) | instskip(SKIP_1) | instid1(VALU_DEP_1)
	v_cndmask_b32_e64 v17, 0, v17, s0
	v_cmp_gt_i32_e64 s0, s25, v33
	v_cndmask_b32_e64 v16, 0, v16, s0
	v_cmp_gt_i32_e64 s0, s15, v32
	s_delay_alu instid0(VALU_DEP_4) | instskip(NEXT) | instid1(VALU_DEP_3)
	v_or_b32_e32 v21, v17, v18
	v_or_b32_e32 v20, v16, v19
	s_delay_alu instid0(VALU_DEP_3) | instskip(SKIP_1) | instid1(VALU_DEP_1)
	v_cndmask_b32_e64 v15, 0, v15, s0
	v_cmp_gt_i32_e64 s0, s25, v31
	v_cndmask_b32_e64 v14, 0, v14, s0
	v_cmp_gt_i32_e64 s0, s15, v30
	s_delay_alu instid0(VALU_DEP_1) | instskip(SKIP_1) | instid1(VALU_DEP_1)
	v_cndmask_b32_e64 v1, 0, v1, s0
	v_cmp_gt_i32_e64 s0, s25, v29
	v_dual_cndmask_b32 v6, 0, v6, s0 :: v_dual_bitop2_b32 v19, v1, v15 bitop3:0x54
	s_delay_alu instid0(VALU_DEP_1)
	v_or_b32_e32 v18, v6, v14
.LBB249_428:                            ;   in Loop: Header=BB249_296 Depth=1
	s_or_b32 exec_lo, exec_lo, s16
	;;#ASMSTART
	v_pk_mul_f16 v1, v41, v21;

	;;#ASMEND
	;;#ASMSTART
	v_pk_mul_f16 v6, v40, v20;

	;;#ASMEND
	;; [unrolled: 4-line block ×4, first 2 shown]
	;;#ASMSTART
	v_pk_add_f16 v1, v1, v6;

	;;#ASMEND
	;;#ASMSTART
	v_pk_add_f16 v1, v1, v14;

	;;#ASMEND
	;; [unrolled: 4-line block ×3, first 2 shown]
	v_and_b32_e32 v6, 0xffff, v1
	v_dual_lshrrev_b32 v1, 16, v1 :: v_dual_mov_b32 v15, 0
	;;#ASMSTART
	v_cvt_f32_f16 v44, v6;
	;;#ASMEND
	;;#ASMSTART
	v_cvt_f32_f16 v45, v1;
	;;#ASMEND
	global_load_b64 v[16:17], v[12:13], off offset:512
	v_mov_b32_e32 v1, 0
	s_mov_b32 s16, exec_lo
	global_load_b32 v14, v1, s[10:11]
	s_wait_loadcnt 0x1
	v_and_b32_e32 v6, 0xff, v16
	s_wait_xcnt 0x0
	s_delay_alu instid0(VALU_DEP_1)
	v_cmpx_ne_u16_e32 0, v6
	s_cbranch_execz .LBB249_436
; %bb.429:                              ;   in Loop: Header=BB249_296 Depth=1
	v_mov_b32_e32 v15, 0x8000
	s_mov_b32 s17, exec_lo
	v_cmpx_ne_u16_e32 0x80, v6
	s_cbranch_execz .LBB249_435
; %bb.430:                              ;   in Loop: Header=BB249_296 Depth=1
	v_and_b32_e32 v18, 0x7f, v16
	v_mov_b32_e32 v15, 0x7c01
	s_mov_b32 s18, exec_lo
	s_delay_alu instid0(VALU_DEP_2)
	v_cmpx_ne_u32_e32 0x7f, v18
	s_cbranch_execz .LBB249_434
; %bb.431:                              ;   in Loop: Header=BB249_296 Depth=1
	v_dual_lshrrev_b32 v15, 3, v18 :: v_dual_bitop2_b32 v6, 7, v16 bitop3:0x40
	s_mov_b32 s19, exec_lo
	v_cmpx_gt_u32_e32 8, v18
; %bb.432:                              ;   in Loop: Header=BB249_296 Depth=1
	s_delay_alu instid0(VALU_DEP_2) | instskip(NEXT) | instid1(VALU_DEP_1)
	v_clz_i32_u32_e32 v6, v6
	v_min_u32_e32 v6, 32, v6
	s_delay_alu instid0(VALU_DEP_1) | instskip(NEXT) | instid1(VALU_DEP_1)
	v_subrev_nc_u32_e32 v15, 28, v6
	v_lshlrev_b64_e32 v[18:19], v15, v[16:17]
	v_sub_nc_u32_e32 v15, 29, v6
	s_delay_alu instid0(VALU_DEP_2)
	v_and_b32_e32 v6, 7, v18
; %bb.433:                              ;   in Loop: Header=BB249_296 Depth=1
	s_or_b32 exec_lo, exec_lo, s19
	s_delay_alu instid0(VALU_DEP_1) | instskip(NEXT) | instid1(VALU_DEP_3)
	v_dual_lshlrev_b32 v18, 8, v16 :: v_dual_lshlrev_b32 v6, 7, v6
	v_lshl_add_u32 v15, v15, 10, 0x2000
	s_delay_alu instid0(VALU_DEP_2) | instskip(NEXT) | instid1(VALU_DEP_2)
	v_and_b32_e32 v18, 0x8000, v18
	v_and_b32_e32 v15, 0xfc00, v15
	s_delay_alu instid0(VALU_DEP_1)
	v_or3_b32 v15, v18, v15, v6
.LBB249_434:                            ;   in Loop: Header=BB249_296 Depth=1
	s_or_b32 exec_lo, exec_lo, s18
.LBB249_435:                            ;   in Loop: Header=BB249_296 Depth=1
	s_delay_alu instid0(SALU_CYCLE_1)
	s_or_b32 exec_lo, exec_lo, s17
.LBB249_436:                            ;   in Loop: Header=BB249_296 Depth=1
	s_delay_alu instid0(SALU_CYCLE_1) | instskip(SKIP_2) | instid1(VALU_DEP_1)
	s_or_b32 exec_lo, exec_lo, s16
	v_lshrrev_b16 v6, 8, v16
	s_mov_b32 s16, exec_lo
	v_cmpx_ne_u16_e32 0, v6
	s_cbranch_execz .LBB249_444
; %bb.437:                              ;   in Loop: Header=BB249_296 Depth=1
	v_bfrev_b32_e32 v1, 1
	s_mov_b32 s17, exec_lo
	v_cmpx_ne_u16_e32 0x80, v6
	s_cbranch_execz .LBB249_443
; %bb.438:                              ;   in Loop: Header=BB249_296 Depth=1
	v_and_b32_e32 v18, 0xffff, v6
	v_mov_b32_e32 v1, 0x7c010000
	s_mov_b32 s18, exec_lo
	s_delay_alu instid0(VALU_DEP_2) | instskip(NEXT) | instid1(VALU_DEP_1)
	v_and_b32_e32 v20, 0x7f, v18
	v_cmpx_ne_u32_e32 0x7f, v20
	s_cbranch_execz .LBB249_442
; %bb.439:                              ;   in Loop: Header=BB249_296 Depth=1
	v_dual_lshrrev_b32 v19, 3, v20 :: v_dual_bitop2_b32 v1, 7, v18 bitop3:0x40
	s_mov_b32 s19, exec_lo
	v_cmpx_gt_u32_e32 8, v20
; %bb.440:                              ;   in Loop: Header=BB249_296 Depth=1
	s_delay_alu instid0(VALU_DEP_2) | instskip(NEXT) | instid1(VALU_DEP_1)
	v_clz_i32_u32_e32 v1, v1
	v_min_u32_e32 v1, 32, v1
	s_delay_alu instid0(VALU_DEP_1) | instskip(NEXT) | instid1(VALU_DEP_1)
	v_subrev_nc_u32_e32 v19, 28, v1
	v_lshlrev_b64_e32 v[20:21], v19, v[6:7]
	s_delay_alu instid0(VALU_DEP_1)
	v_dual_sub_nc_u32 v19, 29, v1 :: v_dual_bitop2_b32 v1, 7, v20 bitop3:0x40
; %bb.441:                              ;   in Loop: Header=BB249_296 Depth=1
	s_or_b32 exec_lo, exec_lo, s19
	s_delay_alu instid0(VALU_DEP_1) | instskip(NEXT) | instid1(VALU_DEP_2)
	v_dual_lshlrev_b32 v6, 8, v18 :: v_dual_lshlrev_b32 v1, 23, v1
	v_lshl_add_u32 v18, v19, 10, 0x2000
	s_delay_alu instid0(VALU_DEP_1) | instskip(NEXT) | instid1(VALU_DEP_1)
	v_and_or_b32 v6, 0x8000, v6, v18
	v_lshl_or_b32 v1, v6, 16, v1
.LBB249_442:                            ;   in Loop: Header=BB249_296 Depth=1
	s_or_b32 exec_lo, exec_lo, s18
.LBB249_443:                            ;   in Loop: Header=BB249_296 Depth=1
	s_delay_alu instid0(SALU_CYCLE_1)
	s_or_b32 exec_lo, exec_lo, s17
.LBB249_444:                            ;   in Loop: Header=BB249_296 Depth=1
	s_delay_alu instid0(SALU_CYCLE_1) | instskip(SKIP_3) | instid1(VALU_DEP_2)
	s_or_b32 exec_lo, exec_lo, s16
	v_dual_lshrrev_b32 v6, 16, v16 :: v_dual_mov_b32 v18, 0
	v_mov_b32_e32 v19, 0
	s_mov_b32 s16, exec_lo
	v_and_b32_e32 v20, 0xff, v6
	s_delay_alu instid0(VALU_DEP_1)
	v_cmpx_ne_u16_e32 0, v20
	s_cbranch_execz .LBB249_452
; %bb.445:                              ;   in Loop: Header=BB249_296 Depth=1
	v_mov_b32_e32 v19, 0x8000
	s_mov_b32 s17, exec_lo
	v_cmpx_ne_u16_e32 0x80, v20
	s_cbranch_execz .LBB249_451
; %bb.446:                              ;   in Loop: Header=BB249_296 Depth=1
	v_bfe_u32 v21, v16, 16, 7
	v_mov_b32_e32 v19, 0x7c01
	s_mov_b32 s18, exec_lo
	s_delay_alu instid0(VALU_DEP_2)
	v_cmpx_ne_u32_e32 0x7f, v21
	s_cbranch_execz .LBB249_450
; %bb.447:                              ;   in Loop: Header=BB249_296 Depth=1
	v_dual_lshrrev_b32 v20, 3, v21 :: v_dual_bitop2_b32 v19, 7, v6 bitop3:0x40
	s_mov_b32 s19, exec_lo
	v_cmpx_gt_u32_e32 8, v21
; %bb.448:                              ;   in Loop: Header=BB249_296 Depth=1
	s_delay_alu instid0(VALU_DEP_2) | instskip(NEXT) | instid1(VALU_DEP_1)
	v_clz_i32_u32_e32 v19, v19
	v_min_u32_e32 v19, 32, v19
	s_delay_alu instid0(VALU_DEP_1) | instskip(NEXT) | instid1(VALU_DEP_1)
	v_subrev_nc_u32_e32 v20, 28, v19
	v_lshlrev_b64_e32 v[22:23], v20, v[6:7]
	s_delay_alu instid0(VALU_DEP_1)
	v_dual_sub_nc_u32 v20, 29, v19 :: v_dual_bitop2_b32 v19, 7, v22 bitop3:0x40
; %bb.449:                              ;   in Loop: Header=BB249_296 Depth=1
	s_or_b32 exec_lo, exec_lo, s19
	s_delay_alu instid0(VALU_DEP_1) | instskip(NEXT) | instid1(VALU_DEP_2)
	v_dual_lshlrev_b32 v6, 8, v6 :: v_dual_lshlrev_b32 v19, 7, v19
	v_lshl_add_u32 v20, v20, 10, 0x2000
	s_delay_alu instid0(VALU_DEP_2) | instskip(NEXT) | instid1(VALU_DEP_2)
	v_and_b32_e32 v6, 0x8000, v6
	v_and_b32_e32 v20, 0xfc00, v20
	s_delay_alu instid0(VALU_DEP_1)
	v_or3_b32 v19, v6, v20, v19
.LBB249_450:                            ;   in Loop: Header=BB249_296 Depth=1
	s_or_b32 exec_lo, exec_lo, s18
.LBB249_451:                            ;   in Loop: Header=BB249_296 Depth=1
	s_delay_alu instid0(SALU_CYCLE_1)
	s_or_b32 exec_lo, exec_lo, s17
.LBB249_452:                            ;   in Loop: Header=BB249_296 Depth=1
	s_delay_alu instid0(SALU_CYCLE_1) | instskip(NEXT) | instid1(SALU_CYCLE_1)
	s_or_b32 exec_lo, exec_lo, s16
	s_mov_b32 s16, exec_lo
	v_cmpx_lt_u32_e32 0xffffff, v16
	s_cbranch_execz .LBB249_460
; %bb.453:                              ;   in Loop: Header=BB249_296 Depth=1
	v_lshrrev_b32_e32 v6, 24, v16
	v_bfrev_b32_e32 v18, 1
	s_mov_b32 s17, exec_lo
	s_delay_alu instid0(VALU_DEP_2)
	v_cmpx_ne_u32_e32 0x80, v6
	s_cbranch_execz .LBB249_459
; %bb.454:                              ;   in Loop: Header=BB249_296 Depth=1
	v_and_b32_e32 v21, 0x7f, v6
	v_mov_b32_e32 v18, 0x7c010000
	s_mov_b32 s18, exec_lo
	s_delay_alu instid0(VALU_DEP_2)
	v_cmpx_ne_u32_e32 0x7f, v21
	s_cbranch_execz .LBB249_458
; %bb.455:                              ;   in Loop: Header=BB249_296 Depth=1
	v_dual_lshrrev_b32 v20, 3, v21 :: v_dual_bitop2_b32 v18, 7, v6 bitop3:0x40
	s_mov_b32 s19, exec_lo
	v_cmpx_gt_u32_e32 8, v21
; %bb.456:                              ;   in Loop: Header=BB249_296 Depth=1
	s_delay_alu instid0(VALU_DEP_2) | instskip(NEXT) | instid1(VALU_DEP_1)
	v_clz_i32_u32_e32 v18, v18
	v_min_u32_e32 v18, 32, v18
	s_delay_alu instid0(VALU_DEP_1) | instskip(NEXT) | instid1(VALU_DEP_1)
	v_subrev_nc_u32_e32 v20, 28, v18
	v_lshlrev_b64_e32 v[22:23], v20, v[6:7]
	v_sub_nc_u32_e32 v20, 29, v18
	s_delay_alu instid0(VALU_DEP_2)
	v_and_b32_e32 v18, 7, v22
; %bb.457:                              ;   in Loop: Header=BB249_296 Depth=1
	s_or_b32 exec_lo, exec_lo, s19
	v_lshlrev_b32_e32 v6, 8, v6
	s_delay_alu instid0(VALU_DEP_3) | instskip(NEXT) | instid1(VALU_DEP_3)
	v_lshl_add_u32 v20, v20, 10, 0x2000
	v_lshlrev_b32_e32 v18, 23, v18
	s_delay_alu instid0(VALU_DEP_2) | instskip(NEXT) | instid1(VALU_DEP_1)
	v_and_or_b32 v6, 0x8000, v6, v20
	v_lshl_or_b32 v18, v6, 16, v18
.LBB249_458:                            ;   in Loop: Header=BB249_296 Depth=1
	s_or_b32 exec_lo, exec_lo, s18
.LBB249_459:                            ;   in Loop: Header=BB249_296 Depth=1
	s_delay_alu instid0(SALU_CYCLE_1)
	s_or_b32 exec_lo, exec_lo, s17
.LBB249_460:                            ;   in Loop: Header=BB249_296 Depth=1
	s_delay_alu instid0(SALU_CYCLE_1) | instskip(SKIP_4) | instid1(VALU_DEP_3)
	s_or_b32 exec_lo, exec_lo, s16
	v_and_b32_e32 v22, 0xff, v17
	v_dual_mov_b32 v6, v17 :: v_dual_mov_b32 v21, 0
	v_mov_b32_e32 v20, 0
	s_mov_b32 s16, exec_lo
	v_cmpx_ne_u16_e32 0, v22
	s_cbranch_execz .LBB249_468
; %bb.461:                              ;   in Loop: Header=BB249_296 Depth=1
	v_mov_b32_e32 v20, 0x8000
	s_mov_b32 s17, exec_lo
	v_cmpx_ne_u16_e32 0x80, v22
	s_cbranch_execz .LBB249_467
; %bb.462:                              ;   in Loop: Header=BB249_296 Depth=1
	v_and_b32_e32 v23, 0x7f, v17
	v_mov_b32_e32 v20, 0x7c01
	s_mov_b32 s18, exec_lo
	s_delay_alu instid0(VALU_DEP_2)
	v_cmpx_ne_u32_e32 0x7f, v23
	s_cbranch_execz .LBB249_466
; %bb.463:                              ;   in Loop: Header=BB249_296 Depth=1
	v_dual_lshrrev_b32 v22, 3, v23 :: v_dual_bitop2_b32 v20, 7, v17 bitop3:0x40
	s_mov_b32 s19, exec_lo
	v_cmpx_gt_u32_e32 8, v23
; %bb.464:                              ;   in Loop: Header=BB249_296 Depth=1
	s_delay_alu instid0(VALU_DEP_2) | instskip(NEXT) | instid1(VALU_DEP_1)
	v_clz_i32_u32_e32 v20, v20
	v_min_u32_e32 v20, 32, v20
	s_delay_alu instid0(VALU_DEP_1) | instskip(NEXT) | instid1(VALU_DEP_1)
	v_subrev_nc_u32_e32 v22, 28, v20
	v_lshlrev_b64_e32 v[36:37], v22, v[6:7]
	v_sub_nc_u32_e32 v22, 29, v20
	s_delay_alu instid0(VALU_DEP_2)
	v_and_b32_e32 v20, 7, v36
; %bb.465:                              ;   in Loop: Header=BB249_296 Depth=1
	s_or_b32 exec_lo, exec_lo, s19
	s_delay_alu instid0(VALU_DEP_1) | instskip(NEXT) | instid1(VALU_DEP_3)
	v_dual_lshlrev_b32 v23, 8, v17 :: v_dual_lshlrev_b32 v20, 7, v20
	v_lshl_add_u32 v22, v22, 10, 0x2000
	s_delay_alu instid0(VALU_DEP_2) | instskip(NEXT) | instid1(VALU_DEP_2)
	v_and_b32_e32 v23, 0x8000, v23
	v_and_b32_e32 v22, 0xfc00, v22
	s_delay_alu instid0(VALU_DEP_1)
	v_or3_b32 v20, v23, v22, v20
.LBB249_466:                            ;   in Loop: Header=BB249_296 Depth=1
	s_or_b32 exec_lo, exec_lo, s18
.LBB249_467:                            ;   in Loop: Header=BB249_296 Depth=1
	s_delay_alu instid0(SALU_CYCLE_1)
	s_or_b32 exec_lo, exec_lo, s17
.LBB249_468:                            ;   in Loop: Header=BB249_296 Depth=1
	s_delay_alu instid0(SALU_CYCLE_1) | instskip(SKIP_3) | instid1(VALU_DEP_2)
	s_or_b32 exec_lo, exec_lo, s16
	v_lshrrev_b16 v6, 8, v6
	v_mov_b32_e32 v22, 0
	s_mov_b32 s16, exec_lo
	v_cmpx_ne_u16_e32 0, v6
	s_cbranch_execz .LBB249_476
; %bb.469:                              ;   in Loop: Header=BB249_296 Depth=1
	v_bfrev_b32_e32 v22, 1
	s_mov_b32 s17, exec_lo
	v_cmpx_ne_u16_e32 0x80, v6
	s_cbranch_execz .LBB249_475
; %bb.470:                              ;   in Loop: Header=BB249_296 Depth=1
	v_and_b32_e32 v23, 0xffff, v6
	v_mov_b32_e32 v22, 0x7c010000
	s_mov_b32 s18, exec_lo
	s_delay_alu instid0(VALU_DEP_2) | instskip(NEXT) | instid1(VALU_DEP_1)
	v_and_b32_e32 v37, 0x7f, v23
	v_cmpx_ne_u32_e32 0x7f, v37
	s_cbranch_execz .LBB249_474
; %bb.471:                              ;   in Loop: Header=BB249_296 Depth=1
	v_dual_lshrrev_b32 v36, 3, v37 :: v_dual_bitop2_b32 v22, 7, v23 bitop3:0x40
	s_mov_b32 s19, exec_lo
	v_cmpx_gt_u32_e32 8, v37
; %bb.472:                              ;   in Loop: Header=BB249_296 Depth=1
	s_delay_alu instid0(VALU_DEP_2) | instskip(NEXT) | instid1(VALU_DEP_1)
	v_clz_i32_u32_e32 v22, v22
	v_min_u32_e32 v22, 32, v22
	s_delay_alu instid0(VALU_DEP_1) | instskip(NEXT) | instid1(VALU_DEP_1)
	v_subrev_nc_u32_e32 v36, 28, v22
	v_lshlrev_b64_e32 v[46:47], v36, v[6:7]
	v_sub_nc_u32_e32 v36, 29, v22
	s_delay_alu instid0(VALU_DEP_2)
	v_and_b32_e32 v22, 7, v46
; %bb.473:                              ;   in Loop: Header=BB249_296 Depth=1
	s_or_b32 exec_lo, exec_lo, s19
	s_delay_alu instid0(VALU_DEP_1) | instskip(NEXT) | instid1(VALU_DEP_3)
	v_dual_lshlrev_b32 v6, 8, v23 :: v_dual_lshlrev_b32 v22, 23, v22
	v_lshl_add_u32 v23, v36, 10, 0x2000
	s_delay_alu instid0(VALU_DEP_1) | instskip(NEXT) | instid1(VALU_DEP_1)
	v_and_or_b32 v6, 0x8000, v6, v23
	v_lshl_or_b32 v22, v6, 16, v22
.LBB249_474:                            ;   in Loop: Header=BB249_296 Depth=1
	s_or_b32 exec_lo, exec_lo, s18
.LBB249_475:                            ;   in Loop: Header=BB249_296 Depth=1
	s_delay_alu instid0(SALU_CYCLE_1)
	s_or_b32 exec_lo, exec_lo, s17
.LBB249_476:                            ;   in Loop: Header=BB249_296 Depth=1
	s_delay_alu instid0(SALU_CYCLE_1) | instskip(SKIP_2) | instid1(VALU_DEP_1)
	s_or_b32 exec_lo, exec_lo, s16
	v_lshrrev_b32_e32 v6, 16, v17
	s_mov_b32 s16, exec_lo
	v_and_b32_e32 v23, 0xff, v6
	s_delay_alu instid0(VALU_DEP_1)
	v_cmpx_ne_u16_e32 0, v23
	s_cbranch_execz .LBB249_484
; %bb.477:                              ;   in Loop: Header=BB249_296 Depth=1
	v_mov_b32_e32 v21, 0x8000
	s_mov_b32 s17, exec_lo
	v_cmpx_ne_u16_e32 0x80, v23
	s_cbranch_execz .LBB249_483
; %bb.478:                              ;   in Loop: Header=BB249_296 Depth=1
	v_bfe_u32 v36, v17, 16, 7
	v_mov_b32_e32 v21, 0x7c01
	s_mov_b32 s18, exec_lo
	s_delay_alu instid0(VALU_DEP_2)
	v_cmpx_ne_u32_e32 0x7f, v36
	s_cbranch_execz .LBB249_482
; %bb.479:                              ;   in Loop: Header=BB249_296 Depth=1
	v_dual_lshrrev_b32 v23, 3, v36 :: v_dual_bitop2_b32 v21, 7, v6 bitop3:0x40
	s_mov_b32 s19, exec_lo
	v_cmpx_gt_u32_e32 8, v36
; %bb.480:                              ;   in Loop: Header=BB249_296 Depth=1
	s_delay_alu instid0(VALU_DEP_2) | instskip(NEXT) | instid1(VALU_DEP_1)
	v_clz_i32_u32_e32 v21, v21
	v_min_u32_e32 v21, 32, v21
	s_delay_alu instid0(VALU_DEP_1) | instskip(NEXT) | instid1(VALU_DEP_1)
	v_subrev_nc_u32_e32 v23, 28, v21
	v_lshlrev_b64_e32 v[36:37], v23, v[6:7]
	s_delay_alu instid0(VALU_DEP_1)
	v_dual_sub_nc_u32 v23, 29, v21 :: v_dual_bitop2_b32 v21, 7, v36 bitop3:0x40
; %bb.481:                              ;   in Loop: Header=BB249_296 Depth=1
	s_or_b32 exec_lo, exec_lo, s19
	s_delay_alu instid0(VALU_DEP_1) | instskip(NEXT) | instid1(VALU_DEP_2)
	v_dual_lshlrev_b32 v6, 8, v6 :: v_dual_lshlrev_b32 v21, 7, v21
	v_lshl_add_u32 v23, v23, 10, 0x2000
	s_delay_alu instid0(VALU_DEP_2) | instskip(NEXT) | instid1(VALU_DEP_2)
	v_and_b32_e32 v6, 0x8000, v6
	v_and_b32_e32 v23, 0xfc00, v23
	s_delay_alu instid0(VALU_DEP_1)
	v_or3_b32 v21, v6, v23, v21
.LBB249_482:                            ;   in Loop: Header=BB249_296 Depth=1
	s_or_b32 exec_lo, exec_lo, s18
.LBB249_483:                            ;   in Loop: Header=BB249_296 Depth=1
	s_delay_alu instid0(SALU_CYCLE_1)
	s_or_b32 exec_lo, exec_lo, s17
.LBB249_484:                            ;   in Loop: Header=BB249_296 Depth=1
	s_delay_alu instid0(SALU_CYCLE_1)
	s_or_b32 exec_lo, exec_lo, s16
	v_cmp_lt_u64_e64 s0, s[4:5], v[16:17]
	v_mov_b32_e32 v16, 0
	s_and_saveexec_b32 s16, s0
	s_cbranch_execz .LBB249_492
; %bb.485:                              ;   in Loop: Header=BB249_296 Depth=1
	v_lshrrev_b32_e32 v6, 24, v17
	v_bfrev_b32_e32 v16, 1
	s_mov_b32 s17, exec_lo
	s_delay_alu instid0(VALU_DEP_2)
	v_cmpx_ne_u32_e32 0x80, v6
	s_cbranch_execz .LBB249_491
; %bb.486:                              ;   in Loop: Header=BB249_296 Depth=1
	v_and_b32_e32 v23, 0x7f, v6
	v_mov_b32_e32 v16, 0x7c010000
	s_mov_b32 s18, exec_lo
	s_delay_alu instid0(VALU_DEP_2)
	v_cmpx_ne_u32_e32 0x7f, v23
	s_cbranch_execz .LBB249_490
; %bb.487:                              ;   in Loop: Header=BB249_296 Depth=1
	v_dual_lshrrev_b32 v17, 3, v23 :: v_dual_bitop2_b32 v16, 7, v6 bitop3:0x40
	s_mov_b32 s19, exec_lo
	v_cmpx_gt_u32_e32 8, v23
; %bb.488:                              ;   in Loop: Header=BB249_296 Depth=1
	s_delay_alu instid0(VALU_DEP_2) | instskip(NEXT) | instid1(VALU_DEP_1)
	v_clz_i32_u32_e32 v16, v16
	v_min_u32_e32 v23, 32, v16
	s_delay_alu instid0(VALU_DEP_1) | instskip(NEXT) | instid1(VALU_DEP_1)
	v_subrev_nc_u32_e32 v16, 28, v23
	v_lshlrev_b64_e32 v[16:17], v16, v[6:7]
	s_delay_alu instid0(VALU_DEP_1)
	v_dual_sub_nc_u32 v17, 29, v23 :: v_dual_bitop2_b32 v16, 7, v16 bitop3:0x40
; %bb.489:                              ;   in Loop: Header=BB249_296 Depth=1
	s_or_b32 exec_lo, exec_lo, s19
	s_delay_alu instid0(VALU_DEP_1) | instskip(NEXT) | instid1(VALU_DEP_2)
	v_dual_lshlrev_b32 v6, 8, v6 :: v_dual_lshlrev_b32 v16, 23, v16
	v_lshl_add_u32 v17, v17, 10, 0x2000
	s_delay_alu instid0(VALU_DEP_1) | instskip(NEXT) | instid1(VALU_DEP_1)
	v_and_or_b32 v6, 0x8000, v6, v17
	v_lshl_or_b32 v16, v6, 16, v16
.LBB249_490:                            ;   in Loop: Header=BB249_296 Depth=1
	s_or_b32 exec_lo, exec_lo, s18
.LBB249_491:                            ;   in Loop: Header=BB249_296 Depth=1
	s_delay_alu instid0(SALU_CYCLE_1)
	s_or_b32 exec_lo, exec_lo, s17
.LBB249_492:                            ;   in Loop: Header=BB249_296 Depth=1
	s_delay_alu instid0(SALU_CYCLE_1) | instskip(SKIP_3) | instid1(VALU_DEP_3)
	s_or_b32 exec_lo, exec_lo, s16
	v_dual_lshrrev_b32 v6, 16, v1 :: v_dual_lshrrev_b32 v17, 16, v18
	v_or_b32_e32 v1, v1, v15
	v_dual_lshrrev_b32 v23, 16, v16 :: v_dual_bitop2_b32 v15, v18, v19 bitop3:0x54
	v_cvt_f32_f16_e32 v19, v6
	s_delay_alu instid0(VALU_DEP_4) | instskip(SKIP_1) | instid1(VALU_DEP_4)
	v_cvt_f32_f16_e32 v18, v17
	v_dual_lshrrev_b32 v21, 16, v22 :: v_dual_bitop2_b32 v6, v16, v21 bitop3:0x54
	v_cvt_f32_f16_e32 v16, v15
	v_cvt_f32_f16_e32 v17, v1
	s_wait_loadcnt 0x0
	v_pk_mul_f32 v[18:19], v[14:15], v[18:19] op_sel_hi:[0,1]
	v_cvt_f32_f16_e32 v21, v21
	s_delay_alu instid0(VALU_DEP_2) | instskip(SKIP_3) | instid1(VALU_DEP_3)
	v_cvt_pk_f16_f32 v1, v18, v19
	v_or_b32_e32 v15, v22, v20
	v_cvt_f32_f16_e32 v20, v23
	v_cvt_f32_f16_e32 v22, v6
	v_pk_mul_f32 v[16:17], v[14:15], v[16:17] op_sel_hi:[0,1]
	s_delay_alu instid0(VALU_DEP_1) | instskip(SKIP_4) | instid1(VALU_DEP_3)
	v_cvt_pk_f16_f32 v6, v16, v17
	v_lshlrev_b32_e32 v16, 16, v1
	v_cvt_f32_f16_e32 v23, v15
	v_pk_mul_f32 v[18:19], v[14:15], v[20:21] op_sel_hi:[0,1]
	v_and_b32_e32 v17, 0xffff0000, v1
	v_pk_mul_f32 v[14:15], v[14:15], v[22:23] op_sel_hi:[0,1]
	s_delay_alu instid0(VALU_DEP_3) | instskip(SKIP_1) | instid1(VALU_DEP_3)
	v_cvt_pk_f16_f32 v18, v18, v19
	v_and_b32_e32 v22, 0xffff, v6
	v_cvt_pk_f16_f32 v14, v14, v15
	s_delay_alu instid0(VALU_DEP_3) | instskip(NEXT) | instid1(VALU_DEP_3)
	v_and_b32_e32 v1, 0xffff0000, v18
	v_or_b32_e32 v20, v16, v22
	s_delay_alu instid0(VALU_DEP_3) | instskip(SKIP_2) | instid1(VALU_DEP_3)
	v_lshrrev_b32_e32 v15, 16, v14
	v_lshrrev_b32_e32 v23, 16, v6
	v_and_b32_e32 v14, 0xffff, v14
	v_dual_lshlrev_b32 v6, 16, v18 :: v_dual_bitop2_b32 v19, v1, v15 bitop3:0x54
	s_delay_alu instid0(VALU_DEP_3) | instskip(NEXT) | instid1(VALU_DEP_2)
	v_or_b32_e32 v21, v17, v23
	v_or_b32_e32 v18, v6, v14
	s_and_saveexec_b32 s16, vcc_lo
	s_cbranch_execz .LBB249_494
; %bb.493:                              ;   in Loop: Header=BB249_296 Depth=1
	v_cmp_gt_i32_e64 s0, s15, v26
	s_delay_alu instid0(VALU_DEP_1) | instskip(SKIP_1) | instid1(VALU_DEP_1)
	v_cndmask_b32_e64 v18, 0, v23, s0
	v_cmp_gt_i32_e64 s0, s25, v35
	v_cndmask_b32_e64 v19, 0, v22, s0
	v_cmp_gt_i32_e64 s0, s15, v34
	s_delay_alu instid0(VALU_DEP_1) | instskip(SKIP_1) | instid1(VALU_DEP_1)
	v_cndmask_b32_e64 v17, 0, v17, s0
	v_cmp_gt_i32_e64 s0, s25, v33
	v_cndmask_b32_e64 v16, 0, v16, s0
	v_cmp_gt_i32_e64 s0, s15, v32
	s_delay_alu instid0(VALU_DEP_4) | instskip(NEXT) | instid1(VALU_DEP_3)
	v_or_b32_e32 v21, v17, v18
	v_or_b32_e32 v20, v16, v19
	s_delay_alu instid0(VALU_DEP_3) | instskip(SKIP_1) | instid1(VALU_DEP_1)
	v_cndmask_b32_e64 v15, 0, v15, s0
	v_cmp_gt_i32_e64 s0, s25, v31
	v_cndmask_b32_e64 v14, 0, v14, s0
	v_cmp_gt_i32_e64 s0, s15, v30
	s_delay_alu instid0(VALU_DEP_1) | instskip(SKIP_1) | instid1(VALU_DEP_1)
	v_cndmask_b32_e64 v1, 0, v1, s0
	v_cmp_gt_i32_e64 s0, s25, v29
	v_dual_cndmask_b32 v6, 0, v6, s0 :: v_dual_bitop2_b32 v19, v1, v15 bitop3:0x54
	s_delay_alu instid0(VALU_DEP_1)
	v_or_b32_e32 v18, v6, v14
.LBB249_494:                            ;   in Loop: Header=BB249_296 Depth=1
	s_or_b32 exec_lo, exec_lo, s16
	;;#ASMSTART
	v_pk_mul_f16 v1, v41, v21;

	;;#ASMEND
	;;#ASMSTART
	v_pk_mul_f16 v6, v40, v20;

	;;#ASMEND
	;; [unrolled: 4-line block ×4, first 2 shown]
	;;#ASMSTART
	v_pk_add_f16 v1, v1, v6;

	;;#ASMEND
	;;#ASMSTART
	v_pk_add_f16 v1, v1, v14;

	;;#ASMEND
	;; [unrolled: 4-line block ×3, first 2 shown]
	v_and_b32_e32 v6, 0xffff, v1
	v_lshrrev_b32_e32 v1, 16, v1
	;;#ASMSTART
	v_cvt_f32_f16 v36, v6;
	;;#ASMEND
	;;#ASMSTART
	v_cvt_f32_f16 v37, v1;
	;;#ASMEND
	global_load_b64 v[14:15], v[12:13], off offset:768
	s_wait_xcnt 0x0
	v_dual_mov_b32 v1, 0 :: v_dual_mov_b32 v13, 0
	s_mov_b32 s16, exec_lo
	global_load_b32 v12, v1, s[10:11]
	s_wait_loadcnt 0x1
	v_and_b32_e32 v6, 0xff, v14
	s_wait_xcnt 0x0
	s_delay_alu instid0(VALU_DEP_1)
	v_cmpx_ne_u16_e32 0, v6
	s_cbranch_execz .LBB249_502
; %bb.495:                              ;   in Loop: Header=BB249_296 Depth=1
	v_mov_b32_e32 v13, 0x8000
	s_mov_b32 s17, exec_lo
	v_cmpx_ne_u16_e32 0x80, v6
	s_cbranch_execz .LBB249_501
; %bb.496:                              ;   in Loop: Header=BB249_296 Depth=1
	v_and_b32_e32 v16, 0x7f, v14
	v_mov_b32_e32 v13, 0x7c01
	s_mov_b32 s18, exec_lo
	s_delay_alu instid0(VALU_DEP_2)
	v_cmpx_ne_u32_e32 0x7f, v16
	s_cbranch_execz .LBB249_500
; %bb.497:                              ;   in Loop: Header=BB249_296 Depth=1
	v_dual_lshrrev_b32 v13, 3, v16 :: v_dual_bitop2_b32 v6, 7, v14 bitop3:0x40
	s_mov_b32 s19, exec_lo
	v_cmpx_gt_u32_e32 8, v16
; %bb.498:                              ;   in Loop: Header=BB249_296 Depth=1
	s_delay_alu instid0(VALU_DEP_2) | instskip(NEXT) | instid1(VALU_DEP_1)
	v_clz_i32_u32_e32 v6, v6
	v_min_u32_e32 v6, 32, v6
	s_delay_alu instid0(VALU_DEP_1) | instskip(NEXT) | instid1(VALU_DEP_1)
	v_subrev_nc_u32_e32 v13, 28, v6
	v_lshlrev_b64_e32 v[16:17], v13, v[14:15]
	s_delay_alu instid0(VALU_DEP_1)
	v_dual_sub_nc_u32 v13, 29, v6 :: v_dual_bitop2_b32 v6, 7, v16 bitop3:0x40
; %bb.499:                              ;   in Loop: Header=BB249_296 Depth=1
	s_or_b32 exec_lo, exec_lo, s19
	v_lshlrev_b32_e32 v16, 8, v14
	s_delay_alu instid0(VALU_DEP_2) | instskip(NEXT) | instid1(VALU_DEP_3)
	v_lshl_add_u32 v13, v13, 10, 0x2000
	v_lshlrev_b32_e32 v6, 7, v6
	s_delay_alu instid0(VALU_DEP_3) | instskip(NEXT) | instid1(VALU_DEP_3)
	v_and_b32_e32 v16, 0x8000, v16
	v_and_b32_e32 v13, 0xfc00, v13
	s_delay_alu instid0(VALU_DEP_1)
	v_or3_b32 v13, v16, v13, v6
.LBB249_500:                            ;   in Loop: Header=BB249_296 Depth=1
	s_or_b32 exec_lo, exec_lo, s18
.LBB249_501:                            ;   in Loop: Header=BB249_296 Depth=1
	s_delay_alu instid0(SALU_CYCLE_1)
	s_or_b32 exec_lo, exec_lo, s17
.LBB249_502:                            ;   in Loop: Header=BB249_296 Depth=1
	s_delay_alu instid0(SALU_CYCLE_1) | instskip(SKIP_2) | instid1(VALU_DEP_1)
	s_or_b32 exec_lo, exec_lo, s16
	v_lshrrev_b16 v6, 8, v14
	s_mov_b32 s16, exec_lo
	v_cmpx_ne_u16_e32 0, v6
	s_cbranch_execz .LBB249_510
; %bb.503:                              ;   in Loop: Header=BB249_296 Depth=1
	v_bfrev_b32_e32 v1, 1
	s_mov_b32 s17, exec_lo
	v_cmpx_ne_u16_e32 0x80, v6
	s_cbranch_execz .LBB249_509
; %bb.504:                              ;   in Loop: Header=BB249_296 Depth=1
	v_and_b32_e32 v16, 0xffff, v6
	v_mov_b32_e32 v1, 0x7c010000
	s_mov_b32 s18, exec_lo
	s_delay_alu instid0(VALU_DEP_2) | instskip(NEXT) | instid1(VALU_DEP_1)
	v_and_b32_e32 v18, 0x7f, v16
	v_cmpx_ne_u32_e32 0x7f, v18
	s_cbranch_execz .LBB249_508
; %bb.505:                              ;   in Loop: Header=BB249_296 Depth=1
	v_dual_lshrrev_b32 v17, 3, v18 :: v_dual_bitop2_b32 v1, 7, v16 bitop3:0x40
	s_mov_b32 s19, exec_lo
	v_cmpx_gt_u32_e32 8, v18
; %bb.506:                              ;   in Loop: Header=BB249_296 Depth=1
	s_delay_alu instid0(VALU_DEP_2) | instskip(NEXT) | instid1(VALU_DEP_1)
	v_clz_i32_u32_e32 v1, v1
	v_min_u32_e32 v1, 32, v1
	s_delay_alu instid0(VALU_DEP_1) | instskip(NEXT) | instid1(VALU_DEP_1)
	v_subrev_nc_u32_e32 v17, 28, v1
	v_lshlrev_b64_e32 v[18:19], v17, v[6:7]
	s_delay_alu instid0(VALU_DEP_1)
	v_dual_sub_nc_u32 v17, 29, v1 :: v_dual_bitop2_b32 v1, 7, v18 bitop3:0x40
; %bb.507:                              ;   in Loop: Header=BB249_296 Depth=1
	s_or_b32 exec_lo, exec_lo, s19
	s_delay_alu instid0(VALU_DEP_1) | instskip(NEXT) | instid1(VALU_DEP_2)
	v_dual_lshlrev_b32 v6, 8, v16 :: v_dual_lshlrev_b32 v1, 23, v1
	v_lshl_add_u32 v16, v17, 10, 0x2000
	s_delay_alu instid0(VALU_DEP_1) | instskip(NEXT) | instid1(VALU_DEP_1)
	v_and_or_b32 v6, 0x8000, v6, v16
	v_lshl_or_b32 v1, v6, 16, v1
.LBB249_508:                            ;   in Loop: Header=BB249_296 Depth=1
	s_or_b32 exec_lo, exec_lo, s18
.LBB249_509:                            ;   in Loop: Header=BB249_296 Depth=1
	s_delay_alu instid0(SALU_CYCLE_1)
	s_or_b32 exec_lo, exec_lo, s17
.LBB249_510:                            ;   in Loop: Header=BB249_296 Depth=1
	s_delay_alu instid0(SALU_CYCLE_1) | instskip(SKIP_3) | instid1(VALU_DEP_2)
	s_or_b32 exec_lo, exec_lo, s16
	v_dual_lshrrev_b32 v6, 16, v14 :: v_dual_mov_b32 v16, 0
	v_mov_b32_e32 v17, 0
	s_mov_b32 s16, exec_lo
	v_and_b32_e32 v18, 0xff, v6
	s_delay_alu instid0(VALU_DEP_1)
	v_cmpx_ne_u16_e32 0, v18
	s_cbranch_execz .LBB249_518
; %bb.511:                              ;   in Loop: Header=BB249_296 Depth=1
	v_mov_b32_e32 v17, 0x8000
	s_mov_b32 s17, exec_lo
	v_cmpx_ne_u16_e32 0x80, v18
	s_cbranch_execz .LBB249_517
; %bb.512:                              ;   in Loop: Header=BB249_296 Depth=1
	v_bfe_u32 v19, v14, 16, 7
	v_mov_b32_e32 v17, 0x7c01
	s_mov_b32 s18, exec_lo
	s_delay_alu instid0(VALU_DEP_2)
	v_cmpx_ne_u32_e32 0x7f, v19
	s_cbranch_execz .LBB249_516
; %bb.513:                              ;   in Loop: Header=BB249_296 Depth=1
	v_dual_lshrrev_b32 v18, 3, v19 :: v_dual_bitop2_b32 v17, 7, v6 bitop3:0x40
	s_mov_b32 s19, exec_lo
	v_cmpx_gt_u32_e32 8, v19
; %bb.514:                              ;   in Loop: Header=BB249_296 Depth=1
	s_delay_alu instid0(VALU_DEP_2) | instskip(NEXT) | instid1(VALU_DEP_1)
	v_clz_i32_u32_e32 v17, v17
	v_min_u32_e32 v17, 32, v17
	s_delay_alu instid0(VALU_DEP_1) | instskip(NEXT) | instid1(VALU_DEP_1)
	v_subrev_nc_u32_e32 v18, 28, v17
	v_lshlrev_b64_e32 v[20:21], v18, v[6:7]
	s_delay_alu instid0(VALU_DEP_1)
	v_dual_sub_nc_u32 v18, 29, v17 :: v_dual_bitop2_b32 v17, 7, v20 bitop3:0x40
; %bb.515:                              ;   in Loop: Header=BB249_296 Depth=1
	s_or_b32 exec_lo, exec_lo, s19
	s_delay_alu instid0(VALU_DEP_1) | instskip(NEXT) | instid1(VALU_DEP_2)
	v_dual_lshlrev_b32 v6, 8, v6 :: v_dual_lshlrev_b32 v17, 7, v17
	v_lshl_add_u32 v18, v18, 10, 0x2000
	s_delay_alu instid0(VALU_DEP_2) | instskip(NEXT) | instid1(VALU_DEP_2)
	v_and_b32_e32 v6, 0x8000, v6
	v_and_b32_e32 v18, 0xfc00, v18
	s_delay_alu instid0(VALU_DEP_1)
	v_or3_b32 v17, v6, v18, v17
.LBB249_516:                            ;   in Loop: Header=BB249_296 Depth=1
	s_or_b32 exec_lo, exec_lo, s18
.LBB249_517:                            ;   in Loop: Header=BB249_296 Depth=1
	s_delay_alu instid0(SALU_CYCLE_1)
	s_or_b32 exec_lo, exec_lo, s17
.LBB249_518:                            ;   in Loop: Header=BB249_296 Depth=1
	s_delay_alu instid0(SALU_CYCLE_1) | instskip(NEXT) | instid1(SALU_CYCLE_1)
	s_or_b32 exec_lo, exec_lo, s16
	s_mov_b32 s16, exec_lo
	v_cmpx_lt_u32_e32 0xffffff, v14
	s_cbranch_execz .LBB249_526
; %bb.519:                              ;   in Loop: Header=BB249_296 Depth=1
	v_lshrrev_b32_e32 v6, 24, v14
	v_bfrev_b32_e32 v16, 1
	s_mov_b32 s17, exec_lo
	s_delay_alu instid0(VALU_DEP_2)
	v_cmpx_ne_u32_e32 0x80, v6
	s_cbranch_execz .LBB249_525
; %bb.520:                              ;   in Loop: Header=BB249_296 Depth=1
	v_and_b32_e32 v19, 0x7f, v6
	v_mov_b32_e32 v16, 0x7c010000
	s_mov_b32 s18, exec_lo
	s_delay_alu instid0(VALU_DEP_2)
	v_cmpx_ne_u32_e32 0x7f, v19
	s_cbranch_execz .LBB249_524
; %bb.521:                              ;   in Loop: Header=BB249_296 Depth=1
	v_dual_lshrrev_b32 v18, 3, v19 :: v_dual_bitop2_b32 v16, 7, v6 bitop3:0x40
	s_mov_b32 s19, exec_lo
	v_cmpx_gt_u32_e32 8, v19
; %bb.522:                              ;   in Loop: Header=BB249_296 Depth=1
	s_delay_alu instid0(VALU_DEP_2) | instskip(NEXT) | instid1(VALU_DEP_1)
	v_clz_i32_u32_e32 v16, v16
	v_min_u32_e32 v16, 32, v16
	s_delay_alu instid0(VALU_DEP_1) | instskip(NEXT) | instid1(VALU_DEP_1)
	v_subrev_nc_u32_e32 v18, 28, v16
	v_lshlrev_b64_e32 v[20:21], v18, v[6:7]
	v_sub_nc_u32_e32 v18, 29, v16
	s_delay_alu instid0(VALU_DEP_2)
	v_and_b32_e32 v16, 7, v20
; %bb.523:                              ;   in Loop: Header=BB249_296 Depth=1
	s_or_b32 exec_lo, exec_lo, s19
	s_delay_alu instid0(VALU_DEP_1) | instskip(NEXT) | instid1(VALU_DEP_3)
	v_dual_lshlrev_b32 v6, 8, v6 :: v_dual_lshlrev_b32 v16, 23, v16
	v_lshl_add_u32 v18, v18, 10, 0x2000
	s_delay_alu instid0(VALU_DEP_1) | instskip(NEXT) | instid1(VALU_DEP_1)
	v_and_or_b32 v6, 0x8000, v6, v18
	v_lshl_or_b32 v16, v6, 16, v16
.LBB249_524:                            ;   in Loop: Header=BB249_296 Depth=1
	s_or_b32 exec_lo, exec_lo, s18
.LBB249_525:                            ;   in Loop: Header=BB249_296 Depth=1
	s_delay_alu instid0(SALU_CYCLE_1)
	s_or_b32 exec_lo, exec_lo, s17
.LBB249_526:                            ;   in Loop: Header=BB249_296 Depth=1
	s_delay_alu instid0(SALU_CYCLE_1) | instskip(SKIP_4) | instid1(VALU_DEP_3)
	s_or_b32 exec_lo, exec_lo, s16
	v_and_b32_e32 v20, 0xff, v15
	v_dual_mov_b32 v6, v15 :: v_dual_mov_b32 v19, 0
	v_mov_b32_e32 v18, 0
	s_mov_b32 s16, exec_lo
	v_cmpx_ne_u16_e32 0, v20
	s_cbranch_execz .LBB249_534
; %bb.527:                              ;   in Loop: Header=BB249_296 Depth=1
	v_mov_b32_e32 v18, 0x8000
	s_mov_b32 s17, exec_lo
	v_cmpx_ne_u16_e32 0x80, v20
	s_cbranch_execz .LBB249_533
; %bb.528:                              ;   in Loop: Header=BB249_296 Depth=1
	v_and_b32_e32 v21, 0x7f, v15
	v_mov_b32_e32 v18, 0x7c01
	s_mov_b32 s18, exec_lo
	s_delay_alu instid0(VALU_DEP_2)
	v_cmpx_ne_u32_e32 0x7f, v21
	s_cbranch_execz .LBB249_532
; %bb.529:                              ;   in Loop: Header=BB249_296 Depth=1
	v_dual_lshrrev_b32 v20, 3, v21 :: v_dual_bitop2_b32 v18, 7, v15 bitop3:0x40
	s_mov_b32 s19, exec_lo
	v_cmpx_gt_u32_e32 8, v21
; %bb.530:                              ;   in Loop: Header=BB249_296 Depth=1
	s_delay_alu instid0(VALU_DEP_2) | instskip(NEXT) | instid1(VALU_DEP_1)
	v_clz_i32_u32_e32 v18, v18
	v_min_u32_e32 v18, 32, v18
	s_delay_alu instid0(VALU_DEP_1) | instskip(NEXT) | instid1(VALU_DEP_1)
	v_subrev_nc_u32_e32 v20, 28, v18
	v_lshlrev_b64_e32 v[22:23], v20, v[6:7]
	v_sub_nc_u32_e32 v20, 29, v18
	s_delay_alu instid0(VALU_DEP_2)
	v_and_b32_e32 v18, 7, v22
; %bb.531:                              ;   in Loop: Header=BB249_296 Depth=1
	s_or_b32 exec_lo, exec_lo, s19
	s_delay_alu instid0(VALU_DEP_1) | instskip(NEXT) | instid1(VALU_DEP_3)
	v_dual_lshlrev_b32 v21, 8, v15 :: v_dual_lshlrev_b32 v18, 7, v18
	v_lshl_add_u32 v20, v20, 10, 0x2000
	s_delay_alu instid0(VALU_DEP_2) | instskip(NEXT) | instid1(VALU_DEP_2)
	v_and_b32_e32 v21, 0x8000, v21
	v_and_b32_e32 v20, 0xfc00, v20
	s_delay_alu instid0(VALU_DEP_1)
	v_or3_b32 v18, v21, v20, v18
.LBB249_532:                            ;   in Loop: Header=BB249_296 Depth=1
	s_or_b32 exec_lo, exec_lo, s18
.LBB249_533:                            ;   in Loop: Header=BB249_296 Depth=1
	s_delay_alu instid0(SALU_CYCLE_1)
	s_or_b32 exec_lo, exec_lo, s17
.LBB249_534:                            ;   in Loop: Header=BB249_296 Depth=1
	s_delay_alu instid0(SALU_CYCLE_1) | instskip(SKIP_3) | instid1(VALU_DEP_2)
	s_or_b32 exec_lo, exec_lo, s16
	v_lshrrev_b16 v6, 8, v6
	v_mov_b32_e32 v20, 0
	s_mov_b32 s16, exec_lo
	v_cmpx_ne_u16_e32 0, v6
	s_cbranch_execz .LBB249_542
; %bb.535:                              ;   in Loop: Header=BB249_296 Depth=1
	v_bfrev_b32_e32 v20, 1
	s_mov_b32 s17, exec_lo
	v_cmpx_ne_u16_e32 0x80, v6
	s_cbranch_execz .LBB249_541
; %bb.536:                              ;   in Loop: Header=BB249_296 Depth=1
	v_and_b32_e32 v21, 0xffff, v6
	v_mov_b32_e32 v20, 0x7c010000
	s_mov_b32 s18, exec_lo
	s_delay_alu instid0(VALU_DEP_2) | instskip(NEXT) | instid1(VALU_DEP_1)
	v_and_b32_e32 v23, 0x7f, v21
	v_cmpx_ne_u32_e32 0x7f, v23
	s_cbranch_execz .LBB249_540
; %bb.537:                              ;   in Loop: Header=BB249_296 Depth=1
	v_dual_lshrrev_b32 v22, 3, v23 :: v_dual_bitop2_b32 v20, 7, v21 bitop3:0x40
	s_mov_b32 s19, exec_lo
	v_cmpx_gt_u32_e32 8, v23
; %bb.538:                              ;   in Loop: Header=BB249_296 Depth=1
	s_delay_alu instid0(VALU_DEP_2) | instskip(NEXT) | instid1(VALU_DEP_1)
	v_clz_i32_u32_e32 v20, v20
	v_min_u32_e32 v20, 32, v20
	s_delay_alu instid0(VALU_DEP_1) | instskip(NEXT) | instid1(VALU_DEP_1)
	v_subrev_nc_u32_e32 v22, 28, v20
	v_lshlrev_b64_e32 v[46:47], v22, v[6:7]
	s_delay_alu instid0(VALU_DEP_1)
	v_dual_sub_nc_u32 v22, 29, v20 :: v_dual_bitop2_b32 v20, 7, v46 bitop3:0x40
; %bb.539:                              ;   in Loop: Header=BB249_296 Depth=1
	s_or_b32 exec_lo, exec_lo, s19
	s_delay_alu instid0(VALU_DEP_1) | instskip(NEXT) | instid1(VALU_DEP_2)
	v_dual_lshlrev_b32 v6, 8, v21 :: v_dual_lshlrev_b32 v20, 23, v20
	v_lshl_add_u32 v21, v22, 10, 0x2000
	s_delay_alu instid0(VALU_DEP_1) | instskip(NEXT) | instid1(VALU_DEP_1)
	v_and_or_b32 v6, 0x8000, v6, v21
	v_lshl_or_b32 v20, v6, 16, v20
.LBB249_540:                            ;   in Loop: Header=BB249_296 Depth=1
	s_or_b32 exec_lo, exec_lo, s18
.LBB249_541:                            ;   in Loop: Header=BB249_296 Depth=1
	s_delay_alu instid0(SALU_CYCLE_1)
	s_or_b32 exec_lo, exec_lo, s17
.LBB249_542:                            ;   in Loop: Header=BB249_296 Depth=1
	s_delay_alu instid0(SALU_CYCLE_1) | instskip(SKIP_2) | instid1(VALU_DEP_1)
	s_or_b32 exec_lo, exec_lo, s16
	v_lshrrev_b32_e32 v6, 16, v15
	s_mov_b32 s16, exec_lo
	v_and_b32_e32 v21, 0xff, v6
	s_delay_alu instid0(VALU_DEP_1)
	v_cmpx_ne_u16_e32 0, v21
	s_cbranch_execz .LBB249_550
; %bb.543:                              ;   in Loop: Header=BB249_296 Depth=1
	v_mov_b32_e32 v19, 0x8000
	s_mov_b32 s17, exec_lo
	v_cmpx_ne_u16_e32 0x80, v21
	s_cbranch_execz .LBB249_549
; %bb.544:                              ;   in Loop: Header=BB249_296 Depth=1
	v_bfe_u32 v22, v15, 16, 7
	v_mov_b32_e32 v19, 0x7c01
	s_mov_b32 s18, exec_lo
	s_delay_alu instid0(VALU_DEP_2)
	v_cmpx_ne_u32_e32 0x7f, v22
	s_cbranch_execz .LBB249_548
; %bb.545:                              ;   in Loop: Header=BB249_296 Depth=1
	v_and_b32_e32 v19, 7, v6
	v_lshrrev_b32_e32 v21, 3, v22
	s_mov_b32 s19, exec_lo
	v_cmpx_gt_u32_e32 8, v22
; %bb.546:                              ;   in Loop: Header=BB249_296 Depth=1
	s_delay_alu instid0(VALU_DEP_3) | instskip(NEXT) | instid1(VALU_DEP_1)
	v_clz_i32_u32_e32 v19, v19
	v_min_u32_e32 v19, 32, v19
	s_delay_alu instid0(VALU_DEP_1) | instskip(NEXT) | instid1(VALU_DEP_1)
	v_subrev_nc_u32_e32 v21, 28, v19
	v_lshlrev_b64_e32 v[22:23], v21, v[6:7]
	s_delay_alu instid0(VALU_DEP_1)
	v_dual_sub_nc_u32 v21, 29, v19 :: v_dual_bitop2_b32 v19, 7, v22 bitop3:0x40
; %bb.547:                              ;   in Loop: Header=BB249_296 Depth=1
	s_or_b32 exec_lo, exec_lo, s19
	s_delay_alu instid0(VALU_DEP_1) | instskip(NEXT) | instid1(VALU_DEP_2)
	v_dual_lshlrev_b32 v6, 8, v6 :: v_dual_lshlrev_b32 v19, 7, v19
	v_lshl_add_u32 v21, v21, 10, 0x2000
	s_delay_alu instid0(VALU_DEP_2) | instskip(NEXT) | instid1(VALU_DEP_2)
	v_and_b32_e32 v6, 0x8000, v6
	v_and_b32_e32 v21, 0xfc00, v21
	s_delay_alu instid0(VALU_DEP_1)
	v_or3_b32 v19, v6, v21, v19
.LBB249_548:                            ;   in Loop: Header=BB249_296 Depth=1
	s_or_b32 exec_lo, exec_lo, s18
.LBB249_549:                            ;   in Loop: Header=BB249_296 Depth=1
	s_delay_alu instid0(SALU_CYCLE_1)
	s_or_b32 exec_lo, exec_lo, s17
.LBB249_550:                            ;   in Loop: Header=BB249_296 Depth=1
	s_delay_alu instid0(SALU_CYCLE_1)
	s_or_b32 exec_lo, exec_lo, s16
	v_cmp_lt_u64_e64 s0, s[4:5], v[14:15]
	v_mov_b32_e32 v14, 0
	s_and_saveexec_b32 s16, s0
	s_cbranch_execz .LBB249_558
; %bb.551:                              ;   in Loop: Header=BB249_296 Depth=1
	v_lshrrev_b32_e32 v6, 24, v15
	v_bfrev_b32_e32 v14, 1
	s_mov_b32 s17, exec_lo
	s_delay_alu instid0(VALU_DEP_2)
	v_cmpx_ne_u32_e32 0x80, v6
	s_cbranch_execz .LBB249_557
; %bb.552:                              ;   in Loop: Header=BB249_296 Depth=1
	v_and_b32_e32 v21, 0x7f, v6
	v_mov_b32_e32 v14, 0x7c010000
	s_mov_b32 s18, exec_lo
	s_delay_alu instid0(VALU_DEP_2)
	v_cmpx_ne_u32_e32 0x7f, v21
	s_cbranch_execz .LBB249_556
; %bb.553:                              ;   in Loop: Header=BB249_296 Depth=1
	v_dual_lshrrev_b32 v15, 3, v21 :: v_dual_bitop2_b32 v14, 7, v6 bitop3:0x40
	s_mov_b32 s19, exec_lo
	v_cmpx_gt_u32_e32 8, v21
; %bb.554:                              ;   in Loop: Header=BB249_296 Depth=1
	s_delay_alu instid0(VALU_DEP_2) | instskip(NEXT) | instid1(VALU_DEP_1)
	v_clz_i32_u32_e32 v14, v14
	v_min_u32_e32 v21, 32, v14
	s_delay_alu instid0(VALU_DEP_1) | instskip(NEXT) | instid1(VALU_DEP_1)
	v_subrev_nc_u32_e32 v14, 28, v21
	v_lshlrev_b64_e32 v[14:15], v14, v[6:7]
	s_delay_alu instid0(VALU_DEP_1)
	v_dual_sub_nc_u32 v15, 29, v21 :: v_dual_bitop2_b32 v14, 7, v14 bitop3:0x40
; %bb.555:                              ;   in Loop: Header=BB249_296 Depth=1
	s_or_b32 exec_lo, exec_lo, s19
	v_lshlrev_b32_e32 v6, 8, v6
	s_delay_alu instid0(VALU_DEP_2) | instskip(NEXT) | instid1(VALU_DEP_3)
	v_lshl_add_u32 v15, v15, 10, 0x2000
	v_lshlrev_b32_e32 v14, 23, v14
	s_delay_alu instid0(VALU_DEP_2) | instskip(NEXT) | instid1(VALU_DEP_1)
	v_and_or_b32 v6, 0x8000, v6, v15
	v_lshl_or_b32 v14, v6, 16, v14
.LBB249_556:                            ;   in Loop: Header=BB249_296 Depth=1
	s_or_b32 exec_lo, exec_lo, s18
.LBB249_557:                            ;   in Loop: Header=BB249_296 Depth=1
	s_delay_alu instid0(SALU_CYCLE_1)
	s_or_b32 exec_lo, exec_lo, s17
.LBB249_558:                            ;   in Loop: Header=BB249_296 Depth=1
	s_delay_alu instid0(SALU_CYCLE_1) | instskip(SKIP_3) | instid1(VALU_DEP_3)
	s_or_b32 exec_lo, exec_lo, s16
	v_dual_lshrrev_b32 v6, 16, v1 :: v_dual_lshrrev_b32 v15, 16, v16
	v_or_b32_e32 v1, v1, v13
	v_dual_lshrrev_b32 v21, 16, v14 :: v_dual_bitop2_b32 v13, v16, v17 bitop3:0x54
	v_cvt_f32_f16_e32 v17, v6
	s_delay_alu instid0(VALU_DEP_4) | instskip(SKIP_1) | instid1(VALU_DEP_4)
	v_cvt_f32_f16_e32 v16, v15
	v_dual_lshrrev_b32 v19, 16, v20 :: v_dual_bitop2_b32 v6, v14, v19 bitop3:0x54
	v_cvt_f32_f16_e32 v14, v13
	v_cvt_f32_f16_e32 v15, v1
	s_wait_loadcnt 0x0
	v_pk_mul_f32 v[16:17], v[12:13], v[16:17] op_sel_hi:[0,1]
	v_or_b32_e32 v13, v20, v18
	v_cvt_f32_f16_e32 v19, v19
	v_cvt_f32_f16_e32 v18, v21
	s_delay_alu instid0(VALU_DEP_4) | instskip(NEXT) | instid1(VALU_DEP_4)
	v_cvt_pk_f16_f32 v1, v16, v17
	v_cvt_f32_f16_e32 v21, v13
	v_pk_mul_f32 v[14:15], v[12:13], v[14:15] op_sel_hi:[0,1]
	s_delay_alu instid0(VALU_DEP_4) | instskip(NEXT) | instid1(VALU_DEP_4)
	v_pk_mul_f32 v[16:17], v[12:13], v[18:19] op_sel_hi:[0,1]
	v_lshlrev_b32_e32 v18, 16, v1
	v_cvt_f32_f16_e32 v20, v6
	s_delay_alu instid0(VALU_DEP_4) | instskip(NEXT) | instid1(VALU_DEP_4)
	v_cvt_pk_f16_f32 v6, v14, v15
	v_cvt_pk_f16_f32 v14, v16, v17
	v_and_b32_e32 v19, 0xffff0000, v1
	s_delay_alu instid0(VALU_DEP_4) | instskip(NEXT) | instid1(VALU_DEP_4)
	v_pk_mul_f32 v[12:13], v[12:13], v[20:21] op_sel_hi:[0,1]
	v_and_b32_e32 v20, 0xffff, v6
	v_lshrrev_b32_e32 v21, 16, v6
	v_and_b32_e32 v1, 0xffff0000, v14
	v_lshlrev_b32_e32 v6, 16, v14
	v_cvt_pk_f16_f32 v12, v12, v13
	v_or_b32_e32 v14, v18, v20
	s_delay_alu instid0(VALU_DEP_2) | instskip(SKIP_1) | instid1(VALU_DEP_2)
	v_dual_lshrrev_b32 v17, 16, v12 :: v_dual_bitop2_b32 v15, v19, v21 bitop3:0x54
	v_and_b32_e32 v16, 0xffff, v12
	v_or_b32_e32 v13, v1, v17
	s_delay_alu instid0(VALU_DEP_2)
	v_or_b32_e32 v12, v6, v16
	s_and_saveexec_b32 s0, vcc_lo
	s_cbranch_execz .LBB249_295
; %bb.559:                              ;   in Loop: Header=BB249_296 Depth=1
	v_cmp_gt_i32_e32 vcc_lo, s15, v26
	v_cndmask_b32_e32 v12, 0, v21, vcc_lo
	v_cmp_gt_i32_e32 vcc_lo, s25, v35
	v_cndmask_b32_e32 v13, 0, v20, vcc_lo
	;; [unrolled: 2-line block ×4, first 2 shown]
	v_cmp_gt_i32_e32 vcc_lo, s15, v32
	s_delay_alu instid0(VALU_DEP_4) | instskip(NEXT) | instid1(VALU_DEP_3)
	v_or_b32_e32 v15, v14, v12
	v_or_b32_e32 v14, v18, v13
	v_cndmask_b32_e32 v17, 0, v17, vcc_lo
	v_cmp_gt_i32_e32 vcc_lo, s25, v31
	v_cndmask_b32_e32 v16, 0, v16, vcc_lo
	v_cmp_gt_i32_e32 vcc_lo, s15, v30
	;; [unrolled: 2-line block ×3, first 2 shown]
	s_delay_alu instid0(VALU_DEP_2) | instskip(NEXT) | instid1(VALU_DEP_1)
	v_dual_cndmask_b32 v6, 0, v6, vcc_lo :: v_dual_bitop2_b32 v13, v1, v17 bitop3:0x54
	v_or_b32_e32 v12, v6, v16
	s_branch .LBB249_295
.LBB249_560:
	s_or_b32 exec_lo, exec_lo, s14
.LBB249_561:
	s_delay_alu instid0(SALU_CYCLE_1) | instskip(SKIP_4) | instid1(VALU_DEP_2)
	s_or_b32 exec_lo, exec_lo, s1
	v_lshl_add_u32 v6, v25, 2, 0x120
	v_and_b32_e32 v7, 0x3c0, v0
	s_mov_b32 s0, exec_lo
	s_barrier_signal -1
	v_lshl_add_u32 v1, v24, 9, v6
	s_barrier_wait -1
	v_cmpx_eq_u32_e32 64, v7
	s_cbranch_execz .LBB249_563
; %bb.562:
	s_delay_alu instid0(VALU_DEP_2)
	v_add_nc_u32_e32 v7, 0xfffffc00, v1
	v_add_nc_u32_e32 v8, 0xfffffc80, v1
	;; [unrolled: 1-line block ×4, first 2 shown]
	ds_store_b32 v7, v4
	ds_store_b32 v8, v5
	;; [unrolled: 1-line block ×4, first 2 shown]
.LBB249_563:
	s_or_b32 exec_lo, exec_lo, s0
	s_wait_dscnt 0x0
	s_barrier_signal -1
	s_barrier_wait -1
	s_and_saveexec_b32 s0, s2
	s_cbranch_execz .LBB249_565
; %bb.564:
	ds_load_2addr_b32 v[8:9], v1 offset1:32
	ds_load_2addr_b32 v[10:11], v1 offset0:64 offset1:96
	s_wait_dscnt 0x1
	v_pk_add_f32 v[4:5], v[4:5], v[8:9]
	s_wait_dscnt 0x0
	v_pk_add_f32 v[2:3], v[2:3], v[10:11]
.LBB249_565:
	s_or_b32 exec_lo, exec_lo, s0
	v_and_b32_e32 v7, 0x3e0, v0
	s_mov_b32 s0, exec_lo
	s_barrier_signal -1
	s_barrier_wait -1
	s_delay_alu instid0(VALU_DEP_1)
	v_cmpx_eq_u32_e32 32, v7
	s_cbranch_execz .LBB249_567
; %bb.566:
	ds_store_2addr_b32 v6, v4, v5 offset1:32
	ds_store_2addr_b32 v6, v2, v3 offset0:64 offset1:96
.LBB249_567:
	s_or_b32 exec_lo, exec_lo, s0
	v_cmp_gt_u32_e32 vcc_lo, 32, v0
	s_wait_dscnt 0x0
	s_barrier_signal -1
	s_barrier_wait -1
	s_and_saveexec_b32 s0, vcc_lo
	s_cbranch_execz .LBB249_569
; %bb.568:
	ds_load_2addr_b32 v[6:7], v1 offset1:32
	ds_load_2addr_b32 v[8:9], v1 offset0:64 offset1:96
	s_wait_dscnt 0x1
	v_pk_add_f32 v[4:5], v[4:5], v[6:7]
	s_wait_dscnt 0x0
	v_pk_add_f32 v[2:3], v[2:3], v[8:9]
.LBB249_569:
	s_or_b32 exec_lo, exec_lo, s0
	s_barrier_signal -1
	s_barrier_wait -1
	s_and_saveexec_b32 s0, vcc_lo
	s_cbranch_execz .LBB249_571
; %bb.570:
	s_mul_i32 s1, s24, s7
	s_bfe_u32 s5, ttmp6, 0x40014
	s_mul_i32 s1, s1, s23
	s_mul_i32 s0, s7, s6
	s_lshl_b32 s2, s1, 7
	s_lshr_b32 s4, ttmp7, 16
	s_add_co_i32 s5, s5, 1
	s_ashr_i32 s3, s2, 31
	s_ashr_i32 s1, s0, 31
	s_mul_i32 s5, s4, s5
	s_bfe_u32 s6, ttmp6, 0x40008
	s_lshl_b64 s[2:3], s[2:3], 1
	s_lshl_b64 s[0:1], s[0:1], 1
	s_add_co_i32 s6, s6, s5
	s_wait_kmcnt 0x0
	s_add_nc_u64 s[2:3], s[8:9], s[2:3]
	s_cmp_eq_u32 s22, 0
	s_add_nc_u64 s[0:1], s[2:3], s[0:1]
	s_cselect_b32 s2, s4, s6
	s_mov_b32 s3, 0
	s_lshl_b32 s2, s2, 8
	;;#ASMSTART
	v_cvt_f16_f32 v1, v4;

	;;#ASMEND
	s_add_nc_u64 s[0:1], s[0:1], s[2:3]
	global_store_b16 v0, v1, s[0:1] scale_offset
	s_wait_xcnt 0x0
	;;#ASMSTART
	v_cvt_f16_f32 v1, v5;

	;;#ASMEND
	global_store_b16 v0, v1, s[0:1] offset:64 scale_offset
	s_wait_xcnt 0x0
	;;#ASMSTART
	v_cvt_f16_f32 v1, v2;

	;;#ASMEND
	global_store_b16 v0, v1, s[0:1] offset:128 scale_offset
	;; [unrolled: 6-line block ×3, first 2 shown]
.LBB249_571:
	s_sendmsg sendmsg(MSG_DEALLOC_VGPRS)
	s_endpgm
	.section	.rodata,"a",@progbits
	.p2align	6, 0x0
	.amdhsa_kernel _ZN4vllm25paged_attention_v1_kernelIthLi128ELi8ELi128ELNS_18Fp8KVCacheDataTypeE1ELb0EEEvPT_PKS2_PKT0_S8_ifPKiSA_iPKfiiiSC_SC_iiiii
		.amdhsa_group_segment_fixed_size 288
		.amdhsa_private_segment_fixed_size 0
		.amdhsa_kernarg_size 384
		.amdhsa_user_sgpr_count 2
		.amdhsa_user_sgpr_dispatch_ptr 0
		.amdhsa_user_sgpr_queue_ptr 0
		.amdhsa_user_sgpr_kernarg_segment_ptr 1
		.amdhsa_user_sgpr_dispatch_id 0
		.amdhsa_user_sgpr_kernarg_preload_length 0
		.amdhsa_user_sgpr_kernarg_preload_offset 0
		.amdhsa_user_sgpr_private_segment_size 0
		.amdhsa_wavefront_size32 1
		.amdhsa_uses_dynamic_stack 0
		.amdhsa_enable_private_segment 0
		.amdhsa_system_sgpr_workgroup_id_x 1
		.amdhsa_system_sgpr_workgroup_id_y 1
		.amdhsa_system_sgpr_workgroup_id_z 1
		.amdhsa_system_sgpr_workgroup_info 0
		.amdhsa_system_vgpr_workitem_id 0
		.amdhsa_next_free_vgpr 75
		.amdhsa_next_free_sgpr 34
		.amdhsa_named_barrier_count 0
		.amdhsa_reserve_vcc 1
		.amdhsa_float_round_mode_32 0
		.amdhsa_float_round_mode_16_64 0
		.amdhsa_float_denorm_mode_32 3
		.amdhsa_float_denorm_mode_16_64 3
		.amdhsa_fp16_overflow 0
		.amdhsa_memory_ordered 1
		.amdhsa_forward_progress 1
		.amdhsa_inst_pref_size 170
		.amdhsa_round_robin_scheduling 0
		.amdhsa_exception_fp_ieee_invalid_op 0
		.amdhsa_exception_fp_denorm_src 0
		.amdhsa_exception_fp_ieee_div_zero 0
		.amdhsa_exception_fp_ieee_overflow 0
		.amdhsa_exception_fp_ieee_underflow 0
		.amdhsa_exception_fp_ieee_inexact 0
		.amdhsa_exception_int_div_zero 0
	.end_amdhsa_kernel
	.section	.text._ZN4vllm25paged_attention_v1_kernelIthLi128ELi8ELi128ELNS_18Fp8KVCacheDataTypeE1ELb0EEEvPT_PKS2_PKT0_S8_ifPKiSA_iPKfiiiSC_SC_iiiii,"axG",@progbits,_ZN4vllm25paged_attention_v1_kernelIthLi128ELi8ELi128ELNS_18Fp8KVCacheDataTypeE1ELb0EEEvPT_PKS2_PKT0_S8_ifPKiSA_iPKfiiiSC_SC_iiiii,comdat
.Lfunc_end249:
	.size	_ZN4vllm25paged_attention_v1_kernelIthLi128ELi8ELi128ELNS_18Fp8KVCacheDataTypeE1ELb0EEEvPT_PKS2_PKT0_S8_ifPKiSA_iPKfiiiSC_SC_iiiii, .Lfunc_end249-_ZN4vllm25paged_attention_v1_kernelIthLi128ELi8ELi128ELNS_18Fp8KVCacheDataTypeE1ELb0EEEvPT_PKS2_PKT0_S8_ifPKiSA_iPKfiiiSC_SC_iiiii
                                        ; -- End function
	.set _ZN4vllm25paged_attention_v1_kernelIthLi128ELi8ELi128ELNS_18Fp8KVCacheDataTypeE1ELb0EEEvPT_PKS2_PKT0_S8_ifPKiSA_iPKfiiiSC_SC_iiiii.num_vgpr, 75
	.set _ZN4vllm25paged_attention_v1_kernelIthLi128ELi8ELi128ELNS_18Fp8KVCacheDataTypeE1ELb0EEEvPT_PKS2_PKT0_S8_ifPKiSA_iPKfiiiSC_SC_iiiii.num_agpr, 0
	.set _ZN4vllm25paged_attention_v1_kernelIthLi128ELi8ELi128ELNS_18Fp8KVCacheDataTypeE1ELb0EEEvPT_PKS2_PKT0_S8_ifPKiSA_iPKfiiiSC_SC_iiiii.numbered_sgpr, 34
	.set _ZN4vllm25paged_attention_v1_kernelIthLi128ELi8ELi128ELNS_18Fp8KVCacheDataTypeE1ELb0EEEvPT_PKS2_PKT0_S8_ifPKiSA_iPKfiiiSC_SC_iiiii.num_named_barrier, 0
	.set _ZN4vllm25paged_attention_v1_kernelIthLi128ELi8ELi128ELNS_18Fp8KVCacheDataTypeE1ELb0EEEvPT_PKS2_PKT0_S8_ifPKiSA_iPKfiiiSC_SC_iiiii.private_seg_size, 0
	.set _ZN4vllm25paged_attention_v1_kernelIthLi128ELi8ELi128ELNS_18Fp8KVCacheDataTypeE1ELb0EEEvPT_PKS2_PKT0_S8_ifPKiSA_iPKfiiiSC_SC_iiiii.uses_vcc, 1
	.set _ZN4vllm25paged_attention_v1_kernelIthLi128ELi8ELi128ELNS_18Fp8KVCacheDataTypeE1ELb0EEEvPT_PKS2_PKT0_S8_ifPKiSA_iPKfiiiSC_SC_iiiii.uses_flat_scratch, 0
	.set _ZN4vllm25paged_attention_v1_kernelIthLi128ELi8ELi128ELNS_18Fp8KVCacheDataTypeE1ELb0EEEvPT_PKS2_PKT0_S8_ifPKiSA_iPKfiiiSC_SC_iiiii.has_dyn_sized_stack, 0
	.set _ZN4vllm25paged_attention_v1_kernelIthLi128ELi8ELi128ELNS_18Fp8KVCacheDataTypeE1ELb0EEEvPT_PKS2_PKT0_S8_ifPKiSA_iPKfiiiSC_SC_iiiii.has_recursion, 0
	.set _ZN4vllm25paged_attention_v1_kernelIthLi128ELi8ELi128ELNS_18Fp8KVCacheDataTypeE1ELb0EEEvPT_PKS2_PKT0_S8_ifPKiSA_iPKfiiiSC_SC_iiiii.has_indirect_call, 0
	.section	.AMDGPU.csdata,"",@progbits
; Kernel info:
; codeLenInByte = 21680
; TotalNumSgprs: 36
; NumVgprs: 75
; ScratchSize: 0
; MemoryBound: 0
; FloatMode: 240
; IeeeMode: 1
; LDSByteSize: 288 bytes/workgroup (compile time only)
; SGPRBlocks: 0
; VGPRBlocks: 4
; NumSGPRsForWavesPerEU: 36
; NumVGPRsForWavesPerEU: 75
; NamedBarCnt: 0
; Occupancy: 12
; WaveLimiterHint : 1
; COMPUTE_PGM_RSRC2:SCRATCH_EN: 0
; COMPUTE_PGM_RSRC2:USER_SGPR: 2
; COMPUTE_PGM_RSRC2:TRAP_HANDLER: 0
; COMPUTE_PGM_RSRC2:TGID_X_EN: 1
; COMPUTE_PGM_RSRC2:TGID_Y_EN: 1
; COMPUTE_PGM_RSRC2:TGID_Z_EN: 1
; COMPUTE_PGM_RSRC2:TIDIG_COMP_CNT: 0
	.section	.text._ZN4vllm25paged_attention_v1_kernelIthLi192ELi8ELi128ELNS_18Fp8KVCacheDataTypeE1ELb0EEEvPT_PKS2_PKT0_S8_ifPKiSA_iPKfiiiSC_SC_iiiii,"axG",@progbits,_ZN4vllm25paged_attention_v1_kernelIthLi192ELi8ELi128ELNS_18Fp8KVCacheDataTypeE1ELb0EEEvPT_PKS2_PKT0_S8_ifPKiSA_iPKfiiiSC_SC_iiiii,comdat
	.protected	_ZN4vllm25paged_attention_v1_kernelIthLi192ELi8ELi128ELNS_18Fp8KVCacheDataTypeE1ELb0EEEvPT_PKS2_PKT0_S8_ifPKiSA_iPKfiiiSC_SC_iiiii ; -- Begin function _ZN4vllm25paged_attention_v1_kernelIthLi192ELi8ELi128ELNS_18Fp8KVCacheDataTypeE1ELb0EEEvPT_PKS2_PKT0_S8_ifPKiSA_iPKfiiiSC_SC_iiiii
	.globl	_ZN4vllm25paged_attention_v1_kernelIthLi192ELi8ELi128ELNS_18Fp8KVCacheDataTypeE1ELb0EEEvPT_PKS2_PKT0_S8_ifPKiSA_iPKfiiiSC_SC_iiiii
	.p2align	8
	.type	_ZN4vllm25paged_attention_v1_kernelIthLi192ELi8ELi128ELNS_18Fp8KVCacheDataTypeE1ELb0EEEvPT_PKS2_PKT0_S8_ifPKiSA_iPKfiiiSC_SC_iiiii,@function
_ZN4vllm25paged_attention_v1_kernelIthLi192ELi8ELi128ELNS_18Fp8KVCacheDataTypeE1ELb0EEEvPT_PKS2_PKT0_S8_ifPKiSA_iPKfiiiSC_SC_iiiii: ; @_ZN4vllm25paged_attention_v1_kernelIthLi192ELi8ELi128ELNS_18Fp8KVCacheDataTypeE1ELb0EEEvPT_PKS2_PKT0_S8_ifPKiSA_iPKfiiiSC_SC_iiiii
; %bb.0:
	s_load_b64 s[6:7], s[0:1], 0x20
	s_bfe_u32 s3, ttmp6, 0x4000c
	s_bfe_u32 s5, ttmp6, 0x40010
	s_and_b32 s4, ttmp7, 0xffff
	s_add_co_i32 s3, s3, 1
	s_add_co_i32 s5, s5, 1
	s_and_b32 s2, ttmp6, 15
	s_bfe_u32 s8, ttmp6, 0x40004
	s_mul_i32 s3, ttmp9, s3
	s_mul_i32 s5, s4, s5
	s_getreg_b32 s20, hwreg(HW_REG_IB_STS2, 6, 4)
	s_add_co_i32 s2, s2, s3
	s_add_co_i32 s8, s8, s5
	s_cmp_eq_u32 s20, 0
	s_clause 0x1
	s_load_b32 s21, s[0:1], 0x80
	s_load_b64 s[10:11], s[0:1], 0x30
	s_cselect_b32 s22, s4, s8
	s_cselect_b32 s2, ttmp9, s2
	s_wait_kmcnt 0x0
	s_abs_i32 s3, s6
	s_delay_alu instid0(SALU_CYCLE_1) | instskip(SKIP_1) | instid1(SALU_CYCLE_2)
	s_cvt_f32_u32 s4, s3
	s_sub_co_i32 s5, 0, s3
	v_rcp_iflag_f32_e32 v1, s4
	s_abs_i32 s8, s21
	v_nop
	s_delay_alu instid0(TRANS32_DEP_1) | instskip(SKIP_1) | instid1(SALU_CYCLE_3)
	v_readfirstlane_b32 s4, v1
	s_mul_f32 s4, s4, 0x4f7ffffe
	s_cvt_u32_f32 s4, s4
	s_delay_alu instid0(SALU_CYCLE_3) | instskip(NEXT) | instid1(SALU_CYCLE_1)
	s_mul_i32 s5, s5, s4
	s_mul_hi_u32 s5, s4, s5
	s_delay_alu instid0(SALU_CYCLE_1) | instskip(SKIP_4) | instid1(SALU_CYCLE_1)
	s_add_co_i32 s4, s4, s5
	s_xor_b32 s5, s21, s6
	s_mul_hi_u32 s4, s8, s4
	s_ashr_i32 s5, s5, 31
	s_mul_i32 s6, s4, s3
	s_sub_co_i32 s6, s8, s6
	s_add_co_i32 s8, s4, 1
	s_sub_co_i32 s9, s6, s3
	s_cmp_ge_u32 s6, s3
	s_cselect_b32 s4, s8, s4
	s_cselect_b32 s6, s9, s6
	s_add_co_i32 s8, s4, 1
	s_cmp_ge_u32 s6, s3
	s_mov_b32 s9, 0
	s_cselect_b32 s3, s8, s4
	s_abs_i32 s8, s2
	s_xor_b32 s3, s3, s5
	s_mov_b32 s13, s9
	s_sub_co_i32 s15, s3, s5
	s_load_b64 s[4:5], s[0:1], 0x40
	s_abs_i32 s14, s15
	s_mov_b32 s25, s9
	s_cvt_f32_u32 s3, s14
	s_sub_co_i32 s6, 0, s14
	s_delay_alu instid0(SALU_CYCLE_2) | instskip(SKIP_1) | instid1(TRANS32_DEP_1)
	v_rcp_iflag_f32_e32 v1, s3
	v_nop
	v_readfirstlane_b32 s3, v1
	s_mul_f32 s3, s3, 0x4f7ffffe
	s_delay_alu instid0(SALU_CYCLE_3) | instskip(NEXT) | instid1(SALU_CYCLE_3)
	s_cvt_u32_f32 s3, s3
	s_mul_i32 s6, s6, s3
	s_delay_alu instid0(SALU_CYCLE_1) | instskip(NEXT) | instid1(SALU_CYCLE_1)
	s_mul_hi_u32 s6, s3, s6
	s_add_co_i32 s12, s3, s6
	s_wait_kmcnt 0x0
	s_cmp_eq_u64 s[4:5], 0
	s_cbranch_scc1 .LBB250_2
; %bb.1:
	s_ashr_i32 s3, s2, 31
	s_delay_alu instid0(SALU_CYCLE_1) | instskip(NEXT) | instid1(SALU_CYCLE_1)
	s_lshl_b64 s[16:17], s[2:3], 2
	s_add_nc_u64 s[4:5], s[4:5], s[16:17]
	s_load_b32 s25, s[4:5], 0x0
.LBB250_2:
	s_load_b32 s23, s[10:11], s22 offset:0x0 scale_offset
	s_wait_xcnt 0x0
	s_load_b96 s[4:6], s[0:1], 0x48
	v_and_b32_e32 v4, 3, v0
	s_ashr_i32 s3, s2, 31
	s_ashr_i32 s15, s15, 31
	s_mul_u64 s[10:11], s[8:9], s[12:13]
	s_mul_i32 s12, s2, 0xc0
	s_mov_b32 s2, exec_lo
	v_cmpx_gt_u32_e32 0x60, v0
	s_cbranch_execz .LBB250_4
; %bb.3:
	s_load_b64 s[16:17], s[0:1], 0x8
	s_wait_kmcnt 0x0
	s_mul_i32 s18, s4, s22
	s_ashr_i32 s13, s12, 31
	s_ashr_i32 s19, s18, 31
	v_and_b32_e32 v2, 0x3fc, v0
	s_lshl_b64 s[18:19], s[18:19], 1
	s_delay_alu instid0(VALU_DEP_1) | instskip(SKIP_2) | instid1(SALU_CYCLE_1)
	v_mad_u32_u24 v2, 0x60, v4, v2
	s_add_nc_u64 s[16:17], s[16:17], s[18:19]
	s_lshl_b64 s[18:19], s[12:13], 1
	s_add_nc_u64 s[16:17], s[16:17], s[18:19]
	global_load_b32 v1, v0, s[16:17] scale_offset
	s_wait_loadcnt 0x0
	ds_store_b32 v2, v1
.LBB250_4:
	s_or_b32 exec_lo, exec_lo, s2
	s_wait_kmcnt 0x0
	s_add_co_i32 s2, s23, 7
	s_load_b32 s4, s[0:1], 0x38
	s_ashr_i32 s9, s2, 31
	s_mul_i32 s10, s11, s14
	s_lshr_b32 s9, s9, 29
	s_sub_co_i32 s8, s8, s10
	s_add_co_i32 s2, s2, s9
	s_xor_b32 s3, s3, s15
	s_ashr_i32 s24, s2, 3
	s_add_co_i32 s2, s11, 1
	s_sub_co_i32 s9, s8, s14
	s_cmp_ge_u32 s8, s14
	v_lshrrev_b32_e32 v26, 5, v0
	s_cselect_b32 s2, s2, s11
	s_cselect_b32 s8, s9, s8
	s_add_co_i32 s9, s2, 1
	s_cmp_ge_u32 s8, s14
	v_mbcnt_lo_u32_b32 v10, -1, 0
	s_cselect_b32 s2, s9, s2
	s_wait_dscnt 0x0
	s_xor_b32 s2, s2, s3
	s_wait_kmcnt 0x0
	s_mul_i32 s14, s4, s22
	s_sub_co_i32 s3, s2, s3
	v_cmp_gt_i32_e64 s2, s24, v26
	s_ashr_i32 s15, s14, 31
	s_mov_b32 s4, exec_lo
	s_barrier_signal -1
	s_barrier_wait -1
                                        ; implicit-def: $vgpr3
                                        ; implicit-def: $vgpr11
	v_cmpx_le_i32_e64 s24, v26
	s_xor_b32 s4, exec_lo, s4
; %bb.5:
	v_dual_mov_b32 v3, 0 :: v_dual_mov_b32 v11, 32
	v_mbcnt_lo_u32_b32 v10, -1, 0
                                        ; implicit-def: $vgpr4
; %bb.6:
	s_or_saveexec_b32 s26, s4
	s_clause 0x2
	s_load_b32 s13, s[0:1], 0x88
	s_load_b64 s[16:17], s[0:1], 0x28
	s_load_b128 s[8:11], s[0:1], 0x58
	v_dual_mov_b32 v12, 0xff7fffff :: v_dual_lshrrev_b32 v1, 3, v0
	s_mul_i32 s18, s3, s6
	s_xor_b32 exec_lo, exec_lo, s26
	s_cbranch_execz .LBB250_396
; %bb.7:
	s_load_b64 s[28:29], s[0:1], 0x10
	v_bfe_u32 v8, v0, 2, 3
	v_mov_b32_e32 v3, 0
	s_ashr_i32 s19, s18, 31
	s_cmp_neq_f32 s25, 0
	v_mul_u32_u24_e32 v13, 0x60, v4
	v_dual_lshlrev_b32 v2, 4, v8 :: v_dual_lshlrev_b32 v5, 2, v8
	v_mov_b32_e32 v12, 0xff7fffff
	v_cmp_eq_u32_e32 vcc_lo, 0, v4
	s_cselect_b32 s3, -1, 0
	v_lshl_or_b32 v14, v26, 3, v8
	v_lshl_or_b32 v9, v26, 5, v5
	s_mov_b32 s6, 0
	s_sub_co_i32 s27, 1, s23
	v_dual_mov_b32 v16, v26 :: v_dual_mov_b32 v11, 32
	s_delay_alu instid0(VALU_DEP_2)
	v_add_nc_u32_e32 v15, 0x1a0, v9
	s_wait_kmcnt 0x0
	s_add_nc_u64 s[28:29], s[28:29], s[18:19]
	s_mov_b32 s19, s5
	v_add_nc_u64_e32 v[6:7], s[28:29], v[2:3]
	v_lshlrev_b32_e32 v2, 1, v4
	s_lshl_b64 s[28:29], s[14:15], 2
	s_delay_alu instid0(SALU_CYCLE_1) | instskip(NEXT) | instid1(VALU_DEP_1)
	s_add_nc_u64 s[28:29], s[16:17], s[28:29]
	v_add_nc_u64_e32 v[4:5], v[6:7], v[2:3]
	v_and_b32_e32 v2, 0x7c, v1
	s_delay_alu instid0(VALU_DEP_1)
	v_add_nc_u64_e32 v[6:7], s[28:29], v[2:3]
	s_branch .LBB250_9
.LBB250_8:                              ;   in Loop: Header=BB250_9 Depth=1
	s_or_b32 exec_lo, exec_lo, s28
	v_dual_add_nc_u32 v16, 4, v16 :: v_dual_add_nc_u32 v14, 32, v14
	v_add_nc_u64_e32 v[6:7], 16, v[6:7]
	v_add_nc_u32_e32 v15, 0x80, v15
	s_delay_alu instid0(VALU_DEP_3) | instskip(SKIP_1) | instid1(SALU_CYCLE_1)
	v_cmp_le_i32_e64 s4, s24, v16
	s_or_b32 s6, s4, s6
	s_and_not1_b32 exec_lo, exec_lo, s6
	s_cbranch_execz .LBB250_395
.LBB250_9:                              ; =>This Inner Loop Header: Depth=1
	global_load_b32 v2, v[6:7], off
	v_mov_b32_e32 v18, 0
	s_wait_loadcnt_dscnt 0x0
	v_mad_nc_i64_i32 v[8:9], v2, s19, v[4:5]
	global_load_u16 v2, v[8:9], off
	s_wait_loadcnt 0x0
	v_and_b32_e32 v19, 0xff, v2
	v_and_b32_e32 v2, 0xffff, v2
	s_delay_alu instid0(VALU_DEP_2)
	v_cmp_ne_u16_e64 s4, 0, v19
	v_mov_b32_e32 v19, 0
	global_load_b32 v17, v18, s[8:9]
	s_wait_xcnt 0x0
	s_and_saveexec_b32 s28, s4
	s_cbranch_execz .LBB250_17
; %bb.10:                               ;   in Loop: Header=BB250_9 Depth=1
	v_and_b32_e32 v19, 0xff, v2
	s_delay_alu instid0(VALU_DEP_1)
	v_cmp_ne_u16_e64 s4, 0x80, v19
	v_mov_b32_e32 v19, 0x8000
	s_and_saveexec_b32 s29, s4
	s_cbranch_execz .LBB250_16
; %bb.11:                               ;   in Loop: Header=BB250_9 Depth=1
	v_and_b32_e32 v21, 0x7f, v2
	v_mov_b32_e32 v19, 0x7c01
	s_mov_b32 s30, exec_lo
	s_delay_alu instid0(VALU_DEP_2)
	v_cmpx_ne_u32_e32 0x7f, v21
	s_cbranch_execz .LBB250_15
; %bb.12:                               ;   in Loop: Header=BB250_9 Depth=1
	v_dual_lshrrev_b32 v20, 3, v21 :: v_dual_bitop2_b32 v19, 7, v2 bitop3:0x40
	s_mov_b32 s31, exec_lo
	v_cmpx_gt_u32_e32 8, v21
; %bb.13:                               ;   in Loop: Header=BB250_9 Depth=1
	s_delay_alu instid0(VALU_DEP_2) | instskip(NEXT) | instid1(VALU_DEP_1)
	v_clz_i32_u32_e32 v19, v19
	v_min_u32_e32 v19, 32, v19
	s_delay_alu instid0(VALU_DEP_1) | instskip(NEXT) | instid1(VALU_DEP_1)
	v_subrev_nc_u32_e32 v20, 28, v19
	v_lshlrev_b64_e32 v[22:23], v20, v[2:3]
	s_delay_alu instid0(VALU_DEP_1)
	v_dual_sub_nc_u32 v20, 29, v19 :: v_dual_bitop2_b32 v19, 7, v22 bitop3:0x40
; %bb.14:                               ;   in Loop: Header=BB250_9 Depth=1
	s_or_b32 exec_lo, exec_lo, s31
	s_delay_alu instid0(VALU_DEP_1) | instskip(NEXT) | instid1(VALU_DEP_2)
	v_dual_lshlrev_b32 v21, 8, v2 :: v_dual_lshlrev_b32 v19, 7, v19
	v_lshl_add_u32 v20, v20, 10, 0x2000
	s_delay_alu instid0(VALU_DEP_2) | instskip(NEXT) | instid1(VALU_DEP_2)
	v_and_b32_e32 v21, 0x8000, v21
	v_and_b32_e32 v20, 0xfc00, v20
	s_delay_alu instid0(VALU_DEP_1)
	v_or3_b32 v19, v21, v20, v19
.LBB250_15:                             ;   in Loop: Header=BB250_9 Depth=1
	s_or_b32 exec_lo, exec_lo, s30
.LBB250_16:                             ;   in Loop: Header=BB250_9 Depth=1
	s_delay_alu instid0(SALU_CYCLE_1)
	s_or_b32 exec_lo, exec_lo, s29
.LBB250_17:                             ;   in Loop: Header=BB250_9 Depth=1
	s_delay_alu instid0(SALU_CYCLE_1) | instskip(SKIP_2) | instid1(VALU_DEP_1)
	s_or_b32 exec_lo, exec_lo, s28
	v_lshrrev_b16 v2, 8, v2
	s_mov_b32 s28, exec_lo
	v_cmpx_ne_u16_e32 0, v2
	s_cbranch_execz .LBB250_25
; %bb.18:                               ;   in Loop: Header=BB250_9 Depth=1
	v_bfrev_b32_e32 v18, 1
	s_mov_b32 s29, exec_lo
	v_cmpx_ne_u16_e32 0x80, v2
	s_cbranch_execz .LBB250_24
; %bb.19:                               ;   in Loop: Header=BB250_9 Depth=1
	v_and_b32_e32 v20, 0xffff, v2
	v_mov_b32_e32 v18, 0x7c010000
	s_mov_b32 s30, exec_lo
	s_delay_alu instid0(VALU_DEP_2) | instskip(NEXT) | instid1(VALU_DEP_1)
	v_and_b32_e32 v22, 0x7f, v20
	v_cmpx_ne_u32_e32 0x7f, v22
	s_cbranch_execz .LBB250_23
; %bb.20:                               ;   in Loop: Header=BB250_9 Depth=1
	v_dual_lshrrev_b32 v21, 3, v22 :: v_dual_bitop2_b32 v18, 7, v20 bitop3:0x40
	s_mov_b32 s31, exec_lo
	v_cmpx_gt_u32_e32 8, v22
; %bb.21:                               ;   in Loop: Header=BB250_9 Depth=1
	s_delay_alu instid0(VALU_DEP_2) | instskip(NEXT) | instid1(VALU_DEP_1)
	v_clz_i32_u32_e32 v18, v18
	v_min_u32_e32 v18, 32, v18
	s_delay_alu instid0(VALU_DEP_1) | instskip(NEXT) | instid1(VALU_DEP_1)
	v_subrev_nc_u32_e32 v21, 28, v18
	v_lshlrev_b64_e32 v[22:23], v21, v[2:3]
	v_sub_nc_u32_e32 v21, 29, v18
	s_delay_alu instid0(VALU_DEP_2)
	v_and_b32_e32 v18, 7, v22
; %bb.22:                               ;   in Loop: Header=BB250_9 Depth=1
	s_or_b32 exec_lo, exec_lo, s31
	s_delay_alu instid0(VALU_DEP_1) | instskip(NEXT) | instid1(VALU_DEP_3)
	v_dual_lshlrev_b32 v2, 8, v20 :: v_dual_lshlrev_b32 v18, 23, v18
	v_lshl_add_u32 v20, v21, 10, 0x2000
	s_delay_alu instid0(VALU_DEP_1) | instskip(NEXT) | instid1(VALU_DEP_1)
	v_and_or_b32 v2, 0x8000, v2, v20
	v_lshl_or_b32 v18, v2, 16, v18
.LBB250_23:                             ;   in Loop: Header=BB250_9 Depth=1
	s_or_b32 exec_lo, exec_lo, s30
.LBB250_24:                             ;   in Loop: Header=BB250_9 Depth=1
	s_delay_alu instid0(SALU_CYCLE_1)
	s_or_b32 exec_lo, exec_lo, s29
.LBB250_25:                             ;   in Loop: Header=BB250_9 Depth=1
	s_delay_alu instid0(SALU_CYCLE_1)
	s_or_b32 exec_lo, exec_lo, s28
	global_load_u16 v2, v[8:9], off offset:8
	v_mov_b32_e32 v20, 0
	s_wait_loadcnt 0x0
	v_and_b32_e32 v21, 0xff, v2
	v_and_b32_e32 v2, 0xffff, v2
	s_delay_alu instid0(VALU_DEP_2)
	v_cmp_ne_u16_e64 s4, 0, v21
	v_mov_b32_e32 v21, 0
	s_and_saveexec_b32 s28, s4
	s_cbranch_execz .LBB250_33
; %bb.26:                               ;   in Loop: Header=BB250_9 Depth=1
	v_and_b32_e32 v21, 0xff, v2
	s_delay_alu instid0(VALU_DEP_1)
	v_cmp_ne_u16_e64 s4, 0x80, v21
	v_mov_b32_e32 v21, 0x8000
	s_and_saveexec_b32 s29, s4
	s_cbranch_execz .LBB250_32
; %bb.27:                               ;   in Loop: Header=BB250_9 Depth=1
	v_and_b32_e32 v23, 0x7f, v2
	v_mov_b32_e32 v21, 0x7c01
	s_mov_b32 s30, exec_lo
	s_delay_alu instid0(VALU_DEP_2)
	v_cmpx_ne_u32_e32 0x7f, v23
	s_cbranch_execz .LBB250_31
; %bb.28:                               ;   in Loop: Header=BB250_9 Depth=1
	v_dual_lshrrev_b32 v22, 3, v23 :: v_dual_bitop2_b32 v21, 7, v2 bitop3:0x40
	s_mov_b32 s31, exec_lo
	v_cmpx_gt_u32_e32 8, v23
; %bb.29:                               ;   in Loop: Header=BB250_9 Depth=1
	s_delay_alu instid0(VALU_DEP_2) | instskip(NEXT) | instid1(VALU_DEP_1)
	v_clz_i32_u32_e32 v21, v21
	v_min_u32_e32 v21, 32, v21
	s_delay_alu instid0(VALU_DEP_1) | instskip(NEXT) | instid1(VALU_DEP_1)
	v_subrev_nc_u32_e32 v22, 28, v21
	v_lshlrev_b64_e32 v[24:25], v22, v[2:3]
	s_delay_alu instid0(VALU_DEP_1)
	v_dual_sub_nc_u32 v22, 29, v21 :: v_dual_bitop2_b32 v21, 7, v24 bitop3:0x40
; %bb.30:                               ;   in Loop: Header=BB250_9 Depth=1
	s_or_b32 exec_lo, exec_lo, s31
	s_delay_alu instid0(VALU_DEP_1) | instskip(NEXT) | instid1(VALU_DEP_2)
	v_dual_lshlrev_b32 v23, 8, v2 :: v_dual_lshlrev_b32 v21, 7, v21
	v_lshl_add_u32 v22, v22, 10, 0x2000
	s_delay_alu instid0(VALU_DEP_2) | instskip(NEXT) | instid1(VALU_DEP_2)
	v_and_b32_e32 v23, 0x8000, v23
	v_and_b32_e32 v22, 0xfc00, v22
	s_delay_alu instid0(VALU_DEP_1)
	v_or3_b32 v21, v23, v22, v21
.LBB250_31:                             ;   in Loop: Header=BB250_9 Depth=1
	s_or_b32 exec_lo, exec_lo, s30
.LBB250_32:                             ;   in Loop: Header=BB250_9 Depth=1
	s_delay_alu instid0(SALU_CYCLE_1)
	s_or_b32 exec_lo, exec_lo, s29
.LBB250_33:                             ;   in Loop: Header=BB250_9 Depth=1
	s_delay_alu instid0(SALU_CYCLE_1) | instskip(SKIP_2) | instid1(VALU_DEP_1)
	s_or_b32 exec_lo, exec_lo, s28
	v_lshrrev_b16 v2, 8, v2
	s_mov_b32 s28, exec_lo
	v_cmpx_ne_u16_e32 0, v2
	s_cbranch_execz .LBB250_41
; %bb.34:                               ;   in Loop: Header=BB250_9 Depth=1
	v_bfrev_b32_e32 v20, 1
	s_mov_b32 s29, exec_lo
	v_cmpx_ne_u16_e32 0x80, v2
	s_cbranch_execz .LBB250_40
; %bb.35:                               ;   in Loop: Header=BB250_9 Depth=1
	v_and_b32_e32 v22, 0xffff, v2
	v_mov_b32_e32 v20, 0x7c010000
	s_mov_b32 s30, exec_lo
	s_delay_alu instid0(VALU_DEP_2) | instskip(NEXT) | instid1(VALU_DEP_1)
	v_and_b32_e32 v24, 0x7f, v22
	v_cmpx_ne_u32_e32 0x7f, v24
	s_cbranch_execz .LBB250_39
; %bb.36:                               ;   in Loop: Header=BB250_9 Depth=1
	v_dual_lshrrev_b32 v23, 3, v24 :: v_dual_bitop2_b32 v20, 7, v22 bitop3:0x40
	s_mov_b32 s31, exec_lo
	v_cmpx_gt_u32_e32 8, v24
; %bb.37:                               ;   in Loop: Header=BB250_9 Depth=1
	s_delay_alu instid0(VALU_DEP_2) | instskip(NEXT) | instid1(VALU_DEP_1)
	v_clz_i32_u32_e32 v20, v20
	v_min_u32_e32 v20, 32, v20
	s_delay_alu instid0(VALU_DEP_1) | instskip(NEXT) | instid1(VALU_DEP_1)
	v_subrev_nc_u32_e32 v23, 28, v20
	v_lshlrev_b64_e32 v[24:25], v23, v[2:3]
	v_sub_nc_u32_e32 v23, 29, v20
	s_delay_alu instid0(VALU_DEP_2)
	v_and_b32_e32 v20, 7, v24
; %bb.38:                               ;   in Loop: Header=BB250_9 Depth=1
	s_or_b32 exec_lo, exec_lo, s31
	s_delay_alu instid0(VALU_DEP_1) | instskip(NEXT) | instid1(VALU_DEP_3)
	v_dual_lshlrev_b32 v2, 8, v22 :: v_dual_lshlrev_b32 v20, 23, v20
	v_lshl_add_u32 v22, v23, 10, 0x2000
	s_delay_alu instid0(VALU_DEP_1) | instskip(NEXT) | instid1(VALU_DEP_1)
	v_and_or_b32 v2, 0x8000, v2, v22
	v_lshl_or_b32 v20, v2, 16, v20
.LBB250_39:                             ;   in Loop: Header=BB250_9 Depth=1
	s_or_b32 exec_lo, exec_lo, s30
.LBB250_40:                             ;   in Loop: Header=BB250_9 Depth=1
	s_delay_alu instid0(SALU_CYCLE_1)
	s_or_b32 exec_lo, exec_lo, s29
.LBB250_41:                             ;   in Loop: Header=BB250_9 Depth=1
	s_delay_alu instid0(SALU_CYCLE_1)
	s_or_b32 exec_lo, exec_lo, s28
	global_load_u16 v2, v[8:9], off offset:128
	v_mov_b32_e32 v22, 0
	s_wait_loadcnt 0x0
	v_and_b32_e32 v23, 0xff, v2
	v_and_b32_e32 v2, 0xffff, v2
	s_delay_alu instid0(VALU_DEP_2)
	v_cmp_ne_u16_e64 s4, 0, v23
	v_mov_b32_e32 v23, 0
	s_and_saveexec_b32 s28, s4
	s_cbranch_execz .LBB250_49
; %bb.42:                               ;   in Loop: Header=BB250_9 Depth=1
	v_and_b32_e32 v23, 0xff, v2
	s_delay_alu instid0(VALU_DEP_1)
	v_cmp_ne_u16_e64 s4, 0x80, v23
	v_mov_b32_e32 v23, 0x8000
	s_and_saveexec_b32 s29, s4
	s_cbranch_execz .LBB250_48
; %bb.43:                               ;   in Loop: Header=BB250_9 Depth=1
	v_and_b32_e32 v25, 0x7f, v2
	v_mov_b32_e32 v23, 0x7c01
	s_mov_b32 s30, exec_lo
	s_delay_alu instid0(VALU_DEP_2)
	v_cmpx_ne_u32_e32 0x7f, v25
	s_cbranch_execz .LBB250_47
; %bb.44:                               ;   in Loop: Header=BB250_9 Depth=1
	v_dual_lshrrev_b32 v24, 3, v25 :: v_dual_bitop2_b32 v23, 7, v2 bitop3:0x40
	s_mov_b32 s31, exec_lo
	v_cmpx_gt_u32_e32 8, v25
; %bb.45:                               ;   in Loop: Header=BB250_9 Depth=1
	s_delay_alu instid0(VALU_DEP_2) | instskip(NEXT) | instid1(VALU_DEP_1)
	v_clz_i32_u32_e32 v23, v23
	v_min_u32_e32 v23, 32, v23
	s_delay_alu instid0(VALU_DEP_1) | instskip(NEXT) | instid1(VALU_DEP_1)
	v_subrev_nc_u32_e32 v24, 28, v23
	v_lshlrev_b64_e32 v[28:29], v24, v[2:3]
	s_delay_alu instid0(VALU_DEP_1)
	v_dual_sub_nc_u32 v24, 29, v23 :: v_dual_bitop2_b32 v23, 7, v28 bitop3:0x40
; %bb.46:                               ;   in Loop: Header=BB250_9 Depth=1
	s_or_b32 exec_lo, exec_lo, s31
	s_delay_alu instid0(VALU_DEP_1) | instskip(NEXT) | instid1(VALU_DEP_2)
	v_dual_lshlrev_b32 v25, 8, v2 :: v_dual_lshlrev_b32 v23, 7, v23
	v_lshl_add_u32 v24, v24, 10, 0x2000
	s_delay_alu instid0(VALU_DEP_2) | instskip(NEXT) | instid1(VALU_DEP_2)
	v_and_b32_e32 v25, 0x8000, v25
	v_and_b32_e32 v24, 0xfc00, v24
	s_delay_alu instid0(VALU_DEP_1)
	v_or3_b32 v23, v25, v24, v23
.LBB250_47:                             ;   in Loop: Header=BB250_9 Depth=1
	s_or_b32 exec_lo, exec_lo, s30
.LBB250_48:                             ;   in Loop: Header=BB250_9 Depth=1
	s_delay_alu instid0(SALU_CYCLE_1)
	s_or_b32 exec_lo, exec_lo, s29
.LBB250_49:                             ;   in Loop: Header=BB250_9 Depth=1
	s_delay_alu instid0(SALU_CYCLE_1) | instskip(SKIP_2) | instid1(VALU_DEP_1)
	s_or_b32 exec_lo, exec_lo, s28
	v_lshrrev_b16 v2, 8, v2
	s_mov_b32 s28, exec_lo
	v_cmpx_ne_u16_e32 0, v2
	s_cbranch_execz .LBB250_57
; %bb.50:                               ;   in Loop: Header=BB250_9 Depth=1
	v_bfrev_b32_e32 v22, 1
	s_mov_b32 s29, exec_lo
	v_cmpx_ne_u16_e32 0x80, v2
	s_cbranch_execz .LBB250_56
; %bb.51:                               ;   in Loop: Header=BB250_9 Depth=1
	v_and_b32_e32 v24, 0xffff, v2
	v_mov_b32_e32 v22, 0x7c010000
	s_mov_b32 s30, exec_lo
	s_delay_alu instid0(VALU_DEP_2) | instskip(NEXT) | instid1(VALU_DEP_1)
	v_and_b32_e32 v27, 0x7f, v24
	v_cmpx_ne_u32_e32 0x7f, v27
	s_cbranch_execz .LBB250_55
; %bb.52:                               ;   in Loop: Header=BB250_9 Depth=1
	v_dual_lshrrev_b32 v25, 3, v27 :: v_dual_bitop2_b32 v22, 7, v24 bitop3:0x40
	s_mov_b32 s31, exec_lo
	v_cmpx_gt_u32_e32 8, v27
; %bb.53:                               ;   in Loop: Header=BB250_9 Depth=1
	s_delay_alu instid0(VALU_DEP_2) | instskip(NEXT) | instid1(VALU_DEP_1)
	v_clz_i32_u32_e32 v22, v22
	v_min_u32_e32 v22, 32, v22
	s_delay_alu instid0(VALU_DEP_1) | instskip(NEXT) | instid1(VALU_DEP_1)
	v_subrev_nc_u32_e32 v25, 28, v22
	v_lshlrev_b64_e32 v[28:29], v25, v[2:3]
	s_delay_alu instid0(VALU_DEP_1)
	v_dual_sub_nc_u32 v25, 29, v22 :: v_dual_bitop2_b32 v22, 7, v28 bitop3:0x40
; %bb.54:                               ;   in Loop: Header=BB250_9 Depth=1
	s_or_b32 exec_lo, exec_lo, s31
	s_delay_alu instid0(VALU_DEP_1) | instskip(NEXT) | instid1(VALU_DEP_2)
	v_dual_lshlrev_b32 v2, 8, v24 :: v_dual_lshlrev_b32 v22, 23, v22
	v_lshl_add_u32 v24, v25, 10, 0x2000
	s_delay_alu instid0(VALU_DEP_1) | instskip(NEXT) | instid1(VALU_DEP_1)
	v_and_or_b32 v2, 0x8000, v2, v24
	v_lshl_or_b32 v22, v2, 16, v22
.LBB250_55:                             ;   in Loop: Header=BB250_9 Depth=1
	s_or_b32 exec_lo, exec_lo, s30
.LBB250_56:                             ;   in Loop: Header=BB250_9 Depth=1
	s_delay_alu instid0(SALU_CYCLE_1)
	s_or_b32 exec_lo, exec_lo, s29
.LBB250_57:                             ;   in Loop: Header=BB250_9 Depth=1
	s_delay_alu instid0(SALU_CYCLE_1)
	s_or_b32 exec_lo, exec_lo, s28
	global_load_u16 v2, v[8:9], off offset:136
	v_mov_b32_e32 v24, 0
	s_wait_loadcnt 0x0
	v_and_b32_e32 v25, 0xff, v2
	v_and_b32_e32 v2, 0xffff, v2
	s_delay_alu instid0(VALU_DEP_2)
	v_cmp_ne_u16_e64 s4, 0, v25
	v_mov_b32_e32 v25, 0
	s_and_saveexec_b32 s28, s4
	s_cbranch_execz .LBB250_65
; %bb.58:                               ;   in Loop: Header=BB250_9 Depth=1
	v_and_b32_e32 v25, 0xff, v2
	s_delay_alu instid0(VALU_DEP_1)
	v_cmp_ne_u16_e64 s4, 0x80, v25
	v_mov_b32_e32 v25, 0x8000
	s_and_saveexec_b32 s29, s4
	s_cbranch_execz .LBB250_64
; %bb.59:                               ;   in Loop: Header=BB250_9 Depth=1
	v_and_b32_e32 v28, 0x7f, v2
	v_mov_b32_e32 v25, 0x7c01
	s_mov_b32 s30, exec_lo
	s_delay_alu instid0(VALU_DEP_2)
	v_cmpx_ne_u32_e32 0x7f, v28
	s_cbranch_execz .LBB250_63
; %bb.60:                               ;   in Loop: Header=BB250_9 Depth=1
	v_dual_lshrrev_b32 v27, 3, v28 :: v_dual_bitop2_b32 v25, 7, v2 bitop3:0x40
	s_mov_b32 s31, exec_lo
	v_cmpx_gt_u32_e32 8, v28
; %bb.61:                               ;   in Loop: Header=BB250_9 Depth=1
	s_delay_alu instid0(VALU_DEP_2) | instskip(NEXT) | instid1(VALU_DEP_1)
	v_clz_i32_u32_e32 v25, v25
	v_min_u32_e32 v25, 32, v25
	s_delay_alu instid0(VALU_DEP_1) | instskip(NEXT) | instid1(VALU_DEP_1)
	v_subrev_nc_u32_e32 v27, 28, v25
	v_lshlrev_b64_e32 v[28:29], v27, v[2:3]
	s_delay_alu instid0(VALU_DEP_1)
	v_dual_sub_nc_u32 v27, 29, v25 :: v_dual_bitop2_b32 v25, 7, v28 bitop3:0x40
; %bb.62:                               ;   in Loop: Header=BB250_9 Depth=1
	s_or_b32 exec_lo, exec_lo, s31
	s_delay_alu instid0(VALU_DEP_1) | instskip(NEXT) | instid1(VALU_DEP_2)
	v_dual_lshlrev_b32 v28, 8, v2 :: v_dual_lshlrev_b32 v25, 7, v25
	v_lshl_add_u32 v27, v27, 10, 0x2000
	s_delay_alu instid0(VALU_DEP_2) | instskip(NEXT) | instid1(VALU_DEP_2)
	v_and_b32_e32 v28, 0x8000, v28
	v_and_b32_e32 v27, 0xfc00, v27
	s_delay_alu instid0(VALU_DEP_1)
	v_or3_b32 v25, v28, v27, v25
.LBB250_63:                             ;   in Loop: Header=BB250_9 Depth=1
	s_or_b32 exec_lo, exec_lo, s30
.LBB250_64:                             ;   in Loop: Header=BB250_9 Depth=1
	s_delay_alu instid0(SALU_CYCLE_1)
	s_or_b32 exec_lo, exec_lo, s29
.LBB250_65:                             ;   in Loop: Header=BB250_9 Depth=1
	s_delay_alu instid0(SALU_CYCLE_1) | instskip(SKIP_2) | instid1(VALU_DEP_1)
	s_or_b32 exec_lo, exec_lo, s28
	v_lshrrev_b16 v2, 8, v2
	s_mov_b32 s28, exec_lo
	v_cmpx_ne_u16_e32 0, v2
	s_cbranch_execz .LBB250_73
; %bb.66:                               ;   in Loop: Header=BB250_9 Depth=1
	v_bfrev_b32_e32 v24, 1
	s_mov_b32 s29, exec_lo
	v_cmpx_ne_u16_e32 0x80, v2
	s_cbranch_execz .LBB250_72
; %bb.67:                               ;   in Loop: Header=BB250_9 Depth=1
	v_and_b32_e32 v27, 0xffff, v2
	v_mov_b32_e32 v24, 0x7c010000
	s_mov_b32 s30, exec_lo
	s_delay_alu instid0(VALU_DEP_2) | instskip(NEXT) | instid1(VALU_DEP_1)
	v_and_b32_e32 v29, 0x7f, v27
	v_cmpx_ne_u32_e32 0x7f, v29
	s_cbranch_execz .LBB250_71
; %bb.68:                               ;   in Loop: Header=BB250_9 Depth=1
	v_dual_lshrrev_b32 v28, 3, v29 :: v_dual_bitop2_b32 v24, 7, v27 bitop3:0x40
	s_mov_b32 s31, exec_lo
	v_cmpx_gt_u32_e32 8, v29
; %bb.69:                               ;   in Loop: Header=BB250_9 Depth=1
	s_delay_alu instid0(VALU_DEP_2) | instskip(NEXT) | instid1(VALU_DEP_1)
	v_clz_i32_u32_e32 v24, v24
	v_min_u32_e32 v24, 32, v24
	s_delay_alu instid0(VALU_DEP_1) | instskip(NEXT) | instid1(VALU_DEP_1)
	v_subrev_nc_u32_e32 v28, 28, v24
	v_lshlrev_b64_e32 v[30:31], v28, v[2:3]
	s_delay_alu instid0(VALU_DEP_1)
	v_dual_sub_nc_u32 v28, 29, v24 :: v_dual_bitop2_b32 v24, 7, v30 bitop3:0x40
; %bb.70:                               ;   in Loop: Header=BB250_9 Depth=1
	s_or_b32 exec_lo, exec_lo, s31
	s_delay_alu instid0(VALU_DEP_1) | instskip(NEXT) | instid1(VALU_DEP_2)
	v_dual_lshlrev_b32 v2, 8, v27 :: v_dual_lshlrev_b32 v24, 23, v24
	v_lshl_add_u32 v27, v28, 10, 0x2000
	s_delay_alu instid0(VALU_DEP_1) | instskip(NEXT) | instid1(VALU_DEP_1)
	v_and_or_b32 v2, 0x8000, v2, v27
	v_lshl_or_b32 v24, v2, 16, v24
.LBB250_71:                             ;   in Loop: Header=BB250_9 Depth=1
	s_or_b32 exec_lo, exec_lo, s30
.LBB250_72:                             ;   in Loop: Header=BB250_9 Depth=1
	s_delay_alu instid0(SALU_CYCLE_1)
	s_or_b32 exec_lo, exec_lo, s29
.LBB250_73:                             ;   in Loop: Header=BB250_9 Depth=1
	s_delay_alu instid0(SALU_CYCLE_1)
	s_or_b32 exec_lo, exec_lo, s28
	global_load_u16 v2, v[8:9], off offset:256
	v_mov_b32_e32 v27, 0
	s_wait_loadcnt 0x0
	v_and_b32_e32 v28, 0xff, v2
	v_and_b32_e32 v2, 0xffff, v2
	s_delay_alu instid0(VALU_DEP_2)
	v_cmp_ne_u16_e64 s4, 0, v28
	v_mov_b32_e32 v28, 0
	s_and_saveexec_b32 s28, s4
	s_cbranch_execz .LBB250_81
; %bb.74:                               ;   in Loop: Header=BB250_9 Depth=1
	v_and_b32_e32 v28, 0xff, v2
	s_delay_alu instid0(VALU_DEP_1)
	v_cmp_ne_u16_e64 s4, 0x80, v28
	v_mov_b32_e32 v28, 0x8000
	s_and_saveexec_b32 s29, s4
	s_cbranch_execz .LBB250_80
; %bb.75:                               ;   in Loop: Header=BB250_9 Depth=1
	v_and_b32_e32 v30, 0x7f, v2
	v_mov_b32_e32 v28, 0x7c01
	s_mov_b32 s30, exec_lo
	s_delay_alu instid0(VALU_DEP_2)
	v_cmpx_ne_u32_e32 0x7f, v30
	s_cbranch_execz .LBB250_79
; %bb.76:                               ;   in Loop: Header=BB250_9 Depth=1
	v_and_b32_e32 v28, 7, v2
	v_lshrrev_b32_e32 v29, 3, v30
	s_mov_b32 s31, exec_lo
	v_cmpx_gt_u32_e32 8, v30
; %bb.77:                               ;   in Loop: Header=BB250_9 Depth=1
	s_delay_alu instid0(VALU_DEP_3) | instskip(NEXT) | instid1(VALU_DEP_1)
	v_clz_i32_u32_e32 v28, v28
	v_min_u32_e32 v30, 32, v28
	s_delay_alu instid0(VALU_DEP_1) | instskip(NEXT) | instid1(VALU_DEP_1)
	v_subrev_nc_u32_e32 v28, 28, v30
	v_lshlrev_b64_e32 v[28:29], v28, v[2:3]
	s_delay_alu instid0(VALU_DEP_1)
	v_dual_sub_nc_u32 v29, 29, v30 :: v_dual_bitop2_b32 v28, 7, v28 bitop3:0x40
; %bb.78:                               ;   in Loop: Header=BB250_9 Depth=1
	s_or_b32 exec_lo, exec_lo, s31
	s_delay_alu instid0(VALU_DEP_1) | instskip(NEXT) | instid1(VALU_DEP_2)
	v_dual_lshlrev_b32 v30, 8, v2 :: v_dual_lshlrev_b32 v28, 7, v28
	v_lshl_add_u32 v29, v29, 10, 0x2000
	s_delay_alu instid0(VALU_DEP_2) | instskip(NEXT) | instid1(VALU_DEP_2)
	v_and_b32_e32 v30, 0x8000, v30
	v_and_b32_e32 v29, 0xfc00, v29
	s_delay_alu instid0(VALU_DEP_1)
	v_or3_b32 v28, v30, v29, v28
.LBB250_79:                             ;   in Loop: Header=BB250_9 Depth=1
	s_or_b32 exec_lo, exec_lo, s30
.LBB250_80:                             ;   in Loop: Header=BB250_9 Depth=1
	s_delay_alu instid0(SALU_CYCLE_1)
	s_or_b32 exec_lo, exec_lo, s29
.LBB250_81:                             ;   in Loop: Header=BB250_9 Depth=1
	s_delay_alu instid0(SALU_CYCLE_1) | instskip(SKIP_2) | instid1(VALU_DEP_1)
	s_or_b32 exec_lo, exec_lo, s28
	v_lshrrev_b16 v2, 8, v2
	s_mov_b32 s28, exec_lo
	v_cmpx_ne_u16_e32 0, v2
	s_cbranch_execz .LBB250_89
; %bb.82:                               ;   in Loop: Header=BB250_9 Depth=1
	v_bfrev_b32_e32 v27, 1
	s_mov_b32 s29, exec_lo
	v_cmpx_ne_u16_e32 0x80, v2
	s_cbranch_execz .LBB250_88
; %bb.83:                               ;   in Loop: Header=BB250_9 Depth=1
	v_and_b32_e32 v29, 0xffff, v2
	v_mov_b32_e32 v27, 0x7c010000
	s_mov_b32 s30, exec_lo
	s_delay_alu instid0(VALU_DEP_2) | instskip(NEXT) | instid1(VALU_DEP_1)
	v_and_b32_e32 v31, 0x7f, v29
	v_cmpx_ne_u32_e32 0x7f, v31
	s_cbranch_execz .LBB250_87
; %bb.84:                               ;   in Loop: Header=BB250_9 Depth=1
	v_dual_lshrrev_b32 v30, 3, v31 :: v_dual_bitop2_b32 v27, 7, v29 bitop3:0x40
	s_mov_b32 s31, exec_lo
	v_cmpx_gt_u32_e32 8, v31
; %bb.85:                               ;   in Loop: Header=BB250_9 Depth=1
	s_delay_alu instid0(VALU_DEP_2) | instskip(NEXT) | instid1(VALU_DEP_1)
	v_clz_i32_u32_e32 v27, v27
	v_min_u32_e32 v27, 32, v27
	s_delay_alu instid0(VALU_DEP_1) | instskip(NEXT) | instid1(VALU_DEP_1)
	v_subrev_nc_u32_e32 v30, 28, v27
	v_lshlrev_b64_e32 v[32:33], v30, v[2:3]
	s_delay_alu instid0(VALU_DEP_1)
	v_dual_sub_nc_u32 v30, 29, v27 :: v_dual_bitop2_b32 v27, 7, v32 bitop3:0x40
; %bb.86:                               ;   in Loop: Header=BB250_9 Depth=1
	s_or_b32 exec_lo, exec_lo, s31
	s_delay_alu instid0(VALU_DEP_1) | instskip(NEXT) | instid1(VALU_DEP_2)
	v_dual_lshlrev_b32 v2, 8, v29 :: v_dual_lshlrev_b32 v27, 23, v27
	v_lshl_add_u32 v29, v30, 10, 0x2000
	s_delay_alu instid0(VALU_DEP_1) | instskip(NEXT) | instid1(VALU_DEP_1)
	v_and_or_b32 v2, 0x8000, v2, v29
	v_lshl_or_b32 v27, v2, 16, v27
.LBB250_87:                             ;   in Loop: Header=BB250_9 Depth=1
	s_or_b32 exec_lo, exec_lo, s30
.LBB250_88:                             ;   in Loop: Header=BB250_9 Depth=1
	s_delay_alu instid0(SALU_CYCLE_1)
	s_or_b32 exec_lo, exec_lo, s29
.LBB250_89:                             ;   in Loop: Header=BB250_9 Depth=1
	s_delay_alu instid0(SALU_CYCLE_1)
	s_or_b32 exec_lo, exec_lo, s28
	global_load_u16 v2, v[8:9], off offset:264
	v_mov_b32_e32 v29, 0
	s_wait_loadcnt 0x0
	v_and_b32_e32 v30, 0xff, v2
	v_and_b32_e32 v2, 0xffff, v2
	s_delay_alu instid0(VALU_DEP_2)
	v_cmp_ne_u16_e64 s4, 0, v30
	v_mov_b32_e32 v30, 0
	s_and_saveexec_b32 s28, s4
	s_cbranch_execz .LBB250_97
; %bb.90:                               ;   in Loop: Header=BB250_9 Depth=1
	v_and_b32_e32 v30, 0xff, v2
	s_delay_alu instid0(VALU_DEP_1)
	v_cmp_ne_u16_e64 s4, 0x80, v30
	v_mov_b32_e32 v30, 0x8000
	s_and_saveexec_b32 s29, s4
	s_cbranch_execz .LBB250_96
; %bb.91:                               ;   in Loop: Header=BB250_9 Depth=1
	v_and_b32_e32 v32, 0x7f, v2
	v_mov_b32_e32 v30, 0x7c01
	s_mov_b32 s30, exec_lo
	s_delay_alu instid0(VALU_DEP_2)
	v_cmpx_ne_u32_e32 0x7f, v32
	s_cbranch_execz .LBB250_95
; %bb.92:                               ;   in Loop: Header=BB250_9 Depth=1
	v_dual_lshrrev_b32 v31, 3, v32 :: v_dual_bitop2_b32 v30, 7, v2 bitop3:0x40
	s_mov_b32 s31, exec_lo
	v_cmpx_gt_u32_e32 8, v32
; %bb.93:                               ;   in Loop: Header=BB250_9 Depth=1
	s_delay_alu instid0(VALU_DEP_2) | instskip(NEXT) | instid1(VALU_DEP_1)
	v_clz_i32_u32_e32 v30, v30
	v_min_u32_e32 v32, 32, v30
	s_delay_alu instid0(VALU_DEP_1) | instskip(NEXT) | instid1(VALU_DEP_1)
	v_subrev_nc_u32_e32 v30, 28, v32
	v_lshlrev_b64_e32 v[30:31], v30, v[2:3]
	s_delay_alu instid0(VALU_DEP_1)
	v_dual_sub_nc_u32 v31, 29, v32 :: v_dual_bitop2_b32 v30, 7, v30 bitop3:0x40
; %bb.94:                               ;   in Loop: Header=BB250_9 Depth=1
	s_or_b32 exec_lo, exec_lo, s31
	v_lshlrev_b32_e32 v32, 8, v2
	s_delay_alu instid0(VALU_DEP_2) | instskip(NEXT) | instid1(VALU_DEP_3)
	v_lshl_add_u32 v31, v31, 10, 0x2000
	v_lshlrev_b32_e32 v30, 7, v30
	s_delay_alu instid0(VALU_DEP_3) | instskip(NEXT) | instid1(VALU_DEP_3)
	v_and_b32_e32 v32, 0x8000, v32
	v_and_b32_e32 v31, 0xfc00, v31
	s_delay_alu instid0(VALU_DEP_1)
	v_or3_b32 v30, v32, v31, v30
.LBB250_95:                             ;   in Loop: Header=BB250_9 Depth=1
	s_or_b32 exec_lo, exec_lo, s30
.LBB250_96:                             ;   in Loop: Header=BB250_9 Depth=1
	s_delay_alu instid0(SALU_CYCLE_1)
	s_or_b32 exec_lo, exec_lo, s29
.LBB250_97:                             ;   in Loop: Header=BB250_9 Depth=1
	s_delay_alu instid0(SALU_CYCLE_1) | instskip(SKIP_2) | instid1(VALU_DEP_1)
	s_or_b32 exec_lo, exec_lo, s28
	v_lshrrev_b16 v2, 8, v2
	s_mov_b32 s28, exec_lo
	v_cmpx_ne_u16_e32 0, v2
	s_cbranch_execz .LBB250_105
; %bb.98:                               ;   in Loop: Header=BB250_9 Depth=1
	v_bfrev_b32_e32 v29, 1
	s_mov_b32 s29, exec_lo
	v_cmpx_ne_u16_e32 0x80, v2
	s_cbranch_execz .LBB250_104
; %bb.99:                               ;   in Loop: Header=BB250_9 Depth=1
	v_and_b32_e32 v31, 0xffff, v2
	v_mov_b32_e32 v29, 0x7c010000
	s_mov_b32 s30, exec_lo
	s_delay_alu instid0(VALU_DEP_2) | instskip(NEXT) | instid1(VALU_DEP_1)
	v_and_b32_e32 v33, 0x7f, v31
	v_cmpx_ne_u32_e32 0x7f, v33
	s_cbranch_execz .LBB250_103
; %bb.100:                              ;   in Loop: Header=BB250_9 Depth=1
	v_dual_lshrrev_b32 v32, 3, v33 :: v_dual_bitop2_b32 v29, 7, v31 bitop3:0x40
	s_mov_b32 s31, exec_lo
	v_cmpx_gt_u32_e32 8, v33
; %bb.101:                              ;   in Loop: Header=BB250_9 Depth=1
	s_delay_alu instid0(VALU_DEP_2) | instskip(NEXT) | instid1(VALU_DEP_1)
	v_clz_i32_u32_e32 v29, v29
	v_min_u32_e32 v29, 32, v29
	s_delay_alu instid0(VALU_DEP_1) | instskip(NEXT) | instid1(VALU_DEP_1)
	v_subrev_nc_u32_e32 v32, 28, v29
	v_lshlrev_b64_e32 v[34:35], v32, v[2:3]
	s_delay_alu instid0(VALU_DEP_1)
	v_dual_sub_nc_u32 v32, 29, v29 :: v_dual_bitop2_b32 v29, 7, v34 bitop3:0x40
; %bb.102:                              ;   in Loop: Header=BB250_9 Depth=1
	s_or_b32 exec_lo, exec_lo, s31
	s_delay_alu instid0(VALU_DEP_1) | instskip(NEXT) | instid1(VALU_DEP_2)
	v_dual_lshlrev_b32 v2, 8, v31 :: v_dual_lshlrev_b32 v29, 23, v29
	v_lshl_add_u32 v31, v32, 10, 0x2000
	s_delay_alu instid0(VALU_DEP_1) | instskip(NEXT) | instid1(VALU_DEP_1)
	v_and_or_b32 v2, 0x8000, v2, v31
	v_lshl_or_b32 v29, v2, 16, v29
.LBB250_103:                            ;   in Loop: Header=BB250_9 Depth=1
	s_or_b32 exec_lo, exec_lo, s30
.LBB250_104:                            ;   in Loop: Header=BB250_9 Depth=1
	s_delay_alu instid0(SALU_CYCLE_1)
	s_or_b32 exec_lo, exec_lo, s29
.LBB250_105:                            ;   in Loop: Header=BB250_9 Depth=1
	s_delay_alu instid0(SALU_CYCLE_1)
	s_or_b32 exec_lo, exec_lo, s28
	global_load_u16 v2, v[8:9], off offset:384
	v_mov_b32_e32 v31, 0
	s_wait_loadcnt 0x0
	v_and_b32_e32 v32, 0xff, v2
	v_and_b32_e32 v2, 0xffff, v2
	s_delay_alu instid0(VALU_DEP_2)
	v_cmp_ne_u16_e64 s4, 0, v32
	v_mov_b32_e32 v32, 0
	s_and_saveexec_b32 s28, s4
	s_cbranch_execz .LBB250_113
; %bb.106:                              ;   in Loop: Header=BB250_9 Depth=1
	v_and_b32_e32 v32, 0xff, v2
	s_delay_alu instid0(VALU_DEP_1)
	v_cmp_ne_u16_e64 s4, 0x80, v32
	v_mov_b32_e32 v32, 0x8000
	s_and_saveexec_b32 s29, s4
	s_cbranch_execz .LBB250_112
; %bb.107:                              ;   in Loop: Header=BB250_9 Depth=1
	v_and_b32_e32 v34, 0x7f, v2
	v_mov_b32_e32 v32, 0x7c01
	s_mov_b32 s30, exec_lo
	s_delay_alu instid0(VALU_DEP_2)
	v_cmpx_ne_u32_e32 0x7f, v34
	s_cbranch_execz .LBB250_111
; %bb.108:                              ;   in Loop: Header=BB250_9 Depth=1
	v_and_b32_e32 v32, 7, v2
	v_lshrrev_b32_e32 v33, 3, v34
	s_mov_b32 s31, exec_lo
	v_cmpx_gt_u32_e32 8, v34
; %bb.109:                              ;   in Loop: Header=BB250_9 Depth=1
	s_delay_alu instid0(VALU_DEP_3) | instskip(NEXT) | instid1(VALU_DEP_1)
	v_clz_i32_u32_e32 v32, v32
	v_min_u32_e32 v34, 32, v32
	s_delay_alu instid0(VALU_DEP_1) | instskip(NEXT) | instid1(VALU_DEP_1)
	v_subrev_nc_u32_e32 v32, 28, v34
	v_lshlrev_b64_e32 v[32:33], v32, v[2:3]
	s_delay_alu instid0(VALU_DEP_1)
	v_dual_sub_nc_u32 v33, 29, v34 :: v_dual_bitop2_b32 v32, 7, v32 bitop3:0x40
; %bb.110:                              ;   in Loop: Header=BB250_9 Depth=1
	s_or_b32 exec_lo, exec_lo, s31
	s_delay_alu instid0(VALU_DEP_1) | instskip(NEXT) | instid1(VALU_DEP_2)
	v_dual_lshlrev_b32 v34, 8, v2 :: v_dual_lshlrev_b32 v32, 7, v32
	v_lshl_add_u32 v33, v33, 10, 0x2000
	s_delay_alu instid0(VALU_DEP_2) | instskip(NEXT) | instid1(VALU_DEP_2)
	v_and_b32_e32 v34, 0x8000, v34
	v_and_b32_e32 v33, 0xfc00, v33
	s_delay_alu instid0(VALU_DEP_1)
	v_or3_b32 v32, v34, v33, v32
.LBB250_111:                            ;   in Loop: Header=BB250_9 Depth=1
	s_or_b32 exec_lo, exec_lo, s30
.LBB250_112:                            ;   in Loop: Header=BB250_9 Depth=1
	s_delay_alu instid0(SALU_CYCLE_1)
	s_or_b32 exec_lo, exec_lo, s29
.LBB250_113:                            ;   in Loop: Header=BB250_9 Depth=1
	s_delay_alu instid0(SALU_CYCLE_1) | instskip(SKIP_2) | instid1(VALU_DEP_1)
	s_or_b32 exec_lo, exec_lo, s28
	v_lshrrev_b16 v2, 8, v2
	s_mov_b32 s28, exec_lo
	v_cmpx_ne_u16_e32 0, v2
	s_cbranch_execz .LBB250_121
; %bb.114:                              ;   in Loop: Header=BB250_9 Depth=1
	v_bfrev_b32_e32 v31, 1
	s_mov_b32 s29, exec_lo
	v_cmpx_ne_u16_e32 0x80, v2
	s_cbranch_execz .LBB250_120
; %bb.115:                              ;   in Loop: Header=BB250_9 Depth=1
	v_and_b32_e32 v33, 0xffff, v2
	v_mov_b32_e32 v31, 0x7c010000
	s_mov_b32 s30, exec_lo
	s_delay_alu instid0(VALU_DEP_2) | instskip(NEXT) | instid1(VALU_DEP_1)
	v_and_b32_e32 v35, 0x7f, v33
	v_cmpx_ne_u32_e32 0x7f, v35
	s_cbranch_execz .LBB250_119
; %bb.116:                              ;   in Loop: Header=BB250_9 Depth=1
	v_dual_lshrrev_b32 v34, 3, v35 :: v_dual_bitop2_b32 v31, 7, v33 bitop3:0x40
	s_mov_b32 s31, exec_lo
	v_cmpx_gt_u32_e32 8, v35
; %bb.117:                              ;   in Loop: Header=BB250_9 Depth=1
	s_delay_alu instid0(VALU_DEP_2) | instskip(NEXT) | instid1(VALU_DEP_1)
	v_clz_i32_u32_e32 v31, v31
	v_min_u32_e32 v31, 32, v31
	s_delay_alu instid0(VALU_DEP_1) | instskip(NEXT) | instid1(VALU_DEP_1)
	v_subrev_nc_u32_e32 v34, 28, v31
	v_lshlrev_b64_e32 v[36:37], v34, v[2:3]
	s_delay_alu instid0(VALU_DEP_1)
	v_dual_sub_nc_u32 v34, 29, v31 :: v_dual_bitop2_b32 v31, 7, v36 bitop3:0x40
; %bb.118:                              ;   in Loop: Header=BB250_9 Depth=1
	s_or_b32 exec_lo, exec_lo, s31
	s_delay_alu instid0(VALU_DEP_1) | instskip(NEXT) | instid1(VALU_DEP_2)
	v_dual_lshlrev_b32 v2, 8, v33 :: v_dual_lshlrev_b32 v31, 23, v31
	v_lshl_add_u32 v33, v34, 10, 0x2000
	s_delay_alu instid0(VALU_DEP_1) | instskip(NEXT) | instid1(VALU_DEP_1)
	v_and_or_b32 v2, 0x8000, v2, v33
	v_lshl_or_b32 v31, v2, 16, v31
.LBB250_119:                            ;   in Loop: Header=BB250_9 Depth=1
	s_or_b32 exec_lo, exec_lo, s30
.LBB250_120:                            ;   in Loop: Header=BB250_9 Depth=1
	s_delay_alu instid0(SALU_CYCLE_1)
	s_or_b32 exec_lo, exec_lo, s29
.LBB250_121:                            ;   in Loop: Header=BB250_9 Depth=1
	s_delay_alu instid0(SALU_CYCLE_1)
	s_or_b32 exec_lo, exec_lo, s28
	global_load_u16 v2, v[8:9], off offset:392
	v_mov_b32_e32 v33, 0
	s_wait_loadcnt 0x0
	v_and_b32_e32 v34, 0xff, v2
	v_and_b32_e32 v2, 0xffff, v2
	s_delay_alu instid0(VALU_DEP_2)
	v_cmp_ne_u16_e64 s4, 0, v34
	v_mov_b32_e32 v34, 0
	s_and_saveexec_b32 s28, s4
	s_cbranch_execz .LBB250_129
; %bb.122:                              ;   in Loop: Header=BB250_9 Depth=1
	v_and_b32_e32 v34, 0xff, v2
	s_delay_alu instid0(VALU_DEP_1)
	v_cmp_ne_u16_e64 s4, 0x80, v34
	v_mov_b32_e32 v34, 0x8000
	s_and_saveexec_b32 s29, s4
	s_cbranch_execz .LBB250_128
; %bb.123:                              ;   in Loop: Header=BB250_9 Depth=1
	v_and_b32_e32 v36, 0x7f, v2
	v_mov_b32_e32 v34, 0x7c01
	s_mov_b32 s30, exec_lo
	s_delay_alu instid0(VALU_DEP_2)
	v_cmpx_ne_u32_e32 0x7f, v36
	s_cbranch_execz .LBB250_127
; %bb.124:                              ;   in Loop: Header=BB250_9 Depth=1
	v_dual_lshrrev_b32 v35, 3, v36 :: v_dual_bitop2_b32 v34, 7, v2 bitop3:0x40
	s_mov_b32 s31, exec_lo
	v_cmpx_gt_u32_e32 8, v36
; %bb.125:                              ;   in Loop: Header=BB250_9 Depth=1
	s_delay_alu instid0(VALU_DEP_2) | instskip(NEXT) | instid1(VALU_DEP_1)
	v_clz_i32_u32_e32 v34, v34
	v_min_u32_e32 v36, 32, v34
	s_delay_alu instid0(VALU_DEP_1) | instskip(NEXT) | instid1(VALU_DEP_1)
	v_subrev_nc_u32_e32 v34, 28, v36
	v_lshlrev_b64_e32 v[34:35], v34, v[2:3]
	s_delay_alu instid0(VALU_DEP_1)
	v_dual_sub_nc_u32 v35, 29, v36 :: v_dual_bitop2_b32 v34, 7, v34 bitop3:0x40
; %bb.126:                              ;   in Loop: Header=BB250_9 Depth=1
	s_or_b32 exec_lo, exec_lo, s31
	v_lshlrev_b32_e32 v36, 8, v2
	s_delay_alu instid0(VALU_DEP_2) | instskip(NEXT) | instid1(VALU_DEP_3)
	v_lshl_add_u32 v35, v35, 10, 0x2000
	v_lshlrev_b32_e32 v34, 7, v34
	s_delay_alu instid0(VALU_DEP_3) | instskip(NEXT) | instid1(VALU_DEP_3)
	v_and_b32_e32 v36, 0x8000, v36
	v_and_b32_e32 v35, 0xfc00, v35
	s_delay_alu instid0(VALU_DEP_1)
	v_or3_b32 v34, v36, v35, v34
.LBB250_127:                            ;   in Loop: Header=BB250_9 Depth=1
	s_or_b32 exec_lo, exec_lo, s30
.LBB250_128:                            ;   in Loop: Header=BB250_9 Depth=1
	s_delay_alu instid0(SALU_CYCLE_1)
	s_or_b32 exec_lo, exec_lo, s29
.LBB250_129:                            ;   in Loop: Header=BB250_9 Depth=1
	s_delay_alu instid0(SALU_CYCLE_1) | instskip(SKIP_2) | instid1(VALU_DEP_1)
	s_or_b32 exec_lo, exec_lo, s28
	v_lshrrev_b16 v2, 8, v2
	s_mov_b32 s28, exec_lo
	v_cmpx_ne_u16_e32 0, v2
	s_cbranch_execz .LBB250_137
; %bb.130:                              ;   in Loop: Header=BB250_9 Depth=1
	v_bfrev_b32_e32 v33, 1
	s_mov_b32 s29, exec_lo
	v_cmpx_ne_u16_e32 0x80, v2
	s_cbranch_execz .LBB250_136
; %bb.131:                              ;   in Loop: Header=BB250_9 Depth=1
	v_and_b32_e32 v35, 0xffff, v2
	v_mov_b32_e32 v33, 0x7c010000
	s_mov_b32 s30, exec_lo
	s_delay_alu instid0(VALU_DEP_2) | instskip(NEXT) | instid1(VALU_DEP_1)
	v_and_b32_e32 v37, 0x7f, v35
	v_cmpx_ne_u32_e32 0x7f, v37
	s_cbranch_execz .LBB250_135
; %bb.132:                              ;   in Loop: Header=BB250_9 Depth=1
	v_dual_lshrrev_b32 v36, 3, v37 :: v_dual_bitop2_b32 v33, 7, v35 bitop3:0x40
	s_mov_b32 s31, exec_lo
	v_cmpx_gt_u32_e32 8, v37
; %bb.133:                              ;   in Loop: Header=BB250_9 Depth=1
	s_delay_alu instid0(VALU_DEP_2) | instskip(NEXT) | instid1(VALU_DEP_1)
	v_clz_i32_u32_e32 v33, v33
	v_min_u32_e32 v33, 32, v33
	s_delay_alu instid0(VALU_DEP_1) | instskip(NEXT) | instid1(VALU_DEP_1)
	v_subrev_nc_u32_e32 v36, 28, v33
	v_lshlrev_b64_e32 v[38:39], v36, v[2:3]
	s_delay_alu instid0(VALU_DEP_1)
	v_dual_sub_nc_u32 v36, 29, v33 :: v_dual_bitop2_b32 v33, 7, v38 bitop3:0x40
; %bb.134:                              ;   in Loop: Header=BB250_9 Depth=1
	s_or_b32 exec_lo, exec_lo, s31
	s_delay_alu instid0(VALU_DEP_1) | instskip(NEXT) | instid1(VALU_DEP_2)
	v_dual_lshlrev_b32 v2, 8, v35 :: v_dual_lshlrev_b32 v33, 23, v33
	v_lshl_add_u32 v35, v36, 10, 0x2000
	s_delay_alu instid0(VALU_DEP_1) | instskip(NEXT) | instid1(VALU_DEP_1)
	v_and_or_b32 v2, 0x8000, v2, v35
	v_lshl_or_b32 v33, v2, 16, v33
.LBB250_135:                            ;   in Loop: Header=BB250_9 Depth=1
	s_or_b32 exec_lo, exec_lo, s30
.LBB250_136:                            ;   in Loop: Header=BB250_9 Depth=1
	s_delay_alu instid0(SALU_CYCLE_1)
	s_or_b32 exec_lo, exec_lo, s29
.LBB250_137:                            ;   in Loop: Header=BB250_9 Depth=1
	s_delay_alu instid0(SALU_CYCLE_1)
	s_or_b32 exec_lo, exec_lo, s28
	global_load_u16 v2, v[8:9], off offset:512
	v_mov_b32_e32 v35, 0
	s_wait_loadcnt 0x0
	v_and_b32_e32 v36, 0xff, v2
	v_and_b32_e32 v2, 0xffff, v2
	s_delay_alu instid0(VALU_DEP_2)
	v_cmp_ne_u16_e64 s4, 0, v36
	v_mov_b32_e32 v36, 0
	s_and_saveexec_b32 s28, s4
	s_cbranch_execz .LBB250_145
; %bb.138:                              ;   in Loop: Header=BB250_9 Depth=1
	v_and_b32_e32 v36, 0xff, v2
	s_delay_alu instid0(VALU_DEP_1)
	v_cmp_ne_u16_e64 s4, 0x80, v36
	v_mov_b32_e32 v36, 0x8000
	s_and_saveexec_b32 s29, s4
	s_cbranch_execz .LBB250_144
; %bb.139:                              ;   in Loop: Header=BB250_9 Depth=1
	v_and_b32_e32 v38, 0x7f, v2
	v_mov_b32_e32 v36, 0x7c01
	s_mov_b32 s30, exec_lo
	s_delay_alu instid0(VALU_DEP_2)
	v_cmpx_ne_u32_e32 0x7f, v38
	s_cbranch_execz .LBB250_143
; %bb.140:                              ;   in Loop: Header=BB250_9 Depth=1
	v_and_b32_e32 v36, 7, v2
	v_lshrrev_b32_e32 v37, 3, v38
	s_mov_b32 s31, exec_lo
	v_cmpx_gt_u32_e32 8, v38
; %bb.141:                              ;   in Loop: Header=BB250_9 Depth=1
	s_delay_alu instid0(VALU_DEP_3) | instskip(NEXT) | instid1(VALU_DEP_1)
	v_clz_i32_u32_e32 v36, v36
	v_min_u32_e32 v38, 32, v36
	s_delay_alu instid0(VALU_DEP_1) | instskip(NEXT) | instid1(VALU_DEP_1)
	v_subrev_nc_u32_e32 v36, 28, v38
	v_lshlrev_b64_e32 v[36:37], v36, v[2:3]
	s_delay_alu instid0(VALU_DEP_1)
	v_dual_sub_nc_u32 v37, 29, v38 :: v_dual_bitop2_b32 v36, 7, v36 bitop3:0x40
; %bb.142:                              ;   in Loop: Header=BB250_9 Depth=1
	s_or_b32 exec_lo, exec_lo, s31
	s_delay_alu instid0(VALU_DEP_1) | instskip(NEXT) | instid1(VALU_DEP_2)
	v_dual_lshlrev_b32 v38, 8, v2 :: v_dual_lshlrev_b32 v36, 7, v36
	v_lshl_add_u32 v37, v37, 10, 0x2000
	s_delay_alu instid0(VALU_DEP_2) | instskip(NEXT) | instid1(VALU_DEP_2)
	v_and_b32_e32 v38, 0x8000, v38
	v_and_b32_e32 v37, 0xfc00, v37
	s_delay_alu instid0(VALU_DEP_1)
	v_or3_b32 v36, v38, v37, v36
.LBB250_143:                            ;   in Loop: Header=BB250_9 Depth=1
	s_or_b32 exec_lo, exec_lo, s30
.LBB250_144:                            ;   in Loop: Header=BB250_9 Depth=1
	s_delay_alu instid0(SALU_CYCLE_1)
	s_or_b32 exec_lo, exec_lo, s29
.LBB250_145:                            ;   in Loop: Header=BB250_9 Depth=1
	s_delay_alu instid0(SALU_CYCLE_1) | instskip(SKIP_2) | instid1(VALU_DEP_1)
	s_or_b32 exec_lo, exec_lo, s28
	v_lshrrev_b16 v2, 8, v2
	s_mov_b32 s28, exec_lo
	v_cmpx_ne_u16_e32 0, v2
	s_cbranch_execz .LBB250_153
; %bb.146:                              ;   in Loop: Header=BB250_9 Depth=1
	v_bfrev_b32_e32 v35, 1
	s_mov_b32 s29, exec_lo
	v_cmpx_ne_u16_e32 0x80, v2
	s_cbranch_execz .LBB250_152
; %bb.147:                              ;   in Loop: Header=BB250_9 Depth=1
	v_and_b32_e32 v37, 0xffff, v2
	v_mov_b32_e32 v35, 0x7c010000
	s_mov_b32 s30, exec_lo
	s_delay_alu instid0(VALU_DEP_2) | instskip(NEXT) | instid1(VALU_DEP_1)
	v_and_b32_e32 v39, 0x7f, v37
	v_cmpx_ne_u32_e32 0x7f, v39
	s_cbranch_execz .LBB250_151
; %bb.148:                              ;   in Loop: Header=BB250_9 Depth=1
	v_dual_lshrrev_b32 v38, 3, v39 :: v_dual_bitop2_b32 v35, 7, v37 bitop3:0x40
	s_mov_b32 s31, exec_lo
	v_cmpx_gt_u32_e32 8, v39
; %bb.149:                              ;   in Loop: Header=BB250_9 Depth=1
	s_delay_alu instid0(VALU_DEP_2) | instskip(NEXT) | instid1(VALU_DEP_1)
	v_clz_i32_u32_e32 v35, v35
	v_min_u32_e32 v35, 32, v35
	s_delay_alu instid0(VALU_DEP_1) | instskip(NEXT) | instid1(VALU_DEP_1)
	v_subrev_nc_u32_e32 v38, 28, v35
	v_lshlrev_b64_e32 v[40:41], v38, v[2:3]
	s_delay_alu instid0(VALU_DEP_1)
	v_dual_sub_nc_u32 v38, 29, v35 :: v_dual_bitop2_b32 v35, 7, v40 bitop3:0x40
; %bb.150:                              ;   in Loop: Header=BB250_9 Depth=1
	s_or_b32 exec_lo, exec_lo, s31
	s_delay_alu instid0(VALU_DEP_1) | instskip(NEXT) | instid1(VALU_DEP_2)
	v_dual_lshlrev_b32 v2, 8, v37 :: v_dual_lshlrev_b32 v35, 23, v35
	v_lshl_add_u32 v37, v38, 10, 0x2000
	s_delay_alu instid0(VALU_DEP_1) | instskip(NEXT) | instid1(VALU_DEP_1)
	v_and_or_b32 v2, 0x8000, v2, v37
	v_lshl_or_b32 v35, v2, 16, v35
.LBB250_151:                            ;   in Loop: Header=BB250_9 Depth=1
	s_or_b32 exec_lo, exec_lo, s30
.LBB250_152:                            ;   in Loop: Header=BB250_9 Depth=1
	s_delay_alu instid0(SALU_CYCLE_1)
	s_or_b32 exec_lo, exec_lo, s29
.LBB250_153:                            ;   in Loop: Header=BB250_9 Depth=1
	s_delay_alu instid0(SALU_CYCLE_1)
	s_or_b32 exec_lo, exec_lo, s28
	global_load_u16 v2, v[8:9], off offset:520
	v_mov_b32_e32 v37, 0
	s_wait_loadcnt 0x0
	v_and_b32_e32 v38, 0xff, v2
	v_and_b32_e32 v2, 0xffff, v2
	s_delay_alu instid0(VALU_DEP_2)
	v_cmp_ne_u16_e64 s4, 0, v38
	v_mov_b32_e32 v38, 0
	s_and_saveexec_b32 s28, s4
	s_cbranch_execz .LBB250_161
; %bb.154:                              ;   in Loop: Header=BB250_9 Depth=1
	v_and_b32_e32 v38, 0xff, v2
	s_delay_alu instid0(VALU_DEP_1)
	v_cmp_ne_u16_e64 s4, 0x80, v38
	v_mov_b32_e32 v38, 0x8000
	s_and_saveexec_b32 s29, s4
	s_cbranch_execz .LBB250_160
; %bb.155:                              ;   in Loop: Header=BB250_9 Depth=1
	v_and_b32_e32 v40, 0x7f, v2
	v_mov_b32_e32 v38, 0x7c01
	s_mov_b32 s30, exec_lo
	s_delay_alu instid0(VALU_DEP_2)
	v_cmpx_ne_u32_e32 0x7f, v40
	s_cbranch_execz .LBB250_159
; %bb.156:                              ;   in Loop: Header=BB250_9 Depth=1
	v_dual_lshrrev_b32 v39, 3, v40 :: v_dual_bitop2_b32 v38, 7, v2 bitop3:0x40
	s_mov_b32 s31, exec_lo
	v_cmpx_gt_u32_e32 8, v40
; %bb.157:                              ;   in Loop: Header=BB250_9 Depth=1
	s_delay_alu instid0(VALU_DEP_2) | instskip(NEXT) | instid1(VALU_DEP_1)
	v_clz_i32_u32_e32 v38, v38
	v_min_u32_e32 v40, 32, v38
	s_delay_alu instid0(VALU_DEP_1) | instskip(NEXT) | instid1(VALU_DEP_1)
	v_subrev_nc_u32_e32 v38, 28, v40
	v_lshlrev_b64_e32 v[38:39], v38, v[2:3]
	s_delay_alu instid0(VALU_DEP_1)
	v_dual_sub_nc_u32 v39, 29, v40 :: v_dual_bitop2_b32 v38, 7, v38 bitop3:0x40
; %bb.158:                              ;   in Loop: Header=BB250_9 Depth=1
	s_or_b32 exec_lo, exec_lo, s31
	v_lshlrev_b32_e32 v40, 8, v2
	s_delay_alu instid0(VALU_DEP_2) | instskip(NEXT) | instid1(VALU_DEP_3)
	v_lshl_add_u32 v39, v39, 10, 0x2000
	v_lshlrev_b32_e32 v38, 7, v38
	s_delay_alu instid0(VALU_DEP_3) | instskip(NEXT) | instid1(VALU_DEP_3)
	v_and_b32_e32 v40, 0x8000, v40
	v_and_b32_e32 v39, 0xfc00, v39
	s_delay_alu instid0(VALU_DEP_1)
	v_or3_b32 v38, v40, v39, v38
.LBB250_159:                            ;   in Loop: Header=BB250_9 Depth=1
	s_or_b32 exec_lo, exec_lo, s30
.LBB250_160:                            ;   in Loop: Header=BB250_9 Depth=1
	s_delay_alu instid0(SALU_CYCLE_1)
	s_or_b32 exec_lo, exec_lo, s29
.LBB250_161:                            ;   in Loop: Header=BB250_9 Depth=1
	s_delay_alu instid0(SALU_CYCLE_1) | instskip(SKIP_2) | instid1(VALU_DEP_1)
	s_or_b32 exec_lo, exec_lo, s28
	v_lshrrev_b16 v2, 8, v2
	s_mov_b32 s28, exec_lo
	v_cmpx_ne_u16_e32 0, v2
	s_cbranch_execz .LBB250_169
; %bb.162:                              ;   in Loop: Header=BB250_9 Depth=1
	v_bfrev_b32_e32 v37, 1
	s_mov_b32 s29, exec_lo
	v_cmpx_ne_u16_e32 0x80, v2
	s_cbranch_execz .LBB250_168
; %bb.163:                              ;   in Loop: Header=BB250_9 Depth=1
	v_and_b32_e32 v39, 0xffff, v2
	v_mov_b32_e32 v37, 0x7c010000
	s_mov_b32 s30, exec_lo
	s_delay_alu instid0(VALU_DEP_2) | instskip(NEXT) | instid1(VALU_DEP_1)
	v_and_b32_e32 v41, 0x7f, v39
	v_cmpx_ne_u32_e32 0x7f, v41
	s_cbranch_execz .LBB250_167
; %bb.164:                              ;   in Loop: Header=BB250_9 Depth=1
	v_dual_lshrrev_b32 v40, 3, v41 :: v_dual_bitop2_b32 v37, 7, v39 bitop3:0x40
	s_mov_b32 s31, exec_lo
	v_cmpx_gt_u32_e32 8, v41
; %bb.165:                              ;   in Loop: Header=BB250_9 Depth=1
	s_delay_alu instid0(VALU_DEP_2) | instskip(NEXT) | instid1(VALU_DEP_1)
	v_clz_i32_u32_e32 v37, v37
	v_min_u32_e32 v37, 32, v37
	s_delay_alu instid0(VALU_DEP_1) | instskip(NEXT) | instid1(VALU_DEP_1)
	v_subrev_nc_u32_e32 v40, 28, v37
	v_lshlrev_b64_e32 v[42:43], v40, v[2:3]
	s_delay_alu instid0(VALU_DEP_1)
	v_dual_sub_nc_u32 v40, 29, v37 :: v_dual_bitop2_b32 v37, 7, v42 bitop3:0x40
; %bb.166:                              ;   in Loop: Header=BB250_9 Depth=1
	s_or_b32 exec_lo, exec_lo, s31
	s_delay_alu instid0(VALU_DEP_1) | instskip(NEXT) | instid1(VALU_DEP_2)
	v_dual_lshlrev_b32 v2, 8, v39 :: v_dual_lshlrev_b32 v37, 23, v37
	v_lshl_add_u32 v39, v40, 10, 0x2000
	s_delay_alu instid0(VALU_DEP_1) | instskip(NEXT) | instid1(VALU_DEP_1)
	v_and_or_b32 v2, 0x8000, v2, v39
	v_lshl_or_b32 v37, v2, 16, v37
.LBB250_167:                            ;   in Loop: Header=BB250_9 Depth=1
	s_or_b32 exec_lo, exec_lo, s30
.LBB250_168:                            ;   in Loop: Header=BB250_9 Depth=1
	s_delay_alu instid0(SALU_CYCLE_1)
	s_or_b32 exec_lo, exec_lo, s29
.LBB250_169:                            ;   in Loop: Header=BB250_9 Depth=1
	s_delay_alu instid0(SALU_CYCLE_1)
	s_or_b32 exec_lo, exec_lo, s28
	global_load_u16 v2, v[8:9], off offset:640
	v_mov_b32_e32 v39, 0
	s_wait_loadcnt 0x0
	v_and_b32_e32 v40, 0xff, v2
	v_and_b32_e32 v2, 0xffff, v2
	s_delay_alu instid0(VALU_DEP_2)
	v_cmp_ne_u16_e64 s4, 0, v40
	v_mov_b32_e32 v40, 0
	s_and_saveexec_b32 s28, s4
	s_cbranch_execz .LBB250_177
; %bb.170:                              ;   in Loop: Header=BB250_9 Depth=1
	v_and_b32_e32 v40, 0xff, v2
	s_delay_alu instid0(VALU_DEP_1)
	v_cmp_ne_u16_e64 s4, 0x80, v40
	v_mov_b32_e32 v40, 0x8000
	s_and_saveexec_b32 s29, s4
	s_cbranch_execz .LBB250_176
; %bb.171:                              ;   in Loop: Header=BB250_9 Depth=1
	v_and_b32_e32 v42, 0x7f, v2
	v_mov_b32_e32 v40, 0x7c01
	s_mov_b32 s30, exec_lo
	s_delay_alu instid0(VALU_DEP_2)
	v_cmpx_ne_u32_e32 0x7f, v42
	s_cbranch_execz .LBB250_175
; %bb.172:                              ;   in Loop: Header=BB250_9 Depth=1
	v_and_b32_e32 v40, 7, v2
	v_lshrrev_b32_e32 v41, 3, v42
	s_mov_b32 s31, exec_lo
	v_cmpx_gt_u32_e32 8, v42
; %bb.173:                              ;   in Loop: Header=BB250_9 Depth=1
	s_delay_alu instid0(VALU_DEP_3) | instskip(NEXT) | instid1(VALU_DEP_1)
	v_clz_i32_u32_e32 v40, v40
	v_min_u32_e32 v42, 32, v40
	s_delay_alu instid0(VALU_DEP_1) | instskip(NEXT) | instid1(VALU_DEP_1)
	v_subrev_nc_u32_e32 v40, 28, v42
	v_lshlrev_b64_e32 v[40:41], v40, v[2:3]
	s_delay_alu instid0(VALU_DEP_1)
	v_dual_sub_nc_u32 v41, 29, v42 :: v_dual_bitop2_b32 v40, 7, v40 bitop3:0x40
; %bb.174:                              ;   in Loop: Header=BB250_9 Depth=1
	s_or_b32 exec_lo, exec_lo, s31
	s_delay_alu instid0(VALU_DEP_1) | instskip(NEXT) | instid1(VALU_DEP_2)
	v_dual_lshlrev_b32 v42, 8, v2 :: v_dual_lshlrev_b32 v40, 7, v40
	v_lshl_add_u32 v41, v41, 10, 0x2000
	s_delay_alu instid0(VALU_DEP_2) | instskip(NEXT) | instid1(VALU_DEP_2)
	v_and_b32_e32 v42, 0x8000, v42
	v_and_b32_e32 v41, 0xfc00, v41
	s_delay_alu instid0(VALU_DEP_1)
	v_or3_b32 v40, v42, v41, v40
.LBB250_175:                            ;   in Loop: Header=BB250_9 Depth=1
	s_or_b32 exec_lo, exec_lo, s30
.LBB250_176:                            ;   in Loop: Header=BB250_9 Depth=1
	s_delay_alu instid0(SALU_CYCLE_1)
	s_or_b32 exec_lo, exec_lo, s29
.LBB250_177:                            ;   in Loop: Header=BB250_9 Depth=1
	s_delay_alu instid0(SALU_CYCLE_1) | instskip(SKIP_2) | instid1(VALU_DEP_1)
	s_or_b32 exec_lo, exec_lo, s28
	v_lshrrev_b16 v2, 8, v2
	s_mov_b32 s28, exec_lo
	v_cmpx_ne_u16_e32 0, v2
	s_cbranch_execz .LBB250_185
; %bb.178:                              ;   in Loop: Header=BB250_9 Depth=1
	v_bfrev_b32_e32 v39, 1
	s_mov_b32 s29, exec_lo
	v_cmpx_ne_u16_e32 0x80, v2
	s_cbranch_execz .LBB250_184
; %bb.179:                              ;   in Loop: Header=BB250_9 Depth=1
	v_and_b32_e32 v41, 0xffff, v2
	v_mov_b32_e32 v39, 0x7c010000
	s_mov_b32 s30, exec_lo
	s_delay_alu instid0(VALU_DEP_2) | instskip(NEXT) | instid1(VALU_DEP_1)
	v_and_b32_e32 v43, 0x7f, v41
	v_cmpx_ne_u32_e32 0x7f, v43
	s_cbranch_execz .LBB250_183
; %bb.180:                              ;   in Loop: Header=BB250_9 Depth=1
	v_dual_lshrrev_b32 v42, 3, v43 :: v_dual_bitop2_b32 v39, 7, v41 bitop3:0x40
	s_mov_b32 s31, exec_lo
	v_cmpx_gt_u32_e32 8, v43
; %bb.181:                              ;   in Loop: Header=BB250_9 Depth=1
	s_delay_alu instid0(VALU_DEP_2) | instskip(NEXT) | instid1(VALU_DEP_1)
	v_clz_i32_u32_e32 v39, v39
	v_min_u32_e32 v39, 32, v39
	s_delay_alu instid0(VALU_DEP_1) | instskip(NEXT) | instid1(VALU_DEP_1)
	v_subrev_nc_u32_e32 v42, 28, v39
	v_lshlrev_b64_e32 v[44:45], v42, v[2:3]
	s_delay_alu instid0(VALU_DEP_1)
	v_dual_sub_nc_u32 v42, 29, v39 :: v_dual_bitop2_b32 v39, 7, v44 bitop3:0x40
; %bb.182:                              ;   in Loop: Header=BB250_9 Depth=1
	s_or_b32 exec_lo, exec_lo, s31
	s_delay_alu instid0(VALU_DEP_1) | instskip(NEXT) | instid1(VALU_DEP_2)
	v_dual_lshlrev_b32 v2, 8, v41 :: v_dual_lshlrev_b32 v39, 23, v39
	v_lshl_add_u32 v41, v42, 10, 0x2000
	s_delay_alu instid0(VALU_DEP_1) | instskip(NEXT) | instid1(VALU_DEP_1)
	v_and_or_b32 v2, 0x8000, v2, v41
	v_lshl_or_b32 v39, v2, 16, v39
.LBB250_183:                            ;   in Loop: Header=BB250_9 Depth=1
	s_or_b32 exec_lo, exec_lo, s30
.LBB250_184:                            ;   in Loop: Header=BB250_9 Depth=1
	s_delay_alu instid0(SALU_CYCLE_1)
	s_or_b32 exec_lo, exec_lo, s29
.LBB250_185:                            ;   in Loop: Header=BB250_9 Depth=1
	s_delay_alu instid0(SALU_CYCLE_1)
	s_or_b32 exec_lo, exec_lo, s28
	global_load_u16 v2, v[8:9], off offset:648
	v_mov_b32_e32 v41, 0
	s_wait_loadcnt 0x0
	v_and_b32_e32 v42, 0xff, v2
	v_and_b32_e32 v2, 0xffff, v2
	s_delay_alu instid0(VALU_DEP_2)
	v_cmp_ne_u16_e64 s4, 0, v42
	v_mov_b32_e32 v42, 0
	s_and_saveexec_b32 s28, s4
	s_cbranch_execz .LBB250_193
; %bb.186:                              ;   in Loop: Header=BB250_9 Depth=1
	v_and_b32_e32 v42, 0xff, v2
	s_delay_alu instid0(VALU_DEP_1)
	v_cmp_ne_u16_e64 s4, 0x80, v42
	v_mov_b32_e32 v42, 0x8000
	s_and_saveexec_b32 s29, s4
	s_cbranch_execz .LBB250_192
; %bb.187:                              ;   in Loop: Header=BB250_9 Depth=1
	v_and_b32_e32 v44, 0x7f, v2
	v_mov_b32_e32 v42, 0x7c01
	s_mov_b32 s30, exec_lo
	s_delay_alu instid0(VALU_DEP_2)
	v_cmpx_ne_u32_e32 0x7f, v44
	s_cbranch_execz .LBB250_191
; %bb.188:                              ;   in Loop: Header=BB250_9 Depth=1
	v_dual_lshrrev_b32 v43, 3, v44 :: v_dual_bitop2_b32 v42, 7, v2 bitop3:0x40
	s_mov_b32 s31, exec_lo
	v_cmpx_gt_u32_e32 8, v44
; %bb.189:                              ;   in Loop: Header=BB250_9 Depth=1
	s_delay_alu instid0(VALU_DEP_2) | instskip(NEXT) | instid1(VALU_DEP_1)
	v_clz_i32_u32_e32 v42, v42
	v_min_u32_e32 v44, 32, v42
	s_delay_alu instid0(VALU_DEP_1) | instskip(NEXT) | instid1(VALU_DEP_1)
	v_subrev_nc_u32_e32 v42, 28, v44
	v_lshlrev_b64_e32 v[42:43], v42, v[2:3]
	s_delay_alu instid0(VALU_DEP_1)
	v_dual_sub_nc_u32 v43, 29, v44 :: v_dual_bitop2_b32 v42, 7, v42 bitop3:0x40
; %bb.190:                              ;   in Loop: Header=BB250_9 Depth=1
	s_or_b32 exec_lo, exec_lo, s31
	v_lshlrev_b32_e32 v44, 8, v2
	s_delay_alu instid0(VALU_DEP_2) | instskip(NEXT) | instid1(VALU_DEP_3)
	v_lshl_add_u32 v43, v43, 10, 0x2000
	v_lshlrev_b32_e32 v42, 7, v42
	s_delay_alu instid0(VALU_DEP_3) | instskip(NEXT) | instid1(VALU_DEP_3)
	v_and_b32_e32 v44, 0x8000, v44
	v_and_b32_e32 v43, 0xfc00, v43
	s_delay_alu instid0(VALU_DEP_1)
	v_or3_b32 v42, v44, v43, v42
.LBB250_191:                            ;   in Loop: Header=BB250_9 Depth=1
	s_or_b32 exec_lo, exec_lo, s30
.LBB250_192:                            ;   in Loop: Header=BB250_9 Depth=1
	s_delay_alu instid0(SALU_CYCLE_1)
	s_or_b32 exec_lo, exec_lo, s29
.LBB250_193:                            ;   in Loop: Header=BB250_9 Depth=1
	s_delay_alu instid0(SALU_CYCLE_1) | instskip(SKIP_2) | instid1(VALU_DEP_1)
	s_or_b32 exec_lo, exec_lo, s28
	v_lshrrev_b16 v2, 8, v2
	s_mov_b32 s28, exec_lo
	v_cmpx_ne_u16_e32 0, v2
	s_cbranch_execz .LBB250_201
; %bb.194:                              ;   in Loop: Header=BB250_9 Depth=1
	v_bfrev_b32_e32 v41, 1
	s_mov_b32 s29, exec_lo
	v_cmpx_ne_u16_e32 0x80, v2
	s_cbranch_execz .LBB250_200
; %bb.195:                              ;   in Loop: Header=BB250_9 Depth=1
	v_and_b32_e32 v43, 0xffff, v2
	v_mov_b32_e32 v41, 0x7c010000
	s_mov_b32 s30, exec_lo
	s_delay_alu instid0(VALU_DEP_2) | instskip(NEXT) | instid1(VALU_DEP_1)
	v_and_b32_e32 v45, 0x7f, v43
	v_cmpx_ne_u32_e32 0x7f, v45
	s_cbranch_execz .LBB250_199
; %bb.196:                              ;   in Loop: Header=BB250_9 Depth=1
	v_dual_lshrrev_b32 v44, 3, v45 :: v_dual_bitop2_b32 v41, 7, v43 bitop3:0x40
	s_mov_b32 s31, exec_lo
	v_cmpx_gt_u32_e32 8, v45
; %bb.197:                              ;   in Loop: Header=BB250_9 Depth=1
	s_delay_alu instid0(VALU_DEP_2) | instskip(NEXT) | instid1(VALU_DEP_1)
	v_clz_i32_u32_e32 v41, v41
	v_min_u32_e32 v41, 32, v41
	s_delay_alu instid0(VALU_DEP_1) | instskip(NEXT) | instid1(VALU_DEP_1)
	v_subrev_nc_u32_e32 v44, 28, v41
	v_lshlrev_b64_e32 v[46:47], v44, v[2:3]
	s_delay_alu instid0(VALU_DEP_1)
	v_dual_sub_nc_u32 v44, 29, v41 :: v_dual_bitop2_b32 v41, 7, v46 bitop3:0x40
; %bb.198:                              ;   in Loop: Header=BB250_9 Depth=1
	s_or_b32 exec_lo, exec_lo, s31
	s_delay_alu instid0(VALU_DEP_1) | instskip(NEXT) | instid1(VALU_DEP_2)
	v_dual_lshlrev_b32 v2, 8, v43 :: v_dual_lshlrev_b32 v41, 23, v41
	v_lshl_add_u32 v43, v44, 10, 0x2000
	s_delay_alu instid0(VALU_DEP_1) | instskip(NEXT) | instid1(VALU_DEP_1)
	v_and_or_b32 v2, 0x8000, v2, v43
	v_lshl_or_b32 v41, v2, 16, v41
.LBB250_199:                            ;   in Loop: Header=BB250_9 Depth=1
	s_or_b32 exec_lo, exec_lo, s30
.LBB250_200:                            ;   in Loop: Header=BB250_9 Depth=1
	s_delay_alu instid0(SALU_CYCLE_1)
	s_or_b32 exec_lo, exec_lo, s29
.LBB250_201:                            ;   in Loop: Header=BB250_9 Depth=1
	s_delay_alu instid0(SALU_CYCLE_1)
	s_or_b32 exec_lo, exec_lo, s28
	global_load_u16 v2, v[8:9], off offset:768
	v_mov_b32_e32 v43, 0
	s_wait_loadcnt 0x0
	v_and_b32_e32 v44, 0xff, v2
	v_and_b32_e32 v2, 0xffff, v2
	s_delay_alu instid0(VALU_DEP_2)
	v_cmp_ne_u16_e64 s4, 0, v44
	v_mov_b32_e32 v44, 0
	s_and_saveexec_b32 s28, s4
	s_cbranch_execz .LBB250_209
; %bb.202:                              ;   in Loop: Header=BB250_9 Depth=1
	v_and_b32_e32 v44, 0xff, v2
	s_delay_alu instid0(VALU_DEP_1)
	v_cmp_ne_u16_e64 s4, 0x80, v44
	v_mov_b32_e32 v44, 0x8000
	s_and_saveexec_b32 s29, s4
	s_cbranch_execz .LBB250_208
; %bb.203:                              ;   in Loop: Header=BB250_9 Depth=1
	v_and_b32_e32 v46, 0x7f, v2
	v_mov_b32_e32 v44, 0x7c01
	s_mov_b32 s30, exec_lo
	s_delay_alu instid0(VALU_DEP_2)
	v_cmpx_ne_u32_e32 0x7f, v46
	s_cbranch_execz .LBB250_207
; %bb.204:                              ;   in Loop: Header=BB250_9 Depth=1
	v_and_b32_e32 v44, 7, v2
	v_lshrrev_b32_e32 v45, 3, v46
	s_mov_b32 s31, exec_lo
	v_cmpx_gt_u32_e32 8, v46
; %bb.205:                              ;   in Loop: Header=BB250_9 Depth=1
	s_delay_alu instid0(VALU_DEP_3) | instskip(NEXT) | instid1(VALU_DEP_1)
	v_clz_i32_u32_e32 v44, v44
	v_min_u32_e32 v46, 32, v44
	s_delay_alu instid0(VALU_DEP_1) | instskip(NEXT) | instid1(VALU_DEP_1)
	v_subrev_nc_u32_e32 v44, 28, v46
	v_lshlrev_b64_e32 v[44:45], v44, v[2:3]
	s_delay_alu instid0(VALU_DEP_1)
	v_dual_sub_nc_u32 v45, 29, v46 :: v_dual_bitop2_b32 v44, 7, v44 bitop3:0x40
; %bb.206:                              ;   in Loop: Header=BB250_9 Depth=1
	s_or_b32 exec_lo, exec_lo, s31
	s_delay_alu instid0(VALU_DEP_1) | instskip(NEXT) | instid1(VALU_DEP_2)
	v_dual_lshlrev_b32 v46, 8, v2 :: v_dual_lshlrev_b32 v44, 7, v44
	v_lshl_add_u32 v45, v45, 10, 0x2000
	s_delay_alu instid0(VALU_DEP_2) | instskip(NEXT) | instid1(VALU_DEP_2)
	v_and_b32_e32 v46, 0x8000, v46
	v_and_b32_e32 v45, 0xfc00, v45
	s_delay_alu instid0(VALU_DEP_1)
	v_or3_b32 v44, v46, v45, v44
.LBB250_207:                            ;   in Loop: Header=BB250_9 Depth=1
	s_or_b32 exec_lo, exec_lo, s30
.LBB250_208:                            ;   in Loop: Header=BB250_9 Depth=1
	s_delay_alu instid0(SALU_CYCLE_1)
	s_or_b32 exec_lo, exec_lo, s29
.LBB250_209:                            ;   in Loop: Header=BB250_9 Depth=1
	s_delay_alu instid0(SALU_CYCLE_1) | instskip(SKIP_2) | instid1(VALU_DEP_1)
	s_or_b32 exec_lo, exec_lo, s28
	v_lshrrev_b16 v2, 8, v2
	s_mov_b32 s28, exec_lo
	v_cmpx_ne_u16_e32 0, v2
	s_cbranch_execz .LBB250_217
; %bb.210:                              ;   in Loop: Header=BB250_9 Depth=1
	v_bfrev_b32_e32 v43, 1
	s_mov_b32 s29, exec_lo
	v_cmpx_ne_u16_e32 0x80, v2
	s_cbranch_execz .LBB250_216
; %bb.211:                              ;   in Loop: Header=BB250_9 Depth=1
	v_and_b32_e32 v45, 0xffff, v2
	v_mov_b32_e32 v43, 0x7c010000
	s_mov_b32 s30, exec_lo
	s_delay_alu instid0(VALU_DEP_2) | instskip(NEXT) | instid1(VALU_DEP_1)
	v_and_b32_e32 v47, 0x7f, v45
	v_cmpx_ne_u32_e32 0x7f, v47
	s_cbranch_execz .LBB250_215
; %bb.212:                              ;   in Loop: Header=BB250_9 Depth=1
	v_dual_lshrrev_b32 v46, 3, v47 :: v_dual_bitop2_b32 v43, 7, v45 bitop3:0x40
	s_mov_b32 s31, exec_lo
	v_cmpx_gt_u32_e32 8, v47
; %bb.213:                              ;   in Loop: Header=BB250_9 Depth=1
	s_delay_alu instid0(VALU_DEP_2) | instskip(NEXT) | instid1(VALU_DEP_1)
	v_clz_i32_u32_e32 v43, v43
	v_min_u32_e32 v43, 32, v43
	s_delay_alu instid0(VALU_DEP_1) | instskip(NEXT) | instid1(VALU_DEP_1)
	v_subrev_nc_u32_e32 v46, 28, v43
	v_lshlrev_b64_e32 v[48:49], v46, v[2:3]
	s_delay_alu instid0(VALU_DEP_1)
	v_dual_sub_nc_u32 v46, 29, v43 :: v_dual_bitop2_b32 v43, 7, v48 bitop3:0x40
; %bb.214:                              ;   in Loop: Header=BB250_9 Depth=1
	s_or_b32 exec_lo, exec_lo, s31
	s_delay_alu instid0(VALU_DEP_1) | instskip(NEXT) | instid1(VALU_DEP_2)
	v_dual_lshlrev_b32 v2, 8, v45 :: v_dual_lshlrev_b32 v43, 23, v43
	v_lshl_add_u32 v45, v46, 10, 0x2000
	s_delay_alu instid0(VALU_DEP_1) | instskip(NEXT) | instid1(VALU_DEP_1)
	v_and_or_b32 v2, 0x8000, v2, v45
	v_lshl_or_b32 v43, v2, 16, v43
.LBB250_215:                            ;   in Loop: Header=BB250_9 Depth=1
	s_or_b32 exec_lo, exec_lo, s30
.LBB250_216:                            ;   in Loop: Header=BB250_9 Depth=1
	s_delay_alu instid0(SALU_CYCLE_1)
	s_or_b32 exec_lo, exec_lo, s29
.LBB250_217:                            ;   in Loop: Header=BB250_9 Depth=1
	s_delay_alu instid0(SALU_CYCLE_1)
	s_or_b32 exec_lo, exec_lo, s28
	global_load_u16 v2, v[8:9], off offset:776
	v_mov_b32_e32 v45, 0
	s_wait_loadcnt 0x0
	v_and_b32_e32 v46, 0xff, v2
	v_and_b32_e32 v2, 0xffff, v2
	s_delay_alu instid0(VALU_DEP_2)
	v_cmp_ne_u16_e64 s4, 0, v46
	v_mov_b32_e32 v46, 0
	s_and_saveexec_b32 s28, s4
	s_cbranch_execz .LBB250_225
; %bb.218:                              ;   in Loop: Header=BB250_9 Depth=1
	v_and_b32_e32 v46, 0xff, v2
	s_delay_alu instid0(VALU_DEP_1)
	v_cmp_ne_u16_e64 s4, 0x80, v46
	v_mov_b32_e32 v46, 0x8000
	s_and_saveexec_b32 s29, s4
	s_cbranch_execz .LBB250_224
; %bb.219:                              ;   in Loop: Header=BB250_9 Depth=1
	v_and_b32_e32 v48, 0x7f, v2
	v_mov_b32_e32 v46, 0x7c01
	s_mov_b32 s30, exec_lo
	s_delay_alu instid0(VALU_DEP_2)
	v_cmpx_ne_u32_e32 0x7f, v48
	s_cbranch_execz .LBB250_223
; %bb.220:                              ;   in Loop: Header=BB250_9 Depth=1
	v_dual_lshrrev_b32 v47, 3, v48 :: v_dual_bitop2_b32 v46, 7, v2 bitop3:0x40
	s_mov_b32 s31, exec_lo
	v_cmpx_gt_u32_e32 8, v48
; %bb.221:                              ;   in Loop: Header=BB250_9 Depth=1
	s_delay_alu instid0(VALU_DEP_2) | instskip(NEXT) | instid1(VALU_DEP_1)
	v_clz_i32_u32_e32 v46, v46
	v_min_u32_e32 v48, 32, v46
	s_delay_alu instid0(VALU_DEP_1) | instskip(NEXT) | instid1(VALU_DEP_1)
	v_subrev_nc_u32_e32 v46, 28, v48
	v_lshlrev_b64_e32 v[46:47], v46, v[2:3]
	s_delay_alu instid0(VALU_DEP_1)
	v_dual_sub_nc_u32 v47, 29, v48 :: v_dual_bitop2_b32 v46, 7, v46 bitop3:0x40
; %bb.222:                              ;   in Loop: Header=BB250_9 Depth=1
	s_or_b32 exec_lo, exec_lo, s31
	v_lshlrev_b32_e32 v48, 8, v2
	s_delay_alu instid0(VALU_DEP_2) | instskip(NEXT) | instid1(VALU_DEP_3)
	v_lshl_add_u32 v47, v47, 10, 0x2000
	v_lshlrev_b32_e32 v46, 7, v46
	s_delay_alu instid0(VALU_DEP_3) | instskip(NEXT) | instid1(VALU_DEP_3)
	v_and_b32_e32 v48, 0x8000, v48
	v_and_b32_e32 v47, 0xfc00, v47
	s_delay_alu instid0(VALU_DEP_1)
	v_or3_b32 v46, v48, v47, v46
.LBB250_223:                            ;   in Loop: Header=BB250_9 Depth=1
	s_or_b32 exec_lo, exec_lo, s30
.LBB250_224:                            ;   in Loop: Header=BB250_9 Depth=1
	s_delay_alu instid0(SALU_CYCLE_1)
	s_or_b32 exec_lo, exec_lo, s29
.LBB250_225:                            ;   in Loop: Header=BB250_9 Depth=1
	s_delay_alu instid0(SALU_CYCLE_1) | instskip(SKIP_2) | instid1(VALU_DEP_1)
	s_or_b32 exec_lo, exec_lo, s28
	v_lshrrev_b16 v2, 8, v2
	s_mov_b32 s28, exec_lo
	v_cmpx_ne_u16_e32 0, v2
	s_cbranch_execz .LBB250_233
; %bb.226:                              ;   in Loop: Header=BB250_9 Depth=1
	v_bfrev_b32_e32 v45, 1
	s_mov_b32 s29, exec_lo
	v_cmpx_ne_u16_e32 0x80, v2
	s_cbranch_execz .LBB250_232
; %bb.227:                              ;   in Loop: Header=BB250_9 Depth=1
	v_and_b32_e32 v47, 0xffff, v2
	v_mov_b32_e32 v45, 0x7c010000
	s_mov_b32 s30, exec_lo
	s_delay_alu instid0(VALU_DEP_2) | instskip(NEXT) | instid1(VALU_DEP_1)
	v_and_b32_e32 v49, 0x7f, v47
	v_cmpx_ne_u32_e32 0x7f, v49
	s_cbranch_execz .LBB250_231
; %bb.228:                              ;   in Loop: Header=BB250_9 Depth=1
	v_dual_lshrrev_b32 v48, 3, v49 :: v_dual_bitop2_b32 v45, 7, v47 bitop3:0x40
	s_mov_b32 s31, exec_lo
	v_cmpx_gt_u32_e32 8, v49
; %bb.229:                              ;   in Loop: Header=BB250_9 Depth=1
	s_delay_alu instid0(VALU_DEP_2) | instskip(NEXT) | instid1(VALU_DEP_1)
	v_clz_i32_u32_e32 v45, v45
	v_min_u32_e32 v45, 32, v45
	s_delay_alu instid0(VALU_DEP_1) | instskip(NEXT) | instid1(VALU_DEP_1)
	v_subrev_nc_u32_e32 v48, 28, v45
	v_lshlrev_b64_e32 v[50:51], v48, v[2:3]
	s_delay_alu instid0(VALU_DEP_1)
	v_dual_sub_nc_u32 v48, 29, v45 :: v_dual_bitop2_b32 v45, 7, v50 bitop3:0x40
; %bb.230:                              ;   in Loop: Header=BB250_9 Depth=1
	s_or_b32 exec_lo, exec_lo, s31
	s_delay_alu instid0(VALU_DEP_1) | instskip(NEXT) | instid1(VALU_DEP_2)
	v_dual_lshlrev_b32 v2, 8, v47 :: v_dual_lshlrev_b32 v45, 23, v45
	v_lshl_add_u32 v47, v48, 10, 0x2000
	s_delay_alu instid0(VALU_DEP_1) | instskip(NEXT) | instid1(VALU_DEP_1)
	v_and_or_b32 v2, 0x8000, v2, v47
	v_lshl_or_b32 v45, v2, 16, v45
.LBB250_231:                            ;   in Loop: Header=BB250_9 Depth=1
	s_or_b32 exec_lo, exec_lo, s30
.LBB250_232:                            ;   in Loop: Header=BB250_9 Depth=1
	s_delay_alu instid0(SALU_CYCLE_1)
	s_or_b32 exec_lo, exec_lo, s29
.LBB250_233:                            ;   in Loop: Header=BB250_9 Depth=1
	s_delay_alu instid0(SALU_CYCLE_1)
	s_or_b32 exec_lo, exec_lo, s28
	global_load_u16 v2, v[8:9], off offset:896
	v_mov_b32_e32 v47, 0
	s_wait_loadcnt 0x0
	v_and_b32_e32 v48, 0xff, v2
	v_and_b32_e32 v2, 0xffff, v2
	s_delay_alu instid0(VALU_DEP_2)
	v_cmp_ne_u16_e64 s4, 0, v48
	v_mov_b32_e32 v48, 0
	s_and_saveexec_b32 s28, s4
	s_cbranch_execz .LBB250_241
; %bb.234:                              ;   in Loop: Header=BB250_9 Depth=1
	v_and_b32_e32 v48, 0xff, v2
	s_delay_alu instid0(VALU_DEP_1)
	v_cmp_ne_u16_e64 s4, 0x80, v48
	v_mov_b32_e32 v48, 0x8000
	s_and_saveexec_b32 s29, s4
	s_cbranch_execz .LBB250_240
; %bb.235:                              ;   in Loop: Header=BB250_9 Depth=1
	v_and_b32_e32 v50, 0x7f, v2
	v_mov_b32_e32 v48, 0x7c01
	s_mov_b32 s30, exec_lo
	s_delay_alu instid0(VALU_DEP_2)
	v_cmpx_ne_u32_e32 0x7f, v50
	s_cbranch_execz .LBB250_239
; %bb.236:                              ;   in Loop: Header=BB250_9 Depth=1
	v_and_b32_e32 v48, 7, v2
	v_lshrrev_b32_e32 v49, 3, v50
	s_mov_b32 s31, exec_lo
	v_cmpx_gt_u32_e32 8, v50
; %bb.237:                              ;   in Loop: Header=BB250_9 Depth=1
	s_delay_alu instid0(VALU_DEP_3) | instskip(NEXT) | instid1(VALU_DEP_1)
	v_clz_i32_u32_e32 v48, v48
	v_min_u32_e32 v50, 32, v48
	s_delay_alu instid0(VALU_DEP_1) | instskip(NEXT) | instid1(VALU_DEP_1)
	v_subrev_nc_u32_e32 v48, 28, v50
	v_lshlrev_b64_e32 v[48:49], v48, v[2:3]
	s_delay_alu instid0(VALU_DEP_1)
	v_dual_sub_nc_u32 v49, 29, v50 :: v_dual_bitop2_b32 v48, 7, v48 bitop3:0x40
; %bb.238:                              ;   in Loop: Header=BB250_9 Depth=1
	s_or_b32 exec_lo, exec_lo, s31
	s_delay_alu instid0(VALU_DEP_1) | instskip(NEXT) | instid1(VALU_DEP_2)
	v_dual_lshlrev_b32 v50, 8, v2 :: v_dual_lshlrev_b32 v48, 7, v48
	v_lshl_add_u32 v49, v49, 10, 0x2000
	s_delay_alu instid0(VALU_DEP_2) | instskip(NEXT) | instid1(VALU_DEP_2)
	v_and_b32_e32 v50, 0x8000, v50
	v_and_b32_e32 v49, 0xfc00, v49
	s_delay_alu instid0(VALU_DEP_1)
	v_or3_b32 v48, v50, v49, v48
.LBB250_239:                            ;   in Loop: Header=BB250_9 Depth=1
	s_or_b32 exec_lo, exec_lo, s30
.LBB250_240:                            ;   in Loop: Header=BB250_9 Depth=1
	s_delay_alu instid0(SALU_CYCLE_1)
	s_or_b32 exec_lo, exec_lo, s29
.LBB250_241:                            ;   in Loop: Header=BB250_9 Depth=1
	s_delay_alu instid0(SALU_CYCLE_1) | instskip(SKIP_2) | instid1(VALU_DEP_1)
	s_or_b32 exec_lo, exec_lo, s28
	v_lshrrev_b16 v2, 8, v2
	s_mov_b32 s28, exec_lo
	v_cmpx_ne_u16_e32 0, v2
	s_cbranch_execz .LBB250_249
; %bb.242:                              ;   in Loop: Header=BB250_9 Depth=1
	v_bfrev_b32_e32 v47, 1
	s_mov_b32 s29, exec_lo
	v_cmpx_ne_u16_e32 0x80, v2
	s_cbranch_execz .LBB250_248
; %bb.243:                              ;   in Loop: Header=BB250_9 Depth=1
	v_and_b32_e32 v49, 0xffff, v2
	v_mov_b32_e32 v47, 0x7c010000
	s_mov_b32 s30, exec_lo
	s_delay_alu instid0(VALU_DEP_2) | instskip(NEXT) | instid1(VALU_DEP_1)
	v_and_b32_e32 v51, 0x7f, v49
	v_cmpx_ne_u32_e32 0x7f, v51
	s_cbranch_execz .LBB250_247
; %bb.244:                              ;   in Loop: Header=BB250_9 Depth=1
	v_dual_lshrrev_b32 v50, 3, v51 :: v_dual_bitop2_b32 v47, 7, v49 bitop3:0x40
	s_mov_b32 s31, exec_lo
	v_cmpx_gt_u32_e32 8, v51
; %bb.245:                              ;   in Loop: Header=BB250_9 Depth=1
	s_delay_alu instid0(VALU_DEP_2) | instskip(NEXT) | instid1(VALU_DEP_1)
	v_clz_i32_u32_e32 v47, v47
	v_min_u32_e32 v47, 32, v47
	s_delay_alu instid0(VALU_DEP_1) | instskip(NEXT) | instid1(VALU_DEP_1)
	v_subrev_nc_u32_e32 v50, 28, v47
	v_lshlrev_b64_e32 v[52:53], v50, v[2:3]
	s_delay_alu instid0(VALU_DEP_1)
	v_dual_sub_nc_u32 v50, 29, v47 :: v_dual_bitop2_b32 v47, 7, v52 bitop3:0x40
; %bb.246:                              ;   in Loop: Header=BB250_9 Depth=1
	s_or_b32 exec_lo, exec_lo, s31
	s_delay_alu instid0(VALU_DEP_1) | instskip(NEXT) | instid1(VALU_DEP_2)
	v_dual_lshlrev_b32 v2, 8, v49 :: v_dual_lshlrev_b32 v47, 23, v47
	v_lshl_add_u32 v49, v50, 10, 0x2000
	s_delay_alu instid0(VALU_DEP_1) | instskip(NEXT) | instid1(VALU_DEP_1)
	v_and_or_b32 v2, 0x8000, v2, v49
	v_lshl_or_b32 v47, v2, 16, v47
.LBB250_247:                            ;   in Loop: Header=BB250_9 Depth=1
	s_or_b32 exec_lo, exec_lo, s30
.LBB250_248:                            ;   in Loop: Header=BB250_9 Depth=1
	s_delay_alu instid0(SALU_CYCLE_1)
	s_or_b32 exec_lo, exec_lo, s29
.LBB250_249:                            ;   in Loop: Header=BB250_9 Depth=1
	s_delay_alu instid0(SALU_CYCLE_1)
	s_or_b32 exec_lo, exec_lo, s28
	global_load_u16 v2, v[8:9], off offset:904
	v_mov_b32_e32 v49, 0
	s_wait_loadcnt 0x0
	v_and_b32_e32 v50, 0xff, v2
	v_and_b32_e32 v2, 0xffff, v2
	s_delay_alu instid0(VALU_DEP_2)
	v_cmp_ne_u16_e64 s4, 0, v50
	v_mov_b32_e32 v50, 0
	s_and_saveexec_b32 s28, s4
	s_cbranch_execz .LBB250_257
; %bb.250:                              ;   in Loop: Header=BB250_9 Depth=1
	v_and_b32_e32 v50, 0xff, v2
	s_delay_alu instid0(VALU_DEP_1)
	v_cmp_ne_u16_e64 s4, 0x80, v50
	v_mov_b32_e32 v50, 0x8000
	s_and_saveexec_b32 s29, s4
	s_cbranch_execz .LBB250_256
; %bb.251:                              ;   in Loop: Header=BB250_9 Depth=1
	v_and_b32_e32 v52, 0x7f, v2
	v_mov_b32_e32 v50, 0x7c01
	s_mov_b32 s30, exec_lo
	s_delay_alu instid0(VALU_DEP_2)
	v_cmpx_ne_u32_e32 0x7f, v52
	s_cbranch_execz .LBB250_255
; %bb.252:                              ;   in Loop: Header=BB250_9 Depth=1
	v_dual_lshrrev_b32 v51, 3, v52 :: v_dual_bitop2_b32 v50, 7, v2 bitop3:0x40
	s_mov_b32 s31, exec_lo
	v_cmpx_gt_u32_e32 8, v52
; %bb.253:                              ;   in Loop: Header=BB250_9 Depth=1
	s_delay_alu instid0(VALU_DEP_2) | instskip(NEXT) | instid1(VALU_DEP_1)
	v_clz_i32_u32_e32 v50, v50
	v_min_u32_e32 v52, 32, v50
	s_delay_alu instid0(VALU_DEP_1) | instskip(NEXT) | instid1(VALU_DEP_1)
	v_subrev_nc_u32_e32 v50, 28, v52
	v_lshlrev_b64_e32 v[50:51], v50, v[2:3]
	s_delay_alu instid0(VALU_DEP_1)
	v_dual_sub_nc_u32 v51, 29, v52 :: v_dual_bitop2_b32 v50, 7, v50 bitop3:0x40
; %bb.254:                              ;   in Loop: Header=BB250_9 Depth=1
	s_or_b32 exec_lo, exec_lo, s31
	v_lshlrev_b32_e32 v52, 8, v2
	s_delay_alu instid0(VALU_DEP_2) | instskip(NEXT) | instid1(VALU_DEP_3)
	v_lshl_add_u32 v51, v51, 10, 0x2000
	v_lshlrev_b32_e32 v50, 7, v50
	s_delay_alu instid0(VALU_DEP_3) | instskip(NEXT) | instid1(VALU_DEP_3)
	v_and_b32_e32 v52, 0x8000, v52
	v_and_b32_e32 v51, 0xfc00, v51
	s_delay_alu instid0(VALU_DEP_1)
	v_or3_b32 v50, v52, v51, v50
.LBB250_255:                            ;   in Loop: Header=BB250_9 Depth=1
	s_or_b32 exec_lo, exec_lo, s30
.LBB250_256:                            ;   in Loop: Header=BB250_9 Depth=1
	s_delay_alu instid0(SALU_CYCLE_1)
	s_or_b32 exec_lo, exec_lo, s29
.LBB250_257:                            ;   in Loop: Header=BB250_9 Depth=1
	s_delay_alu instid0(SALU_CYCLE_1) | instskip(SKIP_2) | instid1(VALU_DEP_1)
	s_or_b32 exec_lo, exec_lo, s28
	v_lshrrev_b16 v2, 8, v2
	s_mov_b32 s28, exec_lo
	v_cmpx_ne_u16_e32 0, v2
	s_cbranch_execz .LBB250_265
; %bb.258:                              ;   in Loop: Header=BB250_9 Depth=1
	v_bfrev_b32_e32 v49, 1
	s_mov_b32 s29, exec_lo
	v_cmpx_ne_u16_e32 0x80, v2
	s_cbranch_execz .LBB250_264
; %bb.259:                              ;   in Loop: Header=BB250_9 Depth=1
	v_and_b32_e32 v51, 0xffff, v2
	v_mov_b32_e32 v49, 0x7c010000
	s_mov_b32 s30, exec_lo
	s_delay_alu instid0(VALU_DEP_2) | instskip(NEXT) | instid1(VALU_DEP_1)
	v_and_b32_e32 v53, 0x7f, v51
	v_cmpx_ne_u32_e32 0x7f, v53
	s_cbranch_execz .LBB250_263
; %bb.260:                              ;   in Loop: Header=BB250_9 Depth=1
	v_dual_lshrrev_b32 v52, 3, v53 :: v_dual_bitop2_b32 v49, 7, v51 bitop3:0x40
	s_mov_b32 s31, exec_lo
	v_cmpx_gt_u32_e32 8, v53
; %bb.261:                              ;   in Loop: Header=BB250_9 Depth=1
	s_delay_alu instid0(VALU_DEP_2) | instskip(NEXT) | instid1(VALU_DEP_1)
	v_clz_i32_u32_e32 v49, v49
	v_min_u32_e32 v49, 32, v49
	s_delay_alu instid0(VALU_DEP_1) | instskip(NEXT) | instid1(VALU_DEP_1)
	v_subrev_nc_u32_e32 v52, 28, v49
	v_lshlrev_b64_e32 v[54:55], v52, v[2:3]
	s_delay_alu instid0(VALU_DEP_1)
	v_dual_sub_nc_u32 v52, 29, v49 :: v_dual_bitop2_b32 v49, 7, v54 bitop3:0x40
; %bb.262:                              ;   in Loop: Header=BB250_9 Depth=1
	s_or_b32 exec_lo, exec_lo, s31
	s_delay_alu instid0(VALU_DEP_1) | instskip(NEXT) | instid1(VALU_DEP_2)
	v_dual_lshlrev_b32 v2, 8, v51 :: v_dual_lshlrev_b32 v49, 23, v49
	v_lshl_add_u32 v51, v52, 10, 0x2000
	s_delay_alu instid0(VALU_DEP_1) | instskip(NEXT) | instid1(VALU_DEP_1)
	v_and_or_b32 v2, 0x8000, v2, v51
	v_lshl_or_b32 v49, v2, 16, v49
.LBB250_263:                            ;   in Loop: Header=BB250_9 Depth=1
	s_or_b32 exec_lo, exec_lo, s30
.LBB250_264:                            ;   in Loop: Header=BB250_9 Depth=1
	s_delay_alu instid0(SALU_CYCLE_1)
	s_or_b32 exec_lo, exec_lo, s29
.LBB250_265:                            ;   in Loop: Header=BB250_9 Depth=1
	s_delay_alu instid0(SALU_CYCLE_1)
	s_or_b32 exec_lo, exec_lo, s28
	global_load_u16 v2, v[8:9], off offset:1024
	v_mov_b32_e32 v51, 0
	s_wait_loadcnt 0x0
	v_and_b32_e32 v52, 0xff, v2
	v_and_b32_e32 v2, 0xffff, v2
	s_delay_alu instid0(VALU_DEP_2)
	v_cmp_ne_u16_e64 s4, 0, v52
	v_mov_b32_e32 v52, 0
	s_and_saveexec_b32 s28, s4
	s_cbranch_execz .LBB250_273
; %bb.266:                              ;   in Loop: Header=BB250_9 Depth=1
	v_and_b32_e32 v52, 0xff, v2
	s_delay_alu instid0(VALU_DEP_1)
	v_cmp_ne_u16_e64 s4, 0x80, v52
	v_mov_b32_e32 v52, 0x8000
	s_and_saveexec_b32 s29, s4
	s_cbranch_execz .LBB250_272
; %bb.267:                              ;   in Loop: Header=BB250_9 Depth=1
	v_and_b32_e32 v54, 0x7f, v2
	v_mov_b32_e32 v52, 0x7c01
	s_mov_b32 s30, exec_lo
	s_delay_alu instid0(VALU_DEP_2)
	v_cmpx_ne_u32_e32 0x7f, v54
	s_cbranch_execz .LBB250_271
; %bb.268:                              ;   in Loop: Header=BB250_9 Depth=1
	v_and_b32_e32 v52, 7, v2
	v_lshrrev_b32_e32 v53, 3, v54
	s_mov_b32 s31, exec_lo
	v_cmpx_gt_u32_e32 8, v54
; %bb.269:                              ;   in Loop: Header=BB250_9 Depth=1
	s_delay_alu instid0(VALU_DEP_3) | instskip(NEXT) | instid1(VALU_DEP_1)
	v_clz_i32_u32_e32 v52, v52
	v_min_u32_e32 v54, 32, v52
	s_delay_alu instid0(VALU_DEP_1) | instskip(NEXT) | instid1(VALU_DEP_1)
	v_subrev_nc_u32_e32 v52, 28, v54
	v_lshlrev_b64_e32 v[52:53], v52, v[2:3]
	s_delay_alu instid0(VALU_DEP_1)
	v_dual_sub_nc_u32 v53, 29, v54 :: v_dual_bitop2_b32 v52, 7, v52 bitop3:0x40
; %bb.270:                              ;   in Loop: Header=BB250_9 Depth=1
	s_or_b32 exec_lo, exec_lo, s31
	s_delay_alu instid0(VALU_DEP_1) | instskip(NEXT) | instid1(VALU_DEP_2)
	v_dual_lshlrev_b32 v54, 8, v2 :: v_dual_lshlrev_b32 v52, 7, v52
	v_lshl_add_u32 v53, v53, 10, 0x2000
	s_delay_alu instid0(VALU_DEP_2) | instskip(NEXT) | instid1(VALU_DEP_2)
	v_and_b32_e32 v54, 0x8000, v54
	v_and_b32_e32 v53, 0xfc00, v53
	s_delay_alu instid0(VALU_DEP_1)
	v_or3_b32 v52, v54, v53, v52
.LBB250_271:                            ;   in Loop: Header=BB250_9 Depth=1
	s_or_b32 exec_lo, exec_lo, s30
.LBB250_272:                            ;   in Loop: Header=BB250_9 Depth=1
	s_delay_alu instid0(SALU_CYCLE_1)
	s_or_b32 exec_lo, exec_lo, s29
.LBB250_273:                            ;   in Loop: Header=BB250_9 Depth=1
	s_delay_alu instid0(SALU_CYCLE_1) | instskip(SKIP_2) | instid1(VALU_DEP_1)
	s_or_b32 exec_lo, exec_lo, s28
	v_lshrrev_b16 v2, 8, v2
	s_mov_b32 s28, exec_lo
	v_cmpx_ne_u16_e32 0, v2
	s_cbranch_execz .LBB250_281
; %bb.274:                              ;   in Loop: Header=BB250_9 Depth=1
	v_bfrev_b32_e32 v51, 1
	s_mov_b32 s29, exec_lo
	v_cmpx_ne_u16_e32 0x80, v2
	s_cbranch_execz .LBB250_280
; %bb.275:                              ;   in Loop: Header=BB250_9 Depth=1
	v_and_b32_e32 v53, 0xffff, v2
	v_mov_b32_e32 v51, 0x7c010000
	s_mov_b32 s30, exec_lo
	s_delay_alu instid0(VALU_DEP_2) | instskip(NEXT) | instid1(VALU_DEP_1)
	v_and_b32_e32 v55, 0x7f, v53
	v_cmpx_ne_u32_e32 0x7f, v55
	s_cbranch_execz .LBB250_279
; %bb.276:                              ;   in Loop: Header=BB250_9 Depth=1
	v_dual_lshrrev_b32 v54, 3, v55 :: v_dual_bitop2_b32 v51, 7, v53 bitop3:0x40
	s_mov_b32 s31, exec_lo
	v_cmpx_gt_u32_e32 8, v55
; %bb.277:                              ;   in Loop: Header=BB250_9 Depth=1
	s_delay_alu instid0(VALU_DEP_2) | instskip(NEXT) | instid1(VALU_DEP_1)
	v_clz_i32_u32_e32 v51, v51
	v_min_u32_e32 v51, 32, v51
	s_delay_alu instid0(VALU_DEP_1) | instskip(NEXT) | instid1(VALU_DEP_1)
	v_subrev_nc_u32_e32 v54, 28, v51
	v_lshlrev_b64_e32 v[56:57], v54, v[2:3]
	s_delay_alu instid0(VALU_DEP_1)
	v_dual_sub_nc_u32 v54, 29, v51 :: v_dual_bitop2_b32 v51, 7, v56 bitop3:0x40
; %bb.278:                              ;   in Loop: Header=BB250_9 Depth=1
	s_or_b32 exec_lo, exec_lo, s31
	s_delay_alu instid0(VALU_DEP_1) | instskip(NEXT) | instid1(VALU_DEP_2)
	v_dual_lshlrev_b32 v2, 8, v53 :: v_dual_lshlrev_b32 v51, 23, v51
	v_lshl_add_u32 v53, v54, 10, 0x2000
	s_delay_alu instid0(VALU_DEP_1) | instskip(NEXT) | instid1(VALU_DEP_1)
	v_and_or_b32 v2, 0x8000, v2, v53
	v_lshl_or_b32 v51, v2, 16, v51
.LBB250_279:                            ;   in Loop: Header=BB250_9 Depth=1
	s_or_b32 exec_lo, exec_lo, s30
.LBB250_280:                            ;   in Loop: Header=BB250_9 Depth=1
	s_delay_alu instid0(SALU_CYCLE_1)
	s_or_b32 exec_lo, exec_lo, s29
.LBB250_281:                            ;   in Loop: Header=BB250_9 Depth=1
	s_delay_alu instid0(SALU_CYCLE_1)
	s_or_b32 exec_lo, exec_lo, s28
	global_load_u16 v2, v[8:9], off offset:1032
	v_mov_b32_e32 v53, 0
	s_wait_loadcnt 0x0
	v_and_b32_e32 v54, 0xff, v2
	v_and_b32_e32 v2, 0xffff, v2
	s_delay_alu instid0(VALU_DEP_2)
	v_cmp_ne_u16_e64 s4, 0, v54
	v_mov_b32_e32 v54, 0
	s_and_saveexec_b32 s28, s4
	s_cbranch_execz .LBB250_289
; %bb.282:                              ;   in Loop: Header=BB250_9 Depth=1
	v_and_b32_e32 v54, 0xff, v2
	s_delay_alu instid0(VALU_DEP_1)
	v_cmp_ne_u16_e64 s4, 0x80, v54
	v_mov_b32_e32 v54, 0x8000
	s_and_saveexec_b32 s29, s4
	s_cbranch_execz .LBB250_288
; %bb.283:                              ;   in Loop: Header=BB250_9 Depth=1
	v_and_b32_e32 v56, 0x7f, v2
	v_mov_b32_e32 v54, 0x7c01
	s_mov_b32 s30, exec_lo
	s_delay_alu instid0(VALU_DEP_2)
	v_cmpx_ne_u32_e32 0x7f, v56
	s_cbranch_execz .LBB250_287
; %bb.284:                              ;   in Loop: Header=BB250_9 Depth=1
	v_dual_lshrrev_b32 v55, 3, v56 :: v_dual_bitop2_b32 v54, 7, v2 bitop3:0x40
	s_mov_b32 s31, exec_lo
	v_cmpx_gt_u32_e32 8, v56
; %bb.285:                              ;   in Loop: Header=BB250_9 Depth=1
	s_delay_alu instid0(VALU_DEP_2) | instskip(NEXT) | instid1(VALU_DEP_1)
	v_clz_i32_u32_e32 v54, v54
	v_min_u32_e32 v56, 32, v54
	s_delay_alu instid0(VALU_DEP_1) | instskip(NEXT) | instid1(VALU_DEP_1)
	v_subrev_nc_u32_e32 v54, 28, v56
	v_lshlrev_b64_e32 v[54:55], v54, v[2:3]
	s_delay_alu instid0(VALU_DEP_1)
	v_dual_sub_nc_u32 v55, 29, v56 :: v_dual_bitop2_b32 v54, 7, v54 bitop3:0x40
; %bb.286:                              ;   in Loop: Header=BB250_9 Depth=1
	s_or_b32 exec_lo, exec_lo, s31
	v_lshlrev_b32_e32 v56, 8, v2
	s_delay_alu instid0(VALU_DEP_2) | instskip(NEXT) | instid1(VALU_DEP_3)
	v_lshl_add_u32 v55, v55, 10, 0x2000
	v_lshlrev_b32_e32 v54, 7, v54
	s_delay_alu instid0(VALU_DEP_3) | instskip(NEXT) | instid1(VALU_DEP_3)
	v_and_b32_e32 v56, 0x8000, v56
	v_and_b32_e32 v55, 0xfc00, v55
	s_delay_alu instid0(VALU_DEP_1)
	v_or3_b32 v54, v56, v55, v54
.LBB250_287:                            ;   in Loop: Header=BB250_9 Depth=1
	s_or_b32 exec_lo, exec_lo, s30
.LBB250_288:                            ;   in Loop: Header=BB250_9 Depth=1
	s_delay_alu instid0(SALU_CYCLE_1)
	s_or_b32 exec_lo, exec_lo, s29
.LBB250_289:                            ;   in Loop: Header=BB250_9 Depth=1
	s_delay_alu instid0(SALU_CYCLE_1) | instskip(SKIP_2) | instid1(VALU_DEP_1)
	s_or_b32 exec_lo, exec_lo, s28
	v_lshrrev_b16 v2, 8, v2
	s_mov_b32 s28, exec_lo
	v_cmpx_ne_u16_e32 0, v2
	s_cbranch_execz .LBB250_297
; %bb.290:                              ;   in Loop: Header=BB250_9 Depth=1
	v_bfrev_b32_e32 v53, 1
	s_mov_b32 s29, exec_lo
	v_cmpx_ne_u16_e32 0x80, v2
	s_cbranch_execz .LBB250_296
; %bb.291:                              ;   in Loop: Header=BB250_9 Depth=1
	v_and_b32_e32 v55, 0xffff, v2
	v_mov_b32_e32 v53, 0x7c010000
	s_mov_b32 s30, exec_lo
	s_delay_alu instid0(VALU_DEP_2) | instskip(NEXT) | instid1(VALU_DEP_1)
	v_and_b32_e32 v57, 0x7f, v55
	v_cmpx_ne_u32_e32 0x7f, v57
	s_cbranch_execz .LBB250_295
; %bb.292:                              ;   in Loop: Header=BB250_9 Depth=1
	v_dual_lshrrev_b32 v56, 3, v57 :: v_dual_bitop2_b32 v53, 7, v55 bitop3:0x40
	s_mov_b32 s31, exec_lo
	v_cmpx_gt_u32_e32 8, v57
; %bb.293:                              ;   in Loop: Header=BB250_9 Depth=1
	s_delay_alu instid0(VALU_DEP_2) | instskip(NEXT) | instid1(VALU_DEP_1)
	v_clz_i32_u32_e32 v53, v53
	v_min_u32_e32 v53, 32, v53
	s_delay_alu instid0(VALU_DEP_1) | instskip(NEXT) | instid1(VALU_DEP_1)
	v_subrev_nc_u32_e32 v56, 28, v53
	v_lshlrev_b64_e32 v[58:59], v56, v[2:3]
	s_delay_alu instid0(VALU_DEP_1)
	v_dual_sub_nc_u32 v56, 29, v53 :: v_dual_bitop2_b32 v53, 7, v58 bitop3:0x40
; %bb.294:                              ;   in Loop: Header=BB250_9 Depth=1
	s_or_b32 exec_lo, exec_lo, s31
	s_delay_alu instid0(VALU_DEP_1) | instskip(NEXT) | instid1(VALU_DEP_2)
	v_dual_lshlrev_b32 v2, 8, v55 :: v_dual_lshlrev_b32 v53, 23, v53
	v_lshl_add_u32 v55, v56, 10, 0x2000
	s_delay_alu instid0(VALU_DEP_1) | instskip(NEXT) | instid1(VALU_DEP_1)
	v_and_or_b32 v2, 0x8000, v2, v55
	v_lshl_or_b32 v53, v2, 16, v53
.LBB250_295:                            ;   in Loop: Header=BB250_9 Depth=1
	s_or_b32 exec_lo, exec_lo, s30
.LBB250_296:                            ;   in Loop: Header=BB250_9 Depth=1
	s_delay_alu instid0(SALU_CYCLE_1)
	s_or_b32 exec_lo, exec_lo, s29
.LBB250_297:                            ;   in Loop: Header=BB250_9 Depth=1
	s_delay_alu instid0(SALU_CYCLE_1)
	s_or_b32 exec_lo, exec_lo, s28
	global_load_u16 v2, v[8:9], off offset:1152
	v_mov_b32_e32 v55, 0
	s_wait_loadcnt 0x0
	v_and_b32_e32 v56, 0xff, v2
	v_and_b32_e32 v2, 0xffff, v2
	s_delay_alu instid0(VALU_DEP_2)
	v_cmp_ne_u16_e64 s4, 0, v56
	v_mov_b32_e32 v56, 0
	s_and_saveexec_b32 s28, s4
	s_cbranch_execz .LBB250_305
; %bb.298:                              ;   in Loop: Header=BB250_9 Depth=1
	v_and_b32_e32 v56, 0xff, v2
	s_delay_alu instid0(VALU_DEP_1)
	v_cmp_ne_u16_e64 s4, 0x80, v56
	v_mov_b32_e32 v56, 0x8000
	s_and_saveexec_b32 s29, s4
	s_cbranch_execz .LBB250_304
; %bb.299:                              ;   in Loop: Header=BB250_9 Depth=1
	v_and_b32_e32 v58, 0x7f, v2
	v_mov_b32_e32 v56, 0x7c01
	s_mov_b32 s30, exec_lo
	s_delay_alu instid0(VALU_DEP_2)
	v_cmpx_ne_u32_e32 0x7f, v58
	s_cbranch_execz .LBB250_303
; %bb.300:                              ;   in Loop: Header=BB250_9 Depth=1
	v_and_b32_e32 v56, 7, v2
	v_lshrrev_b32_e32 v57, 3, v58
	s_mov_b32 s31, exec_lo
	v_cmpx_gt_u32_e32 8, v58
; %bb.301:                              ;   in Loop: Header=BB250_9 Depth=1
	s_delay_alu instid0(VALU_DEP_3) | instskip(NEXT) | instid1(VALU_DEP_1)
	v_clz_i32_u32_e32 v56, v56
	v_min_u32_e32 v58, 32, v56
	s_delay_alu instid0(VALU_DEP_1) | instskip(NEXT) | instid1(VALU_DEP_1)
	v_subrev_nc_u32_e32 v56, 28, v58
	v_lshlrev_b64_e32 v[56:57], v56, v[2:3]
	s_delay_alu instid0(VALU_DEP_1)
	v_dual_sub_nc_u32 v57, 29, v58 :: v_dual_bitop2_b32 v56, 7, v56 bitop3:0x40
; %bb.302:                              ;   in Loop: Header=BB250_9 Depth=1
	s_or_b32 exec_lo, exec_lo, s31
	s_delay_alu instid0(VALU_DEP_1) | instskip(NEXT) | instid1(VALU_DEP_2)
	v_dual_lshlrev_b32 v58, 8, v2 :: v_dual_lshlrev_b32 v56, 7, v56
	v_lshl_add_u32 v57, v57, 10, 0x2000
	s_delay_alu instid0(VALU_DEP_2) | instskip(NEXT) | instid1(VALU_DEP_2)
	v_and_b32_e32 v58, 0x8000, v58
	v_and_b32_e32 v57, 0xfc00, v57
	s_delay_alu instid0(VALU_DEP_1)
	v_or3_b32 v56, v58, v57, v56
.LBB250_303:                            ;   in Loop: Header=BB250_9 Depth=1
	s_or_b32 exec_lo, exec_lo, s30
.LBB250_304:                            ;   in Loop: Header=BB250_9 Depth=1
	s_delay_alu instid0(SALU_CYCLE_1)
	s_or_b32 exec_lo, exec_lo, s29
.LBB250_305:                            ;   in Loop: Header=BB250_9 Depth=1
	s_delay_alu instid0(SALU_CYCLE_1) | instskip(SKIP_2) | instid1(VALU_DEP_1)
	s_or_b32 exec_lo, exec_lo, s28
	v_lshrrev_b16 v2, 8, v2
	s_mov_b32 s28, exec_lo
	v_cmpx_ne_u16_e32 0, v2
	s_cbranch_execz .LBB250_313
; %bb.306:                              ;   in Loop: Header=BB250_9 Depth=1
	v_bfrev_b32_e32 v55, 1
	s_mov_b32 s29, exec_lo
	v_cmpx_ne_u16_e32 0x80, v2
	s_cbranch_execz .LBB250_312
; %bb.307:                              ;   in Loop: Header=BB250_9 Depth=1
	v_and_b32_e32 v57, 0xffff, v2
	v_mov_b32_e32 v55, 0x7c010000
	s_mov_b32 s30, exec_lo
	s_delay_alu instid0(VALU_DEP_2) | instskip(NEXT) | instid1(VALU_DEP_1)
	v_and_b32_e32 v59, 0x7f, v57
	v_cmpx_ne_u32_e32 0x7f, v59
	s_cbranch_execz .LBB250_311
; %bb.308:                              ;   in Loop: Header=BB250_9 Depth=1
	v_dual_lshrrev_b32 v58, 3, v59 :: v_dual_bitop2_b32 v55, 7, v57 bitop3:0x40
	s_mov_b32 s31, exec_lo
	v_cmpx_gt_u32_e32 8, v59
; %bb.309:                              ;   in Loop: Header=BB250_9 Depth=1
	s_delay_alu instid0(VALU_DEP_2) | instskip(NEXT) | instid1(VALU_DEP_1)
	v_clz_i32_u32_e32 v55, v55
	v_min_u32_e32 v55, 32, v55
	s_delay_alu instid0(VALU_DEP_1) | instskip(NEXT) | instid1(VALU_DEP_1)
	v_subrev_nc_u32_e32 v58, 28, v55
	v_lshlrev_b64_e32 v[60:61], v58, v[2:3]
	s_delay_alu instid0(VALU_DEP_1)
	v_dual_sub_nc_u32 v58, 29, v55 :: v_dual_bitop2_b32 v55, 7, v60 bitop3:0x40
; %bb.310:                              ;   in Loop: Header=BB250_9 Depth=1
	s_or_b32 exec_lo, exec_lo, s31
	s_delay_alu instid0(VALU_DEP_1) | instskip(NEXT) | instid1(VALU_DEP_2)
	v_dual_lshlrev_b32 v2, 8, v57 :: v_dual_lshlrev_b32 v55, 23, v55
	v_lshl_add_u32 v57, v58, 10, 0x2000
	s_delay_alu instid0(VALU_DEP_1) | instskip(NEXT) | instid1(VALU_DEP_1)
	v_and_or_b32 v2, 0x8000, v2, v57
	v_lshl_or_b32 v55, v2, 16, v55
.LBB250_311:                            ;   in Loop: Header=BB250_9 Depth=1
	s_or_b32 exec_lo, exec_lo, s30
.LBB250_312:                            ;   in Loop: Header=BB250_9 Depth=1
	s_delay_alu instid0(SALU_CYCLE_1)
	s_or_b32 exec_lo, exec_lo, s29
.LBB250_313:                            ;   in Loop: Header=BB250_9 Depth=1
	s_delay_alu instid0(SALU_CYCLE_1)
	s_or_b32 exec_lo, exec_lo, s28
	global_load_u16 v2, v[8:9], off offset:1160
	v_mov_b32_e32 v57, 0
	s_wait_loadcnt 0x0
	v_and_b32_e32 v58, 0xff, v2
	v_and_b32_e32 v2, 0xffff, v2
	s_delay_alu instid0(VALU_DEP_2)
	v_cmp_ne_u16_e64 s4, 0, v58
	v_mov_b32_e32 v58, 0
	s_and_saveexec_b32 s28, s4
	s_cbranch_execz .LBB250_321
; %bb.314:                              ;   in Loop: Header=BB250_9 Depth=1
	v_and_b32_e32 v58, 0xff, v2
	s_delay_alu instid0(VALU_DEP_1)
	v_cmp_ne_u16_e64 s4, 0x80, v58
	v_mov_b32_e32 v58, 0x8000
	s_and_saveexec_b32 s29, s4
	s_cbranch_execz .LBB250_320
; %bb.315:                              ;   in Loop: Header=BB250_9 Depth=1
	v_and_b32_e32 v60, 0x7f, v2
	v_mov_b32_e32 v58, 0x7c01
	s_mov_b32 s30, exec_lo
	s_delay_alu instid0(VALU_DEP_2)
	v_cmpx_ne_u32_e32 0x7f, v60
	s_cbranch_execz .LBB250_319
; %bb.316:                              ;   in Loop: Header=BB250_9 Depth=1
	v_dual_lshrrev_b32 v59, 3, v60 :: v_dual_bitop2_b32 v58, 7, v2 bitop3:0x40
	s_mov_b32 s31, exec_lo
	v_cmpx_gt_u32_e32 8, v60
; %bb.317:                              ;   in Loop: Header=BB250_9 Depth=1
	s_delay_alu instid0(VALU_DEP_2) | instskip(NEXT) | instid1(VALU_DEP_1)
	v_clz_i32_u32_e32 v58, v58
	v_min_u32_e32 v60, 32, v58
	s_delay_alu instid0(VALU_DEP_1) | instskip(NEXT) | instid1(VALU_DEP_1)
	v_subrev_nc_u32_e32 v58, 28, v60
	v_lshlrev_b64_e32 v[58:59], v58, v[2:3]
	s_delay_alu instid0(VALU_DEP_1)
	v_dual_sub_nc_u32 v59, 29, v60 :: v_dual_bitop2_b32 v58, 7, v58 bitop3:0x40
; %bb.318:                              ;   in Loop: Header=BB250_9 Depth=1
	s_or_b32 exec_lo, exec_lo, s31
	v_lshlrev_b32_e32 v60, 8, v2
	s_delay_alu instid0(VALU_DEP_2) | instskip(NEXT) | instid1(VALU_DEP_3)
	v_lshl_add_u32 v59, v59, 10, 0x2000
	v_lshlrev_b32_e32 v58, 7, v58
	s_delay_alu instid0(VALU_DEP_3) | instskip(NEXT) | instid1(VALU_DEP_3)
	v_and_b32_e32 v60, 0x8000, v60
	v_and_b32_e32 v59, 0xfc00, v59
	s_delay_alu instid0(VALU_DEP_1)
	v_or3_b32 v58, v60, v59, v58
.LBB250_319:                            ;   in Loop: Header=BB250_9 Depth=1
	s_or_b32 exec_lo, exec_lo, s30
.LBB250_320:                            ;   in Loop: Header=BB250_9 Depth=1
	s_delay_alu instid0(SALU_CYCLE_1)
	s_or_b32 exec_lo, exec_lo, s29
.LBB250_321:                            ;   in Loop: Header=BB250_9 Depth=1
	s_delay_alu instid0(SALU_CYCLE_1) | instskip(SKIP_2) | instid1(VALU_DEP_1)
	s_or_b32 exec_lo, exec_lo, s28
	v_lshrrev_b16 v2, 8, v2
	s_mov_b32 s28, exec_lo
	v_cmpx_ne_u16_e32 0, v2
	s_cbranch_execz .LBB250_329
; %bb.322:                              ;   in Loop: Header=BB250_9 Depth=1
	v_bfrev_b32_e32 v57, 1
	s_mov_b32 s29, exec_lo
	v_cmpx_ne_u16_e32 0x80, v2
	s_cbranch_execz .LBB250_328
; %bb.323:                              ;   in Loop: Header=BB250_9 Depth=1
	v_and_b32_e32 v59, 0xffff, v2
	v_mov_b32_e32 v57, 0x7c010000
	s_mov_b32 s30, exec_lo
	s_delay_alu instid0(VALU_DEP_2) | instskip(NEXT) | instid1(VALU_DEP_1)
	v_and_b32_e32 v61, 0x7f, v59
	v_cmpx_ne_u32_e32 0x7f, v61
	s_cbranch_execz .LBB250_327
; %bb.324:                              ;   in Loop: Header=BB250_9 Depth=1
	v_dual_lshrrev_b32 v60, 3, v61 :: v_dual_bitop2_b32 v57, 7, v59 bitop3:0x40
	s_mov_b32 s31, exec_lo
	v_cmpx_gt_u32_e32 8, v61
; %bb.325:                              ;   in Loop: Header=BB250_9 Depth=1
	s_delay_alu instid0(VALU_DEP_2) | instskip(NEXT) | instid1(VALU_DEP_1)
	v_clz_i32_u32_e32 v57, v57
	v_min_u32_e32 v57, 32, v57
	s_delay_alu instid0(VALU_DEP_1) | instskip(NEXT) | instid1(VALU_DEP_1)
	v_subrev_nc_u32_e32 v60, 28, v57
	v_lshlrev_b64_e32 v[62:63], v60, v[2:3]
	s_delay_alu instid0(VALU_DEP_1)
	v_dual_sub_nc_u32 v60, 29, v57 :: v_dual_bitop2_b32 v57, 7, v62 bitop3:0x40
; %bb.326:                              ;   in Loop: Header=BB250_9 Depth=1
	s_or_b32 exec_lo, exec_lo, s31
	s_delay_alu instid0(VALU_DEP_1) | instskip(NEXT) | instid1(VALU_DEP_2)
	v_dual_lshlrev_b32 v2, 8, v59 :: v_dual_lshlrev_b32 v57, 23, v57
	v_lshl_add_u32 v59, v60, 10, 0x2000
	s_delay_alu instid0(VALU_DEP_1) | instskip(NEXT) | instid1(VALU_DEP_1)
	v_and_or_b32 v2, 0x8000, v2, v59
	v_lshl_or_b32 v57, v2, 16, v57
.LBB250_327:                            ;   in Loop: Header=BB250_9 Depth=1
	s_or_b32 exec_lo, exec_lo, s30
.LBB250_328:                            ;   in Loop: Header=BB250_9 Depth=1
	s_delay_alu instid0(SALU_CYCLE_1)
	s_or_b32 exec_lo, exec_lo, s29
.LBB250_329:                            ;   in Loop: Header=BB250_9 Depth=1
	s_delay_alu instid0(SALU_CYCLE_1)
	s_or_b32 exec_lo, exec_lo, s28
	global_load_u16 v2, v[8:9], off offset:1280
	v_mov_b32_e32 v59, 0
	s_wait_loadcnt 0x0
	v_and_b32_e32 v60, 0xff, v2
	v_and_b32_e32 v2, 0xffff, v2
	s_delay_alu instid0(VALU_DEP_2)
	v_cmp_ne_u16_e64 s4, 0, v60
	v_mov_b32_e32 v60, 0
	s_and_saveexec_b32 s28, s4
	s_cbranch_execz .LBB250_337
; %bb.330:                              ;   in Loop: Header=BB250_9 Depth=1
	v_and_b32_e32 v60, 0xff, v2
	s_delay_alu instid0(VALU_DEP_1)
	v_cmp_ne_u16_e64 s4, 0x80, v60
	v_mov_b32_e32 v60, 0x8000
	s_and_saveexec_b32 s29, s4
	s_cbranch_execz .LBB250_336
; %bb.331:                              ;   in Loop: Header=BB250_9 Depth=1
	v_and_b32_e32 v62, 0x7f, v2
	v_mov_b32_e32 v60, 0x7c01
	s_mov_b32 s30, exec_lo
	s_delay_alu instid0(VALU_DEP_2)
	v_cmpx_ne_u32_e32 0x7f, v62
	s_cbranch_execz .LBB250_335
; %bb.332:                              ;   in Loop: Header=BB250_9 Depth=1
	v_and_b32_e32 v60, 7, v2
	v_lshrrev_b32_e32 v61, 3, v62
	s_mov_b32 s31, exec_lo
	v_cmpx_gt_u32_e32 8, v62
; %bb.333:                              ;   in Loop: Header=BB250_9 Depth=1
	s_delay_alu instid0(VALU_DEP_3) | instskip(NEXT) | instid1(VALU_DEP_1)
	v_clz_i32_u32_e32 v60, v60
	v_min_u32_e32 v62, 32, v60
	s_delay_alu instid0(VALU_DEP_1) | instskip(NEXT) | instid1(VALU_DEP_1)
	v_subrev_nc_u32_e32 v60, 28, v62
	v_lshlrev_b64_e32 v[60:61], v60, v[2:3]
	s_delay_alu instid0(VALU_DEP_1)
	v_dual_sub_nc_u32 v61, 29, v62 :: v_dual_bitop2_b32 v60, 7, v60 bitop3:0x40
; %bb.334:                              ;   in Loop: Header=BB250_9 Depth=1
	s_or_b32 exec_lo, exec_lo, s31
	s_delay_alu instid0(VALU_DEP_1) | instskip(NEXT) | instid1(VALU_DEP_2)
	v_dual_lshlrev_b32 v62, 8, v2 :: v_dual_lshlrev_b32 v60, 7, v60
	v_lshl_add_u32 v61, v61, 10, 0x2000
	s_delay_alu instid0(VALU_DEP_2) | instskip(NEXT) | instid1(VALU_DEP_2)
	v_and_b32_e32 v62, 0x8000, v62
	v_and_b32_e32 v61, 0xfc00, v61
	s_delay_alu instid0(VALU_DEP_1)
	v_or3_b32 v60, v62, v61, v60
.LBB250_335:                            ;   in Loop: Header=BB250_9 Depth=1
	s_or_b32 exec_lo, exec_lo, s30
.LBB250_336:                            ;   in Loop: Header=BB250_9 Depth=1
	s_delay_alu instid0(SALU_CYCLE_1)
	s_or_b32 exec_lo, exec_lo, s29
.LBB250_337:                            ;   in Loop: Header=BB250_9 Depth=1
	s_delay_alu instid0(SALU_CYCLE_1) | instskip(SKIP_2) | instid1(VALU_DEP_1)
	s_or_b32 exec_lo, exec_lo, s28
	v_lshrrev_b16 v2, 8, v2
	s_mov_b32 s28, exec_lo
	v_cmpx_ne_u16_e32 0, v2
	s_cbranch_execz .LBB250_345
; %bb.338:                              ;   in Loop: Header=BB250_9 Depth=1
	v_bfrev_b32_e32 v59, 1
	s_mov_b32 s29, exec_lo
	v_cmpx_ne_u16_e32 0x80, v2
	s_cbranch_execz .LBB250_344
; %bb.339:                              ;   in Loop: Header=BB250_9 Depth=1
	v_and_b32_e32 v61, 0xffff, v2
	v_mov_b32_e32 v59, 0x7c010000
	s_mov_b32 s30, exec_lo
	s_delay_alu instid0(VALU_DEP_2) | instskip(NEXT) | instid1(VALU_DEP_1)
	v_and_b32_e32 v63, 0x7f, v61
	v_cmpx_ne_u32_e32 0x7f, v63
	s_cbranch_execz .LBB250_343
; %bb.340:                              ;   in Loop: Header=BB250_9 Depth=1
	v_dual_lshrrev_b32 v62, 3, v63 :: v_dual_bitop2_b32 v59, 7, v61 bitop3:0x40
	s_mov_b32 s31, exec_lo
	v_cmpx_gt_u32_e32 8, v63
; %bb.341:                              ;   in Loop: Header=BB250_9 Depth=1
	s_delay_alu instid0(VALU_DEP_2) | instskip(NEXT) | instid1(VALU_DEP_1)
	v_clz_i32_u32_e32 v59, v59
	v_min_u32_e32 v59, 32, v59
	s_delay_alu instid0(VALU_DEP_1) | instskip(NEXT) | instid1(VALU_DEP_1)
	v_subrev_nc_u32_e32 v62, 28, v59
	v_lshlrev_b64_e32 v[64:65], v62, v[2:3]
	s_delay_alu instid0(VALU_DEP_1)
	v_dual_sub_nc_u32 v62, 29, v59 :: v_dual_bitop2_b32 v59, 7, v64 bitop3:0x40
; %bb.342:                              ;   in Loop: Header=BB250_9 Depth=1
	s_or_b32 exec_lo, exec_lo, s31
	s_delay_alu instid0(VALU_DEP_1) | instskip(NEXT) | instid1(VALU_DEP_2)
	v_dual_lshlrev_b32 v2, 8, v61 :: v_dual_lshlrev_b32 v59, 23, v59
	v_lshl_add_u32 v61, v62, 10, 0x2000
	s_delay_alu instid0(VALU_DEP_1) | instskip(NEXT) | instid1(VALU_DEP_1)
	v_and_or_b32 v2, 0x8000, v2, v61
	v_lshl_or_b32 v59, v2, 16, v59
.LBB250_343:                            ;   in Loop: Header=BB250_9 Depth=1
	s_or_b32 exec_lo, exec_lo, s30
.LBB250_344:                            ;   in Loop: Header=BB250_9 Depth=1
	s_delay_alu instid0(SALU_CYCLE_1)
	s_or_b32 exec_lo, exec_lo, s29
.LBB250_345:                            ;   in Loop: Header=BB250_9 Depth=1
	s_delay_alu instid0(SALU_CYCLE_1)
	s_or_b32 exec_lo, exec_lo, s28
	global_load_u16 v2, v[8:9], off offset:1288
	v_mov_b32_e32 v61, 0
	s_wait_loadcnt 0x0
	v_and_b32_e32 v62, 0xff, v2
	v_and_b32_e32 v2, 0xffff, v2
	s_delay_alu instid0(VALU_DEP_2)
	v_cmp_ne_u16_e64 s4, 0, v62
	v_mov_b32_e32 v62, 0
	s_and_saveexec_b32 s28, s4
	s_cbranch_execz .LBB250_353
; %bb.346:                              ;   in Loop: Header=BB250_9 Depth=1
	v_and_b32_e32 v62, 0xff, v2
	s_delay_alu instid0(VALU_DEP_1)
	v_cmp_ne_u16_e64 s4, 0x80, v62
	v_mov_b32_e32 v62, 0x8000
	s_and_saveexec_b32 s29, s4
	s_cbranch_execz .LBB250_352
; %bb.347:                              ;   in Loop: Header=BB250_9 Depth=1
	v_and_b32_e32 v64, 0x7f, v2
	v_mov_b32_e32 v62, 0x7c01
	s_mov_b32 s30, exec_lo
	s_delay_alu instid0(VALU_DEP_2)
	v_cmpx_ne_u32_e32 0x7f, v64
	s_cbranch_execz .LBB250_351
; %bb.348:                              ;   in Loop: Header=BB250_9 Depth=1
	v_dual_lshrrev_b32 v63, 3, v64 :: v_dual_bitop2_b32 v62, 7, v2 bitop3:0x40
	s_mov_b32 s31, exec_lo
	v_cmpx_gt_u32_e32 8, v64
; %bb.349:                              ;   in Loop: Header=BB250_9 Depth=1
	s_delay_alu instid0(VALU_DEP_2) | instskip(NEXT) | instid1(VALU_DEP_1)
	v_clz_i32_u32_e32 v62, v62
	v_min_u32_e32 v64, 32, v62
	s_delay_alu instid0(VALU_DEP_1) | instskip(NEXT) | instid1(VALU_DEP_1)
	v_subrev_nc_u32_e32 v62, 28, v64
	v_lshlrev_b64_e32 v[62:63], v62, v[2:3]
	s_delay_alu instid0(VALU_DEP_1)
	v_dual_sub_nc_u32 v63, 29, v64 :: v_dual_bitop2_b32 v62, 7, v62 bitop3:0x40
; %bb.350:                              ;   in Loop: Header=BB250_9 Depth=1
	s_or_b32 exec_lo, exec_lo, s31
	v_lshlrev_b32_e32 v64, 8, v2
	s_delay_alu instid0(VALU_DEP_2) | instskip(NEXT) | instid1(VALU_DEP_3)
	v_lshl_add_u32 v63, v63, 10, 0x2000
	v_lshlrev_b32_e32 v62, 7, v62
	s_delay_alu instid0(VALU_DEP_3) | instskip(NEXT) | instid1(VALU_DEP_3)
	v_and_b32_e32 v64, 0x8000, v64
	v_and_b32_e32 v63, 0xfc00, v63
	s_delay_alu instid0(VALU_DEP_1)
	v_or3_b32 v62, v64, v63, v62
.LBB250_351:                            ;   in Loop: Header=BB250_9 Depth=1
	s_or_b32 exec_lo, exec_lo, s30
.LBB250_352:                            ;   in Loop: Header=BB250_9 Depth=1
	s_delay_alu instid0(SALU_CYCLE_1)
	s_or_b32 exec_lo, exec_lo, s29
.LBB250_353:                            ;   in Loop: Header=BB250_9 Depth=1
	s_delay_alu instid0(SALU_CYCLE_1) | instskip(SKIP_2) | instid1(VALU_DEP_1)
	s_or_b32 exec_lo, exec_lo, s28
	v_lshrrev_b16 v2, 8, v2
	s_mov_b32 s28, exec_lo
	v_cmpx_ne_u16_e32 0, v2
	s_cbranch_execz .LBB250_361
; %bb.354:                              ;   in Loop: Header=BB250_9 Depth=1
	v_bfrev_b32_e32 v61, 1
	s_mov_b32 s29, exec_lo
	v_cmpx_ne_u16_e32 0x80, v2
	s_cbranch_execz .LBB250_360
; %bb.355:                              ;   in Loop: Header=BB250_9 Depth=1
	v_and_b32_e32 v63, 0xffff, v2
	v_mov_b32_e32 v61, 0x7c010000
	s_mov_b32 s30, exec_lo
	s_delay_alu instid0(VALU_DEP_2) | instskip(NEXT) | instid1(VALU_DEP_1)
	v_and_b32_e32 v65, 0x7f, v63
	v_cmpx_ne_u32_e32 0x7f, v65
	s_cbranch_execz .LBB250_359
; %bb.356:                              ;   in Loop: Header=BB250_9 Depth=1
	v_dual_lshrrev_b32 v64, 3, v65 :: v_dual_bitop2_b32 v61, 7, v63 bitop3:0x40
	s_mov_b32 s31, exec_lo
	v_cmpx_gt_u32_e32 8, v65
; %bb.357:                              ;   in Loop: Header=BB250_9 Depth=1
	s_delay_alu instid0(VALU_DEP_2) | instskip(NEXT) | instid1(VALU_DEP_1)
	v_clz_i32_u32_e32 v61, v61
	v_min_u32_e32 v61, 32, v61
	s_delay_alu instid0(VALU_DEP_1) | instskip(NEXT) | instid1(VALU_DEP_1)
	v_subrev_nc_u32_e32 v64, 28, v61
	v_lshlrev_b64_e32 v[66:67], v64, v[2:3]
	s_delay_alu instid0(VALU_DEP_1)
	v_dual_sub_nc_u32 v64, 29, v61 :: v_dual_bitop2_b32 v61, 7, v66 bitop3:0x40
; %bb.358:                              ;   in Loop: Header=BB250_9 Depth=1
	s_or_b32 exec_lo, exec_lo, s31
	s_delay_alu instid0(VALU_DEP_1) | instskip(NEXT) | instid1(VALU_DEP_2)
	v_dual_lshlrev_b32 v2, 8, v63 :: v_dual_lshlrev_b32 v61, 23, v61
	v_lshl_add_u32 v63, v64, 10, 0x2000
	s_delay_alu instid0(VALU_DEP_1) | instskip(NEXT) | instid1(VALU_DEP_1)
	v_and_or_b32 v2, 0x8000, v2, v63
	v_lshl_or_b32 v61, v2, 16, v61
.LBB250_359:                            ;   in Loop: Header=BB250_9 Depth=1
	s_or_b32 exec_lo, exec_lo, s30
.LBB250_360:                            ;   in Loop: Header=BB250_9 Depth=1
	s_delay_alu instid0(SALU_CYCLE_1)
	s_or_b32 exec_lo, exec_lo, s29
.LBB250_361:                            ;   in Loop: Header=BB250_9 Depth=1
	s_delay_alu instid0(SALU_CYCLE_1)
	s_or_b32 exec_lo, exec_lo, s28
	global_load_u16 v2, v[8:9], off offset:1408
	v_mov_b32_e32 v63, 0
	s_wait_loadcnt 0x0
	v_and_b32_e32 v64, 0xff, v2
	v_and_b32_e32 v2, 0xffff, v2
	s_delay_alu instid0(VALU_DEP_2)
	v_cmp_ne_u16_e64 s4, 0, v64
	v_mov_b32_e32 v64, 0
	s_and_saveexec_b32 s28, s4
	s_cbranch_execz .LBB250_369
; %bb.362:                              ;   in Loop: Header=BB250_9 Depth=1
	v_and_b32_e32 v64, 0xff, v2
	s_delay_alu instid0(VALU_DEP_1)
	v_cmp_ne_u16_e64 s4, 0x80, v64
	v_mov_b32_e32 v64, 0x8000
	s_and_saveexec_b32 s29, s4
	s_cbranch_execz .LBB250_368
; %bb.363:                              ;   in Loop: Header=BB250_9 Depth=1
	v_and_b32_e32 v66, 0x7f, v2
	v_mov_b32_e32 v64, 0x7c01
	s_mov_b32 s30, exec_lo
	s_delay_alu instid0(VALU_DEP_2)
	v_cmpx_ne_u32_e32 0x7f, v66
	s_cbranch_execz .LBB250_367
; %bb.364:                              ;   in Loop: Header=BB250_9 Depth=1
	v_and_b32_e32 v64, 7, v2
	v_lshrrev_b32_e32 v65, 3, v66
	s_mov_b32 s31, exec_lo
	v_cmpx_gt_u32_e32 8, v66
; %bb.365:                              ;   in Loop: Header=BB250_9 Depth=1
	s_delay_alu instid0(VALU_DEP_3) | instskip(NEXT) | instid1(VALU_DEP_1)
	v_clz_i32_u32_e32 v64, v64
	v_min_u32_e32 v66, 32, v64
	s_delay_alu instid0(VALU_DEP_1) | instskip(NEXT) | instid1(VALU_DEP_1)
	v_subrev_nc_u32_e32 v64, 28, v66
	v_lshlrev_b64_e32 v[64:65], v64, v[2:3]
	s_delay_alu instid0(VALU_DEP_1)
	v_dual_sub_nc_u32 v65, 29, v66 :: v_dual_bitop2_b32 v64, 7, v64 bitop3:0x40
; %bb.366:                              ;   in Loop: Header=BB250_9 Depth=1
	s_or_b32 exec_lo, exec_lo, s31
	s_delay_alu instid0(VALU_DEP_1) | instskip(NEXT) | instid1(VALU_DEP_2)
	v_dual_lshlrev_b32 v66, 8, v2 :: v_dual_lshlrev_b32 v64, 7, v64
	v_lshl_add_u32 v65, v65, 10, 0x2000
	s_delay_alu instid0(VALU_DEP_2) | instskip(NEXT) | instid1(VALU_DEP_2)
	v_and_b32_e32 v66, 0x8000, v66
	v_and_b32_e32 v65, 0xfc00, v65
	s_delay_alu instid0(VALU_DEP_1)
	v_or3_b32 v64, v66, v65, v64
.LBB250_367:                            ;   in Loop: Header=BB250_9 Depth=1
	s_or_b32 exec_lo, exec_lo, s30
.LBB250_368:                            ;   in Loop: Header=BB250_9 Depth=1
	s_delay_alu instid0(SALU_CYCLE_1)
	s_or_b32 exec_lo, exec_lo, s29
.LBB250_369:                            ;   in Loop: Header=BB250_9 Depth=1
	s_delay_alu instid0(SALU_CYCLE_1) | instskip(SKIP_2) | instid1(VALU_DEP_1)
	s_or_b32 exec_lo, exec_lo, s28
	v_lshrrev_b16 v2, 8, v2
	s_mov_b32 s28, exec_lo
	v_cmpx_ne_u16_e32 0, v2
	s_cbranch_execz .LBB250_377
; %bb.370:                              ;   in Loop: Header=BB250_9 Depth=1
	v_bfrev_b32_e32 v63, 1
	s_mov_b32 s29, exec_lo
	v_cmpx_ne_u16_e32 0x80, v2
	s_cbranch_execz .LBB250_376
; %bb.371:                              ;   in Loop: Header=BB250_9 Depth=1
	v_and_b32_e32 v65, 0xffff, v2
	v_mov_b32_e32 v63, 0x7c010000
	s_mov_b32 s30, exec_lo
	s_delay_alu instid0(VALU_DEP_2) | instskip(NEXT) | instid1(VALU_DEP_1)
	v_and_b32_e32 v67, 0x7f, v65
	v_cmpx_ne_u32_e32 0x7f, v67
	s_cbranch_execz .LBB250_375
; %bb.372:                              ;   in Loop: Header=BB250_9 Depth=1
	v_dual_lshrrev_b32 v66, 3, v67 :: v_dual_bitop2_b32 v63, 7, v65 bitop3:0x40
	s_mov_b32 s31, exec_lo
	v_cmpx_gt_u32_e32 8, v67
; %bb.373:                              ;   in Loop: Header=BB250_9 Depth=1
	s_delay_alu instid0(VALU_DEP_2) | instskip(NEXT) | instid1(VALU_DEP_1)
	v_clz_i32_u32_e32 v63, v63
	v_min_u32_e32 v63, 32, v63
	s_delay_alu instid0(VALU_DEP_1) | instskip(NEXT) | instid1(VALU_DEP_1)
	v_subrev_nc_u32_e32 v66, 28, v63
	v_lshlrev_b64_e32 v[68:69], v66, v[2:3]
	s_delay_alu instid0(VALU_DEP_1)
	v_dual_sub_nc_u32 v66, 29, v63 :: v_dual_bitop2_b32 v63, 7, v68 bitop3:0x40
; %bb.374:                              ;   in Loop: Header=BB250_9 Depth=1
	s_or_b32 exec_lo, exec_lo, s31
	s_delay_alu instid0(VALU_DEP_1) | instskip(NEXT) | instid1(VALU_DEP_2)
	v_dual_lshlrev_b32 v2, 8, v65 :: v_dual_lshlrev_b32 v63, 23, v63
	v_lshl_add_u32 v65, v66, 10, 0x2000
	s_delay_alu instid0(VALU_DEP_1) | instskip(NEXT) | instid1(VALU_DEP_1)
	v_and_or_b32 v2, 0x8000, v2, v65
	v_lshl_or_b32 v63, v2, 16, v63
.LBB250_375:                            ;   in Loop: Header=BB250_9 Depth=1
	s_or_b32 exec_lo, exec_lo, s30
.LBB250_376:                            ;   in Loop: Header=BB250_9 Depth=1
	s_delay_alu instid0(SALU_CYCLE_1)
	s_or_b32 exec_lo, exec_lo, s29
.LBB250_377:                            ;   in Loop: Header=BB250_9 Depth=1
	s_delay_alu instid0(SALU_CYCLE_1)
	s_or_b32 exec_lo, exec_lo, s28
	global_load_u16 v2, v[8:9], off offset:1416
	s_wait_xcnt 0x0
	v_mov_b32_e32 v8, 0
	s_wait_loadcnt 0x0
	v_and_b32_e32 v9, 0xff, v2
	v_and_b32_e32 v2, 0xffff, v2
	s_delay_alu instid0(VALU_DEP_2)
	v_cmp_ne_u16_e64 s4, 0, v9
	v_mov_b32_e32 v9, 0
	s_and_saveexec_b32 s28, s4
	s_cbranch_execz .LBB250_385
; %bb.378:                              ;   in Loop: Header=BB250_9 Depth=1
	v_and_b32_e32 v9, 0xff, v2
	s_delay_alu instid0(VALU_DEP_1)
	v_cmp_ne_u16_e64 s4, 0x80, v9
	v_mov_b32_e32 v9, 0x8000
	s_and_saveexec_b32 s29, s4
	s_cbranch_execz .LBB250_384
; %bb.379:                              ;   in Loop: Header=BB250_9 Depth=1
	v_and_b32_e32 v66, 0x7f, v2
	v_mov_b32_e32 v9, 0x7c01
	s_mov_b32 s30, exec_lo
	s_delay_alu instid0(VALU_DEP_2)
	v_cmpx_ne_u32_e32 0x7f, v66
	s_cbranch_execz .LBB250_383
; %bb.380:                              ;   in Loop: Header=BB250_9 Depth=1
	v_and_b32_e32 v9, 7, v2
	v_lshrrev_b32_e32 v65, 3, v66
	s_mov_b32 s31, exec_lo
	v_cmpx_gt_u32_e32 8, v66
; %bb.381:                              ;   in Loop: Header=BB250_9 Depth=1
	s_delay_alu instid0(VALU_DEP_3) | instskip(NEXT) | instid1(VALU_DEP_1)
	v_clz_i32_u32_e32 v9, v9
	v_min_u32_e32 v9, 32, v9
	s_delay_alu instid0(VALU_DEP_1) | instskip(NEXT) | instid1(VALU_DEP_1)
	v_subrev_nc_u32_e32 v65, 28, v9
	v_lshlrev_b64_e32 v[66:67], v65, v[2:3]
	s_delay_alu instid0(VALU_DEP_1)
	v_dual_sub_nc_u32 v65, 29, v9 :: v_dual_bitop2_b32 v9, 7, v66 bitop3:0x40
; %bb.382:                              ;   in Loop: Header=BB250_9 Depth=1
	s_or_b32 exec_lo, exec_lo, s31
	s_delay_alu instid0(VALU_DEP_1) | instskip(NEXT) | instid1(VALU_DEP_2)
	v_dual_lshlrev_b32 v66, 8, v2 :: v_dual_lshlrev_b32 v9, 7, v9
	v_lshl_add_u32 v65, v65, 10, 0x2000
	s_delay_alu instid0(VALU_DEP_2) | instskip(NEXT) | instid1(VALU_DEP_2)
	v_and_b32_e32 v66, 0x8000, v66
	v_and_b32_e32 v65, 0xfc00, v65
	s_delay_alu instid0(VALU_DEP_1)
	v_or3_b32 v9, v66, v65, v9
.LBB250_383:                            ;   in Loop: Header=BB250_9 Depth=1
	s_or_b32 exec_lo, exec_lo, s30
.LBB250_384:                            ;   in Loop: Header=BB250_9 Depth=1
	s_delay_alu instid0(SALU_CYCLE_1)
	s_or_b32 exec_lo, exec_lo, s29
.LBB250_385:                            ;   in Loop: Header=BB250_9 Depth=1
	s_delay_alu instid0(SALU_CYCLE_1) | instskip(SKIP_2) | instid1(VALU_DEP_1)
	s_or_b32 exec_lo, exec_lo, s28
	v_lshrrev_b16 v2, 8, v2
	s_mov_b32 s28, exec_lo
	v_cmpx_ne_u16_e32 0, v2
	s_cbranch_execz .LBB250_393
; %bb.386:                              ;   in Loop: Header=BB250_9 Depth=1
	v_bfrev_b32_e32 v8, 1
	s_mov_b32 s29, exec_lo
	v_cmpx_ne_u16_e32 0x80, v2
	s_cbranch_execz .LBB250_392
; %bb.387:                              ;   in Loop: Header=BB250_9 Depth=1
	v_and_b32_e32 v65, 0xffff, v2
	v_mov_b32_e32 v8, 0x7c010000
	s_mov_b32 s30, exec_lo
	s_delay_alu instid0(VALU_DEP_2) | instskip(NEXT) | instid1(VALU_DEP_1)
	v_and_b32_e32 v67, 0x7f, v65
	v_cmpx_ne_u32_e32 0x7f, v67
	s_cbranch_execz .LBB250_391
; %bb.388:                              ;   in Loop: Header=BB250_9 Depth=1
	v_dual_lshrrev_b32 v66, 3, v67 :: v_dual_bitop2_b32 v8, 7, v65 bitop3:0x40
	s_mov_b32 s31, exec_lo
	v_cmpx_gt_u32_e32 8, v67
; %bb.389:                              ;   in Loop: Header=BB250_9 Depth=1
	s_delay_alu instid0(VALU_DEP_2) | instskip(NEXT) | instid1(VALU_DEP_1)
	v_clz_i32_u32_e32 v8, v8
	v_min_u32_e32 v8, 32, v8
	s_delay_alu instid0(VALU_DEP_1) | instskip(NEXT) | instid1(VALU_DEP_1)
	v_subrev_nc_u32_e32 v66, 28, v8
	v_lshlrev_b64_e32 v[68:69], v66, v[2:3]
	v_sub_nc_u32_e32 v66, 29, v8
	s_delay_alu instid0(VALU_DEP_2)
	v_and_b32_e32 v8, 7, v68
; %bb.390:                              ;   in Loop: Header=BB250_9 Depth=1
	s_or_b32 exec_lo, exec_lo, s31
	s_delay_alu instid0(VALU_DEP_1) | instskip(NEXT) | instid1(VALU_DEP_3)
	v_dual_lshlrev_b32 v2, 8, v65 :: v_dual_lshlrev_b32 v8, 23, v8
	v_lshl_add_u32 v65, v66, 10, 0x2000
	s_delay_alu instid0(VALU_DEP_1) | instskip(NEXT) | instid1(VALU_DEP_1)
	v_and_or_b32 v2, 0x8000, v2, v65
	v_lshl_or_b32 v8, v2, 16, v8
.LBB250_391:                            ;   in Loop: Header=BB250_9 Depth=1
	s_or_b32 exec_lo, exec_lo, s30
.LBB250_392:                            ;   in Loop: Header=BB250_9 Depth=1
	s_delay_alu instid0(SALU_CYCLE_1)
	s_or_b32 exec_lo, exec_lo, s29
.LBB250_393:                            ;   in Loop: Header=BB250_9 Depth=1
	s_delay_alu instid0(SALU_CYCLE_1)
	s_or_b32 exec_lo, exec_lo, s28
	ds_load_b32 v2, v13
	v_or_b32_e32 v19, v18, v19
	v_fma_mixlo_f16 v18, v17, v18, 0 op_sel:[0,1,0] op_sel_hi:[0,1,0]
	v_or_b32_e32 v28, v27, v28
	v_fma_mixlo_f16 v27, v17, v27, 0 op_sel:[0,1,0] op_sel_hi:[0,1,0]
	v_or_b32_e32 v32, v31, v32
	v_fma_mixlo_f16 v31, v17, v31, 0 op_sel:[0,1,0] op_sel_hi:[0,1,0]
	v_and_b32_e32 v67, 0xffff, v18
	v_fma_mixlo_f16 v28, v17, v28, 0 op_sel_hi:[0,1,0]
	v_and_b32_e32 v75, 0xffff, v27
	v_fma_mixlo_f16 v32, v17, v32, 0 op_sel_hi:[0,1,0]
	v_and_b32_e32 v79, 0xffff, v31
	v_or_b32_e32 v36, v35, v36
	v_and_b32_e32 v74, 0xffff, v28
	v_fma_mixlo_f16 v35, v17, v35, 0 op_sel:[0,1,0] op_sel_hi:[0,1,0]
	v_and_b32_e32 v78, 0xffff, v32
	v_or_b32_e32 v40, v39, v40
	v_fma_mixlo_f16 v36, v17, v36, 0 op_sel_hi:[0,1,0]
	v_fma_mixlo_f16 v39, v17, v39, 0 op_sel:[0,1,0] op_sel_hi:[0,1,0]
	v_and_b32_e32 v83, 0xffff, v35
	s_wait_dscnt 0x0
	v_lshrrev_b32_e32 v66, 16, v2
	v_fma_mixlo_f16 v19, v17, v19, 0 op_sel_hi:[0,1,0]
	v_and_b32_e32 v65, 0xffff, v2
	;;#ASMSTART
	v_cvt_f32_f16 v2, v65;
	;;#ASMEND
	;;#ASMSTART
	v_cvt_f32_f16 v18, v66;
	;;#ASMEND
	v_and_b32_e32 v82, 0xffff, v36
	v_and_b32_e32 v19, 0xffff, v19
	;;#ASMSTART
	v_cvt_f32_f16 v19, v19;
	;;#ASMEND
	;;#ASMSTART
	v_cvt_f32_f16 v65, v67;
	;;#ASMEND
	ds_load_b32 v66, v13 offset:4
	v_or_b32_e32 v21, v20, v21
	v_fma_mixlo_f16 v20, v17, v20, 0 op_sel:[0,1,0] op_sel_hi:[0,1,0]
	v_fma_mixlo_f16 v40, v17, v40, 0 op_sel_hi:[0,1,0]
	v_and_b32_e32 v87, 0xffff, v39
	v_or_b32_e32 v44, v43, v44
	v_fma_mixlo_f16 v43, v17, v43, 0 op_sel:[0,1,0] op_sel_hi:[0,1,0]
	v_and_b32_e32 v69, 0xffff, v20
	v_and_b32_e32 v86, 0xffff, v40
	v_or_b32_e32 v30, v29, v30
	v_fma_mixlo_f16 v29, v17, v29, 0 op_sel:[0,1,0] op_sel_hi:[0,1,0]
	v_fma_mixlo_f16 v44, v17, v44, 0 op_sel_hi:[0,1,0]
	v_and_b32_e32 v91, 0xffff, v43
	v_or_b32_e32 v34, v33, v34
	v_fma_mixlo_f16 v30, v17, v30, 0 op_sel_hi:[0,1,0]
	v_and_b32_e32 v77, 0xffff, v29
	v_fma_mixlo_f16 v33, v17, v33, 0 op_sel:[0,1,0] op_sel_hi:[0,1,0]
	v_and_b32_e32 v90, 0xffff, v44
	v_fma_mixlo_f16 v34, v17, v34, 0 op_sel_hi:[0,1,0]
	v_and_b32_e32 v76, 0xffff, v30
	s_wait_dscnt 0x0
	v_and_b32_e32 v67, 0xffff, v66
	v_lshrrev_b32_e32 v66, 16, v66
	v_fma_mixlo_f16 v21, v17, v21, 0 op_sel_hi:[0,1,0]
	;;#ASMSTART
	v_cvt_f32_f16 v20, v67;
	;;#ASMEND
	v_and_b32_e32 v81, 0xffff, v33
	v_and_b32_e32 v80, 0xffff, v34
	v_or_b32_e32 v38, v37, v38
	v_and_b32_e32 v68, 0xffff, v21
	;;#ASMSTART
	v_cvt_f32_f16 v21, v66;
	;;#ASMEND
	;;#ASMSTART
	v_cvt_f32_f16 v66, v68;
	;;#ASMEND
	;;#ASMSTART
	v_cvt_f32_f16 v67, v69;
	;;#ASMEND
	ds_load_b32 v68, v13 offset:8
	v_or_b32_e32 v23, v22, v23
	v_fma_mixlo_f16 v22, v17, v22, 0 op_sel:[0,1,0] op_sel_hi:[0,1,0]
	v_fma_mixlo_f16 v37, v17, v37, 0 op_sel:[0,1,0] op_sel_hi:[0,1,0]
	v_dual_mul_f32 v20, v20, v66 :: v_dual_mul_f32 v21, v21, v67
	v_fma_mixlo_f16 v38, v17, v38, 0 op_sel_hi:[0,1,0]
	s_delay_alu instid0(VALU_DEP_4) | instskip(NEXT) | instid1(VALU_DEP_4)
	v_and_b32_e32 v71, 0xffff, v22
	v_and_b32_e32 v85, 0xffff, v37
	v_or_b32_e32 v42, v41, v42
	v_fma_mixlo_f16 v41, v17, v41, 0 op_sel:[0,1,0] op_sel_hi:[0,1,0]
	v_and_b32_e32 v84, 0xffff, v38
	v_or_b32_e32 v46, v45, v46
	v_fma_mixlo_f16 v45, v17, v45, 0 op_sel:[0,1,0] op_sel_hi:[0,1,0]
	v_fma_mixlo_f16 v42, v17, v42, 0 op_sel_hi:[0,1,0]
	v_and_b32_e32 v89, 0xffff, v41
	v_fmac_f32_e32 v20, v2, v19
	v_fma_mixlo_f16 v46, v17, v46, 0 op_sel_hi:[0,1,0]
	v_and_b32_e32 v45, 0xffff, v45
	v_and_b32_e32 v88, 0xffff, v42
	s_wait_dscnt 0x0
	v_and_b32_e32 v69, 0xffff, v68
	v_lshrrev_b32_e32 v68, 16, v68
	v_fma_mixlo_f16 v23, v17, v23, 0 op_sel_hi:[0,1,0]
	;;#ASMSTART
	v_cvt_f32_f16 v22, v69;
	;;#ASMEND
	v_and_b32_e32 v46, 0xffff, v46
	s_delay_alu instid0(VALU_DEP_2)
	v_and_b32_e32 v70, 0xffff, v23
	;;#ASMSTART
	v_cvt_f32_f16 v23, v68;
	;;#ASMEND
	;;#ASMSTART
	v_cvt_f32_f16 v68, v70;
	;;#ASMEND
	;; [unrolled: 3-line block ×3, first 2 shown]
	ds_load_b32 v70, v13 offset:12
	v_or_b32_e32 v25, v24, v25
	v_fma_mixlo_f16 v24, v17, v24, 0 op_sel:[0,1,0] op_sel_hi:[0,1,0]
	v_fmac_f32_e32 v20, v22, v68
	s_delay_alu instid0(VALU_DEP_2)
	v_and_b32_e32 v73, 0xffff, v24
	s_wait_dscnt 0x0
	v_and_b32_e32 v71, 0xffff, v70
	v_lshrrev_b32_e32 v70, 16, v70
	v_fma_mixlo_f16 v25, v17, v25, 0 op_sel_hi:[0,1,0]
	;;#ASMSTART
	v_cvt_f32_f16 v24, v71;
	;;#ASMEND
	s_delay_alu instid0(VALU_DEP_1)
	v_and_b32_e32 v72, 0xffff, v25
	;;#ASMSTART
	v_cvt_f32_f16 v25, v70;
	;;#ASMEND
	;;#ASMSTART
	v_cvt_f32_f16 v70, v72;
	;;#ASMEND
	;; [unrolled: 3-line block ×3, first 2 shown]
	ds_load_b32 v72, v13 offset:16
	v_dual_fmac_f32 v21, v18, v65 :: v_dual_fmac_f32 v20, v24, v70
	s_delay_alu instid0(VALU_DEP_1) | instskip(NEXT) | instid1(VALU_DEP_1)
	v_fmac_f32_e32 v21, v23, v69
	v_fmac_f32_e32 v21, v25, v71
	s_wait_dscnt 0x0
	v_and_b32_e32 v73, 0xffff, v72
	v_lshrrev_b32_e32 v72, 16, v72
	;;#ASMSTART
	v_cvt_f32_f16 v27, v73;
	;;#ASMEND
	;;#ASMSTART
	v_cvt_f32_f16 v28, v72;
	;;#ASMEND
	;; [unrolled: 3-line block ×4, first 2 shown]
	ds_load_b32 v74, v13 offset:20
	v_dual_fmac_f32 v20, v27, v72 :: v_dual_fmac_f32 v21, v28, v73
	s_wait_dscnt 0x0
	v_and_b32_e32 v75, 0xffff, v74
	v_lshrrev_b32_e32 v74, 16, v74
	;;#ASMSTART
	v_cvt_f32_f16 v29, v75;
	;;#ASMEND
	;;#ASMSTART
	v_cvt_f32_f16 v30, v74;
	;;#ASMEND
	;; [unrolled: 3-line block ×4, first 2 shown]
	ds_load_b32 v76, v13 offset:24
	v_fmac_f32_e32 v20, v29, v74
	s_wait_dscnt 0x0
	v_and_b32_e32 v77, 0xffff, v76
	v_lshrrev_b32_e32 v76, 16, v76
	;;#ASMSTART
	v_cvt_f32_f16 v31, v77;
	;;#ASMEND
	;;#ASMSTART
	v_cvt_f32_f16 v32, v76;
	;;#ASMEND
	;; [unrolled: 3-line block ×4, first 2 shown]
	ds_load_b32 v78, v13 offset:28
	v_dual_fmac_f32 v21, v30, v75 :: v_dual_fmac_f32 v20, v31, v76
	s_wait_dscnt 0x0
	v_and_b32_e32 v79, 0xffff, v78
	v_lshrrev_b32_e32 v78, 16, v78
	;;#ASMSTART
	v_cvt_f32_f16 v33, v79;
	;;#ASMEND
	;;#ASMSTART
	v_cvt_f32_f16 v34, v78;
	;;#ASMEND
	;;#ASMSTART
	v_cvt_f32_f16 v78, v80;
	;;#ASMEND
	;;#ASMSTART
	v_cvt_f32_f16 v79, v81;
	;;#ASMEND
	ds_load_b32 v80, v13 offset:32
	s_wait_dscnt 0x0
	v_and_b32_e32 v81, 0xffff, v80
	v_lshrrev_b32_e32 v80, 16, v80
	;;#ASMSTART
	v_cvt_f32_f16 v35, v81;
	;;#ASMEND
	;;#ASMSTART
	v_cvt_f32_f16 v36, v80;
	;;#ASMEND
	;;#ASMSTART
	v_cvt_f32_f16 v80, v82;
	;;#ASMEND
	;;#ASMSTART
	v_cvt_f32_f16 v81, v83;
	;;#ASMEND
	ds_load_b32 v82, v13 offset:36
	;; [unrolled: 16-line block ×7, first 2 shown]
	v_or_b32_e32 v46, v47, v48
	v_fma_mixlo_f16 v47, v17, v47, 0 op_sel:[0,1,0] op_sel_hi:[0,1,0]
	s_delay_alu instid0(VALU_DEP_1)
	v_and_b32_e32 v47, 0xffff, v47
	s_wait_dscnt 0x0
	v_and_b32_e32 v48, 0xffff, v45
	v_lshrrev_b32_e32 v45, 16, v45
	v_fma_mixlo_f16 v46, v17, v46, 0 op_sel_hi:[0,1,0]
	;;#ASMSTART
	v_cvt_f32_f16 v48, v48;
	;;#ASMEND
	;;#ASMSTART
	v_cvt_f32_f16 v94, v45;
	;;#ASMEND
	s_delay_alu instid0(VALU_DEP_1)
	v_and_b32_e32 v46, 0xffff, v46
	;;#ASMSTART
	v_cvt_f32_f16 v95, v46;
	;;#ASMEND
	;;#ASMSTART
	v_cvt_f32_f16 v96, v47;
	;;#ASMEND
	ds_load_b32 v45, v13 offset:60
	v_or_b32_e32 v46, v49, v50
	v_fma_mixlo_f16 v47, v17, v49, 0 op_sel:[0,1,0] op_sel_hi:[0,1,0]
	s_delay_alu instid0(VALU_DEP_1)
	v_and_b32_e32 v47, 0xffff, v47
	s_wait_dscnt 0x0
	v_and_b32_e32 v49, 0xffff, v45
	v_lshrrev_b32_e32 v45, 16, v45
	v_fma_mixlo_f16 v46, v17, v46, 0 op_sel_hi:[0,1,0]
	;;#ASMSTART
	v_cvt_f32_f16 v49, v49;
	;;#ASMEND
	;;#ASMSTART
	v_cvt_f32_f16 v50, v45;
	;;#ASMEND
	s_delay_alu instid0(VALU_DEP_1)
	v_and_b32_e32 v46, 0xffff, v46
	;;#ASMSTART
	v_cvt_f32_f16 v97, v46;
	;;#ASMEND
	;;#ASMSTART
	v_cvt_f32_f16 v98, v47;
	;;#ASMEND
	ds_load_b32 v45, v13 offset:64
	v_or_b32_e32 v46, v51, v52
	v_fma_mixlo_f16 v47, v17, v51, 0 op_sel:[0,1,0] op_sel_hi:[0,1,0]
	s_delay_alu instid0(VALU_DEP_1)
	v_and_b32_e32 v47, 0xffff, v47
	s_wait_dscnt 0x0
	v_and_b32_e32 v51, 0xffff, v45
	v_lshrrev_b32_e32 v45, 16, v45
	v_fma_mixlo_f16 v46, v17, v46, 0 op_sel_hi:[0,1,0]
	;;#ASMSTART
	v_cvt_f32_f16 v51, v51;
	;;#ASMEND
	;;#ASMSTART
	v_cvt_f32_f16 v52, v45;
	;;#ASMEND
	s_delay_alu instid0(VALU_DEP_1)
	v_and_b32_e32 v46, 0xffff, v46
	;;#ASMSTART
	v_cvt_f32_f16 v99, v46;
	;;#ASMEND
	;;#ASMSTART
	v_cvt_f32_f16 v100, v47;
	;;#ASMEND
	ds_load_b32 v45, v13 offset:68
	v_or_b32_e32 v46, v53, v54
	v_fma_mixlo_f16 v47, v17, v53, 0 op_sel:[0,1,0] op_sel_hi:[0,1,0]
	s_delay_alu instid0(VALU_DEP_1)
	v_and_b32_e32 v47, 0xffff, v47
	s_wait_dscnt 0x0
	v_and_b32_e32 v53, 0xffff, v45
	v_lshrrev_b32_e32 v45, 16, v45
	v_fma_mixlo_f16 v46, v17, v46, 0 op_sel_hi:[0,1,0]
	;;#ASMSTART
	v_cvt_f32_f16 v53, v53;
	;;#ASMEND
	;;#ASMSTART
	v_cvt_f32_f16 v54, v45;
	;;#ASMEND
	s_delay_alu instid0(VALU_DEP_1)
	v_and_b32_e32 v46, 0xffff, v46
	;;#ASMSTART
	v_cvt_f32_f16 v101, v46;
	;;#ASMEND
	;;#ASMSTART
	v_cvt_f32_f16 v102, v47;
	;;#ASMEND
	ds_load_b32 v45, v13 offset:72
	v_or_b32_e32 v46, v55, v56
	v_fma_mixlo_f16 v47, v17, v55, 0 op_sel:[0,1,0] op_sel_hi:[0,1,0]
	s_delay_alu instid0(VALU_DEP_1)
	v_and_b32_e32 v47, 0xffff, v47
	s_wait_dscnt 0x0
	v_and_b32_e32 v55, 0xffff, v45
	v_lshrrev_b32_e32 v45, 16, v45
	v_fma_mixlo_f16 v46, v17, v46, 0 op_sel_hi:[0,1,0]
	;;#ASMSTART
	v_cvt_f32_f16 v55, v55;
	;;#ASMEND
	;;#ASMSTART
	v_cvt_f32_f16 v56, v45;
	;;#ASMEND
	s_delay_alu instid0(VALU_DEP_1)
	v_and_b32_e32 v46, 0xffff, v46
	;;#ASMSTART
	v_cvt_f32_f16 v103, v46;
	;;#ASMEND
	;;#ASMSTART
	v_cvt_f32_f16 v104, v47;
	;;#ASMEND
	ds_load_b32 v45, v13 offset:76
	v_or_b32_e32 v46, v57, v58
	v_fma_mixlo_f16 v47, v17, v57, 0 op_sel:[0,1,0] op_sel_hi:[0,1,0]
	s_delay_alu instid0(VALU_DEP_2) | instskip(NEXT) | instid1(VALU_DEP_2)
	v_fma_mixlo_f16 v46, v17, v46, 0 op_sel_hi:[0,1,0]
	v_and_b32_e32 v47, 0xffff, v47
	s_delay_alu instid0(VALU_DEP_2)
	v_and_b32_e32 v19, 0xffff, v46
	s_wait_dscnt 0x0
	v_and_b32_e32 v2, 0xffff, v45
	v_lshrrev_b32_e32 v18, 16, v45
	;;#ASMSTART
	v_cvt_f32_f16 v22, v2;
	;;#ASMEND
	;;#ASMSTART
	v_cvt_f32_f16 v23, v18;
	;;#ASMEND
	;; [unrolled: 3-line block ×4, first 2 shown]
	ds_load_b32 v2, v13 offset:80
	v_dual_fmac_f32 v21, v32, v77 :: v_dual_bitop2_b32 v18, v59, v60 bitop3:0x54
	v_fma_mixlo_f16 v19, v17, v59, 0 op_sel:[0,1,0] op_sel_hi:[0,1,0]
	s_delay_alu instid0(VALU_DEP_2) | instskip(NEXT) | instid1(VALU_DEP_2)
	v_fma_mixlo_f16 v18, v17, v18, 0 op_sel_hi:[0,1,0]
	v_and_b32_e32 v19, 0xffff, v19
	s_delay_alu instid0(VALU_DEP_2)
	v_and_b32_e32 v18, 0xffff, v18
	s_wait_dscnt 0x0
	v_and_b32_e32 v24, 0xffff, v2
	v_lshrrev_b32_e32 v2, 16, v2
	v_dual_fmac_f32 v20, v33, v78 :: v_dual_fmac_f32 v21, v34, v79
	;;#ASMSTART
	v_cvt_f32_f16 v24, v24;
	;;#ASMEND
	;;#ASMSTART
	v_cvt_f32_f16 v25, v2;
	;;#ASMEND
	;; [unrolled: 3-line block ×4, first 2 shown]
	ds_load_b32 v2, v13 offset:84
	v_dual_fmac_f32 v20, v35, v80 :: v_dual_fmac_f32 v21, v36, v81
	v_fma_mixlo_f16 v19, v17, v61, 0 op_sel:[0,1,0] op_sel_hi:[0,1,0]
	s_delay_alu instid0(VALU_DEP_2) | instskip(SKIP_1) | instid1(VALU_DEP_3)
	v_dual_fmac_f32 v20, v37, v82 :: v_dual_fmac_f32 v21, v38, v83
	v_or_b32_e32 v18, v61, v62
	v_and_b32_e32 v19, 0xffff, v19
	s_delay_alu instid0(VALU_DEP_3) | instskip(NEXT) | instid1(VALU_DEP_3)
	v_dual_fmac_f32 v20, v39, v84 :: v_dual_fmac_f32 v21, v40, v85
	v_fma_mixlo_f16 v18, v17, v18, 0 op_sel_hi:[0,1,0]
	s_delay_alu instid0(VALU_DEP_2) | instskip(NEXT) | instid1(VALU_DEP_2)
	v_dual_fmac_f32 v20, v41, v86 :: v_dual_fmac_f32 v21, v42, v87
	v_and_b32_e32 v18, 0xffff, v18
	s_wait_dscnt 0x0
	v_and_b32_e32 v29, 0xffff, v2
	s_delay_alu instid0(VALU_DEP_3)
	v_dual_lshrrev_b32 v2, 16, v2 :: v_dual_fmac_f32 v20, v43, v88
	v_fmac_f32_e32 v21, v44, v89
	;;#ASMSTART
	v_cvt_f32_f16 v29, v29;
	;;#ASMEND
	;;#ASMSTART
	v_cvt_f32_f16 v30, v2;
	;;#ASMEND
	;; [unrolled: 3-line block ×4, first 2 shown]
	ds_load_b32 v2, v13 offset:88
	v_dual_fmac_f32 v20, v91, v92 :: v_dual_fmac_f32 v21, v90, v93
	v_fma_mixlo_f16 v19, v17, v63, 0 op_sel:[0,1,0] op_sel_hi:[0,1,0]
	s_delay_alu instid0(VALU_DEP_2) | instskip(SKIP_1) | instid1(VALU_DEP_3)
	v_dual_fmac_f32 v20, v48, v95 :: v_dual_fmac_f32 v21, v94, v96
	v_or_b32_e32 v18, v63, v64
	v_and_b32_e32 v19, 0xffff, v19
	s_delay_alu instid0(VALU_DEP_3) | instskip(NEXT) | instid1(VALU_DEP_3)
	v_dual_fmac_f32 v20, v49, v97 :: v_dual_fmac_f32 v21, v50, v98
	v_fma_mixlo_f16 v18, v17, v18, 0 op_sel_hi:[0,1,0]
	s_delay_alu instid0(VALU_DEP_2) | instskip(NEXT) | instid1(VALU_DEP_2)
	v_dual_fmac_f32 v20, v51, v99 :: v_dual_fmac_f32 v21, v52, v100
	v_and_b32_e32 v18, 0xffff, v18
	s_wait_dscnt 0x0
	v_and_b32_e32 v33, 0xffff, v2
	s_delay_alu instid0(VALU_DEP_3)
	v_dual_lshrrev_b32 v2, 16, v2 :: v_dual_fmac_f32 v20, v53, v101
	v_fmac_f32_e32 v21, v54, v102
	;;#ASMSTART
	v_cvt_f32_f16 v33, v33;
	;;#ASMEND
	;;#ASMSTART
	v_cvt_f32_f16 v34, v2;
	;;#ASMEND
	;; [unrolled: 3-line block ×4, first 2 shown]
	ds_load_b32 v2, v13 offset:92
	v_dual_fmac_f32 v20, v55, v103 :: v_dual_fmac_f32 v21, v56, v104
	v_or_b32_e32 v9, v8, v9
	v_xor_b32_e32 v18, 2, v10
	v_fma_mixlo_f16 v8, v17, v8, 0 op_sel:[0,1,0] op_sel_hi:[0,1,0]
	s_delay_alu instid0(VALU_DEP_4) | instskip(NEXT) | instid1(VALU_DEP_4)
	v_dual_fmac_f32 v20, v22, v45 :: v_dual_fmac_f32 v21, v23, v46
	v_fma_mixlo_f16 v9, v17, v9, 0 op_sel_hi:[0,1,0]
	s_delay_alu instid0(VALU_DEP_4) | instskip(NEXT) | instid1(VALU_DEP_4)
	v_cmp_gt_i32_e64 s4, 32, v18
	v_and_b32_e32 v17, 0xffff, v8
	s_delay_alu instid0(VALU_DEP_4) | instskip(NEXT) | instid1(VALU_DEP_4)
	v_dual_fmac_f32 v20, v24, v27 :: v_dual_fmac_f32 v21, v25, v28
	v_and_b32_e32 v9, 0xffff, v9
	s_delay_alu instid0(VALU_DEP_2) | instskip(NEXT) | instid1(VALU_DEP_3)
	v_dual_cndmask_b32 v8, v10, v18, s4 :: v_dual_fmac_f32 v20, v29, v31
	v_fmac_f32_e32 v21, v30, v32
	s_wait_dscnt 0x0
	v_and_b32_e32 v18, 0xffff, v2
	s_delay_alu instid0(VALU_DEP_2)
	v_dual_fmac_f32 v21, v34, v19 :: v_dual_lshrrev_b32 v2, 16, v2
	;;#ASMSTART
	v_cvt_f32_f16 v18, v18;
	;;#ASMEND
	;;#ASMSTART
	v_cvt_f32_f16 v2, v2;
	;;#ASMEND
	;; [unrolled: 3-line block ×4, first 2 shown]
	v_dual_fmac_f32 v20, v33, v35 :: v_dual_fmac_f32 v21, v2, v17
	s_delay_alu instid0(VALU_DEP_1) | instskip(NEXT) | instid1(VALU_DEP_1)
	v_dual_lshlrev_b32 v2, 2, v8 :: v_dual_fmac_f32 v20, v18, v9
	v_dual_add_f32 v8, v20, v21 :: v_dual_bitop2_b32 v9, 1, v10 bitop3:0x14
	s_delay_alu instid0(VALU_DEP_1) | instskip(SKIP_3) | instid1(VALU_DEP_1)
	v_cmp_gt_i32_e64 s4, 32, v9
	ds_bpermute_b32 v2, v2, v8
	s_wait_dscnt 0x0
	v_dual_cndmask_b32 v9, v10, v9, s4 :: v_dual_add_f32 v2, v8, v2
	v_lshlrev_b32_e32 v8, 2, v9
	ds_bpermute_b32 v8, v8, v2
	s_and_saveexec_b32 s28, vcc_lo
	s_cbranch_execz .LBB250_8
; %bb.394:                              ;   in Loop: Header=BB250_9 Depth=1
	s_wait_dscnt 0x0
	v_dual_add_f32 v2, v2, v8 :: v_dual_add_nc_u32 v9, s27, v14
	v_cmp_gt_i32_e64 s4, s23, v14
	s_delay_alu instid0(VALU_DEP_2) | instskip(NEXT) | instid1(VALU_DEP_1)
	v_cvt_f32_i32_e32 v9, v9
	v_mul_f32_e32 v9, s25, v9
	s_delay_alu instid0(VALU_DEP_1) | instskip(NEXT) | instid1(VALU_DEP_1)
	v_dual_cndmask_b32 v8, 0, v9, s3 :: v_dual_max_num_f32 v9, v12, v12
	v_fmac_f32_e32 v8, s7, v2
	s_delay_alu instid0(VALU_DEP_1) | instskip(NEXT) | instid1(VALU_DEP_1)
	v_dual_max_num_f32 v2, v9, v8 :: v_dual_cndmask_b32 v8, 0, v8, s4
	v_cndmask_b32_e64 v12, v12, v2, s4
	ds_store_b32 v15, v8
	s_branch .LBB250_8
.LBB250_395:
	s_or_b32 exec_lo, exec_lo, s6
.LBB250_396:
	s_delay_alu instid0(SALU_CYCLE_1)
	s_or_b32 exec_lo, exec_lo, s26
	v_dual_max_num_f32 v6, v12, v12 :: v_dual_bitop2_b32 v2, 16, v10 bitop3:0x14
	v_xor_b32_e32 v5, 8, v10
	s_load_b64 s[6:7], s[0:1], 0x0
	s_wait_kmcnt 0x0
	s_load_b64 s[8:9], s[0:1], 0x18
	v_and_b32_e32 v27, 31, v0
	v_cmp_lt_i32_e32 vcc_lo, v2, v11
	v_cndmask_b32_e32 v2, v10, v2, vcc_lo
	v_cmp_lt_i32_e32 vcc_lo, v5, v11
	s_delay_alu instid0(VALU_DEP_2) | instskip(SKIP_3) | instid1(VALU_DEP_1)
	v_dual_cndmask_b32 v5, v10, v5 :: v_dual_lshlrev_b32 v2, 2, v2
	ds_bpermute_b32 v4, v2, v12
	s_wait_dscnt 0x0
	v_dual_max_num_f32 v7, v4, v4 :: v_dual_lshlrev_b32 v4, 2, v5
	v_dual_max_num_f32 v5, v6, v7 :: v_dual_bitop2_b32 v7, 4, v10 bitop3:0x14
	ds_bpermute_b32 v6, v4, v5
	v_cmp_lt_i32_e32 vcc_lo, v7, v11
	v_cndmask_b32_e32 v7, v10, v7, vcc_lo
	v_cmp_eq_u32_e32 vcc_lo, 0, v27
	s_wait_dscnt 0x0
	s_delay_alu instid0(VALU_DEP_2) | instskip(NEXT) | instid1(VALU_DEP_1)
	v_dual_max_num_f32 v6, v6, v6 :: v_dual_lshlrev_b32 v7, 2, v7
	v_max_num_f32_e32 v6, v5, v6
	v_lshlrev_b32_e32 v5, 2, v26
	ds_bpermute_b32 v8, v7, v6
	s_wait_xcnt 0x0
	s_and_saveexec_b32 s0, vcc_lo
	s_cbranch_execz .LBB250_398
; %bb.397:
	s_wait_dscnt 0x0
	v_dual_max_num_f32 v8, v8, v8 :: v_dual_max_num_f32 v6, v6, v6
	s_delay_alu instid0(VALU_DEP_1)
	v_max_num_f32_e32 v6, v6, v8
	ds_store_b32 v5, v6 offset:384
.LBB250_398:
	s_or_b32 exec_lo, exec_lo, s0
	v_cmp_gt_u32_e64 s0, 4, v27
	v_dual_mov_b32 v9, 0xff7fffff :: v_dual_lshlrev_b32 v6, 2, v27
	s_wait_dscnt 0x0
	s_barrier_signal -1
	s_barrier_wait -1
	s_and_saveexec_b32 s1, s0
; %bb.399:
	ds_load_b32 v9, v6 offset:384
; %bb.400:
	s_or_b32 exec_lo, exec_lo, s1
	s_wait_dscnt 0x0
	v_dual_max_num_f32 v14, v9, v9 :: v_dual_bitop2_b32 v8, 2, v10 bitop3:0x14
	v_dual_lshlrev_b32 v3, 2, v3 :: v_dual_bitop2_b32 v13, 1, v10 bitop3:0x14
	s_delay_alu instid0(VALU_DEP_2) | instskip(NEXT) | instid1(VALU_DEP_1)
	v_cmp_lt_i32_e64 s1, v8, v11
	v_cndmask_b32_e64 v8, v10, v8, s1
	s_delay_alu instid0(VALU_DEP_3) | instskip(NEXT) | instid1(VALU_DEP_2)
	v_cmp_lt_i32_e64 s1, v13, v11
	v_lshlrev_b32_e32 v8, 2, v8
	ds_bpermute_b32 v12, v8, v9
	v_cndmask_b32_e64 v9, v10, v13, s1
	s_lshl_b32 s1, s24, 3
	s_delay_alu instid0(SALU_CYCLE_1) | instskip(NEXT) | instid1(VALU_DEP_1)
	s_min_i32 s4, s1, s23
	v_lshlrev_b32_e32 v9, 2, v9
	v_cmp_gt_i32_e64 s1, s4, v0
	s_wait_dscnt 0x0
	v_max_num_f32_e32 v11, v12, v12
	s_delay_alu instid0(VALU_DEP_1) | instskip(SKIP_3) | instid1(VALU_DEP_1)
	v_max_num_f32_e32 v11, v14, v11
	ds_bpermute_b32 v12, v9, v11
	s_wait_dscnt 0x0
	v_max_num_f32_e32 v12, v12, v12
	v_max_num_f32_e32 v11, v11, v12
	ds_bpermute_b32 v11, v3, v11
	v_mov_b32_e32 v3, 0
	s_and_saveexec_b32 s19, s1
	s_cbranch_execz .LBB250_404
; %bb.401:
	v_lshl_add_u32 v12, v0, 2, 0x1a0
	v_dual_mov_b32 v3, 0 :: v_dual_mov_b32 v13, v0
	s_mov_b32 s25, 0
.LBB250_402:                            ; =>This Inner Loop Header: Depth=1
	ds_load_b32 v14, v12
	v_add_nc_u32_e32 v13, 0x80, v13
	s_delay_alu instid0(VALU_DEP_1) | instskip(SKIP_3) | instid1(VALU_DEP_1)
	v_cmp_le_i32_e64 s3, s4, v13
	s_or_b32 s25, s3, s25
	s_wait_dscnt 0x0
	v_sub_f32_e32 v14, v14, v11
	v_mul_f32_e32 v14, 0x3fb8aa3b, v14
	s_delay_alu instid0(VALU_DEP_1)
	v_exp_f32_e32 v14, v14
	ds_store_b32 v12, v14
	v_nop
	v_dual_add_f32 v3, v3, v14 :: v_dual_add_nc_u32 v12, 0x200, v12
	s_and_not1_b32 exec_lo, exec_lo, s25
	s_cbranch_execnz .LBB250_402
; %bb.403:
	s_or_b32 exec_lo, exec_lo, s25
.LBB250_404:
	s_delay_alu instid0(SALU_CYCLE_1)
	s_or_b32 exec_lo, exec_lo, s19
	ds_bpermute_b32 v2, v2, v3
	s_wait_dscnt 0x0
	v_add_f32_e32 v2, v3, v2
	ds_bpermute_b32 v3, v4, v2
	s_wait_dscnt 0x0
	v_add_f32_e32 v2, v2, v3
	;; [unrolled: 3-line block ×5, first 2 shown]
	s_and_saveexec_b32 s3, vcc_lo
; %bb.405:
	ds_store_b32 v5, v2 offset:400
; %bb.406:
	s_or_b32 exec_lo, exec_lo, s3
	s_wait_dscnt 0x0
	s_barrier_signal -1
	s_barrier_wait -1
	s_and_saveexec_b32 s3, s0
; %bb.407:
	ds_load_b32 v2, v6 offset:400
; %bb.408:
	s_or_b32 exec_lo, exec_lo, s3
	s_wait_dscnt 0x0
	ds_bpermute_b32 v3, v8, v2
	s_wait_dscnt 0x0
	v_dual_lshlrev_b32 v4, 2, v10 :: v_dual_add_f32 v2, v2, v3
	ds_bpermute_b32 v3, v9, v2
	s_wait_dscnt 0x0
	v_add_f32_e32 v2, v2, v3
	v_and_b32_e32 v3, 0xffffff80, v4
	ds_bpermute_b32 v2, v3, v2
	s_and_saveexec_b32 s0, s1
	s_cbranch_execz .LBB250_421
; %bb.409:
	s_wait_dscnt 0x0
	v_add_f32_e32 v2, 0x358637bd, v2
	s_mov_b32 s3, -1
	s_mov_b32 s1, exec_lo
	s_delay_alu instid0(VALU_DEP_1) | instskip(NEXT) | instid1(VALU_DEP_1)
	v_div_scale_f32 v3, null, v2, v2, 1.0
	v_rcp_f32_e32 v5, v3
	v_nop
	s_delay_alu instid0(TRANS32_DEP_1) | instskip(NEXT) | instid1(VALU_DEP_1)
	v_fma_f32 v4, -v3, v5, 1.0
	v_fmac_f32_e32 v5, v4, v5
	v_div_scale_f32 v6, vcc_lo, 1.0, v2, 1.0
	s_delay_alu instid0(VALU_DEP_1) | instskip(NEXT) | instid1(VALU_DEP_1)
	v_mul_f32_e32 v7, v6, v5
	v_fma_f32 v4, -v3, v7, v6
	s_delay_alu instid0(VALU_DEP_1) | instskip(SKIP_1) | instid1(VALU_DEP_2)
	v_fmac_f32_e32 v7, v4, v5
	v_xad_u32 v4, v0, -1, s4
	v_fma_f32 v3, -v3, v7, v6
	s_delay_alu instid0(VALU_DEP_1) | instskip(NEXT) | instid1(VALU_DEP_1)
	v_div_fmas_f32 v3, v3, v5, v7
	v_div_fixup_f32 v2, v3, v2, 1.0
	v_mov_b32_e32 v3, v0
	v_cmpx_lt_u32_e32 0x7f, v4
	s_cbranch_execz .LBB250_418
; %bb.410:
	s_delay_alu instid0(VALU_DEP_3) | instskip(NEXT) | instid1(VALU_DEP_1)
	v_dual_mov_b32 v3, v2 :: v_dual_lshrrev_b32 v4, 7, v4
	v_dual_mov_b32 v8, 0 :: v_dual_add_nc_u32 v5, -1, v4
	s_delay_alu instid0(VALU_DEP_1) | instskip(SKIP_1) | instid1(VALU_DEP_2)
	v_lshrrev_b32_e32 v6, 1, v5
	v_cmp_lt_u32_e32 vcc_lo, 13, v5
	v_add_nc_u32_e32 v5, 1, v6
	s_and_saveexec_b32 s3, vcc_lo
	s_cbranch_execz .LBB250_414
; %bb.411:
	s_delay_alu instid0(VALU_DEP_1)
	v_and_b32_e32 v6, -8, v5
	v_lshl_add_u32 v7, v0, 2, 0x1a0
	s_mov_b32 s19, 0
	s_mov_b32 s25, 0
.LBB250_412:                            ; =>This Inner Loop Header: Depth=1
	ds_load_2addr_stride64_b32 v[8:9], v7 offset1:2
	ds_load_2addr_stride64_b32 v[10:11], v7 offset0:4 offset1:6
	ds_load_2addr_stride64_b32 v[12:13], v7 offset0:8 offset1:10
	;; [unrolled: 1-line block ×7, first 2 shown]
	s_add_co_i32 s25, s25, 16
	v_add_nc_u32_e32 v6, -8, v6
	s_wait_dscnt 0x7
	v_pk_mul_f32 v[8:9], v[2:3], v[8:9]
	s_wait_dscnt 0x6
	v_pk_mul_f32 v[10:11], v[2:3], v[10:11]
	;; [unrolled: 2-line block ×8, first 2 shown]
	ds_store_2addr_stride64_b32 v7, v8, v9 offset1:2
	ds_store_2addr_stride64_b32 v7, v10, v11 offset0:4 offset1:6
	ds_store_2addr_stride64_b32 v7, v12, v13 offset0:8 offset1:10
	;; [unrolled: 1-line block ×7, first 2 shown]
	v_mov_b32_e32 v8, s25
	v_cmp_eq_u32_e32 vcc_lo, 0, v6
	v_add_nc_u32_e32 v7, 0x2000, v7
	s_or_b32 s19, vcc_lo, s19
	s_delay_alu instid0(SALU_CYCLE_1)
	s_and_not1_b32 exec_lo, exec_lo, s19
	s_cbranch_execnz .LBB250_412
; %bb.413:
	s_or_b32 exec_lo, exec_lo, s19
.LBB250_414:
	s_delay_alu instid0(SALU_CYCLE_1) | instskip(NEXT) | instid1(VALU_DEP_1)
	s_or_b32 exec_lo, exec_lo, s3
	v_and_b32_e32 v5, 7, v5
	s_mov_b32 s19, 0
	s_mov_b32 s3, exec_lo
	s_delay_alu instid0(VALU_DEP_1)
	v_cmpx_ne_u32_e32 0, v5
	s_cbranch_execz .LBB250_417
; %bb.415:
	v_lshlrev_b32_e32 v6, 9, v8
	v_lshlrev_b32_e32 v7, 2, v0
	s_delay_alu instid0(VALU_DEP_1)
	v_add3_u32 v6, v6, v7, 0x1a0
.LBB250_416:                            ; =>This Inner Loop Header: Depth=1
	ds_load_2addr_stride64_b32 v[8:9], v6 offset1:2
	v_add_nc_u32_e32 v5, -1, v5
	s_delay_alu instid0(VALU_DEP_1)
	v_cmp_eq_u32_e32 vcc_lo, 0, v5
	s_or_b32 s19, vcc_lo, s19
	s_wait_dscnt 0x0
	v_pk_mul_f32 v[8:9], v[2:3], v[8:9]
	ds_store_2addr_stride64_b32 v6, v8, v9 offset1:2
	v_add_nc_u32_e32 v6, 0x400, v6
	s_and_not1_b32 exec_lo, exec_lo, s19
	s_cbranch_execnz .LBB250_416
.LBB250_417:
	s_or_b32 exec_lo, exec_lo, s3
	v_add_nc_u32_e32 v3, 1, v4
	s_delay_alu instid0(VALU_DEP_1) | instskip(NEXT) | instid1(VALU_DEP_1)
	v_and_b32_e32 v4, 0x3fffffe, v3
	v_cmp_ne_u32_e32 vcc_lo, v3, v4
	v_lshl_add_u32 v3, v4, 7, v0
	s_or_not1_b32 s3, vcc_lo, exec_lo
.LBB250_418:
	s_or_b32 exec_lo, exec_lo, s1
	s_delay_alu instid0(SALU_CYCLE_1)
	s_and_b32 exec_lo, exec_lo, s3
	s_cbranch_execz .LBB250_421
; %bb.419:
	v_lshl_add_u32 v4, v3, 2, 0x1a0
	s_mov_b32 s1, 0
.LBB250_420:                            ; =>This Inner Loop Header: Depth=1
	ds_load_b32 v5, v4
	v_add_nc_u32_e32 v3, 0x80, v3
	s_delay_alu instid0(VALU_DEP_1)
	v_cmp_le_i32_e32 vcc_lo, s4, v3
	s_or_b32 s1, vcc_lo, s1
	s_wait_dscnt 0x0
	v_mul_f32_e32 v5, v2, v5
	ds_store_b32 v4, v5
	v_add_nc_u32_e32 v4, 0x200, v4
	s_and_not1_b32 exec_lo, exec_lo, s1
	s_cbranch_execnz .LBB250_420
.LBB250_421:
	s_or_b32 exec_lo, exec_lo, s0
	s_wait_dscnt 0x0
	v_mov_b64_e32 v[2:3], 0
	v_mov_b64_e32 v[4:5], 0
	;; [unrolled: 1-line block ×3, first 2 shown]
	s_barrier_signal -1
	s_barrier_wait -1
	s_and_saveexec_b32 s1, s2
	s_cbranch_execz .LBB250_821
; %bb.422:
	v_dual_mov_b32 v9, 0 :: v_dual_lshlrev_b32 v8, 3, v27
	s_ashr_i32 s19, s18, 31
	v_dual_mov_b32 v3, 0 :: v_dual_lshlrev_b32 v28, 3, v26
	s_wait_kmcnt 0x0
	s_add_nc_u64 s[2:3], s[8:9], s[18:19]
	v_lshl_add_u32 v29, v26, 5, 0x1a0
	v_add_nc_u64_e32 v[10:11], s[2:3], v[8:9]
	v_and_b32_e32 v8, 0x7c, v1
	s_lshl_b64 s[2:3], s[14:15], 2
	v_dual_mov_b32 v2, 0 :: v_dual_mov_b32 v5, 0
	s_add_nc_u64 s[2:3], s[16:17], s[2:3]
	v_dual_mov_b32 v4, 0 :: v_dual_mov_b32 v7, 0
	v_add_nc_u64_e32 v[12:13], s[2:3], v[8:9]
	v_dual_mov_b32 v6, 0 :: v_dual_mov_b32 v30, v26
	s_mov_b32 s4, s5
	s_mov_b64 s[2:3], 0xffffffffffffff
	s_add_co_i32 s5, s24, -1
	s_mov_b32 s9, s23
	s_mov_b32 s8, 0
	s_branch .LBB250_424
.LBB250_423:                            ;   in Loop: Header=BB250_424 Depth=1
	s_or_b32 exec_lo, exec_lo, s0
	v_add_f32_e32 v8, v50, v51
	v_add_f32_e32 v1, v38, v39
	;;#ASMSTART
	v_pk_mul_f16 v17, v43, v17;

	;;#ASMEND
	;;#ASMSTART
	v_pk_mul_f16 v16, v42, v16;

	;;#ASMEND
	v_add_nc_u64_e32 v[12:13], 16, v[12:13]
	s_delay_alu instid0(VALU_DEP_2)
	v_dual_add_f32 v5, v5, v8 :: v_dual_add_f32 v2, v2, v1
	;;#ASMSTART
	v_pk_mul_f16 v1, v41, v15;

	;;#ASMEND
	;;#ASMSTART
	v_pk_mul_f16 v8, v40, v14;

	;;#ASMEND
	;;#ASMSTART
	v_pk_add_f16 v14, v17, v16;

	;;#ASMEND
	;;#ASMSTART
	v_pk_add_f16 v1, v14, v1;
	;; [unrolled: 4-line block ×3, first 2 shown]

	;;#ASMEND
	v_and_b32_e32 v15, 0xffff, v1
	v_dual_add_f32 v14, v44, v45 :: v_dual_add_nc_u32 v30, 4, v30
	v_lshrrev_b32_e32 v16, 16, v1
	;;#ASMSTART
	v_cvt_f32_f16 v15, v15;
	;;#ASMEND
	v_dual_add_f32 v1, v48, v49 :: v_dual_add_f32 v8, v46, v47
	;;#ASMSTART
	v_cvt_f32_f16 v16, v16;
	;;#ASMEND
	s_delay_alu instid0(VALU_DEP_2) | instskip(SKIP_1) | instid1(VALU_DEP_3)
	v_add_f32_e32 v15, v15, v16
	v_cmp_le_i32_e32 vcc_lo, s24, v30
	v_dual_add_f32 v4, v4, v1 :: v_dual_add_f32 v7, v7, v8
	s_delay_alu instid0(VALU_DEP_3) | instskip(SKIP_3) | instid1(SALU_CYCLE_1)
	v_dual_add_f32 v6, v6, v14 :: v_dual_add_f32 v3, v3, v15
	v_add_nc_u32_e32 v28, 32, v28
	v_add_nc_u32_e32 v29, 0x80, v29
	s_or_b32 s8, vcc_lo, s8
	s_and_not1_b32 exec_lo, exec_lo, s8
	s_cbranch_execz .LBB250_820
.LBB250_424:                            ; =>This Inner Loop Header: Depth=1
	global_load_b32 v1, v[12:13], off
	ds_load_2addr_b64 v[16:19], v29 offset1:1
	ds_load_2addr_b64 v[20:23], v29 offset0:2 offset1:3
	s_mov_b32 s0, exec_lo
	s_wait_dscnt 0x1
	;;#ASMSTART
	v_cvt_f16_f32 v41, v16;

	;;#ASMEND
	;;#ASMSTART
	v_cvt_f16_f32 v38, v17;

	;;#ASMEND
	;; [unrolled: 4-line block ×4, first 2 shown]
	s_wait_dscnt 0x0
	;;#ASMSTART
	v_cvt_f16_f32 v43, v20;

	;;#ASMEND
	;;#ASMSTART
	v_cvt_f16_f32 v40, v21;

	;;#ASMEND
	;;#ASMSTART
	v_cvt_f16_f32 v45, v22;

	;;#ASMEND
	;;#ASMSTART
	v_cvt_f16_f32 v44, v23;

	;;#ASMEND
	s_wait_loadcnt 0x0
	v_mad_nc_i64_i32 v[14:15], v1, s4, v[10:11]
	v_mov_b32_e32 v1, 0
	global_load_b64 v[18:19], v[14:15], off
	global_load_b32 v16, v9, s[10:11]
	s_wait_loadcnt 0x1
	v_and_b32_e32 v8, 0xff, v18
	s_wait_xcnt 0x0
	s_delay_alu instid0(VALU_DEP_1)
	v_cmpx_ne_u16_e32 0, v8
	s_cbranch_execz .LBB250_432
; %bb.425:                              ;   in Loop: Header=BB250_424 Depth=1
	v_mov_b32_e32 v1, 0x8000
	s_mov_b32 s14, exec_lo
	v_cmpx_ne_u16_e32 0x80, v8
	s_cbranch_execz .LBB250_431
; %bb.426:                              ;   in Loop: Header=BB250_424 Depth=1
	v_and_b32_e32 v17, 0x7f, v18
	v_mov_b32_e32 v1, 0x7c01
	s_mov_b32 s15, exec_lo
	s_delay_alu instid0(VALU_DEP_2)
	v_cmpx_ne_u32_e32 0x7f, v17
	s_cbranch_execz .LBB250_430
; %bb.427:                              ;   in Loop: Header=BB250_424 Depth=1
	v_dual_lshrrev_b32 v8, 3, v17 :: v_dual_bitop2_b32 v1, 7, v18 bitop3:0x40
	s_mov_b32 s16, exec_lo
	v_cmpx_gt_u32_e32 8, v17
; %bb.428:                              ;   in Loop: Header=BB250_424 Depth=1
	s_delay_alu instid0(VALU_DEP_2) | instskip(NEXT) | instid1(VALU_DEP_1)
	v_clz_i32_u32_e32 v1, v1
	v_min_u32_e32 v1, 32, v1
	s_delay_alu instid0(VALU_DEP_1) | instskip(NEXT) | instid1(VALU_DEP_1)
	v_subrev_nc_u32_e32 v8, 28, v1
	v_lshlrev_b64_e32 v[20:21], v8, v[18:19]
	s_delay_alu instid0(VALU_DEP_1)
	v_dual_sub_nc_u32 v8, 29, v1 :: v_dual_bitop2_b32 v1, 7, v20 bitop3:0x40
; %bb.429:                              ;   in Loop: Header=BB250_424 Depth=1
	s_or_b32 exec_lo, exec_lo, s16
	s_delay_alu instid0(VALU_DEP_1) | instskip(NEXT) | instid1(VALU_DEP_2)
	v_dual_lshlrev_b32 v17, 8, v18 :: v_dual_lshlrev_b32 v1, 7, v1
	v_lshl_add_u32 v8, v8, 10, 0x2000
	s_delay_alu instid0(VALU_DEP_2) | instskip(NEXT) | instid1(VALU_DEP_2)
	v_and_b32_e32 v17, 0x8000, v17
	v_and_b32_e32 v8, 0xfc00, v8
	s_delay_alu instid0(VALU_DEP_1)
	v_or3_b32 v1, v17, v8, v1
.LBB250_430:                            ;   in Loop: Header=BB250_424 Depth=1
	s_or_b32 exec_lo, exec_lo, s15
.LBB250_431:                            ;   in Loop: Header=BB250_424 Depth=1
	s_delay_alu instid0(SALU_CYCLE_1)
	s_or_b32 exec_lo, exec_lo, s14
.LBB250_432:                            ;   in Loop: Header=BB250_424 Depth=1
	s_delay_alu instid0(SALU_CYCLE_1) | instskip(SKIP_3) | instid1(VALU_DEP_2)
	s_or_b32 exec_lo, exec_lo, s0
	v_lshrrev_b16 v8, 8, v18
	v_dual_mov_b32 v17, 0 :: v_dual_mov_b32 v20, 0
	s_mov_b32 s0, exec_lo
	v_cmpx_ne_u16_e32 0, v8
	s_cbranch_execz .LBB250_440
; %bb.433:                              ;   in Loop: Header=BB250_424 Depth=1
	v_bfrev_b32_e32 v20, 1
	s_mov_b32 s14, exec_lo
	v_cmpx_ne_u16_e32 0x80, v8
	s_cbranch_execz .LBB250_439
; %bb.434:                              ;   in Loop: Header=BB250_424 Depth=1
	v_and_b32_e32 v21, 0xffff, v8
	v_mov_b32_e32 v20, 0x7c010000
	s_mov_b32 s15, exec_lo
	s_delay_alu instid0(VALU_DEP_2) | instskip(NEXT) | instid1(VALU_DEP_1)
	v_and_b32_e32 v23, 0x7f, v21
	v_cmpx_ne_u32_e32 0x7f, v23
	s_cbranch_execz .LBB250_438
; %bb.435:                              ;   in Loop: Header=BB250_424 Depth=1
	v_dual_lshrrev_b32 v22, 3, v23 :: v_dual_bitop2_b32 v20, 7, v21 bitop3:0x40
	s_mov_b32 s16, exec_lo
	v_cmpx_gt_u32_e32 8, v23
; %bb.436:                              ;   in Loop: Header=BB250_424 Depth=1
	s_delay_alu instid0(VALU_DEP_2) | instskip(NEXT) | instid1(VALU_DEP_1)
	v_clz_i32_u32_e32 v20, v20
	v_min_u32_e32 v20, 32, v20
	s_delay_alu instid0(VALU_DEP_1) | instskip(NEXT) | instid1(VALU_DEP_1)
	v_subrev_nc_u32_e32 v22, 28, v20
	v_lshlrev_b64_e32 v[24:25], v22, v[8:9]
	v_sub_nc_u32_e32 v22, 29, v20
	s_delay_alu instid0(VALU_DEP_2)
	v_and_b32_e32 v20, 7, v24
; %bb.437:                              ;   in Loop: Header=BB250_424 Depth=1
	s_or_b32 exec_lo, exec_lo, s16
	s_delay_alu instid0(VALU_DEP_1) | instskip(NEXT) | instid1(VALU_DEP_3)
	v_dual_lshlrev_b32 v8, 8, v21 :: v_dual_lshlrev_b32 v20, 23, v20
	v_lshl_add_u32 v21, v22, 10, 0x2000
	s_delay_alu instid0(VALU_DEP_1) | instskip(NEXT) | instid1(VALU_DEP_1)
	v_and_or_b32 v8, 0x8000, v8, v21
	v_lshl_or_b32 v20, v8, 16, v20
.LBB250_438:                            ;   in Loop: Header=BB250_424 Depth=1
	s_or_b32 exec_lo, exec_lo, s15
.LBB250_439:                            ;   in Loop: Header=BB250_424 Depth=1
	s_delay_alu instid0(SALU_CYCLE_1)
	s_or_b32 exec_lo, exec_lo, s14
.LBB250_440:                            ;   in Loop: Header=BB250_424 Depth=1
	s_delay_alu instid0(SALU_CYCLE_1) | instskip(SKIP_2) | instid1(VALU_DEP_1)
	s_or_b32 exec_lo, exec_lo, s0
	v_lshrrev_b32_e32 v8, 16, v18
	s_mov_b32 s0, exec_lo
	v_and_b32_e32 v21, 0xff, v8
	s_delay_alu instid0(VALU_DEP_1)
	v_cmpx_ne_u16_e32 0, v21
	s_cbranch_execz .LBB250_448
; %bb.441:                              ;   in Loop: Header=BB250_424 Depth=1
	v_mov_b32_e32 v17, 0x8000
	s_mov_b32 s14, exec_lo
	v_cmpx_ne_u16_e32 0x80, v21
	s_cbranch_execz .LBB250_447
; %bb.442:                              ;   in Loop: Header=BB250_424 Depth=1
	v_bfe_u32 v22, v18, 16, 7
	v_mov_b32_e32 v17, 0x7c01
	s_mov_b32 s15, exec_lo
	s_delay_alu instid0(VALU_DEP_2)
	v_cmpx_ne_u32_e32 0x7f, v22
	s_cbranch_execz .LBB250_446
; %bb.443:                              ;   in Loop: Header=BB250_424 Depth=1
	v_dual_lshrrev_b32 v21, 3, v22 :: v_dual_bitop2_b32 v17, 7, v8 bitop3:0x40
	s_mov_b32 s16, exec_lo
	v_cmpx_gt_u32_e32 8, v22
; %bb.444:                              ;   in Loop: Header=BB250_424 Depth=1
	s_delay_alu instid0(VALU_DEP_2) | instskip(NEXT) | instid1(VALU_DEP_1)
	v_clz_i32_u32_e32 v17, v17
	v_min_u32_e32 v17, 32, v17
	s_delay_alu instid0(VALU_DEP_1) | instskip(NEXT) | instid1(VALU_DEP_1)
	v_subrev_nc_u32_e32 v21, 28, v17
	v_lshlrev_b64_e32 v[22:23], v21, v[8:9]
	s_delay_alu instid0(VALU_DEP_1)
	v_dual_sub_nc_u32 v21, 29, v17 :: v_dual_bitop2_b32 v17, 7, v22 bitop3:0x40
; %bb.445:                              ;   in Loop: Header=BB250_424 Depth=1
	s_or_b32 exec_lo, exec_lo, s16
	s_delay_alu instid0(VALU_DEP_1) | instskip(NEXT) | instid1(VALU_DEP_2)
	v_dual_lshlrev_b32 v8, 8, v8 :: v_dual_lshlrev_b32 v17, 7, v17
	v_lshl_add_u32 v21, v21, 10, 0x2000
	s_delay_alu instid0(VALU_DEP_2) | instskip(NEXT) | instid1(VALU_DEP_2)
	v_and_b32_e32 v8, 0x8000, v8
	v_and_b32_e32 v21, 0xfc00, v21
	s_delay_alu instid0(VALU_DEP_1)
	v_or3_b32 v17, v8, v21, v17
.LBB250_446:                            ;   in Loop: Header=BB250_424 Depth=1
	s_or_b32 exec_lo, exec_lo, s15
.LBB250_447:                            ;   in Loop: Header=BB250_424 Depth=1
	s_delay_alu instid0(SALU_CYCLE_1)
	s_or_b32 exec_lo, exec_lo, s14
.LBB250_448:                            ;   in Loop: Header=BB250_424 Depth=1
	s_delay_alu instid0(SALU_CYCLE_1)
	s_or_b32 exec_lo, exec_lo, s0
	v_dual_mov_b32 v21, 0 :: v_dual_mov_b32 v22, 0
	s_mov_b32 s0, exec_lo
	v_cmpx_lt_u32_e32 0xffffff, v18
	s_cbranch_execz .LBB250_456
; %bb.449:                              ;   in Loop: Header=BB250_424 Depth=1
	v_lshrrev_b32_e32 v8, 24, v18
	v_bfrev_b32_e32 v22, 1
	s_mov_b32 s14, exec_lo
	s_delay_alu instid0(VALU_DEP_2)
	v_cmpx_ne_u32_e32 0x80, v8
	s_cbranch_execz .LBB250_455
; %bb.450:                              ;   in Loop: Header=BB250_424 Depth=1
	v_and_b32_e32 v24, 0x7f, v8
	v_mov_b32_e32 v22, 0x7c010000
	s_mov_b32 s15, exec_lo
	s_delay_alu instid0(VALU_DEP_2)
	v_cmpx_ne_u32_e32 0x7f, v24
	s_cbranch_execz .LBB250_454
; %bb.451:                              ;   in Loop: Header=BB250_424 Depth=1
	v_and_b32_e32 v22, 7, v8
	v_lshrrev_b32_e32 v23, 3, v24
	s_mov_b32 s16, exec_lo
	v_cmpx_gt_u32_e32 8, v24
; %bb.452:                              ;   in Loop: Header=BB250_424 Depth=1
	s_delay_alu instid0(VALU_DEP_3) | instskip(NEXT) | instid1(VALU_DEP_1)
	v_clz_i32_u32_e32 v22, v22
	v_min_u32_e32 v24, 32, v22
	s_delay_alu instid0(VALU_DEP_1) | instskip(NEXT) | instid1(VALU_DEP_1)
	v_subrev_nc_u32_e32 v22, 28, v24
	v_lshlrev_b64_e32 v[22:23], v22, v[8:9]
	s_delay_alu instid0(VALU_DEP_1)
	v_dual_sub_nc_u32 v23, 29, v24 :: v_dual_bitop2_b32 v22, 7, v22 bitop3:0x40
; %bb.453:                              ;   in Loop: Header=BB250_424 Depth=1
	s_or_b32 exec_lo, exec_lo, s16
	s_delay_alu instid0(VALU_DEP_1) | instskip(NEXT) | instid1(VALU_DEP_2)
	v_dual_lshlrev_b32 v8, 8, v8 :: v_dual_lshlrev_b32 v22, 23, v22
	v_lshl_add_u32 v23, v23, 10, 0x2000
	s_delay_alu instid0(VALU_DEP_1) | instskip(NEXT) | instid1(VALU_DEP_1)
	v_and_or_b32 v8, 0x8000, v8, v23
	v_lshl_or_b32 v22, v8, 16, v22
.LBB250_454:                            ;   in Loop: Header=BB250_424 Depth=1
	s_or_b32 exec_lo, exec_lo, s15
.LBB250_455:                            ;   in Loop: Header=BB250_424 Depth=1
	s_delay_alu instid0(SALU_CYCLE_1)
	s_or_b32 exec_lo, exec_lo, s14
.LBB250_456:                            ;   in Loop: Header=BB250_424 Depth=1
	s_delay_alu instid0(SALU_CYCLE_1) | instskip(SKIP_3) | instid1(VALU_DEP_2)
	s_or_b32 exec_lo, exec_lo, s0
	v_and_b32_e32 v23, 0xff, v19
	v_mov_b32_e32 v8, v19
	s_mov_b32 s0, exec_lo
	v_cmpx_ne_u16_e32 0, v23
	s_cbranch_execz .LBB250_464
; %bb.457:                              ;   in Loop: Header=BB250_424 Depth=1
	v_mov_b32_e32 v21, 0x8000
	s_mov_b32 s14, exec_lo
	v_cmpx_ne_u16_e32 0x80, v23
	s_cbranch_execz .LBB250_463
; %bb.458:                              ;   in Loop: Header=BB250_424 Depth=1
	v_and_b32_e32 v24, 0x7f, v19
	v_mov_b32_e32 v21, 0x7c01
	s_mov_b32 s15, exec_lo
	s_delay_alu instid0(VALU_DEP_2)
	v_cmpx_ne_u32_e32 0x7f, v24
	s_cbranch_execz .LBB250_462
; %bb.459:                              ;   in Loop: Header=BB250_424 Depth=1
	v_dual_lshrrev_b32 v23, 3, v24 :: v_dual_bitop2_b32 v21, 7, v19 bitop3:0x40
	s_mov_b32 s16, exec_lo
	v_cmpx_gt_u32_e32 8, v24
; %bb.460:                              ;   in Loop: Header=BB250_424 Depth=1
	s_delay_alu instid0(VALU_DEP_2) | instskip(NEXT) | instid1(VALU_DEP_1)
	v_clz_i32_u32_e32 v21, v21
	v_min_u32_e32 v21, 32, v21
	s_delay_alu instid0(VALU_DEP_1) | instskip(NEXT) | instid1(VALU_DEP_1)
	v_subrev_nc_u32_e32 v23, 28, v21
	v_lshlrev_b64_e32 v[24:25], v23, v[8:9]
	s_delay_alu instid0(VALU_DEP_1)
	v_dual_sub_nc_u32 v23, 29, v21 :: v_dual_bitop2_b32 v21, 7, v24 bitop3:0x40
; %bb.461:                              ;   in Loop: Header=BB250_424 Depth=1
	s_or_b32 exec_lo, exec_lo, s16
	s_delay_alu instid0(VALU_DEP_1) | instskip(NEXT) | instid1(VALU_DEP_2)
	v_dual_lshlrev_b32 v24, 8, v19 :: v_dual_lshlrev_b32 v21, 7, v21
	v_lshl_add_u32 v23, v23, 10, 0x2000
	s_delay_alu instid0(VALU_DEP_2) | instskip(NEXT) | instid1(VALU_DEP_2)
	v_and_b32_e32 v24, 0x8000, v24
	v_and_b32_e32 v23, 0xfc00, v23
	s_delay_alu instid0(VALU_DEP_1)
	v_or3_b32 v21, v24, v23, v21
.LBB250_462:                            ;   in Loop: Header=BB250_424 Depth=1
	s_or_b32 exec_lo, exec_lo, s15
.LBB250_463:                            ;   in Loop: Header=BB250_424 Depth=1
	s_delay_alu instid0(SALU_CYCLE_1)
	s_or_b32 exec_lo, exec_lo, s14
.LBB250_464:                            ;   in Loop: Header=BB250_424 Depth=1
	s_delay_alu instid0(SALU_CYCLE_1) | instskip(SKIP_3) | instid1(VALU_DEP_2)
	s_or_b32 exec_lo, exec_lo, s0
	v_lshrrev_b16 v8, 8, v8
	v_dual_mov_b32 v24, 0 :: v_dual_mov_b32 v23, 0
	s_mov_b32 s0, exec_lo
	v_cmpx_ne_u16_e32 0, v8
	s_cbranch_execz .LBB250_472
; %bb.465:                              ;   in Loop: Header=BB250_424 Depth=1
	v_bfrev_b32_e32 v23, 1
	s_mov_b32 s14, exec_lo
	v_cmpx_ne_u16_e32 0x80, v8
	s_cbranch_execz .LBB250_471
; %bb.466:                              ;   in Loop: Header=BB250_424 Depth=1
	v_and_b32_e32 v25, 0xffff, v8
	v_mov_b32_e32 v23, 0x7c010000
	s_mov_b32 s15, exec_lo
	s_delay_alu instid0(VALU_DEP_2) | instskip(NEXT) | instid1(VALU_DEP_1)
	v_and_b32_e32 v32, 0x7f, v25
	v_cmpx_ne_u32_e32 0x7f, v32
	s_cbranch_execz .LBB250_470
; %bb.467:                              ;   in Loop: Header=BB250_424 Depth=1
	v_dual_lshrrev_b32 v31, 3, v32 :: v_dual_bitop2_b32 v23, 7, v25 bitop3:0x40
	s_mov_b32 s16, exec_lo
	v_cmpx_gt_u32_e32 8, v32
; %bb.468:                              ;   in Loop: Header=BB250_424 Depth=1
	s_delay_alu instid0(VALU_DEP_2) | instskip(NEXT) | instid1(VALU_DEP_1)
	v_clz_i32_u32_e32 v23, v23
	v_min_u32_e32 v23, 32, v23
	s_delay_alu instid0(VALU_DEP_1) | instskip(NEXT) | instid1(VALU_DEP_1)
	v_subrev_nc_u32_e32 v31, 28, v23
	v_lshlrev_b64_e32 v[32:33], v31, v[8:9]
	s_delay_alu instid0(VALU_DEP_1)
	v_dual_sub_nc_u32 v31, 29, v23 :: v_dual_bitop2_b32 v23, 7, v32 bitop3:0x40
; %bb.469:                              ;   in Loop: Header=BB250_424 Depth=1
	s_or_b32 exec_lo, exec_lo, s16
	s_delay_alu instid0(VALU_DEP_1) | instskip(NEXT) | instid1(VALU_DEP_2)
	v_dual_lshlrev_b32 v8, 8, v25 :: v_dual_lshlrev_b32 v23, 23, v23
	v_lshl_add_u32 v25, v31, 10, 0x2000
	s_delay_alu instid0(VALU_DEP_1) | instskip(NEXT) | instid1(VALU_DEP_1)
	v_and_or_b32 v8, 0x8000, v8, v25
	v_lshl_or_b32 v23, v8, 16, v23
.LBB250_470:                            ;   in Loop: Header=BB250_424 Depth=1
	s_or_b32 exec_lo, exec_lo, s15
.LBB250_471:                            ;   in Loop: Header=BB250_424 Depth=1
	s_delay_alu instid0(SALU_CYCLE_1)
	s_or_b32 exec_lo, exec_lo, s14
.LBB250_472:                            ;   in Loop: Header=BB250_424 Depth=1
	s_delay_alu instid0(SALU_CYCLE_1) | instskip(SKIP_2) | instid1(VALU_DEP_1)
	s_or_b32 exec_lo, exec_lo, s0
	v_lshrrev_b32_e32 v8, 16, v19
	s_mov_b32 s0, exec_lo
	v_and_b32_e32 v25, 0xff, v8
	s_delay_alu instid0(VALU_DEP_1)
	v_cmpx_ne_u16_e32 0, v25
	s_cbranch_execz .LBB250_480
; %bb.473:                              ;   in Loop: Header=BB250_424 Depth=1
	v_mov_b32_e32 v24, 0x8000
	s_mov_b32 s14, exec_lo
	v_cmpx_ne_u16_e32 0x80, v25
	s_cbranch_execz .LBB250_479
; %bb.474:                              ;   in Loop: Header=BB250_424 Depth=1
	v_bfe_u32 v31, v19, 16, 7
	v_mov_b32_e32 v24, 0x7c01
	s_mov_b32 s15, exec_lo
	s_delay_alu instid0(VALU_DEP_2)
	v_cmpx_ne_u32_e32 0x7f, v31
	s_cbranch_execz .LBB250_478
; %bb.475:                              ;   in Loop: Header=BB250_424 Depth=1
	v_dual_lshrrev_b32 v25, 3, v31 :: v_dual_bitop2_b32 v24, 7, v8 bitop3:0x40
	s_mov_b32 s16, exec_lo
	v_cmpx_gt_u32_e32 8, v31
; %bb.476:                              ;   in Loop: Header=BB250_424 Depth=1
	s_delay_alu instid0(VALU_DEP_2) | instskip(NEXT) | instid1(VALU_DEP_1)
	v_clz_i32_u32_e32 v24, v24
	v_min_u32_e32 v31, 32, v24
	s_delay_alu instid0(VALU_DEP_1) | instskip(NEXT) | instid1(VALU_DEP_1)
	v_subrev_nc_u32_e32 v24, 28, v31
	v_lshlrev_b64_e32 v[24:25], v24, v[8:9]
	s_delay_alu instid0(VALU_DEP_1)
	v_dual_sub_nc_u32 v25, 29, v31 :: v_dual_bitop2_b32 v24, 7, v24 bitop3:0x40
; %bb.477:                              ;   in Loop: Header=BB250_424 Depth=1
	s_or_b32 exec_lo, exec_lo, s16
	v_lshlrev_b32_e32 v8, 8, v8
	s_delay_alu instid0(VALU_DEP_2) | instskip(NEXT) | instid1(VALU_DEP_3)
	v_lshl_add_u32 v25, v25, 10, 0x2000
	v_lshlrev_b32_e32 v24, 7, v24
	s_delay_alu instid0(VALU_DEP_3) | instskip(NEXT) | instid1(VALU_DEP_3)
	v_and_b32_e32 v8, 0x8000, v8
	v_and_b32_e32 v25, 0xfc00, v25
	s_delay_alu instid0(VALU_DEP_1)
	v_or3_b32 v24, v8, v25, v24
.LBB250_478:                            ;   in Loop: Header=BB250_424 Depth=1
	s_or_b32 exec_lo, exec_lo, s15
.LBB250_479:                            ;   in Loop: Header=BB250_424 Depth=1
	s_delay_alu instid0(SALU_CYCLE_1)
	s_or_b32 exec_lo, exec_lo, s14
.LBB250_480:                            ;   in Loop: Header=BB250_424 Depth=1
	s_delay_alu instid0(SALU_CYCLE_1)
	s_or_b32 exec_lo, exec_lo, s0
	v_cmp_lt_u64_e32 vcc_lo, s[2:3], v[18:19]
	v_mov_b32_e32 v18, 0
	s_and_saveexec_b32 s0, vcc_lo
	s_cbranch_execz .LBB250_488
; %bb.481:                              ;   in Loop: Header=BB250_424 Depth=1
	v_lshrrev_b32_e32 v8, 24, v19
	v_bfrev_b32_e32 v18, 1
	s_mov_b32 s14, exec_lo
	s_delay_alu instid0(VALU_DEP_2)
	v_cmpx_ne_u32_e32 0x80, v8
	s_cbranch_execz .LBB250_487
; %bb.482:                              ;   in Loop: Header=BB250_424 Depth=1
	v_and_b32_e32 v25, 0x7f, v8
	v_mov_b32_e32 v18, 0x7c010000
	s_mov_b32 s15, exec_lo
	s_delay_alu instid0(VALU_DEP_2)
	v_cmpx_ne_u32_e32 0x7f, v25
	s_cbranch_execz .LBB250_486
; %bb.483:                              ;   in Loop: Header=BB250_424 Depth=1
	v_dual_lshrrev_b32 v19, 3, v25 :: v_dual_bitop2_b32 v18, 7, v8 bitop3:0x40
	s_mov_b32 s16, exec_lo
	v_cmpx_gt_u32_e32 8, v25
; %bb.484:                              ;   in Loop: Header=BB250_424 Depth=1
	s_delay_alu instid0(VALU_DEP_2) | instskip(NEXT) | instid1(VALU_DEP_1)
	v_clz_i32_u32_e32 v18, v18
	v_min_u32_e32 v25, 32, v18
	s_delay_alu instid0(VALU_DEP_1) | instskip(NEXT) | instid1(VALU_DEP_1)
	v_subrev_nc_u32_e32 v18, 28, v25
	v_lshlrev_b64_e32 v[18:19], v18, v[8:9]
	s_delay_alu instid0(VALU_DEP_1)
	v_dual_sub_nc_u32 v19, 29, v25 :: v_dual_bitop2_b32 v18, 7, v18 bitop3:0x40
; %bb.485:                              ;   in Loop: Header=BB250_424 Depth=1
	s_or_b32 exec_lo, exec_lo, s16
	s_delay_alu instid0(VALU_DEP_1) | instskip(NEXT) | instid1(VALU_DEP_2)
	v_dual_lshlrev_b32 v8, 8, v8 :: v_dual_lshlrev_b32 v18, 23, v18
	v_lshl_add_u32 v19, v19, 10, 0x2000
	s_delay_alu instid0(VALU_DEP_1) | instskip(NEXT) | instid1(VALU_DEP_1)
	v_and_or_b32 v8, 0x8000, v8, v19
	v_lshl_or_b32 v18, v8, 16, v18
.LBB250_486:                            ;   in Loop: Header=BB250_424 Depth=1
	s_or_b32 exec_lo, exec_lo, s15
.LBB250_487:                            ;   in Loop: Header=BB250_424 Depth=1
	s_delay_alu instid0(SALU_CYCLE_1)
	s_or_b32 exec_lo, exec_lo, s14
.LBB250_488:                            ;   in Loop: Header=BB250_424 Depth=1
	s_delay_alu instid0(SALU_CYCLE_1) | instskip(SKIP_3) | instid1(VALU_DEP_3)
	s_or_b32 exec_lo, exec_lo, s0
	v_dual_lshrrev_b32 v8, 16, v20 :: v_dual_lshrrev_b32 v19, 16, v22
	v_dual_lshrrev_b32 v20, 16, v23 :: v_dual_bitop2_b32 v1, v20, v1 bitop3:0x54
	v_dual_lshrrev_b32 v22, 16, v18 :: v_dual_bitop2_b32 v17, v22, v17 bitop3:0x54
	v_cvt_f32_f16_e32 v33, v8
	s_delay_alu instid0(VALU_DEP_4) | instskip(SKIP_1) | instid1(VALU_DEP_4)
	v_cvt_f32_f16_e32 v32, v19
	v_or_b32_e32 v8, v18, v24
	v_cvt_f32_f16_e32 v18, v17
	v_cvt_f32_f16_e32 v19, v1
	v_cmp_eq_u32_e32 vcc_lo, s5, v30
	s_wait_loadcnt 0x0
	v_pk_mul_f32 v[24:25], v[16:17], v[32:33] op_sel_hi:[0,1]
	v_or_b32_e32 v17, v23, v21
	v_cvt_f32_f16_e32 v21, v20
	v_cvt_f32_f16_e32 v20, v22
	;; [unrolled: 1-line block ×3, first 2 shown]
	v_cvt_pk_f16_f32 v1, v24, v25
	v_pk_mul_f32 v[18:19], v[16:17], v[18:19] op_sel_hi:[0,1]
	v_or_b32_e32 v36, 1, v28
	v_or_b32_e32 v35, 3, v28
	;; [unrolled: 1-line block ×4, first 2 shown]
	v_cvt_pk_f16_f32 v8, v18, v19
	v_or_b32_e32 v32, 5, v28
	v_dual_add_nc_u32 v37, 2, v28 :: v_dual_bitop2_b32 v31, 7, v28 bitop3:0x54
	s_delay_alu instid0(VALU_DEP_3) | instskip(SKIP_3) | instid1(VALU_DEP_3)
	v_lshrrev_b32_e32 v25, 16, v8
	v_cvt_f32_f16_e32 v23, v17
	v_pk_mul_f32 v[20:21], v[16:17], v[20:21] op_sel_hi:[0,1]
	v_and_b32_e32 v24, 0xffff, v8
	v_pk_mul_f32 v[16:17], v[16:17], v[22:23] op_sel_hi:[0,1]
	s_delay_alu instid0(VALU_DEP_3) | instskip(SKIP_2) | instid1(VALU_DEP_4)
	v_cvt_pk_f16_f32 v18, v20, v21
	v_and_b32_e32 v23, 0xffff0000, v1
	v_lshlrev_b32_e32 v22, 16, v1
	v_cvt_pk_f16_f32 v16, v16, v17
	s_delay_alu instid0(VALU_DEP_4) | instskip(NEXT) | instid1(VALU_DEP_4)
	v_and_b32_e32 v1, 0xffff0000, v18
	v_dual_lshlrev_b32 v8, 16, v18 :: v_dual_bitop2_b32 v19, v23, v25 bitop3:0x54
	s_delay_alu instid0(VALU_DEP_4) | instskip(NEXT) | instid1(VALU_DEP_4)
	v_or_b32_e32 v18, v22, v24
	v_lshrrev_b32_e32 v21, 16, v16
	v_and_b32_e32 v20, 0xffff, v16
	s_delay_alu instid0(VALU_DEP_2) | instskip(NEXT) | instid1(VALU_DEP_2)
	v_or_b32_e32 v17, v1, v21
	v_or_b32_e32 v16, v8, v20
	s_and_saveexec_b32 s14, vcc_lo
	s_cbranch_execz .LBB250_490
; %bb.489:                              ;   in Loop: Header=BB250_424 Depth=1
	v_cmp_gt_i32_e64 s0, s9, v28
	s_delay_alu instid0(VALU_DEP_1) | instskip(SKIP_1) | instid1(VALU_DEP_1)
	v_cndmask_b32_e64 v16, 0, v25, s0
	v_cmp_gt_i32_e64 s0, s23, v37
	v_cndmask_b32_e64 v17, 0, v24, s0
	v_cmp_gt_i32_e64 s0, s9, v36
	s_delay_alu instid0(VALU_DEP_1) | instskip(SKIP_1) | instid1(VALU_DEP_1)
	v_cndmask_b32_e64 v18, 0, v23, s0
	v_cmp_gt_i32_e64 s0, s23, v35
	v_cndmask_b32_e64 v22, 0, v22, s0
	v_cmp_gt_i32_e64 s0, s9, v34
	s_delay_alu instid0(VALU_DEP_4) | instskip(NEXT) | instid1(VALU_DEP_3)
	v_or_b32_e32 v19, v18, v16
	v_or_b32_e32 v18, v22, v17
	s_delay_alu instid0(VALU_DEP_3) | instskip(SKIP_1) | instid1(VALU_DEP_1)
	v_cndmask_b32_e64 v21, 0, v21, s0
	v_cmp_gt_i32_e64 s0, s23, v33
	v_cndmask_b32_e64 v20, 0, v20, s0
	v_cmp_gt_i32_e64 s0, s9, v32
	s_delay_alu instid0(VALU_DEP_1) | instskip(SKIP_1) | instid1(VALU_DEP_1)
	v_cndmask_b32_e64 v1, 0, v1, s0
	v_cmp_gt_i32_e64 s0, s23, v31
	v_dual_cndmask_b32 v8, 0, v8, s0 :: v_dual_bitop2_b32 v17, v1, v21 bitop3:0x54
	s_delay_alu instid0(VALU_DEP_1)
	v_or_b32_e32 v16, v8, v20
.LBB250_490:                            ;   in Loop: Header=BB250_424 Depth=1
	s_or_b32 exec_lo, exec_lo, s14
	v_and_b32_e32 v1, 0xffff, v41
	v_and_b32_e32 v8, 0xffff, v42
	;; [unrolled: 1-line block ×4, first 2 shown]
	s_mov_b32 s14, exec_lo
	v_lshl_or_b32 v43, v38, 16, v1
	;;#ASMSTART
	v_pk_mul_f16 v1, v43, v19;

	;;#ASMEND
	v_lshl_or_b32 v42, v39, 16, v8
	v_lshl_or_b32 v41, v40, 16, v20
	;; [unrolled: 1-line block ×3, first 2 shown]
	;;#ASMSTART
	v_pk_mul_f16 v8, v42, v18;

	;;#ASMEND
	;;#ASMSTART
	v_pk_mul_f16 v17, v41, v17;

	;;#ASMEND
	;; [unrolled: 4-line block ×3, first 2 shown]
	;;#ASMSTART
	v_pk_add_f16 v1, v1, v8;

	;;#ASMEND
	;;#ASMSTART
	v_pk_add_f16 v1, v1, v17;

	;;#ASMEND
	;;#ASMSTART
	v_pk_add_f16 v1, v1, v16;

	;;#ASMEND
	v_and_b32_e32 v8, 0xffff, v1
	v_dual_lshrrev_b32 v1, 16, v1 :: v_dual_mov_b32 v17, 0
	;;#ASMSTART
	v_cvt_f32_f16 v44, v8;
	;;#ASMEND
	;;#ASMSTART
	v_cvt_f32_f16 v45, v1;
	;;#ASMEND
	global_load_b64 v[18:19], v[14:15], off offset:256
	v_mov_b32_e32 v1, 0
	global_load_b32 v16, v1, s[10:11]
	s_wait_loadcnt 0x1
	v_and_b32_e32 v8, 0xff, v18
	s_wait_xcnt 0x0
	s_delay_alu instid0(VALU_DEP_1)
	v_cmpx_ne_u16_e32 0, v8
	s_cbranch_execz .LBB250_498
; %bb.491:                              ;   in Loop: Header=BB250_424 Depth=1
	v_mov_b32_e32 v17, 0x8000
	s_mov_b32 s15, exec_lo
	v_cmpx_ne_u16_e32 0x80, v8
	s_cbranch_execz .LBB250_497
; %bb.492:                              ;   in Loop: Header=BB250_424 Depth=1
	v_and_b32_e32 v20, 0x7f, v18
	v_mov_b32_e32 v17, 0x7c01
	s_mov_b32 s16, exec_lo
	s_delay_alu instid0(VALU_DEP_2)
	v_cmpx_ne_u32_e32 0x7f, v20
	s_cbranch_execz .LBB250_496
; %bb.493:                              ;   in Loop: Header=BB250_424 Depth=1
	v_dual_lshrrev_b32 v17, 3, v20 :: v_dual_bitop2_b32 v8, 7, v18 bitop3:0x40
	s_mov_b32 s17, exec_lo
	v_cmpx_gt_u32_e32 8, v20
; %bb.494:                              ;   in Loop: Header=BB250_424 Depth=1
	s_delay_alu instid0(VALU_DEP_2) | instskip(NEXT) | instid1(VALU_DEP_1)
	v_clz_i32_u32_e32 v8, v8
	v_min_u32_e32 v8, 32, v8
	s_delay_alu instid0(VALU_DEP_1) | instskip(NEXT) | instid1(VALU_DEP_1)
	v_subrev_nc_u32_e32 v17, 28, v8
	v_lshlrev_b64_e32 v[20:21], v17, v[18:19]
	v_sub_nc_u32_e32 v17, 29, v8
	s_delay_alu instid0(VALU_DEP_2)
	v_and_b32_e32 v8, 7, v20
; %bb.495:                              ;   in Loop: Header=BB250_424 Depth=1
	s_or_b32 exec_lo, exec_lo, s17
	s_delay_alu instid0(VALU_DEP_1) | instskip(NEXT) | instid1(VALU_DEP_3)
	v_dual_lshlrev_b32 v20, 8, v18 :: v_dual_lshlrev_b32 v8, 7, v8
	v_lshl_add_u32 v17, v17, 10, 0x2000
	s_delay_alu instid0(VALU_DEP_2) | instskip(NEXT) | instid1(VALU_DEP_2)
	v_and_b32_e32 v20, 0x8000, v20
	v_and_b32_e32 v17, 0xfc00, v17
	s_delay_alu instid0(VALU_DEP_1)
	v_or3_b32 v17, v20, v17, v8
.LBB250_496:                            ;   in Loop: Header=BB250_424 Depth=1
	s_or_b32 exec_lo, exec_lo, s16
.LBB250_497:                            ;   in Loop: Header=BB250_424 Depth=1
	s_delay_alu instid0(SALU_CYCLE_1)
	s_or_b32 exec_lo, exec_lo, s15
.LBB250_498:                            ;   in Loop: Header=BB250_424 Depth=1
	s_delay_alu instid0(SALU_CYCLE_1) | instskip(SKIP_2) | instid1(VALU_DEP_1)
	s_or_b32 exec_lo, exec_lo, s14
	v_lshrrev_b16 v8, 8, v18
	s_mov_b32 s14, exec_lo
	v_cmpx_ne_u16_e32 0, v8
	s_cbranch_execz .LBB250_506
; %bb.499:                              ;   in Loop: Header=BB250_424 Depth=1
	v_bfrev_b32_e32 v1, 1
	s_mov_b32 s15, exec_lo
	v_cmpx_ne_u16_e32 0x80, v8
	s_cbranch_execz .LBB250_505
; %bb.500:                              ;   in Loop: Header=BB250_424 Depth=1
	v_and_b32_e32 v20, 0xffff, v8
	v_mov_b32_e32 v1, 0x7c010000
	s_mov_b32 s16, exec_lo
	s_delay_alu instid0(VALU_DEP_2) | instskip(NEXT) | instid1(VALU_DEP_1)
	v_and_b32_e32 v22, 0x7f, v20
	v_cmpx_ne_u32_e32 0x7f, v22
	s_cbranch_execz .LBB250_504
; %bb.501:                              ;   in Loop: Header=BB250_424 Depth=1
	v_dual_lshrrev_b32 v21, 3, v22 :: v_dual_bitop2_b32 v1, 7, v20 bitop3:0x40
	s_mov_b32 s17, exec_lo
	v_cmpx_gt_u32_e32 8, v22
; %bb.502:                              ;   in Loop: Header=BB250_424 Depth=1
	s_delay_alu instid0(VALU_DEP_2) | instskip(NEXT) | instid1(VALU_DEP_1)
	v_clz_i32_u32_e32 v1, v1
	v_min_u32_e32 v1, 32, v1
	s_delay_alu instid0(VALU_DEP_1) | instskip(NEXT) | instid1(VALU_DEP_1)
	v_subrev_nc_u32_e32 v21, 28, v1
	v_lshlrev_b64_e32 v[22:23], v21, v[8:9]
	s_delay_alu instid0(VALU_DEP_1)
	v_dual_sub_nc_u32 v21, 29, v1 :: v_dual_bitop2_b32 v1, 7, v22 bitop3:0x40
; %bb.503:                              ;   in Loop: Header=BB250_424 Depth=1
	s_or_b32 exec_lo, exec_lo, s17
	s_delay_alu instid0(VALU_DEP_1) | instskip(NEXT) | instid1(VALU_DEP_2)
	v_dual_lshlrev_b32 v8, 8, v20 :: v_dual_lshlrev_b32 v1, 23, v1
	v_lshl_add_u32 v20, v21, 10, 0x2000
	s_delay_alu instid0(VALU_DEP_1) | instskip(NEXT) | instid1(VALU_DEP_1)
	v_and_or_b32 v8, 0x8000, v8, v20
	v_lshl_or_b32 v1, v8, 16, v1
.LBB250_504:                            ;   in Loop: Header=BB250_424 Depth=1
	s_or_b32 exec_lo, exec_lo, s16
.LBB250_505:                            ;   in Loop: Header=BB250_424 Depth=1
	s_delay_alu instid0(SALU_CYCLE_1)
	s_or_b32 exec_lo, exec_lo, s15
.LBB250_506:                            ;   in Loop: Header=BB250_424 Depth=1
	s_delay_alu instid0(SALU_CYCLE_1) | instskip(SKIP_3) | instid1(VALU_DEP_2)
	s_or_b32 exec_lo, exec_lo, s14
	v_dual_lshrrev_b32 v8, 16, v18 :: v_dual_mov_b32 v20, 0
	v_mov_b32_e32 v21, 0
	s_mov_b32 s14, exec_lo
	v_and_b32_e32 v22, 0xff, v8
	s_delay_alu instid0(VALU_DEP_1)
	v_cmpx_ne_u16_e32 0, v22
	s_cbranch_execz .LBB250_514
; %bb.507:                              ;   in Loop: Header=BB250_424 Depth=1
	v_mov_b32_e32 v21, 0x8000
	s_mov_b32 s15, exec_lo
	v_cmpx_ne_u16_e32 0x80, v22
	s_cbranch_execz .LBB250_513
; %bb.508:                              ;   in Loop: Header=BB250_424 Depth=1
	v_bfe_u32 v23, v18, 16, 7
	v_mov_b32_e32 v21, 0x7c01
	s_mov_b32 s16, exec_lo
	s_delay_alu instid0(VALU_DEP_2)
	v_cmpx_ne_u32_e32 0x7f, v23
	s_cbranch_execz .LBB250_512
; %bb.509:                              ;   in Loop: Header=BB250_424 Depth=1
	v_dual_lshrrev_b32 v22, 3, v23 :: v_dual_bitop2_b32 v21, 7, v8 bitop3:0x40
	s_mov_b32 s17, exec_lo
	v_cmpx_gt_u32_e32 8, v23
; %bb.510:                              ;   in Loop: Header=BB250_424 Depth=1
	s_delay_alu instid0(VALU_DEP_2) | instskip(NEXT) | instid1(VALU_DEP_1)
	v_clz_i32_u32_e32 v21, v21
	v_min_u32_e32 v21, 32, v21
	s_delay_alu instid0(VALU_DEP_1) | instskip(NEXT) | instid1(VALU_DEP_1)
	v_subrev_nc_u32_e32 v22, 28, v21
	v_lshlrev_b64_e32 v[24:25], v22, v[8:9]
	s_delay_alu instid0(VALU_DEP_1)
	v_dual_sub_nc_u32 v22, 29, v21 :: v_dual_bitop2_b32 v21, 7, v24 bitop3:0x40
; %bb.511:                              ;   in Loop: Header=BB250_424 Depth=1
	s_or_b32 exec_lo, exec_lo, s17
	s_delay_alu instid0(VALU_DEP_1) | instskip(NEXT) | instid1(VALU_DEP_2)
	v_dual_lshlrev_b32 v8, 8, v8 :: v_dual_lshlrev_b32 v21, 7, v21
	v_lshl_add_u32 v22, v22, 10, 0x2000
	s_delay_alu instid0(VALU_DEP_2) | instskip(NEXT) | instid1(VALU_DEP_2)
	v_and_b32_e32 v8, 0x8000, v8
	v_and_b32_e32 v22, 0xfc00, v22
	s_delay_alu instid0(VALU_DEP_1)
	v_or3_b32 v21, v8, v22, v21
.LBB250_512:                            ;   in Loop: Header=BB250_424 Depth=1
	s_or_b32 exec_lo, exec_lo, s16
.LBB250_513:                            ;   in Loop: Header=BB250_424 Depth=1
	s_delay_alu instid0(SALU_CYCLE_1)
	s_or_b32 exec_lo, exec_lo, s15
.LBB250_514:                            ;   in Loop: Header=BB250_424 Depth=1
	s_delay_alu instid0(SALU_CYCLE_1) | instskip(NEXT) | instid1(SALU_CYCLE_1)
	s_or_b32 exec_lo, exec_lo, s14
	s_mov_b32 s14, exec_lo
	v_cmpx_lt_u32_e32 0xffffff, v18
	s_cbranch_execz .LBB250_522
; %bb.515:                              ;   in Loop: Header=BB250_424 Depth=1
	v_lshrrev_b32_e32 v8, 24, v18
	v_bfrev_b32_e32 v20, 1
	s_mov_b32 s15, exec_lo
	s_delay_alu instid0(VALU_DEP_2)
	v_cmpx_ne_u32_e32 0x80, v8
	s_cbranch_execz .LBB250_521
; %bb.516:                              ;   in Loop: Header=BB250_424 Depth=1
	v_and_b32_e32 v23, 0x7f, v8
	v_mov_b32_e32 v20, 0x7c010000
	s_mov_b32 s16, exec_lo
	s_delay_alu instid0(VALU_DEP_2)
	v_cmpx_ne_u32_e32 0x7f, v23
	s_cbranch_execz .LBB250_520
; %bb.517:                              ;   in Loop: Header=BB250_424 Depth=1
	v_dual_lshrrev_b32 v22, 3, v23 :: v_dual_bitop2_b32 v20, 7, v8 bitop3:0x40
	s_mov_b32 s17, exec_lo
	v_cmpx_gt_u32_e32 8, v23
; %bb.518:                              ;   in Loop: Header=BB250_424 Depth=1
	s_delay_alu instid0(VALU_DEP_2) | instskip(NEXT) | instid1(VALU_DEP_1)
	v_clz_i32_u32_e32 v20, v20
	v_min_u32_e32 v20, 32, v20
	s_delay_alu instid0(VALU_DEP_1) | instskip(NEXT) | instid1(VALU_DEP_1)
	v_subrev_nc_u32_e32 v22, 28, v20
	v_lshlrev_b64_e32 v[24:25], v22, v[8:9]
	v_sub_nc_u32_e32 v22, 29, v20
	s_delay_alu instid0(VALU_DEP_2)
	v_and_b32_e32 v20, 7, v24
; %bb.519:                              ;   in Loop: Header=BB250_424 Depth=1
	s_or_b32 exec_lo, exec_lo, s17
	v_lshlrev_b32_e32 v8, 8, v8
	s_delay_alu instid0(VALU_DEP_3) | instskip(NEXT) | instid1(VALU_DEP_3)
	v_lshl_add_u32 v22, v22, 10, 0x2000
	v_lshlrev_b32_e32 v20, 23, v20
	s_delay_alu instid0(VALU_DEP_2) | instskip(NEXT) | instid1(VALU_DEP_1)
	v_and_or_b32 v8, 0x8000, v8, v22
	v_lshl_or_b32 v20, v8, 16, v20
.LBB250_520:                            ;   in Loop: Header=BB250_424 Depth=1
	s_or_b32 exec_lo, exec_lo, s16
.LBB250_521:                            ;   in Loop: Header=BB250_424 Depth=1
	s_delay_alu instid0(SALU_CYCLE_1)
	s_or_b32 exec_lo, exec_lo, s15
.LBB250_522:                            ;   in Loop: Header=BB250_424 Depth=1
	s_delay_alu instid0(SALU_CYCLE_1) | instskip(SKIP_4) | instid1(VALU_DEP_3)
	s_or_b32 exec_lo, exec_lo, s14
	v_and_b32_e32 v24, 0xff, v19
	v_dual_mov_b32 v8, v19 :: v_dual_mov_b32 v23, 0
	v_mov_b32_e32 v22, 0
	s_mov_b32 s14, exec_lo
	v_cmpx_ne_u16_e32 0, v24
	s_cbranch_execz .LBB250_530
; %bb.523:                              ;   in Loop: Header=BB250_424 Depth=1
	v_mov_b32_e32 v22, 0x8000
	s_mov_b32 s15, exec_lo
	v_cmpx_ne_u16_e32 0x80, v24
	s_cbranch_execz .LBB250_529
; %bb.524:                              ;   in Loop: Header=BB250_424 Depth=1
	v_and_b32_e32 v25, 0x7f, v19
	v_mov_b32_e32 v22, 0x7c01
	s_mov_b32 s16, exec_lo
	s_delay_alu instid0(VALU_DEP_2)
	v_cmpx_ne_u32_e32 0x7f, v25
	s_cbranch_execz .LBB250_528
; %bb.525:                              ;   in Loop: Header=BB250_424 Depth=1
	v_dual_lshrrev_b32 v24, 3, v25 :: v_dual_bitop2_b32 v22, 7, v19 bitop3:0x40
	s_mov_b32 s17, exec_lo
	v_cmpx_gt_u32_e32 8, v25
; %bb.526:                              ;   in Loop: Header=BB250_424 Depth=1
	s_delay_alu instid0(VALU_DEP_2) | instskip(NEXT) | instid1(VALU_DEP_1)
	v_clz_i32_u32_e32 v22, v22
	v_min_u32_e32 v22, 32, v22
	s_delay_alu instid0(VALU_DEP_1) | instskip(NEXT) | instid1(VALU_DEP_1)
	v_subrev_nc_u32_e32 v24, 28, v22
	v_lshlrev_b64_e32 v[38:39], v24, v[8:9]
	v_sub_nc_u32_e32 v24, 29, v22
	s_delay_alu instid0(VALU_DEP_2)
	v_and_b32_e32 v22, 7, v38
; %bb.527:                              ;   in Loop: Header=BB250_424 Depth=1
	s_or_b32 exec_lo, exec_lo, s17
	s_delay_alu instid0(VALU_DEP_1) | instskip(NEXT) | instid1(VALU_DEP_3)
	v_dual_lshlrev_b32 v25, 8, v19 :: v_dual_lshlrev_b32 v22, 7, v22
	v_lshl_add_u32 v24, v24, 10, 0x2000
	s_delay_alu instid0(VALU_DEP_2) | instskip(NEXT) | instid1(VALU_DEP_2)
	v_and_b32_e32 v25, 0x8000, v25
	v_and_b32_e32 v24, 0xfc00, v24
	s_delay_alu instid0(VALU_DEP_1)
	v_or3_b32 v22, v25, v24, v22
.LBB250_528:                            ;   in Loop: Header=BB250_424 Depth=1
	s_or_b32 exec_lo, exec_lo, s16
.LBB250_529:                            ;   in Loop: Header=BB250_424 Depth=1
	s_delay_alu instid0(SALU_CYCLE_1)
	s_or_b32 exec_lo, exec_lo, s15
.LBB250_530:                            ;   in Loop: Header=BB250_424 Depth=1
	s_delay_alu instid0(SALU_CYCLE_1) | instskip(SKIP_3) | instid1(VALU_DEP_2)
	s_or_b32 exec_lo, exec_lo, s14
	v_lshrrev_b16 v8, 8, v8
	v_mov_b32_e32 v24, 0
	s_mov_b32 s14, exec_lo
	v_cmpx_ne_u16_e32 0, v8
	s_cbranch_execz .LBB250_538
; %bb.531:                              ;   in Loop: Header=BB250_424 Depth=1
	v_bfrev_b32_e32 v24, 1
	s_mov_b32 s15, exec_lo
	v_cmpx_ne_u16_e32 0x80, v8
	s_cbranch_execz .LBB250_537
; %bb.532:                              ;   in Loop: Header=BB250_424 Depth=1
	v_and_b32_e32 v25, 0xffff, v8
	v_mov_b32_e32 v24, 0x7c010000
	s_mov_b32 s16, exec_lo
	s_delay_alu instid0(VALU_DEP_2) | instskip(NEXT) | instid1(VALU_DEP_1)
	v_and_b32_e32 v39, 0x7f, v25
	v_cmpx_ne_u32_e32 0x7f, v39
	s_cbranch_execz .LBB250_536
; %bb.533:                              ;   in Loop: Header=BB250_424 Depth=1
	v_dual_lshrrev_b32 v38, 3, v39 :: v_dual_bitop2_b32 v24, 7, v25 bitop3:0x40
	s_mov_b32 s17, exec_lo
	v_cmpx_gt_u32_e32 8, v39
; %bb.534:                              ;   in Loop: Header=BB250_424 Depth=1
	s_delay_alu instid0(VALU_DEP_2) | instskip(NEXT) | instid1(VALU_DEP_1)
	v_clz_i32_u32_e32 v24, v24
	v_min_u32_e32 v24, 32, v24
	s_delay_alu instid0(VALU_DEP_1) | instskip(NEXT) | instid1(VALU_DEP_1)
	v_subrev_nc_u32_e32 v38, 28, v24
	v_lshlrev_b64_e32 v[46:47], v38, v[8:9]
	s_delay_alu instid0(VALU_DEP_1)
	v_dual_sub_nc_u32 v38, 29, v24 :: v_dual_bitop2_b32 v24, 7, v46 bitop3:0x40
; %bb.535:                              ;   in Loop: Header=BB250_424 Depth=1
	s_or_b32 exec_lo, exec_lo, s17
	s_delay_alu instid0(VALU_DEP_1) | instskip(NEXT) | instid1(VALU_DEP_2)
	v_dual_lshlrev_b32 v8, 8, v25 :: v_dual_lshlrev_b32 v24, 23, v24
	v_lshl_add_u32 v25, v38, 10, 0x2000
	s_delay_alu instid0(VALU_DEP_1) | instskip(NEXT) | instid1(VALU_DEP_1)
	v_and_or_b32 v8, 0x8000, v8, v25
	v_lshl_or_b32 v24, v8, 16, v24
.LBB250_536:                            ;   in Loop: Header=BB250_424 Depth=1
	s_or_b32 exec_lo, exec_lo, s16
.LBB250_537:                            ;   in Loop: Header=BB250_424 Depth=1
	s_delay_alu instid0(SALU_CYCLE_1)
	s_or_b32 exec_lo, exec_lo, s15
.LBB250_538:                            ;   in Loop: Header=BB250_424 Depth=1
	s_delay_alu instid0(SALU_CYCLE_1) | instskip(SKIP_2) | instid1(VALU_DEP_1)
	s_or_b32 exec_lo, exec_lo, s14
	v_lshrrev_b32_e32 v8, 16, v19
	s_mov_b32 s14, exec_lo
	v_and_b32_e32 v25, 0xff, v8
	s_delay_alu instid0(VALU_DEP_1)
	v_cmpx_ne_u16_e32 0, v25
	s_cbranch_execz .LBB250_546
; %bb.539:                              ;   in Loop: Header=BB250_424 Depth=1
	v_mov_b32_e32 v23, 0x8000
	s_mov_b32 s15, exec_lo
	v_cmpx_ne_u16_e32 0x80, v25
	s_cbranch_execz .LBB250_545
; %bb.540:                              ;   in Loop: Header=BB250_424 Depth=1
	v_bfe_u32 v38, v19, 16, 7
	v_mov_b32_e32 v23, 0x7c01
	s_mov_b32 s16, exec_lo
	s_delay_alu instid0(VALU_DEP_2)
	v_cmpx_ne_u32_e32 0x7f, v38
	s_cbranch_execz .LBB250_544
; %bb.541:                              ;   in Loop: Header=BB250_424 Depth=1
	v_dual_lshrrev_b32 v25, 3, v38 :: v_dual_bitop2_b32 v23, 7, v8 bitop3:0x40
	s_mov_b32 s17, exec_lo
	v_cmpx_gt_u32_e32 8, v38
; %bb.542:                              ;   in Loop: Header=BB250_424 Depth=1
	s_delay_alu instid0(VALU_DEP_2) | instskip(NEXT) | instid1(VALU_DEP_1)
	v_clz_i32_u32_e32 v23, v23
	v_min_u32_e32 v23, 32, v23
	s_delay_alu instid0(VALU_DEP_1) | instskip(NEXT) | instid1(VALU_DEP_1)
	v_subrev_nc_u32_e32 v25, 28, v23
	v_lshlrev_b64_e32 v[38:39], v25, v[8:9]
	s_delay_alu instid0(VALU_DEP_1)
	v_dual_sub_nc_u32 v25, 29, v23 :: v_dual_bitop2_b32 v23, 7, v38 bitop3:0x40
; %bb.543:                              ;   in Loop: Header=BB250_424 Depth=1
	s_or_b32 exec_lo, exec_lo, s17
	s_delay_alu instid0(VALU_DEP_1) | instskip(NEXT) | instid1(VALU_DEP_2)
	v_dual_lshlrev_b32 v8, 8, v8 :: v_dual_lshlrev_b32 v23, 7, v23
	v_lshl_add_u32 v25, v25, 10, 0x2000
	s_delay_alu instid0(VALU_DEP_2) | instskip(NEXT) | instid1(VALU_DEP_2)
	v_and_b32_e32 v8, 0x8000, v8
	v_and_b32_e32 v25, 0xfc00, v25
	s_delay_alu instid0(VALU_DEP_1)
	v_or3_b32 v23, v8, v25, v23
.LBB250_544:                            ;   in Loop: Header=BB250_424 Depth=1
	s_or_b32 exec_lo, exec_lo, s16
.LBB250_545:                            ;   in Loop: Header=BB250_424 Depth=1
	s_delay_alu instid0(SALU_CYCLE_1)
	s_or_b32 exec_lo, exec_lo, s15
.LBB250_546:                            ;   in Loop: Header=BB250_424 Depth=1
	s_delay_alu instid0(SALU_CYCLE_1)
	s_or_b32 exec_lo, exec_lo, s14
	v_cmp_lt_u64_e64 s0, s[2:3], v[18:19]
	v_mov_b32_e32 v18, 0
	s_and_saveexec_b32 s14, s0
	s_cbranch_execz .LBB250_554
; %bb.547:                              ;   in Loop: Header=BB250_424 Depth=1
	v_lshrrev_b32_e32 v8, 24, v19
	v_bfrev_b32_e32 v18, 1
	s_mov_b32 s15, exec_lo
	s_delay_alu instid0(VALU_DEP_2)
	v_cmpx_ne_u32_e32 0x80, v8
	s_cbranch_execz .LBB250_553
; %bb.548:                              ;   in Loop: Header=BB250_424 Depth=1
	v_and_b32_e32 v25, 0x7f, v8
	v_mov_b32_e32 v18, 0x7c010000
	s_mov_b32 s16, exec_lo
	s_delay_alu instid0(VALU_DEP_2)
	v_cmpx_ne_u32_e32 0x7f, v25
	s_cbranch_execz .LBB250_552
; %bb.549:                              ;   in Loop: Header=BB250_424 Depth=1
	v_dual_lshrrev_b32 v19, 3, v25 :: v_dual_bitop2_b32 v18, 7, v8 bitop3:0x40
	s_mov_b32 s17, exec_lo
	v_cmpx_gt_u32_e32 8, v25
; %bb.550:                              ;   in Loop: Header=BB250_424 Depth=1
	s_delay_alu instid0(VALU_DEP_2) | instskip(NEXT) | instid1(VALU_DEP_1)
	v_clz_i32_u32_e32 v18, v18
	v_min_u32_e32 v25, 32, v18
	s_delay_alu instid0(VALU_DEP_1) | instskip(NEXT) | instid1(VALU_DEP_1)
	v_subrev_nc_u32_e32 v18, 28, v25
	v_lshlrev_b64_e32 v[18:19], v18, v[8:9]
	s_delay_alu instid0(VALU_DEP_1)
	v_dual_sub_nc_u32 v19, 29, v25 :: v_dual_bitop2_b32 v18, 7, v18 bitop3:0x40
; %bb.551:                              ;   in Loop: Header=BB250_424 Depth=1
	s_or_b32 exec_lo, exec_lo, s17
	s_delay_alu instid0(VALU_DEP_1) | instskip(NEXT) | instid1(VALU_DEP_2)
	v_dual_lshlrev_b32 v8, 8, v8 :: v_dual_lshlrev_b32 v18, 23, v18
	v_lshl_add_u32 v19, v19, 10, 0x2000
	s_delay_alu instid0(VALU_DEP_1) | instskip(NEXT) | instid1(VALU_DEP_1)
	v_and_or_b32 v8, 0x8000, v8, v19
	v_lshl_or_b32 v18, v8, 16, v18
.LBB250_552:                            ;   in Loop: Header=BB250_424 Depth=1
	s_or_b32 exec_lo, exec_lo, s16
.LBB250_553:                            ;   in Loop: Header=BB250_424 Depth=1
	s_delay_alu instid0(SALU_CYCLE_1)
	s_or_b32 exec_lo, exec_lo, s15
.LBB250_554:                            ;   in Loop: Header=BB250_424 Depth=1
	s_delay_alu instid0(SALU_CYCLE_1) | instskip(SKIP_3) | instid1(VALU_DEP_3)
	s_or_b32 exec_lo, exec_lo, s14
	v_dual_lshrrev_b32 v8, 16, v1 :: v_dual_lshrrev_b32 v19, 16, v20
	v_or_b32_e32 v1, v1, v17
	v_dual_lshrrev_b32 v25, 16, v18 :: v_dual_bitop2_b32 v17, v20, v21 bitop3:0x54
	v_cvt_f32_f16_e32 v21, v8
	s_delay_alu instid0(VALU_DEP_4) | instskip(SKIP_1) | instid1(VALU_DEP_4)
	v_cvt_f32_f16_e32 v20, v19
	v_dual_lshrrev_b32 v23, 16, v24 :: v_dual_bitop2_b32 v8, v18, v23 bitop3:0x54
	v_cvt_f32_f16_e32 v18, v17
	v_cvt_f32_f16_e32 v19, v1
	s_wait_loadcnt 0x0
	v_pk_mul_f32 v[20:21], v[16:17], v[20:21] op_sel_hi:[0,1]
	v_or_b32_e32 v17, v24, v22
	v_cvt_f32_f16_e32 v23, v23
	v_cvt_f32_f16_e32 v22, v25
	;; [unrolled: 1-line block ×3, first 2 shown]
	v_cvt_pk_f16_f32 v1, v20, v21
	v_cvt_f32_f16_e32 v25, v17
	v_pk_mul_f32 v[18:19], v[16:17], v[18:19] op_sel_hi:[0,1]
	v_pk_mul_f32 v[20:21], v[16:17], v[22:23] op_sel_hi:[0,1]
	s_delay_alu instid0(VALU_DEP_3) | instskip(NEXT) | instid1(VALU_DEP_3)
	v_pk_mul_f32 v[16:17], v[16:17], v[24:25] op_sel_hi:[0,1]
	v_cvt_pk_f16_f32 v8, v18, v19
	v_and_b32_e32 v19, 0xffff0000, v1
	s_delay_alu instid0(VALU_DEP_4)
	v_cvt_pk_f16_f32 v20, v20, v21
	v_lshlrev_b32_e32 v18, 16, v1
	v_cvt_pk_f16_f32 v16, v16, v17
	v_lshrrev_b32_e32 v25, 16, v8
	v_and_b32_e32 v24, 0xffff, v8
	v_and_b32_e32 v1, 0xffff0000, v20
	s_delay_alu instid0(VALU_DEP_3) | instskip(SKIP_3) | instid1(VALU_DEP_2)
	v_dual_lshlrev_b32 v8, 16, v20 :: v_dual_bitop2_b32 v23, v19, v25 bitop3:0x54
	v_lshrrev_b32_e32 v17, 16, v16
	v_and_b32_e32 v16, 0xffff, v16
	v_or_b32_e32 v22, v18, v24
	v_or_b32_e32 v20, v8, v16
	s_delay_alu instid0(VALU_DEP_4)
	v_or_b32_e32 v21, v1, v17
	s_and_saveexec_b32 s14, vcc_lo
	s_cbranch_execz .LBB250_556
; %bb.555:                              ;   in Loop: Header=BB250_424 Depth=1
	v_cmp_gt_i32_e64 s0, s9, v28
	s_delay_alu instid0(VALU_DEP_1) | instskip(SKIP_1) | instid1(VALU_DEP_1)
	v_cndmask_b32_e64 v20, 0, v25, s0
	v_cmp_gt_i32_e64 s0, s23, v37
	v_cndmask_b32_e64 v21, 0, v24, s0
	v_cmp_gt_i32_e64 s0, s9, v36
	s_delay_alu instid0(VALU_DEP_1) | instskip(SKIP_1) | instid1(VALU_DEP_1)
	v_cndmask_b32_e64 v19, 0, v19, s0
	v_cmp_gt_i32_e64 s0, s23, v35
	v_cndmask_b32_e64 v18, 0, v18, s0
	v_cmp_gt_i32_e64 s0, s9, v34
	s_delay_alu instid0(VALU_DEP_4) | instskip(NEXT) | instid1(VALU_DEP_3)
	v_or_b32_e32 v23, v19, v20
	v_or_b32_e32 v22, v18, v21
	s_delay_alu instid0(VALU_DEP_3) | instskip(SKIP_1) | instid1(VALU_DEP_1)
	v_cndmask_b32_e64 v17, 0, v17, s0
	v_cmp_gt_i32_e64 s0, s23, v33
	v_cndmask_b32_e64 v16, 0, v16, s0
	v_cmp_gt_i32_e64 s0, s9, v32
	s_delay_alu instid0(VALU_DEP_1) | instskip(SKIP_1) | instid1(VALU_DEP_1)
	v_cndmask_b32_e64 v1, 0, v1, s0
	v_cmp_gt_i32_e64 s0, s23, v31
	v_dual_cndmask_b32 v8, 0, v8, s0 :: v_dual_bitop2_b32 v21, v1, v17 bitop3:0x54
	s_delay_alu instid0(VALU_DEP_1)
	v_or_b32_e32 v20, v8, v16
.LBB250_556:                            ;   in Loop: Header=BB250_424 Depth=1
	s_or_b32 exec_lo, exec_lo, s14
	;;#ASMSTART
	v_pk_mul_f16 v1, v43, v23;

	;;#ASMEND
	;;#ASMSTART
	v_pk_mul_f16 v8, v42, v22;

	;;#ASMEND
	;; [unrolled: 4-line block ×4, first 2 shown]
	;;#ASMSTART
	v_pk_add_f16 v1, v1, v8;

	;;#ASMEND
	;;#ASMSTART
	v_pk_add_f16 v1, v1, v16;

	;;#ASMEND
	;; [unrolled: 4-line block ×3, first 2 shown]
	v_and_b32_e32 v8, 0xffff, v1
	v_dual_lshrrev_b32 v1, 16, v1 :: v_dual_mov_b32 v17, 0
	;;#ASMSTART
	v_cvt_f32_f16 v46, v8;
	;;#ASMEND
	;;#ASMSTART
	v_cvt_f32_f16 v47, v1;
	;;#ASMEND
	global_load_b64 v[18:19], v[14:15], off offset:512
	v_mov_b32_e32 v1, 0
	s_mov_b32 s14, exec_lo
	global_load_b32 v16, v1, s[10:11]
	s_wait_loadcnt 0x1
	v_and_b32_e32 v8, 0xff, v18
	s_wait_xcnt 0x0
	s_delay_alu instid0(VALU_DEP_1)
	v_cmpx_ne_u16_e32 0, v8
	s_cbranch_execz .LBB250_564
; %bb.557:                              ;   in Loop: Header=BB250_424 Depth=1
	v_mov_b32_e32 v17, 0x8000
	s_mov_b32 s15, exec_lo
	v_cmpx_ne_u16_e32 0x80, v8
	s_cbranch_execz .LBB250_563
; %bb.558:                              ;   in Loop: Header=BB250_424 Depth=1
	v_and_b32_e32 v20, 0x7f, v18
	v_mov_b32_e32 v17, 0x7c01
	s_mov_b32 s16, exec_lo
	s_delay_alu instid0(VALU_DEP_2)
	v_cmpx_ne_u32_e32 0x7f, v20
	s_cbranch_execz .LBB250_562
; %bb.559:                              ;   in Loop: Header=BB250_424 Depth=1
	v_dual_lshrrev_b32 v17, 3, v20 :: v_dual_bitop2_b32 v8, 7, v18 bitop3:0x40
	s_mov_b32 s17, exec_lo
	v_cmpx_gt_u32_e32 8, v20
; %bb.560:                              ;   in Loop: Header=BB250_424 Depth=1
	s_delay_alu instid0(VALU_DEP_2) | instskip(NEXT) | instid1(VALU_DEP_1)
	v_clz_i32_u32_e32 v8, v8
	v_min_u32_e32 v8, 32, v8
	s_delay_alu instid0(VALU_DEP_1) | instskip(NEXT) | instid1(VALU_DEP_1)
	v_subrev_nc_u32_e32 v17, 28, v8
	v_lshlrev_b64_e32 v[20:21], v17, v[18:19]
	v_sub_nc_u32_e32 v17, 29, v8
	s_delay_alu instid0(VALU_DEP_2)
	v_and_b32_e32 v8, 7, v20
; %bb.561:                              ;   in Loop: Header=BB250_424 Depth=1
	s_or_b32 exec_lo, exec_lo, s17
	s_delay_alu instid0(VALU_DEP_1) | instskip(NEXT) | instid1(VALU_DEP_3)
	v_dual_lshlrev_b32 v20, 8, v18 :: v_dual_lshlrev_b32 v8, 7, v8
	v_lshl_add_u32 v17, v17, 10, 0x2000
	s_delay_alu instid0(VALU_DEP_2) | instskip(NEXT) | instid1(VALU_DEP_2)
	v_and_b32_e32 v20, 0x8000, v20
	v_and_b32_e32 v17, 0xfc00, v17
	s_delay_alu instid0(VALU_DEP_1)
	v_or3_b32 v17, v20, v17, v8
.LBB250_562:                            ;   in Loop: Header=BB250_424 Depth=1
	s_or_b32 exec_lo, exec_lo, s16
.LBB250_563:                            ;   in Loop: Header=BB250_424 Depth=1
	s_delay_alu instid0(SALU_CYCLE_1)
	s_or_b32 exec_lo, exec_lo, s15
.LBB250_564:                            ;   in Loop: Header=BB250_424 Depth=1
	s_delay_alu instid0(SALU_CYCLE_1) | instskip(SKIP_2) | instid1(VALU_DEP_1)
	s_or_b32 exec_lo, exec_lo, s14
	v_lshrrev_b16 v8, 8, v18
	s_mov_b32 s14, exec_lo
	v_cmpx_ne_u16_e32 0, v8
	s_cbranch_execz .LBB250_572
; %bb.565:                              ;   in Loop: Header=BB250_424 Depth=1
	v_bfrev_b32_e32 v1, 1
	s_mov_b32 s15, exec_lo
	v_cmpx_ne_u16_e32 0x80, v8
	s_cbranch_execz .LBB250_571
; %bb.566:                              ;   in Loop: Header=BB250_424 Depth=1
	v_and_b32_e32 v20, 0xffff, v8
	v_mov_b32_e32 v1, 0x7c010000
	s_mov_b32 s16, exec_lo
	s_delay_alu instid0(VALU_DEP_2) | instskip(NEXT) | instid1(VALU_DEP_1)
	v_and_b32_e32 v22, 0x7f, v20
	v_cmpx_ne_u32_e32 0x7f, v22
	s_cbranch_execz .LBB250_570
; %bb.567:                              ;   in Loop: Header=BB250_424 Depth=1
	v_dual_lshrrev_b32 v21, 3, v22 :: v_dual_bitop2_b32 v1, 7, v20 bitop3:0x40
	s_mov_b32 s17, exec_lo
	v_cmpx_gt_u32_e32 8, v22
; %bb.568:                              ;   in Loop: Header=BB250_424 Depth=1
	s_delay_alu instid0(VALU_DEP_2) | instskip(NEXT) | instid1(VALU_DEP_1)
	v_clz_i32_u32_e32 v1, v1
	v_min_u32_e32 v1, 32, v1
	s_delay_alu instid0(VALU_DEP_1) | instskip(NEXT) | instid1(VALU_DEP_1)
	v_subrev_nc_u32_e32 v21, 28, v1
	v_lshlrev_b64_e32 v[22:23], v21, v[8:9]
	s_delay_alu instid0(VALU_DEP_1)
	v_dual_sub_nc_u32 v21, 29, v1 :: v_dual_bitop2_b32 v1, 7, v22 bitop3:0x40
; %bb.569:                              ;   in Loop: Header=BB250_424 Depth=1
	s_or_b32 exec_lo, exec_lo, s17
	s_delay_alu instid0(VALU_DEP_1) | instskip(NEXT) | instid1(VALU_DEP_2)
	v_dual_lshlrev_b32 v8, 8, v20 :: v_dual_lshlrev_b32 v1, 23, v1
	v_lshl_add_u32 v20, v21, 10, 0x2000
	s_delay_alu instid0(VALU_DEP_1) | instskip(NEXT) | instid1(VALU_DEP_1)
	v_and_or_b32 v8, 0x8000, v8, v20
	v_lshl_or_b32 v1, v8, 16, v1
.LBB250_570:                            ;   in Loop: Header=BB250_424 Depth=1
	s_or_b32 exec_lo, exec_lo, s16
.LBB250_571:                            ;   in Loop: Header=BB250_424 Depth=1
	s_delay_alu instid0(SALU_CYCLE_1)
	s_or_b32 exec_lo, exec_lo, s15
.LBB250_572:                            ;   in Loop: Header=BB250_424 Depth=1
	s_delay_alu instid0(SALU_CYCLE_1) | instskip(SKIP_3) | instid1(VALU_DEP_2)
	s_or_b32 exec_lo, exec_lo, s14
	v_dual_lshrrev_b32 v8, 16, v18 :: v_dual_mov_b32 v20, 0
	v_mov_b32_e32 v21, 0
	s_mov_b32 s14, exec_lo
	v_and_b32_e32 v22, 0xff, v8
	s_delay_alu instid0(VALU_DEP_1)
	v_cmpx_ne_u16_e32 0, v22
	s_cbranch_execz .LBB250_580
; %bb.573:                              ;   in Loop: Header=BB250_424 Depth=1
	v_mov_b32_e32 v21, 0x8000
	s_mov_b32 s15, exec_lo
	v_cmpx_ne_u16_e32 0x80, v22
	s_cbranch_execz .LBB250_579
; %bb.574:                              ;   in Loop: Header=BB250_424 Depth=1
	v_bfe_u32 v23, v18, 16, 7
	v_mov_b32_e32 v21, 0x7c01
	s_mov_b32 s16, exec_lo
	s_delay_alu instid0(VALU_DEP_2)
	v_cmpx_ne_u32_e32 0x7f, v23
	s_cbranch_execz .LBB250_578
; %bb.575:                              ;   in Loop: Header=BB250_424 Depth=1
	v_dual_lshrrev_b32 v22, 3, v23 :: v_dual_bitop2_b32 v21, 7, v8 bitop3:0x40
	s_mov_b32 s17, exec_lo
	v_cmpx_gt_u32_e32 8, v23
; %bb.576:                              ;   in Loop: Header=BB250_424 Depth=1
	s_delay_alu instid0(VALU_DEP_2) | instskip(NEXT) | instid1(VALU_DEP_1)
	v_clz_i32_u32_e32 v21, v21
	v_min_u32_e32 v21, 32, v21
	s_delay_alu instid0(VALU_DEP_1) | instskip(NEXT) | instid1(VALU_DEP_1)
	v_subrev_nc_u32_e32 v22, 28, v21
	v_lshlrev_b64_e32 v[24:25], v22, v[8:9]
	s_delay_alu instid0(VALU_DEP_1)
	v_dual_sub_nc_u32 v22, 29, v21 :: v_dual_bitop2_b32 v21, 7, v24 bitop3:0x40
; %bb.577:                              ;   in Loop: Header=BB250_424 Depth=1
	s_or_b32 exec_lo, exec_lo, s17
	s_delay_alu instid0(VALU_DEP_1) | instskip(NEXT) | instid1(VALU_DEP_2)
	v_dual_lshlrev_b32 v8, 8, v8 :: v_dual_lshlrev_b32 v21, 7, v21
	v_lshl_add_u32 v22, v22, 10, 0x2000
	s_delay_alu instid0(VALU_DEP_2) | instskip(NEXT) | instid1(VALU_DEP_2)
	v_and_b32_e32 v8, 0x8000, v8
	v_and_b32_e32 v22, 0xfc00, v22
	s_delay_alu instid0(VALU_DEP_1)
	v_or3_b32 v21, v8, v22, v21
.LBB250_578:                            ;   in Loop: Header=BB250_424 Depth=1
	s_or_b32 exec_lo, exec_lo, s16
.LBB250_579:                            ;   in Loop: Header=BB250_424 Depth=1
	s_delay_alu instid0(SALU_CYCLE_1)
	s_or_b32 exec_lo, exec_lo, s15
.LBB250_580:                            ;   in Loop: Header=BB250_424 Depth=1
	s_delay_alu instid0(SALU_CYCLE_1) | instskip(NEXT) | instid1(SALU_CYCLE_1)
	s_or_b32 exec_lo, exec_lo, s14
	s_mov_b32 s14, exec_lo
	v_cmpx_lt_u32_e32 0xffffff, v18
	s_cbranch_execz .LBB250_588
; %bb.581:                              ;   in Loop: Header=BB250_424 Depth=1
	v_lshrrev_b32_e32 v8, 24, v18
	v_bfrev_b32_e32 v20, 1
	s_mov_b32 s15, exec_lo
	s_delay_alu instid0(VALU_DEP_2)
	v_cmpx_ne_u32_e32 0x80, v8
	s_cbranch_execz .LBB250_587
; %bb.582:                              ;   in Loop: Header=BB250_424 Depth=1
	v_and_b32_e32 v23, 0x7f, v8
	v_mov_b32_e32 v20, 0x7c010000
	s_mov_b32 s16, exec_lo
	s_delay_alu instid0(VALU_DEP_2)
	v_cmpx_ne_u32_e32 0x7f, v23
	s_cbranch_execz .LBB250_586
; %bb.583:                              ;   in Loop: Header=BB250_424 Depth=1
	v_dual_lshrrev_b32 v22, 3, v23 :: v_dual_bitop2_b32 v20, 7, v8 bitop3:0x40
	s_mov_b32 s17, exec_lo
	v_cmpx_gt_u32_e32 8, v23
; %bb.584:                              ;   in Loop: Header=BB250_424 Depth=1
	s_delay_alu instid0(VALU_DEP_2) | instskip(NEXT) | instid1(VALU_DEP_1)
	v_clz_i32_u32_e32 v20, v20
	v_min_u32_e32 v20, 32, v20
	s_delay_alu instid0(VALU_DEP_1) | instskip(NEXT) | instid1(VALU_DEP_1)
	v_subrev_nc_u32_e32 v22, 28, v20
	v_lshlrev_b64_e32 v[24:25], v22, v[8:9]
	v_sub_nc_u32_e32 v22, 29, v20
	s_delay_alu instid0(VALU_DEP_2)
	v_and_b32_e32 v20, 7, v24
; %bb.585:                              ;   in Loop: Header=BB250_424 Depth=1
	s_or_b32 exec_lo, exec_lo, s17
	v_lshlrev_b32_e32 v8, 8, v8
	s_delay_alu instid0(VALU_DEP_3) | instskip(NEXT) | instid1(VALU_DEP_3)
	v_lshl_add_u32 v22, v22, 10, 0x2000
	v_lshlrev_b32_e32 v20, 23, v20
	s_delay_alu instid0(VALU_DEP_2) | instskip(NEXT) | instid1(VALU_DEP_1)
	v_and_or_b32 v8, 0x8000, v8, v22
	v_lshl_or_b32 v20, v8, 16, v20
.LBB250_586:                            ;   in Loop: Header=BB250_424 Depth=1
	s_or_b32 exec_lo, exec_lo, s16
.LBB250_587:                            ;   in Loop: Header=BB250_424 Depth=1
	s_delay_alu instid0(SALU_CYCLE_1)
	s_or_b32 exec_lo, exec_lo, s15
.LBB250_588:                            ;   in Loop: Header=BB250_424 Depth=1
	s_delay_alu instid0(SALU_CYCLE_1) | instskip(SKIP_4) | instid1(VALU_DEP_3)
	s_or_b32 exec_lo, exec_lo, s14
	v_and_b32_e32 v24, 0xff, v19
	v_dual_mov_b32 v8, v19 :: v_dual_mov_b32 v23, 0
	v_mov_b32_e32 v22, 0
	s_mov_b32 s14, exec_lo
	v_cmpx_ne_u16_e32 0, v24
	s_cbranch_execz .LBB250_596
; %bb.589:                              ;   in Loop: Header=BB250_424 Depth=1
	v_mov_b32_e32 v22, 0x8000
	s_mov_b32 s15, exec_lo
	v_cmpx_ne_u16_e32 0x80, v24
	s_cbranch_execz .LBB250_595
; %bb.590:                              ;   in Loop: Header=BB250_424 Depth=1
	v_and_b32_e32 v25, 0x7f, v19
	v_mov_b32_e32 v22, 0x7c01
	s_mov_b32 s16, exec_lo
	s_delay_alu instid0(VALU_DEP_2)
	v_cmpx_ne_u32_e32 0x7f, v25
	s_cbranch_execz .LBB250_594
; %bb.591:                              ;   in Loop: Header=BB250_424 Depth=1
	v_dual_lshrrev_b32 v24, 3, v25 :: v_dual_bitop2_b32 v22, 7, v19 bitop3:0x40
	s_mov_b32 s17, exec_lo
	v_cmpx_gt_u32_e32 8, v25
; %bb.592:                              ;   in Loop: Header=BB250_424 Depth=1
	s_delay_alu instid0(VALU_DEP_2) | instskip(NEXT) | instid1(VALU_DEP_1)
	v_clz_i32_u32_e32 v22, v22
	v_min_u32_e32 v22, 32, v22
	s_delay_alu instid0(VALU_DEP_1) | instskip(NEXT) | instid1(VALU_DEP_1)
	v_subrev_nc_u32_e32 v24, 28, v22
	v_lshlrev_b64_e32 v[38:39], v24, v[8:9]
	v_sub_nc_u32_e32 v24, 29, v22
	s_delay_alu instid0(VALU_DEP_2)
	v_and_b32_e32 v22, 7, v38
; %bb.593:                              ;   in Loop: Header=BB250_424 Depth=1
	s_or_b32 exec_lo, exec_lo, s17
	s_delay_alu instid0(VALU_DEP_1) | instskip(NEXT) | instid1(VALU_DEP_3)
	v_dual_lshlrev_b32 v25, 8, v19 :: v_dual_lshlrev_b32 v22, 7, v22
	v_lshl_add_u32 v24, v24, 10, 0x2000
	s_delay_alu instid0(VALU_DEP_2) | instskip(NEXT) | instid1(VALU_DEP_2)
	v_and_b32_e32 v25, 0x8000, v25
	v_and_b32_e32 v24, 0xfc00, v24
	s_delay_alu instid0(VALU_DEP_1)
	v_or3_b32 v22, v25, v24, v22
.LBB250_594:                            ;   in Loop: Header=BB250_424 Depth=1
	s_or_b32 exec_lo, exec_lo, s16
.LBB250_595:                            ;   in Loop: Header=BB250_424 Depth=1
	s_delay_alu instid0(SALU_CYCLE_1)
	s_or_b32 exec_lo, exec_lo, s15
.LBB250_596:                            ;   in Loop: Header=BB250_424 Depth=1
	s_delay_alu instid0(SALU_CYCLE_1) | instskip(SKIP_3) | instid1(VALU_DEP_2)
	s_or_b32 exec_lo, exec_lo, s14
	v_lshrrev_b16 v8, 8, v8
	v_mov_b32_e32 v24, 0
	s_mov_b32 s14, exec_lo
	v_cmpx_ne_u16_e32 0, v8
	s_cbranch_execz .LBB250_604
; %bb.597:                              ;   in Loop: Header=BB250_424 Depth=1
	v_bfrev_b32_e32 v24, 1
	s_mov_b32 s15, exec_lo
	v_cmpx_ne_u16_e32 0x80, v8
	s_cbranch_execz .LBB250_603
; %bb.598:                              ;   in Loop: Header=BB250_424 Depth=1
	v_and_b32_e32 v25, 0xffff, v8
	v_mov_b32_e32 v24, 0x7c010000
	s_mov_b32 s16, exec_lo
	s_delay_alu instid0(VALU_DEP_2) | instskip(NEXT) | instid1(VALU_DEP_1)
	v_and_b32_e32 v39, 0x7f, v25
	v_cmpx_ne_u32_e32 0x7f, v39
	s_cbranch_execz .LBB250_602
; %bb.599:                              ;   in Loop: Header=BB250_424 Depth=1
	v_dual_lshrrev_b32 v38, 3, v39 :: v_dual_bitop2_b32 v24, 7, v25 bitop3:0x40
	s_mov_b32 s17, exec_lo
	v_cmpx_gt_u32_e32 8, v39
; %bb.600:                              ;   in Loop: Header=BB250_424 Depth=1
	s_delay_alu instid0(VALU_DEP_2) | instskip(NEXT) | instid1(VALU_DEP_1)
	v_clz_i32_u32_e32 v24, v24
	v_min_u32_e32 v24, 32, v24
	s_delay_alu instid0(VALU_DEP_1) | instskip(NEXT) | instid1(VALU_DEP_1)
	v_subrev_nc_u32_e32 v38, 28, v24
	v_lshlrev_b64_e32 v[48:49], v38, v[8:9]
	v_sub_nc_u32_e32 v38, 29, v24
	s_delay_alu instid0(VALU_DEP_2)
	v_and_b32_e32 v24, 7, v48
; %bb.601:                              ;   in Loop: Header=BB250_424 Depth=1
	s_or_b32 exec_lo, exec_lo, s17
	s_delay_alu instid0(VALU_DEP_1) | instskip(NEXT) | instid1(VALU_DEP_3)
	v_dual_lshlrev_b32 v8, 8, v25 :: v_dual_lshlrev_b32 v24, 23, v24
	v_lshl_add_u32 v25, v38, 10, 0x2000
	s_delay_alu instid0(VALU_DEP_1) | instskip(NEXT) | instid1(VALU_DEP_1)
	v_and_or_b32 v8, 0x8000, v8, v25
	v_lshl_or_b32 v24, v8, 16, v24
.LBB250_602:                            ;   in Loop: Header=BB250_424 Depth=1
	s_or_b32 exec_lo, exec_lo, s16
.LBB250_603:                            ;   in Loop: Header=BB250_424 Depth=1
	s_delay_alu instid0(SALU_CYCLE_1)
	s_or_b32 exec_lo, exec_lo, s15
.LBB250_604:                            ;   in Loop: Header=BB250_424 Depth=1
	s_delay_alu instid0(SALU_CYCLE_1) | instskip(SKIP_2) | instid1(VALU_DEP_1)
	s_or_b32 exec_lo, exec_lo, s14
	v_lshrrev_b32_e32 v8, 16, v19
	s_mov_b32 s14, exec_lo
	v_and_b32_e32 v25, 0xff, v8
	s_delay_alu instid0(VALU_DEP_1)
	v_cmpx_ne_u16_e32 0, v25
	s_cbranch_execz .LBB250_612
; %bb.605:                              ;   in Loop: Header=BB250_424 Depth=1
	v_mov_b32_e32 v23, 0x8000
	s_mov_b32 s15, exec_lo
	v_cmpx_ne_u16_e32 0x80, v25
	s_cbranch_execz .LBB250_611
; %bb.606:                              ;   in Loop: Header=BB250_424 Depth=1
	v_bfe_u32 v38, v19, 16, 7
	v_mov_b32_e32 v23, 0x7c01
	s_mov_b32 s16, exec_lo
	s_delay_alu instid0(VALU_DEP_2)
	v_cmpx_ne_u32_e32 0x7f, v38
	s_cbranch_execz .LBB250_610
; %bb.607:                              ;   in Loop: Header=BB250_424 Depth=1
	v_dual_lshrrev_b32 v25, 3, v38 :: v_dual_bitop2_b32 v23, 7, v8 bitop3:0x40
	s_mov_b32 s17, exec_lo
	v_cmpx_gt_u32_e32 8, v38
; %bb.608:                              ;   in Loop: Header=BB250_424 Depth=1
	s_delay_alu instid0(VALU_DEP_2) | instskip(NEXT) | instid1(VALU_DEP_1)
	v_clz_i32_u32_e32 v23, v23
	v_min_u32_e32 v23, 32, v23
	s_delay_alu instid0(VALU_DEP_1) | instskip(NEXT) | instid1(VALU_DEP_1)
	v_subrev_nc_u32_e32 v25, 28, v23
	v_lshlrev_b64_e32 v[38:39], v25, v[8:9]
	s_delay_alu instid0(VALU_DEP_1)
	v_dual_sub_nc_u32 v25, 29, v23 :: v_dual_bitop2_b32 v23, 7, v38 bitop3:0x40
; %bb.609:                              ;   in Loop: Header=BB250_424 Depth=1
	s_or_b32 exec_lo, exec_lo, s17
	s_delay_alu instid0(VALU_DEP_1) | instskip(NEXT) | instid1(VALU_DEP_2)
	v_dual_lshlrev_b32 v8, 8, v8 :: v_dual_lshlrev_b32 v23, 7, v23
	v_lshl_add_u32 v25, v25, 10, 0x2000
	s_delay_alu instid0(VALU_DEP_2) | instskip(NEXT) | instid1(VALU_DEP_2)
	v_and_b32_e32 v8, 0x8000, v8
	v_and_b32_e32 v25, 0xfc00, v25
	s_delay_alu instid0(VALU_DEP_1)
	v_or3_b32 v23, v8, v25, v23
.LBB250_610:                            ;   in Loop: Header=BB250_424 Depth=1
	s_or_b32 exec_lo, exec_lo, s16
.LBB250_611:                            ;   in Loop: Header=BB250_424 Depth=1
	s_delay_alu instid0(SALU_CYCLE_1)
	s_or_b32 exec_lo, exec_lo, s15
.LBB250_612:                            ;   in Loop: Header=BB250_424 Depth=1
	s_delay_alu instid0(SALU_CYCLE_1)
	s_or_b32 exec_lo, exec_lo, s14
	v_cmp_lt_u64_e64 s0, s[2:3], v[18:19]
	v_mov_b32_e32 v18, 0
	s_and_saveexec_b32 s14, s0
	s_cbranch_execz .LBB250_620
; %bb.613:                              ;   in Loop: Header=BB250_424 Depth=1
	v_lshrrev_b32_e32 v8, 24, v19
	v_bfrev_b32_e32 v18, 1
	s_mov_b32 s15, exec_lo
	s_delay_alu instid0(VALU_DEP_2)
	v_cmpx_ne_u32_e32 0x80, v8
	s_cbranch_execz .LBB250_619
; %bb.614:                              ;   in Loop: Header=BB250_424 Depth=1
	v_and_b32_e32 v25, 0x7f, v8
	v_mov_b32_e32 v18, 0x7c010000
	s_mov_b32 s16, exec_lo
	s_delay_alu instid0(VALU_DEP_2)
	v_cmpx_ne_u32_e32 0x7f, v25
	s_cbranch_execz .LBB250_618
; %bb.615:                              ;   in Loop: Header=BB250_424 Depth=1
	v_dual_lshrrev_b32 v19, 3, v25 :: v_dual_bitop2_b32 v18, 7, v8 bitop3:0x40
	s_mov_b32 s17, exec_lo
	v_cmpx_gt_u32_e32 8, v25
; %bb.616:                              ;   in Loop: Header=BB250_424 Depth=1
	s_delay_alu instid0(VALU_DEP_2) | instskip(NEXT) | instid1(VALU_DEP_1)
	v_clz_i32_u32_e32 v18, v18
	v_min_u32_e32 v25, 32, v18
	s_delay_alu instid0(VALU_DEP_1) | instskip(NEXT) | instid1(VALU_DEP_1)
	v_subrev_nc_u32_e32 v18, 28, v25
	v_lshlrev_b64_e32 v[18:19], v18, v[8:9]
	s_delay_alu instid0(VALU_DEP_1)
	v_dual_sub_nc_u32 v19, 29, v25 :: v_dual_bitop2_b32 v18, 7, v18 bitop3:0x40
; %bb.617:                              ;   in Loop: Header=BB250_424 Depth=1
	s_or_b32 exec_lo, exec_lo, s17
	s_delay_alu instid0(VALU_DEP_1) | instskip(NEXT) | instid1(VALU_DEP_2)
	v_dual_lshlrev_b32 v8, 8, v8 :: v_dual_lshlrev_b32 v18, 23, v18
	v_lshl_add_u32 v19, v19, 10, 0x2000
	s_delay_alu instid0(VALU_DEP_1) | instskip(NEXT) | instid1(VALU_DEP_1)
	v_and_or_b32 v8, 0x8000, v8, v19
	v_lshl_or_b32 v18, v8, 16, v18
.LBB250_618:                            ;   in Loop: Header=BB250_424 Depth=1
	s_or_b32 exec_lo, exec_lo, s16
.LBB250_619:                            ;   in Loop: Header=BB250_424 Depth=1
	s_delay_alu instid0(SALU_CYCLE_1)
	s_or_b32 exec_lo, exec_lo, s15
.LBB250_620:                            ;   in Loop: Header=BB250_424 Depth=1
	s_delay_alu instid0(SALU_CYCLE_1) | instskip(SKIP_3) | instid1(VALU_DEP_3)
	s_or_b32 exec_lo, exec_lo, s14
	v_dual_lshrrev_b32 v8, 16, v1 :: v_dual_lshrrev_b32 v19, 16, v20
	v_or_b32_e32 v1, v1, v17
	v_dual_lshrrev_b32 v25, 16, v18 :: v_dual_bitop2_b32 v17, v20, v21 bitop3:0x54
	v_cvt_f32_f16_e32 v21, v8
	s_delay_alu instid0(VALU_DEP_4) | instskip(SKIP_1) | instid1(VALU_DEP_4)
	v_cvt_f32_f16_e32 v20, v19
	v_dual_lshrrev_b32 v23, 16, v24 :: v_dual_bitop2_b32 v8, v18, v23 bitop3:0x54
	v_cvt_f32_f16_e32 v18, v17
	v_cvt_f32_f16_e32 v19, v1
	s_wait_loadcnt 0x0
	v_pk_mul_f32 v[20:21], v[16:17], v[20:21] op_sel_hi:[0,1]
	v_or_b32_e32 v17, v24, v22
	v_cvt_f32_f16_e32 v23, v23
	v_cvt_f32_f16_e32 v22, v25
	;; [unrolled: 1-line block ×3, first 2 shown]
	v_cvt_pk_f16_f32 v1, v20, v21
	v_cvt_f32_f16_e32 v25, v17
	v_pk_mul_f32 v[18:19], v[16:17], v[18:19] op_sel_hi:[0,1]
	v_pk_mul_f32 v[20:21], v[16:17], v[22:23] op_sel_hi:[0,1]
	s_delay_alu instid0(VALU_DEP_3) | instskip(NEXT) | instid1(VALU_DEP_3)
	v_pk_mul_f32 v[16:17], v[16:17], v[24:25] op_sel_hi:[0,1]
	v_cvt_pk_f16_f32 v8, v18, v19
	v_and_b32_e32 v19, 0xffff0000, v1
	s_delay_alu instid0(VALU_DEP_4)
	v_cvt_pk_f16_f32 v20, v20, v21
	v_lshlrev_b32_e32 v18, 16, v1
	v_cvt_pk_f16_f32 v16, v16, v17
	v_lshrrev_b32_e32 v25, 16, v8
	v_and_b32_e32 v24, 0xffff, v8
	v_and_b32_e32 v1, 0xffff0000, v20
	s_delay_alu instid0(VALU_DEP_3) | instskip(SKIP_3) | instid1(VALU_DEP_2)
	v_dual_lshlrev_b32 v8, 16, v20 :: v_dual_bitop2_b32 v23, v19, v25 bitop3:0x54
	v_lshrrev_b32_e32 v17, 16, v16
	v_and_b32_e32 v16, 0xffff, v16
	v_or_b32_e32 v22, v18, v24
	v_or_b32_e32 v20, v8, v16
	s_delay_alu instid0(VALU_DEP_4)
	v_or_b32_e32 v21, v1, v17
	s_and_saveexec_b32 s14, vcc_lo
	s_cbranch_execz .LBB250_622
; %bb.621:                              ;   in Loop: Header=BB250_424 Depth=1
	v_cmp_gt_i32_e64 s0, s9, v28
	s_delay_alu instid0(VALU_DEP_1) | instskip(SKIP_1) | instid1(VALU_DEP_1)
	v_cndmask_b32_e64 v20, 0, v25, s0
	v_cmp_gt_i32_e64 s0, s23, v37
	v_cndmask_b32_e64 v21, 0, v24, s0
	v_cmp_gt_i32_e64 s0, s9, v36
	s_delay_alu instid0(VALU_DEP_1) | instskip(SKIP_1) | instid1(VALU_DEP_1)
	v_cndmask_b32_e64 v19, 0, v19, s0
	v_cmp_gt_i32_e64 s0, s23, v35
	v_cndmask_b32_e64 v18, 0, v18, s0
	v_cmp_gt_i32_e64 s0, s9, v34
	s_delay_alu instid0(VALU_DEP_4) | instskip(NEXT) | instid1(VALU_DEP_3)
	v_or_b32_e32 v23, v19, v20
	v_or_b32_e32 v22, v18, v21
	s_delay_alu instid0(VALU_DEP_3) | instskip(SKIP_1) | instid1(VALU_DEP_1)
	v_cndmask_b32_e64 v17, 0, v17, s0
	v_cmp_gt_i32_e64 s0, s23, v33
	v_cndmask_b32_e64 v16, 0, v16, s0
	v_cmp_gt_i32_e64 s0, s9, v32
	s_delay_alu instid0(VALU_DEP_1) | instskip(SKIP_1) | instid1(VALU_DEP_1)
	v_cndmask_b32_e64 v1, 0, v1, s0
	v_cmp_gt_i32_e64 s0, s23, v31
	v_dual_cndmask_b32 v8, 0, v8, s0 :: v_dual_bitop2_b32 v21, v1, v17 bitop3:0x54
	s_delay_alu instid0(VALU_DEP_1)
	v_or_b32_e32 v20, v8, v16
.LBB250_622:                            ;   in Loop: Header=BB250_424 Depth=1
	s_or_b32 exec_lo, exec_lo, s14
	;;#ASMSTART
	v_pk_mul_f16 v1, v43, v23;

	;;#ASMEND
	;;#ASMSTART
	v_pk_mul_f16 v8, v42, v22;

	;;#ASMEND
	;; [unrolled: 4-line block ×4, first 2 shown]
	;;#ASMSTART
	v_pk_add_f16 v1, v1, v8;

	;;#ASMEND
	;;#ASMSTART
	v_pk_add_f16 v1, v1, v16;

	;;#ASMEND
	;; [unrolled: 4-line block ×3, first 2 shown]
	v_and_b32_e32 v8, 0xffff, v1
	v_dual_lshrrev_b32 v1, 16, v1 :: v_dual_mov_b32 v17, 0
	;;#ASMSTART
	v_cvt_f32_f16 v48, v8;
	;;#ASMEND
	;;#ASMSTART
	v_cvt_f32_f16 v49, v1;
	;;#ASMEND
	global_load_b64 v[18:19], v[14:15], off offset:768
	v_mov_b32_e32 v1, 0
	s_mov_b32 s14, exec_lo
	global_load_b32 v16, v1, s[10:11]
	s_wait_loadcnt 0x1
	v_and_b32_e32 v8, 0xff, v18
	s_wait_xcnt 0x0
	s_delay_alu instid0(VALU_DEP_1)
	v_cmpx_ne_u16_e32 0, v8
	s_cbranch_execz .LBB250_630
; %bb.623:                              ;   in Loop: Header=BB250_424 Depth=1
	v_mov_b32_e32 v17, 0x8000
	s_mov_b32 s15, exec_lo
	v_cmpx_ne_u16_e32 0x80, v8
	s_cbranch_execz .LBB250_629
; %bb.624:                              ;   in Loop: Header=BB250_424 Depth=1
	v_and_b32_e32 v20, 0x7f, v18
	v_mov_b32_e32 v17, 0x7c01
	s_mov_b32 s16, exec_lo
	s_delay_alu instid0(VALU_DEP_2)
	v_cmpx_ne_u32_e32 0x7f, v20
	s_cbranch_execz .LBB250_628
; %bb.625:                              ;   in Loop: Header=BB250_424 Depth=1
	v_dual_lshrrev_b32 v17, 3, v20 :: v_dual_bitop2_b32 v8, 7, v18 bitop3:0x40
	s_mov_b32 s17, exec_lo
	v_cmpx_gt_u32_e32 8, v20
; %bb.626:                              ;   in Loop: Header=BB250_424 Depth=1
	s_delay_alu instid0(VALU_DEP_2) | instskip(NEXT) | instid1(VALU_DEP_1)
	v_clz_i32_u32_e32 v8, v8
	v_min_u32_e32 v8, 32, v8
	s_delay_alu instid0(VALU_DEP_1) | instskip(NEXT) | instid1(VALU_DEP_1)
	v_subrev_nc_u32_e32 v17, 28, v8
	v_lshlrev_b64_e32 v[20:21], v17, v[18:19]
	v_sub_nc_u32_e32 v17, 29, v8
	s_delay_alu instid0(VALU_DEP_2)
	v_and_b32_e32 v8, 7, v20
; %bb.627:                              ;   in Loop: Header=BB250_424 Depth=1
	s_or_b32 exec_lo, exec_lo, s17
	s_delay_alu instid0(VALU_DEP_1) | instskip(NEXT) | instid1(VALU_DEP_3)
	v_dual_lshlrev_b32 v20, 8, v18 :: v_dual_lshlrev_b32 v8, 7, v8
	v_lshl_add_u32 v17, v17, 10, 0x2000
	s_delay_alu instid0(VALU_DEP_2) | instskip(NEXT) | instid1(VALU_DEP_2)
	v_and_b32_e32 v20, 0x8000, v20
	v_and_b32_e32 v17, 0xfc00, v17
	s_delay_alu instid0(VALU_DEP_1)
	v_or3_b32 v17, v20, v17, v8
.LBB250_628:                            ;   in Loop: Header=BB250_424 Depth=1
	s_or_b32 exec_lo, exec_lo, s16
.LBB250_629:                            ;   in Loop: Header=BB250_424 Depth=1
	s_delay_alu instid0(SALU_CYCLE_1)
	s_or_b32 exec_lo, exec_lo, s15
.LBB250_630:                            ;   in Loop: Header=BB250_424 Depth=1
	s_delay_alu instid0(SALU_CYCLE_1) | instskip(SKIP_2) | instid1(VALU_DEP_1)
	s_or_b32 exec_lo, exec_lo, s14
	v_lshrrev_b16 v8, 8, v18
	s_mov_b32 s14, exec_lo
	v_cmpx_ne_u16_e32 0, v8
	s_cbranch_execz .LBB250_638
; %bb.631:                              ;   in Loop: Header=BB250_424 Depth=1
	v_bfrev_b32_e32 v1, 1
	s_mov_b32 s15, exec_lo
	v_cmpx_ne_u16_e32 0x80, v8
	s_cbranch_execz .LBB250_637
; %bb.632:                              ;   in Loop: Header=BB250_424 Depth=1
	v_and_b32_e32 v20, 0xffff, v8
	v_mov_b32_e32 v1, 0x7c010000
	s_mov_b32 s16, exec_lo
	s_delay_alu instid0(VALU_DEP_2) | instskip(NEXT) | instid1(VALU_DEP_1)
	v_and_b32_e32 v22, 0x7f, v20
	v_cmpx_ne_u32_e32 0x7f, v22
	s_cbranch_execz .LBB250_636
; %bb.633:                              ;   in Loop: Header=BB250_424 Depth=1
	v_dual_lshrrev_b32 v21, 3, v22 :: v_dual_bitop2_b32 v1, 7, v20 bitop3:0x40
	s_mov_b32 s17, exec_lo
	v_cmpx_gt_u32_e32 8, v22
; %bb.634:                              ;   in Loop: Header=BB250_424 Depth=1
	s_delay_alu instid0(VALU_DEP_2) | instskip(NEXT) | instid1(VALU_DEP_1)
	v_clz_i32_u32_e32 v1, v1
	v_min_u32_e32 v1, 32, v1
	s_delay_alu instid0(VALU_DEP_1) | instskip(NEXT) | instid1(VALU_DEP_1)
	v_subrev_nc_u32_e32 v21, 28, v1
	v_lshlrev_b64_e32 v[22:23], v21, v[8:9]
	s_delay_alu instid0(VALU_DEP_1)
	v_dual_sub_nc_u32 v21, 29, v1 :: v_dual_bitop2_b32 v1, 7, v22 bitop3:0x40
; %bb.635:                              ;   in Loop: Header=BB250_424 Depth=1
	s_or_b32 exec_lo, exec_lo, s17
	s_delay_alu instid0(VALU_DEP_1) | instskip(NEXT) | instid1(VALU_DEP_2)
	v_dual_lshlrev_b32 v8, 8, v20 :: v_dual_lshlrev_b32 v1, 23, v1
	v_lshl_add_u32 v20, v21, 10, 0x2000
	s_delay_alu instid0(VALU_DEP_1) | instskip(NEXT) | instid1(VALU_DEP_1)
	v_and_or_b32 v8, 0x8000, v8, v20
	v_lshl_or_b32 v1, v8, 16, v1
.LBB250_636:                            ;   in Loop: Header=BB250_424 Depth=1
	s_or_b32 exec_lo, exec_lo, s16
.LBB250_637:                            ;   in Loop: Header=BB250_424 Depth=1
	s_delay_alu instid0(SALU_CYCLE_1)
	s_or_b32 exec_lo, exec_lo, s15
.LBB250_638:                            ;   in Loop: Header=BB250_424 Depth=1
	s_delay_alu instid0(SALU_CYCLE_1) | instskip(SKIP_3) | instid1(VALU_DEP_2)
	s_or_b32 exec_lo, exec_lo, s14
	v_dual_lshrrev_b32 v8, 16, v18 :: v_dual_mov_b32 v20, 0
	v_mov_b32_e32 v21, 0
	s_mov_b32 s14, exec_lo
	v_and_b32_e32 v22, 0xff, v8
	s_delay_alu instid0(VALU_DEP_1)
	v_cmpx_ne_u16_e32 0, v22
	s_cbranch_execz .LBB250_646
; %bb.639:                              ;   in Loop: Header=BB250_424 Depth=1
	v_mov_b32_e32 v21, 0x8000
	s_mov_b32 s15, exec_lo
	v_cmpx_ne_u16_e32 0x80, v22
	s_cbranch_execz .LBB250_645
; %bb.640:                              ;   in Loop: Header=BB250_424 Depth=1
	v_bfe_u32 v23, v18, 16, 7
	v_mov_b32_e32 v21, 0x7c01
	s_mov_b32 s16, exec_lo
	s_delay_alu instid0(VALU_DEP_2)
	v_cmpx_ne_u32_e32 0x7f, v23
	s_cbranch_execz .LBB250_644
; %bb.641:                              ;   in Loop: Header=BB250_424 Depth=1
	v_dual_lshrrev_b32 v22, 3, v23 :: v_dual_bitop2_b32 v21, 7, v8 bitop3:0x40
	s_mov_b32 s17, exec_lo
	v_cmpx_gt_u32_e32 8, v23
; %bb.642:                              ;   in Loop: Header=BB250_424 Depth=1
	s_delay_alu instid0(VALU_DEP_2) | instskip(NEXT) | instid1(VALU_DEP_1)
	v_clz_i32_u32_e32 v21, v21
	v_min_u32_e32 v21, 32, v21
	s_delay_alu instid0(VALU_DEP_1) | instskip(NEXT) | instid1(VALU_DEP_1)
	v_subrev_nc_u32_e32 v22, 28, v21
	v_lshlrev_b64_e32 v[24:25], v22, v[8:9]
	s_delay_alu instid0(VALU_DEP_1)
	v_dual_sub_nc_u32 v22, 29, v21 :: v_dual_bitop2_b32 v21, 7, v24 bitop3:0x40
; %bb.643:                              ;   in Loop: Header=BB250_424 Depth=1
	s_or_b32 exec_lo, exec_lo, s17
	s_delay_alu instid0(VALU_DEP_1) | instskip(NEXT) | instid1(VALU_DEP_2)
	v_dual_lshlrev_b32 v8, 8, v8 :: v_dual_lshlrev_b32 v21, 7, v21
	v_lshl_add_u32 v22, v22, 10, 0x2000
	s_delay_alu instid0(VALU_DEP_2) | instskip(NEXT) | instid1(VALU_DEP_2)
	v_and_b32_e32 v8, 0x8000, v8
	v_and_b32_e32 v22, 0xfc00, v22
	s_delay_alu instid0(VALU_DEP_1)
	v_or3_b32 v21, v8, v22, v21
.LBB250_644:                            ;   in Loop: Header=BB250_424 Depth=1
	s_or_b32 exec_lo, exec_lo, s16
.LBB250_645:                            ;   in Loop: Header=BB250_424 Depth=1
	s_delay_alu instid0(SALU_CYCLE_1)
	s_or_b32 exec_lo, exec_lo, s15
.LBB250_646:                            ;   in Loop: Header=BB250_424 Depth=1
	s_delay_alu instid0(SALU_CYCLE_1) | instskip(NEXT) | instid1(SALU_CYCLE_1)
	s_or_b32 exec_lo, exec_lo, s14
	s_mov_b32 s14, exec_lo
	v_cmpx_lt_u32_e32 0xffffff, v18
	s_cbranch_execz .LBB250_654
; %bb.647:                              ;   in Loop: Header=BB250_424 Depth=1
	v_lshrrev_b32_e32 v8, 24, v18
	v_bfrev_b32_e32 v20, 1
	s_mov_b32 s15, exec_lo
	s_delay_alu instid0(VALU_DEP_2)
	v_cmpx_ne_u32_e32 0x80, v8
	s_cbranch_execz .LBB250_653
; %bb.648:                              ;   in Loop: Header=BB250_424 Depth=1
	v_and_b32_e32 v23, 0x7f, v8
	v_mov_b32_e32 v20, 0x7c010000
	s_mov_b32 s16, exec_lo
	s_delay_alu instid0(VALU_DEP_2)
	v_cmpx_ne_u32_e32 0x7f, v23
	s_cbranch_execz .LBB250_652
; %bb.649:                              ;   in Loop: Header=BB250_424 Depth=1
	v_dual_lshrrev_b32 v22, 3, v23 :: v_dual_bitop2_b32 v20, 7, v8 bitop3:0x40
	s_mov_b32 s17, exec_lo
	v_cmpx_gt_u32_e32 8, v23
; %bb.650:                              ;   in Loop: Header=BB250_424 Depth=1
	s_delay_alu instid0(VALU_DEP_2) | instskip(NEXT) | instid1(VALU_DEP_1)
	v_clz_i32_u32_e32 v20, v20
	v_min_u32_e32 v20, 32, v20
	s_delay_alu instid0(VALU_DEP_1) | instskip(NEXT) | instid1(VALU_DEP_1)
	v_subrev_nc_u32_e32 v22, 28, v20
	v_lshlrev_b64_e32 v[24:25], v22, v[8:9]
	v_sub_nc_u32_e32 v22, 29, v20
	s_delay_alu instid0(VALU_DEP_2)
	v_and_b32_e32 v20, 7, v24
; %bb.651:                              ;   in Loop: Header=BB250_424 Depth=1
	s_or_b32 exec_lo, exec_lo, s17
	v_lshlrev_b32_e32 v8, 8, v8
	s_delay_alu instid0(VALU_DEP_3) | instskip(NEXT) | instid1(VALU_DEP_3)
	v_lshl_add_u32 v22, v22, 10, 0x2000
	v_lshlrev_b32_e32 v20, 23, v20
	s_delay_alu instid0(VALU_DEP_2) | instskip(NEXT) | instid1(VALU_DEP_1)
	v_and_or_b32 v8, 0x8000, v8, v22
	v_lshl_or_b32 v20, v8, 16, v20
.LBB250_652:                            ;   in Loop: Header=BB250_424 Depth=1
	s_or_b32 exec_lo, exec_lo, s16
.LBB250_653:                            ;   in Loop: Header=BB250_424 Depth=1
	s_delay_alu instid0(SALU_CYCLE_1)
	s_or_b32 exec_lo, exec_lo, s15
.LBB250_654:                            ;   in Loop: Header=BB250_424 Depth=1
	s_delay_alu instid0(SALU_CYCLE_1) | instskip(SKIP_4) | instid1(VALU_DEP_3)
	s_or_b32 exec_lo, exec_lo, s14
	v_and_b32_e32 v24, 0xff, v19
	v_dual_mov_b32 v8, v19 :: v_dual_mov_b32 v23, 0
	v_mov_b32_e32 v22, 0
	s_mov_b32 s14, exec_lo
	v_cmpx_ne_u16_e32 0, v24
	s_cbranch_execz .LBB250_662
; %bb.655:                              ;   in Loop: Header=BB250_424 Depth=1
	v_mov_b32_e32 v22, 0x8000
	s_mov_b32 s15, exec_lo
	v_cmpx_ne_u16_e32 0x80, v24
	s_cbranch_execz .LBB250_661
; %bb.656:                              ;   in Loop: Header=BB250_424 Depth=1
	v_and_b32_e32 v25, 0x7f, v19
	v_mov_b32_e32 v22, 0x7c01
	s_mov_b32 s16, exec_lo
	s_delay_alu instid0(VALU_DEP_2)
	v_cmpx_ne_u32_e32 0x7f, v25
	s_cbranch_execz .LBB250_660
; %bb.657:                              ;   in Loop: Header=BB250_424 Depth=1
	v_dual_lshrrev_b32 v24, 3, v25 :: v_dual_bitop2_b32 v22, 7, v19 bitop3:0x40
	s_mov_b32 s17, exec_lo
	v_cmpx_gt_u32_e32 8, v25
; %bb.658:                              ;   in Loop: Header=BB250_424 Depth=1
	s_delay_alu instid0(VALU_DEP_2) | instskip(NEXT) | instid1(VALU_DEP_1)
	v_clz_i32_u32_e32 v22, v22
	v_min_u32_e32 v22, 32, v22
	s_delay_alu instid0(VALU_DEP_1) | instskip(NEXT) | instid1(VALU_DEP_1)
	v_subrev_nc_u32_e32 v24, 28, v22
	v_lshlrev_b64_e32 v[38:39], v24, v[8:9]
	v_sub_nc_u32_e32 v24, 29, v22
	s_delay_alu instid0(VALU_DEP_2)
	v_and_b32_e32 v22, 7, v38
; %bb.659:                              ;   in Loop: Header=BB250_424 Depth=1
	s_or_b32 exec_lo, exec_lo, s17
	s_delay_alu instid0(VALU_DEP_1) | instskip(NEXT) | instid1(VALU_DEP_3)
	v_dual_lshlrev_b32 v25, 8, v19 :: v_dual_lshlrev_b32 v22, 7, v22
	v_lshl_add_u32 v24, v24, 10, 0x2000
	s_delay_alu instid0(VALU_DEP_2) | instskip(NEXT) | instid1(VALU_DEP_2)
	v_and_b32_e32 v25, 0x8000, v25
	v_and_b32_e32 v24, 0xfc00, v24
	s_delay_alu instid0(VALU_DEP_1)
	v_or3_b32 v22, v25, v24, v22
.LBB250_660:                            ;   in Loop: Header=BB250_424 Depth=1
	s_or_b32 exec_lo, exec_lo, s16
.LBB250_661:                            ;   in Loop: Header=BB250_424 Depth=1
	s_delay_alu instid0(SALU_CYCLE_1)
	s_or_b32 exec_lo, exec_lo, s15
.LBB250_662:                            ;   in Loop: Header=BB250_424 Depth=1
	s_delay_alu instid0(SALU_CYCLE_1) | instskip(SKIP_3) | instid1(VALU_DEP_2)
	s_or_b32 exec_lo, exec_lo, s14
	v_lshrrev_b16 v8, 8, v8
	v_mov_b32_e32 v24, 0
	s_mov_b32 s14, exec_lo
	v_cmpx_ne_u16_e32 0, v8
	s_cbranch_execz .LBB250_670
; %bb.663:                              ;   in Loop: Header=BB250_424 Depth=1
	v_bfrev_b32_e32 v24, 1
	s_mov_b32 s15, exec_lo
	v_cmpx_ne_u16_e32 0x80, v8
	s_cbranch_execz .LBB250_669
; %bb.664:                              ;   in Loop: Header=BB250_424 Depth=1
	v_and_b32_e32 v25, 0xffff, v8
	v_mov_b32_e32 v24, 0x7c010000
	s_mov_b32 s16, exec_lo
	s_delay_alu instid0(VALU_DEP_2) | instskip(NEXT) | instid1(VALU_DEP_1)
	v_and_b32_e32 v39, 0x7f, v25
	v_cmpx_ne_u32_e32 0x7f, v39
	s_cbranch_execz .LBB250_668
; %bb.665:                              ;   in Loop: Header=BB250_424 Depth=1
	v_dual_lshrrev_b32 v38, 3, v39 :: v_dual_bitop2_b32 v24, 7, v25 bitop3:0x40
	s_mov_b32 s17, exec_lo
	v_cmpx_gt_u32_e32 8, v39
; %bb.666:                              ;   in Loop: Header=BB250_424 Depth=1
	s_delay_alu instid0(VALU_DEP_2) | instskip(NEXT) | instid1(VALU_DEP_1)
	v_clz_i32_u32_e32 v24, v24
	v_min_u32_e32 v24, 32, v24
	s_delay_alu instid0(VALU_DEP_1) | instskip(NEXT) | instid1(VALU_DEP_1)
	v_subrev_nc_u32_e32 v38, 28, v24
	v_lshlrev_b64_e32 v[50:51], v38, v[8:9]
	s_delay_alu instid0(VALU_DEP_1)
	v_dual_sub_nc_u32 v38, 29, v24 :: v_dual_bitop2_b32 v24, 7, v50 bitop3:0x40
; %bb.667:                              ;   in Loop: Header=BB250_424 Depth=1
	s_or_b32 exec_lo, exec_lo, s17
	s_delay_alu instid0(VALU_DEP_1) | instskip(NEXT) | instid1(VALU_DEP_2)
	v_dual_lshlrev_b32 v8, 8, v25 :: v_dual_lshlrev_b32 v24, 23, v24
	v_lshl_add_u32 v25, v38, 10, 0x2000
	s_delay_alu instid0(VALU_DEP_1) | instskip(NEXT) | instid1(VALU_DEP_1)
	v_and_or_b32 v8, 0x8000, v8, v25
	v_lshl_or_b32 v24, v8, 16, v24
.LBB250_668:                            ;   in Loop: Header=BB250_424 Depth=1
	s_or_b32 exec_lo, exec_lo, s16
.LBB250_669:                            ;   in Loop: Header=BB250_424 Depth=1
	s_delay_alu instid0(SALU_CYCLE_1)
	s_or_b32 exec_lo, exec_lo, s15
.LBB250_670:                            ;   in Loop: Header=BB250_424 Depth=1
	s_delay_alu instid0(SALU_CYCLE_1) | instskip(SKIP_2) | instid1(VALU_DEP_1)
	s_or_b32 exec_lo, exec_lo, s14
	v_lshrrev_b32_e32 v8, 16, v19
	s_mov_b32 s14, exec_lo
	v_and_b32_e32 v25, 0xff, v8
	s_delay_alu instid0(VALU_DEP_1)
	v_cmpx_ne_u16_e32 0, v25
	s_cbranch_execz .LBB250_678
; %bb.671:                              ;   in Loop: Header=BB250_424 Depth=1
	v_mov_b32_e32 v23, 0x8000
	s_mov_b32 s15, exec_lo
	v_cmpx_ne_u16_e32 0x80, v25
	s_cbranch_execz .LBB250_677
; %bb.672:                              ;   in Loop: Header=BB250_424 Depth=1
	v_bfe_u32 v38, v19, 16, 7
	v_mov_b32_e32 v23, 0x7c01
	s_mov_b32 s16, exec_lo
	s_delay_alu instid0(VALU_DEP_2)
	v_cmpx_ne_u32_e32 0x7f, v38
	s_cbranch_execz .LBB250_676
; %bb.673:                              ;   in Loop: Header=BB250_424 Depth=1
	v_dual_lshrrev_b32 v25, 3, v38 :: v_dual_bitop2_b32 v23, 7, v8 bitop3:0x40
	s_mov_b32 s17, exec_lo
	v_cmpx_gt_u32_e32 8, v38
; %bb.674:                              ;   in Loop: Header=BB250_424 Depth=1
	s_delay_alu instid0(VALU_DEP_2) | instskip(NEXT) | instid1(VALU_DEP_1)
	v_clz_i32_u32_e32 v23, v23
	v_min_u32_e32 v23, 32, v23
	s_delay_alu instid0(VALU_DEP_1) | instskip(NEXT) | instid1(VALU_DEP_1)
	v_subrev_nc_u32_e32 v25, 28, v23
	v_lshlrev_b64_e32 v[38:39], v25, v[8:9]
	s_delay_alu instid0(VALU_DEP_1)
	v_dual_sub_nc_u32 v25, 29, v23 :: v_dual_bitop2_b32 v23, 7, v38 bitop3:0x40
; %bb.675:                              ;   in Loop: Header=BB250_424 Depth=1
	s_or_b32 exec_lo, exec_lo, s17
	s_delay_alu instid0(VALU_DEP_1) | instskip(NEXT) | instid1(VALU_DEP_2)
	v_dual_lshlrev_b32 v8, 8, v8 :: v_dual_lshlrev_b32 v23, 7, v23
	v_lshl_add_u32 v25, v25, 10, 0x2000
	s_delay_alu instid0(VALU_DEP_2) | instskip(NEXT) | instid1(VALU_DEP_2)
	v_and_b32_e32 v8, 0x8000, v8
	v_and_b32_e32 v25, 0xfc00, v25
	s_delay_alu instid0(VALU_DEP_1)
	v_or3_b32 v23, v8, v25, v23
.LBB250_676:                            ;   in Loop: Header=BB250_424 Depth=1
	s_or_b32 exec_lo, exec_lo, s16
.LBB250_677:                            ;   in Loop: Header=BB250_424 Depth=1
	s_delay_alu instid0(SALU_CYCLE_1)
	s_or_b32 exec_lo, exec_lo, s15
.LBB250_678:                            ;   in Loop: Header=BB250_424 Depth=1
	s_delay_alu instid0(SALU_CYCLE_1)
	s_or_b32 exec_lo, exec_lo, s14
	v_cmp_lt_u64_e64 s0, s[2:3], v[18:19]
	v_mov_b32_e32 v18, 0
	s_and_saveexec_b32 s14, s0
	s_cbranch_execz .LBB250_686
; %bb.679:                              ;   in Loop: Header=BB250_424 Depth=1
	v_lshrrev_b32_e32 v8, 24, v19
	v_bfrev_b32_e32 v18, 1
	s_mov_b32 s15, exec_lo
	s_delay_alu instid0(VALU_DEP_2)
	v_cmpx_ne_u32_e32 0x80, v8
	s_cbranch_execz .LBB250_685
; %bb.680:                              ;   in Loop: Header=BB250_424 Depth=1
	v_and_b32_e32 v25, 0x7f, v8
	v_mov_b32_e32 v18, 0x7c010000
	s_mov_b32 s16, exec_lo
	s_delay_alu instid0(VALU_DEP_2)
	v_cmpx_ne_u32_e32 0x7f, v25
	s_cbranch_execz .LBB250_684
; %bb.681:                              ;   in Loop: Header=BB250_424 Depth=1
	v_dual_lshrrev_b32 v19, 3, v25 :: v_dual_bitop2_b32 v18, 7, v8 bitop3:0x40
	s_mov_b32 s17, exec_lo
	v_cmpx_gt_u32_e32 8, v25
; %bb.682:                              ;   in Loop: Header=BB250_424 Depth=1
	s_delay_alu instid0(VALU_DEP_2) | instskip(NEXT) | instid1(VALU_DEP_1)
	v_clz_i32_u32_e32 v18, v18
	v_min_u32_e32 v25, 32, v18
	s_delay_alu instid0(VALU_DEP_1) | instskip(NEXT) | instid1(VALU_DEP_1)
	v_subrev_nc_u32_e32 v18, 28, v25
	v_lshlrev_b64_e32 v[18:19], v18, v[8:9]
	s_delay_alu instid0(VALU_DEP_1)
	v_dual_sub_nc_u32 v19, 29, v25 :: v_dual_bitop2_b32 v18, 7, v18 bitop3:0x40
; %bb.683:                              ;   in Loop: Header=BB250_424 Depth=1
	s_or_b32 exec_lo, exec_lo, s17
	s_delay_alu instid0(VALU_DEP_1) | instskip(NEXT) | instid1(VALU_DEP_2)
	v_dual_lshlrev_b32 v8, 8, v8 :: v_dual_lshlrev_b32 v18, 23, v18
	v_lshl_add_u32 v19, v19, 10, 0x2000
	s_delay_alu instid0(VALU_DEP_1) | instskip(NEXT) | instid1(VALU_DEP_1)
	v_and_or_b32 v8, 0x8000, v8, v19
	v_lshl_or_b32 v18, v8, 16, v18
.LBB250_684:                            ;   in Loop: Header=BB250_424 Depth=1
	s_or_b32 exec_lo, exec_lo, s16
.LBB250_685:                            ;   in Loop: Header=BB250_424 Depth=1
	s_delay_alu instid0(SALU_CYCLE_1)
	s_or_b32 exec_lo, exec_lo, s15
.LBB250_686:                            ;   in Loop: Header=BB250_424 Depth=1
	s_delay_alu instid0(SALU_CYCLE_1) | instskip(SKIP_3) | instid1(VALU_DEP_3)
	s_or_b32 exec_lo, exec_lo, s14
	v_dual_lshrrev_b32 v8, 16, v1 :: v_dual_lshrrev_b32 v19, 16, v20
	v_or_b32_e32 v1, v1, v17
	v_dual_lshrrev_b32 v25, 16, v18 :: v_dual_bitop2_b32 v17, v20, v21 bitop3:0x54
	v_cvt_f32_f16_e32 v21, v8
	s_delay_alu instid0(VALU_DEP_4) | instskip(SKIP_1) | instid1(VALU_DEP_4)
	v_cvt_f32_f16_e32 v20, v19
	v_dual_lshrrev_b32 v23, 16, v24 :: v_dual_bitop2_b32 v8, v18, v23 bitop3:0x54
	v_cvt_f32_f16_e32 v18, v17
	v_cvt_f32_f16_e32 v19, v1
	s_wait_loadcnt 0x0
	v_pk_mul_f32 v[20:21], v[16:17], v[20:21] op_sel_hi:[0,1]
	v_or_b32_e32 v17, v24, v22
	v_cvt_f32_f16_e32 v23, v23
	v_cvt_f32_f16_e32 v22, v25
	;; [unrolled: 1-line block ×3, first 2 shown]
	v_cvt_pk_f16_f32 v1, v20, v21
	v_cvt_f32_f16_e32 v25, v17
	v_pk_mul_f32 v[18:19], v[16:17], v[18:19] op_sel_hi:[0,1]
	v_pk_mul_f32 v[20:21], v[16:17], v[22:23] op_sel_hi:[0,1]
	s_delay_alu instid0(VALU_DEP_3) | instskip(NEXT) | instid1(VALU_DEP_3)
	v_pk_mul_f32 v[16:17], v[16:17], v[24:25] op_sel_hi:[0,1]
	v_cvt_pk_f16_f32 v8, v18, v19
	v_and_b32_e32 v19, 0xffff0000, v1
	s_delay_alu instid0(VALU_DEP_4)
	v_cvt_pk_f16_f32 v20, v20, v21
	v_lshlrev_b32_e32 v18, 16, v1
	v_cvt_pk_f16_f32 v16, v16, v17
	v_lshrrev_b32_e32 v25, 16, v8
	v_and_b32_e32 v24, 0xffff, v8
	v_and_b32_e32 v1, 0xffff0000, v20
	s_delay_alu instid0(VALU_DEP_3) | instskip(SKIP_3) | instid1(VALU_DEP_2)
	v_dual_lshlrev_b32 v8, 16, v20 :: v_dual_bitop2_b32 v23, v19, v25 bitop3:0x54
	v_lshrrev_b32_e32 v17, 16, v16
	v_and_b32_e32 v16, 0xffff, v16
	v_or_b32_e32 v22, v18, v24
	v_or_b32_e32 v20, v8, v16
	s_delay_alu instid0(VALU_DEP_4)
	v_or_b32_e32 v21, v1, v17
	s_and_saveexec_b32 s14, vcc_lo
	s_cbranch_execz .LBB250_688
; %bb.687:                              ;   in Loop: Header=BB250_424 Depth=1
	v_cmp_gt_i32_e64 s0, s9, v28
	s_delay_alu instid0(VALU_DEP_1) | instskip(SKIP_1) | instid1(VALU_DEP_1)
	v_cndmask_b32_e64 v20, 0, v25, s0
	v_cmp_gt_i32_e64 s0, s23, v37
	v_cndmask_b32_e64 v21, 0, v24, s0
	v_cmp_gt_i32_e64 s0, s9, v36
	s_delay_alu instid0(VALU_DEP_1) | instskip(SKIP_1) | instid1(VALU_DEP_1)
	v_cndmask_b32_e64 v19, 0, v19, s0
	v_cmp_gt_i32_e64 s0, s23, v35
	v_cndmask_b32_e64 v18, 0, v18, s0
	v_cmp_gt_i32_e64 s0, s9, v34
	s_delay_alu instid0(VALU_DEP_4) | instskip(NEXT) | instid1(VALU_DEP_3)
	v_or_b32_e32 v23, v19, v20
	v_or_b32_e32 v22, v18, v21
	s_delay_alu instid0(VALU_DEP_3) | instskip(SKIP_1) | instid1(VALU_DEP_1)
	v_cndmask_b32_e64 v17, 0, v17, s0
	v_cmp_gt_i32_e64 s0, s23, v33
	v_cndmask_b32_e64 v16, 0, v16, s0
	v_cmp_gt_i32_e64 s0, s9, v32
	s_delay_alu instid0(VALU_DEP_1) | instskip(SKIP_1) | instid1(VALU_DEP_1)
	v_cndmask_b32_e64 v1, 0, v1, s0
	v_cmp_gt_i32_e64 s0, s23, v31
	v_dual_cndmask_b32 v8, 0, v8, s0 :: v_dual_bitop2_b32 v21, v1, v17 bitop3:0x54
	s_delay_alu instid0(VALU_DEP_1)
	v_or_b32_e32 v20, v8, v16
.LBB250_688:                            ;   in Loop: Header=BB250_424 Depth=1
	s_or_b32 exec_lo, exec_lo, s14
	;;#ASMSTART
	v_pk_mul_f16 v1, v43, v23;

	;;#ASMEND
	;;#ASMSTART
	v_pk_mul_f16 v8, v42, v22;

	;;#ASMEND
	;; [unrolled: 4-line block ×4, first 2 shown]
	;;#ASMSTART
	v_pk_add_f16 v1, v1, v8;

	;;#ASMEND
	;;#ASMSTART
	v_pk_add_f16 v1, v1, v16;

	;;#ASMEND
	;; [unrolled: 4-line block ×3, first 2 shown]
	v_and_b32_e32 v8, 0xffff, v1
	v_dual_lshrrev_b32 v1, 16, v1 :: v_dual_mov_b32 v17, 0
	;;#ASMSTART
	v_cvt_f32_f16 v50, v8;
	;;#ASMEND
	;;#ASMSTART
	v_cvt_f32_f16 v51, v1;
	;;#ASMEND
	global_load_b64 v[18:19], v[14:15], off offset:1024
	v_mov_b32_e32 v1, 0
	s_mov_b32 s14, exec_lo
	global_load_b32 v16, v1, s[10:11]
	s_wait_loadcnt 0x1
	v_and_b32_e32 v8, 0xff, v18
	s_wait_xcnt 0x0
	s_delay_alu instid0(VALU_DEP_1)
	v_cmpx_ne_u16_e32 0, v8
	s_cbranch_execz .LBB250_696
; %bb.689:                              ;   in Loop: Header=BB250_424 Depth=1
	v_mov_b32_e32 v17, 0x8000
	s_mov_b32 s15, exec_lo
	v_cmpx_ne_u16_e32 0x80, v8
	s_cbranch_execz .LBB250_695
; %bb.690:                              ;   in Loop: Header=BB250_424 Depth=1
	v_and_b32_e32 v20, 0x7f, v18
	v_mov_b32_e32 v17, 0x7c01
	s_mov_b32 s16, exec_lo
	s_delay_alu instid0(VALU_DEP_2)
	v_cmpx_ne_u32_e32 0x7f, v20
	s_cbranch_execz .LBB250_694
; %bb.691:                              ;   in Loop: Header=BB250_424 Depth=1
	v_dual_lshrrev_b32 v17, 3, v20 :: v_dual_bitop2_b32 v8, 7, v18 bitop3:0x40
	s_mov_b32 s17, exec_lo
	v_cmpx_gt_u32_e32 8, v20
; %bb.692:                              ;   in Loop: Header=BB250_424 Depth=1
	s_delay_alu instid0(VALU_DEP_2) | instskip(NEXT) | instid1(VALU_DEP_1)
	v_clz_i32_u32_e32 v8, v8
	v_min_u32_e32 v8, 32, v8
	s_delay_alu instid0(VALU_DEP_1) | instskip(NEXT) | instid1(VALU_DEP_1)
	v_subrev_nc_u32_e32 v17, 28, v8
	v_lshlrev_b64_e32 v[20:21], v17, v[18:19]
	v_sub_nc_u32_e32 v17, 29, v8
	s_delay_alu instid0(VALU_DEP_2)
	v_and_b32_e32 v8, 7, v20
; %bb.693:                              ;   in Loop: Header=BB250_424 Depth=1
	s_or_b32 exec_lo, exec_lo, s17
	s_delay_alu instid0(VALU_DEP_1) | instskip(NEXT) | instid1(VALU_DEP_3)
	v_dual_lshlrev_b32 v20, 8, v18 :: v_dual_lshlrev_b32 v8, 7, v8
	v_lshl_add_u32 v17, v17, 10, 0x2000
	s_delay_alu instid0(VALU_DEP_2) | instskip(NEXT) | instid1(VALU_DEP_2)
	v_and_b32_e32 v20, 0x8000, v20
	v_and_b32_e32 v17, 0xfc00, v17
	s_delay_alu instid0(VALU_DEP_1)
	v_or3_b32 v17, v20, v17, v8
.LBB250_694:                            ;   in Loop: Header=BB250_424 Depth=1
	s_or_b32 exec_lo, exec_lo, s16
.LBB250_695:                            ;   in Loop: Header=BB250_424 Depth=1
	s_delay_alu instid0(SALU_CYCLE_1)
	s_or_b32 exec_lo, exec_lo, s15
.LBB250_696:                            ;   in Loop: Header=BB250_424 Depth=1
	s_delay_alu instid0(SALU_CYCLE_1) | instskip(SKIP_2) | instid1(VALU_DEP_1)
	s_or_b32 exec_lo, exec_lo, s14
	v_lshrrev_b16 v8, 8, v18
	s_mov_b32 s14, exec_lo
	v_cmpx_ne_u16_e32 0, v8
	s_cbranch_execz .LBB250_704
; %bb.697:                              ;   in Loop: Header=BB250_424 Depth=1
	v_bfrev_b32_e32 v1, 1
	s_mov_b32 s15, exec_lo
	v_cmpx_ne_u16_e32 0x80, v8
	s_cbranch_execz .LBB250_703
; %bb.698:                              ;   in Loop: Header=BB250_424 Depth=1
	v_and_b32_e32 v20, 0xffff, v8
	v_mov_b32_e32 v1, 0x7c010000
	s_mov_b32 s16, exec_lo
	s_delay_alu instid0(VALU_DEP_2) | instskip(NEXT) | instid1(VALU_DEP_1)
	v_and_b32_e32 v22, 0x7f, v20
	v_cmpx_ne_u32_e32 0x7f, v22
	s_cbranch_execz .LBB250_702
; %bb.699:                              ;   in Loop: Header=BB250_424 Depth=1
	v_dual_lshrrev_b32 v21, 3, v22 :: v_dual_bitop2_b32 v1, 7, v20 bitop3:0x40
	s_mov_b32 s17, exec_lo
	v_cmpx_gt_u32_e32 8, v22
; %bb.700:                              ;   in Loop: Header=BB250_424 Depth=1
	s_delay_alu instid0(VALU_DEP_2) | instskip(NEXT) | instid1(VALU_DEP_1)
	v_clz_i32_u32_e32 v1, v1
	v_min_u32_e32 v1, 32, v1
	s_delay_alu instid0(VALU_DEP_1) | instskip(NEXT) | instid1(VALU_DEP_1)
	v_subrev_nc_u32_e32 v21, 28, v1
	v_lshlrev_b64_e32 v[22:23], v21, v[8:9]
	s_delay_alu instid0(VALU_DEP_1)
	v_dual_sub_nc_u32 v21, 29, v1 :: v_dual_bitop2_b32 v1, 7, v22 bitop3:0x40
; %bb.701:                              ;   in Loop: Header=BB250_424 Depth=1
	s_or_b32 exec_lo, exec_lo, s17
	s_delay_alu instid0(VALU_DEP_1) | instskip(NEXT) | instid1(VALU_DEP_2)
	v_dual_lshlrev_b32 v8, 8, v20 :: v_dual_lshlrev_b32 v1, 23, v1
	v_lshl_add_u32 v20, v21, 10, 0x2000
	s_delay_alu instid0(VALU_DEP_1) | instskip(NEXT) | instid1(VALU_DEP_1)
	v_and_or_b32 v8, 0x8000, v8, v20
	v_lshl_or_b32 v1, v8, 16, v1
.LBB250_702:                            ;   in Loop: Header=BB250_424 Depth=1
	s_or_b32 exec_lo, exec_lo, s16
.LBB250_703:                            ;   in Loop: Header=BB250_424 Depth=1
	s_delay_alu instid0(SALU_CYCLE_1)
	s_or_b32 exec_lo, exec_lo, s15
.LBB250_704:                            ;   in Loop: Header=BB250_424 Depth=1
	s_delay_alu instid0(SALU_CYCLE_1) | instskip(SKIP_3) | instid1(VALU_DEP_2)
	s_or_b32 exec_lo, exec_lo, s14
	v_dual_lshrrev_b32 v8, 16, v18 :: v_dual_mov_b32 v20, 0
	v_mov_b32_e32 v21, 0
	s_mov_b32 s14, exec_lo
	v_and_b32_e32 v22, 0xff, v8
	s_delay_alu instid0(VALU_DEP_1)
	v_cmpx_ne_u16_e32 0, v22
	s_cbranch_execz .LBB250_712
; %bb.705:                              ;   in Loop: Header=BB250_424 Depth=1
	v_mov_b32_e32 v21, 0x8000
	s_mov_b32 s15, exec_lo
	v_cmpx_ne_u16_e32 0x80, v22
	s_cbranch_execz .LBB250_711
; %bb.706:                              ;   in Loop: Header=BB250_424 Depth=1
	v_bfe_u32 v23, v18, 16, 7
	v_mov_b32_e32 v21, 0x7c01
	s_mov_b32 s16, exec_lo
	s_delay_alu instid0(VALU_DEP_2)
	v_cmpx_ne_u32_e32 0x7f, v23
	s_cbranch_execz .LBB250_710
; %bb.707:                              ;   in Loop: Header=BB250_424 Depth=1
	v_dual_lshrrev_b32 v22, 3, v23 :: v_dual_bitop2_b32 v21, 7, v8 bitop3:0x40
	s_mov_b32 s17, exec_lo
	v_cmpx_gt_u32_e32 8, v23
; %bb.708:                              ;   in Loop: Header=BB250_424 Depth=1
	s_delay_alu instid0(VALU_DEP_2) | instskip(NEXT) | instid1(VALU_DEP_1)
	v_clz_i32_u32_e32 v21, v21
	v_min_u32_e32 v21, 32, v21
	s_delay_alu instid0(VALU_DEP_1) | instskip(NEXT) | instid1(VALU_DEP_1)
	v_subrev_nc_u32_e32 v22, 28, v21
	v_lshlrev_b64_e32 v[24:25], v22, v[8:9]
	s_delay_alu instid0(VALU_DEP_1)
	v_dual_sub_nc_u32 v22, 29, v21 :: v_dual_bitop2_b32 v21, 7, v24 bitop3:0x40
; %bb.709:                              ;   in Loop: Header=BB250_424 Depth=1
	s_or_b32 exec_lo, exec_lo, s17
	s_delay_alu instid0(VALU_DEP_1) | instskip(NEXT) | instid1(VALU_DEP_2)
	v_dual_lshlrev_b32 v8, 8, v8 :: v_dual_lshlrev_b32 v21, 7, v21
	v_lshl_add_u32 v22, v22, 10, 0x2000
	s_delay_alu instid0(VALU_DEP_2) | instskip(NEXT) | instid1(VALU_DEP_2)
	v_and_b32_e32 v8, 0x8000, v8
	v_and_b32_e32 v22, 0xfc00, v22
	s_delay_alu instid0(VALU_DEP_1)
	v_or3_b32 v21, v8, v22, v21
.LBB250_710:                            ;   in Loop: Header=BB250_424 Depth=1
	s_or_b32 exec_lo, exec_lo, s16
.LBB250_711:                            ;   in Loop: Header=BB250_424 Depth=1
	s_delay_alu instid0(SALU_CYCLE_1)
	s_or_b32 exec_lo, exec_lo, s15
.LBB250_712:                            ;   in Loop: Header=BB250_424 Depth=1
	s_delay_alu instid0(SALU_CYCLE_1) | instskip(NEXT) | instid1(SALU_CYCLE_1)
	s_or_b32 exec_lo, exec_lo, s14
	s_mov_b32 s14, exec_lo
	v_cmpx_lt_u32_e32 0xffffff, v18
	s_cbranch_execz .LBB250_720
; %bb.713:                              ;   in Loop: Header=BB250_424 Depth=1
	v_lshrrev_b32_e32 v8, 24, v18
	v_bfrev_b32_e32 v20, 1
	s_mov_b32 s15, exec_lo
	s_delay_alu instid0(VALU_DEP_2)
	v_cmpx_ne_u32_e32 0x80, v8
	s_cbranch_execz .LBB250_719
; %bb.714:                              ;   in Loop: Header=BB250_424 Depth=1
	v_and_b32_e32 v23, 0x7f, v8
	v_mov_b32_e32 v20, 0x7c010000
	s_mov_b32 s16, exec_lo
	s_delay_alu instid0(VALU_DEP_2)
	v_cmpx_ne_u32_e32 0x7f, v23
	s_cbranch_execz .LBB250_718
; %bb.715:                              ;   in Loop: Header=BB250_424 Depth=1
	v_dual_lshrrev_b32 v22, 3, v23 :: v_dual_bitop2_b32 v20, 7, v8 bitop3:0x40
	s_mov_b32 s17, exec_lo
	v_cmpx_gt_u32_e32 8, v23
; %bb.716:                              ;   in Loop: Header=BB250_424 Depth=1
	s_delay_alu instid0(VALU_DEP_2) | instskip(NEXT) | instid1(VALU_DEP_1)
	v_clz_i32_u32_e32 v20, v20
	v_min_u32_e32 v20, 32, v20
	s_delay_alu instid0(VALU_DEP_1) | instskip(NEXT) | instid1(VALU_DEP_1)
	v_subrev_nc_u32_e32 v22, 28, v20
	v_lshlrev_b64_e32 v[24:25], v22, v[8:9]
	v_sub_nc_u32_e32 v22, 29, v20
	s_delay_alu instid0(VALU_DEP_2)
	v_and_b32_e32 v20, 7, v24
; %bb.717:                              ;   in Loop: Header=BB250_424 Depth=1
	s_or_b32 exec_lo, exec_lo, s17
	v_lshlrev_b32_e32 v8, 8, v8
	s_delay_alu instid0(VALU_DEP_3) | instskip(NEXT) | instid1(VALU_DEP_3)
	v_lshl_add_u32 v22, v22, 10, 0x2000
	v_lshlrev_b32_e32 v20, 23, v20
	s_delay_alu instid0(VALU_DEP_2) | instskip(NEXT) | instid1(VALU_DEP_1)
	v_and_or_b32 v8, 0x8000, v8, v22
	v_lshl_or_b32 v20, v8, 16, v20
.LBB250_718:                            ;   in Loop: Header=BB250_424 Depth=1
	s_or_b32 exec_lo, exec_lo, s16
.LBB250_719:                            ;   in Loop: Header=BB250_424 Depth=1
	s_delay_alu instid0(SALU_CYCLE_1)
	s_or_b32 exec_lo, exec_lo, s15
.LBB250_720:                            ;   in Loop: Header=BB250_424 Depth=1
	s_delay_alu instid0(SALU_CYCLE_1) | instskip(SKIP_4) | instid1(VALU_DEP_3)
	s_or_b32 exec_lo, exec_lo, s14
	v_and_b32_e32 v24, 0xff, v19
	v_dual_mov_b32 v8, v19 :: v_dual_mov_b32 v23, 0
	v_mov_b32_e32 v22, 0
	s_mov_b32 s14, exec_lo
	v_cmpx_ne_u16_e32 0, v24
	s_cbranch_execz .LBB250_728
; %bb.721:                              ;   in Loop: Header=BB250_424 Depth=1
	v_mov_b32_e32 v22, 0x8000
	s_mov_b32 s15, exec_lo
	v_cmpx_ne_u16_e32 0x80, v24
	s_cbranch_execz .LBB250_727
; %bb.722:                              ;   in Loop: Header=BB250_424 Depth=1
	v_and_b32_e32 v25, 0x7f, v19
	v_mov_b32_e32 v22, 0x7c01
	s_mov_b32 s16, exec_lo
	s_delay_alu instid0(VALU_DEP_2)
	v_cmpx_ne_u32_e32 0x7f, v25
	s_cbranch_execz .LBB250_726
; %bb.723:                              ;   in Loop: Header=BB250_424 Depth=1
	v_dual_lshrrev_b32 v24, 3, v25 :: v_dual_bitop2_b32 v22, 7, v19 bitop3:0x40
	s_mov_b32 s17, exec_lo
	v_cmpx_gt_u32_e32 8, v25
; %bb.724:                              ;   in Loop: Header=BB250_424 Depth=1
	s_delay_alu instid0(VALU_DEP_2) | instskip(NEXT) | instid1(VALU_DEP_1)
	v_clz_i32_u32_e32 v22, v22
	v_min_u32_e32 v22, 32, v22
	s_delay_alu instid0(VALU_DEP_1) | instskip(NEXT) | instid1(VALU_DEP_1)
	v_subrev_nc_u32_e32 v24, 28, v22
	v_lshlrev_b64_e32 v[38:39], v24, v[8:9]
	v_sub_nc_u32_e32 v24, 29, v22
	s_delay_alu instid0(VALU_DEP_2)
	v_and_b32_e32 v22, 7, v38
; %bb.725:                              ;   in Loop: Header=BB250_424 Depth=1
	s_or_b32 exec_lo, exec_lo, s17
	s_delay_alu instid0(VALU_DEP_1) | instskip(NEXT) | instid1(VALU_DEP_3)
	v_dual_lshlrev_b32 v25, 8, v19 :: v_dual_lshlrev_b32 v22, 7, v22
	v_lshl_add_u32 v24, v24, 10, 0x2000
	s_delay_alu instid0(VALU_DEP_2) | instskip(NEXT) | instid1(VALU_DEP_2)
	v_and_b32_e32 v25, 0x8000, v25
	v_and_b32_e32 v24, 0xfc00, v24
	s_delay_alu instid0(VALU_DEP_1)
	v_or3_b32 v22, v25, v24, v22
.LBB250_726:                            ;   in Loop: Header=BB250_424 Depth=1
	s_or_b32 exec_lo, exec_lo, s16
.LBB250_727:                            ;   in Loop: Header=BB250_424 Depth=1
	s_delay_alu instid0(SALU_CYCLE_1)
	s_or_b32 exec_lo, exec_lo, s15
.LBB250_728:                            ;   in Loop: Header=BB250_424 Depth=1
	s_delay_alu instid0(SALU_CYCLE_1) | instskip(SKIP_3) | instid1(VALU_DEP_2)
	s_or_b32 exec_lo, exec_lo, s14
	v_lshrrev_b16 v8, 8, v8
	v_mov_b32_e32 v24, 0
	s_mov_b32 s14, exec_lo
	v_cmpx_ne_u16_e32 0, v8
	s_cbranch_execz .LBB250_736
; %bb.729:                              ;   in Loop: Header=BB250_424 Depth=1
	v_bfrev_b32_e32 v24, 1
	s_mov_b32 s15, exec_lo
	v_cmpx_ne_u16_e32 0x80, v8
	s_cbranch_execz .LBB250_735
; %bb.730:                              ;   in Loop: Header=BB250_424 Depth=1
	v_and_b32_e32 v25, 0xffff, v8
	v_mov_b32_e32 v24, 0x7c010000
	s_mov_b32 s16, exec_lo
	s_delay_alu instid0(VALU_DEP_2) | instskip(NEXT) | instid1(VALU_DEP_1)
	v_and_b32_e32 v39, 0x7f, v25
	v_cmpx_ne_u32_e32 0x7f, v39
	s_cbranch_execz .LBB250_734
; %bb.731:                              ;   in Loop: Header=BB250_424 Depth=1
	v_dual_lshrrev_b32 v38, 3, v39 :: v_dual_bitop2_b32 v24, 7, v25 bitop3:0x40
	s_mov_b32 s17, exec_lo
	v_cmpx_gt_u32_e32 8, v39
; %bb.732:                              ;   in Loop: Header=BB250_424 Depth=1
	s_delay_alu instid0(VALU_DEP_2) | instskip(NEXT) | instid1(VALU_DEP_1)
	v_clz_i32_u32_e32 v24, v24
	v_min_u32_e32 v24, 32, v24
	s_delay_alu instid0(VALU_DEP_1) | instskip(NEXT) | instid1(VALU_DEP_1)
	v_subrev_nc_u32_e32 v38, 28, v24
	v_lshlrev_b64_e32 v[52:53], v38, v[8:9]
	v_sub_nc_u32_e32 v38, 29, v24
	s_delay_alu instid0(VALU_DEP_2)
	v_and_b32_e32 v24, 7, v52
; %bb.733:                              ;   in Loop: Header=BB250_424 Depth=1
	s_or_b32 exec_lo, exec_lo, s17
	s_delay_alu instid0(VALU_DEP_1) | instskip(NEXT) | instid1(VALU_DEP_3)
	v_dual_lshlrev_b32 v8, 8, v25 :: v_dual_lshlrev_b32 v24, 23, v24
	v_lshl_add_u32 v25, v38, 10, 0x2000
	s_delay_alu instid0(VALU_DEP_1) | instskip(NEXT) | instid1(VALU_DEP_1)
	v_and_or_b32 v8, 0x8000, v8, v25
	v_lshl_or_b32 v24, v8, 16, v24
.LBB250_734:                            ;   in Loop: Header=BB250_424 Depth=1
	s_or_b32 exec_lo, exec_lo, s16
.LBB250_735:                            ;   in Loop: Header=BB250_424 Depth=1
	s_delay_alu instid0(SALU_CYCLE_1)
	s_or_b32 exec_lo, exec_lo, s15
.LBB250_736:                            ;   in Loop: Header=BB250_424 Depth=1
	s_delay_alu instid0(SALU_CYCLE_1) | instskip(SKIP_2) | instid1(VALU_DEP_1)
	s_or_b32 exec_lo, exec_lo, s14
	v_lshrrev_b32_e32 v8, 16, v19
	s_mov_b32 s14, exec_lo
	v_and_b32_e32 v25, 0xff, v8
	s_delay_alu instid0(VALU_DEP_1)
	v_cmpx_ne_u16_e32 0, v25
	s_cbranch_execz .LBB250_744
; %bb.737:                              ;   in Loop: Header=BB250_424 Depth=1
	v_mov_b32_e32 v23, 0x8000
	s_mov_b32 s15, exec_lo
	v_cmpx_ne_u16_e32 0x80, v25
	s_cbranch_execz .LBB250_743
; %bb.738:                              ;   in Loop: Header=BB250_424 Depth=1
	v_bfe_u32 v38, v19, 16, 7
	v_mov_b32_e32 v23, 0x7c01
	s_mov_b32 s16, exec_lo
	s_delay_alu instid0(VALU_DEP_2)
	v_cmpx_ne_u32_e32 0x7f, v38
	s_cbranch_execz .LBB250_742
; %bb.739:                              ;   in Loop: Header=BB250_424 Depth=1
	v_dual_lshrrev_b32 v25, 3, v38 :: v_dual_bitop2_b32 v23, 7, v8 bitop3:0x40
	s_mov_b32 s17, exec_lo
	v_cmpx_gt_u32_e32 8, v38
; %bb.740:                              ;   in Loop: Header=BB250_424 Depth=1
	s_delay_alu instid0(VALU_DEP_2) | instskip(NEXT) | instid1(VALU_DEP_1)
	v_clz_i32_u32_e32 v23, v23
	v_min_u32_e32 v23, 32, v23
	s_delay_alu instid0(VALU_DEP_1) | instskip(NEXT) | instid1(VALU_DEP_1)
	v_subrev_nc_u32_e32 v25, 28, v23
	v_lshlrev_b64_e32 v[38:39], v25, v[8:9]
	s_delay_alu instid0(VALU_DEP_1)
	v_dual_sub_nc_u32 v25, 29, v23 :: v_dual_bitop2_b32 v23, 7, v38 bitop3:0x40
; %bb.741:                              ;   in Loop: Header=BB250_424 Depth=1
	s_or_b32 exec_lo, exec_lo, s17
	s_delay_alu instid0(VALU_DEP_1) | instskip(NEXT) | instid1(VALU_DEP_2)
	v_dual_lshlrev_b32 v8, 8, v8 :: v_dual_lshlrev_b32 v23, 7, v23
	v_lshl_add_u32 v25, v25, 10, 0x2000
	s_delay_alu instid0(VALU_DEP_2) | instskip(NEXT) | instid1(VALU_DEP_2)
	v_and_b32_e32 v8, 0x8000, v8
	v_and_b32_e32 v25, 0xfc00, v25
	s_delay_alu instid0(VALU_DEP_1)
	v_or3_b32 v23, v8, v25, v23
.LBB250_742:                            ;   in Loop: Header=BB250_424 Depth=1
	s_or_b32 exec_lo, exec_lo, s16
.LBB250_743:                            ;   in Loop: Header=BB250_424 Depth=1
	s_delay_alu instid0(SALU_CYCLE_1)
	s_or_b32 exec_lo, exec_lo, s15
.LBB250_744:                            ;   in Loop: Header=BB250_424 Depth=1
	s_delay_alu instid0(SALU_CYCLE_1)
	s_or_b32 exec_lo, exec_lo, s14
	v_cmp_lt_u64_e64 s0, s[2:3], v[18:19]
	v_mov_b32_e32 v18, 0
	s_and_saveexec_b32 s14, s0
	s_cbranch_execz .LBB250_752
; %bb.745:                              ;   in Loop: Header=BB250_424 Depth=1
	v_lshrrev_b32_e32 v8, 24, v19
	v_bfrev_b32_e32 v18, 1
	s_mov_b32 s15, exec_lo
	s_delay_alu instid0(VALU_DEP_2)
	v_cmpx_ne_u32_e32 0x80, v8
	s_cbranch_execz .LBB250_751
; %bb.746:                              ;   in Loop: Header=BB250_424 Depth=1
	v_and_b32_e32 v25, 0x7f, v8
	v_mov_b32_e32 v18, 0x7c010000
	s_mov_b32 s16, exec_lo
	s_delay_alu instid0(VALU_DEP_2)
	v_cmpx_ne_u32_e32 0x7f, v25
	s_cbranch_execz .LBB250_750
; %bb.747:                              ;   in Loop: Header=BB250_424 Depth=1
	v_dual_lshrrev_b32 v19, 3, v25 :: v_dual_bitop2_b32 v18, 7, v8 bitop3:0x40
	s_mov_b32 s17, exec_lo
	v_cmpx_gt_u32_e32 8, v25
; %bb.748:                              ;   in Loop: Header=BB250_424 Depth=1
	s_delay_alu instid0(VALU_DEP_2) | instskip(NEXT) | instid1(VALU_DEP_1)
	v_clz_i32_u32_e32 v18, v18
	v_min_u32_e32 v25, 32, v18
	s_delay_alu instid0(VALU_DEP_1) | instskip(NEXT) | instid1(VALU_DEP_1)
	v_subrev_nc_u32_e32 v18, 28, v25
	v_lshlrev_b64_e32 v[18:19], v18, v[8:9]
	s_delay_alu instid0(VALU_DEP_1)
	v_dual_sub_nc_u32 v19, 29, v25 :: v_dual_bitop2_b32 v18, 7, v18 bitop3:0x40
; %bb.749:                              ;   in Loop: Header=BB250_424 Depth=1
	s_or_b32 exec_lo, exec_lo, s17
	s_delay_alu instid0(VALU_DEP_1) | instskip(NEXT) | instid1(VALU_DEP_2)
	v_dual_lshlrev_b32 v8, 8, v8 :: v_dual_lshlrev_b32 v18, 23, v18
	v_lshl_add_u32 v19, v19, 10, 0x2000
	s_delay_alu instid0(VALU_DEP_1) | instskip(NEXT) | instid1(VALU_DEP_1)
	v_and_or_b32 v8, 0x8000, v8, v19
	v_lshl_or_b32 v18, v8, 16, v18
.LBB250_750:                            ;   in Loop: Header=BB250_424 Depth=1
	s_or_b32 exec_lo, exec_lo, s16
.LBB250_751:                            ;   in Loop: Header=BB250_424 Depth=1
	s_delay_alu instid0(SALU_CYCLE_1)
	s_or_b32 exec_lo, exec_lo, s15
.LBB250_752:                            ;   in Loop: Header=BB250_424 Depth=1
	s_delay_alu instid0(SALU_CYCLE_1) | instskip(SKIP_3) | instid1(VALU_DEP_3)
	s_or_b32 exec_lo, exec_lo, s14
	v_dual_lshrrev_b32 v8, 16, v1 :: v_dual_lshrrev_b32 v19, 16, v20
	v_or_b32_e32 v1, v1, v17
	v_dual_lshrrev_b32 v25, 16, v18 :: v_dual_bitop2_b32 v17, v20, v21 bitop3:0x54
	v_cvt_f32_f16_e32 v21, v8
	s_delay_alu instid0(VALU_DEP_4) | instskip(SKIP_1) | instid1(VALU_DEP_4)
	v_cvt_f32_f16_e32 v20, v19
	v_dual_lshrrev_b32 v23, 16, v24 :: v_dual_bitop2_b32 v8, v18, v23 bitop3:0x54
	v_cvt_f32_f16_e32 v18, v17
	v_cvt_f32_f16_e32 v19, v1
	s_wait_loadcnt 0x0
	v_pk_mul_f32 v[20:21], v[16:17], v[20:21] op_sel_hi:[0,1]
	v_or_b32_e32 v17, v24, v22
	v_cvt_f32_f16_e32 v23, v23
	v_cvt_f32_f16_e32 v22, v25
	;; [unrolled: 1-line block ×3, first 2 shown]
	v_cvt_pk_f16_f32 v1, v20, v21
	v_cvt_f32_f16_e32 v25, v17
	v_pk_mul_f32 v[18:19], v[16:17], v[18:19] op_sel_hi:[0,1]
	v_pk_mul_f32 v[20:21], v[16:17], v[22:23] op_sel_hi:[0,1]
	s_delay_alu instid0(VALU_DEP_3) | instskip(NEXT) | instid1(VALU_DEP_3)
	v_pk_mul_f32 v[16:17], v[16:17], v[24:25] op_sel_hi:[0,1]
	v_cvt_pk_f16_f32 v8, v18, v19
	v_and_b32_e32 v19, 0xffff0000, v1
	s_delay_alu instid0(VALU_DEP_4)
	v_cvt_pk_f16_f32 v20, v20, v21
	v_lshlrev_b32_e32 v18, 16, v1
	v_cvt_pk_f16_f32 v16, v16, v17
	v_lshrrev_b32_e32 v25, 16, v8
	v_and_b32_e32 v24, 0xffff, v8
	v_and_b32_e32 v1, 0xffff0000, v20
	s_delay_alu instid0(VALU_DEP_3) | instskip(SKIP_3) | instid1(VALU_DEP_2)
	v_dual_lshlrev_b32 v8, 16, v20 :: v_dual_bitop2_b32 v23, v19, v25 bitop3:0x54
	v_lshrrev_b32_e32 v17, 16, v16
	v_and_b32_e32 v16, 0xffff, v16
	v_or_b32_e32 v22, v18, v24
	v_or_b32_e32 v20, v8, v16
	s_delay_alu instid0(VALU_DEP_4)
	v_or_b32_e32 v21, v1, v17
	s_and_saveexec_b32 s14, vcc_lo
	s_cbranch_execz .LBB250_754
; %bb.753:                              ;   in Loop: Header=BB250_424 Depth=1
	v_cmp_gt_i32_e64 s0, s9, v28
	s_delay_alu instid0(VALU_DEP_1) | instskip(SKIP_1) | instid1(VALU_DEP_1)
	v_cndmask_b32_e64 v20, 0, v25, s0
	v_cmp_gt_i32_e64 s0, s23, v37
	v_cndmask_b32_e64 v21, 0, v24, s0
	v_cmp_gt_i32_e64 s0, s9, v36
	s_delay_alu instid0(VALU_DEP_1) | instskip(SKIP_1) | instid1(VALU_DEP_1)
	v_cndmask_b32_e64 v19, 0, v19, s0
	v_cmp_gt_i32_e64 s0, s23, v35
	v_cndmask_b32_e64 v18, 0, v18, s0
	v_cmp_gt_i32_e64 s0, s9, v34
	s_delay_alu instid0(VALU_DEP_4) | instskip(NEXT) | instid1(VALU_DEP_3)
	v_or_b32_e32 v23, v19, v20
	v_or_b32_e32 v22, v18, v21
	s_delay_alu instid0(VALU_DEP_3) | instskip(SKIP_1) | instid1(VALU_DEP_1)
	v_cndmask_b32_e64 v17, 0, v17, s0
	v_cmp_gt_i32_e64 s0, s23, v33
	v_cndmask_b32_e64 v16, 0, v16, s0
	v_cmp_gt_i32_e64 s0, s9, v32
	s_delay_alu instid0(VALU_DEP_1) | instskip(SKIP_1) | instid1(VALU_DEP_1)
	v_cndmask_b32_e64 v1, 0, v1, s0
	v_cmp_gt_i32_e64 s0, s23, v31
	v_dual_cndmask_b32 v8, 0, v8, s0 :: v_dual_bitop2_b32 v21, v1, v17 bitop3:0x54
	s_delay_alu instid0(VALU_DEP_1)
	v_or_b32_e32 v20, v8, v16
.LBB250_754:                            ;   in Loop: Header=BB250_424 Depth=1
	s_or_b32 exec_lo, exec_lo, s14
	;;#ASMSTART
	v_pk_mul_f16 v1, v43, v23;

	;;#ASMEND
	;;#ASMSTART
	v_pk_mul_f16 v8, v42, v22;

	;;#ASMEND
	;; [unrolled: 4-line block ×4, first 2 shown]
	;;#ASMSTART
	v_pk_add_f16 v1, v1, v8;

	;;#ASMEND
	;;#ASMSTART
	v_pk_add_f16 v1, v1, v16;

	;;#ASMEND
	;; [unrolled: 4-line block ×3, first 2 shown]
	v_and_b32_e32 v8, 0xffff, v1
	v_lshrrev_b32_e32 v1, 16, v1
	;;#ASMSTART
	v_cvt_f32_f16 v38, v8;
	;;#ASMEND
	;;#ASMSTART
	v_cvt_f32_f16 v39, v1;
	;;#ASMEND
	global_load_b64 v[16:17], v[14:15], off offset:1280
	s_wait_xcnt 0x0
	v_dual_mov_b32 v1, 0 :: v_dual_mov_b32 v15, 0
	s_mov_b32 s14, exec_lo
	global_load_b32 v14, v1, s[10:11]
	s_wait_loadcnt 0x1
	v_and_b32_e32 v8, 0xff, v16
	s_wait_xcnt 0x0
	s_delay_alu instid0(VALU_DEP_1)
	v_cmpx_ne_u16_e32 0, v8
	s_cbranch_execz .LBB250_762
; %bb.755:                              ;   in Loop: Header=BB250_424 Depth=1
	v_mov_b32_e32 v15, 0x8000
	s_mov_b32 s15, exec_lo
	v_cmpx_ne_u16_e32 0x80, v8
	s_cbranch_execz .LBB250_761
; %bb.756:                              ;   in Loop: Header=BB250_424 Depth=1
	v_and_b32_e32 v18, 0x7f, v16
	v_mov_b32_e32 v15, 0x7c01
	s_mov_b32 s16, exec_lo
	s_delay_alu instid0(VALU_DEP_2)
	v_cmpx_ne_u32_e32 0x7f, v18
	s_cbranch_execz .LBB250_760
; %bb.757:                              ;   in Loop: Header=BB250_424 Depth=1
	v_dual_lshrrev_b32 v15, 3, v18 :: v_dual_bitop2_b32 v8, 7, v16 bitop3:0x40
	s_mov_b32 s17, exec_lo
	v_cmpx_gt_u32_e32 8, v18
; %bb.758:                              ;   in Loop: Header=BB250_424 Depth=1
	s_delay_alu instid0(VALU_DEP_2) | instskip(NEXT) | instid1(VALU_DEP_1)
	v_clz_i32_u32_e32 v8, v8
	v_min_u32_e32 v8, 32, v8
	s_delay_alu instid0(VALU_DEP_1) | instskip(NEXT) | instid1(VALU_DEP_1)
	v_subrev_nc_u32_e32 v15, 28, v8
	v_lshlrev_b64_e32 v[18:19], v15, v[16:17]
	s_delay_alu instid0(VALU_DEP_1)
	v_dual_sub_nc_u32 v15, 29, v8 :: v_dual_bitop2_b32 v8, 7, v18 bitop3:0x40
; %bb.759:                              ;   in Loop: Header=BB250_424 Depth=1
	s_or_b32 exec_lo, exec_lo, s17
	v_lshlrev_b32_e32 v18, 8, v16
	s_delay_alu instid0(VALU_DEP_2) | instskip(NEXT) | instid1(VALU_DEP_3)
	v_lshl_add_u32 v15, v15, 10, 0x2000
	v_lshlrev_b32_e32 v8, 7, v8
	s_delay_alu instid0(VALU_DEP_3) | instskip(NEXT) | instid1(VALU_DEP_3)
	v_and_b32_e32 v18, 0x8000, v18
	v_and_b32_e32 v15, 0xfc00, v15
	s_delay_alu instid0(VALU_DEP_1)
	v_or3_b32 v15, v18, v15, v8
.LBB250_760:                            ;   in Loop: Header=BB250_424 Depth=1
	s_or_b32 exec_lo, exec_lo, s16
.LBB250_761:                            ;   in Loop: Header=BB250_424 Depth=1
	s_delay_alu instid0(SALU_CYCLE_1)
	s_or_b32 exec_lo, exec_lo, s15
.LBB250_762:                            ;   in Loop: Header=BB250_424 Depth=1
	s_delay_alu instid0(SALU_CYCLE_1) | instskip(SKIP_2) | instid1(VALU_DEP_1)
	s_or_b32 exec_lo, exec_lo, s14
	v_lshrrev_b16 v8, 8, v16
	s_mov_b32 s14, exec_lo
	v_cmpx_ne_u16_e32 0, v8
	s_cbranch_execz .LBB250_770
; %bb.763:                              ;   in Loop: Header=BB250_424 Depth=1
	v_bfrev_b32_e32 v1, 1
	s_mov_b32 s15, exec_lo
	v_cmpx_ne_u16_e32 0x80, v8
	s_cbranch_execz .LBB250_769
; %bb.764:                              ;   in Loop: Header=BB250_424 Depth=1
	v_and_b32_e32 v18, 0xffff, v8
	v_mov_b32_e32 v1, 0x7c010000
	s_mov_b32 s16, exec_lo
	s_delay_alu instid0(VALU_DEP_2) | instskip(NEXT) | instid1(VALU_DEP_1)
	v_and_b32_e32 v20, 0x7f, v18
	v_cmpx_ne_u32_e32 0x7f, v20
	s_cbranch_execz .LBB250_768
; %bb.765:                              ;   in Loop: Header=BB250_424 Depth=1
	v_dual_lshrrev_b32 v19, 3, v20 :: v_dual_bitop2_b32 v1, 7, v18 bitop3:0x40
	s_mov_b32 s17, exec_lo
	v_cmpx_gt_u32_e32 8, v20
; %bb.766:                              ;   in Loop: Header=BB250_424 Depth=1
	s_delay_alu instid0(VALU_DEP_2) | instskip(NEXT) | instid1(VALU_DEP_1)
	v_clz_i32_u32_e32 v1, v1
	v_min_u32_e32 v1, 32, v1
	s_delay_alu instid0(VALU_DEP_1) | instskip(NEXT) | instid1(VALU_DEP_1)
	v_subrev_nc_u32_e32 v19, 28, v1
	v_lshlrev_b64_e32 v[20:21], v19, v[8:9]
	s_delay_alu instid0(VALU_DEP_1)
	v_dual_sub_nc_u32 v19, 29, v1 :: v_dual_bitop2_b32 v1, 7, v20 bitop3:0x40
; %bb.767:                              ;   in Loop: Header=BB250_424 Depth=1
	s_or_b32 exec_lo, exec_lo, s17
	s_delay_alu instid0(VALU_DEP_1) | instskip(NEXT) | instid1(VALU_DEP_2)
	v_dual_lshlrev_b32 v8, 8, v18 :: v_dual_lshlrev_b32 v1, 23, v1
	v_lshl_add_u32 v18, v19, 10, 0x2000
	s_delay_alu instid0(VALU_DEP_1) | instskip(NEXT) | instid1(VALU_DEP_1)
	v_and_or_b32 v8, 0x8000, v8, v18
	v_lshl_or_b32 v1, v8, 16, v1
.LBB250_768:                            ;   in Loop: Header=BB250_424 Depth=1
	s_or_b32 exec_lo, exec_lo, s16
.LBB250_769:                            ;   in Loop: Header=BB250_424 Depth=1
	s_delay_alu instid0(SALU_CYCLE_1)
	s_or_b32 exec_lo, exec_lo, s15
.LBB250_770:                            ;   in Loop: Header=BB250_424 Depth=1
	s_delay_alu instid0(SALU_CYCLE_1) | instskip(SKIP_3) | instid1(VALU_DEP_2)
	s_or_b32 exec_lo, exec_lo, s14
	v_dual_lshrrev_b32 v8, 16, v16 :: v_dual_mov_b32 v18, 0
	v_mov_b32_e32 v19, 0
	s_mov_b32 s14, exec_lo
	v_and_b32_e32 v20, 0xff, v8
	s_delay_alu instid0(VALU_DEP_1)
	v_cmpx_ne_u16_e32 0, v20
	s_cbranch_execz .LBB250_778
; %bb.771:                              ;   in Loop: Header=BB250_424 Depth=1
	v_mov_b32_e32 v19, 0x8000
	s_mov_b32 s15, exec_lo
	v_cmpx_ne_u16_e32 0x80, v20
	s_cbranch_execz .LBB250_777
; %bb.772:                              ;   in Loop: Header=BB250_424 Depth=1
	v_bfe_u32 v21, v16, 16, 7
	v_mov_b32_e32 v19, 0x7c01
	s_mov_b32 s16, exec_lo
	s_delay_alu instid0(VALU_DEP_2)
	v_cmpx_ne_u32_e32 0x7f, v21
	s_cbranch_execz .LBB250_776
; %bb.773:                              ;   in Loop: Header=BB250_424 Depth=1
	v_dual_lshrrev_b32 v20, 3, v21 :: v_dual_bitop2_b32 v19, 7, v8 bitop3:0x40
	s_mov_b32 s17, exec_lo
	v_cmpx_gt_u32_e32 8, v21
; %bb.774:                              ;   in Loop: Header=BB250_424 Depth=1
	s_delay_alu instid0(VALU_DEP_2) | instskip(NEXT) | instid1(VALU_DEP_1)
	v_clz_i32_u32_e32 v19, v19
	v_min_u32_e32 v19, 32, v19
	s_delay_alu instid0(VALU_DEP_1) | instskip(NEXT) | instid1(VALU_DEP_1)
	v_subrev_nc_u32_e32 v20, 28, v19
	v_lshlrev_b64_e32 v[22:23], v20, v[8:9]
	s_delay_alu instid0(VALU_DEP_1)
	v_dual_sub_nc_u32 v20, 29, v19 :: v_dual_bitop2_b32 v19, 7, v22 bitop3:0x40
; %bb.775:                              ;   in Loop: Header=BB250_424 Depth=1
	s_or_b32 exec_lo, exec_lo, s17
	s_delay_alu instid0(VALU_DEP_1) | instskip(NEXT) | instid1(VALU_DEP_2)
	v_dual_lshlrev_b32 v8, 8, v8 :: v_dual_lshlrev_b32 v19, 7, v19
	v_lshl_add_u32 v20, v20, 10, 0x2000
	s_delay_alu instid0(VALU_DEP_2) | instskip(NEXT) | instid1(VALU_DEP_2)
	v_and_b32_e32 v8, 0x8000, v8
	v_and_b32_e32 v20, 0xfc00, v20
	s_delay_alu instid0(VALU_DEP_1)
	v_or3_b32 v19, v8, v20, v19
.LBB250_776:                            ;   in Loop: Header=BB250_424 Depth=1
	s_or_b32 exec_lo, exec_lo, s16
.LBB250_777:                            ;   in Loop: Header=BB250_424 Depth=1
	s_delay_alu instid0(SALU_CYCLE_1)
	s_or_b32 exec_lo, exec_lo, s15
.LBB250_778:                            ;   in Loop: Header=BB250_424 Depth=1
	s_delay_alu instid0(SALU_CYCLE_1) | instskip(NEXT) | instid1(SALU_CYCLE_1)
	s_or_b32 exec_lo, exec_lo, s14
	s_mov_b32 s14, exec_lo
	v_cmpx_lt_u32_e32 0xffffff, v16
	s_cbranch_execz .LBB250_786
; %bb.779:                              ;   in Loop: Header=BB250_424 Depth=1
	v_lshrrev_b32_e32 v8, 24, v16
	v_bfrev_b32_e32 v18, 1
	s_mov_b32 s15, exec_lo
	s_delay_alu instid0(VALU_DEP_2)
	v_cmpx_ne_u32_e32 0x80, v8
	s_cbranch_execz .LBB250_785
; %bb.780:                              ;   in Loop: Header=BB250_424 Depth=1
	v_and_b32_e32 v21, 0x7f, v8
	v_mov_b32_e32 v18, 0x7c010000
	s_mov_b32 s16, exec_lo
	s_delay_alu instid0(VALU_DEP_2)
	v_cmpx_ne_u32_e32 0x7f, v21
	s_cbranch_execz .LBB250_784
; %bb.781:                              ;   in Loop: Header=BB250_424 Depth=1
	v_dual_lshrrev_b32 v20, 3, v21 :: v_dual_bitop2_b32 v18, 7, v8 bitop3:0x40
	s_mov_b32 s17, exec_lo
	v_cmpx_gt_u32_e32 8, v21
; %bb.782:                              ;   in Loop: Header=BB250_424 Depth=1
	s_delay_alu instid0(VALU_DEP_2) | instskip(NEXT) | instid1(VALU_DEP_1)
	v_clz_i32_u32_e32 v18, v18
	v_min_u32_e32 v18, 32, v18
	s_delay_alu instid0(VALU_DEP_1) | instskip(NEXT) | instid1(VALU_DEP_1)
	v_subrev_nc_u32_e32 v20, 28, v18
	v_lshlrev_b64_e32 v[22:23], v20, v[8:9]
	v_sub_nc_u32_e32 v20, 29, v18
	s_delay_alu instid0(VALU_DEP_2)
	v_and_b32_e32 v18, 7, v22
; %bb.783:                              ;   in Loop: Header=BB250_424 Depth=1
	s_or_b32 exec_lo, exec_lo, s17
	s_delay_alu instid0(VALU_DEP_1) | instskip(NEXT) | instid1(VALU_DEP_3)
	v_dual_lshlrev_b32 v8, 8, v8 :: v_dual_lshlrev_b32 v18, 23, v18
	v_lshl_add_u32 v20, v20, 10, 0x2000
	s_delay_alu instid0(VALU_DEP_1) | instskip(NEXT) | instid1(VALU_DEP_1)
	v_and_or_b32 v8, 0x8000, v8, v20
	v_lshl_or_b32 v18, v8, 16, v18
.LBB250_784:                            ;   in Loop: Header=BB250_424 Depth=1
	s_or_b32 exec_lo, exec_lo, s16
.LBB250_785:                            ;   in Loop: Header=BB250_424 Depth=1
	s_delay_alu instid0(SALU_CYCLE_1)
	s_or_b32 exec_lo, exec_lo, s15
.LBB250_786:                            ;   in Loop: Header=BB250_424 Depth=1
	s_delay_alu instid0(SALU_CYCLE_1) | instskip(SKIP_4) | instid1(VALU_DEP_3)
	s_or_b32 exec_lo, exec_lo, s14
	v_and_b32_e32 v22, 0xff, v17
	v_dual_mov_b32 v8, v17 :: v_dual_mov_b32 v21, 0
	v_mov_b32_e32 v20, 0
	s_mov_b32 s14, exec_lo
	v_cmpx_ne_u16_e32 0, v22
	s_cbranch_execz .LBB250_794
; %bb.787:                              ;   in Loop: Header=BB250_424 Depth=1
	v_mov_b32_e32 v20, 0x8000
	s_mov_b32 s15, exec_lo
	v_cmpx_ne_u16_e32 0x80, v22
	s_cbranch_execz .LBB250_793
; %bb.788:                              ;   in Loop: Header=BB250_424 Depth=1
	v_and_b32_e32 v23, 0x7f, v17
	v_mov_b32_e32 v20, 0x7c01
	s_mov_b32 s16, exec_lo
	s_delay_alu instid0(VALU_DEP_2)
	v_cmpx_ne_u32_e32 0x7f, v23
	s_cbranch_execz .LBB250_792
; %bb.789:                              ;   in Loop: Header=BB250_424 Depth=1
	v_dual_lshrrev_b32 v22, 3, v23 :: v_dual_bitop2_b32 v20, 7, v17 bitop3:0x40
	s_mov_b32 s17, exec_lo
	v_cmpx_gt_u32_e32 8, v23
; %bb.790:                              ;   in Loop: Header=BB250_424 Depth=1
	s_delay_alu instid0(VALU_DEP_2) | instskip(NEXT) | instid1(VALU_DEP_1)
	v_clz_i32_u32_e32 v20, v20
	v_min_u32_e32 v20, 32, v20
	s_delay_alu instid0(VALU_DEP_1) | instskip(NEXT) | instid1(VALU_DEP_1)
	v_subrev_nc_u32_e32 v22, 28, v20
	v_lshlrev_b64_e32 v[24:25], v22, v[8:9]
	v_sub_nc_u32_e32 v22, 29, v20
	s_delay_alu instid0(VALU_DEP_2)
	v_and_b32_e32 v20, 7, v24
; %bb.791:                              ;   in Loop: Header=BB250_424 Depth=1
	s_or_b32 exec_lo, exec_lo, s17
	s_delay_alu instid0(VALU_DEP_1) | instskip(NEXT) | instid1(VALU_DEP_3)
	v_dual_lshlrev_b32 v23, 8, v17 :: v_dual_lshlrev_b32 v20, 7, v20
	v_lshl_add_u32 v22, v22, 10, 0x2000
	s_delay_alu instid0(VALU_DEP_2) | instskip(NEXT) | instid1(VALU_DEP_2)
	v_and_b32_e32 v23, 0x8000, v23
	v_and_b32_e32 v22, 0xfc00, v22
	s_delay_alu instid0(VALU_DEP_1)
	v_or3_b32 v20, v23, v22, v20
.LBB250_792:                            ;   in Loop: Header=BB250_424 Depth=1
	s_or_b32 exec_lo, exec_lo, s16
.LBB250_793:                            ;   in Loop: Header=BB250_424 Depth=1
	s_delay_alu instid0(SALU_CYCLE_1)
	s_or_b32 exec_lo, exec_lo, s15
.LBB250_794:                            ;   in Loop: Header=BB250_424 Depth=1
	s_delay_alu instid0(SALU_CYCLE_1) | instskip(SKIP_3) | instid1(VALU_DEP_2)
	s_or_b32 exec_lo, exec_lo, s14
	v_lshrrev_b16 v8, 8, v8
	v_mov_b32_e32 v22, 0
	s_mov_b32 s14, exec_lo
	v_cmpx_ne_u16_e32 0, v8
	s_cbranch_execz .LBB250_802
; %bb.795:                              ;   in Loop: Header=BB250_424 Depth=1
	v_bfrev_b32_e32 v22, 1
	s_mov_b32 s15, exec_lo
	v_cmpx_ne_u16_e32 0x80, v8
	s_cbranch_execz .LBB250_801
; %bb.796:                              ;   in Loop: Header=BB250_424 Depth=1
	v_and_b32_e32 v23, 0xffff, v8
	v_mov_b32_e32 v22, 0x7c010000
	s_mov_b32 s16, exec_lo
	s_delay_alu instid0(VALU_DEP_2) | instskip(NEXT) | instid1(VALU_DEP_1)
	v_and_b32_e32 v25, 0x7f, v23
	v_cmpx_ne_u32_e32 0x7f, v25
	s_cbranch_execz .LBB250_800
; %bb.797:                              ;   in Loop: Header=BB250_424 Depth=1
	v_dual_lshrrev_b32 v24, 3, v25 :: v_dual_bitop2_b32 v22, 7, v23 bitop3:0x40
	s_mov_b32 s17, exec_lo
	v_cmpx_gt_u32_e32 8, v25
; %bb.798:                              ;   in Loop: Header=BB250_424 Depth=1
	s_delay_alu instid0(VALU_DEP_2) | instskip(NEXT) | instid1(VALU_DEP_1)
	v_clz_i32_u32_e32 v22, v22
	v_min_u32_e32 v22, 32, v22
	s_delay_alu instid0(VALU_DEP_1) | instskip(NEXT) | instid1(VALU_DEP_1)
	v_subrev_nc_u32_e32 v24, 28, v22
	v_lshlrev_b64_e32 v[52:53], v24, v[8:9]
	s_delay_alu instid0(VALU_DEP_1)
	v_dual_sub_nc_u32 v24, 29, v22 :: v_dual_bitop2_b32 v22, 7, v52 bitop3:0x40
; %bb.799:                              ;   in Loop: Header=BB250_424 Depth=1
	s_or_b32 exec_lo, exec_lo, s17
	s_delay_alu instid0(VALU_DEP_1) | instskip(NEXT) | instid1(VALU_DEP_2)
	v_dual_lshlrev_b32 v8, 8, v23 :: v_dual_lshlrev_b32 v22, 23, v22
	v_lshl_add_u32 v23, v24, 10, 0x2000
	s_delay_alu instid0(VALU_DEP_1) | instskip(NEXT) | instid1(VALU_DEP_1)
	v_and_or_b32 v8, 0x8000, v8, v23
	v_lshl_or_b32 v22, v8, 16, v22
.LBB250_800:                            ;   in Loop: Header=BB250_424 Depth=1
	s_or_b32 exec_lo, exec_lo, s16
.LBB250_801:                            ;   in Loop: Header=BB250_424 Depth=1
	s_delay_alu instid0(SALU_CYCLE_1)
	s_or_b32 exec_lo, exec_lo, s15
.LBB250_802:                            ;   in Loop: Header=BB250_424 Depth=1
	s_delay_alu instid0(SALU_CYCLE_1) | instskip(SKIP_2) | instid1(VALU_DEP_1)
	s_or_b32 exec_lo, exec_lo, s14
	v_lshrrev_b32_e32 v8, 16, v17
	s_mov_b32 s14, exec_lo
	v_and_b32_e32 v23, 0xff, v8
	s_delay_alu instid0(VALU_DEP_1)
	v_cmpx_ne_u16_e32 0, v23
	s_cbranch_execz .LBB250_810
; %bb.803:                              ;   in Loop: Header=BB250_424 Depth=1
	v_mov_b32_e32 v21, 0x8000
	s_mov_b32 s15, exec_lo
	v_cmpx_ne_u16_e32 0x80, v23
	s_cbranch_execz .LBB250_809
; %bb.804:                              ;   in Loop: Header=BB250_424 Depth=1
	v_bfe_u32 v24, v17, 16, 7
	v_mov_b32_e32 v21, 0x7c01
	s_mov_b32 s16, exec_lo
	s_delay_alu instid0(VALU_DEP_2)
	v_cmpx_ne_u32_e32 0x7f, v24
	s_cbranch_execz .LBB250_808
; %bb.805:                              ;   in Loop: Header=BB250_424 Depth=1
	v_and_b32_e32 v21, 7, v8
	v_lshrrev_b32_e32 v23, 3, v24
	s_mov_b32 s17, exec_lo
	v_cmpx_gt_u32_e32 8, v24
; %bb.806:                              ;   in Loop: Header=BB250_424 Depth=1
	s_delay_alu instid0(VALU_DEP_3) | instskip(NEXT) | instid1(VALU_DEP_1)
	v_clz_i32_u32_e32 v21, v21
	v_min_u32_e32 v21, 32, v21
	s_delay_alu instid0(VALU_DEP_1) | instskip(NEXT) | instid1(VALU_DEP_1)
	v_subrev_nc_u32_e32 v23, 28, v21
	v_lshlrev_b64_e32 v[24:25], v23, v[8:9]
	s_delay_alu instid0(VALU_DEP_1)
	v_dual_sub_nc_u32 v23, 29, v21 :: v_dual_bitop2_b32 v21, 7, v24 bitop3:0x40
; %bb.807:                              ;   in Loop: Header=BB250_424 Depth=1
	s_or_b32 exec_lo, exec_lo, s17
	s_delay_alu instid0(VALU_DEP_1) | instskip(NEXT) | instid1(VALU_DEP_2)
	v_dual_lshlrev_b32 v8, 8, v8 :: v_dual_lshlrev_b32 v21, 7, v21
	v_lshl_add_u32 v23, v23, 10, 0x2000
	s_delay_alu instid0(VALU_DEP_2) | instskip(NEXT) | instid1(VALU_DEP_2)
	v_and_b32_e32 v8, 0x8000, v8
	v_and_b32_e32 v23, 0xfc00, v23
	s_delay_alu instid0(VALU_DEP_1)
	v_or3_b32 v21, v8, v23, v21
.LBB250_808:                            ;   in Loop: Header=BB250_424 Depth=1
	s_or_b32 exec_lo, exec_lo, s16
.LBB250_809:                            ;   in Loop: Header=BB250_424 Depth=1
	s_delay_alu instid0(SALU_CYCLE_1)
	s_or_b32 exec_lo, exec_lo, s15
.LBB250_810:                            ;   in Loop: Header=BB250_424 Depth=1
	s_delay_alu instid0(SALU_CYCLE_1)
	s_or_b32 exec_lo, exec_lo, s14
	v_cmp_lt_u64_e64 s0, s[2:3], v[16:17]
	v_mov_b32_e32 v16, 0
	s_and_saveexec_b32 s14, s0
	s_cbranch_execz .LBB250_818
; %bb.811:                              ;   in Loop: Header=BB250_424 Depth=1
	v_lshrrev_b32_e32 v8, 24, v17
	v_bfrev_b32_e32 v16, 1
	s_mov_b32 s15, exec_lo
	s_delay_alu instid0(VALU_DEP_2)
	v_cmpx_ne_u32_e32 0x80, v8
	s_cbranch_execz .LBB250_817
; %bb.812:                              ;   in Loop: Header=BB250_424 Depth=1
	v_and_b32_e32 v23, 0x7f, v8
	v_mov_b32_e32 v16, 0x7c010000
	s_mov_b32 s16, exec_lo
	s_delay_alu instid0(VALU_DEP_2)
	v_cmpx_ne_u32_e32 0x7f, v23
	s_cbranch_execz .LBB250_816
; %bb.813:                              ;   in Loop: Header=BB250_424 Depth=1
	v_dual_lshrrev_b32 v17, 3, v23 :: v_dual_bitop2_b32 v16, 7, v8 bitop3:0x40
	s_mov_b32 s17, exec_lo
	v_cmpx_gt_u32_e32 8, v23
; %bb.814:                              ;   in Loop: Header=BB250_424 Depth=1
	s_delay_alu instid0(VALU_DEP_2) | instskip(NEXT) | instid1(VALU_DEP_1)
	v_clz_i32_u32_e32 v16, v16
	v_min_u32_e32 v23, 32, v16
	s_delay_alu instid0(VALU_DEP_1) | instskip(NEXT) | instid1(VALU_DEP_1)
	v_subrev_nc_u32_e32 v16, 28, v23
	v_lshlrev_b64_e32 v[16:17], v16, v[8:9]
	s_delay_alu instid0(VALU_DEP_1)
	v_dual_sub_nc_u32 v17, 29, v23 :: v_dual_bitop2_b32 v16, 7, v16 bitop3:0x40
; %bb.815:                              ;   in Loop: Header=BB250_424 Depth=1
	s_or_b32 exec_lo, exec_lo, s17
	v_lshlrev_b32_e32 v8, 8, v8
	s_delay_alu instid0(VALU_DEP_2) | instskip(NEXT) | instid1(VALU_DEP_3)
	v_lshl_add_u32 v17, v17, 10, 0x2000
	v_lshlrev_b32_e32 v16, 23, v16
	s_delay_alu instid0(VALU_DEP_2) | instskip(NEXT) | instid1(VALU_DEP_1)
	v_and_or_b32 v8, 0x8000, v8, v17
	v_lshl_or_b32 v16, v8, 16, v16
.LBB250_816:                            ;   in Loop: Header=BB250_424 Depth=1
	s_or_b32 exec_lo, exec_lo, s16
.LBB250_817:                            ;   in Loop: Header=BB250_424 Depth=1
	s_delay_alu instid0(SALU_CYCLE_1)
	s_or_b32 exec_lo, exec_lo, s15
.LBB250_818:                            ;   in Loop: Header=BB250_424 Depth=1
	s_delay_alu instid0(SALU_CYCLE_1) | instskip(SKIP_3) | instid1(VALU_DEP_3)
	s_or_b32 exec_lo, exec_lo, s14
	v_dual_lshrrev_b32 v8, 16, v1 :: v_dual_lshrrev_b32 v17, 16, v18
	v_or_b32_e32 v1, v1, v15
	v_dual_lshrrev_b32 v23, 16, v16 :: v_dual_bitop2_b32 v15, v18, v19 bitop3:0x54
	v_cvt_f32_f16_e32 v19, v8
	s_delay_alu instid0(VALU_DEP_4) | instskip(SKIP_1) | instid1(VALU_DEP_4)
	v_cvt_f32_f16_e32 v18, v17
	v_dual_lshrrev_b32 v21, 16, v22 :: v_dual_bitop2_b32 v8, v16, v21 bitop3:0x54
	v_cvt_f32_f16_e32 v16, v15
	v_cvt_f32_f16_e32 v17, v1
	s_wait_loadcnt 0x0
	v_pk_mul_f32 v[18:19], v[14:15], v[18:19] op_sel_hi:[0,1]
	v_cvt_f32_f16_e32 v21, v21
	s_delay_alu instid0(VALU_DEP_2) | instskip(SKIP_3) | instid1(VALU_DEP_2)
	v_cvt_pk_f16_f32 v1, v18, v19
	v_or_b32_e32 v15, v22, v20
	v_cvt_f32_f16_e32 v20, v23
	v_cvt_f32_f16_e32 v22, v8
	v_pk_mul_f32 v[18:19], v[14:15], v[20:21] op_sel_hi:[0,1]
	v_lshlrev_b32_e32 v20, 16, v1
	v_cvt_f32_f16_e32 v23, v15
	v_pk_mul_f32 v[16:17], v[14:15], v[16:17] op_sel_hi:[0,1]
	v_and_b32_e32 v21, 0xffff0000, v1
	s_delay_alu instid0(VALU_DEP_3) | instskip(NEXT) | instid1(VALU_DEP_3)
	v_pk_mul_f32 v[14:15], v[14:15], v[22:23] op_sel_hi:[0,1]
	v_cvt_pk_f16_f32 v8, v16, v17
	v_cvt_pk_f16_f32 v16, v18, v19
	s_delay_alu instid0(VALU_DEP_3) | instskip(NEXT) | instid1(VALU_DEP_3)
	v_cvt_pk_f16_f32 v14, v14, v15
	v_and_b32_e32 v22, 0xffff, v8
	v_lshrrev_b32_e32 v23, 16, v8
	s_delay_alu instid0(VALU_DEP_4) | instskip(NEXT) | instid1(VALU_DEP_4)
	v_and_b32_e32 v1, 0xffff0000, v16
	v_dual_lshlrev_b32 v8, 16, v16 :: v_dual_lshrrev_b32 v19, 16, v14
	v_and_b32_e32 v18, 0xffff, v14
	v_or_b32_e32 v16, v20, v22
	v_or_b32_e32 v17, v21, v23
	s_delay_alu instid0(VALU_DEP_4) | instskip(NEXT) | instid1(VALU_DEP_4)
	v_or_b32_e32 v15, v1, v19
	v_or_b32_e32 v14, v8, v18
	s_and_saveexec_b32 s0, vcc_lo
	s_cbranch_execz .LBB250_423
; %bb.819:                              ;   in Loop: Header=BB250_424 Depth=1
	v_cmp_gt_i32_e32 vcc_lo, s9, v28
	v_cndmask_b32_e32 v14, 0, v23, vcc_lo
	v_cmp_gt_i32_e32 vcc_lo, s23, v37
	v_cndmask_b32_e32 v15, 0, v22, vcc_lo
	;; [unrolled: 2-line block ×4, first 2 shown]
	v_cmp_gt_i32_e32 vcc_lo, s9, v34
	s_delay_alu instid0(VALU_DEP_4) | instskip(NEXT) | instid1(VALU_DEP_3)
	v_or_b32_e32 v17, v16, v14
	v_or_b32_e32 v16, v20, v15
	v_cndmask_b32_e32 v19, 0, v19, vcc_lo
	v_cmp_gt_i32_e32 vcc_lo, s23, v33
	v_cndmask_b32_e32 v18, 0, v18, vcc_lo
	v_cmp_gt_i32_e32 vcc_lo, s9, v32
	;; [unrolled: 2-line block ×3, first 2 shown]
	s_delay_alu instid0(VALU_DEP_2) | instskip(NEXT) | instid1(VALU_DEP_1)
	v_dual_cndmask_b32 v8, 0, v8, vcc_lo :: v_dual_bitop2_b32 v15, v1, v19 bitop3:0x54
	v_or_b32_e32 v14, v8, v18
	s_branch .LBB250_423
.LBB250_820:
	s_or_b32 exec_lo, exec_lo, s8
.LBB250_821:
	s_delay_alu instid0(SALU_CYCLE_1) | instskip(SKIP_4) | instid1(VALU_DEP_2)
	s_or_b32 exec_lo, exec_lo, s1
	v_lshl_add_u32 v8, v27, 2, 0x1a0
	v_and_b32_e32 v9, 0x3c0, v0
	s_mov_b32 s0, exec_lo
	s_barrier_signal -1
	v_mad_u32_u24 v1, 0x300, v26, v8
	s_barrier_wait -1
	v_cmpx_eq_u32_e32 64, v9
	s_cbranch_execz .LBB250_823
; %bb.822:
	s_delay_alu instid0(VALU_DEP_2)
	v_add_nc_u32_e32 v9, 0xfffffa00, v1
	v_add_nc_u32_e32 v10, 0xfffffa80, v1
	;; [unrolled: 1-line block ×6, first 2 shown]
	ds_store_b32 v9, v6
	ds_store_b32 v10, v7
	;; [unrolled: 1-line block ×6, first 2 shown]
.LBB250_823:
	s_or_b32 exec_lo, exec_lo, s0
	s_delay_alu instid0(SALU_CYCLE_1)
	s_mov_b32 s0, exec_lo
	s_wait_dscnt 0x0
	s_barrier_signal -1
	s_barrier_wait -1
	v_cmpx_gt_u32_e32 64, v0
	s_cbranch_execz .LBB250_825
; %bb.824:
	ds_load_2addr_b32 v[10:11], v1 offset1:32
	ds_load_2addr_b32 v[12:13], v1 offset0:64 offset1:96
	ds_load_2addr_b32 v[14:15], v1 offset0:128 offset1:160
	s_wait_dscnt 0x2
	v_pk_add_f32 v[6:7], v[6:7], v[10:11]
	s_wait_dscnt 0x1
	v_pk_add_f32 v[4:5], v[4:5], v[12:13]
	;; [unrolled: 2-line block ×3, first 2 shown]
.LBB250_825:
	s_or_b32 exec_lo, exec_lo, s0
	v_and_b32_e32 v9, 0x3e0, v0
	s_mov_b32 s0, exec_lo
	s_barrier_signal -1
	s_barrier_wait -1
	s_delay_alu instid0(VALU_DEP_1)
	v_cmpx_eq_u32_e32 32, v9
	s_cbranch_execz .LBB250_827
; %bb.826:
	ds_store_2addr_b32 v8, v6, v7 offset1:32
	ds_store_2addr_b32 v8, v4, v5 offset0:64 offset1:96
	ds_store_2addr_b32 v8, v2, v3 offset0:128 offset1:160
.LBB250_827:
	s_or_b32 exec_lo, exec_lo, s0
	v_cmp_gt_u32_e32 vcc_lo, 32, v0
	s_wait_dscnt 0x0
	s_barrier_signal -1
	s_barrier_wait -1
	s_and_saveexec_b32 s0, vcc_lo
	s_cbranch_execz .LBB250_829
; %bb.828:
	ds_load_2addr_b32 v[8:9], v1 offset1:32
	ds_load_2addr_b32 v[10:11], v1 offset0:64 offset1:96
	ds_load_2addr_b32 v[12:13], v1 offset0:128 offset1:160
	s_wait_dscnt 0x2
	v_pk_add_f32 v[6:7], v[6:7], v[8:9]
	s_wait_dscnt 0x1
	v_pk_add_f32 v[4:5], v[4:5], v[10:11]
	;; [unrolled: 2-line block ×3, first 2 shown]
.LBB250_829:
	s_or_b32 exec_lo, exec_lo, s0
	s_barrier_signal -1
	s_barrier_wait -1
	s_and_saveexec_b32 s0, vcc_lo
	s_cbranch_execz .LBB250_831
; %bb.830:
	s_mul_i32 s1, s22, s13
	s_bfe_u32 s5, ttmp6, 0x40014
	s_mul_i32 s1, s1, s21
	s_mul_i32 s0, s13, s12
	;; [unrolled: 1-line block ×3, first 2 shown]
	s_lshr_b32 s4, ttmp7, 16
	s_ashr_i32 s3, s2, 31
	s_add_co_i32 s5, s5, 1
	s_lshl_b64 s[2:3], s[2:3], 1
	s_ashr_i32 s1, s0, 31
	s_add_nc_u64 s[2:3], s[6:7], s[2:3]
	s_mul_i32 s5, s4, s5
	s_bfe_u32 s6, ttmp6, 0x40008
	s_lshl_b64 s[0:1], s[0:1], 1
	s_add_co_i32 s6, s6, s5
	s_cmp_eq_u32 s20, 0
	s_add_nc_u64 s[0:1], s[2:3], s[0:1]
	s_cselect_b32 s2, s4, s6
	s_mov_b32 s3, 0
	s_mulk_i32 s2, 0x180
	;;#ASMSTART
	v_cvt_f16_f32 v1, v6;

	;;#ASMEND
	s_add_nc_u64 s[0:1], s[0:1], s[2:3]
	global_store_b16 v0, v1, s[0:1] scale_offset
	s_wait_xcnt 0x0
	;;#ASMSTART
	v_cvt_f16_f32 v1, v7;

	;;#ASMEND
	global_store_b16 v0, v1, s[0:1] offset:64 scale_offset
	s_wait_xcnt 0x0
	;;#ASMSTART
	v_cvt_f16_f32 v1, v4;

	;;#ASMEND
	global_store_b16 v0, v1, s[0:1] offset:128 scale_offset
	;; [unrolled: 6-line block ×5, first 2 shown]
.LBB250_831:
	s_sendmsg sendmsg(MSG_DEALLOC_VGPRS)
	s_endpgm
	.section	.rodata,"a",@progbits
	.p2align	6, 0x0
	.amdhsa_kernel _ZN4vllm25paged_attention_v1_kernelIthLi192ELi8ELi128ELNS_18Fp8KVCacheDataTypeE1ELb0EEEvPT_PKS2_PKT0_S8_ifPKiSA_iPKfiiiSC_SC_iiiii
		.amdhsa_group_segment_fixed_size 416
		.amdhsa_private_segment_fixed_size 0
		.amdhsa_kernarg_size 384
		.amdhsa_user_sgpr_count 2
		.amdhsa_user_sgpr_dispatch_ptr 0
		.amdhsa_user_sgpr_queue_ptr 0
		.amdhsa_user_sgpr_kernarg_segment_ptr 1
		.amdhsa_user_sgpr_dispatch_id 0
		.amdhsa_user_sgpr_kernarg_preload_length 0
		.amdhsa_user_sgpr_kernarg_preload_offset 0
		.amdhsa_user_sgpr_private_segment_size 0
		.amdhsa_wavefront_size32 1
		.amdhsa_uses_dynamic_stack 0
		.amdhsa_enable_private_segment 0
		.amdhsa_system_sgpr_workgroup_id_x 1
		.amdhsa_system_sgpr_workgroup_id_y 1
		.amdhsa_system_sgpr_workgroup_id_z 1
		.amdhsa_system_sgpr_workgroup_info 0
		.amdhsa_system_vgpr_workitem_id 0
		.amdhsa_next_free_vgpr 105
		.amdhsa_next_free_sgpr 32
		.amdhsa_named_barrier_count 0
		.amdhsa_reserve_vcc 1
		.amdhsa_float_round_mode_32 0
		.amdhsa_float_round_mode_16_64 0
		.amdhsa_float_denorm_mode_32 3
		.amdhsa_float_denorm_mode_16_64 3
		.amdhsa_fp16_overflow 0
		.amdhsa_memory_ordered 1
		.amdhsa_forward_progress 1
		.amdhsa_inst_pref_size 242
		.amdhsa_round_robin_scheduling 0
		.amdhsa_exception_fp_ieee_invalid_op 0
		.amdhsa_exception_fp_denorm_src 0
		.amdhsa_exception_fp_ieee_div_zero 0
		.amdhsa_exception_fp_ieee_overflow 0
		.amdhsa_exception_fp_ieee_underflow 0
		.amdhsa_exception_fp_ieee_inexact 0
		.amdhsa_exception_int_div_zero 0
	.end_amdhsa_kernel
	.section	.text._ZN4vllm25paged_attention_v1_kernelIthLi192ELi8ELi128ELNS_18Fp8KVCacheDataTypeE1ELb0EEEvPT_PKS2_PKT0_S8_ifPKiSA_iPKfiiiSC_SC_iiiii,"axG",@progbits,_ZN4vllm25paged_attention_v1_kernelIthLi192ELi8ELi128ELNS_18Fp8KVCacheDataTypeE1ELb0EEEvPT_PKS2_PKT0_S8_ifPKiSA_iPKfiiiSC_SC_iiiii,comdat
.Lfunc_end250:
	.size	_ZN4vllm25paged_attention_v1_kernelIthLi192ELi8ELi128ELNS_18Fp8KVCacheDataTypeE1ELb0EEEvPT_PKS2_PKT0_S8_ifPKiSA_iPKfiiiSC_SC_iiiii, .Lfunc_end250-_ZN4vllm25paged_attention_v1_kernelIthLi192ELi8ELi128ELNS_18Fp8KVCacheDataTypeE1ELb0EEEvPT_PKS2_PKT0_S8_ifPKiSA_iPKfiiiSC_SC_iiiii
                                        ; -- End function
	.set _ZN4vllm25paged_attention_v1_kernelIthLi192ELi8ELi128ELNS_18Fp8KVCacheDataTypeE1ELb0EEEvPT_PKS2_PKT0_S8_ifPKiSA_iPKfiiiSC_SC_iiiii.num_vgpr, 105
	.set _ZN4vllm25paged_attention_v1_kernelIthLi192ELi8ELi128ELNS_18Fp8KVCacheDataTypeE1ELb0EEEvPT_PKS2_PKT0_S8_ifPKiSA_iPKfiiiSC_SC_iiiii.num_agpr, 0
	.set _ZN4vllm25paged_attention_v1_kernelIthLi192ELi8ELi128ELNS_18Fp8KVCacheDataTypeE1ELb0EEEvPT_PKS2_PKT0_S8_ifPKiSA_iPKfiiiSC_SC_iiiii.numbered_sgpr, 32
	.set _ZN4vllm25paged_attention_v1_kernelIthLi192ELi8ELi128ELNS_18Fp8KVCacheDataTypeE1ELb0EEEvPT_PKS2_PKT0_S8_ifPKiSA_iPKfiiiSC_SC_iiiii.num_named_barrier, 0
	.set _ZN4vllm25paged_attention_v1_kernelIthLi192ELi8ELi128ELNS_18Fp8KVCacheDataTypeE1ELb0EEEvPT_PKS2_PKT0_S8_ifPKiSA_iPKfiiiSC_SC_iiiii.private_seg_size, 0
	.set _ZN4vllm25paged_attention_v1_kernelIthLi192ELi8ELi128ELNS_18Fp8KVCacheDataTypeE1ELb0EEEvPT_PKS2_PKT0_S8_ifPKiSA_iPKfiiiSC_SC_iiiii.uses_vcc, 1
	.set _ZN4vllm25paged_attention_v1_kernelIthLi192ELi8ELi128ELNS_18Fp8KVCacheDataTypeE1ELb0EEEvPT_PKS2_PKT0_S8_ifPKiSA_iPKfiiiSC_SC_iiiii.uses_flat_scratch, 0
	.set _ZN4vllm25paged_attention_v1_kernelIthLi192ELi8ELi128ELNS_18Fp8KVCacheDataTypeE1ELb0EEEvPT_PKS2_PKT0_S8_ifPKiSA_iPKfiiiSC_SC_iiiii.has_dyn_sized_stack, 0
	.set _ZN4vllm25paged_attention_v1_kernelIthLi192ELi8ELi128ELNS_18Fp8KVCacheDataTypeE1ELb0EEEvPT_PKS2_PKT0_S8_ifPKiSA_iPKfiiiSC_SC_iiiii.has_recursion, 0
	.set _ZN4vllm25paged_attention_v1_kernelIthLi192ELi8ELi128ELNS_18Fp8KVCacheDataTypeE1ELb0EEEvPT_PKS2_PKT0_S8_ifPKiSA_iPKfiiiSC_SC_iiiii.has_indirect_call, 0
	.section	.AMDGPU.csdata,"",@progbits
; Kernel info:
; codeLenInByte = 30896
; TotalNumSgprs: 34
; NumVgprs: 105
; ScratchSize: 0
; MemoryBound: 0
; FloatMode: 240
; IeeeMode: 1
; LDSByteSize: 416 bytes/workgroup (compile time only)
; SGPRBlocks: 0
; VGPRBlocks: 6
; NumSGPRsForWavesPerEU: 34
; NumVGPRsForWavesPerEU: 105
; NamedBarCnt: 0
; Occupancy: 9
; WaveLimiterHint : 1
; COMPUTE_PGM_RSRC2:SCRATCH_EN: 0
; COMPUTE_PGM_RSRC2:USER_SGPR: 2
; COMPUTE_PGM_RSRC2:TRAP_HANDLER: 0
; COMPUTE_PGM_RSRC2:TGID_X_EN: 1
; COMPUTE_PGM_RSRC2:TGID_Y_EN: 1
; COMPUTE_PGM_RSRC2:TGID_Z_EN: 1
; COMPUTE_PGM_RSRC2:TIDIG_COMP_CNT: 0
	.section	.text._ZN4vllm25paged_attention_v1_kernelIthLi256ELi8ELi128ELNS_18Fp8KVCacheDataTypeE1ELb0EEEvPT_PKS2_PKT0_S8_ifPKiSA_iPKfiiiSC_SC_iiiii,"axG",@progbits,_ZN4vllm25paged_attention_v1_kernelIthLi256ELi8ELi128ELNS_18Fp8KVCacheDataTypeE1ELb0EEEvPT_PKS2_PKT0_S8_ifPKiSA_iPKfiiiSC_SC_iiiii,comdat
	.protected	_ZN4vllm25paged_attention_v1_kernelIthLi256ELi8ELi128ELNS_18Fp8KVCacheDataTypeE1ELb0EEEvPT_PKS2_PKT0_S8_ifPKiSA_iPKfiiiSC_SC_iiiii ; -- Begin function _ZN4vllm25paged_attention_v1_kernelIthLi256ELi8ELi128ELNS_18Fp8KVCacheDataTypeE1ELb0EEEvPT_PKS2_PKT0_S8_ifPKiSA_iPKfiiiSC_SC_iiiii
	.globl	_ZN4vllm25paged_attention_v1_kernelIthLi256ELi8ELi128ELNS_18Fp8KVCacheDataTypeE1ELb0EEEvPT_PKS2_PKT0_S8_ifPKiSA_iPKfiiiSC_SC_iiiii
	.p2align	8
	.type	_ZN4vllm25paged_attention_v1_kernelIthLi256ELi8ELi128ELNS_18Fp8KVCacheDataTypeE1ELb0EEEvPT_PKS2_PKT0_S8_ifPKiSA_iPKfiiiSC_SC_iiiii,@function
_ZN4vllm25paged_attention_v1_kernelIthLi256ELi8ELi128ELNS_18Fp8KVCacheDataTypeE1ELb0EEEvPT_PKS2_PKT0_S8_ifPKiSA_iPKfiiiSC_SC_iiiii: ; @_ZN4vllm25paged_attention_v1_kernelIthLi256ELi8ELi128ELNS_18Fp8KVCacheDataTypeE1ELb0EEEvPT_PKS2_PKT0_S8_ifPKiSA_iPKfiiiSC_SC_iiiii
; %bb.0:
	s_load_b64 s[6:7], s[0:1], 0x20
	s_bfe_u32 s3, ttmp6, 0x4000c
	s_bfe_u32 s5, ttmp6, 0x40010
	s_and_b32 s4, ttmp7, 0xffff
	s_add_co_i32 s3, s3, 1
	s_add_co_i32 s5, s5, 1
	s_and_b32 s2, ttmp6, 15
	s_bfe_u32 s8, ttmp6, 0x40004
	s_mul_i32 s3, ttmp9, s3
	s_mul_i32 s5, s4, s5
	s_getreg_b32 s20, hwreg(HW_REG_IB_STS2, 6, 4)
	s_add_co_i32 s2, s2, s3
	s_add_co_i32 s8, s8, s5
	s_cmp_eq_u32 s20, 0
	s_clause 0x1
	s_load_b32 s21, s[0:1], 0x80
	s_load_b64 s[10:11], s[0:1], 0x30
	s_cselect_b32 s22, s4, s8
	s_cselect_b32 s2, ttmp9, s2
	s_wait_kmcnt 0x0
	s_abs_i32 s3, s6
	s_delay_alu instid0(SALU_CYCLE_1) | instskip(SKIP_1) | instid1(SALU_CYCLE_2)
	s_cvt_f32_u32 s4, s3
	s_sub_co_i32 s5, 0, s3
	v_rcp_iflag_f32_e32 v1, s4
	s_abs_i32 s8, s21
	v_nop
	s_delay_alu instid0(TRANS32_DEP_1) | instskip(SKIP_1) | instid1(SALU_CYCLE_3)
	v_readfirstlane_b32 s4, v1
	s_mul_f32 s4, s4, 0x4f7ffffe
	s_cvt_u32_f32 s4, s4
	s_delay_alu instid0(SALU_CYCLE_3) | instskip(NEXT) | instid1(SALU_CYCLE_1)
	s_mul_i32 s5, s5, s4
	s_mul_hi_u32 s5, s4, s5
	s_delay_alu instid0(SALU_CYCLE_1) | instskip(SKIP_4) | instid1(SALU_CYCLE_1)
	s_add_co_i32 s4, s4, s5
	s_xor_b32 s5, s21, s6
	s_mul_hi_u32 s4, s8, s4
	s_ashr_i32 s5, s5, 31
	s_mul_i32 s6, s4, s3
	s_sub_co_i32 s6, s8, s6
	s_add_co_i32 s8, s4, 1
	s_sub_co_i32 s9, s6, s3
	s_cmp_ge_u32 s6, s3
	s_cselect_b32 s4, s8, s4
	s_cselect_b32 s6, s9, s6
	s_add_co_i32 s8, s4, 1
	s_cmp_ge_u32 s6, s3
	s_mov_b32 s9, 0
	s_cselect_b32 s3, s8, s4
	s_abs_i32 s8, s2
	s_xor_b32 s3, s3, s5
	s_mov_b32 s13, s9
	s_sub_co_i32 s15, s3, s5
	s_load_b64 s[4:5], s[0:1], 0x40
	s_abs_i32 s14, s15
	s_mov_b32 s25, s9
	s_cvt_f32_u32 s3, s14
	s_sub_co_i32 s6, 0, s14
	s_delay_alu instid0(SALU_CYCLE_2) | instskip(SKIP_1) | instid1(TRANS32_DEP_1)
	v_rcp_iflag_f32_e32 v1, s3
	v_nop
	v_readfirstlane_b32 s3, v1
	s_mul_f32 s3, s3, 0x4f7ffffe
	s_delay_alu instid0(SALU_CYCLE_3) | instskip(NEXT) | instid1(SALU_CYCLE_3)
	s_cvt_u32_f32 s3, s3
	s_mul_i32 s6, s6, s3
	s_delay_alu instid0(SALU_CYCLE_1) | instskip(NEXT) | instid1(SALU_CYCLE_1)
	s_mul_hi_u32 s6, s3, s6
	s_add_co_i32 s12, s3, s6
	s_wait_kmcnt 0x0
	s_cmp_eq_u64 s[4:5], 0
	s_cbranch_scc1 .LBB251_2
; %bb.1:
	s_ashr_i32 s3, s2, 31
	s_delay_alu instid0(SALU_CYCLE_1) | instskip(NEXT) | instid1(SALU_CYCLE_1)
	s_lshl_b64 s[16:17], s[2:3], 2
	s_add_nc_u64 s[4:5], s[4:5], s[16:17]
	s_load_b32 s25, s[4:5], 0x0
.LBB251_2:
	s_load_b32 s23, s[10:11], s22 offset:0x0 scale_offset
	s_wait_xcnt 0x0
	s_load_b96 s[4:6], s[0:1], 0x48
	v_and_b32_e32 v4, 3, v0
	s_ashr_i32 s3, s2, 31
	s_ashr_i32 s15, s15, 31
	s_mul_u64 s[10:11], s[8:9], s[12:13]
	s_lshl_b32 s12, s2, 8
	s_mov_b32 s2, exec_lo
	v_cmpx_gt_u32_e32 0x80, v0
	s_cbranch_execz .LBB251_4
; %bb.3:
	s_load_b64 s[16:17], s[0:1], 0x8
	s_wait_kmcnt 0x0
	s_mul_i32 s18, s4, s22
	s_ashr_i32 s13, s12, 31
	s_ashr_i32 s19, s18, 31
	v_and_b32_e32 v2, 0x3fc, v0
	s_lshl_b64 s[18:19], s[18:19], 1
	s_delay_alu instid0(VALU_DEP_1) | instskip(SKIP_2) | instid1(SALU_CYCLE_1)
	v_lshl_add_u32 v2, v4, 7, v2
	s_add_nc_u64 s[16:17], s[16:17], s[18:19]
	s_lshl_b64 s[18:19], s[12:13], 1
	s_add_nc_u64 s[16:17], s[16:17], s[18:19]
	global_load_b32 v1, v0, s[16:17] scale_offset
	s_wait_loadcnt 0x0
	ds_store_b32 v2, v1
.LBB251_4:
	s_or_b32 exec_lo, exec_lo, s2
	s_wait_kmcnt 0x0
	s_add_co_i32 s2, s23, 7
	s_load_b32 s4, s[0:1], 0x38
	s_ashr_i32 s9, s2, 31
	s_mul_i32 s10, s11, s14
	s_lshr_b32 s9, s9, 29
	s_sub_co_i32 s8, s8, s10
	s_add_co_i32 s2, s2, s9
	s_xor_b32 s3, s3, s15
	s_ashr_i32 s24, s2, 3
	s_add_co_i32 s2, s11, 1
	s_sub_co_i32 s9, s8, s14
	s_cmp_ge_u32 s8, s14
	v_lshrrev_b32_e32 v28, 5, v0
	s_cselect_b32 s2, s2, s11
	s_cselect_b32 s8, s9, s8
	s_add_co_i32 s9, s2, 1
	s_cmp_ge_u32 s8, s14
	v_mbcnt_lo_u32_b32 v10, -1, 0
	s_cselect_b32 s2, s9, s2
	s_wait_dscnt 0x0
	s_xor_b32 s2, s2, s3
	s_wait_kmcnt 0x0
	s_mul_i32 s14, s4, s22
	s_sub_co_i32 s3, s2, s3
	v_cmp_gt_i32_e64 s2, s24, v28
	s_ashr_i32 s15, s14, 31
	s_mov_b32 s4, exec_lo
	s_barrier_signal -1
	s_barrier_wait -1
                                        ; implicit-def: $vgpr3
                                        ; implicit-def: $vgpr11
	v_cmpx_le_i32_e64 s24, v28
	s_xor_b32 s4, exec_lo, s4
; %bb.5:
	v_dual_mov_b32 v3, 0 :: v_dual_mov_b32 v11, 32
	v_mbcnt_lo_u32_b32 v10, -1, 0
                                        ; implicit-def: $vgpr4
; %bb.6:
	s_or_saveexec_b32 s26, s4
	s_clause 0x2
	s_load_b32 s13, s[0:1], 0x88
	s_load_b64 s[16:17], s[0:1], 0x28
	s_load_b128 s[8:11], s[0:1], 0x58
	v_dual_mov_b32 v12, 0xff7fffff :: v_dual_lshrrev_b32 v1, 3, v0
	s_mul_i32 s18, s3, s6
	s_xor_b32 exec_lo, exec_lo, s26
	s_cbranch_execz .LBB251_524
; %bb.7:
	s_load_b64 s[28:29], s[0:1], 0x10
	v_bfe_u32 v8, v0, 2, 3
	v_mov_b32_e32 v3, 0
	s_ashr_i32 s19, s18, 31
	s_cmp_neq_f32 s25, 0
	v_cmp_eq_u32_e32 vcc_lo, 0, v4
	v_dual_lshlrev_b32 v2, 4, v8 :: v_dual_lshlrev_b32 v5, 2, v8
	v_mov_b32_e32 v12, 0xff7fffff
	s_cselect_b32 s3, -1, 0
	v_lshl_or_b32 v14, v28, 3, v8
	v_mov_b32_e32 v11, 32
	v_lshl_or_b32 v9, v28, 5, v5
	s_mov_b32 s6, 0
	s_sub_co_i32 s27, 1, s23
	v_dual_mov_b32 v16, v28 :: v_dual_lshlrev_b32 v13, 7, v4
	s_delay_alu instid0(VALU_DEP_2)
	v_add_nc_u32_e32 v15, 0x220, v9
	s_wait_kmcnt 0x0
	s_add_nc_u64 s[28:29], s[28:29], s[18:19]
	s_mov_b32 s19, s5
	v_add_nc_u64_e32 v[6:7], s[28:29], v[2:3]
	v_lshlrev_b32_e32 v2, 1, v4
	s_lshl_b64 s[28:29], s[14:15], 2
	s_delay_alu instid0(SALU_CYCLE_1) | instskip(NEXT) | instid1(VALU_DEP_1)
	s_add_nc_u64 s[28:29], s[16:17], s[28:29]
	v_add_nc_u64_e32 v[4:5], v[6:7], v[2:3]
	v_and_b32_e32 v2, 0x7c, v1
	s_delay_alu instid0(VALU_DEP_1)
	v_add_nc_u64_e32 v[6:7], s[28:29], v[2:3]
	s_branch .LBB251_9
.LBB251_8:                              ;   in Loop: Header=BB251_9 Depth=1
	s_or_b32 exec_lo, exec_lo, s28
	v_dual_add_nc_u32 v16, 4, v16 :: v_dual_add_nc_u32 v14, 32, v14
	v_add_nc_u64_e32 v[6:7], 16, v[6:7]
	v_add_nc_u32_e32 v15, 0x80, v15
	s_delay_alu instid0(VALU_DEP_3) | instskip(SKIP_1) | instid1(SALU_CYCLE_1)
	v_cmp_le_i32_e64 s4, s24, v16
	s_or_b32 s6, s4, s6
	s_and_not1_b32 exec_lo, exec_lo, s6
	s_cbranch_execz .LBB251_523
.LBB251_9:                              ; =>This Inner Loop Header: Depth=1
	global_load_b32 v2, v[6:7], off
	v_mov_b32_e32 v18, 0
	s_wait_loadcnt_dscnt 0x0
	v_mad_nc_i64_i32 v[8:9], v2, s19, v[4:5]
	global_load_u16 v2, v[8:9], off
	s_wait_loadcnt 0x0
	v_and_b32_e32 v19, 0xff, v2
	v_and_b32_e32 v2, 0xffff, v2
	s_delay_alu instid0(VALU_DEP_2)
	v_cmp_ne_u16_e64 s4, 0, v19
	v_mov_b32_e32 v19, 0
	global_load_b32 v17, v18, s[8:9]
	s_wait_xcnt 0x0
	s_and_saveexec_b32 s28, s4
	s_cbranch_execz .LBB251_17
; %bb.10:                               ;   in Loop: Header=BB251_9 Depth=1
	v_and_b32_e32 v19, 0xff, v2
	s_delay_alu instid0(VALU_DEP_1)
	v_cmp_ne_u16_e64 s4, 0x80, v19
	v_mov_b32_e32 v19, 0x8000
	s_and_saveexec_b32 s29, s4
	s_cbranch_execz .LBB251_16
; %bb.11:                               ;   in Loop: Header=BB251_9 Depth=1
	v_and_b32_e32 v21, 0x7f, v2
	v_mov_b32_e32 v19, 0x7c01
	s_mov_b32 s30, exec_lo
	s_delay_alu instid0(VALU_DEP_2)
	v_cmpx_ne_u32_e32 0x7f, v21
	s_cbranch_execz .LBB251_15
; %bb.12:                               ;   in Loop: Header=BB251_9 Depth=1
	v_dual_lshrrev_b32 v20, 3, v21 :: v_dual_bitop2_b32 v19, 7, v2 bitop3:0x40
	s_mov_b32 s31, exec_lo
	v_cmpx_gt_u32_e32 8, v21
; %bb.13:                               ;   in Loop: Header=BB251_9 Depth=1
	s_delay_alu instid0(VALU_DEP_2) | instskip(NEXT) | instid1(VALU_DEP_1)
	v_clz_i32_u32_e32 v19, v19
	v_min_u32_e32 v19, 32, v19
	s_delay_alu instid0(VALU_DEP_1) | instskip(NEXT) | instid1(VALU_DEP_1)
	v_subrev_nc_u32_e32 v20, 28, v19
	v_lshlrev_b64_e32 v[22:23], v20, v[2:3]
	s_delay_alu instid0(VALU_DEP_1)
	v_dual_sub_nc_u32 v20, 29, v19 :: v_dual_bitop2_b32 v19, 7, v22 bitop3:0x40
; %bb.14:                               ;   in Loop: Header=BB251_9 Depth=1
	s_or_b32 exec_lo, exec_lo, s31
	s_delay_alu instid0(VALU_DEP_1) | instskip(NEXT) | instid1(VALU_DEP_2)
	v_dual_lshlrev_b32 v21, 8, v2 :: v_dual_lshlrev_b32 v19, 7, v19
	v_lshl_add_u32 v20, v20, 10, 0x2000
	s_delay_alu instid0(VALU_DEP_2) | instskip(NEXT) | instid1(VALU_DEP_2)
	v_and_b32_e32 v21, 0x8000, v21
	v_and_b32_e32 v20, 0xfc00, v20
	s_delay_alu instid0(VALU_DEP_1)
	v_or3_b32 v19, v21, v20, v19
.LBB251_15:                             ;   in Loop: Header=BB251_9 Depth=1
	s_or_b32 exec_lo, exec_lo, s30
.LBB251_16:                             ;   in Loop: Header=BB251_9 Depth=1
	s_delay_alu instid0(SALU_CYCLE_1)
	s_or_b32 exec_lo, exec_lo, s29
.LBB251_17:                             ;   in Loop: Header=BB251_9 Depth=1
	s_delay_alu instid0(SALU_CYCLE_1) | instskip(SKIP_2) | instid1(VALU_DEP_1)
	s_or_b32 exec_lo, exec_lo, s28
	v_lshrrev_b16 v2, 8, v2
	s_mov_b32 s28, exec_lo
	v_cmpx_ne_u16_e32 0, v2
	s_cbranch_execz .LBB251_25
; %bb.18:                               ;   in Loop: Header=BB251_9 Depth=1
	v_bfrev_b32_e32 v18, 1
	s_mov_b32 s29, exec_lo
	v_cmpx_ne_u16_e32 0x80, v2
	s_cbranch_execz .LBB251_24
; %bb.19:                               ;   in Loop: Header=BB251_9 Depth=1
	v_and_b32_e32 v20, 0xffff, v2
	v_mov_b32_e32 v18, 0x7c010000
	s_mov_b32 s30, exec_lo
	s_delay_alu instid0(VALU_DEP_2) | instskip(NEXT) | instid1(VALU_DEP_1)
	v_and_b32_e32 v22, 0x7f, v20
	v_cmpx_ne_u32_e32 0x7f, v22
	s_cbranch_execz .LBB251_23
; %bb.20:                               ;   in Loop: Header=BB251_9 Depth=1
	v_dual_lshrrev_b32 v21, 3, v22 :: v_dual_bitop2_b32 v18, 7, v20 bitop3:0x40
	s_mov_b32 s31, exec_lo
	v_cmpx_gt_u32_e32 8, v22
; %bb.21:                               ;   in Loop: Header=BB251_9 Depth=1
	s_delay_alu instid0(VALU_DEP_2) | instskip(NEXT) | instid1(VALU_DEP_1)
	v_clz_i32_u32_e32 v18, v18
	v_min_u32_e32 v18, 32, v18
	s_delay_alu instid0(VALU_DEP_1) | instskip(NEXT) | instid1(VALU_DEP_1)
	v_subrev_nc_u32_e32 v21, 28, v18
	v_lshlrev_b64_e32 v[22:23], v21, v[2:3]
	v_sub_nc_u32_e32 v21, 29, v18
	s_delay_alu instid0(VALU_DEP_2)
	v_and_b32_e32 v18, 7, v22
; %bb.22:                               ;   in Loop: Header=BB251_9 Depth=1
	s_or_b32 exec_lo, exec_lo, s31
	s_delay_alu instid0(VALU_DEP_1) | instskip(NEXT) | instid1(VALU_DEP_3)
	v_dual_lshlrev_b32 v2, 8, v20 :: v_dual_lshlrev_b32 v18, 23, v18
	v_lshl_add_u32 v20, v21, 10, 0x2000
	s_delay_alu instid0(VALU_DEP_1) | instskip(NEXT) | instid1(VALU_DEP_1)
	v_and_or_b32 v2, 0x8000, v2, v20
	v_lshl_or_b32 v18, v2, 16, v18
.LBB251_23:                             ;   in Loop: Header=BB251_9 Depth=1
	s_or_b32 exec_lo, exec_lo, s30
.LBB251_24:                             ;   in Loop: Header=BB251_9 Depth=1
	s_delay_alu instid0(SALU_CYCLE_1)
	s_or_b32 exec_lo, exec_lo, s29
.LBB251_25:                             ;   in Loop: Header=BB251_9 Depth=1
	s_delay_alu instid0(SALU_CYCLE_1)
	s_or_b32 exec_lo, exec_lo, s28
	global_load_u16 v2, v[8:9], off offset:8
	v_mov_b32_e32 v20, 0
	s_wait_loadcnt 0x0
	v_and_b32_e32 v21, 0xff, v2
	v_and_b32_e32 v2, 0xffff, v2
	s_delay_alu instid0(VALU_DEP_2)
	v_cmp_ne_u16_e64 s4, 0, v21
	v_mov_b32_e32 v21, 0
	s_and_saveexec_b32 s28, s4
	s_cbranch_execz .LBB251_33
; %bb.26:                               ;   in Loop: Header=BB251_9 Depth=1
	v_and_b32_e32 v21, 0xff, v2
	s_delay_alu instid0(VALU_DEP_1)
	v_cmp_ne_u16_e64 s4, 0x80, v21
	v_mov_b32_e32 v21, 0x8000
	s_and_saveexec_b32 s29, s4
	s_cbranch_execz .LBB251_32
; %bb.27:                               ;   in Loop: Header=BB251_9 Depth=1
	v_and_b32_e32 v23, 0x7f, v2
	v_mov_b32_e32 v21, 0x7c01
	s_mov_b32 s30, exec_lo
	s_delay_alu instid0(VALU_DEP_2)
	v_cmpx_ne_u32_e32 0x7f, v23
	s_cbranch_execz .LBB251_31
; %bb.28:                               ;   in Loop: Header=BB251_9 Depth=1
	v_dual_lshrrev_b32 v22, 3, v23 :: v_dual_bitop2_b32 v21, 7, v2 bitop3:0x40
	s_mov_b32 s31, exec_lo
	v_cmpx_gt_u32_e32 8, v23
; %bb.29:                               ;   in Loop: Header=BB251_9 Depth=1
	s_delay_alu instid0(VALU_DEP_2) | instskip(NEXT) | instid1(VALU_DEP_1)
	v_clz_i32_u32_e32 v21, v21
	v_min_u32_e32 v21, 32, v21
	s_delay_alu instid0(VALU_DEP_1) | instskip(NEXT) | instid1(VALU_DEP_1)
	v_subrev_nc_u32_e32 v22, 28, v21
	v_lshlrev_b64_e32 v[24:25], v22, v[2:3]
	s_delay_alu instid0(VALU_DEP_1)
	v_dual_sub_nc_u32 v22, 29, v21 :: v_dual_bitop2_b32 v21, 7, v24 bitop3:0x40
; %bb.30:                               ;   in Loop: Header=BB251_9 Depth=1
	s_or_b32 exec_lo, exec_lo, s31
	s_delay_alu instid0(VALU_DEP_1) | instskip(NEXT) | instid1(VALU_DEP_2)
	v_dual_lshlrev_b32 v23, 8, v2 :: v_dual_lshlrev_b32 v21, 7, v21
	v_lshl_add_u32 v22, v22, 10, 0x2000
	s_delay_alu instid0(VALU_DEP_2) | instskip(NEXT) | instid1(VALU_DEP_2)
	v_and_b32_e32 v23, 0x8000, v23
	v_and_b32_e32 v22, 0xfc00, v22
	s_delay_alu instid0(VALU_DEP_1)
	v_or3_b32 v21, v23, v22, v21
.LBB251_31:                             ;   in Loop: Header=BB251_9 Depth=1
	s_or_b32 exec_lo, exec_lo, s30
.LBB251_32:                             ;   in Loop: Header=BB251_9 Depth=1
	s_delay_alu instid0(SALU_CYCLE_1)
	s_or_b32 exec_lo, exec_lo, s29
.LBB251_33:                             ;   in Loop: Header=BB251_9 Depth=1
	s_delay_alu instid0(SALU_CYCLE_1) | instskip(SKIP_2) | instid1(VALU_DEP_1)
	s_or_b32 exec_lo, exec_lo, s28
	v_lshrrev_b16 v2, 8, v2
	s_mov_b32 s28, exec_lo
	v_cmpx_ne_u16_e32 0, v2
	s_cbranch_execz .LBB251_41
; %bb.34:                               ;   in Loop: Header=BB251_9 Depth=1
	v_bfrev_b32_e32 v20, 1
	s_mov_b32 s29, exec_lo
	v_cmpx_ne_u16_e32 0x80, v2
	s_cbranch_execz .LBB251_40
; %bb.35:                               ;   in Loop: Header=BB251_9 Depth=1
	v_and_b32_e32 v22, 0xffff, v2
	v_mov_b32_e32 v20, 0x7c010000
	s_mov_b32 s30, exec_lo
	s_delay_alu instid0(VALU_DEP_2) | instskip(NEXT) | instid1(VALU_DEP_1)
	v_and_b32_e32 v24, 0x7f, v22
	v_cmpx_ne_u32_e32 0x7f, v24
	s_cbranch_execz .LBB251_39
; %bb.36:                               ;   in Loop: Header=BB251_9 Depth=1
	v_dual_lshrrev_b32 v23, 3, v24 :: v_dual_bitop2_b32 v20, 7, v22 bitop3:0x40
	s_mov_b32 s31, exec_lo
	v_cmpx_gt_u32_e32 8, v24
; %bb.37:                               ;   in Loop: Header=BB251_9 Depth=1
	s_delay_alu instid0(VALU_DEP_2) | instskip(NEXT) | instid1(VALU_DEP_1)
	v_clz_i32_u32_e32 v20, v20
	v_min_u32_e32 v20, 32, v20
	s_delay_alu instid0(VALU_DEP_1) | instskip(NEXT) | instid1(VALU_DEP_1)
	v_subrev_nc_u32_e32 v23, 28, v20
	v_lshlrev_b64_e32 v[24:25], v23, v[2:3]
	v_sub_nc_u32_e32 v23, 29, v20
	s_delay_alu instid0(VALU_DEP_2)
	v_and_b32_e32 v20, 7, v24
; %bb.38:                               ;   in Loop: Header=BB251_9 Depth=1
	s_or_b32 exec_lo, exec_lo, s31
	s_delay_alu instid0(VALU_DEP_1) | instskip(NEXT) | instid1(VALU_DEP_3)
	v_dual_lshlrev_b32 v2, 8, v22 :: v_dual_lshlrev_b32 v20, 23, v20
	v_lshl_add_u32 v22, v23, 10, 0x2000
	s_delay_alu instid0(VALU_DEP_1) | instskip(NEXT) | instid1(VALU_DEP_1)
	v_and_or_b32 v2, 0x8000, v2, v22
	v_lshl_or_b32 v20, v2, 16, v20
.LBB251_39:                             ;   in Loop: Header=BB251_9 Depth=1
	s_or_b32 exec_lo, exec_lo, s30
.LBB251_40:                             ;   in Loop: Header=BB251_9 Depth=1
	s_delay_alu instid0(SALU_CYCLE_1)
	s_or_b32 exec_lo, exec_lo, s29
.LBB251_41:                             ;   in Loop: Header=BB251_9 Depth=1
	s_delay_alu instid0(SALU_CYCLE_1)
	s_or_b32 exec_lo, exec_lo, s28
	global_load_u16 v2, v[8:9], off offset:128
	v_mov_b32_e32 v22, 0
	s_wait_loadcnt 0x0
	v_and_b32_e32 v23, 0xff, v2
	v_and_b32_e32 v2, 0xffff, v2
	s_delay_alu instid0(VALU_DEP_2)
	v_cmp_ne_u16_e64 s4, 0, v23
	v_mov_b32_e32 v23, 0
	s_and_saveexec_b32 s28, s4
	s_cbranch_execz .LBB251_49
; %bb.42:                               ;   in Loop: Header=BB251_9 Depth=1
	v_and_b32_e32 v23, 0xff, v2
	s_delay_alu instid0(VALU_DEP_1)
	v_cmp_ne_u16_e64 s4, 0x80, v23
	v_mov_b32_e32 v23, 0x8000
	s_and_saveexec_b32 s29, s4
	s_cbranch_execz .LBB251_48
; %bb.43:                               ;   in Loop: Header=BB251_9 Depth=1
	v_and_b32_e32 v25, 0x7f, v2
	v_mov_b32_e32 v23, 0x7c01
	s_mov_b32 s30, exec_lo
	s_delay_alu instid0(VALU_DEP_2)
	v_cmpx_ne_u32_e32 0x7f, v25
	s_cbranch_execz .LBB251_47
; %bb.44:                               ;   in Loop: Header=BB251_9 Depth=1
	v_dual_lshrrev_b32 v24, 3, v25 :: v_dual_bitop2_b32 v23, 7, v2 bitop3:0x40
	s_mov_b32 s31, exec_lo
	v_cmpx_gt_u32_e32 8, v25
; %bb.45:                               ;   in Loop: Header=BB251_9 Depth=1
	s_delay_alu instid0(VALU_DEP_2) | instskip(NEXT) | instid1(VALU_DEP_1)
	v_clz_i32_u32_e32 v23, v23
	v_min_u32_e32 v23, 32, v23
	s_delay_alu instid0(VALU_DEP_1) | instskip(NEXT) | instid1(VALU_DEP_1)
	v_subrev_nc_u32_e32 v24, 28, v23
	v_lshlrev_b64_e32 v[26:27], v24, v[2:3]
	s_delay_alu instid0(VALU_DEP_1)
	v_dual_sub_nc_u32 v24, 29, v23 :: v_dual_bitop2_b32 v23, 7, v26 bitop3:0x40
; %bb.46:                               ;   in Loop: Header=BB251_9 Depth=1
	s_or_b32 exec_lo, exec_lo, s31
	s_delay_alu instid0(VALU_DEP_1) | instskip(NEXT) | instid1(VALU_DEP_2)
	v_dual_lshlrev_b32 v25, 8, v2 :: v_dual_lshlrev_b32 v23, 7, v23
	v_lshl_add_u32 v24, v24, 10, 0x2000
	s_delay_alu instid0(VALU_DEP_2) | instskip(NEXT) | instid1(VALU_DEP_2)
	v_and_b32_e32 v25, 0x8000, v25
	v_and_b32_e32 v24, 0xfc00, v24
	s_delay_alu instid0(VALU_DEP_1)
	v_or3_b32 v23, v25, v24, v23
.LBB251_47:                             ;   in Loop: Header=BB251_9 Depth=1
	s_or_b32 exec_lo, exec_lo, s30
.LBB251_48:                             ;   in Loop: Header=BB251_9 Depth=1
	s_delay_alu instid0(SALU_CYCLE_1)
	s_or_b32 exec_lo, exec_lo, s29
.LBB251_49:                             ;   in Loop: Header=BB251_9 Depth=1
	s_delay_alu instid0(SALU_CYCLE_1) | instskip(SKIP_2) | instid1(VALU_DEP_1)
	s_or_b32 exec_lo, exec_lo, s28
	v_lshrrev_b16 v2, 8, v2
	s_mov_b32 s28, exec_lo
	v_cmpx_ne_u16_e32 0, v2
	s_cbranch_execz .LBB251_57
; %bb.50:                               ;   in Loop: Header=BB251_9 Depth=1
	v_bfrev_b32_e32 v22, 1
	s_mov_b32 s29, exec_lo
	v_cmpx_ne_u16_e32 0x80, v2
	s_cbranch_execz .LBB251_56
; %bb.51:                               ;   in Loop: Header=BB251_9 Depth=1
	v_and_b32_e32 v24, 0xffff, v2
	v_mov_b32_e32 v22, 0x7c010000
	s_mov_b32 s30, exec_lo
	s_delay_alu instid0(VALU_DEP_2) | instskip(NEXT) | instid1(VALU_DEP_1)
	v_and_b32_e32 v26, 0x7f, v24
	v_cmpx_ne_u32_e32 0x7f, v26
	s_cbranch_execz .LBB251_55
; %bb.52:                               ;   in Loop: Header=BB251_9 Depth=1
	v_dual_lshrrev_b32 v25, 3, v26 :: v_dual_bitop2_b32 v22, 7, v24 bitop3:0x40
	s_mov_b32 s31, exec_lo
	v_cmpx_gt_u32_e32 8, v26
; %bb.53:                               ;   in Loop: Header=BB251_9 Depth=1
	s_delay_alu instid0(VALU_DEP_2) | instskip(NEXT) | instid1(VALU_DEP_1)
	v_clz_i32_u32_e32 v22, v22
	v_min_u32_e32 v22, 32, v22
	s_delay_alu instid0(VALU_DEP_1) | instskip(NEXT) | instid1(VALU_DEP_1)
	v_subrev_nc_u32_e32 v25, 28, v22
	v_lshlrev_b64_e32 v[26:27], v25, v[2:3]
	v_sub_nc_u32_e32 v25, 29, v22
	s_delay_alu instid0(VALU_DEP_2)
	v_and_b32_e32 v22, 7, v26
; %bb.54:                               ;   in Loop: Header=BB251_9 Depth=1
	s_or_b32 exec_lo, exec_lo, s31
	s_delay_alu instid0(VALU_DEP_1) | instskip(NEXT) | instid1(VALU_DEP_3)
	v_dual_lshlrev_b32 v2, 8, v24 :: v_dual_lshlrev_b32 v22, 23, v22
	v_lshl_add_u32 v24, v25, 10, 0x2000
	s_delay_alu instid0(VALU_DEP_1) | instskip(NEXT) | instid1(VALU_DEP_1)
	v_and_or_b32 v2, 0x8000, v2, v24
	v_lshl_or_b32 v22, v2, 16, v22
.LBB251_55:                             ;   in Loop: Header=BB251_9 Depth=1
	s_or_b32 exec_lo, exec_lo, s30
.LBB251_56:                             ;   in Loop: Header=BB251_9 Depth=1
	s_delay_alu instid0(SALU_CYCLE_1)
	s_or_b32 exec_lo, exec_lo, s29
.LBB251_57:                             ;   in Loop: Header=BB251_9 Depth=1
	s_delay_alu instid0(SALU_CYCLE_1)
	s_or_b32 exec_lo, exec_lo, s28
	global_load_u16 v2, v[8:9], off offset:136
	v_mov_b32_e32 v24, 0
	s_wait_loadcnt 0x0
	v_and_b32_e32 v25, 0xff, v2
	v_and_b32_e32 v2, 0xffff, v2
	s_delay_alu instid0(VALU_DEP_2)
	v_cmp_ne_u16_e64 s4, 0, v25
	v_mov_b32_e32 v25, 0
	s_and_saveexec_b32 s28, s4
	s_cbranch_execz .LBB251_65
; %bb.58:                               ;   in Loop: Header=BB251_9 Depth=1
	v_and_b32_e32 v25, 0xff, v2
	s_delay_alu instid0(VALU_DEP_1)
	v_cmp_ne_u16_e64 s4, 0x80, v25
	v_mov_b32_e32 v25, 0x8000
	s_and_saveexec_b32 s29, s4
	s_cbranch_execz .LBB251_64
; %bb.59:                               ;   in Loop: Header=BB251_9 Depth=1
	v_and_b32_e32 v27, 0x7f, v2
	v_mov_b32_e32 v25, 0x7c01
	s_mov_b32 s30, exec_lo
	s_delay_alu instid0(VALU_DEP_2)
	v_cmpx_ne_u32_e32 0x7f, v27
	s_cbranch_execz .LBB251_63
; %bb.60:                               ;   in Loop: Header=BB251_9 Depth=1
	v_dual_lshrrev_b32 v26, 3, v27 :: v_dual_bitop2_b32 v25, 7, v2 bitop3:0x40
	s_mov_b32 s31, exec_lo
	v_cmpx_gt_u32_e32 8, v27
; %bb.61:                               ;   in Loop: Header=BB251_9 Depth=1
	s_delay_alu instid0(VALU_DEP_2) | instskip(NEXT) | instid1(VALU_DEP_1)
	v_clz_i32_u32_e32 v25, v25
	v_min_u32_e32 v25, 32, v25
	s_delay_alu instid0(VALU_DEP_1) | instskip(NEXT) | instid1(VALU_DEP_1)
	v_subrev_nc_u32_e32 v26, 28, v25
	v_lshlrev_b64_e32 v[30:31], v26, v[2:3]
	s_delay_alu instid0(VALU_DEP_1)
	v_dual_sub_nc_u32 v26, 29, v25 :: v_dual_bitop2_b32 v25, 7, v30 bitop3:0x40
; %bb.62:                               ;   in Loop: Header=BB251_9 Depth=1
	s_or_b32 exec_lo, exec_lo, s31
	s_delay_alu instid0(VALU_DEP_1) | instskip(NEXT) | instid1(VALU_DEP_2)
	v_dual_lshlrev_b32 v27, 8, v2 :: v_dual_lshlrev_b32 v25, 7, v25
	v_lshl_add_u32 v26, v26, 10, 0x2000
	s_delay_alu instid0(VALU_DEP_2) | instskip(NEXT) | instid1(VALU_DEP_2)
	v_and_b32_e32 v27, 0x8000, v27
	v_and_b32_e32 v26, 0xfc00, v26
	s_delay_alu instid0(VALU_DEP_1)
	v_or3_b32 v25, v27, v26, v25
.LBB251_63:                             ;   in Loop: Header=BB251_9 Depth=1
	s_or_b32 exec_lo, exec_lo, s30
.LBB251_64:                             ;   in Loop: Header=BB251_9 Depth=1
	s_delay_alu instid0(SALU_CYCLE_1)
	s_or_b32 exec_lo, exec_lo, s29
.LBB251_65:                             ;   in Loop: Header=BB251_9 Depth=1
	s_delay_alu instid0(SALU_CYCLE_1) | instskip(SKIP_2) | instid1(VALU_DEP_1)
	s_or_b32 exec_lo, exec_lo, s28
	v_lshrrev_b16 v2, 8, v2
	s_mov_b32 s28, exec_lo
	v_cmpx_ne_u16_e32 0, v2
	s_cbranch_execz .LBB251_73
; %bb.66:                               ;   in Loop: Header=BB251_9 Depth=1
	v_bfrev_b32_e32 v24, 1
	s_mov_b32 s29, exec_lo
	v_cmpx_ne_u16_e32 0x80, v2
	s_cbranch_execz .LBB251_72
; %bb.67:                               ;   in Loop: Header=BB251_9 Depth=1
	v_and_b32_e32 v26, 0xffff, v2
	v_mov_b32_e32 v24, 0x7c010000
	s_mov_b32 s30, exec_lo
	s_delay_alu instid0(VALU_DEP_2) | instskip(NEXT) | instid1(VALU_DEP_1)
	v_and_b32_e32 v29, 0x7f, v26
	v_cmpx_ne_u32_e32 0x7f, v29
	s_cbranch_execz .LBB251_71
; %bb.68:                               ;   in Loop: Header=BB251_9 Depth=1
	v_dual_lshrrev_b32 v27, 3, v29 :: v_dual_bitop2_b32 v24, 7, v26 bitop3:0x40
	s_mov_b32 s31, exec_lo
	v_cmpx_gt_u32_e32 8, v29
; %bb.69:                               ;   in Loop: Header=BB251_9 Depth=1
	s_delay_alu instid0(VALU_DEP_2) | instskip(NEXT) | instid1(VALU_DEP_1)
	v_clz_i32_u32_e32 v24, v24
	v_min_u32_e32 v24, 32, v24
	s_delay_alu instid0(VALU_DEP_1) | instskip(NEXT) | instid1(VALU_DEP_1)
	v_subrev_nc_u32_e32 v27, 28, v24
	v_lshlrev_b64_e32 v[30:31], v27, v[2:3]
	s_delay_alu instid0(VALU_DEP_1)
	v_dual_sub_nc_u32 v27, 29, v24 :: v_dual_bitop2_b32 v24, 7, v30 bitop3:0x40
; %bb.70:                               ;   in Loop: Header=BB251_9 Depth=1
	s_or_b32 exec_lo, exec_lo, s31
	s_delay_alu instid0(VALU_DEP_1) | instskip(NEXT) | instid1(VALU_DEP_2)
	v_dual_lshlrev_b32 v2, 8, v26 :: v_dual_lshlrev_b32 v24, 23, v24
	v_lshl_add_u32 v26, v27, 10, 0x2000
	s_delay_alu instid0(VALU_DEP_1) | instskip(NEXT) | instid1(VALU_DEP_1)
	v_and_or_b32 v2, 0x8000, v2, v26
	v_lshl_or_b32 v24, v2, 16, v24
.LBB251_71:                             ;   in Loop: Header=BB251_9 Depth=1
	s_or_b32 exec_lo, exec_lo, s30
.LBB251_72:                             ;   in Loop: Header=BB251_9 Depth=1
	s_delay_alu instid0(SALU_CYCLE_1)
	s_or_b32 exec_lo, exec_lo, s29
.LBB251_73:                             ;   in Loop: Header=BB251_9 Depth=1
	s_delay_alu instid0(SALU_CYCLE_1)
	s_or_b32 exec_lo, exec_lo, s28
	global_load_u16 v2, v[8:9], off offset:256
	v_mov_b32_e32 v26, 0
	s_wait_loadcnt 0x0
	v_and_b32_e32 v27, 0xff, v2
	v_and_b32_e32 v2, 0xffff, v2
	s_delay_alu instid0(VALU_DEP_2)
	v_cmp_ne_u16_e64 s4, 0, v27
	v_mov_b32_e32 v27, 0
	s_and_saveexec_b32 s28, s4
	s_cbranch_execz .LBB251_81
; %bb.74:                               ;   in Loop: Header=BB251_9 Depth=1
	v_and_b32_e32 v27, 0xff, v2
	s_delay_alu instid0(VALU_DEP_1)
	v_cmp_ne_u16_e64 s4, 0x80, v27
	v_mov_b32_e32 v27, 0x8000
	s_and_saveexec_b32 s29, s4
	s_cbranch_execz .LBB251_80
; %bb.75:                               ;   in Loop: Header=BB251_9 Depth=1
	v_and_b32_e32 v30, 0x7f, v2
	v_mov_b32_e32 v27, 0x7c01
	s_mov_b32 s30, exec_lo
	s_delay_alu instid0(VALU_DEP_2)
	v_cmpx_ne_u32_e32 0x7f, v30
	s_cbranch_execz .LBB251_79
; %bb.76:                               ;   in Loop: Header=BB251_9 Depth=1
	v_and_b32_e32 v27, 7, v2
	v_lshrrev_b32_e32 v29, 3, v30
	s_mov_b32 s31, exec_lo
	v_cmpx_gt_u32_e32 8, v30
; %bb.77:                               ;   in Loop: Header=BB251_9 Depth=1
	s_delay_alu instid0(VALU_DEP_3) | instskip(NEXT) | instid1(VALU_DEP_1)
	v_clz_i32_u32_e32 v27, v27
	v_min_u32_e32 v27, 32, v27
	s_delay_alu instid0(VALU_DEP_1) | instskip(NEXT) | instid1(VALU_DEP_1)
	v_subrev_nc_u32_e32 v29, 28, v27
	v_lshlrev_b64_e32 v[30:31], v29, v[2:3]
	s_delay_alu instid0(VALU_DEP_1)
	v_dual_sub_nc_u32 v29, 29, v27 :: v_dual_bitop2_b32 v27, 7, v30 bitop3:0x40
; %bb.78:                               ;   in Loop: Header=BB251_9 Depth=1
	s_or_b32 exec_lo, exec_lo, s31
	s_delay_alu instid0(VALU_DEP_1) | instskip(NEXT) | instid1(VALU_DEP_2)
	v_dual_lshlrev_b32 v30, 8, v2 :: v_dual_lshlrev_b32 v27, 7, v27
	v_lshl_add_u32 v29, v29, 10, 0x2000
	s_delay_alu instid0(VALU_DEP_2) | instskip(NEXT) | instid1(VALU_DEP_2)
	v_and_b32_e32 v30, 0x8000, v30
	v_and_b32_e32 v29, 0xfc00, v29
	s_delay_alu instid0(VALU_DEP_1)
	v_or3_b32 v27, v30, v29, v27
.LBB251_79:                             ;   in Loop: Header=BB251_9 Depth=1
	s_or_b32 exec_lo, exec_lo, s30
.LBB251_80:                             ;   in Loop: Header=BB251_9 Depth=1
	s_delay_alu instid0(SALU_CYCLE_1)
	s_or_b32 exec_lo, exec_lo, s29
.LBB251_81:                             ;   in Loop: Header=BB251_9 Depth=1
	s_delay_alu instid0(SALU_CYCLE_1) | instskip(SKIP_2) | instid1(VALU_DEP_1)
	s_or_b32 exec_lo, exec_lo, s28
	v_lshrrev_b16 v2, 8, v2
	s_mov_b32 s28, exec_lo
	v_cmpx_ne_u16_e32 0, v2
	s_cbranch_execz .LBB251_89
; %bb.82:                               ;   in Loop: Header=BB251_9 Depth=1
	v_bfrev_b32_e32 v26, 1
	s_mov_b32 s29, exec_lo
	v_cmpx_ne_u16_e32 0x80, v2
	s_cbranch_execz .LBB251_88
; %bb.83:                               ;   in Loop: Header=BB251_9 Depth=1
	v_and_b32_e32 v29, 0xffff, v2
	v_mov_b32_e32 v26, 0x7c010000
	s_mov_b32 s30, exec_lo
	s_delay_alu instid0(VALU_DEP_2) | instskip(NEXT) | instid1(VALU_DEP_1)
	v_and_b32_e32 v31, 0x7f, v29
	v_cmpx_ne_u32_e32 0x7f, v31
	s_cbranch_execz .LBB251_87
; %bb.84:                               ;   in Loop: Header=BB251_9 Depth=1
	v_dual_lshrrev_b32 v30, 3, v31 :: v_dual_bitop2_b32 v26, 7, v29 bitop3:0x40
	s_mov_b32 s31, exec_lo
	v_cmpx_gt_u32_e32 8, v31
; %bb.85:                               ;   in Loop: Header=BB251_9 Depth=1
	s_delay_alu instid0(VALU_DEP_2) | instskip(NEXT) | instid1(VALU_DEP_1)
	v_clz_i32_u32_e32 v26, v26
	v_min_u32_e32 v26, 32, v26
	s_delay_alu instid0(VALU_DEP_1) | instskip(NEXT) | instid1(VALU_DEP_1)
	v_subrev_nc_u32_e32 v30, 28, v26
	v_lshlrev_b64_e32 v[32:33], v30, v[2:3]
	s_delay_alu instid0(VALU_DEP_1)
	v_dual_sub_nc_u32 v30, 29, v26 :: v_dual_bitop2_b32 v26, 7, v32 bitop3:0x40
; %bb.86:                               ;   in Loop: Header=BB251_9 Depth=1
	s_or_b32 exec_lo, exec_lo, s31
	s_delay_alu instid0(VALU_DEP_1) | instskip(NEXT) | instid1(VALU_DEP_2)
	v_dual_lshlrev_b32 v2, 8, v29 :: v_dual_lshlrev_b32 v26, 23, v26
	v_lshl_add_u32 v29, v30, 10, 0x2000
	s_delay_alu instid0(VALU_DEP_1) | instskip(NEXT) | instid1(VALU_DEP_1)
	v_and_or_b32 v2, 0x8000, v2, v29
	v_lshl_or_b32 v26, v2, 16, v26
.LBB251_87:                             ;   in Loop: Header=BB251_9 Depth=1
	s_or_b32 exec_lo, exec_lo, s30
.LBB251_88:                             ;   in Loop: Header=BB251_9 Depth=1
	s_delay_alu instid0(SALU_CYCLE_1)
	s_or_b32 exec_lo, exec_lo, s29
.LBB251_89:                             ;   in Loop: Header=BB251_9 Depth=1
	s_delay_alu instid0(SALU_CYCLE_1)
	s_or_b32 exec_lo, exec_lo, s28
	global_load_u16 v2, v[8:9], off offset:264
	v_mov_b32_e32 v29, 0
	s_wait_loadcnt 0x0
	v_and_b32_e32 v30, 0xff, v2
	v_and_b32_e32 v2, 0xffff, v2
	s_delay_alu instid0(VALU_DEP_2)
	v_cmp_ne_u16_e64 s4, 0, v30
	v_mov_b32_e32 v30, 0
	s_and_saveexec_b32 s28, s4
	s_cbranch_execz .LBB251_97
; %bb.90:                               ;   in Loop: Header=BB251_9 Depth=1
	v_and_b32_e32 v30, 0xff, v2
	s_delay_alu instid0(VALU_DEP_1)
	v_cmp_ne_u16_e64 s4, 0x80, v30
	v_mov_b32_e32 v30, 0x8000
	s_and_saveexec_b32 s29, s4
	s_cbranch_execz .LBB251_96
; %bb.91:                               ;   in Loop: Header=BB251_9 Depth=1
	v_and_b32_e32 v32, 0x7f, v2
	v_mov_b32_e32 v30, 0x7c01
	s_mov_b32 s30, exec_lo
	s_delay_alu instid0(VALU_DEP_2)
	v_cmpx_ne_u32_e32 0x7f, v32
	s_cbranch_execz .LBB251_95
; %bb.92:                               ;   in Loop: Header=BB251_9 Depth=1
	v_dual_lshrrev_b32 v31, 3, v32 :: v_dual_bitop2_b32 v30, 7, v2 bitop3:0x40
	s_mov_b32 s31, exec_lo
	v_cmpx_gt_u32_e32 8, v32
; %bb.93:                               ;   in Loop: Header=BB251_9 Depth=1
	s_delay_alu instid0(VALU_DEP_2) | instskip(NEXT) | instid1(VALU_DEP_1)
	v_clz_i32_u32_e32 v30, v30
	v_min_u32_e32 v32, 32, v30
	s_delay_alu instid0(VALU_DEP_1) | instskip(NEXT) | instid1(VALU_DEP_1)
	v_subrev_nc_u32_e32 v30, 28, v32
	v_lshlrev_b64_e32 v[30:31], v30, v[2:3]
	s_delay_alu instid0(VALU_DEP_1)
	v_dual_sub_nc_u32 v31, 29, v32 :: v_dual_bitop2_b32 v30, 7, v30 bitop3:0x40
; %bb.94:                               ;   in Loop: Header=BB251_9 Depth=1
	s_or_b32 exec_lo, exec_lo, s31
	v_lshlrev_b32_e32 v32, 8, v2
	s_delay_alu instid0(VALU_DEP_2) | instskip(NEXT) | instid1(VALU_DEP_3)
	v_lshl_add_u32 v31, v31, 10, 0x2000
	v_lshlrev_b32_e32 v30, 7, v30
	s_delay_alu instid0(VALU_DEP_3) | instskip(NEXT) | instid1(VALU_DEP_3)
	v_and_b32_e32 v32, 0x8000, v32
	v_and_b32_e32 v31, 0xfc00, v31
	s_delay_alu instid0(VALU_DEP_1)
	v_or3_b32 v30, v32, v31, v30
.LBB251_95:                             ;   in Loop: Header=BB251_9 Depth=1
	s_or_b32 exec_lo, exec_lo, s30
.LBB251_96:                             ;   in Loop: Header=BB251_9 Depth=1
	s_delay_alu instid0(SALU_CYCLE_1)
	s_or_b32 exec_lo, exec_lo, s29
.LBB251_97:                             ;   in Loop: Header=BB251_9 Depth=1
	s_delay_alu instid0(SALU_CYCLE_1) | instskip(SKIP_2) | instid1(VALU_DEP_1)
	s_or_b32 exec_lo, exec_lo, s28
	v_lshrrev_b16 v2, 8, v2
	s_mov_b32 s28, exec_lo
	v_cmpx_ne_u16_e32 0, v2
	s_cbranch_execz .LBB251_105
; %bb.98:                               ;   in Loop: Header=BB251_9 Depth=1
	v_bfrev_b32_e32 v29, 1
	s_mov_b32 s29, exec_lo
	v_cmpx_ne_u16_e32 0x80, v2
	s_cbranch_execz .LBB251_104
; %bb.99:                               ;   in Loop: Header=BB251_9 Depth=1
	v_and_b32_e32 v31, 0xffff, v2
	v_mov_b32_e32 v29, 0x7c010000
	s_mov_b32 s30, exec_lo
	s_delay_alu instid0(VALU_DEP_2) | instskip(NEXT) | instid1(VALU_DEP_1)
	v_and_b32_e32 v33, 0x7f, v31
	v_cmpx_ne_u32_e32 0x7f, v33
	s_cbranch_execz .LBB251_103
; %bb.100:                              ;   in Loop: Header=BB251_9 Depth=1
	v_dual_lshrrev_b32 v32, 3, v33 :: v_dual_bitop2_b32 v29, 7, v31 bitop3:0x40
	s_mov_b32 s31, exec_lo
	v_cmpx_gt_u32_e32 8, v33
; %bb.101:                              ;   in Loop: Header=BB251_9 Depth=1
	s_delay_alu instid0(VALU_DEP_2) | instskip(NEXT) | instid1(VALU_DEP_1)
	v_clz_i32_u32_e32 v29, v29
	v_min_u32_e32 v29, 32, v29
	s_delay_alu instid0(VALU_DEP_1) | instskip(NEXT) | instid1(VALU_DEP_1)
	v_subrev_nc_u32_e32 v32, 28, v29
	v_lshlrev_b64_e32 v[34:35], v32, v[2:3]
	s_delay_alu instid0(VALU_DEP_1)
	v_dual_sub_nc_u32 v32, 29, v29 :: v_dual_bitop2_b32 v29, 7, v34 bitop3:0x40
; %bb.102:                              ;   in Loop: Header=BB251_9 Depth=1
	s_or_b32 exec_lo, exec_lo, s31
	s_delay_alu instid0(VALU_DEP_1) | instskip(NEXT) | instid1(VALU_DEP_2)
	v_dual_lshlrev_b32 v2, 8, v31 :: v_dual_lshlrev_b32 v29, 23, v29
	v_lshl_add_u32 v31, v32, 10, 0x2000
	s_delay_alu instid0(VALU_DEP_1) | instskip(NEXT) | instid1(VALU_DEP_1)
	v_and_or_b32 v2, 0x8000, v2, v31
	v_lshl_or_b32 v29, v2, 16, v29
.LBB251_103:                            ;   in Loop: Header=BB251_9 Depth=1
	s_or_b32 exec_lo, exec_lo, s30
.LBB251_104:                            ;   in Loop: Header=BB251_9 Depth=1
	s_delay_alu instid0(SALU_CYCLE_1)
	s_or_b32 exec_lo, exec_lo, s29
.LBB251_105:                            ;   in Loop: Header=BB251_9 Depth=1
	s_delay_alu instid0(SALU_CYCLE_1)
	s_or_b32 exec_lo, exec_lo, s28
	global_load_u16 v2, v[8:9], off offset:384
	v_mov_b32_e32 v31, 0
	s_wait_loadcnt 0x0
	v_and_b32_e32 v32, 0xff, v2
	v_and_b32_e32 v2, 0xffff, v2
	s_delay_alu instid0(VALU_DEP_2)
	v_cmp_ne_u16_e64 s4, 0, v32
	v_mov_b32_e32 v32, 0
	s_and_saveexec_b32 s28, s4
	s_cbranch_execz .LBB251_113
; %bb.106:                              ;   in Loop: Header=BB251_9 Depth=1
	v_and_b32_e32 v32, 0xff, v2
	s_delay_alu instid0(VALU_DEP_1)
	v_cmp_ne_u16_e64 s4, 0x80, v32
	v_mov_b32_e32 v32, 0x8000
	s_and_saveexec_b32 s29, s4
	s_cbranch_execz .LBB251_112
; %bb.107:                              ;   in Loop: Header=BB251_9 Depth=1
	v_and_b32_e32 v34, 0x7f, v2
	v_mov_b32_e32 v32, 0x7c01
	s_mov_b32 s30, exec_lo
	s_delay_alu instid0(VALU_DEP_2)
	v_cmpx_ne_u32_e32 0x7f, v34
	s_cbranch_execz .LBB251_111
; %bb.108:                              ;   in Loop: Header=BB251_9 Depth=1
	v_and_b32_e32 v32, 7, v2
	v_lshrrev_b32_e32 v33, 3, v34
	s_mov_b32 s31, exec_lo
	v_cmpx_gt_u32_e32 8, v34
; %bb.109:                              ;   in Loop: Header=BB251_9 Depth=1
	s_delay_alu instid0(VALU_DEP_3) | instskip(NEXT) | instid1(VALU_DEP_1)
	v_clz_i32_u32_e32 v32, v32
	v_min_u32_e32 v34, 32, v32
	s_delay_alu instid0(VALU_DEP_1) | instskip(NEXT) | instid1(VALU_DEP_1)
	v_subrev_nc_u32_e32 v32, 28, v34
	v_lshlrev_b64_e32 v[32:33], v32, v[2:3]
	s_delay_alu instid0(VALU_DEP_1)
	v_dual_sub_nc_u32 v33, 29, v34 :: v_dual_bitop2_b32 v32, 7, v32 bitop3:0x40
; %bb.110:                              ;   in Loop: Header=BB251_9 Depth=1
	s_or_b32 exec_lo, exec_lo, s31
	s_delay_alu instid0(VALU_DEP_1) | instskip(NEXT) | instid1(VALU_DEP_2)
	v_dual_lshlrev_b32 v34, 8, v2 :: v_dual_lshlrev_b32 v32, 7, v32
	v_lshl_add_u32 v33, v33, 10, 0x2000
	s_delay_alu instid0(VALU_DEP_2) | instskip(NEXT) | instid1(VALU_DEP_2)
	v_and_b32_e32 v34, 0x8000, v34
	v_and_b32_e32 v33, 0xfc00, v33
	s_delay_alu instid0(VALU_DEP_1)
	v_or3_b32 v32, v34, v33, v32
.LBB251_111:                            ;   in Loop: Header=BB251_9 Depth=1
	s_or_b32 exec_lo, exec_lo, s30
.LBB251_112:                            ;   in Loop: Header=BB251_9 Depth=1
	s_delay_alu instid0(SALU_CYCLE_1)
	s_or_b32 exec_lo, exec_lo, s29
.LBB251_113:                            ;   in Loop: Header=BB251_9 Depth=1
	s_delay_alu instid0(SALU_CYCLE_1) | instskip(SKIP_2) | instid1(VALU_DEP_1)
	s_or_b32 exec_lo, exec_lo, s28
	v_lshrrev_b16 v2, 8, v2
	s_mov_b32 s28, exec_lo
	v_cmpx_ne_u16_e32 0, v2
	s_cbranch_execz .LBB251_121
; %bb.114:                              ;   in Loop: Header=BB251_9 Depth=1
	v_bfrev_b32_e32 v31, 1
	s_mov_b32 s29, exec_lo
	v_cmpx_ne_u16_e32 0x80, v2
	s_cbranch_execz .LBB251_120
; %bb.115:                              ;   in Loop: Header=BB251_9 Depth=1
	v_and_b32_e32 v33, 0xffff, v2
	v_mov_b32_e32 v31, 0x7c010000
	s_mov_b32 s30, exec_lo
	s_delay_alu instid0(VALU_DEP_2) | instskip(NEXT) | instid1(VALU_DEP_1)
	v_and_b32_e32 v35, 0x7f, v33
	v_cmpx_ne_u32_e32 0x7f, v35
	s_cbranch_execz .LBB251_119
; %bb.116:                              ;   in Loop: Header=BB251_9 Depth=1
	v_dual_lshrrev_b32 v34, 3, v35 :: v_dual_bitop2_b32 v31, 7, v33 bitop3:0x40
	s_mov_b32 s31, exec_lo
	v_cmpx_gt_u32_e32 8, v35
; %bb.117:                              ;   in Loop: Header=BB251_9 Depth=1
	s_delay_alu instid0(VALU_DEP_2) | instskip(NEXT) | instid1(VALU_DEP_1)
	v_clz_i32_u32_e32 v31, v31
	v_min_u32_e32 v31, 32, v31
	s_delay_alu instid0(VALU_DEP_1) | instskip(NEXT) | instid1(VALU_DEP_1)
	v_subrev_nc_u32_e32 v34, 28, v31
	v_lshlrev_b64_e32 v[36:37], v34, v[2:3]
	s_delay_alu instid0(VALU_DEP_1)
	v_dual_sub_nc_u32 v34, 29, v31 :: v_dual_bitop2_b32 v31, 7, v36 bitop3:0x40
; %bb.118:                              ;   in Loop: Header=BB251_9 Depth=1
	s_or_b32 exec_lo, exec_lo, s31
	s_delay_alu instid0(VALU_DEP_1) | instskip(NEXT) | instid1(VALU_DEP_2)
	v_dual_lshlrev_b32 v2, 8, v33 :: v_dual_lshlrev_b32 v31, 23, v31
	v_lshl_add_u32 v33, v34, 10, 0x2000
	s_delay_alu instid0(VALU_DEP_1) | instskip(NEXT) | instid1(VALU_DEP_1)
	v_and_or_b32 v2, 0x8000, v2, v33
	v_lshl_or_b32 v31, v2, 16, v31
.LBB251_119:                            ;   in Loop: Header=BB251_9 Depth=1
	s_or_b32 exec_lo, exec_lo, s30
.LBB251_120:                            ;   in Loop: Header=BB251_9 Depth=1
	s_delay_alu instid0(SALU_CYCLE_1)
	s_or_b32 exec_lo, exec_lo, s29
.LBB251_121:                            ;   in Loop: Header=BB251_9 Depth=1
	s_delay_alu instid0(SALU_CYCLE_1)
	s_or_b32 exec_lo, exec_lo, s28
	global_load_u16 v2, v[8:9], off offset:392
	v_mov_b32_e32 v33, 0
	s_wait_loadcnt 0x0
	v_and_b32_e32 v34, 0xff, v2
	v_and_b32_e32 v2, 0xffff, v2
	s_delay_alu instid0(VALU_DEP_2)
	v_cmp_ne_u16_e64 s4, 0, v34
	v_mov_b32_e32 v34, 0
	s_and_saveexec_b32 s28, s4
	s_cbranch_execz .LBB251_129
; %bb.122:                              ;   in Loop: Header=BB251_9 Depth=1
	v_and_b32_e32 v34, 0xff, v2
	s_delay_alu instid0(VALU_DEP_1)
	v_cmp_ne_u16_e64 s4, 0x80, v34
	v_mov_b32_e32 v34, 0x8000
	s_and_saveexec_b32 s29, s4
	s_cbranch_execz .LBB251_128
; %bb.123:                              ;   in Loop: Header=BB251_9 Depth=1
	v_and_b32_e32 v36, 0x7f, v2
	v_mov_b32_e32 v34, 0x7c01
	s_mov_b32 s30, exec_lo
	s_delay_alu instid0(VALU_DEP_2)
	v_cmpx_ne_u32_e32 0x7f, v36
	s_cbranch_execz .LBB251_127
; %bb.124:                              ;   in Loop: Header=BB251_9 Depth=1
	v_dual_lshrrev_b32 v35, 3, v36 :: v_dual_bitop2_b32 v34, 7, v2 bitop3:0x40
	s_mov_b32 s31, exec_lo
	v_cmpx_gt_u32_e32 8, v36
; %bb.125:                              ;   in Loop: Header=BB251_9 Depth=1
	s_delay_alu instid0(VALU_DEP_2) | instskip(NEXT) | instid1(VALU_DEP_1)
	v_clz_i32_u32_e32 v34, v34
	v_min_u32_e32 v36, 32, v34
	s_delay_alu instid0(VALU_DEP_1) | instskip(NEXT) | instid1(VALU_DEP_1)
	v_subrev_nc_u32_e32 v34, 28, v36
	v_lshlrev_b64_e32 v[34:35], v34, v[2:3]
	s_delay_alu instid0(VALU_DEP_1)
	v_dual_sub_nc_u32 v35, 29, v36 :: v_dual_bitop2_b32 v34, 7, v34 bitop3:0x40
; %bb.126:                              ;   in Loop: Header=BB251_9 Depth=1
	s_or_b32 exec_lo, exec_lo, s31
	v_lshlrev_b32_e32 v36, 8, v2
	s_delay_alu instid0(VALU_DEP_2) | instskip(NEXT) | instid1(VALU_DEP_3)
	v_lshl_add_u32 v35, v35, 10, 0x2000
	v_lshlrev_b32_e32 v34, 7, v34
	s_delay_alu instid0(VALU_DEP_3) | instskip(NEXT) | instid1(VALU_DEP_3)
	v_and_b32_e32 v36, 0x8000, v36
	v_and_b32_e32 v35, 0xfc00, v35
	s_delay_alu instid0(VALU_DEP_1)
	v_or3_b32 v34, v36, v35, v34
.LBB251_127:                            ;   in Loop: Header=BB251_9 Depth=1
	s_or_b32 exec_lo, exec_lo, s30
.LBB251_128:                            ;   in Loop: Header=BB251_9 Depth=1
	s_delay_alu instid0(SALU_CYCLE_1)
	s_or_b32 exec_lo, exec_lo, s29
.LBB251_129:                            ;   in Loop: Header=BB251_9 Depth=1
	s_delay_alu instid0(SALU_CYCLE_1) | instskip(SKIP_2) | instid1(VALU_DEP_1)
	s_or_b32 exec_lo, exec_lo, s28
	v_lshrrev_b16 v2, 8, v2
	s_mov_b32 s28, exec_lo
	v_cmpx_ne_u16_e32 0, v2
	s_cbranch_execz .LBB251_137
; %bb.130:                              ;   in Loop: Header=BB251_9 Depth=1
	v_bfrev_b32_e32 v33, 1
	s_mov_b32 s29, exec_lo
	v_cmpx_ne_u16_e32 0x80, v2
	s_cbranch_execz .LBB251_136
; %bb.131:                              ;   in Loop: Header=BB251_9 Depth=1
	v_and_b32_e32 v35, 0xffff, v2
	v_mov_b32_e32 v33, 0x7c010000
	s_mov_b32 s30, exec_lo
	s_delay_alu instid0(VALU_DEP_2) | instskip(NEXT) | instid1(VALU_DEP_1)
	v_and_b32_e32 v37, 0x7f, v35
	v_cmpx_ne_u32_e32 0x7f, v37
	s_cbranch_execz .LBB251_135
; %bb.132:                              ;   in Loop: Header=BB251_9 Depth=1
	v_dual_lshrrev_b32 v36, 3, v37 :: v_dual_bitop2_b32 v33, 7, v35 bitop3:0x40
	s_mov_b32 s31, exec_lo
	v_cmpx_gt_u32_e32 8, v37
; %bb.133:                              ;   in Loop: Header=BB251_9 Depth=1
	s_delay_alu instid0(VALU_DEP_2) | instskip(NEXT) | instid1(VALU_DEP_1)
	v_clz_i32_u32_e32 v33, v33
	v_min_u32_e32 v33, 32, v33
	s_delay_alu instid0(VALU_DEP_1) | instskip(NEXT) | instid1(VALU_DEP_1)
	v_subrev_nc_u32_e32 v36, 28, v33
	v_lshlrev_b64_e32 v[38:39], v36, v[2:3]
	s_delay_alu instid0(VALU_DEP_1)
	v_dual_sub_nc_u32 v36, 29, v33 :: v_dual_bitop2_b32 v33, 7, v38 bitop3:0x40
; %bb.134:                              ;   in Loop: Header=BB251_9 Depth=1
	s_or_b32 exec_lo, exec_lo, s31
	s_delay_alu instid0(VALU_DEP_1) | instskip(NEXT) | instid1(VALU_DEP_2)
	v_dual_lshlrev_b32 v2, 8, v35 :: v_dual_lshlrev_b32 v33, 23, v33
	v_lshl_add_u32 v35, v36, 10, 0x2000
	s_delay_alu instid0(VALU_DEP_1) | instskip(NEXT) | instid1(VALU_DEP_1)
	v_and_or_b32 v2, 0x8000, v2, v35
	v_lshl_or_b32 v33, v2, 16, v33
.LBB251_135:                            ;   in Loop: Header=BB251_9 Depth=1
	s_or_b32 exec_lo, exec_lo, s30
.LBB251_136:                            ;   in Loop: Header=BB251_9 Depth=1
	s_delay_alu instid0(SALU_CYCLE_1)
	s_or_b32 exec_lo, exec_lo, s29
.LBB251_137:                            ;   in Loop: Header=BB251_9 Depth=1
	s_delay_alu instid0(SALU_CYCLE_1)
	s_or_b32 exec_lo, exec_lo, s28
	global_load_u16 v2, v[8:9], off offset:512
	v_mov_b32_e32 v35, 0
	s_wait_loadcnt 0x0
	v_and_b32_e32 v36, 0xff, v2
	v_and_b32_e32 v2, 0xffff, v2
	s_delay_alu instid0(VALU_DEP_2)
	v_cmp_ne_u16_e64 s4, 0, v36
	v_mov_b32_e32 v36, 0
	s_and_saveexec_b32 s28, s4
	s_cbranch_execz .LBB251_145
; %bb.138:                              ;   in Loop: Header=BB251_9 Depth=1
	v_and_b32_e32 v36, 0xff, v2
	s_delay_alu instid0(VALU_DEP_1)
	v_cmp_ne_u16_e64 s4, 0x80, v36
	v_mov_b32_e32 v36, 0x8000
	s_and_saveexec_b32 s29, s4
	s_cbranch_execz .LBB251_144
; %bb.139:                              ;   in Loop: Header=BB251_9 Depth=1
	v_and_b32_e32 v38, 0x7f, v2
	v_mov_b32_e32 v36, 0x7c01
	s_mov_b32 s30, exec_lo
	s_delay_alu instid0(VALU_DEP_2)
	v_cmpx_ne_u32_e32 0x7f, v38
	s_cbranch_execz .LBB251_143
; %bb.140:                              ;   in Loop: Header=BB251_9 Depth=1
	v_and_b32_e32 v36, 7, v2
	v_lshrrev_b32_e32 v37, 3, v38
	s_mov_b32 s31, exec_lo
	v_cmpx_gt_u32_e32 8, v38
; %bb.141:                              ;   in Loop: Header=BB251_9 Depth=1
	s_delay_alu instid0(VALU_DEP_3) | instskip(NEXT) | instid1(VALU_DEP_1)
	v_clz_i32_u32_e32 v36, v36
	v_min_u32_e32 v38, 32, v36
	s_delay_alu instid0(VALU_DEP_1) | instskip(NEXT) | instid1(VALU_DEP_1)
	v_subrev_nc_u32_e32 v36, 28, v38
	v_lshlrev_b64_e32 v[36:37], v36, v[2:3]
	s_delay_alu instid0(VALU_DEP_1)
	v_dual_sub_nc_u32 v37, 29, v38 :: v_dual_bitop2_b32 v36, 7, v36 bitop3:0x40
; %bb.142:                              ;   in Loop: Header=BB251_9 Depth=1
	s_or_b32 exec_lo, exec_lo, s31
	s_delay_alu instid0(VALU_DEP_1) | instskip(NEXT) | instid1(VALU_DEP_2)
	v_dual_lshlrev_b32 v38, 8, v2 :: v_dual_lshlrev_b32 v36, 7, v36
	v_lshl_add_u32 v37, v37, 10, 0x2000
	s_delay_alu instid0(VALU_DEP_2) | instskip(NEXT) | instid1(VALU_DEP_2)
	v_and_b32_e32 v38, 0x8000, v38
	v_and_b32_e32 v37, 0xfc00, v37
	s_delay_alu instid0(VALU_DEP_1)
	v_or3_b32 v36, v38, v37, v36
.LBB251_143:                            ;   in Loop: Header=BB251_9 Depth=1
	s_or_b32 exec_lo, exec_lo, s30
.LBB251_144:                            ;   in Loop: Header=BB251_9 Depth=1
	s_delay_alu instid0(SALU_CYCLE_1)
	s_or_b32 exec_lo, exec_lo, s29
.LBB251_145:                            ;   in Loop: Header=BB251_9 Depth=1
	s_delay_alu instid0(SALU_CYCLE_1) | instskip(SKIP_2) | instid1(VALU_DEP_1)
	s_or_b32 exec_lo, exec_lo, s28
	v_lshrrev_b16 v2, 8, v2
	s_mov_b32 s28, exec_lo
	v_cmpx_ne_u16_e32 0, v2
	s_cbranch_execz .LBB251_153
; %bb.146:                              ;   in Loop: Header=BB251_9 Depth=1
	v_bfrev_b32_e32 v35, 1
	s_mov_b32 s29, exec_lo
	v_cmpx_ne_u16_e32 0x80, v2
	s_cbranch_execz .LBB251_152
; %bb.147:                              ;   in Loop: Header=BB251_9 Depth=1
	v_and_b32_e32 v37, 0xffff, v2
	v_mov_b32_e32 v35, 0x7c010000
	s_mov_b32 s30, exec_lo
	s_delay_alu instid0(VALU_DEP_2) | instskip(NEXT) | instid1(VALU_DEP_1)
	v_and_b32_e32 v39, 0x7f, v37
	v_cmpx_ne_u32_e32 0x7f, v39
	s_cbranch_execz .LBB251_151
; %bb.148:                              ;   in Loop: Header=BB251_9 Depth=1
	v_dual_lshrrev_b32 v38, 3, v39 :: v_dual_bitop2_b32 v35, 7, v37 bitop3:0x40
	s_mov_b32 s31, exec_lo
	v_cmpx_gt_u32_e32 8, v39
; %bb.149:                              ;   in Loop: Header=BB251_9 Depth=1
	s_delay_alu instid0(VALU_DEP_2) | instskip(NEXT) | instid1(VALU_DEP_1)
	v_clz_i32_u32_e32 v35, v35
	v_min_u32_e32 v35, 32, v35
	s_delay_alu instid0(VALU_DEP_1) | instskip(NEXT) | instid1(VALU_DEP_1)
	v_subrev_nc_u32_e32 v38, 28, v35
	v_lshlrev_b64_e32 v[40:41], v38, v[2:3]
	s_delay_alu instid0(VALU_DEP_1)
	v_dual_sub_nc_u32 v38, 29, v35 :: v_dual_bitop2_b32 v35, 7, v40 bitop3:0x40
; %bb.150:                              ;   in Loop: Header=BB251_9 Depth=1
	s_or_b32 exec_lo, exec_lo, s31
	s_delay_alu instid0(VALU_DEP_1) | instskip(NEXT) | instid1(VALU_DEP_2)
	v_dual_lshlrev_b32 v2, 8, v37 :: v_dual_lshlrev_b32 v35, 23, v35
	v_lshl_add_u32 v37, v38, 10, 0x2000
	s_delay_alu instid0(VALU_DEP_1) | instskip(NEXT) | instid1(VALU_DEP_1)
	v_and_or_b32 v2, 0x8000, v2, v37
	v_lshl_or_b32 v35, v2, 16, v35
.LBB251_151:                            ;   in Loop: Header=BB251_9 Depth=1
	s_or_b32 exec_lo, exec_lo, s30
.LBB251_152:                            ;   in Loop: Header=BB251_9 Depth=1
	s_delay_alu instid0(SALU_CYCLE_1)
	s_or_b32 exec_lo, exec_lo, s29
.LBB251_153:                            ;   in Loop: Header=BB251_9 Depth=1
	s_delay_alu instid0(SALU_CYCLE_1)
	s_or_b32 exec_lo, exec_lo, s28
	global_load_u16 v2, v[8:9], off offset:520
	v_mov_b32_e32 v37, 0
	s_wait_loadcnt 0x0
	v_and_b32_e32 v38, 0xff, v2
	v_and_b32_e32 v2, 0xffff, v2
	s_delay_alu instid0(VALU_DEP_2)
	v_cmp_ne_u16_e64 s4, 0, v38
	v_mov_b32_e32 v38, 0
	s_and_saveexec_b32 s28, s4
	s_cbranch_execz .LBB251_161
; %bb.154:                              ;   in Loop: Header=BB251_9 Depth=1
	v_and_b32_e32 v38, 0xff, v2
	s_delay_alu instid0(VALU_DEP_1)
	v_cmp_ne_u16_e64 s4, 0x80, v38
	v_mov_b32_e32 v38, 0x8000
	s_and_saveexec_b32 s29, s4
	s_cbranch_execz .LBB251_160
; %bb.155:                              ;   in Loop: Header=BB251_9 Depth=1
	v_and_b32_e32 v40, 0x7f, v2
	v_mov_b32_e32 v38, 0x7c01
	s_mov_b32 s30, exec_lo
	s_delay_alu instid0(VALU_DEP_2)
	v_cmpx_ne_u32_e32 0x7f, v40
	s_cbranch_execz .LBB251_159
; %bb.156:                              ;   in Loop: Header=BB251_9 Depth=1
	v_dual_lshrrev_b32 v39, 3, v40 :: v_dual_bitop2_b32 v38, 7, v2 bitop3:0x40
	s_mov_b32 s31, exec_lo
	v_cmpx_gt_u32_e32 8, v40
; %bb.157:                              ;   in Loop: Header=BB251_9 Depth=1
	s_delay_alu instid0(VALU_DEP_2) | instskip(NEXT) | instid1(VALU_DEP_1)
	v_clz_i32_u32_e32 v38, v38
	v_min_u32_e32 v40, 32, v38
	s_delay_alu instid0(VALU_DEP_1) | instskip(NEXT) | instid1(VALU_DEP_1)
	v_subrev_nc_u32_e32 v38, 28, v40
	v_lshlrev_b64_e32 v[38:39], v38, v[2:3]
	s_delay_alu instid0(VALU_DEP_1)
	v_dual_sub_nc_u32 v39, 29, v40 :: v_dual_bitop2_b32 v38, 7, v38 bitop3:0x40
; %bb.158:                              ;   in Loop: Header=BB251_9 Depth=1
	s_or_b32 exec_lo, exec_lo, s31
	v_lshlrev_b32_e32 v40, 8, v2
	s_delay_alu instid0(VALU_DEP_2) | instskip(NEXT) | instid1(VALU_DEP_3)
	v_lshl_add_u32 v39, v39, 10, 0x2000
	v_lshlrev_b32_e32 v38, 7, v38
	s_delay_alu instid0(VALU_DEP_3) | instskip(NEXT) | instid1(VALU_DEP_3)
	v_and_b32_e32 v40, 0x8000, v40
	v_and_b32_e32 v39, 0xfc00, v39
	s_delay_alu instid0(VALU_DEP_1)
	v_or3_b32 v38, v40, v39, v38
.LBB251_159:                            ;   in Loop: Header=BB251_9 Depth=1
	s_or_b32 exec_lo, exec_lo, s30
.LBB251_160:                            ;   in Loop: Header=BB251_9 Depth=1
	s_delay_alu instid0(SALU_CYCLE_1)
	s_or_b32 exec_lo, exec_lo, s29
.LBB251_161:                            ;   in Loop: Header=BB251_9 Depth=1
	s_delay_alu instid0(SALU_CYCLE_1) | instskip(SKIP_2) | instid1(VALU_DEP_1)
	s_or_b32 exec_lo, exec_lo, s28
	v_lshrrev_b16 v2, 8, v2
	s_mov_b32 s28, exec_lo
	v_cmpx_ne_u16_e32 0, v2
	s_cbranch_execz .LBB251_169
; %bb.162:                              ;   in Loop: Header=BB251_9 Depth=1
	v_bfrev_b32_e32 v37, 1
	s_mov_b32 s29, exec_lo
	v_cmpx_ne_u16_e32 0x80, v2
	s_cbranch_execz .LBB251_168
; %bb.163:                              ;   in Loop: Header=BB251_9 Depth=1
	v_and_b32_e32 v39, 0xffff, v2
	v_mov_b32_e32 v37, 0x7c010000
	s_mov_b32 s30, exec_lo
	s_delay_alu instid0(VALU_DEP_2) | instskip(NEXT) | instid1(VALU_DEP_1)
	v_and_b32_e32 v41, 0x7f, v39
	v_cmpx_ne_u32_e32 0x7f, v41
	s_cbranch_execz .LBB251_167
; %bb.164:                              ;   in Loop: Header=BB251_9 Depth=1
	v_dual_lshrrev_b32 v40, 3, v41 :: v_dual_bitop2_b32 v37, 7, v39 bitop3:0x40
	s_mov_b32 s31, exec_lo
	v_cmpx_gt_u32_e32 8, v41
; %bb.165:                              ;   in Loop: Header=BB251_9 Depth=1
	s_delay_alu instid0(VALU_DEP_2) | instskip(NEXT) | instid1(VALU_DEP_1)
	v_clz_i32_u32_e32 v37, v37
	v_min_u32_e32 v37, 32, v37
	s_delay_alu instid0(VALU_DEP_1) | instskip(NEXT) | instid1(VALU_DEP_1)
	v_subrev_nc_u32_e32 v40, 28, v37
	v_lshlrev_b64_e32 v[42:43], v40, v[2:3]
	s_delay_alu instid0(VALU_DEP_1)
	v_dual_sub_nc_u32 v40, 29, v37 :: v_dual_bitop2_b32 v37, 7, v42 bitop3:0x40
; %bb.166:                              ;   in Loop: Header=BB251_9 Depth=1
	s_or_b32 exec_lo, exec_lo, s31
	s_delay_alu instid0(VALU_DEP_1) | instskip(NEXT) | instid1(VALU_DEP_2)
	v_dual_lshlrev_b32 v2, 8, v39 :: v_dual_lshlrev_b32 v37, 23, v37
	v_lshl_add_u32 v39, v40, 10, 0x2000
	s_delay_alu instid0(VALU_DEP_1) | instskip(NEXT) | instid1(VALU_DEP_1)
	v_and_or_b32 v2, 0x8000, v2, v39
	v_lshl_or_b32 v37, v2, 16, v37
.LBB251_167:                            ;   in Loop: Header=BB251_9 Depth=1
	s_or_b32 exec_lo, exec_lo, s30
.LBB251_168:                            ;   in Loop: Header=BB251_9 Depth=1
	s_delay_alu instid0(SALU_CYCLE_1)
	s_or_b32 exec_lo, exec_lo, s29
.LBB251_169:                            ;   in Loop: Header=BB251_9 Depth=1
	s_delay_alu instid0(SALU_CYCLE_1)
	s_or_b32 exec_lo, exec_lo, s28
	global_load_u16 v2, v[8:9], off offset:640
	v_mov_b32_e32 v39, 0
	s_wait_loadcnt 0x0
	v_and_b32_e32 v40, 0xff, v2
	v_and_b32_e32 v2, 0xffff, v2
	s_delay_alu instid0(VALU_DEP_2)
	v_cmp_ne_u16_e64 s4, 0, v40
	v_mov_b32_e32 v40, 0
	s_and_saveexec_b32 s28, s4
	s_cbranch_execz .LBB251_177
; %bb.170:                              ;   in Loop: Header=BB251_9 Depth=1
	v_and_b32_e32 v40, 0xff, v2
	s_delay_alu instid0(VALU_DEP_1)
	v_cmp_ne_u16_e64 s4, 0x80, v40
	v_mov_b32_e32 v40, 0x8000
	s_and_saveexec_b32 s29, s4
	s_cbranch_execz .LBB251_176
; %bb.171:                              ;   in Loop: Header=BB251_9 Depth=1
	v_and_b32_e32 v42, 0x7f, v2
	v_mov_b32_e32 v40, 0x7c01
	s_mov_b32 s30, exec_lo
	s_delay_alu instid0(VALU_DEP_2)
	v_cmpx_ne_u32_e32 0x7f, v42
	s_cbranch_execz .LBB251_175
; %bb.172:                              ;   in Loop: Header=BB251_9 Depth=1
	v_and_b32_e32 v40, 7, v2
	v_lshrrev_b32_e32 v41, 3, v42
	s_mov_b32 s31, exec_lo
	v_cmpx_gt_u32_e32 8, v42
; %bb.173:                              ;   in Loop: Header=BB251_9 Depth=1
	s_delay_alu instid0(VALU_DEP_3) | instskip(NEXT) | instid1(VALU_DEP_1)
	v_clz_i32_u32_e32 v40, v40
	v_min_u32_e32 v42, 32, v40
	s_delay_alu instid0(VALU_DEP_1) | instskip(NEXT) | instid1(VALU_DEP_1)
	v_subrev_nc_u32_e32 v40, 28, v42
	v_lshlrev_b64_e32 v[40:41], v40, v[2:3]
	s_delay_alu instid0(VALU_DEP_1)
	v_dual_sub_nc_u32 v41, 29, v42 :: v_dual_bitop2_b32 v40, 7, v40 bitop3:0x40
; %bb.174:                              ;   in Loop: Header=BB251_9 Depth=1
	s_or_b32 exec_lo, exec_lo, s31
	s_delay_alu instid0(VALU_DEP_1) | instskip(NEXT) | instid1(VALU_DEP_2)
	v_dual_lshlrev_b32 v42, 8, v2 :: v_dual_lshlrev_b32 v40, 7, v40
	v_lshl_add_u32 v41, v41, 10, 0x2000
	s_delay_alu instid0(VALU_DEP_2) | instskip(NEXT) | instid1(VALU_DEP_2)
	v_and_b32_e32 v42, 0x8000, v42
	v_and_b32_e32 v41, 0xfc00, v41
	s_delay_alu instid0(VALU_DEP_1)
	v_or3_b32 v40, v42, v41, v40
.LBB251_175:                            ;   in Loop: Header=BB251_9 Depth=1
	s_or_b32 exec_lo, exec_lo, s30
.LBB251_176:                            ;   in Loop: Header=BB251_9 Depth=1
	s_delay_alu instid0(SALU_CYCLE_1)
	s_or_b32 exec_lo, exec_lo, s29
.LBB251_177:                            ;   in Loop: Header=BB251_9 Depth=1
	s_delay_alu instid0(SALU_CYCLE_1) | instskip(SKIP_2) | instid1(VALU_DEP_1)
	s_or_b32 exec_lo, exec_lo, s28
	v_lshrrev_b16 v2, 8, v2
	s_mov_b32 s28, exec_lo
	v_cmpx_ne_u16_e32 0, v2
	s_cbranch_execz .LBB251_185
; %bb.178:                              ;   in Loop: Header=BB251_9 Depth=1
	v_bfrev_b32_e32 v39, 1
	s_mov_b32 s29, exec_lo
	v_cmpx_ne_u16_e32 0x80, v2
	s_cbranch_execz .LBB251_184
; %bb.179:                              ;   in Loop: Header=BB251_9 Depth=1
	v_and_b32_e32 v41, 0xffff, v2
	v_mov_b32_e32 v39, 0x7c010000
	s_mov_b32 s30, exec_lo
	s_delay_alu instid0(VALU_DEP_2) | instskip(NEXT) | instid1(VALU_DEP_1)
	v_and_b32_e32 v43, 0x7f, v41
	v_cmpx_ne_u32_e32 0x7f, v43
	s_cbranch_execz .LBB251_183
; %bb.180:                              ;   in Loop: Header=BB251_9 Depth=1
	v_dual_lshrrev_b32 v42, 3, v43 :: v_dual_bitop2_b32 v39, 7, v41 bitop3:0x40
	s_mov_b32 s31, exec_lo
	v_cmpx_gt_u32_e32 8, v43
; %bb.181:                              ;   in Loop: Header=BB251_9 Depth=1
	s_delay_alu instid0(VALU_DEP_2) | instskip(NEXT) | instid1(VALU_DEP_1)
	v_clz_i32_u32_e32 v39, v39
	v_min_u32_e32 v39, 32, v39
	s_delay_alu instid0(VALU_DEP_1) | instskip(NEXT) | instid1(VALU_DEP_1)
	v_subrev_nc_u32_e32 v42, 28, v39
	v_lshlrev_b64_e32 v[44:45], v42, v[2:3]
	s_delay_alu instid0(VALU_DEP_1)
	v_dual_sub_nc_u32 v42, 29, v39 :: v_dual_bitop2_b32 v39, 7, v44 bitop3:0x40
; %bb.182:                              ;   in Loop: Header=BB251_9 Depth=1
	s_or_b32 exec_lo, exec_lo, s31
	s_delay_alu instid0(VALU_DEP_1) | instskip(NEXT) | instid1(VALU_DEP_2)
	v_dual_lshlrev_b32 v2, 8, v41 :: v_dual_lshlrev_b32 v39, 23, v39
	v_lshl_add_u32 v41, v42, 10, 0x2000
	s_delay_alu instid0(VALU_DEP_1) | instskip(NEXT) | instid1(VALU_DEP_1)
	v_and_or_b32 v2, 0x8000, v2, v41
	v_lshl_or_b32 v39, v2, 16, v39
.LBB251_183:                            ;   in Loop: Header=BB251_9 Depth=1
	s_or_b32 exec_lo, exec_lo, s30
.LBB251_184:                            ;   in Loop: Header=BB251_9 Depth=1
	s_delay_alu instid0(SALU_CYCLE_1)
	s_or_b32 exec_lo, exec_lo, s29
.LBB251_185:                            ;   in Loop: Header=BB251_9 Depth=1
	s_delay_alu instid0(SALU_CYCLE_1)
	s_or_b32 exec_lo, exec_lo, s28
	global_load_u16 v2, v[8:9], off offset:648
	v_mov_b32_e32 v41, 0
	s_wait_loadcnt 0x0
	v_and_b32_e32 v42, 0xff, v2
	v_and_b32_e32 v2, 0xffff, v2
	s_delay_alu instid0(VALU_DEP_2)
	v_cmp_ne_u16_e64 s4, 0, v42
	v_mov_b32_e32 v42, 0
	s_and_saveexec_b32 s28, s4
	s_cbranch_execz .LBB251_193
; %bb.186:                              ;   in Loop: Header=BB251_9 Depth=1
	v_and_b32_e32 v42, 0xff, v2
	s_delay_alu instid0(VALU_DEP_1)
	v_cmp_ne_u16_e64 s4, 0x80, v42
	v_mov_b32_e32 v42, 0x8000
	s_and_saveexec_b32 s29, s4
	s_cbranch_execz .LBB251_192
; %bb.187:                              ;   in Loop: Header=BB251_9 Depth=1
	v_and_b32_e32 v44, 0x7f, v2
	v_mov_b32_e32 v42, 0x7c01
	s_mov_b32 s30, exec_lo
	s_delay_alu instid0(VALU_DEP_2)
	v_cmpx_ne_u32_e32 0x7f, v44
	s_cbranch_execz .LBB251_191
; %bb.188:                              ;   in Loop: Header=BB251_9 Depth=1
	v_dual_lshrrev_b32 v43, 3, v44 :: v_dual_bitop2_b32 v42, 7, v2 bitop3:0x40
	s_mov_b32 s31, exec_lo
	v_cmpx_gt_u32_e32 8, v44
; %bb.189:                              ;   in Loop: Header=BB251_9 Depth=1
	s_delay_alu instid0(VALU_DEP_2) | instskip(NEXT) | instid1(VALU_DEP_1)
	v_clz_i32_u32_e32 v42, v42
	v_min_u32_e32 v44, 32, v42
	s_delay_alu instid0(VALU_DEP_1) | instskip(NEXT) | instid1(VALU_DEP_1)
	v_subrev_nc_u32_e32 v42, 28, v44
	v_lshlrev_b64_e32 v[42:43], v42, v[2:3]
	s_delay_alu instid0(VALU_DEP_1)
	v_dual_sub_nc_u32 v43, 29, v44 :: v_dual_bitop2_b32 v42, 7, v42 bitop3:0x40
; %bb.190:                              ;   in Loop: Header=BB251_9 Depth=1
	s_or_b32 exec_lo, exec_lo, s31
	v_lshlrev_b32_e32 v44, 8, v2
	s_delay_alu instid0(VALU_DEP_2) | instskip(NEXT) | instid1(VALU_DEP_3)
	v_lshl_add_u32 v43, v43, 10, 0x2000
	v_lshlrev_b32_e32 v42, 7, v42
	s_delay_alu instid0(VALU_DEP_3) | instskip(NEXT) | instid1(VALU_DEP_3)
	v_and_b32_e32 v44, 0x8000, v44
	v_and_b32_e32 v43, 0xfc00, v43
	s_delay_alu instid0(VALU_DEP_1)
	v_or3_b32 v42, v44, v43, v42
.LBB251_191:                            ;   in Loop: Header=BB251_9 Depth=1
	s_or_b32 exec_lo, exec_lo, s30
.LBB251_192:                            ;   in Loop: Header=BB251_9 Depth=1
	s_delay_alu instid0(SALU_CYCLE_1)
	s_or_b32 exec_lo, exec_lo, s29
.LBB251_193:                            ;   in Loop: Header=BB251_9 Depth=1
	s_delay_alu instid0(SALU_CYCLE_1) | instskip(SKIP_2) | instid1(VALU_DEP_1)
	s_or_b32 exec_lo, exec_lo, s28
	v_lshrrev_b16 v2, 8, v2
	s_mov_b32 s28, exec_lo
	v_cmpx_ne_u16_e32 0, v2
	s_cbranch_execz .LBB251_201
; %bb.194:                              ;   in Loop: Header=BB251_9 Depth=1
	v_bfrev_b32_e32 v41, 1
	s_mov_b32 s29, exec_lo
	v_cmpx_ne_u16_e32 0x80, v2
	s_cbranch_execz .LBB251_200
; %bb.195:                              ;   in Loop: Header=BB251_9 Depth=1
	v_and_b32_e32 v43, 0xffff, v2
	v_mov_b32_e32 v41, 0x7c010000
	s_mov_b32 s30, exec_lo
	s_delay_alu instid0(VALU_DEP_2) | instskip(NEXT) | instid1(VALU_DEP_1)
	v_and_b32_e32 v45, 0x7f, v43
	v_cmpx_ne_u32_e32 0x7f, v45
	s_cbranch_execz .LBB251_199
; %bb.196:                              ;   in Loop: Header=BB251_9 Depth=1
	v_dual_lshrrev_b32 v44, 3, v45 :: v_dual_bitop2_b32 v41, 7, v43 bitop3:0x40
	s_mov_b32 s31, exec_lo
	v_cmpx_gt_u32_e32 8, v45
; %bb.197:                              ;   in Loop: Header=BB251_9 Depth=1
	s_delay_alu instid0(VALU_DEP_2) | instskip(NEXT) | instid1(VALU_DEP_1)
	v_clz_i32_u32_e32 v41, v41
	v_min_u32_e32 v41, 32, v41
	s_delay_alu instid0(VALU_DEP_1) | instskip(NEXT) | instid1(VALU_DEP_1)
	v_subrev_nc_u32_e32 v44, 28, v41
	v_lshlrev_b64_e32 v[46:47], v44, v[2:3]
	s_delay_alu instid0(VALU_DEP_1)
	v_dual_sub_nc_u32 v44, 29, v41 :: v_dual_bitop2_b32 v41, 7, v46 bitop3:0x40
; %bb.198:                              ;   in Loop: Header=BB251_9 Depth=1
	s_or_b32 exec_lo, exec_lo, s31
	s_delay_alu instid0(VALU_DEP_1) | instskip(NEXT) | instid1(VALU_DEP_2)
	v_dual_lshlrev_b32 v2, 8, v43 :: v_dual_lshlrev_b32 v41, 23, v41
	v_lshl_add_u32 v43, v44, 10, 0x2000
	s_delay_alu instid0(VALU_DEP_1) | instskip(NEXT) | instid1(VALU_DEP_1)
	v_and_or_b32 v2, 0x8000, v2, v43
	v_lshl_or_b32 v41, v2, 16, v41
.LBB251_199:                            ;   in Loop: Header=BB251_9 Depth=1
	s_or_b32 exec_lo, exec_lo, s30
.LBB251_200:                            ;   in Loop: Header=BB251_9 Depth=1
	s_delay_alu instid0(SALU_CYCLE_1)
	s_or_b32 exec_lo, exec_lo, s29
.LBB251_201:                            ;   in Loop: Header=BB251_9 Depth=1
	s_delay_alu instid0(SALU_CYCLE_1)
	s_or_b32 exec_lo, exec_lo, s28
	global_load_u16 v2, v[8:9], off offset:768
	v_mov_b32_e32 v43, 0
	s_wait_loadcnt 0x0
	v_and_b32_e32 v44, 0xff, v2
	v_and_b32_e32 v2, 0xffff, v2
	s_delay_alu instid0(VALU_DEP_2)
	v_cmp_ne_u16_e64 s4, 0, v44
	v_mov_b32_e32 v44, 0
	s_and_saveexec_b32 s28, s4
	s_cbranch_execz .LBB251_209
; %bb.202:                              ;   in Loop: Header=BB251_9 Depth=1
	v_and_b32_e32 v44, 0xff, v2
	s_delay_alu instid0(VALU_DEP_1)
	v_cmp_ne_u16_e64 s4, 0x80, v44
	v_mov_b32_e32 v44, 0x8000
	s_and_saveexec_b32 s29, s4
	s_cbranch_execz .LBB251_208
; %bb.203:                              ;   in Loop: Header=BB251_9 Depth=1
	v_and_b32_e32 v46, 0x7f, v2
	v_mov_b32_e32 v44, 0x7c01
	s_mov_b32 s30, exec_lo
	s_delay_alu instid0(VALU_DEP_2)
	v_cmpx_ne_u32_e32 0x7f, v46
	s_cbranch_execz .LBB251_207
; %bb.204:                              ;   in Loop: Header=BB251_9 Depth=1
	v_and_b32_e32 v44, 7, v2
	v_lshrrev_b32_e32 v45, 3, v46
	s_mov_b32 s31, exec_lo
	v_cmpx_gt_u32_e32 8, v46
; %bb.205:                              ;   in Loop: Header=BB251_9 Depth=1
	s_delay_alu instid0(VALU_DEP_3) | instskip(NEXT) | instid1(VALU_DEP_1)
	v_clz_i32_u32_e32 v44, v44
	v_min_u32_e32 v46, 32, v44
	s_delay_alu instid0(VALU_DEP_1) | instskip(NEXT) | instid1(VALU_DEP_1)
	v_subrev_nc_u32_e32 v44, 28, v46
	v_lshlrev_b64_e32 v[44:45], v44, v[2:3]
	s_delay_alu instid0(VALU_DEP_1)
	v_dual_sub_nc_u32 v45, 29, v46 :: v_dual_bitop2_b32 v44, 7, v44 bitop3:0x40
; %bb.206:                              ;   in Loop: Header=BB251_9 Depth=1
	s_or_b32 exec_lo, exec_lo, s31
	s_delay_alu instid0(VALU_DEP_1) | instskip(NEXT) | instid1(VALU_DEP_2)
	v_dual_lshlrev_b32 v46, 8, v2 :: v_dual_lshlrev_b32 v44, 7, v44
	v_lshl_add_u32 v45, v45, 10, 0x2000
	s_delay_alu instid0(VALU_DEP_2) | instskip(NEXT) | instid1(VALU_DEP_2)
	v_and_b32_e32 v46, 0x8000, v46
	v_and_b32_e32 v45, 0xfc00, v45
	s_delay_alu instid0(VALU_DEP_1)
	v_or3_b32 v44, v46, v45, v44
.LBB251_207:                            ;   in Loop: Header=BB251_9 Depth=1
	s_or_b32 exec_lo, exec_lo, s30
.LBB251_208:                            ;   in Loop: Header=BB251_9 Depth=1
	s_delay_alu instid0(SALU_CYCLE_1)
	s_or_b32 exec_lo, exec_lo, s29
.LBB251_209:                            ;   in Loop: Header=BB251_9 Depth=1
	s_delay_alu instid0(SALU_CYCLE_1) | instskip(SKIP_2) | instid1(VALU_DEP_1)
	s_or_b32 exec_lo, exec_lo, s28
	v_lshrrev_b16 v2, 8, v2
	s_mov_b32 s28, exec_lo
	v_cmpx_ne_u16_e32 0, v2
	s_cbranch_execz .LBB251_217
; %bb.210:                              ;   in Loop: Header=BB251_9 Depth=1
	v_bfrev_b32_e32 v43, 1
	s_mov_b32 s29, exec_lo
	v_cmpx_ne_u16_e32 0x80, v2
	s_cbranch_execz .LBB251_216
; %bb.211:                              ;   in Loop: Header=BB251_9 Depth=1
	v_and_b32_e32 v45, 0xffff, v2
	v_mov_b32_e32 v43, 0x7c010000
	s_mov_b32 s30, exec_lo
	s_delay_alu instid0(VALU_DEP_2) | instskip(NEXT) | instid1(VALU_DEP_1)
	v_and_b32_e32 v47, 0x7f, v45
	v_cmpx_ne_u32_e32 0x7f, v47
	s_cbranch_execz .LBB251_215
; %bb.212:                              ;   in Loop: Header=BB251_9 Depth=1
	v_dual_lshrrev_b32 v46, 3, v47 :: v_dual_bitop2_b32 v43, 7, v45 bitop3:0x40
	s_mov_b32 s31, exec_lo
	v_cmpx_gt_u32_e32 8, v47
; %bb.213:                              ;   in Loop: Header=BB251_9 Depth=1
	s_delay_alu instid0(VALU_DEP_2) | instskip(NEXT) | instid1(VALU_DEP_1)
	v_clz_i32_u32_e32 v43, v43
	v_min_u32_e32 v43, 32, v43
	s_delay_alu instid0(VALU_DEP_1) | instskip(NEXT) | instid1(VALU_DEP_1)
	v_subrev_nc_u32_e32 v46, 28, v43
	v_lshlrev_b64_e32 v[48:49], v46, v[2:3]
	s_delay_alu instid0(VALU_DEP_1)
	v_dual_sub_nc_u32 v46, 29, v43 :: v_dual_bitop2_b32 v43, 7, v48 bitop3:0x40
; %bb.214:                              ;   in Loop: Header=BB251_9 Depth=1
	s_or_b32 exec_lo, exec_lo, s31
	s_delay_alu instid0(VALU_DEP_1) | instskip(NEXT) | instid1(VALU_DEP_2)
	v_dual_lshlrev_b32 v2, 8, v45 :: v_dual_lshlrev_b32 v43, 23, v43
	v_lshl_add_u32 v45, v46, 10, 0x2000
	s_delay_alu instid0(VALU_DEP_1) | instskip(NEXT) | instid1(VALU_DEP_1)
	v_and_or_b32 v2, 0x8000, v2, v45
	v_lshl_or_b32 v43, v2, 16, v43
.LBB251_215:                            ;   in Loop: Header=BB251_9 Depth=1
	s_or_b32 exec_lo, exec_lo, s30
.LBB251_216:                            ;   in Loop: Header=BB251_9 Depth=1
	s_delay_alu instid0(SALU_CYCLE_1)
	s_or_b32 exec_lo, exec_lo, s29
.LBB251_217:                            ;   in Loop: Header=BB251_9 Depth=1
	s_delay_alu instid0(SALU_CYCLE_1)
	s_or_b32 exec_lo, exec_lo, s28
	global_load_u16 v2, v[8:9], off offset:776
	v_mov_b32_e32 v45, 0
	s_wait_loadcnt 0x0
	v_and_b32_e32 v46, 0xff, v2
	v_and_b32_e32 v2, 0xffff, v2
	s_delay_alu instid0(VALU_DEP_2)
	v_cmp_ne_u16_e64 s4, 0, v46
	v_mov_b32_e32 v46, 0
	s_and_saveexec_b32 s28, s4
	s_cbranch_execz .LBB251_225
; %bb.218:                              ;   in Loop: Header=BB251_9 Depth=1
	v_and_b32_e32 v46, 0xff, v2
	s_delay_alu instid0(VALU_DEP_1)
	v_cmp_ne_u16_e64 s4, 0x80, v46
	v_mov_b32_e32 v46, 0x8000
	s_and_saveexec_b32 s29, s4
	s_cbranch_execz .LBB251_224
; %bb.219:                              ;   in Loop: Header=BB251_9 Depth=1
	v_and_b32_e32 v48, 0x7f, v2
	v_mov_b32_e32 v46, 0x7c01
	s_mov_b32 s30, exec_lo
	s_delay_alu instid0(VALU_DEP_2)
	v_cmpx_ne_u32_e32 0x7f, v48
	s_cbranch_execz .LBB251_223
; %bb.220:                              ;   in Loop: Header=BB251_9 Depth=1
	v_dual_lshrrev_b32 v47, 3, v48 :: v_dual_bitop2_b32 v46, 7, v2 bitop3:0x40
	s_mov_b32 s31, exec_lo
	v_cmpx_gt_u32_e32 8, v48
; %bb.221:                              ;   in Loop: Header=BB251_9 Depth=1
	s_delay_alu instid0(VALU_DEP_2) | instskip(NEXT) | instid1(VALU_DEP_1)
	v_clz_i32_u32_e32 v46, v46
	v_min_u32_e32 v48, 32, v46
	s_delay_alu instid0(VALU_DEP_1) | instskip(NEXT) | instid1(VALU_DEP_1)
	v_subrev_nc_u32_e32 v46, 28, v48
	v_lshlrev_b64_e32 v[46:47], v46, v[2:3]
	s_delay_alu instid0(VALU_DEP_1)
	v_dual_sub_nc_u32 v47, 29, v48 :: v_dual_bitop2_b32 v46, 7, v46 bitop3:0x40
; %bb.222:                              ;   in Loop: Header=BB251_9 Depth=1
	s_or_b32 exec_lo, exec_lo, s31
	v_lshlrev_b32_e32 v48, 8, v2
	s_delay_alu instid0(VALU_DEP_2) | instskip(NEXT) | instid1(VALU_DEP_3)
	v_lshl_add_u32 v47, v47, 10, 0x2000
	v_lshlrev_b32_e32 v46, 7, v46
	s_delay_alu instid0(VALU_DEP_3) | instskip(NEXT) | instid1(VALU_DEP_3)
	v_and_b32_e32 v48, 0x8000, v48
	v_and_b32_e32 v47, 0xfc00, v47
	s_delay_alu instid0(VALU_DEP_1)
	v_or3_b32 v46, v48, v47, v46
.LBB251_223:                            ;   in Loop: Header=BB251_9 Depth=1
	s_or_b32 exec_lo, exec_lo, s30
.LBB251_224:                            ;   in Loop: Header=BB251_9 Depth=1
	s_delay_alu instid0(SALU_CYCLE_1)
	s_or_b32 exec_lo, exec_lo, s29
.LBB251_225:                            ;   in Loop: Header=BB251_9 Depth=1
	s_delay_alu instid0(SALU_CYCLE_1) | instskip(SKIP_2) | instid1(VALU_DEP_1)
	s_or_b32 exec_lo, exec_lo, s28
	v_lshrrev_b16 v2, 8, v2
	s_mov_b32 s28, exec_lo
	v_cmpx_ne_u16_e32 0, v2
	s_cbranch_execz .LBB251_233
; %bb.226:                              ;   in Loop: Header=BB251_9 Depth=1
	v_bfrev_b32_e32 v45, 1
	s_mov_b32 s29, exec_lo
	v_cmpx_ne_u16_e32 0x80, v2
	s_cbranch_execz .LBB251_232
; %bb.227:                              ;   in Loop: Header=BB251_9 Depth=1
	v_and_b32_e32 v47, 0xffff, v2
	v_mov_b32_e32 v45, 0x7c010000
	s_mov_b32 s30, exec_lo
	s_delay_alu instid0(VALU_DEP_2) | instskip(NEXT) | instid1(VALU_DEP_1)
	v_and_b32_e32 v49, 0x7f, v47
	v_cmpx_ne_u32_e32 0x7f, v49
	s_cbranch_execz .LBB251_231
; %bb.228:                              ;   in Loop: Header=BB251_9 Depth=1
	v_dual_lshrrev_b32 v48, 3, v49 :: v_dual_bitop2_b32 v45, 7, v47 bitop3:0x40
	s_mov_b32 s31, exec_lo
	v_cmpx_gt_u32_e32 8, v49
; %bb.229:                              ;   in Loop: Header=BB251_9 Depth=1
	s_delay_alu instid0(VALU_DEP_2) | instskip(NEXT) | instid1(VALU_DEP_1)
	v_clz_i32_u32_e32 v45, v45
	v_min_u32_e32 v45, 32, v45
	s_delay_alu instid0(VALU_DEP_1) | instskip(NEXT) | instid1(VALU_DEP_1)
	v_subrev_nc_u32_e32 v48, 28, v45
	v_lshlrev_b64_e32 v[50:51], v48, v[2:3]
	s_delay_alu instid0(VALU_DEP_1)
	v_dual_sub_nc_u32 v48, 29, v45 :: v_dual_bitop2_b32 v45, 7, v50 bitop3:0x40
; %bb.230:                              ;   in Loop: Header=BB251_9 Depth=1
	s_or_b32 exec_lo, exec_lo, s31
	s_delay_alu instid0(VALU_DEP_1) | instskip(NEXT) | instid1(VALU_DEP_2)
	v_dual_lshlrev_b32 v2, 8, v47 :: v_dual_lshlrev_b32 v45, 23, v45
	v_lshl_add_u32 v47, v48, 10, 0x2000
	s_delay_alu instid0(VALU_DEP_1) | instskip(NEXT) | instid1(VALU_DEP_1)
	v_and_or_b32 v2, 0x8000, v2, v47
	v_lshl_or_b32 v45, v2, 16, v45
.LBB251_231:                            ;   in Loop: Header=BB251_9 Depth=1
	s_or_b32 exec_lo, exec_lo, s30
.LBB251_232:                            ;   in Loop: Header=BB251_9 Depth=1
	s_delay_alu instid0(SALU_CYCLE_1)
	s_or_b32 exec_lo, exec_lo, s29
.LBB251_233:                            ;   in Loop: Header=BB251_9 Depth=1
	s_delay_alu instid0(SALU_CYCLE_1)
	s_or_b32 exec_lo, exec_lo, s28
	global_load_u16 v2, v[8:9], off offset:896
	v_mov_b32_e32 v47, 0
	s_wait_loadcnt 0x0
	v_and_b32_e32 v48, 0xff, v2
	v_and_b32_e32 v2, 0xffff, v2
	s_delay_alu instid0(VALU_DEP_2)
	v_cmp_ne_u16_e64 s4, 0, v48
	v_mov_b32_e32 v48, 0
	s_and_saveexec_b32 s28, s4
	s_cbranch_execz .LBB251_241
; %bb.234:                              ;   in Loop: Header=BB251_9 Depth=1
	v_and_b32_e32 v48, 0xff, v2
	s_delay_alu instid0(VALU_DEP_1)
	v_cmp_ne_u16_e64 s4, 0x80, v48
	v_mov_b32_e32 v48, 0x8000
	s_and_saveexec_b32 s29, s4
	s_cbranch_execz .LBB251_240
; %bb.235:                              ;   in Loop: Header=BB251_9 Depth=1
	v_and_b32_e32 v50, 0x7f, v2
	v_mov_b32_e32 v48, 0x7c01
	s_mov_b32 s30, exec_lo
	s_delay_alu instid0(VALU_DEP_2)
	v_cmpx_ne_u32_e32 0x7f, v50
	s_cbranch_execz .LBB251_239
; %bb.236:                              ;   in Loop: Header=BB251_9 Depth=1
	v_and_b32_e32 v48, 7, v2
	v_lshrrev_b32_e32 v49, 3, v50
	s_mov_b32 s31, exec_lo
	v_cmpx_gt_u32_e32 8, v50
; %bb.237:                              ;   in Loop: Header=BB251_9 Depth=1
	s_delay_alu instid0(VALU_DEP_3) | instskip(NEXT) | instid1(VALU_DEP_1)
	v_clz_i32_u32_e32 v48, v48
	v_min_u32_e32 v50, 32, v48
	s_delay_alu instid0(VALU_DEP_1) | instskip(NEXT) | instid1(VALU_DEP_1)
	v_subrev_nc_u32_e32 v48, 28, v50
	v_lshlrev_b64_e32 v[48:49], v48, v[2:3]
	s_delay_alu instid0(VALU_DEP_1)
	v_dual_sub_nc_u32 v49, 29, v50 :: v_dual_bitop2_b32 v48, 7, v48 bitop3:0x40
; %bb.238:                              ;   in Loop: Header=BB251_9 Depth=1
	s_or_b32 exec_lo, exec_lo, s31
	s_delay_alu instid0(VALU_DEP_1) | instskip(NEXT) | instid1(VALU_DEP_2)
	v_dual_lshlrev_b32 v50, 8, v2 :: v_dual_lshlrev_b32 v48, 7, v48
	v_lshl_add_u32 v49, v49, 10, 0x2000
	s_delay_alu instid0(VALU_DEP_2) | instskip(NEXT) | instid1(VALU_DEP_2)
	v_and_b32_e32 v50, 0x8000, v50
	v_and_b32_e32 v49, 0xfc00, v49
	s_delay_alu instid0(VALU_DEP_1)
	v_or3_b32 v48, v50, v49, v48
.LBB251_239:                            ;   in Loop: Header=BB251_9 Depth=1
	s_or_b32 exec_lo, exec_lo, s30
.LBB251_240:                            ;   in Loop: Header=BB251_9 Depth=1
	s_delay_alu instid0(SALU_CYCLE_1)
	s_or_b32 exec_lo, exec_lo, s29
.LBB251_241:                            ;   in Loop: Header=BB251_9 Depth=1
	s_delay_alu instid0(SALU_CYCLE_1) | instskip(SKIP_2) | instid1(VALU_DEP_1)
	s_or_b32 exec_lo, exec_lo, s28
	v_lshrrev_b16 v2, 8, v2
	s_mov_b32 s28, exec_lo
	v_cmpx_ne_u16_e32 0, v2
	s_cbranch_execz .LBB251_249
; %bb.242:                              ;   in Loop: Header=BB251_9 Depth=1
	v_bfrev_b32_e32 v47, 1
	s_mov_b32 s29, exec_lo
	v_cmpx_ne_u16_e32 0x80, v2
	s_cbranch_execz .LBB251_248
; %bb.243:                              ;   in Loop: Header=BB251_9 Depth=1
	v_and_b32_e32 v49, 0xffff, v2
	v_mov_b32_e32 v47, 0x7c010000
	s_mov_b32 s30, exec_lo
	s_delay_alu instid0(VALU_DEP_2) | instskip(NEXT) | instid1(VALU_DEP_1)
	v_and_b32_e32 v51, 0x7f, v49
	v_cmpx_ne_u32_e32 0x7f, v51
	s_cbranch_execz .LBB251_247
; %bb.244:                              ;   in Loop: Header=BB251_9 Depth=1
	v_dual_lshrrev_b32 v50, 3, v51 :: v_dual_bitop2_b32 v47, 7, v49 bitop3:0x40
	s_mov_b32 s31, exec_lo
	v_cmpx_gt_u32_e32 8, v51
; %bb.245:                              ;   in Loop: Header=BB251_9 Depth=1
	s_delay_alu instid0(VALU_DEP_2) | instskip(NEXT) | instid1(VALU_DEP_1)
	v_clz_i32_u32_e32 v47, v47
	v_min_u32_e32 v47, 32, v47
	s_delay_alu instid0(VALU_DEP_1) | instskip(NEXT) | instid1(VALU_DEP_1)
	v_subrev_nc_u32_e32 v50, 28, v47
	v_lshlrev_b64_e32 v[52:53], v50, v[2:3]
	s_delay_alu instid0(VALU_DEP_1)
	v_dual_sub_nc_u32 v50, 29, v47 :: v_dual_bitop2_b32 v47, 7, v52 bitop3:0x40
; %bb.246:                              ;   in Loop: Header=BB251_9 Depth=1
	s_or_b32 exec_lo, exec_lo, s31
	s_delay_alu instid0(VALU_DEP_1) | instskip(NEXT) | instid1(VALU_DEP_2)
	v_dual_lshlrev_b32 v2, 8, v49 :: v_dual_lshlrev_b32 v47, 23, v47
	v_lshl_add_u32 v49, v50, 10, 0x2000
	s_delay_alu instid0(VALU_DEP_1) | instskip(NEXT) | instid1(VALU_DEP_1)
	v_and_or_b32 v2, 0x8000, v2, v49
	v_lshl_or_b32 v47, v2, 16, v47
.LBB251_247:                            ;   in Loop: Header=BB251_9 Depth=1
	s_or_b32 exec_lo, exec_lo, s30
.LBB251_248:                            ;   in Loop: Header=BB251_9 Depth=1
	s_delay_alu instid0(SALU_CYCLE_1)
	s_or_b32 exec_lo, exec_lo, s29
.LBB251_249:                            ;   in Loop: Header=BB251_9 Depth=1
	s_delay_alu instid0(SALU_CYCLE_1)
	s_or_b32 exec_lo, exec_lo, s28
	global_load_u16 v2, v[8:9], off offset:904
	v_mov_b32_e32 v49, 0
	s_wait_loadcnt 0x0
	v_and_b32_e32 v50, 0xff, v2
	v_and_b32_e32 v2, 0xffff, v2
	s_delay_alu instid0(VALU_DEP_2)
	v_cmp_ne_u16_e64 s4, 0, v50
	v_mov_b32_e32 v50, 0
	s_and_saveexec_b32 s28, s4
	s_cbranch_execz .LBB251_257
; %bb.250:                              ;   in Loop: Header=BB251_9 Depth=1
	v_and_b32_e32 v50, 0xff, v2
	s_delay_alu instid0(VALU_DEP_1)
	v_cmp_ne_u16_e64 s4, 0x80, v50
	v_mov_b32_e32 v50, 0x8000
	s_and_saveexec_b32 s29, s4
	s_cbranch_execz .LBB251_256
; %bb.251:                              ;   in Loop: Header=BB251_9 Depth=1
	v_and_b32_e32 v52, 0x7f, v2
	v_mov_b32_e32 v50, 0x7c01
	s_mov_b32 s30, exec_lo
	s_delay_alu instid0(VALU_DEP_2)
	v_cmpx_ne_u32_e32 0x7f, v52
	s_cbranch_execz .LBB251_255
; %bb.252:                              ;   in Loop: Header=BB251_9 Depth=1
	v_dual_lshrrev_b32 v51, 3, v52 :: v_dual_bitop2_b32 v50, 7, v2 bitop3:0x40
	s_mov_b32 s31, exec_lo
	v_cmpx_gt_u32_e32 8, v52
; %bb.253:                              ;   in Loop: Header=BB251_9 Depth=1
	s_delay_alu instid0(VALU_DEP_2) | instskip(NEXT) | instid1(VALU_DEP_1)
	v_clz_i32_u32_e32 v50, v50
	v_min_u32_e32 v52, 32, v50
	s_delay_alu instid0(VALU_DEP_1) | instskip(NEXT) | instid1(VALU_DEP_1)
	v_subrev_nc_u32_e32 v50, 28, v52
	v_lshlrev_b64_e32 v[50:51], v50, v[2:3]
	s_delay_alu instid0(VALU_DEP_1)
	v_dual_sub_nc_u32 v51, 29, v52 :: v_dual_bitop2_b32 v50, 7, v50 bitop3:0x40
; %bb.254:                              ;   in Loop: Header=BB251_9 Depth=1
	s_or_b32 exec_lo, exec_lo, s31
	v_lshlrev_b32_e32 v52, 8, v2
	s_delay_alu instid0(VALU_DEP_2) | instskip(NEXT) | instid1(VALU_DEP_3)
	v_lshl_add_u32 v51, v51, 10, 0x2000
	v_lshlrev_b32_e32 v50, 7, v50
	s_delay_alu instid0(VALU_DEP_3) | instskip(NEXT) | instid1(VALU_DEP_3)
	v_and_b32_e32 v52, 0x8000, v52
	v_and_b32_e32 v51, 0xfc00, v51
	s_delay_alu instid0(VALU_DEP_1)
	v_or3_b32 v50, v52, v51, v50
.LBB251_255:                            ;   in Loop: Header=BB251_9 Depth=1
	s_or_b32 exec_lo, exec_lo, s30
.LBB251_256:                            ;   in Loop: Header=BB251_9 Depth=1
	s_delay_alu instid0(SALU_CYCLE_1)
	s_or_b32 exec_lo, exec_lo, s29
.LBB251_257:                            ;   in Loop: Header=BB251_9 Depth=1
	s_delay_alu instid0(SALU_CYCLE_1) | instskip(SKIP_2) | instid1(VALU_DEP_1)
	s_or_b32 exec_lo, exec_lo, s28
	v_lshrrev_b16 v2, 8, v2
	s_mov_b32 s28, exec_lo
	v_cmpx_ne_u16_e32 0, v2
	s_cbranch_execz .LBB251_265
; %bb.258:                              ;   in Loop: Header=BB251_9 Depth=1
	v_bfrev_b32_e32 v49, 1
	s_mov_b32 s29, exec_lo
	v_cmpx_ne_u16_e32 0x80, v2
	s_cbranch_execz .LBB251_264
; %bb.259:                              ;   in Loop: Header=BB251_9 Depth=1
	v_and_b32_e32 v51, 0xffff, v2
	v_mov_b32_e32 v49, 0x7c010000
	s_mov_b32 s30, exec_lo
	s_delay_alu instid0(VALU_DEP_2) | instskip(NEXT) | instid1(VALU_DEP_1)
	v_and_b32_e32 v53, 0x7f, v51
	v_cmpx_ne_u32_e32 0x7f, v53
	s_cbranch_execz .LBB251_263
; %bb.260:                              ;   in Loop: Header=BB251_9 Depth=1
	v_dual_lshrrev_b32 v52, 3, v53 :: v_dual_bitop2_b32 v49, 7, v51 bitop3:0x40
	s_mov_b32 s31, exec_lo
	v_cmpx_gt_u32_e32 8, v53
; %bb.261:                              ;   in Loop: Header=BB251_9 Depth=1
	s_delay_alu instid0(VALU_DEP_2) | instskip(NEXT) | instid1(VALU_DEP_1)
	v_clz_i32_u32_e32 v49, v49
	v_min_u32_e32 v49, 32, v49
	s_delay_alu instid0(VALU_DEP_1) | instskip(NEXT) | instid1(VALU_DEP_1)
	v_subrev_nc_u32_e32 v52, 28, v49
	v_lshlrev_b64_e32 v[54:55], v52, v[2:3]
	s_delay_alu instid0(VALU_DEP_1)
	v_dual_sub_nc_u32 v52, 29, v49 :: v_dual_bitop2_b32 v49, 7, v54 bitop3:0x40
; %bb.262:                              ;   in Loop: Header=BB251_9 Depth=1
	s_or_b32 exec_lo, exec_lo, s31
	s_delay_alu instid0(VALU_DEP_1) | instskip(NEXT) | instid1(VALU_DEP_2)
	v_dual_lshlrev_b32 v2, 8, v51 :: v_dual_lshlrev_b32 v49, 23, v49
	v_lshl_add_u32 v51, v52, 10, 0x2000
	s_delay_alu instid0(VALU_DEP_1) | instskip(NEXT) | instid1(VALU_DEP_1)
	v_and_or_b32 v2, 0x8000, v2, v51
	v_lshl_or_b32 v49, v2, 16, v49
.LBB251_263:                            ;   in Loop: Header=BB251_9 Depth=1
	s_or_b32 exec_lo, exec_lo, s30
.LBB251_264:                            ;   in Loop: Header=BB251_9 Depth=1
	s_delay_alu instid0(SALU_CYCLE_1)
	s_or_b32 exec_lo, exec_lo, s29
.LBB251_265:                            ;   in Loop: Header=BB251_9 Depth=1
	s_delay_alu instid0(SALU_CYCLE_1)
	s_or_b32 exec_lo, exec_lo, s28
	global_load_u16 v2, v[8:9], off offset:1024
	v_mov_b32_e32 v51, 0
	s_wait_loadcnt 0x0
	v_and_b32_e32 v52, 0xff, v2
	v_and_b32_e32 v2, 0xffff, v2
	s_delay_alu instid0(VALU_DEP_2)
	v_cmp_ne_u16_e64 s4, 0, v52
	v_mov_b32_e32 v52, 0
	s_and_saveexec_b32 s28, s4
	s_cbranch_execz .LBB251_273
; %bb.266:                              ;   in Loop: Header=BB251_9 Depth=1
	v_and_b32_e32 v52, 0xff, v2
	s_delay_alu instid0(VALU_DEP_1)
	v_cmp_ne_u16_e64 s4, 0x80, v52
	v_mov_b32_e32 v52, 0x8000
	s_and_saveexec_b32 s29, s4
	s_cbranch_execz .LBB251_272
; %bb.267:                              ;   in Loop: Header=BB251_9 Depth=1
	v_and_b32_e32 v54, 0x7f, v2
	v_mov_b32_e32 v52, 0x7c01
	s_mov_b32 s30, exec_lo
	s_delay_alu instid0(VALU_DEP_2)
	v_cmpx_ne_u32_e32 0x7f, v54
	s_cbranch_execz .LBB251_271
; %bb.268:                              ;   in Loop: Header=BB251_9 Depth=1
	v_and_b32_e32 v52, 7, v2
	v_lshrrev_b32_e32 v53, 3, v54
	s_mov_b32 s31, exec_lo
	v_cmpx_gt_u32_e32 8, v54
; %bb.269:                              ;   in Loop: Header=BB251_9 Depth=1
	s_delay_alu instid0(VALU_DEP_3) | instskip(NEXT) | instid1(VALU_DEP_1)
	v_clz_i32_u32_e32 v52, v52
	v_min_u32_e32 v54, 32, v52
	s_delay_alu instid0(VALU_DEP_1) | instskip(NEXT) | instid1(VALU_DEP_1)
	v_subrev_nc_u32_e32 v52, 28, v54
	v_lshlrev_b64_e32 v[52:53], v52, v[2:3]
	s_delay_alu instid0(VALU_DEP_1)
	v_dual_sub_nc_u32 v53, 29, v54 :: v_dual_bitop2_b32 v52, 7, v52 bitop3:0x40
; %bb.270:                              ;   in Loop: Header=BB251_9 Depth=1
	s_or_b32 exec_lo, exec_lo, s31
	s_delay_alu instid0(VALU_DEP_1) | instskip(NEXT) | instid1(VALU_DEP_2)
	v_dual_lshlrev_b32 v54, 8, v2 :: v_dual_lshlrev_b32 v52, 7, v52
	v_lshl_add_u32 v53, v53, 10, 0x2000
	s_delay_alu instid0(VALU_DEP_2) | instskip(NEXT) | instid1(VALU_DEP_2)
	v_and_b32_e32 v54, 0x8000, v54
	v_and_b32_e32 v53, 0xfc00, v53
	s_delay_alu instid0(VALU_DEP_1)
	v_or3_b32 v52, v54, v53, v52
.LBB251_271:                            ;   in Loop: Header=BB251_9 Depth=1
	s_or_b32 exec_lo, exec_lo, s30
.LBB251_272:                            ;   in Loop: Header=BB251_9 Depth=1
	s_delay_alu instid0(SALU_CYCLE_1)
	s_or_b32 exec_lo, exec_lo, s29
.LBB251_273:                            ;   in Loop: Header=BB251_9 Depth=1
	s_delay_alu instid0(SALU_CYCLE_1) | instskip(SKIP_2) | instid1(VALU_DEP_1)
	s_or_b32 exec_lo, exec_lo, s28
	v_lshrrev_b16 v2, 8, v2
	s_mov_b32 s28, exec_lo
	v_cmpx_ne_u16_e32 0, v2
	s_cbranch_execz .LBB251_281
; %bb.274:                              ;   in Loop: Header=BB251_9 Depth=1
	v_bfrev_b32_e32 v51, 1
	s_mov_b32 s29, exec_lo
	v_cmpx_ne_u16_e32 0x80, v2
	s_cbranch_execz .LBB251_280
; %bb.275:                              ;   in Loop: Header=BB251_9 Depth=1
	v_and_b32_e32 v53, 0xffff, v2
	v_mov_b32_e32 v51, 0x7c010000
	s_mov_b32 s30, exec_lo
	s_delay_alu instid0(VALU_DEP_2) | instskip(NEXT) | instid1(VALU_DEP_1)
	v_and_b32_e32 v55, 0x7f, v53
	v_cmpx_ne_u32_e32 0x7f, v55
	s_cbranch_execz .LBB251_279
; %bb.276:                              ;   in Loop: Header=BB251_9 Depth=1
	v_dual_lshrrev_b32 v54, 3, v55 :: v_dual_bitop2_b32 v51, 7, v53 bitop3:0x40
	s_mov_b32 s31, exec_lo
	v_cmpx_gt_u32_e32 8, v55
; %bb.277:                              ;   in Loop: Header=BB251_9 Depth=1
	s_delay_alu instid0(VALU_DEP_2) | instskip(NEXT) | instid1(VALU_DEP_1)
	v_clz_i32_u32_e32 v51, v51
	v_min_u32_e32 v51, 32, v51
	s_delay_alu instid0(VALU_DEP_1) | instskip(NEXT) | instid1(VALU_DEP_1)
	v_subrev_nc_u32_e32 v54, 28, v51
	v_lshlrev_b64_e32 v[56:57], v54, v[2:3]
	s_delay_alu instid0(VALU_DEP_1)
	v_dual_sub_nc_u32 v54, 29, v51 :: v_dual_bitop2_b32 v51, 7, v56 bitop3:0x40
; %bb.278:                              ;   in Loop: Header=BB251_9 Depth=1
	s_or_b32 exec_lo, exec_lo, s31
	s_delay_alu instid0(VALU_DEP_1) | instskip(NEXT) | instid1(VALU_DEP_2)
	v_dual_lshlrev_b32 v2, 8, v53 :: v_dual_lshlrev_b32 v51, 23, v51
	v_lshl_add_u32 v53, v54, 10, 0x2000
	s_delay_alu instid0(VALU_DEP_1) | instskip(NEXT) | instid1(VALU_DEP_1)
	v_and_or_b32 v2, 0x8000, v2, v53
	v_lshl_or_b32 v51, v2, 16, v51
.LBB251_279:                            ;   in Loop: Header=BB251_9 Depth=1
	s_or_b32 exec_lo, exec_lo, s30
.LBB251_280:                            ;   in Loop: Header=BB251_9 Depth=1
	s_delay_alu instid0(SALU_CYCLE_1)
	s_or_b32 exec_lo, exec_lo, s29
.LBB251_281:                            ;   in Loop: Header=BB251_9 Depth=1
	s_delay_alu instid0(SALU_CYCLE_1)
	s_or_b32 exec_lo, exec_lo, s28
	global_load_u16 v2, v[8:9], off offset:1032
	v_mov_b32_e32 v53, 0
	s_wait_loadcnt 0x0
	v_and_b32_e32 v54, 0xff, v2
	v_and_b32_e32 v2, 0xffff, v2
	s_delay_alu instid0(VALU_DEP_2)
	v_cmp_ne_u16_e64 s4, 0, v54
	v_mov_b32_e32 v54, 0
	s_and_saveexec_b32 s28, s4
	s_cbranch_execz .LBB251_289
; %bb.282:                              ;   in Loop: Header=BB251_9 Depth=1
	v_and_b32_e32 v54, 0xff, v2
	s_delay_alu instid0(VALU_DEP_1)
	v_cmp_ne_u16_e64 s4, 0x80, v54
	v_mov_b32_e32 v54, 0x8000
	s_and_saveexec_b32 s29, s4
	s_cbranch_execz .LBB251_288
; %bb.283:                              ;   in Loop: Header=BB251_9 Depth=1
	v_and_b32_e32 v56, 0x7f, v2
	v_mov_b32_e32 v54, 0x7c01
	s_mov_b32 s30, exec_lo
	s_delay_alu instid0(VALU_DEP_2)
	v_cmpx_ne_u32_e32 0x7f, v56
	s_cbranch_execz .LBB251_287
; %bb.284:                              ;   in Loop: Header=BB251_9 Depth=1
	v_dual_lshrrev_b32 v55, 3, v56 :: v_dual_bitop2_b32 v54, 7, v2 bitop3:0x40
	s_mov_b32 s31, exec_lo
	v_cmpx_gt_u32_e32 8, v56
; %bb.285:                              ;   in Loop: Header=BB251_9 Depth=1
	s_delay_alu instid0(VALU_DEP_2) | instskip(NEXT) | instid1(VALU_DEP_1)
	v_clz_i32_u32_e32 v54, v54
	v_min_u32_e32 v56, 32, v54
	s_delay_alu instid0(VALU_DEP_1) | instskip(NEXT) | instid1(VALU_DEP_1)
	v_subrev_nc_u32_e32 v54, 28, v56
	v_lshlrev_b64_e32 v[54:55], v54, v[2:3]
	s_delay_alu instid0(VALU_DEP_1)
	v_dual_sub_nc_u32 v55, 29, v56 :: v_dual_bitop2_b32 v54, 7, v54 bitop3:0x40
; %bb.286:                              ;   in Loop: Header=BB251_9 Depth=1
	s_or_b32 exec_lo, exec_lo, s31
	v_lshlrev_b32_e32 v56, 8, v2
	s_delay_alu instid0(VALU_DEP_2) | instskip(NEXT) | instid1(VALU_DEP_3)
	v_lshl_add_u32 v55, v55, 10, 0x2000
	v_lshlrev_b32_e32 v54, 7, v54
	s_delay_alu instid0(VALU_DEP_3) | instskip(NEXT) | instid1(VALU_DEP_3)
	v_and_b32_e32 v56, 0x8000, v56
	v_and_b32_e32 v55, 0xfc00, v55
	s_delay_alu instid0(VALU_DEP_1)
	v_or3_b32 v54, v56, v55, v54
.LBB251_287:                            ;   in Loop: Header=BB251_9 Depth=1
	s_or_b32 exec_lo, exec_lo, s30
.LBB251_288:                            ;   in Loop: Header=BB251_9 Depth=1
	s_delay_alu instid0(SALU_CYCLE_1)
	s_or_b32 exec_lo, exec_lo, s29
.LBB251_289:                            ;   in Loop: Header=BB251_9 Depth=1
	s_delay_alu instid0(SALU_CYCLE_1) | instskip(SKIP_2) | instid1(VALU_DEP_1)
	s_or_b32 exec_lo, exec_lo, s28
	v_lshrrev_b16 v2, 8, v2
	s_mov_b32 s28, exec_lo
	v_cmpx_ne_u16_e32 0, v2
	s_cbranch_execz .LBB251_297
; %bb.290:                              ;   in Loop: Header=BB251_9 Depth=1
	v_bfrev_b32_e32 v53, 1
	s_mov_b32 s29, exec_lo
	v_cmpx_ne_u16_e32 0x80, v2
	s_cbranch_execz .LBB251_296
; %bb.291:                              ;   in Loop: Header=BB251_9 Depth=1
	v_and_b32_e32 v55, 0xffff, v2
	v_mov_b32_e32 v53, 0x7c010000
	s_mov_b32 s30, exec_lo
	s_delay_alu instid0(VALU_DEP_2) | instskip(NEXT) | instid1(VALU_DEP_1)
	v_and_b32_e32 v57, 0x7f, v55
	v_cmpx_ne_u32_e32 0x7f, v57
	s_cbranch_execz .LBB251_295
; %bb.292:                              ;   in Loop: Header=BB251_9 Depth=1
	v_dual_lshrrev_b32 v56, 3, v57 :: v_dual_bitop2_b32 v53, 7, v55 bitop3:0x40
	s_mov_b32 s31, exec_lo
	v_cmpx_gt_u32_e32 8, v57
; %bb.293:                              ;   in Loop: Header=BB251_9 Depth=1
	s_delay_alu instid0(VALU_DEP_2) | instskip(NEXT) | instid1(VALU_DEP_1)
	v_clz_i32_u32_e32 v53, v53
	v_min_u32_e32 v53, 32, v53
	s_delay_alu instid0(VALU_DEP_1) | instskip(NEXT) | instid1(VALU_DEP_1)
	v_subrev_nc_u32_e32 v56, 28, v53
	v_lshlrev_b64_e32 v[58:59], v56, v[2:3]
	s_delay_alu instid0(VALU_DEP_1)
	v_dual_sub_nc_u32 v56, 29, v53 :: v_dual_bitop2_b32 v53, 7, v58 bitop3:0x40
; %bb.294:                              ;   in Loop: Header=BB251_9 Depth=1
	s_or_b32 exec_lo, exec_lo, s31
	s_delay_alu instid0(VALU_DEP_1) | instskip(NEXT) | instid1(VALU_DEP_2)
	v_dual_lshlrev_b32 v2, 8, v55 :: v_dual_lshlrev_b32 v53, 23, v53
	v_lshl_add_u32 v55, v56, 10, 0x2000
	s_delay_alu instid0(VALU_DEP_1) | instskip(NEXT) | instid1(VALU_DEP_1)
	v_and_or_b32 v2, 0x8000, v2, v55
	v_lshl_or_b32 v53, v2, 16, v53
.LBB251_295:                            ;   in Loop: Header=BB251_9 Depth=1
	s_or_b32 exec_lo, exec_lo, s30
.LBB251_296:                            ;   in Loop: Header=BB251_9 Depth=1
	s_delay_alu instid0(SALU_CYCLE_1)
	s_or_b32 exec_lo, exec_lo, s29
.LBB251_297:                            ;   in Loop: Header=BB251_9 Depth=1
	s_delay_alu instid0(SALU_CYCLE_1)
	s_or_b32 exec_lo, exec_lo, s28
	global_load_u16 v2, v[8:9], off offset:1152
	v_mov_b32_e32 v55, 0
	s_wait_loadcnt 0x0
	v_and_b32_e32 v56, 0xff, v2
	v_and_b32_e32 v2, 0xffff, v2
	s_delay_alu instid0(VALU_DEP_2)
	v_cmp_ne_u16_e64 s4, 0, v56
	v_mov_b32_e32 v56, 0
	s_and_saveexec_b32 s28, s4
	s_cbranch_execz .LBB251_305
; %bb.298:                              ;   in Loop: Header=BB251_9 Depth=1
	v_and_b32_e32 v56, 0xff, v2
	s_delay_alu instid0(VALU_DEP_1)
	v_cmp_ne_u16_e64 s4, 0x80, v56
	v_mov_b32_e32 v56, 0x8000
	s_and_saveexec_b32 s29, s4
	s_cbranch_execz .LBB251_304
; %bb.299:                              ;   in Loop: Header=BB251_9 Depth=1
	v_and_b32_e32 v58, 0x7f, v2
	v_mov_b32_e32 v56, 0x7c01
	s_mov_b32 s30, exec_lo
	s_delay_alu instid0(VALU_DEP_2)
	v_cmpx_ne_u32_e32 0x7f, v58
	s_cbranch_execz .LBB251_303
; %bb.300:                              ;   in Loop: Header=BB251_9 Depth=1
	v_and_b32_e32 v56, 7, v2
	v_lshrrev_b32_e32 v57, 3, v58
	s_mov_b32 s31, exec_lo
	v_cmpx_gt_u32_e32 8, v58
; %bb.301:                              ;   in Loop: Header=BB251_9 Depth=1
	s_delay_alu instid0(VALU_DEP_3) | instskip(NEXT) | instid1(VALU_DEP_1)
	v_clz_i32_u32_e32 v56, v56
	v_min_u32_e32 v58, 32, v56
	s_delay_alu instid0(VALU_DEP_1) | instskip(NEXT) | instid1(VALU_DEP_1)
	v_subrev_nc_u32_e32 v56, 28, v58
	v_lshlrev_b64_e32 v[56:57], v56, v[2:3]
	s_delay_alu instid0(VALU_DEP_1)
	v_dual_sub_nc_u32 v57, 29, v58 :: v_dual_bitop2_b32 v56, 7, v56 bitop3:0x40
; %bb.302:                              ;   in Loop: Header=BB251_9 Depth=1
	s_or_b32 exec_lo, exec_lo, s31
	s_delay_alu instid0(VALU_DEP_1) | instskip(NEXT) | instid1(VALU_DEP_2)
	v_dual_lshlrev_b32 v58, 8, v2 :: v_dual_lshlrev_b32 v56, 7, v56
	v_lshl_add_u32 v57, v57, 10, 0x2000
	s_delay_alu instid0(VALU_DEP_2) | instskip(NEXT) | instid1(VALU_DEP_2)
	v_and_b32_e32 v58, 0x8000, v58
	v_and_b32_e32 v57, 0xfc00, v57
	s_delay_alu instid0(VALU_DEP_1)
	v_or3_b32 v56, v58, v57, v56
.LBB251_303:                            ;   in Loop: Header=BB251_9 Depth=1
	s_or_b32 exec_lo, exec_lo, s30
.LBB251_304:                            ;   in Loop: Header=BB251_9 Depth=1
	s_delay_alu instid0(SALU_CYCLE_1)
	s_or_b32 exec_lo, exec_lo, s29
.LBB251_305:                            ;   in Loop: Header=BB251_9 Depth=1
	s_delay_alu instid0(SALU_CYCLE_1) | instskip(SKIP_2) | instid1(VALU_DEP_1)
	s_or_b32 exec_lo, exec_lo, s28
	v_lshrrev_b16 v2, 8, v2
	s_mov_b32 s28, exec_lo
	v_cmpx_ne_u16_e32 0, v2
	s_cbranch_execz .LBB251_313
; %bb.306:                              ;   in Loop: Header=BB251_9 Depth=1
	v_bfrev_b32_e32 v55, 1
	s_mov_b32 s29, exec_lo
	v_cmpx_ne_u16_e32 0x80, v2
	s_cbranch_execz .LBB251_312
; %bb.307:                              ;   in Loop: Header=BB251_9 Depth=1
	v_and_b32_e32 v57, 0xffff, v2
	v_mov_b32_e32 v55, 0x7c010000
	s_mov_b32 s30, exec_lo
	s_delay_alu instid0(VALU_DEP_2) | instskip(NEXT) | instid1(VALU_DEP_1)
	v_and_b32_e32 v59, 0x7f, v57
	v_cmpx_ne_u32_e32 0x7f, v59
	s_cbranch_execz .LBB251_311
; %bb.308:                              ;   in Loop: Header=BB251_9 Depth=1
	v_dual_lshrrev_b32 v58, 3, v59 :: v_dual_bitop2_b32 v55, 7, v57 bitop3:0x40
	s_mov_b32 s31, exec_lo
	v_cmpx_gt_u32_e32 8, v59
; %bb.309:                              ;   in Loop: Header=BB251_9 Depth=1
	s_delay_alu instid0(VALU_DEP_2) | instskip(NEXT) | instid1(VALU_DEP_1)
	v_clz_i32_u32_e32 v55, v55
	v_min_u32_e32 v55, 32, v55
	s_delay_alu instid0(VALU_DEP_1) | instskip(NEXT) | instid1(VALU_DEP_1)
	v_subrev_nc_u32_e32 v58, 28, v55
	v_lshlrev_b64_e32 v[60:61], v58, v[2:3]
	s_delay_alu instid0(VALU_DEP_1)
	v_dual_sub_nc_u32 v58, 29, v55 :: v_dual_bitop2_b32 v55, 7, v60 bitop3:0x40
; %bb.310:                              ;   in Loop: Header=BB251_9 Depth=1
	s_or_b32 exec_lo, exec_lo, s31
	s_delay_alu instid0(VALU_DEP_1) | instskip(NEXT) | instid1(VALU_DEP_2)
	v_dual_lshlrev_b32 v2, 8, v57 :: v_dual_lshlrev_b32 v55, 23, v55
	v_lshl_add_u32 v57, v58, 10, 0x2000
	s_delay_alu instid0(VALU_DEP_1) | instskip(NEXT) | instid1(VALU_DEP_1)
	v_and_or_b32 v2, 0x8000, v2, v57
	v_lshl_or_b32 v55, v2, 16, v55
.LBB251_311:                            ;   in Loop: Header=BB251_9 Depth=1
	s_or_b32 exec_lo, exec_lo, s30
.LBB251_312:                            ;   in Loop: Header=BB251_9 Depth=1
	s_delay_alu instid0(SALU_CYCLE_1)
	s_or_b32 exec_lo, exec_lo, s29
.LBB251_313:                            ;   in Loop: Header=BB251_9 Depth=1
	s_delay_alu instid0(SALU_CYCLE_1)
	s_or_b32 exec_lo, exec_lo, s28
	global_load_u16 v2, v[8:9], off offset:1160
	v_mov_b32_e32 v57, 0
	s_wait_loadcnt 0x0
	v_and_b32_e32 v58, 0xff, v2
	v_and_b32_e32 v2, 0xffff, v2
	s_delay_alu instid0(VALU_DEP_2)
	v_cmp_ne_u16_e64 s4, 0, v58
	v_mov_b32_e32 v58, 0
	s_and_saveexec_b32 s28, s4
	s_cbranch_execz .LBB251_321
; %bb.314:                              ;   in Loop: Header=BB251_9 Depth=1
	v_and_b32_e32 v58, 0xff, v2
	s_delay_alu instid0(VALU_DEP_1)
	v_cmp_ne_u16_e64 s4, 0x80, v58
	v_mov_b32_e32 v58, 0x8000
	s_and_saveexec_b32 s29, s4
	s_cbranch_execz .LBB251_320
; %bb.315:                              ;   in Loop: Header=BB251_9 Depth=1
	v_and_b32_e32 v60, 0x7f, v2
	v_mov_b32_e32 v58, 0x7c01
	s_mov_b32 s30, exec_lo
	s_delay_alu instid0(VALU_DEP_2)
	v_cmpx_ne_u32_e32 0x7f, v60
	s_cbranch_execz .LBB251_319
; %bb.316:                              ;   in Loop: Header=BB251_9 Depth=1
	v_dual_lshrrev_b32 v59, 3, v60 :: v_dual_bitop2_b32 v58, 7, v2 bitop3:0x40
	s_mov_b32 s31, exec_lo
	v_cmpx_gt_u32_e32 8, v60
; %bb.317:                              ;   in Loop: Header=BB251_9 Depth=1
	s_delay_alu instid0(VALU_DEP_2) | instskip(NEXT) | instid1(VALU_DEP_1)
	v_clz_i32_u32_e32 v58, v58
	v_min_u32_e32 v60, 32, v58
	s_delay_alu instid0(VALU_DEP_1) | instskip(NEXT) | instid1(VALU_DEP_1)
	v_subrev_nc_u32_e32 v58, 28, v60
	v_lshlrev_b64_e32 v[58:59], v58, v[2:3]
	s_delay_alu instid0(VALU_DEP_1)
	v_dual_sub_nc_u32 v59, 29, v60 :: v_dual_bitop2_b32 v58, 7, v58 bitop3:0x40
; %bb.318:                              ;   in Loop: Header=BB251_9 Depth=1
	s_or_b32 exec_lo, exec_lo, s31
	v_lshlrev_b32_e32 v60, 8, v2
	s_delay_alu instid0(VALU_DEP_2) | instskip(NEXT) | instid1(VALU_DEP_3)
	v_lshl_add_u32 v59, v59, 10, 0x2000
	v_lshlrev_b32_e32 v58, 7, v58
	s_delay_alu instid0(VALU_DEP_3) | instskip(NEXT) | instid1(VALU_DEP_3)
	v_and_b32_e32 v60, 0x8000, v60
	v_and_b32_e32 v59, 0xfc00, v59
	s_delay_alu instid0(VALU_DEP_1)
	v_or3_b32 v58, v60, v59, v58
.LBB251_319:                            ;   in Loop: Header=BB251_9 Depth=1
	s_or_b32 exec_lo, exec_lo, s30
.LBB251_320:                            ;   in Loop: Header=BB251_9 Depth=1
	s_delay_alu instid0(SALU_CYCLE_1)
	s_or_b32 exec_lo, exec_lo, s29
.LBB251_321:                            ;   in Loop: Header=BB251_9 Depth=1
	s_delay_alu instid0(SALU_CYCLE_1) | instskip(SKIP_2) | instid1(VALU_DEP_1)
	s_or_b32 exec_lo, exec_lo, s28
	v_lshrrev_b16 v2, 8, v2
	s_mov_b32 s28, exec_lo
	v_cmpx_ne_u16_e32 0, v2
	s_cbranch_execz .LBB251_329
; %bb.322:                              ;   in Loop: Header=BB251_9 Depth=1
	v_bfrev_b32_e32 v57, 1
	s_mov_b32 s29, exec_lo
	v_cmpx_ne_u16_e32 0x80, v2
	s_cbranch_execz .LBB251_328
; %bb.323:                              ;   in Loop: Header=BB251_9 Depth=1
	v_and_b32_e32 v59, 0xffff, v2
	v_mov_b32_e32 v57, 0x7c010000
	s_mov_b32 s30, exec_lo
	s_delay_alu instid0(VALU_DEP_2) | instskip(NEXT) | instid1(VALU_DEP_1)
	v_and_b32_e32 v61, 0x7f, v59
	v_cmpx_ne_u32_e32 0x7f, v61
	s_cbranch_execz .LBB251_327
; %bb.324:                              ;   in Loop: Header=BB251_9 Depth=1
	v_dual_lshrrev_b32 v60, 3, v61 :: v_dual_bitop2_b32 v57, 7, v59 bitop3:0x40
	s_mov_b32 s31, exec_lo
	v_cmpx_gt_u32_e32 8, v61
; %bb.325:                              ;   in Loop: Header=BB251_9 Depth=1
	s_delay_alu instid0(VALU_DEP_2) | instskip(NEXT) | instid1(VALU_DEP_1)
	v_clz_i32_u32_e32 v57, v57
	v_min_u32_e32 v57, 32, v57
	s_delay_alu instid0(VALU_DEP_1) | instskip(NEXT) | instid1(VALU_DEP_1)
	v_subrev_nc_u32_e32 v60, 28, v57
	v_lshlrev_b64_e32 v[62:63], v60, v[2:3]
	s_delay_alu instid0(VALU_DEP_1)
	v_dual_sub_nc_u32 v60, 29, v57 :: v_dual_bitop2_b32 v57, 7, v62 bitop3:0x40
; %bb.326:                              ;   in Loop: Header=BB251_9 Depth=1
	s_or_b32 exec_lo, exec_lo, s31
	s_delay_alu instid0(VALU_DEP_1) | instskip(NEXT) | instid1(VALU_DEP_2)
	v_dual_lshlrev_b32 v2, 8, v59 :: v_dual_lshlrev_b32 v57, 23, v57
	v_lshl_add_u32 v59, v60, 10, 0x2000
	s_delay_alu instid0(VALU_DEP_1) | instskip(NEXT) | instid1(VALU_DEP_1)
	v_and_or_b32 v2, 0x8000, v2, v59
	v_lshl_or_b32 v57, v2, 16, v57
.LBB251_327:                            ;   in Loop: Header=BB251_9 Depth=1
	s_or_b32 exec_lo, exec_lo, s30
.LBB251_328:                            ;   in Loop: Header=BB251_9 Depth=1
	s_delay_alu instid0(SALU_CYCLE_1)
	s_or_b32 exec_lo, exec_lo, s29
.LBB251_329:                            ;   in Loop: Header=BB251_9 Depth=1
	s_delay_alu instid0(SALU_CYCLE_1)
	s_or_b32 exec_lo, exec_lo, s28
	global_load_u16 v2, v[8:9], off offset:1280
	v_mov_b32_e32 v59, 0
	s_wait_loadcnt 0x0
	v_and_b32_e32 v60, 0xff, v2
	v_and_b32_e32 v2, 0xffff, v2
	s_delay_alu instid0(VALU_DEP_2)
	v_cmp_ne_u16_e64 s4, 0, v60
	v_mov_b32_e32 v60, 0
	s_and_saveexec_b32 s28, s4
	s_cbranch_execz .LBB251_337
; %bb.330:                              ;   in Loop: Header=BB251_9 Depth=1
	v_and_b32_e32 v60, 0xff, v2
	s_delay_alu instid0(VALU_DEP_1)
	v_cmp_ne_u16_e64 s4, 0x80, v60
	v_mov_b32_e32 v60, 0x8000
	s_and_saveexec_b32 s29, s4
	s_cbranch_execz .LBB251_336
; %bb.331:                              ;   in Loop: Header=BB251_9 Depth=1
	v_and_b32_e32 v62, 0x7f, v2
	v_mov_b32_e32 v60, 0x7c01
	s_mov_b32 s30, exec_lo
	s_delay_alu instid0(VALU_DEP_2)
	v_cmpx_ne_u32_e32 0x7f, v62
	s_cbranch_execz .LBB251_335
; %bb.332:                              ;   in Loop: Header=BB251_9 Depth=1
	v_and_b32_e32 v60, 7, v2
	v_lshrrev_b32_e32 v61, 3, v62
	s_mov_b32 s31, exec_lo
	v_cmpx_gt_u32_e32 8, v62
; %bb.333:                              ;   in Loop: Header=BB251_9 Depth=1
	s_delay_alu instid0(VALU_DEP_3) | instskip(NEXT) | instid1(VALU_DEP_1)
	v_clz_i32_u32_e32 v60, v60
	v_min_u32_e32 v62, 32, v60
	s_delay_alu instid0(VALU_DEP_1) | instskip(NEXT) | instid1(VALU_DEP_1)
	v_subrev_nc_u32_e32 v60, 28, v62
	v_lshlrev_b64_e32 v[60:61], v60, v[2:3]
	s_delay_alu instid0(VALU_DEP_1)
	v_dual_sub_nc_u32 v61, 29, v62 :: v_dual_bitop2_b32 v60, 7, v60 bitop3:0x40
; %bb.334:                              ;   in Loop: Header=BB251_9 Depth=1
	s_or_b32 exec_lo, exec_lo, s31
	s_delay_alu instid0(VALU_DEP_1) | instskip(NEXT) | instid1(VALU_DEP_2)
	v_dual_lshlrev_b32 v62, 8, v2 :: v_dual_lshlrev_b32 v60, 7, v60
	v_lshl_add_u32 v61, v61, 10, 0x2000
	s_delay_alu instid0(VALU_DEP_2) | instskip(NEXT) | instid1(VALU_DEP_2)
	v_and_b32_e32 v62, 0x8000, v62
	v_and_b32_e32 v61, 0xfc00, v61
	s_delay_alu instid0(VALU_DEP_1)
	v_or3_b32 v60, v62, v61, v60
.LBB251_335:                            ;   in Loop: Header=BB251_9 Depth=1
	s_or_b32 exec_lo, exec_lo, s30
.LBB251_336:                            ;   in Loop: Header=BB251_9 Depth=1
	s_delay_alu instid0(SALU_CYCLE_1)
	s_or_b32 exec_lo, exec_lo, s29
.LBB251_337:                            ;   in Loop: Header=BB251_9 Depth=1
	s_delay_alu instid0(SALU_CYCLE_1) | instskip(SKIP_2) | instid1(VALU_DEP_1)
	s_or_b32 exec_lo, exec_lo, s28
	v_lshrrev_b16 v2, 8, v2
	s_mov_b32 s28, exec_lo
	v_cmpx_ne_u16_e32 0, v2
	s_cbranch_execz .LBB251_345
; %bb.338:                              ;   in Loop: Header=BB251_9 Depth=1
	v_bfrev_b32_e32 v59, 1
	s_mov_b32 s29, exec_lo
	v_cmpx_ne_u16_e32 0x80, v2
	s_cbranch_execz .LBB251_344
; %bb.339:                              ;   in Loop: Header=BB251_9 Depth=1
	v_and_b32_e32 v61, 0xffff, v2
	v_mov_b32_e32 v59, 0x7c010000
	s_mov_b32 s30, exec_lo
	s_delay_alu instid0(VALU_DEP_2) | instskip(NEXT) | instid1(VALU_DEP_1)
	v_and_b32_e32 v63, 0x7f, v61
	v_cmpx_ne_u32_e32 0x7f, v63
	s_cbranch_execz .LBB251_343
; %bb.340:                              ;   in Loop: Header=BB251_9 Depth=1
	v_dual_lshrrev_b32 v62, 3, v63 :: v_dual_bitop2_b32 v59, 7, v61 bitop3:0x40
	s_mov_b32 s31, exec_lo
	v_cmpx_gt_u32_e32 8, v63
; %bb.341:                              ;   in Loop: Header=BB251_9 Depth=1
	s_delay_alu instid0(VALU_DEP_2) | instskip(NEXT) | instid1(VALU_DEP_1)
	v_clz_i32_u32_e32 v59, v59
	v_min_u32_e32 v59, 32, v59
	s_delay_alu instid0(VALU_DEP_1) | instskip(NEXT) | instid1(VALU_DEP_1)
	v_subrev_nc_u32_e32 v62, 28, v59
	v_lshlrev_b64_e32 v[64:65], v62, v[2:3]
	s_delay_alu instid0(VALU_DEP_1)
	v_dual_sub_nc_u32 v62, 29, v59 :: v_dual_bitop2_b32 v59, 7, v64 bitop3:0x40
; %bb.342:                              ;   in Loop: Header=BB251_9 Depth=1
	s_or_b32 exec_lo, exec_lo, s31
	s_delay_alu instid0(VALU_DEP_1) | instskip(NEXT) | instid1(VALU_DEP_2)
	v_dual_lshlrev_b32 v2, 8, v61 :: v_dual_lshlrev_b32 v59, 23, v59
	v_lshl_add_u32 v61, v62, 10, 0x2000
	s_delay_alu instid0(VALU_DEP_1) | instskip(NEXT) | instid1(VALU_DEP_1)
	v_and_or_b32 v2, 0x8000, v2, v61
	v_lshl_or_b32 v59, v2, 16, v59
.LBB251_343:                            ;   in Loop: Header=BB251_9 Depth=1
	s_or_b32 exec_lo, exec_lo, s30
.LBB251_344:                            ;   in Loop: Header=BB251_9 Depth=1
	s_delay_alu instid0(SALU_CYCLE_1)
	s_or_b32 exec_lo, exec_lo, s29
.LBB251_345:                            ;   in Loop: Header=BB251_9 Depth=1
	s_delay_alu instid0(SALU_CYCLE_1)
	s_or_b32 exec_lo, exec_lo, s28
	global_load_u16 v2, v[8:9], off offset:1288
	v_mov_b32_e32 v61, 0
	s_wait_loadcnt 0x0
	v_and_b32_e32 v62, 0xff, v2
	v_and_b32_e32 v2, 0xffff, v2
	s_delay_alu instid0(VALU_DEP_2)
	v_cmp_ne_u16_e64 s4, 0, v62
	v_mov_b32_e32 v62, 0
	s_and_saveexec_b32 s28, s4
	s_cbranch_execz .LBB251_353
; %bb.346:                              ;   in Loop: Header=BB251_9 Depth=1
	v_and_b32_e32 v62, 0xff, v2
	s_delay_alu instid0(VALU_DEP_1)
	v_cmp_ne_u16_e64 s4, 0x80, v62
	v_mov_b32_e32 v62, 0x8000
	s_and_saveexec_b32 s29, s4
	s_cbranch_execz .LBB251_352
; %bb.347:                              ;   in Loop: Header=BB251_9 Depth=1
	v_and_b32_e32 v64, 0x7f, v2
	v_mov_b32_e32 v62, 0x7c01
	s_mov_b32 s30, exec_lo
	s_delay_alu instid0(VALU_DEP_2)
	v_cmpx_ne_u32_e32 0x7f, v64
	s_cbranch_execz .LBB251_351
; %bb.348:                              ;   in Loop: Header=BB251_9 Depth=1
	v_dual_lshrrev_b32 v63, 3, v64 :: v_dual_bitop2_b32 v62, 7, v2 bitop3:0x40
	s_mov_b32 s31, exec_lo
	v_cmpx_gt_u32_e32 8, v64
; %bb.349:                              ;   in Loop: Header=BB251_9 Depth=1
	s_delay_alu instid0(VALU_DEP_2) | instskip(NEXT) | instid1(VALU_DEP_1)
	v_clz_i32_u32_e32 v62, v62
	v_min_u32_e32 v64, 32, v62
	s_delay_alu instid0(VALU_DEP_1) | instskip(NEXT) | instid1(VALU_DEP_1)
	v_subrev_nc_u32_e32 v62, 28, v64
	v_lshlrev_b64_e32 v[62:63], v62, v[2:3]
	s_delay_alu instid0(VALU_DEP_1)
	v_dual_sub_nc_u32 v63, 29, v64 :: v_dual_bitop2_b32 v62, 7, v62 bitop3:0x40
; %bb.350:                              ;   in Loop: Header=BB251_9 Depth=1
	s_or_b32 exec_lo, exec_lo, s31
	v_lshlrev_b32_e32 v64, 8, v2
	s_delay_alu instid0(VALU_DEP_2) | instskip(NEXT) | instid1(VALU_DEP_3)
	v_lshl_add_u32 v63, v63, 10, 0x2000
	v_lshlrev_b32_e32 v62, 7, v62
	s_delay_alu instid0(VALU_DEP_3) | instskip(NEXT) | instid1(VALU_DEP_3)
	v_and_b32_e32 v64, 0x8000, v64
	v_and_b32_e32 v63, 0xfc00, v63
	s_delay_alu instid0(VALU_DEP_1)
	v_or3_b32 v62, v64, v63, v62
.LBB251_351:                            ;   in Loop: Header=BB251_9 Depth=1
	s_or_b32 exec_lo, exec_lo, s30
.LBB251_352:                            ;   in Loop: Header=BB251_9 Depth=1
	s_delay_alu instid0(SALU_CYCLE_1)
	s_or_b32 exec_lo, exec_lo, s29
.LBB251_353:                            ;   in Loop: Header=BB251_9 Depth=1
	s_delay_alu instid0(SALU_CYCLE_1) | instskip(SKIP_2) | instid1(VALU_DEP_1)
	s_or_b32 exec_lo, exec_lo, s28
	v_lshrrev_b16 v2, 8, v2
	s_mov_b32 s28, exec_lo
	v_cmpx_ne_u16_e32 0, v2
	s_cbranch_execz .LBB251_361
; %bb.354:                              ;   in Loop: Header=BB251_9 Depth=1
	v_bfrev_b32_e32 v61, 1
	s_mov_b32 s29, exec_lo
	v_cmpx_ne_u16_e32 0x80, v2
	s_cbranch_execz .LBB251_360
; %bb.355:                              ;   in Loop: Header=BB251_9 Depth=1
	v_and_b32_e32 v63, 0xffff, v2
	v_mov_b32_e32 v61, 0x7c010000
	s_mov_b32 s30, exec_lo
	s_delay_alu instid0(VALU_DEP_2) | instskip(NEXT) | instid1(VALU_DEP_1)
	v_and_b32_e32 v65, 0x7f, v63
	v_cmpx_ne_u32_e32 0x7f, v65
	s_cbranch_execz .LBB251_359
; %bb.356:                              ;   in Loop: Header=BB251_9 Depth=1
	v_dual_lshrrev_b32 v64, 3, v65 :: v_dual_bitop2_b32 v61, 7, v63 bitop3:0x40
	s_mov_b32 s31, exec_lo
	v_cmpx_gt_u32_e32 8, v65
; %bb.357:                              ;   in Loop: Header=BB251_9 Depth=1
	s_delay_alu instid0(VALU_DEP_2) | instskip(NEXT) | instid1(VALU_DEP_1)
	v_clz_i32_u32_e32 v61, v61
	v_min_u32_e32 v61, 32, v61
	s_delay_alu instid0(VALU_DEP_1) | instskip(NEXT) | instid1(VALU_DEP_1)
	v_subrev_nc_u32_e32 v64, 28, v61
	v_lshlrev_b64_e32 v[66:67], v64, v[2:3]
	s_delay_alu instid0(VALU_DEP_1)
	v_dual_sub_nc_u32 v64, 29, v61 :: v_dual_bitop2_b32 v61, 7, v66 bitop3:0x40
; %bb.358:                              ;   in Loop: Header=BB251_9 Depth=1
	s_or_b32 exec_lo, exec_lo, s31
	s_delay_alu instid0(VALU_DEP_1) | instskip(NEXT) | instid1(VALU_DEP_2)
	v_dual_lshlrev_b32 v2, 8, v63 :: v_dual_lshlrev_b32 v61, 23, v61
	v_lshl_add_u32 v63, v64, 10, 0x2000
	s_delay_alu instid0(VALU_DEP_1) | instskip(NEXT) | instid1(VALU_DEP_1)
	v_and_or_b32 v2, 0x8000, v2, v63
	v_lshl_or_b32 v61, v2, 16, v61
.LBB251_359:                            ;   in Loop: Header=BB251_9 Depth=1
	s_or_b32 exec_lo, exec_lo, s30
.LBB251_360:                            ;   in Loop: Header=BB251_9 Depth=1
	s_delay_alu instid0(SALU_CYCLE_1)
	s_or_b32 exec_lo, exec_lo, s29
.LBB251_361:                            ;   in Loop: Header=BB251_9 Depth=1
	s_delay_alu instid0(SALU_CYCLE_1)
	s_or_b32 exec_lo, exec_lo, s28
	global_load_u16 v2, v[8:9], off offset:1408
	v_mov_b32_e32 v63, 0
	s_wait_loadcnt 0x0
	v_and_b32_e32 v64, 0xff, v2
	v_and_b32_e32 v2, 0xffff, v2
	s_delay_alu instid0(VALU_DEP_2)
	v_cmp_ne_u16_e64 s4, 0, v64
	v_mov_b32_e32 v64, 0
	s_and_saveexec_b32 s28, s4
	s_cbranch_execz .LBB251_369
; %bb.362:                              ;   in Loop: Header=BB251_9 Depth=1
	v_and_b32_e32 v64, 0xff, v2
	s_delay_alu instid0(VALU_DEP_1)
	v_cmp_ne_u16_e64 s4, 0x80, v64
	v_mov_b32_e32 v64, 0x8000
	s_and_saveexec_b32 s29, s4
	s_cbranch_execz .LBB251_368
; %bb.363:                              ;   in Loop: Header=BB251_9 Depth=1
	v_and_b32_e32 v66, 0x7f, v2
	v_mov_b32_e32 v64, 0x7c01
	s_mov_b32 s30, exec_lo
	s_delay_alu instid0(VALU_DEP_2)
	v_cmpx_ne_u32_e32 0x7f, v66
	s_cbranch_execz .LBB251_367
; %bb.364:                              ;   in Loop: Header=BB251_9 Depth=1
	v_and_b32_e32 v64, 7, v2
	v_lshrrev_b32_e32 v65, 3, v66
	s_mov_b32 s31, exec_lo
	v_cmpx_gt_u32_e32 8, v66
; %bb.365:                              ;   in Loop: Header=BB251_9 Depth=1
	s_delay_alu instid0(VALU_DEP_3) | instskip(NEXT) | instid1(VALU_DEP_1)
	v_clz_i32_u32_e32 v64, v64
	v_min_u32_e32 v66, 32, v64
	s_delay_alu instid0(VALU_DEP_1) | instskip(NEXT) | instid1(VALU_DEP_1)
	v_subrev_nc_u32_e32 v64, 28, v66
	v_lshlrev_b64_e32 v[64:65], v64, v[2:3]
	s_delay_alu instid0(VALU_DEP_1)
	v_dual_sub_nc_u32 v65, 29, v66 :: v_dual_bitop2_b32 v64, 7, v64 bitop3:0x40
; %bb.366:                              ;   in Loop: Header=BB251_9 Depth=1
	s_or_b32 exec_lo, exec_lo, s31
	s_delay_alu instid0(VALU_DEP_1) | instskip(NEXT) | instid1(VALU_DEP_2)
	v_dual_lshlrev_b32 v66, 8, v2 :: v_dual_lshlrev_b32 v64, 7, v64
	v_lshl_add_u32 v65, v65, 10, 0x2000
	s_delay_alu instid0(VALU_DEP_2) | instskip(NEXT) | instid1(VALU_DEP_2)
	v_and_b32_e32 v66, 0x8000, v66
	v_and_b32_e32 v65, 0xfc00, v65
	s_delay_alu instid0(VALU_DEP_1)
	v_or3_b32 v64, v66, v65, v64
.LBB251_367:                            ;   in Loop: Header=BB251_9 Depth=1
	s_or_b32 exec_lo, exec_lo, s30
.LBB251_368:                            ;   in Loop: Header=BB251_9 Depth=1
	s_delay_alu instid0(SALU_CYCLE_1)
	s_or_b32 exec_lo, exec_lo, s29
.LBB251_369:                            ;   in Loop: Header=BB251_9 Depth=1
	s_delay_alu instid0(SALU_CYCLE_1) | instskip(SKIP_2) | instid1(VALU_DEP_1)
	s_or_b32 exec_lo, exec_lo, s28
	v_lshrrev_b16 v2, 8, v2
	s_mov_b32 s28, exec_lo
	v_cmpx_ne_u16_e32 0, v2
	s_cbranch_execz .LBB251_377
; %bb.370:                              ;   in Loop: Header=BB251_9 Depth=1
	v_bfrev_b32_e32 v63, 1
	s_mov_b32 s29, exec_lo
	v_cmpx_ne_u16_e32 0x80, v2
	s_cbranch_execz .LBB251_376
; %bb.371:                              ;   in Loop: Header=BB251_9 Depth=1
	v_and_b32_e32 v65, 0xffff, v2
	v_mov_b32_e32 v63, 0x7c010000
	s_mov_b32 s30, exec_lo
	s_delay_alu instid0(VALU_DEP_2) | instskip(NEXT) | instid1(VALU_DEP_1)
	v_and_b32_e32 v67, 0x7f, v65
	v_cmpx_ne_u32_e32 0x7f, v67
	s_cbranch_execz .LBB251_375
; %bb.372:                              ;   in Loop: Header=BB251_9 Depth=1
	v_dual_lshrrev_b32 v66, 3, v67 :: v_dual_bitop2_b32 v63, 7, v65 bitop3:0x40
	s_mov_b32 s31, exec_lo
	v_cmpx_gt_u32_e32 8, v67
; %bb.373:                              ;   in Loop: Header=BB251_9 Depth=1
	s_delay_alu instid0(VALU_DEP_2) | instskip(NEXT) | instid1(VALU_DEP_1)
	v_clz_i32_u32_e32 v63, v63
	v_min_u32_e32 v63, 32, v63
	s_delay_alu instid0(VALU_DEP_1) | instskip(NEXT) | instid1(VALU_DEP_1)
	v_subrev_nc_u32_e32 v66, 28, v63
	v_lshlrev_b64_e32 v[68:69], v66, v[2:3]
	s_delay_alu instid0(VALU_DEP_1)
	v_dual_sub_nc_u32 v66, 29, v63 :: v_dual_bitop2_b32 v63, 7, v68 bitop3:0x40
; %bb.374:                              ;   in Loop: Header=BB251_9 Depth=1
	s_or_b32 exec_lo, exec_lo, s31
	s_delay_alu instid0(VALU_DEP_1) | instskip(NEXT) | instid1(VALU_DEP_2)
	v_dual_lshlrev_b32 v2, 8, v65 :: v_dual_lshlrev_b32 v63, 23, v63
	v_lshl_add_u32 v65, v66, 10, 0x2000
	s_delay_alu instid0(VALU_DEP_1) | instskip(NEXT) | instid1(VALU_DEP_1)
	v_and_or_b32 v2, 0x8000, v2, v65
	v_lshl_or_b32 v63, v2, 16, v63
.LBB251_375:                            ;   in Loop: Header=BB251_9 Depth=1
	s_or_b32 exec_lo, exec_lo, s30
.LBB251_376:                            ;   in Loop: Header=BB251_9 Depth=1
	s_delay_alu instid0(SALU_CYCLE_1)
	s_or_b32 exec_lo, exec_lo, s29
.LBB251_377:                            ;   in Loop: Header=BB251_9 Depth=1
	s_delay_alu instid0(SALU_CYCLE_1)
	s_or_b32 exec_lo, exec_lo, s28
	global_load_u16 v2, v[8:9], off offset:1416
	v_mov_b32_e32 v65, 0
	s_wait_loadcnt 0x0
	v_and_b32_e32 v66, 0xff, v2
	v_and_b32_e32 v2, 0xffff, v2
	s_delay_alu instid0(VALU_DEP_2)
	v_cmp_ne_u16_e64 s4, 0, v66
	v_mov_b32_e32 v66, 0
	s_and_saveexec_b32 s28, s4
	s_cbranch_execz .LBB251_385
; %bb.378:                              ;   in Loop: Header=BB251_9 Depth=1
	v_and_b32_e32 v66, 0xff, v2
	s_delay_alu instid0(VALU_DEP_1)
	v_cmp_ne_u16_e64 s4, 0x80, v66
	v_mov_b32_e32 v66, 0x8000
	s_and_saveexec_b32 s29, s4
	s_cbranch_execz .LBB251_384
; %bb.379:                              ;   in Loop: Header=BB251_9 Depth=1
	v_and_b32_e32 v68, 0x7f, v2
	v_mov_b32_e32 v66, 0x7c01
	s_mov_b32 s30, exec_lo
	s_delay_alu instid0(VALU_DEP_2)
	v_cmpx_ne_u32_e32 0x7f, v68
	s_cbranch_execz .LBB251_383
; %bb.380:                              ;   in Loop: Header=BB251_9 Depth=1
	v_dual_lshrrev_b32 v67, 3, v68 :: v_dual_bitop2_b32 v66, 7, v2 bitop3:0x40
	s_mov_b32 s31, exec_lo
	v_cmpx_gt_u32_e32 8, v68
; %bb.381:                              ;   in Loop: Header=BB251_9 Depth=1
	s_delay_alu instid0(VALU_DEP_2) | instskip(NEXT) | instid1(VALU_DEP_1)
	v_clz_i32_u32_e32 v66, v66
	v_min_u32_e32 v68, 32, v66
	s_delay_alu instid0(VALU_DEP_1) | instskip(NEXT) | instid1(VALU_DEP_1)
	v_subrev_nc_u32_e32 v66, 28, v68
	v_lshlrev_b64_e32 v[66:67], v66, v[2:3]
	s_delay_alu instid0(VALU_DEP_1)
	v_dual_sub_nc_u32 v67, 29, v68 :: v_dual_bitop2_b32 v66, 7, v66 bitop3:0x40
; %bb.382:                              ;   in Loop: Header=BB251_9 Depth=1
	s_or_b32 exec_lo, exec_lo, s31
	v_lshlrev_b32_e32 v68, 8, v2
	s_delay_alu instid0(VALU_DEP_2) | instskip(NEXT) | instid1(VALU_DEP_3)
	v_lshl_add_u32 v67, v67, 10, 0x2000
	v_lshlrev_b32_e32 v66, 7, v66
	s_delay_alu instid0(VALU_DEP_3) | instskip(NEXT) | instid1(VALU_DEP_3)
	v_and_b32_e32 v68, 0x8000, v68
	v_and_b32_e32 v67, 0xfc00, v67
	s_delay_alu instid0(VALU_DEP_1)
	v_or3_b32 v66, v68, v67, v66
.LBB251_383:                            ;   in Loop: Header=BB251_9 Depth=1
	s_or_b32 exec_lo, exec_lo, s30
.LBB251_384:                            ;   in Loop: Header=BB251_9 Depth=1
	s_delay_alu instid0(SALU_CYCLE_1)
	s_or_b32 exec_lo, exec_lo, s29
.LBB251_385:                            ;   in Loop: Header=BB251_9 Depth=1
	s_delay_alu instid0(SALU_CYCLE_1) | instskip(SKIP_2) | instid1(VALU_DEP_1)
	s_or_b32 exec_lo, exec_lo, s28
	v_lshrrev_b16 v2, 8, v2
	s_mov_b32 s28, exec_lo
	v_cmpx_ne_u16_e32 0, v2
	s_cbranch_execz .LBB251_393
; %bb.386:                              ;   in Loop: Header=BB251_9 Depth=1
	v_bfrev_b32_e32 v65, 1
	s_mov_b32 s29, exec_lo
	v_cmpx_ne_u16_e32 0x80, v2
	s_cbranch_execz .LBB251_392
; %bb.387:                              ;   in Loop: Header=BB251_9 Depth=1
	v_and_b32_e32 v67, 0xffff, v2
	v_mov_b32_e32 v65, 0x7c010000
	s_mov_b32 s30, exec_lo
	s_delay_alu instid0(VALU_DEP_2) | instskip(NEXT) | instid1(VALU_DEP_1)
	v_and_b32_e32 v69, 0x7f, v67
	v_cmpx_ne_u32_e32 0x7f, v69
	s_cbranch_execz .LBB251_391
; %bb.388:                              ;   in Loop: Header=BB251_9 Depth=1
	v_dual_lshrrev_b32 v68, 3, v69 :: v_dual_bitop2_b32 v65, 7, v67 bitop3:0x40
	s_mov_b32 s31, exec_lo
	v_cmpx_gt_u32_e32 8, v69
; %bb.389:                              ;   in Loop: Header=BB251_9 Depth=1
	s_delay_alu instid0(VALU_DEP_2) | instskip(NEXT) | instid1(VALU_DEP_1)
	v_clz_i32_u32_e32 v65, v65
	v_min_u32_e32 v65, 32, v65
	s_delay_alu instid0(VALU_DEP_1) | instskip(NEXT) | instid1(VALU_DEP_1)
	v_subrev_nc_u32_e32 v68, 28, v65
	v_lshlrev_b64_e32 v[70:71], v68, v[2:3]
	s_delay_alu instid0(VALU_DEP_1)
	v_dual_sub_nc_u32 v68, 29, v65 :: v_dual_bitop2_b32 v65, 7, v70 bitop3:0x40
; %bb.390:                              ;   in Loop: Header=BB251_9 Depth=1
	s_or_b32 exec_lo, exec_lo, s31
	s_delay_alu instid0(VALU_DEP_1) | instskip(NEXT) | instid1(VALU_DEP_2)
	v_dual_lshlrev_b32 v2, 8, v67 :: v_dual_lshlrev_b32 v65, 23, v65
	v_lshl_add_u32 v67, v68, 10, 0x2000
	s_delay_alu instid0(VALU_DEP_1) | instskip(NEXT) | instid1(VALU_DEP_1)
	v_and_or_b32 v2, 0x8000, v2, v67
	v_lshl_or_b32 v65, v2, 16, v65
.LBB251_391:                            ;   in Loop: Header=BB251_9 Depth=1
	s_or_b32 exec_lo, exec_lo, s30
.LBB251_392:                            ;   in Loop: Header=BB251_9 Depth=1
	s_delay_alu instid0(SALU_CYCLE_1)
	s_or_b32 exec_lo, exec_lo, s29
.LBB251_393:                            ;   in Loop: Header=BB251_9 Depth=1
	s_delay_alu instid0(SALU_CYCLE_1)
	s_or_b32 exec_lo, exec_lo, s28
	global_load_u16 v2, v[8:9], off offset:1536
	v_mov_b32_e32 v67, 0
	s_wait_loadcnt 0x0
	v_and_b32_e32 v68, 0xff, v2
	v_and_b32_e32 v2, 0xffff, v2
	s_delay_alu instid0(VALU_DEP_2)
	v_cmp_ne_u16_e64 s4, 0, v68
	v_mov_b32_e32 v68, 0
	s_and_saveexec_b32 s28, s4
	s_cbranch_execz .LBB251_401
; %bb.394:                              ;   in Loop: Header=BB251_9 Depth=1
	v_and_b32_e32 v68, 0xff, v2
	s_delay_alu instid0(VALU_DEP_1)
	v_cmp_ne_u16_e64 s4, 0x80, v68
	v_mov_b32_e32 v68, 0x8000
	s_and_saveexec_b32 s29, s4
	s_cbranch_execz .LBB251_400
; %bb.395:                              ;   in Loop: Header=BB251_9 Depth=1
	v_and_b32_e32 v70, 0x7f, v2
	v_mov_b32_e32 v68, 0x7c01
	s_mov_b32 s30, exec_lo
	s_delay_alu instid0(VALU_DEP_2)
	v_cmpx_ne_u32_e32 0x7f, v70
	s_cbranch_execz .LBB251_399
; %bb.396:                              ;   in Loop: Header=BB251_9 Depth=1
	v_and_b32_e32 v68, 7, v2
	v_lshrrev_b32_e32 v69, 3, v70
	s_mov_b32 s31, exec_lo
	v_cmpx_gt_u32_e32 8, v70
; %bb.397:                              ;   in Loop: Header=BB251_9 Depth=1
	s_delay_alu instid0(VALU_DEP_3) | instskip(NEXT) | instid1(VALU_DEP_1)
	v_clz_i32_u32_e32 v68, v68
	v_min_u32_e32 v70, 32, v68
	s_delay_alu instid0(VALU_DEP_1) | instskip(NEXT) | instid1(VALU_DEP_1)
	v_subrev_nc_u32_e32 v68, 28, v70
	v_lshlrev_b64_e32 v[68:69], v68, v[2:3]
	s_delay_alu instid0(VALU_DEP_1)
	v_dual_sub_nc_u32 v69, 29, v70 :: v_dual_bitop2_b32 v68, 7, v68 bitop3:0x40
; %bb.398:                              ;   in Loop: Header=BB251_9 Depth=1
	s_or_b32 exec_lo, exec_lo, s31
	s_delay_alu instid0(VALU_DEP_1) | instskip(NEXT) | instid1(VALU_DEP_2)
	v_dual_lshlrev_b32 v70, 8, v2 :: v_dual_lshlrev_b32 v68, 7, v68
	v_lshl_add_u32 v69, v69, 10, 0x2000
	s_delay_alu instid0(VALU_DEP_2) | instskip(NEXT) | instid1(VALU_DEP_2)
	v_and_b32_e32 v70, 0x8000, v70
	v_and_b32_e32 v69, 0xfc00, v69
	s_delay_alu instid0(VALU_DEP_1)
	v_or3_b32 v68, v70, v69, v68
.LBB251_399:                            ;   in Loop: Header=BB251_9 Depth=1
	s_or_b32 exec_lo, exec_lo, s30
.LBB251_400:                            ;   in Loop: Header=BB251_9 Depth=1
	s_delay_alu instid0(SALU_CYCLE_1)
	s_or_b32 exec_lo, exec_lo, s29
.LBB251_401:                            ;   in Loop: Header=BB251_9 Depth=1
	s_delay_alu instid0(SALU_CYCLE_1) | instskip(SKIP_2) | instid1(VALU_DEP_1)
	s_or_b32 exec_lo, exec_lo, s28
	v_lshrrev_b16 v2, 8, v2
	s_mov_b32 s28, exec_lo
	v_cmpx_ne_u16_e32 0, v2
	s_cbranch_execz .LBB251_409
; %bb.402:                              ;   in Loop: Header=BB251_9 Depth=1
	v_bfrev_b32_e32 v67, 1
	s_mov_b32 s29, exec_lo
	v_cmpx_ne_u16_e32 0x80, v2
	s_cbranch_execz .LBB251_408
; %bb.403:                              ;   in Loop: Header=BB251_9 Depth=1
	v_and_b32_e32 v69, 0xffff, v2
	v_mov_b32_e32 v67, 0x7c010000
	s_mov_b32 s30, exec_lo
	s_delay_alu instid0(VALU_DEP_2) | instskip(NEXT) | instid1(VALU_DEP_1)
	v_and_b32_e32 v71, 0x7f, v69
	v_cmpx_ne_u32_e32 0x7f, v71
	s_cbranch_execz .LBB251_407
; %bb.404:                              ;   in Loop: Header=BB251_9 Depth=1
	v_dual_lshrrev_b32 v70, 3, v71 :: v_dual_bitop2_b32 v67, 7, v69 bitop3:0x40
	s_mov_b32 s31, exec_lo
	v_cmpx_gt_u32_e32 8, v71
; %bb.405:                              ;   in Loop: Header=BB251_9 Depth=1
	s_delay_alu instid0(VALU_DEP_2) | instskip(NEXT) | instid1(VALU_DEP_1)
	v_clz_i32_u32_e32 v67, v67
	v_min_u32_e32 v67, 32, v67
	s_delay_alu instid0(VALU_DEP_1) | instskip(NEXT) | instid1(VALU_DEP_1)
	v_subrev_nc_u32_e32 v70, 28, v67
	v_lshlrev_b64_e32 v[72:73], v70, v[2:3]
	s_delay_alu instid0(VALU_DEP_1)
	v_dual_sub_nc_u32 v70, 29, v67 :: v_dual_bitop2_b32 v67, 7, v72 bitop3:0x40
; %bb.406:                              ;   in Loop: Header=BB251_9 Depth=1
	s_or_b32 exec_lo, exec_lo, s31
	s_delay_alu instid0(VALU_DEP_1) | instskip(NEXT) | instid1(VALU_DEP_2)
	v_dual_lshlrev_b32 v2, 8, v69 :: v_dual_lshlrev_b32 v67, 23, v67
	v_lshl_add_u32 v69, v70, 10, 0x2000
	s_delay_alu instid0(VALU_DEP_1) | instskip(NEXT) | instid1(VALU_DEP_1)
	v_and_or_b32 v2, 0x8000, v2, v69
	v_lshl_or_b32 v67, v2, 16, v67
.LBB251_407:                            ;   in Loop: Header=BB251_9 Depth=1
	s_or_b32 exec_lo, exec_lo, s30
.LBB251_408:                            ;   in Loop: Header=BB251_9 Depth=1
	s_delay_alu instid0(SALU_CYCLE_1)
	s_or_b32 exec_lo, exec_lo, s29
.LBB251_409:                            ;   in Loop: Header=BB251_9 Depth=1
	s_delay_alu instid0(SALU_CYCLE_1)
	s_or_b32 exec_lo, exec_lo, s28
	global_load_u16 v2, v[8:9], off offset:1544
	v_mov_b32_e32 v69, 0
	s_wait_loadcnt 0x0
	v_and_b32_e32 v70, 0xff, v2
	v_and_b32_e32 v2, 0xffff, v2
	s_delay_alu instid0(VALU_DEP_2)
	v_cmp_ne_u16_e64 s4, 0, v70
	v_mov_b32_e32 v70, 0
	s_and_saveexec_b32 s28, s4
	s_cbranch_execz .LBB251_417
; %bb.410:                              ;   in Loop: Header=BB251_9 Depth=1
	v_and_b32_e32 v70, 0xff, v2
	s_delay_alu instid0(VALU_DEP_1)
	v_cmp_ne_u16_e64 s4, 0x80, v70
	v_mov_b32_e32 v70, 0x8000
	s_and_saveexec_b32 s29, s4
	s_cbranch_execz .LBB251_416
; %bb.411:                              ;   in Loop: Header=BB251_9 Depth=1
	v_and_b32_e32 v72, 0x7f, v2
	v_mov_b32_e32 v70, 0x7c01
	s_mov_b32 s30, exec_lo
	s_delay_alu instid0(VALU_DEP_2)
	v_cmpx_ne_u32_e32 0x7f, v72
	s_cbranch_execz .LBB251_415
; %bb.412:                              ;   in Loop: Header=BB251_9 Depth=1
	v_dual_lshrrev_b32 v71, 3, v72 :: v_dual_bitop2_b32 v70, 7, v2 bitop3:0x40
	s_mov_b32 s31, exec_lo
	v_cmpx_gt_u32_e32 8, v72
; %bb.413:                              ;   in Loop: Header=BB251_9 Depth=1
	s_delay_alu instid0(VALU_DEP_2) | instskip(NEXT) | instid1(VALU_DEP_1)
	v_clz_i32_u32_e32 v70, v70
	v_min_u32_e32 v72, 32, v70
	s_delay_alu instid0(VALU_DEP_1) | instskip(NEXT) | instid1(VALU_DEP_1)
	v_subrev_nc_u32_e32 v70, 28, v72
	v_lshlrev_b64_e32 v[70:71], v70, v[2:3]
	s_delay_alu instid0(VALU_DEP_1)
	v_dual_sub_nc_u32 v71, 29, v72 :: v_dual_bitop2_b32 v70, 7, v70 bitop3:0x40
; %bb.414:                              ;   in Loop: Header=BB251_9 Depth=1
	s_or_b32 exec_lo, exec_lo, s31
	v_lshlrev_b32_e32 v72, 8, v2
	s_delay_alu instid0(VALU_DEP_2) | instskip(NEXT) | instid1(VALU_DEP_3)
	v_lshl_add_u32 v71, v71, 10, 0x2000
	v_lshlrev_b32_e32 v70, 7, v70
	s_delay_alu instid0(VALU_DEP_3) | instskip(NEXT) | instid1(VALU_DEP_3)
	v_and_b32_e32 v72, 0x8000, v72
	v_and_b32_e32 v71, 0xfc00, v71
	s_delay_alu instid0(VALU_DEP_1)
	v_or3_b32 v70, v72, v71, v70
.LBB251_415:                            ;   in Loop: Header=BB251_9 Depth=1
	s_or_b32 exec_lo, exec_lo, s30
.LBB251_416:                            ;   in Loop: Header=BB251_9 Depth=1
	s_delay_alu instid0(SALU_CYCLE_1)
	s_or_b32 exec_lo, exec_lo, s29
.LBB251_417:                            ;   in Loop: Header=BB251_9 Depth=1
	s_delay_alu instid0(SALU_CYCLE_1) | instskip(SKIP_2) | instid1(VALU_DEP_1)
	s_or_b32 exec_lo, exec_lo, s28
	v_lshrrev_b16 v2, 8, v2
	s_mov_b32 s28, exec_lo
	v_cmpx_ne_u16_e32 0, v2
	s_cbranch_execz .LBB251_425
; %bb.418:                              ;   in Loop: Header=BB251_9 Depth=1
	v_bfrev_b32_e32 v69, 1
	s_mov_b32 s29, exec_lo
	v_cmpx_ne_u16_e32 0x80, v2
	s_cbranch_execz .LBB251_424
; %bb.419:                              ;   in Loop: Header=BB251_9 Depth=1
	v_and_b32_e32 v71, 0xffff, v2
	v_mov_b32_e32 v69, 0x7c010000
	s_mov_b32 s30, exec_lo
	s_delay_alu instid0(VALU_DEP_2) | instskip(NEXT) | instid1(VALU_DEP_1)
	v_and_b32_e32 v73, 0x7f, v71
	v_cmpx_ne_u32_e32 0x7f, v73
	s_cbranch_execz .LBB251_423
; %bb.420:                              ;   in Loop: Header=BB251_9 Depth=1
	v_dual_lshrrev_b32 v72, 3, v73 :: v_dual_bitop2_b32 v69, 7, v71 bitop3:0x40
	s_mov_b32 s31, exec_lo
	v_cmpx_gt_u32_e32 8, v73
; %bb.421:                              ;   in Loop: Header=BB251_9 Depth=1
	s_delay_alu instid0(VALU_DEP_2) | instskip(NEXT) | instid1(VALU_DEP_1)
	v_clz_i32_u32_e32 v69, v69
	v_min_u32_e32 v69, 32, v69
	s_delay_alu instid0(VALU_DEP_1) | instskip(NEXT) | instid1(VALU_DEP_1)
	v_subrev_nc_u32_e32 v72, 28, v69
	v_lshlrev_b64_e32 v[74:75], v72, v[2:3]
	s_delay_alu instid0(VALU_DEP_1)
	v_dual_sub_nc_u32 v72, 29, v69 :: v_dual_bitop2_b32 v69, 7, v74 bitop3:0x40
; %bb.422:                              ;   in Loop: Header=BB251_9 Depth=1
	s_or_b32 exec_lo, exec_lo, s31
	s_delay_alu instid0(VALU_DEP_1) | instskip(NEXT) | instid1(VALU_DEP_2)
	v_dual_lshlrev_b32 v2, 8, v71 :: v_dual_lshlrev_b32 v69, 23, v69
	v_lshl_add_u32 v71, v72, 10, 0x2000
	s_delay_alu instid0(VALU_DEP_1) | instskip(NEXT) | instid1(VALU_DEP_1)
	v_and_or_b32 v2, 0x8000, v2, v71
	v_lshl_or_b32 v69, v2, 16, v69
.LBB251_423:                            ;   in Loop: Header=BB251_9 Depth=1
	s_or_b32 exec_lo, exec_lo, s30
.LBB251_424:                            ;   in Loop: Header=BB251_9 Depth=1
	s_delay_alu instid0(SALU_CYCLE_1)
	s_or_b32 exec_lo, exec_lo, s29
.LBB251_425:                            ;   in Loop: Header=BB251_9 Depth=1
	s_delay_alu instid0(SALU_CYCLE_1)
	s_or_b32 exec_lo, exec_lo, s28
	global_load_u16 v2, v[8:9], off offset:1664
	v_mov_b32_e32 v71, 0
	s_wait_loadcnt 0x0
	v_and_b32_e32 v72, 0xff, v2
	v_and_b32_e32 v2, 0xffff, v2
	s_delay_alu instid0(VALU_DEP_2)
	v_cmp_ne_u16_e64 s4, 0, v72
	v_mov_b32_e32 v72, 0
	s_and_saveexec_b32 s28, s4
	s_cbranch_execz .LBB251_433
; %bb.426:                              ;   in Loop: Header=BB251_9 Depth=1
	v_and_b32_e32 v72, 0xff, v2
	s_delay_alu instid0(VALU_DEP_1)
	v_cmp_ne_u16_e64 s4, 0x80, v72
	v_mov_b32_e32 v72, 0x8000
	s_and_saveexec_b32 s29, s4
	s_cbranch_execz .LBB251_432
; %bb.427:                              ;   in Loop: Header=BB251_9 Depth=1
	v_and_b32_e32 v74, 0x7f, v2
	v_mov_b32_e32 v72, 0x7c01
	s_mov_b32 s30, exec_lo
	s_delay_alu instid0(VALU_DEP_2)
	v_cmpx_ne_u32_e32 0x7f, v74
	s_cbranch_execz .LBB251_431
; %bb.428:                              ;   in Loop: Header=BB251_9 Depth=1
	v_and_b32_e32 v72, 7, v2
	v_lshrrev_b32_e32 v73, 3, v74
	s_mov_b32 s31, exec_lo
	v_cmpx_gt_u32_e32 8, v74
; %bb.429:                              ;   in Loop: Header=BB251_9 Depth=1
	s_delay_alu instid0(VALU_DEP_3) | instskip(NEXT) | instid1(VALU_DEP_1)
	v_clz_i32_u32_e32 v72, v72
	v_min_u32_e32 v74, 32, v72
	s_delay_alu instid0(VALU_DEP_1) | instskip(NEXT) | instid1(VALU_DEP_1)
	v_subrev_nc_u32_e32 v72, 28, v74
	v_lshlrev_b64_e32 v[72:73], v72, v[2:3]
	s_delay_alu instid0(VALU_DEP_1)
	v_dual_sub_nc_u32 v73, 29, v74 :: v_dual_bitop2_b32 v72, 7, v72 bitop3:0x40
; %bb.430:                              ;   in Loop: Header=BB251_9 Depth=1
	s_or_b32 exec_lo, exec_lo, s31
	s_delay_alu instid0(VALU_DEP_1) | instskip(NEXT) | instid1(VALU_DEP_2)
	v_dual_lshlrev_b32 v74, 8, v2 :: v_dual_lshlrev_b32 v72, 7, v72
	v_lshl_add_u32 v73, v73, 10, 0x2000
	s_delay_alu instid0(VALU_DEP_2) | instskip(NEXT) | instid1(VALU_DEP_2)
	v_and_b32_e32 v74, 0x8000, v74
	v_and_b32_e32 v73, 0xfc00, v73
	s_delay_alu instid0(VALU_DEP_1)
	v_or3_b32 v72, v74, v73, v72
.LBB251_431:                            ;   in Loop: Header=BB251_9 Depth=1
	s_or_b32 exec_lo, exec_lo, s30
.LBB251_432:                            ;   in Loop: Header=BB251_9 Depth=1
	s_delay_alu instid0(SALU_CYCLE_1)
	s_or_b32 exec_lo, exec_lo, s29
.LBB251_433:                            ;   in Loop: Header=BB251_9 Depth=1
	s_delay_alu instid0(SALU_CYCLE_1) | instskip(SKIP_2) | instid1(VALU_DEP_1)
	s_or_b32 exec_lo, exec_lo, s28
	v_lshrrev_b16 v2, 8, v2
	s_mov_b32 s28, exec_lo
	v_cmpx_ne_u16_e32 0, v2
	s_cbranch_execz .LBB251_441
; %bb.434:                              ;   in Loop: Header=BB251_9 Depth=1
	v_bfrev_b32_e32 v71, 1
	s_mov_b32 s29, exec_lo
	v_cmpx_ne_u16_e32 0x80, v2
	s_cbranch_execz .LBB251_440
; %bb.435:                              ;   in Loop: Header=BB251_9 Depth=1
	v_and_b32_e32 v73, 0xffff, v2
	v_mov_b32_e32 v71, 0x7c010000
	s_mov_b32 s30, exec_lo
	s_delay_alu instid0(VALU_DEP_2) | instskip(NEXT) | instid1(VALU_DEP_1)
	v_and_b32_e32 v75, 0x7f, v73
	v_cmpx_ne_u32_e32 0x7f, v75
	s_cbranch_execz .LBB251_439
; %bb.436:                              ;   in Loop: Header=BB251_9 Depth=1
	v_dual_lshrrev_b32 v74, 3, v75 :: v_dual_bitop2_b32 v71, 7, v73 bitop3:0x40
	s_mov_b32 s31, exec_lo
	v_cmpx_gt_u32_e32 8, v75
; %bb.437:                              ;   in Loop: Header=BB251_9 Depth=1
	s_delay_alu instid0(VALU_DEP_2) | instskip(NEXT) | instid1(VALU_DEP_1)
	v_clz_i32_u32_e32 v71, v71
	v_min_u32_e32 v71, 32, v71
	s_delay_alu instid0(VALU_DEP_1) | instskip(NEXT) | instid1(VALU_DEP_1)
	v_subrev_nc_u32_e32 v74, 28, v71
	v_lshlrev_b64_e32 v[76:77], v74, v[2:3]
	s_delay_alu instid0(VALU_DEP_1)
	v_dual_sub_nc_u32 v74, 29, v71 :: v_dual_bitop2_b32 v71, 7, v76 bitop3:0x40
; %bb.438:                              ;   in Loop: Header=BB251_9 Depth=1
	s_or_b32 exec_lo, exec_lo, s31
	s_delay_alu instid0(VALU_DEP_1) | instskip(NEXT) | instid1(VALU_DEP_2)
	v_dual_lshlrev_b32 v2, 8, v73 :: v_dual_lshlrev_b32 v71, 23, v71
	v_lshl_add_u32 v73, v74, 10, 0x2000
	s_delay_alu instid0(VALU_DEP_1) | instskip(NEXT) | instid1(VALU_DEP_1)
	v_and_or_b32 v2, 0x8000, v2, v73
	v_lshl_or_b32 v71, v2, 16, v71
.LBB251_439:                            ;   in Loop: Header=BB251_9 Depth=1
	s_or_b32 exec_lo, exec_lo, s30
.LBB251_440:                            ;   in Loop: Header=BB251_9 Depth=1
	s_delay_alu instid0(SALU_CYCLE_1)
	s_or_b32 exec_lo, exec_lo, s29
.LBB251_441:                            ;   in Loop: Header=BB251_9 Depth=1
	s_delay_alu instid0(SALU_CYCLE_1)
	s_or_b32 exec_lo, exec_lo, s28
	global_load_u16 v2, v[8:9], off offset:1672
	v_mov_b32_e32 v73, 0
	s_wait_loadcnt 0x0
	v_and_b32_e32 v74, 0xff, v2
	v_and_b32_e32 v2, 0xffff, v2
	s_delay_alu instid0(VALU_DEP_2)
	v_cmp_ne_u16_e64 s4, 0, v74
	v_mov_b32_e32 v74, 0
	s_and_saveexec_b32 s28, s4
	s_cbranch_execz .LBB251_449
; %bb.442:                              ;   in Loop: Header=BB251_9 Depth=1
	v_and_b32_e32 v74, 0xff, v2
	s_delay_alu instid0(VALU_DEP_1)
	v_cmp_ne_u16_e64 s4, 0x80, v74
	v_mov_b32_e32 v74, 0x8000
	s_and_saveexec_b32 s29, s4
	s_cbranch_execz .LBB251_448
; %bb.443:                              ;   in Loop: Header=BB251_9 Depth=1
	v_and_b32_e32 v76, 0x7f, v2
	v_mov_b32_e32 v74, 0x7c01
	s_mov_b32 s30, exec_lo
	s_delay_alu instid0(VALU_DEP_2)
	v_cmpx_ne_u32_e32 0x7f, v76
	s_cbranch_execz .LBB251_447
; %bb.444:                              ;   in Loop: Header=BB251_9 Depth=1
	v_dual_lshrrev_b32 v75, 3, v76 :: v_dual_bitop2_b32 v74, 7, v2 bitop3:0x40
	s_mov_b32 s31, exec_lo
	v_cmpx_gt_u32_e32 8, v76
; %bb.445:                              ;   in Loop: Header=BB251_9 Depth=1
	s_delay_alu instid0(VALU_DEP_2) | instskip(NEXT) | instid1(VALU_DEP_1)
	v_clz_i32_u32_e32 v74, v74
	v_min_u32_e32 v76, 32, v74
	s_delay_alu instid0(VALU_DEP_1) | instskip(NEXT) | instid1(VALU_DEP_1)
	v_subrev_nc_u32_e32 v74, 28, v76
	v_lshlrev_b64_e32 v[74:75], v74, v[2:3]
	s_delay_alu instid0(VALU_DEP_1)
	v_dual_sub_nc_u32 v75, 29, v76 :: v_dual_bitop2_b32 v74, 7, v74 bitop3:0x40
; %bb.446:                              ;   in Loop: Header=BB251_9 Depth=1
	s_or_b32 exec_lo, exec_lo, s31
	v_lshlrev_b32_e32 v76, 8, v2
	s_delay_alu instid0(VALU_DEP_2) | instskip(NEXT) | instid1(VALU_DEP_3)
	v_lshl_add_u32 v75, v75, 10, 0x2000
	v_lshlrev_b32_e32 v74, 7, v74
	s_delay_alu instid0(VALU_DEP_3) | instskip(NEXT) | instid1(VALU_DEP_3)
	v_and_b32_e32 v76, 0x8000, v76
	v_and_b32_e32 v75, 0xfc00, v75
	s_delay_alu instid0(VALU_DEP_1)
	v_or3_b32 v74, v76, v75, v74
.LBB251_447:                            ;   in Loop: Header=BB251_9 Depth=1
	s_or_b32 exec_lo, exec_lo, s30
.LBB251_448:                            ;   in Loop: Header=BB251_9 Depth=1
	s_delay_alu instid0(SALU_CYCLE_1)
	s_or_b32 exec_lo, exec_lo, s29
.LBB251_449:                            ;   in Loop: Header=BB251_9 Depth=1
	s_delay_alu instid0(SALU_CYCLE_1) | instskip(SKIP_2) | instid1(VALU_DEP_1)
	s_or_b32 exec_lo, exec_lo, s28
	v_lshrrev_b16 v2, 8, v2
	s_mov_b32 s28, exec_lo
	v_cmpx_ne_u16_e32 0, v2
	s_cbranch_execz .LBB251_457
; %bb.450:                              ;   in Loop: Header=BB251_9 Depth=1
	v_bfrev_b32_e32 v73, 1
	s_mov_b32 s29, exec_lo
	v_cmpx_ne_u16_e32 0x80, v2
	s_cbranch_execz .LBB251_456
; %bb.451:                              ;   in Loop: Header=BB251_9 Depth=1
	v_and_b32_e32 v75, 0xffff, v2
	v_mov_b32_e32 v73, 0x7c010000
	s_mov_b32 s30, exec_lo
	s_delay_alu instid0(VALU_DEP_2) | instskip(NEXT) | instid1(VALU_DEP_1)
	v_and_b32_e32 v77, 0x7f, v75
	v_cmpx_ne_u32_e32 0x7f, v77
	s_cbranch_execz .LBB251_455
; %bb.452:                              ;   in Loop: Header=BB251_9 Depth=1
	v_dual_lshrrev_b32 v76, 3, v77 :: v_dual_bitop2_b32 v73, 7, v75 bitop3:0x40
	s_mov_b32 s31, exec_lo
	v_cmpx_gt_u32_e32 8, v77
; %bb.453:                              ;   in Loop: Header=BB251_9 Depth=1
	s_delay_alu instid0(VALU_DEP_2) | instskip(NEXT) | instid1(VALU_DEP_1)
	v_clz_i32_u32_e32 v73, v73
	v_min_u32_e32 v73, 32, v73
	s_delay_alu instid0(VALU_DEP_1) | instskip(NEXT) | instid1(VALU_DEP_1)
	v_subrev_nc_u32_e32 v76, 28, v73
	v_lshlrev_b64_e32 v[78:79], v76, v[2:3]
	s_delay_alu instid0(VALU_DEP_1)
	v_dual_sub_nc_u32 v76, 29, v73 :: v_dual_bitop2_b32 v73, 7, v78 bitop3:0x40
; %bb.454:                              ;   in Loop: Header=BB251_9 Depth=1
	s_or_b32 exec_lo, exec_lo, s31
	s_delay_alu instid0(VALU_DEP_1) | instskip(NEXT) | instid1(VALU_DEP_2)
	v_dual_lshlrev_b32 v2, 8, v75 :: v_dual_lshlrev_b32 v73, 23, v73
	v_lshl_add_u32 v75, v76, 10, 0x2000
	s_delay_alu instid0(VALU_DEP_1) | instskip(NEXT) | instid1(VALU_DEP_1)
	v_and_or_b32 v2, 0x8000, v2, v75
	v_lshl_or_b32 v73, v2, 16, v73
.LBB251_455:                            ;   in Loop: Header=BB251_9 Depth=1
	s_or_b32 exec_lo, exec_lo, s30
.LBB251_456:                            ;   in Loop: Header=BB251_9 Depth=1
	s_delay_alu instid0(SALU_CYCLE_1)
	s_or_b32 exec_lo, exec_lo, s29
.LBB251_457:                            ;   in Loop: Header=BB251_9 Depth=1
	s_delay_alu instid0(SALU_CYCLE_1)
	s_or_b32 exec_lo, exec_lo, s28
	global_load_u16 v2, v[8:9], off offset:1792
	v_mov_b32_e32 v75, 0
	s_wait_loadcnt 0x0
	v_and_b32_e32 v76, 0xff, v2
	v_and_b32_e32 v2, 0xffff, v2
	s_delay_alu instid0(VALU_DEP_2)
	v_cmp_ne_u16_e64 s4, 0, v76
	v_mov_b32_e32 v76, 0
	s_and_saveexec_b32 s28, s4
	s_cbranch_execz .LBB251_465
; %bb.458:                              ;   in Loop: Header=BB251_9 Depth=1
	v_and_b32_e32 v76, 0xff, v2
	s_delay_alu instid0(VALU_DEP_1)
	v_cmp_ne_u16_e64 s4, 0x80, v76
	v_mov_b32_e32 v76, 0x8000
	s_and_saveexec_b32 s29, s4
	s_cbranch_execz .LBB251_464
; %bb.459:                              ;   in Loop: Header=BB251_9 Depth=1
	v_and_b32_e32 v78, 0x7f, v2
	v_mov_b32_e32 v76, 0x7c01
	s_mov_b32 s30, exec_lo
	s_delay_alu instid0(VALU_DEP_2)
	v_cmpx_ne_u32_e32 0x7f, v78
	s_cbranch_execz .LBB251_463
; %bb.460:                              ;   in Loop: Header=BB251_9 Depth=1
	v_and_b32_e32 v76, 7, v2
	v_lshrrev_b32_e32 v77, 3, v78
	s_mov_b32 s31, exec_lo
	v_cmpx_gt_u32_e32 8, v78
; %bb.461:                              ;   in Loop: Header=BB251_9 Depth=1
	s_delay_alu instid0(VALU_DEP_3) | instskip(NEXT) | instid1(VALU_DEP_1)
	v_clz_i32_u32_e32 v76, v76
	v_min_u32_e32 v78, 32, v76
	s_delay_alu instid0(VALU_DEP_1) | instskip(NEXT) | instid1(VALU_DEP_1)
	v_subrev_nc_u32_e32 v76, 28, v78
	v_lshlrev_b64_e32 v[76:77], v76, v[2:3]
	s_delay_alu instid0(VALU_DEP_1)
	v_dual_sub_nc_u32 v77, 29, v78 :: v_dual_bitop2_b32 v76, 7, v76 bitop3:0x40
; %bb.462:                              ;   in Loop: Header=BB251_9 Depth=1
	s_or_b32 exec_lo, exec_lo, s31
	s_delay_alu instid0(VALU_DEP_1) | instskip(NEXT) | instid1(VALU_DEP_2)
	v_dual_lshlrev_b32 v78, 8, v2 :: v_dual_lshlrev_b32 v76, 7, v76
	v_lshl_add_u32 v77, v77, 10, 0x2000
	s_delay_alu instid0(VALU_DEP_2) | instskip(NEXT) | instid1(VALU_DEP_2)
	v_and_b32_e32 v78, 0x8000, v78
	v_and_b32_e32 v77, 0xfc00, v77
	s_delay_alu instid0(VALU_DEP_1)
	v_or3_b32 v76, v78, v77, v76
.LBB251_463:                            ;   in Loop: Header=BB251_9 Depth=1
	s_or_b32 exec_lo, exec_lo, s30
.LBB251_464:                            ;   in Loop: Header=BB251_9 Depth=1
	s_delay_alu instid0(SALU_CYCLE_1)
	s_or_b32 exec_lo, exec_lo, s29
.LBB251_465:                            ;   in Loop: Header=BB251_9 Depth=1
	s_delay_alu instid0(SALU_CYCLE_1) | instskip(SKIP_2) | instid1(VALU_DEP_1)
	s_or_b32 exec_lo, exec_lo, s28
	v_lshrrev_b16 v2, 8, v2
	s_mov_b32 s28, exec_lo
	v_cmpx_ne_u16_e32 0, v2
	s_cbranch_execz .LBB251_473
; %bb.466:                              ;   in Loop: Header=BB251_9 Depth=1
	v_bfrev_b32_e32 v75, 1
	s_mov_b32 s29, exec_lo
	v_cmpx_ne_u16_e32 0x80, v2
	s_cbranch_execz .LBB251_472
; %bb.467:                              ;   in Loop: Header=BB251_9 Depth=1
	v_and_b32_e32 v77, 0xffff, v2
	v_mov_b32_e32 v75, 0x7c010000
	s_mov_b32 s30, exec_lo
	s_delay_alu instid0(VALU_DEP_2) | instskip(NEXT) | instid1(VALU_DEP_1)
	v_and_b32_e32 v79, 0x7f, v77
	v_cmpx_ne_u32_e32 0x7f, v79
	s_cbranch_execz .LBB251_471
; %bb.468:                              ;   in Loop: Header=BB251_9 Depth=1
	v_dual_lshrrev_b32 v78, 3, v79 :: v_dual_bitop2_b32 v75, 7, v77 bitop3:0x40
	s_mov_b32 s31, exec_lo
	v_cmpx_gt_u32_e32 8, v79
; %bb.469:                              ;   in Loop: Header=BB251_9 Depth=1
	s_delay_alu instid0(VALU_DEP_2) | instskip(NEXT) | instid1(VALU_DEP_1)
	v_clz_i32_u32_e32 v75, v75
	v_min_u32_e32 v75, 32, v75
	s_delay_alu instid0(VALU_DEP_1) | instskip(NEXT) | instid1(VALU_DEP_1)
	v_subrev_nc_u32_e32 v78, 28, v75
	v_lshlrev_b64_e32 v[80:81], v78, v[2:3]
	s_delay_alu instid0(VALU_DEP_1)
	v_dual_sub_nc_u32 v78, 29, v75 :: v_dual_bitop2_b32 v75, 7, v80 bitop3:0x40
; %bb.470:                              ;   in Loop: Header=BB251_9 Depth=1
	s_or_b32 exec_lo, exec_lo, s31
	s_delay_alu instid0(VALU_DEP_1) | instskip(NEXT) | instid1(VALU_DEP_2)
	v_dual_lshlrev_b32 v2, 8, v77 :: v_dual_lshlrev_b32 v75, 23, v75
	v_lshl_add_u32 v77, v78, 10, 0x2000
	s_delay_alu instid0(VALU_DEP_1) | instskip(NEXT) | instid1(VALU_DEP_1)
	v_and_or_b32 v2, 0x8000, v2, v77
	v_lshl_or_b32 v75, v2, 16, v75
.LBB251_471:                            ;   in Loop: Header=BB251_9 Depth=1
	s_or_b32 exec_lo, exec_lo, s30
.LBB251_472:                            ;   in Loop: Header=BB251_9 Depth=1
	s_delay_alu instid0(SALU_CYCLE_1)
	s_or_b32 exec_lo, exec_lo, s29
.LBB251_473:                            ;   in Loop: Header=BB251_9 Depth=1
	s_delay_alu instid0(SALU_CYCLE_1)
	s_or_b32 exec_lo, exec_lo, s28
	global_load_u16 v2, v[8:9], off offset:1800
	v_mov_b32_e32 v77, 0
	s_wait_loadcnt 0x0
	v_and_b32_e32 v78, 0xff, v2
	v_and_b32_e32 v2, 0xffff, v2
	s_delay_alu instid0(VALU_DEP_2)
	v_cmp_ne_u16_e64 s4, 0, v78
	v_mov_b32_e32 v78, 0
	s_and_saveexec_b32 s28, s4
	s_cbranch_execz .LBB251_481
; %bb.474:                              ;   in Loop: Header=BB251_9 Depth=1
	v_and_b32_e32 v78, 0xff, v2
	s_delay_alu instid0(VALU_DEP_1)
	v_cmp_ne_u16_e64 s4, 0x80, v78
	v_mov_b32_e32 v78, 0x8000
	s_and_saveexec_b32 s29, s4
	s_cbranch_execz .LBB251_480
; %bb.475:                              ;   in Loop: Header=BB251_9 Depth=1
	v_and_b32_e32 v80, 0x7f, v2
	v_mov_b32_e32 v78, 0x7c01
	s_mov_b32 s30, exec_lo
	s_delay_alu instid0(VALU_DEP_2)
	v_cmpx_ne_u32_e32 0x7f, v80
	s_cbranch_execz .LBB251_479
; %bb.476:                              ;   in Loop: Header=BB251_9 Depth=1
	v_dual_lshrrev_b32 v79, 3, v80 :: v_dual_bitop2_b32 v78, 7, v2 bitop3:0x40
	s_mov_b32 s31, exec_lo
	v_cmpx_gt_u32_e32 8, v80
; %bb.477:                              ;   in Loop: Header=BB251_9 Depth=1
	s_delay_alu instid0(VALU_DEP_2) | instskip(NEXT) | instid1(VALU_DEP_1)
	v_clz_i32_u32_e32 v78, v78
	v_min_u32_e32 v80, 32, v78
	s_delay_alu instid0(VALU_DEP_1) | instskip(NEXT) | instid1(VALU_DEP_1)
	v_subrev_nc_u32_e32 v78, 28, v80
	v_lshlrev_b64_e32 v[78:79], v78, v[2:3]
	s_delay_alu instid0(VALU_DEP_1)
	v_dual_sub_nc_u32 v79, 29, v80 :: v_dual_bitop2_b32 v78, 7, v78 bitop3:0x40
; %bb.478:                              ;   in Loop: Header=BB251_9 Depth=1
	s_or_b32 exec_lo, exec_lo, s31
	v_lshlrev_b32_e32 v80, 8, v2
	s_delay_alu instid0(VALU_DEP_2) | instskip(NEXT) | instid1(VALU_DEP_3)
	v_lshl_add_u32 v79, v79, 10, 0x2000
	v_lshlrev_b32_e32 v78, 7, v78
	s_delay_alu instid0(VALU_DEP_3) | instskip(NEXT) | instid1(VALU_DEP_3)
	v_and_b32_e32 v80, 0x8000, v80
	v_and_b32_e32 v79, 0xfc00, v79
	s_delay_alu instid0(VALU_DEP_1)
	v_or3_b32 v78, v80, v79, v78
.LBB251_479:                            ;   in Loop: Header=BB251_9 Depth=1
	s_or_b32 exec_lo, exec_lo, s30
.LBB251_480:                            ;   in Loop: Header=BB251_9 Depth=1
	s_delay_alu instid0(SALU_CYCLE_1)
	s_or_b32 exec_lo, exec_lo, s29
.LBB251_481:                            ;   in Loop: Header=BB251_9 Depth=1
	s_delay_alu instid0(SALU_CYCLE_1) | instskip(SKIP_2) | instid1(VALU_DEP_1)
	s_or_b32 exec_lo, exec_lo, s28
	v_lshrrev_b16 v2, 8, v2
	s_mov_b32 s28, exec_lo
	v_cmpx_ne_u16_e32 0, v2
	s_cbranch_execz .LBB251_489
; %bb.482:                              ;   in Loop: Header=BB251_9 Depth=1
	v_bfrev_b32_e32 v77, 1
	s_mov_b32 s29, exec_lo
	v_cmpx_ne_u16_e32 0x80, v2
	s_cbranch_execz .LBB251_488
; %bb.483:                              ;   in Loop: Header=BB251_9 Depth=1
	v_and_b32_e32 v79, 0xffff, v2
	v_mov_b32_e32 v77, 0x7c010000
	s_mov_b32 s30, exec_lo
	s_delay_alu instid0(VALU_DEP_2) | instskip(NEXT) | instid1(VALU_DEP_1)
	v_and_b32_e32 v81, 0x7f, v79
	v_cmpx_ne_u32_e32 0x7f, v81
	s_cbranch_execz .LBB251_487
; %bb.484:                              ;   in Loop: Header=BB251_9 Depth=1
	v_dual_lshrrev_b32 v80, 3, v81 :: v_dual_bitop2_b32 v77, 7, v79 bitop3:0x40
	s_mov_b32 s31, exec_lo
	v_cmpx_gt_u32_e32 8, v81
; %bb.485:                              ;   in Loop: Header=BB251_9 Depth=1
	s_delay_alu instid0(VALU_DEP_2) | instskip(NEXT) | instid1(VALU_DEP_1)
	v_clz_i32_u32_e32 v77, v77
	v_min_u32_e32 v77, 32, v77
	s_delay_alu instid0(VALU_DEP_1) | instskip(NEXT) | instid1(VALU_DEP_1)
	v_subrev_nc_u32_e32 v80, 28, v77
	v_lshlrev_b64_e32 v[82:83], v80, v[2:3]
	s_delay_alu instid0(VALU_DEP_1)
	v_dual_sub_nc_u32 v80, 29, v77 :: v_dual_bitop2_b32 v77, 7, v82 bitop3:0x40
; %bb.486:                              ;   in Loop: Header=BB251_9 Depth=1
	s_or_b32 exec_lo, exec_lo, s31
	s_delay_alu instid0(VALU_DEP_1) | instskip(NEXT) | instid1(VALU_DEP_2)
	v_dual_lshlrev_b32 v2, 8, v79 :: v_dual_lshlrev_b32 v77, 23, v77
	v_lshl_add_u32 v79, v80, 10, 0x2000
	s_delay_alu instid0(VALU_DEP_1) | instskip(NEXT) | instid1(VALU_DEP_1)
	v_and_or_b32 v2, 0x8000, v2, v79
	v_lshl_or_b32 v77, v2, 16, v77
.LBB251_487:                            ;   in Loop: Header=BB251_9 Depth=1
	s_or_b32 exec_lo, exec_lo, s30
.LBB251_488:                            ;   in Loop: Header=BB251_9 Depth=1
	s_delay_alu instid0(SALU_CYCLE_1)
	s_or_b32 exec_lo, exec_lo, s29
.LBB251_489:                            ;   in Loop: Header=BB251_9 Depth=1
	s_delay_alu instid0(SALU_CYCLE_1)
	s_or_b32 exec_lo, exec_lo, s28
	global_load_u16 v2, v[8:9], off offset:1920
	v_mov_b32_e32 v79, 0
	s_wait_loadcnt 0x0
	v_and_b32_e32 v80, 0xff, v2
	v_and_b32_e32 v2, 0xffff, v2
	s_delay_alu instid0(VALU_DEP_2)
	v_cmp_ne_u16_e64 s4, 0, v80
	v_mov_b32_e32 v80, 0
	s_and_saveexec_b32 s28, s4
	s_cbranch_execz .LBB251_497
; %bb.490:                              ;   in Loop: Header=BB251_9 Depth=1
	v_and_b32_e32 v80, 0xff, v2
	s_delay_alu instid0(VALU_DEP_1)
	v_cmp_ne_u16_e64 s4, 0x80, v80
	v_mov_b32_e32 v80, 0x8000
	s_and_saveexec_b32 s29, s4
	s_cbranch_execz .LBB251_496
; %bb.491:                              ;   in Loop: Header=BB251_9 Depth=1
	v_and_b32_e32 v82, 0x7f, v2
	v_mov_b32_e32 v80, 0x7c01
	s_mov_b32 s30, exec_lo
	s_delay_alu instid0(VALU_DEP_2)
	v_cmpx_ne_u32_e32 0x7f, v82
	s_cbranch_execz .LBB251_495
; %bb.492:                              ;   in Loop: Header=BB251_9 Depth=1
	v_and_b32_e32 v80, 7, v2
	v_lshrrev_b32_e32 v81, 3, v82
	s_mov_b32 s31, exec_lo
	v_cmpx_gt_u32_e32 8, v82
; %bb.493:                              ;   in Loop: Header=BB251_9 Depth=1
	s_delay_alu instid0(VALU_DEP_3) | instskip(NEXT) | instid1(VALU_DEP_1)
	v_clz_i32_u32_e32 v80, v80
	v_min_u32_e32 v82, 32, v80
	s_delay_alu instid0(VALU_DEP_1) | instskip(NEXT) | instid1(VALU_DEP_1)
	v_subrev_nc_u32_e32 v80, 28, v82
	v_lshlrev_b64_e32 v[80:81], v80, v[2:3]
	s_delay_alu instid0(VALU_DEP_1)
	v_dual_sub_nc_u32 v81, 29, v82 :: v_dual_bitop2_b32 v80, 7, v80 bitop3:0x40
; %bb.494:                              ;   in Loop: Header=BB251_9 Depth=1
	s_or_b32 exec_lo, exec_lo, s31
	s_delay_alu instid0(VALU_DEP_1) | instskip(NEXT) | instid1(VALU_DEP_2)
	v_dual_lshlrev_b32 v82, 8, v2 :: v_dual_lshlrev_b32 v80, 7, v80
	v_lshl_add_u32 v81, v81, 10, 0x2000
	s_delay_alu instid0(VALU_DEP_2) | instskip(NEXT) | instid1(VALU_DEP_2)
	v_and_b32_e32 v82, 0x8000, v82
	v_and_b32_e32 v81, 0xfc00, v81
	s_delay_alu instid0(VALU_DEP_1)
	v_or3_b32 v80, v82, v81, v80
.LBB251_495:                            ;   in Loop: Header=BB251_9 Depth=1
	s_or_b32 exec_lo, exec_lo, s30
.LBB251_496:                            ;   in Loop: Header=BB251_9 Depth=1
	s_delay_alu instid0(SALU_CYCLE_1)
	s_or_b32 exec_lo, exec_lo, s29
.LBB251_497:                            ;   in Loop: Header=BB251_9 Depth=1
	s_delay_alu instid0(SALU_CYCLE_1) | instskip(SKIP_2) | instid1(VALU_DEP_1)
	s_or_b32 exec_lo, exec_lo, s28
	v_lshrrev_b16 v2, 8, v2
	s_mov_b32 s28, exec_lo
	v_cmpx_ne_u16_e32 0, v2
	s_cbranch_execz .LBB251_505
; %bb.498:                              ;   in Loop: Header=BB251_9 Depth=1
	v_bfrev_b32_e32 v79, 1
	s_mov_b32 s29, exec_lo
	v_cmpx_ne_u16_e32 0x80, v2
	s_cbranch_execz .LBB251_504
; %bb.499:                              ;   in Loop: Header=BB251_9 Depth=1
	v_and_b32_e32 v81, 0xffff, v2
	v_mov_b32_e32 v79, 0x7c010000
	s_mov_b32 s30, exec_lo
	s_delay_alu instid0(VALU_DEP_2) | instskip(NEXT) | instid1(VALU_DEP_1)
	v_and_b32_e32 v83, 0x7f, v81
	v_cmpx_ne_u32_e32 0x7f, v83
	s_cbranch_execz .LBB251_503
; %bb.500:                              ;   in Loop: Header=BB251_9 Depth=1
	v_dual_lshrrev_b32 v82, 3, v83 :: v_dual_bitop2_b32 v79, 7, v81 bitop3:0x40
	s_mov_b32 s31, exec_lo
	v_cmpx_gt_u32_e32 8, v83
; %bb.501:                              ;   in Loop: Header=BB251_9 Depth=1
	s_delay_alu instid0(VALU_DEP_2) | instskip(NEXT) | instid1(VALU_DEP_1)
	v_clz_i32_u32_e32 v79, v79
	v_min_u32_e32 v79, 32, v79
	s_delay_alu instid0(VALU_DEP_1) | instskip(NEXT) | instid1(VALU_DEP_1)
	v_subrev_nc_u32_e32 v82, 28, v79
	v_lshlrev_b64_e32 v[84:85], v82, v[2:3]
	s_delay_alu instid0(VALU_DEP_1)
	v_dual_sub_nc_u32 v82, 29, v79 :: v_dual_bitop2_b32 v79, 7, v84 bitop3:0x40
; %bb.502:                              ;   in Loop: Header=BB251_9 Depth=1
	s_or_b32 exec_lo, exec_lo, s31
	s_delay_alu instid0(VALU_DEP_1) | instskip(NEXT) | instid1(VALU_DEP_2)
	v_dual_lshlrev_b32 v2, 8, v81 :: v_dual_lshlrev_b32 v79, 23, v79
	v_lshl_add_u32 v81, v82, 10, 0x2000
	s_delay_alu instid0(VALU_DEP_1) | instskip(NEXT) | instid1(VALU_DEP_1)
	v_and_or_b32 v2, 0x8000, v2, v81
	v_lshl_or_b32 v79, v2, 16, v79
.LBB251_503:                            ;   in Loop: Header=BB251_9 Depth=1
	s_or_b32 exec_lo, exec_lo, s30
.LBB251_504:                            ;   in Loop: Header=BB251_9 Depth=1
	s_delay_alu instid0(SALU_CYCLE_1)
	s_or_b32 exec_lo, exec_lo, s29
.LBB251_505:                            ;   in Loop: Header=BB251_9 Depth=1
	s_delay_alu instid0(SALU_CYCLE_1)
	s_or_b32 exec_lo, exec_lo, s28
	global_load_u16 v2, v[8:9], off offset:1928
	s_wait_xcnt 0x0
	v_mov_b32_e32 v8, 0
	s_wait_loadcnt 0x0
	v_and_b32_e32 v9, 0xff, v2
	v_and_b32_e32 v2, 0xffff, v2
	s_delay_alu instid0(VALU_DEP_2)
	v_cmp_ne_u16_e64 s4, 0, v9
	v_mov_b32_e32 v9, 0
	s_and_saveexec_b32 s28, s4
	s_cbranch_execz .LBB251_513
; %bb.506:                              ;   in Loop: Header=BB251_9 Depth=1
	v_and_b32_e32 v9, 0xff, v2
	s_delay_alu instid0(VALU_DEP_1)
	v_cmp_ne_u16_e64 s4, 0x80, v9
	v_mov_b32_e32 v9, 0x8000
	s_and_saveexec_b32 s29, s4
	s_cbranch_execz .LBB251_512
; %bb.507:                              ;   in Loop: Header=BB251_9 Depth=1
	v_and_b32_e32 v82, 0x7f, v2
	v_mov_b32_e32 v9, 0x7c01
	s_mov_b32 s30, exec_lo
	s_delay_alu instid0(VALU_DEP_2)
	v_cmpx_ne_u32_e32 0x7f, v82
	s_cbranch_execz .LBB251_511
; %bb.508:                              ;   in Loop: Header=BB251_9 Depth=1
	v_and_b32_e32 v9, 7, v2
	v_lshrrev_b32_e32 v81, 3, v82
	s_mov_b32 s31, exec_lo
	v_cmpx_gt_u32_e32 8, v82
; %bb.509:                              ;   in Loop: Header=BB251_9 Depth=1
	s_delay_alu instid0(VALU_DEP_3) | instskip(NEXT) | instid1(VALU_DEP_1)
	v_clz_i32_u32_e32 v9, v9
	v_min_u32_e32 v9, 32, v9
	s_delay_alu instid0(VALU_DEP_1) | instskip(NEXT) | instid1(VALU_DEP_1)
	v_subrev_nc_u32_e32 v81, 28, v9
	v_lshlrev_b64_e32 v[82:83], v81, v[2:3]
	s_delay_alu instid0(VALU_DEP_1)
	v_dual_sub_nc_u32 v81, 29, v9 :: v_dual_bitop2_b32 v9, 7, v82 bitop3:0x40
; %bb.510:                              ;   in Loop: Header=BB251_9 Depth=1
	s_or_b32 exec_lo, exec_lo, s31
	s_delay_alu instid0(VALU_DEP_1) | instskip(NEXT) | instid1(VALU_DEP_2)
	v_dual_lshlrev_b32 v82, 8, v2 :: v_dual_lshlrev_b32 v9, 7, v9
	v_lshl_add_u32 v81, v81, 10, 0x2000
	s_delay_alu instid0(VALU_DEP_2) | instskip(NEXT) | instid1(VALU_DEP_2)
	v_and_b32_e32 v82, 0x8000, v82
	v_and_b32_e32 v81, 0xfc00, v81
	s_delay_alu instid0(VALU_DEP_1)
	v_or3_b32 v9, v82, v81, v9
.LBB251_511:                            ;   in Loop: Header=BB251_9 Depth=1
	s_or_b32 exec_lo, exec_lo, s30
.LBB251_512:                            ;   in Loop: Header=BB251_9 Depth=1
	s_delay_alu instid0(SALU_CYCLE_1)
	s_or_b32 exec_lo, exec_lo, s29
.LBB251_513:                            ;   in Loop: Header=BB251_9 Depth=1
	s_delay_alu instid0(SALU_CYCLE_1) | instskip(SKIP_2) | instid1(VALU_DEP_1)
	s_or_b32 exec_lo, exec_lo, s28
	v_lshrrev_b16 v2, 8, v2
	s_mov_b32 s28, exec_lo
	v_cmpx_ne_u16_e32 0, v2
	s_cbranch_execz .LBB251_521
; %bb.514:                              ;   in Loop: Header=BB251_9 Depth=1
	v_bfrev_b32_e32 v8, 1
	s_mov_b32 s29, exec_lo
	v_cmpx_ne_u16_e32 0x80, v2
	s_cbranch_execz .LBB251_520
; %bb.515:                              ;   in Loop: Header=BB251_9 Depth=1
	v_and_b32_e32 v81, 0xffff, v2
	v_mov_b32_e32 v8, 0x7c010000
	s_mov_b32 s30, exec_lo
	s_delay_alu instid0(VALU_DEP_2) | instskip(NEXT) | instid1(VALU_DEP_1)
	v_and_b32_e32 v83, 0x7f, v81
	v_cmpx_ne_u32_e32 0x7f, v83
	s_cbranch_execz .LBB251_519
; %bb.516:                              ;   in Loop: Header=BB251_9 Depth=1
	v_dual_lshrrev_b32 v82, 3, v83 :: v_dual_bitop2_b32 v8, 7, v81 bitop3:0x40
	s_mov_b32 s31, exec_lo
	v_cmpx_gt_u32_e32 8, v83
; %bb.517:                              ;   in Loop: Header=BB251_9 Depth=1
	s_delay_alu instid0(VALU_DEP_2) | instskip(NEXT) | instid1(VALU_DEP_1)
	v_clz_i32_u32_e32 v8, v8
	v_min_u32_e32 v8, 32, v8
	s_delay_alu instid0(VALU_DEP_1) | instskip(NEXT) | instid1(VALU_DEP_1)
	v_subrev_nc_u32_e32 v82, 28, v8
	v_lshlrev_b64_e32 v[84:85], v82, v[2:3]
	v_sub_nc_u32_e32 v82, 29, v8
	s_delay_alu instid0(VALU_DEP_2)
	v_and_b32_e32 v8, 7, v84
; %bb.518:                              ;   in Loop: Header=BB251_9 Depth=1
	s_or_b32 exec_lo, exec_lo, s31
	s_delay_alu instid0(VALU_DEP_1) | instskip(NEXT) | instid1(VALU_DEP_3)
	v_dual_lshlrev_b32 v2, 8, v81 :: v_dual_lshlrev_b32 v8, 23, v8
	v_lshl_add_u32 v81, v82, 10, 0x2000
	s_delay_alu instid0(VALU_DEP_1) | instskip(NEXT) | instid1(VALU_DEP_1)
	v_and_or_b32 v2, 0x8000, v2, v81
	v_lshl_or_b32 v8, v2, 16, v8
.LBB251_519:                            ;   in Loop: Header=BB251_9 Depth=1
	s_or_b32 exec_lo, exec_lo, s30
.LBB251_520:                            ;   in Loop: Header=BB251_9 Depth=1
	s_delay_alu instid0(SALU_CYCLE_1)
	s_or_b32 exec_lo, exec_lo, s29
.LBB251_521:                            ;   in Loop: Header=BB251_9 Depth=1
	s_delay_alu instid0(SALU_CYCLE_1)
	s_or_b32 exec_lo, exec_lo, s28
	ds_load_b32 v2, v13
	v_or_b32_e32 v19, v18, v19
	v_fma_mixlo_f16 v18, v17, v18, 0 op_sel:[0,1,0] op_sel_hi:[0,1,0]
	v_or_b32_e32 v32, v31, v32
	v_fma_mixlo_f16 v31, v17, v31, 0 op_sel:[0,1,0] op_sel_hi:[0,1,0]
	;; [unrolled: 2-line block ×3, first 2 shown]
	v_and_b32_e32 v18, 0xffff, v18
	v_fma_mixlo_f16 v32, v17, v32, 0 op_sel_hi:[0,1,0]
	v_and_b32_e32 v91, 0xffff, v31
	v_fma_mixlo_f16 v36, v17, v36, 0 op_sel_hi:[0,1,0]
	v_and_b32_e32 v99, 0xffff, v35
	v_or_b32_e32 v40, v39, v40
	v_fma_mixlo_f16 v39, v17, v39, 0 op_sel:[0,1,0] op_sel_hi:[0,1,0]
	v_or_b32_e32 v44, v43, v44
	v_and_b32_e32 v98, 0xffff, v36
	v_fma_mixlo_f16 v43, v17, v43, 0 op_sel:[0,1,0] op_sel_hi:[0,1,0]
	v_fma_mixlo_f16 v40, v17, v40, 0 op_sel_hi:[0,1,0]
	v_and_b32_e32 v103, 0xffff, v39
	v_fma_mixlo_f16 v44, v17, v44, 0 op_sel_hi:[0,1,0]
	s_wait_dscnt 0x0
	v_and_b32_e32 v81, 0xffff, v2
	v_lshrrev_b32_e32 v2, 16, v2
	v_fma_mixlo_f16 v19, v17, v19, 0 op_sel_hi:[0,1,0]
	;;#ASMSTART
	v_cvt_f32_f16 v93, v81;
	;;#ASMEND
	;;#ASMSTART
	v_cvt_f32_f16 v84, v2;
	;;#ASMEND
	v_and_b32_e32 v102, 0xffff, v40
	v_and_b32_e32 v106, 0xffff, v44
	;; [unrolled: 1-line block ×3, first 2 shown]
	;;#ASMSTART
	v_cvt_f32_f16 v94, v19;
	;;#ASMEND
	;;#ASMSTART
	v_cvt_f32_f16 v85, v18;
	;;#ASMEND
	ds_load_b32 v2, v13 offset:4
	v_or_b32_e32 v18, v20, v21
	v_fma_mixlo_f16 v19, v17, v20, 0 op_sel:[0,1,0] op_sel_hi:[0,1,0]
	v_and_b32_e32 v107, 0xffff, v43
	v_or_b32_e32 v48, v47, v48
	v_fma_mixlo_f16 v47, v17, v47, 0 op_sel:[0,1,0] op_sel_hi:[0,1,0]
	v_or_b32_e32 v52, v51, v52
	v_and_b32_e32 v19, 0xffff, v19
	v_fma_mixlo_f16 v51, v17, v51, 0 op_sel:[0,1,0] op_sel_hi:[0,1,0]
	v_fma_mixlo_f16 v48, v17, v48, 0 op_sel_hi:[0,1,0]
	v_and_b32_e32 v111, 0xffff, v47
	v_fma_mixlo_f16 v52, v17, v52, 0 op_sel_hi:[0,1,0]
	v_or_b32_e32 v56, v55, v56
	v_and_b32_e32 v115, 0xffff, v51
	v_and_b32_e32 v110, 0xffff, v48
	v_fma_mixlo_f16 v55, v17, v55, 0 op_sel:[0,1,0] op_sel_hi:[0,1,0]
	v_and_b32_e32 v114, 0xffff, v52
	v_fma_mixlo_f16 v56, v17, v56, 0 op_sel_hi:[0,1,0]
	v_or_b32_e32 v34, v33, v34
	v_fma_mixlo_f16 v33, v17, v33, 0 op_sel:[0,1,0] op_sel_hi:[0,1,0]
	s_wait_dscnt 0x0
	v_lshrrev_b32_e32 v21, 16, v2
	v_fma_mixlo_f16 v18, v17, v18, 0 op_sel_hi:[0,1,0]
	v_and_b32_e32 v20, 0xffff, v2
	;;#ASMSTART
	v_cvt_f32_f16 v2, v20;
	;;#ASMEND
	v_or_b32_e32 v20, v22, v23
	v_and_b32_e32 v118, 0xffff, v56
	v_and_b32_e32 v81, 0xffff, v18
	;;#ASMSTART
	v_cvt_f32_f16 v18, v21;
	;;#ASMEND
	;;#ASMSTART
	v_cvt_f32_f16 v95, v81;
	;;#ASMEND
	;; [unrolled: 3-line block ×3, first 2 shown]
	ds_load_b32 v19, v13 offset:8
	v_fma_mixlo_f16 v20, v17, v20, 0 op_sel_hi:[0,1,0]
	v_fma_mixlo_f16 v21, v17, v22, 0 op_sel:[0,1,0] op_sel_hi:[0,1,0]
	v_and_b32_e32 v119, 0xffff, v55
	v_dual_mul_f32 v2, v2, v95 :: v_dual_bitop2_b32 v60, v59, v60 bitop3:0x54
	s_delay_alu instid0(VALU_DEP_4) | instskip(NEXT) | instid1(VALU_DEP_4)
	v_and_b32_e32 v20, 0xffff, v20
	v_and_b32_e32 v23, 0xffff, v21
	v_fma_mixlo_f16 v59, v17, v59, 0 op_sel:[0,1,0] op_sel_hi:[0,1,0]
	s_delay_alu instid0(VALU_DEP_4)
	v_fma_mixlo_f16 v60, v17, v60, 0 op_sel_hi:[0,1,0]
	v_mul_f32_e32 v18, v18, v92
	v_fma_mixlo_f16 v34, v17, v34, 0 op_sel_hi:[0,1,0]
	v_and_b32_e32 v97, 0xffff, v33
	v_and_b32_e32 v122, 0xffff, v59
	v_or_b32_e32 v38, v37, v38
	v_fma_mixlo_f16 v37, v17, v37, 0 op_sel:[0,1,0] op_sel_hi:[0,1,0]
	v_and_b32_e32 v96, 0xffff, v34
	v_or_b32_e32 v42, v41, v42
	v_fma_mixlo_f16 v41, v17, v41, 0 op_sel:[0,1,0] op_sel_hi:[0,1,0]
	v_fma_mixlo_f16 v38, v17, v38, 0 op_sel_hi:[0,1,0]
	s_wait_dscnt 0x0
	v_and_b32_e32 v22, 0xffff, v19
	v_lshrrev_b32_e32 v19, 16, v19
	;;#ASMSTART
	v_cvt_f32_f16 v86, v22;
	;;#ASMEND
	;;#ASMSTART
	v_cvt_f32_f16 v21, v19;
	;;#ASMEND
	;; [unrolled: 3-line block ×4, first 2 shown]
	ds_load_b32 v19, v13 offset:12
	v_or_b32_e32 v20, v24, v25
	v_fma_mixlo_f16 v22, v17, v24, 0 op_sel:[0,1,0] op_sel_hi:[0,1,0]
	v_fma_mixlo_f16 v24, v17, v26, 0 op_sel:[0,1,0] op_sel_hi:[0,1,0]
	v_and_b32_e32 v100, 0xffff, v38
	v_and_b32_e32 v101, 0xffff, v37
	v_fma_mixlo_f16 v20, v17, v20, 0 op_sel_hi:[0,1,0]
	v_and_b32_e32 v22, 0xffff, v22
	v_and_b32_e32 v88, 0xffff, v24
	v_fma_mixlo_f16 v42, v17, v42, 0 op_sel_hi:[0,1,0]
	v_and_b32_e32 v105, 0xffff, v41
	v_and_b32_e32 v20, 0xffff, v20
	v_or_b32_e32 v46, v45, v46
	v_fma_mixlo_f16 v45, v17, v45, 0 op_sel:[0,1,0] op_sel_hi:[0,1,0]
	v_and_b32_e32 v104, 0xffff, v42
	v_or_b32_e32 v50, v49, v50
	v_fma_mixlo_f16 v49, v17, v49, 0 op_sel:[0,1,0] op_sel_hi:[0,1,0]
	v_fma_mixlo_f16 v46, v17, v46, 0 op_sel_hi:[0,1,0]
	v_and_b32_e32 v109, 0xffff, v45
	v_or_b32_e32 v54, v53, v54
	s_wait_dscnt 0x0
	v_and_b32_e32 v23, 0xffff, v19
	v_lshrrev_b32_e32 v19, 16, v19
	;;#ASMSTART
	v_cvt_f32_f16 v82, v23;
	;;#ASMEND
	;;#ASMSTART
	v_cvt_f32_f16 v19, v19;
	;;#ASMEND
	;; [unrolled: 3-line block ×4, first 2 shown]
	ds_load_b32 v22, v13 offset:16
	v_or_b32_e32 v23, v26, v27
	v_and_b32_e32 v108, 0xffff, v46
	v_fma_mixlo_f16 v50, v17, v50, 0 op_sel_hi:[0,1,0]
	v_and_b32_e32 v113, 0xffff, v49
	v_fma_mixlo_f16 v53, v17, v53, 0 op_sel:[0,1,0] op_sel_hi:[0,1,0]
	v_fma_mixlo_f16 v23, v17, v23, 0 op_sel_hi:[0,1,0]
	v_fma_mixlo_f16 v54, v17, v54, 0 op_sel_hi:[0,1,0]
	v_and_b32_e32 v112, 0xffff, v50
	v_or_b32_e32 v58, v57, v58
	v_and_b32_e32 v117, 0xffff, v53
	v_and_b32_e32 v27, 0xffff, v23
	;; [unrolled: 1-line block ×3, first 2 shown]
	v_fma_mixlo_f16 v57, v17, v57, 0 op_sel:[0,1,0] op_sel_hi:[0,1,0]
	v_fma_mixlo_f16 v58, v17, v58, 0 op_sel_hi:[0,1,0]
	v_dual_fmac_f32 v2, v93, v94 :: v_dual_bitop2_b32 v9, v8, v9 bitop3:0x54
	v_fma_mixlo_f16 v8, v17, v8, 0 op_sel:[0,1,0] op_sel_hi:[0,1,0]
	s_delay_alu instid0(VALU_DEP_4) | instskip(NEXT) | instid1(VALU_DEP_4)
	v_and_b32_e32 v121, 0xffff, v57
	v_and_b32_e32 v120, 0xffff, v58
	s_wait_dscnt 0x0
	v_and_b32_e32 v25, 0xffff, v22
	v_lshrrev_b32_e32 v26, 16, v22
	;;#ASMSTART
	v_cvt_f32_f16 v22, v25;
	;;#ASMEND
	;;#ASMSTART
	v_cvt_f32_f16 v23, v26;
	;;#ASMEND
	;; [unrolled: 3-line block ×4, first 2 shown]
	ds_load_b32 v26, v13 offset:20
	v_or_b32_e32 v27, v29, v30
	v_fma_mixlo_f16 v29, v17, v29, 0 op_sel:[0,1,0] op_sel_hi:[0,1,0]
	v_fmac_f32_e32 v2, v86, v87
	v_fma_mixlo_f16 v9, v17, v9, 0 op_sel_hi:[0,1,0]
	s_delay_alu instid0(VALU_DEP_4) | instskip(NEXT) | instid1(VALU_DEP_4)
	v_fma_mixlo_f16 v27, v17, v27, 0 op_sel_hi:[0,1,0]
	v_and_b32_e32 v90, 0xffff, v29
	s_delay_alu instid0(VALU_DEP_4) | instskip(NEXT) | instid1(VALU_DEP_4)
	v_fmac_f32_e32 v2, v82, v83
	v_and_b32_e32 v9, 0xffff, v9
	s_delay_alu instid0(VALU_DEP_4) | instskip(NEXT) | instid1(VALU_DEP_3)
	v_and_b32_e32 v89, 0xffff, v27
	v_fmac_f32_e32 v2, v22, v24
	s_wait_dscnt 0x0
	v_and_b32_e32 v30, 0xffff, v26
	v_lshrrev_b32_e32 v88, 16, v26
	;;#ASMSTART
	v_cvt_f32_f16 v26, v30;
	;;#ASMEND
	;;#ASMSTART
	v_cvt_f32_f16 v27, v88;
	;;#ASMEND
	;; [unrolled: 3-line block ×4, first 2 shown]
	ds_load_b32 v88, v13 offset:24
	v_and_b32_e32 v90, 0xffff, v32
	s_wait_dscnt 0x0
	v_and_b32_e32 v89, 0xffff, v88
	v_lshrrev_b32_e32 v88, 16, v88
	;;#ASMSTART
	v_cvt_f32_f16 v31, v89;
	;;#ASMEND
	;;#ASMSTART
	v_cvt_f32_f16 v32, v88;
	;;#ASMEND
	;;#ASMSTART
	v_cvt_f32_f16 v88, v90;
	;;#ASMEND
	;;#ASMSTART
	v_cvt_f32_f16 v89, v91;
	;;#ASMEND
	ds_load_b32 v90, v13 offset:28
	s_wait_dscnt 0x0
	v_and_b32_e32 v91, 0xffff, v90
	v_lshrrev_b32_e32 v90, 16, v90
	;;#ASMSTART
	v_cvt_f32_f16 v33, v91;
	;;#ASMEND
	;;#ASMSTART
	v_cvt_f32_f16 v34, v90;
	;;#ASMEND
	;;#ASMSTART
	v_cvt_f32_f16 v90, v96;
	;;#ASMEND
	;;#ASMSTART
	v_cvt_f32_f16 v91, v97;
	;;#ASMEND
	ds_load_b32 v96, v13 offset:32
	;; [unrolled: 16-line block ×14, first 2 shown]
	v_and_b32_e32 v121, 0xffff, v60
	s_wait_dscnt 0x0
	v_and_b32_e32 v95, 0xffff, v120
	v_lshrrev_b32_e32 v120, 16, v120
	;;#ASMSTART
	v_cvt_f32_f16 v59, v95;
	;;#ASMEND
	;;#ASMSTART
	v_cvt_f32_f16 v60, v120;
	;;#ASMEND
	;;#ASMSTART
	v_cvt_f32_f16 v93, v121;
	;;#ASMEND
	;;#ASMSTART
	v_cvt_f32_f16 v94, v122;
	;;#ASMEND
	ds_load_b32 v95, v13 offset:84
	v_or_b32_e32 v62, v61, v62
	v_fma_mixlo_f16 v61, v17, v61, 0 op_sel:[0,1,0] op_sel_hi:[0,1,0]
	s_delay_alu instid0(VALU_DEP_1)
	v_and_b32_e32 v61, 0xffff, v61
	s_wait_dscnt 0x0
	v_and_b32_e32 v120, 0xffff, v95
	v_lshrrev_b32_e32 v95, 16, v95
	v_fma_mixlo_f16 v62, v17, v62, 0 op_sel_hi:[0,1,0]
	;;#ASMSTART
	v_cvt_f32_f16 v92, v120;
	;;#ASMEND
	;;#ASMSTART
	v_cvt_f32_f16 v95, v95;
	;;#ASMEND
	s_delay_alu instid0(VALU_DEP_1)
	v_and_b32_e32 v62, 0xffff, v62
	;;#ASMSTART
	v_cvt_f32_f16 v120, v62;
	;;#ASMEND
	;;#ASMSTART
	v_cvt_f32_f16 v121, v61;
	;;#ASMEND
	ds_load_b32 v61, v13 offset:88
	v_or_b32_e32 v62, v63, v64
	v_fma_mixlo_f16 v63, v17, v63, 0 op_sel:[0,1,0] op_sel_hi:[0,1,0]
	s_delay_alu instid0(VALU_DEP_1)
	v_and_b32_e32 v63, 0xffff, v63
	s_wait_dscnt 0x0
	v_and_b32_e32 v64, 0xffff, v61
	v_lshrrev_b32_e32 v61, 16, v61
	v_fmac_f32_e32 v18, v84, v85
	v_fma_mixlo_f16 v62, v17, v62, 0 op_sel_hi:[0,1,0]
	;;#ASMSTART
	v_cvt_f32_f16 v64, v64;
	;;#ASMEND
	;;#ASMSTART
	v_cvt_f32_f16 v84, v61;
	;;#ASMEND
	s_delay_alu instid0(VALU_DEP_2) | instskip(NEXT) | instid1(VALU_DEP_2)
	v_fmac_f32_e32 v18, v21, v81
	v_and_b32_e32 v62, 0xffff, v62
	;;#ASMSTART
	v_cvt_f32_f16 v85, v62;
	;;#ASMEND
	;;#ASMSTART
	v_cvt_f32_f16 v122, v63;
	;;#ASMEND
	ds_load_b32 v61, v13 offset:92
	v_or_b32_e32 v62, v65, v66
	v_fma_mixlo_f16 v63, v17, v65, 0 op_sel:[0,1,0] op_sel_hi:[0,1,0]
	s_delay_alu instid0(VALU_DEP_2) | instskip(NEXT) | instid1(VALU_DEP_2)
	v_fma_mixlo_f16 v62, v17, v62, 0 op_sel_hi:[0,1,0]
	v_and_b32_e32 v63, 0xffff, v63
	s_delay_alu instid0(VALU_DEP_2)
	v_and_b32_e32 v62, 0xffff, v62
	s_wait_dscnt 0x0
	v_and_b32_e32 v65, 0xffff, v61
	v_lshrrev_b32_e32 v61, 16, v61
	;;#ASMSTART
	v_cvt_f32_f16 v65, v65;
	;;#ASMEND
	;;#ASMSTART
	v_cvt_f32_f16 v66, v61;
	;;#ASMEND
	;; [unrolled: 3-line block ×4, first 2 shown]
	ds_load_b32 v61, v13 offset:96
	v_or_b32_e32 v62, v67, v68
	v_fma_mixlo_f16 v63, v17, v67, 0 op_sel:[0,1,0] op_sel_hi:[0,1,0]
	s_delay_alu instid0(VALU_DEP_2) | instskip(NEXT) | instid1(VALU_DEP_2)
	v_fma_mixlo_f16 v62, v17, v62, 0 op_sel_hi:[0,1,0]
	v_and_b32_e32 v63, 0xffff, v63
	s_delay_alu instid0(VALU_DEP_2)
	v_and_b32_e32 v62, 0xffff, v62
	s_wait_dscnt 0x0
	v_and_b32_e32 v21, 0xffff, v61
	v_lshrrev_b32_e32 v61, 16, v61
	;;#ASMSTART
	v_cvt_f32_f16 v67, v21;
	;;#ASMEND
	;;#ASMSTART
	v_cvt_f32_f16 v68, v61;
	;;#ASMEND
	;; [unrolled: 3-line block ×4, first 2 shown]
	ds_load_b32 v21, v13 offset:100
	v_or_b32_e32 v61, v69, v70
	v_fma_mixlo_f16 v62, v17, v69, 0 op_sel:[0,1,0] op_sel_hi:[0,1,0]
	s_delay_alu instid0(VALU_DEP_1)
	v_and_b32_e32 v62, 0xffff, v62
	s_wait_dscnt 0x0
	v_and_b32_e32 v69, 0xffff, v21
	v_lshrrev_b32_e32 v21, 16, v21
	v_fma_mixlo_f16 v61, v17, v61, 0 op_sel_hi:[0,1,0]
	;;#ASMSTART
	v_cvt_f32_f16 v69, v69;
	;;#ASMEND
	;;#ASMSTART
	v_cvt_f32_f16 v70, v21;
	;;#ASMEND
	s_delay_alu instid0(VALU_DEP_1)
	v_and_b32_e32 v61, 0xffff, v61
	;;#ASMSTART
	v_cvt_f32_f16 v82, v61;
	;;#ASMEND
	;;#ASMSTART
	v_cvt_f32_f16 v83, v62;
	;;#ASMEND
	ds_load_b32 v21, v13 offset:104
	v_or_b32_e32 v61, v71, v72
	v_fmac_f32_e32 v18, v19, v20
	v_fma_mixlo_f16 v62, v17, v71, 0 op_sel:[0,1,0] op_sel_hi:[0,1,0]
	s_delay_alu instid0(VALU_DEP_3) | instskip(NEXT) | instid1(VALU_DEP_2)
	v_fma_mixlo_f16 v19, v17, v61, 0 op_sel_hi:[0,1,0]
	v_and_b32_e32 v20, 0xffff, v62
	s_delay_alu instid0(VALU_DEP_2)
	v_and_b32_e32 v19, 0xffff, v19
	s_wait_dscnt 0x0
	v_and_b32_e32 v22, 0xffff, v21
	v_lshrrev_b32_e32 v21, 16, v21
	v_fmac_f32_e32 v18, v23, v25
	;;#ASMSTART
	v_cvt_f32_f16 v22, v22;
	;;#ASMEND
	;;#ASMSTART
	v_cvt_f32_f16 v23, v21;
	;;#ASMEND
	;; [unrolled: 3-line block ×4, first 2 shown]
	ds_load_b32 v19, v13 offset:108
	v_dual_fmac_f32 v2, v26, v29 :: v_dual_bitop2_b32 v20, v73, v74 bitop3:0x54
	v_fma_mixlo_f16 v21, v17, v73, 0 op_sel:[0,1,0] op_sel_hi:[0,1,0]
	s_delay_alu instid0(VALU_DEP_2) | instskip(NEXT) | instid1(VALU_DEP_2)
	v_fma_mixlo_f16 v20, v17, v20, 0 op_sel_hi:[0,1,0]
	v_and_b32_e32 v21, 0xffff, v21
	s_delay_alu instid0(VALU_DEP_2)
	v_and_b32_e32 v20, 0xffff, v20
	s_wait_dscnt 0x0
	v_and_b32_e32 v26, 0xffff, v19
	v_dual_fmac_f32 v18, v27, v30 :: v_dual_lshrrev_b32 v19, 16, v19
	;;#ASMSTART
	v_cvt_f32_f16 v26, v26;
	;;#ASMEND
	;;#ASMSTART
	v_cvt_f32_f16 v27, v19;
	;;#ASMEND
	;;#ASMSTART
	v_cvt_f32_f16 v29, v20;
	;;#ASMEND
	v_or_b32_e32 v20, v75, v76
	v_fmac_f32_e32 v2, v31, v88
	;;#ASMSTART
	v_cvt_f32_f16 v30, v21;
	;;#ASMEND
	ds_load_b32 v19, v13 offset:112
	v_fma_mixlo_f16 v21, v17, v75, 0 op_sel:[0,1,0] op_sel_hi:[0,1,0]
	v_fma_mixlo_f16 v20, v17, v20, 0 op_sel_hi:[0,1,0]
	v_fmac_f32_e32 v2, v33, v90
	s_delay_alu instid0(VALU_DEP_3) | instskip(NEXT) | instid1(VALU_DEP_3)
	v_and_b32_e32 v21, 0xffff, v21
	v_and_b32_e32 v20, 0xffff, v20
	s_delay_alu instid0(VALU_DEP_3) | instskip(NEXT) | instid1(VALU_DEP_1)
	v_fmac_f32_e32 v2, v35, v96
	v_fmac_f32_e32 v2, v37, v98
	s_delay_alu instid0(VALU_DEP_1) | instskip(SKIP_3) | instid1(VALU_DEP_3)
	v_fmac_f32_e32 v2, v39, v100
	s_wait_dscnt 0x0
	v_and_b32_e32 v31, 0xffff, v19
	v_dual_fmac_f32 v18, v32, v89 :: v_dual_lshrrev_b32 v19, 16, v19
	v_fmac_f32_e32 v2, v41, v102
	;;#ASMSTART
	v_cvt_f32_f16 v31, v31;
	;;#ASMEND
	;;#ASMSTART
	v_cvt_f32_f16 v32, v19;
	;;#ASMEND
	;; [unrolled: 3-line block ×3, first 2 shown]
	v_fmac_f32_e32 v18, v34, v91
	v_fmac_f32_e32 v2, v43, v104
	;;#ASMSTART
	v_cvt_f32_f16 v34, v21;
	;;#ASMEND
	ds_load_b32 v19, v13 offset:116
	v_dual_fmac_f32 v18, v36, v97 :: v_dual_bitop2_b32 v20, v77, v78 bitop3:0x54
	v_fmac_f32_e32 v2, v45, v106
	v_fma_mixlo_f16 v21, v17, v77, 0 op_sel:[0,1,0] op_sel_hi:[0,1,0]
	s_delay_alu instid0(VALU_DEP_3) | instskip(NEXT) | instid1(VALU_DEP_4)
	v_fma_mixlo_f16 v20, v17, v20, 0 op_sel_hi:[0,1,0]
	v_fmac_f32_e32 v18, v38, v99
	s_delay_alu instid0(VALU_DEP_4) | instskip(NEXT) | instid1(VALU_DEP_4)
	v_fmac_f32_e32 v2, v47, v108
	v_and_b32_e32 v21, 0xffff, v21
	s_delay_alu instid0(VALU_DEP_4) | instskip(NEXT) | instid1(VALU_DEP_4)
	v_and_b32_e32 v20, 0xffff, v20
	v_fmac_f32_e32 v18, v40, v101
	s_delay_alu instid0(VALU_DEP_4) | instskip(NEXT) | instid1(VALU_DEP_1)
	v_fmac_f32_e32 v2, v49, v110
	v_fmac_f32_e32 v2, v51, v112
	s_wait_dscnt 0x0
	v_and_b32_e32 v35, 0xffff, v19
	v_lshrrev_b32_e32 v19, 16, v19
	;;#ASMSTART
	v_cvt_f32_f16 v35, v35;
	;;#ASMEND
	v_fmac_f32_e32 v2, v53, v114
	;;#ASMSTART
	v_cvt_f32_f16 v36, v19;
	;;#ASMEND
	;;#ASMSTART
	v_cvt_f32_f16 v37, v20;
	;;#ASMEND
	;; [unrolled: 3-line block ×3, first 2 shown]
	ds_load_b32 v19, v13 offset:120
	v_fmac_f32_e32 v2, v55, v116
	v_or_b32_e32 v20, v79, v80
	v_fma_mixlo_f16 v21, v17, v79, 0 op_sel:[0,1,0] op_sel_hi:[0,1,0]
	s_delay_alu instid0(VALU_DEP_3) | instskip(NEXT) | instid1(VALU_DEP_3)
	v_fmac_f32_e32 v2, v57, v118
	v_fma_mixlo_f16 v20, v17, v20, 0 op_sel_hi:[0,1,0]
	s_delay_alu instid0(VALU_DEP_3) | instskip(SKIP_1) | instid1(VALU_DEP_4)
	v_and_b32_e32 v21, 0xffff, v21
	v_and_b32_e32 v17, 0xffff, v8
	v_fmac_f32_e32 v2, v59, v93
	s_delay_alu instid0(VALU_DEP_4) | instskip(NEXT) | instid1(VALU_DEP_2)
	v_and_b32_e32 v20, 0xffff, v20
	v_fmac_f32_e32 v2, v92, v120
	s_wait_dscnt 0x0
	v_and_b32_e32 v39, 0xffff, v19
	s_delay_alu instid0(VALU_DEP_2) | instskip(SKIP_3) | instid1(VALU_DEP_1)
	v_dual_fmac_f32 v2, v64, v85 :: v_dual_lshrrev_b32 v19, 16, v19
	;;#ASMSTART
	v_cvt_f32_f16 v39, v39;
	;;#ASMEND
	;;#ASMSTART
	v_cvt_f32_f16 v40, v19;
	;;#ASMEND
	;; [unrolled: 3-line block ×3, first 2 shown]
	v_fmac_f32_e32 v2, v65, v86
	;;#ASMSTART
	v_cvt_f32_f16 v21, v21;
	;;#ASMEND
	ds_load_b32 v19, v13 offset:124
	v_dual_fmac_f32 v2, v67, v81 :: v_dual_bitop2_b32 v20, 2, v10 bitop3:0x14
	s_delay_alu instid0(VALU_DEP_1) | instskip(NEXT) | instid1(VALU_DEP_1)
	v_cmp_gt_i32_e64 s4, 32, v20
	v_dual_fmac_f32 v2, v69, v82 :: v_dual_cndmask_b32 v8, v10, v20, s4
	s_delay_alu instid0(VALU_DEP_1) | instskip(NEXT) | instid1(VALU_DEP_1)
	v_fmac_f32_e32 v2, v22, v24
	v_dual_lshlrev_b32 v8, 2, v8 :: v_dual_fmac_f32 v2, v26, v29
	s_wait_dscnt 0x0
	v_and_b32_e32 v20, 0xffff, v19
	v_lshrrev_b32_e32 v19, 16, v19
	;;#ASMSTART
	v_cvt_f32_f16 v20, v20;
	;;#ASMEND
	v_fmac_f32_e32 v2, v31, v33
	;;#ASMSTART
	v_cvt_f32_f16 v19, v19;
	;;#ASMEND
	;;#ASMSTART
	v_cvt_f32_f16 v9, v9;
	;;#ASMEND
	;; [unrolled: 3-line block ×3, first 2 shown]
	s_delay_alu instid0(VALU_DEP_1) | instskip(NEXT) | instid1(VALU_DEP_1)
	v_fmac_f32_e32 v2, v35, v37
	v_fmac_f32_e32 v2, v39, v41
	s_delay_alu instid0(VALU_DEP_1) | instskip(NEXT) | instid1(VALU_DEP_1)
	v_dual_fmac_f32 v2, v20, v9 :: v_dual_bitop2_b32 v9, 1, v10 bitop3:0x14
	v_cmp_gt_i32_e64 s4, 32, v9
	s_delay_alu instid0(VALU_DEP_1) | instskip(SKIP_1) | instid1(VALU_DEP_1)
	v_cndmask_b32_e64 v9, v10, v9, s4
	v_fmac_f32_e32 v18, v42, v103
	v_fmac_f32_e32 v18, v44, v105
	s_delay_alu instid0(VALU_DEP_1) | instskip(NEXT) | instid1(VALU_DEP_1)
	v_fmac_f32_e32 v18, v46, v107
	v_fmac_f32_e32 v18, v48, v109
	s_delay_alu instid0(VALU_DEP_1) | instskip(NEXT) | instid1(VALU_DEP_1)
	;; [unrolled: 3-line block ×10, first 2 shown]
	v_fmac_f32_e32 v18, v19, v17
	v_add_f32_e32 v2, v2, v18
	ds_bpermute_b32 v8, v8, v2
	s_wait_dscnt 0x0
	v_dual_add_f32 v2, v2, v8 :: v_dual_lshlrev_b32 v8, 2, v9
	ds_bpermute_b32 v8, v8, v2
	s_and_saveexec_b32 s28, vcc_lo
	s_cbranch_execz .LBB251_8
; %bb.522:                              ;   in Loop: Header=BB251_9 Depth=1
	s_wait_dscnt 0x0
	v_dual_add_f32 v2, v2, v8 :: v_dual_add_nc_u32 v9, s27, v14
	v_cmp_gt_i32_e64 s4, s23, v14
	s_delay_alu instid0(VALU_DEP_2) | instskip(NEXT) | instid1(VALU_DEP_1)
	v_cvt_f32_i32_e32 v9, v9
	v_mul_f32_e32 v9, s25, v9
	s_delay_alu instid0(VALU_DEP_1) | instskip(NEXT) | instid1(VALU_DEP_1)
	v_dual_cndmask_b32 v8, 0, v9, s3 :: v_dual_max_num_f32 v9, v12, v12
	v_fmac_f32_e32 v8, s7, v2
	s_delay_alu instid0(VALU_DEP_1) | instskip(NEXT) | instid1(VALU_DEP_1)
	v_dual_max_num_f32 v2, v9, v8 :: v_dual_cndmask_b32 v8, 0, v8, s4
	v_cndmask_b32_e64 v12, v12, v2, s4
	ds_store_b32 v15, v8
	s_branch .LBB251_8
.LBB251_523:
	s_or_b32 exec_lo, exec_lo, s6
.LBB251_524:
	s_delay_alu instid0(SALU_CYCLE_1)
	s_or_b32 exec_lo, exec_lo, s26
	v_dual_max_num_f32 v6, v12, v12 :: v_dual_bitop2_b32 v2, 16, v10 bitop3:0x14
	v_xor_b32_e32 v5, 8, v10
	s_load_b64 s[6:7], s[0:1], 0x0
	s_wait_kmcnt 0x0
	s_load_b64 s[8:9], s[0:1], 0x18
	v_and_b32_e32 v29, 31, v0
	v_cmp_lt_i32_e32 vcc_lo, v2, v11
	v_cndmask_b32_e32 v2, v10, v2, vcc_lo
	v_cmp_lt_i32_e32 vcc_lo, v5, v11
	s_delay_alu instid0(VALU_DEP_2) | instskip(SKIP_3) | instid1(VALU_DEP_1)
	v_dual_cndmask_b32 v5, v10, v5 :: v_dual_lshlrev_b32 v2, 2, v2
	ds_bpermute_b32 v4, v2, v12
	s_wait_dscnt 0x0
	v_dual_max_num_f32 v7, v4, v4 :: v_dual_lshlrev_b32 v4, 2, v5
	v_dual_max_num_f32 v5, v6, v7 :: v_dual_bitop2_b32 v7, 4, v10 bitop3:0x14
	ds_bpermute_b32 v6, v4, v5
	s_wait_dscnt 0x0
	v_max_num_f32_e32 v6, v6, v6
	s_delay_alu instid0(VALU_DEP_1) | instskip(SKIP_3) | instid1(VALU_DEP_2)
	v_dual_max_num_f32 v6, v5, v6 :: v_dual_lshlrev_b32 v5, 2, v28
	v_cmp_lt_i32_e32 vcc_lo, v7, v11
	v_cndmask_b32_e32 v7, v10, v7, vcc_lo
	v_cmp_eq_u32_e32 vcc_lo, 0, v29
	v_lshlrev_b32_e32 v7, 2, v7
	ds_bpermute_b32 v8, v7, v6
	s_wait_xcnt 0x0
	s_and_saveexec_b32 s0, vcc_lo
	s_cbranch_execz .LBB251_526
; %bb.525:
	s_wait_dscnt 0x0
	v_dual_max_num_f32 v8, v8, v8 :: v_dual_max_num_f32 v6, v6, v6
	s_delay_alu instid0(VALU_DEP_1)
	v_max_num_f32_e32 v6, v6, v8
	ds_store_b32 v5, v6 offset:512
.LBB251_526:
	s_or_b32 exec_lo, exec_lo, s0
	v_cmp_gt_u32_e64 s0, 4, v29
	v_dual_mov_b32 v9, 0xff7fffff :: v_dual_lshlrev_b32 v6, 2, v29
	s_wait_dscnt 0x0
	s_barrier_signal -1
	s_barrier_wait -1
	s_and_saveexec_b32 s1, s0
; %bb.527:
	ds_load_b32 v9, v6 offset:512
; %bb.528:
	s_or_b32 exec_lo, exec_lo, s1
	s_wait_dscnt 0x0
	v_dual_max_num_f32 v14, v9, v9 :: v_dual_bitop2_b32 v8, 2, v10 bitop3:0x14
	v_dual_lshlrev_b32 v3, 2, v3 :: v_dual_bitop2_b32 v13, 1, v10 bitop3:0x14
	s_delay_alu instid0(VALU_DEP_2) | instskip(NEXT) | instid1(VALU_DEP_1)
	v_cmp_lt_i32_e64 s1, v8, v11
	v_cndmask_b32_e64 v8, v10, v8, s1
	s_delay_alu instid0(VALU_DEP_3) | instskip(NEXT) | instid1(VALU_DEP_2)
	v_cmp_lt_i32_e64 s1, v13, v11
	v_lshlrev_b32_e32 v8, 2, v8
	ds_bpermute_b32 v12, v8, v9
	v_cndmask_b32_e64 v9, v10, v13, s1
	s_lshl_b32 s1, s24, 3
	s_delay_alu instid0(SALU_CYCLE_1) | instskip(NEXT) | instid1(VALU_DEP_1)
	s_min_i32 s4, s1, s23
	v_lshlrev_b32_e32 v9, 2, v9
	v_cmp_gt_i32_e64 s1, s4, v0
	s_wait_dscnt 0x0
	v_max_num_f32_e32 v11, v12, v12
	s_delay_alu instid0(VALU_DEP_1) | instskip(SKIP_3) | instid1(VALU_DEP_1)
	v_max_num_f32_e32 v11, v14, v11
	ds_bpermute_b32 v12, v9, v11
	s_wait_dscnt 0x0
	v_max_num_f32_e32 v12, v12, v12
	v_max_num_f32_e32 v11, v11, v12
	ds_bpermute_b32 v11, v3, v11
	v_mov_b32_e32 v3, 0
	s_and_saveexec_b32 s19, s1
	s_cbranch_execz .LBB251_532
; %bb.529:
	v_lshl_add_u32 v12, v0, 2, 0x220
	v_dual_mov_b32 v3, 0 :: v_dual_mov_b32 v13, v0
	s_mov_b32 s25, 0
.LBB251_530:                            ; =>This Inner Loop Header: Depth=1
	ds_load_b32 v14, v12
	v_add_nc_u32_e32 v13, 0x80, v13
	s_delay_alu instid0(VALU_DEP_1) | instskip(SKIP_3) | instid1(VALU_DEP_1)
	v_cmp_le_i32_e64 s3, s4, v13
	s_or_b32 s25, s3, s25
	s_wait_dscnt 0x0
	v_sub_f32_e32 v14, v14, v11
	v_mul_f32_e32 v14, 0x3fb8aa3b, v14
	s_delay_alu instid0(VALU_DEP_1)
	v_exp_f32_e32 v14, v14
	ds_store_b32 v12, v14
	v_nop
	v_dual_add_f32 v3, v3, v14 :: v_dual_add_nc_u32 v12, 0x200, v12
	s_and_not1_b32 exec_lo, exec_lo, s25
	s_cbranch_execnz .LBB251_530
; %bb.531:
	s_or_b32 exec_lo, exec_lo, s25
.LBB251_532:
	s_delay_alu instid0(SALU_CYCLE_1)
	s_or_b32 exec_lo, exec_lo, s19
	ds_bpermute_b32 v2, v2, v3
	s_wait_dscnt 0x0
	v_add_f32_e32 v2, v3, v2
	ds_bpermute_b32 v3, v4, v2
	s_wait_dscnt 0x0
	v_add_f32_e32 v2, v2, v3
	ds_bpermute_b32 v3, v7, v2
	s_wait_dscnt 0x0
	v_add_f32_e32 v2, v2, v3
	ds_bpermute_b32 v3, v8, v2
	s_wait_dscnt 0x0
	v_add_f32_e32 v2, v2, v3
	ds_bpermute_b32 v3, v9, v2
	s_wait_dscnt 0x0
	v_add_f32_e32 v2, v2, v3
	s_and_saveexec_b32 s3, vcc_lo
; %bb.533:
	ds_store_b32 v5, v2 offset:528
; %bb.534:
	s_or_b32 exec_lo, exec_lo, s3
	s_wait_dscnt 0x0
	s_barrier_signal -1
	s_barrier_wait -1
	s_and_saveexec_b32 s3, s0
; %bb.535:
	ds_load_b32 v2, v6 offset:528
; %bb.536:
	s_or_b32 exec_lo, exec_lo, s3
	s_wait_dscnt 0x0
	ds_bpermute_b32 v3, v8, v2
	s_wait_dscnt 0x0
	v_dual_lshlrev_b32 v4, 2, v10 :: v_dual_add_f32 v2, v2, v3
	ds_bpermute_b32 v3, v9, v2
	s_wait_dscnt 0x0
	v_add_f32_e32 v2, v2, v3
	v_and_b32_e32 v3, 0xffffff80, v4
	ds_bpermute_b32 v2, v3, v2
	s_and_saveexec_b32 s0, s1
	s_cbranch_execz .LBB251_549
; %bb.537:
	s_wait_dscnt 0x0
	v_add_f32_e32 v2, 0x358637bd, v2
	s_mov_b32 s3, -1
	s_mov_b32 s1, exec_lo
	s_delay_alu instid0(VALU_DEP_1) | instskip(NEXT) | instid1(VALU_DEP_1)
	v_div_scale_f32 v3, null, v2, v2, 1.0
	v_rcp_f32_e32 v5, v3
	v_nop
	s_delay_alu instid0(TRANS32_DEP_1) | instskip(NEXT) | instid1(VALU_DEP_1)
	v_fma_f32 v4, -v3, v5, 1.0
	v_fmac_f32_e32 v5, v4, v5
	v_div_scale_f32 v6, vcc_lo, 1.0, v2, 1.0
	s_delay_alu instid0(VALU_DEP_1) | instskip(NEXT) | instid1(VALU_DEP_1)
	v_mul_f32_e32 v7, v6, v5
	v_fma_f32 v4, -v3, v7, v6
	s_delay_alu instid0(VALU_DEP_1) | instskip(SKIP_1) | instid1(VALU_DEP_2)
	v_fmac_f32_e32 v7, v4, v5
	v_xad_u32 v4, v0, -1, s4
	v_fma_f32 v3, -v3, v7, v6
	s_delay_alu instid0(VALU_DEP_1) | instskip(NEXT) | instid1(VALU_DEP_1)
	v_div_fmas_f32 v3, v3, v5, v7
	v_div_fixup_f32 v2, v3, v2, 1.0
	v_mov_b32_e32 v3, v0
	v_cmpx_lt_u32_e32 0x7f, v4
	s_cbranch_execz .LBB251_546
; %bb.538:
	s_delay_alu instid0(VALU_DEP_3) | instskip(NEXT) | instid1(VALU_DEP_1)
	v_dual_mov_b32 v3, v2 :: v_dual_lshrrev_b32 v4, 7, v4
	v_dual_mov_b32 v8, 0 :: v_dual_add_nc_u32 v5, -1, v4
	s_delay_alu instid0(VALU_DEP_1) | instskip(SKIP_1) | instid1(VALU_DEP_2)
	v_lshrrev_b32_e32 v6, 1, v5
	v_cmp_lt_u32_e32 vcc_lo, 13, v5
	v_add_nc_u32_e32 v5, 1, v6
	s_and_saveexec_b32 s3, vcc_lo
	s_cbranch_execz .LBB251_542
; %bb.539:
	s_delay_alu instid0(VALU_DEP_1)
	v_and_b32_e32 v6, -8, v5
	v_lshl_add_u32 v7, v0, 2, 0x220
	s_mov_b32 s19, 0
	s_mov_b32 s25, 0
.LBB251_540:                            ; =>This Inner Loop Header: Depth=1
	ds_load_2addr_stride64_b32 v[8:9], v7 offset1:2
	ds_load_2addr_stride64_b32 v[10:11], v7 offset0:4 offset1:6
	ds_load_2addr_stride64_b32 v[12:13], v7 offset0:8 offset1:10
	;; [unrolled: 1-line block ×7, first 2 shown]
	s_add_co_i32 s25, s25, 16
	v_add_nc_u32_e32 v6, -8, v6
	s_wait_dscnt 0x7
	v_pk_mul_f32 v[8:9], v[2:3], v[8:9]
	s_wait_dscnt 0x6
	v_pk_mul_f32 v[10:11], v[2:3], v[10:11]
	;; [unrolled: 2-line block ×8, first 2 shown]
	ds_store_2addr_stride64_b32 v7, v8, v9 offset1:2
	ds_store_2addr_stride64_b32 v7, v10, v11 offset0:4 offset1:6
	ds_store_2addr_stride64_b32 v7, v12, v13 offset0:8 offset1:10
	;; [unrolled: 1-line block ×7, first 2 shown]
	v_mov_b32_e32 v8, s25
	v_cmp_eq_u32_e32 vcc_lo, 0, v6
	v_add_nc_u32_e32 v7, 0x2000, v7
	s_or_b32 s19, vcc_lo, s19
	s_delay_alu instid0(SALU_CYCLE_1)
	s_and_not1_b32 exec_lo, exec_lo, s19
	s_cbranch_execnz .LBB251_540
; %bb.541:
	s_or_b32 exec_lo, exec_lo, s19
.LBB251_542:
	s_delay_alu instid0(SALU_CYCLE_1) | instskip(NEXT) | instid1(VALU_DEP_1)
	s_or_b32 exec_lo, exec_lo, s3
	v_and_b32_e32 v5, 7, v5
	s_mov_b32 s19, 0
	s_mov_b32 s3, exec_lo
	s_delay_alu instid0(VALU_DEP_1)
	v_cmpx_ne_u32_e32 0, v5
	s_cbranch_execz .LBB251_545
; %bb.543:
	v_lshlrev_b32_e32 v6, 9, v8
	v_lshlrev_b32_e32 v7, 2, v0
	s_delay_alu instid0(VALU_DEP_1)
	v_add3_u32 v6, v6, v7, 0x220
.LBB251_544:                            ; =>This Inner Loop Header: Depth=1
	ds_load_2addr_stride64_b32 v[8:9], v6 offset1:2
	v_add_nc_u32_e32 v5, -1, v5
	s_delay_alu instid0(VALU_DEP_1)
	v_cmp_eq_u32_e32 vcc_lo, 0, v5
	s_or_b32 s19, vcc_lo, s19
	s_wait_dscnt 0x0
	v_pk_mul_f32 v[8:9], v[2:3], v[8:9]
	ds_store_2addr_stride64_b32 v6, v8, v9 offset1:2
	v_add_nc_u32_e32 v6, 0x400, v6
	s_and_not1_b32 exec_lo, exec_lo, s19
	s_cbranch_execnz .LBB251_544
.LBB251_545:
	s_or_b32 exec_lo, exec_lo, s3
	v_add_nc_u32_e32 v3, 1, v4
	s_delay_alu instid0(VALU_DEP_1) | instskip(NEXT) | instid1(VALU_DEP_1)
	v_and_b32_e32 v4, 0x3fffffe, v3
	v_cmp_ne_u32_e32 vcc_lo, v3, v4
	v_lshl_add_u32 v3, v4, 7, v0
	s_or_not1_b32 s3, vcc_lo, exec_lo
.LBB251_546:
	s_or_b32 exec_lo, exec_lo, s1
	s_delay_alu instid0(SALU_CYCLE_1)
	s_and_b32 exec_lo, exec_lo, s3
	s_cbranch_execz .LBB251_549
; %bb.547:
	v_lshl_add_u32 v4, v3, 2, 0x220
	s_mov_b32 s1, 0
.LBB251_548:                            ; =>This Inner Loop Header: Depth=1
	ds_load_b32 v5, v4
	v_add_nc_u32_e32 v3, 0x80, v3
	s_delay_alu instid0(VALU_DEP_1)
	v_cmp_le_i32_e32 vcc_lo, s4, v3
	s_or_b32 s1, vcc_lo, s1
	s_wait_dscnt 0x0
	v_mul_f32_e32 v5, v2, v5
	ds_store_b32 v4, v5
	v_add_nc_u32_e32 v4, 0x200, v4
	s_and_not1_b32 exec_lo, exec_lo, s1
	s_cbranch_execnz .LBB251_548
.LBB251_549:
	s_or_b32 exec_lo, exec_lo, s0
	s_wait_dscnt 0x0
	v_mov_b64_e32 v[2:3], 0
	v_mov_b64_e32 v[4:5], 0
	;; [unrolled: 1-line block ×4, first 2 shown]
	s_barrier_signal -1
	s_barrier_wait -1
	s_and_saveexec_b32 s1, s2
	s_cbranch_execz .LBB251_1081
; %bb.550:
	v_dual_mov_b32 v11, 0 :: v_dual_lshlrev_b32 v10, 3, v29
	s_ashr_i32 s19, s18, 31
	v_dual_mov_b32 v3, 0 :: v_dual_lshlrev_b32 v30, 3, v28
	s_wait_kmcnt 0x0
	s_add_nc_u64 s[2:3], s[8:9], s[18:19]
	v_lshl_add_u32 v31, v28, 5, 0x220
	v_add_nc_u64_e32 v[12:13], s[2:3], v[10:11]
	v_and_b32_e32 v10, 0x7c, v1
	s_lshl_b64 s[2:3], s[14:15], 2
	v_dual_mov_b32 v2, 0 :: v_dual_mov_b32 v5, 0
	s_add_nc_u64 s[2:3], s[16:17], s[2:3]
	v_dual_mov_b32 v4, 0 :: v_dual_mov_b32 v7, 0
	v_add_nc_u64_e32 v[14:15], s[2:3], v[10:11]
	v_dual_mov_b32 v6, 0 :: v_dual_mov_b32 v9, 0
	v_dual_mov_b32 v8, 0 :: v_dual_mov_b32 v32, v28
	s_mov_b32 s4, s5
	s_mov_b64 s[2:3], 0xffffffffffffff
	s_add_co_i32 s5, s24, -1
	s_mov_b32 s9, s23
	s_mov_b32 s8, 0
	s_branch .LBB251_552
.LBB251_551:                            ;   in Loop: Header=BB251_552 Depth=1
	s_or_b32 exec_lo, exec_lo, s0
	v_dual_add_f32 v18, v40, v41 :: v_dual_add_f32 v20, v54, v55
	;;#ASMSTART
	v_pk_mul_f16 v17, v45, v17;

	;;#ASMEND
	;;#ASMSTART
	v_pk_mul_f16 v16, v44, v16;

	;;#ASMEND
	;; [unrolled: 4-line block ×4, first 2 shown]
	;;#ASMSTART
	v_pk_add_f16 v16, v17, v16;

	;;#ASMEND
	;;#ASMSTART
	v_pk_add_f16 v1, v16, v1;

	;;#ASMEND
	;; [unrolled: 4-line block ×3, first 2 shown]
	v_and_b32_e32 v17, 0xffff, v1
	v_dual_add_f32 v19, v56, v57 :: v_dual_add_f32 v2, v2, v18
	v_dual_add_f32 v1, v50, v51 :: v_dual_lshrrev_b32 v18, 16, v1
	;;#ASMSTART
	v_cvt_f32_f16 v17, v17;
	;;#ASMEND
	;;#ASMSTART
	v_cvt_f32_f16 v18, v18;
	;;#ASMEND
	s_delay_alu instid0(VALU_DEP_1) | instskip(SKIP_2) | instid1(VALU_DEP_3)
	v_dual_add_f32 v17, v17, v18 :: v_dual_add_nc_u32 v32, 4, v32
	v_dual_add_f32 v21, v52, v53 :: v_dual_add_f32 v5, v5, v19
	v_dual_add_f32 v10, v48, v49 :: v_dual_add_f32 v16, v46, v47
	v_cmp_le_i32_e32 vcc_lo, s24, v32
	v_add_nc_u64_e32 v[14:15], 16, v[14:15]
	s_delay_alu instid0(VALU_DEP_4) | instskip(NEXT) | instid1(VALU_DEP_4)
	v_dual_add_f32 v4, v4, v20 :: v_dual_add_f32 v7, v7, v21
	v_dual_add_f32 v6, v6, v1 :: v_dual_add_f32 v9, v9, v10
	;; [unrolled: 1-line block ×3, first 2 shown]
	v_add_nc_u32_e32 v30, 32, v30
	v_add_nc_u32_e32 v31, 0x80, v31
	s_or_b32 s8, vcc_lo, s8
	s_delay_alu instid0(SALU_CYCLE_1)
	s_and_not1_b32 exec_lo, exec_lo, s8
	s_cbranch_execz .LBB251_1080
.LBB251_552:                            ; =>This Inner Loop Header: Depth=1
	global_load_b32 v1, v[14:15], off
	ds_load_2addr_b64 v[18:21], v31 offset1:1
	ds_load_2addr_b64 v[22:25], v31 offset0:2 offset1:3
	s_mov_b32 s0, exec_lo
	s_wait_dscnt 0x1
	;;#ASMSTART
	v_cvt_f16_f32 v43, v18;

	;;#ASMEND
	;;#ASMSTART
	v_cvt_f16_f32 v40, v19;

	;;#ASMEND
	;; [unrolled: 4-line block ×4, first 2 shown]
	s_wait_dscnt 0x0
	;;#ASMSTART
	v_cvt_f16_f32 v45, v22;

	;;#ASMEND
	;;#ASMSTART
	v_cvt_f16_f32 v42, v23;

	;;#ASMEND
	;; [unrolled: 4-line block ×4, first 2 shown]
	s_wait_loadcnt 0x0
	v_mad_nc_i64_i32 v[16:17], v1, s4, v[12:13]
	v_mov_b32_e32 v1, 0
	global_load_b64 v[20:21], v[16:17], off
	global_load_b32 v18, v11, s[10:11]
	s_wait_loadcnt 0x1
	v_and_b32_e32 v10, 0xff, v20
	s_wait_xcnt 0x0
	s_delay_alu instid0(VALU_DEP_1)
	v_cmpx_ne_u16_e32 0, v10
	s_cbranch_execz .LBB251_560
; %bb.553:                              ;   in Loop: Header=BB251_552 Depth=1
	v_mov_b32_e32 v1, 0x8000
	s_mov_b32 s14, exec_lo
	v_cmpx_ne_u16_e32 0x80, v10
	s_cbranch_execz .LBB251_559
; %bb.554:                              ;   in Loop: Header=BB251_552 Depth=1
	v_and_b32_e32 v19, 0x7f, v20
	v_mov_b32_e32 v1, 0x7c01
	s_mov_b32 s15, exec_lo
	s_delay_alu instid0(VALU_DEP_2)
	v_cmpx_ne_u32_e32 0x7f, v19
	s_cbranch_execz .LBB251_558
; %bb.555:                              ;   in Loop: Header=BB251_552 Depth=1
	v_dual_lshrrev_b32 v10, 3, v19 :: v_dual_bitop2_b32 v1, 7, v20 bitop3:0x40
	s_mov_b32 s16, exec_lo
	v_cmpx_gt_u32_e32 8, v19
; %bb.556:                              ;   in Loop: Header=BB251_552 Depth=1
	s_delay_alu instid0(VALU_DEP_2) | instskip(NEXT) | instid1(VALU_DEP_1)
	v_clz_i32_u32_e32 v1, v1
	v_min_u32_e32 v1, 32, v1
	s_delay_alu instid0(VALU_DEP_1) | instskip(NEXT) | instid1(VALU_DEP_1)
	v_subrev_nc_u32_e32 v10, 28, v1
	v_lshlrev_b64_e32 v[22:23], v10, v[20:21]
	s_delay_alu instid0(VALU_DEP_1)
	v_dual_sub_nc_u32 v10, 29, v1 :: v_dual_bitop2_b32 v1, 7, v22 bitop3:0x40
; %bb.557:                              ;   in Loop: Header=BB251_552 Depth=1
	s_or_b32 exec_lo, exec_lo, s16
	s_delay_alu instid0(VALU_DEP_1) | instskip(NEXT) | instid1(VALU_DEP_2)
	v_dual_lshlrev_b32 v19, 8, v20 :: v_dual_lshlrev_b32 v1, 7, v1
	v_lshl_add_u32 v10, v10, 10, 0x2000
	s_delay_alu instid0(VALU_DEP_2) | instskip(NEXT) | instid1(VALU_DEP_2)
	v_and_b32_e32 v19, 0x8000, v19
	v_and_b32_e32 v10, 0xfc00, v10
	s_delay_alu instid0(VALU_DEP_1)
	v_or3_b32 v1, v19, v10, v1
.LBB251_558:                            ;   in Loop: Header=BB251_552 Depth=1
	s_or_b32 exec_lo, exec_lo, s15
.LBB251_559:                            ;   in Loop: Header=BB251_552 Depth=1
	s_delay_alu instid0(SALU_CYCLE_1)
	s_or_b32 exec_lo, exec_lo, s14
.LBB251_560:                            ;   in Loop: Header=BB251_552 Depth=1
	s_delay_alu instid0(SALU_CYCLE_1) | instskip(SKIP_3) | instid1(VALU_DEP_2)
	s_or_b32 exec_lo, exec_lo, s0
	v_lshrrev_b16 v10, 8, v20
	v_dual_mov_b32 v19, 0 :: v_dual_mov_b32 v22, 0
	s_mov_b32 s0, exec_lo
	v_cmpx_ne_u16_e32 0, v10
	s_cbranch_execz .LBB251_568
; %bb.561:                              ;   in Loop: Header=BB251_552 Depth=1
	v_bfrev_b32_e32 v22, 1
	s_mov_b32 s14, exec_lo
	v_cmpx_ne_u16_e32 0x80, v10
	s_cbranch_execz .LBB251_567
; %bb.562:                              ;   in Loop: Header=BB251_552 Depth=1
	v_and_b32_e32 v23, 0xffff, v10
	v_mov_b32_e32 v22, 0x7c010000
	s_mov_b32 s15, exec_lo
	s_delay_alu instid0(VALU_DEP_2) | instskip(NEXT) | instid1(VALU_DEP_1)
	v_and_b32_e32 v25, 0x7f, v23
	v_cmpx_ne_u32_e32 0x7f, v25
	s_cbranch_execz .LBB251_566
; %bb.563:                              ;   in Loop: Header=BB251_552 Depth=1
	v_dual_lshrrev_b32 v24, 3, v25 :: v_dual_bitop2_b32 v22, 7, v23 bitop3:0x40
	s_mov_b32 s16, exec_lo
	v_cmpx_gt_u32_e32 8, v25
; %bb.564:                              ;   in Loop: Header=BB251_552 Depth=1
	s_delay_alu instid0(VALU_DEP_2) | instskip(NEXT) | instid1(VALU_DEP_1)
	v_clz_i32_u32_e32 v22, v22
	v_min_u32_e32 v22, 32, v22
	s_delay_alu instid0(VALU_DEP_1) | instskip(NEXT) | instid1(VALU_DEP_1)
	v_subrev_nc_u32_e32 v24, 28, v22
	v_lshlrev_b64_e32 v[26:27], v24, v[10:11]
	v_sub_nc_u32_e32 v24, 29, v22
	s_delay_alu instid0(VALU_DEP_2)
	v_and_b32_e32 v22, 7, v26
; %bb.565:                              ;   in Loop: Header=BB251_552 Depth=1
	s_or_b32 exec_lo, exec_lo, s16
	s_delay_alu instid0(VALU_DEP_1) | instskip(NEXT) | instid1(VALU_DEP_3)
	v_dual_lshlrev_b32 v10, 8, v23 :: v_dual_lshlrev_b32 v22, 23, v22
	v_lshl_add_u32 v23, v24, 10, 0x2000
	s_delay_alu instid0(VALU_DEP_1) | instskip(NEXT) | instid1(VALU_DEP_1)
	v_and_or_b32 v10, 0x8000, v10, v23
	v_lshl_or_b32 v22, v10, 16, v22
.LBB251_566:                            ;   in Loop: Header=BB251_552 Depth=1
	s_or_b32 exec_lo, exec_lo, s15
.LBB251_567:                            ;   in Loop: Header=BB251_552 Depth=1
	s_delay_alu instid0(SALU_CYCLE_1)
	s_or_b32 exec_lo, exec_lo, s14
.LBB251_568:                            ;   in Loop: Header=BB251_552 Depth=1
	s_delay_alu instid0(SALU_CYCLE_1) | instskip(SKIP_2) | instid1(VALU_DEP_1)
	s_or_b32 exec_lo, exec_lo, s0
	v_lshrrev_b32_e32 v10, 16, v20
	s_mov_b32 s0, exec_lo
	v_and_b32_e32 v23, 0xff, v10
	s_delay_alu instid0(VALU_DEP_1)
	v_cmpx_ne_u16_e32 0, v23
	s_cbranch_execz .LBB251_576
; %bb.569:                              ;   in Loop: Header=BB251_552 Depth=1
	v_mov_b32_e32 v19, 0x8000
	s_mov_b32 s14, exec_lo
	v_cmpx_ne_u16_e32 0x80, v23
	s_cbranch_execz .LBB251_575
; %bb.570:                              ;   in Loop: Header=BB251_552 Depth=1
	v_bfe_u32 v24, v20, 16, 7
	v_mov_b32_e32 v19, 0x7c01
	s_mov_b32 s15, exec_lo
	s_delay_alu instid0(VALU_DEP_2)
	v_cmpx_ne_u32_e32 0x7f, v24
	s_cbranch_execz .LBB251_574
; %bb.571:                              ;   in Loop: Header=BB251_552 Depth=1
	v_dual_lshrrev_b32 v23, 3, v24 :: v_dual_bitop2_b32 v19, 7, v10 bitop3:0x40
	s_mov_b32 s16, exec_lo
	v_cmpx_gt_u32_e32 8, v24
; %bb.572:                              ;   in Loop: Header=BB251_552 Depth=1
	s_delay_alu instid0(VALU_DEP_2) | instskip(NEXT) | instid1(VALU_DEP_1)
	v_clz_i32_u32_e32 v19, v19
	v_min_u32_e32 v19, 32, v19
	s_delay_alu instid0(VALU_DEP_1) | instskip(NEXT) | instid1(VALU_DEP_1)
	v_subrev_nc_u32_e32 v23, 28, v19
	v_lshlrev_b64_e32 v[24:25], v23, v[10:11]
	s_delay_alu instid0(VALU_DEP_1)
	v_dual_sub_nc_u32 v23, 29, v19 :: v_dual_bitop2_b32 v19, 7, v24 bitop3:0x40
; %bb.573:                              ;   in Loop: Header=BB251_552 Depth=1
	s_or_b32 exec_lo, exec_lo, s16
	s_delay_alu instid0(VALU_DEP_1) | instskip(NEXT) | instid1(VALU_DEP_2)
	v_dual_lshlrev_b32 v10, 8, v10 :: v_dual_lshlrev_b32 v19, 7, v19
	v_lshl_add_u32 v23, v23, 10, 0x2000
	s_delay_alu instid0(VALU_DEP_2) | instskip(NEXT) | instid1(VALU_DEP_2)
	v_and_b32_e32 v10, 0x8000, v10
	v_and_b32_e32 v23, 0xfc00, v23
	s_delay_alu instid0(VALU_DEP_1)
	v_or3_b32 v19, v10, v23, v19
.LBB251_574:                            ;   in Loop: Header=BB251_552 Depth=1
	s_or_b32 exec_lo, exec_lo, s15
.LBB251_575:                            ;   in Loop: Header=BB251_552 Depth=1
	s_delay_alu instid0(SALU_CYCLE_1)
	s_or_b32 exec_lo, exec_lo, s14
.LBB251_576:                            ;   in Loop: Header=BB251_552 Depth=1
	s_delay_alu instid0(SALU_CYCLE_1)
	s_or_b32 exec_lo, exec_lo, s0
	v_dual_mov_b32 v23, 0 :: v_dual_mov_b32 v24, 0
	s_mov_b32 s0, exec_lo
	v_cmpx_lt_u32_e32 0xffffff, v20
	s_cbranch_execz .LBB251_584
; %bb.577:                              ;   in Loop: Header=BB251_552 Depth=1
	v_lshrrev_b32_e32 v10, 24, v20
	v_bfrev_b32_e32 v24, 1
	s_mov_b32 s14, exec_lo
	s_delay_alu instid0(VALU_DEP_2)
	v_cmpx_ne_u32_e32 0x80, v10
	s_cbranch_execz .LBB251_583
; %bb.578:                              ;   in Loop: Header=BB251_552 Depth=1
	v_and_b32_e32 v26, 0x7f, v10
	v_mov_b32_e32 v24, 0x7c010000
	s_mov_b32 s15, exec_lo
	s_delay_alu instid0(VALU_DEP_2)
	v_cmpx_ne_u32_e32 0x7f, v26
	s_cbranch_execz .LBB251_582
; %bb.579:                              ;   in Loop: Header=BB251_552 Depth=1
	v_and_b32_e32 v24, 7, v10
	v_lshrrev_b32_e32 v25, 3, v26
	s_mov_b32 s16, exec_lo
	v_cmpx_gt_u32_e32 8, v26
; %bb.580:                              ;   in Loop: Header=BB251_552 Depth=1
	s_delay_alu instid0(VALU_DEP_3) | instskip(NEXT) | instid1(VALU_DEP_1)
	v_clz_i32_u32_e32 v24, v24
	v_min_u32_e32 v26, 32, v24
	s_delay_alu instid0(VALU_DEP_1) | instskip(NEXT) | instid1(VALU_DEP_1)
	v_subrev_nc_u32_e32 v24, 28, v26
	v_lshlrev_b64_e32 v[24:25], v24, v[10:11]
	s_delay_alu instid0(VALU_DEP_1)
	v_dual_sub_nc_u32 v25, 29, v26 :: v_dual_bitop2_b32 v24, 7, v24 bitop3:0x40
; %bb.581:                              ;   in Loop: Header=BB251_552 Depth=1
	s_or_b32 exec_lo, exec_lo, s16
	s_delay_alu instid0(VALU_DEP_1) | instskip(NEXT) | instid1(VALU_DEP_2)
	v_dual_lshlrev_b32 v10, 8, v10 :: v_dual_lshlrev_b32 v24, 23, v24
	v_lshl_add_u32 v25, v25, 10, 0x2000
	s_delay_alu instid0(VALU_DEP_1) | instskip(NEXT) | instid1(VALU_DEP_1)
	v_and_or_b32 v10, 0x8000, v10, v25
	v_lshl_or_b32 v24, v10, 16, v24
.LBB251_582:                            ;   in Loop: Header=BB251_552 Depth=1
	s_or_b32 exec_lo, exec_lo, s15
.LBB251_583:                            ;   in Loop: Header=BB251_552 Depth=1
	s_delay_alu instid0(SALU_CYCLE_1)
	s_or_b32 exec_lo, exec_lo, s14
.LBB251_584:                            ;   in Loop: Header=BB251_552 Depth=1
	s_delay_alu instid0(SALU_CYCLE_1) | instskip(SKIP_3) | instid1(VALU_DEP_2)
	s_or_b32 exec_lo, exec_lo, s0
	v_and_b32_e32 v25, 0xff, v21
	v_mov_b32_e32 v10, v21
	s_mov_b32 s0, exec_lo
	v_cmpx_ne_u16_e32 0, v25
	s_cbranch_execz .LBB251_592
; %bb.585:                              ;   in Loop: Header=BB251_552 Depth=1
	v_mov_b32_e32 v23, 0x8000
	s_mov_b32 s14, exec_lo
	v_cmpx_ne_u16_e32 0x80, v25
	s_cbranch_execz .LBB251_591
; %bb.586:                              ;   in Loop: Header=BB251_552 Depth=1
	v_and_b32_e32 v26, 0x7f, v21
	v_mov_b32_e32 v23, 0x7c01
	s_mov_b32 s15, exec_lo
	s_delay_alu instid0(VALU_DEP_2)
	v_cmpx_ne_u32_e32 0x7f, v26
	s_cbranch_execz .LBB251_590
; %bb.587:                              ;   in Loop: Header=BB251_552 Depth=1
	v_dual_lshrrev_b32 v25, 3, v26 :: v_dual_bitop2_b32 v23, 7, v21 bitop3:0x40
	s_mov_b32 s16, exec_lo
	v_cmpx_gt_u32_e32 8, v26
; %bb.588:                              ;   in Loop: Header=BB251_552 Depth=1
	s_delay_alu instid0(VALU_DEP_2) | instskip(NEXT) | instid1(VALU_DEP_1)
	v_clz_i32_u32_e32 v23, v23
	v_min_u32_e32 v23, 32, v23
	s_delay_alu instid0(VALU_DEP_1) | instskip(NEXT) | instid1(VALU_DEP_1)
	v_subrev_nc_u32_e32 v25, 28, v23
	v_lshlrev_b64_e32 v[26:27], v25, v[10:11]
	s_delay_alu instid0(VALU_DEP_1)
	v_dual_sub_nc_u32 v25, 29, v23 :: v_dual_bitop2_b32 v23, 7, v26 bitop3:0x40
; %bb.589:                              ;   in Loop: Header=BB251_552 Depth=1
	s_or_b32 exec_lo, exec_lo, s16
	s_delay_alu instid0(VALU_DEP_1) | instskip(NEXT) | instid1(VALU_DEP_2)
	v_dual_lshlrev_b32 v26, 8, v21 :: v_dual_lshlrev_b32 v23, 7, v23
	v_lshl_add_u32 v25, v25, 10, 0x2000
	s_delay_alu instid0(VALU_DEP_2) | instskip(NEXT) | instid1(VALU_DEP_2)
	v_and_b32_e32 v26, 0x8000, v26
	v_and_b32_e32 v25, 0xfc00, v25
	s_delay_alu instid0(VALU_DEP_1)
	v_or3_b32 v23, v26, v25, v23
.LBB251_590:                            ;   in Loop: Header=BB251_552 Depth=1
	s_or_b32 exec_lo, exec_lo, s15
.LBB251_591:                            ;   in Loop: Header=BB251_552 Depth=1
	s_delay_alu instid0(SALU_CYCLE_1)
	s_or_b32 exec_lo, exec_lo, s14
.LBB251_592:                            ;   in Loop: Header=BB251_552 Depth=1
	s_delay_alu instid0(SALU_CYCLE_1) | instskip(SKIP_3) | instid1(VALU_DEP_2)
	s_or_b32 exec_lo, exec_lo, s0
	v_lshrrev_b16 v10, 8, v10
	v_dual_mov_b32 v26, 0 :: v_dual_mov_b32 v25, 0
	s_mov_b32 s0, exec_lo
	v_cmpx_ne_u16_e32 0, v10
	s_cbranch_execz .LBB251_600
; %bb.593:                              ;   in Loop: Header=BB251_552 Depth=1
	v_bfrev_b32_e32 v25, 1
	s_mov_b32 s14, exec_lo
	v_cmpx_ne_u16_e32 0x80, v10
	s_cbranch_execz .LBB251_599
; %bb.594:                              ;   in Loop: Header=BB251_552 Depth=1
	v_and_b32_e32 v27, 0xffff, v10
	v_mov_b32_e32 v25, 0x7c010000
	s_mov_b32 s15, exec_lo
	s_delay_alu instid0(VALU_DEP_2) | instskip(NEXT) | instid1(VALU_DEP_1)
	v_and_b32_e32 v34, 0x7f, v27
	v_cmpx_ne_u32_e32 0x7f, v34
	s_cbranch_execz .LBB251_598
; %bb.595:                              ;   in Loop: Header=BB251_552 Depth=1
	v_dual_lshrrev_b32 v33, 3, v34 :: v_dual_bitop2_b32 v25, 7, v27 bitop3:0x40
	s_mov_b32 s16, exec_lo
	v_cmpx_gt_u32_e32 8, v34
; %bb.596:                              ;   in Loop: Header=BB251_552 Depth=1
	s_delay_alu instid0(VALU_DEP_2) | instskip(NEXT) | instid1(VALU_DEP_1)
	v_clz_i32_u32_e32 v25, v25
	v_min_u32_e32 v25, 32, v25
	s_delay_alu instid0(VALU_DEP_1) | instskip(NEXT) | instid1(VALU_DEP_1)
	v_subrev_nc_u32_e32 v33, 28, v25
	v_lshlrev_b64_e32 v[34:35], v33, v[10:11]
	s_delay_alu instid0(VALU_DEP_1)
	v_dual_sub_nc_u32 v33, 29, v25 :: v_dual_bitop2_b32 v25, 7, v34 bitop3:0x40
; %bb.597:                              ;   in Loop: Header=BB251_552 Depth=1
	s_or_b32 exec_lo, exec_lo, s16
	s_delay_alu instid0(VALU_DEP_1) | instskip(NEXT) | instid1(VALU_DEP_2)
	v_dual_lshlrev_b32 v10, 8, v27 :: v_dual_lshlrev_b32 v25, 23, v25
	v_lshl_add_u32 v27, v33, 10, 0x2000
	s_delay_alu instid0(VALU_DEP_1) | instskip(NEXT) | instid1(VALU_DEP_1)
	v_and_or_b32 v10, 0x8000, v10, v27
	v_lshl_or_b32 v25, v10, 16, v25
.LBB251_598:                            ;   in Loop: Header=BB251_552 Depth=1
	s_or_b32 exec_lo, exec_lo, s15
.LBB251_599:                            ;   in Loop: Header=BB251_552 Depth=1
	s_delay_alu instid0(SALU_CYCLE_1)
	s_or_b32 exec_lo, exec_lo, s14
.LBB251_600:                            ;   in Loop: Header=BB251_552 Depth=1
	s_delay_alu instid0(SALU_CYCLE_1) | instskip(SKIP_2) | instid1(VALU_DEP_1)
	s_or_b32 exec_lo, exec_lo, s0
	v_lshrrev_b32_e32 v10, 16, v21
	s_mov_b32 s0, exec_lo
	v_and_b32_e32 v27, 0xff, v10
	s_delay_alu instid0(VALU_DEP_1)
	v_cmpx_ne_u16_e32 0, v27
	s_cbranch_execz .LBB251_608
; %bb.601:                              ;   in Loop: Header=BB251_552 Depth=1
	v_mov_b32_e32 v26, 0x8000
	s_mov_b32 s14, exec_lo
	v_cmpx_ne_u16_e32 0x80, v27
	s_cbranch_execz .LBB251_607
; %bb.602:                              ;   in Loop: Header=BB251_552 Depth=1
	v_bfe_u32 v33, v21, 16, 7
	v_mov_b32_e32 v26, 0x7c01
	s_mov_b32 s15, exec_lo
	s_delay_alu instid0(VALU_DEP_2)
	v_cmpx_ne_u32_e32 0x7f, v33
	s_cbranch_execz .LBB251_606
; %bb.603:                              ;   in Loop: Header=BB251_552 Depth=1
	v_dual_lshrrev_b32 v27, 3, v33 :: v_dual_bitop2_b32 v26, 7, v10 bitop3:0x40
	s_mov_b32 s16, exec_lo
	v_cmpx_gt_u32_e32 8, v33
; %bb.604:                              ;   in Loop: Header=BB251_552 Depth=1
	s_delay_alu instid0(VALU_DEP_2) | instskip(NEXT) | instid1(VALU_DEP_1)
	v_clz_i32_u32_e32 v26, v26
	v_min_u32_e32 v33, 32, v26
	s_delay_alu instid0(VALU_DEP_1) | instskip(NEXT) | instid1(VALU_DEP_1)
	v_subrev_nc_u32_e32 v26, 28, v33
	v_lshlrev_b64_e32 v[26:27], v26, v[10:11]
	s_delay_alu instid0(VALU_DEP_1)
	v_dual_sub_nc_u32 v27, 29, v33 :: v_dual_bitop2_b32 v26, 7, v26 bitop3:0x40
; %bb.605:                              ;   in Loop: Header=BB251_552 Depth=1
	s_or_b32 exec_lo, exec_lo, s16
	v_lshlrev_b32_e32 v10, 8, v10
	s_delay_alu instid0(VALU_DEP_2) | instskip(NEXT) | instid1(VALU_DEP_3)
	v_lshl_add_u32 v27, v27, 10, 0x2000
	v_lshlrev_b32_e32 v26, 7, v26
	s_delay_alu instid0(VALU_DEP_3) | instskip(NEXT) | instid1(VALU_DEP_3)
	v_and_b32_e32 v10, 0x8000, v10
	v_and_b32_e32 v27, 0xfc00, v27
	s_delay_alu instid0(VALU_DEP_1)
	v_or3_b32 v26, v10, v27, v26
.LBB251_606:                            ;   in Loop: Header=BB251_552 Depth=1
	s_or_b32 exec_lo, exec_lo, s15
.LBB251_607:                            ;   in Loop: Header=BB251_552 Depth=1
	s_delay_alu instid0(SALU_CYCLE_1)
	s_or_b32 exec_lo, exec_lo, s14
.LBB251_608:                            ;   in Loop: Header=BB251_552 Depth=1
	s_delay_alu instid0(SALU_CYCLE_1)
	s_or_b32 exec_lo, exec_lo, s0
	v_cmp_lt_u64_e32 vcc_lo, s[2:3], v[20:21]
	v_mov_b32_e32 v20, 0
	s_and_saveexec_b32 s0, vcc_lo
	s_cbranch_execz .LBB251_616
; %bb.609:                              ;   in Loop: Header=BB251_552 Depth=1
	v_lshrrev_b32_e32 v10, 24, v21
	v_bfrev_b32_e32 v20, 1
	s_mov_b32 s14, exec_lo
	s_delay_alu instid0(VALU_DEP_2)
	v_cmpx_ne_u32_e32 0x80, v10
	s_cbranch_execz .LBB251_615
; %bb.610:                              ;   in Loop: Header=BB251_552 Depth=1
	v_and_b32_e32 v27, 0x7f, v10
	v_mov_b32_e32 v20, 0x7c010000
	s_mov_b32 s15, exec_lo
	s_delay_alu instid0(VALU_DEP_2)
	v_cmpx_ne_u32_e32 0x7f, v27
	s_cbranch_execz .LBB251_614
; %bb.611:                              ;   in Loop: Header=BB251_552 Depth=1
	v_dual_lshrrev_b32 v21, 3, v27 :: v_dual_bitop2_b32 v20, 7, v10 bitop3:0x40
	s_mov_b32 s16, exec_lo
	v_cmpx_gt_u32_e32 8, v27
; %bb.612:                              ;   in Loop: Header=BB251_552 Depth=1
	s_delay_alu instid0(VALU_DEP_2) | instskip(NEXT) | instid1(VALU_DEP_1)
	v_clz_i32_u32_e32 v20, v20
	v_min_u32_e32 v27, 32, v20
	s_delay_alu instid0(VALU_DEP_1) | instskip(NEXT) | instid1(VALU_DEP_1)
	v_subrev_nc_u32_e32 v20, 28, v27
	v_lshlrev_b64_e32 v[20:21], v20, v[10:11]
	s_delay_alu instid0(VALU_DEP_1)
	v_dual_sub_nc_u32 v21, 29, v27 :: v_dual_bitop2_b32 v20, 7, v20 bitop3:0x40
; %bb.613:                              ;   in Loop: Header=BB251_552 Depth=1
	s_or_b32 exec_lo, exec_lo, s16
	s_delay_alu instid0(VALU_DEP_1) | instskip(NEXT) | instid1(VALU_DEP_2)
	v_dual_lshlrev_b32 v10, 8, v10 :: v_dual_lshlrev_b32 v20, 23, v20
	v_lshl_add_u32 v21, v21, 10, 0x2000
	s_delay_alu instid0(VALU_DEP_1) | instskip(NEXT) | instid1(VALU_DEP_1)
	v_and_or_b32 v10, 0x8000, v10, v21
	v_lshl_or_b32 v20, v10, 16, v20
.LBB251_614:                            ;   in Loop: Header=BB251_552 Depth=1
	s_or_b32 exec_lo, exec_lo, s15
.LBB251_615:                            ;   in Loop: Header=BB251_552 Depth=1
	s_delay_alu instid0(SALU_CYCLE_1)
	s_or_b32 exec_lo, exec_lo, s14
.LBB251_616:                            ;   in Loop: Header=BB251_552 Depth=1
	s_delay_alu instid0(SALU_CYCLE_1) | instskip(SKIP_3) | instid1(VALU_DEP_3)
	s_or_b32 exec_lo, exec_lo, s0
	v_dual_lshrrev_b32 v10, 16, v22 :: v_dual_lshrrev_b32 v21, 16, v24
	v_or_b32_e32 v1, v22, v1
	v_dual_lshrrev_b32 v22, 16, v25 :: v_dual_bitop2_b32 v19, v24, v19 bitop3:0x54
	v_cvt_f32_f16_e32 v35, v10
	s_delay_alu instid0(VALU_DEP_4) | instskip(SKIP_1) | instid1(VALU_DEP_4)
	v_cvt_f32_f16_e32 v34, v21
	v_dual_lshrrev_b32 v24, 16, v20 :: v_dual_bitop2_b32 v10, v20, v26 bitop3:0x54
	v_cvt_f32_f16_e32 v20, v19
	v_cvt_f32_f16_e32 v21, v1
	s_wait_loadcnt 0x0
	v_pk_mul_f32 v[26:27], v[18:19], v[34:35] op_sel_hi:[0,1]
	v_or_b32_e32 v19, v25, v23
	v_cvt_f32_f16_e32 v23, v22
	v_cvt_f32_f16_e32 v22, v24
	;; [unrolled: 1-line block ×3, first 2 shown]
	v_cvt_pk_f16_f32 v1, v26, v27
	v_pk_mul_f32 v[20:21], v[18:19], v[20:21] op_sel_hi:[0,1]
	v_cmp_eq_u32_e32 vcc_lo, s5, v32
	v_or_b32_e32 v38, 1, v30
	v_or_b32_e32 v37, 3, v30
	;; [unrolled: 1-line block ×3, first 2 shown]
	v_cvt_pk_f16_f32 v10, v20, v21
	v_or_b32_e32 v35, 6, v30
	v_or_b32_e32 v34, 5, v30
	v_dual_add_nc_u32 v39, 2, v30 :: v_dual_bitop2_b32 v33, 7, v30 bitop3:0x54
	s_delay_alu instid0(VALU_DEP_4) | instskip(SKIP_3) | instid1(VALU_DEP_3)
	v_lshrrev_b32_e32 v27, 16, v10
	v_cvt_f32_f16_e32 v25, v19
	v_pk_mul_f32 v[22:23], v[18:19], v[22:23] op_sel_hi:[0,1]
	v_and_b32_e32 v26, 0xffff, v10
	v_pk_mul_f32 v[18:19], v[18:19], v[24:25] op_sel_hi:[0,1]
	s_delay_alu instid0(VALU_DEP_3) | instskip(SKIP_2) | instid1(VALU_DEP_4)
	v_cvt_pk_f16_f32 v20, v22, v23
	v_and_b32_e32 v25, 0xffff0000, v1
	v_lshlrev_b32_e32 v24, 16, v1
	v_cvt_pk_f16_f32 v18, v18, v19
	s_delay_alu instid0(VALU_DEP_4) | instskip(NEXT) | instid1(VALU_DEP_4)
	v_and_b32_e32 v1, 0xffff0000, v20
	v_dual_lshlrev_b32 v10, 16, v20 :: v_dual_bitop2_b32 v21, v25, v27 bitop3:0x54
	s_delay_alu instid0(VALU_DEP_4) | instskip(NEXT) | instid1(VALU_DEP_4)
	v_or_b32_e32 v20, v24, v26
	v_lshrrev_b32_e32 v23, 16, v18
	v_and_b32_e32 v22, 0xffff, v18
	s_delay_alu instid0(VALU_DEP_2) | instskip(NEXT) | instid1(VALU_DEP_2)
	v_or_b32_e32 v19, v1, v23
	v_or_b32_e32 v18, v10, v22
	s_and_saveexec_b32 s14, vcc_lo
	s_cbranch_execz .LBB251_618
; %bb.617:                              ;   in Loop: Header=BB251_552 Depth=1
	v_cmp_gt_i32_e64 s0, s9, v30
	s_delay_alu instid0(VALU_DEP_1) | instskip(SKIP_1) | instid1(VALU_DEP_1)
	v_cndmask_b32_e64 v18, 0, v27, s0
	v_cmp_gt_i32_e64 s0, s23, v39
	v_cndmask_b32_e64 v19, 0, v26, s0
	v_cmp_gt_i32_e64 s0, s9, v38
	s_delay_alu instid0(VALU_DEP_1) | instskip(SKIP_1) | instid1(VALU_DEP_1)
	v_cndmask_b32_e64 v20, 0, v25, s0
	v_cmp_gt_i32_e64 s0, s23, v37
	v_cndmask_b32_e64 v24, 0, v24, s0
	v_cmp_gt_i32_e64 s0, s9, v36
	s_delay_alu instid0(VALU_DEP_4) | instskip(NEXT) | instid1(VALU_DEP_3)
	v_or_b32_e32 v21, v20, v18
	v_or_b32_e32 v20, v24, v19
	s_delay_alu instid0(VALU_DEP_3) | instskip(SKIP_1) | instid1(VALU_DEP_1)
	v_cndmask_b32_e64 v23, 0, v23, s0
	v_cmp_gt_i32_e64 s0, s23, v35
	v_cndmask_b32_e64 v22, 0, v22, s0
	v_cmp_gt_i32_e64 s0, s9, v34
	s_delay_alu instid0(VALU_DEP_1) | instskip(SKIP_1) | instid1(VALU_DEP_1)
	v_cndmask_b32_e64 v1, 0, v1, s0
	v_cmp_gt_i32_e64 s0, s23, v33
	v_dual_cndmask_b32 v10, 0, v10, s0 :: v_dual_bitop2_b32 v19, v1, v23 bitop3:0x54
	s_delay_alu instid0(VALU_DEP_1)
	v_or_b32_e32 v18, v10, v22
.LBB251_618:                            ;   in Loop: Header=BB251_552 Depth=1
	s_or_b32 exec_lo, exec_lo, s14
	v_and_b32_e32 v1, 0xffff, v43
	v_and_b32_e32 v10, 0xffff, v44
	;; [unrolled: 1-line block ×4, first 2 shown]
	s_mov_b32 s14, exec_lo
	v_lshl_or_b32 v45, v40, 16, v1
	;;#ASMSTART
	v_pk_mul_f16 v1, v45, v21;

	;;#ASMEND
	v_lshl_or_b32 v44, v41, 16, v10
	v_lshl_or_b32 v43, v42, 16, v22
	v_lshl_or_b32 v42, v46, 16, v23
	;;#ASMSTART
	v_pk_mul_f16 v10, v44, v20;

	;;#ASMEND
	;;#ASMSTART
	v_pk_mul_f16 v19, v43, v19;

	;;#ASMEND
	;; [unrolled: 4-line block ×3, first 2 shown]
	;;#ASMSTART
	v_pk_add_f16 v1, v1, v10;

	;;#ASMEND
	;;#ASMSTART
	v_pk_add_f16 v1, v1, v19;

	;;#ASMEND
	;; [unrolled: 4-line block ×3, first 2 shown]
	v_and_b32_e32 v10, 0xffff, v1
	v_dual_lshrrev_b32 v1, 16, v1 :: v_dual_mov_b32 v19, 0
	;;#ASMSTART
	v_cvt_f32_f16 v46, v10;
	;;#ASMEND
	;;#ASMSTART
	v_cvt_f32_f16 v47, v1;
	;;#ASMEND
	global_load_b64 v[20:21], v[16:17], off offset:256
	v_mov_b32_e32 v1, 0
	global_load_b32 v18, v1, s[10:11]
	s_wait_loadcnt 0x1
	v_and_b32_e32 v10, 0xff, v20
	s_wait_xcnt 0x0
	s_delay_alu instid0(VALU_DEP_1)
	v_cmpx_ne_u16_e32 0, v10
	s_cbranch_execz .LBB251_626
; %bb.619:                              ;   in Loop: Header=BB251_552 Depth=1
	v_mov_b32_e32 v19, 0x8000
	s_mov_b32 s15, exec_lo
	v_cmpx_ne_u16_e32 0x80, v10
	s_cbranch_execz .LBB251_625
; %bb.620:                              ;   in Loop: Header=BB251_552 Depth=1
	v_and_b32_e32 v22, 0x7f, v20
	v_mov_b32_e32 v19, 0x7c01
	s_mov_b32 s16, exec_lo
	s_delay_alu instid0(VALU_DEP_2)
	v_cmpx_ne_u32_e32 0x7f, v22
	s_cbranch_execz .LBB251_624
; %bb.621:                              ;   in Loop: Header=BB251_552 Depth=1
	v_dual_lshrrev_b32 v19, 3, v22 :: v_dual_bitop2_b32 v10, 7, v20 bitop3:0x40
	s_mov_b32 s17, exec_lo
	v_cmpx_gt_u32_e32 8, v22
; %bb.622:                              ;   in Loop: Header=BB251_552 Depth=1
	s_delay_alu instid0(VALU_DEP_2) | instskip(NEXT) | instid1(VALU_DEP_1)
	v_clz_i32_u32_e32 v10, v10
	v_min_u32_e32 v10, 32, v10
	s_delay_alu instid0(VALU_DEP_1) | instskip(NEXT) | instid1(VALU_DEP_1)
	v_subrev_nc_u32_e32 v19, 28, v10
	v_lshlrev_b64_e32 v[22:23], v19, v[20:21]
	v_sub_nc_u32_e32 v19, 29, v10
	s_delay_alu instid0(VALU_DEP_2)
	v_and_b32_e32 v10, 7, v22
; %bb.623:                              ;   in Loop: Header=BB251_552 Depth=1
	s_or_b32 exec_lo, exec_lo, s17
	s_delay_alu instid0(VALU_DEP_1) | instskip(NEXT) | instid1(VALU_DEP_3)
	v_dual_lshlrev_b32 v22, 8, v20 :: v_dual_lshlrev_b32 v10, 7, v10
	v_lshl_add_u32 v19, v19, 10, 0x2000
	s_delay_alu instid0(VALU_DEP_2) | instskip(NEXT) | instid1(VALU_DEP_2)
	v_and_b32_e32 v22, 0x8000, v22
	v_and_b32_e32 v19, 0xfc00, v19
	s_delay_alu instid0(VALU_DEP_1)
	v_or3_b32 v19, v22, v19, v10
.LBB251_624:                            ;   in Loop: Header=BB251_552 Depth=1
	s_or_b32 exec_lo, exec_lo, s16
.LBB251_625:                            ;   in Loop: Header=BB251_552 Depth=1
	s_delay_alu instid0(SALU_CYCLE_1)
	s_or_b32 exec_lo, exec_lo, s15
.LBB251_626:                            ;   in Loop: Header=BB251_552 Depth=1
	s_delay_alu instid0(SALU_CYCLE_1) | instskip(SKIP_2) | instid1(VALU_DEP_1)
	s_or_b32 exec_lo, exec_lo, s14
	v_lshrrev_b16 v10, 8, v20
	s_mov_b32 s14, exec_lo
	v_cmpx_ne_u16_e32 0, v10
	s_cbranch_execz .LBB251_634
; %bb.627:                              ;   in Loop: Header=BB251_552 Depth=1
	v_bfrev_b32_e32 v1, 1
	s_mov_b32 s15, exec_lo
	v_cmpx_ne_u16_e32 0x80, v10
	s_cbranch_execz .LBB251_633
; %bb.628:                              ;   in Loop: Header=BB251_552 Depth=1
	v_and_b32_e32 v22, 0xffff, v10
	v_mov_b32_e32 v1, 0x7c010000
	s_mov_b32 s16, exec_lo
	s_delay_alu instid0(VALU_DEP_2) | instskip(NEXT) | instid1(VALU_DEP_1)
	v_and_b32_e32 v24, 0x7f, v22
	v_cmpx_ne_u32_e32 0x7f, v24
	s_cbranch_execz .LBB251_632
; %bb.629:                              ;   in Loop: Header=BB251_552 Depth=1
	v_dual_lshrrev_b32 v23, 3, v24 :: v_dual_bitop2_b32 v1, 7, v22 bitop3:0x40
	s_mov_b32 s17, exec_lo
	v_cmpx_gt_u32_e32 8, v24
; %bb.630:                              ;   in Loop: Header=BB251_552 Depth=1
	s_delay_alu instid0(VALU_DEP_2) | instskip(NEXT) | instid1(VALU_DEP_1)
	v_clz_i32_u32_e32 v1, v1
	v_min_u32_e32 v1, 32, v1
	s_delay_alu instid0(VALU_DEP_1) | instskip(NEXT) | instid1(VALU_DEP_1)
	v_subrev_nc_u32_e32 v23, 28, v1
	v_lshlrev_b64_e32 v[24:25], v23, v[10:11]
	s_delay_alu instid0(VALU_DEP_1)
	v_dual_sub_nc_u32 v23, 29, v1 :: v_dual_bitop2_b32 v1, 7, v24 bitop3:0x40
; %bb.631:                              ;   in Loop: Header=BB251_552 Depth=1
	s_or_b32 exec_lo, exec_lo, s17
	s_delay_alu instid0(VALU_DEP_1) | instskip(NEXT) | instid1(VALU_DEP_2)
	v_dual_lshlrev_b32 v10, 8, v22 :: v_dual_lshlrev_b32 v1, 23, v1
	v_lshl_add_u32 v22, v23, 10, 0x2000
	s_delay_alu instid0(VALU_DEP_1) | instskip(NEXT) | instid1(VALU_DEP_1)
	v_and_or_b32 v10, 0x8000, v10, v22
	v_lshl_or_b32 v1, v10, 16, v1
.LBB251_632:                            ;   in Loop: Header=BB251_552 Depth=1
	s_or_b32 exec_lo, exec_lo, s16
.LBB251_633:                            ;   in Loop: Header=BB251_552 Depth=1
	s_delay_alu instid0(SALU_CYCLE_1)
	s_or_b32 exec_lo, exec_lo, s15
.LBB251_634:                            ;   in Loop: Header=BB251_552 Depth=1
	s_delay_alu instid0(SALU_CYCLE_1) | instskip(SKIP_3) | instid1(VALU_DEP_2)
	s_or_b32 exec_lo, exec_lo, s14
	v_dual_lshrrev_b32 v10, 16, v20 :: v_dual_mov_b32 v22, 0
	v_mov_b32_e32 v23, 0
	s_mov_b32 s14, exec_lo
	v_and_b32_e32 v24, 0xff, v10
	s_delay_alu instid0(VALU_DEP_1)
	v_cmpx_ne_u16_e32 0, v24
	s_cbranch_execz .LBB251_642
; %bb.635:                              ;   in Loop: Header=BB251_552 Depth=1
	v_mov_b32_e32 v23, 0x8000
	s_mov_b32 s15, exec_lo
	v_cmpx_ne_u16_e32 0x80, v24
	s_cbranch_execz .LBB251_641
; %bb.636:                              ;   in Loop: Header=BB251_552 Depth=1
	v_bfe_u32 v25, v20, 16, 7
	v_mov_b32_e32 v23, 0x7c01
	s_mov_b32 s16, exec_lo
	s_delay_alu instid0(VALU_DEP_2)
	v_cmpx_ne_u32_e32 0x7f, v25
	s_cbranch_execz .LBB251_640
; %bb.637:                              ;   in Loop: Header=BB251_552 Depth=1
	v_dual_lshrrev_b32 v24, 3, v25 :: v_dual_bitop2_b32 v23, 7, v10 bitop3:0x40
	s_mov_b32 s17, exec_lo
	v_cmpx_gt_u32_e32 8, v25
; %bb.638:                              ;   in Loop: Header=BB251_552 Depth=1
	s_delay_alu instid0(VALU_DEP_2) | instskip(NEXT) | instid1(VALU_DEP_1)
	v_clz_i32_u32_e32 v23, v23
	v_min_u32_e32 v23, 32, v23
	s_delay_alu instid0(VALU_DEP_1) | instskip(NEXT) | instid1(VALU_DEP_1)
	v_subrev_nc_u32_e32 v24, 28, v23
	v_lshlrev_b64_e32 v[26:27], v24, v[10:11]
	s_delay_alu instid0(VALU_DEP_1)
	v_dual_sub_nc_u32 v24, 29, v23 :: v_dual_bitop2_b32 v23, 7, v26 bitop3:0x40
; %bb.639:                              ;   in Loop: Header=BB251_552 Depth=1
	s_or_b32 exec_lo, exec_lo, s17
	s_delay_alu instid0(VALU_DEP_1) | instskip(NEXT) | instid1(VALU_DEP_2)
	v_dual_lshlrev_b32 v10, 8, v10 :: v_dual_lshlrev_b32 v23, 7, v23
	v_lshl_add_u32 v24, v24, 10, 0x2000
	s_delay_alu instid0(VALU_DEP_2) | instskip(NEXT) | instid1(VALU_DEP_2)
	v_and_b32_e32 v10, 0x8000, v10
	v_and_b32_e32 v24, 0xfc00, v24
	s_delay_alu instid0(VALU_DEP_1)
	v_or3_b32 v23, v10, v24, v23
.LBB251_640:                            ;   in Loop: Header=BB251_552 Depth=1
	s_or_b32 exec_lo, exec_lo, s16
.LBB251_641:                            ;   in Loop: Header=BB251_552 Depth=1
	s_delay_alu instid0(SALU_CYCLE_1)
	s_or_b32 exec_lo, exec_lo, s15
.LBB251_642:                            ;   in Loop: Header=BB251_552 Depth=1
	s_delay_alu instid0(SALU_CYCLE_1) | instskip(NEXT) | instid1(SALU_CYCLE_1)
	s_or_b32 exec_lo, exec_lo, s14
	s_mov_b32 s14, exec_lo
	v_cmpx_lt_u32_e32 0xffffff, v20
	s_cbranch_execz .LBB251_650
; %bb.643:                              ;   in Loop: Header=BB251_552 Depth=1
	v_lshrrev_b32_e32 v10, 24, v20
	v_bfrev_b32_e32 v22, 1
	s_mov_b32 s15, exec_lo
	s_delay_alu instid0(VALU_DEP_2)
	v_cmpx_ne_u32_e32 0x80, v10
	s_cbranch_execz .LBB251_649
; %bb.644:                              ;   in Loop: Header=BB251_552 Depth=1
	v_and_b32_e32 v25, 0x7f, v10
	v_mov_b32_e32 v22, 0x7c010000
	s_mov_b32 s16, exec_lo
	s_delay_alu instid0(VALU_DEP_2)
	v_cmpx_ne_u32_e32 0x7f, v25
	s_cbranch_execz .LBB251_648
; %bb.645:                              ;   in Loop: Header=BB251_552 Depth=1
	v_dual_lshrrev_b32 v24, 3, v25 :: v_dual_bitop2_b32 v22, 7, v10 bitop3:0x40
	s_mov_b32 s17, exec_lo
	v_cmpx_gt_u32_e32 8, v25
; %bb.646:                              ;   in Loop: Header=BB251_552 Depth=1
	s_delay_alu instid0(VALU_DEP_2) | instskip(NEXT) | instid1(VALU_DEP_1)
	v_clz_i32_u32_e32 v22, v22
	v_min_u32_e32 v22, 32, v22
	s_delay_alu instid0(VALU_DEP_1) | instskip(NEXT) | instid1(VALU_DEP_1)
	v_subrev_nc_u32_e32 v24, 28, v22
	v_lshlrev_b64_e32 v[26:27], v24, v[10:11]
	v_sub_nc_u32_e32 v24, 29, v22
	s_delay_alu instid0(VALU_DEP_2)
	v_and_b32_e32 v22, 7, v26
; %bb.647:                              ;   in Loop: Header=BB251_552 Depth=1
	s_or_b32 exec_lo, exec_lo, s17
	v_lshlrev_b32_e32 v10, 8, v10
	s_delay_alu instid0(VALU_DEP_3) | instskip(NEXT) | instid1(VALU_DEP_3)
	v_lshl_add_u32 v24, v24, 10, 0x2000
	v_lshlrev_b32_e32 v22, 23, v22
	s_delay_alu instid0(VALU_DEP_2) | instskip(NEXT) | instid1(VALU_DEP_1)
	v_and_or_b32 v10, 0x8000, v10, v24
	v_lshl_or_b32 v22, v10, 16, v22
.LBB251_648:                            ;   in Loop: Header=BB251_552 Depth=1
	s_or_b32 exec_lo, exec_lo, s16
.LBB251_649:                            ;   in Loop: Header=BB251_552 Depth=1
	s_delay_alu instid0(SALU_CYCLE_1)
	s_or_b32 exec_lo, exec_lo, s15
.LBB251_650:                            ;   in Loop: Header=BB251_552 Depth=1
	s_delay_alu instid0(SALU_CYCLE_1) | instskip(SKIP_4) | instid1(VALU_DEP_3)
	s_or_b32 exec_lo, exec_lo, s14
	v_and_b32_e32 v26, 0xff, v21
	v_dual_mov_b32 v10, v21 :: v_dual_mov_b32 v25, 0
	v_mov_b32_e32 v24, 0
	s_mov_b32 s14, exec_lo
	v_cmpx_ne_u16_e32 0, v26
	s_cbranch_execz .LBB251_658
; %bb.651:                              ;   in Loop: Header=BB251_552 Depth=1
	v_mov_b32_e32 v24, 0x8000
	s_mov_b32 s15, exec_lo
	v_cmpx_ne_u16_e32 0x80, v26
	s_cbranch_execz .LBB251_657
; %bb.652:                              ;   in Loop: Header=BB251_552 Depth=1
	v_and_b32_e32 v27, 0x7f, v21
	v_mov_b32_e32 v24, 0x7c01
	s_mov_b32 s16, exec_lo
	s_delay_alu instid0(VALU_DEP_2)
	v_cmpx_ne_u32_e32 0x7f, v27
	s_cbranch_execz .LBB251_656
; %bb.653:                              ;   in Loop: Header=BB251_552 Depth=1
	v_dual_lshrrev_b32 v26, 3, v27 :: v_dual_bitop2_b32 v24, 7, v21 bitop3:0x40
	s_mov_b32 s17, exec_lo
	v_cmpx_gt_u32_e32 8, v27
; %bb.654:                              ;   in Loop: Header=BB251_552 Depth=1
	s_delay_alu instid0(VALU_DEP_2) | instskip(NEXT) | instid1(VALU_DEP_1)
	v_clz_i32_u32_e32 v24, v24
	v_min_u32_e32 v24, 32, v24
	s_delay_alu instid0(VALU_DEP_1) | instskip(NEXT) | instid1(VALU_DEP_1)
	v_subrev_nc_u32_e32 v26, 28, v24
	v_lshlrev_b64_e32 v[40:41], v26, v[10:11]
	v_sub_nc_u32_e32 v26, 29, v24
	s_delay_alu instid0(VALU_DEP_2)
	v_and_b32_e32 v24, 7, v40
; %bb.655:                              ;   in Loop: Header=BB251_552 Depth=1
	s_or_b32 exec_lo, exec_lo, s17
	s_delay_alu instid0(VALU_DEP_1) | instskip(NEXT) | instid1(VALU_DEP_3)
	v_dual_lshlrev_b32 v27, 8, v21 :: v_dual_lshlrev_b32 v24, 7, v24
	v_lshl_add_u32 v26, v26, 10, 0x2000
	s_delay_alu instid0(VALU_DEP_2) | instskip(NEXT) | instid1(VALU_DEP_2)
	v_and_b32_e32 v27, 0x8000, v27
	v_and_b32_e32 v26, 0xfc00, v26
	s_delay_alu instid0(VALU_DEP_1)
	v_or3_b32 v24, v27, v26, v24
.LBB251_656:                            ;   in Loop: Header=BB251_552 Depth=1
	s_or_b32 exec_lo, exec_lo, s16
.LBB251_657:                            ;   in Loop: Header=BB251_552 Depth=1
	s_delay_alu instid0(SALU_CYCLE_1)
	s_or_b32 exec_lo, exec_lo, s15
.LBB251_658:                            ;   in Loop: Header=BB251_552 Depth=1
	s_delay_alu instid0(SALU_CYCLE_1) | instskip(SKIP_3) | instid1(VALU_DEP_2)
	s_or_b32 exec_lo, exec_lo, s14
	v_lshrrev_b16 v10, 8, v10
	v_mov_b32_e32 v26, 0
	s_mov_b32 s14, exec_lo
	v_cmpx_ne_u16_e32 0, v10
	s_cbranch_execz .LBB251_666
; %bb.659:                              ;   in Loop: Header=BB251_552 Depth=1
	v_bfrev_b32_e32 v26, 1
	s_mov_b32 s15, exec_lo
	v_cmpx_ne_u16_e32 0x80, v10
	s_cbranch_execz .LBB251_665
; %bb.660:                              ;   in Loop: Header=BB251_552 Depth=1
	v_and_b32_e32 v27, 0xffff, v10
	v_mov_b32_e32 v26, 0x7c010000
	s_mov_b32 s16, exec_lo
	s_delay_alu instid0(VALU_DEP_2) | instskip(NEXT) | instid1(VALU_DEP_1)
	v_and_b32_e32 v41, 0x7f, v27
	v_cmpx_ne_u32_e32 0x7f, v41
	s_cbranch_execz .LBB251_664
; %bb.661:                              ;   in Loop: Header=BB251_552 Depth=1
	v_dual_lshrrev_b32 v40, 3, v41 :: v_dual_bitop2_b32 v26, 7, v27 bitop3:0x40
	s_mov_b32 s17, exec_lo
	v_cmpx_gt_u32_e32 8, v41
; %bb.662:                              ;   in Loop: Header=BB251_552 Depth=1
	s_delay_alu instid0(VALU_DEP_2) | instskip(NEXT) | instid1(VALU_DEP_1)
	v_clz_i32_u32_e32 v26, v26
	v_min_u32_e32 v26, 32, v26
	s_delay_alu instid0(VALU_DEP_1) | instskip(NEXT) | instid1(VALU_DEP_1)
	v_subrev_nc_u32_e32 v40, 28, v26
	v_lshlrev_b64_e32 v[48:49], v40, v[10:11]
	s_delay_alu instid0(VALU_DEP_1)
	v_dual_sub_nc_u32 v40, 29, v26 :: v_dual_bitop2_b32 v26, 7, v48 bitop3:0x40
; %bb.663:                              ;   in Loop: Header=BB251_552 Depth=1
	s_or_b32 exec_lo, exec_lo, s17
	s_delay_alu instid0(VALU_DEP_1) | instskip(NEXT) | instid1(VALU_DEP_2)
	v_dual_lshlrev_b32 v10, 8, v27 :: v_dual_lshlrev_b32 v26, 23, v26
	v_lshl_add_u32 v27, v40, 10, 0x2000
	s_delay_alu instid0(VALU_DEP_1) | instskip(NEXT) | instid1(VALU_DEP_1)
	v_and_or_b32 v10, 0x8000, v10, v27
	v_lshl_or_b32 v26, v10, 16, v26
.LBB251_664:                            ;   in Loop: Header=BB251_552 Depth=1
	s_or_b32 exec_lo, exec_lo, s16
.LBB251_665:                            ;   in Loop: Header=BB251_552 Depth=1
	s_delay_alu instid0(SALU_CYCLE_1)
	s_or_b32 exec_lo, exec_lo, s15
.LBB251_666:                            ;   in Loop: Header=BB251_552 Depth=1
	s_delay_alu instid0(SALU_CYCLE_1) | instskip(SKIP_2) | instid1(VALU_DEP_1)
	s_or_b32 exec_lo, exec_lo, s14
	v_lshrrev_b32_e32 v10, 16, v21
	s_mov_b32 s14, exec_lo
	v_and_b32_e32 v27, 0xff, v10
	s_delay_alu instid0(VALU_DEP_1)
	v_cmpx_ne_u16_e32 0, v27
	s_cbranch_execz .LBB251_674
; %bb.667:                              ;   in Loop: Header=BB251_552 Depth=1
	v_mov_b32_e32 v25, 0x8000
	s_mov_b32 s15, exec_lo
	v_cmpx_ne_u16_e32 0x80, v27
	s_cbranch_execz .LBB251_673
; %bb.668:                              ;   in Loop: Header=BB251_552 Depth=1
	v_bfe_u32 v40, v21, 16, 7
	v_mov_b32_e32 v25, 0x7c01
	s_mov_b32 s16, exec_lo
	s_delay_alu instid0(VALU_DEP_2)
	v_cmpx_ne_u32_e32 0x7f, v40
	s_cbranch_execz .LBB251_672
; %bb.669:                              ;   in Loop: Header=BB251_552 Depth=1
	v_dual_lshrrev_b32 v27, 3, v40 :: v_dual_bitop2_b32 v25, 7, v10 bitop3:0x40
	s_mov_b32 s17, exec_lo
	v_cmpx_gt_u32_e32 8, v40
; %bb.670:                              ;   in Loop: Header=BB251_552 Depth=1
	s_delay_alu instid0(VALU_DEP_2) | instskip(NEXT) | instid1(VALU_DEP_1)
	v_clz_i32_u32_e32 v25, v25
	v_min_u32_e32 v25, 32, v25
	s_delay_alu instid0(VALU_DEP_1) | instskip(NEXT) | instid1(VALU_DEP_1)
	v_subrev_nc_u32_e32 v27, 28, v25
	v_lshlrev_b64_e32 v[40:41], v27, v[10:11]
	s_delay_alu instid0(VALU_DEP_1)
	v_dual_sub_nc_u32 v27, 29, v25 :: v_dual_bitop2_b32 v25, 7, v40 bitop3:0x40
; %bb.671:                              ;   in Loop: Header=BB251_552 Depth=1
	s_or_b32 exec_lo, exec_lo, s17
	s_delay_alu instid0(VALU_DEP_1) | instskip(NEXT) | instid1(VALU_DEP_2)
	v_dual_lshlrev_b32 v10, 8, v10 :: v_dual_lshlrev_b32 v25, 7, v25
	v_lshl_add_u32 v27, v27, 10, 0x2000
	s_delay_alu instid0(VALU_DEP_2) | instskip(NEXT) | instid1(VALU_DEP_2)
	v_and_b32_e32 v10, 0x8000, v10
	v_and_b32_e32 v27, 0xfc00, v27
	s_delay_alu instid0(VALU_DEP_1)
	v_or3_b32 v25, v10, v27, v25
.LBB251_672:                            ;   in Loop: Header=BB251_552 Depth=1
	s_or_b32 exec_lo, exec_lo, s16
.LBB251_673:                            ;   in Loop: Header=BB251_552 Depth=1
	s_delay_alu instid0(SALU_CYCLE_1)
	s_or_b32 exec_lo, exec_lo, s15
.LBB251_674:                            ;   in Loop: Header=BB251_552 Depth=1
	s_delay_alu instid0(SALU_CYCLE_1)
	s_or_b32 exec_lo, exec_lo, s14
	v_cmp_lt_u64_e64 s0, s[2:3], v[20:21]
	v_mov_b32_e32 v20, 0
	s_and_saveexec_b32 s14, s0
	s_cbranch_execz .LBB251_682
; %bb.675:                              ;   in Loop: Header=BB251_552 Depth=1
	v_lshrrev_b32_e32 v10, 24, v21
	v_bfrev_b32_e32 v20, 1
	s_mov_b32 s15, exec_lo
	s_delay_alu instid0(VALU_DEP_2)
	v_cmpx_ne_u32_e32 0x80, v10
	s_cbranch_execz .LBB251_681
; %bb.676:                              ;   in Loop: Header=BB251_552 Depth=1
	v_and_b32_e32 v27, 0x7f, v10
	v_mov_b32_e32 v20, 0x7c010000
	s_mov_b32 s16, exec_lo
	s_delay_alu instid0(VALU_DEP_2)
	v_cmpx_ne_u32_e32 0x7f, v27
	s_cbranch_execz .LBB251_680
; %bb.677:                              ;   in Loop: Header=BB251_552 Depth=1
	v_dual_lshrrev_b32 v21, 3, v27 :: v_dual_bitop2_b32 v20, 7, v10 bitop3:0x40
	s_mov_b32 s17, exec_lo
	v_cmpx_gt_u32_e32 8, v27
; %bb.678:                              ;   in Loop: Header=BB251_552 Depth=1
	s_delay_alu instid0(VALU_DEP_2) | instskip(NEXT) | instid1(VALU_DEP_1)
	v_clz_i32_u32_e32 v20, v20
	v_min_u32_e32 v27, 32, v20
	s_delay_alu instid0(VALU_DEP_1) | instskip(NEXT) | instid1(VALU_DEP_1)
	v_subrev_nc_u32_e32 v20, 28, v27
	v_lshlrev_b64_e32 v[20:21], v20, v[10:11]
	s_delay_alu instid0(VALU_DEP_1)
	v_dual_sub_nc_u32 v21, 29, v27 :: v_dual_bitop2_b32 v20, 7, v20 bitop3:0x40
; %bb.679:                              ;   in Loop: Header=BB251_552 Depth=1
	s_or_b32 exec_lo, exec_lo, s17
	s_delay_alu instid0(VALU_DEP_1) | instskip(NEXT) | instid1(VALU_DEP_2)
	v_dual_lshlrev_b32 v10, 8, v10 :: v_dual_lshlrev_b32 v20, 23, v20
	v_lshl_add_u32 v21, v21, 10, 0x2000
	s_delay_alu instid0(VALU_DEP_1) | instskip(NEXT) | instid1(VALU_DEP_1)
	v_and_or_b32 v10, 0x8000, v10, v21
	v_lshl_or_b32 v20, v10, 16, v20
.LBB251_680:                            ;   in Loop: Header=BB251_552 Depth=1
	s_or_b32 exec_lo, exec_lo, s16
.LBB251_681:                            ;   in Loop: Header=BB251_552 Depth=1
	s_delay_alu instid0(SALU_CYCLE_1)
	s_or_b32 exec_lo, exec_lo, s15
.LBB251_682:                            ;   in Loop: Header=BB251_552 Depth=1
	s_delay_alu instid0(SALU_CYCLE_1) | instskip(SKIP_3) | instid1(VALU_DEP_3)
	s_or_b32 exec_lo, exec_lo, s14
	v_dual_lshrrev_b32 v10, 16, v1 :: v_dual_lshrrev_b32 v21, 16, v22
	v_or_b32_e32 v1, v1, v19
	v_dual_lshrrev_b32 v27, 16, v20 :: v_dual_bitop2_b32 v19, v22, v23 bitop3:0x54
	v_cvt_f32_f16_e32 v23, v10
	s_delay_alu instid0(VALU_DEP_4) | instskip(SKIP_1) | instid1(VALU_DEP_4)
	v_cvt_f32_f16_e32 v22, v21
	v_dual_lshrrev_b32 v25, 16, v26 :: v_dual_bitop2_b32 v10, v20, v25 bitop3:0x54
	v_cvt_f32_f16_e32 v20, v19
	v_cvt_f32_f16_e32 v21, v1
	s_wait_loadcnt 0x0
	v_pk_mul_f32 v[22:23], v[18:19], v[22:23] op_sel_hi:[0,1]
	v_cvt_f32_f16_e32 v25, v25
	s_delay_alu instid0(VALU_DEP_2) | instskip(SKIP_3) | instid1(VALU_DEP_3)
	v_cvt_pk_f16_f32 v1, v22, v23
	v_or_b32_e32 v19, v26, v24
	v_cvt_f32_f16_e32 v24, v27
	v_cvt_f32_f16_e32 v26, v10
	v_pk_mul_f32 v[20:21], v[18:19], v[20:21] op_sel_hi:[0,1]
	s_delay_alu instid0(VALU_DEP_1) | instskip(SKIP_4) | instid1(VALU_DEP_3)
	v_cvt_pk_f16_f32 v10, v20, v21
	v_lshlrev_b32_e32 v20, 16, v1
	v_cvt_f32_f16_e32 v27, v19
	v_pk_mul_f32 v[22:23], v[18:19], v[24:25] op_sel_hi:[0,1]
	v_and_b32_e32 v21, 0xffff0000, v1
	v_pk_mul_f32 v[18:19], v[18:19], v[26:27] op_sel_hi:[0,1]
	s_delay_alu instid0(VALU_DEP_3) | instskip(SKIP_1) | instid1(VALU_DEP_3)
	v_cvt_pk_f16_f32 v22, v22, v23
	v_and_b32_e32 v26, 0xffff, v10
	v_cvt_pk_f16_f32 v18, v18, v19
	s_delay_alu instid0(VALU_DEP_3) | instskip(NEXT) | instid1(VALU_DEP_3)
	v_and_b32_e32 v1, 0xffff0000, v22
	v_or_b32_e32 v24, v20, v26
	s_delay_alu instid0(VALU_DEP_3) | instskip(SKIP_2) | instid1(VALU_DEP_3)
	v_lshrrev_b32_e32 v19, 16, v18
	v_lshrrev_b32_e32 v27, 16, v10
	v_and_b32_e32 v18, 0xffff, v18
	v_dual_lshlrev_b32 v10, 16, v22 :: v_dual_bitop2_b32 v23, v1, v19 bitop3:0x54
	s_delay_alu instid0(VALU_DEP_3) | instskip(NEXT) | instid1(VALU_DEP_2)
	v_or_b32_e32 v25, v21, v27
	v_or_b32_e32 v22, v10, v18
	s_and_saveexec_b32 s14, vcc_lo
	s_cbranch_execz .LBB251_684
; %bb.683:                              ;   in Loop: Header=BB251_552 Depth=1
	v_cmp_gt_i32_e64 s0, s9, v30
	s_delay_alu instid0(VALU_DEP_1) | instskip(SKIP_1) | instid1(VALU_DEP_1)
	v_cndmask_b32_e64 v22, 0, v27, s0
	v_cmp_gt_i32_e64 s0, s23, v39
	v_cndmask_b32_e64 v23, 0, v26, s0
	v_cmp_gt_i32_e64 s0, s9, v38
	s_delay_alu instid0(VALU_DEP_1) | instskip(SKIP_1) | instid1(VALU_DEP_1)
	v_cndmask_b32_e64 v21, 0, v21, s0
	v_cmp_gt_i32_e64 s0, s23, v37
	v_cndmask_b32_e64 v20, 0, v20, s0
	v_cmp_gt_i32_e64 s0, s9, v36
	s_delay_alu instid0(VALU_DEP_4) | instskip(NEXT) | instid1(VALU_DEP_3)
	v_or_b32_e32 v25, v21, v22
	v_or_b32_e32 v24, v20, v23
	s_delay_alu instid0(VALU_DEP_3) | instskip(SKIP_1) | instid1(VALU_DEP_1)
	v_cndmask_b32_e64 v19, 0, v19, s0
	v_cmp_gt_i32_e64 s0, s23, v35
	v_cndmask_b32_e64 v18, 0, v18, s0
	v_cmp_gt_i32_e64 s0, s9, v34
	s_delay_alu instid0(VALU_DEP_1) | instskip(SKIP_1) | instid1(VALU_DEP_1)
	v_cndmask_b32_e64 v1, 0, v1, s0
	v_cmp_gt_i32_e64 s0, s23, v33
	v_dual_cndmask_b32 v10, 0, v10, s0 :: v_dual_bitop2_b32 v23, v1, v19 bitop3:0x54
	s_delay_alu instid0(VALU_DEP_1)
	v_or_b32_e32 v22, v10, v18
.LBB251_684:                            ;   in Loop: Header=BB251_552 Depth=1
	s_or_b32 exec_lo, exec_lo, s14
	;;#ASMSTART
	v_pk_mul_f16 v1, v45, v25;

	;;#ASMEND
	;;#ASMSTART
	v_pk_mul_f16 v10, v44, v24;

	;;#ASMEND
	;; [unrolled: 4-line block ×4, first 2 shown]
	;;#ASMSTART
	v_pk_add_f16 v1, v1, v10;

	;;#ASMEND
	;;#ASMSTART
	v_pk_add_f16 v1, v1, v18;

	;;#ASMEND
	;; [unrolled: 4-line block ×3, first 2 shown]
	v_and_b32_e32 v10, 0xffff, v1
	v_dual_lshrrev_b32 v1, 16, v1 :: v_dual_mov_b32 v19, 0
	;;#ASMSTART
	v_cvt_f32_f16 v48, v10;
	;;#ASMEND
	;;#ASMSTART
	v_cvt_f32_f16 v49, v1;
	;;#ASMEND
	global_load_b64 v[20:21], v[16:17], off offset:512
	v_mov_b32_e32 v1, 0
	s_mov_b32 s14, exec_lo
	global_load_b32 v18, v1, s[10:11]
	s_wait_loadcnt 0x1
	v_and_b32_e32 v10, 0xff, v20
	s_wait_xcnt 0x0
	s_delay_alu instid0(VALU_DEP_1)
	v_cmpx_ne_u16_e32 0, v10
	s_cbranch_execz .LBB251_692
; %bb.685:                              ;   in Loop: Header=BB251_552 Depth=1
	v_mov_b32_e32 v19, 0x8000
	s_mov_b32 s15, exec_lo
	v_cmpx_ne_u16_e32 0x80, v10
	s_cbranch_execz .LBB251_691
; %bb.686:                              ;   in Loop: Header=BB251_552 Depth=1
	v_and_b32_e32 v22, 0x7f, v20
	v_mov_b32_e32 v19, 0x7c01
	s_mov_b32 s16, exec_lo
	s_delay_alu instid0(VALU_DEP_2)
	v_cmpx_ne_u32_e32 0x7f, v22
	s_cbranch_execz .LBB251_690
; %bb.687:                              ;   in Loop: Header=BB251_552 Depth=1
	v_dual_lshrrev_b32 v19, 3, v22 :: v_dual_bitop2_b32 v10, 7, v20 bitop3:0x40
	s_mov_b32 s17, exec_lo
	v_cmpx_gt_u32_e32 8, v22
; %bb.688:                              ;   in Loop: Header=BB251_552 Depth=1
	s_delay_alu instid0(VALU_DEP_2) | instskip(NEXT) | instid1(VALU_DEP_1)
	v_clz_i32_u32_e32 v10, v10
	v_min_u32_e32 v10, 32, v10
	s_delay_alu instid0(VALU_DEP_1) | instskip(NEXT) | instid1(VALU_DEP_1)
	v_subrev_nc_u32_e32 v19, 28, v10
	v_lshlrev_b64_e32 v[22:23], v19, v[20:21]
	v_sub_nc_u32_e32 v19, 29, v10
	s_delay_alu instid0(VALU_DEP_2)
	v_and_b32_e32 v10, 7, v22
; %bb.689:                              ;   in Loop: Header=BB251_552 Depth=1
	s_or_b32 exec_lo, exec_lo, s17
	s_delay_alu instid0(VALU_DEP_1) | instskip(NEXT) | instid1(VALU_DEP_3)
	v_dual_lshlrev_b32 v22, 8, v20 :: v_dual_lshlrev_b32 v10, 7, v10
	v_lshl_add_u32 v19, v19, 10, 0x2000
	s_delay_alu instid0(VALU_DEP_2) | instskip(NEXT) | instid1(VALU_DEP_2)
	v_and_b32_e32 v22, 0x8000, v22
	v_and_b32_e32 v19, 0xfc00, v19
	s_delay_alu instid0(VALU_DEP_1)
	v_or3_b32 v19, v22, v19, v10
.LBB251_690:                            ;   in Loop: Header=BB251_552 Depth=1
	s_or_b32 exec_lo, exec_lo, s16
.LBB251_691:                            ;   in Loop: Header=BB251_552 Depth=1
	s_delay_alu instid0(SALU_CYCLE_1)
	s_or_b32 exec_lo, exec_lo, s15
.LBB251_692:                            ;   in Loop: Header=BB251_552 Depth=1
	s_delay_alu instid0(SALU_CYCLE_1) | instskip(SKIP_2) | instid1(VALU_DEP_1)
	s_or_b32 exec_lo, exec_lo, s14
	v_lshrrev_b16 v10, 8, v20
	s_mov_b32 s14, exec_lo
	v_cmpx_ne_u16_e32 0, v10
	s_cbranch_execz .LBB251_700
; %bb.693:                              ;   in Loop: Header=BB251_552 Depth=1
	v_bfrev_b32_e32 v1, 1
	s_mov_b32 s15, exec_lo
	v_cmpx_ne_u16_e32 0x80, v10
	s_cbranch_execz .LBB251_699
; %bb.694:                              ;   in Loop: Header=BB251_552 Depth=1
	v_and_b32_e32 v22, 0xffff, v10
	v_mov_b32_e32 v1, 0x7c010000
	s_mov_b32 s16, exec_lo
	s_delay_alu instid0(VALU_DEP_2) | instskip(NEXT) | instid1(VALU_DEP_1)
	v_and_b32_e32 v24, 0x7f, v22
	v_cmpx_ne_u32_e32 0x7f, v24
	s_cbranch_execz .LBB251_698
; %bb.695:                              ;   in Loop: Header=BB251_552 Depth=1
	v_dual_lshrrev_b32 v23, 3, v24 :: v_dual_bitop2_b32 v1, 7, v22 bitop3:0x40
	s_mov_b32 s17, exec_lo
	v_cmpx_gt_u32_e32 8, v24
; %bb.696:                              ;   in Loop: Header=BB251_552 Depth=1
	s_delay_alu instid0(VALU_DEP_2) | instskip(NEXT) | instid1(VALU_DEP_1)
	v_clz_i32_u32_e32 v1, v1
	v_min_u32_e32 v1, 32, v1
	s_delay_alu instid0(VALU_DEP_1) | instskip(NEXT) | instid1(VALU_DEP_1)
	v_subrev_nc_u32_e32 v23, 28, v1
	v_lshlrev_b64_e32 v[24:25], v23, v[10:11]
	s_delay_alu instid0(VALU_DEP_1)
	v_dual_sub_nc_u32 v23, 29, v1 :: v_dual_bitop2_b32 v1, 7, v24 bitop3:0x40
; %bb.697:                              ;   in Loop: Header=BB251_552 Depth=1
	s_or_b32 exec_lo, exec_lo, s17
	s_delay_alu instid0(VALU_DEP_1) | instskip(NEXT) | instid1(VALU_DEP_2)
	v_dual_lshlrev_b32 v10, 8, v22 :: v_dual_lshlrev_b32 v1, 23, v1
	v_lshl_add_u32 v22, v23, 10, 0x2000
	s_delay_alu instid0(VALU_DEP_1) | instskip(NEXT) | instid1(VALU_DEP_1)
	v_and_or_b32 v10, 0x8000, v10, v22
	v_lshl_or_b32 v1, v10, 16, v1
.LBB251_698:                            ;   in Loop: Header=BB251_552 Depth=1
	s_or_b32 exec_lo, exec_lo, s16
.LBB251_699:                            ;   in Loop: Header=BB251_552 Depth=1
	s_delay_alu instid0(SALU_CYCLE_1)
	s_or_b32 exec_lo, exec_lo, s15
.LBB251_700:                            ;   in Loop: Header=BB251_552 Depth=1
	s_delay_alu instid0(SALU_CYCLE_1) | instskip(SKIP_3) | instid1(VALU_DEP_2)
	s_or_b32 exec_lo, exec_lo, s14
	v_dual_lshrrev_b32 v10, 16, v20 :: v_dual_mov_b32 v22, 0
	v_mov_b32_e32 v23, 0
	s_mov_b32 s14, exec_lo
	v_and_b32_e32 v24, 0xff, v10
	s_delay_alu instid0(VALU_DEP_1)
	v_cmpx_ne_u16_e32 0, v24
	s_cbranch_execz .LBB251_708
; %bb.701:                              ;   in Loop: Header=BB251_552 Depth=1
	v_mov_b32_e32 v23, 0x8000
	s_mov_b32 s15, exec_lo
	v_cmpx_ne_u16_e32 0x80, v24
	s_cbranch_execz .LBB251_707
; %bb.702:                              ;   in Loop: Header=BB251_552 Depth=1
	v_bfe_u32 v25, v20, 16, 7
	v_mov_b32_e32 v23, 0x7c01
	s_mov_b32 s16, exec_lo
	s_delay_alu instid0(VALU_DEP_2)
	v_cmpx_ne_u32_e32 0x7f, v25
	s_cbranch_execz .LBB251_706
; %bb.703:                              ;   in Loop: Header=BB251_552 Depth=1
	v_dual_lshrrev_b32 v24, 3, v25 :: v_dual_bitop2_b32 v23, 7, v10 bitop3:0x40
	s_mov_b32 s17, exec_lo
	v_cmpx_gt_u32_e32 8, v25
; %bb.704:                              ;   in Loop: Header=BB251_552 Depth=1
	s_delay_alu instid0(VALU_DEP_2) | instskip(NEXT) | instid1(VALU_DEP_1)
	v_clz_i32_u32_e32 v23, v23
	v_min_u32_e32 v23, 32, v23
	s_delay_alu instid0(VALU_DEP_1) | instskip(NEXT) | instid1(VALU_DEP_1)
	v_subrev_nc_u32_e32 v24, 28, v23
	v_lshlrev_b64_e32 v[26:27], v24, v[10:11]
	s_delay_alu instid0(VALU_DEP_1)
	v_dual_sub_nc_u32 v24, 29, v23 :: v_dual_bitop2_b32 v23, 7, v26 bitop3:0x40
; %bb.705:                              ;   in Loop: Header=BB251_552 Depth=1
	s_or_b32 exec_lo, exec_lo, s17
	s_delay_alu instid0(VALU_DEP_1) | instskip(NEXT) | instid1(VALU_DEP_2)
	v_dual_lshlrev_b32 v10, 8, v10 :: v_dual_lshlrev_b32 v23, 7, v23
	v_lshl_add_u32 v24, v24, 10, 0x2000
	s_delay_alu instid0(VALU_DEP_2) | instskip(NEXT) | instid1(VALU_DEP_2)
	v_and_b32_e32 v10, 0x8000, v10
	v_and_b32_e32 v24, 0xfc00, v24
	s_delay_alu instid0(VALU_DEP_1)
	v_or3_b32 v23, v10, v24, v23
.LBB251_706:                            ;   in Loop: Header=BB251_552 Depth=1
	s_or_b32 exec_lo, exec_lo, s16
.LBB251_707:                            ;   in Loop: Header=BB251_552 Depth=1
	s_delay_alu instid0(SALU_CYCLE_1)
	s_or_b32 exec_lo, exec_lo, s15
.LBB251_708:                            ;   in Loop: Header=BB251_552 Depth=1
	s_delay_alu instid0(SALU_CYCLE_1) | instskip(NEXT) | instid1(SALU_CYCLE_1)
	s_or_b32 exec_lo, exec_lo, s14
	s_mov_b32 s14, exec_lo
	v_cmpx_lt_u32_e32 0xffffff, v20
	s_cbranch_execz .LBB251_716
; %bb.709:                              ;   in Loop: Header=BB251_552 Depth=1
	v_lshrrev_b32_e32 v10, 24, v20
	v_bfrev_b32_e32 v22, 1
	s_mov_b32 s15, exec_lo
	s_delay_alu instid0(VALU_DEP_2)
	v_cmpx_ne_u32_e32 0x80, v10
	s_cbranch_execz .LBB251_715
; %bb.710:                              ;   in Loop: Header=BB251_552 Depth=1
	v_and_b32_e32 v25, 0x7f, v10
	v_mov_b32_e32 v22, 0x7c010000
	s_mov_b32 s16, exec_lo
	s_delay_alu instid0(VALU_DEP_2)
	v_cmpx_ne_u32_e32 0x7f, v25
	s_cbranch_execz .LBB251_714
; %bb.711:                              ;   in Loop: Header=BB251_552 Depth=1
	v_dual_lshrrev_b32 v24, 3, v25 :: v_dual_bitop2_b32 v22, 7, v10 bitop3:0x40
	s_mov_b32 s17, exec_lo
	v_cmpx_gt_u32_e32 8, v25
; %bb.712:                              ;   in Loop: Header=BB251_552 Depth=1
	s_delay_alu instid0(VALU_DEP_2) | instskip(NEXT) | instid1(VALU_DEP_1)
	v_clz_i32_u32_e32 v22, v22
	v_min_u32_e32 v22, 32, v22
	s_delay_alu instid0(VALU_DEP_1) | instskip(NEXT) | instid1(VALU_DEP_1)
	v_subrev_nc_u32_e32 v24, 28, v22
	v_lshlrev_b64_e32 v[26:27], v24, v[10:11]
	v_sub_nc_u32_e32 v24, 29, v22
	s_delay_alu instid0(VALU_DEP_2)
	v_and_b32_e32 v22, 7, v26
; %bb.713:                              ;   in Loop: Header=BB251_552 Depth=1
	s_or_b32 exec_lo, exec_lo, s17
	v_lshlrev_b32_e32 v10, 8, v10
	s_delay_alu instid0(VALU_DEP_3) | instskip(NEXT) | instid1(VALU_DEP_3)
	v_lshl_add_u32 v24, v24, 10, 0x2000
	v_lshlrev_b32_e32 v22, 23, v22
	s_delay_alu instid0(VALU_DEP_2) | instskip(NEXT) | instid1(VALU_DEP_1)
	v_and_or_b32 v10, 0x8000, v10, v24
	v_lshl_or_b32 v22, v10, 16, v22
.LBB251_714:                            ;   in Loop: Header=BB251_552 Depth=1
	s_or_b32 exec_lo, exec_lo, s16
.LBB251_715:                            ;   in Loop: Header=BB251_552 Depth=1
	s_delay_alu instid0(SALU_CYCLE_1)
	s_or_b32 exec_lo, exec_lo, s15
.LBB251_716:                            ;   in Loop: Header=BB251_552 Depth=1
	s_delay_alu instid0(SALU_CYCLE_1) | instskip(SKIP_4) | instid1(VALU_DEP_3)
	s_or_b32 exec_lo, exec_lo, s14
	v_and_b32_e32 v26, 0xff, v21
	v_dual_mov_b32 v10, v21 :: v_dual_mov_b32 v25, 0
	v_mov_b32_e32 v24, 0
	s_mov_b32 s14, exec_lo
	v_cmpx_ne_u16_e32 0, v26
	s_cbranch_execz .LBB251_724
; %bb.717:                              ;   in Loop: Header=BB251_552 Depth=1
	v_mov_b32_e32 v24, 0x8000
	s_mov_b32 s15, exec_lo
	v_cmpx_ne_u16_e32 0x80, v26
	s_cbranch_execz .LBB251_723
; %bb.718:                              ;   in Loop: Header=BB251_552 Depth=1
	v_and_b32_e32 v27, 0x7f, v21
	v_mov_b32_e32 v24, 0x7c01
	s_mov_b32 s16, exec_lo
	s_delay_alu instid0(VALU_DEP_2)
	v_cmpx_ne_u32_e32 0x7f, v27
	s_cbranch_execz .LBB251_722
; %bb.719:                              ;   in Loop: Header=BB251_552 Depth=1
	v_dual_lshrrev_b32 v26, 3, v27 :: v_dual_bitop2_b32 v24, 7, v21 bitop3:0x40
	s_mov_b32 s17, exec_lo
	v_cmpx_gt_u32_e32 8, v27
; %bb.720:                              ;   in Loop: Header=BB251_552 Depth=1
	s_delay_alu instid0(VALU_DEP_2) | instskip(NEXT) | instid1(VALU_DEP_1)
	v_clz_i32_u32_e32 v24, v24
	v_min_u32_e32 v24, 32, v24
	s_delay_alu instid0(VALU_DEP_1) | instskip(NEXT) | instid1(VALU_DEP_1)
	v_subrev_nc_u32_e32 v26, 28, v24
	v_lshlrev_b64_e32 v[40:41], v26, v[10:11]
	v_sub_nc_u32_e32 v26, 29, v24
	s_delay_alu instid0(VALU_DEP_2)
	v_and_b32_e32 v24, 7, v40
; %bb.721:                              ;   in Loop: Header=BB251_552 Depth=1
	s_or_b32 exec_lo, exec_lo, s17
	s_delay_alu instid0(VALU_DEP_1) | instskip(NEXT) | instid1(VALU_DEP_3)
	v_dual_lshlrev_b32 v27, 8, v21 :: v_dual_lshlrev_b32 v24, 7, v24
	v_lshl_add_u32 v26, v26, 10, 0x2000
	s_delay_alu instid0(VALU_DEP_2) | instskip(NEXT) | instid1(VALU_DEP_2)
	v_and_b32_e32 v27, 0x8000, v27
	v_and_b32_e32 v26, 0xfc00, v26
	s_delay_alu instid0(VALU_DEP_1)
	v_or3_b32 v24, v27, v26, v24
.LBB251_722:                            ;   in Loop: Header=BB251_552 Depth=1
	s_or_b32 exec_lo, exec_lo, s16
.LBB251_723:                            ;   in Loop: Header=BB251_552 Depth=1
	s_delay_alu instid0(SALU_CYCLE_1)
	s_or_b32 exec_lo, exec_lo, s15
.LBB251_724:                            ;   in Loop: Header=BB251_552 Depth=1
	s_delay_alu instid0(SALU_CYCLE_1) | instskip(SKIP_3) | instid1(VALU_DEP_2)
	s_or_b32 exec_lo, exec_lo, s14
	v_lshrrev_b16 v10, 8, v10
	v_mov_b32_e32 v26, 0
	s_mov_b32 s14, exec_lo
	v_cmpx_ne_u16_e32 0, v10
	s_cbranch_execz .LBB251_732
; %bb.725:                              ;   in Loop: Header=BB251_552 Depth=1
	v_bfrev_b32_e32 v26, 1
	s_mov_b32 s15, exec_lo
	v_cmpx_ne_u16_e32 0x80, v10
	s_cbranch_execz .LBB251_731
; %bb.726:                              ;   in Loop: Header=BB251_552 Depth=1
	v_and_b32_e32 v27, 0xffff, v10
	v_mov_b32_e32 v26, 0x7c010000
	s_mov_b32 s16, exec_lo
	s_delay_alu instid0(VALU_DEP_2) | instskip(NEXT) | instid1(VALU_DEP_1)
	v_and_b32_e32 v41, 0x7f, v27
	v_cmpx_ne_u32_e32 0x7f, v41
	s_cbranch_execz .LBB251_730
; %bb.727:                              ;   in Loop: Header=BB251_552 Depth=1
	v_dual_lshrrev_b32 v40, 3, v41 :: v_dual_bitop2_b32 v26, 7, v27 bitop3:0x40
	s_mov_b32 s17, exec_lo
	v_cmpx_gt_u32_e32 8, v41
; %bb.728:                              ;   in Loop: Header=BB251_552 Depth=1
	s_delay_alu instid0(VALU_DEP_2) | instskip(NEXT) | instid1(VALU_DEP_1)
	v_clz_i32_u32_e32 v26, v26
	v_min_u32_e32 v26, 32, v26
	s_delay_alu instid0(VALU_DEP_1) | instskip(NEXT) | instid1(VALU_DEP_1)
	v_subrev_nc_u32_e32 v40, 28, v26
	v_lshlrev_b64_e32 v[50:51], v40, v[10:11]
	v_sub_nc_u32_e32 v40, 29, v26
	s_delay_alu instid0(VALU_DEP_2)
	v_and_b32_e32 v26, 7, v50
; %bb.729:                              ;   in Loop: Header=BB251_552 Depth=1
	s_or_b32 exec_lo, exec_lo, s17
	s_delay_alu instid0(VALU_DEP_1) | instskip(NEXT) | instid1(VALU_DEP_3)
	v_dual_lshlrev_b32 v10, 8, v27 :: v_dual_lshlrev_b32 v26, 23, v26
	v_lshl_add_u32 v27, v40, 10, 0x2000
	s_delay_alu instid0(VALU_DEP_1) | instskip(NEXT) | instid1(VALU_DEP_1)
	v_and_or_b32 v10, 0x8000, v10, v27
	v_lshl_or_b32 v26, v10, 16, v26
.LBB251_730:                            ;   in Loop: Header=BB251_552 Depth=1
	s_or_b32 exec_lo, exec_lo, s16
.LBB251_731:                            ;   in Loop: Header=BB251_552 Depth=1
	s_delay_alu instid0(SALU_CYCLE_1)
	s_or_b32 exec_lo, exec_lo, s15
.LBB251_732:                            ;   in Loop: Header=BB251_552 Depth=1
	s_delay_alu instid0(SALU_CYCLE_1) | instskip(SKIP_2) | instid1(VALU_DEP_1)
	s_or_b32 exec_lo, exec_lo, s14
	v_lshrrev_b32_e32 v10, 16, v21
	s_mov_b32 s14, exec_lo
	v_and_b32_e32 v27, 0xff, v10
	s_delay_alu instid0(VALU_DEP_1)
	v_cmpx_ne_u16_e32 0, v27
	s_cbranch_execz .LBB251_740
; %bb.733:                              ;   in Loop: Header=BB251_552 Depth=1
	v_mov_b32_e32 v25, 0x8000
	s_mov_b32 s15, exec_lo
	v_cmpx_ne_u16_e32 0x80, v27
	s_cbranch_execz .LBB251_739
; %bb.734:                              ;   in Loop: Header=BB251_552 Depth=1
	v_bfe_u32 v40, v21, 16, 7
	v_mov_b32_e32 v25, 0x7c01
	s_mov_b32 s16, exec_lo
	s_delay_alu instid0(VALU_DEP_2)
	v_cmpx_ne_u32_e32 0x7f, v40
	s_cbranch_execz .LBB251_738
; %bb.735:                              ;   in Loop: Header=BB251_552 Depth=1
	v_dual_lshrrev_b32 v27, 3, v40 :: v_dual_bitop2_b32 v25, 7, v10 bitop3:0x40
	s_mov_b32 s17, exec_lo
	v_cmpx_gt_u32_e32 8, v40
; %bb.736:                              ;   in Loop: Header=BB251_552 Depth=1
	s_delay_alu instid0(VALU_DEP_2) | instskip(NEXT) | instid1(VALU_DEP_1)
	v_clz_i32_u32_e32 v25, v25
	v_min_u32_e32 v25, 32, v25
	s_delay_alu instid0(VALU_DEP_1) | instskip(NEXT) | instid1(VALU_DEP_1)
	v_subrev_nc_u32_e32 v27, 28, v25
	v_lshlrev_b64_e32 v[40:41], v27, v[10:11]
	s_delay_alu instid0(VALU_DEP_1)
	v_dual_sub_nc_u32 v27, 29, v25 :: v_dual_bitop2_b32 v25, 7, v40 bitop3:0x40
; %bb.737:                              ;   in Loop: Header=BB251_552 Depth=1
	s_or_b32 exec_lo, exec_lo, s17
	s_delay_alu instid0(VALU_DEP_1) | instskip(NEXT) | instid1(VALU_DEP_2)
	v_dual_lshlrev_b32 v10, 8, v10 :: v_dual_lshlrev_b32 v25, 7, v25
	v_lshl_add_u32 v27, v27, 10, 0x2000
	s_delay_alu instid0(VALU_DEP_2) | instskip(NEXT) | instid1(VALU_DEP_2)
	v_and_b32_e32 v10, 0x8000, v10
	v_and_b32_e32 v27, 0xfc00, v27
	s_delay_alu instid0(VALU_DEP_1)
	v_or3_b32 v25, v10, v27, v25
.LBB251_738:                            ;   in Loop: Header=BB251_552 Depth=1
	s_or_b32 exec_lo, exec_lo, s16
.LBB251_739:                            ;   in Loop: Header=BB251_552 Depth=1
	s_delay_alu instid0(SALU_CYCLE_1)
	s_or_b32 exec_lo, exec_lo, s15
.LBB251_740:                            ;   in Loop: Header=BB251_552 Depth=1
	s_delay_alu instid0(SALU_CYCLE_1)
	s_or_b32 exec_lo, exec_lo, s14
	v_cmp_lt_u64_e64 s0, s[2:3], v[20:21]
	v_mov_b32_e32 v20, 0
	s_and_saveexec_b32 s14, s0
	s_cbranch_execz .LBB251_748
; %bb.741:                              ;   in Loop: Header=BB251_552 Depth=1
	v_lshrrev_b32_e32 v10, 24, v21
	v_bfrev_b32_e32 v20, 1
	s_mov_b32 s15, exec_lo
	s_delay_alu instid0(VALU_DEP_2)
	v_cmpx_ne_u32_e32 0x80, v10
	s_cbranch_execz .LBB251_747
; %bb.742:                              ;   in Loop: Header=BB251_552 Depth=1
	v_and_b32_e32 v27, 0x7f, v10
	v_mov_b32_e32 v20, 0x7c010000
	s_mov_b32 s16, exec_lo
	s_delay_alu instid0(VALU_DEP_2)
	v_cmpx_ne_u32_e32 0x7f, v27
	s_cbranch_execz .LBB251_746
; %bb.743:                              ;   in Loop: Header=BB251_552 Depth=1
	v_dual_lshrrev_b32 v21, 3, v27 :: v_dual_bitop2_b32 v20, 7, v10 bitop3:0x40
	s_mov_b32 s17, exec_lo
	v_cmpx_gt_u32_e32 8, v27
; %bb.744:                              ;   in Loop: Header=BB251_552 Depth=1
	s_delay_alu instid0(VALU_DEP_2) | instskip(NEXT) | instid1(VALU_DEP_1)
	v_clz_i32_u32_e32 v20, v20
	v_min_u32_e32 v27, 32, v20
	s_delay_alu instid0(VALU_DEP_1) | instskip(NEXT) | instid1(VALU_DEP_1)
	v_subrev_nc_u32_e32 v20, 28, v27
	v_lshlrev_b64_e32 v[20:21], v20, v[10:11]
	s_delay_alu instid0(VALU_DEP_1)
	v_dual_sub_nc_u32 v21, 29, v27 :: v_dual_bitop2_b32 v20, 7, v20 bitop3:0x40
; %bb.745:                              ;   in Loop: Header=BB251_552 Depth=1
	s_or_b32 exec_lo, exec_lo, s17
	s_delay_alu instid0(VALU_DEP_1) | instskip(NEXT) | instid1(VALU_DEP_2)
	v_dual_lshlrev_b32 v10, 8, v10 :: v_dual_lshlrev_b32 v20, 23, v20
	v_lshl_add_u32 v21, v21, 10, 0x2000
	s_delay_alu instid0(VALU_DEP_1) | instskip(NEXT) | instid1(VALU_DEP_1)
	v_and_or_b32 v10, 0x8000, v10, v21
	v_lshl_or_b32 v20, v10, 16, v20
.LBB251_746:                            ;   in Loop: Header=BB251_552 Depth=1
	s_or_b32 exec_lo, exec_lo, s16
.LBB251_747:                            ;   in Loop: Header=BB251_552 Depth=1
	s_delay_alu instid0(SALU_CYCLE_1)
	s_or_b32 exec_lo, exec_lo, s15
.LBB251_748:                            ;   in Loop: Header=BB251_552 Depth=1
	s_delay_alu instid0(SALU_CYCLE_1) | instskip(SKIP_3) | instid1(VALU_DEP_3)
	s_or_b32 exec_lo, exec_lo, s14
	v_dual_lshrrev_b32 v10, 16, v1 :: v_dual_lshrrev_b32 v21, 16, v22
	v_or_b32_e32 v1, v1, v19
	v_dual_lshrrev_b32 v27, 16, v20 :: v_dual_bitop2_b32 v19, v22, v23 bitop3:0x54
	v_cvt_f32_f16_e32 v23, v10
	s_delay_alu instid0(VALU_DEP_4) | instskip(SKIP_1) | instid1(VALU_DEP_4)
	v_cvt_f32_f16_e32 v22, v21
	v_dual_lshrrev_b32 v25, 16, v26 :: v_dual_bitop2_b32 v10, v20, v25 bitop3:0x54
	v_cvt_f32_f16_e32 v20, v19
	v_cvt_f32_f16_e32 v21, v1
	s_wait_loadcnt 0x0
	v_pk_mul_f32 v[22:23], v[18:19], v[22:23] op_sel_hi:[0,1]
	v_cvt_f32_f16_e32 v25, v25
	s_delay_alu instid0(VALU_DEP_2) | instskip(SKIP_3) | instid1(VALU_DEP_3)
	v_cvt_pk_f16_f32 v1, v22, v23
	v_or_b32_e32 v19, v26, v24
	v_cvt_f32_f16_e32 v24, v27
	v_cvt_f32_f16_e32 v26, v10
	v_pk_mul_f32 v[20:21], v[18:19], v[20:21] op_sel_hi:[0,1]
	s_delay_alu instid0(VALU_DEP_1) | instskip(SKIP_4) | instid1(VALU_DEP_3)
	v_cvt_pk_f16_f32 v10, v20, v21
	v_lshlrev_b32_e32 v20, 16, v1
	v_cvt_f32_f16_e32 v27, v19
	v_pk_mul_f32 v[22:23], v[18:19], v[24:25] op_sel_hi:[0,1]
	v_and_b32_e32 v21, 0xffff0000, v1
	v_pk_mul_f32 v[18:19], v[18:19], v[26:27] op_sel_hi:[0,1]
	s_delay_alu instid0(VALU_DEP_3) | instskip(SKIP_1) | instid1(VALU_DEP_3)
	v_cvt_pk_f16_f32 v22, v22, v23
	v_and_b32_e32 v26, 0xffff, v10
	v_cvt_pk_f16_f32 v18, v18, v19
	s_delay_alu instid0(VALU_DEP_3) | instskip(NEXT) | instid1(VALU_DEP_3)
	v_and_b32_e32 v1, 0xffff0000, v22
	v_or_b32_e32 v24, v20, v26
	s_delay_alu instid0(VALU_DEP_3) | instskip(SKIP_2) | instid1(VALU_DEP_3)
	v_lshrrev_b32_e32 v19, 16, v18
	v_lshrrev_b32_e32 v27, 16, v10
	v_and_b32_e32 v18, 0xffff, v18
	v_dual_lshlrev_b32 v10, 16, v22 :: v_dual_bitop2_b32 v23, v1, v19 bitop3:0x54
	s_delay_alu instid0(VALU_DEP_3) | instskip(NEXT) | instid1(VALU_DEP_2)
	v_or_b32_e32 v25, v21, v27
	v_or_b32_e32 v22, v10, v18
	s_and_saveexec_b32 s14, vcc_lo
	s_cbranch_execz .LBB251_750
; %bb.749:                              ;   in Loop: Header=BB251_552 Depth=1
	v_cmp_gt_i32_e64 s0, s9, v30
	s_delay_alu instid0(VALU_DEP_1) | instskip(SKIP_1) | instid1(VALU_DEP_1)
	v_cndmask_b32_e64 v22, 0, v27, s0
	v_cmp_gt_i32_e64 s0, s23, v39
	v_cndmask_b32_e64 v23, 0, v26, s0
	v_cmp_gt_i32_e64 s0, s9, v38
	s_delay_alu instid0(VALU_DEP_1) | instskip(SKIP_1) | instid1(VALU_DEP_1)
	v_cndmask_b32_e64 v21, 0, v21, s0
	v_cmp_gt_i32_e64 s0, s23, v37
	v_cndmask_b32_e64 v20, 0, v20, s0
	v_cmp_gt_i32_e64 s0, s9, v36
	s_delay_alu instid0(VALU_DEP_4) | instskip(NEXT) | instid1(VALU_DEP_3)
	v_or_b32_e32 v25, v21, v22
	v_or_b32_e32 v24, v20, v23
	s_delay_alu instid0(VALU_DEP_3) | instskip(SKIP_1) | instid1(VALU_DEP_1)
	v_cndmask_b32_e64 v19, 0, v19, s0
	v_cmp_gt_i32_e64 s0, s23, v35
	v_cndmask_b32_e64 v18, 0, v18, s0
	v_cmp_gt_i32_e64 s0, s9, v34
	s_delay_alu instid0(VALU_DEP_1) | instskip(SKIP_1) | instid1(VALU_DEP_1)
	v_cndmask_b32_e64 v1, 0, v1, s0
	v_cmp_gt_i32_e64 s0, s23, v33
	v_dual_cndmask_b32 v10, 0, v10, s0 :: v_dual_bitop2_b32 v23, v1, v19 bitop3:0x54
	s_delay_alu instid0(VALU_DEP_1)
	v_or_b32_e32 v22, v10, v18
.LBB251_750:                            ;   in Loop: Header=BB251_552 Depth=1
	s_or_b32 exec_lo, exec_lo, s14
	;;#ASMSTART
	v_pk_mul_f16 v1, v45, v25;

	;;#ASMEND
	;;#ASMSTART
	v_pk_mul_f16 v10, v44, v24;

	;;#ASMEND
	;; [unrolled: 4-line block ×4, first 2 shown]
	;;#ASMSTART
	v_pk_add_f16 v1, v1, v10;

	;;#ASMEND
	;;#ASMSTART
	v_pk_add_f16 v1, v1, v18;

	;;#ASMEND
	;; [unrolled: 4-line block ×3, first 2 shown]
	v_and_b32_e32 v10, 0xffff, v1
	v_dual_lshrrev_b32 v1, 16, v1 :: v_dual_mov_b32 v19, 0
	;;#ASMSTART
	v_cvt_f32_f16 v50, v10;
	;;#ASMEND
	;;#ASMSTART
	v_cvt_f32_f16 v51, v1;
	;;#ASMEND
	global_load_b64 v[20:21], v[16:17], off offset:768
	v_mov_b32_e32 v1, 0
	s_mov_b32 s14, exec_lo
	global_load_b32 v18, v1, s[10:11]
	s_wait_loadcnt 0x1
	v_and_b32_e32 v10, 0xff, v20
	s_wait_xcnt 0x0
	s_delay_alu instid0(VALU_DEP_1)
	v_cmpx_ne_u16_e32 0, v10
	s_cbranch_execz .LBB251_758
; %bb.751:                              ;   in Loop: Header=BB251_552 Depth=1
	v_mov_b32_e32 v19, 0x8000
	s_mov_b32 s15, exec_lo
	v_cmpx_ne_u16_e32 0x80, v10
	s_cbranch_execz .LBB251_757
; %bb.752:                              ;   in Loop: Header=BB251_552 Depth=1
	v_and_b32_e32 v22, 0x7f, v20
	v_mov_b32_e32 v19, 0x7c01
	s_mov_b32 s16, exec_lo
	s_delay_alu instid0(VALU_DEP_2)
	v_cmpx_ne_u32_e32 0x7f, v22
	s_cbranch_execz .LBB251_756
; %bb.753:                              ;   in Loop: Header=BB251_552 Depth=1
	v_dual_lshrrev_b32 v19, 3, v22 :: v_dual_bitop2_b32 v10, 7, v20 bitop3:0x40
	s_mov_b32 s17, exec_lo
	v_cmpx_gt_u32_e32 8, v22
; %bb.754:                              ;   in Loop: Header=BB251_552 Depth=1
	s_delay_alu instid0(VALU_DEP_2) | instskip(NEXT) | instid1(VALU_DEP_1)
	v_clz_i32_u32_e32 v10, v10
	v_min_u32_e32 v10, 32, v10
	s_delay_alu instid0(VALU_DEP_1) | instskip(NEXT) | instid1(VALU_DEP_1)
	v_subrev_nc_u32_e32 v19, 28, v10
	v_lshlrev_b64_e32 v[22:23], v19, v[20:21]
	v_sub_nc_u32_e32 v19, 29, v10
	s_delay_alu instid0(VALU_DEP_2)
	v_and_b32_e32 v10, 7, v22
; %bb.755:                              ;   in Loop: Header=BB251_552 Depth=1
	s_or_b32 exec_lo, exec_lo, s17
	s_delay_alu instid0(VALU_DEP_1) | instskip(NEXT) | instid1(VALU_DEP_3)
	v_dual_lshlrev_b32 v22, 8, v20 :: v_dual_lshlrev_b32 v10, 7, v10
	v_lshl_add_u32 v19, v19, 10, 0x2000
	s_delay_alu instid0(VALU_DEP_2) | instskip(NEXT) | instid1(VALU_DEP_2)
	v_and_b32_e32 v22, 0x8000, v22
	v_and_b32_e32 v19, 0xfc00, v19
	s_delay_alu instid0(VALU_DEP_1)
	v_or3_b32 v19, v22, v19, v10
.LBB251_756:                            ;   in Loop: Header=BB251_552 Depth=1
	s_or_b32 exec_lo, exec_lo, s16
.LBB251_757:                            ;   in Loop: Header=BB251_552 Depth=1
	s_delay_alu instid0(SALU_CYCLE_1)
	s_or_b32 exec_lo, exec_lo, s15
.LBB251_758:                            ;   in Loop: Header=BB251_552 Depth=1
	s_delay_alu instid0(SALU_CYCLE_1) | instskip(SKIP_2) | instid1(VALU_DEP_1)
	s_or_b32 exec_lo, exec_lo, s14
	v_lshrrev_b16 v10, 8, v20
	s_mov_b32 s14, exec_lo
	v_cmpx_ne_u16_e32 0, v10
	s_cbranch_execz .LBB251_766
; %bb.759:                              ;   in Loop: Header=BB251_552 Depth=1
	v_bfrev_b32_e32 v1, 1
	s_mov_b32 s15, exec_lo
	v_cmpx_ne_u16_e32 0x80, v10
	s_cbranch_execz .LBB251_765
; %bb.760:                              ;   in Loop: Header=BB251_552 Depth=1
	v_and_b32_e32 v22, 0xffff, v10
	v_mov_b32_e32 v1, 0x7c010000
	s_mov_b32 s16, exec_lo
	s_delay_alu instid0(VALU_DEP_2) | instskip(NEXT) | instid1(VALU_DEP_1)
	v_and_b32_e32 v24, 0x7f, v22
	v_cmpx_ne_u32_e32 0x7f, v24
	s_cbranch_execz .LBB251_764
; %bb.761:                              ;   in Loop: Header=BB251_552 Depth=1
	v_dual_lshrrev_b32 v23, 3, v24 :: v_dual_bitop2_b32 v1, 7, v22 bitop3:0x40
	s_mov_b32 s17, exec_lo
	v_cmpx_gt_u32_e32 8, v24
; %bb.762:                              ;   in Loop: Header=BB251_552 Depth=1
	s_delay_alu instid0(VALU_DEP_2) | instskip(NEXT) | instid1(VALU_DEP_1)
	v_clz_i32_u32_e32 v1, v1
	v_min_u32_e32 v1, 32, v1
	s_delay_alu instid0(VALU_DEP_1) | instskip(NEXT) | instid1(VALU_DEP_1)
	v_subrev_nc_u32_e32 v23, 28, v1
	v_lshlrev_b64_e32 v[24:25], v23, v[10:11]
	s_delay_alu instid0(VALU_DEP_1)
	v_dual_sub_nc_u32 v23, 29, v1 :: v_dual_bitop2_b32 v1, 7, v24 bitop3:0x40
; %bb.763:                              ;   in Loop: Header=BB251_552 Depth=1
	s_or_b32 exec_lo, exec_lo, s17
	s_delay_alu instid0(VALU_DEP_1) | instskip(NEXT) | instid1(VALU_DEP_2)
	v_dual_lshlrev_b32 v10, 8, v22 :: v_dual_lshlrev_b32 v1, 23, v1
	v_lshl_add_u32 v22, v23, 10, 0x2000
	s_delay_alu instid0(VALU_DEP_1) | instskip(NEXT) | instid1(VALU_DEP_1)
	v_and_or_b32 v10, 0x8000, v10, v22
	v_lshl_or_b32 v1, v10, 16, v1
.LBB251_764:                            ;   in Loop: Header=BB251_552 Depth=1
	s_or_b32 exec_lo, exec_lo, s16
.LBB251_765:                            ;   in Loop: Header=BB251_552 Depth=1
	s_delay_alu instid0(SALU_CYCLE_1)
	s_or_b32 exec_lo, exec_lo, s15
.LBB251_766:                            ;   in Loop: Header=BB251_552 Depth=1
	s_delay_alu instid0(SALU_CYCLE_1) | instskip(SKIP_3) | instid1(VALU_DEP_2)
	s_or_b32 exec_lo, exec_lo, s14
	v_dual_lshrrev_b32 v10, 16, v20 :: v_dual_mov_b32 v22, 0
	v_mov_b32_e32 v23, 0
	s_mov_b32 s14, exec_lo
	v_and_b32_e32 v24, 0xff, v10
	s_delay_alu instid0(VALU_DEP_1)
	v_cmpx_ne_u16_e32 0, v24
	s_cbranch_execz .LBB251_774
; %bb.767:                              ;   in Loop: Header=BB251_552 Depth=1
	v_mov_b32_e32 v23, 0x8000
	s_mov_b32 s15, exec_lo
	v_cmpx_ne_u16_e32 0x80, v24
	s_cbranch_execz .LBB251_773
; %bb.768:                              ;   in Loop: Header=BB251_552 Depth=1
	v_bfe_u32 v25, v20, 16, 7
	v_mov_b32_e32 v23, 0x7c01
	s_mov_b32 s16, exec_lo
	s_delay_alu instid0(VALU_DEP_2)
	v_cmpx_ne_u32_e32 0x7f, v25
	s_cbranch_execz .LBB251_772
; %bb.769:                              ;   in Loop: Header=BB251_552 Depth=1
	v_dual_lshrrev_b32 v24, 3, v25 :: v_dual_bitop2_b32 v23, 7, v10 bitop3:0x40
	s_mov_b32 s17, exec_lo
	v_cmpx_gt_u32_e32 8, v25
; %bb.770:                              ;   in Loop: Header=BB251_552 Depth=1
	s_delay_alu instid0(VALU_DEP_2) | instskip(NEXT) | instid1(VALU_DEP_1)
	v_clz_i32_u32_e32 v23, v23
	v_min_u32_e32 v23, 32, v23
	s_delay_alu instid0(VALU_DEP_1) | instskip(NEXT) | instid1(VALU_DEP_1)
	v_subrev_nc_u32_e32 v24, 28, v23
	v_lshlrev_b64_e32 v[26:27], v24, v[10:11]
	s_delay_alu instid0(VALU_DEP_1)
	v_dual_sub_nc_u32 v24, 29, v23 :: v_dual_bitop2_b32 v23, 7, v26 bitop3:0x40
; %bb.771:                              ;   in Loop: Header=BB251_552 Depth=1
	s_or_b32 exec_lo, exec_lo, s17
	s_delay_alu instid0(VALU_DEP_1) | instskip(NEXT) | instid1(VALU_DEP_2)
	v_dual_lshlrev_b32 v10, 8, v10 :: v_dual_lshlrev_b32 v23, 7, v23
	v_lshl_add_u32 v24, v24, 10, 0x2000
	s_delay_alu instid0(VALU_DEP_2) | instskip(NEXT) | instid1(VALU_DEP_2)
	v_and_b32_e32 v10, 0x8000, v10
	v_and_b32_e32 v24, 0xfc00, v24
	s_delay_alu instid0(VALU_DEP_1)
	v_or3_b32 v23, v10, v24, v23
.LBB251_772:                            ;   in Loop: Header=BB251_552 Depth=1
	s_or_b32 exec_lo, exec_lo, s16
.LBB251_773:                            ;   in Loop: Header=BB251_552 Depth=1
	s_delay_alu instid0(SALU_CYCLE_1)
	s_or_b32 exec_lo, exec_lo, s15
.LBB251_774:                            ;   in Loop: Header=BB251_552 Depth=1
	s_delay_alu instid0(SALU_CYCLE_1) | instskip(NEXT) | instid1(SALU_CYCLE_1)
	s_or_b32 exec_lo, exec_lo, s14
	s_mov_b32 s14, exec_lo
	v_cmpx_lt_u32_e32 0xffffff, v20
	s_cbranch_execz .LBB251_782
; %bb.775:                              ;   in Loop: Header=BB251_552 Depth=1
	v_lshrrev_b32_e32 v10, 24, v20
	v_bfrev_b32_e32 v22, 1
	s_mov_b32 s15, exec_lo
	s_delay_alu instid0(VALU_DEP_2)
	v_cmpx_ne_u32_e32 0x80, v10
	s_cbranch_execz .LBB251_781
; %bb.776:                              ;   in Loop: Header=BB251_552 Depth=1
	v_and_b32_e32 v25, 0x7f, v10
	v_mov_b32_e32 v22, 0x7c010000
	s_mov_b32 s16, exec_lo
	s_delay_alu instid0(VALU_DEP_2)
	v_cmpx_ne_u32_e32 0x7f, v25
	s_cbranch_execz .LBB251_780
; %bb.777:                              ;   in Loop: Header=BB251_552 Depth=1
	v_dual_lshrrev_b32 v24, 3, v25 :: v_dual_bitop2_b32 v22, 7, v10 bitop3:0x40
	s_mov_b32 s17, exec_lo
	v_cmpx_gt_u32_e32 8, v25
; %bb.778:                              ;   in Loop: Header=BB251_552 Depth=1
	s_delay_alu instid0(VALU_DEP_2) | instskip(NEXT) | instid1(VALU_DEP_1)
	v_clz_i32_u32_e32 v22, v22
	v_min_u32_e32 v22, 32, v22
	s_delay_alu instid0(VALU_DEP_1) | instskip(NEXT) | instid1(VALU_DEP_1)
	v_subrev_nc_u32_e32 v24, 28, v22
	v_lshlrev_b64_e32 v[26:27], v24, v[10:11]
	v_sub_nc_u32_e32 v24, 29, v22
	s_delay_alu instid0(VALU_DEP_2)
	v_and_b32_e32 v22, 7, v26
; %bb.779:                              ;   in Loop: Header=BB251_552 Depth=1
	s_or_b32 exec_lo, exec_lo, s17
	v_lshlrev_b32_e32 v10, 8, v10
	s_delay_alu instid0(VALU_DEP_3) | instskip(NEXT) | instid1(VALU_DEP_3)
	v_lshl_add_u32 v24, v24, 10, 0x2000
	v_lshlrev_b32_e32 v22, 23, v22
	s_delay_alu instid0(VALU_DEP_2) | instskip(NEXT) | instid1(VALU_DEP_1)
	v_and_or_b32 v10, 0x8000, v10, v24
	v_lshl_or_b32 v22, v10, 16, v22
.LBB251_780:                            ;   in Loop: Header=BB251_552 Depth=1
	s_or_b32 exec_lo, exec_lo, s16
.LBB251_781:                            ;   in Loop: Header=BB251_552 Depth=1
	s_delay_alu instid0(SALU_CYCLE_1)
	s_or_b32 exec_lo, exec_lo, s15
.LBB251_782:                            ;   in Loop: Header=BB251_552 Depth=1
	s_delay_alu instid0(SALU_CYCLE_1) | instskip(SKIP_4) | instid1(VALU_DEP_3)
	s_or_b32 exec_lo, exec_lo, s14
	v_and_b32_e32 v26, 0xff, v21
	v_dual_mov_b32 v10, v21 :: v_dual_mov_b32 v25, 0
	v_mov_b32_e32 v24, 0
	s_mov_b32 s14, exec_lo
	v_cmpx_ne_u16_e32 0, v26
	s_cbranch_execz .LBB251_790
; %bb.783:                              ;   in Loop: Header=BB251_552 Depth=1
	v_mov_b32_e32 v24, 0x8000
	s_mov_b32 s15, exec_lo
	v_cmpx_ne_u16_e32 0x80, v26
	s_cbranch_execz .LBB251_789
; %bb.784:                              ;   in Loop: Header=BB251_552 Depth=1
	v_and_b32_e32 v27, 0x7f, v21
	v_mov_b32_e32 v24, 0x7c01
	s_mov_b32 s16, exec_lo
	s_delay_alu instid0(VALU_DEP_2)
	v_cmpx_ne_u32_e32 0x7f, v27
	s_cbranch_execz .LBB251_788
; %bb.785:                              ;   in Loop: Header=BB251_552 Depth=1
	v_dual_lshrrev_b32 v26, 3, v27 :: v_dual_bitop2_b32 v24, 7, v21 bitop3:0x40
	s_mov_b32 s17, exec_lo
	v_cmpx_gt_u32_e32 8, v27
; %bb.786:                              ;   in Loop: Header=BB251_552 Depth=1
	s_delay_alu instid0(VALU_DEP_2) | instskip(NEXT) | instid1(VALU_DEP_1)
	v_clz_i32_u32_e32 v24, v24
	v_min_u32_e32 v24, 32, v24
	s_delay_alu instid0(VALU_DEP_1) | instskip(NEXT) | instid1(VALU_DEP_1)
	v_subrev_nc_u32_e32 v26, 28, v24
	v_lshlrev_b64_e32 v[40:41], v26, v[10:11]
	v_sub_nc_u32_e32 v26, 29, v24
	s_delay_alu instid0(VALU_DEP_2)
	v_and_b32_e32 v24, 7, v40
; %bb.787:                              ;   in Loop: Header=BB251_552 Depth=1
	s_or_b32 exec_lo, exec_lo, s17
	s_delay_alu instid0(VALU_DEP_1) | instskip(NEXT) | instid1(VALU_DEP_3)
	v_dual_lshlrev_b32 v27, 8, v21 :: v_dual_lshlrev_b32 v24, 7, v24
	v_lshl_add_u32 v26, v26, 10, 0x2000
	s_delay_alu instid0(VALU_DEP_2) | instskip(NEXT) | instid1(VALU_DEP_2)
	v_and_b32_e32 v27, 0x8000, v27
	v_and_b32_e32 v26, 0xfc00, v26
	s_delay_alu instid0(VALU_DEP_1)
	v_or3_b32 v24, v27, v26, v24
.LBB251_788:                            ;   in Loop: Header=BB251_552 Depth=1
	s_or_b32 exec_lo, exec_lo, s16
.LBB251_789:                            ;   in Loop: Header=BB251_552 Depth=1
	s_delay_alu instid0(SALU_CYCLE_1)
	s_or_b32 exec_lo, exec_lo, s15
.LBB251_790:                            ;   in Loop: Header=BB251_552 Depth=1
	s_delay_alu instid0(SALU_CYCLE_1) | instskip(SKIP_3) | instid1(VALU_DEP_2)
	s_or_b32 exec_lo, exec_lo, s14
	v_lshrrev_b16 v10, 8, v10
	v_mov_b32_e32 v26, 0
	s_mov_b32 s14, exec_lo
	v_cmpx_ne_u16_e32 0, v10
	s_cbranch_execz .LBB251_798
; %bb.791:                              ;   in Loop: Header=BB251_552 Depth=1
	v_bfrev_b32_e32 v26, 1
	s_mov_b32 s15, exec_lo
	v_cmpx_ne_u16_e32 0x80, v10
	s_cbranch_execz .LBB251_797
; %bb.792:                              ;   in Loop: Header=BB251_552 Depth=1
	v_and_b32_e32 v27, 0xffff, v10
	v_mov_b32_e32 v26, 0x7c010000
	s_mov_b32 s16, exec_lo
	s_delay_alu instid0(VALU_DEP_2) | instskip(NEXT) | instid1(VALU_DEP_1)
	v_and_b32_e32 v41, 0x7f, v27
	v_cmpx_ne_u32_e32 0x7f, v41
	s_cbranch_execz .LBB251_796
; %bb.793:                              ;   in Loop: Header=BB251_552 Depth=1
	v_dual_lshrrev_b32 v40, 3, v41 :: v_dual_bitop2_b32 v26, 7, v27 bitop3:0x40
	s_mov_b32 s17, exec_lo
	v_cmpx_gt_u32_e32 8, v41
; %bb.794:                              ;   in Loop: Header=BB251_552 Depth=1
	s_delay_alu instid0(VALU_DEP_2) | instskip(NEXT) | instid1(VALU_DEP_1)
	v_clz_i32_u32_e32 v26, v26
	v_min_u32_e32 v26, 32, v26
	s_delay_alu instid0(VALU_DEP_1) | instskip(NEXT) | instid1(VALU_DEP_1)
	v_subrev_nc_u32_e32 v40, 28, v26
	v_lshlrev_b64_e32 v[52:53], v40, v[10:11]
	s_delay_alu instid0(VALU_DEP_1)
	v_dual_sub_nc_u32 v40, 29, v26 :: v_dual_bitop2_b32 v26, 7, v52 bitop3:0x40
; %bb.795:                              ;   in Loop: Header=BB251_552 Depth=1
	s_or_b32 exec_lo, exec_lo, s17
	s_delay_alu instid0(VALU_DEP_1) | instskip(NEXT) | instid1(VALU_DEP_2)
	v_dual_lshlrev_b32 v10, 8, v27 :: v_dual_lshlrev_b32 v26, 23, v26
	v_lshl_add_u32 v27, v40, 10, 0x2000
	s_delay_alu instid0(VALU_DEP_1) | instskip(NEXT) | instid1(VALU_DEP_1)
	v_and_or_b32 v10, 0x8000, v10, v27
	v_lshl_or_b32 v26, v10, 16, v26
.LBB251_796:                            ;   in Loop: Header=BB251_552 Depth=1
	s_or_b32 exec_lo, exec_lo, s16
.LBB251_797:                            ;   in Loop: Header=BB251_552 Depth=1
	s_delay_alu instid0(SALU_CYCLE_1)
	s_or_b32 exec_lo, exec_lo, s15
.LBB251_798:                            ;   in Loop: Header=BB251_552 Depth=1
	s_delay_alu instid0(SALU_CYCLE_1) | instskip(SKIP_2) | instid1(VALU_DEP_1)
	s_or_b32 exec_lo, exec_lo, s14
	v_lshrrev_b32_e32 v10, 16, v21
	s_mov_b32 s14, exec_lo
	v_and_b32_e32 v27, 0xff, v10
	s_delay_alu instid0(VALU_DEP_1)
	v_cmpx_ne_u16_e32 0, v27
	s_cbranch_execz .LBB251_806
; %bb.799:                              ;   in Loop: Header=BB251_552 Depth=1
	v_mov_b32_e32 v25, 0x8000
	s_mov_b32 s15, exec_lo
	v_cmpx_ne_u16_e32 0x80, v27
	s_cbranch_execz .LBB251_805
; %bb.800:                              ;   in Loop: Header=BB251_552 Depth=1
	v_bfe_u32 v40, v21, 16, 7
	v_mov_b32_e32 v25, 0x7c01
	s_mov_b32 s16, exec_lo
	s_delay_alu instid0(VALU_DEP_2)
	v_cmpx_ne_u32_e32 0x7f, v40
	s_cbranch_execz .LBB251_804
; %bb.801:                              ;   in Loop: Header=BB251_552 Depth=1
	v_dual_lshrrev_b32 v27, 3, v40 :: v_dual_bitop2_b32 v25, 7, v10 bitop3:0x40
	s_mov_b32 s17, exec_lo
	v_cmpx_gt_u32_e32 8, v40
; %bb.802:                              ;   in Loop: Header=BB251_552 Depth=1
	s_delay_alu instid0(VALU_DEP_2) | instskip(NEXT) | instid1(VALU_DEP_1)
	v_clz_i32_u32_e32 v25, v25
	v_min_u32_e32 v25, 32, v25
	s_delay_alu instid0(VALU_DEP_1) | instskip(NEXT) | instid1(VALU_DEP_1)
	v_subrev_nc_u32_e32 v27, 28, v25
	v_lshlrev_b64_e32 v[40:41], v27, v[10:11]
	s_delay_alu instid0(VALU_DEP_1)
	v_dual_sub_nc_u32 v27, 29, v25 :: v_dual_bitop2_b32 v25, 7, v40 bitop3:0x40
; %bb.803:                              ;   in Loop: Header=BB251_552 Depth=1
	s_or_b32 exec_lo, exec_lo, s17
	s_delay_alu instid0(VALU_DEP_1) | instskip(NEXT) | instid1(VALU_DEP_2)
	v_dual_lshlrev_b32 v10, 8, v10 :: v_dual_lshlrev_b32 v25, 7, v25
	v_lshl_add_u32 v27, v27, 10, 0x2000
	s_delay_alu instid0(VALU_DEP_2) | instskip(NEXT) | instid1(VALU_DEP_2)
	v_and_b32_e32 v10, 0x8000, v10
	v_and_b32_e32 v27, 0xfc00, v27
	s_delay_alu instid0(VALU_DEP_1)
	v_or3_b32 v25, v10, v27, v25
.LBB251_804:                            ;   in Loop: Header=BB251_552 Depth=1
	s_or_b32 exec_lo, exec_lo, s16
.LBB251_805:                            ;   in Loop: Header=BB251_552 Depth=1
	s_delay_alu instid0(SALU_CYCLE_1)
	s_or_b32 exec_lo, exec_lo, s15
.LBB251_806:                            ;   in Loop: Header=BB251_552 Depth=1
	s_delay_alu instid0(SALU_CYCLE_1)
	s_or_b32 exec_lo, exec_lo, s14
	v_cmp_lt_u64_e64 s0, s[2:3], v[20:21]
	v_mov_b32_e32 v20, 0
	s_and_saveexec_b32 s14, s0
	s_cbranch_execz .LBB251_814
; %bb.807:                              ;   in Loop: Header=BB251_552 Depth=1
	v_lshrrev_b32_e32 v10, 24, v21
	v_bfrev_b32_e32 v20, 1
	s_mov_b32 s15, exec_lo
	s_delay_alu instid0(VALU_DEP_2)
	v_cmpx_ne_u32_e32 0x80, v10
	s_cbranch_execz .LBB251_813
; %bb.808:                              ;   in Loop: Header=BB251_552 Depth=1
	v_and_b32_e32 v27, 0x7f, v10
	v_mov_b32_e32 v20, 0x7c010000
	s_mov_b32 s16, exec_lo
	s_delay_alu instid0(VALU_DEP_2)
	v_cmpx_ne_u32_e32 0x7f, v27
	s_cbranch_execz .LBB251_812
; %bb.809:                              ;   in Loop: Header=BB251_552 Depth=1
	v_dual_lshrrev_b32 v21, 3, v27 :: v_dual_bitop2_b32 v20, 7, v10 bitop3:0x40
	s_mov_b32 s17, exec_lo
	v_cmpx_gt_u32_e32 8, v27
; %bb.810:                              ;   in Loop: Header=BB251_552 Depth=1
	s_delay_alu instid0(VALU_DEP_2) | instskip(NEXT) | instid1(VALU_DEP_1)
	v_clz_i32_u32_e32 v20, v20
	v_min_u32_e32 v27, 32, v20
	s_delay_alu instid0(VALU_DEP_1) | instskip(NEXT) | instid1(VALU_DEP_1)
	v_subrev_nc_u32_e32 v20, 28, v27
	v_lshlrev_b64_e32 v[20:21], v20, v[10:11]
	s_delay_alu instid0(VALU_DEP_1)
	v_dual_sub_nc_u32 v21, 29, v27 :: v_dual_bitop2_b32 v20, 7, v20 bitop3:0x40
; %bb.811:                              ;   in Loop: Header=BB251_552 Depth=1
	s_or_b32 exec_lo, exec_lo, s17
	s_delay_alu instid0(VALU_DEP_1) | instskip(NEXT) | instid1(VALU_DEP_2)
	v_dual_lshlrev_b32 v10, 8, v10 :: v_dual_lshlrev_b32 v20, 23, v20
	v_lshl_add_u32 v21, v21, 10, 0x2000
	s_delay_alu instid0(VALU_DEP_1) | instskip(NEXT) | instid1(VALU_DEP_1)
	v_and_or_b32 v10, 0x8000, v10, v21
	v_lshl_or_b32 v20, v10, 16, v20
.LBB251_812:                            ;   in Loop: Header=BB251_552 Depth=1
	s_or_b32 exec_lo, exec_lo, s16
.LBB251_813:                            ;   in Loop: Header=BB251_552 Depth=1
	s_delay_alu instid0(SALU_CYCLE_1)
	s_or_b32 exec_lo, exec_lo, s15
.LBB251_814:                            ;   in Loop: Header=BB251_552 Depth=1
	s_delay_alu instid0(SALU_CYCLE_1) | instskip(SKIP_3) | instid1(VALU_DEP_3)
	s_or_b32 exec_lo, exec_lo, s14
	v_dual_lshrrev_b32 v10, 16, v1 :: v_dual_lshrrev_b32 v21, 16, v22
	v_or_b32_e32 v1, v1, v19
	v_dual_lshrrev_b32 v27, 16, v20 :: v_dual_bitop2_b32 v19, v22, v23 bitop3:0x54
	v_cvt_f32_f16_e32 v23, v10
	s_delay_alu instid0(VALU_DEP_4) | instskip(SKIP_1) | instid1(VALU_DEP_4)
	v_cvt_f32_f16_e32 v22, v21
	v_dual_lshrrev_b32 v25, 16, v26 :: v_dual_bitop2_b32 v10, v20, v25 bitop3:0x54
	v_cvt_f32_f16_e32 v20, v19
	v_cvt_f32_f16_e32 v21, v1
	s_wait_loadcnt 0x0
	v_pk_mul_f32 v[22:23], v[18:19], v[22:23] op_sel_hi:[0,1]
	v_cvt_f32_f16_e32 v25, v25
	s_delay_alu instid0(VALU_DEP_2) | instskip(SKIP_3) | instid1(VALU_DEP_3)
	v_cvt_pk_f16_f32 v1, v22, v23
	v_or_b32_e32 v19, v26, v24
	v_cvt_f32_f16_e32 v24, v27
	v_cvt_f32_f16_e32 v26, v10
	v_pk_mul_f32 v[20:21], v[18:19], v[20:21] op_sel_hi:[0,1]
	s_delay_alu instid0(VALU_DEP_1) | instskip(SKIP_4) | instid1(VALU_DEP_3)
	v_cvt_pk_f16_f32 v10, v20, v21
	v_lshlrev_b32_e32 v20, 16, v1
	v_cvt_f32_f16_e32 v27, v19
	v_pk_mul_f32 v[22:23], v[18:19], v[24:25] op_sel_hi:[0,1]
	v_and_b32_e32 v21, 0xffff0000, v1
	v_pk_mul_f32 v[18:19], v[18:19], v[26:27] op_sel_hi:[0,1]
	s_delay_alu instid0(VALU_DEP_3) | instskip(SKIP_1) | instid1(VALU_DEP_3)
	v_cvt_pk_f16_f32 v22, v22, v23
	v_and_b32_e32 v26, 0xffff, v10
	v_cvt_pk_f16_f32 v18, v18, v19
	s_delay_alu instid0(VALU_DEP_3) | instskip(NEXT) | instid1(VALU_DEP_3)
	v_and_b32_e32 v1, 0xffff0000, v22
	v_or_b32_e32 v24, v20, v26
	s_delay_alu instid0(VALU_DEP_3) | instskip(SKIP_2) | instid1(VALU_DEP_3)
	v_lshrrev_b32_e32 v19, 16, v18
	v_lshrrev_b32_e32 v27, 16, v10
	v_and_b32_e32 v18, 0xffff, v18
	v_dual_lshlrev_b32 v10, 16, v22 :: v_dual_bitop2_b32 v23, v1, v19 bitop3:0x54
	s_delay_alu instid0(VALU_DEP_3) | instskip(NEXT) | instid1(VALU_DEP_2)
	v_or_b32_e32 v25, v21, v27
	v_or_b32_e32 v22, v10, v18
	s_and_saveexec_b32 s14, vcc_lo
	s_cbranch_execz .LBB251_816
; %bb.815:                              ;   in Loop: Header=BB251_552 Depth=1
	v_cmp_gt_i32_e64 s0, s9, v30
	s_delay_alu instid0(VALU_DEP_1) | instskip(SKIP_1) | instid1(VALU_DEP_1)
	v_cndmask_b32_e64 v22, 0, v27, s0
	v_cmp_gt_i32_e64 s0, s23, v39
	v_cndmask_b32_e64 v23, 0, v26, s0
	v_cmp_gt_i32_e64 s0, s9, v38
	s_delay_alu instid0(VALU_DEP_1) | instskip(SKIP_1) | instid1(VALU_DEP_1)
	v_cndmask_b32_e64 v21, 0, v21, s0
	v_cmp_gt_i32_e64 s0, s23, v37
	v_cndmask_b32_e64 v20, 0, v20, s0
	v_cmp_gt_i32_e64 s0, s9, v36
	s_delay_alu instid0(VALU_DEP_4) | instskip(NEXT) | instid1(VALU_DEP_3)
	v_or_b32_e32 v25, v21, v22
	v_or_b32_e32 v24, v20, v23
	s_delay_alu instid0(VALU_DEP_3) | instskip(SKIP_1) | instid1(VALU_DEP_1)
	v_cndmask_b32_e64 v19, 0, v19, s0
	v_cmp_gt_i32_e64 s0, s23, v35
	v_cndmask_b32_e64 v18, 0, v18, s0
	v_cmp_gt_i32_e64 s0, s9, v34
	s_delay_alu instid0(VALU_DEP_1) | instskip(SKIP_1) | instid1(VALU_DEP_1)
	v_cndmask_b32_e64 v1, 0, v1, s0
	v_cmp_gt_i32_e64 s0, s23, v33
	v_dual_cndmask_b32 v10, 0, v10, s0 :: v_dual_bitop2_b32 v23, v1, v19 bitop3:0x54
	s_delay_alu instid0(VALU_DEP_1)
	v_or_b32_e32 v22, v10, v18
.LBB251_816:                            ;   in Loop: Header=BB251_552 Depth=1
	s_or_b32 exec_lo, exec_lo, s14
	;;#ASMSTART
	v_pk_mul_f16 v1, v45, v25;

	;;#ASMEND
	;;#ASMSTART
	v_pk_mul_f16 v10, v44, v24;

	;;#ASMEND
	;; [unrolled: 4-line block ×4, first 2 shown]
	;;#ASMSTART
	v_pk_add_f16 v1, v1, v10;

	;;#ASMEND
	;;#ASMSTART
	v_pk_add_f16 v1, v1, v18;

	;;#ASMEND
	;;#ASMSTART
	v_pk_add_f16 v1, v1, v19;

	;;#ASMEND
	v_and_b32_e32 v10, 0xffff, v1
	v_dual_lshrrev_b32 v1, 16, v1 :: v_dual_mov_b32 v19, 0
	;;#ASMSTART
	v_cvt_f32_f16 v52, v10;
	;;#ASMEND
	;;#ASMSTART
	v_cvt_f32_f16 v53, v1;
	;;#ASMEND
	global_load_b64 v[20:21], v[16:17], off offset:1024
	v_mov_b32_e32 v1, 0
	s_mov_b32 s14, exec_lo
	global_load_b32 v18, v1, s[10:11]
	s_wait_loadcnt 0x1
	v_and_b32_e32 v10, 0xff, v20
	s_wait_xcnt 0x0
	s_delay_alu instid0(VALU_DEP_1)
	v_cmpx_ne_u16_e32 0, v10
	s_cbranch_execz .LBB251_824
; %bb.817:                              ;   in Loop: Header=BB251_552 Depth=1
	v_mov_b32_e32 v19, 0x8000
	s_mov_b32 s15, exec_lo
	v_cmpx_ne_u16_e32 0x80, v10
	s_cbranch_execz .LBB251_823
; %bb.818:                              ;   in Loop: Header=BB251_552 Depth=1
	v_and_b32_e32 v22, 0x7f, v20
	v_mov_b32_e32 v19, 0x7c01
	s_mov_b32 s16, exec_lo
	s_delay_alu instid0(VALU_DEP_2)
	v_cmpx_ne_u32_e32 0x7f, v22
	s_cbranch_execz .LBB251_822
; %bb.819:                              ;   in Loop: Header=BB251_552 Depth=1
	v_dual_lshrrev_b32 v19, 3, v22 :: v_dual_bitop2_b32 v10, 7, v20 bitop3:0x40
	s_mov_b32 s17, exec_lo
	v_cmpx_gt_u32_e32 8, v22
; %bb.820:                              ;   in Loop: Header=BB251_552 Depth=1
	s_delay_alu instid0(VALU_DEP_2) | instskip(NEXT) | instid1(VALU_DEP_1)
	v_clz_i32_u32_e32 v10, v10
	v_min_u32_e32 v10, 32, v10
	s_delay_alu instid0(VALU_DEP_1) | instskip(NEXT) | instid1(VALU_DEP_1)
	v_subrev_nc_u32_e32 v19, 28, v10
	v_lshlrev_b64_e32 v[22:23], v19, v[20:21]
	v_sub_nc_u32_e32 v19, 29, v10
	s_delay_alu instid0(VALU_DEP_2)
	v_and_b32_e32 v10, 7, v22
; %bb.821:                              ;   in Loop: Header=BB251_552 Depth=1
	s_or_b32 exec_lo, exec_lo, s17
	s_delay_alu instid0(VALU_DEP_1) | instskip(NEXT) | instid1(VALU_DEP_3)
	v_dual_lshlrev_b32 v22, 8, v20 :: v_dual_lshlrev_b32 v10, 7, v10
	v_lshl_add_u32 v19, v19, 10, 0x2000
	s_delay_alu instid0(VALU_DEP_2) | instskip(NEXT) | instid1(VALU_DEP_2)
	v_and_b32_e32 v22, 0x8000, v22
	v_and_b32_e32 v19, 0xfc00, v19
	s_delay_alu instid0(VALU_DEP_1)
	v_or3_b32 v19, v22, v19, v10
.LBB251_822:                            ;   in Loop: Header=BB251_552 Depth=1
	s_or_b32 exec_lo, exec_lo, s16
.LBB251_823:                            ;   in Loop: Header=BB251_552 Depth=1
	s_delay_alu instid0(SALU_CYCLE_1)
	s_or_b32 exec_lo, exec_lo, s15
.LBB251_824:                            ;   in Loop: Header=BB251_552 Depth=1
	s_delay_alu instid0(SALU_CYCLE_1) | instskip(SKIP_2) | instid1(VALU_DEP_1)
	s_or_b32 exec_lo, exec_lo, s14
	v_lshrrev_b16 v10, 8, v20
	s_mov_b32 s14, exec_lo
	v_cmpx_ne_u16_e32 0, v10
	s_cbranch_execz .LBB251_832
; %bb.825:                              ;   in Loop: Header=BB251_552 Depth=1
	v_bfrev_b32_e32 v1, 1
	s_mov_b32 s15, exec_lo
	v_cmpx_ne_u16_e32 0x80, v10
	s_cbranch_execz .LBB251_831
; %bb.826:                              ;   in Loop: Header=BB251_552 Depth=1
	v_and_b32_e32 v22, 0xffff, v10
	v_mov_b32_e32 v1, 0x7c010000
	s_mov_b32 s16, exec_lo
	s_delay_alu instid0(VALU_DEP_2) | instskip(NEXT) | instid1(VALU_DEP_1)
	v_and_b32_e32 v24, 0x7f, v22
	v_cmpx_ne_u32_e32 0x7f, v24
	s_cbranch_execz .LBB251_830
; %bb.827:                              ;   in Loop: Header=BB251_552 Depth=1
	v_dual_lshrrev_b32 v23, 3, v24 :: v_dual_bitop2_b32 v1, 7, v22 bitop3:0x40
	s_mov_b32 s17, exec_lo
	v_cmpx_gt_u32_e32 8, v24
; %bb.828:                              ;   in Loop: Header=BB251_552 Depth=1
	s_delay_alu instid0(VALU_DEP_2) | instskip(NEXT) | instid1(VALU_DEP_1)
	v_clz_i32_u32_e32 v1, v1
	v_min_u32_e32 v1, 32, v1
	s_delay_alu instid0(VALU_DEP_1) | instskip(NEXT) | instid1(VALU_DEP_1)
	v_subrev_nc_u32_e32 v23, 28, v1
	v_lshlrev_b64_e32 v[24:25], v23, v[10:11]
	s_delay_alu instid0(VALU_DEP_1)
	v_dual_sub_nc_u32 v23, 29, v1 :: v_dual_bitop2_b32 v1, 7, v24 bitop3:0x40
; %bb.829:                              ;   in Loop: Header=BB251_552 Depth=1
	s_or_b32 exec_lo, exec_lo, s17
	s_delay_alu instid0(VALU_DEP_1) | instskip(NEXT) | instid1(VALU_DEP_2)
	v_dual_lshlrev_b32 v10, 8, v22 :: v_dual_lshlrev_b32 v1, 23, v1
	v_lshl_add_u32 v22, v23, 10, 0x2000
	s_delay_alu instid0(VALU_DEP_1) | instskip(NEXT) | instid1(VALU_DEP_1)
	v_and_or_b32 v10, 0x8000, v10, v22
	v_lshl_or_b32 v1, v10, 16, v1
.LBB251_830:                            ;   in Loop: Header=BB251_552 Depth=1
	s_or_b32 exec_lo, exec_lo, s16
.LBB251_831:                            ;   in Loop: Header=BB251_552 Depth=1
	s_delay_alu instid0(SALU_CYCLE_1)
	s_or_b32 exec_lo, exec_lo, s15
.LBB251_832:                            ;   in Loop: Header=BB251_552 Depth=1
	s_delay_alu instid0(SALU_CYCLE_1) | instskip(SKIP_3) | instid1(VALU_DEP_2)
	s_or_b32 exec_lo, exec_lo, s14
	v_dual_lshrrev_b32 v10, 16, v20 :: v_dual_mov_b32 v22, 0
	v_mov_b32_e32 v23, 0
	s_mov_b32 s14, exec_lo
	v_and_b32_e32 v24, 0xff, v10
	s_delay_alu instid0(VALU_DEP_1)
	v_cmpx_ne_u16_e32 0, v24
	s_cbranch_execz .LBB251_840
; %bb.833:                              ;   in Loop: Header=BB251_552 Depth=1
	v_mov_b32_e32 v23, 0x8000
	s_mov_b32 s15, exec_lo
	v_cmpx_ne_u16_e32 0x80, v24
	s_cbranch_execz .LBB251_839
; %bb.834:                              ;   in Loop: Header=BB251_552 Depth=1
	v_bfe_u32 v25, v20, 16, 7
	v_mov_b32_e32 v23, 0x7c01
	s_mov_b32 s16, exec_lo
	s_delay_alu instid0(VALU_DEP_2)
	v_cmpx_ne_u32_e32 0x7f, v25
	s_cbranch_execz .LBB251_838
; %bb.835:                              ;   in Loop: Header=BB251_552 Depth=1
	v_dual_lshrrev_b32 v24, 3, v25 :: v_dual_bitop2_b32 v23, 7, v10 bitop3:0x40
	s_mov_b32 s17, exec_lo
	v_cmpx_gt_u32_e32 8, v25
; %bb.836:                              ;   in Loop: Header=BB251_552 Depth=1
	s_delay_alu instid0(VALU_DEP_2) | instskip(NEXT) | instid1(VALU_DEP_1)
	v_clz_i32_u32_e32 v23, v23
	v_min_u32_e32 v23, 32, v23
	s_delay_alu instid0(VALU_DEP_1) | instskip(NEXT) | instid1(VALU_DEP_1)
	v_subrev_nc_u32_e32 v24, 28, v23
	v_lshlrev_b64_e32 v[26:27], v24, v[10:11]
	s_delay_alu instid0(VALU_DEP_1)
	v_dual_sub_nc_u32 v24, 29, v23 :: v_dual_bitop2_b32 v23, 7, v26 bitop3:0x40
; %bb.837:                              ;   in Loop: Header=BB251_552 Depth=1
	s_or_b32 exec_lo, exec_lo, s17
	s_delay_alu instid0(VALU_DEP_1) | instskip(NEXT) | instid1(VALU_DEP_2)
	v_dual_lshlrev_b32 v10, 8, v10 :: v_dual_lshlrev_b32 v23, 7, v23
	v_lshl_add_u32 v24, v24, 10, 0x2000
	s_delay_alu instid0(VALU_DEP_2) | instskip(NEXT) | instid1(VALU_DEP_2)
	v_and_b32_e32 v10, 0x8000, v10
	v_and_b32_e32 v24, 0xfc00, v24
	s_delay_alu instid0(VALU_DEP_1)
	v_or3_b32 v23, v10, v24, v23
.LBB251_838:                            ;   in Loop: Header=BB251_552 Depth=1
	s_or_b32 exec_lo, exec_lo, s16
.LBB251_839:                            ;   in Loop: Header=BB251_552 Depth=1
	s_delay_alu instid0(SALU_CYCLE_1)
	s_or_b32 exec_lo, exec_lo, s15
.LBB251_840:                            ;   in Loop: Header=BB251_552 Depth=1
	s_delay_alu instid0(SALU_CYCLE_1) | instskip(NEXT) | instid1(SALU_CYCLE_1)
	s_or_b32 exec_lo, exec_lo, s14
	s_mov_b32 s14, exec_lo
	v_cmpx_lt_u32_e32 0xffffff, v20
	s_cbranch_execz .LBB251_848
; %bb.841:                              ;   in Loop: Header=BB251_552 Depth=1
	v_lshrrev_b32_e32 v10, 24, v20
	v_bfrev_b32_e32 v22, 1
	s_mov_b32 s15, exec_lo
	s_delay_alu instid0(VALU_DEP_2)
	v_cmpx_ne_u32_e32 0x80, v10
	s_cbranch_execz .LBB251_847
; %bb.842:                              ;   in Loop: Header=BB251_552 Depth=1
	v_and_b32_e32 v25, 0x7f, v10
	v_mov_b32_e32 v22, 0x7c010000
	s_mov_b32 s16, exec_lo
	s_delay_alu instid0(VALU_DEP_2)
	v_cmpx_ne_u32_e32 0x7f, v25
	s_cbranch_execz .LBB251_846
; %bb.843:                              ;   in Loop: Header=BB251_552 Depth=1
	v_dual_lshrrev_b32 v24, 3, v25 :: v_dual_bitop2_b32 v22, 7, v10 bitop3:0x40
	s_mov_b32 s17, exec_lo
	v_cmpx_gt_u32_e32 8, v25
; %bb.844:                              ;   in Loop: Header=BB251_552 Depth=1
	s_delay_alu instid0(VALU_DEP_2) | instskip(NEXT) | instid1(VALU_DEP_1)
	v_clz_i32_u32_e32 v22, v22
	v_min_u32_e32 v22, 32, v22
	s_delay_alu instid0(VALU_DEP_1) | instskip(NEXT) | instid1(VALU_DEP_1)
	v_subrev_nc_u32_e32 v24, 28, v22
	v_lshlrev_b64_e32 v[26:27], v24, v[10:11]
	v_sub_nc_u32_e32 v24, 29, v22
	s_delay_alu instid0(VALU_DEP_2)
	v_and_b32_e32 v22, 7, v26
; %bb.845:                              ;   in Loop: Header=BB251_552 Depth=1
	s_or_b32 exec_lo, exec_lo, s17
	v_lshlrev_b32_e32 v10, 8, v10
	s_delay_alu instid0(VALU_DEP_3) | instskip(NEXT) | instid1(VALU_DEP_3)
	v_lshl_add_u32 v24, v24, 10, 0x2000
	v_lshlrev_b32_e32 v22, 23, v22
	s_delay_alu instid0(VALU_DEP_2) | instskip(NEXT) | instid1(VALU_DEP_1)
	v_and_or_b32 v10, 0x8000, v10, v24
	v_lshl_or_b32 v22, v10, 16, v22
.LBB251_846:                            ;   in Loop: Header=BB251_552 Depth=1
	s_or_b32 exec_lo, exec_lo, s16
.LBB251_847:                            ;   in Loop: Header=BB251_552 Depth=1
	s_delay_alu instid0(SALU_CYCLE_1)
	s_or_b32 exec_lo, exec_lo, s15
.LBB251_848:                            ;   in Loop: Header=BB251_552 Depth=1
	s_delay_alu instid0(SALU_CYCLE_1) | instskip(SKIP_4) | instid1(VALU_DEP_3)
	s_or_b32 exec_lo, exec_lo, s14
	v_and_b32_e32 v26, 0xff, v21
	v_dual_mov_b32 v10, v21 :: v_dual_mov_b32 v25, 0
	v_mov_b32_e32 v24, 0
	s_mov_b32 s14, exec_lo
	v_cmpx_ne_u16_e32 0, v26
	s_cbranch_execz .LBB251_856
; %bb.849:                              ;   in Loop: Header=BB251_552 Depth=1
	v_mov_b32_e32 v24, 0x8000
	s_mov_b32 s15, exec_lo
	v_cmpx_ne_u16_e32 0x80, v26
	s_cbranch_execz .LBB251_855
; %bb.850:                              ;   in Loop: Header=BB251_552 Depth=1
	v_and_b32_e32 v27, 0x7f, v21
	v_mov_b32_e32 v24, 0x7c01
	s_mov_b32 s16, exec_lo
	s_delay_alu instid0(VALU_DEP_2)
	v_cmpx_ne_u32_e32 0x7f, v27
	s_cbranch_execz .LBB251_854
; %bb.851:                              ;   in Loop: Header=BB251_552 Depth=1
	v_dual_lshrrev_b32 v26, 3, v27 :: v_dual_bitop2_b32 v24, 7, v21 bitop3:0x40
	s_mov_b32 s17, exec_lo
	v_cmpx_gt_u32_e32 8, v27
; %bb.852:                              ;   in Loop: Header=BB251_552 Depth=1
	s_delay_alu instid0(VALU_DEP_2) | instskip(NEXT) | instid1(VALU_DEP_1)
	v_clz_i32_u32_e32 v24, v24
	v_min_u32_e32 v24, 32, v24
	s_delay_alu instid0(VALU_DEP_1) | instskip(NEXT) | instid1(VALU_DEP_1)
	v_subrev_nc_u32_e32 v26, 28, v24
	v_lshlrev_b64_e32 v[40:41], v26, v[10:11]
	v_sub_nc_u32_e32 v26, 29, v24
	s_delay_alu instid0(VALU_DEP_2)
	v_and_b32_e32 v24, 7, v40
; %bb.853:                              ;   in Loop: Header=BB251_552 Depth=1
	s_or_b32 exec_lo, exec_lo, s17
	s_delay_alu instid0(VALU_DEP_1) | instskip(NEXT) | instid1(VALU_DEP_3)
	v_dual_lshlrev_b32 v27, 8, v21 :: v_dual_lshlrev_b32 v24, 7, v24
	v_lshl_add_u32 v26, v26, 10, 0x2000
	s_delay_alu instid0(VALU_DEP_2) | instskip(NEXT) | instid1(VALU_DEP_2)
	v_and_b32_e32 v27, 0x8000, v27
	v_and_b32_e32 v26, 0xfc00, v26
	s_delay_alu instid0(VALU_DEP_1)
	v_or3_b32 v24, v27, v26, v24
.LBB251_854:                            ;   in Loop: Header=BB251_552 Depth=1
	s_or_b32 exec_lo, exec_lo, s16
.LBB251_855:                            ;   in Loop: Header=BB251_552 Depth=1
	s_delay_alu instid0(SALU_CYCLE_1)
	s_or_b32 exec_lo, exec_lo, s15
.LBB251_856:                            ;   in Loop: Header=BB251_552 Depth=1
	s_delay_alu instid0(SALU_CYCLE_1) | instskip(SKIP_3) | instid1(VALU_DEP_2)
	s_or_b32 exec_lo, exec_lo, s14
	v_lshrrev_b16 v10, 8, v10
	v_mov_b32_e32 v26, 0
	s_mov_b32 s14, exec_lo
	v_cmpx_ne_u16_e32 0, v10
	s_cbranch_execz .LBB251_864
; %bb.857:                              ;   in Loop: Header=BB251_552 Depth=1
	v_bfrev_b32_e32 v26, 1
	s_mov_b32 s15, exec_lo
	v_cmpx_ne_u16_e32 0x80, v10
	s_cbranch_execz .LBB251_863
; %bb.858:                              ;   in Loop: Header=BB251_552 Depth=1
	v_and_b32_e32 v27, 0xffff, v10
	v_mov_b32_e32 v26, 0x7c010000
	s_mov_b32 s16, exec_lo
	s_delay_alu instid0(VALU_DEP_2) | instskip(NEXT) | instid1(VALU_DEP_1)
	v_and_b32_e32 v41, 0x7f, v27
	v_cmpx_ne_u32_e32 0x7f, v41
	s_cbranch_execz .LBB251_862
; %bb.859:                              ;   in Loop: Header=BB251_552 Depth=1
	v_dual_lshrrev_b32 v40, 3, v41 :: v_dual_bitop2_b32 v26, 7, v27 bitop3:0x40
	s_mov_b32 s17, exec_lo
	v_cmpx_gt_u32_e32 8, v41
; %bb.860:                              ;   in Loop: Header=BB251_552 Depth=1
	s_delay_alu instid0(VALU_DEP_2) | instskip(NEXT) | instid1(VALU_DEP_1)
	v_clz_i32_u32_e32 v26, v26
	v_min_u32_e32 v26, 32, v26
	s_delay_alu instid0(VALU_DEP_1) | instskip(NEXT) | instid1(VALU_DEP_1)
	v_subrev_nc_u32_e32 v40, 28, v26
	v_lshlrev_b64_e32 v[54:55], v40, v[10:11]
	v_sub_nc_u32_e32 v40, 29, v26
	s_delay_alu instid0(VALU_DEP_2)
	v_and_b32_e32 v26, 7, v54
; %bb.861:                              ;   in Loop: Header=BB251_552 Depth=1
	s_or_b32 exec_lo, exec_lo, s17
	s_delay_alu instid0(VALU_DEP_1) | instskip(NEXT) | instid1(VALU_DEP_3)
	v_dual_lshlrev_b32 v10, 8, v27 :: v_dual_lshlrev_b32 v26, 23, v26
	v_lshl_add_u32 v27, v40, 10, 0x2000
	s_delay_alu instid0(VALU_DEP_1) | instskip(NEXT) | instid1(VALU_DEP_1)
	v_and_or_b32 v10, 0x8000, v10, v27
	v_lshl_or_b32 v26, v10, 16, v26
.LBB251_862:                            ;   in Loop: Header=BB251_552 Depth=1
	s_or_b32 exec_lo, exec_lo, s16
.LBB251_863:                            ;   in Loop: Header=BB251_552 Depth=1
	s_delay_alu instid0(SALU_CYCLE_1)
	s_or_b32 exec_lo, exec_lo, s15
.LBB251_864:                            ;   in Loop: Header=BB251_552 Depth=1
	s_delay_alu instid0(SALU_CYCLE_1) | instskip(SKIP_2) | instid1(VALU_DEP_1)
	s_or_b32 exec_lo, exec_lo, s14
	v_lshrrev_b32_e32 v10, 16, v21
	s_mov_b32 s14, exec_lo
	v_and_b32_e32 v27, 0xff, v10
	s_delay_alu instid0(VALU_DEP_1)
	v_cmpx_ne_u16_e32 0, v27
	s_cbranch_execz .LBB251_872
; %bb.865:                              ;   in Loop: Header=BB251_552 Depth=1
	v_mov_b32_e32 v25, 0x8000
	s_mov_b32 s15, exec_lo
	v_cmpx_ne_u16_e32 0x80, v27
	s_cbranch_execz .LBB251_871
; %bb.866:                              ;   in Loop: Header=BB251_552 Depth=1
	v_bfe_u32 v40, v21, 16, 7
	v_mov_b32_e32 v25, 0x7c01
	s_mov_b32 s16, exec_lo
	s_delay_alu instid0(VALU_DEP_2)
	v_cmpx_ne_u32_e32 0x7f, v40
	s_cbranch_execz .LBB251_870
; %bb.867:                              ;   in Loop: Header=BB251_552 Depth=1
	v_dual_lshrrev_b32 v27, 3, v40 :: v_dual_bitop2_b32 v25, 7, v10 bitop3:0x40
	s_mov_b32 s17, exec_lo
	v_cmpx_gt_u32_e32 8, v40
; %bb.868:                              ;   in Loop: Header=BB251_552 Depth=1
	s_delay_alu instid0(VALU_DEP_2) | instskip(NEXT) | instid1(VALU_DEP_1)
	v_clz_i32_u32_e32 v25, v25
	v_min_u32_e32 v25, 32, v25
	s_delay_alu instid0(VALU_DEP_1) | instskip(NEXT) | instid1(VALU_DEP_1)
	v_subrev_nc_u32_e32 v27, 28, v25
	v_lshlrev_b64_e32 v[40:41], v27, v[10:11]
	s_delay_alu instid0(VALU_DEP_1)
	v_dual_sub_nc_u32 v27, 29, v25 :: v_dual_bitop2_b32 v25, 7, v40 bitop3:0x40
; %bb.869:                              ;   in Loop: Header=BB251_552 Depth=1
	s_or_b32 exec_lo, exec_lo, s17
	s_delay_alu instid0(VALU_DEP_1) | instskip(NEXT) | instid1(VALU_DEP_2)
	v_dual_lshlrev_b32 v10, 8, v10 :: v_dual_lshlrev_b32 v25, 7, v25
	v_lshl_add_u32 v27, v27, 10, 0x2000
	s_delay_alu instid0(VALU_DEP_2) | instskip(NEXT) | instid1(VALU_DEP_2)
	v_and_b32_e32 v10, 0x8000, v10
	v_and_b32_e32 v27, 0xfc00, v27
	s_delay_alu instid0(VALU_DEP_1)
	v_or3_b32 v25, v10, v27, v25
.LBB251_870:                            ;   in Loop: Header=BB251_552 Depth=1
	s_or_b32 exec_lo, exec_lo, s16
.LBB251_871:                            ;   in Loop: Header=BB251_552 Depth=1
	s_delay_alu instid0(SALU_CYCLE_1)
	s_or_b32 exec_lo, exec_lo, s15
.LBB251_872:                            ;   in Loop: Header=BB251_552 Depth=1
	s_delay_alu instid0(SALU_CYCLE_1)
	s_or_b32 exec_lo, exec_lo, s14
	v_cmp_lt_u64_e64 s0, s[2:3], v[20:21]
	v_mov_b32_e32 v20, 0
	s_and_saveexec_b32 s14, s0
	s_cbranch_execz .LBB251_880
; %bb.873:                              ;   in Loop: Header=BB251_552 Depth=1
	v_lshrrev_b32_e32 v10, 24, v21
	v_bfrev_b32_e32 v20, 1
	s_mov_b32 s15, exec_lo
	s_delay_alu instid0(VALU_DEP_2)
	v_cmpx_ne_u32_e32 0x80, v10
	s_cbranch_execz .LBB251_879
; %bb.874:                              ;   in Loop: Header=BB251_552 Depth=1
	v_and_b32_e32 v27, 0x7f, v10
	v_mov_b32_e32 v20, 0x7c010000
	s_mov_b32 s16, exec_lo
	s_delay_alu instid0(VALU_DEP_2)
	v_cmpx_ne_u32_e32 0x7f, v27
	s_cbranch_execz .LBB251_878
; %bb.875:                              ;   in Loop: Header=BB251_552 Depth=1
	v_dual_lshrrev_b32 v21, 3, v27 :: v_dual_bitop2_b32 v20, 7, v10 bitop3:0x40
	s_mov_b32 s17, exec_lo
	v_cmpx_gt_u32_e32 8, v27
; %bb.876:                              ;   in Loop: Header=BB251_552 Depth=1
	s_delay_alu instid0(VALU_DEP_2) | instskip(NEXT) | instid1(VALU_DEP_1)
	v_clz_i32_u32_e32 v20, v20
	v_min_u32_e32 v27, 32, v20
	s_delay_alu instid0(VALU_DEP_1) | instskip(NEXT) | instid1(VALU_DEP_1)
	v_subrev_nc_u32_e32 v20, 28, v27
	v_lshlrev_b64_e32 v[20:21], v20, v[10:11]
	s_delay_alu instid0(VALU_DEP_1)
	v_dual_sub_nc_u32 v21, 29, v27 :: v_dual_bitop2_b32 v20, 7, v20 bitop3:0x40
; %bb.877:                              ;   in Loop: Header=BB251_552 Depth=1
	s_or_b32 exec_lo, exec_lo, s17
	s_delay_alu instid0(VALU_DEP_1) | instskip(NEXT) | instid1(VALU_DEP_2)
	v_dual_lshlrev_b32 v10, 8, v10 :: v_dual_lshlrev_b32 v20, 23, v20
	v_lshl_add_u32 v21, v21, 10, 0x2000
	s_delay_alu instid0(VALU_DEP_1) | instskip(NEXT) | instid1(VALU_DEP_1)
	v_and_or_b32 v10, 0x8000, v10, v21
	v_lshl_or_b32 v20, v10, 16, v20
.LBB251_878:                            ;   in Loop: Header=BB251_552 Depth=1
	s_or_b32 exec_lo, exec_lo, s16
.LBB251_879:                            ;   in Loop: Header=BB251_552 Depth=1
	s_delay_alu instid0(SALU_CYCLE_1)
	s_or_b32 exec_lo, exec_lo, s15
.LBB251_880:                            ;   in Loop: Header=BB251_552 Depth=1
	s_delay_alu instid0(SALU_CYCLE_1) | instskip(SKIP_3) | instid1(VALU_DEP_3)
	s_or_b32 exec_lo, exec_lo, s14
	v_dual_lshrrev_b32 v10, 16, v1 :: v_dual_lshrrev_b32 v21, 16, v22
	v_or_b32_e32 v1, v1, v19
	v_dual_lshrrev_b32 v27, 16, v20 :: v_dual_bitop2_b32 v19, v22, v23 bitop3:0x54
	v_cvt_f32_f16_e32 v23, v10
	s_delay_alu instid0(VALU_DEP_4) | instskip(SKIP_1) | instid1(VALU_DEP_4)
	v_cvt_f32_f16_e32 v22, v21
	v_dual_lshrrev_b32 v25, 16, v26 :: v_dual_bitop2_b32 v10, v20, v25 bitop3:0x54
	v_cvt_f32_f16_e32 v20, v19
	v_cvt_f32_f16_e32 v21, v1
	s_wait_loadcnt 0x0
	v_pk_mul_f32 v[22:23], v[18:19], v[22:23] op_sel_hi:[0,1]
	v_cvt_f32_f16_e32 v25, v25
	s_delay_alu instid0(VALU_DEP_2) | instskip(SKIP_3) | instid1(VALU_DEP_3)
	v_cvt_pk_f16_f32 v1, v22, v23
	v_or_b32_e32 v19, v26, v24
	v_cvt_f32_f16_e32 v24, v27
	v_cvt_f32_f16_e32 v26, v10
	v_pk_mul_f32 v[20:21], v[18:19], v[20:21] op_sel_hi:[0,1]
	s_delay_alu instid0(VALU_DEP_1) | instskip(SKIP_4) | instid1(VALU_DEP_3)
	v_cvt_pk_f16_f32 v10, v20, v21
	v_lshlrev_b32_e32 v20, 16, v1
	v_cvt_f32_f16_e32 v27, v19
	v_pk_mul_f32 v[22:23], v[18:19], v[24:25] op_sel_hi:[0,1]
	v_and_b32_e32 v21, 0xffff0000, v1
	v_pk_mul_f32 v[18:19], v[18:19], v[26:27] op_sel_hi:[0,1]
	s_delay_alu instid0(VALU_DEP_3) | instskip(SKIP_1) | instid1(VALU_DEP_3)
	v_cvt_pk_f16_f32 v22, v22, v23
	v_and_b32_e32 v26, 0xffff, v10
	v_cvt_pk_f16_f32 v18, v18, v19
	s_delay_alu instid0(VALU_DEP_3) | instskip(NEXT) | instid1(VALU_DEP_3)
	v_and_b32_e32 v1, 0xffff0000, v22
	v_or_b32_e32 v24, v20, v26
	s_delay_alu instid0(VALU_DEP_3) | instskip(SKIP_2) | instid1(VALU_DEP_3)
	v_lshrrev_b32_e32 v19, 16, v18
	v_lshrrev_b32_e32 v27, 16, v10
	v_and_b32_e32 v18, 0xffff, v18
	v_dual_lshlrev_b32 v10, 16, v22 :: v_dual_bitop2_b32 v23, v1, v19 bitop3:0x54
	s_delay_alu instid0(VALU_DEP_3) | instskip(NEXT) | instid1(VALU_DEP_2)
	v_or_b32_e32 v25, v21, v27
	v_or_b32_e32 v22, v10, v18
	s_and_saveexec_b32 s14, vcc_lo
	s_cbranch_execz .LBB251_882
; %bb.881:                              ;   in Loop: Header=BB251_552 Depth=1
	v_cmp_gt_i32_e64 s0, s9, v30
	s_delay_alu instid0(VALU_DEP_1) | instskip(SKIP_1) | instid1(VALU_DEP_1)
	v_cndmask_b32_e64 v22, 0, v27, s0
	v_cmp_gt_i32_e64 s0, s23, v39
	v_cndmask_b32_e64 v23, 0, v26, s0
	v_cmp_gt_i32_e64 s0, s9, v38
	s_delay_alu instid0(VALU_DEP_1) | instskip(SKIP_1) | instid1(VALU_DEP_1)
	v_cndmask_b32_e64 v21, 0, v21, s0
	v_cmp_gt_i32_e64 s0, s23, v37
	v_cndmask_b32_e64 v20, 0, v20, s0
	v_cmp_gt_i32_e64 s0, s9, v36
	s_delay_alu instid0(VALU_DEP_4) | instskip(NEXT) | instid1(VALU_DEP_3)
	v_or_b32_e32 v25, v21, v22
	v_or_b32_e32 v24, v20, v23
	s_delay_alu instid0(VALU_DEP_3) | instskip(SKIP_1) | instid1(VALU_DEP_1)
	v_cndmask_b32_e64 v19, 0, v19, s0
	v_cmp_gt_i32_e64 s0, s23, v35
	v_cndmask_b32_e64 v18, 0, v18, s0
	v_cmp_gt_i32_e64 s0, s9, v34
	s_delay_alu instid0(VALU_DEP_1) | instskip(SKIP_1) | instid1(VALU_DEP_1)
	v_cndmask_b32_e64 v1, 0, v1, s0
	v_cmp_gt_i32_e64 s0, s23, v33
	v_dual_cndmask_b32 v10, 0, v10, s0 :: v_dual_bitop2_b32 v23, v1, v19 bitop3:0x54
	s_delay_alu instid0(VALU_DEP_1)
	v_or_b32_e32 v22, v10, v18
.LBB251_882:                            ;   in Loop: Header=BB251_552 Depth=1
	s_or_b32 exec_lo, exec_lo, s14
	;;#ASMSTART
	v_pk_mul_f16 v1, v45, v25;

	;;#ASMEND
	;;#ASMSTART
	v_pk_mul_f16 v10, v44, v24;

	;;#ASMEND
	;; [unrolled: 4-line block ×4, first 2 shown]
	;;#ASMSTART
	v_pk_add_f16 v1, v1, v10;

	;;#ASMEND
	;;#ASMSTART
	v_pk_add_f16 v1, v1, v18;

	;;#ASMEND
	;; [unrolled: 4-line block ×3, first 2 shown]
	v_and_b32_e32 v10, 0xffff, v1
	v_dual_lshrrev_b32 v1, 16, v1 :: v_dual_mov_b32 v19, 0
	;;#ASMSTART
	v_cvt_f32_f16 v54, v10;
	;;#ASMEND
	;;#ASMSTART
	v_cvt_f32_f16 v55, v1;
	;;#ASMEND
	global_load_b64 v[20:21], v[16:17], off offset:1280
	v_mov_b32_e32 v1, 0
	s_mov_b32 s14, exec_lo
	global_load_b32 v18, v1, s[10:11]
	s_wait_loadcnt 0x1
	v_and_b32_e32 v10, 0xff, v20
	s_wait_xcnt 0x0
	s_delay_alu instid0(VALU_DEP_1)
	v_cmpx_ne_u16_e32 0, v10
	s_cbranch_execz .LBB251_890
; %bb.883:                              ;   in Loop: Header=BB251_552 Depth=1
	v_mov_b32_e32 v19, 0x8000
	s_mov_b32 s15, exec_lo
	v_cmpx_ne_u16_e32 0x80, v10
	s_cbranch_execz .LBB251_889
; %bb.884:                              ;   in Loop: Header=BB251_552 Depth=1
	v_and_b32_e32 v22, 0x7f, v20
	v_mov_b32_e32 v19, 0x7c01
	s_mov_b32 s16, exec_lo
	s_delay_alu instid0(VALU_DEP_2)
	v_cmpx_ne_u32_e32 0x7f, v22
	s_cbranch_execz .LBB251_888
; %bb.885:                              ;   in Loop: Header=BB251_552 Depth=1
	v_dual_lshrrev_b32 v19, 3, v22 :: v_dual_bitop2_b32 v10, 7, v20 bitop3:0x40
	s_mov_b32 s17, exec_lo
	v_cmpx_gt_u32_e32 8, v22
; %bb.886:                              ;   in Loop: Header=BB251_552 Depth=1
	s_delay_alu instid0(VALU_DEP_2) | instskip(NEXT) | instid1(VALU_DEP_1)
	v_clz_i32_u32_e32 v10, v10
	v_min_u32_e32 v10, 32, v10
	s_delay_alu instid0(VALU_DEP_1) | instskip(NEXT) | instid1(VALU_DEP_1)
	v_subrev_nc_u32_e32 v19, 28, v10
	v_lshlrev_b64_e32 v[22:23], v19, v[20:21]
	v_sub_nc_u32_e32 v19, 29, v10
	s_delay_alu instid0(VALU_DEP_2)
	v_and_b32_e32 v10, 7, v22
; %bb.887:                              ;   in Loop: Header=BB251_552 Depth=1
	s_or_b32 exec_lo, exec_lo, s17
	s_delay_alu instid0(VALU_DEP_1) | instskip(NEXT) | instid1(VALU_DEP_3)
	v_dual_lshlrev_b32 v22, 8, v20 :: v_dual_lshlrev_b32 v10, 7, v10
	v_lshl_add_u32 v19, v19, 10, 0x2000
	s_delay_alu instid0(VALU_DEP_2) | instskip(NEXT) | instid1(VALU_DEP_2)
	v_and_b32_e32 v22, 0x8000, v22
	v_and_b32_e32 v19, 0xfc00, v19
	s_delay_alu instid0(VALU_DEP_1)
	v_or3_b32 v19, v22, v19, v10
.LBB251_888:                            ;   in Loop: Header=BB251_552 Depth=1
	s_or_b32 exec_lo, exec_lo, s16
.LBB251_889:                            ;   in Loop: Header=BB251_552 Depth=1
	s_delay_alu instid0(SALU_CYCLE_1)
	s_or_b32 exec_lo, exec_lo, s15
.LBB251_890:                            ;   in Loop: Header=BB251_552 Depth=1
	s_delay_alu instid0(SALU_CYCLE_1) | instskip(SKIP_2) | instid1(VALU_DEP_1)
	s_or_b32 exec_lo, exec_lo, s14
	v_lshrrev_b16 v10, 8, v20
	s_mov_b32 s14, exec_lo
	v_cmpx_ne_u16_e32 0, v10
	s_cbranch_execz .LBB251_898
; %bb.891:                              ;   in Loop: Header=BB251_552 Depth=1
	v_bfrev_b32_e32 v1, 1
	s_mov_b32 s15, exec_lo
	v_cmpx_ne_u16_e32 0x80, v10
	s_cbranch_execz .LBB251_897
; %bb.892:                              ;   in Loop: Header=BB251_552 Depth=1
	v_and_b32_e32 v22, 0xffff, v10
	v_mov_b32_e32 v1, 0x7c010000
	s_mov_b32 s16, exec_lo
	s_delay_alu instid0(VALU_DEP_2) | instskip(NEXT) | instid1(VALU_DEP_1)
	v_and_b32_e32 v24, 0x7f, v22
	v_cmpx_ne_u32_e32 0x7f, v24
	s_cbranch_execz .LBB251_896
; %bb.893:                              ;   in Loop: Header=BB251_552 Depth=1
	v_dual_lshrrev_b32 v23, 3, v24 :: v_dual_bitop2_b32 v1, 7, v22 bitop3:0x40
	s_mov_b32 s17, exec_lo
	v_cmpx_gt_u32_e32 8, v24
; %bb.894:                              ;   in Loop: Header=BB251_552 Depth=1
	s_delay_alu instid0(VALU_DEP_2) | instskip(NEXT) | instid1(VALU_DEP_1)
	v_clz_i32_u32_e32 v1, v1
	v_min_u32_e32 v1, 32, v1
	s_delay_alu instid0(VALU_DEP_1) | instskip(NEXT) | instid1(VALU_DEP_1)
	v_subrev_nc_u32_e32 v23, 28, v1
	v_lshlrev_b64_e32 v[24:25], v23, v[10:11]
	s_delay_alu instid0(VALU_DEP_1)
	v_dual_sub_nc_u32 v23, 29, v1 :: v_dual_bitop2_b32 v1, 7, v24 bitop3:0x40
; %bb.895:                              ;   in Loop: Header=BB251_552 Depth=1
	s_or_b32 exec_lo, exec_lo, s17
	s_delay_alu instid0(VALU_DEP_1) | instskip(NEXT) | instid1(VALU_DEP_2)
	v_dual_lshlrev_b32 v10, 8, v22 :: v_dual_lshlrev_b32 v1, 23, v1
	v_lshl_add_u32 v22, v23, 10, 0x2000
	s_delay_alu instid0(VALU_DEP_1) | instskip(NEXT) | instid1(VALU_DEP_1)
	v_and_or_b32 v10, 0x8000, v10, v22
	v_lshl_or_b32 v1, v10, 16, v1
.LBB251_896:                            ;   in Loop: Header=BB251_552 Depth=1
	s_or_b32 exec_lo, exec_lo, s16
.LBB251_897:                            ;   in Loop: Header=BB251_552 Depth=1
	s_delay_alu instid0(SALU_CYCLE_1)
	s_or_b32 exec_lo, exec_lo, s15
.LBB251_898:                            ;   in Loop: Header=BB251_552 Depth=1
	s_delay_alu instid0(SALU_CYCLE_1) | instskip(SKIP_3) | instid1(VALU_DEP_2)
	s_or_b32 exec_lo, exec_lo, s14
	v_dual_lshrrev_b32 v10, 16, v20 :: v_dual_mov_b32 v22, 0
	v_mov_b32_e32 v23, 0
	s_mov_b32 s14, exec_lo
	v_and_b32_e32 v24, 0xff, v10
	s_delay_alu instid0(VALU_DEP_1)
	v_cmpx_ne_u16_e32 0, v24
	s_cbranch_execz .LBB251_906
; %bb.899:                              ;   in Loop: Header=BB251_552 Depth=1
	v_mov_b32_e32 v23, 0x8000
	s_mov_b32 s15, exec_lo
	v_cmpx_ne_u16_e32 0x80, v24
	s_cbranch_execz .LBB251_905
; %bb.900:                              ;   in Loop: Header=BB251_552 Depth=1
	v_bfe_u32 v25, v20, 16, 7
	v_mov_b32_e32 v23, 0x7c01
	s_mov_b32 s16, exec_lo
	s_delay_alu instid0(VALU_DEP_2)
	v_cmpx_ne_u32_e32 0x7f, v25
	s_cbranch_execz .LBB251_904
; %bb.901:                              ;   in Loop: Header=BB251_552 Depth=1
	v_dual_lshrrev_b32 v24, 3, v25 :: v_dual_bitop2_b32 v23, 7, v10 bitop3:0x40
	s_mov_b32 s17, exec_lo
	v_cmpx_gt_u32_e32 8, v25
; %bb.902:                              ;   in Loop: Header=BB251_552 Depth=1
	s_delay_alu instid0(VALU_DEP_2) | instskip(NEXT) | instid1(VALU_DEP_1)
	v_clz_i32_u32_e32 v23, v23
	v_min_u32_e32 v23, 32, v23
	s_delay_alu instid0(VALU_DEP_1) | instskip(NEXT) | instid1(VALU_DEP_1)
	v_subrev_nc_u32_e32 v24, 28, v23
	v_lshlrev_b64_e32 v[26:27], v24, v[10:11]
	s_delay_alu instid0(VALU_DEP_1)
	v_dual_sub_nc_u32 v24, 29, v23 :: v_dual_bitop2_b32 v23, 7, v26 bitop3:0x40
; %bb.903:                              ;   in Loop: Header=BB251_552 Depth=1
	s_or_b32 exec_lo, exec_lo, s17
	s_delay_alu instid0(VALU_DEP_1) | instskip(NEXT) | instid1(VALU_DEP_2)
	v_dual_lshlrev_b32 v10, 8, v10 :: v_dual_lshlrev_b32 v23, 7, v23
	v_lshl_add_u32 v24, v24, 10, 0x2000
	s_delay_alu instid0(VALU_DEP_2) | instskip(NEXT) | instid1(VALU_DEP_2)
	v_and_b32_e32 v10, 0x8000, v10
	v_and_b32_e32 v24, 0xfc00, v24
	s_delay_alu instid0(VALU_DEP_1)
	v_or3_b32 v23, v10, v24, v23
.LBB251_904:                            ;   in Loop: Header=BB251_552 Depth=1
	s_or_b32 exec_lo, exec_lo, s16
.LBB251_905:                            ;   in Loop: Header=BB251_552 Depth=1
	s_delay_alu instid0(SALU_CYCLE_1)
	s_or_b32 exec_lo, exec_lo, s15
.LBB251_906:                            ;   in Loop: Header=BB251_552 Depth=1
	s_delay_alu instid0(SALU_CYCLE_1) | instskip(NEXT) | instid1(SALU_CYCLE_1)
	s_or_b32 exec_lo, exec_lo, s14
	s_mov_b32 s14, exec_lo
	v_cmpx_lt_u32_e32 0xffffff, v20
	s_cbranch_execz .LBB251_914
; %bb.907:                              ;   in Loop: Header=BB251_552 Depth=1
	v_lshrrev_b32_e32 v10, 24, v20
	v_bfrev_b32_e32 v22, 1
	s_mov_b32 s15, exec_lo
	s_delay_alu instid0(VALU_DEP_2)
	v_cmpx_ne_u32_e32 0x80, v10
	s_cbranch_execz .LBB251_913
; %bb.908:                              ;   in Loop: Header=BB251_552 Depth=1
	v_and_b32_e32 v25, 0x7f, v10
	v_mov_b32_e32 v22, 0x7c010000
	s_mov_b32 s16, exec_lo
	s_delay_alu instid0(VALU_DEP_2)
	v_cmpx_ne_u32_e32 0x7f, v25
	s_cbranch_execz .LBB251_912
; %bb.909:                              ;   in Loop: Header=BB251_552 Depth=1
	v_dual_lshrrev_b32 v24, 3, v25 :: v_dual_bitop2_b32 v22, 7, v10 bitop3:0x40
	s_mov_b32 s17, exec_lo
	v_cmpx_gt_u32_e32 8, v25
; %bb.910:                              ;   in Loop: Header=BB251_552 Depth=1
	s_delay_alu instid0(VALU_DEP_2) | instskip(NEXT) | instid1(VALU_DEP_1)
	v_clz_i32_u32_e32 v22, v22
	v_min_u32_e32 v22, 32, v22
	s_delay_alu instid0(VALU_DEP_1) | instskip(NEXT) | instid1(VALU_DEP_1)
	v_subrev_nc_u32_e32 v24, 28, v22
	v_lshlrev_b64_e32 v[26:27], v24, v[10:11]
	v_sub_nc_u32_e32 v24, 29, v22
	s_delay_alu instid0(VALU_DEP_2)
	v_and_b32_e32 v22, 7, v26
; %bb.911:                              ;   in Loop: Header=BB251_552 Depth=1
	s_or_b32 exec_lo, exec_lo, s17
	v_lshlrev_b32_e32 v10, 8, v10
	s_delay_alu instid0(VALU_DEP_3) | instskip(NEXT) | instid1(VALU_DEP_3)
	v_lshl_add_u32 v24, v24, 10, 0x2000
	v_lshlrev_b32_e32 v22, 23, v22
	s_delay_alu instid0(VALU_DEP_2) | instskip(NEXT) | instid1(VALU_DEP_1)
	v_and_or_b32 v10, 0x8000, v10, v24
	v_lshl_or_b32 v22, v10, 16, v22
.LBB251_912:                            ;   in Loop: Header=BB251_552 Depth=1
	s_or_b32 exec_lo, exec_lo, s16
.LBB251_913:                            ;   in Loop: Header=BB251_552 Depth=1
	s_delay_alu instid0(SALU_CYCLE_1)
	s_or_b32 exec_lo, exec_lo, s15
.LBB251_914:                            ;   in Loop: Header=BB251_552 Depth=1
	s_delay_alu instid0(SALU_CYCLE_1) | instskip(SKIP_4) | instid1(VALU_DEP_3)
	s_or_b32 exec_lo, exec_lo, s14
	v_and_b32_e32 v26, 0xff, v21
	v_dual_mov_b32 v10, v21 :: v_dual_mov_b32 v25, 0
	v_mov_b32_e32 v24, 0
	s_mov_b32 s14, exec_lo
	v_cmpx_ne_u16_e32 0, v26
	s_cbranch_execz .LBB251_922
; %bb.915:                              ;   in Loop: Header=BB251_552 Depth=1
	v_mov_b32_e32 v24, 0x8000
	s_mov_b32 s15, exec_lo
	v_cmpx_ne_u16_e32 0x80, v26
	s_cbranch_execz .LBB251_921
; %bb.916:                              ;   in Loop: Header=BB251_552 Depth=1
	v_and_b32_e32 v27, 0x7f, v21
	v_mov_b32_e32 v24, 0x7c01
	s_mov_b32 s16, exec_lo
	s_delay_alu instid0(VALU_DEP_2)
	v_cmpx_ne_u32_e32 0x7f, v27
	s_cbranch_execz .LBB251_920
; %bb.917:                              ;   in Loop: Header=BB251_552 Depth=1
	v_dual_lshrrev_b32 v26, 3, v27 :: v_dual_bitop2_b32 v24, 7, v21 bitop3:0x40
	s_mov_b32 s17, exec_lo
	v_cmpx_gt_u32_e32 8, v27
; %bb.918:                              ;   in Loop: Header=BB251_552 Depth=1
	s_delay_alu instid0(VALU_DEP_2) | instskip(NEXT) | instid1(VALU_DEP_1)
	v_clz_i32_u32_e32 v24, v24
	v_min_u32_e32 v24, 32, v24
	s_delay_alu instid0(VALU_DEP_1) | instskip(NEXT) | instid1(VALU_DEP_1)
	v_subrev_nc_u32_e32 v26, 28, v24
	v_lshlrev_b64_e32 v[40:41], v26, v[10:11]
	v_sub_nc_u32_e32 v26, 29, v24
	s_delay_alu instid0(VALU_DEP_2)
	v_and_b32_e32 v24, 7, v40
; %bb.919:                              ;   in Loop: Header=BB251_552 Depth=1
	s_or_b32 exec_lo, exec_lo, s17
	s_delay_alu instid0(VALU_DEP_1) | instskip(NEXT) | instid1(VALU_DEP_3)
	v_dual_lshlrev_b32 v27, 8, v21 :: v_dual_lshlrev_b32 v24, 7, v24
	v_lshl_add_u32 v26, v26, 10, 0x2000
	s_delay_alu instid0(VALU_DEP_2) | instskip(NEXT) | instid1(VALU_DEP_2)
	v_and_b32_e32 v27, 0x8000, v27
	v_and_b32_e32 v26, 0xfc00, v26
	s_delay_alu instid0(VALU_DEP_1)
	v_or3_b32 v24, v27, v26, v24
.LBB251_920:                            ;   in Loop: Header=BB251_552 Depth=1
	s_or_b32 exec_lo, exec_lo, s16
.LBB251_921:                            ;   in Loop: Header=BB251_552 Depth=1
	s_delay_alu instid0(SALU_CYCLE_1)
	s_or_b32 exec_lo, exec_lo, s15
.LBB251_922:                            ;   in Loop: Header=BB251_552 Depth=1
	s_delay_alu instid0(SALU_CYCLE_1) | instskip(SKIP_3) | instid1(VALU_DEP_2)
	s_or_b32 exec_lo, exec_lo, s14
	v_lshrrev_b16 v10, 8, v10
	v_mov_b32_e32 v26, 0
	s_mov_b32 s14, exec_lo
	v_cmpx_ne_u16_e32 0, v10
	s_cbranch_execz .LBB251_930
; %bb.923:                              ;   in Loop: Header=BB251_552 Depth=1
	v_bfrev_b32_e32 v26, 1
	s_mov_b32 s15, exec_lo
	v_cmpx_ne_u16_e32 0x80, v10
	s_cbranch_execz .LBB251_929
; %bb.924:                              ;   in Loop: Header=BB251_552 Depth=1
	v_and_b32_e32 v27, 0xffff, v10
	v_mov_b32_e32 v26, 0x7c010000
	s_mov_b32 s16, exec_lo
	s_delay_alu instid0(VALU_DEP_2) | instskip(NEXT) | instid1(VALU_DEP_1)
	v_and_b32_e32 v41, 0x7f, v27
	v_cmpx_ne_u32_e32 0x7f, v41
	s_cbranch_execz .LBB251_928
; %bb.925:                              ;   in Loop: Header=BB251_552 Depth=1
	v_dual_lshrrev_b32 v40, 3, v41 :: v_dual_bitop2_b32 v26, 7, v27 bitop3:0x40
	s_mov_b32 s17, exec_lo
	v_cmpx_gt_u32_e32 8, v41
; %bb.926:                              ;   in Loop: Header=BB251_552 Depth=1
	s_delay_alu instid0(VALU_DEP_2) | instskip(NEXT) | instid1(VALU_DEP_1)
	v_clz_i32_u32_e32 v26, v26
	v_min_u32_e32 v26, 32, v26
	s_delay_alu instid0(VALU_DEP_1) | instskip(NEXT) | instid1(VALU_DEP_1)
	v_subrev_nc_u32_e32 v40, 28, v26
	v_lshlrev_b64_e32 v[56:57], v40, v[10:11]
	s_delay_alu instid0(VALU_DEP_1)
	v_dual_sub_nc_u32 v40, 29, v26 :: v_dual_bitop2_b32 v26, 7, v56 bitop3:0x40
; %bb.927:                              ;   in Loop: Header=BB251_552 Depth=1
	s_or_b32 exec_lo, exec_lo, s17
	s_delay_alu instid0(VALU_DEP_1) | instskip(NEXT) | instid1(VALU_DEP_2)
	v_dual_lshlrev_b32 v10, 8, v27 :: v_dual_lshlrev_b32 v26, 23, v26
	v_lshl_add_u32 v27, v40, 10, 0x2000
	s_delay_alu instid0(VALU_DEP_1) | instskip(NEXT) | instid1(VALU_DEP_1)
	v_and_or_b32 v10, 0x8000, v10, v27
	v_lshl_or_b32 v26, v10, 16, v26
.LBB251_928:                            ;   in Loop: Header=BB251_552 Depth=1
	s_or_b32 exec_lo, exec_lo, s16
.LBB251_929:                            ;   in Loop: Header=BB251_552 Depth=1
	s_delay_alu instid0(SALU_CYCLE_1)
	s_or_b32 exec_lo, exec_lo, s15
.LBB251_930:                            ;   in Loop: Header=BB251_552 Depth=1
	s_delay_alu instid0(SALU_CYCLE_1) | instskip(SKIP_2) | instid1(VALU_DEP_1)
	s_or_b32 exec_lo, exec_lo, s14
	v_lshrrev_b32_e32 v10, 16, v21
	s_mov_b32 s14, exec_lo
	v_and_b32_e32 v27, 0xff, v10
	s_delay_alu instid0(VALU_DEP_1)
	v_cmpx_ne_u16_e32 0, v27
	s_cbranch_execz .LBB251_938
; %bb.931:                              ;   in Loop: Header=BB251_552 Depth=1
	v_mov_b32_e32 v25, 0x8000
	s_mov_b32 s15, exec_lo
	v_cmpx_ne_u16_e32 0x80, v27
	s_cbranch_execz .LBB251_937
; %bb.932:                              ;   in Loop: Header=BB251_552 Depth=1
	v_bfe_u32 v40, v21, 16, 7
	v_mov_b32_e32 v25, 0x7c01
	s_mov_b32 s16, exec_lo
	s_delay_alu instid0(VALU_DEP_2)
	v_cmpx_ne_u32_e32 0x7f, v40
	s_cbranch_execz .LBB251_936
; %bb.933:                              ;   in Loop: Header=BB251_552 Depth=1
	v_dual_lshrrev_b32 v27, 3, v40 :: v_dual_bitop2_b32 v25, 7, v10 bitop3:0x40
	s_mov_b32 s17, exec_lo
	v_cmpx_gt_u32_e32 8, v40
; %bb.934:                              ;   in Loop: Header=BB251_552 Depth=1
	s_delay_alu instid0(VALU_DEP_2) | instskip(NEXT) | instid1(VALU_DEP_1)
	v_clz_i32_u32_e32 v25, v25
	v_min_u32_e32 v25, 32, v25
	s_delay_alu instid0(VALU_DEP_1) | instskip(NEXT) | instid1(VALU_DEP_1)
	v_subrev_nc_u32_e32 v27, 28, v25
	v_lshlrev_b64_e32 v[40:41], v27, v[10:11]
	s_delay_alu instid0(VALU_DEP_1)
	v_dual_sub_nc_u32 v27, 29, v25 :: v_dual_bitop2_b32 v25, 7, v40 bitop3:0x40
; %bb.935:                              ;   in Loop: Header=BB251_552 Depth=1
	s_or_b32 exec_lo, exec_lo, s17
	s_delay_alu instid0(VALU_DEP_1) | instskip(NEXT) | instid1(VALU_DEP_2)
	v_dual_lshlrev_b32 v10, 8, v10 :: v_dual_lshlrev_b32 v25, 7, v25
	v_lshl_add_u32 v27, v27, 10, 0x2000
	s_delay_alu instid0(VALU_DEP_2) | instskip(NEXT) | instid1(VALU_DEP_2)
	v_and_b32_e32 v10, 0x8000, v10
	v_and_b32_e32 v27, 0xfc00, v27
	s_delay_alu instid0(VALU_DEP_1)
	v_or3_b32 v25, v10, v27, v25
.LBB251_936:                            ;   in Loop: Header=BB251_552 Depth=1
	s_or_b32 exec_lo, exec_lo, s16
.LBB251_937:                            ;   in Loop: Header=BB251_552 Depth=1
	s_delay_alu instid0(SALU_CYCLE_1)
	s_or_b32 exec_lo, exec_lo, s15
.LBB251_938:                            ;   in Loop: Header=BB251_552 Depth=1
	s_delay_alu instid0(SALU_CYCLE_1)
	s_or_b32 exec_lo, exec_lo, s14
	v_cmp_lt_u64_e64 s0, s[2:3], v[20:21]
	v_mov_b32_e32 v20, 0
	s_and_saveexec_b32 s14, s0
	s_cbranch_execz .LBB251_946
; %bb.939:                              ;   in Loop: Header=BB251_552 Depth=1
	v_lshrrev_b32_e32 v10, 24, v21
	v_bfrev_b32_e32 v20, 1
	s_mov_b32 s15, exec_lo
	s_delay_alu instid0(VALU_DEP_2)
	v_cmpx_ne_u32_e32 0x80, v10
	s_cbranch_execz .LBB251_945
; %bb.940:                              ;   in Loop: Header=BB251_552 Depth=1
	v_and_b32_e32 v27, 0x7f, v10
	v_mov_b32_e32 v20, 0x7c010000
	s_mov_b32 s16, exec_lo
	s_delay_alu instid0(VALU_DEP_2)
	v_cmpx_ne_u32_e32 0x7f, v27
	s_cbranch_execz .LBB251_944
; %bb.941:                              ;   in Loop: Header=BB251_552 Depth=1
	v_dual_lshrrev_b32 v21, 3, v27 :: v_dual_bitop2_b32 v20, 7, v10 bitop3:0x40
	s_mov_b32 s17, exec_lo
	v_cmpx_gt_u32_e32 8, v27
; %bb.942:                              ;   in Loop: Header=BB251_552 Depth=1
	s_delay_alu instid0(VALU_DEP_2) | instskip(NEXT) | instid1(VALU_DEP_1)
	v_clz_i32_u32_e32 v20, v20
	v_min_u32_e32 v27, 32, v20
	s_delay_alu instid0(VALU_DEP_1) | instskip(NEXT) | instid1(VALU_DEP_1)
	v_subrev_nc_u32_e32 v20, 28, v27
	v_lshlrev_b64_e32 v[20:21], v20, v[10:11]
	s_delay_alu instid0(VALU_DEP_1)
	v_dual_sub_nc_u32 v21, 29, v27 :: v_dual_bitop2_b32 v20, 7, v20 bitop3:0x40
; %bb.943:                              ;   in Loop: Header=BB251_552 Depth=1
	s_or_b32 exec_lo, exec_lo, s17
	s_delay_alu instid0(VALU_DEP_1) | instskip(NEXT) | instid1(VALU_DEP_2)
	v_dual_lshlrev_b32 v10, 8, v10 :: v_dual_lshlrev_b32 v20, 23, v20
	v_lshl_add_u32 v21, v21, 10, 0x2000
	s_delay_alu instid0(VALU_DEP_1) | instskip(NEXT) | instid1(VALU_DEP_1)
	v_and_or_b32 v10, 0x8000, v10, v21
	v_lshl_or_b32 v20, v10, 16, v20
.LBB251_944:                            ;   in Loop: Header=BB251_552 Depth=1
	s_or_b32 exec_lo, exec_lo, s16
.LBB251_945:                            ;   in Loop: Header=BB251_552 Depth=1
	s_delay_alu instid0(SALU_CYCLE_1)
	s_or_b32 exec_lo, exec_lo, s15
.LBB251_946:                            ;   in Loop: Header=BB251_552 Depth=1
	s_delay_alu instid0(SALU_CYCLE_1) | instskip(SKIP_3) | instid1(VALU_DEP_3)
	s_or_b32 exec_lo, exec_lo, s14
	v_dual_lshrrev_b32 v10, 16, v1 :: v_dual_lshrrev_b32 v21, 16, v22
	v_or_b32_e32 v1, v1, v19
	v_dual_lshrrev_b32 v27, 16, v20 :: v_dual_bitop2_b32 v19, v22, v23 bitop3:0x54
	v_cvt_f32_f16_e32 v23, v10
	s_delay_alu instid0(VALU_DEP_4) | instskip(SKIP_1) | instid1(VALU_DEP_4)
	v_cvt_f32_f16_e32 v22, v21
	v_dual_lshrrev_b32 v25, 16, v26 :: v_dual_bitop2_b32 v10, v20, v25 bitop3:0x54
	v_cvt_f32_f16_e32 v20, v19
	v_cvt_f32_f16_e32 v21, v1
	s_wait_loadcnt 0x0
	v_pk_mul_f32 v[22:23], v[18:19], v[22:23] op_sel_hi:[0,1]
	v_cvt_f32_f16_e32 v25, v25
	s_delay_alu instid0(VALU_DEP_2) | instskip(SKIP_3) | instid1(VALU_DEP_3)
	v_cvt_pk_f16_f32 v1, v22, v23
	v_or_b32_e32 v19, v26, v24
	v_cvt_f32_f16_e32 v24, v27
	v_cvt_f32_f16_e32 v26, v10
	v_pk_mul_f32 v[20:21], v[18:19], v[20:21] op_sel_hi:[0,1]
	s_delay_alu instid0(VALU_DEP_1) | instskip(SKIP_4) | instid1(VALU_DEP_3)
	v_cvt_pk_f16_f32 v10, v20, v21
	v_lshlrev_b32_e32 v20, 16, v1
	v_cvt_f32_f16_e32 v27, v19
	v_pk_mul_f32 v[22:23], v[18:19], v[24:25] op_sel_hi:[0,1]
	v_and_b32_e32 v21, 0xffff0000, v1
	v_pk_mul_f32 v[18:19], v[18:19], v[26:27] op_sel_hi:[0,1]
	s_delay_alu instid0(VALU_DEP_3) | instskip(SKIP_1) | instid1(VALU_DEP_3)
	v_cvt_pk_f16_f32 v22, v22, v23
	v_and_b32_e32 v26, 0xffff, v10
	v_cvt_pk_f16_f32 v18, v18, v19
	s_delay_alu instid0(VALU_DEP_3) | instskip(NEXT) | instid1(VALU_DEP_3)
	v_and_b32_e32 v1, 0xffff0000, v22
	v_or_b32_e32 v24, v20, v26
	s_delay_alu instid0(VALU_DEP_3) | instskip(SKIP_2) | instid1(VALU_DEP_3)
	v_lshrrev_b32_e32 v19, 16, v18
	v_lshrrev_b32_e32 v27, 16, v10
	v_and_b32_e32 v18, 0xffff, v18
	v_dual_lshlrev_b32 v10, 16, v22 :: v_dual_bitop2_b32 v23, v1, v19 bitop3:0x54
	s_delay_alu instid0(VALU_DEP_3) | instskip(NEXT) | instid1(VALU_DEP_2)
	v_or_b32_e32 v25, v21, v27
	v_or_b32_e32 v22, v10, v18
	s_and_saveexec_b32 s14, vcc_lo
	s_cbranch_execz .LBB251_948
; %bb.947:                              ;   in Loop: Header=BB251_552 Depth=1
	v_cmp_gt_i32_e64 s0, s9, v30
	s_delay_alu instid0(VALU_DEP_1) | instskip(SKIP_1) | instid1(VALU_DEP_1)
	v_cndmask_b32_e64 v22, 0, v27, s0
	v_cmp_gt_i32_e64 s0, s23, v39
	v_cndmask_b32_e64 v23, 0, v26, s0
	v_cmp_gt_i32_e64 s0, s9, v38
	s_delay_alu instid0(VALU_DEP_1) | instskip(SKIP_1) | instid1(VALU_DEP_1)
	v_cndmask_b32_e64 v21, 0, v21, s0
	v_cmp_gt_i32_e64 s0, s23, v37
	v_cndmask_b32_e64 v20, 0, v20, s0
	v_cmp_gt_i32_e64 s0, s9, v36
	s_delay_alu instid0(VALU_DEP_4) | instskip(NEXT) | instid1(VALU_DEP_3)
	v_or_b32_e32 v25, v21, v22
	v_or_b32_e32 v24, v20, v23
	s_delay_alu instid0(VALU_DEP_3) | instskip(SKIP_1) | instid1(VALU_DEP_1)
	v_cndmask_b32_e64 v19, 0, v19, s0
	v_cmp_gt_i32_e64 s0, s23, v35
	v_cndmask_b32_e64 v18, 0, v18, s0
	v_cmp_gt_i32_e64 s0, s9, v34
	s_delay_alu instid0(VALU_DEP_1) | instskip(SKIP_1) | instid1(VALU_DEP_1)
	v_cndmask_b32_e64 v1, 0, v1, s0
	v_cmp_gt_i32_e64 s0, s23, v33
	v_dual_cndmask_b32 v10, 0, v10, s0 :: v_dual_bitop2_b32 v23, v1, v19 bitop3:0x54
	s_delay_alu instid0(VALU_DEP_1)
	v_or_b32_e32 v22, v10, v18
.LBB251_948:                            ;   in Loop: Header=BB251_552 Depth=1
	s_or_b32 exec_lo, exec_lo, s14
	;;#ASMSTART
	v_pk_mul_f16 v1, v45, v25;

	;;#ASMEND
	;;#ASMSTART
	v_pk_mul_f16 v10, v44, v24;

	;;#ASMEND
	;; [unrolled: 4-line block ×4, first 2 shown]
	;;#ASMSTART
	v_pk_add_f16 v1, v1, v10;

	;;#ASMEND
	;;#ASMSTART
	v_pk_add_f16 v1, v1, v18;

	;;#ASMEND
	;; [unrolled: 4-line block ×3, first 2 shown]
	v_and_b32_e32 v10, 0xffff, v1
	v_dual_lshrrev_b32 v1, 16, v1 :: v_dual_mov_b32 v19, 0
	;;#ASMSTART
	v_cvt_f32_f16 v56, v10;
	;;#ASMEND
	;;#ASMSTART
	v_cvt_f32_f16 v57, v1;
	;;#ASMEND
	global_load_b64 v[20:21], v[16:17], off offset:1536
	v_mov_b32_e32 v1, 0
	s_mov_b32 s14, exec_lo
	global_load_b32 v18, v1, s[10:11]
	s_wait_loadcnt 0x1
	v_and_b32_e32 v10, 0xff, v20
	s_wait_xcnt 0x0
	s_delay_alu instid0(VALU_DEP_1)
	v_cmpx_ne_u16_e32 0, v10
	s_cbranch_execz .LBB251_956
; %bb.949:                              ;   in Loop: Header=BB251_552 Depth=1
	v_mov_b32_e32 v19, 0x8000
	s_mov_b32 s15, exec_lo
	v_cmpx_ne_u16_e32 0x80, v10
	s_cbranch_execz .LBB251_955
; %bb.950:                              ;   in Loop: Header=BB251_552 Depth=1
	v_and_b32_e32 v22, 0x7f, v20
	v_mov_b32_e32 v19, 0x7c01
	s_mov_b32 s16, exec_lo
	s_delay_alu instid0(VALU_DEP_2)
	v_cmpx_ne_u32_e32 0x7f, v22
	s_cbranch_execz .LBB251_954
; %bb.951:                              ;   in Loop: Header=BB251_552 Depth=1
	v_dual_lshrrev_b32 v19, 3, v22 :: v_dual_bitop2_b32 v10, 7, v20 bitop3:0x40
	s_mov_b32 s17, exec_lo
	v_cmpx_gt_u32_e32 8, v22
; %bb.952:                              ;   in Loop: Header=BB251_552 Depth=1
	s_delay_alu instid0(VALU_DEP_2) | instskip(NEXT) | instid1(VALU_DEP_1)
	v_clz_i32_u32_e32 v10, v10
	v_min_u32_e32 v10, 32, v10
	s_delay_alu instid0(VALU_DEP_1) | instskip(NEXT) | instid1(VALU_DEP_1)
	v_subrev_nc_u32_e32 v19, 28, v10
	v_lshlrev_b64_e32 v[22:23], v19, v[20:21]
	v_sub_nc_u32_e32 v19, 29, v10
	s_delay_alu instid0(VALU_DEP_2)
	v_and_b32_e32 v10, 7, v22
; %bb.953:                              ;   in Loop: Header=BB251_552 Depth=1
	s_or_b32 exec_lo, exec_lo, s17
	s_delay_alu instid0(VALU_DEP_1) | instskip(NEXT) | instid1(VALU_DEP_3)
	v_dual_lshlrev_b32 v22, 8, v20 :: v_dual_lshlrev_b32 v10, 7, v10
	v_lshl_add_u32 v19, v19, 10, 0x2000
	s_delay_alu instid0(VALU_DEP_2) | instskip(NEXT) | instid1(VALU_DEP_2)
	v_and_b32_e32 v22, 0x8000, v22
	v_and_b32_e32 v19, 0xfc00, v19
	s_delay_alu instid0(VALU_DEP_1)
	v_or3_b32 v19, v22, v19, v10
.LBB251_954:                            ;   in Loop: Header=BB251_552 Depth=1
	s_or_b32 exec_lo, exec_lo, s16
.LBB251_955:                            ;   in Loop: Header=BB251_552 Depth=1
	s_delay_alu instid0(SALU_CYCLE_1)
	s_or_b32 exec_lo, exec_lo, s15
.LBB251_956:                            ;   in Loop: Header=BB251_552 Depth=1
	s_delay_alu instid0(SALU_CYCLE_1) | instskip(SKIP_2) | instid1(VALU_DEP_1)
	s_or_b32 exec_lo, exec_lo, s14
	v_lshrrev_b16 v10, 8, v20
	s_mov_b32 s14, exec_lo
	v_cmpx_ne_u16_e32 0, v10
	s_cbranch_execz .LBB251_964
; %bb.957:                              ;   in Loop: Header=BB251_552 Depth=1
	v_bfrev_b32_e32 v1, 1
	s_mov_b32 s15, exec_lo
	v_cmpx_ne_u16_e32 0x80, v10
	s_cbranch_execz .LBB251_963
; %bb.958:                              ;   in Loop: Header=BB251_552 Depth=1
	v_and_b32_e32 v22, 0xffff, v10
	v_mov_b32_e32 v1, 0x7c010000
	s_mov_b32 s16, exec_lo
	s_delay_alu instid0(VALU_DEP_2) | instskip(NEXT) | instid1(VALU_DEP_1)
	v_and_b32_e32 v24, 0x7f, v22
	v_cmpx_ne_u32_e32 0x7f, v24
	s_cbranch_execz .LBB251_962
; %bb.959:                              ;   in Loop: Header=BB251_552 Depth=1
	v_dual_lshrrev_b32 v23, 3, v24 :: v_dual_bitop2_b32 v1, 7, v22 bitop3:0x40
	s_mov_b32 s17, exec_lo
	v_cmpx_gt_u32_e32 8, v24
; %bb.960:                              ;   in Loop: Header=BB251_552 Depth=1
	s_delay_alu instid0(VALU_DEP_2) | instskip(NEXT) | instid1(VALU_DEP_1)
	v_clz_i32_u32_e32 v1, v1
	v_min_u32_e32 v1, 32, v1
	s_delay_alu instid0(VALU_DEP_1) | instskip(NEXT) | instid1(VALU_DEP_1)
	v_subrev_nc_u32_e32 v23, 28, v1
	v_lshlrev_b64_e32 v[24:25], v23, v[10:11]
	s_delay_alu instid0(VALU_DEP_1)
	v_dual_sub_nc_u32 v23, 29, v1 :: v_dual_bitop2_b32 v1, 7, v24 bitop3:0x40
; %bb.961:                              ;   in Loop: Header=BB251_552 Depth=1
	s_or_b32 exec_lo, exec_lo, s17
	s_delay_alu instid0(VALU_DEP_1) | instskip(NEXT) | instid1(VALU_DEP_2)
	v_dual_lshlrev_b32 v10, 8, v22 :: v_dual_lshlrev_b32 v1, 23, v1
	v_lshl_add_u32 v22, v23, 10, 0x2000
	s_delay_alu instid0(VALU_DEP_1) | instskip(NEXT) | instid1(VALU_DEP_1)
	v_and_or_b32 v10, 0x8000, v10, v22
	v_lshl_or_b32 v1, v10, 16, v1
.LBB251_962:                            ;   in Loop: Header=BB251_552 Depth=1
	s_or_b32 exec_lo, exec_lo, s16
.LBB251_963:                            ;   in Loop: Header=BB251_552 Depth=1
	s_delay_alu instid0(SALU_CYCLE_1)
	s_or_b32 exec_lo, exec_lo, s15
.LBB251_964:                            ;   in Loop: Header=BB251_552 Depth=1
	s_delay_alu instid0(SALU_CYCLE_1) | instskip(SKIP_3) | instid1(VALU_DEP_2)
	s_or_b32 exec_lo, exec_lo, s14
	v_dual_lshrrev_b32 v10, 16, v20 :: v_dual_mov_b32 v22, 0
	v_mov_b32_e32 v23, 0
	s_mov_b32 s14, exec_lo
	v_and_b32_e32 v24, 0xff, v10
	s_delay_alu instid0(VALU_DEP_1)
	v_cmpx_ne_u16_e32 0, v24
	s_cbranch_execz .LBB251_972
; %bb.965:                              ;   in Loop: Header=BB251_552 Depth=1
	v_mov_b32_e32 v23, 0x8000
	s_mov_b32 s15, exec_lo
	v_cmpx_ne_u16_e32 0x80, v24
	s_cbranch_execz .LBB251_971
; %bb.966:                              ;   in Loop: Header=BB251_552 Depth=1
	v_bfe_u32 v25, v20, 16, 7
	v_mov_b32_e32 v23, 0x7c01
	s_mov_b32 s16, exec_lo
	s_delay_alu instid0(VALU_DEP_2)
	v_cmpx_ne_u32_e32 0x7f, v25
	s_cbranch_execz .LBB251_970
; %bb.967:                              ;   in Loop: Header=BB251_552 Depth=1
	v_dual_lshrrev_b32 v24, 3, v25 :: v_dual_bitop2_b32 v23, 7, v10 bitop3:0x40
	s_mov_b32 s17, exec_lo
	v_cmpx_gt_u32_e32 8, v25
; %bb.968:                              ;   in Loop: Header=BB251_552 Depth=1
	s_delay_alu instid0(VALU_DEP_2) | instskip(NEXT) | instid1(VALU_DEP_1)
	v_clz_i32_u32_e32 v23, v23
	v_min_u32_e32 v23, 32, v23
	s_delay_alu instid0(VALU_DEP_1) | instskip(NEXT) | instid1(VALU_DEP_1)
	v_subrev_nc_u32_e32 v24, 28, v23
	v_lshlrev_b64_e32 v[26:27], v24, v[10:11]
	s_delay_alu instid0(VALU_DEP_1)
	v_dual_sub_nc_u32 v24, 29, v23 :: v_dual_bitop2_b32 v23, 7, v26 bitop3:0x40
; %bb.969:                              ;   in Loop: Header=BB251_552 Depth=1
	s_or_b32 exec_lo, exec_lo, s17
	s_delay_alu instid0(VALU_DEP_1) | instskip(NEXT) | instid1(VALU_DEP_2)
	v_dual_lshlrev_b32 v10, 8, v10 :: v_dual_lshlrev_b32 v23, 7, v23
	v_lshl_add_u32 v24, v24, 10, 0x2000
	s_delay_alu instid0(VALU_DEP_2) | instskip(NEXT) | instid1(VALU_DEP_2)
	v_and_b32_e32 v10, 0x8000, v10
	v_and_b32_e32 v24, 0xfc00, v24
	s_delay_alu instid0(VALU_DEP_1)
	v_or3_b32 v23, v10, v24, v23
.LBB251_970:                            ;   in Loop: Header=BB251_552 Depth=1
	s_or_b32 exec_lo, exec_lo, s16
.LBB251_971:                            ;   in Loop: Header=BB251_552 Depth=1
	s_delay_alu instid0(SALU_CYCLE_1)
	s_or_b32 exec_lo, exec_lo, s15
.LBB251_972:                            ;   in Loop: Header=BB251_552 Depth=1
	s_delay_alu instid0(SALU_CYCLE_1) | instskip(NEXT) | instid1(SALU_CYCLE_1)
	s_or_b32 exec_lo, exec_lo, s14
	s_mov_b32 s14, exec_lo
	v_cmpx_lt_u32_e32 0xffffff, v20
	s_cbranch_execz .LBB251_980
; %bb.973:                              ;   in Loop: Header=BB251_552 Depth=1
	v_lshrrev_b32_e32 v10, 24, v20
	v_bfrev_b32_e32 v22, 1
	s_mov_b32 s15, exec_lo
	s_delay_alu instid0(VALU_DEP_2)
	v_cmpx_ne_u32_e32 0x80, v10
	s_cbranch_execz .LBB251_979
; %bb.974:                              ;   in Loop: Header=BB251_552 Depth=1
	v_and_b32_e32 v25, 0x7f, v10
	v_mov_b32_e32 v22, 0x7c010000
	s_mov_b32 s16, exec_lo
	s_delay_alu instid0(VALU_DEP_2)
	v_cmpx_ne_u32_e32 0x7f, v25
	s_cbranch_execz .LBB251_978
; %bb.975:                              ;   in Loop: Header=BB251_552 Depth=1
	v_dual_lshrrev_b32 v24, 3, v25 :: v_dual_bitop2_b32 v22, 7, v10 bitop3:0x40
	s_mov_b32 s17, exec_lo
	v_cmpx_gt_u32_e32 8, v25
; %bb.976:                              ;   in Loop: Header=BB251_552 Depth=1
	s_delay_alu instid0(VALU_DEP_2) | instskip(NEXT) | instid1(VALU_DEP_1)
	v_clz_i32_u32_e32 v22, v22
	v_min_u32_e32 v22, 32, v22
	s_delay_alu instid0(VALU_DEP_1) | instskip(NEXT) | instid1(VALU_DEP_1)
	v_subrev_nc_u32_e32 v24, 28, v22
	v_lshlrev_b64_e32 v[26:27], v24, v[10:11]
	v_sub_nc_u32_e32 v24, 29, v22
	s_delay_alu instid0(VALU_DEP_2)
	v_and_b32_e32 v22, 7, v26
; %bb.977:                              ;   in Loop: Header=BB251_552 Depth=1
	s_or_b32 exec_lo, exec_lo, s17
	v_lshlrev_b32_e32 v10, 8, v10
	s_delay_alu instid0(VALU_DEP_3) | instskip(NEXT) | instid1(VALU_DEP_3)
	v_lshl_add_u32 v24, v24, 10, 0x2000
	v_lshlrev_b32_e32 v22, 23, v22
	s_delay_alu instid0(VALU_DEP_2) | instskip(NEXT) | instid1(VALU_DEP_1)
	v_and_or_b32 v10, 0x8000, v10, v24
	v_lshl_or_b32 v22, v10, 16, v22
.LBB251_978:                            ;   in Loop: Header=BB251_552 Depth=1
	s_or_b32 exec_lo, exec_lo, s16
.LBB251_979:                            ;   in Loop: Header=BB251_552 Depth=1
	s_delay_alu instid0(SALU_CYCLE_1)
	s_or_b32 exec_lo, exec_lo, s15
.LBB251_980:                            ;   in Loop: Header=BB251_552 Depth=1
	s_delay_alu instid0(SALU_CYCLE_1) | instskip(SKIP_4) | instid1(VALU_DEP_3)
	s_or_b32 exec_lo, exec_lo, s14
	v_and_b32_e32 v26, 0xff, v21
	v_dual_mov_b32 v10, v21 :: v_dual_mov_b32 v25, 0
	v_mov_b32_e32 v24, 0
	s_mov_b32 s14, exec_lo
	v_cmpx_ne_u16_e32 0, v26
	s_cbranch_execz .LBB251_988
; %bb.981:                              ;   in Loop: Header=BB251_552 Depth=1
	v_mov_b32_e32 v24, 0x8000
	s_mov_b32 s15, exec_lo
	v_cmpx_ne_u16_e32 0x80, v26
	s_cbranch_execz .LBB251_987
; %bb.982:                              ;   in Loop: Header=BB251_552 Depth=1
	v_and_b32_e32 v27, 0x7f, v21
	v_mov_b32_e32 v24, 0x7c01
	s_mov_b32 s16, exec_lo
	s_delay_alu instid0(VALU_DEP_2)
	v_cmpx_ne_u32_e32 0x7f, v27
	s_cbranch_execz .LBB251_986
; %bb.983:                              ;   in Loop: Header=BB251_552 Depth=1
	v_dual_lshrrev_b32 v26, 3, v27 :: v_dual_bitop2_b32 v24, 7, v21 bitop3:0x40
	s_mov_b32 s17, exec_lo
	v_cmpx_gt_u32_e32 8, v27
; %bb.984:                              ;   in Loop: Header=BB251_552 Depth=1
	s_delay_alu instid0(VALU_DEP_2) | instskip(NEXT) | instid1(VALU_DEP_1)
	v_clz_i32_u32_e32 v24, v24
	v_min_u32_e32 v24, 32, v24
	s_delay_alu instid0(VALU_DEP_1) | instskip(NEXT) | instid1(VALU_DEP_1)
	v_subrev_nc_u32_e32 v26, 28, v24
	v_lshlrev_b64_e32 v[40:41], v26, v[10:11]
	v_sub_nc_u32_e32 v26, 29, v24
	s_delay_alu instid0(VALU_DEP_2)
	v_and_b32_e32 v24, 7, v40
; %bb.985:                              ;   in Loop: Header=BB251_552 Depth=1
	s_or_b32 exec_lo, exec_lo, s17
	s_delay_alu instid0(VALU_DEP_1) | instskip(NEXT) | instid1(VALU_DEP_3)
	v_dual_lshlrev_b32 v27, 8, v21 :: v_dual_lshlrev_b32 v24, 7, v24
	v_lshl_add_u32 v26, v26, 10, 0x2000
	s_delay_alu instid0(VALU_DEP_2) | instskip(NEXT) | instid1(VALU_DEP_2)
	v_and_b32_e32 v27, 0x8000, v27
	v_and_b32_e32 v26, 0xfc00, v26
	s_delay_alu instid0(VALU_DEP_1)
	v_or3_b32 v24, v27, v26, v24
.LBB251_986:                            ;   in Loop: Header=BB251_552 Depth=1
	s_or_b32 exec_lo, exec_lo, s16
.LBB251_987:                            ;   in Loop: Header=BB251_552 Depth=1
	s_delay_alu instid0(SALU_CYCLE_1)
	s_or_b32 exec_lo, exec_lo, s15
.LBB251_988:                            ;   in Loop: Header=BB251_552 Depth=1
	s_delay_alu instid0(SALU_CYCLE_1) | instskip(SKIP_3) | instid1(VALU_DEP_2)
	s_or_b32 exec_lo, exec_lo, s14
	v_lshrrev_b16 v10, 8, v10
	v_mov_b32_e32 v26, 0
	s_mov_b32 s14, exec_lo
	v_cmpx_ne_u16_e32 0, v10
	s_cbranch_execz .LBB251_996
; %bb.989:                              ;   in Loop: Header=BB251_552 Depth=1
	v_bfrev_b32_e32 v26, 1
	s_mov_b32 s15, exec_lo
	v_cmpx_ne_u16_e32 0x80, v10
	s_cbranch_execz .LBB251_995
; %bb.990:                              ;   in Loop: Header=BB251_552 Depth=1
	v_and_b32_e32 v27, 0xffff, v10
	v_mov_b32_e32 v26, 0x7c010000
	s_mov_b32 s16, exec_lo
	s_delay_alu instid0(VALU_DEP_2) | instskip(NEXT) | instid1(VALU_DEP_1)
	v_and_b32_e32 v41, 0x7f, v27
	v_cmpx_ne_u32_e32 0x7f, v41
	s_cbranch_execz .LBB251_994
; %bb.991:                              ;   in Loop: Header=BB251_552 Depth=1
	v_dual_lshrrev_b32 v40, 3, v41 :: v_dual_bitop2_b32 v26, 7, v27 bitop3:0x40
	s_mov_b32 s17, exec_lo
	v_cmpx_gt_u32_e32 8, v41
; %bb.992:                              ;   in Loop: Header=BB251_552 Depth=1
	s_delay_alu instid0(VALU_DEP_2) | instskip(NEXT) | instid1(VALU_DEP_1)
	v_clz_i32_u32_e32 v26, v26
	v_min_u32_e32 v26, 32, v26
	s_delay_alu instid0(VALU_DEP_1) | instskip(NEXT) | instid1(VALU_DEP_1)
	v_subrev_nc_u32_e32 v40, 28, v26
	v_lshlrev_b64_e32 v[58:59], v40, v[10:11]
	v_sub_nc_u32_e32 v40, 29, v26
	s_delay_alu instid0(VALU_DEP_2)
	v_and_b32_e32 v26, 7, v58
; %bb.993:                              ;   in Loop: Header=BB251_552 Depth=1
	s_or_b32 exec_lo, exec_lo, s17
	s_delay_alu instid0(VALU_DEP_1) | instskip(NEXT) | instid1(VALU_DEP_3)
	v_dual_lshlrev_b32 v10, 8, v27 :: v_dual_lshlrev_b32 v26, 23, v26
	v_lshl_add_u32 v27, v40, 10, 0x2000
	s_delay_alu instid0(VALU_DEP_1) | instskip(NEXT) | instid1(VALU_DEP_1)
	v_and_or_b32 v10, 0x8000, v10, v27
	v_lshl_or_b32 v26, v10, 16, v26
.LBB251_994:                            ;   in Loop: Header=BB251_552 Depth=1
	s_or_b32 exec_lo, exec_lo, s16
.LBB251_995:                            ;   in Loop: Header=BB251_552 Depth=1
	s_delay_alu instid0(SALU_CYCLE_1)
	s_or_b32 exec_lo, exec_lo, s15
.LBB251_996:                            ;   in Loop: Header=BB251_552 Depth=1
	s_delay_alu instid0(SALU_CYCLE_1) | instskip(SKIP_2) | instid1(VALU_DEP_1)
	s_or_b32 exec_lo, exec_lo, s14
	v_lshrrev_b32_e32 v10, 16, v21
	s_mov_b32 s14, exec_lo
	v_and_b32_e32 v27, 0xff, v10
	s_delay_alu instid0(VALU_DEP_1)
	v_cmpx_ne_u16_e32 0, v27
	s_cbranch_execz .LBB251_1004
; %bb.997:                              ;   in Loop: Header=BB251_552 Depth=1
	v_mov_b32_e32 v25, 0x8000
	s_mov_b32 s15, exec_lo
	v_cmpx_ne_u16_e32 0x80, v27
	s_cbranch_execz .LBB251_1003
; %bb.998:                              ;   in Loop: Header=BB251_552 Depth=1
	v_bfe_u32 v40, v21, 16, 7
	v_mov_b32_e32 v25, 0x7c01
	s_mov_b32 s16, exec_lo
	s_delay_alu instid0(VALU_DEP_2)
	v_cmpx_ne_u32_e32 0x7f, v40
	s_cbranch_execz .LBB251_1002
; %bb.999:                              ;   in Loop: Header=BB251_552 Depth=1
	v_dual_lshrrev_b32 v27, 3, v40 :: v_dual_bitop2_b32 v25, 7, v10 bitop3:0x40
	s_mov_b32 s17, exec_lo
	v_cmpx_gt_u32_e32 8, v40
; %bb.1000:                             ;   in Loop: Header=BB251_552 Depth=1
	s_delay_alu instid0(VALU_DEP_2) | instskip(NEXT) | instid1(VALU_DEP_1)
	v_clz_i32_u32_e32 v25, v25
	v_min_u32_e32 v25, 32, v25
	s_delay_alu instid0(VALU_DEP_1) | instskip(NEXT) | instid1(VALU_DEP_1)
	v_subrev_nc_u32_e32 v27, 28, v25
	v_lshlrev_b64_e32 v[40:41], v27, v[10:11]
	s_delay_alu instid0(VALU_DEP_1)
	v_dual_sub_nc_u32 v27, 29, v25 :: v_dual_bitop2_b32 v25, 7, v40 bitop3:0x40
; %bb.1001:                             ;   in Loop: Header=BB251_552 Depth=1
	s_or_b32 exec_lo, exec_lo, s17
	s_delay_alu instid0(VALU_DEP_1) | instskip(NEXT) | instid1(VALU_DEP_2)
	v_dual_lshlrev_b32 v10, 8, v10 :: v_dual_lshlrev_b32 v25, 7, v25
	v_lshl_add_u32 v27, v27, 10, 0x2000
	s_delay_alu instid0(VALU_DEP_2) | instskip(NEXT) | instid1(VALU_DEP_2)
	v_and_b32_e32 v10, 0x8000, v10
	v_and_b32_e32 v27, 0xfc00, v27
	s_delay_alu instid0(VALU_DEP_1)
	v_or3_b32 v25, v10, v27, v25
.LBB251_1002:                           ;   in Loop: Header=BB251_552 Depth=1
	s_or_b32 exec_lo, exec_lo, s16
.LBB251_1003:                           ;   in Loop: Header=BB251_552 Depth=1
	s_delay_alu instid0(SALU_CYCLE_1)
	s_or_b32 exec_lo, exec_lo, s15
.LBB251_1004:                           ;   in Loop: Header=BB251_552 Depth=1
	s_delay_alu instid0(SALU_CYCLE_1)
	s_or_b32 exec_lo, exec_lo, s14
	v_cmp_lt_u64_e64 s0, s[2:3], v[20:21]
	v_mov_b32_e32 v20, 0
	s_and_saveexec_b32 s14, s0
	s_cbranch_execz .LBB251_1012
; %bb.1005:                             ;   in Loop: Header=BB251_552 Depth=1
	v_lshrrev_b32_e32 v10, 24, v21
	v_bfrev_b32_e32 v20, 1
	s_mov_b32 s15, exec_lo
	s_delay_alu instid0(VALU_DEP_2)
	v_cmpx_ne_u32_e32 0x80, v10
	s_cbranch_execz .LBB251_1011
; %bb.1006:                             ;   in Loop: Header=BB251_552 Depth=1
	v_and_b32_e32 v27, 0x7f, v10
	v_mov_b32_e32 v20, 0x7c010000
	s_mov_b32 s16, exec_lo
	s_delay_alu instid0(VALU_DEP_2)
	v_cmpx_ne_u32_e32 0x7f, v27
	s_cbranch_execz .LBB251_1010
; %bb.1007:                             ;   in Loop: Header=BB251_552 Depth=1
	v_dual_lshrrev_b32 v21, 3, v27 :: v_dual_bitop2_b32 v20, 7, v10 bitop3:0x40
	s_mov_b32 s17, exec_lo
	v_cmpx_gt_u32_e32 8, v27
; %bb.1008:                             ;   in Loop: Header=BB251_552 Depth=1
	s_delay_alu instid0(VALU_DEP_2) | instskip(NEXT) | instid1(VALU_DEP_1)
	v_clz_i32_u32_e32 v20, v20
	v_min_u32_e32 v27, 32, v20
	s_delay_alu instid0(VALU_DEP_1) | instskip(NEXT) | instid1(VALU_DEP_1)
	v_subrev_nc_u32_e32 v20, 28, v27
	v_lshlrev_b64_e32 v[20:21], v20, v[10:11]
	s_delay_alu instid0(VALU_DEP_1)
	v_dual_sub_nc_u32 v21, 29, v27 :: v_dual_bitop2_b32 v20, 7, v20 bitop3:0x40
; %bb.1009:                             ;   in Loop: Header=BB251_552 Depth=1
	s_or_b32 exec_lo, exec_lo, s17
	s_delay_alu instid0(VALU_DEP_1) | instskip(NEXT) | instid1(VALU_DEP_2)
	v_dual_lshlrev_b32 v10, 8, v10 :: v_dual_lshlrev_b32 v20, 23, v20
	v_lshl_add_u32 v21, v21, 10, 0x2000
	s_delay_alu instid0(VALU_DEP_1) | instskip(NEXT) | instid1(VALU_DEP_1)
	v_and_or_b32 v10, 0x8000, v10, v21
	v_lshl_or_b32 v20, v10, 16, v20
.LBB251_1010:                           ;   in Loop: Header=BB251_552 Depth=1
	s_or_b32 exec_lo, exec_lo, s16
.LBB251_1011:                           ;   in Loop: Header=BB251_552 Depth=1
	s_delay_alu instid0(SALU_CYCLE_1)
	s_or_b32 exec_lo, exec_lo, s15
.LBB251_1012:                           ;   in Loop: Header=BB251_552 Depth=1
	s_delay_alu instid0(SALU_CYCLE_1) | instskip(SKIP_3) | instid1(VALU_DEP_3)
	s_or_b32 exec_lo, exec_lo, s14
	v_dual_lshrrev_b32 v10, 16, v1 :: v_dual_lshrrev_b32 v21, 16, v22
	v_or_b32_e32 v1, v1, v19
	v_dual_lshrrev_b32 v27, 16, v20 :: v_dual_bitop2_b32 v19, v22, v23 bitop3:0x54
	v_cvt_f32_f16_e32 v23, v10
	s_delay_alu instid0(VALU_DEP_4) | instskip(SKIP_1) | instid1(VALU_DEP_4)
	v_cvt_f32_f16_e32 v22, v21
	v_dual_lshrrev_b32 v25, 16, v26 :: v_dual_bitop2_b32 v10, v20, v25 bitop3:0x54
	v_cvt_f32_f16_e32 v20, v19
	v_cvt_f32_f16_e32 v21, v1
	s_wait_loadcnt 0x0
	v_pk_mul_f32 v[22:23], v[18:19], v[22:23] op_sel_hi:[0,1]
	v_cvt_f32_f16_e32 v25, v25
	s_delay_alu instid0(VALU_DEP_2) | instskip(SKIP_3) | instid1(VALU_DEP_3)
	v_cvt_pk_f16_f32 v1, v22, v23
	v_or_b32_e32 v19, v26, v24
	v_cvt_f32_f16_e32 v24, v27
	v_cvt_f32_f16_e32 v26, v10
	v_pk_mul_f32 v[20:21], v[18:19], v[20:21] op_sel_hi:[0,1]
	s_delay_alu instid0(VALU_DEP_1) | instskip(SKIP_4) | instid1(VALU_DEP_3)
	v_cvt_pk_f16_f32 v10, v20, v21
	v_lshlrev_b32_e32 v20, 16, v1
	v_cvt_f32_f16_e32 v27, v19
	v_pk_mul_f32 v[22:23], v[18:19], v[24:25] op_sel_hi:[0,1]
	v_and_b32_e32 v21, 0xffff0000, v1
	v_pk_mul_f32 v[18:19], v[18:19], v[26:27] op_sel_hi:[0,1]
	s_delay_alu instid0(VALU_DEP_3) | instskip(SKIP_1) | instid1(VALU_DEP_3)
	v_cvt_pk_f16_f32 v22, v22, v23
	v_and_b32_e32 v26, 0xffff, v10
	v_cvt_pk_f16_f32 v18, v18, v19
	s_delay_alu instid0(VALU_DEP_3) | instskip(NEXT) | instid1(VALU_DEP_3)
	v_and_b32_e32 v1, 0xffff0000, v22
	v_or_b32_e32 v24, v20, v26
	s_delay_alu instid0(VALU_DEP_3) | instskip(SKIP_2) | instid1(VALU_DEP_3)
	v_lshrrev_b32_e32 v19, 16, v18
	v_lshrrev_b32_e32 v27, 16, v10
	v_and_b32_e32 v18, 0xffff, v18
	v_dual_lshlrev_b32 v10, 16, v22 :: v_dual_bitop2_b32 v23, v1, v19 bitop3:0x54
	s_delay_alu instid0(VALU_DEP_3) | instskip(NEXT) | instid1(VALU_DEP_2)
	v_or_b32_e32 v25, v21, v27
	v_or_b32_e32 v22, v10, v18
	s_and_saveexec_b32 s14, vcc_lo
	s_cbranch_execz .LBB251_1014
; %bb.1013:                             ;   in Loop: Header=BB251_552 Depth=1
	v_cmp_gt_i32_e64 s0, s9, v30
	s_delay_alu instid0(VALU_DEP_1) | instskip(SKIP_1) | instid1(VALU_DEP_1)
	v_cndmask_b32_e64 v22, 0, v27, s0
	v_cmp_gt_i32_e64 s0, s23, v39
	v_cndmask_b32_e64 v23, 0, v26, s0
	v_cmp_gt_i32_e64 s0, s9, v38
	s_delay_alu instid0(VALU_DEP_1) | instskip(SKIP_1) | instid1(VALU_DEP_1)
	v_cndmask_b32_e64 v21, 0, v21, s0
	v_cmp_gt_i32_e64 s0, s23, v37
	v_cndmask_b32_e64 v20, 0, v20, s0
	v_cmp_gt_i32_e64 s0, s9, v36
	s_delay_alu instid0(VALU_DEP_4) | instskip(NEXT) | instid1(VALU_DEP_3)
	v_or_b32_e32 v25, v21, v22
	v_or_b32_e32 v24, v20, v23
	s_delay_alu instid0(VALU_DEP_3) | instskip(SKIP_1) | instid1(VALU_DEP_1)
	v_cndmask_b32_e64 v19, 0, v19, s0
	v_cmp_gt_i32_e64 s0, s23, v35
	v_cndmask_b32_e64 v18, 0, v18, s0
	v_cmp_gt_i32_e64 s0, s9, v34
	s_delay_alu instid0(VALU_DEP_1) | instskip(SKIP_1) | instid1(VALU_DEP_1)
	v_cndmask_b32_e64 v1, 0, v1, s0
	v_cmp_gt_i32_e64 s0, s23, v33
	v_dual_cndmask_b32 v10, 0, v10, s0 :: v_dual_bitop2_b32 v23, v1, v19 bitop3:0x54
	s_delay_alu instid0(VALU_DEP_1)
	v_or_b32_e32 v22, v10, v18
.LBB251_1014:                           ;   in Loop: Header=BB251_552 Depth=1
	s_or_b32 exec_lo, exec_lo, s14
	;;#ASMSTART
	v_pk_mul_f16 v1, v45, v25;

	;;#ASMEND
	;;#ASMSTART
	v_pk_mul_f16 v10, v44, v24;

	;;#ASMEND
	;; [unrolled: 4-line block ×4, first 2 shown]
	;;#ASMSTART
	v_pk_add_f16 v1, v1, v10;

	;;#ASMEND
	;;#ASMSTART
	v_pk_add_f16 v1, v1, v18;

	;;#ASMEND
	;; [unrolled: 4-line block ×3, first 2 shown]
	v_and_b32_e32 v10, 0xffff, v1
	v_lshrrev_b32_e32 v1, 16, v1
	;;#ASMSTART
	v_cvt_f32_f16 v40, v10;
	;;#ASMEND
	;;#ASMSTART
	v_cvt_f32_f16 v41, v1;
	;;#ASMEND
	global_load_b64 v[18:19], v[16:17], off offset:1792
	s_wait_xcnt 0x0
	v_dual_mov_b32 v1, 0 :: v_dual_mov_b32 v17, 0
	s_mov_b32 s14, exec_lo
	global_load_b32 v16, v1, s[10:11]
	s_wait_loadcnt 0x1
	v_and_b32_e32 v10, 0xff, v18
	s_wait_xcnt 0x0
	s_delay_alu instid0(VALU_DEP_1)
	v_cmpx_ne_u16_e32 0, v10
	s_cbranch_execz .LBB251_1022
; %bb.1015:                             ;   in Loop: Header=BB251_552 Depth=1
	v_mov_b32_e32 v17, 0x8000
	s_mov_b32 s15, exec_lo
	v_cmpx_ne_u16_e32 0x80, v10
	s_cbranch_execz .LBB251_1021
; %bb.1016:                             ;   in Loop: Header=BB251_552 Depth=1
	v_and_b32_e32 v20, 0x7f, v18
	v_mov_b32_e32 v17, 0x7c01
	s_mov_b32 s16, exec_lo
	s_delay_alu instid0(VALU_DEP_2)
	v_cmpx_ne_u32_e32 0x7f, v20
	s_cbranch_execz .LBB251_1020
; %bb.1017:                             ;   in Loop: Header=BB251_552 Depth=1
	v_dual_lshrrev_b32 v17, 3, v20 :: v_dual_bitop2_b32 v10, 7, v18 bitop3:0x40
	s_mov_b32 s17, exec_lo
	v_cmpx_gt_u32_e32 8, v20
; %bb.1018:                             ;   in Loop: Header=BB251_552 Depth=1
	s_delay_alu instid0(VALU_DEP_2) | instskip(NEXT) | instid1(VALU_DEP_1)
	v_clz_i32_u32_e32 v10, v10
	v_min_u32_e32 v10, 32, v10
	s_delay_alu instid0(VALU_DEP_1) | instskip(NEXT) | instid1(VALU_DEP_1)
	v_subrev_nc_u32_e32 v17, 28, v10
	v_lshlrev_b64_e32 v[20:21], v17, v[18:19]
	s_delay_alu instid0(VALU_DEP_1)
	v_dual_sub_nc_u32 v17, 29, v10 :: v_dual_bitop2_b32 v10, 7, v20 bitop3:0x40
; %bb.1019:                             ;   in Loop: Header=BB251_552 Depth=1
	s_or_b32 exec_lo, exec_lo, s17
	v_lshlrev_b32_e32 v20, 8, v18
	s_delay_alu instid0(VALU_DEP_2) | instskip(NEXT) | instid1(VALU_DEP_3)
	v_lshl_add_u32 v17, v17, 10, 0x2000
	v_lshlrev_b32_e32 v10, 7, v10
	s_delay_alu instid0(VALU_DEP_3) | instskip(NEXT) | instid1(VALU_DEP_3)
	v_and_b32_e32 v20, 0x8000, v20
	v_and_b32_e32 v17, 0xfc00, v17
	s_delay_alu instid0(VALU_DEP_1)
	v_or3_b32 v17, v20, v17, v10
.LBB251_1020:                           ;   in Loop: Header=BB251_552 Depth=1
	s_or_b32 exec_lo, exec_lo, s16
.LBB251_1021:                           ;   in Loop: Header=BB251_552 Depth=1
	s_delay_alu instid0(SALU_CYCLE_1)
	s_or_b32 exec_lo, exec_lo, s15
.LBB251_1022:                           ;   in Loop: Header=BB251_552 Depth=1
	s_delay_alu instid0(SALU_CYCLE_1) | instskip(SKIP_2) | instid1(VALU_DEP_1)
	s_or_b32 exec_lo, exec_lo, s14
	v_lshrrev_b16 v10, 8, v18
	s_mov_b32 s14, exec_lo
	v_cmpx_ne_u16_e32 0, v10
	s_cbranch_execz .LBB251_1030
; %bb.1023:                             ;   in Loop: Header=BB251_552 Depth=1
	v_bfrev_b32_e32 v1, 1
	s_mov_b32 s15, exec_lo
	v_cmpx_ne_u16_e32 0x80, v10
	s_cbranch_execz .LBB251_1029
; %bb.1024:                             ;   in Loop: Header=BB251_552 Depth=1
	v_and_b32_e32 v20, 0xffff, v10
	v_mov_b32_e32 v1, 0x7c010000
	s_mov_b32 s16, exec_lo
	s_delay_alu instid0(VALU_DEP_2) | instskip(NEXT) | instid1(VALU_DEP_1)
	v_and_b32_e32 v22, 0x7f, v20
	v_cmpx_ne_u32_e32 0x7f, v22
	s_cbranch_execz .LBB251_1028
; %bb.1025:                             ;   in Loop: Header=BB251_552 Depth=1
	v_dual_lshrrev_b32 v21, 3, v22 :: v_dual_bitop2_b32 v1, 7, v20 bitop3:0x40
	s_mov_b32 s17, exec_lo
	v_cmpx_gt_u32_e32 8, v22
; %bb.1026:                             ;   in Loop: Header=BB251_552 Depth=1
	s_delay_alu instid0(VALU_DEP_2) | instskip(NEXT) | instid1(VALU_DEP_1)
	v_clz_i32_u32_e32 v1, v1
	v_min_u32_e32 v1, 32, v1
	s_delay_alu instid0(VALU_DEP_1) | instskip(NEXT) | instid1(VALU_DEP_1)
	v_subrev_nc_u32_e32 v21, 28, v1
	v_lshlrev_b64_e32 v[22:23], v21, v[10:11]
	s_delay_alu instid0(VALU_DEP_1)
	v_dual_sub_nc_u32 v21, 29, v1 :: v_dual_bitop2_b32 v1, 7, v22 bitop3:0x40
; %bb.1027:                             ;   in Loop: Header=BB251_552 Depth=1
	s_or_b32 exec_lo, exec_lo, s17
	s_delay_alu instid0(VALU_DEP_1) | instskip(NEXT) | instid1(VALU_DEP_2)
	v_dual_lshlrev_b32 v10, 8, v20 :: v_dual_lshlrev_b32 v1, 23, v1
	v_lshl_add_u32 v20, v21, 10, 0x2000
	s_delay_alu instid0(VALU_DEP_1) | instskip(NEXT) | instid1(VALU_DEP_1)
	v_and_or_b32 v10, 0x8000, v10, v20
	v_lshl_or_b32 v1, v10, 16, v1
.LBB251_1028:                           ;   in Loop: Header=BB251_552 Depth=1
	s_or_b32 exec_lo, exec_lo, s16
.LBB251_1029:                           ;   in Loop: Header=BB251_552 Depth=1
	s_delay_alu instid0(SALU_CYCLE_1)
	s_or_b32 exec_lo, exec_lo, s15
.LBB251_1030:                           ;   in Loop: Header=BB251_552 Depth=1
	s_delay_alu instid0(SALU_CYCLE_1) | instskip(SKIP_3) | instid1(VALU_DEP_2)
	s_or_b32 exec_lo, exec_lo, s14
	v_dual_lshrrev_b32 v10, 16, v18 :: v_dual_mov_b32 v20, 0
	v_mov_b32_e32 v21, 0
	s_mov_b32 s14, exec_lo
	v_and_b32_e32 v22, 0xff, v10
	s_delay_alu instid0(VALU_DEP_1)
	v_cmpx_ne_u16_e32 0, v22
	s_cbranch_execz .LBB251_1038
; %bb.1031:                             ;   in Loop: Header=BB251_552 Depth=1
	v_mov_b32_e32 v21, 0x8000
	s_mov_b32 s15, exec_lo
	v_cmpx_ne_u16_e32 0x80, v22
	s_cbranch_execz .LBB251_1037
; %bb.1032:                             ;   in Loop: Header=BB251_552 Depth=1
	v_bfe_u32 v23, v18, 16, 7
	v_mov_b32_e32 v21, 0x7c01
	s_mov_b32 s16, exec_lo
	s_delay_alu instid0(VALU_DEP_2)
	v_cmpx_ne_u32_e32 0x7f, v23
	s_cbranch_execz .LBB251_1036
; %bb.1033:                             ;   in Loop: Header=BB251_552 Depth=1
	v_dual_lshrrev_b32 v22, 3, v23 :: v_dual_bitop2_b32 v21, 7, v10 bitop3:0x40
	s_mov_b32 s17, exec_lo
	v_cmpx_gt_u32_e32 8, v23
; %bb.1034:                             ;   in Loop: Header=BB251_552 Depth=1
	s_delay_alu instid0(VALU_DEP_2) | instskip(NEXT) | instid1(VALU_DEP_1)
	v_clz_i32_u32_e32 v21, v21
	v_min_u32_e32 v21, 32, v21
	s_delay_alu instid0(VALU_DEP_1) | instskip(NEXT) | instid1(VALU_DEP_1)
	v_subrev_nc_u32_e32 v22, 28, v21
	v_lshlrev_b64_e32 v[24:25], v22, v[10:11]
	s_delay_alu instid0(VALU_DEP_1)
	v_dual_sub_nc_u32 v22, 29, v21 :: v_dual_bitop2_b32 v21, 7, v24 bitop3:0x40
; %bb.1035:                             ;   in Loop: Header=BB251_552 Depth=1
	s_or_b32 exec_lo, exec_lo, s17
	s_delay_alu instid0(VALU_DEP_1) | instskip(NEXT) | instid1(VALU_DEP_2)
	v_dual_lshlrev_b32 v10, 8, v10 :: v_dual_lshlrev_b32 v21, 7, v21
	v_lshl_add_u32 v22, v22, 10, 0x2000
	s_delay_alu instid0(VALU_DEP_2) | instskip(NEXT) | instid1(VALU_DEP_2)
	v_and_b32_e32 v10, 0x8000, v10
	v_and_b32_e32 v22, 0xfc00, v22
	s_delay_alu instid0(VALU_DEP_1)
	v_or3_b32 v21, v10, v22, v21
.LBB251_1036:                           ;   in Loop: Header=BB251_552 Depth=1
	s_or_b32 exec_lo, exec_lo, s16
.LBB251_1037:                           ;   in Loop: Header=BB251_552 Depth=1
	s_delay_alu instid0(SALU_CYCLE_1)
	s_or_b32 exec_lo, exec_lo, s15
.LBB251_1038:                           ;   in Loop: Header=BB251_552 Depth=1
	s_delay_alu instid0(SALU_CYCLE_1) | instskip(NEXT) | instid1(SALU_CYCLE_1)
	s_or_b32 exec_lo, exec_lo, s14
	s_mov_b32 s14, exec_lo
	v_cmpx_lt_u32_e32 0xffffff, v18
	s_cbranch_execz .LBB251_1046
; %bb.1039:                             ;   in Loop: Header=BB251_552 Depth=1
	v_lshrrev_b32_e32 v10, 24, v18
	v_bfrev_b32_e32 v20, 1
	s_mov_b32 s15, exec_lo
	s_delay_alu instid0(VALU_DEP_2)
	v_cmpx_ne_u32_e32 0x80, v10
	s_cbranch_execz .LBB251_1045
; %bb.1040:                             ;   in Loop: Header=BB251_552 Depth=1
	v_and_b32_e32 v23, 0x7f, v10
	v_mov_b32_e32 v20, 0x7c010000
	s_mov_b32 s16, exec_lo
	s_delay_alu instid0(VALU_DEP_2)
	v_cmpx_ne_u32_e32 0x7f, v23
	s_cbranch_execz .LBB251_1044
; %bb.1041:                             ;   in Loop: Header=BB251_552 Depth=1
	v_dual_lshrrev_b32 v22, 3, v23 :: v_dual_bitop2_b32 v20, 7, v10 bitop3:0x40
	s_mov_b32 s17, exec_lo
	v_cmpx_gt_u32_e32 8, v23
; %bb.1042:                             ;   in Loop: Header=BB251_552 Depth=1
	s_delay_alu instid0(VALU_DEP_2) | instskip(NEXT) | instid1(VALU_DEP_1)
	v_clz_i32_u32_e32 v20, v20
	v_min_u32_e32 v20, 32, v20
	s_delay_alu instid0(VALU_DEP_1) | instskip(NEXT) | instid1(VALU_DEP_1)
	v_subrev_nc_u32_e32 v22, 28, v20
	v_lshlrev_b64_e32 v[24:25], v22, v[10:11]
	v_sub_nc_u32_e32 v22, 29, v20
	s_delay_alu instid0(VALU_DEP_2)
	v_and_b32_e32 v20, 7, v24
; %bb.1043:                             ;   in Loop: Header=BB251_552 Depth=1
	s_or_b32 exec_lo, exec_lo, s17
	s_delay_alu instid0(VALU_DEP_1) | instskip(NEXT) | instid1(VALU_DEP_3)
	v_dual_lshlrev_b32 v10, 8, v10 :: v_dual_lshlrev_b32 v20, 23, v20
	v_lshl_add_u32 v22, v22, 10, 0x2000
	s_delay_alu instid0(VALU_DEP_1) | instskip(NEXT) | instid1(VALU_DEP_1)
	v_and_or_b32 v10, 0x8000, v10, v22
	v_lshl_or_b32 v20, v10, 16, v20
.LBB251_1044:                           ;   in Loop: Header=BB251_552 Depth=1
	s_or_b32 exec_lo, exec_lo, s16
.LBB251_1045:                           ;   in Loop: Header=BB251_552 Depth=1
	s_delay_alu instid0(SALU_CYCLE_1)
	s_or_b32 exec_lo, exec_lo, s15
.LBB251_1046:                           ;   in Loop: Header=BB251_552 Depth=1
	s_delay_alu instid0(SALU_CYCLE_1) | instskip(SKIP_4) | instid1(VALU_DEP_3)
	s_or_b32 exec_lo, exec_lo, s14
	v_and_b32_e32 v24, 0xff, v19
	v_dual_mov_b32 v10, v19 :: v_dual_mov_b32 v23, 0
	v_mov_b32_e32 v22, 0
	s_mov_b32 s14, exec_lo
	v_cmpx_ne_u16_e32 0, v24
	s_cbranch_execz .LBB251_1054
; %bb.1047:                             ;   in Loop: Header=BB251_552 Depth=1
	v_mov_b32_e32 v22, 0x8000
	s_mov_b32 s15, exec_lo
	v_cmpx_ne_u16_e32 0x80, v24
	s_cbranch_execz .LBB251_1053
; %bb.1048:                             ;   in Loop: Header=BB251_552 Depth=1
	v_and_b32_e32 v25, 0x7f, v19
	v_mov_b32_e32 v22, 0x7c01
	s_mov_b32 s16, exec_lo
	s_delay_alu instid0(VALU_DEP_2)
	v_cmpx_ne_u32_e32 0x7f, v25
	s_cbranch_execz .LBB251_1052
; %bb.1049:                             ;   in Loop: Header=BB251_552 Depth=1
	v_dual_lshrrev_b32 v24, 3, v25 :: v_dual_bitop2_b32 v22, 7, v19 bitop3:0x40
	s_mov_b32 s17, exec_lo
	v_cmpx_gt_u32_e32 8, v25
; %bb.1050:                             ;   in Loop: Header=BB251_552 Depth=1
	s_delay_alu instid0(VALU_DEP_2) | instskip(NEXT) | instid1(VALU_DEP_1)
	v_clz_i32_u32_e32 v22, v22
	v_min_u32_e32 v22, 32, v22
	s_delay_alu instid0(VALU_DEP_1) | instskip(NEXT) | instid1(VALU_DEP_1)
	v_subrev_nc_u32_e32 v24, 28, v22
	v_lshlrev_b64_e32 v[26:27], v24, v[10:11]
	v_sub_nc_u32_e32 v24, 29, v22
	s_delay_alu instid0(VALU_DEP_2)
	v_and_b32_e32 v22, 7, v26
; %bb.1051:                             ;   in Loop: Header=BB251_552 Depth=1
	s_or_b32 exec_lo, exec_lo, s17
	s_delay_alu instid0(VALU_DEP_1) | instskip(NEXT) | instid1(VALU_DEP_3)
	v_dual_lshlrev_b32 v25, 8, v19 :: v_dual_lshlrev_b32 v22, 7, v22
	v_lshl_add_u32 v24, v24, 10, 0x2000
	s_delay_alu instid0(VALU_DEP_2) | instskip(NEXT) | instid1(VALU_DEP_2)
	v_and_b32_e32 v25, 0x8000, v25
	v_and_b32_e32 v24, 0xfc00, v24
	s_delay_alu instid0(VALU_DEP_1)
	v_or3_b32 v22, v25, v24, v22
.LBB251_1052:                           ;   in Loop: Header=BB251_552 Depth=1
	s_or_b32 exec_lo, exec_lo, s16
.LBB251_1053:                           ;   in Loop: Header=BB251_552 Depth=1
	s_delay_alu instid0(SALU_CYCLE_1)
	s_or_b32 exec_lo, exec_lo, s15
.LBB251_1054:                           ;   in Loop: Header=BB251_552 Depth=1
	s_delay_alu instid0(SALU_CYCLE_1) | instskip(SKIP_3) | instid1(VALU_DEP_2)
	s_or_b32 exec_lo, exec_lo, s14
	v_lshrrev_b16 v10, 8, v10
	v_mov_b32_e32 v24, 0
	s_mov_b32 s14, exec_lo
	v_cmpx_ne_u16_e32 0, v10
	s_cbranch_execz .LBB251_1062
; %bb.1055:                             ;   in Loop: Header=BB251_552 Depth=1
	v_bfrev_b32_e32 v24, 1
	s_mov_b32 s15, exec_lo
	v_cmpx_ne_u16_e32 0x80, v10
	s_cbranch_execz .LBB251_1061
; %bb.1056:                             ;   in Loop: Header=BB251_552 Depth=1
	v_and_b32_e32 v25, 0xffff, v10
	v_mov_b32_e32 v24, 0x7c010000
	s_mov_b32 s16, exec_lo
	s_delay_alu instid0(VALU_DEP_2) | instskip(NEXT) | instid1(VALU_DEP_1)
	v_and_b32_e32 v27, 0x7f, v25
	v_cmpx_ne_u32_e32 0x7f, v27
	s_cbranch_execz .LBB251_1060
; %bb.1057:                             ;   in Loop: Header=BB251_552 Depth=1
	v_dual_lshrrev_b32 v26, 3, v27 :: v_dual_bitop2_b32 v24, 7, v25 bitop3:0x40
	s_mov_b32 s17, exec_lo
	v_cmpx_gt_u32_e32 8, v27
; %bb.1058:                             ;   in Loop: Header=BB251_552 Depth=1
	s_delay_alu instid0(VALU_DEP_2) | instskip(NEXT) | instid1(VALU_DEP_1)
	v_clz_i32_u32_e32 v24, v24
	v_min_u32_e32 v24, 32, v24
	s_delay_alu instid0(VALU_DEP_1) | instskip(NEXT) | instid1(VALU_DEP_1)
	v_subrev_nc_u32_e32 v26, 28, v24
	v_lshlrev_b64_e32 v[58:59], v26, v[10:11]
	s_delay_alu instid0(VALU_DEP_1)
	v_dual_sub_nc_u32 v26, 29, v24 :: v_dual_bitop2_b32 v24, 7, v58 bitop3:0x40
; %bb.1059:                             ;   in Loop: Header=BB251_552 Depth=1
	s_or_b32 exec_lo, exec_lo, s17
	s_delay_alu instid0(VALU_DEP_1) | instskip(NEXT) | instid1(VALU_DEP_2)
	v_dual_lshlrev_b32 v10, 8, v25 :: v_dual_lshlrev_b32 v24, 23, v24
	v_lshl_add_u32 v25, v26, 10, 0x2000
	s_delay_alu instid0(VALU_DEP_1) | instskip(NEXT) | instid1(VALU_DEP_1)
	v_and_or_b32 v10, 0x8000, v10, v25
	v_lshl_or_b32 v24, v10, 16, v24
.LBB251_1060:                           ;   in Loop: Header=BB251_552 Depth=1
	s_or_b32 exec_lo, exec_lo, s16
.LBB251_1061:                           ;   in Loop: Header=BB251_552 Depth=1
	s_delay_alu instid0(SALU_CYCLE_1)
	s_or_b32 exec_lo, exec_lo, s15
.LBB251_1062:                           ;   in Loop: Header=BB251_552 Depth=1
	s_delay_alu instid0(SALU_CYCLE_1) | instskip(SKIP_2) | instid1(VALU_DEP_1)
	s_or_b32 exec_lo, exec_lo, s14
	v_lshrrev_b32_e32 v10, 16, v19
	s_mov_b32 s14, exec_lo
	v_and_b32_e32 v25, 0xff, v10
	s_delay_alu instid0(VALU_DEP_1)
	v_cmpx_ne_u16_e32 0, v25
	s_cbranch_execz .LBB251_1070
; %bb.1063:                             ;   in Loop: Header=BB251_552 Depth=1
	v_mov_b32_e32 v23, 0x8000
	s_mov_b32 s15, exec_lo
	v_cmpx_ne_u16_e32 0x80, v25
	s_cbranch_execz .LBB251_1069
; %bb.1064:                             ;   in Loop: Header=BB251_552 Depth=1
	v_bfe_u32 v26, v19, 16, 7
	v_mov_b32_e32 v23, 0x7c01
	s_mov_b32 s16, exec_lo
	s_delay_alu instid0(VALU_DEP_2)
	v_cmpx_ne_u32_e32 0x7f, v26
	s_cbranch_execz .LBB251_1068
; %bb.1065:                             ;   in Loop: Header=BB251_552 Depth=1
	v_and_b32_e32 v23, 7, v10
	v_lshrrev_b32_e32 v25, 3, v26
	s_mov_b32 s17, exec_lo
	v_cmpx_gt_u32_e32 8, v26
; %bb.1066:                             ;   in Loop: Header=BB251_552 Depth=1
	s_delay_alu instid0(VALU_DEP_3) | instskip(NEXT) | instid1(VALU_DEP_1)
	v_clz_i32_u32_e32 v23, v23
	v_min_u32_e32 v23, 32, v23
	s_delay_alu instid0(VALU_DEP_1) | instskip(NEXT) | instid1(VALU_DEP_1)
	v_subrev_nc_u32_e32 v25, 28, v23
	v_lshlrev_b64_e32 v[26:27], v25, v[10:11]
	s_delay_alu instid0(VALU_DEP_1)
	v_dual_sub_nc_u32 v25, 29, v23 :: v_dual_bitop2_b32 v23, 7, v26 bitop3:0x40
; %bb.1067:                             ;   in Loop: Header=BB251_552 Depth=1
	s_or_b32 exec_lo, exec_lo, s17
	s_delay_alu instid0(VALU_DEP_1) | instskip(NEXT) | instid1(VALU_DEP_2)
	v_dual_lshlrev_b32 v10, 8, v10 :: v_dual_lshlrev_b32 v23, 7, v23
	v_lshl_add_u32 v25, v25, 10, 0x2000
	s_delay_alu instid0(VALU_DEP_2) | instskip(NEXT) | instid1(VALU_DEP_2)
	v_and_b32_e32 v10, 0x8000, v10
	v_and_b32_e32 v25, 0xfc00, v25
	s_delay_alu instid0(VALU_DEP_1)
	v_or3_b32 v23, v10, v25, v23
.LBB251_1068:                           ;   in Loop: Header=BB251_552 Depth=1
	s_or_b32 exec_lo, exec_lo, s16
.LBB251_1069:                           ;   in Loop: Header=BB251_552 Depth=1
	s_delay_alu instid0(SALU_CYCLE_1)
	s_or_b32 exec_lo, exec_lo, s15
.LBB251_1070:                           ;   in Loop: Header=BB251_552 Depth=1
	s_delay_alu instid0(SALU_CYCLE_1)
	s_or_b32 exec_lo, exec_lo, s14
	v_cmp_lt_u64_e64 s0, s[2:3], v[18:19]
	v_mov_b32_e32 v18, 0
	s_and_saveexec_b32 s14, s0
	s_cbranch_execz .LBB251_1078
; %bb.1071:                             ;   in Loop: Header=BB251_552 Depth=1
	v_lshrrev_b32_e32 v10, 24, v19
	v_bfrev_b32_e32 v18, 1
	s_mov_b32 s15, exec_lo
	s_delay_alu instid0(VALU_DEP_2)
	v_cmpx_ne_u32_e32 0x80, v10
	s_cbranch_execz .LBB251_1077
; %bb.1072:                             ;   in Loop: Header=BB251_552 Depth=1
	v_and_b32_e32 v25, 0x7f, v10
	v_mov_b32_e32 v18, 0x7c010000
	s_mov_b32 s16, exec_lo
	s_delay_alu instid0(VALU_DEP_2)
	v_cmpx_ne_u32_e32 0x7f, v25
	s_cbranch_execz .LBB251_1076
; %bb.1073:                             ;   in Loop: Header=BB251_552 Depth=1
	v_dual_lshrrev_b32 v19, 3, v25 :: v_dual_bitop2_b32 v18, 7, v10 bitop3:0x40
	s_mov_b32 s17, exec_lo
	v_cmpx_gt_u32_e32 8, v25
; %bb.1074:                             ;   in Loop: Header=BB251_552 Depth=1
	s_delay_alu instid0(VALU_DEP_2) | instskip(NEXT) | instid1(VALU_DEP_1)
	v_clz_i32_u32_e32 v18, v18
	v_min_u32_e32 v25, 32, v18
	s_delay_alu instid0(VALU_DEP_1) | instskip(NEXT) | instid1(VALU_DEP_1)
	v_subrev_nc_u32_e32 v18, 28, v25
	v_lshlrev_b64_e32 v[18:19], v18, v[10:11]
	s_delay_alu instid0(VALU_DEP_1)
	v_dual_sub_nc_u32 v19, 29, v25 :: v_dual_bitop2_b32 v18, 7, v18 bitop3:0x40
; %bb.1075:                             ;   in Loop: Header=BB251_552 Depth=1
	s_or_b32 exec_lo, exec_lo, s17
	v_lshlrev_b32_e32 v10, 8, v10
	s_delay_alu instid0(VALU_DEP_2) | instskip(NEXT) | instid1(VALU_DEP_3)
	v_lshl_add_u32 v19, v19, 10, 0x2000
	v_lshlrev_b32_e32 v18, 23, v18
	s_delay_alu instid0(VALU_DEP_2) | instskip(NEXT) | instid1(VALU_DEP_1)
	v_and_or_b32 v10, 0x8000, v10, v19
	v_lshl_or_b32 v18, v10, 16, v18
.LBB251_1076:                           ;   in Loop: Header=BB251_552 Depth=1
	s_or_b32 exec_lo, exec_lo, s16
.LBB251_1077:                           ;   in Loop: Header=BB251_552 Depth=1
	s_delay_alu instid0(SALU_CYCLE_1)
	s_or_b32 exec_lo, exec_lo, s15
.LBB251_1078:                           ;   in Loop: Header=BB251_552 Depth=1
	s_delay_alu instid0(SALU_CYCLE_1) | instskip(SKIP_3) | instid1(VALU_DEP_3)
	s_or_b32 exec_lo, exec_lo, s14
	v_dual_lshrrev_b32 v10, 16, v1 :: v_dual_lshrrev_b32 v19, 16, v20
	v_or_b32_e32 v1, v1, v17
	v_dual_lshrrev_b32 v25, 16, v18 :: v_dual_bitop2_b32 v17, v20, v21 bitop3:0x54
	v_cvt_f32_f16_e32 v21, v10
	s_delay_alu instid0(VALU_DEP_4) | instskip(SKIP_1) | instid1(VALU_DEP_4)
	v_cvt_f32_f16_e32 v20, v19
	v_dual_lshrrev_b32 v23, 16, v24 :: v_dual_bitop2_b32 v10, v18, v23 bitop3:0x54
	v_cvt_f32_f16_e32 v18, v17
	v_cvt_f32_f16_e32 v19, v1
	s_wait_loadcnt 0x0
	v_pk_mul_f32 v[20:21], v[16:17], v[20:21] op_sel_hi:[0,1]
	v_or_b32_e32 v17, v24, v22
	v_cvt_f32_f16_e32 v23, v23
	v_cvt_f32_f16_e32 v22, v25
	s_delay_alu instid0(VALU_DEP_4) | instskip(NEXT) | instid1(VALU_DEP_4)
	v_cvt_pk_f16_f32 v1, v20, v21
	v_cvt_f32_f16_e32 v25, v17
	v_pk_mul_f32 v[18:19], v[16:17], v[18:19] op_sel_hi:[0,1]
	s_delay_alu instid0(VALU_DEP_4) | instskip(NEXT) | instid1(VALU_DEP_4)
	v_pk_mul_f32 v[20:21], v[16:17], v[22:23] op_sel_hi:[0,1]
	v_lshlrev_b32_e32 v22, 16, v1
	v_cvt_f32_f16_e32 v24, v10
	s_delay_alu instid0(VALU_DEP_4) | instskip(SKIP_2) | instid1(VALU_DEP_4)
	v_cvt_pk_f16_f32 v10, v18, v19
	v_and_b32_e32 v23, 0xffff0000, v1
	v_cvt_pk_f16_f32 v18, v20, v21
	v_pk_mul_f32 v[16:17], v[16:17], v[24:25] op_sel_hi:[0,1]
	s_delay_alu instid0(VALU_DEP_4) | instskip(SKIP_1) | instid1(VALU_DEP_4)
	v_and_b32_e32 v24, 0xffff, v10
	v_lshrrev_b32_e32 v25, 16, v10
	v_and_b32_e32 v19, 0xffff0000, v18
	s_delay_alu instid0(VALU_DEP_4) | instskip(NEXT) | instid1(VALU_DEP_4)
	v_cvt_pk_f16_f32 v1, v16, v17
	v_dual_lshlrev_b32 v18, 16, v18 :: v_dual_bitop2_b32 v16, v22, v24 bitop3:0x54
	s_delay_alu instid0(VALU_DEP_4) | instskip(NEXT) | instid1(VALU_DEP_3)
	v_or_b32_e32 v17, v23, v25
	v_lshrrev_b32_e32 v21, 16, v1
	v_and_b32_e32 v20, 0xffff, v1
	s_delay_alu instid0(VALU_DEP_2) | instskip(NEXT) | instid1(VALU_DEP_2)
	v_or_b32_e32 v1, v19, v21
	v_or_b32_e32 v10, v18, v20
	s_and_saveexec_b32 s0, vcc_lo
	s_cbranch_execz .LBB251_551
; %bb.1079:                             ;   in Loop: Header=BB251_552 Depth=1
	v_cmp_gt_i32_e32 vcc_lo, s9, v30
	v_cndmask_b32_e32 v1, 0, v25, vcc_lo
	v_cmp_gt_i32_e32 vcc_lo, s23, v39
	v_cndmask_b32_e32 v10, 0, v24, vcc_lo
	;; [unrolled: 2-line block ×4, first 2 shown]
	v_cmp_gt_i32_e32 vcc_lo, s9, v36
	s_delay_alu instid0(VALU_DEP_4) | instskip(NEXT) | instid1(VALU_DEP_3)
	v_or_b32_e32 v17, v16, v1
	v_dual_cndmask_b32 v21, 0, v21, vcc_lo :: v_dual_bitop2_b32 v16, v22, v10 bitop3:0x54
	v_cmp_gt_i32_e32 vcc_lo, s23, v35
	v_cndmask_b32_e32 v20, 0, v20, vcc_lo
	v_cmp_gt_i32_e32 vcc_lo, s9, v34
	v_cndmask_b32_e32 v19, 0, v19, vcc_lo
	v_cmp_gt_i32_e32 vcc_lo, s23, v33
	s_delay_alu instid0(VALU_DEP_2) | instskip(NEXT) | instid1(VALU_DEP_1)
	v_dual_cndmask_b32 v18, 0, v18, vcc_lo :: v_dual_bitop2_b32 v1, v19, v21 bitop3:0x54
	v_or_b32_e32 v10, v18, v20
	s_branch .LBB251_551
.LBB251_1080:
	s_or_b32 exec_lo, exec_lo, s8
.LBB251_1081:
	s_delay_alu instid0(SALU_CYCLE_1) | instskip(SKIP_4) | instid1(VALU_DEP_2)
	s_or_b32 exec_lo, exec_lo, s1
	v_lshl_add_u32 v10, v29, 2, 0x220
	v_and_b32_e32 v11, 0x3c0, v0
	s_mov_b32 s0, exec_lo
	s_barrier_signal -1
	v_lshl_add_u32 v1, v28, 10, v10
	s_barrier_wait -1
	v_cmpx_eq_u32_e32 64, v11
	s_cbranch_execz .LBB251_1083
; %bb.1082:
	s_delay_alu instid0(VALU_DEP_2)
	v_add_nc_u32_e32 v11, 0xfffff800, v1
	v_add_nc_u32_e32 v12, 0xfffff880, v1
	;; [unrolled: 1-line block ×8, first 2 shown]
	ds_store_b32 v11, v8
	ds_store_b32 v12, v9
	;; [unrolled: 1-line block ×8, first 2 shown]
.LBB251_1083:
	s_or_b32 exec_lo, exec_lo, s0
	s_delay_alu instid0(SALU_CYCLE_1)
	s_mov_b32 s0, exec_lo
	s_wait_dscnt 0x0
	s_barrier_signal -1
	s_barrier_wait -1
	v_cmpx_gt_u32_e32 64, v0
	s_cbranch_execz .LBB251_1085
; %bb.1084:
	ds_load_2addr_b32 v[12:13], v1 offset1:32
	ds_load_2addr_b32 v[14:15], v1 offset0:64 offset1:96
	ds_load_2addr_b32 v[16:17], v1 offset0:128 offset1:160
	;; [unrolled: 1-line block ×3, first 2 shown]
	s_wait_dscnt 0x3
	v_pk_add_f32 v[8:9], v[8:9], v[12:13]
	s_wait_dscnt 0x2
	v_pk_add_f32 v[6:7], v[6:7], v[14:15]
	;; [unrolled: 2-line block ×4, first 2 shown]
.LBB251_1085:
	s_or_b32 exec_lo, exec_lo, s0
	v_and_b32_e32 v11, 0x3e0, v0
	s_mov_b32 s0, exec_lo
	s_barrier_signal -1
	s_barrier_wait -1
	s_delay_alu instid0(VALU_DEP_1)
	v_cmpx_eq_u32_e32 32, v11
	s_cbranch_execz .LBB251_1087
; %bb.1086:
	ds_store_2addr_b32 v10, v8, v9 offset1:32
	ds_store_2addr_b32 v10, v6, v7 offset0:64 offset1:96
	ds_store_2addr_b32 v10, v4, v5 offset0:128 offset1:160
	;; [unrolled: 1-line block ×3, first 2 shown]
.LBB251_1087:
	s_or_b32 exec_lo, exec_lo, s0
	v_cmp_gt_u32_e32 vcc_lo, 32, v0
	s_wait_dscnt 0x0
	s_barrier_signal -1
	s_barrier_wait -1
	s_and_saveexec_b32 s0, vcc_lo
	s_cbranch_execz .LBB251_1089
; %bb.1088:
	ds_load_2addr_b32 v[10:11], v1 offset1:32
	ds_load_2addr_b32 v[12:13], v1 offset0:64 offset1:96
	ds_load_2addr_b32 v[14:15], v1 offset0:128 offset1:160
	;; [unrolled: 1-line block ×3, first 2 shown]
	s_wait_dscnt 0x3
	v_pk_add_f32 v[8:9], v[8:9], v[10:11]
	s_wait_dscnt 0x2
	v_pk_add_f32 v[6:7], v[6:7], v[12:13]
	;; [unrolled: 2-line block ×4, first 2 shown]
.LBB251_1089:
	s_or_b32 exec_lo, exec_lo, s0
	s_barrier_signal -1
	s_barrier_wait -1
	s_and_saveexec_b32 s0, vcc_lo
	s_cbranch_execz .LBB251_1091
; %bb.1090:
	s_mul_i32 s1, s22, s13
	s_bfe_u32 s5, ttmp6, 0x40014
	s_mul_i32 s1, s1, s21
	s_mul_i32 s0, s13, s12
	s_lshl_b32 s2, s1, 8
	s_lshr_b32 s4, ttmp7, 16
	s_ashr_i32 s3, s2, 31
	s_add_co_i32 s5, s5, 1
	s_lshl_b64 s[2:3], s[2:3], 1
	s_ashr_i32 s1, s0, 31
	s_add_nc_u64 s[2:3], s[6:7], s[2:3]
	s_mul_i32 s5, s4, s5
	s_bfe_u32 s6, ttmp6, 0x40008
	s_lshl_b64 s[0:1], s[0:1], 1
	s_add_co_i32 s6, s6, s5
	s_cmp_eq_u32 s20, 0
	s_add_nc_u64 s[0:1], s[2:3], s[0:1]
	s_cselect_b32 s2, s4, s6
	s_mov_b32 s3, 0
	s_lshl_b32 s2, s2, 9
	;;#ASMSTART
	v_cvt_f16_f32 v1, v8;

	;;#ASMEND
	s_add_nc_u64 s[0:1], s[0:1], s[2:3]
	global_store_b16 v0, v1, s[0:1] scale_offset
	s_wait_xcnt 0x0
	;;#ASMSTART
	v_cvt_f16_f32 v1, v9;

	;;#ASMEND
	global_store_b16 v0, v1, s[0:1] offset:64 scale_offset
	s_wait_xcnt 0x0
	;;#ASMSTART
	v_cvt_f16_f32 v1, v6;

	;;#ASMEND
	global_store_b16 v0, v1, s[0:1] offset:128 scale_offset
	;; [unrolled: 6-line block ×7, first 2 shown]
.LBB251_1091:
	s_sendmsg sendmsg(MSG_DEALLOC_VGPRS)
	s_endpgm
	.section	.rodata,"a",@progbits
	.p2align	6, 0x0
	.amdhsa_kernel _ZN4vllm25paged_attention_v1_kernelIthLi256ELi8ELi128ELNS_18Fp8KVCacheDataTypeE1ELb0EEEvPT_PKS2_PKT0_S8_ifPKiSA_iPKfiiiSC_SC_iiiii
		.amdhsa_group_segment_fixed_size 544
		.amdhsa_private_segment_fixed_size 0
		.amdhsa_kernarg_size 384
		.amdhsa_user_sgpr_count 2
		.amdhsa_user_sgpr_dispatch_ptr 0
		.amdhsa_user_sgpr_queue_ptr 0
		.amdhsa_user_sgpr_kernarg_segment_ptr 1
		.amdhsa_user_sgpr_dispatch_id 0
		.amdhsa_user_sgpr_kernarg_preload_length 0
		.amdhsa_user_sgpr_kernarg_preload_offset 0
		.amdhsa_user_sgpr_private_segment_size 0
		.amdhsa_wavefront_size32 1
		.amdhsa_uses_dynamic_stack 0
		.amdhsa_enable_private_segment 0
		.amdhsa_system_sgpr_workgroup_id_x 1
		.amdhsa_system_sgpr_workgroup_id_y 1
		.amdhsa_system_sgpr_workgroup_id_z 1
		.amdhsa_system_sgpr_workgroup_info 0
		.amdhsa_system_vgpr_workitem_id 0
		.amdhsa_next_free_vgpr 123
		.amdhsa_next_free_sgpr 32
		.amdhsa_named_barrier_count 0
		.amdhsa_reserve_vcc 1
		.amdhsa_float_round_mode_32 0
		.amdhsa_float_round_mode_16_64 0
		.amdhsa_float_denorm_mode_32 3
		.amdhsa_float_denorm_mode_16_64 3
		.amdhsa_fp16_overflow 0
		.amdhsa_memory_ordered 1
		.amdhsa_forward_progress 1
		.amdhsa_inst_pref_size 255
		.amdhsa_round_robin_scheduling 0
		.amdhsa_exception_fp_ieee_invalid_op 0
		.amdhsa_exception_fp_denorm_src 0
		.amdhsa_exception_fp_ieee_div_zero 0
		.amdhsa_exception_fp_ieee_overflow 0
		.amdhsa_exception_fp_ieee_underflow 0
		.amdhsa_exception_fp_ieee_inexact 0
		.amdhsa_exception_int_div_zero 0
	.end_amdhsa_kernel
	.section	.text._ZN4vllm25paged_attention_v1_kernelIthLi256ELi8ELi128ELNS_18Fp8KVCacheDataTypeE1ELb0EEEvPT_PKS2_PKT0_S8_ifPKiSA_iPKfiiiSC_SC_iiiii,"axG",@progbits,_ZN4vllm25paged_attention_v1_kernelIthLi256ELi8ELi128ELNS_18Fp8KVCacheDataTypeE1ELb0EEEvPT_PKS2_PKT0_S8_ifPKiSA_iPKfiiiSC_SC_iiiii,comdat
.Lfunc_end251:
	.size	_ZN4vllm25paged_attention_v1_kernelIthLi256ELi8ELi128ELNS_18Fp8KVCacheDataTypeE1ELb0EEEvPT_PKS2_PKT0_S8_ifPKiSA_iPKfiiiSC_SC_iiiii, .Lfunc_end251-_ZN4vllm25paged_attention_v1_kernelIthLi256ELi8ELi128ELNS_18Fp8KVCacheDataTypeE1ELb0EEEvPT_PKS2_PKT0_S8_ifPKiSA_iPKfiiiSC_SC_iiiii
                                        ; -- End function
	.set _ZN4vllm25paged_attention_v1_kernelIthLi256ELi8ELi128ELNS_18Fp8KVCacheDataTypeE1ELb0EEEvPT_PKS2_PKT0_S8_ifPKiSA_iPKfiiiSC_SC_iiiii.num_vgpr, 123
	.set _ZN4vllm25paged_attention_v1_kernelIthLi256ELi8ELi128ELNS_18Fp8KVCacheDataTypeE1ELb0EEEvPT_PKS2_PKT0_S8_ifPKiSA_iPKfiiiSC_SC_iiiii.num_agpr, 0
	.set _ZN4vllm25paged_attention_v1_kernelIthLi256ELi8ELi128ELNS_18Fp8KVCacheDataTypeE1ELb0EEEvPT_PKS2_PKT0_S8_ifPKiSA_iPKfiiiSC_SC_iiiii.numbered_sgpr, 32
	.set _ZN4vllm25paged_attention_v1_kernelIthLi256ELi8ELi128ELNS_18Fp8KVCacheDataTypeE1ELb0EEEvPT_PKS2_PKT0_S8_ifPKiSA_iPKfiiiSC_SC_iiiii.num_named_barrier, 0
	.set _ZN4vllm25paged_attention_v1_kernelIthLi256ELi8ELi128ELNS_18Fp8KVCacheDataTypeE1ELb0EEEvPT_PKS2_PKT0_S8_ifPKiSA_iPKfiiiSC_SC_iiiii.private_seg_size, 0
	.set _ZN4vllm25paged_attention_v1_kernelIthLi256ELi8ELi128ELNS_18Fp8KVCacheDataTypeE1ELb0EEEvPT_PKS2_PKT0_S8_ifPKiSA_iPKfiiiSC_SC_iiiii.uses_vcc, 1
	.set _ZN4vllm25paged_attention_v1_kernelIthLi256ELi8ELi128ELNS_18Fp8KVCacheDataTypeE1ELb0EEEvPT_PKS2_PKT0_S8_ifPKiSA_iPKfiiiSC_SC_iiiii.uses_flat_scratch, 0
	.set _ZN4vllm25paged_attention_v1_kernelIthLi256ELi8ELi128ELNS_18Fp8KVCacheDataTypeE1ELb0EEEvPT_PKS2_PKT0_S8_ifPKiSA_iPKfiiiSC_SC_iiiii.has_dyn_sized_stack, 0
	.set _ZN4vllm25paged_attention_v1_kernelIthLi256ELi8ELi128ELNS_18Fp8KVCacheDataTypeE1ELb0EEEvPT_PKS2_PKT0_S8_ifPKiSA_iPKfiiiSC_SC_iiiii.has_recursion, 0
	.set _ZN4vllm25paged_attention_v1_kernelIthLi256ELi8ELi128ELNS_18Fp8KVCacheDataTypeE1ELb0EEEvPT_PKS2_PKT0_S8_ifPKiSA_iPKfiiiSC_SC_iiiii.has_indirect_call, 0
	.section	.AMDGPU.csdata,"",@progbits
; Kernel info:
; codeLenInByte = 40192
; TotalNumSgprs: 34
; NumVgprs: 123
; ScratchSize: 0
; MemoryBound: 0
; FloatMode: 240
; IeeeMode: 1
; LDSByteSize: 544 bytes/workgroup (compile time only)
; SGPRBlocks: 0
; VGPRBlocks: 7
; NumSGPRsForWavesPerEU: 34
; NumVGPRsForWavesPerEU: 123
; NamedBarCnt: 0
; Occupancy: 8
; WaveLimiterHint : 1
; COMPUTE_PGM_RSRC2:SCRATCH_EN: 0
; COMPUTE_PGM_RSRC2:USER_SGPR: 2
; COMPUTE_PGM_RSRC2:TRAP_HANDLER: 0
; COMPUTE_PGM_RSRC2:TGID_X_EN: 1
; COMPUTE_PGM_RSRC2:TGID_Y_EN: 1
; COMPUTE_PGM_RSRC2:TGID_Z_EN: 1
; COMPUTE_PGM_RSRC2:TIDIG_COMP_CNT: 0
	.section	.text._ZN4vllm25paged_attention_v1_kernelIthLi32ELi16ELi128ELNS_18Fp8KVCacheDataTypeE1ELb1EEEvPT_PKS2_PKT0_S8_ifPKiSA_iPKfiiiSC_SC_iiiii,"axG",@progbits,_ZN4vllm25paged_attention_v1_kernelIthLi32ELi16ELi128ELNS_18Fp8KVCacheDataTypeE1ELb1EEEvPT_PKS2_PKT0_S8_ifPKiSA_iPKfiiiSC_SC_iiiii,comdat
	.protected	_ZN4vllm25paged_attention_v1_kernelIthLi32ELi16ELi128ELNS_18Fp8KVCacheDataTypeE1ELb1EEEvPT_PKS2_PKT0_S8_ifPKiSA_iPKfiiiSC_SC_iiiii ; -- Begin function _ZN4vllm25paged_attention_v1_kernelIthLi32ELi16ELi128ELNS_18Fp8KVCacheDataTypeE1ELb1EEEvPT_PKS2_PKT0_S8_ifPKiSA_iPKfiiiSC_SC_iiiii
	.globl	_ZN4vllm25paged_attention_v1_kernelIthLi32ELi16ELi128ELNS_18Fp8KVCacheDataTypeE1ELb1EEEvPT_PKS2_PKT0_S8_ifPKiSA_iPKfiiiSC_SC_iiiii
	.p2align	8
	.type	_ZN4vllm25paged_attention_v1_kernelIthLi32ELi16ELi128ELNS_18Fp8KVCacheDataTypeE1ELb1EEEvPT_PKS2_PKT0_S8_ifPKiSA_iPKfiiiSC_SC_iiiii,@function
_ZN4vllm25paged_attention_v1_kernelIthLi32ELi16ELi128ELNS_18Fp8KVCacheDataTypeE1ELb1EEEvPT_PKS2_PKT0_S8_ifPKiSA_iPKfiiiSC_SC_iiiii: ; @_ZN4vllm25paged_attention_v1_kernelIthLi32ELi16ELi128ELNS_18Fp8KVCacheDataTypeE1ELb1EEEvPT_PKS2_PKT0_S8_ifPKiSA_iPKfiiiSC_SC_iiiii
; %bb.0:
	s_load_b64 s[26:27], s[0:1], 0x20
	s_bfe_u32 s3, ttmp6, 0x4000c
	s_bfe_u32 s4, ttmp6, 0x40010
	s_and_b32 s6, ttmp7, 0xffff
	s_add_co_i32 s3, s3, 1
	s_add_co_i32 s4, s4, 1
	s_and_b32 s2, ttmp6, 15
	s_bfe_u32 s5, ttmp6, 0x40004
	s_mul_i32 s3, ttmp9, s3
	s_mul_i32 s4, s6, s4
	s_getreg_b32 s30, hwreg(HW_REG_IB_STS2, 6, 4)
	s_add_co_i32 s2, s2, s3
	s_add_co_i32 s3, s5, s4
	s_cmp_eq_u32 s30, 0
	s_clause 0x1
	s_load_b32 s31, s[0:1], 0x80
	s_load_b64 s[4:5], s[0:1], 0x30
	s_cselect_b32 s33, s6, s3
	s_cselect_b32 s2, ttmp9, s2
	s_wait_kmcnt 0x0
	s_abs_i32 s3, s26
	s_delay_alu instid0(SALU_CYCLE_1) | instskip(SKIP_1) | instid1(SALU_CYCLE_2)
	s_cvt_f32_u32 s6, s3
	s_sub_co_i32 s7, 0, s3
	v_rcp_iflag_f32_e32 v1, s6
	s_abs_i32 s8, s31
	v_nop
	s_delay_alu instid0(TRANS32_DEP_1) | instskip(SKIP_1) | instid1(SALU_CYCLE_3)
	v_readfirstlane_b32 s6, v1
	s_mul_f32 s6, s6, 0x4f7ffffe
	s_cvt_u32_f32 s6, s6
	s_delay_alu instid0(SALU_CYCLE_3) | instskip(NEXT) | instid1(SALU_CYCLE_1)
	s_mul_i32 s7, s7, s6
	s_mul_hi_u32 s7, s6, s7
	s_delay_alu instid0(SALU_CYCLE_1) | instskip(SKIP_4) | instid1(SALU_CYCLE_1)
	s_add_co_i32 s6, s6, s7
	s_xor_b32 s7, s31, s26
	s_mul_hi_u32 s6, s8, s6
	s_ashr_i32 s7, s7, 31
	s_mul_i32 s9, s6, s3
	s_sub_co_i32 s8, s8, s9
	s_add_co_i32 s9, s6, 1
	s_sub_co_i32 s10, s8, s3
	s_cmp_ge_u32 s8, s3
	s_cselect_b32 s6, s9, s6
	s_cselect_b32 s8, s10, s8
	s_add_co_i32 s9, s6, 1
	s_cmp_ge_u32 s8, s3
	s_load_b64 s[10:11], s[0:1], 0x40
	s_cselect_b32 s3, s9, s6
	s_mov_b32 s9, 0
	s_xor_b32 s3, s3, s7
	s_abs_i32 s8, s2
	s_sub_co_i32 s12, s3, s7
	s_mov_b32 s7, s9
	s_abs_i32 s19, s12
	s_mov_b32 s37, s9
	s_cvt_f32_u32 s3, s19
	s_sub_co_i32 s6, 0, s19
	s_delay_alu instid0(SALU_CYCLE_2) | instskip(SKIP_1) | instid1(TRANS32_DEP_1)
	v_rcp_iflag_f32_e32 v1, s3
	v_nop
	v_readfirstlane_b32 s3, v1
	s_mul_f32 s3, s3, 0x4f7ffffe
	s_delay_alu instid0(SALU_CYCLE_3) | instskip(NEXT) | instid1(SALU_CYCLE_3)
	s_cvt_u32_f32 s3, s3
	s_mul_i32 s6, s6, s3
	s_delay_alu instid0(SALU_CYCLE_1) | instskip(NEXT) | instid1(SALU_CYCLE_1)
	s_mul_hi_u32 s6, s3, s6
	s_add_co_i32 s6, s3, s6
	s_wait_kmcnt 0x0
	s_cmp_eq_u64 s[10:11], 0
	s_cbranch_scc1 .LBB252_2
; %bb.1:
	s_ashr_i32 s3, s2, 31
	s_delay_alu instid0(SALU_CYCLE_1) | instskip(NEXT) | instid1(SALU_CYCLE_1)
	s_lshl_b64 s[14:15], s[2:3], 2
	s_add_nc_u64 s[10:11], s[10:11], s[14:15]
	s_load_b32 s37, s[10:11], 0x0
.LBB252_2:
	s_load_b32 s34, s[4:5], s33 offset:0x0 scale_offset
	s_load_b96 s[16:18], s[0:1], 0x48
	v_dual_lshrrev_b32 v23, 1, v0 :: v_dual_bitop2_b32 v24, 1, v0 bitop3:0x40
	s_wait_xcnt 0x0
	s_mul_u64 s[4:5], s[8:9], s[6:7]
	s_ashr_i32 s3, s2, 31
	s_ashr_i32 s10, s12, 31
	s_lshl_b32 s6, s2, 5
	s_mov_b32 s4, exec_lo
	v_cmpx_gt_u32_e32 8, v0
	s_cbranch_execz .LBB252_4
; %bb.3:
	s_load_b64 s[12:13], s[0:1], 0x8
	s_wait_kmcnt 0x0
	s_mul_i32 s14, s16, s33
	s_ashr_i32 s7, s6, 31
	s_ashr_i32 s15, s14, 31
	v_lshlrev_b32_e32 v1, 3, v23
	s_lshl_b64 s[14:15], s[14:15], 1
	s_delay_alu instid0(VALU_DEP_1) | instskip(SKIP_2) | instid1(SALU_CYCLE_1)
	v_lshl_add_u32 v1, v24, 5, v1
	s_add_nc_u64 s[12:13], s[12:13], s[14:15]
	s_lshl_b64 s[14:15], s[6:7], 1
	s_add_nc_u64 s[12:13], s[12:13], s[14:15]
	global_load_b64 v[2:3], v0, s[12:13] scale_offset
	s_wait_loadcnt 0x0
	ds_store_b64 v1, v[2:3]
.LBB252_4:
	s_or_b32 exec_lo, exec_lo, s4
	s_load_b128 s[12:15], s[0:1], 0x68
	s_mul_i32 s4, s5, s19
	s_xor_b32 s3, s3, s10
	s_sub_co_i32 s4, s8, s4
	s_add_co_i32 s7, s5, 1
	s_sub_co_i32 s8, s4, s19
	s_cmp_ge_u32 s4, s19
	s_mov_b32 s9, -1
	s_cselect_b32 s5, s7, s5
	s_cselect_b32 s4, s8, s4
	s_add_co_i32 s8, s5, 1
	s_cmp_ge_u32 s4, s19
	s_load_b32 s7, s[0:1], 0x78
	s_cselect_b32 s4, s8, s5
	s_wait_kmcnt 0x0
	s_add_co_i32 s8, s34, -1
	s_xor_b32 s4, s4, s3
	s_wait_dscnt 0x0
	s_sub_co_i32 s3, s4, s3
	s_barrier_signal -1
	s_barrier_wait -1
	s_abs_i32 s16, s15
	s_delay_alu instid0(SALU_CYCLE_1) | instskip(NEXT) | instid1(SALU_CYCLE_3)
	s_cvt_f32_u32 s5, s16
                                        ; implicit-def: $sgpr35
	v_rcp_iflag_f32_e32 v1, s5
	v_nop
	s_delay_alu instid0(TRANS32_DEP_1) | instskip(SKIP_1) | instid1(SALU_CYCLE_3)
	v_readfirstlane_b32 s5, v1
	s_mul_f32 s4, s5, 0x4f7ffffe
	s_cvt_u32_f32 s10, s4
	s_sub_co_i32 s4, 0, s16
	s_delay_alu instid0(SALU_CYCLE_2)
	s_mul_i32 s5, s4, s10
	s_abs_i32 s4, s8
	s_mul_hi_u32 s11, s10, s5
	s_mov_b32 s5, 0
	s_add_co_i32 s20, s10, s11
	s_cmp_lt_i32 s7, 0
	s_mov_b32 s21, s5
	s_cbranch_scc0 .LBB252_6
; %bb.5:
	s_mul_i32 s9, s12, s26
	s_delay_alu instid0(SALU_CYCLE_1) | instskip(NEXT) | instid1(SALU_CYCLE_1)
	s_add_co_i32 s9, s3, s9
	s_mul_i32 s9, s9, s7
	s_delay_alu instid0(SALU_CYCLE_1)
	s_sub_co_i32 s35, 1, s9
	s_mov_b32 s9, s5
.LBB252_6:
	s_ashr_i32 s8, s8, 31
	s_ashr_i32 s15, s15, 31
	s_and_not1_b32 vcc_lo, exec_lo, s9
	s_mul_u64 s[28:29], s[4:5], s[20:21]
	s_cbranch_vccnz .LBB252_8
; %bb.7:
	s_mul_i32 s5, s31, s12
	s_delay_alu instid0(SALU_CYCLE_1) | instskip(NEXT) | instid1(SALU_CYCLE_1)
	s_add_co_i32 s2, s5, s2
	s_mul_i32 s2, s2, s7
	s_delay_alu instid0(SALU_CYCLE_1)
	s_add_co_i32 s35, s2, 1
.LBB252_8:
	s_clause 0x1
	s_load_b32 s2, s[0:1], 0x38
	s_load_b64 s[22:23], s[0:1], 0x28
	s_mul_i32 s7, s29, s16
	s_xor_b32 s5, s8, s15
	s_sub_co_i32 s4, s4, s7
	s_add_co_i32 s12, s29, 1
	s_clause 0x1
	s_load_b32 s7, s[0:1], 0x88
	s_load_b128 s[8:11], s[0:1], 0x58
	v_dual_lshrrev_b32 v25, 5, v0 :: v_dual_lshrrev_b32 v1, 3, v0
	v_mov_b32_e32 v17, 0xff7fffff
	v_mbcnt_lo_u32_b32 v3, -1, 0
	s_mul_i32 s18, s3, s18
	s_delay_alu instid0(VALU_DEP_3)
	v_lshlrev_b32_e32 v2, 4, v25
	s_wait_kmcnt 0x0
	s_mul_i32 s24, s2, s33
	s_sub_co_i32 s2, s4, s16
	s_ashr_i32 s25, s24, 31
	s_cmp_ge_u32 s4, s16
	s_cselect_b32 s12, s12, s29
	s_cselect_b32 s2, s2, s4
	s_add_co_i32 s4, s12, 1
	s_cmp_ge_u32 s2, s16
	s_cselect_b32 s2, s4, s12
	s_add_co_i32 s4, s34, 15
	s_delay_alu instid0(SALU_CYCLE_1) | instskip(NEXT) | instid1(SALU_CYCLE_1)
	s_ashr_i32 s12, s4, 31
	s_lshr_b32 s12, s12, 28
	s_delay_alu instid0(SALU_CYCLE_1) | instskip(NEXT) | instid1(SALU_CYCLE_1)
	s_add_co_i32 s4, s4, s12
	s_ashr_i32 s12, s4, 4
	s_xor_b32 s4, s2, s5
	v_cmp_gt_i32_e64 s2, s12, v25
	s_sub_co_i32 s36, s4, s5
	s_and_saveexec_b32 s26, s2
	s_cbranch_execz .LBB252_148
; %bb.9:
	s_load_b64 s[4:5], s[0:1], 0x10
	s_sub_co_i32 s38, s36, s13
	s_ashr_i32 s19, s18, 31
	s_cmp_neq_f32 s37, 0
	v_bfe_u32 v15, v0, 1, 4
	v_dual_mov_b32 v5, 0 :: v_dual_lshlrev_b32 v16, 5, v24
	s_cselect_b32 vcc_lo, -1, 0
	s_abs_i32 s39, s14
	s_delay_alu instid0(VALU_DEP_2)
	v_dual_lshlrev_b32 v6, 4, v25 :: v_dual_lshlrev_b32 v4, 4, v15
	s_cvt_f32_u32 s28, s39
	s_lshl_b64 s[40:41], s[24:25], 2
	v_subrev_nc_u32_e32 v10, s34, v15
	v_cmp_eq_u32_e64 s3, 0, v24
	v_rcp_iflag_f32_e32 v7, s28
	v_dual_mov_b32 v20, 0xff7fffff :: v_dual_mov_b32 v21, v25
	s_delay_alu instid0(VALU_DEP_3) | instskip(SKIP_3) | instid1(TRANS32_DEP_1)
	v_dual_mov_b32 v17, 0xff7fffff :: v_dual_add_nc_u32 v18, 1, v10
	s_wait_kmcnt 0x0
	s_add_nc_u64 s[4:5], s[4:5], s[18:19]
	s_mov_b32 s29, 0
	v_readfirstlane_b32 s28, v7
	v_add_nc_u64_e32 v[8:9], s[4:5], v[4:5]
	v_dual_lshlrev_b32 v7, 2, v15 :: v_dual_lshlrev_b32 v4, 2, v24
	s_add_nc_u64 s[4:5], s[22:23], s[40:41]
	s_mul_f32 s19, s28, 0x4f7ffffe
	s_sub_co_i32 s28, 0, s39
	s_delay_alu instid0(VALU_DEP_1) | instskip(NEXT) | instid1(VALU_DEP_3)
	v_lshl_or_b32 v7, v25, 6, v7
	v_add_nc_u64_e32 v[8:9], v[8:9], v[4:5]
	v_and_b32_e32 v4, 0x7c, v1
	s_cvt_u32_f32 s40, s19
	s_mov_b32 s19, s17
	v_add_nc_u32_e32 v19, 0x60, v7
	s_delay_alu instid0(VALU_DEP_2) | instskip(SKIP_1) | instid1(SALU_CYCLE_1)
	v_add_nc_u64_e32 v[10:11], s[4:5], v[4:5]
	s_mul_i32 s28, s28, s40
	s_mul_hi_u32 s28, s40, s28
	s_delay_alu instid0(SALU_CYCLE_1)
	s_add_co_i32 s28, s40, s28
	s_mov_b32 s40, s29
	s_branch .LBB252_12
.LBB252_10:                             ;   in Loop: Header=BB252_12 Depth=1
	s_or_b32 exec_lo, exec_lo, s41
.LBB252_11:                             ;   in Loop: Header=BB252_12 Depth=1
	s_delay_alu instid0(SALU_CYCLE_1) | instskip(SKIP_3) | instid1(VALU_DEP_3)
	s_or_b32 exec_lo, exec_lo, s5
	v_dual_add_nc_u32 v21, 4, v21 :: v_dual_add_nc_u32 v6, 64, v6
	v_add_nc_u64_e32 v[10:11], 16, v[10:11]
	v_add_nc_u32_e32 v19, 0x100, v19
	v_cmp_le_i32_e64 s4, s12, v21
	s_or_b32 s40, s4, s40
	s_delay_alu instid0(SALU_CYCLE_1)
	s_and_not1_b32 exec_lo, exec_lo, s40
	s_cbranch_execz .LBB252_147
.LBB252_12:                             ; =>This Inner Loop Header: Depth=1
	s_wait_dscnt 0x0
	v_mov_b32_e32 v7, v5
	s_delay_alu instid0(VALU_DEP_1) | instskip(NEXT) | instid1(VALU_DEP_1)
	v_mul_u64_e32 v[12:13], s[20:21], v[6:7]
	v_mul_lo_u32 v4, v13, s16
	s_delay_alu instid0(VALU_DEP_1) | instskip(NEXT) | instid1(VALU_DEP_1)
	v_sub_nc_u32_e32 v4, v6, v4
	v_subrev_nc_u32_e32 v12, s16, v4
	v_cmp_le_u32_e64 s4, s16, v4
	s_delay_alu instid0(VALU_DEP_1) | instskip(NEXT) | instid1(VALU_DEP_1)
	v_dual_add_nc_u32 v7, 1, v13 :: v_dual_cndmask_b32 v4, v4, v12, s4
	v_cndmask_b32_e64 v7, v13, v7, s4
	s_delay_alu instid0(VALU_DEP_2) | instskip(NEXT) | instid1(VALU_DEP_2)
	v_cmp_le_u32_e64 s4, s16, v4
	v_add_nc_u32_e32 v12, 1, v7
	s_delay_alu instid0(VALU_DEP_1) | instskip(NEXT) | instid1(VALU_DEP_1)
	v_cndmask_b32_e64 v4, v7, v12, s4
	v_xor_b32_e32 v4, s15, v4
	s_delay_alu instid0(VALU_DEP_1) | instskip(NEXT) | instid1(VALU_DEP_1)
	v_subrev_nc_u32_e32 v7, s15, v4
	v_add_nc_u32_e32 v14, s35, v7
	v_cmp_ge_i32_e64 s5, s38, v7
	s_delay_alu instid0(VALU_DEP_2) | instskip(NEXT) | instid1(VALU_DEP_1)
	v_sub_nc_u32_e32 v4, 0, v14
	v_max_i32_e32 v4, v14, v4
	s_delay_alu instid0(VALU_DEP_1) | instskip(NEXT) | instid1(VALU_DEP_1)
	v_mul_u64_e32 v[12:13], s[28:29], v[4:5]
	v_mul_lo_u32 v12, v13, s39
	s_delay_alu instid0(VALU_DEP_1) | instskip(NEXT) | instid1(VALU_DEP_1)
	v_dual_ashrrev_i32 v13, 31, v14 :: v_dual_sub_nc_u32 v4, v4, v12
	v_subrev_nc_u32_e32 v12, s39, v4
	v_cmp_le_u32_e64 s4, s39, v4
	s_delay_alu instid0(VALU_DEP_1) | instskip(NEXT) | instid1(VALU_DEP_1)
	v_cndmask_b32_e64 v4, v4, v12, s4
	v_subrev_nc_u32_e32 v12, s39, v4
	v_cmp_le_u32_e64 s4, s39, v4
	s_delay_alu instid0(VALU_DEP_1) | instskip(NEXT) | instid1(VALU_DEP_1)
	v_cndmask_b32_e64 v4, v4, v12, s4
	v_xor_b32_e32 v4, v4, v13
	s_delay_alu instid0(VALU_DEP_1) | instskip(NEXT) | instid1(VALU_DEP_1)
	v_sub_nc_u32_e32 v4, v4, v13
	v_cmp_ne_u32_e64 s4, 0, v4
	s_and_b32 s4, s4, s5
	s_delay_alu instid0(SALU_CYCLE_1) | instskip(NEXT) | instid1(SALU_CYCLE_1)
	s_and_saveexec_b32 s5, s4
	s_xor_b32 s4, exec_lo, s5
	s_cbranch_execz .LBB252_16
; %bb.13:                               ;   in Loop: Header=BB252_12 Depth=1
	s_and_saveexec_b32 s5, s3
; %bb.14:                               ;   in Loop: Header=BB252_12 Depth=1
	ds_store_b32 v19, v20
; %bb.15:                               ;   in Loop: Header=BB252_12 Depth=1
	s_or_b32 exec_lo, exec_lo, s5
.LBB252_16:                             ;   in Loop: Header=BB252_12 Depth=1
	s_and_not1_saveexec_b32 s5, s4
	s_cbranch_execz .LBB252_11
; %bb.17:                               ;   in Loop: Header=BB252_12 Depth=1
	global_load_b32 v4, v[10:11], off
	v_dual_mov_b32 v22, 0 :: v_dual_mov_b32 v26, 0
	s_mov_b32 s41, exec_lo
	global_load_b32 v7, v22, s[8:9]
	s_wait_loadcnt 0x1
	v_mad_nc_i64_i32 v[12:13], v4, s19, v[8:9]
	global_load_b32 v14, v[12:13], off
	s_wait_loadcnt 0x0
	v_and_b32_e32 v4, 0xff, v14
	s_delay_alu instid0(VALU_DEP_1)
	v_cmpx_ne_u16_e32 0, v4
	s_cbranch_execz .LBB252_25
; %bb.18:                               ;   in Loop: Header=BB252_12 Depth=1
	v_mov_b32_e32 v26, 0x8000
	s_mov_b32 s42, exec_lo
	v_cmpx_ne_u16_e32 0x80, v4
	s_cbranch_execz .LBB252_24
; %bb.19:                               ;   in Loop: Header=BB252_12 Depth=1
	v_and_b32_e32 v27, 0x7f, v14
	v_mov_b32_e32 v26, 0x7c01
	s_mov_b32 s43, exec_lo
	s_delay_alu instid0(VALU_DEP_2)
	v_cmpx_ne_u32_e32 0x7f, v27
	s_cbranch_execz .LBB252_23
; %bb.20:                               ;   in Loop: Header=BB252_12 Depth=1
	v_dual_lshrrev_b32 v26, 3, v27 :: v_dual_bitop2_b32 v4, 7, v14 bitop3:0x40
	s_mov_b32 s44, exec_lo
	v_cmpx_gt_u32_e32 8, v27
; %bb.21:                               ;   in Loop: Header=BB252_12 Depth=1
	s_delay_alu instid0(VALU_DEP_2) | instskip(NEXT) | instid1(VALU_DEP_1)
	v_clz_i32_u32_e32 v4, v4
	v_min_u32_e32 v4, 32, v4
	s_delay_alu instid0(VALU_DEP_1) | instskip(NEXT) | instid1(VALU_DEP_1)
	v_subrev_nc_u32_e32 v26, 28, v4
	v_lshlrev_b64_e32 v[28:29], v26, v[14:15]
	v_sub_nc_u32_e32 v26, 29, v4
	s_delay_alu instid0(VALU_DEP_2)
	v_and_b32_e32 v4, 7, v28
; %bb.22:                               ;   in Loop: Header=BB252_12 Depth=1
	s_or_b32 exec_lo, exec_lo, s44
	s_delay_alu instid0(VALU_DEP_1) | instskip(NEXT) | instid1(VALU_DEP_3)
	v_dual_lshlrev_b32 v27, 8, v14 :: v_dual_lshlrev_b32 v4, 7, v4
	v_lshl_add_u32 v26, v26, 10, 0x2000
	s_delay_alu instid0(VALU_DEP_2) | instskip(NEXT) | instid1(VALU_DEP_2)
	v_and_b32_e32 v27, 0x8000, v27
	v_and_b32_e32 v26, 0xfc00, v26
	s_delay_alu instid0(VALU_DEP_1)
	v_or3_b32 v26, v27, v26, v4
.LBB252_23:                             ;   in Loop: Header=BB252_12 Depth=1
	s_or_b32 exec_lo, exec_lo, s43
.LBB252_24:                             ;   in Loop: Header=BB252_12 Depth=1
	s_delay_alu instid0(SALU_CYCLE_1)
	s_or_b32 exec_lo, exec_lo, s42
.LBB252_25:                             ;   in Loop: Header=BB252_12 Depth=1
	s_delay_alu instid0(SALU_CYCLE_1) | instskip(SKIP_2) | instid1(VALU_DEP_1)
	s_or_b32 exec_lo, exec_lo, s41
	v_lshrrev_b16 v4, 8, v14
	s_mov_b32 s41, exec_lo
	v_cmpx_ne_u16_e32 0, v4
	s_cbranch_execz .LBB252_33
; %bb.26:                               ;   in Loop: Header=BB252_12 Depth=1
	v_bfrev_b32_e32 v22, 1
	s_mov_b32 s42, exec_lo
	v_cmpx_ne_u16_e32 0x80, v4
	s_cbranch_execz .LBB252_32
; %bb.27:                               ;   in Loop: Header=BB252_12 Depth=1
	v_and_b32_e32 v27, 0xffff, v4
	v_mov_b32_e32 v22, 0x7c010000
	s_mov_b32 s43, exec_lo
	s_delay_alu instid0(VALU_DEP_2) | instskip(NEXT) | instid1(VALU_DEP_1)
	v_and_b32_e32 v29, 0x7f, v27
	v_cmpx_ne_u32_e32 0x7f, v29
	s_cbranch_execz .LBB252_31
; %bb.28:                               ;   in Loop: Header=BB252_12 Depth=1
	v_dual_lshrrev_b32 v28, 3, v29 :: v_dual_bitop2_b32 v22, 7, v27 bitop3:0x40
	s_mov_b32 s44, exec_lo
	v_cmpx_gt_u32_e32 8, v29
; %bb.29:                               ;   in Loop: Header=BB252_12 Depth=1
	s_delay_alu instid0(VALU_DEP_2) | instskip(NEXT) | instid1(VALU_DEP_1)
	v_clz_i32_u32_e32 v22, v22
	v_min_u32_e32 v22, 32, v22
	s_delay_alu instid0(VALU_DEP_1) | instskip(NEXT) | instid1(VALU_DEP_1)
	v_subrev_nc_u32_e32 v28, 28, v22
	v_lshlrev_b64_e32 v[30:31], v28, v[4:5]
	v_sub_nc_u32_e32 v28, 29, v22
	s_delay_alu instid0(VALU_DEP_2)
	v_and_b32_e32 v22, 7, v30
; %bb.30:                               ;   in Loop: Header=BB252_12 Depth=1
	s_or_b32 exec_lo, exec_lo, s44
	s_delay_alu instid0(VALU_DEP_1) | instskip(NEXT) | instid1(VALU_DEP_3)
	v_dual_lshlrev_b32 v4, 8, v27 :: v_dual_lshlrev_b32 v22, 23, v22
	v_lshl_add_u32 v27, v28, 10, 0x2000
	s_delay_alu instid0(VALU_DEP_1) | instskip(NEXT) | instid1(VALU_DEP_1)
	v_and_or_b32 v4, 0x8000, v4, v27
	v_lshl_or_b32 v22, v4, 16, v22
.LBB252_31:                             ;   in Loop: Header=BB252_12 Depth=1
	s_or_b32 exec_lo, exec_lo, s43
.LBB252_32:                             ;   in Loop: Header=BB252_12 Depth=1
	s_delay_alu instid0(SALU_CYCLE_1)
	s_or_b32 exec_lo, exec_lo, s42
.LBB252_33:                             ;   in Loop: Header=BB252_12 Depth=1
	s_delay_alu instid0(SALU_CYCLE_1) | instskip(SKIP_3) | instid1(VALU_DEP_2)
	s_or_b32 exec_lo, exec_lo, s41
	v_dual_mov_b32 v27, 0 :: v_dual_lshrrev_b32 v4, 16, v14
	v_mov_b32_e32 v28, 0
	s_mov_b32 s41, exec_lo
	v_and_b32_e32 v29, 0xff, v4
	s_delay_alu instid0(VALU_DEP_1)
	v_cmpx_ne_u16_e32 0, v29
	s_cbranch_execz .LBB252_41
; %bb.34:                               ;   in Loop: Header=BB252_12 Depth=1
	v_mov_b32_e32 v28, 0x8000
	s_mov_b32 s42, exec_lo
	v_cmpx_ne_u16_e32 0x80, v29
	s_cbranch_execz .LBB252_40
; %bb.35:                               ;   in Loop: Header=BB252_12 Depth=1
	v_bfe_u32 v30, v14, 16, 7
	v_mov_b32_e32 v28, 0x7c01
	s_mov_b32 s43, exec_lo
	s_delay_alu instid0(VALU_DEP_2)
	v_cmpx_ne_u32_e32 0x7f, v30
	s_cbranch_execz .LBB252_39
; %bb.36:                               ;   in Loop: Header=BB252_12 Depth=1
	v_dual_lshrrev_b32 v29, 3, v30 :: v_dual_bitop2_b32 v28, 7, v4 bitop3:0x40
	s_mov_b32 s44, exec_lo
	v_cmpx_gt_u32_e32 8, v30
; %bb.37:                               ;   in Loop: Header=BB252_12 Depth=1
	s_delay_alu instid0(VALU_DEP_2) | instskip(NEXT) | instid1(VALU_DEP_1)
	v_clz_i32_u32_e32 v28, v28
	v_min_u32_e32 v30, 32, v28
	s_delay_alu instid0(VALU_DEP_1) | instskip(NEXT) | instid1(VALU_DEP_1)
	v_subrev_nc_u32_e32 v28, 28, v30
	v_lshlrev_b64_e32 v[28:29], v28, v[4:5]
	s_delay_alu instid0(VALU_DEP_1)
	v_dual_sub_nc_u32 v29, 29, v30 :: v_dual_bitop2_b32 v28, 7, v28 bitop3:0x40
; %bb.38:                               ;   in Loop: Header=BB252_12 Depth=1
	s_or_b32 exec_lo, exec_lo, s44
	v_lshlrev_b32_e32 v4, 8, v4
	s_delay_alu instid0(VALU_DEP_2) | instskip(NEXT) | instid1(VALU_DEP_3)
	v_lshl_add_u32 v29, v29, 10, 0x2000
	v_lshlrev_b32_e32 v28, 7, v28
	s_delay_alu instid0(VALU_DEP_3) | instskip(NEXT) | instid1(VALU_DEP_3)
	v_and_b32_e32 v4, 0x8000, v4
	v_and_b32_e32 v29, 0xfc00, v29
	s_delay_alu instid0(VALU_DEP_1)
	v_or3_b32 v28, v4, v29, v28
.LBB252_39:                             ;   in Loop: Header=BB252_12 Depth=1
	s_or_b32 exec_lo, exec_lo, s43
.LBB252_40:                             ;   in Loop: Header=BB252_12 Depth=1
	s_delay_alu instid0(SALU_CYCLE_1)
	s_or_b32 exec_lo, exec_lo, s42
.LBB252_41:                             ;   in Loop: Header=BB252_12 Depth=1
	s_delay_alu instid0(SALU_CYCLE_1) | instskip(NEXT) | instid1(SALU_CYCLE_1)
	s_or_b32 exec_lo, exec_lo, s41
	s_mov_b32 s41, exec_lo
	v_cmpx_lt_u32_e32 0xffffff, v14
	s_cbranch_execz .LBB252_49
; %bb.42:                               ;   in Loop: Header=BB252_12 Depth=1
	v_lshrrev_b32_e32 v4, 24, v14
	v_bfrev_b32_e32 v27, 1
	s_mov_b32 s42, exec_lo
	s_delay_alu instid0(VALU_DEP_2)
	v_cmpx_ne_u32_e32 0x80, v4
	s_cbranch_execz .LBB252_48
; %bb.43:                               ;   in Loop: Header=BB252_12 Depth=1
	v_and_b32_e32 v29, 0x7f, v4
	v_mov_b32_e32 v27, 0x7c010000
	s_mov_b32 s43, exec_lo
	s_delay_alu instid0(VALU_DEP_2)
	v_cmpx_ne_u32_e32 0x7f, v29
	s_cbranch_execz .LBB252_47
; %bb.44:                               ;   in Loop: Header=BB252_12 Depth=1
	v_dual_lshrrev_b32 v27, 3, v29 :: v_dual_bitop2_b32 v14, 7, v4 bitop3:0x40
	s_mov_b32 s44, exec_lo
	v_cmpx_gt_u32_e32 8, v29
; %bb.45:                               ;   in Loop: Header=BB252_12 Depth=1
	s_delay_alu instid0(VALU_DEP_2) | instskip(NEXT) | instid1(VALU_DEP_1)
	v_clz_i32_u32_e32 v14, v14
	v_min_u32_e32 v14, 32, v14
	s_delay_alu instid0(VALU_DEP_1) | instskip(NEXT) | instid1(VALU_DEP_1)
	v_subrev_nc_u32_e32 v27, 28, v14
	v_lshlrev_b64_e32 v[30:31], v27, v[4:5]
	v_sub_nc_u32_e32 v27, 29, v14
	s_delay_alu instid0(VALU_DEP_2)
	v_and_b32_e32 v14, 7, v30
; %bb.46:                               ;   in Loop: Header=BB252_12 Depth=1
	s_or_b32 exec_lo, exec_lo, s44
	s_delay_alu instid0(VALU_DEP_1) | instskip(NEXT) | instid1(VALU_DEP_3)
	v_dual_lshlrev_b32 v4, 8, v4 :: v_dual_lshlrev_b32 v14, 23, v14
	v_lshl_add_u32 v27, v27, 10, 0x2000
	s_delay_alu instid0(VALU_DEP_1) | instskip(NEXT) | instid1(VALU_DEP_1)
	v_and_or_b32 v4, 0x8000, v4, v27
	v_lshl_or_b32 v27, v4, 16, v14
.LBB252_47:                             ;   in Loop: Header=BB252_12 Depth=1
	s_or_b32 exec_lo, exec_lo, s43
.LBB252_48:                             ;   in Loop: Header=BB252_12 Depth=1
	s_delay_alu instid0(SALU_CYCLE_1)
	s_or_b32 exec_lo, exec_lo, s42
.LBB252_49:                             ;   in Loop: Header=BB252_12 Depth=1
	s_delay_alu instid0(SALU_CYCLE_1)
	s_or_b32 exec_lo, exec_lo, s41
	global_load_b32 v14, v[12:13], off offset:8
	v_dual_mov_b32 v29, 0 :: v_dual_mov_b32 v30, 0
	s_mov_b32 s41, exec_lo
	s_wait_loadcnt 0x0
	v_and_b32_e32 v4, 0xff, v14
	s_delay_alu instid0(VALU_DEP_1)
	v_cmpx_ne_u16_e32 0, v4
	s_cbranch_execz .LBB252_57
; %bb.50:                               ;   in Loop: Header=BB252_12 Depth=1
	v_mov_b32_e32 v30, 0x8000
	s_mov_b32 s42, exec_lo
	v_cmpx_ne_u16_e32 0x80, v4
	s_cbranch_execz .LBB252_56
; %bb.51:                               ;   in Loop: Header=BB252_12 Depth=1
	v_and_b32_e32 v31, 0x7f, v14
	v_mov_b32_e32 v30, 0x7c01
	s_mov_b32 s43, exec_lo
	s_delay_alu instid0(VALU_DEP_2)
	v_cmpx_ne_u32_e32 0x7f, v31
	s_cbranch_execz .LBB252_55
; %bb.52:                               ;   in Loop: Header=BB252_12 Depth=1
	v_dual_lshrrev_b32 v30, 3, v31 :: v_dual_bitop2_b32 v4, 7, v14 bitop3:0x40
	s_mov_b32 s44, exec_lo
	v_cmpx_gt_u32_e32 8, v31
; %bb.53:                               ;   in Loop: Header=BB252_12 Depth=1
	s_delay_alu instid0(VALU_DEP_2) | instskip(NEXT) | instid1(VALU_DEP_1)
	v_clz_i32_u32_e32 v4, v4
	v_min_u32_e32 v4, 32, v4
	s_delay_alu instid0(VALU_DEP_1) | instskip(NEXT) | instid1(VALU_DEP_1)
	v_subrev_nc_u32_e32 v30, 28, v4
	v_lshlrev_b64_e32 v[32:33], v30, v[14:15]
	v_sub_nc_u32_e32 v30, 29, v4
	s_delay_alu instid0(VALU_DEP_2)
	v_and_b32_e32 v4, 7, v32
; %bb.54:                               ;   in Loop: Header=BB252_12 Depth=1
	s_or_b32 exec_lo, exec_lo, s44
	s_delay_alu instid0(VALU_DEP_1) | instskip(NEXT) | instid1(VALU_DEP_3)
	v_dual_lshlrev_b32 v31, 8, v14 :: v_dual_lshlrev_b32 v4, 7, v4
	v_lshl_add_u32 v30, v30, 10, 0x2000
	s_delay_alu instid0(VALU_DEP_2) | instskip(NEXT) | instid1(VALU_DEP_2)
	v_and_b32_e32 v31, 0x8000, v31
	v_and_b32_e32 v30, 0xfc00, v30
	s_delay_alu instid0(VALU_DEP_1)
	v_or3_b32 v30, v31, v30, v4
.LBB252_55:                             ;   in Loop: Header=BB252_12 Depth=1
	s_or_b32 exec_lo, exec_lo, s43
.LBB252_56:                             ;   in Loop: Header=BB252_12 Depth=1
	s_delay_alu instid0(SALU_CYCLE_1)
	s_or_b32 exec_lo, exec_lo, s42
.LBB252_57:                             ;   in Loop: Header=BB252_12 Depth=1
	s_delay_alu instid0(SALU_CYCLE_1) | instskip(SKIP_2) | instid1(VALU_DEP_1)
	s_or_b32 exec_lo, exec_lo, s41
	v_lshrrev_b16 v4, 8, v14
	s_mov_b32 s41, exec_lo
	v_cmpx_ne_u16_e32 0, v4
	s_cbranch_execz .LBB252_65
; %bb.58:                               ;   in Loop: Header=BB252_12 Depth=1
	v_bfrev_b32_e32 v29, 1
	s_mov_b32 s42, exec_lo
	v_cmpx_ne_u16_e32 0x80, v4
	s_cbranch_execz .LBB252_64
; %bb.59:                               ;   in Loop: Header=BB252_12 Depth=1
	v_and_b32_e32 v31, 0xffff, v4
	v_mov_b32_e32 v29, 0x7c010000
	s_mov_b32 s43, exec_lo
	s_delay_alu instid0(VALU_DEP_2) | instskip(NEXT) | instid1(VALU_DEP_1)
	v_and_b32_e32 v33, 0x7f, v31
	v_cmpx_ne_u32_e32 0x7f, v33
	s_cbranch_execz .LBB252_63
; %bb.60:                               ;   in Loop: Header=BB252_12 Depth=1
	v_dual_lshrrev_b32 v32, 3, v33 :: v_dual_bitop2_b32 v29, 7, v31 bitop3:0x40
	s_mov_b32 s44, exec_lo
	v_cmpx_gt_u32_e32 8, v33
; %bb.61:                               ;   in Loop: Header=BB252_12 Depth=1
	s_delay_alu instid0(VALU_DEP_2) | instskip(NEXT) | instid1(VALU_DEP_1)
	v_clz_i32_u32_e32 v29, v29
	v_min_u32_e32 v29, 32, v29
	s_delay_alu instid0(VALU_DEP_1) | instskip(NEXT) | instid1(VALU_DEP_1)
	v_subrev_nc_u32_e32 v32, 28, v29
	v_lshlrev_b64_e32 v[34:35], v32, v[4:5]
	s_delay_alu instid0(VALU_DEP_1)
	v_dual_sub_nc_u32 v32, 29, v29 :: v_dual_bitop2_b32 v29, 7, v34 bitop3:0x40
; %bb.62:                               ;   in Loop: Header=BB252_12 Depth=1
	s_or_b32 exec_lo, exec_lo, s44
	s_delay_alu instid0(VALU_DEP_1) | instskip(NEXT) | instid1(VALU_DEP_2)
	v_dual_lshlrev_b32 v4, 8, v31 :: v_dual_lshlrev_b32 v29, 23, v29
	v_lshl_add_u32 v31, v32, 10, 0x2000
	s_delay_alu instid0(VALU_DEP_1) | instskip(NEXT) | instid1(VALU_DEP_1)
	v_and_or_b32 v4, 0x8000, v4, v31
	v_lshl_or_b32 v29, v4, 16, v29
.LBB252_63:                             ;   in Loop: Header=BB252_12 Depth=1
	s_or_b32 exec_lo, exec_lo, s43
.LBB252_64:                             ;   in Loop: Header=BB252_12 Depth=1
	s_delay_alu instid0(SALU_CYCLE_1)
	s_or_b32 exec_lo, exec_lo, s42
.LBB252_65:                             ;   in Loop: Header=BB252_12 Depth=1
	s_delay_alu instid0(SALU_CYCLE_1) | instskip(SKIP_3) | instid1(VALU_DEP_2)
	s_or_b32 exec_lo, exec_lo, s41
	v_dual_mov_b32 v31, 0 :: v_dual_lshrrev_b32 v4, 16, v14
	v_mov_b32_e32 v32, 0
	s_mov_b32 s41, exec_lo
	v_and_b32_e32 v33, 0xff, v4
	s_delay_alu instid0(VALU_DEP_1)
	v_cmpx_ne_u16_e32 0, v33
	s_cbranch_execz .LBB252_73
; %bb.66:                               ;   in Loop: Header=BB252_12 Depth=1
	v_mov_b32_e32 v32, 0x8000
	s_mov_b32 s42, exec_lo
	v_cmpx_ne_u16_e32 0x80, v33
	s_cbranch_execz .LBB252_72
; %bb.67:                               ;   in Loop: Header=BB252_12 Depth=1
	v_bfe_u32 v34, v14, 16, 7
	v_mov_b32_e32 v32, 0x7c01
	s_mov_b32 s43, exec_lo
	s_delay_alu instid0(VALU_DEP_2)
	v_cmpx_ne_u32_e32 0x7f, v34
	s_cbranch_execz .LBB252_71
; %bb.68:                               ;   in Loop: Header=BB252_12 Depth=1
	v_dual_lshrrev_b32 v33, 3, v34 :: v_dual_bitop2_b32 v32, 7, v4 bitop3:0x40
	s_mov_b32 s44, exec_lo
	v_cmpx_gt_u32_e32 8, v34
; %bb.69:                               ;   in Loop: Header=BB252_12 Depth=1
	s_delay_alu instid0(VALU_DEP_2) | instskip(NEXT) | instid1(VALU_DEP_1)
	v_clz_i32_u32_e32 v32, v32
	v_min_u32_e32 v34, 32, v32
	s_delay_alu instid0(VALU_DEP_1) | instskip(NEXT) | instid1(VALU_DEP_1)
	v_subrev_nc_u32_e32 v32, 28, v34
	v_lshlrev_b64_e32 v[32:33], v32, v[4:5]
	s_delay_alu instid0(VALU_DEP_1)
	v_dual_sub_nc_u32 v33, 29, v34 :: v_dual_bitop2_b32 v32, 7, v32 bitop3:0x40
; %bb.70:                               ;   in Loop: Header=BB252_12 Depth=1
	s_or_b32 exec_lo, exec_lo, s44
	v_lshlrev_b32_e32 v4, 8, v4
	s_delay_alu instid0(VALU_DEP_2) | instskip(NEXT) | instid1(VALU_DEP_3)
	v_lshl_add_u32 v33, v33, 10, 0x2000
	v_lshlrev_b32_e32 v32, 7, v32
	s_delay_alu instid0(VALU_DEP_3) | instskip(NEXT) | instid1(VALU_DEP_3)
	v_and_b32_e32 v4, 0x8000, v4
	v_and_b32_e32 v33, 0xfc00, v33
	s_delay_alu instid0(VALU_DEP_1)
	v_or3_b32 v32, v4, v33, v32
.LBB252_71:                             ;   in Loop: Header=BB252_12 Depth=1
	s_or_b32 exec_lo, exec_lo, s43
.LBB252_72:                             ;   in Loop: Header=BB252_12 Depth=1
	s_delay_alu instid0(SALU_CYCLE_1)
	s_or_b32 exec_lo, exec_lo, s42
.LBB252_73:                             ;   in Loop: Header=BB252_12 Depth=1
	s_delay_alu instid0(SALU_CYCLE_1) | instskip(NEXT) | instid1(SALU_CYCLE_1)
	s_or_b32 exec_lo, exec_lo, s41
	s_mov_b32 s41, exec_lo
	v_cmpx_lt_u32_e32 0xffffff, v14
	s_cbranch_execz .LBB252_81
; %bb.74:                               ;   in Loop: Header=BB252_12 Depth=1
	v_lshrrev_b32_e32 v4, 24, v14
	v_bfrev_b32_e32 v31, 1
	s_mov_b32 s42, exec_lo
	s_delay_alu instid0(VALU_DEP_2)
	v_cmpx_ne_u32_e32 0x80, v4
	s_cbranch_execz .LBB252_80
; %bb.75:                               ;   in Loop: Header=BB252_12 Depth=1
	v_and_b32_e32 v33, 0x7f, v4
	v_mov_b32_e32 v31, 0x7c010000
	s_mov_b32 s43, exec_lo
	s_delay_alu instid0(VALU_DEP_2)
	v_cmpx_ne_u32_e32 0x7f, v33
	s_cbranch_execz .LBB252_79
; %bb.76:                               ;   in Loop: Header=BB252_12 Depth=1
	v_dual_lshrrev_b32 v31, 3, v33 :: v_dual_bitop2_b32 v14, 7, v4 bitop3:0x40
	s_mov_b32 s44, exec_lo
	v_cmpx_gt_u32_e32 8, v33
; %bb.77:                               ;   in Loop: Header=BB252_12 Depth=1
	s_delay_alu instid0(VALU_DEP_2) | instskip(NEXT) | instid1(VALU_DEP_1)
	v_clz_i32_u32_e32 v14, v14
	v_min_u32_e32 v14, 32, v14
	s_delay_alu instid0(VALU_DEP_1) | instskip(NEXT) | instid1(VALU_DEP_1)
	v_subrev_nc_u32_e32 v31, 28, v14
	v_lshlrev_b64_e32 v[34:35], v31, v[4:5]
	v_sub_nc_u32_e32 v31, 29, v14
	s_delay_alu instid0(VALU_DEP_2)
	v_and_b32_e32 v14, 7, v34
; %bb.78:                               ;   in Loop: Header=BB252_12 Depth=1
	s_or_b32 exec_lo, exec_lo, s44
	s_delay_alu instid0(VALU_DEP_1) | instskip(NEXT) | instid1(VALU_DEP_3)
	v_dual_lshlrev_b32 v4, 8, v4 :: v_dual_lshlrev_b32 v14, 23, v14
	v_lshl_add_u32 v31, v31, 10, 0x2000
	s_delay_alu instid0(VALU_DEP_1) | instskip(NEXT) | instid1(VALU_DEP_1)
	v_and_or_b32 v4, 0x8000, v4, v31
	v_lshl_or_b32 v31, v4, 16, v14
.LBB252_79:                             ;   in Loop: Header=BB252_12 Depth=1
	s_or_b32 exec_lo, exec_lo, s43
.LBB252_80:                             ;   in Loop: Header=BB252_12 Depth=1
	s_delay_alu instid0(SALU_CYCLE_1)
	s_or_b32 exec_lo, exec_lo, s42
.LBB252_81:                             ;   in Loop: Header=BB252_12 Depth=1
	s_delay_alu instid0(SALU_CYCLE_1)
	s_or_b32 exec_lo, exec_lo, s41
	global_load_b32 v14, v[12:13], off offset:256
	v_dual_mov_b32 v33, 0 :: v_dual_mov_b32 v34, 0
	s_mov_b32 s41, exec_lo
	s_wait_loadcnt 0x0
	v_and_b32_e32 v4, 0xff, v14
	s_delay_alu instid0(VALU_DEP_1)
	v_cmpx_ne_u16_e32 0, v4
	s_cbranch_execz .LBB252_89
; %bb.82:                               ;   in Loop: Header=BB252_12 Depth=1
	v_mov_b32_e32 v34, 0x8000
	s_mov_b32 s42, exec_lo
	v_cmpx_ne_u16_e32 0x80, v4
	s_cbranch_execz .LBB252_88
; %bb.83:                               ;   in Loop: Header=BB252_12 Depth=1
	v_and_b32_e32 v35, 0x7f, v14
	v_mov_b32_e32 v34, 0x7c01
	s_mov_b32 s43, exec_lo
	s_delay_alu instid0(VALU_DEP_2)
	v_cmpx_ne_u32_e32 0x7f, v35
	s_cbranch_execz .LBB252_87
; %bb.84:                               ;   in Loop: Header=BB252_12 Depth=1
	v_dual_lshrrev_b32 v34, 3, v35 :: v_dual_bitop2_b32 v4, 7, v14 bitop3:0x40
	s_mov_b32 s44, exec_lo
	v_cmpx_gt_u32_e32 8, v35
; %bb.85:                               ;   in Loop: Header=BB252_12 Depth=1
	s_delay_alu instid0(VALU_DEP_2) | instskip(NEXT) | instid1(VALU_DEP_1)
	v_clz_i32_u32_e32 v4, v4
	v_min_u32_e32 v4, 32, v4
	s_delay_alu instid0(VALU_DEP_1) | instskip(NEXT) | instid1(VALU_DEP_1)
	v_subrev_nc_u32_e32 v34, 28, v4
	v_lshlrev_b64_e32 v[36:37], v34, v[14:15]
	v_sub_nc_u32_e32 v34, 29, v4
	s_delay_alu instid0(VALU_DEP_2)
	v_and_b32_e32 v4, 7, v36
; %bb.86:                               ;   in Loop: Header=BB252_12 Depth=1
	s_or_b32 exec_lo, exec_lo, s44
	s_delay_alu instid0(VALU_DEP_1) | instskip(NEXT) | instid1(VALU_DEP_3)
	v_dual_lshlrev_b32 v35, 8, v14 :: v_dual_lshlrev_b32 v4, 7, v4
	v_lshl_add_u32 v34, v34, 10, 0x2000
	s_delay_alu instid0(VALU_DEP_2) | instskip(NEXT) | instid1(VALU_DEP_2)
	v_and_b32_e32 v35, 0x8000, v35
	v_and_b32_e32 v34, 0xfc00, v34
	s_delay_alu instid0(VALU_DEP_1)
	v_or3_b32 v34, v35, v34, v4
.LBB252_87:                             ;   in Loop: Header=BB252_12 Depth=1
	s_or_b32 exec_lo, exec_lo, s43
.LBB252_88:                             ;   in Loop: Header=BB252_12 Depth=1
	s_delay_alu instid0(SALU_CYCLE_1)
	s_or_b32 exec_lo, exec_lo, s42
.LBB252_89:                             ;   in Loop: Header=BB252_12 Depth=1
	s_delay_alu instid0(SALU_CYCLE_1) | instskip(SKIP_2) | instid1(VALU_DEP_1)
	s_or_b32 exec_lo, exec_lo, s41
	v_lshrrev_b16 v4, 8, v14
	s_mov_b32 s41, exec_lo
	v_cmpx_ne_u16_e32 0, v4
	s_cbranch_execz .LBB252_97
; %bb.90:                               ;   in Loop: Header=BB252_12 Depth=1
	v_bfrev_b32_e32 v33, 1
	s_mov_b32 s42, exec_lo
	v_cmpx_ne_u16_e32 0x80, v4
	s_cbranch_execz .LBB252_96
; %bb.91:                               ;   in Loop: Header=BB252_12 Depth=1
	v_and_b32_e32 v35, 0xffff, v4
	v_mov_b32_e32 v33, 0x7c010000
	s_mov_b32 s43, exec_lo
	s_delay_alu instid0(VALU_DEP_2) | instskip(NEXT) | instid1(VALU_DEP_1)
	v_and_b32_e32 v37, 0x7f, v35
	v_cmpx_ne_u32_e32 0x7f, v37
	s_cbranch_execz .LBB252_95
; %bb.92:                               ;   in Loop: Header=BB252_12 Depth=1
	v_dual_lshrrev_b32 v36, 3, v37 :: v_dual_bitop2_b32 v33, 7, v35 bitop3:0x40
	s_mov_b32 s44, exec_lo
	v_cmpx_gt_u32_e32 8, v37
; %bb.93:                               ;   in Loop: Header=BB252_12 Depth=1
	s_delay_alu instid0(VALU_DEP_2) | instskip(NEXT) | instid1(VALU_DEP_1)
	v_clz_i32_u32_e32 v33, v33
	v_min_u32_e32 v33, 32, v33
	s_delay_alu instid0(VALU_DEP_1) | instskip(NEXT) | instid1(VALU_DEP_1)
	v_subrev_nc_u32_e32 v36, 28, v33
	v_lshlrev_b64_e32 v[38:39], v36, v[4:5]
	s_delay_alu instid0(VALU_DEP_1)
	v_dual_sub_nc_u32 v36, 29, v33 :: v_dual_bitop2_b32 v33, 7, v38 bitop3:0x40
; %bb.94:                               ;   in Loop: Header=BB252_12 Depth=1
	s_or_b32 exec_lo, exec_lo, s44
	s_delay_alu instid0(VALU_DEP_1) | instskip(NEXT) | instid1(VALU_DEP_2)
	v_dual_lshlrev_b32 v4, 8, v35 :: v_dual_lshlrev_b32 v33, 23, v33
	v_lshl_add_u32 v35, v36, 10, 0x2000
	s_delay_alu instid0(VALU_DEP_1) | instskip(NEXT) | instid1(VALU_DEP_1)
	v_and_or_b32 v4, 0x8000, v4, v35
	v_lshl_or_b32 v33, v4, 16, v33
.LBB252_95:                             ;   in Loop: Header=BB252_12 Depth=1
	s_or_b32 exec_lo, exec_lo, s43
.LBB252_96:                             ;   in Loop: Header=BB252_12 Depth=1
	s_delay_alu instid0(SALU_CYCLE_1)
	s_or_b32 exec_lo, exec_lo, s42
.LBB252_97:                             ;   in Loop: Header=BB252_12 Depth=1
	s_delay_alu instid0(SALU_CYCLE_1) | instskip(SKIP_3) | instid1(VALU_DEP_2)
	s_or_b32 exec_lo, exec_lo, s41
	v_dual_mov_b32 v35, 0 :: v_dual_lshrrev_b32 v4, 16, v14
	v_mov_b32_e32 v36, 0
	s_mov_b32 s41, exec_lo
	v_and_b32_e32 v37, 0xff, v4
	s_delay_alu instid0(VALU_DEP_1)
	v_cmpx_ne_u16_e32 0, v37
	s_cbranch_execz .LBB252_105
; %bb.98:                               ;   in Loop: Header=BB252_12 Depth=1
	v_mov_b32_e32 v36, 0x8000
	s_mov_b32 s42, exec_lo
	v_cmpx_ne_u16_e32 0x80, v37
	s_cbranch_execz .LBB252_104
; %bb.99:                               ;   in Loop: Header=BB252_12 Depth=1
	v_bfe_u32 v38, v14, 16, 7
	v_mov_b32_e32 v36, 0x7c01
	s_mov_b32 s43, exec_lo
	s_delay_alu instid0(VALU_DEP_2)
	v_cmpx_ne_u32_e32 0x7f, v38
	s_cbranch_execz .LBB252_103
; %bb.100:                              ;   in Loop: Header=BB252_12 Depth=1
	v_dual_lshrrev_b32 v37, 3, v38 :: v_dual_bitop2_b32 v36, 7, v4 bitop3:0x40
	s_mov_b32 s44, exec_lo
	v_cmpx_gt_u32_e32 8, v38
; %bb.101:                              ;   in Loop: Header=BB252_12 Depth=1
	s_delay_alu instid0(VALU_DEP_2) | instskip(NEXT) | instid1(VALU_DEP_1)
	v_clz_i32_u32_e32 v36, v36
	v_min_u32_e32 v38, 32, v36
	s_delay_alu instid0(VALU_DEP_1) | instskip(NEXT) | instid1(VALU_DEP_1)
	v_subrev_nc_u32_e32 v36, 28, v38
	v_lshlrev_b64_e32 v[36:37], v36, v[4:5]
	s_delay_alu instid0(VALU_DEP_1)
	v_dual_sub_nc_u32 v37, 29, v38 :: v_dual_bitop2_b32 v36, 7, v36 bitop3:0x40
; %bb.102:                              ;   in Loop: Header=BB252_12 Depth=1
	s_or_b32 exec_lo, exec_lo, s44
	v_lshlrev_b32_e32 v4, 8, v4
	s_delay_alu instid0(VALU_DEP_2) | instskip(NEXT) | instid1(VALU_DEP_3)
	v_lshl_add_u32 v37, v37, 10, 0x2000
	v_lshlrev_b32_e32 v36, 7, v36
	s_delay_alu instid0(VALU_DEP_3) | instskip(NEXT) | instid1(VALU_DEP_3)
	v_and_b32_e32 v4, 0x8000, v4
	v_and_b32_e32 v37, 0xfc00, v37
	s_delay_alu instid0(VALU_DEP_1)
	v_or3_b32 v36, v4, v37, v36
.LBB252_103:                            ;   in Loop: Header=BB252_12 Depth=1
	s_or_b32 exec_lo, exec_lo, s43
.LBB252_104:                            ;   in Loop: Header=BB252_12 Depth=1
	s_delay_alu instid0(SALU_CYCLE_1)
	s_or_b32 exec_lo, exec_lo, s42
.LBB252_105:                            ;   in Loop: Header=BB252_12 Depth=1
	s_delay_alu instid0(SALU_CYCLE_1) | instskip(NEXT) | instid1(SALU_CYCLE_1)
	s_or_b32 exec_lo, exec_lo, s41
	s_mov_b32 s41, exec_lo
	v_cmpx_lt_u32_e32 0xffffff, v14
	s_cbranch_execz .LBB252_113
; %bb.106:                              ;   in Loop: Header=BB252_12 Depth=1
	v_lshrrev_b32_e32 v4, 24, v14
	v_bfrev_b32_e32 v35, 1
	s_mov_b32 s42, exec_lo
	s_delay_alu instid0(VALU_DEP_2)
	v_cmpx_ne_u32_e32 0x80, v4
	s_cbranch_execz .LBB252_112
; %bb.107:                              ;   in Loop: Header=BB252_12 Depth=1
	v_and_b32_e32 v37, 0x7f, v4
	v_mov_b32_e32 v35, 0x7c010000
	s_mov_b32 s43, exec_lo
	s_delay_alu instid0(VALU_DEP_2)
	v_cmpx_ne_u32_e32 0x7f, v37
	s_cbranch_execz .LBB252_111
; %bb.108:                              ;   in Loop: Header=BB252_12 Depth=1
	v_dual_lshrrev_b32 v35, 3, v37 :: v_dual_bitop2_b32 v14, 7, v4 bitop3:0x40
	s_mov_b32 s44, exec_lo
	v_cmpx_gt_u32_e32 8, v37
; %bb.109:                              ;   in Loop: Header=BB252_12 Depth=1
	s_delay_alu instid0(VALU_DEP_2) | instskip(NEXT) | instid1(VALU_DEP_1)
	v_clz_i32_u32_e32 v14, v14
	v_min_u32_e32 v14, 32, v14
	s_delay_alu instid0(VALU_DEP_1) | instskip(NEXT) | instid1(VALU_DEP_1)
	v_subrev_nc_u32_e32 v35, 28, v14
	v_lshlrev_b64_e32 v[38:39], v35, v[4:5]
	v_sub_nc_u32_e32 v35, 29, v14
	s_delay_alu instid0(VALU_DEP_2)
	v_and_b32_e32 v14, 7, v38
; %bb.110:                              ;   in Loop: Header=BB252_12 Depth=1
	s_or_b32 exec_lo, exec_lo, s44
	s_delay_alu instid0(VALU_DEP_1) | instskip(NEXT) | instid1(VALU_DEP_3)
	v_dual_lshlrev_b32 v4, 8, v4 :: v_dual_lshlrev_b32 v14, 23, v14
	v_lshl_add_u32 v35, v35, 10, 0x2000
	s_delay_alu instid0(VALU_DEP_1) | instskip(NEXT) | instid1(VALU_DEP_1)
	v_and_or_b32 v4, 0x8000, v4, v35
	v_lshl_or_b32 v35, v4, 16, v14
.LBB252_111:                            ;   in Loop: Header=BB252_12 Depth=1
	s_or_b32 exec_lo, exec_lo, s43
.LBB252_112:                            ;   in Loop: Header=BB252_12 Depth=1
	s_delay_alu instid0(SALU_CYCLE_1)
	s_or_b32 exec_lo, exec_lo, s42
.LBB252_113:                            ;   in Loop: Header=BB252_12 Depth=1
	s_delay_alu instid0(SALU_CYCLE_1)
	s_or_b32 exec_lo, exec_lo, s41
	global_load_b32 v12, v[12:13], off offset:264
	s_wait_xcnt 0x0
	v_dual_mov_b32 v13, 0 :: v_dual_mov_b32 v14, 0
	s_mov_b32 s41, exec_lo
	s_wait_loadcnt 0x0
	v_and_b32_e32 v4, 0xff, v12
	s_delay_alu instid0(VALU_DEP_1)
	v_cmpx_ne_u16_e32 0, v4
	s_cbranch_execz .LBB252_121
; %bb.114:                              ;   in Loop: Header=BB252_12 Depth=1
	v_mov_b32_e32 v14, 0x8000
	s_mov_b32 s42, exec_lo
	v_cmpx_ne_u16_e32 0x80, v4
	s_cbranch_execz .LBB252_120
; %bb.115:                              ;   in Loop: Header=BB252_12 Depth=1
	v_and_b32_e32 v37, 0x7f, v12
	v_mov_b32_e32 v14, 0x7c01
	s_mov_b32 s43, exec_lo
	s_delay_alu instid0(VALU_DEP_2)
	v_cmpx_ne_u32_e32 0x7f, v37
	s_cbranch_execz .LBB252_119
; %bb.116:                              ;   in Loop: Header=BB252_12 Depth=1
	v_dual_lshrrev_b32 v14, 3, v37 :: v_dual_bitop2_b32 v4, 7, v12 bitop3:0x40
	s_mov_b32 s44, exec_lo
	v_cmpx_gt_u32_e32 8, v37
; %bb.117:                              ;   in Loop: Header=BB252_12 Depth=1
	s_delay_alu instid0(VALU_DEP_2) | instskip(NEXT) | instid1(VALU_DEP_1)
	v_clz_i32_u32_e32 v4, v4
	v_min_u32_e32 v4, 32, v4
	s_delay_alu instid0(VALU_DEP_1) | instskip(NEXT) | instid1(VALU_DEP_1)
	v_subrev_nc_u32_e32 v14, 28, v4
	v_lshlrev_b64_e32 v[38:39], v14, v[12:13]
	s_delay_alu instid0(VALU_DEP_1)
	v_dual_sub_nc_u32 v14, 29, v4 :: v_dual_bitop2_b32 v4, 7, v38 bitop3:0x40
; %bb.118:                              ;   in Loop: Header=BB252_12 Depth=1
	s_or_b32 exec_lo, exec_lo, s44
	v_lshlrev_b32_e32 v37, 8, v12
	s_delay_alu instid0(VALU_DEP_2) | instskip(NEXT) | instid1(VALU_DEP_3)
	v_lshl_add_u32 v14, v14, 10, 0x2000
	v_lshlrev_b32_e32 v4, 7, v4
	s_delay_alu instid0(VALU_DEP_3) | instskip(NEXT) | instid1(VALU_DEP_3)
	v_and_b32_e32 v37, 0x8000, v37
	v_and_b32_e32 v14, 0xfc00, v14
	s_delay_alu instid0(VALU_DEP_1)
	v_or3_b32 v14, v37, v14, v4
.LBB252_119:                            ;   in Loop: Header=BB252_12 Depth=1
	s_or_b32 exec_lo, exec_lo, s43
.LBB252_120:                            ;   in Loop: Header=BB252_12 Depth=1
	s_delay_alu instid0(SALU_CYCLE_1)
	s_or_b32 exec_lo, exec_lo, s42
.LBB252_121:                            ;   in Loop: Header=BB252_12 Depth=1
	s_delay_alu instid0(SALU_CYCLE_1) | instskip(SKIP_2) | instid1(VALU_DEP_1)
	s_or_b32 exec_lo, exec_lo, s41
	v_lshrrev_b16 v4, 8, v12
	s_mov_b32 s41, exec_lo
	v_cmpx_ne_u16_e32 0, v4
	s_cbranch_execz .LBB252_129
; %bb.122:                              ;   in Loop: Header=BB252_12 Depth=1
	v_bfrev_b32_e32 v13, 1
	s_mov_b32 s42, exec_lo
	v_cmpx_ne_u16_e32 0x80, v4
	s_cbranch_execz .LBB252_128
; %bb.123:                              ;   in Loop: Header=BB252_12 Depth=1
	v_and_b32_e32 v37, 0xffff, v4
	v_mov_b32_e32 v13, 0x7c010000
	s_mov_b32 s43, exec_lo
	s_delay_alu instid0(VALU_DEP_2) | instskip(NEXT) | instid1(VALU_DEP_1)
	v_and_b32_e32 v39, 0x7f, v37
	v_cmpx_ne_u32_e32 0x7f, v39
	s_cbranch_execz .LBB252_127
; %bb.124:                              ;   in Loop: Header=BB252_12 Depth=1
	v_dual_lshrrev_b32 v38, 3, v39 :: v_dual_bitop2_b32 v13, 7, v37 bitop3:0x40
	s_mov_b32 s44, exec_lo
	v_cmpx_gt_u32_e32 8, v39
; %bb.125:                              ;   in Loop: Header=BB252_12 Depth=1
	s_delay_alu instid0(VALU_DEP_2) | instskip(NEXT) | instid1(VALU_DEP_1)
	v_clz_i32_u32_e32 v13, v13
	v_min_u32_e32 v13, 32, v13
	s_delay_alu instid0(VALU_DEP_1) | instskip(NEXT) | instid1(VALU_DEP_1)
	v_subrev_nc_u32_e32 v38, 28, v13
	v_lshlrev_b64_e32 v[40:41], v38, v[4:5]
	s_delay_alu instid0(VALU_DEP_1)
	v_dual_sub_nc_u32 v38, 29, v13 :: v_dual_bitop2_b32 v13, 7, v40 bitop3:0x40
; %bb.126:                              ;   in Loop: Header=BB252_12 Depth=1
	s_or_b32 exec_lo, exec_lo, s44
	v_lshlrev_b32_e32 v4, 8, v37
	s_delay_alu instid0(VALU_DEP_2) | instskip(NEXT) | instid1(VALU_DEP_3)
	v_lshl_add_u32 v37, v38, 10, 0x2000
	v_lshlrev_b32_e32 v13, 23, v13
	s_delay_alu instid0(VALU_DEP_2) | instskip(NEXT) | instid1(VALU_DEP_1)
	v_and_or_b32 v4, 0x8000, v4, v37
	v_lshl_or_b32 v13, v4, 16, v13
.LBB252_127:                            ;   in Loop: Header=BB252_12 Depth=1
	s_or_b32 exec_lo, exec_lo, s43
.LBB252_128:                            ;   in Loop: Header=BB252_12 Depth=1
	s_delay_alu instid0(SALU_CYCLE_1)
	s_or_b32 exec_lo, exec_lo, s42
.LBB252_129:                            ;   in Loop: Header=BB252_12 Depth=1
	s_delay_alu instid0(SALU_CYCLE_1) | instskip(SKIP_3) | instid1(VALU_DEP_2)
	s_or_b32 exec_lo, exec_lo, s41
	v_dual_mov_b32 v37, 0 :: v_dual_lshrrev_b32 v4, 16, v12
	v_mov_b32_e32 v38, 0
	s_mov_b32 s41, exec_lo
	v_and_b32_e32 v39, 0xff, v4
	s_delay_alu instid0(VALU_DEP_1)
	v_cmpx_ne_u16_e32 0, v39
	s_cbranch_execz .LBB252_137
; %bb.130:                              ;   in Loop: Header=BB252_12 Depth=1
	v_mov_b32_e32 v38, 0x8000
	s_mov_b32 s42, exec_lo
	v_cmpx_ne_u16_e32 0x80, v39
	s_cbranch_execz .LBB252_136
; %bb.131:                              ;   in Loop: Header=BB252_12 Depth=1
	v_bfe_u32 v40, v12, 16, 7
	v_mov_b32_e32 v38, 0x7c01
	s_mov_b32 s43, exec_lo
	s_delay_alu instid0(VALU_DEP_2)
	v_cmpx_ne_u32_e32 0x7f, v40
	s_cbranch_execz .LBB252_135
; %bb.132:                              ;   in Loop: Header=BB252_12 Depth=1
	v_and_b32_e32 v38, 7, v4
	v_lshrrev_b32_e32 v39, 3, v40
	s_mov_b32 s44, exec_lo
	v_cmpx_gt_u32_e32 8, v40
; %bb.133:                              ;   in Loop: Header=BB252_12 Depth=1
	s_delay_alu instid0(VALU_DEP_3) | instskip(NEXT) | instid1(VALU_DEP_1)
	v_clz_i32_u32_e32 v38, v38
	v_min_u32_e32 v40, 32, v38
	s_delay_alu instid0(VALU_DEP_1) | instskip(NEXT) | instid1(VALU_DEP_1)
	v_subrev_nc_u32_e32 v38, 28, v40
	v_lshlrev_b64_e32 v[38:39], v38, v[4:5]
	s_delay_alu instid0(VALU_DEP_1)
	v_dual_sub_nc_u32 v39, 29, v40 :: v_dual_bitop2_b32 v38, 7, v38 bitop3:0x40
; %bb.134:                              ;   in Loop: Header=BB252_12 Depth=1
	s_or_b32 exec_lo, exec_lo, s44
	s_delay_alu instid0(VALU_DEP_1) | instskip(NEXT) | instid1(VALU_DEP_2)
	v_dual_lshlrev_b32 v4, 8, v4 :: v_dual_lshlrev_b32 v38, 7, v38
	v_lshl_add_u32 v39, v39, 10, 0x2000
	s_delay_alu instid0(VALU_DEP_2) | instskip(NEXT) | instid1(VALU_DEP_2)
	v_and_b32_e32 v4, 0x8000, v4
	v_and_b32_e32 v39, 0xfc00, v39
	s_delay_alu instid0(VALU_DEP_1)
	v_or3_b32 v38, v4, v39, v38
.LBB252_135:                            ;   in Loop: Header=BB252_12 Depth=1
	s_or_b32 exec_lo, exec_lo, s43
.LBB252_136:                            ;   in Loop: Header=BB252_12 Depth=1
	s_delay_alu instid0(SALU_CYCLE_1)
	s_or_b32 exec_lo, exec_lo, s42
.LBB252_137:                            ;   in Loop: Header=BB252_12 Depth=1
	s_delay_alu instid0(SALU_CYCLE_1) | instskip(NEXT) | instid1(SALU_CYCLE_1)
	s_or_b32 exec_lo, exec_lo, s41
	s_mov_b32 s41, exec_lo
	v_cmpx_lt_u32_e32 0xffffff, v12
	s_cbranch_execz .LBB252_145
; %bb.138:                              ;   in Loop: Header=BB252_12 Depth=1
	v_lshrrev_b32_e32 v4, 24, v12
	v_bfrev_b32_e32 v37, 1
	s_mov_b32 s42, exec_lo
	s_delay_alu instid0(VALU_DEP_2)
	v_cmpx_ne_u32_e32 0x80, v4
	s_cbranch_execz .LBB252_144
; %bb.139:                              ;   in Loop: Header=BB252_12 Depth=1
	v_and_b32_e32 v39, 0x7f, v4
	v_mov_b32_e32 v37, 0x7c010000
	s_mov_b32 s43, exec_lo
	s_delay_alu instid0(VALU_DEP_2)
	v_cmpx_ne_u32_e32 0x7f, v39
	s_cbranch_execz .LBB252_143
; %bb.140:                              ;   in Loop: Header=BB252_12 Depth=1
	v_dual_lshrrev_b32 v37, 3, v39 :: v_dual_bitop2_b32 v12, 7, v4 bitop3:0x40
	s_mov_b32 s44, exec_lo
	v_cmpx_gt_u32_e32 8, v39
; %bb.141:                              ;   in Loop: Header=BB252_12 Depth=1
	s_delay_alu instid0(VALU_DEP_2) | instskip(NEXT) | instid1(VALU_DEP_1)
	v_clz_i32_u32_e32 v12, v12
	v_min_u32_e32 v12, 32, v12
	s_delay_alu instid0(VALU_DEP_1) | instskip(NEXT) | instid1(VALU_DEP_1)
	v_subrev_nc_u32_e32 v37, 28, v12
	v_lshlrev_b64_e32 v[40:41], v37, v[4:5]
	v_sub_nc_u32_e32 v37, 29, v12
	s_delay_alu instid0(VALU_DEP_2)
	v_and_b32_e32 v12, 7, v40
; %bb.142:                              ;   in Loop: Header=BB252_12 Depth=1
	s_or_b32 exec_lo, exec_lo, s44
	v_lshlrev_b32_e32 v4, 8, v4
	s_delay_alu instid0(VALU_DEP_3) | instskip(NEXT) | instid1(VALU_DEP_3)
	v_lshl_add_u32 v37, v37, 10, 0x2000
	v_lshlrev_b32_e32 v12, 23, v12
	s_delay_alu instid0(VALU_DEP_2) | instskip(NEXT) | instid1(VALU_DEP_1)
	v_and_or_b32 v4, 0x8000, v4, v37
	v_lshl_or_b32 v37, v4, 16, v12
.LBB252_143:                            ;   in Loop: Header=BB252_12 Depth=1
	s_or_b32 exec_lo, exec_lo, s43
.LBB252_144:                            ;   in Loop: Header=BB252_12 Depth=1
	s_delay_alu instid0(SALU_CYCLE_1)
	s_or_b32 exec_lo, exec_lo, s42
.LBB252_145:                            ;   in Loop: Header=BB252_12 Depth=1
	s_delay_alu instid0(SALU_CYCLE_1)
	s_or_b32 exec_lo, exec_lo, s41
	ds_load_b64 v[40:41], v16
	v_or_b32_e32 v4, v22, v26
	v_or_b32_e32 v12, v27, v28
	v_fma_mixlo_f16 v26, v7, v27, 0 op_sel:[0,1,0] op_sel_hi:[0,1,0]
	v_fma_mixlo_f16 v22, v7, v22, 0 op_sel:[0,1,0] op_sel_hi:[0,1,0]
	s_delay_alu instid0(VALU_DEP_2) | instskip(NEXT) | instid1(VALU_DEP_2)
	v_and_b32_e32 v26, 0xffff, v26
	v_and_b32_e32 v22, 0xffff, v22
	s_wait_dscnt 0x0
	v_lshrrev_b32_e32 v28, 16, v40
	v_fma_mixlo_f16 v4, v7, v4, 0 op_sel_hi:[0,1,0]
	v_lshrrev_b32_e32 v39, 16, v41
	v_fma_mixlo_f16 v12, v7, v12, 0 op_sel_hi:[0,1,0]
	v_and_b32_e32 v27, 0xffff, v40
	v_and_b32_e32 v40, 0xffff, v41
	;; [unrolled: 1-line block ×3, first 2 shown]
	;;#ASMSTART
	v_cvt_f32_f16 v41, v27;
	;;#ASMEND
	v_and_b32_e32 v12, 0xffff, v12
	;;#ASMSTART
	v_cvt_f32_f16 v42, v28;
	;;#ASMEND
	;;#ASMSTART
	v_cvt_f32_f16 v43, v4;
	;;#ASMEND
	;; [unrolled: 3-line block ×7, first 2 shown]
	ds_load_b64 v[26:27], v16 offset:8
	v_or_b32_e32 v4, v29, v30
	v_or_b32_e32 v12, v31, v32
	v_fma_mixlo_f16 v22, v7, v29, 0 op_sel:[0,1,0] op_sel_hi:[0,1,0]
	v_fma_mixlo_f16 v28, v7, v31, 0 op_sel:[0,1,0] op_sel_hi:[0,1,0]
	s_delay_alu instid0(VALU_DEP_2) | instskip(NEXT) | instid1(VALU_DEP_2)
	v_and_b32_e32 v22, 0xffff, v22
	v_and_b32_e32 v28, 0xffff, v28
	s_wait_dscnt 0x0
	v_and_b32_e32 v29, 0xffff, v26
	v_lshrrev_b32_e32 v26, 16, v26
	v_fma_mixlo_f16 v12, v7, v12, 0 op_sel_hi:[0,1,0]
	v_lshrrev_b32_e32 v30, 16, v27
	v_fma_mixlo_f16 v4, v7, v4, 0 op_sel_hi:[0,1,0]
	v_and_b32_e32 v27, 0xffff, v27
	;;#ASMSTART
	v_cvt_f32_f16 v31, v29;
	;;#ASMEND
	v_and_b32_e32 v12, 0xffff, v12
	;;#ASMSTART
	v_cvt_f32_f16 v32, v26;
	;;#ASMEND
	;; [unrolled: 4-line block ×3, first 2 shown]
	;;#ASMSTART
	v_cvt_f32_f16 v48, v22;
	;;#ASMEND
	;;#ASMSTART
	v_cvt_f32_f16 v49, v27;
	;;#ASMEND
	;; [unrolled: 3-line block ×5, first 2 shown]
	ds_load_b64 v[26:27], v16 offset:16
	v_or_b32_e32 v4, v33, v34
	v_or_b32_e32 v22, v35, v36
	v_fma_mixlo_f16 v12, v7, v33, 0 op_sel:[0,1,0] op_sel_hi:[0,1,0]
	v_fma_mixlo_f16 v28, v7, v35, 0 op_sel:[0,1,0] op_sel_hi:[0,1,0]
	v_or_b32_e32 v14, v13, v14
	v_fma_mixlo_f16 v29, v7, v13, 0 op_sel:[0,1,0] op_sel_hi:[0,1,0]
	v_fma_mixlo_f16 v13, v7, v22, 0 op_sel_hi:[0,1,0]
	v_and_b32_e32 v12, 0xffff, v12
	v_and_b32_e32 v22, 0xffff, v28
	v_or_b32_e32 v30, v37, v38
	v_fma_mixlo_f16 v14, v7, v14, 0 op_sel_hi:[0,1,0]
	v_and_b32_e32 v13, 0xffff, v13
	v_and_b32_e32 v29, 0xffff, v29
	s_wait_dscnt 0x0
	v_lshrrev_b32_e32 v33, 16, v27
	v_fma_mixlo_f16 v4, v7, v4, 0 op_sel_hi:[0,1,0]
	v_and_b32_e32 v28, 0xffff, v26
	v_and_b32_e32 v27, 0xffff, v27
	v_lshrrev_b32_e32 v26, 16, v26
	;;#ASMSTART
	v_cvt_f32_f16 v28, v28;
	;;#ASMEND
	v_and_b32_e32 v4, 0xffff, v4
	;;#ASMSTART
	v_cvt_f32_f16 v34, v26;
	;;#ASMEND
	;;#ASMSTART
	v_cvt_f32_f16 v35, v4;
	;;#ASMEND
	;; [unrolled: 3-line block ×7, first 2 shown]
	ds_load_b64 v[12:13], v16 offset:24
	v_fma_mixlo_f16 v4, v7, v37, 0 op_sel:[0,1,0] op_sel_hi:[0,1,0]
	v_mul_f32_e32 v22, v32, v48
	v_fma_mixlo_f16 v7, v7, v30, 0 op_sel_hi:[0,1,0]
	v_mul_f32_e32 v26, v49, v51
	s_delay_alu instid0(VALU_DEP_4) | instskip(NEXT) | instid1(VALU_DEP_4)
	v_and_b32_e32 v30, 0xffff, v4
	v_dual_mul_f32 v4, v31, v47 :: v_dual_fmac_f32 v22, v42, v44
	v_and_b32_e32 v31, 0xffff, v14
	s_delay_alu instid0(VALU_DEP_4) | instskip(NEXT) | instid1(VALU_DEP_3)
	v_dual_mul_f32 v14, v50, v52 :: v_dual_fmac_f32 v26, v40, v45
	v_dual_fmac_f32 v4, v41, v43 :: v_dual_fmac_f32 v22, v34, v36
	v_and_b32_e32 v7, 0xffff, v7
	s_delay_alu instid0(VALU_DEP_2) | instskip(NEXT) | instid1(VALU_DEP_4)
	v_dual_fmac_f32 v14, v39, v46 :: v_dual_fmac_f32 v4, v28, v35
	v_fmac_f32_e32 v26, v27, v38
	s_wait_dscnt 0x0
	v_and_b32_e32 v27, 0xffff, v12
	v_dual_lshrrev_b32 v12, 16, v12 :: v_dual_lshrrev_b32 v28, 16, v13
	v_and_b32_e32 v13, 0xffff, v13
	;;#ASMSTART
	v_cvt_f32_f16 v27, v27;
	;;#ASMEND
	;;#ASMSTART
	v_cvt_f32_f16 v12, v12;
	;;#ASMEND
	;; [unrolled: 3-line block ×4, first 2 shown]
	v_fmac_f32_e32 v22, v12, v29
	;;#ASMSTART
	v_cvt_f32_f16 v12, v13;
	;;#ASMEND
	;;#ASMSTART
	v_cvt_f32_f16 v13, v28;
	;;#ASMEND
	;; [unrolled: 3-line block ×3, first 2 shown]
	v_fmac_f32_e32 v4, v27, v31
	v_fmac_f32_e32 v26, v12, v7
	v_dual_fmac_f32 v14, v33, v53 :: v_dual_bitop2_b32 v7, 1, v3 bitop3:0x14
	;;#ASMSTART
	v_cvt_f32_f16 v12, v30;
	;;#ASMEND
	s_delay_alu instid0(VALU_DEP_3) | instskip(NEXT) | instid1(VALU_DEP_2)
	v_add_f32_e32 v4, v4, v22
	v_cmp_gt_i32_e64 s4, 32, v7
	s_delay_alu instid0(VALU_DEP_1) | instskip(NEXT) | instid1(VALU_DEP_1)
	v_dual_cndmask_b32 v7, v3, v7, s4 :: v_dual_fmac_f32 v14, v13, v12
	v_dual_add_f32 v4, v4, v26 :: v_dual_lshlrev_b32 v7, 2, v7
	s_delay_alu instid0(VALU_DEP_1)
	v_add_f32_e32 v4, v14, v4
	ds_bpermute_b32 v7, v7, v4
	s_and_saveexec_b32 s41, s3
	s_cbranch_execz .LBB252_10
; %bb.146:                              ;   in Loop: Header=BB252_12 Depth=1
	s_wait_dscnt 0x0
	v_dual_add_nc_u32 v12, v18, v6 :: v_dual_add_f32 v4, v4, v7
	s_delay_alu instid0(VALU_DEP_1) | instskip(NEXT) | instid1(VALU_DEP_1)
	v_cvt_f32_i32_e32 v12, v12
	v_mul_f32_e32 v12, s37, v12
	s_delay_alu instid0(VALU_DEP_1) | instskip(NEXT) | instid1(VALU_DEP_1)
	v_dual_cndmask_b32 v7, 0, v12 :: v_dual_max_num_f32 v12, v17, v17
	v_dual_fmac_f32 v7, s27, v4 :: v_dual_add_nc_u32 v4, v15, v6
	s_delay_alu instid0(VALU_DEP_1) | instskip(NEXT) | instid1(VALU_DEP_1)
	v_cmp_gt_i32_e64 s4, s34, v4
	v_dual_max_num_f32 v12, v12, v7 :: v_dual_cndmask_b32 v4, 0, v7, s4
	s_delay_alu instid0(VALU_DEP_1)
	v_cndmask_b32_e64 v17, v17, v12, s4
	ds_store_b32 v19, v4
	s_branch .LBB252_10
.LBB252_147:
	s_or_b32 exec_lo, exec_lo, s40
.LBB252_148:
	s_delay_alu instid0(SALU_CYCLE_1)
	s_or_b32 exec_lo, exec_lo, s26
	s_wait_dscnt 0x0
	v_dual_max_num_f32 v7, v17, v17 :: v_dual_bitop2_b32 v4, 16, v3 bitop3:0x14
	s_clause 0x1
	s_load_b64 s[4:5], s[0:1], 0x0
	s_load_b64 s[26:27], s[0:1], 0x18
	v_xor_b32_e32 v6, 8, v3
	v_xor_b32_e32 v8, 4, v3
	v_cmp_gt_i32_e32 vcc_lo, 32, v4
	v_and_b32_e32 v26, 31, v0
	v_cndmask_b32_e32 v4, v3, v4, vcc_lo
	v_cmp_gt_i32_e32 vcc_lo, 32, v6
	s_delay_alu instid0(VALU_DEP_2) | instskip(SKIP_4) | instid1(VALU_DEP_1)
	v_dual_cndmask_b32 v6, v3, v6 :: v_dual_lshlrev_b32 v5, 2, v4
	v_cmp_gt_i32_e32 vcc_lo, 32, v8
	ds_bpermute_b32 v4, v5, v17
	s_wait_dscnt 0x0
	v_dual_lshlrev_b32 v6, 2, v6 :: v_dual_max_num_f32 v4, v4, v4
	v_max_num_f32_e32 v4, v7, v4
	ds_bpermute_b32 v7, v6, v4
	s_wait_dscnt 0x0
	v_max_num_f32_e32 v9, v7, v7
	s_delay_alu instid0(VALU_DEP_1) | instskip(NEXT) | instid1(VALU_DEP_1)
	v_dual_cndmask_b32 v8, v3, v8, vcc_lo :: v_dual_max_num_f32 v4, v4, v9
	v_lshlrev_b32_e32 v7, 2, v8
	ds_bpermute_b32 v8, v7, v4
	s_wait_dscnt 0x0
	v_dual_max_num_f32 v8, v8, v8 :: v_dual_bitop2_b32 v9, 2, v3 bitop3:0x14
	s_delay_alu instid0(VALU_DEP_1) | instskip(NEXT) | instid1(VALU_DEP_2)
	v_cmp_gt_i32_e32 vcc_lo, 32, v9
	v_dual_cndmask_b32 v10, v3, v9 :: v_dual_max_num_f32 v9, v4, v8
	v_lshlrev_b32_e32 v8, 2, v25
	v_cmp_eq_u32_e32 vcc_lo, 0, v26
	s_delay_alu instid0(VALU_DEP_3)
	v_lshlrev_b32_e32 v4, 2, v10
	ds_bpermute_b32 v10, v4, v9
	s_wait_xcnt 0x0
	s_and_saveexec_b32 s0, vcc_lo
	s_cbranch_execz .LBB252_150
; %bb.149:
	s_wait_dscnt 0x0
	v_dual_max_num_f32 v10, v10, v10 :: v_dual_max_num_f32 v9, v9, v9
	s_delay_alu instid0(VALU_DEP_1)
	v_max_num_f32_e32 v9, v9, v10
	ds_store_b32 v8, v9 offset:64
.LBB252_150:
	s_or_b32 exec_lo, exec_lo, s0
	v_cmp_gt_u32_e64 s0, 4, v26
	s_wait_dscnt 0x0
	v_dual_mov_b32 v10, 0xff7fffff :: v_dual_lshlrev_b32 v9, 2, v26
	s_barrier_signal -1
	s_barrier_wait -1
	s_and_saveexec_b32 s1, s0
; %bb.151:
	ds_load_b32 v10, v9 offset:64
; %bb.152:
	s_or_b32 exec_lo, exec_lo, s1
	s_wait_dscnt 0x0
	ds_bpermute_b32 v11, v4, v10
	v_dual_max_num_f32 v10, v10, v10 :: v_dual_bitop2_b32 v12, 1, v3 bitop3:0x14
	s_delay_alu instid0(VALU_DEP_1) | instskip(NEXT) | instid1(VALU_DEP_1)
	v_cmp_gt_i32_e64 s1, 32, v12
	v_cndmask_b32_e64 v3, v3, v12, s1
	s_lshl_b32 s1, s12, 4
	s_delay_alu instid0(SALU_CYCLE_1) | instskip(NEXT) | instid1(VALU_DEP_1)
	s_min_i32 s8, s1, s34
	v_lshlrev_b32_e32 v27, 2, v3
	v_cmp_gt_i32_e64 s1, s8, v0
	s_wait_dscnt 0x0
	v_max_num_f32_e32 v11, v11, v11
	s_delay_alu instid0(VALU_DEP_1) | instskip(SKIP_3) | instid1(VALU_DEP_1)
	v_max_num_f32_e32 v3, v10, v11
	ds_bpermute_b32 v10, v27, v3
	s_wait_dscnt 0x0
	v_max_num_f32_e32 v10, v10, v10
	v_dual_max_num_f32 v10, v3, v10 :: v_dual_mov_b32 v3, 0
	ds_bpermute_b32 v10, v3, v10
	s_and_saveexec_b32 s9, s1
	s_cbranch_execz .LBB252_156
; %bb.153:
	v_lshl_add_u32 v11, v0, 2, 0x60
	v_dual_mov_b32 v3, 0 :: v_dual_mov_b32 v12, v0
	s_mov_b32 s19, 0
.LBB252_154:                            ; =>This Inner Loop Header: Depth=1
	ds_load_b32 v13, v11
	v_add_nc_u32_e32 v12, 0x80, v12
	s_delay_alu instid0(VALU_DEP_1) | instskip(SKIP_3) | instid1(VALU_DEP_1)
	v_cmp_le_i32_e64 s3, s8, v12
	s_or_b32 s19, s3, s19
	s_wait_dscnt 0x0
	v_sub_f32_e32 v13, v13, v10
	v_mul_f32_e32 v13, 0x3fb8aa3b, v13
	s_delay_alu instid0(VALU_DEP_1)
	v_exp_f32_e32 v13, v13
	ds_store_b32 v11, v13
	v_nop
	v_add_f32_e32 v3, v3, v13
	v_add_nc_u32_e32 v11, 0x200, v11
	s_and_not1_b32 exec_lo, exec_lo, s19
	s_cbranch_execnz .LBB252_154
; %bb.155:
	s_or_b32 exec_lo, exec_lo, s19
.LBB252_156:
	s_delay_alu instid0(SALU_CYCLE_1)
	s_or_b32 exec_lo, exec_lo, s9
	ds_bpermute_b32 v5, v5, v3
	s_wait_dscnt 0x0
	v_add_f32_e32 v3, v3, v5
	ds_bpermute_b32 v5, v6, v3
	s_wait_dscnt 0x0
	v_add_f32_e32 v3, v3, v5
	;; [unrolled: 3-line block ×5, first 2 shown]
	s_and_saveexec_b32 s3, vcc_lo
; %bb.157:
	ds_store_b32 v8, v3 offset:80
; %bb.158:
	s_or_b32 exec_lo, exec_lo, s3
	s_wait_dscnt 0x0
	s_barrier_signal -1
	s_barrier_wait -1
	s_and_saveexec_b32 s3, s0
; %bb.159:
	ds_load_b32 v3, v9 offset:80
; %bb.160:
	s_or_b32 exec_lo, exec_lo, s3
	s_wait_dscnt 0x0
	ds_bpermute_b32 v4, v4, v3
	s_wait_dscnt 0x0
	v_dual_mov_b32 v5, 0 :: v_dual_add_f32 v3, v3, v4
	ds_bpermute_b32 v4, v27, v3
	s_wait_dscnt 0x0
	v_add_f32_e32 v3, v3, v4
	ds_bpermute_b32 v3, v5, v3
	s_and_saveexec_b32 s0, s1
	s_cbranch_execz .LBB252_173
; %bb.161:
	s_wait_dscnt 0x0
	v_add_f32_e32 v3, 0x358637bd, v3
	s_mov_b32 s3, -1
	s_mov_b32 s1, exec_lo
	s_delay_alu instid0(VALU_DEP_1) | instskip(NEXT) | instid1(VALU_DEP_1)
	v_div_scale_f32 v4, null, v3, v3, 1.0
	v_rcp_f32_e32 v6, v4
	v_nop
	s_delay_alu instid0(TRANS32_DEP_1) | instskip(NEXT) | instid1(VALU_DEP_1)
	v_fma_f32 v7, -v4, v6, 1.0
	v_fmac_f32_e32 v6, v7, v6
	v_div_scale_f32 v8, vcc_lo, 1.0, v3, 1.0
	s_delay_alu instid0(VALU_DEP_1) | instskip(NEXT) | instid1(VALU_DEP_1)
	v_mul_f32_e32 v7, v8, v6
	v_fma_f32 v9, -v4, v7, v8
	s_delay_alu instid0(VALU_DEP_1) | instskip(NEXT) | instid1(VALU_DEP_1)
	v_fmac_f32_e32 v7, v9, v6
	v_fma_f32 v8, -v4, v7, v8
	v_xad_u32 v4, v0, -1, s8
	s_delay_alu instid0(VALU_DEP_2) | instskip(NEXT) | instid1(VALU_DEP_1)
	v_div_fmas_f32 v6, v8, v6, v7
	v_div_fixup_f32 v6, v6, v3, 1.0
	v_mov_b32_e32 v3, v0
	s_delay_alu instid0(VALU_DEP_4)
	v_cmpx_lt_u32_e32 0x7f, v4
	s_cbranch_execz .LBB252_170
; %bb.162:
	s_delay_alu instid0(VALU_DEP_3) | instskip(NEXT) | instid1(VALU_DEP_1)
	v_dual_lshrrev_b32 v3, 7, v4 :: v_dual_mov_b32 v7, v6
	v_dual_mov_b32 v10, 0 :: v_dual_add_nc_u32 v4, -1, v3
	s_delay_alu instid0(VALU_DEP_1) | instskip(SKIP_1) | instid1(VALU_DEP_2)
	v_lshrrev_b32_e32 v8, 1, v4
	v_cmp_lt_u32_e32 vcc_lo, 13, v4
	v_add_nc_u32_e32 v4, 1, v8
	s_and_saveexec_b32 s3, vcc_lo
	s_cbranch_execz .LBB252_166
; %bb.163:
	s_delay_alu instid0(VALU_DEP_1)
	v_and_b32_e32 v8, -8, v4
	v_lshl_add_u32 v9, v0, 2, 0x60
	s_mov_b32 s9, 0
	s_mov_b32 s19, 0
.LBB252_164:                            ; =>This Inner Loop Header: Depth=1
	ds_load_2addr_stride64_b32 v[10:11], v9 offset1:2
	ds_load_2addr_stride64_b32 v[12:13], v9 offset0:4 offset1:6
	ds_load_2addr_stride64_b32 v[14:15], v9 offset0:8 offset1:10
	;; [unrolled: 1-line block ×7, first 2 shown]
	s_add_co_i32 s19, s19, 16
	v_add_nc_u32_e32 v8, -8, v8
	s_wait_dscnt 0x7
	v_pk_mul_f32 v[10:11], v[6:7], v[10:11]
	s_wait_dscnt 0x6
	v_pk_mul_f32 v[12:13], v[6:7], v[12:13]
	;; [unrolled: 2-line block ×8, first 2 shown]
	ds_store_2addr_stride64_b32 v9, v10, v11 offset1:2
	ds_store_2addr_stride64_b32 v9, v12, v13 offset0:4 offset1:6
	ds_store_2addr_stride64_b32 v9, v14, v15 offset0:8 offset1:10
	;; [unrolled: 1-line block ×7, first 2 shown]
	v_mov_b32_e32 v10, s19
	v_cmp_eq_u32_e32 vcc_lo, 0, v8
	v_add_nc_u32_e32 v9, 0x2000, v9
	s_or_b32 s9, vcc_lo, s9
	s_delay_alu instid0(SALU_CYCLE_1)
	s_and_not1_b32 exec_lo, exec_lo, s9
	s_cbranch_execnz .LBB252_164
; %bb.165:
	s_or_b32 exec_lo, exec_lo, s9
.LBB252_166:
	s_delay_alu instid0(SALU_CYCLE_1) | instskip(NEXT) | instid1(VALU_DEP_1)
	s_or_b32 exec_lo, exec_lo, s3
	v_and_b32_e32 v4, 7, v4
	s_mov_b32 s9, 0
	s_mov_b32 s3, exec_lo
	s_delay_alu instid0(VALU_DEP_1)
	v_cmpx_ne_u32_e32 0, v4
	s_cbranch_execz .LBB252_169
; %bb.167:
	v_dual_lshlrev_b32 v8, 9, v10 :: v_dual_lshlrev_b32 v9, 2, v0
	s_delay_alu instid0(VALU_DEP_1)
	v_add3_u32 v8, v8, v9, 0x60
.LBB252_168:                            ; =>This Inner Loop Header: Depth=1
	ds_load_2addr_stride64_b32 v[10:11], v8 offset1:2
	v_add_nc_u32_e32 v4, -1, v4
	s_delay_alu instid0(VALU_DEP_1)
	v_cmp_eq_u32_e32 vcc_lo, 0, v4
	s_or_b32 s9, vcc_lo, s9
	s_wait_dscnt 0x0
	v_pk_mul_f32 v[10:11], v[6:7], v[10:11]
	ds_store_2addr_stride64_b32 v8, v10, v11 offset1:2
	v_add_nc_u32_e32 v8, 0x400, v8
	s_and_not1_b32 exec_lo, exec_lo, s9
	s_cbranch_execnz .LBB252_168
.LBB252_169:
	s_or_b32 exec_lo, exec_lo, s3
	v_add_nc_u32_e32 v3, 1, v3
	s_delay_alu instid0(VALU_DEP_1) | instskip(NEXT) | instid1(VALU_DEP_1)
	v_and_b32_e32 v4, 0x3fffffe, v3
	v_cmp_ne_u32_e32 vcc_lo, v3, v4
	v_lshl_add_u32 v3, v4, 7, v0
	s_or_not1_b32 s3, vcc_lo, exec_lo
.LBB252_170:
	s_or_b32 exec_lo, exec_lo, s1
	s_delay_alu instid0(SALU_CYCLE_1)
	s_and_b32 exec_lo, exec_lo, s3
	s_cbranch_execz .LBB252_173
; %bb.171:
	v_lshl_add_u32 v4, v3, 2, 0x60
	s_mov_b32 s1, 0
.LBB252_172:                            ; =>This Inner Loop Header: Depth=1
	ds_load_b32 v7, v4
	v_add_nc_u32_e32 v3, 0x80, v3
	s_delay_alu instid0(VALU_DEP_1)
	v_cmp_le_i32_e32 vcc_lo, s8, v3
	s_or_b32 s1, vcc_lo, s1
	s_wait_dscnt 0x0
	v_mul_f32_e32 v7, v6, v7
	ds_store_b32 v4, v7
	v_add_nc_u32_e32 v4, 0x200, v4
	s_and_not1_b32 exec_lo, exec_lo, s1
	s_cbranch_execnz .LBB252_172
.LBB252_173:
	s_or_b32 exec_lo, exec_lo, s0
	v_mov_b32_e32 v4, 0
	s_wait_dscnt 0x0
	s_barrier_signal -1
	s_barrier_wait -1
	s_and_saveexec_b32 s1, s2
	s_cbranch_execz .LBB252_311
; %bb.174:
	s_abs_i32 s14, s14
	v_dual_lshlrev_b32 v3, 3, v0 :: v_dual_mov_b32 v7, 0
	s_cvt_f32_u32 s0, s14
	s_ashr_i32 s19, s18, 31
	s_delay_alu instid0(VALU_DEP_1) | instskip(NEXT) | instid1(SALU_CYCLE_1)
	v_dual_lshlrev_b32 v5, 5, v24 :: v_dual_bitop2_b32 v28, 8, v3 bitop3:0x40
	v_rcp_iflag_f32_e32 v4, s0
	v_and_b32_e32 v6, 0xf8, v3
	s_wait_kmcnt 0x0
	s_add_nc_u64 s[18:19], s[26:27], s[18:19]
	s_lshl_b64 s[24:25], s[24:25], 2
	s_sub_co_i32 s2, 0, s14
	s_mov_b32 s3, 0
	v_add_nc_u64_e32 v[8:9], s[18:19], v[6:7]
	v_readfirstlane_b32 s0, v4
	v_and_b32_e32 v6, 0x7c, v1
	v_lshl_or_b32 v4, v25, 6, v5
	s_add_nc_u64 s[18:19], s[22:23], s[24:25]
	v_mov_b32_e32 v30, v25
	s_mul_f32 s0, s0, 0x4f7ffffe
	v_add_nc_u64_e32 v[10:11], s[18:19], v[6:7]
	v_dual_mov_b32 v4, 0 :: v_dual_add_nc_u32 v29, 0x60, v4
	v_mov_b32_e32 v5, 0
	s_cvt_u32_f32 s0, s0
	s_sub_co_i32 s13, s36, s13
	s_add_co_i32 s28, s12, -1
	s_mov_b64 s[8:9], 0xffffffffffffff
	s_mul_i32 s2, s2, s0
	s_mov_b32 s18, s34
	s_mul_hi_u32 s2, s0, s2
	s_mov_b32 s19, s3
	s_add_co_i32 s2, s0, s2
	s_branch .LBB252_177
.LBB252_175:                            ;   in Loop: Header=BB252_177 Depth=1
	s_or_b32 exec_lo, exec_lo, s0
	;;#ASMSTART
	v_pk_mul_f16 v1, v42, v17;

	;;#ASMEND
	;;#ASMSTART
	v_pk_mul_f16 v3, v41, v18;

	;;#ASMEND
	;;#ASMSTART
	v_pk_mul_f16 v6, v40, v15;

	;;#ASMEND
	;;#ASMSTART
	v_pk_mul_f16 v12, v39, v16;

	;;#ASMEND
	;;#ASMSTART
	v_pk_add_f16 v1, v1, v3;

	;;#ASMEND
	;;#ASMSTART
	v_pk_add_f16 v1, v1, v6;

	;;#ASMEND
	;; [unrolled: 4-line block ×3, first 2 shown]
	v_and_b32_e32 v3, 0xffff, v1
	v_dual_add_f32 v1, v43, v44 :: v_dual_lshrrev_b32 v6, 16, v1
	;;#ASMSTART
	v_cvt_f32_f16 v3, v3;
	;;#ASMEND
	;;#ASMSTART
	v_cvt_f32_f16 v6, v6;
	;;#ASMEND
	s_delay_alu instid0(VALU_DEP_1) | instskip(NEXT) | instid1(VALU_DEP_1)
	v_dual_add_f32 v3, v3, v6 :: v_dual_add_f32 v4, v4, v1
	v_add_f32_e32 v5, v5, v3
.LBB252_176:                            ;   in Loop: Header=BB252_177 Depth=1
	s_or_b32 exec_lo, exec_lo, s22
	v_add_nc_u32_e32 v30, 4, v30
	v_add_nc_u64_e32 v[10:11], 16, v[10:11]
	v_add_nc_u32_e32 v2, 64, v2
	v_add_nc_u32_e32 v29, 0x100, v29
	s_delay_alu instid0(VALU_DEP_4) | instskip(SKIP_1) | instid1(SALU_CYCLE_1)
	v_cmp_le_i32_e32 vcc_lo, s12, v30
	s_or_b32 s19, vcc_lo, s19
	s_and_not1_b32 exec_lo, exec_lo, s19
	s_cbranch_execz .LBB252_310
.LBB252_177:                            ; =>This Inner Loop Header: Depth=1
	v_mov_b32_e32 v3, v7
	s_delay_alu instid0(VALU_DEP_1) | instskip(NEXT) | instid1(VALU_DEP_1)
	v_mul_u64_e32 v[12:13], s[20:21], v[2:3]
	v_mul_lo_u32 v1, v13, s16
	s_delay_alu instid0(VALU_DEP_1) | instskip(NEXT) | instid1(VALU_DEP_1)
	v_sub_nc_u32_e32 v1, v2, v1
	v_subrev_nc_u32_e32 v6, s16, v1
	v_cmp_le_u32_e32 vcc_lo, s16, v1
	s_delay_alu instid0(VALU_DEP_2) | instskip(NEXT) | instid1(VALU_DEP_1)
	v_dual_add_nc_u32 v3, 1, v13 :: v_dual_cndmask_b32 v1, v1, v6, vcc_lo
	v_cndmask_b32_e32 v3, v13, v3, vcc_lo
	s_delay_alu instid0(VALU_DEP_2) | instskip(NEXT) | instid1(VALU_DEP_2)
	v_cmp_le_u32_e32 vcc_lo, s16, v1
	v_add_nc_u32_e32 v6, 1, v3
	s_delay_alu instid0(VALU_DEP_1) | instskip(NEXT) | instid1(VALU_DEP_1)
	v_cndmask_b32_e32 v1, v3, v6, vcc_lo
	v_xor_b32_e32 v1, s15, v1
	s_delay_alu instid0(VALU_DEP_1) | instskip(NEXT) | instid1(VALU_DEP_1)
	v_subrev_nc_u32_e32 v1, s15, v1
	v_add_nc_u32_e32 v3, s35, v1
	v_cmp_lt_i32_e64 s0, s13, v1
	s_delay_alu instid0(VALU_DEP_2) | instskip(NEXT) | instid1(VALU_DEP_1)
	v_sub_nc_u32_e32 v6, 0, v3
	v_dual_ashrrev_i32 v3, 31, v3 :: v_dual_max_i32 v6, v3, v6
	s_delay_alu instid0(VALU_DEP_1) | instskip(NEXT) | instid1(VALU_DEP_1)
	v_mul_u64_e32 v[12:13], s[2:3], v[6:7]
	v_mul_lo_u32 v12, v13, s14
	s_delay_alu instid0(VALU_DEP_1) | instskip(NEXT) | instid1(VALU_DEP_1)
	v_sub_nc_u32_e32 v6, v6, v12
	v_subrev_nc_u32_e32 v12, s14, v6
	v_cmp_le_u32_e32 vcc_lo, s14, v6
	s_delay_alu instid0(VALU_DEP_2) | instskip(NEXT) | instid1(VALU_DEP_1)
	v_cndmask_b32_e32 v6, v6, v12, vcc_lo
	v_subrev_nc_u32_e32 v12, s14, v6
	v_cmp_le_u32_e32 vcc_lo, s14, v6
	s_delay_alu instid0(VALU_DEP_2) | instskip(NEXT) | instid1(VALU_DEP_1)
	v_cndmask_b32_e32 v6, v6, v12, vcc_lo
	v_xor_b32_e32 v6, v6, v3
	s_delay_alu instid0(VALU_DEP_1) | instskip(NEXT) | instid1(VALU_DEP_1)
	v_sub_nc_u32_e32 v3, v6, v3
	v_cmp_eq_u32_e32 vcc_lo, 0, v3
	s_or_b32 s0, vcc_lo, s0
	s_delay_alu instid0(SALU_CYCLE_1)
	s_and_saveexec_b32 s22, s0
	s_cbranch_execz .LBB252_176
; %bb.178:                              ;   in Loop: Header=BB252_177 Depth=1
	global_load_b32 v1, v[10:11], off
	ds_load_2addr_b64 v[14:17], v29 offset1:1
	ds_load_2addr_b64 v[18:21], v29 offset0:2 offset1:3
	s_mov_b32 s0, exec_lo
	s_wait_dscnt 0x1
	;;#ASMSTART
	v_cvt_f16_f32 v41, v14;

	;;#ASMEND
	;;#ASMSTART
	v_cvt_f16_f32 v39, v15;

	;;#ASMEND
	;; [unrolled: 4-line block ×4, first 2 shown]
	s_wait_dscnt 0x0
	;;#ASMSTART
	v_cvt_f16_f32 v45, v18;

	;;#ASMEND
	;;#ASMSTART
	v_cvt_f16_f32 v43, v19;

	;;#ASMEND
	;; [unrolled: 4-line block ×4, first 2 shown]
	v_mov_b32_e32 v3, 0
	s_wait_loadcnt 0x0
	v_mad_nc_i64_i32 v[12:13], v1, s17, v[8:9]
	v_mov_b32_e32 v1, 0
	global_load_b32 v14, v1, s[10:11]
	global_load_b64 v[16:17], v[12:13], off
	s_wait_loadcnt 0x0
	v_and_b32_e32 v6, 0xff, v16
	s_delay_alu instid0(VALU_DEP_1)
	v_cmpx_ne_u16_e32 0, v6
	s_cbranch_execz .LBB252_186
; %bb.179:                              ;   in Loop: Header=BB252_177 Depth=1
	v_mov_b32_e32 v3, 0x8000
	s_mov_b32 s23, exec_lo
	v_cmpx_ne_u16_e32 0x80, v6
	s_cbranch_execz .LBB252_185
; %bb.180:                              ;   in Loop: Header=BB252_177 Depth=1
	v_and_b32_e32 v15, 0x7f, v16
	v_mov_b32_e32 v3, 0x7c01
	s_mov_b32 s24, exec_lo
	s_delay_alu instid0(VALU_DEP_2)
	v_cmpx_ne_u32_e32 0x7f, v15
	s_cbranch_execz .LBB252_184
; %bb.181:                              ;   in Loop: Header=BB252_177 Depth=1
	v_dual_lshrrev_b32 v6, 3, v15 :: v_dual_bitop2_b32 v3, 7, v16 bitop3:0x40
	s_mov_b32 s25, exec_lo
	v_cmpx_gt_u32_e32 8, v15
; %bb.182:                              ;   in Loop: Header=BB252_177 Depth=1
	s_delay_alu instid0(VALU_DEP_2) | instskip(NEXT) | instid1(VALU_DEP_1)
	v_clz_i32_u32_e32 v3, v3
	v_min_u32_e32 v3, 32, v3
	s_delay_alu instid0(VALU_DEP_1) | instskip(NEXT) | instid1(VALU_DEP_1)
	v_subrev_nc_u32_e32 v6, 28, v3
	v_lshlrev_b64_e32 v[18:19], v6, v[16:17]
	s_delay_alu instid0(VALU_DEP_1)
	v_dual_sub_nc_u32 v6, 29, v3 :: v_dual_bitop2_b32 v3, 7, v18 bitop3:0x40
; %bb.183:                              ;   in Loop: Header=BB252_177 Depth=1
	s_or_b32 exec_lo, exec_lo, s25
	s_delay_alu instid0(VALU_DEP_1) | instskip(NEXT) | instid1(VALU_DEP_2)
	v_dual_lshlrev_b32 v15, 8, v16 :: v_dual_lshlrev_b32 v3, 7, v3
	v_lshl_add_u32 v6, v6, 10, 0x2000
	s_delay_alu instid0(VALU_DEP_2) | instskip(NEXT) | instid1(VALU_DEP_2)
	v_and_b32_e32 v15, 0x8000, v15
	v_and_b32_e32 v6, 0xfc00, v6
	s_delay_alu instid0(VALU_DEP_1)
	v_or3_b32 v3, v15, v6, v3
.LBB252_184:                            ;   in Loop: Header=BB252_177 Depth=1
	s_or_b32 exec_lo, exec_lo, s24
.LBB252_185:                            ;   in Loop: Header=BB252_177 Depth=1
	s_delay_alu instid0(SALU_CYCLE_1)
	s_or_b32 exec_lo, exec_lo, s23
.LBB252_186:                            ;   in Loop: Header=BB252_177 Depth=1
	s_delay_alu instid0(SALU_CYCLE_1) | instskip(SKIP_2) | instid1(VALU_DEP_1)
	s_or_b32 exec_lo, exec_lo, s0
	v_lshrrev_b16 v6, 8, v16
	s_mov_b32 s0, exec_lo
	v_cmpx_ne_u16_e32 0, v6
	s_cbranch_execz .LBB252_194
; %bb.187:                              ;   in Loop: Header=BB252_177 Depth=1
	v_bfrev_b32_e32 v1, 1
	s_mov_b32 s23, exec_lo
	v_cmpx_ne_u16_e32 0x80, v6
	s_cbranch_execz .LBB252_193
; %bb.188:                              ;   in Loop: Header=BB252_177 Depth=1
	v_and_b32_e32 v15, 0xffff, v6
	v_mov_b32_e32 v1, 0x7c010000
	s_mov_b32 s24, exec_lo
	s_delay_alu instid0(VALU_DEP_2) | instskip(NEXT) | instid1(VALU_DEP_1)
	v_and_b32_e32 v19, 0x7f, v15
	v_cmpx_ne_u32_e32 0x7f, v19
	s_cbranch_execz .LBB252_192
; %bb.189:                              ;   in Loop: Header=BB252_177 Depth=1
	v_and_b32_e32 v1, 7, v15
	v_lshrrev_b32_e32 v18, 3, v19
	s_mov_b32 s25, exec_lo
	v_cmpx_gt_u32_e32 8, v19
; %bb.190:                              ;   in Loop: Header=BB252_177 Depth=1
	s_delay_alu instid0(VALU_DEP_3) | instskip(NEXT) | instid1(VALU_DEP_1)
	v_clz_i32_u32_e32 v1, v1
	v_min_u32_e32 v1, 32, v1
	s_delay_alu instid0(VALU_DEP_1) | instskip(NEXT) | instid1(VALU_DEP_1)
	v_subrev_nc_u32_e32 v18, 28, v1
	v_lshlrev_b64_e32 v[20:21], v18, v[6:7]
	s_delay_alu instid0(VALU_DEP_1)
	v_dual_sub_nc_u32 v18, 29, v1 :: v_dual_bitop2_b32 v1, 7, v20 bitop3:0x40
; %bb.191:                              ;   in Loop: Header=BB252_177 Depth=1
	s_or_b32 exec_lo, exec_lo, s25
	s_delay_alu instid0(VALU_DEP_1) | instskip(NEXT) | instid1(VALU_DEP_2)
	v_dual_lshlrev_b32 v6, 8, v15 :: v_dual_lshlrev_b32 v1, 23, v1
	v_lshl_add_u32 v15, v18, 10, 0x2000
	s_delay_alu instid0(VALU_DEP_1) | instskip(NEXT) | instid1(VALU_DEP_1)
	v_and_or_b32 v6, 0x8000, v6, v15
	v_lshl_or_b32 v1, v6, 16, v1
.LBB252_192:                            ;   in Loop: Header=BB252_177 Depth=1
	s_or_b32 exec_lo, exec_lo, s24
.LBB252_193:                            ;   in Loop: Header=BB252_177 Depth=1
	s_delay_alu instid0(SALU_CYCLE_1)
	s_or_b32 exec_lo, exec_lo, s23
.LBB252_194:                            ;   in Loop: Header=BB252_177 Depth=1
	s_delay_alu instid0(SALU_CYCLE_1) | instskip(SKIP_3) | instid1(VALU_DEP_2)
	s_or_b32 exec_lo, exec_lo, s0
	v_dual_mov_b32 v15, 0 :: v_dual_lshrrev_b32 v6, 16, v16
	v_mov_b32_e32 v18, 0
	s_mov_b32 s0, exec_lo
	v_and_b32_e32 v19, 0xff, v6
	s_delay_alu instid0(VALU_DEP_1)
	v_cmpx_ne_u16_e32 0, v19
	s_cbranch_execz .LBB252_202
; %bb.195:                              ;   in Loop: Header=BB252_177 Depth=1
	v_mov_b32_e32 v18, 0x8000
	s_mov_b32 s23, exec_lo
	v_cmpx_ne_u16_e32 0x80, v19
	s_cbranch_execz .LBB252_201
; %bb.196:                              ;   in Loop: Header=BB252_177 Depth=1
	v_bfe_u32 v20, v16, 16, 7
	v_mov_b32_e32 v18, 0x7c01
	s_mov_b32 s24, exec_lo
	s_delay_alu instid0(VALU_DEP_2)
	v_cmpx_ne_u32_e32 0x7f, v20
	s_cbranch_execz .LBB252_200
; %bb.197:                              ;   in Loop: Header=BB252_177 Depth=1
	v_dual_lshrrev_b32 v19, 3, v20 :: v_dual_bitop2_b32 v18, 7, v6 bitop3:0x40
	s_mov_b32 s25, exec_lo
	v_cmpx_gt_u32_e32 8, v20
; %bb.198:                              ;   in Loop: Header=BB252_177 Depth=1
	s_delay_alu instid0(VALU_DEP_2) | instskip(NEXT) | instid1(VALU_DEP_1)
	v_clz_i32_u32_e32 v18, v18
	v_min_u32_e32 v20, 32, v18
	s_delay_alu instid0(VALU_DEP_1) | instskip(NEXT) | instid1(VALU_DEP_1)
	v_subrev_nc_u32_e32 v18, 28, v20
	v_lshlrev_b64_e32 v[18:19], v18, v[6:7]
	s_delay_alu instid0(VALU_DEP_1)
	v_dual_sub_nc_u32 v19, 29, v20 :: v_dual_bitop2_b32 v18, 7, v18 bitop3:0x40
; %bb.199:                              ;   in Loop: Header=BB252_177 Depth=1
	s_or_b32 exec_lo, exec_lo, s25
	v_lshlrev_b32_e32 v6, 8, v6
	s_delay_alu instid0(VALU_DEP_2) | instskip(NEXT) | instid1(VALU_DEP_3)
	v_lshl_add_u32 v19, v19, 10, 0x2000
	v_lshlrev_b32_e32 v18, 7, v18
	s_delay_alu instid0(VALU_DEP_3) | instskip(NEXT) | instid1(VALU_DEP_3)
	v_and_b32_e32 v6, 0x8000, v6
	v_and_b32_e32 v19, 0xfc00, v19
	s_delay_alu instid0(VALU_DEP_1)
	v_or3_b32 v18, v6, v19, v18
.LBB252_200:                            ;   in Loop: Header=BB252_177 Depth=1
	s_or_b32 exec_lo, exec_lo, s24
.LBB252_201:                            ;   in Loop: Header=BB252_177 Depth=1
	s_delay_alu instid0(SALU_CYCLE_1)
	s_or_b32 exec_lo, exec_lo, s23
.LBB252_202:                            ;   in Loop: Header=BB252_177 Depth=1
	s_delay_alu instid0(SALU_CYCLE_1) | instskip(NEXT) | instid1(SALU_CYCLE_1)
	s_or_b32 exec_lo, exec_lo, s0
	s_mov_b32 s0, exec_lo
	v_cmpx_lt_u32_e32 0xffffff, v16
	s_cbranch_execz .LBB252_210
; %bb.203:                              ;   in Loop: Header=BB252_177 Depth=1
	v_lshrrev_b32_e32 v6, 24, v16
	v_bfrev_b32_e32 v15, 1
	s_mov_b32 s23, exec_lo
	s_delay_alu instid0(VALU_DEP_2)
	v_cmpx_ne_u32_e32 0x80, v6
	s_cbranch_execz .LBB252_209
; %bb.204:                              ;   in Loop: Header=BB252_177 Depth=1
	v_and_b32_e32 v20, 0x7f, v6
	v_mov_b32_e32 v15, 0x7c010000
	s_mov_b32 s24, exec_lo
	s_delay_alu instid0(VALU_DEP_2)
	v_cmpx_ne_u32_e32 0x7f, v20
	s_cbranch_execz .LBB252_208
; %bb.205:                              ;   in Loop: Header=BB252_177 Depth=1
	v_dual_lshrrev_b32 v19, 3, v20 :: v_dual_bitop2_b32 v15, 7, v6 bitop3:0x40
	s_mov_b32 s25, exec_lo
	v_cmpx_gt_u32_e32 8, v20
; %bb.206:                              ;   in Loop: Header=BB252_177 Depth=1
	s_delay_alu instid0(VALU_DEP_2) | instskip(NEXT) | instid1(VALU_DEP_1)
	v_clz_i32_u32_e32 v15, v15
	v_min_u32_e32 v15, 32, v15
	s_delay_alu instid0(VALU_DEP_1) | instskip(NEXT) | instid1(VALU_DEP_1)
	v_subrev_nc_u32_e32 v19, 28, v15
	v_lshlrev_b64_e32 v[20:21], v19, v[6:7]
	s_delay_alu instid0(VALU_DEP_1)
	v_dual_sub_nc_u32 v19, 29, v15 :: v_dual_bitop2_b32 v15, 7, v20 bitop3:0x40
; %bb.207:                              ;   in Loop: Header=BB252_177 Depth=1
	s_or_b32 exec_lo, exec_lo, s25
	s_delay_alu instid0(VALU_DEP_1) | instskip(NEXT) | instid1(VALU_DEP_2)
	v_dual_lshlrev_b32 v6, 8, v6 :: v_dual_lshlrev_b32 v15, 23, v15
	v_lshl_add_u32 v19, v19, 10, 0x2000
	s_delay_alu instid0(VALU_DEP_1) | instskip(NEXT) | instid1(VALU_DEP_1)
	v_and_or_b32 v6, 0x8000, v6, v19
	v_lshl_or_b32 v15, v6, 16, v15
.LBB252_208:                            ;   in Loop: Header=BB252_177 Depth=1
	s_or_b32 exec_lo, exec_lo, s24
.LBB252_209:                            ;   in Loop: Header=BB252_177 Depth=1
	s_delay_alu instid0(SALU_CYCLE_1)
	s_or_b32 exec_lo, exec_lo, s23
.LBB252_210:                            ;   in Loop: Header=BB252_177 Depth=1
	s_delay_alu instid0(SALU_CYCLE_1) | instskip(SKIP_4) | instid1(VALU_DEP_3)
	s_or_b32 exec_lo, exec_lo, s0
	v_and_b32_e32 v21, 0xff, v17
	v_dual_mov_b32 v6, v17 :: v_dual_mov_b32 v20, 0
	v_mov_b32_e32 v19, 0
	s_mov_b32 s0, exec_lo
	v_cmpx_ne_u16_e32 0, v21
	s_cbranch_execz .LBB252_218
; %bb.211:                              ;   in Loop: Header=BB252_177 Depth=1
	v_mov_b32_e32 v19, 0x8000
	s_mov_b32 s23, exec_lo
	v_cmpx_ne_u16_e32 0x80, v21
	s_cbranch_execz .LBB252_217
; %bb.212:                              ;   in Loop: Header=BB252_177 Depth=1
	v_and_b32_e32 v22, 0x7f, v17
	v_mov_b32_e32 v19, 0x7c01
	s_mov_b32 s24, exec_lo
	s_delay_alu instid0(VALU_DEP_2)
	v_cmpx_ne_u32_e32 0x7f, v22
	s_cbranch_execz .LBB252_216
; %bb.213:                              ;   in Loop: Header=BB252_177 Depth=1
	v_dual_lshrrev_b32 v21, 3, v22 :: v_dual_bitop2_b32 v19, 7, v17 bitop3:0x40
	s_mov_b32 s25, exec_lo
	v_cmpx_gt_u32_e32 8, v22
; %bb.214:                              ;   in Loop: Header=BB252_177 Depth=1
	s_delay_alu instid0(VALU_DEP_2) | instskip(NEXT) | instid1(VALU_DEP_1)
	v_clz_i32_u32_e32 v19, v19
	v_min_u32_e32 v19, 32, v19
	s_delay_alu instid0(VALU_DEP_1) | instskip(NEXT) | instid1(VALU_DEP_1)
	v_subrev_nc_u32_e32 v21, 28, v19
	v_lshlrev_b64_e32 v[32:33], v21, v[6:7]
	s_delay_alu instid0(VALU_DEP_1)
	v_dual_sub_nc_u32 v21, 29, v19 :: v_dual_bitop2_b32 v19, 7, v32 bitop3:0x40
; %bb.215:                              ;   in Loop: Header=BB252_177 Depth=1
	s_or_b32 exec_lo, exec_lo, s25
	s_delay_alu instid0(VALU_DEP_1) | instskip(NEXT) | instid1(VALU_DEP_2)
	v_dual_lshlrev_b32 v22, 8, v17 :: v_dual_lshlrev_b32 v19, 7, v19
	v_lshl_add_u32 v21, v21, 10, 0x2000
	s_delay_alu instid0(VALU_DEP_2) | instskip(NEXT) | instid1(VALU_DEP_2)
	v_and_b32_e32 v22, 0x8000, v22
	v_and_b32_e32 v21, 0xfc00, v21
	s_delay_alu instid0(VALU_DEP_1)
	v_or3_b32 v19, v22, v21, v19
.LBB252_216:                            ;   in Loop: Header=BB252_177 Depth=1
	s_or_b32 exec_lo, exec_lo, s24
.LBB252_217:                            ;   in Loop: Header=BB252_177 Depth=1
	s_delay_alu instid0(SALU_CYCLE_1)
	s_or_b32 exec_lo, exec_lo, s23
.LBB252_218:                            ;   in Loop: Header=BB252_177 Depth=1
	s_delay_alu instid0(SALU_CYCLE_1) | instskip(SKIP_3) | instid1(VALU_DEP_2)
	s_or_b32 exec_lo, exec_lo, s0
	v_lshrrev_b16 v6, 8, v6
	v_mov_b32_e32 v21, 0
	s_mov_b32 s0, exec_lo
	v_cmpx_ne_u16_e32 0, v6
	s_cbranch_execz .LBB252_226
; %bb.219:                              ;   in Loop: Header=BB252_177 Depth=1
	v_bfrev_b32_e32 v21, 1
	s_mov_b32 s23, exec_lo
	v_cmpx_ne_u16_e32 0x80, v6
	s_cbranch_execz .LBB252_225
; %bb.220:                              ;   in Loop: Header=BB252_177 Depth=1
	v_and_b32_e32 v22, 0xffff, v6
	v_mov_b32_e32 v21, 0x7c010000
	s_mov_b32 s24, exec_lo
	s_delay_alu instid0(VALU_DEP_2) | instskip(NEXT) | instid1(VALU_DEP_1)
	v_and_b32_e32 v32, 0x7f, v22
	v_cmpx_ne_u32_e32 0x7f, v32
	s_cbranch_execz .LBB252_224
; %bb.221:                              ;   in Loop: Header=BB252_177 Depth=1
	v_dual_lshrrev_b32 v31, 3, v32 :: v_dual_bitop2_b32 v21, 7, v22 bitop3:0x40
	s_mov_b32 s25, exec_lo
	v_cmpx_gt_u32_e32 8, v32
; %bb.222:                              ;   in Loop: Header=BB252_177 Depth=1
	s_delay_alu instid0(VALU_DEP_2) | instskip(NEXT) | instid1(VALU_DEP_1)
	v_clz_i32_u32_e32 v21, v21
	v_min_u32_e32 v21, 32, v21
	s_delay_alu instid0(VALU_DEP_1) | instskip(NEXT) | instid1(VALU_DEP_1)
	v_subrev_nc_u32_e32 v31, 28, v21
	v_lshlrev_b64_e32 v[32:33], v31, v[6:7]
	s_delay_alu instid0(VALU_DEP_1)
	v_dual_sub_nc_u32 v31, 29, v21 :: v_dual_bitop2_b32 v21, 7, v32 bitop3:0x40
; %bb.223:                              ;   in Loop: Header=BB252_177 Depth=1
	s_or_b32 exec_lo, exec_lo, s25
	s_delay_alu instid0(VALU_DEP_1) | instskip(NEXT) | instid1(VALU_DEP_2)
	v_dual_lshlrev_b32 v6, 8, v22 :: v_dual_lshlrev_b32 v21, 23, v21
	v_lshl_add_u32 v22, v31, 10, 0x2000
	s_delay_alu instid0(VALU_DEP_1) | instskip(NEXT) | instid1(VALU_DEP_1)
	v_and_or_b32 v6, 0x8000, v6, v22
	v_lshl_or_b32 v21, v6, 16, v21
.LBB252_224:                            ;   in Loop: Header=BB252_177 Depth=1
	s_or_b32 exec_lo, exec_lo, s24
.LBB252_225:                            ;   in Loop: Header=BB252_177 Depth=1
	s_delay_alu instid0(SALU_CYCLE_1)
	s_or_b32 exec_lo, exec_lo, s23
.LBB252_226:                            ;   in Loop: Header=BB252_177 Depth=1
	s_delay_alu instid0(SALU_CYCLE_1) | instskip(SKIP_2) | instid1(VALU_DEP_1)
	s_or_b32 exec_lo, exec_lo, s0
	v_lshrrev_b32_e32 v6, 16, v17
	s_mov_b32 s0, exec_lo
	v_and_b32_e32 v22, 0xff, v6
	s_delay_alu instid0(VALU_DEP_1)
	v_cmpx_ne_u16_e32 0, v22
	s_cbranch_execz .LBB252_234
; %bb.227:                              ;   in Loop: Header=BB252_177 Depth=1
	v_mov_b32_e32 v20, 0x8000
	s_mov_b32 s23, exec_lo
	v_cmpx_ne_u16_e32 0x80, v22
	s_cbranch_execz .LBB252_233
; %bb.228:                              ;   in Loop: Header=BB252_177 Depth=1
	v_bfe_u32 v31, v17, 16, 7
	v_mov_b32_e32 v20, 0x7c01
	s_mov_b32 s24, exec_lo
	s_delay_alu instid0(VALU_DEP_2)
	v_cmpx_ne_u32_e32 0x7f, v31
	s_cbranch_execz .LBB252_232
; %bb.229:                              ;   in Loop: Header=BB252_177 Depth=1
	v_dual_lshrrev_b32 v22, 3, v31 :: v_dual_bitop2_b32 v20, 7, v6 bitop3:0x40
	s_mov_b32 s25, exec_lo
	v_cmpx_gt_u32_e32 8, v31
; %bb.230:                              ;   in Loop: Header=BB252_177 Depth=1
	s_delay_alu instid0(VALU_DEP_2) | instskip(NEXT) | instid1(VALU_DEP_1)
	v_clz_i32_u32_e32 v20, v20
	v_min_u32_e32 v20, 32, v20
	s_delay_alu instid0(VALU_DEP_1) | instskip(NEXT) | instid1(VALU_DEP_1)
	v_subrev_nc_u32_e32 v22, 28, v20
	v_lshlrev_b64_e32 v[32:33], v22, v[6:7]
	v_sub_nc_u32_e32 v22, 29, v20
	s_delay_alu instid0(VALU_DEP_2)
	v_and_b32_e32 v20, 7, v32
; %bb.231:                              ;   in Loop: Header=BB252_177 Depth=1
	s_or_b32 exec_lo, exec_lo, s25
	s_delay_alu instid0(VALU_DEP_1) | instskip(NEXT) | instid1(VALU_DEP_3)
	v_dual_lshlrev_b32 v6, 8, v6 :: v_dual_lshlrev_b32 v20, 7, v20
	v_lshl_add_u32 v22, v22, 10, 0x2000
	s_delay_alu instid0(VALU_DEP_2) | instskip(NEXT) | instid1(VALU_DEP_2)
	v_and_b32_e32 v6, 0x8000, v6
	v_and_b32_e32 v22, 0xfc00, v22
	s_delay_alu instid0(VALU_DEP_1)
	v_or3_b32 v20, v6, v22, v20
.LBB252_232:                            ;   in Loop: Header=BB252_177 Depth=1
	s_or_b32 exec_lo, exec_lo, s24
.LBB252_233:                            ;   in Loop: Header=BB252_177 Depth=1
	s_delay_alu instid0(SALU_CYCLE_1)
	s_or_b32 exec_lo, exec_lo, s23
.LBB252_234:                            ;   in Loop: Header=BB252_177 Depth=1
	s_delay_alu instid0(SALU_CYCLE_1)
	s_or_b32 exec_lo, exec_lo, s0
	v_cmp_lt_u64_e32 vcc_lo, s[8:9], v[16:17]
	v_mov_b32_e32 v16, 0
	s_and_saveexec_b32 s0, vcc_lo
	s_cbranch_execz .LBB252_242
; %bb.235:                              ;   in Loop: Header=BB252_177 Depth=1
	v_lshrrev_b32_e32 v6, 24, v17
	v_bfrev_b32_e32 v16, 1
	s_mov_b32 s23, exec_lo
	s_delay_alu instid0(VALU_DEP_2)
	v_cmpx_ne_u32_e32 0x80, v6
	s_cbranch_execz .LBB252_241
; %bb.236:                              ;   in Loop: Header=BB252_177 Depth=1
	v_and_b32_e32 v22, 0x7f, v6
	v_mov_b32_e32 v16, 0x7c010000
	s_mov_b32 s24, exec_lo
	s_delay_alu instid0(VALU_DEP_2)
	v_cmpx_ne_u32_e32 0x7f, v22
	s_cbranch_execz .LBB252_240
; %bb.237:                              ;   in Loop: Header=BB252_177 Depth=1
	v_and_b32_e32 v16, 7, v6
	v_lshrrev_b32_e32 v17, 3, v22
	s_mov_b32 s25, exec_lo
	v_cmpx_gt_u32_e32 8, v22
; %bb.238:                              ;   in Loop: Header=BB252_177 Depth=1
	s_delay_alu instid0(VALU_DEP_3) | instskip(NEXT) | instid1(VALU_DEP_1)
	v_clz_i32_u32_e32 v16, v16
	v_min_u32_e32 v22, 32, v16
	s_delay_alu instid0(VALU_DEP_1) | instskip(NEXT) | instid1(VALU_DEP_1)
	v_subrev_nc_u32_e32 v16, 28, v22
	v_lshlrev_b64_e32 v[16:17], v16, v[6:7]
	s_delay_alu instid0(VALU_DEP_1)
	v_dual_sub_nc_u32 v17, 29, v22 :: v_dual_bitop2_b32 v16, 7, v16 bitop3:0x40
; %bb.239:                              ;   in Loop: Header=BB252_177 Depth=1
	s_or_b32 exec_lo, exec_lo, s25
	s_delay_alu instid0(VALU_DEP_1) | instskip(NEXT) | instid1(VALU_DEP_2)
	v_dual_lshlrev_b32 v6, 8, v6 :: v_dual_lshlrev_b32 v16, 23, v16
	v_lshl_add_u32 v17, v17, 10, 0x2000
	s_delay_alu instid0(VALU_DEP_1) | instskip(NEXT) | instid1(VALU_DEP_1)
	v_and_or_b32 v6, 0x8000, v6, v17
	v_lshl_or_b32 v16, v6, 16, v16
.LBB252_240:                            ;   in Loop: Header=BB252_177 Depth=1
	s_or_b32 exec_lo, exec_lo, s24
.LBB252_241:                            ;   in Loop: Header=BB252_177 Depth=1
	s_delay_alu instid0(SALU_CYCLE_1)
	s_or_b32 exec_lo, exec_lo, s23
.LBB252_242:                            ;   in Loop: Header=BB252_177 Depth=1
	s_delay_alu instid0(SALU_CYCLE_1) | instskip(SKIP_3) | instid1(VALU_DEP_3)
	s_or_b32 exec_lo, exec_lo, s0
	v_dual_lshrrev_b32 v6, 16, v1 :: v_dual_lshrrev_b32 v17, 16, v15
	v_or_b32_e32 v1, v1, v3
	v_dual_lshrrev_b32 v18, 16, v16 :: v_dual_bitop2_b32 v3, v15, v18 bitop3:0x54
	v_cvt_f32_f16_e32 v33, v6
	s_delay_alu instid0(VALU_DEP_4)
	v_cvt_f32_f16_e32 v32, v17
	v_lshrrev_b32_e32 v15, 16, v21
	v_cvt_f32_f16_e32 v17, v1
	v_cvt_f32_f16_e32 v18, v18
	v_cmp_eq_u32_e32 vcc_lo, s28, v30
	v_add_nc_u32_e32 v31, v28, v2
	v_pk_mul_f32 v[32:33], v[14:15], v[32:33] op_sel_hi:[0,1]
	s_delay_alu instid0(VALU_DEP_2) | instskip(NEXT) | instid1(VALU_DEP_2)
	v_or_b32_e32 v37, 1, v31
	v_cvt_pk_f16_f32 v1, v32, v33
	v_or_b32_e32 v6, v16, v20
	v_cvt_f32_f16_e32 v16, v3
	v_or_b32_e32 v3, v21, v19
	v_cvt_f32_f16_e32 v19, v15
	;; [unrolled: 2-line block ×3, first 2 shown]
	v_pk_mul_f32 v[16:17], v[14:15], v[16:17] op_sel_hi:[0,1]
	v_cvt_f32_f16_e32 v21, v3
	v_pk_mul_f32 v[32:33], v[14:15], v[18:19] op_sel_hi:[0,1]
	v_and_b32_e32 v19, 0xffff0000, v1
	v_or_b32_e32 v35, 4, v31
	v_cvt_pk_f16_f32 v3, v16, v17
	v_pk_mul_f32 v[14:15], v[14:15], v[20:21] op_sel_hi:[0,1]
	v_cvt_pk_f16_f32 v6, v32, v33
	v_dual_lshlrev_b32 v20, 16, v1 :: v_dual_bitop2_b32 v34, 6, v31 bitop3:0x54
	s_delay_alu instid0(VALU_DEP_4) | instskip(NEXT) | instid1(VALU_DEP_4)
	v_lshrrev_b32_e32 v21, 16, v3
	v_cvt_pk_f16_f32 v14, v14, v15
	v_and_b32_e32 v22, 0xffff, v3
	v_and_b32_e32 v1, 0xffff0000, v6
	s_delay_alu instid0(VALU_DEP_4) | instskip(NEXT) | instid1(VALU_DEP_4)
	v_dual_lshlrev_b32 v6, 16, v6 :: v_dual_bitop2_b32 v15, v19, v21 bitop3:0x54
	v_lshrrev_b32_e32 v17, 16, v14
	v_and_b32_e32 v18, 0xffff, v14
	v_dual_add_nc_u32 v38, 2, v31 :: v_dual_bitop2_b32 v16, v20, v22 bitop3:0x54
	v_or_b32_e32 v33, 5, v31
	s_delay_alu instid0(VALU_DEP_4) | instskip(NEXT) | instid1(VALU_DEP_4)
	v_or_b32_e32 v3, v1, v17
	v_or_b32_e32 v14, v6, v18
	;; [unrolled: 1-line block ×3, first 2 shown]
	s_and_saveexec_b32 s23, vcc_lo
	s_cbranch_execz .LBB252_244
; %bb.243:                              ;   in Loop: Header=BB252_177 Depth=1
	v_cmp_gt_i32_e64 s0, s18, v31
	s_delay_alu instid0(VALU_DEP_1) | instskip(SKIP_1) | instid1(VALU_DEP_1)
	v_cndmask_b32_e64 v3, 0, v21, s0
	v_cmp_gt_i32_e64 s0, s34, v38
	v_cndmask_b32_e64 v14, 0, v22, s0
	v_cmp_gt_i32_e64 s0, s18, v37
	s_delay_alu instid0(VALU_DEP_1) | instskip(SKIP_1) | instid1(VALU_DEP_1)
	v_cndmask_b32_e64 v15, 0, v19, s0
	v_cmp_gt_i32_e64 s0, s34, v36
	v_cndmask_b32_e64 v16, 0, v20, s0
	v_cmp_gt_i32_e64 s0, s18, v35
	s_delay_alu instid0(VALU_DEP_4) | instskip(NEXT) | instid1(VALU_DEP_2)
	v_or_b32_e32 v15, v15, v3
	v_dual_cndmask_b32 v17, 0, v17, s0 :: v_dual_bitop2_b32 v16, v16, v14 bitop3:0x54
	v_cmp_gt_i32_e64 s0, s34, v34
	s_delay_alu instid0(VALU_DEP_1) | instskip(SKIP_1) | instid1(VALU_DEP_1)
	v_cndmask_b32_e64 v18, 0, v18, s0
	v_cmp_gt_i32_e64 s0, s18, v33
	v_cndmask_b32_e64 v1, 0, v1, s0
	v_cmp_gt_i32_e64 s0, s34, v32
	s_delay_alu instid0(VALU_DEP_1) | instskip(NEXT) | instid1(VALU_DEP_1)
	v_dual_cndmask_b32 v6, 0, v6, s0 :: v_dual_bitop2_b32 v3, v1, v17 bitop3:0x54
	v_or_b32_e32 v14, v6, v18
.LBB252_244:                            ;   in Loop: Header=BB252_177 Depth=1
	s_or_b32 exec_lo, exec_lo, s23
	v_and_b32_e32 v1, 0xffff, v41
	v_and_b32_e32 v6, 0xffff, v42
	;; [unrolled: 1-line block ×4, first 2 shown]
	s_mov_b32 s23, exec_lo
	v_lshl_or_b32 v42, v39, 16, v1
	;;#ASMSTART
	v_pk_mul_f16 v1, v42, v15;

	;;#ASMEND
	v_lshl_or_b32 v41, v40, 16, v6
	v_lshl_or_b32 v40, v43, 16, v17
	;; [unrolled: 1-line block ×3, first 2 shown]
	;;#ASMSTART
	v_pk_mul_f16 v6, v41, v16;

	;;#ASMEND
	;;#ASMSTART
	v_pk_mul_f16 v3, v40, v3;

	;;#ASMEND
	;;#ASMSTART
	v_pk_mul_f16 v14, v39, v14;

	;;#ASMEND
	;;#ASMSTART
	v_pk_add_f16 v1, v1, v6;

	;;#ASMEND
	;;#ASMSTART
	v_pk_add_f16 v1, v1, v3;

	;;#ASMEND
	;; [unrolled: 4-line block ×3, first 2 shown]
	v_and_b32_e32 v3, 0xffff, v1
	v_lshrrev_b32_e32 v1, 16, v1
	;;#ASMSTART
	v_cvt_f32_f16 v43, v3;
	;;#ASMEND
	v_mov_b32_e32 v3, 0
	;;#ASMSTART
	v_cvt_f32_f16 v44, v1;
	;;#ASMEND
	global_load_b64 v[14:15], v[12:13], off offset:256
	v_mov_b32_e32 v1, 0
	global_load_b32 v12, v1, s[10:11]
	s_wait_loadcnt 0x1
	v_and_b32_e32 v6, 0xff, v14
	s_wait_xcnt 0x0
	s_delay_alu instid0(VALU_DEP_1)
	v_cmpx_ne_u16_e32 0, v6
	s_cbranch_execz .LBB252_252
; %bb.245:                              ;   in Loop: Header=BB252_177 Depth=1
	v_mov_b32_e32 v3, 0x8000
	s_mov_b32 s24, exec_lo
	v_cmpx_ne_u16_e32 0x80, v6
	s_cbranch_execz .LBB252_251
; %bb.246:                              ;   in Loop: Header=BB252_177 Depth=1
	v_and_b32_e32 v13, 0x7f, v14
	v_mov_b32_e32 v3, 0x7c01
	s_mov_b32 s25, exec_lo
	s_delay_alu instid0(VALU_DEP_2)
	v_cmpx_ne_u32_e32 0x7f, v13
	s_cbranch_execz .LBB252_250
; %bb.247:                              ;   in Loop: Header=BB252_177 Depth=1
	v_dual_lshrrev_b32 v6, 3, v13 :: v_dual_bitop2_b32 v3, 7, v14 bitop3:0x40
	s_mov_b32 s26, exec_lo
	v_cmpx_gt_u32_e32 8, v13
; %bb.248:                              ;   in Loop: Header=BB252_177 Depth=1
	s_delay_alu instid0(VALU_DEP_2) | instskip(NEXT) | instid1(VALU_DEP_1)
	v_clz_i32_u32_e32 v3, v3
	v_min_u32_e32 v3, 32, v3
	s_delay_alu instid0(VALU_DEP_1) | instskip(NEXT) | instid1(VALU_DEP_1)
	v_subrev_nc_u32_e32 v6, 28, v3
	v_lshlrev_b64_e32 v[16:17], v6, v[14:15]
	s_delay_alu instid0(VALU_DEP_1)
	v_dual_sub_nc_u32 v6, 29, v3 :: v_dual_bitop2_b32 v3, 7, v16 bitop3:0x40
; %bb.249:                              ;   in Loop: Header=BB252_177 Depth=1
	s_or_b32 exec_lo, exec_lo, s26
	s_delay_alu instid0(VALU_DEP_1) | instskip(NEXT) | instid1(VALU_DEP_2)
	v_dual_lshlrev_b32 v13, 8, v14 :: v_dual_lshlrev_b32 v3, 7, v3
	v_lshl_add_u32 v6, v6, 10, 0x2000
	s_delay_alu instid0(VALU_DEP_2) | instskip(NEXT) | instid1(VALU_DEP_2)
	v_and_b32_e32 v13, 0x8000, v13
	v_and_b32_e32 v6, 0xfc00, v6
	s_delay_alu instid0(VALU_DEP_1)
	v_or3_b32 v3, v13, v6, v3
.LBB252_250:                            ;   in Loop: Header=BB252_177 Depth=1
	s_or_b32 exec_lo, exec_lo, s25
.LBB252_251:                            ;   in Loop: Header=BB252_177 Depth=1
	s_delay_alu instid0(SALU_CYCLE_1)
	s_or_b32 exec_lo, exec_lo, s24
.LBB252_252:                            ;   in Loop: Header=BB252_177 Depth=1
	s_delay_alu instid0(SALU_CYCLE_1) | instskip(SKIP_2) | instid1(VALU_DEP_1)
	s_or_b32 exec_lo, exec_lo, s23
	v_lshrrev_b16 v6, 8, v14
	s_mov_b32 s23, exec_lo
	v_cmpx_ne_u16_e32 0, v6
	s_cbranch_execz .LBB252_260
; %bb.253:                              ;   in Loop: Header=BB252_177 Depth=1
	v_bfrev_b32_e32 v1, 1
	s_mov_b32 s24, exec_lo
	v_cmpx_ne_u16_e32 0x80, v6
	s_cbranch_execz .LBB252_259
; %bb.254:                              ;   in Loop: Header=BB252_177 Depth=1
	v_and_b32_e32 v13, 0xffff, v6
	v_mov_b32_e32 v1, 0x7c010000
	s_mov_b32 s25, exec_lo
	s_delay_alu instid0(VALU_DEP_2) | instskip(NEXT) | instid1(VALU_DEP_1)
	v_and_b32_e32 v17, 0x7f, v13
	v_cmpx_ne_u32_e32 0x7f, v17
	s_cbranch_execz .LBB252_258
; %bb.255:                              ;   in Loop: Header=BB252_177 Depth=1
	v_and_b32_e32 v1, 7, v13
	v_lshrrev_b32_e32 v16, 3, v17
	s_mov_b32 s26, exec_lo
	v_cmpx_gt_u32_e32 8, v17
; %bb.256:                              ;   in Loop: Header=BB252_177 Depth=1
	s_delay_alu instid0(VALU_DEP_3) | instskip(NEXT) | instid1(VALU_DEP_1)
	v_clz_i32_u32_e32 v1, v1
	v_min_u32_e32 v1, 32, v1
	s_delay_alu instid0(VALU_DEP_1) | instskip(NEXT) | instid1(VALU_DEP_1)
	v_subrev_nc_u32_e32 v16, 28, v1
	v_lshlrev_b64_e32 v[18:19], v16, v[6:7]
	s_delay_alu instid0(VALU_DEP_1)
	v_dual_sub_nc_u32 v16, 29, v1 :: v_dual_bitop2_b32 v1, 7, v18 bitop3:0x40
; %bb.257:                              ;   in Loop: Header=BB252_177 Depth=1
	s_or_b32 exec_lo, exec_lo, s26
	v_lshlrev_b32_e32 v6, 8, v13
	s_delay_alu instid0(VALU_DEP_2) | instskip(NEXT) | instid1(VALU_DEP_3)
	v_lshl_add_u32 v13, v16, 10, 0x2000
	v_lshlrev_b32_e32 v1, 23, v1
	s_delay_alu instid0(VALU_DEP_2) | instskip(NEXT) | instid1(VALU_DEP_1)
	v_and_or_b32 v6, 0x8000, v6, v13
	v_lshl_or_b32 v1, v6, 16, v1
.LBB252_258:                            ;   in Loop: Header=BB252_177 Depth=1
	s_or_b32 exec_lo, exec_lo, s25
.LBB252_259:                            ;   in Loop: Header=BB252_177 Depth=1
	s_delay_alu instid0(SALU_CYCLE_1)
	s_or_b32 exec_lo, exec_lo, s24
.LBB252_260:                            ;   in Loop: Header=BB252_177 Depth=1
	s_delay_alu instid0(SALU_CYCLE_1) | instskip(SKIP_3) | instid1(VALU_DEP_2)
	s_or_b32 exec_lo, exec_lo, s23
	v_dual_mov_b32 v13, 0 :: v_dual_lshrrev_b32 v6, 16, v14
	v_mov_b32_e32 v16, 0
	s_mov_b32 s23, exec_lo
	v_and_b32_e32 v17, 0xff, v6
	s_delay_alu instid0(VALU_DEP_1)
	v_cmpx_ne_u16_e32 0, v17
	s_cbranch_execz .LBB252_268
; %bb.261:                              ;   in Loop: Header=BB252_177 Depth=1
	v_mov_b32_e32 v16, 0x8000
	s_mov_b32 s24, exec_lo
	v_cmpx_ne_u16_e32 0x80, v17
	s_cbranch_execz .LBB252_267
; %bb.262:                              ;   in Loop: Header=BB252_177 Depth=1
	v_bfe_u32 v18, v14, 16, 7
	v_mov_b32_e32 v16, 0x7c01
	s_mov_b32 s25, exec_lo
	s_delay_alu instid0(VALU_DEP_2)
	v_cmpx_ne_u32_e32 0x7f, v18
	s_cbranch_execz .LBB252_266
; %bb.263:                              ;   in Loop: Header=BB252_177 Depth=1
	v_and_b32_e32 v16, 7, v6
	v_lshrrev_b32_e32 v17, 3, v18
	s_mov_b32 s26, exec_lo
	v_cmpx_gt_u32_e32 8, v18
; %bb.264:                              ;   in Loop: Header=BB252_177 Depth=1
	s_delay_alu instid0(VALU_DEP_3) | instskip(NEXT) | instid1(VALU_DEP_1)
	v_clz_i32_u32_e32 v16, v16
	v_min_u32_e32 v18, 32, v16
	s_delay_alu instid0(VALU_DEP_1) | instskip(NEXT) | instid1(VALU_DEP_1)
	v_subrev_nc_u32_e32 v16, 28, v18
	v_lshlrev_b64_e32 v[16:17], v16, v[6:7]
	s_delay_alu instid0(VALU_DEP_1)
	v_dual_sub_nc_u32 v17, 29, v18 :: v_dual_bitop2_b32 v16, 7, v16 bitop3:0x40
; %bb.265:                              ;   in Loop: Header=BB252_177 Depth=1
	s_or_b32 exec_lo, exec_lo, s26
	s_delay_alu instid0(VALU_DEP_1) | instskip(NEXT) | instid1(VALU_DEP_2)
	v_dual_lshlrev_b32 v6, 8, v6 :: v_dual_lshlrev_b32 v16, 7, v16
	v_lshl_add_u32 v17, v17, 10, 0x2000
	s_delay_alu instid0(VALU_DEP_2) | instskip(NEXT) | instid1(VALU_DEP_2)
	v_and_b32_e32 v6, 0x8000, v6
	v_and_b32_e32 v17, 0xfc00, v17
	s_delay_alu instid0(VALU_DEP_1)
	v_or3_b32 v16, v6, v17, v16
.LBB252_266:                            ;   in Loop: Header=BB252_177 Depth=1
	s_or_b32 exec_lo, exec_lo, s25
.LBB252_267:                            ;   in Loop: Header=BB252_177 Depth=1
	s_delay_alu instid0(SALU_CYCLE_1)
	s_or_b32 exec_lo, exec_lo, s24
.LBB252_268:                            ;   in Loop: Header=BB252_177 Depth=1
	s_delay_alu instid0(SALU_CYCLE_1) | instskip(NEXT) | instid1(SALU_CYCLE_1)
	s_or_b32 exec_lo, exec_lo, s23
	s_mov_b32 s23, exec_lo
	v_cmpx_lt_u32_e32 0xffffff, v14
	s_cbranch_execz .LBB252_276
; %bb.269:                              ;   in Loop: Header=BB252_177 Depth=1
	v_lshrrev_b32_e32 v6, 24, v14
	v_bfrev_b32_e32 v13, 1
	s_mov_b32 s24, exec_lo
	s_delay_alu instid0(VALU_DEP_2)
	v_cmpx_ne_u32_e32 0x80, v6
	s_cbranch_execz .LBB252_275
; %bb.270:                              ;   in Loop: Header=BB252_177 Depth=1
	v_and_b32_e32 v18, 0x7f, v6
	v_mov_b32_e32 v13, 0x7c010000
	s_mov_b32 s25, exec_lo
	s_delay_alu instid0(VALU_DEP_2)
	v_cmpx_ne_u32_e32 0x7f, v18
	s_cbranch_execz .LBB252_274
; %bb.271:                              ;   in Loop: Header=BB252_177 Depth=1
	v_and_b32_e32 v13, 7, v6
	v_lshrrev_b32_e32 v17, 3, v18
	s_mov_b32 s26, exec_lo
	v_cmpx_gt_u32_e32 8, v18
; %bb.272:                              ;   in Loop: Header=BB252_177 Depth=1
	s_delay_alu instid0(VALU_DEP_3) | instskip(NEXT) | instid1(VALU_DEP_1)
	v_clz_i32_u32_e32 v13, v13
	v_min_u32_e32 v13, 32, v13
	s_delay_alu instid0(VALU_DEP_1) | instskip(NEXT) | instid1(VALU_DEP_1)
	v_subrev_nc_u32_e32 v17, 28, v13
	v_lshlrev_b64_e32 v[18:19], v17, v[6:7]
	s_delay_alu instid0(VALU_DEP_1)
	v_dual_sub_nc_u32 v17, 29, v13 :: v_dual_bitop2_b32 v13, 7, v18 bitop3:0x40
; %bb.273:                              ;   in Loop: Header=BB252_177 Depth=1
	s_or_b32 exec_lo, exec_lo, s26
	s_delay_alu instid0(VALU_DEP_1) | instskip(NEXT) | instid1(VALU_DEP_2)
	v_dual_lshlrev_b32 v6, 8, v6 :: v_dual_lshlrev_b32 v13, 23, v13
	v_lshl_add_u32 v17, v17, 10, 0x2000
	s_delay_alu instid0(VALU_DEP_1) | instskip(NEXT) | instid1(VALU_DEP_1)
	v_and_or_b32 v6, 0x8000, v6, v17
	v_lshl_or_b32 v13, v6, 16, v13
.LBB252_274:                            ;   in Loop: Header=BB252_177 Depth=1
	s_or_b32 exec_lo, exec_lo, s25
.LBB252_275:                            ;   in Loop: Header=BB252_177 Depth=1
	s_delay_alu instid0(SALU_CYCLE_1)
	s_or_b32 exec_lo, exec_lo, s24
.LBB252_276:                            ;   in Loop: Header=BB252_177 Depth=1
	s_delay_alu instid0(SALU_CYCLE_1) | instskip(SKIP_4) | instid1(VALU_DEP_3)
	s_or_b32 exec_lo, exec_lo, s23
	v_and_b32_e32 v19, 0xff, v15
	v_dual_mov_b32 v6, v15 :: v_dual_mov_b32 v18, 0
	v_mov_b32_e32 v17, 0
	s_mov_b32 s23, exec_lo
	v_cmpx_ne_u16_e32 0, v19
	s_cbranch_execz .LBB252_284
; %bb.277:                              ;   in Loop: Header=BB252_177 Depth=1
	v_mov_b32_e32 v17, 0x8000
	s_mov_b32 s24, exec_lo
	v_cmpx_ne_u16_e32 0x80, v19
	s_cbranch_execz .LBB252_283
; %bb.278:                              ;   in Loop: Header=BB252_177 Depth=1
	v_and_b32_e32 v20, 0x7f, v15
	v_mov_b32_e32 v17, 0x7c01
	s_mov_b32 s25, exec_lo
	s_delay_alu instid0(VALU_DEP_2)
	v_cmpx_ne_u32_e32 0x7f, v20
	s_cbranch_execz .LBB252_282
; %bb.279:                              ;   in Loop: Header=BB252_177 Depth=1
	v_dual_lshrrev_b32 v19, 3, v20 :: v_dual_bitop2_b32 v17, 7, v15 bitop3:0x40
	s_mov_b32 s26, exec_lo
	v_cmpx_gt_u32_e32 8, v20
; %bb.280:                              ;   in Loop: Header=BB252_177 Depth=1
	s_delay_alu instid0(VALU_DEP_2) | instskip(NEXT) | instid1(VALU_DEP_1)
	v_clz_i32_u32_e32 v17, v17
	v_min_u32_e32 v17, 32, v17
	s_delay_alu instid0(VALU_DEP_1) | instskip(NEXT) | instid1(VALU_DEP_1)
	v_subrev_nc_u32_e32 v19, 28, v17
	v_lshlrev_b64_e32 v[20:21], v19, v[6:7]
	s_delay_alu instid0(VALU_DEP_1)
	v_dual_sub_nc_u32 v19, 29, v17 :: v_dual_bitop2_b32 v17, 7, v20 bitop3:0x40
; %bb.281:                              ;   in Loop: Header=BB252_177 Depth=1
	s_or_b32 exec_lo, exec_lo, s26
	s_delay_alu instid0(VALU_DEP_1) | instskip(NEXT) | instid1(VALU_DEP_2)
	v_dual_lshlrev_b32 v20, 8, v15 :: v_dual_lshlrev_b32 v17, 7, v17
	v_lshl_add_u32 v19, v19, 10, 0x2000
	s_delay_alu instid0(VALU_DEP_2) | instskip(NEXT) | instid1(VALU_DEP_2)
	v_and_b32_e32 v20, 0x8000, v20
	v_and_b32_e32 v19, 0xfc00, v19
	s_delay_alu instid0(VALU_DEP_1)
	v_or3_b32 v17, v20, v19, v17
.LBB252_282:                            ;   in Loop: Header=BB252_177 Depth=1
	s_or_b32 exec_lo, exec_lo, s25
.LBB252_283:                            ;   in Loop: Header=BB252_177 Depth=1
	s_delay_alu instid0(SALU_CYCLE_1)
	s_or_b32 exec_lo, exec_lo, s24
.LBB252_284:                            ;   in Loop: Header=BB252_177 Depth=1
	s_delay_alu instid0(SALU_CYCLE_1) | instskip(SKIP_3) | instid1(VALU_DEP_2)
	s_or_b32 exec_lo, exec_lo, s23
	v_lshrrev_b16 v6, 8, v6
	v_mov_b32_e32 v19, 0
	s_mov_b32 s23, exec_lo
	v_cmpx_ne_u16_e32 0, v6
	s_cbranch_execz .LBB252_292
; %bb.285:                              ;   in Loop: Header=BB252_177 Depth=1
	v_bfrev_b32_e32 v19, 1
	s_mov_b32 s24, exec_lo
	v_cmpx_ne_u16_e32 0x80, v6
	s_cbranch_execz .LBB252_291
; %bb.286:                              ;   in Loop: Header=BB252_177 Depth=1
	v_and_b32_e32 v20, 0xffff, v6
	v_mov_b32_e32 v19, 0x7c010000
	s_mov_b32 s25, exec_lo
	s_delay_alu instid0(VALU_DEP_2) | instskip(NEXT) | instid1(VALU_DEP_1)
	v_and_b32_e32 v22, 0x7f, v20
	v_cmpx_ne_u32_e32 0x7f, v22
	s_cbranch_execz .LBB252_290
; %bb.287:                              ;   in Loop: Header=BB252_177 Depth=1
	v_dual_lshrrev_b32 v21, 3, v22 :: v_dual_bitop2_b32 v19, 7, v20 bitop3:0x40
	s_mov_b32 s26, exec_lo
	v_cmpx_gt_u32_e32 8, v22
; %bb.288:                              ;   in Loop: Header=BB252_177 Depth=1
	s_delay_alu instid0(VALU_DEP_2) | instskip(NEXT) | instid1(VALU_DEP_1)
	v_clz_i32_u32_e32 v19, v19
	v_min_u32_e32 v19, 32, v19
	s_delay_alu instid0(VALU_DEP_1) | instskip(NEXT) | instid1(VALU_DEP_1)
	v_subrev_nc_u32_e32 v21, 28, v19
	v_lshlrev_b64_e32 v[46:47], v21, v[6:7]
	s_delay_alu instid0(VALU_DEP_1)
	v_dual_sub_nc_u32 v21, 29, v19 :: v_dual_bitop2_b32 v19, 7, v46 bitop3:0x40
; %bb.289:                              ;   in Loop: Header=BB252_177 Depth=1
	s_or_b32 exec_lo, exec_lo, s26
	s_delay_alu instid0(VALU_DEP_1) | instskip(NEXT) | instid1(VALU_DEP_2)
	v_dual_lshlrev_b32 v6, 8, v20 :: v_dual_lshlrev_b32 v19, 23, v19
	v_lshl_add_u32 v20, v21, 10, 0x2000
	s_delay_alu instid0(VALU_DEP_1) | instskip(NEXT) | instid1(VALU_DEP_1)
	v_and_or_b32 v6, 0x8000, v6, v20
	v_lshl_or_b32 v19, v6, 16, v19
.LBB252_290:                            ;   in Loop: Header=BB252_177 Depth=1
	s_or_b32 exec_lo, exec_lo, s25
.LBB252_291:                            ;   in Loop: Header=BB252_177 Depth=1
	s_delay_alu instid0(SALU_CYCLE_1)
	s_or_b32 exec_lo, exec_lo, s24
.LBB252_292:                            ;   in Loop: Header=BB252_177 Depth=1
	s_delay_alu instid0(SALU_CYCLE_1) | instskip(SKIP_2) | instid1(VALU_DEP_1)
	s_or_b32 exec_lo, exec_lo, s23
	v_lshrrev_b32_e32 v6, 16, v15
	s_mov_b32 s23, exec_lo
	v_and_b32_e32 v20, 0xff, v6
	s_delay_alu instid0(VALU_DEP_1)
	v_cmpx_ne_u16_e32 0, v20
	s_cbranch_execz .LBB252_300
; %bb.293:                              ;   in Loop: Header=BB252_177 Depth=1
	v_mov_b32_e32 v18, 0x8000
	s_mov_b32 s24, exec_lo
	v_cmpx_ne_u16_e32 0x80, v20
	s_cbranch_execz .LBB252_299
; %bb.294:                              ;   in Loop: Header=BB252_177 Depth=1
	v_bfe_u32 v21, v15, 16, 7
	v_mov_b32_e32 v18, 0x7c01
	s_mov_b32 s25, exec_lo
	s_delay_alu instid0(VALU_DEP_2)
	v_cmpx_ne_u32_e32 0x7f, v21
	s_cbranch_execz .LBB252_298
; %bb.295:                              ;   in Loop: Header=BB252_177 Depth=1
	v_dual_lshrrev_b32 v20, 3, v21 :: v_dual_bitop2_b32 v18, 7, v6 bitop3:0x40
	s_mov_b32 s26, exec_lo
	v_cmpx_gt_u32_e32 8, v21
; %bb.296:                              ;   in Loop: Header=BB252_177 Depth=1
	s_delay_alu instid0(VALU_DEP_2) | instskip(NEXT) | instid1(VALU_DEP_1)
	v_clz_i32_u32_e32 v18, v18
	v_min_u32_e32 v18, 32, v18
	s_delay_alu instid0(VALU_DEP_1) | instskip(NEXT) | instid1(VALU_DEP_1)
	v_subrev_nc_u32_e32 v20, 28, v18
	v_lshlrev_b64_e32 v[46:47], v20, v[6:7]
	v_sub_nc_u32_e32 v20, 29, v18
	s_delay_alu instid0(VALU_DEP_2)
	v_and_b32_e32 v18, 7, v46
; %bb.297:                              ;   in Loop: Header=BB252_177 Depth=1
	s_or_b32 exec_lo, exec_lo, s26
	v_lshlrev_b32_e32 v6, 8, v6
	s_delay_alu instid0(VALU_DEP_3) | instskip(NEXT) | instid1(VALU_DEP_3)
	v_lshl_add_u32 v20, v20, 10, 0x2000
	v_lshlrev_b32_e32 v18, 7, v18
	s_delay_alu instid0(VALU_DEP_3) | instskip(NEXT) | instid1(VALU_DEP_3)
	v_and_b32_e32 v6, 0x8000, v6
	v_and_b32_e32 v20, 0xfc00, v20
	s_delay_alu instid0(VALU_DEP_1)
	v_or3_b32 v18, v6, v20, v18
.LBB252_298:                            ;   in Loop: Header=BB252_177 Depth=1
	s_or_b32 exec_lo, exec_lo, s25
.LBB252_299:                            ;   in Loop: Header=BB252_177 Depth=1
	s_delay_alu instid0(SALU_CYCLE_1)
	s_or_b32 exec_lo, exec_lo, s24
.LBB252_300:                            ;   in Loop: Header=BB252_177 Depth=1
	s_delay_alu instid0(SALU_CYCLE_1)
	s_or_b32 exec_lo, exec_lo, s23
	v_cmp_lt_u64_e64 s0, s[8:9], v[14:15]
	v_mov_b32_e32 v14, 0
	s_and_saveexec_b32 s23, s0
	s_cbranch_execz .LBB252_308
; %bb.301:                              ;   in Loop: Header=BB252_177 Depth=1
	v_lshrrev_b32_e32 v6, 24, v15
	v_bfrev_b32_e32 v14, 1
	s_mov_b32 s24, exec_lo
	s_delay_alu instid0(VALU_DEP_2)
	v_cmpx_ne_u32_e32 0x80, v6
	s_cbranch_execz .LBB252_307
; %bb.302:                              ;   in Loop: Header=BB252_177 Depth=1
	v_and_b32_e32 v20, 0x7f, v6
	v_mov_b32_e32 v14, 0x7c010000
	s_mov_b32 s25, exec_lo
	s_delay_alu instid0(VALU_DEP_2)
	v_cmpx_ne_u32_e32 0x7f, v20
	s_cbranch_execz .LBB252_306
; %bb.303:                              ;   in Loop: Header=BB252_177 Depth=1
	v_dual_lshrrev_b32 v15, 3, v20 :: v_dual_bitop2_b32 v14, 7, v6 bitop3:0x40
	s_mov_b32 s26, exec_lo
	v_cmpx_gt_u32_e32 8, v20
; %bb.304:                              ;   in Loop: Header=BB252_177 Depth=1
	s_delay_alu instid0(VALU_DEP_2) | instskip(NEXT) | instid1(VALU_DEP_1)
	v_clz_i32_u32_e32 v14, v14
	v_min_u32_e32 v20, 32, v14
	s_delay_alu instid0(VALU_DEP_1) | instskip(NEXT) | instid1(VALU_DEP_1)
	v_subrev_nc_u32_e32 v14, 28, v20
	v_lshlrev_b64_e32 v[14:15], v14, v[6:7]
	s_delay_alu instid0(VALU_DEP_1)
	v_dual_sub_nc_u32 v15, 29, v20 :: v_dual_bitop2_b32 v14, 7, v14 bitop3:0x40
; %bb.305:                              ;   in Loop: Header=BB252_177 Depth=1
	s_or_b32 exec_lo, exec_lo, s26
	v_lshlrev_b32_e32 v6, 8, v6
	s_delay_alu instid0(VALU_DEP_2) | instskip(NEXT) | instid1(VALU_DEP_3)
	v_lshl_add_u32 v15, v15, 10, 0x2000
	v_lshlrev_b32_e32 v14, 23, v14
	s_delay_alu instid0(VALU_DEP_2) | instskip(NEXT) | instid1(VALU_DEP_1)
	v_and_or_b32 v6, 0x8000, v6, v15
	v_lshl_or_b32 v14, v6, 16, v14
.LBB252_306:                            ;   in Loop: Header=BB252_177 Depth=1
	s_or_b32 exec_lo, exec_lo, s25
.LBB252_307:                            ;   in Loop: Header=BB252_177 Depth=1
	s_delay_alu instid0(SALU_CYCLE_1)
	s_or_b32 exec_lo, exec_lo, s24
.LBB252_308:                            ;   in Loop: Header=BB252_177 Depth=1
	s_delay_alu instid0(SALU_CYCLE_1) | instskip(SKIP_3) | instid1(VALU_DEP_3)
	s_or_b32 exec_lo, exec_lo, s23
	v_dual_lshrrev_b32 v6, 16, v1 :: v_dual_bitop2_b32 v1, v1, v3 bitop3:0x54
	v_dual_lshrrev_b32 v15, 16, v13 :: v_dual_bitop2_b32 v3, v13, v16 bitop3:0x54
	v_lshrrev_b32_e32 v16, 16, v14
	v_cvt_f32_f16_e32 v21, v6
	v_dual_lshrrev_b32 v13, 16, v19 :: v_dual_bitop2_b32 v6, v14, v18 bitop3:0x54
	s_delay_alu instid0(VALU_DEP_4)
	v_cvt_f32_f16_e32 v14, v3
	v_or_b32_e32 v3, v19, v17
	v_cvt_f32_f16_e32 v20, v15
	v_cvt_f32_f16_e32 v15, v1
	;; [unrolled: 1-line block ×6, first 2 shown]
	s_wait_loadcnt 0x0
	v_pk_mul_f32 v[20:21], v[12:13], v[20:21] op_sel_hi:[0,1]
	v_pk_mul_f32 v[14:15], v[12:13], v[14:15] op_sel_hi:[0,1]
	;; [unrolled: 1-line block ×4, first 2 shown]
	s_delay_alu instid0(VALU_DEP_4) | instskip(NEXT) | instid1(VALU_DEP_4)
	v_cvt_pk_f16_f32 v1, v20, v21
	v_cvt_pk_f16_f32 v3, v14, v15
	s_delay_alu instid0(VALU_DEP_4) | instskip(NEXT) | instid1(VALU_DEP_4)
	v_cvt_pk_f16_f32 v6, v16, v17
	v_cvt_pk_f16_f32 v12, v18, v19
	s_delay_alu instid0(VALU_DEP_4) | instskip(NEXT) | instid1(VALU_DEP_4)
	v_and_b32_e32 v13, 0xffff0000, v1
	v_dual_lshlrev_b32 v14, 16, v1 :: v_dual_lshrrev_b32 v19, 16, v3
	v_and_b32_e32 v20, 0xffff, v3
	v_and_b32_e32 v1, 0xffff0000, v6
	v_dual_lshlrev_b32 v6, 16, v6 :: v_dual_lshrrev_b32 v3, 16, v12
	v_and_b32_e32 v12, 0xffff, v12
	v_or_b32_e32 v17, v13, v19
	v_or_b32_e32 v18, v14, v20
	s_delay_alu instid0(VALU_DEP_4) | instskip(NEXT) | instid1(VALU_DEP_4)
	v_or_b32_e32 v15, v1, v3
	v_or_b32_e32 v16, v6, v12
	s_and_saveexec_b32 s0, vcc_lo
	s_cbranch_execz .LBB252_175
; %bb.309:                              ;   in Loop: Header=BB252_177 Depth=1
	v_cmp_gt_i32_e32 vcc_lo, s18, v31
	v_cndmask_b32_e32 v15, 0, v19, vcc_lo
	v_cmp_gt_i32_e32 vcc_lo, s34, v38
	v_cndmask_b32_e32 v16, 0, v20, vcc_lo
	;; [unrolled: 2-line block ×4, first 2 shown]
	v_cmp_gt_i32_e32 vcc_lo, s18, v35
	s_delay_alu instid0(VALU_DEP_4) | instskip(NEXT) | instid1(VALU_DEP_3)
	v_or_b32_e32 v17, v13, v15
	v_dual_cndmask_b32 v3, 0, v3, vcc_lo :: v_dual_bitop2_b32 v18, v14, v16 bitop3:0x54
	v_cmp_gt_i32_e32 vcc_lo, s34, v34
	v_cndmask_b32_e32 v12, 0, v12, vcc_lo
	v_cmp_gt_i32_e32 vcc_lo, s18, v33
	v_cndmask_b32_e32 v1, 0, v1, vcc_lo
	v_cmp_gt_i32_e32 vcc_lo, s34, v32
	s_delay_alu instid0(VALU_DEP_2) | instskip(NEXT) | instid1(VALU_DEP_1)
	v_dual_cndmask_b32 v6, 0, v6, vcc_lo :: v_dual_bitop2_b32 v15, v1, v3 bitop3:0x54
	v_or_b32_e32 v16, v6, v12
	s_branch .LBB252_175
.LBB252_310:
	s_or_b32 exec_lo, exec_lo, s19
.LBB252_311:
	s_delay_alu instid0(SALU_CYCLE_1)
	s_or_b32 exec_lo, exec_lo, s1
	ds_bpermute_b32 v2, v27, v4
	ds_bpermute_b32 v3, v27, v5
	v_lshrrev_b32_e32 v1, 1, v26
	v_and_b32_e32 v7, 0x3c1, v0
	s_mov_b32 s0, exec_lo
	s_wait_dscnt 0x0
	s_barrier_signal -1
	v_lshl_add_u32 v6, v1, 2, 0x60
	s_barrier_wait -1
	v_pk_add_f32 v[2:3], v[4:5], v[2:3]
	v_cmpx_eq_u32_e32 64, v7
	s_cbranch_execz .LBB252_313
; %bb.312:
	v_lshl_add_u32 v4, v25, 7, v6
	s_delay_alu instid0(VALU_DEP_1)
	v_add_nc_u32_e32 v5, 0xffffff00, v4
	v_add_nc_u32_e32 v4, 0xffffff40, v4
	ds_store_b32 v5, v2
	ds_store_b32 v4, v3
.LBB252_313:
	s_or_b32 exec_lo, exec_lo, s0
	v_and_b32_e32 v4, 0x3e0, v0
	v_lshlrev_b32_e32 v1, 2, v1
	s_mov_b32 s1, exec_lo
	v_cmp_eq_u32_e32 vcc_lo, 0, v24
	s_wait_dscnt 0x0
	v_lshlrev_b32_e32 v4, 2, v4
	s_barrier_signal -1
	s_barrier_wait -1
	s_delay_alu instid0(VALU_DEP_1)
	v_add3_u32 v1, 0x60, v4, v1
	v_cmpx_gt_u32_e32 64, v0
	s_cbranch_execz .LBB252_319
; %bb.314:
	s_and_saveexec_b32 s0, vcc_lo
	s_cbranch_execz .LBB252_316
; %bb.315:
	ds_load_b32 v4, v1
	s_wait_dscnt 0x0
	v_add_f32_e32 v2, v2, v4
.LBB252_316:
	s_or_b32 exec_lo, exec_lo, s0
	s_and_saveexec_b32 s0, vcc_lo
	s_cbranch_execz .LBB252_318
; %bb.317:
	ds_load_b32 v4, v1 offset:64
	s_wait_dscnt 0x0
	v_add_f32_e32 v3, v3, v4
.LBB252_318:
	s_or_b32 exec_lo, exec_lo, s0
.LBB252_319:
	s_delay_alu instid0(SALU_CYCLE_1) | instskip(SKIP_4) | instid1(VALU_DEP_1)
	s_or_b32 exec_lo, exec_lo, s1
	v_and_b32_e32 v4, 0x3e1, v0
	s_mov_b32 s1, exec_lo
	s_barrier_signal -1
	s_barrier_wait -1
	v_cmpx_eq_u32_e32 32, v4
; %bb.320:
	ds_store_2addr_b32 v6, v2, v3 offset1:16
; %bb.321:
	s_or_b32 exec_lo, exec_lo, s1
	s_delay_alu instid0(SALU_CYCLE_1)
	s_mov_b32 s1, exec_lo
	s_wait_dscnt 0x0
	s_barrier_signal -1
	s_barrier_wait -1
	v_cmpx_gt_u32_e32 32, v0
	s_cbranch_execz .LBB252_327
; %bb.322:
	s_and_saveexec_b32 s0, vcc_lo
	s_cbranch_execz .LBB252_324
; %bb.323:
	ds_load_b32 v0, v1
	s_wait_dscnt 0x0
	v_add_f32_e32 v2, v2, v0
.LBB252_324:
	s_or_b32 exec_lo, exec_lo, s0
	s_and_saveexec_b32 s0, vcc_lo
	s_cbranch_execz .LBB252_326
; %bb.325:
	ds_load_b32 v0, v1 offset:64
	s_wait_dscnt 0x0
	v_add_f32_e32 v3, v3, v0
.LBB252_326:
	s_or_b32 exec_lo, exec_lo, s0
.LBB252_327:
	s_delay_alu instid0(SALU_CYCLE_1)
	s_or_b32 exec_lo, exec_lo, s1
	s_mov_b32 s1, 0
	s_barrier_signal -1
	s_barrier_wait -1
	s_mov_b32 s0, exec_lo
	v_cmpx_eq_u32_e32 0, v4
	s_cbranch_execz .LBB252_329
; %bb.328:
	s_mul_i32 s0, s33, s7
	s_mul_i32 s2, s7, s6
	;; [unrolled: 1-line block ×3, first 2 shown]
	s_lshr_b32 s8, ttmp7, 16
	s_lshl_b32 s6, s0, 5
	s_bfe_u32 s0, ttmp6, 0x40014
	s_ashr_i32 s7, s6, 31
	s_add_co_i32 s0, s0, 1
	s_ashr_i32 s3, s2, 31
	s_mul_i32 s0, s8, s0
	s_bfe_u32 s9, ttmp6, 0x40008
	s_lshl_b64 s[6:7], s[6:7], 1
	s_lshl_b64 s[2:3], s[2:3], 1
	s_add_co_i32 s9, s9, s0
	s_cmp_eq_u32 s30, 0
	s_wait_kmcnt 0x0
	s_add_nc_u64 s[4:5], s[4:5], s[6:7]
	s_cselect_b32 s0, s8, s9
	s_add_nc_u64 s[2:3], s[4:5], s[2:3]
	s_lshl_b32 s0, s0, 6
	;;#ASMSTART
	v_cvt_f16_f32 v0, v2;

	;;#ASMEND
	s_add_nc_u64 s[0:1], s[2:3], s[0:1]
	global_store_b16 v23, v0, s[0:1] scale_offset
	s_wait_xcnt 0x0
	;;#ASMSTART
	v_cvt_f16_f32 v0, v3;

	;;#ASMEND
	global_store_b16 v23, v0, s[0:1] offset:32 scale_offset
.LBB252_329:
	s_endpgm
	.section	.rodata,"a",@progbits
	.p2align	6, 0x0
	.amdhsa_kernel _ZN4vllm25paged_attention_v1_kernelIthLi32ELi16ELi128ELNS_18Fp8KVCacheDataTypeE1ELb1EEEvPT_PKS2_PKT0_S8_ifPKiSA_iPKfiiiSC_SC_iiiii
		.amdhsa_group_segment_fixed_size 96
		.amdhsa_private_segment_fixed_size 0
		.amdhsa_kernarg_size 384
		.amdhsa_user_sgpr_count 2
		.amdhsa_user_sgpr_dispatch_ptr 0
		.amdhsa_user_sgpr_queue_ptr 0
		.amdhsa_user_sgpr_kernarg_segment_ptr 1
		.amdhsa_user_sgpr_dispatch_id 0
		.amdhsa_user_sgpr_kernarg_preload_length 0
		.amdhsa_user_sgpr_kernarg_preload_offset 0
		.amdhsa_user_sgpr_private_segment_size 0
		.amdhsa_wavefront_size32 1
		.amdhsa_uses_dynamic_stack 0
		.amdhsa_enable_private_segment 0
		.amdhsa_system_sgpr_workgroup_id_x 1
		.amdhsa_system_sgpr_workgroup_id_y 1
		.amdhsa_system_sgpr_workgroup_id_z 1
		.amdhsa_system_sgpr_workgroup_info 0
		.amdhsa_system_vgpr_workitem_id 0
		.amdhsa_next_free_vgpr 54
		.amdhsa_next_free_sgpr 45
		.amdhsa_named_barrier_count 0
		.amdhsa_reserve_vcc 1
		.amdhsa_float_round_mode_32 0
		.amdhsa_float_round_mode_16_64 0
		.amdhsa_float_denorm_mode_32 3
		.amdhsa_float_denorm_mode_16_64 3
		.amdhsa_fp16_overflow 0
		.amdhsa_memory_ordered 1
		.amdhsa_forward_progress 1
		.amdhsa_inst_pref_size 102
		.amdhsa_round_robin_scheduling 0
		.amdhsa_exception_fp_ieee_invalid_op 0
		.amdhsa_exception_fp_denorm_src 0
		.amdhsa_exception_fp_ieee_div_zero 0
		.amdhsa_exception_fp_ieee_overflow 0
		.amdhsa_exception_fp_ieee_underflow 0
		.amdhsa_exception_fp_ieee_inexact 0
		.amdhsa_exception_int_div_zero 0
	.end_amdhsa_kernel
	.section	.text._ZN4vllm25paged_attention_v1_kernelIthLi32ELi16ELi128ELNS_18Fp8KVCacheDataTypeE1ELb1EEEvPT_PKS2_PKT0_S8_ifPKiSA_iPKfiiiSC_SC_iiiii,"axG",@progbits,_ZN4vllm25paged_attention_v1_kernelIthLi32ELi16ELi128ELNS_18Fp8KVCacheDataTypeE1ELb1EEEvPT_PKS2_PKT0_S8_ifPKiSA_iPKfiiiSC_SC_iiiii,comdat
.Lfunc_end252:
	.size	_ZN4vllm25paged_attention_v1_kernelIthLi32ELi16ELi128ELNS_18Fp8KVCacheDataTypeE1ELb1EEEvPT_PKS2_PKT0_S8_ifPKiSA_iPKfiiiSC_SC_iiiii, .Lfunc_end252-_ZN4vllm25paged_attention_v1_kernelIthLi32ELi16ELi128ELNS_18Fp8KVCacheDataTypeE1ELb1EEEvPT_PKS2_PKT0_S8_ifPKiSA_iPKfiiiSC_SC_iiiii
                                        ; -- End function
	.set _ZN4vllm25paged_attention_v1_kernelIthLi32ELi16ELi128ELNS_18Fp8KVCacheDataTypeE1ELb1EEEvPT_PKS2_PKT0_S8_ifPKiSA_iPKfiiiSC_SC_iiiii.num_vgpr, 54
	.set _ZN4vllm25paged_attention_v1_kernelIthLi32ELi16ELi128ELNS_18Fp8KVCacheDataTypeE1ELb1EEEvPT_PKS2_PKT0_S8_ifPKiSA_iPKfiiiSC_SC_iiiii.num_agpr, 0
	.set _ZN4vllm25paged_attention_v1_kernelIthLi32ELi16ELi128ELNS_18Fp8KVCacheDataTypeE1ELb1EEEvPT_PKS2_PKT0_S8_ifPKiSA_iPKfiiiSC_SC_iiiii.numbered_sgpr, 45
	.set _ZN4vllm25paged_attention_v1_kernelIthLi32ELi16ELi128ELNS_18Fp8KVCacheDataTypeE1ELb1EEEvPT_PKS2_PKT0_S8_ifPKiSA_iPKfiiiSC_SC_iiiii.num_named_barrier, 0
	.set _ZN4vllm25paged_attention_v1_kernelIthLi32ELi16ELi128ELNS_18Fp8KVCacheDataTypeE1ELb1EEEvPT_PKS2_PKT0_S8_ifPKiSA_iPKfiiiSC_SC_iiiii.private_seg_size, 0
	.set _ZN4vllm25paged_attention_v1_kernelIthLi32ELi16ELi128ELNS_18Fp8KVCacheDataTypeE1ELb1EEEvPT_PKS2_PKT0_S8_ifPKiSA_iPKfiiiSC_SC_iiiii.uses_vcc, 1
	.set _ZN4vllm25paged_attention_v1_kernelIthLi32ELi16ELi128ELNS_18Fp8KVCacheDataTypeE1ELb1EEEvPT_PKS2_PKT0_S8_ifPKiSA_iPKfiiiSC_SC_iiiii.uses_flat_scratch, 0
	.set _ZN4vllm25paged_attention_v1_kernelIthLi32ELi16ELi128ELNS_18Fp8KVCacheDataTypeE1ELb1EEEvPT_PKS2_PKT0_S8_ifPKiSA_iPKfiiiSC_SC_iiiii.has_dyn_sized_stack, 0
	.set _ZN4vllm25paged_attention_v1_kernelIthLi32ELi16ELi128ELNS_18Fp8KVCacheDataTypeE1ELb1EEEvPT_PKS2_PKT0_S8_ifPKiSA_iPKfiiiSC_SC_iiiii.has_recursion, 0
	.set _ZN4vllm25paged_attention_v1_kernelIthLi32ELi16ELi128ELNS_18Fp8KVCacheDataTypeE1ELb1EEEvPT_PKS2_PKT0_S8_ifPKiSA_iPKfiiiSC_SC_iiiii.has_indirect_call, 0
	.section	.AMDGPU.csdata,"",@progbits
; Kernel info:
; codeLenInByte = 12984
; TotalNumSgprs: 47
; NumVgprs: 54
; ScratchSize: 0
; MemoryBound: 0
; FloatMode: 240
; IeeeMode: 1
; LDSByteSize: 96 bytes/workgroup (compile time only)
; SGPRBlocks: 0
; VGPRBlocks: 3
; NumSGPRsForWavesPerEU: 47
; NumVGPRsForWavesPerEU: 54
; NamedBarCnt: 0
; Occupancy: 16
; WaveLimiterHint : 1
; COMPUTE_PGM_RSRC2:SCRATCH_EN: 0
; COMPUTE_PGM_RSRC2:USER_SGPR: 2
; COMPUTE_PGM_RSRC2:TRAP_HANDLER: 0
; COMPUTE_PGM_RSRC2:TGID_X_EN: 1
; COMPUTE_PGM_RSRC2:TGID_Y_EN: 1
; COMPUTE_PGM_RSRC2:TGID_Z_EN: 1
; COMPUTE_PGM_RSRC2:TIDIG_COMP_CNT: 0
	.section	.text._ZN4vllm25paged_attention_v1_kernelIthLi64ELi16ELi128ELNS_18Fp8KVCacheDataTypeE1ELb1EEEvPT_PKS2_PKT0_S8_ifPKiSA_iPKfiiiSC_SC_iiiii,"axG",@progbits,_ZN4vllm25paged_attention_v1_kernelIthLi64ELi16ELi128ELNS_18Fp8KVCacheDataTypeE1ELb1EEEvPT_PKS2_PKT0_S8_ifPKiSA_iPKfiiiSC_SC_iiiii,comdat
	.protected	_ZN4vllm25paged_attention_v1_kernelIthLi64ELi16ELi128ELNS_18Fp8KVCacheDataTypeE1ELb1EEEvPT_PKS2_PKT0_S8_ifPKiSA_iPKfiiiSC_SC_iiiii ; -- Begin function _ZN4vllm25paged_attention_v1_kernelIthLi64ELi16ELi128ELNS_18Fp8KVCacheDataTypeE1ELb1EEEvPT_PKS2_PKT0_S8_ifPKiSA_iPKfiiiSC_SC_iiiii
	.globl	_ZN4vllm25paged_attention_v1_kernelIthLi64ELi16ELi128ELNS_18Fp8KVCacheDataTypeE1ELb1EEEvPT_PKS2_PKT0_S8_ifPKiSA_iPKfiiiSC_SC_iiiii
	.p2align	8
	.type	_ZN4vllm25paged_attention_v1_kernelIthLi64ELi16ELi128ELNS_18Fp8KVCacheDataTypeE1ELb1EEEvPT_PKS2_PKT0_S8_ifPKiSA_iPKfiiiSC_SC_iiiii,@function
_ZN4vllm25paged_attention_v1_kernelIthLi64ELi16ELi128ELNS_18Fp8KVCacheDataTypeE1ELb1EEEvPT_PKS2_PKT0_S8_ifPKiSA_iPKfiiiSC_SC_iiiii: ; @_ZN4vllm25paged_attention_v1_kernelIthLi64ELi16ELi128ELNS_18Fp8KVCacheDataTypeE1ELb1EEEvPT_PKS2_PKT0_S8_ifPKiSA_iPKfiiiSC_SC_iiiii
; %bb.0:
	s_load_b64 s[26:27], s[0:1], 0x20
	s_bfe_u32 s3, ttmp6, 0x4000c
	s_bfe_u32 s4, ttmp6, 0x40010
	s_and_b32 s6, ttmp7, 0xffff
	s_add_co_i32 s3, s3, 1
	s_add_co_i32 s4, s4, 1
	s_and_b32 s2, ttmp6, 15
	s_bfe_u32 s5, ttmp6, 0x40004
	s_mul_i32 s3, ttmp9, s3
	s_mul_i32 s4, s6, s4
	s_getreg_b32 s30, hwreg(HW_REG_IB_STS2, 6, 4)
	s_add_co_i32 s2, s2, s3
	s_add_co_i32 s3, s5, s4
	s_cmp_eq_u32 s30, 0
	s_clause 0x1
	s_load_b32 s31, s[0:1], 0x80
	s_load_b64 s[4:5], s[0:1], 0x30
	s_cselect_b32 s33, s6, s3
	s_cselect_b32 s2, ttmp9, s2
	s_wait_kmcnt 0x0
	s_abs_i32 s3, s26
	s_delay_alu instid0(SALU_CYCLE_1) | instskip(SKIP_1) | instid1(SALU_CYCLE_2)
	s_cvt_f32_u32 s6, s3
	s_sub_co_i32 s7, 0, s3
	v_rcp_iflag_f32_e32 v1, s6
	s_abs_i32 s8, s31
	v_nop
	s_delay_alu instid0(TRANS32_DEP_1) | instskip(SKIP_1) | instid1(SALU_CYCLE_3)
	v_readfirstlane_b32 s6, v1
	s_mul_f32 s6, s6, 0x4f7ffffe
	s_cvt_u32_f32 s6, s6
	s_delay_alu instid0(SALU_CYCLE_3) | instskip(NEXT) | instid1(SALU_CYCLE_1)
	s_mul_i32 s7, s7, s6
	s_mul_hi_u32 s7, s6, s7
	s_delay_alu instid0(SALU_CYCLE_1) | instskip(SKIP_4) | instid1(SALU_CYCLE_1)
	s_add_co_i32 s6, s6, s7
	s_xor_b32 s7, s31, s26
	s_mul_hi_u32 s6, s8, s6
	s_ashr_i32 s7, s7, 31
	s_mul_i32 s9, s6, s3
	s_sub_co_i32 s8, s8, s9
	s_add_co_i32 s9, s6, 1
	s_sub_co_i32 s10, s8, s3
	s_cmp_ge_u32 s8, s3
	s_cselect_b32 s6, s9, s6
	s_cselect_b32 s8, s10, s8
	s_add_co_i32 s9, s6, 1
	s_cmp_ge_u32 s8, s3
	s_load_b64 s[10:11], s[0:1], 0x40
	s_cselect_b32 s3, s9, s6
	s_mov_b32 s9, 0
	s_xor_b32 s3, s3, s7
	s_abs_i32 s8, s2
	s_sub_co_i32 s12, s3, s7
	s_mov_b32 s7, s9
	s_abs_i32 s19, s12
	s_mov_b32 s37, s9
	s_cvt_f32_u32 s3, s19
	s_sub_co_i32 s6, 0, s19
	s_delay_alu instid0(SALU_CYCLE_2) | instskip(SKIP_1) | instid1(TRANS32_DEP_1)
	v_rcp_iflag_f32_e32 v1, s3
	v_nop
	v_readfirstlane_b32 s3, v1
	s_mul_f32 s3, s3, 0x4f7ffffe
	s_delay_alu instid0(SALU_CYCLE_3) | instskip(NEXT) | instid1(SALU_CYCLE_3)
	s_cvt_u32_f32 s3, s3
	s_mul_i32 s6, s6, s3
	s_delay_alu instid0(SALU_CYCLE_1) | instskip(NEXT) | instid1(SALU_CYCLE_1)
	s_mul_hi_u32 s6, s3, s6
	s_add_co_i32 s6, s3, s6
	s_wait_kmcnt 0x0
	s_cmp_eq_u64 s[10:11], 0
	s_cbranch_scc1 .LBB253_2
; %bb.1:
	s_ashr_i32 s3, s2, 31
	s_delay_alu instid0(SALU_CYCLE_1) | instskip(NEXT) | instid1(SALU_CYCLE_1)
	s_lshl_b64 s[14:15], s[2:3], 2
	s_add_nc_u64 s[10:11], s[10:11], s[14:15]
	s_load_b32 s37, s[10:11], 0x0
.LBB253_2:
	s_load_b32 s34, s[4:5], s33 offset:0x0 scale_offset
	s_load_b96 s[16:18], s[0:1], 0x48
	v_dual_lshrrev_b32 v25, 1, v0 :: v_dual_bitop2_b32 v26, 1, v0 bitop3:0x40
	s_wait_xcnt 0x0
	s_mul_u64 s[4:5], s[8:9], s[6:7]
	s_ashr_i32 s3, s2, 31
	s_ashr_i32 s10, s12, 31
	s_lshl_b32 s6, s2, 6
	s_mov_b32 s4, exec_lo
	v_cmpx_gt_u32_e32 16, v0
	s_cbranch_execz .LBB253_4
; %bb.3:
	s_load_b64 s[12:13], s[0:1], 0x8
	s_wait_kmcnt 0x0
	s_mul_i32 s14, s16, s33
	s_ashr_i32 s7, s6, 31
	s_ashr_i32 s15, s14, 31
	v_lshlrev_b32_e32 v1, 3, v25
	s_lshl_b64 s[14:15], s[14:15], 1
	s_delay_alu instid0(VALU_DEP_1) | instskip(SKIP_2) | instid1(SALU_CYCLE_1)
	v_lshl_add_u32 v1, v26, 6, v1
	s_add_nc_u64 s[12:13], s[12:13], s[14:15]
	s_lshl_b64 s[14:15], s[6:7], 1
	s_add_nc_u64 s[12:13], s[12:13], s[14:15]
	global_load_b64 v[2:3], v0, s[12:13] scale_offset
	s_wait_loadcnt 0x0
	ds_store_b64 v1, v[2:3]
.LBB253_4:
	s_or_b32 exec_lo, exec_lo, s4
	s_load_b128 s[12:15], s[0:1], 0x68
	s_mul_i32 s4, s5, s19
	s_xor_b32 s3, s3, s10
	s_sub_co_i32 s4, s8, s4
	s_add_co_i32 s7, s5, 1
	s_sub_co_i32 s8, s4, s19
	s_cmp_ge_u32 s4, s19
	s_mov_b32 s9, -1
	s_cselect_b32 s5, s7, s5
	s_cselect_b32 s4, s8, s4
	s_add_co_i32 s8, s5, 1
	s_cmp_ge_u32 s4, s19
	s_load_b32 s7, s[0:1], 0x78
	s_cselect_b32 s4, s8, s5
	s_wait_kmcnt 0x0
	s_add_co_i32 s8, s34, -1
	s_xor_b32 s4, s4, s3
	s_wait_dscnt 0x0
	s_sub_co_i32 s3, s4, s3
	s_barrier_signal -1
	s_barrier_wait -1
	s_abs_i32 s16, s15
	s_delay_alu instid0(SALU_CYCLE_1) | instskip(NEXT) | instid1(SALU_CYCLE_3)
	s_cvt_f32_u32 s5, s16
                                        ; implicit-def: $sgpr35
	v_rcp_iflag_f32_e32 v1, s5
	v_nop
	s_delay_alu instid0(TRANS32_DEP_1) | instskip(SKIP_1) | instid1(SALU_CYCLE_3)
	v_readfirstlane_b32 s5, v1
	s_mul_f32 s4, s5, 0x4f7ffffe
	s_cvt_u32_f32 s10, s4
	s_sub_co_i32 s4, 0, s16
	s_delay_alu instid0(SALU_CYCLE_2)
	s_mul_i32 s5, s4, s10
	s_abs_i32 s4, s8
	s_mul_hi_u32 s11, s10, s5
	s_mov_b32 s5, 0
	s_add_co_i32 s20, s10, s11
	s_cmp_lt_i32 s7, 0
	s_mov_b32 s21, s5
	s_cbranch_scc0 .LBB253_6
; %bb.5:
	s_mul_i32 s9, s12, s26
	s_delay_alu instid0(SALU_CYCLE_1) | instskip(NEXT) | instid1(SALU_CYCLE_1)
	s_add_co_i32 s9, s3, s9
	s_mul_i32 s9, s9, s7
	s_delay_alu instid0(SALU_CYCLE_1)
	s_sub_co_i32 s35, 1, s9
	s_mov_b32 s9, s5
.LBB253_6:
	s_ashr_i32 s8, s8, 31
	s_ashr_i32 s15, s15, 31
	s_and_not1_b32 vcc_lo, exec_lo, s9
	s_mul_u64 s[28:29], s[4:5], s[20:21]
	s_cbranch_vccnz .LBB253_8
; %bb.7:
	s_mul_i32 s5, s31, s12
	s_delay_alu instid0(SALU_CYCLE_1) | instskip(NEXT) | instid1(SALU_CYCLE_1)
	s_add_co_i32 s2, s5, s2
	s_mul_i32 s2, s2, s7
	s_delay_alu instid0(SALU_CYCLE_1)
	s_add_co_i32 s35, s2, 1
.LBB253_8:
	s_clause 0x1
	s_load_b32 s2, s[0:1], 0x38
	s_load_b64 s[22:23], s[0:1], 0x28
	s_mul_i32 s7, s29, s16
	s_xor_b32 s5, s8, s15
	s_sub_co_i32 s4, s4, s7
	s_add_co_i32 s12, s29, 1
	s_clause 0x1
	s_load_b32 s7, s[0:1], 0x88
	s_load_b128 s[8:11], s[0:1], 0x58
	v_dual_lshrrev_b32 v27, 5, v0 :: v_dual_lshrrev_b32 v1, 3, v0
	v_mov_b32_e32 v17, 0xff7fffff
	v_mbcnt_lo_u32_b32 v3, -1, 0
	s_mul_i32 s18, s3, s18
	s_delay_alu instid0(VALU_DEP_3)
	v_lshlrev_b32_e32 v2, 4, v27
	s_wait_kmcnt 0x0
	s_mul_i32 s24, s2, s33
	s_sub_co_i32 s2, s4, s16
	s_ashr_i32 s25, s24, 31
	s_cmp_ge_u32 s4, s16
	s_cselect_b32 s12, s12, s29
	s_cselect_b32 s2, s2, s4
	s_add_co_i32 s4, s12, 1
	s_cmp_ge_u32 s2, s16
	s_cselect_b32 s2, s4, s12
	s_add_co_i32 s4, s34, 15
	s_delay_alu instid0(SALU_CYCLE_1) | instskip(NEXT) | instid1(SALU_CYCLE_1)
	s_ashr_i32 s12, s4, 31
	s_lshr_b32 s12, s12, 28
	s_delay_alu instid0(SALU_CYCLE_1) | instskip(NEXT) | instid1(SALU_CYCLE_1)
	s_add_co_i32 s4, s4, s12
	s_ashr_i32 s12, s4, 4
	s_xor_b32 s4, s2, s5
	v_cmp_gt_i32_e64 s2, s12, v27
	s_sub_co_i32 s36, s4, s5
	s_and_saveexec_b32 s26, s2
	s_cbranch_execz .LBB253_276
; %bb.9:
	s_load_b64 s[4:5], s[0:1], 0x10
	s_sub_co_i32 s38, s36, s13
	s_ashr_i32 s19, s18, 31
	s_cmp_neq_f32 s37, 0
	v_bfe_u32 v15, v0, 1, 4
	v_dual_mov_b32 v5, 0 :: v_dual_lshlrev_b32 v16, 6, v26
	s_cselect_b32 vcc_lo, -1, 0
	s_abs_i32 s39, s14
	s_delay_alu instid0(VALU_DEP_2)
	v_lshlrev_b32_e32 v4, 4, v15
	s_cvt_f32_u32 s28, s39
	v_lshlrev_b32_e32 v6, 4, v27
	s_lshl_b64 s[40:41], s[24:25], 2
	v_subrev_nc_u32_e32 v10, s34, v15
	v_rcp_iflag_f32_e32 v7, s28
	v_cmp_eq_u32_e64 s3, 0, v26
	v_dual_mov_b32 v20, 0xff7fffff :: v_dual_mov_b32 v21, v27
	s_delay_alu instid0(VALU_DEP_3) | instskip(SKIP_2) | instid1(TRANS32_DEP_1)
	v_dual_mov_b32 v17, 0xff7fffff :: v_dual_add_nc_u32 v18, 1, v10
	s_wait_kmcnt 0x0
	s_add_nc_u64 s[4:5], s[4:5], s[18:19]
	v_readfirstlane_b32 s28, v7
	v_lshlrev_b32_e32 v7, 2, v15
	v_add_nc_u64_e32 v[8:9], s[4:5], v[4:5]
	v_lshlrev_b32_e32 v4, 2, v26
	s_add_nc_u64 s[4:5], s[22:23], s[40:41]
	s_mul_f32 s19, s28, 0x4f7ffffe
	v_lshl_or_b32 v7, v27, 6, v7
	s_sub_co_i32 s28, 0, s39
	s_mov_b32 s29, 0
	v_add_nc_u64_e32 v[8:9], v[8:9], v[4:5]
	v_and_b32_e32 v4, 0x7c, v1
	s_cvt_u32_f32 s40, s19
	v_add_nc_u32_e32 v19, 0xa0, v7
	s_mov_b32 s19, s17
	s_delay_alu instid0(VALU_DEP_2) | instskip(SKIP_1) | instid1(SALU_CYCLE_1)
	v_add_nc_u64_e32 v[10:11], s[4:5], v[4:5]
	s_mul_i32 s28, s28, s40
	s_mul_hi_u32 s28, s40, s28
	s_delay_alu instid0(SALU_CYCLE_1)
	s_add_co_i32 s28, s40, s28
	s_mov_b32 s40, s29
	s_branch .LBB253_12
.LBB253_10:                             ;   in Loop: Header=BB253_12 Depth=1
	s_or_b32 exec_lo, exec_lo, s41
.LBB253_11:                             ;   in Loop: Header=BB253_12 Depth=1
	s_delay_alu instid0(SALU_CYCLE_1) | instskip(SKIP_3) | instid1(VALU_DEP_3)
	s_or_b32 exec_lo, exec_lo, s5
	v_dual_add_nc_u32 v21, 4, v21 :: v_dual_add_nc_u32 v6, 64, v6
	v_add_nc_u64_e32 v[10:11], 16, v[10:11]
	v_add_nc_u32_e32 v19, 0x100, v19
	v_cmp_le_i32_e64 s4, s12, v21
	s_or_b32 s40, s4, s40
	s_delay_alu instid0(SALU_CYCLE_1)
	s_and_not1_b32 exec_lo, exec_lo, s40
	s_cbranch_execz .LBB253_275
.LBB253_12:                             ; =>This Inner Loop Header: Depth=1
	s_wait_dscnt 0x0
	v_mov_b32_e32 v7, v5
	s_delay_alu instid0(VALU_DEP_1) | instskip(NEXT) | instid1(VALU_DEP_1)
	v_mul_u64_e32 v[12:13], s[20:21], v[6:7]
	v_mul_lo_u32 v4, v13, s16
	s_delay_alu instid0(VALU_DEP_1) | instskip(NEXT) | instid1(VALU_DEP_1)
	v_sub_nc_u32_e32 v4, v6, v4
	v_subrev_nc_u32_e32 v12, s16, v4
	v_cmp_le_u32_e64 s4, s16, v4
	s_delay_alu instid0(VALU_DEP_1) | instskip(NEXT) | instid1(VALU_DEP_1)
	v_dual_add_nc_u32 v7, 1, v13 :: v_dual_cndmask_b32 v4, v4, v12, s4
	v_cndmask_b32_e64 v7, v13, v7, s4
	s_delay_alu instid0(VALU_DEP_2) | instskip(NEXT) | instid1(VALU_DEP_2)
	v_cmp_le_u32_e64 s4, s16, v4
	v_add_nc_u32_e32 v12, 1, v7
	s_delay_alu instid0(VALU_DEP_1) | instskip(NEXT) | instid1(VALU_DEP_1)
	v_cndmask_b32_e64 v4, v7, v12, s4
	v_xor_b32_e32 v4, s15, v4
	s_delay_alu instid0(VALU_DEP_1) | instskip(NEXT) | instid1(VALU_DEP_1)
	v_subrev_nc_u32_e32 v7, s15, v4
	v_add_nc_u32_e32 v14, s35, v7
	v_cmp_ge_i32_e64 s5, s38, v7
	s_delay_alu instid0(VALU_DEP_2) | instskip(NEXT) | instid1(VALU_DEP_1)
	v_sub_nc_u32_e32 v4, 0, v14
	v_max_i32_e32 v4, v14, v4
	s_delay_alu instid0(VALU_DEP_1) | instskip(NEXT) | instid1(VALU_DEP_1)
	v_mul_u64_e32 v[12:13], s[28:29], v[4:5]
	v_mul_lo_u32 v12, v13, s39
	s_delay_alu instid0(VALU_DEP_1) | instskip(NEXT) | instid1(VALU_DEP_1)
	v_dual_ashrrev_i32 v13, 31, v14 :: v_dual_sub_nc_u32 v4, v4, v12
	v_subrev_nc_u32_e32 v12, s39, v4
	v_cmp_le_u32_e64 s4, s39, v4
	s_delay_alu instid0(VALU_DEP_1) | instskip(NEXT) | instid1(VALU_DEP_1)
	v_cndmask_b32_e64 v4, v4, v12, s4
	v_subrev_nc_u32_e32 v12, s39, v4
	v_cmp_le_u32_e64 s4, s39, v4
	s_delay_alu instid0(VALU_DEP_1) | instskip(NEXT) | instid1(VALU_DEP_1)
	v_cndmask_b32_e64 v4, v4, v12, s4
	v_xor_b32_e32 v4, v4, v13
	s_delay_alu instid0(VALU_DEP_1) | instskip(NEXT) | instid1(VALU_DEP_1)
	v_sub_nc_u32_e32 v4, v4, v13
	v_cmp_ne_u32_e64 s4, 0, v4
	s_and_b32 s4, s4, s5
	s_delay_alu instid0(SALU_CYCLE_1) | instskip(NEXT) | instid1(SALU_CYCLE_1)
	s_and_saveexec_b32 s5, s4
	s_xor_b32 s4, exec_lo, s5
	s_cbranch_execz .LBB253_16
; %bb.13:                               ;   in Loop: Header=BB253_12 Depth=1
	s_and_saveexec_b32 s5, s3
; %bb.14:                               ;   in Loop: Header=BB253_12 Depth=1
	ds_store_b32 v19, v20
; %bb.15:                               ;   in Loop: Header=BB253_12 Depth=1
	s_or_b32 exec_lo, exec_lo, s5
.LBB253_16:                             ;   in Loop: Header=BB253_12 Depth=1
	s_and_not1_saveexec_b32 s5, s4
	s_cbranch_execz .LBB253_11
; %bb.17:                               ;   in Loop: Header=BB253_12 Depth=1
	global_load_b32 v4, v[10:11], off
	v_dual_mov_b32 v22, 0 :: v_dual_mov_b32 v23, 0
	s_mov_b32 s41, exec_lo
	global_load_b32 v7, v22, s[8:9]
	s_wait_loadcnt 0x1
	v_mad_nc_i64_i32 v[12:13], v4, s19, v[8:9]
	global_load_b32 v14, v[12:13], off
	s_wait_loadcnt 0x0
	v_and_b32_e32 v4, 0xff, v14
	s_delay_alu instid0(VALU_DEP_1)
	v_cmpx_ne_u16_e32 0, v4
	s_cbranch_execz .LBB253_25
; %bb.18:                               ;   in Loop: Header=BB253_12 Depth=1
	v_mov_b32_e32 v23, 0x8000
	s_mov_b32 s42, exec_lo
	v_cmpx_ne_u16_e32 0x80, v4
	s_cbranch_execz .LBB253_24
; %bb.19:                               ;   in Loop: Header=BB253_12 Depth=1
	v_and_b32_e32 v24, 0x7f, v14
	v_mov_b32_e32 v23, 0x7c01
	s_mov_b32 s43, exec_lo
	s_delay_alu instid0(VALU_DEP_2)
	v_cmpx_ne_u32_e32 0x7f, v24
	s_cbranch_execz .LBB253_23
; %bb.20:                               ;   in Loop: Header=BB253_12 Depth=1
	v_dual_lshrrev_b32 v23, 3, v24 :: v_dual_bitop2_b32 v4, 7, v14 bitop3:0x40
	s_mov_b32 s44, exec_lo
	v_cmpx_gt_u32_e32 8, v24
; %bb.21:                               ;   in Loop: Header=BB253_12 Depth=1
	s_delay_alu instid0(VALU_DEP_2) | instskip(NEXT) | instid1(VALU_DEP_1)
	v_clz_i32_u32_e32 v4, v4
	v_min_u32_e32 v4, 32, v4
	s_delay_alu instid0(VALU_DEP_1) | instskip(NEXT) | instid1(VALU_DEP_1)
	v_subrev_nc_u32_e32 v23, 28, v4
	v_lshlrev_b64_e32 v[28:29], v23, v[14:15]
	v_sub_nc_u32_e32 v23, 29, v4
	s_delay_alu instid0(VALU_DEP_2)
	v_and_b32_e32 v4, 7, v28
; %bb.22:                               ;   in Loop: Header=BB253_12 Depth=1
	s_or_b32 exec_lo, exec_lo, s44
	s_delay_alu instid0(VALU_DEP_1) | instskip(NEXT) | instid1(VALU_DEP_3)
	v_dual_lshlrev_b32 v24, 8, v14 :: v_dual_lshlrev_b32 v4, 7, v4
	v_lshl_add_u32 v23, v23, 10, 0x2000
	s_delay_alu instid0(VALU_DEP_2) | instskip(NEXT) | instid1(VALU_DEP_2)
	v_and_b32_e32 v24, 0x8000, v24
	v_and_b32_e32 v23, 0xfc00, v23
	s_delay_alu instid0(VALU_DEP_1)
	v_or3_b32 v23, v24, v23, v4
.LBB253_23:                             ;   in Loop: Header=BB253_12 Depth=1
	s_or_b32 exec_lo, exec_lo, s43
.LBB253_24:                             ;   in Loop: Header=BB253_12 Depth=1
	s_delay_alu instid0(SALU_CYCLE_1)
	s_or_b32 exec_lo, exec_lo, s42
.LBB253_25:                             ;   in Loop: Header=BB253_12 Depth=1
	s_delay_alu instid0(SALU_CYCLE_1) | instskip(SKIP_2) | instid1(VALU_DEP_1)
	s_or_b32 exec_lo, exec_lo, s41
	v_lshrrev_b16 v4, 8, v14
	s_mov_b32 s41, exec_lo
	v_cmpx_ne_u16_e32 0, v4
	s_cbranch_execz .LBB253_33
; %bb.26:                               ;   in Loop: Header=BB253_12 Depth=1
	v_bfrev_b32_e32 v22, 1
	s_mov_b32 s42, exec_lo
	v_cmpx_ne_u16_e32 0x80, v4
	s_cbranch_execz .LBB253_32
; %bb.27:                               ;   in Loop: Header=BB253_12 Depth=1
	v_and_b32_e32 v24, 0xffff, v4
	v_mov_b32_e32 v22, 0x7c010000
	s_mov_b32 s43, exec_lo
	s_delay_alu instid0(VALU_DEP_2) | instskip(NEXT) | instid1(VALU_DEP_1)
	v_and_b32_e32 v29, 0x7f, v24
	v_cmpx_ne_u32_e32 0x7f, v29
	s_cbranch_execz .LBB253_31
; %bb.28:                               ;   in Loop: Header=BB253_12 Depth=1
	v_dual_lshrrev_b32 v28, 3, v29 :: v_dual_bitop2_b32 v22, 7, v24 bitop3:0x40
	s_mov_b32 s44, exec_lo
	v_cmpx_gt_u32_e32 8, v29
; %bb.29:                               ;   in Loop: Header=BB253_12 Depth=1
	s_delay_alu instid0(VALU_DEP_2) | instskip(NEXT) | instid1(VALU_DEP_1)
	v_clz_i32_u32_e32 v22, v22
	v_min_u32_e32 v22, 32, v22
	s_delay_alu instid0(VALU_DEP_1) | instskip(NEXT) | instid1(VALU_DEP_1)
	v_subrev_nc_u32_e32 v28, 28, v22
	v_lshlrev_b64_e32 v[30:31], v28, v[4:5]
	v_sub_nc_u32_e32 v28, 29, v22
	s_delay_alu instid0(VALU_DEP_2)
	v_and_b32_e32 v22, 7, v30
; %bb.30:                               ;   in Loop: Header=BB253_12 Depth=1
	s_or_b32 exec_lo, exec_lo, s44
	s_delay_alu instid0(VALU_DEP_1) | instskip(NEXT) | instid1(VALU_DEP_3)
	v_dual_lshlrev_b32 v4, 8, v24 :: v_dual_lshlrev_b32 v22, 23, v22
	v_lshl_add_u32 v24, v28, 10, 0x2000
	s_delay_alu instid0(VALU_DEP_1) | instskip(NEXT) | instid1(VALU_DEP_1)
	v_and_or_b32 v4, 0x8000, v4, v24
	v_lshl_or_b32 v22, v4, 16, v22
.LBB253_31:                             ;   in Loop: Header=BB253_12 Depth=1
	s_or_b32 exec_lo, exec_lo, s43
.LBB253_32:                             ;   in Loop: Header=BB253_12 Depth=1
	s_delay_alu instid0(SALU_CYCLE_1)
	s_or_b32 exec_lo, exec_lo, s42
.LBB253_33:                             ;   in Loop: Header=BB253_12 Depth=1
	s_delay_alu instid0(SALU_CYCLE_1) | instskip(SKIP_3) | instid1(VALU_DEP_2)
	s_or_b32 exec_lo, exec_lo, s41
	v_dual_lshrrev_b32 v4, 16, v14 :: v_dual_mov_b32 v24, 0
	v_mov_b32_e32 v28, 0
	s_mov_b32 s41, exec_lo
	v_and_b32_e32 v29, 0xff, v4
	s_delay_alu instid0(VALU_DEP_1)
	v_cmpx_ne_u16_e32 0, v29
	s_cbranch_execz .LBB253_41
; %bb.34:                               ;   in Loop: Header=BB253_12 Depth=1
	v_mov_b32_e32 v28, 0x8000
	s_mov_b32 s42, exec_lo
	v_cmpx_ne_u16_e32 0x80, v29
	s_cbranch_execz .LBB253_40
; %bb.35:                               ;   in Loop: Header=BB253_12 Depth=1
	v_bfe_u32 v30, v14, 16, 7
	v_mov_b32_e32 v28, 0x7c01
	s_mov_b32 s43, exec_lo
	s_delay_alu instid0(VALU_DEP_2)
	v_cmpx_ne_u32_e32 0x7f, v30
	s_cbranch_execz .LBB253_39
; %bb.36:                               ;   in Loop: Header=BB253_12 Depth=1
	v_dual_lshrrev_b32 v29, 3, v30 :: v_dual_bitop2_b32 v28, 7, v4 bitop3:0x40
	s_mov_b32 s44, exec_lo
	v_cmpx_gt_u32_e32 8, v30
; %bb.37:                               ;   in Loop: Header=BB253_12 Depth=1
	s_delay_alu instid0(VALU_DEP_2) | instskip(NEXT) | instid1(VALU_DEP_1)
	v_clz_i32_u32_e32 v28, v28
	v_min_u32_e32 v30, 32, v28
	s_delay_alu instid0(VALU_DEP_1) | instskip(NEXT) | instid1(VALU_DEP_1)
	v_subrev_nc_u32_e32 v28, 28, v30
	v_lshlrev_b64_e32 v[28:29], v28, v[4:5]
	s_delay_alu instid0(VALU_DEP_1)
	v_dual_sub_nc_u32 v29, 29, v30 :: v_dual_bitop2_b32 v28, 7, v28 bitop3:0x40
; %bb.38:                               ;   in Loop: Header=BB253_12 Depth=1
	s_or_b32 exec_lo, exec_lo, s44
	v_lshlrev_b32_e32 v4, 8, v4
	s_delay_alu instid0(VALU_DEP_2) | instskip(NEXT) | instid1(VALU_DEP_3)
	v_lshl_add_u32 v29, v29, 10, 0x2000
	v_lshlrev_b32_e32 v28, 7, v28
	s_delay_alu instid0(VALU_DEP_3) | instskip(NEXT) | instid1(VALU_DEP_3)
	v_and_b32_e32 v4, 0x8000, v4
	v_and_b32_e32 v29, 0xfc00, v29
	s_delay_alu instid0(VALU_DEP_1)
	v_or3_b32 v28, v4, v29, v28
.LBB253_39:                             ;   in Loop: Header=BB253_12 Depth=1
	s_or_b32 exec_lo, exec_lo, s43
.LBB253_40:                             ;   in Loop: Header=BB253_12 Depth=1
	s_delay_alu instid0(SALU_CYCLE_1)
	s_or_b32 exec_lo, exec_lo, s42
.LBB253_41:                             ;   in Loop: Header=BB253_12 Depth=1
	s_delay_alu instid0(SALU_CYCLE_1) | instskip(NEXT) | instid1(SALU_CYCLE_1)
	s_or_b32 exec_lo, exec_lo, s41
	s_mov_b32 s41, exec_lo
	v_cmpx_lt_u32_e32 0xffffff, v14
	s_cbranch_execz .LBB253_49
; %bb.42:                               ;   in Loop: Header=BB253_12 Depth=1
	v_lshrrev_b32_e32 v4, 24, v14
	v_bfrev_b32_e32 v24, 1
	s_mov_b32 s42, exec_lo
	s_delay_alu instid0(VALU_DEP_2)
	v_cmpx_ne_u32_e32 0x80, v4
	s_cbranch_execz .LBB253_48
; %bb.43:                               ;   in Loop: Header=BB253_12 Depth=1
	v_and_b32_e32 v29, 0x7f, v4
	v_mov_b32_e32 v24, 0x7c010000
	s_mov_b32 s43, exec_lo
	s_delay_alu instid0(VALU_DEP_2)
	v_cmpx_ne_u32_e32 0x7f, v29
	s_cbranch_execz .LBB253_47
; %bb.44:                               ;   in Loop: Header=BB253_12 Depth=1
	v_dual_lshrrev_b32 v24, 3, v29 :: v_dual_bitop2_b32 v14, 7, v4 bitop3:0x40
	s_mov_b32 s44, exec_lo
	v_cmpx_gt_u32_e32 8, v29
; %bb.45:                               ;   in Loop: Header=BB253_12 Depth=1
	s_delay_alu instid0(VALU_DEP_2) | instskip(NEXT) | instid1(VALU_DEP_1)
	v_clz_i32_u32_e32 v14, v14
	v_min_u32_e32 v14, 32, v14
	s_delay_alu instid0(VALU_DEP_1) | instskip(NEXT) | instid1(VALU_DEP_1)
	v_subrev_nc_u32_e32 v24, 28, v14
	v_lshlrev_b64_e32 v[30:31], v24, v[4:5]
	v_sub_nc_u32_e32 v24, 29, v14
	s_delay_alu instid0(VALU_DEP_2)
	v_and_b32_e32 v14, 7, v30
; %bb.46:                               ;   in Loop: Header=BB253_12 Depth=1
	s_or_b32 exec_lo, exec_lo, s44
	s_delay_alu instid0(VALU_DEP_1) | instskip(NEXT) | instid1(VALU_DEP_3)
	v_dual_lshlrev_b32 v4, 8, v4 :: v_dual_lshlrev_b32 v14, 23, v14
	v_lshl_add_u32 v24, v24, 10, 0x2000
	s_delay_alu instid0(VALU_DEP_1) | instskip(NEXT) | instid1(VALU_DEP_1)
	v_and_or_b32 v4, 0x8000, v4, v24
	v_lshl_or_b32 v24, v4, 16, v14
.LBB253_47:                             ;   in Loop: Header=BB253_12 Depth=1
	s_or_b32 exec_lo, exec_lo, s43
.LBB253_48:                             ;   in Loop: Header=BB253_12 Depth=1
	s_delay_alu instid0(SALU_CYCLE_1)
	s_or_b32 exec_lo, exec_lo, s42
.LBB253_49:                             ;   in Loop: Header=BB253_12 Depth=1
	s_delay_alu instid0(SALU_CYCLE_1)
	s_or_b32 exec_lo, exec_lo, s41
	global_load_b32 v14, v[12:13], off offset:8
	v_dual_mov_b32 v29, 0 :: v_dual_mov_b32 v30, 0
	s_mov_b32 s41, exec_lo
	s_wait_loadcnt 0x0
	v_and_b32_e32 v4, 0xff, v14
	s_delay_alu instid0(VALU_DEP_1)
	v_cmpx_ne_u16_e32 0, v4
	s_cbranch_execz .LBB253_57
; %bb.50:                               ;   in Loop: Header=BB253_12 Depth=1
	v_mov_b32_e32 v30, 0x8000
	s_mov_b32 s42, exec_lo
	v_cmpx_ne_u16_e32 0x80, v4
	s_cbranch_execz .LBB253_56
; %bb.51:                               ;   in Loop: Header=BB253_12 Depth=1
	v_and_b32_e32 v31, 0x7f, v14
	v_mov_b32_e32 v30, 0x7c01
	s_mov_b32 s43, exec_lo
	s_delay_alu instid0(VALU_DEP_2)
	v_cmpx_ne_u32_e32 0x7f, v31
	s_cbranch_execz .LBB253_55
; %bb.52:                               ;   in Loop: Header=BB253_12 Depth=1
	v_dual_lshrrev_b32 v30, 3, v31 :: v_dual_bitop2_b32 v4, 7, v14 bitop3:0x40
	s_mov_b32 s44, exec_lo
	v_cmpx_gt_u32_e32 8, v31
; %bb.53:                               ;   in Loop: Header=BB253_12 Depth=1
	s_delay_alu instid0(VALU_DEP_2) | instskip(NEXT) | instid1(VALU_DEP_1)
	v_clz_i32_u32_e32 v4, v4
	v_min_u32_e32 v4, 32, v4
	s_delay_alu instid0(VALU_DEP_1) | instskip(NEXT) | instid1(VALU_DEP_1)
	v_subrev_nc_u32_e32 v30, 28, v4
	v_lshlrev_b64_e32 v[32:33], v30, v[14:15]
	v_sub_nc_u32_e32 v30, 29, v4
	s_delay_alu instid0(VALU_DEP_2)
	v_and_b32_e32 v4, 7, v32
; %bb.54:                               ;   in Loop: Header=BB253_12 Depth=1
	s_or_b32 exec_lo, exec_lo, s44
	s_delay_alu instid0(VALU_DEP_1) | instskip(NEXT) | instid1(VALU_DEP_3)
	v_dual_lshlrev_b32 v31, 8, v14 :: v_dual_lshlrev_b32 v4, 7, v4
	v_lshl_add_u32 v30, v30, 10, 0x2000
	s_delay_alu instid0(VALU_DEP_2) | instskip(NEXT) | instid1(VALU_DEP_2)
	v_and_b32_e32 v31, 0x8000, v31
	v_and_b32_e32 v30, 0xfc00, v30
	s_delay_alu instid0(VALU_DEP_1)
	v_or3_b32 v30, v31, v30, v4
.LBB253_55:                             ;   in Loop: Header=BB253_12 Depth=1
	s_or_b32 exec_lo, exec_lo, s43
.LBB253_56:                             ;   in Loop: Header=BB253_12 Depth=1
	s_delay_alu instid0(SALU_CYCLE_1)
	s_or_b32 exec_lo, exec_lo, s42
.LBB253_57:                             ;   in Loop: Header=BB253_12 Depth=1
	s_delay_alu instid0(SALU_CYCLE_1) | instskip(SKIP_2) | instid1(VALU_DEP_1)
	s_or_b32 exec_lo, exec_lo, s41
	v_lshrrev_b16 v4, 8, v14
	s_mov_b32 s41, exec_lo
	v_cmpx_ne_u16_e32 0, v4
	s_cbranch_execz .LBB253_65
; %bb.58:                               ;   in Loop: Header=BB253_12 Depth=1
	v_bfrev_b32_e32 v29, 1
	s_mov_b32 s42, exec_lo
	v_cmpx_ne_u16_e32 0x80, v4
	s_cbranch_execz .LBB253_64
; %bb.59:                               ;   in Loop: Header=BB253_12 Depth=1
	v_and_b32_e32 v31, 0xffff, v4
	v_mov_b32_e32 v29, 0x7c010000
	s_mov_b32 s43, exec_lo
	s_delay_alu instid0(VALU_DEP_2) | instskip(NEXT) | instid1(VALU_DEP_1)
	v_and_b32_e32 v33, 0x7f, v31
	v_cmpx_ne_u32_e32 0x7f, v33
	s_cbranch_execz .LBB253_63
; %bb.60:                               ;   in Loop: Header=BB253_12 Depth=1
	v_dual_lshrrev_b32 v32, 3, v33 :: v_dual_bitop2_b32 v29, 7, v31 bitop3:0x40
	s_mov_b32 s44, exec_lo
	v_cmpx_gt_u32_e32 8, v33
; %bb.61:                               ;   in Loop: Header=BB253_12 Depth=1
	s_delay_alu instid0(VALU_DEP_2) | instskip(NEXT) | instid1(VALU_DEP_1)
	v_clz_i32_u32_e32 v29, v29
	v_min_u32_e32 v29, 32, v29
	s_delay_alu instid0(VALU_DEP_1) | instskip(NEXT) | instid1(VALU_DEP_1)
	v_subrev_nc_u32_e32 v32, 28, v29
	v_lshlrev_b64_e32 v[34:35], v32, v[4:5]
	s_delay_alu instid0(VALU_DEP_1)
	v_dual_sub_nc_u32 v32, 29, v29 :: v_dual_bitop2_b32 v29, 7, v34 bitop3:0x40
; %bb.62:                               ;   in Loop: Header=BB253_12 Depth=1
	s_or_b32 exec_lo, exec_lo, s44
	s_delay_alu instid0(VALU_DEP_1) | instskip(NEXT) | instid1(VALU_DEP_2)
	v_dual_lshlrev_b32 v4, 8, v31 :: v_dual_lshlrev_b32 v29, 23, v29
	v_lshl_add_u32 v31, v32, 10, 0x2000
	s_delay_alu instid0(VALU_DEP_1) | instskip(NEXT) | instid1(VALU_DEP_1)
	v_and_or_b32 v4, 0x8000, v4, v31
	v_lshl_or_b32 v29, v4, 16, v29
.LBB253_63:                             ;   in Loop: Header=BB253_12 Depth=1
	s_or_b32 exec_lo, exec_lo, s43
.LBB253_64:                             ;   in Loop: Header=BB253_12 Depth=1
	s_delay_alu instid0(SALU_CYCLE_1)
	s_or_b32 exec_lo, exec_lo, s42
.LBB253_65:                             ;   in Loop: Header=BB253_12 Depth=1
	s_delay_alu instid0(SALU_CYCLE_1) | instskip(SKIP_3) | instid1(VALU_DEP_2)
	s_or_b32 exec_lo, exec_lo, s41
	v_dual_mov_b32 v31, 0 :: v_dual_lshrrev_b32 v4, 16, v14
	v_mov_b32_e32 v32, 0
	s_mov_b32 s41, exec_lo
	v_and_b32_e32 v33, 0xff, v4
	s_delay_alu instid0(VALU_DEP_1)
	v_cmpx_ne_u16_e32 0, v33
	s_cbranch_execz .LBB253_73
; %bb.66:                               ;   in Loop: Header=BB253_12 Depth=1
	v_mov_b32_e32 v32, 0x8000
	s_mov_b32 s42, exec_lo
	v_cmpx_ne_u16_e32 0x80, v33
	s_cbranch_execz .LBB253_72
; %bb.67:                               ;   in Loop: Header=BB253_12 Depth=1
	v_bfe_u32 v34, v14, 16, 7
	v_mov_b32_e32 v32, 0x7c01
	s_mov_b32 s43, exec_lo
	s_delay_alu instid0(VALU_DEP_2)
	v_cmpx_ne_u32_e32 0x7f, v34
	s_cbranch_execz .LBB253_71
; %bb.68:                               ;   in Loop: Header=BB253_12 Depth=1
	v_dual_lshrrev_b32 v33, 3, v34 :: v_dual_bitop2_b32 v32, 7, v4 bitop3:0x40
	s_mov_b32 s44, exec_lo
	v_cmpx_gt_u32_e32 8, v34
; %bb.69:                               ;   in Loop: Header=BB253_12 Depth=1
	s_delay_alu instid0(VALU_DEP_2) | instskip(NEXT) | instid1(VALU_DEP_1)
	v_clz_i32_u32_e32 v32, v32
	v_min_u32_e32 v34, 32, v32
	s_delay_alu instid0(VALU_DEP_1) | instskip(NEXT) | instid1(VALU_DEP_1)
	v_subrev_nc_u32_e32 v32, 28, v34
	v_lshlrev_b64_e32 v[32:33], v32, v[4:5]
	s_delay_alu instid0(VALU_DEP_1)
	v_dual_sub_nc_u32 v33, 29, v34 :: v_dual_bitop2_b32 v32, 7, v32 bitop3:0x40
; %bb.70:                               ;   in Loop: Header=BB253_12 Depth=1
	s_or_b32 exec_lo, exec_lo, s44
	v_lshlrev_b32_e32 v4, 8, v4
	s_delay_alu instid0(VALU_DEP_2) | instskip(NEXT) | instid1(VALU_DEP_3)
	v_lshl_add_u32 v33, v33, 10, 0x2000
	v_lshlrev_b32_e32 v32, 7, v32
	s_delay_alu instid0(VALU_DEP_3) | instskip(NEXT) | instid1(VALU_DEP_3)
	v_and_b32_e32 v4, 0x8000, v4
	v_and_b32_e32 v33, 0xfc00, v33
	s_delay_alu instid0(VALU_DEP_1)
	v_or3_b32 v32, v4, v33, v32
.LBB253_71:                             ;   in Loop: Header=BB253_12 Depth=1
	s_or_b32 exec_lo, exec_lo, s43
.LBB253_72:                             ;   in Loop: Header=BB253_12 Depth=1
	s_delay_alu instid0(SALU_CYCLE_1)
	s_or_b32 exec_lo, exec_lo, s42
.LBB253_73:                             ;   in Loop: Header=BB253_12 Depth=1
	s_delay_alu instid0(SALU_CYCLE_1) | instskip(NEXT) | instid1(SALU_CYCLE_1)
	s_or_b32 exec_lo, exec_lo, s41
	s_mov_b32 s41, exec_lo
	v_cmpx_lt_u32_e32 0xffffff, v14
	s_cbranch_execz .LBB253_81
; %bb.74:                               ;   in Loop: Header=BB253_12 Depth=1
	v_lshrrev_b32_e32 v4, 24, v14
	v_bfrev_b32_e32 v31, 1
	s_mov_b32 s42, exec_lo
	s_delay_alu instid0(VALU_DEP_2)
	v_cmpx_ne_u32_e32 0x80, v4
	s_cbranch_execz .LBB253_80
; %bb.75:                               ;   in Loop: Header=BB253_12 Depth=1
	v_and_b32_e32 v33, 0x7f, v4
	v_mov_b32_e32 v31, 0x7c010000
	s_mov_b32 s43, exec_lo
	s_delay_alu instid0(VALU_DEP_2)
	v_cmpx_ne_u32_e32 0x7f, v33
	s_cbranch_execz .LBB253_79
; %bb.76:                               ;   in Loop: Header=BB253_12 Depth=1
	v_dual_lshrrev_b32 v31, 3, v33 :: v_dual_bitop2_b32 v14, 7, v4 bitop3:0x40
	s_mov_b32 s44, exec_lo
	v_cmpx_gt_u32_e32 8, v33
; %bb.77:                               ;   in Loop: Header=BB253_12 Depth=1
	s_delay_alu instid0(VALU_DEP_2) | instskip(NEXT) | instid1(VALU_DEP_1)
	v_clz_i32_u32_e32 v14, v14
	v_min_u32_e32 v14, 32, v14
	s_delay_alu instid0(VALU_DEP_1) | instskip(NEXT) | instid1(VALU_DEP_1)
	v_subrev_nc_u32_e32 v31, 28, v14
	v_lshlrev_b64_e32 v[34:35], v31, v[4:5]
	v_sub_nc_u32_e32 v31, 29, v14
	s_delay_alu instid0(VALU_DEP_2)
	v_and_b32_e32 v14, 7, v34
; %bb.78:                               ;   in Loop: Header=BB253_12 Depth=1
	s_or_b32 exec_lo, exec_lo, s44
	s_delay_alu instid0(VALU_DEP_1) | instskip(NEXT) | instid1(VALU_DEP_3)
	v_dual_lshlrev_b32 v4, 8, v4 :: v_dual_lshlrev_b32 v14, 23, v14
	v_lshl_add_u32 v31, v31, 10, 0x2000
	s_delay_alu instid0(VALU_DEP_1) | instskip(NEXT) | instid1(VALU_DEP_1)
	v_and_or_b32 v4, 0x8000, v4, v31
	v_lshl_or_b32 v31, v4, 16, v14
.LBB253_79:                             ;   in Loop: Header=BB253_12 Depth=1
	s_or_b32 exec_lo, exec_lo, s43
.LBB253_80:                             ;   in Loop: Header=BB253_12 Depth=1
	s_delay_alu instid0(SALU_CYCLE_1)
	s_or_b32 exec_lo, exec_lo, s42
.LBB253_81:                             ;   in Loop: Header=BB253_12 Depth=1
	s_delay_alu instid0(SALU_CYCLE_1)
	s_or_b32 exec_lo, exec_lo, s41
	global_load_b32 v14, v[12:13], off offset:256
	v_dual_mov_b32 v33, 0 :: v_dual_mov_b32 v34, 0
	s_mov_b32 s41, exec_lo
	s_wait_loadcnt 0x0
	v_and_b32_e32 v4, 0xff, v14
	s_delay_alu instid0(VALU_DEP_1)
	v_cmpx_ne_u16_e32 0, v4
	s_cbranch_execz .LBB253_89
; %bb.82:                               ;   in Loop: Header=BB253_12 Depth=1
	v_mov_b32_e32 v34, 0x8000
	s_mov_b32 s42, exec_lo
	v_cmpx_ne_u16_e32 0x80, v4
	s_cbranch_execz .LBB253_88
; %bb.83:                               ;   in Loop: Header=BB253_12 Depth=1
	v_and_b32_e32 v35, 0x7f, v14
	v_mov_b32_e32 v34, 0x7c01
	s_mov_b32 s43, exec_lo
	s_delay_alu instid0(VALU_DEP_2)
	v_cmpx_ne_u32_e32 0x7f, v35
	s_cbranch_execz .LBB253_87
; %bb.84:                               ;   in Loop: Header=BB253_12 Depth=1
	v_dual_lshrrev_b32 v34, 3, v35 :: v_dual_bitop2_b32 v4, 7, v14 bitop3:0x40
	s_mov_b32 s44, exec_lo
	v_cmpx_gt_u32_e32 8, v35
; %bb.85:                               ;   in Loop: Header=BB253_12 Depth=1
	s_delay_alu instid0(VALU_DEP_2) | instskip(NEXT) | instid1(VALU_DEP_1)
	v_clz_i32_u32_e32 v4, v4
	v_min_u32_e32 v4, 32, v4
	s_delay_alu instid0(VALU_DEP_1) | instskip(NEXT) | instid1(VALU_DEP_1)
	v_subrev_nc_u32_e32 v34, 28, v4
	v_lshlrev_b64_e32 v[36:37], v34, v[14:15]
	v_sub_nc_u32_e32 v34, 29, v4
	s_delay_alu instid0(VALU_DEP_2)
	v_and_b32_e32 v4, 7, v36
; %bb.86:                               ;   in Loop: Header=BB253_12 Depth=1
	s_or_b32 exec_lo, exec_lo, s44
	s_delay_alu instid0(VALU_DEP_1) | instskip(NEXT) | instid1(VALU_DEP_3)
	v_dual_lshlrev_b32 v35, 8, v14 :: v_dual_lshlrev_b32 v4, 7, v4
	v_lshl_add_u32 v34, v34, 10, 0x2000
	s_delay_alu instid0(VALU_DEP_2) | instskip(NEXT) | instid1(VALU_DEP_2)
	v_and_b32_e32 v35, 0x8000, v35
	v_and_b32_e32 v34, 0xfc00, v34
	s_delay_alu instid0(VALU_DEP_1)
	v_or3_b32 v34, v35, v34, v4
.LBB253_87:                             ;   in Loop: Header=BB253_12 Depth=1
	s_or_b32 exec_lo, exec_lo, s43
.LBB253_88:                             ;   in Loop: Header=BB253_12 Depth=1
	s_delay_alu instid0(SALU_CYCLE_1)
	s_or_b32 exec_lo, exec_lo, s42
.LBB253_89:                             ;   in Loop: Header=BB253_12 Depth=1
	s_delay_alu instid0(SALU_CYCLE_1) | instskip(SKIP_2) | instid1(VALU_DEP_1)
	s_or_b32 exec_lo, exec_lo, s41
	v_lshrrev_b16 v4, 8, v14
	s_mov_b32 s41, exec_lo
	v_cmpx_ne_u16_e32 0, v4
	s_cbranch_execz .LBB253_97
; %bb.90:                               ;   in Loop: Header=BB253_12 Depth=1
	v_bfrev_b32_e32 v33, 1
	s_mov_b32 s42, exec_lo
	v_cmpx_ne_u16_e32 0x80, v4
	s_cbranch_execz .LBB253_96
; %bb.91:                               ;   in Loop: Header=BB253_12 Depth=1
	v_and_b32_e32 v35, 0xffff, v4
	v_mov_b32_e32 v33, 0x7c010000
	s_mov_b32 s43, exec_lo
	s_delay_alu instid0(VALU_DEP_2) | instskip(NEXT) | instid1(VALU_DEP_1)
	v_and_b32_e32 v37, 0x7f, v35
	v_cmpx_ne_u32_e32 0x7f, v37
	s_cbranch_execz .LBB253_95
; %bb.92:                               ;   in Loop: Header=BB253_12 Depth=1
	v_dual_lshrrev_b32 v36, 3, v37 :: v_dual_bitop2_b32 v33, 7, v35 bitop3:0x40
	s_mov_b32 s44, exec_lo
	v_cmpx_gt_u32_e32 8, v37
; %bb.93:                               ;   in Loop: Header=BB253_12 Depth=1
	s_delay_alu instid0(VALU_DEP_2) | instskip(NEXT) | instid1(VALU_DEP_1)
	v_clz_i32_u32_e32 v33, v33
	v_min_u32_e32 v33, 32, v33
	s_delay_alu instid0(VALU_DEP_1) | instskip(NEXT) | instid1(VALU_DEP_1)
	v_subrev_nc_u32_e32 v36, 28, v33
	v_lshlrev_b64_e32 v[38:39], v36, v[4:5]
	s_delay_alu instid0(VALU_DEP_1)
	v_dual_sub_nc_u32 v36, 29, v33 :: v_dual_bitop2_b32 v33, 7, v38 bitop3:0x40
; %bb.94:                               ;   in Loop: Header=BB253_12 Depth=1
	s_or_b32 exec_lo, exec_lo, s44
	s_delay_alu instid0(VALU_DEP_1) | instskip(NEXT) | instid1(VALU_DEP_2)
	v_dual_lshlrev_b32 v4, 8, v35 :: v_dual_lshlrev_b32 v33, 23, v33
	v_lshl_add_u32 v35, v36, 10, 0x2000
	s_delay_alu instid0(VALU_DEP_1) | instskip(NEXT) | instid1(VALU_DEP_1)
	v_and_or_b32 v4, 0x8000, v4, v35
	v_lshl_or_b32 v33, v4, 16, v33
.LBB253_95:                             ;   in Loop: Header=BB253_12 Depth=1
	s_or_b32 exec_lo, exec_lo, s43
.LBB253_96:                             ;   in Loop: Header=BB253_12 Depth=1
	s_delay_alu instid0(SALU_CYCLE_1)
	s_or_b32 exec_lo, exec_lo, s42
.LBB253_97:                             ;   in Loop: Header=BB253_12 Depth=1
	s_delay_alu instid0(SALU_CYCLE_1) | instskip(SKIP_3) | instid1(VALU_DEP_2)
	s_or_b32 exec_lo, exec_lo, s41
	v_dual_mov_b32 v35, 0 :: v_dual_lshrrev_b32 v4, 16, v14
	v_mov_b32_e32 v36, 0
	s_mov_b32 s41, exec_lo
	v_and_b32_e32 v37, 0xff, v4
	s_delay_alu instid0(VALU_DEP_1)
	v_cmpx_ne_u16_e32 0, v37
	s_cbranch_execz .LBB253_105
; %bb.98:                               ;   in Loop: Header=BB253_12 Depth=1
	v_mov_b32_e32 v36, 0x8000
	s_mov_b32 s42, exec_lo
	v_cmpx_ne_u16_e32 0x80, v37
	s_cbranch_execz .LBB253_104
; %bb.99:                               ;   in Loop: Header=BB253_12 Depth=1
	v_bfe_u32 v38, v14, 16, 7
	v_mov_b32_e32 v36, 0x7c01
	s_mov_b32 s43, exec_lo
	s_delay_alu instid0(VALU_DEP_2)
	v_cmpx_ne_u32_e32 0x7f, v38
	s_cbranch_execz .LBB253_103
; %bb.100:                              ;   in Loop: Header=BB253_12 Depth=1
	v_dual_lshrrev_b32 v37, 3, v38 :: v_dual_bitop2_b32 v36, 7, v4 bitop3:0x40
	s_mov_b32 s44, exec_lo
	v_cmpx_gt_u32_e32 8, v38
; %bb.101:                              ;   in Loop: Header=BB253_12 Depth=1
	s_delay_alu instid0(VALU_DEP_2) | instskip(NEXT) | instid1(VALU_DEP_1)
	v_clz_i32_u32_e32 v36, v36
	v_min_u32_e32 v38, 32, v36
	s_delay_alu instid0(VALU_DEP_1) | instskip(NEXT) | instid1(VALU_DEP_1)
	v_subrev_nc_u32_e32 v36, 28, v38
	v_lshlrev_b64_e32 v[36:37], v36, v[4:5]
	s_delay_alu instid0(VALU_DEP_1)
	v_dual_sub_nc_u32 v37, 29, v38 :: v_dual_bitop2_b32 v36, 7, v36 bitop3:0x40
; %bb.102:                              ;   in Loop: Header=BB253_12 Depth=1
	s_or_b32 exec_lo, exec_lo, s44
	v_lshlrev_b32_e32 v4, 8, v4
	s_delay_alu instid0(VALU_DEP_2) | instskip(NEXT) | instid1(VALU_DEP_3)
	v_lshl_add_u32 v37, v37, 10, 0x2000
	v_lshlrev_b32_e32 v36, 7, v36
	s_delay_alu instid0(VALU_DEP_3) | instskip(NEXT) | instid1(VALU_DEP_3)
	v_and_b32_e32 v4, 0x8000, v4
	v_and_b32_e32 v37, 0xfc00, v37
	s_delay_alu instid0(VALU_DEP_1)
	v_or3_b32 v36, v4, v37, v36
.LBB253_103:                            ;   in Loop: Header=BB253_12 Depth=1
	s_or_b32 exec_lo, exec_lo, s43
.LBB253_104:                            ;   in Loop: Header=BB253_12 Depth=1
	s_delay_alu instid0(SALU_CYCLE_1)
	s_or_b32 exec_lo, exec_lo, s42
.LBB253_105:                            ;   in Loop: Header=BB253_12 Depth=1
	s_delay_alu instid0(SALU_CYCLE_1) | instskip(NEXT) | instid1(SALU_CYCLE_1)
	s_or_b32 exec_lo, exec_lo, s41
	s_mov_b32 s41, exec_lo
	v_cmpx_lt_u32_e32 0xffffff, v14
	s_cbranch_execz .LBB253_113
; %bb.106:                              ;   in Loop: Header=BB253_12 Depth=1
	v_lshrrev_b32_e32 v4, 24, v14
	v_bfrev_b32_e32 v35, 1
	s_mov_b32 s42, exec_lo
	s_delay_alu instid0(VALU_DEP_2)
	v_cmpx_ne_u32_e32 0x80, v4
	s_cbranch_execz .LBB253_112
; %bb.107:                              ;   in Loop: Header=BB253_12 Depth=1
	v_and_b32_e32 v37, 0x7f, v4
	v_mov_b32_e32 v35, 0x7c010000
	s_mov_b32 s43, exec_lo
	s_delay_alu instid0(VALU_DEP_2)
	v_cmpx_ne_u32_e32 0x7f, v37
	s_cbranch_execz .LBB253_111
; %bb.108:                              ;   in Loop: Header=BB253_12 Depth=1
	v_dual_lshrrev_b32 v35, 3, v37 :: v_dual_bitop2_b32 v14, 7, v4 bitop3:0x40
	s_mov_b32 s44, exec_lo
	v_cmpx_gt_u32_e32 8, v37
; %bb.109:                              ;   in Loop: Header=BB253_12 Depth=1
	s_delay_alu instid0(VALU_DEP_2) | instskip(NEXT) | instid1(VALU_DEP_1)
	v_clz_i32_u32_e32 v14, v14
	v_min_u32_e32 v14, 32, v14
	s_delay_alu instid0(VALU_DEP_1) | instskip(NEXT) | instid1(VALU_DEP_1)
	v_subrev_nc_u32_e32 v35, 28, v14
	v_lshlrev_b64_e32 v[38:39], v35, v[4:5]
	v_sub_nc_u32_e32 v35, 29, v14
	s_delay_alu instid0(VALU_DEP_2)
	v_and_b32_e32 v14, 7, v38
; %bb.110:                              ;   in Loop: Header=BB253_12 Depth=1
	s_or_b32 exec_lo, exec_lo, s44
	s_delay_alu instid0(VALU_DEP_1) | instskip(NEXT) | instid1(VALU_DEP_3)
	v_dual_lshlrev_b32 v4, 8, v4 :: v_dual_lshlrev_b32 v14, 23, v14
	v_lshl_add_u32 v35, v35, 10, 0x2000
	s_delay_alu instid0(VALU_DEP_1) | instskip(NEXT) | instid1(VALU_DEP_1)
	v_and_or_b32 v4, 0x8000, v4, v35
	v_lshl_or_b32 v35, v4, 16, v14
.LBB253_111:                            ;   in Loop: Header=BB253_12 Depth=1
	s_or_b32 exec_lo, exec_lo, s43
.LBB253_112:                            ;   in Loop: Header=BB253_12 Depth=1
	s_delay_alu instid0(SALU_CYCLE_1)
	s_or_b32 exec_lo, exec_lo, s42
.LBB253_113:                            ;   in Loop: Header=BB253_12 Depth=1
	s_delay_alu instid0(SALU_CYCLE_1)
	s_or_b32 exec_lo, exec_lo, s41
	global_load_b32 v14, v[12:13], off offset:264
	v_dual_mov_b32 v37, 0 :: v_dual_mov_b32 v38, 0
	s_mov_b32 s41, exec_lo
	s_wait_loadcnt 0x0
	v_and_b32_e32 v4, 0xff, v14
	s_delay_alu instid0(VALU_DEP_1)
	v_cmpx_ne_u16_e32 0, v4
	s_cbranch_execz .LBB253_121
; %bb.114:                              ;   in Loop: Header=BB253_12 Depth=1
	v_mov_b32_e32 v38, 0x8000
	s_mov_b32 s42, exec_lo
	v_cmpx_ne_u16_e32 0x80, v4
	s_cbranch_execz .LBB253_120
; %bb.115:                              ;   in Loop: Header=BB253_12 Depth=1
	v_and_b32_e32 v39, 0x7f, v14
	v_mov_b32_e32 v38, 0x7c01
	s_mov_b32 s43, exec_lo
	s_delay_alu instid0(VALU_DEP_2)
	v_cmpx_ne_u32_e32 0x7f, v39
	s_cbranch_execz .LBB253_119
; %bb.116:                              ;   in Loop: Header=BB253_12 Depth=1
	v_dual_lshrrev_b32 v38, 3, v39 :: v_dual_bitop2_b32 v4, 7, v14 bitop3:0x40
	s_mov_b32 s44, exec_lo
	v_cmpx_gt_u32_e32 8, v39
; %bb.117:                              ;   in Loop: Header=BB253_12 Depth=1
	s_delay_alu instid0(VALU_DEP_2) | instskip(NEXT) | instid1(VALU_DEP_1)
	v_clz_i32_u32_e32 v4, v4
	v_min_u32_e32 v4, 32, v4
	s_delay_alu instid0(VALU_DEP_1) | instskip(NEXT) | instid1(VALU_DEP_1)
	v_subrev_nc_u32_e32 v38, 28, v4
	v_lshlrev_b64_e32 v[40:41], v38, v[14:15]
	v_sub_nc_u32_e32 v38, 29, v4
	s_delay_alu instid0(VALU_DEP_2)
	v_and_b32_e32 v4, 7, v40
; %bb.118:                              ;   in Loop: Header=BB253_12 Depth=1
	s_or_b32 exec_lo, exec_lo, s44
	s_delay_alu instid0(VALU_DEP_1) | instskip(NEXT) | instid1(VALU_DEP_3)
	v_dual_lshlrev_b32 v39, 8, v14 :: v_dual_lshlrev_b32 v4, 7, v4
	v_lshl_add_u32 v38, v38, 10, 0x2000
	s_delay_alu instid0(VALU_DEP_2) | instskip(NEXT) | instid1(VALU_DEP_2)
	v_and_b32_e32 v39, 0x8000, v39
	v_and_b32_e32 v38, 0xfc00, v38
	s_delay_alu instid0(VALU_DEP_1)
	v_or3_b32 v38, v39, v38, v4
.LBB253_119:                            ;   in Loop: Header=BB253_12 Depth=1
	s_or_b32 exec_lo, exec_lo, s43
.LBB253_120:                            ;   in Loop: Header=BB253_12 Depth=1
	s_delay_alu instid0(SALU_CYCLE_1)
	s_or_b32 exec_lo, exec_lo, s42
.LBB253_121:                            ;   in Loop: Header=BB253_12 Depth=1
	s_delay_alu instid0(SALU_CYCLE_1) | instskip(SKIP_2) | instid1(VALU_DEP_1)
	s_or_b32 exec_lo, exec_lo, s41
	v_lshrrev_b16 v4, 8, v14
	s_mov_b32 s41, exec_lo
	v_cmpx_ne_u16_e32 0, v4
	s_cbranch_execz .LBB253_129
; %bb.122:                              ;   in Loop: Header=BB253_12 Depth=1
	v_bfrev_b32_e32 v37, 1
	s_mov_b32 s42, exec_lo
	v_cmpx_ne_u16_e32 0x80, v4
	s_cbranch_execz .LBB253_128
; %bb.123:                              ;   in Loop: Header=BB253_12 Depth=1
	v_and_b32_e32 v39, 0xffff, v4
	v_mov_b32_e32 v37, 0x7c010000
	s_mov_b32 s43, exec_lo
	s_delay_alu instid0(VALU_DEP_2) | instskip(NEXT) | instid1(VALU_DEP_1)
	v_and_b32_e32 v41, 0x7f, v39
	v_cmpx_ne_u32_e32 0x7f, v41
	s_cbranch_execz .LBB253_127
; %bb.124:                              ;   in Loop: Header=BB253_12 Depth=1
	v_dual_lshrrev_b32 v40, 3, v41 :: v_dual_bitop2_b32 v37, 7, v39 bitop3:0x40
	s_mov_b32 s44, exec_lo
	v_cmpx_gt_u32_e32 8, v41
; %bb.125:                              ;   in Loop: Header=BB253_12 Depth=1
	s_delay_alu instid0(VALU_DEP_2) | instskip(NEXT) | instid1(VALU_DEP_1)
	v_clz_i32_u32_e32 v37, v37
	v_min_u32_e32 v37, 32, v37
	s_delay_alu instid0(VALU_DEP_1) | instskip(NEXT) | instid1(VALU_DEP_1)
	v_subrev_nc_u32_e32 v40, 28, v37
	v_lshlrev_b64_e32 v[42:43], v40, v[4:5]
	s_delay_alu instid0(VALU_DEP_1)
	v_dual_sub_nc_u32 v40, 29, v37 :: v_dual_bitop2_b32 v37, 7, v42 bitop3:0x40
; %bb.126:                              ;   in Loop: Header=BB253_12 Depth=1
	s_or_b32 exec_lo, exec_lo, s44
	s_delay_alu instid0(VALU_DEP_1) | instskip(NEXT) | instid1(VALU_DEP_2)
	v_dual_lshlrev_b32 v4, 8, v39 :: v_dual_lshlrev_b32 v37, 23, v37
	v_lshl_add_u32 v39, v40, 10, 0x2000
	s_delay_alu instid0(VALU_DEP_1) | instskip(NEXT) | instid1(VALU_DEP_1)
	v_and_or_b32 v4, 0x8000, v4, v39
	v_lshl_or_b32 v37, v4, 16, v37
.LBB253_127:                            ;   in Loop: Header=BB253_12 Depth=1
	s_or_b32 exec_lo, exec_lo, s43
.LBB253_128:                            ;   in Loop: Header=BB253_12 Depth=1
	s_delay_alu instid0(SALU_CYCLE_1)
	s_or_b32 exec_lo, exec_lo, s42
.LBB253_129:                            ;   in Loop: Header=BB253_12 Depth=1
	s_delay_alu instid0(SALU_CYCLE_1) | instskip(SKIP_3) | instid1(VALU_DEP_2)
	s_or_b32 exec_lo, exec_lo, s41
	v_dual_mov_b32 v39, 0 :: v_dual_lshrrev_b32 v4, 16, v14
	v_mov_b32_e32 v40, 0
	s_mov_b32 s41, exec_lo
	v_and_b32_e32 v41, 0xff, v4
	s_delay_alu instid0(VALU_DEP_1)
	v_cmpx_ne_u16_e32 0, v41
	s_cbranch_execz .LBB253_137
; %bb.130:                              ;   in Loop: Header=BB253_12 Depth=1
	v_mov_b32_e32 v40, 0x8000
	s_mov_b32 s42, exec_lo
	v_cmpx_ne_u16_e32 0x80, v41
	s_cbranch_execz .LBB253_136
; %bb.131:                              ;   in Loop: Header=BB253_12 Depth=1
	v_bfe_u32 v42, v14, 16, 7
	v_mov_b32_e32 v40, 0x7c01
	s_mov_b32 s43, exec_lo
	s_delay_alu instid0(VALU_DEP_2)
	v_cmpx_ne_u32_e32 0x7f, v42
	s_cbranch_execz .LBB253_135
; %bb.132:                              ;   in Loop: Header=BB253_12 Depth=1
	v_dual_lshrrev_b32 v41, 3, v42 :: v_dual_bitop2_b32 v40, 7, v4 bitop3:0x40
	s_mov_b32 s44, exec_lo
	v_cmpx_gt_u32_e32 8, v42
; %bb.133:                              ;   in Loop: Header=BB253_12 Depth=1
	s_delay_alu instid0(VALU_DEP_2) | instskip(NEXT) | instid1(VALU_DEP_1)
	v_clz_i32_u32_e32 v40, v40
	v_min_u32_e32 v42, 32, v40
	s_delay_alu instid0(VALU_DEP_1) | instskip(NEXT) | instid1(VALU_DEP_1)
	v_subrev_nc_u32_e32 v40, 28, v42
	v_lshlrev_b64_e32 v[40:41], v40, v[4:5]
	s_delay_alu instid0(VALU_DEP_1)
	v_dual_sub_nc_u32 v41, 29, v42 :: v_dual_bitop2_b32 v40, 7, v40 bitop3:0x40
; %bb.134:                              ;   in Loop: Header=BB253_12 Depth=1
	s_or_b32 exec_lo, exec_lo, s44
	v_lshlrev_b32_e32 v4, 8, v4
	s_delay_alu instid0(VALU_DEP_2) | instskip(NEXT) | instid1(VALU_DEP_3)
	v_lshl_add_u32 v41, v41, 10, 0x2000
	v_lshlrev_b32_e32 v40, 7, v40
	s_delay_alu instid0(VALU_DEP_3) | instskip(NEXT) | instid1(VALU_DEP_3)
	v_and_b32_e32 v4, 0x8000, v4
	v_and_b32_e32 v41, 0xfc00, v41
	s_delay_alu instid0(VALU_DEP_1)
	v_or3_b32 v40, v4, v41, v40
.LBB253_135:                            ;   in Loop: Header=BB253_12 Depth=1
	s_or_b32 exec_lo, exec_lo, s43
.LBB253_136:                            ;   in Loop: Header=BB253_12 Depth=1
	s_delay_alu instid0(SALU_CYCLE_1)
	s_or_b32 exec_lo, exec_lo, s42
.LBB253_137:                            ;   in Loop: Header=BB253_12 Depth=1
	s_delay_alu instid0(SALU_CYCLE_1) | instskip(NEXT) | instid1(SALU_CYCLE_1)
	s_or_b32 exec_lo, exec_lo, s41
	s_mov_b32 s41, exec_lo
	v_cmpx_lt_u32_e32 0xffffff, v14
	s_cbranch_execz .LBB253_145
; %bb.138:                              ;   in Loop: Header=BB253_12 Depth=1
	v_lshrrev_b32_e32 v4, 24, v14
	v_bfrev_b32_e32 v39, 1
	s_mov_b32 s42, exec_lo
	s_delay_alu instid0(VALU_DEP_2)
	v_cmpx_ne_u32_e32 0x80, v4
	s_cbranch_execz .LBB253_144
; %bb.139:                              ;   in Loop: Header=BB253_12 Depth=1
	v_and_b32_e32 v41, 0x7f, v4
	v_mov_b32_e32 v39, 0x7c010000
	s_mov_b32 s43, exec_lo
	s_delay_alu instid0(VALU_DEP_2)
	v_cmpx_ne_u32_e32 0x7f, v41
	s_cbranch_execz .LBB253_143
; %bb.140:                              ;   in Loop: Header=BB253_12 Depth=1
	v_dual_lshrrev_b32 v39, 3, v41 :: v_dual_bitop2_b32 v14, 7, v4 bitop3:0x40
	s_mov_b32 s44, exec_lo
	v_cmpx_gt_u32_e32 8, v41
; %bb.141:                              ;   in Loop: Header=BB253_12 Depth=1
	s_delay_alu instid0(VALU_DEP_2) | instskip(NEXT) | instid1(VALU_DEP_1)
	v_clz_i32_u32_e32 v14, v14
	v_min_u32_e32 v14, 32, v14
	s_delay_alu instid0(VALU_DEP_1) | instskip(NEXT) | instid1(VALU_DEP_1)
	v_subrev_nc_u32_e32 v39, 28, v14
	v_lshlrev_b64_e32 v[42:43], v39, v[4:5]
	v_sub_nc_u32_e32 v39, 29, v14
	s_delay_alu instid0(VALU_DEP_2)
	v_and_b32_e32 v14, 7, v42
; %bb.142:                              ;   in Loop: Header=BB253_12 Depth=1
	s_or_b32 exec_lo, exec_lo, s44
	s_delay_alu instid0(VALU_DEP_1) | instskip(NEXT) | instid1(VALU_DEP_3)
	v_dual_lshlrev_b32 v4, 8, v4 :: v_dual_lshlrev_b32 v14, 23, v14
	v_lshl_add_u32 v39, v39, 10, 0x2000
	s_delay_alu instid0(VALU_DEP_1) | instskip(NEXT) | instid1(VALU_DEP_1)
	v_and_or_b32 v4, 0x8000, v4, v39
	v_lshl_or_b32 v39, v4, 16, v14
.LBB253_143:                            ;   in Loop: Header=BB253_12 Depth=1
	s_or_b32 exec_lo, exec_lo, s43
.LBB253_144:                            ;   in Loop: Header=BB253_12 Depth=1
	s_delay_alu instid0(SALU_CYCLE_1)
	s_or_b32 exec_lo, exec_lo, s42
.LBB253_145:                            ;   in Loop: Header=BB253_12 Depth=1
	s_delay_alu instid0(SALU_CYCLE_1)
	s_or_b32 exec_lo, exec_lo, s41
	global_load_b32 v14, v[12:13], off offset:512
	v_dual_mov_b32 v41, 0 :: v_dual_mov_b32 v42, 0
	s_mov_b32 s41, exec_lo
	s_wait_loadcnt 0x0
	v_and_b32_e32 v4, 0xff, v14
	s_delay_alu instid0(VALU_DEP_1)
	v_cmpx_ne_u16_e32 0, v4
	s_cbranch_execz .LBB253_153
; %bb.146:                              ;   in Loop: Header=BB253_12 Depth=1
	v_mov_b32_e32 v42, 0x8000
	s_mov_b32 s42, exec_lo
	v_cmpx_ne_u16_e32 0x80, v4
	s_cbranch_execz .LBB253_152
; %bb.147:                              ;   in Loop: Header=BB253_12 Depth=1
	v_and_b32_e32 v43, 0x7f, v14
	v_mov_b32_e32 v42, 0x7c01
	s_mov_b32 s43, exec_lo
	s_delay_alu instid0(VALU_DEP_2)
	v_cmpx_ne_u32_e32 0x7f, v43
	s_cbranch_execz .LBB253_151
; %bb.148:                              ;   in Loop: Header=BB253_12 Depth=1
	v_dual_lshrrev_b32 v42, 3, v43 :: v_dual_bitop2_b32 v4, 7, v14 bitop3:0x40
	s_mov_b32 s44, exec_lo
	v_cmpx_gt_u32_e32 8, v43
; %bb.149:                              ;   in Loop: Header=BB253_12 Depth=1
	s_delay_alu instid0(VALU_DEP_2) | instskip(NEXT) | instid1(VALU_DEP_1)
	v_clz_i32_u32_e32 v4, v4
	v_min_u32_e32 v4, 32, v4
	s_delay_alu instid0(VALU_DEP_1) | instskip(NEXT) | instid1(VALU_DEP_1)
	v_subrev_nc_u32_e32 v42, 28, v4
	v_lshlrev_b64_e32 v[44:45], v42, v[14:15]
	v_sub_nc_u32_e32 v42, 29, v4
	s_delay_alu instid0(VALU_DEP_2)
	v_and_b32_e32 v4, 7, v44
; %bb.150:                              ;   in Loop: Header=BB253_12 Depth=1
	s_or_b32 exec_lo, exec_lo, s44
	s_delay_alu instid0(VALU_DEP_1) | instskip(NEXT) | instid1(VALU_DEP_3)
	v_dual_lshlrev_b32 v43, 8, v14 :: v_dual_lshlrev_b32 v4, 7, v4
	v_lshl_add_u32 v42, v42, 10, 0x2000
	s_delay_alu instid0(VALU_DEP_2) | instskip(NEXT) | instid1(VALU_DEP_2)
	v_and_b32_e32 v43, 0x8000, v43
	v_and_b32_e32 v42, 0xfc00, v42
	s_delay_alu instid0(VALU_DEP_1)
	v_or3_b32 v42, v43, v42, v4
.LBB253_151:                            ;   in Loop: Header=BB253_12 Depth=1
	s_or_b32 exec_lo, exec_lo, s43
.LBB253_152:                            ;   in Loop: Header=BB253_12 Depth=1
	s_delay_alu instid0(SALU_CYCLE_1)
	s_or_b32 exec_lo, exec_lo, s42
.LBB253_153:                            ;   in Loop: Header=BB253_12 Depth=1
	s_delay_alu instid0(SALU_CYCLE_1) | instskip(SKIP_2) | instid1(VALU_DEP_1)
	s_or_b32 exec_lo, exec_lo, s41
	v_lshrrev_b16 v4, 8, v14
	s_mov_b32 s41, exec_lo
	v_cmpx_ne_u16_e32 0, v4
	s_cbranch_execz .LBB253_161
; %bb.154:                              ;   in Loop: Header=BB253_12 Depth=1
	v_bfrev_b32_e32 v41, 1
	s_mov_b32 s42, exec_lo
	v_cmpx_ne_u16_e32 0x80, v4
	s_cbranch_execz .LBB253_160
; %bb.155:                              ;   in Loop: Header=BB253_12 Depth=1
	v_and_b32_e32 v43, 0xffff, v4
	v_mov_b32_e32 v41, 0x7c010000
	s_mov_b32 s43, exec_lo
	s_delay_alu instid0(VALU_DEP_2) | instskip(NEXT) | instid1(VALU_DEP_1)
	v_and_b32_e32 v45, 0x7f, v43
	v_cmpx_ne_u32_e32 0x7f, v45
	s_cbranch_execz .LBB253_159
; %bb.156:                              ;   in Loop: Header=BB253_12 Depth=1
	v_dual_lshrrev_b32 v44, 3, v45 :: v_dual_bitop2_b32 v41, 7, v43 bitop3:0x40
	s_mov_b32 s44, exec_lo
	v_cmpx_gt_u32_e32 8, v45
; %bb.157:                              ;   in Loop: Header=BB253_12 Depth=1
	s_delay_alu instid0(VALU_DEP_2) | instskip(NEXT) | instid1(VALU_DEP_1)
	v_clz_i32_u32_e32 v41, v41
	v_min_u32_e32 v41, 32, v41
	s_delay_alu instid0(VALU_DEP_1) | instskip(NEXT) | instid1(VALU_DEP_1)
	v_subrev_nc_u32_e32 v44, 28, v41
	v_lshlrev_b64_e32 v[46:47], v44, v[4:5]
	s_delay_alu instid0(VALU_DEP_1)
	v_dual_sub_nc_u32 v44, 29, v41 :: v_dual_bitop2_b32 v41, 7, v46 bitop3:0x40
; %bb.158:                              ;   in Loop: Header=BB253_12 Depth=1
	s_or_b32 exec_lo, exec_lo, s44
	s_delay_alu instid0(VALU_DEP_1) | instskip(NEXT) | instid1(VALU_DEP_2)
	v_dual_lshlrev_b32 v4, 8, v43 :: v_dual_lshlrev_b32 v41, 23, v41
	v_lshl_add_u32 v43, v44, 10, 0x2000
	s_delay_alu instid0(VALU_DEP_1) | instskip(NEXT) | instid1(VALU_DEP_1)
	v_and_or_b32 v4, 0x8000, v4, v43
	v_lshl_or_b32 v41, v4, 16, v41
.LBB253_159:                            ;   in Loop: Header=BB253_12 Depth=1
	s_or_b32 exec_lo, exec_lo, s43
.LBB253_160:                            ;   in Loop: Header=BB253_12 Depth=1
	s_delay_alu instid0(SALU_CYCLE_1)
	s_or_b32 exec_lo, exec_lo, s42
.LBB253_161:                            ;   in Loop: Header=BB253_12 Depth=1
	s_delay_alu instid0(SALU_CYCLE_1) | instskip(SKIP_3) | instid1(VALU_DEP_2)
	s_or_b32 exec_lo, exec_lo, s41
	v_dual_mov_b32 v45, 0 :: v_dual_lshrrev_b32 v4, 16, v14
	v_mov_b32_e32 v46, 0
	s_mov_b32 s41, exec_lo
	v_and_b32_e32 v43, 0xff, v4
	s_delay_alu instid0(VALU_DEP_1)
	v_cmpx_ne_u16_e32 0, v43
	s_cbranch_execz .LBB253_169
; %bb.162:                              ;   in Loop: Header=BB253_12 Depth=1
	v_mov_b32_e32 v46, 0x8000
	s_mov_b32 s42, exec_lo
	v_cmpx_ne_u16_e32 0x80, v43
	s_cbranch_execz .LBB253_168
; %bb.163:                              ;   in Loop: Header=BB253_12 Depth=1
	v_bfe_u32 v47, v14, 16, 7
	v_mov_b32_e32 v46, 0x7c01
	s_mov_b32 s43, exec_lo
	s_delay_alu instid0(VALU_DEP_2)
	v_cmpx_ne_u32_e32 0x7f, v47
	s_cbranch_execz .LBB253_167
; %bb.164:                              ;   in Loop: Header=BB253_12 Depth=1
	v_dual_lshrrev_b32 v44, 3, v47 :: v_dual_bitop2_b32 v43, 7, v4 bitop3:0x40
	s_mov_b32 s44, exec_lo
	v_cmpx_gt_u32_e32 8, v47
; %bb.165:                              ;   in Loop: Header=BB253_12 Depth=1
	s_delay_alu instid0(VALU_DEP_2) | instskip(NEXT) | instid1(VALU_DEP_1)
	v_clz_i32_u32_e32 v43, v43
	v_min_u32_e32 v43, 32, v43
	s_delay_alu instid0(VALU_DEP_1) | instskip(NEXT) | instid1(VALU_DEP_1)
	v_subrev_nc_u32_e32 v44, 28, v43
	v_lshlrev_b64_e32 v[46:47], v44, v[4:5]
	s_delay_alu instid0(VALU_DEP_1)
	v_dual_sub_nc_u32 v44, 29, v43 :: v_dual_bitop2_b32 v43, 7, v46 bitop3:0x40
; %bb.166:                              ;   in Loop: Header=BB253_12 Depth=1
	s_or_b32 exec_lo, exec_lo, s44
	s_delay_alu instid0(VALU_DEP_1) | instskip(NEXT) | instid1(VALU_DEP_2)
	v_dual_lshlrev_b32 v4, 8, v4 :: v_dual_lshlrev_b32 v43, 7, v43
	v_lshl_add_u32 v44, v44, 10, 0x2000
	s_delay_alu instid0(VALU_DEP_2) | instskip(NEXT) | instid1(VALU_DEP_2)
	v_and_b32_e32 v4, 0x8000, v4
	v_and_b32_e32 v44, 0xfc00, v44
	s_delay_alu instid0(VALU_DEP_1)
	v_or3_b32 v46, v4, v44, v43
.LBB253_167:                            ;   in Loop: Header=BB253_12 Depth=1
	s_or_b32 exec_lo, exec_lo, s43
.LBB253_168:                            ;   in Loop: Header=BB253_12 Depth=1
	s_delay_alu instid0(SALU_CYCLE_1)
	s_or_b32 exec_lo, exec_lo, s42
.LBB253_169:                            ;   in Loop: Header=BB253_12 Depth=1
	s_delay_alu instid0(SALU_CYCLE_1) | instskip(NEXT) | instid1(SALU_CYCLE_1)
	s_or_b32 exec_lo, exec_lo, s41
	s_mov_b32 s41, exec_lo
	v_cmpx_lt_u32_e32 0xffffff, v14
	s_cbranch_execz .LBB253_177
; %bb.170:                              ;   in Loop: Header=BB253_12 Depth=1
	v_lshrrev_b32_e32 v4, 24, v14
	v_bfrev_b32_e32 v45, 1
	s_mov_b32 s42, exec_lo
	s_delay_alu instid0(VALU_DEP_2)
	v_cmpx_ne_u32_e32 0x80, v4
	s_cbranch_execz .LBB253_176
; %bb.171:                              ;   in Loop: Header=BB253_12 Depth=1
	v_and_b32_e32 v44, 0x7f, v4
	v_mov_b32_e32 v45, 0x7c010000
	s_mov_b32 s43, exec_lo
	s_delay_alu instid0(VALU_DEP_2)
	v_cmpx_ne_u32_e32 0x7f, v44
	s_cbranch_execz .LBB253_175
; %bb.172:                              ;   in Loop: Header=BB253_12 Depth=1
	v_and_b32_e32 v14, 7, v4
	v_lshrrev_b32_e32 v43, 3, v44
	s_mov_b32 s44, exec_lo
	v_cmpx_gt_u32_e32 8, v44
; %bb.173:                              ;   in Loop: Header=BB253_12 Depth=1
	s_delay_alu instid0(VALU_DEP_3) | instskip(NEXT) | instid1(VALU_DEP_1)
	v_clz_i32_u32_e32 v14, v14
	v_min_u32_e32 v14, 32, v14
	s_delay_alu instid0(VALU_DEP_1) | instskip(NEXT) | instid1(VALU_DEP_1)
	v_subrev_nc_u32_e32 v43, 28, v14
	v_lshlrev_b64_e32 v[44:45], v43, v[4:5]
	s_delay_alu instid0(VALU_DEP_1)
	v_dual_sub_nc_u32 v43, 29, v14 :: v_dual_bitop2_b32 v14, 7, v44 bitop3:0x40
; %bb.174:                              ;   in Loop: Header=BB253_12 Depth=1
	s_or_b32 exec_lo, exec_lo, s44
	s_delay_alu instid0(VALU_DEP_1) | instskip(NEXT) | instid1(VALU_DEP_2)
	v_dual_lshlrev_b32 v4, 8, v4 :: v_dual_lshlrev_b32 v14, 23, v14
	v_lshl_add_u32 v43, v43, 10, 0x2000
	s_delay_alu instid0(VALU_DEP_1) | instskip(NEXT) | instid1(VALU_DEP_1)
	v_and_or_b32 v4, 0x8000, v4, v43
	v_lshl_or_b32 v45, v4, 16, v14
.LBB253_175:                            ;   in Loop: Header=BB253_12 Depth=1
	s_or_b32 exec_lo, exec_lo, s43
.LBB253_176:                            ;   in Loop: Header=BB253_12 Depth=1
	s_delay_alu instid0(SALU_CYCLE_1)
	s_or_b32 exec_lo, exec_lo, s42
.LBB253_177:                            ;   in Loop: Header=BB253_12 Depth=1
	s_delay_alu instid0(SALU_CYCLE_1)
	s_or_b32 exec_lo, exec_lo, s41
	global_load_b32 v14, v[12:13], off offset:520
	v_dual_mov_b32 v43, 0 :: v_dual_mov_b32 v44, 0
	s_mov_b32 s41, exec_lo
	s_wait_loadcnt 0x0
	v_and_b32_e32 v4, 0xff, v14
	s_delay_alu instid0(VALU_DEP_1)
	v_cmpx_ne_u16_e32 0, v4
	s_cbranch_execz .LBB253_185
; %bb.178:                              ;   in Loop: Header=BB253_12 Depth=1
	v_mov_b32_e32 v44, 0x8000
	s_mov_b32 s42, exec_lo
	v_cmpx_ne_u16_e32 0x80, v4
	s_cbranch_execz .LBB253_184
; %bb.179:                              ;   in Loop: Header=BB253_12 Depth=1
	v_and_b32_e32 v47, 0x7f, v14
	v_mov_b32_e32 v44, 0x7c01
	s_mov_b32 s43, exec_lo
	s_delay_alu instid0(VALU_DEP_2)
	v_cmpx_ne_u32_e32 0x7f, v47
	s_cbranch_execz .LBB253_183
; %bb.180:                              ;   in Loop: Header=BB253_12 Depth=1
	v_dual_lshrrev_b32 v44, 3, v47 :: v_dual_bitop2_b32 v4, 7, v14 bitop3:0x40
	s_mov_b32 s44, exec_lo
	v_cmpx_gt_u32_e32 8, v47
; %bb.181:                              ;   in Loop: Header=BB253_12 Depth=1
	s_delay_alu instid0(VALU_DEP_2) | instskip(NEXT) | instid1(VALU_DEP_1)
	v_clz_i32_u32_e32 v4, v4
	v_min_u32_e32 v4, 32, v4
	s_delay_alu instid0(VALU_DEP_1) | instskip(NEXT) | instid1(VALU_DEP_1)
	v_subrev_nc_u32_e32 v44, 28, v4
	v_lshlrev_b64_e32 v[48:49], v44, v[14:15]
	v_sub_nc_u32_e32 v44, 29, v4
	s_delay_alu instid0(VALU_DEP_2)
	v_and_b32_e32 v4, 7, v48
; %bb.182:                              ;   in Loop: Header=BB253_12 Depth=1
	s_or_b32 exec_lo, exec_lo, s44
	s_delay_alu instid0(VALU_DEP_1) | instskip(NEXT) | instid1(VALU_DEP_3)
	v_dual_lshlrev_b32 v47, 8, v14 :: v_dual_lshlrev_b32 v4, 7, v4
	v_lshl_add_u32 v44, v44, 10, 0x2000
	s_delay_alu instid0(VALU_DEP_2) | instskip(NEXT) | instid1(VALU_DEP_2)
	v_and_b32_e32 v47, 0x8000, v47
	v_and_b32_e32 v44, 0xfc00, v44
	s_delay_alu instid0(VALU_DEP_1)
	v_or3_b32 v44, v47, v44, v4
.LBB253_183:                            ;   in Loop: Header=BB253_12 Depth=1
	s_or_b32 exec_lo, exec_lo, s43
.LBB253_184:                            ;   in Loop: Header=BB253_12 Depth=1
	s_delay_alu instid0(SALU_CYCLE_1)
	s_or_b32 exec_lo, exec_lo, s42
.LBB253_185:                            ;   in Loop: Header=BB253_12 Depth=1
	s_delay_alu instid0(SALU_CYCLE_1) | instskip(SKIP_2) | instid1(VALU_DEP_1)
	s_or_b32 exec_lo, exec_lo, s41
	v_lshrrev_b16 v4, 8, v14
	s_mov_b32 s41, exec_lo
	v_cmpx_ne_u16_e32 0, v4
	s_cbranch_execz .LBB253_193
; %bb.186:                              ;   in Loop: Header=BB253_12 Depth=1
	v_bfrev_b32_e32 v43, 1
	s_mov_b32 s42, exec_lo
	v_cmpx_ne_u16_e32 0x80, v4
	s_cbranch_execz .LBB253_192
; %bb.187:                              ;   in Loop: Header=BB253_12 Depth=1
	v_and_b32_e32 v47, 0xffff, v4
	v_mov_b32_e32 v43, 0x7c010000
	s_mov_b32 s43, exec_lo
	s_delay_alu instid0(VALU_DEP_2) | instskip(NEXT) | instid1(VALU_DEP_1)
	v_and_b32_e32 v49, 0x7f, v47
	v_cmpx_ne_u32_e32 0x7f, v49
	s_cbranch_execz .LBB253_191
; %bb.188:                              ;   in Loop: Header=BB253_12 Depth=1
	v_dual_lshrrev_b32 v48, 3, v49 :: v_dual_bitop2_b32 v43, 7, v47 bitop3:0x40
	s_mov_b32 s44, exec_lo
	v_cmpx_gt_u32_e32 8, v49
; %bb.189:                              ;   in Loop: Header=BB253_12 Depth=1
	s_delay_alu instid0(VALU_DEP_2) | instskip(NEXT) | instid1(VALU_DEP_1)
	v_clz_i32_u32_e32 v43, v43
	v_min_u32_e32 v43, 32, v43
	s_delay_alu instid0(VALU_DEP_1) | instskip(NEXT) | instid1(VALU_DEP_1)
	v_subrev_nc_u32_e32 v48, 28, v43
	v_lshlrev_b64_e32 v[50:51], v48, v[4:5]
	s_delay_alu instid0(VALU_DEP_1)
	v_dual_sub_nc_u32 v48, 29, v43 :: v_dual_bitop2_b32 v43, 7, v50 bitop3:0x40
; %bb.190:                              ;   in Loop: Header=BB253_12 Depth=1
	s_or_b32 exec_lo, exec_lo, s44
	v_lshlrev_b32_e32 v4, 8, v47
	s_delay_alu instid0(VALU_DEP_2) | instskip(NEXT) | instid1(VALU_DEP_3)
	v_lshl_add_u32 v47, v48, 10, 0x2000
	v_lshlrev_b32_e32 v43, 23, v43
	s_delay_alu instid0(VALU_DEP_2) | instskip(NEXT) | instid1(VALU_DEP_1)
	v_and_or_b32 v4, 0x8000, v4, v47
	v_lshl_or_b32 v43, v4, 16, v43
.LBB253_191:                            ;   in Loop: Header=BB253_12 Depth=1
	s_or_b32 exec_lo, exec_lo, s43
.LBB253_192:                            ;   in Loop: Header=BB253_12 Depth=1
	s_delay_alu instid0(SALU_CYCLE_1)
	s_or_b32 exec_lo, exec_lo, s42
.LBB253_193:                            ;   in Loop: Header=BB253_12 Depth=1
	s_delay_alu instid0(SALU_CYCLE_1) | instskip(SKIP_3) | instid1(VALU_DEP_2)
	s_or_b32 exec_lo, exec_lo, s41
	v_dual_mov_b32 v47, 0 :: v_dual_lshrrev_b32 v4, 16, v14
	v_mov_b32_e32 v48, 0
	s_mov_b32 s41, exec_lo
	v_and_b32_e32 v49, 0xff, v4
	s_delay_alu instid0(VALU_DEP_1)
	v_cmpx_ne_u16_e32 0, v49
	s_cbranch_execz .LBB253_201
; %bb.194:                              ;   in Loop: Header=BB253_12 Depth=1
	v_mov_b32_e32 v48, 0x8000
	s_mov_b32 s42, exec_lo
	v_cmpx_ne_u16_e32 0x80, v49
	s_cbranch_execz .LBB253_200
; %bb.195:                              ;   in Loop: Header=BB253_12 Depth=1
	v_bfe_u32 v50, v14, 16, 7
	v_mov_b32_e32 v48, 0x7c01
	s_mov_b32 s43, exec_lo
	s_delay_alu instid0(VALU_DEP_2)
	v_cmpx_ne_u32_e32 0x7f, v50
	s_cbranch_execz .LBB253_199
; %bb.196:                              ;   in Loop: Header=BB253_12 Depth=1
	v_dual_lshrrev_b32 v49, 3, v50 :: v_dual_bitop2_b32 v48, 7, v4 bitop3:0x40
	s_mov_b32 s44, exec_lo
	v_cmpx_gt_u32_e32 8, v50
; %bb.197:                              ;   in Loop: Header=BB253_12 Depth=1
	s_delay_alu instid0(VALU_DEP_2) | instskip(NEXT) | instid1(VALU_DEP_1)
	v_clz_i32_u32_e32 v48, v48
	v_min_u32_e32 v50, 32, v48
	s_delay_alu instid0(VALU_DEP_1) | instskip(NEXT) | instid1(VALU_DEP_1)
	v_subrev_nc_u32_e32 v48, 28, v50
	v_lshlrev_b64_e32 v[48:49], v48, v[4:5]
	s_delay_alu instid0(VALU_DEP_1)
	v_dual_sub_nc_u32 v49, 29, v50 :: v_dual_bitop2_b32 v48, 7, v48 bitop3:0x40
; %bb.198:                              ;   in Loop: Header=BB253_12 Depth=1
	s_or_b32 exec_lo, exec_lo, s44
	v_lshlrev_b32_e32 v4, 8, v4
	s_delay_alu instid0(VALU_DEP_2) | instskip(NEXT) | instid1(VALU_DEP_3)
	v_lshl_add_u32 v49, v49, 10, 0x2000
	v_lshlrev_b32_e32 v48, 7, v48
	s_delay_alu instid0(VALU_DEP_3) | instskip(NEXT) | instid1(VALU_DEP_3)
	v_and_b32_e32 v4, 0x8000, v4
	v_and_b32_e32 v49, 0xfc00, v49
	s_delay_alu instid0(VALU_DEP_1)
	v_or3_b32 v48, v4, v49, v48
.LBB253_199:                            ;   in Loop: Header=BB253_12 Depth=1
	s_or_b32 exec_lo, exec_lo, s43
.LBB253_200:                            ;   in Loop: Header=BB253_12 Depth=1
	s_delay_alu instid0(SALU_CYCLE_1)
	s_or_b32 exec_lo, exec_lo, s42
.LBB253_201:                            ;   in Loop: Header=BB253_12 Depth=1
	s_delay_alu instid0(SALU_CYCLE_1) | instskip(NEXT) | instid1(SALU_CYCLE_1)
	s_or_b32 exec_lo, exec_lo, s41
	s_mov_b32 s41, exec_lo
	v_cmpx_lt_u32_e32 0xffffff, v14
	s_cbranch_execz .LBB253_209
; %bb.202:                              ;   in Loop: Header=BB253_12 Depth=1
	v_lshrrev_b32_e32 v4, 24, v14
	v_bfrev_b32_e32 v47, 1
	s_mov_b32 s42, exec_lo
	s_delay_alu instid0(VALU_DEP_2)
	v_cmpx_ne_u32_e32 0x80, v4
	s_cbranch_execz .LBB253_208
; %bb.203:                              ;   in Loop: Header=BB253_12 Depth=1
	v_and_b32_e32 v49, 0x7f, v4
	v_mov_b32_e32 v47, 0x7c010000
	s_mov_b32 s43, exec_lo
	s_delay_alu instid0(VALU_DEP_2)
	v_cmpx_ne_u32_e32 0x7f, v49
	s_cbranch_execz .LBB253_207
; %bb.204:                              ;   in Loop: Header=BB253_12 Depth=1
	v_dual_lshrrev_b32 v47, 3, v49 :: v_dual_bitop2_b32 v14, 7, v4 bitop3:0x40
	s_mov_b32 s44, exec_lo
	v_cmpx_gt_u32_e32 8, v49
; %bb.205:                              ;   in Loop: Header=BB253_12 Depth=1
	s_delay_alu instid0(VALU_DEP_2) | instskip(NEXT) | instid1(VALU_DEP_1)
	v_clz_i32_u32_e32 v14, v14
	v_min_u32_e32 v14, 32, v14
	s_delay_alu instid0(VALU_DEP_1) | instskip(NEXT) | instid1(VALU_DEP_1)
	v_subrev_nc_u32_e32 v47, 28, v14
	v_lshlrev_b64_e32 v[50:51], v47, v[4:5]
	v_sub_nc_u32_e32 v47, 29, v14
	s_delay_alu instid0(VALU_DEP_2)
	v_and_b32_e32 v14, 7, v50
; %bb.206:                              ;   in Loop: Header=BB253_12 Depth=1
	s_or_b32 exec_lo, exec_lo, s44
	s_delay_alu instid0(VALU_DEP_1) | instskip(NEXT) | instid1(VALU_DEP_3)
	v_dual_lshlrev_b32 v4, 8, v4 :: v_dual_lshlrev_b32 v14, 23, v14
	v_lshl_add_u32 v47, v47, 10, 0x2000
	s_delay_alu instid0(VALU_DEP_1) | instskip(NEXT) | instid1(VALU_DEP_1)
	v_and_or_b32 v4, 0x8000, v4, v47
	v_lshl_or_b32 v47, v4, 16, v14
.LBB253_207:                            ;   in Loop: Header=BB253_12 Depth=1
	s_or_b32 exec_lo, exec_lo, s43
.LBB253_208:                            ;   in Loop: Header=BB253_12 Depth=1
	s_delay_alu instid0(SALU_CYCLE_1)
	s_or_b32 exec_lo, exec_lo, s42
.LBB253_209:                            ;   in Loop: Header=BB253_12 Depth=1
	s_delay_alu instid0(SALU_CYCLE_1)
	s_or_b32 exec_lo, exec_lo, s41
	global_load_b32 v14, v[12:13], off offset:768
	v_dual_mov_b32 v49, 0 :: v_dual_mov_b32 v50, 0
	s_mov_b32 s41, exec_lo
	s_wait_loadcnt 0x0
	v_and_b32_e32 v4, 0xff, v14
	s_delay_alu instid0(VALU_DEP_1)
	v_cmpx_ne_u16_e32 0, v4
	s_cbranch_execz .LBB253_217
; %bb.210:                              ;   in Loop: Header=BB253_12 Depth=1
	v_mov_b32_e32 v50, 0x8000
	s_mov_b32 s42, exec_lo
	v_cmpx_ne_u16_e32 0x80, v4
	s_cbranch_execz .LBB253_216
; %bb.211:                              ;   in Loop: Header=BB253_12 Depth=1
	v_and_b32_e32 v51, 0x7f, v14
	v_mov_b32_e32 v50, 0x7c01
	s_mov_b32 s43, exec_lo
	s_delay_alu instid0(VALU_DEP_2)
	v_cmpx_ne_u32_e32 0x7f, v51
	s_cbranch_execz .LBB253_215
; %bb.212:                              ;   in Loop: Header=BB253_12 Depth=1
	v_dual_lshrrev_b32 v50, 3, v51 :: v_dual_bitop2_b32 v4, 7, v14 bitop3:0x40
	s_mov_b32 s44, exec_lo
	v_cmpx_gt_u32_e32 8, v51
; %bb.213:                              ;   in Loop: Header=BB253_12 Depth=1
	s_delay_alu instid0(VALU_DEP_2) | instskip(NEXT) | instid1(VALU_DEP_1)
	v_clz_i32_u32_e32 v4, v4
	v_min_u32_e32 v4, 32, v4
	s_delay_alu instid0(VALU_DEP_1) | instskip(NEXT) | instid1(VALU_DEP_1)
	v_subrev_nc_u32_e32 v50, 28, v4
	v_lshlrev_b64_e32 v[52:53], v50, v[14:15]
	v_sub_nc_u32_e32 v50, 29, v4
	s_delay_alu instid0(VALU_DEP_2)
	v_and_b32_e32 v4, 7, v52
; %bb.214:                              ;   in Loop: Header=BB253_12 Depth=1
	s_or_b32 exec_lo, exec_lo, s44
	s_delay_alu instid0(VALU_DEP_1) | instskip(NEXT) | instid1(VALU_DEP_3)
	v_dual_lshlrev_b32 v51, 8, v14 :: v_dual_lshlrev_b32 v4, 7, v4
	v_lshl_add_u32 v50, v50, 10, 0x2000
	s_delay_alu instid0(VALU_DEP_2) | instskip(NEXT) | instid1(VALU_DEP_2)
	v_and_b32_e32 v51, 0x8000, v51
	v_and_b32_e32 v50, 0xfc00, v50
	s_delay_alu instid0(VALU_DEP_1)
	v_or3_b32 v50, v51, v50, v4
.LBB253_215:                            ;   in Loop: Header=BB253_12 Depth=1
	s_or_b32 exec_lo, exec_lo, s43
.LBB253_216:                            ;   in Loop: Header=BB253_12 Depth=1
	s_delay_alu instid0(SALU_CYCLE_1)
	s_or_b32 exec_lo, exec_lo, s42
.LBB253_217:                            ;   in Loop: Header=BB253_12 Depth=1
	s_delay_alu instid0(SALU_CYCLE_1) | instskip(SKIP_2) | instid1(VALU_DEP_1)
	s_or_b32 exec_lo, exec_lo, s41
	v_lshrrev_b16 v4, 8, v14
	s_mov_b32 s41, exec_lo
	v_cmpx_ne_u16_e32 0, v4
	s_cbranch_execz .LBB253_225
; %bb.218:                              ;   in Loop: Header=BB253_12 Depth=1
	v_bfrev_b32_e32 v49, 1
	s_mov_b32 s42, exec_lo
	v_cmpx_ne_u16_e32 0x80, v4
	s_cbranch_execz .LBB253_224
; %bb.219:                              ;   in Loop: Header=BB253_12 Depth=1
	v_and_b32_e32 v51, 0xffff, v4
	v_mov_b32_e32 v49, 0x7c010000
	s_mov_b32 s43, exec_lo
	s_delay_alu instid0(VALU_DEP_2) | instskip(NEXT) | instid1(VALU_DEP_1)
	v_and_b32_e32 v53, 0x7f, v51
	v_cmpx_ne_u32_e32 0x7f, v53
	s_cbranch_execz .LBB253_223
; %bb.220:                              ;   in Loop: Header=BB253_12 Depth=1
	v_dual_lshrrev_b32 v52, 3, v53 :: v_dual_bitop2_b32 v49, 7, v51 bitop3:0x40
	s_mov_b32 s44, exec_lo
	v_cmpx_gt_u32_e32 8, v53
; %bb.221:                              ;   in Loop: Header=BB253_12 Depth=1
	s_delay_alu instid0(VALU_DEP_2) | instskip(NEXT) | instid1(VALU_DEP_1)
	v_clz_i32_u32_e32 v49, v49
	v_min_u32_e32 v49, 32, v49
	s_delay_alu instid0(VALU_DEP_1) | instskip(NEXT) | instid1(VALU_DEP_1)
	v_subrev_nc_u32_e32 v52, 28, v49
	v_lshlrev_b64_e32 v[54:55], v52, v[4:5]
	s_delay_alu instid0(VALU_DEP_1)
	v_dual_sub_nc_u32 v52, 29, v49 :: v_dual_bitop2_b32 v49, 7, v54 bitop3:0x40
; %bb.222:                              ;   in Loop: Header=BB253_12 Depth=1
	s_or_b32 exec_lo, exec_lo, s44
	s_delay_alu instid0(VALU_DEP_1) | instskip(NEXT) | instid1(VALU_DEP_2)
	v_dual_lshlrev_b32 v4, 8, v51 :: v_dual_lshlrev_b32 v49, 23, v49
	v_lshl_add_u32 v51, v52, 10, 0x2000
	s_delay_alu instid0(VALU_DEP_1) | instskip(NEXT) | instid1(VALU_DEP_1)
	v_and_or_b32 v4, 0x8000, v4, v51
	v_lshl_or_b32 v49, v4, 16, v49
.LBB253_223:                            ;   in Loop: Header=BB253_12 Depth=1
	s_or_b32 exec_lo, exec_lo, s43
.LBB253_224:                            ;   in Loop: Header=BB253_12 Depth=1
	s_delay_alu instid0(SALU_CYCLE_1)
	s_or_b32 exec_lo, exec_lo, s42
.LBB253_225:                            ;   in Loop: Header=BB253_12 Depth=1
	s_delay_alu instid0(SALU_CYCLE_1) | instskip(SKIP_3) | instid1(VALU_DEP_2)
	s_or_b32 exec_lo, exec_lo, s41
	v_dual_mov_b32 v51, 0 :: v_dual_lshrrev_b32 v4, 16, v14
	v_mov_b32_e32 v52, 0
	s_mov_b32 s41, exec_lo
	v_and_b32_e32 v53, 0xff, v4
	s_delay_alu instid0(VALU_DEP_1)
	v_cmpx_ne_u16_e32 0, v53
	s_cbranch_execz .LBB253_233
; %bb.226:                              ;   in Loop: Header=BB253_12 Depth=1
	v_mov_b32_e32 v52, 0x8000
	s_mov_b32 s42, exec_lo
	v_cmpx_ne_u16_e32 0x80, v53
	s_cbranch_execz .LBB253_232
; %bb.227:                              ;   in Loop: Header=BB253_12 Depth=1
	v_bfe_u32 v54, v14, 16, 7
	v_mov_b32_e32 v52, 0x7c01
	s_mov_b32 s43, exec_lo
	s_delay_alu instid0(VALU_DEP_2)
	v_cmpx_ne_u32_e32 0x7f, v54
	s_cbranch_execz .LBB253_231
; %bb.228:                              ;   in Loop: Header=BB253_12 Depth=1
	v_dual_lshrrev_b32 v53, 3, v54 :: v_dual_bitop2_b32 v52, 7, v4 bitop3:0x40
	s_mov_b32 s44, exec_lo
	v_cmpx_gt_u32_e32 8, v54
; %bb.229:                              ;   in Loop: Header=BB253_12 Depth=1
	s_delay_alu instid0(VALU_DEP_2) | instskip(NEXT) | instid1(VALU_DEP_1)
	v_clz_i32_u32_e32 v52, v52
	v_min_u32_e32 v54, 32, v52
	s_delay_alu instid0(VALU_DEP_1) | instskip(NEXT) | instid1(VALU_DEP_1)
	v_subrev_nc_u32_e32 v52, 28, v54
	v_lshlrev_b64_e32 v[52:53], v52, v[4:5]
	s_delay_alu instid0(VALU_DEP_1)
	v_dual_sub_nc_u32 v53, 29, v54 :: v_dual_bitop2_b32 v52, 7, v52 bitop3:0x40
; %bb.230:                              ;   in Loop: Header=BB253_12 Depth=1
	s_or_b32 exec_lo, exec_lo, s44
	v_lshlrev_b32_e32 v4, 8, v4
	s_delay_alu instid0(VALU_DEP_2) | instskip(NEXT) | instid1(VALU_DEP_3)
	v_lshl_add_u32 v53, v53, 10, 0x2000
	v_lshlrev_b32_e32 v52, 7, v52
	s_delay_alu instid0(VALU_DEP_3) | instskip(NEXT) | instid1(VALU_DEP_3)
	v_and_b32_e32 v4, 0x8000, v4
	v_and_b32_e32 v53, 0xfc00, v53
	s_delay_alu instid0(VALU_DEP_1)
	v_or3_b32 v52, v4, v53, v52
.LBB253_231:                            ;   in Loop: Header=BB253_12 Depth=1
	s_or_b32 exec_lo, exec_lo, s43
.LBB253_232:                            ;   in Loop: Header=BB253_12 Depth=1
	s_delay_alu instid0(SALU_CYCLE_1)
	s_or_b32 exec_lo, exec_lo, s42
.LBB253_233:                            ;   in Loop: Header=BB253_12 Depth=1
	s_delay_alu instid0(SALU_CYCLE_1) | instskip(NEXT) | instid1(SALU_CYCLE_1)
	s_or_b32 exec_lo, exec_lo, s41
	s_mov_b32 s41, exec_lo
	v_cmpx_lt_u32_e32 0xffffff, v14
	s_cbranch_execz .LBB253_241
; %bb.234:                              ;   in Loop: Header=BB253_12 Depth=1
	v_lshrrev_b32_e32 v4, 24, v14
	v_bfrev_b32_e32 v51, 1
	s_mov_b32 s42, exec_lo
	s_delay_alu instid0(VALU_DEP_2)
	v_cmpx_ne_u32_e32 0x80, v4
	s_cbranch_execz .LBB253_240
; %bb.235:                              ;   in Loop: Header=BB253_12 Depth=1
	v_and_b32_e32 v53, 0x7f, v4
	v_mov_b32_e32 v51, 0x7c010000
	s_mov_b32 s43, exec_lo
	s_delay_alu instid0(VALU_DEP_2)
	v_cmpx_ne_u32_e32 0x7f, v53
	s_cbranch_execz .LBB253_239
; %bb.236:                              ;   in Loop: Header=BB253_12 Depth=1
	v_dual_lshrrev_b32 v51, 3, v53 :: v_dual_bitop2_b32 v14, 7, v4 bitop3:0x40
	s_mov_b32 s44, exec_lo
	v_cmpx_gt_u32_e32 8, v53
; %bb.237:                              ;   in Loop: Header=BB253_12 Depth=1
	s_delay_alu instid0(VALU_DEP_2) | instskip(NEXT) | instid1(VALU_DEP_1)
	v_clz_i32_u32_e32 v14, v14
	v_min_u32_e32 v14, 32, v14
	s_delay_alu instid0(VALU_DEP_1) | instskip(NEXT) | instid1(VALU_DEP_1)
	v_subrev_nc_u32_e32 v51, 28, v14
	v_lshlrev_b64_e32 v[54:55], v51, v[4:5]
	v_sub_nc_u32_e32 v51, 29, v14
	s_delay_alu instid0(VALU_DEP_2)
	v_and_b32_e32 v14, 7, v54
; %bb.238:                              ;   in Loop: Header=BB253_12 Depth=1
	s_or_b32 exec_lo, exec_lo, s44
	s_delay_alu instid0(VALU_DEP_1) | instskip(NEXT) | instid1(VALU_DEP_3)
	v_dual_lshlrev_b32 v4, 8, v4 :: v_dual_lshlrev_b32 v14, 23, v14
	v_lshl_add_u32 v51, v51, 10, 0x2000
	s_delay_alu instid0(VALU_DEP_1) | instskip(NEXT) | instid1(VALU_DEP_1)
	v_and_or_b32 v4, 0x8000, v4, v51
	v_lshl_or_b32 v51, v4, 16, v14
.LBB253_239:                            ;   in Loop: Header=BB253_12 Depth=1
	s_or_b32 exec_lo, exec_lo, s43
.LBB253_240:                            ;   in Loop: Header=BB253_12 Depth=1
	s_delay_alu instid0(SALU_CYCLE_1)
	s_or_b32 exec_lo, exec_lo, s42
.LBB253_241:                            ;   in Loop: Header=BB253_12 Depth=1
	s_delay_alu instid0(SALU_CYCLE_1)
	s_or_b32 exec_lo, exec_lo, s41
	global_load_b32 v12, v[12:13], off offset:776
	v_dual_mov_b32 v14, 0 :: v_dual_mov_b32 v53, 0
	s_mov_b32 s41, exec_lo
	s_wait_loadcnt 0x0
	v_and_b32_e32 v4, 0xff, v12
	s_delay_alu instid0(VALU_DEP_1)
	v_cmpx_ne_u16_e32 0, v4
	s_cbranch_execz .LBB253_249
; %bb.242:                              ;   in Loop: Header=BB253_12 Depth=1
	v_mov_b32_e32 v53, 0x8000
	s_mov_b32 s42, exec_lo
	v_cmpx_ne_u16_e32 0x80, v4
	s_cbranch_execz .LBB253_248
; %bb.243:                              ;   in Loop: Header=BB253_12 Depth=1
	v_and_b32_e32 v54, 0x7f, v12
	v_mov_b32_e32 v53, 0x7c01
	s_mov_b32 s43, exec_lo
	s_delay_alu instid0(VALU_DEP_2)
	v_cmpx_ne_u32_e32 0x7f, v54
	s_cbranch_execz .LBB253_247
; %bb.244:                              ;   in Loop: Header=BB253_12 Depth=1
	v_dual_lshrrev_b32 v13, 3, v54 :: v_dual_bitop2_b32 v4, 7, v12 bitop3:0x40
	s_mov_b32 s44, exec_lo
	v_cmpx_gt_u32_e32 8, v54
; %bb.245:                              ;   in Loop: Header=BB253_12 Depth=1
	s_delay_alu instid0(VALU_DEP_2) | instskip(NEXT) | instid1(VALU_DEP_1)
	v_clz_i32_u32_e32 v4, v4
	v_min_u32_e32 v4, 32, v4
	s_delay_alu instid0(VALU_DEP_1) | instskip(NEXT) | instid1(VALU_DEP_1)
	v_subrev_nc_u32_e32 v13, 28, v4
	v_lshlrev_b64_e32 v[54:55], v13, v[12:13]
	s_delay_alu instid0(VALU_DEP_1)
	v_dual_sub_nc_u32 v13, 29, v4 :: v_dual_bitop2_b32 v4, 7, v54 bitop3:0x40
; %bb.246:                              ;   in Loop: Header=BB253_12 Depth=1
	s_or_b32 exec_lo, exec_lo, s44
	v_lshlrev_b32_e32 v53, 8, v12
	s_delay_alu instid0(VALU_DEP_2) | instskip(NEXT) | instid1(VALU_DEP_3)
	v_lshl_add_u32 v13, v13, 10, 0x2000
	v_lshlrev_b32_e32 v4, 7, v4
	s_delay_alu instid0(VALU_DEP_3) | instskip(NEXT) | instid1(VALU_DEP_3)
	v_and_b32_e32 v53, 0x8000, v53
	v_and_b32_e32 v13, 0xfc00, v13
	s_delay_alu instid0(VALU_DEP_1)
	v_or3_b32 v53, v53, v13, v4
.LBB253_247:                            ;   in Loop: Header=BB253_12 Depth=1
	s_or_b32 exec_lo, exec_lo, s43
.LBB253_248:                            ;   in Loop: Header=BB253_12 Depth=1
	s_delay_alu instid0(SALU_CYCLE_1)
	s_or_b32 exec_lo, exec_lo, s42
.LBB253_249:                            ;   in Loop: Header=BB253_12 Depth=1
	s_delay_alu instid0(SALU_CYCLE_1) | instskip(SKIP_2) | instid1(VALU_DEP_1)
	s_or_b32 exec_lo, exec_lo, s41
	v_lshrrev_b16 v4, 8, v12
	s_mov_b32 s41, exec_lo
	v_cmpx_ne_u16_e32 0, v4
	s_cbranch_execz .LBB253_257
; %bb.250:                              ;   in Loop: Header=BB253_12 Depth=1
	v_bfrev_b32_e32 v14, 1
	s_mov_b32 s42, exec_lo
	v_cmpx_ne_u16_e32 0x80, v4
	s_cbranch_execz .LBB253_256
; %bb.251:                              ;   in Loop: Header=BB253_12 Depth=1
	v_and_b32_e32 v13, 0xffff, v4
	v_mov_b32_e32 v14, 0x7c010000
	s_mov_b32 s43, exec_lo
	s_delay_alu instid0(VALU_DEP_2) | instskip(NEXT) | instid1(VALU_DEP_1)
	v_and_b32_e32 v55, 0x7f, v13
	v_cmpx_ne_u32_e32 0x7f, v55
	s_cbranch_execz .LBB253_255
; %bb.252:                              ;   in Loop: Header=BB253_12 Depth=1
	v_dual_lshrrev_b32 v54, 3, v55 :: v_dual_bitop2_b32 v14, 7, v13 bitop3:0x40
	s_mov_b32 s44, exec_lo
	v_cmpx_gt_u32_e32 8, v55
; %bb.253:                              ;   in Loop: Header=BB253_12 Depth=1
	s_delay_alu instid0(VALU_DEP_2) | instskip(NEXT) | instid1(VALU_DEP_1)
	v_clz_i32_u32_e32 v14, v14
	v_min_u32_e32 v14, 32, v14
	s_delay_alu instid0(VALU_DEP_1) | instskip(NEXT) | instid1(VALU_DEP_1)
	v_subrev_nc_u32_e32 v54, 28, v14
	v_lshlrev_b64_e32 v[56:57], v54, v[4:5]
	s_delay_alu instid0(VALU_DEP_1)
	v_dual_sub_nc_u32 v54, 29, v14 :: v_dual_bitop2_b32 v14, 7, v56 bitop3:0x40
; %bb.254:                              ;   in Loop: Header=BB253_12 Depth=1
	s_or_b32 exec_lo, exec_lo, s44
	v_lshlrev_b32_e32 v4, 8, v13
	s_delay_alu instid0(VALU_DEP_2) | instskip(NEXT) | instid1(VALU_DEP_1)
	v_lshl_add_u32 v13, v54, 10, 0x2000
	v_and_or_b32 v4, 0x8000, v4, v13
	v_lshlrev_b32_e32 v13, 23, v14
	s_delay_alu instid0(VALU_DEP_1)
	v_lshl_or_b32 v14, v4, 16, v13
.LBB253_255:                            ;   in Loop: Header=BB253_12 Depth=1
	s_or_b32 exec_lo, exec_lo, s43
.LBB253_256:                            ;   in Loop: Header=BB253_12 Depth=1
	s_delay_alu instid0(SALU_CYCLE_1)
	s_or_b32 exec_lo, exec_lo, s42
.LBB253_257:                            ;   in Loop: Header=BB253_12 Depth=1
	s_delay_alu instid0(SALU_CYCLE_1) | instskip(SKIP_3) | instid1(VALU_DEP_2)
	s_or_b32 exec_lo, exec_lo, s41
	v_dual_lshrrev_b32 v4, 16, v12 :: v_dual_mov_b32 v54, 0
	v_mov_b32_e32 v55, 0
	s_mov_b32 s41, exec_lo
	v_and_b32_e32 v13, 0xff, v4
	s_delay_alu instid0(VALU_DEP_1)
	v_cmpx_ne_u16_e32 0, v13
	s_cbranch_execz .LBB253_265
; %bb.258:                              ;   in Loop: Header=BB253_12 Depth=1
	v_mov_b32_e32 v55, 0x8000
	s_mov_b32 s42, exec_lo
	v_cmpx_ne_u16_e32 0x80, v13
	s_cbranch_execz .LBB253_264
; %bb.259:                              ;   in Loop: Header=BB253_12 Depth=1
	v_bfe_u32 v56, v12, 16, 7
	v_mov_b32_e32 v55, 0x7c01
	s_mov_b32 s43, exec_lo
	s_delay_alu instid0(VALU_DEP_2)
	v_cmpx_ne_u32_e32 0x7f, v56
	s_cbranch_execz .LBB253_263
; %bb.260:                              ;   in Loop: Header=BB253_12 Depth=1
	v_and_b32_e32 v13, 7, v4
	v_lshrrev_b32_e32 v55, 3, v56
	s_mov_b32 s44, exec_lo
	v_cmpx_gt_u32_e32 8, v56
; %bb.261:                              ;   in Loop: Header=BB253_12 Depth=1
	s_delay_alu instid0(VALU_DEP_3) | instskip(NEXT) | instid1(VALU_DEP_1)
	v_clz_i32_u32_e32 v13, v13
	v_min_u32_e32 v13, 32, v13
	s_delay_alu instid0(VALU_DEP_1) | instskip(NEXT) | instid1(VALU_DEP_1)
	v_subrev_nc_u32_e32 v55, 28, v13
	v_lshlrev_b64_e32 v[56:57], v55, v[4:5]
	s_delay_alu instid0(VALU_DEP_1)
	v_dual_sub_nc_u32 v55, 29, v13 :: v_dual_bitop2_b32 v13, 7, v56 bitop3:0x40
; %bb.262:                              ;   in Loop: Header=BB253_12 Depth=1
	s_or_b32 exec_lo, exec_lo, s44
	s_delay_alu instid0(VALU_DEP_1) | instskip(NEXT) | instid1(VALU_DEP_2)
	v_dual_lshlrev_b32 v4, 8, v4 :: v_dual_lshlrev_b32 v13, 7, v13
	v_lshl_add_u32 v55, v55, 10, 0x2000
	s_delay_alu instid0(VALU_DEP_2) | instskip(NEXT) | instid1(VALU_DEP_2)
	v_and_b32_e32 v4, 0x8000, v4
	v_and_b32_e32 v55, 0xfc00, v55
	s_delay_alu instid0(VALU_DEP_1)
	v_or3_b32 v55, v4, v55, v13
.LBB253_263:                            ;   in Loop: Header=BB253_12 Depth=1
	s_or_b32 exec_lo, exec_lo, s43
.LBB253_264:                            ;   in Loop: Header=BB253_12 Depth=1
	s_delay_alu instid0(SALU_CYCLE_1)
	s_or_b32 exec_lo, exec_lo, s42
.LBB253_265:                            ;   in Loop: Header=BB253_12 Depth=1
	s_delay_alu instid0(SALU_CYCLE_1) | instskip(NEXT) | instid1(SALU_CYCLE_1)
	s_or_b32 exec_lo, exec_lo, s41
	s_mov_b32 s41, exec_lo
	v_cmpx_lt_u32_e32 0xffffff, v12
	s_cbranch_execz .LBB253_273
; %bb.266:                              ;   in Loop: Header=BB253_12 Depth=1
	v_lshrrev_b32_e32 v4, 24, v12
	v_bfrev_b32_e32 v54, 1
	s_mov_b32 s42, exec_lo
	s_delay_alu instid0(VALU_DEP_2)
	v_cmpx_ne_u32_e32 0x80, v4
	s_cbranch_execz .LBB253_272
; %bb.267:                              ;   in Loop: Header=BB253_12 Depth=1
	v_and_b32_e32 v56, 0x7f, v4
	v_mov_b32_e32 v54, 0x7c010000
	s_mov_b32 s43, exec_lo
	s_delay_alu instid0(VALU_DEP_2)
	v_cmpx_ne_u32_e32 0x7f, v56
	s_cbranch_execz .LBB253_271
; %bb.268:                              ;   in Loop: Header=BB253_12 Depth=1
	v_and_b32_e32 v12, 7, v4
	v_lshrrev_b32_e32 v13, 3, v56
	s_mov_b32 s44, exec_lo
	v_cmpx_gt_u32_e32 8, v56
; %bb.269:                              ;   in Loop: Header=BB253_12 Depth=1
	s_delay_alu instid0(VALU_DEP_3) | instskip(NEXT) | instid1(VALU_DEP_1)
	v_clz_i32_u32_e32 v12, v12
	v_min_u32_e32 v54, 32, v12
	s_delay_alu instid0(VALU_DEP_1) | instskip(NEXT) | instid1(VALU_DEP_1)
	v_subrev_nc_u32_e32 v12, 28, v54
	v_lshlrev_b64_e32 v[12:13], v12, v[4:5]
	s_delay_alu instid0(VALU_DEP_1)
	v_dual_sub_nc_u32 v13, 29, v54 :: v_dual_bitop2_b32 v12, 7, v12 bitop3:0x40
; %bb.270:                              ;   in Loop: Header=BB253_12 Depth=1
	s_or_b32 exec_lo, exec_lo, s44
	v_lshlrev_b32_e32 v4, 8, v4
	s_delay_alu instid0(VALU_DEP_2) | instskip(NEXT) | instid1(VALU_DEP_3)
	v_lshl_add_u32 v13, v13, 10, 0x2000
	v_lshlrev_b32_e32 v12, 23, v12
	s_delay_alu instid0(VALU_DEP_2) | instskip(NEXT) | instid1(VALU_DEP_1)
	v_and_or_b32 v4, 0x8000, v4, v13
	v_lshl_or_b32 v54, v4, 16, v12
.LBB253_271:                            ;   in Loop: Header=BB253_12 Depth=1
	s_or_b32 exec_lo, exec_lo, s43
.LBB253_272:                            ;   in Loop: Header=BB253_12 Depth=1
	s_delay_alu instid0(SALU_CYCLE_1)
	s_or_b32 exec_lo, exec_lo, s42
.LBB253_273:                            ;   in Loop: Header=BB253_12 Depth=1
	s_delay_alu instid0(SALU_CYCLE_1)
	s_or_b32 exec_lo, exec_lo, s41
	ds_load_b64 v[12:13], v16
	v_or_b32_e32 v4, v22, v23
	v_or_b32_e32 v23, v24, v28
	v_fma_mixlo_f16 v22, v7, v22, 0 op_sel:[0,1,0] op_sel_hi:[0,1,0]
	v_fma_mixlo_f16 v24, v7, v24, 0 op_sel:[0,1,0] op_sel_hi:[0,1,0]
	v_or_b32_e32 v36, v35, v36
	v_fma_mixlo_f16 v4, v7, v4, 0 op_sel_hi:[0,1,0]
	v_fma_mixlo_f16 v35, v7, v35, 0 op_sel:[0,1,0] op_sel_hi:[0,1,0]
	v_and_b32_e32 v28, 0xffff, v22
	v_and_b32_e32 v58, 0xffff, v24
	v_fma_mixlo_f16 v36, v7, v36, 0 op_sel_hi:[0,1,0]
	v_and_b32_e32 v24, 0xffff, v4
	v_and_b32_e32 v64, 0xffff, v35
	v_or_b32_e32 v40, v39, v40
	v_fma_mixlo_f16 v39, v7, v39, 0 op_sel:[0,1,0] op_sel_hi:[0,1,0]
	v_and_b32_e32 v67, 0xffff, v36
	v_or_b32_e32 v38, v37, v38
	v_fma_mixlo_f16 v37, v7, v37, 0 op_sel:[0,1,0] op_sel_hi:[0,1,0]
	v_fma_mixlo_f16 v40, v7, v40, 0 op_sel_hi:[0,1,0]
	v_and_b32_e32 v70, 0xffff, v39
	s_wait_dscnt 0x0
	v_lshrrev_b32_e32 v56, 16, v13
	v_fma_mixlo_f16 v23, v7, v23, 0 op_sel_hi:[0,1,0]
	v_and_b32_e32 v4, 0xffff, v12
	v_lshrrev_b32_e32 v12, 16, v12
	v_and_b32_e32 v13, 0xffff, v13
	;;#ASMSTART
	v_cvt_f32_f16 v4, v4;
	;;#ASMEND
	v_and_b32_e32 v57, 0xffff, v23
	;;#ASMSTART
	v_cvt_f32_f16 v22, v12;
	;;#ASMEND
	;;#ASMSTART
	v_cvt_f32_f16 v23, v24;
	;;#ASMEND
	;;#ASMSTART
	v_cvt_f32_f16 v24, v28;
	;;#ASMEND
	;;#ASMSTART
	v_cvt_f32_f16 v28, v13;
	;;#ASMEND
	;;#ASMSTART
	v_cvt_f32_f16 v56, v56;
	;;#ASMEND
	;;#ASMSTART
	v_cvt_f32_f16 v57, v57;
	;;#ASMEND
	;;#ASMSTART
	v_cvt_f32_f16 v58, v58;
	;;#ASMEND
	ds_load_b64 v[12:13], v16 offset:8
	v_or_b32_e32 v30, v29, v30
	v_or_b32_e32 v32, v31, v32
	v_fma_mixlo_f16 v29, v7, v29, 0 op_sel:[0,1,0] op_sel_hi:[0,1,0]
	v_fma_mixlo_f16 v31, v7, v31, 0 op_sel:[0,1,0] op_sel_hi:[0,1,0]
	v_and_b32_e32 v69, 0xffff, v40
	v_fma_mixlo_f16 v38, v7, v38, 0 op_sel_hi:[0,1,0]
	v_or_b32_e32 v42, v41, v42
	v_and_b32_e32 v59, 0xffff, v29
	v_and_b32_e32 v62, 0xffff, v31
	v_fma_mixlo_f16 v41, v7, v41, 0 op_sel:[0,1,0] op_sel_hi:[0,1,0]
	v_and_b32_e32 v39, 0xffff, v38
	v_fma_mixlo_f16 v42, v7, v42, 0 op_sel_hi:[0,1,0]
	s_delay_alu instid0(VALU_DEP_3) | instskip(NEXT) | instid1(VALU_DEP_2)
	v_and_b32_e32 v41, 0xffff, v41
	v_and_b32_e32 v42, 0xffff, v42
	s_wait_dscnt 0x0
	v_and_b32_e32 v29, 0xffff, v12
	v_lshrrev_b32_e32 v12, 16, v12
	v_fma_mixlo_f16 v30, v7, v30, 0 op_sel_hi:[0,1,0]
	v_lshrrev_b32_e32 v60, 16, v13
	v_fma_mixlo_f16 v32, v7, v32, 0 op_sel_hi:[0,1,0]
	v_and_b32_e32 v13, 0xffff, v13
	;;#ASMSTART
	v_cvt_f32_f16 v29, v29;
	;;#ASMEND
	v_and_b32_e32 v31, 0xffff, v30
	;;#ASMSTART
	v_cvt_f32_f16 v30, v12;
	;;#ASMEND
	;; [unrolled: 4-line block ×3, first 2 shown]
	;;#ASMSTART
	v_cvt_f32_f16 v32, v59;
	;;#ASMEND
	;;#ASMSTART
	v_cvt_f32_f16 v59, v13;
	;;#ASMEND
	;; [unrolled: 3-line block ×5, first 2 shown]
	ds_load_b64 v[12:13], v16 offset:16
	v_or_b32_e32 v34, v33, v34
	v_fma_mixlo_f16 v33, v7, v33, 0 op_sel:[0,1,0] op_sel_hi:[0,1,0]
	v_dual_mul_f32 v29, v29, v31 :: v_dual_mul_f32 v31, v59, v61
	v_dual_mul_f32 v30, v30, v32 :: v_dual_mul_f32 v32, v60, v62
	s_delay_alu instid0(VALU_DEP_3) | instskip(NEXT) | instid1(VALU_DEP_3)
	v_and_b32_e32 v63, 0xffff, v33
	v_fmac_f32_e32 v29, v4, v23
	s_delay_alu instid0(VALU_DEP_3) | instskip(NEXT) | instid1(VALU_DEP_4)
	v_dual_fmac_f32 v31, v28, v57 :: v_dual_fmac_f32 v30, v22, v24
	v_fmac_f32_e32 v32, v56, v58
	s_wait_dscnt 0x0
	v_and_b32_e32 v33, 0xffff, v12
	v_lshrrev_b32_e32 v12, 16, v12
	v_fma_mixlo_f16 v34, v7, v34, 0 op_sel_hi:[0,1,0]
	v_lshrrev_b32_e32 v36, 16, v13
	v_and_b32_e32 v13, 0xffff, v13
	;;#ASMSTART
	v_cvt_f32_f16 v65, v33;
	;;#ASMEND
	;;#ASMSTART
	v_cvt_f32_f16 v33, v12;
	;;#ASMEND
	v_and_b32_e32 v34, 0xffff, v34
	;;#ASMSTART
	v_cvt_f32_f16 v66, v34;
	;;#ASMEND
	;;#ASMSTART
	v_cvt_f32_f16 v34, v63;
	;;#ASMEND
	;; [unrolled: 3-line block ×6, first 2 shown]
	ds_load_b64 v[12:13], v16 offset:24
	v_and_b32_e32 v67, 0xffff, v37
	v_dual_fmac_f32 v31, v35, v63 :: v_dual_fmac_f32 v32, v36, v64
	v_fmac_f32_e32 v29, v65, v66
	v_fmac_f32_e32 v30, v33, v34
	s_wait_dscnt 0x0
	v_and_b32_e32 v37, 0xffff, v12
	v_dual_lshrrev_b32 v12, 16, v12 :: v_dual_lshrrev_b32 v71, 16, v13
	v_and_b32_e32 v13, 0xffff, v13
	;;#ASMSTART
	v_cvt_f32_f16 v38, v37;
	;;#ASMEND
	;;#ASMSTART
	v_cvt_f32_f16 v37, v12;
	;;#ASMEND
	;; [unrolled: 3-line block ×8, first 2 shown]
	ds_load_b64 v[12:13], v16 offset:32
	v_or_b32_e32 v46, v45, v46
	v_fma_mixlo_f16 v45, v7, v45, 0 op_sel:[0,1,0] op_sel_hi:[0,1,0]
	v_dual_fmac_f32 v31, v40, v69 :: v_dual_fmac_f32 v32, v67, v70
	v_dual_fmac_f32 v29, v38, v68 :: v_dual_fmac_f32 v30, v37, v39
	s_delay_alu instid0(VALU_DEP_3)
	v_and_b32_e32 v45, 0xffff, v45
	s_wait_dscnt 0x0
	v_and_b32_e32 v71, 0xffff, v12
	v_lshrrev_b32_e32 v12, 16, v12
	v_fma_mixlo_f16 v46, v7, v46, 0 op_sel_hi:[0,1,0]
	v_lshrrev_b32_e32 v72, 16, v13
	v_and_b32_e32 v13, 0xffff, v13
	;;#ASMSTART
	v_cvt_f32_f16 v71, v71;
	;;#ASMEND
	;;#ASMSTART
	v_cvt_f32_f16 v73, v12;
	;;#ASMEND
	v_and_b32_e32 v46, 0xffff, v46
	;;#ASMSTART
	v_cvt_f32_f16 v74, v42;
	;;#ASMEND
	;;#ASMSTART
	v_cvt_f32_f16 v75, v41;
	;;#ASMEND
	;; [unrolled: 3-line block ×6, first 2 shown]
	ds_load_b64 v[12:13], v16 offset:40
	v_or_b32_e32 v41, v43, v44
	v_or_b32_e32 v42, v47, v48
	v_fma_mixlo_f16 v43, v7, v43, 0 op_sel:[0,1,0] op_sel_hi:[0,1,0]
	v_fma_mixlo_f16 v44, v7, v47, 0 op_sel:[0,1,0] op_sel_hi:[0,1,0]
	v_or_b32_e32 v45, v49, v50
	v_fma_mixlo_f16 v46, v7, v49, 0 op_sel:[0,1,0] op_sel_hi:[0,1,0]
	v_fma_mixlo_f16 v42, v7, v42, 0 op_sel_hi:[0,1,0]
	v_or_b32_e32 v47, v51, v52
	v_fma_mixlo_f16 v48, v7, v51, 0 op_sel:[0,1,0] op_sel_hi:[0,1,0]
	v_and_b32_e32 v43, 0xffff, v43
	v_and_b32_e32 v44, 0xffff, v44
	;; [unrolled: 1-line block ×4, first 2 shown]
	v_dual_fmac_f32 v29, v71, v74 :: v_dual_fmac_f32 v30, v73, v75
	s_wait_dscnt 0x0
	v_lshrrev_b32_e32 v50, 16, v13
	v_fma_mixlo_f16 v41, v7, v41, 0 op_sel_hi:[0,1,0]
	v_and_b32_e32 v49, 0xffff, v12
	v_lshrrev_b32_e32 v12, 16, v12
	v_and_b32_e32 v13, 0xffff, v13
	;;#ASMSTART
	v_cvt_f32_f16 v49, v49;
	;;#ASMEND
	v_and_b32_e32 v41, 0xffff, v41
	;;#ASMSTART
	v_cvt_f32_f16 v51, v12;
	;;#ASMEND
	;;#ASMSTART
	v_cvt_f32_f16 v52, v41;
	;;#ASMEND
	;; [unrolled: 3-line block ×7, first 2 shown]
	ds_load_b64 v[12:13], v16 offset:48
	v_or_b32_e32 v42, v54, v55
	v_or_b32_e32 v41, v14, v53
	v_fma_mixlo_f16 v44, v7, v45, 0 op_sel_hi:[0,1,0]
	v_fma_mixlo_f16 v45, v7, v47, 0 op_sel_hi:[0,1,0]
	v_and_b32_e32 v47, 0xffff, v48
	v_dual_fmac_f32 v31, v76, v77 :: v_dual_fmac_f32 v29, v49, v52
	s_delay_alu instid0(VALU_DEP_4) | instskip(NEXT) | instid1(VALU_DEP_4)
	v_and_b32_e32 v44, 0xffff, v44
	v_and_b32_e32 v45, 0xffff, v45
	v_dual_fmac_f32 v32, v72, v78 :: v_dual_fmac_f32 v30, v51, v79
	s_delay_alu instid0(VALU_DEP_4) | instskip(SKIP_2) | instid1(VALU_DEP_4)
	v_fmac_f32_e32 v31, v80, v81
	v_fma_mixlo_f16 v14, v7, v14, 0 op_sel:[0,1,0] op_sel_hi:[0,1,0]
	v_fma_mixlo_f16 v41, v7, v41, 0 op_sel_hi:[0,1,0]
	v_fmac_f32_e32 v32, v50, v82
	v_fma_mixlo_f16 v43, v7, v54, 0 op_sel:[0,1,0] op_sel_hi:[0,1,0]
	s_wait_dscnt 0x0
	v_and_b32_e32 v4, 0xffff, v12
	v_dual_lshrrev_b32 v12, 16, v12 :: v_dual_lshrrev_b32 v22, 16, v13
	v_and_b32_e32 v13, 0xffff, v13
	;;#ASMSTART
	v_cvt_f32_f16 v23, v4;
	;;#ASMEND
	;;#ASMSTART
	v_cvt_f32_f16 v24, v12;
	;;#ASMEND
	;; [unrolled: 3-line block ×8, first 2 shown]
	ds_load_b64 v[12:13], v16 offset:56
	v_fma_mixlo_f16 v4, v7, v42, 0 op_sel_hi:[0,1,0]
	v_dual_fmac_f32 v29, v23, v28 :: v_dual_fmac_f32 v31, v46, v45
	v_fmac_f32_e32 v30, v24, v44
	v_and_b32_e32 v7, 0xffff, v14
	v_and_b32_e32 v14, 0xffff, v41
	v_fmac_f32_e32 v32, v22, v47
	v_and_b32_e32 v4, 0xffff, v4
	s_wait_dscnt 0x0
	v_and_b32_e32 v23, 0xffff, v12
	v_lshrrev_b32_e32 v12, 16, v12
	;;#ASMSTART
	v_cvt_f32_f16 v22, v23;
	;;#ASMEND
	;;#ASMSTART
	v_cvt_f32_f16 v12, v12;
	;;#ASMEND
	;; [unrolled: 3-line block ×4, first 2 shown]
	v_and_b32_e32 v23, 0xffff, v13
	v_dual_lshrrev_b32 v13, 16, v13 :: v_dual_fmac_f32 v29, v22, v14
	v_fmac_f32_e32 v30, v12, v7
	;;#ASMSTART
	v_cvt_f32_f16 v7, v23;
	;;#ASMEND
	;;#ASMSTART
	v_cvt_f32_f16 v12, v13;
	;;#ASMEND
	v_and_b32_e32 v13, 0xffff, v43
	;;#ASMSTART
	v_cvt_f32_f16 v4, v4;
	;;#ASMEND
	v_dual_fmac_f32 v31, v7, v4 :: v_dual_add_f32 v4, v29, v30
	;;#ASMSTART
	v_cvt_f32_f16 v13, v13;
	;;#ASMEND
	s_delay_alu instid0(VALU_DEP_2) | instskip(NEXT) | instid1(VALU_DEP_2)
	v_dual_fmac_f32 v32, v12, v13 :: v_dual_bitop2_b32 v7, 1, v3 bitop3:0x14
	v_add_f32_e32 v4, v4, v31
	s_delay_alu instid0(VALU_DEP_2) | instskip(NEXT) | instid1(VALU_DEP_1)
	v_cmp_gt_i32_e64 s4, 32, v7
	v_dual_add_f32 v4, v32, v4 :: v_dual_cndmask_b32 v7, v3, v7, s4
	s_delay_alu instid0(VALU_DEP_1)
	v_lshlrev_b32_e32 v7, 2, v7
	ds_bpermute_b32 v7, v7, v4
	s_and_saveexec_b32 s41, s3
	s_cbranch_execz .LBB253_10
; %bb.274:                              ;   in Loop: Header=BB253_12 Depth=1
	s_wait_dscnt 0x0
	v_dual_add_nc_u32 v12, v18, v6 :: v_dual_add_f32 v4, v4, v7
	s_delay_alu instid0(VALU_DEP_1) | instskip(NEXT) | instid1(VALU_DEP_1)
	v_cvt_f32_i32_e32 v12, v12
	v_mul_f32_e32 v12, s37, v12
	s_delay_alu instid0(VALU_DEP_1) | instskip(NEXT) | instid1(VALU_DEP_1)
	v_dual_cndmask_b32 v7, 0, v12 :: v_dual_max_num_f32 v12, v17, v17
	v_dual_fmac_f32 v7, s27, v4 :: v_dual_add_nc_u32 v4, v15, v6
	s_delay_alu instid0(VALU_DEP_1) | instskip(NEXT) | instid1(VALU_DEP_1)
	v_cmp_gt_i32_e64 s4, s34, v4
	v_dual_max_num_f32 v12, v12, v7 :: v_dual_cndmask_b32 v4, 0, v7, s4
	s_delay_alu instid0(VALU_DEP_1)
	v_cndmask_b32_e64 v17, v17, v12, s4
	ds_store_b32 v19, v4
	s_branch .LBB253_10
.LBB253_275:
	s_or_b32 exec_lo, exec_lo, s40
.LBB253_276:
	s_delay_alu instid0(SALU_CYCLE_1)
	s_or_b32 exec_lo, exec_lo, s26
	s_wait_dscnt 0x0
	v_dual_max_num_f32 v7, v17, v17 :: v_dual_bitop2_b32 v4, 16, v3 bitop3:0x14
	s_clause 0x1
	s_load_b64 s[4:5], s[0:1], 0x0
	s_load_b64 s[26:27], s[0:1], 0x18
	v_xor_b32_e32 v6, 8, v3
	v_xor_b32_e32 v8, 4, v3
	v_cmp_gt_i32_e32 vcc_lo, 32, v4
	v_and_b32_e32 v28, 31, v0
	v_cndmask_b32_e32 v4, v3, v4, vcc_lo
	v_cmp_gt_i32_e32 vcc_lo, 32, v6
	s_delay_alu instid0(VALU_DEP_2) | instskip(SKIP_4) | instid1(VALU_DEP_1)
	v_dual_cndmask_b32 v6, v3, v6 :: v_dual_lshlrev_b32 v5, 2, v4
	v_cmp_gt_i32_e32 vcc_lo, 32, v8
	ds_bpermute_b32 v4, v5, v17
	s_wait_dscnt 0x0
	v_dual_lshlrev_b32 v6, 2, v6 :: v_dual_max_num_f32 v4, v4, v4
	v_max_num_f32_e32 v4, v7, v4
	ds_bpermute_b32 v7, v6, v4
	s_wait_dscnt 0x0
	v_max_num_f32_e32 v9, v7, v7
	s_delay_alu instid0(VALU_DEP_1) | instskip(NEXT) | instid1(VALU_DEP_1)
	v_dual_cndmask_b32 v8, v3, v8, vcc_lo :: v_dual_max_num_f32 v4, v4, v9
	v_lshlrev_b32_e32 v7, 2, v8
	ds_bpermute_b32 v8, v7, v4
	s_wait_dscnt 0x0
	v_dual_max_num_f32 v8, v8, v8 :: v_dual_bitop2_b32 v9, 2, v3 bitop3:0x14
	s_delay_alu instid0(VALU_DEP_1) | instskip(NEXT) | instid1(VALU_DEP_2)
	v_cmp_gt_i32_e32 vcc_lo, 32, v9
	v_dual_cndmask_b32 v10, v3, v9 :: v_dual_max_num_f32 v9, v4, v8
	v_lshlrev_b32_e32 v8, 2, v27
	v_cmp_eq_u32_e32 vcc_lo, 0, v28
	s_delay_alu instid0(VALU_DEP_3)
	v_lshlrev_b32_e32 v4, 2, v10
	ds_bpermute_b32 v10, v4, v9
	s_wait_xcnt 0x0
	s_and_saveexec_b32 s0, vcc_lo
	s_cbranch_execz .LBB253_278
; %bb.277:
	s_wait_dscnt 0x0
	v_dual_max_num_f32 v10, v10, v10 :: v_dual_max_num_f32 v9, v9, v9
	s_delay_alu instid0(VALU_DEP_1)
	v_max_num_f32_e32 v9, v9, v10
	ds_store_b32 v8, v9 offset:128
.LBB253_278:
	s_or_b32 exec_lo, exec_lo, s0
	v_cmp_gt_u32_e64 s0, 4, v28
	s_wait_dscnt 0x0
	v_dual_mov_b32 v10, 0xff7fffff :: v_dual_lshlrev_b32 v9, 2, v28
	s_barrier_signal -1
	s_barrier_wait -1
	s_and_saveexec_b32 s1, s0
; %bb.279:
	ds_load_b32 v10, v9 offset:128
; %bb.280:
	s_or_b32 exec_lo, exec_lo, s1
	s_wait_dscnt 0x0
	ds_bpermute_b32 v11, v4, v10
	v_dual_max_num_f32 v10, v10, v10 :: v_dual_bitop2_b32 v12, 1, v3 bitop3:0x14
	s_delay_alu instid0(VALU_DEP_1) | instskip(NEXT) | instid1(VALU_DEP_1)
	v_cmp_gt_i32_e64 s1, 32, v12
	v_cndmask_b32_e64 v3, v3, v12, s1
	s_lshl_b32 s1, s12, 4
	s_delay_alu instid0(SALU_CYCLE_1) | instskip(NEXT) | instid1(VALU_DEP_1)
	s_min_i32 s8, s1, s34
	v_lshlrev_b32_e32 v29, 2, v3
	v_cmp_gt_i32_e64 s1, s8, v0
	s_wait_dscnt 0x0
	v_max_num_f32_e32 v11, v11, v11
	s_delay_alu instid0(VALU_DEP_1) | instskip(SKIP_3) | instid1(VALU_DEP_1)
	v_max_num_f32_e32 v3, v10, v11
	ds_bpermute_b32 v10, v29, v3
	s_wait_dscnt 0x0
	v_max_num_f32_e32 v10, v10, v10
	v_dual_max_num_f32 v10, v3, v10 :: v_dual_mov_b32 v3, 0
	ds_bpermute_b32 v10, v3, v10
	s_and_saveexec_b32 s9, s1
	s_cbranch_execz .LBB253_284
; %bb.281:
	v_lshl_add_u32 v11, v0, 2, 0xa0
	v_dual_mov_b32 v3, 0 :: v_dual_mov_b32 v12, v0
	s_mov_b32 s19, 0
.LBB253_282:                            ; =>This Inner Loop Header: Depth=1
	ds_load_b32 v13, v11
	v_add_nc_u32_e32 v12, 0x80, v12
	s_delay_alu instid0(VALU_DEP_1) | instskip(SKIP_3) | instid1(VALU_DEP_1)
	v_cmp_le_i32_e64 s3, s8, v12
	s_or_b32 s19, s3, s19
	s_wait_dscnt 0x0
	v_sub_f32_e32 v13, v13, v10
	v_mul_f32_e32 v13, 0x3fb8aa3b, v13
	s_delay_alu instid0(VALU_DEP_1)
	v_exp_f32_e32 v13, v13
	ds_store_b32 v11, v13
	v_nop
	v_add_f32_e32 v3, v3, v13
	v_add_nc_u32_e32 v11, 0x200, v11
	s_and_not1_b32 exec_lo, exec_lo, s19
	s_cbranch_execnz .LBB253_282
; %bb.283:
	s_or_b32 exec_lo, exec_lo, s19
.LBB253_284:
	s_delay_alu instid0(SALU_CYCLE_1)
	s_or_b32 exec_lo, exec_lo, s9
	ds_bpermute_b32 v5, v5, v3
	s_wait_dscnt 0x0
	v_add_f32_e32 v3, v3, v5
	ds_bpermute_b32 v5, v6, v3
	s_wait_dscnt 0x0
	v_add_f32_e32 v3, v3, v5
	;; [unrolled: 3-line block ×5, first 2 shown]
	s_and_saveexec_b32 s3, vcc_lo
; %bb.285:
	ds_store_b32 v8, v3 offset:144
; %bb.286:
	s_or_b32 exec_lo, exec_lo, s3
	s_wait_dscnt 0x0
	s_barrier_signal -1
	s_barrier_wait -1
	s_and_saveexec_b32 s3, s0
; %bb.287:
	ds_load_b32 v3, v9 offset:144
; %bb.288:
	s_or_b32 exec_lo, exec_lo, s3
	s_wait_dscnt 0x0
	ds_bpermute_b32 v4, v4, v3
	s_wait_dscnt 0x0
	v_dual_mov_b32 v5, 0 :: v_dual_add_f32 v3, v3, v4
	ds_bpermute_b32 v4, v29, v3
	s_wait_dscnt 0x0
	v_add_f32_e32 v3, v3, v4
	ds_bpermute_b32 v3, v5, v3
	s_and_saveexec_b32 s0, s1
	s_cbranch_execz .LBB253_301
; %bb.289:
	s_wait_dscnt 0x0
	v_add_f32_e32 v3, 0x358637bd, v3
	s_mov_b32 s3, -1
	s_mov_b32 s1, exec_lo
	s_delay_alu instid0(VALU_DEP_1) | instskip(NEXT) | instid1(VALU_DEP_1)
	v_div_scale_f32 v4, null, v3, v3, 1.0
	v_rcp_f32_e32 v6, v4
	v_nop
	s_delay_alu instid0(TRANS32_DEP_1) | instskip(NEXT) | instid1(VALU_DEP_1)
	v_fma_f32 v7, -v4, v6, 1.0
	v_fmac_f32_e32 v6, v7, v6
	v_div_scale_f32 v8, vcc_lo, 1.0, v3, 1.0
	s_delay_alu instid0(VALU_DEP_1) | instskip(NEXT) | instid1(VALU_DEP_1)
	v_mul_f32_e32 v7, v8, v6
	v_fma_f32 v9, -v4, v7, v8
	s_delay_alu instid0(VALU_DEP_1) | instskip(NEXT) | instid1(VALU_DEP_1)
	v_fmac_f32_e32 v7, v9, v6
	v_fma_f32 v8, -v4, v7, v8
	v_xad_u32 v4, v0, -1, s8
	s_delay_alu instid0(VALU_DEP_2) | instskip(NEXT) | instid1(VALU_DEP_1)
	v_div_fmas_f32 v6, v8, v6, v7
	v_div_fixup_f32 v6, v6, v3, 1.0
	v_mov_b32_e32 v3, v0
	s_delay_alu instid0(VALU_DEP_4)
	v_cmpx_lt_u32_e32 0x7f, v4
	s_cbranch_execz .LBB253_298
; %bb.290:
	s_delay_alu instid0(VALU_DEP_3) | instskip(NEXT) | instid1(VALU_DEP_1)
	v_dual_lshrrev_b32 v3, 7, v4 :: v_dual_mov_b32 v7, v6
	v_dual_mov_b32 v10, 0 :: v_dual_add_nc_u32 v4, -1, v3
	s_delay_alu instid0(VALU_DEP_1) | instskip(SKIP_1) | instid1(VALU_DEP_2)
	v_lshrrev_b32_e32 v8, 1, v4
	v_cmp_lt_u32_e32 vcc_lo, 13, v4
	v_add_nc_u32_e32 v4, 1, v8
	s_and_saveexec_b32 s3, vcc_lo
	s_cbranch_execz .LBB253_294
; %bb.291:
	s_delay_alu instid0(VALU_DEP_1)
	v_and_b32_e32 v8, -8, v4
	v_lshl_add_u32 v9, v0, 2, 0xa0
	s_mov_b32 s9, 0
	s_mov_b32 s19, 0
.LBB253_292:                            ; =>This Inner Loop Header: Depth=1
	ds_load_2addr_stride64_b32 v[10:11], v9 offset1:2
	ds_load_2addr_stride64_b32 v[12:13], v9 offset0:4 offset1:6
	ds_load_2addr_stride64_b32 v[14:15], v9 offset0:8 offset1:10
	;; [unrolled: 1-line block ×7, first 2 shown]
	s_add_co_i32 s19, s19, 16
	v_add_nc_u32_e32 v8, -8, v8
	s_wait_dscnt 0x7
	v_pk_mul_f32 v[10:11], v[6:7], v[10:11]
	s_wait_dscnt 0x6
	v_pk_mul_f32 v[12:13], v[6:7], v[12:13]
	;; [unrolled: 2-line block ×8, first 2 shown]
	ds_store_2addr_stride64_b32 v9, v10, v11 offset1:2
	ds_store_2addr_stride64_b32 v9, v12, v13 offset0:4 offset1:6
	ds_store_2addr_stride64_b32 v9, v14, v15 offset0:8 offset1:10
	ds_store_2addr_stride64_b32 v9, v16, v17 offset0:12 offset1:14
	ds_store_2addr_stride64_b32 v9, v18, v19 offset0:16 offset1:18
	ds_store_2addr_stride64_b32 v9, v20, v21 offset0:20 offset1:22
	ds_store_2addr_stride64_b32 v9, v22, v23 offset0:24 offset1:26
	ds_store_2addr_stride64_b32 v9, v30, v31 offset0:28 offset1:30
	v_mov_b32_e32 v10, s19
	v_cmp_eq_u32_e32 vcc_lo, 0, v8
	v_add_nc_u32_e32 v9, 0x2000, v9
	s_or_b32 s9, vcc_lo, s9
	s_delay_alu instid0(SALU_CYCLE_1)
	s_and_not1_b32 exec_lo, exec_lo, s9
	s_cbranch_execnz .LBB253_292
; %bb.293:
	s_or_b32 exec_lo, exec_lo, s9
.LBB253_294:
	s_delay_alu instid0(SALU_CYCLE_1) | instskip(NEXT) | instid1(VALU_DEP_1)
	s_or_b32 exec_lo, exec_lo, s3
	v_and_b32_e32 v4, 7, v4
	s_mov_b32 s9, 0
	s_mov_b32 s3, exec_lo
	s_delay_alu instid0(VALU_DEP_1)
	v_cmpx_ne_u32_e32 0, v4
	s_cbranch_execz .LBB253_297
; %bb.295:
	v_dual_lshlrev_b32 v8, 9, v10 :: v_dual_lshlrev_b32 v9, 2, v0
	s_delay_alu instid0(VALU_DEP_1)
	v_add3_u32 v8, v8, v9, 0xa0
.LBB253_296:                            ; =>This Inner Loop Header: Depth=1
	ds_load_2addr_stride64_b32 v[10:11], v8 offset1:2
	v_add_nc_u32_e32 v4, -1, v4
	s_delay_alu instid0(VALU_DEP_1)
	v_cmp_eq_u32_e32 vcc_lo, 0, v4
	s_or_b32 s9, vcc_lo, s9
	s_wait_dscnt 0x0
	v_pk_mul_f32 v[10:11], v[6:7], v[10:11]
	ds_store_2addr_stride64_b32 v8, v10, v11 offset1:2
	v_add_nc_u32_e32 v8, 0x400, v8
	s_and_not1_b32 exec_lo, exec_lo, s9
	s_cbranch_execnz .LBB253_296
.LBB253_297:
	s_or_b32 exec_lo, exec_lo, s3
	v_add_nc_u32_e32 v3, 1, v3
	s_delay_alu instid0(VALU_DEP_1) | instskip(NEXT) | instid1(VALU_DEP_1)
	v_and_b32_e32 v4, 0x3fffffe, v3
	v_cmp_ne_u32_e32 vcc_lo, v3, v4
	v_lshl_add_u32 v3, v4, 7, v0
	s_or_not1_b32 s3, vcc_lo, exec_lo
.LBB253_298:
	s_or_b32 exec_lo, exec_lo, s1
	s_delay_alu instid0(SALU_CYCLE_1)
	s_and_b32 exec_lo, exec_lo, s3
	s_cbranch_execz .LBB253_301
; %bb.299:
	v_lshl_add_u32 v4, v3, 2, 0xa0
	s_mov_b32 s1, 0
.LBB253_300:                            ; =>This Inner Loop Header: Depth=1
	ds_load_b32 v7, v4
	v_add_nc_u32_e32 v3, 0x80, v3
	s_delay_alu instid0(VALU_DEP_1)
	v_cmp_le_i32_e32 vcc_lo, s8, v3
	s_or_b32 s1, vcc_lo, s1
	s_wait_dscnt 0x0
	v_mul_f32_e32 v7, v6, v7
	ds_store_b32 v4, v7
	v_add_nc_u32_e32 v4, 0x200, v4
	s_and_not1_b32 exec_lo, exec_lo, s1
	s_cbranch_execnz .LBB253_300
.LBB253_301:
	s_or_b32 exec_lo, exec_lo, s0
	v_dual_mov_b32 v4, 0 :: v_dual_mov_b32 v7, 0
	v_mov_b32_e32 v6, 0
	s_wait_dscnt 0x0
	s_barrier_signal -1
	s_barrier_wait -1
	s_and_saveexec_b32 s1, s2
	s_cbranch_execz .LBB253_571
; %bb.302:
	s_abs_i32 s14, s14
	v_dual_lshlrev_b32 v3, 3, v0 :: v_dual_mov_b32 v9, 0
	s_cvt_f32_u32 s0, s14
	s_ashr_i32 s19, s18, 31
	s_delay_alu instid0(VALU_DEP_1) | instskip(NEXT) | instid1(SALU_CYCLE_1)
	v_dual_lshlrev_b32 v5, 5, v26 :: v_dual_bitop2_b32 v30, 8, v3 bitop3:0x40
	v_rcp_iflag_f32_e32 v4, s0
	v_and_b32_e32 v8, 0xf8, v3
	s_wait_kmcnt 0x0
	s_add_nc_u64 s[18:19], s[26:27], s[18:19]
	s_lshl_b64 s[24:25], s[24:25], 2
	s_sub_co_i32 s2, 0, s14
	v_dual_mov_b32 v6, 0 :: v_dual_mov_b32 v7, 0
	v_readfirstlane_b32 s0, v4
	v_add_nc_u64_e32 v[10:11], s[18:19], v[8:9]
	v_and_b32_e32 v8, 0x7c, v1
	v_lshl_or_b32 v4, v27, 6, v5
	s_add_nc_u64 s[18:19], s[22:23], s[24:25]
	s_mul_f32 s0, s0, 0x4f7ffffe
	v_mov_b32_e32 v32, v27
	v_add_nc_u64_e32 v[12:13], s[18:19], v[8:9]
	v_add_nc_u32_e32 v31, 0xa0, v4
	s_cvt_u32_f32 s0, s0
	v_dual_mov_b32 v4, 0 :: v_dual_mov_b32 v5, 0
	s_mov_b32 s3, 0
	s_delay_alu instid0(SALU_CYCLE_1)
	s_mul_i32 s2, s2, s0
	s_sub_co_i32 s13, s36, s13
	s_mul_hi_u32 s2, s0, s2
	s_add_co_i32 s28, s12, -1
	s_mov_b64 s[8:9], 0xffffffffffffff
	s_mov_b32 s18, s34
	s_add_co_i32 s2, s0, s2
	s_mov_b32 s19, s3
	s_branch .LBB253_305
.LBB253_303:                            ;   in Loop: Header=BB253_305 Depth=1
	s_or_b32 exec_lo, exec_lo, s0
	;;#ASMSTART
	v_pk_mul_f16 v1, v47, v15;

	;;#ASMEND
	;;#ASMSTART
	v_pk_mul_f16 v8, v45, v16;

	;;#ASMEND
	;;#ASMSTART
	v_pk_mul_f16 v3, v44, v3;

	;;#ASMEND
	;;#ASMSTART
	v_pk_mul_f16 v14, v43, v14;

	;;#ASMEND
	;;#ASMSTART
	v_pk_add_f16 v1, v1, v8;

	;;#ASMEND
	;;#ASMSTART
	v_pk_add_f16 v1, v1, v3;

	;;#ASMEND
	;; [unrolled: 4-line block ×3, first 2 shown]
	v_and_b32_e32 v14, 0xffff, v1
	v_dual_lshrrev_b32 v15, 16, v1 :: v_dual_add_f32 v1, v41, v42
	;;#ASMSTART
	v_cvt_f32_f16 v14, v14;
	;;#ASMEND
	v_dual_add_f32 v3, v49, v50 :: v_dual_add_f32 v8, v46, v48
	;;#ASMSTART
	v_cvt_f32_f16 v15, v15;
	;;#ASMEND
	s_delay_alu instid0(VALU_DEP_2) | instskip(NEXT) | instid1(VALU_DEP_2)
	v_dual_add_f32 v14, v14, v15 :: v_dual_add_f32 v4, v4, v1
	v_dual_add_f32 v7, v7, v3 :: v_dual_add_f32 v6, v6, v8
	s_delay_alu instid0(VALU_DEP_2)
	v_add_f32_e32 v5, v5, v14
.LBB253_304:                            ;   in Loop: Header=BB253_305 Depth=1
	s_or_b32 exec_lo, exec_lo, s22
	v_dual_add_nc_u32 v32, 4, v32 :: v_dual_add_nc_u32 v2, 64, v2
	v_add_nc_u64_e32 v[12:13], 16, v[12:13]
	v_add_nc_u32_e32 v31, 0x100, v31
	s_delay_alu instid0(VALU_DEP_3) | instskip(SKIP_1) | instid1(SALU_CYCLE_1)
	v_cmp_le_i32_e32 vcc_lo, s12, v32
	s_or_b32 s19, vcc_lo, s19
	s_and_not1_b32 exec_lo, exec_lo, s19
	s_cbranch_execz .LBB253_570
.LBB253_305:                            ; =>This Inner Loop Header: Depth=1
	v_mov_b32_e32 v3, v9
	s_delay_alu instid0(VALU_DEP_1) | instskip(NEXT) | instid1(VALU_DEP_1)
	v_mul_u64_e32 v[14:15], s[20:21], v[2:3]
	v_mul_lo_u32 v1, v15, s16
	s_delay_alu instid0(VALU_DEP_1) | instskip(NEXT) | instid1(VALU_DEP_1)
	v_sub_nc_u32_e32 v1, v2, v1
	v_subrev_nc_u32_e32 v8, s16, v1
	v_cmp_le_u32_e32 vcc_lo, s16, v1
	s_delay_alu instid0(VALU_DEP_2) | instskip(NEXT) | instid1(VALU_DEP_1)
	v_dual_add_nc_u32 v3, 1, v15 :: v_dual_cndmask_b32 v1, v1, v8, vcc_lo
	v_cndmask_b32_e32 v3, v15, v3, vcc_lo
	s_delay_alu instid0(VALU_DEP_2) | instskip(NEXT) | instid1(VALU_DEP_2)
	v_cmp_le_u32_e32 vcc_lo, s16, v1
	v_add_nc_u32_e32 v8, 1, v3
	s_delay_alu instid0(VALU_DEP_1) | instskip(NEXT) | instid1(VALU_DEP_1)
	v_cndmask_b32_e32 v1, v3, v8, vcc_lo
	v_xor_b32_e32 v1, s15, v1
	s_delay_alu instid0(VALU_DEP_1) | instskip(NEXT) | instid1(VALU_DEP_1)
	v_subrev_nc_u32_e32 v1, s15, v1
	v_add_nc_u32_e32 v3, s35, v1
	v_cmp_lt_i32_e64 s0, s13, v1
	s_delay_alu instid0(VALU_DEP_2) | instskip(NEXT) | instid1(VALU_DEP_1)
	v_sub_nc_u32_e32 v8, 0, v3
	v_dual_ashrrev_i32 v3, 31, v3 :: v_dual_max_i32 v8, v3, v8
	s_delay_alu instid0(VALU_DEP_1) | instskip(NEXT) | instid1(VALU_DEP_1)
	v_mul_u64_e32 v[14:15], s[2:3], v[8:9]
	v_mul_lo_u32 v14, v15, s14
	s_delay_alu instid0(VALU_DEP_1) | instskip(NEXT) | instid1(VALU_DEP_1)
	v_sub_nc_u32_e32 v8, v8, v14
	v_subrev_nc_u32_e32 v14, s14, v8
	v_cmp_le_u32_e32 vcc_lo, s14, v8
	s_delay_alu instid0(VALU_DEP_2) | instskip(NEXT) | instid1(VALU_DEP_1)
	v_cndmask_b32_e32 v8, v8, v14, vcc_lo
	v_subrev_nc_u32_e32 v14, s14, v8
	v_cmp_le_u32_e32 vcc_lo, s14, v8
	s_delay_alu instid0(VALU_DEP_2) | instskip(NEXT) | instid1(VALU_DEP_1)
	v_cndmask_b32_e32 v8, v8, v14, vcc_lo
	v_xor_b32_e32 v8, v8, v3
	s_delay_alu instid0(VALU_DEP_1) | instskip(NEXT) | instid1(VALU_DEP_1)
	v_sub_nc_u32_e32 v3, v8, v3
	v_cmp_eq_u32_e32 vcc_lo, 0, v3
	s_or_b32 s0, vcc_lo, s0
	s_delay_alu instid0(SALU_CYCLE_1)
	s_and_saveexec_b32 s22, s0
	s_cbranch_execz .LBB253_304
; %bb.306:                              ;   in Loop: Header=BB253_305 Depth=1
	global_load_b32 v1, v[12:13], off
	ds_load_2addr_b64 v[16:19], v31 offset1:1
	ds_load_2addr_b64 v[20:23], v31 offset0:2 offset1:3
	s_mov_b32 s0, exec_lo
	s_wait_dscnt 0x1
	;;#ASMSTART
	v_cvt_f16_f32 v44, v16;

	;;#ASMEND
	;;#ASMSTART
	v_cvt_f16_f32 v41, v17;

	;;#ASMEND
	;; [unrolled: 4-line block ×4, first 2 shown]
	s_wait_dscnt 0x0
	;;#ASMSTART
	v_cvt_f16_f32 v47, v20;

	;;#ASMEND
	;;#ASMSTART
	v_cvt_f16_f32 v43, v21;

	;;#ASMEND
	;; [unrolled: 4-line block ×4, first 2 shown]
	v_mov_b32_e32 v3, 0
	s_wait_loadcnt 0x0
	v_mad_nc_i64_i32 v[14:15], v1, s17, v[10:11]
	v_mov_b32_e32 v1, 0
	global_load_b32 v16, v1, s[10:11]
	global_load_b64 v[18:19], v[14:15], off
	s_wait_loadcnt 0x0
	v_and_b32_e32 v8, 0xff, v18
	s_delay_alu instid0(VALU_DEP_1)
	v_cmpx_ne_u16_e32 0, v8
	s_cbranch_execz .LBB253_314
; %bb.307:                              ;   in Loop: Header=BB253_305 Depth=1
	v_mov_b32_e32 v3, 0x8000
	s_mov_b32 s23, exec_lo
	v_cmpx_ne_u16_e32 0x80, v8
	s_cbranch_execz .LBB253_313
; %bb.308:                              ;   in Loop: Header=BB253_305 Depth=1
	v_and_b32_e32 v17, 0x7f, v18
	v_mov_b32_e32 v3, 0x7c01
	s_mov_b32 s24, exec_lo
	s_delay_alu instid0(VALU_DEP_2)
	v_cmpx_ne_u32_e32 0x7f, v17
	s_cbranch_execz .LBB253_312
; %bb.309:                              ;   in Loop: Header=BB253_305 Depth=1
	v_dual_lshrrev_b32 v8, 3, v17 :: v_dual_bitop2_b32 v3, 7, v18 bitop3:0x40
	s_mov_b32 s25, exec_lo
	v_cmpx_gt_u32_e32 8, v17
; %bb.310:                              ;   in Loop: Header=BB253_305 Depth=1
	s_delay_alu instid0(VALU_DEP_2) | instskip(NEXT) | instid1(VALU_DEP_1)
	v_clz_i32_u32_e32 v3, v3
	v_min_u32_e32 v3, 32, v3
	s_delay_alu instid0(VALU_DEP_1) | instskip(NEXT) | instid1(VALU_DEP_1)
	v_subrev_nc_u32_e32 v8, 28, v3
	v_lshlrev_b64_e32 v[20:21], v8, v[18:19]
	s_delay_alu instid0(VALU_DEP_1)
	v_dual_sub_nc_u32 v8, 29, v3 :: v_dual_bitop2_b32 v3, 7, v20 bitop3:0x40
; %bb.311:                              ;   in Loop: Header=BB253_305 Depth=1
	s_or_b32 exec_lo, exec_lo, s25
	s_delay_alu instid0(VALU_DEP_1) | instskip(NEXT) | instid1(VALU_DEP_2)
	v_dual_lshlrev_b32 v17, 8, v18 :: v_dual_lshlrev_b32 v3, 7, v3
	v_lshl_add_u32 v8, v8, 10, 0x2000
	s_delay_alu instid0(VALU_DEP_2) | instskip(NEXT) | instid1(VALU_DEP_2)
	v_and_b32_e32 v17, 0x8000, v17
	v_and_b32_e32 v8, 0xfc00, v8
	s_delay_alu instid0(VALU_DEP_1)
	v_or3_b32 v3, v17, v8, v3
.LBB253_312:                            ;   in Loop: Header=BB253_305 Depth=1
	s_or_b32 exec_lo, exec_lo, s24
.LBB253_313:                            ;   in Loop: Header=BB253_305 Depth=1
	s_delay_alu instid0(SALU_CYCLE_1)
	s_or_b32 exec_lo, exec_lo, s23
.LBB253_314:                            ;   in Loop: Header=BB253_305 Depth=1
	s_delay_alu instid0(SALU_CYCLE_1) | instskip(SKIP_2) | instid1(VALU_DEP_1)
	s_or_b32 exec_lo, exec_lo, s0
	v_lshrrev_b16 v8, 8, v18
	s_mov_b32 s0, exec_lo
	v_cmpx_ne_u16_e32 0, v8
	s_cbranch_execz .LBB253_322
; %bb.315:                              ;   in Loop: Header=BB253_305 Depth=1
	v_bfrev_b32_e32 v1, 1
	s_mov_b32 s23, exec_lo
	v_cmpx_ne_u16_e32 0x80, v8
	s_cbranch_execz .LBB253_321
; %bb.316:                              ;   in Loop: Header=BB253_305 Depth=1
	v_and_b32_e32 v17, 0xffff, v8
	v_mov_b32_e32 v1, 0x7c010000
	s_mov_b32 s24, exec_lo
	s_delay_alu instid0(VALU_DEP_2) | instskip(NEXT) | instid1(VALU_DEP_1)
	v_and_b32_e32 v21, 0x7f, v17
	v_cmpx_ne_u32_e32 0x7f, v21
	s_cbranch_execz .LBB253_320
; %bb.317:                              ;   in Loop: Header=BB253_305 Depth=1
	v_and_b32_e32 v1, 7, v17
	v_lshrrev_b32_e32 v20, 3, v21
	s_mov_b32 s25, exec_lo
	v_cmpx_gt_u32_e32 8, v21
; %bb.318:                              ;   in Loop: Header=BB253_305 Depth=1
	s_delay_alu instid0(VALU_DEP_3) | instskip(NEXT) | instid1(VALU_DEP_1)
	v_clz_i32_u32_e32 v1, v1
	v_min_u32_e32 v1, 32, v1
	s_delay_alu instid0(VALU_DEP_1) | instskip(NEXT) | instid1(VALU_DEP_1)
	v_subrev_nc_u32_e32 v20, 28, v1
	v_lshlrev_b64_e32 v[22:23], v20, v[8:9]
	s_delay_alu instid0(VALU_DEP_1)
	v_dual_sub_nc_u32 v20, 29, v1 :: v_dual_bitop2_b32 v1, 7, v22 bitop3:0x40
; %bb.319:                              ;   in Loop: Header=BB253_305 Depth=1
	s_or_b32 exec_lo, exec_lo, s25
	v_lshlrev_b32_e32 v8, 8, v17
	s_delay_alu instid0(VALU_DEP_2) | instskip(NEXT) | instid1(VALU_DEP_3)
	v_lshl_add_u32 v17, v20, 10, 0x2000
	v_lshlrev_b32_e32 v1, 23, v1
	s_delay_alu instid0(VALU_DEP_2) | instskip(NEXT) | instid1(VALU_DEP_1)
	v_and_or_b32 v8, 0x8000, v8, v17
	v_lshl_or_b32 v1, v8, 16, v1
.LBB253_320:                            ;   in Loop: Header=BB253_305 Depth=1
	s_or_b32 exec_lo, exec_lo, s24
.LBB253_321:                            ;   in Loop: Header=BB253_305 Depth=1
	s_delay_alu instid0(SALU_CYCLE_1)
	s_or_b32 exec_lo, exec_lo, s23
.LBB253_322:                            ;   in Loop: Header=BB253_305 Depth=1
	s_delay_alu instid0(SALU_CYCLE_1) | instskip(SKIP_3) | instid1(VALU_DEP_2)
	s_or_b32 exec_lo, exec_lo, s0
	v_dual_mov_b32 v17, 0 :: v_dual_lshrrev_b32 v8, 16, v18
	v_mov_b32_e32 v20, 0
	s_mov_b32 s0, exec_lo
	v_and_b32_e32 v21, 0xff, v8
	s_delay_alu instid0(VALU_DEP_1)
	v_cmpx_ne_u16_e32 0, v21
	s_cbranch_execz .LBB253_330
; %bb.323:                              ;   in Loop: Header=BB253_305 Depth=1
	v_mov_b32_e32 v20, 0x8000
	s_mov_b32 s23, exec_lo
	v_cmpx_ne_u16_e32 0x80, v21
	s_cbranch_execz .LBB253_329
; %bb.324:                              ;   in Loop: Header=BB253_305 Depth=1
	v_bfe_u32 v22, v18, 16, 7
	v_mov_b32_e32 v20, 0x7c01
	s_mov_b32 s24, exec_lo
	s_delay_alu instid0(VALU_DEP_2)
	v_cmpx_ne_u32_e32 0x7f, v22
	s_cbranch_execz .LBB253_328
; %bb.325:                              ;   in Loop: Header=BB253_305 Depth=1
	v_dual_lshrrev_b32 v21, 3, v22 :: v_dual_bitop2_b32 v20, 7, v8 bitop3:0x40
	s_mov_b32 s25, exec_lo
	v_cmpx_gt_u32_e32 8, v22
; %bb.326:                              ;   in Loop: Header=BB253_305 Depth=1
	s_delay_alu instid0(VALU_DEP_2) | instskip(NEXT) | instid1(VALU_DEP_1)
	v_clz_i32_u32_e32 v20, v20
	v_min_u32_e32 v22, 32, v20
	s_delay_alu instid0(VALU_DEP_1) | instskip(NEXT) | instid1(VALU_DEP_1)
	v_subrev_nc_u32_e32 v20, 28, v22
	v_lshlrev_b64_e32 v[20:21], v20, v[8:9]
	s_delay_alu instid0(VALU_DEP_1)
	v_dual_sub_nc_u32 v21, 29, v22 :: v_dual_bitop2_b32 v20, 7, v20 bitop3:0x40
; %bb.327:                              ;   in Loop: Header=BB253_305 Depth=1
	s_or_b32 exec_lo, exec_lo, s25
	v_lshlrev_b32_e32 v8, 8, v8
	s_delay_alu instid0(VALU_DEP_2) | instskip(NEXT) | instid1(VALU_DEP_3)
	v_lshl_add_u32 v21, v21, 10, 0x2000
	v_lshlrev_b32_e32 v20, 7, v20
	s_delay_alu instid0(VALU_DEP_3) | instskip(NEXT) | instid1(VALU_DEP_3)
	v_and_b32_e32 v8, 0x8000, v8
	v_and_b32_e32 v21, 0xfc00, v21
	s_delay_alu instid0(VALU_DEP_1)
	v_or3_b32 v20, v8, v21, v20
.LBB253_328:                            ;   in Loop: Header=BB253_305 Depth=1
	s_or_b32 exec_lo, exec_lo, s24
.LBB253_329:                            ;   in Loop: Header=BB253_305 Depth=1
	s_delay_alu instid0(SALU_CYCLE_1)
	s_or_b32 exec_lo, exec_lo, s23
.LBB253_330:                            ;   in Loop: Header=BB253_305 Depth=1
	s_delay_alu instid0(SALU_CYCLE_1) | instskip(NEXT) | instid1(SALU_CYCLE_1)
	s_or_b32 exec_lo, exec_lo, s0
	s_mov_b32 s0, exec_lo
	v_cmpx_lt_u32_e32 0xffffff, v18
	s_cbranch_execz .LBB253_338
; %bb.331:                              ;   in Loop: Header=BB253_305 Depth=1
	v_lshrrev_b32_e32 v8, 24, v18
	v_bfrev_b32_e32 v17, 1
	s_mov_b32 s23, exec_lo
	s_delay_alu instid0(VALU_DEP_2)
	v_cmpx_ne_u32_e32 0x80, v8
	s_cbranch_execz .LBB253_337
; %bb.332:                              ;   in Loop: Header=BB253_305 Depth=1
	v_and_b32_e32 v22, 0x7f, v8
	v_mov_b32_e32 v17, 0x7c010000
	s_mov_b32 s24, exec_lo
	s_delay_alu instid0(VALU_DEP_2)
	v_cmpx_ne_u32_e32 0x7f, v22
	s_cbranch_execz .LBB253_336
; %bb.333:                              ;   in Loop: Header=BB253_305 Depth=1
	v_dual_lshrrev_b32 v21, 3, v22 :: v_dual_bitop2_b32 v17, 7, v8 bitop3:0x40
	s_mov_b32 s25, exec_lo
	v_cmpx_gt_u32_e32 8, v22
; %bb.334:                              ;   in Loop: Header=BB253_305 Depth=1
	s_delay_alu instid0(VALU_DEP_2) | instskip(NEXT) | instid1(VALU_DEP_1)
	v_clz_i32_u32_e32 v17, v17
	v_min_u32_e32 v17, 32, v17
	s_delay_alu instid0(VALU_DEP_1) | instskip(NEXT) | instid1(VALU_DEP_1)
	v_subrev_nc_u32_e32 v21, 28, v17
	v_lshlrev_b64_e32 v[22:23], v21, v[8:9]
	s_delay_alu instid0(VALU_DEP_1)
	v_dual_sub_nc_u32 v21, 29, v17 :: v_dual_bitop2_b32 v17, 7, v22 bitop3:0x40
; %bb.335:                              ;   in Loop: Header=BB253_305 Depth=1
	s_or_b32 exec_lo, exec_lo, s25
	s_delay_alu instid0(VALU_DEP_1) | instskip(NEXT) | instid1(VALU_DEP_2)
	v_dual_lshlrev_b32 v8, 8, v8 :: v_dual_lshlrev_b32 v17, 23, v17
	v_lshl_add_u32 v21, v21, 10, 0x2000
	s_delay_alu instid0(VALU_DEP_1) | instskip(NEXT) | instid1(VALU_DEP_1)
	v_and_or_b32 v8, 0x8000, v8, v21
	v_lshl_or_b32 v17, v8, 16, v17
.LBB253_336:                            ;   in Loop: Header=BB253_305 Depth=1
	s_or_b32 exec_lo, exec_lo, s24
.LBB253_337:                            ;   in Loop: Header=BB253_305 Depth=1
	s_delay_alu instid0(SALU_CYCLE_1)
	s_or_b32 exec_lo, exec_lo, s23
.LBB253_338:                            ;   in Loop: Header=BB253_305 Depth=1
	s_delay_alu instid0(SALU_CYCLE_1) | instskip(SKIP_4) | instid1(VALU_DEP_3)
	s_or_b32 exec_lo, exec_lo, s0
	v_and_b32_e32 v23, 0xff, v19
	v_dual_mov_b32 v8, v19 :: v_dual_mov_b32 v22, 0
	v_mov_b32_e32 v21, 0
	s_mov_b32 s0, exec_lo
	v_cmpx_ne_u16_e32 0, v23
	s_cbranch_execz .LBB253_346
; %bb.339:                              ;   in Loop: Header=BB253_305 Depth=1
	v_mov_b32_e32 v21, 0x8000
	s_mov_b32 s23, exec_lo
	v_cmpx_ne_u16_e32 0x80, v23
	s_cbranch_execz .LBB253_345
; %bb.340:                              ;   in Loop: Header=BB253_305 Depth=1
	v_and_b32_e32 v24, 0x7f, v19
	v_mov_b32_e32 v21, 0x7c01
	s_mov_b32 s24, exec_lo
	s_delay_alu instid0(VALU_DEP_2)
	v_cmpx_ne_u32_e32 0x7f, v24
	s_cbranch_execz .LBB253_344
; %bb.341:                              ;   in Loop: Header=BB253_305 Depth=1
	v_dual_lshrrev_b32 v23, 3, v24 :: v_dual_bitop2_b32 v21, 7, v19 bitop3:0x40
	s_mov_b32 s25, exec_lo
	v_cmpx_gt_u32_e32 8, v24
; %bb.342:                              ;   in Loop: Header=BB253_305 Depth=1
	s_delay_alu instid0(VALU_DEP_2) | instskip(NEXT) | instid1(VALU_DEP_1)
	v_clz_i32_u32_e32 v21, v21
	v_min_u32_e32 v21, 32, v21
	s_delay_alu instid0(VALU_DEP_1) | instskip(NEXT) | instid1(VALU_DEP_1)
	v_subrev_nc_u32_e32 v23, 28, v21
	v_lshlrev_b64_e32 v[34:35], v23, v[8:9]
	s_delay_alu instid0(VALU_DEP_1)
	v_dual_sub_nc_u32 v23, 29, v21 :: v_dual_bitop2_b32 v21, 7, v34 bitop3:0x40
; %bb.343:                              ;   in Loop: Header=BB253_305 Depth=1
	s_or_b32 exec_lo, exec_lo, s25
	s_delay_alu instid0(VALU_DEP_1) | instskip(NEXT) | instid1(VALU_DEP_2)
	v_dual_lshlrev_b32 v24, 8, v19 :: v_dual_lshlrev_b32 v21, 7, v21
	v_lshl_add_u32 v23, v23, 10, 0x2000
	s_delay_alu instid0(VALU_DEP_2) | instskip(NEXT) | instid1(VALU_DEP_2)
	v_and_b32_e32 v24, 0x8000, v24
	v_and_b32_e32 v23, 0xfc00, v23
	s_delay_alu instid0(VALU_DEP_1)
	v_or3_b32 v21, v24, v23, v21
.LBB253_344:                            ;   in Loop: Header=BB253_305 Depth=1
	s_or_b32 exec_lo, exec_lo, s24
.LBB253_345:                            ;   in Loop: Header=BB253_305 Depth=1
	s_delay_alu instid0(SALU_CYCLE_1)
	s_or_b32 exec_lo, exec_lo, s23
.LBB253_346:                            ;   in Loop: Header=BB253_305 Depth=1
	s_delay_alu instid0(SALU_CYCLE_1) | instskip(SKIP_3) | instid1(VALU_DEP_2)
	s_or_b32 exec_lo, exec_lo, s0
	v_lshrrev_b16 v8, 8, v8
	v_mov_b32_e32 v23, 0
	s_mov_b32 s0, exec_lo
	v_cmpx_ne_u16_e32 0, v8
	s_cbranch_execz .LBB253_354
; %bb.347:                              ;   in Loop: Header=BB253_305 Depth=1
	v_bfrev_b32_e32 v23, 1
	s_mov_b32 s23, exec_lo
	v_cmpx_ne_u16_e32 0x80, v8
	s_cbranch_execz .LBB253_353
; %bb.348:                              ;   in Loop: Header=BB253_305 Depth=1
	v_and_b32_e32 v24, 0xffff, v8
	v_mov_b32_e32 v23, 0x7c010000
	s_mov_b32 s24, exec_lo
	s_delay_alu instid0(VALU_DEP_2) | instskip(NEXT) | instid1(VALU_DEP_1)
	v_and_b32_e32 v34, 0x7f, v24
	v_cmpx_ne_u32_e32 0x7f, v34
	s_cbranch_execz .LBB253_352
; %bb.349:                              ;   in Loop: Header=BB253_305 Depth=1
	v_dual_lshrrev_b32 v33, 3, v34 :: v_dual_bitop2_b32 v23, 7, v24 bitop3:0x40
	s_mov_b32 s25, exec_lo
	v_cmpx_gt_u32_e32 8, v34
; %bb.350:                              ;   in Loop: Header=BB253_305 Depth=1
	s_delay_alu instid0(VALU_DEP_2) | instskip(NEXT) | instid1(VALU_DEP_1)
	v_clz_i32_u32_e32 v23, v23
	v_min_u32_e32 v23, 32, v23
	s_delay_alu instid0(VALU_DEP_1) | instskip(NEXT) | instid1(VALU_DEP_1)
	v_subrev_nc_u32_e32 v33, 28, v23
	v_lshlrev_b64_e32 v[34:35], v33, v[8:9]
	s_delay_alu instid0(VALU_DEP_1)
	v_dual_sub_nc_u32 v33, 29, v23 :: v_dual_bitop2_b32 v23, 7, v34 bitop3:0x40
; %bb.351:                              ;   in Loop: Header=BB253_305 Depth=1
	s_or_b32 exec_lo, exec_lo, s25
	s_delay_alu instid0(VALU_DEP_1) | instskip(NEXT) | instid1(VALU_DEP_2)
	v_dual_lshlrev_b32 v8, 8, v24 :: v_dual_lshlrev_b32 v23, 23, v23
	v_lshl_add_u32 v24, v33, 10, 0x2000
	s_delay_alu instid0(VALU_DEP_1) | instskip(NEXT) | instid1(VALU_DEP_1)
	v_and_or_b32 v8, 0x8000, v8, v24
	v_lshl_or_b32 v23, v8, 16, v23
.LBB253_352:                            ;   in Loop: Header=BB253_305 Depth=1
	s_or_b32 exec_lo, exec_lo, s24
.LBB253_353:                            ;   in Loop: Header=BB253_305 Depth=1
	s_delay_alu instid0(SALU_CYCLE_1)
	s_or_b32 exec_lo, exec_lo, s23
.LBB253_354:                            ;   in Loop: Header=BB253_305 Depth=1
	s_delay_alu instid0(SALU_CYCLE_1) | instskip(SKIP_2) | instid1(VALU_DEP_1)
	s_or_b32 exec_lo, exec_lo, s0
	v_lshrrev_b32_e32 v8, 16, v19
	s_mov_b32 s0, exec_lo
	v_and_b32_e32 v24, 0xff, v8
	s_delay_alu instid0(VALU_DEP_1)
	v_cmpx_ne_u16_e32 0, v24
	s_cbranch_execz .LBB253_362
; %bb.355:                              ;   in Loop: Header=BB253_305 Depth=1
	v_mov_b32_e32 v22, 0x8000
	s_mov_b32 s23, exec_lo
	v_cmpx_ne_u16_e32 0x80, v24
	s_cbranch_execz .LBB253_361
; %bb.356:                              ;   in Loop: Header=BB253_305 Depth=1
	v_bfe_u32 v33, v19, 16, 7
	v_mov_b32_e32 v22, 0x7c01
	s_mov_b32 s24, exec_lo
	s_delay_alu instid0(VALU_DEP_2)
	v_cmpx_ne_u32_e32 0x7f, v33
	s_cbranch_execz .LBB253_360
; %bb.357:                              ;   in Loop: Header=BB253_305 Depth=1
	v_dual_lshrrev_b32 v24, 3, v33 :: v_dual_bitop2_b32 v22, 7, v8 bitop3:0x40
	s_mov_b32 s25, exec_lo
	v_cmpx_gt_u32_e32 8, v33
; %bb.358:                              ;   in Loop: Header=BB253_305 Depth=1
	s_delay_alu instid0(VALU_DEP_2) | instskip(NEXT) | instid1(VALU_DEP_1)
	v_clz_i32_u32_e32 v22, v22
	v_min_u32_e32 v22, 32, v22
	s_delay_alu instid0(VALU_DEP_1) | instskip(NEXT) | instid1(VALU_DEP_1)
	v_subrev_nc_u32_e32 v24, 28, v22
	v_lshlrev_b64_e32 v[34:35], v24, v[8:9]
	v_sub_nc_u32_e32 v24, 29, v22
	s_delay_alu instid0(VALU_DEP_2)
	v_and_b32_e32 v22, 7, v34
; %bb.359:                              ;   in Loop: Header=BB253_305 Depth=1
	s_or_b32 exec_lo, exec_lo, s25
	s_delay_alu instid0(VALU_DEP_1) | instskip(NEXT) | instid1(VALU_DEP_3)
	v_dual_lshlrev_b32 v8, 8, v8 :: v_dual_lshlrev_b32 v22, 7, v22
	v_lshl_add_u32 v24, v24, 10, 0x2000
	s_delay_alu instid0(VALU_DEP_2) | instskip(NEXT) | instid1(VALU_DEP_2)
	v_and_b32_e32 v8, 0x8000, v8
	v_and_b32_e32 v24, 0xfc00, v24
	s_delay_alu instid0(VALU_DEP_1)
	v_or3_b32 v22, v8, v24, v22
.LBB253_360:                            ;   in Loop: Header=BB253_305 Depth=1
	s_or_b32 exec_lo, exec_lo, s24
.LBB253_361:                            ;   in Loop: Header=BB253_305 Depth=1
	s_delay_alu instid0(SALU_CYCLE_1)
	s_or_b32 exec_lo, exec_lo, s23
.LBB253_362:                            ;   in Loop: Header=BB253_305 Depth=1
	s_delay_alu instid0(SALU_CYCLE_1)
	s_or_b32 exec_lo, exec_lo, s0
	v_cmp_lt_u64_e32 vcc_lo, s[8:9], v[18:19]
	v_mov_b32_e32 v18, 0
	s_and_saveexec_b32 s0, vcc_lo
	s_cbranch_execz .LBB253_370
; %bb.363:                              ;   in Loop: Header=BB253_305 Depth=1
	v_lshrrev_b32_e32 v8, 24, v19
	v_bfrev_b32_e32 v18, 1
	s_mov_b32 s23, exec_lo
	s_delay_alu instid0(VALU_DEP_2)
	v_cmpx_ne_u32_e32 0x80, v8
	s_cbranch_execz .LBB253_369
; %bb.364:                              ;   in Loop: Header=BB253_305 Depth=1
	v_and_b32_e32 v24, 0x7f, v8
	v_mov_b32_e32 v18, 0x7c010000
	s_mov_b32 s24, exec_lo
	s_delay_alu instid0(VALU_DEP_2)
	v_cmpx_ne_u32_e32 0x7f, v24
	s_cbranch_execz .LBB253_368
; %bb.365:                              ;   in Loop: Header=BB253_305 Depth=1
	v_and_b32_e32 v18, 7, v8
	v_lshrrev_b32_e32 v19, 3, v24
	s_mov_b32 s25, exec_lo
	v_cmpx_gt_u32_e32 8, v24
; %bb.366:                              ;   in Loop: Header=BB253_305 Depth=1
	s_delay_alu instid0(VALU_DEP_3) | instskip(NEXT) | instid1(VALU_DEP_1)
	v_clz_i32_u32_e32 v18, v18
	v_min_u32_e32 v24, 32, v18
	s_delay_alu instid0(VALU_DEP_1) | instskip(NEXT) | instid1(VALU_DEP_1)
	v_subrev_nc_u32_e32 v18, 28, v24
	v_lshlrev_b64_e32 v[18:19], v18, v[8:9]
	s_delay_alu instid0(VALU_DEP_1)
	v_dual_sub_nc_u32 v19, 29, v24 :: v_dual_bitop2_b32 v18, 7, v18 bitop3:0x40
; %bb.367:                              ;   in Loop: Header=BB253_305 Depth=1
	s_or_b32 exec_lo, exec_lo, s25
	s_delay_alu instid0(VALU_DEP_1) | instskip(NEXT) | instid1(VALU_DEP_2)
	v_dual_lshlrev_b32 v8, 8, v8 :: v_dual_lshlrev_b32 v18, 23, v18
	v_lshl_add_u32 v19, v19, 10, 0x2000
	s_delay_alu instid0(VALU_DEP_1) | instskip(NEXT) | instid1(VALU_DEP_1)
	v_and_or_b32 v8, 0x8000, v8, v19
	v_lshl_or_b32 v18, v8, 16, v18
.LBB253_368:                            ;   in Loop: Header=BB253_305 Depth=1
	s_or_b32 exec_lo, exec_lo, s24
.LBB253_369:                            ;   in Loop: Header=BB253_305 Depth=1
	s_delay_alu instid0(SALU_CYCLE_1)
	s_or_b32 exec_lo, exec_lo, s23
.LBB253_370:                            ;   in Loop: Header=BB253_305 Depth=1
	s_delay_alu instid0(SALU_CYCLE_1) | instskip(SKIP_3) | instid1(VALU_DEP_3)
	s_or_b32 exec_lo, exec_lo, s0
	v_dual_lshrrev_b32 v8, 16, v1 :: v_dual_bitop2_b32 v1, v1, v3 bitop3:0x54
	v_dual_lshrrev_b32 v19, 16, v17 :: v_dual_bitop2_b32 v3, v17, v20 bitop3:0x54
	v_lshrrev_b32_e32 v20, 16, v18
	v_cvt_f32_f16_e32 v35, v8
	v_dual_lshrrev_b32 v17, 16, v23 :: v_dual_bitop2_b32 v8, v18, v22 bitop3:0x54
	s_delay_alu instid0(VALU_DEP_4)
	v_cvt_f32_f16_e32 v34, v19
	v_cvt_f32_f16_e32 v18, v3
	v_or_b32_e32 v3, v23, v21
	v_cvt_f32_f16_e32 v19, v1
	v_cvt_f32_f16_e32 v21, v17
	v_pk_mul_f32 v[34:35], v[16:17], v[34:35] op_sel_hi:[0,1]
	v_cvt_f32_f16_e32 v20, v20
	v_cvt_f32_f16_e32 v22, v8
	;; [unrolled: 1-line block ×3, first 2 shown]
	v_pk_mul_f32 v[18:19], v[16:17], v[18:19] op_sel_hi:[0,1]
	v_cvt_pk_f16_f32 v1, v34, v35
	v_pk_mul_f32 v[34:35], v[16:17], v[20:21] op_sel_hi:[0,1]
	v_add_nc_u32_e32 v33, v30, v2
	v_pk_mul_f32 v[16:17], v[16:17], v[22:23] op_sel_hi:[0,1]
	v_cvt_pk_f16_f32 v3, v18, v19
	v_and_b32_e32 v21, 0xffff0000, v1
	v_cvt_pk_f16_f32 v8, v34, v35
	v_lshlrev_b32_e32 v22, 16, v1
	v_cvt_pk_f16_f32 v16, v16, v17
	v_lshrrev_b32_e32 v23, 16, v3
	v_and_b32_e32 v24, 0xffff, v3
	v_and_b32_e32 v1, 0xffff0000, v8
	v_lshlrev_b32_e32 v8, 16, v8
	s_delay_alu instid0(VALU_DEP_4) | instskip(SKIP_3) | instid1(VALU_DEP_4)
	v_dual_lshrrev_b32 v19, 16, v16 :: v_dual_bitop2_b32 v17, v21, v23 bitop3:0x54
	v_and_b32_e32 v20, 0xffff, v16
	v_cmp_eq_u32_e32 vcc_lo, s28, v32
	v_dual_add_nc_u32 v40, 2, v33 :: v_dual_bitop2_b32 v18, v22, v24 bitop3:0x54
	v_or_b32_e32 v3, v1, v19
	s_delay_alu instid0(VALU_DEP_4)
	v_or_b32_e32 v16, v8, v20
	v_or_b32_e32 v39, 1, v33
	v_or_b32_e32 v38, 3, v33
	v_or_b32_e32 v37, 4, v33
	v_or_b32_e32 v36, 6, v33
	v_or_b32_e32 v35, 5, v33
	v_or_b32_e32 v34, 7, v33
	s_and_saveexec_b32 s23, vcc_lo
	s_cbranch_execz .LBB253_372
; %bb.371:                              ;   in Loop: Header=BB253_305 Depth=1
	v_cmp_gt_i32_e64 s0, s18, v33
	s_delay_alu instid0(VALU_DEP_1) | instskip(SKIP_1) | instid1(VALU_DEP_1)
	v_cndmask_b32_e64 v3, 0, v23, s0
	v_cmp_gt_i32_e64 s0, s34, v40
	v_cndmask_b32_e64 v16, 0, v24, s0
	v_cmp_gt_i32_e64 s0, s18, v39
	s_delay_alu instid0(VALU_DEP_1) | instskip(SKIP_1) | instid1(VALU_DEP_1)
	v_cndmask_b32_e64 v17, 0, v21, s0
	v_cmp_gt_i32_e64 s0, s34, v38
	v_cndmask_b32_e64 v18, 0, v22, s0
	v_cmp_gt_i32_e64 s0, s18, v37
	s_delay_alu instid0(VALU_DEP_4) | instskip(NEXT) | instid1(VALU_DEP_2)
	v_or_b32_e32 v17, v17, v3
	v_dual_cndmask_b32 v19, 0, v19, s0 :: v_dual_bitop2_b32 v18, v18, v16 bitop3:0x54
	v_cmp_gt_i32_e64 s0, s34, v36
	s_delay_alu instid0(VALU_DEP_1) | instskip(SKIP_1) | instid1(VALU_DEP_1)
	v_cndmask_b32_e64 v20, 0, v20, s0
	v_cmp_gt_i32_e64 s0, s18, v35
	v_cndmask_b32_e64 v1, 0, v1, s0
	v_cmp_gt_i32_e64 s0, s34, v34
	s_delay_alu instid0(VALU_DEP_1) | instskip(NEXT) | instid1(VALU_DEP_1)
	v_dual_cndmask_b32 v8, 0, v8, s0 :: v_dual_bitop2_b32 v3, v1, v19 bitop3:0x54
	v_or_b32_e32 v16, v8, v20
.LBB253_372:                            ;   in Loop: Header=BB253_305 Depth=1
	s_or_b32 exec_lo, exec_lo, s23
	v_and_b32_e32 v1, 0xffff, v44
	v_and_b32_e32 v8, 0xffff, v45
	;; [unrolled: 1-line block ×4, first 2 shown]
	s_mov_b32 s23, exec_lo
	v_lshl_or_b32 v47, v41, 16, v1
	;;#ASMSTART
	v_pk_mul_f16 v1, v47, v17;

	;;#ASMEND
	v_lshl_or_b32 v45, v42, 16, v8
	v_lshl_or_b32 v44, v43, 16, v19
	;; [unrolled: 1-line block ×3, first 2 shown]
	;;#ASMSTART
	v_pk_mul_f16 v8, v45, v18;

	;;#ASMEND
	;;#ASMSTART
	v_pk_mul_f16 v3, v44, v3;

	;;#ASMEND
	;;#ASMSTART
	v_pk_mul_f16 v16, v43, v16;

	;;#ASMEND
	;;#ASMSTART
	v_pk_add_f16 v1, v1, v8;

	;;#ASMEND
	;;#ASMSTART
	v_pk_add_f16 v1, v1, v3;

	;;#ASMEND
	;; [unrolled: 4-line block ×3, first 2 shown]
	v_and_b32_e32 v3, 0xffff, v1
	v_lshrrev_b32_e32 v1, 16, v1
	;;#ASMSTART
	v_cvt_f32_f16 v46, v3;
	;;#ASMEND
	v_mov_b32_e32 v3, 0
	;;#ASMSTART
	v_cvt_f32_f16 v48, v1;
	;;#ASMEND
	global_load_b64 v[18:19], v[14:15], off offset:256
	v_mov_b32_e32 v1, 0
	global_load_b32 v16, v1, s[10:11]
	s_wait_loadcnt 0x1
	v_and_b32_e32 v8, 0xff, v18
	s_wait_xcnt 0x0
	s_delay_alu instid0(VALU_DEP_1)
	v_cmpx_ne_u16_e32 0, v8
	s_cbranch_execz .LBB253_380
; %bb.373:                              ;   in Loop: Header=BB253_305 Depth=1
	v_mov_b32_e32 v3, 0x8000
	s_mov_b32 s24, exec_lo
	v_cmpx_ne_u16_e32 0x80, v8
	s_cbranch_execz .LBB253_379
; %bb.374:                              ;   in Loop: Header=BB253_305 Depth=1
	v_and_b32_e32 v17, 0x7f, v18
	v_mov_b32_e32 v3, 0x7c01
	s_mov_b32 s25, exec_lo
	s_delay_alu instid0(VALU_DEP_2)
	v_cmpx_ne_u32_e32 0x7f, v17
	s_cbranch_execz .LBB253_378
; %bb.375:                              ;   in Loop: Header=BB253_305 Depth=1
	v_dual_lshrrev_b32 v8, 3, v17 :: v_dual_bitop2_b32 v3, 7, v18 bitop3:0x40
	s_mov_b32 s26, exec_lo
	v_cmpx_gt_u32_e32 8, v17
; %bb.376:                              ;   in Loop: Header=BB253_305 Depth=1
	s_delay_alu instid0(VALU_DEP_2) | instskip(NEXT) | instid1(VALU_DEP_1)
	v_clz_i32_u32_e32 v3, v3
	v_min_u32_e32 v3, 32, v3
	s_delay_alu instid0(VALU_DEP_1) | instskip(NEXT) | instid1(VALU_DEP_1)
	v_subrev_nc_u32_e32 v8, 28, v3
	v_lshlrev_b64_e32 v[20:21], v8, v[18:19]
	s_delay_alu instid0(VALU_DEP_1)
	v_dual_sub_nc_u32 v8, 29, v3 :: v_dual_bitop2_b32 v3, 7, v20 bitop3:0x40
; %bb.377:                              ;   in Loop: Header=BB253_305 Depth=1
	s_or_b32 exec_lo, exec_lo, s26
	s_delay_alu instid0(VALU_DEP_1) | instskip(NEXT) | instid1(VALU_DEP_2)
	v_dual_lshlrev_b32 v17, 8, v18 :: v_dual_lshlrev_b32 v3, 7, v3
	v_lshl_add_u32 v8, v8, 10, 0x2000
	s_delay_alu instid0(VALU_DEP_2) | instskip(NEXT) | instid1(VALU_DEP_2)
	v_and_b32_e32 v17, 0x8000, v17
	v_and_b32_e32 v8, 0xfc00, v8
	s_delay_alu instid0(VALU_DEP_1)
	v_or3_b32 v3, v17, v8, v3
.LBB253_378:                            ;   in Loop: Header=BB253_305 Depth=1
	s_or_b32 exec_lo, exec_lo, s25
.LBB253_379:                            ;   in Loop: Header=BB253_305 Depth=1
	s_delay_alu instid0(SALU_CYCLE_1)
	s_or_b32 exec_lo, exec_lo, s24
.LBB253_380:                            ;   in Loop: Header=BB253_305 Depth=1
	s_delay_alu instid0(SALU_CYCLE_1) | instskip(SKIP_2) | instid1(VALU_DEP_1)
	s_or_b32 exec_lo, exec_lo, s23
	v_lshrrev_b16 v8, 8, v18
	s_mov_b32 s23, exec_lo
	v_cmpx_ne_u16_e32 0, v8
	s_cbranch_execz .LBB253_388
; %bb.381:                              ;   in Loop: Header=BB253_305 Depth=1
	v_bfrev_b32_e32 v1, 1
	s_mov_b32 s24, exec_lo
	v_cmpx_ne_u16_e32 0x80, v8
	s_cbranch_execz .LBB253_387
; %bb.382:                              ;   in Loop: Header=BB253_305 Depth=1
	v_and_b32_e32 v17, 0xffff, v8
	v_mov_b32_e32 v1, 0x7c010000
	s_mov_b32 s25, exec_lo
	s_delay_alu instid0(VALU_DEP_2) | instskip(NEXT) | instid1(VALU_DEP_1)
	v_and_b32_e32 v21, 0x7f, v17
	v_cmpx_ne_u32_e32 0x7f, v21
	s_cbranch_execz .LBB253_386
; %bb.383:                              ;   in Loop: Header=BB253_305 Depth=1
	v_and_b32_e32 v1, 7, v17
	v_lshrrev_b32_e32 v20, 3, v21
	s_mov_b32 s26, exec_lo
	v_cmpx_gt_u32_e32 8, v21
; %bb.384:                              ;   in Loop: Header=BB253_305 Depth=1
	s_delay_alu instid0(VALU_DEP_3) | instskip(NEXT) | instid1(VALU_DEP_1)
	v_clz_i32_u32_e32 v1, v1
	v_min_u32_e32 v1, 32, v1
	s_delay_alu instid0(VALU_DEP_1) | instskip(NEXT) | instid1(VALU_DEP_1)
	v_subrev_nc_u32_e32 v20, 28, v1
	v_lshlrev_b64_e32 v[22:23], v20, v[8:9]
	s_delay_alu instid0(VALU_DEP_1)
	v_dual_sub_nc_u32 v20, 29, v1 :: v_dual_bitop2_b32 v1, 7, v22 bitop3:0x40
; %bb.385:                              ;   in Loop: Header=BB253_305 Depth=1
	s_or_b32 exec_lo, exec_lo, s26
	v_lshlrev_b32_e32 v8, 8, v17
	s_delay_alu instid0(VALU_DEP_2) | instskip(NEXT) | instid1(VALU_DEP_3)
	v_lshl_add_u32 v17, v20, 10, 0x2000
	v_lshlrev_b32_e32 v1, 23, v1
	s_delay_alu instid0(VALU_DEP_2) | instskip(NEXT) | instid1(VALU_DEP_1)
	v_and_or_b32 v8, 0x8000, v8, v17
	v_lshl_or_b32 v1, v8, 16, v1
.LBB253_386:                            ;   in Loop: Header=BB253_305 Depth=1
	s_or_b32 exec_lo, exec_lo, s25
.LBB253_387:                            ;   in Loop: Header=BB253_305 Depth=1
	s_delay_alu instid0(SALU_CYCLE_1)
	s_or_b32 exec_lo, exec_lo, s24
.LBB253_388:                            ;   in Loop: Header=BB253_305 Depth=1
	s_delay_alu instid0(SALU_CYCLE_1) | instskip(SKIP_3) | instid1(VALU_DEP_2)
	s_or_b32 exec_lo, exec_lo, s23
	v_dual_mov_b32 v17, 0 :: v_dual_lshrrev_b32 v8, 16, v18
	v_mov_b32_e32 v20, 0
	s_mov_b32 s23, exec_lo
	v_and_b32_e32 v21, 0xff, v8
	s_delay_alu instid0(VALU_DEP_1)
	v_cmpx_ne_u16_e32 0, v21
	s_cbranch_execz .LBB253_396
; %bb.389:                              ;   in Loop: Header=BB253_305 Depth=1
	v_mov_b32_e32 v20, 0x8000
	s_mov_b32 s24, exec_lo
	v_cmpx_ne_u16_e32 0x80, v21
	s_cbranch_execz .LBB253_395
; %bb.390:                              ;   in Loop: Header=BB253_305 Depth=1
	v_bfe_u32 v22, v18, 16, 7
	v_mov_b32_e32 v20, 0x7c01
	s_mov_b32 s25, exec_lo
	s_delay_alu instid0(VALU_DEP_2)
	v_cmpx_ne_u32_e32 0x7f, v22
	s_cbranch_execz .LBB253_394
; %bb.391:                              ;   in Loop: Header=BB253_305 Depth=1
	v_dual_lshrrev_b32 v21, 3, v22 :: v_dual_bitop2_b32 v20, 7, v8 bitop3:0x40
	s_mov_b32 s26, exec_lo
	v_cmpx_gt_u32_e32 8, v22
; %bb.392:                              ;   in Loop: Header=BB253_305 Depth=1
	s_delay_alu instid0(VALU_DEP_2) | instskip(NEXT) | instid1(VALU_DEP_1)
	v_clz_i32_u32_e32 v20, v20
	v_min_u32_e32 v22, 32, v20
	s_delay_alu instid0(VALU_DEP_1) | instskip(NEXT) | instid1(VALU_DEP_1)
	v_subrev_nc_u32_e32 v20, 28, v22
	v_lshlrev_b64_e32 v[20:21], v20, v[8:9]
	s_delay_alu instid0(VALU_DEP_1)
	v_dual_sub_nc_u32 v21, 29, v22 :: v_dual_bitop2_b32 v20, 7, v20 bitop3:0x40
; %bb.393:                              ;   in Loop: Header=BB253_305 Depth=1
	s_or_b32 exec_lo, exec_lo, s26
	v_lshlrev_b32_e32 v8, 8, v8
	s_delay_alu instid0(VALU_DEP_2) | instskip(NEXT) | instid1(VALU_DEP_3)
	v_lshl_add_u32 v21, v21, 10, 0x2000
	v_lshlrev_b32_e32 v20, 7, v20
	s_delay_alu instid0(VALU_DEP_3) | instskip(NEXT) | instid1(VALU_DEP_3)
	v_and_b32_e32 v8, 0x8000, v8
	v_and_b32_e32 v21, 0xfc00, v21
	s_delay_alu instid0(VALU_DEP_1)
	v_or3_b32 v20, v8, v21, v20
.LBB253_394:                            ;   in Loop: Header=BB253_305 Depth=1
	s_or_b32 exec_lo, exec_lo, s25
.LBB253_395:                            ;   in Loop: Header=BB253_305 Depth=1
	s_delay_alu instid0(SALU_CYCLE_1)
	s_or_b32 exec_lo, exec_lo, s24
.LBB253_396:                            ;   in Loop: Header=BB253_305 Depth=1
	s_delay_alu instid0(SALU_CYCLE_1) | instskip(NEXT) | instid1(SALU_CYCLE_1)
	s_or_b32 exec_lo, exec_lo, s23
	s_mov_b32 s23, exec_lo
	v_cmpx_lt_u32_e32 0xffffff, v18
	s_cbranch_execz .LBB253_404
; %bb.397:                              ;   in Loop: Header=BB253_305 Depth=1
	v_lshrrev_b32_e32 v8, 24, v18
	v_bfrev_b32_e32 v17, 1
	s_mov_b32 s24, exec_lo
	s_delay_alu instid0(VALU_DEP_2)
	v_cmpx_ne_u32_e32 0x80, v8
	s_cbranch_execz .LBB253_403
; %bb.398:                              ;   in Loop: Header=BB253_305 Depth=1
	v_and_b32_e32 v22, 0x7f, v8
	v_mov_b32_e32 v17, 0x7c010000
	s_mov_b32 s25, exec_lo
	s_delay_alu instid0(VALU_DEP_2)
	v_cmpx_ne_u32_e32 0x7f, v22
	s_cbranch_execz .LBB253_402
; %bb.399:                              ;   in Loop: Header=BB253_305 Depth=1
	v_dual_lshrrev_b32 v21, 3, v22 :: v_dual_bitop2_b32 v17, 7, v8 bitop3:0x40
	s_mov_b32 s26, exec_lo
	v_cmpx_gt_u32_e32 8, v22
; %bb.400:                              ;   in Loop: Header=BB253_305 Depth=1
	s_delay_alu instid0(VALU_DEP_2) | instskip(NEXT) | instid1(VALU_DEP_1)
	v_clz_i32_u32_e32 v17, v17
	v_min_u32_e32 v17, 32, v17
	s_delay_alu instid0(VALU_DEP_1) | instskip(NEXT) | instid1(VALU_DEP_1)
	v_subrev_nc_u32_e32 v21, 28, v17
	v_lshlrev_b64_e32 v[22:23], v21, v[8:9]
	s_delay_alu instid0(VALU_DEP_1)
	v_dual_sub_nc_u32 v21, 29, v17 :: v_dual_bitop2_b32 v17, 7, v22 bitop3:0x40
; %bb.401:                              ;   in Loop: Header=BB253_305 Depth=1
	s_or_b32 exec_lo, exec_lo, s26
	s_delay_alu instid0(VALU_DEP_1) | instskip(NEXT) | instid1(VALU_DEP_2)
	v_dual_lshlrev_b32 v8, 8, v8 :: v_dual_lshlrev_b32 v17, 23, v17
	v_lshl_add_u32 v21, v21, 10, 0x2000
	s_delay_alu instid0(VALU_DEP_1) | instskip(NEXT) | instid1(VALU_DEP_1)
	v_and_or_b32 v8, 0x8000, v8, v21
	v_lshl_or_b32 v17, v8, 16, v17
.LBB253_402:                            ;   in Loop: Header=BB253_305 Depth=1
	s_or_b32 exec_lo, exec_lo, s25
.LBB253_403:                            ;   in Loop: Header=BB253_305 Depth=1
	s_delay_alu instid0(SALU_CYCLE_1)
	s_or_b32 exec_lo, exec_lo, s24
.LBB253_404:                            ;   in Loop: Header=BB253_305 Depth=1
	s_delay_alu instid0(SALU_CYCLE_1) | instskip(SKIP_4) | instid1(VALU_DEP_3)
	s_or_b32 exec_lo, exec_lo, s23
	v_and_b32_e32 v23, 0xff, v19
	v_dual_mov_b32 v8, v19 :: v_dual_mov_b32 v22, 0
	v_mov_b32_e32 v21, 0
	s_mov_b32 s23, exec_lo
	v_cmpx_ne_u16_e32 0, v23
	s_cbranch_execz .LBB253_412
; %bb.405:                              ;   in Loop: Header=BB253_305 Depth=1
	v_mov_b32_e32 v21, 0x8000
	s_mov_b32 s24, exec_lo
	v_cmpx_ne_u16_e32 0x80, v23
	s_cbranch_execz .LBB253_411
; %bb.406:                              ;   in Loop: Header=BB253_305 Depth=1
	v_and_b32_e32 v24, 0x7f, v19
	v_mov_b32_e32 v21, 0x7c01
	s_mov_b32 s25, exec_lo
	s_delay_alu instid0(VALU_DEP_2)
	v_cmpx_ne_u32_e32 0x7f, v24
	s_cbranch_execz .LBB253_410
; %bb.407:                              ;   in Loop: Header=BB253_305 Depth=1
	v_dual_lshrrev_b32 v23, 3, v24 :: v_dual_bitop2_b32 v21, 7, v19 bitop3:0x40
	s_mov_b32 s26, exec_lo
	v_cmpx_gt_u32_e32 8, v24
; %bb.408:                              ;   in Loop: Header=BB253_305 Depth=1
	s_delay_alu instid0(VALU_DEP_2) | instskip(NEXT) | instid1(VALU_DEP_1)
	v_clz_i32_u32_e32 v21, v21
	v_min_u32_e32 v21, 32, v21
	s_delay_alu instid0(VALU_DEP_1) | instskip(NEXT) | instid1(VALU_DEP_1)
	v_subrev_nc_u32_e32 v23, 28, v21
	v_lshlrev_b64_e32 v[50:51], v23, v[8:9]
	s_delay_alu instid0(VALU_DEP_1)
	v_dual_sub_nc_u32 v23, 29, v21 :: v_dual_bitop2_b32 v21, 7, v50 bitop3:0x40
; %bb.409:                              ;   in Loop: Header=BB253_305 Depth=1
	s_or_b32 exec_lo, exec_lo, s26
	s_delay_alu instid0(VALU_DEP_1) | instskip(NEXT) | instid1(VALU_DEP_2)
	v_dual_lshlrev_b32 v24, 8, v19 :: v_dual_lshlrev_b32 v21, 7, v21
	v_lshl_add_u32 v23, v23, 10, 0x2000
	s_delay_alu instid0(VALU_DEP_2) | instskip(NEXT) | instid1(VALU_DEP_2)
	v_and_b32_e32 v24, 0x8000, v24
	v_and_b32_e32 v23, 0xfc00, v23
	s_delay_alu instid0(VALU_DEP_1)
	v_or3_b32 v21, v24, v23, v21
.LBB253_410:                            ;   in Loop: Header=BB253_305 Depth=1
	s_or_b32 exec_lo, exec_lo, s25
.LBB253_411:                            ;   in Loop: Header=BB253_305 Depth=1
	s_delay_alu instid0(SALU_CYCLE_1)
	s_or_b32 exec_lo, exec_lo, s24
.LBB253_412:                            ;   in Loop: Header=BB253_305 Depth=1
	s_delay_alu instid0(SALU_CYCLE_1) | instskip(SKIP_3) | instid1(VALU_DEP_2)
	s_or_b32 exec_lo, exec_lo, s23
	v_lshrrev_b16 v8, 8, v8
	v_mov_b32_e32 v23, 0
	s_mov_b32 s23, exec_lo
	v_cmpx_ne_u16_e32 0, v8
	s_cbranch_execz .LBB253_420
; %bb.413:                              ;   in Loop: Header=BB253_305 Depth=1
	v_bfrev_b32_e32 v23, 1
	s_mov_b32 s24, exec_lo
	v_cmpx_ne_u16_e32 0x80, v8
	s_cbranch_execz .LBB253_419
; %bb.414:                              ;   in Loop: Header=BB253_305 Depth=1
	v_and_b32_e32 v24, 0xffff, v8
	v_mov_b32_e32 v23, 0x7c010000
	s_mov_b32 s25, exec_lo
	s_delay_alu instid0(VALU_DEP_2) | instskip(NEXT) | instid1(VALU_DEP_1)
	v_and_b32_e32 v42, 0x7f, v24
	v_cmpx_ne_u32_e32 0x7f, v42
	s_cbranch_execz .LBB253_418
; %bb.415:                              ;   in Loop: Header=BB253_305 Depth=1
	v_dual_lshrrev_b32 v41, 3, v42 :: v_dual_bitop2_b32 v23, 7, v24 bitop3:0x40
	s_mov_b32 s26, exec_lo
	v_cmpx_gt_u32_e32 8, v42
; %bb.416:                              ;   in Loop: Header=BB253_305 Depth=1
	s_delay_alu instid0(VALU_DEP_2) | instskip(NEXT) | instid1(VALU_DEP_1)
	v_clz_i32_u32_e32 v23, v23
	v_min_u32_e32 v23, 32, v23
	s_delay_alu instid0(VALU_DEP_1) | instskip(NEXT) | instid1(VALU_DEP_1)
	v_subrev_nc_u32_e32 v41, 28, v23
	v_lshlrev_b64_e32 v[50:51], v41, v[8:9]
	s_delay_alu instid0(VALU_DEP_1)
	v_dual_sub_nc_u32 v41, 29, v23 :: v_dual_bitop2_b32 v23, 7, v50 bitop3:0x40
; %bb.417:                              ;   in Loop: Header=BB253_305 Depth=1
	s_or_b32 exec_lo, exec_lo, s26
	s_delay_alu instid0(VALU_DEP_1) | instskip(NEXT) | instid1(VALU_DEP_2)
	v_dual_lshlrev_b32 v8, 8, v24 :: v_dual_lshlrev_b32 v23, 23, v23
	v_lshl_add_u32 v24, v41, 10, 0x2000
	s_delay_alu instid0(VALU_DEP_1) | instskip(NEXT) | instid1(VALU_DEP_1)
	v_and_or_b32 v8, 0x8000, v8, v24
	v_lshl_or_b32 v23, v8, 16, v23
.LBB253_418:                            ;   in Loop: Header=BB253_305 Depth=1
	s_or_b32 exec_lo, exec_lo, s25
.LBB253_419:                            ;   in Loop: Header=BB253_305 Depth=1
	s_delay_alu instid0(SALU_CYCLE_1)
	s_or_b32 exec_lo, exec_lo, s24
.LBB253_420:                            ;   in Loop: Header=BB253_305 Depth=1
	s_delay_alu instid0(SALU_CYCLE_1) | instskip(SKIP_2) | instid1(VALU_DEP_1)
	s_or_b32 exec_lo, exec_lo, s23
	v_lshrrev_b32_e32 v8, 16, v19
	s_mov_b32 s23, exec_lo
	v_and_b32_e32 v24, 0xff, v8
	s_delay_alu instid0(VALU_DEP_1)
	v_cmpx_ne_u16_e32 0, v24
	s_cbranch_execz .LBB253_428
; %bb.421:                              ;   in Loop: Header=BB253_305 Depth=1
	v_mov_b32_e32 v22, 0x8000
	s_mov_b32 s24, exec_lo
	v_cmpx_ne_u16_e32 0x80, v24
	s_cbranch_execz .LBB253_427
; %bb.422:                              ;   in Loop: Header=BB253_305 Depth=1
	v_bfe_u32 v41, v19, 16, 7
	v_mov_b32_e32 v22, 0x7c01
	s_mov_b32 s25, exec_lo
	s_delay_alu instid0(VALU_DEP_2)
	v_cmpx_ne_u32_e32 0x7f, v41
	s_cbranch_execz .LBB253_426
; %bb.423:                              ;   in Loop: Header=BB253_305 Depth=1
	v_dual_lshrrev_b32 v24, 3, v41 :: v_dual_bitop2_b32 v22, 7, v8 bitop3:0x40
	s_mov_b32 s26, exec_lo
	v_cmpx_gt_u32_e32 8, v41
; %bb.424:                              ;   in Loop: Header=BB253_305 Depth=1
	s_delay_alu instid0(VALU_DEP_2) | instskip(NEXT) | instid1(VALU_DEP_1)
	v_clz_i32_u32_e32 v22, v22
	v_min_u32_e32 v22, 32, v22
	s_delay_alu instid0(VALU_DEP_1) | instskip(NEXT) | instid1(VALU_DEP_1)
	v_subrev_nc_u32_e32 v24, 28, v22
	v_lshlrev_b64_e32 v[50:51], v24, v[8:9]
	v_sub_nc_u32_e32 v24, 29, v22
	s_delay_alu instid0(VALU_DEP_2)
	v_and_b32_e32 v22, 7, v50
; %bb.425:                              ;   in Loop: Header=BB253_305 Depth=1
	s_or_b32 exec_lo, exec_lo, s26
	s_delay_alu instid0(VALU_DEP_1) | instskip(NEXT) | instid1(VALU_DEP_3)
	v_dual_lshlrev_b32 v8, 8, v8 :: v_dual_lshlrev_b32 v22, 7, v22
	v_lshl_add_u32 v24, v24, 10, 0x2000
	s_delay_alu instid0(VALU_DEP_2) | instskip(NEXT) | instid1(VALU_DEP_2)
	v_and_b32_e32 v8, 0x8000, v8
	v_and_b32_e32 v24, 0xfc00, v24
	s_delay_alu instid0(VALU_DEP_1)
	v_or3_b32 v22, v8, v24, v22
.LBB253_426:                            ;   in Loop: Header=BB253_305 Depth=1
	s_or_b32 exec_lo, exec_lo, s25
.LBB253_427:                            ;   in Loop: Header=BB253_305 Depth=1
	s_delay_alu instid0(SALU_CYCLE_1)
	s_or_b32 exec_lo, exec_lo, s24
.LBB253_428:                            ;   in Loop: Header=BB253_305 Depth=1
	s_delay_alu instid0(SALU_CYCLE_1)
	s_or_b32 exec_lo, exec_lo, s23
	v_cmp_lt_u64_e64 s0, s[8:9], v[18:19]
	v_mov_b32_e32 v18, 0
	s_and_saveexec_b32 s23, s0
	s_cbranch_execz .LBB253_436
; %bb.429:                              ;   in Loop: Header=BB253_305 Depth=1
	v_lshrrev_b32_e32 v8, 24, v19
	v_bfrev_b32_e32 v18, 1
	s_mov_b32 s24, exec_lo
	s_delay_alu instid0(VALU_DEP_2)
	v_cmpx_ne_u32_e32 0x80, v8
	s_cbranch_execz .LBB253_435
; %bb.430:                              ;   in Loop: Header=BB253_305 Depth=1
	v_and_b32_e32 v24, 0x7f, v8
	v_mov_b32_e32 v18, 0x7c010000
	s_mov_b32 s25, exec_lo
	s_delay_alu instid0(VALU_DEP_2)
	v_cmpx_ne_u32_e32 0x7f, v24
	s_cbranch_execz .LBB253_434
; %bb.431:                              ;   in Loop: Header=BB253_305 Depth=1
	v_and_b32_e32 v18, 7, v8
	v_lshrrev_b32_e32 v19, 3, v24
	s_mov_b32 s26, exec_lo
	v_cmpx_gt_u32_e32 8, v24
; %bb.432:                              ;   in Loop: Header=BB253_305 Depth=1
	s_delay_alu instid0(VALU_DEP_3) | instskip(NEXT) | instid1(VALU_DEP_1)
	v_clz_i32_u32_e32 v18, v18
	v_min_u32_e32 v24, 32, v18
	s_delay_alu instid0(VALU_DEP_1) | instskip(NEXT) | instid1(VALU_DEP_1)
	v_subrev_nc_u32_e32 v18, 28, v24
	v_lshlrev_b64_e32 v[18:19], v18, v[8:9]
	s_delay_alu instid0(VALU_DEP_1)
	v_dual_sub_nc_u32 v19, 29, v24 :: v_dual_bitop2_b32 v18, 7, v18 bitop3:0x40
; %bb.433:                              ;   in Loop: Header=BB253_305 Depth=1
	s_or_b32 exec_lo, exec_lo, s26
	s_delay_alu instid0(VALU_DEP_1) | instskip(NEXT) | instid1(VALU_DEP_2)
	v_dual_lshlrev_b32 v8, 8, v8 :: v_dual_lshlrev_b32 v18, 23, v18
	v_lshl_add_u32 v19, v19, 10, 0x2000
	s_delay_alu instid0(VALU_DEP_1) | instskip(NEXT) | instid1(VALU_DEP_1)
	v_and_or_b32 v8, 0x8000, v8, v19
	v_lshl_or_b32 v18, v8, 16, v18
.LBB253_434:                            ;   in Loop: Header=BB253_305 Depth=1
	s_or_b32 exec_lo, exec_lo, s25
.LBB253_435:                            ;   in Loop: Header=BB253_305 Depth=1
	s_delay_alu instid0(SALU_CYCLE_1)
	s_or_b32 exec_lo, exec_lo, s24
.LBB253_436:                            ;   in Loop: Header=BB253_305 Depth=1
	s_delay_alu instid0(SALU_CYCLE_1) | instskip(SKIP_3) | instid1(VALU_DEP_3)
	s_or_b32 exec_lo, exec_lo, s23
	v_dual_lshrrev_b32 v8, 16, v1 :: v_dual_bitop2_b32 v1, v1, v3 bitop3:0x54
	v_dual_lshrrev_b32 v19, 16, v17 :: v_dual_bitop2_b32 v3, v17, v20 bitop3:0x54
	v_lshrrev_b32_e32 v20, 16, v18
	v_cvt_f32_f16_e32 v51, v8
	v_dual_lshrrev_b32 v17, 16, v23 :: v_dual_bitop2_b32 v8, v18, v22 bitop3:0x54
	s_delay_alu instid0(VALU_DEP_4)
	v_cvt_f32_f16_e32 v50, v19
	v_cvt_f32_f16_e32 v18, v3
	v_or_b32_e32 v3, v23, v21
	v_cvt_f32_f16_e32 v19, v1
	v_cvt_f32_f16_e32 v21, v17
	s_wait_loadcnt 0x0
	v_pk_mul_f32 v[50:51], v[16:17], v[50:51] op_sel_hi:[0,1]
	v_cvt_f32_f16_e32 v20, v20
	v_cvt_f32_f16_e32 v22, v8
	;; [unrolled: 1-line block ×3, first 2 shown]
	v_pk_mul_f32 v[18:19], v[16:17], v[18:19] op_sel_hi:[0,1]
	v_cvt_pk_f16_f32 v1, v50, v51
	v_pk_mul_f32 v[20:21], v[16:17], v[20:21] op_sel_hi:[0,1]
	s_delay_alu instid0(VALU_DEP_4) | instskip(NEXT) | instid1(VALU_DEP_4)
	v_pk_mul_f32 v[22:23], v[16:17], v[22:23] op_sel_hi:[0,1]
	v_cvt_pk_f16_f32 v3, v18, v19
	s_delay_alu instid0(VALU_DEP_4) | instskip(NEXT) | instid1(VALU_DEP_4)
	v_and_b32_e32 v17, 0xffff0000, v1
	v_cvt_pk_f16_f32 v8, v20, v21
	v_lshlrev_b32_e32 v18, 16, v1
	v_cvt_pk_f16_f32 v16, v22, v23
	v_lshrrev_b32_e32 v23, 16, v3
	v_and_b32_e32 v24, 0xffff, v3
	v_and_b32_e32 v1, 0xffff0000, v8
	s_delay_alu instid0(VALU_DEP_3) | instskip(SKIP_3) | instid1(VALU_DEP_2)
	v_dual_lshlrev_b32 v8, 16, v8 :: v_dual_bitop2_b32 v21, v17, v23 bitop3:0x54
	v_lshrrev_b32_e32 v3, 16, v16
	v_and_b32_e32 v16, 0xffff, v16
	v_or_b32_e32 v22, v18, v24
	v_or_b32_e32 v20, v8, v16
	s_delay_alu instid0(VALU_DEP_4)
	v_or_b32_e32 v19, v1, v3
	s_and_saveexec_b32 s23, vcc_lo
	s_cbranch_execz .LBB253_438
; %bb.437:                              ;   in Loop: Header=BB253_305 Depth=1
	v_cmp_gt_i32_e64 s0, s18, v33
	s_delay_alu instid0(VALU_DEP_1) | instskip(SKIP_1) | instid1(VALU_DEP_1)
	v_cndmask_b32_e64 v19, 0, v23, s0
	v_cmp_gt_i32_e64 s0, s34, v40
	v_cndmask_b32_e64 v20, 0, v24, s0
	v_cmp_gt_i32_e64 s0, s18, v39
	s_delay_alu instid0(VALU_DEP_1) | instskip(SKIP_1) | instid1(VALU_DEP_1)
	v_cndmask_b32_e64 v17, 0, v17, s0
	v_cmp_gt_i32_e64 s0, s34, v38
	v_cndmask_b32_e64 v18, 0, v18, s0
	v_cmp_gt_i32_e64 s0, s18, v37
	s_delay_alu instid0(VALU_DEP_4) | instskip(NEXT) | instid1(VALU_DEP_2)
	v_or_b32_e32 v21, v17, v19
	v_dual_cndmask_b32 v3, 0, v3, s0 :: v_dual_bitop2_b32 v22, v18, v20 bitop3:0x54
	v_cmp_gt_i32_e64 s0, s34, v36
	s_delay_alu instid0(VALU_DEP_1) | instskip(SKIP_1) | instid1(VALU_DEP_1)
	v_cndmask_b32_e64 v16, 0, v16, s0
	v_cmp_gt_i32_e64 s0, s18, v35
	v_cndmask_b32_e64 v1, 0, v1, s0
	v_cmp_gt_i32_e64 s0, s34, v34
	s_delay_alu instid0(VALU_DEP_1) | instskip(NEXT) | instid1(VALU_DEP_1)
	v_dual_cndmask_b32 v8, 0, v8, s0 :: v_dual_bitop2_b32 v19, v1, v3 bitop3:0x54
	v_or_b32_e32 v20, v8, v16
.LBB253_438:                            ;   in Loop: Header=BB253_305 Depth=1
	s_or_b32 exec_lo, exec_lo, s23
	;;#ASMSTART
	v_pk_mul_f16 v1, v47, v21;

	;;#ASMEND
	;;#ASMSTART
	v_pk_mul_f16 v3, v45, v22;

	;;#ASMEND
	;; [unrolled: 4-line block ×4, first 2 shown]
	;;#ASMSTART
	v_pk_add_f16 v1, v1, v3;

	;;#ASMEND
	;;#ASMSTART
	v_pk_add_f16 v1, v1, v8;

	;;#ASMEND
	;; [unrolled: 4-line block ×3, first 2 shown]
	v_and_b32_e32 v3, 0xffff, v1
	v_lshrrev_b32_e32 v1, 16, v1
	;;#ASMSTART
	v_cvt_f32_f16 v49, v3;
	;;#ASMEND
	v_mov_b32_e32 v3, 0
	;;#ASMSTART
	v_cvt_f32_f16 v50, v1;
	;;#ASMEND
	global_load_b64 v[18:19], v[14:15], off offset:512
	v_mov_b32_e32 v1, 0
	s_mov_b32 s23, exec_lo
	global_load_b32 v16, v1, s[10:11]
	s_wait_loadcnt 0x1
	v_and_b32_e32 v8, 0xff, v18
	s_wait_xcnt 0x0
	s_delay_alu instid0(VALU_DEP_1)
	v_cmpx_ne_u16_e32 0, v8
	s_cbranch_execz .LBB253_446
; %bb.439:                              ;   in Loop: Header=BB253_305 Depth=1
	v_mov_b32_e32 v3, 0x8000
	s_mov_b32 s24, exec_lo
	v_cmpx_ne_u16_e32 0x80, v8
	s_cbranch_execz .LBB253_445
; %bb.440:                              ;   in Loop: Header=BB253_305 Depth=1
	v_and_b32_e32 v17, 0x7f, v18
	v_mov_b32_e32 v3, 0x7c01
	s_mov_b32 s25, exec_lo
	s_delay_alu instid0(VALU_DEP_2)
	v_cmpx_ne_u32_e32 0x7f, v17
	s_cbranch_execz .LBB253_444
; %bb.441:                              ;   in Loop: Header=BB253_305 Depth=1
	v_dual_lshrrev_b32 v8, 3, v17 :: v_dual_bitop2_b32 v3, 7, v18 bitop3:0x40
	s_mov_b32 s26, exec_lo
	v_cmpx_gt_u32_e32 8, v17
; %bb.442:                              ;   in Loop: Header=BB253_305 Depth=1
	s_delay_alu instid0(VALU_DEP_2) | instskip(NEXT) | instid1(VALU_DEP_1)
	v_clz_i32_u32_e32 v3, v3
	v_min_u32_e32 v3, 32, v3
	s_delay_alu instid0(VALU_DEP_1) | instskip(NEXT) | instid1(VALU_DEP_1)
	v_subrev_nc_u32_e32 v8, 28, v3
	v_lshlrev_b64_e32 v[20:21], v8, v[18:19]
	s_delay_alu instid0(VALU_DEP_1)
	v_dual_sub_nc_u32 v8, 29, v3 :: v_dual_bitop2_b32 v3, 7, v20 bitop3:0x40
; %bb.443:                              ;   in Loop: Header=BB253_305 Depth=1
	s_or_b32 exec_lo, exec_lo, s26
	s_delay_alu instid0(VALU_DEP_1) | instskip(NEXT) | instid1(VALU_DEP_2)
	v_dual_lshlrev_b32 v17, 8, v18 :: v_dual_lshlrev_b32 v3, 7, v3
	v_lshl_add_u32 v8, v8, 10, 0x2000
	s_delay_alu instid0(VALU_DEP_2) | instskip(NEXT) | instid1(VALU_DEP_2)
	v_and_b32_e32 v17, 0x8000, v17
	v_and_b32_e32 v8, 0xfc00, v8
	s_delay_alu instid0(VALU_DEP_1)
	v_or3_b32 v3, v17, v8, v3
.LBB253_444:                            ;   in Loop: Header=BB253_305 Depth=1
	s_or_b32 exec_lo, exec_lo, s25
.LBB253_445:                            ;   in Loop: Header=BB253_305 Depth=1
	s_delay_alu instid0(SALU_CYCLE_1)
	s_or_b32 exec_lo, exec_lo, s24
.LBB253_446:                            ;   in Loop: Header=BB253_305 Depth=1
	s_delay_alu instid0(SALU_CYCLE_1) | instskip(SKIP_2) | instid1(VALU_DEP_1)
	s_or_b32 exec_lo, exec_lo, s23
	v_lshrrev_b16 v8, 8, v18
	s_mov_b32 s23, exec_lo
	v_cmpx_ne_u16_e32 0, v8
	s_cbranch_execz .LBB253_454
; %bb.447:                              ;   in Loop: Header=BB253_305 Depth=1
	v_bfrev_b32_e32 v1, 1
	s_mov_b32 s24, exec_lo
	v_cmpx_ne_u16_e32 0x80, v8
	s_cbranch_execz .LBB253_453
; %bb.448:                              ;   in Loop: Header=BB253_305 Depth=1
	v_and_b32_e32 v17, 0xffff, v8
	v_mov_b32_e32 v1, 0x7c010000
	s_mov_b32 s25, exec_lo
	s_delay_alu instid0(VALU_DEP_2) | instskip(NEXT) | instid1(VALU_DEP_1)
	v_and_b32_e32 v21, 0x7f, v17
	v_cmpx_ne_u32_e32 0x7f, v21
	s_cbranch_execz .LBB253_452
; %bb.449:                              ;   in Loop: Header=BB253_305 Depth=1
	v_and_b32_e32 v1, 7, v17
	v_lshrrev_b32_e32 v20, 3, v21
	s_mov_b32 s26, exec_lo
	v_cmpx_gt_u32_e32 8, v21
; %bb.450:                              ;   in Loop: Header=BB253_305 Depth=1
	s_delay_alu instid0(VALU_DEP_3) | instskip(NEXT) | instid1(VALU_DEP_1)
	v_clz_i32_u32_e32 v1, v1
	v_min_u32_e32 v1, 32, v1
	s_delay_alu instid0(VALU_DEP_1) | instskip(NEXT) | instid1(VALU_DEP_1)
	v_subrev_nc_u32_e32 v20, 28, v1
	v_lshlrev_b64_e32 v[22:23], v20, v[8:9]
	s_delay_alu instid0(VALU_DEP_1)
	v_dual_sub_nc_u32 v20, 29, v1 :: v_dual_bitop2_b32 v1, 7, v22 bitop3:0x40
; %bb.451:                              ;   in Loop: Header=BB253_305 Depth=1
	s_or_b32 exec_lo, exec_lo, s26
	v_lshlrev_b32_e32 v8, 8, v17
	s_delay_alu instid0(VALU_DEP_2) | instskip(NEXT) | instid1(VALU_DEP_3)
	v_lshl_add_u32 v17, v20, 10, 0x2000
	v_lshlrev_b32_e32 v1, 23, v1
	s_delay_alu instid0(VALU_DEP_2) | instskip(NEXT) | instid1(VALU_DEP_1)
	v_and_or_b32 v8, 0x8000, v8, v17
	v_lshl_or_b32 v1, v8, 16, v1
.LBB253_452:                            ;   in Loop: Header=BB253_305 Depth=1
	s_or_b32 exec_lo, exec_lo, s25
.LBB253_453:                            ;   in Loop: Header=BB253_305 Depth=1
	s_delay_alu instid0(SALU_CYCLE_1)
	s_or_b32 exec_lo, exec_lo, s24
.LBB253_454:                            ;   in Loop: Header=BB253_305 Depth=1
	s_delay_alu instid0(SALU_CYCLE_1) | instskip(SKIP_3) | instid1(VALU_DEP_2)
	s_or_b32 exec_lo, exec_lo, s23
	v_dual_mov_b32 v17, 0 :: v_dual_lshrrev_b32 v8, 16, v18
	v_mov_b32_e32 v20, 0
	s_mov_b32 s23, exec_lo
	v_and_b32_e32 v21, 0xff, v8
	s_delay_alu instid0(VALU_DEP_1)
	v_cmpx_ne_u16_e32 0, v21
	s_cbranch_execz .LBB253_462
; %bb.455:                              ;   in Loop: Header=BB253_305 Depth=1
	v_mov_b32_e32 v20, 0x8000
	s_mov_b32 s24, exec_lo
	v_cmpx_ne_u16_e32 0x80, v21
	s_cbranch_execz .LBB253_461
; %bb.456:                              ;   in Loop: Header=BB253_305 Depth=1
	v_bfe_u32 v22, v18, 16, 7
	v_mov_b32_e32 v20, 0x7c01
	s_mov_b32 s25, exec_lo
	s_delay_alu instid0(VALU_DEP_2)
	v_cmpx_ne_u32_e32 0x7f, v22
	s_cbranch_execz .LBB253_460
; %bb.457:                              ;   in Loop: Header=BB253_305 Depth=1
	v_dual_lshrrev_b32 v21, 3, v22 :: v_dual_bitop2_b32 v20, 7, v8 bitop3:0x40
	s_mov_b32 s26, exec_lo
	v_cmpx_gt_u32_e32 8, v22
; %bb.458:                              ;   in Loop: Header=BB253_305 Depth=1
	s_delay_alu instid0(VALU_DEP_2) | instskip(NEXT) | instid1(VALU_DEP_1)
	v_clz_i32_u32_e32 v20, v20
	v_min_u32_e32 v22, 32, v20
	s_delay_alu instid0(VALU_DEP_1) | instskip(NEXT) | instid1(VALU_DEP_1)
	v_subrev_nc_u32_e32 v20, 28, v22
	v_lshlrev_b64_e32 v[20:21], v20, v[8:9]
	s_delay_alu instid0(VALU_DEP_1)
	v_dual_sub_nc_u32 v21, 29, v22 :: v_dual_bitop2_b32 v20, 7, v20 bitop3:0x40
; %bb.459:                              ;   in Loop: Header=BB253_305 Depth=1
	s_or_b32 exec_lo, exec_lo, s26
	v_lshlrev_b32_e32 v8, 8, v8
	s_delay_alu instid0(VALU_DEP_2) | instskip(NEXT) | instid1(VALU_DEP_3)
	v_lshl_add_u32 v21, v21, 10, 0x2000
	v_lshlrev_b32_e32 v20, 7, v20
	s_delay_alu instid0(VALU_DEP_3) | instskip(NEXT) | instid1(VALU_DEP_3)
	v_and_b32_e32 v8, 0x8000, v8
	v_and_b32_e32 v21, 0xfc00, v21
	s_delay_alu instid0(VALU_DEP_1)
	v_or3_b32 v20, v8, v21, v20
.LBB253_460:                            ;   in Loop: Header=BB253_305 Depth=1
	s_or_b32 exec_lo, exec_lo, s25
.LBB253_461:                            ;   in Loop: Header=BB253_305 Depth=1
	s_delay_alu instid0(SALU_CYCLE_1)
	s_or_b32 exec_lo, exec_lo, s24
.LBB253_462:                            ;   in Loop: Header=BB253_305 Depth=1
	s_delay_alu instid0(SALU_CYCLE_1) | instskip(NEXT) | instid1(SALU_CYCLE_1)
	s_or_b32 exec_lo, exec_lo, s23
	s_mov_b32 s23, exec_lo
	v_cmpx_lt_u32_e32 0xffffff, v18
	s_cbranch_execz .LBB253_470
; %bb.463:                              ;   in Loop: Header=BB253_305 Depth=1
	v_lshrrev_b32_e32 v8, 24, v18
	v_bfrev_b32_e32 v17, 1
	s_mov_b32 s24, exec_lo
	s_delay_alu instid0(VALU_DEP_2)
	v_cmpx_ne_u32_e32 0x80, v8
	s_cbranch_execz .LBB253_469
; %bb.464:                              ;   in Loop: Header=BB253_305 Depth=1
	v_and_b32_e32 v22, 0x7f, v8
	v_mov_b32_e32 v17, 0x7c010000
	s_mov_b32 s25, exec_lo
	s_delay_alu instid0(VALU_DEP_2)
	v_cmpx_ne_u32_e32 0x7f, v22
	s_cbranch_execz .LBB253_468
; %bb.465:                              ;   in Loop: Header=BB253_305 Depth=1
	v_dual_lshrrev_b32 v21, 3, v22 :: v_dual_bitop2_b32 v17, 7, v8 bitop3:0x40
	s_mov_b32 s26, exec_lo
	v_cmpx_gt_u32_e32 8, v22
; %bb.466:                              ;   in Loop: Header=BB253_305 Depth=1
	s_delay_alu instid0(VALU_DEP_2) | instskip(NEXT) | instid1(VALU_DEP_1)
	v_clz_i32_u32_e32 v17, v17
	v_min_u32_e32 v17, 32, v17
	s_delay_alu instid0(VALU_DEP_1) | instskip(NEXT) | instid1(VALU_DEP_1)
	v_subrev_nc_u32_e32 v21, 28, v17
	v_lshlrev_b64_e32 v[22:23], v21, v[8:9]
	s_delay_alu instid0(VALU_DEP_1)
	v_dual_sub_nc_u32 v21, 29, v17 :: v_dual_bitop2_b32 v17, 7, v22 bitop3:0x40
; %bb.467:                              ;   in Loop: Header=BB253_305 Depth=1
	s_or_b32 exec_lo, exec_lo, s26
	s_delay_alu instid0(VALU_DEP_1) | instskip(NEXT) | instid1(VALU_DEP_2)
	v_dual_lshlrev_b32 v8, 8, v8 :: v_dual_lshlrev_b32 v17, 23, v17
	v_lshl_add_u32 v21, v21, 10, 0x2000
	s_delay_alu instid0(VALU_DEP_1) | instskip(NEXT) | instid1(VALU_DEP_1)
	v_and_or_b32 v8, 0x8000, v8, v21
	v_lshl_or_b32 v17, v8, 16, v17
.LBB253_468:                            ;   in Loop: Header=BB253_305 Depth=1
	s_or_b32 exec_lo, exec_lo, s25
.LBB253_469:                            ;   in Loop: Header=BB253_305 Depth=1
	s_delay_alu instid0(SALU_CYCLE_1)
	s_or_b32 exec_lo, exec_lo, s24
.LBB253_470:                            ;   in Loop: Header=BB253_305 Depth=1
	s_delay_alu instid0(SALU_CYCLE_1) | instskip(SKIP_4) | instid1(VALU_DEP_3)
	s_or_b32 exec_lo, exec_lo, s23
	v_and_b32_e32 v23, 0xff, v19
	v_dual_mov_b32 v8, v19 :: v_dual_mov_b32 v22, 0
	v_mov_b32_e32 v21, 0
	s_mov_b32 s23, exec_lo
	v_cmpx_ne_u16_e32 0, v23
	s_cbranch_execz .LBB253_478
; %bb.471:                              ;   in Loop: Header=BB253_305 Depth=1
	v_mov_b32_e32 v21, 0x8000
	s_mov_b32 s24, exec_lo
	v_cmpx_ne_u16_e32 0x80, v23
	s_cbranch_execz .LBB253_477
; %bb.472:                              ;   in Loop: Header=BB253_305 Depth=1
	v_and_b32_e32 v24, 0x7f, v19
	v_mov_b32_e32 v21, 0x7c01
	s_mov_b32 s25, exec_lo
	s_delay_alu instid0(VALU_DEP_2)
	v_cmpx_ne_u32_e32 0x7f, v24
	s_cbranch_execz .LBB253_476
; %bb.473:                              ;   in Loop: Header=BB253_305 Depth=1
	v_dual_lshrrev_b32 v23, 3, v24 :: v_dual_bitop2_b32 v21, 7, v19 bitop3:0x40
	s_mov_b32 s26, exec_lo
	v_cmpx_gt_u32_e32 8, v24
; %bb.474:                              ;   in Loop: Header=BB253_305 Depth=1
	s_delay_alu instid0(VALU_DEP_2) | instskip(NEXT) | instid1(VALU_DEP_1)
	v_clz_i32_u32_e32 v21, v21
	v_min_u32_e32 v21, 32, v21
	s_delay_alu instid0(VALU_DEP_1) | instskip(NEXT) | instid1(VALU_DEP_1)
	v_subrev_nc_u32_e32 v23, 28, v21
	v_lshlrev_b64_e32 v[52:53], v23, v[8:9]
	s_delay_alu instid0(VALU_DEP_1)
	v_dual_sub_nc_u32 v23, 29, v21 :: v_dual_bitop2_b32 v21, 7, v52 bitop3:0x40
; %bb.475:                              ;   in Loop: Header=BB253_305 Depth=1
	s_or_b32 exec_lo, exec_lo, s26
	s_delay_alu instid0(VALU_DEP_1) | instskip(NEXT) | instid1(VALU_DEP_2)
	v_dual_lshlrev_b32 v24, 8, v19 :: v_dual_lshlrev_b32 v21, 7, v21
	v_lshl_add_u32 v23, v23, 10, 0x2000
	s_delay_alu instid0(VALU_DEP_2) | instskip(NEXT) | instid1(VALU_DEP_2)
	v_and_b32_e32 v24, 0x8000, v24
	v_and_b32_e32 v23, 0xfc00, v23
	s_delay_alu instid0(VALU_DEP_1)
	v_or3_b32 v21, v24, v23, v21
.LBB253_476:                            ;   in Loop: Header=BB253_305 Depth=1
	s_or_b32 exec_lo, exec_lo, s25
.LBB253_477:                            ;   in Loop: Header=BB253_305 Depth=1
	s_delay_alu instid0(SALU_CYCLE_1)
	s_or_b32 exec_lo, exec_lo, s24
.LBB253_478:                            ;   in Loop: Header=BB253_305 Depth=1
	s_delay_alu instid0(SALU_CYCLE_1) | instskip(SKIP_3) | instid1(VALU_DEP_2)
	s_or_b32 exec_lo, exec_lo, s23
	v_lshrrev_b16 v8, 8, v8
	v_mov_b32_e32 v23, 0
	s_mov_b32 s23, exec_lo
	v_cmpx_ne_u16_e32 0, v8
	s_cbranch_execz .LBB253_486
; %bb.479:                              ;   in Loop: Header=BB253_305 Depth=1
	v_bfrev_b32_e32 v23, 1
	s_mov_b32 s24, exec_lo
	v_cmpx_ne_u16_e32 0x80, v8
	s_cbranch_execz .LBB253_485
; %bb.480:                              ;   in Loop: Header=BB253_305 Depth=1
	v_and_b32_e32 v24, 0xffff, v8
	v_mov_b32_e32 v23, 0x7c010000
	s_mov_b32 s25, exec_lo
	s_delay_alu instid0(VALU_DEP_2) | instskip(NEXT) | instid1(VALU_DEP_1)
	v_and_b32_e32 v42, 0x7f, v24
	v_cmpx_ne_u32_e32 0x7f, v42
	s_cbranch_execz .LBB253_484
; %bb.481:                              ;   in Loop: Header=BB253_305 Depth=1
	v_dual_lshrrev_b32 v41, 3, v42 :: v_dual_bitop2_b32 v23, 7, v24 bitop3:0x40
	s_mov_b32 s26, exec_lo
	v_cmpx_gt_u32_e32 8, v42
; %bb.482:                              ;   in Loop: Header=BB253_305 Depth=1
	s_delay_alu instid0(VALU_DEP_2) | instskip(NEXT) | instid1(VALU_DEP_1)
	v_clz_i32_u32_e32 v23, v23
	v_min_u32_e32 v23, 32, v23
	s_delay_alu instid0(VALU_DEP_1) | instskip(NEXT) | instid1(VALU_DEP_1)
	v_subrev_nc_u32_e32 v41, 28, v23
	v_lshlrev_b64_e32 v[52:53], v41, v[8:9]
	s_delay_alu instid0(VALU_DEP_1)
	v_dual_sub_nc_u32 v41, 29, v23 :: v_dual_bitop2_b32 v23, 7, v52 bitop3:0x40
; %bb.483:                              ;   in Loop: Header=BB253_305 Depth=1
	s_or_b32 exec_lo, exec_lo, s26
	s_delay_alu instid0(VALU_DEP_1) | instskip(NEXT) | instid1(VALU_DEP_2)
	v_dual_lshlrev_b32 v8, 8, v24 :: v_dual_lshlrev_b32 v23, 23, v23
	v_lshl_add_u32 v24, v41, 10, 0x2000
	s_delay_alu instid0(VALU_DEP_1) | instskip(NEXT) | instid1(VALU_DEP_1)
	v_and_or_b32 v8, 0x8000, v8, v24
	v_lshl_or_b32 v23, v8, 16, v23
.LBB253_484:                            ;   in Loop: Header=BB253_305 Depth=1
	s_or_b32 exec_lo, exec_lo, s25
.LBB253_485:                            ;   in Loop: Header=BB253_305 Depth=1
	s_delay_alu instid0(SALU_CYCLE_1)
	s_or_b32 exec_lo, exec_lo, s24
.LBB253_486:                            ;   in Loop: Header=BB253_305 Depth=1
	s_delay_alu instid0(SALU_CYCLE_1) | instskip(SKIP_2) | instid1(VALU_DEP_1)
	s_or_b32 exec_lo, exec_lo, s23
	v_lshrrev_b32_e32 v8, 16, v19
	s_mov_b32 s23, exec_lo
	v_and_b32_e32 v24, 0xff, v8
	s_delay_alu instid0(VALU_DEP_1)
	v_cmpx_ne_u16_e32 0, v24
	s_cbranch_execz .LBB253_494
; %bb.487:                              ;   in Loop: Header=BB253_305 Depth=1
	v_mov_b32_e32 v22, 0x8000
	s_mov_b32 s24, exec_lo
	v_cmpx_ne_u16_e32 0x80, v24
	s_cbranch_execz .LBB253_493
; %bb.488:                              ;   in Loop: Header=BB253_305 Depth=1
	v_bfe_u32 v41, v19, 16, 7
	v_mov_b32_e32 v22, 0x7c01
	s_mov_b32 s25, exec_lo
	s_delay_alu instid0(VALU_DEP_2)
	v_cmpx_ne_u32_e32 0x7f, v41
	s_cbranch_execz .LBB253_492
; %bb.489:                              ;   in Loop: Header=BB253_305 Depth=1
	v_dual_lshrrev_b32 v24, 3, v41 :: v_dual_bitop2_b32 v22, 7, v8 bitop3:0x40
	s_mov_b32 s26, exec_lo
	v_cmpx_gt_u32_e32 8, v41
; %bb.490:                              ;   in Loop: Header=BB253_305 Depth=1
	s_delay_alu instid0(VALU_DEP_2) | instskip(NEXT) | instid1(VALU_DEP_1)
	v_clz_i32_u32_e32 v22, v22
	v_min_u32_e32 v22, 32, v22
	s_delay_alu instid0(VALU_DEP_1) | instskip(NEXT) | instid1(VALU_DEP_1)
	v_subrev_nc_u32_e32 v24, 28, v22
	v_lshlrev_b64_e32 v[52:53], v24, v[8:9]
	s_delay_alu instid0(VALU_DEP_1)
	v_dual_sub_nc_u32 v24, 29, v22 :: v_dual_bitop2_b32 v22, 7, v52 bitop3:0x40
; %bb.491:                              ;   in Loop: Header=BB253_305 Depth=1
	s_or_b32 exec_lo, exec_lo, s26
	s_delay_alu instid0(VALU_DEP_1) | instskip(NEXT) | instid1(VALU_DEP_2)
	v_dual_lshlrev_b32 v8, 8, v8 :: v_dual_lshlrev_b32 v22, 7, v22
	v_lshl_add_u32 v24, v24, 10, 0x2000
	s_delay_alu instid0(VALU_DEP_2) | instskip(NEXT) | instid1(VALU_DEP_2)
	v_and_b32_e32 v8, 0x8000, v8
	v_and_b32_e32 v24, 0xfc00, v24
	s_delay_alu instid0(VALU_DEP_1)
	v_or3_b32 v22, v8, v24, v22
.LBB253_492:                            ;   in Loop: Header=BB253_305 Depth=1
	s_or_b32 exec_lo, exec_lo, s25
.LBB253_493:                            ;   in Loop: Header=BB253_305 Depth=1
	s_delay_alu instid0(SALU_CYCLE_1)
	s_or_b32 exec_lo, exec_lo, s24
.LBB253_494:                            ;   in Loop: Header=BB253_305 Depth=1
	s_delay_alu instid0(SALU_CYCLE_1)
	s_or_b32 exec_lo, exec_lo, s23
	v_cmp_lt_u64_e64 s0, s[8:9], v[18:19]
	v_mov_b32_e32 v18, 0
	s_and_saveexec_b32 s23, s0
	s_cbranch_execz .LBB253_502
; %bb.495:                              ;   in Loop: Header=BB253_305 Depth=1
	v_lshrrev_b32_e32 v8, 24, v19
	v_bfrev_b32_e32 v18, 1
	s_mov_b32 s24, exec_lo
	s_delay_alu instid0(VALU_DEP_2)
	v_cmpx_ne_u32_e32 0x80, v8
	s_cbranch_execz .LBB253_501
; %bb.496:                              ;   in Loop: Header=BB253_305 Depth=1
	v_and_b32_e32 v24, 0x7f, v8
	v_mov_b32_e32 v18, 0x7c010000
	s_mov_b32 s25, exec_lo
	s_delay_alu instid0(VALU_DEP_2)
	v_cmpx_ne_u32_e32 0x7f, v24
	s_cbranch_execz .LBB253_500
; %bb.497:                              ;   in Loop: Header=BB253_305 Depth=1
	v_and_b32_e32 v18, 7, v8
	v_lshrrev_b32_e32 v19, 3, v24
	s_mov_b32 s26, exec_lo
	v_cmpx_gt_u32_e32 8, v24
; %bb.498:                              ;   in Loop: Header=BB253_305 Depth=1
	s_delay_alu instid0(VALU_DEP_3) | instskip(NEXT) | instid1(VALU_DEP_1)
	v_clz_i32_u32_e32 v18, v18
	v_min_u32_e32 v24, 32, v18
	s_delay_alu instid0(VALU_DEP_1) | instskip(NEXT) | instid1(VALU_DEP_1)
	v_subrev_nc_u32_e32 v18, 28, v24
	v_lshlrev_b64_e32 v[18:19], v18, v[8:9]
	s_delay_alu instid0(VALU_DEP_1)
	v_dual_sub_nc_u32 v19, 29, v24 :: v_dual_bitop2_b32 v18, 7, v18 bitop3:0x40
; %bb.499:                              ;   in Loop: Header=BB253_305 Depth=1
	s_or_b32 exec_lo, exec_lo, s26
	s_delay_alu instid0(VALU_DEP_1) | instskip(NEXT) | instid1(VALU_DEP_2)
	v_dual_lshlrev_b32 v8, 8, v8 :: v_dual_lshlrev_b32 v18, 23, v18
	v_lshl_add_u32 v19, v19, 10, 0x2000
	s_delay_alu instid0(VALU_DEP_1) | instskip(NEXT) | instid1(VALU_DEP_1)
	v_and_or_b32 v8, 0x8000, v8, v19
	v_lshl_or_b32 v18, v8, 16, v18
.LBB253_500:                            ;   in Loop: Header=BB253_305 Depth=1
	s_or_b32 exec_lo, exec_lo, s25
.LBB253_501:                            ;   in Loop: Header=BB253_305 Depth=1
	s_delay_alu instid0(SALU_CYCLE_1)
	s_or_b32 exec_lo, exec_lo, s24
.LBB253_502:                            ;   in Loop: Header=BB253_305 Depth=1
	s_delay_alu instid0(SALU_CYCLE_1) | instskip(SKIP_3) | instid1(VALU_DEP_3)
	s_or_b32 exec_lo, exec_lo, s23
	v_dual_lshrrev_b32 v8, 16, v1 :: v_dual_bitop2_b32 v1, v1, v3 bitop3:0x54
	v_dual_lshrrev_b32 v19, 16, v17 :: v_dual_bitop2_b32 v3, v17, v20 bitop3:0x54
	v_lshrrev_b32_e32 v20, 16, v18
	v_cvt_f32_f16_e32 v53, v8
	v_dual_lshrrev_b32 v17, 16, v23 :: v_dual_bitop2_b32 v8, v18, v22 bitop3:0x54
	s_delay_alu instid0(VALU_DEP_4)
	v_cvt_f32_f16_e32 v52, v19
	v_cvt_f32_f16_e32 v18, v3
	v_or_b32_e32 v3, v23, v21
	v_cvt_f32_f16_e32 v19, v1
	v_cvt_f32_f16_e32 v21, v17
	s_wait_loadcnt 0x0
	v_pk_mul_f32 v[52:53], v[16:17], v[52:53] op_sel_hi:[0,1]
	v_cvt_f32_f16_e32 v20, v20
	v_cvt_f32_f16_e32 v22, v8
	;; [unrolled: 1-line block ×3, first 2 shown]
	v_pk_mul_f32 v[18:19], v[16:17], v[18:19] op_sel_hi:[0,1]
	v_cvt_pk_f16_f32 v1, v52, v53
	v_pk_mul_f32 v[20:21], v[16:17], v[20:21] op_sel_hi:[0,1]
	s_delay_alu instid0(VALU_DEP_4) | instskip(NEXT) | instid1(VALU_DEP_4)
	v_pk_mul_f32 v[22:23], v[16:17], v[22:23] op_sel_hi:[0,1]
	v_cvt_pk_f16_f32 v3, v18, v19
	s_delay_alu instid0(VALU_DEP_4) | instskip(NEXT) | instid1(VALU_DEP_4)
	v_and_b32_e32 v17, 0xffff0000, v1
	v_cvt_pk_f16_f32 v8, v20, v21
	v_lshlrev_b32_e32 v18, 16, v1
	v_cvt_pk_f16_f32 v16, v22, v23
	v_lshrrev_b32_e32 v23, 16, v3
	v_and_b32_e32 v24, 0xffff, v3
	v_and_b32_e32 v1, 0xffff0000, v8
	s_delay_alu instid0(VALU_DEP_3) | instskip(SKIP_3) | instid1(VALU_DEP_2)
	v_dual_lshlrev_b32 v8, 16, v8 :: v_dual_bitop2_b32 v21, v17, v23 bitop3:0x54
	v_lshrrev_b32_e32 v3, 16, v16
	v_and_b32_e32 v16, 0xffff, v16
	v_or_b32_e32 v22, v18, v24
	v_or_b32_e32 v20, v8, v16
	s_delay_alu instid0(VALU_DEP_4)
	v_or_b32_e32 v19, v1, v3
	s_and_saveexec_b32 s23, vcc_lo
	s_cbranch_execz .LBB253_504
; %bb.503:                              ;   in Loop: Header=BB253_305 Depth=1
	v_cmp_gt_i32_e64 s0, s18, v33
	s_delay_alu instid0(VALU_DEP_1) | instskip(SKIP_1) | instid1(VALU_DEP_1)
	v_cndmask_b32_e64 v19, 0, v23, s0
	v_cmp_gt_i32_e64 s0, s34, v40
	v_cndmask_b32_e64 v20, 0, v24, s0
	v_cmp_gt_i32_e64 s0, s18, v39
	s_delay_alu instid0(VALU_DEP_1) | instskip(SKIP_1) | instid1(VALU_DEP_1)
	v_cndmask_b32_e64 v17, 0, v17, s0
	v_cmp_gt_i32_e64 s0, s34, v38
	v_cndmask_b32_e64 v18, 0, v18, s0
	v_cmp_gt_i32_e64 s0, s18, v37
	s_delay_alu instid0(VALU_DEP_4) | instskip(NEXT) | instid1(VALU_DEP_2)
	v_or_b32_e32 v21, v17, v19
	v_dual_cndmask_b32 v3, 0, v3, s0 :: v_dual_bitop2_b32 v22, v18, v20 bitop3:0x54
	v_cmp_gt_i32_e64 s0, s34, v36
	s_delay_alu instid0(VALU_DEP_1) | instskip(SKIP_1) | instid1(VALU_DEP_1)
	v_cndmask_b32_e64 v16, 0, v16, s0
	v_cmp_gt_i32_e64 s0, s18, v35
	v_cndmask_b32_e64 v1, 0, v1, s0
	v_cmp_gt_i32_e64 s0, s34, v34
	s_delay_alu instid0(VALU_DEP_1) | instskip(NEXT) | instid1(VALU_DEP_1)
	v_dual_cndmask_b32 v8, 0, v8, s0 :: v_dual_bitop2_b32 v19, v1, v3 bitop3:0x54
	v_or_b32_e32 v20, v8, v16
.LBB253_504:                            ;   in Loop: Header=BB253_305 Depth=1
	s_or_b32 exec_lo, exec_lo, s23
	;;#ASMSTART
	v_pk_mul_f16 v1, v47, v21;

	;;#ASMEND
	;;#ASMSTART
	v_pk_mul_f16 v3, v45, v22;

	;;#ASMEND
	;; [unrolled: 4-line block ×4, first 2 shown]
	;;#ASMSTART
	v_pk_add_f16 v1, v1, v3;

	;;#ASMEND
	;;#ASMSTART
	v_pk_add_f16 v1, v1, v8;

	;;#ASMEND
	;; [unrolled: 4-line block ×3, first 2 shown]
	v_and_b32_e32 v3, 0xffff, v1
	v_lshrrev_b32_e32 v1, 16, v1
	;;#ASMSTART
	v_cvt_f32_f16 v41, v3;
	;;#ASMEND
	v_mov_b32_e32 v3, 0
	;;#ASMSTART
	v_cvt_f32_f16 v42, v1;
	;;#ASMEND
	global_load_b64 v[16:17], v[14:15], off offset:768
	v_mov_b32_e32 v1, 0
	s_mov_b32 s23, exec_lo
	global_load_b32 v14, v1, s[10:11]
	s_wait_loadcnt 0x1
	v_and_b32_e32 v8, 0xff, v16
	s_wait_xcnt 0x0
	s_delay_alu instid0(VALU_DEP_1)
	v_cmpx_ne_u16_e32 0, v8
	s_cbranch_execz .LBB253_512
; %bb.505:                              ;   in Loop: Header=BB253_305 Depth=1
	v_mov_b32_e32 v3, 0x8000
	s_mov_b32 s24, exec_lo
	v_cmpx_ne_u16_e32 0x80, v8
	s_cbranch_execz .LBB253_511
; %bb.506:                              ;   in Loop: Header=BB253_305 Depth=1
	v_and_b32_e32 v15, 0x7f, v16
	v_mov_b32_e32 v3, 0x7c01
	s_mov_b32 s25, exec_lo
	s_delay_alu instid0(VALU_DEP_2)
	v_cmpx_ne_u32_e32 0x7f, v15
	s_cbranch_execz .LBB253_510
; %bb.507:                              ;   in Loop: Header=BB253_305 Depth=1
	v_dual_lshrrev_b32 v8, 3, v15 :: v_dual_bitop2_b32 v3, 7, v16 bitop3:0x40
	s_mov_b32 s26, exec_lo
	v_cmpx_gt_u32_e32 8, v15
; %bb.508:                              ;   in Loop: Header=BB253_305 Depth=1
	s_delay_alu instid0(VALU_DEP_2) | instskip(NEXT) | instid1(VALU_DEP_1)
	v_clz_i32_u32_e32 v3, v3
	v_min_u32_e32 v3, 32, v3
	s_delay_alu instid0(VALU_DEP_1) | instskip(NEXT) | instid1(VALU_DEP_1)
	v_subrev_nc_u32_e32 v8, 28, v3
	v_lshlrev_b64_e32 v[18:19], v8, v[16:17]
	s_delay_alu instid0(VALU_DEP_1)
	v_dual_sub_nc_u32 v8, 29, v3 :: v_dual_bitop2_b32 v3, 7, v18 bitop3:0x40
; %bb.509:                              ;   in Loop: Header=BB253_305 Depth=1
	s_or_b32 exec_lo, exec_lo, s26
	s_delay_alu instid0(VALU_DEP_1) | instskip(NEXT) | instid1(VALU_DEP_2)
	v_dual_lshlrev_b32 v15, 8, v16 :: v_dual_lshlrev_b32 v3, 7, v3
	v_lshl_add_u32 v8, v8, 10, 0x2000
	s_delay_alu instid0(VALU_DEP_2) | instskip(NEXT) | instid1(VALU_DEP_2)
	v_and_b32_e32 v15, 0x8000, v15
	v_and_b32_e32 v8, 0xfc00, v8
	s_delay_alu instid0(VALU_DEP_1)
	v_or3_b32 v3, v15, v8, v3
.LBB253_510:                            ;   in Loop: Header=BB253_305 Depth=1
	s_or_b32 exec_lo, exec_lo, s25
.LBB253_511:                            ;   in Loop: Header=BB253_305 Depth=1
	s_delay_alu instid0(SALU_CYCLE_1)
	s_or_b32 exec_lo, exec_lo, s24
.LBB253_512:                            ;   in Loop: Header=BB253_305 Depth=1
	s_delay_alu instid0(SALU_CYCLE_1) | instskip(SKIP_2) | instid1(VALU_DEP_1)
	s_or_b32 exec_lo, exec_lo, s23
	v_lshrrev_b16 v8, 8, v16
	s_mov_b32 s23, exec_lo
	v_cmpx_ne_u16_e32 0, v8
	s_cbranch_execz .LBB253_520
; %bb.513:                              ;   in Loop: Header=BB253_305 Depth=1
	v_bfrev_b32_e32 v1, 1
	s_mov_b32 s24, exec_lo
	v_cmpx_ne_u16_e32 0x80, v8
	s_cbranch_execz .LBB253_519
; %bb.514:                              ;   in Loop: Header=BB253_305 Depth=1
	v_and_b32_e32 v15, 0xffff, v8
	v_mov_b32_e32 v1, 0x7c010000
	s_mov_b32 s25, exec_lo
	s_delay_alu instid0(VALU_DEP_2) | instskip(NEXT) | instid1(VALU_DEP_1)
	v_and_b32_e32 v19, 0x7f, v15
	v_cmpx_ne_u32_e32 0x7f, v19
	s_cbranch_execz .LBB253_518
; %bb.515:                              ;   in Loop: Header=BB253_305 Depth=1
	v_and_b32_e32 v1, 7, v15
	v_lshrrev_b32_e32 v18, 3, v19
	s_mov_b32 s26, exec_lo
	v_cmpx_gt_u32_e32 8, v19
; %bb.516:                              ;   in Loop: Header=BB253_305 Depth=1
	s_delay_alu instid0(VALU_DEP_3) | instskip(NEXT) | instid1(VALU_DEP_1)
	v_clz_i32_u32_e32 v1, v1
	v_min_u32_e32 v1, 32, v1
	s_delay_alu instid0(VALU_DEP_1) | instskip(NEXT) | instid1(VALU_DEP_1)
	v_subrev_nc_u32_e32 v18, 28, v1
	v_lshlrev_b64_e32 v[20:21], v18, v[8:9]
	s_delay_alu instid0(VALU_DEP_1)
	v_dual_sub_nc_u32 v18, 29, v1 :: v_dual_bitop2_b32 v1, 7, v20 bitop3:0x40
; %bb.517:                              ;   in Loop: Header=BB253_305 Depth=1
	s_or_b32 exec_lo, exec_lo, s26
	s_delay_alu instid0(VALU_DEP_1) | instskip(NEXT) | instid1(VALU_DEP_2)
	v_dual_lshlrev_b32 v8, 8, v15 :: v_dual_lshlrev_b32 v1, 23, v1
	v_lshl_add_u32 v15, v18, 10, 0x2000
	s_delay_alu instid0(VALU_DEP_1) | instskip(NEXT) | instid1(VALU_DEP_1)
	v_and_or_b32 v8, 0x8000, v8, v15
	v_lshl_or_b32 v1, v8, 16, v1
.LBB253_518:                            ;   in Loop: Header=BB253_305 Depth=1
	s_or_b32 exec_lo, exec_lo, s25
.LBB253_519:                            ;   in Loop: Header=BB253_305 Depth=1
	s_delay_alu instid0(SALU_CYCLE_1)
	s_or_b32 exec_lo, exec_lo, s24
.LBB253_520:                            ;   in Loop: Header=BB253_305 Depth=1
	s_delay_alu instid0(SALU_CYCLE_1) | instskip(SKIP_3) | instid1(VALU_DEP_2)
	s_or_b32 exec_lo, exec_lo, s23
	v_dual_mov_b32 v15, 0 :: v_dual_lshrrev_b32 v8, 16, v16
	v_mov_b32_e32 v18, 0
	s_mov_b32 s23, exec_lo
	v_and_b32_e32 v19, 0xff, v8
	s_delay_alu instid0(VALU_DEP_1)
	v_cmpx_ne_u16_e32 0, v19
	s_cbranch_execz .LBB253_528
; %bb.521:                              ;   in Loop: Header=BB253_305 Depth=1
	v_mov_b32_e32 v18, 0x8000
	s_mov_b32 s24, exec_lo
	v_cmpx_ne_u16_e32 0x80, v19
	s_cbranch_execz .LBB253_527
; %bb.522:                              ;   in Loop: Header=BB253_305 Depth=1
	v_bfe_u32 v20, v16, 16, 7
	v_mov_b32_e32 v18, 0x7c01
	s_mov_b32 s25, exec_lo
	s_delay_alu instid0(VALU_DEP_2)
	v_cmpx_ne_u32_e32 0x7f, v20
	s_cbranch_execz .LBB253_526
; %bb.523:                              ;   in Loop: Header=BB253_305 Depth=1
	v_and_b32_e32 v18, 7, v8
	v_lshrrev_b32_e32 v19, 3, v20
	s_mov_b32 s26, exec_lo
	v_cmpx_gt_u32_e32 8, v20
; %bb.524:                              ;   in Loop: Header=BB253_305 Depth=1
	s_delay_alu instid0(VALU_DEP_3) | instskip(NEXT) | instid1(VALU_DEP_1)
	v_clz_i32_u32_e32 v18, v18
	v_min_u32_e32 v20, 32, v18
	s_delay_alu instid0(VALU_DEP_1) | instskip(NEXT) | instid1(VALU_DEP_1)
	v_subrev_nc_u32_e32 v18, 28, v20
	v_lshlrev_b64_e32 v[18:19], v18, v[8:9]
	s_delay_alu instid0(VALU_DEP_1)
	v_dual_sub_nc_u32 v19, 29, v20 :: v_dual_bitop2_b32 v18, 7, v18 bitop3:0x40
; %bb.525:                              ;   in Loop: Header=BB253_305 Depth=1
	s_or_b32 exec_lo, exec_lo, s26
	s_delay_alu instid0(VALU_DEP_1) | instskip(NEXT) | instid1(VALU_DEP_2)
	v_dual_lshlrev_b32 v8, 8, v8 :: v_dual_lshlrev_b32 v18, 7, v18
	v_lshl_add_u32 v19, v19, 10, 0x2000
	s_delay_alu instid0(VALU_DEP_2) | instskip(NEXT) | instid1(VALU_DEP_2)
	v_and_b32_e32 v8, 0x8000, v8
	v_and_b32_e32 v19, 0xfc00, v19
	s_delay_alu instid0(VALU_DEP_1)
	v_or3_b32 v18, v8, v19, v18
.LBB253_526:                            ;   in Loop: Header=BB253_305 Depth=1
	s_or_b32 exec_lo, exec_lo, s25
.LBB253_527:                            ;   in Loop: Header=BB253_305 Depth=1
	s_delay_alu instid0(SALU_CYCLE_1)
	s_or_b32 exec_lo, exec_lo, s24
.LBB253_528:                            ;   in Loop: Header=BB253_305 Depth=1
	s_delay_alu instid0(SALU_CYCLE_1) | instskip(NEXT) | instid1(SALU_CYCLE_1)
	s_or_b32 exec_lo, exec_lo, s23
	s_mov_b32 s23, exec_lo
	v_cmpx_lt_u32_e32 0xffffff, v16
	s_cbranch_execz .LBB253_536
; %bb.529:                              ;   in Loop: Header=BB253_305 Depth=1
	v_lshrrev_b32_e32 v8, 24, v16
	v_bfrev_b32_e32 v15, 1
	s_mov_b32 s24, exec_lo
	s_delay_alu instid0(VALU_DEP_2)
	v_cmpx_ne_u32_e32 0x80, v8
	s_cbranch_execz .LBB253_535
; %bb.530:                              ;   in Loop: Header=BB253_305 Depth=1
	v_and_b32_e32 v20, 0x7f, v8
	v_mov_b32_e32 v15, 0x7c010000
	s_mov_b32 s25, exec_lo
	s_delay_alu instid0(VALU_DEP_2)
	v_cmpx_ne_u32_e32 0x7f, v20
	s_cbranch_execz .LBB253_534
; %bb.531:                              ;   in Loop: Header=BB253_305 Depth=1
	v_and_b32_e32 v15, 7, v8
	v_lshrrev_b32_e32 v19, 3, v20
	s_mov_b32 s26, exec_lo
	v_cmpx_gt_u32_e32 8, v20
; %bb.532:                              ;   in Loop: Header=BB253_305 Depth=1
	s_delay_alu instid0(VALU_DEP_3) | instskip(NEXT) | instid1(VALU_DEP_1)
	v_clz_i32_u32_e32 v15, v15
	v_min_u32_e32 v15, 32, v15
	s_delay_alu instid0(VALU_DEP_1) | instskip(NEXT) | instid1(VALU_DEP_1)
	v_subrev_nc_u32_e32 v19, 28, v15
	v_lshlrev_b64_e32 v[20:21], v19, v[8:9]
	s_delay_alu instid0(VALU_DEP_1)
	v_dual_sub_nc_u32 v19, 29, v15 :: v_dual_bitop2_b32 v15, 7, v20 bitop3:0x40
; %bb.533:                              ;   in Loop: Header=BB253_305 Depth=1
	s_or_b32 exec_lo, exec_lo, s26
	s_delay_alu instid0(VALU_DEP_1) | instskip(NEXT) | instid1(VALU_DEP_2)
	v_dual_lshlrev_b32 v8, 8, v8 :: v_dual_lshlrev_b32 v15, 23, v15
	v_lshl_add_u32 v19, v19, 10, 0x2000
	s_delay_alu instid0(VALU_DEP_1) | instskip(NEXT) | instid1(VALU_DEP_1)
	v_and_or_b32 v8, 0x8000, v8, v19
	v_lshl_or_b32 v15, v8, 16, v15
.LBB253_534:                            ;   in Loop: Header=BB253_305 Depth=1
	s_or_b32 exec_lo, exec_lo, s25
.LBB253_535:                            ;   in Loop: Header=BB253_305 Depth=1
	s_delay_alu instid0(SALU_CYCLE_1)
	s_or_b32 exec_lo, exec_lo, s24
.LBB253_536:                            ;   in Loop: Header=BB253_305 Depth=1
	s_delay_alu instid0(SALU_CYCLE_1) | instskip(SKIP_4) | instid1(VALU_DEP_3)
	s_or_b32 exec_lo, exec_lo, s23
	v_and_b32_e32 v21, 0xff, v17
	v_dual_mov_b32 v8, v17 :: v_dual_mov_b32 v20, 0
	v_mov_b32_e32 v19, 0
	s_mov_b32 s23, exec_lo
	v_cmpx_ne_u16_e32 0, v21
	s_cbranch_execz .LBB253_544
; %bb.537:                              ;   in Loop: Header=BB253_305 Depth=1
	v_mov_b32_e32 v19, 0x8000
	s_mov_b32 s24, exec_lo
	v_cmpx_ne_u16_e32 0x80, v21
	s_cbranch_execz .LBB253_543
; %bb.538:                              ;   in Loop: Header=BB253_305 Depth=1
	v_and_b32_e32 v22, 0x7f, v17
	v_mov_b32_e32 v19, 0x7c01
	s_mov_b32 s25, exec_lo
	s_delay_alu instid0(VALU_DEP_2)
	v_cmpx_ne_u32_e32 0x7f, v22
	s_cbranch_execz .LBB253_542
; %bb.539:                              ;   in Loop: Header=BB253_305 Depth=1
	v_dual_lshrrev_b32 v21, 3, v22 :: v_dual_bitop2_b32 v19, 7, v17 bitop3:0x40
	s_mov_b32 s26, exec_lo
	v_cmpx_gt_u32_e32 8, v22
; %bb.540:                              ;   in Loop: Header=BB253_305 Depth=1
	s_delay_alu instid0(VALU_DEP_2) | instskip(NEXT) | instid1(VALU_DEP_1)
	v_clz_i32_u32_e32 v19, v19
	v_min_u32_e32 v19, 32, v19
	s_delay_alu instid0(VALU_DEP_1) | instskip(NEXT) | instid1(VALU_DEP_1)
	v_subrev_nc_u32_e32 v21, 28, v19
	v_lshlrev_b64_e32 v[22:23], v21, v[8:9]
	s_delay_alu instid0(VALU_DEP_1)
	v_dual_sub_nc_u32 v21, 29, v19 :: v_dual_bitop2_b32 v19, 7, v22 bitop3:0x40
; %bb.541:                              ;   in Loop: Header=BB253_305 Depth=1
	s_or_b32 exec_lo, exec_lo, s26
	s_delay_alu instid0(VALU_DEP_1) | instskip(NEXT) | instid1(VALU_DEP_2)
	v_dual_lshlrev_b32 v22, 8, v17 :: v_dual_lshlrev_b32 v19, 7, v19
	v_lshl_add_u32 v21, v21, 10, 0x2000
	s_delay_alu instid0(VALU_DEP_2) | instskip(NEXT) | instid1(VALU_DEP_2)
	v_and_b32_e32 v22, 0x8000, v22
	v_and_b32_e32 v21, 0xfc00, v21
	s_delay_alu instid0(VALU_DEP_1)
	v_or3_b32 v19, v22, v21, v19
.LBB253_542:                            ;   in Loop: Header=BB253_305 Depth=1
	s_or_b32 exec_lo, exec_lo, s25
.LBB253_543:                            ;   in Loop: Header=BB253_305 Depth=1
	s_delay_alu instid0(SALU_CYCLE_1)
	s_or_b32 exec_lo, exec_lo, s24
.LBB253_544:                            ;   in Loop: Header=BB253_305 Depth=1
	s_delay_alu instid0(SALU_CYCLE_1) | instskip(SKIP_3) | instid1(VALU_DEP_2)
	s_or_b32 exec_lo, exec_lo, s23
	v_lshrrev_b16 v8, 8, v8
	v_mov_b32_e32 v21, 0
	s_mov_b32 s23, exec_lo
	v_cmpx_ne_u16_e32 0, v8
	s_cbranch_execz .LBB253_552
; %bb.545:                              ;   in Loop: Header=BB253_305 Depth=1
	v_bfrev_b32_e32 v21, 1
	s_mov_b32 s24, exec_lo
	v_cmpx_ne_u16_e32 0x80, v8
	s_cbranch_execz .LBB253_551
; %bb.546:                              ;   in Loop: Header=BB253_305 Depth=1
	v_and_b32_e32 v22, 0xffff, v8
	v_mov_b32_e32 v21, 0x7c010000
	s_mov_b32 s25, exec_lo
	s_delay_alu instid0(VALU_DEP_2) | instskip(NEXT) | instid1(VALU_DEP_1)
	v_and_b32_e32 v24, 0x7f, v22
	v_cmpx_ne_u32_e32 0x7f, v24
	s_cbranch_execz .LBB253_550
; %bb.547:                              ;   in Loop: Header=BB253_305 Depth=1
	v_dual_lshrrev_b32 v23, 3, v24 :: v_dual_bitop2_b32 v21, 7, v22 bitop3:0x40
	s_mov_b32 s26, exec_lo
	v_cmpx_gt_u32_e32 8, v24
; %bb.548:                              ;   in Loop: Header=BB253_305 Depth=1
	s_delay_alu instid0(VALU_DEP_2) | instskip(NEXT) | instid1(VALU_DEP_1)
	v_clz_i32_u32_e32 v21, v21
	v_min_u32_e32 v21, 32, v21
	s_delay_alu instid0(VALU_DEP_1) | instskip(NEXT) | instid1(VALU_DEP_1)
	v_subrev_nc_u32_e32 v23, 28, v21
	v_lshlrev_b64_e32 v[52:53], v23, v[8:9]
	s_delay_alu instid0(VALU_DEP_1)
	v_dual_sub_nc_u32 v23, 29, v21 :: v_dual_bitop2_b32 v21, 7, v52 bitop3:0x40
; %bb.549:                              ;   in Loop: Header=BB253_305 Depth=1
	s_or_b32 exec_lo, exec_lo, s26
	s_delay_alu instid0(VALU_DEP_1) | instskip(NEXT) | instid1(VALU_DEP_2)
	v_dual_lshlrev_b32 v8, 8, v22 :: v_dual_lshlrev_b32 v21, 23, v21
	v_lshl_add_u32 v22, v23, 10, 0x2000
	s_delay_alu instid0(VALU_DEP_1) | instskip(NEXT) | instid1(VALU_DEP_1)
	v_and_or_b32 v8, 0x8000, v8, v22
	v_lshl_or_b32 v21, v8, 16, v21
.LBB253_550:                            ;   in Loop: Header=BB253_305 Depth=1
	s_or_b32 exec_lo, exec_lo, s25
.LBB253_551:                            ;   in Loop: Header=BB253_305 Depth=1
	s_delay_alu instid0(SALU_CYCLE_1)
	s_or_b32 exec_lo, exec_lo, s24
.LBB253_552:                            ;   in Loop: Header=BB253_305 Depth=1
	s_delay_alu instid0(SALU_CYCLE_1) | instskip(SKIP_2) | instid1(VALU_DEP_1)
	s_or_b32 exec_lo, exec_lo, s23
	v_lshrrev_b32_e32 v8, 16, v17
	s_mov_b32 s23, exec_lo
	v_and_b32_e32 v22, 0xff, v8
	s_delay_alu instid0(VALU_DEP_1)
	v_cmpx_ne_u16_e32 0, v22
	s_cbranch_execz .LBB253_560
; %bb.553:                              ;   in Loop: Header=BB253_305 Depth=1
	v_mov_b32_e32 v20, 0x8000
	s_mov_b32 s24, exec_lo
	v_cmpx_ne_u16_e32 0x80, v22
	s_cbranch_execz .LBB253_559
; %bb.554:                              ;   in Loop: Header=BB253_305 Depth=1
	v_bfe_u32 v23, v17, 16, 7
	v_mov_b32_e32 v20, 0x7c01
	s_mov_b32 s25, exec_lo
	s_delay_alu instid0(VALU_DEP_2)
	v_cmpx_ne_u32_e32 0x7f, v23
	s_cbranch_execz .LBB253_558
; %bb.555:                              ;   in Loop: Header=BB253_305 Depth=1
	v_dual_lshrrev_b32 v22, 3, v23 :: v_dual_bitop2_b32 v20, 7, v8 bitop3:0x40
	s_mov_b32 s26, exec_lo
	v_cmpx_gt_u32_e32 8, v23
; %bb.556:                              ;   in Loop: Header=BB253_305 Depth=1
	s_delay_alu instid0(VALU_DEP_2) | instskip(NEXT) | instid1(VALU_DEP_1)
	v_clz_i32_u32_e32 v20, v20
	v_min_u32_e32 v20, 32, v20
	s_delay_alu instid0(VALU_DEP_1) | instskip(NEXT) | instid1(VALU_DEP_1)
	v_subrev_nc_u32_e32 v22, 28, v20
	v_lshlrev_b64_e32 v[52:53], v22, v[8:9]
	v_sub_nc_u32_e32 v22, 29, v20
	s_delay_alu instid0(VALU_DEP_2)
	v_and_b32_e32 v20, 7, v52
; %bb.557:                              ;   in Loop: Header=BB253_305 Depth=1
	s_or_b32 exec_lo, exec_lo, s26
	v_lshlrev_b32_e32 v8, 8, v8
	s_delay_alu instid0(VALU_DEP_3) | instskip(NEXT) | instid1(VALU_DEP_3)
	v_lshl_add_u32 v22, v22, 10, 0x2000
	v_lshlrev_b32_e32 v20, 7, v20
	s_delay_alu instid0(VALU_DEP_3) | instskip(NEXT) | instid1(VALU_DEP_3)
	v_and_b32_e32 v8, 0x8000, v8
	v_and_b32_e32 v22, 0xfc00, v22
	s_delay_alu instid0(VALU_DEP_1)
	v_or3_b32 v20, v8, v22, v20
.LBB253_558:                            ;   in Loop: Header=BB253_305 Depth=1
	s_or_b32 exec_lo, exec_lo, s25
.LBB253_559:                            ;   in Loop: Header=BB253_305 Depth=1
	s_delay_alu instid0(SALU_CYCLE_1)
	s_or_b32 exec_lo, exec_lo, s24
.LBB253_560:                            ;   in Loop: Header=BB253_305 Depth=1
	s_delay_alu instid0(SALU_CYCLE_1)
	s_or_b32 exec_lo, exec_lo, s23
	v_cmp_lt_u64_e64 s0, s[8:9], v[16:17]
	v_mov_b32_e32 v16, 0
	s_and_saveexec_b32 s23, s0
	s_cbranch_execz .LBB253_568
; %bb.561:                              ;   in Loop: Header=BB253_305 Depth=1
	v_lshrrev_b32_e32 v8, 24, v17
	v_bfrev_b32_e32 v16, 1
	s_mov_b32 s24, exec_lo
	s_delay_alu instid0(VALU_DEP_2)
	v_cmpx_ne_u32_e32 0x80, v8
	s_cbranch_execz .LBB253_567
; %bb.562:                              ;   in Loop: Header=BB253_305 Depth=1
	v_and_b32_e32 v22, 0x7f, v8
	v_mov_b32_e32 v16, 0x7c010000
	s_mov_b32 s25, exec_lo
	s_delay_alu instid0(VALU_DEP_2)
	v_cmpx_ne_u32_e32 0x7f, v22
	s_cbranch_execz .LBB253_566
; %bb.563:                              ;   in Loop: Header=BB253_305 Depth=1
	v_dual_lshrrev_b32 v17, 3, v22 :: v_dual_bitop2_b32 v16, 7, v8 bitop3:0x40
	s_mov_b32 s26, exec_lo
	v_cmpx_gt_u32_e32 8, v22
; %bb.564:                              ;   in Loop: Header=BB253_305 Depth=1
	s_delay_alu instid0(VALU_DEP_2) | instskip(NEXT) | instid1(VALU_DEP_1)
	v_clz_i32_u32_e32 v16, v16
	v_min_u32_e32 v22, 32, v16
	s_delay_alu instid0(VALU_DEP_1) | instskip(NEXT) | instid1(VALU_DEP_1)
	v_subrev_nc_u32_e32 v16, 28, v22
	v_lshlrev_b64_e32 v[16:17], v16, v[8:9]
	s_delay_alu instid0(VALU_DEP_1)
	v_dual_sub_nc_u32 v17, 29, v22 :: v_dual_bitop2_b32 v16, 7, v16 bitop3:0x40
; %bb.565:                              ;   in Loop: Header=BB253_305 Depth=1
	s_or_b32 exec_lo, exec_lo, s26
	v_lshlrev_b32_e32 v8, 8, v8
	s_delay_alu instid0(VALU_DEP_2) | instskip(NEXT) | instid1(VALU_DEP_3)
	v_lshl_add_u32 v17, v17, 10, 0x2000
	v_lshlrev_b32_e32 v16, 23, v16
	s_delay_alu instid0(VALU_DEP_2) | instskip(NEXT) | instid1(VALU_DEP_1)
	v_and_or_b32 v8, 0x8000, v8, v17
	v_lshl_or_b32 v16, v8, 16, v16
.LBB253_566:                            ;   in Loop: Header=BB253_305 Depth=1
	s_or_b32 exec_lo, exec_lo, s25
.LBB253_567:                            ;   in Loop: Header=BB253_305 Depth=1
	s_delay_alu instid0(SALU_CYCLE_1)
	s_or_b32 exec_lo, exec_lo, s24
.LBB253_568:                            ;   in Loop: Header=BB253_305 Depth=1
	s_delay_alu instid0(SALU_CYCLE_1) | instskip(SKIP_3) | instid1(VALU_DEP_3)
	s_or_b32 exec_lo, exec_lo, s23
	v_dual_lshrrev_b32 v8, 16, v1 :: v_dual_lshrrev_b32 v17, 16, v15
	v_or_b32_e32 v1, v1, v3
	v_dual_lshrrev_b32 v18, 16, v16 :: v_dual_bitop2_b32 v3, v15, v18 bitop3:0x54
	v_cvt_f32_f16_e32 v23, v8
	s_delay_alu instid0(VALU_DEP_4) | instskip(SKIP_4) | instid1(VALU_DEP_3)
	v_cvt_f32_f16_e32 v22, v17
	v_lshrrev_b32_e32 v15, 16, v21
	v_cvt_f32_f16_e32 v17, v1
	v_cvt_f32_f16_e32 v18, v18
	s_wait_loadcnt 0x0
	v_pk_mul_f32 v[22:23], v[14:15], v[22:23] op_sel_hi:[0,1]
	s_delay_alu instid0(VALU_DEP_1) | instskip(SKIP_4) | instid1(VALU_DEP_4)
	v_cvt_pk_f16_f32 v1, v22, v23
	v_or_b32_e32 v8, v16, v20
	v_cvt_f32_f16_e32 v16, v3
	v_or_b32_e32 v3, v21, v19
	v_cvt_f32_f16_e32 v19, v15
	v_cvt_f32_f16_e32 v20, v8
	s_delay_alu instid0(VALU_DEP_4) | instskip(NEXT) | instid1(VALU_DEP_4)
	v_pk_mul_f32 v[16:17], v[14:15], v[16:17] op_sel_hi:[0,1]
	v_cvt_f32_f16_e32 v21, v3
	s_delay_alu instid0(VALU_DEP_4) | instskip(SKIP_1) | instid1(VALU_DEP_4)
	v_pk_mul_f32 v[22:23], v[14:15], v[18:19] op_sel_hi:[0,1]
	v_and_b32_e32 v19, 0xffff0000, v1
	v_cvt_pk_f16_f32 v3, v16, v17
	s_delay_alu instid0(VALU_DEP_4) | instskip(NEXT) | instid1(VALU_DEP_4)
	v_pk_mul_f32 v[14:15], v[14:15], v[20:21] op_sel_hi:[0,1]
	v_cvt_pk_f16_f32 v8, v22, v23
	v_lshlrev_b32_e32 v20, 16, v1
	s_delay_alu instid0(VALU_DEP_4) | instskip(NEXT) | instid1(VALU_DEP_4)
	v_and_b32_e32 v22, 0xffff, v3
	v_cvt_pk_f16_f32 v14, v14, v15
	v_lshrrev_b32_e32 v21, 16, v3
	v_and_b32_e32 v1, 0xffff0000, v8
	s_delay_alu instid0(VALU_DEP_4) | instskip(NEXT) | instid1(VALU_DEP_4)
	v_dual_lshlrev_b32 v8, 16, v8 :: v_dual_bitop2_b32 v16, v20, v22 bitop3:0x54
	v_lshrrev_b32_e32 v17, 16, v14
	v_and_b32_e32 v18, 0xffff, v14
	v_or_b32_e32 v15, v19, v21
	s_delay_alu instid0(VALU_DEP_3) | instskip(NEXT) | instid1(VALU_DEP_3)
	v_or_b32_e32 v3, v1, v17
	v_or_b32_e32 v14, v8, v18
	s_and_saveexec_b32 s0, vcc_lo
	s_cbranch_execz .LBB253_303
; %bb.569:                              ;   in Loop: Header=BB253_305 Depth=1
	v_cmp_gt_i32_e32 vcc_lo, s18, v33
	v_cndmask_b32_e32 v3, 0, v21, vcc_lo
	v_cmp_gt_i32_e32 vcc_lo, s34, v40
	v_cndmask_b32_e32 v14, 0, v22, vcc_lo
	;; [unrolled: 2-line block ×4, first 2 shown]
	v_cmp_gt_i32_e32 vcc_lo, s18, v37
	s_delay_alu instid0(VALU_DEP_4) | instskip(NEXT) | instid1(VALU_DEP_3)
	v_or_b32_e32 v15, v15, v3
	v_dual_cndmask_b32 v17, 0, v17, vcc_lo :: v_dual_bitop2_b32 v16, v16, v14 bitop3:0x54
	v_cmp_gt_i32_e32 vcc_lo, s34, v36
	v_cndmask_b32_e32 v18, 0, v18, vcc_lo
	v_cmp_gt_i32_e32 vcc_lo, s18, v35
	v_cndmask_b32_e32 v1, 0, v1, vcc_lo
	v_cmp_gt_i32_e32 vcc_lo, s34, v34
	s_delay_alu instid0(VALU_DEP_2) | instskip(NEXT) | instid1(VALU_DEP_1)
	v_dual_cndmask_b32 v8, 0, v8, vcc_lo :: v_dual_bitop2_b32 v3, v1, v17 bitop3:0x54
	v_or_b32_e32 v14, v8, v18
	s_branch .LBB253_303
.LBB253_570:
	s_or_b32 exec_lo, exec_lo, s19
.LBB253_571:
	s_delay_alu instid0(SALU_CYCLE_1)
	s_or_b32 exec_lo, exec_lo, s1
	ds_bpermute_b32 v2, v29, v6
	ds_bpermute_b32 v3, v29, v7
	v_and_b32_e32 v10, 0x3c1, v0
	v_lshrrev_b32_e32 v1, 1, v28
	s_mov_b32 s0, exec_lo
	ds_bpermute_b32 v8, v29, v4
	ds_bpermute_b32 v9, v29, v5
	s_wait_dscnt 0x0
	s_barrier_signal -1
	s_barrier_wait -1
	v_pk_add_f32 v[2:3], v[6:7], v[2:3]
	v_cmpx_ne_u32_e32 64, v10
	s_xor_b32 s0, exec_lo, s0
	s_delay_alu instid0(SALU_CYCLE_1)
	s_or_saveexec_b32 s0, s0
	v_pk_add_f32 v[4:5], v[4:5], v[8:9]
	v_lshl_add_u32 v6, v1, 2, 0xa0
	v_lshlrev_b32_e32 v7, 8, v27
	s_xor_b32 exec_lo, exec_lo, s0
	s_cbranch_execz .LBB253_573
; %bb.572:
	s_delay_alu instid0(VALU_DEP_1) | instskip(NEXT) | instid1(VALU_DEP_1)
	v_add_nc_u32_e32 v8, v6, v7
	v_add_nc_u32_e32 v9, 0xfffffe00, v8
	;; [unrolled: 1-line block ×5, first 2 shown]
	ds_store_b32 v9, v2
	ds_store_b32 v10, v3
	;; [unrolled: 1-line block ×4, first 2 shown]
.LBB253_573:
	s_or_b32 exec_lo, exec_lo, s0
	v_lshlrev_b32_e32 v1, 2, v1
	s_mov_b32 s1, exec_lo
	v_cmp_eq_u32_e32 vcc_lo, 0, v26
	s_wait_dscnt 0x0
	s_barrier_signal -1
	v_add3_u32 v1, 0xa0, v7, v1
	s_barrier_wait -1
	v_cmpx_gt_u32_e32 64, v0
	s_cbranch_execz .LBB253_580
; %bb.574:
	s_and_saveexec_b32 s0, vcc_lo
	s_cbranch_execnz .LBB253_592
; %bb.575:
	s_or_b32 exec_lo, exec_lo, s0
	s_and_saveexec_b32 s0, vcc_lo
	s_cbranch_execnz .LBB253_593
.LBB253_576:
	s_or_b32 exec_lo, exec_lo, s0
	s_and_saveexec_b32 s0, vcc_lo
	s_cbranch_execnz .LBB253_594
.LBB253_577:
	s_or_b32 exec_lo, exec_lo, s0
	s_and_saveexec_b32 s0, vcc_lo
	s_cbranch_execz .LBB253_579
.LBB253_578:
	ds_load_b32 v7, v1 offset:192
	s_wait_dscnt 0x0
	v_add_f32_e32 v5, v5, v7
.LBB253_579:
	s_or_b32 exec_lo, exec_lo, s0
.LBB253_580:
	s_delay_alu instid0(SALU_CYCLE_1) | instskip(SKIP_4) | instid1(VALU_DEP_1)
	s_or_b32 exec_lo, exec_lo, s1
	v_and_b32_e32 v7, 0x3e1, v0
	s_mov_b32 s1, exec_lo
	s_barrier_signal -1
	s_barrier_wait -1
	v_cmpx_eq_u32_e32 32, v7
	s_cbranch_execz .LBB253_582
; %bb.581:
	ds_store_2addr_b32 v6, v2, v3 offset1:16
	ds_store_2addr_b32 v6, v4, v5 offset0:32 offset1:48
.LBB253_582:
	s_or_b32 exec_lo, exec_lo, s1
	s_delay_alu instid0(SALU_CYCLE_1)
	s_mov_b32 s1, exec_lo
	s_wait_dscnt 0x0
	s_barrier_signal -1
	s_barrier_wait -1
	v_cmpx_gt_u32_e32 32, v0
	s_cbranch_execz .LBB253_589
; %bb.583:
	s_and_saveexec_b32 s0, vcc_lo
	s_cbranch_execnz .LBB253_595
; %bb.584:
	s_or_b32 exec_lo, exec_lo, s0
	s_and_saveexec_b32 s0, vcc_lo
	s_cbranch_execnz .LBB253_596
.LBB253_585:
	s_or_b32 exec_lo, exec_lo, s0
	s_and_saveexec_b32 s0, vcc_lo
	s_cbranch_execnz .LBB253_597
.LBB253_586:
	s_or_b32 exec_lo, exec_lo, s0
	s_and_saveexec_b32 s0, vcc_lo
	s_cbranch_execz .LBB253_588
.LBB253_587:
	ds_load_b32 v0, v1 offset:192
	s_wait_dscnt 0x0
	v_add_f32_e32 v5, v5, v0
.LBB253_588:
	s_or_b32 exec_lo, exec_lo, s0
.LBB253_589:
	s_delay_alu instid0(SALU_CYCLE_1)
	s_or_b32 exec_lo, exec_lo, s1
	s_mov_b32 s1, 0
	s_barrier_signal -1
	s_barrier_wait -1
	s_mov_b32 s0, exec_lo
	v_cmpx_eq_u32_e32 0, v7
	s_cbranch_execz .LBB253_591
; %bb.590:
	s_mul_i32 s0, s33, s7
	s_mul_i32 s2, s7, s6
	;; [unrolled: 1-line block ×3, first 2 shown]
	s_lshr_b32 s8, ttmp7, 16
	s_lshl_b32 s6, s0, 6
	s_bfe_u32 s0, ttmp6, 0x40014
	s_ashr_i32 s7, s6, 31
	s_add_co_i32 s0, s0, 1
	s_ashr_i32 s3, s2, 31
	s_mul_i32 s0, s8, s0
	s_bfe_u32 s9, ttmp6, 0x40008
	s_lshl_b64 s[6:7], s[6:7], 1
	s_lshl_b64 s[2:3], s[2:3], 1
	s_add_co_i32 s9, s9, s0
	s_cmp_eq_u32 s30, 0
	s_wait_kmcnt 0x0
	s_add_nc_u64 s[4:5], s[4:5], s[6:7]
	s_cselect_b32 s0, s8, s9
	s_add_nc_u64 s[2:3], s[4:5], s[2:3]
	s_lshl_b32 s0, s0, 7
	;;#ASMSTART
	v_cvt_f16_f32 v0, v2;

	;;#ASMEND
	s_add_nc_u64 s[0:1], s[2:3], s[0:1]
	global_store_b16 v25, v0, s[0:1] scale_offset
	s_wait_xcnt 0x0
	;;#ASMSTART
	v_cvt_f16_f32 v0, v3;

	;;#ASMEND
	global_store_b16 v25, v0, s[0:1] offset:32 scale_offset
	s_wait_xcnt 0x0
	;;#ASMSTART
	v_cvt_f16_f32 v0, v4;

	;;#ASMEND
	global_store_b16 v25, v0, s[0:1] offset:64 scale_offset
	;; [unrolled: 6-line block ×3, first 2 shown]
.LBB253_591:
	s_sendmsg sendmsg(MSG_DEALLOC_VGPRS)
	s_endpgm
.LBB253_592:
	ds_load_b32 v7, v1
	s_wait_dscnt 0x0
	v_add_f32_e32 v2, v2, v7
	s_or_b32 exec_lo, exec_lo, s0
	s_and_saveexec_b32 s0, vcc_lo
	s_cbranch_execz .LBB253_576
.LBB253_593:
	ds_load_b32 v7, v1 offset:64
	s_wait_dscnt 0x0
	v_add_f32_e32 v3, v3, v7
	s_or_b32 exec_lo, exec_lo, s0
	s_and_saveexec_b32 s0, vcc_lo
	s_cbranch_execz .LBB253_577
.LBB253_594:
	ds_load_b32 v7, v1 offset:128
	s_wait_dscnt 0x0
	v_add_f32_e32 v4, v4, v7
	s_or_b32 exec_lo, exec_lo, s0
	s_and_saveexec_b32 s0, vcc_lo
	s_cbranch_execnz .LBB253_578
	s_branch .LBB253_579
.LBB253_595:
	ds_load_b32 v0, v1
	s_wait_dscnt 0x0
	v_add_f32_e32 v2, v2, v0
	s_or_b32 exec_lo, exec_lo, s0
	s_and_saveexec_b32 s0, vcc_lo
	s_cbranch_execz .LBB253_585
.LBB253_596:
	ds_load_b32 v0, v1 offset:64
	s_wait_dscnt 0x0
	v_add_f32_e32 v3, v3, v0
	s_or_b32 exec_lo, exec_lo, s0
	s_and_saveexec_b32 s0, vcc_lo
	s_cbranch_execz .LBB253_586
.LBB253_597:
	ds_load_b32 v0, v1 offset:128
	s_wait_dscnt 0x0
	v_add_f32_e32 v4, v4, v0
	s_or_b32 exec_lo, exec_lo, s0
	s_and_saveexec_b32 s0, vcc_lo
	s_cbranch_execnz .LBB253_587
	s_branch .LBB253_588
	.section	.rodata,"a",@progbits
	.p2align	6, 0x0
	.amdhsa_kernel _ZN4vllm25paged_attention_v1_kernelIthLi64ELi16ELi128ELNS_18Fp8KVCacheDataTypeE1ELb1EEEvPT_PKS2_PKT0_S8_ifPKiSA_iPKfiiiSC_SC_iiiii
		.amdhsa_group_segment_fixed_size 160
		.amdhsa_private_segment_fixed_size 0
		.amdhsa_kernarg_size 384
		.amdhsa_user_sgpr_count 2
		.amdhsa_user_sgpr_dispatch_ptr 0
		.amdhsa_user_sgpr_queue_ptr 0
		.amdhsa_user_sgpr_kernarg_segment_ptr 1
		.amdhsa_user_sgpr_dispatch_id 0
		.amdhsa_user_sgpr_kernarg_preload_length 0
		.amdhsa_user_sgpr_kernarg_preload_offset 0
		.amdhsa_user_sgpr_private_segment_size 0
		.amdhsa_wavefront_size32 1
		.amdhsa_uses_dynamic_stack 0
		.amdhsa_enable_private_segment 0
		.amdhsa_system_sgpr_workgroup_id_x 1
		.amdhsa_system_sgpr_workgroup_id_y 1
		.amdhsa_system_sgpr_workgroup_id_z 1
		.amdhsa_system_sgpr_workgroup_info 0
		.amdhsa_system_vgpr_workitem_id 0
		.amdhsa_next_free_vgpr 83
		.amdhsa_next_free_sgpr 45
		.amdhsa_named_barrier_count 0
		.amdhsa_reserve_vcc 1
		.amdhsa_float_round_mode_32 0
		.amdhsa_float_round_mode_16_64 0
		.amdhsa_float_denorm_mode_32 3
		.amdhsa_float_denorm_mode_16_64 3
		.amdhsa_fp16_overflow 0
		.amdhsa_memory_ordered 1
		.amdhsa_forward_progress 1
		.amdhsa_inst_pref_size 172
		.amdhsa_round_robin_scheduling 0
		.amdhsa_exception_fp_ieee_invalid_op 0
		.amdhsa_exception_fp_denorm_src 0
		.amdhsa_exception_fp_ieee_div_zero 0
		.amdhsa_exception_fp_ieee_overflow 0
		.amdhsa_exception_fp_ieee_underflow 0
		.amdhsa_exception_fp_ieee_inexact 0
		.amdhsa_exception_int_div_zero 0
	.end_amdhsa_kernel
	.section	.text._ZN4vllm25paged_attention_v1_kernelIthLi64ELi16ELi128ELNS_18Fp8KVCacheDataTypeE1ELb1EEEvPT_PKS2_PKT0_S8_ifPKiSA_iPKfiiiSC_SC_iiiii,"axG",@progbits,_ZN4vllm25paged_attention_v1_kernelIthLi64ELi16ELi128ELNS_18Fp8KVCacheDataTypeE1ELb1EEEvPT_PKS2_PKT0_S8_ifPKiSA_iPKfiiiSC_SC_iiiii,comdat
.Lfunc_end253:
	.size	_ZN4vllm25paged_attention_v1_kernelIthLi64ELi16ELi128ELNS_18Fp8KVCacheDataTypeE1ELb1EEEvPT_PKS2_PKT0_S8_ifPKiSA_iPKfiiiSC_SC_iiiii, .Lfunc_end253-_ZN4vllm25paged_attention_v1_kernelIthLi64ELi16ELi128ELNS_18Fp8KVCacheDataTypeE1ELb1EEEvPT_PKS2_PKT0_S8_ifPKiSA_iPKfiiiSC_SC_iiiii
                                        ; -- End function
	.set _ZN4vllm25paged_attention_v1_kernelIthLi64ELi16ELi128ELNS_18Fp8KVCacheDataTypeE1ELb1EEEvPT_PKS2_PKT0_S8_ifPKiSA_iPKfiiiSC_SC_iiiii.num_vgpr, 83
	.set _ZN4vllm25paged_attention_v1_kernelIthLi64ELi16ELi128ELNS_18Fp8KVCacheDataTypeE1ELb1EEEvPT_PKS2_PKT0_S8_ifPKiSA_iPKfiiiSC_SC_iiiii.num_agpr, 0
	.set _ZN4vllm25paged_attention_v1_kernelIthLi64ELi16ELi128ELNS_18Fp8KVCacheDataTypeE1ELb1EEEvPT_PKS2_PKT0_S8_ifPKiSA_iPKfiiiSC_SC_iiiii.numbered_sgpr, 45
	.set _ZN4vllm25paged_attention_v1_kernelIthLi64ELi16ELi128ELNS_18Fp8KVCacheDataTypeE1ELb1EEEvPT_PKS2_PKT0_S8_ifPKiSA_iPKfiiiSC_SC_iiiii.num_named_barrier, 0
	.set _ZN4vllm25paged_attention_v1_kernelIthLi64ELi16ELi128ELNS_18Fp8KVCacheDataTypeE1ELb1EEEvPT_PKS2_PKT0_S8_ifPKiSA_iPKfiiiSC_SC_iiiii.private_seg_size, 0
	.set _ZN4vllm25paged_attention_v1_kernelIthLi64ELi16ELi128ELNS_18Fp8KVCacheDataTypeE1ELb1EEEvPT_PKS2_PKT0_S8_ifPKiSA_iPKfiiiSC_SC_iiiii.uses_vcc, 1
	.set _ZN4vllm25paged_attention_v1_kernelIthLi64ELi16ELi128ELNS_18Fp8KVCacheDataTypeE1ELb1EEEvPT_PKS2_PKT0_S8_ifPKiSA_iPKfiiiSC_SC_iiiii.uses_flat_scratch, 0
	.set _ZN4vllm25paged_attention_v1_kernelIthLi64ELi16ELi128ELNS_18Fp8KVCacheDataTypeE1ELb1EEEvPT_PKS2_PKT0_S8_ifPKiSA_iPKfiiiSC_SC_iiiii.has_dyn_sized_stack, 0
	.set _ZN4vllm25paged_attention_v1_kernelIthLi64ELi16ELi128ELNS_18Fp8KVCacheDataTypeE1ELb1EEEvPT_PKS2_PKT0_S8_ifPKiSA_iPKfiiiSC_SC_iiiii.has_recursion, 0
	.set _ZN4vllm25paged_attention_v1_kernelIthLi64ELi16ELi128ELNS_18Fp8KVCacheDataTypeE1ELb1EEEvPT_PKS2_PKT0_S8_ifPKiSA_iPKfiiiSC_SC_iiiii.has_indirect_call, 0
	.section	.AMDGPU.csdata,"",@progbits
; Kernel info:
; codeLenInByte = 22016
; TotalNumSgprs: 47
; NumVgprs: 83
; ScratchSize: 0
; MemoryBound: 0
; FloatMode: 240
; IeeeMode: 1
; LDSByteSize: 160 bytes/workgroup (compile time only)
; SGPRBlocks: 0
; VGPRBlocks: 5
; NumSGPRsForWavesPerEU: 47
; NumVGPRsForWavesPerEU: 83
; NamedBarCnt: 0
; Occupancy: 10
; WaveLimiterHint : 1
; COMPUTE_PGM_RSRC2:SCRATCH_EN: 0
; COMPUTE_PGM_RSRC2:USER_SGPR: 2
; COMPUTE_PGM_RSRC2:TRAP_HANDLER: 0
; COMPUTE_PGM_RSRC2:TGID_X_EN: 1
; COMPUTE_PGM_RSRC2:TGID_Y_EN: 1
; COMPUTE_PGM_RSRC2:TGID_Z_EN: 1
; COMPUTE_PGM_RSRC2:TIDIG_COMP_CNT: 0
	.section	.text._ZN4vllm25paged_attention_v1_kernelIthLi80ELi16ELi128ELNS_18Fp8KVCacheDataTypeE1ELb1EEEvPT_PKS2_PKT0_S8_ifPKiSA_iPKfiiiSC_SC_iiiii,"axG",@progbits,_ZN4vllm25paged_attention_v1_kernelIthLi80ELi16ELi128ELNS_18Fp8KVCacheDataTypeE1ELb1EEEvPT_PKS2_PKT0_S8_ifPKiSA_iPKfiiiSC_SC_iiiii,comdat
	.protected	_ZN4vllm25paged_attention_v1_kernelIthLi80ELi16ELi128ELNS_18Fp8KVCacheDataTypeE1ELb1EEEvPT_PKS2_PKT0_S8_ifPKiSA_iPKfiiiSC_SC_iiiii ; -- Begin function _ZN4vllm25paged_attention_v1_kernelIthLi80ELi16ELi128ELNS_18Fp8KVCacheDataTypeE1ELb1EEEvPT_PKS2_PKT0_S8_ifPKiSA_iPKfiiiSC_SC_iiiii
	.globl	_ZN4vllm25paged_attention_v1_kernelIthLi80ELi16ELi128ELNS_18Fp8KVCacheDataTypeE1ELb1EEEvPT_PKS2_PKT0_S8_ifPKiSA_iPKfiiiSC_SC_iiiii
	.p2align	8
	.type	_ZN4vllm25paged_attention_v1_kernelIthLi80ELi16ELi128ELNS_18Fp8KVCacheDataTypeE1ELb1EEEvPT_PKS2_PKT0_S8_ifPKiSA_iPKfiiiSC_SC_iiiii,@function
_ZN4vllm25paged_attention_v1_kernelIthLi80ELi16ELi128ELNS_18Fp8KVCacheDataTypeE1ELb1EEEvPT_PKS2_PKT0_S8_ifPKiSA_iPKfiiiSC_SC_iiiii: ; @_ZN4vllm25paged_attention_v1_kernelIthLi80ELi16ELi128ELNS_18Fp8KVCacheDataTypeE1ELb1EEEvPT_PKS2_PKT0_S8_ifPKiSA_iPKfiiiSC_SC_iiiii
; %bb.0:
	s_load_b64 s[26:27], s[0:1], 0x20
	s_bfe_u32 s3, ttmp6, 0x4000c
	s_bfe_u32 s4, ttmp6, 0x40010
	s_and_b32 s6, ttmp7, 0xffff
	s_add_co_i32 s3, s3, 1
	s_add_co_i32 s4, s4, 1
	s_and_b32 s2, ttmp6, 15
	s_bfe_u32 s5, ttmp6, 0x40004
	s_mul_i32 s3, ttmp9, s3
	s_mul_i32 s4, s6, s4
	s_getreg_b32 s30, hwreg(HW_REG_IB_STS2, 6, 4)
	s_add_co_i32 s2, s2, s3
	s_add_co_i32 s3, s5, s4
	s_cmp_eq_u32 s30, 0
	s_clause 0x1
	s_load_b32 s31, s[0:1], 0x80
	s_load_b64 s[4:5], s[0:1], 0x30
	s_cselect_b32 s33, s6, s3
	s_cselect_b32 s2, ttmp9, s2
	s_wait_kmcnt 0x0
	s_abs_i32 s3, s26
	s_delay_alu instid0(SALU_CYCLE_1) | instskip(SKIP_1) | instid1(SALU_CYCLE_2)
	s_cvt_f32_u32 s6, s3
	s_sub_co_i32 s7, 0, s3
	v_rcp_iflag_f32_e32 v1, s6
	s_abs_i32 s8, s31
	v_nop
	s_delay_alu instid0(TRANS32_DEP_1) | instskip(SKIP_1) | instid1(SALU_CYCLE_3)
	v_readfirstlane_b32 s6, v1
	s_mul_f32 s6, s6, 0x4f7ffffe
	s_cvt_u32_f32 s6, s6
	s_delay_alu instid0(SALU_CYCLE_3) | instskip(NEXT) | instid1(SALU_CYCLE_1)
	s_mul_i32 s7, s7, s6
	s_mul_hi_u32 s7, s6, s7
	s_delay_alu instid0(SALU_CYCLE_1) | instskip(SKIP_4) | instid1(SALU_CYCLE_1)
	s_add_co_i32 s6, s6, s7
	s_xor_b32 s7, s31, s26
	s_mul_hi_u32 s6, s8, s6
	s_ashr_i32 s7, s7, 31
	s_mul_i32 s9, s6, s3
	s_sub_co_i32 s8, s8, s9
	s_add_co_i32 s9, s6, 1
	s_sub_co_i32 s10, s8, s3
	s_cmp_ge_u32 s8, s3
	s_cselect_b32 s6, s9, s6
	s_cselect_b32 s8, s10, s8
	s_add_co_i32 s9, s6, 1
	s_cmp_ge_u32 s8, s3
	s_load_b64 s[10:11], s[0:1], 0x40
	s_cselect_b32 s3, s9, s6
	s_mov_b32 s9, 0
	s_xor_b32 s3, s3, s7
	s_abs_i32 s8, s2
	s_sub_co_i32 s12, s3, s7
	s_mov_b32 s7, s9
	s_abs_i32 s19, s12
	s_mov_b32 s37, s9
	s_cvt_f32_u32 s3, s19
	s_sub_co_i32 s6, 0, s19
	s_delay_alu instid0(SALU_CYCLE_2) | instskip(SKIP_1) | instid1(TRANS32_DEP_1)
	v_rcp_iflag_f32_e32 v1, s3
	v_nop
	v_readfirstlane_b32 s3, v1
	s_mul_f32 s3, s3, 0x4f7ffffe
	s_delay_alu instid0(SALU_CYCLE_3) | instskip(NEXT) | instid1(SALU_CYCLE_3)
	s_cvt_u32_f32 s3, s3
	s_mul_i32 s6, s6, s3
	s_delay_alu instid0(SALU_CYCLE_1) | instskip(NEXT) | instid1(SALU_CYCLE_1)
	s_mul_hi_u32 s6, s3, s6
	s_add_co_i32 s6, s3, s6
	s_wait_kmcnt 0x0
	s_cmp_eq_u64 s[10:11], 0
	s_cbranch_scc1 .LBB254_2
; %bb.1:
	s_ashr_i32 s3, s2, 31
	s_delay_alu instid0(SALU_CYCLE_1) | instskip(NEXT) | instid1(SALU_CYCLE_1)
	s_lshl_b64 s[14:15], s[2:3], 2
	s_add_nc_u64 s[10:11], s[10:11], s[14:15]
	s_load_b32 s37, s[10:11], 0x0
.LBB254_2:
	s_load_b32 s34, s[4:5], s33 offset:0x0 scale_offset
	s_load_b96 s[16:18], s[0:1], 0x48
	v_dual_lshrrev_b32 v25, 1, v0 :: v_dual_bitop2_b32 v26, 1, v0 bitop3:0x40
	s_wait_xcnt 0x0
	s_mul_u64 s[4:5], s[8:9], s[6:7]
	s_ashr_i32 s3, s2, 31
	s_ashr_i32 s10, s12, 31
	s_mul_i32 s6, s2, 0x50
	s_mov_b32 s4, exec_lo
	v_cmpx_gt_u32_e32 20, v0
	s_cbranch_execz .LBB254_4
; %bb.3:
	s_load_b64 s[12:13], s[0:1], 0x8
	s_wait_kmcnt 0x0
	s_mul_i32 s14, s16, s33
	s_ashr_i32 s7, s6, 31
	s_ashr_i32 s15, s14, 31
	v_lshlrev_b32_e32 v1, 3, v25
	s_lshl_b64 s[14:15], s[14:15], 1
	s_delay_alu instid0(VALU_DEP_1) | instskip(SKIP_2) | instid1(SALU_CYCLE_1)
	v_mad_u32_u24 v1, 0x50, v26, v1
	s_add_nc_u64 s[12:13], s[12:13], s[14:15]
	s_lshl_b64 s[14:15], s[6:7], 1
	s_add_nc_u64 s[12:13], s[12:13], s[14:15]
	global_load_b64 v[2:3], v0, s[12:13] scale_offset
	s_wait_loadcnt 0x0
	ds_store_b64 v1, v[2:3]
.LBB254_4:
	s_or_b32 exec_lo, exec_lo, s4
	s_load_b128 s[12:15], s[0:1], 0x68
	s_mul_i32 s4, s5, s19
	s_xor_b32 s3, s3, s10
	s_sub_co_i32 s4, s8, s4
	s_add_co_i32 s7, s5, 1
	s_sub_co_i32 s8, s4, s19
	s_cmp_ge_u32 s4, s19
	s_mov_b32 s9, -1
	s_cselect_b32 s5, s7, s5
	s_cselect_b32 s4, s8, s4
	s_add_co_i32 s8, s5, 1
	s_cmp_ge_u32 s4, s19
	s_load_b32 s7, s[0:1], 0x78
	s_cselect_b32 s4, s8, s5
	s_wait_kmcnt 0x0
	s_add_co_i32 s8, s34, -1
	s_xor_b32 s4, s4, s3
	s_wait_dscnt 0x0
	s_sub_co_i32 s3, s4, s3
	s_barrier_signal -1
	s_barrier_wait -1
	s_abs_i32 s16, s15
	s_delay_alu instid0(SALU_CYCLE_1) | instskip(NEXT) | instid1(SALU_CYCLE_3)
	s_cvt_f32_u32 s5, s16
                                        ; implicit-def: $sgpr35
	v_rcp_iflag_f32_e32 v1, s5
	v_nop
	s_delay_alu instid0(TRANS32_DEP_1) | instskip(SKIP_1) | instid1(SALU_CYCLE_3)
	v_readfirstlane_b32 s5, v1
	s_mul_f32 s4, s5, 0x4f7ffffe
	s_cvt_u32_f32 s10, s4
	s_sub_co_i32 s4, 0, s16
	s_delay_alu instid0(SALU_CYCLE_2)
	s_mul_i32 s5, s4, s10
	s_abs_i32 s4, s8
	s_mul_hi_u32 s11, s10, s5
	s_mov_b32 s5, 0
	s_add_co_i32 s20, s10, s11
	s_cmp_lt_i32 s7, 0
	s_mov_b32 s21, s5
	s_cbranch_scc0 .LBB254_6
; %bb.5:
	s_mul_i32 s9, s12, s26
	s_delay_alu instid0(SALU_CYCLE_1) | instskip(NEXT) | instid1(SALU_CYCLE_1)
	s_add_co_i32 s9, s3, s9
	s_mul_i32 s9, s9, s7
	s_delay_alu instid0(SALU_CYCLE_1)
	s_sub_co_i32 s35, 1, s9
	s_mov_b32 s9, s5
.LBB254_6:
	s_ashr_i32 s8, s8, 31
	s_ashr_i32 s15, s15, 31
	s_and_not1_b32 vcc_lo, exec_lo, s9
	s_mul_u64 s[28:29], s[4:5], s[20:21]
	s_cbranch_vccnz .LBB254_8
; %bb.7:
	s_mul_i32 s5, s31, s12
	s_delay_alu instid0(SALU_CYCLE_1) | instskip(NEXT) | instid1(SALU_CYCLE_1)
	s_add_co_i32 s2, s5, s2
	s_mul_i32 s2, s2, s7
	s_delay_alu instid0(SALU_CYCLE_1)
	s_add_co_i32 s35, s2, 1
.LBB254_8:
	s_clause 0x1
	s_load_b32 s2, s[0:1], 0x38
	s_load_b64 s[22:23], s[0:1], 0x28
	s_mul_i32 s7, s29, s16
	s_xor_b32 s5, s8, s15
	s_sub_co_i32 s4, s4, s7
	s_add_co_i32 s12, s29, 1
	s_clause 0x1
	s_load_b32 s7, s[0:1], 0x88
	s_load_b128 s[8:11], s[0:1], 0x58
	v_dual_lshrrev_b32 v27, 5, v0 :: v_dual_lshrrev_b32 v1, 3, v0
	v_mov_b32_e32 v17, 0xff7fffff
	v_mbcnt_lo_u32_b32 v3, -1, 0
	s_mul_i32 s18, s3, s18
	s_delay_alu instid0(VALU_DEP_3)
	v_lshlrev_b32_e32 v2, 4, v27
	s_wait_kmcnt 0x0
	s_mul_i32 s24, s2, s33
	s_sub_co_i32 s2, s4, s16
	s_ashr_i32 s25, s24, 31
	s_cmp_ge_u32 s4, s16
	s_cselect_b32 s12, s12, s29
	s_cselect_b32 s2, s2, s4
	s_add_co_i32 s4, s12, 1
	s_cmp_ge_u32 s2, s16
	s_cselect_b32 s2, s4, s12
	s_add_co_i32 s4, s34, 15
	s_delay_alu instid0(SALU_CYCLE_1) | instskip(NEXT) | instid1(SALU_CYCLE_1)
	s_ashr_i32 s12, s4, 31
	s_lshr_b32 s12, s12, 28
	s_delay_alu instid0(SALU_CYCLE_1) | instskip(NEXT) | instid1(SALU_CYCLE_1)
	s_add_co_i32 s4, s4, s12
	s_ashr_i32 s12, s4, 4
	s_xor_b32 s4, s2, s5
	v_cmp_gt_i32_e64 s2, s12, v27
	s_sub_co_i32 s36, s4, s5
	s_and_saveexec_b32 s26, s2
	s_cbranch_execz .LBB254_340
; %bb.9:
	s_load_b64 s[4:5], s[0:1], 0x10
	s_sub_co_i32 s38, s36, s13
	s_ashr_i32 s19, s18, 31
	s_cmp_neq_f32 s37, 0
	v_bfe_u32 v15, v0, 1, 4
	v_dual_mov_b32 v5, 0 :: v_dual_lshlrev_b32 v6, 4, v27
	s_cselect_b32 vcc_lo, -1, 0
	s_abs_i32 s39, s14
	s_delay_alu instid0(VALU_DEP_2)
	v_lshlrev_b32_e32 v4, 4, v15
	s_cvt_f32_u32 s28, s39
	s_lshl_b64 s[40:41], s[24:25], 2
	v_subrev_nc_u32_e32 v10, s34, v15
	v_cmp_eq_u32_e64 s3, 0, v26
	v_rcp_iflag_f32_e32 v7, s28
	v_mul_u32_u24_e32 v16, 0x50, v26
	v_mov_b32_e32 v20, 0xff7fffff
	v_dual_mov_b32 v21, v27 :: v_dual_add_nc_u32 v18, 1, v10
	s_mov_b32 s29, 0
	s_wait_kmcnt 0x0
	s_add_nc_u64 s[4:5], s[4:5], s[18:19]
	v_readfirstlane_b32 s28, v7
	v_lshlrev_b32_e32 v7, 2, v15
	v_add_nc_u64_e32 v[8:9], s[4:5], v[4:5]
	v_dual_mov_b32 v17, 0xff7fffff :: v_dual_lshlrev_b32 v4, 2, v26
	s_mul_f32 s19, s28, 0x4f7ffffe
	s_add_nc_u64 s[4:5], s[22:23], s[40:41]
	v_lshl_or_b32 v7, v27, 6, v7
	s_sub_co_i32 s28, 0, s39
	s_delay_alu instid0(VALU_DEP_3) | instskip(SKIP_4) | instid1(VALU_DEP_2)
	v_add_nc_u64_e32 v[8:9], v[8:9], v[4:5]
	v_and_b32_e32 v4, 0x7c, v1
	s_cvt_u32_f32 s40, s19
	v_add_nc_u32_e32 v19, 0xc0, v7
	s_mov_b32 s19, s17
	v_add_nc_u64_e32 v[10:11], s[4:5], v[4:5]
	s_mul_i32 s28, s28, s40
	s_delay_alu instid0(SALU_CYCLE_1) | instskip(NEXT) | instid1(SALU_CYCLE_1)
	s_mul_hi_u32 s28, s40, s28
	s_add_co_i32 s28, s40, s28
	s_mov_b32 s40, s29
	s_branch .LBB254_12
.LBB254_10:                             ;   in Loop: Header=BB254_12 Depth=1
	s_or_b32 exec_lo, exec_lo, s41
.LBB254_11:                             ;   in Loop: Header=BB254_12 Depth=1
	s_delay_alu instid0(SALU_CYCLE_1) | instskip(SKIP_3) | instid1(VALU_DEP_3)
	s_or_b32 exec_lo, exec_lo, s5
	v_dual_add_nc_u32 v21, 4, v21 :: v_dual_add_nc_u32 v6, 64, v6
	v_add_nc_u64_e32 v[10:11], 16, v[10:11]
	v_add_nc_u32_e32 v19, 0x100, v19
	v_cmp_le_i32_e64 s4, s12, v21
	s_or_b32 s40, s4, s40
	s_delay_alu instid0(SALU_CYCLE_1)
	s_and_not1_b32 exec_lo, exec_lo, s40
	s_cbranch_execz .LBB254_339
.LBB254_12:                             ; =>This Inner Loop Header: Depth=1
	s_wait_dscnt 0x0
	v_mov_b32_e32 v7, v5
	s_delay_alu instid0(VALU_DEP_1) | instskip(NEXT) | instid1(VALU_DEP_1)
	v_mul_u64_e32 v[12:13], s[20:21], v[6:7]
	v_mul_lo_u32 v4, v13, s16
	s_delay_alu instid0(VALU_DEP_1) | instskip(NEXT) | instid1(VALU_DEP_1)
	v_sub_nc_u32_e32 v4, v6, v4
	v_subrev_nc_u32_e32 v12, s16, v4
	v_cmp_le_u32_e64 s4, s16, v4
	s_delay_alu instid0(VALU_DEP_1) | instskip(NEXT) | instid1(VALU_DEP_1)
	v_dual_add_nc_u32 v7, 1, v13 :: v_dual_cndmask_b32 v4, v4, v12, s4
	v_cndmask_b32_e64 v7, v13, v7, s4
	s_delay_alu instid0(VALU_DEP_2) | instskip(NEXT) | instid1(VALU_DEP_2)
	v_cmp_le_u32_e64 s4, s16, v4
	v_add_nc_u32_e32 v12, 1, v7
	s_delay_alu instid0(VALU_DEP_1) | instskip(NEXT) | instid1(VALU_DEP_1)
	v_cndmask_b32_e64 v4, v7, v12, s4
	v_xor_b32_e32 v4, s15, v4
	s_delay_alu instid0(VALU_DEP_1) | instskip(NEXT) | instid1(VALU_DEP_1)
	v_subrev_nc_u32_e32 v7, s15, v4
	v_add_nc_u32_e32 v14, s35, v7
	v_cmp_ge_i32_e64 s5, s38, v7
	s_delay_alu instid0(VALU_DEP_2) | instskip(NEXT) | instid1(VALU_DEP_1)
	v_sub_nc_u32_e32 v4, 0, v14
	v_max_i32_e32 v4, v14, v4
	s_delay_alu instid0(VALU_DEP_1) | instskip(NEXT) | instid1(VALU_DEP_1)
	v_mul_u64_e32 v[12:13], s[28:29], v[4:5]
	v_mul_lo_u32 v12, v13, s39
	s_delay_alu instid0(VALU_DEP_1) | instskip(NEXT) | instid1(VALU_DEP_1)
	v_dual_ashrrev_i32 v13, 31, v14 :: v_dual_sub_nc_u32 v4, v4, v12
	v_subrev_nc_u32_e32 v12, s39, v4
	v_cmp_le_u32_e64 s4, s39, v4
	s_delay_alu instid0(VALU_DEP_1) | instskip(NEXT) | instid1(VALU_DEP_1)
	v_cndmask_b32_e64 v4, v4, v12, s4
	v_subrev_nc_u32_e32 v12, s39, v4
	v_cmp_le_u32_e64 s4, s39, v4
	s_delay_alu instid0(VALU_DEP_1) | instskip(NEXT) | instid1(VALU_DEP_1)
	v_cndmask_b32_e64 v4, v4, v12, s4
	v_xor_b32_e32 v4, v4, v13
	s_delay_alu instid0(VALU_DEP_1) | instskip(NEXT) | instid1(VALU_DEP_1)
	v_sub_nc_u32_e32 v4, v4, v13
	v_cmp_ne_u32_e64 s4, 0, v4
	s_and_b32 s4, s4, s5
	s_delay_alu instid0(SALU_CYCLE_1) | instskip(NEXT) | instid1(SALU_CYCLE_1)
	s_and_saveexec_b32 s5, s4
	s_xor_b32 s4, exec_lo, s5
	s_cbranch_execz .LBB254_16
; %bb.13:                               ;   in Loop: Header=BB254_12 Depth=1
	s_and_saveexec_b32 s5, s3
; %bb.14:                               ;   in Loop: Header=BB254_12 Depth=1
	ds_store_b32 v19, v20
; %bb.15:                               ;   in Loop: Header=BB254_12 Depth=1
	s_or_b32 exec_lo, exec_lo, s5
.LBB254_16:                             ;   in Loop: Header=BB254_12 Depth=1
	s_and_not1_saveexec_b32 s5, s4
	s_cbranch_execz .LBB254_11
; %bb.17:                               ;   in Loop: Header=BB254_12 Depth=1
	global_load_b32 v4, v[10:11], off
	v_dual_mov_b32 v22, 0 :: v_dual_mov_b32 v23, 0
	s_mov_b32 s41, exec_lo
	global_load_b32 v7, v22, s[8:9]
	s_wait_loadcnt 0x1
	v_mad_nc_i64_i32 v[12:13], v4, s19, v[8:9]
	global_load_b32 v14, v[12:13], off
	s_wait_loadcnt 0x0
	v_and_b32_e32 v4, 0xff, v14
	s_delay_alu instid0(VALU_DEP_1)
	v_cmpx_ne_u16_e32 0, v4
	s_cbranch_execz .LBB254_25
; %bb.18:                               ;   in Loop: Header=BB254_12 Depth=1
	v_mov_b32_e32 v23, 0x8000
	s_mov_b32 s42, exec_lo
	v_cmpx_ne_u16_e32 0x80, v4
	s_cbranch_execz .LBB254_24
; %bb.19:                               ;   in Loop: Header=BB254_12 Depth=1
	v_and_b32_e32 v24, 0x7f, v14
	v_mov_b32_e32 v23, 0x7c01
	s_mov_b32 s43, exec_lo
	s_delay_alu instid0(VALU_DEP_2)
	v_cmpx_ne_u32_e32 0x7f, v24
	s_cbranch_execz .LBB254_23
; %bb.20:                               ;   in Loop: Header=BB254_12 Depth=1
	v_dual_lshrrev_b32 v23, 3, v24 :: v_dual_bitop2_b32 v4, 7, v14 bitop3:0x40
	s_mov_b32 s44, exec_lo
	v_cmpx_gt_u32_e32 8, v24
; %bb.21:                               ;   in Loop: Header=BB254_12 Depth=1
	s_delay_alu instid0(VALU_DEP_2) | instskip(NEXT) | instid1(VALU_DEP_1)
	v_clz_i32_u32_e32 v4, v4
	v_min_u32_e32 v4, 32, v4
	s_delay_alu instid0(VALU_DEP_1) | instskip(NEXT) | instid1(VALU_DEP_1)
	v_subrev_nc_u32_e32 v23, 28, v4
	v_lshlrev_b64_e32 v[28:29], v23, v[14:15]
	v_sub_nc_u32_e32 v23, 29, v4
	s_delay_alu instid0(VALU_DEP_2)
	v_and_b32_e32 v4, 7, v28
; %bb.22:                               ;   in Loop: Header=BB254_12 Depth=1
	s_or_b32 exec_lo, exec_lo, s44
	s_delay_alu instid0(VALU_DEP_1) | instskip(NEXT) | instid1(VALU_DEP_3)
	v_dual_lshlrev_b32 v24, 8, v14 :: v_dual_lshlrev_b32 v4, 7, v4
	v_lshl_add_u32 v23, v23, 10, 0x2000
	s_delay_alu instid0(VALU_DEP_2) | instskip(NEXT) | instid1(VALU_DEP_2)
	v_and_b32_e32 v24, 0x8000, v24
	v_and_b32_e32 v23, 0xfc00, v23
	s_delay_alu instid0(VALU_DEP_1)
	v_or3_b32 v23, v24, v23, v4
.LBB254_23:                             ;   in Loop: Header=BB254_12 Depth=1
	s_or_b32 exec_lo, exec_lo, s43
.LBB254_24:                             ;   in Loop: Header=BB254_12 Depth=1
	s_delay_alu instid0(SALU_CYCLE_1)
	s_or_b32 exec_lo, exec_lo, s42
.LBB254_25:                             ;   in Loop: Header=BB254_12 Depth=1
	s_delay_alu instid0(SALU_CYCLE_1) | instskip(SKIP_2) | instid1(VALU_DEP_1)
	s_or_b32 exec_lo, exec_lo, s41
	v_lshrrev_b16 v4, 8, v14
	s_mov_b32 s41, exec_lo
	v_cmpx_ne_u16_e32 0, v4
	s_cbranch_execz .LBB254_33
; %bb.26:                               ;   in Loop: Header=BB254_12 Depth=1
	v_bfrev_b32_e32 v22, 1
	s_mov_b32 s42, exec_lo
	v_cmpx_ne_u16_e32 0x80, v4
	s_cbranch_execz .LBB254_32
; %bb.27:                               ;   in Loop: Header=BB254_12 Depth=1
	v_and_b32_e32 v24, 0xffff, v4
	v_mov_b32_e32 v22, 0x7c010000
	s_mov_b32 s43, exec_lo
	s_delay_alu instid0(VALU_DEP_2) | instskip(NEXT) | instid1(VALU_DEP_1)
	v_and_b32_e32 v29, 0x7f, v24
	v_cmpx_ne_u32_e32 0x7f, v29
	s_cbranch_execz .LBB254_31
; %bb.28:                               ;   in Loop: Header=BB254_12 Depth=1
	v_dual_lshrrev_b32 v28, 3, v29 :: v_dual_bitop2_b32 v22, 7, v24 bitop3:0x40
	s_mov_b32 s44, exec_lo
	v_cmpx_gt_u32_e32 8, v29
; %bb.29:                               ;   in Loop: Header=BB254_12 Depth=1
	s_delay_alu instid0(VALU_DEP_2) | instskip(NEXT) | instid1(VALU_DEP_1)
	v_clz_i32_u32_e32 v22, v22
	v_min_u32_e32 v22, 32, v22
	s_delay_alu instid0(VALU_DEP_1) | instskip(NEXT) | instid1(VALU_DEP_1)
	v_subrev_nc_u32_e32 v28, 28, v22
	v_lshlrev_b64_e32 v[30:31], v28, v[4:5]
	v_sub_nc_u32_e32 v28, 29, v22
	s_delay_alu instid0(VALU_DEP_2)
	v_and_b32_e32 v22, 7, v30
; %bb.30:                               ;   in Loop: Header=BB254_12 Depth=1
	s_or_b32 exec_lo, exec_lo, s44
	s_delay_alu instid0(VALU_DEP_1) | instskip(NEXT) | instid1(VALU_DEP_3)
	v_dual_lshlrev_b32 v4, 8, v24 :: v_dual_lshlrev_b32 v22, 23, v22
	v_lshl_add_u32 v24, v28, 10, 0x2000
	s_delay_alu instid0(VALU_DEP_1) | instskip(NEXT) | instid1(VALU_DEP_1)
	v_and_or_b32 v4, 0x8000, v4, v24
	v_lshl_or_b32 v22, v4, 16, v22
.LBB254_31:                             ;   in Loop: Header=BB254_12 Depth=1
	s_or_b32 exec_lo, exec_lo, s43
.LBB254_32:                             ;   in Loop: Header=BB254_12 Depth=1
	s_delay_alu instid0(SALU_CYCLE_1)
	s_or_b32 exec_lo, exec_lo, s42
.LBB254_33:                             ;   in Loop: Header=BB254_12 Depth=1
	s_delay_alu instid0(SALU_CYCLE_1) | instskip(SKIP_3) | instid1(VALU_DEP_2)
	s_or_b32 exec_lo, exec_lo, s41
	v_dual_lshrrev_b32 v4, 16, v14 :: v_dual_mov_b32 v24, 0
	v_mov_b32_e32 v28, 0
	s_mov_b32 s41, exec_lo
	v_and_b32_e32 v29, 0xff, v4
	s_delay_alu instid0(VALU_DEP_1)
	v_cmpx_ne_u16_e32 0, v29
	s_cbranch_execz .LBB254_41
; %bb.34:                               ;   in Loop: Header=BB254_12 Depth=1
	v_mov_b32_e32 v28, 0x8000
	s_mov_b32 s42, exec_lo
	v_cmpx_ne_u16_e32 0x80, v29
	s_cbranch_execz .LBB254_40
; %bb.35:                               ;   in Loop: Header=BB254_12 Depth=1
	v_bfe_u32 v30, v14, 16, 7
	v_mov_b32_e32 v28, 0x7c01
	s_mov_b32 s43, exec_lo
	s_delay_alu instid0(VALU_DEP_2)
	v_cmpx_ne_u32_e32 0x7f, v30
	s_cbranch_execz .LBB254_39
; %bb.36:                               ;   in Loop: Header=BB254_12 Depth=1
	v_dual_lshrrev_b32 v29, 3, v30 :: v_dual_bitop2_b32 v28, 7, v4 bitop3:0x40
	s_mov_b32 s44, exec_lo
	v_cmpx_gt_u32_e32 8, v30
; %bb.37:                               ;   in Loop: Header=BB254_12 Depth=1
	s_delay_alu instid0(VALU_DEP_2) | instskip(NEXT) | instid1(VALU_DEP_1)
	v_clz_i32_u32_e32 v28, v28
	v_min_u32_e32 v30, 32, v28
	s_delay_alu instid0(VALU_DEP_1) | instskip(NEXT) | instid1(VALU_DEP_1)
	v_subrev_nc_u32_e32 v28, 28, v30
	v_lshlrev_b64_e32 v[28:29], v28, v[4:5]
	s_delay_alu instid0(VALU_DEP_1)
	v_dual_sub_nc_u32 v29, 29, v30 :: v_dual_bitop2_b32 v28, 7, v28 bitop3:0x40
; %bb.38:                               ;   in Loop: Header=BB254_12 Depth=1
	s_or_b32 exec_lo, exec_lo, s44
	v_lshlrev_b32_e32 v4, 8, v4
	s_delay_alu instid0(VALU_DEP_2) | instskip(NEXT) | instid1(VALU_DEP_3)
	v_lshl_add_u32 v29, v29, 10, 0x2000
	v_lshlrev_b32_e32 v28, 7, v28
	s_delay_alu instid0(VALU_DEP_3) | instskip(NEXT) | instid1(VALU_DEP_3)
	v_and_b32_e32 v4, 0x8000, v4
	v_and_b32_e32 v29, 0xfc00, v29
	s_delay_alu instid0(VALU_DEP_1)
	v_or3_b32 v28, v4, v29, v28
.LBB254_39:                             ;   in Loop: Header=BB254_12 Depth=1
	s_or_b32 exec_lo, exec_lo, s43
.LBB254_40:                             ;   in Loop: Header=BB254_12 Depth=1
	s_delay_alu instid0(SALU_CYCLE_1)
	s_or_b32 exec_lo, exec_lo, s42
.LBB254_41:                             ;   in Loop: Header=BB254_12 Depth=1
	s_delay_alu instid0(SALU_CYCLE_1) | instskip(NEXT) | instid1(SALU_CYCLE_1)
	s_or_b32 exec_lo, exec_lo, s41
	s_mov_b32 s41, exec_lo
	v_cmpx_lt_u32_e32 0xffffff, v14
	s_cbranch_execz .LBB254_49
; %bb.42:                               ;   in Loop: Header=BB254_12 Depth=1
	v_lshrrev_b32_e32 v4, 24, v14
	v_bfrev_b32_e32 v24, 1
	s_mov_b32 s42, exec_lo
	s_delay_alu instid0(VALU_DEP_2)
	v_cmpx_ne_u32_e32 0x80, v4
	s_cbranch_execz .LBB254_48
; %bb.43:                               ;   in Loop: Header=BB254_12 Depth=1
	v_and_b32_e32 v29, 0x7f, v4
	v_mov_b32_e32 v24, 0x7c010000
	s_mov_b32 s43, exec_lo
	s_delay_alu instid0(VALU_DEP_2)
	v_cmpx_ne_u32_e32 0x7f, v29
	s_cbranch_execz .LBB254_47
; %bb.44:                               ;   in Loop: Header=BB254_12 Depth=1
	v_dual_lshrrev_b32 v24, 3, v29 :: v_dual_bitop2_b32 v14, 7, v4 bitop3:0x40
	s_mov_b32 s44, exec_lo
	v_cmpx_gt_u32_e32 8, v29
; %bb.45:                               ;   in Loop: Header=BB254_12 Depth=1
	s_delay_alu instid0(VALU_DEP_2) | instskip(NEXT) | instid1(VALU_DEP_1)
	v_clz_i32_u32_e32 v14, v14
	v_min_u32_e32 v14, 32, v14
	s_delay_alu instid0(VALU_DEP_1) | instskip(NEXT) | instid1(VALU_DEP_1)
	v_subrev_nc_u32_e32 v24, 28, v14
	v_lshlrev_b64_e32 v[30:31], v24, v[4:5]
	v_sub_nc_u32_e32 v24, 29, v14
	s_delay_alu instid0(VALU_DEP_2)
	v_and_b32_e32 v14, 7, v30
; %bb.46:                               ;   in Loop: Header=BB254_12 Depth=1
	s_or_b32 exec_lo, exec_lo, s44
	s_delay_alu instid0(VALU_DEP_1) | instskip(NEXT) | instid1(VALU_DEP_3)
	v_dual_lshlrev_b32 v4, 8, v4 :: v_dual_lshlrev_b32 v14, 23, v14
	v_lshl_add_u32 v24, v24, 10, 0x2000
	s_delay_alu instid0(VALU_DEP_1) | instskip(NEXT) | instid1(VALU_DEP_1)
	v_and_or_b32 v4, 0x8000, v4, v24
	v_lshl_or_b32 v24, v4, 16, v14
.LBB254_47:                             ;   in Loop: Header=BB254_12 Depth=1
	s_or_b32 exec_lo, exec_lo, s43
.LBB254_48:                             ;   in Loop: Header=BB254_12 Depth=1
	s_delay_alu instid0(SALU_CYCLE_1)
	s_or_b32 exec_lo, exec_lo, s42
.LBB254_49:                             ;   in Loop: Header=BB254_12 Depth=1
	s_delay_alu instid0(SALU_CYCLE_1)
	s_or_b32 exec_lo, exec_lo, s41
	global_load_b32 v14, v[12:13], off offset:8
	v_dual_mov_b32 v29, 0 :: v_dual_mov_b32 v30, 0
	s_mov_b32 s41, exec_lo
	s_wait_loadcnt 0x0
	v_and_b32_e32 v4, 0xff, v14
	s_delay_alu instid0(VALU_DEP_1)
	v_cmpx_ne_u16_e32 0, v4
	s_cbranch_execz .LBB254_57
; %bb.50:                               ;   in Loop: Header=BB254_12 Depth=1
	v_mov_b32_e32 v30, 0x8000
	s_mov_b32 s42, exec_lo
	v_cmpx_ne_u16_e32 0x80, v4
	s_cbranch_execz .LBB254_56
; %bb.51:                               ;   in Loop: Header=BB254_12 Depth=1
	v_and_b32_e32 v31, 0x7f, v14
	v_mov_b32_e32 v30, 0x7c01
	s_mov_b32 s43, exec_lo
	s_delay_alu instid0(VALU_DEP_2)
	v_cmpx_ne_u32_e32 0x7f, v31
	s_cbranch_execz .LBB254_55
; %bb.52:                               ;   in Loop: Header=BB254_12 Depth=1
	v_dual_lshrrev_b32 v30, 3, v31 :: v_dual_bitop2_b32 v4, 7, v14 bitop3:0x40
	s_mov_b32 s44, exec_lo
	v_cmpx_gt_u32_e32 8, v31
; %bb.53:                               ;   in Loop: Header=BB254_12 Depth=1
	s_delay_alu instid0(VALU_DEP_2) | instskip(NEXT) | instid1(VALU_DEP_1)
	v_clz_i32_u32_e32 v4, v4
	v_min_u32_e32 v4, 32, v4
	s_delay_alu instid0(VALU_DEP_1) | instskip(NEXT) | instid1(VALU_DEP_1)
	v_subrev_nc_u32_e32 v30, 28, v4
	v_lshlrev_b64_e32 v[32:33], v30, v[14:15]
	v_sub_nc_u32_e32 v30, 29, v4
	s_delay_alu instid0(VALU_DEP_2)
	v_and_b32_e32 v4, 7, v32
; %bb.54:                               ;   in Loop: Header=BB254_12 Depth=1
	s_or_b32 exec_lo, exec_lo, s44
	s_delay_alu instid0(VALU_DEP_1) | instskip(NEXT) | instid1(VALU_DEP_3)
	v_dual_lshlrev_b32 v31, 8, v14 :: v_dual_lshlrev_b32 v4, 7, v4
	v_lshl_add_u32 v30, v30, 10, 0x2000
	s_delay_alu instid0(VALU_DEP_2) | instskip(NEXT) | instid1(VALU_DEP_2)
	v_and_b32_e32 v31, 0x8000, v31
	v_and_b32_e32 v30, 0xfc00, v30
	s_delay_alu instid0(VALU_DEP_1)
	v_or3_b32 v30, v31, v30, v4
.LBB254_55:                             ;   in Loop: Header=BB254_12 Depth=1
	s_or_b32 exec_lo, exec_lo, s43
.LBB254_56:                             ;   in Loop: Header=BB254_12 Depth=1
	s_delay_alu instid0(SALU_CYCLE_1)
	s_or_b32 exec_lo, exec_lo, s42
.LBB254_57:                             ;   in Loop: Header=BB254_12 Depth=1
	s_delay_alu instid0(SALU_CYCLE_1) | instskip(SKIP_2) | instid1(VALU_DEP_1)
	s_or_b32 exec_lo, exec_lo, s41
	v_lshrrev_b16 v4, 8, v14
	s_mov_b32 s41, exec_lo
	v_cmpx_ne_u16_e32 0, v4
	s_cbranch_execz .LBB254_65
; %bb.58:                               ;   in Loop: Header=BB254_12 Depth=1
	v_bfrev_b32_e32 v29, 1
	s_mov_b32 s42, exec_lo
	v_cmpx_ne_u16_e32 0x80, v4
	s_cbranch_execz .LBB254_64
; %bb.59:                               ;   in Loop: Header=BB254_12 Depth=1
	v_and_b32_e32 v31, 0xffff, v4
	v_mov_b32_e32 v29, 0x7c010000
	s_mov_b32 s43, exec_lo
	s_delay_alu instid0(VALU_DEP_2) | instskip(NEXT) | instid1(VALU_DEP_1)
	v_and_b32_e32 v33, 0x7f, v31
	v_cmpx_ne_u32_e32 0x7f, v33
	s_cbranch_execz .LBB254_63
; %bb.60:                               ;   in Loop: Header=BB254_12 Depth=1
	v_dual_lshrrev_b32 v32, 3, v33 :: v_dual_bitop2_b32 v29, 7, v31 bitop3:0x40
	s_mov_b32 s44, exec_lo
	v_cmpx_gt_u32_e32 8, v33
; %bb.61:                               ;   in Loop: Header=BB254_12 Depth=1
	s_delay_alu instid0(VALU_DEP_2) | instskip(NEXT) | instid1(VALU_DEP_1)
	v_clz_i32_u32_e32 v29, v29
	v_min_u32_e32 v29, 32, v29
	s_delay_alu instid0(VALU_DEP_1) | instskip(NEXT) | instid1(VALU_DEP_1)
	v_subrev_nc_u32_e32 v32, 28, v29
	v_lshlrev_b64_e32 v[34:35], v32, v[4:5]
	s_delay_alu instid0(VALU_DEP_1)
	v_dual_sub_nc_u32 v32, 29, v29 :: v_dual_bitop2_b32 v29, 7, v34 bitop3:0x40
; %bb.62:                               ;   in Loop: Header=BB254_12 Depth=1
	s_or_b32 exec_lo, exec_lo, s44
	s_delay_alu instid0(VALU_DEP_1) | instskip(NEXT) | instid1(VALU_DEP_2)
	v_dual_lshlrev_b32 v4, 8, v31 :: v_dual_lshlrev_b32 v29, 23, v29
	v_lshl_add_u32 v31, v32, 10, 0x2000
	s_delay_alu instid0(VALU_DEP_1) | instskip(NEXT) | instid1(VALU_DEP_1)
	v_and_or_b32 v4, 0x8000, v4, v31
	v_lshl_or_b32 v29, v4, 16, v29
.LBB254_63:                             ;   in Loop: Header=BB254_12 Depth=1
	s_or_b32 exec_lo, exec_lo, s43
.LBB254_64:                             ;   in Loop: Header=BB254_12 Depth=1
	s_delay_alu instid0(SALU_CYCLE_1)
	s_or_b32 exec_lo, exec_lo, s42
.LBB254_65:                             ;   in Loop: Header=BB254_12 Depth=1
	s_delay_alu instid0(SALU_CYCLE_1) | instskip(SKIP_3) | instid1(VALU_DEP_2)
	s_or_b32 exec_lo, exec_lo, s41
	v_dual_mov_b32 v31, 0 :: v_dual_lshrrev_b32 v4, 16, v14
	v_mov_b32_e32 v32, 0
	s_mov_b32 s41, exec_lo
	v_and_b32_e32 v33, 0xff, v4
	s_delay_alu instid0(VALU_DEP_1)
	v_cmpx_ne_u16_e32 0, v33
	s_cbranch_execz .LBB254_73
; %bb.66:                               ;   in Loop: Header=BB254_12 Depth=1
	v_mov_b32_e32 v32, 0x8000
	s_mov_b32 s42, exec_lo
	v_cmpx_ne_u16_e32 0x80, v33
	s_cbranch_execz .LBB254_72
; %bb.67:                               ;   in Loop: Header=BB254_12 Depth=1
	v_bfe_u32 v34, v14, 16, 7
	v_mov_b32_e32 v32, 0x7c01
	s_mov_b32 s43, exec_lo
	s_delay_alu instid0(VALU_DEP_2)
	v_cmpx_ne_u32_e32 0x7f, v34
	s_cbranch_execz .LBB254_71
; %bb.68:                               ;   in Loop: Header=BB254_12 Depth=1
	v_dual_lshrrev_b32 v33, 3, v34 :: v_dual_bitop2_b32 v32, 7, v4 bitop3:0x40
	s_mov_b32 s44, exec_lo
	v_cmpx_gt_u32_e32 8, v34
; %bb.69:                               ;   in Loop: Header=BB254_12 Depth=1
	s_delay_alu instid0(VALU_DEP_2) | instskip(NEXT) | instid1(VALU_DEP_1)
	v_clz_i32_u32_e32 v32, v32
	v_min_u32_e32 v34, 32, v32
	s_delay_alu instid0(VALU_DEP_1) | instskip(NEXT) | instid1(VALU_DEP_1)
	v_subrev_nc_u32_e32 v32, 28, v34
	v_lshlrev_b64_e32 v[32:33], v32, v[4:5]
	s_delay_alu instid0(VALU_DEP_1)
	v_dual_sub_nc_u32 v33, 29, v34 :: v_dual_bitop2_b32 v32, 7, v32 bitop3:0x40
; %bb.70:                               ;   in Loop: Header=BB254_12 Depth=1
	s_or_b32 exec_lo, exec_lo, s44
	v_lshlrev_b32_e32 v4, 8, v4
	s_delay_alu instid0(VALU_DEP_2) | instskip(NEXT) | instid1(VALU_DEP_3)
	v_lshl_add_u32 v33, v33, 10, 0x2000
	v_lshlrev_b32_e32 v32, 7, v32
	s_delay_alu instid0(VALU_DEP_3) | instskip(NEXT) | instid1(VALU_DEP_3)
	v_and_b32_e32 v4, 0x8000, v4
	v_and_b32_e32 v33, 0xfc00, v33
	s_delay_alu instid0(VALU_DEP_1)
	v_or3_b32 v32, v4, v33, v32
.LBB254_71:                             ;   in Loop: Header=BB254_12 Depth=1
	s_or_b32 exec_lo, exec_lo, s43
.LBB254_72:                             ;   in Loop: Header=BB254_12 Depth=1
	s_delay_alu instid0(SALU_CYCLE_1)
	s_or_b32 exec_lo, exec_lo, s42
.LBB254_73:                             ;   in Loop: Header=BB254_12 Depth=1
	s_delay_alu instid0(SALU_CYCLE_1) | instskip(NEXT) | instid1(SALU_CYCLE_1)
	s_or_b32 exec_lo, exec_lo, s41
	s_mov_b32 s41, exec_lo
	v_cmpx_lt_u32_e32 0xffffff, v14
	s_cbranch_execz .LBB254_81
; %bb.74:                               ;   in Loop: Header=BB254_12 Depth=1
	v_lshrrev_b32_e32 v4, 24, v14
	v_bfrev_b32_e32 v31, 1
	s_mov_b32 s42, exec_lo
	s_delay_alu instid0(VALU_DEP_2)
	v_cmpx_ne_u32_e32 0x80, v4
	s_cbranch_execz .LBB254_80
; %bb.75:                               ;   in Loop: Header=BB254_12 Depth=1
	v_and_b32_e32 v33, 0x7f, v4
	v_mov_b32_e32 v31, 0x7c010000
	s_mov_b32 s43, exec_lo
	s_delay_alu instid0(VALU_DEP_2)
	v_cmpx_ne_u32_e32 0x7f, v33
	s_cbranch_execz .LBB254_79
; %bb.76:                               ;   in Loop: Header=BB254_12 Depth=1
	v_dual_lshrrev_b32 v31, 3, v33 :: v_dual_bitop2_b32 v14, 7, v4 bitop3:0x40
	s_mov_b32 s44, exec_lo
	v_cmpx_gt_u32_e32 8, v33
; %bb.77:                               ;   in Loop: Header=BB254_12 Depth=1
	s_delay_alu instid0(VALU_DEP_2) | instskip(NEXT) | instid1(VALU_DEP_1)
	v_clz_i32_u32_e32 v14, v14
	v_min_u32_e32 v14, 32, v14
	s_delay_alu instid0(VALU_DEP_1) | instskip(NEXT) | instid1(VALU_DEP_1)
	v_subrev_nc_u32_e32 v31, 28, v14
	v_lshlrev_b64_e32 v[34:35], v31, v[4:5]
	v_sub_nc_u32_e32 v31, 29, v14
	s_delay_alu instid0(VALU_DEP_2)
	v_and_b32_e32 v14, 7, v34
; %bb.78:                               ;   in Loop: Header=BB254_12 Depth=1
	s_or_b32 exec_lo, exec_lo, s44
	s_delay_alu instid0(VALU_DEP_1) | instskip(NEXT) | instid1(VALU_DEP_3)
	v_dual_lshlrev_b32 v4, 8, v4 :: v_dual_lshlrev_b32 v14, 23, v14
	v_lshl_add_u32 v31, v31, 10, 0x2000
	s_delay_alu instid0(VALU_DEP_1) | instskip(NEXT) | instid1(VALU_DEP_1)
	v_and_or_b32 v4, 0x8000, v4, v31
	v_lshl_or_b32 v31, v4, 16, v14
.LBB254_79:                             ;   in Loop: Header=BB254_12 Depth=1
	s_or_b32 exec_lo, exec_lo, s43
.LBB254_80:                             ;   in Loop: Header=BB254_12 Depth=1
	s_delay_alu instid0(SALU_CYCLE_1)
	s_or_b32 exec_lo, exec_lo, s42
.LBB254_81:                             ;   in Loop: Header=BB254_12 Depth=1
	s_delay_alu instid0(SALU_CYCLE_1)
	s_or_b32 exec_lo, exec_lo, s41
	global_load_b32 v14, v[12:13], off offset:256
	v_dual_mov_b32 v33, 0 :: v_dual_mov_b32 v34, 0
	s_mov_b32 s41, exec_lo
	s_wait_loadcnt 0x0
	v_and_b32_e32 v4, 0xff, v14
	s_delay_alu instid0(VALU_DEP_1)
	v_cmpx_ne_u16_e32 0, v4
	s_cbranch_execz .LBB254_89
; %bb.82:                               ;   in Loop: Header=BB254_12 Depth=1
	v_mov_b32_e32 v34, 0x8000
	s_mov_b32 s42, exec_lo
	v_cmpx_ne_u16_e32 0x80, v4
	s_cbranch_execz .LBB254_88
; %bb.83:                               ;   in Loop: Header=BB254_12 Depth=1
	v_and_b32_e32 v35, 0x7f, v14
	v_mov_b32_e32 v34, 0x7c01
	s_mov_b32 s43, exec_lo
	s_delay_alu instid0(VALU_DEP_2)
	v_cmpx_ne_u32_e32 0x7f, v35
	s_cbranch_execz .LBB254_87
; %bb.84:                               ;   in Loop: Header=BB254_12 Depth=1
	v_dual_lshrrev_b32 v34, 3, v35 :: v_dual_bitop2_b32 v4, 7, v14 bitop3:0x40
	s_mov_b32 s44, exec_lo
	v_cmpx_gt_u32_e32 8, v35
; %bb.85:                               ;   in Loop: Header=BB254_12 Depth=1
	s_delay_alu instid0(VALU_DEP_2) | instskip(NEXT) | instid1(VALU_DEP_1)
	v_clz_i32_u32_e32 v4, v4
	v_min_u32_e32 v4, 32, v4
	s_delay_alu instid0(VALU_DEP_1) | instskip(NEXT) | instid1(VALU_DEP_1)
	v_subrev_nc_u32_e32 v34, 28, v4
	v_lshlrev_b64_e32 v[36:37], v34, v[14:15]
	v_sub_nc_u32_e32 v34, 29, v4
	s_delay_alu instid0(VALU_DEP_2)
	v_and_b32_e32 v4, 7, v36
; %bb.86:                               ;   in Loop: Header=BB254_12 Depth=1
	s_or_b32 exec_lo, exec_lo, s44
	s_delay_alu instid0(VALU_DEP_1) | instskip(NEXT) | instid1(VALU_DEP_3)
	v_dual_lshlrev_b32 v35, 8, v14 :: v_dual_lshlrev_b32 v4, 7, v4
	v_lshl_add_u32 v34, v34, 10, 0x2000
	s_delay_alu instid0(VALU_DEP_2) | instskip(NEXT) | instid1(VALU_DEP_2)
	v_and_b32_e32 v35, 0x8000, v35
	v_and_b32_e32 v34, 0xfc00, v34
	s_delay_alu instid0(VALU_DEP_1)
	v_or3_b32 v34, v35, v34, v4
.LBB254_87:                             ;   in Loop: Header=BB254_12 Depth=1
	s_or_b32 exec_lo, exec_lo, s43
.LBB254_88:                             ;   in Loop: Header=BB254_12 Depth=1
	s_delay_alu instid0(SALU_CYCLE_1)
	s_or_b32 exec_lo, exec_lo, s42
.LBB254_89:                             ;   in Loop: Header=BB254_12 Depth=1
	s_delay_alu instid0(SALU_CYCLE_1) | instskip(SKIP_2) | instid1(VALU_DEP_1)
	s_or_b32 exec_lo, exec_lo, s41
	v_lshrrev_b16 v4, 8, v14
	s_mov_b32 s41, exec_lo
	v_cmpx_ne_u16_e32 0, v4
	s_cbranch_execz .LBB254_97
; %bb.90:                               ;   in Loop: Header=BB254_12 Depth=1
	v_bfrev_b32_e32 v33, 1
	s_mov_b32 s42, exec_lo
	v_cmpx_ne_u16_e32 0x80, v4
	s_cbranch_execz .LBB254_96
; %bb.91:                               ;   in Loop: Header=BB254_12 Depth=1
	v_and_b32_e32 v35, 0xffff, v4
	v_mov_b32_e32 v33, 0x7c010000
	s_mov_b32 s43, exec_lo
	s_delay_alu instid0(VALU_DEP_2) | instskip(NEXT) | instid1(VALU_DEP_1)
	v_and_b32_e32 v37, 0x7f, v35
	v_cmpx_ne_u32_e32 0x7f, v37
	s_cbranch_execz .LBB254_95
; %bb.92:                               ;   in Loop: Header=BB254_12 Depth=1
	v_dual_lshrrev_b32 v36, 3, v37 :: v_dual_bitop2_b32 v33, 7, v35 bitop3:0x40
	s_mov_b32 s44, exec_lo
	v_cmpx_gt_u32_e32 8, v37
; %bb.93:                               ;   in Loop: Header=BB254_12 Depth=1
	s_delay_alu instid0(VALU_DEP_2) | instskip(NEXT) | instid1(VALU_DEP_1)
	v_clz_i32_u32_e32 v33, v33
	v_min_u32_e32 v33, 32, v33
	s_delay_alu instid0(VALU_DEP_1) | instskip(NEXT) | instid1(VALU_DEP_1)
	v_subrev_nc_u32_e32 v36, 28, v33
	v_lshlrev_b64_e32 v[38:39], v36, v[4:5]
	s_delay_alu instid0(VALU_DEP_1)
	v_dual_sub_nc_u32 v36, 29, v33 :: v_dual_bitop2_b32 v33, 7, v38 bitop3:0x40
; %bb.94:                               ;   in Loop: Header=BB254_12 Depth=1
	s_or_b32 exec_lo, exec_lo, s44
	s_delay_alu instid0(VALU_DEP_1) | instskip(NEXT) | instid1(VALU_DEP_2)
	v_dual_lshlrev_b32 v4, 8, v35 :: v_dual_lshlrev_b32 v33, 23, v33
	v_lshl_add_u32 v35, v36, 10, 0x2000
	s_delay_alu instid0(VALU_DEP_1) | instskip(NEXT) | instid1(VALU_DEP_1)
	v_and_or_b32 v4, 0x8000, v4, v35
	v_lshl_or_b32 v33, v4, 16, v33
.LBB254_95:                             ;   in Loop: Header=BB254_12 Depth=1
	s_or_b32 exec_lo, exec_lo, s43
.LBB254_96:                             ;   in Loop: Header=BB254_12 Depth=1
	s_delay_alu instid0(SALU_CYCLE_1)
	s_or_b32 exec_lo, exec_lo, s42
.LBB254_97:                             ;   in Loop: Header=BB254_12 Depth=1
	s_delay_alu instid0(SALU_CYCLE_1) | instskip(SKIP_3) | instid1(VALU_DEP_2)
	s_or_b32 exec_lo, exec_lo, s41
	v_dual_mov_b32 v35, 0 :: v_dual_lshrrev_b32 v4, 16, v14
	v_mov_b32_e32 v36, 0
	s_mov_b32 s41, exec_lo
	v_and_b32_e32 v37, 0xff, v4
	s_delay_alu instid0(VALU_DEP_1)
	v_cmpx_ne_u16_e32 0, v37
	s_cbranch_execz .LBB254_105
; %bb.98:                               ;   in Loop: Header=BB254_12 Depth=1
	v_mov_b32_e32 v36, 0x8000
	s_mov_b32 s42, exec_lo
	v_cmpx_ne_u16_e32 0x80, v37
	s_cbranch_execz .LBB254_104
; %bb.99:                               ;   in Loop: Header=BB254_12 Depth=1
	v_bfe_u32 v38, v14, 16, 7
	v_mov_b32_e32 v36, 0x7c01
	s_mov_b32 s43, exec_lo
	s_delay_alu instid0(VALU_DEP_2)
	v_cmpx_ne_u32_e32 0x7f, v38
	s_cbranch_execz .LBB254_103
; %bb.100:                              ;   in Loop: Header=BB254_12 Depth=1
	v_dual_lshrrev_b32 v37, 3, v38 :: v_dual_bitop2_b32 v36, 7, v4 bitop3:0x40
	s_mov_b32 s44, exec_lo
	v_cmpx_gt_u32_e32 8, v38
; %bb.101:                              ;   in Loop: Header=BB254_12 Depth=1
	s_delay_alu instid0(VALU_DEP_2) | instskip(NEXT) | instid1(VALU_DEP_1)
	v_clz_i32_u32_e32 v36, v36
	v_min_u32_e32 v38, 32, v36
	s_delay_alu instid0(VALU_DEP_1) | instskip(NEXT) | instid1(VALU_DEP_1)
	v_subrev_nc_u32_e32 v36, 28, v38
	v_lshlrev_b64_e32 v[36:37], v36, v[4:5]
	s_delay_alu instid0(VALU_DEP_1)
	v_dual_sub_nc_u32 v37, 29, v38 :: v_dual_bitop2_b32 v36, 7, v36 bitop3:0x40
; %bb.102:                              ;   in Loop: Header=BB254_12 Depth=1
	s_or_b32 exec_lo, exec_lo, s44
	v_lshlrev_b32_e32 v4, 8, v4
	s_delay_alu instid0(VALU_DEP_2) | instskip(NEXT) | instid1(VALU_DEP_3)
	v_lshl_add_u32 v37, v37, 10, 0x2000
	v_lshlrev_b32_e32 v36, 7, v36
	s_delay_alu instid0(VALU_DEP_3) | instskip(NEXT) | instid1(VALU_DEP_3)
	v_and_b32_e32 v4, 0x8000, v4
	v_and_b32_e32 v37, 0xfc00, v37
	s_delay_alu instid0(VALU_DEP_1)
	v_or3_b32 v36, v4, v37, v36
.LBB254_103:                            ;   in Loop: Header=BB254_12 Depth=1
	s_or_b32 exec_lo, exec_lo, s43
.LBB254_104:                            ;   in Loop: Header=BB254_12 Depth=1
	s_delay_alu instid0(SALU_CYCLE_1)
	s_or_b32 exec_lo, exec_lo, s42
.LBB254_105:                            ;   in Loop: Header=BB254_12 Depth=1
	s_delay_alu instid0(SALU_CYCLE_1) | instskip(NEXT) | instid1(SALU_CYCLE_1)
	s_or_b32 exec_lo, exec_lo, s41
	s_mov_b32 s41, exec_lo
	v_cmpx_lt_u32_e32 0xffffff, v14
	s_cbranch_execz .LBB254_113
; %bb.106:                              ;   in Loop: Header=BB254_12 Depth=1
	v_lshrrev_b32_e32 v4, 24, v14
	v_bfrev_b32_e32 v35, 1
	s_mov_b32 s42, exec_lo
	s_delay_alu instid0(VALU_DEP_2)
	v_cmpx_ne_u32_e32 0x80, v4
	s_cbranch_execz .LBB254_112
; %bb.107:                              ;   in Loop: Header=BB254_12 Depth=1
	v_and_b32_e32 v37, 0x7f, v4
	v_mov_b32_e32 v35, 0x7c010000
	s_mov_b32 s43, exec_lo
	s_delay_alu instid0(VALU_DEP_2)
	v_cmpx_ne_u32_e32 0x7f, v37
	s_cbranch_execz .LBB254_111
; %bb.108:                              ;   in Loop: Header=BB254_12 Depth=1
	v_dual_lshrrev_b32 v35, 3, v37 :: v_dual_bitop2_b32 v14, 7, v4 bitop3:0x40
	s_mov_b32 s44, exec_lo
	v_cmpx_gt_u32_e32 8, v37
; %bb.109:                              ;   in Loop: Header=BB254_12 Depth=1
	s_delay_alu instid0(VALU_DEP_2) | instskip(NEXT) | instid1(VALU_DEP_1)
	v_clz_i32_u32_e32 v14, v14
	v_min_u32_e32 v14, 32, v14
	s_delay_alu instid0(VALU_DEP_1) | instskip(NEXT) | instid1(VALU_DEP_1)
	v_subrev_nc_u32_e32 v35, 28, v14
	v_lshlrev_b64_e32 v[38:39], v35, v[4:5]
	v_sub_nc_u32_e32 v35, 29, v14
	s_delay_alu instid0(VALU_DEP_2)
	v_and_b32_e32 v14, 7, v38
; %bb.110:                              ;   in Loop: Header=BB254_12 Depth=1
	s_or_b32 exec_lo, exec_lo, s44
	s_delay_alu instid0(VALU_DEP_1) | instskip(NEXT) | instid1(VALU_DEP_3)
	v_dual_lshlrev_b32 v4, 8, v4 :: v_dual_lshlrev_b32 v14, 23, v14
	v_lshl_add_u32 v35, v35, 10, 0x2000
	s_delay_alu instid0(VALU_DEP_1) | instskip(NEXT) | instid1(VALU_DEP_1)
	v_and_or_b32 v4, 0x8000, v4, v35
	v_lshl_or_b32 v35, v4, 16, v14
.LBB254_111:                            ;   in Loop: Header=BB254_12 Depth=1
	s_or_b32 exec_lo, exec_lo, s43
.LBB254_112:                            ;   in Loop: Header=BB254_12 Depth=1
	s_delay_alu instid0(SALU_CYCLE_1)
	s_or_b32 exec_lo, exec_lo, s42
.LBB254_113:                            ;   in Loop: Header=BB254_12 Depth=1
	s_delay_alu instid0(SALU_CYCLE_1)
	s_or_b32 exec_lo, exec_lo, s41
	global_load_b32 v14, v[12:13], off offset:264
	v_dual_mov_b32 v37, 0 :: v_dual_mov_b32 v38, 0
	s_mov_b32 s41, exec_lo
	s_wait_loadcnt 0x0
	v_and_b32_e32 v4, 0xff, v14
	s_delay_alu instid0(VALU_DEP_1)
	v_cmpx_ne_u16_e32 0, v4
	s_cbranch_execz .LBB254_121
; %bb.114:                              ;   in Loop: Header=BB254_12 Depth=1
	v_mov_b32_e32 v38, 0x8000
	s_mov_b32 s42, exec_lo
	v_cmpx_ne_u16_e32 0x80, v4
	s_cbranch_execz .LBB254_120
; %bb.115:                              ;   in Loop: Header=BB254_12 Depth=1
	v_and_b32_e32 v39, 0x7f, v14
	v_mov_b32_e32 v38, 0x7c01
	s_mov_b32 s43, exec_lo
	s_delay_alu instid0(VALU_DEP_2)
	v_cmpx_ne_u32_e32 0x7f, v39
	s_cbranch_execz .LBB254_119
; %bb.116:                              ;   in Loop: Header=BB254_12 Depth=1
	v_dual_lshrrev_b32 v38, 3, v39 :: v_dual_bitop2_b32 v4, 7, v14 bitop3:0x40
	s_mov_b32 s44, exec_lo
	v_cmpx_gt_u32_e32 8, v39
; %bb.117:                              ;   in Loop: Header=BB254_12 Depth=1
	s_delay_alu instid0(VALU_DEP_2) | instskip(NEXT) | instid1(VALU_DEP_1)
	v_clz_i32_u32_e32 v4, v4
	v_min_u32_e32 v4, 32, v4
	s_delay_alu instid0(VALU_DEP_1) | instskip(NEXT) | instid1(VALU_DEP_1)
	v_subrev_nc_u32_e32 v38, 28, v4
	v_lshlrev_b64_e32 v[40:41], v38, v[14:15]
	v_sub_nc_u32_e32 v38, 29, v4
	s_delay_alu instid0(VALU_DEP_2)
	v_and_b32_e32 v4, 7, v40
; %bb.118:                              ;   in Loop: Header=BB254_12 Depth=1
	s_or_b32 exec_lo, exec_lo, s44
	s_delay_alu instid0(VALU_DEP_1) | instskip(NEXT) | instid1(VALU_DEP_3)
	v_dual_lshlrev_b32 v39, 8, v14 :: v_dual_lshlrev_b32 v4, 7, v4
	v_lshl_add_u32 v38, v38, 10, 0x2000
	s_delay_alu instid0(VALU_DEP_2) | instskip(NEXT) | instid1(VALU_DEP_2)
	v_and_b32_e32 v39, 0x8000, v39
	v_and_b32_e32 v38, 0xfc00, v38
	s_delay_alu instid0(VALU_DEP_1)
	v_or3_b32 v38, v39, v38, v4
.LBB254_119:                            ;   in Loop: Header=BB254_12 Depth=1
	s_or_b32 exec_lo, exec_lo, s43
.LBB254_120:                            ;   in Loop: Header=BB254_12 Depth=1
	s_delay_alu instid0(SALU_CYCLE_1)
	s_or_b32 exec_lo, exec_lo, s42
.LBB254_121:                            ;   in Loop: Header=BB254_12 Depth=1
	s_delay_alu instid0(SALU_CYCLE_1) | instskip(SKIP_2) | instid1(VALU_DEP_1)
	s_or_b32 exec_lo, exec_lo, s41
	v_lshrrev_b16 v4, 8, v14
	s_mov_b32 s41, exec_lo
	v_cmpx_ne_u16_e32 0, v4
	s_cbranch_execz .LBB254_129
; %bb.122:                              ;   in Loop: Header=BB254_12 Depth=1
	v_bfrev_b32_e32 v37, 1
	s_mov_b32 s42, exec_lo
	v_cmpx_ne_u16_e32 0x80, v4
	s_cbranch_execz .LBB254_128
; %bb.123:                              ;   in Loop: Header=BB254_12 Depth=1
	v_and_b32_e32 v39, 0xffff, v4
	v_mov_b32_e32 v37, 0x7c010000
	s_mov_b32 s43, exec_lo
	s_delay_alu instid0(VALU_DEP_2) | instskip(NEXT) | instid1(VALU_DEP_1)
	v_and_b32_e32 v41, 0x7f, v39
	v_cmpx_ne_u32_e32 0x7f, v41
	s_cbranch_execz .LBB254_127
; %bb.124:                              ;   in Loop: Header=BB254_12 Depth=1
	v_dual_lshrrev_b32 v40, 3, v41 :: v_dual_bitop2_b32 v37, 7, v39 bitop3:0x40
	s_mov_b32 s44, exec_lo
	v_cmpx_gt_u32_e32 8, v41
; %bb.125:                              ;   in Loop: Header=BB254_12 Depth=1
	s_delay_alu instid0(VALU_DEP_2) | instskip(NEXT) | instid1(VALU_DEP_1)
	v_clz_i32_u32_e32 v37, v37
	v_min_u32_e32 v37, 32, v37
	s_delay_alu instid0(VALU_DEP_1) | instskip(NEXT) | instid1(VALU_DEP_1)
	v_subrev_nc_u32_e32 v40, 28, v37
	v_lshlrev_b64_e32 v[42:43], v40, v[4:5]
	s_delay_alu instid0(VALU_DEP_1)
	v_dual_sub_nc_u32 v40, 29, v37 :: v_dual_bitop2_b32 v37, 7, v42 bitop3:0x40
; %bb.126:                              ;   in Loop: Header=BB254_12 Depth=1
	s_or_b32 exec_lo, exec_lo, s44
	s_delay_alu instid0(VALU_DEP_1) | instskip(NEXT) | instid1(VALU_DEP_2)
	v_dual_lshlrev_b32 v4, 8, v39 :: v_dual_lshlrev_b32 v37, 23, v37
	v_lshl_add_u32 v39, v40, 10, 0x2000
	s_delay_alu instid0(VALU_DEP_1) | instskip(NEXT) | instid1(VALU_DEP_1)
	v_and_or_b32 v4, 0x8000, v4, v39
	v_lshl_or_b32 v37, v4, 16, v37
.LBB254_127:                            ;   in Loop: Header=BB254_12 Depth=1
	s_or_b32 exec_lo, exec_lo, s43
.LBB254_128:                            ;   in Loop: Header=BB254_12 Depth=1
	s_delay_alu instid0(SALU_CYCLE_1)
	s_or_b32 exec_lo, exec_lo, s42
.LBB254_129:                            ;   in Loop: Header=BB254_12 Depth=1
	s_delay_alu instid0(SALU_CYCLE_1) | instskip(SKIP_3) | instid1(VALU_DEP_2)
	s_or_b32 exec_lo, exec_lo, s41
	v_dual_mov_b32 v39, 0 :: v_dual_lshrrev_b32 v4, 16, v14
	v_mov_b32_e32 v40, 0
	s_mov_b32 s41, exec_lo
	v_and_b32_e32 v41, 0xff, v4
	s_delay_alu instid0(VALU_DEP_1)
	v_cmpx_ne_u16_e32 0, v41
	s_cbranch_execz .LBB254_137
; %bb.130:                              ;   in Loop: Header=BB254_12 Depth=1
	v_mov_b32_e32 v40, 0x8000
	s_mov_b32 s42, exec_lo
	v_cmpx_ne_u16_e32 0x80, v41
	s_cbranch_execz .LBB254_136
; %bb.131:                              ;   in Loop: Header=BB254_12 Depth=1
	v_bfe_u32 v42, v14, 16, 7
	v_mov_b32_e32 v40, 0x7c01
	s_mov_b32 s43, exec_lo
	s_delay_alu instid0(VALU_DEP_2)
	v_cmpx_ne_u32_e32 0x7f, v42
	s_cbranch_execz .LBB254_135
; %bb.132:                              ;   in Loop: Header=BB254_12 Depth=1
	v_dual_lshrrev_b32 v41, 3, v42 :: v_dual_bitop2_b32 v40, 7, v4 bitop3:0x40
	s_mov_b32 s44, exec_lo
	v_cmpx_gt_u32_e32 8, v42
; %bb.133:                              ;   in Loop: Header=BB254_12 Depth=1
	s_delay_alu instid0(VALU_DEP_2) | instskip(NEXT) | instid1(VALU_DEP_1)
	v_clz_i32_u32_e32 v40, v40
	v_min_u32_e32 v42, 32, v40
	s_delay_alu instid0(VALU_DEP_1) | instskip(NEXT) | instid1(VALU_DEP_1)
	v_subrev_nc_u32_e32 v40, 28, v42
	v_lshlrev_b64_e32 v[40:41], v40, v[4:5]
	s_delay_alu instid0(VALU_DEP_1)
	v_dual_sub_nc_u32 v41, 29, v42 :: v_dual_bitop2_b32 v40, 7, v40 bitop3:0x40
; %bb.134:                              ;   in Loop: Header=BB254_12 Depth=1
	s_or_b32 exec_lo, exec_lo, s44
	v_lshlrev_b32_e32 v4, 8, v4
	s_delay_alu instid0(VALU_DEP_2) | instskip(NEXT) | instid1(VALU_DEP_3)
	v_lshl_add_u32 v41, v41, 10, 0x2000
	v_lshlrev_b32_e32 v40, 7, v40
	s_delay_alu instid0(VALU_DEP_3) | instskip(NEXT) | instid1(VALU_DEP_3)
	v_and_b32_e32 v4, 0x8000, v4
	v_and_b32_e32 v41, 0xfc00, v41
	s_delay_alu instid0(VALU_DEP_1)
	v_or3_b32 v40, v4, v41, v40
.LBB254_135:                            ;   in Loop: Header=BB254_12 Depth=1
	s_or_b32 exec_lo, exec_lo, s43
.LBB254_136:                            ;   in Loop: Header=BB254_12 Depth=1
	s_delay_alu instid0(SALU_CYCLE_1)
	s_or_b32 exec_lo, exec_lo, s42
.LBB254_137:                            ;   in Loop: Header=BB254_12 Depth=1
	s_delay_alu instid0(SALU_CYCLE_1) | instskip(NEXT) | instid1(SALU_CYCLE_1)
	s_or_b32 exec_lo, exec_lo, s41
	s_mov_b32 s41, exec_lo
	v_cmpx_lt_u32_e32 0xffffff, v14
	s_cbranch_execz .LBB254_145
; %bb.138:                              ;   in Loop: Header=BB254_12 Depth=1
	v_lshrrev_b32_e32 v4, 24, v14
	v_bfrev_b32_e32 v39, 1
	s_mov_b32 s42, exec_lo
	s_delay_alu instid0(VALU_DEP_2)
	v_cmpx_ne_u32_e32 0x80, v4
	s_cbranch_execz .LBB254_144
; %bb.139:                              ;   in Loop: Header=BB254_12 Depth=1
	v_and_b32_e32 v41, 0x7f, v4
	v_mov_b32_e32 v39, 0x7c010000
	s_mov_b32 s43, exec_lo
	s_delay_alu instid0(VALU_DEP_2)
	v_cmpx_ne_u32_e32 0x7f, v41
	s_cbranch_execz .LBB254_143
; %bb.140:                              ;   in Loop: Header=BB254_12 Depth=1
	v_dual_lshrrev_b32 v39, 3, v41 :: v_dual_bitop2_b32 v14, 7, v4 bitop3:0x40
	s_mov_b32 s44, exec_lo
	v_cmpx_gt_u32_e32 8, v41
; %bb.141:                              ;   in Loop: Header=BB254_12 Depth=1
	s_delay_alu instid0(VALU_DEP_2) | instskip(NEXT) | instid1(VALU_DEP_1)
	v_clz_i32_u32_e32 v14, v14
	v_min_u32_e32 v14, 32, v14
	s_delay_alu instid0(VALU_DEP_1) | instskip(NEXT) | instid1(VALU_DEP_1)
	v_subrev_nc_u32_e32 v39, 28, v14
	v_lshlrev_b64_e32 v[42:43], v39, v[4:5]
	v_sub_nc_u32_e32 v39, 29, v14
	s_delay_alu instid0(VALU_DEP_2)
	v_and_b32_e32 v14, 7, v42
; %bb.142:                              ;   in Loop: Header=BB254_12 Depth=1
	s_or_b32 exec_lo, exec_lo, s44
	s_delay_alu instid0(VALU_DEP_1) | instskip(NEXT) | instid1(VALU_DEP_3)
	v_dual_lshlrev_b32 v4, 8, v4 :: v_dual_lshlrev_b32 v14, 23, v14
	v_lshl_add_u32 v39, v39, 10, 0x2000
	s_delay_alu instid0(VALU_DEP_1) | instskip(NEXT) | instid1(VALU_DEP_1)
	v_and_or_b32 v4, 0x8000, v4, v39
	v_lshl_or_b32 v39, v4, 16, v14
.LBB254_143:                            ;   in Loop: Header=BB254_12 Depth=1
	s_or_b32 exec_lo, exec_lo, s43
.LBB254_144:                            ;   in Loop: Header=BB254_12 Depth=1
	s_delay_alu instid0(SALU_CYCLE_1)
	s_or_b32 exec_lo, exec_lo, s42
.LBB254_145:                            ;   in Loop: Header=BB254_12 Depth=1
	s_delay_alu instid0(SALU_CYCLE_1)
	s_or_b32 exec_lo, exec_lo, s41
	global_load_b32 v14, v[12:13], off offset:512
	v_dual_mov_b32 v41, 0 :: v_dual_mov_b32 v42, 0
	s_mov_b32 s41, exec_lo
	s_wait_loadcnt 0x0
	v_and_b32_e32 v4, 0xff, v14
	s_delay_alu instid0(VALU_DEP_1)
	v_cmpx_ne_u16_e32 0, v4
	s_cbranch_execz .LBB254_153
; %bb.146:                              ;   in Loop: Header=BB254_12 Depth=1
	v_mov_b32_e32 v42, 0x8000
	s_mov_b32 s42, exec_lo
	v_cmpx_ne_u16_e32 0x80, v4
	s_cbranch_execz .LBB254_152
; %bb.147:                              ;   in Loop: Header=BB254_12 Depth=1
	v_and_b32_e32 v43, 0x7f, v14
	v_mov_b32_e32 v42, 0x7c01
	s_mov_b32 s43, exec_lo
	s_delay_alu instid0(VALU_DEP_2)
	v_cmpx_ne_u32_e32 0x7f, v43
	s_cbranch_execz .LBB254_151
; %bb.148:                              ;   in Loop: Header=BB254_12 Depth=1
	v_dual_lshrrev_b32 v42, 3, v43 :: v_dual_bitop2_b32 v4, 7, v14 bitop3:0x40
	s_mov_b32 s44, exec_lo
	v_cmpx_gt_u32_e32 8, v43
; %bb.149:                              ;   in Loop: Header=BB254_12 Depth=1
	s_delay_alu instid0(VALU_DEP_2) | instskip(NEXT) | instid1(VALU_DEP_1)
	v_clz_i32_u32_e32 v4, v4
	v_min_u32_e32 v4, 32, v4
	s_delay_alu instid0(VALU_DEP_1) | instskip(NEXT) | instid1(VALU_DEP_1)
	v_subrev_nc_u32_e32 v42, 28, v4
	v_lshlrev_b64_e32 v[44:45], v42, v[14:15]
	v_sub_nc_u32_e32 v42, 29, v4
	s_delay_alu instid0(VALU_DEP_2)
	v_and_b32_e32 v4, 7, v44
; %bb.150:                              ;   in Loop: Header=BB254_12 Depth=1
	s_or_b32 exec_lo, exec_lo, s44
	s_delay_alu instid0(VALU_DEP_1) | instskip(NEXT) | instid1(VALU_DEP_3)
	v_dual_lshlrev_b32 v43, 8, v14 :: v_dual_lshlrev_b32 v4, 7, v4
	v_lshl_add_u32 v42, v42, 10, 0x2000
	s_delay_alu instid0(VALU_DEP_2) | instskip(NEXT) | instid1(VALU_DEP_2)
	v_and_b32_e32 v43, 0x8000, v43
	v_and_b32_e32 v42, 0xfc00, v42
	s_delay_alu instid0(VALU_DEP_1)
	v_or3_b32 v42, v43, v42, v4
.LBB254_151:                            ;   in Loop: Header=BB254_12 Depth=1
	s_or_b32 exec_lo, exec_lo, s43
.LBB254_152:                            ;   in Loop: Header=BB254_12 Depth=1
	s_delay_alu instid0(SALU_CYCLE_1)
	s_or_b32 exec_lo, exec_lo, s42
.LBB254_153:                            ;   in Loop: Header=BB254_12 Depth=1
	s_delay_alu instid0(SALU_CYCLE_1) | instskip(SKIP_2) | instid1(VALU_DEP_1)
	s_or_b32 exec_lo, exec_lo, s41
	v_lshrrev_b16 v4, 8, v14
	s_mov_b32 s41, exec_lo
	v_cmpx_ne_u16_e32 0, v4
	s_cbranch_execz .LBB254_161
; %bb.154:                              ;   in Loop: Header=BB254_12 Depth=1
	v_bfrev_b32_e32 v41, 1
	s_mov_b32 s42, exec_lo
	v_cmpx_ne_u16_e32 0x80, v4
	s_cbranch_execz .LBB254_160
; %bb.155:                              ;   in Loop: Header=BB254_12 Depth=1
	v_and_b32_e32 v43, 0xffff, v4
	v_mov_b32_e32 v41, 0x7c010000
	s_mov_b32 s43, exec_lo
	s_delay_alu instid0(VALU_DEP_2) | instskip(NEXT) | instid1(VALU_DEP_1)
	v_and_b32_e32 v45, 0x7f, v43
	v_cmpx_ne_u32_e32 0x7f, v45
	s_cbranch_execz .LBB254_159
; %bb.156:                              ;   in Loop: Header=BB254_12 Depth=1
	v_dual_lshrrev_b32 v44, 3, v45 :: v_dual_bitop2_b32 v41, 7, v43 bitop3:0x40
	s_mov_b32 s44, exec_lo
	v_cmpx_gt_u32_e32 8, v45
; %bb.157:                              ;   in Loop: Header=BB254_12 Depth=1
	s_delay_alu instid0(VALU_DEP_2) | instskip(NEXT) | instid1(VALU_DEP_1)
	v_clz_i32_u32_e32 v41, v41
	v_min_u32_e32 v41, 32, v41
	s_delay_alu instid0(VALU_DEP_1) | instskip(NEXT) | instid1(VALU_DEP_1)
	v_subrev_nc_u32_e32 v44, 28, v41
	v_lshlrev_b64_e32 v[46:47], v44, v[4:5]
	s_delay_alu instid0(VALU_DEP_1)
	v_dual_sub_nc_u32 v44, 29, v41 :: v_dual_bitop2_b32 v41, 7, v46 bitop3:0x40
; %bb.158:                              ;   in Loop: Header=BB254_12 Depth=1
	s_or_b32 exec_lo, exec_lo, s44
	s_delay_alu instid0(VALU_DEP_1) | instskip(NEXT) | instid1(VALU_DEP_2)
	v_dual_lshlrev_b32 v4, 8, v43 :: v_dual_lshlrev_b32 v41, 23, v41
	v_lshl_add_u32 v43, v44, 10, 0x2000
	s_delay_alu instid0(VALU_DEP_1) | instskip(NEXT) | instid1(VALU_DEP_1)
	v_and_or_b32 v4, 0x8000, v4, v43
	v_lshl_or_b32 v41, v4, 16, v41
.LBB254_159:                            ;   in Loop: Header=BB254_12 Depth=1
	s_or_b32 exec_lo, exec_lo, s43
.LBB254_160:                            ;   in Loop: Header=BB254_12 Depth=1
	s_delay_alu instid0(SALU_CYCLE_1)
	s_or_b32 exec_lo, exec_lo, s42
.LBB254_161:                            ;   in Loop: Header=BB254_12 Depth=1
	s_delay_alu instid0(SALU_CYCLE_1) | instskip(SKIP_3) | instid1(VALU_DEP_2)
	s_or_b32 exec_lo, exec_lo, s41
	v_dual_mov_b32 v43, 0 :: v_dual_lshrrev_b32 v4, 16, v14
	v_mov_b32_e32 v44, 0
	s_mov_b32 s41, exec_lo
	v_and_b32_e32 v45, 0xff, v4
	s_delay_alu instid0(VALU_DEP_1)
	v_cmpx_ne_u16_e32 0, v45
	s_cbranch_execz .LBB254_169
; %bb.162:                              ;   in Loop: Header=BB254_12 Depth=1
	v_mov_b32_e32 v44, 0x8000
	s_mov_b32 s42, exec_lo
	v_cmpx_ne_u16_e32 0x80, v45
	s_cbranch_execz .LBB254_168
; %bb.163:                              ;   in Loop: Header=BB254_12 Depth=1
	v_bfe_u32 v46, v14, 16, 7
	v_mov_b32_e32 v44, 0x7c01
	s_mov_b32 s43, exec_lo
	s_delay_alu instid0(VALU_DEP_2)
	v_cmpx_ne_u32_e32 0x7f, v46
	s_cbranch_execz .LBB254_167
; %bb.164:                              ;   in Loop: Header=BB254_12 Depth=1
	v_dual_lshrrev_b32 v45, 3, v46 :: v_dual_bitop2_b32 v44, 7, v4 bitop3:0x40
	s_mov_b32 s44, exec_lo
	v_cmpx_gt_u32_e32 8, v46
; %bb.165:                              ;   in Loop: Header=BB254_12 Depth=1
	s_delay_alu instid0(VALU_DEP_2) | instskip(NEXT) | instid1(VALU_DEP_1)
	v_clz_i32_u32_e32 v44, v44
	v_min_u32_e32 v46, 32, v44
	s_delay_alu instid0(VALU_DEP_1) | instskip(NEXT) | instid1(VALU_DEP_1)
	v_subrev_nc_u32_e32 v44, 28, v46
	v_lshlrev_b64_e32 v[44:45], v44, v[4:5]
	s_delay_alu instid0(VALU_DEP_1)
	v_dual_sub_nc_u32 v45, 29, v46 :: v_dual_bitop2_b32 v44, 7, v44 bitop3:0x40
; %bb.166:                              ;   in Loop: Header=BB254_12 Depth=1
	s_or_b32 exec_lo, exec_lo, s44
	v_lshlrev_b32_e32 v4, 8, v4
	s_delay_alu instid0(VALU_DEP_2) | instskip(NEXT) | instid1(VALU_DEP_3)
	v_lshl_add_u32 v45, v45, 10, 0x2000
	v_lshlrev_b32_e32 v44, 7, v44
	s_delay_alu instid0(VALU_DEP_3) | instskip(NEXT) | instid1(VALU_DEP_3)
	v_and_b32_e32 v4, 0x8000, v4
	v_and_b32_e32 v45, 0xfc00, v45
	s_delay_alu instid0(VALU_DEP_1)
	v_or3_b32 v44, v4, v45, v44
.LBB254_167:                            ;   in Loop: Header=BB254_12 Depth=1
	s_or_b32 exec_lo, exec_lo, s43
.LBB254_168:                            ;   in Loop: Header=BB254_12 Depth=1
	s_delay_alu instid0(SALU_CYCLE_1)
	s_or_b32 exec_lo, exec_lo, s42
.LBB254_169:                            ;   in Loop: Header=BB254_12 Depth=1
	s_delay_alu instid0(SALU_CYCLE_1) | instskip(NEXT) | instid1(SALU_CYCLE_1)
	s_or_b32 exec_lo, exec_lo, s41
	s_mov_b32 s41, exec_lo
	v_cmpx_lt_u32_e32 0xffffff, v14
	s_cbranch_execz .LBB254_177
; %bb.170:                              ;   in Loop: Header=BB254_12 Depth=1
	v_lshrrev_b32_e32 v4, 24, v14
	v_bfrev_b32_e32 v43, 1
	s_mov_b32 s42, exec_lo
	s_delay_alu instid0(VALU_DEP_2)
	v_cmpx_ne_u32_e32 0x80, v4
	s_cbranch_execz .LBB254_176
; %bb.171:                              ;   in Loop: Header=BB254_12 Depth=1
	v_and_b32_e32 v45, 0x7f, v4
	v_mov_b32_e32 v43, 0x7c010000
	s_mov_b32 s43, exec_lo
	s_delay_alu instid0(VALU_DEP_2)
	v_cmpx_ne_u32_e32 0x7f, v45
	s_cbranch_execz .LBB254_175
; %bb.172:                              ;   in Loop: Header=BB254_12 Depth=1
	v_dual_lshrrev_b32 v43, 3, v45 :: v_dual_bitop2_b32 v14, 7, v4 bitop3:0x40
	s_mov_b32 s44, exec_lo
	v_cmpx_gt_u32_e32 8, v45
; %bb.173:                              ;   in Loop: Header=BB254_12 Depth=1
	s_delay_alu instid0(VALU_DEP_2) | instskip(NEXT) | instid1(VALU_DEP_1)
	v_clz_i32_u32_e32 v14, v14
	v_min_u32_e32 v14, 32, v14
	s_delay_alu instid0(VALU_DEP_1) | instskip(NEXT) | instid1(VALU_DEP_1)
	v_subrev_nc_u32_e32 v43, 28, v14
	v_lshlrev_b64_e32 v[46:47], v43, v[4:5]
	v_sub_nc_u32_e32 v43, 29, v14
	s_delay_alu instid0(VALU_DEP_2)
	v_and_b32_e32 v14, 7, v46
; %bb.174:                              ;   in Loop: Header=BB254_12 Depth=1
	s_or_b32 exec_lo, exec_lo, s44
	s_delay_alu instid0(VALU_DEP_1) | instskip(NEXT) | instid1(VALU_DEP_3)
	v_dual_lshlrev_b32 v4, 8, v4 :: v_dual_lshlrev_b32 v14, 23, v14
	v_lshl_add_u32 v43, v43, 10, 0x2000
	s_delay_alu instid0(VALU_DEP_1) | instskip(NEXT) | instid1(VALU_DEP_1)
	v_and_or_b32 v4, 0x8000, v4, v43
	v_lshl_or_b32 v43, v4, 16, v14
.LBB254_175:                            ;   in Loop: Header=BB254_12 Depth=1
	s_or_b32 exec_lo, exec_lo, s43
.LBB254_176:                            ;   in Loop: Header=BB254_12 Depth=1
	s_delay_alu instid0(SALU_CYCLE_1)
	s_or_b32 exec_lo, exec_lo, s42
.LBB254_177:                            ;   in Loop: Header=BB254_12 Depth=1
	s_delay_alu instid0(SALU_CYCLE_1)
	s_or_b32 exec_lo, exec_lo, s41
	global_load_b32 v14, v[12:13], off offset:520
	v_dual_mov_b32 v45, 0 :: v_dual_mov_b32 v46, 0
	s_mov_b32 s41, exec_lo
	s_wait_loadcnt 0x0
	v_and_b32_e32 v4, 0xff, v14
	s_delay_alu instid0(VALU_DEP_1)
	v_cmpx_ne_u16_e32 0, v4
	s_cbranch_execz .LBB254_185
; %bb.178:                              ;   in Loop: Header=BB254_12 Depth=1
	v_mov_b32_e32 v46, 0x8000
	s_mov_b32 s42, exec_lo
	v_cmpx_ne_u16_e32 0x80, v4
	s_cbranch_execz .LBB254_184
; %bb.179:                              ;   in Loop: Header=BB254_12 Depth=1
	v_and_b32_e32 v47, 0x7f, v14
	v_mov_b32_e32 v46, 0x7c01
	s_mov_b32 s43, exec_lo
	s_delay_alu instid0(VALU_DEP_2)
	v_cmpx_ne_u32_e32 0x7f, v47
	s_cbranch_execz .LBB254_183
; %bb.180:                              ;   in Loop: Header=BB254_12 Depth=1
	v_dual_lshrrev_b32 v46, 3, v47 :: v_dual_bitop2_b32 v4, 7, v14 bitop3:0x40
	s_mov_b32 s44, exec_lo
	v_cmpx_gt_u32_e32 8, v47
; %bb.181:                              ;   in Loop: Header=BB254_12 Depth=1
	s_delay_alu instid0(VALU_DEP_2) | instskip(NEXT) | instid1(VALU_DEP_1)
	v_clz_i32_u32_e32 v4, v4
	v_min_u32_e32 v4, 32, v4
	s_delay_alu instid0(VALU_DEP_1) | instskip(NEXT) | instid1(VALU_DEP_1)
	v_subrev_nc_u32_e32 v46, 28, v4
	v_lshlrev_b64_e32 v[48:49], v46, v[14:15]
	v_sub_nc_u32_e32 v46, 29, v4
	s_delay_alu instid0(VALU_DEP_2)
	v_and_b32_e32 v4, 7, v48
; %bb.182:                              ;   in Loop: Header=BB254_12 Depth=1
	s_or_b32 exec_lo, exec_lo, s44
	s_delay_alu instid0(VALU_DEP_1) | instskip(NEXT) | instid1(VALU_DEP_3)
	v_dual_lshlrev_b32 v47, 8, v14 :: v_dual_lshlrev_b32 v4, 7, v4
	v_lshl_add_u32 v46, v46, 10, 0x2000
	s_delay_alu instid0(VALU_DEP_2) | instskip(NEXT) | instid1(VALU_DEP_2)
	v_and_b32_e32 v47, 0x8000, v47
	v_and_b32_e32 v46, 0xfc00, v46
	s_delay_alu instid0(VALU_DEP_1)
	v_or3_b32 v46, v47, v46, v4
.LBB254_183:                            ;   in Loop: Header=BB254_12 Depth=1
	s_or_b32 exec_lo, exec_lo, s43
.LBB254_184:                            ;   in Loop: Header=BB254_12 Depth=1
	s_delay_alu instid0(SALU_CYCLE_1)
	s_or_b32 exec_lo, exec_lo, s42
.LBB254_185:                            ;   in Loop: Header=BB254_12 Depth=1
	s_delay_alu instid0(SALU_CYCLE_1) | instskip(SKIP_2) | instid1(VALU_DEP_1)
	s_or_b32 exec_lo, exec_lo, s41
	v_lshrrev_b16 v4, 8, v14
	s_mov_b32 s41, exec_lo
	v_cmpx_ne_u16_e32 0, v4
	s_cbranch_execz .LBB254_193
; %bb.186:                              ;   in Loop: Header=BB254_12 Depth=1
	v_bfrev_b32_e32 v45, 1
	s_mov_b32 s42, exec_lo
	v_cmpx_ne_u16_e32 0x80, v4
	s_cbranch_execz .LBB254_192
; %bb.187:                              ;   in Loop: Header=BB254_12 Depth=1
	v_and_b32_e32 v47, 0xffff, v4
	v_mov_b32_e32 v45, 0x7c010000
	s_mov_b32 s43, exec_lo
	s_delay_alu instid0(VALU_DEP_2) | instskip(NEXT) | instid1(VALU_DEP_1)
	v_and_b32_e32 v49, 0x7f, v47
	v_cmpx_ne_u32_e32 0x7f, v49
	s_cbranch_execz .LBB254_191
; %bb.188:                              ;   in Loop: Header=BB254_12 Depth=1
	v_dual_lshrrev_b32 v48, 3, v49 :: v_dual_bitop2_b32 v45, 7, v47 bitop3:0x40
	s_mov_b32 s44, exec_lo
	v_cmpx_gt_u32_e32 8, v49
; %bb.189:                              ;   in Loop: Header=BB254_12 Depth=1
	s_delay_alu instid0(VALU_DEP_2) | instskip(NEXT) | instid1(VALU_DEP_1)
	v_clz_i32_u32_e32 v45, v45
	v_min_u32_e32 v45, 32, v45
	s_delay_alu instid0(VALU_DEP_1) | instskip(NEXT) | instid1(VALU_DEP_1)
	v_subrev_nc_u32_e32 v48, 28, v45
	v_lshlrev_b64_e32 v[50:51], v48, v[4:5]
	s_delay_alu instid0(VALU_DEP_1)
	v_dual_sub_nc_u32 v48, 29, v45 :: v_dual_bitop2_b32 v45, 7, v50 bitop3:0x40
; %bb.190:                              ;   in Loop: Header=BB254_12 Depth=1
	s_or_b32 exec_lo, exec_lo, s44
	s_delay_alu instid0(VALU_DEP_1) | instskip(NEXT) | instid1(VALU_DEP_2)
	v_dual_lshlrev_b32 v4, 8, v47 :: v_dual_lshlrev_b32 v45, 23, v45
	v_lshl_add_u32 v47, v48, 10, 0x2000
	s_delay_alu instid0(VALU_DEP_1) | instskip(NEXT) | instid1(VALU_DEP_1)
	v_and_or_b32 v4, 0x8000, v4, v47
	v_lshl_or_b32 v45, v4, 16, v45
.LBB254_191:                            ;   in Loop: Header=BB254_12 Depth=1
	s_or_b32 exec_lo, exec_lo, s43
.LBB254_192:                            ;   in Loop: Header=BB254_12 Depth=1
	s_delay_alu instid0(SALU_CYCLE_1)
	s_or_b32 exec_lo, exec_lo, s42
.LBB254_193:                            ;   in Loop: Header=BB254_12 Depth=1
	s_delay_alu instid0(SALU_CYCLE_1) | instskip(SKIP_3) | instid1(VALU_DEP_2)
	s_or_b32 exec_lo, exec_lo, s41
	v_dual_mov_b32 v47, 0 :: v_dual_lshrrev_b32 v4, 16, v14
	v_mov_b32_e32 v48, 0
	s_mov_b32 s41, exec_lo
	v_and_b32_e32 v49, 0xff, v4
	s_delay_alu instid0(VALU_DEP_1)
	v_cmpx_ne_u16_e32 0, v49
	s_cbranch_execz .LBB254_201
; %bb.194:                              ;   in Loop: Header=BB254_12 Depth=1
	v_mov_b32_e32 v48, 0x8000
	s_mov_b32 s42, exec_lo
	v_cmpx_ne_u16_e32 0x80, v49
	s_cbranch_execz .LBB254_200
; %bb.195:                              ;   in Loop: Header=BB254_12 Depth=1
	v_bfe_u32 v50, v14, 16, 7
	v_mov_b32_e32 v48, 0x7c01
	s_mov_b32 s43, exec_lo
	s_delay_alu instid0(VALU_DEP_2)
	v_cmpx_ne_u32_e32 0x7f, v50
	s_cbranch_execz .LBB254_199
; %bb.196:                              ;   in Loop: Header=BB254_12 Depth=1
	v_dual_lshrrev_b32 v49, 3, v50 :: v_dual_bitop2_b32 v48, 7, v4 bitop3:0x40
	s_mov_b32 s44, exec_lo
	v_cmpx_gt_u32_e32 8, v50
; %bb.197:                              ;   in Loop: Header=BB254_12 Depth=1
	s_delay_alu instid0(VALU_DEP_2) | instskip(NEXT) | instid1(VALU_DEP_1)
	v_clz_i32_u32_e32 v48, v48
	v_min_u32_e32 v50, 32, v48
	s_delay_alu instid0(VALU_DEP_1) | instskip(NEXT) | instid1(VALU_DEP_1)
	v_subrev_nc_u32_e32 v48, 28, v50
	v_lshlrev_b64_e32 v[48:49], v48, v[4:5]
	s_delay_alu instid0(VALU_DEP_1)
	v_dual_sub_nc_u32 v49, 29, v50 :: v_dual_bitop2_b32 v48, 7, v48 bitop3:0x40
; %bb.198:                              ;   in Loop: Header=BB254_12 Depth=1
	s_or_b32 exec_lo, exec_lo, s44
	v_lshlrev_b32_e32 v4, 8, v4
	s_delay_alu instid0(VALU_DEP_2) | instskip(NEXT) | instid1(VALU_DEP_3)
	v_lshl_add_u32 v49, v49, 10, 0x2000
	v_lshlrev_b32_e32 v48, 7, v48
	s_delay_alu instid0(VALU_DEP_3) | instskip(NEXT) | instid1(VALU_DEP_3)
	v_and_b32_e32 v4, 0x8000, v4
	v_and_b32_e32 v49, 0xfc00, v49
	s_delay_alu instid0(VALU_DEP_1)
	v_or3_b32 v48, v4, v49, v48
.LBB254_199:                            ;   in Loop: Header=BB254_12 Depth=1
	s_or_b32 exec_lo, exec_lo, s43
.LBB254_200:                            ;   in Loop: Header=BB254_12 Depth=1
	s_delay_alu instid0(SALU_CYCLE_1)
	s_or_b32 exec_lo, exec_lo, s42
.LBB254_201:                            ;   in Loop: Header=BB254_12 Depth=1
	s_delay_alu instid0(SALU_CYCLE_1) | instskip(NEXT) | instid1(SALU_CYCLE_1)
	s_or_b32 exec_lo, exec_lo, s41
	s_mov_b32 s41, exec_lo
	v_cmpx_lt_u32_e32 0xffffff, v14
	s_cbranch_execz .LBB254_209
; %bb.202:                              ;   in Loop: Header=BB254_12 Depth=1
	v_lshrrev_b32_e32 v4, 24, v14
	v_bfrev_b32_e32 v47, 1
	s_mov_b32 s42, exec_lo
	s_delay_alu instid0(VALU_DEP_2)
	v_cmpx_ne_u32_e32 0x80, v4
	s_cbranch_execz .LBB254_208
; %bb.203:                              ;   in Loop: Header=BB254_12 Depth=1
	v_and_b32_e32 v49, 0x7f, v4
	v_mov_b32_e32 v47, 0x7c010000
	s_mov_b32 s43, exec_lo
	s_delay_alu instid0(VALU_DEP_2)
	v_cmpx_ne_u32_e32 0x7f, v49
	s_cbranch_execz .LBB254_207
; %bb.204:                              ;   in Loop: Header=BB254_12 Depth=1
	v_dual_lshrrev_b32 v47, 3, v49 :: v_dual_bitop2_b32 v14, 7, v4 bitop3:0x40
	s_mov_b32 s44, exec_lo
	v_cmpx_gt_u32_e32 8, v49
; %bb.205:                              ;   in Loop: Header=BB254_12 Depth=1
	s_delay_alu instid0(VALU_DEP_2) | instskip(NEXT) | instid1(VALU_DEP_1)
	v_clz_i32_u32_e32 v14, v14
	v_min_u32_e32 v14, 32, v14
	s_delay_alu instid0(VALU_DEP_1) | instskip(NEXT) | instid1(VALU_DEP_1)
	v_subrev_nc_u32_e32 v47, 28, v14
	v_lshlrev_b64_e32 v[50:51], v47, v[4:5]
	v_sub_nc_u32_e32 v47, 29, v14
	s_delay_alu instid0(VALU_DEP_2)
	v_and_b32_e32 v14, 7, v50
; %bb.206:                              ;   in Loop: Header=BB254_12 Depth=1
	s_or_b32 exec_lo, exec_lo, s44
	s_delay_alu instid0(VALU_DEP_1) | instskip(NEXT) | instid1(VALU_DEP_3)
	v_dual_lshlrev_b32 v4, 8, v4 :: v_dual_lshlrev_b32 v14, 23, v14
	v_lshl_add_u32 v47, v47, 10, 0x2000
	s_delay_alu instid0(VALU_DEP_1) | instskip(NEXT) | instid1(VALU_DEP_1)
	v_and_or_b32 v4, 0x8000, v4, v47
	v_lshl_or_b32 v47, v4, 16, v14
.LBB254_207:                            ;   in Loop: Header=BB254_12 Depth=1
	s_or_b32 exec_lo, exec_lo, s43
.LBB254_208:                            ;   in Loop: Header=BB254_12 Depth=1
	s_delay_alu instid0(SALU_CYCLE_1)
	s_or_b32 exec_lo, exec_lo, s42
.LBB254_209:                            ;   in Loop: Header=BB254_12 Depth=1
	s_delay_alu instid0(SALU_CYCLE_1)
	s_or_b32 exec_lo, exec_lo, s41
	global_load_b32 v14, v[12:13], off offset:768
	v_dual_mov_b32 v49, 0 :: v_dual_mov_b32 v50, 0
	s_mov_b32 s41, exec_lo
	s_wait_loadcnt 0x0
	v_and_b32_e32 v4, 0xff, v14
	s_delay_alu instid0(VALU_DEP_1)
	v_cmpx_ne_u16_e32 0, v4
	s_cbranch_execz .LBB254_217
; %bb.210:                              ;   in Loop: Header=BB254_12 Depth=1
	v_mov_b32_e32 v50, 0x8000
	s_mov_b32 s42, exec_lo
	v_cmpx_ne_u16_e32 0x80, v4
	s_cbranch_execz .LBB254_216
; %bb.211:                              ;   in Loop: Header=BB254_12 Depth=1
	v_and_b32_e32 v51, 0x7f, v14
	v_mov_b32_e32 v50, 0x7c01
	s_mov_b32 s43, exec_lo
	s_delay_alu instid0(VALU_DEP_2)
	v_cmpx_ne_u32_e32 0x7f, v51
	s_cbranch_execz .LBB254_215
; %bb.212:                              ;   in Loop: Header=BB254_12 Depth=1
	v_dual_lshrrev_b32 v50, 3, v51 :: v_dual_bitop2_b32 v4, 7, v14 bitop3:0x40
	s_mov_b32 s44, exec_lo
	v_cmpx_gt_u32_e32 8, v51
; %bb.213:                              ;   in Loop: Header=BB254_12 Depth=1
	s_delay_alu instid0(VALU_DEP_2) | instskip(NEXT) | instid1(VALU_DEP_1)
	v_clz_i32_u32_e32 v4, v4
	v_min_u32_e32 v4, 32, v4
	s_delay_alu instid0(VALU_DEP_1) | instskip(NEXT) | instid1(VALU_DEP_1)
	v_subrev_nc_u32_e32 v50, 28, v4
	v_lshlrev_b64_e32 v[52:53], v50, v[14:15]
	v_sub_nc_u32_e32 v50, 29, v4
	s_delay_alu instid0(VALU_DEP_2)
	v_and_b32_e32 v4, 7, v52
; %bb.214:                              ;   in Loop: Header=BB254_12 Depth=1
	s_or_b32 exec_lo, exec_lo, s44
	s_delay_alu instid0(VALU_DEP_1) | instskip(NEXT) | instid1(VALU_DEP_3)
	v_dual_lshlrev_b32 v51, 8, v14 :: v_dual_lshlrev_b32 v4, 7, v4
	v_lshl_add_u32 v50, v50, 10, 0x2000
	s_delay_alu instid0(VALU_DEP_2) | instskip(NEXT) | instid1(VALU_DEP_2)
	v_and_b32_e32 v51, 0x8000, v51
	v_and_b32_e32 v50, 0xfc00, v50
	s_delay_alu instid0(VALU_DEP_1)
	v_or3_b32 v50, v51, v50, v4
.LBB254_215:                            ;   in Loop: Header=BB254_12 Depth=1
	s_or_b32 exec_lo, exec_lo, s43
.LBB254_216:                            ;   in Loop: Header=BB254_12 Depth=1
	s_delay_alu instid0(SALU_CYCLE_1)
	s_or_b32 exec_lo, exec_lo, s42
.LBB254_217:                            ;   in Loop: Header=BB254_12 Depth=1
	s_delay_alu instid0(SALU_CYCLE_1) | instskip(SKIP_2) | instid1(VALU_DEP_1)
	s_or_b32 exec_lo, exec_lo, s41
	v_lshrrev_b16 v4, 8, v14
	s_mov_b32 s41, exec_lo
	v_cmpx_ne_u16_e32 0, v4
	s_cbranch_execz .LBB254_225
; %bb.218:                              ;   in Loop: Header=BB254_12 Depth=1
	v_bfrev_b32_e32 v49, 1
	s_mov_b32 s42, exec_lo
	v_cmpx_ne_u16_e32 0x80, v4
	s_cbranch_execz .LBB254_224
; %bb.219:                              ;   in Loop: Header=BB254_12 Depth=1
	v_and_b32_e32 v51, 0xffff, v4
	v_mov_b32_e32 v49, 0x7c010000
	s_mov_b32 s43, exec_lo
	s_delay_alu instid0(VALU_DEP_2) | instskip(NEXT) | instid1(VALU_DEP_1)
	v_and_b32_e32 v53, 0x7f, v51
	v_cmpx_ne_u32_e32 0x7f, v53
	s_cbranch_execz .LBB254_223
; %bb.220:                              ;   in Loop: Header=BB254_12 Depth=1
	v_dual_lshrrev_b32 v52, 3, v53 :: v_dual_bitop2_b32 v49, 7, v51 bitop3:0x40
	s_mov_b32 s44, exec_lo
	v_cmpx_gt_u32_e32 8, v53
; %bb.221:                              ;   in Loop: Header=BB254_12 Depth=1
	s_delay_alu instid0(VALU_DEP_2) | instskip(NEXT) | instid1(VALU_DEP_1)
	v_clz_i32_u32_e32 v49, v49
	v_min_u32_e32 v49, 32, v49
	s_delay_alu instid0(VALU_DEP_1) | instskip(NEXT) | instid1(VALU_DEP_1)
	v_subrev_nc_u32_e32 v52, 28, v49
	v_lshlrev_b64_e32 v[54:55], v52, v[4:5]
	s_delay_alu instid0(VALU_DEP_1)
	v_dual_sub_nc_u32 v52, 29, v49 :: v_dual_bitop2_b32 v49, 7, v54 bitop3:0x40
; %bb.222:                              ;   in Loop: Header=BB254_12 Depth=1
	s_or_b32 exec_lo, exec_lo, s44
	s_delay_alu instid0(VALU_DEP_1) | instskip(NEXT) | instid1(VALU_DEP_2)
	v_dual_lshlrev_b32 v4, 8, v51 :: v_dual_lshlrev_b32 v49, 23, v49
	v_lshl_add_u32 v51, v52, 10, 0x2000
	s_delay_alu instid0(VALU_DEP_1) | instskip(NEXT) | instid1(VALU_DEP_1)
	v_and_or_b32 v4, 0x8000, v4, v51
	v_lshl_or_b32 v49, v4, 16, v49
.LBB254_223:                            ;   in Loop: Header=BB254_12 Depth=1
	s_or_b32 exec_lo, exec_lo, s43
.LBB254_224:                            ;   in Loop: Header=BB254_12 Depth=1
	s_delay_alu instid0(SALU_CYCLE_1)
	s_or_b32 exec_lo, exec_lo, s42
.LBB254_225:                            ;   in Loop: Header=BB254_12 Depth=1
	s_delay_alu instid0(SALU_CYCLE_1) | instskip(SKIP_3) | instid1(VALU_DEP_2)
	s_or_b32 exec_lo, exec_lo, s41
	v_dual_mov_b32 v51, 0 :: v_dual_lshrrev_b32 v4, 16, v14
	v_mov_b32_e32 v52, 0
	s_mov_b32 s41, exec_lo
	v_and_b32_e32 v53, 0xff, v4
	s_delay_alu instid0(VALU_DEP_1)
	v_cmpx_ne_u16_e32 0, v53
	s_cbranch_execz .LBB254_233
; %bb.226:                              ;   in Loop: Header=BB254_12 Depth=1
	v_mov_b32_e32 v52, 0x8000
	s_mov_b32 s42, exec_lo
	v_cmpx_ne_u16_e32 0x80, v53
	s_cbranch_execz .LBB254_232
; %bb.227:                              ;   in Loop: Header=BB254_12 Depth=1
	v_bfe_u32 v54, v14, 16, 7
	v_mov_b32_e32 v52, 0x7c01
	s_mov_b32 s43, exec_lo
	s_delay_alu instid0(VALU_DEP_2)
	v_cmpx_ne_u32_e32 0x7f, v54
	s_cbranch_execz .LBB254_231
; %bb.228:                              ;   in Loop: Header=BB254_12 Depth=1
	v_dual_lshrrev_b32 v53, 3, v54 :: v_dual_bitop2_b32 v52, 7, v4 bitop3:0x40
	s_mov_b32 s44, exec_lo
	v_cmpx_gt_u32_e32 8, v54
; %bb.229:                              ;   in Loop: Header=BB254_12 Depth=1
	s_delay_alu instid0(VALU_DEP_2) | instskip(NEXT) | instid1(VALU_DEP_1)
	v_clz_i32_u32_e32 v52, v52
	v_min_u32_e32 v54, 32, v52
	s_delay_alu instid0(VALU_DEP_1) | instskip(NEXT) | instid1(VALU_DEP_1)
	v_subrev_nc_u32_e32 v52, 28, v54
	v_lshlrev_b64_e32 v[52:53], v52, v[4:5]
	s_delay_alu instid0(VALU_DEP_1)
	v_dual_sub_nc_u32 v53, 29, v54 :: v_dual_bitop2_b32 v52, 7, v52 bitop3:0x40
; %bb.230:                              ;   in Loop: Header=BB254_12 Depth=1
	s_or_b32 exec_lo, exec_lo, s44
	v_lshlrev_b32_e32 v4, 8, v4
	s_delay_alu instid0(VALU_DEP_2) | instskip(NEXT) | instid1(VALU_DEP_3)
	v_lshl_add_u32 v53, v53, 10, 0x2000
	v_lshlrev_b32_e32 v52, 7, v52
	s_delay_alu instid0(VALU_DEP_3) | instskip(NEXT) | instid1(VALU_DEP_3)
	v_and_b32_e32 v4, 0x8000, v4
	v_and_b32_e32 v53, 0xfc00, v53
	s_delay_alu instid0(VALU_DEP_1)
	v_or3_b32 v52, v4, v53, v52
.LBB254_231:                            ;   in Loop: Header=BB254_12 Depth=1
	s_or_b32 exec_lo, exec_lo, s43
.LBB254_232:                            ;   in Loop: Header=BB254_12 Depth=1
	s_delay_alu instid0(SALU_CYCLE_1)
	s_or_b32 exec_lo, exec_lo, s42
.LBB254_233:                            ;   in Loop: Header=BB254_12 Depth=1
	s_delay_alu instid0(SALU_CYCLE_1) | instskip(NEXT) | instid1(SALU_CYCLE_1)
	s_or_b32 exec_lo, exec_lo, s41
	s_mov_b32 s41, exec_lo
	v_cmpx_lt_u32_e32 0xffffff, v14
	s_cbranch_execz .LBB254_241
; %bb.234:                              ;   in Loop: Header=BB254_12 Depth=1
	v_lshrrev_b32_e32 v4, 24, v14
	v_bfrev_b32_e32 v51, 1
	s_mov_b32 s42, exec_lo
	s_delay_alu instid0(VALU_DEP_2)
	v_cmpx_ne_u32_e32 0x80, v4
	s_cbranch_execz .LBB254_240
; %bb.235:                              ;   in Loop: Header=BB254_12 Depth=1
	v_and_b32_e32 v53, 0x7f, v4
	v_mov_b32_e32 v51, 0x7c010000
	s_mov_b32 s43, exec_lo
	s_delay_alu instid0(VALU_DEP_2)
	v_cmpx_ne_u32_e32 0x7f, v53
	s_cbranch_execz .LBB254_239
; %bb.236:                              ;   in Loop: Header=BB254_12 Depth=1
	v_dual_lshrrev_b32 v51, 3, v53 :: v_dual_bitop2_b32 v14, 7, v4 bitop3:0x40
	s_mov_b32 s44, exec_lo
	v_cmpx_gt_u32_e32 8, v53
; %bb.237:                              ;   in Loop: Header=BB254_12 Depth=1
	s_delay_alu instid0(VALU_DEP_2) | instskip(NEXT) | instid1(VALU_DEP_1)
	v_clz_i32_u32_e32 v14, v14
	v_min_u32_e32 v14, 32, v14
	s_delay_alu instid0(VALU_DEP_1) | instskip(NEXT) | instid1(VALU_DEP_1)
	v_subrev_nc_u32_e32 v51, 28, v14
	v_lshlrev_b64_e32 v[54:55], v51, v[4:5]
	v_sub_nc_u32_e32 v51, 29, v14
	s_delay_alu instid0(VALU_DEP_2)
	v_and_b32_e32 v14, 7, v54
; %bb.238:                              ;   in Loop: Header=BB254_12 Depth=1
	s_or_b32 exec_lo, exec_lo, s44
	s_delay_alu instid0(VALU_DEP_1) | instskip(NEXT) | instid1(VALU_DEP_3)
	v_dual_lshlrev_b32 v4, 8, v4 :: v_dual_lshlrev_b32 v14, 23, v14
	v_lshl_add_u32 v51, v51, 10, 0x2000
	s_delay_alu instid0(VALU_DEP_1) | instskip(NEXT) | instid1(VALU_DEP_1)
	v_and_or_b32 v4, 0x8000, v4, v51
	v_lshl_or_b32 v51, v4, 16, v14
.LBB254_239:                            ;   in Loop: Header=BB254_12 Depth=1
	s_or_b32 exec_lo, exec_lo, s43
.LBB254_240:                            ;   in Loop: Header=BB254_12 Depth=1
	s_delay_alu instid0(SALU_CYCLE_1)
	s_or_b32 exec_lo, exec_lo, s42
.LBB254_241:                            ;   in Loop: Header=BB254_12 Depth=1
	s_delay_alu instid0(SALU_CYCLE_1)
	s_or_b32 exec_lo, exec_lo, s41
	global_load_b32 v14, v[12:13], off offset:776
	v_dual_mov_b32 v53, 0 :: v_dual_mov_b32 v54, 0
	s_mov_b32 s41, exec_lo
	s_wait_loadcnt 0x0
	v_and_b32_e32 v4, 0xff, v14
	s_delay_alu instid0(VALU_DEP_1)
	v_cmpx_ne_u16_e32 0, v4
	s_cbranch_execz .LBB254_249
; %bb.242:                              ;   in Loop: Header=BB254_12 Depth=1
	v_mov_b32_e32 v54, 0x8000
	s_mov_b32 s42, exec_lo
	v_cmpx_ne_u16_e32 0x80, v4
	s_cbranch_execz .LBB254_248
; %bb.243:                              ;   in Loop: Header=BB254_12 Depth=1
	v_and_b32_e32 v55, 0x7f, v14
	v_mov_b32_e32 v54, 0x7c01
	s_mov_b32 s43, exec_lo
	s_delay_alu instid0(VALU_DEP_2)
	v_cmpx_ne_u32_e32 0x7f, v55
	s_cbranch_execz .LBB254_247
; %bb.244:                              ;   in Loop: Header=BB254_12 Depth=1
	v_dual_lshrrev_b32 v54, 3, v55 :: v_dual_bitop2_b32 v4, 7, v14 bitop3:0x40
	s_mov_b32 s44, exec_lo
	v_cmpx_gt_u32_e32 8, v55
; %bb.245:                              ;   in Loop: Header=BB254_12 Depth=1
	s_delay_alu instid0(VALU_DEP_2) | instskip(NEXT) | instid1(VALU_DEP_1)
	v_clz_i32_u32_e32 v4, v4
	v_min_u32_e32 v4, 32, v4
	s_delay_alu instid0(VALU_DEP_1) | instskip(NEXT) | instid1(VALU_DEP_1)
	v_subrev_nc_u32_e32 v54, 28, v4
	v_lshlrev_b64_e32 v[56:57], v54, v[14:15]
	v_sub_nc_u32_e32 v54, 29, v4
	s_delay_alu instid0(VALU_DEP_2)
	v_and_b32_e32 v4, 7, v56
; %bb.246:                              ;   in Loop: Header=BB254_12 Depth=1
	s_or_b32 exec_lo, exec_lo, s44
	s_delay_alu instid0(VALU_DEP_1) | instskip(NEXT) | instid1(VALU_DEP_3)
	v_dual_lshlrev_b32 v55, 8, v14 :: v_dual_lshlrev_b32 v4, 7, v4
	v_lshl_add_u32 v54, v54, 10, 0x2000
	s_delay_alu instid0(VALU_DEP_2) | instskip(NEXT) | instid1(VALU_DEP_2)
	v_and_b32_e32 v55, 0x8000, v55
	v_and_b32_e32 v54, 0xfc00, v54
	s_delay_alu instid0(VALU_DEP_1)
	v_or3_b32 v54, v55, v54, v4
.LBB254_247:                            ;   in Loop: Header=BB254_12 Depth=1
	s_or_b32 exec_lo, exec_lo, s43
.LBB254_248:                            ;   in Loop: Header=BB254_12 Depth=1
	s_delay_alu instid0(SALU_CYCLE_1)
	s_or_b32 exec_lo, exec_lo, s42
.LBB254_249:                            ;   in Loop: Header=BB254_12 Depth=1
	s_delay_alu instid0(SALU_CYCLE_1) | instskip(SKIP_2) | instid1(VALU_DEP_1)
	s_or_b32 exec_lo, exec_lo, s41
	v_lshrrev_b16 v4, 8, v14
	s_mov_b32 s41, exec_lo
	v_cmpx_ne_u16_e32 0, v4
	s_cbranch_execz .LBB254_257
; %bb.250:                              ;   in Loop: Header=BB254_12 Depth=1
	v_bfrev_b32_e32 v53, 1
	s_mov_b32 s42, exec_lo
	v_cmpx_ne_u16_e32 0x80, v4
	s_cbranch_execz .LBB254_256
; %bb.251:                              ;   in Loop: Header=BB254_12 Depth=1
	v_and_b32_e32 v55, 0xffff, v4
	v_mov_b32_e32 v53, 0x7c010000
	s_mov_b32 s43, exec_lo
	s_delay_alu instid0(VALU_DEP_2) | instskip(NEXT) | instid1(VALU_DEP_1)
	v_and_b32_e32 v57, 0x7f, v55
	v_cmpx_ne_u32_e32 0x7f, v57
	s_cbranch_execz .LBB254_255
; %bb.252:                              ;   in Loop: Header=BB254_12 Depth=1
	v_dual_lshrrev_b32 v56, 3, v57 :: v_dual_bitop2_b32 v53, 7, v55 bitop3:0x40
	s_mov_b32 s44, exec_lo
	v_cmpx_gt_u32_e32 8, v57
; %bb.253:                              ;   in Loop: Header=BB254_12 Depth=1
	s_delay_alu instid0(VALU_DEP_2) | instskip(NEXT) | instid1(VALU_DEP_1)
	v_clz_i32_u32_e32 v53, v53
	v_min_u32_e32 v53, 32, v53
	s_delay_alu instid0(VALU_DEP_1) | instskip(NEXT) | instid1(VALU_DEP_1)
	v_subrev_nc_u32_e32 v56, 28, v53
	v_lshlrev_b64_e32 v[58:59], v56, v[4:5]
	s_delay_alu instid0(VALU_DEP_1)
	v_dual_sub_nc_u32 v56, 29, v53 :: v_dual_bitop2_b32 v53, 7, v58 bitop3:0x40
; %bb.254:                              ;   in Loop: Header=BB254_12 Depth=1
	s_or_b32 exec_lo, exec_lo, s44
	s_delay_alu instid0(VALU_DEP_1) | instskip(NEXT) | instid1(VALU_DEP_2)
	v_dual_lshlrev_b32 v4, 8, v55 :: v_dual_lshlrev_b32 v53, 23, v53
	v_lshl_add_u32 v55, v56, 10, 0x2000
	s_delay_alu instid0(VALU_DEP_1) | instskip(NEXT) | instid1(VALU_DEP_1)
	v_and_or_b32 v4, 0x8000, v4, v55
	v_lshl_or_b32 v53, v4, 16, v53
.LBB254_255:                            ;   in Loop: Header=BB254_12 Depth=1
	s_or_b32 exec_lo, exec_lo, s43
.LBB254_256:                            ;   in Loop: Header=BB254_12 Depth=1
	s_delay_alu instid0(SALU_CYCLE_1)
	s_or_b32 exec_lo, exec_lo, s42
.LBB254_257:                            ;   in Loop: Header=BB254_12 Depth=1
	s_delay_alu instid0(SALU_CYCLE_1) | instskip(SKIP_3) | instid1(VALU_DEP_2)
	s_or_b32 exec_lo, exec_lo, s41
	v_dual_mov_b32 v55, 0 :: v_dual_lshrrev_b32 v4, 16, v14
	v_mov_b32_e32 v56, 0
	s_mov_b32 s41, exec_lo
	v_and_b32_e32 v57, 0xff, v4
	s_delay_alu instid0(VALU_DEP_1)
	v_cmpx_ne_u16_e32 0, v57
	s_cbranch_execz .LBB254_265
; %bb.258:                              ;   in Loop: Header=BB254_12 Depth=1
	v_mov_b32_e32 v56, 0x8000
	s_mov_b32 s42, exec_lo
	v_cmpx_ne_u16_e32 0x80, v57
	s_cbranch_execz .LBB254_264
; %bb.259:                              ;   in Loop: Header=BB254_12 Depth=1
	v_bfe_u32 v58, v14, 16, 7
	v_mov_b32_e32 v56, 0x7c01
	s_mov_b32 s43, exec_lo
	s_delay_alu instid0(VALU_DEP_2)
	v_cmpx_ne_u32_e32 0x7f, v58
	s_cbranch_execz .LBB254_263
; %bb.260:                              ;   in Loop: Header=BB254_12 Depth=1
	v_dual_lshrrev_b32 v57, 3, v58 :: v_dual_bitop2_b32 v56, 7, v4 bitop3:0x40
	s_mov_b32 s44, exec_lo
	v_cmpx_gt_u32_e32 8, v58
; %bb.261:                              ;   in Loop: Header=BB254_12 Depth=1
	s_delay_alu instid0(VALU_DEP_2) | instskip(NEXT) | instid1(VALU_DEP_1)
	v_clz_i32_u32_e32 v56, v56
	v_min_u32_e32 v58, 32, v56
	s_delay_alu instid0(VALU_DEP_1) | instskip(NEXT) | instid1(VALU_DEP_1)
	v_subrev_nc_u32_e32 v56, 28, v58
	v_lshlrev_b64_e32 v[56:57], v56, v[4:5]
	s_delay_alu instid0(VALU_DEP_1)
	v_dual_sub_nc_u32 v57, 29, v58 :: v_dual_bitop2_b32 v56, 7, v56 bitop3:0x40
; %bb.262:                              ;   in Loop: Header=BB254_12 Depth=1
	s_or_b32 exec_lo, exec_lo, s44
	v_lshlrev_b32_e32 v4, 8, v4
	s_delay_alu instid0(VALU_DEP_2) | instskip(NEXT) | instid1(VALU_DEP_3)
	v_lshl_add_u32 v57, v57, 10, 0x2000
	v_lshlrev_b32_e32 v56, 7, v56
	s_delay_alu instid0(VALU_DEP_3) | instskip(NEXT) | instid1(VALU_DEP_3)
	v_and_b32_e32 v4, 0x8000, v4
	v_and_b32_e32 v57, 0xfc00, v57
	s_delay_alu instid0(VALU_DEP_1)
	v_or3_b32 v56, v4, v57, v56
.LBB254_263:                            ;   in Loop: Header=BB254_12 Depth=1
	s_or_b32 exec_lo, exec_lo, s43
.LBB254_264:                            ;   in Loop: Header=BB254_12 Depth=1
	s_delay_alu instid0(SALU_CYCLE_1)
	s_or_b32 exec_lo, exec_lo, s42
.LBB254_265:                            ;   in Loop: Header=BB254_12 Depth=1
	s_delay_alu instid0(SALU_CYCLE_1) | instskip(NEXT) | instid1(SALU_CYCLE_1)
	s_or_b32 exec_lo, exec_lo, s41
	s_mov_b32 s41, exec_lo
	v_cmpx_lt_u32_e32 0xffffff, v14
	s_cbranch_execz .LBB254_273
; %bb.266:                              ;   in Loop: Header=BB254_12 Depth=1
	v_lshrrev_b32_e32 v4, 24, v14
	v_bfrev_b32_e32 v55, 1
	s_mov_b32 s42, exec_lo
	s_delay_alu instid0(VALU_DEP_2)
	v_cmpx_ne_u32_e32 0x80, v4
	s_cbranch_execz .LBB254_272
; %bb.267:                              ;   in Loop: Header=BB254_12 Depth=1
	v_and_b32_e32 v57, 0x7f, v4
	v_mov_b32_e32 v55, 0x7c010000
	s_mov_b32 s43, exec_lo
	s_delay_alu instid0(VALU_DEP_2)
	v_cmpx_ne_u32_e32 0x7f, v57
	s_cbranch_execz .LBB254_271
; %bb.268:                              ;   in Loop: Header=BB254_12 Depth=1
	v_dual_lshrrev_b32 v55, 3, v57 :: v_dual_bitop2_b32 v14, 7, v4 bitop3:0x40
	s_mov_b32 s44, exec_lo
	v_cmpx_gt_u32_e32 8, v57
; %bb.269:                              ;   in Loop: Header=BB254_12 Depth=1
	s_delay_alu instid0(VALU_DEP_2) | instskip(NEXT) | instid1(VALU_DEP_1)
	v_clz_i32_u32_e32 v14, v14
	v_min_u32_e32 v14, 32, v14
	s_delay_alu instid0(VALU_DEP_1) | instskip(NEXT) | instid1(VALU_DEP_1)
	v_subrev_nc_u32_e32 v55, 28, v14
	v_lshlrev_b64_e32 v[58:59], v55, v[4:5]
	v_sub_nc_u32_e32 v55, 29, v14
	s_delay_alu instid0(VALU_DEP_2)
	v_and_b32_e32 v14, 7, v58
; %bb.270:                              ;   in Loop: Header=BB254_12 Depth=1
	s_or_b32 exec_lo, exec_lo, s44
	s_delay_alu instid0(VALU_DEP_1) | instskip(NEXT) | instid1(VALU_DEP_3)
	v_dual_lshlrev_b32 v4, 8, v4 :: v_dual_lshlrev_b32 v14, 23, v14
	v_lshl_add_u32 v55, v55, 10, 0x2000
	s_delay_alu instid0(VALU_DEP_1) | instskip(NEXT) | instid1(VALU_DEP_1)
	v_and_or_b32 v4, 0x8000, v4, v55
	v_lshl_or_b32 v55, v4, 16, v14
.LBB254_271:                            ;   in Loop: Header=BB254_12 Depth=1
	s_or_b32 exec_lo, exec_lo, s43
.LBB254_272:                            ;   in Loop: Header=BB254_12 Depth=1
	s_delay_alu instid0(SALU_CYCLE_1)
	s_or_b32 exec_lo, exec_lo, s42
.LBB254_273:                            ;   in Loop: Header=BB254_12 Depth=1
	s_delay_alu instid0(SALU_CYCLE_1)
	s_or_b32 exec_lo, exec_lo, s41
	global_load_b32 v14, v[12:13], off offset:1024
	v_dual_mov_b32 v57, 0 :: v_dual_mov_b32 v58, 0
	s_mov_b32 s41, exec_lo
	s_wait_loadcnt 0x0
	v_and_b32_e32 v4, 0xff, v14
	s_delay_alu instid0(VALU_DEP_1)
	v_cmpx_ne_u16_e32 0, v4
	s_cbranch_execz .LBB254_281
; %bb.274:                              ;   in Loop: Header=BB254_12 Depth=1
	v_mov_b32_e32 v58, 0x8000
	s_mov_b32 s42, exec_lo
	v_cmpx_ne_u16_e32 0x80, v4
	s_cbranch_execz .LBB254_280
; %bb.275:                              ;   in Loop: Header=BB254_12 Depth=1
	v_and_b32_e32 v59, 0x7f, v14
	v_mov_b32_e32 v58, 0x7c01
	s_mov_b32 s43, exec_lo
	s_delay_alu instid0(VALU_DEP_2)
	v_cmpx_ne_u32_e32 0x7f, v59
	s_cbranch_execz .LBB254_279
; %bb.276:                              ;   in Loop: Header=BB254_12 Depth=1
	v_dual_lshrrev_b32 v58, 3, v59 :: v_dual_bitop2_b32 v4, 7, v14 bitop3:0x40
	s_mov_b32 s44, exec_lo
	v_cmpx_gt_u32_e32 8, v59
; %bb.277:                              ;   in Loop: Header=BB254_12 Depth=1
	s_delay_alu instid0(VALU_DEP_2) | instskip(NEXT) | instid1(VALU_DEP_1)
	v_clz_i32_u32_e32 v4, v4
	v_min_u32_e32 v4, 32, v4
	s_delay_alu instid0(VALU_DEP_1) | instskip(NEXT) | instid1(VALU_DEP_1)
	v_subrev_nc_u32_e32 v58, 28, v4
	v_lshlrev_b64_e32 v[60:61], v58, v[14:15]
	v_sub_nc_u32_e32 v58, 29, v4
	s_delay_alu instid0(VALU_DEP_2)
	v_and_b32_e32 v4, 7, v60
; %bb.278:                              ;   in Loop: Header=BB254_12 Depth=1
	s_or_b32 exec_lo, exec_lo, s44
	s_delay_alu instid0(VALU_DEP_1) | instskip(NEXT) | instid1(VALU_DEP_3)
	v_dual_lshlrev_b32 v59, 8, v14 :: v_dual_lshlrev_b32 v4, 7, v4
	v_lshl_add_u32 v58, v58, 10, 0x2000
	s_delay_alu instid0(VALU_DEP_2) | instskip(NEXT) | instid1(VALU_DEP_2)
	v_and_b32_e32 v59, 0x8000, v59
	v_and_b32_e32 v58, 0xfc00, v58
	s_delay_alu instid0(VALU_DEP_1)
	v_or3_b32 v58, v59, v58, v4
.LBB254_279:                            ;   in Loop: Header=BB254_12 Depth=1
	s_or_b32 exec_lo, exec_lo, s43
.LBB254_280:                            ;   in Loop: Header=BB254_12 Depth=1
	s_delay_alu instid0(SALU_CYCLE_1)
	s_or_b32 exec_lo, exec_lo, s42
.LBB254_281:                            ;   in Loop: Header=BB254_12 Depth=1
	s_delay_alu instid0(SALU_CYCLE_1) | instskip(SKIP_2) | instid1(VALU_DEP_1)
	s_or_b32 exec_lo, exec_lo, s41
	v_lshrrev_b16 v4, 8, v14
	s_mov_b32 s41, exec_lo
	v_cmpx_ne_u16_e32 0, v4
	s_cbranch_execz .LBB254_289
; %bb.282:                              ;   in Loop: Header=BB254_12 Depth=1
	v_bfrev_b32_e32 v57, 1
	s_mov_b32 s42, exec_lo
	v_cmpx_ne_u16_e32 0x80, v4
	s_cbranch_execz .LBB254_288
; %bb.283:                              ;   in Loop: Header=BB254_12 Depth=1
	v_and_b32_e32 v59, 0xffff, v4
	v_mov_b32_e32 v57, 0x7c010000
	s_mov_b32 s43, exec_lo
	s_delay_alu instid0(VALU_DEP_2) | instskip(NEXT) | instid1(VALU_DEP_1)
	v_and_b32_e32 v61, 0x7f, v59
	v_cmpx_ne_u32_e32 0x7f, v61
	s_cbranch_execz .LBB254_287
; %bb.284:                              ;   in Loop: Header=BB254_12 Depth=1
	v_dual_lshrrev_b32 v60, 3, v61 :: v_dual_bitop2_b32 v57, 7, v59 bitop3:0x40
	s_mov_b32 s44, exec_lo
	v_cmpx_gt_u32_e32 8, v61
; %bb.285:                              ;   in Loop: Header=BB254_12 Depth=1
	s_delay_alu instid0(VALU_DEP_2) | instskip(NEXT) | instid1(VALU_DEP_1)
	v_clz_i32_u32_e32 v57, v57
	v_min_u32_e32 v57, 32, v57
	s_delay_alu instid0(VALU_DEP_1) | instskip(NEXT) | instid1(VALU_DEP_1)
	v_subrev_nc_u32_e32 v60, 28, v57
	v_lshlrev_b64_e32 v[62:63], v60, v[4:5]
	s_delay_alu instid0(VALU_DEP_1)
	v_dual_sub_nc_u32 v60, 29, v57 :: v_dual_bitop2_b32 v57, 7, v62 bitop3:0x40
; %bb.286:                              ;   in Loop: Header=BB254_12 Depth=1
	s_or_b32 exec_lo, exec_lo, s44
	s_delay_alu instid0(VALU_DEP_1) | instskip(NEXT) | instid1(VALU_DEP_2)
	v_dual_lshlrev_b32 v4, 8, v59 :: v_dual_lshlrev_b32 v57, 23, v57
	v_lshl_add_u32 v59, v60, 10, 0x2000
	s_delay_alu instid0(VALU_DEP_1) | instskip(NEXT) | instid1(VALU_DEP_1)
	v_and_or_b32 v4, 0x8000, v4, v59
	v_lshl_or_b32 v57, v4, 16, v57
.LBB254_287:                            ;   in Loop: Header=BB254_12 Depth=1
	s_or_b32 exec_lo, exec_lo, s43
.LBB254_288:                            ;   in Loop: Header=BB254_12 Depth=1
	s_delay_alu instid0(SALU_CYCLE_1)
	s_or_b32 exec_lo, exec_lo, s42
.LBB254_289:                            ;   in Loop: Header=BB254_12 Depth=1
	s_delay_alu instid0(SALU_CYCLE_1) | instskip(SKIP_3) | instid1(VALU_DEP_2)
	s_or_b32 exec_lo, exec_lo, s41
	v_dual_mov_b32 v59, 0 :: v_dual_lshrrev_b32 v4, 16, v14
	v_mov_b32_e32 v60, 0
	s_mov_b32 s41, exec_lo
	v_and_b32_e32 v61, 0xff, v4
	s_delay_alu instid0(VALU_DEP_1)
	v_cmpx_ne_u16_e32 0, v61
	s_cbranch_execz .LBB254_297
; %bb.290:                              ;   in Loop: Header=BB254_12 Depth=1
	v_mov_b32_e32 v60, 0x8000
	s_mov_b32 s42, exec_lo
	v_cmpx_ne_u16_e32 0x80, v61
	s_cbranch_execz .LBB254_296
; %bb.291:                              ;   in Loop: Header=BB254_12 Depth=1
	v_bfe_u32 v62, v14, 16, 7
	v_mov_b32_e32 v60, 0x7c01
	s_mov_b32 s43, exec_lo
	s_delay_alu instid0(VALU_DEP_2)
	v_cmpx_ne_u32_e32 0x7f, v62
	s_cbranch_execz .LBB254_295
; %bb.292:                              ;   in Loop: Header=BB254_12 Depth=1
	v_dual_lshrrev_b32 v61, 3, v62 :: v_dual_bitop2_b32 v60, 7, v4 bitop3:0x40
	s_mov_b32 s44, exec_lo
	v_cmpx_gt_u32_e32 8, v62
; %bb.293:                              ;   in Loop: Header=BB254_12 Depth=1
	s_delay_alu instid0(VALU_DEP_2) | instskip(NEXT) | instid1(VALU_DEP_1)
	v_clz_i32_u32_e32 v60, v60
	v_min_u32_e32 v62, 32, v60
	s_delay_alu instid0(VALU_DEP_1) | instskip(NEXT) | instid1(VALU_DEP_1)
	v_subrev_nc_u32_e32 v60, 28, v62
	v_lshlrev_b64_e32 v[60:61], v60, v[4:5]
	s_delay_alu instid0(VALU_DEP_1)
	v_dual_sub_nc_u32 v61, 29, v62 :: v_dual_bitop2_b32 v60, 7, v60 bitop3:0x40
; %bb.294:                              ;   in Loop: Header=BB254_12 Depth=1
	s_or_b32 exec_lo, exec_lo, s44
	v_lshlrev_b32_e32 v4, 8, v4
	s_delay_alu instid0(VALU_DEP_2) | instskip(NEXT) | instid1(VALU_DEP_3)
	v_lshl_add_u32 v61, v61, 10, 0x2000
	v_lshlrev_b32_e32 v60, 7, v60
	s_delay_alu instid0(VALU_DEP_3) | instskip(NEXT) | instid1(VALU_DEP_3)
	v_and_b32_e32 v4, 0x8000, v4
	v_and_b32_e32 v61, 0xfc00, v61
	s_delay_alu instid0(VALU_DEP_1)
	v_or3_b32 v60, v4, v61, v60
.LBB254_295:                            ;   in Loop: Header=BB254_12 Depth=1
	s_or_b32 exec_lo, exec_lo, s43
.LBB254_296:                            ;   in Loop: Header=BB254_12 Depth=1
	s_delay_alu instid0(SALU_CYCLE_1)
	s_or_b32 exec_lo, exec_lo, s42
.LBB254_297:                            ;   in Loop: Header=BB254_12 Depth=1
	s_delay_alu instid0(SALU_CYCLE_1) | instskip(NEXT) | instid1(SALU_CYCLE_1)
	s_or_b32 exec_lo, exec_lo, s41
	s_mov_b32 s41, exec_lo
	v_cmpx_lt_u32_e32 0xffffff, v14
	s_cbranch_execz .LBB254_305
; %bb.298:                              ;   in Loop: Header=BB254_12 Depth=1
	v_lshrrev_b32_e32 v4, 24, v14
	v_bfrev_b32_e32 v59, 1
	s_mov_b32 s42, exec_lo
	s_delay_alu instid0(VALU_DEP_2)
	v_cmpx_ne_u32_e32 0x80, v4
	s_cbranch_execz .LBB254_304
; %bb.299:                              ;   in Loop: Header=BB254_12 Depth=1
	v_and_b32_e32 v61, 0x7f, v4
	v_mov_b32_e32 v59, 0x7c010000
	s_mov_b32 s43, exec_lo
	s_delay_alu instid0(VALU_DEP_2)
	v_cmpx_ne_u32_e32 0x7f, v61
	s_cbranch_execz .LBB254_303
; %bb.300:                              ;   in Loop: Header=BB254_12 Depth=1
	v_dual_lshrrev_b32 v59, 3, v61 :: v_dual_bitop2_b32 v14, 7, v4 bitop3:0x40
	s_mov_b32 s44, exec_lo
	v_cmpx_gt_u32_e32 8, v61
; %bb.301:                              ;   in Loop: Header=BB254_12 Depth=1
	s_delay_alu instid0(VALU_DEP_2) | instskip(NEXT) | instid1(VALU_DEP_1)
	v_clz_i32_u32_e32 v14, v14
	v_min_u32_e32 v14, 32, v14
	s_delay_alu instid0(VALU_DEP_1) | instskip(NEXT) | instid1(VALU_DEP_1)
	v_subrev_nc_u32_e32 v59, 28, v14
	v_lshlrev_b64_e32 v[62:63], v59, v[4:5]
	v_sub_nc_u32_e32 v59, 29, v14
	s_delay_alu instid0(VALU_DEP_2)
	v_and_b32_e32 v14, 7, v62
; %bb.302:                              ;   in Loop: Header=BB254_12 Depth=1
	s_or_b32 exec_lo, exec_lo, s44
	s_delay_alu instid0(VALU_DEP_1) | instskip(NEXT) | instid1(VALU_DEP_3)
	v_dual_lshlrev_b32 v4, 8, v4 :: v_dual_lshlrev_b32 v14, 23, v14
	v_lshl_add_u32 v59, v59, 10, 0x2000
	s_delay_alu instid0(VALU_DEP_1) | instskip(NEXT) | instid1(VALU_DEP_1)
	v_and_or_b32 v4, 0x8000, v4, v59
	v_lshl_or_b32 v59, v4, 16, v14
.LBB254_303:                            ;   in Loop: Header=BB254_12 Depth=1
	s_or_b32 exec_lo, exec_lo, s43
.LBB254_304:                            ;   in Loop: Header=BB254_12 Depth=1
	s_delay_alu instid0(SALU_CYCLE_1)
	s_or_b32 exec_lo, exec_lo, s42
.LBB254_305:                            ;   in Loop: Header=BB254_12 Depth=1
	s_delay_alu instid0(SALU_CYCLE_1)
	s_or_b32 exec_lo, exec_lo, s41
	global_load_b32 v12, v[12:13], off offset:1032
	s_wait_xcnt 0x0
	v_dual_mov_b32 v13, 0 :: v_dual_mov_b32 v14, 0
	s_mov_b32 s41, exec_lo
	s_wait_loadcnt 0x0
	v_and_b32_e32 v4, 0xff, v12
	s_delay_alu instid0(VALU_DEP_1)
	v_cmpx_ne_u16_e32 0, v4
	s_cbranch_execz .LBB254_313
; %bb.306:                              ;   in Loop: Header=BB254_12 Depth=1
	v_mov_b32_e32 v14, 0x8000
	s_mov_b32 s42, exec_lo
	v_cmpx_ne_u16_e32 0x80, v4
	s_cbranch_execz .LBB254_312
; %bb.307:                              ;   in Loop: Header=BB254_12 Depth=1
	v_and_b32_e32 v61, 0x7f, v12
	v_mov_b32_e32 v14, 0x7c01
	s_mov_b32 s43, exec_lo
	s_delay_alu instid0(VALU_DEP_2)
	v_cmpx_ne_u32_e32 0x7f, v61
	s_cbranch_execz .LBB254_311
; %bb.308:                              ;   in Loop: Header=BB254_12 Depth=1
	v_dual_lshrrev_b32 v14, 3, v61 :: v_dual_bitop2_b32 v4, 7, v12 bitop3:0x40
	s_mov_b32 s44, exec_lo
	v_cmpx_gt_u32_e32 8, v61
; %bb.309:                              ;   in Loop: Header=BB254_12 Depth=1
	s_delay_alu instid0(VALU_DEP_2) | instskip(NEXT) | instid1(VALU_DEP_1)
	v_clz_i32_u32_e32 v4, v4
	v_min_u32_e32 v4, 32, v4
	s_delay_alu instid0(VALU_DEP_1) | instskip(NEXT) | instid1(VALU_DEP_1)
	v_subrev_nc_u32_e32 v14, 28, v4
	v_lshlrev_b64_e32 v[62:63], v14, v[12:13]
	s_delay_alu instid0(VALU_DEP_1)
	v_dual_sub_nc_u32 v14, 29, v4 :: v_dual_bitop2_b32 v4, 7, v62 bitop3:0x40
; %bb.310:                              ;   in Loop: Header=BB254_12 Depth=1
	s_or_b32 exec_lo, exec_lo, s44
	v_lshlrev_b32_e32 v61, 8, v12
	s_delay_alu instid0(VALU_DEP_2) | instskip(NEXT) | instid1(VALU_DEP_3)
	v_lshl_add_u32 v14, v14, 10, 0x2000
	v_lshlrev_b32_e32 v4, 7, v4
	s_delay_alu instid0(VALU_DEP_3) | instskip(NEXT) | instid1(VALU_DEP_3)
	v_and_b32_e32 v61, 0x8000, v61
	v_and_b32_e32 v14, 0xfc00, v14
	s_delay_alu instid0(VALU_DEP_1)
	v_or3_b32 v14, v61, v14, v4
.LBB254_311:                            ;   in Loop: Header=BB254_12 Depth=1
	s_or_b32 exec_lo, exec_lo, s43
.LBB254_312:                            ;   in Loop: Header=BB254_12 Depth=1
	s_delay_alu instid0(SALU_CYCLE_1)
	s_or_b32 exec_lo, exec_lo, s42
.LBB254_313:                            ;   in Loop: Header=BB254_12 Depth=1
	s_delay_alu instid0(SALU_CYCLE_1) | instskip(SKIP_2) | instid1(VALU_DEP_1)
	s_or_b32 exec_lo, exec_lo, s41
	v_lshrrev_b16 v4, 8, v12
	s_mov_b32 s41, exec_lo
	v_cmpx_ne_u16_e32 0, v4
	s_cbranch_execz .LBB254_321
; %bb.314:                              ;   in Loop: Header=BB254_12 Depth=1
	v_bfrev_b32_e32 v13, 1
	s_mov_b32 s42, exec_lo
	v_cmpx_ne_u16_e32 0x80, v4
	s_cbranch_execz .LBB254_320
; %bb.315:                              ;   in Loop: Header=BB254_12 Depth=1
	v_and_b32_e32 v61, 0xffff, v4
	v_mov_b32_e32 v13, 0x7c010000
	s_mov_b32 s43, exec_lo
	s_delay_alu instid0(VALU_DEP_2) | instskip(NEXT) | instid1(VALU_DEP_1)
	v_and_b32_e32 v63, 0x7f, v61
	v_cmpx_ne_u32_e32 0x7f, v63
	s_cbranch_execz .LBB254_319
; %bb.316:                              ;   in Loop: Header=BB254_12 Depth=1
	v_dual_lshrrev_b32 v62, 3, v63 :: v_dual_bitop2_b32 v13, 7, v61 bitop3:0x40
	s_mov_b32 s44, exec_lo
	v_cmpx_gt_u32_e32 8, v63
; %bb.317:                              ;   in Loop: Header=BB254_12 Depth=1
	s_delay_alu instid0(VALU_DEP_2) | instskip(NEXT) | instid1(VALU_DEP_1)
	v_clz_i32_u32_e32 v13, v13
	v_min_u32_e32 v13, 32, v13
	s_delay_alu instid0(VALU_DEP_1) | instskip(NEXT) | instid1(VALU_DEP_1)
	v_subrev_nc_u32_e32 v62, 28, v13
	v_lshlrev_b64_e32 v[64:65], v62, v[4:5]
	s_delay_alu instid0(VALU_DEP_1)
	v_dual_sub_nc_u32 v62, 29, v13 :: v_dual_bitop2_b32 v13, 7, v64 bitop3:0x40
; %bb.318:                              ;   in Loop: Header=BB254_12 Depth=1
	s_or_b32 exec_lo, exec_lo, s44
	v_lshlrev_b32_e32 v4, 8, v61
	s_delay_alu instid0(VALU_DEP_2) | instskip(NEXT) | instid1(VALU_DEP_3)
	v_lshl_add_u32 v61, v62, 10, 0x2000
	v_lshlrev_b32_e32 v13, 23, v13
	s_delay_alu instid0(VALU_DEP_2) | instskip(NEXT) | instid1(VALU_DEP_1)
	v_and_or_b32 v4, 0x8000, v4, v61
	v_lshl_or_b32 v13, v4, 16, v13
.LBB254_319:                            ;   in Loop: Header=BB254_12 Depth=1
	s_or_b32 exec_lo, exec_lo, s43
.LBB254_320:                            ;   in Loop: Header=BB254_12 Depth=1
	s_delay_alu instid0(SALU_CYCLE_1)
	s_or_b32 exec_lo, exec_lo, s42
.LBB254_321:                            ;   in Loop: Header=BB254_12 Depth=1
	s_delay_alu instid0(SALU_CYCLE_1) | instskip(SKIP_3) | instid1(VALU_DEP_2)
	s_or_b32 exec_lo, exec_lo, s41
	v_dual_mov_b32 v61, 0 :: v_dual_lshrrev_b32 v4, 16, v12
	v_mov_b32_e32 v62, 0
	s_mov_b32 s41, exec_lo
	v_and_b32_e32 v63, 0xff, v4
	s_delay_alu instid0(VALU_DEP_1)
	v_cmpx_ne_u16_e32 0, v63
	s_cbranch_execz .LBB254_329
; %bb.322:                              ;   in Loop: Header=BB254_12 Depth=1
	v_mov_b32_e32 v62, 0x8000
	s_mov_b32 s42, exec_lo
	v_cmpx_ne_u16_e32 0x80, v63
	s_cbranch_execz .LBB254_328
; %bb.323:                              ;   in Loop: Header=BB254_12 Depth=1
	v_bfe_u32 v64, v12, 16, 7
	v_mov_b32_e32 v62, 0x7c01
	s_mov_b32 s43, exec_lo
	s_delay_alu instid0(VALU_DEP_2)
	v_cmpx_ne_u32_e32 0x7f, v64
	s_cbranch_execz .LBB254_327
; %bb.324:                              ;   in Loop: Header=BB254_12 Depth=1
	v_and_b32_e32 v62, 7, v4
	v_lshrrev_b32_e32 v63, 3, v64
	s_mov_b32 s44, exec_lo
	v_cmpx_gt_u32_e32 8, v64
; %bb.325:                              ;   in Loop: Header=BB254_12 Depth=1
	s_delay_alu instid0(VALU_DEP_3) | instskip(NEXT) | instid1(VALU_DEP_1)
	v_clz_i32_u32_e32 v62, v62
	v_min_u32_e32 v64, 32, v62
	s_delay_alu instid0(VALU_DEP_1) | instskip(NEXT) | instid1(VALU_DEP_1)
	v_subrev_nc_u32_e32 v62, 28, v64
	v_lshlrev_b64_e32 v[62:63], v62, v[4:5]
	s_delay_alu instid0(VALU_DEP_1)
	v_dual_sub_nc_u32 v63, 29, v64 :: v_dual_bitop2_b32 v62, 7, v62 bitop3:0x40
; %bb.326:                              ;   in Loop: Header=BB254_12 Depth=1
	s_or_b32 exec_lo, exec_lo, s44
	s_delay_alu instid0(VALU_DEP_1) | instskip(NEXT) | instid1(VALU_DEP_2)
	v_dual_lshlrev_b32 v4, 8, v4 :: v_dual_lshlrev_b32 v62, 7, v62
	v_lshl_add_u32 v63, v63, 10, 0x2000
	s_delay_alu instid0(VALU_DEP_2) | instskip(NEXT) | instid1(VALU_DEP_2)
	v_and_b32_e32 v4, 0x8000, v4
	v_and_b32_e32 v63, 0xfc00, v63
	s_delay_alu instid0(VALU_DEP_1)
	v_or3_b32 v62, v4, v63, v62
.LBB254_327:                            ;   in Loop: Header=BB254_12 Depth=1
	s_or_b32 exec_lo, exec_lo, s43
.LBB254_328:                            ;   in Loop: Header=BB254_12 Depth=1
	s_delay_alu instid0(SALU_CYCLE_1)
	s_or_b32 exec_lo, exec_lo, s42
.LBB254_329:                            ;   in Loop: Header=BB254_12 Depth=1
	s_delay_alu instid0(SALU_CYCLE_1) | instskip(NEXT) | instid1(SALU_CYCLE_1)
	s_or_b32 exec_lo, exec_lo, s41
	s_mov_b32 s41, exec_lo
	v_cmpx_lt_u32_e32 0xffffff, v12
	s_cbranch_execz .LBB254_337
; %bb.330:                              ;   in Loop: Header=BB254_12 Depth=1
	v_lshrrev_b32_e32 v4, 24, v12
	v_bfrev_b32_e32 v61, 1
	s_mov_b32 s42, exec_lo
	s_delay_alu instid0(VALU_DEP_2)
	v_cmpx_ne_u32_e32 0x80, v4
	s_cbranch_execz .LBB254_336
; %bb.331:                              ;   in Loop: Header=BB254_12 Depth=1
	v_and_b32_e32 v63, 0x7f, v4
	v_mov_b32_e32 v61, 0x7c010000
	s_mov_b32 s43, exec_lo
	s_delay_alu instid0(VALU_DEP_2)
	v_cmpx_ne_u32_e32 0x7f, v63
	s_cbranch_execz .LBB254_335
; %bb.332:                              ;   in Loop: Header=BB254_12 Depth=1
	v_dual_lshrrev_b32 v61, 3, v63 :: v_dual_bitop2_b32 v12, 7, v4 bitop3:0x40
	s_mov_b32 s44, exec_lo
	v_cmpx_gt_u32_e32 8, v63
; %bb.333:                              ;   in Loop: Header=BB254_12 Depth=1
	s_delay_alu instid0(VALU_DEP_2) | instskip(NEXT) | instid1(VALU_DEP_1)
	v_clz_i32_u32_e32 v12, v12
	v_min_u32_e32 v12, 32, v12
	s_delay_alu instid0(VALU_DEP_1) | instskip(NEXT) | instid1(VALU_DEP_1)
	v_subrev_nc_u32_e32 v61, 28, v12
	v_lshlrev_b64_e32 v[64:65], v61, v[4:5]
	v_sub_nc_u32_e32 v61, 29, v12
	s_delay_alu instid0(VALU_DEP_2)
	v_and_b32_e32 v12, 7, v64
; %bb.334:                              ;   in Loop: Header=BB254_12 Depth=1
	s_or_b32 exec_lo, exec_lo, s44
	v_lshlrev_b32_e32 v4, 8, v4
	s_delay_alu instid0(VALU_DEP_3) | instskip(NEXT) | instid1(VALU_DEP_3)
	v_lshl_add_u32 v61, v61, 10, 0x2000
	v_lshlrev_b32_e32 v12, 23, v12
	s_delay_alu instid0(VALU_DEP_2) | instskip(NEXT) | instid1(VALU_DEP_1)
	v_and_or_b32 v4, 0x8000, v4, v61
	v_lshl_or_b32 v61, v4, 16, v12
.LBB254_335:                            ;   in Loop: Header=BB254_12 Depth=1
	s_or_b32 exec_lo, exec_lo, s43
.LBB254_336:                            ;   in Loop: Header=BB254_12 Depth=1
	s_delay_alu instid0(SALU_CYCLE_1)
	s_or_b32 exec_lo, exec_lo, s42
.LBB254_337:                            ;   in Loop: Header=BB254_12 Depth=1
	s_delay_alu instid0(SALU_CYCLE_1)
	s_or_b32 exec_lo, exec_lo, s41
	ds_load_b64 v[64:65], v16
	v_or_b32_e32 v4, v22, v23
	v_or_b32_e32 v12, v24, v28
	v_fma_mixlo_f16 v22, v7, v22, 0 op_sel:[0,1,0] op_sel_hi:[0,1,0]
	v_fma_mixlo_f16 v23, v7, v24, 0 op_sel:[0,1,0] op_sel_hi:[0,1,0]
	v_or_b32_e32 v30, v29, v30
	v_fma_mixlo_f16 v29, v7, v29, 0 op_sel:[0,1,0] op_sel_hi:[0,1,0]
	v_fma_mixlo_f16 v12, v7, v12, 0 op_sel_hi:[0,1,0]
	v_and_b32_e32 v22, 0xffff, v22
	v_and_b32_e32 v23, 0xffff, v23
	v_fma_mixlo_f16 v30, v7, v30, 0 op_sel_hi:[0,1,0]
	v_and_b32_e32 v29, 0xffff, v29
	v_and_b32_e32 v66, 0xffff, v12
	s_delay_alu instid0(VALU_DEP_3)
	v_and_b32_e32 v30, 0xffff, v30
	s_wait_dscnt 0x0
	v_lshrrev_b32_e32 v28, 16, v64
	v_fma_mixlo_f16 v4, v7, v4, 0 op_sel_hi:[0,1,0]
	v_and_b32_e32 v24, 0xffff, v64
	v_lshrrev_b32_e32 v12, 16, v65
	v_and_b32_e32 v65, 0xffff, v65
	;;#ASMSTART
	v_cvt_f32_f16 v24, v24;
	;;#ASMEND
	v_and_b32_e32 v4, 0xffff, v4
	;;#ASMSTART
	v_cvt_f32_f16 v28, v28;
	;;#ASMEND
	;;#ASMSTART
	v_cvt_f32_f16 v63, v4;
	;;#ASMEND
	;;#ASMSTART
	v_cvt_f32_f16 v64, v22;
	;;#ASMEND
	;;#ASMSTART
	v_cvt_f32_f16 v4, v65;
	;;#ASMEND
	;;#ASMSTART
	v_cvt_f32_f16 v12, v12;
	;;#ASMEND
	;;#ASMSTART
	v_cvt_f32_f16 v22, v66;
	;;#ASMEND
	;;#ASMSTART
	v_cvt_f32_f16 v23, v23;
	;;#ASMEND
	ds_load_b64 v[66:67], v16 offset:8
	v_or_b32_e32 v32, v31, v32
	v_fma_mixlo_f16 v31, v7, v31, 0 op_sel:[0,1,0] op_sel_hi:[0,1,0]
	s_delay_alu instid0(VALU_DEP_1)
	v_and_b32_e32 v69, 0xffff, v31
	s_wait_dscnt 0x0
	v_lshrrev_b32_e32 v70, 16, v67
	v_fma_mixlo_f16 v32, v7, v32, 0 op_sel_hi:[0,1,0]
	v_and_b32_e32 v31, 0xffff, v66
	v_lshrrev_b32_e32 v65, 16, v66
	v_and_b32_e32 v71, 0xffff, v67
	;;#ASMSTART
	v_cvt_f32_f16 v66, v31;
	;;#ASMEND
	v_and_b32_e32 v32, 0xffff, v32
	;;#ASMSTART
	v_cvt_f32_f16 v65, v65;
	;;#ASMEND
	;;#ASMSTART
	v_cvt_f32_f16 v68, v30;
	;;#ASMEND
	;; [unrolled: 3-line block ×7, first 2 shown]
	ds_load_b64 v[70:71], v16 offset:16
	v_or_b32_e32 v36, v35, v36
	v_or_b32_e32 v34, v33, v34
	v_fma_mixlo_f16 v33, v7, v33, 0 op_sel:[0,1,0] op_sel_hi:[0,1,0]
	v_fma_mixlo_f16 v35, v7, v35, 0 op_sel:[0,1,0] op_sel_hi:[0,1,0]
	v_dual_mul_f32 v30, v30, v32 :: v_dual_bitop2_b32 v14, v13, v14 bitop3:0x54
	v_fma_mixlo_f16 v36, v7, v36, 0 op_sel_hi:[0,1,0]
	s_delay_alu instid0(VALU_DEP_4) | instskip(NEXT) | instid1(VALU_DEP_4)
	v_and_b32_e32 v72, 0xffff, v33
	v_and_b32_e32 v73, 0xffff, v35
	s_delay_alu instid0(VALU_DEP_4) | instskip(NEXT) | instid1(VALU_DEP_4)
	v_fma_mixlo_f16 v14, v7, v14, 0 op_sel_hi:[0,1,0]
	v_and_b32_e32 v74, 0xffff, v36
	s_delay_alu instid0(VALU_DEP_2)
	v_and_b32_e32 v14, 0xffff, v14
	s_wait_dscnt 0x0
	v_lshrrev_b32_e32 v36, 16, v71
	v_fma_mixlo_f16 v34, v7, v34, 0 op_sel_hi:[0,1,0]
	v_and_b32_e32 v33, 0xffff, v70
	v_and_b32_e32 v71, 0xffff, v71
	;;#ASMSTART
	v_cvt_f32_f16 v33, v33;
	;;#ASMEND
	s_delay_alu instid0(VALU_DEP_3)
	v_and_b32_e32 v35, 0xffff, v34
	v_lshrrev_b32_e32 v34, 16, v70
	;;#ASMSTART
	v_cvt_f32_f16 v34, v34;
	;;#ASMEND
	;;#ASMSTART
	v_cvt_f32_f16 v69, v35;
	;;#ASMEND
	;; [unrolled: 3-line block ×7, first 2 shown]
	ds_load_b64 v[74:75], v16 offset:24
	v_or_b32_e32 v40, v39, v40
	v_or_b32_e32 v38, v37, v38
	v_fma_mixlo_f16 v37, v7, v37, 0 op_sel:[0,1,0] op_sel_hi:[0,1,0]
	v_fma_mixlo_f16 v39, v7, v39, 0 op_sel:[0,1,0] op_sel_hi:[0,1,0]
	s_delay_alu instid0(VALU_DEP_4) | instskip(NEXT) | instid1(VALU_DEP_3)
	v_fma_mixlo_f16 v40, v7, v40, 0 op_sel_hi:[0,1,0]
	v_and_b32_e32 v76, 0xffff, v37
	s_delay_alu instid0(VALU_DEP_3) | instskip(NEXT) | instid1(VALU_DEP_3)
	v_and_b32_e32 v77, 0xffff, v39
	v_and_b32_e32 v78, 0xffff, v40
	s_wait_dscnt 0x0
	v_lshrrev_b32_e32 v40, 16, v75
	v_fma_mixlo_f16 v38, v7, v38, 0 op_sel_hi:[0,1,0]
	v_and_b32_e32 v37, 0xffff, v74
	v_and_b32_e32 v75, 0xffff, v75
	;;#ASMSTART
	v_cvt_f32_f16 v37, v37;
	;;#ASMEND
	s_delay_alu instid0(VALU_DEP_3)
	v_and_b32_e32 v39, 0xffff, v38
	v_lshrrev_b32_e32 v38, 16, v74
	;;#ASMSTART
	v_cvt_f32_f16 v38, v38;
	;;#ASMEND
	;;#ASMSTART
	v_cvt_f32_f16 v73, v39;
	;;#ASMEND
	;; [unrolled: 3-line block ×7, first 2 shown]
	ds_load_b64 v[78:79], v16 offset:32
	v_or_b32_e32 v42, v41, v42
	v_or_b32_e32 v44, v43, v44
	v_fma_mixlo_f16 v43, v7, v43, 0 op_sel:[0,1,0] op_sel_hi:[0,1,0]
	v_fma_mixlo_f16 v41, v7, v41, 0 op_sel:[0,1,0] op_sel_hi:[0,1,0]
	s_delay_alu instid0(VALU_DEP_2) | instskip(NEXT) | instid1(VALU_DEP_2)
	v_and_b32_e32 v43, 0xffff, v43
	v_and_b32_e32 v41, 0xffff, v41
	s_wait_dscnt 0x0
	v_lshrrev_b32_e32 v80, 16, v79
	v_fma_mixlo_f16 v42, v7, v42, 0 op_sel_hi:[0,1,0]
	v_and_b32_e32 v77, 0xffff, v78
	v_lshrrev_b32_e32 v78, 16, v78
	v_fma_mixlo_f16 v44, v7, v44, 0 op_sel_hi:[0,1,0]
	v_and_b32_e32 v79, 0xffff, v79
	v_and_b32_e32 v42, 0xffff, v42
	;;#ASMSTART
	v_cvt_f32_f16 v77, v77;
	;;#ASMEND
	;;#ASMSTART
	v_cvt_f32_f16 v78, v78;
	;;#ASMEND
	v_and_b32_e32 v44, 0xffff, v44
	;;#ASMSTART
	v_cvt_f32_f16 v81, v42;
	;;#ASMEND
	;;#ASMSTART
	v_cvt_f32_f16 v82, v41;
	;;#ASMEND
	;; [unrolled: 3-line block ×6, first 2 shown]
	ds_load_b64 v[42:43], v16 offset:40
	v_or_b32_e32 v41, v45, v46
	v_or_b32_e32 v44, v47, v48
	v_fma_mixlo_f16 v45, v7, v45, 0 op_sel:[0,1,0] op_sel_hi:[0,1,0]
	v_fma_mixlo_f16 v46, v7, v47, 0 op_sel:[0,1,0] op_sel_hi:[0,1,0]
	s_delay_alu instid0(VALU_DEP_2) | instskip(NEXT) | instid1(VALU_DEP_2)
	v_and_b32_e32 v45, 0xffff, v45
	v_and_b32_e32 v46, 0xffff, v46
	s_wait_dscnt 0x0
	v_and_b32_e32 v47, 0xffff, v42
	v_lshrrev_b32_e32 v42, 16, v42
	v_fma_mixlo_f16 v44, v7, v44, 0 op_sel_hi:[0,1,0]
	v_lshrrev_b32_e32 v48, 16, v43
	v_fma_mixlo_f16 v41, v7, v41, 0 op_sel_hi:[0,1,0]
	v_and_b32_e32 v43, 0xffff, v43
	;;#ASMSTART
	v_cvt_f32_f16 v85, v47;
	;;#ASMEND
	v_and_b32_e32 v44, 0xffff, v44
	;;#ASMSTART
	v_cvt_f32_f16 v86, v42;
	;;#ASMEND
	;; [unrolled: 4-line block ×3, first 2 shown]
	;;#ASMSTART
	v_cvt_f32_f16 v88, v45;
	;;#ASMEND
	;;#ASMSTART
	v_cvt_f32_f16 v89, v43;
	;;#ASMEND
	;; [unrolled: 3-line block ×5, first 2 shown]
	ds_load_b64 v[42:43], v16 offset:48
	v_or_b32_e32 v41, v49, v50
	v_or_b32_e32 v45, v51, v52
	v_fma_mixlo_f16 v46, v7, v49, 0 op_sel:[0,1,0] op_sel_hi:[0,1,0]
	v_fma_mixlo_f16 v47, v7, v51, 0 op_sel:[0,1,0] op_sel_hi:[0,1,0]
	v_or_b32_e32 v44, v57, v58
	v_fma_mixlo_f16 v48, v7, v57, 0 op_sel:[0,1,0] op_sel_hi:[0,1,0]
	v_fma_mixlo_f16 v51, v7, v13, 0 op_sel:[0,1,0] op_sel_hi:[0,1,0]
	v_and_b32_e32 v46, 0xffff, v46
	v_and_b32_e32 v47, 0xffff, v47
	s_delay_alu instid0(VALU_DEP_4)
	v_and_b32_e32 v48, 0xffff, v48
	s_wait_dscnt 0x0
	v_and_b32_e32 v49, 0xffff, v42
	v_lshrrev_b32_e32 v42, 16, v42
	v_fma_mixlo_f16 v45, v7, v45, 0 op_sel_hi:[0,1,0]
	v_lshrrev_b32_e32 v50, 16, v43
	v_fma_mixlo_f16 v41, v7, v41, 0 op_sel_hi:[0,1,0]
	v_and_b32_e32 v43, 0xffff, v43
	;;#ASMSTART
	v_cvt_f32_f16 v52, v49;
	;;#ASMEND
	v_and_b32_e32 v45, 0xffff, v45
	;;#ASMSTART
	v_cvt_f32_f16 v57, v42;
	;;#ASMEND
	v_and_b32_e32 v41, 0xffff, v41
	;;#ASMSTART
	v_cvt_f32_f16 v58, v41;
	;;#ASMEND
	;;#ASMSTART
	v_cvt_f32_f16 v93, v46;
	;;#ASMEND
	;;#ASMSTART
	v_cvt_f32_f16 v94, v43;
	;;#ASMEND
	;; [unrolled: 3-line block ×5, first 2 shown]
	ds_load_b64 v[42:43], v16 offset:56
	v_or_b32_e32 v46, v53, v54
	v_or_b32_e32 v49, v55, v56
	v_fma_mixlo_f16 v50, v7, v55, 0 op_sel:[0,1,0] op_sel_hi:[0,1,0]
	v_fma_mixlo_f16 v47, v7, v53, 0 op_sel:[0,1,0] op_sel_hi:[0,1,0]
	v_or_b32_e32 v41, v59, v60
	v_fma_mixlo_f16 v45, v7, v59, 0 op_sel:[0,1,0] op_sel_hi:[0,1,0]
	s_delay_alu instid0(VALU_DEP_3)
	v_and_b32_e32 v47, 0xffff, v47
	s_wait_dscnt 0x0
	v_lshrrev_b32_e32 v55, 16, v43
	v_fma_mixlo_f16 v13, v7, v44, 0 op_sel_hi:[0,1,0]
	v_fma_mixlo_f16 v44, v7, v46, 0 op_sel_hi:[0,1,0]
	;; [unrolled: 1-line block ×3, first 2 shown]
	v_and_b32_e32 v49, 0xffff, v50
	v_and_b32_e32 v54, 0xffff, v42
	v_lshrrev_b32_e32 v42, 16, v42
	v_and_b32_e32 v50, 0xffff, v44
	v_and_b32_e32 v53, 0xffff, v46
	v_dual_mul_f32 v44, v66, v68 :: v_dual_mul_f32 v46, v65, v67
	v_and_b32_e32 v43, 0xffff, v43
	;;#ASMSTART
	v_cvt_f32_f16 v54, v54;
	;;#ASMEND
	;;#ASMSTART
	v_cvt_f32_f16 v56, v42;
	;;#ASMEND
	;; [unrolled: 3-line block ×8, first 2 shown]
	ds_load_b64 v[42:43], v16 offset:64
	v_dual_mul_f32 v29, v29, v31 :: v_dual_fmac_f32 v46, v28, v64
	v_fmac_f32_e32 v44, v24, v63
	v_fma_mixlo_f16 v41, v7, v41, 0 op_sel_hi:[0,1,0]
	v_and_b32_e32 v24, 0xffff, v45
	s_delay_alu instid0(VALU_DEP_4) | instskip(NEXT) | instid1(VALU_DEP_4)
	v_fmac_f32_e32 v46, v34, v70
	v_dual_fmac_f32 v29, v4, v22 :: v_dual_fmac_f32 v44, v33, v69
	v_fmac_f32_e32 v30, v12, v23
	v_and_b32_e32 v4, 0xffff, v13
	v_and_b32_e32 v12, 0xffff, v41
	s_delay_alu instid0(VALU_DEP_4) | instskip(NEXT) | instid1(VALU_DEP_4)
	v_dual_fmac_f32 v44, v37, v73 :: v_dual_fmac_f32 v29, v35, v71
	v_fmac_f32_e32 v30, v36, v72
	s_delay_alu instid0(VALU_DEP_2) | instskip(NEXT) | instid1(VALU_DEP_3)
	v_dual_fmac_f32 v46, v38, v74 :: v_dual_fmac_f32 v44, v77, v81
	v_fmac_f32_e32 v29, v39, v75
	s_wait_dscnt 0x0
	v_and_b32_e32 v13, 0xffff, v42
	v_dual_lshrrev_b32 v22, 16, v42 :: v_dual_lshrrev_b32 v23, 16, v43
	v_and_b32_e32 v28, 0xffff, v43
	v_fmac_f32_e32 v30, v40, v76
	v_dual_fmac_f32 v46, v78, v82 :: v_dual_fmac_f32 v29, v79, v83
	;;#ASMSTART
	v_cvt_f32_f16 v31, v13;
	;;#ASMEND
	;;#ASMSTART
	v_cvt_f32_f16 v22, v22;
	;;#ASMEND
	;; [unrolled: 3-line block ×8, first 2 shown]
	ds_load_b64 v[12:13], v16 offset:72
	v_dual_fmac_f32 v30, v80, v84 :: v_dual_fmac_f32 v44, v85, v87
	v_dual_fmac_f32 v46, v86, v88 :: v_dual_fmac_f32 v29, v89, v91
	s_delay_alu instid0(VALU_DEP_2) | instskip(NEXT) | instid1(VALU_DEP_2)
	v_dual_fmac_f32 v30, v90, v92 :: v_dual_bitop2_b32 v4, v61, v62 bitop3:0x54
	v_dual_fmac_f32 v44, v52, v58 :: v_dual_fmac_f32 v46, v57, v93
	s_delay_alu instid0(VALU_DEP_3) | instskip(NEXT) | instid1(VALU_DEP_3)
	v_fmac_f32_e32 v29, v94, v96
	v_fma_mixlo_f16 v4, v7, v4, 0 op_sel_hi:[0,1,0]
	s_delay_alu instid0(VALU_DEP_3) | instskip(NEXT) | instid1(VALU_DEP_3)
	v_dual_fmac_f32 v30, v95, v97 :: v_dual_fmac_f32 v44, v54, v50
	v_dual_fmac_f32 v46, v56, v47 :: v_dual_fmac_f32 v29, v59, v53
	v_fma_mixlo_f16 v7, v7, v61, 0 op_sel:[0,1,0] op_sel_hi:[0,1,0]
	s_delay_alu instid0(VALU_DEP_4) | instskip(NEXT) | instid1(VALU_DEP_3)
	v_and_b32_e32 v4, 0xffff, v4
	v_dual_fmac_f32 v44, v31, v32 :: v_dual_fmac_f32 v46, v22, v33
	s_wait_dscnt 0x0
	v_and_b32_e32 v22, 0xffff, v12
	v_dual_lshrrev_b32 v12, 16, v12 :: v_dual_fmac_f32 v30, v55, v49
	v_fmac_f32_e32 v29, v28, v34
	;;#ASMSTART
	v_cvt_f32_f16 v22, v22;
	;;#ASMEND
	;;#ASMSTART
	v_cvt_f32_f16 v12, v12;
	;;#ASMEND
	;; [unrolled: 3-line block ×3, first 2 shown]
	v_fmac_f32_e32 v30, v23, v24
	v_and_b32_e32 v24, 0xffff, v13
	v_lshrrev_b32_e32 v13, 16, v13
	v_and_b32_e32 v28, 0xffff, v51
	;;#ASMSTART
	v_cvt_f32_f16 v23, v28;
	;;#ASMEND
	v_dual_fmac_f32 v44, v22, v14 :: v_dual_fmac_f32 v46, v12, v23
	;;#ASMSTART
	v_cvt_f32_f16 v12, v24;
	;;#ASMEND
	;;#ASMSTART
	v_cvt_f32_f16 v13, v13;
	;;#ASMEND
	;; [unrolled: 3-line block ×3, first 2 shown]
	v_and_b32_e32 v14, 0xffff, v7
	v_dual_fmac_f32 v29, v12, v4 :: v_dual_bitop2_b32 v7, 1, v3 bitop3:0x14
	;;#ASMSTART
	v_cvt_f32_f16 v12, v14;
	;;#ASMEND
	v_dual_add_f32 v4, v44, v46 :: v_dual_fmac_f32 v30, v13, v12
	s_delay_alu instid0(VALU_DEP_2) | instskip(NEXT) | instid1(VALU_DEP_1)
	v_cmp_gt_i32_e64 s4, 32, v7
	v_dual_add_f32 v4, v4, v29 :: v_dual_cndmask_b32 v7, v3, v7, s4
	s_delay_alu instid0(VALU_DEP_1)
	v_dual_add_f32 v4, v30, v4 :: v_dual_lshlrev_b32 v7, 2, v7
	ds_bpermute_b32 v7, v7, v4
	s_and_saveexec_b32 s41, s3
	s_cbranch_execz .LBB254_10
; %bb.338:                              ;   in Loop: Header=BB254_12 Depth=1
	s_wait_dscnt 0x0
	v_dual_add_nc_u32 v12, v18, v6 :: v_dual_add_f32 v4, v4, v7
	s_delay_alu instid0(VALU_DEP_1) | instskip(NEXT) | instid1(VALU_DEP_1)
	v_cvt_f32_i32_e32 v12, v12
	v_mul_f32_e32 v12, s37, v12
	s_delay_alu instid0(VALU_DEP_1) | instskip(NEXT) | instid1(VALU_DEP_1)
	v_dual_cndmask_b32 v7, 0, v12 :: v_dual_max_num_f32 v12, v17, v17
	v_dual_fmac_f32 v7, s27, v4 :: v_dual_add_nc_u32 v4, v15, v6
	s_delay_alu instid0(VALU_DEP_1) | instskip(NEXT) | instid1(VALU_DEP_1)
	v_cmp_gt_i32_e64 s4, s34, v4
	v_dual_max_num_f32 v12, v12, v7 :: v_dual_cndmask_b32 v4, 0, v7, s4
	s_delay_alu instid0(VALU_DEP_1)
	v_cndmask_b32_e64 v17, v17, v12, s4
	ds_store_b32 v19, v4
	s_branch .LBB254_10
.LBB254_339:
	s_or_b32 exec_lo, exec_lo, s40
.LBB254_340:
	s_delay_alu instid0(SALU_CYCLE_1)
	s_or_b32 exec_lo, exec_lo, s26
	s_wait_dscnt 0x0
	v_dual_max_num_f32 v7, v17, v17 :: v_dual_bitop2_b32 v4, 16, v3 bitop3:0x14
	s_clause 0x1
	s_load_b64 s[4:5], s[0:1], 0x0
	s_load_b64 s[26:27], s[0:1], 0x18
	v_xor_b32_e32 v6, 8, v3
	v_xor_b32_e32 v8, 4, v3
	v_cmp_gt_i32_e32 vcc_lo, 32, v4
	v_and_b32_e32 v28, 31, v0
	v_cndmask_b32_e32 v4, v3, v4, vcc_lo
	v_cmp_gt_i32_e32 vcc_lo, 32, v6
	s_delay_alu instid0(VALU_DEP_2) | instskip(SKIP_4) | instid1(VALU_DEP_1)
	v_dual_cndmask_b32 v6, v3, v6 :: v_dual_lshlrev_b32 v5, 2, v4
	v_cmp_gt_i32_e32 vcc_lo, 32, v8
	ds_bpermute_b32 v4, v5, v17
	s_wait_dscnt 0x0
	v_dual_lshlrev_b32 v6, 2, v6 :: v_dual_max_num_f32 v4, v4, v4
	v_max_num_f32_e32 v4, v7, v4
	ds_bpermute_b32 v7, v6, v4
	s_wait_dscnt 0x0
	v_max_num_f32_e32 v9, v7, v7
	s_delay_alu instid0(VALU_DEP_1) | instskip(NEXT) | instid1(VALU_DEP_1)
	v_dual_cndmask_b32 v8, v3, v8, vcc_lo :: v_dual_max_num_f32 v4, v4, v9
	v_lshlrev_b32_e32 v7, 2, v8
	ds_bpermute_b32 v8, v7, v4
	s_wait_dscnt 0x0
	v_dual_max_num_f32 v8, v8, v8 :: v_dual_bitop2_b32 v9, 2, v3 bitop3:0x14
	s_delay_alu instid0(VALU_DEP_1) | instskip(NEXT) | instid1(VALU_DEP_2)
	v_cmp_gt_i32_e32 vcc_lo, 32, v9
	v_dual_cndmask_b32 v10, v3, v9 :: v_dual_max_num_f32 v9, v4, v8
	v_lshlrev_b32_e32 v8, 2, v27
	v_cmp_eq_u32_e32 vcc_lo, 0, v28
	s_delay_alu instid0(VALU_DEP_3)
	v_lshlrev_b32_e32 v4, 2, v10
	ds_bpermute_b32 v10, v4, v9
	s_wait_xcnt 0x0
	s_and_saveexec_b32 s0, vcc_lo
	s_cbranch_execz .LBB254_342
; %bb.341:
	s_wait_dscnt 0x0
	v_dual_max_num_f32 v10, v10, v10 :: v_dual_max_num_f32 v9, v9, v9
	s_delay_alu instid0(VALU_DEP_1)
	v_max_num_f32_e32 v9, v9, v10
	ds_store_b32 v8, v9 offset:160
.LBB254_342:
	s_or_b32 exec_lo, exec_lo, s0
	v_cmp_gt_u32_e64 s0, 4, v28
	s_wait_dscnt 0x0
	v_dual_mov_b32 v10, 0xff7fffff :: v_dual_lshlrev_b32 v9, 2, v28
	s_barrier_signal -1
	s_barrier_wait -1
	s_and_saveexec_b32 s1, s0
; %bb.343:
	ds_load_b32 v10, v9 offset:160
; %bb.344:
	s_or_b32 exec_lo, exec_lo, s1
	s_wait_dscnt 0x0
	ds_bpermute_b32 v11, v4, v10
	v_dual_max_num_f32 v10, v10, v10 :: v_dual_bitop2_b32 v12, 1, v3 bitop3:0x14
	s_delay_alu instid0(VALU_DEP_1) | instskip(NEXT) | instid1(VALU_DEP_1)
	v_cmp_gt_i32_e64 s1, 32, v12
	v_cndmask_b32_e64 v3, v3, v12, s1
	s_lshl_b32 s1, s12, 4
	s_delay_alu instid0(SALU_CYCLE_1) | instskip(NEXT) | instid1(VALU_DEP_1)
	s_min_i32 s8, s1, s34
	v_lshlrev_b32_e32 v29, 2, v3
	v_cmp_gt_i32_e64 s1, s8, v0
	s_wait_dscnt 0x0
	v_max_num_f32_e32 v11, v11, v11
	s_delay_alu instid0(VALU_DEP_1) | instskip(SKIP_3) | instid1(VALU_DEP_1)
	v_max_num_f32_e32 v3, v10, v11
	ds_bpermute_b32 v10, v29, v3
	s_wait_dscnt 0x0
	v_max_num_f32_e32 v10, v10, v10
	v_dual_max_num_f32 v10, v3, v10 :: v_dual_mov_b32 v3, 0
	ds_bpermute_b32 v10, v3, v10
	s_and_saveexec_b32 s9, s1
	s_cbranch_execz .LBB254_348
; %bb.345:
	v_lshl_add_u32 v11, v0, 2, 0xc0
	v_dual_mov_b32 v3, 0 :: v_dual_mov_b32 v12, v0
	s_mov_b32 s19, 0
.LBB254_346:                            ; =>This Inner Loop Header: Depth=1
	ds_load_b32 v13, v11
	v_add_nc_u32_e32 v12, 0x80, v12
	s_delay_alu instid0(VALU_DEP_1) | instskip(SKIP_3) | instid1(VALU_DEP_1)
	v_cmp_le_i32_e64 s3, s8, v12
	s_or_b32 s19, s3, s19
	s_wait_dscnt 0x0
	v_sub_f32_e32 v13, v13, v10
	v_mul_f32_e32 v13, 0x3fb8aa3b, v13
	s_delay_alu instid0(VALU_DEP_1)
	v_exp_f32_e32 v13, v13
	ds_store_b32 v11, v13
	v_nop
	v_add_f32_e32 v3, v3, v13
	v_add_nc_u32_e32 v11, 0x200, v11
	s_and_not1_b32 exec_lo, exec_lo, s19
	s_cbranch_execnz .LBB254_346
; %bb.347:
	s_or_b32 exec_lo, exec_lo, s19
.LBB254_348:
	s_delay_alu instid0(SALU_CYCLE_1)
	s_or_b32 exec_lo, exec_lo, s9
	ds_bpermute_b32 v5, v5, v3
	s_wait_dscnt 0x0
	v_add_f32_e32 v3, v3, v5
	ds_bpermute_b32 v5, v6, v3
	s_wait_dscnt 0x0
	v_add_f32_e32 v3, v3, v5
	;; [unrolled: 3-line block ×5, first 2 shown]
	s_and_saveexec_b32 s3, vcc_lo
; %bb.349:
	ds_store_b32 v8, v3 offset:176
; %bb.350:
	s_or_b32 exec_lo, exec_lo, s3
	s_wait_dscnt 0x0
	s_barrier_signal -1
	s_barrier_wait -1
	s_and_saveexec_b32 s3, s0
; %bb.351:
	ds_load_b32 v3, v9 offset:176
; %bb.352:
	s_or_b32 exec_lo, exec_lo, s3
	s_wait_dscnt 0x0
	ds_bpermute_b32 v4, v4, v3
	s_wait_dscnt 0x0
	v_dual_mov_b32 v5, 0 :: v_dual_add_f32 v3, v3, v4
	ds_bpermute_b32 v4, v29, v3
	s_wait_dscnt 0x0
	v_add_f32_e32 v3, v3, v4
	ds_bpermute_b32 v3, v5, v3
	s_and_saveexec_b32 s0, s1
	s_cbranch_execz .LBB254_365
; %bb.353:
	s_wait_dscnt 0x0
	v_add_f32_e32 v3, 0x358637bd, v3
	s_mov_b32 s3, -1
	s_mov_b32 s1, exec_lo
	s_delay_alu instid0(VALU_DEP_1) | instskip(NEXT) | instid1(VALU_DEP_1)
	v_div_scale_f32 v4, null, v3, v3, 1.0
	v_rcp_f32_e32 v6, v4
	v_nop
	s_delay_alu instid0(TRANS32_DEP_1) | instskip(NEXT) | instid1(VALU_DEP_1)
	v_fma_f32 v7, -v4, v6, 1.0
	v_fmac_f32_e32 v6, v7, v6
	v_div_scale_f32 v8, vcc_lo, 1.0, v3, 1.0
	s_delay_alu instid0(VALU_DEP_1) | instskip(NEXT) | instid1(VALU_DEP_1)
	v_mul_f32_e32 v7, v8, v6
	v_fma_f32 v9, -v4, v7, v8
	s_delay_alu instid0(VALU_DEP_1) | instskip(NEXT) | instid1(VALU_DEP_1)
	v_fmac_f32_e32 v7, v9, v6
	v_fma_f32 v8, -v4, v7, v8
	v_xad_u32 v4, v0, -1, s8
	s_delay_alu instid0(VALU_DEP_2) | instskip(NEXT) | instid1(VALU_DEP_1)
	v_div_fmas_f32 v6, v8, v6, v7
	v_div_fixup_f32 v6, v6, v3, 1.0
	v_mov_b32_e32 v3, v0
	s_delay_alu instid0(VALU_DEP_4)
	v_cmpx_lt_u32_e32 0x7f, v4
	s_cbranch_execz .LBB254_362
; %bb.354:
	s_delay_alu instid0(VALU_DEP_3) | instskip(NEXT) | instid1(VALU_DEP_1)
	v_dual_lshrrev_b32 v3, 7, v4 :: v_dual_mov_b32 v7, v6
	v_dual_mov_b32 v10, 0 :: v_dual_add_nc_u32 v4, -1, v3
	s_delay_alu instid0(VALU_DEP_1) | instskip(SKIP_1) | instid1(VALU_DEP_2)
	v_lshrrev_b32_e32 v8, 1, v4
	v_cmp_lt_u32_e32 vcc_lo, 13, v4
	v_add_nc_u32_e32 v4, 1, v8
	s_and_saveexec_b32 s3, vcc_lo
	s_cbranch_execz .LBB254_358
; %bb.355:
	s_delay_alu instid0(VALU_DEP_1)
	v_and_b32_e32 v8, -8, v4
	v_lshl_add_u32 v9, v0, 2, 0xc0
	s_mov_b32 s9, 0
	s_mov_b32 s19, 0
.LBB254_356:                            ; =>This Inner Loop Header: Depth=1
	ds_load_2addr_stride64_b32 v[10:11], v9 offset1:2
	ds_load_2addr_stride64_b32 v[12:13], v9 offset0:4 offset1:6
	ds_load_2addr_stride64_b32 v[14:15], v9 offset0:8 offset1:10
	;; [unrolled: 1-line block ×7, first 2 shown]
	s_add_co_i32 s19, s19, 16
	v_add_nc_u32_e32 v8, -8, v8
	s_wait_dscnt 0x7
	v_pk_mul_f32 v[10:11], v[6:7], v[10:11]
	s_wait_dscnt 0x6
	v_pk_mul_f32 v[12:13], v[6:7], v[12:13]
	s_wait_dscnt 0x5
	v_pk_mul_f32 v[14:15], v[6:7], v[14:15]
	s_wait_dscnt 0x4
	v_pk_mul_f32 v[16:17], v[6:7], v[16:17]
	s_wait_dscnt 0x3
	v_pk_mul_f32 v[18:19], v[6:7], v[18:19]
	s_wait_dscnt 0x2
	v_pk_mul_f32 v[20:21], v[6:7], v[20:21]
	s_wait_dscnt 0x1
	v_pk_mul_f32 v[22:23], v[6:7], v[22:23]
	s_wait_dscnt 0x0
	v_pk_mul_f32 v[30:31], v[6:7], v[30:31]
	ds_store_2addr_stride64_b32 v9, v10, v11 offset1:2
	ds_store_2addr_stride64_b32 v9, v12, v13 offset0:4 offset1:6
	ds_store_2addr_stride64_b32 v9, v14, v15 offset0:8 offset1:10
	ds_store_2addr_stride64_b32 v9, v16, v17 offset0:12 offset1:14
	ds_store_2addr_stride64_b32 v9, v18, v19 offset0:16 offset1:18
	ds_store_2addr_stride64_b32 v9, v20, v21 offset0:20 offset1:22
	ds_store_2addr_stride64_b32 v9, v22, v23 offset0:24 offset1:26
	ds_store_2addr_stride64_b32 v9, v30, v31 offset0:28 offset1:30
	v_mov_b32_e32 v10, s19
	v_cmp_eq_u32_e32 vcc_lo, 0, v8
	v_add_nc_u32_e32 v9, 0x2000, v9
	s_or_b32 s9, vcc_lo, s9
	s_delay_alu instid0(SALU_CYCLE_1)
	s_and_not1_b32 exec_lo, exec_lo, s9
	s_cbranch_execnz .LBB254_356
; %bb.357:
	s_or_b32 exec_lo, exec_lo, s9
.LBB254_358:
	s_delay_alu instid0(SALU_CYCLE_1) | instskip(NEXT) | instid1(VALU_DEP_1)
	s_or_b32 exec_lo, exec_lo, s3
	v_and_b32_e32 v4, 7, v4
	s_mov_b32 s9, 0
	s_mov_b32 s3, exec_lo
	s_delay_alu instid0(VALU_DEP_1)
	v_cmpx_ne_u32_e32 0, v4
	s_cbranch_execz .LBB254_361
; %bb.359:
	v_dual_lshlrev_b32 v8, 9, v10 :: v_dual_lshlrev_b32 v9, 2, v0
	s_delay_alu instid0(VALU_DEP_1)
	v_add3_u32 v8, v8, v9, 0xc0
.LBB254_360:                            ; =>This Inner Loop Header: Depth=1
	ds_load_2addr_stride64_b32 v[10:11], v8 offset1:2
	v_add_nc_u32_e32 v4, -1, v4
	s_delay_alu instid0(VALU_DEP_1)
	v_cmp_eq_u32_e32 vcc_lo, 0, v4
	s_or_b32 s9, vcc_lo, s9
	s_wait_dscnt 0x0
	v_pk_mul_f32 v[10:11], v[6:7], v[10:11]
	ds_store_2addr_stride64_b32 v8, v10, v11 offset1:2
	v_add_nc_u32_e32 v8, 0x400, v8
	s_and_not1_b32 exec_lo, exec_lo, s9
	s_cbranch_execnz .LBB254_360
.LBB254_361:
	s_or_b32 exec_lo, exec_lo, s3
	v_add_nc_u32_e32 v3, 1, v3
	s_delay_alu instid0(VALU_DEP_1) | instskip(NEXT) | instid1(VALU_DEP_1)
	v_and_b32_e32 v4, 0x3fffffe, v3
	v_cmp_ne_u32_e32 vcc_lo, v3, v4
	v_lshl_add_u32 v3, v4, 7, v0
	s_or_not1_b32 s3, vcc_lo, exec_lo
.LBB254_362:
	s_or_b32 exec_lo, exec_lo, s1
	s_delay_alu instid0(SALU_CYCLE_1)
	s_and_b32 exec_lo, exec_lo, s3
	s_cbranch_execz .LBB254_365
; %bb.363:
	v_lshl_add_u32 v4, v3, 2, 0xc0
	s_mov_b32 s1, 0
.LBB254_364:                            ; =>This Inner Loop Header: Depth=1
	ds_load_b32 v7, v4
	v_add_nc_u32_e32 v3, 0x80, v3
	s_delay_alu instid0(VALU_DEP_1)
	v_cmp_le_i32_e32 vcc_lo, s8, v3
	s_or_b32 s1, vcc_lo, s1
	s_wait_dscnt 0x0
	v_mul_f32_e32 v7, v6, v7
	ds_store_b32 v4, v7
	v_add_nc_u32_e32 v4, 0x200, v4
	s_and_not1_b32 exec_lo, exec_lo, s1
	s_cbranch_execnz .LBB254_364
.LBB254_365:
	s_or_b32 exec_lo, exec_lo, s0
	v_dual_mov_b32 v4, 0 :: v_dual_mov_b32 v7, 0
	v_dual_mov_b32 v6, 0 :: v_dual_mov_b32 v30, 0
	s_wait_dscnt 0x0
	s_barrier_signal -1
	s_barrier_wait -1
	s_and_saveexec_b32 s1, s2
	s_cbranch_execz .LBB254_701
; %bb.366:
	s_abs_i32 s14, s14
	v_dual_lshlrev_b32 v3, 3, v0 :: v_dual_mov_b32 v9, 0
	s_cvt_f32_u32 s0, s14
	s_ashr_i32 s19, s18, 31
	s_delay_alu instid0(VALU_DEP_1) | instskip(NEXT) | instid1(SALU_CYCLE_1)
	v_dual_lshlrev_b32 v5, 5, v26 :: v_dual_bitop2_b32 v31, 8, v3 bitop3:0x40
	v_rcp_iflag_f32_e32 v4, s0
	v_and_b32_e32 v8, 0xf8, v3
	s_wait_kmcnt 0x0
	s_add_nc_u64 s[18:19], s[26:27], s[18:19]
	s_lshl_b64 s[24:25], s[24:25], 2
	s_sub_co_i32 s2, 0, s14
	v_dual_mov_b32 v30, 0 :: v_dual_mov_b32 v6, 0
	v_readfirstlane_b32 s0, v4
	v_add_nc_u64_e32 v[10:11], s[18:19], v[8:9]
	v_and_b32_e32 v8, 0x7c, v1
	v_lshl_or_b32 v4, v27, 6, v5
	s_add_nc_u64 s[18:19], s[22:23], s[24:25]
	s_mul_f32 s0, s0, 0x4f7ffffe
	v_mov_b32_e32 v33, v27
	v_add_nc_u64_e32 v[12:13], s[18:19], v[8:9]
	v_add_nc_u32_e32 v32, 0xc0, v4
	s_cvt_u32_f32 s0, s0
	v_dual_mov_b32 v7, 0 :: v_dual_mov_b32 v4, 0
	v_mov_b32_e32 v5, 0
	s_delay_alu instid0(SALU_CYCLE_1)
	s_mul_i32 s2, s2, s0
	s_mov_b32 s3, 0
	s_mul_hi_u32 s2, s0, s2
	s_sub_co_i32 s13, s36, s13
	s_add_co_i32 s28, s12, -1
	s_mov_b64 s[8:9], 0xffffffffffffff
	s_mov_b32 s18, s34
	s_add_co_i32 s2, s0, s2
	s_mov_b32 s19, s3
	s_branch .LBB254_369
.LBB254_367:                            ;   in Loop: Header=BB254_369 Depth=1
	s_or_b32 exec_lo, exec_lo, s0
	;;#ASMSTART
	v_pk_mul_f16 v8, v48, v15;

	;;#ASMEND
	;;#ASMSTART
	v_pk_mul_f16 v15, v46, v16;

	;;#ASMEND
	;; [unrolled: 4-line block ×4, first 2 shown]
	;;#ASMSTART
	v_pk_add_f16 v8, v8, v15;

	;;#ASMEND
	;;#ASMSTART
	v_pk_add_f16 v3, v8, v3;

	;;#ASMEND
	;; [unrolled: 4-line block ×3, first 2 shown]
	v_and_b32_e32 v15, 0xffff, v3
	v_dual_lshrrev_b32 v16, 16, v3 :: v_dual_add_f32 v14, v47, v49
	;;#ASMSTART
	v_cvt_f32_f16 v15, v15;
	;;#ASMEND
	v_dual_add_f32 v1, v42, v43 :: v_dual_add_f32 v3, v52, v53
	;;#ASMSTART
	v_cvt_f32_f16 v16, v16;
	;;#ASMEND
	s_delay_alu instid0(VALU_DEP_2) | instskip(NEXT) | instid1(VALU_DEP_2)
	v_dual_add_f32 v8, v50, v51 :: v_dual_add_f32 v15, v15, v16
	v_dual_add_f32 v5, v5, v1 :: v_dual_add_f32 v4, v4, v3
	s_delay_alu instid0(VALU_DEP_2) | instskip(NEXT) | instid1(VALU_DEP_3)
	v_dual_add_f32 v6, v6, v14 :: v_dual_add_f32 v7, v7, v8
	v_add_f32_e32 v30, v30, v15
.LBB254_368:                            ;   in Loop: Header=BB254_369 Depth=1
	s_or_b32 exec_lo, exec_lo, s22
	v_dual_add_nc_u32 v33, 4, v33 :: v_dual_add_nc_u32 v2, 64, v2
	v_add_nc_u64_e32 v[12:13], 16, v[12:13]
	v_add_nc_u32_e32 v32, 0x100, v32
	s_delay_alu instid0(VALU_DEP_3) | instskip(SKIP_1) | instid1(SALU_CYCLE_1)
	v_cmp_le_i32_e32 vcc_lo, s12, v33
	s_or_b32 s19, vcc_lo, s19
	s_and_not1_b32 exec_lo, exec_lo, s19
	s_cbranch_execz .LBB254_700
.LBB254_369:                            ; =>This Inner Loop Header: Depth=1
	v_mov_b32_e32 v3, v9
	s_delay_alu instid0(VALU_DEP_1) | instskip(NEXT) | instid1(VALU_DEP_1)
	v_mul_u64_e32 v[14:15], s[20:21], v[2:3]
	v_mul_lo_u32 v1, v15, s16
	s_delay_alu instid0(VALU_DEP_1) | instskip(NEXT) | instid1(VALU_DEP_1)
	v_sub_nc_u32_e32 v1, v2, v1
	v_subrev_nc_u32_e32 v8, s16, v1
	v_cmp_le_u32_e32 vcc_lo, s16, v1
	s_delay_alu instid0(VALU_DEP_2) | instskip(NEXT) | instid1(VALU_DEP_1)
	v_dual_add_nc_u32 v3, 1, v15 :: v_dual_cndmask_b32 v1, v1, v8, vcc_lo
	v_cndmask_b32_e32 v3, v15, v3, vcc_lo
	s_delay_alu instid0(VALU_DEP_2) | instskip(NEXT) | instid1(VALU_DEP_2)
	v_cmp_le_u32_e32 vcc_lo, s16, v1
	v_add_nc_u32_e32 v8, 1, v3
	s_delay_alu instid0(VALU_DEP_1) | instskip(NEXT) | instid1(VALU_DEP_1)
	v_cndmask_b32_e32 v1, v3, v8, vcc_lo
	v_xor_b32_e32 v1, s15, v1
	s_delay_alu instid0(VALU_DEP_1) | instskip(NEXT) | instid1(VALU_DEP_1)
	v_subrev_nc_u32_e32 v1, s15, v1
	v_add_nc_u32_e32 v3, s35, v1
	v_cmp_lt_i32_e64 s0, s13, v1
	s_delay_alu instid0(VALU_DEP_2) | instskip(NEXT) | instid1(VALU_DEP_1)
	v_sub_nc_u32_e32 v8, 0, v3
	v_dual_ashrrev_i32 v3, 31, v3 :: v_dual_max_i32 v8, v3, v8
	s_delay_alu instid0(VALU_DEP_1) | instskip(NEXT) | instid1(VALU_DEP_1)
	v_mul_u64_e32 v[14:15], s[2:3], v[8:9]
	v_mul_lo_u32 v14, v15, s14
	s_delay_alu instid0(VALU_DEP_1) | instskip(NEXT) | instid1(VALU_DEP_1)
	v_sub_nc_u32_e32 v8, v8, v14
	v_subrev_nc_u32_e32 v14, s14, v8
	v_cmp_le_u32_e32 vcc_lo, s14, v8
	s_delay_alu instid0(VALU_DEP_2) | instskip(NEXT) | instid1(VALU_DEP_1)
	v_cndmask_b32_e32 v8, v8, v14, vcc_lo
	v_subrev_nc_u32_e32 v14, s14, v8
	v_cmp_le_u32_e32 vcc_lo, s14, v8
	s_delay_alu instid0(VALU_DEP_2) | instskip(NEXT) | instid1(VALU_DEP_1)
	v_cndmask_b32_e32 v8, v8, v14, vcc_lo
	v_xor_b32_e32 v8, v8, v3
	s_delay_alu instid0(VALU_DEP_1) | instskip(NEXT) | instid1(VALU_DEP_1)
	v_sub_nc_u32_e32 v3, v8, v3
	v_cmp_eq_u32_e32 vcc_lo, 0, v3
	s_or_b32 s0, vcc_lo, s0
	s_delay_alu instid0(SALU_CYCLE_1)
	s_and_saveexec_b32 s22, s0
	s_cbranch_execz .LBB254_368
; %bb.370:                              ;   in Loop: Header=BB254_369 Depth=1
	global_load_b32 v1, v[12:13], off
	ds_load_2addr_b64 v[16:19], v32 offset1:1
	ds_load_2addr_b64 v[20:23], v32 offset0:2 offset1:3
	s_mov_b32 s0, exec_lo
	s_wait_dscnt 0x1
	;;#ASMSTART
	v_cvt_f16_f32 v45, v16;

	;;#ASMEND
	;;#ASMSTART
	v_cvt_f16_f32 v42, v17;

	;;#ASMEND
	;;#ASMSTART
	v_cvt_f16_f32 v46, v18;

	;;#ASMEND
	;;#ASMSTART
	v_cvt_f16_f32 v43, v19;

	;;#ASMEND
	s_wait_dscnt 0x0
	;;#ASMSTART
	v_cvt_f16_f32 v48, v20;

	;;#ASMEND
	;;#ASMSTART
	v_cvt_f16_f32 v44, v21;

	;;#ASMEND
	;;#ASMSTART
	v_cvt_f16_f32 v49, v22;

	;;#ASMEND
	;;#ASMSTART
	v_cvt_f16_f32 v47, v23;

	;;#ASMEND
	v_mov_b32_e32 v3, 0
	s_wait_loadcnt 0x0
	v_mad_nc_i64_i32 v[14:15], v1, s17, v[10:11]
	v_mov_b32_e32 v1, 0
	global_load_b32 v16, v1, s[10:11]
	global_load_b64 v[18:19], v[14:15], off
	s_wait_loadcnt 0x0
	v_and_b32_e32 v8, 0xff, v18
	s_delay_alu instid0(VALU_DEP_1)
	v_cmpx_ne_u16_e32 0, v8
	s_cbranch_execz .LBB254_378
; %bb.371:                              ;   in Loop: Header=BB254_369 Depth=1
	v_mov_b32_e32 v3, 0x8000
	s_mov_b32 s23, exec_lo
	v_cmpx_ne_u16_e32 0x80, v8
	s_cbranch_execz .LBB254_377
; %bb.372:                              ;   in Loop: Header=BB254_369 Depth=1
	v_and_b32_e32 v17, 0x7f, v18
	v_mov_b32_e32 v3, 0x7c01
	s_mov_b32 s24, exec_lo
	s_delay_alu instid0(VALU_DEP_2)
	v_cmpx_ne_u32_e32 0x7f, v17
	s_cbranch_execz .LBB254_376
; %bb.373:                              ;   in Loop: Header=BB254_369 Depth=1
	v_dual_lshrrev_b32 v8, 3, v17 :: v_dual_bitop2_b32 v3, 7, v18 bitop3:0x40
	s_mov_b32 s25, exec_lo
	v_cmpx_gt_u32_e32 8, v17
; %bb.374:                              ;   in Loop: Header=BB254_369 Depth=1
	s_delay_alu instid0(VALU_DEP_2) | instskip(NEXT) | instid1(VALU_DEP_1)
	v_clz_i32_u32_e32 v3, v3
	v_min_u32_e32 v3, 32, v3
	s_delay_alu instid0(VALU_DEP_1) | instskip(NEXT) | instid1(VALU_DEP_1)
	v_subrev_nc_u32_e32 v8, 28, v3
	v_lshlrev_b64_e32 v[20:21], v8, v[18:19]
	s_delay_alu instid0(VALU_DEP_1)
	v_dual_sub_nc_u32 v8, 29, v3 :: v_dual_bitop2_b32 v3, 7, v20 bitop3:0x40
; %bb.375:                              ;   in Loop: Header=BB254_369 Depth=1
	s_or_b32 exec_lo, exec_lo, s25
	s_delay_alu instid0(VALU_DEP_1) | instskip(NEXT) | instid1(VALU_DEP_2)
	v_dual_lshlrev_b32 v17, 8, v18 :: v_dual_lshlrev_b32 v3, 7, v3
	v_lshl_add_u32 v8, v8, 10, 0x2000
	s_delay_alu instid0(VALU_DEP_2) | instskip(NEXT) | instid1(VALU_DEP_2)
	v_and_b32_e32 v17, 0x8000, v17
	v_and_b32_e32 v8, 0xfc00, v8
	s_delay_alu instid0(VALU_DEP_1)
	v_or3_b32 v3, v17, v8, v3
.LBB254_376:                            ;   in Loop: Header=BB254_369 Depth=1
	s_or_b32 exec_lo, exec_lo, s24
.LBB254_377:                            ;   in Loop: Header=BB254_369 Depth=1
	s_delay_alu instid0(SALU_CYCLE_1)
	s_or_b32 exec_lo, exec_lo, s23
.LBB254_378:                            ;   in Loop: Header=BB254_369 Depth=1
	s_delay_alu instid0(SALU_CYCLE_1) | instskip(SKIP_2) | instid1(VALU_DEP_1)
	s_or_b32 exec_lo, exec_lo, s0
	v_lshrrev_b16 v8, 8, v18
	s_mov_b32 s0, exec_lo
	v_cmpx_ne_u16_e32 0, v8
	s_cbranch_execz .LBB254_386
; %bb.379:                              ;   in Loop: Header=BB254_369 Depth=1
	v_bfrev_b32_e32 v1, 1
	s_mov_b32 s23, exec_lo
	v_cmpx_ne_u16_e32 0x80, v8
	s_cbranch_execz .LBB254_385
; %bb.380:                              ;   in Loop: Header=BB254_369 Depth=1
	v_and_b32_e32 v17, 0xffff, v8
	v_mov_b32_e32 v1, 0x7c010000
	s_mov_b32 s24, exec_lo
	s_delay_alu instid0(VALU_DEP_2) | instskip(NEXT) | instid1(VALU_DEP_1)
	v_and_b32_e32 v21, 0x7f, v17
	v_cmpx_ne_u32_e32 0x7f, v21
	s_cbranch_execz .LBB254_384
; %bb.381:                              ;   in Loop: Header=BB254_369 Depth=1
	v_and_b32_e32 v1, 7, v17
	v_lshrrev_b32_e32 v20, 3, v21
	s_mov_b32 s25, exec_lo
	v_cmpx_gt_u32_e32 8, v21
; %bb.382:                              ;   in Loop: Header=BB254_369 Depth=1
	s_delay_alu instid0(VALU_DEP_3) | instskip(NEXT) | instid1(VALU_DEP_1)
	v_clz_i32_u32_e32 v1, v1
	v_min_u32_e32 v1, 32, v1
	s_delay_alu instid0(VALU_DEP_1) | instskip(NEXT) | instid1(VALU_DEP_1)
	v_subrev_nc_u32_e32 v20, 28, v1
	v_lshlrev_b64_e32 v[22:23], v20, v[8:9]
	s_delay_alu instid0(VALU_DEP_1)
	v_dual_sub_nc_u32 v20, 29, v1 :: v_dual_bitop2_b32 v1, 7, v22 bitop3:0x40
; %bb.383:                              ;   in Loop: Header=BB254_369 Depth=1
	s_or_b32 exec_lo, exec_lo, s25
	v_lshlrev_b32_e32 v8, 8, v17
	s_delay_alu instid0(VALU_DEP_2) | instskip(NEXT) | instid1(VALU_DEP_3)
	v_lshl_add_u32 v17, v20, 10, 0x2000
	v_lshlrev_b32_e32 v1, 23, v1
	s_delay_alu instid0(VALU_DEP_2) | instskip(NEXT) | instid1(VALU_DEP_1)
	v_and_or_b32 v8, 0x8000, v8, v17
	v_lshl_or_b32 v1, v8, 16, v1
.LBB254_384:                            ;   in Loop: Header=BB254_369 Depth=1
	s_or_b32 exec_lo, exec_lo, s24
.LBB254_385:                            ;   in Loop: Header=BB254_369 Depth=1
	s_delay_alu instid0(SALU_CYCLE_1)
	s_or_b32 exec_lo, exec_lo, s23
.LBB254_386:                            ;   in Loop: Header=BB254_369 Depth=1
	s_delay_alu instid0(SALU_CYCLE_1) | instskip(SKIP_3) | instid1(VALU_DEP_2)
	s_or_b32 exec_lo, exec_lo, s0
	v_dual_mov_b32 v17, 0 :: v_dual_lshrrev_b32 v8, 16, v18
	v_mov_b32_e32 v20, 0
	s_mov_b32 s0, exec_lo
	v_and_b32_e32 v21, 0xff, v8
	s_delay_alu instid0(VALU_DEP_1)
	v_cmpx_ne_u16_e32 0, v21
	s_cbranch_execz .LBB254_394
; %bb.387:                              ;   in Loop: Header=BB254_369 Depth=1
	v_mov_b32_e32 v20, 0x8000
	s_mov_b32 s23, exec_lo
	v_cmpx_ne_u16_e32 0x80, v21
	s_cbranch_execz .LBB254_393
; %bb.388:                              ;   in Loop: Header=BB254_369 Depth=1
	v_bfe_u32 v22, v18, 16, 7
	v_mov_b32_e32 v20, 0x7c01
	s_mov_b32 s24, exec_lo
	s_delay_alu instid0(VALU_DEP_2)
	v_cmpx_ne_u32_e32 0x7f, v22
	s_cbranch_execz .LBB254_392
; %bb.389:                              ;   in Loop: Header=BB254_369 Depth=1
	v_dual_lshrrev_b32 v21, 3, v22 :: v_dual_bitop2_b32 v20, 7, v8 bitop3:0x40
	s_mov_b32 s25, exec_lo
	v_cmpx_gt_u32_e32 8, v22
; %bb.390:                              ;   in Loop: Header=BB254_369 Depth=1
	s_delay_alu instid0(VALU_DEP_2) | instskip(NEXT) | instid1(VALU_DEP_1)
	v_clz_i32_u32_e32 v20, v20
	v_min_u32_e32 v22, 32, v20
	s_delay_alu instid0(VALU_DEP_1) | instskip(NEXT) | instid1(VALU_DEP_1)
	v_subrev_nc_u32_e32 v20, 28, v22
	v_lshlrev_b64_e32 v[20:21], v20, v[8:9]
	s_delay_alu instid0(VALU_DEP_1)
	v_dual_sub_nc_u32 v21, 29, v22 :: v_dual_bitop2_b32 v20, 7, v20 bitop3:0x40
; %bb.391:                              ;   in Loop: Header=BB254_369 Depth=1
	s_or_b32 exec_lo, exec_lo, s25
	v_lshlrev_b32_e32 v8, 8, v8
	s_delay_alu instid0(VALU_DEP_2) | instskip(NEXT) | instid1(VALU_DEP_3)
	v_lshl_add_u32 v21, v21, 10, 0x2000
	v_lshlrev_b32_e32 v20, 7, v20
	s_delay_alu instid0(VALU_DEP_3) | instskip(NEXT) | instid1(VALU_DEP_3)
	v_and_b32_e32 v8, 0x8000, v8
	v_and_b32_e32 v21, 0xfc00, v21
	s_delay_alu instid0(VALU_DEP_1)
	v_or3_b32 v20, v8, v21, v20
.LBB254_392:                            ;   in Loop: Header=BB254_369 Depth=1
	s_or_b32 exec_lo, exec_lo, s24
.LBB254_393:                            ;   in Loop: Header=BB254_369 Depth=1
	s_delay_alu instid0(SALU_CYCLE_1)
	s_or_b32 exec_lo, exec_lo, s23
.LBB254_394:                            ;   in Loop: Header=BB254_369 Depth=1
	s_delay_alu instid0(SALU_CYCLE_1) | instskip(NEXT) | instid1(SALU_CYCLE_1)
	s_or_b32 exec_lo, exec_lo, s0
	s_mov_b32 s0, exec_lo
	v_cmpx_lt_u32_e32 0xffffff, v18
	s_cbranch_execz .LBB254_402
; %bb.395:                              ;   in Loop: Header=BB254_369 Depth=1
	v_lshrrev_b32_e32 v8, 24, v18
	v_bfrev_b32_e32 v17, 1
	s_mov_b32 s23, exec_lo
	s_delay_alu instid0(VALU_DEP_2)
	v_cmpx_ne_u32_e32 0x80, v8
	s_cbranch_execz .LBB254_401
; %bb.396:                              ;   in Loop: Header=BB254_369 Depth=1
	v_and_b32_e32 v22, 0x7f, v8
	v_mov_b32_e32 v17, 0x7c010000
	s_mov_b32 s24, exec_lo
	s_delay_alu instid0(VALU_DEP_2)
	v_cmpx_ne_u32_e32 0x7f, v22
	s_cbranch_execz .LBB254_400
; %bb.397:                              ;   in Loop: Header=BB254_369 Depth=1
	v_dual_lshrrev_b32 v21, 3, v22 :: v_dual_bitop2_b32 v17, 7, v8 bitop3:0x40
	s_mov_b32 s25, exec_lo
	v_cmpx_gt_u32_e32 8, v22
; %bb.398:                              ;   in Loop: Header=BB254_369 Depth=1
	s_delay_alu instid0(VALU_DEP_2) | instskip(NEXT) | instid1(VALU_DEP_1)
	v_clz_i32_u32_e32 v17, v17
	v_min_u32_e32 v17, 32, v17
	s_delay_alu instid0(VALU_DEP_1) | instskip(NEXT) | instid1(VALU_DEP_1)
	v_subrev_nc_u32_e32 v21, 28, v17
	v_lshlrev_b64_e32 v[22:23], v21, v[8:9]
	s_delay_alu instid0(VALU_DEP_1)
	v_dual_sub_nc_u32 v21, 29, v17 :: v_dual_bitop2_b32 v17, 7, v22 bitop3:0x40
; %bb.399:                              ;   in Loop: Header=BB254_369 Depth=1
	s_or_b32 exec_lo, exec_lo, s25
	s_delay_alu instid0(VALU_DEP_1) | instskip(NEXT) | instid1(VALU_DEP_2)
	v_dual_lshlrev_b32 v8, 8, v8 :: v_dual_lshlrev_b32 v17, 23, v17
	v_lshl_add_u32 v21, v21, 10, 0x2000
	s_delay_alu instid0(VALU_DEP_1) | instskip(NEXT) | instid1(VALU_DEP_1)
	v_and_or_b32 v8, 0x8000, v8, v21
	v_lshl_or_b32 v17, v8, 16, v17
.LBB254_400:                            ;   in Loop: Header=BB254_369 Depth=1
	s_or_b32 exec_lo, exec_lo, s24
.LBB254_401:                            ;   in Loop: Header=BB254_369 Depth=1
	s_delay_alu instid0(SALU_CYCLE_1)
	s_or_b32 exec_lo, exec_lo, s23
.LBB254_402:                            ;   in Loop: Header=BB254_369 Depth=1
	s_delay_alu instid0(SALU_CYCLE_1) | instskip(SKIP_4) | instid1(VALU_DEP_3)
	s_or_b32 exec_lo, exec_lo, s0
	v_and_b32_e32 v23, 0xff, v19
	v_dual_mov_b32 v8, v19 :: v_dual_mov_b32 v22, 0
	v_mov_b32_e32 v21, 0
	s_mov_b32 s0, exec_lo
	v_cmpx_ne_u16_e32 0, v23
	s_cbranch_execz .LBB254_410
; %bb.403:                              ;   in Loop: Header=BB254_369 Depth=1
	v_mov_b32_e32 v21, 0x8000
	s_mov_b32 s23, exec_lo
	v_cmpx_ne_u16_e32 0x80, v23
	s_cbranch_execz .LBB254_409
; %bb.404:                              ;   in Loop: Header=BB254_369 Depth=1
	v_and_b32_e32 v24, 0x7f, v19
	v_mov_b32_e32 v21, 0x7c01
	s_mov_b32 s24, exec_lo
	s_delay_alu instid0(VALU_DEP_2)
	v_cmpx_ne_u32_e32 0x7f, v24
	s_cbranch_execz .LBB254_408
; %bb.405:                              ;   in Loop: Header=BB254_369 Depth=1
	v_dual_lshrrev_b32 v23, 3, v24 :: v_dual_bitop2_b32 v21, 7, v19 bitop3:0x40
	s_mov_b32 s25, exec_lo
	v_cmpx_gt_u32_e32 8, v24
; %bb.406:                              ;   in Loop: Header=BB254_369 Depth=1
	s_delay_alu instid0(VALU_DEP_2) | instskip(NEXT) | instid1(VALU_DEP_1)
	v_clz_i32_u32_e32 v21, v21
	v_min_u32_e32 v21, 32, v21
	s_delay_alu instid0(VALU_DEP_1) | instskip(NEXT) | instid1(VALU_DEP_1)
	v_subrev_nc_u32_e32 v23, 28, v21
	v_lshlrev_b64_e32 v[34:35], v23, v[8:9]
	s_delay_alu instid0(VALU_DEP_1)
	v_dual_sub_nc_u32 v23, 29, v21 :: v_dual_bitop2_b32 v21, 7, v34 bitop3:0x40
; %bb.407:                              ;   in Loop: Header=BB254_369 Depth=1
	s_or_b32 exec_lo, exec_lo, s25
	s_delay_alu instid0(VALU_DEP_1) | instskip(NEXT) | instid1(VALU_DEP_2)
	v_dual_lshlrev_b32 v24, 8, v19 :: v_dual_lshlrev_b32 v21, 7, v21
	v_lshl_add_u32 v23, v23, 10, 0x2000
	s_delay_alu instid0(VALU_DEP_2) | instskip(NEXT) | instid1(VALU_DEP_2)
	v_and_b32_e32 v24, 0x8000, v24
	v_and_b32_e32 v23, 0xfc00, v23
	s_delay_alu instid0(VALU_DEP_1)
	v_or3_b32 v21, v24, v23, v21
.LBB254_408:                            ;   in Loop: Header=BB254_369 Depth=1
	s_or_b32 exec_lo, exec_lo, s24
.LBB254_409:                            ;   in Loop: Header=BB254_369 Depth=1
	s_delay_alu instid0(SALU_CYCLE_1)
	s_or_b32 exec_lo, exec_lo, s23
.LBB254_410:                            ;   in Loop: Header=BB254_369 Depth=1
	s_delay_alu instid0(SALU_CYCLE_1) | instskip(SKIP_3) | instid1(VALU_DEP_2)
	s_or_b32 exec_lo, exec_lo, s0
	v_lshrrev_b16 v8, 8, v8
	v_mov_b32_e32 v23, 0
	s_mov_b32 s0, exec_lo
	v_cmpx_ne_u16_e32 0, v8
	s_cbranch_execz .LBB254_418
; %bb.411:                              ;   in Loop: Header=BB254_369 Depth=1
	v_bfrev_b32_e32 v23, 1
	s_mov_b32 s23, exec_lo
	v_cmpx_ne_u16_e32 0x80, v8
	s_cbranch_execz .LBB254_417
; %bb.412:                              ;   in Loop: Header=BB254_369 Depth=1
	v_and_b32_e32 v24, 0xffff, v8
	v_mov_b32_e32 v23, 0x7c010000
	s_mov_b32 s24, exec_lo
	s_delay_alu instid0(VALU_DEP_2) | instskip(NEXT) | instid1(VALU_DEP_1)
	v_and_b32_e32 v35, 0x7f, v24
	v_cmpx_ne_u32_e32 0x7f, v35
	s_cbranch_execz .LBB254_416
; %bb.413:                              ;   in Loop: Header=BB254_369 Depth=1
	v_dual_lshrrev_b32 v34, 3, v35 :: v_dual_bitop2_b32 v23, 7, v24 bitop3:0x40
	s_mov_b32 s25, exec_lo
	v_cmpx_gt_u32_e32 8, v35
; %bb.414:                              ;   in Loop: Header=BB254_369 Depth=1
	s_delay_alu instid0(VALU_DEP_2) | instskip(NEXT) | instid1(VALU_DEP_1)
	v_clz_i32_u32_e32 v23, v23
	v_min_u32_e32 v23, 32, v23
	s_delay_alu instid0(VALU_DEP_1) | instskip(NEXT) | instid1(VALU_DEP_1)
	v_subrev_nc_u32_e32 v34, 28, v23
	v_lshlrev_b64_e32 v[36:37], v34, v[8:9]
	s_delay_alu instid0(VALU_DEP_1)
	v_dual_sub_nc_u32 v34, 29, v23 :: v_dual_bitop2_b32 v23, 7, v36 bitop3:0x40
; %bb.415:                              ;   in Loop: Header=BB254_369 Depth=1
	s_or_b32 exec_lo, exec_lo, s25
	s_delay_alu instid0(VALU_DEP_1) | instskip(NEXT) | instid1(VALU_DEP_2)
	v_dual_lshlrev_b32 v8, 8, v24 :: v_dual_lshlrev_b32 v23, 23, v23
	v_lshl_add_u32 v24, v34, 10, 0x2000
	s_delay_alu instid0(VALU_DEP_1) | instskip(NEXT) | instid1(VALU_DEP_1)
	v_and_or_b32 v8, 0x8000, v8, v24
	v_lshl_or_b32 v23, v8, 16, v23
.LBB254_416:                            ;   in Loop: Header=BB254_369 Depth=1
	s_or_b32 exec_lo, exec_lo, s24
.LBB254_417:                            ;   in Loop: Header=BB254_369 Depth=1
	s_delay_alu instid0(SALU_CYCLE_1)
	s_or_b32 exec_lo, exec_lo, s23
.LBB254_418:                            ;   in Loop: Header=BB254_369 Depth=1
	s_delay_alu instid0(SALU_CYCLE_1) | instskip(SKIP_2) | instid1(VALU_DEP_1)
	s_or_b32 exec_lo, exec_lo, s0
	v_lshrrev_b32_e32 v8, 16, v19
	s_mov_b32 s0, exec_lo
	v_and_b32_e32 v24, 0xff, v8
	s_delay_alu instid0(VALU_DEP_1)
	v_cmpx_ne_u16_e32 0, v24
	s_cbranch_execz .LBB254_426
; %bb.419:                              ;   in Loop: Header=BB254_369 Depth=1
	v_mov_b32_e32 v22, 0x8000
	s_mov_b32 s23, exec_lo
	v_cmpx_ne_u16_e32 0x80, v24
	s_cbranch_execz .LBB254_425
; %bb.420:                              ;   in Loop: Header=BB254_369 Depth=1
	v_bfe_u32 v34, v19, 16, 7
	v_mov_b32_e32 v22, 0x7c01
	s_mov_b32 s24, exec_lo
	s_delay_alu instid0(VALU_DEP_2)
	v_cmpx_ne_u32_e32 0x7f, v34
	s_cbranch_execz .LBB254_424
; %bb.421:                              ;   in Loop: Header=BB254_369 Depth=1
	v_dual_lshrrev_b32 v24, 3, v34 :: v_dual_bitop2_b32 v22, 7, v8 bitop3:0x40
	s_mov_b32 s25, exec_lo
	v_cmpx_gt_u32_e32 8, v34
; %bb.422:                              ;   in Loop: Header=BB254_369 Depth=1
	s_delay_alu instid0(VALU_DEP_2) | instskip(NEXT) | instid1(VALU_DEP_1)
	v_clz_i32_u32_e32 v22, v22
	v_min_u32_e32 v22, 32, v22
	s_delay_alu instid0(VALU_DEP_1) | instskip(NEXT) | instid1(VALU_DEP_1)
	v_subrev_nc_u32_e32 v24, 28, v22
	v_lshlrev_b64_e32 v[34:35], v24, v[8:9]
	v_sub_nc_u32_e32 v24, 29, v22
	s_delay_alu instid0(VALU_DEP_2)
	v_and_b32_e32 v22, 7, v34
; %bb.423:                              ;   in Loop: Header=BB254_369 Depth=1
	s_or_b32 exec_lo, exec_lo, s25
	s_delay_alu instid0(VALU_DEP_1) | instskip(NEXT) | instid1(VALU_DEP_3)
	v_dual_lshlrev_b32 v8, 8, v8 :: v_dual_lshlrev_b32 v22, 7, v22
	v_lshl_add_u32 v24, v24, 10, 0x2000
	s_delay_alu instid0(VALU_DEP_2) | instskip(NEXT) | instid1(VALU_DEP_2)
	v_and_b32_e32 v8, 0x8000, v8
	v_and_b32_e32 v24, 0xfc00, v24
	s_delay_alu instid0(VALU_DEP_1)
	v_or3_b32 v22, v8, v24, v22
.LBB254_424:                            ;   in Loop: Header=BB254_369 Depth=1
	s_or_b32 exec_lo, exec_lo, s24
.LBB254_425:                            ;   in Loop: Header=BB254_369 Depth=1
	s_delay_alu instid0(SALU_CYCLE_1)
	s_or_b32 exec_lo, exec_lo, s23
.LBB254_426:                            ;   in Loop: Header=BB254_369 Depth=1
	s_delay_alu instid0(SALU_CYCLE_1)
	s_or_b32 exec_lo, exec_lo, s0
	v_cmp_lt_u64_e32 vcc_lo, s[8:9], v[18:19]
	v_mov_b32_e32 v18, 0
	s_and_saveexec_b32 s0, vcc_lo
	s_cbranch_execz .LBB254_434
; %bb.427:                              ;   in Loop: Header=BB254_369 Depth=1
	v_lshrrev_b32_e32 v8, 24, v19
	v_bfrev_b32_e32 v18, 1
	s_mov_b32 s23, exec_lo
	s_delay_alu instid0(VALU_DEP_2)
	v_cmpx_ne_u32_e32 0x80, v8
	s_cbranch_execz .LBB254_433
; %bb.428:                              ;   in Loop: Header=BB254_369 Depth=1
	v_and_b32_e32 v24, 0x7f, v8
	v_mov_b32_e32 v18, 0x7c010000
	s_mov_b32 s24, exec_lo
	s_delay_alu instid0(VALU_DEP_2)
	v_cmpx_ne_u32_e32 0x7f, v24
	s_cbranch_execz .LBB254_432
; %bb.429:                              ;   in Loop: Header=BB254_369 Depth=1
	v_and_b32_e32 v18, 7, v8
	v_lshrrev_b32_e32 v19, 3, v24
	s_mov_b32 s25, exec_lo
	v_cmpx_gt_u32_e32 8, v24
; %bb.430:                              ;   in Loop: Header=BB254_369 Depth=1
	s_delay_alu instid0(VALU_DEP_3) | instskip(NEXT) | instid1(VALU_DEP_1)
	v_clz_i32_u32_e32 v18, v18
	v_min_u32_e32 v24, 32, v18
	s_delay_alu instid0(VALU_DEP_1) | instskip(NEXT) | instid1(VALU_DEP_1)
	v_subrev_nc_u32_e32 v18, 28, v24
	v_lshlrev_b64_e32 v[18:19], v18, v[8:9]
	s_delay_alu instid0(VALU_DEP_1)
	v_dual_sub_nc_u32 v19, 29, v24 :: v_dual_bitop2_b32 v18, 7, v18 bitop3:0x40
; %bb.431:                              ;   in Loop: Header=BB254_369 Depth=1
	s_or_b32 exec_lo, exec_lo, s25
	s_delay_alu instid0(VALU_DEP_1) | instskip(NEXT) | instid1(VALU_DEP_2)
	v_dual_lshlrev_b32 v8, 8, v8 :: v_dual_lshlrev_b32 v18, 23, v18
	v_lshl_add_u32 v19, v19, 10, 0x2000
	s_delay_alu instid0(VALU_DEP_1) | instskip(NEXT) | instid1(VALU_DEP_1)
	v_and_or_b32 v8, 0x8000, v8, v19
	v_lshl_or_b32 v18, v8, 16, v18
.LBB254_432:                            ;   in Loop: Header=BB254_369 Depth=1
	s_or_b32 exec_lo, exec_lo, s24
.LBB254_433:                            ;   in Loop: Header=BB254_369 Depth=1
	s_delay_alu instid0(SALU_CYCLE_1)
	s_or_b32 exec_lo, exec_lo, s23
.LBB254_434:                            ;   in Loop: Header=BB254_369 Depth=1
	s_delay_alu instid0(SALU_CYCLE_1) | instskip(SKIP_3) | instid1(VALU_DEP_3)
	s_or_b32 exec_lo, exec_lo, s0
	v_dual_lshrrev_b32 v8, 16, v1 :: v_dual_bitop2_b32 v1, v1, v3 bitop3:0x54
	v_dual_lshrrev_b32 v19, 16, v17 :: v_dual_bitop2_b32 v3, v17, v20 bitop3:0x54
	v_lshrrev_b32_e32 v20, 16, v18
	v_cvt_f32_f16_e32 v35, v8
	v_dual_lshrrev_b32 v17, 16, v23 :: v_dual_bitop2_b32 v8, v18, v22 bitop3:0x54
	s_delay_alu instid0(VALU_DEP_4)
	v_cvt_f32_f16_e32 v18, v3
	v_or_b32_e32 v3, v23, v21
	v_cvt_f32_f16_e32 v34, v19
	v_cvt_f32_f16_e32 v19, v1
	;; [unrolled: 1-line block ×6, first 2 shown]
	v_pk_mul_f32 v[34:35], v[16:17], v[34:35] op_sel_hi:[0,1]
	v_pk_mul_f32 v[18:19], v[16:17], v[18:19] op_sel_hi:[0,1]
	;; [unrolled: 1-line block ×3, first 2 shown]
	v_cmp_eq_u32_e32 vcc_lo, s28, v33
	v_pk_mul_f32 v[16:17], v[16:17], v[22:23] op_sel_hi:[0,1]
	v_cvt_pk_f16_f32 v1, v34, v35
	v_cvt_pk_f16_f32 v3, v18, v19
	;; [unrolled: 1-line block ×3, first 2 shown]
	v_add_nc_u32_e32 v34, v31, v2
	v_cvt_pk_f16_f32 v16, v16, v17
	v_and_b32_e32 v21, 0xffff0000, v1
	v_dual_lshlrev_b32 v22, 16, v1 :: v_dual_lshrrev_b32 v23, 16, v3
	v_and_b32_e32 v24, 0xffff, v3
	v_and_b32_e32 v1, 0xffff0000, v8
	v_lshlrev_b32_e32 v8, 16, v8
	s_delay_alu instid0(VALU_DEP_4) | instskip(SKIP_2) | instid1(VALU_DEP_3)
	v_dual_lshrrev_b32 v19, 16, v16 :: v_dual_bitop2_b32 v17, v21, v23 bitop3:0x54
	v_and_b32_e32 v20, 0xffff, v16
	v_dual_add_nc_u32 v41, 2, v34 :: v_dual_bitop2_b32 v18, v22, v24 bitop3:0x54
	v_or_b32_e32 v3, v1, v19
	v_or_b32_e32 v40, 1, v34
	s_delay_alu instid0(VALU_DEP_4)
	v_or_b32_e32 v16, v8, v20
	v_or_b32_e32 v39, 3, v34
	;; [unrolled: 1-line block ×6, first 2 shown]
	s_and_saveexec_b32 s23, vcc_lo
	s_cbranch_execz .LBB254_436
; %bb.435:                              ;   in Loop: Header=BB254_369 Depth=1
	v_cmp_gt_i32_e64 s0, s18, v34
	s_delay_alu instid0(VALU_DEP_1) | instskip(SKIP_1) | instid1(VALU_DEP_1)
	v_cndmask_b32_e64 v3, 0, v23, s0
	v_cmp_gt_i32_e64 s0, s34, v41
	v_cndmask_b32_e64 v16, 0, v24, s0
	v_cmp_gt_i32_e64 s0, s18, v40
	s_delay_alu instid0(VALU_DEP_1) | instskip(SKIP_1) | instid1(VALU_DEP_1)
	v_cndmask_b32_e64 v17, 0, v21, s0
	v_cmp_gt_i32_e64 s0, s34, v39
	v_cndmask_b32_e64 v18, 0, v22, s0
	v_cmp_gt_i32_e64 s0, s18, v38
	s_delay_alu instid0(VALU_DEP_4) | instskip(NEXT) | instid1(VALU_DEP_2)
	v_or_b32_e32 v17, v17, v3
	v_dual_cndmask_b32 v19, 0, v19, s0 :: v_dual_bitop2_b32 v18, v18, v16 bitop3:0x54
	v_cmp_gt_i32_e64 s0, s34, v37
	s_delay_alu instid0(VALU_DEP_1) | instskip(SKIP_1) | instid1(VALU_DEP_1)
	v_cndmask_b32_e64 v20, 0, v20, s0
	v_cmp_gt_i32_e64 s0, s18, v36
	v_cndmask_b32_e64 v1, 0, v1, s0
	v_cmp_gt_i32_e64 s0, s34, v35
	s_delay_alu instid0(VALU_DEP_1) | instskip(NEXT) | instid1(VALU_DEP_1)
	v_dual_cndmask_b32 v8, 0, v8, s0 :: v_dual_bitop2_b32 v3, v1, v19 bitop3:0x54
	v_or_b32_e32 v16, v8, v20
.LBB254_436:                            ;   in Loop: Header=BB254_369 Depth=1
	s_or_b32 exec_lo, exec_lo, s23
	v_and_b32_e32 v1, 0xffff, v45
	v_and_b32_e32 v8, 0xffff, v46
	;; [unrolled: 1-line block ×4, first 2 shown]
	s_mov_b32 s23, exec_lo
	v_lshl_or_b32 v48, v42, 16, v1
	;;#ASMSTART
	v_pk_mul_f16 v1, v48, v17;

	;;#ASMEND
	v_lshl_or_b32 v46, v43, 16, v8
	v_lshl_or_b32 v45, v44, 16, v19
	v_lshl_or_b32 v44, v47, 16, v20
	;;#ASMSTART
	v_pk_mul_f16 v8, v46, v18;

	;;#ASMEND
	;;#ASMSTART
	v_pk_mul_f16 v3, v45, v3;

	;;#ASMEND
	;; [unrolled: 4-line block ×3, first 2 shown]
	;;#ASMSTART
	v_pk_add_f16 v1, v1, v8;

	;;#ASMEND
	;;#ASMSTART
	v_pk_add_f16 v1, v1, v3;

	;;#ASMEND
	;; [unrolled: 4-line block ×3, first 2 shown]
	v_and_b32_e32 v3, 0xffff, v1
	v_lshrrev_b32_e32 v1, 16, v1
	;;#ASMSTART
	v_cvt_f32_f16 v47, v3;
	;;#ASMEND
	v_mov_b32_e32 v3, 0
	;;#ASMSTART
	v_cvt_f32_f16 v49, v1;
	;;#ASMEND
	global_load_b64 v[18:19], v[14:15], off offset:256
	v_mov_b32_e32 v1, 0
	global_load_b32 v16, v1, s[10:11]
	s_wait_loadcnt 0x1
	v_and_b32_e32 v8, 0xff, v18
	s_wait_xcnt 0x0
	s_delay_alu instid0(VALU_DEP_1)
	v_cmpx_ne_u16_e32 0, v8
	s_cbranch_execz .LBB254_444
; %bb.437:                              ;   in Loop: Header=BB254_369 Depth=1
	v_mov_b32_e32 v3, 0x8000
	s_mov_b32 s24, exec_lo
	v_cmpx_ne_u16_e32 0x80, v8
	s_cbranch_execz .LBB254_443
; %bb.438:                              ;   in Loop: Header=BB254_369 Depth=1
	v_and_b32_e32 v17, 0x7f, v18
	v_mov_b32_e32 v3, 0x7c01
	s_mov_b32 s25, exec_lo
	s_delay_alu instid0(VALU_DEP_2)
	v_cmpx_ne_u32_e32 0x7f, v17
	s_cbranch_execz .LBB254_442
; %bb.439:                              ;   in Loop: Header=BB254_369 Depth=1
	v_dual_lshrrev_b32 v8, 3, v17 :: v_dual_bitop2_b32 v3, 7, v18 bitop3:0x40
	s_mov_b32 s26, exec_lo
	v_cmpx_gt_u32_e32 8, v17
; %bb.440:                              ;   in Loop: Header=BB254_369 Depth=1
	s_delay_alu instid0(VALU_DEP_2) | instskip(NEXT) | instid1(VALU_DEP_1)
	v_clz_i32_u32_e32 v3, v3
	v_min_u32_e32 v3, 32, v3
	s_delay_alu instid0(VALU_DEP_1) | instskip(NEXT) | instid1(VALU_DEP_1)
	v_subrev_nc_u32_e32 v8, 28, v3
	v_lshlrev_b64_e32 v[20:21], v8, v[18:19]
	s_delay_alu instid0(VALU_DEP_1)
	v_dual_sub_nc_u32 v8, 29, v3 :: v_dual_bitop2_b32 v3, 7, v20 bitop3:0x40
; %bb.441:                              ;   in Loop: Header=BB254_369 Depth=1
	s_or_b32 exec_lo, exec_lo, s26
	s_delay_alu instid0(VALU_DEP_1) | instskip(NEXT) | instid1(VALU_DEP_2)
	v_dual_lshlrev_b32 v17, 8, v18 :: v_dual_lshlrev_b32 v3, 7, v3
	v_lshl_add_u32 v8, v8, 10, 0x2000
	s_delay_alu instid0(VALU_DEP_2) | instskip(NEXT) | instid1(VALU_DEP_2)
	v_and_b32_e32 v17, 0x8000, v17
	v_and_b32_e32 v8, 0xfc00, v8
	s_delay_alu instid0(VALU_DEP_1)
	v_or3_b32 v3, v17, v8, v3
.LBB254_442:                            ;   in Loop: Header=BB254_369 Depth=1
	s_or_b32 exec_lo, exec_lo, s25
.LBB254_443:                            ;   in Loop: Header=BB254_369 Depth=1
	s_delay_alu instid0(SALU_CYCLE_1)
	s_or_b32 exec_lo, exec_lo, s24
.LBB254_444:                            ;   in Loop: Header=BB254_369 Depth=1
	s_delay_alu instid0(SALU_CYCLE_1) | instskip(SKIP_2) | instid1(VALU_DEP_1)
	s_or_b32 exec_lo, exec_lo, s23
	v_lshrrev_b16 v8, 8, v18
	s_mov_b32 s23, exec_lo
	v_cmpx_ne_u16_e32 0, v8
	s_cbranch_execz .LBB254_452
; %bb.445:                              ;   in Loop: Header=BB254_369 Depth=1
	v_bfrev_b32_e32 v1, 1
	s_mov_b32 s24, exec_lo
	v_cmpx_ne_u16_e32 0x80, v8
	s_cbranch_execz .LBB254_451
; %bb.446:                              ;   in Loop: Header=BB254_369 Depth=1
	v_and_b32_e32 v17, 0xffff, v8
	v_mov_b32_e32 v1, 0x7c010000
	s_mov_b32 s25, exec_lo
	s_delay_alu instid0(VALU_DEP_2) | instskip(NEXT) | instid1(VALU_DEP_1)
	v_and_b32_e32 v21, 0x7f, v17
	v_cmpx_ne_u32_e32 0x7f, v21
	s_cbranch_execz .LBB254_450
; %bb.447:                              ;   in Loop: Header=BB254_369 Depth=1
	v_and_b32_e32 v1, 7, v17
	v_lshrrev_b32_e32 v20, 3, v21
	s_mov_b32 s26, exec_lo
	v_cmpx_gt_u32_e32 8, v21
; %bb.448:                              ;   in Loop: Header=BB254_369 Depth=1
	s_delay_alu instid0(VALU_DEP_3) | instskip(NEXT) | instid1(VALU_DEP_1)
	v_clz_i32_u32_e32 v1, v1
	v_min_u32_e32 v1, 32, v1
	s_delay_alu instid0(VALU_DEP_1) | instskip(NEXT) | instid1(VALU_DEP_1)
	v_subrev_nc_u32_e32 v20, 28, v1
	v_lshlrev_b64_e32 v[22:23], v20, v[8:9]
	s_delay_alu instid0(VALU_DEP_1)
	v_dual_sub_nc_u32 v20, 29, v1 :: v_dual_bitop2_b32 v1, 7, v22 bitop3:0x40
; %bb.449:                              ;   in Loop: Header=BB254_369 Depth=1
	s_or_b32 exec_lo, exec_lo, s26
	v_lshlrev_b32_e32 v8, 8, v17
	s_delay_alu instid0(VALU_DEP_2) | instskip(NEXT) | instid1(VALU_DEP_3)
	v_lshl_add_u32 v17, v20, 10, 0x2000
	v_lshlrev_b32_e32 v1, 23, v1
	s_delay_alu instid0(VALU_DEP_2) | instskip(NEXT) | instid1(VALU_DEP_1)
	v_and_or_b32 v8, 0x8000, v8, v17
	v_lshl_or_b32 v1, v8, 16, v1
.LBB254_450:                            ;   in Loop: Header=BB254_369 Depth=1
	s_or_b32 exec_lo, exec_lo, s25
.LBB254_451:                            ;   in Loop: Header=BB254_369 Depth=1
	s_delay_alu instid0(SALU_CYCLE_1)
	s_or_b32 exec_lo, exec_lo, s24
.LBB254_452:                            ;   in Loop: Header=BB254_369 Depth=1
	s_delay_alu instid0(SALU_CYCLE_1) | instskip(SKIP_3) | instid1(VALU_DEP_2)
	s_or_b32 exec_lo, exec_lo, s23
	v_dual_mov_b32 v17, 0 :: v_dual_lshrrev_b32 v8, 16, v18
	v_mov_b32_e32 v20, 0
	s_mov_b32 s23, exec_lo
	v_and_b32_e32 v21, 0xff, v8
	s_delay_alu instid0(VALU_DEP_1)
	v_cmpx_ne_u16_e32 0, v21
	s_cbranch_execz .LBB254_460
; %bb.453:                              ;   in Loop: Header=BB254_369 Depth=1
	v_mov_b32_e32 v20, 0x8000
	s_mov_b32 s24, exec_lo
	v_cmpx_ne_u16_e32 0x80, v21
	s_cbranch_execz .LBB254_459
; %bb.454:                              ;   in Loop: Header=BB254_369 Depth=1
	v_bfe_u32 v22, v18, 16, 7
	v_mov_b32_e32 v20, 0x7c01
	s_mov_b32 s25, exec_lo
	s_delay_alu instid0(VALU_DEP_2)
	v_cmpx_ne_u32_e32 0x7f, v22
	s_cbranch_execz .LBB254_458
; %bb.455:                              ;   in Loop: Header=BB254_369 Depth=1
	v_dual_lshrrev_b32 v21, 3, v22 :: v_dual_bitop2_b32 v20, 7, v8 bitop3:0x40
	s_mov_b32 s26, exec_lo
	v_cmpx_gt_u32_e32 8, v22
; %bb.456:                              ;   in Loop: Header=BB254_369 Depth=1
	s_delay_alu instid0(VALU_DEP_2) | instskip(NEXT) | instid1(VALU_DEP_1)
	v_clz_i32_u32_e32 v20, v20
	v_min_u32_e32 v22, 32, v20
	s_delay_alu instid0(VALU_DEP_1) | instskip(NEXT) | instid1(VALU_DEP_1)
	v_subrev_nc_u32_e32 v20, 28, v22
	v_lshlrev_b64_e32 v[20:21], v20, v[8:9]
	s_delay_alu instid0(VALU_DEP_1)
	v_dual_sub_nc_u32 v21, 29, v22 :: v_dual_bitop2_b32 v20, 7, v20 bitop3:0x40
; %bb.457:                              ;   in Loop: Header=BB254_369 Depth=1
	s_or_b32 exec_lo, exec_lo, s26
	v_lshlrev_b32_e32 v8, 8, v8
	s_delay_alu instid0(VALU_DEP_2) | instskip(NEXT) | instid1(VALU_DEP_3)
	v_lshl_add_u32 v21, v21, 10, 0x2000
	v_lshlrev_b32_e32 v20, 7, v20
	s_delay_alu instid0(VALU_DEP_3) | instskip(NEXT) | instid1(VALU_DEP_3)
	v_and_b32_e32 v8, 0x8000, v8
	v_and_b32_e32 v21, 0xfc00, v21
	s_delay_alu instid0(VALU_DEP_1)
	v_or3_b32 v20, v8, v21, v20
.LBB254_458:                            ;   in Loop: Header=BB254_369 Depth=1
	s_or_b32 exec_lo, exec_lo, s25
.LBB254_459:                            ;   in Loop: Header=BB254_369 Depth=1
	s_delay_alu instid0(SALU_CYCLE_1)
	s_or_b32 exec_lo, exec_lo, s24
.LBB254_460:                            ;   in Loop: Header=BB254_369 Depth=1
	s_delay_alu instid0(SALU_CYCLE_1) | instskip(NEXT) | instid1(SALU_CYCLE_1)
	s_or_b32 exec_lo, exec_lo, s23
	s_mov_b32 s23, exec_lo
	v_cmpx_lt_u32_e32 0xffffff, v18
	s_cbranch_execz .LBB254_468
; %bb.461:                              ;   in Loop: Header=BB254_369 Depth=1
	v_lshrrev_b32_e32 v8, 24, v18
	v_bfrev_b32_e32 v17, 1
	s_mov_b32 s24, exec_lo
	s_delay_alu instid0(VALU_DEP_2)
	v_cmpx_ne_u32_e32 0x80, v8
	s_cbranch_execz .LBB254_467
; %bb.462:                              ;   in Loop: Header=BB254_369 Depth=1
	v_and_b32_e32 v22, 0x7f, v8
	v_mov_b32_e32 v17, 0x7c010000
	s_mov_b32 s25, exec_lo
	s_delay_alu instid0(VALU_DEP_2)
	v_cmpx_ne_u32_e32 0x7f, v22
	s_cbranch_execz .LBB254_466
; %bb.463:                              ;   in Loop: Header=BB254_369 Depth=1
	v_dual_lshrrev_b32 v21, 3, v22 :: v_dual_bitop2_b32 v17, 7, v8 bitop3:0x40
	s_mov_b32 s26, exec_lo
	v_cmpx_gt_u32_e32 8, v22
; %bb.464:                              ;   in Loop: Header=BB254_369 Depth=1
	s_delay_alu instid0(VALU_DEP_2) | instskip(NEXT) | instid1(VALU_DEP_1)
	v_clz_i32_u32_e32 v17, v17
	v_min_u32_e32 v17, 32, v17
	s_delay_alu instid0(VALU_DEP_1) | instskip(NEXT) | instid1(VALU_DEP_1)
	v_subrev_nc_u32_e32 v21, 28, v17
	v_lshlrev_b64_e32 v[22:23], v21, v[8:9]
	s_delay_alu instid0(VALU_DEP_1)
	v_dual_sub_nc_u32 v21, 29, v17 :: v_dual_bitop2_b32 v17, 7, v22 bitop3:0x40
; %bb.465:                              ;   in Loop: Header=BB254_369 Depth=1
	s_or_b32 exec_lo, exec_lo, s26
	s_delay_alu instid0(VALU_DEP_1) | instskip(NEXT) | instid1(VALU_DEP_2)
	v_dual_lshlrev_b32 v8, 8, v8 :: v_dual_lshlrev_b32 v17, 23, v17
	v_lshl_add_u32 v21, v21, 10, 0x2000
	s_delay_alu instid0(VALU_DEP_1) | instskip(NEXT) | instid1(VALU_DEP_1)
	v_and_or_b32 v8, 0x8000, v8, v21
	v_lshl_or_b32 v17, v8, 16, v17
.LBB254_466:                            ;   in Loop: Header=BB254_369 Depth=1
	s_or_b32 exec_lo, exec_lo, s25
.LBB254_467:                            ;   in Loop: Header=BB254_369 Depth=1
	s_delay_alu instid0(SALU_CYCLE_1)
	s_or_b32 exec_lo, exec_lo, s24
.LBB254_468:                            ;   in Loop: Header=BB254_369 Depth=1
	s_delay_alu instid0(SALU_CYCLE_1) | instskip(SKIP_4) | instid1(VALU_DEP_3)
	s_or_b32 exec_lo, exec_lo, s23
	v_and_b32_e32 v23, 0xff, v19
	v_dual_mov_b32 v8, v19 :: v_dual_mov_b32 v22, 0
	v_mov_b32_e32 v21, 0
	s_mov_b32 s23, exec_lo
	v_cmpx_ne_u16_e32 0, v23
	s_cbranch_execz .LBB254_476
; %bb.469:                              ;   in Loop: Header=BB254_369 Depth=1
	v_mov_b32_e32 v21, 0x8000
	s_mov_b32 s24, exec_lo
	v_cmpx_ne_u16_e32 0x80, v23
	s_cbranch_execz .LBB254_475
; %bb.470:                              ;   in Loop: Header=BB254_369 Depth=1
	v_and_b32_e32 v24, 0x7f, v19
	v_mov_b32_e32 v21, 0x7c01
	s_mov_b32 s25, exec_lo
	s_delay_alu instid0(VALU_DEP_2)
	v_cmpx_ne_u32_e32 0x7f, v24
	s_cbranch_execz .LBB254_474
; %bb.471:                              ;   in Loop: Header=BB254_369 Depth=1
	v_dual_lshrrev_b32 v23, 3, v24 :: v_dual_bitop2_b32 v21, 7, v19 bitop3:0x40
	s_mov_b32 s26, exec_lo
	v_cmpx_gt_u32_e32 8, v24
; %bb.472:                              ;   in Loop: Header=BB254_369 Depth=1
	s_delay_alu instid0(VALU_DEP_2) | instskip(NEXT) | instid1(VALU_DEP_1)
	v_clz_i32_u32_e32 v21, v21
	v_min_u32_e32 v21, 32, v21
	s_delay_alu instid0(VALU_DEP_1) | instskip(NEXT) | instid1(VALU_DEP_1)
	v_subrev_nc_u32_e32 v23, 28, v21
	v_lshlrev_b64_e32 v[42:43], v23, v[8:9]
	s_delay_alu instid0(VALU_DEP_1)
	v_dual_sub_nc_u32 v23, 29, v21 :: v_dual_bitop2_b32 v21, 7, v42 bitop3:0x40
; %bb.473:                              ;   in Loop: Header=BB254_369 Depth=1
	s_or_b32 exec_lo, exec_lo, s26
	s_delay_alu instid0(VALU_DEP_1) | instskip(NEXT) | instid1(VALU_DEP_2)
	v_dual_lshlrev_b32 v24, 8, v19 :: v_dual_lshlrev_b32 v21, 7, v21
	v_lshl_add_u32 v23, v23, 10, 0x2000
	s_delay_alu instid0(VALU_DEP_2) | instskip(NEXT) | instid1(VALU_DEP_2)
	v_and_b32_e32 v24, 0x8000, v24
	v_and_b32_e32 v23, 0xfc00, v23
	s_delay_alu instid0(VALU_DEP_1)
	v_or3_b32 v21, v24, v23, v21
.LBB254_474:                            ;   in Loop: Header=BB254_369 Depth=1
	s_or_b32 exec_lo, exec_lo, s25
.LBB254_475:                            ;   in Loop: Header=BB254_369 Depth=1
	s_delay_alu instid0(SALU_CYCLE_1)
	s_or_b32 exec_lo, exec_lo, s24
.LBB254_476:                            ;   in Loop: Header=BB254_369 Depth=1
	s_delay_alu instid0(SALU_CYCLE_1) | instskip(SKIP_3) | instid1(VALU_DEP_2)
	s_or_b32 exec_lo, exec_lo, s23
	v_lshrrev_b16 v8, 8, v8
	v_mov_b32_e32 v23, 0
	s_mov_b32 s23, exec_lo
	v_cmpx_ne_u16_e32 0, v8
	s_cbranch_execz .LBB254_484
; %bb.477:                              ;   in Loop: Header=BB254_369 Depth=1
	v_bfrev_b32_e32 v23, 1
	s_mov_b32 s24, exec_lo
	v_cmpx_ne_u16_e32 0x80, v8
	s_cbranch_execz .LBB254_483
; %bb.478:                              ;   in Loop: Header=BB254_369 Depth=1
	v_and_b32_e32 v24, 0xffff, v8
	v_mov_b32_e32 v23, 0x7c010000
	s_mov_b32 s25, exec_lo
	s_delay_alu instid0(VALU_DEP_2) | instskip(NEXT) | instid1(VALU_DEP_1)
	v_and_b32_e32 v43, 0x7f, v24
	v_cmpx_ne_u32_e32 0x7f, v43
	s_cbranch_execz .LBB254_482
; %bb.479:                              ;   in Loop: Header=BB254_369 Depth=1
	v_dual_lshrrev_b32 v42, 3, v43 :: v_dual_bitop2_b32 v23, 7, v24 bitop3:0x40
	s_mov_b32 s26, exec_lo
	v_cmpx_gt_u32_e32 8, v43
; %bb.480:                              ;   in Loop: Header=BB254_369 Depth=1
	s_delay_alu instid0(VALU_DEP_2) | instskip(NEXT) | instid1(VALU_DEP_1)
	v_clz_i32_u32_e32 v23, v23
	v_min_u32_e32 v23, 32, v23
	s_delay_alu instid0(VALU_DEP_1) | instskip(NEXT) | instid1(VALU_DEP_1)
	v_subrev_nc_u32_e32 v42, 28, v23
	v_lshlrev_b64_e32 v[50:51], v42, v[8:9]
	s_delay_alu instid0(VALU_DEP_1)
	v_dual_sub_nc_u32 v42, 29, v23 :: v_dual_bitop2_b32 v23, 7, v50 bitop3:0x40
; %bb.481:                              ;   in Loop: Header=BB254_369 Depth=1
	s_or_b32 exec_lo, exec_lo, s26
	s_delay_alu instid0(VALU_DEP_1) | instskip(NEXT) | instid1(VALU_DEP_2)
	v_dual_lshlrev_b32 v8, 8, v24 :: v_dual_lshlrev_b32 v23, 23, v23
	v_lshl_add_u32 v24, v42, 10, 0x2000
	s_delay_alu instid0(VALU_DEP_1) | instskip(NEXT) | instid1(VALU_DEP_1)
	v_and_or_b32 v8, 0x8000, v8, v24
	v_lshl_or_b32 v23, v8, 16, v23
.LBB254_482:                            ;   in Loop: Header=BB254_369 Depth=1
	s_or_b32 exec_lo, exec_lo, s25
.LBB254_483:                            ;   in Loop: Header=BB254_369 Depth=1
	s_delay_alu instid0(SALU_CYCLE_1)
	s_or_b32 exec_lo, exec_lo, s24
.LBB254_484:                            ;   in Loop: Header=BB254_369 Depth=1
	s_delay_alu instid0(SALU_CYCLE_1) | instskip(SKIP_2) | instid1(VALU_DEP_1)
	s_or_b32 exec_lo, exec_lo, s23
	v_lshrrev_b32_e32 v8, 16, v19
	s_mov_b32 s23, exec_lo
	v_and_b32_e32 v24, 0xff, v8
	s_delay_alu instid0(VALU_DEP_1)
	v_cmpx_ne_u16_e32 0, v24
	s_cbranch_execz .LBB254_492
; %bb.485:                              ;   in Loop: Header=BB254_369 Depth=1
	v_mov_b32_e32 v22, 0x8000
	s_mov_b32 s24, exec_lo
	v_cmpx_ne_u16_e32 0x80, v24
	s_cbranch_execz .LBB254_491
; %bb.486:                              ;   in Loop: Header=BB254_369 Depth=1
	v_bfe_u32 v42, v19, 16, 7
	v_mov_b32_e32 v22, 0x7c01
	s_mov_b32 s25, exec_lo
	s_delay_alu instid0(VALU_DEP_2)
	v_cmpx_ne_u32_e32 0x7f, v42
	s_cbranch_execz .LBB254_490
; %bb.487:                              ;   in Loop: Header=BB254_369 Depth=1
	v_dual_lshrrev_b32 v24, 3, v42 :: v_dual_bitop2_b32 v22, 7, v8 bitop3:0x40
	s_mov_b32 s26, exec_lo
	v_cmpx_gt_u32_e32 8, v42
; %bb.488:                              ;   in Loop: Header=BB254_369 Depth=1
	s_delay_alu instid0(VALU_DEP_2) | instskip(NEXT) | instid1(VALU_DEP_1)
	v_clz_i32_u32_e32 v22, v22
	v_min_u32_e32 v22, 32, v22
	s_delay_alu instid0(VALU_DEP_1) | instskip(NEXT) | instid1(VALU_DEP_1)
	v_subrev_nc_u32_e32 v24, 28, v22
	v_lshlrev_b64_e32 v[42:43], v24, v[8:9]
	v_sub_nc_u32_e32 v24, 29, v22
	s_delay_alu instid0(VALU_DEP_2)
	v_and_b32_e32 v22, 7, v42
; %bb.489:                              ;   in Loop: Header=BB254_369 Depth=1
	s_or_b32 exec_lo, exec_lo, s26
	s_delay_alu instid0(VALU_DEP_1) | instskip(NEXT) | instid1(VALU_DEP_3)
	v_dual_lshlrev_b32 v8, 8, v8 :: v_dual_lshlrev_b32 v22, 7, v22
	v_lshl_add_u32 v24, v24, 10, 0x2000
	s_delay_alu instid0(VALU_DEP_2) | instskip(NEXT) | instid1(VALU_DEP_2)
	v_and_b32_e32 v8, 0x8000, v8
	v_and_b32_e32 v24, 0xfc00, v24
	s_delay_alu instid0(VALU_DEP_1)
	v_or3_b32 v22, v8, v24, v22
.LBB254_490:                            ;   in Loop: Header=BB254_369 Depth=1
	s_or_b32 exec_lo, exec_lo, s25
.LBB254_491:                            ;   in Loop: Header=BB254_369 Depth=1
	s_delay_alu instid0(SALU_CYCLE_1)
	s_or_b32 exec_lo, exec_lo, s24
.LBB254_492:                            ;   in Loop: Header=BB254_369 Depth=1
	s_delay_alu instid0(SALU_CYCLE_1)
	s_or_b32 exec_lo, exec_lo, s23
	v_cmp_lt_u64_e64 s0, s[8:9], v[18:19]
	v_mov_b32_e32 v18, 0
	s_and_saveexec_b32 s23, s0
	s_cbranch_execz .LBB254_500
; %bb.493:                              ;   in Loop: Header=BB254_369 Depth=1
	v_lshrrev_b32_e32 v8, 24, v19
	v_bfrev_b32_e32 v18, 1
	s_mov_b32 s24, exec_lo
	s_delay_alu instid0(VALU_DEP_2)
	v_cmpx_ne_u32_e32 0x80, v8
	s_cbranch_execz .LBB254_499
; %bb.494:                              ;   in Loop: Header=BB254_369 Depth=1
	v_and_b32_e32 v24, 0x7f, v8
	v_mov_b32_e32 v18, 0x7c010000
	s_mov_b32 s25, exec_lo
	s_delay_alu instid0(VALU_DEP_2)
	v_cmpx_ne_u32_e32 0x7f, v24
	s_cbranch_execz .LBB254_498
; %bb.495:                              ;   in Loop: Header=BB254_369 Depth=1
	v_and_b32_e32 v18, 7, v8
	v_lshrrev_b32_e32 v19, 3, v24
	s_mov_b32 s26, exec_lo
	v_cmpx_gt_u32_e32 8, v24
; %bb.496:                              ;   in Loop: Header=BB254_369 Depth=1
	s_delay_alu instid0(VALU_DEP_3) | instskip(NEXT) | instid1(VALU_DEP_1)
	v_clz_i32_u32_e32 v18, v18
	v_min_u32_e32 v24, 32, v18
	s_delay_alu instid0(VALU_DEP_1) | instskip(NEXT) | instid1(VALU_DEP_1)
	v_subrev_nc_u32_e32 v18, 28, v24
	v_lshlrev_b64_e32 v[18:19], v18, v[8:9]
	s_delay_alu instid0(VALU_DEP_1)
	v_dual_sub_nc_u32 v19, 29, v24 :: v_dual_bitop2_b32 v18, 7, v18 bitop3:0x40
; %bb.497:                              ;   in Loop: Header=BB254_369 Depth=1
	s_or_b32 exec_lo, exec_lo, s26
	s_delay_alu instid0(VALU_DEP_1) | instskip(NEXT) | instid1(VALU_DEP_2)
	v_dual_lshlrev_b32 v8, 8, v8 :: v_dual_lshlrev_b32 v18, 23, v18
	v_lshl_add_u32 v19, v19, 10, 0x2000
	s_delay_alu instid0(VALU_DEP_1) | instskip(NEXT) | instid1(VALU_DEP_1)
	v_and_or_b32 v8, 0x8000, v8, v19
	v_lshl_or_b32 v18, v8, 16, v18
.LBB254_498:                            ;   in Loop: Header=BB254_369 Depth=1
	s_or_b32 exec_lo, exec_lo, s25
.LBB254_499:                            ;   in Loop: Header=BB254_369 Depth=1
	s_delay_alu instid0(SALU_CYCLE_1)
	s_or_b32 exec_lo, exec_lo, s24
.LBB254_500:                            ;   in Loop: Header=BB254_369 Depth=1
	s_delay_alu instid0(SALU_CYCLE_1) | instskip(SKIP_3) | instid1(VALU_DEP_3)
	s_or_b32 exec_lo, exec_lo, s23
	v_dual_lshrrev_b32 v8, 16, v1 :: v_dual_bitop2_b32 v1, v1, v3 bitop3:0x54
	v_dual_lshrrev_b32 v19, 16, v17 :: v_dual_bitop2_b32 v3, v17, v20 bitop3:0x54
	v_lshrrev_b32_e32 v20, 16, v18
	v_cvt_f32_f16_e32 v43, v8
	v_dual_lshrrev_b32 v17, 16, v23 :: v_dual_bitop2_b32 v8, v18, v22 bitop3:0x54
	s_delay_alu instid0(VALU_DEP_4)
	v_cvt_f32_f16_e32 v42, v19
	v_cvt_f32_f16_e32 v18, v3
	v_or_b32_e32 v3, v23, v21
	v_cvt_f32_f16_e32 v19, v1
	v_cvt_f32_f16_e32 v21, v17
	s_wait_loadcnt 0x0
	v_pk_mul_f32 v[42:43], v[16:17], v[42:43] op_sel_hi:[0,1]
	v_cvt_f32_f16_e32 v20, v20
	v_cvt_f32_f16_e32 v22, v8
	;; [unrolled: 1-line block ×3, first 2 shown]
	v_pk_mul_f32 v[18:19], v[16:17], v[18:19] op_sel_hi:[0,1]
	v_cvt_pk_f16_f32 v1, v42, v43
	v_pk_mul_f32 v[20:21], v[16:17], v[20:21] op_sel_hi:[0,1]
	s_delay_alu instid0(VALU_DEP_4) | instskip(NEXT) | instid1(VALU_DEP_4)
	v_pk_mul_f32 v[22:23], v[16:17], v[22:23] op_sel_hi:[0,1]
	v_cvt_pk_f16_f32 v3, v18, v19
	s_delay_alu instid0(VALU_DEP_4) | instskip(NEXT) | instid1(VALU_DEP_4)
	v_and_b32_e32 v17, 0xffff0000, v1
	v_cvt_pk_f16_f32 v8, v20, v21
	v_lshlrev_b32_e32 v18, 16, v1
	v_cvt_pk_f16_f32 v16, v22, v23
	v_lshrrev_b32_e32 v23, 16, v3
	v_and_b32_e32 v24, 0xffff, v3
	v_and_b32_e32 v1, 0xffff0000, v8
	s_delay_alu instid0(VALU_DEP_3) | instskip(SKIP_3) | instid1(VALU_DEP_2)
	v_dual_lshlrev_b32 v8, 16, v8 :: v_dual_bitop2_b32 v21, v17, v23 bitop3:0x54
	v_lshrrev_b32_e32 v3, 16, v16
	v_and_b32_e32 v16, 0xffff, v16
	v_or_b32_e32 v22, v18, v24
	v_or_b32_e32 v20, v8, v16
	s_delay_alu instid0(VALU_DEP_4)
	v_or_b32_e32 v19, v1, v3
	s_and_saveexec_b32 s23, vcc_lo
	s_cbranch_execz .LBB254_502
; %bb.501:                              ;   in Loop: Header=BB254_369 Depth=1
	v_cmp_gt_i32_e64 s0, s18, v34
	s_delay_alu instid0(VALU_DEP_1) | instskip(SKIP_1) | instid1(VALU_DEP_1)
	v_cndmask_b32_e64 v19, 0, v23, s0
	v_cmp_gt_i32_e64 s0, s34, v41
	v_cndmask_b32_e64 v20, 0, v24, s0
	v_cmp_gt_i32_e64 s0, s18, v40
	s_delay_alu instid0(VALU_DEP_1) | instskip(SKIP_1) | instid1(VALU_DEP_1)
	v_cndmask_b32_e64 v17, 0, v17, s0
	v_cmp_gt_i32_e64 s0, s34, v39
	v_cndmask_b32_e64 v18, 0, v18, s0
	v_cmp_gt_i32_e64 s0, s18, v38
	s_delay_alu instid0(VALU_DEP_4) | instskip(NEXT) | instid1(VALU_DEP_2)
	v_or_b32_e32 v21, v17, v19
	v_dual_cndmask_b32 v3, 0, v3, s0 :: v_dual_bitop2_b32 v22, v18, v20 bitop3:0x54
	v_cmp_gt_i32_e64 s0, s34, v37
	s_delay_alu instid0(VALU_DEP_1) | instskip(SKIP_1) | instid1(VALU_DEP_1)
	v_cndmask_b32_e64 v16, 0, v16, s0
	v_cmp_gt_i32_e64 s0, s18, v36
	v_cndmask_b32_e64 v1, 0, v1, s0
	v_cmp_gt_i32_e64 s0, s34, v35
	s_delay_alu instid0(VALU_DEP_1) | instskip(NEXT) | instid1(VALU_DEP_1)
	v_dual_cndmask_b32 v8, 0, v8, s0 :: v_dual_bitop2_b32 v19, v1, v3 bitop3:0x54
	v_or_b32_e32 v20, v8, v16
.LBB254_502:                            ;   in Loop: Header=BB254_369 Depth=1
	s_or_b32 exec_lo, exec_lo, s23
	;;#ASMSTART
	v_pk_mul_f16 v1, v48, v21;

	;;#ASMEND
	;;#ASMSTART
	v_pk_mul_f16 v3, v46, v22;

	;;#ASMEND
	;; [unrolled: 4-line block ×4, first 2 shown]
	;;#ASMSTART
	v_pk_add_f16 v1, v1, v3;

	;;#ASMEND
	;;#ASMSTART
	v_pk_add_f16 v1, v1, v8;

	;;#ASMEND
	;;#ASMSTART
	v_pk_add_f16 v1, v1, v16;

	;;#ASMEND
	v_and_b32_e32 v3, 0xffff, v1
	v_lshrrev_b32_e32 v1, 16, v1
	;;#ASMSTART
	v_cvt_f32_f16 v50, v3;
	;;#ASMEND
	v_mov_b32_e32 v3, 0
	;;#ASMSTART
	v_cvt_f32_f16 v51, v1;
	;;#ASMEND
	global_load_b64 v[18:19], v[14:15], off offset:512
	v_mov_b32_e32 v1, 0
	s_mov_b32 s23, exec_lo
	global_load_b32 v16, v1, s[10:11]
	s_wait_loadcnt 0x1
	v_and_b32_e32 v8, 0xff, v18
	s_wait_xcnt 0x0
	s_delay_alu instid0(VALU_DEP_1)
	v_cmpx_ne_u16_e32 0, v8
	s_cbranch_execz .LBB254_510
; %bb.503:                              ;   in Loop: Header=BB254_369 Depth=1
	v_mov_b32_e32 v3, 0x8000
	s_mov_b32 s24, exec_lo
	v_cmpx_ne_u16_e32 0x80, v8
	s_cbranch_execz .LBB254_509
; %bb.504:                              ;   in Loop: Header=BB254_369 Depth=1
	v_and_b32_e32 v17, 0x7f, v18
	v_mov_b32_e32 v3, 0x7c01
	s_mov_b32 s25, exec_lo
	s_delay_alu instid0(VALU_DEP_2)
	v_cmpx_ne_u32_e32 0x7f, v17
	s_cbranch_execz .LBB254_508
; %bb.505:                              ;   in Loop: Header=BB254_369 Depth=1
	v_dual_lshrrev_b32 v8, 3, v17 :: v_dual_bitop2_b32 v3, 7, v18 bitop3:0x40
	s_mov_b32 s26, exec_lo
	v_cmpx_gt_u32_e32 8, v17
; %bb.506:                              ;   in Loop: Header=BB254_369 Depth=1
	s_delay_alu instid0(VALU_DEP_2) | instskip(NEXT) | instid1(VALU_DEP_1)
	v_clz_i32_u32_e32 v3, v3
	v_min_u32_e32 v3, 32, v3
	s_delay_alu instid0(VALU_DEP_1) | instskip(NEXT) | instid1(VALU_DEP_1)
	v_subrev_nc_u32_e32 v8, 28, v3
	v_lshlrev_b64_e32 v[20:21], v8, v[18:19]
	s_delay_alu instid0(VALU_DEP_1)
	v_dual_sub_nc_u32 v8, 29, v3 :: v_dual_bitop2_b32 v3, 7, v20 bitop3:0x40
; %bb.507:                              ;   in Loop: Header=BB254_369 Depth=1
	s_or_b32 exec_lo, exec_lo, s26
	s_delay_alu instid0(VALU_DEP_1) | instskip(NEXT) | instid1(VALU_DEP_2)
	v_dual_lshlrev_b32 v17, 8, v18 :: v_dual_lshlrev_b32 v3, 7, v3
	v_lshl_add_u32 v8, v8, 10, 0x2000
	s_delay_alu instid0(VALU_DEP_2) | instskip(NEXT) | instid1(VALU_DEP_2)
	v_and_b32_e32 v17, 0x8000, v17
	v_and_b32_e32 v8, 0xfc00, v8
	s_delay_alu instid0(VALU_DEP_1)
	v_or3_b32 v3, v17, v8, v3
.LBB254_508:                            ;   in Loop: Header=BB254_369 Depth=1
	s_or_b32 exec_lo, exec_lo, s25
.LBB254_509:                            ;   in Loop: Header=BB254_369 Depth=1
	s_delay_alu instid0(SALU_CYCLE_1)
	s_or_b32 exec_lo, exec_lo, s24
.LBB254_510:                            ;   in Loop: Header=BB254_369 Depth=1
	s_delay_alu instid0(SALU_CYCLE_1) | instskip(SKIP_2) | instid1(VALU_DEP_1)
	s_or_b32 exec_lo, exec_lo, s23
	v_lshrrev_b16 v8, 8, v18
	s_mov_b32 s23, exec_lo
	v_cmpx_ne_u16_e32 0, v8
	s_cbranch_execz .LBB254_518
; %bb.511:                              ;   in Loop: Header=BB254_369 Depth=1
	v_bfrev_b32_e32 v1, 1
	s_mov_b32 s24, exec_lo
	v_cmpx_ne_u16_e32 0x80, v8
	s_cbranch_execz .LBB254_517
; %bb.512:                              ;   in Loop: Header=BB254_369 Depth=1
	v_and_b32_e32 v17, 0xffff, v8
	v_mov_b32_e32 v1, 0x7c010000
	s_mov_b32 s25, exec_lo
	s_delay_alu instid0(VALU_DEP_2) | instskip(NEXT) | instid1(VALU_DEP_1)
	v_and_b32_e32 v21, 0x7f, v17
	v_cmpx_ne_u32_e32 0x7f, v21
	s_cbranch_execz .LBB254_516
; %bb.513:                              ;   in Loop: Header=BB254_369 Depth=1
	v_and_b32_e32 v1, 7, v17
	v_lshrrev_b32_e32 v20, 3, v21
	s_mov_b32 s26, exec_lo
	v_cmpx_gt_u32_e32 8, v21
; %bb.514:                              ;   in Loop: Header=BB254_369 Depth=1
	s_delay_alu instid0(VALU_DEP_3) | instskip(NEXT) | instid1(VALU_DEP_1)
	v_clz_i32_u32_e32 v1, v1
	v_min_u32_e32 v1, 32, v1
	s_delay_alu instid0(VALU_DEP_1) | instskip(NEXT) | instid1(VALU_DEP_1)
	v_subrev_nc_u32_e32 v20, 28, v1
	v_lshlrev_b64_e32 v[22:23], v20, v[8:9]
	s_delay_alu instid0(VALU_DEP_1)
	v_dual_sub_nc_u32 v20, 29, v1 :: v_dual_bitop2_b32 v1, 7, v22 bitop3:0x40
; %bb.515:                              ;   in Loop: Header=BB254_369 Depth=1
	s_or_b32 exec_lo, exec_lo, s26
	v_lshlrev_b32_e32 v8, 8, v17
	s_delay_alu instid0(VALU_DEP_2) | instskip(NEXT) | instid1(VALU_DEP_3)
	v_lshl_add_u32 v17, v20, 10, 0x2000
	v_lshlrev_b32_e32 v1, 23, v1
	s_delay_alu instid0(VALU_DEP_2) | instskip(NEXT) | instid1(VALU_DEP_1)
	v_and_or_b32 v8, 0x8000, v8, v17
	v_lshl_or_b32 v1, v8, 16, v1
.LBB254_516:                            ;   in Loop: Header=BB254_369 Depth=1
	s_or_b32 exec_lo, exec_lo, s25
.LBB254_517:                            ;   in Loop: Header=BB254_369 Depth=1
	s_delay_alu instid0(SALU_CYCLE_1)
	s_or_b32 exec_lo, exec_lo, s24
.LBB254_518:                            ;   in Loop: Header=BB254_369 Depth=1
	s_delay_alu instid0(SALU_CYCLE_1) | instskip(SKIP_3) | instid1(VALU_DEP_2)
	s_or_b32 exec_lo, exec_lo, s23
	v_dual_mov_b32 v17, 0 :: v_dual_lshrrev_b32 v8, 16, v18
	v_mov_b32_e32 v20, 0
	s_mov_b32 s23, exec_lo
	v_and_b32_e32 v21, 0xff, v8
	s_delay_alu instid0(VALU_DEP_1)
	v_cmpx_ne_u16_e32 0, v21
	s_cbranch_execz .LBB254_526
; %bb.519:                              ;   in Loop: Header=BB254_369 Depth=1
	v_mov_b32_e32 v20, 0x8000
	s_mov_b32 s24, exec_lo
	v_cmpx_ne_u16_e32 0x80, v21
	s_cbranch_execz .LBB254_525
; %bb.520:                              ;   in Loop: Header=BB254_369 Depth=1
	v_bfe_u32 v22, v18, 16, 7
	v_mov_b32_e32 v20, 0x7c01
	s_mov_b32 s25, exec_lo
	s_delay_alu instid0(VALU_DEP_2)
	v_cmpx_ne_u32_e32 0x7f, v22
	s_cbranch_execz .LBB254_524
; %bb.521:                              ;   in Loop: Header=BB254_369 Depth=1
	v_dual_lshrrev_b32 v21, 3, v22 :: v_dual_bitop2_b32 v20, 7, v8 bitop3:0x40
	s_mov_b32 s26, exec_lo
	v_cmpx_gt_u32_e32 8, v22
; %bb.522:                              ;   in Loop: Header=BB254_369 Depth=1
	s_delay_alu instid0(VALU_DEP_2) | instskip(NEXT) | instid1(VALU_DEP_1)
	v_clz_i32_u32_e32 v20, v20
	v_min_u32_e32 v22, 32, v20
	s_delay_alu instid0(VALU_DEP_1) | instskip(NEXT) | instid1(VALU_DEP_1)
	v_subrev_nc_u32_e32 v20, 28, v22
	v_lshlrev_b64_e32 v[20:21], v20, v[8:9]
	s_delay_alu instid0(VALU_DEP_1)
	v_dual_sub_nc_u32 v21, 29, v22 :: v_dual_bitop2_b32 v20, 7, v20 bitop3:0x40
; %bb.523:                              ;   in Loop: Header=BB254_369 Depth=1
	s_or_b32 exec_lo, exec_lo, s26
	v_lshlrev_b32_e32 v8, 8, v8
	s_delay_alu instid0(VALU_DEP_2) | instskip(NEXT) | instid1(VALU_DEP_3)
	v_lshl_add_u32 v21, v21, 10, 0x2000
	v_lshlrev_b32_e32 v20, 7, v20
	s_delay_alu instid0(VALU_DEP_3) | instskip(NEXT) | instid1(VALU_DEP_3)
	v_and_b32_e32 v8, 0x8000, v8
	v_and_b32_e32 v21, 0xfc00, v21
	s_delay_alu instid0(VALU_DEP_1)
	v_or3_b32 v20, v8, v21, v20
.LBB254_524:                            ;   in Loop: Header=BB254_369 Depth=1
	s_or_b32 exec_lo, exec_lo, s25
.LBB254_525:                            ;   in Loop: Header=BB254_369 Depth=1
	s_delay_alu instid0(SALU_CYCLE_1)
	s_or_b32 exec_lo, exec_lo, s24
.LBB254_526:                            ;   in Loop: Header=BB254_369 Depth=1
	s_delay_alu instid0(SALU_CYCLE_1) | instskip(NEXT) | instid1(SALU_CYCLE_1)
	s_or_b32 exec_lo, exec_lo, s23
	s_mov_b32 s23, exec_lo
	v_cmpx_lt_u32_e32 0xffffff, v18
	s_cbranch_execz .LBB254_534
; %bb.527:                              ;   in Loop: Header=BB254_369 Depth=1
	v_lshrrev_b32_e32 v8, 24, v18
	v_bfrev_b32_e32 v17, 1
	s_mov_b32 s24, exec_lo
	s_delay_alu instid0(VALU_DEP_2)
	v_cmpx_ne_u32_e32 0x80, v8
	s_cbranch_execz .LBB254_533
; %bb.528:                              ;   in Loop: Header=BB254_369 Depth=1
	v_and_b32_e32 v22, 0x7f, v8
	v_mov_b32_e32 v17, 0x7c010000
	s_mov_b32 s25, exec_lo
	s_delay_alu instid0(VALU_DEP_2)
	v_cmpx_ne_u32_e32 0x7f, v22
	s_cbranch_execz .LBB254_532
; %bb.529:                              ;   in Loop: Header=BB254_369 Depth=1
	v_dual_lshrrev_b32 v21, 3, v22 :: v_dual_bitop2_b32 v17, 7, v8 bitop3:0x40
	s_mov_b32 s26, exec_lo
	v_cmpx_gt_u32_e32 8, v22
; %bb.530:                              ;   in Loop: Header=BB254_369 Depth=1
	s_delay_alu instid0(VALU_DEP_2) | instskip(NEXT) | instid1(VALU_DEP_1)
	v_clz_i32_u32_e32 v17, v17
	v_min_u32_e32 v17, 32, v17
	s_delay_alu instid0(VALU_DEP_1) | instskip(NEXT) | instid1(VALU_DEP_1)
	v_subrev_nc_u32_e32 v21, 28, v17
	v_lshlrev_b64_e32 v[22:23], v21, v[8:9]
	s_delay_alu instid0(VALU_DEP_1)
	v_dual_sub_nc_u32 v21, 29, v17 :: v_dual_bitop2_b32 v17, 7, v22 bitop3:0x40
; %bb.531:                              ;   in Loop: Header=BB254_369 Depth=1
	s_or_b32 exec_lo, exec_lo, s26
	s_delay_alu instid0(VALU_DEP_1) | instskip(NEXT) | instid1(VALU_DEP_2)
	v_dual_lshlrev_b32 v8, 8, v8 :: v_dual_lshlrev_b32 v17, 23, v17
	v_lshl_add_u32 v21, v21, 10, 0x2000
	s_delay_alu instid0(VALU_DEP_1) | instskip(NEXT) | instid1(VALU_DEP_1)
	v_and_or_b32 v8, 0x8000, v8, v21
	v_lshl_or_b32 v17, v8, 16, v17
.LBB254_532:                            ;   in Loop: Header=BB254_369 Depth=1
	s_or_b32 exec_lo, exec_lo, s25
.LBB254_533:                            ;   in Loop: Header=BB254_369 Depth=1
	s_delay_alu instid0(SALU_CYCLE_1)
	s_or_b32 exec_lo, exec_lo, s24
.LBB254_534:                            ;   in Loop: Header=BB254_369 Depth=1
	s_delay_alu instid0(SALU_CYCLE_1) | instskip(SKIP_4) | instid1(VALU_DEP_3)
	s_or_b32 exec_lo, exec_lo, s23
	v_and_b32_e32 v23, 0xff, v19
	v_dual_mov_b32 v8, v19 :: v_dual_mov_b32 v22, 0
	v_mov_b32_e32 v21, 0
	s_mov_b32 s23, exec_lo
	v_cmpx_ne_u16_e32 0, v23
	s_cbranch_execz .LBB254_542
; %bb.535:                              ;   in Loop: Header=BB254_369 Depth=1
	v_mov_b32_e32 v21, 0x8000
	s_mov_b32 s24, exec_lo
	v_cmpx_ne_u16_e32 0x80, v23
	s_cbranch_execz .LBB254_541
; %bb.536:                              ;   in Loop: Header=BB254_369 Depth=1
	v_and_b32_e32 v24, 0x7f, v19
	v_mov_b32_e32 v21, 0x7c01
	s_mov_b32 s25, exec_lo
	s_delay_alu instid0(VALU_DEP_2)
	v_cmpx_ne_u32_e32 0x7f, v24
	s_cbranch_execz .LBB254_540
; %bb.537:                              ;   in Loop: Header=BB254_369 Depth=1
	v_dual_lshrrev_b32 v23, 3, v24 :: v_dual_bitop2_b32 v21, 7, v19 bitop3:0x40
	s_mov_b32 s26, exec_lo
	v_cmpx_gt_u32_e32 8, v24
; %bb.538:                              ;   in Loop: Header=BB254_369 Depth=1
	s_delay_alu instid0(VALU_DEP_2) | instskip(NEXT) | instid1(VALU_DEP_1)
	v_clz_i32_u32_e32 v21, v21
	v_min_u32_e32 v21, 32, v21
	s_delay_alu instid0(VALU_DEP_1) | instskip(NEXT) | instid1(VALU_DEP_1)
	v_subrev_nc_u32_e32 v23, 28, v21
	v_lshlrev_b64_e32 v[42:43], v23, v[8:9]
	s_delay_alu instid0(VALU_DEP_1)
	v_dual_sub_nc_u32 v23, 29, v21 :: v_dual_bitop2_b32 v21, 7, v42 bitop3:0x40
; %bb.539:                              ;   in Loop: Header=BB254_369 Depth=1
	s_or_b32 exec_lo, exec_lo, s26
	s_delay_alu instid0(VALU_DEP_1) | instskip(NEXT) | instid1(VALU_DEP_2)
	v_dual_lshlrev_b32 v24, 8, v19 :: v_dual_lshlrev_b32 v21, 7, v21
	v_lshl_add_u32 v23, v23, 10, 0x2000
	s_delay_alu instid0(VALU_DEP_2) | instskip(NEXT) | instid1(VALU_DEP_2)
	v_and_b32_e32 v24, 0x8000, v24
	v_and_b32_e32 v23, 0xfc00, v23
	s_delay_alu instid0(VALU_DEP_1)
	v_or3_b32 v21, v24, v23, v21
.LBB254_540:                            ;   in Loop: Header=BB254_369 Depth=1
	s_or_b32 exec_lo, exec_lo, s25
.LBB254_541:                            ;   in Loop: Header=BB254_369 Depth=1
	s_delay_alu instid0(SALU_CYCLE_1)
	s_or_b32 exec_lo, exec_lo, s24
.LBB254_542:                            ;   in Loop: Header=BB254_369 Depth=1
	s_delay_alu instid0(SALU_CYCLE_1) | instskip(SKIP_3) | instid1(VALU_DEP_2)
	s_or_b32 exec_lo, exec_lo, s23
	v_lshrrev_b16 v8, 8, v8
	v_mov_b32_e32 v23, 0
	s_mov_b32 s23, exec_lo
	v_cmpx_ne_u16_e32 0, v8
	s_cbranch_execz .LBB254_550
; %bb.543:                              ;   in Loop: Header=BB254_369 Depth=1
	v_bfrev_b32_e32 v23, 1
	s_mov_b32 s24, exec_lo
	v_cmpx_ne_u16_e32 0x80, v8
	s_cbranch_execz .LBB254_549
; %bb.544:                              ;   in Loop: Header=BB254_369 Depth=1
	v_and_b32_e32 v24, 0xffff, v8
	v_mov_b32_e32 v23, 0x7c010000
	s_mov_b32 s25, exec_lo
	s_delay_alu instid0(VALU_DEP_2) | instskip(NEXT) | instid1(VALU_DEP_1)
	v_and_b32_e32 v43, 0x7f, v24
	v_cmpx_ne_u32_e32 0x7f, v43
	s_cbranch_execz .LBB254_548
; %bb.545:                              ;   in Loop: Header=BB254_369 Depth=1
	v_dual_lshrrev_b32 v42, 3, v43 :: v_dual_bitop2_b32 v23, 7, v24 bitop3:0x40
	s_mov_b32 s26, exec_lo
	v_cmpx_gt_u32_e32 8, v43
; %bb.546:                              ;   in Loop: Header=BB254_369 Depth=1
	s_delay_alu instid0(VALU_DEP_2) | instskip(NEXT) | instid1(VALU_DEP_1)
	v_clz_i32_u32_e32 v23, v23
	v_min_u32_e32 v23, 32, v23
	s_delay_alu instid0(VALU_DEP_1) | instskip(NEXT) | instid1(VALU_DEP_1)
	v_subrev_nc_u32_e32 v42, 28, v23
	v_lshlrev_b64_e32 v[52:53], v42, v[8:9]
	s_delay_alu instid0(VALU_DEP_1)
	v_dual_sub_nc_u32 v42, 29, v23 :: v_dual_bitop2_b32 v23, 7, v52 bitop3:0x40
; %bb.547:                              ;   in Loop: Header=BB254_369 Depth=1
	s_or_b32 exec_lo, exec_lo, s26
	s_delay_alu instid0(VALU_DEP_1) | instskip(NEXT) | instid1(VALU_DEP_2)
	v_dual_lshlrev_b32 v8, 8, v24 :: v_dual_lshlrev_b32 v23, 23, v23
	v_lshl_add_u32 v24, v42, 10, 0x2000
	s_delay_alu instid0(VALU_DEP_1) | instskip(NEXT) | instid1(VALU_DEP_1)
	v_and_or_b32 v8, 0x8000, v8, v24
	v_lshl_or_b32 v23, v8, 16, v23
.LBB254_548:                            ;   in Loop: Header=BB254_369 Depth=1
	s_or_b32 exec_lo, exec_lo, s25
.LBB254_549:                            ;   in Loop: Header=BB254_369 Depth=1
	s_delay_alu instid0(SALU_CYCLE_1)
	s_or_b32 exec_lo, exec_lo, s24
.LBB254_550:                            ;   in Loop: Header=BB254_369 Depth=1
	s_delay_alu instid0(SALU_CYCLE_1) | instskip(SKIP_2) | instid1(VALU_DEP_1)
	s_or_b32 exec_lo, exec_lo, s23
	v_lshrrev_b32_e32 v8, 16, v19
	s_mov_b32 s23, exec_lo
	v_and_b32_e32 v24, 0xff, v8
	s_delay_alu instid0(VALU_DEP_1)
	v_cmpx_ne_u16_e32 0, v24
	s_cbranch_execz .LBB254_558
; %bb.551:                              ;   in Loop: Header=BB254_369 Depth=1
	v_mov_b32_e32 v22, 0x8000
	s_mov_b32 s24, exec_lo
	v_cmpx_ne_u16_e32 0x80, v24
	s_cbranch_execz .LBB254_557
; %bb.552:                              ;   in Loop: Header=BB254_369 Depth=1
	v_bfe_u32 v42, v19, 16, 7
	v_mov_b32_e32 v22, 0x7c01
	s_mov_b32 s25, exec_lo
	s_delay_alu instid0(VALU_DEP_2)
	v_cmpx_ne_u32_e32 0x7f, v42
	s_cbranch_execz .LBB254_556
; %bb.553:                              ;   in Loop: Header=BB254_369 Depth=1
	v_dual_lshrrev_b32 v24, 3, v42 :: v_dual_bitop2_b32 v22, 7, v8 bitop3:0x40
	s_mov_b32 s26, exec_lo
	v_cmpx_gt_u32_e32 8, v42
; %bb.554:                              ;   in Loop: Header=BB254_369 Depth=1
	s_delay_alu instid0(VALU_DEP_2) | instskip(NEXT) | instid1(VALU_DEP_1)
	v_clz_i32_u32_e32 v22, v22
	v_min_u32_e32 v22, 32, v22
	s_delay_alu instid0(VALU_DEP_1) | instskip(NEXT) | instid1(VALU_DEP_1)
	v_subrev_nc_u32_e32 v24, 28, v22
	v_lshlrev_b64_e32 v[42:43], v24, v[8:9]
	v_sub_nc_u32_e32 v24, 29, v22
	s_delay_alu instid0(VALU_DEP_2)
	v_and_b32_e32 v22, 7, v42
; %bb.555:                              ;   in Loop: Header=BB254_369 Depth=1
	s_or_b32 exec_lo, exec_lo, s26
	s_delay_alu instid0(VALU_DEP_1) | instskip(NEXT) | instid1(VALU_DEP_3)
	v_dual_lshlrev_b32 v8, 8, v8 :: v_dual_lshlrev_b32 v22, 7, v22
	v_lshl_add_u32 v24, v24, 10, 0x2000
	s_delay_alu instid0(VALU_DEP_2) | instskip(NEXT) | instid1(VALU_DEP_2)
	v_and_b32_e32 v8, 0x8000, v8
	v_and_b32_e32 v24, 0xfc00, v24
	s_delay_alu instid0(VALU_DEP_1)
	v_or3_b32 v22, v8, v24, v22
.LBB254_556:                            ;   in Loop: Header=BB254_369 Depth=1
	s_or_b32 exec_lo, exec_lo, s25
.LBB254_557:                            ;   in Loop: Header=BB254_369 Depth=1
	s_delay_alu instid0(SALU_CYCLE_1)
	s_or_b32 exec_lo, exec_lo, s24
.LBB254_558:                            ;   in Loop: Header=BB254_369 Depth=1
	s_delay_alu instid0(SALU_CYCLE_1)
	s_or_b32 exec_lo, exec_lo, s23
	v_cmp_lt_u64_e64 s0, s[8:9], v[18:19]
	v_mov_b32_e32 v18, 0
	s_and_saveexec_b32 s23, s0
	s_cbranch_execz .LBB254_566
; %bb.559:                              ;   in Loop: Header=BB254_369 Depth=1
	v_lshrrev_b32_e32 v8, 24, v19
	v_bfrev_b32_e32 v18, 1
	s_mov_b32 s24, exec_lo
	s_delay_alu instid0(VALU_DEP_2)
	v_cmpx_ne_u32_e32 0x80, v8
	s_cbranch_execz .LBB254_565
; %bb.560:                              ;   in Loop: Header=BB254_369 Depth=1
	v_and_b32_e32 v24, 0x7f, v8
	v_mov_b32_e32 v18, 0x7c010000
	s_mov_b32 s25, exec_lo
	s_delay_alu instid0(VALU_DEP_2)
	v_cmpx_ne_u32_e32 0x7f, v24
	s_cbranch_execz .LBB254_564
; %bb.561:                              ;   in Loop: Header=BB254_369 Depth=1
	v_and_b32_e32 v18, 7, v8
	v_lshrrev_b32_e32 v19, 3, v24
	s_mov_b32 s26, exec_lo
	v_cmpx_gt_u32_e32 8, v24
; %bb.562:                              ;   in Loop: Header=BB254_369 Depth=1
	s_delay_alu instid0(VALU_DEP_3) | instskip(NEXT) | instid1(VALU_DEP_1)
	v_clz_i32_u32_e32 v18, v18
	v_min_u32_e32 v24, 32, v18
	s_delay_alu instid0(VALU_DEP_1) | instskip(NEXT) | instid1(VALU_DEP_1)
	v_subrev_nc_u32_e32 v18, 28, v24
	v_lshlrev_b64_e32 v[18:19], v18, v[8:9]
	s_delay_alu instid0(VALU_DEP_1)
	v_dual_sub_nc_u32 v19, 29, v24 :: v_dual_bitop2_b32 v18, 7, v18 bitop3:0x40
; %bb.563:                              ;   in Loop: Header=BB254_369 Depth=1
	s_or_b32 exec_lo, exec_lo, s26
	s_delay_alu instid0(VALU_DEP_1) | instskip(NEXT) | instid1(VALU_DEP_2)
	v_dual_lshlrev_b32 v8, 8, v8 :: v_dual_lshlrev_b32 v18, 23, v18
	v_lshl_add_u32 v19, v19, 10, 0x2000
	s_delay_alu instid0(VALU_DEP_1) | instskip(NEXT) | instid1(VALU_DEP_1)
	v_and_or_b32 v8, 0x8000, v8, v19
	v_lshl_or_b32 v18, v8, 16, v18
.LBB254_564:                            ;   in Loop: Header=BB254_369 Depth=1
	s_or_b32 exec_lo, exec_lo, s25
.LBB254_565:                            ;   in Loop: Header=BB254_369 Depth=1
	s_delay_alu instid0(SALU_CYCLE_1)
	s_or_b32 exec_lo, exec_lo, s24
.LBB254_566:                            ;   in Loop: Header=BB254_369 Depth=1
	s_delay_alu instid0(SALU_CYCLE_1) | instskip(SKIP_3) | instid1(VALU_DEP_3)
	s_or_b32 exec_lo, exec_lo, s23
	v_dual_lshrrev_b32 v8, 16, v1 :: v_dual_bitop2_b32 v1, v1, v3 bitop3:0x54
	v_dual_lshrrev_b32 v19, 16, v17 :: v_dual_bitop2_b32 v3, v17, v20 bitop3:0x54
	v_lshrrev_b32_e32 v20, 16, v18
	v_cvt_f32_f16_e32 v43, v8
	v_dual_lshrrev_b32 v17, 16, v23 :: v_dual_bitop2_b32 v8, v18, v22 bitop3:0x54
	s_delay_alu instid0(VALU_DEP_4)
	v_cvt_f32_f16_e32 v42, v19
	v_cvt_f32_f16_e32 v18, v3
	v_or_b32_e32 v3, v23, v21
	v_cvt_f32_f16_e32 v19, v1
	v_cvt_f32_f16_e32 v21, v17
	s_wait_loadcnt 0x0
	v_pk_mul_f32 v[42:43], v[16:17], v[42:43] op_sel_hi:[0,1]
	v_cvt_f32_f16_e32 v20, v20
	v_cvt_f32_f16_e32 v22, v8
	;; [unrolled: 1-line block ×3, first 2 shown]
	v_pk_mul_f32 v[18:19], v[16:17], v[18:19] op_sel_hi:[0,1]
	v_cvt_pk_f16_f32 v1, v42, v43
	v_pk_mul_f32 v[20:21], v[16:17], v[20:21] op_sel_hi:[0,1]
	s_delay_alu instid0(VALU_DEP_4) | instskip(NEXT) | instid1(VALU_DEP_4)
	v_pk_mul_f32 v[22:23], v[16:17], v[22:23] op_sel_hi:[0,1]
	v_cvt_pk_f16_f32 v3, v18, v19
	s_delay_alu instid0(VALU_DEP_4) | instskip(NEXT) | instid1(VALU_DEP_4)
	v_and_b32_e32 v17, 0xffff0000, v1
	v_cvt_pk_f16_f32 v8, v20, v21
	v_lshlrev_b32_e32 v18, 16, v1
	v_cvt_pk_f16_f32 v16, v22, v23
	v_lshrrev_b32_e32 v23, 16, v3
	v_and_b32_e32 v24, 0xffff, v3
	v_and_b32_e32 v1, 0xffff0000, v8
	s_delay_alu instid0(VALU_DEP_3) | instskip(SKIP_3) | instid1(VALU_DEP_2)
	v_dual_lshlrev_b32 v8, 16, v8 :: v_dual_bitop2_b32 v21, v17, v23 bitop3:0x54
	v_lshrrev_b32_e32 v3, 16, v16
	v_and_b32_e32 v16, 0xffff, v16
	v_or_b32_e32 v22, v18, v24
	v_or_b32_e32 v20, v8, v16
	s_delay_alu instid0(VALU_DEP_4)
	v_or_b32_e32 v19, v1, v3
	s_and_saveexec_b32 s23, vcc_lo
	s_cbranch_execz .LBB254_568
; %bb.567:                              ;   in Loop: Header=BB254_369 Depth=1
	v_cmp_gt_i32_e64 s0, s18, v34
	s_delay_alu instid0(VALU_DEP_1) | instskip(SKIP_1) | instid1(VALU_DEP_1)
	v_cndmask_b32_e64 v19, 0, v23, s0
	v_cmp_gt_i32_e64 s0, s34, v41
	v_cndmask_b32_e64 v20, 0, v24, s0
	v_cmp_gt_i32_e64 s0, s18, v40
	s_delay_alu instid0(VALU_DEP_1) | instskip(SKIP_1) | instid1(VALU_DEP_1)
	v_cndmask_b32_e64 v17, 0, v17, s0
	v_cmp_gt_i32_e64 s0, s34, v39
	v_cndmask_b32_e64 v18, 0, v18, s0
	v_cmp_gt_i32_e64 s0, s18, v38
	s_delay_alu instid0(VALU_DEP_4) | instskip(NEXT) | instid1(VALU_DEP_2)
	v_or_b32_e32 v21, v17, v19
	v_dual_cndmask_b32 v3, 0, v3, s0 :: v_dual_bitop2_b32 v22, v18, v20 bitop3:0x54
	v_cmp_gt_i32_e64 s0, s34, v37
	s_delay_alu instid0(VALU_DEP_1) | instskip(SKIP_1) | instid1(VALU_DEP_1)
	v_cndmask_b32_e64 v16, 0, v16, s0
	v_cmp_gt_i32_e64 s0, s18, v36
	v_cndmask_b32_e64 v1, 0, v1, s0
	v_cmp_gt_i32_e64 s0, s34, v35
	s_delay_alu instid0(VALU_DEP_1) | instskip(NEXT) | instid1(VALU_DEP_1)
	v_dual_cndmask_b32 v8, 0, v8, s0 :: v_dual_bitop2_b32 v19, v1, v3 bitop3:0x54
	v_or_b32_e32 v20, v8, v16
.LBB254_568:                            ;   in Loop: Header=BB254_369 Depth=1
	s_or_b32 exec_lo, exec_lo, s23
	;;#ASMSTART
	v_pk_mul_f16 v1, v48, v21;

	;;#ASMEND
	;;#ASMSTART
	v_pk_mul_f16 v3, v46, v22;

	;;#ASMEND
	;; [unrolled: 4-line block ×4, first 2 shown]
	;;#ASMSTART
	v_pk_add_f16 v1, v1, v3;

	;;#ASMEND
	;;#ASMSTART
	v_pk_add_f16 v1, v1, v8;

	;;#ASMEND
	;; [unrolled: 4-line block ×3, first 2 shown]
	v_and_b32_e32 v3, 0xffff, v1
	v_lshrrev_b32_e32 v1, 16, v1
	;;#ASMSTART
	v_cvt_f32_f16 v52, v3;
	;;#ASMEND
	v_mov_b32_e32 v3, 0
	;;#ASMSTART
	v_cvt_f32_f16 v53, v1;
	;;#ASMEND
	global_load_b64 v[18:19], v[14:15], off offset:768
	v_mov_b32_e32 v1, 0
	s_mov_b32 s23, exec_lo
	global_load_b32 v16, v1, s[10:11]
	s_wait_loadcnt 0x1
	v_and_b32_e32 v8, 0xff, v18
	s_wait_xcnt 0x0
	s_delay_alu instid0(VALU_DEP_1)
	v_cmpx_ne_u16_e32 0, v8
	s_cbranch_execz .LBB254_576
; %bb.569:                              ;   in Loop: Header=BB254_369 Depth=1
	v_mov_b32_e32 v3, 0x8000
	s_mov_b32 s24, exec_lo
	v_cmpx_ne_u16_e32 0x80, v8
	s_cbranch_execz .LBB254_575
; %bb.570:                              ;   in Loop: Header=BB254_369 Depth=1
	v_and_b32_e32 v17, 0x7f, v18
	v_mov_b32_e32 v3, 0x7c01
	s_mov_b32 s25, exec_lo
	s_delay_alu instid0(VALU_DEP_2)
	v_cmpx_ne_u32_e32 0x7f, v17
	s_cbranch_execz .LBB254_574
; %bb.571:                              ;   in Loop: Header=BB254_369 Depth=1
	v_dual_lshrrev_b32 v8, 3, v17 :: v_dual_bitop2_b32 v3, 7, v18 bitop3:0x40
	s_mov_b32 s26, exec_lo
	v_cmpx_gt_u32_e32 8, v17
; %bb.572:                              ;   in Loop: Header=BB254_369 Depth=1
	s_delay_alu instid0(VALU_DEP_2) | instskip(NEXT) | instid1(VALU_DEP_1)
	v_clz_i32_u32_e32 v3, v3
	v_min_u32_e32 v3, 32, v3
	s_delay_alu instid0(VALU_DEP_1) | instskip(NEXT) | instid1(VALU_DEP_1)
	v_subrev_nc_u32_e32 v8, 28, v3
	v_lshlrev_b64_e32 v[20:21], v8, v[18:19]
	s_delay_alu instid0(VALU_DEP_1)
	v_dual_sub_nc_u32 v8, 29, v3 :: v_dual_bitop2_b32 v3, 7, v20 bitop3:0x40
; %bb.573:                              ;   in Loop: Header=BB254_369 Depth=1
	s_or_b32 exec_lo, exec_lo, s26
	s_delay_alu instid0(VALU_DEP_1) | instskip(NEXT) | instid1(VALU_DEP_2)
	v_dual_lshlrev_b32 v17, 8, v18 :: v_dual_lshlrev_b32 v3, 7, v3
	v_lshl_add_u32 v8, v8, 10, 0x2000
	s_delay_alu instid0(VALU_DEP_2) | instskip(NEXT) | instid1(VALU_DEP_2)
	v_and_b32_e32 v17, 0x8000, v17
	v_and_b32_e32 v8, 0xfc00, v8
	s_delay_alu instid0(VALU_DEP_1)
	v_or3_b32 v3, v17, v8, v3
.LBB254_574:                            ;   in Loop: Header=BB254_369 Depth=1
	s_or_b32 exec_lo, exec_lo, s25
.LBB254_575:                            ;   in Loop: Header=BB254_369 Depth=1
	s_delay_alu instid0(SALU_CYCLE_1)
	s_or_b32 exec_lo, exec_lo, s24
.LBB254_576:                            ;   in Loop: Header=BB254_369 Depth=1
	s_delay_alu instid0(SALU_CYCLE_1) | instskip(SKIP_2) | instid1(VALU_DEP_1)
	s_or_b32 exec_lo, exec_lo, s23
	v_lshrrev_b16 v8, 8, v18
	s_mov_b32 s23, exec_lo
	v_cmpx_ne_u16_e32 0, v8
	s_cbranch_execz .LBB254_584
; %bb.577:                              ;   in Loop: Header=BB254_369 Depth=1
	v_bfrev_b32_e32 v1, 1
	s_mov_b32 s24, exec_lo
	v_cmpx_ne_u16_e32 0x80, v8
	s_cbranch_execz .LBB254_583
; %bb.578:                              ;   in Loop: Header=BB254_369 Depth=1
	v_and_b32_e32 v17, 0xffff, v8
	v_mov_b32_e32 v1, 0x7c010000
	s_mov_b32 s25, exec_lo
	s_delay_alu instid0(VALU_DEP_2) | instskip(NEXT) | instid1(VALU_DEP_1)
	v_and_b32_e32 v21, 0x7f, v17
	v_cmpx_ne_u32_e32 0x7f, v21
	s_cbranch_execz .LBB254_582
; %bb.579:                              ;   in Loop: Header=BB254_369 Depth=1
	v_and_b32_e32 v1, 7, v17
	v_lshrrev_b32_e32 v20, 3, v21
	s_mov_b32 s26, exec_lo
	v_cmpx_gt_u32_e32 8, v21
; %bb.580:                              ;   in Loop: Header=BB254_369 Depth=1
	s_delay_alu instid0(VALU_DEP_3) | instskip(NEXT) | instid1(VALU_DEP_1)
	v_clz_i32_u32_e32 v1, v1
	v_min_u32_e32 v1, 32, v1
	s_delay_alu instid0(VALU_DEP_1) | instskip(NEXT) | instid1(VALU_DEP_1)
	v_subrev_nc_u32_e32 v20, 28, v1
	v_lshlrev_b64_e32 v[22:23], v20, v[8:9]
	s_delay_alu instid0(VALU_DEP_1)
	v_dual_sub_nc_u32 v20, 29, v1 :: v_dual_bitop2_b32 v1, 7, v22 bitop3:0x40
; %bb.581:                              ;   in Loop: Header=BB254_369 Depth=1
	s_or_b32 exec_lo, exec_lo, s26
	v_lshlrev_b32_e32 v8, 8, v17
	s_delay_alu instid0(VALU_DEP_2) | instskip(NEXT) | instid1(VALU_DEP_3)
	v_lshl_add_u32 v17, v20, 10, 0x2000
	v_lshlrev_b32_e32 v1, 23, v1
	s_delay_alu instid0(VALU_DEP_2) | instskip(NEXT) | instid1(VALU_DEP_1)
	v_and_or_b32 v8, 0x8000, v8, v17
	v_lshl_or_b32 v1, v8, 16, v1
.LBB254_582:                            ;   in Loop: Header=BB254_369 Depth=1
	s_or_b32 exec_lo, exec_lo, s25
.LBB254_583:                            ;   in Loop: Header=BB254_369 Depth=1
	s_delay_alu instid0(SALU_CYCLE_1)
	s_or_b32 exec_lo, exec_lo, s24
.LBB254_584:                            ;   in Loop: Header=BB254_369 Depth=1
	s_delay_alu instid0(SALU_CYCLE_1) | instskip(SKIP_3) | instid1(VALU_DEP_2)
	s_or_b32 exec_lo, exec_lo, s23
	v_dual_mov_b32 v17, 0 :: v_dual_lshrrev_b32 v8, 16, v18
	v_mov_b32_e32 v20, 0
	s_mov_b32 s23, exec_lo
	v_and_b32_e32 v21, 0xff, v8
	s_delay_alu instid0(VALU_DEP_1)
	v_cmpx_ne_u16_e32 0, v21
	s_cbranch_execz .LBB254_592
; %bb.585:                              ;   in Loop: Header=BB254_369 Depth=1
	v_mov_b32_e32 v20, 0x8000
	s_mov_b32 s24, exec_lo
	v_cmpx_ne_u16_e32 0x80, v21
	s_cbranch_execz .LBB254_591
; %bb.586:                              ;   in Loop: Header=BB254_369 Depth=1
	v_bfe_u32 v22, v18, 16, 7
	v_mov_b32_e32 v20, 0x7c01
	s_mov_b32 s25, exec_lo
	s_delay_alu instid0(VALU_DEP_2)
	v_cmpx_ne_u32_e32 0x7f, v22
	s_cbranch_execz .LBB254_590
; %bb.587:                              ;   in Loop: Header=BB254_369 Depth=1
	v_dual_lshrrev_b32 v21, 3, v22 :: v_dual_bitop2_b32 v20, 7, v8 bitop3:0x40
	s_mov_b32 s26, exec_lo
	v_cmpx_gt_u32_e32 8, v22
; %bb.588:                              ;   in Loop: Header=BB254_369 Depth=1
	s_delay_alu instid0(VALU_DEP_2) | instskip(NEXT) | instid1(VALU_DEP_1)
	v_clz_i32_u32_e32 v20, v20
	v_min_u32_e32 v22, 32, v20
	s_delay_alu instid0(VALU_DEP_1) | instskip(NEXT) | instid1(VALU_DEP_1)
	v_subrev_nc_u32_e32 v20, 28, v22
	v_lshlrev_b64_e32 v[20:21], v20, v[8:9]
	s_delay_alu instid0(VALU_DEP_1)
	v_dual_sub_nc_u32 v21, 29, v22 :: v_dual_bitop2_b32 v20, 7, v20 bitop3:0x40
; %bb.589:                              ;   in Loop: Header=BB254_369 Depth=1
	s_or_b32 exec_lo, exec_lo, s26
	v_lshlrev_b32_e32 v8, 8, v8
	s_delay_alu instid0(VALU_DEP_2) | instskip(NEXT) | instid1(VALU_DEP_3)
	v_lshl_add_u32 v21, v21, 10, 0x2000
	v_lshlrev_b32_e32 v20, 7, v20
	s_delay_alu instid0(VALU_DEP_3) | instskip(NEXT) | instid1(VALU_DEP_3)
	v_and_b32_e32 v8, 0x8000, v8
	v_and_b32_e32 v21, 0xfc00, v21
	s_delay_alu instid0(VALU_DEP_1)
	v_or3_b32 v20, v8, v21, v20
.LBB254_590:                            ;   in Loop: Header=BB254_369 Depth=1
	s_or_b32 exec_lo, exec_lo, s25
.LBB254_591:                            ;   in Loop: Header=BB254_369 Depth=1
	s_delay_alu instid0(SALU_CYCLE_1)
	s_or_b32 exec_lo, exec_lo, s24
.LBB254_592:                            ;   in Loop: Header=BB254_369 Depth=1
	s_delay_alu instid0(SALU_CYCLE_1) | instskip(NEXT) | instid1(SALU_CYCLE_1)
	s_or_b32 exec_lo, exec_lo, s23
	s_mov_b32 s23, exec_lo
	v_cmpx_lt_u32_e32 0xffffff, v18
	s_cbranch_execz .LBB254_600
; %bb.593:                              ;   in Loop: Header=BB254_369 Depth=1
	v_lshrrev_b32_e32 v8, 24, v18
	v_bfrev_b32_e32 v17, 1
	s_mov_b32 s24, exec_lo
	s_delay_alu instid0(VALU_DEP_2)
	v_cmpx_ne_u32_e32 0x80, v8
	s_cbranch_execz .LBB254_599
; %bb.594:                              ;   in Loop: Header=BB254_369 Depth=1
	v_and_b32_e32 v22, 0x7f, v8
	v_mov_b32_e32 v17, 0x7c010000
	s_mov_b32 s25, exec_lo
	s_delay_alu instid0(VALU_DEP_2)
	v_cmpx_ne_u32_e32 0x7f, v22
	s_cbranch_execz .LBB254_598
; %bb.595:                              ;   in Loop: Header=BB254_369 Depth=1
	v_dual_lshrrev_b32 v21, 3, v22 :: v_dual_bitop2_b32 v17, 7, v8 bitop3:0x40
	s_mov_b32 s26, exec_lo
	v_cmpx_gt_u32_e32 8, v22
; %bb.596:                              ;   in Loop: Header=BB254_369 Depth=1
	s_delay_alu instid0(VALU_DEP_2) | instskip(NEXT) | instid1(VALU_DEP_1)
	v_clz_i32_u32_e32 v17, v17
	v_min_u32_e32 v17, 32, v17
	s_delay_alu instid0(VALU_DEP_1) | instskip(NEXT) | instid1(VALU_DEP_1)
	v_subrev_nc_u32_e32 v21, 28, v17
	v_lshlrev_b64_e32 v[22:23], v21, v[8:9]
	s_delay_alu instid0(VALU_DEP_1)
	v_dual_sub_nc_u32 v21, 29, v17 :: v_dual_bitop2_b32 v17, 7, v22 bitop3:0x40
; %bb.597:                              ;   in Loop: Header=BB254_369 Depth=1
	s_or_b32 exec_lo, exec_lo, s26
	s_delay_alu instid0(VALU_DEP_1) | instskip(NEXT) | instid1(VALU_DEP_2)
	v_dual_lshlrev_b32 v8, 8, v8 :: v_dual_lshlrev_b32 v17, 23, v17
	v_lshl_add_u32 v21, v21, 10, 0x2000
	s_delay_alu instid0(VALU_DEP_1) | instskip(NEXT) | instid1(VALU_DEP_1)
	v_and_or_b32 v8, 0x8000, v8, v21
	v_lshl_or_b32 v17, v8, 16, v17
.LBB254_598:                            ;   in Loop: Header=BB254_369 Depth=1
	s_or_b32 exec_lo, exec_lo, s25
.LBB254_599:                            ;   in Loop: Header=BB254_369 Depth=1
	s_delay_alu instid0(SALU_CYCLE_1)
	s_or_b32 exec_lo, exec_lo, s24
.LBB254_600:                            ;   in Loop: Header=BB254_369 Depth=1
	s_delay_alu instid0(SALU_CYCLE_1) | instskip(SKIP_4) | instid1(VALU_DEP_3)
	s_or_b32 exec_lo, exec_lo, s23
	v_and_b32_e32 v23, 0xff, v19
	v_dual_mov_b32 v8, v19 :: v_dual_mov_b32 v22, 0
	v_mov_b32_e32 v21, 0
	s_mov_b32 s23, exec_lo
	v_cmpx_ne_u16_e32 0, v23
	s_cbranch_execz .LBB254_608
; %bb.601:                              ;   in Loop: Header=BB254_369 Depth=1
	v_mov_b32_e32 v21, 0x8000
	s_mov_b32 s24, exec_lo
	v_cmpx_ne_u16_e32 0x80, v23
	s_cbranch_execz .LBB254_607
; %bb.602:                              ;   in Loop: Header=BB254_369 Depth=1
	v_and_b32_e32 v24, 0x7f, v19
	v_mov_b32_e32 v21, 0x7c01
	s_mov_b32 s25, exec_lo
	s_delay_alu instid0(VALU_DEP_2)
	v_cmpx_ne_u32_e32 0x7f, v24
	s_cbranch_execz .LBB254_606
; %bb.603:                              ;   in Loop: Header=BB254_369 Depth=1
	v_dual_lshrrev_b32 v23, 3, v24 :: v_dual_bitop2_b32 v21, 7, v19 bitop3:0x40
	s_mov_b32 s26, exec_lo
	v_cmpx_gt_u32_e32 8, v24
; %bb.604:                              ;   in Loop: Header=BB254_369 Depth=1
	s_delay_alu instid0(VALU_DEP_2) | instskip(NEXT) | instid1(VALU_DEP_1)
	v_clz_i32_u32_e32 v21, v21
	v_min_u32_e32 v21, 32, v21
	s_delay_alu instid0(VALU_DEP_1) | instskip(NEXT) | instid1(VALU_DEP_1)
	v_subrev_nc_u32_e32 v23, 28, v21
	v_lshlrev_b64_e32 v[42:43], v23, v[8:9]
	s_delay_alu instid0(VALU_DEP_1)
	v_dual_sub_nc_u32 v23, 29, v21 :: v_dual_bitop2_b32 v21, 7, v42 bitop3:0x40
; %bb.605:                              ;   in Loop: Header=BB254_369 Depth=1
	s_or_b32 exec_lo, exec_lo, s26
	s_delay_alu instid0(VALU_DEP_1) | instskip(NEXT) | instid1(VALU_DEP_2)
	v_dual_lshlrev_b32 v24, 8, v19 :: v_dual_lshlrev_b32 v21, 7, v21
	v_lshl_add_u32 v23, v23, 10, 0x2000
	s_delay_alu instid0(VALU_DEP_2) | instskip(NEXT) | instid1(VALU_DEP_2)
	v_and_b32_e32 v24, 0x8000, v24
	v_and_b32_e32 v23, 0xfc00, v23
	s_delay_alu instid0(VALU_DEP_1)
	v_or3_b32 v21, v24, v23, v21
.LBB254_606:                            ;   in Loop: Header=BB254_369 Depth=1
	s_or_b32 exec_lo, exec_lo, s25
.LBB254_607:                            ;   in Loop: Header=BB254_369 Depth=1
	s_delay_alu instid0(SALU_CYCLE_1)
	s_or_b32 exec_lo, exec_lo, s24
.LBB254_608:                            ;   in Loop: Header=BB254_369 Depth=1
	s_delay_alu instid0(SALU_CYCLE_1) | instskip(SKIP_3) | instid1(VALU_DEP_2)
	s_or_b32 exec_lo, exec_lo, s23
	v_lshrrev_b16 v8, 8, v8
	v_mov_b32_e32 v23, 0
	s_mov_b32 s23, exec_lo
	v_cmpx_ne_u16_e32 0, v8
	s_cbranch_execz .LBB254_616
; %bb.609:                              ;   in Loop: Header=BB254_369 Depth=1
	v_bfrev_b32_e32 v23, 1
	s_mov_b32 s24, exec_lo
	v_cmpx_ne_u16_e32 0x80, v8
	s_cbranch_execz .LBB254_615
; %bb.610:                              ;   in Loop: Header=BB254_369 Depth=1
	v_and_b32_e32 v24, 0xffff, v8
	v_mov_b32_e32 v23, 0x7c010000
	s_mov_b32 s25, exec_lo
	s_delay_alu instid0(VALU_DEP_2) | instskip(NEXT) | instid1(VALU_DEP_1)
	v_and_b32_e32 v43, 0x7f, v24
	v_cmpx_ne_u32_e32 0x7f, v43
	s_cbranch_execz .LBB254_614
; %bb.611:                              ;   in Loop: Header=BB254_369 Depth=1
	v_dual_lshrrev_b32 v42, 3, v43 :: v_dual_bitop2_b32 v23, 7, v24 bitop3:0x40
	s_mov_b32 s26, exec_lo
	v_cmpx_gt_u32_e32 8, v43
; %bb.612:                              ;   in Loop: Header=BB254_369 Depth=1
	s_delay_alu instid0(VALU_DEP_2) | instskip(NEXT) | instid1(VALU_DEP_1)
	v_clz_i32_u32_e32 v23, v23
	v_min_u32_e32 v23, 32, v23
	s_delay_alu instid0(VALU_DEP_1) | instskip(NEXT) | instid1(VALU_DEP_1)
	v_subrev_nc_u32_e32 v42, 28, v23
	v_lshlrev_b64_e32 v[54:55], v42, v[8:9]
	s_delay_alu instid0(VALU_DEP_1)
	v_dual_sub_nc_u32 v42, 29, v23 :: v_dual_bitop2_b32 v23, 7, v54 bitop3:0x40
; %bb.613:                              ;   in Loop: Header=BB254_369 Depth=1
	s_or_b32 exec_lo, exec_lo, s26
	s_delay_alu instid0(VALU_DEP_1) | instskip(NEXT) | instid1(VALU_DEP_2)
	v_dual_lshlrev_b32 v8, 8, v24 :: v_dual_lshlrev_b32 v23, 23, v23
	v_lshl_add_u32 v24, v42, 10, 0x2000
	s_delay_alu instid0(VALU_DEP_1) | instskip(NEXT) | instid1(VALU_DEP_1)
	v_and_or_b32 v8, 0x8000, v8, v24
	v_lshl_or_b32 v23, v8, 16, v23
.LBB254_614:                            ;   in Loop: Header=BB254_369 Depth=1
	s_or_b32 exec_lo, exec_lo, s25
.LBB254_615:                            ;   in Loop: Header=BB254_369 Depth=1
	s_delay_alu instid0(SALU_CYCLE_1)
	s_or_b32 exec_lo, exec_lo, s24
.LBB254_616:                            ;   in Loop: Header=BB254_369 Depth=1
	s_delay_alu instid0(SALU_CYCLE_1) | instskip(SKIP_2) | instid1(VALU_DEP_1)
	s_or_b32 exec_lo, exec_lo, s23
	v_lshrrev_b32_e32 v8, 16, v19
	s_mov_b32 s23, exec_lo
	v_and_b32_e32 v24, 0xff, v8
	s_delay_alu instid0(VALU_DEP_1)
	v_cmpx_ne_u16_e32 0, v24
	s_cbranch_execz .LBB254_624
; %bb.617:                              ;   in Loop: Header=BB254_369 Depth=1
	v_mov_b32_e32 v22, 0x8000
	s_mov_b32 s24, exec_lo
	v_cmpx_ne_u16_e32 0x80, v24
	s_cbranch_execz .LBB254_623
; %bb.618:                              ;   in Loop: Header=BB254_369 Depth=1
	v_bfe_u32 v42, v19, 16, 7
	v_mov_b32_e32 v22, 0x7c01
	s_mov_b32 s25, exec_lo
	s_delay_alu instid0(VALU_DEP_2)
	v_cmpx_ne_u32_e32 0x7f, v42
	s_cbranch_execz .LBB254_622
; %bb.619:                              ;   in Loop: Header=BB254_369 Depth=1
	v_dual_lshrrev_b32 v24, 3, v42 :: v_dual_bitop2_b32 v22, 7, v8 bitop3:0x40
	s_mov_b32 s26, exec_lo
	v_cmpx_gt_u32_e32 8, v42
; %bb.620:                              ;   in Loop: Header=BB254_369 Depth=1
	s_delay_alu instid0(VALU_DEP_2) | instskip(NEXT) | instid1(VALU_DEP_1)
	v_clz_i32_u32_e32 v22, v22
	v_min_u32_e32 v22, 32, v22
	s_delay_alu instid0(VALU_DEP_1) | instskip(NEXT) | instid1(VALU_DEP_1)
	v_subrev_nc_u32_e32 v24, 28, v22
	v_lshlrev_b64_e32 v[42:43], v24, v[8:9]
	v_sub_nc_u32_e32 v24, 29, v22
	s_delay_alu instid0(VALU_DEP_2)
	v_and_b32_e32 v22, 7, v42
; %bb.621:                              ;   in Loop: Header=BB254_369 Depth=1
	s_or_b32 exec_lo, exec_lo, s26
	s_delay_alu instid0(VALU_DEP_1) | instskip(NEXT) | instid1(VALU_DEP_3)
	v_dual_lshlrev_b32 v8, 8, v8 :: v_dual_lshlrev_b32 v22, 7, v22
	v_lshl_add_u32 v24, v24, 10, 0x2000
	s_delay_alu instid0(VALU_DEP_2) | instskip(NEXT) | instid1(VALU_DEP_2)
	v_and_b32_e32 v8, 0x8000, v8
	v_and_b32_e32 v24, 0xfc00, v24
	s_delay_alu instid0(VALU_DEP_1)
	v_or3_b32 v22, v8, v24, v22
.LBB254_622:                            ;   in Loop: Header=BB254_369 Depth=1
	s_or_b32 exec_lo, exec_lo, s25
.LBB254_623:                            ;   in Loop: Header=BB254_369 Depth=1
	s_delay_alu instid0(SALU_CYCLE_1)
	s_or_b32 exec_lo, exec_lo, s24
.LBB254_624:                            ;   in Loop: Header=BB254_369 Depth=1
	s_delay_alu instid0(SALU_CYCLE_1)
	s_or_b32 exec_lo, exec_lo, s23
	v_cmp_lt_u64_e64 s0, s[8:9], v[18:19]
	v_mov_b32_e32 v18, 0
	s_and_saveexec_b32 s23, s0
	s_cbranch_execz .LBB254_632
; %bb.625:                              ;   in Loop: Header=BB254_369 Depth=1
	v_lshrrev_b32_e32 v8, 24, v19
	v_bfrev_b32_e32 v18, 1
	s_mov_b32 s24, exec_lo
	s_delay_alu instid0(VALU_DEP_2)
	v_cmpx_ne_u32_e32 0x80, v8
	s_cbranch_execz .LBB254_631
; %bb.626:                              ;   in Loop: Header=BB254_369 Depth=1
	v_and_b32_e32 v24, 0x7f, v8
	v_mov_b32_e32 v18, 0x7c010000
	s_mov_b32 s25, exec_lo
	s_delay_alu instid0(VALU_DEP_2)
	v_cmpx_ne_u32_e32 0x7f, v24
	s_cbranch_execz .LBB254_630
; %bb.627:                              ;   in Loop: Header=BB254_369 Depth=1
	v_and_b32_e32 v18, 7, v8
	v_lshrrev_b32_e32 v19, 3, v24
	s_mov_b32 s26, exec_lo
	v_cmpx_gt_u32_e32 8, v24
; %bb.628:                              ;   in Loop: Header=BB254_369 Depth=1
	s_delay_alu instid0(VALU_DEP_3) | instskip(NEXT) | instid1(VALU_DEP_1)
	v_clz_i32_u32_e32 v18, v18
	v_min_u32_e32 v24, 32, v18
	s_delay_alu instid0(VALU_DEP_1) | instskip(NEXT) | instid1(VALU_DEP_1)
	v_subrev_nc_u32_e32 v18, 28, v24
	v_lshlrev_b64_e32 v[18:19], v18, v[8:9]
	s_delay_alu instid0(VALU_DEP_1)
	v_dual_sub_nc_u32 v19, 29, v24 :: v_dual_bitop2_b32 v18, 7, v18 bitop3:0x40
; %bb.629:                              ;   in Loop: Header=BB254_369 Depth=1
	s_or_b32 exec_lo, exec_lo, s26
	s_delay_alu instid0(VALU_DEP_1) | instskip(NEXT) | instid1(VALU_DEP_2)
	v_dual_lshlrev_b32 v8, 8, v8 :: v_dual_lshlrev_b32 v18, 23, v18
	v_lshl_add_u32 v19, v19, 10, 0x2000
	s_delay_alu instid0(VALU_DEP_1) | instskip(NEXT) | instid1(VALU_DEP_1)
	v_and_or_b32 v8, 0x8000, v8, v19
	v_lshl_or_b32 v18, v8, 16, v18
.LBB254_630:                            ;   in Loop: Header=BB254_369 Depth=1
	s_or_b32 exec_lo, exec_lo, s25
.LBB254_631:                            ;   in Loop: Header=BB254_369 Depth=1
	s_delay_alu instid0(SALU_CYCLE_1)
	s_or_b32 exec_lo, exec_lo, s24
.LBB254_632:                            ;   in Loop: Header=BB254_369 Depth=1
	s_delay_alu instid0(SALU_CYCLE_1) | instskip(SKIP_3) | instid1(VALU_DEP_3)
	s_or_b32 exec_lo, exec_lo, s23
	v_dual_lshrrev_b32 v8, 16, v1 :: v_dual_bitop2_b32 v1, v1, v3 bitop3:0x54
	v_dual_lshrrev_b32 v19, 16, v17 :: v_dual_bitop2_b32 v3, v17, v20 bitop3:0x54
	v_lshrrev_b32_e32 v20, 16, v18
	v_cvt_f32_f16_e32 v43, v8
	v_dual_lshrrev_b32 v17, 16, v23 :: v_dual_bitop2_b32 v8, v18, v22 bitop3:0x54
	s_delay_alu instid0(VALU_DEP_4)
	v_cvt_f32_f16_e32 v42, v19
	v_cvt_f32_f16_e32 v18, v3
	v_or_b32_e32 v3, v23, v21
	v_cvt_f32_f16_e32 v19, v1
	v_cvt_f32_f16_e32 v21, v17
	s_wait_loadcnt 0x0
	v_pk_mul_f32 v[42:43], v[16:17], v[42:43] op_sel_hi:[0,1]
	v_cvt_f32_f16_e32 v20, v20
	v_cvt_f32_f16_e32 v22, v8
	;; [unrolled: 1-line block ×3, first 2 shown]
	v_pk_mul_f32 v[18:19], v[16:17], v[18:19] op_sel_hi:[0,1]
	v_cvt_pk_f16_f32 v1, v42, v43
	v_pk_mul_f32 v[20:21], v[16:17], v[20:21] op_sel_hi:[0,1]
	s_delay_alu instid0(VALU_DEP_4) | instskip(NEXT) | instid1(VALU_DEP_4)
	v_pk_mul_f32 v[22:23], v[16:17], v[22:23] op_sel_hi:[0,1]
	v_cvt_pk_f16_f32 v3, v18, v19
	s_delay_alu instid0(VALU_DEP_4) | instskip(NEXT) | instid1(VALU_DEP_4)
	v_and_b32_e32 v17, 0xffff0000, v1
	v_cvt_pk_f16_f32 v8, v20, v21
	v_lshlrev_b32_e32 v18, 16, v1
	v_cvt_pk_f16_f32 v16, v22, v23
	v_lshrrev_b32_e32 v23, 16, v3
	v_and_b32_e32 v24, 0xffff, v3
	v_and_b32_e32 v1, 0xffff0000, v8
	s_delay_alu instid0(VALU_DEP_3) | instskip(SKIP_3) | instid1(VALU_DEP_2)
	v_dual_lshlrev_b32 v8, 16, v8 :: v_dual_bitop2_b32 v21, v17, v23 bitop3:0x54
	v_lshrrev_b32_e32 v3, 16, v16
	v_and_b32_e32 v16, 0xffff, v16
	v_or_b32_e32 v22, v18, v24
	v_or_b32_e32 v20, v8, v16
	s_delay_alu instid0(VALU_DEP_4)
	v_or_b32_e32 v19, v1, v3
	s_and_saveexec_b32 s23, vcc_lo
	s_cbranch_execz .LBB254_634
; %bb.633:                              ;   in Loop: Header=BB254_369 Depth=1
	v_cmp_gt_i32_e64 s0, s18, v34
	s_delay_alu instid0(VALU_DEP_1) | instskip(SKIP_1) | instid1(VALU_DEP_1)
	v_cndmask_b32_e64 v19, 0, v23, s0
	v_cmp_gt_i32_e64 s0, s34, v41
	v_cndmask_b32_e64 v20, 0, v24, s0
	v_cmp_gt_i32_e64 s0, s18, v40
	s_delay_alu instid0(VALU_DEP_1) | instskip(SKIP_1) | instid1(VALU_DEP_1)
	v_cndmask_b32_e64 v17, 0, v17, s0
	v_cmp_gt_i32_e64 s0, s34, v39
	v_cndmask_b32_e64 v18, 0, v18, s0
	v_cmp_gt_i32_e64 s0, s18, v38
	s_delay_alu instid0(VALU_DEP_4) | instskip(NEXT) | instid1(VALU_DEP_2)
	v_or_b32_e32 v21, v17, v19
	v_dual_cndmask_b32 v3, 0, v3, s0 :: v_dual_bitop2_b32 v22, v18, v20 bitop3:0x54
	v_cmp_gt_i32_e64 s0, s34, v37
	s_delay_alu instid0(VALU_DEP_1) | instskip(SKIP_1) | instid1(VALU_DEP_1)
	v_cndmask_b32_e64 v16, 0, v16, s0
	v_cmp_gt_i32_e64 s0, s18, v36
	v_cndmask_b32_e64 v1, 0, v1, s0
	v_cmp_gt_i32_e64 s0, s34, v35
	s_delay_alu instid0(VALU_DEP_1) | instskip(NEXT) | instid1(VALU_DEP_1)
	v_dual_cndmask_b32 v8, 0, v8, s0 :: v_dual_bitop2_b32 v19, v1, v3 bitop3:0x54
	v_or_b32_e32 v20, v8, v16
.LBB254_634:                            ;   in Loop: Header=BB254_369 Depth=1
	s_or_b32 exec_lo, exec_lo, s23
	;;#ASMSTART
	v_pk_mul_f16 v1, v48, v21;

	;;#ASMEND
	;;#ASMSTART
	v_pk_mul_f16 v3, v46, v22;

	;;#ASMEND
	;; [unrolled: 4-line block ×4, first 2 shown]
	;;#ASMSTART
	v_pk_add_f16 v1, v1, v3;

	;;#ASMEND
	;;#ASMSTART
	v_pk_add_f16 v1, v1, v8;

	;;#ASMEND
	;; [unrolled: 4-line block ×3, first 2 shown]
	v_and_b32_e32 v3, 0xffff, v1
	v_lshrrev_b32_e32 v1, 16, v1
	;;#ASMSTART
	v_cvt_f32_f16 v42, v3;
	;;#ASMEND
	v_mov_b32_e32 v3, 0
	;;#ASMSTART
	v_cvt_f32_f16 v43, v1;
	;;#ASMEND
	global_load_b64 v[16:17], v[14:15], off offset:1024
	v_mov_b32_e32 v1, 0
	s_mov_b32 s23, exec_lo
	global_load_b32 v14, v1, s[10:11]
	s_wait_loadcnt 0x1
	v_and_b32_e32 v8, 0xff, v16
	s_wait_xcnt 0x0
	s_delay_alu instid0(VALU_DEP_1)
	v_cmpx_ne_u16_e32 0, v8
	s_cbranch_execz .LBB254_642
; %bb.635:                              ;   in Loop: Header=BB254_369 Depth=1
	v_mov_b32_e32 v3, 0x8000
	s_mov_b32 s24, exec_lo
	v_cmpx_ne_u16_e32 0x80, v8
	s_cbranch_execz .LBB254_641
; %bb.636:                              ;   in Loop: Header=BB254_369 Depth=1
	v_and_b32_e32 v15, 0x7f, v16
	v_mov_b32_e32 v3, 0x7c01
	s_mov_b32 s25, exec_lo
	s_delay_alu instid0(VALU_DEP_2)
	v_cmpx_ne_u32_e32 0x7f, v15
	s_cbranch_execz .LBB254_640
; %bb.637:                              ;   in Loop: Header=BB254_369 Depth=1
	v_dual_lshrrev_b32 v8, 3, v15 :: v_dual_bitop2_b32 v3, 7, v16 bitop3:0x40
	s_mov_b32 s26, exec_lo
	v_cmpx_gt_u32_e32 8, v15
; %bb.638:                              ;   in Loop: Header=BB254_369 Depth=1
	s_delay_alu instid0(VALU_DEP_2) | instskip(NEXT) | instid1(VALU_DEP_1)
	v_clz_i32_u32_e32 v3, v3
	v_min_u32_e32 v3, 32, v3
	s_delay_alu instid0(VALU_DEP_1) | instskip(NEXT) | instid1(VALU_DEP_1)
	v_subrev_nc_u32_e32 v8, 28, v3
	v_lshlrev_b64_e32 v[18:19], v8, v[16:17]
	s_delay_alu instid0(VALU_DEP_1)
	v_dual_sub_nc_u32 v8, 29, v3 :: v_dual_bitop2_b32 v3, 7, v18 bitop3:0x40
; %bb.639:                              ;   in Loop: Header=BB254_369 Depth=1
	s_or_b32 exec_lo, exec_lo, s26
	s_delay_alu instid0(VALU_DEP_1) | instskip(NEXT) | instid1(VALU_DEP_2)
	v_dual_lshlrev_b32 v15, 8, v16 :: v_dual_lshlrev_b32 v3, 7, v3
	v_lshl_add_u32 v8, v8, 10, 0x2000
	s_delay_alu instid0(VALU_DEP_2) | instskip(NEXT) | instid1(VALU_DEP_2)
	v_and_b32_e32 v15, 0x8000, v15
	v_and_b32_e32 v8, 0xfc00, v8
	s_delay_alu instid0(VALU_DEP_1)
	v_or3_b32 v3, v15, v8, v3
.LBB254_640:                            ;   in Loop: Header=BB254_369 Depth=1
	s_or_b32 exec_lo, exec_lo, s25
.LBB254_641:                            ;   in Loop: Header=BB254_369 Depth=1
	s_delay_alu instid0(SALU_CYCLE_1)
	s_or_b32 exec_lo, exec_lo, s24
.LBB254_642:                            ;   in Loop: Header=BB254_369 Depth=1
	s_delay_alu instid0(SALU_CYCLE_1) | instskip(SKIP_2) | instid1(VALU_DEP_1)
	s_or_b32 exec_lo, exec_lo, s23
	v_lshrrev_b16 v8, 8, v16
	s_mov_b32 s23, exec_lo
	v_cmpx_ne_u16_e32 0, v8
	s_cbranch_execz .LBB254_650
; %bb.643:                              ;   in Loop: Header=BB254_369 Depth=1
	v_bfrev_b32_e32 v1, 1
	s_mov_b32 s24, exec_lo
	v_cmpx_ne_u16_e32 0x80, v8
	s_cbranch_execz .LBB254_649
; %bb.644:                              ;   in Loop: Header=BB254_369 Depth=1
	v_and_b32_e32 v15, 0xffff, v8
	v_mov_b32_e32 v1, 0x7c010000
	s_mov_b32 s25, exec_lo
	s_delay_alu instid0(VALU_DEP_2) | instskip(NEXT) | instid1(VALU_DEP_1)
	v_and_b32_e32 v19, 0x7f, v15
	v_cmpx_ne_u32_e32 0x7f, v19
	s_cbranch_execz .LBB254_648
; %bb.645:                              ;   in Loop: Header=BB254_369 Depth=1
	v_and_b32_e32 v1, 7, v15
	v_lshrrev_b32_e32 v18, 3, v19
	s_mov_b32 s26, exec_lo
	v_cmpx_gt_u32_e32 8, v19
; %bb.646:                              ;   in Loop: Header=BB254_369 Depth=1
	s_delay_alu instid0(VALU_DEP_3) | instskip(NEXT) | instid1(VALU_DEP_1)
	v_clz_i32_u32_e32 v1, v1
	v_min_u32_e32 v1, 32, v1
	s_delay_alu instid0(VALU_DEP_1) | instskip(NEXT) | instid1(VALU_DEP_1)
	v_subrev_nc_u32_e32 v18, 28, v1
	v_lshlrev_b64_e32 v[20:21], v18, v[8:9]
	s_delay_alu instid0(VALU_DEP_1)
	v_dual_sub_nc_u32 v18, 29, v1 :: v_dual_bitop2_b32 v1, 7, v20 bitop3:0x40
; %bb.647:                              ;   in Loop: Header=BB254_369 Depth=1
	s_or_b32 exec_lo, exec_lo, s26
	s_delay_alu instid0(VALU_DEP_1) | instskip(NEXT) | instid1(VALU_DEP_2)
	v_dual_lshlrev_b32 v8, 8, v15 :: v_dual_lshlrev_b32 v1, 23, v1
	v_lshl_add_u32 v15, v18, 10, 0x2000
	s_delay_alu instid0(VALU_DEP_1) | instskip(NEXT) | instid1(VALU_DEP_1)
	v_and_or_b32 v8, 0x8000, v8, v15
	v_lshl_or_b32 v1, v8, 16, v1
.LBB254_648:                            ;   in Loop: Header=BB254_369 Depth=1
	s_or_b32 exec_lo, exec_lo, s25
.LBB254_649:                            ;   in Loop: Header=BB254_369 Depth=1
	s_delay_alu instid0(SALU_CYCLE_1)
	s_or_b32 exec_lo, exec_lo, s24
.LBB254_650:                            ;   in Loop: Header=BB254_369 Depth=1
	s_delay_alu instid0(SALU_CYCLE_1) | instskip(SKIP_3) | instid1(VALU_DEP_2)
	s_or_b32 exec_lo, exec_lo, s23
	v_dual_mov_b32 v15, 0 :: v_dual_lshrrev_b32 v8, 16, v16
	v_mov_b32_e32 v18, 0
	s_mov_b32 s23, exec_lo
	v_and_b32_e32 v19, 0xff, v8
	s_delay_alu instid0(VALU_DEP_1)
	v_cmpx_ne_u16_e32 0, v19
	s_cbranch_execz .LBB254_658
; %bb.651:                              ;   in Loop: Header=BB254_369 Depth=1
	v_mov_b32_e32 v18, 0x8000
	s_mov_b32 s24, exec_lo
	v_cmpx_ne_u16_e32 0x80, v19
	s_cbranch_execz .LBB254_657
; %bb.652:                              ;   in Loop: Header=BB254_369 Depth=1
	v_bfe_u32 v20, v16, 16, 7
	v_mov_b32_e32 v18, 0x7c01
	s_mov_b32 s25, exec_lo
	s_delay_alu instid0(VALU_DEP_2)
	v_cmpx_ne_u32_e32 0x7f, v20
	s_cbranch_execz .LBB254_656
; %bb.653:                              ;   in Loop: Header=BB254_369 Depth=1
	v_and_b32_e32 v18, 7, v8
	v_lshrrev_b32_e32 v19, 3, v20
	s_mov_b32 s26, exec_lo
	v_cmpx_gt_u32_e32 8, v20
; %bb.654:                              ;   in Loop: Header=BB254_369 Depth=1
	s_delay_alu instid0(VALU_DEP_3) | instskip(NEXT) | instid1(VALU_DEP_1)
	v_clz_i32_u32_e32 v18, v18
	v_min_u32_e32 v20, 32, v18
	s_delay_alu instid0(VALU_DEP_1) | instskip(NEXT) | instid1(VALU_DEP_1)
	v_subrev_nc_u32_e32 v18, 28, v20
	v_lshlrev_b64_e32 v[18:19], v18, v[8:9]
	s_delay_alu instid0(VALU_DEP_1)
	v_dual_sub_nc_u32 v19, 29, v20 :: v_dual_bitop2_b32 v18, 7, v18 bitop3:0x40
; %bb.655:                              ;   in Loop: Header=BB254_369 Depth=1
	s_or_b32 exec_lo, exec_lo, s26
	s_delay_alu instid0(VALU_DEP_1) | instskip(NEXT) | instid1(VALU_DEP_2)
	v_dual_lshlrev_b32 v8, 8, v8 :: v_dual_lshlrev_b32 v18, 7, v18
	v_lshl_add_u32 v19, v19, 10, 0x2000
	s_delay_alu instid0(VALU_DEP_2) | instskip(NEXT) | instid1(VALU_DEP_2)
	v_and_b32_e32 v8, 0x8000, v8
	v_and_b32_e32 v19, 0xfc00, v19
	s_delay_alu instid0(VALU_DEP_1)
	v_or3_b32 v18, v8, v19, v18
.LBB254_656:                            ;   in Loop: Header=BB254_369 Depth=1
	s_or_b32 exec_lo, exec_lo, s25
.LBB254_657:                            ;   in Loop: Header=BB254_369 Depth=1
	s_delay_alu instid0(SALU_CYCLE_1)
	s_or_b32 exec_lo, exec_lo, s24
.LBB254_658:                            ;   in Loop: Header=BB254_369 Depth=1
	s_delay_alu instid0(SALU_CYCLE_1) | instskip(NEXT) | instid1(SALU_CYCLE_1)
	s_or_b32 exec_lo, exec_lo, s23
	s_mov_b32 s23, exec_lo
	v_cmpx_lt_u32_e32 0xffffff, v16
	s_cbranch_execz .LBB254_666
; %bb.659:                              ;   in Loop: Header=BB254_369 Depth=1
	v_lshrrev_b32_e32 v8, 24, v16
	v_bfrev_b32_e32 v15, 1
	s_mov_b32 s24, exec_lo
	s_delay_alu instid0(VALU_DEP_2)
	v_cmpx_ne_u32_e32 0x80, v8
	s_cbranch_execz .LBB254_665
; %bb.660:                              ;   in Loop: Header=BB254_369 Depth=1
	v_and_b32_e32 v20, 0x7f, v8
	v_mov_b32_e32 v15, 0x7c010000
	s_mov_b32 s25, exec_lo
	s_delay_alu instid0(VALU_DEP_2)
	v_cmpx_ne_u32_e32 0x7f, v20
	s_cbranch_execz .LBB254_664
; %bb.661:                              ;   in Loop: Header=BB254_369 Depth=1
	v_and_b32_e32 v15, 7, v8
	v_lshrrev_b32_e32 v19, 3, v20
	s_mov_b32 s26, exec_lo
	v_cmpx_gt_u32_e32 8, v20
; %bb.662:                              ;   in Loop: Header=BB254_369 Depth=1
	s_delay_alu instid0(VALU_DEP_3) | instskip(NEXT) | instid1(VALU_DEP_1)
	v_clz_i32_u32_e32 v15, v15
	v_min_u32_e32 v15, 32, v15
	s_delay_alu instid0(VALU_DEP_1) | instskip(NEXT) | instid1(VALU_DEP_1)
	v_subrev_nc_u32_e32 v19, 28, v15
	v_lshlrev_b64_e32 v[20:21], v19, v[8:9]
	s_delay_alu instid0(VALU_DEP_1)
	v_dual_sub_nc_u32 v19, 29, v15 :: v_dual_bitop2_b32 v15, 7, v20 bitop3:0x40
; %bb.663:                              ;   in Loop: Header=BB254_369 Depth=1
	s_or_b32 exec_lo, exec_lo, s26
	s_delay_alu instid0(VALU_DEP_1) | instskip(NEXT) | instid1(VALU_DEP_2)
	v_dual_lshlrev_b32 v8, 8, v8 :: v_dual_lshlrev_b32 v15, 23, v15
	v_lshl_add_u32 v19, v19, 10, 0x2000
	s_delay_alu instid0(VALU_DEP_1) | instskip(NEXT) | instid1(VALU_DEP_1)
	v_and_or_b32 v8, 0x8000, v8, v19
	v_lshl_or_b32 v15, v8, 16, v15
.LBB254_664:                            ;   in Loop: Header=BB254_369 Depth=1
	s_or_b32 exec_lo, exec_lo, s25
.LBB254_665:                            ;   in Loop: Header=BB254_369 Depth=1
	s_delay_alu instid0(SALU_CYCLE_1)
	s_or_b32 exec_lo, exec_lo, s24
.LBB254_666:                            ;   in Loop: Header=BB254_369 Depth=1
	s_delay_alu instid0(SALU_CYCLE_1) | instskip(SKIP_4) | instid1(VALU_DEP_3)
	s_or_b32 exec_lo, exec_lo, s23
	v_and_b32_e32 v21, 0xff, v17
	v_dual_mov_b32 v8, v17 :: v_dual_mov_b32 v20, 0
	v_mov_b32_e32 v19, 0
	s_mov_b32 s23, exec_lo
	v_cmpx_ne_u16_e32 0, v21
	s_cbranch_execz .LBB254_674
; %bb.667:                              ;   in Loop: Header=BB254_369 Depth=1
	v_mov_b32_e32 v19, 0x8000
	s_mov_b32 s24, exec_lo
	v_cmpx_ne_u16_e32 0x80, v21
	s_cbranch_execz .LBB254_673
; %bb.668:                              ;   in Loop: Header=BB254_369 Depth=1
	v_and_b32_e32 v22, 0x7f, v17
	v_mov_b32_e32 v19, 0x7c01
	s_mov_b32 s25, exec_lo
	s_delay_alu instid0(VALU_DEP_2)
	v_cmpx_ne_u32_e32 0x7f, v22
	s_cbranch_execz .LBB254_672
; %bb.669:                              ;   in Loop: Header=BB254_369 Depth=1
	v_dual_lshrrev_b32 v21, 3, v22 :: v_dual_bitop2_b32 v19, 7, v17 bitop3:0x40
	s_mov_b32 s26, exec_lo
	v_cmpx_gt_u32_e32 8, v22
; %bb.670:                              ;   in Loop: Header=BB254_369 Depth=1
	s_delay_alu instid0(VALU_DEP_2) | instskip(NEXT) | instid1(VALU_DEP_1)
	v_clz_i32_u32_e32 v19, v19
	v_min_u32_e32 v19, 32, v19
	s_delay_alu instid0(VALU_DEP_1) | instskip(NEXT) | instid1(VALU_DEP_1)
	v_subrev_nc_u32_e32 v21, 28, v19
	v_lshlrev_b64_e32 v[22:23], v21, v[8:9]
	s_delay_alu instid0(VALU_DEP_1)
	v_dual_sub_nc_u32 v21, 29, v19 :: v_dual_bitop2_b32 v19, 7, v22 bitop3:0x40
; %bb.671:                              ;   in Loop: Header=BB254_369 Depth=1
	s_or_b32 exec_lo, exec_lo, s26
	s_delay_alu instid0(VALU_DEP_1) | instskip(NEXT) | instid1(VALU_DEP_2)
	v_dual_lshlrev_b32 v22, 8, v17 :: v_dual_lshlrev_b32 v19, 7, v19
	v_lshl_add_u32 v21, v21, 10, 0x2000
	s_delay_alu instid0(VALU_DEP_2) | instskip(NEXT) | instid1(VALU_DEP_2)
	v_and_b32_e32 v22, 0x8000, v22
	v_and_b32_e32 v21, 0xfc00, v21
	s_delay_alu instid0(VALU_DEP_1)
	v_or3_b32 v19, v22, v21, v19
.LBB254_672:                            ;   in Loop: Header=BB254_369 Depth=1
	s_or_b32 exec_lo, exec_lo, s25
.LBB254_673:                            ;   in Loop: Header=BB254_369 Depth=1
	s_delay_alu instid0(SALU_CYCLE_1)
	s_or_b32 exec_lo, exec_lo, s24
.LBB254_674:                            ;   in Loop: Header=BB254_369 Depth=1
	s_delay_alu instid0(SALU_CYCLE_1) | instskip(SKIP_3) | instid1(VALU_DEP_2)
	s_or_b32 exec_lo, exec_lo, s23
	v_lshrrev_b16 v8, 8, v8
	v_mov_b32_e32 v21, 0
	s_mov_b32 s23, exec_lo
	v_cmpx_ne_u16_e32 0, v8
	s_cbranch_execz .LBB254_682
; %bb.675:                              ;   in Loop: Header=BB254_369 Depth=1
	v_bfrev_b32_e32 v21, 1
	s_mov_b32 s24, exec_lo
	v_cmpx_ne_u16_e32 0x80, v8
	s_cbranch_execz .LBB254_681
; %bb.676:                              ;   in Loop: Header=BB254_369 Depth=1
	v_and_b32_e32 v22, 0xffff, v8
	v_mov_b32_e32 v21, 0x7c010000
	s_mov_b32 s25, exec_lo
	s_delay_alu instid0(VALU_DEP_2) | instskip(NEXT) | instid1(VALU_DEP_1)
	v_and_b32_e32 v24, 0x7f, v22
	v_cmpx_ne_u32_e32 0x7f, v24
	s_cbranch_execz .LBB254_680
; %bb.677:                              ;   in Loop: Header=BB254_369 Depth=1
	v_dual_lshrrev_b32 v23, 3, v24 :: v_dual_bitop2_b32 v21, 7, v22 bitop3:0x40
	s_mov_b32 s26, exec_lo
	v_cmpx_gt_u32_e32 8, v24
; %bb.678:                              ;   in Loop: Header=BB254_369 Depth=1
	s_delay_alu instid0(VALU_DEP_2) | instskip(NEXT) | instid1(VALU_DEP_1)
	v_clz_i32_u32_e32 v21, v21
	v_min_u32_e32 v21, 32, v21
	s_delay_alu instid0(VALU_DEP_1) | instskip(NEXT) | instid1(VALU_DEP_1)
	v_subrev_nc_u32_e32 v23, 28, v21
	v_lshlrev_b64_e32 v[54:55], v23, v[8:9]
	s_delay_alu instid0(VALU_DEP_1)
	v_dual_sub_nc_u32 v23, 29, v21 :: v_dual_bitop2_b32 v21, 7, v54 bitop3:0x40
; %bb.679:                              ;   in Loop: Header=BB254_369 Depth=1
	s_or_b32 exec_lo, exec_lo, s26
	s_delay_alu instid0(VALU_DEP_1) | instskip(NEXT) | instid1(VALU_DEP_2)
	v_dual_lshlrev_b32 v8, 8, v22 :: v_dual_lshlrev_b32 v21, 23, v21
	v_lshl_add_u32 v22, v23, 10, 0x2000
	s_delay_alu instid0(VALU_DEP_1) | instskip(NEXT) | instid1(VALU_DEP_1)
	v_and_or_b32 v8, 0x8000, v8, v22
	v_lshl_or_b32 v21, v8, 16, v21
.LBB254_680:                            ;   in Loop: Header=BB254_369 Depth=1
	s_or_b32 exec_lo, exec_lo, s25
.LBB254_681:                            ;   in Loop: Header=BB254_369 Depth=1
	s_delay_alu instid0(SALU_CYCLE_1)
	s_or_b32 exec_lo, exec_lo, s24
.LBB254_682:                            ;   in Loop: Header=BB254_369 Depth=1
	s_delay_alu instid0(SALU_CYCLE_1) | instskip(SKIP_2) | instid1(VALU_DEP_1)
	s_or_b32 exec_lo, exec_lo, s23
	v_lshrrev_b32_e32 v8, 16, v17
	s_mov_b32 s23, exec_lo
	v_and_b32_e32 v22, 0xff, v8
	s_delay_alu instid0(VALU_DEP_1)
	v_cmpx_ne_u16_e32 0, v22
	s_cbranch_execz .LBB254_690
; %bb.683:                              ;   in Loop: Header=BB254_369 Depth=1
	v_mov_b32_e32 v20, 0x8000
	s_mov_b32 s24, exec_lo
	v_cmpx_ne_u16_e32 0x80, v22
	s_cbranch_execz .LBB254_689
; %bb.684:                              ;   in Loop: Header=BB254_369 Depth=1
	v_bfe_u32 v23, v17, 16, 7
	v_mov_b32_e32 v20, 0x7c01
	s_mov_b32 s25, exec_lo
	s_delay_alu instid0(VALU_DEP_2)
	v_cmpx_ne_u32_e32 0x7f, v23
	s_cbranch_execz .LBB254_688
; %bb.685:                              ;   in Loop: Header=BB254_369 Depth=1
	v_dual_lshrrev_b32 v22, 3, v23 :: v_dual_bitop2_b32 v20, 7, v8 bitop3:0x40
	s_mov_b32 s26, exec_lo
	v_cmpx_gt_u32_e32 8, v23
; %bb.686:                              ;   in Loop: Header=BB254_369 Depth=1
	s_delay_alu instid0(VALU_DEP_2) | instskip(NEXT) | instid1(VALU_DEP_1)
	v_clz_i32_u32_e32 v20, v20
	v_min_u32_e32 v20, 32, v20
	s_delay_alu instid0(VALU_DEP_1) | instskip(NEXT) | instid1(VALU_DEP_1)
	v_subrev_nc_u32_e32 v22, 28, v20
	v_lshlrev_b64_e32 v[54:55], v22, v[8:9]
	s_delay_alu instid0(VALU_DEP_1)
	v_dual_sub_nc_u32 v22, 29, v20 :: v_dual_bitop2_b32 v20, 7, v54 bitop3:0x40
; %bb.687:                              ;   in Loop: Header=BB254_369 Depth=1
	s_or_b32 exec_lo, exec_lo, s26
	v_lshlrev_b32_e32 v8, 8, v8
	s_delay_alu instid0(VALU_DEP_2) | instskip(NEXT) | instid1(VALU_DEP_3)
	v_lshl_add_u32 v22, v22, 10, 0x2000
	v_lshlrev_b32_e32 v20, 7, v20
	s_delay_alu instid0(VALU_DEP_3) | instskip(NEXT) | instid1(VALU_DEP_3)
	v_and_b32_e32 v8, 0x8000, v8
	v_and_b32_e32 v22, 0xfc00, v22
	s_delay_alu instid0(VALU_DEP_1)
	v_or3_b32 v20, v8, v22, v20
.LBB254_688:                            ;   in Loop: Header=BB254_369 Depth=1
	s_or_b32 exec_lo, exec_lo, s25
.LBB254_689:                            ;   in Loop: Header=BB254_369 Depth=1
	s_delay_alu instid0(SALU_CYCLE_1)
	s_or_b32 exec_lo, exec_lo, s24
.LBB254_690:                            ;   in Loop: Header=BB254_369 Depth=1
	s_delay_alu instid0(SALU_CYCLE_1)
	s_or_b32 exec_lo, exec_lo, s23
	v_cmp_lt_u64_e64 s0, s[8:9], v[16:17]
	v_mov_b32_e32 v16, 0
	s_and_saveexec_b32 s23, s0
	s_cbranch_execz .LBB254_698
; %bb.691:                              ;   in Loop: Header=BB254_369 Depth=1
	v_lshrrev_b32_e32 v8, 24, v17
	v_bfrev_b32_e32 v16, 1
	s_mov_b32 s24, exec_lo
	s_delay_alu instid0(VALU_DEP_2)
	v_cmpx_ne_u32_e32 0x80, v8
	s_cbranch_execz .LBB254_697
; %bb.692:                              ;   in Loop: Header=BB254_369 Depth=1
	v_and_b32_e32 v22, 0x7f, v8
	v_mov_b32_e32 v16, 0x7c010000
	s_mov_b32 s25, exec_lo
	s_delay_alu instid0(VALU_DEP_2)
	v_cmpx_ne_u32_e32 0x7f, v22
	s_cbranch_execz .LBB254_696
; %bb.693:                              ;   in Loop: Header=BB254_369 Depth=1
	v_dual_lshrrev_b32 v17, 3, v22 :: v_dual_bitop2_b32 v16, 7, v8 bitop3:0x40
	s_mov_b32 s26, exec_lo
	v_cmpx_gt_u32_e32 8, v22
; %bb.694:                              ;   in Loop: Header=BB254_369 Depth=1
	s_delay_alu instid0(VALU_DEP_2) | instskip(NEXT) | instid1(VALU_DEP_1)
	v_clz_i32_u32_e32 v16, v16
	v_min_u32_e32 v22, 32, v16
	s_delay_alu instid0(VALU_DEP_1) | instskip(NEXT) | instid1(VALU_DEP_1)
	v_subrev_nc_u32_e32 v16, 28, v22
	v_lshlrev_b64_e32 v[16:17], v16, v[8:9]
	s_delay_alu instid0(VALU_DEP_1)
	v_dual_sub_nc_u32 v17, 29, v22 :: v_dual_bitop2_b32 v16, 7, v16 bitop3:0x40
; %bb.695:                              ;   in Loop: Header=BB254_369 Depth=1
	s_or_b32 exec_lo, exec_lo, s26
	v_lshlrev_b32_e32 v8, 8, v8
	s_delay_alu instid0(VALU_DEP_2) | instskip(NEXT) | instid1(VALU_DEP_3)
	v_lshl_add_u32 v17, v17, 10, 0x2000
	v_lshlrev_b32_e32 v16, 23, v16
	s_delay_alu instid0(VALU_DEP_2) | instskip(NEXT) | instid1(VALU_DEP_1)
	v_and_or_b32 v8, 0x8000, v8, v17
	v_lshl_or_b32 v16, v8, 16, v16
.LBB254_696:                            ;   in Loop: Header=BB254_369 Depth=1
	s_or_b32 exec_lo, exec_lo, s25
.LBB254_697:                            ;   in Loop: Header=BB254_369 Depth=1
	s_delay_alu instid0(SALU_CYCLE_1)
	s_or_b32 exec_lo, exec_lo, s24
.LBB254_698:                            ;   in Loop: Header=BB254_369 Depth=1
	s_delay_alu instid0(SALU_CYCLE_1) | instskip(SKIP_3) | instid1(VALU_DEP_3)
	s_or_b32 exec_lo, exec_lo, s23
	v_dual_lshrrev_b32 v8, 16, v1 :: v_dual_lshrrev_b32 v17, 16, v15
	v_or_b32_e32 v1, v1, v3
	v_dual_lshrrev_b32 v18, 16, v16 :: v_dual_bitop2_b32 v3, v15, v18 bitop3:0x54
	v_cvt_f32_f16_e32 v23, v8
	s_delay_alu instid0(VALU_DEP_4) | instskip(SKIP_4) | instid1(VALU_DEP_3)
	v_cvt_f32_f16_e32 v22, v17
	v_lshrrev_b32_e32 v15, 16, v21
	v_cvt_f32_f16_e32 v17, v1
	v_cvt_f32_f16_e32 v18, v18
	s_wait_loadcnt 0x0
	v_pk_mul_f32 v[22:23], v[14:15], v[22:23] op_sel_hi:[0,1]
	s_delay_alu instid0(VALU_DEP_1) | instskip(SKIP_4) | instid1(VALU_DEP_4)
	v_cvt_pk_f16_f32 v1, v22, v23
	v_or_b32_e32 v8, v16, v20
	v_cvt_f32_f16_e32 v16, v3
	v_or_b32_e32 v3, v21, v19
	v_cvt_f32_f16_e32 v19, v15
	v_cvt_f32_f16_e32 v20, v8
	s_delay_alu instid0(VALU_DEP_4) | instskip(NEXT) | instid1(VALU_DEP_4)
	v_pk_mul_f32 v[16:17], v[14:15], v[16:17] op_sel_hi:[0,1]
	v_cvt_f32_f16_e32 v21, v3
	s_delay_alu instid0(VALU_DEP_4) | instskip(SKIP_1) | instid1(VALU_DEP_4)
	v_pk_mul_f32 v[22:23], v[14:15], v[18:19] op_sel_hi:[0,1]
	v_and_b32_e32 v19, 0xffff0000, v1
	v_cvt_pk_f16_f32 v3, v16, v17
	s_delay_alu instid0(VALU_DEP_4) | instskip(NEXT) | instid1(VALU_DEP_4)
	v_pk_mul_f32 v[14:15], v[14:15], v[20:21] op_sel_hi:[0,1]
	v_cvt_pk_f16_f32 v8, v22, v23
	v_lshlrev_b32_e32 v20, 16, v1
	s_delay_alu instid0(VALU_DEP_4) | instskip(NEXT) | instid1(VALU_DEP_4)
	v_and_b32_e32 v22, 0xffff, v3
	v_cvt_pk_f16_f32 v14, v14, v15
	v_lshrrev_b32_e32 v21, 16, v3
	v_and_b32_e32 v1, 0xffff0000, v8
	s_delay_alu instid0(VALU_DEP_4) | instskip(NEXT) | instid1(VALU_DEP_4)
	v_dual_lshlrev_b32 v8, 16, v8 :: v_dual_bitop2_b32 v16, v20, v22 bitop3:0x54
	v_lshrrev_b32_e32 v17, 16, v14
	v_and_b32_e32 v18, 0xffff, v14
	v_or_b32_e32 v15, v19, v21
	s_delay_alu instid0(VALU_DEP_3) | instskip(NEXT) | instid1(VALU_DEP_3)
	v_or_b32_e32 v3, v1, v17
	v_or_b32_e32 v14, v8, v18
	s_and_saveexec_b32 s0, vcc_lo
	s_cbranch_execz .LBB254_367
; %bb.699:                              ;   in Loop: Header=BB254_369 Depth=1
	v_cmp_gt_i32_e32 vcc_lo, s18, v34
	v_cndmask_b32_e32 v3, 0, v21, vcc_lo
	v_cmp_gt_i32_e32 vcc_lo, s34, v41
	v_cndmask_b32_e32 v14, 0, v22, vcc_lo
	;; [unrolled: 2-line block ×4, first 2 shown]
	v_cmp_gt_i32_e32 vcc_lo, s18, v38
	s_delay_alu instid0(VALU_DEP_4) | instskip(NEXT) | instid1(VALU_DEP_3)
	v_or_b32_e32 v15, v15, v3
	v_dual_cndmask_b32 v17, 0, v17, vcc_lo :: v_dual_bitop2_b32 v16, v16, v14 bitop3:0x54
	v_cmp_gt_i32_e32 vcc_lo, s34, v37
	v_cndmask_b32_e32 v18, 0, v18, vcc_lo
	v_cmp_gt_i32_e32 vcc_lo, s18, v36
	v_cndmask_b32_e32 v1, 0, v1, vcc_lo
	v_cmp_gt_i32_e32 vcc_lo, s34, v35
	s_delay_alu instid0(VALU_DEP_2) | instskip(NEXT) | instid1(VALU_DEP_1)
	v_dual_cndmask_b32 v8, 0, v8, vcc_lo :: v_dual_bitop2_b32 v3, v1, v17 bitop3:0x54
	v_or_b32_e32 v14, v8, v18
	s_branch .LBB254_367
.LBB254_700:
	s_or_b32 exec_lo, exec_lo, s19
.LBB254_701:
	s_delay_alu instid0(SALU_CYCLE_1)
	s_or_b32 exec_lo, exec_lo, s1
	ds_bpermute_b32 v2, v29, v6
	ds_bpermute_b32 v3, v29, v7
	;; [unrolled: 1-line block ×5, first 2 shown]
	v_and_b32_e32 v9, 0x3c1, v0
	v_lshrrev_b32_e32 v1, 1, v28
	s_mov_b32 s0, exec_lo
	s_wait_dscnt 0x0
	s_barrier_signal -1
	s_barrier_wait -1
	v_pk_add_f32 v[6:7], v[6:7], v[2:3]
	v_pk_add_f32 v[2:3], v[4:5], v[10:11]
	v_cmpx_ne_u32_e32 64, v9
	s_xor_b32 s0, exec_lo, s0
	s_delay_alu instid0(SALU_CYCLE_1)
	s_or_saveexec_b32 s0, s0
	v_add_f32_e32 v8, v30, v8
	v_lshl_add_u32 v4, v1, 2, 0xc0
	v_mul_u32_u24_e32 v5, 0x140, v27
	s_xor_b32 exec_lo, exec_lo, s0
	s_cbranch_execz .LBB254_703
; %bb.702:
	s_delay_alu instid0(VALU_DEP_1) | instskip(NEXT) | instid1(VALU_DEP_1)
	v_add_nc_u32_e32 v9, v4, v5
	v_add_nc_u32_e32 v10, 0xfffffd80, v9
	;; [unrolled: 1-line block ×6, first 2 shown]
	ds_store_b32 v10, v6
	ds_store_b32 v11, v7
	;; [unrolled: 1-line block ×5, first 2 shown]
.LBB254_703:
	s_or_b32 exec_lo, exec_lo, s0
	v_lshlrev_b32_e32 v1, 2, v1
	s_mov_b32 s1, exec_lo
	v_cmp_eq_u32_e32 vcc_lo, 0, v26
	s_wait_dscnt 0x0
	s_barrier_signal -1
	v_add3_u32 v1, 0xc0, v5, v1
	s_barrier_wait -1
	v_cmpx_gt_u32_e32 64, v0
	s_cbranch_execz .LBB254_711
; %bb.704:
	s_and_saveexec_b32 s0, vcc_lo
	s_cbranch_execnz .LBB254_724
; %bb.705:
	s_or_b32 exec_lo, exec_lo, s0
	s_and_saveexec_b32 s0, vcc_lo
	s_cbranch_execnz .LBB254_725
.LBB254_706:
	s_or_b32 exec_lo, exec_lo, s0
	s_and_saveexec_b32 s0, vcc_lo
	s_cbranch_execnz .LBB254_726
.LBB254_707:
	s_or_b32 exec_lo, exec_lo, s0
	s_and_saveexec_b32 s0, vcc_lo
	s_cbranch_execnz .LBB254_727
.LBB254_708:
	s_or_b32 exec_lo, exec_lo, s0
	s_and_saveexec_b32 s0, vcc_lo
	s_cbranch_execz .LBB254_710
.LBB254_709:
	ds_load_b32 v5, v1 offset:256
	s_wait_dscnt 0x0
	v_add_f32_e32 v8, v8, v5
.LBB254_710:
	s_or_b32 exec_lo, exec_lo, s0
.LBB254_711:
	s_delay_alu instid0(SALU_CYCLE_1) | instskip(SKIP_4) | instid1(VALU_DEP_1)
	s_or_b32 exec_lo, exec_lo, s1
	v_and_b32_e32 v5, 0x3e1, v0
	s_mov_b32 s1, exec_lo
	s_barrier_signal -1
	s_barrier_wait -1
	v_cmpx_eq_u32_e32 32, v5
	s_cbranch_execz .LBB254_713
; %bb.712:
	ds_store_2addr_b32 v4, v6, v7 offset1:16
	ds_store_2addr_b32 v4, v2, v3 offset0:32 offset1:48
	ds_store_b32 v4, v8 offset:256
.LBB254_713:
	s_or_b32 exec_lo, exec_lo, s1
	s_delay_alu instid0(SALU_CYCLE_1)
	s_mov_b32 s1, exec_lo
	s_wait_dscnt 0x0
	s_barrier_signal -1
	s_barrier_wait -1
	v_cmpx_gt_u32_e32 32, v0
	s_cbranch_execz .LBB254_721
; %bb.714:
	s_and_saveexec_b32 s0, vcc_lo
	s_cbranch_execnz .LBB254_728
; %bb.715:
	s_or_b32 exec_lo, exec_lo, s0
	s_and_saveexec_b32 s0, vcc_lo
	s_cbranch_execnz .LBB254_729
.LBB254_716:
	s_or_b32 exec_lo, exec_lo, s0
	s_and_saveexec_b32 s0, vcc_lo
	s_cbranch_execnz .LBB254_730
.LBB254_717:
	s_or_b32 exec_lo, exec_lo, s0
	s_and_saveexec_b32 s0, vcc_lo
	s_cbranch_execnz .LBB254_731
.LBB254_718:
	s_or_b32 exec_lo, exec_lo, s0
	s_and_saveexec_b32 s0, vcc_lo
	s_cbranch_execz .LBB254_720
.LBB254_719:
	ds_load_b32 v0, v1 offset:256
	s_wait_dscnt 0x0
	v_add_f32_e32 v8, v8, v0
.LBB254_720:
	s_or_b32 exec_lo, exec_lo, s0
.LBB254_721:
	s_delay_alu instid0(SALU_CYCLE_1)
	s_or_b32 exec_lo, exec_lo, s1
	s_mov_b32 s1, 0
	s_barrier_signal -1
	s_barrier_wait -1
	s_mov_b32 s0, exec_lo
	v_cmpx_eq_u32_e32 0, v5
	s_cbranch_execz .LBB254_723
; %bb.722:
	s_mul_i32 s0, s33, s7
	s_mul_i32 s2, s7, s6
	;; [unrolled: 1-line block ×3, first 2 shown]
	s_lshr_b32 s8, ttmp7, 16
	s_mul_i32 s6, s0, 0x50
	s_bfe_u32 s0, ttmp6, 0x40014
	s_ashr_i32 s7, s6, 31
	s_add_co_i32 s0, s0, 1
	s_ashr_i32 s3, s2, 31
	s_mul_i32 s0, s8, s0
	s_bfe_u32 s9, ttmp6, 0x40008
	s_lshl_b64 s[6:7], s[6:7], 1
	s_lshl_b64 s[2:3], s[2:3], 1
	s_add_co_i32 s9, s9, s0
	s_cmp_eq_u32 s30, 0
	s_wait_kmcnt 0x0
	s_add_nc_u64 s[4:5], s[4:5], s[6:7]
	s_cselect_b32 s0, s8, s9
	s_add_nc_u64 s[2:3], s[4:5], s[2:3]
	s_mulk_i32 s0, 0xa0
	;;#ASMSTART
	v_cvt_f16_f32 v0, v6;

	;;#ASMEND
	s_add_nc_u64 s[0:1], s[2:3], s[0:1]
	global_store_b16 v25, v0, s[0:1] scale_offset
	s_wait_xcnt 0x0
	;;#ASMSTART
	v_cvt_f16_f32 v0, v7;

	;;#ASMEND
	global_store_b16 v25, v0, s[0:1] offset:32 scale_offset
	s_wait_xcnt 0x0
	;;#ASMSTART
	v_cvt_f16_f32 v0, v2;

	;;#ASMEND
	global_store_b16 v25, v0, s[0:1] offset:64 scale_offset
	;; [unrolled: 6-line block ×4, first 2 shown]
.LBB254_723:
	s_sendmsg sendmsg(MSG_DEALLOC_VGPRS)
	s_endpgm
.LBB254_724:
	ds_load_b32 v5, v1
	s_wait_dscnt 0x0
	v_add_f32_e32 v6, v6, v5
	s_or_b32 exec_lo, exec_lo, s0
	s_and_saveexec_b32 s0, vcc_lo
	s_cbranch_execz .LBB254_706
.LBB254_725:
	ds_load_b32 v5, v1 offset:64
	s_wait_dscnt 0x0
	v_add_f32_e32 v7, v7, v5
	s_or_b32 exec_lo, exec_lo, s0
	s_and_saveexec_b32 s0, vcc_lo
	s_cbranch_execz .LBB254_707
.LBB254_726:
	ds_load_b32 v5, v1 offset:128
	s_wait_dscnt 0x0
	v_add_f32_e32 v2, v2, v5
	s_or_b32 exec_lo, exec_lo, s0
	s_and_saveexec_b32 s0, vcc_lo
	s_cbranch_execz .LBB254_708
.LBB254_727:
	ds_load_b32 v5, v1 offset:192
	s_wait_dscnt 0x0
	v_add_f32_e32 v3, v3, v5
	s_or_b32 exec_lo, exec_lo, s0
	s_and_saveexec_b32 s0, vcc_lo
	s_cbranch_execnz .LBB254_709
	s_branch .LBB254_710
.LBB254_728:
	ds_load_b32 v0, v1
	s_wait_dscnt 0x0
	v_add_f32_e32 v6, v6, v0
	s_or_b32 exec_lo, exec_lo, s0
	s_and_saveexec_b32 s0, vcc_lo
	s_cbranch_execz .LBB254_716
.LBB254_729:
	ds_load_b32 v0, v1 offset:64
	s_wait_dscnt 0x0
	v_add_f32_e32 v7, v7, v0
	s_or_b32 exec_lo, exec_lo, s0
	s_and_saveexec_b32 s0, vcc_lo
	s_cbranch_execz .LBB254_717
.LBB254_730:
	ds_load_b32 v0, v1 offset:128
	s_wait_dscnt 0x0
	v_add_f32_e32 v2, v2, v0
	s_or_b32 exec_lo, exec_lo, s0
	s_and_saveexec_b32 s0, vcc_lo
	s_cbranch_execz .LBB254_718
.LBB254_731:
	ds_load_b32 v0, v1 offset:192
	s_wait_dscnt 0x0
	v_add_f32_e32 v3, v3, v0
	s_or_b32 exec_lo, exec_lo, s0
	s_and_saveexec_b32 s0, vcc_lo
	s_cbranch_execnz .LBB254_719
	s_branch .LBB254_720
	.section	.rodata,"a",@progbits
	.p2align	6, 0x0
	.amdhsa_kernel _ZN4vllm25paged_attention_v1_kernelIthLi80ELi16ELi128ELNS_18Fp8KVCacheDataTypeE1ELb1EEEvPT_PKS2_PKT0_S8_ifPKiSA_iPKfiiiSC_SC_iiiii
		.amdhsa_group_segment_fixed_size 192
		.amdhsa_private_segment_fixed_size 0
		.amdhsa_kernarg_size 384
		.amdhsa_user_sgpr_count 2
		.amdhsa_user_sgpr_dispatch_ptr 0
		.amdhsa_user_sgpr_queue_ptr 0
		.amdhsa_user_sgpr_kernarg_segment_ptr 1
		.amdhsa_user_sgpr_dispatch_id 0
		.amdhsa_user_sgpr_kernarg_preload_length 0
		.amdhsa_user_sgpr_kernarg_preload_offset 0
		.amdhsa_user_sgpr_private_segment_size 0
		.amdhsa_wavefront_size32 1
		.amdhsa_uses_dynamic_stack 0
		.amdhsa_enable_private_segment 0
		.amdhsa_system_sgpr_workgroup_id_x 1
		.amdhsa_system_sgpr_workgroup_id_y 1
		.amdhsa_system_sgpr_workgroup_id_z 1
		.amdhsa_system_sgpr_workgroup_info 0
		.amdhsa_system_vgpr_workitem_id 0
		.amdhsa_next_free_vgpr 98
		.amdhsa_next_free_sgpr 45
		.amdhsa_named_barrier_count 0
		.amdhsa_reserve_vcc 1
		.amdhsa_float_round_mode_32 0
		.amdhsa_float_round_mode_16_64 0
		.amdhsa_float_denorm_mode_32 3
		.amdhsa_float_denorm_mode_16_64 3
		.amdhsa_fp16_overflow 0
		.amdhsa_memory_ordered 1
		.amdhsa_forward_progress 1
		.amdhsa_inst_pref_size 208
		.amdhsa_round_robin_scheduling 0
		.amdhsa_exception_fp_ieee_invalid_op 0
		.amdhsa_exception_fp_denorm_src 0
		.amdhsa_exception_fp_ieee_div_zero 0
		.amdhsa_exception_fp_ieee_overflow 0
		.amdhsa_exception_fp_ieee_underflow 0
		.amdhsa_exception_fp_ieee_inexact 0
		.amdhsa_exception_int_div_zero 0
	.end_amdhsa_kernel
	.section	.text._ZN4vllm25paged_attention_v1_kernelIthLi80ELi16ELi128ELNS_18Fp8KVCacheDataTypeE1ELb1EEEvPT_PKS2_PKT0_S8_ifPKiSA_iPKfiiiSC_SC_iiiii,"axG",@progbits,_ZN4vllm25paged_attention_v1_kernelIthLi80ELi16ELi128ELNS_18Fp8KVCacheDataTypeE1ELb1EEEvPT_PKS2_PKT0_S8_ifPKiSA_iPKfiiiSC_SC_iiiii,comdat
.Lfunc_end254:
	.size	_ZN4vllm25paged_attention_v1_kernelIthLi80ELi16ELi128ELNS_18Fp8KVCacheDataTypeE1ELb1EEEvPT_PKS2_PKT0_S8_ifPKiSA_iPKfiiiSC_SC_iiiii, .Lfunc_end254-_ZN4vllm25paged_attention_v1_kernelIthLi80ELi16ELi128ELNS_18Fp8KVCacheDataTypeE1ELb1EEEvPT_PKS2_PKT0_S8_ifPKiSA_iPKfiiiSC_SC_iiiii
                                        ; -- End function
	.set _ZN4vllm25paged_attention_v1_kernelIthLi80ELi16ELi128ELNS_18Fp8KVCacheDataTypeE1ELb1EEEvPT_PKS2_PKT0_S8_ifPKiSA_iPKfiiiSC_SC_iiiii.num_vgpr, 98
	.set _ZN4vllm25paged_attention_v1_kernelIthLi80ELi16ELi128ELNS_18Fp8KVCacheDataTypeE1ELb1EEEvPT_PKS2_PKT0_S8_ifPKiSA_iPKfiiiSC_SC_iiiii.num_agpr, 0
	.set _ZN4vllm25paged_attention_v1_kernelIthLi80ELi16ELi128ELNS_18Fp8KVCacheDataTypeE1ELb1EEEvPT_PKS2_PKT0_S8_ifPKiSA_iPKfiiiSC_SC_iiiii.numbered_sgpr, 45
	.set _ZN4vllm25paged_attention_v1_kernelIthLi80ELi16ELi128ELNS_18Fp8KVCacheDataTypeE1ELb1EEEvPT_PKS2_PKT0_S8_ifPKiSA_iPKfiiiSC_SC_iiiii.num_named_barrier, 0
	.set _ZN4vllm25paged_attention_v1_kernelIthLi80ELi16ELi128ELNS_18Fp8KVCacheDataTypeE1ELb1EEEvPT_PKS2_PKT0_S8_ifPKiSA_iPKfiiiSC_SC_iiiii.private_seg_size, 0
	.set _ZN4vllm25paged_attention_v1_kernelIthLi80ELi16ELi128ELNS_18Fp8KVCacheDataTypeE1ELb1EEEvPT_PKS2_PKT0_S8_ifPKiSA_iPKfiiiSC_SC_iiiii.uses_vcc, 1
	.set _ZN4vllm25paged_attention_v1_kernelIthLi80ELi16ELi128ELNS_18Fp8KVCacheDataTypeE1ELb1EEEvPT_PKS2_PKT0_S8_ifPKiSA_iPKfiiiSC_SC_iiiii.uses_flat_scratch, 0
	.set _ZN4vllm25paged_attention_v1_kernelIthLi80ELi16ELi128ELNS_18Fp8KVCacheDataTypeE1ELb1EEEvPT_PKS2_PKT0_S8_ifPKiSA_iPKfiiiSC_SC_iiiii.has_dyn_sized_stack, 0
	.set _ZN4vllm25paged_attention_v1_kernelIthLi80ELi16ELi128ELNS_18Fp8KVCacheDataTypeE1ELb1EEEvPT_PKS2_PKT0_S8_ifPKiSA_iPKfiiiSC_SC_iiiii.has_recursion, 0
	.set _ZN4vllm25paged_attention_v1_kernelIthLi80ELi16ELi128ELNS_18Fp8KVCacheDataTypeE1ELb1EEEvPT_PKS2_PKT0_S8_ifPKiSA_iPKfiiiSC_SC_iiiii.has_indirect_call, 0
	.section	.AMDGPU.csdata,"",@progbits
; Kernel info:
; codeLenInByte = 26600
; TotalNumSgprs: 47
; NumVgprs: 98
; ScratchSize: 0
; MemoryBound: 0
; FloatMode: 240
; IeeeMode: 1
; LDSByteSize: 192 bytes/workgroup (compile time only)
; SGPRBlocks: 0
; VGPRBlocks: 6
; NumSGPRsForWavesPerEU: 47
; NumVGPRsForWavesPerEU: 98
; NamedBarCnt: 0
; Occupancy: 9
; WaveLimiterHint : 1
; COMPUTE_PGM_RSRC2:SCRATCH_EN: 0
; COMPUTE_PGM_RSRC2:USER_SGPR: 2
; COMPUTE_PGM_RSRC2:TRAP_HANDLER: 0
; COMPUTE_PGM_RSRC2:TGID_X_EN: 1
; COMPUTE_PGM_RSRC2:TGID_Y_EN: 1
; COMPUTE_PGM_RSRC2:TGID_Z_EN: 1
; COMPUTE_PGM_RSRC2:TIDIG_COMP_CNT: 0
	.section	.text._ZN4vllm25paged_attention_v1_kernelIthLi96ELi16ELi128ELNS_18Fp8KVCacheDataTypeE1ELb1EEEvPT_PKS2_PKT0_S8_ifPKiSA_iPKfiiiSC_SC_iiiii,"axG",@progbits,_ZN4vllm25paged_attention_v1_kernelIthLi96ELi16ELi128ELNS_18Fp8KVCacheDataTypeE1ELb1EEEvPT_PKS2_PKT0_S8_ifPKiSA_iPKfiiiSC_SC_iiiii,comdat
	.protected	_ZN4vllm25paged_attention_v1_kernelIthLi96ELi16ELi128ELNS_18Fp8KVCacheDataTypeE1ELb1EEEvPT_PKS2_PKT0_S8_ifPKiSA_iPKfiiiSC_SC_iiiii ; -- Begin function _ZN4vllm25paged_attention_v1_kernelIthLi96ELi16ELi128ELNS_18Fp8KVCacheDataTypeE1ELb1EEEvPT_PKS2_PKT0_S8_ifPKiSA_iPKfiiiSC_SC_iiiii
	.globl	_ZN4vllm25paged_attention_v1_kernelIthLi96ELi16ELi128ELNS_18Fp8KVCacheDataTypeE1ELb1EEEvPT_PKS2_PKT0_S8_ifPKiSA_iPKfiiiSC_SC_iiiii
	.p2align	8
	.type	_ZN4vllm25paged_attention_v1_kernelIthLi96ELi16ELi128ELNS_18Fp8KVCacheDataTypeE1ELb1EEEvPT_PKS2_PKT0_S8_ifPKiSA_iPKfiiiSC_SC_iiiii,@function
_ZN4vllm25paged_attention_v1_kernelIthLi96ELi16ELi128ELNS_18Fp8KVCacheDataTypeE1ELb1EEEvPT_PKS2_PKT0_S8_ifPKiSA_iPKfiiiSC_SC_iiiii: ; @_ZN4vllm25paged_attention_v1_kernelIthLi96ELi16ELi128ELNS_18Fp8KVCacheDataTypeE1ELb1EEEvPT_PKS2_PKT0_S8_ifPKiSA_iPKfiiiSC_SC_iiiii
; %bb.0:
	s_load_b64 s[26:27], s[0:1], 0x20
	s_bfe_u32 s3, ttmp6, 0x4000c
	s_bfe_u32 s4, ttmp6, 0x40010
	s_and_b32 s6, ttmp7, 0xffff
	s_add_co_i32 s3, s3, 1
	s_add_co_i32 s4, s4, 1
	s_and_b32 s2, ttmp6, 15
	s_bfe_u32 s5, ttmp6, 0x40004
	s_mul_i32 s3, ttmp9, s3
	s_mul_i32 s4, s6, s4
	s_getreg_b32 s30, hwreg(HW_REG_IB_STS2, 6, 4)
	s_add_co_i32 s2, s2, s3
	s_add_co_i32 s3, s5, s4
	s_cmp_eq_u32 s30, 0
	s_clause 0x1
	s_load_b32 s31, s[0:1], 0x80
	s_load_b64 s[4:5], s[0:1], 0x30
	s_cselect_b32 s33, s6, s3
	s_cselect_b32 s2, ttmp9, s2
	s_wait_kmcnt 0x0
	s_abs_i32 s3, s26
	s_delay_alu instid0(SALU_CYCLE_1) | instskip(SKIP_1) | instid1(SALU_CYCLE_2)
	s_cvt_f32_u32 s6, s3
	s_sub_co_i32 s7, 0, s3
	v_rcp_iflag_f32_e32 v1, s6
	s_abs_i32 s8, s31
	v_nop
	s_delay_alu instid0(TRANS32_DEP_1) | instskip(SKIP_1) | instid1(SALU_CYCLE_3)
	v_readfirstlane_b32 s6, v1
	s_mul_f32 s6, s6, 0x4f7ffffe
	s_cvt_u32_f32 s6, s6
	s_delay_alu instid0(SALU_CYCLE_3) | instskip(NEXT) | instid1(SALU_CYCLE_1)
	s_mul_i32 s7, s7, s6
	s_mul_hi_u32 s7, s6, s7
	s_delay_alu instid0(SALU_CYCLE_1) | instskip(SKIP_4) | instid1(SALU_CYCLE_1)
	s_add_co_i32 s6, s6, s7
	s_xor_b32 s7, s31, s26
	s_mul_hi_u32 s6, s8, s6
	s_ashr_i32 s7, s7, 31
	s_mul_i32 s9, s6, s3
	s_sub_co_i32 s8, s8, s9
	s_add_co_i32 s9, s6, 1
	s_sub_co_i32 s10, s8, s3
	s_cmp_ge_u32 s8, s3
	s_cselect_b32 s6, s9, s6
	s_cselect_b32 s8, s10, s8
	s_add_co_i32 s9, s6, 1
	s_cmp_ge_u32 s8, s3
	s_load_b64 s[10:11], s[0:1], 0x40
	s_cselect_b32 s3, s9, s6
	s_mov_b32 s9, 0
	s_xor_b32 s3, s3, s7
	s_abs_i32 s8, s2
	s_sub_co_i32 s12, s3, s7
	s_mov_b32 s7, s9
	s_abs_i32 s19, s12
	s_mov_b32 s37, s9
	s_cvt_f32_u32 s3, s19
	s_sub_co_i32 s6, 0, s19
	s_delay_alu instid0(SALU_CYCLE_2) | instskip(SKIP_1) | instid1(TRANS32_DEP_1)
	v_rcp_iflag_f32_e32 v1, s3
	v_nop
	v_readfirstlane_b32 s3, v1
	s_mul_f32 s3, s3, 0x4f7ffffe
	s_delay_alu instid0(SALU_CYCLE_3) | instskip(NEXT) | instid1(SALU_CYCLE_3)
	s_cvt_u32_f32 s3, s3
	s_mul_i32 s6, s6, s3
	s_delay_alu instid0(SALU_CYCLE_1) | instskip(NEXT) | instid1(SALU_CYCLE_1)
	s_mul_hi_u32 s6, s3, s6
	s_add_co_i32 s6, s3, s6
	s_wait_kmcnt 0x0
	s_cmp_eq_u64 s[10:11], 0
	s_cbranch_scc1 .LBB255_2
; %bb.1:
	s_ashr_i32 s3, s2, 31
	s_delay_alu instid0(SALU_CYCLE_1) | instskip(NEXT) | instid1(SALU_CYCLE_1)
	s_lshl_b64 s[14:15], s[2:3], 2
	s_add_nc_u64 s[10:11], s[10:11], s[14:15]
	s_load_b32 s37, s[10:11], 0x0
.LBB255_2:
	s_load_b32 s34, s[4:5], s33 offset:0x0 scale_offset
	s_load_b96 s[16:18], s[0:1], 0x48
	v_dual_lshrrev_b32 v27, 1, v0 :: v_dual_bitop2_b32 v28, 1, v0 bitop3:0x40
	s_wait_xcnt 0x0
	s_mul_u64 s[4:5], s[8:9], s[6:7]
	s_ashr_i32 s3, s2, 31
	s_ashr_i32 s10, s12, 31
	s_mul_i32 s6, s2, 0x60
	s_mov_b32 s4, exec_lo
	v_cmpx_gt_u32_e32 24, v0
	s_cbranch_execz .LBB255_4
; %bb.3:
	s_load_b64 s[12:13], s[0:1], 0x8
	s_wait_kmcnt 0x0
	s_mul_i32 s14, s16, s33
	s_ashr_i32 s7, s6, 31
	s_ashr_i32 s15, s14, 31
	v_lshlrev_b32_e32 v1, 3, v27
	s_lshl_b64 s[14:15], s[14:15], 1
	s_delay_alu instid0(VALU_DEP_1) | instskip(SKIP_2) | instid1(SALU_CYCLE_1)
	v_mad_u32_u24 v1, 0x60, v28, v1
	s_add_nc_u64 s[12:13], s[12:13], s[14:15]
	s_lshl_b64 s[14:15], s[6:7], 1
	s_add_nc_u64 s[12:13], s[12:13], s[14:15]
	global_load_b64 v[2:3], v0, s[12:13] scale_offset
	s_wait_loadcnt 0x0
	ds_store_b64 v1, v[2:3]
.LBB255_4:
	s_or_b32 exec_lo, exec_lo, s4
	s_load_b128 s[12:15], s[0:1], 0x68
	s_mul_i32 s4, s5, s19
	s_xor_b32 s3, s3, s10
	s_sub_co_i32 s4, s8, s4
	s_add_co_i32 s7, s5, 1
	s_sub_co_i32 s8, s4, s19
	s_cmp_ge_u32 s4, s19
	s_mov_b32 s9, -1
	s_cselect_b32 s5, s7, s5
	s_cselect_b32 s4, s8, s4
	s_add_co_i32 s8, s5, 1
	s_cmp_ge_u32 s4, s19
	s_load_b32 s7, s[0:1], 0x78
	s_cselect_b32 s4, s8, s5
	s_wait_kmcnt 0x0
	s_add_co_i32 s8, s34, -1
	s_xor_b32 s4, s4, s3
	s_wait_dscnt 0x0
	s_sub_co_i32 s3, s4, s3
	s_barrier_signal -1
	s_barrier_wait -1
	s_abs_i32 s16, s15
	s_delay_alu instid0(SALU_CYCLE_1) | instskip(NEXT) | instid1(SALU_CYCLE_3)
	s_cvt_f32_u32 s5, s16
                                        ; implicit-def: $sgpr35
	v_rcp_iflag_f32_e32 v1, s5
	v_nop
	s_delay_alu instid0(TRANS32_DEP_1) | instskip(SKIP_1) | instid1(SALU_CYCLE_3)
	v_readfirstlane_b32 s5, v1
	s_mul_f32 s4, s5, 0x4f7ffffe
	s_cvt_u32_f32 s10, s4
	s_sub_co_i32 s4, 0, s16
	s_delay_alu instid0(SALU_CYCLE_2)
	s_mul_i32 s5, s4, s10
	s_abs_i32 s4, s8
	s_mul_hi_u32 s11, s10, s5
	s_mov_b32 s5, 0
	s_add_co_i32 s20, s10, s11
	s_cmp_lt_i32 s7, 0
	s_mov_b32 s21, s5
	s_cbranch_scc0 .LBB255_6
; %bb.5:
	s_mul_i32 s9, s12, s26
	s_delay_alu instid0(SALU_CYCLE_1) | instskip(NEXT) | instid1(SALU_CYCLE_1)
	s_add_co_i32 s9, s3, s9
	s_mul_i32 s9, s9, s7
	s_delay_alu instid0(SALU_CYCLE_1)
	s_sub_co_i32 s35, 1, s9
	s_mov_b32 s9, s5
.LBB255_6:
	s_ashr_i32 s8, s8, 31
	s_ashr_i32 s15, s15, 31
	s_and_not1_b32 vcc_lo, exec_lo, s9
	s_mul_u64 s[28:29], s[4:5], s[20:21]
	s_cbranch_vccnz .LBB255_8
; %bb.7:
	s_mul_i32 s5, s31, s12
	s_delay_alu instid0(SALU_CYCLE_1) | instskip(NEXT) | instid1(SALU_CYCLE_1)
	s_add_co_i32 s2, s5, s2
	s_mul_i32 s2, s2, s7
	s_delay_alu instid0(SALU_CYCLE_1)
	s_add_co_i32 s35, s2, 1
.LBB255_8:
	s_clause 0x1
	s_load_b32 s2, s[0:1], 0x38
	s_load_b64 s[22:23], s[0:1], 0x28
	s_mul_i32 s7, s29, s16
	s_xor_b32 s5, s8, s15
	s_sub_co_i32 s4, s4, s7
	s_add_co_i32 s12, s29, 1
	s_clause 0x1
	s_load_b32 s7, s[0:1], 0x88
	s_load_b128 s[8:11], s[0:1], 0x58
	v_dual_lshrrev_b32 v29, 5, v0 :: v_dual_lshrrev_b32 v1, 3, v0
	v_mov_b32_e32 v17, 0xff7fffff
	v_mbcnt_lo_u32_b32 v3, -1, 0
	s_mul_i32 s18, s3, s18
	s_delay_alu instid0(VALU_DEP_3)
	v_lshlrev_b32_e32 v2, 4, v29
	s_wait_kmcnt 0x0
	s_mul_i32 s24, s2, s33
	s_sub_co_i32 s2, s4, s16
	s_ashr_i32 s25, s24, 31
	s_cmp_ge_u32 s4, s16
	s_cselect_b32 s12, s12, s29
	s_cselect_b32 s2, s2, s4
	s_add_co_i32 s4, s12, 1
	s_cmp_ge_u32 s2, s16
	s_cselect_b32 s2, s4, s12
	s_add_co_i32 s4, s34, 15
	s_delay_alu instid0(SALU_CYCLE_1) | instskip(NEXT) | instid1(SALU_CYCLE_1)
	s_ashr_i32 s12, s4, 31
	s_lshr_b32 s12, s12, 28
	s_delay_alu instid0(SALU_CYCLE_1) | instskip(NEXT) | instid1(SALU_CYCLE_1)
	s_add_co_i32 s4, s4, s12
	s_ashr_i32 s12, s4, 4
	s_xor_b32 s4, s2, s5
	v_cmp_gt_i32_e64 s2, s12, v29
	s_sub_co_i32 s36, s4, s5
	s_and_saveexec_b32 s26, s2
	s_cbranch_execz .LBB255_404
; %bb.9:
	s_load_b64 s[4:5], s[0:1], 0x10
	s_sub_co_i32 s38, s36, s13
	s_ashr_i32 s19, s18, 31
	s_cmp_neq_f32 s37, 0
	v_bfe_u32 v15, v0, 1, 4
	v_dual_mov_b32 v5, 0 :: v_dual_lshlrev_b32 v6, 4, v29
	s_cselect_b32 vcc_lo, -1, 0
	s_abs_i32 s39, s14
	s_delay_alu instid0(VALU_DEP_2)
	v_lshlrev_b32_e32 v4, 4, v15
	s_cvt_f32_u32 s28, s39
	v_subrev_nc_u32_e32 v10, s34, v15
	s_lshl_b64 s[40:41], s[24:25], 2
	v_cmp_eq_u32_e64 s3, 0, v28
	v_rcp_iflag_f32_e32 v7, s28
	v_mul_u32_u24_e32 v16, 0x60, v28
	v_dual_mov_b32 v20, 0xff7fffff :: v_dual_mov_b32 v17, 0xff7fffff
	v_mov_b32_e32 v21, v29
	s_mov_b32 s29, 0
	s_wait_kmcnt 0x0
	s_add_nc_u64 s[4:5], s[4:5], s[18:19]
	v_readfirstlane_b32 s28, v7
	v_lshlrev_b32_e32 v7, 2, v15
	v_add_nc_u64_e32 v[8:9], s[4:5], v[4:5]
	v_dual_lshlrev_b32 v4, 2, v28 :: v_dual_add_nc_u32 v18, 1, v10
	s_mul_f32 s19, s28, 0x4f7ffffe
	s_add_nc_u64 s[4:5], s[22:23], s[40:41]
	v_lshl_or_b32 v7, v29, 6, v7
	s_sub_co_i32 s28, 0, s39
	s_delay_alu instid0(VALU_DEP_3) | instskip(SKIP_4) | instid1(VALU_DEP_2)
	v_add_nc_u64_e32 v[8:9], v[8:9], v[4:5]
	v_and_b32_e32 v4, 0x7c, v1
	s_cvt_u32_f32 s40, s19
	v_add_nc_u32_e32 v19, 0xe0, v7
	s_mov_b32 s19, s17
	v_add_nc_u64_e32 v[10:11], s[4:5], v[4:5]
	s_mul_i32 s28, s28, s40
	s_delay_alu instid0(SALU_CYCLE_1) | instskip(NEXT) | instid1(SALU_CYCLE_1)
	s_mul_hi_u32 s28, s40, s28
	s_add_co_i32 s28, s40, s28
	s_mov_b32 s40, s29
	s_branch .LBB255_12
.LBB255_10:                             ;   in Loop: Header=BB255_12 Depth=1
	s_or_b32 exec_lo, exec_lo, s41
.LBB255_11:                             ;   in Loop: Header=BB255_12 Depth=1
	s_delay_alu instid0(SALU_CYCLE_1) | instskip(SKIP_3) | instid1(VALU_DEP_3)
	s_or_b32 exec_lo, exec_lo, s5
	v_dual_add_nc_u32 v21, 4, v21 :: v_dual_add_nc_u32 v6, 64, v6
	v_add_nc_u64_e32 v[10:11], 16, v[10:11]
	v_add_nc_u32_e32 v19, 0x100, v19
	v_cmp_le_i32_e64 s4, s12, v21
	s_or_b32 s40, s4, s40
	s_delay_alu instid0(SALU_CYCLE_1)
	s_and_not1_b32 exec_lo, exec_lo, s40
	s_cbranch_execz .LBB255_403
.LBB255_12:                             ; =>This Inner Loop Header: Depth=1
	s_wait_dscnt 0x0
	v_mov_b32_e32 v7, v5
	s_delay_alu instid0(VALU_DEP_1) | instskip(NEXT) | instid1(VALU_DEP_1)
	v_mul_u64_e32 v[12:13], s[20:21], v[6:7]
	v_mul_lo_u32 v4, v13, s16
	s_delay_alu instid0(VALU_DEP_1) | instskip(NEXT) | instid1(VALU_DEP_1)
	v_sub_nc_u32_e32 v4, v6, v4
	v_subrev_nc_u32_e32 v12, s16, v4
	v_cmp_le_u32_e64 s4, s16, v4
	s_delay_alu instid0(VALU_DEP_1) | instskip(NEXT) | instid1(VALU_DEP_1)
	v_dual_add_nc_u32 v7, 1, v13 :: v_dual_cndmask_b32 v4, v4, v12, s4
	v_cndmask_b32_e64 v7, v13, v7, s4
	s_delay_alu instid0(VALU_DEP_2) | instskip(NEXT) | instid1(VALU_DEP_2)
	v_cmp_le_u32_e64 s4, s16, v4
	v_add_nc_u32_e32 v12, 1, v7
	s_delay_alu instid0(VALU_DEP_1) | instskip(NEXT) | instid1(VALU_DEP_1)
	v_cndmask_b32_e64 v4, v7, v12, s4
	v_xor_b32_e32 v4, s15, v4
	s_delay_alu instid0(VALU_DEP_1) | instskip(NEXT) | instid1(VALU_DEP_1)
	v_subrev_nc_u32_e32 v7, s15, v4
	v_add_nc_u32_e32 v14, s35, v7
	v_cmp_ge_i32_e64 s5, s38, v7
	s_delay_alu instid0(VALU_DEP_2) | instskip(NEXT) | instid1(VALU_DEP_1)
	v_sub_nc_u32_e32 v4, 0, v14
	v_max_i32_e32 v4, v14, v4
	s_delay_alu instid0(VALU_DEP_1) | instskip(NEXT) | instid1(VALU_DEP_1)
	v_mul_u64_e32 v[12:13], s[28:29], v[4:5]
	v_mul_lo_u32 v12, v13, s39
	s_delay_alu instid0(VALU_DEP_1) | instskip(NEXT) | instid1(VALU_DEP_1)
	v_dual_ashrrev_i32 v13, 31, v14 :: v_dual_sub_nc_u32 v4, v4, v12
	v_subrev_nc_u32_e32 v12, s39, v4
	v_cmp_le_u32_e64 s4, s39, v4
	s_delay_alu instid0(VALU_DEP_1) | instskip(NEXT) | instid1(VALU_DEP_1)
	v_cndmask_b32_e64 v4, v4, v12, s4
	v_subrev_nc_u32_e32 v12, s39, v4
	v_cmp_le_u32_e64 s4, s39, v4
	s_delay_alu instid0(VALU_DEP_1) | instskip(NEXT) | instid1(VALU_DEP_1)
	v_cndmask_b32_e64 v4, v4, v12, s4
	v_xor_b32_e32 v4, v4, v13
	s_delay_alu instid0(VALU_DEP_1) | instskip(NEXT) | instid1(VALU_DEP_1)
	v_sub_nc_u32_e32 v4, v4, v13
	v_cmp_ne_u32_e64 s4, 0, v4
	s_and_b32 s4, s4, s5
	s_delay_alu instid0(SALU_CYCLE_1) | instskip(NEXT) | instid1(SALU_CYCLE_1)
	s_and_saveexec_b32 s5, s4
	s_xor_b32 s4, exec_lo, s5
	s_cbranch_execz .LBB255_16
; %bb.13:                               ;   in Loop: Header=BB255_12 Depth=1
	s_and_saveexec_b32 s5, s3
; %bb.14:                               ;   in Loop: Header=BB255_12 Depth=1
	ds_store_b32 v19, v20
; %bb.15:                               ;   in Loop: Header=BB255_12 Depth=1
	s_or_b32 exec_lo, exec_lo, s5
.LBB255_16:                             ;   in Loop: Header=BB255_12 Depth=1
	s_and_not1_saveexec_b32 s5, s4
	s_cbranch_execz .LBB255_11
; %bb.17:                               ;   in Loop: Header=BB255_12 Depth=1
	global_load_b32 v4, v[10:11], off
	v_dual_mov_b32 v22, 0 :: v_dual_mov_b32 v23, 0
	s_mov_b32 s41, exec_lo
	global_load_b32 v7, v22, s[8:9]
	s_wait_loadcnt 0x1
	v_mad_nc_i64_i32 v[12:13], v4, s19, v[8:9]
	global_load_b32 v14, v[12:13], off
	s_wait_loadcnt 0x0
	v_and_b32_e32 v4, 0xff, v14
	s_delay_alu instid0(VALU_DEP_1)
	v_cmpx_ne_u16_e32 0, v4
	s_cbranch_execz .LBB255_25
; %bb.18:                               ;   in Loop: Header=BB255_12 Depth=1
	v_mov_b32_e32 v23, 0x8000
	s_mov_b32 s42, exec_lo
	v_cmpx_ne_u16_e32 0x80, v4
	s_cbranch_execz .LBB255_24
; %bb.19:                               ;   in Loop: Header=BB255_12 Depth=1
	v_and_b32_e32 v24, 0x7f, v14
	v_mov_b32_e32 v23, 0x7c01
	s_mov_b32 s43, exec_lo
	s_delay_alu instid0(VALU_DEP_2)
	v_cmpx_ne_u32_e32 0x7f, v24
	s_cbranch_execz .LBB255_23
; %bb.20:                               ;   in Loop: Header=BB255_12 Depth=1
	v_dual_lshrrev_b32 v23, 3, v24 :: v_dual_bitop2_b32 v4, 7, v14 bitop3:0x40
	s_mov_b32 s44, exec_lo
	v_cmpx_gt_u32_e32 8, v24
; %bb.21:                               ;   in Loop: Header=BB255_12 Depth=1
	s_delay_alu instid0(VALU_DEP_2) | instskip(NEXT) | instid1(VALU_DEP_1)
	v_clz_i32_u32_e32 v4, v4
	v_min_u32_e32 v4, 32, v4
	s_delay_alu instid0(VALU_DEP_1) | instskip(NEXT) | instid1(VALU_DEP_1)
	v_subrev_nc_u32_e32 v23, 28, v4
	v_lshlrev_b64_e32 v[24:25], v23, v[14:15]
	v_sub_nc_u32_e32 v23, 29, v4
	s_delay_alu instid0(VALU_DEP_2)
	v_and_b32_e32 v4, 7, v24
; %bb.22:                               ;   in Loop: Header=BB255_12 Depth=1
	s_or_b32 exec_lo, exec_lo, s44
	s_delay_alu instid0(VALU_DEP_1) | instskip(NEXT) | instid1(VALU_DEP_3)
	v_dual_lshlrev_b32 v24, 8, v14 :: v_dual_lshlrev_b32 v4, 7, v4
	v_lshl_add_u32 v23, v23, 10, 0x2000
	s_delay_alu instid0(VALU_DEP_2) | instskip(NEXT) | instid1(VALU_DEP_2)
	v_and_b32_e32 v24, 0x8000, v24
	v_and_b32_e32 v23, 0xfc00, v23
	s_delay_alu instid0(VALU_DEP_1)
	v_or3_b32 v23, v24, v23, v4
.LBB255_23:                             ;   in Loop: Header=BB255_12 Depth=1
	s_or_b32 exec_lo, exec_lo, s43
.LBB255_24:                             ;   in Loop: Header=BB255_12 Depth=1
	s_delay_alu instid0(SALU_CYCLE_1)
	s_or_b32 exec_lo, exec_lo, s42
.LBB255_25:                             ;   in Loop: Header=BB255_12 Depth=1
	s_delay_alu instid0(SALU_CYCLE_1) | instskip(SKIP_2) | instid1(VALU_DEP_1)
	s_or_b32 exec_lo, exec_lo, s41
	v_lshrrev_b16 v4, 8, v14
	s_mov_b32 s41, exec_lo
	v_cmpx_ne_u16_e32 0, v4
	s_cbranch_execz .LBB255_33
; %bb.26:                               ;   in Loop: Header=BB255_12 Depth=1
	v_bfrev_b32_e32 v22, 1
	s_mov_b32 s42, exec_lo
	v_cmpx_ne_u16_e32 0x80, v4
	s_cbranch_execz .LBB255_32
; %bb.27:                               ;   in Loop: Header=BB255_12 Depth=1
	v_and_b32_e32 v24, 0xffff, v4
	v_mov_b32_e32 v22, 0x7c010000
	s_mov_b32 s43, exec_lo
	s_delay_alu instid0(VALU_DEP_2) | instskip(NEXT) | instid1(VALU_DEP_1)
	v_and_b32_e32 v26, 0x7f, v24
	v_cmpx_ne_u32_e32 0x7f, v26
	s_cbranch_execz .LBB255_31
; %bb.28:                               ;   in Loop: Header=BB255_12 Depth=1
	v_dual_lshrrev_b32 v25, 3, v26 :: v_dual_bitop2_b32 v22, 7, v24 bitop3:0x40
	s_mov_b32 s44, exec_lo
	v_cmpx_gt_u32_e32 8, v26
; %bb.29:                               ;   in Loop: Header=BB255_12 Depth=1
	s_delay_alu instid0(VALU_DEP_2) | instskip(NEXT) | instid1(VALU_DEP_1)
	v_clz_i32_u32_e32 v22, v22
	v_min_u32_e32 v22, 32, v22
	s_delay_alu instid0(VALU_DEP_1) | instskip(NEXT) | instid1(VALU_DEP_1)
	v_subrev_nc_u32_e32 v25, 28, v22
	v_lshlrev_b64_e32 v[30:31], v25, v[4:5]
	v_sub_nc_u32_e32 v25, 29, v22
	s_delay_alu instid0(VALU_DEP_2)
	v_and_b32_e32 v22, 7, v30
; %bb.30:                               ;   in Loop: Header=BB255_12 Depth=1
	s_or_b32 exec_lo, exec_lo, s44
	s_delay_alu instid0(VALU_DEP_1) | instskip(NEXT) | instid1(VALU_DEP_3)
	v_dual_lshlrev_b32 v4, 8, v24 :: v_dual_lshlrev_b32 v22, 23, v22
	v_lshl_add_u32 v24, v25, 10, 0x2000
	s_delay_alu instid0(VALU_DEP_1) | instskip(NEXT) | instid1(VALU_DEP_1)
	v_and_or_b32 v4, 0x8000, v4, v24
	v_lshl_or_b32 v22, v4, 16, v22
.LBB255_31:                             ;   in Loop: Header=BB255_12 Depth=1
	s_or_b32 exec_lo, exec_lo, s43
.LBB255_32:                             ;   in Loop: Header=BB255_12 Depth=1
	s_delay_alu instid0(SALU_CYCLE_1)
	s_or_b32 exec_lo, exec_lo, s42
.LBB255_33:                             ;   in Loop: Header=BB255_12 Depth=1
	s_delay_alu instid0(SALU_CYCLE_1) | instskip(SKIP_3) | instid1(VALU_DEP_2)
	s_or_b32 exec_lo, exec_lo, s41
	v_dual_lshrrev_b32 v4, 16, v14 :: v_dual_mov_b32 v24, 0
	v_mov_b32_e32 v25, 0
	s_mov_b32 s41, exec_lo
	v_and_b32_e32 v26, 0xff, v4
	s_delay_alu instid0(VALU_DEP_1)
	v_cmpx_ne_u16_e32 0, v26
	s_cbranch_execz .LBB255_41
; %bb.34:                               ;   in Loop: Header=BB255_12 Depth=1
	v_mov_b32_e32 v25, 0x8000
	s_mov_b32 s42, exec_lo
	v_cmpx_ne_u16_e32 0x80, v26
	s_cbranch_execz .LBB255_40
; %bb.35:                               ;   in Loop: Header=BB255_12 Depth=1
	v_bfe_u32 v30, v14, 16, 7
	v_mov_b32_e32 v25, 0x7c01
	s_mov_b32 s43, exec_lo
	s_delay_alu instid0(VALU_DEP_2)
	v_cmpx_ne_u32_e32 0x7f, v30
	s_cbranch_execz .LBB255_39
; %bb.36:                               ;   in Loop: Header=BB255_12 Depth=1
	v_dual_lshrrev_b32 v26, 3, v30 :: v_dual_bitop2_b32 v25, 7, v4 bitop3:0x40
	s_mov_b32 s44, exec_lo
	v_cmpx_gt_u32_e32 8, v30
; %bb.37:                               ;   in Loop: Header=BB255_12 Depth=1
	s_delay_alu instid0(VALU_DEP_2) | instskip(NEXT) | instid1(VALU_DEP_1)
	v_clz_i32_u32_e32 v25, v25
	v_min_u32_e32 v25, 32, v25
	s_delay_alu instid0(VALU_DEP_1) | instskip(NEXT) | instid1(VALU_DEP_1)
	v_subrev_nc_u32_e32 v26, 28, v25
	v_lshlrev_b64_e32 v[30:31], v26, v[4:5]
	s_delay_alu instid0(VALU_DEP_1)
	v_dual_sub_nc_u32 v26, 29, v25 :: v_dual_bitop2_b32 v25, 7, v30 bitop3:0x40
; %bb.38:                               ;   in Loop: Header=BB255_12 Depth=1
	s_or_b32 exec_lo, exec_lo, s44
	s_delay_alu instid0(VALU_DEP_1) | instskip(NEXT) | instid1(VALU_DEP_2)
	v_dual_lshlrev_b32 v4, 8, v4 :: v_dual_lshlrev_b32 v25, 7, v25
	v_lshl_add_u32 v26, v26, 10, 0x2000
	s_delay_alu instid0(VALU_DEP_2) | instskip(NEXT) | instid1(VALU_DEP_2)
	v_and_b32_e32 v4, 0x8000, v4
	v_and_b32_e32 v26, 0xfc00, v26
	s_delay_alu instid0(VALU_DEP_1)
	v_or3_b32 v25, v4, v26, v25
.LBB255_39:                             ;   in Loop: Header=BB255_12 Depth=1
	s_or_b32 exec_lo, exec_lo, s43
.LBB255_40:                             ;   in Loop: Header=BB255_12 Depth=1
	s_delay_alu instid0(SALU_CYCLE_1)
	s_or_b32 exec_lo, exec_lo, s42
.LBB255_41:                             ;   in Loop: Header=BB255_12 Depth=1
	s_delay_alu instid0(SALU_CYCLE_1) | instskip(NEXT) | instid1(SALU_CYCLE_1)
	s_or_b32 exec_lo, exec_lo, s41
	s_mov_b32 s41, exec_lo
	v_cmpx_lt_u32_e32 0xffffff, v14
	s_cbranch_execz .LBB255_49
; %bb.42:                               ;   in Loop: Header=BB255_12 Depth=1
	v_lshrrev_b32_e32 v4, 24, v14
	v_bfrev_b32_e32 v24, 1
	s_mov_b32 s42, exec_lo
	s_delay_alu instid0(VALU_DEP_2)
	v_cmpx_ne_u32_e32 0x80, v4
	s_cbranch_execz .LBB255_48
; %bb.43:                               ;   in Loop: Header=BB255_12 Depth=1
	v_and_b32_e32 v26, 0x7f, v4
	v_mov_b32_e32 v24, 0x7c010000
	s_mov_b32 s43, exec_lo
	s_delay_alu instid0(VALU_DEP_2)
	v_cmpx_ne_u32_e32 0x7f, v26
	s_cbranch_execz .LBB255_47
; %bb.44:                               ;   in Loop: Header=BB255_12 Depth=1
	v_dual_lshrrev_b32 v24, 3, v26 :: v_dual_bitop2_b32 v14, 7, v4 bitop3:0x40
	s_mov_b32 s44, exec_lo
	v_cmpx_gt_u32_e32 8, v26
; %bb.45:                               ;   in Loop: Header=BB255_12 Depth=1
	s_delay_alu instid0(VALU_DEP_2) | instskip(NEXT) | instid1(VALU_DEP_1)
	v_clz_i32_u32_e32 v14, v14
	v_min_u32_e32 v14, 32, v14
	s_delay_alu instid0(VALU_DEP_1) | instskip(NEXT) | instid1(VALU_DEP_1)
	v_subrev_nc_u32_e32 v24, 28, v14
	v_lshlrev_b64_e32 v[30:31], v24, v[4:5]
	v_sub_nc_u32_e32 v24, 29, v14
	s_delay_alu instid0(VALU_DEP_2)
	v_and_b32_e32 v14, 7, v30
; %bb.46:                               ;   in Loop: Header=BB255_12 Depth=1
	s_or_b32 exec_lo, exec_lo, s44
	s_delay_alu instid0(VALU_DEP_1) | instskip(NEXT) | instid1(VALU_DEP_3)
	v_dual_lshlrev_b32 v4, 8, v4 :: v_dual_lshlrev_b32 v14, 23, v14
	v_lshl_add_u32 v24, v24, 10, 0x2000
	s_delay_alu instid0(VALU_DEP_1) | instskip(NEXT) | instid1(VALU_DEP_1)
	v_and_or_b32 v4, 0x8000, v4, v24
	v_lshl_or_b32 v24, v4, 16, v14
.LBB255_47:                             ;   in Loop: Header=BB255_12 Depth=1
	s_or_b32 exec_lo, exec_lo, s43
.LBB255_48:                             ;   in Loop: Header=BB255_12 Depth=1
	s_delay_alu instid0(SALU_CYCLE_1)
	s_or_b32 exec_lo, exec_lo, s42
.LBB255_49:                             ;   in Loop: Header=BB255_12 Depth=1
	s_delay_alu instid0(SALU_CYCLE_1)
	s_or_b32 exec_lo, exec_lo, s41
	global_load_b32 v14, v[12:13], off offset:8
	v_dual_mov_b32 v26, 0 :: v_dual_mov_b32 v30, 0
	s_mov_b32 s41, exec_lo
	s_wait_loadcnt 0x0
	v_and_b32_e32 v4, 0xff, v14
	s_delay_alu instid0(VALU_DEP_1)
	v_cmpx_ne_u16_e32 0, v4
	s_cbranch_execz .LBB255_57
; %bb.50:                               ;   in Loop: Header=BB255_12 Depth=1
	v_mov_b32_e32 v30, 0x8000
	s_mov_b32 s42, exec_lo
	v_cmpx_ne_u16_e32 0x80, v4
	s_cbranch_execz .LBB255_56
; %bb.51:                               ;   in Loop: Header=BB255_12 Depth=1
	v_and_b32_e32 v31, 0x7f, v14
	v_mov_b32_e32 v30, 0x7c01
	s_mov_b32 s43, exec_lo
	s_delay_alu instid0(VALU_DEP_2)
	v_cmpx_ne_u32_e32 0x7f, v31
	s_cbranch_execz .LBB255_55
; %bb.52:                               ;   in Loop: Header=BB255_12 Depth=1
	v_dual_lshrrev_b32 v30, 3, v31 :: v_dual_bitop2_b32 v4, 7, v14 bitop3:0x40
	s_mov_b32 s44, exec_lo
	v_cmpx_gt_u32_e32 8, v31
; %bb.53:                               ;   in Loop: Header=BB255_12 Depth=1
	s_delay_alu instid0(VALU_DEP_2) | instskip(NEXT) | instid1(VALU_DEP_1)
	v_clz_i32_u32_e32 v4, v4
	v_min_u32_e32 v4, 32, v4
	s_delay_alu instid0(VALU_DEP_1) | instskip(NEXT) | instid1(VALU_DEP_1)
	v_subrev_nc_u32_e32 v30, 28, v4
	v_lshlrev_b64_e32 v[32:33], v30, v[14:15]
	v_sub_nc_u32_e32 v30, 29, v4
	s_delay_alu instid0(VALU_DEP_2)
	v_and_b32_e32 v4, 7, v32
; %bb.54:                               ;   in Loop: Header=BB255_12 Depth=1
	s_or_b32 exec_lo, exec_lo, s44
	s_delay_alu instid0(VALU_DEP_1) | instskip(NEXT) | instid1(VALU_DEP_3)
	v_dual_lshlrev_b32 v31, 8, v14 :: v_dual_lshlrev_b32 v4, 7, v4
	v_lshl_add_u32 v30, v30, 10, 0x2000
	s_delay_alu instid0(VALU_DEP_2) | instskip(NEXT) | instid1(VALU_DEP_2)
	v_and_b32_e32 v31, 0x8000, v31
	v_and_b32_e32 v30, 0xfc00, v30
	s_delay_alu instid0(VALU_DEP_1)
	v_or3_b32 v30, v31, v30, v4
.LBB255_55:                             ;   in Loop: Header=BB255_12 Depth=1
	s_or_b32 exec_lo, exec_lo, s43
.LBB255_56:                             ;   in Loop: Header=BB255_12 Depth=1
	s_delay_alu instid0(SALU_CYCLE_1)
	s_or_b32 exec_lo, exec_lo, s42
.LBB255_57:                             ;   in Loop: Header=BB255_12 Depth=1
	s_delay_alu instid0(SALU_CYCLE_1) | instskip(SKIP_2) | instid1(VALU_DEP_1)
	s_or_b32 exec_lo, exec_lo, s41
	v_lshrrev_b16 v4, 8, v14
	s_mov_b32 s41, exec_lo
	v_cmpx_ne_u16_e32 0, v4
	s_cbranch_execz .LBB255_65
; %bb.58:                               ;   in Loop: Header=BB255_12 Depth=1
	v_bfrev_b32_e32 v26, 1
	s_mov_b32 s42, exec_lo
	v_cmpx_ne_u16_e32 0x80, v4
	s_cbranch_execz .LBB255_64
; %bb.59:                               ;   in Loop: Header=BB255_12 Depth=1
	v_and_b32_e32 v31, 0xffff, v4
	v_mov_b32_e32 v26, 0x7c010000
	s_mov_b32 s43, exec_lo
	s_delay_alu instid0(VALU_DEP_2) | instskip(NEXT) | instid1(VALU_DEP_1)
	v_and_b32_e32 v33, 0x7f, v31
	v_cmpx_ne_u32_e32 0x7f, v33
	s_cbranch_execz .LBB255_63
; %bb.60:                               ;   in Loop: Header=BB255_12 Depth=1
	v_dual_lshrrev_b32 v32, 3, v33 :: v_dual_bitop2_b32 v26, 7, v31 bitop3:0x40
	s_mov_b32 s44, exec_lo
	v_cmpx_gt_u32_e32 8, v33
; %bb.61:                               ;   in Loop: Header=BB255_12 Depth=1
	s_delay_alu instid0(VALU_DEP_2) | instskip(NEXT) | instid1(VALU_DEP_1)
	v_clz_i32_u32_e32 v26, v26
	v_min_u32_e32 v26, 32, v26
	s_delay_alu instid0(VALU_DEP_1) | instskip(NEXT) | instid1(VALU_DEP_1)
	v_subrev_nc_u32_e32 v32, 28, v26
	v_lshlrev_b64_e32 v[34:35], v32, v[4:5]
	v_sub_nc_u32_e32 v32, 29, v26
	s_delay_alu instid0(VALU_DEP_2)
	v_and_b32_e32 v26, 7, v34
; %bb.62:                               ;   in Loop: Header=BB255_12 Depth=1
	s_or_b32 exec_lo, exec_lo, s44
	s_delay_alu instid0(VALU_DEP_1) | instskip(NEXT) | instid1(VALU_DEP_3)
	v_dual_lshlrev_b32 v4, 8, v31 :: v_dual_lshlrev_b32 v26, 23, v26
	v_lshl_add_u32 v31, v32, 10, 0x2000
	s_delay_alu instid0(VALU_DEP_1) | instskip(NEXT) | instid1(VALU_DEP_1)
	v_and_or_b32 v4, 0x8000, v4, v31
	v_lshl_or_b32 v26, v4, 16, v26
.LBB255_63:                             ;   in Loop: Header=BB255_12 Depth=1
	s_or_b32 exec_lo, exec_lo, s43
.LBB255_64:                             ;   in Loop: Header=BB255_12 Depth=1
	s_delay_alu instid0(SALU_CYCLE_1)
	s_or_b32 exec_lo, exec_lo, s42
.LBB255_65:                             ;   in Loop: Header=BB255_12 Depth=1
	s_delay_alu instid0(SALU_CYCLE_1) | instskip(SKIP_3) | instid1(VALU_DEP_2)
	s_or_b32 exec_lo, exec_lo, s41
	v_dual_mov_b32 v31, 0 :: v_dual_lshrrev_b32 v4, 16, v14
	v_mov_b32_e32 v32, 0
	s_mov_b32 s41, exec_lo
	v_and_b32_e32 v33, 0xff, v4
	s_delay_alu instid0(VALU_DEP_1)
	v_cmpx_ne_u16_e32 0, v33
	s_cbranch_execz .LBB255_73
; %bb.66:                               ;   in Loop: Header=BB255_12 Depth=1
	v_mov_b32_e32 v32, 0x8000
	s_mov_b32 s42, exec_lo
	v_cmpx_ne_u16_e32 0x80, v33
	s_cbranch_execz .LBB255_72
; %bb.67:                               ;   in Loop: Header=BB255_12 Depth=1
	v_bfe_u32 v34, v14, 16, 7
	v_mov_b32_e32 v32, 0x7c01
	s_mov_b32 s43, exec_lo
	s_delay_alu instid0(VALU_DEP_2)
	v_cmpx_ne_u32_e32 0x7f, v34
	s_cbranch_execz .LBB255_71
; %bb.68:                               ;   in Loop: Header=BB255_12 Depth=1
	v_dual_lshrrev_b32 v33, 3, v34 :: v_dual_bitop2_b32 v32, 7, v4 bitop3:0x40
	s_mov_b32 s44, exec_lo
	v_cmpx_gt_u32_e32 8, v34
; %bb.69:                               ;   in Loop: Header=BB255_12 Depth=1
	s_delay_alu instid0(VALU_DEP_2) | instskip(NEXT) | instid1(VALU_DEP_1)
	v_clz_i32_u32_e32 v32, v32
	v_min_u32_e32 v34, 32, v32
	s_delay_alu instid0(VALU_DEP_1) | instskip(NEXT) | instid1(VALU_DEP_1)
	v_subrev_nc_u32_e32 v32, 28, v34
	v_lshlrev_b64_e32 v[32:33], v32, v[4:5]
	s_delay_alu instid0(VALU_DEP_1)
	v_dual_sub_nc_u32 v33, 29, v34 :: v_dual_bitop2_b32 v32, 7, v32 bitop3:0x40
; %bb.70:                               ;   in Loop: Header=BB255_12 Depth=1
	s_or_b32 exec_lo, exec_lo, s44
	v_lshlrev_b32_e32 v4, 8, v4
	s_delay_alu instid0(VALU_DEP_2) | instskip(NEXT) | instid1(VALU_DEP_3)
	v_lshl_add_u32 v33, v33, 10, 0x2000
	v_lshlrev_b32_e32 v32, 7, v32
	s_delay_alu instid0(VALU_DEP_3) | instskip(NEXT) | instid1(VALU_DEP_3)
	v_and_b32_e32 v4, 0x8000, v4
	v_and_b32_e32 v33, 0xfc00, v33
	s_delay_alu instid0(VALU_DEP_1)
	v_or3_b32 v32, v4, v33, v32
.LBB255_71:                             ;   in Loop: Header=BB255_12 Depth=1
	s_or_b32 exec_lo, exec_lo, s43
.LBB255_72:                             ;   in Loop: Header=BB255_12 Depth=1
	s_delay_alu instid0(SALU_CYCLE_1)
	s_or_b32 exec_lo, exec_lo, s42
.LBB255_73:                             ;   in Loop: Header=BB255_12 Depth=1
	s_delay_alu instid0(SALU_CYCLE_1) | instskip(NEXT) | instid1(SALU_CYCLE_1)
	s_or_b32 exec_lo, exec_lo, s41
	s_mov_b32 s41, exec_lo
	v_cmpx_lt_u32_e32 0xffffff, v14
	s_cbranch_execz .LBB255_81
; %bb.74:                               ;   in Loop: Header=BB255_12 Depth=1
	v_lshrrev_b32_e32 v4, 24, v14
	v_bfrev_b32_e32 v31, 1
	s_mov_b32 s42, exec_lo
	s_delay_alu instid0(VALU_DEP_2)
	v_cmpx_ne_u32_e32 0x80, v4
	s_cbranch_execz .LBB255_80
; %bb.75:                               ;   in Loop: Header=BB255_12 Depth=1
	v_and_b32_e32 v33, 0x7f, v4
	v_mov_b32_e32 v31, 0x7c010000
	s_mov_b32 s43, exec_lo
	s_delay_alu instid0(VALU_DEP_2)
	v_cmpx_ne_u32_e32 0x7f, v33
	s_cbranch_execz .LBB255_79
; %bb.76:                               ;   in Loop: Header=BB255_12 Depth=1
	v_dual_lshrrev_b32 v31, 3, v33 :: v_dual_bitop2_b32 v14, 7, v4 bitop3:0x40
	s_mov_b32 s44, exec_lo
	v_cmpx_gt_u32_e32 8, v33
; %bb.77:                               ;   in Loop: Header=BB255_12 Depth=1
	s_delay_alu instid0(VALU_DEP_2) | instskip(NEXT) | instid1(VALU_DEP_1)
	v_clz_i32_u32_e32 v14, v14
	v_min_u32_e32 v14, 32, v14
	s_delay_alu instid0(VALU_DEP_1) | instskip(NEXT) | instid1(VALU_DEP_1)
	v_subrev_nc_u32_e32 v31, 28, v14
	v_lshlrev_b64_e32 v[34:35], v31, v[4:5]
	v_sub_nc_u32_e32 v31, 29, v14
	s_delay_alu instid0(VALU_DEP_2)
	v_and_b32_e32 v14, 7, v34
; %bb.78:                               ;   in Loop: Header=BB255_12 Depth=1
	s_or_b32 exec_lo, exec_lo, s44
	s_delay_alu instid0(VALU_DEP_1) | instskip(NEXT) | instid1(VALU_DEP_3)
	v_dual_lshlrev_b32 v4, 8, v4 :: v_dual_lshlrev_b32 v14, 23, v14
	v_lshl_add_u32 v31, v31, 10, 0x2000
	s_delay_alu instid0(VALU_DEP_1) | instskip(NEXT) | instid1(VALU_DEP_1)
	v_and_or_b32 v4, 0x8000, v4, v31
	v_lshl_or_b32 v31, v4, 16, v14
.LBB255_79:                             ;   in Loop: Header=BB255_12 Depth=1
	s_or_b32 exec_lo, exec_lo, s43
.LBB255_80:                             ;   in Loop: Header=BB255_12 Depth=1
	s_delay_alu instid0(SALU_CYCLE_1)
	s_or_b32 exec_lo, exec_lo, s42
.LBB255_81:                             ;   in Loop: Header=BB255_12 Depth=1
	s_delay_alu instid0(SALU_CYCLE_1)
	s_or_b32 exec_lo, exec_lo, s41
	global_load_b32 v14, v[12:13], off offset:256
	v_dual_mov_b32 v33, 0 :: v_dual_mov_b32 v34, 0
	s_mov_b32 s41, exec_lo
	s_wait_loadcnt 0x0
	v_and_b32_e32 v4, 0xff, v14
	s_delay_alu instid0(VALU_DEP_1)
	v_cmpx_ne_u16_e32 0, v4
	s_cbranch_execz .LBB255_89
; %bb.82:                               ;   in Loop: Header=BB255_12 Depth=1
	v_mov_b32_e32 v34, 0x8000
	s_mov_b32 s42, exec_lo
	v_cmpx_ne_u16_e32 0x80, v4
	s_cbranch_execz .LBB255_88
; %bb.83:                               ;   in Loop: Header=BB255_12 Depth=1
	v_and_b32_e32 v35, 0x7f, v14
	v_mov_b32_e32 v34, 0x7c01
	s_mov_b32 s43, exec_lo
	s_delay_alu instid0(VALU_DEP_2)
	v_cmpx_ne_u32_e32 0x7f, v35
	s_cbranch_execz .LBB255_87
; %bb.84:                               ;   in Loop: Header=BB255_12 Depth=1
	v_dual_lshrrev_b32 v34, 3, v35 :: v_dual_bitop2_b32 v4, 7, v14 bitop3:0x40
	s_mov_b32 s44, exec_lo
	v_cmpx_gt_u32_e32 8, v35
; %bb.85:                               ;   in Loop: Header=BB255_12 Depth=1
	s_delay_alu instid0(VALU_DEP_2) | instskip(NEXT) | instid1(VALU_DEP_1)
	v_clz_i32_u32_e32 v4, v4
	v_min_u32_e32 v4, 32, v4
	s_delay_alu instid0(VALU_DEP_1) | instskip(NEXT) | instid1(VALU_DEP_1)
	v_subrev_nc_u32_e32 v34, 28, v4
	v_lshlrev_b64_e32 v[36:37], v34, v[14:15]
	v_sub_nc_u32_e32 v34, 29, v4
	s_delay_alu instid0(VALU_DEP_2)
	v_and_b32_e32 v4, 7, v36
; %bb.86:                               ;   in Loop: Header=BB255_12 Depth=1
	s_or_b32 exec_lo, exec_lo, s44
	s_delay_alu instid0(VALU_DEP_1) | instskip(NEXT) | instid1(VALU_DEP_3)
	v_dual_lshlrev_b32 v35, 8, v14 :: v_dual_lshlrev_b32 v4, 7, v4
	v_lshl_add_u32 v34, v34, 10, 0x2000
	s_delay_alu instid0(VALU_DEP_2) | instskip(NEXT) | instid1(VALU_DEP_2)
	v_and_b32_e32 v35, 0x8000, v35
	v_and_b32_e32 v34, 0xfc00, v34
	s_delay_alu instid0(VALU_DEP_1)
	v_or3_b32 v34, v35, v34, v4
.LBB255_87:                             ;   in Loop: Header=BB255_12 Depth=1
	s_or_b32 exec_lo, exec_lo, s43
.LBB255_88:                             ;   in Loop: Header=BB255_12 Depth=1
	s_delay_alu instid0(SALU_CYCLE_1)
	s_or_b32 exec_lo, exec_lo, s42
.LBB255_89:                             ;   in Loop: Header=BB255_12 Depth=1
	s_delay_alu instid0(SALU_CYCLE_1) | instskip(SKIP_2) | instid1(VALU_DEP_1)
	s_or_b32 exec_lo, exec_lo, s41
	v_lshrrev_b16 v4, 8, v14
	s_mov_b32 s41, exec_lo
	v_cmpx_ne_u16_e32 0, v4
	s_cbranch_execz .LBB255_97
; %bb.90:                               ;   in Loop: Header=BB255_12 Depth=1
	v_bfrev_b32_e32 v33, 1
	s_mov_b32 s42, exec_lo
	v_cmpx_ne_u16_e32 0x80, v4
	s_cbranch_execz .LBB255_96
; %bb.91:                               ;   in Loop: Header=BB255_12 Depth=1
	v_and_b32_e32 v35, 0xffff, v4
	v_mov_b32_e32 v33, 0x7c010000
	s_mov_b32 s43, exec_lo
	s_delay_alu instid0(VALU_DEP_2) | instskip(NEXT) | instid1(VALU_DEP_1)
	v_and_b32_e32 v37, 0x7f, v35
	v_cmpx_ne_u32_e32 0x7f, v37
	s_cbranch_execz .LBB255_95
; %bb.92:                               ;   in Loop: Header=BB255_12 Depth=1
	v_dual_lshrrev_b32 v36, 3, v37 :: v_dual_bitop2_b32 v33, 7, v35 bitop3:0x40
	s_mov_b32 s44, exec_lo
	v_cmpx_gt_u32_e32 8, v37
; %bb.93:                               ;   in Loop: Header=BB255_12 Depth=1
	s_delay_alu instid0(VALU_DEP_2) | instskip(NEXT) | instid1(VALU_DEP_1)
	v_clz_i32_u32_e32 v33, v33
	v_min_u32_e32 v33, 32, v33
	s_delay_alu instid0(VALU_DEP_1) | instskip(NEXT) | instid1(VALU_DEP_1)
	v_subrev_nc_u32_e32 v36, 28, v33
	v_lshlrev_b64_e32 v[38:39], v36, v[4:5]
	s_delay_alu instid0(VALU_DEP_1)
	v_dual_sub_nc_u32 v36, 29, v33 :: v_dual_bitop2_b32 v33, 7, v38 bitop3:0x40
; %bb.94:                               ;   in Loop: Header=BB255_12 Depth=1
	s_or_b32 exec_lo, exec_lo, s44
	s_delay_alu instid0(VALU_DEP_1) | instskip(NEXT) | instid1(VALU_DEP_2)
	v_dual_lshlrev_b32 v4, 8, v35 :: v_dual_lshlrev_b32 v33, 23, v33
	v_lshl_add_u32 v35, v36, 10, 0x2000
	s_delay_alu instid0(VALU_DEP_1) | instskip(NEXT) | instid1(VALU_DEP_1)
	v_and_or_b32 v4, 0x8000, v4, v35
	v_lshl_or_b32 v33, v4, 16, v33
.LBB255_95:                             ;   in Loop: Header=BB255_12 Depth=1
	s_or_b32 exec_lo, exec_lo, s43
.LBB255_96:                             ;   in Loop: Header=BB255_12 Depth=1
	s_delay_alu instid0(SALU_CYCLE_1)
	s_or_b32 exec_lo, exec_lo, s42
.LBB255_97:                             ;   in Loop: Header=BB255_12 Depth=1
	s_delay_alu instid0(SALU_CYCLE_1) | instskip(SKIP_3) | instid1(VALU_DEP_2)
	s_or_b32 exec_lo, exec_lo, s41
	v_dual_mov_b32 v35, 0 :: v_dual_lshrrev_b32 v4, 16, v14
	v_mov_b32_e32 v36, 0
	s_mov_b32 s41, exec_lo
	v_and_b32_e32 v37, 0xff, v4
	s_delay_alu instid0(VALU_DEP_1)
	v_cmpx_ne_u16_e32 0, v37
	s_cbranch_execz .LBB255_105
; %bb.98:                               ;   in Loop: Header=BB255_12 Depth=1
	v_mov_b32_e32 v36, 0x8000
	s_mov_b32 s42, exec_lo
	v_cmpx_ne_u16_e32 0x80, v37
	s_cbranch_execz .LBB255_104
; %bb.99:                               ;   in Loop: Header=BB255_12 Depth=1
	v_bfe_u32 v38, v14, 16, 7
	v_mov_b32_e32 v36, 0x7c01
	s_mov_b32 s43, exec_lo
	s_delay_alu instid0(VALU_DEP_2)
	v_cmpx_ne_u32_e32 0x7f, v38
	s_cbranch_execz .LBB255_103
; %bb.100:                              ;   in Loop: Header=BB255_12 Depth=1
	v_dual_lshrrev_b32 v37, 3, v38 :: v_dual_bitop2_b32 v36, 7, v4 bitop3:0x40
	s_mov_b32 s44, exec_lo
	v_cmpx_gt_u32_e32 8, v38
; %bb.101:                              ;   in Loop: Header=BB255_12 Depth=1
	s_delay_alu instid0(VALU_DEP_2) | instskip(NEXT) | instid1(VALU_DEP_1)
	v_clz_i32_u32_e32 v36, v36
	v_min_u32_e32 v38, 32, v36
	s_delay_alu instid0(VALU_DEP_1) | instskip(NEXT) | instid1(VALU_DEP_1)
	v_subrev_nc_u32_e32 v36, 28, v38
	v_lshlrev_b64_e32 v[36:37], v36, v[4:5]
	s_delay_alu instid0(VALU_DEP_1)
	v_dual_sub_nc_u32 v37, 29, v38 :: v_dual_bitop2_b32 v36, 7, v36 bitop3:0x40
; %bb.102:                              ;   in Loop: Header=BB255_12 Depth=1
	s_or_b32 exec_lo, exec_lo, s44
	v_lshlrev_b32_e32 v4, 8, v4
	s_delay_alu instid0(VALU_DEP_2) | instskip(NEXT) | instid1(VALU_DEP_3)
	v_lshl_add_u32 v37, v37, 10, 0x2000
	v_lshlrev_b32_e32 v36, 7, v36
	s_delay_alu instid0(VALU_DEP_3) | instskip(NEXT) | instid1(VALU_DEP_3)
	v_and_b32_e32 v4, 0x8000, v4
	v_and_b32_e32 v37, 0xfc00, v37
	s_delay_alu instid0(VALU_DEP_1)
	v_or3_b32 v36, v4, v37, v36
.LBB255_103:                            ;   in Loop: Header=BB255_12 Depth=1
	s_or_b32 exec_lo, exec_lo, s43
.LBB255_104:                            ;   in Loop: Header=BB255_12 Depth=1
	s_delay_alu instid0(SALU_CYCLE_1)
	s_or_b32 exec_lo, exec_lo, s42
.LBB255_105:                            ;   in Loop: Header=BB255_12 Depth=1
	s_delay_alu instid0(SALU_CYCLE_1) | instskip(NEXT) | instid1(SALU_CYCLE_1)
	s_or_b32 exec_lo, exec_lo, s41
	s_mov_b32 s41, exec_lo
	v_cmpx_lt_u32_e32 0xffffff, v14
	s_cbranch_execz .LBB255_113
; %bb.106:                              ;   in Loop: Header=BB255_12 Depth=1
	v_lshrrev_b32_e32 v4, 24, v14
	v_bfrev_b32_e32 v35, 1
	s_mov_b32 s42, exec_lo
	s_delay_alu instid0(VALU_DEP_2)
	v_cmpx_ne_u32_e32 0x80, v4
	s_cbranch_execz .LBB255_112
; %bb.107:                              ;   in Loop: Header=BB255_12 Depth=1
	v_and_b32_e32 v37, 0x7f, v4
	v_mov_b32_e32 v35, 0x7c010000
	s_mov_b32 s43, exec_lo
	s_delay_alu instid0(VALU_DEP_2)
	v_cmpx_ne_u32_e32 0x7f, v37
	s_cbranch_execz .LBB255_111
; %bb.108:                              ;   in Loop: Header=BB255_12 Depth=1
	v_dual_lshrrev_b32 v35, 3, v37 :: v_dual_bitop2_b32 v14, 7, v4 bitop3:0x40
	s_mov_b32 s44, exec_lo
	v_cmpx_gt_u32_e32 8, v37
; %bb.109:                              ;   in Loop: Header=BB255_12 Depth=1
	s_delay_alu instid0(VALU_DEP_2) | instskip(NEXT) | instid1(VALU_DEP_1)
	v_clz_i32_u32_e32 v14, v14
	v_min_u32_e32 v14, 32, v14
	s_delay_alu instid0(VALU_DEP_1) | instskip(NEXT) | instid1(VALU_DEP_1)
	v_subrev_nc_u32_e32 v35, 28, v14
	v_lshlrev_b64_e32 v[38:39], v35, v[4:5]
	v_sub_nc_u32_e32 v35, 29, v14
	s_delay_alu instid0(VALU_DEP_2)
	v_and_b32_e32 v14, 7, v38
; %bb.110:                              ;   in Loop: Header=BB255_12 Depth=1
	s_or_b32 exec_lo, exec_lo, s44
	s_delay_alu instid0(VALU_DEP_1) | instskip(NEXT) | instid1(VALU_DEP_3)
	v_dual_lshlrev_b32 v4, 8, v4 :: v_dual_lshlrev_b32 v14, 23, v14
	v_lshl_add_u32 v35, v35, 10, 0x2000
	s_delay_alu instid0(VALU_DEP_1) | instskip(NEXT) | instid1(VALU_DEP_1)
	v_and_or_b32 v4, 0x8000, v4, v35
	v_lshl_or_b32 v35, v4, 16, v14
.LBB255_111:                            ;   in Loop: Header=BB255_12 Depth=1
	s_or_b32 exec_lo, exec_lo, s43
.LBB255_112:                            ;   in Loop: Header=BB255_12 Depth=1
	s_delay_alu instid0(SALU_CYCLE_1)
	s_or_b32 exec_lo, exec_lo, s42
.LBB255_113:                            ;   in Loop: Header=BB255_12 Depth=1
	s_delay_alu instid0(SALU_CYCLE_1)
	s_or_b32 exec_lo, exec_lo, s41
	global_load_b32 v14, v[12:13], off offset:264
	v_dual_mov_b32 v37, 0 :: v_dual_mov_b32 v38, 0
	s_mov_b32 s41, exec_lo
	s_wait_loadcnt 0x0
	v_and_b32_e32 v4, 0xff, v14
	s_delay_alu instid0(VALU_DEP_1)
	v_cmpx_ne_u16_e32 0, v4
	s_cbranch_execz .LBB255_121
; %bb.114:                              ;   in Loop: Header=BB255_12 Depth=1
	v_mov_b32_e32 v38, 0x8000
	s_mov_b32 s42, exec_lo
	v_cmpx_ne_u16_e32 0x80, v4
	s_cbranch_execz .LBB255_120
; %bb.115:                              ;   in Loop: Header=BB255_12 Depth=1
	v_and_b32_e32 v39, 0x7f, v14
	v_mov_b32_e32 v38, 0x7c01
	s_mov_b32 s43, exec_lo
	s_delay_alu instid0(VALU_DEP_2)
	v_cmpx_ne_u32_e32 0x7f, v39
	s_cbranch_execz .LBB255_119
; %bb.116:                              ;   in Loop: Header=BB255_12 Depth=1
	v_dual_lshrrev_b32 v38, 3, v39 :: v_dual_bitop2_b32 v4, 7, v14 bitop3:0x40
	s_mov_b32 s44, exec_lo
	v_cmpx_gt_u32_e32 8, v39
; %bb.117:                              ;   in Loop: Header=BB255_12 Depth=1
	s_delay_alu instid0(VALU_DEP_2) | instskip(NEXT) | instid1(VALU_DEP_1)
	v_clz_i32_u32_e32 v4, v4
	v_min_u32_e32 v4, 32, v4
	s_delay_alu instid0(VALU_DEP_1) | instskip(NEXT) | instid1(VALU_DEP_1)
	v_subrev_nc_u32_e32 v38, 28, v4
	v_lshlrev_b64_e32 v[40:41], v38, v[14:15]
	v_sub_nc_u32_e32 v38, 29, v4
	s_delay_alu instid0(VALU_DEP_2)
	v_and_b32_e32 v4, 7, v40
; %bb.118:                              ;   in Loop: Header=BB255_12 Depth=1
	s_or_b32 exec_lo, exec_lo, s44
	s_delay_alu instid0(VALU_DEP_1) | instskip(NEXT) | instid1(VALU_DEP_3)
	v_dual_lshlrev_b32 v39, 8, v14 :: v_dual_lshlrev_b32 v4, 7, v4
	v_lshl_add_u32 v38, v38, 10, 0x2000
	s_delay_alu instid0(VALU_DEP_2) | instskip(NEXT) | instid1(VALU_DEP_2)
	v_and_b32_e32 v39, 0x8000, v39
	v_and_b32_e32 v38, 0xfc00, v38
	s_delay_alu instid0(VALU_DEP_1)
	v_or3_b32 v38, v39, v38, v4
.LBB255_119:                            ;   in Loop: Header=BB255_12 Depth=1
	s_or_b32 exec_lo, exec_lo, s43
.LBB255_120:                            ;   in Loop: Header=BB255_12 Depth=1
	s_delay_alu instid0(SALU_CYCLE_1)
	s_or_b32 exec_lo, exec_lo, s42
.LBB255_121:                            ;   in Loop: Header=BB255_12 Depth=1
	s_delay_alu instid0(SALU_CYCLE_1) | instskip(SKIP_2) | instid1(VALU_DEP_1)
	s_or_b32 exec_lo, exec_lo, s41
	v_lshrrev_b16 v4, 8, v14
	s_mov_b32 s41, exec_lo
	v_cmpx_ne_u16_e32 0, v4
	s_cbranch_execz .LBB255_129
; %bb.122:                              ;   in Loop: Header=BB255_12 Depth=1
	v_bfrev_b32_e32 v37, 1
	s_mov_b32 s42, exec_lo
	v_cmpx_ne_u16_e32 0x80, v4
	s_cbranch_execz .LBB255_128
; %bb.123:                              ;   in Loop: Header=BB255_12 Depth=1
	v_and_b32_e32 v39, 0xffff, v4
	v_mov_b32_e32 v37, 0x7c010000
	s_mov_b32 s43, exec_lo
	s_delay_alu instid0(VALU_DEP_2) | instskip(NEXT) | instid1(VALU_DEP_1)
	v_and_b32_e32 v41, 0x7f, v39
	v_cmpx_ne_u32_e32 0x7f, v41
	s_cbranch_execz .LBB255_127
; %bb.124:                              ;   in Loop: Header=BB255_12 Depth=1
	v_dual_lshrrev_b32 v40, 3, v41 :: v_dual_bitop2_b32 v37, 7, v39 bitop3:0x40
	s_mov_b32 s44, exec_lo
	v_cmpx_gt_u32_e32 8, v41
; %bb.125:                              ;   in Loop: Header=BB255_12 Depth=1
	s_delay_alu instid0(VALU_DEP_2) | instskip(NEXT) | instid1(VALU_DEP_1)
	v_clz_i32_u32_e32 v37, v37
	v_min_u32_e32 v37, 32, v37
	s_delay_alu instid0(VALU_DEP_1) | instskip(NEXT) | instid1(VALU_DEP_1)
	v_subrev_nc_u32_e32 v40, 28, v37
	v_lshlrev_b64_e32 v[42:43], v40, v[4:5]
	s_delay_alu instid0(VALU_DEP_1)
	v_dual_sub_nc_u32 v40, 29, v37 :: v_dual_bitop2_b32 v37, 7, v42 bitop3:0x40
; %bb.126:                              ;   in Loop: Header=BB255_12 Depth=1
	s_or_b32 exec_lo, exec_lo, s44
	s_delay_alu instid0(VALU_DEP_1) | instskip(NEXT) | instid1(VALU_DEP_2)
	v_dual_lshlrev_b32 v4, 8, v39 :: v_dual_lshlrev_b32 v37, 23, v37
	v_lshl_add_u32 v39, v40, 10, 0x2000
	s_delay_alu instid0(VALU_DEP_1) | instskip(NEXT) | instid1(VALU_DEP_1)
	v_and_or_b32 v4, 0x8000, v4, v39
	v_lshl_or_b32 v37, v4, 16, v37
.LBB255_127:                            ;   in Loop: Header=BB255_12 Depth=1
	s_or_b32 exec_lo, exec_lo, s43
.LBB255_128:                            ;   in Loop: Header=BB255_12 Depth=1
	s_delay_alu instid0(SALU_CYCLE_1)
	s_or_b32 exec_lo, exec_lo, s42
.LBB255_129:                            ;   in Loop: Header=BB255_12 Depth=1
	s_delay_alu instid0(SALU_CYCLE_1) | instskip(SKIP_3) | instid1(VALU_DEP_2)
	s_or_b32 exec_lo, exec_lo, s41
	v_dual_mov_b32 v39, 0 :: v_dual_lshrrev_b32 v4, 16, v14
	v_mov_b32_e32 v40, 0
	s_mov_b32 s41, exec_lo
	v_and_b32_e32 v41, 0xff, v4
	s_delay_alu instid0(VALU_DEP_1)
	v_cmpx_ne_u16_e32 0, v41
	s_cbranch_execz .LBB255_137
; %bb.130:                              ;   in Loop: Header=BB255_12 Depth=1
	v_mov_b32_e32 v40, 0x8000
	s_mov_b32 s42, exec_lo
	v_cmpx_ne_u16_e32 0x80, v41
	s_cbranch_execz .LBB255_136
; %bb.131:                              ;   in Loop: Header=BB255_12 Depth=1
	v_bfe_u32 v42, v14, 16, 7
	v_mov_b32_e32 v40, 0x7c01
	s_mov_b32 s43, exec_lo
	s_delay_alu instid0(VALU_DEP_2)
	v_cmpx_ne_u32_e32 0x7f, v42
	s_cbranch_execz .LBB255_135
; %bb.132:                              ;   in Loop: Header=BB255_12 Depth=1
	v_dual_lshrrev_b32 v41, 3, v42 :: v_dual_bitop2_b32 v40, 7, v4 bitop3:0x40
	s_mov_b32 s44, exec_lo
	v_cmpx_gt_u32_e32 8, v42
; %bb.133:                              ;   in Loop: Header=BB255_12 Depth=1
	s_delay_alu instid0(VALU_DEP_2) | instskip(NEXT) | instid1(VALU_DEP_1)
	v_clz_i32_u32_e32 v40, v40
	v_min_u32_e32 v42, 32, v40
	s_delay_alu instid0(VALU_DEP_1) | instskip(NEXT) | instid1(VALU_DEP_1)
	v_subrev_nc_u32_e32 v40, 28, v42
	v_lshlrev_b64_e32 v[40:41], v40, v[4:5]
	s_delay_alu instid0(VALU_DEP_1)
	v_dual_sub_nc_u32 v41, 29, v42 :: v_dual_bitop2_b32 v40, 7, v40 bitop3:0x40
; %bb.134:                              ;   in Loop: Header=BB255_12 Depth=1
	s_or_b32 exec_lo, exec_lo, s44
	v_lshlrev_b32_e32 v4, 8, v4
	s_delay_alu instid0(VALU_DEP_2) | instskip(NEXT) | instid1(VALU_DEP_3)
	v_lshl_add_u32 v41, v41, 10, 0x2000
	v_lshlrev_b32_e32 v40, 7, v40
	s_delay_alu instid0(VALU_DEP_3) | instskip(NEXT) | instid1(VALU_DEP_3)
	v_and_b32_e32 v4, 0x8000, v4
	v_and_b32_e32 v41, 0xfc00, v41
	s_delay_alu instid0(VALU_DEP_1)
	v_or3_b32 v40, v4, v41, v40
.LBB255_135:                            ;   in Loop: Header=BB255_12 Depth=1
	s_or_b32 exec_lo, exec_lo, s43
.LBB255_136:                            ;   in Loop: Header=BB255_12 Depth=1
	s_delay_alu instid0(SALU_CYCLE_1)
	s_or_b32 exec_lo, exec_lo, s42
.LBB255_137:                            ;   in Loop: Header=BB255_12 Depth=1
	s_delay_alu instid0(SALU_CYCLE_1) | instskip(NEXT) | instid1(SALU_CYCLE_1)
	s_or_b32 exec_lo, exec_lo, s41
	s_mov_b32 s41, exec_lo
	v_cmpx_lt_u32_e32 0xffffff, v14
	s_cbranch_execz .LBB255_145
; %bb.138:                              ;   in Loop: Header=BB255_12 Depth=1
	v_lshrrev_b32_e32 v4, 24, v14
	v_bfrev_b32_e32 v39, 1
	s_mov_b32 s42, exec_lo
	s_delay_alu instid0(VALU_DEP_2)
	v_cmpx_ne_u32_e32 0x80, v4
	s_cbranch_execz .LBB255_144
; %bb.139:                              ;   in Loop: Header=BB255_12 Depth=1
	v_and_b32_e32 v41, 0x7f, v4
	v_mov_b32_e32 v39, 0x7c010000
	s_mov_b32 s43, exec_lo
	s_delay_alu instid0(VALU_DEP_2)
	v_cmpx_ne_u32_e32 0x7f, v41
	s_cbranch_execz .LBB255_143
; %bb.140:                              ;   in Loop: Header=BB255_12 Depth=1
	v_dual_lshrrev_b32 v39, 3, v41 :: v_dual_bitop2_b32 v14, 7, v4 bitop3:0x40
	s_mov_b32 s44, exec_lo
	v_cmpx_gt_u32_e32 8, v41
; %bb.141:                              ;   in Loop: Header=BB255_12 Depth=1
	s_delay_alu instid0(VALU_DEP_2) | instskip(NEXT) | instid1(VALU_DEP_1)
	v_clz_i32_u32_e32 v14, v14
	v_min_u32_e32 v14, 32, v14
	s_delay_alu instid0(VALU_DEP_1) | instskip(NEXT) | instid1(VALU_DEP_1)
	v_subrev_nc_u32_e32 v39, 28, v14
	v_lshlrev_b64_e32 v[42:43], v39, v[4:5]
	v_sub_nc_u32_e32 v39, 29, v14
	s_delay_alu instid0(VALU_DEP_2)
	v_and_b32_e32 v14, 7, v42
; %bb.142:                              ;   in Loop: Header=BB255_12 Depth=1
	s_or_b32 exec_lo, exec_lo, s44
	s_delay_alu instid0(VALU_DEP_1) | instskip(NEXT) | instid1(VALU_DEP_3)
	v_dual_lshlrev_b32 v4, 8, v4 :: v_dual_lshlrev_b32 v14, 23, v14
	v_lshl_add_u32 v39, v39, 10, 0x2000
	s_delay_alu instid0(VALU_DEP_1) | instskip(NEXT) | instid1(VALU_DEP_1)
	v_and_or_b32 v4, 0x8000, v4, v39
	v_lshl_or_b32 v39, v4, 16, v14
.LBB255_143:                            ;   in Loop: Header=BB255_12 Depth=1
	s_or_b32 exec_lo, exec_lo, s43
.LBB255_144:                            ;   in Loop: Header=BB255_12 Depth=1
	s_delay_alu instid0(SALU_CYCLE_1)
	s_or_b32 exec_lo, exec_lo, s42
.LBB255_145:                            ;   in Loop: Header=BB255_12 Depth=1
	s_delay_alu instid0(SALU_CYCLE_1)
	s_or_b32 exec_lo, exec_lo, s41
	global_load_b32 v14, v[12:13], off offset:512
	v_dual_mov_b32 v41, 0 :: v_dual_mov_b32 v42, 0
	s_mov_b32 s41, exec_lo
	s_wait_loadcnt 0x0
	v_and_b32_e32 v4, 0xff, v14
	s_delay_alu instid0(VALU_DEP_1)
	v_cmpx_ne_u16_e32 0, v4
	s_cbranch_execz .LBB255_153
; %bb.146:                              ;   in Loop: Header=BB255_12 Depth=1
	v_mov_b32_e32 v42, 0x8000
	s_mov_b32 s42, exec_lo
	v_cmpx_ne_u16_e32 0x80, v4
	s_cbranch_execz .LBB255_152
; %bb.147:                              ;   in Loop: Header=BB255_12 Depth=1
	v_and_b32_e32 v43, 0x7f, v14
	v_mov_b32_e32 v42, 0x7c01
	s_mov_b32 s43, exec_lo
	s_delay_alu instid0(VALU_DEP_2)
	v_cmpx_ne_u32_e32 0x7f, v43
	s_cbranch_execz .LBB255_151
; %bb.148:                              ;   in Loop: Header=BB255_12 Depth=1
	v_dual_lshrrev_b32 v42, 3, v43 :: v_dual_bitop2_b32 v4, 7, v14 bitop3:0x40
	s_mov_b32 s44, exec_lo
	v_cmpx_gt_u32_e32 8, v43
; %bb.149:                              ;   in Loop: Header=BB255_12 Depth=1
	s_delay_alu instid0(VALU_DEP_2) | instskip(NEXT) | instid1(VALU_DEP_1)
	v_clz_i32_u32_e32 v4, v4
	v_min_u32_e32 v4, 32, v4
	s_delay_alu instid0(VALU_DEP_1) | instskip(NEXT) | instid1(VALU_DEP_1)
	v_subrev_nc_u32_e32 v42, 28, v4
	v_lshlrev_b64_e32 v[44:45], v42, v[14:15]
	v_sub_nc_u32_e32 v42, 29, v4
	s_delay_alu instid0(VALU_DEP_2)
	v_and_b32_e32 v4, 7, v44
; %bb.150:                              ;   in Loop: Header=BB255_12 Depth=1
	s_or_b32 exec_lo, exec_lo, s44
	s_delay_alu instid0(VALU_DEP_1) | instskip(NEXT) | instid1(VALU_DEP_3)
	v_dual_lshlrev_b32 v43, 8, v14 :: v_dual_lshlrev_b32 v4, 7, v4
	v_lshl_add_u32 v42, v42, 10, 0x2000
	s_delay_alu instid0(VALU_DEP_2) | instskip(NEXT) | instid1(VALU_DEP_2)
	v_and_b32_e32 v43, 0x8000, v43
	v_and_b32_e32 v42, 0xfc00, v42
	s_delay_alu instid0(VALU_DEP_1)
	v_or3_b32 v42, v43, v42, v4
.LBB255_151:                            ;   in Loop: Header=BB255_12 Depth=1
	s_or_b32 exec_lo, exec_lo, s43
.LBB255_152:                            ;   in Loop: Header=BB255_12 Depth=1
	s_delay_alu instid0(SALU_CYCLE_1)
	s_or_b32 exec_lo, exec_lo, s42
.LBB255_153:                            ;   in Loop: Header=BB255_12 Depth=1
	s_delay_alu instid0(SALU_CYCLE_1) | instskip(SKIP_2) | instid1(VALU_DEP_1)
	s_or_b32 exec_lo, exec_lo, s41
	v_lshrrev_b16 v4, 8, v14
	s_mov_b32 s41, exec_lo
	v_cmpx_ne_u16_e32 0, v4
	s_cbranch_execz .LBB255_161
; %bb.154:                              ;   in Loop: Header=BB255_12 Depth=1
	v_bfrev_b32_e32 v41, 1
	s_mov_b32 s42, exec_lo
	v_cmpx_ne_u16_e32 0x80, v4
	s_cbranch_execz .LBB255_160
; %bb.155:                              ;   in Loop: Header=BB255_12 Depth=1
	v_and_b32_e32 v43, 0xffff, v4
	v_mov_b32_e32 v41, 0x7c010000
	s_mov_b32 s43, exec_lo
	s_delay_alu instid0(VALU_DEP_2) | instskip(NEXT) | instid1(VALU_DEP_1)
	v_and_b32_e32 v45, 0x7f, v43
	v_cmpx_ne_u32_e32 0x7f, v45
	s_cbranch_execz .LBB255_159
; %bb.156:                              ;   in Loop: Header=BB255_12 Depth=1
	v_dual_lshrrev_b32 v44, 3, v45 :: v_dual_bitop2_b32 v41, 7, v43 bitop3:0x40
	s_mov_b32 s44, exec_lo
	v_cmpx_gt_u32_e32 8, v45
; %bb.157:                              ;   in Loop: Header=BB255_12 Depth=1
	s_delay_alu instid0(VALU_DEP_2) | instskip(NEXT) | instid1(VALU_DEP_1)
	v_clz_i32_u32_e32 v41, v41
	v_min_u32_e32 v41, 32, v41
	s_delay_alu instid0(VALU_DEP_1) | instskip(NEXT) | instid1(VALU_DEP_1)
	v_subrev_nc_u32_e32 v44, 28, v41
	v_lshlrev_b64_e32 v[46:47], v44, v[4:5]
	s_delay_alu instid0(VALU_DEP_1)
	v_dual_sub_nc_u32 v44, 29, v41 :: v_dual_bitop2_b32 v41, 7, v46 bitop3:0x40
; %bb.158:                              ;   in Loop: Header=BB255_12 Depth=1
	s_or_b32 exec_lo, exec_lo, s44
	s_delay_alu instid0(VALU_DEP_1) | instskip(NEXT) | instid1(VALU_DEP_2)
	v_dual_lshlrev_b32 v4, 8, v43 :: v_dual_lshlrev_b32 v41, 23, v41
	v_lshl_add_u32 v43, v44, 10, 0x2000
	s_delay_alu instid0(VALU_DEP_1) | instskip(NEXT) | instid1(VALU_DEP_1)
	v_and_or_b32 v4, 0x8000, v4, v43
	v_lshl_or_b32 v41, v4, 16, v41
.LBB255_159:                            ;   in Loop: Header=BB255_12 Depth=1
	s_or_b32 exec_lo, exec_lo, s43
.LBB255_160:                            ;   in Loop: Header=BB255_12 Depth=1
	s_delay_alu instid0(SALU_CYCLE_1)
	s_or_b32 exec_lo, exec_lo, s42
.LBB255_161:                            ;   in Loop: Header=BB255_12 Depth=1
	s_delay_alu instid0(SALU_CYCLE_1) | instskip(SKIP_3) | instid1(VALU_DEP_2)
	s_or_b32 exec_lo, exec_lo, s41
	v_dual_mov_b32 v45, 0 :: v_dual_lshrrev_b32 v4, 16, v14
	v_mov_b32_e32 v46, 0
	s_mov_b32 s41, exec_lo
	v_and_b32_e32 v43, 0xff, v4
	s_delay_alu instid0(VALU_DEP_1)
	v_cmpx_ne_u16_e32 0, v43
	s_cbranch_execz .LBB255_169
; %bb.162:                              ;   in Loop: Header=BB255_12 Depth=1
	v_mov_b32_e32 v46, 0x8000
	s_mov_b32 s42, exec_lo
	v_cmpx_ne_u16_e32 0x80, v43
	s_cbranch_execz .LBB255_168
; %bb.163:                              ;   in Loop: Header=BB255_12 Depth=1
	v_bfe_u32 v47, v14, 16, 7
	v_mov_b32_e32 v46, 0x7c01
	s_mov_b32 s43, exec_lo
	s_delay_alu instid0(VALU_DEP_2)
	v_cmpx_ne_u32_e32 0x7f, v47
	s_cbranch_execz .LBB255_167
; %bb.164:                              ;   in Loop: Header=BB255_12 Depth=1
	v_dual_lshrrev_b32 v44, 3, v47 :: v_dual_bitop2_b32 v43, 7, v4 bitop3:0x40
	s_mov_b32 s44, exec_lo
	v_cmpx_gt_u32_e32 8, v47
; %bb.165:                              ;   in Loop: Header=BB255_12 Depth=1
	s_delay_alu instid0(VALU_DEP_2) | instskip(NEXT) | instid1(VALU_DEP_1)
	v_clz_i32_u32_e32 v43, v43
	v_min_u32_e32 v43, 32, v43
	s_delay_alu instid0(VALU_DEP_1) | instskip(NEXT) | instid1(VALU_DEP_1)
	v_subrev_nc_u32_e32 v44, 28, v43
	v_lshlrev_b64_e32 v[46:47], v44, v[4:5]
	s_delay_alu instid0(VALU_DEP_1)
	v_dual_sub_nc_u32 v44, 29, v43 :: v_dual_bitop2_b32 v43, 7, v46 bitop3:0x40
; %bb.166:                              ;   in Loop: Header=BB255_12 Depth=1
	s_or_b32 exec_lo, exec_lo, s44
	s_delay_alu instid0(VALU_DEP_1) | instskip(NEXT) | instid1(VALU_DEP_2)
	v_dual_lshlrev_b32 v4, 8, v4 :: v_dual_lshlrev_b32 v43, 7, v43
	v_lshl_add_u32 v44, v44, 10, 0x2000
	s_delay_alu instid0(VALU_DEP_2) | instskip(NEXT) | instid1(VALU_DEP_2)
	v_and_b32_e32 v4, 0x8000, v4
	v_and_b32_e32 v44, 0xfc00, v44
	s_delay_alu instid0(VALU_DEP_1)
	v_or3_b32 v46, v4, v44, v43
.LBB255_167:                            ;   in Loop: Header=BB255_12 Depth=1
	s_or_b32 exec_lo, exec_lo, s43
.LBB255_168:                            ;   in Loop: Header=BB255_12 Depth=1
	s_delay_alu instid0(SALU_CYCLE_1)
	s_or_b32 exec_lo, exec_lo, s42
.LBB255_169:                            ;   in Loop: Header=BB255_12 Depth=1
	s_delay_alu instid0(SALU_CYCLE_1) | instskip(NEXT) | instid1(SALU_CYCLE_1)
	s_or_b32 exec_lo, exec_lo, s41
	s_mov_b32 s41, exec_lo
	v_cmpx_lt_u32_e32 0xffffff, v14
	s_cbranch_execz .LBB255_177
; %bb.170:                              ;   in Loop: Header=BB255_12 Depth=1
	v_lshrrev_b32_e32 v4, 24, v14
	v_bfrev_b32_e32 v45, 1
	s_mov_b32 s42, exec_lo
	s_delay_alu instid0(VALU_DEP_2)
	v_cmpx_ne_u32_e32 0x80, v4
	s_cbranch_execz .LBB255_176
; %bb.171:                              ;   in Loop: Header=BB255_12 Depth=1
	v_and_b32_e32 v44, 0x7f, v4
	v_mov_b32_e32 v45, 0x7c010000
	s_mov_b32 s43, exec_lo
	s_delay_alu instid0(VALU_DEP_2)
	v_cmpx_ne_u32_e32 0x7f, v44
	s_cbranch_execz .LBB255_175
; %bb.172:                              ;   in Loop: Header=BB255_12 Depth=1
	v_and_b32_e32 v14, 7, v4
	v_lshrrev_b32_e32 v43, 3, v44
	s_mov_b32 s44, exec_lo
	v_cmpx_gt_u32_e32 8, v44
; %bb.173:                              ;   in Loop: Header=BB255_12 Depth=1
	s_delay_alu instid0(VALU_DEP_3) | instskip(NEXT) | instid1(VALU_DEP_1)
	v_clz_i32_u32_e32 v14, v14
	v_min_u32_e32 v14, 32, v14
	s_delay_alu instid0(VALU_DEP_1) | instskip(NEXT) | instid1(VALU_DEP_1)
	v_subrev_nc_u32_e32 v43, 28, v14
	v_lshlrev_b64_e32 v[44:45], v43, v[4:5]
	s_delay_alu instid0(VALU_DEP_1)
	v_dual_sub_nc_u32 v43, 29, v14 :: v_dual_bitop2_b32 v14, 7, v44 bitop3:0x40
; %bb.174:                              ;   in Loop: Header=BB255_12 Depth=1
	s_or_b32 exec_lo, exec_lo, s44
	s_delay_alu instid0(VALU_DEP_1) | instskip(NEXT) | instid1(VALU_DEP_2)
	v_dual_lshlrev_b32 v4, 8, v4 :: v_dual_lshlrev_b32 v14, 23, v14
	v_lshl_add_u32 v43, v43, 10, 0x2000
	s_delay_alu instid0(VALU_DEP_1) | instskip(NEXT) | instid1(VALU_DEP_1)
	v_and_or_b32 v4, 0x8000, v4, v43
	v_lshl_or_b32 v45, v4, 16, v14
.LBB255_175:                            ;   in Loop: Header=BB255_12 Depth=1
	s_or_b32 exec_lo, exec_lo, s43
.LBB255_176:                            ;   in Loop: Header=BB255_12 Depth=1
	s_delay_alu instid0(SALU_CYCLE_1)
	s_or_b32 exec_lo, exec_lo, s42
.LBB255_177:                            ;   in Loop: Header=BB255_12 Depth=1
	s_delay_alu instid0(SALU_CYCLE_1)
	s_or_b32 exec_lo, exec_lo, s41
	global_load_b32 v14, v[12:13], off offset:520
	v_dual_mov_b32 v43, 0 :: v_dual_mov_b32 v44, 0
	s_mov_b32 s41, exec_lo
	s_wait_loadcnt 0x0
	v_and_b32_e32 v4, 0xff, v14
	s_delay_alu instid0(VALU_DEP_1)
	v_cmpx_ne_u16_e32 0, v4
	s_cbranch_execz .LBB255_185
; %bb.178:                              ;   in Loop: Header=BB255_12 Depth=1
	v_mov_b32_e32 v44, 0x8000
	s_mov_b32 s42, exec_lo
	v_cmpx_ne_u16_e32 0x80, v4
	s_cbranch_execz .LBB255_184
; %bb.179:                              ;   in Loop: Header=BB255_12 Depth=1
	v_and_b32_e32 v47, 0x7f, v14
	v_mov_b32_e32 v44, 0x7c01
	s_mov_b32 s43, exec_lo
	s_delay_alu instid0(VALU_DEP_2)
	v_cmpx_ne_u32_e32 0x7f, v47
	s_cbranch_execz .LBB255_183
; %bb.180:                              ;   in Loop: Header=BB255_12 Depth=1
	v_dual_lshrrev_b32 v44, 3, v47 :: v_dual_bitop2_b32 v4, 7, v14 bitop3:0x40
	s_mov_b32 s44, exec_lo
	v_cmpx_gt_u32_e32 8, v47
; %bb.181:                              ;   in Loop: Header=BB255_12 Depth=1
	s_delay_alu instid0(VALU_DEP_2) | instskip(NEXT) | instid1(VALU_DEP_1)
	v_clz_i32_u32_e32 v4, v4
	v_min_u32_e32 v4, 32, v4
	s_delay_alu instid0(VALU_DEP_1) | instskip(NEXT) | instid1(VALU_DEP_1)
	v_subrev_nc_u32_e32 v44, 28, v4
	v_lshlrev_b64_e32 v[48:49], v44, v[14:15]
	v_sub_nc_u32_e32 v44, 29, v4
	s_delay_alu instid0(VALU_DEP_2)
	v_and_b32_e32 v4, 7, v48
; %bb.182:                              ;   in Loop: Header=BB255_12 Depth=1
	s_or_b32 exec_lo, exec_lo, s44
	s_delay_alu instid0(VALU_DEP_1) | instskip(NEXT) | instid1(VALU_DEP_3)
	v_dual_lshlrev_b32 v47, 8, v14 :: v_dual_lshlrev_b32 v4, 7, v4
	v_lshl_add_u32 v44, v44, 10, 0x2000
	s_delay_alu instid0(VALU_DEP_2) | instskip(NEXT) | instid1(VALU_DEP_2)
	v_and_b32_e32 v47, 0x8000, v47
	v_and_b32_e32 v44, 0xfc00, v44
	s_delay_alu instid0(VALU_DEP_1)
	v_or3_b32 v44, v47, v44, v4
.LBB255_183:                            ;   in Loop: Header=BB255_12 Depth=1
	s_or_b32 exec_lo, exec_lo, s43
.LBB255_184:                            ;   in Loop: Header=BB255_12 Depth=1
	s_delay_alu instid0(SALU_CYCLE_1)
	s_or_b32 exec_lo, exec_lo, s42
.LBB255_185:                            ;   in Loop: Header=BB255_12 Depth=1
	s_delay_alu instid0(SALU_CYCLE_1) | instskip(SKIP_2) | instid1(VALU_DEP_1)
	s_or_b32 exec_lo, exec_lo, s41
	v_lshrrev_b16 v4, 8, v14
	s_mov_b32 s41, exec_lo
	v_cmpx_ne_u16_e32 0, v4
	s_cbranch_execz .LBB255_193
; %bb.186:                              ;   in Loop: Header=BB255_12 Depth=1
	v_bfrev_b32_e32 v43, 1
	s_mov_b32 s42, exec_lo
	v_cmpx_ne_u16_e32 0x80, v4
	s_cbranch_execz .LBB255_192
; %bb.187:                              ;   in Loop: Header=BB255_12 Depth=1
	v_and_b32_e32 v47, 0xffff, v4
	v_mov_b32_e32 v43, 0x7c010000
	s_mov_b32 s43, exec_lo
	s_delay_alu instid0(VALU_DEP_2) | instskip(NEXT) | instid1(VALU_DEP_1)
	v_and_b32_e32 v49, 0x7f, v47
	v_cmpx_ne_u32_e32 0x7f, v49
	s_cbranch_execz .LBB255_191
; %bb.188:                              ;   in Loop: Header=BB255_12 Depth=1
	v_dual_lshrrev_b32 v48, 3, v49 :: v_dual_bitop2_b32 v43, 7, v47 bitop3:0x40
	s_mov_b32 s44, exec_lo
	v_cmpx_gt_u32_e32 8, v49
; %bb.189:                              ;   in Loop: Header=BB255_12 Depth=1
	s_delay_alu instid0(VALU_DEP_2) | instskip(NEXT) | instid1(VALU_DEP_1)
	v_clz_i32_u32_e32 v43, v43
	v_min_u32_e32 v43, 32, v43
	s_delay_alu instid0(VALU_DEP_1) | instskip(NEXT) | instid1(VALU_DEP_1)
	v_subrev_nc_u32_e32 v48, 28, v43
	v_lshlrev_b64_e32 v[50:51], v48, v[4:5]
	s_delay_alu instid0(VALU_DEP_1)
	v_dual_sub_nc_u32 v48, 29, v43 :: v_dual_bitop2_b32 v43, 7, v50 bitop3:0x40
; %bb.190:                              ;   in Loop: Header=BB255_12 Depth=1
	s_or_b32 exec_lo, exec_lo, s44
	v_lshlrev_b32_e32 v4, 8, v47
	s_delay_alu instid0(VALU_DEP_2) | instskip(NEXT) | instid1(VALU_DEP_3)
	v_lshl_add_u32 v47, v48, 10, 0x2000
	v_lshlrev_b32_e32 v43, 23, v43
	s_delay_alu instid0(VALU_DEP_2) | instskip(NEXT) | instid1(VALU_DEP_1)
	v_and_or_b32 v4, 0x8000, v4, v47
	v_lshl_or_b32 v43, v4, 16, v43
.LBB255_191:                            ;   in Loop: Header=BB255_12 Depth=1
	s_or_b32 exec_lo, exec_lo, s43
.LBB255_192:                            ;   in Loop: Header=BB255_12 Depth=1
	s_delay_alu instid0(SALU_CYCLE_1)
	s_or_b32 exec_lo, exec_lo, s42
.LBB255_193:                            ;   in Loop: Header=BB255_12 Depth=1
	s_delay_alu instid0(SALU_CYCLE_1) | instskip(SKIP_3) | instid1(VALU_DEP_2)
	s_or_b32 exec_lo, exec_lo, s41
	v_dual_mov_b32 v47, 0 :: v_dual_lshrrev_b32 v4, 16, v14
	v_mov_b32_e32 v48, 0
	s_mov_b32 s41, exec_lo
	v_and_b32_e32 v49, 0xff, v4
	s_delay_alu instid0(VALU_DEP_1)
	v_cmpx_ne_u16_e32 0, v49
	s_cbranch_execz .LBB255_201
; %bb.194:                              ;   in Loop: Header=BB255_12 Depth=1
	v_mov_b32_e32 v48, 0x8000
	s_mov_b32 s42, exec_lo
	v_cmpx_ne_u16_e32 0x80, v49
	s_cbranch_execz .LBB255_200
; %bb.195:                              ;   in Loop: Header=BB255_12 Depth=1
	v_bfe_u32 v50, v14, 16, 7
	v_mov_b32_e32 v48, 0x7c01
	s_mov_b32 s43, exec_lo
	s_delay_alu instid0(VALU_DEP_2)
	v_cmpx_ne_u32_e32 0x7f, v50
	s_cbranch_execz .LBB255_199
; %bb.196:                              ;   in Loop: Header=BB255_12 Depth=1
	v_dual_lshrrev_b32 v49, 3, v50 :: v_dual_bitop2_b32 v48, 7, v4 bitop3:0x40
	s_mov_b32 s44, exec_lo
	v_cmpx_gt_u32_e32 8, v50
; %bb.197:                              ;   in Loop: Header=BB255_12 Depth=1
	s_delay_alu instid0(VALU_DEP_2) | instskip(NEXT) | instid1(VALU_DEP_1)
	v_clz_i32_u32_e32 v48, v48
	v_min_u32_e32 v50, 32, v48
	s_delay_alu instid0(VALU_DEP_1) | instskip(NEXT) | instid1(VALU_DEP_1)
	v_subrev_nc_u32_e32 v48, 28, v50
	v_lshlrev_b64_e32 v[48:49], v48, v[4:5]
	s_delay_alu instid0(VALU_DEP_1)
	v_dual_sub_nc_u32 v49, 29, v50 :: v_dual_bitop2_b32 v48, 7, v48 bitop3:0x40
; %bb.198:                              ;   in Loop: Header=BB255_12 Depth=1
	s_or_b32 exec_lo, exec_lo, s44
	v_lshlrev_b32_e32 v4, 8, v4
	s_delay_alu instid0(VALU_DEP_2) | instskip(NEXT) | instid1(VALU_DEP_3)
	v_lshl_add_u32 v49, v49, 10, 0x2000
	v_lshlrev_b32_e32 v48, 7, v48
	s_delay_alu instid0(VALU_DEP_3) | instskip(NEXT) | instid1(VALU_DEP_3)
	v_and_b32_e32 v4, 0x8000, v4
	v_and_b32_e32 v49, 0xfc00, v49
	s_delay_alu instid0(VALU_DEP_1)
	v_or3_b32 v48, v4, v49, v48
.LBB255_199:                            ;   in Loop: Header=BB255_12 Depth=1
	s_or_b32 exec_lo, exec_lo, s43
.LBB255_200:                            ;   in Loop: Header=BB255_12 Depth=1
	s_delay_alu instid0(SALU_CYCLE_1)
	s_or_b32 exec_lo, exec_lo, s42
.LBB255_201:                            ;   in Loop: Header=BB255_12 Depth=1
	s_delay_alu instid0(SALU_CYCLE_1) | instskip(NEXT) | instid1(SALU_CYCLE_1)
	s_or_b32 exec_lo, exec_lo, s41
	s_mov_b32 s41, exec_lo
	v_cmpx_lt_u32_e32 0xffffff, v14
	s_cbranch_execz .LBB255_209
; %bb.202:                              ;   in Loop: Header=BB255_12 Depth=1
	v_lshrrev_b32_e32 v4, 24, v14
	v_bfrev_b32_e32 v47, 1
	s_mov_b32 s42, exec_lo
	s_delay_alu instid0(VALU_DEP_2)
	v_cmpx_ne_u32_e32 0x80, v4
	s_cbranch_execz .LBB255_208
; %bb.203:                              ;   in Loop: Header=BB255_12 Depth=1
	v_and_b32_e32 v49, 0x7f, v4
	v_mov_b32_e32 v47, 0x7c010000
	s_mov_b32 s43, exec_lo
	s_delay_alu instid0(VALU_DEP_2)
	v_cmpx_ne_u32_e32 0x7f, v49
	s_cbranch_execz .LBB255_207
; %bb.204:                              ;   in Loop: Header=BB255_12 Depth=1
	v_dual_lshrrev_b32 v47, 3, v49 :: v_dual_bitop2_b32 v14, 7, v4 bitop3:0x40
	s_mov_b32 s44, exec_lo
	v_cmpx_gt_u32_e32 8, v49
; %bb.205:                              ;   in Loop: Header=BB255_12 Depth=1
	s_delay_alu instid0(VALU_DEP_2) | instskip(NEXT) | instid1(VALU_DEP_1)
	v_clz_i32_u32_e32 v14, v14
	v_min_u32_e32 v14, 32, v14
	s_delay_alu instid0(VALU_DEP_1) | instskip(NEXT) | instid1(VALU_DEP_1)
	v_subrev_nc_u32_e32 v47, 28, v14
	v_lshlrev_b64_e32 v[50:51], v47, v[4:5]
	v_sub_nc_u32_e32 v47, 29, v14
	s_delay_alu instid0(VALU_DEP_2)
	v_and_b32_e32 v14, 7, v50
; %bb.206:                              ;   in Loop: Header=BB255_12 Depth=1
	s_or_b32 exec_lo, exec_lo, s44
	s_delay_alu instid0(VALU_DEP_1) | instskip(NEXT) | instid1(VALU_DEP_3)
	v_dual_lshlrev_b32 v4, 8, v4 :: v_dual_lshlrev_b32 v14, 23, v14
	v_lshl_add_u32 v47, v47, 10, 0x2000
	s_delay_alu instid0(VALU_DEP_1) | instskip(NEXT) | instid1(VALU_DEP_1)
	v_and_or_b32 v4, 0x8000, v4, v47
	v_lshl_or_b32 v47, v4, 16, v14
.LBB255_207:                            ;   in Loop: Header=BB255_12 Depth=1
	s_or_b32 exec_lo, exec_lo, s43
.LBB255_208:                            ;   in Loop: Header=BB255_12 Depth=1
	s_delay_alu instid0(SALU_CYCLE_1)
	s_or_b32 exec_lo, exec_lo, s42
.LBB255_209:                            ;   in Loop: Header=BB255_12 Depth=1
	s_delay_alu instid0(SALU_CYCLE_1)
	s_or_b32 exec_lo, exec_lo, s41
	global_load_b32 v14, v[12:13], off offset:768
	v_dual_mov_b32 v49, 0 :: v_dual_mov_b32 v50, 0
	s_mov_b32 s41, exec_lo
	s_wait_loadcnt 0x0
	v_and_b32_e32 v4, 0xff, v14
	s_delay_alu instid0(VALU_DEP_1)
	v_cmpx_ne_u16_e32 0, v4
	s_cbranch_execz .LBB255_217
; %bb.210:                              ;   in Loop: Header=BB255_12 Depth=1
	v_mov_b32_e32 v50, 0x8000
	s_mov_b32 s42, exec_lo
	v_cmpx_ne_u16_e32 0x80, v4
	s_cbranch_execz .LBB255_216
; %bb.211:                              ;   in Loop: Header=BB255_12 Depth=1
	v_and_b32_e32 v51, 0x7f, v14
	v_mov_b32_e32 v50, 0x7c01
	s_mov_b32 s43, exec_lo
	s_delay_alu instid0(VALU_DEP_2)
	v_cmpx_ne_u32_e32 0x7f, v51
	s_cbranch_execz .LBB255_215
; %bb.212:                              ;   in Loop: Header=BB255_12 Depth=1
	v_dual_lshrrev_b32 v50, 3, v51 :: v_dual_bitop2_b32 v4, 7, v14 bitop3:0x40
	s_mov_b32 s44, exec_lo
	v_cmpx_gt_u32_e32 8, v51
; %bb.213:                              ;   in Loop: Header=BB255_12 Depth=1
	s_delay_alu instid0(VALU_DEP_2) | instskip(NEXT) | instid1(VALU_DEP_1)
	v_clz_i32_u32_e32 v4, v4
	v_min_u32_e32 v4, 32, v4
	s_delay_alu instid0(VALU_DEP_1) | instskip(NEXT) | instid1(VALU_DEP_1)
	v_subrev_nc_u32_e32 v50, 28, v4
	v_lshlrev_b64_e32 v[52:53], v50, v[14:15]
	v_sub_nc_u32_e32 v50, 29, v4
	s_delay_alu instid0(VALU_DEP_2)
	v_and_b32_e32 v4, 7, v52
; %bb.214:                              ;   in Loop: Header=BB255_12 Depth=1
	s_or_b32 exec_lo, exec_lo, s44
	s_delay_alu instid0(VALU_DEP_1) | instskip(NEXT) | instid1(VALU_DEP_3)
	v_dual_lshlrev_b32 v51, 8, v14 :: v_dual_lshlrev_b32 v4, 7, v4
	v_lshl_add_u32 v50, v50, 10, 0x2000
	s_delay_alu instid0(VALU_DEP_2) | instskip(NEXT) | instid1(VALU_DEP_2)
	v_and_b32_e32 v51, 0x8000, v51
	v_and_b32_e32 v50, 0xfc00, v50
	s_delay_alu instid0(VALU_DEP_1)
	v_or3_b32 v50, v51, v50, v4
.LBB255_215:                            ;   in Loop: Header=BB255_12 Depth=1
	s_or_b32 exec_lo, exec_lo, s43
.LBB255_216:                            ;   in Loop: Header=BB255_12 Depth=1
	s_delay_alu instid0(SALU_CYCLE_1)
	s_or_b32 exec_lo, exec_lo, s42
.LBB255_217:                            ;   in Loop: Header=BB255_12 Depth=1
	s_delay_alu instid0(SALU_CYCLE_1) | instskip(SKIP_2) | instid1(VALU_DEP_1)
	s_or_b32 exec_lo, exec_lo, s41
	v_lshrrev_b16 v4, 8, v14
	s_mov_b32 s41, exec_lo
	v_cmpx_ne_u16_e32 0, v4
	s_cbranch_execz .LBB255_225
; %bb.218:                              ;   in Loop: Header=BB255_12 Depth=1
	v_bfrev_b32_e32 v49, 1
	s_mov_b32 s42, exec_lo
	v_cmpx_ne_u16_e32 0x80, v4
	s_cbranch_execz .LBB255_224
; %bb.219:                              ;   in Loop: Header=BB255_12 Depth=1
	v_and_b32_e32 v51, 0xffff, v4
	v_mov_b32_e32 v49, 0x7c010000
	s_mov_b32 s43, exec_lo
	s_delay_alu instid0(VALU_DEP_2) | instskip(NEXT) | instid1(VALU_DEP_1)
	v_and_b32_e32 v53, 0x7f, v51
	v_cmpx_ne_u32_e32 0x7f, v53
	s_cbranch_execz .LBB255_223
; %bb.220:                              ;   in Loop: Header=BB255_12 Depth=1
	v_dual_lshrrev_b32 v52, 3, v53 :: v_dual_bitop2_b32 v49, 7, v51 bitop3:0x40
	s_mov_b32 s44, exec_lo
	v_cmpx_gt_u32_e32 8, v53
; %bb.221:                              ;   in Loop: Header=BB255_12 Depth=1
	s_delay_alu instid0(VALU_DEP_2) | instskip(NEXT) | instid1(VALU_DEP_1)
	v_clz_i32_u32_e32 v49, v49
	v_min_u32_e32 v49, 32, v49
	s_delay_alu instid0(VALU_DEP_1) | instskip(NEXT) | instid1(VALU_DEP_1)
	v_subrev_nc_u32_e32 v52, 28, v49
	v_lshlrev_b64_e32 v[54:55], v52, v[4:5]
	s_delay_alu instid0(VALU_DEP_1)
	v_dual_sub_nc_u32 v52, 29, v49 :: v_dual_bitop2_b32 v49, 7, v54 bitop3:0x40
; %bb.222:                              ;   in Loop: Header=BB255_12 Depth=1
	s_or_b32 exec_lo, exec_lo, s44
	s_delay_alu instid0(VALU_DEP_1) | instskip(NEXT) | instid1(VALU_DEP_2)
	v_dual_lshlrev_b32 v4, 8, v51 :: v_dual_lshlrev_b32 v49, 23, v49
	v_lshl_add_u32 v51, v52, 10, 0x2000
	s_delay_alu instid0(VALU_DEP_1) | instskip(NEXT) | instid1(VALU_DEP_1)
	v_and_or_b32 v4, 0x8000, v4, v51
	v_lshl_or_b32 v49, v4, 16, v49
.LBB255_223:                            ;   in Loop: Header=BB255_12 Depth=1
	s_or_b32 exec_lo, exec_lo, s43
.LBB255_224:                            ;   in Loop: Header=BB255_12 Depth=1
	s_delay_alu instid0(SALU_CYCLE_1)
	s_or_b32 exec_lo, exec_lo, s42
.LBB255_225:                            ;   in Loop: Header=BB255_12 Depth=1
	s_delay_alu instid0(SALU_CYCLE_1) | instskip(SKIP_3) | instid1(VALU_DEP_2)
	s_or_b32 exec_lo, exec_lo, s41
	v_dual_mov_b32 v51, 0 :: v_dual_lshrrev_b32 v4, 16, v14
	v_mov_b32_e32 v52, 0
	s_mov_b32 s41, exec_lo
	v_and_b32_e32 v53, 0xff, v4
	s_delay_alu instid0(VALU_DEP_1)
	v_cmpx_ne_u16_e32 0, v53
	s_cbranch_execz .LBB255_233
; %bb.226:                              ;   in Loop: Header=BB255_12 Depth=1
	v_mov_b32_e32 v52, 0x8000
	s_mov_b32 s42, exec_lo
	v_cmpx_ne_u16_e32 0x80, v53
	s_cbranch_execz .LBB255_232
; %bb.227:                              ;   in Loop: Header=BB255_12 Depth=1
	v_bfe_u32 v54, v14, 16, 7
	v_mov_b32_e32 v52, 0x7c01
	s_mov_b32 s43, exec_lo
	s_delay_alu instid0(VALU_DEP_2)
	v_cmpx_ne_u32_e32 0x7f, v54
	s_cbranch_execz .LBB255_231
; %bb.228:                              ;   in Loop: Header=BB255_12 Depth=1
	v_dual_lshrrev_b32 v53, 3, v54 :: v_dual_bitop2_b32 v52, 7, v4 bitop3:0x40
	s_mov_b32 s44, exec_lo
	v_cmpx_gt_u32_e32 8, v54
; %bb.229:                              ;   in Loop: Header=BB255_12 Depth=1
	s_delay_alu instid0(VALU_DEP_2) | instskip(NEXT) | instid1(VALU_DEP_1)
	v_clz_i32_u32_e32 v52, v52
	v_min_u32_e32 v54, 32, v52
	s_delay_alu instid0(VALU_DEP_1) | instskip(NEXT) | instid1(VALU_DEP_1)
	v_subrev_nc_u32_e32 v52, 28, v54
	v_lshlrev_b64_e32 v[52:53], v52, v[4:5]
	s_delay_alu instid0(VALU_DEP_1)
	v_dual_sub_nc_u32 v53, 29, v54 :: v_dual_bitop2_b32 v52, 7, v52 bitop3:0x40
; %bb.230:                              ;   in Loop: Header=BB255_12 Depth=1
	s_or_b32 exec_lo, exec_lo, s44
	v_lshlrev_b32_e32 v4, 8, v4
	s_delay_alu instid0(VALU_DEP_2) | instskip(NEXT) | instid1(VALU_DEP_3)
	v_lshl_add_u32 v53, v53, 10, 0x2000
	v_lshlrev_b32_e32 v52, 7, v52
	s_delay_alu instid0(VALU_DEP_3) | instskip(NEXT) | instid1(VALU_DEP_3)
	v_and_b32_e32 v4, 0x8000, v4
	v_and_b32_e32 v53, 0xfc00, v53
	s_delay_alu instid0(VALU_DEP_1)
	v_or3_b32 v52, v4, v53, v52
.LBB255_231:                            ;   in Loop: Header=BB255_12 Depth=1
	s_or_b32 exec_lo, exec_lo, s43
.LBB255_232:                            ;   in Loop: Header=BB255_12 Depth=1
	s_delay_alu instid0(SALU_CYCLE_1)
	s_or_b32 exec_lo, exec_lo, s42
.LBB255_233:                            ;   in Loop: Header=BB255_12 Depth=1
	s_delay_alu instid0(SALU_CYCLE_1) | instskip(NEXT) | instid1(SALU_CYCLE_1)
	s_or_b32 exec_lo, exec_lo, s41
	s_mov_b32 s41, exec_lo
	v_cmpx_lt_u32_e32 0xffffff, v14
	s_cbranch_execz .LBB255_241
; %bb.234:                              ;   in Loop: Header=BB255_12 Depth=1
	v_lshrrev_b32_e32 v4, 24, v14
	v_bfrev_b32_e32 v51, 1
	s_mov_b32 s42, exec_lo
	s_delay_alu instid0(VALU_DEP_2)
	v_cmpx_ne_u32_e32 0x80, v4
	s_cbranch_execz .LBB255_240
; %bb.235:                              ;   in Loop: Header=BB255_12 Depth=1
	v_and_b32_e32 v53, 0x7f, v4
	v_mov_b32_e32 v51, 0x7c010000
	s_mov_b32 s43, exec_lo
	s_delay_alu instid0(VALU_DEP_2)
	v_cmpx_ne_u32_e32 0x7f, v53
	s_cbranch_execz .LBB255_239
; %bb.236:                              ;   in Loop: Header=BB255_12 Depth=1
	v_dual_lshrrev_b32 v51, 3, v53 :: v_dual_bitop2_b32 v14, 7, v4 bitop3:0x40
	s_mov_b32 s44, exec_lo
	v_cmpx_gt_u32_e32 8, v53
; %bb.237:                              ;   in Loop: Header=BB255_12 Depth=1
	s_delay_alu instid0(VALU_DEP_2) | instskip(NEXT) | instid1(VALU_DEP_1)
	v_clz_i32_u32_e32 v14, v14
	v_min_u32_e32 v14, 32, v14
	s_delay_alu instid0(VALU_DEP_1) | instskip(NEXT) | instid1(VALU_DEP_1)
	v_subrev_nc_u32_e32 v51, 28, v14
	v_lshlrev_b64_e32 v[54:55], v51, v[4:5]
	v_sub_nc_u32_e32 v51, 29, v14
	s_delay_alu instid0(VALU_DEP_2)
	v_and_b32_e32 v14, 7, v54
; %bb.238:                              ;   in Loop: Header=BB255_12 Depth=1
	s_or_b32 exec_lo, exec_lo, s44
	s_delay_alu instid0(VALU_DEP_1) | instskip(NEXT) | instid1(VALU_DEP_3)
	v_dual_lshlrev_b32 v4, 8, v4 :: v_dual_lshlrev_b32 v14, 23, v14
	v_lshl_add_u32 v51, v51, 10, 0x2000
	s_delay_alu instid0(VALU_DEP_1) | instskip(NEXT) | instid1(VALU_DEP_1)
	v_and_or_b32 v4, 0x8000, v4, v51
	v_lshl_or_b32 v51, v4, 16, v14
.LBB255_239:                            ;   in Loop: Header=BB255_12 Depth=1
	s_or_b32 exec_lo, exec_lo, s43
.LBB255_240:                            ;   in Loop: Header=BB255_12 Depth=1
	s_delay_alu instid0(SALU_CYCLE_1)
	s_or_b32 exec_lo, exec_lo, s42
.LBB255_241:                            ;   in Loop: Header=BB255_12 Depth=1
	s_delay_alu instid0(SALU_CYCLE_1)
	s_or_b32 exec_lo, exec_lo, s41
	global_load_b32 v14, v[12:13], off offset:776
	v_dual_mov_b32 v53, 0 :: v_dual_mov_b32 v54, 0
	s_mov_b32 s41, exec_lo
	s_wait_loadcnt 0x0
	v_and_b32_e32 v4, 0xff, v14
	s_delay_alu instid0(VALU_DEP_1)
	v_cmpx_ne_u16_e32 0, v4
	s_cbranch_execz .LBB255_249
; %bb.242:                              ;   in Loop: Header=BB255_12 Depth=1
	v_mov_b32_e32 v54, 0x8000
	s_mov_b32 s42, exec_lo
	v_cmpx_ne_u16_e32 0x80, v4
	s_cbranch_execz .LBB255_248
; %bb.243:                              ;   in Loop: Header=BB255_12 Depth=1
	v_and_b32_e32 v55, 0x7f, v14
	v_mov_b32_e32 v54, 0x7c01
	s_mov_b32 s43, exec_lo
	s_delay_alu instid0(VALU_DEP_2)
	v_cmpx_ne_u32_e32 0x7f, v55
	s_cbranch_execz .LBB255_247
; %bb.244:                              ;   in Loop: Header=BB255_12 Depth=1
	v_dual_lshrrev_b32 v54, 3, v55 :: v_dual_bitop2_b32 v4, 7, v14 bitop3:0x40
	s_mov_b32 s44, exec_lo
	v_cmpx_gt_u32_e32 8, v55
; %bb.245:                              ;   in Loop: Header=BB255_12 Depth=1
	s_delay_alu instid0(VALU_DEP_2) | instskip(NEXT) | instid1(VALU_DEP_1)
	v_clz_i32_u32_e32 v4, v4
	v_min_u32_e32 v4, 32, v4
	s_delay_alu instid0(VALU_DEP_1) | instskip(NEXT) | instid1(VALU_DEP_1)
	v_subrev_nc_u32_e32 v54, 28, v4
	v_lshlrev_b64_e32 v[56:57], v54, v[14:15]
	v_sub_nc_u32_e32 v54, 29, v4
	s_delay_alu instid0(VALU_DEP_2)
	v_and_b32_e32 v4, 7, v56
; %bb.246:                              ;   in Loop: Header=BB255_12 Depth=1
	s_or_b32 exec_lo, exec_lo, s44
	s_delay_alu instid0(VALU_DEP_1) | instskip(NEXT) | instid1(VALU_DEP_3)
	v_dual_lshlrev_b32 v55, 8, v14 :: v_dual_lshlrev_b32 v4, 7, v4
	v_lshl_add_u32 v54, v54, 10, 0x2000
	s_delay_alu instid0(VALU_DEP_2) | instskip(NEXT) | instid1(VALU_DEP_2)
	v_and_b32_e32 v55, 0x8000, v55
	v_and_b32_e32 v54, 0xfc00, v54
	s_delay_alu instid0(VALU_DEP_1)
	v_or3_b32 v54, v55, v54, v4
.LBB255_247:                            ;   in Loop: Header=BB255_12 Depth=1
	s_or_b32 exec_lo, exec_lo, s43
.LBB255_248:                            ;   in Loop: Header=BB255_12 Depth=1
	s_delay_alu instid0(SALU_CYCLE_1)
	s_or_b32 exec_lo, exec_lo, s42
.LBB255_249:                            ;   in Loop: Header=BB255_12 Depth=1
	s_delay_alu instid0(SALU_CYCLE_1) | instskip(SKIP_2) | instid1(VALU_DEP_1)
	s_or_b32 exec_lo, exec_lo, s41
	v_lshrrev_b16 v4, 8, v14
	s_mov_b32 s41, exec_lo
	v_cmpx_ne_u16_e32 0, v4
	s_cbranch_execz .LBB255_257
; %bb.250:                              ;   in Loop: Header=BB255_12 Depth=1
	v_bfrev_b32_e32 v53, 1
	s_mov_b32 s42, exec_lo
	v_cmpx_ne_u16_e32 0x80, v4
	s_cbranch_execz .LBB255_256
; %bb.251:                              ;   in Loop: Header=BB255_12 Depth=1
	v_and_b32_e32 v55, 0xffff, v4
	v_mov_b32_e32 v53, 0x7c010000
	s_mov_b32 s43, exec_lo
	s_delay_alu instid0(VALU_DEP_2) | instskip(NEXT) | instid1(VALU_DEP_1)
	v_and_b32_e32 v57, 0x7f, v55
	v_cmpx_ne_u32_e32 0x7f, v57
	s_cbranch_execz .LBB255_255
; %bb.252:                              ;   in Loop: Header=BB255_12 Depth=1
	v_dual_lshrrev_b32 v56, 3, v57 :: v_dual_bitop2_b32 v53, 7, v55 bitop3:0x40
	s_mov_b32 s44, exec_lo
	v_cmpx_gt_u32_e32 8, v57
; %bb.253:                              ;   in Loop: Header=BB255_12 Depth=1
	s_delay_alu instid0(VALU_DEP_2) | instskip(NEXT) | instid1(VALU_DEP_1)
	v_clz_i32_u32_e32 v53, v53
	v_min_u32_e32 v53, 32, v53
	s_delay_alu instid0(VALU_DEP_1) | instskip(NEXT) | instid1(VALU_DEP_1)
	v_subrev_nc_u32_e32 v56, 28, v53
	v_lshlrev_b64_e32 v[58:59], v56, v[4:5]
	s_delay_alu instid0(VALU_DEP_1)
	v_dual_sub_nc_u32 v56, 29, v53 :: v_dual_bitop2_b32 v53, 7, v58 bitop3:0x40
; %bb.254:                              ;   in Loop: Header=BB255_12 Depth=1
	s_or_b32 exec_lo, exec_lo, s44
	s_delay_alu instid0(VALU_DEP_1) | instskip(NEXT) | instid1(VALU_DEP_2)
	v_dual_lshlrev_b32 v4, 8, v55 :: v_dual_lshlrev_b32 v53, 23, v53
	v_lshl_add_u32 v55, v56, 10, 0x2000
	s_delay_alu instid0(VALU_DEP_1) | instskip(NEXT) | instid1(VALU_DEP_1)
	v_and_or_b32 v4, 0x8000, v4, v55
	v_lshl_or_b32 v53, v4, 16, v53
.LBB255_255:                            ;   in Loop: Header=BB255_12 Depth=1
	s_or_b32 exec_lo, exec_lo, s43
.LBB255_256:                            ;   in Loop: Header=BB255_12 Depth=1
	s_delay_alu instid0(SALU_CYCLE_1)
	s_or_b32 exec_lo, exec_lo, s42
.LBB255_257:                            ;   in Loop: Header=BB255_12 Depth=1
	s_delay_alu instid0(SALU_CYCLE_1) | instskip(SKIP_3) | instid1(VALU_DEP_2)
	s_or_b32 exec_lo, exec_lo, s41
	v_dual_mov_b32 v55, 0 :: v_dual_lshrrev_b32 v4, 16, v14
	v_mov_b32_e32 v56, 0
	s_mov_b32 s41, exec_lo
	v_and_b32_e32 v57, 0xff, v4
	s_delay_alu instid0(VALU_DEP_1)
	v_cmpx_ne_u16_e32 0, v57
	s_cbranch_execz .LBB255_265
; %bb.258:                              ;   in Loop: Header=BB255_12 Depth=1
	v_mov_b32_e32 v56, 0x8000
	s_mov_b32 s42, exec_lo
	v_cmpx_ne_u16_e32 0x80, v57
	s_cbranch_execz .LBB255_264
; %bb.259:                              ;   in Loop: Header=BB255_12 Depth=1
	v_bfe_u32 v58, v14, 16, 7
	v_mov_b32_e32 v56, 0x7c01
	s_mov_b32 s43, exec_lo
	s_delay_alu instid0(VALU_DEP_2)
	v_cmpx_ne_u32_e32 0x7f, v58
	s_cbranch_execz .LBB255_263
; %bb.260:                              ;   in Loop: Header=BB255_12 Depth=1
	v_dual_lshrrev_b32 v57, 3, v58 :: v_dual_bitop2_b32 v56, 7, v4 bitop3:0x40
	s_mov_b32 s44, exec_lo
	v_cmpx_gt_u32_e32 8, v58
; %bb.261:                              ;   in Loop: Header=BB255_12 Depth=1
	s_delay_alu instid0(VALU_DEP_2) | instskip(NEXT) | instid1(VALU_DEP_1)
	v_clz_i32_u32_e32 v56, v56
	v_min_u32_e32 v58, 32, v56
	s_delay_alu instid0(VALU_DEP_1) | instskip(NEXT) | instid1(VALU_DEP_1)
	v_subrev_nc_u32_e32 v56, 28, v58
	v_lshlrev_b64_e32 v[56:57], v56, v[4:5]
	s_delay_alu instid0(VALU_DEP_1)
	v_dual_sub_nc_u32 v57, 29, v58 :: v_dual_bitop2_b32 v56, 7, v56 bitop3:0x40
; %bb.262:                              ;   in Loop: Header=BB255_12 Depth=1
	s_or_b32 exec_lo, exec_lo, s44
	v_lshlrev_b32_e32 v4, 8, v4
	s_delay_alu instid0(VALU_DEP_2) | instskip(NEXT) | instid1(VALU_DEP_3)
	v_lshl_add_u32 v57, v57, 10, 0x2000
	v_lshlrev_b32_e32 v56, 7, v56
	s_delay_alu instid0(VALU_DEP_3) | instskip(NEXT) | instid1(VALU_DEP_3)
	v_and_b32_e32 v4, 0x8000, v4
	v_and_b32_e32 v57, 0xfc00, v57
	s_delay_alu instid0(VALU_DEP_1)
	v_or3_b32 v56, v4, v57, v56
.LBB255_263:                            ;   in Loop: Header=BB255_12 Depth=1
	s_or_b32 exec_lo, exec_lo, s43
.LBB255_264:                            ;   in Loop: Header=BB255_12 Depth=1
	s_delay_alu instid0(SALU_CYCLE_1)
	s_or_b32 exec_lo, exec_lo, s42
.LBB255_265:                            ;   in Loop: Header=BB255_12 Depth=1
	s_delay_alu instid0(SALU_CYCLE_1) | instskip(NEXT) | instid1(SALU_CYCLE_1)
	s_or_b32 exec_lo, exec_lo, s41
	s_mov_b32 s41, exec_lo
	v_cmpx_lt_u32_e32 0xffffff, v14
	s_cbranch_execz .LBB255_273
; %bb.266:                              ;   in Loop: Header=BB255_12 Depth=1
	v_lshrrev_b32_e32 v4, 24, v14
	v_bfrev_b32_e32 v55, 1
	s_mov_b32 s42, exec_lo
	s_delay_alu instid0(VALU_DEP_2)
	v_cmpx_ne_u32_e32 0x80, v4
	s_cbranch_execz .LBB255_272
; %bb.267:                              ;   in Loop: Header=BB255_12 Depth=1
	v_and_b32_e32 v57, 0x7f, v4
	v_mov_b32_e32 v55, 0x7c010000
	s_mov_b32 s43, exec_lo
	s_delay_alu instid0(VALU_DEP_2)
	v_cmpx_ne_u32_e32 0x7f, v57
	s_cbranch_execz .LBB255_271
; %bb.268:                              ;   in Loop: Header=BB255_12 Depth=1
	v_dual_lshrrev_b32 v55, 3, v57 :: v_dual_bitop2_b32 v14, 7, v4 bitop3:0x40
	s_mov_b32 s44, exec_lo
	v_cmpx_gt_u32_e32 8, v57
; %bb.269:                              ;   in Loop: Header=BB255_12 Depth=1
	s_delay_alu instid0(VALU_DEP_2) | instskip(NEXT) | instid1(VALU_DEP_1)
	v_clz_i32_u32_e32 v14, v14
	v_min_u32_e32 v14, 32, v14
	s_delay_alu instid0(VALU_DEP_1) | instskip(NEXT) | instid1(VALU_DEP_1)
	v_subrev_nc_u32_e32 v55, 28, v14
	v_lshlrev_b64_e32 v[58:59], v55, v[4:5]
	v_sub_nc_u32_e32 v55, 29, v14
	s_delay_alu instid0(VALU_DEP_2)
	v_and_b32_e32 v14, 7, v58
; %bb.270:                              ;   in Loop: Header=BB255_12 Depth=1
	s_or_b32 exec_lo, exec_lo, s44
	s_delay_alu instid0(VALU_DEP_1) | instskip(NEXT) | instid1(VALU_DEP_3)
	v_dual_lshlrev_b32 v4, 8, v4 :: v_dual_lshlrev_b32 v14, 23, v14
	v_lshl_add_u32 v55, v55, 10, 0x2000
	s_delay_alu instid0(VALU_DEP_1) | instskip(NEXT) | instid1(VALU_DEP_1)
	v_and_or_b32 v4, 0x8000, v4, v55
	v_lshl_or_b32 v55, v4, 16, v14
.LBB255_271:                            ;   in Loop: Header=BB255_12 Depth=1
	s_or_b32 exec_lo, exec_lo, s43
.LBB255_272:                            ;   in Loop: Header=BB255_12 Depth=1
	s_delay_alu instid0(SALU_CYCLE_1)
	s_or_b32 exec_lo, exec_lo, s42
.LBB255_273:                            ;   in Loop: Header=BB255_12 Depth=1
	s_delay_alu instid0(SALU_CYCLE_1)
	s_or_b32 exec_lo, exec_lo, s41
	global_load_b32 v14, v[12:13], off offset:1024
	v_dual_mov_b32 v57, 0 :: v_dual_mov_b32 v58, 0
	s_mov_b32 s41, exec_lo
	s_wait_loadcnt 0x0
	v_and_b32_e32 v4, 0xff, v14
	s_delay_alu instid0(VALU_DEP_1)
	v_cmpx_ne_u16_e32 0, v4
	s_cbranch_execz .LBB255_281
; %bb.274:                              ;   in Loop: Header=BB255_12 Depth=1
	v_mov_b32_e32 v58, 0x8000
	s_mov_b32 s42, exec_lo
	v_cmpx_ne_u16_e32 0x80, v4
	s_cbranch_execz .LBB255_280
; %bb.275:                              ;   in Loop: Header=BB255_12 Depth=1
	v_and_b32_e32 v59, 0x7f, v14
	v_mov_b32_e32 v58, 0x7c01
	s_mov_b32 s43, exec_lo
	s_delay_alu instid0(VALU_DEP_2)
	v_cmpx_ne_u32_e32 0x7f, v59
	s_cbranch_execz .LBB255_279
; %bb.276:                              ;   in Loop: Header=BB255_12 Depth=1
	v_dual_lshrrev_b32 v58, 3, v59 :: v_dual_bitop2_b32 v4, 7, v14 bitop3:0x40
	s_mov_b32 s44, exec_lo
	v_cmpx_gt_u32_e32 8, v59
; %bb.277:                              ;   in Loop: Header=BB255_12 Depth=1
	s_delay_alu instid0(VALU_DEP_2) | instskip(NEXT) | instid1(VALU_DEP_1)
	v_clz_i32_u32_e32 v4, v4
	v_min_u32_e32 v4, 32, v4
	s_delay_alu instid0(VALU_DEP_1) | instskip(NEXT) | instid1(VALU_DEP_1)
	v_subrev_nc_u32_e32 v58, 28, v4
	v_lshlrev_b64_e32 v[60:61], v58, v[14:15]
	v_sub_nc_u32_e32 v58, 29, v4
	s_delay_alu instid0(VALU_DEP_2)
	v_and_b32_e32 v4, 7, v60
; %bb.278:                              ;   in Loop: Header=BB255_12 Depth=1
	s_or_b32 exec_lo, exec_lo, s44
	s_delay_alu instid0(VALU_DEP_1) | instskip(NEXT) | instid1(VALU_DEP_3)
	v_dual_lshlrev_b32 v59, 8, v14 :: v_dual_lshlrev_b32 v4, 7, v4
	v_lshl_add_u32 v58, v58, 10, 0x2000
	s_delay_alu instid0(VALU_DEP_2) | instskip(NEXT) | instid1(VALU_DEP_2)
	v_and_b32_e32 v59, 0x8000, v59
	v_and_b32_e32 v58, 0xfc00, v58
	s_delay_alu instid0(VALU_DEP_1)
	v_or3_b32 v58, v59, v58, v4
.LBB255_279:                            ;   in Loop: Header=BB255_12 Depth=1
	s_or_b32 exec_lo, exec_lo, s43
.LBB255_280:                            ;   in Loop: Header=BB255_12 Depth=1
	s_delay_alu instid0(SALU_CYCLE_1)
	s_or_b32 exec_lo, exec_lo, s42
.LBB255_281:                            ;   in Loop: Header=BB255_12 Depth=1
	s_delay_alu instid0(SALU_CYCLE_1) | instskip(SKIP_2) | instid1(VALU_DEP_1)
	s_or_b32 exec_lo, exec_lo, s41
	v_lshrrev_b16 v4, 8, v14
	s_mov_b32 s41, exec_lo
	v_cmpx_ne_u16_e32 0, v4
	s_cbranch_execz .LBB255_289
; %bb.282:                              ;   in Loop: Header=BB255_12 Depth=1
	v_bfrev_b32_e32 v57, 1
	s_mov_b32 s42, exec_lo
	v_cmpx_ne_u16_e32 0x80, v4
	s_cbranch_execz .LBB255_288
; %bb.283:                              ;   in Loop: Header=BB255_12 Depth=1
	v_and_b32_e32 v59, 0xffff, v4
	v_mov_b32_e32 v57, 0x7c010000
	s_mov_b32 s43, exec_lo
	s_delay_alu instid0(VALU_DEP_2) | instskip(NEXT) | instid1(VALU_DEP_1)
	v_and_b32_e32 v61, 0x7f, v59
	v_cmpx_ne_u32_e32 0x7f, v61
	s_cbranch_execz .LBB255_287
; %bb.284:                              ;   in Loop: Header=BB255_12 Depth=1
	v_dual_lshrrev_b32 v60, 3, v61 :: v_dual_bitop2_b32 v57, 7, v59 bitop3:0x40
	s_mov_b32 s44, exec_lo
	v_cmpx_gt_u32_e32 8, v61
; %bb.285:                              ;   in Loop: Header=BB255_12 Depth=1
	s_delay_alu instid0(VALU_DEP_2) | instskip(NEXT) | instid1(VALU_DEP_1)
	v_clz_i32_u32_e32 v57, v57
	v_min_u32_e32 v57, 32, v57
	s_delay_alu instid0(VALU_DEP_1) | instskip(NEXT) | instid1(VALU_DEP_1)
	v_subrev_nc_u32_e32 v60, 28, v57
	v_lshlrev_b64_e32 v[62:63], v60, v[4:5]
	s_delay_alu instid0(VALU_DEP_1)
	v_dual_sub_nc_u32 v60, 29, v57 :: v_dual_bitop2_b32 v57, 7, v62 bitop3:0x40
; %bb.286:                              ;   in Loop: Header=BB255_12 Depth=1
	s_or_b32 exec_lo, exec_lo, s44
	s_delay_alu instid0(VALU_DEP_1) | instskip(NEXT) | instid1(VALU_DEP_2)
	v_dual_lshlrev_b32 v4, 8, v59 :: v_dual_lshlrev_b32 v57, 23, v57
	v_lshl_add_u32 v59, v60, 10, 0x2000
	s_delay_alu instid0(VALU_DEP_1) | instskip(NEXT) | instid1(VALU_DEP_1)
	v_and_or_b32 v4, 0x8000, v4, v59
	v_lshl_or_b32 v57, v4, 16, v57
.LBB255_287:                            ;   in Loop: Header=BB255_12 Depth=1
	s_or_b32 exec_lo, exec_lo, s43
.LBB255_288:                            ;   in Loop: Header=BB255_12 Depth=1
	s_delay_alu instid0(SALU_CYCLE_1)
	s_or_b32 exec_lo, exec_lo, s42
.LBB255_289:                            ;   in Loop: Header=BB255_12 Depth=1
	s_delay_alu instid0(SALU_CYCLE_1) | instskip(SKIP_3) | instid1(VALU_DEP_2)
	s_or_b32 exec_lo, exec_lo, s41
	v_dual_mov_b32 v59, 0 :: v_dual_lshrrev_b32 v4, 16, v14
	v_mov_b32_e32 v60, 0
	s_mov_b32 s41, exec_lo
	v_and_b32_e32 v61, 0xff, v4
	s_delay_alu instid0(VALU_DEP_1)
	v_cmpx_ne_u16_e32 0, v61
	s_cbranch_execz .LBB255_297
; %bb.290:                              ;   in Loop: Header=BB255_12 Depth=1
	v_mov_b32_e32 v60, 0x8000
	s_mov_b32 s42, exec_lo
	v_cmpx_ne_u16_e32 0x80, v61
	s_cbranch_execz .LBB255_296
; %bb.291:                              ;   in Loop: Header=BB255_12 Depth=1
	v_bfe_u32 v62, v14, 16, 7
	v_mov_b32_e32 v60, 0x7c01
	s_mov_b32 s43, exec_lo
	s_delay_alu instid0(VALU_DEP_2)
	v_cmpx_ne_u32_e32 0x7f, v62
	s_cbranch_execz .LBB255_295
; %bb.292:                              ;   in Loop: Header=BB255_12 Depth=1
	v_dual_lshrrev_b32 v61, 3, v62 :: v_dual_bitop2_b32 v60, 7, v4 bitop3:0x40
	s_mov_b32 s44, exec_lo
	v_cmpx_gt_u32_e32 8, v62
; %bb.293:                              ;   in Loop: Header=BB255_12 Depth=1
	s_delay_alu instid0(VALU_DEP_2) | instskip(NEXT) | instid1(VALU_DEP_1)
	v_clz_i32_u32_e32 v60, v60
	v_min_u32_e32 v62, 32, v60
	s_delay_alu instid0(VALU_DEP_1) | instskip(NEXT) | instid1(VALU_DEP_1)
	v_subrev_nc_u32_e32 v60, 28, v62
	v_lshlrev_b64_e32 v[60:61], v60, v[4:5]
	s_delay_alu instid0(VALU_DEP_1)
	v_dual_sub_nc_u32 v61, 29, v62 :: v_dual_bitop2_b32 v60, 7, v60 bitop3:0x40
; %bb.294:                              ;   in Loop: Header=BB255_12 Depth=1
	s_or_b32 exec_lo, exec_lo, s44
	v_lshlrev_b32_e32 v4, 8, v4
	s_delay_alu instid0(VALU_DEP_2) | instskip(NEXT) | instid1(VALU_DEP_3)
	v_lshl_add_u32 v61, v61, 10, 0x2000
	v_lshlrev_b32_e32 v60, 7, v60
	s_delay_alu instid0(VALU_DEP_3) | instskip(NEXT) | instid1(VALU_DEP_3)
	v_and_b32_e32 v4, 0x8000, v4
	v_and_b32_e32 v61, 0xfc00, v61
	s_delay_alu instid0(VALU_DEP_1)
	v_or3_b32 v60, v4, v61, v60
.LBB255_295:                            ;   in Loop: Header=BB255_12 Depth=1
	s_or_b32 exec_lo, exec_lo, s43
.LBB255_296:                            ;   in Loop: Header=BB255_12 Depth=1
	s_delay_alu instid0(SALU_CYCLE_1)
	s_or_b32 exec_lo, exec_lo, s42
.LBB255_297:                            ;   in Loop: Header=BB255_12 Depth=1
	s_delay_alu instid0(SALU_CYCLE_1) | instskip(NEXT) | instid1(SALU_CYCLE_1)
	s_or_b32 exec_lo, exec_lo, s41
	s_mov_b32 s41, exec_lo
	v_cmpx_lt_u32_e32 0xffffff, v14
	s_cbranch_execz .LBB255_305
; %bb.298:                              ;   in Loop: Header=BB255_12 Depth=1
	v_lshrrev_b32_e32 v4, 24, v14
	v_bfrev_b32_e32 v59, 1
	s_mov_b32 s42, exec_lo
	s_delay_alu instid0(VALU_DEP_2)
	v_cmpx_ne_u32_e32 0x80, v4
	s_cbranch_execz .LBB255_304
; %bb.299:                              ;   in Loop: Header=BB255_12 Depth=1
	v_and_b32_e32 v61, 0x7f, v4
	v_mov_b32_e32 v59, 0x7c010000
	s_mov_b32 s43, exec_lo
	s_delay_alu instid0(VALU_DEP_2)
	v_cmpx_ne_u32_e32 0x7f, v61
	s_cbranch_execz .LBB255_303
; %bb.300:                              ;   in Loop: Header=BB255_12 Depth=1
	v_dual_lshrrev_b32 v59, 3, v61 :: v_dual_bitop2_b32 v14, 7, v4 bitop3:0x40
	s_mov_b32 s44, exec_lo
	v_cmpx_gt_u32_e32 8, v61
; %bb.301:                              ;   in Loop: Header=BB255_12 Depth=1
	s_delay_alu instid0(VALU_DEP_2) | instskip(NEXT) | instid1(VALU_DEP_1)
	v_clz_i32_u32_e32 v14, v14
	v_min_u32_e32 v14, 32, v14
	s_delay_alu instid0(VALU_DEP_1) | instskip(NEXT) | instid1(VALU_DEP_1)
	v_subrev_nc_u32_e32 v59, 28, v14
	v_lshlrev_b64_e32 v[62:63], v59, v[4:5]
	v_sub_nc_u32_e32 v59, 29, v14
	s_delay_alu instid0(VALU_DEP_2)
	v_and_b32_e32 v14, 7, v62
; %bb.302:                              ;   in Loop: Header=BB255_12 Depth=1
	s_or_b32 exec_lo, exec_lo, s44
	s_delay_alu instid0(VALU_DEP_1) | instskip(NEXT) | instid1(VALU_DEP_3)
	v_dual_lshlrev_b32 v4, 8, v4 :: v_dual_lshlrev_b32 v14, 23, v14
	v_lshl_add_u32 v59, v59, 10, 0x2000
	s_delay_alu instid0(VALU_DEP_1) | instskip(NEXT) | instid1(VALU_DEP_1)
	v_and_or_b32 v4, 0x8000, v4, v59
	v_lshl_or_b32 v59, v4, 16, v14
.LBB255_303:                            ;   in Loop: Header=BB255_12 Depth=1
	s_or_b32 exec_lo, exec_lo, s43
.LBB255_304:                            ;   in Loop: Header=BB255_12 Depth=1
	s_delay_alu instid0(SALU_CYCLE_1)
	s_or_b32 exec_lo, exec_lo, s42
.LBB255_305:                            ;   in Loop: Header=BB255_12 Depth=1
	s_delay_alu instid0(SALU_CYCLE_1)
	s_or_b32 exec_lo, exec_lo, s41
	global_load_b32 v14, v[12:13], off offset:1032
	v_dual_mov_b32 v61, 0 :: v_dual_mov_b32 v62, 0
	s_mov_b32 s41, exec_lo
	s_wait_loadcnt 0x0
	v_and_b32_e32 v4, 0xff, v14
	s_delay_alu instid0(VALU_DEP_1)
	v_cmpx_ne_u16_e32 0, v4
	s_cbranch_execz .LBB255_313
; %bb.306:                              ;   in Loop: Header=BB255_12 Depth=1
	v_mov_b32_e32 v62, 0x8000
	s_mov_b32 s42, exec_lo
	v_cmpx_ne_u16_e32 0x80, v4
	s_cbranch_execz .LBB255_312
; %bb.307:                              ;   in Loop: Header=BB255_12 Depth=1
	v_and_b32_e32 v63, 0x7f, v14
	v_mov_b32_e32 v62, 0x7c01
	s_mov_b32 s43, exec_lo
	s_delay_alu instid0(VALU_DEP_2)
	v_cmpx_ne_u32_e32 0x7f, v63
	s_cbranch_execz .LBB255_311
; %bb.308:                              ;   in Loop: Header=BB255_12 Depth=1
	v_dual_lshrrev_b32 v62, 3, v63 :: v_dual_bitop2_b32 v4, 7, v14 bitop3:0x40
	s_mov_b32 s44, exec_lo
	v_cmpx_gt_u32_e32 8, v63
; %bb.309:                              ;   in Loop: Header=BB255_12 Depth=1
	s_delay_alu instid0(VALU_DEP_2) | instskip(NEXT) | instid1(VALU_DEP_1)
	v_clz_i32_u32_e32 v4, v4
	v_min_u32_e32 v4, 32, v4
	s_delay_alu instid0(VALU_DEP_1) | instskip(NEXT) | instid1(VALU_DEP_1)
	v_subrev_nc_u32_e32 v62, 28, v4
	v_lshlrev_b64_e32 v[64:65], v62, v[14:15]
	v_sub_nc_u32_e32 v62, 29, v4
	s_delay_alu instid0(VALU_DEP_2)
	v_and_b32_e32 v4, 7, v64
; %bb.310:                              ;   in Loop: Header=BB255_12 Depth=1
	s_or_b32 exec_lo, exec_lo, s44
	s_delay_alu instid0(VALU_DEP_1) | instskip(NEXT) | instid1(VALU_DEP_3)
	v_dual_lshlrev_b32 v63, 8, v14 :: v_dual_lshlrev_b32 v4, 7, v4
	v_lshl_add_u32 v62, v62, 10, 0x2000
	s_delay_alu instid0(VALU_DEP_2) | instskip(NEXT) | instid1(VALU_DEP_2)
	v_and_b32_e32 v63, 0x8000, v63
	v_and_b32_e32 v62, 0xfc00, v62
	s_delay_alu instid0(VALU_DEP_1)
	v_or3_b32 v62, v63, v62, v4
.LBB255_311:                            ;   in Loop: Header=BB255_12 Depth=1
	s_or_b32 exec_lo, exec_lo, s43
.LBB255_312:                            ;   in Loop: Header=BB255_12 Depth=1
	s_delay_alu instid0(SALU_CYCLE_1)
	s_or_b32 exec_lo, exec_lo, s42
.LBB255_313:                            ;   in Loop: Header=BB255_12 Depth=1
	s_delay_alu instid0(SALU_CYCLE_1) | instskip(SKIP_2) | instid1(VALU_DEP_1)
	s_or_b32 exec_lo, exec_lo, s41
	v_lshrrev_b16 v4, 8, v14
	s_mov_b32 s41, exec_lo
	v_cmpx_ne_u16_e32 0, v4
	s_cbranch_execz .LBB255_321
; %bb.314:                              ;   in Loop: Header=BB255_12 Depth=1
	v_bfrev_b32_e32 v61, 1
	s_mov_b32 s42, exec_lo
	v_cmpx_ne_u16_e32 0x80, v4
	s_cbranch_execz .LBB255_320
; %bb.315:                              ;   in Loop: Header=BB255_12 Depth=1
	v_and_b32_e32 v63, 0xffff, v4
	v_mov_b32_e32 v61, 0x7c010000
	s_mov_b32 s43, exec_lo
	s_delay_alu instid0(VALU_DEP_2) | instskip(NEXT) | instid1(VALU_DEP_1)
	v_and_b32_e32 v65, 0x7f, v63
	v_cmpx_ne_u32_e32 0x7f, v65
	s_cbranch_execz .LBB255_319
; %bb.316:                              ;   in Loop: Header=BB255_12 Depth=1
	v_dual_lshrrev_b32 v64, 3, v65 :: v_dual_bitop2_b32 v61, 7, v63 bitop3:0x40
	s_mov_b32 s44, exec_lo
	v_cmpx_gt_u32_e32 8, v65
; %bb.317:                              ;   in Loop: Header=BB255_12 Depth=1
	s_delay_alu instid0(VALU_DEP_2) | instskip(NEXT) | instid1(VALU_DEP_1)
	v_clz_i32_u32_e32 v61, v61
	v_min_u32_e32 v61, 32, v61
	s_delay_alu instid0(VALU_DEP_1) | instskip(NEXT) | instid1(VALU_DEP_1)
	v_subrev_nc_u32_e32 v64, 28, v61
	v_lshlrev_b64_e32 v[66:67], v64, v[4:5]
	s_delay_alu instid0(VALU_DEP_1)
	v_dual_sub_nc_u32 v64, 29, v61 :: v_dual_bitop2_b32 v61, 7, v66 bitop3:0x40
; %bb.318:                              ;   in Loop: Header=BB255_12 Depth=1
	s_or_b32 exec_lo, exec_lo, s44
	s_delay_alu instid0(VALU_DEP_1) | instskip(NEXT) | instid1(VALU_DEP_2)
	v_dual_lshlrev_b32 v4, 8, v63 :: v_dual_lshlrev_b32 v61, 23, v61
	v_lshl_add_u32 v63, v64, 10, 0x2000
	s_delay_alu instid0(VALU_DEP_1) | instskip(NEXT) | instid1(VALU_DEP_1)
	v_and_or_b32 v4, 0x8000, v4, v63
	v_lshl_or_b32 v61, v4, 16, v61
.LBB255_319:                            ;   in Loop: Header=BB255_12 Depth=1
	s_or_b32 exec_lo, exec_lo, s43
.LBB255_320:                            ;   in Loop: Header=BB255_12 Depth=1
	s_delay_alu instid0(SALU_CYCLE_1)
	s_or_b32 exec_lo, exec_lo, s42
.LBB255_321:                            ;   in Loop: Header=BB255_12 Depth=1
	s_delay_alu instid0(SALU_CYCLE_1) | instskip(SKIP_3) | instid1(VALU_DEP_2)
	s_or_b32 exec_lo, exec_lo, s41
	v_dual_mov_b32 v63, 0 :: v_dual_lshrrev_b32 v4, 16, v14
	v_mov_b32_e32 v64, 0
	s_mov_b32 s41, exec_lo
	v_and_b32_e32 v65, 0xff, v4
	s_delay_alu instid0(VALU_DEP_1)
	v_cmpx_ne_u16_e32 0, v65
	s_cbranch_execz .LBB255_329
; %bb.322:                              ;   in Loop: Header=BB255_12 Depth=1
	v_mov_b32_e32 v64, 0x8000
	s_mov_b32 s42, exec_lo
	v_cmpx_ne_u16_e32 0x80, v65
	s_cbranch_execz .LBB255_328
; %bb.323:                              ;   in Loop: Header=BB255_12 Depth=1
	v_bfe_u32 v66, v14, 16, 7
	v_mov_b32_e32 v64, 0x7c01
	s_mov_b32 s43, exec_lo
	s_delay_alu instid0(VALU_DEP_2)
	v_cmpx_ne_u32_e32 0x7f, v66
	s_cbranch_execz .LBB255_327
; %bb.324:                              ;   in Loop: Header=BB255_12 Depth=1
	v_dual_lshrrev_b32 v65, 3, v66 :: v_dual_bitop2_b32 v64, 7, v4 bitop3:0x40
	s_mov_b32 s44, exec_lo
	v_cmpx_gt_u32_e32 8, v66
; %bb.325:                              ;   in Loop: Header=BB255_12 Depth=1
	s_delay_alu instid0(VALU_DEP_2) | instskip(NEXT) | instid1(VALU_DEP_1)
	v_clz_i32_u32_e32 v64, v64
	v_min_u32_e32 v66, 32, v64
	s_delay_alu instid0(VALU_DEP_1) | instskip(NEXT) | instid1(VALU_DEP_1)
	v_subrev_nc_u32_e32 v64, 28, v66
	v_lshlrev_b64_e32 v[64:65], v64, v[4:5]
	s_delay_alu instid0(VALU_DEP_1)
	v_dual_sub_nc_u32 v65, 29, v66 :: v_dual_bitop2_b32 v64, 7, v64 bitop3:0x40
; %bb.326:                              ;   in Loop: Header=BB255_12 Depth=1
	s_or_b32 exec_lo, exec_lo, s44
	v_lshlrev_b32_e32 v4, 8, v4
	s_delay_alu instid0(VALU_DEP_2) | instskip(NEXT) | instid1(VALU_DEP_3)
	v_lshl_add_u32 v65, v65, 10, 0x2000
	v_lshlrev_b32_e32 v64, 7, v64
	s_delay_alu instid0(VALU_DEP_3) | instskip(NEXT) | instid1(VALU_DEP_3)
	v_and_b32_e32 v4, 0x8000, v4
	v_and_b32_e32 v65, 0xfc00, v65
	s_delay_alu instid0(VALU_DEP_1)
	v_or3_b32 v64, v4, v65, v64
.LBB255_327:                            ;   in Loop: Header=BB255_12 Depth=1
	s_or_b32 exec_lo, exec_lo, s43
.LBB255_328:                            ;   in Loop: Header=BB255_12 Depth=1
	s_delay_alu instid0(SALU_CYCLE_1)
	s_or_b32 exec_lo, exec_lo, s42
.LBB255_329:                            ;   in Loop: Header=BB255_12 Depth=1
	s_delay_alu instid0(SALU_CYCLE_1) | instskip(NEXT) | instid1(SALU_CYCLE_1)
	s_or_b32 exec_lo, exec_lo, s41
	s_mov_b32 s41, exec_lo
	v_cmpx_lt_u32_e32 0xffffff, v14
	s_cbranch_execz .LBB255_337
; %bb.330:                              ;   in Loop: Header=BB255_12 Depth=1
	v_lshrrev_b32_e32 v4, 24, v14
	v_bfrev_b32_e32 v63, 1
	s_mov_b32 s42, exec_lo
	s_delay_alu instid0(VALU_DEP_2)
	v_cmpx_ne_u32_e32 0x80, v4
	s_cbranch_execz .LBB255_336
; %bb.331:                              ;   in Loop: Header=BB255_12 Depth=1
	v_and_b32_e32 v65, 0x7f, v4
	v_mov_b32_e32 v63, 0x7c010000
	s_mov_b32 s43, exec_lo
	s_delay_alu instid0(VALU_DEP_2)
	v_cmpx_ne_u32_e32 0x7f, v65
	s_cbranch_execz .LBB255_335
; %bb.332:                              ;   in Loop: Header=BB255_12 Depth=1
	v_dual_lshrrev_b32 v63, 3, v65 :: v_dual_bitop2_b32 v14, 7, v4 bitop3:0x40
	s_mov_b32 s44, exec_lo
	v_cmpx_gt_u32_e32 8, v65
; %bb.333:                              ;   in Loop: Header=BB255_12 Depth=1
	s_delay_alu instid0(VALU_DEP_2) | instskip(NEXT) | instid1(VALU_DEP_1)
	v_clz_i32_u32_e32 v14, v14
	v_min_u32_e32 v14, 32, v14
	s_delay_alu instid0(VALU_DEP_1) | instskip(NEXT) | instid1(VALU_DEP_1)
	v_subrev_nc_u32_e32 v63, 28, v14
	v_lshlrev_b64_e32 v[66:67], v63, v[4:5]
	v_sub_nc_u32_e32 v63, 29, v14
	s_delay_alu instid0(VALU_DEP_2)
	v_and_b32_e32 v14, 7, v66
; %bb.334:                              ;   in Loop: Header=BB255_12 Depth=1
	s_or_b32 exec_lo, exec_lo, s44
	s_delay_alu instid0(VALU_DEP_1) | instskip(NEXT) | instid1(VALU_DEP_3)
	v_dual_lshlrev_b32 v4, 8, v4 :: v_dual_lshlrev_b32 v14, 23, v14
	v_lshl_add_u32 v63, v63, 10, 0x2000
	s_delay_alu instid0(VALU_DEP_1) | instskip(NEXT) | instid1(VALU_DEP_1)
	v_and_or_b32 v4, 0x8000, v4, v63
	v_lshl_or_b32 v63, v4, 16, v14
.LBB255_335:                            ;   in Loop: Header=BB255_12 Depth=1
	s_or_b32 exec_lo, exec_lo, s43
.LBB255_336:                            ;   in Loop: Header=BB255_12 Depth=1
	s_delay_alu instid0(SALU_CYCLE_1)
	s_or_b32 exec_lo, exec_lo, s42
.LBB255_337:                            ;   in Loop: Header=BB255_12 Depth=1
	s_delay_alu instid0(SALU_CYCLE_1)
	s_or_b32 exec_lo, exec_lo, s41
	global_load_b32 v14, v[12:13], off offset:1280
	v_dual_mov_b32 v65, 0 :: v_dual_mov_b32 v66, 0
	s_mov_b32 s41, exec_lo
	s_wait_loadcnt 0x0
	v_and_b32_e32 v4, 0xff, v14
	s_delay_alu instid0(VALU_DEP_1)
	v_cmpx_ne_u16_e32 0, v4
	s_cbranch_execz .LBB255_345
; %bb.338:                              ;   in Loop: Header=BB255_12 Depth=1
	v_mov_b32_e32 v66, 0x8000
	s_mov_b32 s42, exec_lo
	v_cmpx_ne_u16_e32 0x80, v4
	s_cbranch_execz .LBB255_344
; %bb.339:                              ;   in Loop: Header=BB255_12 Depth=1
	v_and_b32_e32 v67, 0x7f, v14
	v_mov_b32_e32 v66, 0x7c01
	s_mov_b32 s43, exec_lo
	s_delay_alu instid0(VALU_DEP_2)
	v_cmpx_ne_u32_e32 0x7f, v67
	s_cbranch_execz .LBB255_343
; %bb.340:                              ;   in Loop: Header=BB255_12 Depth=1
	v_dual_lshrrev_b32 v66, 3, v67 :: v_dual_bitop2_b32 v4, 7, v14 bitop3:0x40
	s_mov_b32 s44, exec_lo
	v_cmpx_gt_u32_e32 8, v67
; %bb.341:                              ;   in Loop: Header=BB255_12 Depth=1
	s_delay_alu instid0(VALU_DEP_2) | instskip(NEXT) | instid1(VALU_DEP_1)
	v_clz_i32_u32_e32 v4, v4
	v_min_u32_e32 v4, 32, v4
	s_delay_alu instid0(VALU_DEP_1) | instskip(NEXT) | instid1(VALU_DEP_1)
	v_subrev_nc_u32_e32 v66, 28, v4
	v_lshlrev_b64_e32 v[68:69], v66, v[14:15]
	v_sub_nc_u32_e32 v66, 29, v4
	s_delay_alu instid0(VALU_DEP_2)
	v_and_b32_e32 v4, 7, v68
; %bb.342:                              ;   in Loop: Header=BB255_12 Depth=1
	s_or_b32 exec_lo, exec_lo, s44
	s_delay_alu instid0(VALU_DEP_1) | instskip(NEXT) | instid1(VALU_DEP_3)
	v_dual_lshlrev_b32 v67, 8, v14 :: v_dual_lshlrev_b32 v4, 7, v4
	v_lshl_add_u32 v66, v66, 10, 0x2000
	s_delay_alu instid0(VALU_DEP_2) | instskip(NEXT) | instid1(VALU_DEP_2)
	v_and_b32_e32 v67, 0x8000, v67
	v_and_b32_e32 v66, 0xfc00, v66
	s_delay_alu instid0(VALU_DEP_1)
	v_or3_b32 v66, v67, v66, v4
.LBB255_343:                            ;   in Loop: Header=BB255_12 Depth=1
	s_or_b32 exec_lo, exec_lo, s43
.LBB255_344:                            ;   in Loop: Header=BB255_12 Depth=1
	s_delay_alu instid0(SALU_CYCLE_1)
	s_or_b32 exec_lo, exec_lo, s42
.LBB255_345:                            ;   in Loop: Header=BB255_12 Depth=1
	s_delay_alu instid0(SALU_CYCLE_1) | instskip(SKIP_2) | instid1(VALU_DEP_1)
	s_or_b32 exec_lo, exec_lo, s41
	v_lshrrev_b16 v4, 8, v14
	s_mov_b32 s41, exec_lo
	v_cmpx_ne_u16_e32 0, v4
	s_cbranch_execz .LBB255_353
; %bb.346:                              ;   in Loop: Header=BB255_12 Depth=1
	v_bfrev_b32_e32 v65, 1
	s_mov_b32 s42, exec_lo
	v_cmpx_ne_u16_e32 0x80, v4
	s_cbranch_execz .LBB255_352
; %bb.347:                              ;   in Loop: Header=BB255_12 Depth=1
	v_and_b32_e32 v67, 0xffff, v4
	v_mov_b32_e32 v65, 0x7c010000
	s_mov_b32 s43, exec_lo
	s_delay_alu instid0(VALU_DEP_2) | instskip(NEXT) | instid1(VALU_DEP_1)
	v_and_b32_e32 v69, 0x7f, v67
	v_cmpx_ne_u32_e32 0x7f, v69
	s_cbranch_execz .LBB255_351
; %bb.348:                              ;   in Loop: Header=BB255_12 Depth=1
	v_dual_lshrrev_b32 v68, 3, v69 :: v_dual_bitop2_b32 v65, 7, v67 bitop3:0x40
	s_mov_b32 s44, exec_lo
	v_cmpx_gt_u32_e32 8, v69
; %bb.349:                              ;   in Loop: Header=BB255_12 Depth=1
	s_delay_alu instid0(VALU_DEP_2) | instskip(NEXT) | instid1(VALU_DEP_1)
	v_clz_i32_u32_e32 v65, v65
	v_min_u32_e32 v65, 32, v65
	s_delay_alu instid0(VALU_DEP_1) | instskip(NEXT) | instid1(VALU_DEP_1)
	v_subrev_nc_u32_e32 v68, 28, v65
	v_lshlrev_b64_e32 v[70:71], v68, v[4:5]
	s_delay_alu instid0(VALU_DEP_1)
	v_dual_sub_nc_u32 v68, 29, v65 :: v_dual_bitop2_b32 v65, 7, v70 bitop3:0x40
; %bb.350:                              ;   in Loop: Header=BB255_12 Depth=1
	s_or_b32 exec_lo, exec_lo, s44
	s_delay_alu instid0(VALU_DEP_1) | instskip(NEXT) | instid1(VALU_DEP_2)
	v_dual_lshlrev_b32 v4, 8, v67 :: v_dual_lshlrev_b32 v65, 23, v65
	v_lshl_add_u32 v67, v68, 10, 0x2000
	s_delay_alu instid0(VALU_DEP_1) | instskip(NEXT) | instid1(VALU_DEP_1)
	v_and_or_b32 v4, 0x8000, v4, v67
	v_lshl_or_b32 v65, v4, 16, v65
.LBB255_351:                            ;   in Loop: Header=BB255_12 Depth=1
	s_or_b32 exec_lo, exec_lo, s43
.LBB255_352:                            ;   in Loop: Header=BB255_12 Depth=1
	s_delay_alu instid0(SALU_CYCLE_1)
	s_or_b32 exec_lo, exec_lo, s42
.LBB255_353:                            ;   in Loop: Header=BB255_12 Depth=1
	s_delay_alu instid0(SALU_CYCLE_1) | instskip(SKIP_3) | instid1(VALU_DEP_2)
	s_or_b32 exec_lo, exec_lo, s41
	v_dual_mov_b32 v67, 0 :: v_dual_lshrrev_b32 v4, 16, v14
	v_mov_b32_e32 v68, 0
	s_mov_b32 s41, exec_lo
	v_and_b32_e32 v69, 0xff, v4
	s_delay_alu instid0(VALU_DEP_1)
	v_cmpx_ne_u16_e32 0, v69
	s_cbranch_execz .LBB255_361
; %bb.354:                              ;   in Loop: Header=BB255_12 Depth=1
	v_mov_b32_e32 v68, 0x8000
	s_mov_b32 s42, exec_lo
	v_cmpx_ne_u16_e32 0x80, v69
	s_cbranch_execz .LBB255_360
; %bb.355:                              ;   in Loop: Header=BB255_12 Depth=1
	v_bfe_u32 v70, v14, 16, 7
	v_mov_b32_e32 v68, 0x7c01
	s_mov_b32 s43, exec_lo
	s_delay_alu instid0(VALU_DEP_2)
	v_cmpx_ne_u32_e32 0x7f, v70
	s_cbranch_execz .LBB255_359
; %bb.356:                              ;   in Loop: Header=BB255_12 Depth=1
	v_dual_lshrrev_b32 v69, 3, v70 :: v_dual_bitop2_b32 v68, 7, v4 bitop3:0x40
	s_mov_b32 s44, exec_lo
	v_cmpx_gt_u32_e32 8, v70
; %bb.357:                              ;   in Loop: Header=BB255_12 Depth=1
	s_delay_alu instid0(VALU_DEP_2) | instskip(NEXT) | instid1(VALU_DEP_1)
	v_clz_i32_u32_e32 v68, v68
	v_min_u32_e32 v70, 32, v68
	s_delay_alu instid0(VALU_DEP_1) | instskip(NEXT) | instid1(VALU_DEP_1)
	v_subrev_nc_u32_e32 v68, 28, v70
	v_lshlrev_b64_e32 v[68:69], v68, v[4:5]
	s_delay_alu instid0(VALU_DEP_1)
	v_dual_sub_nc_u32 v69, 29, v70 :: v_dual_bitop2_b32 v68, 7, v68 bitop3:0x40
; %bb.358:                              ;   in Loop: Header=BB255_12 Depth=1
	s_or_b32 exec_lo, exec_lo, s44
	v_lshlrev_b32_e32 v4, 8, v4
	s_delay_alu instid0(VALU_DEP_2) | instskip(NEXT) | instid1(VALU_DEP_3)
	v_lshl_add_u32 v69, v69, 10, 0x2000
	v_lshlrev_b32_e32 v68, 7, v68
	s_delay_alu instid0(VALU_DEP_3) | instskip(NEXT) | instid1(VALU_DEP_3)
	v_and_b32_e32 v4, 0x8000, v4
	v_and_b32_e32 v69, 0xfc00, v69
	s_delay_alu instid0(VALU_DEP_1)
	v_or3_b32 v68, v4, v69, v68
.LBB255_359:                            ;   in Loop: Header=BB255_12 Depth=1
	s_or_b32 exec_lo, exec_lo, s43
.LBB255_360:                            ;   in Loop: Header=BB255_12 Depth=1
	s_delay_alu instid0(SALU_CYCLE_1)
	s_or_b32 exec_lo, exec_lo, s42
.LBB255_361:                            ;   in Loop: Header=BB255_12 Depth=1
	s_delay_alu instid0(SALU_CYCLE_1) | instskip(NEXT) | instid1(SALU_CYCLE_1)
	s_or_b32 exec_lo, exec_lo, s41
	s_mov_b32 s41, exec_lo
	v_cmpx_lt_u32_e32 0xffffff, v14
	s_cbranch_execz .LBB255_369
; %bb.362:                              ;   in Loop: Header=BB255_12 Depth=1
	v_lshrrev_b32_e32 v4, 24, v14
	v_bfrev_b32_e32 v67, 1
	s_mov_b32 s42, exec_lo
	s_delay_alu instid0(VALU_DEP_2)
	v_cmpx_ne_u32_e32 0x80, v4
	s_cbranch_execz .LBB255_368
; %bb.363:                              ;   in Loop: Header=BB255_12 Depth=1
	v_and_b32_e32 v69, 0x7f, v4
	v_mov_b32_e32 v67, 0x7c010000
	s_mov_b32 s43, exec_lo
	s_delay_alu instid0(VALU_DEP_2)
	v_cmpx_ne_u32_e32 0x7f, v69
	s_cbranch_execz .LBB255_367
; %bb.364:                              ;   in Loop: Header=BB255_12 Depth=1
	v_dual_lshrrev_b32 v67, 3, v69 :: v_dual_bitop2_b32 v14, 7, v4 bitop3:0x40
	s_mov_b32 s44, exec_lo
	v_cmpx_gt_u32_e32 8, v69
; %bb.365:                              ;   in Loop: Header=BB255_12 Depth=1
	s_delay_alu instid0(VALU_DEP_2) | instskip(NEXT) | instid1(VALU_DEP_1)
	v_clz_i32_u32_e32 v14, v14
	v_min_u32_e32 v14, 32, v14
	s_delay_alu instid0(VALU_DEP_1) | instskip(NEXT) | instid1(VALU_DEP_1)
	v_subrev_nc_u32_e32 v67, 28, v14
	v_lshlrev_b64_e32 v[70:71], v67, v[4:5]
	v_sub_nc_u32_e32 v67, 29, v14
	s_delay_alu instid0(VALU_DEP_2)
	v_and_b32_e32 v14, 7, v70
; %bb.366:                              ;   in Loop: Header=BB255_12 Depth=1
	s_or_b32 exec_lo, exec_lo, s44
	s_delay_alu instid0(VALU_DEP_1) | instskip(NEXT) | instid1(VALU_DEP_3)
	v_dual_lshlrev_b32 v4, 8, v4 :: v_dual_lshlrev_b32 v14, 23, v14
	v_lshl_add_u32 v67, v67, 10, 0x2000
	s_delay_alu instid0(VALU_DEP_1) | instskip(NEXT) | instid1(VALU_DEP_1)
	v_and_or_b32 v4, 0x8000, v4, v67
	v_lshl_or_b32 v67, v4, 16, v14
.LBB255_367:                            ;   in Loop: Header=BB255_12 Depth=1
	s_or_b32 exec_lo, exec_lo, s43
.LBB255_368:                            ;   in Loop: Header=BB255_12 Depth=1
	s_delay_alu instid0(SALU_CYCLE_1)
	s_or_b32 exec_lo, exec_lo, s42
.LBB255_369:                            ;   in Loop: Header=BB255_12 Depth=1
	s_delay_alu instid0(SALU_CYCLE_1)
	s_or_b32 exec_lo, exec_lo, s41
	global_load_b32 v12, v[12:13], off offset:1288
	v_dual_mov_b32 v14, 0 :: v_dual_mov_b32 v69, 0
	s_mov_b32 s41, exec_lo
	s_wait_loadcnt 0x0
	v_and_b32_e32 v4, 0xff, v12
	s_delay_alu instid0(VALU_DEP_1)
	v_cmpx_ne_u16_e32 0, v4
	s_cbranch_execz .LBB255_377
; %bb.370:                              ;   in Loop: Header=BB255_12 Depth=1
	v_mov_b32_e32 v69, 0x8000
	s_mov_b32 s42, exec_lo
	v_cmpx_ne_u16_e32 0x80, v4
	s_cbranch_execz .LBB255_376
; %bb.371:                              ;   in Loop: Header=BB255_12 Depth=1
	v_and_b32_e32 v70, 0x7f, v12
	v_mov_b32_e32 v69, 0x7c01
	s_mov_b32 s43, exec_lo
	s_delay_alu instid0(VALU_DEP_2)
	v_cmpx_ne_u32_e32 0x7f, v70
	s_cbranch_execz .LBB255_375
; %bb.372:                              ;   in Loop: Header=BB255_12 Depth=1
	v_dual_lshrrev_b32 v13, 3, v70 :: v_dual_bitop2_b32 v4, 7, v12 bitop3:0x40
	s_mov_b32 s44, exec_lo
	v_cmpx_gt_u32_e32 8, v70
; %bb.373:                              ;   in Loop: Header=BB255_12 Depth=1
	s_delay_alu instid0(VALU_DEP_2) | instskip(NEXT) | instid1(VALU_DEP_1)
	v_clz_i32_u32_e32 v4, v4
	v_min_u32_e32 v4, 32, v4
	s_delay_alu instid0(VALU_DEP_1) | instskip(NEXT) | instid1(VALU_DEP_1)
	v_subrev_nc_u32_e32 v13, 28, v4
	v_lshlrev_b64_e32 v[70:71], v13, v[12:13]
	s_delay_alu instid0(VALU_DEP_1)
	v_dual_sub_nc_u32 v13, 29, v4 :: v_dual_bitop2_b32 v4, 7, v70 bitop3:0x40
; %bb.374:                              ;   in Loop: Header=BB255_12 Depth=1
	s_or_b32 exec_lo, exec_lo, s44
	v_lshlrev_b32_e32 v69, 8, v12
	s_delay_alu instid0(VALU_DEP_2) | instskip(NEXT) | instid1(VALU_DEP_3)
	v_lshl_add_u32 v13, v13, 10, 0x2000
	v_lshlrev_b32_e32 v4, 7, v4
	s_delay_alu instid0(VALU_DEP_3) | instskip(NEXT) | instid1(VALU_DEP_3)
	v_and_b32_e32 v69, 0x8000, v69
	v_and_b32_e32 v13, 0xfc00, v13
	s_delay_alu instid0(VALU_DEP_1)
	v_or3_b32 v69, v69, v13, v4
.LBB255_375:                            ;   in Loop: Header=BB255_12 Depth=1
	s_or_b32 exec_lo, exec_lo, s43
.LBB255_376:                            ;   in Loop: Header=BB255_12 Depth=1
	s_delay_alu instid0(SALU_CYCLE_1)
	s_or_b32 exec_lo, exec_lo, s42
.LBB255_377:                            ;   in Loop: Header=BB255_12 Depth=1
	s_delay_alu instid0(SALU_CYCLE_1) | instskip(SKIP_2) | instid1(VALU_DEP_1)
	s_or_b32 exec_lo, exec_lo, s41
	v_lshrrev_b16 v4, 8, v12
	s_mov_b32 s41, exec_lo
	v_cmpx_ne_u16_e32 0, v4
	s_cbranch_execz .LBB255_385
; %bb.378:                              ;   in Loop: Header=BB255_12 Depth=1
	v_bfrev_b32_e32 v14, 1
	s_mov_b32 s42, exec_lo
	v_cmpx_ne_u16_e32 0x80, v4
	s_cbranch_execz .LBB255_384
; %bb.379:                              ;   in Loop: Header=BB255_12 Depth=1
	v_and_b32_e32 v13, 0xffff, v4
	v_mov_b32_e32 v14, 0x7c010000
	s_mov_b32 s43, exec_lo
	s_delay_alu instid0(VALU_DEP_2) | instskip(NEXT) | instid1(VALU_DEP_1)
	v_and_b32_e32 v71, 0x7f, v13
	v_cmpx_ne_u32_e32 0x7f, v71
	s_cbranch_execz .LBB255_383
; %bb.380:                              ;   in Loop: Header=BB255_12 Depth=1
	v_dual_lshrrev_b32 v70, 3, v71 :: v_dual_bitop2_b32 v14, 7, v13 bitop3:0x40
	s_mov_b32 s44, exec_lo
	v_cmpx_gt_u32_e32 8, v71
; %bb.381:                              ;   in Loop: Header=BB255_12 Depth=1
	s_delay_alu instid0(VALU_DEP_2) | instskip(NEXT) | instid1(VALU_DEP_1)
	v_clz_i32_u32_e32 v14, v14
	v_min_u32_e32 v14, 32, v14
	s_delay_alu instid0(VALU_DEP_1) | instskip(NEXT) | instid1(VALU_DEP_1)
	v_subrev_nc_u32_e32 v70, 28, v14
	v_lshlrev_b64_e32 v[72:73], v70, v[4:5]
	s_delay_alu instid0(VALU_DEP_1)
	v_dual_sub_nc_u32 v70, 29, v14 :: v_dual_bitop2_b32 v14, 7, v72 bitop3:0x40
; %bb.382:                              ;   in Loop: Header=BB255_12 Depth=1
	s_or_b32 exec_lo, exec_lo, s44
	v_lshlrev_b32_e32 v4, 8, v13
	s_delay_alu instid0(VALU_DEP_2) | instskip(NEXT) | instid1(VALU_DEP_1)
	v_lshl_add_u32 v13, v70, 10, 0x2000
	v_and_or_b32 v4, 0x8000, v4, v13
	v_lshlrev_b32_e32 v13, 23, v14
	s_delay_alu instid0(VALU_DEP_1)
	v_lshl_or_b32 v14, v4, 16, v13
.LBB255_383:                            ;   in Loop: Header=BB255_12 Depth=1
	s_or_b32 exec_lo, exec_lo, s43
.LBB255_384:                            ;   in Loop: Header=BB255_12 Depth=1
	s_delay_alu instid0(SALU_CYCLE_1)
	s_or_b32 exec_lo, exec_lo, s42
.LBB255_385:                            ;   in Loop: Header=BB255_12 Depth=1
	s_delay_alu instid0(SALU_CYCLE_1) | instskip(SKIP_3) | instid1(VALU_DEP_2)
	s_or_b32 exec_lo, exec_lo, s41
	v_dual_lshrrev_b32 v4, 16, v12 :: v_dual_mov_b32 v70, 0
	v_mov_b32_e32 v71, 0
	s_mov_b32 s41, exec_lo
	v_and_b32_e32 v13, 0xff, v4
	s_delay_alu instid0(VALU_DEP_1)
	v_cmpx_ne_u16_e32 0, v13
	s_cbranch_execz .LBB255_393
; %bb.386:                              ;   in Loop: Header=BB255_12 Depth=1
	v_mov_b32_e32 v71, 0x8000
	s_mov_b32 s42, exec_lo
	v_cmpx_ne_u16_e32 0x80, v13
	s_cbranch_execz .LBB255_392
; %bb.387:                              ;   in Loop: Header=BB255_12 Depth=1
	v_bfe_u32 v72, v12, 16, 7
	v_mov_b32_e32 v71, 0x7c01
	s_mov_b32 s43, exec_lo
	s_delay_alu instid0(VALU_DEP_2)
	v_cmpx_ne_u32_e32 0x7f, v72
	s_cbranch_execz .LBB255_391
; %bb.388:                              ;   in Loop: Header=BB255_12 Depth=1
	v_and_b32_e32 v13, 7, v4
	v_lshrrev_b32_e32 v71, 3, v72
	s_mov_b32 s44, exec_lo
	v_cmpx_gt_u32_e32 8, v72
; %bb.389:                              ;   in Loop: Header=BB255_12 Depth=1
	s_delay_alu instid0(VALU_DEP_3) | instskip(NEXT) | instid1(VALU_DEP_1)
	v_clz_i32_u32_e32 v13, v13
	v_min_u32_e32 v13, 32, v13
	s_delay_alu instid0(VALU_DEP_1) | instskip(NEXT) | instid1(VALU_DEP_1)
	v_subrev_nc_u32_e32 v71, 28, v13
	v_lshlrev_b64_e32 v[72:73], v71, v[4:5]
	s_delay_alu instid0(VALU_DEP_1)
	v_dual_sub_nc_u32 v71, 29, v13 :: v_dual_bitop2_b32 v13, 7, v72 bitop3:0x40
; %bb.390:                              ;   in Loop: Header=BB255_12 Depth=1
	s_or_b32 exec_lo, exec_lo, s44
	s_delay_alu instid0(VALU_DEP_1) | instskip(NEXT) | instid1(VALU_DEP_2)
	v_dual_lshlrev_b32 v4, 8, v4 :: v_dual_lshlrev_b32 v13, 7, v13
	v_lshl_add_u32 v71, v71, 10, 0x2000
	s_delay_alu instid0(VALU_DEP_2) | instskip(NEXT) | instid1(VALU_DEP_2)
	v_and_b32_e32 v4, 0x8000, v4
	v_and_b32_e32 v71, 0xfc00, v71
	s_delay_alu instid0(VALU_DEP_1)
	v_or3_b32 v71, v4, v71, v13
.LBB255_391:                            ;   in Loop: Header=BB255_12 Depth=1
	s_or_b32 exec_lo, exec_lo, s43
.LBB255_392:                            ;   in Loop: Header=BB255_12 Depth=1
	s_delay_alu instid0(SALU_CYCLE_1)
	s_or_b32 exec_lo, exec_lo, s42
.LBB255_393:                            ;   in Loop: Header=BB255_12 Depth=1
	s_delay_alu instid0(SALU_CYCLE_1) | instskip(NEXT) | instid1(SALU_CYCLE_1)
	s_or_b32 exec_lo, exec_lo, s41
	s_mov_b32 s41, exec_lo
	v_cmpx_lt_u32_e32 0xffffff, v12
	s_cbranch_execz .LBB255_401
; %bb.394:                              ;   in Loop: Header=BB255_12 Depth=1
	v_lshrrev_b32_e32 v4, 24, v12
	v_bfrev_b32_e32 v70, 1
	s_mov_b32 s42, exec_lo
	s_delay_alu instid0(VALU_DEP_2)
	v_cmpx_ne_u32_e32 0x80, v4
	s_cbranch_execz .LBB255_400
; %bb.395:                              ;   in Loop: Header=BB255_12 Depth=1
	v_and_b32_e32 v72, 0x7f, v4
	v_mov_b32_e32 v70, 0x7c010000
	s_mov_b32 s43, exec_lo
	s_delay_alu instid0(VALU_DEP_2)
	v_cmpx_ne_u32_e32 0x7f, v72
	s_cbranch_execz .LBB255_399
; %bb.396:                              ;   in Loop: Header=BB255_12 Depth=1
	v_and_b32_e32 v12, 7, v4
	v_lshrrev_b32_e32 v13, 3, v72
	s_mov_b32 s44, exec_lo
	v_cmpx_gt_u32_e32 8, v72
; %bb.397:                              ;   in Loop: Header=BB255_12 Depth=1
	s_delay_alu instid0(VALU_DEP_3) | instskip(NEXT) | instid1(VALU_DEP_1)
	v_clz_i32_u32_e32 v12, v12
	v_min_u32_e32 v70, 32, v12
	s_delay_alu instid0(VALU_DEP_1) | instskip(NEXT) | instid1(VALU_DEP_1)
	v_subrev_nc_u32_e32 v12, 28, v70
	v_lshlrev_b64_e32 v[12:13], v12, v[4:5]
	s_delay_alu instid0(VALU_DEP_1)
	v_dual_sub_nc_u32 v13, 29, v70 :: v_dual_bitop2_b32 v12, 7, v12 bitop3:0x40
; %bb.398:                              ;   in Loop: Header=BB255_12 Depth=1
	s_or_b32 exec_lo, exec_lo, s44
	v_lshlrev_b32_e32 v4, 8, v4
	s_delay_alu instid0(VALU_DEP_2) | instskip(NEXT) | instid1(VALU_DEP_3)
	v_lshl_add_u32 v13, v13, 10, 0x2000
	v_lshlrev_b32_e32 v12, 23, v12
	s_delay_alu instid0(VALU_DEP_2) | instskip(NEXT) | instid1(VALU_DEP_1)
	v_and_or_b32 v4, 0x8000, v4, v13
	v_lshl_or_b32 v70, v4, 16, v12
.LBB255_399:                            ;   in Loop: Header=BB255_12 Depth=1
	s_or_b32 exec_lo, exec_lo, s43
.LBB255_400:                            ;   in Loop: Header=BB255_12 Depth=1
	s_delay_alu instid0(SALU_CYCLE_1)
	s_or_b32 exec_lo, exec_lo, s42
.LBB255_401:                            ;   in Loop: Header=BB255_12 Depth=1
	s_delay_alu instid0(SALU_CYCLE_1)
	s_or_b32 exec_lo, exec_lo, s41
	ds_load_b64 v[12:13], v16
	v_or_b32_e32 v4, v22, v23
	v_or_b32_e32 v23, v24, v25
	v_fma_mixlo_f16 v22, v7, v22, 0 op_sel:[0,1,0] op_sel_hi:[0,1,0]
	v_fma_mixlo_f16 v24, v7, v24, 0 op_sel:[0,1,0] op_sel_hi:[0,1,0]
	v_or_b32_e32 v40, v39, v40
	v_fma_mixlo_f16 v4, v7, v4, 0 op_sel_hi:[0,1,0]
	v_fma_mixlo_f16 v23, v7, v23, 0 op_sel_hi:[0,1,0]
	v_and_b32_e32 v25, 0xffff, v22
	v_and_b32_e32 v74, 0xffff, v24
	v_fma_mixlo_f16 v39, v7, v39, 0 op_sel:[0,1,0] op_sel_hi:[0,1,0]
	v_and_b32_e32 v24, 0xffff, v4
	v_and_b32_e32 v73, 0xffff, v23
	v_fma_mixlo_f16 v40, v7, v40, 0 op_sel_hi:[0,1,0]
	v_or_b32_e32 v30, v26, v30
	v_fma_mixlo_f16 v26, v7, v26, 0 op_sel:[0,1,0] op_sel_hi:[0,1,0]
	v_and_b32_e32 v86, 0xffff, v39
	v_or_b32_e32 v42, v41, v42
	v_and_b32_e32 v85, 0xffff, v40
	v_fma_mixlo_f16 v30, v7, v30, 0 op_sel_hi:[0,1,0]
	s_wait_dscnt 0x0
	v_and_b32_e32 v4, 0xffff, v12
	v_dual_lshrrev_b32 v12, 16, v12 :: v_dual_lshrrev_b32 v75, 16, v13
	v_and_b32_e32 v13, 0xffff, v13
	;;#ASMSTART
	v_cvt_f32_f16 v22, v4;
	;;#ASMEND
	;;#ASMSTART
	v_cvt_f32_f16 v4, v12;
	;;#ASMEND
	;; [unrolled: 3-line block ×8, first 2 shown]
	ds_load_b64 v[12:13], v16 offset:8
	v_or_b32_e32 v32, v31, v32
	v_fma_mixlo_f16 v31, v7, v31, 0 op_sel:[0,1,0] op_sel_hi:[0,1,0]
	v_and_b32_e32 v75, 0xffff, v26
	v_fma_mixlo_f16 v41, v7, v41, 0 op_sel:[0,1,0] op_sel_hi:[0,1,0]
	v_fma_mixlo_f16 v42, v7, v42, 0 op_sel_hi:[0,1,0]
	s_delay_alu instid0(VALU_DEP_4) | instskip(SKIP_1) | instid1(VALU_DEP_4)
	v_and_b32_e32 v78, 0xffff, v31
	v_and_b32_e32 v31, 0xffff, v30
	;; [unrolled: 1-line block ×3, first 2 shown]
	s_delay_alu instid0(VALU_DEP_4)
	v_and_b32_e32 v42, 0xffff, v42
	s_wait_dscnt 0x0
	v_lshrrev_b32_e32 v79, 16, v13
	v_fma_mixlo_f16 v32, v7, v32, 0 op_sel_hi:[0,1,0]
	v_and_b32_e32 v26, 0xffff, v12
	v_lshrrev_b32_e32 v12, 16, v12
	v_and_b32_e32 v13, 0xffff, v13
	;;#ASMSTART
	v_cvt_f32_f16 v30, v26;
	;;#ASMEND
	v_and_b32_e32 v77, 0xffff, v32
	;;#ASMSTART
	v_cvt_f32_f16 v26, v12;
	;;#ASMEND
	;;#ASMSTART
	v_cvt_f32_f16 v76, v31;
	;;#ASMEND
	;; [unrolled: 3-line block ×7, first 2 shown]
	ds_load_b64 v[12:13], v16 offset:16
	v_or_b32_e32 v34, v33, v34
	v_or_b32_e32 v36, v35, v36
	v_fma_mixlo_f16 v35, v7, v35, 0 op_sel:[0,1,0] op_sel_hi:[0,1,0]
	v_fma_mixlo_f16 v33, v7, v33, 0 op_sel:[0,1,0] op_sel_hi:[0,1,0]
	v_mul_f32_e32 v26, v26, v31
	v_dual_mul_f32 v30, v30, v76 :: v_dual_mul_f32 v31, v32, v77
	s_delay_alu instid0(VALU_DEP_4) | instskip(NEXT) | instid1(VALU_DEP_4)
	v_and_b32_e32 v83, 0xffff, v35
	v_and_b32_e32 v33, 0xffff, v33
	s_delay_alu instid0(VALU_DEP_3) | instskip(NEXT) | instid1(VALU_DEP_4)
	v_dual_mul_f32 v32, v75, v78 :: v_dual_fmac_f32 v30, v22, v72
	v_fmac_f32_e32 v31, v24, v73
	v_fmac_f32_e32 v26, v4, v23
	s_wait_dscnt 0x0
	v_and_b32_e32 v35, 0xffff, v12
	v_lshrrev_b32_e32 v12, 16, v12
	v_fma_mixlo_f16 v34, v7, v34, 0 op_sel_hi:[0,1,0]
	v_lshrrev_b32_e32 v84, 16, v13
	v_fma_mixlo_f16 v36, v7, v36, 0 op_sel_hi:[0,1,0]
	v_and_b32_e32 v13, 0xffff, v13
	;;#ASMSTART
	v_cvt_f32_f16 v80, v35;
	;;#ASMEND
	v_and_b32_e32 v34, 0xffff, v34
	;;#ASMSTART
	v_cvt_f32_f16 v79, v12;
	;;#ASMEND
	;; [unrolled: 4-line block ×3, first 2 shown]
	;;#ASMSTART
	v_cvt_f32_f16 v81, v33;
	;;#ASMEND
	;;#ASMSTART
	v_cvt_f32_f16 v33, v13;
	;;#ASMEND
	;; [unrolled: 3-line block ×5, first 2 shown]
	ds_load_b64 v[12:13], v16 offset:24
	v_or_b32_e32 v38, v37, v38
	v_fma_mixlo_f16 v37, v7, v37, 0 op_sel:[0,1,0] op_sel_hi:[0,1,0]
	v_dual_fmac_f32 v26, v79, v81 :: v_dual_fmac_f32 v31, v33, v35
	s_delay_alu instid0(VALU_DEP_2)
	v_and_b32_e32 v84, 0xffff, v37
	s_wait_dscnt 0x0
	v_and_b32_e32 v37, 0xffff, v12
	v_lshrrev_b32_e32 v12, 16, v12
	v_fma_mixlo_f16 v38, v7, v38, 0 op_sel_hi:[0,1,0]
	v_lshrrev_b32_e32 v40, 16, v13
	v_and_b32_e32 v13, 0xffff, v13
	;;#ASMSTART
	v_cvt_f32_f16 v37, v37;
	;;#ASMEND
	s_delay_alu instid0(VALU_DEP_3)
	v_and_b32_e32 v39, 0xffff, v38
	;;#ASMSTART
	v_cvt_f32_f16 v38, v12;
	;;#ASMEND
	;;#ASMSTART
	v_cvt_f32_f16 v83, v39;
	;;#ASMEND
	;; [unrolled: 3-line block ×7, first 2 shown]
	ds_load_b64 v[12:13], v16 offset:32
	v_or_b32_e32 v46, v45, v46
	v_fma_mixlo_f16 v45, v7, v45, 0 op_sel:[0,1,0] op_sel_hi:[0,1,0]
	v_dual_fmac_f32 v26, v38, v84 :: v_dual_fmac_f32 v31, v39, v85
	s_delay_alu instid0(VALU_DEP_2)
	v_and_b32_e32 v89, 0xffff, v45
	s_wait_dscnt 0x0
	v_and_b32_e32 v45, 0xffff, v12
	v_lshrrev_b32_e32 v12, 16, v12
	v_fma_mixlo_f16 v46, v7, v46, 0 op_sel_hi:[0,1,0]
	v_lshrrev_b32_e32 v91, 16, v13
	v_and_b32_e32 v13, 0xffff, v13
	;;#ASMSTART
	v_cvt_f32_f16 v45, v45;
	;;#ASMEND
	s_delay_alu instid0(VALU_DEP_3)
	v_and_b32_e32 v90, 0xffff, v46
	;;#ASMSTART
	v_cvt_f32_f16 v46, v12;
	;;#ASMEND
	;;#ASMSTART
	v_cvt_f32_f16 v87, v42;
	;;#ASMEND
	;;#ASMSTART
	v_cvt_f32_f16 v88, v41;
	;;#ASMEND
	;;#ASMSTART
	v_cvt_f32_f16 v12, v13;
	;;#ASMEND
	;;#ASMSTART
	v_cvt_f32_f16 v13, v91;
	;;#ASMEND
	;;#ASMSTART
	v_cvt_f32_f16 v41, v90;
	;;#ASMEND
	;;#ASMSTART
	v_cvt_f32_f16 v42, v89;
	;;#ASMEND
	ds_load_b64 v[90:91], v16 offset:40
	v_or_b32_e32 v48, v47, v48
	v_or_b32_e32 v44, v43, v44
	v_fma_mixlo_f16 v43, v7, v43, 0 op_sel:[0,1,0] op_sel_hi:[0,1,0]
	v_fma_mixlo_f16 v47, v7, v47, 0 op_sel:[0,1,0] op_sel_hi:[0,1,0]
	v_dual_fmac_f32 v26, v46, v88 :: v_dual_fmac_f32 v31, v12, v41
	v_fma_mixlo_f16 v48, v7, v48, 0 op_sel_hi:[0,1,0]
	s_delay_alu instid0(VALU_DEP_4) | instskip(NEXT) | instid1(VALU_DEP_4)
	v_and_b32_e32 v92, 0xffff, v43
	v_and_b32_e32 v93, 0xffff, v47
	s_delay_alu instid0(VALU_DEP_3)
	v_and_b32_e32 v94, 0xffff, v48
	s_wait_dscnt 0x0
	v_lshrrev_b32_e32 v48, 16, v91
	v_fma_mixlo_f16 v44, v7, v44, 0 op_sel_hi:[0,1,0]
	v_and_b32_e32 v43, 0xffff, v90
	v_and_b32_e32 v91, 0xffff, v91
	;;#ASMSTART
	v_cvt_f32_f16 v43, v43;
	;;#ASMEND
	s_delay_alu instid0(VALU_DEP_3)
	v_and_b32_e32 v47, 0xffff, v44
	v_lshrrev_b32_e32 v44, 16, v90
	;;#ASMSTART
	v_cvt_f32_f16 v44, v44;
	;;#ASMEND
	;;#ASMSTART
	v_cvt_f32_f16 v89, v47;
	;;#ASMEND
	;;#ASMSTART
	v_cvt_f32_f16 v90, v92;
	;;#ASMEND
	;;#ASMSTART
	v_cvt_f32_f16 v47, v91;
	;;#ASMEND
	;;#ASMSTART
	v_cvt_f32_f16 v48, v48;
	;;#ASMEND
	;;#ASMSTART
	v_cvt_f32_f16 v91, v94;
	;;#ASMEND
	;;#ASMSTART
	v_cvt_f32_f16 v92, v93;
	;;#ASMEND
	ds_load_b64 v[94:95], v16 offset:48
	v_or_b32_e32 v50, v49, v50
	v_or_b32_e32 v52, v51, v52
	v_fma_mixlo_f16 v49, v7, v49, 0 op_sel:[0,1,0] op_sel_hi:[0,1,0]
	v_fma_mixlo_f16 v51, v7, v51, 0 op_sel:[0,1,0] op_sel_hi:[0,1,0]
	v_dual_fmac_f32 v26, v44, v90 :: v_dual_fmac_f32 v31, v47, v91
	s_delay_alu instid0(VALU_DEP_3) | instskip(NEXT) | instid1(VALU_DEP_3)
	v_and_b32_e32 v49, 0xffff, v49
	v_and_b32_e32 v51, 0xffff, v51
	s_wait_dscnt 0x0
	v_lshrrev_b32_e32 v96, 16, v95
	v_fma_mixlo_f16 v50, v7, v50, 0 op_sel_hi:[0,1,0]
	v_and_b32_e32 v93, 0xffff, v94
	v_lshrrev_b32_e32 v94, 16, v94
	v_fma_mixlo_f16 v52, v7, v52, 0 op_sel_hi:[0,1,0]
	v_and_b32_e32 v95, 0xffff, v95
	v_and_b32_e32 v50, 0xffff, v50
	;;#ASMSTART
	v_cvt_f32_f16 v93, v93;
	;;#ASMEND
	;;#ASMSTART
	v_cvt_f32_f16 v97, v94;
	;;#ASMEND
	v_and_b32_e32 v52, 0xffff, v52
	;;#ASMSTART
	v_cvt_f32_f16 v98, v50;
	;;#ASMEND
	;;#ASMSTART
	v_cvt_f32_f16 v99, v49;
	;;#ASMEND
	;; [unrolled: 3-line block ×6, first 2 shown]
	ds_load_b64 v[94:95], v16 offset:56
	v_or_b32_e32 v52, v55, v56
	v_or_b32_e32 v51, v53, v54
	v_fma_mixlo_f16 v53, v7, v53, 0 op_sel:[0,1,0] op_sel_hi:[0,1,0]
	v_fma_mixlo_f16 v54, v7, v55, 0 op_sel:[0,1,0] op_sel_hi:[0,1,0]
	s_delay_alu instid0(VALU_DEP_2) | instskip(NEXT) | instid1(VALU_DEP_2)
	v_and_b32_e32 v53, 0xffff, v53
	v_and_b32_e32 v54, 0xffff, v54
	s_wait_dscnt 0x0
	v_lshrrev_b32_e32 v56, 16, v94
	v_fma_mixlo_f16 v52, v7, v52, 0 op_sel_hi:[0,1,0]
	v_and_b32_e32 v55, 0xffff, v94
	v_lshrrev_b32_e32 v94, 16, v95
	v_fma_mixlo_f16 v51, v7, v51, 0 op_sel_hi:[0,1,0]
	v_and_b32_e32 v95, 0xffff, v95
	v_and_b32_e32 v52, 0xffff, v52
	;;#ASMSTART
	v_cvt_f32_f16 v101, v55;
	;;#ASMEND
	;;#ASMSTART
	v_cvt_f32_f16 v102, v56;
	;;#ASMEND
	v_and_b32_e32 v51, 0xffff, v51
	;;#ASMSTART
	v_cvt_f32_f16 v103, v51;
	;;#ASMEND
	;;#ASMSTART
	v_cvt_f32_f16 v104, v53;
	;;#ASMEND
	;; [unrolled: 3-line block ×6, first 2 shown]
	ds_load_b64 v[52:53], v16 offset:64
	v_or_b32_e32 v51, v57, v58
	v_or_b32_e32 v54, v59, v60
	v_fma_mixlo_f16 v55, v7, v57, 0 op_sel:[0,1,0] op_sel_hi:[0,1,0]
	v_fma_mixlo_f16 v56, v7, v59, 0 op_sel:[0,1,0] op_sel_hi:[0,1,0]
	v_or_b32_e32 v57, v65, v66
	v_fma_mixlo_f16 v58, v7, v65, 0 op_sel:[0,1,0] op_sel_hi:[0,1,0]
	v_or_b32_e32 v59, v61, v62
	v_or_b32_e32 v60, v63, v64
	;; [unrolled: 1-line block ×4, first 2 shown]
	v_and_b32_e32 v55, 0xffff, v55
	v_and_b32_e32 v56, 0xffff, v56
	v_fma_mixlo_f16 v61, v7, v61, 0 op_sel:[0,1,0] op_sel_hi:[0,1,0]
	v_fma_mixlo_f16 v63, v7, v63, 0 op_sel:[0,1,0] op_sel_hi:[0,1,0]
	v_and_b32_e32 v33, 0xffff, v58
	v_fma_mixlo_f16 v14, v7, v14, 0 op_sel:[0,1,0] op_sel_hi:[0,1,0]
	s_wait_dscnt 0x0
	v_and_b32_e32 v65, 0xffff, v52
	v_lshrrev_b32_e32 v52, 16, v52
	v_fma_mixlo_f16 v51, v7, v51, 0 op_sel_hi:[0,1,0]
	v_lshrrev_b32_e32 v66, 16, v53
	v_fma_mixlo_f16 v54, v7, v54, 0 op_sel_hi:[0,1,0]
	v_and_b32_e32 v53, 0xffff, v53
	;;#ASMSTART
	v_cvt_f32_f16 v65, v65;
	;;#ASMEND
	v_and_b32_e32 v51, 0xffff, v51
	;;#ASMSTART
	v_cvt_f32_f16 v68, v52;
	;;#ASMEND
	;; [unrolled: 4-line block ×3, first 2 shown]
	;;#ASMSTART
	v_cvt_f32_f16 v107, v55;
	;;#ASMEND
	;;#ASMSTART
	v_cvt_f32_f16 v108, v53;
	;;#ASMEND
	;; [unrolled: 3-line block ×5, first 2 shown]
	ds_load_b64 v[52:53], v16 offset:72
	v_fma_mixlo_f16 v54, v7, v59, 0 op_sel_hi:[0,1,0]
	v_fma_mixlo_f16 v55, v7, v60, 0 op_sel_hi:[0,1,0]
	v_and_b32_e32 v59, 0xffff, v61
	v_and_b32_e32 v60, 0xffff, v63
	v_fmac_f32_e32 v32, v25, v74
	v_and_b32_e32 v54, 0xffff, v54
	v_and_b32_e32 v22, 0xffff, v55
	v_fmac_f32_e32 v30, v80, v82
	v_fma_mixlo_f16 v56, v7, v57, 0 op_sel_hi:[0,1,0]
	v_fma_mixlo_f16 v51, v7, v67, 0 op_sel:[0,1,0] op_sel_hi:[0,1,0]
	v_fma_mixlo_f16 v57, v7, v62, 0 op_sel_hi:[0,1,0]
	v_and_b32_e32 v14, 0xffff, v14
	s_delay_alu instid0(VALU_DEP_4)
	v_and_b32_e32 v12, 0xffff, v56
	s_wait_dscnt 0x0
	v_dual_lshrrev_b32 v23, 16, v52 :: v_dual_lshrrev_b32 v24, 16, v53
	v_and_b32_e32 v25, 0xffff, v53
	v_and_b32_e32 v4, 0xffff, v52
	;;#ASMSTART
	v_cvt_f32_f16 v52, v4;
	;;#ASMEND
	;;#ASMSTART
	v_cvt_f32_f16 v53, v23;
	;;#ASMEND
	;; [unrolled: 3-line block ×8, first 2 shown]
	ds_load_b64 v[22:23], v16 offset:80
	v_dual_fmac_f32 v32, v34, v36 :: v_dual_fmac_f32 v30, v37, v83
	v_dual_fmac_f32 v26, v97, v99 :: v_dual_fmac_f32 v31, v100, v96
	v_fma_mixlo_f16 v4, v7, v64, 0 op_sel_hi:[0,1,0]
	s_delay_alu instid0(VALU_DEP_3) | instskip(NEXT) | instid1(VALU_DEP_2)
	v_dual_fmac_f32 v32, v40, v86 :: v_dual_fmac_f32 v30, v45, v87
	v_and_b32_e32 v4, 0xffff, v4
	s_delay_alu instid0(VALU_DEP_2) | instskip(NEXT) | instid1(VALU_DEP_1)
	v_dual_fmac_f32 v32, v13, v42 :: v_dual_fmac_f32 v30, v43, v89
	v_dual_fmac_f32 v32, v48, v92 :: v_dual_fmac_f32 v30, v93, v98
	s_wait_dscnt 0x0
	v_and_b32_e32 v13, 0xffff, v22
	v_dual_lshrrev_b32 v22, 16, v22 :: v_dual_lshrrev_b32 v34, 16, v23
	v_and_b32_e32 v23, 0xffff, v23
	;;#ASMSTART
	v_cvt_f32_f16 v35, v13;
	;;#ASMEND
	;;#ASMSTART
	v_cvt_f32_f16 v36, v22;
	;;#ASMEND
	;; [unrolled: 3-line block ×3, first 2 shown]
	v_and_b32_e32 v12, 0xffff, v57
	v_and_b32_e32 v13, 0xffff, v51
	;;#ASMSTART
	v_cvt_f32_f16 v33, v33;
	;;#ASMEND
	;;#ASMSTART
	v_cvt_f32_f16 v23, v23;
	;;#ASMEND
	;; [unrolled: 3-line block ×5, first 2 shown]
	ds_load_b64 v[12:13], v16 offset:88
	v_dual_fmac_f32 v32, v49, v50 :: v_dual_fmac_f32 v26, v102, v104
	v_dual_fmac_f32 v30, v101, v103 :: v_dual_fmac_f32 v31, v95, v105
	v_or_b32_e32 v22, v70, v71
	s_delay_alu instid0(VALU_DEP_3) | instskip(NEXT) | instid1(VALU_DEP_3)
	v_dual_fmac_f32 v32, v94, v106 :: v_dual_fmac_f32 v26, v68, v107
	v_fmac_f32_e32 v30, v65, v69
	s_delay_alu instid0(VALU_DEP_4) | instskip(NEXT) | instid1(VALU_DEP_4)
	v_fmac_f32_e32 v31, v108, v109
	v_fma_mixlo_f16 v22, v7, v22, 0 op_sel_hi:[0,1,0]
	s_delay_alu instid0(VALU_DEP_4) | instskip(NEXT) | instid1(VALU_DEP_3)
	v_dual_fmac_f32 v32, v66, v110 :: v_dual_fmac_f32 v26, v53, v55
	v_dual_fmac_f32 v30, v52, v54 :: v_dual_fmac_f32 v31, v25, v59
	v_fma_mixlo_f16 v7, v7, v70, 0 op_sel:[0,1,0] op_sel_hi:[0,1,0]
	s_delay_alu instid0(VALU_DEP_3) | instskip(NEXT) | instid1(VALU_DEP_4)
	v_fmac_f32_e32 v32, v24, v60
	v_fmac_f32_e32 v26, v36, v33
	s_delay_alu instid0(VALU_DEP_4)
	v_fmac_f32_e32 v30, v35, v37
	v_fmac_f32_e32 v31, v23, v38
	s_wait_dscnt 0x0
	v_and_b32_e32 v23, 0xffff, v12
	v_lshrrev_b32_e32 v12, 16, v12
	;;#ASMSTART
	v_cvt_f32_f16 v23, v23;
	;;#ASMEND
	;;#ASMSTART
	v_cvt_f32_f16 v12, v12;
	;;#ASMEND
	;; [unrolled: 3-line block ×4, first 2 shown]
	v_fmac_f32_e32 v30, v23, v4
	v_fmac_f32_e32 v26, v12, v14
	v_and_b32_e32 v14, 0xffff, v7
	v_xor_b32_e32 v7, 1, v3
	v_fmac_f32_e32 v32, v34, v39
	v_and_b32_e32 v24, 0xffff, v13
	v_lshrrev_b32_e32 v13, 16, v13
	v_and_b32_e32 v22, 0xffff, v22
	;;#ASMSTART
	v_cvt_f32_f16 v4, v24;
	;;#ASMEND
	;;#ASMSTART
	v_cvt_f32_f16 v12, v13;
	;;#ASMEND
	;; [unrolled: 3-line block ×3, first 2 shown]
	v_fmac_f32_e32 v31, v4, v13
	;;#ASMSTART
	v_cvt_f32_f16 v13, v14;
	;;#ASMEND
	v_dual_add_f32 v4, v30, v26 :: v_dual_fmac_f32 v32, v12, v13
	v_cmp_gt_i32_e64 s4, 32, v7
	s_delay_alu instid0(VALU_DEP_2) | instskip(NEXT) | instid1(VALU_DEP_1)
	v_add_f32_e32 v4, v4, v31
	v_dual_cndmask_b32 v7, v3, v7, s4 :: v_dual_add_f32 v4, v32, v4
	s_delay_alu instid0(VALU_DEP_1)
	v_lshlrev_b32_e32 v7, 2, v7
	ds_bpermute_b32 v7, v7, v4
	s_and_saveexec_b32 s41, s3
	s_cbranch_execz .LBB255_10
; %bb.402:                              ;   in Loop: Header=BB255_12 Depth=1
	s_wait_dscnt 0x0
	v_dual_add_nc_u32 v12, v18, v6 :: v_dual_add_f32 v4, v4, v7
	s_delay_alu instid0(VALU_DEP_1) | instskip(NEXT) | instid1(VALU_DEP_1)
	v_cvt_f32_i32_e32 v12, v12
	v_mul_f32_e32 v12, s37, v12
	s_delay_alu instid0(VALU_DEP_1) | instskip(NEXT) | instid1(VALU_DEP_1)
	v_dual_cndmask_b32 v7, 0, v12 :: v_dual_max_num_f32 v12, v17, v17
	v_dual_fmac_f32 v7, s27, v4 :: v_dual_add_nc_u32 v4, v15, v6
	s_delay_alu instid0(VALU_DEP_1) | instskip(NEXT) | instid1(VALU_DEP_1)
	v_cmp_gt_i32_e64 s4, s34, v4
	v_dual_max_num_f32 v12, v12, v7 :: v_dual_cndmask_b32 v4, 0, v7, s4
	s_delay_alu instid0(VALU_DEP_1)
	v_cndmask_b32_e64 v17, v17, v12, s4
	ds_store_b32 v19, v4
	s_branch .LBB255_10
.LBB255_403:
	s_or_b32 exec_lo, exec_lo, s40
.LBB255_404:
	s_delay_alu instid0(SALU_CYCLE_1)
	s_or_b32 exec_lo, exec_lo, s26
	s_wait_dscnt 0x0
	v_dual_max_num_f32 v7, v17, v17 :: v_dual_bitop2_b32 v4, 16, v3 bitop3:0x14
	s_clause 0x1
	s_load_b64 s[4:5], s[0:1], 0x0
	s_load_b64 s[26:27], s[0:1], 0x18
	v_xor_b32_e32 v6, 8, v3
	v_xor_b32_e32 v8, 4, v3
	v_cmp_gt_i32_e32 vcc_lo, 32, v4
	v_and_b32_e32 v30, 31, v0
	v_cndmask_b32_e32 v4, v3, v4, vcc_lo
	v_cmp_gt_i32_e32 vcc_lo, 32, v6
	s_delay_alu instid0(VALU_DEP_2) | instskip(SKIP_4) | instid1(VALU_DEP_1)
	v_dual_cndmask_b32 v6, v3, v6 :: v_dual_lshlrev_b32 v5, 2, v4
	v_cmp_gt_i32_e32 vcc_lo, 32, v8
	ds_bpermute_b32 v4, v5, v17
	s_wait_dscnt 0x0
	v_dual_lshlrev_b32 v6, 2, v6 :: v_dual_max_num_f32 v4, v4, v4
	v_max_num_f32_e32 v4, v7, v4
	ds_bpermute_b32 v7, v6, v4
	s_wait_dscnt 0x0
	v_max_num_f32_e32 v9, v7, v7
	s_delay_alu instid0(VALU_DEP_1) | instskip(NEXT) | instid1(VALU_DEP_1)
	v_dual_cndmask_b32 v8, v3, v8, vcc_lo :: v_dual_max_num_f32 v4, v4, v9
	v_lshlrev_b32_e32 v7, 2, v8
	ds_bpermute_b32 v8, v7, v4
	s_wait_dscnt 0x0
	v_dual_max_num_f32 v8, v8, v8 :: v_dual_bitop2_b32 v9, 2, v3 bitop3:0x14
	s_delay_alu instid0(VALU_DEP_1) | instskip(NEXT) | instid1(VALU_DEP_2)
	v_cmp_gt_i32_e32 vcc_lo, 32, v9
	v_dual_cndmask_b32 v10, v3, v9 :: v_dual_max_num_f32 v9, v4, v8
	v_lshlrev_b32_e32 v8, 2, v29
	v_cmp_eq_u32_e32 vcc_lo, 0, v30
	s_delay_alu instid0(VALU_DEP_3)
	v_lshlrev_b32_e32 v4, 2, v10
	ds_bpermute_b32 v10, v4, v9
	s_wait_xcnt 0x0
	s_and_saveexec_b32 s0, vcc_lo
	s_cbranch_execz .LBB255_406
; %bb.405:
	s_wait_dscnt 0x0
	v_dual_max_num_f32 v10, v10, v10 :: v_dual_max_num_f32 v9, v9, v9
	s_delay_alu instid0(VALU_DEP_1)
	v_max_num_f32_e32 v9, v9, v10
	ds_store_b32 v8, v9 offset:192
.LBB255_406:
	s_or_b32 exec_lo, exec_lo, s0
	v_cmp_gt_u32_e64 s0, 4, v30
	s_wait_dscnt 0x0
	v_dual_mov_b32 v10, 0xff7fffff :: v_dual_lshlrev_b32 v9, 2, v30
	s_barrier_signal -1
	s_barrier_wait -1
	s_and_saveexec_b32 s1, s0
; %bb.407:
	ds_load_b32 v10, v9 offset:192
; %bb.408:
	s_or_b32 exec_lo, exec_lo, s1
	s_wait_dscnt 0x0
	ds_bpermute_b32 v11, v4, v10
	v_dual_max_num_f32 v10, v10, v10 :: v_dual_bitop2_b32 v12, 1, v3 bitop3:0x14
	s_delay_alu instid0(VALU_DEP_1) | instskip(NEXT) | instid1(VALU_DEP_1)
	v_cmp_gt_i32_e64 s1, 32, v12
	v_cndmask_b32_e64 v3, v3, v12, s1
	s_lshl_b32 s1, s12, 4
	s_delay_alu instid0(SALU_CYCLE_1) | instskip(NEXT) | instid1(VALU_DEP_1)
	s_min_i32 s8, s1, s34
	v_lshlrev_b32_e32 v31, 2, v3
	v_cmp_gt_i32_e64 s1, s8, v0
	s_wait_dscnt 0x0
	v_max_num_f32_e32 v11, v11, v11
	s_delay_alu instid0(VALU_DEP_1) | instskip(SKIP_3) | instid1(VALU_DEP_1)
	v_max_num_f32_e32 v3, v10, v11
	ds_bpermute_b32 v10, v31, v3
	s_wait_dscnt 0x0
	v_max_num_f32_e32 v10, v10, v10
	v_dual_max_num_f32 v10, v3, v10 :: v_dual_mov_b32 v3, 0
	ds_bpermute_b32 v10, v3, v10
	s_and_saveexec_b32 s9, s1
	s_cbranch_execz .LBB255_412
; %bb.409:
	v_lshl_add_u32 v11, v0, 2, 0xe0
	v_dual_mov_b32 v3, 0 :: v_dual_mov_b32 v12, v0
	s_mov_b32 s19, 0
.LBB255_410:                            ; =>This Inner Loop Header: Depth=1
	ds_load_b32 v13, v11
	v_add_nc_u32_e32 v12, 0x80, v12
	s_delay_alu instid0(VALU_DEP_1) | instskip(SKIP_3) | instid1(VALU_DEP_1)
	v_cmp_le_i32_e64 s3, s8, v12
	s_or_b32 s19, s3, s19
	s_wait_dscnt 0x0
	v_sub_f32_e32 v13, v13, v10
	v_mul_f32_e32 v13, 0x3fb8aa3b, v13
	s_delay_alu instid0(VALU_DEP_1)
	v_exp_f32_e32 v13, v13
	ds_store_b32 v11, v13
	v_nop
	v_add_f32_e32 v3, v3, v13
	v_add_nc_u32_e32 v11, 0x200, v11
	s_and_not1_b32 exec_lo, exec_lo, s19
	s_cbranch_execnz .LBB255_410
; %bb.411:
	s_or_b32 exec_lo, exec_lo, s19
.LBB255_412:
	s_delay_alu instid0(SALU_CYCLE_1)
	s_or_b32 exec_lo, exec_lo, s9
	ds_bpermute_b32 v5, v5, v3
	s_wait_dscnt 0x0
	v_add_f32_e32 v3, v3, v5
	ds_bpermute_b32 v5, v6, v3
	s_wait_dscnt 0x0
	v_add_f32_e32 v3, v3, v5
	;; [unrolled: 3-line block ×5, first 2 shown]
	s_and_saveexec_b32 s3, vcc_lo
; %bb.413:
	ds_store_b32 v8, v3 offset:208
; %bb.414:
	s_or_b32 exec_lo, exec_lo, s3
	s_wait_dscnt 0x0
	s_barrier_signal -1
	s_barrier_wait -1
	s_and_saveexec_b32 s3, s0
; %bb.415:
	ds_load_b32 v3, v9 offset:208
; %bb.416:
	s_or_b32 exec_lo, exec_lo, s3
	s_wait_dscnt 0x0
	ds_bpermute_b32 v4, v4, v3
	s_wait_dscnt 0x0
	v_dual_mov_b32 v5, 0 :: v_dual_add_f32 v3, v3, v4
	ds_bpermute_b32 v4, v31, v3
	s_wait_dscnt 0x0
	v_add_f32_e32 v3, v3, v4
	ds_bpermute_b32 v3, v5, v3
	s_and_saveexec_b32 s0, s1
	s_cbranch_execz .LBB255_429
; %bb.417:
	s_wait_dscnt 0x0
	v_add_f32_e32 v3, 0x358637bd, v3
	s_mov_b32 s3, -1
	s_mov_b32 s1, exec_lo
	s_delay_alu instid0(VALU_DEP_1) | instskip(NEXT) | instid1(VALU_DEP_1)
	v_div_scale_f32 v4, null, v3, v3, 1.0
	v_rcp_f32_e32 v6, v4
	v_nop
	s_delay_alu instid0(TRANS32_DEP_1) | instskip(NEXT) | instid1(VALU_DEP_1)
	v_fma_f32 v7, -v4, v6, 1.0
	v_fmac_f32_e32 v6, v7, v6
	v_div_scale_f32 v8, vcc_lo, 1.0, v3, 1.0
	s_delay_alu instid0(VALU_DEP_1) | instskip(NEXT) | instid1(VALU_DEP_1)
	v_mul_f32_e32 v7, v8, v6
	v_fma_f32 v9, -v4, v7, v8
	s_delay_alu instid0(VALU_DEP_1) | instskip(NEXT) | instid1(VALU_DEP_1)
	v_fmac_f32_e32 v7, v9, v6
	v_fma_f32 v8, -v4, v7, v8
	v_xad_u32 v4, v0, -1, s8
	s_delay_alu instid0(VALU_DEP_2) | instskip(NEXT) | instid1(VALU_DEP_1)
	v_div_fmas_f32 v6, v8, v6, v7
	v_div_fixup_f32 v6, v6, v3, 1.0
	v_mov_b32_e32 v3, v0
	s_delay_alu instid0(VALU_DEP_4)
	v_cmpx_lt_u32_e32 0x7f, v4
	s_cbranch_execz .LBB255_426
; %bb.418:
	s_delay_alu instid0(VALU_DEP_3) | instskip(NEXT) | instid1(VALU_DEP_1)
	v_dual_lshrrev_b32 v3, 7, v4 :: v_dual_mov_b32 v7, v6
	v_dual_mov_b32 v10, 0 :: v_dual_add_nc_u32 v4, -1, v3
	s_delay_alu instid0(VALU_DEP_1) | instskip(SKIP_1) | instid1(VALU_DEP_2)
	v_lshrrev_b32_e32 v8, 1, v4
	v_cmp_lt_u32_e32 vcc_lo, 13, v4
	v_add_nc_u32_e32 v4, 1, v8
	s_and_saveexec_b32 s3, vcc_lo
	s_cbranch_execz .LBB255_422
; %bb.419:
	s_delay_alu instid0(VALU_DEP_1)
	v_and_b32_e32 v8, -8, v4
	v_lshl_add_u32 v9, v0, 2, 0xe0
	s_mov_b32 s9, 0
	s_mov_b32 s19, 0
.LBB255_420:                            ; =>This Inner Loop Header: Depth=1
	ds_load_2addr_stride64_b32 v[10:11], v9 offset1:2
	ds_load_2addr_stride64_b32 v[12:13], v9 offset0:4 offset1:6
	ds_load_2addr_stride64_b32 v[14:15], v9 offset0:8 offset1:10
	;; [unrolled: 1-line block ×7, first 2 shown]
	s_add_co_i32 s19, s19, 16
	v_add_nc_u32_e32 v8, -8, v8
	s_wait_dscnt 0x7
	v_pk_mul_f32 v[10:11], v[6:7], v[10:11]
	s_wait_dscnt 0x6
	v_pk_mul_f32 v[12:13], v[6:7], v[12:13]
	;; [unrolled: 2-line block ×8, first 2 shown]
	ds_store_2addr_stride64_b32 v9, v10, v11 offset1:2
	ds_store_2addr_stride64_b32 v9, v12, v13 offset0:4 offset1:6
	ds_store_2addr_stride64_b32 v9, v14, v15 offset0:8 offset1:10
	;; [unrolled: 1-line block ×7, first 2 shown]
	v_mov_b32_e32 v10, s19
	v_cmp_eq_u32_e32 vcc_lo, 0, v8
	v_add_nc_u32_e32 v9, 0x2000, v9
	s_or_b32 s9, vcc_lo, s9
	s_delay_alu instid0(SALU_CYCLE_1)
	s_and_not1_b32 exec_lo, exec_lo, s9
	s_cbranch_execnz .LBB255_420
; %bb.421:
	s_or_b32 exec_lo, exec_lo, s9
.LBB255_422:
	s_delay_alu instid0(SALU_CYCLE_1) | instskip(NEXT) | instid1(VALU_DEP_1)
	s_or_b32 exec_lo, exec_lo, s3
	v_and_b32_e32 v4, 7, v4
	s_mov_b32 s9, 0
	s_mov_b32 s3, exec_lo
	s_delay_alu instid0(VALU_DEP_1)
	v_cmpx_ne_u32_e32 0, v4
	s_cbranch_execz .LBB255_425
; %bb.423:
	v_dual_lshlrev_b32 v8, 9, v10 :: v_dual_lshlrev_b32 v9, 2, v0
	s_delay_alu instid0(VALU_DEP_1)
	v_add3_u32 v8, v8, v9, 0xe0
.LBB255_424:                            ; =>This Inner Loop Header: Depth=1
	ds_load_2addr_stride64_b32 v[10:11], v8 offset1:2
	v_add_nc_u32_e32 v4, -1, v4
	s_delay_alu instid0(VALU_DEP_1)
	v_cmp_eq_u32_e32 vcc_lo, 0, v4
	s_or_b32 s9, vcc_lo, s9
	s_wait_dscnt 0x0
	v_pk_mul_f32 v[10:11], v[6:7], v[10:11]
	ds_store_2addr_stride64_b32 v8, v10, v11 offset1:2
	v_add_nc_u32_e32 v8, 0x400, v8
	s_and_not1_b32 exec_lo, exec_lo, s9
	s_cbranch_execnz .LBB255_424
.LBB255_425:
	s_or_b32 exec_lo, exec_lo, s3
	v_add_nc_u32_e32 v3, 1, v3
	s_delay_alu instid0(VALU_DEP_1) | instskip(NEXT) | instid1(VALU_DEP_1)
	v_and_b32_e32 v4, 0x3fffffe, v3
	v_cmp_ne_u32_e32 vcc_lo, v3, v4
	v_lshl_add_u32 v3, v4, 7, v0
	s_or_not1_b32 s3, vcc_lo, exec_lo
.LBB255_426:
	s_or_b32 exec_lo, exec_lo, s1
	s_delay_alu instid0(SALU_CYCLE_1)
	s_and_b32 exec_lo, exec_lo, s3
	s_cbranch_execz .LBB255_429
; %bb.427:
	v_lshl_add_u32 v4, v3, 2, 0xe0
	s_mov_b32 s1, 0
.LBB255_428:                            ; =>This Inner Loop Header: Depth=1
	ds_load_b32 v7, v4
	v_add_nc_u32_e32 v3, 0x80, v3
	s_delay_alu instid0(VALU_DEP_1)
	v_cmp_le_i32_e32 vcc_lo, s8, v3
	s_or_b32 s1, vcc_lo, s1
	s_wait_dscnt 0x0
	v_mul_f32_e32 v7, v6, v7
	ds_store_b32 v4, v7
	v_add_nc_u32_e32 v4, 0x200, v4
	s_and_not1_b32 exec_lo, exec_lo, s1
	s_cbranch_execnz .LBB255_428
.LBB255_429:
	s_or_b32 exec_lo, exec_lo, s0
	v_dual_mov_b32 v4, 0 :: v_dual_mov_b32 v7, 0
	v_dual_mov_b32 v6, 0 :: v_dual_mov_b32 v9, 0
	v_mov_b32_e32 v8, 0
	s_wait_dscnt 0x0
	s_barrier_signal -1
	s_barrier_wait -1
	s_and_saveexec_b32 s1, s2
	s_cbranch_execz .LBB255_831
; %bb.430:
	s_abs_i32 s14, s14
	v_dual_lshlrev_b32 v3, 3, v0 :: v_dual_mov_b32 v11, 0
	s_cvt_f32_u32 s0, s14
	s_ashr_i32 s19, s18, 31
	s_delay_alu instid0(VALU_DEP_1) | instskip(NEXT) | instid1(SALU_CYCLE_1)
	v_dual_lshlrev_b32 v5, 5, v28 :: v_dual_bitop2_b32 v32, 8, v3 bitop3:0x40
	v_rcp_iflag_f32_e32 v4, s0
	v_and_b32_e32 v10, 0xf8, v3
	s_wait_kmcnt 0x0
	s_add_nc_u64 s[18:19], s[26:27], s[18:19]
	s_lshl_b64 s[24:25], s[24:25], 2
	s_sub_co_i32 s2, 0, s14
	v_dual_mov_b32 v8, 0 :: v_dual_mov_b32 v9, 0
	v_readfirstlane_b32 s0, v4
	v_add_nc_u64_e32 v[12:13], s[18:19], v[10:11]
	v_and_b32_e32 v10, 0x7c, v1
	v_lshl_or_b32 v4, v29, 6, v5
	s_add_nc_u64 s[18:19], s[22:23], s[24:25]
	s_mul_f32 s0, s0, 0x4f7ffffe
	v_mov_b32_e32 v34, v29
	v_add_nc_u64_e32 v[14:15], s[18:19], v[10:11]
	v_add_nc_u32_e32 v33, 0xe0, v4
	s_cvt_u32_f32 s0, s0
	v_dual_mov_b32 v6, 0 :: v_dual_mov_b32 v7, 0
	v_dual_mov_b32 v4, 0 :: v_dual_mov_b32 v5, 0
	s_delay_alu instid0(SALU_CYCLE_1)
	s_mul_i32 s2, s2, s0
	s_mov_b32 s3, 0
	s_mul_hi_u32 s2, s0, s2
	s_sub_co_i32 s13, s36, s13
	s_add_co_i32 s28, s12, -1
	s_mov_b64 s[8:9], 0xffffffffffffff
	s_mov_b32 s18, s34
	s_add_co_i32 s2, s0, s2
	s_mov_b32 s19, s3
	s_branch .LBB255_433
.LBB255_431:                            ;   in Loop: Header=BB255_433 Depth=1
	s_or_b32 exec_lo, exec_lo, s0
	v_add_f32_e32 v1, v43, v44
	v_add_f32_e32 v10, v55, v56
	;;#ASMSTART
	v_pk_mul_f16 v17, v50, v17;

	;;#ASMEND
	;;#ASMSTART
	v_pk_mul_f16 v18, v48, v18;

	;;#ASMEND
	;; [unrolled: 4-line block ×3, first 2 shown]
	v_add_f32_e32 v4, v4, v1
	;;#ASMSTART
	v_pk_mul_f16 v1, v45, v16;

	;;#ASMEND
	;;#ASMSTART
	v_pk_add_f16 v16, v17, v18;

	;;#ASMEND
	;;#ASMSTART
	v_pk_add_f16 v3, v16, v3;
	;; [unrolled: 4-line block ×3, first 2 shown]

	;;#ASMEND
	v_and_b32_e32 v17, 0xffff, v1
	v_dual_add_f32 v1, v53, v54 :: v_dual_lshrrev_b32 v18, 16, v1
	;;#ASMSTART
	v_cvt_f32_f16 v17, v17;
	;;#ASMEND
	v_add_f32_e32 v3, v51, v52
	;;#ASMSTART
	v_cvt_f32_f16 v18, v18;
	;;#ASMEND
	s_delay_alu instid0(VALU_DEP_2) | instskip(NEXT) | instid1(VALU_DEP_2)
	v_dual_add_f32 v17, v17, v18 :: v_dual_add_f32 v6, v6, v1
	v_dual_add_f32 v16, v47, v49 :: v_dual_add_f32 v9, v9, v3
	s_delay_alu instid0(VALU_DEP_2) | instskip(NEXT) | instid1(VALU_DEP_2)
	v_dual_add_f32 v7, v7, v10 :: v_dual_add_f32 v5, v5, v17
	v_add_f32_e32 v8, v8, v16
.LBB255_432:                            ;   in Loop: Header=BB255_433 Depth=1
	s_or_b32 exec_lo, exec_lo, s22
	v_add_nc_u32_e32 v34, 4, v34
	v_add_nc_u64_e32 v[14:15], 16, v[14:15]
	v_add_nc_u32_e32 v2, 64, v2
	v_add_nc_u32_e32 v33, 0x100, v33
	s_delay_alu instid0(VALU_DEP_4) | instskip(SKIP_1) | instid1(SALU_CYCLE_1)
	v_cmp_le_i32_e32 vcc_lo, s12, v34
	s_or_b32 s19, vcc_lo, s19
	s_and_not1_b32 exec_lo, exec_lo, s19
	s_cbranch_execz .LBB255_830
.LBB255_433:                            ; =>This Inner Loop Header: Depth=1
	v_mov_b32_e32 v3, v11
	s_delay_alu instid0(VALU_DEP_1) | instskip(NEXT) | instid1(VALU_DEP_1)
	v_mul_u64_e32 v[16:17], s[20:21], v[2:3]
	v_mul_lo_u32 v1, v17, s16
	s_delay_alu instid0(VALU_DEP_1) | instskip(NEXT) | instid1(VALU_DEP_1)
	v_sub_nc_u32_e32 v1, v2, v1
	v_subrev_nc_u32_e32 v10, s16, v1
	v_cmp_le_u32_e32 vcc_lo, s16, v1
	s_delay_alu instid0(VALU_DEP_2) | instskip(NEXT) | instid1(VALU_DEP_1)
	v_dual_add_nc_u32 v3, 1, v17 :: v_dual_cndmask_b32 v1, v1, v10, vcc_lo
	v_cndmask_b32_e32 v3, v17, v3, vcc_lo
	s_delay_alu instid0(VALU_DEP_2) | instskip(NEXT) | instid1(VALU_DEP_2)
	v_cmp_le_u32_e32 vcc_lo, s16, v1
	v_add_nc_u32_e32 v10, 1, v3
	s_delay_alu instid0(VALU_DEP_1) | instskip(NEXT) | instid1(VALU_DEP_1)
	v_cndmask_b32_e32 v1, v3, v10, vcc_lo
	v_xor_b32_e32 v1, s15, v1
	s_delay_alu instid0(VALU_DEP_1) | instskip(NEXT) | instid1(VALU_DEP_1)
	v_subrev_nc_u32_e32 v1, s15, v1
	v_add_nc_u32_e32 v3, s35, v1
	v_cmp_lt_i32_e64 s0, s13, v1
	s_delay_alu instid0(VALU_DEP_2) | instskip(NEXT) | instid1(VALU_DEP_1)
	v_sub_nc_u32_e32 v10, 0, v3
	v_dual_ashrrev_i32 v3, 31, v3 :: v_dual_max_i32 v10, v3, v10
	s_delay_alu instid0(VALU_DEP_1) | instskip(NEXT) | instid1(VALU_DEP_1)
	v_mul_u64_e32 v[16:17], s[2:3], v[10:11]
	v_mul_lo_u32 v16, v17, s14
	s_delay_alu instid0(VALU_DEP_1) | instskip(NEXT) | instid1(VALU_DEP_1)
	v_sub_nc_u32_e32 v10, v10, v16
	v_subrev_nc_u32_e32 v16, s14, v10
	v_cmp_le_u32_e32 vcc_lo, s14, v10
	s_delay_alu instid0(VALU_DEP_2) | instskip(NEXT) | instid1(VALU_DEP_1)
	v_cndmask_b32_e32 v10, v10, v16, vcc_lo
	v_subrev_nc_u32_e32 v16, s14, v10
	v_cmp_le_u32_e32 vcc_lo, s14, v10
	s_delay_alu instid0(VALU_DEP_2) | instskip(NEXT) | instid1(VALU_DEP_1)
	v_cndmask_b32_e32 v10, v10, v16, vcc_lo
	v_xor_b32_e32 v10, v10, v3
	s_delay_alu instid0(VALU_DEP_1) | instskip(NEXT) | instid1(VALU_DEP_1)
	v_sub_nc_u32_e32 v3, v10, v3
	v_cmp_eq_u32_e32 vcc_lo, 0, v3
	s_or_b32 s0, vcc_lo, s0
	s_delay_alu instid0(SALU_CYCLE_1)
	s_and_saveexec_b32 s22, s0
	s_cbranch_execz .LBB255_432
; %bb.434:                              ;   in Loop: Header=BB255_433 Depth=1
	global_load_b32 v1, v[14:15], off
	ds_load_2addr_b64 v[18:21], v33 offset1:1
	ds_load_2addr_b64 v[22:25], v33 offset0:2 offset1:3
	s_mov_b32 s0, exec_lo
	s_wait_dscnt 0x1
	;;#ASMSTART
	v_cvt_f16_f32 v46, v18;

	;;#ASMEND
	;;#ASMSTART
	v_cvt_f16_f32 v43, v19;

	;;#ASMEND
	;; [unrolled: 4-line block ×4, first 2 shown]
	s_wait_dscnt 0x0
	;;#ASMSTART
	v_cvt_f16_f32 v49, v22;

	;;#ASMEND
	;;#ASMSTART
	v_cvt_f16_f32 v45, v23;

	;;#ASMEND
	;; [unrolled: 4-line block ×4, first 2 shown]
	v_mov_b32_e32 v3, 0
	s_wait_loadcnt 0x0
	v_mad_nc_i64_i32 v[16:17], v1, s17, v[12:13]
	v_mov_b32_e32 v1, 0
	global_load_b32 v18, v1, s[10:11]
	global_load_b64 v[20:21], v[16:17], off
	s_wait_loadcnt 0x0
	v_and_b32_e32 v10, 0xff, v20
	s_delay_alu instid0(VALU_DEP_1)
	v_cmpx_ne_u16_e32 0, v10
	s_cbranch_execz .LBB255_442
; %bb.435:                              ;   in Loop: Header=BB255_433 Depth=1
	v_mov_b32_e32 v3, 0x8000
	s_mov_b32 s23, exec_lo
	v_cmpx_ne_u16_e32 0x80, v10
	s_cbranch_execz .LBB255_441
; %bb.436:                              ;   in Loop: Header=BB255_433 Depth=1
	v_and_b32_e32 v19, 0x7f, v20
	v_mov_b32_e32 v3, 0x7c01
	s_mov_b32 s24, exec_lo
	s_delay_alu instid0(VALU_DEP_2)
	v_cmpx_ne_u32_e32 0x7f, v19
	s_cbranch_execz .LBB255_440
; %bb.437:                              ;   in Loop: Header=BB255_433 Depth=1
	v_dual_lshrrev_b32 v10, 3, v19 :: v_dual_bitop2_b32 v3, 7, v20 bitop3:0x40
	s_mov_b32 s25, exec_lo
	v_cmpx_gt_u32_e32 8, v19
; %bb.438:                              ;   in Loop: Header=BB255_433 Depth=1
	s_delay_alu instid0(VALU_DEP_2) | instskip(NEXT) | instid1(VALU_DEP_1)
	v_clz_i32_u32_e32 v3, v3
	v_min_u32_e32 v3, 32, v3
	s_delay_alu instid0(VALU_DEP_1) | instskip(NEXT) | instid1(VALU_DEP_1)
	v_subrev_nc_u32_e32 v10, 28, v3
	v_lshlrev_b64_e32 v[22:23], v10, v[20:21]
	s_delay_alu instid0(VALU_DEP_1)
	v_dual_sub_nc_u32 v10, 29, v3 :: v_dual_bitop2_b32 v3, 7, v22 bitop3:0x40
; %bb.439:                              ;   in Loop: Header=BB255_433 Depth=1
	s_or_b32 exec_lo, exec_lo, s25
	s_delay_alu instid0(VALU_DEP_1) | instskip(NEXT) | instid1(VALU_DEP_2)
	v_dual_lshlrev_b32 v19, 8, v20 :: v_dual_lshlrev_b32 v3, 7, v3
	v_lshl_add_u32 v10, v10, 10, 0x2000
	s_delay_alu instid0(VALU_DEP_2) | instskip(NEXT) | instid1(VALU_DEP_2)
	v_and_b32_e32 v19, 0x8000, v19
	v_and_b32_e32 v10, 0xfc00, v10
	s_delay_alu instid0(VALU_DEP_1)
	v_or3_b32 v3, v19, v10, v3
.LBB255_440:                            ;   in Loop: Header=BB255_433 Depth=1
	s_or_b32 exec_lo, exec_lo, s24
.LBB255_441:                            ;   in Loop: Header=BB255_433 Depth=1
	s_delay_alu instid0(SALU_CYCLE_1)
	s_or_b32 exec_lo, exec_lo, s23
.LBB255_442:                            ;   in Loop: Header=BB255_433 Depth=1
	s_delay_alu instid0(SALU_CYCLE_1) | instskip(SKIP_2) | instid1(VALU_DEP_1)
	s_or_b32 exec_lo, exec_lo, s0
	v_lshrrev_b16 v10, 8, v20
	s_mov_b32 s0, exec_lo
	v_cmpx_ne_u16_e32 0, v10
	s_cbranch_execz .LBB255_450
; %bb.443:                              ;   in Loop: Header=BB255_433 Depth=1
	v_bfrev_b32_e32 v1, 1
	s_mov_b32 s23, exec_lo
	v_cmpx_ne_u16_e32 0x80, v10
	s_cbranch_execz .LBB255_449
; %bb.444:                              ;   in Loop: Header=BB255_433 Depth=1
	v_and_b32_e32 v19, 0xffff, v10
	v_mov_b32_e32 v1, 0x7c010000
	s_mov_b32 s24, exec_lo
	s_delay_alu instid0(VALU_DEP_2) | instskip(NEXT) | instid1(VALU_DEP_1)
	v_and_b32_e32 v23, 0x7f, v19
	v_cmpx_ne_u32_e32 0x7f, v23
	s_cbranch_execz .LBB255_448
; %bb.445:                              ;   in Loop: Header=BB255_433 Depth=1
	v_and_b32_e32 v1, 7, v19
	v_lshrrev_b32_e32 v22, 3, v23
	s_mov_b32 s25, exec_lo
	v_cmpx_gt_u32_e32 8, v23
; %bb.446:                              ;   in Loop: Header=BB255_433 Depth=1
	s_delay_alu instid0(VALU_DEP_3) | instskip(NEXT) | instid1(VALU_DEP_1)
	v_clz_i32_u32_e32 v1, v1
	v_min_u32_e32 v1, 32, v1
	s_delay_alu instid0(VALU_DEP_1) | instskip(NEXT) | instid1(VALU_DEP_1)
	v_subrev_nc_u32_e32 v22, 28, v1
	v_lshlrev_b64_e32 v[24:25], v22, v[10:11]
	s_delay_alu instid0(VALU_DEP_1)
	v_dual_sub_nc_u32 v22, 29, v1 :: v_dual_bitop2_b32 v1, 7, v24 bitop3:0x40
; %bb.447:                              ;   in Loop: Header=BB255_433 Depth=1
	s_or_b32 exec_lo, exec_lo, s25
	s_delay_alu instid0(VALU_DEP_1) | instskip(NEXT) | instid1(VALU_DEP_2)
	v_dual_lshlrev_b32 v10, 8, v19 :: v_dual_lshlrev_b32 v1, 23, v1
	v_lshl_add_u32 v19, v22, 10, 0x2000
	s_delay_alu instid0(VALU_DEP_1) | instskip(NEXT) | instid1(VALU_DEP_1)
	v_and_or_b32 v10, 0x8000, v10, v19
	v_lshl_or_b32 v1, v10, 16, v1
.LBB255_448:                            ;   in Loop: Header=BB255_433 Depth=1
	s_or_b32 exec_lo, exec_lo, s24
.LBB255_449:                            ;   in Loop: Header=BB255_433 Depth=1
	s_delay_alu instid0(SALU_CYCLE_1)
	s_or_b32 exec_lo, exec_lo, s23
.LBB255_450:                            ;   in Loop: Header=BB255_433 Depth=1
	s_delay_alu instid0(SALU_CYCLE_1) | instskip(SKIP_3) | instid1(VALU_DEP_2)
	s_or_b32 exec_lo, exec_lo, s0
	v_dual_mov_b32 v19, 0 :: v_dual_lshrrev_b32 v10, 16, v20
	v_mov_b32_e32 v22, 0
	s_mov_b32 s0, exec_lo
	v_and_b32_e32 v23, 0xff, v10
	s_delay_alu instid0(VALU_DEP_1)
	v_cmpx_ne_u16_e32 0, v23
	s_cbranch_execz .LBB255_458
; %bb.451:                              ;   in Loop: Header=BB255_433 Depth=1
	v_mov_b32_e32 v22, 0x8000
	s_mov_b32 s23, exec_lo
	v_cmpx_ne_u16_e32 0x80, v23
	s_cbranch_execz .LBB255_457
; %bb.452:                              ;   in Loop: Header=BB255_433 Depth=1
	v_bfe_u32 v24, v20, 16, 7
	v_mov_b32_e32 v22, 0x7c01
	s_mov_b32 s24, exec_lo
	s_delay_alu instid0(VALU_DEP_2)
	v_cmpx_ne_u32_e32 0x7f, v24
	s_cbranch_execz .LBB255_456
; %bb.453:                              ;   in Loop: Header=BB255_433 Depth=1
	v_dual_lshrrev_b32 v23, 3, v24 :: v_dual_bitop2_b32 v22, 7, v10 bitop3:0x40
	s_mov_b32 s25, exec_lo
	v_cmpx_gt_u32_e32 8, v24
; %bb.454:                              ;   in Loop: Header=BB255_433 Depth=1
	s_delay_alu instid0(VALU_DEP_2) | instskip(NEXT) | instid1(VALU_DEP_1)
	v_clz_i32_u32_e32 v22, v22
	v_min_u32_e32 v24, 32, v22
	s_delay_alu instid0(VALU_DEP_1) | instskip(NEXT) | instid1(VALU_DEP_1)
	v_subrev_nc_u32_e32 v22, 28, v24
	v_lshlrev_b64_e32 v[22:23], v22, v[10:11]
	s_delay_alu instid0(VALU_DEP_1)
	v_dual_sub_nc_u32 v23, 29, v24 :: v_dual_bitop2_b32 v22, 7, v22 bitop3:0x40
; %bb.455:                              ;   in Loop: Header=BB255_433 Depth=1
	s_or_b32 exec_lo, exec_lo, s25
	v_lshlrev_b32_e32 v10, 8, v10
	s_delay_alu instid0(VALU_DEP_2) | instskip(NEXT) | instid1(VALU_DEP_3)
	v_lshl_add_u32 v23, v23, 10, 0x2000
	v_lshlrev_b32_e32 v22, 7, v22
	s_delay_alu instid0(VALU_DEP_3) | instskip(NEXT) | instid1(VALU_DEP_3)
	v_and_b32_e32 v10, 0x8000, v10
	v_and_b32_e32 v23, 0xfc00, v23
	s_delay_alu instid0(VALU_DEP_1)
	v_or3_b32 v22, v10, v23, v22
.LBB255_456:                            ;   in Loop: Header=BB255_433 Depth=1
	s_or_b32 exec_lo, exec_lo, s24
.LBB255_457:                            ;   in Loop: Header=BB255_433 Depth=1
	s_delay_alu instid0(SALU_CYCLE_1)
	s_or_b32 exec_lo, exec_lo, s23
.LBB255_458:                            ;   in Loop: Header=BB255_433 Depth=1
	s_delay_alu instid0(SALU_CYCLE_1) | instskip(NEXT) | instid1(SALU_CYCLE_1)
	s_or_b32 exec_lo, exec_lo, s0
	s_mov_b32 s0, exec_lo
	v_cmpx_lt_u32_e32 0xffffff, v20
	s_cbranch_execz .LBB255_466
; %bb.459:                              ;   in Loop: Header=BB255_433 Depth=1
	v_lshrrev_b32_e32 v10, 24, v20
	v_bfrev_b32_e32 v19, 1
	s_mov_b32 s23, exec_lo
	s_delay_alu instid0(VALU_DEP_2)
	v_cmpx_ne_u32_e32 0x80, v10
	s_cbranch_execz .LBB255_465
; %bb.460:                              ;   in Loop: Header=BB255_433 Depth=1
	v_and_b32_e32 v24, 0x7f, v10
	v_mov_b32_e32 v19, 0x7c010000
	s_mov_b32 s24, exec_lo
	s_delay_alu instid0(VALU_DEP_2)
	v_cmpx_ne_u32_e32 0x7f, v24
	s_cbranch_execz .LBB255_464
; %bb.461:                              ;   in Loop: Header=BB255_433 Depth=1
	v_dual_lshrrev_b32 v23, 3, v24 :: v_dual_bitop2_b32 v19, 7, v10 bitop3:0x40
	s_mov_b32 s25, exec_lo
	v_cmpx_gt_u32_e32 8, v24
; %bb.462:                              ;   in Loop: Header=BB255_433 Depth=1
	s_delay_alu instid0(VALU_DEP_2) | instskip(NEXT) | instid1(VALU_DEP_1)
	v_clz_i32_u32_e32 v19, v19
	v_min_u32_e32 v19, 32, v19
	s_delay_alu instid0(VALU_DEP_1) | instskip(NEXT) | instid1(VALU_DEP_1)
	v_subrev_nc_u32_e32 v23, 28, v19
	v_lshlrev_b64_e32 v[24:25], v23, v[10:11]
	s_delay_alu instid0(VALU_DEP_1)
	v_dual_sub_nc_u32 v23, 29, v19 :: v_dual_bitop2_b32 v19, 7, v24 bitop3:0x40
; %bb.463:                              ;   in Loop: Header=BB255_433 Depth=1
	s_or_b32 exec_lo, exec_lo, s25
	s_delay_alu instid0(VALU_DEP_1) | instskip(NEXT) | instid1(VALU_DEP_2)
	v_dual_lshlrev_b32 v10, 8, v10 :: v_dual_lshlrev_b32 v19, 23, v19
	v_lshl_add_u32 v23, v23, 10, 0x2000
	s_delay_alu instid0(VALU_DEP_1) | instskip(NEXT) | instid1(VALU_DEP_1)
	v_and_or_b32 v10, 0x8000, v10, v23
	v_lshl_or_b32 v19, v10, 16, v19
.LBB255_464:                            ;   in Loop: Header=BB255_433 Depth=1
	s_or_b32 exec_lo, exec_lo, s24
.LBB255_465:                            ;   in Loop: Header=BB255_433 Depth=1
	s_delay_alu instid0(SALU_CYCLE_1)
	s_or_b32 exec_lo, exec_lo, s23
.LBB255_466:                            ;   in Loop: Header=BB255_433 Depth=1
	s_delay_alu instid0(SALU_CYCLE_1) | instskip(SKIP_4) | instid1(VALU_DEP_3)
	s_or_b32 exec_lo, exec_lo, s0
	v_and_b32_e32 v25, 0xff, v21
	v_dual_mov_b32 v10, v21 :: v_dual_mov_b32 v24, 0
	v_mov_b32_e32 v23, 0
	s_mov_b32 s0, exec_lo
	v_cmpx_ne_u16_e32 0, v25
	s_cbranch_execz .LBB255_474
; %bb.467:                              ;   in Loop: Header=BB255_433 Depth=1
	v_mov_b32_e32 v23, 0x8000
	s_mov_b32 s23, exec_lo
	v_cmpx_ne_u16_e32 0x80, v25
	s_cbranch_execz .LBB255_473
; %bb.468:                              ;   in Loop: Header=BB255_433 Depth=1
	v_and_b32_e32 v26, 0x7f, v21
	v_mov_b32_e32 v23, 0x7c01
	s_mov_b32 s24, exec_lo
	s_delay_alu instid0(VALU_DEP_2)
	v_cmpx_ne_u32_e32 0x7f, v26
	s_cbranch_execz .LBB255_472
; %bb.469:                              ;   in Loop: Header=BB255_433 Depth=1
	v_dual_lshrrev_b32 v25, 3, v26 :: v_dual_bitop2_b32 v23, 7, v21 bitop3:0x40
	s_mov_b32 s25, exec_lo
	v_cmpx_gt_u32_e32 8, v26
; %bb.470:                              ;   in Loop: Header=BB255_433 Depth=1
	s_delay_alu instid0(VALU_DEP_2) | instskip(NEXT) | instid1(VALU_DEP_1)
	v_clz_i32_u32_e32 v23, v23
	v_min_u32_e32 v23, 32, v23
	s_delay_alu instid0(VALU_DEP_1) | instskip(NEXT) | instid1(VALU_DEP_1)
	v_subrev_nc_u32_e32 v25, 28, v23
	v_lshlrev_b64_e32 v[36:37], v25, v[10:11]
	s_delay_alu instid0(VALU_DEP_1)
	v_dual_sub_nc_u32 v25, 29, v23 :: v_dual_bitop2_b32 v23, 7, v36 bitop3:0x40
; %bb.471:                              ;   in Loop: Header=BB255_433 Depth=1
	s_or_b32 exec_lo, exec_lo, s25
	s_delay_alu instid0(VALU_DEP_1) | instskip(NEXT) | instid1(VALU_DEP_2)
	v_dual_lshlrev_b32 v26, 8, v21 :: v_dual_lshlrev_b32 v23, 7, v23
	v_lshl_add_u32 v25, v25, 10, 0x2000
	s_delay_alu instid0(VALU_DEP_2) | instskip(NEXT) | instid1(VALU_DEP_2)
	v_and_b32_e32 v26, 0x8000, v26
	v_and_b32_e32 v25, 0xfc00, v25
	s_delay_alu instid0(VALU_DEP_1)
	v_or3_b32 v23, v26, v25, v23
.LBB255_472:                            ;   in Loop: Header=BB255_433 Depth=1
	s_or_b32 exec_lo, exec_lo, s24
.LBB255_473:                            ;   in Loop: Header=BB255_433 Depth=1
	s_delay_alu instid0(SALU_CYCLE_1)
	s_or_b32 exec_lo, exec_lo, s23
.LBB255_474:                            ;   in Loop: Header=BB255_433 Depth=1
	s_delay_alu instid0(SALU_CYCLE_1) | instskip(SKIP_3) | instid1(VALU_DEP_2)
	s_or_b32 exec_lo, exec_lo, s0
	v_lshrrev_b16 v10, 8, v10
	v_mov_b32_e32 v25, 0
	s_mov_b32 s0, exec_lo
	v_cmpx_ne_u16_e32 0, v10
	s_cbranch_execz .LBB255_482
; %bb.475:                              ;   in Loop: Header=BB255_433 Depth=1
	v_bfrev_b32_e32 v25, 1
	s_mov_b32 s23, exec_lo
	v_cmpx_ne_u16_e32 0x80, v10
	s_cbranch_execz .LBB255_481
; %bb.476:                              ;   in Loop: Header=BB255_433 Depth=1
	v_and_b32_e32 v26, 0xffff, v10
	v_mov_b32_e32 v25, 0x7c010000
	s_mov_b32 s24, exec_lo
	s_delay_alu instid0(VALU_DEP_2) | instskip(NEXT) | instid1(VALU_DEP_1)
	v_and_b32_e32 v36, 0x7f, v26
	v_cmpx_ne_u32_e32 0x7f, v36
	s_cbranch_execz .LBB255_480
; %bb.477:                              ;   in Loop: Header=BB255_433 Depth=1
	v_dual_lshrrev_b32 v35, 3, v36 :: v_dual_bitop2_b32 v25, 7, v26 bitop3:0x40
	s_mov_b32 s25, exec_lo
	v_cmpx_gt_u32_e32 8, v36
; %bb.478:                              ;   in Loop: Header=BB255_433 Depth=1
	s_delay_alu instid0(VALU_DEP_2) | instskip(NEXT) | instid1(VALU_DEP_1)
	v_clz_i32_u32_e32 v25, v25
	v_min_u32_e32 v25, 32, v25
	s_delay_alu instid0(VALU_DEP_1) | instskip(NEXT) | instid1(VALU_DEP_1)
	v_subrev_nc_u32_e32 v35, 28, v25
	v_lshlrev_b64_e32 v[36:37], v35, v[10:11]
	s_delay_alu instid0(VALU_DEP_1)
	v_dual_sub_nc_u32 v35, 29, v25 :: v_dual_bitop2_b32 v25, 7, v36 bitop3:0x40
; %bb.479:                              ;   in Loop: Header=BB255_433 Depth=1
	s_or_b32 exec_lo, exec_lo, s25
	s_delay_alu instid0(VALU_DEP_1) | instskip(NEXT) | instid1(VALU_DEP_2)
	v_dual_lshlrev_b32 v10, 8, v26 :: v_dual_lshlrev_b32 v25, 23, v25
	v_lshl_add_u32 v26, v35, 10, 0x2000
	s_delay_alu instid0(VALU_DEP_1) | instskip(NEXT) | instid1(VALU_DEP_1)
	v_and_or_b32 v10, 0x8000, v10, v26
	v_lshl_or_b32 v25, v10, 16, v25
.LBB255_480:                            ;   in Loop: Header=BB255_433 Depth=1
	s_or_b32 exec_lo, exec_lo, s24
.LBB255_481:                            ;   in Loop: Header=BB255_433 Depth=1
	s_delay_alu instid0(SALU_CYCLE_1)
	s_or_b32 exec_lo, exec_lo, s23
.LBB255_482:                            ;   in Loop: Header=BB255_433 Depth=1
	s_delay_alu instid0(SALU_CYCLE_1) | instskip(SKIP_2) | instid1(VALU_DEP_1)
	s_or_b32 exec_lo, exec_lo, s0
	v_lshrrev_b32_e32 v10, 16, v21
	s_mov_b32 s0, exec_lo
	v_and_b32_e32 v26, 0xff, v10
	s_delay_alu instid0(VALU_DEP_1)
	v_cmpx_ne_u16_e32 0, v26
	s_cbranch_execz .LBB255_490
; %bb.483:                              ;   in Loop: Header=BB255_433 Depth=1
	v_mov_b32_e32 v24, 0x8000
	s_mov_b32 s23, exec_lo
	v_cmpx_ne_u16_e32 0x80, v26
	s_cbranch_execz .LBB255_489
; %bb.484:                              ;   in Loop: Header=BB255_433 Depth=1
	v_bfe_u32 v35, v21, 16, 7
	v_mov_b32_e32 v24, 0x7c01
	s_mov_b32 s24, exec_lo
	s_delay_alu instid0(VALU_DEP_2)
	v_cmpx_ne_u32_e32 0x7f, v35
	s_cbranch_execz .LBB255_488
; %bb.485:                              ;   in Loop: Header=BB255_433 Depth=1
	v_dual_lshrrev_b32 v26, 3, v35 :: v_dual_bitop2_b32 v24, 7, v10 bitop3:0x40
	s_mov_b32 s25, exec_lo
	v_cmpx_gt_u32_e32 8, v35
; %bb.486:                              ;   in Loop: Header=BB255_433 Depth=1
	s_delay_alu instid0(VALU_DEP_2) | instskip(NEXT) | instid1(VALU_DEP_1)
	v_clz_i32_u32_e32 v24, v24
	v_min_u32_e32 v24, 32, v24
	s_delay_alu instid0(VALU_DEP_1) | instskip(NEXT) | instid1(VALU_DEP_1)
	v_subrev_nc_u32_e32 v26, 28, v24
	v_lshlrev_b64_e32 v[36:37], v26, v[10:11]
	v_sub_nc_u32_e32 v26, 29, v24
	s_delay_alu instid0(VALU_DEP_2)
	v_and_b32_e32 v24, 7, v36
; %bb.487:                              ;   in Loop: Header=BB255_433 Depth=1
	s_or_b32 exec_lo, exec_lo, s25
	s_delay_alu instid0(VALU_DEP_1) | instskip(NEXT) | instid1(VALU_DEP_3)
	v_dual_lshlrev_b32 v10, 8, v10 :: v_dual_lshlrev_b32 v24, 7, v24
	v_lshl_add_u32 v26, v26, 10, 0x2000
	s_delay_alu instid0(VALU_DEP_2) | instskip(NEXT) | instid1(VALU_DEP_2)
	v_and_b32_e32 v10, 0x8000, v10
	v_and_b32_e32 v26, 0xfc00, v26
	s_delay_alu instid0(VALU_DEP_1)
	v_or3_b32 v24, v10, v26, v24
.LBB255_488:                            ;   in Loop: Header=BB255_433 Depth=1
	s_or_b32 exec_lo, exec_lo, s24
.LBB255_489:                            ;   in Loop: Header=BB255_433 Depth=1
	s_delay_alu instid0(SALU_CYCLE_1)
	s_or_b32 exec_lo, exec_lo, s23
.LBB255_490:                            ;   in Loop: Header=BB255_433 Depth=1
	s_delay_alu instid0(SALU_CYCLE_1)
	s_or_b32 exec_lo, exec_lo, s0
	v_cmp_lt_u64_e32 vcc_lo, s[8:9], v[20:21]
	v_mov_b32_e32 v20, 0
	s_and_saveexec_b32 s0, vcc_lo
	s_cbranch_execz .LBB255_498
; %bb.491:                              ;   in Loop: Header=BB255_433 Depth=1
	v_lshrrev_b32_e32 v10, 24, v21
	v_bfrev_b32_e32 v20, 1
	s_mov_b32 s23, exec_lo
	s_delay_alu instid0(VALU_DEP_2)
	v_cmpx_ne_u32_e32 0x80, v10
	s_cbranch_execz .LBB255_497
; %bb.492:                              ;   in Loop: Header=BB255_433 Depth=1
	v_and_b32_e32 v26, 0x7f, v10
	v_mov_b32_e32 v20, 0x7c010000
	s_mov_b32 s24, exec_lo
	s_delay_alu instid0(VALU_DEP_2)
	v_cmpx_ne_u32_e32 0x7f, v26
	s_cbranch_execz .LBB255_496
; %bb.493:                              ;   in Loop: Header=BB255_433 Depth=1
	v_and_b32_e32 v20, 7, v10
	v_lshrrev_b32_e32 v21, 3, v26
	s_mov_b32 s25, exec_lo
	v_cmpx_gt_u32_e32 8, v26
; %bb.494:                              ;   in Loop: Header=BB255_433 Depth=1
	s_delay_alu instid0(VALU_DEP_3) | instskip(NEXT) | instid1(VALU_DEP_1)
	v_clz_i32_u32_e32 v20, v20
	v_min_u32_e32 v26, 32, v20
	s_delay_alu instid0(VALU_DEP_1) | instskip(NEXT) | instid1(VALU_DEP_1)
	v_subrev_nc_u32_e32 v20, 28, v26
	v_lshlrev_b64_e32 v[20:21], v20, v[10:11]
	s_delay_alu instid0(VALU_DEP_1)
	v_dual_sub_nc_u32 v21, 29, v26 :: v_dual_bitop2_b32 v20, 7, v20 bitop3:0x40
; %bb.495:                              ;   in Loop: Header=BB255_433 Depth=1
	s_or_b32 exec_lo, exec_lo, s25
	s_delay_alu instid0(VALU_DEP_1) | instskip(NEXT) | instid1(VALU_DEP_2)
	v_dual_lshlrev_b32 v10, 8, v10 :: v_dual_lshlrev_b32 v20, 23, v20
	v_lshl_add_u32 v21, v21, 10, 0x2000
	s_delay_alu instid0(VALU_DEP_1) | instskip(NEXT) | instid1(VALU_DEP_1)
	v_and_or_b32 v10, 0x8000, v10, v21
	v_lshl_or_b32 v20, v10, 16, v20
.LBB255_496:                            ;   in Loop: Header=BB255_433 Depth=1
	s_or_b32 exec_lo, exec_lo, s24
.LBB255_497:                            ;   in Loop: Header=BB255_433 Depth=1
	s_delay_alu instid0(SALU_CYCLE_1)
	s_or_b32 exec_lo, exec_lo, s23
.LBB255_498:                            ;   in Loop: Header=BB255_433 Depth=1
	s_delay_alu instid0(SALU_CYCLE_1) | instskip(SKIP_3) | instid1(VALU_DEP_3)
	s_or_b32 exec_lo, exec_lo, s0
	v_dual_lshrrev_b32 v10, 16, v1 :: v_dual_lshrrev_b32 v21, 16, v19
	v_or_b32_e32 v1, v1, v3
	v_dual_lshrrev_b32 v22, 16, v20 :: v_dual_bitop2_b32 v3, v19, v22 bitop3:0x54
	v_cvt_f32_f16_e32 v37, v10
	s_delay_alu instid0(VALU_DEP_4)
	v_cvt_f32_f16_e32 v36, v21
	v_lshrrev_b32_e32 v19, 16, v25
	v_cvt_f32_f16_e32 v21, v1
	v_cvt_f32_f16_e32 v22, v22
	v_cmp_eq_u32_e32 vcc_lo, s28, v34
	v_add_nc_u32_e32 v35, v32, v2
	v_pk_mul_f32 v[36:37], v[18:19], v[36:37] op_sel_hi:[0,1]
	s_delay_alu instid0(VALU_DEP_2) | instskip(NEXT) | instid1(VALU_DEP_2)
	v_or_b32_e32 v41, 1, v35
	v_cvt_pk_f16_f32 v1, v36, v37
	v_or_b32_e32 v10, v20, v24
	v_cvt_f32_f16_e32 v20, v3
	v_or_b32_e32 v3, v25, v23
	v_cvt_f32_f16_e32 v23, v19
	;; [unrolled: 2-line block ×3, first 2 shown]
	v_pk_mul_f32 v[20:21], v[18:19], v[20:21] op_sel_hi:[0,1]
	v_cvt_f32_f16_e32 v25, v3
	v_pk_mul_f32 v[36:37], v[18:19], v[22:23] op_sel_hi:[0,1]
	v_and_b32_e32 v23, 0xffff0000, v1
	v_or_b32_e32 v39, 4, v35
	v_cvt_pk_f16_f32 v3, v20, v21
	v_pk_mul_f32 v[18:19], v[18:19], v[24:25] op_sel_hi:[0,1]
	v_cvt_pk_f16_f32 v10, v36, v37
	v_dual_lshlrev_b32 v24, 16, v1 :: v_dual_bitop2_b32 v38, 6, v35 bitop3:0x54
	s_delay_alu instid0(VALU_DEP_4) | instskip(NEXT) | instid1(VALU_DEP_4)
	v_lshrrev_b32_e32 v25, 16, v3
	v_cvt_pk_f16_f32 v18, v18, v19
	v_and_b32_e32 v26, 0xffff, v3
	v_and_b32_e32 v1, 0xffff0000, v10
	s_delay_alu instid0(VALU_DEP_4) | instskip(NEXT) | instid1(VALU_DEP_4)
	v_dual_lshlrev_b32 v10, 16, v10 :: v_dual_bitop2_b32 v19, v23, v25 bitop3:0x54
	v_lshrrev_b32_e32 v21, 16, v18
	v_and_b32_e32 v22, 0xffff, v18
	v_dual_add_nc_u32 v42, 2, v35 :: v_dual_bitop2_b32 v20, v24, v26 bitop3:0x54
	v_or_b32_e32 v37, 5, v35
	s_delay_alu instid0(VALU_DEP_4) | instskip(NEXT) | instid1(VALU_DEP_4)
	v_or_b32_e32 v3, v1, v21
	v_or_b32_e32 v18, v10, v22
	;; [unrolled: 1-line block ×3, first 2 shown]
	s_and_saveexec_b32 s23, vcc_lo
	s_cbranch_execz .LBB255_500
; %bb.499:                              ;   in Loop: Header=BB255_433 Depth=1
	v_cmp_gt_i32_e64 s0, s18, v35
	s_delay_alu instid0(VALU_DEP_1) | instskip(SKIP_1) | instid1(VALU_DEP_1)
	v_cndmask_b32_e64 v3, 0, v25, s0
	v_cmp_gt_i32_e64 s0, s34, v42
	v_cndmask_b32_e64 v18, 0, v26, s0
	v_cmp_gt_i32_e64 s0, s18, v41
	s_delay_alu instid0(VALU_DEP_1) | instskip(SKIP_1) | instid1(VALU_DEP_1)
	v_cndmask_b32_e64 v19, 0, v23, s0
	v_cmp_gt_i32_e64 s0, s34, v40
	v_cndmask_b32_e64 v20, 0, v24, s0
	v_cmp_gt_i32_e64 s0, s18, v39
	s_delay_alu instid0(VALU_DEP_4) | instskip(NEXT) | instid1(VALU_DEP_2)
	v_or_b32_e32 v19, v19, v3
	v_dual_cndmask_b32 v21, 0, v21, s0 :: v_dual_bitop2_b32 v20, v20, v18 bitop3:0x54
	v_cmp_gt_i32_e64 s0, s34, v38
	s_delay_alu instid0(VALU_DEP_1) | instskip(SKIP_1) | instid1(VALU_DEP_1)
	v_cndmask_b32_e64 v22, 0, v22, s0
	v_cmp_gt_i32_e64 s0, s18, v37
	v_cndmask_b32_e64 v1, 0, v1, s0
	v_cmp_gt_i32_e64 s0, s34, v36
	s_delay_alu instid0(VALU_DEP_1) | instskip(NEXT) | instid1(VALU_DEP_1)
	v_dual_cndmask_b32 v10, 0, v10, s0 :: v_dual_bitop2_b32 v3, v1, v21 bitop3:0x54
	v_or_b32_e32 v18, v10, v22
.LBB255_500:                            ;   in Loop: Header=BB255_433 Depth=1
	s_or_b32 exec_lo, exec_lo, s23
	v_and_b32_e32 v1, 0xffff, v46
	v_and_b32_e32 v10, 0xffff, v48
	;; [unrolled: 1-line block ×4, first 2 shown]
	s_mov_b32 s23, exec_lo
	v_lshl_or_b32 v50, v43, 16, v1
	;;#ASMSTART
	v_pk_mul_f16 v1, v50, v19;

	;;#ASMEND
	v_lshl_or_b32 v48, v44, 16, v10
	v_lshl_or_b32 v46, v45, 16, v21
	v_lshl_or_b32 v45, v47, 16, v22
	;;#ASMSTART
	v_pk_mul_f16 v10, v48, v20;

	;;#ASMEND
	;;#ASMSTART
	v_pk_mul_f16 v3, v46, v3;

	;;#ASMEND
	;; [unrolled: 4-line block ×3, first 2 shown]
	;;#ASMSTART
	v_pk_add_f16 v1, v1, v10;

	;;#ASMEND
	;;#ASMSTART
	v_pk_add_f16 v1, v1, v3;

	;;#ASMEND
	;; [unrolled: 4-line block ×3, first 2 shown]
	v_and_b32_e32 v3, 0xffff, v1
	v_lshrrev_b32_e32 v1, 16, v1
	;;#ASMSTART
	v_cvt_f32_f16 v47, v3;
	;;#ASMEND
	v_mov_b32_e32 v3, 0
	;;#ASMSTART
	v_cvt_f32_f16 v49, v1;
	;;#ASMEND
	global_load_b64 v[20:21], v[16:17], off offset:256
	v_mov_b32_e32 v1, 0
	global_load_b32 v18, v1, s[10:11]
	s_wait_loadcnt 0x1
	v_and_b32_e32 v10, 0xff, v20
	s_wait_xcnt 0x0
	s_delay_alu instid0(VALU_DEP_1)
	v_cmpx_ne_u16_e32 0, v10
	s_cbranch_execz .LBB255_508
; %bb.501:                              ;   in Loop: Header=BB255_433 Depth=1
	v_mov_b32_e32 v3, 0x8000
	s_mov_b32 s24, exec_lo
	v_cmpx_ne_u16_e32 0x80, v10
	s_cbranch_execz .LBB255_507
; %bb.502:                              ;   in Loop: Header=BB255_433 Depth=1
	v_and_b32_e32 v19, 0x7f, v20
	v_mov_b32_e32 v3, 0x7c01
	s_mov_b32 s25, exec_lo
	s_delay_alu instid0(VALU_DEP_2)
	v_cmpx_ne_u32_e32 0x7f, v19
	s_cbranch_execz .LBB255_506
; %bb.503:                              ;   in Loop: Header=BB255_433 Depth=1
	v_dual_lshrrev_b32 v10, 3, v19 :: v_dual_bitop2_b32 v3, 7, v20 bitop3:0x40
	s_mov_b32 s26, exec_lo
	v_cmpx_gt_u32_e32 8, v19
; %bb.504:                              ;   in Loop: Header=BB255_433 Depth=1
	s_delay_alu instid0(VALU_DEP_2) | instskip(NEXT) | instid1(VALU_DEP_1)
	v_clz_i32_u32_e32 v3, v3
	v_min_u32_e32 v3, 32, v3
	s_delay_alu instid0(VALU_DEP_1) | instskip(NEXT) | instid1(VALU_DEP_1)
	v_subrev_nc_u32_e32 v10, 28, v3
	v_lshlrev_b64_e32 v[22:23], v10, v[20:21]
	s_delay_alu instid0(VALU_DEP_1)
	v_dual_sub_nc_u32 v10, 29, v3 :: v_dual_bitop2_b32 v3, 7, v22 bitop3:0x40
; %bb.505:                              ;   in Loop: Header=BB255_433 Depth=1
	s_or_b32 exec_lo, exec_lo, s26
	s_delay_alu instid0(VALU_DEP_1) | instskip(NEXT) | instid1(VALU_DEP_2)
	v_dual_lshlrev_b32 v19, 8, v20 :: v_dual_lshlrev_b32 v3, 7, v3
	v_lshl_add_u32 v10, v10, 10, 0x2000
	s_delay_alu instid0(VALU_DEP_2) | instskip(NEXT) | instid1(VALU_DEP_2)
	v_and_b32_e32 v19, 0x8000, v19
	v_and_b32_e32 v10, 0xfc00, v10
	s_delay_alu instid0(VALU_DEP_1)
	v_or3_b32 v3, v19, v10, v3
.LBB255_506:                            ;   in Loop: Header=BB255_433 Depth=1
	s_or_b32 exec_lo, exec_lo, s25
.LBB255_507:                            ;   in Loop: Header=BB255_433 Depth=1
	s_delay_alu instid0(SALU_CYCLE_1)
	s_or_b32 exec_lo, exec_lo, s24
.LBB255_508:                            ;   in Loop: Header=BB255_433 Depth=1
	s_delay_alu instid0(SALU_CYCLE_1) | instskip(SKIP_2) | instid1(VALU_DEP_1)
	s_or_b32 exec_lo, exec_lo, s23
	v_lshrrev_b16 v10, 8, v20
	s_mov_b32 s23, exec_lo
	v_cmpx_ne_u16_e32 0, v10
	s_cbranch_execz .LBB255_516
; %bb.509:                              ;   in Loop: Header=BB255_433 Depth=1
	v_bfrev_b32_e32 v1, 1
	s_mov_b32 s24, exec_lo
	v_cmpx_ne_u16_e32 0x80, v10
	s_cbranch_execz .LBB255_515
; %bb.510:                              ;   in Loop: Header=BB255_433 Depth=1
	v_and_b32_e32 v19, 0xffff, v10
	v_mov_b32_e32 v1, 0x7c010000
	s_mov_b32 s25, exec_lo
	s_delay_alu instid0(VALU_DEP_2) | instskip(NEXT) | instid1(VALU_DEP_1)
	v_and_b32_e32 v23, 0x7f, v19
	v_cmpx_ne_u32_e32 0x7f, v23
	s_cbranch_execz .LBB255_514
; %bb.511:                              ;   in Loop: Header=BB255_433 Depth=1
	v_and_b32_e32 v1, 7, v19
	v_lshrrev_b32_e32 v22, 3, v23
	s_mov_b32 s26, exec_lo
	v_cmpx_gt_u32_e32 8, v23
; %bb.512:                              ;   in Loop: Header=BB255_433 Depth=1
	s_delay_alu instid0(VALU_DEP_3) | instskip(NEXT) | instid1(VALU_DEP_1)
	v_clz_i32_u32_e32 v1, v1
	v_min_u32_e32 v1, 32, v1
	s_delay_alu instid0(VALU_DEP_1) | instskip(NEXT) | instid1(VALU_DEP_1)
	v_subrev_nc_u32_e32 v22, 28, v1
	v_lshlrev_b64_e32 v[24:25], v22, v[10:11]
	s_delay_alu instid0(VALU_DEP_1)
	v_dual_sub_nc_u32 v22, 29, v1 :: v_dual_bitop2_b32 v1, 7, v24 bitop3:0x40
; %bb.513:                              ;   in Loop: Header=BB255_433 Depth=1
	s_or_b32 exec_lo, exec_lo, s26
	s_delay_alu instid0(VALU_DEP_1) | instskip(NEXT) | instid1(VALU_DEP_2)
	v_dual_lshlrev_b32 v10, 8, v19 :: v_dual_lshlrev_b32 v1, 23, v1
	v_lshl_add_u32 v19, v22, 10, 0x2000
	s_delay_alu instid0(VALU_DEP_1) | instskip(NEXT) | instid1(VALU_DEP_1)
	v_and_or_b32 v10, 0x8000, v10, v19
	v_lshl_or_b32 v1, v10, 16, v1
.LBB255_514:                            ;   in Loop: Header=BB255_433 Depth=1
	s_or_b32 exec_lo, exec_lo, s25
.LBB255_515:                            ;   in Loop: Header=BB255_433 Depth=1
	s_delay_alu instid0(SALU_CYCLE_1)
	s_or_b32 exec_lo, exec_lo, s24
.LBB255_516:                            ;   in Loop: Header=BB255_433 Depth=1
	s_delay_alu instid0(SALU_CYCLE_1) | instskip(SKIP_3) | instid1(VALU_DEP_2)
	s_or_b32 exec_lo, exec_lo, s23
	v_dual_mov_b32 v19, 0 :: v_dual_lshrrev_b32 v10, 16, v20
	v_mov_b32_e32 v22, 0
	s_mov_b32 s23, exec_lo
	v_and_b32_e32 v23, 0xff, v10
	s_delay_alu instid0(VALU_DEP_1)
	v_cmpx_ne_u16_e32 0, v23
	s_cbranch_execz .LBB255_524
; %bb.517:                              ;   in Loop: Header=BB255_433 Depth=1
	v_mov_b32_e32 v22, 0x8000
	s_mov_b32 s24, exec_lo
	v_cmpx_ne_u16_e32 0x80, v23
	s_cbranch_execz .LBB255_523
; %bb.518:                              ;   in Loop: Header=BB255_433 Depth=1
	v_bfe_u32 v24, v20, 16, 7
	v_mov_b32_e32 v22, 0x7c01
	s_mov_b32 s25, exec_lo
	s_delay_alu instid0(VALU_DEP_2)
	v_cmpx_ne_u32_e32 0x7f, v24
	s_cbranch_execz .LBB255_522
; %bb.519:                              ;   in Loop: Header=BB255_433 Depth=1
	v_dual_lshrrev_b32 v23, 3, v24 :: v_dual_bitop2_b32 v22, 7, v10 bitop3:0x40
	s_mov_b32 s26, exec_lo
	v_cmpx_gt_u32_e32 8, v24
; %bb.520:                              ;   in Loop: Header=BB255_433 Depth=1
	s_delay_alu instid0(VALU_DEP_2) | instskip(NEXT) | instid1(VALU_DEP_1)
	v_clz_i32_u32_e32 v22, v22
	v_min_u32_e32 v24, 32, v22
	s_delay_alu instid0(VALU_DEP_1) | instskip(NEXT) | instid1(VALU_DEP_1)
	v_subrev_nc_u32_e32 v22, 28, v24
	v_lshlrev_b64_e32 v[22:23], v22, v[10:11]
	s_delay_alu instid0(VALU_DEP_1)
	v_dual_sub_nc_u32 v23, 29, v24 :: v_dual_bitop2_b32 v22, 7, v22 bitop3:0x40
; %bb.521:                              ;   in Loop: Header=BB255_433 Depth=1
	s_or_b32 exec_lo, exec_lo, s26
	v_lshlrev_b32_e32 v10, 8, v10
	s_delay_alu instid0(VALU_DEP_2) | instskip(NEXT) | instid1(VALU_DEP_3)
	v_lshl_add_u32 v23, v23, 10, 0x2000
	v_lshlrev_b32_e32 v22, 7, v22
	s_delay_alu instid0(VALU_DEP_3) | instskip(NEXT) | instid1(VALU_DEP_3)
	v_and_b32_e32 v10, 0x8000, v10
	v_and_b32_e32 v23, 0xfc00, v23
	s_delay_alu instid0(VALU_DEP_1)
	v_or3_b32 v22, v10, v23, v22
.LBB255_522:                            ;   in Loop: Header=BB255_433 Depth=1
	s_or_b32 exec_lo, exec_lo, s25
.LBB255_523:                            ;   in Loop: Header=BB255_433 Depth=1
	s_delay_alu instid0(SALU_CYCLE_1)
	s_or_b32 exec_lo, exec_lo, s24
.LBB255_524:                            ;   in Loop: Header=BB255_433 Depth=1
	s_delay_alu instid0(SALU_CYCLE_1) | instskip(NEXT) | instid1(SALU_CYCLE_1)
	s_or_b32 exec_lo, exec_lo, s23
	s_mov_b32 s23, exec_lo
	v_cmpx_lt_u32_e32 0xffffff, v20
	s_cbranch_execz .LBB255_532
; %bb.525:                              ;   in Loop: Header=BB255_433 Depth=1
	v_lshrrev_b32_e32 v10, 24, v20
	v_bfrev_b32_e32 v19, 1
	s_mov_b32 s24, exec_lo
	s_delay_alu instid0(VALU_DEP_2)
	v_cmpx_ne_u32_e32 0x80, v10
	s_cbranch_execz .LBB255_531
; %bb.526:                              ;   in Loop: Header=BB255_433 Depth=1
	v_and_b32_e32 v24, 0x7f, v10
	v_mov_b32_e32 v19, 0x7c010000
	s_mov_b32 s25, exec_lo
	s_delay_alu instid0(VALU_DEP_2)
	v_cmpx_ne_u32_e32 0x7f, v24
	s_cbranch_execz .LBB255_530
; %bb.527:                              ;   in Loop: Header=BB255_433 Depth=1
	v_dual_lshrrev_b32 v23, 3, v24 :: v_dual_bitop2_b32 v19, 7, v10 bitop3:0x40
	s_mov_b32 s26, exec_lo
	v_cmpx_gt_u32_e32 8, v24
; %bb.528:                              ;   in Loop: Header=BB255_433 Depth=1
	s_delay_alu instid0(VALU_DEP_2) | instskip(NEXT) | instid1(VALU_DEP_1)
	v_clz_i32_u32_e32 v19, v19
	v_min_u32_e32 v19, 32, v19
	s_delay_alu instid0(VALU_DEP_1) | instskip(NEXT) | instid1(VALU_DEP_1)
	v_subrev_nc_u32_e32 v23, 28, v19
	v_lshlrev_b64_e32 v[24:25], v23, v[10:11]
	s_delay_alu instid0(VALU_DEP_1)
	v_dual_sub_nc_u32 v23, 29, v19 :: v_dual_bitop2_b32 v19, 7, v24 bitop3:0x40
; %bb.529:                              ;   in Loop: Header=BB255_433 Depth=1
	s_or_b32 exec_lo, exec_lo, s26
	s_delay_alu instid0(VALU_DEP_1) | instskip(NEXT) | instid1(VALU_DEP_2)
	v_dual_lshlrev_b32 v10, 8, v10 :: v_dual_lshlrev_b32 v19, 23, v19
	v_lshl_add_u32 v23, v23, 10, 0x2000
	s_delay_alu instid0(VALU_DEP_1) | instskip(NEXT) | instid1(VALU_DEP_1)
	v_and_or_b32 v10, 0x8000, v10, v23
	v_lshl_or_b32 v19, v10, 16, v19
.LBB255_530:                            ;   in Loop: Header=BB255_433 Depth=1
	s_or_b32 exec_lo, exec_lo, s25
.LBB255_531:                            ;   in Loop: Header=BB255_433 Depth=1
	s_delay_alu instid0(SALU_CYCLE_1)
	s_or_b32 exec_lo, exec_lo, s24
.LBB255_532:                            ;   in Loop: Header=BB255_433 Depth=1
	s_delay_alu instid0(SALU_CYCLE_1) | instskip(SKIP_4) | instid1(VALU_DEP_3)
	s_or_b32 exec_lo, exec_lo, s23
	v_and_b32_e32 v25, 0xff, v21
	v_dual_mov_b32 v10, v21 :: v_dual_mov_b32 v24, 0
	v_mov_b32_e32 v23, 0
	s_mov_b32 s23, exec_lo
	v_cmpx_ne_u16_e32 0, v25
	s_cbranch_execz .LBB255_540
; %bb.533:                              ;   in Loop: Header=BB255_433 Depth=1
	v_mov_b32_e32 v23, 0x8000
	s_mov_b32 s24, exec_lo
	v_cmpx_ne_u16_e32 0x80, v25
	s_cbranch_execz .LBB255_539
; %bb.534:                              ;   in Loop: Header=BB255_433 Depth=1
	v_and_b32_e32 v26, 0x7f, v21
	v_mov_b32_e32 v23, 0x7c01
	s_mov_b32 s25, exec_lo
	s_delay_alu instid0(VALU_DEP_2)
	v_cmpx_ne_u32_e32 0x7f, v26
	s_cbranch_execz .LBB255_538
; %bb.535:                              ;   in Loop: Header=BB255_433 Depth=1
	v_dual_lshrrev_b32 v25, 3, v26 :: v_dual_bitop2_b32 v23, 7, v21 bitop3:0x40
	s_mov_b32 s26, exec_lo
	v_cmpx_gt_u32_e32 8, v26
; %bb.536:                              ;   in Loop: Header=BB255_433 Depth=1
	s_delay_alu instid0(VALU_DEP_2) | instskip(NEXT) | instid1(VALU_DEP_1)
	v_clz_i32_u32_e32 v23, v23
	v_min_u32_e32 v23, 32, v23
	s_delay_alu instid0(VALU_DEP_1) | instskip(NEXT) | instid1(VALU_DEP_1)
	v_subrev_nc_u32_e32 v25, 28, v23
	v_lshlrev_b64_e32 v[52:53], v25, v[10:11]
	s_delay_alu instid0(VALU_DEP_1)
	v_dual_sub_nc_u32 v25, 29, v23 :: v_dual_bitop2_b32 v23, 7, v52 bitop3:0x40
; %bb.537:                              ;   in Loop: Header=BB255_433 Depth=1
	s_or_b32 exec_lo, exec_lo, s26
	s_delay_alu instid0(VALU_DEP_1) | instskip(NEXT) | instid1(VALU_DEP_2)
	v_dual_lshlrev_b32 v26, 8, v21 :: v_dual_lshlrev_b32 v23, 7, v23
	v_lshl_add_u32 v25, v25, 10, 0x2000
	s_delay_alu instid0(VALU_DEP_2) | instskip(NEXT) | instid1(VALU_DEP_2)
	v_and_b32_e32 v26, 0x8000, v26
	v_and_b32_e32 v25, 0xfc00, v25
	s_delay_alu instid0(VALU_DEP_1)
	v_or3_b32 v23, v26, v25, v23
.LBB255_538:                            ;   in Loop: Header=BB255_433 Depth=1
	s_or_b32 exec_lo, exec_lo, s25
.LBB255_539:                            ;   in Loop: Header=BB255_433 Depth=1
	s_delay_alu instid0(SALU_CYCLE_1)
	s_or_b32 exec_lo, exec_lo, s24
.LBB255_540:                            ;   in Loop: Header=BB255_433 Depth=1
	s_delay_alu instid0(SALU_CYCLE_1) | instskip(SKIP_3) | instid1(VALU_DEP_2)
	s_or_b32 exec_lo, exec_lo, s23
	v_lshrrev_b16 v10, 8, v10
	v_mov_b32_e32 v25, 0
	s_mov_b32 s23, exec_lo
	v_cmpx_ne_u16_e32 0, v10
	s_cbranch_execz .LBB255_548
; %bb.541:                              ;   in Loop: Header=BB255_433 Depth=1
	v_bfrev_b32_e32 v25, 1
	s_mov_b32 s24, exec_lo
	v_cmpx_ne_u16_e32 0x80, v10
	s_cbranch_execz .LBB255_547
; %bb.542:                              ;   in Loop: Header=BB255_433 Depth=1
	v_and_b32_e32 v26, 0xffff, v10
	v_mov_b32_e32 v25, 0x7c010000
	s_mov_b32 s25, exec_lo
	s_delay_alu instid0(VALU_DEP_2) | instskip(NEXT) | instid1(VALU_DEP_1)
	v_and_b32_e32 v44, 0x7f, v26
	v_cmpx_ne_u32_e32 0x7f, v44
	s_cbranch_execz .LBB255_546
; %bb.543:                              ;   in Loop: Header=BB255_433 Depth=1
	v_dual_lshrrev_b32 v43, 3, v44 :: v_dual_bitop2_b32 v25, 7, v26 bitop3:0x40
	s_mov_b32 s26, exec_lo
	v_cmpx_gt_u32_e32 8, v44
; %bb.544:                              ;   in Loop: Header=BB255_433 Depth=1
	s_delay_alu instid0(VALU_DEP_2) | instskip(NEXT) | instid1(VALU_DEP_1)
	v_clz_i32_u32_e32 v25, v25
	v_min_u32_e32 v25, 32, v25
	s_delay_alu instid0(VALU_DEP_1) | instskip(NEXT) | instid1(VALU_DEP_1)
	v_subrev_nc_u32_e32 v43, 28, v25
	v_lshlrev_b64_e32 v[52:53], v43, v[10:11]
	s_delay_alu instid0(VALU_DEP_1)
	v_dual_sub_nc_u32 v43, 29, v25 :: v_dual_bitop2_b32 v25, 7, v52 bitop3:0x40
; %bb.545:                              ;   in Loop: Header=BB255_433 Depth=1
	s_or_b32 exec_lo, exec_lo, s26
	s_delay_alu instid0(VALU_DEP_1) | instskip(NEXT) | instid1(VALU_DEP_2)
	v_dual_lshlrev_b32 v10, 8, v26 :: v_dual_lshlrev_b32 v25, 23, v25
	v_lshl_add_u32 v26, v43, 10, 0x2000
	s_delay_alu instid0(VALU_DEP_1) | instskip(NEXT) | instid1(VALU_DEP_1)
	v_and_or_b32 v10, 0x8000, v10, v26
	v_lshl_or_b32 v25, v10, 16, v25
.LBB255_546:                            ;   in Loop: Header=BB255_433 Depth=1
	s_or_b32 exec_lo, exec_lo, s25
.LBB255_547:                            ;   in Loop: Header=BB255_433 Depth=1
	s_delay_alu instid0(SALU_CYCLE_1)
	s_or_b32 exec_lo, exec_lo, s24
.LBB255_548:                            ;   in Loop: Header=BB255_433 Depth=1
	s_delay_alu instid0(SALU_CYCLE_1) | instskip(SKIP_2) | instid1(VALU_DEP_1)
	s_or_b32 exec_lo, exec_lo, s23
	v_lshrrev_b32_e32 v10, 16, v21
	s_mov_b32 s23, exec_lo
	v_and_b32_e32 v26, 0xff, v10
	s_delay_alu instid0(VALU_DEP_1)
	v_cmpx_ne_u16_e32 0, v26
	s_cbranch_execz .LBB255_556
; %bb.549:                              ;   in Loop: Header=BB255_433 Depth=1
	v_mov_b32_e32 v24, 0x8000
	s_mov_b32 s24, exec_lo
	v_cmpx_ne_u16_e32 0x80, v26
	s_cbranch_execz .LBB255_555
; %bb.550:                              ;   in Loop: Header=BB255_433 Depth=1
	v_bfe_u32 v43, v21, 16, 7
	v_mov_b32_e32 v24, 0x7c01
	s_mov_b32 s25, exec_lo
	s_delay_alu instid0(VALU_DEP_2)
	v_cmpx_ne_u32_e32 0x7f, v43
	s_cbranch_execz .LBB255_554
; %bb.551:                              ;   in Loop: Header=BB255_433 Depth=1
	v_dual_lshrrev_b32 v26, 3, v43 :: v_dual_bitop2_b32 v24, 7, v10 bitop3:0x40
	s_mov_b32 s26, exec_lo
	v_cmpx_gt_u32_e32 8, v43
; %bb.552:                              ;   in Loop: Header=BB255_433 Depth=1
	s_delay_alu instid0(VALU_DEP_2) | instskip(NEXT) | instid1(VALU_DEP_1)
	v_clz_i32_u32_e32 v24, v24
	v_min_u32_e32 v24, 32, v24
	s_delay_alu instid0(VALU_DEP_1) | instskip(NEXT) | instid1(VALU_DEP_1)
	v_subrev_nc_u32_e32 v26, 28, v24
	v_lshlrev_b64_e32 v[52:53], v26, v[10:11]
	v_sub_nc_u32_e32 v26, 29, v24
	s_delay_alu instid0(VALU_DEP_2)
	v_and_b32_e32 v24, 7, v52
; %bb.553:                              ;   in Loop: Header=BB255_433 Depth=1
	s_or_b32 exec_lo, exec_lo, s26
	s_delay_alu instid0(VALU_DEP_1) | instskip(NEXT) | instid1(VALU_DEP_3)
	v_dual_lshlrev_b32 v10, 8, v10 :: v_dual_lshlrev_b32 v24, 7, v24
	v_lshl_add_u32 v26, v26, 10, 0x2000
	s_delay_alu instid0(VALU_DEP_2) | instskip(NEXT) | instid1(VALU_DEP_2)
	v_and_b32_e32 v10, 0x8000, v10
	v_and_b32_e32 v26, 0xfc00, v26
	s_delay_alu instid0(VALU_DEP_1)
	v_or3_b32 v24, v10, v26, v24
.LBB255_554:                            ;   in Loop: Header=BB255_433 Depth=1
	s_or_b32 exec_lo, exec_lo, s25
.LBB255_555:                            ;   in Loop: Header=BB255_433 Depth=1
	s_delay_alu instid0(SALU_CYCLE_1)
	s_or_b32 exec_lo, exec_lo, s24
.LBB255_556:                            ;   in Loop: Header=BB255_433 Depth=1
	s_delay_alu instid0(SALU_CYCLE_1)
	s_or_b32 exec_lo, exec_lo, s23
	v_cmp_lt_u64_e64 s0, s[8:9], v[20:21]
	v_mov_b32_e32 v20, 0
	s_and_saveexec_b32 s23, s0
	s_cbranch_execz .LBB255_564
; %bb.557:                              ;   in Loop: Header=BB255_433 Depth=1
	v_lshrrev_b32_e32 v10, 24, v21
	v_bfrev_b32_e32 v20, 1
	s_mov_b32 s24, exec_lo
	s_delay_alu instid0(VALU_DEP_2)
	v_cmpx_ne_u32_e32 0x80, v10
	s_cbranch_execz .LBB255_563
; %bb.558:                              ;   in Loop: Header=BB255_433 Depth=1
	v_and_b32_e32 v26, 0x7f, v10
	v_mov_b32_e32 v20, 0x7c010000
	s_mov_b32 s25, exec_lo
	s_delay_alu instid0(VALU_DEP_2)
	v_cmpx_ne_u32_e32 0x7f, v26
	s_cbranch_execz .LBB255_562
; %bb.559:                              ;   in Loop: Header=BB255_433 Depth=1
	v_and_b32_e32 v20, 7, v10
	v_lshrrev_b32_e32 v21, 3, v26
	s_mov_b32 s26, exec_lo
	v_cmpx_gt_u32_e32 8, v26
; %bb.560:                              ;   in Loop: Header=BB255_433 Depth=1
	s_delay_alu instid0(VALU_DEP_3) | instskip(NEXT) | instid1(VALU_DEP_1)
	v_clz_i32_u32_e32 v20, v20
	v_min_u32_e32 v26, 32, v20
	s_delay_alu instid0(VALU_DEP_1) | instskip(NEXT) | instid1(VALU_DEP_1)
	v_subrev_nc_u32_e32 v20, 28, v26
	v_lshlrev_b64_e32 v[20:21], v20, v[10:11]
	s_delay_alu instid0(VALU_DEP_1)
	v_dual_sub_nc_u32 v21, 29, v26 :: v_dual_bitop2_b32 v20, 7, v20 bitop3:0x40
; %bb.561:                              ;   in Loop: Header=BB255_433 Depth=1
	s_or_b32 exec_lo, exec_lo, s26
	s_delay_alu instid0(VALU_DEP_1) | instskip(NEXT) | instid1(VALU_DEP_2)
	v_dual_lshlrev_b32 v10, 8, v10 :: v_dual_lshlrev_b32 v20, 23, v20
	v_lshl_add_u32 v21, v21, 10, 0x2000
	s_delay_alu instid0(VALU_DEP_1) | instskip(NEXT) | instid1(VALU_DEP_1)
	v_and_or_b32 v10, 0x8000, v10, v21
	v_lshl_or_b32 v20, v10, 16, v20
.LBB255_562:                            ;   in Loop: Header=BB255_433 Depth=1
	s_or_b32 exec_lo, exec_lo, s25
.LBB255_563:                            ;   in Loop: Header=BB255_433 Depth=1
	s_delay_alu instid0(SALU_CYCLE_1)
	s_or_b32 exec_lo, exec_lo, s24
.LBB255_564:                            ;   in Loop: Header=BB255_433 Depth=1
	s_delay_alu instid0(SALU_CYCLE_1) | instskip(SKIP_3) | instid1(VALU_DEP_3)
	s_or_b32 exec_lo, exec_lo, s23
	v_dual_lshrrev_b32 v10, 16, v1 :: v_dual_lshrrev_b32 v21, 16, v19
	v_or_b32_e32 v1, v1, v3
	v_dual_lshrrev_b32 v22, 16, v20 :: v_dual_bitop2_b32 v3, v19, v22 bitop3:0x54
	v_cvt_f32_f16_e32 v53, v10
	s_delay_alu instid0(VALU_DEP_4) | instskip(SKIP_4) | instid1(VALU_DEP_3)
	v_cvt_f32_f16_e32 v52, v21
	v_lshrrev_b32_e32 v19, 16, v25
	v_cvt_f32_f16_e32 v21, v1
	v_cvt_f32_f16_e32 v22, v22
	s_wait_loadcnt 0x0
	v_pk_mul_f32 v[52:53], v[18:19], v[52:53] op_sel_hi:[0,1]
	s_delay_alu instid0(VALU_DEP_1) | instskip(SKIP_4) | instid1(VALU_DEP_3)
	v_cvt_pk_f16_f32 v1, v52, v53
	v_or_b32_e32 v10, v20, v24
	v_cvt_f32_f16_e32 v20, v3
	v_or_b32_e32 v3, v25, v23
	v_cvt_f32_f16_e32 v23, v19
	v_pk_mul_f32 v[20:21], v[18:19], v[20:21] op_sel_hi:[0,1]
	s_delay_alu instid0(VALU_DEP_3) | instskip(NEXT) | instid1(VALU_DEP_3)
	v_cvt_f32_f16_e32 v25, v3
	v_pk_mul_f32 v[22:23], v[18:19], v[22:23] op_sel_hi:[0,1]
	s_delay_alu instid0(VALU_DEP_3) | instskip(SKIP_2) | instid1(VALU_DEP_4)
	v_cvt_pk_f16_f32 v3, v20, v21
	v_lshlrev_b32_e32 v20, 16, v1
	v_cvt_f32_f16_e32 v24, v10
	v_cvt_pk_f16_f32 v10, v22, v23
	s_delay_alu instid0(VALU_DEP_4) | instskip(NEXT) | instid1(VALU_DEP_3)
	v_and_b32_e32 v26, 0xffff, v3
	v_pk_mul_f32 v[24:25], v[18:19], v[24:25] op_sel_hi:[0,1]
	v_and_b32_e32 v19, 0xffff0000, v1
	s_delay_alu instid0(VALU_DEP_4) | instskip(SKIP_1) | instid1(VALU_DEP_4)
	v_and_b32_e32 v1, 0xffff0000, v10
	v_lshlrev_b32_e32 v10, 16, v10
	v_cvt_pk_f16_f32 v18, v24, v25
	v_dual_lshrrev_b32 v25, 16, v3 :: v_dual_bitop2_b32 v24, v20, v26 bitop3:0x54
	s_delay_alu instid0(VALU_DEP_2) | instskip(SKIP_1) | instid1(VALU_DEP_3)
	v_lshrrev_b32_e32 v3, 16, v18
	v_and_b32_e32 v18, 0xffff, v18
	v_or_b32_e32 v23, v19, v25
	s_delay_alu instid0(VALU_DEP_3) | instskip(NEXT) | instid1(VALU_DEP_3)
	v_or_b32_e32 v21, v1, v3
	v_or_b32_e32 v22, v10, v18
	s_and_saveexec_b32 s23, vcc_lo
	s_cbranch_execz .LBB255_566
; %bb.565:                              ;   in Loop: Header=BB255_433 Depth=1
	v_cmp_gt_i32_e64 s0, s18, v35
	s_delay_alu instid0(VALU_DEP_1) | instskip(SKIP_1) | instid1(VALU_DEP_1)
	v_cndmask_b32_e64 v21, 0, v25, s0
	v_cmp_gt_i32_e64 s0, s34, v42
	v_cndmask_b32_e64 v22, 0, v26, s0
	v_cmp_gt_i32_e64 s0, s18, v41
	s_delay_alu instid0(VALU_DEP_1) | instskip(SKIP_1) | instid1(VALU_DEP_1)
	v_cndmask_b32_e64 v19, 0, v19, s0
	v_cmp_gt_i32_e64 s0, s34, v40
	v_cndmask_b32_e64 v20, 0, v20, s0
	v_cmp_gt_i32_e64 s0, s18, v39
	s_delay_alu instid0(VALU_DEP_4) | instskip(NEXT) | instid1(VALU_DEP_2)
	v_or_b32_e32 v23, v19, v21
	v_dual_cndmask_b32 v3, 0, v3, s0 :: v_dual_bitop2_b32 v24, v20, v22 bitop3:0x54
	v_cmp_gt_i32_e64 s0, s34, v38
	s_delay_alu instid0(VALU_DEP_1) | instskip(SKIP_1) | instid1(VALU_DEP_1)
	v_cndmask_b32_e64 v18, 0, v18, s0
	v_cmp_gt_i32_e64 s0, s18, v37
	v_cndmask_b32_e64 v1, 0, v1, s0
	v_cmp_gt_i32_e64 s0, s34, v36
	s_delay_alu instid0(VALU_DEP_1) | instskip(NEXT) | instid1(VALU_DEP_1)
	v_dual_cndmask_b32 v10, 0, v10, s0 :: v_dual_bitop2_b32 v21, v1, v3 bitop3:0x54
	v_or_b32_e32 v22, v10, v18
.LBB255_566:                            ;   in Loop: Header=BB255_433 Depth=1
	s_or_b32 exec_lo, exec_lo, s23
	;;#ASMSTART
	v_pk_mul_f16 v1, v50, v23;

	;;#ASMEND
	;;#ASMSTART
	v_pk_mul_f16 v3, v48, v24;

	;;#ASMEND
	;; [unrolled: 4-line block ×4, first 2 shown]
	;;#ASMSTART
	v_pk_add_f16 v1, v1, v3;

	;;#ASMEND
	;;#ASMSTART
	v_pk_add_f16 v1, v1, v10;

	;;#ASMEND
	;; [unrolled: 4-line block ×3, first 2 shown]
	v_and_b32_e32 v3, 0xffff, v1
	v_lshrrev_b32_e32 v1, 16, v1
	;;#ASMSTART
	v_cvt_f32_f16 v51, v3;
	;;#ASMEND
	v_mov_b32_e32 v3, 0
	;;#ASMSTART
	v_cvt_f32_f16 v52, v1;
	;;#ASMEND
	global_load_b64 v[20:21], v[16:17], off offset:512
	v_mov_b32_e32 v1, 0
	s_mov_b32 s23, exec_lo
	global_load_b32 v18, v1, s[10:11]
	s_wait_loadcnt 0x1
	v_and_b32_e32 v10, 0xff, v20
	s_wait_xcnt 0x0
	s_delay_alu instid0(VALU_DEP_1)
	v_cmpx_ne_u16_e32 0, v10
	s_cbranch_execz .LBB255_574
; %bb.567:                              ;   in Loop: Header=BB255_433 Depth=1
	v_mov_b32_e32 v3, 0x8000
	s_mov_b32 s24, exec_lo
	v_cmpx_ne_u16_e32 0x80, v10
	s_cbranch_execz .LBB255_573
; %bb.568:                              ;   in Loop: Header=BB255_433 Depth=1
	v_and_b32_e32 v19, 0x7f, v20
	v_mov_b32_e32 v3, 0x7c01
	s_mov_b32 s25, exec_lo
	s_delay_alu instid0(VALU_DEP_2)
	v_cmpx_ne_u32_e32 0x7f, v19
	s_cbranch_execz .LBB255_572
; %bb.569:                              ;   in Loop: Header=BB255_433 Depth=1
	v_dual_lshrrev_b32 v10, 3, v19 :: v_dual_bitop2_b32 v3, 7, v20 bitop3:0x40
	s_mov_b32 s26, exec_lo
	v_cmpx_gt_u32_e32 8, v19
; %bb.570:                              ;   in Loop: Header=BB255_433 Depth=1
	s_delay_alu instid0(VALU_DEP_2) | instskip(NEXT) | instid1(VALU_DEP_1)
	v_clz_i32_u32_e32 v3, v3
	v_min_u32_e32 v3, 32, v3
	s_delay_alu instid0(VALU_DEP_1) | instskip(NEXT) | instid1(VALU_DEP_1)
	v_subrev_nc_u32_e32 v10, 28, v3
	v_lshlrev_b64_e32 v[22:23], v10, v[20:21]
	s_delay_alu instid0(VALU_DEP_1)
	v_dual_sub_nc_u32 v10, 29, v3 :: v_dual_bitop2_b32 v3, 7, v22 bitop3:0x40
; %bb.571:                              ;   in Loop: Header=BB255_433 Depth=1
	s_or_b32 exec_lo, exec_lo, s26
	s_delay_alu instid0(VALU_DEP_1) | instskip(NEXT) | instid1(VALU_DEP_2)
	v_dual_lshlrev_b32 v19, 8, v20 :: v_dual_lshlrev_b32 v3, 7, v3
	v_lshl_add_u32 v10, v10, 10, 0x2000
	s_delay_alu instid0(VALU_DEP_2) | instskip(NEXT) | instid1(VALU_DEP_2)
	v_and_b32_e32 v19, 0x8000, v19
	v_and_b32_e32 v10, 0xfc00, v10
	s_delay_alu instid0(VALU_DEP_1)
	v_or3_b32 v3, v19, v10, v3
.LBB255_572:                            ;   in Loop: Header=BB255_433 Depth=1
	s_or_b32 exec_lo, exec_lo, s25
.LBB255_573:                            ;   in Loop: Header=BB255_433 Depth=1
	s_delay_alu instid0(SALU_CYCLE_1)
	s_or_b32 exec_lo, exec_lo, s24
.LBB255_574:                            ;   in Loop: Header=BB255_433 Depth=1
	s_delay_alu instid0(SALU_CYCLE_1) | instskip(SKIP_2) | instid1(VALU_DEP_1)
	s_or_b32 exec_lo, exec_lo, s23
	v_lshrrev_b16 v10, 8, v20
	s_mov_b32 s23, exec_lo
	v_cmpx_ne_u16_e32 0, v10
	s_cbranch_execz .LBB255_582
; %bb.575:                              ;   in Loop: Header=BB255_433 Depth=1
	v_bfrev_b32_e32 v1, 1
	s_mov_b32 s24, exec_lo
	v_cmpx_ne_u16_e32 0x80, v10
	s_cbranch_execz .LBB255_581
; %bb.576:                              ;   in Loop: Header=BB255_433 Depth=1
	v_and_b32_e32 v19, 0xffff, v10
	v_mov_b32_e32 v1, 0x7c010000
	s_mov_b32 s25, exec_lo
	s_delay_alu instid0(VALU_DEP_2) | instskip(NEXT) | instid1(VALU_DEP_1)
	v_and_b32_e32 v23, 0x7f, v19
	v_cmpx_ne_u32_e32 0x7f, v23
	s_cbranch_execz .LBB255_580
; %bb.577:                              ;   in Loop: Header=BB255_433 Depth=1
	v_and_b32_e32 v1, 7, v19
	v_lshrrev_b32_e32 v22, 3, v23
	s_mov_b32 s26, exec_lo
	v_cmpx_gt_u32_e32 8, v23
; %bb.578:                              ;   in Loop: Header=BB255_433 Depth=1
	s_delay_alu instid0(VALU_DEP_3) | instskip(NEXT) | instid1(VALU_DEP_1)
	v_clz_i32_u32_e32 v1, v1
	v_min_u32_e32 v1, 32, v1
	s_delay_alu instid0(VALU_DEP_1) | instskip(NEXT) | instid1(VALU_DEP_1)
	v_subrev_nc_u32_e32 v22, 28, v1
	v_lshlrev_b64_e32 v[24:25], v22, v[10:11]
	s_delay_alu instid0(VALU_DEP_1)
	v_dual_sub_nc_u32 v22, 29, v1 :: v_dual_bitop2_b32 v1, 7, v24 bitop3:0x40
; %bb.579:                              ;   in Loop: Header=BB255_433 Depth=1
	s_or_b32 exec_lo, exec_lo, s26
	s_delay_alu instid0(VALU_DEP_1) | instskip(NEXT) | instid1(VALU_DEP_2)
	v_dual_lshlrev_b32 v10, 8, v19 :: v_dual_lshlrev_b32 v1, 23, v1
	v_lshl_add_u32 v19, v22, 10, 0x2000
	s_delay_alu instid0(VALU_DEP_1) | instskip(NEXT) | instid1(VALU_DEP_1)
	v_and_or_b32 v10, 0x8000, v10, v19
	v_lshl_or_b32 v1, v10, 16, v1
.LBB255_580:                            ;   in Loop: Header=BB255_433 Depth=1
	s_or_b32 exec_lo, exec_lo, s25
.LBB255_581:                            ;   in Loop: Header=BB255_433 Depth=1
	s_delay_alu instid0(SALU_CYCLE_1)
	s_or_b32 exec_lo, exec_lo, s24
.LBB255_582:                            ;   in Loop: Header=BB255_433 Depth=1
	s_delay_alu instid0(SALU_CYCLE_1) | instskip(SKIP_3) | instid1(VALU_DEP_2)
	s_or_b32 exec_lo, exec_lo, s23
	v_dual_mov_b32 v19, 0 :: v_dual_lshrrev_b32 v10, 16, v20
	v_mov_b32_e32 v22, 0
	s_mov_b32 s23, exec_lo
	v_and_b32_e32 v23, 0xff, v10
	s_delay_alu instid0(VALU_DEP_1)
	v_cmpx_ne_u16_e32 0, v23
	s_cbranch_execz .LBB255_590
; %bb.583:                              ;   in Loop: Header=BB255_433 Depth=1
	v_mov_b32_e32 v22, 0x8000
	s_mov_b32 s24, exec_lo
	v_cmpx_ne_u16_e32 0x80, v23
	s_cbranch_execz .LBB255_589
; %bb.584:                              ;   in Loop: Header=BB255_433 Depth=1
	v_bfe_u32 v24, v20, 16, 7
	v_mov_b32_e32 v22, 0x7c01
	s_mov_b32 s25, exec_lo
	s_delay_alu instid0(VALU_DEP_2)
	v_cmpx_ne_u32_e32 0x7f, v24
	s_cbranch_execz .LBB255_588
; %bb.585:                              ;   in Loop: Header=BB255_433 Depth=1
	v_dual_lshrrev_b32 v23, 3, v24 :: v_dual_bitop2_b32 v22, 7, v10 bitop3:0x40
	s_mov_b32 s26, exec_lo
	v_cmpx_gt_u32_e32 8, v24
; %bb.586:                              ;   in Loop: Header=BB255_433 Depth=1
	s_delay_alu instid0(VALU_DEP_2) | instskip(NEXT) | instid1(VALU_DEP_1)
	v_clz_i32_u32_e32 v22, v22
	v_min_u32_e32 v24, 32, v22
	s_delay_alu instid0(VALU_DEP_1) | instskip(NEXT) | instid1(VALU_DEP_1)
	v_subrev_nc_u32_e32 v22, 28, v24
	v_lshlrev_b64_e32 v[22:23], v22, v[10:11]
	s_delay_alu instid0(VALU_DEP_1)
	v_dual_sub_nc_u32 v23, 29, v24 :: v_dual_bitop2_b32 v22, 7, v22 bitop3:0x40
; %bb.587:                              ;   in Loop: Header=BB255_433 Depth=1
	s_or_b32 exec_lo, exec_lo, s26
	v_lshlrev_b32_e32 v10, 8, v10
	s_delay_alu instid0(VALU_DEP_2) | instskip(NEXT) | instid1(VALU_DEP_3)
	v_lshl_add_u32 v23, v23, 10, 0x2000
	v_lshlrev_b32_e32 v22, 7, v22
	s_delay_alu instid0(VALU_DEP_3) | instskip(NEXT) | instid1(VALU_DEP_3)
	v_and_b32_e32 v10, 0x8000, v10
	v_and_b32_e32 v23, 0xfc00, v23
	s_delay_alu instid0(VALU_DEP_1)
	v_or3_b32 v22, v10, v23, v22
.LBB255_588:                            ;   in Loop: Header=BB255_433 Depth=1
	s_or_b32 exec_lo, exec_lo, s25
.LBB255_589:                            ;   in Loop: Header=BB255_433 Depth=1
	s_delay_alu instid0(SALU_CYCLE_1)
	s_or_b32 exec_lo, exec_lo, s24
.LBB255_590:                            ;   in Loop: Header=BB255_433 Depth=1
	s_delay_alu instid0(SALU_CYCLE_1) | instskip(NEXT) | instid1(SALU_CYCLE_1)
	s_or_b32 exec_lo, exec_lo, s23
	s_mov_b32 s23, exec_lo
	v_cmpx_lt_u32_e32 0xffffff, v20
	s_cbranch_execz .LBB255_598
; %bb.591:                              ;   in Loop: Header=BB255_433 Depth=1
	v_lshrrev_b32_e32 v10, 24, v20
	v_bfrev_b32_e32 v19, 1
	s_mov_b32 s24, exec_lo
	s_delay_alu instid0(VALU_DEP_2)
	v_cmpx_ne_u32_e32 0x80, v10
	s_cbranch_execz .LBB255_597
; %bb.592:                              ;   in Loop: Header=BB255_433 Depth=1
	v_and_b32_e32 v24, 0x7f, v10
	v_mov_b32_e32 v19, 0x7c010000
	s_mov_b32 s25, exec_lo
	s_delay_alu instid0(VALU_DEP_2)
	v_cmpx_ne_u32_e32 0x7f, v24
	s_cbranch_execz .LBB255_596
; %bb.593:                              ;   in Loop: Header=BB255_433 Depth=1
	v_dual_lshrrev_b32 v23, 3, v24 :: v_dual_bitop2_b32 v19, 7, v10 bitop3:0x40
	s_mov_b32 s26, exec_lo
	v_cmpx_gt_u32_e32 8, v24
; %bb.594:                              ;   in Loop: Header=BB255_433 Depth=1
	s_delay_alu instid0(VALU_DEP_2) | instskip(NEXT) | instid1(VALU_DEP_1)
	v_clz_i32_u32_e32 v19, v19
	v_min_u32_e32 v19, 32, v19
	s_delay_alu instid0(VALU_DEP_1) | instskip(NEXT) | instid1(VALU_DEP_1)
	v_subrev_nc_u32_e32 v23, 28, v19
	v_lshlrev_b64_e32 v[24:25], v23, v[10:11]
	s_delay_alu instid0(VALU_DEP_1)
	v_dual_sub_nc_u32 v23, 29, v19 :: v_dual_bitop2_b32 v19, 7, v24 bitop3:0x40
; %bb.595:                              ;   in Loop: Header=BB255_433 Depth=1
	s_or_b32 exec_lo, exec_lo, s26
	s_delay_alu instid0(VALU_DEP_1) | instskip(NEXT) | instid1(VALU_DEP_2)
	v_dual_lshlrev_b32 v10, 8, v10 :: v_dual_lshlrev_b32 v19, 23, v19
	v_lshl_add_u32 v23, v23, 10, 0x2000
	s_delay_alu instid0(VALU_DEP_1) | instskip(NEXT) | instid1(VALU_DEP_1)
	v_and_or_b32 v10, 0x8000, v10, v23
	v_lshl_or_b32 v19, v10, 16, v19
.LBB255_596:                            ;   in Loop: Header=BB255_433 Depth=1
	s_or_b32 exec_lo, exec_lo, s25
.LBB255_597:                            ;   in Loop: Header=BB255_433 Depth=1
	s_delay_alu instid0(SALU_CYCLE_1)
	s_or_b32 exec_lo, exec_lo, s24
.LBB255_598:                            ;   in Loop: Header=BB255_433 Depth=1
	s_delay_alu instid0(SALU_CYCLE_1) | instskip(SKIP_4) | instid1(VALU_DEP_3)
	s_or_b32 exec_lo, exec_lo, s23
	v_and_b32_e32 v25, 0xff, v21
	v_dual_mov_b32 v10, v21 :: v_dual_mov_b32 v24, 0
	v_mov_b32_e32 v23, 0
	s_mov_b32 s23, exec_lo
	v_cmpx_ne_u16_e32 0, v25
	s_cbranch_execz .LBB255_606
; %bb.599:                              ;   in Loop: Header=BB255_433 Depth=1
	v_mov_b32_e32 v23, 0x8000
	s_mov_b32 s24, exec_lo
	v_cmpx_ne_u16_e32 0x80, v25
	s_cbranch_execz .LBB255_605
; %bb.600:                              ;   in Loop: Header=BB255_433 Depth=1
	v_and_b32_e32 v26, 0x7f, v21
	v_mov_b32_e32 v23, 0x7c01
	s_mov_b32 s25, exec_lo
	s_delay_alu instid0(VALU_DEP_2)
	v_cmpx_ne_u32_e32 0x7f, v26
	s_cbranch_execz .LBB255_604
; %bb.601:                              ;   in Loop: Header=BB255_433 Depth=1
	v_dual_lshrrev_b32 v25, 3, v26 :: v_dual_bitop2_b32 v23, 7, v21 bitop3:0x40
	s_mov_b32 s26, exec_lo
	v_cmpx_gt_u32_e32 8, v26
; %bb.602:                              ;   in Loop: Header=BB255_433 Depth=1
	s_delay_alu instid0(VALU_DEP_2) | instskip(NEXT) | instid1(VALU_DEP_1)
	v_clz_i32_u32_e32 v23, v23
	v_min_u32_e32 v23, 32, v23
	s_delay_alu instid0(VALU_DEP_1) | instskip(NEXT) | instid1(VALU_DEP_1)
	v_subrev_nc_u32_e32 v25, 28, v23
	v_lshlrev_b64_e32 v[54:55], v25, v[10:11]
	s_delay_alu instid0(VALU_DEP_1)
	v_dual_sub_nc_u32 v25, 29, v23 :: v_dual_bitop2_b32 v23, 7, v54 bitop3:0x40
; %bb.603:                              ;   in Loop: Header=BB255_433 Depth=1
	s_or_b32 exec_lo, exec_lo, s26
	s_delay_alu instid0(VALU_DEP_1) | instskip(NEXT) | instid1(VALU_DEP_2)
	v_dual_lshlrev_b32 v26, 8, v21 :: v_dual_lshlrev_b32 v23, 7, v23
	v_lshl_add_u32 v25, v25, 10, 0x2000
	s_delay_alu instid0(VALU_DEP_2) | instskip(NEXT) | instid1(VALU_DEP_2)
	v_and_b32_e32 v26, 0x8000, v26
	v_and_b32_e32 v25, 0xfc00, v25
	s_delay_alu instid0(VALU_DEP_1)
	v_or3_b32 v23, v26, v25, v23
.LBB255_604:                            ;   in Loop: Header=BB255_433 Depth=1
	s_or_b32 exec_lo, exec_lo, s25
.LBB255_605:                            ;   in Loop: Header=BB255_433 Depth=1
	s_delay_alu instid0(SALU_CYCLE_1)
	s_or_b32 exec_lo, exec_lo, s24
.LBB255_606:                            ;   in Loop: Header=BB255_433 Depth=1
	s_delay_alu instid0(SALU_CYCLE_1) | instskip(SKIP_3) | instid1(VALU_DEP_2)
	s_or_b32 exec_lo, exec_lo, s23
	v_lshrrev_b16 v10, 8, v10
	v_mov_b32_e32 v25, 0
	s_mov_b32 s23, exec_lo
	v_cmpx_ne_u16_e32 0, v10
	s_cbranch_execz .LBB255_614
; %bb.607:                              ;   in Loop: Header=BB255_433 Depth=1
	v_bfrev_b32_e32 v25, 1
	s_mov_b32 s24, exec_lo
	v_cmpx_ne_u16_e32 0x80, v10
	s_cbranch_execz .LBB255_613
; %bb.608:                              ;   in Loop: Header=BB255_433 Depth=1
	v_and_b32_e32 v26, 0xffff, v10
	v_mov_b32_e32 v25, 0x7c010000
	s_mov_b32 s25, exec_lo
	s_delay_alu instid0(VALU_DEP_2) | instskip(NEXT) | instid1(VALU_DEP_1)
	v_and_b32_e32 v44, 0x7f, v26
	v_cmpx_ne_u32_e32 0x7f, v44
	s_cbranch_execz .LBB255_612
; %bb.609:                              ;   in Loop: Header=BB255_433 Depth=1
	v_dual_lshrrev_b32 v43, 3, v44 :: v_dual_bitop2_b32 v25, 7, v26 bitop3:0x40
	s_mov_b32 s26, exec_lo
	v_cmpx_gt_u32_e32 8, v44
; %bb.610:                              ;   in Loop: Header=BB255_433 Depth=1
	s_delay_alu instid0(VALU_DEP_2) | instskip(NEXT) | instid1(VALU_DEP_1)
	v_clz_i32_u32_e32 v25, v25
	v_min_u32_e32 v25, 32, v25
	s_delay_alu instid0(VALU_DEP_1) | instskip(NEXT) | instid1(VALU_DEP_1)
	v_subrev_nc_u32_e32 v43, 28, v25
	v_lshlrev_b64_e32 v[54:55], v43, v[10:11]
	s_delay_alu instid0(VALU_DEP_1)
	v_dual_sub_nc_u32 v43, 29, v25 :: v_dual_bitop2_b32 v25, 7, v54 bitop3:0x40
; %bb.611:                              ;   in Loop: Header=BB255_433 Depth=1
	s_or_b32 exec_lo, exec_lo, s26
	s_delay_alu instid0(VALU_DEP_1) | instskip(NEXT) | instid1(VALU_DEP_2)
	v_dual_lshlrev_b32 v10, 8, v26 :: v_dual_lshlrev_b32 v25, 23, v25
	v_lshl_add_u32 v26, v43, 10, 0x2000
	s_delay_alu instid0(VALU_DEP_1) | instskip(NEXT) | instid1(VALU_DEP_1)
	v_and_or_b32 v10, 0x8000, v10, v26
	v_lshl_or_b32 v25, v10, 16, v25
.LBB255_612:                            ;   in Loop: Header=BB255_433 Depth=1
	s_or_b32 exec_lo, exec_lo, s25
.LBB255_613:                            ;   in Loop: Header=BB255_433 Depth=1
	s_delay_alu instid0(SALU_CYCLE_1)
	s_or_b32 exec_lo, exec_lo, s24
.LBB255_614:                            ;   in Loop: Header=BB255_433 Depth=1
	s_delay_alu instid0(SALU_CYCLE_1) | instskip(SKIP_2) | instid1(VALU_DEP_1)
	s_or_b32 exec_lo, exec_lo, s23
	v_lshrrev_b32_e32 v10, 16, v21
	s_mov_b32 s23, exec_lo
	v_and_b32_e32 v26, 0xff, v10
	s_delay_alu instid0(VALU_DEP_1)
	v_cmpx_ne_u16_e32 0, v26
	s_cbranch_execz .LBB255_622
; %bb.615:                              ;   in Loop: Header=BB255_433 Depth=1
	v_mov_b32_e32 v24, 0x8000
	s_mov_b32 s24, exec_lo
	v_cmpx_ne_u16_e32 0x80, v26
	s_cbranch_execz .LBB255_621
; %bb.616:                              ;   in Loop: Header=BB255_433 Depth=1
	v_bfe_u32 v43, v21, 16, 7
	v_mov_b32_e32 v24, 0x7c01
	s_mov_b32 s25, exec_lo
	s_delay_alu instid0(VALU_DEP_2)
	v_cmpx_ne_u32_e32 0x7f, v43
	s_cbranch_execz .LBB255_620
; %bb.617:                              ;   in Loop: Header=BB255_433 Depth=1
	v_dual_lshrrev_b32 v26, 3, v43 :: v_dual_bitop2_b32 v24, 7, v10 bitop3:0x40
	s_mov_b32 s26, exec_lo
	v_cmpx_gt_u32_e32 8, v43
; %bb.618:                              ;   in Loop: Header=BB255_433 Depth=1
	s_delay_alu instid0(VALU_DEP_2) | instskip(NEXT) | instid1(VALU_DEP_1)
	v_clz_i32_u32_e32 v24, v24
	v_min_u32_e32 v24, 32, v24
	s_delay_alu instid0(VALU_DEP_1) | instskip(NEXT) | instid1(VALU_DEP_1)
	v_subrev_nc_u32_e32 v26, 28, v24
	v_lshlrev_b64_e32 v[54:55], v26, v[10:11]
	s_delay_alu instid0(VALU_DEP_1)
	v_dual_sub_nc_u32 v26, 29, v24 :: v_dual_bitop2_b32 v24, 7, v54 bitop3:0x40
; %bb.619:                              ;   in Loop: Header=BB255_433 Depth=1
	s_or_b32 exec_lo, exec_lo, s26
	s_delay_alu instid0(VALU_DEP_1) | instskip(NEXT) | instid1(VALU_DEP_2)
	v_dual_lshlrev_b32 v10, 8, v10 :: v_dual_lshlrev_b32 v24, 7, v24
	v_lshl_add_u32 v26, v26, 10, 0x2000
	s_delay_alu instid0(VALU_DEP_2) | instskip(NEXT) | instid1(VALU_DEP_2)
	v_and_b32_e32 v10, 0x8000, v10
	v_and_b32_e32 v26, 0xfc00, v26
	s_delay_alu instid0(VALU_DEP_1)
	v_or3_b32 v24, v10, v26, v24
.LBB255_620:                            ;   in Loop: Header=BB255_433 Depth=1
	s_or_b32 exec_lo, exec_lo, s25
.LBB255_621:                            ;   in Loop: Header=BB255_433 Depth=1
	s_delay_alu instid0(SALU_CYCLE_1)
	s_or_b32 exec_lo, exec_lo, s24
.LBB255_622:                            ;   in Loop: Header=BB255_433 Depth=1
	s_delay_alu instid0(SALU_CYCLE_1)
	s_or_b32 exec_lo, exec_lo, s23
	v_cmp_lt_u64_e64 s0, s[8:9], v[20:21]
	v_mov_b32_e32 v20, 0
	s_and_saveexec_b32 s23, s0
	s_cbranch_execz .LBB255_630
; %bb.623:                              ;   in Loop: Header=BB255_433 Depth=1
	v_lshrrev_b32_e32 v10, 24, v21
	v_bfrev_b32_e32 v20, 1
	s_mov_b32 s24, exec_lo
	s_delay_alu instid0(VALU_DEP_2)
	v_cmpx_ne_u32_e32 0x80, v10
	s_cbranch_execz .LBB255_629
; %bb.624:                              ;   in Loop: Header=BB255_433 Depth=1
	v_and_b32_e32 v26, 0x7f, v10
	v_mov_b32_e32 v20, 0x7c010000
	s_mov_b32 s25, exec_lo
	s_delay_alu instid0(VALU_DEP_2)
	v_cmpx_ne_u32_e32 0x7f, v26
	s_cbranch_execz .LBB255_628
; %bb.625:                              ;   in Loop: Header=BB255_433 Depth=1
	v_and_b32_e32 v20, 7, v10
	v_lshrrev_b32_e32 v21, 3, v26
	s_mov_b32 s26, exec_lo
	v_cmpx_gt_u32_e32 8, v26
; %bb.626:                              ;   in Loop: Header=BB255_433 Depth=1
	s_delay_alu instid0(VALU_DEP_3) | instskip(NEXT) | instid1(VALU_DEP_1)
	v_clz_i32_u32_e32 v20, v20
	v_min_u32_e32 v26, 32, v20
	s_delay_alu instid0(VALU_DEP_1) | instskip(NEXT) | instid1(VALU_DEP_1)
	v_subrev_nc_u32_e32 v20, 28, v26
	v_lshlrev_b64_e32 v[20:21], v20, v[10:11]
	s_delay_alu instid0(VALU_DEP_1)
	v_dual_sub_nc_u32 v21, 29, v26 :: v_dual_bitop2_b32 v20, 7, v20 bitop3:0x40
; %bb.627:                              ;   in Loop: Header=BB255_433 Depth=1
	s_or_b32 exec_lo, exec_lo, s26
	s_delay_alu instid0(VALU_DEP_1) | instskip(NEXT) | instid1(VALU_DEP_2)
	v_dual_lshlrev_b32 v10, 8, v10 :: v_dual_lshlrev_b32 v20, 23, v20
	v_lshl_add_u32 v21, v21, 10, 0x2000
	s_delay_alu instid0(VALU_DEP_1) | instskip(NEXT) | instid1(VALU_DEP_1)
	v_and_or_b32 v10, 0x8000, v10, v21
	v_lshl_or_b32 v20, v10, 16, v20
.LBB255_628:                            ;   in Loop: Header=BB255_433 Depth=1
	s_or_b32 exec_lo, exec_lo, s25
.LBB255_629:                            ;   in Loop: Header=BB255_433 Depth=1
	s_delay_alu instid0(SALU_CYCLE_1)
	s_or_b32 exec_lo, exec_lo, s24
.LBB255_630:                            ;   in Loop: Header=BB255_433 Depth=1
	s_delay_alu instid0(SALU_CYCLE_1) | instskip(SKIP_3) | instid1(VALU_DEP_3)
	s_or_b32 exec_lo, exec_lo, s23
	v_dual_lshrrev_b32 v10, 16, v1 :: v_dual_lshrrev_b32 v21, 16, v19
	v_or_b32_e32 v1, v1, v3
	v_dual_lshrrev_b32 v22, 16, v20 :: v_dual_bitop2_b32 v3, v19, v22 bitop3:0x54
	v_cvt_f32_f16_e32 v55, v10
	s_delay_alu instid0(VALU_DEP_4) | instskip(SKIP_4) | instid1(VALU_DEP_3)
	v_cvt_f32_f16_e32 v54, v21
	v_lshrrev_b32_e32 v19, 16, v25
	v_cvt_f32_f16_e32 v21, v1
	v_cvt_f32_f16_e32 v22, v22
	s_wait_loadcnt 0x0
	v_pk_mul_f32 v[54:55], v[18:19], v[54:55] op_sel_hi:[0,1]
	s_delay_alu instid0(VALU_DEP_1) | instskip(SKIP_4) | instid1(VALU_DEP_3)
	v_cvt_pk_f16_f32 v1, v54, v55
	v_or_b32_e32 v10, v20, v24
	v_cvt_f32_f16_e32 v20, v3
	v_or_b32_e32 v3, v25, v23
	v_cvt_f32_f16_e32 v23, v19
	v_pk_mul_f32 v[20:21], v[18:19], v[20:21] op_sel_hi:[0,1]
	s_delay_alu instid0(VALU_DEP_3) | instskip(NEXT) | instid1(VALU_DEP_3)
	v_cvt_f32_f16_e32 v25, v3
	v_pk_mul_f32 v[22:23], v[18:19], v[22:23] op_sel_hi:[0,1]
	s_delay_alu instid0(VALU_DEP_3) | instskip(SKIP_2) | instid1(VALU_DEP_4)
	v_cvt_pk_f16_f32 v3, v20, v21
	v_lshlrev_b32_e32 v20, 16, v1
	v_cvt_f32_f16_e32 v24, v10
	v_cvt_pk_f16_f32 v10, v22, v23
	s_delay_alu instid0(VALU_DEP_4) | instskip(NEXT) | instid1(VALU_DEP_3)
	v_and_b32_e32 v26, 0xffff, v3
	v_pk_mul_f32 v[24:25], v[18:19], v[24:25] op_sel_hi:[0,1]
	v_and_b32_e32 v19, 0xffff0000, v1
	s_delay_alu instid0(VALU_DEP_4) | instskip(SKIP_1) | instid1(VALU_DEP_4)
	v_and_b32_e32 v1, 0xffff0000, v10
	v_lshlrev_b32_e32 v10, 16, v10
	v_cvt_pk_f16_f32 v18, v24, v25
	v_dual_lshrrev_b32 v25, 16, v3 :: v_dual_bitop2_b32 v24, v20, v26 bitop3:0x54
	s_delay_alu instid0(VALU_DEP_2) | instskip(SKIP_1) | instid1(VALU_DEP_3)
	v_lshrrev_b32_e32 v3, 16, v18
	v_and_b32_e32 v18, 0xffff, v18
	v_or_b32_e32 v23, v19, v25
	s_delay_alu instid0(VALU_DEP_3) | instskip(NEXT) | instid1(VALU_DEP_3)
	v_or_b32_e32 v21, v1, v3
	v_or_b32_e32 v22, v10, v18
	s_and_saveexec_b32 s23, vcc_lo
	s_cbranch_execz .LBB255_632
; %bb.631:                              ;   in Loop: Header=BB255_433 Depth=1
	v_cmp_gt_i32_e64 s0, s18, v35
	s_delay_alu instid0(VALU_DEP_1) | instskip(SKIP_1) | instid1(VALU_DEP_1)
	v_cndmask_b32_e64 v21, 0, v25, s0
	v_cmp_gt_i32_e64 s0, s34, v42
	v_cndmask_b32_e64 v22, 0, v26, s0
	v_cmp_gt_i32_e64 s0, s18, v41
	s_delay_alu instid0(VALU_DEP_1) | instskip(SKIP_1) | instid1(VALU_DEP_1)
	v_cndmask_b32_e64 v19, 0, v19, s0
	v_cmp_gt_i32_e64 s0, s34, v40
	v_cndmask_b32_e64 v20, 0, v20, s0
	v_cmp_gt_i32_e64 s0, s18, v39
	s_delay_alu instid0(VALU_DEP_4) | instskip(NEXT) | instid1(VALU_DEP_2)
	v_or_b32_e32 v23, v19, v21
	v_dual_cndmask_b32 v3, 0, v3, s0 :: v_dual_bitop2_b32 v24, v20, v22 bitop3:0x54
	v_cmp_gt_i32_e64 s0, s34, v38
	s_delay_alu instid0(VALU_DEP_1) | instskip(SKIP_1) | instid1(VALU_DEP_1)
	v_cndmask_b32_e64 v18, 0, v18, s0
	v_cmp_gt_i32_e64 s0, s18, v37
	v_cndmask_b32_e64 v1, 0, v1, s0
	v_cmp_gt_i32_e64 s0, s34, v36
	s_delay_alu instid0(VALU_DEP_1) | instskip(NEXT) | instid1(VALU_DEP_1)
	v_dual_cndmask_b32 v10, 0, v10, s0 :: v_dual_bitop2_b32 v21, v1, v3 bitop3:0x54
	v_or_b32_e32 v22, v10, v18
.LBB255_632:                            ;   in Loop: Header=BB255_433 Depth=1
	s_or_b32 exec_lo, exec_lo, s23
	;;#ASMSTART
	v_pk_mul_f16 v1, v50, v23;

	;;#ASMEND
	;;#ASMSTART
	v_pk_mul_f16 v3, v48, v24;

	;;#ASMEND
	;; [unrolled: 4-line block ×4, first 2 shown]
	;;#ASMSTART
	v_pk_add_f16 v1, v1, v3;

	;;#ASMEND
	;;#ASMSTART
	v_pk_add_f16 v1, v1, v10;

	;;#ASMEND
	;;#ASMSTART
	v_pk_add_f16 v1, v1, v18;

	;;#ASMEND
	v_and_b32_e32 v3, 0xffff, v1
	v_lshrrev_b32_e32 v1, 16, v1
	;;#ASMSTART
	v_cvt_f32_f16 v53, v3;
	;;#ASMEND
	v_mov_b32_e32 v3, 0
	;;#ASMSTART
	v_cvt_f32_f16 v54, v1;
	;;#ASMEND
	global_load_b64 v[20:21], v[16:17], off offset:768
	v_mov_b32_e32 v1, 0
	s_mov_b32 s23, exec_lo
	global_load_b32 v18, v1, s[10:11]
	s_wait_loadcnt 0x1
	v_and_b32_e32 v10, 0xff, v20
	s_wait_xcnt 0x0
	s_delay_alu instid0(VALU_DEP_1)
	v_cmpx_ne_u16_e32 0, v10
	s_cbranch_execz .LBB255_640
; %bb.633:                              ;   in Loop: Header=BB255_433 Depth=1
	v_mov_b32_e32 v3, 0x8000
	s_mov_b32 s24, exec_lo
	v_cmpx_ne_u16_e32 0x80, v10
	s_cbranch_execz .LBB255_639
; %bb.634:                              ;   in Loop: Header=BB255_433 Depth=1
	v_and_b32_e32 v19, 0x7f, v20
	v_mov_b32_e32 v3, 0x7c01
	s_mov_b32 s25, exec_lo
	s_delay_alu instid0(VALU_DEP_2)
	v_cmpx_ne_u32_e32 0x7f, v19
	s_cbranch_execz .LBB255_638
; %bb.635:                              ;   in Loop: Header=BB255_433 Depth=1
	v_dual_lshrrev_b32 v10, 3, v19 :: v_dual_bitop2_b32 v3, 7, v20 bitop3:0x40
	s_mov_b32 s26, exec_lo
	v_cmpx_gt_u32_e32 8, v19
; %bb.636:                              ;   in Loop: Header=BB255_433 Depth=1
	s_delay_alu instid0(VALU_DEP_2) | instskip(NEXT) | instid1(VALU_DEP_1)
	v_clz_i32_u32_e32 v3, v3
	v_min_u32_e32 v3, 32, v3
	s_delay_alu instid0(VALU_DEP_1) | instskip(NEXT) | instid1(VALU_DEP_1)
	v_subrev_nc_u32_e32 v10, 28, v3
	v_lshlrev_b64_e32 v[22:23], v10, v[20:21]
	s_delay_alu instid0(VALU_DEP_1)
	v_dual_sub_nc_u32 v10, 29, v3 :: v_dual_bitop2_b32 v3, 7, v22 bitop3:0x40
; %bb.637:                              ;   in Loop: Header=BB255_433 Depth=1
	s_or_b32 exec_lo, exec_lo, s26
	s_delay_alu instid0(VALU_DEP_1) | instskip(NEXT) | instid1(VALU_DEP_2)
	v_dual_lshlrev_b32 v19, 8, v20 :: v_dual_lshlrev_b32 v3, 7, v3
	v_lshl_add_u32 v10, v10, 10, 0x2000
	s_delay_alu instid0(VALU_DEP_2) | instskip(NEXT) | instid1(VALU_DEP_2)
	v_and_b32_e32 v19, 0x8000, v19
	v_and_b32_e32 v10, 0xfc00, v10
	s_delay_alu instid0(VALU_DEP_1)
	v_or3_b32 v3, v19, v10, v3
.LBB255_638:                            ;   in Loop: Header=BB255_433 Depth=1
	s_or_b32 exec_lo, exec_lo, s25
.LBB255_639:                            ;   in Loop: Header=BB255_433 Depth=1
	s_delay_alu instid0(SALU_CYCLE_1)
	s_or_b32 exec_lo, exec_lo, s24
.LBB255_640:                            ;   in Loop: Header=BB255_433 Depth=1
	s_delay_alu instid0(SALU_CYCLE_1) | instskip(SKIP_2) | instid1(VALU_DEP_1)
	s_or_b32 exec_lo, exec_lo, s23
	v_lshrrev_b16 v10, 8, v20
	s_mov_b32 s23, exec_lo
	v_cmpx_ne_u16_e32 0, v10
	s_cbranch_execz .LBB255_648
; %bb.641:                              ;   in Loop: Header=BB255_433 Depth=1
	v_bfrev_b32_e32 v1, 1
	s_mov_b32 s24, exec_lo
	v_cmpx_ne_u16_e32 0x80, v10
	s_cbranch_execz .LBB255_647
; %bb.642:                              ;   in Loop: Header=BB255_433 Depth=1
	v_and_b32_e32 v19, 0xffff, v10
	v_mov_b32_e32 v1, 0x7c010000
	s_mov_b32 s25, exec_lo
	s_delay_alu instid0(VALU_DEP_2) | instskip(NEXT) | instid1(VALU_DEP_1)
	v_and_b32_e32 v23, 0x7f, v19
	v_cmpx_ne_u32_e32 0x7f, v23
	s_cbranch_execz .LBB255_646
; %bb.643:                              ;   in Loop: Header=BB255_433 Depth=1
	v_and_b32_e32 v1, 7, v19
	v_lshrrev_b32_e32 v22, 3, v23
	s_mov_b32 s26, exec_lo
	v_cmpx_gt_u32_e32 8, v23
; %bb.644:                              ;   in Loop: Header=BB255_433 Depth=1
	s_delay_alu instid0(VALU_DEP_3) | instskip(NEXT) | instid1(VALU_DEP_1)
	v_clz_i32_u32_e32 v1, v1
	v_min_u32_e32 v1, 32, v1
	s_delay_alu instid0(VALU_DEP_1) | instskip(NEXT) | instid1(VALU_DEP_1)
	v_subrev_nc_u32_e32 v22, 28, v1
	v_lshlrev_b64_e32 v[24:25], v22, v[10:11]
	s_delay_alu instid0(VALU_DEP_1)
	v_dual_sub_nc_u32 v22, 29, v1 :: v_dual_bitop2_b32 v1, 7, v24 bitop3:0x40
; %bb.645:                              ;   in Loop: Header=BB255_433 Depth=1
	s_or_b32 exec_lo, exec_lo, s26
	s_delay_alu instid0(VALU_DEP_1) | instskip(NEXT) | instid1(VALU_DEP_2)
	v_dual_lshlrev_b32 v10, 8, v19 :: v_dual_lshlrev_b32 v1, 23, v1
	v_lshl_add_u32 v19, v22, 10, 0x2000
	s_delay_alu instid0(VALU_DEP_1) | instskip(NEXT) | instid1(VALU_DEP_1)
	v_and_or_b32 v10, 0x8000, v10, v19
	v_lshl_or_b32 v1, v10, 16, v1
.LBB255_646:                            ;   in Loop: Header=BB255_433 Depth=1
	s_or_b32 exec_lo, exec_lo, s25
.LBB255_647:                            ;   in Loop: Header=BB255_433 Depth=1
	s_delay_alu instid0(SALU_CYCLE_1)
	s_or_b32 exec_lo, exec_lo, s24
.LBB255_648:                            ;   in Loop: Header=BB255_433 Depth=1
	s_delay_alu instid0(SALU_CYCLE_1) | instskip(SKIP_3) | instid1(VALU_DEP_2)
	s_or_b32 exec_lo, exec_lo, s23
	v_dual_mov_b32 v19, 0 :: v_dual_lshrrev_b32 v10, 16, v20
	v_mov_b32_e32 v22, 0
	s_mov_b32 s23, exec_lo
	v_and_b32_e32 v23, 0xff, v10
	s_delay_alu instid0(VALU_DEP_1)
	v_cmpx_ne_u16_e32 0, v23
	s_cbranch_execz .LBB255_656
; %bb.649:                              ;   in Loop: Header=BB255_433 Depth=1
	v_mov_b32_e32 v22, 0x8000
	s_mov_b32 s24, exec_lo
	v_cmpx_ne_u16_e32 0x80, v23
	s_cbranch_execz .LBB255_655
; %bb.650:                              ;   in Loop: Header=BB255_433 Depth=1
	v_bfe_u32 v24, v20, 16, 7
	v_mov_b32_e32 v22, 0x7c01
	s_mov_b32 s25, exec_lo
	s_delay_alu instid0(VALU_DEP_2)
	v_cmpx_ne_u32_e32 0x7f, v24
	s_cbranch_execz .LBB255_654
; %bb.651:                              ;   in Loop: Header=BB255_433 Depth=1
	v_dual_lshrrev_b32 v23, 3, v24 :: v_dual_bitop2_b32 v22, 7, v10 bitop3:0x40
	s_mov_b32 s26, exec_lo
	v_cmpx_gt_u32_e32 8, v24
; %bb.652:                              ;   in Loop: Header=BB255_433 Depth=1
	s_delay_alu instid0(VALU_DEP_2) | instskip(NEXT) | instid1(VALU_DEP_1)
	v_clz_i32_u32_e32 v22, v22
	v_min_u32_e32 v24, 32, v22
	s_delay_alu instid0(VALU_DEP_1) | instskip(NEXT) | instid1(VALU_DEP_1)
	v_subrev_nc_u32_e32 v22, 28, v24
	v_lshlrev_b64_e32 v[22:23], v22, v[10:11]
	s_delay_alu instid0(VALU_DEP_1)
	v_dual_sub_nc_u32 v23, 29, v24 :: v_dual_bitop2_b32 v22, 7, v22 bitop3:0x40
; %bb.653:                              ;   in Loop: Header=BB255_433 Depth=1
	s_or_b32 exec_lo, exec_lo, s26
	v_lshlrev_b32_e32 v10, 8, v10
	s_delay_alu instid0(VALU_DEP_2) | instskip(NEXT) | instid1(VALU_DEP_3)
	v_lshl_add_u32 v23, v23, 10, 0x2000
	v_lshlrev_b32_e32 v22, 7, v22
	s_delay_alu instid0(VALU_DEP_3) | instskip(NEXT) | instid1(VALU_DEP_3)
	v_and_b32_e32 v10, 0x8000, v10
	v_and_b32_e32 v23, 0xfc00, v23
	s_delay_alu instid0(VALU_DEP_1)
	v_or3_b32 v22, v10, v23, v22
.LBB255_654:                            ;   in Loop: Header=BB255_433 Depth=1
	s_or_b32 exec_lo, exec_lo, s25
.LBB255_655:                            ;   in Loop: Header=BB255_433 Depth=1
	s_delay_alu instid0(SALU_CYCLE_1)
	s_or_b32 exec_lo, exec_lo, s24
.LBB255_656:                            ;   in Loop: Header=BB255_433 Depth=1
	s_delay_alu instid0(SALU_CYCLE_1) | instskip(NEXT) | instid1(SALU_CYCLE_1)
	s_or_b32 exec_lo, exec_lo, s23
	s_mov_b32 s23, exec_lo
	v_cmpx_lt_u32_e32 0xffffff, v20
	s_cbranch_execz .LBB255_664
; %bb.657:                              ;   in Loop: Header=BB255_433 Depth=1
	v_lshrrev_b32_e32 v10, 24, v20
	v_bfrev_b32_e32 v19, 1
	s_mov_b32 s24, exec_lo
	s_delay_alu instid0(VALU_DEP_2)
	v_cmpx_ne_u32_e32 0x80, v10
	s_cbranch_execz .LBB255_663
; %bb.658:                              ;   in Loop: Header=BB255_433 Depth=1
	v_and_b32_e32 v24, 0x7f, v10
	v_mov_b32_e32 v19, 0x7c010000
	s_mov_b32 s25, exec_lo
	s_delay_alu instid0(VALU_DEP_2)
	v_cmpx_ne_u32_e32 0x7f, v24
	s_cbranch_execz .LBB255_662
; %bb.659:                              ;   in Loop: Header=BB255_433 Depth=1
	v_dual_lshrrev_b32 v23, 3, v24 :: v_dual_bitop2_b32 v19, 7, v10 bitop3:0x40
	s_mov_b32 s26, exec_lo
	v_cmpx_gt_u32_e32 8, v24
; %bb.660:                              ;   in Loop: Header=BB255_433 Depth=1
	s_delay_alu instid0(VALU_DEP_2) | instskip(NEXT) | instid1(VALU_DEP_1)
	v_clz_i32_u32_e32 v19, v19
	v_min_u32_e32 v19, 32, v19
	s_delay_alu instid0(VALU_DEP_1) | instskip(NEXT) | instid1(VALU_DEP_1)
	v_subrev_nc_u32_e32 v23, 28, v19
	v_lshlrev_b64_e32 v[24:25], v23, v[10:11]
	s_delay_alu instid0(VALU_DEP_1)
	v_dual_sub_nc_u32 v23, 29, v19 :: v_dual_bitop2_b32 v19, 7, v24 bitop3:0x40
; %bb.661:                              ;   in Loop: Header=BB255_433 Depth=1
	s_or_b32 exec_lo, exec_lo, s26
	s_delay_alu instid0(VALU_DEP_1) | instskip(NEXT) | instid1(VALU_DEP_2)
	v_dual_lshlrev_b32 v10, 8, v10 :: v_dual_lshlrev_b32 v19, 23, v19
	v_lshl_add_u32 v23, v23, 10, 0x2000
	s_delay_alu instid0(VALU_DEP_1) | instskip(NEXT) | instid1(VALU_DEP_1)
	v_and_or_b32 v10, 0x8000, v10, v23
	v_lshl_or_b32 v19, v10, 16, v19
.LBB255_662:                            ;   in Loop: Header=BB255_433 Depth=1
	s_or_b32 exec_lo, exec_lo, s25
.LBB255_663:                            ;   in Loop: Header=BB255_433 Depth=1
	s_delay_alu instid0(SALU_CYCLE_1)
	s_or_b32 exec_lo, exec_lo, s24
.LBB255_664:                            ;   in Loop: Header=BB255_433 Depth=1
	s_delay_alu instid0(SALU_CYCLE_1) | instskip(SKIP_4) | instid1(VALU_DEP_3)
	s_or_b32 exec_lo, exec_lo, s23
	v_and_b32_e32 v25, 0xff, v21
	v_dual_mov_b32 v10, v21 :: v_dual_mov_b32 v24, 0
	v_mov_b32_e32 v23, 0
	s_mov_b32 s23, exec_lo
	v_cmpx_ne_u16_e32 0, v25
	s_cbranch_execz .LBB255_672
; %bb.665:                              ;   in Loop: Header=BB255_433 Depth=1
	v_mov_b32_e32 v23, 0x8000
	s_mov_b32 s24, exec_lo
	v_cmpx_ne_u16_e32 0x80, v25
	s_cbranch_execz .LBB255_671
; %bb.666:                              ;   in Loop: Header=BB255_433 Depth=1
	v_and_b32_e32 v26, 0x7f, v21
	v_mov_b32_e32 v23, 0x7c01
	s_mov_b32 s25, exec_lo
	s_delay_alu instid0(VALU_DEP_2)
	v_cmpx_ne_u32_e32 0x7f, v26
	s_cbranch_execz .LBB255_670
; %bb.667:                              ;   in Loop: Header=BB255_433 Depth=1
	v_dual_lshrrev_b32 v25, 3, v26 :: v_dual_bitop2_b32 v23, 7, v21 bitop3:0x40
	s_mov_b32 s26, exec_lo
	v_cmpx_gt_u32_e32 8, v26
; %bb.668:                              ;   in Loop: Header=BB255_433 Depth=1
	s_delay_alu instid0(VALU_DEP_2) | instskip(NEXT) | instid1(VALU_DEP_1)
	v_clz_i32_u32_e32 v23, v23
	v_min_u32_e32 v23, 32, v23
	s_delay_alu instid0(VALU_DEP_1) | instskip(NEXT) | instid1(VALU_DEP_1)
	v_subrev_nc_u32_e32 v25, 28, v23
	v_lshlrev_b64_e32 v[56:57], v25, v[10:11]
	s_delay_alu instid0(VALU_DEP_1)
	v_dual_sub_nc_u32 v25, 29, v23 :: v_dual_bitop2_b32 v23, 7, v56 bitop3:0x40
; %bb.669:                              ;   in Loop: Header=BB255_433 Depth=1
	s_or_b32 exec_lo, exec_lo, s26
	s_delay_alu instid0(VALU_DEP_1) | instskip(NEXT) | instid1(VALU_DEP_2)
	v_dual_lshlrev_b32 v26, 8, v21 :: v_dual_lshlrev_b32 v23, 7, v23
	v_lshl_add_u32 v25, v25, 10, 0x2000
	s_delay_alu instid0(VALU_DEP_2) | instskip(NEXT) | instid1(VALU_DEP_2)
	v_and_b32_e32 v26, 0x8000, v26
	v_and_b32_e32 v25, 0xfc00, v25
	s_delay_alu instid0(VALU_DEP_1)
	v_or3_b32 v23, v26, v25, v23
.LBB255_670:                            ;   in Loop: Header=BB255_433 Depth=1
	s_or_b32 exec_lo, exec_lo, s25
.LBB255_671:                            ;   in Loop: Header=BB255_433 Depth=1
	s_delay_alu instid0(SALU_CYCLE_1)
	s_or_b32 exec_lo, exec_lo, s24
.LBB255_672:                            ;   in Loop: Header=BB255_433 Depth=1
	s_delay_alu instid0(SALU_CYCLE_1) | instskip(SKIP_3) | instid1(VALU_DEP_2)
	s_or_b32 exec_lo, exec_lo, s23
	v_lshrrev_b16 v10, 8, v10
	v_mov_b32_e32 v25, 0
	s_mov_b32 s23, exec_lo
	v_cmpx_ne_u16_e32 0, v10
	s_cbranch_execz .LBB255_680
; %bb.673:                              ;   in Loop: Header=BB255_433 Depth=1
	v_bfrev_b32_e32 v25, 1
	s_mov_b32 s24, exec_lo
	v_cmpx_ne_u16_e32 0x80, v10
	s_cbranch_execz .LBB255_679
; %bb.674:                              ;   in Loop: Header=BB255_433 Depth=1
	v_and_b32_e32 v26, 0xffff, v10
	v_mov_b32_e32 v25, 0x7c010000
	s_mov_b32 s25, exec_lo
	s_delay_alu instid0(VALU_DEP_2) | instskip(NEXT) | instid1(VALU_DEP_1)
	v_and_b32_e32 v44, 0x7f, v26
	v_cmpx_ne_u32_e32 0x7f, v44
	s_cbranch_execz .LBB255_678
; %bb.675:                              ;   in Loop: Header=BB255_433 Depth=1
	v_dual_lshrrev_b32 v43, 3, v44 :: v_dual_bitop2_b32 v25, 7, v26 bitop3:0x40
	s_mov_b32 s26, exec_lo
	v_cmpx_gt_u32_e32 8, v44
; %bb.676:                              ;   in Loop: Header=BB255_433 Depth=1
	s_delay_alu instid0(VALU_DEP_2) | instskip(NEXT) | instid1(VALU_DEP_1)
	v_clz_i32_u32_e32 v25, v25
	v_min_u32_e32 v25, 32, v25
	s_delay_alu instid0(VALU_DEP_1) | instskip(NEXT) | instid1(VALU_DEP_1)
	v_subrev_nc_u32_e32 v43, 28, v25
	v_lshlrev_b64_e32 v[56:57], v43, v[10:11]
	s_delay_alu instid0(VALU_DEP_1)
	v_dual_sub_nc_u32 v43, 29, v25 :: v_dual_bitop2_b32 v25, 7, v56 bitop3:0x40
; %bb.677:                              ;   in Loop: Header=BB255_433 Depth=1
	s_or_b32 exec_lo, exec_lo, s26
	s_delay_alu instid0(VALU_DEP_1) | instskip(NEXT) | instid1(VALU_DEP_2)
	v_dual_lshlrev_b32 v10, 8, v26 :: v_dual_lshlrev_b32 v25, 23, v25
	v_lshl_add_u32 v26, v43, 10, 0x2000
	s_delay_alu instid0(VALU_DEP_1) | instskip(NEXT) | instid1(VALU_DEP_1)
	v_and_or_b32 v10, 0x8000, v10, v26
	v_lshl_or_b32 v25, v10, 16, v25
.LBB255_678:                            ;   in Loop: Header=BB255_433 Depth=1
	s_or_b32 exec_lo, exec_lo, s25
.LBB255_679:                            ;   in Loop: Header=BB255_433 Depth=1
	s_delay_alu instid0(SALU_CYCLE_1)
	s_or_b32 exec_lo, exec_lo, s24
.LBB255_680:                            ;   in Loop: Header=BB255_433 Depth=1
	s_delay_alu instid0(SALU_CYCLE_1) | instskip(SKIP_2) | instid1(VALU_DEP_1)
	s_or_b32 exec_lo, exec_lo, s23
	v_lshrrev_b32_e32 v10, 16, v21
	s_mov_b32 s23, exec_lo
	v_and_b32_e32 v26, 0xff, v10
	s_delay_alu instid0(VALU_DEP_1)
	v_cmpx_ne_u16_e32 0, v26
	s_cbranch_execz .LBB255_688
; %bb.681:                              ;   in Loop: Header=BB255_433 Depth=1
	v_mov_b32_e32 v24, 0x8000
	s_mov_b32 s24, exec_lo
	v_cmpx_ne_u16_e32 0x80, v26
	s_cbranch_execz .LBB255_687
; %bb.682:                              ;   in Loop: Header=BB255_433 Depth=1
	v_bfe_u32 v43, v21, 16, 7
	v_mov_b32_e32 v24, 0x7c01
	s_mov_b32 s25, exec_lo
	s_delay_alu instid0(VALU_DEP_2)
	v_cmpx_ne_u32_e32 0x7f, v43
	s_cbranch_execz .LBB255_686
; %bb.683:                              ;   in Loop: Header=BB255_433 Depth=1
	v_dual_lshrrev_b32 v26, 3, v43 :: v_dual_bitop2_b32 v24, 7, v10 bitop3:0x40
	s_mov_b32 s26, exec_lo
	v_cmpx_gt_u32_e32 8, v43
; %bb.684:                              ;   in Loop: Header=BB255_433 Depth=1
	s_delay_alu instid0(VALU_DEP_2) | instskip(NEXT) | instid1(VALU_DEP_1)
	v_clz_i32_u32_e32 v24, v24
	v_min_u32_e32 v24, 32, v24
	s_delay_alu instid0(VALU_DEP_1) | instskip(NEXT) | instid1(VALU_DEP_1)
	v_subrev_nc_u32_e32 v26, 28, v24
	v_lshlrev_b64_e32 v[56:57], v26, v[10:11]
	v_sub_nc_u32_e32 v26, 29, v24
	s_delay_alu instid0(VALU_DEP_2)
	v_and_b32_e32 v24, 7, v56
; %bb.685:                              ;   in Loop: Header=BB255_433 Depth=1
	s_or_b32 exec_lo, exec_lo, s26
	s_delay_alu instid0(VALU_DEP_1) | instskip(NEXT) | instid1(VALU_DEP_3)
	v_dual_lshlrev_b32 v10, 8, v10 :: v_dual_lshlrev_b32 v24, 7, v24
	v_lshl_add_u32 v26, v26, 10, 0x2000
	s_delay_alu instid0(VALU_DEP_2) | instskip(NEXT) | instid1(VALU_DEP_2)
	v_and_b32_e32 v10, 0x8000, v10
	v_and_b32_e32 v26, 0xfc00, v26
	s_delay_alu instid0(VALU_DEP_1)
	v_or3_b32 v24, v10, v26, v24
.LBB255_686:                            ;   in Loop: Header=BB255_433 Depth=1
	s_or_b32 exec_lo, exec_lo, s25
.LBB255_687:                            ;   in Loop: Header=BB255_433 Depth=1
	s_delay_alu instid0(SALU_CYCLE_1)
	s_or_b32 exec_lo, exec_lo, s24
.LBB255_688:                            ;   in Loop: Header=BB255_433 Depth=1
	s_delay_alu instid0(SALU_CYCLE_1)
	s_or_b32 exec_lo, exec_lo, s23
	v_cmp_lt_u64_e64 s0, s[8:9], v[20:21]
	v_mov_b32_e32 v20, 0
	s_and_saveexec_b32 s23, s0
	s_cbranch_execz .LBB255_696
; %bb.689:                              ;   in Loop: Header=BB255_433 Depth=1
	v_lshrrev_b32_e32 v10, 24, v21
	v_bfrev_b32_e32 v20, 1
	s_mov_b32 s24, exec_lo
	s_delay_alu instid0(VALU_DEP_2)
	v_cmpx_ne_u32_e32 0x80, v10
	s_cbranch_execz .LBB255_695
; %bb.690:                              ;   in Loop: Header=BB255_433 Depth=1
	v_and_b32_e32 v26, 0x7f, v10
	v_mov_b32_e32 v20, 0x7c010000
	s_mov_b32 s25, exec_lo
	s_delay_alu instid0(VALU_DEP_2)
	v_cmpx_ne_u32_e32 0x7f, v26
	s_cbranch_execz .LBB255_694
; %bb.691:                              ;   in Loop: Header=BB255_433 Depth=1
	v_and_b32_e32 v20, 7, v10
	v_lshrrev_b32_e32 v21, 3, v26
	s_mov_b32 s26, exec_lo
	v_cmpx_gt_u32_e32 8, v26
; %bb.692:                              ;   in Loop: Header=BB255_433 Depth=1
	s_delay_alu instid0(VALU_DEP_3) | instskip(NEXT) | instid1(VALU_DEP_1)
	v_clz_i32_u32_e32 v20, v20
	v_min_u32_e32 v26, 32, v20
	s_delay_alu instid0(VALU_DEP_1) | instskip(NEXT) | instid1(VALU_DEP_1)
	v_subrev_nc_u32_e32 v20, 28, v26
	v_lshlrev_b64_e32 v[20:21], v20, v[10:11]
	s_delay_alu instid0(VALU_DEP_1)
	v_dual_sub_nc_u32 v21, 29, v26 :: v_dual_bitop2_b32 v20, 7, v20 bitop3:0x40
; %bb.693:                              ;   in Loop: Header=BB255_433 Depth=1
	s_or_b32 exec_lo, exec_lo, s26
	s_delay_alu instid0(VALU_DEP_1) | instskip(NEXT) | instid1(VALU_DEP_2)
	v_dual_lshlrev_b32 v10, 8, v10 :: v_dual_lshlrev_b32 v20, 23, v20
	v_lshl_add_u32 v21, v21, 10, 0x2000
	s_delay_alu instid0(VALU_DEP_1) | instskip(NEXT) | instid1(VALU_DEP_1)
	v_and_or_b32 v10, 0x8000, v10, v21
	v_lshl_or_b32 v20, v10, 16, v20
.LBB255_694:                            ;   in Loop: Header=BB255_433 Depth=1
	s_or_b32 exec_lo, exec_lo, s25
.LBB255_695:                            ;   in Loop: Header=BB255_433 Depth=1
	s_delay_alu instid0(SALU_CYCLE_1)
	s_or_b32 exec_lo, exec_lo, s24
.LBB255_696:                            ;   in Loop: Header=BB255_433 Depth=1
	s_delay_alu instid0(SALU_CYCLE_1) | instskip(SKIP_3) | instid1(VALU_DEP_3)
	s_or_b32 exec_lo, exec_lo, s23
	v_dual_lshrrev_b32 v10, 16, v1 :: v_dual_lshrrev_b32 v21, 16, v19
	v_or_b32_e32 v1, v1, v3
	v_dual_lshrrev_b32 v22, 16, v20 :: v_dual_bitop2_b32 v3, v19, v22 bitop3:0x54
	v_cvt_f32_f16_e32 v57, v10
	s_delay_alu instid0(VALU_DEP_4) | instskip(SKIP_4) | instid1(VALU_DEP_3)
	v_cvt_f32_f16_e32 v56, v21
	v_lshrrev_b32_e32 v19, 16, v25
	v_cvt_f32_f16_e32 v21, v1
	v_cvt_f32_f16_e32 v22, v22
	s_wait_loadcnt 0x0
	v_pk_mul_f32 v[56:57], v[18:19], v[56:57] op_sel_hi:[0,1]
	s_delay_alu instid0(VALU_DEP_1) | instskip(SKIP_4) | instid1(VALU_DEP_3)
	v_cvt_pk_f16_f32 v1, v56, v57
	v_or_b32_e32 v10, v20, v24
	v_cvt_f32_f16_e32 v20, v3
	v_or_b32_e32 v3, v25, v23
	v_cvt_f32_f16_e32 v23, v19
	v_pk_mul_f32 v[20:21], v[18:19], v[20:21] op_sel_hi:[0,1]
	s_delay_alu instid0(VALU_DEP_3) | instskip(NEXT) | instid1(VALU_DEP_3)
	v_cvt_f32_f16_e32 v25, v3
	v_pk_mul_f32 v[22:23], v[18:19], v[22:23] op_sel_hi:[0,1]
	s_delay_alu instid0(VALU_DEP_3) | instskip(SKIP_2) | instid1(VALU_DEP_4)
	v_cvt_pk_f16_f32 v3, v20, v21
	v_lshlrev_b32_e32 v20, 16, v1
	v_cvt_f32_f16_e32 v24, v10
	v_cvt_pk_f16_f32 v10, v22, v23
	s_delay_alu instid0(VALU_DEP_4) | instskip(NEXT) | instid1(VALU_DEP_3)
	v_and_b32_e32 v26, 0xffff, v3
	v_pk_mul_f32 v[24:25], v[18:19], v[24:25] op_sel_hi:[0,1]
	v_and_b32_e32 v19, 0xffff0000, v1
	s_delay_alu instid0(VALU_DEP_4) | instskip(SKIP_1) | instid1(VALU_DEP_4)
	v_and_b32_e32 v1, 0xffff0000, v10
	v_lshlrev_b32_e32 v10, 16, v10
	v_cvt_pk_f16_f32 v18, v24, v25
	v_dual_lshrrev_b32 v25, 16, v3 :: v_dual_bitop2_b32 v24, v20, v26 bitop3:0x54
	s_delay_alu instid0(VALU_DEP_2) | instskip(SKIP_1) | instid1(VALU_DEP_3)
	v_lshrrev_b32_e32 v3, 16, v18
	v_and_b32_e32 v18, 0xffff, v18
	v_or_b32_e32 v23, v19, v25
	s_delay_alu instid0(VALU_DEP_3) | instskip(NEXT) | instid1(VALU_DEP_3)
	v_or_b32_e32 v21, v1, v3
	v_or_b32_e32 v22, v10, v18
	s_and_saveexec_b32 s23, vcc_lo
	s_cbranch_execz .LBB255_698
; %bb.697:                              ;   in Loop: Header=BB255_433 Depth=1
	v_cmp_gt_i32_e64 s0, s18, v35
	s_delay_alu instid0(VALU_DEP_1) | instskip(SKIP_1) | instid1(VALU_DEP_1)
	v_cndmask_b32_e64 v21, 0, v25, s0
	v_cmp_gt_i32_e64 s0, s34, v42
	v_cndmask_b32_e64 v22, 0, v26, s0
	v_cmp_gt_i32_e64 s0, s18, v41
	s_delay_alu instid0(VALU_DEP_1) | instskip(SKIP_1) | instid1(VALU_DEP_1)
	v_cndmask_b32_e64 v19, 0, v19, s0
	v_cmp_gt_i32_e64 s0, s34, v40
	v_cndmask_b32_e64 v20, 0, v20, s0
	v_cmp_gt_i32_e64 s0, s18, v39
	s_delay_alu instid0(VALU_DEP_4) | instskip(NEXT) | instid1(VALU_DEP_2)
	v_or_b32_e32 v23, v19, v21
	v_dual_cndmask_b32 v3, 0, v3, s0 :: v_dual_bitop2_b32 v24, v20, v22 bitop3:0x54
	v_cmp_gt_i32_e64 s0, s34, v38
	s_delay_alu instid0(VALU_DEP_1) | instskip(SKIP_1) | instid1(VALU_DEP_1)
	v_cndmask_b32_e64 v18, 0, v18, s0
	v_cmp_gt_i32_e64 s0, s18, v37
	v_cndmask_b32_e64 v1, 0, v1, s0
	v_cmp_gt_i32_e64 s0, s34, v36
	s_delay_alu instid0(VALU_DEP_1) | instskip(NEXT) | instid1(VALU_DEP_1)
	v_dual_cndmask_b32 v10, 0, v10, s0 :: v_dual_bitop2_b32 v21, v1, v3 bitop3:0x54
	v_or_b32_e32 v22, v10, v18
.LBB255_698:                            ;   in Loop: Header=BB255_433 Depth=1
	s_or_b32 exec_lo, exec_lo, s23
	;;#ASMSTART
	v_pk_mul_f16 v1, v50, v23;

	;;#ASMEND
	;;#ASMSTART
	v_pk_mul_f16 v3, v48, v24;

	;;#ASMEND
	;; [unrolled: 4-line block ×4, first 2 shown]
	;;#ASMSTART
	v_pk_add_f16 v1, v1, v3;

	;;#ASMEND
	;;#ASMSTART
	v_pk_add_f16 v1, v1, v10;

	;;#ASMEND
	;; [unrolled: 4-line block ×3, first 2 shown]
	v_and_b32_e32 v3, 0xffff, v1
	v_lshrrev_b32_e32 v1, 16, v1
	;;#ASMSTART
	v_cvt_f32_f16 v55, v3;
	;;#ASMEND
	v_mov_b32_e32 v3, 0
	;;#ASMSTART
	v_cvt_f32_f16 v56, v1;
	;;#ASMEND
	global_load_b64 v[20:21], v[16:17], off offset:1024
	v_mov_b32_e32 v1, 0
	s_mov_b32 s23, exec_lo
	global_load_b32 v18, v1, s[10:11]
	s_wait_loadcnt 0x1
	v_and_b32_e32 v10, 0xff, v20
	s_wait_xcnt 0x0
	s_delay_alu instid0(VALU_DEP_1)
	v_cmpx_ne_u16_e32 0, v10
	s_cbranch_execz .LBB255_706
; %bb.699:                              ;   in Loop: Header=BB255_433 Depth=1
	v_mov_b32_e32 v3, 0x8000
	s_mov_b32 s24, exec_lo
	v_cmpx_ne_u16_e32 0x80, v10
	s_cbranch_execz .LBB255_705
; %bb.700:                              ;   in Loop: Header=BB255_433 Depth=1
	v_and_b32_e32 v19, 0x7f, v20
	v_mov_b32_e32 v3, 0x7c01
	s_mov_b32 s25, exec_lo
	s_delay_alu instid0(VALU_DEP_2)
	v_cmpx_ne_u32_e32 0x7f, v19
	s_cbranch_execz .LBB255_704
; %bb.701:                              ;   in Loop: Header=BB255_433 Depth=1
	v_dual_lshrrev_b32 v10, 3, v19 :: v_dual_bitop2_b32 v3, 7, v20 bitop3:0x40
	s_mov_b32 s26, exec_lo
	v_cmpx_gt_u32_e32 8, v19
; %bb.702:                              ;   in Loop: Header=BB255_433 Depth=1
	s_delay_alu instid0(VALU_DEP_2) | instskip(NEXT) | instid1(VALU_DEP_1)
	v_clz_i32_u32_e32 v3, v3
	v_min_u32_e32 v3, 32, v3
	s_delay_alu instid0(VALU_DEP_1) | instskip(NEXT) | instid1(VALU_DEP_1)
	v_subrev_nc_u32_e32 v10, 28, v3
	v_lshlrev_b64_e32 v[22:23], v10, v[20:21]
	s_delay_alu instid0(VALU_DEP_1)
	v_dual_sub_nc_u32 v10, 29, v3 :: v_dual_bitop2_b32 v3, 7, v22 bitop3:0x40
; %bb.703:                              ;   in Loop: Header=BB255_433 Depth=1
	s_or_b32 exec_lo, exec_lo, s26
	s_delay_alu instid0(VALU_DEP_1) | instskip(NEXT) | instid1(VALU_DEP_2)
	v_dual_lshlrev_b32 v19, 8, v20 :: v_dual_lshlrev_b32 v3, 7, v3
	v_lshl_add_u32 v10, v10, 10, 0x2000
	s_delay_alu instid0(VALU_DEP_2) | instskip(NEXT) | instid1(VALU_DEP_2)
	v_and_b32_e32 v19, 0x8000, v19
	v_and_b32_e32 v10, 0xfc00, v10
	s_delay_alu instid0(VALU_DEP_1)
	v_or3_b32 v3, v19, v10, v3
.LBB255_704:                            ;   in Loop: Header=BB255_433 Depth=1
	s_or_b32 exec_lo, exec_lo, s25
.LBB255_705:                            ;   in Loop: Header=BB255_433 Depth=1
	s_delay_alu instid0(SALU_CYCLE_1)
	s_or_b32 exec_lo, exec_lo, s24
.LBB255_706:                            ;   in Loop: Header=BB255_433 Depth=1
	s_delay_alu instid0(SALU_CYCLE_1) | instskip(SKIP_2) | instid1(VALU_DEP_1)
	s_or_b32 exec_lo, exec_lo, s23
	v_lshrrev_b16 v10, 8, v20
	s_mov_b32 s23, exec_lo
	v_cmpx_ne_u16_e32 0, v10
	s_cbranch_execz .LBB255_714
; %bb.707:                              ;   in Loop: Header=BB255_433 Depth=1
	v_bfrev_b32_e32 v1, 1
	s_mov_b32 s24, exec_lo
	v_cmpx_ne_u16_e32 0x80, v10
	s_cbranch_execz .LBB255_713
; %bb.708:                              ;   in Loop: Header=BB255_433 Depth=1
	v_and_b32_e32 v19, 0xffff, v10
	v_mov_b32_e32 v1, 0x7c010000
	s_mov_b32 s25, exec_lo
	s_delay_alu instid0(VALU_DEP_2) | instskip(NEXT) | instid1(VALU_DEP_1)
	v_and_b32_e32 v23, 0x7f, v19
	v_cmpx_ne_u32_e32 0x7f, v23
	s_cbranch_execz .LBB255_712
; %bb.709:                              ;   in Loop: Header=BB255_433 Depth=1
	v_and_b32_e32 v1, 7, v19
	v_lshrrev_b32_e32 v22, 3, v23
	s_mov_b32 s26, exec_lo
	v_cmpx_gt_u32_e32 8, v23
; %bb.710:                              ;   in Loop: Header=BB255_433 Depth=1
	s_delay_alu instid0(VALU_DEP_3) | instskip(NEXT) | instid1(VALU_DEP_1)
	v_clz_i32_u32_e32 v1, v1
	v_min_u32_e32 v1, 32, v1
	s_delay_alu instid0(VALU_DEP_1) | instskip(NEXT) | instid1(VALU_DEP_1)
	v_subrev_nc_u32_e32 v22, 28, v1
	v_lshlrev_b64_e32 v[24:25], v22, v[10:11]
	s_delay_alu instid0(VALU_DEP_1)
	v_dual_sub_nc_u32 v22, 29, v1 :: v_dual_bitop2_b32 v1, 7, v24 bitop3:0x40
; %bb.711:                              ;   in Loop: Header=BB255_433 Depth=1
	s_or_b32 exec_lo, exec_lo, s26
	s_delay_alu instid0(VALU_DEP_1) | instskip(NEXT) | instid1(VALU_DEP_2)
	v_dual_lshlrev_b32 v10, 8, v19 :: v_dual_lshlrev_b32 v1, 23, v1
	v_lshl_add_u32 v19, v22, 10, 0x2000
	s_delay_alu instid0(VALU_DEP_1) | instskip(NEXT) | instid1(VALU_DEP_1)
	v_and_or_b32 v10, 0x8000, v10, v19
	v_lshl_or_b32 v1, v10, 16, v1
.LBB255_712:                            ;   in Loop: Header=BB255_433 Depth=1
	s_or_b32 exec_lo, exec_lo, s25
.LBB255_713:                            ;   in Loop: Header=BB255_433 Depth=1
	s_delay_alu instid0(SALU_CYCLE_1)
	s_or_b32 exec_lo, exec_lo, s24
.LBB255_714:                            ;   in Loop: Header=BB255_433 Depth=1
	s_delay_alu instid0(SALU_CYCLE_1) | instskip(SKIP_3) | instid1(VALU_DEP_2)
	s_or_b32 exec_lo, exec_lo, s23
	v_dual_mov_b32 v19, 0 :: v_dual_lshrrev_b32 v10, 16, v20
	v_mov_b32_e32 v22, 0
	s_mov_b32 s23, exec_lo
	v_and_b32_e32 v23, 0xff, v10
	s_delay_alu instid0(VALU_DEP_1)
	v_cmpx_ne_u16_e32 0, v23
	s_cbranch_execz .LBB255_722
; %bb.715:                              ;   in Loop: Header=BB255_433 Depth=1
	v_mov_b32_e32 v22, 0x8000
	s_mov_b32 s24, exec_lo
	v_cmpx_ne_u16_e32 0x80, v23
	s_cbranch_execz .LBB255_721
; %bb.716:                              ;   in Loop: Header=BB255_433 Depth=1
	v_bfe_u32 v24, v20, 16, 7
	v_mov_b32_e32 v22, 0x7c01
	s_mov_b32 s25, exec_lo
	s_delay_alu instid0(VALU_DEP_2)
	v_cmpx_ne_u32_e32 0x7f, v24
	s_cbranch_execz .LBB255_720
; %bb.717:                              ;   in Loop: Header=BB255_433 Depth=1
	v_dual_lshrrev_b32 v23, 3, v24 :: v_dual_bitop2_b32 v22, 7, v10 bitop3:0x40
	s_mov_b32 s26, exec_lo
	v_cmpx_gt_u32_e32 8, v24
; %bb.718:                              ;   in Loop: Header=BB255_433 Depth=1
	s_delay_alu instid0(VALU_DEP_2) | instskip(NEXT) | instid1(VALU_DEP_1)
	v_clz_i32_u32_e32 v22, v22
	v_min_u32_e32 v24, 32, v22
	s_delay_alu instid0(VALU_DEP_1) | instskip(NEXT) | instid1(VALU_DEP_1)
	v_subrev_nc_u32_e32 v22, 28, v24
	v_lshlrev_b64_e32 v[22:23], v22, v[10:11]
	s_delay_alu instid0(VALU_DEP_1)
	v_dual_sub_nc_u32 v23, 29, v24 :: v_dual_bitop2_b32 v22, 7, v22 bitop3:0x40
; %bb.719:                              ;   in Loop: Header=BB255_433 Depth=1
	s_or_b32 exec_lo, exec_lo, s26
	v_lshlrev_b32_e32 v10, 8, v10
	s_delay_alu instid0(VALU_DEP_2) | instskip(NEXT) | instid1(VALU_DEP_3)
	v_lshl_add_u32 v23, v23, 10, 0x2000
	v_lshlrev_b32_e32 v22, 7, v22
	s_delay_alu instid0(VALU_DEP_3) | instskip(NEXT) | instid1(VALU_DEP_3)
	v_and_b32_e32 v10, 0x8000, v10
	v_and_b32_e32 v23, 0xfc00, v23
	s_delay_alu instid0(VALU_DEP_1)
	v_or3_b32 v22, v10, v23, v22
.LBB255_720:                            ;   in Loop: Header=BB255_433 Depth=1
	s_or_b32 exec_lo, exec_lo, s25
.LBB255_721:                            ;   in Loop: Header=BB255_433 Depth=1
	s_delay_alu instid0(SALU_CYCLE_1)
	s_or_b32 exec_lo, exec_lo, s24
.LBB255_722:                            ;   in Loop: Header=BB255_433 Depth=1
	s_delay_alu instid0(SALU_CYCLE_1) | instskip(NEXT) | instid1(SALU_CYCLE_1)
	s_or_b32 exec_lo, exec_lo, s23
	s_mov_b32 s23, exec_lo
	v_cmpx_lt_u32_e32 0xffffff, v20
	s_cbranch_execz .LBB255_730
; %bb.723:                              ;   in Loop: Header=BB255_433 Depth=1
	v_lshrrev_b32_e32 v10, 24, v20
	v_bfrev_b32_e32 v19, 1
	s_mov_b32 s24, exec_lo
	s_delay_alu instid0(VALU_DEP_2)
	v_cmpx_ne_u32_e32 0x80, v10
	s_cbranch_execz .LBB255_729
; %bb.724:                              ;   in Loop: Header=BB255_433 Depth=1
	v_and_b32_e32 v24, 0x7f, v10
	v_mov_b32_e32 v19, 0x7c010000
	s_mov_b32 s25, exec_lo
	s_delay_alu instid0(VALU_DEP_2)
	v_cmpx_ne_u32_e32 0x7f, v24
	s_cbranch_execz .LBB255_728
; %bb.725:                              ;   in Loop: Header=BB255_433 Depth=1
	v_dual_lshrrev_b32 v23, 3, v24 :: v_dual_bitop2_b32 v19, 7, v10 bitop3:0x40
	s_mov_b32 s26, exec_lo
	v_cmpx_gt_u32_e32 8, v24
; %bb.726:                              ;   in Loop: Header=BB255_433 Depth=1
	s_delay_alu instid0(VALU_DEP_2) | instskip(NEXT) | instid1(VALU_DEP_1)
	v_clz_i32_u32_e32 v19, v19
	v_min_u32_e32 v19, 32, v19
	s_delay_alu instid0(VALU_DEP_1) | instskip(NEXT) | instid1(VALU_DEP_1)
	v_subrev_nc_u32_e32 v23, 28, v19
	v_lshlrev_b64_e32 v[24:25], v23, v[10:11]
	s_delay_alu instid0(VALU_DEP_1)
	v_dual_sub_nc_u32 v23, 29, v19 :: v_dual_bitop2_b32 v19, 7, v24 bitop3:0x40
; %bb.727:                              ;   in Loop: Header=BB255_433 Depth=1
	s_or_b32 exec_lo, exec_lo, s26
	s_delay_alu instid0(VALU_DEP_1) | instskip(NEXT) | instid1(VALU_DEP_2)
	v_dual_lshlrev_b32 v10, 8, v10 :: v_dual_lshlrev_b32 v19, 23, v19
	v_lshl_add_u32 v23, v23, 10, 0x2000
	s_delay_alu instid0(VALU_DEP_1) | instskip(NEXT) | instid1(VALU_DEP_1)
	v_and_or_b32 v10, 0x8000, v10, v23
	v_lshl_or_b32 v19, v10, 16, v19
.LBB255_728:                            ;   in Loop: Header=BB255_433 Depth=1
	s_or_b32 exec_lo, exec_lo, s25
.LBB255_729:                            ;   in Loop: Header=BB255_433 Depth=1
	s_delay_alu instid0(SALU_CYCLE_1)
	s_or_b32 exec_lo, exec_lo, s24
.LBB255_730:                            ;   in Loop: Header=BB255_433 Depth=1
	s_delay_alu instid0(SALU_CYCLE_1) | instskip(SKIP_4) | instid1(VALU_DEP_3)
	s_or_b32 exec_lo, exec_lo, s23
	v_and_b32_e32 v25, 0xff, v21
	v_dual_mov_b32 v10, v21 :: v_dual_mov_b32 v24, 0
	v_mov_b32_e32 v23, 0
	s_mov_b32 s23, exec_lo
	v_cmpx_ne_u16_e32 0, v25
	s_cbranch_execz .LBB255_738
; %bb.731:                              ;   in Loop: Header=BB255_433 Depth=1
	v_mov_b32_e32 v23, 0x8000
	s_mov_b32 s24, exec_lo
	v_cmpx_ne_u16_e32 0x80, v25
	s_cbranch_execz .LBB255_737
; %bb.732:                              ;   in Loop: Header=BB255_433 Depth=1
	v_and_b32_e32 v26, 0x7f, v21
	v_mov_b32_e32 v23, 0x7c01
	s_mov_b32 s25, exec_lo
	s_delay_alu instid0(VALU_DEP_2)
	v_cmpx_ne_u32_e32 0x7f, v26
	s_cbranch_execz .LBB255_736
; %bb.733:                              ;   in Loop: Header=BB255_433 Depth=1
	v_dual_lshrrev_b32 v25, 3, v26 :: v_dual_bitop2_b32 v23, 7, v21 bitop3:0x40
	s_mov_b32 s26, exec_lo
	v_cmpx_gt_u32_e32 8, v26
; %bb.734:                              ;   in Loop: Header=BB255_433 Depth=1
	s_delay_alu instid0(VALU_DEP_2) | instskip(NEXT) | instid1(VALU_DEP_1)
	v_clz_i32_u32_e32 v23, v23
	v_min_u32_e32 v23, 32, v23
	s_delay_alu instid0(VALU_DEP_1) | instskip(NEXT) | instid1(VALU_DEP_1)
	v_subrev_nc_u32_e32 v25, 28, v23
	v_lshlrev_b64_e32 v[58:59], v25, v[10:11]
	s_delay_alu instid0(VALU_DEP_1)
	v_dual_sub_nc_u32 v25, 29, v23 :: v_dual_bitop2_b32 v23, 7, v58 bitop3:0x40
; %bb.735:                              ;   in Loop: Header=BB255_433 Depth=1
	s_or_b32 exec_lo, exec_lo, s26
	s_delay_alu instid0(VALU_DEP_1) | instskip(NEXT) | instid1(VALU_DEP_2)
	v_dual_lshlrev_b32 v26, 8, v21 :: v_dual_lshlrev_b32 v23, 7, v23
	v_lshl_add_u32 v25, v25, 10, 0x2000
	s_delay_alu instid0(VALU_DEP_2) | instskip(NEXT) | instid1(VALU_DEP_2)
	v_and_b32_e32 v26, 0x8000, v26
	v_and_b32_e32 v25, 0xfc00, v25
	s_delay_alu instid0(VALU_DEP_1)
	v_or3_b32 v23, v26, v25, v23
.LBB255_736:                            ;   in Loop: Header=BB255_433 Depth=1
	s_or_b32 exec_lo, exec_lo, s25
.LBB255_737:                            ;   in Loop: Header=BB255_433 Depth=1
	s_delay_alu instid0(SALU_CYCLE_1)
	s_or_b32 exec_lo, exec_lo, s24
.LBB255_738:                            ;   in Loop: Header=BB255_433 Depth=1
	s_delay_alu instid0(SALU_CYCLE_1) | instskip(SKIP_3) | instid1(VALU_DEP_2)
	s_or_b32 exec_lo, exec_lo, s23
	v_lshrrev_b16 v10, 8, v10
	v_mov_b32_e32 v25, 0
	s_mov_b32 s23, exec_lo
	v_cmpx_ne_u16_e32 0, v10
	s_cbranch_execz .LBB255_746
; %bb.739:                              ;   in Loop: Header=BB255_433 Depth=1
	v_bfrev_b32_e32 v25, 1
	s_mov_b32 s24, exec_lo
	v_cmpx_ne_u16_e32 0x80, v10
	s_cbranch_execz .LBB255_745
; %bb.740:                              ;   in Loop: Header=BB255_433 Depth=1
	v_and_b32_e32 v26, 0xffff, v10
	v_mov_b32_e32 v25, 0x7c010000
	s_mov_b32 s25, exec_lo
	s_delay_alu instid0(VALU_DEP_2) | instskip(NEXT) | instid1(VALU_DEP_1)
	v_and_b32_e32 v44, 0x7f, v26
	v_cmpx_ne_u32_e32 0x7f, v44
	s_cbranch_execz .LBB255_744
; %bb.741:                              ;   in Loop: Header=BB255_433 Depth=1
	v_dual_lshrrev_b32 v43, 3, v44 :: v_dual_bitop2_b32 v25, 7, v26 bitop3:0x40
	s_mov_b32 s26, exec_lo
	v_cmpx_gt_u32_e32 8, v44
; %bb.742:                              ;   in Loop: Header=BB255_433 Depth=1
	s_delay_alu instid0(VALU_DEP_2) | instskip(NEXT) | instid1(VALU_DEP_1)
	v_clz_i32_u32_e32 v25, v25
	v_min_u32_e32 v25, 32, v25
	s_delay_alu instid0(VALU_DEP_1) | instskip(NEXT) | instid1(VALU_DEP_1)
	v_subrev_nc_u32_e32 v43, 28, v25
	v_lshlrev_b64_e32 v[58:59], v43, v[10:11]
	s_delay_alu instid0(VALU_DEP_1)
	v_dual_sub_nc_u32 v43, 29, v25 :: v_dual_bitop2_b32 v25, 7, v58 bitop3:0x40
; %bb.743:                              ;   in Loop: Header=BB255_433 Depth=1
	s_or_b32 exec_lo, exec_lo, s26
	s_delay_alu instid0(VALU_DEP_1) | instskip(NEXT) | instid1(VALU_DEP_2)
	v_dual_lshlrev_b32 v10, 8, v26 :: v_dual_lshlrev_b32 v25, 23, v25
	v_lshl_add_u32 v26, v43, 10, 0x2000
	s_delay_alu instid0(VALU_DEP_1) | instskip(NEXT) | instid1(VALU_DEP_1)
	v_and_or_b32 v10, 0x8000, v10, v26
	v_lshl_or_b32 v25, v10, 16, v25
.LBB255_744:                            ;   in Loop: Header=BB255_433 Depth=1
	s_or_b32 exec_lo, exec_lo, s25
.LBB255_745:                            ;   in Loop: Header=BB255_433 Depth=1
	s_delay_alu instid0(SALU_CYCLE_1)
	s_or_b32 exec_lo, exec_lo, s24
.LBB255_746:                            ;   in Loop: Header=BB255_433 Depth=1
	s_delay_alu instid0(SALU_CYCLE_1) | instskip(SKIP_2) | instid1(VALU_DEP_1)
	s_or_b32 exec_lo, exec_lo, s23
	v_lshrrev_b32_e32 v10, 16, v21
	s_mov_b32 s23, exec_lo
	v_and_b32_e32 v26, 0xff, v10
	s_delay_alu instid0(VALU_DEP_1)
	v_cmpx_ne_u16_e32 0, v26
	s_cbranch_execz .LBB255_754
; %bb.747:                              ;   in Loop: Header=BB255_433 Depth=1
	v_mov_b32_e32 v24, 0x8000
	s_mov_b32 s24, exec_lo
	v_cmpx_ne_u16_e32 0x80, v26
	s_cbranch_execz .LBB255_753
; %bb.748:                              ;   in Loop: Header=BB255_433 Depth=1
	v_bfe_u32 v43, v21, 16, 7
	v_mov_b32_e32 v24, 0x7c01
	s_mov_b32 s25, exec_lo
	s_delay_alu instid0(VALU_DEP_2)
	v_cmpx_ne_u32_e32 0x7f, v43
	s_cbranch_execz .LBB255_752
; %bb.749:                              ;   in Loop: Header=BB255_433 Depth=1
	v_dual_lshrrev_b32 v26, 3, v43 :: v_dual_bitop2_b32 v24, 7, v10 bitop3:0x40
	s_mov_b32 s26, exec_lo
	v_cmpx_gt_u32_e32 8, v43
; %bb.750:                              ;   in Loop: Header=BB255_433 Depth=1
	s_delay_alu instid0(VALU_DEP_2) | instskip(NEXT) | instid1(VALU_DEP_1)
	v_clz_i32_u32_e32 v24, v24
	v_min_u32_e32 v24, 32, v24
	s_delay_alu instid0(VALU_DEP_1) | instskip(NEXT) | instid1(VALU_DEP_1)
	v_subrev_nc_u32_e32 v26, 28, v24
	v_lshlrev_b64_e32 v[58:59], v26, v[10:11]
	s_delay_alu instid0(VALU_DEP_1)
	v_dual_sub_nc_u32 v26, 29, v24 :: v_dual_bitop2_b32 v24, 7, v58 bitop3:0x40
; %bb.751:                              ;   in Loop: Header=BB255_433 Depth=1
	s_or_b32 exec_lo, exec_lo, s26
	s_delay_alu instid0(VALU_DEP_1) | instskip(NEXT) | instid1(VALU_DEP_2)
	v_dual_lshlrev_b32 v10, 8, v10 :: v_dual_lshlrev_b32 v24, 7, v24
	v_lshl_add_u32 v26, v26, 10, 0x2000
	s_delay_alu instid0(VALU_DEP_2) | instskip(NEXT) | instid1(VALU_DEP_2)
	v_and_b32_e32 v10, 0x8000, v10
	v_and_b32_e32 v26, 0xfc00, v26
	s_delay_alu instid0(VALU_DEP_1)
	v_or3_b32 v24, v10, v26, v24
.LBB255_752:                            ;   in Loop: Header=BB255_433 Depth=1
	s_or_b32 exec_lo, exec_lo, s25
.LBB255_753:                            ;   in Loop: Header=BB255_433 Depth=1
	s_delay_alu instid0(SALU_CYCLE_1)
	s_or_b32 exec_lo, exec_lo, s24
.LBB255_754:                            ;   in Loop: Header=BB255_433 Depth=1
	s_delay_alu instid0(SALU_CYCLE_1)
	s_or_b32 exec_lo, exec_lo, s23
	v_cmp_lt_u64_e64 s0, s[8:9], v[20:21]
	v_mov_b32_e32 v20, 0
	s_and_saveexec_b32 s23, s0
	s_cbranch_execz .LBB255_762
; %bb.755:                              ;   in Loop: Header=BB255_433 Depth=1
	v_lshrrev_b32_e32 v10, 24, v21
	v_bfrev_b32_e32 v20, 1
	s_mov_b32 s24, exec_lo
	s_delay_alu instid0(VALU_DEP_2)
	v_cmpx_ne_u32_e32 0x80, v10
	s_cbranch_execz .LBB255_761
; %bb.756:                              ;   in Loop: Header=BB255_433 Depth=1
	v_and_b32_e32 v26, 0x7f, v10
	v_mov_b32_e32 v20, 0x7c010000
	s_mov_b32 s25, exec_lo
	s_delay_alu instid0(VALU_DEP_2)
	v_cmpx_ne_u32_e32 0x7f, v26
	s_cbranch_execz .LBB255_760
; %bb.757:                              ;   in Loop: Header=BB255_433 Depth=1
	v_and_b32_e32 v20, 7, v10
	v_lshrrev_b32_e32 v21, 3, v26
	s_mov_b32 s26, exec_lo
	v_cmpx_gt_u32_e32 8, v26
; %bb.758:                              ;   in Loop: Header=BB255_433 Depth=1
	s_delay_alu instid0(VALU_DEP_3) | instskip(NEXT) | instid1(VALU_DEP_1)
	v_clz_i32_u32_e32 v20, v20
	v_min_u32_e32 v26, 32, v20
	s_delay_alu instid0(VALU_DEP_1) | instskip(NEXT) | instid1(VALU_DEP_1)
	v_subrev_nc_u32_e32 v20, 28, v26
	v_lshlrev_b64_e32 v[20:21], v20, v[10:11]
	s_delay_alu instid0(VALU_DEP_1)
	v_dual_sub_nc_u32 v21, 29, v26 :: v_dual_bitop2_b32 v20, 7, v20 bitop3:0x40
; %bb.759:                              ;   in Loop: Header=BB255_433 Depth=1
	s_or_b32 exec_lo, exec_lo, s26
	s_delay_alu instid0(VALU_DEP_1) | instskip(NEXT) | instid1(VALU_DEP_2)
	v_dual_lshlrev_b32 v10, 8, v10 :: v_dual_lshlrev_b32 v20, 23, v20
	v_lshl_add_u32 v21, v21, 10, 0x2000
	s_delay_alu instid0(VALU_DEP_1) | instskip(NEXT) | instid1(VALU_DEP_1)
	v_and_or_b32 v10, 0x8000, v10, v21
	v_lshl_or_b32 v20, v10, 16, v20
.LBB255_760:                            ;   in Loop: Header=BB255_433 Depth=1
	s_or_b32 exec_lo, exec_lo, s25
.LBB255_761:                            ;   in Loop: Header=BB255_433 Depth=1
	s_delay_alu instid0(SALU_CYCLE_1)
	s_or_b32 exec_lo, exec_lo, s24
.LBB255_762:                            ;   in Loop: Header=BB255_433 Depth=1
	s_delay_alu instid0(SALU_CYCLE_1) | instskip(SKIP_3) | instid1(VALU_DEP_3)
	s_or_b32 exec_lo, exec_lo, s23
	v_dual_lshrrev_b32 v10, 16, v1 :: v_dual_lshrrev_b32 v21, 16, v19
	v_or_b32_e32 v1, v1, v3
	v_dual_lshrrev_b32 v22, 16, v20 :: v_dual_bitop2_b32 v3, v19, v22 bitop3:0x54
	v_cvt_f32_f16_e32 v59, v10
	s_delay_alu instid0(VALU_DEP_4) | instskip(SKIP_4) | instid1(VALU_DEP_3)
	v_cvt_f32_f16_e32 v58, v21
	v_lshrrev_b32_e32 v19, 16, v25
	v_cvt_f32_f16_e32 v21, v1
	v_cvt_f32_f16_e32 v22, v22
	s_wait_loadcnt 0x0
	v_pk_mul_f32 v[58:59], v[18:19], v[58:59] op_sel_hi:[0,1]
	s_delay_alu instid0(VALU_DEP_1) | instskip(SKIP_4) | instid1(VALU_DEP_3)
	v_cvt_pk_f16_f32 v1, v58, v59
	v_or_b32_e32 v10, v20, v24
	v_cvt_f32_f16_e32 v20, v3
	v_or_b32_e32 v3, v25, v23
	v_cvt_f32_f16_e32 v23, v19
	v_pk_mul_f32 v[20:21], v[18:19], v[20:21] op_sel_hi:[0,1]
	s_delay_alu instid0(VALU_DEP_3) | instskip(NEXT) | instid1(VALU_DEP_3)
	v_cvt_f32_f16_e32 v25, v3
	v_pk_mul_f32 v[22:23], v[18:19], v[22:23] op_sel_hi:[0,1]
	s_delay_alu instid0(VALU_DEP_3) | instskip(SKIP_2) | instid1(VALU_DEP_4)
	v_cvt_pk_f16_f32 v3, v20, v21
	v_lshlrev_b32_e32 v20, 16, v1
	v_cvt_f32_f16_e32 v24, v10
	v_cvt_pk_f16_f32 v10, v22, v23
	s_delay_alu instid0(VALU_DEP_4) | instskip(NEXT) | instid1(VALU_DEP_3)
	v_and_b32_e32 v26, 0xffff, v3
	v_pk_mul_f32 v[24:25], v[18:19], v[24:25] op_sel_hi:[0,1]
	v_and_b32_e32 v19, 0xffff0000, v1
	s_delay_alu instid0(VALU_DEP_4) | instskip(SKIP_1) | instid1(VALU_DEP_4)
	v_and_b32_e32 v1, 0xffff0000, v10
	v_lshlrev_b32_e32 v10, 16, v10
	v_cvt_pk_f16_f32 v18, v24, v25
	v_dual_lshrrev_b32 v25, 16, v3 :: v_dual_bitop2_b32 v24, v20, v26 bitop3:0x54
	s_delay_alu instid0(VALU_DEP_2) | instskip(SKIP_1) | instid1(VALU_DEP_3)
	v_lshrrev_b32_e32 v3, 16, v18
	v_and_b32_e32 v18, 0xffff, v18
	v_or_b32_e32 v23, v19, v25
	s_delay_alu instid0(VALU_DEP_3) | instskip(NEXT) | instid1(VALU_DEP_3)
	v_or_b32_e32 v21, v1, v3
	v_or_b32_e32 v22, v10, v18
	s_and_saveexec_b32 s23, vcc_lo
	s_cbranch_execz .LBB255_764
; %bb.763:                              ;   in Loop: Header=BB255_433 Depth=1
	v_cmp_gt_i32_e64 s0, s18, v35
	s_delay_alu instid0(VALU_DEP_1) | instskip(SKIP_1) | instid1(VALU_DEP_1)
	v_cndmask_b32_e64 v21, 0, v25, s0
	v_cmp_gt_i32_e64 s0, s34, v42
	v_cndmask_b32_e64 v22, 0, v26, s0
	v_cmp_gt_i32_e64 s0, s18, v41
	s_delay_alu instid0(VALU_DEP_1) | instskip(SKIP_1) | instid1(VALU_DEP_1)
	v_cndmask_b32_e64 v19, 0, v19, s0
	v_cmp_gt_i32_e64 s0, s34, v40
	v_cndmask_b32_e64 v20, 0, v20, s0
	v_cmp_gt_i32_e64 s0, s18, v39
	s_delay_alu instid0(VALU_DEP_4) | instskip(NEXT) | instid1(VALU_DEP_2)
	v_or_b32_e32 v23, v19, v21
	v_dual_cndmask_b32 v3, 0, v3, s0 :: v_dual_bitop2_b32 v24, v20, v22 bitop3:0x54
	v_cmp_gt_i32_e64 s0, s34, v38
	s_delay_alu instid0(VALU_DEP_1) | instskip(SKIP_1) | instid1(VALU_DEP_1)
	v_cndmask_b32_e64 v18, 0, v18, s0
	v_cmp_gt_i32_e64 s0, s18, v37
	v_cndmask_b32_e64 v1, 0, v1, s0
	v_cmp_gt_i32_e64 s0, s34, v36
	s_delay_alu instid0(VALU_DEP_1) | instskip(NEXT) | instid1(VALU_DEP_1)
	v_dual_cndmask_b32 v10, 0, v10, s0 :: v_dual_bitop2_b32 v21, v1, v3 bitop3:0x54
	v_or_b32_e32 v22, v10, v18
.LBB255_764:                            ;   in Loop: Header=BB255_433 Depth=1
	s_or_b32 exec_lo, exec_lo, s23
	;;#ASMSTART
	v_pk_mul_f16 v1, v50, v23;

	;;#ASMEND
	;;#ASMSTART
	v_pk_mul_f16 v3, v48, v24;

	;;#ASMEND
	;; [unrolled: 4-line block ×4, first 2 shown]
	;;#ASMSTART
	v_pk_add_f16 v1, v1, v3;

	;;#ASMEND
	;;#ASMSTART
	v_pk_add_f16 v1, v1, v10;

	;;#ASMEND
	;; [unrolled: 4-line block ×3, first 2 shown]
	v_and_b32_e32 v3, 0xffff, v1
	v_lshrrev_b32_e32 v1, 16, v1
	;;#ASMSTART
	v_cvt_f32_f16 v43, v3;
	;;#ASMEND
	v_mov_b32_e32 v3, 0
	;;#ASMSTART
	v_cvt_f32_f16 v44, v1;
	;;#ASMEND
	global_load_b64 v[18:19], v[16:17], off offset:1280
	v_mov_b32_e32 v1, 0
	s_mov_b32 s23, exec_lo
	global_load_b32 v16, v1, s[10:11]
	s_wait_loadcnt 0x1
	v_and_b32_e32 v10, 0xff, v18
	s_wait_xcnt 0x0
	s_delay_alu instid0(VALU_DEP_1)
	v_cmpx_ne_u16_e32 0, v10
	s_cbranch_execz .LBB255_772
; %bb.765:                              ;   in Loop: Header=BB255_433 Depth=1
	v_mov_b32_e32 v3, 0x8000
	s_mov_b32 s24, exec_lo
	v_cmpx_ne_u16_e32 0x80, v10
	s_cbranch_execz .LBB255_771
; %bb.766:                              ;   in Loop: Header=BB255_433 Depth=1
	v_and_b32_e32 v17, 0x7f, v18
	v_mov_b32_e32 v3, 0x7c01
	s_mov_b32 s25, exec_lo
	s_delay_alu instid0(VALU_DEP_2)
	v_cmpx_ne_u32_e32 0x7f, v17
	s_cbranch_execz .LBB255_770
; %bb.767:                              ;   in Loop: Header=BB255_433 Depth=1
	v_dual_lshrrev_b32 v10, 3, v17 :: v_dual_bitop2_b32 v3, 7, v18 bitop3:0x40
	s_mov_b32 s26, exec_lo
	v_cmpx_gt_u32_e32 8, v17
; %bb.768:                              ;   in Loop: Header=BB255_433 Depth=1
	s_delay_alu instid0(VALU_DEP_2) | instskip(NEXT) | instid1(VALU_DEP_1)
	v_clz_i32_u32_e32 v3, v3
	v_min_u32_e32 v3, 32, v3
	s_delay_alu instid0(VALU_DEP_1) | instskip(NEXT) | instid1(VALU_DEP_1)
	v_subrev_nc_u32_e32 v10, 28, v3
	v_lshlrev_b64_e32 v[20:21], v10, v[18:19]
	s_delay_alu instid0(VALU_DEP_1)
	v_dual_sub_nc_u32 v10, 29, v3 :: v_dual_bitop2_b32 v3, 7, v20 bitop3:0x40
; %bb.769:                              ;   in Loop: Header=BB255_433 Depth=1
	s_or_b32 exec_lo, exec_lo, s26
	s_delay_alu instid0(VALU_DEP_1) | instskip(NEXT) | instid1(VALU_DEP_2)
	v_dual_lshlrev_b32 v17, 8, v18 :: v_dual_lshlrev_b32 v3, 7, v3
	v_lshl_add_u32 v10, v10, 10, 0x2000
	s_delay_alu instid0(VALU_DEP_2) | instskip(NEXT) | instid1(VALU_DEP_2)
	v_and_b32_e32 v17, 0x8000, v17
	v_and_b32_e32 v10, 0xfc00, v10
	s_delay_alu instid0(VALU_DEP_1)
	v_or3_b32 v3, v17, v10, v3
.LBB255_770:                            ;   in Loop: Header=BB255_433 Depth=1
	s_or_b32 exec_lo, exec_lo, s25
.LBB255_771:                            ;   in Loop: Header=BB255_433 Depth=1
	s_delay_alu instid0(SALU_CYCLE_1)
	s_or_b32 exec_lo, exec_lo, s24
.LBB255_772:                            ;   in Loop: Header=BB255_433 Depth=1
	s_delay_alu instid0(SALU_CYCLE_1) | instskip(SKIP_2) | instid1(VALU_DEP_1)
	s_or_b32 exec_lo, exec_lo, s23
	v_lshrrev_b16 v10, 8, v18
	s_mov_b32 s23, exec_lo
	v_cmpx_ne_u16_e32 0, v10
	s_cbranch_execz .LBB255_780
; %bb.773:                              ;   in Loop: Header=BB255_433 Depth=1
	v_bfrev_b32_e32 v1, 1
	s_mov_b32 s24, exec_lo
	v_cmpx_ne_u16_e32 0x80, v10
	s_cbranch_execz .LBB255_779
; %bb.774:                              ;   in Loop: Header=BB255_433 Depth=1
	v_and_b32_e32 v17, 0xffff, v10
	v_mov_b32_e32 v1, 0x7c010000
	s_mov_b32 s25, exec_lo
	s_delay_alu instid0(VALU_DEP_2) | instskip(NEXT) | instid1(VALU_DEP_1)
	v_and_b32_e32 v21, 0x7f, v17
	v_cmpx_ne_u32_e32 0x7f, v21
	s_cbranch_execz .LBB255_778
; %bb.775:                              ;   in Loop: Header=BB255_433 Depth=1
	v_and_b32_e32 v1, 7, v17
	v_lshrrev_b32_e32 v20, 3, v21
	s_mov_b32 s26, exec_lo
	v_cmpx_gt_u32_e32 8, v21
; %bb.776:                              ;   in Loop: Header=BB255_433 Depth=1
	s_delay_alu instid0(VALU_DEP_3) | instskip(NEXT) | instid1(VALU_DEP_1)
	v_clz_i32_u32_e32 v1, v1
	v_min_u32_e32 v1, 32, v1
	s_delay_alu instid0(VALU_DEP_1) | instskip(NEXT) | instid1(VALU_DEP_1)
	v_subrev_nc_u32_e32 v20, 28, v1
	v_lshlrev_b64_e32 v[22:23], v20, v[10:11]
	s_delay_alu instid0(VALU_DEP_1)
	v_dual_sub_nc_u32 v20, 29, v1 :: v_dual_bitop2_b32 v1, 7, v22 bitop3:0x40
; %bb.777:                              ;   in Loop: Header=BB255_433 Depth=1
	s_or_b32 exec_lo, exec_lo, s26
	v_lshlrev_b32_e32 v10, 8, v17
	s_delay_alu instid0(VALU_DEP_2) | instskip(NEXT) | instid1(VALU_DEP_3)
	v_lshl_add_u32 v17, v20, 10, 0x2000
	v_lshlrev_b32_e32 v1, 23, v1
	s_delay_alu instid0(VALU_DEP_2) | instskip(NEXT) | instid1(VALU_DEP_1)
	v_and_or_b32 v10, 0x8000, v10, v17
	v_lshl_or_b32 v1, v10, 16, v1
.LBB255_778:                            ;   in Loop: Header=BB255_433 Depth=1
	s_or_b32 exec_lo, exec_lo, s25
.LBB255_779:                            ;   in Loop: Header=BB255_433 Depth=1
	s_delay_alu instid0(SALU_CYCLE_1)
	s_or_b32 exec_lo, exec_lo, s24
.LBB255_780:                            ;   in Loop: Header=BB255_433 Depth=1
	s_delay_alu instid0(SALU_CYCLE_1) | instskip(SKIP_3) | instid1(VALU_DEP_2)
	s_or_b32 exec_lo, exec_lo, s23
	v_dual_mov_b32 v17, 0 :: v_dual_lshrrev_b32 v10, 16, v18
	v_mov_b32_e32 v20, 0
	s_mov_b32 s23, exec_lo
	v_and_b32_e32 v21, 0xff, v10
	s_delay_alu instid0(VALU_DEP_1)
	v_cmpx_ne_u16_e32 0, v21
	s_cbranch_execz .LBB255_788
; %bb.781:                              ;   in Loop: Header=BB255_433 Depth=1
	v_mov_b32_e32 v20, 0x8000
	s_mov_b32 s24, exec_lo
	v_cmpx_ne_u16_e32 0x80, v21
	s_cbranch_execz .LBB255_787
; %bb.782:                              ;   in Loop: Header=BB255_433 Depth=1
	v_bfe_u32 v22, v18, 16, 7
	v_mov_b32_e32 v20, 0x7c01
	s_mov_b32 s25, exec_lo
	s_delay_alu instid0(VALU_DEP_2)
	v_cmpx_ne_u32_e32 0x7f, v22
	s_cbranch_execz .LBB255_786
; %bb.783:                              ;   in Loop: Header=BB255_433 Depth=1
	v_and_b32_e32 v20, 7, v10
	v_lshrrev_b32_e32 v21, 3, v22
	s_mov_b32 s26, exec_lo
	v_cmpx_gt_u32_e32 8, v22
; %bb.784:                              ;   in Loop: Header=BB255_433 Depth=1
	s_delay_alu instid0(VALU_DEP_3) | instskip(NEXT) | instid1(VALU_DEP_1)
	v_clz_i32_u32_e32 v20, v20
	v_min_u32_e32 v22, 32, v20
	s_delay_alu instid0(VALU_DEP_1) | instskip(NEXT) | instid1(VALU_DEP_1)
	v_subrev_nc_u32_e32 v20, 28, v22
	v_lshlrev_b64_e32 v[20:21], v20, v[10:11]
	s_delay_alu instid0(VALU_DEP_1)
	v_dual_sub_nc_u32 v21, 29, v22 :: v_dual_bitop2_b32 v20, 7, v20 bitop3:0x40
; %bb.785:                              ;   in Loop: Header=BB255_433 Depth=1
	s_or_b32 exec_lo, exec_lo, s26
	s_delay_alu instid0(VALU_DEP_1) | instskip(NEXT) | instid1(VALU_DEP_2)
	v_dual_lshlrev_b32 v10, 8, v10 :: v_dual_lshlrev_b32 v20, 7, v20
	v_lshl_add_u32 v21, v21, 10, 0x2000
	s_delay_alu instid0(VALU_DEP_2) | instskip(NEXT) | instid1(VALU_DEP_2)
	v_and_b32_e32 v10, 0x8000, v10
	v_and_b32_e32 v21, 0xfc00, v21
	s_delay_alu instid0(VALU_DEP_1)
	v_or3_b32 v20, v10, v21, v20
.LBB255_786:                            ;   in Loop: Header=BB255_433 Depth=1
	s_or_b32 exec_lo, exec_lo, s25
.LBB255_787:                            ;   in Loop: Header=BB255_433 Depth=1
	s_delay_alu instid0(SALU_CYCLE_1)
	s_or_b32 exec_lo, exec_lo, s24
.LBB255_788:                            ;   in Loop: Header=BB255_433 Depth=1
	s_delay_alu instid0(SALU_CYCLE_1) | instskip(NEXT) | instid1(SALU_CYCLE_1)
	s_or_b32 exec_lo, exec_lo, s23
	s_mov_b32 s23, exec_lo
	v_cmpx_lt_u32_e32 0xffffff, v18
	s_cbranch_execz .LBB255_796
; %bb.789:                              ;   in Loop: Header=BB255_433 Depth=1
	v_lshrrev_b32_e32 v10, 24, v18
	v_bfrev_b32_e32 v17, 1
	s_mov_b32 s24, exec_lo
	s_delay_alu instid0(VALU_DEP_2)
	v_cmpx_ne_u32_e32 0x80, v10
	s_cbranch_execz .LBB255_795
; %bb.790:                              ;   in Loop: Header=BB255_433 Depth=1
	v_and_b32_e32 v22, 0x7f, v10
	v_mov_b32_e32 v17, 0x7c010000
	s_mov_b32 s25, exec_lo
	s_delay_alu instid0(VALU_DEP_2)
	v_cmpx_ne_u32_e32 0x7f, v22
	s_cbranch_execz .LBB255_794
; %bb.791:                              ;   in Loop: Header=BB255_433 Depth=1
	v_and_b32_e32 v17, 7, v10
	v_lshrrev_b32_e32 v21, 3, v22
	s_mov_b32 s26, exec_lo
	v_cmpx_gt_u32_e32 8, v22
; %bb.792:                              ;   in Loop: Header=BB255_433 Depth=1
	s_delay_alu instid0(VALU_DEP_3) | instskip(NEXT) | instid1(VALU_DEP_1)
	v_clz_i32_u32_e32 v17, v17
	v_min_u32_e32 v17, 32, v17
	s_delay_alu instid0(VALU_DEP_1) | instskip(NEXT) | instid1(VALU_DEP_1)
	v_subrev_nc_u32_e32 v21, 28, v17
	v_lshlrev_b64_e32 v[22:23], v21, v[10:11]
	s_delay_alu instid0(VALU_DEP_1)
	v_dual_sub_nc_u32 v21, 29, v17 :: v_dual_bitop2_b32 v17, 7, v22 bitop3:0x40
; %bb.793:                              ;   in Loop: Header=BB255_433 Depth=1
	s_or_b32 exec_lo, exec_lo, s26
	s_delay_alu instid0(VALU_DEP_1) | instskip(NEXT) | instid1(VALU_DEP_2)
	v_dual_lshlrev_b32 v10, 8, v10 :: v_dual_lshlrev_b32 v17, 23, v17
	v_lshl_add_u32 v21, v21, 10, 0x2000
	s_delay_alu instid0(VALU_DEP_1) | instskip(NEXT) | instid1(VALU_DEP_1)
	v_and_or_b32 v10, 0x8000, v10, v21
	v_lshl_or_b32 v17, v10, 16, v17
.LBB255_794:                            ;   in Loop: Header=BB255_433 Depth=1
	s_or_b32 exec_lo, exec_lo, s25
.LBB255_795:                            ;   in Loop: Header=BB255_433 Depth=1
	s_delay_alu instid0(SALU_CYCLE_1)
	s_or_b32 exec_lo, exec_lo, s24
.LBB255_796:                            ;   in Loop: Header=BB255_433 Depth=1
	s_delay_alu instid0(SALU_CYCLE_1) | instskip(SKIP_4) | instid1(VALU_DEP_3)
	s_or_b32 exec_lo, exec_lo, s23
	v_and_b32_e32 v23, 0xff, v19
	v_dual_mov_b32 v10, v19 :: v_dual_mov_b32 v22, 0
	v_mov_b32_e32 v21, 0
	s_mov_b32 s23, exec_lo
	v_cmpx_ne_u16_e32 0, v23
	s_cbranch_execz .LBB255_804
; %bb.797:                              ;   in Loop: Header=BB255_433 Depth=1
	v_mov_b32_e32 v21, 0x8000
	s_mov_b32 s24, exec_lo
	v_cmpx_ne_u16_e32 0x80, v23
	s_cbranch_execz .LBB255_803
; %bb.798:                              ;   in Loop: Header=BB255_433 Depth=1
	v_and_b32_e32 v24, 0x7f, v19
	v_mov_b32_e32 v21, 0x7c01
	s_mov_b32 s25, exec_lo
	s_delay_alu instid0(VALU_DEP_2)
	v_cmpx_ne_u32_e32 0x7f, v24
	s_cbranch_execz .LBB255_802
; %bb.799:                              ;   in Loop: Header=BB255_433 Depth=1
	v_dual_lshrrev_b32 v23, 3, v24 :: v_dual_bitop2_b32 v21, 7, v19 bitop3:0x40
	s_mov_b32 s26, exec_lo
	v_cmpx_gt_u32_e32 8, v24
; %bb.800:                              ;   in Loop: Header=BB255_433 Depth=1
	s_delay_alu instid0(VALU_DEP_2) | instskip(NEXT) | instid1(VALU_DEP_1)
	v_clz_i32_u32_e32 v21, v21
	v_min_u32_e32 v21, 32, v21
	s_delay_alu instid0(VALU_DEP_1) | instskip(NEXT) | instid1(VALU_DEP_1)
	v_subrev_nc_u32_e32 v23, 28, v21
	v_lshlrev_b64_e32 v[24:25], v23, v[10:11]
	s_delay_alu instid0(VALU_DEP_1)
	v_dual_sub_nc_u32 v23, 29, v21 :: v_dual_bitop2_b32 v21, 7, v24 bitop3:0x40
; %bb.801:                              ;   in Loop: Header=BB255_433 Depth=1
	s_or_b32 exec_lo, exec_lo, s26
	s_delay_alu instid0(VALU_DEP_1) | instskip(NEXT) | instid1(VALU_DEP_2)
	v_dual_lshlrev_b32 v24, 8, v19 :: v_dual_lshlrev_b32 v21, 7, v21
	v_lshl_add_u32 v23, v23, 10, 0x2000
	s_delay_alu instid0(VALU_DEP_2) | instskip(NEXT) | instid1(VALU_DEP_2)
	v_and_b32_e32 v24, 0x8000, v24
	v_and_b32_e32 v23, 0xfc00, v23
	s_delay_alu instid0(VALU_DEP_1)
	v_or3_b32 v21, v24, v23, v21
.LBB255_802:                            ;   in Loop: Header=BB255_433 Depth=1
	s_or_b32 exec_lo, exec_lo, s25
.LBB255_803:                            ;   in Loop: Header=BB255_433 Depth=1
	s_delay_alu instid0(SALU_CYCLE_1)
	s_or_b32 exec_lo, exec_lo, s24
.LBB255_804:                            ;   in Loop: Header=BB255_433 Depth=1
	s_delay_alu instid0(SALU_CYCLE_1) | instskip(SKIP_3) | instid1(VALU_DEP_2)
	s_or_b32 exec_lo, exec_lo, s23
	v_lshrrev_b16 v10, 8, v10
	v_mov_b32_e32 v23, 0
	s_mov_b32 s23, exec_lo
	v_cmpx_ne_u16_e32 0, v10
	s_cbranch_execz .LBB255_812
; %bb.805:                              ;   in Loop: Header=BB255_433 Depth=1
	v_bfrev_b32_e32 v23, 1
	s_mov_b32 s24, exec_lo
	v_cmpx_ne_u16_e32 0x80, v10
	s_cbranch_execz .LBB255_811
; %bb.806:                              ;   in Loop: Header=BB255_433 Depth=1
	v_and_b32_e32 v24, 0xffff, v10
	v_mov_b32_e32 v23, 0x7c010000
	s_mov_b32 s25, exec_lo
	s_delay_alu instid0(VALU_DEP_2) | instskip(NEXT) | instid1(VALU_DEP_1)
	v_and_b32_e32 v26, 0x7f, v24
	v_cmpx_ne_u32_e32 0x7f, v26
	s_cbranch_execz .LBB255_810
; %bb.807:                              ;   in Loop: Header=BB255_433 Depth=1
	v_dual_lshrrev_b32 v25, 3, v26 :: v_dual_bitop2_b32 v23, 7, v24 bitop3:0x40
	s_mov_b32 s26, exec_lo
	v_cmpx_gt_u32_e32 8, v26
; %bb.808:                              ;   in Loop: Header=BB255_433 Depth=1
	s_delay_alu instid0(VALU_DEP_2) | instskip(NEXT) | instid1(VALU_DEP_1)
	v_clz_i32_u32_e32 v23, v23
	v_min_u32_e32 v23, 32, v23
	s_delay_alu instid0(VALU_DEP_1) | instskip(NEXT) | instid1(VALU_DEP_1)
	v_subrev_nc_u32_e32 v25, 28, v23
	v_lshlrev_b64_e32 v[58:59], v25, v[10:11]
	s_delay_alu instid0(VALU_DEP_1)
	v_dual_sub_nc_u32 v25, 29, v23 :: v_dual_bitop2_b32 v23, 7, v58 bitop3:0x40
; %bb.809:                              ;   in Loop: Header=BB255_433 Depth=1
	s_or_b32 exec_lo, exec_lo, s26
	s_delay_alu instid0(VALU_DEP_1) | instskip(NEXT) | instid1(VALU_DEP_2)
	v_dual_lshlrev_b32 v10, 8, v24 :: v_dual_lshlrev_b32 v23, 23, v23
	v_lshl_add_u32 v24, v25, 10, 0x2000
	s_delay_alu instid0(VALU_DEP_1) | instskip(NEXT) | instid1(VALU_DEP_1)
	v_and_or_b32 v10, 0x8000, v10, v24
	v_lshl_or_b32 v23, v10, 16, v23
.LBB255_810:                            ;   in Loop: Header=BB255_433 Depth=1
	s_or_b32 exec_lo, exec_lo, s25
.LBB255_811:                            ;   in Loop: Header=BB255_433 Depth=1
	s_delay_alu instid0(SALU_CYCLE_1)
	s_or_b32 exec_lo, exec_lo, s24
.LBB255_812:                            ;   in Loop: Header=BB255_433 Depth=1
	s_delay_alu instid0(SALU_CYCLE_1) | instskip(SKIP_2) | instid1(VALU_DEP_1)
	s_or_b32 exec_lo, exec_lo, s23
	v_lshrrev_b32_e32 v10, 16, v19
	s_mov_b32 s23, exec_lo
	v_and_b32_e32 v24, 0xff, v10
	s_delay_alu instid0(VALU_DEP_1)
	v_cmpx_ne_u16_e32 0, v24
	s_cbranch_execz .LBB255_820
; %bb.813:                              ;   in Loop: Header=BB255_433 Depth=1
	v_mov_b32_e32 v22, 0x8000
	s_mov_b32 s24, exec_lo
	v_cmpx_ne_u16_e32 0x80, v24
	s_cbranch_execz .LBB255_819
; %bb.814:                              ;   in Loop: Header=BB255_433 Depth=1
	v_bfe_u32 v25, v19, 16, 7
	v_mov_b32_e32 v22, 0x7c01
	s_mov_b32 s25, exec_lo
	s_delay_alu instid0(VALU_DEP_2)
	v_cmpx_ne_u32_e32 0x7f, v25
	s_cbranch_execz .LBB255_818
; %bb.815:                              ;   in Loop: Header=BB255_433 Depth=1
	v_dual_lshrrev_b32 v24, 3, v25 :: v_dual_bitop2_b32 v22, 7, v10 bitop3:0x40
	s_mov_b32 s26, exec_lo
	v_cmpx_gt_u32_e32 8, v25
; %bb.816:                              ;   in Loop: Header=BB255_433 Depth=1
	s_delay_alu instid0(VALU_DEP_2) | instskip(NEXT) | instid1(VALU_DEP_1)
	v_clz_i32_u32_e32 v22, v22
	v_min_u32_e32 v22, 32, v22
	s_delay_alu instid0(VALU_DEP_1) | instskip(NEXT) | instid1(VALU_DEP_1)
	v_subrev_nc_u32_e32 v24, 28, v22
	v_lshlrev_b64_e32 v[58:59], v24, v[10:11]
	v_sub_nc_u32_e32 v24, 29, v22
	s_delay_alu instid0(VALU_DEP_2)
	v_and_b32_e32 v22, 7, v58
; %bb.817:                              ;   in Loop: Header=BB255_433 Depth=1
	s_or_b32 exec_lo, exec_lo, s26
	v_lshlrev_b32_e32 v10, 8, v10
	s_delay_alu instid0(VALU_DEP_3) | instskip(NEXT) | instid1(VALU_DEP_3)
	v_lshl_add_u32 v24, v24, 10, 0x2000
	v_lshlrev_b32_e32 v22, 7, v22
	s_delay_alu instid0(VALU_DEP_3) | instskip(NEXT) | instid1(VALU_DEP_3)
	v_and_b32_e32 v10, 0x8000, v10
	v_and_b32_e32 v24, 0xfc00, v24
	s_delay_alu instid0(VALU_DEP_1)
	v_or3_b32 v22, v10, v24, v22
.LBB255_818:                            ;   in Loop: Header=BB255_433 Depth=1
	s_or_b32 exec_lo, exec_lo, s25
.LBB255_819:                            ;   in Loop: Header=BB255_433 Depth=1
	s_delay_alu instid0(SALU_CYCLE_1)
	s_or_b32 exec_lo, exec_lo, s24
.LBB255_820:                            ;   in Loop: Header=BB255_433 Depth=1
	s_delay_alu instid0(SALU_CYCLE_1)
	s_or_b32 exec_lo, exec_lo, s23
	v_cmp_lt_u64_e64 s0, s[8:9], v[18:19]
	v_mov_b32_e32 v18, 0
	s_and_saveexec_b32 s23, s0
	s_cbranch_execz .LBB255_828
; %bb.821:                              ;   in Loop: Header=BB255_433 Depth=1
	v_lshrrev_b32_e32 v10, 24, v19
	v_bfrev_b32_e32 v18, 1
	s_mov_b32 s24, exec_lo
	s_delay_alu instid0(VALU_DEP_2)
	v_cmpx_ne_u32_e32 0x80, v10
	s_cbranch_execz .LBB255_827
; %bb.822:                              ;   in Loop: Header=BB255_433 Depth=1
	v_and_b32_e32 v24, 0x7f, v10
	v_mov_b32_e32 v18, 0x7c010000
	s_mov_b32 s25, exec_lo
	s_delay_alu instid0(VALU_DEP_2)
	v_cmpx_ne_u32_e32 0x7f, v24
	s_cbranch_execz .LBB255_826
; %bb.823:                              ;   in Loop: Header=BB255_433 Depth=1
	v_dual_lshrrev_b32 v19, 3, v24 :: v_dual_bitop2_b32 v18, 7, v10 bitop3:0x40
	s_mov_b32 s26, exec_lo
	v_cmpx_gt_u32_e32 8, v24
; %bb.824:                              ;   in Loop: Header=BB255_433 Depth=1
	s_delay_alu instid0(VALU_DEP_2) | instskip(NEXT) | instid1(VALU_DEP_1)
	v_clz_i32_u32_e32 v18, v18
	v_min_u32_e32 v24, 32, v18
	s_delay_alu instid0(VALU_DEP_1) | instskip(NEXT) | instid1(VALU_DEP_1)
	v_subrev_nc_u32_e32 v18, 28, v24
	v_lshlrev_b64_e32 v[18:19], v18, v[10:11]
	s_delay_alu instid0(VALU_DEP_1)
	v_dual_sub_nc_u32 v19, 29, v24 :: v_dual_bitop2_b32 v18, 7, v18 bitop3:0x40
; %bb.825:                              ;   in Loop: Header=BB255_433 Depth=1
	s_or_b32 exec_lo, exec_lo, s26
	v_lshlrev_b32_e32 v10, 8, v10
	s_delay_alu instid0(VALU_DEP_2) | instskip(NEXT) | instid1(VALU_DEP_3)
	v_lshl_add_u32 v19, v19, 10, 0x2000
	v_lshlrev_b32_e32 v18, 23, v18
	s_delay_alu instid0(VALU_DEP_2) | instskip(NEXT) | instid1(VALU_DEP_1)
	v_and_or_b32 v10, 0x8000, v10, v19
	v_lshl_or_b32 v18, v10, 16, v18
.LBB255_826:                            ;   in Loop: Header=BB255_433 Depth=1
	s_or_b32 exec_lo, exec_lo, s25
.LBB255_827:                            ;   in Loop: Header=BB255_433 Depth=1
	s_delay_alu instid0(SALU_CYCLE_1)
	s_or_b32 exec_lo, exec_lo, s24
.LBB255_828:                            ;   in Loop: Header=BB255_433 Depth=1
	s_delay_alu instid0(SALU_CYCLE_1) | instskip(SKIP_3) | instid1(VALU_DEP_3)
	s_or_b32 exec_lo, exec_lo, s23
	v_dual_lshrrev_b32 v10, 16, v1 :: v_dual_bitop2_b32 v1, v1, v3 bitop3:0x54
	v_dual_lshrrev_b32 v19, 16, v17 :: v_dual_bitop2_b32 v3, v17, v20 bitop3:0x54
	v_lshrrev_b32_e32 v20, 16, v18
	v_cvt_f32_f16_e32 v25, v10
	v_dual_lshrrev_b32 v17, 16, v23 :: v_dual_bitop2_b32 v10, v18, v22 bitop3:0x54
	s_delay_alu instid0(VALU_DEP_4)
	v_cvt_f32_f16_e32 v24, v19
	v_cvt_f32_f16_e32 v18, v3
	v_or_b32_e32 v3, v23, v21
	v_cvt_f32_f16_e32 v19, v1
	v_cvt_f32_f16_e32 v21, v17
	s_wait_loadcnt 0x0
	v_pk_mul_f32 v[24:25], v[16:17], v[24:25] op_sel_hi:[0,1]
	v_cvt_f32_f16_e32 v20, v20
	v_cvt_f32_f16_e32 v22, v10
	;; [unrolled: 1-line block ×3, first 2 shown]
	v_pk_mul_f32 v[18:19], v[16:17], v[18:19] op_sel_hi:[0,1]
	v_cvt_pk_f16_f32 v1, v24, v25
	v_pk_mul_f32 v[24:25], v[16:17], v[20:21] op_sel_hi:[0,1]
	s_delay_alu instid0(VALU_DEP_4) | instskip(NEXT) | instid1(VALU_DEP_4)
	v_pk_mul_f32 v[16:17], v[16:17], v[22:23] op_sel_hi:[0,1]
	v_cvt_pk_f16_f32 v3, v18, v19
	s_delay_alu instid0(VALU_DEP_4) | instskip(NEXT) | instid1(VALU_DEP_4)
	v_and_b32_e32 v21, 0xffff0000, v1
	v_cvt_pk_f16_f32 v10, v24, v25
	v_lshlrev_b32_e32 v22, 16, v1
	v_cvt_pk_f16_f32 v16, v16, v17
	v_lshrrev_b32_e32 v23, 16, v3
	v_and_b32_e32 v24, 0xffff, v3
	v_and_b32_e32 v1, 0xffff0000, v10
	s_delay_alu instid0(VALU_DEP_4) | instskip(SKIP_3) | instid1(VALU_DEP_4)
	v_dual_lshlrev_b32 v10, 16, v10 :: v_dual_lshrrev_b32 v19, 16, v16
	v_and_b32_e32 v20, 0xffff, v16
	v_or_b32_e32 v17, v21, v23
	v_or_b32_e32 v18, v22, v24
	;; [unrolled: 1-line block ×3, first 2 shown]
	s_delay_alu instid0(VALU_DEP_4)
	v_or_b32_e32 v16, v10, v20
	s_and_saveexec_b32 s0, vcc_lo
	s_cbranch_execz .LBB255_431
; %bb.829:                              ;   in Loop: Header=BB255_433 Depth=1
	v_cmp_gt_i32_e32 vcc_lo, s18, v35
	v_cndmask_b32_e32 v3, 0, v23, vcc_lo
	v_cmp_gt_i32_e32 vcc_lo, s34, v42
	v_cndmask_b32_e32 v16, 0, v24, vcc_lo
	;; [unrolled: 2-line block ×4, first 2 shown]
	v_cmp_gt_i32_e32 vcc_lo, s18, v39
	s_delay_alu instid0(VALU_DEP_4) | instskip(NEXT) | instid1(VALU_DEP_3)
	v_or_b32_e32 v17, v17, v3
	v_dual_cndmask_b32 v19, 0, v19, vcc_lo :: v_dual_bitop2_b32 v18, v18, v16 bitop3:0x54
	v_cmp_gt_i32_e32 vcc_lo, s34, v38
	v_cndmask_b32_e32 v20, 0, v20, vcc_lo
	v_cmp_gt_i32_e32 vcc_lo, s18, v37
	v_cndmask_b32_e32 v1, 0, v1, vcc_lo
	v_cmp_gt_i32_e32 vcc_lo, s34, v36
	s_delay_alu instid0(VALU_DEP_2) | instskip(NEXT) | instid1(VALU_DEP_1)
	v_dual_cndmask_b32 v10, 0, v10, vcc_lo :: v_dual_bitop2_b32 v3, v1, v19 bitop3:0x54
	v_or_b32_e32 v16, v10, v20
	s_branch .LBB255_431
.LBB255_830:
	s_or_b32 exec_lo, exec_lo, s19
.LBB255_831:
	s_delay_alu instid0(SALU_CYCLE_1)
	s_or_b32 exec_lo, exec_lo, s1
	ds_bpermute_b32 v2, v31, v8
	ds_bpermute_b32 v3, v31, v9
	;; [unrolled: 1-line block ×4, first 2 shown]
	v_and_b32_e32 v14, 0x3c1, v0
	v_lshrrev_b32_e32 v1, 1, v30
	s_mov_b32 s0, exec_lo
	ds_bpermute_b32 v10, v31, v4
	ds_bpermute_b32 v11, v31, v5
	s_wait_dscnt 0x0
	s_barrier_signal -1
	s_barrier_wait -1
	v_pk_add_f32 v[8:9], v[8:9], v[2:3]
	v_pk_add_f32 v[2:3], v[6:7], v[12:13]
	v_cmpx_ne_u32_e32 64, v14
	s_xor_b32 s0, exec_lo, s0
	s_delay_alu instid0(SALU_CYCLE_1)
	s_or_saveexec_b32 s0, s0
	v_pk_add_f32 v[4:5], v[4:5], v[10:11]
	v_lshl_add_u32 v6, v1, 2, 0xe0
	v_mul_u32_u24_e32 v7, 0x180, v29
	s_xor_b32 exec_lo, exec_lo, s0
	s_cbranch_execz .LBB255_833
; %bb.832:
	s_delay_alu instid0(VALU_DEP_1) | instskip(NEXT) | instid1(VALU_DEP_1)
	v_add_nc_u32_e32 v10, v6, v7
	v_add_nc_u32_e32 v11, 0xfffffd00, v10
	;; [unrolled: 1-line block ×7, first 2 shown]
	ds_store_b32 v11, v8
	ds_store_b32 v12, v9
	;; [unrolled: 1-line block ×6, first 2 shown]
.LBB255_833:
	s_or_b32 exec_lo, exec_lo, s0
	v_lshlrev_b32_e32 v1, 2, v1
	s_mov_b32 s1, exec_lo
	v_cmp_eq_u32_e32 vcc_lo, 0, v28
	s_wait_dscnt 0x0
	s_barrier_signal -1
	v_add3_u32 v1, 0xe0, v7, v1
	s_barrier_wait -1
	v_cmpx_gt_u32_e32 64, v0
	s_cbranch_execz .LBB255_842
; %bb.834:
	s_and_saveexec_b32 s0, vcc_lo
	s_cbranch_execnz .LBB255_856
; %bb.835:
	s_or_b32 exec_lo, exec_lo, s0
	s_and_saveexec_b32 s0, vcc_lo
	s_cbranch_execnz .LBB255_857
.LBB255_836:
	s_or_b32 exec_lo, exec_lo, s0
	s_and_saveexec_b32 s0, vcc_lo
	s_cbranch_execnz .LBB255_858
.LBB255_837:
	s_or_b32 exec_lo, exec_lo, s0
	s_and_saveexec_b32 s0, vcc_lo
	s_cbranch_execnz .LBB255_859
.LBB255_838:
	s_or_b32 exec_lo, exec_lo, s0
	s_and_saveexec_b32 s0, vcc_lo
	s_cbranch_execnz .LBB255_860
.LBB255_839:
	s_or_b32 exec_lo, exec_lo, s0
	s_and_saveexec_b32 s0, vcc_lo
	s_cbranch_execz .LBB255_841
.LBB255_840:
	ds_load_b32 v7, v1 offset:320
	s_wait_dscnt 0x0
	v_add_f32_e32 v5, v5, v7
.LBB255_841:
	s_or_b32 exec_lo, exec_lo, s0
.LBB255_842:
	s_delay_alu instid0(SALU_CYCLE_1) | instskip(SKIP_4) | instid1(VALU_DEP_1)
	s_or_b32 exec_lo, exec_lo, s1
	v_and_b32_e32 v7, 0x3e1, v0
	s_mov_b32 s1, exec_lo
	s_barrier_signal -1
	s_barrier_wait -1
	v_cmpx_eq_u32_e32 32, v7
	s_cbranch_execz .LBB255_844
; %bb.843:
	ds_store_2addr_b32 v6, v8, v9 offset1:16
	ds_store_2addr_b32 v6, v2, v3 offset0:32 offset1:48
	ds_store_2addr_b32 v6, v4, v5 offset0:64 offset1:80
.LBB255_844:
	s_or_b32 exec_lo, exec_lo, s1
	s_delay_alu instid0(SALU_CYCLE_1)
	s_mov_b32 s1, exec_lo
	s_wait_dscnt 0x0
	s_barrier_signal -1
	s_barrier_wait -1
	v_cmpx_gt_u32_e32 32, v0
	s_cbranch_execz .LBB255_853
; %bb.845:
	s_and_saveexec_b32 s0, vcc_lo
	s_cbranch_execnz .LBB255_861
; %bb.846:
	s_or_b32 exec_lo, exec_lo, s0
	s_and_saveexec_b32 s0, vcc_lo
	s_cbranch_execnz .LBB255_862
.LBB255_847:
	s_or_b32 exec_lo, exec_lo, s0
	s_and_saveexec_b32 s0, vcc_lo
	s_cbranch_execnz .LBB255_863
.LBB255_848:
	s_or_b32 exec_lo, exec_lo, s0
	s_and_saveexec_b32 s0, vcc_lo
	s_cbranch_execnz .LBB255_864
.LBB255_849:
	s_or_b32 exec_lo, exec_lo, s0
	s_and_saveexec_b32 s0, vcc_lo
	s_cbranch_execnz .LBB255_865
.LBB255_850:
	s_or_b32 exec_lo, exec_lo, s0
	s_and_saveexec_b32 s0, vcc_lo
	s_cbranch_execz .LBB255_852
.LBB255_851:
	ds_load_b32 v0, v1 offset:320
	s_wait_dscnt 0x0
	v_add_f32_e32 v5, v5, v0
.LBB255_852:
	s_or_b32 exec_lo, exec_lo, s0
.LBB255_853:
	s_delay_alu instid0(SALU_CYCLE_1)
	s_or_b32 exec_lo, exec_lo, s1
	s_mov_b32 s1, 0
	s_barrier_signal -1
	s_barrier_wait -1
	s_mov_b32 s0, exec_lo
	v_cmpx_eq_u32_e32 0, v7
	s_cbranch_execz .LBB255_855
; %bb.854:
	s_mul_i32 s0, s33, s7
	s_mul_i32 s2, s7, s6
	;; [unrolled: 1-line block ×3, first 2 shown]
	s_lshr_b32 s8, ttmp7, 16
	s_mul_i32 s6, s0, 0x60
	s_bfe_u32 s0, ttmp6, 0x40014
	s_ashr_i32 s7, s6, 31
	s_add_co_i32 s0, s0, 1
	s_ashr_i32 s3, s2, 31
	s_mul_i32 s0, s8, s0
	s_bfe_u32 s9, ttmp6, 0x40008
	s_lshl_b64 s[6:7], s[6:7], 1
	s_lshl_b64 s[2:3], s[2:3], 1
	s_add_co_i32 s9, s9, s0
	s_cmp_eq_u32 s30, 0
	s_wait_kmcnt 0x0
	s_add_nc_u64 s[4:5], s[4:5], s[6:7]
	s_cselect_b32 s0, s8, s9
	s_add_nc_u64 s[2:3], s[4:5], s[2:3]
	s_mulk_i32 s0, 0xc0
	;;#ASMSTART
	v_cvt_f16_f32 v0, v8;

	;;#ASMEND
	s_add_nc_u64 s[0:1], s[2:3], s[0:1]
	global_store_b16 v27, v0, s[0:1] scale_offset
	s_wait_xcnt 0x0
	;;#ASMSTART
	v_cvt_f16_f32 v0, v9;

	;;#ASMEND
	global_store_b16 v27, v0, s[0:1] offset:32 scale_offset
	s_wait_xcnt 0x0
	;;#ASMSTART
	v_cvt_f16_f32 v0, v2;

	;;#ASMEND
	global_store_b16 v27, v0, s[0:1] offset:64 scale_offset
	;; [unrolled: 6-line block ×5, first 2 shown]
.LBB255_855:
	s_sendmsg sendmsg(MSG_DEALLOC_VGPRS)
	s_endpgm
.LBB255_856:
	ds_load_b32 v7, v1
	s_wait_dscnt 0x0
	v_add_f32_e32 v8, v8, v7
	s_or_b32 exec_lo, exec_lo, s0
	s_and_saveexec_b32 s0, vcc_lo
	s_cbranch_execz .LBB255_836
.LBB255_857:
	ds_load_b32 v7, v1 offset:64
	s_wait_dscnt 0x0
	v_add_f32_e32 v9, v9, v7
	s_or_b32 exec_lo, exec_lo, s0
	s_and_saveexec_b32 s0, vcc_lo
	s_cbranch_execz .LBB255_837
.LBB255_858:
	ds_load_b32 v7, v1 offset:128
	s_wait_dscnt 0x0
	v_add_f32_e32 v2, v2, v7
	s_or_b32 exec_lo, exec_lo, s0
	s_and_saveexec_b32 s0, vcc_lo
	s_cbranch_execz .LBB255_838
.LBB255_859:
	ds_load_b32 v7, v1 offset:192
	s_wait_dscnt 0x0
	v_add_f32_e32 v3, v3, v7
	s_or_b32 exec_lo, exec_lo, s0
	s_and_saveexec_b32 s0, vcc_lo
	s_cbranch_execz .LBB255_839
.LBB255_860:
	ds_load_b32 v7, v1 offset:256
	s_wait_dscnt 0x0
	v_add_f32_e32 v4, v4, v7
	s_or_b32 exec_lo, exec_lo, s0
	s_and_saveexec_b32 s0, vcc_lo
	s_cbranch_execnz .LBB255_840
	s_branch .LBB255_841
.LBB255_861:
	ds_load_b32 v0, v1
	s_wait_dscnt 0x0
	v_add_f32_e32 v8, v8, v0
	s_or_b32 exec_lo, exec_lo, s0
	s_and_saveexec_b32 s0, vcc_lo
	s_cbranch_execz .LBB255_847
.LBB255_862:
	ds_load_b32 v0, v1 offset:64
	s_wait_dscnt 0x0
	v_add_f32_e32 v9, v9, v0
	s_or_b32 exec_lo, exec_lo, s0
	s_and_saveexec_b32 s0, vcc_lo
	s_cbranch_execz .LBB255_848
.LBB255_863:
	ds_load_b32 v0, v1 offset:128
	s_wait_dscnt 0x0
	v_add_f32_e32 v2, v2, v0
	s_or_b32 exec_lo, exec_lo, s0
	s_and_saveexec_b32 s0, vcc_lo
	s_cbranch_execz .LBB255_849
.LBB255_864:
	ds_load_b32 v0, v1 offset:192
	s_wait_dscnt 0x0
	v_add_f32_e32 v3, v3, v0
	s_or_b32 exec_lo, exec_lo, s0
	s_and_saveexec_b32 s0, vcc_lo
	s_cbranch_execz .LBB255_850
.LBB255_865:
	ds_load_b32 v0, v1 offset:256
	s_wait_dscnt 0x0
	v_add_f32_e32 v4, v4, v0
	s_or_b32 exec_lo, exec_lo, s0
	s_and_saveexec_b32 s0, vcc_lo
	s_cbranch_execnz .LBB255_851
	s_branch .LBB255_852
	.section	.rodata,"a",@progbits
	.p2align	6, 0x0
	.amdhsa_kernel _ZN4vllm25paged_attention_v1_kernelIthLi96ELi16ELi128ELNS_18Fp8KVCacheDataTypeE1ELb1EEEvPT_PKS2_PKT0_S8_ifPKiSA_iPKfiiiSC_SC_iiiii
		.amdhsa_group_segment_fixed_size 224
		.amdhsa_private_segment_fixed_size 0
		.amdhsa_kernarg_size 384
		.amdhsa_user_sgpr_count 2
		.amdhsa_user_sgpr_dispatch_ptr 0
		.amdhsa_user_sgpr_queue_ptr 0
		.amdhsa_user_sgpr_kernarg_segment_ptr 1
		.amdhsa_user_sgpr_dispatch_id 0
		.amdhsa_user_sgpr_kernarg_preload_length 0
		.amdhsa_user_sgpr_kernarg_preload_offset 0
		.amdhsa_user_sgpr_private_segment_size 0
		.amdhsa_wavefront_size32 1
		.amdhsa_uses_dynamic_stack 0
		.amdhsa_enable_private_segment 0
		.amdhsa_system_sgpr_workgroup_id_x 1
		.amdhsa_system_sgpr_workgroup_id_y 1
		.amdhsa_system_sgpr_workgroup_id_z 1
		.amdhsa_system_sgpr_workgroup_info 0
		.amdhsa_system_vgpr_workitem_id 0
		.amdhsa_next_free_vgpr 111
		.amdhsa_next_free_sgpr 45
		.amdhsa_named_barrier_count 0
		.amdhsa_reserve_vcc 1
		.amdhsa_float_round_mode_32 0
		.amdhsa_float_round_mode_16_64 0
		.amdhsa_float_denorm_mode_32 3
		.amdhsa_float_denorm_mode_16_64 3
		.amdhsa_fp16_overflow 0
		.amdhsa_memory_ordered 1
		.amdhsa_forward_progress 1
		.amdhsa_inst_pref_size 244
		.amdhsa_round_robin_scheduling 0
		.amdhsa_exception_fp_ieee_invalid_op 0
		.amdhsa_exception_fp_denorm_src 0
		.amdhsa_exception_fp_ieee_div_zero 0
		.amdhsa_exception_fp_ieee_overflow 0
		.amdhsa_exception_fp_ieee_underflow 0
		.amdhsa_exception_fp_ieee_inexact 0
		.amdhsa_exception_int_div_zero 0
	.end_amdhsa_kernel
	.section	.text._ZN4vllm25paged_attention_v1_kernelIthLi96ELi16ELi128ELNS_18Fp8KVCacheDataTypeE1ELb1EEEvPT_PKS2_PKT0_S8_ifPKiSA_iPKfiiiSC_SC_iiiii,"axG",@progbits,_ZN4vllm25paged_attention_v1_kernelIthLi96ELi16ELi128ELNS_18Fp8KVCacheDataTypeE1ELb1EEEvPT_PKS2_PKT0_S8_ifPKiSA_iPKfiiiSC_SC_iiiii,comdat
.Lfunc_end255:
	.size	_ZN4vllm25paged_attention_v1_kernelIthLi96ELi16ELi128ELNS_18Fp8KVCacheDataTypeE1ELb1EEEvPT_PKS2_PKT0_S8_ifPKiSA_iPKfiiiSC_SC_iiiii, .Lfunc_end255-_ZN4vllm25paged_attention_v1_kernelIthLi96ELi16ELi128ELNS_18Fp8KVCacheDataTypeE1ELb1EEEvPT_PKS2_PKT0_S8_ifPKiSA_iPKfiiiSC_SC_iiiii
                                        ; -- End function
	.set _ZN4vllm25paged_attention_v1_kernelIthLi96ELi16ELi128ELNS_18Fp8KVCacheDataTypeE1ELb1EEEvPT_PKS2_PKT0_S8_ifPKiSA_iPKfiiiSC_SC_iiiii.num_vgpr, 111
	.set _ZN4vllm25paged_attention_v1_kernelIthLi96ELi16ELi128ELNS_18Fp8KVCacheDataTypeE1ELb1EEEvPT_PKS2_PKT0_S8_ifPKiSA_iPKfiiiSC_SC_iiiii.num_agpr, 0
	.set _ZN4vllm25paged_attention_v1_kernelIthLi96ELi16ELi128ELNS_18Fp8KVCacheDataTypeE1ELb1EEEvPT_PKS2_PKT0_S8_ifPKiSA_iPKfiiiSC_SC_iiiii.numbered_sgpr, 45
	.set _ZN4vllm25paged_attention_v1_kernelIthLi96ELi16ELi128ELNS_18Fp8KVCacheDataTypeE1ELb1EEEvPT_PKS2_PKT0_S8_ifPKiSA_iPKfiiiSC_SC_iiiii.num_named_barrier, 0
	.set _ZN4vllm25paged_attention_v1_kernelIthLi96ELi16ELi128ELNS_18Fp8KVCacheDataTypeE1ELb1EEEvPT_PKS2_PKT0_S8_ifPKiSA_iPKfiiiSC_SC_iiiii.private_seg_size, 0
	.set _ZN4vllm25paged_attention_v1_kernelIthLi96ELi16ELi128ELNS_18Fp8KVCacheDataTypeE1ELb1EEEvPT_PKS2_PKT0_S8_ifPKiSA_iPKfiiiSC_SC_iiiii.uses_vcc, 1
	.set _ZN4vllm25paged_attention_v1_kernelIthLi96ELi16ELi128ELNS_18Fp8KVCacheDataTypeE1ELb1EEEvPT_PKS2_PKT0_S8_ifPKiSA_iPKfiiiSC_SC_iiiii.uses_flat_scratch, 0
	.set _ZN4vllm25paged_attention_v1_kernelIthLi96ELi16ELi128ELNS_18Fp8KVCacheDataTypeE1ELb1EEEvPT_PKS2_PKT0_S8_ifPKiSA_iPKfiiiSC_SC_iiiii.has_dyn_sized_stack, 0
	.set _ZN4vllm25paged_attention_v1_kernelIthLi96ELi16ELi128ELNS_18Fp8KVCacheDataTypeE1ELb1EEEvPT_PKS2_PKT0_S8_ifPKiSA_iPKfiiiSC_SC_iiiii.has_recursion, 0
	.set _ZN4vllm25paged_attention_v1_kernelIthLi96ELi16ELi128ELNS_18Fp8KVCacheDataTypeE1ELb1EEEvPT_PKS2_PKT0_S8_ifPKiSA_iPKfiiiSC_SC_iiiii.has_indirect_call, 0
	.section	.AMDGPU.csdata,"",@progbits
; Kernel info:
; codeLenInByte = 31116
; TotalNumSgprs: 47
; NumVgprs: 111
; ScratchSize: 0
; MemoryBound: 0
; FloatMode: 240
; IeeeMode: 1
; LDSByteSize: 224 bytes/workgroup (compile time only)
; SGPRBlocks: 0
; VGPRBlocks: 6
; NumSGPRsForWavesPerEU: 47
; NumVGPRsForWavesPerEU: 111
; NamedBarCnt: 0
; Occupancy: 9
; WaveLimiterHint : 1
; COMPUTE_PGM_RSRC2:SCRATCH_EN: 0
; COMPUTE_PGM_RSRC2:USER_SGPR: 2
; COMPUTE_PGM_RSRC2:TRAP_HANDLER: 0
; COMPUTE_PGM_RSRC2:TGID_X_EN: 1
; COMPUTE_PGM_RSRC2:TGID_Y_EN: 1
; COMPUTE_PGM_RSRC2:TGID_Z_EN: 1
; COMPUTE_PGM_RSRC2:TIDIG_COMP_CNT: 0
	.section	.text._ZN4vllm25paged_attention_v1_kernelIthLi112ELi16ELi128ELNS_18Fp8KVCacheDataTypeE1ELb1EEEvPT_PKS2_PKT0_S8_ifPKiSA_iPKfiiiSC_SC_iiiii,"axG",@progbits,_ZN4vllm25paged_attention_v1_kernelIthLi112ELi16ELi128ELNS_18Fp8KVCacheDataTypeE1ELb1EEEvPT_PKS2_PKT0_S8_ifPKiSA_iPKfiiiSC_SC_iiiii,comdat
	.protected	_ZN4vllm25paged_attention_v1_kernelIthLi112ELi16ELi128ELNS_18Fp8KVCacheDataTypeE1ELb1EEEvPT_PKS2_PKT0_S8_ifPKiSA_iPKfiiiSC_SC_iiiii ; -- Begin function _ZN4vllm25paged_attention_v1_kernelIthLi112ELi16ELi128ELNS_18Fp8KVCacheDataTypeE1ELb1EEEvPT_PKS2_PKT0_S8_ifPKiSA_iPKfiiiSC_SC_iiiii
	.globl	_ZN4vllm25paged_attention_v1_kernelIthLi112ELi16ELi128ELNS_18Fp8KVCacheDataTypeE1ELb1EEEvPT_PKS2_PKT0_S8_ifPKiSA_iPKfiiiSC_SC_iiiii
	.p2align	8
	.type	_ZN4vllm25paged_attention_v1_kernelIthLi112ELi16ELi128ELNS_18Fp8KVCacheDataTypeE1ELb1EEEvPT_PKS2_PKT0_S8_ifPKiSA_iPKfiiiSC_SC_iiiii,@function
_ZN4vllm25paged_attention_v1_kernelIthLi112ELi16ELi128ELNS_18Fp8KVCacheDataTypeE1ELb1EEEvPT_PKS2_PKT0_S8_ifPKiSA_iPKfiiiSC_SC_iiiii: ; @_ZN4vllm25paged_attention_v1_kernelIthLi112ELi16ELi128ELNS_18Fp8KVCacheDataTypeE1ELb1EEEvPT_PKS2_PKT0_S8_ifPKiSA_iPKfiiiSC_SC_iiiii
; %bb.0:
	s_load_b64 s[26:27], s[0:1], 0x20
	s_bfe_u32 s3, ttmp6, 0x4000c
	s_bfe_u32 s4, ttmp6, 0x40010
	s_and_b32 s6, ttmp7, 0xffff
	s_add_co_i32 s3, s3, 1
	s_add_co_i32 s4, s4, 1
	s_and_b32 s2, ttmp6, 15
	s_bfe_u32 s5, ttmp6, 0x40004
	s_mul_i32 s3, ttmp9, s3
	s_mul_i32 s4, s6, s4
	s_getreg_b32 s30, hwreg(HW_REG_IB_STS2, 6, 4)
	s_add_co_i32 s2, s2, s3
	s_add_co_i32 s3, s5, s4
	s_cmp_eq_u32 s30, 0
	s_clause 0x1
	s_load_b32 s31, s[0:1], 0x80
	s_load_b64 s[4:5], s[0:1], 0x30
	s_cselect_b32 s33, s6, s3
	s_cselect_b32 s2, ttmp9, s2
	s_wait_kmcnt 0x0
	s_abs_i32 s3, s26
	s_delay_alu instid0(SALU_CYCLE_1) | instskip(SKIP_1) | instid1(SALU_CYCLE_2)
	s_cvt_f32_u32 s6, s3
	s_sub_co_i32 s7, 0, s3
	v_rcp_iflag_f32_e32 v1, s6
	s_abs_i32 s8, s31
	v_nop
	s_delay_alu instid0(TRANS32_DEP_1) | instskip(SKIP_1) | instid1(SALU_CYCLE_3)
	v_readfirstlane_b32 s6, v1
	s_mul_f32 s6, s6, 0x4f7ffffe
	s_cvt_u32_f32 s6, s6
	s_delay_alu instid0(SALU_CYCLE_3) | instskip(NEXT) | instid1(SALU_CYCLE_1)
	s_mul_i32 s7, s7, s6
	s_mul_hi_u32 s7, s6, s7
	s_delay_alu instid0(SALU_CYCLE_1) | instskip(SKIP_4) | instid1(SALU_CYCLE_1)
	s_add_co_i32 s6, s6, s7
	s_xor_b32 s7, s31, s26
	s_mul_hi_u32 s6, s8, s6
	s_ashr_i32 s7, s7, 31
	s_mul_i32 s9, s6, s3
	s_sub_co_i32 s8, s8, s9
	s_add_co_i32 s9, s6, 1
	s_sub_co_i32 s10, s8, s3
	s_cmp_ge_u32 s8, s3
	s_cselect_b32 s6, s9, s6
	s_cselect_b32 s8, s10, s8
	s_add_co_i32 s9, s6, 1
	s_cmp_ge_u32 s8, s3
	s_load_b64 s[10:11], s[0:1], 0x40
	s_cselect_b32 s3, s9, s6
	s_mov_b32 s9, 0
	s_xor_b32 s3, s3, s7
	s_abs_i32 s8, s2
	s_sub_co_i32 s12, s3, s7
	s_mov_b32 s7, s9
	s_abs_i32 s19, s12
	s_mov_b32 s37, s9
	s_cvt_f32_u32 s3, s19
	s_sub_co_i32 s6, 0, s19
	s_delay_alu instid0(SALU_CYCLE_2) | instskip(SKIP_1) | instid1(TRANS32_DEP_1)
	v_rcp_iflag_f32_e32 v1, s3
	v_nop
	v_readfirstlane_b32 s3, v1
	s_mul_f32 s3, s3, 0x4f7ffffe
	s_delay_alu instid0(SALU_CYCLE_3) | instskip(NEXT) | instid1(SALU_CYCLE_3)
	s_cvt_u32_f32 s3, s3
	s_mul_i32 s6, s6, s3
	s_delay_alu instid0(SALU_CYCLE_1) | instskip(NEXT) | instid1(SALU_CYCLE_1)
	s_mul_hi_u32 s6, s3, s6
	s_add_co_i32 s6, s3, s6
	s_wait_kmcnt 0x0
	s_cmp_eq_u64 s[10:11], 0
	s_cbranch_scc1 .LBB256_2
; %bb.1:
	s_ashr_i32 s3, s2, 31
	s_delay_alu instid0(SALU_CYCLE_1) | instskip(NEXT) | instid1(SALU_CYCLE_1)
	s_lshl_b64 s[14:15], s[2:3], 2
	s_add_nc_u64 s[10:11], s[10:11], s[14:15]
	s_load_b32 s37, s[10:11], 0x0
.LBB256_2:
	s_load_b32 s34, s[4:5], s33 offset:0x0 scale_offset
	s_load_b96 s[16:18], s[0:1], 0x48
	v_dual_lshrrev_b32 v27, 1, v0 :: v_dual_bitop2_b32 v28, 1, v0 bitop3:0x40
	s_wait_xcnt 0x0
	s_mul_u64 s[4:5], s[8:9], s[6:7]
	s_ashr_i32 s3, s2, 31
	s_ashr_i32 s10, s12, 31
	s_mul_i32 s6, s2, 0x70
	s_mov_b32 s4, exec_lo
	v_cmpx_gt_u32_e32 28, v0
	s_cbranch_execz .LBB256_4
; %bb.3:
	s_load_b64 s[12:13], s[0:1], 0x8
	s_wait_kmcnt 0x0
	s_mul_i32 s14, s16, s33
	s_ashr_i32 s7, s6, 31
	s_ashr_i32 s15, s14, 31
	v_lshlrev_b32_e32 v1, 3, v27
	s_lshl_b64 s[14:15], s[14:15], 1
	s_delay_alu instid0(VALU_DEP_1) | instskip(SKIP_2) | instid1(SALU_CYCLE_1)
	v_mad_u32_u24 v1, 0x70, v28, v1
	s_add_nc_u64 s[12:13], s[12:13], s[14:15]
	s_lshl_b64 s[14:15], s[6:7], 1
	s_add_nc_u64 s[12:13], s[12:13], s[14:15]
	global_load_b64 v[2:3], v0, s[12:13] scale_offset
	s_wait_loadcnt 0x0
	ds_store_b64 v1, v[2:3]
.LBB256_4:
	s_or_b32 exec_lo, exec_lo, s4
	s_load_b128 s[12:15], s[0:1], 0x68
	s_mul_i32 s4, s5, s19
	s_xor_b32 s3, s3, s10
	s_sub_co_i32 s4, s8, s4
	s_add_co_i32 s7, s5, 1
	s_sub_co_i32 s8, s4, s19
	s_cmp_ge_u32 s4, s19
	s_mov_b32 s9, -1
	s_cselect_b32 s5, s7, s5
	s_cselect_b32 s4, s8, s4
	s_add_co_i32 s8, s5, 1
	s_cmp_ge_u32 s4, s19
	s_load_b32 s7, s[0:1], 0x78
	s_cselect_b32 s4, s8, s5
	s_wait_kmcnt 0x0
	s_add_co_i32 s8, s34, -1
	s_xor_b32 s4, s4, s3
	s_wait_dscnt 0x0
	s_sub_co_i32 s3, s4, s3
	s_barrier_signal -1
	s_barrier_wait -1
	s_abs_i32 s16, s15
	s_delay_alu instid0(SALU_CYCLE_1) | instskip(NEXT) | instid1(SALU_CYCLE_3)
	s_cvt_f32_u32 s5, s16
                                        ; implicit-def: $sgpr35
	v_rcp_iflag_f32_e32 v1, s5
	v_nop
	s_delay_alu instid0(TRANS32_DEP_1) | instskip(SKIP_1) | instid1(SALU_CYCLE_3)
	v_readfirstlane_b32 s5, v1
	s_mul_f32 s4, s5, 0x4f7ffffe
	s_cvt_u32_f32 s10, s4
	s_sub_co_i32 s4, 0, s16
	s_delay_alu instid0(SALU_CYCLE_2)
	s_mul_i32 s5, s4, s10
	s_abs_i32 s4, s8
	s_mul_hi_u32 s11, s10, s5
	s_mov_b32 s5, 0
	s_add_co_i32 s20, s10, s11
	s_cmp_lt_i32 s7, 0
	s_mov_b32 s21, s5
	s_cbranch_scc0 .LBB256_6
; %bb.5:
	s_mul_i32 s9, s12, s26
	s_delay_alu instid0(SALU_CYCLE_1) | instskip(NEXT) | instid1(SALU_CYCLE_1)
	s_add_co_i32 s9, s3, s9
	s_mul_i32 s9, s9, s7
	s_delay_alu instid0(SALU_CYCLE_1)
	s_sub_co_i32 s35, 1, s9
	s_mov_b32 s9, s5
.LBB256_6:
	s_ashr_i32 s8, s8, 31
	s_ashr_i32 s15, s15, 31
	s_and_not1_b32 vcc_lo, exec_lo, s9
	s_mul_u64 s[28:29], s[4:5], s[20:21]
	s_cbranch_vccnz .LBB256_8
; %bb.7:
	s_mul_i32 s5, s31, s12
	s_delay_alu instid0(SALU_CYCLE_1) | instskip(NEXT) | instid1(SALU_CYCLE_1)
	s_add_co_i32 s2, s5, s2
	s_mul_i32 s2, s2, s7
	s_delay_alu instid0(SALU_CYCLE_1)
	s_add_co_i32 s35, s2, 1
.LBB256_8:
	s_clause 0x1
	s_load_b32 s2, s[0:1], 0x38
	s_load_b64 s[22:23], s[0:1], 0x28
	s_mul_i32 s7, s29, s16
	s_xor_b32 s5, s8, s15
	s_sub_co_i32 s4, s4, s7
	s_add_co_i32 s12, s29, 1
	s_clause 0x1
	s_load_b32 s7, s[0:1], 0x88
	s_load_b128 s[8:11], s[0:1], 0x58
	v_dual_lshrrev_b32 v29, 5, v0 :: v_dual_lshrrev_b32 v1, 3, v0
	v_mov_b32_e32 v17, 0xff7fffff
	v_mbcnt_lo_u32_b32 v3, -1, 0
	s_mul_i32 s18, s3, s18
	s_delay_alu instid0(VALU_DEP_3)
	v_lshlrev_b32_e32 v2, 4, v29
	s_wait_kmcnt 0x0
	s_mul_i32 s24, s2, s33
	s_sub_co_i32 s2, s4, s16
	s_ashr_i32 s25, s24, 31
	s_cmp_ge_u32 s4, s16
	s_cselect_b32 s12, s12, s29
	s_cselect_b32 s2, s2, s4
	s_add_co_i32 s4, s12, 1
	s_cmp_ge_u32 s2, s16
	s_cselect_b32 s2, s4, s12
	s_add_co_i32 s4, s34, 15
	s_delay_alu instid0(SALU_CYCLE_1) | instskip(NEXT) | instid1(SALU_CYCLE_1)
	s_ashr_i32 s12, s4, 31
	s_lshr_b32 s12, s12, 28
	s_delay_alu instid0(SALU_CYCLE_1) | instskip(NEXT) | instid1(SALU_CYCLE_1)
	s_add_co_i32 s4, s4, s12
	s_ashr_i32 s12, s4, 4
	s_xor_b32 s4, s2, s5
	v_cmp_gt_i32_e64 s2, s12, v29
	s_sub_co_i32 s36, s4, s5
	s_and_saveexec_b32 s26, s2
	s_cbranch_execz .LBB256_468
; %bb.9:
	s_load_b64 s[4:5], s[0:1], 0x10
	s_sub_co_i32 s38, s36, s13
	s_ashr_i32 s19, s18, 31
	s_cmp_neq_f32 s37, 0
	v_bfe_u32 v15, v0, 1, 4
	v_dual_mov_b32 v5, 0 :: v_dual_lshlrev_b32 v6, 4, v29
	s_cselect_b32 vcc_lo, -1, 0
	s_abs_i32 s39, s14
	s_delay_alu instid0(VALU_DEP_2)
	v_lshlrev_b32_e32 v4, 4, v15
	s_cvt_f32_u32 s28, s39
	v_subrev_nc_u32_e32 v10, s34, v15
	s_lshl_b64 s[40:41], s[24:25], 2
	v_cmp_eq_u32_e64 s3, 0, v28
	v_rcp_iflag_f32_e32 v7, s28
	v_mul_u32_u24_e32 v16, 0x70, v28
	v_dual_mov_b32 v20, 0xff7fffff :: v_dual_mov_b32 v17, 0xff7fffff
	v_mov_b32_e32 v21, v29
	s_mov_b32 s29, 0
	s_wait_kmcnt 0x0
	s_add_nc_u64 s[4:5], s[4:5], s[18:19]
	v_readfirstlane_b32 s28, v7
	v_lshlrev_b32_e32 v7, 2, v15
	v_add_nc_u64_e32 v[8:9], s[4:5], v[4:5]
	v_dual_lshlrev_b32 v4, 2, v28 :: v_dual_add_nc_u32 v18, 1, v10
	s_mul_f32 s19, s28, 0x4f7ffffe
	s_add_nc_u64 s[4:5], s[22:23], s[40:41]
	v_lshl_or_b32 v7, v29, 6, v7
	s_sub_co_i32 s28, 0, s39
	s_delay_alu instid0(VALU_DEP_3) | instskip(SKIP_4) | instid1(VALU_DEP_2)
	v_add_nc_u64_e32 v[8:9], v[8:9], v[4:5]
	v_and_b32_e32 v4, 0x7c, v1
	s_cvt_u32_f32 s40, s19
	v_add_nc_u32_e32 v19, 0x100, v7
	s_mov_b32 s19, s17
	v_add_nc_u64_e32 v[10:11], s[4:5], v[4:5]
	s_mul_i32 s28, s28, s40
	s_delay_alu instid0(SALU_CYCLE_1) | instskip(NEXT) | instid1(SALU_CYCLE_1)
	s_mul_hi_u32 s28, s40, s28
	s_add_co_i32 s28, s40, s28
	s_mov_b32 s40, s29
	s_branch .LBB256_12
.LBB256_10:                             ;   in Loop: Header=BB256_12 Depth=1
	s_or_b32 exec_lo, exec_lo, s41
.LBB256_11:                             ;   in Loop: Header=BB256_12 Depth=1
	s_delay_alu instid0(SALU_CYCLE_1) | instskip(SKIP_3) | instid1(VALU_DEP_3)
	s_or_b32 exec_lo, exec_lo, s5
	v_dual_add_nc_u32 v21, 4, v21 :: v_dual_add_nc_u32 v6, 64, v6
	v_add_nc_u64_e32 v[10:11], 16, v[10:11]
	v_add_nc_u32_e32 v19, 0x100, v19
	v_cmp_le_i32_e64 s4, s12, v21
	s_or_b32 s40, s4, s40
	s_delay_alu instid0(SALU_CYCLE_1)
	s_and_not1_b32 exec_lo, exec_lo, s40
	s_cbranch_execz .LBB256_467
.LBB256_12:                             ; =>This Inner Loop Header: Depth=1
	s_wait_dscnt 0x0
	v_mov_b32_e32 v7, v5
	s_delay_alu instid0(VALU_DEP_1) | instskip(NEXT) | instid1(VALU_DEP_1)
	v_mul_u64_e32 v[12:13], s[20:21], v[6:7]
	v_mul_lo_u32 v4, v13, s16
	s_delay_alu instid0(VALU_DEP_1) | instskip(NEXT) | instid1(VALU_DEP_1)
	v_sub_nc_u32_e32 v4, v6, v4
	v_subrev_nc_u32_e32 v12, s16, v4
	v_cmp_le_u32_e64 s4, s16, v4
	s_delay_alu instid0(VALU_DEP_1) | instskip(NEXT) | instid1(VALU_DEP_1)
	v_dual_add_nc_u32 v7, 1, v13 :: v_dual_cndmask_b32 v4, v4, v12, s4
	v_cndmask_b32_e64 v7, v13, v7, s4
	s_delay_alu instid0(VALU_DEP_2) | instskip(NEXT) | instid1(VALU_DEP_2)
	v_cmp_le_u32_e64 s4, s16, v4
	v_add_nc_u32_e32 v12, 1, v7
	s_delay_alu instid0(VALU_DEP_1) | instskip(NEXT) | instid1(VALU_DEP_1)
	v_cndmask_b32_e64 v4, v7, v12, s4
	v_xor_b32_e32 v4, s15, v4
	s_delay_alu instid0(VALU_DEP_1) | instskip(NEXT) | instid1(VALU_DEP_1)
	v_subrev_nc_u32_e32 v7, s15, v4
	v_add_nc_u32_e32 v14, s35, v7
	v_cmp_ge_i32_e64 s5, s38, v7
	s_delay_alu instid0(VALU_DEP_2) | instskip(NEXT) | instid1(VALU_DEP_1)
	v_sub_nc_u32_e32 v4, 0, v14
	v_max_i32_e32 v4, v14, v4
	s_delay_alu instid0(VALU_DEP_1) | instskip(NEXT) | instid1(VALU_DEP_1)
	v_mul_u64_e32 v[12:13], s[28:29], v[4:5]
	v_mul_lo_u32 v12, v13, s39
	s_delay_alu instid0(VALU_DEP_1) | instskip(NEXT) | instid1(VALU_DEP_1)
	v_dual_ashrrev_i32 v13, 31, v14 :: v_dual_sub_nc_u32 v4, v4, v12
	v_subrev_nc_u32_e32 v12, s39, v4
	v_cmp_le_u32_e64 s4, s39, v4
	s_delay_alu instid0(VALU_DEP_1) | instskip(NEXT) | instid1(VALU_DEP_1)
	v_cndmask_b32_e64 v4, v4, v12, s4
	v_subrev_nc_u32_e32 v12, s39, v4
	v_cmp_le_u32_e64 s4, s39, v4
	s_delay_alu instid0(VALU_DEP_1) | instskip(NEXT) | instid1(VALU_DEP_1)
	v_cndmask_b32_e64 v4, v4, v12, s4
	v_xor_b32_e32 v4, v4, v13
	s_delay_alu instid0(VALU_DEP_1) | instskip(NEXT) | instid1(VALU_DEP_1)
	v_sub_nc_u32_e32 v4, v4, v13
	v_cmp_ne_u32_e64 s4, 0, v4
	s_and_b32 s4, s4, s5
	s_delay_alu instid0(SALU_CYCLE_1) | instskip(NEXT) | instid1(SALU_CYCLE_1)
	s_and_saveexec_b32 s5, s4
	s_xor_b32 s4, exec_lo, s5
	s_cbranch_execz .LBB256_16
; %bb.13:                               ;   in Loop: Header=BB256_12 Depth=1
	s_and_saveexec_b32 s5, s3
; %bb.14:                               ;   in Loop: Header=BB256_12 Depth=1
	ds_store_b32 v19, v20
; %bb.15:                               ;   in Loop: Header=BB256_12 Depth=1
	s_or_b32 exec_lo, exec_lo, s5
.LBB256_16:                             ;   in Loop: Header=BB256_12 Depth=1
	s_and_not1_saveexec_b32 s5, s4
	s_cbranch_execz .LBB256_11
; %bb.17:                               ;   in Loop: Header=BB256_12 Depth=1
	global_load_b32 v4, v[10:11], off
	v_dual_mov_b32 v22, 0 :: v_dual_mov_b32 v23, 0
	s_mov_b32 s41, exec_lo
	global_load_b32 v7, v22, s[8:9]
	s_wait_loadcnt 0x1
	v_mad_nc_i64_i32 v[12:13], v4, s19, v[8:9]
	global_load_b32 v14, v[12:13], off
	s_wait_loadcnt 0x0
	v_and_b32_e32 v4, 0xff, v14
	s_delay_alu instid0(VALU_DEP_1)
	v_cmpx_ne_u16_e32 0, v4
	s_cbranch_execz .LBB256_25
; %bb.18:                               ;   in Loop: Header=BB256_12 Depth=1
	v_mov_b32_e32 v23, 0x8000
	s_mov_b32 s42, exec_lo
	v_cmpx_ne_u16_e32 0x80, v4
	s_cbranch_execz .LBB256_24
; %bb.19:                               ;   in Loop: Header=BB256_12 Depth=1
	v_and_b32_e32 v24, 0x7f, v14
	v_mov_b32_e32 v23, 0x7c01
	s_mov_b32 s43, exec_lo
	s_delay_alu instid0(VALU_DEP_2)
	v_cmpx_ne_u32_e32 0x7f, v24
	s_cbranch_execz .LBB256_23
; %bb.20:                               ;   in Loop: Header=BB256_12 Depth=1
	v_dual_lshrrev_b32 v23, 3, v24 :: v_dual_bitop2_b32 v4, 7, v14 bitop3:0x40
	s_mov_b32 s44, exec_lo
	v_cmpx_gt_u32_e32 8, v24
; %bb.21:                               ;   in Loop: Header=BB256_12 Depth=1
	s_delay_alu instid0(VALU_DEP_2) | instskip(NEXT) | instid1(VALU_DEP_1)
	v_clz_i32_u32_e32 v4, v4
	v_min_u32_e32 v4, 32, v4
	s_delay_alu instid0(VALU_DEP_1) | instskip(NEXT) | instid1(VALU_DEP_1)
	v_subrev_nc_u32_e32 v23, 28, v4
	v_lshlrev_b64_e32 v[24:25], v23, v[14:15]
	v_sub_nc_u32_e32 v23, 29, v4
	s_delay_alu instid0(VALU_DEP_2)
	v_and_b32_e32 v4, 7, v24
; %bb.22:                               ;   in Loop: Header=BB256_12 Depth=1
	s_or_b32 exec_lo, exec_lo, s44
	s_delay_alu instid0(VALU_DEP_1) | instskip(NEXT) | instid1(VALU_DEP_3)
	v_dual_lshlrev_b32 v24, 8, v14 :: v_dual_lshlrev_b32 v4, 7, v4
	v_lshl_add_u32 v23, v23, 10, 0x2000
	s_delay_alu instid0(VALU_DEP_2) | instskip(NEXT) | instid1(VALU_DEP_2)
	v_and_b32_e32 v24, 0x8000, v24
	v_and_b32_e32 v23, 0xfc00, v23
	s_delay_alu instid0(VALU_DEP_1)
	v_or3_b32 v23, v24, v23, v4
.LBB256_23:                             ;   in Loop: Header=BB256_12 Depth=1
	s_or_b32 exec_lo, exec_lo, s43
.LBB256_24:                             ;   in Loop: Header=BB256_12 Depth=1
	s_delay_alu instid0(SALU_CYCLE_1)
	s_or_b32 exec_lo, exec_lo, s42
.LBB256_25:                             ;   in Loop: Header=BB256_12 Depth=1
	s_delay_alu instid0(SALU_CYCLE_1) | instskip(SKIP_2) | instid1(VALU_DEP_1)
	s_or_b32 exec_lo, exec_lo, s41
	v_lshrrev_b16 v4, 8, v14
	s_mov_b32 s41, exec_lo
	v_cmpx_ne_u16_e32 0, v4
	s_cbranch_execz .LBB256_33
; %bb.26:                               ;   in Loop: Header=BB256_12 Depth=1
	v_bfrev_b32_e32 v22, 1
	s_mov_b32 s42, exec_lo
	v_cmpx_ne_u16_e32 0x80, v4
	s_cbranch_execz .LBB256_32
; %bb.27:                               ;   in Loop: Header=BB256_12 Depth=1
	v_and_b32_e32 v24, 0xffff, v4
	v_mov_b32_e32 v22, 0x7c010000
	s_mov_b32 s43, exec_lo
	s_delay_alu instid0(VALU_DEP_2) | instskip(NEXT) | instid1(VALU_DEP_1)
	v_and_b32_e32 v26, 0x7f, v24
	v_cmpx_ne_u32_e32 0x7f, v26
	s_cbranch_execz .LBB256_31
; %bb.28:                               ;   in Loop: Header=BB256_12 Depth=1
	v_dual_lshrrev_b32 v25, 3, v26 :: v_dual_bitop2_b32 v22, 7, v24 bitop3:0x40
	s_mov_b32 s44, exec_lo
	v_cmpx_gt_u32_e32 8, v26
; %bb.29:                               ;   in Loop: Header=BB256_12 Depth=1
	s_delay_alu instid0(VALU_DEP_2) | instskip(NEXT) | instid1(VALU_DEP_1)
	v_clz_i32_u32_e32 v22, v22
	v_min_u32_e32 v22, 32, v22
	s_delay_alu instid0(VALU_DEP_1) | instskip(NEXT) | instid1(VALU_DEP_1)
	v_subrev_nc_u32_e32 v25, 28, v22
	v_lshlrev_b64_e32 v[30:31], v25, v[4:5]
	v_sub_nc_u32_e32 v25, 29, v22
	s_delay_alu instid0(VALU_DEP_2)
	v_and_b32_e32 v22, 7, v30
; %bb.30:                               ;   in Loop: Header=BB256_12 Depth=1
	s_or_b32 exec_lo, exec_lo, s44
	s_delay_alu instid0(VALU_DEP_1) | instskip(NEXT) | instid1(VALU_DEP_3)
	v_dual_lshlrev_b32 v4, 8, v24 :: v_dual_lshlrev_b32 v22, 23, v22
	v_lshl_add_u32 v24, v25, 10, 0x2000
	s_delay_alu instid0(VALU_DEP_1) | instskip(NEXT) | instid1(VALU_DEP_1)
	v_and_or_b32 v4, 0x8000, v4, v24
	v_lshl_or_b32 v22, v4, 16, v22
.LBB256_31:                             ;   in Loop: Header=BB256_12 Depth=1
	s_or_b32 exec_lo, exec_lo, s43
.LBB256_32:                             ;   in Loop: Header=BB256_12 Depth=1
	s_delay_alu instid0(SALU_CYCLE_1)
	s_or_b32 exec_lo, exec_lo, s42
.LBB256_33:                             ;   in Loop: Header=BB256_12 Depth=1
	s_delay_alu instid0(SALU_CYCLE_1) | instskip(SKIP_3) | instid1(VALU_DEP_2)
	s_or_b32 exec_lo, exec_lo, s41
	v_dual_lshrrev_b32 v4, 16, v14 :: v_dual_mov_b32 v24, 0
	v_mov_b32_e32 v25, 0
	s_mov_b32 s41, exec_lo
	v_and_b32_e32 v26, 0xff, v4
	s_delay_alu instid0(VALU_DEP_1)
	v_cmpx_ne_u16_e32 0, v26
	s_cbranch_execz .LBB256_41
; %bb.34:                               ;   in Loop: Header=BB256_12 Depth=1
	v_mov_b32_e32 v25, 0x8000
	s_mov_b32 s42, exec_lo
	v_cmpx_ne_u16_e32 0x80, v26
	s_cbranch_execz .LBB256_40
; %bb.35:                               ;   in Loop: Header=BB256_12 Depth=1
	v_bfe_u32 v30, v14, 16, 7
	v_mov_b32_e32 v25, 0x7c01
	s_mov_b32 s43, exec_lo
	s_delay_alu instid0(VALU_DEP_2)
	v_cmpx_ne_u32_e32 0x7f, v30
	s_cbranch_execz .LBB256_39
; %bb.36:                               ;   in Loop: Header=BB256_12 Depth=1
	v_dual_lshrrev_b32 v26, 3, v30 :: v_dual_bitop2_b32 v25, 7, v4 bitop3:0x40
	s_mov_b32 s44, exec_lo
	v_cmpx_gt_u32_e32 8, v30
; %bb.37:                               ;   in Loop: Header=BB256_12 Depth=1
	s_delay_alu instid0(VALU_DEP_2) | instskip(NEXT) | instid1(VALU_DEP_1)
	v_clz_i32_u32_e32 v25, v25
	v_min_u32_e32 v25, 32, v25
	s_delay_alu instid0(VALU_DEP_1) | instskip(NEXT) | instid1(VALU_DEP_1)
	v_subrev_nc_u32_e32 v26, 28, v25
	v_lshlrev_b64_e32 v[30:31], v26, v[4:5]
	s_delay_alu instid0(VALU_DEP_1)
	v_dual_sub_nc_u32 v26, 29, v25 :: v_dual_bitop2_b32 v25, 7, v30 bitop3:0x40
; %bb.38:                               ;   in Loop: Header=BB256_12 Depth=1
	s_or_b32 exec_lo, exec_lo, s44
	s_delay_alu instid0(VALU_DEP_1) | instskip(NEXT) | instid1(VALU_DEP_2)
	v_dual_lshlrev_b32 v4, 8, v4 :: v_dual_lshlrev_b32 v25, 7, v25
	v_lshl_add_u32 v26, v26, 10, 0x2000
	s_delay_alu instid0(VALU_DEP_2) | instskip(NEXT) | instid1(VALU_DEP_2)
	v_and_b32_e32 v4, 0x8000, v4
	v_and_b32_e32 v26, 0xfc00, v26
	s_delay_alu instid0(VALU_DEP_1)
	v_or3_b32 v25, v4, v26, v25
.LBB256_39:                             ;   in Loop: Header=BB256_12 Depth=1
	s_or_b32 exec_lo, exec_lo, s43
.LBB256_40:                             ;   in Loop: Header=BB256_12 Depth=1
	s_delay_alu instid0(SALU_CYCLE_1)
	s_or_b32 exec_lo, exec_lo, s42
.LBB256_41:                             ;   in Loop: Header=BB256_12 Depth=1
	s_delay_alu instid0(SALU_CYCLE_1) | instskip(NEXT) | instid1(SALU_CYCLE_1)
	s_or_b32 exec_lo, exec_lo, s41
	s_mov_b32 s41, exec_lo
	v_cmpx_lt_u32_e32 0xffffff, v14
	s_cbranch_execz .LBB256_49
; %bb.42:                               ;   in Loop: Header=BB256_12 Depth=1
	v_lshrrev_b32_e32 v4, 24, v14
	v_bfrev_b32_e32 v24, 1
	s_mov_b32 s42, exec_lo
	s_delay_alu instid0(VALU_DEP_2)
	v_cmpx_ne_u32_e32 0x80, v4
	s_cbranch_execz .LBB256_48
; %bb.43:                               ;   in Loop: Header=BB256_12 Depth=1
	v_and_b32_e32 v26, 0x7f, v4
	v_mov_b32_e32 v24, 0x7c010000
	s_mov_b32 s43, exec_lo
	s_delay_alu instid0(VALU_DEP_2)
	v_cmpx_ne_u32_e32 0x7f, v26
	s_cbranch_execz .LBB256_47
; %bb.44:                               ;   in Loop: Header=BB256_12 Depth=1
	v_dual_lshrrev_b32 v24, 3, v26 :: v_dual_bitop2_b32 v14, 7, v4 bitop3:0x40
	s_mov_b32 s44, exec_lo
	v_cmpx_gt_u32_e32 8, v26
; %bb.45:                               ;   in Loop: Header=BB256_12 Depth=1
	s_delay_alu instid0(VALU_DEP_2) | instskip(NEXT) | instid1(VALU_DEP_1)
	v_clz_i32_u32_e32 v14, v14
	v_min_u32_e32 v14, 32, v14
	s_delay_alu instid0(VALU_DEP_1) | instskip(NEXT) | instid1(VALU_DEP_1)
	v_subrev_nc_u32_e32 v24, 28, v14
	v_lshlrev_b64_e32 v[30:31], v24, v[4:5]
	v_sub_nc_u32_e32 v24, 29, v14
	s_delay_alu instid0(VALU_DEP_2)
	v_and_b32_e32 v14, 7, v30
; %bb.46:                               ;   in Loop: Header=BB256_12 Depth=1
	s_or_b32 exec_lo, exec_lo, s44
	s_delay_alu instid0(VALU_DEP_1) | instskip(NEXT) | instid1(VALU_DEP_3)
	v_dual_lshlrev_b32 v4, 8, v4 :: v_dual_lshlrev_b32 v14, 23, v14
	v_lshl_add_u32 v24, v24, 10, 0x2000
	s_delay_alu instid0(VALU_DEP_1) | instskip(NEXT) | instid1(VALU_DEP_1)
	v_and_or_b32 v4, 0x8000, v4, v24
	v_lshl_or_b32 v24, v4, 16, v14
.LBB256_47:                             ;   in Loop: Header=BB256_12 Depth=1
	s_or_b32 exec_lo, exec_lo, s43
.LBB256_48:                             ;   in Loop: Header=BB256_12 Depth=1
	s_delay_alu instid0(SALU_CYCLE_1)
	s_or_b32 exec_lo, exec_lo, s42
.LBB256_49:                             ;   in Loop: Header=BB256_12 Depth=1
	s_delay_alu instid0(SALU_CYCLE_1)
	s_or_b32 exec_lo, exec_lo, s41
	global_load_b32 v14, v[12:13], off offset:8
	v_dual_mov_b32 v26, 0 :: v_dual_mov_b32 v30, 0
	s_mov_b32 s41, exec_lo
	s_wait_loadcnt 0x0
	v_and_b32_e32 v4, 0xff, v14
	s_delay_alu instid0(VALU_DEP_1)
	v_cmpx_ne_u16_e32 0, v4
	s_cbranch_execz .LBB256_57
; %bb.50:                               ;   in Loop: Header=BB256_12 Depth=1
	v_mov_b32_e32 v30, 0x8000
	s_mov_b32 s42, exec_lo
	v_cmpx_ne_u16_e32 0x80, v4
	s_cbranch_execz .LBB256_56
; %bb.51:                               ;   in Loop: Header=BB256_12 Depth=1
	v_and_b32_e32 v31, 0x7f, v14
	v_mov_b32_e32 v30, 0x7c01
	s_mov_b32 s43, exec_lo
	s_delay_alu instid0(VALU_DEP_2)
	v_cmpx_ne_u32_e32 0x7f, v31
	s_cbranch_execz .LBB256_55
; %bb.52:                               ;   in Loop: Header=BB256_12 Depth=1
	v_dual_lshrrev_b32 v30, 3, v31 :: v_dual_bitop2_b32 v4, 7, v14 bitop3:0x40
	s_mov_b32 s44, exec_lo
	v_cmpx_gt_u32_e32 8, v31
; %bb.53:                               ;   in Loop: Header=BB256_12 Depth=1
	s_delay_alu instid0(VALU_DEP_2) | instskip(NEXT) | instid1(VALU_DEP_1)
	v_clz_i32_u32_e32 v4, v4
	v_min_u32_e32 v4, 32, v4
	s_delay_alu instid0(VALU_DEP_1) | instskip(NEXT) | instid1(VALU_DEP_1)
	v_subrev_nc_u32_e32 v30, 28, v4
	v_lshlrev_b64_e32 v[32:33], v30, v[14:15]
	v_sub_nc_u32_e32 v30, 29, v4
	s_delay_alu instid0(VALU_DEP_2)
	v_and_b32_e32 v4, 7, v32
; %bb.54:                               ;   in Loop: Header=BB256_12 Depth=1
	s_or_b32 exec_lo, exec_lo, s44
	s_delay_alu instid0(VALU_DEP_1) | instskip(NEXT) | instid1(VALU_DEP_3)
	v_dual_lshlrev_b32 v31, 8, v14 :: v_dual_lshlrev_b32 v4, 7, v4
	v_lshl_add_u32 v30, v30, 10, 0x2000
	s_delay_alu instid0(VALU_DEP_2) | instskip(NEXT) | instid1(VALU_DEP_2)
	v_and_b32_e32 v31, 0x8000, v31
	v_and_b32_e32 v30, 0xfc00, v30
	s_delay_alu instid0(VALU_DEP_1)
	v_or3_b32 v30, v31, v30, v4
.LBB256_55:                             ;   in Loop: Header=BB256_12 Depth=1
	s_or_b32 exec_lo, exec_lo, s43
.LBB256_56:                             ;   in Loop: Header=BB256_12 Depth=1
	s_delay_alu instid0(SALU_CYCLE_1)
	s_or_b32 exec_lo, exec_lo, s42
.LBB256_57:                             ;   in Loop: Header=BB256_12 Depth=1
	s_delay_alu instid0(SALU_CYCLE_1) | instskip(SKIP_2) | instid1(VALU_DEP_1)
	s_or_b32 exec_lo, exec_lo, s41
	v_lshrrev_b16 v4, 8, v14
	s_mov_b32 s41, exec_lo
	v_cmpx_ne_u16_e32 0, v4
	s_cbranch_execz .LBB256_65
; %bb.58:                               ;   in Loop: Header=BB256_12 Depth=1
	v_bfrev_b32_e32 v26, 1
	s_mov_b32 s42, exec_lo
	v_cmpx_ne_u16_e32 0x80, v4
	s_cbranch_execz .LBB256_64
; %bb.59:                               ;   in Loop: Header=BB256_12 Depth=1
	v_and_b32_e32 v31, 0xffff, v4
	v_mov_b32_e32 v26, 0x7c010000
	s_mov_b32 s43, exec_lo
	s_delay_alu instid0(VALU_DEP_2) | instskip(NEXT) | instid1(VALU_DEP_1)
	v_and_b32_e32 v33, 0x7f, v31
	v_cmpx_ne_u32_e32 0x7f, v33
	s_cbranch_execz .LBB256_63
; %bb.60:                               ;   in Loop: Header=BB256_12 Depth=1
	v_dual_lshrrev_b32 v32, 3, v33 :: v_dual_bitop2_b32 v26, 7, v31 bitop3:0x40
	s_mov_b32 s44, exec_lo
	v_cmpx_gt_u32_e32 8, v33
; %bb.61:                               ;   in Loop: Header=BB256_12 Depth=1
	s_delay_alu instid0(VALU_DEP_2) | instskip(NEXT) | instid1(VALU_DEP_1)
	v_clz_i32_u32_e32 v26, v26
	v_min_u32_e32 v26, 32, v26
	s_delay_alu instid0(VALU_DEP_1) | instskip(NEXT) | instid1(VALU_DEP_1)
	v_subrev_nc_u32_e32 v32, 28, v26
	v_lshlrev_b64_e32 v[34:35], v32, v[4:5]
	v_sub_nc_u32_e32 v32, 29, v26
	s_delay_alu instid0(VALU_DEP_2)
	v_and_b32_e32 v26, 7, v34
; %bb.62:                               ;   in Loop: Header=BB256_12 Depth=1
	s_or_b32 exec_lo, exec_lo, s44
	s_delay_alu instid0(VALU_DEP_1) | instskip(NEXT) | instid1(VALU_DEP_3)
	v_dual_lshlrev_b32 v4, 8, v31 :: v_dual_lshlrev_b32 v26, 23, v26
	v_lshl_add_u32 v31, v32, 10, 0x2000
	s_delay_alu instid0(VALU_DEP_1) | instskip(NEXT) | instid1(VALU_DEP_1)
	v_and_or_b32 v4, 0x8000, v4, v31
	v_lshl_or_b32 v26, v4, 16, v26
.LBB256_63:                             ;   in Loop: Header=BB256_12 Depth=1
	s_or_b32 exec_lo, exec_lo, s43
.LBB256_64:                             ;   in Loop: Header=BB256_12 Depth=1
	s_delay_alu instid0(SALU_CYCLE_1)
	s_or_b32 exec_lo, exec_lo, s42
.LBB256_65:                             ;   in Loop: Header=BB256_12 Depth=1
	s_delay_alu instid0(SALU_CYCLE_1) | instskip(SKIP_3) | instid1(VALU_DEP_2)
	s_or_b32 exec_lo, exec_lo, s41
	v_dual_mov_b32 v31, 0 :: v_dual_lshrrev_b32 v4, 16, v14
	v_mov_b32_e32 v32, 0
	s_mov_b32 s41, exec_lo
	v_and_b32_e32 v33, 0xff, v4
	s_delay_alu instid0(VALU_DEP_1)
	v_cmpx_ne_u16_e32 0, v33
	s_cbranch_execz .LBB256_73
; %bb.66:                               ;   in Loop: Header=BB256_12 Depth=1
	v_mov_b32_e32 v32, 0x8000
	s_mov_b32 s42, exec_lo
	v_cmpx_ne_u16_e32 0x80, v33
	s_cbranch_execz .LBB256_72
; %bb.67:                               ;   in Loop: Header=BB256_12 Depth=1
	v_bfe_u32 v34, v14, 16, 7
	v_mov_b32_e32 v32, 0x7c01
	s_mov_b32 s43, exec_lo
	s_delay_alu instid0(VALU_DEP_2)
	v_cmpx_ne_u32_e32 0x7f, v34
	s_cbranch_execz .LBB256_71
; %bb.68:                               ;   in Loop: Header=BB256_12 Depth=1
	v_dual_lshrrev_b32 v33, 3, v34 :: v_dual_bitop2_b32 v32, 7, v4 bitop3:0x40
	s_mov_b32 s44, exec_lo
	v_cmpx_gt_u32_e32 8, v34
; %bb.69:                               ;   in Loop: Header=BB256_12 Depth=1
	s_delay_alu instid0(VALU_DEP_2) | instskip(NEXT) | instid1(VALU_DEP_1)
	v_clz_i32_u32_e32 v32, v32
	v_min_u32_e32 v34, 32, v32
	s_delay_alu instid0(VALU_DEP_1) | instskip(NEXT) | instid1(VALU_DEP_1)
	v_subrev_nc_u32_e32 v32, 28, v34
	v_lshlrev_b64_e32 v[32:33], v32, v[4:5]
	s_delay_alu instid0(VALU_DEP_1)
	v_dual_sub_nc_u32 v33, 29, v34 :: v_dual_bitop2_b32 v32, 7, v32 bitop3:0x40
; %bb.70:                               ;   in Loop: Header=BB256_12 Depth=1
	s_or_b32 exec_lo, exec_lo, s44
	v_lshlrev_b32_e32 v4, 8, v4
	s_delay_alu instid0(VALU_DEP_2) | instskip(NEXT) | instid1(VALU_DEP_3)
	v_lshl_add_u32 v33, v33, 10, 0x2000
	v_lshlrev_b32_e32 v32, 7, v32
	s_delay_alu instid0(VALU_DEP_3) | instskip(NEXT) | instid1(VALU_DEP_3)
	v_and_b32_e32 v4, 0x8000, v4
	v_and_b32_e32 v33, 0xfc00, v33
	s_delay_alu instid0(VALU_DEP_1)
	v_or3_b32 v32, v4, v33, v32
.LBB256_71:                             ;   in Loop: Header=BB256_12 Depth=1
	s_or_b32 exec_lo, exec_lo, s43
.LBB256_72:                             ;   in Loop: Header=BB256_12 Depth=1
	s_delay_alu instid0(SALU_CYCLE_1)
	s_or_b32 exec_lo, exec_lo, s42
.LBB256_73:                             ;   in Loop: Header=BB256_12 Depth=1
	s_delay_alu instid0(SALU_CYCLE_1) | instskip(NEXT) | instid1(SALU_CYCLE_1)
	s_or_b32 exec_lo, exec_lo, s41
	s_mov_b32 s41, exec_lo
	v_cmpx_lt_u32_e32 0xffffff, v14
	s_cbranch_execz .LBB256_81
; %bb.74:                               ;   in Loop: Header=BB256_12 Depth=1
	v_lshrrev_b32_e32 v4, 24, v14
	v_bfrev_b32_e32 v31, 1
	s_mov_b32 s42, exec_lo
	s_delay_alu instid0(VALU_DEP_2)
	v_cmpx_ne_u32_e32 0x80, v4
	s_cbranch_execz .LBB256_80
; %bb.75:                               ;   in Loop: Header=BB256_12 Depth=1
	v_and_b32_e32 v33, 0x7f, v4
	v_mov_b32_e32 v31, 0x7c010000
	s_mov_b32 s43, exec_lo
	s_delay_alu instid0(VALU_DEP_2)
	v_cmpx_ne_u32_e32 0x7f, v33
	s_cbranch_execz .LBB256_79
; %bb.76:                               ;   in Loop: Header=BB256_12 Depth=1
	v_dual_lshrrev_b32 v31, 3, v33 :: v_dual_bitop2_b32 v14, 7, v4 bitop3:0x40
	s_mov_b32 s44, exec_lo
	v_cmpx_gt_u32_e32 8, v33
; %bb.77:                               ;   in Loop: Header=BB256_12 Depth=1
	s_delay_alu instid0(VALU_DEP_2) | instskip(NEXT) | instid1(VALU_DEP_1)
	v_clz_i32_u32_e32 v14, v14
	v_min_u32_e32 v14, 32, v14
	s_delay_alu instid0(VALU_DEP_1) | instskip(NEXT) | instid1(VALU_DEP_1)
	v_subrev_nc_u32_e32 v31, 28, v14
	v_lshlrev_b64_e32 v[34:35], v31, v[4:5]
	v_sub_nc_u32_e32 v31, 29, v14
	s_delay_alu instid0(VALU_DEP_2)
	v_and_b32_e32 v14, 7, v34
; %bb.78:                               ;   in Loop: Header=BB256_12 Depth=1
	s_or_b32 exec_lo, exec_lo, s44
	s_delay_alu instid0(VALU_DEP_1) | instskip(NEXT) | instid1(VALU_DEP_3)
	v_dual_lshlrev_b32 v4, 8, v4 :: v_dual_lshlrev_b32 v14, 23, v14
	v_lshl_add_u32 v31, v31, 10, 0x2000
	s_delay_alu instid0(VALU_DEP_1) | instskip(NEXT) | instid1(VALU_DEP_1)
	v_and_or_b32 v4, 0x8000, v4, v31
	v_lshl_or_b32 v31, v4, 16, v14
.LBB256_79:                             ;   in Loop: Header=BB256_12 Depth=1
	s_or_b32 exec_lo, exec_lo, s43
.LBB256_80:                             ;   in Loop: Header=BB256_12 Depth=1
	s_delay_alu instid0(SALU_CYCLE_1)
	s_or_b32 exec_lo, exec_lo, s42
.LBB256_81:                             ;   in Loop: Header=BB256_12 Depth=1
	s_delay_alu instid0(SALU_CYCLE_1)
	s_or_b32 exec_lo, exec_lo, s41
	global_load_b32 v14, v[12:13], off offset:256
	v_dual_mov_b32 v33, 0 :: v_dual_mov_b32 v34, 0
	s_mov_b32 s41, exec_lo
	s_wait_loadcnt 0x0
	v_and_b32_e32 v4, 0xff, v14
	s_delay_alu instid0(VALU_DEP_1)
	v_cmpx_ne_u16_e32 0, v4
	s_cbranch_execz .LBB256_89
; %bb.82:                               ;   in Loop: Header=BB256_12 Depth=1
	v_mov_b32_e32 v34, 0x8000
	s_mov_b32 s42, exec_lo
	v_cmpx_ne_u16_e32 0x80, v4
	s_cbranch_execz .LBB256_88
; %bb.83:                               ;   in Loop: Header=BB256_12 Depth=1
	v_and_b32_e32 v35, 0x7f, v14
	v_mov_b32_e32 v34, 0x7c01
	s_mov_b32 s43, exec_lo
	s_delay_alu instid0(VALU_DEP_2)
	v_cmpx_ne_u32_e32 0x7f, v35
	s_cbranch_execz .LBB256_87
; %bb.84:                               ;   in Loop: Header=BB256_12 Depth=1
	v_dual_lshrrev_b32 v34, 3, v35 :: v_dual_bitop2_b32 v4, 7, v14 bitop3:0x40
	s_mov_b32 s44, exec_lo
	v_cmpx_gt_u32_e32 8, v35
; %bb.85:                               ;   in Loop: Header=BB256_12 Depth=1
	s_delay_alu instid0(VALU_DEP_2) | instskip(NEXT) | instid1(VALU_DEP_1)
	v_clz_i32_u32_e32 v4, v4
	v_min_u32_e32 v4, 32, v4
	s_delay_alu instid0(VALU_DEP_1) | instskip(NEXT) | instid1(VALU_DEP_1)
	v_subrev_nc_u32_e32 v34, 28, v4
	v_lshlrev_b64_e32 v[36:37], v34, v[14:15]
	v_sub_nc_u32_e32 v34, 29, v4
	s_delay_alu instid0(VALU_DEP_2)
	v_and_b32_e32 v4, 7, v36
; %bb.86:                               ;   in Loop: Header=BB256_12 Depth=1
	s_or_b32 exec_lo, exec_lo, s44
	s_delay_alu instid0(VALU_DEP_1) | instskip(NEXT) | instid1(VALU_DEP_3)
	v_dual_lshlrev_b32 v35, 8, v14 :: v_dual_lshlrev_b32 v4, 7, v4
	v_lshl_add_u32 v34, v34, 10, 0x2000
	s_delay_alu instid0(VALU_DEP_2) | instskip(NEXT) | instid1(VALU_DEP_2)
	v_and_b32_e32 v35, 0x8000, v35
	v_and_b32_e32 v34, 0xfc00, v34
	s_delay_alu instid0(VALU_DEP_1)
	v_or3_b32 v34, v35, v34, v4
.LBB256_87:                             ;   in Loop: Header=BB256_12 Depth=1
	s_or_b32 exec_lo, exec_lo, s43
.LBB256_88:                             ;   in Loop: Header=BB256_12 Depth=1
	s_delay_alu instid0(SALU_CYCLE_1)
	s_or_b32 exec_lo, exec_lo, s42
.LBB256_89:                             ;   in Loop: Header=BB256_12 Depth=1
	s_delay_alu instid0(SALU_CYCLE_1) | instskip(SKIP_2) | instid1(VALU_DEP_1)
	s_or_b32 exec_lo, exec_lo, s41
	v_lshrrev_b16 v4, 8, v14
	s_mov_b32 s41, exec_lo
	v_cmpx_ne_u16_e32 0, v4
	s_cbranch_execz .LBB256_97
; %bb.90:                               ;   in Loop: Header=BB256_12 Depth=1
	v_bfrev_b32_e32 v33, 1
	s_mov_b32 s42, exec_lo
	v_cmpx_ne_u16_e32 0x80, v4
	s_cbranch_execz .LBB256_96
; %bb.91:                               ;   in Loop: Header=BB256_12 Depth=1
	v_and_b32_e32 v35, 0xffff, v4
	v_mov_b32_e32 v33, 0x7c010000
	s_mov_b32 s43, exec_lo
	s_delay_alu instid0(VALU_DEP_2) | instskip(NEXT) | instid1(VALU_DEP_1)
	v_and_b32_e32 v37, 0x7f, v35
	v_cmpx_ne_u32_e32 0x7f, v37
	s_cbranch_execz .LBB256_95
; %bb.92:                               ;   in Loop: Header=BB256_12 Depth=1
	v_dual_lshrrev_b32 v36, 3, v37 :: v_dual_bitop2_b32 v33, 7, v35 bitop3:0x40
	s_mov_b32 s44, exec_lo
	v_cmpx_gt_u32_e32 8, v37
; %bb.93:                               ;   in Loop: Header=BB256_12 Depth=1
	s_delay_alu instid0(VALU_DEP_2) | instskip(NEXT) | instid1(VALU_DEP_1)
	v_clz_i32_u32_e32 v33, v33
	v_min_u32_e32 v33, 32, v33
	s_delay_alu instid0(VALU_DEP_1) | instskip(NEXT) | instid1(VALU_DEP_1)
	v_subrev_nc_u32_e32 v36, 28, v33
	v_lshlrev_b64_e32 v[38:39], v36, v[4:5]
	s_delay_alu instid0(VALU_DEP_1)
	v_dual_sub_nc_u32 v36, 29, v33 :: v_dual_bitop2_b32 v33, 7, v38 bitop3:0x40
; %bb.94:                               ;   in Loop: Header=BB256_12 Depth=1
	s_or_b32 exec_lo, exec_lo, s44
	s_delay_alu instid0(VALU_DEP_1) | instskip(NEXT) | instid1(VALU_DEP_2)
	v_dual_lshlrev_b32 v4, 8, v35 :: v_dual_lshlrev_b32 v33, 23, v33
	v_lshl_add_u32 v35, v36, 10, 0x2000
	s_delay_alu instid0(VALU_DEP_1) | instskip(NEXT) | instid1(VALU_DEP_1)
	v_and_or_b32 v4, 0x8000, v4, v35
	v_lshl_or_b32 v33, v4, 16, v33
.LBB256_95:                             ;   in Loop: Header=BB256_12 Depth=1
	s_or_b32 exec_lo, exec_lo, s43
.LBB256_96:                             ;   in Loop: Header=BB256_12 Depth=1
	s_delay_alu instid0(SALU_CYCLE_1)
	s_or_b32 exec_lo, exec_lo, s42
.LBB256_97:                             ;   in Loop: Header=BB256_12 Depth=1
	s_delay_alu instid0(SALU_CYCLE_1) | instskip(SKIP_3) | instid1(VALU_DEP_2)
	s_or_b32 exec_lo, exec_lo, s41
	v_dual_mov_b32 v35, 0 :: v_dual_lshrrev_b32 v4, 16, v14
	v_mov_b32_e32 v36, 0
	s_mov_b32 s41, exec_lo
	v_and_b32_e32 v37, 0xff, v4
	s_delay_alu instid0(VALU_DEP_1)
	v_cmpx_ne_u16_e32 0, v37
	s_cbranch_execz .LBB256_105
; %bb.98:                               ;   in Loop: Header=BB256_12 Depth=1
	v_mov_b32_e32 v36, 0x8000
	s_mov_b32 s42, exec_lo
	v_cmpx_ne_u16_e32 0x80, v37
	s_cbranch_execz .LBB256_104
; %bb.99:                               ;   in Loop: Header=BB256_12 Depth=1
	v_bfe_u32 v38, v14, 16, 7
	v_mov_b32_e32 v36, 0x7c01
	s_mov_b32 s43, exec_lo
	s_delay_alu instid0(VALU_DEP_2)
	v_cmpx_ne_u32_e32 0x7f, v38
	s_cbranch_execz .LBB256_103
; %bb.100:                              ;   in Loop: Header=BB256_12 Depth=1
	v_dual_lshrrev_b32 v37, 3, v38 :: v_dual_bitop2_b32 v36, 7, v4 bitop3:0x40
	s_mov_b32 s44, exec_lo
	v_cmpx_gt_u32_e32 8, v38
; %bb.101:                              ;   in Loop: Header=BB256_12 Depth=1
	s_delay_alu instid0(VALU_DEP_2) | instskip(NEXT) | instid1(VALU_DEP_1)
	v_clz_i32_u32_e32 v36, v36
	v_min_u32_e32 v38, 32, v36
	s_delay_alu instid0(VALU_DEP_1) | instskip(NEXT) | instid1(VALU_DEP_1)
	v_subrev_nc_u32_e32 v36, 28, v38
	v_lshlrev_b64_e32 v[36:37], v36, v[4:5]
	s_delay_alu instid0(VALU_DEP_1)
	v_dual_sub_nc_u32 v37, 29, v38 :: v_dual_bitop2_b32 v36, 7, v36 bitop3:0x40
; %bb.102:                              ;   in Loop: Header=BB256_12 Depth=1
	s_or_b32 exec_lo, exec_lo, s44
	v_lshlrev_b32_e32 v4, 8, v4
	s_delay_alu instid0(VALU_DEP_2) | instskip(NEXT) | instid1(VALU_DEP_3)
	v_lshl_add_u32 v37, v37, 10, 0x2000
	v_lshlrev_b32_e32 v36, 7, v36
	s_delay_alu instid0(VALU_DEP_3) | instskip(NEXT) | instid1(VALU_DEP_3)
	v_and_b32_e32 v4, 0x8000, v4
	v_and_b32_e32 v37, 0xfc00, v37
	s_delay_alu instid0(VALU_DEP_1)
	v_or3_b32 v36, v4, v37, v36
.LBB256_103:                            ;   in Loop: Header=BB256_12 Depth=1
	s_or_b32 exec_lo, exec_lo, s43
.LBB256_104:                            ;   in Loop: Header=BB256_12 Depth=1
	s_delay_alu instid0(SALU_CYCLE_1)
	s_or_b32 exec_lo, exec_lo, s42
.LBB256_105:                            ;   in Loop: Header=BB256_12 Depth=1
	s_delay_alu instid0(SALU_CYCLE_1) | instskip(NEXT) | instid1(SALU_CYCLE_1)
	s_or_b32 exec_lo, exec_lo, s41
	s_mov_b32 s41, exec_lo
	v_cmpx_lt_u32_e32 0xffffff, v14
	s_cbranch_execz .LBB256_113
; %bb.106:                              ;   in Loop: Header=BB256_12 Depth=1
	v_lshrrev_b32_e32 v4, 24, v14
	v_bfrev_b32_e32 v35, 1
	s_mov_b32 s42, exec_lo
	s_delay_alu instid0(VALU_DEP_2)
	v_cmpx_ne_u32_e32 0x80, v4
	s_cbranch_execz .LBB256_112
; %bb.107:                              ;   in Loop: Header=BB256_12 Depth=1
	v_and_b32_e32 v37, 0x7f, v4
	v_mov_b32_e32 v35, 0x7c010000
	s_mov_b32 s43, exec_lo
	s_delay_alu instid0(VALU_DEP_2)
	v_cmpx_ne_u32_e32 0x7f, v37
	s_cbranch_execz .LBB256_111
; %bb.108:                              ;   in Loop: Header=BB256_12 Depth=1
	v_dual_lshrrev_b32 v35, 3, v37 :: v_dual_bitop2_b32 v14, 7, v4 bitop3:0x40
	s_mov_b32 s44, exec_lo
	v_cmpx_gt_u32_e32 8, v37
; %bb.109:                              ;   in Loop: Header=BB256_12 Depth=1
	s_delay_alu instid0(VALU_DEP_2) | instskip(NEXT) | instid1(VALU_DEP_1)
	v_clz_i32_u32_e32 v14, v14
	v_min_u32_e32 v14, 32, v14
	s_delay_alu instid0(VALU_DEP_1) | instskip(NEXT) | instid1(VALU_DEP_1)
	v_subrev_nc_u32_e32 v35, 28, v14
	v_lshlrev_b64_e32 v[38:39], v35, v[4:5]
	v_sub_nc_u32_e32 v35, 29, v14
	s_delay_alu instid0(VALU_DEP_2)
	v_and_b32_e32 v14, 7, v38
; %bb.110:                              ;   in Loop: Header=BB256_12 Depth=1
	s_or_b32 exec_lo, exec_lo, s44
	s_delay_alu instid0(VALU_DEP_1) | instskip(NEXT) | instid1(VALU_DEP_3)
	v_dual_lshlrev_b32 v4, 8, v4 :: v_dual_lshlrev_b32 v14, 23, v14
	v_lshl_add_u32 v35, v35, 10, 0x2000
	s_delay_alu instid0(VALU_DEP_1) | instskip(NEXT) | instid1(VALU_DEP_1)
	v_and_or_b32 v4, 0x8000, v4, v35
	v_lshl_or_b32 v35, v4, 16, v14
.LBB256_111:                            ;   in Loop: Header=BB256_12 Depth=1
	s_or_b32 exec_lo, exec_lo, s43
.LBB256_112:                            ;   in Loop: Header=BB256_12 Depth=1
	s_delay_alu instid0(SALU_CYCLE_1)
	s_or_b32 exec_lo, exec_lo, s42
.LBB256_113:                            ;   in Loop: Header=BB256_12 Depth=1
	s_delay_alu instid0(SALU_CYCLE_1)
	s_or_b32 exec_lo, exec_lo, s41
	global_load_b32 v14, v[12:13], off offset:264
	v_dual_mov_b32 v37, 0 :: v_dual_mov_b32 v38, 0
	s_mov_b32 s41, exec_lo
	s_wait_loadcnt 0x0
	v_and_b32_e32 v4, 0xff, v14
	s_delay_alu instid0(VALU_DEP_1)
	v_cmpx_ne_u16_e32 0, v4
	s_cbranch_execz .LBB256_121
; %bb.114:                              ;   in Loop: Header=BB256_12 Depth=1
	v_mov_b32_e32 v38, 0x8000
	s_mov_b32 s42, exec_lo
	v_cmpx_ne_u16_e32 0x80, v4
	s_cbranch_execz .LBB256_120
; %bb.115:                              ;   in Loop: Header=BB256_12 Depth=1
	v_and_b32_e32 v39, 0x7f, v14
	v_mov_b32_e32 v38, 0x7c01
	s_mov_b32 s43, exec_lo
	s_delay_alu instid0(VALU_DEP_2)
	v_cmpx_ne_u32_e32 0x7f, v39
	s_cbranch_execz .LBB256_119
; %bb.116:                              ;   in Loop: Header=BB256_12 Depth=1
	v_dual_lshrrev_b32 v38, 3, v39 :: v_dual_bitop2_b32 v4, 7, v14 bitop3:0x40
	s_mov_b32 s44, exec_lo
	v_cmpx_gt_u32_e32 8, v39
; %bb.117:                              ;   in Loop: Header=BB256_12 Depth=1
	s_delay_alu instid0(VALU_DEP_2) | instskip(NEXT) | instid1(VALU_DEP_1)
	v_clz_i32_u32_e32 v4, v4
	v_min_u32_e32 v4, 32, v4
	s_delay_alu instid0(VALU_DEP_1) | instskip(NEXT) | instid1(VALU_DEP_1)
	v_subrev_nc_u32_e32 v38, 28, v4
	v_lshlrev_b64_e32 v[40:41], v38, v[14:15]
	v_sub_nc_u32_e32 v38, 29, v4
	s_delay_alu instid0(VALU_DEP_2)
	v_and_b32_e32 v4, 7, v40
; %bb.118:                              ;   in Loop: Header=BB256_12 Depth=1
	s_or_b32 exec_lo, exec_lo, s44
	s_delay_alu instid0(VALU_DEP_1) | instskip(NEXT) | instid1(VALU_DEP_3)
	v_dual_lshlrev_b32 v39, 8, v14 :: v_dual_lshlrev_b32 v4, 7, v4
	v_lshl_add_u32 v38, v38, 10, 0x2000
	s_delay_alu instid0(VALU_DEP_2) | instskip(NEXT) | instid1(VALU_DEP_2)
	v_and_b32_e32 v39, 0x8000, v39
	v_and_b32_e32 v38, 0xfc00, v38
	s_delay_alu instid0(VALU_DEP_1)
	v_or3_b32 v38, v39, v38, v4
.LBB256_119:                            ;   in Loop: Header=BB256_12 Depth=1
	s_or_b32 exec_lo, exec_lo, s43
.LBB256_120:                            ;   in Loop: Header=BB256_12 Depth=1
	s_delay_alu instid0(SALU_CYCLE_1)
	s_or_b32 exec_lo, exec_lo, s42
.LBB256_121:                            ;   in Loop: Header=BB256_12 Depth=1
	s_delay_alu instid0(SALU_CYCLE_1) | instskip(SKIP_2) | instid1(VALU_DEP_1)
	s_or_b32 exec_lo, exec_lo, s41
	v_lshrrev_b16 v4, 8, v14
	s_mov_b32 s41, exec_lo
	v_cmpx_ne_u16_e32 0, v4
	s_cbranch_execz .LBB256_129
; %bb.122:                              ;   in Loop: Header=BB256_12 Depth=1
	v_bfrev_b32_e32 v37, 1
	s_mov_b32 s42, exec_lo
	v_cmpx_ne_u16_e32 0x80, v4
	s_cbranch_execz .LBB256_128
; %bb.123:                              ;   in Loop: Header=BB256_12 Depth=1
	v_and_b32_e32 v39, 0xffff, v4
	v_mov_b32_e32 v37, 0x7c010000
	s_mov_b32 s43, exec_lo
	s_delay_alu instid0(VALU_DEP_2) | instskip(NEXT) | instid1(VALU_DEP_1)
	v_and_b32_e32 v41, 0x7f, v39
	v_cmpx_ne_u32_e32 0x7f, v41
	s_cbranch_execz .LBB256_127
; %bb.124:                              ;   in Loop: Header=BB256_12 Depth=1
	v_dual_lshrrev_b32 v40, 3, v41 :: v_dual_bitop2_b32 v37, 7, v39 bitop3:0x40
	s_mov_b32 s44, exec_lo
	v_cmpx_gt_u32_e32 8, v41
; %bb.125:                              ;   in Loop: Header=BB256_12 Depth=1
	s_delay_alu instid0(VALU_DEP_2) | instskip(NEXT) | instid1(VALU_DEP_1)
	v_clz_i32_u32_e32 v37, v37
	v_min_u32_e32 v37, 32, v37
	s_delay_alu instid0(VALU_DEP_1) | instskip(NEXT) | instid1(VALU_DEP_1)
	v_subrev_nc_u32_e32 v40, 28, v37
	v_lshlrev_b64_e32 v[42:43], v40, v[4:5]
	s_delay_alu instid0(VALU_DEP_1)
	v_dual_sub_nc_u32 v40, 29, v37 :: v_dual_bitop2_b32 v37, 7, v42 bitop3:0x40
; %bb.126:                              ;   in Loop: Header=BB256_12 Depth=1
	s_or_b32 exec_lo, exec_lo, s44
	s_delay_alu instid0(VALU_DEP_1) | instskip(NEXT) | instid1(VALU_DEP_2)
	v_dual_lshlrev_b32 v4, 8, v39 :: v_dual_lshlrev_b32 v37, 23, v37
	v_lshl_add_u32 v39, v40, 10, 0x2000
	s_delay_alu instid0(VALU_DEP_1) | instskip(NEXT) | instid1(VALU_DEP_1)
	v_and_or_b32 v4, 0x8000, v4, v39
	v_lshl_or_b32 v37, v4, 16, v37
.LBB256_127:                            ;   in Loop: Header=BB256_12 Depth=1
	s_or_b32 exec_lo, exec_lo, s43
.LBB256_128:                            ;   in Loop: Header=BB256_12 Depth=1
	s_delay_alu instid0(SALU_CYCLE_1)
	s_or_b32 exec_lo, exec_lo, s42
.LBB256_129:                            ;   in Loop: Header=BB256_12 Depth=1
	s_delay_alu instid0(SALU_CYCLE_1) | instskip(SKIP_3) | instid1(VALU_DEP_2)
	s_or_b32 exec_lo, exec_lo, s41
	v_dual_mov_b32 v39, 0 :: v_dual_lshrrev_b32 v4, 16, v14
	v_mov_b32_e32 v40, 0
	s_mov_b32 s41, exec_lo
	v_and_b32_e32 v41, 0xff, v4
	s_delay_alu instid0(VALU_DEP_1)
	v_cmpx_ne_u16_e32 0, v41
	s_cbranch_execz .LBB256_137
; %bb.130:                              ;   in Loop: Header=BB256_12 Depth=1
	v_mov_b32_e32 v40, 0x8000
	s_mov_b32 s42, exec_lo
	v_cmpx_ne_u16_e32 0x80, v41
	s_cbranch_execz .LBB256_136
; %bb.131:                              ;   in Loop: Header=BB256_12 Depth=1
	v_bfe_u32 v42, v14, 16, 7
	v_mov_b32_e32 v40, 0x7c01
	s_mov_b32 s43, exec_lo
	s_delay_alu instid0(VALU_DEP_2)
	v_cmpx_ne_u32_e32 0x7f, v42
	s_cbranch_execz .LBB256_135
; %bb.132:                              ;   in Loop: Header=BB256_12 Depth=1
	v_dual_lshrrev_b32 v41, 3, v42 :: v_dual_bitop2_b32 v40, 7, v4 bitop3:0x40
	s_mov_b32 s44, exec_lo
	v_cmpx_gt_u32_e32 8, v42
; %bb.133:                              ;   in Loop: Header=BB256_12 Depth=1
	s_delay_alu instid0(VALU_DEP_2) | instskip(NEXT) | instid1(VALU_DEP_1)
	v_clz_i32_u32_e32 v40, v40
	v_min_u32_e32 v42, 32, v40
	s_delay_alu instid0(VALU_DEP_1) | instskip(NEXT) | instid1(VALU_DEP_1)
	v_subrev_nc_u32_e32 v40, 28, v42
	v_lshlrev_b64_e32 v[40:41], v40, v[4:5]
	s_delay_alu instid0(VALU_DEP_1)
	v_dual_sub_nc_u32 v41, 29, v42 :: v_dual_bitop2_b32 v40, 7, v40 bitop3:0x40
; %bb.134:                              ;   in Loop: Header=BB256_12 Depth=1
	s_or_b32 exec_lo, exec_lo, s44
	v_lshlrev_b32_e32 v4, 8, v4
	s_delay_alu instid0(VALU_DEP_2) | instskip(NEXT) | instid1(VALU_DEP_3)
	v_lshl_add_u32 v41, v41, 10, 0x2000
	v_lshlrev_b32_e32 v40, 7, v40
	s_delay_alu instid0(VALU_DEP_3) | instskip(NEXT) | instid1(VALU_DEP_3)
	v_and_b32_e32 v4, 0x8000, v4
	v_and_b32_e32 v41, 0xfc00, v41
	s_delay_alu instid0(VALU_DEP_1)
	v_or3_b32 v40, v4, v41, v40
.LBB256_135:                            ;   in Loop: Header=BB256_12 Depth=1
	s_or_b32 exec_lo, exec_lo, s43
.LBB256_136:                            ;   in Loop: Header=BB256_12 Depth=1
	s_delay_alu instid0(SALU_CYCLE_1)
	s_or_b32 exec_lo, exec_lo, s42
.LBB256_137:                            ;   in Loop: Header=BB256_12 Depth=1
	s_delay_alu instid0(SALU_CYCLE_1) | instskip(NEXT) | instid1(SALU_CYCLE_1)
	s_or_b32 exec_lo, exec_lo, s41
	s_mov_b32 s41, exec_lo
	v_cmpx_lt_u32_e32 0xffffff, v14
	s_cbranch_execz .LBB256_145
; %bb.138:                              ;   in Loop: Header=BB256_12 Depth=1
	v_lshrrev_b32_e32 v4, 24, v14
	v_bfrev_b32_e32 v39, 1
	s_mov_b32 s42, exec_lo
	s_delay_alu instid0(VALU_DEP_2)
	v_cmpx_ne_u32_e32 0x80, v4
	s_cbranch_execz .LBB256_144
; %bb.139:                              ;   in Loop: Header=BB256_12 Depth=1
	v_and_b32_e32 v41, 0x7f, v4
	v_mov_b32_e32 v39, 0x7c010000
	s_mov_b32 s43, exec_lo
	s_delay_alu instid0(VALU_DEP_2)
	v_cmpx_ne_u32_e32 0x7f, v41
	s_cbranch_execz .LBB256_143
; %bb.140:                              ;   in Loop: Header=BB256_12 Depth=1
	v_dual_lshrrev_b32 v39, 3, v41 :: v_dual_bitop2_b32 v14, 7, v4 bitop3:0x40
	s_mov_b32 s44, exec_lo
	v_cmpx_gt_u32_e32 8, v41
; %bb.141:                              ;   in Loop: Header=BB256_12 Depth=1
	s_delay_alu instid0(VALU_DEP_2) | instskip(NEXT) | instid1(VALU_DEP_1)
	v_clz_i32_u32_e32 v14, v14
	v_min_u32_e32 v14, 32, v14
	s_delay_alu instid0(VALU_DEP_1) | instskip(NEXT) | instid1(VALU_DEP_1)
	v_subrev_nc_u32_e32 v39, 28, v14
	v_lshlrev_b64_e32 v[42:43], v39, v[4:5]
	v_sub_nc_u32_e32 v39, 29, v14
	s_delay_alu instid0(VALU_DEP_2)
	v_and_b32_e32 v14, 7, v42
; %bb.142:                              ;   in Loop: Header=BB256_12 Depth=1
	s_or_b32 exec_lo, exec_lo, s44
	s_delay_alu instid0(VALU_DEP_1) | instskip(NEXT) | instid1(VALU_DEP_3)
	v_dual_lshlrev_b32 v4, 8, v4 :: v_dual_lshlrev_b32 v14, 23, v14
	v_lshl_add_u32 v39, v39, 10, 0x2000
	s_delay_alu instid0(VALU_DEP_1) | instskip(NEXT) | instid1(VALU_DEP_1)
	v_and_or_b32 v4, 0x8000, v4, v39
	v_lshl_or_b32 v39, v4, 16, v14
.LBB256_143:                            ;   in Loop: Header=BB256_12 Depth=1
	s_or_b32 exec_lo, exec_lo, s43
.LBB256_144:                            ;   in Loop: Header=BB256_12 Depth=1
	s_delay_alu instid0(SALU_CYCLE_1)
	s_or_b32 exec_lo, exec_lo, s42
.LBB256_145:                            ;   in Loop: Header=BB256_12 Depth=1
	s_delay_alu instid0(SALU_CYCLE_1)
	s_or_b32 exec_lo, exec_lo, s41
	global_load_b32 v14, v[12:13], off offset:512
	v_dual_mov_b32 v41, 0 :: v_dual_mov_b32 v42, 0
	s_mov_b32 s41, exec_lo
	s_wait_loadcnt 0x0
	v_and_b32_e32 v4, 0xff, v14
	s_delay_alu instid0(VALU_DEP_1)
	v_cmpx_ne_u16_e32 0, v4
	s_cbranch_execz .LBB256_153
; %bb.146:                              ;   in Loop: Header=BB256_12 Depth=1
	v_mov_b32_e32 v42, 0x8000
	s_mov_b32 s42, exec_lo
	v_cmpx_ne_u16_e32 0x80, v4
	s_cbranch_execz .LBB256_152
; %bb.147:                              ;   in Loop: Header=BB256_12 Depth=1
	v_and_b32_e32 v43, 0x7f, v14
	v_mov_b32_e32 v42, 0x7c01
	s_mov_b32 s43, exec_lo
	s_delay_alu instid0(VALU_DEP_2)
	v_cmpx_ne_u32_e32 0x7f, v43
	s_cbranch_execz .LBB256_151
; %bb.148:                              ;   in Loop: Header=BB256_12 Depth=1
	v_dual_lshrrev_b32 v42, 3, v43 :: v_dual_bitop2_b32 v4, 7, v14 bitop3:0x40
	s_mov_b32 s44, exec_lo
	v_cmpx_gt_u32_e32 8, v43
; %bb.149:                              ;   in Loop: Header=BB256_12 Depth=1
	s_delay_alu instid0(VALU_DEP_2) | instskip(NEXT) | instid1(VALU_DEP_1)
	v_clz_i32_u32_e32 v4, v4
	v_min_u32_e32 v4, 32, v4
	s_delay_alu instid0(VALU_DEP_1) | instskip(NEXT) | instid1(VALU_DEP_1)
	v_subrev_nc_u32_e32 v42, 28, v4
	v_lshlrev_b64_e32 v[44:45], v42, v[14:15]
	v_sub_nc_u32_e32 v42, 29, v4
	s_delay_alu instid0(VALU_DEP_2)
	v_and_b32_e32 v4, 7, v44
; %bb.150:                              ;   in Loop: Header=BB256_12 Depth=1
	s_or_b32 exec_lo, exec_lo, s44
	s_delay_alu instid0(VALU_DEP_1) | instskip(NEXT) | instid1(VALU_DEP_3)
	v_dual_lshlrev_b32 v43, 8, v14 :: v_dual_lshlrev_b32 v4, 7, v4
	v_lshl_add_u32 v42, v42, 10, 0x2000
	s_delay_alu instid0(VALU_DEP_2) | instskip(NEXT) | instid1(VALU_DEP_2)
	v_and_b32_e32 v43, 0x8000, v43
	v_and_b32_e32 v42, 0xfc00, v42
	s_delay_alu instid0(VALU_DEP_1)
	v_or3_b32 v42, v43, v42, v4
.LBB256_151:                            ;   in Loop: Header=BB256_12 Depth=1
	s_or_b32 exec_lo, exec_lo, s43
.LBB256_152:                            ;   in Loop: Header=BB256_12 Depth=1
	s_delay_alu instid0(SALU_CYCLE_1)
	s_or_b32 exec_lo, exec_lo, s42
.LBB256_153:                            ;   in Loop: Header=BB256_12 Depth=1
	s_delay_alu instid0(SALU_CYCLE_1) | instskip(SKIP_2) | instid1(VALU_DEP_1)
	s_or_b32 exec_lo, exec_lo, s41
	v_lshrrev_b16 v4, 8, v14
	s_mov_b32 s41, exec_lo
	v_cmpx_ne_u16_e32 0, v4
	s_cbranch_execz .LBB256_161
; %bb.154:                              ;   in Loop: Header=BB256_12 Depth=1
	v_bfrev_b32_e32 v41, 1
	s_mov_b32 s42, exec_lo
	v_cmpx_ne_u16_e32 0x80, v4
	s_cbranch_execz .LBB256_160
; %bb.155:                              ;   in Loop: Header=BB256_12 Depth=1
	v_and_b32_e32 v43, 0xffff, v4
	v_mov_b32_e32 v41, 0x7c010000
	s_mov_b32 s43, exec_lo
	s_delay_alu instid0(VALU_DEP_2) | instskip(NEXT) | instid1(VALU_DEP_1)
	v_and_b32_e32 v45, 0x7f, v43
	v_cmpx_ne_u32_e32 0x7f, v45
	s_cbranch_execz .LBB256_159
; %bb.156:                              ;   in Loop: Header=BB256_12 Depth=1
	v_dual_lshrrev_b32 v44, 3, v45 :: v_dual_bitop2_b32 v41, 7, v43 bitop3:0x40
	s_mov_b32 s44, exec_lo
	v_cmpx_gt_u32_e32 8, v45
; %bb.157:                              ;   in Loop: Header=BB256_12 Depth=1
	s_delay_alu instid0(VALU_DEP_2) | instskip(NEXT) | instid1(VALU_DEP_1)
	v_clz_i32_u32_e32 v41, v41
	v_min_u32_e32 v41, 32, v41
	s_delay_alu instid0(VALU_DEP_1) | instskip(NEXT) | instid1(VALU_DEP_1)
	v_subrev_nc_u32_e32 v44, 28, v41
	v_lshlrev_b64_e32 v[46:47], v44, v[4:5]
	s_delay_alu instid0(VALU_DEP_1)
	v_dual_sub_nc_u32 v44, 29, v41 :: v_dual_bitop2_b32 v41, 7, v46 bitop3:0x40
; %bb.158:                              ;   in Loop: Header=BB256_12 Depth=1
	s_or_b32 exec_lo, exec_lo, s44
	s_delay_alu instid0(VALU_DEP_1) | instskip(NEXT) | instid1(VALU_DEP_2)
	v_dual_lshlrev_b32 v4, 8, v43 :: v_dual_lshlrev_b32 v41, 23, v41
	v_lshl_add_u32 v43, v44, 10, 0x2000
	s_delay_alu instid0(VALU_DEP_1) | instskip(NEXT) | instid1(VALU_DEP_1)
	v_and_or_b32 v4, 0x8000, v4, v43
	v_lshl_or_b32 v41, v4, 16, v41
.LBB256_159:                            ;   in Loop: Header=BB256_12 Depth=1
	s_or_b32 exec_lo, exec_lo, s43
.LBB256_160:                            ;   in Loop: Header=BB256_12 Depth=1
	s_delay_alu instid0(SALU_CYCLE_1)
	s_or_b32 exec_lo, exec_lo, s42
.LBB256_161:                            ;   in Loop: Header=BB256_12 Depth=1
	s_delay_alu instid0(SALU_CYCLE_1) | instskip(SKIP_3) | instid1(VALU_DEP_2)
	s_or_b32 exec_lo, exec_lo, s41
	v_dual_mov_b32 v43, 0 :: v_dual_lshrrev_b32 v4, 16, v14
	v_mov_b32_e32 v44, 0
	s_mov_b32 s41, exec_lo
	v_and_b32_e32 v45, 0xff, v4
	s_delay_alu instid0(VALU_DEP_1)
	v_cmpx_ne_u16_e32 0, v45
	s_cbranch_execz .LBB256_169
; %bb.162:                              ;   in Loop: Header=BB256_12 Depth=1
	v_mov_b32_e32 v44, 0x8000
	s_mov_b32 s42, exec_lo
	v_cmpx_ne_u16_e32 0x80, v45
	s_cbranch_execz .LBB256_168
; %bb.163:                              ;   in Loop: Header=BB256_12 Depth=1
	v_bfe_u32 v46, v14, 16, 7
	v_mov_b32_e32 v44, 0x7c01
	s_mov_b32 s43, exec_lo
	s_delay_alu instid0(VALU_DEP_2)
	v_cmpx_ne_u32_e32 0x7f, v46
	s_cbranch_execz .LBB256_167
; %bb.164:                              ;   in Loop: Header=BB256_12 Depth=1
	v_dual_lshrrev_b32 v45, 3, v46 :: v_dual_bitop2_b32 v44, 7, v4 bitop3:0x40
	s_mov_b32 s44, exec_lo
	v_cmpx_gt_u32_e32 8, v46
; %bb.165:                              ;   in Loop: Header=BB256_12 Depth=1
	s_delay_alu instid0(VALU_DEP_2) | instskip(NEXT) | instid1(VALU_DEP_1)
	v_clz_i32_u32_e32 v44, v44
	v_min_u32_e32 v46, 32, v44
	s_delay_alu instid0(VALU_DEP_1) | instskip(NEXT) | instid1(VALU_DEP_1)
	v_subrev_nc_u32_e32 v44, 28, v46
	v_lshlrev_b64_e32 v[44:45], v44, v[4:5]
	s_delay_alu instid0(VALU_DEP_1)
	v_dual_sub_nc_u32 v45, 29, v46 :: v_dual_bitop2_b32 v44, 7, v44 bitop3:0x40
; %bb.166:                              ;   in Loop: Header=BB256_12 Depth=1
	s_or_b32 exec_lo, exec_lo, s44
	v_lshlrev_b32_e32 v4, 8, v4
	s_delay_alu instid0(VALU_DEP_2) | instskip(NEXT) | instid1(VALU_DEP_3)
	v_lshl_add_u32 v45, v45, 10, 0x2000
	v_lshlrev_b32_e32 v44, 7, v44
	s_delay_alu instid0(VALU_DEP_3) | instskip(NEXT) | instid1(VALU_DEP_3)
	v_and_b32_e32 v4, 0x8000, v4
	v_and_b32_e32 v45, 0xfc00, v45
	s_delay_alu instid0(VALU_DEP_1)
	v_or3_b32 v44, v4, v45, v44
.LBB256_167:                            ;   in Loop: Header=BB256_12 Depth=1
	s_or_b32 exec_lo, exec_lo, s43
.LBB256_168:                            ;   in Loop: Header=BB256_12 Depth=1
	s_delay_alu instid0(SALU_CYCLE_1)
	s_or_b32 exec_lo, exec_lo, s42
.LBB256_169:                            ;   in Loop: Header=BB256_12 Depth=1
	s_delay_alu instid0(SALU_CYCLE_1) | instskip(NEXT) | instid1(SALU_CYCLE_1)
	s_or_b32 exec_lo, exec_lo, s41
	s_mov_b32 s41, exec_lo
	v_cmpx_lt_u32_e32 0xffffff, v14
	s_cbranch_execz .LBB256_177
; %bb.170:                              ;   in Loop: Header=BB256_12 Depth=1
	v_lshrrev_b32_e32 v4, 24, v14
	v_bfrev_b32_e32 v43, 1
	s_mov_b32 s42, exec_lo
	s_delay_alu instid0(VALU_DEP_2)
	v_cmpx_ne_u32_e32 0x80, v4
	s_cbranch_execz .LBB256_176
; %bb.171:                              ;   in Loop: Header=BB256_12 Depth=1
	v_and_b32_e32 v45, 0x7f, v4
	v_mov_b32_e32 v43, 0x7c010000
	s_mov_b32 s43, exec_lo
	s_delay_alu instid0(VALU_DEP_2)
	v_cmpx_ne_u32_e32 0x7f, v45
	s_cbranch_execz .LBB256_175
; %bb.172:                              ;   in Loop: Header=BB256_12 Depth=1
	v_dual_lshrrev_b32 v43, 3, v45 :: v_dual_bitop2_b32 v14, 7, v4 bitop3:0x40
	s_mov_b32 s44, exec_lo
	v_cmpx_gt_u32_e32 8, v45
; %bb.173:                              ;   in Loop: Header=BB256_12 Depth=1
	s_delay_alu instid0(VALU_DEP_2) | instskip(NEXT) | instid1(VALU_DEP_1)
	v_clz_i32_u32_e32 v14, v14
	v_min_u32_e32 v14, 32, v14
	s_delay_alu instid0(VALU_DEP_1) | instskip(NEXT) | instid1(VALU_DEP_1)
	v_subrev_nc_u32_e32 v43, 28, v14
	v_lshlrev_b64_e32 v[46:47], v43, v[4:5]
	v_sub_nc_u32_e32 v43, 29, v14
	s_delay_alu instid0(VALU_DEP_2)
	v_and_b32_e32 v14, 7, v46
; %bb.174:                              ;   in Loop: Header=BB256_12 Depth=1
	s_or_b32 exec_lo, exec_lo, s44
	s_delay_alu instid0(VALU_DEP_1) | instskip(NEXT) | instid1(VALU_DEP_3)
	v_dual_lshlrev_b32 v4, 8, v4 :: v_dual_lshlrev_b32 v14, 23, v14
	v_lshl_add_u32 v43, v43, 10, 0x2000
	s_delay_alu instid0(VALU_DEP_1) | instskip(NEXT) | instid1(VALU_DEP_1)
	v_and_or_b32 v4, 0x8000, v4, v43
	v_lshl_or_b32 v43, v4, 16, v14
.LBB256_175:                            ;   in Loop: Header=BB256_12 Depth=1
	s_or_b32 exec_lo, exec_lo, s43
.LBB256_176:                            ;   in Loop: Header=BB256_12 Depth=1
	s_delay_alu instid0(SALU_CYCLE_1)
	s_or_b32 exec_lo, exec_lo, s42
.LBB256_177:                            ;   in Loop: Header=BB256_12 Depth=1
	s_delay_alu instid0(SALU_CYCLE_1)
	s_or_b32 exec_lo, exec_lo, s41
	global_load_b32 v14, v[12:13], off offset:520
	v_dual_mov_b32 v45, 0 :: v_dual_mov_b32 v46, 0
	s_mov_b32 s41, exec_lo
	s_wait_loadcnt 0x0
	v_and_b32_e32 v4, 0xff, v14
	s_delay_alu instid0(VALU_DEP_1)
	v_cmpx_ne_u16_e32 0, v4
	s_cbranch_execz .LBB256_185
; %bb.178:                              ;   in Loop: Header=BB256_12 Depth=1
	v_mov_b32_e32 v46, 0x8000
	s_mov_b32 s42, exec_lo
	v_cmpx_ne_u16_e32 0x80, v4
	s_cbranch_execz .LBB256_184
; %bb.179:                              ;   in Loop: Header=BB256_12 Depth=1
	v_and_b32_e32 v47, 0x7f, v14
	v_mov_b32_e32 v46, 0x7c01
	s_mov_b32 s43, exec_lo
	s_delay_alu instid0(VALU_DEP_2)
	v_cmpx_ne_u32_e32 0x7f, v47
	s_cbranch_execz .LBB256_183
; %bb.180:                              ;   in Loop: Header=BB256_12 Depth=1
	v_dual_lshrrev_b32 v46, 3, v47 :: v_dual_bitop2_b32 v4, 7, v14 bitop3:0x40
	s_mov_b32 s44, exec_lo
	v_cmpx_gt_u32_e32 8, v47
; %bb.181:                              ;   in Loop: Header=BB256_12 Depth=1
	s_delay_alu instid0(VALU_DEP_2) | instskip(NEXT) | instid1(VALU_DEP_1)
	v_clz_i32_u32_e32 v4, v4
	v_min_u32_e32 v4, 32, v4
	s_delay_alu instid0(VALU_DEP_1) | instskip(NEXT) | instid1(VALU_DEP_1)
	v_subrev_nc_u32_e32 v46, 28, v4
	v_lshlrev_b64_e32 v[48:49], v46, v[14:15]
	v_sub_nc_u32_e32 v46, 29, v4
	s_delay_alu instid0(VALU_DEP_2)
	v_and_b32_e32 v4, 7, v48
; %bb.182:                              ;   in Loop: Header=BB256_12 Depth=1
	s_or_b32 exec_lo, exec_lo, s44
	s_delay_alu instid0(VALU_DEP_1) | instskip(NEXT) | instid1(VALU_DEP_3)
	v_dual_lshlrev_b32 v47, 8, v14 :: v_dual_lshlrev_b32 v4, 7, v4
	v_lshl_add_u32 v46, v46, 10, 0x2000
	s_delay_alu instid0(VALU_DEP_2) | instskip(NEXT) | instid1(VALU_DEP_2)
	v_and_b32_e32 v47, 0x8000, v47
	v_and_b32_e32 v46, 0xfc00, v46
	s_delay_alu instid0(VALU_DEP_1)
	v_or3_b32 v46, v47, v46, v4
.LBB256_183:                            ;   in Loop: Header=BB256_12 Depth=1
	s_or_b32 exec_lo, exec_lo, s43
.LBB256_184:                            ;   in Loop: Header=BB256_12 Depth=1
	s_delay_alu instid0(SALU_CYCLE_1)
	s_or_b32 exec_lo, exec_lo, s42
.LBB256_185:                            ;   in Loop: Header=BB256_12 Depth=1
	s_delay_alu instid0(SALU_CYCLE_1) | instskip(SKIP_2) | instid1(VALU_DEP_1)
	s_or_b32 exec_lo, exec_lo, s41
	v_lshrrev_b16 v4, 8, v14
	s_mov_b32 s41, exec_lo
	v_cmpx_ne_u16_e32 0, v4
	s_cbranch_execz .LBB256_193
; %bb.186:                              ;   in Loop: Header=BB256_12 Depth=1
	v_bfrev_b32_e32 v45, 1
	s_mov_b32 s42, exec_lo
	v_cmpx_ne_u16_e32 0x80, v4
	s_cbranch_execz .LBB256_192
; %bb.187:                              ;   in Loop: Header=BB256_12 Depth=1
	v_and_b32_e32 v47, 0xffff, v4
	v_mov_b32_e32 v45, 0x7c010000
	s_mov_b32 s43, exec_lo
	s_delay_alu instid0(VALU_DEP_2) | instskip(NEXT) | instid1(VALU_DEP_1)
	v_and_b32_e32 v49, 0x7f, v47
	v_cmpx_ne_u32_e32 0x7f, v49
	s_cbranch_execz .LBB256_191
; %bb.188:                              ;   in Loop: Header=BB256_12 Depth=1
	v_dual_lshrrev_b32 v48, 3, v49 :: v_dual_bitop2_b32 v45, 7, v47 bitop3:0x40
	s_mov_b32 s44, exec_lo
	v_cmpx_gt_u32_e32 8, v49
; %bb.189:                              ;   in Loop: Header=BB256_12 Depth=1
	s_delay_alu instid0(VALU_DEP_2) | instskip(NEXT) | instid1(VALU_DEP_1)
	v_clz_i32_u32_e32 v45, v45
	v_min_u32_e32 v45, 32, v45
	s_delay_alu instid0(VALU_DEP_1) | instskip(NEXT) | instid1(VALU_DEP_1)
	v_subrev_nc_u32_e32 v48, 28, v45
	v_lshlrev_b64_e32 v[50:51], v48, v[4:5]
	s_delay_alu instid0(VALU_DEP_1)
	v_dual_sub_nc_u32 v48, 29, v45 :: v_dual_bitop2_b32 v45, 7, v50 bitop3:0x40
; %bb.190:                              ;   in Loop: Header=BB256_12 Depth=1
	s_or_b32 exec_lo, exec_lo, s44
	s_delay_alu instid0(VALU_DEP_1) | instskip(NEXT) | instid1(VALU_DEP_2)
	v_dual_lshlrev_b32 v4, 8, v47 :: v_dual_lshlrev_b32 v45, 23, v45
	v_lshl_add_u32 v47, v48, 10, 0x2000
	s_delay_alu instid0(VALU_DEP_1) | instskip(NEXT) | instid1(VALU_DEP_1)
	v_and_or_b32 v4, 0x8000, v4, v47
	v_lshl_or_b32 v45, v4, 16, v45
.LBB256_191:                            ;   in Loop: Header=BB256_12 Depth=1
	s_or_b32 exec_lo, exec_lo, s43
.LBB256_192:                            ;   in Loop: Header=BB256_12 Depth=1
	s_delay_alu instid0(SALU_CYCLE_1)
	s_or_b32 exec_lo, exec_lo, s42
.LBB256_193:                            ;   in Loop: Header=BB256_12 Depth=1
	s_delay_alu instid0(SALU_CYCLE_1) | instskip(SKIP_3) | instid1(VALU_DEP_2)
	s_or_b32 exec_lo, exec_lo, s41
	v_dual_mov_b32 v47, 0 :: v_dual_lshrrev_b32 v4, 16, v14
	v_mov_b32_e32 v48, 0
	s_mov_b32 s41, exec_lo
	v_and_b32_e32 v49, 0xff, v4
	s_delay_alu instid0(VALU_DEP_1)
	v_cmpx_ne_u16_e32 0, v49
	s_cbranch_execz .LBB256_201
; %bb.194:                              ;   in Loop: Header=BB256_12 Depth=1
	v_mov_b32_e32 v48, 0x8000
	s_mov_b32 s42, exec_lo
	v_cmpx_ne_u16_e32 0x80, v49
	s_cbranch_execz .LBB256_200
; %bb.195:                              ;   in Loop: Header=BB256_12 Depth=1
	v_bfe_u32 v50, v14, 16, 7
	v_mov_b32_e32 v48, 0x7c01
	s_mov_b32 s43, exec_lo
	s_delay_alu instid0(VALU_DEP_2)
	v_cmpx_ne_u32_e32 0x7f, v50
	s_cbranch_execz .LBB256_199
; %bb.196:                              ;   in Loop: Header=BB256_12 Depth=1
	v_dual_lshrrev_b32 v49, 3, v50 :: v_dual_bitop2_b32 v48, 7, v4 bitop3:0x40
	s_mov_b32 s44, exec_lo
	v_cmpx_gt_u32_e32 8, v50
; %bb.197:                              ;   in Loop: Header=BB256_12 Depth=1
	s_delay_alu instid0(VALU_DEP_2) | instskip(NEXT) | instid1(VALU_DEP_1)
	v_clz_i32_u32_e32 v48, v48
	v_min_u32_e32 v50, 32, v48
	s_delay_alu instid0(VALU_DEP_1) | instskip(NEXT) | instid1(VALU_DEP_1)
	v_subrev_nc_u32_e32 v48, 28, v50
	v_lshlrev_b64_e32 v[48:49], v48, v[4:5]
	s_delay_alu instid0(VALU_DEP_1)
	v_dual_sub_nc_u32 v49, 29, v50 :: v_dual_bitop2_b32 v48, 7, v48 bitop3:0x40
; %bb.198:                              ;   in Loop: Header=BB256_12 Depth=1
	s_or_b32 exec_lo, exec_lo, s44
	v_lshlrev_b32_e32 v4, 8, v4
	s_delay_alu instid0(VALU_DEP_2) | instskip(NEXT) | instid1(VALU_DEP_3)
	v_lshl_add_u32 v49, v49, 10, 0x2000
	v_lshlrev_b32_e32 v48, 7, v48
	s_delay_alu instid0(VALU_DEP_3) | instskip(NEXT) | instid1(VALU_DEP_3)
	v_and_b32_e32 v4, 0x8000, v4
	v_and_b32_e32 v49, 0xfc00, v49
	s_delay_alu instid0(VALU_DEP_1)
	v_or3_b32 v48, v4, v49, v48
.LBB256_199:                            ;   in Loop: Header=BB256_12 Depth=1
	s_or_b32 exec_lo, exec_lo, s43
.LBB256_200:                            ;   in Loop: Header=BB256_12 Depth=1
	s_delay_alu instid0(SALU_CYCLE_1)
	s_or_b32 exec_lo, exec_lo, s42
.LBB256_201:                            ;   in Loop: Header=BB256_12 Depth=1
	s_delay_alu instid0(SALU_CYCLE_1) | instskip(NEXT) | instid1(SALU_CYCLE_1)
	s_or_b32 exec_lo, exec_lo, s41
	s_mov_b32 s41, exec_lo
	v_cmpx_lt_u32_e32 0xffffff, v14
	s_cbranch_execz .LBB256_209
; %bb.202:                              ;   in Loop: Header=BB256_12 Depth=1
	v_lshrrev_b32_e32 v4, 24, v14
	v_bfrev_b32_e32 v47, 1
	s_mov_b32 s42, exec_lo
	s_delay_alu instid0(VALU_DEP_2)
	v_cmpx_ne_u32_e32 0x80, v4
	s_cbranch_execz .LBB256_208
; %bb.203:                              ;   in Loop: Header=BB256_12 Depth=1
	v_and_b32_e32 v49, 0x7f, v4
	v_mov_b32_e32 v47, 0x7c010000
	s_mov_b32 s43, exec_lo
	s_delay_alu instid0(VALU_DEP_2)
	v_cmpx_ne_u32_e32 0x7f, v49
	s_cbranch_execz .LBB256_207
; %bb.204:                              ;   in Loop: Header=BB256_12 Depth=1
	v_dual_lshrrev_b32 v47, 3, v49 :: v_dual_bitop2_b32 v14, 7, v4 bitop3:0x40
	s_mov_b32 s44, exec_lo
	v_cmpx_gt_u32_e32 8, v49
; %bb.205:                              ;   in Loop: Header=BB256_12 Depth=1
	s_delay_alu instid0(VALU_DEP_2) | instskip(NEXT) | instid1(VALU_DEP_1)
	v_clz_i32_u32_e32 v14, v14
	v_min_u32_e32 v14, 32, v14
	s_delay_alu instid0(VALU_DEP_1) | instskip(NEXT) | instid1(VALU_DEP_1)
	v_subrev_nc_u32_e32 v47, 28, v14
	v_lshlrev_b64_e32 v[50:51], v47, v[4:5]
	v_sub_nc_u32_e32 v47, 29, v14
	s_delay_alu instid0(VALU_DEP_2)
	v_and_b32_e32 v14, 7, v50
; %bb.206:                              ;   in Loop: Header=BB256_12 Depth=1
	s_or_b32 exec_lo, exec_lo, s44
	s_delay_alu instid0(VALU_DEP_1) | instskip(NEXT) | instid1(VALU_DEP_3)
	v_dual_lshlrev_b32 v4, 8, v4 :: v_dual_lshlrev_b32 v14, 23, v14
	v_lshl_add_u32 v47, v47, 10, 0x2000
	s_delay_alu instid0(VALU_DEP_1) | instskip(NEXT) | instid1(VALU_DEP_1)
	v_and_or_b32 v4, 0x8000, v4, v47
	v_lshl_or_b32 v47, v4, 16, v14
.LBB256_207:                            ;   in Loop: Header=BB256_12 Depth=1
	s_or_b32 exec_lo, exec_lo, s43
.LBB256_208:                            ;   in Loop: Header=BB256_12 Depth=1
	s_delay_alu instid0(SALU_CYCLE_1)
	s_or_b32 exec_lo, exec_lo, s42
.LBB256_209:                            ;   in Loop: Header=BB256_12 Depth=1
	s_delay_alu instid0(SALU_CYCLE_1)
	s_or_b32 exec_lo, exec_lo, s41
	global_load_b32 v14, v[12:13], off offset:768
	v_dual_mov_b32 v49, 0 :: v_dual_mov_b32 v50, 0
	s_mov_b32 s41, exec_lo
	s_wait_loadcnt 0x0
	v_and_b32_e32 v4, 0xff, v14
	s_delay_alu instid0(VALU_DEP_1)
	v_cmpx_ne_u16_e32 0, v4
	s_cbranch_execz .LBB256_217
; %bb.210:                              ;   in Loop: Header=BB256_12 Depth=1
	v_mov_b32_e32 v50, 0x8000
	s_mov_b32 s42, exec_lo
	v_cmpx_ne_u16_e32 0x80, v4
	s_cbranch_execz .LBB256_216
; %bb.211:                              ;   in Loop: Header=BB256_12 Depth=1
	v_and_b32_e32 v51, 0x7f, v14
	v_mov_b32_e32 v50, 0x7c01
	s_mov_b32 s43, exec_lo
	s_delay_alu instid0(VALU_DEP_2)
	v_cmpx_ne_u32_e32 0x7f, v51
	s_cbranch_execz .LBB256_215
; %bb.212:                              ;   in Loop: Header=BB256_12 Depth=1
	v_dual_lshrrev_b32 v50, 3, v51 :: v_dual_bitop2_b32 v4, 7, v14 bitop3:0x40
	s_mov_b32 s44, exec_lo
	v_cmpx_gt_u32_e32 8, v51
; %bb.213:                              ;   in Loop: Header=BB256_12 Depth=1
	s_delay_alu instid0(VALU_DEP_2) | instskip(NEXT) | instid1(VALU_DEP_1)
	v_clz_i32_u32_e32 v4, v4
	v_min_u32_e32 v4, 32, v4
	s_delay_alu instid0(VALU_DEP_1) | instskip(NEXT) | instid1(VALU_DEP_1)
	v_subrev_nc_u32_e32 v50, 28, v4
	v_lshlrev_b64_e32 v[52:53], v50, v[14:15]
	v_sub_nc_u32_e32 v50, 29, v4
	s_delay_alu instid0(VALU_DEP_2)
	v_and_b32_e32 v4, 7, v52
; %bb.214:                              ;   in Loop: Header=BB256_12 Depth=1
	s_or_b32 exec_lo, exec_lo, s44
	s_delay_alu instid0(VALU_DEP_1) | instskip(NEXT) | instid1(VALU_DEP_3)
	v_dual_lshlrev_b32 v51, 8, v14 :: v_dual_lshlrev_b32 v4, 7, v4
	v_lshl_add_u32 v50, v50, 10, 0x2000
	s_delay_alu instid0(VALU_DEP_2) | instskip(NEXT) | instid1(VALU_DEP_2)
	v_and_b32_e32 v51, 0x8000, v51
	v_and_b32_e32 v50, 0xfc00, v50
	s_delay_alu instid0(VALU_DEP_1)
	v_or3_b32 v50, v51, v50, v4
.LBB256_215:                            ;   in Loop: Header=BB256_12 Depth=1
	s_or_b32 exec_lo, exec_lo, s43
.LBB256_216:                            ;   in Loop: Header=BB256_12 Depth=1
	s_delay_alu instid0(SALU_CYCLE_1)
	s_or_b32 exec_lo, exec_lo, s42
.LBB256_217:                            ;   in Loop: Header=BB256_12 Depth=1
	s_delay_alu instid0(SALU_CYCLE_1) | instskip(SKIP_2) | instid1(VALU_DEP_1)
	s_or_b32 exec_lo, exec_lo, s41
	v_lshrrev_b16 v4, 8, v14
	s_mov_b32 s41, exec_lo
	v_cmpx_ne_u16_e32 0, v4
	s_cbranch_execz .LBB256_225
; %bb.218:                              ;   in Loop: Header=BB256_12 Depth=1
	v_bfrev_b32_e32 v49, 1
	s_mov_b32 s42, exec_lo
	v_cmpx_ne_u16_e32 0x80, v4
	s_cbranch_execz .LBB256_224
; %bb.219:                              ;   in Loop: Header=BB256_12 Depth=1
	v_and_b32_e32 v51, 0xffff, v4
	v_mov_b32_e32 v49, 0x7c010000
	s_mov_b32 s43, exec_lo
	s_delay_alu instid0(VALU_DEP_2) | instskip(NEXT) | instid1(VALU_DEP_1)
	v_and_b32_e32 v53, 0x7f, v51
	v_cmpx_ne_u32_e32 0x7f, v53
	s_cbranch_execz .LBB256_223
; %bb.220:                              ;   in Loop: Header=BB256_12 Depth=1
	v_dual_lshrrev_b32 v52, 3, v53 :: v_dual_bitop2_b32 v49, 7, v51 bitop3:0x40
	s_mov_b32 s44, exec_lo
	v_cmpx_gt_u32_e32 8, v53
; %bb.221:                              ;   in Loop: Header=BB256_12 Depth=1
	s_delay_alu instid0(VALU_DEP_2) | instskip(NEXT) | instid1(VALU_DEP_1)
	v_clz_i32_u32_e32 v49, v49
	v_min_u32_e32 v49, 32, v49
	s_delay_alu instid0(VALU_DEP_1) | instskip(NEXT) | instid1(VALU_DEP_1)
	v_subrev_nc_u32_e32 v52, 28, v49
	v_lshlrev_b64_e32 v[54:55], v52, v[4:5]
	s_delay_alu instid0(VALU_DEP_1)
	v_dual_sub_nc_u32 v52, 29, v49 :: v_dual_bitop2_b32 v49, 7, v54 bitop3:0x40
; %bb.222:                              ;   in Loop: Header=BB256_12 Depth=1
	s_or_b32 exec_lo, exec_lo, s44
	s_delay_alu instid0(VALU_DEP_1) | instskip(NEXT) | instid1(VALU_DEP_2)
	v_dual_lshlrev_b32 v4, 8, v51 :: v_dual_lshlrev_b32 v49, 23, v49
	v_lshl_add_u32 v51, v52, 10, 0x2000
	s_delay_alu instid0(VALU_DEP_1) | instskip(NEXT) | instid1(VALU_DEP_1)
	v_and_or_b32 v4, 0x8000, v4, v51
	v_lshl_or_b32 v49, v4, 16, v49
.LBB256_223:                            ;   in Loop: Header=BB256_12 Depth=1
	s_or_b32 exec_lo, exec_lo, s43
.LBB256_224:                            ;   in Loop: Header=BB256_12 Depth=1
	s_delay_alu instid0(SALU_CYCLE_1)
	s_or_b32 exec_lo, exec_lo, s42
.LBB256_225:                            ;   in Loop: Header=BB256_12 Depth=1
	s_delay_alu instid0(SALU_CYCLE_1) | instskip(SKIP_3) | instid1(VALU_DEP_2)
	s_or_b32 exec_lo, exec_lo, s41
	v_dual_mov_b32 v53, 0 :: v_dual_lshrrev_b32 v4, 16, v14
	v_mov_b32_e32 v54, 0
	s_mov_b32 s41, exec_lo
	v_and_b32_e32 v51, 0xff, v4
	s_delay_alu instid0(VALU_DEP_1)
	v_cmpx_ne_u16_e32 0, v51
	s_cbranch_execz .LBB256_233
; %bb.226:                              ;   in Loop: Header=BB256_12 Depth=1
	v_mov_b32_e32 v54, 0x8000
	s_mov_b32 s42, exec_lo
	v_cmpx_ne_u16_e32 0x80, v51
	s_cbranch_execz .LBB256_232
; %bb.227:                              ;   in Loop: Header=BB256_12 Depth=1
	v_bfe_u32 v55, v14, 16, 7
	v_mov_b32_e32 v54, 0x7c01
	s_mov_b32 s43, exec_lo
	s_delay_alu instid0(VALU_DEP_2)
	v_cmpx_ne_u32_e32 0x7f, v55
	s_cbranch_execz .LBB256_231
; %bb.228:                              ;   in Loop: Header=BB256_12 Depth=1
	v_dual_lshrrev_b32 v52, 3, v55 :: v_dual_bitop2_b32 v51, 7, v4 bitop3:0x40
	s_mov_b32 s44, exec_lo
	v_cmpx_gt_u32_e32 8, v55
; %bb.229:                              ;   in Loop: Header=BB256_12 Depth=1
	s_delay_alu instid0(VALU_DEP_2) | instskip(NEXT) | instid1(VALU_DEP_1)
	v_clz_i32_u32_e32 v51, v51
	v_min_u32_e32 v51, 32, v51
	s_delay_alu instid0(VALU_DEP_1) | instskip(NEXT) | instid1(VALU_DEP_1)
	v_subrev_nc_u32_e32 v52, 28, v51
	v_lshlrev_b64_e32 v[54:55], v52, v[4:5]
	s_delay_alu instid0(VALU_DEP_1)
	v_dual_sub_nc_u32 v52, 29, v51 :: v_dual_bitop2_b32 v51, 7, v54 bitop3:0x40
; %bb.230:                              ;   in Loop: Header=BB256_12 Depth=1
	s_or_b32 exec_lo, exec_lo, s44
	s_delay_alu instid0(VALU_DEP_1) | instskip(NEXT) | instid1(VALU_DEP_2)
	v_dual_lshlrev_b32 v4, 8, v4 :: v_dual_lshlrev_b32 v51, 7, v51
	v_lshl_add_u32 v52, v52, 10, 0x2000
	s_delay_alu instid0(VALU_DEP_2) | instskip(NEXT) | instid1(VALU_DEP_2)
	v_and_b32_e32 v4, 0x8000, v4
	v_and_b32_e32 v52, 0xfc00, v52
	s_delay_alu instid0(VALU_DEP_1)
	v_or3_b32 v54, v4, v52, v51
.LBB256_231:                            ;   in Loop: Header=BB256_12 Depth=1
	s_or_b32 exec_lo, exec_lo, s43
.LBB256_232:                            ;   in Loop: Header=BB256_12 Depth=1
	s_delay_alu instid0(SALU_CYCLE_1)
	s_or_b32 exec_lo, exec_lo, s42
.LBB256_233:                            ;   in Loop: Header=BB256_12 Depth=1
	s_delay_alu instid0(SALU_CYCLE_1) | instskip(NEXT) | instid1(SALU_CYCLE_1)
	s_or_b32 exec_lo, exec_lo, s41
	s_mov_b32 s41, exec_lo
	v_cmpx_lt_u32_e32 0xffffff, v14
	s_cbranch_execz .LBB256_241
; %bb.234:                              ;   in Loop: Header=BB256_12 Depth=1
	v_lshrrev_b32_e32 v4, 24, v14
	v_bfrev_b32_e32 v53, 1
	s_mov_b32 s42, exec_lo
	s_delay_alu instid0(VALU_DEP_2)
	v_cmpx_ne_u32_e32 0x80, v4
	s_cbranch_execz .LBB256_240
; %bb.235:                              ;   in Loop: Header=BB256_12 Depth=1
	v_and_b32_e32 v52, 0x7f, v4
	v_mov_b32_e32 v53, 0x7c010000
	s_mov_b32 s43, exec_lo
	s_delay_alu instid0(VALU_DEP_2)
	v_cmpx_ne_u32_e32 0x7f, v52
	s_cbranch_execz .LBB256_239
; %bb.236:                              ;   in Loop: Header=BB256_12 Depth=1
	v_and_b32_e32 v14, 7, v4
	v_lshrrev_b32_e32 v51, 3, v52
	s_mov_b32 s44, exec_lo
	v_cmpx_gt_u32_e32 8, v52
; %bb.237:                              ;   in Loop: Header=BB256_12 Depth=1
	s_delay_alu instid0(VALU_DEP_3) | instskip(NEXT) | instid1(VALU_DEP_1)
	v_clz_i32_u32_e32 v14, v14
	v_min_u32_e32 v14, 32, v14
	s_delay_alu instid0(VALU_DEP_1) | instskip(NEXT) | instid1(VALU_DEP_1)
	v_subrev_nc_u32_e32 v51, 28, v14
	v_lshlrev_b64_e32 v[52:53], v51, v[4:5]
	s_delay_alu instid0(VALU_DEP_1)
	v_dual_sub_nc_u32 v51, 29, v14 :: v_dual_bitop2_b32 v14, 7, v52 bitop3:0x40
; %bb.238:                              ;   in Loop: Header=BB256_12 Depth=1
	s_or_b32 exec_lo, exec_lo, s44
	s_delay_alu instid0(VALU_DEP_1) | instskip(NEXT) | instid1(VALU_DEP_2)
	v_dual_lshlrev_b32 v4, 8, v4 :: v_dual_lshlrev_b32 v14, 23, v14
	v_lshl_add_u32 v51, v51, 10, 0x2000
	s_delay_alu instid0(VALU_DEP_1) | instskip(NEXT) | instid1(VALU_DEP_1)
	v_and_or_b32 v4, 0x8000, v4, v51
	v_lshl_or_b32 v53, v4, 16, v14
.LBB256_239:                            ;   in Loop: Header=BB256_12 Depth=1
	s_or_b32 exec_lo, exec_lo, s43
.LBB256_240:                            ;   in Loop: Header=BB256_12 Depth=1
	s_delay_alu instid0(SALU_CYCLE_1)
	s_or_b32 exec_lo, exec_lo, s42
.LBB256_241:                            ;   in Loop: Header=BB256_12 Depth=1
	s_delay_alu instid0(SALU_CYCLE_1)
	s_or_b32 exec_lo, exec_lo, s41
	global_load_b32 v14, v[12:13], off offset:776
	v_dual_mov_b32 v51, 0 :: v_dual_mov_b32 v52, 0
	s_mov_b32 s41, exec_lo
	s_wait_loadcnt 0x0
	v_and_b32_e32 v4, 0xff, v14
	s_delay_alu instid0(VALU_DEP_1)
	v_cmpx_ne_u16_e32 0, v4
	s_cbranch_execz .LBB256_249
; %bb.242:                              ;   in Loop: Header=BB256_12 Depth=1
	v_mov_b32_e32 v52, 0x8000
	s_mov_b32 s42, exec_lo
	v_cmpx_ne_u16_e32 0x80, v4
	s_cbranch_execz .LBB256_248
; %bb.243:                              ;   in Loop: Header=BB256_12 Depth=1
	v_and_b32_e32 v55, 0x7f, v14
	v_mov_b32_e32 v52, 0x7c01
	s_mov_b32 s43, exec_lo
	s_delay_alu instid0(VALU_DEP_2)
	v_cmpx_ne_u32_e32 0x7f, v55
	s_cbranch_execz .LBB256_247
; %bb.244:                              ;   in Loop: Header=BB256_12 Depth=1
	v_dual_lshrrev_b32 v52, 3, v55 :: v_dual_bitop2_b32 v4, 7, v14 bitop3:0x40
	s_mov_b32 s44, exec_lo
	v_cmpx_gt_u32_e32 8, v55
; %bb.245:                              ;   in Loop: Header=BB256_12 Depth=1
	s_delay_alu instid0(VALU_DEP_2) | instskip(NEXT) | instid1(VALU_DEP_1)
	v_clz_i32_u32_e32 v4, v4
	v_min_u32_e32 v4, 32, v4
	s_delay_alu instid0(VALU_DEP_1) | instskip(NEXT) | instid1(VALU_DEP_1)
	v_subrev_nc_u32_e32 v52, 28, v4
	v_lshlrev_b64_e32 v[56:57], v52, v[14:15]
	v_sub_nc_u32_e32 v52, 29, v4
	s_delay_alu instid0(VALU_DEP_2)
	v_and_b32_e32 v4, 7, v56
; %bb.246:                              ;   in Loop: Header=BB256_12 Depth=1
	s_or_b32 exec_lo, exec_lo, s44
	s_delay_alu instid0(VALU_DEP_1) | instskip(NEXT) | instid1(VALU_DEP_3)
	v_dual_lshlrev_b32 v55, 8, v14 :: v_dual_lshlrev_b32 v4, 7, v4
	v_lshl_add_u32 v52, v52, 10, 0x2000
	s_delay_alu instid0(VALU_DEP_2) | instskip(NEXT) | instid1(VALU_DEP_2)
	v_and_b32_e32 v55, 0x8000, v55
	v_and_b32_e32 v52, 0xfc00, v52
	s_delay_alu instid0(VALU_DEP_1)
	v_or3_b32 v52, v55, v52, v4
.LBB256_247:                            ;   in Loop: Header=BB256_12 Depth=1
	s_or_b32 exec_lo, exec_lo, s43
.LBB256_248:                            ;   in Loop: Header=BB256_12 Depth=1
	s_delay_alu instid0(SALU_CYCLE_1)
	s_or_b32 exec_lo, exec_lo, s42
.LBB256_249:                            ;   in Loop: Header=BB256_12 Depth=1
	s_delay_alu instid0(SALU_CYCLE_1) | instskip(SKIP_2) | instid1(VALU_DEP_1)
	s_or_b32 exec_lo, exec_lo, s41
	v_lshrrev_b16 v4, 8, v14
	s_mov_b32 s41, exec_lo
	v_cmpx_ne_u16_e32 0, v4
	s_cbranch_execz .LBB256_257
; %bb.250:                              ;   in Loop: Header=BB256_12 Depth=1
	v_bfrev_b32_e32 v51, 1
	s_mov_b32 s42, exec_lo
	v_cmpx_ne_u16_e32 0x80, v4
	s_cbranch_execz .LBB256_256
; %bb.251:                              ;   in Loop: Header=BB256_12 Depth=1
	v_and_b32_e32 v55, 0xffff, v4
	v_mov_b32_e32 v51, 0x7c010000
	s_mov_b32 s43, exec_lo
	s_delay_alu instid0(VALU_DEP_2) | instskip(NEXT) | instid1(VALU_DEP_1)
	v_and_b32_e32 v57, 0x7f, v55
	v_cmpx_ne_u32_e32 0x7f, v57
	s_cbranch_execz .LBB256_255
; %bb.252:                              ;   in Loop: Header=BB256_12 Depth=1
	v_dual_lshrrev_b32 v56, 3, v57 :: v_dual_bitop2_b32 v51, 7, v55 bitop3:0x40
	s_mov_b32 s44, exec_lo
	v_cmpx_gt_u32_e32 8, v57
; %bb.253:                              ;   in Loop: Header=BB256_12 Depth=1
	s_delay_alu instid0(VALU_DEP_2) | instskip(NEXT) | instid1(VALU_DEP_1)
	v_clz_i32_u32_e32 v51, v51
	v_min_u32_e32 v51, 32, v51
	s_delay_alu instid0(VALU_DEP_1) | instskip(NEXT) | instid1(VALU_DEP_1)
	v_subrev_nc_u32_e32 v56, 28, v51
	v_lshlrev_b64_e32 v[58:59], v56, v[4:5]
	s_delay_alu instid0(VALU_DEP_1)
	v_dual_sub_nc_u32 v56, 29, v51 :: v_dual_bitop2_b32 v51, 7, v58 bitop3:0x40
; %bb.254:                              ;   in Loop: Header=BB256_12 Depth=1
	s_or_b32 exec_lo, exec_lo, s44
	v_lshlrev_b32_e32 v4, 8, v55
	s_delay_alu instid0(VALU_DEP_2) | instskip(NEXT) | instid1(VALU_DEP_3)
	v_lshl_add_u32 v55, v56, 10, 0x2000
	v_lshlrev_b32_e32 v51, 23, v51
	s_delay_alu instid0(VALU_DEP_2) | instskip(NEXT) | instid1(VALU_DEP_1)
	v_and_or_b32 v4, 0x8000, v4, v55
	v_lshl_or_b32 v51, v4, 16, v51
.LBB256_255:                            ;   in Loop: Header=BB256_12 Depth=1
	s_or_b32 exec_lo, exec_lo, s43
.LBB256_256:                            ;   in Loop: Header=BB256_12 Depth=1
	s_delay_alu instid0(SALU_CYCLE_1)
	s_or_b32 exec_lo, exec_lo, s42
.LBB256_257:                            ;   in Loop: Header=BB256_12 Depth=1
	s_delay_alu instid0(SALU_CYCLE_1) | instskip(SKIP_3) | instid1(VALU_DEP_2)
	s_or_b32 exec_lo, exec_lo, s41
	v_dual_mov_b32 v55, 0 :: v_dual_lshrrev_b32 v4, 16, v14
	v_mov_b32_e32 v56, 0
	s_mov_b32 s41, exec_lo
	v_and_b32_e32 v57, 0xff, v4
	s_delay_alu instid0(VALU_DEP_1)
	v_cmpx_ne_u16_e32 0, v57
	s_cbranch_execz .LBB256_265
; %bb.258:                              ;   in Loop: Header=BB256_12 Depth=1
	v_mov_b32_e32 v56, 0x8000
	s_mov_b32 s42, exec_lo
	v_cmpx_ne_u16_e32 0x80, v57
	s_cbranch_execz .LBB256_264
; %bb.259:                              ;   in Loop: Header=BB256_12 Depth=1
	v_bfe_u32 v58, v14, 16, 7
	v_mov_b32_e32 v56, 0x7c01
	s_mov_b32 s43, exec_lo
	s_delay_alu instid0(VALU_DEP_2)
	v_cmpx_ne_u32_e32 0x7f, v58
	s_cbranch_execz .LBB256_263
; %bb.260:                              ;   in Loop: Header=BB256_12 Depth=1
	v_dual_lshrrev_b32 v57, 3, v58 :: v_dual_bitop2_b32 v56, 7, v4 bitop3:0x40
	s_mov_b32 s44, exec_lo
	v_cmpx_gt_u32_e32 8, v58
; %bb.261:                              ;   in Loop: Header=BB256_12 Depth=1
	s_delay_alu instid0(VALU_DEP_2) | instskip(NEXT) | instid1(VALU_DEP_1)
	v_clz_i32_u32_e32 v56, v56
	v_min_u32_e32 v58, 32, v56
	s_delay_alu instid0(VALU_DEP_1) | instskip(NEXT) | instid1(VALU_DEP_1)
	v_subrev_nc_u32_e32 v56, 28, v58
	v_lshlrev_b64_e32 v[56:57], v56, v[4:5]
	s_delay_alu instid0(VALU_DEP_1)
	v_dual_sub_nc_u32 v57, 29, v58 :: v_dual_bitop2_b32 v56, 7, v56 bitop3:0x40
; %bb.262:                              ;   in Loop: Header=BB256_12 Depth=1
	s_or_b32 exec_lo, exec_lo, s44
	v_lshlrev_b32_e32 v4, 8, v4
	s_delay_alu instid0(VALU_DEP_2) | instskip(NEXT) | instid1(VALU_DEP_3)
	v_lshl_add_u32 v57, v57, 10, 0x2000
	v_lshlrev_b32_e32 v56, 7, v56
	s_delay_alu instid0(VALU_DEP_3) | instskip(NEXT) | instid1(VALU_DEP_3)
	v_and_b32_e32 v4, 0x8000, v4
	v_and_b32_e32 v57, 0xfc00, v57
	s_delay_alu instid0(VALU_DEP_1)
	v_or3_b32 v56, v4, v57, v56
.LBB256_263:                            ;   in Loop: Header=BB256_12 Depth=1
	s_or_b32 exec_lo, exec_lo, s43
.LBB256_264:                            ;   in Loop: Header=BB256_12 Depth=1
	s_delay_alu instid0(SALU_CYCLE_1)
	s_or_b32 exec_lo, exec_lo, s42
.LBB256_265:                            ;   in Loop: Header=BB256_12 Depth=1
	s_delay_alu instid0(SALU_CYCLE_1) | instskip(NEXT) | instid1(SALU_CYCLE_1)
	s_or_b32 exec_lo, exec_lo, s41
	s_mov_b32 s41, exec_lo
	v_cmpx_lt_u32_e32 0xffffff, v14
	s_cbranch_execz .LBB256_273
; %bb.266:                              ;   in Loop: Header=BB256_12 Depth=1
	v_lshrrev_b32_e32 v4, 24, v14
	v_bfrev_b32_e32 v55, 1
	s_mov_b32 s42, exec_lo
	s_delay_alu instid0(VALU_DEP_2)
	v_cmpx_ne_u32_e32 0x80, v4
	s_cbranch_execz .LBB256_272
; %bb.267:                              ;   in Loop: Header=BB256_12 Depth=1
	v_and_b32_e32 v57, 0x7f, v4
	v_mov_b32_e32 v55, 0x7c010000
	s_mov_b32 s43, exec_lo
	s_delay_alu instid0(VALU_DEP_2)
	v_cmpx_ne_u32_e32 0x7f, v57
	s_cbranch_execz .LBB256_271
; %bb.268:                              ;   in Loop: Header=BB256_12 Depth=1
	v_dual_lshrrev_b32 v55, 3, v57 :: v_dual_bitop2_b32 v14, 7, v4 bitop3:0x40
	s_mov_b32 s44, exec_lo
	v_cmpx_gt_u32_e32 8, v57
; %bb.269:                              ;   in Loop: Header=BB256_12 Depth=1
	s_delay_alu instid0(VALU_DEP_2) | instskip(NEXT) | instid1(VALU_DEP_1)
	v_clz_i32_u32_e32 v14, v14
	v_min_u32_e32 v14, 32, v14
	s_delay_alu instid0(VALU_DEP_1) | instskip(NEXT) | instid1(VALU_DEP_1)
	v_subrev_nc_u32_e32 v55, 28, v14
	v_lshlrev_b64_e32 v[58:59], v55, v[4:5]
	v_sub_nc_u32_e32 v55, 29, v14
	s_delay_alu instid0(VALU_DEP_2)
	v_and_b32_e32 v14, 7, v58
; %bb.270:                              ;   in Loop: Header=BB256_12 Depth=1
	s_or_b32 exec_lo, exec_lo, s44
	s_delay_alu instid0(VALU_DEP_1) | instskip(NEXT) | instid1(VALU_DEP_3)
	v_dual_lshlrev_b32 v4, 8, v4 :: v_dual_lshlrev_b32 v14, 23, v14
	v_lshl_add_u32 v55, v55, 10, 0x2000
	s_delay_alu instid0(VALU_DEP_1) | instskip(NEXT) | instid1(VALU_DEP_1)
	v_and_or_b32 v4, 0x8000, v4, v55
	v_lshl_or_b32 v55, v4, 16, v14
.LBB256_271:                            ;   in Loop: Header=BB256_12 Depth=1
	s_or_b32 exec_lo, exec_lo, s43
.LBB256_272:                            ;   in Loop: Header=BB256_12 Depth=1
	s_delay_alu instid0(SALU_CYCLE_1)
	s_or_b32 exec_lo, exec_lo, s42
.LBB256_273:                            ;   in Loop: Header=BB256_12 Depth=1
	s_delay_alu instid0(SALU_CYCLE_1)
	s_or_b32 exec_lo, exec_lo, s41
	global_load_b32 v14, v[12:13], off offset:1024
	v_dual_mov_b32 v57, 0 :: v_dual_mov_b32 v58, 0
	s_mov_b32 s41, exec_lo
	s_wait_loadcnt 0x0
	v_and_b32_e32 v4, 0xff, v14
	s_delay_alu instid0(VALU_DEP_1)
	v_cmpx_ne_u16_e32 0, v4
	s_cbranch_execz .LBB256_281
; %bb.274:                              ;   in Loop: Header=BB256_12 Depth=1
	v_mov_b32_e32 v58, 0x8000
	s_mov_b32 s42, exec_lo
	v_cmpx_ne_u16_e32 0x80, v4
	s_cbranch_execz .LBB256_280
; %bb.275:                              ;   in Loop: Header=BB256_12 Depth=1
	v_and_b32_e32 v59, 0x7f, v14
	v_mov_b32_e32 v58, 0x7c01
	s_mov_b32 s43, exec_lo
	s_delay_alu instid0(VALU_DEP_2)
	v_cmpx_ne_u32_e32 0x7f, v59
	s_cbranch_execz .LBB256_279
; %bb.276:                              ;   in Loop: Header=BB256_12 Depth=1
	v_dual_lshrrev_b32 v58, 3, v59 :: v_dual_bitop2_b32 v4, 7, v14 bitop3:0x40
	s_mov_b32 s44, exec_lo
	v_cmpx_gt_u32_e32 8, v59
; %bb.277:                              ;   in Loop: Header=BB256_12 Depth=1
	s_delay_alu instid0(VALU_DEP_2) | instskip(NEXT) | instid1(VALU_DEP_1)
	v_clz_i32_u32_e32 v4, v4
	v_min_u32_e32 v4, 32, v4
	s_delay_alu instid0(VALU_DEP_1) | instskip(NEXT) | instid1(VALU_DEP_1)
	v_subrev_nc_u32_e32 v58, 28, v4
	v_lshlrev_b64_e32 v[60:61], v58, v[14:15]
	v_sub_nc_u32_e32 v58, 29, v4
	s_delay_alu instid0(VALU_DEP_2)
	v_and_b32_e32 v4, 7, v60
; %bb.278:                              ;   in Loop: Header=BB256_12 Depth=1
	s_or_b32 exec_lo, exec_lo, s44
	s_delay_alu instid0(VALU_DEP_1) | instskip(NEXT) | instid1(VALU_DEP_3)
	v_dual_lshlrev_b32 v59, 8, v14 :: v_dual_lshlrev_b32 v4, 7, v4
	v_lshl_add_u32 v58, v58, 10, 0x2000
	s_delay_alu instid0(VALU_DEP_2) | instskip(NEXT) | instid1(VALU_DEP_2)
	v_and_b32_e32 v59, 0x8000, v59
	v_and_b32_e32 v58, 0xfc00, v58
	s_delay_alu instid0(VALU_DEP_1)
	v_or3_b32 v58, v59, v58, v4
.LBB256_279:                            ;   in Loop: Header=BB256_12 Depth=1
	s_or_b32 exec_lo, exec_lo, s43
.LBB256_280:                            ;   in Loop: Header=BB256_12 Depth=1
	s_delay_alu instid0(SALU_CYCLE_1)
	s_or_b32 exec_lo, exec_lo, s42
.LBB256_281:                            ;   in Loop: Header=BB256_12 Depth=1
	s_delay_alu instid0(SALU_CYCLE_1) | instskip(SKIP_2) | instid1(VALU_DEP_1)
	s_or_b32 exec_lo, exec_lo, s41
	v_lshrrev_b16 v4, 8, v14
	s_mov_b32 s41, exec_lo
	v_cmpx_ne_u16_e32 0, v4
	s_cbranch_execz .LBB256_289
; %bb.282:                              ;   in Loop: Header=BB256_12 Depth=1
	v_bfrev_b32_e32 v57, 1
	s_mov_b32 s42, exec_lo
	v_cmpx_ne_u16_e32 0x80, v4
	s_cbranch_execz .LBB256_288
; %bb.283:                              ;   in Loop: Header=BB256_12 Depth=1
	v_and_b32_e32 v59, 0xffff, v4
	v_mov_b32_e32 v57, 0x7c010000
	s_mov_b32 s43, exec_lo
	s_delay_alu instid0(VALU_DEP_2) | instskip(NEXT) | instid1(VALU_DEP_1)
	v_and_b32_e32 v61, 0x7f, v59
	v_cmpx_ne_u32_e32 0x7f, v61
	s_cbranch_execz .LBB256_287
; %bb.284:                              ;   in Loop: Header=BB256_12 Depth=1
	v_dual_lshrrev_b32 v60, 3, v61 :: v_dual_bitop2_b32 v57, 7, v59 bitop3:0x40
	s_mov_b32 s44, exec_lo
	v_cmpx_gt_u32_e32 8, v61
; %bb.285:                              ;   in Loop: Header=BB256_12 Depth=1
	s_delay_alu instid0(VALU_DEP_2) | instskip(NEXT) | instid1(VALU_DEP_1)
	v_clz_i32_u32_e32 v57, v57
	v_min_u32_e32 v57, 32, v57
	s_delay_alu instid0(VALU_DEP_1) | instskip(NEXT) | instid1(VALU_DEP_1)
	v_subrev_nc_u32_e32 v60, 28, v57
	v_lshlrev_b64_e32 v[62:63], v60, v[4:5]
	s_delay_alu instid0(VALU_DEP_1)
	v_dual_sub_nc_u32 v60, 29, v57 :: v_dual_bitop2_b32 v57, 7, v62 bitop3:0x40
; %bb.286:                              ;   in Loop: Header=BB256_12 Depth=1
	s_or_b32 exec_lo, exec_lo, s44
	s_delay_alu instid0(VALU_DEP_1) | instskip(NEXT) | instid1(VALU_DEP_2)
	v_dual_lshlrev_b32 v4, 8, v59 :: v_dual_lshlrev_b32 v57, 23, v57
	v_lshl_add_u32 v59, v60, 10, 0x2000
	s_delay_alu instid0(VALU_DEP_1) | instskip(NEXT) | instid1(VALU_DEP_1)
	v_and_or_b32 v4, 0x8000, v4, v59
	v_lshl_or_b32 v57, v4, 16, v57
.LBB256_287:                            ;   in Loop: Header=BB256_12 Depth=1
	s_or_b32 exec_lo, exec_lo, s43
.LBB256_288:                            ;   in Loop: Header=BB256_12 Depth=1
	s_delay_alu instid0(SALU_CYCLE_1)
	s_or_b32 exec_lo, exec_lo, s42
.LBB256_289:                            ;   in Loop: Header=BB256_12 Depth=1
	s_delay_alu instid0(SALU_CYCLE_1) | instskip(SKIP_3) | instid1(VALU_DEP_2)
	s_or_b32 exec_lo, exec_lo, s41
	v_dual_mov_b32 v59, 0 :: v_dual_lshrrev_b32 v4, 16, v14
	v_mov_b32_e32 v60, 0
	s_mov_b32 s41, exec_lo
	v_and_b32_e32 v61, 0xff, v4
	s_delay_alu instid0(VALU_DEP_1)
	v_cmpx_ne_u16_e32 0, v61
	s_cbranch_execz .LBB256_297
; %bb.290:                              ;   in Loop: Header=BB256_12 Depth=1
	v_mov_b32_e32 v60, 0x8000
	s_mov_b32 s42, exec_lo
	v_cmpx_ne_u16_e32 0x80, v61
	s_cbranch_execz .LBB256_296
; %bb.291:                              ;   in Loop: Header=BB256_12 Depth=1
	v_bfe_u32 v62, v14, 16, 7
	v_mov_b32_e32 v60, 0x7c01
	s_mov_b32 s43, exec_lo
	s_delay_alu instid0(VALU_DEP_2)
	v_cmpx_ne_u32_e32 0x7f, v62
	s_cbranch_execz .LBB256_295
; %bb.292:                              ;   in Loop: Header=BB256_12 Depth=1
	v_dual_lshrrev_b32 v61, 3, v62 :: v_dual_bitop2_b32 v60, 7, v4 bitop3:0x40
	s_mov_b32 s44, exec_lo
	v_cmpx_gt_u32_e32 8, v62
; %bb.293:                              ;   in Loop: Header=BB256_12 Depth=1
	s_delay_alu instid0(VALU_DEP_2) | instskip(NEXT) | instid1(VALU_DEP_1)
	v_clz_i32_u32_e32 v60, v60
	v_min_u32_e32 v62, 32, v60
	s_delay_alu instid0(VALU_DEP_1) | instskip(NEXT) | instid1(VALU_DEP_1)
	v_subrev_nc_u32_e32 v60, 28, v62
	v_lshlrev_b64_e32 v[60:61], v60, v[4:5]
	s_delay_alu instid0(VALU_DEP_1)
	v_dual_sub_nc_u32 v61, 29, v62 :: v_dual_bitop2_b32 v60, 7, v60 bitop3:0x40
; %bb.294:                              ;   in Loop: Header=BB256_12 Depth=1
	s_or_b32 exec_lo, exec_lo, s44
	v_lshlrev_b32_e32 v4, 8, v4
	s_delay_alu instid0(VALU_DEP_2) | instskip(NEXT) | instid1(VALU_DEP_3)
	v_lshl_add_u32 v61, v61, 10, 0x2000
	v_lshlrev_b32_e32 v60, 7, v60
	s_delay_alu instid0(VALU_DEP_3) | instskip(NEXT) | instid1(VALU_DEP_3)
	v_and_b32_e32 v4, 0x8000, v4
	v_and_b32_e32 v61, 0xfc00, v61
	s_delay_alu instid0(VALU_DEP_1)
	v_or3_b32 v60, v4, v61, v60
.LBB256_295:                            ;   in Loop: Header=BB256_12 Depth=1
	s_or_b32 exec_lo, exec_lo, s43
.LBB256_296:                            ;   in Loop: Header=BB256_12 Depth=1
	s_delay_alu instid0(SALU_CYCLE_1)
	s_or_b32 exec_lo, exec_lo, s42
.LBB256_297:                            ;   in Loop: Header=BB256_12 Depth=1
	s_delay_alu instid0(SALU_CYCLE_1) | instskip(NEXT) | instid1(SALU_CYCLE_1)
	s_or_b32 exec_lo, exec_lo, s41
	s_mov_b32 s41, exec_lo
	v_cmpx_lt_u32_e32 0xffffff, v14
	s_cbranch_execz .LBB256_305
; %bb.298:                              ;   in Loop: Header=BB256_12 Depth=1
	v_lshrrev_b32_e32 v4, 24, v14
	v_bfrev_b32_e32 v59, 1
	s_mov_b32 s42, exec_lo
	s_delay_alu instid0(VALU_DEP_2)
	v_cmpx_ne_u32_e32 0x80, v4
	s_cbranch_execz .LBB256_304
; %bb.299:                              ;   in Loop: Header=BB256_12 Depth=1
	v_and_b32_e32 v61, 0x7f, v4
	v_mov_b32_e32 v59, 0x7c010000
	s_mov_b32 s43, exec_lo
	s_delay_alu instid0(VALU_DEP_2)
	v_cmpx_ne_u32_e32 0x7f, v61
	s_cbranch_execz .LBB256_303
; %bb.300:                              ;   in Loop: Header=BB256_12 Depth=1
	v_dual_lshrrev_b32 v59, 3, v61 :: v_dual_bitop2_b32 v14, 7, v4 bitop3:0x40
	s_mov_b32 s44, exec_lo
	v_cmpx_gt_u32_e32 8, v61
; %bb.301:                              ;   in Loop: Header=BB256_12 Depth=1
	s_delay_alu instid0(VALU_DEP_2) | instskip(NEXT) | instid1(VALU_DEP_1)
	v_clz_i32_u32_e32 v14, v14
	v_min_u32_e32 v14, 32, v14
	s_delay_alu instid0(VALU_DEP_1) | instskip(NEXT) | instid1(VALU_DEP_1)
	v_subrev_nc_u32_e32 v59, 28, v14
	v_lshlrev_b64_e32 v[62:63], v59, v[4:5]
	v_sub_nc_u32_e32 v59, 29, v14
	s_delay_alu instid0(VALU_DEP_2)
	v_and_b32_e32 v14, 7, v62
; %bb.302:                              ;   in Loop: Header=BB256_12 Depth=1
	s_or_b32 exec_lo, exec_lo, s44
	s_delay_alu instid0(VALU_DEP_1) | instskip(NEXT) | instid1(VALU_DEP_3)
	v_dual_lshlrev_b32 v4, 8, v4 :: v_dual_lshlrev_b32 v14, 23, v14
	v_lshl_add_u32 v59, v59, 10, 0x2000
	s_delay_alu instid0(VALU_DEP_1) | instskip(NEXT) | instid1(VALU_DEP_1)
	v_and_or_b32 v4, 0x8000, v4, v59
	v_lshl_or_b32 v59, v4, 16, v14
.LBB256_303:                            ;   in Loop: Header=BB256_12 Depth=1
	s_or_b32 exec_lo, exec_lo, s43
.LBB256_304:                            ;   in Loop: Header=BB256_12 Depth=1
	s_delay_alu instid0(SALU_CYCLE_1)
	s_or_b32 exec_lo, exec_lo, s42
.LBB256_305:                            ;   in Loop: Header=BB256_12 Depth=1
	s_delay_alu instid0(SALU_CYCLE_1)
	s_or_b32 exec_lo, exec_lo, s41
	global_load_b32 v14, v[12:13], off offset:1032
	v_dual_mov_b32 v61, 0 :: v_dual_mov_b32 v62, 0
	s_mov_b32 s41, exec_lo
	s_wait_loadcnt 0x0
	v_and_b32_e32 v4, 0xff, v14
	s_delay_alu instid0(VALU_DEP_1)
	v_cmpx_ne_u16_e32 0, v4
	s_cbranch_execz .LBB256_313
; %bb.306:                              ;   in Loop: Header=BB256_12 Depth=1
	v_mov_b32_e32 v62, 0x8000
	s_mov_b32 s42, exec_lo
	v_cmpx_ne_u16_e32 0x80, v4
	s_cbranch_execz .LBB256_312
; %bb.307:                              ;   in Loop: Header=BB256_12 Depth=1
	v_and_b32_e32 v63, 0x7f, v14
	v_mov_b32_e32 v62, 0x7c01
	s_mov_b32 s43, exec_lo
	s_delay_alu instid0(VALU_DEP_2)
	v_cmpx_ne_u32_e32 0x7f, v63
	s_cbranch_execz .LBB256_311
; %bb.308:                              ;   in Loop: Header=BB256_12 Depth=1
	v_dual_lshrrev_b32 v62, 3, v63 :: v_dual_bitop2_b32 v4, 7, v14 bitop3:0x40
	s_mov_b32 s44, exec_lo
	v_cmpx_gt_u32_e32 8, v63
; %bb.309:                              ;   in Loop: Header=BB256_12 Depth=1
	s_delay_alu instid0(VALU_DEP_2) | instskip(NEXT) | instid1(VALU_DEP_1)
	v_clz_i32_u32_e32 v4, v4
	v_min_u32_e32 v4, 32, v4
	s_delay_alu instid0(VALU_DEP_1) | instskip(NEXT) | instid1(VALU_DEP_1)
	v_subrev_nc_u32_e32 v62, 28, v4
	v_lshlrev_b64_e32 v[64:65], v62, v[14:15]
	v_sub_nc_u32_e32 v62, 29, v4
	s_delay_alu instid0(VALU_DEP_2)
	v_and_b32_e32 v4, 7, v64
; %bb.310:                              ;   in Loop: Header=BB256_12 Depth=1
	s_or_b32 exec_lo, exec_lo, s44
	s_delay_alu instid0(VALU_DEP_1) | instskip(NEXT) | instid1(VALU_DEP_3)
	v_dual_lshlrev_b32 v63, 8, v14 :: v_dual_lshlrev_b32 v4, 7, v4
	v_lshl_add_u32 v62, v62, 10, 0x2000
	s_delay_alu instid0(VALU_DEP_2) | instskip(NEXT) | instid1(VALU_DEP_2)
	v_and_b32_e32 v63, 0x8000, v63
	v_and_b32_e32 v62, 0xfc00, v62
	s_delay_alu instid0(VALU_DEP_1)
	v_or3_b32 v62, v63, v62, v4
.LBB256_311:                            ;   in Loop: Header=BB256_12 Depth=1
	s_or_b32 exec_lo, exec_lo, s43
.LBB256_312:                            ;   in Loop: Header=BB256_12 Depth=1
	s_delay_alu instid0(SALU_CYCLE_1)
	s_or_b32 exec_lo, exec_lo, s42
.LBB256_313:                            ;   in Loop: Header=BB256_12 Depth=1
	s_delay_alu instid0(SALU_CYCLE_1) | instskip(SKIP_2) | instid1(VALU_DEP_1)
	s_or_b32 exec_lo, exec_lo, s41
	v_lshrrev_b16 v4, 8, v14
	s_mov_b32 s41, exec_lo
	v_cmpx_ne_u16_e32 0, v4
	s_cbranch_execz .LBB256_321
; %bb.314:                              ;   in Loop: Header=BB256_12 Depth=1
	v_bfrev_b32_e32 v61, 1
	s_mov_b32 s42, exec_lo
	v_cmpx_ne_u16_e32 0x80, v4
	s_cbranch_execz .LBB256_320
; %bb.315:                              ;   in Loop: Header=BB256_12 Depth=1
	v_and_b32_e32 v63, 0xffff, v4
	v_mov_b32_e32 v61, 0x7c010000
	s_mov_b32 s43, exec_lo
	s_delay_alu instid0(VALU_DEP_2) | instskip(NEXT) | instid1(VALU_DEP_1)
	v_and_b32_e32 v65, 0x7f, v63
	v_cmpx_ne_u32_e32 0x7f, v65
	s_cbranch_execz .LBB256_319
; %bb.316:                              ;   in Loop: Header=BB256_12 Depth=1
	v_dual_lshrrev_b32 v64, 3, v65 :: v_dual_bitop2_b32 v61, 7, v63 bitop3:0x40
	s_mov_b32 s44, exec_lo
	v_cmpx_gt_u32_e32 8, v65
; %bb.317:                              ;   in Loop: Header=BB256_12 Depth=1
	s_delay_alu instid0(VALU_DEP_2) | instskip(NEXT) | instid1(VALU_DEP_1)
	v_clz_i32_u32_e32 v61, v61
	v_min_u32_e32 v61, 32, v61
	s_delay_alu instid0(VALU_DEP_1) | instskip(NEXT) | instid1(VALU_DEP_1)
	v_subrev_nc_u32_e32 v64, 28, v61
	v_lshlrev_b64_e32 v[66:67], v64, v[4:5]
	s_delay_alu instid0(VALU_DEP_1)
	v_dual_sub_nc_u32 v64, 29, v61 :: v_dual_bitop2_b32 v61, 7, v66 bitop3:0x40
; %bb.318:                              ;   in Loop: Header=BB256_12 Depth=1
	s_or_b32 exec_lo, exec_lo, s44
	s_delay_alu instid0(VALU_DEP_1) | instskip(NEXT) | instid1(VALU_DEP_2)
	v_dual_lshlrev_b32 v4, 8, v63 :: v_dual_lshlrev_b32 v61, 23, v61
	v_lshl_add_u32 v63, v64, 10, 0x2000
	s_delay_alu instid0(VALU_DEP_1) | instskip(NEXT) | instid1(VALU_DEP_1)
	v_and_or_b32 v4, 0x8000, v4, v63
	v_lshl_or_b32 v61, v4, 16, v61
.LBB256_319:                            ;   in Loop: Header=BB256_12 Depth=1
	s_or_b32 exec_lo, exec_lo, s43
.LBB256_320:                            ;   in Loop: Header=BB256_12 Depth=1
	s_delay_alu instid0(SALU_CYCLE_1)
	s_or_b32 exec_lo, exec_lo, s42
.LBB256_321:                            ;   in Loop: Header=BB256_12 Depth=1
	s_delay_alu instid0(SALU_CYCLE_1) | instskip(SKIP_3) | instid1(VALU_DEP_2)
	s_or_b32 exec_lo, exec_lo, s41
	v_dual_mov_b32 v63, 0 :: v_dual_lshrrev_b32 v4, 16, v14
	v_mov_b32_e32 v64, 0
	s_mov_b32 s41, exec_lo
	v_and_b32_e32 v65, 0xff, v4
	s_delay_alu instid0(VALU_DEP_1)
	v_cmpx_ne_u16_e32 0, v65
	s_cbranch_execz .LBB256_329
; %bb.322:                              ;   in Loop: Header=BB256_12 Depth=1
	v_mov_b32_e32 v64, 0x8000
	s_mov_b32 s42, exec_lo
	v_cmpx_ne_u16_e32 0x80, v65
	s_cbranch_execz .LBB256_328
; %bb.323:                              ;   in Loop: Header=BB256_12 Depth=1
	v_bfe_u32 v66, v14, 16, 7
	v_mov_b32_e32 v64, 0x7c01
	s_mov_b32 s43, exec_lo
	s_delay_alu instid0(VALU_DEP_2)
	v_cmpx_ne_u32_e32 0x7f, v66
	s_cbranch_execz .LBB256_327
; %bb.324:                              ;   in Loop: Header=BB256_12 Depth=1
	v_dual_lshrrev_b32 v65, 3, v66 :: v_dual_bitop2_b32 v64, 7, v4 bitop3:0x40
	s_mov_b32 s44, exec_lo
	v_cmpx_gt_u32_e32 8, v66
; %bb.325:                              ;   in Loop: Header=BB256_12 Depth=1
	s_delay_alu instid0(VALU_DEP_2) | instskip(NEXT) | instid1(VALU_DEP_1)
	v_clz_i32_u32_e32 v64, v64
	v_min_u32_e32 v66, 32, v64
	s_delay_alu instid0(VALU_DEP_1) | instskip(NEXT) | instid1(VALU_DEP_1)
	v_subrev_nc_u32_e32 v64, 28, v66
	v_lshlrev_b64_e32 v[64:65], v64, v[4:5]
	s_delay_alu instid0(VALU_DEP_1)
	v_dual_sub_nc_u32 v65, 29, v66 :: v_dual_bitop2_b32 v64, 7, v64 bitop3:0x40
; %bb.326:                              ;   in Loop: Header=BB256_12 Depth=1
	s_or_b32 exec_lo, exec_lo, s44
	v_lshlrev_b32_e32 v4, 8, v4
	s_delay_alu instid0(VALU_DEP_2) | instskip(NEXT) | instid1(VALU_DEP_3)
	v_lshl_add_u32 v65, v65, 10, 0x2000
	v_lshlrev_b32_e32 v64, 7, v64
	s_delay_alu instid0(VALU_DEP_3) | instskip(NEXT) | instid1(VALU_DEP_3)
	v_and_b32_e32 v4, 0x8000, v4
	v_and_b32_e32 v65, 0xfc00, v65
	s_delay_alu instid0(VALU_DEP_1)
	v_or3_b32 v64, v4, v65, v64
.LBB256_327:                            ;   in Loop: Header=BB256_12 Depth=1
	s_or_b32 exec_lo, exec_lo, s43
.LBB256_328:                            ;   in Loop: Header=BB256_12 Depth=1
	s_delay_alu instid0(SALU_CYCLE_1)
	s_or_b32 exec_lo, exec_lo, s42
.LBB256_329:                            ;   in Loop: Header=BB256_12 Depth=1
	s_delay_alu instid0(SALU_CYCLE_1) | instskip(NEXT) | instid1(SALU_CYCLE_1)
	s_or_b32 exec_lo, exec_lo, s41
	s_mov_b32 s41, exec_lo
	v_cmpx_lt_u32_e32 0xffffff, v14
	s_cbranch_execz .LBB256_337
; %bb.330:                              ;   in Loop: Header=BB256_12 Depth=1
	v_lshrrev_b32_e32 v4, 24, v14
	v_bfrev_b32_e32 v63, 1
	s_mov_b32 s42, exec_lo
	s_delay_alu instid0(VALU_DEP_2)
	v_cmpx_ne_u32_e32 0x80, v4
	s_cbranch_execz .LBB256_336
; %bb.331:                              ;   in Loop: Header=BB256_12 Depth=1
	v_and_b32_e32 v65, 0x7f, v4
	v_mov_b32_e32 v63, 0x7c010000
	s_mov_b32 s43, exec_lo
	s_delay_alu instid0(VALU_DEP_2)
	v_cmpx_ne_u32_e32 0x7f, v65
	s_cbranch_execz .LBB256_335
; %bb.332:                              ;   in Loop: Header=BB256_12 Depth=1
	v_dual_lshrrev_b32 v63, 3, v65 :: v_dual_bitop2_b32 v14, 7, v4 bitop3:0x40
	s_mov_b32 s44, exec_lo
	v_cmpx_gt_u32_e32 8, v65
; %bb.333:                              ;   in Loop: Header=BB256_12 Depth=1
	s_delay_alu instid0(VALU_DEP_2) | instskip(NEXT) | instid1(VALU_DEP_1)
	v_clz_i32_u32_e32 v14, v14
	v_min_u32_e32 v14, 32, v14
	s_delay_alu instid0(VALU_DEP_1) | instskip(NEXT) | instid1(VALU_DEP_1)
	v_subrev_nc_u32_e32 v63, 28, v14
	v_lshlrev_b64_e32 v[66:67], v63, v[4:5]
	v_sub_nc_u32_e32 v63, 29, v14
	s_delay_alu instid0(VALU_DEP_2)
	v_and_b32_e32 v14, 7, v66
; %bb.334:                              ;   in Loop: Header=BB256_12 Depth=1
	s_or_b32 exec_lo, exec_lo, s44
	s_delay_alu instid0(VALU_DEP_1) | instskip(NEXT) | instid1(VALU_DEP_3)
	v_dual_lshlrev_b32 v4, 8, v4 :: v_dual_lshlrev_b32 v14, 23, v14
	v_lshl_add_u32 v63, v63, 10, 0x2000
	s_delay_alu instid0(VALU_DEP_1) | instskip(NEXT) | instid1(VALU_DEP_1)
	v_and_or_b32 v4, 0x8000, v4, v63
	v_lshl_or_b32 v63, v4, 16, v14
.LBB256_335:                            ;   in Loop: Header=BB256_12 Depth=1
	s_or_b32 exec_lo, exec_lo, s43
.LBB256_336:                            ;   in Loop: Header=BB256_12 Depth=1
	s_delay_alu instid0(SALU_CYCLE_1)
	s_or_b32 exec_lo, exec_lo, s42
.LBB256_337:                            ;   in Loop: Header=BB256_12 Depth=1
	s_delay_alu instid0(SALU_CYCLE_1)
	s_or_b32 exec_lo, exec_lo, s41
	global_load_b32 v14, v[12:13], off offset:1280
	v_dual_mov_b32 v65, 0 :: v_dual_mov_b32 v66, 0
	s_mov_b32 s41, exec_lo
	s_wait_loadcnt 0x0
	v_and_b32_e32 v4, 0xff, v14
	s_delay_alu instid0(VALU_DEP_1)
	v_cmpx_ne_u16_e32 0, v4
	s_cbranch_execz .LBB256_345
; %bb.338:                              ;   in Loop: Header=BB256_12 Depth=1
	v_mov_b32_e32 v66, 0x8000
	s_mov_b32 s42, exec_lo
	v_cmpx_ne_u16_e32 0x80, v4
	s_cbranch_execz .LBB256_344
; %bb.339:                              ;   in Loop: Header=BB256_12 Depth=1
	v_and_b32_e32 v67, 0x7f, v14
	v_mov_b32_e32 v66, 0x7c01
	s_mov_b32 s43, exec_lo
	s_delay_alu instid0(VALU_DEP_2)
	v_cmpx_ne_u32_e32 0x7f, v67
	s_cbranch_execz .LBB256_343
; %bb.340:                              ;   in Loop: Header=BB256_12 Depth=1
	v_dual_lshrrev_b32 v66, 3, v67 :: v_dual_bitop2_b32 v4, 7, v14 bitop3:0x40
	s_mov_b32 s44, exec_lo
	v_cmpx_gt_u32_e32 8, v67
; %bb.341:                              ;   in Loop: Header=BB256_12 Depth=1
	s_delay_alu instid0(VALU_DEP_2) | instskip(NEXT) | instid1(VALU_DEP_1)
	v_clz_i32_u32_e32 v4, v4
	v_min_u32_e32 v4, 32, v4
	s_delay_alu instid0(VALU_DEP_1) | instskip(NEXT) | instid1(VALU_DEP_1)
	v_subrev_nc_u32_e32 v66, 28, v4
	v_lshlrev_b64_e32 v[68:69], v66, v[14:15]
	v_sub_nc_u32_e32 v66, 29, v4
	s_delay_alu instid0(VALU_DEP_2)
	v_and_b32_e32 v4, 7, v68
; %bb.342:                              ;   in Loop: Header=BB256_12 Depth=1
	s_or_b32 exec_lo, exec_lo, s44
	s_delay_alu instid0(VALU_DEP_1) | instskip(NEXT) | instid1(VALU_DEP_3)
	v_dual_lshlrev_b32 v67, 8, v14 :: v_dual_lshlrev_b32 v4, 7, v4
	v_lshl_add_u32 v66, v66, 10, 0x2000
	s_delay_alu instid0(VALU_DEP_2) | instskip(NEXT) | instid1(VALU_DEP_2)
	v_and_b32_e32 v67, 0x8000, v67
	v_and_b32_e32 v66, 0xfc00, v66
	s_delay_alu instid0(VALU_DEP_1)
	v_or3_b32 v66, v67, v66, v4
.LBB256_343:                            ;   in Loop: Header=BB256_12 Depth=1
	s_or_b32 exec_lo, exec_lo, s43
.LBB256_344:                            ;   in Loop: Header=BB256_12 Depth=1
	s_delay_alu instid0(SALU_CYCLE_1)
	s_or_b32 exec_lo, exec_lo, s42
.LBB256_345:                            ;   in Loop: Header=BB256_12 Depth=1
	s_delay_alu instid0(SALU_CYCLE_1) | instskip(SKIP_2) | instid1(VALU_DEP_1)
	s_or_b32 exec_lo, exec_lo, s41
	v_lshrrev_b16 v4, 8, v14
	s_mov_b32 s41, exec_lo
	v_cmpx_ne_u16_e32 0, v4
	s_cbranch_execz .LBB256_353
; %bb.346:                              ;   in Loop: Header=BB256_12 Depth=1
	v_bfrev_b32_e32 v65, 1
	s_mov_b32 s42, exec_lo
	v_cmpx_ne_u16_e32 0x80, v4
	s_cbranch_execz .LBB256_352
; %bb.347:                              ;   in Loop: Header=BB256_12 Depth=1
	v_and_b32_e32 v67, 0xffff, v4
	v_mov_b32_e32 v65, 0x7c010000
	s_mov_b32 s43, exec_lo
	s_delay_alu instid0(VALU_DEP_2) | instskip(NEXT) | instid1(VALU_DEP_1)
	v_and_b32_e32 v69, 0x7f, v67
	v_cmpx_ne_u32_e32 0x7f, v69
	s_cbranch_execz .LBB256_351
; %bb.348:                              ;   in Loop: Header=BB256_12 Depth=1
	v_dual_lshrrev_b32 v68, 3, v69 :: v_dual_bitop2_b32 v65, 7, v67 bitop3:0x40
	s_mov_b32 s44, exec_lo
	v_cmpx_gt_u32_e32 8, v69
; %bb.349:                              ;   in Loop: Header=BB256_12 Depth=1
	s_delay_alu instid0(VALU_DEP_2) | instskip(NEXT) | instid1(VALU_DEP_1)
	v_clz_i32_u32_e32 v65, v65
	v_min_u32_e32 v65, 32, v65
	s_delay_alu instid0(VALU_DEP_1) | instskip(NEXT) | instid1(VALU_DEP_1)
	v_subrev_nc_u32_e32 v68, 28, v65
	v_lshlrev_b64_e32 v[70:71], v68, v[4:5]
	s_delay_alu instid0(VALU_DEP_1)
	v_dual_sub_nc_u32 v68, 29, v65 :: v_dual_bitop2_b32 v65, 7, v70 bitop3:0x40
; %bb.350:                              ;   in Loop: Header=BB256_12 Depth=1
	s_or_b32 exec_lo, exec_lo, s44
	s_delay_alu instid0(VALU_DEP_1) | instskip(NEXT) | instid1(VALU_DEP_2)
	v_dual_lshlrev_b32 v4, 8, v67 :: v_dual_lshlrev_b32 v65, 23, v65
	v_lshl_add_u32 v67, v68, 10, 0x2000
	s_delay_alu instid0(VALU_DEP_1) | instskip(NEXT) | instid1(VALU_DEP_1)
	v_and_or_b32 v4, 0x8000, v4, v67
	v_lshl_or_b32 v65, v4, 16, v65
.LBB256_351:                            ;   in Loop: Header=BB256_12 Depth=1
	s_or_b32 exec_lo, exec_lo, s43
.LBB256_352:                            ;   in Loop: Header=BB256_12 Depth=1
	s_delay_alu instid0(SALU_CYCLE_1)
	s_or_b32 exec_lo, exec_lo, s42
.LBB256_353:                            ;   in Loop: Header=BB256_12 Depth=1
	s_delay_alu instid0(SALU_CYCLE_1) | instskip(SKIP_3) | instid1(VALU_DEP_2)
	s_or_b32 exec_lo, exec_lo, s41
	v_dual_mov_b32 v67, 0 :: v_dual_lshrrev_b32 v4, 16, v14
	v_mov_b32_e32 v68, 0
	s_mov_b32 s41, exec_lo
	v_and_b32_e32 v69, 0xff, v4
	s_delay_alu instid0(VALU_DEP_1)
	v_cmpx_ne_u16_e32 0, v69
	s_cbranch_execz .LBB256_361
; %bb.354:                              ;   in Loop: Header=BB256_12 Depth=1
	v_mov_b32_e32 v68, 0x8000
	s_mov_b32 s42, exec_lo
	v_cmpx_ne_u16_e32 0x80, v69
	s_cbranch_execz .LBB256_360
; %bb.355:                              ;   in Loop: Header=BB256_12 Depth=1
	v_bfe_u32 v70, v14, 16, 7
	v_mov_b32_e32 v68, 0x7c01
	s_mov_b32 s43, exec_lo
	s_delay_alu instid0(VALU_DEP_2)
	v_cmpx_ne_u32_e32 0x7f, v70
	s_cbranch_execz .LBB256_359
; %bb.356:                              ;   in Loop: Header=BB256_12 Depth=1
	v_dual_lshrrev_b32 v69, 3, v70 :: v_dual_bitop2_b32 v68, 7, v4 bitop3:0x40
	s_mov_b32 s44, exec_lo
	v_cmpx_gt_u32_e32 8, v70
; %bb.357:                              ;   in Loop: Header=BB256_12 Depth=1
	s_delay_alu instid0(VALU_DEP_2) | instskip(NEXT) | instid1(VALU_DEP_1)
	v_clz_i32_u32_e32 v68, v68
	v_min_u32_e32 v70, 32, v68
	s_delay_alu instid0(VALU_DEP_1) | instskip(NEXT) | instid1(VALU_DEP_1)
	v_subrev_nc_u32_e32 v68, 28, v70
	v_lshlrev_b64_e32 v[68:69], v68, v[4:5]
	s_delay_alu instid0(VALU_DEP_1)
	v_dual_sub_nc_u32 v69, 29, v70 :: v_dual_bitop2_b32 v68, 7, v68 bitop3:0x40
; %bb.358:                              ;   in Loop: Header=BB256_12 Depth=1
	s_or_b32 exec_lo, exec_lo, s44
	v_lshlrev_b32_e32 v4, 8, v4
	s_delay_alu instid0(VALU_DEP_2) | instskip(NEXT) | instid1(VALU_DEP_3)
	v_lshl_add_u32 v69, v69, 10, 0x2000
	v_lshlrev_b32_e32 v68, 7, v68
	s_delay_alu instid0(VALU_DEP_3) | instskip(NEXT) | instid1(VALU_DEP_3)
	v_and_b32_e32 v4, 0x8000, v4
	v_and_b32_e32 v69, 0xfc00, v69
	s_delay_alu instid0(VALU_DEP_1)
	v_or3_b32 v68, v4, v69, v68
.LBB256_359:                            ;   in Loop: Header=BB256_12 Depth=1
	s_or_b32 exec_lo, exec_lo, s43
.LBB256_360:                            ;   in Loop: Header=BB256_12 Depth=1
	s_delay_alu instid0(SALU_CYCLE_1)
	s_or_b32 exec_lo, exec_lo, s42
.LBB256_361:                            ;   in Loop: Header=BB256_12 Depth=1
	s_delay_alu instid0(SALU_CYCLE_1) | instskip(NEXT) | instid1(SALU_CYCLE_1)
	s_or_b32 exec_lo, exec_lo, s41
	s_mov_b32 s41, exec_lo
	v_cmpx_lt_u32_e32 0xffffff, v14
	s_cbranch_execz .LBB256_369
; %bb.362:                              ;   in Loop: Header=BB256_12 Depth=1
	v_lshrrev_b32_e32 v4, 24, v14
	v_bfrev_b32_e32 v67, 1
	s_mov_b32 s42, exec_lo
	s_delay_alu instid0(VALU_DEP_2)
	v_cmpx_ne_u32_e32 0x80, v4
	s_cbranch_execz .LBB256_368
; %bb.363:                              ;   in Loop: Header=BB256_12 Depth=1
	v_and_b32_e32 v69, 0x7f, v4
	v_mov_b32_e32 v67, 0x7c010000
	s_mov_b32 s43, exec_lo
	s_delay_alu instid0(VALU_DEP_2)
	v_cmpx_ne_u32_e32 0x7f, v69
	s_cbranch_execz .LBB256_367
; %bb.364:                              ;   in Loop: Header=BB256_12 Depth=1
	v_dual_lshrrev_b32 v67, 3, v69 :: v_dual_bitop2_b32 v14, 7, v4 bitop3:0x40
	s_mov_b32 s44, exec_lo
	v_cmpx_gt_u32_e32 8, v69
; %bb.365:                              ;   in Loop: Header=BB256_12 Depth=1
	s_delay_alu instid0(VALU_DEP_2) | instskip(NEXT) | instid1(VALU_DEP_1)
	v_clz_i32_u32_e32 v14, v14
	v_min_u32_e32 v14, 32, v14
	s_delay_alu instid0(VALU_DEP_1) | instskip(NEXT) | instid1(VALU_DEP_1)
	v_subrev_nc_u32_e32 v67, 28, v14
	v_lshlrev_b64_e32 v[70:71], v67, v[4:5]
	v_sub_nc_u32_e32 v67, 29, v14
	s_delay_alu instid0(VALU_DEP_2)
	v_and_b32_e32 v14, 7, v70
; %bb.366:                              ;   in Loop: Header=BB256_12 Depth=1
	s_or_b32 exec_lo, exec_lo, s44
	s_delay_alu instid0(VALU_DEP_1) | instskip(NEXT) | instid1(VALU_DEP_3)
	v_dual_lshlrev_b32 v4, 8, v4 :: v_dual_lshlrev_b32 v14, 23, v14
	v_lshl_add_u32 v67, v67, 10, 0x2000
	s_delay_alu instid0(VALU_DEP_1) | instskip(NEXT) | instid1(VALU_DEP_1)
	v_and_or_b32 v4, 0x8000, v4, v67
	v_lshl_or_b32 v67, v4, 16, v14
.LBB256_367:                            ;   in Loop: Header=BB256_12 Depth=1
	s_or_b32 exec_lo, exec_lo, s43
.LBB256_368:                            ;   in Loop: Header=BB256_12 Depth=1
	s_delay_alu instid0(SALU_CYCLE_1)
	s_or_b32 exec_lo, exec_lo, s42
.LBB256_369:                            ;   in Loop: Header=BB256_12 Depth=1
	s_delay_alu instid0(SALU_CYCLE_1)
	s_or_b32 exec_lo, exec_lo, s41
	global_load_b32 v14, v[12:13], off offset:1288
	v_dual_mov_b32 v69, 0 :: v_dual_mov_b32 v70, 0
	s_mov_b32 s41, exec_lo
	s_wait_loadcnt 0x0
	v_and_b32_e32 v4, 0xff, v14
	s_delay_alu instid0(VALU_DEP_1)
	v_cmpx_ne_u16_e32 0, v4
	s_cbranch_execz .LBB256_377
; %bb.370:                              ;   in Loop: Header=BB256_12 Depth=1
	v_mov_b32_e32 v70, 0x8000
	s_mov_b32 s42, exec_lo
	v_cmpx_ne_u16_e32 0x80, v4
	s_cbranch_execz .LBB256_376
; %bb.371:                              ;   in Loop: Header=BB256_12 Depth=1
	v_and_b32_e32 v71, 0x7f, v14
	v_mov_b32_e32 v70, 0x7c01
	s_mov_b32 s43, exec_lo
	s_delay_alu instid0(VALU_DEP_2)
	v_cmpx_ne_u32_e32 0x7f, v71
	s_cbranch_execz .LBB256_375
; %bb.372:                              ;   in Loop: Header=BB256_12 Depth=1
	v_dual_lshrrev_b32 v70, 3, v71 :: v_dual_bitop2_b32 v4, 7, v14 bitop3:0x40
	s_mov_b32 s44, exec_lo
	v_cmpx_gt_u32_e32 8, v71
; %bb.373:                              ;   in Loop: Header=BB256_12 Depth=1
	s_delay_alu instid0(VALU_DEP_2) | instskip(NEXT) | instid1(VALU_DEP_1)
	v_clz_i32_u32_e32 v4, v4
	v_min_u32_e32 v4, 32, v4
	s_delay_alu instid0(VALU_DEP_1) | instskip(NEXT) | instid1(VALU_DEP_1)
	v_subrev_nc_u32_e32 v70, 28, v4
	v_lshlrev_b64_e32 v[72:73], v70, v[14:15]
	v_sub_nc_u32_e32 v70, 29, v4
	s_delay_alu instid0(VALU_DEP_2)
	v_and_b32_e32 v4, 7, v72
; %bb.374:                              ;   in Loop: Header=BB256_12 Depth=1
	s_or_b32 exec_lo, exec_lo, s44
	s_delay_alu instid0(VALU_DEP_1) | instskip(NEXT) | instid1(VALU_DEP_3)
	v_dual_lshlrev_b32 v71, 8, v14 :: v_dual_lshlrev_b32 v4, 7, v4
	v_lshl_add_u32 v70, v70, 10, 0x2000
	s_delay_alu instid0(VALU_DEP_2) | instskip(NEXT) | instid1(VALU_DEP_2)
	v_and_b32_e32 v71, 0x8000, v71
	v_and_b32_e32 v70, 0xfc00, v70
	s_delay_alu instid0(VALU_DEP_1)
	v_or3_b32 v70, v71, v70, v4
.LBB256_375:                            ;   in Loop: Header=BB256_12 Depth=1
	s_or_b32 exec_lo, exec_lo, s43
.LBB256_376:                            ;   in Loop: Header=BB256_12 Depth=1
	s_delay_alu instid0(SALU_CYCLE_1)
	s_or_b32 exec_lo, exec_lo, s42
.LBB256_377:                            ;   in Loop: Header=BB256_12 Depth=1
	s_delay_alu instid0(SALU_CYCLE_1) | instskip(SKIP_2) | instid1(VALU_DEP_1)
	s_or_b32 exec_lo, exec_lo, s41
	v_lshrrev_b16 v4, 8, v14
	s_mov_b32 s41, exec_lo
	v_cmpx_ne_u16_e32 0, v4
	s_cbranch_execz .LBB256_385
; %bb.378:                              ;   in Loop: Header=BB256_12 Depth=1
	v_bfrev_b32_e32 v69, 1
	s_mov_b32 s42, exec_lo
	v_cmpx_ne_u16_e32 0x80, v4
	s_cbranch_execz .LBB256_384
; %bb.379:                              ;   in Loop: Header=BB256_12 Depth=1
	v_and_b32_e32 v71, 0xffff, v4
	v_mov_b32_e32 v69, 0x7c010000
	s_mov_b32 s43, exec_lo
	s_delay_alu instid0(VALU_DEP_2) | instskip(NEXT) | instid1(VALU_DEP_1)
	v_and_b32_e32 v73, 0x7f, v71
	v_cmpx_ne_u32_e32 0x7f, v73
	s_cbranch_execz .LBB256_383
; %bb.380:                              ;   in Loop: Header=BB256_12 Depth=1
	v_dual_lshrrev_b32 v72, 3, v73 :: v_dual_bitop2_b32 v69, 7, v71 bitop3:0x40
	s_mov_b32 s44, exec_lo
	v_cmpx_gt_u32_e32 8, v73
; %bb.381:                              ;   in Loop: Header=BB256_12 Depth=1
	s_delay_alu instid0(VALU_DEP_2) | instskip(NEXT) | instid1(VALU_DEP_1)
	v_clz_i32_u32_e32 v69, v69
	v_min_u32_e32 v69, 32, v69
	s_delay_alu instid0(VALU_DEP_1) | instskip(NEXT) | instid1(VALU_DEP_1)
	v_subrev_nc_u32_e32 v72, 28, v69
	v_lshlrev_b64_e32 v[74:75], v72, v[4:5]
	s_delay_alu instid0(VALU_DEP_1)
	v_dual_sub_nc_u32 v72, 29, v69 :: v_dual_bitop2_b32 v69, 7, v74 bitop3:0x40
; %bb.382:                              ;   in Loop: Header=BB256_12 Depth=1
	s_or_b32 exec_lo, exec_lo, s44
	s_delay_alu instid0(VALU_DEP_1) | instskip(NEXT) | instid1(VALU_DEP_2)
	v_dual_lshlrev_b32 v4, 8, v71 :: v_dual_lshlrev_b32 v69, 23, v69
	v_lshl_add_u32 v71, v72, 10, 0x2000
	s_delay_alu instid0(VALU_DEP_1) | instskip(NEXT) | instid1(VALU_DEP_1)
	v_and_or_b32 v4, 0x8000, v4, v71
	v_lshl_or_b32 v69, v4, 16, v69
.LBB256_383:                            ;   in Loop: Header=BB256_12 Depth=1
	s_or_b32 exec_lo, exec_lo, s43
.LBB256_384:                            ;   in Loop: Header=BB256_12 Depth=1
	s_delay_alu instid0(SALU_CYCLE_1)
	s_or_b32 exec_lo, exec_lo, s42
.LBB256_385:                            ;   in Loop: Header=BB256_12 Depth=1
	s_delay_alu instid0(SALU_CYCLE_1) | instskip(SKIP_3) | instid1(VALU_DEP_2)
	s_or_b32 exec_lo, exec_lo, s41
	v_dual_mov_b32 v71, 0 :: v_dual_lshrrev_b32 v4, 16, v14
	v_mov_b32_e32 v72, 0
	s_mov_b32 s41, exec_lo
	v_and_b32_e32 v73, 0xff, v4
	s_delay_alu instid0(VALU_DEP_1)
	v_cmpx_ne_u16_e32 0, v73
	s_cbranch_execz .LBB256_393
; %bb.386:                              ;   in Loop: Header=BB256_12 Depth=1
	v_mov_b32_e32 v72, 0x8000
	s_mov_b32 s42, exec_lo
	v_cmpx_ne_u16_e32 0x80, v73
	s_cbranch_execz .LBB256_392
; %bb.387:                              ;   in Loop: Header=BB256_12 Depth=1
	v_bfe_u32 v74, v14, 16, 7
	v_mov_b32_e32 v72, 0x7c01
	s_mov_b32 s43, exec_lo
	s_delay_alu instid0(VALU_DEP_2)
	v_cmpx_ne_u32_e32 0x7f, v74
	s_cbranch_execz .LBB256_391
; %bb.388:                              ;   in Loop: Header=BB256_12 Depth=1
	v_dual_lshrrev_b32 v73, 3, v74 :: v_dual_bitop2_b32 v72, 7, v4 bitop3:0x40
	s_mov_b32 s44, exec_lo
	v_cmpx_gt_u32_e32 8, v74
; %bb.389:                              ;   in Loop: Header=BB256_12 Depth=1
	s_delay_alu instid0(VALU_DEP_2) | instskip(NEXT) | instid1(VALU_DEP_1)
	v_clz_i32_u32_e32 v72, v72
	v_min_u32_e32 v74, 32, v72
	s_delay_alu instid0(VALU_DEP_1) | instskip(NEXT) | instid1(VALU_DEP_1)
	v_subrev_nc_u32_e32 v72, 28, v74
	v_lshlrev_b64_e32 v[72:73], v72, v[4:5]
	s_delay_alu instid0(VALU_DEP_1)
	v_dual_sub_nc_u32 v73, 29, v74 :: v_dual_bitop2_b32 v72, 7, v72 bitop3:0x40
; %bb.390:                              ;   in Loop: Header=BB256_12 Depth=1
	s_or_b32 exec_lo, exec_lo, s44
	v_lshlrev_b32_e32 v4, 8, v4
	s_delay_alu instid0(VALU_DEP_2) | instskip(NEXT) | instid1(VALU_DEP_3)
	v_lshl_add_u32 v73, v73, 10, 0x2000
	v_lshlrev_b32_e32 v72, 7, v72
	s_delay_alu instid0(VALU_DEP_3) | instskip(NEXT) | instid1(VALU_DEP_3)
	v_and_b32_e32 v4, 0x8000, v4
	v_and_b32_e32 v73, 0xfc00, v73
	s_delay_alu instid0(VALU_DEP_1)
	v_or3_b32 v72, v4, v73, v72
.LBB256_391:                            ;   in Loop: Header=BB256_12 Depth=1
	s_or_b32 exec_lo, exec_lo, s43
.LBB256_392:                            ;   in Loop: Header=BB256_12 Depth=1
	s_delay_alu instid0(SALU_CYCLE_1)
	s_or_b32 exec_lo, exec_lo, s42
.LBB256_393:                            ;   in Loop: Header=BB256_12 Depth=1
	s_delay_alu instid0(SALU_CYCLE_1) | instskip(NEXT) | instid1(SALU_CYCLE_1)
	s_or_b32 exec_lo, exec_lo, s41
	s_mov_b32 s41, exec_lo
	v_cmpx_lt_u32_e32 0xffffff, v14
	s_cbranch_execz .LBB256_401
; %bb.394:                              ;   in Loop: Header=BB256_12 Depth=1
	v_lshrrev_b32_e32 v4, 24, v14
	v_bfrev_b32_e32 v71, 1
	s_mov_b32 s42, exec_lo
	s_delay_alu instid0(VALU_DEP_2)
	v_cmpx_ne_u32_e32 0x80, v4
	s_cbranch_execz .LBB256_400
; %bb.395:                              ;   in Loop: Header=BB256_12 Depth=1
	v_and_b32_e32 v73, 0x7f, v4
	v_mov_b32_e32 v71, 0x7c010000
	s_mov_b32 s43, exec_lo
	s_delay_alu instid0(VALU_DEP_2)
	v_cmpx_ne_u32_e32 0x7f, v73
	s_cbranch_execz .LBB256_399
; %bb.396:                              ;   in Loop: Header=BB256_12 Depth=1
	v_dual_lshrrev_b32 v71, 3, v73 :: v_dual_bitop2_b32 v14, 7, v4 bitop3:0x40
	s_mov_b32 s44, exec_lo
	v_cmpx_gt_u32_e32 8, v73
; %bb.397:                              ;   in Loop: Header=BB256_12 Depth=1
	s_delay_alu instid0(VALU_DEP_2) | instskip(NEXT) | instid1(VALU_DEP_1)
	v_clz_i32_u32_e32 v14, v14
	v_min_u32_e32 v14, 32, v14
	s_delay_alu instid0(VALU_DEP_1) | instskip(NEXT) | instid1(VALU_DEP_1)
	v_subrev_nc_u32_e32 v71, 28, v14
	v_lshlrev_b64_e32 v[74:75], v71, v[4:5]
	v_sub_nc_u32_e32 v71, 29, v14
	s_delay_alu instid0(VALU_DEP_2)
	v_and_b32_e32 v14, 7, v74
; %bb.398:                              ;   in Loop: Header=BB256_12 Depth=1
	s_or_b32 exec_lo, exec_lo, s44
	s_delay_alu instid0(VALU_DEP_1) | instskip(NEXT) | instid1(VALU_DEP_3)
	v_dual_lshlrev_b32 v4, 8, v4 :: v_dual_lshlrev_b32 v14, 23, v14
	v_lshl_add_u32 v71, v71, 10, 0x2000
	s_delay_alu instid0(VALU_DEP_1) | instskip(NEXT) | instid1(VALU_DEP_1)
	v_and_or_b32 v4, 0x8000, v4, v71
	v_lshl_or_b32 v71, v4, 16, v14
.LBB256_399:                            ;   in Loop: Header=BB256_12 Depth=1
	s_or_b32 exec_lo, exec_lo, s43
.LBB256_400:                            ;   in Loop: Header=BB256_12 Depth=1
	s_delay_alu instid0(SALU_CYCLE_1)
	s_or_b32 exec_lo, exec_lo, s42
.LBB256_401:                            ;   in Loop: Header=BB256_12 Depth=1
	s_delay_alu instid0(SALU_CYCLE_1)
	s_or_b32 exec_lo, exec_lo, s41
	global_load_b32 v14, v[12:13], off offset:1536
	v_dual_mov_b32 v73, 0 :: v_dual_mov_b32 v74, 0
	s_mov_b32 s41, exec_lo
	s_wait_loadcnt 0x0
	v_and_b32_e32 v4, 0xff, v14
	s_delay_alu instid0(VALU_DEP_1)
	v_cmpx_ne_u16_e32 0, v4
	s_cbranch_execz .LBB256_409
; %bb.402:                              ;   in Loop: Header=BB256_12 Depth=1
	v_mov_b32_e32 v74, 0x8000
	s_mov_b32 s42, exec_lo
	v_cmpx_ne_u16_e32 0x80, v4
	s_cbranch_execz .LBB256_408
; %bb.403:                              ;   in Loop: Header=BB256_12 Depth=1
	v_and_b32_e32 v75, 0x7f, v14
	v_mov_b32_e32 v74, 0x7c01
	s_mov_b32 s43, exec_lo
	s_delay_alu instid0(VALU_DEP_2)
	v_cmpx_ne_u32_e32 0x7f, v75
	s_cbranch_execz .LBB256_407
; %bb.404:                              ;   in Loop: Header=BB256_12 Depth=1
	v_dual_lshrrev_b32 v74, 3, v75 :: v_dual_bitop2_b32 v4, 7, v14 bitop3:0x40
	s_mov_b32 s44, exec_lo
	v_cmpx_gt_u32_e32 8, v75
; %bb.405:                              ;   in Loop: Header=BB256_12 Depth=1
	s_delay_alu instid0(VALU_DEP_2) | instskip(NEXT) | instid1(VALU_DEP_1)
	v_clz_i32_u32_e32 v4, v4
	v_min_u32_e32 v4, 32, v4
	s_delay_alu instid0(VALU_DEP_1) | instskip(NEXT) | instid1(VALU_DEP_1)
	v_subrev_nc_u32_e32 v74, 28, v4
	v_lshlrev_b64_e32 v[76:77], v74, v[14:15]
	v_sub_nc_u32_e32 v74, 29, v4
	s_delay_alu instid0(VALU_DEP_2)
	v_and_b32_e32 v4, 7, v76
; %bb.406:                              ;   in Loop: Header=BB256_12 Depth=1
	s_or_b32 exec_lo, exec_lo, s44
	s_delay_alu instid0(VALU_DEP_1) | instskip(NEXT) | instid1(VALU_DEP_3)
	v_dual_lshlrev_b32 v75, 8, v14 :: v_dual_lshlrev_b32 v4, 7, v4
	v_lshl_add_u32 v74, v74, 10, 0x2000
	s_delay_alu instid0(VALU_DEP_2) | instskip(NEXT) | instid1(VALU_DEP_2)
	v_and_b32_e32 v75, 0x8000, v75
	v_and_b32_e32 v74, 0xfc00, v74
	s_delay_alu instid0(VALU_DEP_1)
	v_or3_b32 v74, v75, v74, v4
.LBB256_407:                            ;   in Loop: Header=BB256_12 Depth=1
	s_or_b32 exec_lo, exec_lo, s43
.LBB256_408:                            ;   in Loop: Header=BB256_12 Depth=1
	s_delay_alu instid0(SALU_CYCLE_1)
	s_or_b32 exec_lo, exec_lo, s42
.LBB256_409:                            ;   in Loop: Header=BB256_12 Depth=1
	s_delay_alu instid0(SALU_CYCLE_1) | instskip(SKIP_2) | instid1(VALU_DEP_1)
	s_or_b32 exec_lo, exec_lo, s41
	v_lshrrev_b16 v4, 8, v14
	s_mov_b32 s41, exec_lo
	v_cmpx_ne_u16_e32 0, v4
	s_cbranch_execz .LBB256_417
; %bb.410:                              ;   in Loop: Header=BB256_12 Depth=1
	v_bfrev_b32_e32 v73, 1
	s_mov_b32 s42, exec_lo
	v_cmpx_ne_u16_e32 0x80, v4
	s_cbranch_execz .LBB256_416
; %bb.411:                              ;   in Loop: Header=BB256_12 Depth=1
	v_and_b32_e32 v75, 0xffff, v4
	v_mov_b32_e32 v73, 0x7c010000
	s_mov_b32 s43, exec_lo
	s_delay_alu instid0(VALU_DEP_2) | instskip(NEXT) | instid1(VALU_DEP_1)
	v_and_b32_e32 v77, 0x7f, v75
	v_cmpx_ne_u32_e32 0x7f, v77
	s_cbranch_execz .LBB256_415
; %bb.412:                              ;   in Loop: Header=BB256_12 Depth=1
	v_dual_lshrrev_b32 v76, 3, v77 :: v_dual_bitop2_b32 v73, 7, v75 bitop3:0x40
	s_mov_b32 s44, exec_lo
	v_cmpx_gt_u32_e32 8, v77
; %bb.413:                              ;   in Loop: Header=BB256_12 Depth=1
	s_delay_alu instid0(VALU_DEP_2) | instskip(NEXT) | instid1(VALU_DEP_1)
	v_clz_i32_u32_e32 v73, v73
	v_min_u32_e32 v73, 32, v73
	s_delay_alu instid0(VALU_DEP_1) | instskip(NEXT) | instid1(VALU_DEP_1)
	v_subrev_nc_u32_e32 v76, 28, v73
	v_lshlrev_b64_e32 v[78:79], v76, v[4:5]
	s_delay_alu instid0(VALU_DEP_1)
	v_dual_sub_nc_u32 v76, 29, v73 :: v_dual_bitop2_b32 v73, 7, v78 bitop3:0x40
; %bb.414:                              ;   in Loop: Header=BB256_12 Depth=1
	s_or_b32 exec_lo, exec_lo, s44
	s_delay_alu instid0(VALU_DEP_1) | instskip(NEXT) | instid1(VALU_DEP_2)
	v_dual_lshlrev_b32 v4, 8, v75 :: v_dual_lshlrev_b32 v73, 23, v73
	v_lshl_add_u32 v75, v76, 10, 0x2000
	s_delay_alu instid0(VALU_DEP_1) | instskip(NEXT) | instid1(VALU_DEP_1)
	v_and_or_b32 v4, 0x8000, v4, v75
	v_lshl_or_b32 v73, v4, 16, v73
.LBB256_415:                            ;   in Loop: Header=BB256_12 Depth=1
	s_or_b32 exec_lo, exec_lo, s43
.LBB256_416:                            ;   in Loop: Header=BB256_12 Depth=1
	s_delay_alu instid0(SALU_CYCLE_1)
	s_or_b32 exec_lo, exec_lo, s42
.LBB256_417:                            ;   in Loop: Header=BB256_12 Depth=1
	s_delay_alu instid0(SALU_CYCLE_1) | instskip(SKIP_3) | instid1(VALU_DEP_2)
	s_or_b32 exec_lo, exec_lo, s41
	v_dual_mov_b32 v75, 0 :: v_dual_lshrrev_b32 v4, 16, v14
	v_mov_b32_e32 v76, 0
	s_mov_b32 s41, exec_lo
	v_and_b32_e32 v77, 0xff, v4
	s_delay_alu instid0(VALU_DEP_1)
	v_cmpx_ne_u16_e32 0, v77
	s_cbranch_execz .LBB256_425
; %bb.418:                              ;   in Loop: Header=BB256_12 Depth=1
	v_mov_b32_e32 v76, 0x8000
	s_mov_b32 s42, exec_lo
	v_cmpx_ne_u16_e32 0x80, v77
	s_cbranch_execz .LBB256_424
; %bb.419:                              ;   in Loop: Header=BB256_12 Depth=1
	v_bfe_u32 v78, v14, 16, 7
	v_mov_b32_e32 v76, 0x7c01
	s_mov_b32 s43, exec_lo
	s_delay_alu instid0(VALU_DEP_2)
	v_cmpx_ne_u32_e32 0x7f, v78
	s_cbranch_execz .LBB256_423
; %bb.420:                              ;   in Loop: Header=BB256_12 Depth=1
	v_dual_lshrrev_b32 v77, 3, v78 :: v_dual_bitop2_b32 v76, 7, v4 bitop3:0x40
	s_mov_b32 s44, exec_lo
	v_cmpx_gt_u32_e32 8, v78
; %bb.421:                              ;   in Loop: Header=BB256_12 Depth=1
	s_delay_alu instid0(VALU_DEP_2) | instskip(NEXT) | instid1(VALU_DEP_1)
	v_clz_i32_u32_e32 v76, v76
	v_min_u32_e32 v78, 32, v76
	s_delay_alu instid0(VALU_DEP_1) | instskip(NEXT) | instid1(VALU_DEP_1)
	v_subrev_nc_u32_e32 v76, 28, v78
	v_lshlrev_b64_e32 v[76:77], v76, v[4:5]
	s_delay_alu instid0(VALU_DEP_1)
	v_dual_sub_nc_u32 v77, 29, v78 :: v_dual_bitop2_b32 v76, 7, v76 bitop3:0x40
; %bb.422:                              ;   in Loop: Header=BB256_12 Depth=1
	s_or_b32 exec_lo, exec_lo, s44
	v_lshlrev_b32_e32 v4, 8, v4
	s_delay_alu instid0(VALU_DEP_2) | instskip(NEXT) | instid1(VALU_DEP_3)
	v_lshl_add_u32 v77, v77, 10, 0x2000
	v_lshlrev_b32_e32 v76, 7, v76
	s_delay_alu instid0(VALU_DEP_3) | instskip(NEXT) | instid1(VALU_DEP_3)
	v_and_b32_e32 v4, 0x8000, v4
	v_and_b32_e32 v77, 0xfc00, v77
	s_delay_alu instid0(VALU_DEP_1)
	v_or3_b32 v76, v4, v77, v76
.LBB256_423:                            ;   in Loop: Header=BB256_12 Depth=1
	s_or_b32 exec_lo, exec_lo, s43
.LBB256_424:                            ;   in Loop: Header=BB256_12 Depth=1
	s_delay_alu instid0(SALU_CYCLE_1)
	s_or_b32 exec_lo, exec_lo, s42
.LBB256_425:                            ;   in Loop: Header=BB256_12 Depth=1
	s_delay_alu instid0(SALU_CYCLE_1) | instskip(NEXT) | instid1(SALU_CYCLE_1)
	s_or_b32 exec_lo, exec_lo, s41
	s_mov_b32 s41, exec_lo
	v_cmpx_lt_u32_e32 0xffffff, v14
	s_cbranch_execz .LBB256_433
; %bb.426:                              ;   in Loop: Header=BB256_12 Depth=1
	v_lshrrev_b32_e32 v4, 24, v14
	v_bfrev_b32_e32 v75, 1
	s_mov_b32 s42, exec_lo
	s_delay_alu instid0(VALU_DEP_2)
	v_cmpx_ne_u32_e32 0x80, v4
	s_cbranch_execz .LBB256_432
; %bb.427:                              ;   in Loop: Header=BB256_12 Depth=1
	v_and_b32_e32 v77, 0x7f, v4
	v_mov_b32_e32 v75, 0x7c010000
	s_mov_b32 s43, exec_lo
	s_delay_alu instid0(VALU_DEP_2)
	v_cmpx_ne_u32_e32 0x7f, v77
	s_cbranch_execz .LBB256_431
; %bb.428:                              ;   in Loop: Header=BB256_12 Depth=1
	v_dual_lshrrev_b32 v75, 3, v77 :: v_dual_bitop2_b32 v14, 7, v4 bitop3:0x40
	s_mov_b32 s44, exec_lo
	v_cmpx_gt_u32_e32 8, v77
; %bb.429:                              ;   in Loop: Header=BB256_12 Depth=1
	s_delay_alu instid0(VALU_DEP_2) | instskip(NEXT) | instid1(VALU_DEP_1)
	v_clz_i32_u32_e32 v14, v14
	v_min_u32_e32 v14, 32, v14
	s_delay_alu instid0(VALU_DEP_1) | instskip(NEXT) | instid1(VALU_DEP_1)
	v_subrev_nc_u32_e32 v75, 28, v14
	v_lshlrev_b64_e32 v[78:79], v75, v[4:5]
	v_sub_nc_u32_e32 v75, 29, v14
	s_delay_alu instid0(VALU_DEP_2)
	v_and_b32_e32 v14, 7, v78
; %bb.430:                              ;   in Loop: Header=BB256_12 Depth=1
	s_or_b32 exec_lo, exec_lo, s44
	s_delay_alu instid0(VALU_DEP_1) | instskip(NEXT) | instid1(VALU_DEP_3)
	v_dual_lshlrev_b32 v4, 8, v4 :: v_dual_lshlrev_b32 v14, 23, v14
	v_lshl_add_u32 v75, v75, 10, 0x2000
	s_delay_alu instid0(VALU_DEP_1) | instskip(NEXT) | instid1(VALU_DEP_1)
	v_and_or_b32 v4, 0x8000, v4, v75
	v_lshl_or_b32 v75, v4, 16, v14
.LBB256_431:                            ;   in Loop: Header=BB256_12 Depth=1
	s_or_b32 exec_lo, exec_lo, s43
.LBB256_432:                            ;   in Loop: Header=BB256_12 Depth=1
	s_delay_alu instid0(SALU_CYCLE_1)
	s_or_b32 exec_lo, exec_lo, s42
.LBB256_433:                            ;   in Loop: Header=BB256_12 Depth=1
	s_delay_alu instid0(SALU_CYCLE_1)
	s_or_b32 exec_lo, exec_lo, s41
	global_load_b32 v12, v[12:13], off offset:1544
	v_dual_mov_b32 v14, 0 :: v_dual_mov_b32 v77, 0
	s_mov_b32 s41, exec_lo
	s_wait_loadcnt 0x0
	v_and_b32_e32 v4, 0xff, v12
	s_delay_alu instid0(VALU_DEP_1)
	v_cmpx_ne_u16_e32 0, v4
	s_cbranch_execz .LBB256_441
; %bb.434:                              ;   in Loop: Header=BB256_12 Depth=1
	v_mov_b32_e32 v77, 0x8000
	s_mov_b32 s42, exec_lo
	v_cmpx_ne_u16_e32 0x80, v4
	s_cbranch_execz .LBB256_440
; %bb.435:                              ;   in Loop: Header=BB256_12 Depth=1
	v_and_b32_e32 v78, 0x7f, v12
	v_mov_b32_e32 v77, 0x7c01
	s_mov_b32 s43, exec_lo
	s_delay_alu instid0(VALU_DEP_2)
	v_cmpx_ne_u32_e32 0x7f, v78
	s_cbranch_execz .LBB256_439
; %bb.436:                              ;   in Loop: Header=BB256_12 Depth=1
	v_dual_lshrrev_b32 v13, 3, v78 :: v_dual_bitop2_b32 v4, 7, v12 bitop3:0x40
	s_mov_b32 s44, exec_lo
	v_cmpx_gt_u32_e32 8, v78
; %bb.437:                              ;   in Loop: Header=BB256_12 Depth=1
	s_delay_alu instid0(VALU_DEP_2) | instskip(NEXT) | instid1(VALU_DEP_1)
	v_clz_i32_u32_e32 v4, v4
	v_min_u32_e32 v4, 32, v4
	s_delay_alu instid0(VALU_DEP_1) | instskip(NEXT) | instid1(VALU_DEP_1)
	v_subrev_nc_u32_e32 v13, 28, v4
	v_lshlrev_b64_e32 v[78:79], v13, v[12:13]
	s_delay_alu instid0(VALU_DEP_1)
	v_dual_sub_nc_u32 v13, 29, v4 :: v_dual_bitop2_b32 v4, 7, v78 bitop3:0x40
; %bb.438:                              ;   in Loop: Header=BB256_12 Depth=1
	s_or_b32 exec_lo, exec_lo, s44
	v_lshlrev_b32_e32 v77, 8, v12
	s_delay_alu instid0(VALU_DEP_2) | instskip(NEXT) | instid1(VALU_DEP_3)
	v_lshl_add_u32 v13, v13, 10, 0x2000
	v_lshlrev_b32_e32 v4, 7, v4
	s_delay_alu instid0(VALU_DEP_3) | instskip(NEXT) | instid1(VALU_DEP_3)
	v_and_b32_e32 v77, 0x8000, v77
	v_and_b32_e32 v13, 0xfc00, v13
	s_delay_alu instid0(VALU_DEP_1)
	v_or3_b32 v77, v77, v13, v4
.LBB256_439:                            ;   in Loop: Header=BB256_12 Depth=1
	s_or_b32 exec_lo, exec_lo, s43
.LBB256_440:                            ;   in Loop: Header=BB256_12 Depth=1
	s_delay_alu instid0(SALU_CYCLE_1)
	s_or_b32 exec_lo, exec_lo, s42
.LBB256_441:                            ;   in Loop: Header=BB256_12 Depth=1
	s_delay_alu instid0(SALU_CYCLE_1) | instskip(SKIP_2) | instid1(VALU_DEP_1)
	s_or_b32 exec_lo, exec_lo, s41
	v_lshrrev_b16 v4, 8, v12
	s_mov_b32 s41, exec_lo
	v_cmpx_ne_u16_e32 0, v4
	s_cbranch_execz .LBB256_449
; %bb.442:                              ;   in Loop: Header=BB256_12 Depth=1
	v_bfrev_b32_e32 v14, 1
	s_mov_b32 s42, exec_lo
	v_cmpx_ne_u16_e32 0x80, v4
	s_cbranch_execz .LBB256_448
; %bb.443:                              ;   in Loop: Header=BB256_12 Depth=1
	v_and_b32_e32 v13, 0xffff, v4
	v_mov_b32_e32 v14, 0x7c010000
	s_mov_b32 s43, exec_lo
	s_delay_alu instid0(VALU_DEP_2) | instskip(NEXT) | instid1(VALU_DEP_1)
	v_and_b32_e32 v79, 0x7f, v13
	v_cmpx_ne_u32_e32 0x7f, v79
	s_cbranch_execz .LBB256_447
; %bb.444:                              ;   in Loop: Header=BB256_12 Depth=1
	v_dual_lshrrev_b32 v78, 3, v79 :: v_dual_bitop2_b32 v14, 7, v13 bitop3:0x40
	s_mov_b32 s44, exec_lo
	v_cmpx_gt_u32_e32 8, v79
; %bb.445:                              ;   in Loop: Header=BB256_12 Depth=1
	s_delay_alu instid0(VALU_DEP_2) | instskip(NEXT) | instid1(VALU_DEP_1)
	v_clz_i32_u32_e32 v14, v14
	v_min_u32_e32 v14, 32, v14
	s_delay_alu instid0(VALU_DEP_1) | instskip(NEXT) | instid1(VALU_DEP_1)
	v_subrev_nc_u32_e32 v78, 28, v14
	v_lshlrev_b64_e32 v[80:81], v78, v[4:5]
	s_delay_alu instid0(VALU_DEP_1)
	v_dual_sub_nc_u32 v78, 29, v14 :: v_dual_bitop2_b32 v14, 7, v80 bitop3:0x40
; %bb.446:                              ;   in Loop: Header=BB256_12 Depth=1
	s_or_b32 exec_lo, exec_lo, s44
	v_lshlrev_b32_e32 v4, 8, v13
	s_delay_alu instid0(VALU_DEP_2) | instskip(NEXT) | instid1(VALU_DEP_1)
	v_lshl_add_u32 v13, v78, 10, 0x2000
	v_and_or_b32 v4, 0x8000, v4, v13
	v_lshlrev_b32_e32 v13, 23, v14
	s_delay_alu instid0(VALU_DEP_1)
	v_lshl_or_b32 v14, v4, 16, v13
.LBB256_447:                            ;   in Loop: Header=BB256_12 Depth=1
	s_or_b32 exec_lo, exec_lo, s43
.LBB256_448:                            ;   in Loop: Header=BB256_12 Depth=1
	s_delay_alu instid0(SALU_CYCLE_1)
	s_or_b32 exec_lo, exec_lo, s42
.LBB256_449:                            ;   in Loop: Header=BB256_12 Depth=1
	s_delay_alu instid0(SALU_CYCLE_1) | instskip(SKIP_3) | instid1(VALU_DEP_2)
	s_or_b32 exec_lo, exec_lo, s41
	v_dual_lshrrev_b32 v4, 16, v12 :: v_dual_mov_b32 v78, 0
	v_mov_b32_e32 v79, 0
	s_mov_b32 s41, exec_lo
	v_and_b32_e32 v13, 0xff, v4
	s_delay_alu instid0(VALU_DEP_1)
	v_cmpx_ne_u16_e32 0, v13
	s_cbranch_execz .LBB256_457
; %bb.450:                              ;   in Loop: Header=BB256_12 Depth=1
	v_mov_b32_e32 v79, 0x8000
	s_mov_b32 s42, exec_lo
	v_cmpx_ne_u16_e32 0x80, v13
	s_cbranch_execz .LBB256_456
; %bb.451:                              ;   in Loop: Header=BB256_12 Depth=1
	v_bfe_u32 v80, v12, 16, 7
	v_mov_b32_e32 v79, 0x7c01
	s_mov_b32 s43, exec_lo
	s_delay_alu instid0(VALU_DEP_2)
	v_cmpx_ne_u32_e32 0x7f, v80
	s_cbranch_execz .LBB256_455
; %bb.452:                              ;   in Loop: Header=BB256_12 Depth=1
	v_and_b32_e32 v13, 7, v4
	v_lshrrev_b32_e32 v79, 3, v80
	s_mov_b32 s44, exec_lo
	v_cmpx_gt_u32_e32 8, v80
; %bb.453:                              ;   in Loop: Header=BB256_12 Depth=1
	s_delay_alu instid0(VALU_DEP_3) | instskip(NEXT) | instid1(VALU_DEP_1)
	v_clz_i32_u32_e32 v13, v13
	v_min_u32_e32 v13, 32, v13
	s_delay_alu instid0(VALU_DEP_1) | instskip(NEXT) | instid1(VALU_DEP_1)
	v_subrev_nc_u32_e32 v79, 28, v13
	v_lshlrev_b64_e32 v[80:81], v79, v[4:5]
	s_delay_alu instid0(VALU_DEP_1)
	v_dual_sub_nc_u32 v79, 29, v13 :: v_dual_bitop2_b32 v13, 7, v80 bitop3:0x40
; %bb.454:                              ;   in Loop: Header=BB256_12 Depth=1
	s_or_b32 exec_lo, exec_lo, s44
	s_delay_alu instid0(VALU_DEP_1) | instskip(NEXT) | instid1(VALU_DEP_2)
	v_dual_lshlrev_b32 v4, 8, v4 :: v_dual_lshlrev_b32 v13, 7, v13
	v_lshl_add_u32 v79, v79, 10, 0x2000
	s_delay_alu instid0(VALU_DEP_2) | instskip(NEXT) | instid1(VALU_DEP_2)
	v_and_b32_e32 v4, 0x8000, v4
	v_and_b32_e32 v79, 0xfc00, v79
	s_delay_alu instid0(VALU_DEP_1)
	v_or3_b32 v79, v4, v79, v13
.LBB256_455:                            ;   in Loop: Header=BB256_12 Depth=1
	s_or_b32 exec_lo, exec_lo, s43
.LBB256_456:                            ;   in Loop: Header=BB256_12 Depth=1
	s_delay_alu instid0(SALU_CYCLE_1)
	s_or_b32 exec_lo, exec_lo, s42
.LBB256_457:                            ;   in Loop: Header=BB256_12 Depth=1
	s_delay_alu instid0(SALU_CYCLE_1) | instskip(NEXT) | instid1(SALU_CYCLE_1)
	s_or_b32 exec_lo, exec_lo, s41
	s_mov_b32 s41, exec_lo
	v_cmpx_lt_u32_e32 0xffffff, v12
	s_cbranch_execz .LBB256_465
; %bb.458:                              ;   in Loop: Header=BB256_12 Depth=1
	v_lshrrev_b32_e32 v4, 24, v12
	v_bfrev_b32_e32 v78, 1
	s_mov_b32 s42, exec_lo
	s_delay_alu instid0(VALU_DEP_2)
	v_cmpx_ne_u32_e32 0x80, v4
	s_cbranch_execz .LBB256_464
; %bb.459:                              ;   in Loop: Header=BB256_12 Depth=1
	v_and_b32_e32 v80, 0x7f, v4
	v_mov_b32_e32 v78, 0x7c010000
	s_mov_b32 s43, exec_lo
	s_delay_alu instid0(VALU_DEP_2)
	v_cmpx_ne_u32_e32 0x7f, v80
	s_cbranch_execz .LBB256_463
; %bb.460:                              ;   in Loop: Header=BB256_12 Depth=1
	v_and_b32_e32 v12, 7, v4
	v_lshrrev_b32_e32 v13, 3, v80
	s_mov_b32 s44, exec_lo
	v_cmpx_gt_u32_e32 8, v80
; %bb.461:                              ;   in Loop: Header=BB256_12 Depth=1
	s_delay_alu instid0(VALU_DEP_3) | instskip(NEXT) | instid1(VALU_DEP_1)
	v_clz_i32_u32_e32 v12, v12
	v_min_u32_e32 v78, 32, v12
	s_delay_alu instid0(VALU_DEP_1) | instskip(NEXT) | instid1(VALU_DEP_1)
	v_subrev_nc_u32_e32 v12, 28, v78
	v_lshlrev_b64_e32 v[12:13], v12, v[4:5]
	s_delay_alu instid0(VALU_DEP_1)
	v_dual_sub_nc_u32 v13, 29, v78 :: v_dual_bitop2_b32 v12, 7, v12 bitop3:0x40
; %bb.462:                              ;   in Loop: Header=BB256_12 Depth=1
	s_or_b32 exec_lo, exec_lo, s44
	v_lshlrev_b32_e32 v4, 8, v4
	s_delay_alu instid0(VALU_DEP_2) | instskip(NEXT) | instid1(VALU_DEP_3)
	v_lshl_add_u32 v13, v13, 10, 0x2000
	v_lshlrev_b32_e32 v12, 23, v12
	s_delay_alu instid0(VALU_DEP_2) | instskip(NEXT) | instid1(VALU_DEP_1)
	v_and_or_b32 v4, 0x8000, v4, v13
	v_lshl_or_b32 v78, v4, 16, v12
.LBB256_463:                            ;   in Loop: Header=BB256_12 Depth=1
	s_or_b32 exec_lo, exec_lo, s43
.LBB256_464:                            ;   in Loop: Header=BB256_12 Depth=1
	s_delay_alu instid0(SALU_CYCLE_1)
	s_or_b32 exec_lo, exec_lo, s42
.LBB256_465:                            ;   in Loop: Header=BB256_12 Depth=1
	s_delay_alu instid0(SALU_CYCLE_1)
	s_or_b32 exec_lo, exec_lo, s41
	ds_load_b64 v[12:13], v16
	v_or_b32_e32 v4, v22, v23
	v_or_b32_e32 v23, v24, v25
	v_fma_mixlo_f16 v22, v7, v22, 0 op_sel:[0,1,0] op_sel_hi:[0,1,0]
	v_fma_mixlo_f16 v24, v7, v24, 0 op_sel:[0,1,0] op_sel_hi:[0,1,0]
	v_or_b32_e32 v54, v53, v54
	v_fma_mixlo_f16 v4, v7, v4, 0 op_sel_hi:[0,1,0]
	v_fma_mixlo_f16 v23, v7, v23, 0 op_sel_hi:[0,1,0]
	v_and_b32_e32 v25, 0xffff, v22
	v_and_b32_e32 v82, 0xffff, v24
	v_fma_mixlo_f16 v53, v7, v53, 0 op_sel:[0,1,0] op_sel_hi:[0,1,0]
	v_and_b32_e32 v24, 0xffff, v4
	v_and_b32_e32 v81, 0xffff, v23
	v_fma_mixlo_f16 v54, v7, v54, 0 op_sel_hi:[0,1,0]
	v_or_b32_e32 v30, v26, v30
	v_fma_mixlo_f16 v26, v7, v26, 0 op_sel:[0,1,0] op_sel_hi:[0,1,0]
	v_and_b32_e32 v104, 0xffff, v53
	v_or_b32_e32 v52, v51, v52
	v_and_b32_e32 v105, 0xffff, v54
	v_fma_mixlo_f16 v30, v7, v30, 0 op_sel_hi:[0,1,0]
	s_wait_dscnt 0x0
	v_and_b32_e32 v4, 0xffff, v12
	v_dual_lshrrev_b32 v12, 16, v12 :: v_dual_lshrrev_b32 v23, 16, v13
	v_and_b32_e32 v13, 0xffff, v13
	;;#ASMSTART
	v_cvt_f32_f16 v4, v4;
	;;#ASMEND
	;;#ASMSTART
	v_cvt_f32_f16 v22, v12;
	;;#ASMEND
	;; [unrolled: 3-line block ×8, first 2 shown]
	ds_load_b64 v[12:13], v16 offset:8
	v_or_b32_e32 v32, v31, v32
	v_fma_mixlo_f16 v31, v7, v31, 0 op_sel:[0,1,0] op_sel_hi:[0,1,0]
	v_and_b32_e32 v83, 0xffff, v26
	v_fma_mixlo_f16 v51, v7, v51, 0 op_sel:[0,1,0] op_sel_hi:[0,1,0]
	v_fma_mixlo_f16 v52, v7, v52, 0 op_sel_hi:[0,1,0]
	s_delay_alu instid0(VALU_DEP_4)
	v_and_b32_e32 v86, 0xffff, v31
	v_and_b32_e32 v31, 0xffff, v30
	s_wait_dscnt 0x0
	v_lshrrev_b32_e32 v87, 16, v13
	v_fma_mixlo_f16 v32, v7, v32, 0 op_sel_hi:[0,1,0]
	v_and_b32_e32 v26, 0xffff, v12
	v_lshrrev_b32_e32 v12, 16, v12
	v_and_b32_e32 v13, 0xffff, v13
	;;#ASMSTART
	v_cvt_f32_f16 v26, v26;
	;;#ASMEND
	v_and_b32_e32 v85, 0xffff, v32
	;;#ASMSTART
	v_cvt_f32_f16 v30, v12;
	;;#ASMEND
	;;#ASMSTART
	v_cvt_f32_f16 v32, v31;
	;;#ASMEND
	;; [unrolled: 3-line block ×7, first 2 shown]
	ds_load_b64 v[12:13], v16 offset:16
	v_or_b32_e32 v34, v33, v34
	v_or_b32_e32 v36, v35, v36
	v_fma_mixlo_f16 v33, v7, v33, 0 op_sel:[0,1,0] op_sel_hi:[0,1,0]
	v_fma_mixlo_f16 v35, v7, v35, 0 op_sel:[0,1,0] op_sel_hi:[0,1,0]
	v_or_b32_e32 v70, v69, v70
	v_fma_mixlo_f16 v69, v7, v69, 0 op_sel:[0,1,0] op_sel_hi:[0,1,0]
	v_mul_f32_e32 v26, v26, v32
	v_and_b32_e32 v87, 0xffff, v33
	v_and_b32_e32 v90, 0xffff, v35
	v_dual_mul_f32 v32, v84, v85 :: v_dual_mul_f32 v31, v31, v86
	v_and_b32_e32 v69, 0xffff, v69
	v_dual_mul_f32 v30, v30, v83 :: v_dual_bitop2_b32 v72, v71, v72 bitop3:0x54
	s_delay_alu instid0(VALU_DEP_3) | instskip(SKIP_1) | instid1(VALU_DEP_3)
	v_dual_fmac_f32 v26, v4, v24 :: v_dual_fmac_f32 v31, v23, v82
	v_fma_mixlo_f16 v71, v7, v71, 0 op_sel:[0,1,0] op_sel_hi:[0,1,0]
	v_fmac_f32_e32 v30, v22, v25
	s_wait_dscnt 0x0
	v_and_b32_e32 v33, 0xffff, v12
	v_lshrrev_b32_e32 v12, 16, v12
	v_fma_mixlo_f16 v34, v7, v34, 0 op_sel_hi:[0,1,0]
	v_lshrrev_b32_e32 v91, 16, v13
	v_fma_mixlo_f16 v36, v7, v36, 0 op_sel_hi:[0,1,0]
	v_and_b32_e32 v13, 0xffff, v13
	;;#ASMSTART
	v_cvt_f32_f16 v33, v33;
	;;#ASMEND
	v_and_b32_e32 v35, 0xffff, v34
	;;#ASMSTART
	v_cvt_f32_f16 v34, v12;
	;;#ASMEND
	;; [unrolled: 4-line block ×3, first 2 shown]
	;;#ASMSTART
	v_cvt_f32_f16 v87, v87;
	;;#ASMEND
	;;#ASMSTART
	v_cvt_f32_f16 v88, v13;
	;;#ASMEND
	;; [unrolled: 3-line block ×5, first 2 shown]
	ds_load_b64 v[12:13], v16 offset:24
	v_or_b32_e32 v38, v37, v38
	v_or_b32_e32 v40, v39, v40
	v_fma_mixlo_f16 v37, v7, v37, 0 op_sel:[0,1,0] op_sel_hi:[0,1,0]
	v_fma_mixlo_f16 v39, v7, v39, 0 op_sel:[0,1,0] op_sel_hi:[0,1,0]
	v_dual_fmac_f32 v32, v80, v81 :: v_dual_fmac_f32 v26, v33, v36
	v_and_b32_e32 v71, 0xffff, v71
	s_delay_alu instid0(VALU_DEP_4) | instskip(NEXT) | instid1(VALU_DEP_4)
	v_and_b32_e32 v91, 0xffff, v37
	v_and_b32_e32 v93, 0xffff, v39
	s_delay_alu instid0(VALU_DEP_4)
	v_dual_fmac_f32 v30, v34, v87 :: v_dual_fmac_f32 v32, v88, v89
	s_wait_dscnt 0x0
	v_and_b32_e32 v37, 0xffff, v12
	v_lshrrev_b32_e32 v12, 16, v12
	v_fma_mixlo_f16 v38, v7, v38, 0 op_sel_hi:[0,1,0]
	v_lshrrev_b32_e32 v95, 16, v13
	v_fma_mixlo_f16 v40, v7, v40, 0 op_sel_hi:[0,1,0]
	v_and_b32_e32 v13, 0xffff, v13
	;;#ASMSTART
	v_cvt_f32_f16 v37, v37;
	;;#ASMEND
	v_and_b32_e32 v39, 0xffff, v38
	;;#ASMSTART
	v_cvt_f32_f16 v38, v12;
	;;#ASMEND
	;; [unrolled: 4-line block ×3, first 2 shown]
	;;#ASMSTART
	v_cvt_f32_f16 v91, v91;
	;;#ASMEND
	;;#ASMSTART
	v_cvt_f32_f16 v92, v13;
	;;#ASMEND
	;; [unrolled: 3-line block ×5, first 2 shown]
	ds_load_b64 v[12:13], v16 offset:32
	v_or_b32_e32 v42, v41, v42
	v_or_b32_e32 v44, v43, v44
	v_fma_mixlo_f16 v41, v7, v41, 0 op_sel:[0,1,0] op_sel_hi:[0,1,0]
	v_fma_mixlo_f16 v43, v7, v43, 0 op_sel:[0,1,0] op_sel_hi:[0,1,0]
	v_dual_fmac_f32 v31, v35, v90 :: v_dual_fmac_f32 v26, v37, v40
	v_dual_fmac_f32 v30, v38, v91 :: v_dual_fmac_f32 v32, v92, v94
	s_delay_alu instid0(VALU_DEP_4) | instskip(NEXT) | instid1(VALU_DEP_4)
	v_and_b32_e32 v95, 0xffff, v41
	v_and_b32_e32 v98, 0xffff, v43
	s_delay_alu instid0(VALU_DEP_4)
	v_fmac_f32_e32 v31, v39, v93
	s_wait_dscnt 0x0
	v_and_b32_e32 v41, 0xffff, v12
	v_lshrrev_b32_e32 v12, 16, v12
	v_fma_mixlo_f16 v42, v7, v42, 0 op_sel_hi:[0,1,0]
	v_lshrrev_b32_e32 v96, 16, v13
	v_fma_mixlo_f16 v44, v7, v44, 0 op_sel_hi:[0,1,0]
	v_and_b32_e32 v13, 0xffff, v13
	;;#ASMSTART
	v_cvt_f32_f16 v41, v41;
	;;#ASMEND
	v_and_b32_e32 v43, 0xffff, v42
	;;#ASMSTART
	v_cvt_f32_f16 v42, v12;
	;;#ASMEND
	;; [unrolled: 4-line block ×3, first 2 shown]
	;;#ASMSTART
	v_cvt_f32_f16 v44, v95;
	;;#ASMEND
	;;#ASMSTART
	v_cvt_f32_f16 v95, v13;
	;;#ASMEND
	;; [unrolled: 3-line block ×5, first 2 shown]
	ds_load_b64 v[12:13], v16 offset:40
	v_or_b32_e32 v46, v45, v46
	v_or_b32_e32 v48, v47, v48
	v_fma_mixlo_f16 v45, v7, v45, 0 op_sel:[0,1,0] op_sel_hi:[0,1,0]
	v_fma_mixlo_f16 v47, v7, v47, 0 op_sel:[0,1,0] op_sel_hi:[0,1,0]
	v_fmac_f32_e32 v26, v41, v43
	v_dual_fmac_f32 v30, v42, v44 :: v_dual_fmac_f32 v32, v95, v97
	s_delay_alu instid0(VALU_DEP_4) | instskip(NEXT) | instid1(VALU_DEP_4)
	v_and_b32_e32 v99, 0xffff, v45
	v_and_b32_e32 v102, 0xffff, v47
	s_wait_dscnt 0x0
	v_and_b32_e32 v45, 0xffff, v12
	v_lshrrev_b32_e32 v12, 16, v12
	v_fma_mixlo_f16 v46, v7, v46, 0 op_sel_hi:[0,1,0]
	v_lshrrev_b32_e32 v100, 16, v13
	v_fma_mixlo_f16 v48, v7, v48, 0 op_sel_hi:[0,1,0]
	v_and_b32_e32 v13, 0xffff, v13
	;;#ASMSTART
	v_cvt_f32_f16 v45, v45;
	;;#ASMEND
	v_and_b32_e32 v47, 0xffff, v46
	;;#ASMSTART
	v_cvt_f32_f16 v46, v12;
	;;#ASMEND
	;; [unrolled: 4-line block ×3, first 2 shown]
	;;#ASMSTART
	v_cvt_f32_f16 v48, v99;
	;;#ASMEND
	;;#ASMSTART
	v_cvt_f32_f16 v99, v13;
	;;#ASMEND
	;; [unrolled: 3-line block ×5, first 2 shown]
	ds_load_b64 v[12:13], v16 offset:48
	v_or_b32_e32 v50, v49, v50
	v_fma_mixlo_f16 v49, v7, v49, 0 op_sel:[0,1,0] op_sel_hi:[0,1,0]
	v_dual_fmac_f32 v30, v46, v48 :: v_dual_fmac_f32 v32, v99, v101
	v_dual_fmac_f32 v31, v96, v98 :: v_dual_fmac_f32 v26, v45, v47
	s_delay_alu instid0(VALU_DEP_3)
	v_and_b32_e32 v103, 0xffff, v49
	s_wait_dscnt 0x0
	v_lshrrev_b32_e32 v53, 16, v12
	v_fma_mixlo_f16 v50, v7, v50, 0 op_sel_hi:[0,1,0]
	v_lshrrev_b32_e32 v54, 16, v13
	v_and_b32_e32 v106, 0xffff, v13
	s_delay_alu instid0(VALU_DEP_3)
	v_and_b32_e32 v49, 0xffff, v50
	v_and_b32_e32 v50, 0xffff, v12
	;;#ASMSTART
	v_cvt_f32_f16 v12, v50;
	;;#ASMEND
	;;#ASMSTART
	v_cvt_f32_f16 v13, v53;
	;;#ASMEND
	;;#ASMSTART
	v_cvt_f32_f16 v49, v49;
	;;#ASMEND
	;;#ASMSTART
	v_cvt_f32_f16 v50, v103;
	;;#ASMEND
	;;#ASMSTART
	v_cvt_f32_f16 v53, v106;
	;;#ASMEND
	;;#ASMSTART
	v_cvt_f32_f16 v54, v54;
	;;#ASMEND
	;;#ASMSTART
	v_cvt_f32_f16 v103, v105;
	;;#ASMEND
	;;#ASMSTART
	v_cvt_f32_f16 v104, v104;
	;;#ASMEND
	ds_load_b64 v[106:107], v16 offset:56
	v_or_b32_e32 v56, v55, v56
	v_fma_mixlo_f16 v55, v7, v55, 0 op_sel:[0,1,0] op_sel_hi:[0,1,0]
	v_and_b32_e32 v105, 0xffff, v51
	v_dual_fmac_f32 v31, v100, v102 :: v_dual_fmac_f32 v32, v53, v103
	v_fmac_f32_e32 v26, v12, v49
	s_delay_alu instid0(VALU_DEP_4)
	v_and_b32_e32 v108, 0xffff, v55
	v_and_b32_e32 v55, 0xffff, v52
	s_wait_dscnt 0x0
	v_dual_fmac_f32 v31, v54, v104 :: v_dual_lshrrev_b32 v52, 16, v106
	v_fma_mixlo_f16 v56, v7, v56, 0 op_sel_hi:[0,1,0]
	v_and_b32_e32 v51, 0xffff, v106
	v_lshrrev_b32_e32 v106, 16, v107
	v_and_b32_e32 v107, 0xffff, v107
	;;#ASMSTART
	v_cvt_f32_f16 v51, v51;
	;;#ASMEND
	v_and_b32_e32 v109, 0xffff, v56
	;;#ASMSTART
	v_cvt_f32_f16 v52, v52;
	;;#ASMEND
	;;#ASMSTART
	v_cvt_f32_f16 v55, v55;
	;;#ASMEND
	;; [unrolled: 3-line block ×7, first 2 shown]
	ds_load_b64 v[110:111], v16 offset:64
	v_or_b32_e32 v58, v57, v58
	v_or_b32_e32 v60, v59, v60
	v_fma_mixlo_f16 v57, v7, v57, 0 op_sel:[0,1,0] op_sel_hi:[0,1,0]
	v_fma_mixlo_f16 v59, v7, v59, 0 op_sel:[0,1,0] op_sel_hi:[0,1,0]
	v_dual_fmac_f32 v30, v13, v50 :: v_dual_fmac_f32 v31, v106, v108
	v_fmac_f32_e32 v32, v105, v107
	s_delay_alu instid0(VALU_DEP_4) | instskip(NEXT) | instid1(VALU_DEP_4)
	v_and_b32_e32 v57, 0xffff, v57
	v_and_b32_e32 v59, 0xffff, v59
	s_wait_dscnt 0x0
	v_dual_fmac_f32 v30, v52, v56 :: v_dual_lshrrev_b32 v112, 16, v111
	v_fma_mixlo_f16 v58, v7, v58, 0 op_sel_hi:[0,1,0]
	v_and_b32_e32 v109, 0xffff, v110
	v_lshrrev_b32_e32 v110, 16, v110
	v_fma_mixlo_f16 v60, v7, v60, 0 op_sel_hi:[0,1,0]
	v_and_b32_e32 v111, 0xffff, v111
	v_and_b32_e32 v58, 0xffff, v58
	;;#ASMSTART
	v_cvt_f32_f16 v109, v109;
	;;#ASMEND
	;;#ASMSTART
	v_cvt_f32_f16 v113, v110;
	;;#ASMEND
	v_and_b32_e32 v60, 0xffff, v60
	;;#ASMSTART
	v_cvt_f32_f16 v114, v58;
	;;#ASMEND
	;;#ASMSTART
	v_cvt_f32_f16 v115, v57;
	;;#ASMEND
	;; [unrolled: 3-line block ×6, first 2 shown]
	ds_load_b64 v[110:111], v16 offset:72
	v_or_b32_e32 v60, v63, v64
	v_or_b32_e32 v59, v61, v62
	v_fma_mixlo_f16 v61, v7, v61, 0 op_sel:[0,1,0] op_sel_hi:[0,1,0]
	v_or_b32_e32 v64, v67, v68
	v_fma_mixlo_f16 v62, v7, v63, 0 op_sel:[0,1,0] op_sel_hi:[0,1,0]
	;; [unrolled: 2-line block ×3, first 2 shown]
	v_and_b32_e32 v61, 0xffff, v61
	v_fmac_f32_e32 v32, v116, v112
	v_and_b32_e32 v62, 0xffff, v62
	v_fmac_f32_e32 v31, v57, v58
	s_wait_dscnt 0x0
	v_lshrrev_b32_e32 v68, 16, v110
	v_fma_mixlo_f16 v60, v7, v60, 0 op_sel_hi:[0,1,0]
	v_and_b32_e32 v66, 0xffff, v110
	v_lshrrev_b32_e32 v110, 16, v111
	v_fma_mixlo_f16 v59, v7, v59, 0 op_sel_hi:[0,1,0]
	v_and_b32_e32 v111, 0xffff, v111
	v_and_b32_e32 v60, 0xffff, v60
	;;#ASMSTART
	v_cvt_f32_f16 v117, v66;
	;;#ASMEND
	;;#ASMSTART
	v_cvt_f32_f16 v118, v68;
	;;#ASMEND
	v_and_b32_e32 v59, 0xffff, v59
	;;#ASMSTART
	v_cvt_f32_f16 v119, v59;
	;;#ASMEND
	;;#ASMSTART
	v_cvt_f32_f16 v120, v61;
	;;#ASMEND
	;; [unrolled: 3-line block ×6, first 2 shown]
	ds_load_b64 v[60:61], v16 offset:80
	v_fma_mixlo_f16 v59, v7, v67, 0 op_sel:[0,1,0] op_sel_hi:[0,1,0]
	v_or_b32_e32 v67, v75, v76
	v_or_b32_e32 v62, v73, v74
	v_fma_mixlo_f16 v68, v7, v75, 0 op_sel:[0,1,0] op_sel_hi:[0,1,0]
	v_and_b32_e32 v74, 0xffff, v65
	v_and_b32_e32 v75, 0xffff, v59
	v_fma_mixlo_f16 v59, v7, v70, 0 op_sel_hi:[0,1,0]
	v_fma_mixlo_f16 v65, v7, v72, 0 op_sel_hi:[0,1,0]
	v_fma_mixlo_f16 v66, v7, v73, 0 op_sel:[0,1,0] op_sel_hi:[0,1,0]
	v_or_b32_e32 v73, v14, v77
	v_fma_mixlo_f16 v62, v7, v62, 0 op_sel_hi:[0,1,0]
	v_and_b32_e32 v4, 0xffff, v59
	v_and_b32_e32 v22, 0xffff, v65
	v_dual_fmac_f32 v30, v113, v115 :: v_dual_fmac_f32 v32, v111, v121
	s_delay_alu instid0(VALU_DEP_4)
	v_and_b32_e32 v12, 0xffff, v62
	v_and_b32_e32 v42, 0xffff, v68
	v_fmac_f32_e32 v31, v110, v122
	v_fma_mixlo_f16 v14, v7, v14, 0 op_sel:[0,1,0] op_sel_hi:[0,1,0]
	s_wait_dscnt 0x0
	v_and_b32_e32 v70, 0xffff, v60
	v_lshrrev_b32_e32 v60, 16, v60
	v_fma_mixlo_f16 v63, v7, v63, 0 op_sel_hi:[0,1,0]
	v_lshrrev_b32_e32 v72, 16, v61
	v_fma_mixlo_f16 v64, v7, v64, 0 op_sel_hi:[0,1,0]
	v_and_b32_e32 v61, 0xffff, v61
	;;#ASMSTART
	v_cvt_f32_f16 v70, v70;
	;;#ASMEND
	v_and_b32_e32 v63, 0xffff, v63
	;;#ASMSTART
	v_cvt_f32_f16 v76, v60;
	;;#ASMEND
	;; [unrolled: 4-line block ×3, first 2 shown]
	;;#ASMSTART
	v_cvt_f32_f16 v74, v74;
	;;#ASMEND
	;;#ASMSTART
	v_cvt_f32_f16 v77, v61;
	;;#ASMEND
	;; [unrolled: 3-line block ×5, first 2 shown]
	ds_load_b64 v[60:61], v16 offset:88
	v_dual_fmac_f32 v30, v118, v120 :: v_dual_fmac_f32 v31, v72, v75
	v_fmac_f32_e32 v32, v77, v64
	v_and_b32_e32 v14, 0xffff, v14
	s_wait_dscnt 0x0
	s_delay_alu instid0(VALU_DEP_3)
	v_dual_fmac_f32 v30, v76, v74 :: v_dual_lshrrev_b32 v24, 16, v60
	v_and_b32_e32 v23, 0xffff, v60
	v_lshrrev_b32_e32 v25, 16, v61
	v_and_b32_e32 v33, 0xffff, v61
	;;#ASMSTART
	v_cvt_f32_f16 v34, v23;
	;;#ASMEND
	;;#ASMSTART
	v_cvt_f32_f16 v35, v24;
	;;#ASMEND
	;; [unrolled: 3-line block ×8, first 2 shown]
	ds_load_b64 v[22:23], v16 offset:96
	v_fmac_f32_e32 v26, v51, v55
	v_fma_mixlo_f16 v4, v7, v67, 0 op_sel_hi:[0,1,0]
	v_dual_fmac_f32 v30, v35, v37 :: v_dual_fmac_f32 v31, v25, v39
	v_fma_mixlo_f16 v24, v7, v73, 0 op_sel_hi:[0,1,0]
	v_fmac_f32_e32 v32, v33, v38
	s_delay_alu instid0(VALU_DEP_4) | instskip(NEXT) | instid1(VALU_DEP_3)
	v_and_b32_e32 v4, 0xffff, v4
	v_and_b32_e32 v24, 0xffff, v24
	s_wait_dscnt 0x0
	v_and_b32_e32 v13, 0xffff, v22
	v_lshrrev_b32_e32 v22, 16, v22
	v_fmac_f32_e32 v26, v109, v114
	;;#ASMSTART
	v_cvt_f32_f16 v40, v13;
	;;#ASMEND
	v_and_b32_e32 v13, 0xffff, v23
	v_lshrrev_b32_e32 v23, 16, v23
	;;#ASMSTART
	v_cvt_f32_f16 v22, v22;
	;;#ASMEND
	;;#ASMSTART
	v_cvt_f32_f16 v41, v12;
	;;#ASMEND
	v_and_b32_e32 v12, 0xffff, v66
	;;#ASMSTART
	v_cvt_f32_f16 v43, v12;
	;;#ASMEND
	;;#ASMSTART
	v_cvt_f32_f16 v44, v13;
	;;#ASMEND
	;; [unrolled: 3-line block ×5, first 2 shown]
	ds_load_b64 v[12:13], v16 offset:104
	v_fmac_f32_e32 v26, v117, v119
	v_or_b32_e32 v4, v78, v79
	v_dual_fmac_f32 v30, v22, v43 :: v_dual_fmac_f32 v32, v44, v45
	s_delay_alu instid0(VALU_DEP_3) | instskip(NEXT) | instid1(VALU_DEP_3)
	v_dual_fmac_f32 v31, v23, v42 :: v_dual_fmac_f32 v26, v70, v63
	v_fma_mixlo_f16 v4, v7, v4, 0 op_sel_hi:[0,1,0]
	v_fma_mixlo_f16 v7, v7, v78, 0 op_sel:[0,1,0] op_sel_hi:[0,1,0]
	s_delay_alu instid0(VALU_DEP_3) | instskip(NEXT) | instid1(VALU_DEP_3)
	v_fmac_f32_e32 v26, v34, v36
	v_and_b32_e32 v4, 0xffff, v4
	s_delay_alu instid0(VALU_DEP_2)
	v_fmac_f32_e32 v26, v40, v41
	s_wait_dscnt 0x0
	v_and_b32_e32 v22, 0xffff, v12
	v_lshrrev_b32_e32 v12, 16, v12
	;;#ASMSTART
	v_cvt_f32_f16 v22, v22;
	;;#ASMEND
	;;#ASMSTART
	v_cvt_f32_f16 v12, v12;
	;;#ASMEND
	;; [unrolled: 3-line block ×4, first 2 shown]
	v_and_b32_e32 v24, 0xffff, v13
	v_dual_fmac_f32 v30, v12, v14 :: v_dual_lshrrev_b32 v13, 16, v13
	;;#ASMSTART
	v_cvt_f32_f16 v12, v24;
	;;#ASMEND
	;;#ASMSTART
	v_cvt_f32_f16 v13, v13;
	;;#ASMEND
	;; [unrolled: 3-line block ×3, first 2 shown]
	v_dual_fmac_f32 v26, v22, v23 :: v_dual_fmac_f32 v32, v12, v4
	v_and_b32_e32 v14, 0xffff, v7
	v_xor_b32_e32 v7, 1, v3
	;;#ASMSTART
	v_cvt_f32_f16 v12, v14;
	;;#ASMEND
	s_delay_alu instid0(VALU_DEP_3) | instskip(NEXT) | instid1(VALU_DEP_2)
	v_dual_add_f32 v4, v26, v30 :: v_dual_fmac_f32 v31, v13, v12
	v_cmp_gt_i32_e64 s4, 32, v7
	s_delay_alu instid0(VALU_DEP_1) | instskip(NEXT) | instid1(VALU_DEP_1)
	v_dual_add_f32 v4, v4, v32 :: v_dual_cndmask_b32 v7, v3, v7, s4
	v_dual_add_f32 v4, v31, v4 :: v_dual_lshlrev_b32 v7, 2, v7
	ds_bpermute_b32 v7, v7, v4
	s_and_saveexec_b32 s41, s3
	s_cbranch_execz .LBB256_10
; %bb.466:                              ;   in Loop: Header=BB256_12 Depth=1
	s_wait_dscnt 0x0
	v_dual_add_nc_u32 v12, v18, v6 :: v_dual_add_f32 v4, v4, v7
	s_delay_alu instid0(VALU_DEP_1) | instskip(NEXT) | instid1(VALU_DEP_1)
	v_cvt_f32_i32_e32 v12, v12
	v_mul_f32_e32 v12, s37, v12
	s_delay_alu instid0(VALU_DEP_1) | instskip(NEXT) | instid1(VALU_DEP_1)
	v_dual_cndmask_b32 v7, 0, v12 :: v_dual_max_num_f32 v12, v17, v17
	v_dual_fmac_f32 v7, s27, v4 :: v_dual_add_nc_u32 v4, v15, v6
	s_delay_alu instid0(VALU_DEP_1) | instskip(NEXT) | instid1(VALU_DEP_1)
	v_cmp_gt_i32_e64 s4, s34, v4
	v_dual_max_num_f32 v12, v12, v7 :: v_dual_cndmask_b32 v4, 0, v7, s4
	s_delay_alu instid0(VALU_DEP_1)
	v_cndmask_b32_e64 v17, v17, v12, s4
	ds_store_b32 v19, v4
	s_branch .LBB256_10
.LBB256_467:
	s_or_b32 exec_lo, exec_lo, s40
.LBB256_468:
	s_delay_alu instid0(SALU_CYCLE_1)
	s_or_b32 exec_lo, exec_lo, s26
	s_wait_dscnt 0x0
	v_dual_max_num_f32 v7, v17, v17 :: v_dual_bitop2_b32 v4, 16, v3 bitop3:0x14
	s_clause 0x1
	s_load_b64 s[4:5], s[0:1], 0x0
	s_load_b64 s[26:27], s[0:1], 0x18
	v_xor_b32_e32 v6, 8, v3
	v_xor_b32_e32 v8, 4, v3
	v_cmp_gt_i32_e32 vcc_lo, 32, v4
	v_and_b32_e32 v30, 31, v0
	v_cndmask_b32_e32 v4, v3, v4, vcc_lo
	v_cmp_gt_i32_e32 vcc_lo, 32, v6
	s_delay_alu instid0(VALU_DEP_2) | instskip(SKIP_4) | instid1(VALU_DEP_1)
	v_dual_cndmask_b32 v6, v3, v6 :: v_dual_lshlrev_b32 v5, 2, v4
	v_cmp_gt_i32_e32 vcc_lo, 32, v8
	ds_bpermute_b32 v4, v5, v17
	s_wait_dscnt 0x0
	v_dual_lshlrev_b32 v6, 2, v6 :: v_dual_max_num_f32 v4, v4, v4
	v_max_num_f32_e32 v4, v7, v4
	ds_bpermute_b32 v7, v6, v4
	s_wait_dscnt 0x0
	v_max_num_f32_e32 v9, v7, v7
	s_delay_alu instid0(VALU_DEP_1) | instskip(NEXT) | instid1(VALU_DEP_1)
	v_dual_cndmask_b32 v8, v3, v8, vcc_lo :: v_dual_max_num_f32 v4, v4, v9
	v_lshlrev_b32_e32 v7, 2, v8
	ds_bpermute_b32 v8, v7, v4
	s_wait_dscnt 0x0
	v_dual_max_num_f32 v8, v8, v8 :: v_dual_bitop2_b32 v9, 2, v3 bitop3:0x14
	s_delay_alu instid0(VALU_DEP_1) | instskip(NEXT) | instid1(VALU_DEP_2)
	v_cmp_gt_i32_e32 vcc_lo, 32, v9
	v_dual_cndmask_b32 v10, v3, v9 :: v_dual_max_num_f32 v9, v4, v8
	v_lshlrev_b32_e32 v8, 2, v29
	v_cmp_eq_u32_e32 vcc_lo, 0, v30
	s_delay_alu instid0(VALU_DEP_3)
	v_lshlrev_b32_e32 v4, 2, v10
	ds_bpermute_b32 v10, v4, v9
	s_wait_xcnt 0x0
	s_and_saveexec_b32 s0, vcc_lo
	s_cbranch_execz .LBB256_470
; %bb.469:
	s_wait_dscnt 0x0
	v_dual_max_num_f32 v10, v10, v10 :: v_dual_max_num_f32 v9, v9, v9
	s_delay_alu instid0(VALU_DEP_1)
	v_max_num_f32_e32 v9, v9, v10
	ds_store_b32 v8, v9 offset:224
.LBB256_470:
	s_or_b32 exec_lo, exec_lo, s0
	v_cmp_gt_u32_e64 s0, 4, v30
	s_wait_dscnt 0x0
	v_dual_mov_b32 v10, 0xff7fffff :: v_dual_lshlrev_b32 v9, 2, v30
	s_barrier_signal -1
	s_barrier_wait -1
	s_and_saveexec_b32 s1, s0
; %bb.471:
	ds_load_b32 v10, v9 offset:224
; %bb.472:
	s_or_b32 exec_lo, exec_lo, s1
	s_wait_dscnt 0x0
	ds_bpermute_b32 v11, v4, v10
	v_dual_max_num_f32 v10, v10, v10 :: v_dual_bitop2_b32 v12, 1, v3 bitop3:0x14
	s_delay_alu instid0(VALU_DEP_1) | instskip(NEXT) | instid1(VALU_DEP_1)
	v_cmp_gt_i32_e64 s1, 32, v12
	v_cndmask_b32_e64 v3, v3, v12, s1
	s_lshl_b32 s1, s12, 4
	s_delay_alu instid0(SALU_CYCLE_1) | instskip(NEXT) | instid1(VALU_DEP_1)
	s_min_i32 s8, s1, s34
	v_lshlrev_b32_e32 v31, 2, v3
	v_cmp_gt_i32_e64 s1, s8, v0
	s_wait_dscnt 0x0
	v_max_num_f32_e32 v11, v11, v11
	s_delay_alu instid0(VALU_DEP_1) | instskip(SKIP_3) | instid1(VALU_DEP_1)
	v_max_num_f32_e32 v3, v10, v11
	ds_bpermute_b32 v10, v31, v3
	s_wait_dscnt 0x0
	v_max_num_f32_e32 v10, v10, v10
	v_dual_max_num_f32 v10, v3, v10 :: v_dual_mov_b32 v3, 0
	ds_bpermute_b32 v10, v3, v10
	s_and_saveexec_b32 s9, s1
	s_cbranch_execz .LBB256_476
; %bb.473:
	v_lshl_add_u32 v11, v0, 2, 0x100
	v_dual_mov_b32 v3, 0 :: v_dual_mov_b32 v12, v0
	s_mov_b32 s19, 0
.LBB256_474:                            ; =>This Inner Loop Header: Depth=1
	ds_load_b32 v13, v11
	v_add_nc_u32_e32 v12, 0x80, v12
	s_delay_alu instid0(VALU_DEP_1) | instskip(SKIP_3) | instid1(VALU_DEP_1)
	v_cmp_le_i32_e64 s3, s8, v12
	s_or_b32 s19, s3, s19
	s_wait_dscnt 0x0
	v_sub_f32_e32 v13, v13, v10
	v_mul_f32_e32 v13, 0x3fb8aa3b, v13
	s_delay_alu instid0(VALU_DEP_1)
	v_exp_f32_e32 v13, v13
	ds_store_b32 v11, v13
	v_nop
	v_add_f32_e32 v3, v3, v13
	v_add_nc_u32_e32 v11, 0x200, v11
	s_and_not1_b32 exec_lo, exec_lo, s19
	s_cbranch_execnz .LBB256_474
; %bb.475:
	s_or_b32 exec_lo, exec_lo, s19
.LBB256_476:
	s_delay_alu instid0(SALU_CYCLE_1)
	s_or_b32 exec_lo, exec_lo, s9
	ds_bpermute_b32 v5, v5, v3
	s_wait_dscnt 0x0
	v_add_f32_e32 v3, v3, v5
	ds_bpermute_b32 v5, v6, v3
	s_wait_dscnt 0x0
	v_add_f32_e32 v3, v3, v5
	;; [unrolled: 3-line block ×5, first 2 shown]
	s_and_saveexec_b32 s3, vcc_lo
; %bb.477:
	ds_store_b32 v8, v3 offset:240
; %bb.478:
	s_or_b32 exec_lo, exec_lo, s3
	s_wait_dscnt 0x0
	s_barrier_signal -1
	s_barrier_wait -1
	s_and_saveexec_b32 s3, s0
; %bb.479:
	ds_load_b32 v3, v9 offset:240
; %bb.480:
	s_or_b32 exec_lo, exec_lo, s3
	s_wait_dscnt 0x0
	ds_bpermute_b32 v4, v4, v3
	s_wait_dscnt 0x0
	v_dual_mov_b32 v5, 0 :: v_dual_add_f32 v3, v3, v4
	ds_bpermute_b32 v4, v31, v3
	s_wait_dscnt 0x0
	v_add_f32_e32 v3, v3, v4
	ds_bpermute_b32 v3, v5, v3
	s_and_saveexec_b32 s0, s1
	s_cbranch_execz .LBB256_493
; %bb.481:
	s_wait_dscnt 0x0
	v_add_f32_e32 v3, 0x358637bd, v3
	s_mov_b32 s3, -1
	s_mov_b32 s1, exec_lo
	s_delay_alu instid0(VALU_DEP_1) | instskip(NEXT) | instid1(VALU_DEP_1)
	v_div_scale_f32 v4, null, v3, v3, 1.0
	v_rcp_f32_e32 v6, v4
	v_nop
	s_delay_alu instid0(TRANS32_DEP_1) | instskip(NEXT) | instid1(VALU_DEP_1)
	v_fma_f32 v7, -v4, v6, 1.0
	v_fmac_f32_e32 v6, v7, v6
	v_div_scale_f32 v8, vcc_lo, 1.0, v3, 1.0
	s_delay_alu instid0(VALU_DEP_1) | instskip(NEXT) | instid1(VALU_DEP_1)
	v_mul_f32_e32 v7, v8, v6
	v_fma_f32 v9, -v4, v7, v8
	s_delay_alu instid0(VALU_DEP_1) | instskip(NEXT) | instid1(VALU_DEP_1)
	v_fmac_f32_e32 v7, v9, v6
	v_fma_f32 v8, -v4, v7, v8
	v_xad_u32 v4, v0, -1, s8
	s_delay_alu instid0(VALU_DEP_2) | instskip(NEXT) | instid1(VALU_DEP_1)
	v_div_fmas_f32 v6, v8, v6, v7
	v_div_fixup_f32 v6, v6, v3, 1.0
	v_mov_b32_e32 v3, v0
	s_delay_alu instid0(VALU_DEP_4)
	v_cmpx_lt_u32_e32 0x7f, v4
	s_cbranch_execz .LBB256_490
; %bb.482:
	s_delay_alu instid0(VALU_DEP_3) | instskip(NEXT) | instid1(VALU_DEP_1)
	v_dual_lshrrev_b32 v3, 7, v4 :: v_dual_mov_b32 v7, v6
	v_dual_mov_b32 v10, 0 :: v_dual_add_nc_u32 v4, -1, v3
	s_delay_alu instid0(VALU_DEP_1) | instskip(SKIP_1) | instid1(VALU_DEP_2)
	v_lshrrev_b32_e32 v8, 1, v4
	v_cmp_lt_u32_e32 vcc_lo, 13, v4
	v_add_nc_u32_e32 v4, 1, v8
	s_and_saveexec_b32 s3, vcc_lo
	s_cbranch_execz .LBB256_486
; %bb.483:
	s_delay_alu instid0(VALU_DEP_1)
	v_and_b32_e32 v8, -8, v4
	v_lshl_add_u32 v9, v0, 2, 0x100
	s_mov_b32 s9, 0
	s_mov_b32 s19, 0
.LBB256_484:                            ; =>This Inner Loop Header: Depth=1
	ds_load_2addr_stride64_b32 v[10:11], v9 offset1:2
	ds_load_2addr_stride64_b32 v[12:13], v9 offset0:4 offset1:6
	ds_load_2addr_stride64_b32 v[14:15], v9 offset0:8 offset1:10
	;; [unrolled: 1-line block ×7, first 2 shown]
	s_add_co_i32 s19, s19, 16
	v_add_nc_u32_e32 v8, -8, v8
	s_wait_dscnt 0x7
	v_pk_mul_f32 v[10:11], v[6:7], v[10:11]
	s_wait_dscnt 0x6
	v_pk_mul_f32 v[12:13], v[6:7], v[12:13]
	;; [unrolled: 2-line block ×8, first 2 shown]
	ds_store_2addr_stride64_b32 v9, v10, v11 offset1:2
	ds_store_2addr_stride64_b32 v9, v12, v13 offset0:4 offset1:6
	ds_store_2addr_stride64_b32 v9, v14, v15 offset0:8 offset1:10
	;; [unrolled: 1-line block ×7, first 2 shown]
	v_mov_b32_e32 v10, s19
	v_cmp_eq_u32_e32 vcc_lo, 0, v8
	v_add_nc_u32_e32 v9, 0x2000, v9
	s_or_b32 s9, vcc_lo, s9
	s_delay_alu instid0(SALU_CYCLE_1)
	s_and_not1_b32 exec_lo, exec_lo, s9
	s_cbranch_execnz .LBB256_484
; %bb.485:
	s_or_b32 exec_lo, exec_lo, s9
.LBB256_486:
	s_delay_alu instid0(SALU_CYCLE_1) | instskip(NEXT) | instid1(VALU_DEP_1)
	s_or_b32 exec_lo, exec_lo, s3
	v_and_b32_e32 v4, 7, v4
	s_mov_b32 s9, 0
	s_mov_b32 s3, exec_lo
	s_delay_alu instid0(VALU_DEP_1)
	v_cmpx_ne_u32_e32 0, v4
	s_cbranch_execz .LBB256_489
; %bb.487:
	v_dual_lshlrev_b32 v8, 9, v10 :: v_dual_lshlrev_b32 v9, 2, v0
	s_delay_alu instid0(VALU_DEP_1)
	v_add3_u32 v8, v8, v9, 0x100
.LBB256_488:                            ; =>This Inner Loop Header: Depth=1
	ds_load_2addr_stride64_b32 v[10:11], v8 offset1:2
	v_add_nc_u32_e32 v4, -1, v4
	s_delay_alu instid0(VALU_DEP_1)
	v_cmp_eq_u32_e32 vcc_lo, 0, v4
	s_or_b32 s9, vcc_lo, s9
	s_wait_dscnt 0x0
	v_pk_mul_f32 v[10:11], v[6:7], v[10:11]
	ds_store_2addr_stride64_b32 v8, v10, v11 offset1:2
	v_add_nc_u32_e32 v8, 0x400, v8
	s_and_not1_b32 exec_lo, exec_lo, s9
	s_cbranch_execnz .LBB256_488
.LBB256_489:
	s_or_b32 exec_lo, exec_lo, s3
	v_add_nc_u32_e32 v3, 1, v3
	s_delay_alu instid0(VALU_DEP_1) | instskip(NEXT) | instid1(VALU_DEP_1)
	v_and_b32_e32 v4, 0x3fffffe, v3
	v_cmp_ne_u32_e32 vcc_lo, v3, v4
	v_lshl_add_u32 v3, v4, 7, v0
	s_or_not1_b32 s3, vcc_lo, exec_lo
.LBB256_490:
	s_or_b32 exec_lo, exec_lo, s1
	s_delay_alu instid0(SALU_CYCLE_1)
	s_and_b32 exec_lo, exec_lo, s3
	s_cbranch_execz .LBB256_493
; %bb.491:
	v_lshl_add_u32 v4, v3, 2, 0x100
	s_mov_b32 s1, 0
.LBB256_492:                            ; =>This Inner Loop Header: Depth=1
	ds_load_b32 v7, v4
	v_add_nc_u32_e32 v3, 0x80, v3
	s_delay_alu instid0(VALU_DEP_1)
	v_cmp_le_i32_e32 vcc_lo, s8, v3
	s_or_b32 s1, vcc_lo, s1
	s_wait_dscnt 0x0
	v_mul_f32_e32 v7, v6, v7
	ds_store_b32 v4, v7
	v_add_nc_u32_e32 v4, 0x200, v4
	s_and_not1_b32 exec_lo, exec_lo, s1
	s_cbranch_execnz .LBB256_492
.LBB256_493:
	s_or_b32 exec_lo, exec_lo, s0
	v_dual_mov_b32 v4, 0 :: v_dual_mov_b32 v7, 0
	v_dual_mov_b32 v6, 0 :: v_dual_mov_b32 v9, 0
	;; [unrolled: 1-line block ×3, first 2 shown]
	s_wait_dscnt 0x0
	s_barrier_signal -1
	s_barrier_wait -1
	s_and_saveexec_b32 s1, s2
	s_cbranch_execz .LBB256_961
; %bb.494:
	s_abs_i32 s14, s14
	v_dual_lshlrev_b32 v3, 3, v0 :: v_dual_mov_b32 v11, 0
	s_cvt_f32_u32 s0, s14
	s_ashr_i32 s19, s18, 31
	s_delay_alu instid0(VALU_DEP_1) | instskip(NEXT) | instid1(SALU_CYCLE_1)
	v_dual_lshlrev_b32 v5, 5, v28 :: v_dual_bitop2_b32 v33, 8, v3 bitop3:0x40
	v_rcp_iflag_f32_e32 v4, s0
	v_and_b32_e32 v10, 0xf8, v3
	s_wait_kmcnt 0x0
	s_add_nc_u64 s[18:19], s[26:27], s[18:19]
	s_lshl_b64 s[24:25], s[24:25], 2
	s_sub_co_i32 s2, 0, s14
	v_dual_mov_b32 v32, 0 :: v_dual_mov_b32 v8, 0
	v_readfirstlane_b32 s0, v4
	v_add_nc_u64_e32 v[12:13], s[18:19], v[10:11]
	v_and_b32_e32 v10, 0x7c, v1
	v_lshl_or_b32 v4, v29, 6, v5
	s_add_nc_u64 s[18:19], s[22:23], s[24:25]
	s_mul_f32 s0, s0, 0x4f7ffffe
	v_mov_b32_e32 v35, v29
	v_add_nc_u64_e32 v[14:15], s[18:19], v[10:11]
	v_add_nc_u32_e32 v34, 0x100, v4
	s_cvt_u32_f32 s0, s0
	v_dual_mov_b32 v9, 0 :: v_dual_mov_b32 v6, 0
	v_dual_mov_b32 v7, 0 :: v_dual_mov_b32 v4, 0
	s_delay_alu instid0(SALU_CYCLE_1)
	s_mul_i32 s2, s2, s0
	v_mov_b32_e32 v5, 0
	s_mov_b32 s3, 0
	s_mul_hi_u32 s2, s0, s2
	s_sub_co_i32 s13, s36, s13
	s_add_co_i32 s28, s12, -1
	s_mov_b64 s[8:9], 0xffffffffffffff
	s_mov_b32 s18, s34
	s_add_co_i32 s2, s0, s2
	s_mov_b32 s19, s3
	s_branch .LBB256_497
.LBB256_495:                            ;   in Loop: Header=BB256_497 Depth=1
	s_or_b32 exec_lo, exec_lo, s0
	v_dual_add_f32 v1, v44, v45 :: v_dual_add_f32 v10, v58, v59
	v_add_f32_e32 v19, v56, v57
	;;#ASMSTART
	v_pk_mul_f16 v17, v51, v17;

	;;#ASMEND
	s_delay_alu instid0(VALU_DEP_2)
	v_dual_add_f32 v5, v5, v1 :: v_dual_add_f32 v4, v4, v10
	;;#ASMSTART
	v_pk_mul_f16 v1, v48, v18;

	;;#ASMEND
	;;#ASMSTART
	v_pk_mul_f16 v3, v47, v3;

	;;#ASMEND
	;; [unrolled: 4-line block ×3, first 2 shown]
	;;#ASMSTART
	v_pk_add_f16 v1, v17, v1;

	;;#ASMEND
	;;#ASMSTART
	v_pk_add_f16 v1, v1, v3;

	;;#ASMEND
	;; [unrolled: 4-line block ×3, first 2 shown]
	v_and_b32_e32 v16, 0xffff, v1
	v_dual_add_f32 v10, v49, v50 :: v_dual_lshrrev_b32 v17, 16, v1
	;;#ASMSTART
	v_cvt_f32_f16 v16, v16;
	;;#ASMEND
	v_dual_add_f32 v1, v54, v55 :: v_dual_add_f32 v3, v52, v53
	v_add_f32_e32 v7, v7, v19
	;;#ASMSTART
	v_cvt_f32_f16 v17, v17;
	;;#ASMEND
	v_add_f32_e32 v16, v16, v17
	s_delay_alu instid0(VALU_DEP_3) | instskip(NEXT) | instid1(VALU_DEP_2)
	v_dual_add_f32 v6, v6, v1 :: v_dual_add_f32 v8, v8, v10
	v_dual_add_f32 v9, v9, v3 :: v_dual_add_f32 v32, v32, v16
.LBB256_496:                            ;   in Loop: Header=BB256_497 Depth=1
	s_or_b32 exec_lo, exec_lo, s22
	v_dual_add_nc_u32 v35, 4, v35 :: v_dual_add_nc_u32 v2, 64, v2
	v_add_nc_u64_e32 v[14:15], 16, v[14:15]
	v_add_nc_u32_e32 v34, 0x100, v34
	s_delay_alu instid0(VALU_DEP_3) | instskip(SKIP_1) | instid1(SALU_CYCLE_1)
	v_cmp_le_i32_e32 vcc_lo, s12, v35
	s_or_b32 s19, vcc_lo, s19
	s_and_not1_b32 exec_lo, exec_lo, s19
	s_cbranch_execz .LBB256_960
.LBB256_497:                            ; =>This Inner Loop Header: Depth=1
	v_mov_b32_e32 v3, v11
	s_delay_alu instid0(VALU_DEP_1) | instskip(NEXT) | instid1(VALU_DEP_1)
	v_mul_u64_e32 v[16:17], s[20:21], v[2:3]
	v_mul_lo_u32 v1, v17, s16
	s_delay_alu instid0(VALU_DEP_1) | instskip(NEXT) | instid1(VALU_DEP_1)
	v_sub_nc_u32_e32 v1, v2, v1
	v_subrev_nc_u32_e32 v10, s16, v1
	v_cmp_le_u32_e32 vcc_lo, s16, v1
	s_delay_alu instid0(VALU_DEP_2) | instskip(NEXT) | instid1(VALU_DEP_1)
	v_dual_add_nc_u32 v3, 1, v17 :: v_dual_cndmask_b32 v1, v1, v10, vcc_lo
	v_cndmask_b32_e32 v3, v17, v3, vcc_lo
	s_delay_alu instid0(VALU_DEP_2) | instskip(NEXT) | instid1(VALU_DEP_2)
	v_cmp_le_u32_e32 vcc_lo, s16, v1
	v_add_nc_u32_e32 v10, 1, v3
	s_delay_alu instid0(VALU_DEP_1) | instskip(NEXT) | instid1(VALU_DEP_1)
	v_cndmask_b32_e32 v1, v3, v10, vcc_lo
	v_xor_b32_e32 v1, s15, v1
	s_delay_alu instid0(VALU_DEP_1) | instskip(NEXT) | instid1(VALU_DEP_1)
	v_subrev_nc_u32_e32 v1, s15, v1
	v_add_nc_u32_e32 v3, s35, v1
	v_cmp_lt_i32_e64 s0, s13, v1
	s_delay_alu instid0(VALU_DEP_2) | instskip(NEXT) | instid1(VALU_DEP_1)
	v_sub_nc_u32_e32 v10, 0, v3
	v_dual_ashrrev_i32 v3, 31, v3 :: v_dual_max_i32 v10, v3, v10
	s_delay_alu instid0(VALU_DEP_1) | instskip(NEXT) | instid1(VALU_DEP_1)
	v_mul_u64_e32 v[16:17], s[2:3], v[10:11]
	v_mul_lo_u32 v16, v17, s14
	s_delay_alu instid0(VALU_DEP_1) | instskip(NEXT) | instid1(VALU_DEP_1)
	v_sub_nc_u32_e32 v10, v10, v16
	v_subrev_nc_u32_e32 v16, s14, v10
	v_cmp_le_u32_e32 vcc_lo, s14, v10
	s_delay_alu instid0(VALU_DEP_2) | instskip(NEXT) | instid1(VALU_DEP_1)
	v_cndmask_b32_e32 v10, v10, v16, vcc_lo
	v_subrev_nc_u32_e32 v16, s14, v10
	v_cmp_le_u32_e32 vcc_lo, s14, v10
	s_delay_alu instid0(VALU_DEP_2) | instskip(NEXT) | instid1(VALU_DEP_1)
	v_cndmask_b32_e32 v10, v10, v16, vcc_lo
	v_xor_b32_e32 v10, v10, v3
	s_delay_alu instid0(VALU_DEP_1) | instskip(NEXT) | instid1(VALU_DEP_1)
	v_sub_nc_u32_e32 v3, v10, v3
	v_cmp_eq_u32_e32 vcc_lo, 0, v3
	s_or_b32 s0, vcc_lo, s0
	s_delay_alu instid0(SALU_CYCLE_1)
	s_and_saveexec_b32 s22, s0
	s_cbranch_execz .LBB256_496
; %bb.498:                              ;   in Loop: Header=BB256_497 Depth=1
	global_load_b32 v1, v[14:15], off
	ds_load_2addr_b64 v[18:21], v34 offset1:1
	ds_load_2addr_b64 v[22:25], v34 offset0:2 offset1:3
	s_mov_b32 s0, exec_lo
	s_wait_dscnt 0x1
	;;#ASMSTART
	v_cvt_f16_f32 v47, v18;

	;;#ASMEND
	;;#ASMSTART
	v_cvt_f16_f32 v44, v19;

	;;#ASMEND
	;; [unrolled: 4-line block ×4, first 2 shown]
	s_wait_dscnt 0x0
	;;#ASMSTART
	v_cvt_f16_f32 v50, v22;

	;;#ASMEND
	;;#ASMSTART
	v_cvt_f16_f32 v46, v23;

	;;#ASMEND
	;; [unrolled: 4-line block ×4, first 2 shown]
	v_mov_b32_e32 v3, 0
	s_wait_loadcnt 0x0
	v_mad_nc_i64_i32 v[16:17], v1, s17, v[12:13]
	v_mov_b32_e32 v1, 0
	global_load_b32 v18, v1, s[10:11]
	global_load_b64 v[20:21], v[16:17], off
	s_wait_loadcnt 0x0
	v_and_b32_e32 v10, 0xff, v20
	s_delay_alu instid0(VALU_DEP_1)
	v_cmpx_ne_u16_e32 0, v10
	s_cbranch_execz .LBB256_506
; %bb.499:                              ;   in Loop: Header=BB256_497 Depth=1
	v_mov_b32_e32 v3, 0x8000
	s_mov_b32 s23, exec_lo
	v_cmpx_ne_u16_e32 0x80, v10
	s_cbranch_execz .LBB256_505
; %bb.500:                              ;   in Loop: Header=BB256_497 Depth=1
	v_and_b32_e32 v19, 0x7f, v20
	v_mov_b32_e32 v3, 0x7c01
	s_mov_b32 s24, exec_lo
	s_delay_alu instid0(VALU_DEP_2)
	v_cmpx_ne_u32_e32 0x7f, v19
	s_cbranch_execz .LBB256_504
; %bb.501:                              ;   in Loop: Header=BB256_497 Depth=1
	v_dual_lshrrev_b32 v10, 3, v19 :: v_dual_bitop2_b32 v3, 7, v20 bitop3:0x40
	s_mov_b32 s25, exec_lo
	v_cmpx_gt_u32_e32 8, v19
; %bb.502:                              ;   in Loop: Header=BB256_497 Depth=1
	s_delay_alu instid0(VALU_DEP_2) | instskip(NEXT) | instid1(VALU_DEP_1)
	v_clz_i32_u32_e32 v3, v3
	v_min_u32_e32 v3, 32, v3
	s_delay_alu instid0(VALU_DEP_1) | instskip(NEXT) | instid1(VALU_DEP_1)
	v_subrev_nc_u32_e32 v10, 28, v3
	v_lshlrev_b64_e32 v[22:23], v10, v[20:21]
	s_delay_alu instid0(VALU_DEP_1)
	v_dual_sub_nc_u32 v10, 29, v3 :: v_dual_bitop2_b32 v3, 7, v22 bitop3:0x40
; %bb.503:                              ;   in Loop: Header=BB256_497 Depth=1
	s_or_b32 exec_lo, exec_lo, s25
	s_delay_alu instid0(VALU_DEP_1) | instskip(NEXT) | instid1(VALU_DEP_2)
	v_dual_lshlrev_b32 v19, 8, v20 :: v_dual_lshlrev_b32 v3, 7, v3
	v_lshl_add_u32 v10, v10, 10, 0x2000
	s_delay_alu instid0(VALU_DEP_2) | instskip(NEXT) | instid1(VALU_DEP_2)
	v_and_b32_e32 v19, 0x8000, v19
	v_and_b32_e32 v10, 0xfc00, v10
	s_delay_alu instid0(VALU_DEP_1)
	v_or3_b32 v3, v19, v10, v3
.LBB256_504:                            ;   in Loop: Header=BB256_497 Depth=1
	s_or_b32 exec_lo, exec_lo, s24
.LBB256_505:                            ;   in Loop: Header=BB256_497 Depth=1
	s_delay_alu instid0(SALU_CYCLE_1)
	s_or_b32 exec_lo, exec_lo, s23
.LBB256_506:                            ;   in Loop: Header=BB256_497 Depth=1
	s_delay_alu instid0(SALU_CYCLE_1) | instskip(SKIP_2) | instid1(VALU_DEP_1)
	s_or_b32 exec_lo, exec_lo, s0
	v_lshrrev_b16 v10, 8, v20
	s_mov_b32 s0, exec_lo
	v_cmpx_ne_u16_e32 0, v10
	s_cbranch_execz .LBB256_514
; %bb.507:                              ;   in Loop: Header=BB256_497 Depth=1
	v_bfrev_b32_e32 v1, 1
	s_mov_b32 s23, exec_lo
	v_cmpx_ne_u16_e32 0x80, v10
	s_cbranch_execz .LBB256_513
; %bb.508:                              ;   in Loop: Header=BB256_497 Depth=1
	v_and_b32_e32 v19, 0xffff, v10
	v_mov_b32_e32 v1, 0x7c010000
	s_mov_b32 s24, exec_lo
	s_delay_alu instid0(VALU_DEP_2) | instskip(NEXT) | instid1(VALU_DEP_1)
	v_and_b32_e32 v23, 0x7f, v19
	v_cmpx_ne_u32_e32 0x7f, v23
	s_cbranch_execz .LBB256_512
; %bb.509:                              ;   in Loop: Header=BB256_497 Depth=1
	v_and_b32_e32 v1, 7, v19
	v_lshrrev_b32_e32 v22, 3, v23
	s_mov_b32 s25, exec_lo
	v_cmpx_gt_u32_e32 8, v23
; %bb.510:                              ;   in Loop: Header=BB256_497 Depth=1
	s_delay_alu instid0(VALU_DEP_3) | instskip(NEXT) | instid1(VALU_DEP_1)
	v_clz_i32_u32_e32 v1, v1
	v_min_u32_e32 v1, 32, v1
	s_delay_alu instid0(VALU_DEP_1) | instskip(NEXT) | instid1(VALU_DEP_1)
	v_subrev_nc_u32_e32 v22, 28, v1
	v_lshlrev_b64_e32 v[24:25], v22, v[10:11]
	s_delay_alu instid0(VALU_DEP_1)
	v_dual_sub_nc_u32 v22, 29, v1 :: v_dual_bitop2_b32 v1, 7, v24 bitop3:0x40
; %bb.511:                              ;   in Loop: Header=BB256_497 Depth=1
	s_or_b32 exec_lo, exec_lo, s25
	s_delay_alu instid0(VALU_DEP_1) | instskip(NEXT) | instid1(VALU_DEP_2)
	v_dual_lshlrev_b32 v10, 8, v19 :: v_dual_lshlrev_b32 v1, 23, v1
	v_lshl_add_u32 v19, v22, 10, 0x2000
	s_delay_alu instid0(VALU_DEP_1) | instskip(NEXT) | instid1(VALU_DEP_1)
	v_and_or_b32 v10, 0x8000, v10, v19
	v_lshl_or_b32 v1, v10, 16, v1
.LBB256_512:                            ;   in Loop: Header=BB256_497 Depth=1
	s_or_b32 exec_lo, exec_lo, s24
.LBB256_513:                            ;   in Loop: Header=BB256_497 Depth=1
	s_delay_alu instid0(SALU_CYCLE_1)
	s_or_b32 exec_lo, exec_lo, s23
.LBB256_514:                            ;   in Loop: Header=BB256_497 Depth=1
	s_delay_alu instid0(SALU_CYCLE_1) | instskip(SKIP_3) | instid1(VALU_DEP_2)
	s_or_b32 exec_lo, exec_lo, s0
	v_dual_mov_b32 v19, 0 :: v_dual_lshrrev_b32 v10, 16, v20
	v_mov_b32_e32 v22, 0
	s_mov_b32 s0, exec_lo
	v_and_b32_e32 v23, 0xff, v10
	s_delay_alu instid0(VALU_DEP_1)
	v_cmpx_ne_u16_e32 0, v23
	s_cbranch_execz .LBB256_522
; %bb.515:                              ;   in Loop: Header=BB256_497 Depth=1
	v_mov_b32_e32 v22, 0x8000
	s_mov_b32 s23, exec_lo
	v_cmpx_ne_u16_e32 0x80, v23
	s_cbranch_execz .LBB256_521
; %bb.516:                              ;   in Loop: Header=BB256_497 Depth=1
	v_bfe_u32 v24, v20, 16, 7
	v_mov_b32_e32 v22, 0x7c01
	s_mov_b32 s24, exec_lo
	s_delay_alu instid0(VALU_DEP_2)
	v_cmpx_ne_u32_e32 0x7f, v24
	s_cbranch_execz .LBB256_520
; %bb.517:                              ;   in Loop: Header=BB256_497 Depth=1
	v_dual_lshrrev_b32 v23, 3, v24 :: v_dual_bitop2_b32 v22, 7, v10 bitop3:0x40
	s_mov_b32 s25, exec_lo
	v_cmpx_gt_u32_e32 8, v24
; %bb.518:                              ;   in Loop: Header=BB256_497 Depth=1
	s_delay_alu instid0(VALU_DEP_2) | instskip(NEXT) | instid1(VALU_DEP_1)
	v_clz_i32_u32_e32 v22, v22
	v_min_u32_e32 v24, 32, v22
	s_delay_alu instid0(VALU_DEP_1) | instskip(NEXT) | instid1(VALU_DEP_1)
	v_subrev_nc_u32_e32 v22, 28, v24
	v_lshlrev_b64_e32 v[22:23], v22, v[10:11]
	s_delay_alu instid0(VALU_DEP_1)
	v_dual_sub_nc_u32 v23, 29, v24 :: v_dual_bitop2_b32 v22, 7, v22 bitop3:0x40
; %bb.519:                              ;   in Loop: Header=BB256_497 Depth=1
	s_or_b32 exec_lo, exec_lo, s25
	v_lshlrev_b32_e32 v10, 8, v10
	s_delay_alu instid0(VALU_DEP_2) | instskip(NEXT) | instid1(VALU_DEP_3)
	v_lshl_add_u32 v23, v23, 10, 0x2000
	v_lshlrev_b32_e32 v22, 7, v22
	s_delay_alu instid0(VALU_DEP_3) | instskip(NEXT) | instid1(VALU_DEP_3)
	v_and_b32_e32 v10, 0x8000, v10
	v_and_b32_e32 v23, 0xfc00, v23
	s_delay_alu instid0(VALU_DEP_1)
	v_or3_b32 v22, v10, v23, v22
.LBB256_520:                            ;   in Loop: Header=BB256_497 Depth=1
	s_or_b32 exec_lo, exec_lo, s24
.LBB256_521:                            ;   in Loop: Header=BB256_497 Depth=1
	s_delay_alu instid0(SALU_CYCLE_1)
	s_or_b32 exec_lo, exec_lo, s23
.LBB256_522:                            ;   in Loop: Header=BB256_497 Depth=1
	s_delay_alu instid0(SALU_CYCLE_1) | instskip(NEXT) | instid1(SALU_CYCLE_1)
	s_or_b32 exec_lo, exec_lo, s0
	s_mov_b32 s0, exec_lo
	v_cmpx_lt_u32_e32 0xffffff, v20
	s_cbranch_execz .LBB256_530
; %bb.523:                              ;   in Loop: Header=BB256_497 Depth=1
	v_lshrrev_b32_e32 v10, 24, v20
	v_bfrev_b32_e32 v19, 1
	s_mov_b32 s23, exec_lo
	s_delay_alu instid0(VALU_DEP_2)
	v_cmpx_ne_u32_e32 0x80, v10
	s_cbranch_execz .LBB256_529
; %bb.524:                              ;   in Loop: Header=BB256_497 Depth=1
	v_and_b32_e32 v24, 0x7f, v10
	v_mov_b32_e32 v19, 0x7c010000
	s_mov_b32 s24, exec_lo
	s_delay_alu instid0(VALU_DEP_2)
	v_cmpx_ne_u32_e32 0x7f, v24
	s_cbranch_execz .LBB256_528
; %bb.525:                              ;   in Loop: Header=BB256_497 Depth=1
	v_dual_lshrrev_b32 v23, 3, v24 :: v_dual_bitop2_b32 v19, 7, v10 bitop3:0x40
	s_mov_b32 s25, exec_lo
	v_cmpx_gt_u32_e32 8, v24
; %bb.526:                              ;   in Loop: Header=BB256_497 Depth=1
	s_delay_alu instid0(VALU_DEP_2) | instskip(NEXT) | instid1(VALU_DEP_1)
	v_clz_i32_u32_e32 v19, v19
	v_min_u32_e32 v19, 32, v19
	s_delay_alu instid0(VALU_DEP_1) | instskip(NEXT) | instid1(VALU_DEP_1)
	v_subrev_nc_u32_e32 v23, 28, v19
	v_lshlrev_b64_e32 v[24:25], v23, v[10:11]
	s_delay_alu instid0(VALU_DEP_1)
	v_dual_sub_nc_u32 v23, 29, v19 :: v_dual_bitop2_b32 v19, 7, v24 bitop3:0x40
; %bb.527:                              ;   in Loop: Header=BB256_497 Depth=1
	s_or_b32 exec_lo, exec_lo, s25
	s_delay_alu instid0(VALU_DEP_1) | instskip(NEXT) | instid1(VALU_DEP_2)
	v_dual_lshlrev_b32 v10, 8, v10 :: v_dual_lshlrev_b32 v19, 23, v19
	v_lshl_add_u32 v23, v23, 10, 0x2000
	s_delay_alu instid0(VALU_DEP_1) | instskip(NEXT) | instid1(VALU_DEP_1)
	v_and_or_b32 v10, 0x8000, v10, v23
	v_lshl_or_b32 v19, v10, 16, v19
.LBB256_528:                            ;   in Loop: Header=BB256_497 Depth=1
	s_or_b32 exec_lo, exec_lo, s24
.LBB256_529:                            ;   in Loop: Header=BB256_497 Depth=1
	s_delay_alu instid0(SALU_CYCLE_1)
	s_or_b32 exec_lo, exec_lo, s23
.LBB256_530:                            ;   in Loop: Header=BB256_497 Depth=1
	s_delay_alu instid0(SALU_CYCLE_1) | instskip(SKIP_4) | instid1(VALU_DEP_3)
	s_or_b32 exec_lo, exec_lo, s0
	v_and_b32_e32 v25, 0xff, v21
	v_dual_mov_b32 v10, v21 :: v_dual_mov_b32 v24, 0
	v_mov_b32_e32 v23, 0
	s_mov_b32 s0, exec_lo
	v_cmpx_ne_u16_e32 0, v25
	s_cbranch_execz .LBB256_538
; %bb.531:                              ;   in Loop: Header=BB256_497 Depth=1
	v_mov_b32_e32 v23, 0x8000
	s_mov_b32 s23, exec_lo
	v_cmpx_ne_u16_e32 0x80, v25
	s_cbranch_execz .LBB256_537
; %bb.532:                              ;   in Loop: Header=BB256_497 Depth=1
	v_and_b32_e32 v26, 0x7f, v21
	v_mov_b32_e32 v23, 0x7c01
	s_mov_b32 s24, exec_lo
	s_delay_alu instid0(VALU_DEP_2)
	v_cmpx_ne_u32_e32 0x7f, v26
	s_cbranch_execz .LBB256_536
; %bb.533:                              ;   in Loop: Header=BB256_497 Depth=1
	v_dual_lshrrev_b32 v25, 3, v26 :: v_dual_bitop2_b32 v23, 7, v21 bitop3:0x40
	s_mov_b32 s25, exec_lo
	v_cmpx_gt_u32_e32 8, v26
; %bb.534:                              ;   in Loop: Header=BB256_497 Depth=1
	s_delay_alu instid0(VALU_DEP_2) | instskip(NEXT) | instid1(VALU_DEP_1)
	v_clz_i32_u32_e32 v23, v23
	v_min_u32_e32 v23, 32, v23
	s_delay_alu instid0(VALU_DEP_1) | instskip(NEXT) | instid1(VALU_DEP_1)
	v_subrev_nc_u32_e32 v25, 28, v23
	v_lshlrev_b64_e32 v[36:37], v25, v[10:11]
	s_delay_alu instid0(VALU_DEP_1)
	v_dual_sub_nc_u32 v25, 29, v23 :: v_dual_bitop2_b32 v23, 7, v36 bitop3:0x40
; %bb.535:                              ;   in Loop: Header=BB256_497 Depth=1
	s_or_b32 exec_lo, exec_lo, s25
	s_delay_alu instid0(VALU_DEP_1) | instskip(NEXT) | instid1(VALU_DEP_2)
	v_dual_lshlrev_b32 v26, 8, v21 :: v_dual_lshlrev_b32 v23, 7, v23
	v_lshl_add_u32 v25, v25, 10, 0x2000
	s_delay_alu instid0(VALU_DEP_2) | instskip(NEXT) | instid1(VALU_DEP_2)
	v_and_b32_e32 v26, 0x8000, v26
	v_and_b32_e32 v25, 0xfc00, v25
	s_delay_alu instid0(VALU_DEP_1)
	v_or3_b32 v23, v26, v25, v23
.LBB256_536:                            ;   in Loop: Header=BB256_497 Depth=1
	s_or_b32 exec_lo, exec_lo, s24
.LBB256_537:                            ;   in Loop: Header=BB256_497 Depth=1
	s_delay_alu instid0(SALU_CYCLE_1)
	s_or_b32 exec_lo, exec_lo, s23
.LBB256_538:                            ;   in Loop: Header=BB256_497 Depth=1
	s_delay_alu instid0(SALU_CYCLE_1) | instskip(SKIP_3) | instid1(VALU_DEP_2)
	s_or_b32 exec_lo, exec_lo, s0
	v_lshrrev_b16 v10, 8, v10
	v_mov_b32_e32 v25, 0
	s_mov_b32 s0, exec_lo
	v_cmpx_ne_u16_e32 0, v10
	s_cbranch_execz .LBB256_546
; %bb.539:                              ;   in Loop: Header=BB256_497 Depth=1
	v_bfrev_b32_e32 v25, 1
	s_mov_b32 s23, exec_lo
	v_cmpx_ne_u16_e32 0x80, v10
	s_cbranch_execz .LBB256_545
; %bb.540:                              ;   in Loop: Header=BB256_497 Depth=1
	v_and_b32_e32 v26, 0xffff, v10
	v_mov_b32_e32 v25, 0x7c010000
	s_mov_b32 s24, exec_lo
	s_delay_alu instid0(VALU_DEP_2) | instskip(NEXT) | instid1(VALU_DEP_1)
	v_and_b32_e32 v37, 0x7f, v26
	v_cmpx_ne_u32_e32 0x7f, v37
	s_cbranch_execz .LBB256_544
; %bb.541:                              ;   in Loop: Header=BB256_497 Depth=1
	v_dual_lshrrev_b32 v36, 3, v37 :: v_dual_bitop2_b32 v25, 7, v26 bitop3:0x40
	s_mov_b32 s25, exec_lo
	v_cmpx_gt_u32_e32 8, v37
; %bb.542:                              ;   in Loop: Header=BB256_497 Depth=1
	s_delay_alu instid0(VALU_DEP_2) | instskip(NEXT) | instid1(VALU_DEP_1)
	v_clz_i32_u32_e32 v25, v25
	v_min_u32_e32 v25, 32, v25
	s_delay_alu instid0(VALU_DEP_1) | instskip(NEXT) | instid1(VALU_DEP_1)
	v_subrev_nc_u32_e32 v36, 28, v25
	v_lshlrev_b64_e32 v[38:39], v36, v[10:11]
	s_delay_alu instid0(VALU_DEP_1)
	v_dual_sub_nc_u32 v36, 29, v25 :: v_dual_bitop2_b32 v25, 7, v38 bitop3:0x40
; %bb.543:                              ;   in Loop: Header=BB256_497 Depth=1
	s_or_b32 exec_lo, exec_lo, s25
	s_delay_alu instid0(VALU_DEP_1) | instskip(NEXT) | instid1(VALU_DEP_2)
	v_dual_lshlrev_b32 v10, 8, v26 :: v_dual_lshlrev_b32 v25, 23, v25
	v_lshl_add_u32 v26, v36, 10, 0x2000
	s_delay_alu instid0(VALU_DEP_1) | instskip(NEXT) | instid1(VALU_DEP_1)
	v_and_or_b32 v10, 0x8000, v10, v26
	v_lshl_or_b32 v25, v10, 16, v25
.LBB256_544:                            ;   in Loop: Header=BB256_497 Depth=1
	s_or_b32 exec_lo, exec_lo, s24
.LBB256_545:                            ;   in Loop: Header=BB256_497 Depth=1
	s_delay_alu instid0(SALU_CYCLE_1)
	s_or_b32 exec_lo, exec_lo, s23
.LBB256_546:                            ;   in Loop: Header=BB256_497 Depth=1
	s_delay_alu instid0(SALU_CYCLE_1) | instskip(SKIP_2) | instid1(VALU_DEP_1)
	s_or_b32 exec_lo, exec_lo, s0
	v_lshrrev_b32_e32 v10, 16, v21
	s_mov_b32 s0, exec_lo
	v_and_b32_e32 v26, 0xff, v10
	s_delay_alu instid0(VALU_DEP_1)
	v_cmpx_ne_u16_e32 0, v26
	s_cbranch_execz .LBB256_554
; %bb.547:                              ;   in Loop: Header=BB256_497 Depth=1
	v_mov_b32_e32 v24, 0x8000
	s_mov_b32 s23, exec_lo
	v_cmpx_ne_u16_e32 0x80, v26
	s_cbranch_execz .LBB256_553
; %bb.548:                              ;   in Loop: Header=BB256_497 Depth=1
	v_bfe_u32 v36, v21, 16, 7
	v_mov_b32_e32 v24, 0x7c01
	s_mov_b32 s24, exec_lo
	s_delay_alu instid0(VALU_DEP_2)
	v_cmpx_ne_u32_e32 0x7f, v36
	s_cbranch_execz .LBB256_552
; %bb.549:                              ;   in Loop: Header=BB256_497 Depth=1
	v_dual_lshrrev_b32 v26, 3, v36 :: v_dual_bitop2_b32 v24, 7, v10 bitop3:0x40
	s_mov_b32 s25, exec_lo
	v_cmpx_gt_u32_e32 8, v36
; %bb.550:                              ;   in Loop: Header=BB256_497 Depth=1
	s_delay_alu instid0(VALU_DEP_2) | instskip(NEXT) | instid1(VALU_DEP_1)
	v_clz_i32_u32_e32 v24, v24
	v_min_u32_e32 v24, 32, v24
	s_delay_alu instid0(VALU_DEP_1) | instskip(NEXT) | instid1(VALU_DEP_1)
	v_subrev_nc_u32_e32 v26, 28, v24
	v_lshlrev_b64_e32 v[36:37], v26, v[10:11]
	v_sub_nc_u32_e32 v26, 29, v24
	s_delay_alu instid0(VALU_DEP_2)
	v_and_b32_e32 v24, 7, v36
; %bb.551:                              ;   in Loop: Header=BB256_497 Depth=1
	s_or_b32 exec_lo, exec_lo, s25
	s_delay_alu instid0(VALU_DEP_1) | instskip(NEXT) | instid1(VALU_DEP_3)
	v_dual_lshlrev_b32 v10, 8, v10 :: v_dual_lshlrev_b32 v24, 7, v24
	v_lshl_add_u32 v26, v26, 10, 0x2000
	s_delay_alu instid0(VALU_DEP_2) | instskip(NEXT) | instid1(VALU_DEP_2)
	v_and_b32_e32 v10, 0x8000, v10
	v_and_b32_e32 v26, 0xfc00, v26
	s_delay_alu instid0(VALU_DEP_1)
	v_or3_b32 v24, v10, v26, v24
.LBB256_552:                            ;   in Loop: Header=BB256_497 Depth=1
	s_or_b32 exec_lo, exec_lo, s24
.LBB256_553:                            ;   in Loop: Header=BB256_497 Depth=1
	s_delay_alu instid0(SALU_CYCLE_1)
	s_or_b32 exec_lo, exec_lo, s23
.LBB256_554:                            ;   in Loop: Header=BB256_497 Depth=1
	s_delay_alu instid0(SALU_CYCLE_1)
	s_or_b32 exec_lo, exec_lo, s0
	v_cmp_lt_u64_e32 vcc_lo, s[8:9], v[20:21]
	v_mov_b32_e32 v20, 0
	s_and_saveexec_b32 s0, vcc_lo
	s_cbranch_execz .LBB256_562
; %bb.555:                              ;   in Loop: Header=BB256_497 Depth=1
	v_lshrrev_b32_e32 v10, 24, v21
	v_bfrev_b32_e32 v20, 1
	s_mov_b32 s23, exec_lo
	s_delay_alu instid0(VALU_DEP_2)
	v_cmpx_ne_u32_e32 0x80, v10
	s_cbranch_execz .LBB256_561
; %bb.556:                              ;   in Loop: Header=BB256_497 Depth=1
	v_and_b32_e32 v26, 0x7f, v10
	v_mov_b32_e32 v20, 0x7c010000
	s_mov_b32 s24, exec_lo
	s_delay_alu instid0(VALU_DEP_2)
	v_cmpx_ne_u32_e32 0x7f, v26
	s_cbranch_execz .LBB256_560
; %bb.557:                              ;   in Loop: Header=BB256_497 Depth=1
	v_and_b32_e32 v20, 7, v10
	v_lshrrev_b32_e32 v21, 3, v26
	s_mov_b32 s25, exec_lo
	v_cmpx_gt_u32_e32 8, v26
; %bb.558:                              ;   in Loop: Header=BB256_497 Depth=1
	s_delay_alu instid0(VALU_DEP_3) | instskip(NEXT) | instid1(VALU_DEP_1)
	v_clz_i32_u32_e32 v20, v20
	v_min_u32_e32 v26, 32, v20
	s_delay_alu instid0(VALU_DEP_1) | instskip(NEXT) | instid1(VALU_DEP_1)
	v_subrev_nc_u32_e32 v20, 28, v26
	v_lshlrev_b64_e32 v[20:21], v20, v[10:11]
	s_delay_alu instid0(VALU_DEP_1)
	v_dual_sub_nc_u32 v21, 29, v26 :: v_dual_bitop2_b32 v20, 7, v20 bitop3:0x40
; %bb.559:                              ;   in Loop: Header=BB256_497 Depth=1
	s_or_b32 exec_lo, exec_lo, s25
	s_delay_alu instid0(VALU_DEP_1) | instskip(NEXT) | instid1(VALU_DEP_2)
	v_dual_lshlrev_b32 v10, 8, v10 :: v_dual_lshlrev_b32 v20, 23, v20
	v_lshl_add_u32 v21, v21, 10, 0x2000
	s_delay_alu instid0(VALU_DEP_1) | instskip(NEXT) | instid1(VALU_DEP_1)
	v_and_or_b32 v10, 0x8000, v10, v21
	v_lshl_or_b32 v20, v10, 16, v20
.LBB256_560:                            ;   in Loop: Header=BB256_497 Depth=1
	s_or_b32 exec_lo, exec_lo, s24
.LBB256_561:                            ;   in Loop: Header=BB256_497 Depth=1
	s_delay_alu instid0(SALU_CYCLE_1)
	s_or_b32 exec_lo, exec_lo, s23
.LBB256_562:                            ;   in Loop: Header=BB256_497 Depth=1
	s_delay_alu instid0(SALU_CYCLE_1) | instskip(SKIP_3) | instid1(VALU_DEP_3)
	s_or_b32 exec_lo, exec_lo, s0
	v_dual_lshrrev_b32 v10, 16, v1 :: v_dual_lshrrev_b32 v21, 16, v19
	v_or_b32_e32 v1, v1, v3
	v_dual_lshrrev_b32 v22, 16, v20 :: v_dual_bitop2_b32 v3, v19, v22 bitop3:0x54
	v_cvt_f32_f16_e32 v37, v10
	s_delay_alu instid0(VALU_DEP_4) | instskip(SKIP_1) | instid1(VALU_DEP_4)
	v_cvt_f32_f16_e32 v36, v21
	v_dual_lshrrev_b32 v19, 16, v25 :: v_dual_bitop2_b32 v10, v20, v24 bitop3:0x54
	v_cvt_f32_f16_e32 v20, v3
	v_cvt_f32_f16_e32 v21, v1
	;; [unrolled: 1-line block ×3, first 2 shown]
	s_delay_alu instid0(VALU_DEP_4) | instskip(SKIP_1) | instid1(VALU_DEP_4)
	v_pk_mul_f32 v[36:37], v[18:19], v[36:37] op_sel_hi:[0,1]
	v_cmp_eq_u32_e32 vcc_lo, s28, v35
	v_pk_mul_f32 v[20:21], v[18:19], v[20:21] op_sel_hi:[0,1]
	s_delay_alu instid0(VALU_DEP_3) | instskip(SKIP_4) | instid1(VALU_DEP_4)
	v_cvt_pk_f16_f32 v1, v36, v37
	v_or_b32_e32 v3, v25, v23
	v_cvt_f32_f16_e32 v23, v19
	v_add_nc_u32_e32 v36, v33, v2
	v_cvt_f32_f16_e32 v24, v10
	v_cvt_f32_f16_e32 v25, v3
	s_delay_alu instid0(VALU_DEP_4)
	v_pk_mul_f32 v[38:39], v[18:19], v[22:23] op_sel_hi:[0,1]
	v_cvt_pk_f16_f32 v3, v20, v21
	v_and_b32_e32 v23, 0xffff0000, v1
	v_or_b32_e32 v42, 1, v36
	v_pk_mul_f32 v[18:19], v[18:19], v[24:25] op_sel_hi:[0,1]
	v_cvt_pk_f16_f32 v10, v38, v39
	v_dual_lshlrev_b32 v24, 16, v1 :: v_dual_lshrrev_b32 v25, 16, v3
	v_and_b32_e32 v26, 0xffff, v3
	s_delay_alu instid0(VALU_DEP_4) | instskip(NEXT) | instid1(VALU_DEP_4)
	v_cvt_pk_f16_f32 v18, v18, v19
	v_and_b32_e32 v1, 0xffff0000, v10
	s_delay_alu instid0(VALU_DEP_4) | instskip(NEXT) | instid1(VALU_DEP_4)
	v_dual_lshlrev_b32 v10, 16, v10 :: v_dual_bitop2_b32 v19, v23, v25 bitop3:0x54
	v_dual_add_nc_u32 v43, 2, v36 :: v_dual_bitop2_b32 v20, v24, v26 bitop3:0x54
	s_delay_alu instid0(VALU_DEP_4)
	v_lshrrev_b32_e32 v21, 16, v18
	v_and_b32_e32 v22, 0xffff, v18
	v_or_b32_e32 v41, 3, v36
	v_or_b32_e32 v40, 4, v36
	;; [unrolled: 1-line block ×7, first 2 shown]
	s_and_saveexec_b32 s23, vcc_lo
	s_cbranch_execz .LBB256_564
; %bb.563:                              ;   in Loop: Header=BB256_497 Depth=1
	v_cmp_gt_i32_e64 s0, s18, v36
	s_delay_alu instid0(VALU_DEP_1) | instskip(SKIP_1) | instid1(VALU_DEP_1)
	v_cndmask_b32_e64 v3, 0, v25, s0
	v_cmp_gt_i32_e64 s0, s34, v43
	v_cndmask_b32_e64 v18, 0, v26, s0
	v_cmp_gt_i32_e64 s0, s18, v42
	s_delay_alu instid0(VALU_DEP_1) | instskip(SKIP_1) | instid1(VALU_DEP_1)
	v_cndmask_b32_e64 v19, 0, v23, s0
	v_cmp_gt_i32_e64 s0, s34, v41
	v_cndmask_b32_e64 v20, 0, v24, s0
	v_cmp_gt_i32_e64 s0, s18, v40
	s_delay_alu instid0(VALU_DEP_4) | instskip(NEXT) | instid1(VALU_DEP_2)
	v_or_b32_e32 v19, v19, v3
	v_dual_cndmask_b32 v21, 0, v21, s0 :: v_dual_bitop2_b32 v20, v20, v18 bitop3:0x54
	v_cmp_gt_i32_e64 s0, s34, v39
	s_delay_alu instid0(VALU_DEP_1) | instskip(SKIP_1) | instid1(VALU_DEP_1)
	v_cndmask_b32_e64 v22, 0, v22, s0
	v_cmp_gt_i32_e64 s0, s18, v38
	v_cndmask_b32_e64 v1, 0, v1, s0
	v_cmp_gt_i32_e64 s0, s34, v37
	s_delay_alu instid0(VALU_DEP_1) | instskip(NEXT) | instid1(VALU_DEP_1)
	v_dual_cndmask_b32 v10, 0, v10, s0 :: v_dual_bitop2_b32 v3, v1, v21 bitop3:0x54
	v_or_b32_e32 v18, v10, v22
.LBB256_564:                            ;   in Loop: Header=BB256_497 Depth=1
	s_or_b32 exec_lo, exec_lo, s23
	v_and_b32_e32 v1, 0xffff, v47
	v_and_b32_e32 v10, 0xffff, v48
	;; [unrolled: 1-line block ×4, first 2 shown]
	s_mov_b32 s23, exec_lo
	v_lshl_or_b32 v51, v44, 16, v1
	;;#ASMSTART
	v_pk_mul_f16 v1, v51, v19;

	;;#ASMEND
	v_lshl_or_b32 v48, v45, 16, v10
	v_lshl_or_b32 v47, v46, 16, v21
	;; [unrolled: 1-line block ×3, first 2 shown]
	;;#ASMSTART
	v_pk_mul_f16 v10, v48, v20;

	;;#ASMEND
	;;#ASMSTART
	v_pk_mul_f16 v3, v47, v3;

	;;#ASMEND
	;; [unrolled: 4-line block ×3, first 2 shown]
	;;#ASMSTART
	v_pk_add_f16 v1, v1, v10;

	;;#ASMEND
	;;#ASMSTART
	v_pk_add_f16 v1, v1, v3;

	;;#ASMEND
	;; [unrolled: 4-line block ×3, first 2 shown]
	v_and_b32_e32 v3, 0xffff, v1
	v_lshrrev_b32_e32 v1, 16, v1
	;;#ASMSTART
	v_cvt_f32_f16 v49, v3;
	;;#ASMEND
	v_mov_b32_e32 v3, 0
	;;#ASMSTART
	v_cvt_f32_f16 v50, v1;
	;;#ASMEND
	global_load_b64 v[20:21], v[16:17], off offset:256
	v_mov_b32_e32 v1, 0
	global_load_b32 v18, v1, s[10:11]
	s_wait_loadcnt 0x1
	v_and_b32_e32 v10, 0xff, v20
	s_wait_xcnt 0x0
	s_delay_alu instid0(VALU_DEP_1)
	v_cmpx_ne_u16_e32 0, v10
	s_cbranch_execz .LBB256_572
; %bb.565:                              ;   in Loop: Header=BB256_497 Depth=1
	v_mov_b32_e32 v3, 0x8000
	s_mov_b32 s24, exec_lo
	v_cmpx_ne_u16_e32 0x80, v10
	s_cbranch_execz .LBB256_571
; %bb.566:                              ;   in Loop: Header=BB256_497 Depth=1
	v_and_b32_e32 v19, 0x7f, v20
	v_mov_b32_e32 v3, 0x7c01
	s_mov_b32 s25, exec_lo
	s_delay_alu instid0(VALU_DEP_2)
	v_cmpx_ne_u32_e32 0x7f, v19
	s_cbranch_execz .LBB256_570
; %bb.567:                              ;   in Loop: Header=BB256_497 Depth=1
	v_dual_lshrrev_b32 v10, 3, v19 :: v_dual_bitop2_b32 v3, 7, v20 bitop3:0x40
	s_mov_b32 s26, exec_lo
	v_cmpx_gt_u32_e32 8, v19
; %bb.568:                              ;   in Loop: Header=BB256_497 Depth=1
	s_delay_alu instid0(VALU_DEP_2) | instskip(NEXT) | instid1(VALU_DEP_1)
	v_clz_i32_u32_e32 v3, v3
	v_min_u32_e32 v3, 32, v3
	s_delay_alu instid0(VALU_DEP_1) | instskip(NEXT) | instid1(VALU_DEP_1)
	v_subrev_nc_u32_e32 v10, 28, v3
	v_lshlrev_b64_e32 v[22:23], v10, v[20:21]
	s_delay_alu instid0(VALU_DEP_1)
	v_dual_sub_nc_u32 v10, 29, v3 :: v_dual_bitop2_b32 v3, 7, v22 bitop3:0x40
; %bb.569:                              ;   in Loop: Header=BB256_497 Depth=1
	s_or_b32 exec_lo, exec_lo, s26
	s_delay_alu instid0(VALU_DEP_1) | instskip(NEXT) | instid1(VALU_DEP_2)
	v_dual_lshlrev_b32 v19, 8, v20 :: v_dual_lshlrev_b32 v3, 7, v3
	v_lshl_add_u32 v10, v10, 10, 0x2000
	s_delay_alu instid0(VALU_DEP_2) | instskip(NEXT) | instid1(VALU_DEP_2)
	v_and_b32_e32 v19, 0x8000, v19
	v_and_b32_e32 v10, 0xfc00, v10
	s_delay_alu instid0(VALU_DEP_1)
	v_or3_b32 v3, v19, v10, v3
.LBB256_570:                            ;   in Loop: Header=BB256_497 Depth=1
	s_or_b32 exec_lo, exec_lo, s25
.LBB256_571:                            ;   in Loop: Header=BB256_497 Depth=1
	s_delay_alu instid0(SALU_CYCLE_1)
	s_or_b32 exec_lo, exec_lo, s24
.LBB256_572:                            ;   in Loop: Header=BB256_497 Depth=1
	s_delay_alu instid0(SALU_CYCLE_1) | instskip(SKIP_2) | instid1(VALU_DEP_1)
	s_or_b32 exec_lo, exec_lo, s23
	v_lshrrev_b16 v10, 8, v20
	s_mov_b32 s23, exec_lo
	v_cmpx_ne_u16_e32 0, v10
	s_cbranch_execz .LBB256_580
; %bb.573:                              ;   in Loop: Header=BB256_497 Depth=1
	v_bfrev_b32_e32 v1, 1
	s_mov_b32 s24, exec_lo
	v_cmpx_ne_u16_e32 0x80, v10
	s_cbranch_execz .LBB256_579
; %bb.574:                              ;   in Loop: Header=BB256_497 Depth=1
	v_and_b32_e32 v19, 0xffff, v10
	v_mov_b32_e32 v1, 0x7c010000
	s_mov_b32 s25, exec_lo
	s_delay_alu instid0(VALU_DEP_2) | instskip(NEXT) | instid1(VALU_DEP_1)
	v_and_b32_e32 v23, 0x7f, v19
	v_cmpx_ne_u32_e32 0x7f, v23
	s_cbranch_execz .LBB256_578
; %bb.575:                              ;   in Loop: Header=BB256_497 Depth=1
	v_and_b32_e32 v1, 7, v19
	v_lshrrev_b32_e32 v22, 3, v23
	s_mov_b32 s26, exec_lo
	v_cmpx_gt_u32_e32 8, v23
; %bb.576:                              ;   in Loop: Header=BB256_497 Depth=1
	s_delay_alu instid0(VALU_DEP_3) | instskip(NEXT) | instid1(VALU_DEP_1)
	v_clz_i32_u32_e32 v1, v1
	v_min_u32_e32 v1, 32, v1
	s_delay_alu instid0(VALU_DEP_1) | instskip(NEXT) | instid1(VALU_DEP_1)
	v_subrev_nc_u32_e32 v22, 28, v1
	v_lshlrev_b64_e32 v[24:25], v22, v[10:11]
	s_delay_alu instid0(VALU_DEP_1)
	v_dual_sub_nc_u32 v22, 29, v1 :: v_dual_bitop2_b32 v1, 7, v24 bitop3:0x40
; %bb.577:                              ;   in Loop: Header=BB256_497 Depth=1
	s_or_b32 exec_lo, exec_lo, s26
	s_delay_alu instid0(VALU_DEP_1) | instskip(NEXT) | instid1(VALU_DEP_2)
	v_dual_lshlrev_b32 v10, 8, v19 :: v_dual_lshlrev_b32 v1, 23, v1
	v_lshl_add_u32 v19, v22, 10, 0x2000
	s_delay_alu instid0(VALU_DEP_1) | instskip(NEXT) | instid1(VALU_DEP_1)
	v_and_or_b32 v10, 0x8000, v10, v19
	v_lshl_or_b32 v1, v10, 16, v1
.LBB256_578:                            ;   in Loop: Header=BB256_497 Depth=1
	s_or_b32 exec_lo, exec_lo, s25
.LBB256_579:                            ;   in Loop: Header=BB256_497 Depth=1
	s_delay_alu instid0(SALU_CYCLE_1)
	s_or_b32 exec_lo, exec_lo, s24
.LBB256_580:                            ;   in Loop: Header=BB256_497 Depth=1
	s_delay_alu instid0(SALU_CYCLE_1) | instskip(SKIP_3) | instid1(VALU_DEP_2)
	s_or_b32 exec_lo, exec_lo, s23
	v_dual_mov_b32 v19, 0 :: v_dual_lshrrev_b32 v10, 16, v20
	v_mov_b32_e32 v22, 0
	s_mov_b32 s23, exec_lo
	v_and_b32_e32 v23, 0xff, v10
	s_delay_alu instid0(VALU_DEP_1)
	v_cmpx_ne_u16_e32 0, v23
	s_cbranch_execz .LBB256_588
; %bb.581:                              ;   in Loop: Header=BB256_497 Depth=1
	v_mov_b32_e32 v22, 0x8000
	s_mov_b32 s24, exec_lo
	v_cmpx_ne_u16_e32 0x80, v23
	s_cbranch_execz .LBB256_587
; %bb.582:                              ;   in Loop: Header=BB256_497 Depth=1
	v_bfe_u32 v24, v20, 16, 7
	v_mov_b32_e32 v22, 0x7c01
	s_mov_b32 s25, exec_lo
	s_delay_alu instid0(VALU_DEP_2)
	v_cmpx_ne_u32_e32 0x7f, v24
	s_cbranch_execz .LBB256_586
; %bb.583:                              ;   in Loop: Header=BB256_497 Depth=1
	v_dual_lshrrev_b32 v23, 3, v24 :: v_dual_bitop2_b32 v22, 7, v10 bitop3:0x40
	s_mov_b32 s26, exec_lo
	v_cmpx_gt_u32_e32 8, v24
; %bb.584:                              ;   in Loop: Header=BB256_497 Depth=1
	s_delay_alu instid0(VALU_DEP_2) | instskip(NEXT) | instid1(VALU_DEP_1)
	v_clz_i32_u32_e32 v22, v22
	v_min_u32_e32 v24, 32, v22
	s_delay_alu instid0(VALU_DEP_1) | instskip(NEXT) | instid1(VALU_DEP_1)
	v_subrev_nc_u32_e32 v22, 28, v24
	v_lshlrev_b64_e32 v[22:23], v22, v[10:11]
	s_delay_alu instid0(VALU_DEP_1)
	v_dual_sub_nc_u32 v23, 29, v24 :: v_dual_bitop2_b32 v22, 7, v22 bitop3:0x40
; %bb.585:                              ;   in Loop: Header=BB256_497 Depth=1
	s_or_b32 exec_lo, exec_lo, s26
	v_lshlrev_b32_e32 v10, 8, v10
	s_delay_alu instid0(VALU_DEP_2) | instskip(NEXT) | instid1(VALU_DEP_3)
	v_lshl_add_u32 v23, v23, 10, 0x2000
	v_lshlrev_b32_e32 v22, 7, v22
	s_delay_alu instid0(VALU_DEP_3) | instskip(NEXT) | instid1(VALU_DEP_3)
	v_and_b32_e32 v10, 0x8000, v10
	v_and_b32_e32 v23, 0xfc00, v23
	s_delay_alu instid0(VALU_DEP_1)
	v_or3_b32 v22, v10, v23, v22
.LBB256_586:                            ;   in Loop: Header=BB256_497 Depth=1
	s_or_b32 exec_lo, exec_lo, s25
.LBB256_587:                            ;   in Loop: Header=BB256_497 Depth=1
	s_delay_alu instid0(SALU_CYCLE_1)
	s_or_b32 exec_lo, exec_lo, s24
.LBB256_588:                            ;   in Loop: Header=BB256_497 Depth=1
	s_delay_alu instid0(SALU_CYCLE_1) | instskip(NEXT) | instid1(SALU_CYCLE_1)
	s_or_b32 exec_lo, exec_lo, s23
	s_mov_b32 s23, exec_lo
	v_cmpx_lt_u32_e32 0xffffff, v20
	s_cbranch_execz .LBB256_596
; %bb.589:                              ;   in Loop: Header=BB256_497 Depth=1
	v_lshrrev_b32_e32 v10, 24, v20
	v_bfrev_b32_e32 v19, 1
	s_mov_b32 s24, exec_lo
	s_delay_alu instid0(VALU_DEP_2)
	v_cmpx_ne_u32_e32 0x80, v10
	s_cbranch_execz .LBB256_595
; %bb.590:                              ;   in Loop: Header=BB256_497 Depth=1
	v_and_b32_e32 v24, 0x7f, v10
	v_mov_b32_e32 v19, 0x7c010000
	s_mov_b32 s25, exec_lo
	s_delay_alu instid0(VALU_DEP_2)
	v_cmpx_ne_u32_e32 0x7f, v24
	s_cbranch_execz .LBB256_594
; %bb.591:                              ;   in Loop: Header=BB256_497 Depth=1
	v_dual_lshrrev_b32 v23, 3, v24 :: v_dual_bitop2_b32 v19, 7, v10 bitop3:0x40
	s_mov_b32 s26, exec_lo
	v_cmpx_gt_u32_e32 8, v24
; %bb.592:                              ;   in Loop: Header=BB256_497 Depth=1
	s_delay_alu instid0(VALU_DEP_2) | instskip(NEXT) | instid1(VALU_DEP_1)
	v_clz_i32_u32_e32 v19, v19
	v_min_u32_e32 v19, 32, v19
	s_delay_alu instid0(VALU_DEP_1) | instskip(NEXT) | instid1(VALU_DEP_1)
	v_subrev_nc_u32_e32 v23, 28, v19
	v_lshlrev_b64_e32 v[24:25], v23, v[10:11]
	s_delay_alu instid0(VALU_DEP_1)
	v_dual_sub_nc_u32 v23, 29, v19 :: v_dual_bitop2_b32 v19, 7, v24 bitop3:0x40
; %bb.593:                              ;   in Loop: Header=BB256_497 Depth=1
	s_or_b32 exec_lo, exec_lo, s26
	s_delay_alu instid0(VALU_DEP_1) | instskip(NEXT) | instid1(VALU_DEP_2)
	v_dual_lshlrev_b32 v10, 8, v10 :: v_dual_lshlrev_b32 v19, 23, v19
	v_lshl_add_u32 v23, v23, 10, 0x2000
	s_delay_alu instid0(VALU_DEP_1) | instskip(NEXT) | instid1(VALU_DEP_1)
	v_and_or_b32 v10, 0x8000, v10, v23
	v_lshl_or_b32 v19, v10, 16, v19
.LBB256_594:                            ;   in Loop: Header=BB256_497 Depth=1
	s_or_b32 exec_lo, exec_lo, s25
.LBB256_595:                            ;   in Loop: Header=BB256_497 Depth=1
	s_delay_alu instid0(SALU_CYCLE_1)
	s_or_b32 exec_lo, exec_lo, s24
.LBB256_596:                            ;   in Loop: Header=BB256_497 Depth=1
	s_delay_alu instid0(SALU_CYCLE_1) | instskip(SKIP_4) | instid1(VALU_DEP_3)
	s_or_b32 exec_lo, exec_lo, s23
	v_and_b32_e32 v25, 0xff, v21
	v_dual_mov_b32 v10, v21 :: v_dual_mov_b32 v24, 0
	v_mov_b32_e32 v23, 0
	s_mov_b32 s23, exec_lo
	v_cmpx_ne_u16_e32 0, v25
	s_cbranch_execz .LBB256_604
; %bb.597:                              ;   in Loop: Header=BB256_497 Depth=1
	v_mov_b32_e32 v23, 0x8000
	s_mov_b32 s24, exec_lo
	v_cmpx_ne_u16_e32 0x80, v25
	s_cbranch_execz .LBB256_603
; %bb.598:                              ;   in Loop: Header=BB256_497 Depth=1
	v_and_b32_e32 v26, 0x7f, v21
	v_mov_b32_e32 v23, 0x7c01
	s_mov_b32 s25, exec_lo
	s_delay_alu instid0(VALU_DEP_2)
	v_cmpx_ne_u32_e32 0x7f, v26
	s_cbranch_execz .LBB256_602
; %bb.599:                              ;   in Loop: Header=BB256_497 Depth=1
	v_dual_lshrrev_b32 v25, 3, v26 :: v_dual_bitop2_b32 v23, 7, v21 bitop3:0x40
	s_mov_b32 s26, exec_lo
	v_cmpx_gt_u32_e32 8, v26
; %bb.600:                              ;   in Loop: Header=BB256_497 Depth=1
	s_delay_alu instid0(VALU_DEP_2) | instskip(NEXT) | instid1(VALU_DEP_1)
	v_clz_i32_u32_e32 v23, v23
	v_min_u32_e32 v23, 32, v23
	s_delay_alu instid0(VALU_DEP_1) | instskip(NEXT) | instid1(VALU_DEP_1)
	v_subrev_nc_u32_e32 v25, 28, v23
	v_lshlrev_b64_e32 v[44:45], v25, v[10:11]
	s_delay_alu instid0(VALU_DEP_1)
	v_dual_sub_nc_u32 v25, 29, v23 :: v_dual_bitop2_b32 v23, 7, v44 bitop3:0x40
; %bb.601:                              ;   in Loop: Header=BB256_497 Depth=1
	s_or_b32 exec_lo, exec_lo, s26
	s_delay_alu instid0(VALU_DEP_1) | instskip(NEXT) | instid1(VALU_DEP_2)
	v_dual_lshlrev_b32 v26, 8, v21 :: v_dual_lshlrev_b32 v23, 7, v23
	v_lshl_add_u32 v25, v25, 10, 0x2000
	s_delay_alu instid0(VALU_DEP_2) | instskip(NEXT) | instid1(VALU_DEP_2)
	v_and_b32_e32 v26, 0x8000, v26
	v_and_b32_e32 v25, 0xfc00, v25
	s_delay_alu instid0(VALU_DEP_1)
	v_or3_b32 v23, v26, v25, v23
.LBB256_602:                            ;   in Loop: Header=BB256_497 Depth=1
	s_or_b32 exec_lo, exec_lo, s25
.LBB256_603:                            ;   in Loop: Header=BB256_497 Depth=1
	s_delay_alu instid0(SALU_CYCLE_1)
	s_or_b32 exec_lo, exec_lo, s24
.LBB256_604:                            ;   in Loop: Header=BB256_497 Depth=1
	s_delay_alu instid0(SALU_CYCLE_1) | instskip(SKIP_3) | instid1(VALU_DEP_2)
	s_or_b32 exec_lo, exec_lo, s23
	v_lshrrev_b16 v10, 8, v10
	v_mov_b32_e32 v25, 0
	s_mov_b32 s23, exec_lo
	v_cmpx_ne_u16_e32 0, v10
	s_cbranch_execz .LBB256_612
; %bb.605:                              ;   in Loop: Header=BB256_497 Depth=1
	v_bfrev_b32_e32 v25, 1
	s_mov_b32 s24, exec_lo
	v_cmpx_ne_u16_e32 0x80, v10
	s_cbranch_execz .LBB256_611
; %bb.606:                              ;   in Loop: Header=BB256_497 Depth=1
	v_and_b32_e32 v26, 0xffff, v10
	v_mov_b32_e32 v25, 0x7c010000
	s_mov_b32 s25, exec_lo
	s_delay_alu instid0(VALU_DEP_2) | instskip(NEXT) | instid1(VALU_DEP_1)
	v_and_b32_e32 v45, 0x7f, v26
	v_cmpx_ne_u32_e32 0x7f, v45
	s_cbranch_execz .LBB256_610
; %bb.607:                              ;   in Loop: Header=BB256_497 Depth=1
	v_dual_lshrrev_b32 v44, 3, v45 :: v_dual_bitop2_b32 v25, 7, v26 bitop3:0x40
	s_mov_b32 s26, exec_lo
	v_cmpx_gt_u32_e32 8, v45
; %bb.608:                              ;   in Loop: Header=BB256_497 Depth=1
	s_delay_alu instid0(VALU_DEP_2) | instskip(NEXT) | instid1(VALU_DEP_1)
	v_clz_i32_u32_e32 v25, v25
	v_min_u32_e32 v25, 32, v25
	s_delay_alu instid0(VALU_DEP_1) | instskip(NEXT) | instid1(VALU_DEP_1)
	v_subrev_nc_u32_e32 v44, 28, v25
	v_lshlrev_b64_e32 v[52:53], v44, v[10:11]
	s_delay_alu instid0(VALU_DEP_1)
	v_dual_sub_nc_u32 v44, 29, v25 :: v_dual_bitop2_b32 v25, 7, v52 bitop3:0x40
; %bb.609:                              ;   in Loop: Header=BB256_497 Depth=1
	s_or_b32 exec_lo, exec_lo, s26
	s_delay_alu instid0(VALU_DEP_1) | instskip(NEXT) | instid1(VALU_DEP_2)
	v_dual_lshlrev_b32 v10, 8, v26 :: v_dual_lshlrev_b32 v25, 23, v25
	v_lshl_add_u32 v26, v44, 10, 0x2000
	s_delay_alu instid0(VALU_DEP_1) | instskip(NEXT) | instid1(VALU_DEP_1)
	v_and_or_b32 v10, 0x8000, v10, v26
	v_lshl_or_b32 v25, v10, 16, v25
.LBB256_610:                            ;   in Loop: Header=BB256_497 Depth=1
	s_or_b32 exec_lo, exec_lo, s25
.LBB256_611:                            ;   in Loop: Header=BB256_497 Depth=1
	s_delay_alu instid0(SALU_CYCLE_1)
	s_or_b32 exec_lo, exec_lo, s24
.LBB256_612:                            ;   in Loop: Header=BB256_497 Depth=1
	s_delay_alu instid0(SALU_CYCLE_1) | instskip(SKIP_2) | instid1(VALU_DEP_1)
	s_or_b32 exec_lo, exec_lo, s23
	v_lshrrev_b32_e32 v10, 16, v21
	s_mov_b32 s23, exec_lo
	v_and_b32_e32 v26, 0xff, v10
	s_delay_alu instid0(VALU_DEP_1)
	v_cmpx_ne_u16_e32 0, v26
	s_cbranch_execz .LBB256_620
; %bb.613:                              ;   in Loop: Header=BB256_497 Depth=1
	v_mov_b32_e32 v24, 0x8000
	s_mov_b32 s24, exec_lo
	v_cmpx_ne_u16_e32 0x80, v26
	s_cbranch_execz .LBB256_619
; %bb.614:                              ;   in Loop: Header=BB256_497 Depth=1
	v_bfe_u32 v44, v21, 16, 7
	v_mov_b32_e32 v24, 0x7c01
	s_mov_b32 s25, exec_lo
	s_delay_alu instid0(VALU_DEP_2)
	v_cmpx_ne_u32_e32 0x7f, v44
	s_cbranch_execz .LBB256_618
; %bb.615:                              ;   in Loop: Header=BB256_497 Depth=1
	v_dual_lshrrev_b32 v26, 3, v44 :: v_dual_bitop2_b32 v24, 7, v10 bitop3:0x40
	s_mov_b32 s26, exec_lo
	v_cmpx_gt_u32_e32 8, v44
; %bb.616:                              ;   in Loop: Header=BB256_497 Depth=1
	s_delay_alu instid0(VALU_DEP_2) | instskip(NEXT) | instid1(VALU_DEP_1)
	v_clz_i32_u32_e32 v24, v24
	v_min_u32_e32 v24, 32, v24
	s_delay_alu instid0(VALU_DEP_1) | instskip(NEXT) | instid1(VALU_DEP_1)
	v_subrev_nc_u32_e32 v26, 28, v24
	v_lshlrev_b64_e32 v[44:45], v26, v[10:11]
	v_sub_nc_u32_e32 v26, 29, v24
	s_delay_alu instid0(VALU_DEP_2)
	v_and_b32_e32 v24, 7, v44
; %bb.617:                              ;   in Loop: Header=BB256_497 Depth=1
	s_or_b32 exec_lo, exec_lo, s26
	s_delay_alu instid0(VALU_DEP_1) | instskip(NEXT) | instid1(VALU_DEP_3)
	v_dual_lshlrev_b32 v10, 8, v10 :: v_dual_lshlrev_b32 v24, 7, v24
	v_lshl_add_u32 v26, v26, 10, 0x2000
	s_delay_alu instid0(VALU_DEP_2) | instskip(NEXT) | instid1(VALU_DEP_2)
	v_and_b32_e32 v10, 0x8000, v10
	v_and_b32_e32 v26, 0xfc00, v26
	s_delay_alu instid0(VALU_DEP_1)
	v_or3_b32 v24, v10, v26, v24
.LBB256_618:                            ;   in Loop: Header=BB256_497 Depth=1
	s_or_b32 exec_lo, exec_lo, s25
.LBB256_619:                            ;   in Loop: Header=BB256_497 Depth=1
	s_delay_alu instid0(SALU_CYCLE_1)
	s_or_b32 exec_lo, exec_lo, s24
.LBB256_620:                            ;   in Loop: Header=BB256_497 Depth=1
	s_delay_alu instid0(SALU_CYCLE_1)
	s_or_b32 exec_lo, exec_lo, s23
	v_cmp_lt_u64_e64 s0, s[8:9], v[20:21]
	v_mov_b32_e32 v20, 0
	s_and_saveexec_b32 s23, s0
	s_cbranch_execz .LBB256_628
; %bb.621:                              ;   in Loop: Header=BB256_497 Depth=1
	v_lshrrev_b32_e32 v10, 24, v21
	v_bfrev_b32_e32 v20, 1
	s_mov_b32 s24, exec_lo
	s_delay_alu instid0(VALU_DEP_2)
	v_cmpx_ne_u32_e32 0x80, v10
	s_cbranch_execz .LBB256_627
; %bb.622:                              ;   in Loop: Header=BB256_497 Depth=1
	v_and_b32_e32 v26, 0x7f, v10
	v_mov_b32_e32 v20, 0x7c010000
	s_mov_b32 s25, exec_lo
	s_delay_alu instid0(VALU_DEP_2)
	v_cmpx_ne_u32_e32 0x7f, v26
	s_cbranch_execz .LBB256_626
; %bb.623:                              ;   in Loop: Header=BB256_497 Depth=1
	v_and_b32_e32 v20, 7, v10
	v_lshrrev_b32_e32 v21, 3, v26
	s_mov_b32 s26, exec_lo
	v_cmpx_gt_u32_e32 8, v26
; %bb.624:                              ;   in Loop: Header=BB256_497 Depth=1
	s_delay_alu instid0(VALU_DEP_3) | instskip(NEXT) | instid1(VALU_DEP_1)
	v_clz_i32_u32_e32 v20, v20
	v_min_u32_e32 v26, 32, v20
	s_delay_alu instid0(VALU_DEP_1) | instskip(NEXT) | instid1(VALU_DEP_1)
	v_subrev_nc_u32_e32 v20, 28, v26
	v_lshlrev_b64_e32 v[20:21], v20, v[10:11]
	s_delay_alu instid0(VALU_DEP_1)
	v_dual_sub_nc_u32 v21, 29, v26 :: v_dual_bitop2_b32 v20, 7, v20 bitop3:0x40
; %bb.625:                              ;   in Loop: Header=BB256_497 Depth=1
	s_or_b32 exec_lo, exec_lo, s26
	s_delay_alu instid0(VALU_DEP_1) | instskip(NEXT) | instid1(VALU_DEP_2)
	v_dual_lshlrev_b32 v10, 8, v10 :: v_dual_lshlrev_b32 v20, 23, v20
	v_lshl_add_u32 v21, v21, 10, 0x2000
	s_delay_alu instid0(VALU_DEP_1) | instskip(NEXT) | instid1(VALU_DEP_1)
	v_and_or_b32 v10, 0x8000, v10, v21
	v_lshl_or_b32 v20, v10, 16, v20
.LBB256_626:                            ;   in Loop: Header=BB256_497 Depth=1
	s_or_b32 exec_lo, exec_lo, s25
.LBB256_627:                            ;   in Loop: Header=BB256_497 Depth=1
	s_delay_alu instid0(SALU_CYCLE_1)
	s_or_b32 exec_lo, exec_lo, s24
.LBB256_628:                            ;   in Loop: Header=BB256_497 Depth=1
	s_delay_alu instid0(SALU_CYCLE_1) | instskip(SKIP_3) | instid1(VALU_DEP_3)
	s_or_b32 exec_lo, exec_lo, s23
	v_dual_lshrrev_b32 v10, 16, v1 :: v_dual_lshrrev_b32 v21, 16, v19
	v_or_b32_e32 v1, v1, v3
	v_dual_lshrrev_b32 v22, 16, v20 :: v_dual_bitop2_b32 v3, v19, v22 bitop3:0x54
	v_cvt_f32_f16_e32 v45, v10
	s_delay_alu instid0(VALU_DEP_4) | instskip(SKIP_4) | instid1(VALU_DEP_3)
	v_cvt_f32_f16_e32 v44, v21
	v_lshrrev_b32_e32 v19, 16, v25
	v_cvt_f32_f16_e32 v21, v1
	v_cvt_f32_f16_e32 v22, v22
	s_wait_loadcnt 0x0
	v_pk_mul_f32 v[44:45], v[18:19], v[44:45] op_sel_hi:[0,1]
	s_delay_alu instid0(VALU_DEP_1) | instskip(SKIP_4) | instid1(VALU_DEP_3)
	v_cvt_pk_f16_f32 v1, v44, v45
	v_or_b32_e32 v10, v20, v24
	v_cvt_f32_f16_e32 v20, v3
	v_or_b32_e32 v3, v25, v23
	v_cvt_f32_f16_e32 v23, v19
	v_pk_mul_f32 v[20:21], v[18:19], v[20:21] op_sel_hi:[0,1]
	s_delay_alu instid0(VALU_DEP_3) | instskip(NEXT) | instid1(VALU_DEP_3)
	v_cvt_f32_f16_e32 v25, v3
	v_pk_mul_f32 v[22:23], v[18:19], v[22:23] op_sel_hi:[0,1]
	s_delay_alu instid0(VALU_DEP_3) | instskip(SKIP_2) | instid1(VALU_DEP_4)
	v_cvt_pk_f16_f32 v3, v20, v21
	v_lshlrev_b32_e32 v20, 16, v1
	v_cvt_f32_f16_e32 v24, v10
	v_cvt_pk_f16_f32 v10, v22, v23
	s_delay_alu instid0(VALU_DEP_4) | instskip(NEXT) | instid1(VALU_DEP_3)
	v_and_b32_e32 v26, 0xffff, v3
	v_pk_mul_f32 v[24:25], v[18:19], v[24:25] op_sel_hi:[0,1]
	v_and_b32_e32 v19, 0xffff0000, v1
	s_delay_alu instid0(VALU_DEP_4) | instskip(SKIP_1) | instid1(VALU_DEP_4)
	v_and_b32_e32 v1, 0xffff0000, v10
	v_lshlrev_b32_e32 v10, 16, v10
	v_cvt_pk_f16_f32 v18, v24, v25
	v_dual_lshrrev_b32 v25, 16, v3 :: v_dual_bitop2_b32 v24, v20, v26 bitop3:0x54
	s_delay_alu instid0(VALU_DEP_2) | instskip(SKIP_1) | instid1(VALU_DEP_3)
	v_lshrrev_b32_e32 v3, 16, v18
	v_and_b32_e32 v18, 0xffff, v18
	v_or_b32_e32 v23, v19, v25
	s_delay_alu instid0(VALU_DEP_3) | instskip(NEXT) | instid1(VALU_DEP_3)
	v_or_b32_e32 v21, v1, v3
	v_or_b32_e32 v22, v10, v18
	s_and_saveexec_b32 s23, vcc_lo
	s_cbranch_execz .LBB256_630
; %bb.629:                              ;   in Loop: Header=BB256_497 Depth=1
	v_cmp_gt_i32_e64 s0, s18, v36
	s_delay_alu instid0(VALU_DEP_1) | instskip(SKIP_1) | instid1(VALU_DEP_1)
	v_cndmask_b32_e64 v21, 0, v25, s0
	v_cmp_gt_i32_e64 s0, s34, v43
	v_cndmask_b32_e64 v22, 0, v26, s0
	v_cmp_gt_i32_e64 s0, s18, v42
	s_delay_alu instid0(VALU_DEP_1) | instskip(SKIP_1) | instid1(VALU_DEP_1)
	v_cndmask_b32_e64 v19, 0, v19, s0
	v_cmp_gt_i32_e64 s0, s34, v41
	v_cndmask_b32_e64 v20, 0, v20, s0
	v_cmp_gt_i32_e64 s0, s18, v40
	s_delay_alu instid0(VALU_DEP_4) | instskip(NEXT) | instid1(VALU_DEP_2)
	v_or_b32_e32 v23, v19, v21
	v_dual_cndmask_b32 v3, 0, v3, s0 :: v_dual_bitop2_b32 v24, v20, v22 bitop3:0x54
	v_cmp_gt_i32_e64 s0, s34, v39
	s_delay_alu instid0(VALU_DEP_1) | instskip(SKIP_1) | instid1(VALU_DEP_1)
	v_cndmask_b32_e64 v18, 0, v18, s0
	v_cmp_gt_i32_e64 s0, s18, v38
	v_cndmask_b32_e64 v1, 0, v1, s0
	v_cmp_gt_i32_e64 s0, s34, v37
	s_delay_alu instid0(VALU_DEP_1) | instskip(NEXT) | instid1(VALU_DEP_1)
	v_dual_cndmask_b32 v10, 0, v10, s0 :: v_dual_bitop2_b32 v21, v1, v3 bitop3:0x54
	v_or_b32_e32 v22, v10, v18
.LBB256_630:                            ;   in Loop: Header=BB256_497 Depth=1
	s_or_b32 exec_lo, exec_lo, s23
	;;#ASMSTART
	v_pk_mul_f16 v1, v51, v23;

	;;#ASMEND
	;;#ASMSTART
	v_pk_mul_f16 v3, v48, v24;

	;;#ASMEND
	;; [unrolled: 4-line block ×4, first 2 shown]
	;;#ASMSTART
	v_pk_add_f16 v1, v1, v3;

	;;#ASMEND
	;;#ASMSTART
	v_pk_add_f16 v1, v1, v10;

	;;#ASMEND
	;; [unrolled: 4-line block ×3, first 2 shown]
	v_and_b32_e32 v3, 0xffff, v1
	v_lshrrev_b32_e32 v1, 16, v1
	;;#ASMSTART
	v_cvt_f32_f16 v52, v3;
	;;#ASMEND
	v_mov_b32_e32 v3, 0
	;;#ASMSTART
	v_cvt_f32_f16 v53, v1;
	;;#ASMEND
	global_load_b64 v[20:21], v[16:17], off offset:512
	v_mov_b32_e32 v1, 0
	s_mov_b32 s23, exec_lo
	global_load_b32 v18, v1, s[10:11]
	s_wait_loadcnt 0x1
	v_and_b32_e32 v10, 0xff, v20
	s_wait_xcnt 0x0
	s_delay_alu instid0(VALU_DEP_1)
	v_cmpx_ne_u16_e32 0, v10
	s_cbranch_execz .LBB256_638
; %bb.631:                              ;   in Loop: Header=BB256_497 Depth=1
	v_mov_b32_e32 v3, 0x8000
	s_mov_b32 s24, exec_lo
	v_cmpx_ne_u16_e32 0x80, v10
	s_cbranch_execz .LBB256_637
; %bb.632:                              ;   in Loop: Header=BB256_497 Depth=1
	v_and_b32_e32 v19, 0x7f, v20
	v_mov_b32_e32 v3, 0x7c01
	s_mov_b32 s25, exec_lo
	s_delay_alu instid0(VALU_DEP_2)
	v_cmpx_ne_u32_e32 0x7f, v19
	s_cbranch_execz .LBB256_636
; %bb.633:                              ;   in Loop: Header=BB256_497 Depth=1
	v_dual_lshrrev_b32 v10, 3, v19 :: v_dual_bitop2_b32 v3, 7, v20 bitop3:0x40
	s_mov_b32 s26, exec_lo
	v_cmpx_gt_u32_e32 8, v19
; %bb.634:                              ;   in Loop: Header=BB256_497 Depth=1
	s_delay_alu instid0(VALU_DEP_2) | instskip(NEXT) | instid1(VALU_DEP_1)
	v_clz_i32_u32_e32 v3, v3
	v_min_u32_e32 v3, 32, v3
	s_delay_alu instid0(VALU_DEP_1) | instskip(NEXT) | instid1(VALU_DEP_1)
	v_subrev_nc_u32_e32 v10, 28, v3
	v_lshlrev_b64_e32 v[22:23], v10, v[20:21]
	s_delay_alu instid0(VALU_DEP_1)
	v_dual_sub_nc_u32 v10, 29, v3 :: v_dual_bitop2_b32 v3, 7, v22 bitop3:0x40
; %bb.635:                              ;   in Loop: Header=BB256_497 Depth=1
	s_or_b32 exec_lo, exec_lo, s26
	s_delay_alu instid0(VALU_DEP_1) | instskip(NEXT) | instid1(VALU_DEP_2)
	v_dual_lshlrev_b32 v19, 8, v20 :: v_dual_lshlrev_b32 v3, 7, v3
	v_lshl_add_u32 v10, v10, 10, 0x2000
	s_delay_alu instid0(VALU_DEP_2) | instskip(NEXT) | instid1(VALU_DEP_2)
	v_and_b32_e32 v19, 0x8000, v19
	v_and_b32_e32 v10, 0xfc00, v10
	s_delay_alu instid0(VALU_DEP_1)
	v_or3_b32 v3, v19, v10, v3
.LBB256_636:                            ;   in Loop: Header=BB256_497 Depth=1
	s_or_b32 exec_lo, exec_lo, s25
.LBB256_637:                            ;   in Loop: Header=BB256_497 Depth=1
	s_delay_alu instid0(SALU_CYCLE_1)
	s_or_b32 exec_lo, exec_lo, s24
.LBB256_638:                            ;   in Loop: Header=BB256_497 Depth=1
	s_delay_alu instid0(SALU_CYCLE_1) | instskip(SKIP_2) | instid1(VALU_DEP_1)
	s_or_b32 exec_lo, exec_lo, s23
	v_lshrrev_b16 v10, 8, v20
	s_mov_b32 s23, exec_lo
	v_cmpx_ne_u16_e32 0, v10
	s_cbranch_execz .LBB256_646
; %bb.639:                              ;   in Loop: Header=BB256_497 Depth=1
	v_bfrev_b32_e32 v1, 1
	s_mov_b32 s24, exec_lo
	v_cmpx_ne_u16_e32 0x80, v10
	s_cbranch_execz .LBB256_645
; %bb.640:                              ;   in Loop: Header=BB256_497 Depth=1
	v_and_b32_e32 v19, 0xffff, v10
	v_mov_b32_e32 v1, 0x7c010000
	s_mov_b32 s25, exec_lo
	s_delay_alu instid0(VALU_DEP_2) | instskip(NEXT) | instid1(VALU_DEP_1)
	v_and_b32_e32 v23, 0x7f, v19
	v_cmpx_ne_u32_e32 0x7f, v23
	s_cbranch_execz .LBB256_644
; %bb.641:                              ;   in Loop: Header=BB256_497 Depth=1
	v_and_b32_e32 v1, 7, v19
	v_lshrrev_b32_e32 v22, 3, v23
	s_mov_b32 s26, exec_lo
	v_cmpx_gt_u32_e32 8, v23
; %bb.642:                              ;   in Loop: Header=BB256_497 Depth=1
	s_delay_alu instid0(VALU_DEP_3) | instskip(NEXT) | instid1(VALU_DEP_1)
	v_clz_i32_u32_e32 v1, v1
	v_min_u32_e32 v1, 32, v1
	s_delay_alu instid0(VALU_DEP_1) | instskip(NEXT) | instid1(VALU_DEP_1)
	v_subrev_nc_u32_e32 v22, 28, v1
	v_lshlrev_b64_e32 v[24:25], v22, v[10:11]
	s_delay_alu instid0(VALU_DEP_1)
	v_dual_sub_nc_u32 v22, 29, v1 :: v_dual_bitop2_b32 v1, 7, v24 bitop3:0x40
; %bb.643:                              ;   in Loop: Header=BB256_497 Depth=1
	s_or_b32 exec_lo, exec_lo, s26
	s_delay_alu instid0(VALU_DEP_1) | instskip(NEXT) | instid1(VALU_DEP_2)
	v_dual_lshlrev_b32 v10, 8, v19 :: v_dual_lshlrev_b32 v1, 23, v1
	v_lshl_add_u32 v19, v22, 10, 0x2000
	s_delay_alu instid0(VALU_DEP_1) | instskip(NEXT) | instid1(VALU_DEP_1)
	v_and_or_b32 v10, 0x8000, v10, v19
	v_lshl_or_b32 v1, v10, 16, v1
.LBB256_644:                            ;   in Loop: Header=BB256_497 Depth=1
	s_or_b32 exec_lo, exec_lo, s25
.LBB256_645:                            ;   in Loop: Header=BB256_497 Depth=1
	s_delay_alu instid0(SALU_CYCLE_1)
	s_or_b32 exec_lo, exec_lo, s24
.LBB256_646:                            ;   in Loop: Header=BB256_497 Depth=1
	s_delay_alu instid0(SALU_CYCLE_1) | instskip(SKIP_3) | instid1(VALU_DEP_2)
	s_or_b32 exec_lo, exec_lo, s23
	v_dual_mov_b32 v19, 0 :: v_dual_lshrrev_b32 v10, 16, v20
	v_mov_b32_e32 v22, 0
	s_mov_b32 s23, exec_lo
	v_and_b32_e32 v23, 0xff, v10
	s_delay_alu instid0(VALU_DEP_1)
	v_cmpx_ne_u16_e32 0, v23
	s_cbranch_execz .LBB256_654
; %bb.647:                              ;   in Loop: Header=BB256_497 Depth=1
	v_mov_b32_e32 v22, 0x8000
	s_mov_b32 s24, exec_lo
	v_cmpx_ne_u16_e32 0x80, v23
	s_cbranch_execz .LBB256_653
; %bb.648:                              ;   in Loop: Header=BB256_497 Depth=1
	v_bfe_u32 v24, v20, 16, 7
	v_mov_b32_e32 v22, 0x7c01
	s_mov_b32 s25, exec_lo
	s_delay_alu instid0(VALU_DEP_2)
	v_cmpx_ne_u32_e32 0x7f, v24
	s_cbranch_execz .LBB256_652
; %bb.649:                              ;   in Loop: Header=BB256_497 Depth=1
	v_dual_lshrrev_b32 v23, 3, v24 :: v_dual_bitop2_b32 v22, 7, v10 bitop3:0x40
	s_mov_b32 s26, exec_lo
	v_cmpx_gt_u32_e32 8, v24
; %bb.650:                              ;   in Loop: Header=BB256_497 Depth=1
	s_delay_alu instid0(VALU_DEP_2) | instskip(NEXT) | instid1(VALU_DEP_1)
	v_clz_i32_u32_e32 v22, v22
	v_min_u32_e32 v24, 32, v22
	s_delay_alu instid0(VALU_DEP_1) | instskip(NEXT) | instid1(VALU_DEP_1)
	v_subrev_nc_u32_e32 v22, 28, v24
	v_lshlrev_b64_e32 v[22:23], v22, v[10:11]
	s_delay_alu instid0(VALU_DEP_1)
	v_dual_sub_nc_u32 v23, 29, v24 :: v_dual_bitop2_b32 v22, 7, v22 bitop3:0x40
; %bb.651:                              ;   in Loop: Header=BB256_497 Depth=1
	s_or_b32 exec_lo, exec_lo, s26
	v_lshlrev_b32_e32 v10, 8, v10
	s_delay_alu instid0(VALU_DEP_2) | instskip(NEXT) | instid1(VALU_DEP_3)
	v_lshl_add_u32 v23, v23, 10, 0x2000
	v_lshlrev_b32_e32 v22, 7, v22
	s_delay_alu instid0(VALU_DEP_3) | instskip(NEXT) | instid1(VALU_DEP_3)
	v_and_b32_e32 v10, 0x8000, v10
	v_and_b32_e32 v23, 0xfc00, v23
	s_delay_alu instid0(VALU_DEP_1)
	v_or3_b32 v22, v10, v23, v22
.LBB256_652:                            ;   in Loop: Header=BB256_497 Depth=1
	s_or_b32 exec_lo, exec_lo, s25
.LBB256_653:                            ;   in Loop: Header=BB256_497 Depth=1
	s_delay_alu instid0(SALU_CYCLE_1)
	s_or_b32 exec_lo, exec_lo, s24
.LBB256_654:                            ;   in Loop: Header=BB256_497 Depth=1
	s_delay_alu instid0(SALU_CYCLE_1) | instskip(NEXT) | instid1(SALU_CYCLE_1)
	s_or_b32 exec_lo, exec_lo, s23
	s_mov_b32 s23, exec_lo
	v_cmpx_lt_u32_e32 0xffffff, v20
	s_cbranch_execz .LBB256_662
; %bb.655:                              ;   in Loop: Header=BB256_497 Depth=1
	v_lshrrev_b32_e32 v10, 24, v20
	v_bfrev_b32_e32 v19, 1
	s_mov_b32 s24, exec_lo
	s_delay_alu instid0(VALU_DEP_2)
	v_cmpx_ne_u32_e32 0x80, v10
	s_cbranch_execz .LBB256_661
; %bb.656:                              ;   in Loop: Header=BB256_497 Depth=1
	v_and_b32_e32 v24, 0x7f, v10
	v_mov_b32_e32 v19, 0x7c010000
	s_mov_b32 s25, exec_lo
	s_delay_alu instid0(VALU_DEP_2)
	v_cmpx_ne_u32_e32 0x7f, v24
	s_cbranch_execz .LBB256_660
; %bb.657:                              ;   in Loop: Header=BB256_497 Depth=1
	v_dual_lshrrev_b32 v23, 3, v24 :: v_dual_bitop2_b32 v19, 7, v10 bitop3:0x40
	s_mov_b32 s26, exec_lo
	v_cmpx_gt_u32_e32 8, v24
; %bb.658:                              ;   in Loop: Header=BB256_497 Depth=1
	s_delay_alu instid0(VALU_DEP_2) | instskip(NEXT) | instid1(VALU_DEP_1)
	v_clz_i32_u32_e32 v19, v19
	v_min_u32_e32 v19, 32, v19
	s_delay_alu instid0(VALU_DEP_1) | instskip(NEXT) | instid1(VALU_DEP_1)
	v_subrev_nc_u32_e32 v23, 28, v19
	v_lshlrev_b64_e32 v[24:25], v23, v[10:11]
	s_delay_alu instid0(VALU_DEP_1)
	v_dual_sub_nc_u32 v23, 29, v19 :: v_dual_bitop2_b32 v19, 7, v24 bitop3:0x40
; %bb.659:                              ;   in Loop: Header=BB256_497 Depth=1
	s_or_b32 exec_lo, exec_lo, s26
	s_delay_alu instid0(VALU_DEP_1) | instskip(NEXT) | instid1(VALU_DEP_2)
	v_dual_lshlrev_b32 v10, 8, v10 :: v_dual_lshlrev_b32 v19, 23, v19
	v_lshl_add_u32 v23, v23, 10, 0x2000
	s_delay_alu instid0(VALU_DEP_1) | instskip(NEXT) | instid1(VALU_DEP_1)
	v_and_or_b32 v10, 0x8000, v10, v23
	v_lshl_or_b32 v19, v10, 16, v19
.LBB256_660:                            ;   in Loop: Header=BB256_497 Depth=1
	s_or_b32 exec_lo, exec_lo, s25
.LBB256_661:                            ;   in Loop: Header=BB256_497 Depth=1
	s_delay_alu instid0(SALU_CYCLE_1)
	s_or_b32 exec_lo, exec_lo, s24
.LBB256_662:                            ;   in Loop: Header=BB256_497 Depth=1
	s_delay_alu instid0(SALU_CYCLE_1) | instskip(SKIP_4) | instid1(VALU_DEP_3)
	s_or_b32 exec_lo, exec_lo, s23
	v_and_b32_e32 v25, 0xff, v21
	v_dual_mov_b32 v10, v21 :: v_dual_mov_b32 v24, 0
	v_mov_b32_e32 v23, 0
	s_mov_b32 s23, exec_lo
	v_cmpx_ne_u16_e32 0, v25
	s_cbranch_execz .LBB256_670
; %bb.663:                              ;   in Loop: Header=BB256_497 Depth=1
	v_mov_b32_e32 v23, 0x8000
	s_mov_b32 s24, exec_lo
	v_cmpx_ne_u16_e32 0x80, v25
	s_cbranch_execz .LBB256_669
; %bb.664:                              ;   in Loop: Header=BB256_497 Depth=1
	v_and_b32_e32 v26, 0x7f, v21
	v_mov_b32_e32 v23, 0x7c01
	s_mov_b32 s25, exec_lo
	s_delay_alu instid0(VALU_DEP_2)
	v_cmpx_ne_u32_e32 0x7f, v26
	s_cbranch_execz .LBB256_668
; %bb.665:                              ;   in Loop: Header=BB256_497 Depth=1
	v_dual_lshrrev_b32 v25, 3, v26 :: v_dual_bitop2_b32 v23, 7, v21 bitop3:0x40
	s_mov_b32 s26, exec_lo
	v_cmpx_gt_u32_e32 8, v26
; %bb.666:                              ;   in Loop: Header=BB256_497 Depth=1
	s_delay_alu instid0(VALU_DEP_2) | instskip(NEXT) | instid1(VALU_DEP_1)
	v_clz_i32_u32_e32 v23, v23
	v_min_u32_e32 v23, 32, v23
	s_delay_alu instid0(VALU_DEP_1) | instskip(NEXT) | instid1(VALU_DEP_1)
	v_subrev_nc_u32_e32 v25, 28, v23
	v_lshlrev_b64_e32 v[44:45], v25, v[10:11]
	s_delay_alu instid0(VALU_DEP_1)
	v_dual_sub_nc_u32 v25, 29, v23 :: v_dual_bitop2_b32 v23, 7, v44 bitop3:0x40
; %bb.667:                              ;   in Loop: Header=BB256_497 Depth=1
	s_or_b32 exec_lo, exec_lo, s26
	s_delay_alu instid0(VALU_DEP_1) | instskip(NEXT) | instid1(VALU_DEP_2)
	v_dual_lshlrev_b32 v26, 8, v21 :: v_dual_lshlrev_b32 v23, 7, v23
	v_lshl_add_u32 v25, v25, 10, 0x2000
	s_delay_alu instid0(VALU_DEP_2) | instskip(NEXT) | instid1(VALU_DEP_2)
	v_and_b32_e32 v26, 0x8000, v26
	v_and_b32_e32 v25, 0xfc00, v25
	s_delay_alu instid0(VALU_DEP_1)
	v_or3_b32 v23, v26, v25, v23
.LBB256_668:                            ;   in Loop: Header=BB256_497 Depth=1
	s_or_b32 exec_lo, exec_lo, s25
.LBB256_669:                            ;   in Loop: Header=BB256_497 Depth=1
	s_delay_alu instid0(SALU_CYCLE_1)
	s_or_b32 exec_lo, exec_lo, s24
.LBB256_670:                            ;   in Loop: Header=BB256_497 Depth=1
	s_delay_alu instid0(SALU_CYCLE_1) | instskip(SKIP_3) | instid1(VALU_DEP_2)
	s_or_b32 exec_lo, exec_lo, s23
	v_lshrrev_b16 v10, 8, v10
	v_mov_b32_e32 v25, 0
	s_mov_b32 s23, exec_lo
	v_cmpx_ne_u16_e32 0, v10
	s_cbranch_execz .LBB256_678
; %bb.671:                              ;   in Loop: Header=BB256_497 Depth=1
	v_bfrev_b32_e32 v25, 1
	s_mov_b32 s24, exec_lo
	v_cmpx_ne_u16_e32 0x80, v10
	s_cbranch_execz .LBB256_677
; %bb.672:                              ;   in Loop: Header=BB256_497 Depth=1
	v_and_b32_e32 v26, 0xffff, v10
	v_mov_b32_e32 v25, 0x7c010000
	s_mov_b32 s25, exec_lo
	s_delay_alu instid0(VALU_DEP_2) | instskip(NEXT) | instid1(VALU_DEP_1)
	v_and_b32_e32 v45, 0x7f, v26
	v_cmpx_ne_u32_e32 0x7f, v45
	s_cbranch_execz .LBB256_676
; %bb.673:                              ;   in Loop: Header=BB256_497 Depth=1
	v_dual_lshrrev_b32 v44, 3, v45 :: v_dual_bitop2_b32 v25, 7, v26 bitop3:0x40
	s_mov_b32 s26, exec_lo
	v_cmpx_gt_u32_e32 8, v45
; %bb.674:                              ;   in Loop: Header=BB256_497 Depth=1
	s_delay_alu instid0(VALU_DEP_2) | instskip(NEXT) | instid1(VALU_DEP_1)
	v_clz_i32_u32_e32 v25, v25
	v_min_u32_e32 v25, 32, v25
	s_delay_alu instid0(VALU_DEP_1) | instskip(NEXT) | instid1(VALU_DEP_1)
	v_subrev_nc_u32_e32 v44, 28, v25
	v_lshlrev_b64_e32 v[54:55], v44, v[10:11]
	s_delay_alu instid0(VALU_DEP_1)
	v_dual_sub_nc_u32 v44, 29, v25 :: v_dual_bitop2_b32 v25, 7, v54 bitop3:0x40
; %bb.675:                              ;   in Loop: Header=BB256_497 Depth=1
	s_or_b32 exec_lo, exec_lo, s26
	s_delay_alu instid0(VALU_DEP_1) | instskip(NEXT) | instid1(VALU_DEP_2)
	v_dual_lshlrev_b32 v10, 8, v26 :: v_dual_lshlrev_b32 v25, 23, v25
	v_lshl_add_u32 v26, v44, 10, 0x2000
	s_delay_alu instid0(VALU_DEP_1) | instskip(NEXT) | instid1(VALU_DEP_1)
	v_and_or_b32 v10, 0x8000, v10, v26
	v_lshl_or_b32 v25, v10, 16, v25
.LBB256_676:                            ;   in Loop: Header=BB256_497 Depth=1
	s_or_b32 exec_lo, exec_lo, s25
.LBB256_677:                            ;   in Loop: Header=BB256_497 Depth=1
	s_delay_alu instid0(SALU_CYCLE_1)
	s_or_b32 exec_lo, exec_lo, s24
.LBB256_678:                            ;   in Loop: Header=BB256_497 Depth=1
	s_delay_alu instid0(SALU_CYCLE_1) | instskip(SKIP_2) | instid1(VALU_DEP_1)
	s_or_b32 exec_lo, exec_lo, s23
	v_lshrrev_b32_e32 v10, 16, v21
	s_mov_b32 s23, exec_lo
	v_and_b32_e32 v26, 0xff, v10
	s_delay_alu instid0(VALU_DEP_1)
	v_cmpx_ne_u16_e32 0, v26
	s_cbranch_execz .LBB256_686
; %bb.679:                              ;   in Loop: Header=BB256_497 Depth=1
	v_mov_b32_e32 v24, 0x8000
	s_mov_b32 s24, exec_lo
	v_cmpx_ne_u16_e32 0x80, v26
	s_cbranch_execz .LBB256_685
; %bb.680:                              ;   in Loop: Header=BB256_497 Depth=1
	v_bfe_u32 v44, v21, 16, 7
	v_mov_b32_e32 v24, 0x7c01
	s_mov_b32 s25, exec_lo
	s_delay_alu instid0(VALU_DEP_2)
	v_cmpx_ne_u32_e32 0x7f, v44
	s_cbranch_execz .LBB256_684
; %bb.681:                              ;   in Loop: Header=BB256_497 Depth=1
	v_dual_lshrrev_b32 v26, 3, v44 :: v_dual_bitop2_b32 v24, 7, v10 bitop3:0x40
	s_mov_b32 s26, exec_lo
	v_cmpx_gt_u32_e32 8, v44
; %bb.682:                              ;   in Loop: Header=BB256_497 Depth=1
	s_delay_alu instid0(VALU_DEP_2) | instskip(NEXT) | instid1(VALU_DEP_1)
	v_clz_i32_u32_e32 v24, v24
	v_min_u32_e32 v24, 32, v24
	s_delay_alu instid0(VALU_DEP_1) | instskip(NEXT) | instid1(VALU_DEP_1)
	v_subrev_nc_u32_e32 v26, 28, v24
	v_lshlrev_b64_e32 v[44:45], v26, v[10:11]
	v_sub_nc_u32_e32 v26, 29, v24
	s_delay_alu instid0(VALU_DEP_2)
	v_and_b32_e32 v24, 7, v44
; %bb.683:                              ;   in Loop: Header=BB256_497 Depth=1
	s_or_b32 exec_lo, exec_lo, s26
	s_delay_alu instid0(VALU_DEP_1) | instskip(NEXT) | instid1(VALU_DEP_3)
	v_dual_lshlrev_b32 v10, 8, v10 :: v_dual_lshlrev_b32 v24, 7, v24
	v_lshl_add_u32 v26, v26, 10, 0x2000
	s_delay_alu instid0(VALU_DEP_2) | instskip(NEXT) | instid1(VALU_DEP_2)
	v_and_b32_e32 v10, 0x8000, v10
	v_and_b32_e32 v26, 0xfc00, v26
	s_delay_alu instid0(VALU_DEP_1)
	v_or3_b32 v24, v10, v26, v24
.LBB256_684:                            ;   in Loop: Header=BB256_497 Depth=1
	s_or_b32 exec_lo, exec_lo, s25
.LBB256_685:                            ;   in Loop: Header=BB256_497 Depth=1
	s_delay_alu instid0(SALU_CYCLE_1)
	s_or_b32 exec_lo, exec_lo, s24
.LBB256_686:                            ;   in Loop: Header=BB256_497 Depth=1
	s_delay_alu instid0(SALU_CYCLE_1)
	s_or_b32 exec_lo, exec_lo, s23
	v_cmp_lt_u64_e64 s0, s[8:9], v[20:21]
	v_mov_b32_e32 v20, 0
	s_and_saveexec_b32 s23, s0
	s_cbranch_execz .LBB256_694
; %bb.687:                              ;   in Loop: Header=BB256_497 Depth=1
	v_lshrrev_b32_e32 v10, 24, v21
	v_bfrev_b32_e32 v20, 1
	s_mov_b32 s24, exec_lo
	s_delay_alu instid0(VALU_DEP_2)
	v_cmpx_ne_u32_e32 0x80, v10
	s_cbranch_execz .LBB256_693
; %bb.688:                              ;   in Loop: Header=BB256_497 Depth=1
	v_and_b32_e32 v26, 0x7f, v10
	v_mov_b32_e32 v20, 0x7c010000
	s_mov_b32 s25, exec_lo
	s_delay_alu instid0(VALU_DEP_2)
	v_cmpx_ne_u32_e32 0x7f, v26
	s_cbranch_execz .LBB256_692
; %bb.689:                              ;   in Loop: Header=BB256_497 Depth=1
	v_and_b32_e32 v20, 7, v10
	v_lshrrev_b32_e32 v21, 3, v26
	s_mov_b32 s26, exec_lo
	v_cmpx_gt_u32_e32 8, v26
; %bb.690:                              ;   in Loop: Header=BB256_497 Depth=1
	s_delay_alu instid0(VALU_DEP_3) | instskip(NEXT) | instid1(VALU_DEP_1)
	v_clz_i32_u32_e32 v20, v20
	v_min_u32_e32 v26, 32, v20
	s_delay_alu instid0(VALU_DEP_1) | instskip(NEXT) | instid1(VALU_DEP_1)
	v_subrev_nc_u32_e32 v20, 28, v26
	v_lshlrev_b64_e32 v[20:21], v20, v[10:11]
	s_delay_alu instid0(VALU_DEP_1)
	v_dual_sub_nc_u32 v21, 29, v26 :: v_dual_bitop2_b32 v20, 7, v20 bitop3:0x40
; %bb.691:                              ;   in Loop: Header=BB256_497 Depth=1
	s_or_b32 exec_lo, exec_lo, s26
	s_delay_alu instid0(VALU_DEP_1) | instskip(NEXT) | instid1(VALU_DEP_2)
	v_dual_lshlrev_b32 v10, 8, v10 :: v_dual_lshlrev_b32 v20, 23, v20
	v_lshl_add_u32 v21, v21, 10, 0x2000
	s_delay_alu instid0(VALU_DEP_1) | instskip(NEXT) | instid1(VALU_DEP_1)
	v_and_or_b32 v10, 0x8000, v10, v21
	v_lshl_or_b32 v20, v10, 16, v20
.LBB256_692:                            ;   in Loop: Header=BB256_497 Depth=1
	s_or_b32 exec_lo, exec_lo, s25
.LBB256_693:                            ;   in Loop: Header=BB256_497 Depth=1
	s_delay_alu instid0(SALU_CYCLE_1)
	s_or_b32 exec_lo, exec_lo, s24
.LBB256_694:                            ;   in Loop: Header=BB256_497 Depth=1
	s_delay_alu instid0(SALU_CYCLE_1) | instskip(SKIP_3) | instid1(VALU_DEP_3)
	s_or_b32 exec_lo, exec_lo, s23
	v_dual_lshrrev_b32 v10, 16, v1 :: v_dual_lshrrev_b32 v21, 16, v19
	v_or_b32_e32 v1, v1, v3
	v_dual_lshrrev_b32 v22, 16, v20 :: v_dual_bitop2_b32 v3, v19, v22 bitop3:0x54
	v_cvt_f32_f16_e32 v45, v10
	s_delay_alu instid0(VALU_DEP_4) | instskip(SKIP_4) | instid1(VALU_DEP_3)
	v_cvt_f32_f16_e32 v44, v21
	v_lshrrev_b32_e32 v19, 16, v25
	v_cvt_f32_f16_e32 v21, v1
	v_cvt_f32_f16_e32 v22, v22
	s_wait_loadcnt 0x0
	v_pk_mul_f32 v[44:45], v[18:19], v[44:45] op_sel_hi:[0,1]
	s_delay_alu instid0(VALU_DEP_1) | instskip(SKIP_4) | instid1(VALU_DEP_3)
	v_cvt_pk_f16_f32 v1, v44, v45
	v_or_b32_e32 v10, v20, v24
	v_cvt_f32_f16_e32 v20, v3
	v_or_b32_e32 v3, v25, v23
	v_cvt_f32_f16_e32 v23, v19
	v_pk_mul_f32 v[20:21], v[18:19], v[20:21] op_sel_hi:[0,1]
	s_delay_alu instid0(VALU_DEP_3) | instskip(NEXT) | instid1(VALU_DEP_3)
	v_cvt_f32_f16_e32 v25, v3
	v_pk_mul_f32 v[22:23], v[18:19], v[22:23] op_sel_hi:[0,1]
	s_delay_alu instid0(VALU_DEP_3) | instskip(SKIP_2) | instid1(VALU_DEP_4)
	v_cvt_pk_f16_f32 v3, v20, v21
	v_lshlrev_b32_e32 v20, 16, v1
	v_cvt_f32_f16_e32 v24, v10
	v_cvt_pk_f16_f32 v10, v22, v23
	s_delay_alu instid0(VALU_DEP_4) | instskip(NEXT) | instid1(VALU_DEP_3)
	v_and_b32_e32 v26, 0xffff, v3
	v_pk_mul_f32 v[24:25], v[18:19], v[24:25] op_sel_hi:[0,1]
	v_and_b32_e32 v19, 0xffff0000, v1
	s_delay_alu instid0(VALU_DEP_4) | instskip(SKIP_1) | instid1(VALU_DEP_4)
	v_and_b32_e32 v1, 0xffff0000, v10
	v_lshlrev_b32_e32 v10, 16, v10
	v_cvt_pk_f16_f32 v18, v24, v25
	v_dual_lshrrev_b32 v25, 16, v3 :: v_dual_bitop2_b32 v24, v20, v26 bitop3:0x54
	s_delay_alu instid0(VALU_DEP_2) | instskip(SKIP_1) | instid1(VALU_DEP_3)
	v_lshrrev_b32_e32 v3, 16, v18
	v_and_b32_e32 v18, 0xffff, v18
	v_or_b32_e32 v23, v19, v25
	s_delay_alu instid0(VALU_DEP_3) | instskip(NEXT) | instid1(VALU_DEP_3)
	v_or_b32_e32 v21, v1, v3
	v_or_b32_e32 v22, v10, v18
	s_and_saveexec_b32 s23, vcc_lo
	s_cbranch_execz .LBB256_696
; %bb.695:                              ;   in Loop: Header=BB256_497 Depth=1
	v_cmp_gt_i32_e64 s0, s18, v36
	s_delay_alu instid0(VALU_DEP_1) | instskip(SKIP_1) | instid1(VALU_DEP_1)
	v_cndmask_b32_e64 v21, 0, v25, s0
	v_cmp_gt_i32_e64 s0, s34, v43
	v_cndmask_b32_e64 v22, 0, v26, s0
	v_cmp_gt_i32_e64 s0, s18, v42
	s_delay_alu instid0(VALU_DEP_1) | instskip(SKIP_1) | instid1(VALU_DEP_1)
	v_cndmask_b32_e64 v19, 0, v19, s0
	v_cmp_gt_i32_e64 s0, s34, v41
	v_cndmask_b32_e64 v20, 0, v20, s0
	v_cmp_gt_i32_e64 s0, s18, v40
	s_delay_alu instid0(VALU_DEP_4) | instskip(NEXT) | instid1(VALU_DEP_2)
	v_or_b32_e32 v23, v19, v21
	v_dual_cndmask_b32 v3, 0, v3, s0 :: v_dual_bitop2_b32 v24, v20, v22 bitop3:0x54
	v_cmp_gt_i32_e64 s0, s34, v39
	s_delay_alu instid0(VALU_DEP_1) | instskip(SKIP_1) | instid1(VALU_DEP_1)
	v_cndmask_b32_e64 v18, 0, v18, s0
	v_cmp_gt_i32_e64 s0, s18, v38
	v_cndmask_b32_e64 v1, 0, v1, s0
	v_cmp_gt_i32_e64 s0, s34, v37
	s_delay_alu instid0(VALU_DEP_1) | instskip(NEXT) | instid1(VALU_DEP_1)
	v_dual_cndmask_b32 v10, 0, v10, s0 :: v_dual_bitop2_b32 v21, v1, v3 bitop3:0x54
	v_or_b32_e32 v22, v10, v18
.LBB256_696:                            ;   in Loop: Header=BB256_497 Depth=1
	s_or_b32 exec_lo, exec_lo, s23
	;;#ASMSTART
	v_pk_mul_f16 v1, v51, v23;

	;;#ASMEND
	;;#ASMSTART
	v_pk_mul_f16 v3, v48, v24;

	;;#ASMEND
	;; [unrolled: 4-line block ×4, first 2 shown]
	;;#ASMSTART
	v_pk_add_f16 v1, v1, v3;

	;;#ASMEND
	;;#ASMSTART
	v_pk_add_f16 v1, v1, v10;

	;;#ASMEND
	;; [unrolled: 4-line block ×3, first 2 shown]
	v_and_b32_e32 v3, 0xffff, v1
	v_lshrrev_b32_e32 v1, 16, v1
	;;#ASMSTART
	v_cvt_f32_f16 v54, v3;
	;;#ASMEND
	v_mov_b32_e32 v3, 0
	;;#ASMSTART
	v_cvt_f32_f16 v55, v1;
	;;#ASMEND
	global_load_b64 v[20:21], v[16:17], off offset:768
	v_mov_b32_e32 v1, 0
	s_mov_b32 s23, exec_lo
	global_load_b32 v18, v1, s[10:11]
	s_wait_loadcnt 0x1
	v_and_b32_e32 v10, 0xff, v20
	s_wait_xcnt 0x0
	s_delay_alu instid0(VALU_DEP_1)
	v_cmpx_ne_u16_e32 0, v10
	s_cbranch_execz .LBB256_704
; %bb.697:                              ;   in Loop: Header=BB256_497 Depth=1
	v_mov_b32_e32 v3, 0x8000
	s_mov_b32 s24, exec_lo
	v_cmpx_ne_u16_e32 0x80, v10
	s_cbranch_execz .LBB256_703
; %bb.698:                              ;   in Loop: Header=BB256_497 Depth=1
	v_and_b32_e32 v19, 0x7f, v20
	v_mov_b32_e32 v3, 0x7c01
	s_mov_b32 s25, exec_lo
	s_delay_alu instid0(VALU_DEP_2)
	v_cmpx_ne_u32_e32 0x7f, v19
	s_cbranch_execz .LBB256_702
; %bb.699:                              ;   in Loop: Header=BB256_497 Depth=1
	v_dual_lshrrev_b32 v10, 3, v19 :: v_dual_bitop2_b32 v3, 7, v20 bitop3:0x40
	s_mov_b32 s26, exec_lo
	v_cmpx_gt_u32_e32 8, v19
; %bb.700:                              ;   in Loop: Header=BB256_497 Depth=1
	s_delay_alu instid0(VALU_DEP_2) | instskip(NEXT) | instid1(VALU_DEP_1)
	v_clz_i32_u32_e32 v3, v3
	v_min_u32_e32 v3, 32, v3
	s_delay_alu instid0(VALU_DEP_1) | instskip(NEXT) | instid1(VALU_DEP_1)
	v_subrev_nc_u32_e32 v10, 28, v3
	v_lshlrev_b64_e32 v[22:23], v10, v[20:21]
	s_delay_alu instid0(VALU_DEP_1)
	v_dual_sub_nc_u32 v10, 29, v3 :: v_dual_bitop2_b32 v3, 7, v22 bitop3:0x40
; %bb.701:                              ;   in Loop: Header=BB256_497 Depth=1
	s_or_b32 exec_lo, exec_lo, s26
	s_delay_alu instid0(VALU_DEP_1) | instskip(NEXT) | instid1(VALU_DEP_2)
	v_dual_lshlrev_b32 v19, 8, v20 :: v_dual_lshlrev_b32 v3, 7, v3
	v_lshl_add_u32 v10, v10, 10, 0x2000
	s_delay_alu instid0(VALU_DEP_2) | instskip(NEXT) | instid1(VALU_DEP_2)
	v_and_b32_e32 v19, 0x8000, v19
	v_and_b32_e32 v10, 0xfc00, v10
	s_delay_alu instid0(VALU_DEP_1)
	v_or3_b32 v3, v19, v10, v3
.LBB256_702:                            ;   in Loop: Header=BB256_497 Depth=1
	s_or_b32 exec_lo, exec_lo, s25
.LBB256_703:                            ;   in Loop: Header=BB256_497 Depth=1
	s_delay_alu instid0(SALU_CYCLE_1)
	s_or_b32 exec_lo, exec_lo, s24
.LBB256_704:                            ;   in Loop: Header=BB256_497 Depth=1
	s_delay_alu instid0(SALU_CYCLE_1) | instskip(SKIP_2) | instid1(VALU_DEP_1)
	s_or_b32 exec_lo, exec_lo, s23
	v_lshrrev_b16 v10, 8, v20
	s_mov_b32 s23, exec_lo
	v_cmpx_ne_u16_e32 0, v10
	s_cbranch_execz .LBB256_712
; %bb.705:                              ;   in Loop: Header=BB256_497 Depth=1
	v_bfrev_b32_e32 v1, 1
	s_mov_b32 s24, exec_lo
	v_cmpx_ne_u16_e32 0x80, v10
	s_cbranch_execz .LBB256_711
; %bb.706:                              ;   in Loop: Header=BB256_497 Depth=1
	v_and_b32_e32 v19, 0xffff, v10
	v_mov_b32_e32 v1, 0x7c010000
	s_mov_b32 s25, exec_lo
	s_delay_alu instid0(VALU_DEP_2) | instskip(NEXT) | instid1(VALU_DEP_1)
	v_and_b32_e32 v23, 0x7f, v19
	v_cmpx_ne_u32_e32 0x7f, v23
	s_cbranch_execz .LBB256_710
; %bb.707:                              ;   in Loop: Header=BB256_497 Depth=1
	v_and_b32_e32 v1, 7, v19
	v_lshrrev_b32_e32 v22, 3, v23
	s_mov_b32 s26, exec_lo
	v_cmpx_gt_u32_e32 8, v23
; %bb.708:                              ;   in Loop: Header=BB256_497 Depth=1
	s_delay_alu instid0(VALU_DEP_3) | instskip(NEXT) | instid1(VALU_DEP_1)
	v_clz_i32_u32_e32 v1, v1
	v_min_u32_e32 v1, 32, v1
	s_delay_alu instid0(VALU_DEP_1) | instskip(NEXT) | instid1(VALU_DEP_1)
	v_subrev_nc_u32_e32 v22, 28, v1
	v_lshlrev_b64_e32 v[24:25], v22, v[10:11]
	s_delay_alu instid0(VALU_DEP_1)
	v_dual_sub_nc_u32 v22, 29, v1 :: v_dual_bitop2_b32 v1, 7, v24 bitop3:0x40
; %bb.709:                              ;   in Loop: Header=BB256_497 Depth=1
	s_or_b32 exec_lo, exec_lo, s26
	s_delay_alu instid0(VALU_DEP_1) | instskip(NEXT) | instid1(VALU_DEP_2)
	v_dual_lshlrev_b32 v10, 8, v19 :: v_dual_lshlrev_b32 v1, 23, v1
	v_lshl_add_u32 v19, v22, 10, 0x2000
	s_delay_alu instid0(VALU_DEP_1) | instskip(NEXT) | instid1(VALU_DEP_1)
	v_and_or_b32 v10, 0x8000, v10, v19
	v_lshl_or_b32 v1, v10, 16, v1
.LBB256_710:                            ;   in Loop: Header=BB256_497 Depth=1
	s_or_b32 exec_lo, exec_lo, s25
.LBB256_711:                            ;   in Loop: Header=BB256_497 Depth=1
	s_delay_alu instid0(SALU_CYCLE_1)
	s_or_b32 exec_lo, exec_lo, s24
.LBB256_712:                            ;   in Loop: Header=BB256_497 Depth=1
	s_delay_alu instid0(SALU_CYCLE_1) | instskip(SKIP_3) | instid1(VALU_DEP_2)
	s_or_b32 exec_lo, exec_lo, s23
	v_dual_mov_b32 v19, 0 :: v_dual_lshrrev_b32 v10, 16, v20
	v_mov_b32_e32 v22, 0
	s_mov_b32 s23, exec_lo
	v_and_b32_e32 v23, 0xff, v10
	s_delay_alu instid0(VALU_DEP_1)
	v_cmpx_ne_u16_e32 0, v23
	s_cbranch_execz .LBB256_720
; %bb.713:                              ;   in Loop: Header=BB256_497 Depth=1
	v_mov_b32_e32 v22, 0x8000
	s_mov_b32 s24, exec_lo
	v_cmpx_ne_u16_e32 0x80, v23
	s_cbranch_execz .LBB256_719
; %bb.714:                              ;   in Loop: Header=BB256_497 Depth=1
	v_bfe_u32 v24, v20, 16, 7
	v_mov_b32_e32 v22, 0x7c01
	s_mov_b32 s25, exec_lo
	s_delay_alu instid0(VALU_DEP_2)
	v_cmpx_ne_u32_e32 0x7f, v24
	s_cbranch_execz .LBB256_718
; %bb.715:                              ;   in Loop: Header=BB256_497 Depth=1
	v_dual_lshrrev_b32 v23, 3, v24 :: v_dual_bitop2_b32 v22, 7, v10 bitop3:0x40
	s_mov_b32 s26, exec_lo
	v_cmpx_gt_u32_e32 8, v24
; %bb.716:                              ;   in Loop: Header=BB256_497 Depth=1
	s_delay_alu instid0(VALU_DEP_2) | instskip(NEXT) | instid1(VALU_DEP_1)
	v_clz_i32_u32_e32 v22, v22
	v_min_u32_e32 v24, 32, v22
	s_delay_alu instid0(VALU_DEP_1) | instskip(NEXT) | instid1(VALU_DEP_1)
	v_subrev_nc_u32_e32 v22, 28, v24
	v_lshlrev_b64_e32 v[22:23], v22, v[10:11]
	s_delay_alu instid0(VALU_DEP_1)
	v_dual_sub_nc_u32 v23, 29, v24 :: v_dual_bitop2_b32 v22, 7, v22 bitop3:0x40
; %bb.717:                              ;   in Loop: Header=BB256_497 Depth=1
	s_or_b32 exec_lo, exec_lo, s26
	v_lshlrev_b32_e32 v10, 8, v10
	s_delay_alu instid0(VALU_DEP_2) | instskip(NEXT) | instid1(VALU_DEP_3)
	v_lshl_add_u32 v23, v23, 10, 0x2000
	v_lshlrev_b32_e32 v22, 7, v22
	s_delay_alu instid0(VALU_DEP_3) | instskip(NEXT) | instid1(VALU_DEP_3)
	v_and_b32_e32 v10, 0x8000, v10
	v_and_b32_e32 v23, 0xfc00, v23
	s_delay_alu instid0(VALU_DEP_1)
	v_or3_b32 v22, v10, v23, v22
.LBB256_718:                            ;   in Loop: Header=BB256_497 Depth=1
	s_or_b32 exec_lo, exec_lo, s25
.LBB256_719:                            ;   in Loop: Header=BB256_497 Depth=1
	s_delay_alu instid0(SALU_CYCLE_1)
	s_or_b32 exec_lo, exec_lo, s24
.LBB256_720:                            ;   in Loop: Header=BB256_497 Depth=1
	s_delay_alu instid0(SALU_CYCLE_1) | instskip(NEXT) | instid1(SALU_CYCLE_1)
	s_or_b32 exec_lo, exec_lo, s23
	s_mov_b32 s23, exec_lo
	v_cmpx_lt_u32_e32 0xffffff, v20
	s_cbranch_execz .LBB256_728
; %bb.721:                              ;   in Loop: Header=BB256_497 Depth=1
	v_lshrrev_b32_e32 v10, 24, v20
	v_bfrev_b32_e32 v19, 1
	s_mov_b32 s24, exec_lo
	s_delay_alu instid0(VALU_DEP_2)
	v_cmpx_ne_u32_e32 0x80, v10
	s_cbranch_execz .LBB256_727
; %bb.722:                              ;   in Loop: Header=BB256_497 Depth=1
	v_and_b32_e32 v24, 0x7f, v10
	v_mov_b32_e32 v19, 0x7c010000
	s_mov_b32 s25, exec_lo
	s_delay_alu instid0(VALU_DEP_2)
	v_cmpx_ne_u32_e32 0x7f, v24
	s_cbranch_execz .LBB256_726
; %bb.723:                              ;   in Loop: Header=BB256_497 Depth=1
	v_dual_lshrrev_b32 v23, 3, v24 :: v_dual_bitop2_b32 v19, 7, v10 bitop3:0x40
	s_mov_b32 s26, exec_lo
	v_cmpx_gt_u32_e32 8, v24
; %bb.724:                              ;   in Loop: Header=BB256_497 Depth=1
	s_delay_alu instid0(VALU_DEP_2) | instskip(NEXT) | instid1(VALU_DEP_1)
	v_clz_i32_u32_e32 v19, v19
	v_min_u32_e32 v19, 32, v19
	s_delay_alu instid0(VALU_DEP_1) | instskip(NEXT) | instid1(VALU_DEP_1)
	v_subrev_nc_u32_e32 v23, 28, v19
	v_lshlrev_b64_e32 v[24:25], v23, v[10:11]
	s_delay_alu instid0(VALU_DEP_1)
	v_dual_sub_nc_u32 v23, 29, v19 :: v_dual_bitop2_b32 v19, 7, v24 bitop3:0x40
; %bb.725:                              ;   in Loop: Header=BB256_497 Depth=1
	s_or_b32 exec_lo, exec_lo, s26
	s_delay_alu instid0(VALU_DEP_1) | instskip(NEXT) | instid1(VALU_DEP_2)
	v_dual_lshlrev_b32 v10, 8, v10 :: v_dual_lshlrev_b32 v19, 23, v19
	v_lshl_add_u32 v23, v23, 10, 0x2000
	s_delay_alu instid0(VALU_DEP_1) | instskip(NEXT) | instid1(VALU_DEP_1)
	v_and_or_b32 v10, 0x8000, v10, v23
	v_lshl_or_b32 v19, v10, 16, v19
.LBB256_726:                            ;   in Loop: Header=BB256_497 Depth=1
	s_or_b32 exec_lo, exec_lo, s25
.LBB256_727:                            ;   in Loop: Header=BB256_497 Depth=1
	s_delay_alu instid0(SALU_CYCLE_1)
	s_or_b32 exec_lo, exec_lo, s24
.LBB256_728:                            ;   in Loop: Header=BB256_497 Depth=1
	s_delay_alu instid0(SALU_CYCLE_1) | instskip(SKIP_4) | instid1(VALU_DEP_3)
	s_or_b32 exec_lo, exec_lo, s23
	v_and_b32_e32 v25, 0xff, v21
	v_dual_mov_b32 v10, v21 :: v_dual_mov_b32 v24, 0
	v_mov_b32_e32 v23, 0
	s_mov_b32 s23, exec_lo
	v_cmpx_ne_u16_e32 0, v25
	s_cbranch_execz .LBB256_736
; %bb.729:                              ;   in Loop: Header=BB256_497 Depth=1
	v_mov_b32_e32 v23, 0x8000
	s_mov_b32 s24, exec_lo
	v_cmpx_ne_u16_e32 0x80, v25
	s_cbranch_execz .LBB256_735
; %bb.730:                              ;   in Loop: Header=BB256_497 Depth=1
	v_and_b32_e32 v26, 0x7f, v21
	v_mov_b32_e32 v23, 0x7c01
	s_mov_b32 s25, exec_lo
	s_delay_alu instid0(VALU_DEP_2)
	v_cmpx_ne_u32_e32 0x7f, v26
	s_cbranch_execz .LBB256_734
; %bb.731:                              ;   in Loop: Header=BB256_497 Depth=1
	v_dual_lshrrev_b32 v25, 3, v26 :: v_dual_bitop2_b32 v23, 7, v21 bitop3:0x40
	s_mov_b32 s26, exec_lo
	v_cmpx_gt_u32_e32 8, v26
; %bb.732:                              ;   in Loop: Header=BB256_497 Depth=1
	s_delay_alu instid0(VALU_DEP_2) | instskip(NEXT) | instid1(VALU_DEP_1)
	v_clz_i32_u32_e32 v23, v23
	v_min_u32_e32 v23, 32, v23
	s_delay_alu instid0(VALU_DEP_1) | instskip(NEXT) | instid1(VALU_DEP_1)
	v_subrev_nc_u32_e32 v25, 28, v23
	v_lshlrev_b64_e32 v[44:45], v25, v[10:11]
	s_delay_alu instid0(VALU_DEP_1)
	v_dual_sub_nc_u32 v25, 29, v23 :: v_dual_bitop2_b32 v23, 7, v44 bitop3:0x40
; %bb.733:                              ;   in Loop: Header=BB256_497 Depth=1
	s_or_b32 exec_lo, exec_lo, s26
	s_delay_alu instid0(VALU_DEP_1) | instskip(NEXT) | instid1(VALU_DEP_2)
	v_dual_lshlrev_b32 v26, 8, v21 :: v_dual_lshlrev_b32 v23, 7, v23
	v_lshl_add_u32 v25, v25, 10, 0x2000
	s_delay_alu instid0(VALU_DEP_2) | instskip(NEXT) | instid1(VALU_DEP_2)
	v_and_b32_e32 v26, 0x8000, v26
	v_and_b32_e32 v25, 0xfc00, v25
	s_delay_alu instid0(VALU_DEP_1)
	v_or3_b32 v23, v26, v25, v23
.LBB256_734:                            ;   in Loop: Header=BB256_497 Depth=1
	s_or_b32 exec_lo, exec_lo, s25
.LBB256_735:                            ;   in Loop: Header=BB256_497 Depth=1
	s_delay_alu instid0(SALU_CYCLE_1)
	s_or_b32 exec_lo, exec_lo, s24
.LBB256_736:                            ;   in Loop: Header=BB256_497 Depth=1
	s_delay_alu instid0(SALU_CYCLE_1) | instskip(SKIP_3) | instid1(VALU_DEP_2)
	s_or_b32 exec_lo, exec_lo, s23
	v_lshrrev_b16 v10, 8, v10
	v_mov_b32_e32 v25, 0
	s_mov_b32 s23, exec_lo
	v_cmpx_ne_u16_e32 0, v10
	s_cbranch_execz .LBB256_744
; %bb.737:                              ;   in Loop: Header=BB256_497 Depth=1
	v_bfrev_b32_e32 v25, 1
	s_mov_b32 s24, exec_lo
	v_cmpx_ne_u16_e32 0x80, v10
	s_cbranch_execz .LBB256_743
; %bb.738:                              ;   in Loop: Header=BB256_497 Depth=1
	v_and_b32_e32 v26, 0xffff, v10
	v_mov_b32_e32 v25, 0x7c010000
	s_mov_b32 s25, exec_lo
	s_delay_alu instid0(VALU_DEP_2) | instskip(NEXT) | instid1(VALU_DEP_1)
	v_and_b32_e32 v45, 0x7f, v26
	v_cmpx_ne_u32_e32 0x7f, v45
	s_cbranch_execz .LBB256_742
; %bb.739:                              ;   in Loop: Header=BB256_497 Depth=1
	v_dual_lshrrev_b32 v44, 3, v45 :: v_dual_bitop2_b32 v25, 7, v26 bitop3:0x40
	s_mov_b32 s26, exec_lo
	v_cmpx_gt_u32_e32 8, v45
; %bb.740:                              ;   in Loop: Header=BB256_497 Depth=1
	s_delay_alu instid0(VALU_DEP_2) | instskip(NEXT) | instid1(VALU_DEP_1)
	v_clz_i32_u32_e32 v25, v25
	v_min_u32_e32 v25, 32, v25
	s_delay_alu instid0(VALU_DEP_1) | instskip(NEXT) | instid1(VALU_DEP_1)
	v_subrev_nc_u32_e32 v44, 28, v25
	v_lshlrev_b64_e32 v[56:57], v44, v[10:11]
	s_delay_alu instid0(VALU_DEP_1)
	v_dual_sub_nc_u32 v44, 29, v25 :: v_dual_bitop2_b32 v25, 7, v56 bitop3:0x40
; %bb.741:                              ;   in Loop: Header=BB256_497 Depth=1
	s_or_b32 exec_lo, exec_lo, s26
	s_delay_alu instid0(VALU_DEP_1) | instskip(NEXT) | instid1(VALU_DEP_2)
	v_dual_lshlrev_b32 v10, 8, v26 :: v_dual_lshlrev_b32 v25, 23, v25
	v_lshl_add_u32 v26, v44, 10, 0x2000
	s_delay_alu instid0(VALU_DEP_1) | instskip(NEXT) | instid1(VALU_DEP_1)
	v_and_or_b32 v10, 0x8000, v10, v26
	v_lshl_or_b32 v25, v10, 16, v25
.LBB256_742:                            ;   in Loop: Header=BB256_497 Depth=1
	s_or_b32 exec_lo, exec_lo, s25
.LBB256_743:                            ;   in Loop: Header=BB256_497 Depth=1
	s_delay_alu instid0(SALU_CYCLE_1)
	s_or_b32 exec_lo, exec_lo, s24
.LBB256_744:                            ;   in Loop: Header=BB256_497 Depth=1
	s_delay_alu instid0(SALU_CYCLE_1) | instskip(SKIP_2) | instid1(VALU_DEP_1)
	s_or_b32 exec_lo, exec_lo, s23
	v_lshrrev_b32_e32 v10, 16, v21
	s_mov_b32 s23, exec_lo
	v_and_b32_e32 v26, 0xff, v10
	s_delay_alu instid0(VALU_DEP_1)
	v_cmpx_ne_u16_e32 0, v26
	s_cbranch_execz .LBB256_752
; %bb.745:                              ;   in Loop: Header=BB256_497 Depth=1
	v_mov_b32_e32 v24, 0x8000
	s_mov_b32 s24, exec_lo
	v_cmpx_ne_u16_e32 0x80, v26
	s_cbranch_execz .LBB256_751
; %bb.746:                              ;   in Loop: Header=BB256_497 Depth=1
	v_bfe_u32 v44, v21, 16, 7
	v_mov_b32_e32 v24, 0x7c01
	s_mov_b32 s25, exec_lo
	s_delay_alu instid0(VALU_DEP_2)
	v_cmpx_ne_u32_e32 0x7f, v44
	s_cbranch_execz .LBB256_750
; %bb.747:                              ;   in Loop: Header=BB256_497 Depth=1
	v_dual_lshrrev_b32 v26, 3, v44 :: v_dual_bitop2_b32 v24, 7, v10 bitop3:0x40
	s_mov_b32 s26, exec_lo
	v_cmpx_gt_u32_e32 8, v44
; %bb.748:                              ;   in Loop: Header=BB256_497 Depth=1
	s_delay_alu instid0(VALU_DEP_2) | instskip(NEXT) | instid1(VALU_DEP_1)
	v_clz_i32_u32_e32 v24, v24
	v_min_u32_e32 v24, 32, v24
	s_delay_alu instid0(VALU_DEP_1) | instskip(NEXT) | instid1(VALU_DEP_1)
	v_subrev_nc_u32_e32 v26, 28, v24
	v_lshlrev_b64_e32 v[44:45], v26, v[10:11]
	v_sub_nc_u32_e32 v26, 29, v24
	s_delay_alu instid0(VALU_DEP_2)
	v_and_b32_e32 v24, 7, v44
; %bb.749:                              ;   in Loop: Header=BB256_497 Depth=1
	s_or_b32 exec_lo, exec_lo, s26
	s_delay_alu instid0(VALU_DEP_1) | instskip(NEXT) | instid1(VALU_DEP_3)
	v_dual_lshlrev_b32 v10, 8, v10 :: v_dual_lshlrev_b32 v24, 7, v24
	v_lshl_add_u32 v26, v26, 10, 0x2000
	s_delay_alu instid0(VALU_DEP_2) | instskip(NEXT) | instid1(VALU_DEP_2)
	v_and_b32_e32 v10, 0x8000, v10
	v_and_b32_e32 v26, 0xfc00, v26
	s_delay_alu instid0(VALU_DEP_1)
	v_or3_b32 v24, v10, v26, v24
.LBB256_750:                            ;   in Loop: Header=BB256_497 Depth=1
	s_or_b32 exec_lo, exec_lo, s25
.LBB256_751:                            ;   in Loop: Header=BB256_497 Depth=1
	s_delay_alu instid0(SALU_CYCLE_1)
	s_or_b32 exec_lo, exec_lo, s24
.LBB256_752:                            ;   in Loop: Header=BB256_497 Depth=1
	s_delay_alu instid0(SALU_CYCLE_1)
	s_or_b32 exec_lo, exec_lo, s23
	v_cmp_lt_u64_e64 s0, s[8:9], v[20:21]
	v_mov_b32_e32 v20, 0
	s_and_saveexec_b32 s23, s0
	s_cbranch_execz .LBB256_760
; %bb.753:                              ;   in Loop: Header=BB256_497 Depth=1
	v_lshrrev_b32_e32 v10, 24, v21
	v_bfrev_b32_e32 v20, 1
	s_mov_b32 s24, exec_lo
	s_delay_alu instid0(VALU_DEP_2)
	v_cmpx_ne_u32_e32 0x80, v10
	s_cbranch_execz .LBB256_759
; %bb.754:                              ;   in Loop: Header=BB256_497 Depth=1
	v_and_b32_e32 v26, 0x7f, v10
	v_mov_b32_e32 v20, 0x7c010000
	s_mov_b32 s25, exec_lo
	s_delay_alu instid0(VALU_DEP_2)
	v_cmpx_ne_u32_e32 0x7f, v26
	s_cbranch_execz .LBB256_758
; %bb.755:                              ;   in Loop: Header=BB256_497 Depth=1
	v_and_b32_e32 v20, 7, v10
	v_lshrrev_b32_e32 v21, 3, v26
	s_mov_b32 s26, exec_lo
	v_cmpx_gt_u32_e32 8, v26
; %bb.756:                              ;   in Loop: Header=BB256_497 Depth=1
	s_delay_alu instid0(VALU_DEP_3) | instskip(NEXT) | instid1(VALU_DEP_1)
	v_clz_i32_u32_e32 v20, v20
	v_min_u32_e32 v26, 32, v20
	s_delay_alu instid0(VALU_DEP_1) | instskip(NEXT) | instid1(VALU_DEP_1)
	v_subrev_nc_u32_e32 v20, 28, v26
	v_lshlrev_b64_e32 v[20:21], v20, v[10:11]
	s_delay_alu instid0(VALU_DEP_1)
	v_dual_sub_nc_u32 v21, 29, v26 :: v_dual_bitop2_b32 v20, 7, v20 bitop3:0x40
; %bb.757:                              ;   in Loop: Header=BB256_497 Depth=1
	s_or_b32 exec_lo, exec_lo, s26
	s_delay_alu instid0(VALU_DEP_1) | instskip(NEXT) | instid1(VALU_DEP_2)
	v_dual_lshlrev_b32 v10, 8, v10 :: v_dual_lshlrev_b32 v20, 23, v20
	v_lshl_add_u32 v21, v21, 10, 0x2000
	s_delay_alu instid0(VALU_DEP_1) | instskip(NEXT) | instid1(VALU_DEP_1)
	v_and_or_b32 v10, 0x8000, v10, v21
	v_lshl_or_b32 v20, v10, 16, v20
.LBB256_758:                            ;   in Loop: Header=BB256_497 Depth=1
	s_or_b32 exec_lo, exec_lo, s25
.LBB256_759:                            ;   in Loop: Header=BB256_497 Depth=1
	s_delay_alu instid0(SALU_CYCLE_1)
	s_or_b32 exec_lo, exec_lo, s24
.LBB256_760:                            ;   in Loop: Header=BB256_497 Depth=1
	s_delay_alu instid0(SALU_CYCLE_1) | instskip(SKIP_3) | instid1(VALU_DEP_3)
	s_or_b32 exec_lo, exec_lo, s23
	v_dual_lshrrev_b32 v10, 16, v1 :: v_dual_lshrrev_b32 v21, 16, v19
	v_or_b32_e32 v1, v1, v3
	v_dual_lshrrev_b32 v22, 16, v20 :: v_dual_bitop2_b32 v3, v19, v22 bitop3:0x54
	v_cvt_f32_f16_e32 v45, v10
	s_delay_alu instid0(VALU_DEP_4) | instskip(SKIP_4) | instid1(VALU_DEP_3)
	v_cvt_f32_f16_e32 v44, v21
	v_lshrrev_b32_e32 v19, 16, v25
	v_cvt_f32_f16_e32 v21, v1
	v_cvt_f32_f16_e32 v22, v22
	s_wait_loadcnt 0x0
	v_pk_mul_f32 v[44:45], v[18:19], v[44:45] op_sel_hi:[0,1]
	s_delay_alu instid0(VALU_DEP_1) | instskip(SKIP_4) | instid1(VALU_DEP_3)
	v_cvt_pk_f16_f32 v1, v44, v45
	v_or_b32_e32 v10, v20, v24
	v_cvt_f32_f16_e32 v20, v3
	v_or_b32_e32 v3, v25, v23
	v_cvt_f32_f16_e32 v23, v19
	v_pk_mul_f32 v[20:21], v[18:19], v[20:21] op_sel_hi:[0,1]
	s_delay_alu instid0(VALU_DEP_3) | instskip(NEXT) | instid1(VALU_DEP_3)
	v_cvt_f32_f16_e32 v25, v3
	v_pk_mul_f32 v[22:23], v[18:19], v[22:23] op_sel_hi:[0,1]
	s_delay_alu instid0(VALU_DEP_3) | instskip(SKIP_2) | instid1(VALU_DEP_4)
	v_cvt_pk_f16_f32 v3, v20, v21
	v_lshlrev_b32_e32 v20, 16, v1
	v_cvt_f32_f16_e32 v24, v10
	v_cvt_pk_f16_f32 v10, v22, v23
	s_delay_alu instid0(VALU_DEP_4) | instskip(NEXT) | instid1(VALU_DEP_3)
	v_and_b32_e32 v26, 0xffff, v3
	v_pk_mul_f32 v[24:25], v[18:19], v[24:25] op_sel_hi:[0,1]
	v_and_b32_e32 v19, 0xffff0000, v1
	s_delay_alu instid0(VALU_DEP_4) | instskip(SKIP_1) | instid1(VALU_DEP_4)
	v_and_b32_e32 v1, 0xffff0000, v10
	v_lshlrev_b32_e32 v10, 16, v10
	v_cvt_pk_f16_f32 v18, v24, v25
	v_dual_lshrrev_b32 v25, 16, v3 :: v_dual_bitop2_b32 v24, v20, v26 bitop3:0x54
	s_delay_alu instid0(VALU_DEP_2) | instskip(SKIP_1) | instid1(VALU_DEP_3)
	v_lshrrev_b32_e32 v3, 16, v18
	v_and_b32_e32 v18, 0xffff, v18
	v_or_b32_e32 v23, v19, v25
	s_delay_alu instid0(VALU_DEP_3) | instskip(NEXT) | instid1(VALU_DEP_3)
	v_or_b32_e32 v21, v1, v3
	v_or_b32_e32 v22, v10, v18
	s_and_saveexec_b32 s23, vcc_lo
	s_cbranch_execz .LBB256_762
; %bb.761:                              ;   in Loop: Header=BB256_497 Depth=1
	v_cmp_gt_i32_e64 s0, s18, v36
	s_delay_alu instid0(VALU_DEP_1) | instskip(SKIP_1) | instid1(VALU_DEP_1)
	v_cndmask_b32_e64 v21, 0, v25, s0
	v_cmp_gt_i32_e64 s0, s34, v43
	v_cndmask_b32_e64 v22, 0, v26, s0
	v_cmp_gt_i32_e64 s0, s18, v42
	s_delay_alu instid0(VALU_DEP_1) | instskip(SKIP_1) | instid1(VALU_DEP_1)
	v_cndmask_b32_e64 v19, 0, v19, s0
	v_cmp_gt_i32_e64 s0, s34, v41
	v_cndmask_b32_e64 v20, 0, v20, s0
	v_cmp_gt_i32_e64 s0, s18, v40
	s_delay_alu instid0(VALU_DEP_4) | instskip(NEXT) | instid1(VALU_DEP_2)
	v_or_b32_e32 v23, v19, v21
	v_dual_cndmask_b32 v3, 0, v3, s0 :: v_dual_bitop2_b32 v24, v20, v22 bitop3:0x54
	v_cmp_gt_i32_e64 s0, s34, v39
	s_delay_alu instid0(VALU_DEP_1) | instskip(SKIP_1) | instid1(VALU_DEP_1)
	v_cndmask_b32_e64 v18, 0, v18, s0
	v_cmp_gt_i32_e64 s0, s18, v38
	v_cndmask_b32_e64 v1, 0, v1, s0
	v_cmp_gt_i32_e64 s0, s34, v37
	s_delay_alu instid0(VALU_DEP_1) | instskip(NEXT) | instid1(VALU_DEP_1)
	v_dual_cndmask_b32 v10, 0, v10, s0 :: v_dual_bitop2_b32 v21, v1, v3 bitop3:0x54
	v_or_b32_e32 v22, v10, v18
.LBB256_762:                            ;   in Loop: Header=BB256_497 Depth=1
	s_or_b32 exec_lo, exec_lo, s23
	;;#ASMSTART
	v_pk_mul_f16 v1, v51, v23;

	;;#ASMEND
	;;#ASMSTART
	v_pk_mul_f16 v3, v48, v24;

	;;#ASMEND
	;; [unrolled: 4-line block ×4, first 2 shown]
	;;#ASMSTART
	v_pk_add_f16 v1, v1, v3;

	;;#ASMEND
	;;#ASMSTART
	v_pk_add_f16 v1, v1, v10;

	;;#ASMEND
	;; [unrolled: 4-line block ×3, first 2 shown]
	v_and_b32_e32 v3, 0xffff, v1
	v_lshrrev_b32_e32 v1, 16, v1
	;;#ASMSTART
	v_cvt_f32_f16 v56, v3;
	;;#ASMEND
	v_mov_b32_e32 v3, 0
	;;#ASMSTART
	v_cvt_f32_f16 v57, v1;
	;;#ASMEND
	global_load_b64 v[20:21], v[16:17], off offset:1024
	v_mov_b32_e32 v1, 0
	s_mov_b32 s23, exec_lo
	global_load_b32 v18, v1, s[10:11]
	s_wait_loadcnt 0x1
	v_and_b32_e32 v10, 0xff, v20
	s_wait_xcnt 0x0
	s_delay_alu instid0(VALU_DEP_1)
	v_cmpx_ne_u16_e32 0, v10
	s_cbranch_execz .LBB256_770
; %bb.763:                              ;   in Loop: Header=BB256_497 Depth=1
	v_mov_b32_e32 v3, 0x8000
	s_mov_b32 s24, exec_lo
	v_cmpx_ne_u16_e32 0x80, v10
	s_cbranch_execz .LBB256_769
; %bb.764:                              ;   in Loop: Header=BB256_497 Depth=1
	v_and_b32_e32 v19, 0x7f, v20
	v_mov_b32_e32 v3, 0x7c01
	s_mov_b32 s25, exec_lo
	s_delay_alu instid0(VALU_DEP_2)
	v_cmpx_ne_u32_e32 0x7f, v19
	s_cbranch_execz .LBB256_768
; %bb.765:                              ;   in Loop: Header=BB256_497 Depth=1
	v_dual_lshrrev_b32 v10, 3, v19 :: v_dual_bitop2_b32 v3, 7, v20 bitop3:0x40
	s_mov_b32 s26, exec_lo
	v_cmpx_gt_u32_e32 8, v19
; %bb.766:                              ;   in Loop: Header=BB256_497 Depth=1
	s_delay_alu instid0(VALU_DEP_2) | instskip(NEXT) | instid1(VALU_DEP_1)
	v_clz_i32_u32_e32 v3, v3
	v_min_u32_e32 v3, 32, v3
	s_delay_alu instid0(VALU_DEP_1) | instskip(NEXT) | instid1(VALU_DEP_1)
	v_subrev_nc_u32_e32 v10, 28, v3
	v_lshlrev_b64_e32 v[22:23], v10, v[20:21]
	s_delay_alu instid0(VALU_DEP_1)
	v_dual_sub_nc_u32 v10, 29, v3 :: v_dual_bitop2_b32 v3, 7, v22 bitop3:0x40
; %bb.767:                              ;   in Loop: Header=BB256_497 Depth=1
	s_or_b32 exec_lo, exec_lo, s26
	s_delay_alu instid0(VALU_DEP_1) | instskip(NEXT) | instid1(VALU_DEP_2)
	v_dual_lshlrev_b32 v19, 8, v20 :: v_dual_lshlrev_b32 v3, 7, v3
	v_lshl_add_u32 v10, v10, 10, 0x2000
	s_delay_alu instid0(VALU_DEP_2) | instskip(NEXT) | instid1(VALU_DEP_2)
	v_and_b32_e32 v19, 0x8000, v19
	v_and_b32_e32 v10, 0xfc00, v10
	s_delay_alu instid0(VALU_DEP_1)
	v_or3_b32 v3, v19, v10, v3
.LBB256_768:                            ;   in Loop: Header=BB256_497 Depth=1
	s_or_b32 exec_lo, exec_lo, s25
.LBB256_769:                            ;   in Loop: Header=BB256_497 Depth=1
	s_delay_alu instid0(SALU_CYCLE_1)
	s_or_b32 exec_lo, exec_lo, s24
.LBB256_770:                            ;   in Loop: Header=BB256_497 Depth=1
	s_delay_alu instid0(SALU_CYCLE_1) | instskip(SKIP_2) | instid1(VALU_DEP_1)
	s_or_b32 exec_lo, exec_lo, s23
	v_lshrrev_b16 v10, 8, v20
	s_mov_b32 s23, exec_lo
	v_cmpx_ne_u16_e32 0, v10
	s_cbranch_execz .LBB256_778
; %bb.771:                              ;   in Loop: Header=BB256_497 Depth=1
	v_bfrev_b32_e32 v1, 1
	s_mov_b32 s24, exec_lo
	v_cmpx_ne_u16_e32 0x80, v10
	s_cbranch_execz .LBB256_777
; %bb.772:                              ;   in Loop: Header=BB256_497 Depth=1
	v_and_b32_e32 v19, 0xffff, v10
	v_mov_b32_e32 v1, 0x7c010000
	s_mov_b32 s25, exec_lo
	s_delay_alu instid0(VALU_DEP_2) | instskip(NEXT) | instid1(VALU_DEP_1)
	v_and_b32_e32 v23, 0x7f, v19
	v_cmpx_ne_u32_e32 0x7f, v23
	s_cbranch_execz .LBB256_776
; %bb.773:                              ;   in Loop: Header=BB256_497 Depth=1
	v_and_b32_e32 v1, 7, v19
	v_lshrrev_b32_e32 v22, 3, v23
	s_mov_b32 s26, exec_lo
	v_cmpx_gt_u32_e32 8, v23
; %bb.774:                              ;   in Loop: Header=BB256_497 Depth=1
	s_delay_alu instid0(VALU_DEP_3) | instskip(NEXT) | instid1(VALU_DEP_1)
	v_clz_i32_u32_e32 v1, v1
	v_min_u32_e32 v1, 32, v1
	s_delay_alu instid0(VALU_DEP_1) | instskip(NEXT) | instid1(VALU_DEP_1)
	v_subrev_nc_u32_e32 v22, 28, v1
	v_lshlrev_b64_e32 v[24:25], v22, v[10:11]
	s_delay_alu instid0(VALU_DEP_1)
	v_dual_sub_nc_u32 v22, 29, v1 :: v_dual_bitop2_b32 v1, 7, v24 bitop3:0x40
; %bb.775:                              ;   in Loop: Header=BB256_497 Depth=1
	s_or_b32 exec_lo, exec_lo, s26
	s_delay_alu instid0(VALU_DEP_1) | instskip(NEXT) | instid1(VALU_DEP_2)
	v_dual_lshlrev_b32 v10, 8, v19 :: v_dual_lshlrev_b32 v1, 23, v1
	v_lshl_add_u32 v19, v22, 10, 0x2000
	s_delay_alu instid0(VALU_DEP_1) | instskip(NEXT) | instid1(VALU_DEP_1)
	v_and_or_b32 v10, 0x8000, v10, v19
	v_lshl_or_b32 v1, v10, 16, v1
.LBB256_776:                            ;   in Loop: Header=BB256_497 Depth=1
	s_or_b32 exec_lo, exec_lo, s25
.LBB256_777:                            ;   in Loop: Header=BB256_497 Depth=1
	s_delay_alu instid0(SALU_CYCLE_1)
	s_or_b32 exec_lo, exec_lo, s24
.LBB256_778:                            ;   in Loop: Header=BB256_497 Depth=1
	s_delay_alu instid0(SALU_CYCLE_1) | instskip(SKIP_3) | instid1(VALU_DEP_2)
	s_or_b32 exec_lo, exec_lo, s23
	v_dual_mov_b32 v19, 0 :: v_dual_lshrrev_b32 v10, 16, v20
	v_mov_b32_e32 v22, 0
	s_mov_b32 s23, exec_lo
	v_and_b32_e32 v23, 0xff, v10
	s_delay_alu instid0(VALU_DEP_1)
	v_cmpx_ne_u16_e32 0, v23
	s_cbranch_execz .LBB256_786
; %bb.779:                              ;   in Loop: Header=BB256_497 Depth=1
	v_mov_b32_e32 v22, 0x8000
	s_mov_b32 s24, exec_lo
	v_cmpx_ne_u16_e32 0x80, v23
	s_cbranch_execz .LBB256_785
; %bb.780:                              ;   in Loop: Header=BB256_497 Depth=1
	v_bfe_u32 v24, v20, 16, 7
	v_mov_b32_e32 v22, 0x7c01
	s_mov_b32 s25, exec_lo
	s_delay_alu instid0(VALU_DEP_2)
	v_cmpx_ne_u32_e32 0x7f, v24
	s_cbranch_execz .LBB256_784
; %bb.781:                              ;   in Loop: Header=BB256_497 Depth=1
	v_dual_lshrrev_b32 v23, 3, v24 :: v_dual_bitop2_b32 v22, 7, v10 bitop3:0x40
	s_mov_b32 s26, exec_lo
	v_cmpx_gt_u32_e32 8, v24
; %bb.782:                              ;   in Loop: Header=BB256_497 Depth=1
	s_delay_alu instid0(VALU_DEP_2) | instskip(NEXT) | instid1(VALU_DEP_1)
	v_clz_i32_u32_e32 v22, v22
	v_min_u32_e32 v24, 32, v22
	s_delay_alu instid0(VALU_DEP_1) | instskip(NEXT) | instid1(VALU_DEP_1)
	v_subrev_nc_u32_e32 v22, 28, v24
	v_lshlrev_b64_e32 v[22:23], v22, v[10:11]
	s_delay_alu instid0(VALU_DEP_1)
	v_dual_sub_nc_u32 v23, 29, v24 :: v_dual_bitop2_b32 v22, 7, v22 bitop3:0x40
; %bb.783:                              ;   in Loop: Header=BB256_497 Depth=1
	s_or_b32 exec_lo, exec_lo, s26
	v_lshlrev_b32_e32 v10, 8, v10
	s_delay_alu instid0(VALU_DEP_2) | instskip(NEXT) | instid1(VALU_DEP_3)
	v_lshl_add_u32 v23, v23, 10, 0x2000
	v_lshlrev_b32_e32 v22, 7, v22
	s_delay_alu instid0(VALU_DEP_3) | instskip(NEXT) | instid1(VALU_DEP_3)
	v_and_b32_e32 v10, 0x8000, v10
	v_and_b32_e32 v23, 0xfc00, v23
	s_delay_alu instid0(VALU_DEP_1)
	v_or3_b32 v22, v10, v23, v22
.LBB256_784:                            ;   in Loop: Header=BB256_497 Depth=1
	s_or_b32 exec_lo, exec_lo, s25
.LBB256_785:                            ;   in Loop: Header=BB256_497 Depth=1
	s_delay_alu instid0(SALU_CYCLE_1)
	s_or_b32 exec_lo, exec_lo, s24
.LBB256_786:                            ;   in Loop: Header=BB256_497 Depth=1
	s_delay_alu instid0(SALU_CYCLE_1) | instskip(NEXT) | instid1(SALU_CYCLE_1)
	s_or_b32 exec_lo, exec_lo, s23
	s_mov_b32 s23, exec_lo
	v_cmpx_lt_u32_e32 0xffffff, v20
	s_cbranch_execz .LBB256_794
; %bb.787:                              ;   in Loop: Header=BB256_497 Depth=1
	v_lshrrev_b32_e32 v10, 24, v20
	v_bfrev_b32_e32 v19, 1
	s_mov_b32 s24, exec_lo
	s_delay_alu instid0(VALU_DEP_2)
	v_cmpx_ne_u32_e32 0x80, v10
	s_cbranch_execz .LBB256_793
; %bb.788:                              ;   in Loop: Header=BB256_497 Depth=1
	v_and_b32_e32 v24, 0x7f, v10
	v_mov_b32_e32 v19, 0x7c010000
	s_mov_b32 s25, exec_lo
	s_delay_alu instid0(VALU_DEP_2)
	v_cmpx_ne_u32_e32 0x7f, v24
	s_cbranch_execz .LBB256_792
; %bb.789:                              ;   in Loop: Header=BB256_497 Depth=1
	v_dual_lshrrev_b32 v23, 3, v24 :: v_dual_bitop2_b32 v19, 7, v10 bitop3:0x40
	s_mov_b32 s26, exec_lo
	v_cmpx_gt_u32_e32 8, v24
; %bb.790:                              ;   in Loop: Header=BB256_497 Depth=1
	s_delay_alu instid0(VALU_DEP_2) | instskip(NEXT) | instid1(VALU_DEP_1)
	v_clz_i32_u32_e32 v19, v19
	v_min_u32_e32 v19, 32, v19
	s_delay_alu instid0(VALU_DEP_1) | instskip(NEXT) | instid1(VALU_DEP_1)
	v_subrev_nc_u32_e32 v23, 28, v19
	v_lshlrev_b64_e32 v[24:25], v23, v[10:11]
	s_delay_alu instid0(VALU_DEP_1)
	v_dual_sub_nc_u32 v23, 29, v19 :: v_dual_bitop2_b32 v19, 7, v24 bitop3:0x40
; %bb.791:                              ;   in Loop: Header=BB256_497 Depth=1
	s_or_b32 exec_lo, exec_lo, s26
	s_delay_alu instid0(VALU_DEP_1) | instskip(NEXT) | instid1(VALU_DEP_2)
	v_dual_lshlrev_b32 v10, 8, v10 :: v_dual_lshlrev_b32 v19, 23, v19
	v_lshl_add_u32 v23, v23, 10, 0x2000
	s_delay_alu instid0(VALU_DEP_1) | instskip(NEXT) | instid1(VALU_DEP_1)
	v_and_or_b32 v10, 0x8000, v10, v23
	v_lshl_or_b32 v19, v10, 16, v19
.LBB256_792:                            ;   in Loop: Header=BB256_497 Depth=1
	s_or_b32 exec_lo, exec_lo, s25
.LBB256_793:                            ;   in Loop: Header=BB256_497 Depth=1
	s_delay_alu instid0(SALU_CYCLE_1)
	s_or_b32 exec_lo, exec_lo, s24
.LBB256_794:                            ;   in Loop: Header=BB256_497 Depth=1
	s_delay_alu instid0(SALU_CYCLE_1) | instskip(SKIP_4) | instid1(VALU_DEP_3)
	s_or_b32 exec_lo, exec_lo, s23
	v_and_b32_e32 v25, 0xff, v21
	v_dual_mov_b32 v10, v21 :: v_dual_mov_b32 v24, 0
	v_mov_b32_e32 v23, 0
	s_mov_b32 s23, exec_lo
	v_cmpx_ne_u16_e32 0, v25
	s_cbranch_execz .LBB256_802
; %bb.795:                              ;   in Loop: Header=BB256_497 Depth=1
	v_mov_b32_e32 v23, 0x8000
	s_mov_b32 s24, exec_lo
	v_cmpx_ne_u16_e32 0x80, v25
	s_cbranch_execz .LBB256_801
; %bb.796:                              ;   in Loop: Header=BB256_497 Depth=1
	v_and_b32_e32 v26, 0x7f, v21
	v_mov_b32_e32 v23, 0x7c01
	s_mov_b32 s25, exec_lo
	s_delay_alu instid0(VALU_DEP_2)
	v_cmpx_ne_u32_e32 0x7f, v26
	s_cbranch_execz .LBB256_800
; %bb.797:                              ;   in Loop: Header=BB256_497 Depth=1
	v_dual_lshrrev_b32 v25, 3, v26 :: v_dual_bitop2_b32 v23, 7, v21 bitop3:0x40
	s_mov_b32 s26, exec_lo
	v_cmpx_gt_u32_e32 8, v26
; %bb.798:                              ;   in Loop: Header=BB256_497 Depth=1
	s_delay_alu instid0(VALU_DEP_2) | instskip(NEXT) | instid1(VALU_DEP_1)
	v_clz_i32_u32_e32 v23, v23
	v_min_u32_e32 v23, 32, v23
	s_delay_alu instid0(VALU_DEP_1) | instskip(NEXT) | instid1(VALU_DEP_1)
	v_subrev_nc_u32_e32 v25, 28, v23
	v_lshlrev_b64_e32 v[44:45], v25, v[10:11]
	s_delay_alu instid0(VALU_DEP_1)
	v_dual_sub_nc_u32 v25, 29, v23 :: v_dual_bitop2_b32 v23, 7, v44 bitop3:0x40
; %bb.799:                              ;   in Loop: Header=BB256_497 Depth=1
	s_or_b32 exec_lo, exec_lo, s26
	s_delay_alu instid0(VALU_DEP_1) | instskip(NEXT) | instid1(VALU_DEP_2)
	v_dual_lshlrev_b32 v26, 8, v21 :: v_dual_lshlrev_b32 v23, 7, v23
	v_lshl_add_u32 v25, v25, 10, 0x2000
	s_delay_alu instid0(VALU_DEP_2) | instskip(NEXT) | instid1(VALU_DEP_2)
	v_and_b32_e32 v26, 0x8000, v26
	v_and_b32_e32 v25, 0xfc00, v25
	s_delay_alu instid0(VALU_DEP_1)
	v_or3_b32 v23, v26, v25, v23
.LBB256_800:                            ;   in Loop: Header=BB256_497 Depth=1
	s_or_b32 exec_lo, exec_lo, s25
.LBB256_801:                            ;   in Loop: Header=BB256_497 Depth=1
	s_delay_alu instid0(SALU_CYCLE_1)
	s_or_b32 exec_lo, exec_lo, s24
.LBB256_802:                            ;   in Loop: Header=BB256_497 Depth=1
	s_delay_alu instid0(SALU_CYCLE_1) | instskip(SKIP_3) | instid1(VALU_DEP_2)
	s_or_b32 exec_lo, exec_lo, s23
	v_lshrrev_b16 v10, 8, v10
	v_mov_b32_e32 v25, 0
	s_mov_b32 s23, exec_lo
	v_cmpx_ne_u16_e32 0, v10
	s_cbranch_execz .LBB256_810
; %bb.803:                              ;   in Loop: Header=BB256_497 Depth=1
	v_bfrev_b32_e32 v25, 1
	s_mov_b32 s24, exec_lo
	v_cmpx_ne_u16_e32 0x80, v10
	s_cbranch_execz .LBB256_809
; %bb.804:                              ;   in Loop: Header=BB256_497 Depth=1
	v_and_b32_e32 v26, 0xffff, v10
	v_mov_b32_e32 v25, 0x7c010000
	s_mov_b32 s25, exec_lo
	s_delay_alu instid0(VALU_DEP_2) | instskip(NEXT) | instid1(VALU_DEP_1)
	v_and_b32_e32 v45, 0x7f, v26
	v_cmpx_ne_u32_e32 0x7f, v45
	s_cbranch_execz .LBB256_808
; %bb.805:                              ;   in Loop: Header=BB256_497 Depth=1
	v_dual_lshrrev_b32 v44, 3, v45 :: v_dual_bitop2_b32 v25, 7, v26 bitop3:0x40
	s_mov_b32 s26, exec_lo
	v_cmpx_gt_u32_e32 8, v45
; %bb.806:                              ;   in Loop: Header=BB256_497 Depth=1
	s_delay_alu instid0(VALU_DEP_2) | instskip(NEXT) | instid1(VALU_DEP_1)
	v_clz_i32_u32_e32 v25, v25
	v_min_u32_e32 v25, 32, v25
	s_delay_alu instid0(VALU_DEP_1) | instskip(NEXT) | instid1(VALU_DEP_1)
	v_subrev_nc_u32_e32 v44, 28, v25
	v_lshlrev_b64_e32 v[58:59], v44, v[10:11]
	s_delay_alu instid0(VALU_DEP_1)
	v_dual_sub_nc_u32 v44, 29, v25 :: v_dual_bitop2_b32 v25, 7, v58 bitop3:0x40
; %bb.807:                              ;   in Loop: Header=BB256_497 Depth=1
	s_or_b32 exec_lo, exec_lo, s26
	s_delay_alu instid0(VALU_DEP_1) | instskip(NEXT) | instid1(VALU_DEP_2)
	v_dual_lshlrev_b32 v10, 8, v26 :: v_dual_lshlrev_b32 v25, 23, v25
	v_lshl_add_u32 v26, v44, 10, 0x2000
	s_delay_alu instid0(VALU_DEP_1) | instskip(NEXT) | instid1(VALU_DEP_1)
	v_and_or_b32 v10, 0x8000, v10, v26
	v_lshl_or_b32 v25, v10, 16, v25
.LBB256_808:                            ;   in Loop: Header=BB256_497 Depth=1
	s_or_b32 exec_lo, exec_lo, s25
.LBB256_809:                            ;   in Loop: Header=BB256_497 Depth=1
	s_delay_alu instid0(SALU_CYCLE_1)
	s_or_b32 exec_lo, exec_lo, s24
.LBB256_810:                            ;   in Loop: Header=BB256_497 Depth=1
	s_delay_alu instid0(SALU_CYCLE_1) | instskip(SKIP_2) | instid1(VALU_DEP_1)
	s_or_b32 exec_lo, exec_lo, s23
	v_lshrrev_b32_e32 v10, 16, v21
	s_mov_b32 s23, exec_lo
	v_and_b32_e32 v26, 0xff, v10
	s_delay_alu instid0(VALU_DEP_1)
	v_cmpx_ne_u16_e32 0, v26
	s_cbranch_execz .LBB256_818
; %bb.811:                              ;   in Loop: Header=BB256_497 Depth=1
	v_mov_b32_e32 v24, 0x8000
	s_mov_b32 s24, exec_lo
	v_cmpx_ne_u16_e32 0x80, v26
	s_cbranch_execz .LBB256_817
; %bb.812:                              ;   in Loop: Header=BB256_497 Depth=1
	v_bfe_u32 v44, v21, 16, 7
	v_mov_b32_e32 v24, 0x7c01
	s_mov_b32 s25, exec_lo
	s_delay_alu instid0(VALU_DEP_2)
	v_cmpx_ne_u32_e32 0x7f, v44
	s_cbranch_execz .LBB256_816
; %bb.813:                              ;   in Loop: Header=BB256_497 Depth=1
	v_dual_lshrrev_b32 v26, 3, v44 :: v_dual_bitop2_b32 v24, 7, v10 bitop3:0x40
	s_mov_b32 s26, exec_lo
	v_cmpx_gt_u32_e32 8, v44
; %bb.814:                              ;   in Loop: Header=BB256_497 Depth=1
	s_delay_alu instid0(VALU_DEP_2) | instskip(NEXT) | instid1(VALU_DEP_1)
	v_clz_i32_u32_e32 v24, v24
	v_min_u32_e32 v24, 32, v24
	s_delay_alu instid0(VALU_DEP_1) | instskip(NEXT) | instid1(VALU_DEP_1)
	v_subrev_nc_u32_e32 v26, 28, v24
	v_lshlrev_b64_e32 v[44:45], v26, v[10:11]
	v_sub_nc_u32_e32 v26, 29, v24
	s_delay_alu instid0(VALU_DEP_2)
	v_and_b32_e32 v24, 7, v44
; %bb.815:                              ;   in Loop: Header=BB256_497 Depth=1
	s_or_b32 exec_lo, exec_lo, s26
	s_delay_alu instid0(VALU_DEP_1) | instskip(NEXT) | instid1(VALU_DEP_3)
	v_dual_lshlrev_b32 v10, 8, v10 :: v_dual_lshlrev_b32 v24, 7, v24
	v_lshl_add_u32 v26, v26, 10, 0x2000
	s_delay_alu instid0(VALU_DEP_2) | instskip(NEXT) | instid1(VALU_DEP_2)
	v_and_b32_e32 v10, 0x8000, v10
	v_and_b32_e32 v26, 0xfc00, v26
	s_delay_alu instid0(VALU_DEP_1)
	v_or3_b32 v24, v10, v26, v24
.LBB256_816:                            ;   in Loop: Header=BB256_497 Depth=1
	s_or_b32 exec_lo, exec_lo, s25
.LBB256_817:                            ;   in Loop: Header=BB256_497 Depth=1
	s_delay_alu instid0(SALU_CYCLE_1)
	s_or_b32 exec_lo, exec_lo, s24
.LBB256_818:                            ;   in Loop: Header=BB256_497 Depth=1
	s_delay_alu instid0(SALU_CYCLE_1)
	s_or_b32 exec_lo, exec_lo, s23
	v_cmp_lt_u64_e64 s0, s[8:9], v[20:21]
	v_mov_b32_e32 v20, 0
	s_and_saveexec_b32 s23, s0
	s_cbranch_execz .LBB256_826
; %bb.819:                              ;   in Loop: Header=BB256_497 Depth=1
	v_lshrrev_b32_e32 v10, 24, v21
	v_bfrev_b32_e32 v20, 1
	s_mov_b32 s24, exec_lo
	s_delay_alu instid0(VALU_DEP_2)
	v_cmpx_ne_u32_e32 0x80, v10
	s_cbranch_execz .LBB256_825
; %bb.820:                              ;   in Loop: Header=BB256_497 Depth=1
	v_and_b32_e32 v26, 0x7f, v10
	v_mov_b32_e32 v20, 0x7c010000
	s_mov_b32 s25, exec_lo
	s_delay_alu instid0(VALU_DEP_2)
	v_cmpx_ne_u32_e32 0x7f, v26
	s_cbranch_execz .LBB256_824
; %bb.821:                              ;   in Loop: Header=BB256_497 Depth=1
	v_and_b32_e32 v20, 7, v10
	v_lshrrev_b32_e32 v21, 3, v26
	s_mov_b32 s26, exec_lo
	v_cmpx_gt_u32_e32 8, v26
; %bb.822:                              ;   in Loop: Header=BB256_497 Depth=1
	s_delay_alu instid0(VALU_DEP_3) | instskip(NEXT) | instid1(VALU_DEP_1)
	v_clz_i32_u32_e32 v20, v20
	v_min_u32_e32 v26, 32, v20
	s_delay_alu instid0(VALU_DEP_1) | instskip(NEXT) | instid1(VALU_DEP_1)
	v_subrev_nc_u32_e32 v20, 28, v26
	v_lshlrev_b64_e32 v[20:21], v20, v[10:11]
	s_delay_alu instid0(VALU_DEP_1)
	v_dual_sub_nc_u32 v21, 29, v26 :: v_dual_bitop2_b32 v20, 7, v20 bitop3:0x40
; %bb.823:                              ;   in Loop: Header=BB256_497 Depth=1
	s_or_b32 exec_lo, exec_lo, s26
	s_delay_alu instid0(VALU_DEP_1) | instskip(NEXT) | instid1(VALU_DEP_2)
	v_dual_lshlrev_b32 v10, 8, v10 :: v_dual_lshlrev_b32 v20, 23, v20
	v_lshl_add_u32 v21, v21, 10, 0x2000
	s_delay_alu instid0(VALU_DEP_1) | instskip(NEXT) | instid1(VALU_DEP_1)
	v_and_or_b32 v10, 0x8000, v10, v21
	v_lshl_or_b32 v20, v10, 16, v20
.LBB256_824:                            ;   in Loop: Header=BB256_497 Depth=1
	s_or_b32 exec_lo, exec_lo, s25
.LBB256_825:                            ;   in Loop: Header=BB256_497 Depth=1
	s_delay_alu instid0(SALU_CYCLE_1)
	s_or_b32 exec_lo, exec_lo, s24
.LBB256_826:                            ;   in Loop: Header=BB256_497 Depth=1
	s_delay_alu instid0(SALU_CYCLE_1) | instskip(SKIP_3) | instid1(VALU_DEP_3)
	s_or_b32 exec_lo, exec_lo, s23
	v_dual_lshrrev_b32 v10, 16, v1 :: v_dual_lshrrev_b32 v21, 16, v19
	v_or_b32_e32 v1, v1, v3
	v_dual_lshrrev_b32 v22, 16, v20 :: v_dual_bitop2_b32 v3, v19, v22 bitop3:0x54
	v_cvt_f32_f16_e32 v45, v10
	s_delay_alu instid0(VALU_DEP_4) | instskip(SKIP_4) | instid1(VALU_DEP_3)
	v_cvt_f32_f16_e32 v44, v21
	v_lshrrev_b32_e32 v19, 16, v25
	v_cvt_f32_f16_e32 v21, v1
	v_cvt_f32_f16_e32 v22, v22
	s_wait_loadcnt 0x0
	v_pk_mul_f32 v[44:45], v[18:19], v[44:45] op_sel_hi:[0,1]
	s_delay_alu instid0(VALU_DEP_1) | instskip(SKIP_4) | instid1(VALU_DEP_3)
	v_cvt_pk_f16_f32 v1, v44, v45
	v_or_b32_e32 v10, v20, v24
	v_cvt_f32_f16_e32 v20, v3
	v_or_b32_e32 v3, v25, v23
	v_cvt_f32_f16_e32 v23, v19
	v_pk_mul_f32 v[20:21], v[18:19], v[20:21] op_sel_hi:[0,1]
	s_delay_alu instid0(VALU_DEP_3) | instskip(NEXT) | instid1(VALU_DEP_3)
	v_cvt_f32_f16_e32 v25, v3
	v_pk_mul_f32 v[22:23], v[18:19], v[22:23] op_sel_hi:[0,1]
	s_delay_alu instid0(VALU_DEP_3) | instskip(SKIP_2) | instid1(VALU_DEP_4)
	v_cvt_pk_f16_f32 v3, v20, v21
	v_lshlrev_b32_e32 v20, 16, v1
	v_cvt_f32_f16_e32 v24, v10
	v_cvt_pk_f16_f32 v10, v22, v23
	s_delay_alu instid0(VALU_DEP_4) | instskip(NEXT) | instid1(VALU_DEP_3)
	v_and_b32_e32 v26, 0xffff, v3
	v_pk_mul_f32 v[24:25], v[18:19], v[24:25] op_sel_hi:[0,1]
	v_and_b32_e32 v19, 0xffff0000, v1
	s_delay_alu instid0(VALU_DEP_4) | instskip(SKIP_1) | instid1(VALU_DEP_4)
	v_and_b32_e32 v1, 0xffff0000, v10
	v_lshlrev_b32_e32 v10, 16, v10
	v_cvt_pk_f16_f32 v18, v24, v25
	v_dual_lshrrev_b32 v25, 16, v3 :: v_dual_bitop2_b32 v24, v20, v26 bitop3:0x54
	s_delay_alu instid0(VALU_DEP_2) | instskip(SKIP_1) | instid1(VALU_DEP_3)
	v_lshrrev_b32_e32 v3, 16, v18
	v_and_b32_e32 v18, 0xffff, v18
	v_or_b32_e32 v23, v19, v25
	s_delay_alu instid0(VALU_DEP_3) | instskip(NEXT) | instid1(VALU_DEP_3)
	v_or_b32_e32 v21, v1, v3
	v_or_b32_e32 v22, v10, v18
	s_and_saveexec_b32 s23, vcc_lo
	s_cbranch_execz .LBB256_828
; %bb.827:                              ;   in Loop: Header=BB256_497 Depth=1
	v_cmp_gt_i32_e64 s0, s18, v36
	s_delay_alu instid0(VALU_DEP_1) | instskip(SKIP_1) | instid1(VALU_DEP_1)
	v_cndmask_b32_e64 v21, 0, v25, s0
	v_cmp_gt_i32_e64 s0, s34, v43
	v_cndmask_b32_e64 v22, 0, v26, s0
	v_cmp_gt_i32_e64 s0, s18, v42
	s_delay_alu instid0(VALU_DEP_1) | instskip(SKIP_1) | instid1(VALU_DEP_1)
	v_cndmask_b32_e64 v19, 0, v19, s0
	v_cmp_gt_i32_e64 s0, s34, v41
	v_cndmask_b32_e64 v20, 0, v20, s0
	v_cmp_gt_i32_e64 s0, s18, v40
	s_delay_alu instid0(VALU_DEP_4) | instskip(NEXT) | instid1(VALU_DEP_2)
	v_or_b32_e32 v23, v19, v21
	v_dual_cndmask_b32 v3, 0, v3, s0 :: v_dual_bitop2_b32 v24, v20, v22 bitop3:0x54
	v_cmp_gt_i32_e64 s0, s34, v39
	s_delay_alu instid0(VALU_DEP_1) | instskip(SKIP_1) | instid1(VALU_DEP_1)
	v_cndmask_b32_e64 v18, 0, v18, s0
	v_cmp_gt_i32_e64 s0, s18, v38
	v_cndmask_b32_e64 v1, 0, v1, s0
	v_cmp_gt_i32_e64 s0, s34, v37
	s_delay_alu instid0(VALU_DEP_1) | instskip(NEXT) | instid1(VALU_DEP_1)
	v_dual_cndmask_b32 v10, 0, v10, s0 :: v_dual_bitop2_b32 v21, v1, v3 bitop3:0x54
	v_or_b32_e32 v22, v10, v18
.LBB256_828:                            ;   in Loop: Header=BB256_497 Depth=1
	s_or_b32 exec_lo, exec_lo, s23
	;;#ASMSTART
	v_pk_mul_f16 v1, v51, v23;

	;;#ASMEND
	;;#ASMSTART
	v_pk_mul_f16 v3, v48, v24;

	;;#ASMEND
	;; [unrolled: 4-line block ×4, first 2 shown]
	;;#ASMSTART
	v_pk_add_f16 v1, v1, v3;

	;;#ASMEND
	;;#ASMSTART
	v_pk_add_f16 v1, v1, v10;

	;;#ASMEND
	;; [unrolled: 4-line block ×3, first 2 shown]
	v_and_b32_e32 v3, 0xffff, v1
	v_lshrrev_b32_e32 v1, 16, v1
	;;#ASMSTART
	v_cvt_f32_f16 v58, v3;
	;;#ASMEND
	v_mov_b32_e32 v3, 0
	;;#ASMSTART
	v_cvt_f32_f16 v59, v1;
	;;#ASMEND
	global_load_b64 v[20:21], v[16:17], off offset:1280
	v_mov_b32_e32 v1, 0
	s_mov_b32 s23, exec_lo
	global_load_b32 v18, v1, s[10:11]
	s_wait_loadcnt 0x1
	v_and_b32_e32 v10, 0xff, v20
	s_wait_xcnt 0x0
	s_delay_alu instid0(VALU_DEP_1)
	v_cmpx_ne_u16_e32 0, v10
	s_cbranch_execz .LBB256_836
; %bb.829:                              ;   in Loop: Header=BB256_497 Depth=1
	v_mov_b32_e32 v3, 0x8000
	s_mov_b32 s24, exec_lo
	v_cmpx_ne_u16_e32 0x80, v10
	s_cbranch_execz .LBB256_835
; %bb.830:                              ;   in Loop: Header=BB256_497 Depth=1
	v_and_b32_e32 v19, 0x7f, v20
	v_mov_b32_e32 v3, 0x7c01
	s_mov_b32 s25, exec_lo
	s_delay_alu instid0(VALU_DEP_2)
	v_cmpx_ne_u32_e32 0x7f, v19
	s_cbranch_execz .LBB256_834
; %bb.831:                              ;   in Loop: Header=BB256_497 Depth=1
	v_dual_lshrrev_b32 v10, 3, v19 :: v_dual_bitop2_b32 v3, 7, v20 bitop3:0x40
	s_mov_b32 s26, exec_lo
	v_cmpx_gt_u32_e32 8, v19
; %bb.832:                              ;   in Loop: Header=BB256_497 Depth=1
	s_delay_alu instid0(VALU_DEP_2) | instskip(NEXT) | instid1(VALU_DEP_1)
	v_clz_i32_u32_e32 v3, v3
	v_min_u32_e32 v3, 32, v3
	s_delay_alu instid0(VALU_DEP_1) | instskip(NEXT) | instid1(VALU_DEP_1)
	v_subrev_nc_u32_e32 v10, 28, v3
	v_lshlrev_b64_e32 v[22:23], v10, v[20:21]
	s_delay_alu instid0(VALU_DEP_1)
	v_dual_sub_nc_u32 v10, 29, v3 :: v_dual_bitop2_b32 v3, 7, v22 bitop3:0x40
; %bb.833:                              ;   in Loop: Header=BB256_497 Depth=1
	s_or_b32 exec_lo, exec_lo, s26
	s_delay_alu instid0(VALU_DEP_1) | instskip(NEXT) | instid1(VALU_DEP_2)
	v_dual_lshlrev_b32 v19, 8, v20 :: v_dual_lshlrev_b32 v3, 7, v3
	v_lshl_add_u32 v10, v10, 10, 0x2000
	s_delay_alu instid0(VALU_DEP_2) | instskip(NEXT) | instid1(VALU_DEP_2)
	v_and_b32_e32 v19, 0x8000, v19
	v_and_b32_e32 v10, 0xfc00, v10
	s_delay_alu instid0(VALU_DEP_1)
	v_or3_b32 v3, v19, v10, v3
.LBB256_834:                            ;   in Loop: Header=BB256_497 Depth=1
	s_or_b32 exec_lo, exec_lo, s25
.LBB256_835:                            ;   in Loop: Header=BB256_497 Depth=1
	s_delay_alu instid0(SALU_CYCLE_1)
	s_or_b32 exec_lo, exec_lo, s24
.LBB256_836:                            ;   in Loop: Header=BB256_497 Depth=1
	s_delay_alu instid0(SALU_CYCLE_1) | instskip(SKIP_2) | instid1(VALU_DEP_1)
	s_or_b32 exec_lo, exec_lo, s23
	v_lshrrev_b16 v10, 8, v20
	s_mov_b32 s23, exec_lo
	v_cmpx_ne_u16_e32 0, v10
	s_cbranch_execz .LBB256_844
; %bb.837:                              ;   in Loop: Header=BB256_497 Depth=1
	v_bfrev_b32_e32 v1, 1
	s_mov_b32 s24, exec_lo
	v_cmpx_ne_u16_e32 0x80, v10
	s_cbranch_execz .LBB256_843
; %bb.838:                              ;   in Loop: Header=BB256_497 Depth=1
	v_and_b32_e32 v19, 0xffff, v10
	v_mov_b32_e32 v1, 0x7c010000
	s_mov_b32 s25, exec_lo
	s_delay_alu instid0(VALU_DEP_2) | instskip(NEXT) | instid1(VALU_DEP_1)
	v_and_b32_e32 v23, 0x7f, v19
	v_cmpx_ne_u32_e32 0x7f, v23
	s_cbranch_execz .LBB256_842
; %bb.839:                              ;   in Loop: Header=BB256_497 Depth=1
	v_and_b32_e32 v1, 7, v19
	v_lshrrev_b32_e32 v22, 3, v23
	s_mov_b32 s26, exec_lo
	v_cmpx_gt_u32_e32 8, v23
; %bb.840:                              ;   in Loop: Header=BB256_497 Depth=1
	s_delay_alu instid0(VALU_DEP_3) | instskip(NEXT) | instid1(VALU_DEP_1)
	v_clz_i32_u32_e32 v1, v1
	v_min_u32_e32 v1, 32, v1
	s_delay_alu instid0(VALU_DEP_1) | instskip(NEXT) | instid1(VALU_DEP_1)
	v_subrev_nc_u32_e32 v22, 28, v1
	v_lshlrev_b64_e32 v[24:25], v22, v[10:11]
	s_delay_alu instid0(VALU_DEP_1)
	v_dual_sub_nc_u32 v22, 29, v1 :: v_dual_bitop2_b32 v1, 7, v24 bitop3:0x40
; %bb.841:                              ;   in Loop: Header=BB256_497 Depth=1
	s_or_b32 exec_lo, exec_lo, s26
	s_delay_alu instid0(VALU_DEP_1) | instskip(NEXT) | instid1(VALU_DEP_2)
	v_dual_lshlrev_b32 v10, 8, v19 :: v_dual_lshlrev_b32 v1, 23, v1
	v_lshl_add_u32 v19, v22, 10, 0x2000
	s_delay_alu instid0(VALU_DEP_1) | instskip(NEXT) | instid1(VALU_DEP_1)
	v_and_or_b32 v10, 0x8000, v10, v19
	v_lshl_or_b32 v1, v10, 16, v1
.LBB256_842:                            ;   in Loop: Header=BB256_497 Depth=1
	s_or_b32 exec_lo, exec_lo, s25
.LBB256_843:                            ;   in Loop: Header=BB256_497 Depth=1
	s_delay_alu instid0(SALU_CYCLE_1)
	s_or_b32 exec_lo, exec_lo, s24
.LBB256_844:                            ;   in Loop: Header=BB256_497 Depth=1
	s_delay_alu instid0(SALU_CYCLE_1) | instskip(SKIP_3) | instid1(VALU_DEP_2)
	s_or_b32 exec_lo, exec_lo, s23
	v_dual_mov_b32 v19, 0 :: v_dual_lshrrev_b32 v10, 16, v20
	v_mov_b32_e32 v22, 0
	s_mov_b32 s23, exec_lo
	v_and_b32_e32 v23, 0xff, v10
	s_delay_alu instid0(VALU_DEP_1)
	v_cmpx_ne_u16_e32 0, v23
	s_cbranch_execz .LBB256_852
; %bb.845:                              ;   in Loop: Header=BB256_497 Depth=1
	v_mov_b32_e32 v22, 0x8000
	s_mov_b32 s24, exec_lo
	v_cmpx_ne_u16_e32 0x80, v23
	s_cbranch_execz .LBB256_851
; %bb.846:                              ;   in Loop: Header=BB256_497 Depth=1
	v_bfe_u32 v24, v20, 16, 7
	v_mov_b32_e32 v22, 0x7c01
	s_mov_b32 s25, exec_lo
	s_delay_alu instid0(VALU_DEP_2)
	v_cmpx_ne_u32_e32 0x7f, v24
	s_cbranch_execz .LBB256_850
; %bb.847:                              ;   in Loop: Header=BB256_497 Depth=1
	v_dual_lshrrev_b32 v23, 3, v24 :: v_dual_bitop2_b32 v22, 7, v10 bitop3:0x40
	s_mov_b32 s26, exec_lo
	v_cmpx_gt_u32_e32 8, v24
; %bb.848:                              ;   in Loop: Header=BB256_497 Depth=1
	s_delay_alu instid0(VALU_DEP_2) | instskip(NEXT) | instid1(VALU_DEP_1)
	v_clz_i32_u32_e32 v22, v22
	v_min_u32_e32 v24, 32, v22
	s_delay_alu instid0(VALU_DEP_1) | instskip(NEXT) | instid1(VALU_DEP_1)
	v_subrev_nc_u32_e32 v22, 28, v24
	v_lshlrev_b64_e32 v[22:23], v22, v[10:11]
	s_delay_alu instid0(VALU_DEP_1)
	v_dual_sub_nc_u32 v23, 29, v24 :: v_dual_bitop2_b32 v22, 7, v22 bitop3:0x40
; %bb.849:                              ;   in Loop: Header=BB256_497 Depth=1
	s_or_b32 exec_lo, exec_lo, s26
	v_lshlrev_b32_e32 v10, 8, v10
	s_delay_alu instid0(VALU_DEP_2) | instskip(NEXT) | instid1(VALU_DEP_3)
	v_lshl_add_u32 v23, v23, 10, 0x2000
	v_lshlrev_b32_e32 v22, 7, v22
	s_delay_alu instid0(VALU_DEP_3) | instskip(NEXT) | instid1(VALU_DEP_3)
	v_and_b32_e32 v10, 0x8000, v10
	v_and_b32_e32 v23, 0xfc00, v23
	s_delay_alu instid0(VALU_DEP_1)
	v_or3_b32 v22, v10, v23, v22
.LBB256_850:                            ;   in Loop: Header=BB256_497 Depth=1
	s_or_b32 exec_lo, exec_lo, s25
.LBB256_851:                            ;   in Loop: Header=BB256_497 Depth=1
	s_delay_alu instid0(SALU_CYCLE_1)
	s_or_b32 exec_lo, exec_lo, s24
.LBB256_852:                            ;   in Loop: Header=BB256_497 Depth=1
	s_delay_alu instid0(SALU_CYCLE_1) | instskip(NEXT) | instid1(SALU_CYCLE_1)
	s_or_b32 exec_lo, exec_lo, s23
	s_mov_b32 s23, exec_lo
	v_cmpx_lt_u32_e32 0xffffff, v20
	s_cbranch_execz .LBB256_860
; %bb.853:                              ;   in Loop: Header=BB256_497 Depth=1
	v_lshrrev_b32_e32 v10, 24, v20
	v_bfrev_b32_e32 v19, 1
	s_mov_b32 s24, exec_lo
	s_delay_alu instid0(VALU_DEP_2)
	v_cmpx_ne_u32_e32 0x80, v10
	s_cbranch_execz .LBB256_859
; %bb.854:                              ;   in Loop: Header=BB256_497 Depth=1
	v_and_b32_e32 v24, 0x7f, v10
	v_mov_b32_e32 v19, 0x7c010000
	s_mov_b32 s25, exec_lo
	s_delay_alu instid0(VALU_DEP_2)
	v_cmpx_ne_u32_e32 0x7f, v24
	s_cbranch_execz .LBB256_858
; %bb.855:                              ;   in Loop: Header=BB256_497 Depth=1
	v_dual_lshrrev_b32 v23, 3, v24 :: v_dual_bitop2_b32 v19, 7, v10 bitop3:0x40
	s_mov_b32 s26, exec_lo
	v_cmpx_gt_u32_e32 8, v24
; %bb.856:                              ;   in Loop: Header=BB256_497 Depth=1
	s_delay_alu instid0(VALU_DEP_2) | instskip(NEXT) | instid1(VALU_DEP_1)
	v_clz_i32_u32_e32 v19, v19
	v_min_u32_e32 v19, 32, v19
	s_delay_alu instid0(VALU_DEP_1) | instskip(NEXT) | instid1(VALU_DEP_1)
	v_subrev_nc_u32_e32 v23, 28, v19
	v_lshlrev_b64_e32 v[24:25], v23, v[10:11]
	s_delay_alu instid0(VALU_DEP_1)
	v_dual_sub_nc_u32 v23, 29, v19 :: v_dual_bitop2_b32 v19, 7, v24 bitop3:0x40
; %bb.857:                              ;   in Loop: Header=BB256_497 Depth=1
	s_or_b32 exec_lo, exec_lo, s26
	s_delay_alu instid0(VALU_DEP_1) | instskip(NEXT) | instid1(VALU_DEP_2)
	v_dual_lshlrev_b32 v10, 8, v10 :: v_dual_lshlrev_b32 v19, 23, v19
	v_lshl_add_u32 v23, v23, 10, 0x2000
	s_delay_alu instid0(VALU_DEP_1) | instskip(NEXT) | instid1(VALU_DEP_1)
	v_and_or_b32 v10, 0x8000, v10, v23
	v_lshl_or_b32 v19, v10, 16, v19
.LBB256_858:                            ;   in Loop: Header=BB256_497 Depth=1
	s_or_b32 exec_lo, exec_lo, s25
.LBB256_859:                            ;   in Loop: Header=BB256_497 Depth=1
	s_delay_alu instid0(SALU_CYCLE_1)
	s_or_b32 exec_lo, exec_lo, s24
.LBB256_860:                            ;   in Loop: Header=BB256_497 Depth=1
	s_delay_alu instid0(SALU_CYCLE_1) | instskip(SKIP_4) | instid1(VALU_DEP_3)
	s_or_b32 exec_lo, exec_lo, s23
	v_and_b32_e32 v25, 0xff, v21
	v_dual_mov_b32 v10, v21 :: v_dual_mov_b32 v24, 0
	v_mov_b32_e32 v23, 0
	s_mov_b32 s23, exec_lo
	v_cmpx_ne_u16_e32 0, v25
	s_cbranch_execz .LBB256_868
; %bb.861:                              ;   in Loop: Header=BB256_497 Depth=1
	v_mov_b32_e32 v23, 0x8000
	s_mov_b32 s24, exec_lo
	v_cmpx_ne_u16_e32 0x80, v25
	s_cbranch_execz .LBB256_867
; %bb.862:                              ;   in Loop: Header=BB256_497 Depth=1
	v_and_b32_e32 v26, 0x7f, v21
	v_mov_b32_e32 v23, 0x7c01
	s_mov_b32 s25, exec_lo
	s_delay_alu instid0(VALU_DEP_2)
	v_cmpx_ne_u32_e32 0x7f, v26
	s_cbranch_execz .LBB256_866
; %bb.863:                              ;   in Loop: Header=BB256_497 Depth=1
	v_dual_lshrrev_b32 v25, 3, v26 :: v_dual_bitop2_b32 v23, 7, v21 bitop3:0x40
	s_mov_b32 s26, exec_lo
	v_cmpx_gt_u32_e32 8, v26
; %bb.864:                              ;   in Loop: Header=BB256_497 Depth=1
	s_delay_alu instid0(VALU_DEP_2) | instskip(NEXT) | instid1(VALU_DEP_1)
	v_clz_i32_u32_e32 v23, v23
	v_min_u32_e32 v23, 32, v23
	s_delay_alu instid0(VALU_DEP_1) | instskip(NEXT) | instid1(VALU_DEP_1)
	v_subrev_nc_u32_e32 v25, 28, v23
	v_lshlrev_b64_e32 v[44:45], v25, v[10:11]
	s_delay_alu instid0(VALU_DEP_1)
	v_dual_sub_nc_u32 v25, 29, v23 :: v_dual_bitop2_b32 v23, 7, v44 bitop3:0x40
; %bb.865:                              ;   in Loop: Header=BB256_497 Depth=1
	s_or_b32 exec_lo, exec_lo, s26
	s_delay_alu instid0(VALU_DEP_1) | instskip(NEXT) | instid1(VALU_DEP_2)
	v_dual_lshlrev_b32 v26, 8, v21 :: v_dual_lshlrev_b32 v23, 7, v23
	v_lshl_add_u32 v25, v25, 10, 0x2000
	s_delay_alu instid0(VALU_DEP_2) | instskip(NEXT) | instid1(VALU_DEP_2)
	v_and_b32_e32 v26, 0x8000, v26
	v_and_b32_e32 v25, 0xfc00, v25
	s_delay_alu instid0(VALU_DEP_1)
	v_or3_b32 v23, v26, v25, v23
.LBB256_866:                            ;   in Loop: Header=BB256_497 Depth=1
	s_or_b32 exec_lo, exec_lo, s25
.LBB256_867:                            ;   in Loop: Header=BB256_497 Depth=1
	s_delay_alu instid0(SALU_CYCLE_1)
	s_or_b32 exec_lo, exec_lo, s24
.LBB256_868:                            ;   in Loop: Header=BB256_497 Depth=1
	s_delay_alu instid0(SALU_CYCLE_1) | instskip(SKIP_3) | instid1(VALU_DEP_2)
	s_or_b32 exec_lo, exec_lo, s23
	v_lshrrev_b16 v10, 8, v10
	v_mov_b32_e32 v25, 0
	s_mov_b32 s23, exec_lo
	v_cmpx_ne_u16_e32 0, v10
	s_cbranch_execz .LBB256_876
; %bb.869:                              ;   in Loop: Header=BB256_497 Depth=1
	v_bfrev_b32_e32 v25, 1
	s_mov_b32 s24, exec_lo
	v_cmpx_ne_u16_e32 0x80, v10
	s_cbranch_execz .LBB256_875
; %bb.870:                              ;   in Loop: Header=BB256_497 Depth=1
	v_and_b32_e32 v26, 0xffff, v10
	v_mov_b32_e32 v25, 0x7c010000
	s_mov_b32 s25, exec_lo
	s_delay_alu instid0(VALU_DEP_2) | instskip(NEXT) | instid1(VALU_DEP_1)
	v_and_b32_e32 v45, 0x7f, v26
	v_cmpx_ne_u32_e32 0x7f, v45
	s_cbranch_execz .LBB256_874
; %bb.871:                              ;   in Loop: Header=BB256_497 Depth=1
	v_dual_lshrrev_b32 v44, 3, v45 :: v_dual_bitop2_b32 v25, 7, v26 bitop3:0x40
	s_mov_b32 s26, exec_lo
	v_cmpx_gt_u32_e32 8, v45
; %bb.872:                              ;   in Loop: Header=BB256_497 Depth=1
	s_delay_alu instid0(VALU_DEP_2) | instskip(NEXT) | instid1(VALU_DEP_1)
	v_clz_i32_u32_e32 v25, v25
	v_min_u32_e32 v25, 32, v25
	s_delay_alu instid0(VALU_DEP_1) | instskip(NEXT) | instid1(VALU_DEP_1)
	v_subrev_nc_u32_e32 v44, 28, v25
	v_lshlrev_b64_e32 v[60:61], v44, v[10:11]
	s_delay_alu instid0(VALU_DEP_1)
	v_dual_sub_nc_u32 v44, 29, v25 :: v_dual_bitop2_b32 v25, 7, v60 bitop3:0x40
; %bb.873:                              ;   in Loop: Header=BB256_497 Depth=1
	s_or_b32 exec_lo, exec_lo, s26
	s_delay_alu instid0(VALU_DEP_1) | instskip(NEXT) | instid1(VALU_DEP_2)
	v_dual_lshlrev_b32 v10, 8, v26 :: v_dual_lshlrev_b32 v25, 23, v25
	v_lshl_add_u32 v26, v44, 10, 0x2000
	s_delay_alu instid0(VALU_DEP_1) | instskip(NEXT) | instid1(VALU_DEP_1)
	v_and_or_b32 v10, 0x8000, v10, v26
	v_lshl_or_b32 v25, v10, 16, v25
.LBB256_874:                            ;   in Loop: Header=BB256_497 Depth=1
	s_or_b32 exec_lo, exec_lo, s25
.LBB256_875:                            ;   in Loop: Header=BB256_497 Depth=1
	s_delay_alu instid0(SALU_CYCLE_1)
	s_or_b32 exec_lo, exec_lo, s24
.LBB256_876:                            ;   in Loop: Header=BB256_497 Depth=1
	s_delay_alu instid0(SALU_CYCLE_1) | instskip(SKIP_2) | instid1(VALU_DEP_1)
	s_or_b32 exec_lo, exec_lo, s23
	v_lshrrev_b32_e32 v10, 16, v21
	s_mov_b32 s23, exec_lo
	v_and_b32_e32 v26, 0xff, v10
	s_delay_alu instid0(VALU_DEP_1)
	v_cmpx_ne_u16_e32 0, v26
	s_cbranch_execz .LBB256_884
; %bb.877:                              ;   in Loop: Header=BB256_497 Depth=1
	v_mov_b32_e32 v24, 0x8000
	s_mov_b32 s24, exec_lo
	v_cmpx_ne_u16_e32 0x80, v26
	s_cbranch_execz .LBB256_883
; %bb.878:                              ;   in Loop: Header=BB256_497 Depth=1
	v_bfe_u32 v44, v21, 16, 7
	v_mov_b32_e32 v24, 0x7c01
	s_mov_b32 s25, exec_lo
	s_delay_alu instid0(VALU_DEP_2)
	v_cmpx_ne_u32_e32 0x7f, v44
	s_cbranch_execz .LBB256_882
; %bb.879:                              ;   in Loop: Header=BB256_497 Depth=1
	v_dual_lshrrev_b32 v26, 3, v44 :: v_dual_bitop2_b32 v24, 7, v10 bitop3:0x40
	s_mov_b32 s26, exec_lo
	v_cmpx_gt_u32_e32 8, v44
; %bb.880:                              ;   in Loop: Header=BB256_497 Depth=1
	s_delay_alu instid0(VALU_DEP_2) | instskip(NEXT) | instid1(VALU_DEP_1)
	v_clz_i32_u32_e32 v24, v24
	v_min_u32_e32 v24, 32, v24
	s_delay_alu instid0(VALU_DEP_1) | instskip(NEXT) | instid1(VALU_DEP_1)
	v_subrev_nc_u32_e32 v26, 28, v24
	v_lshlrev_b64_e32 v[44:45], v26, v[10:11]
	v_sub_nc_u32_e32 v26, 29, v24
	s_delay_alu instid0(VALU_DEP_2)
	v_and_b32_e32 v24, 7, v44
; %bb.881:                              ;   in Loop: Header=BB256_497 Depth=1
	s_or_b32 exec_lo, exec_lo, s26
	s_delay_alu instid0(VALU_DEP_1) | instskip(NEXT) | instid1(VALU_DEP_3)
	v_dual_lshlrev_b32 v10, 8, v10 :: v_dual_lshlrev_b32 v24, 7, v24
	v_lshl_add_u32 v26, v26, 10, 0x2000
	s_delay_alu instid0(VALU_DEP_2) | instskip(NEXT) | instid1(VALU_DEP_2)
	v_and_b32_e32 v10, 0x8000, v10
	v_and_b32_e32 v26, 0xfc00, v26
	s_delay_alu instid0(VALU_DEP_1)
	v_or3_b32 v24, v10, v26, v24
.LBB256_882:                            ;   in Loop: Header=BB256_497 Depth=1
	s_or_b32 exec_lo, exec_lo, s25
.LBB256_883:                            ;   in Loop: Header=BB256_497 Depth=1
	s_delay_alu instid0(SALU_CYCLE_1)
	s_or_b32 exec_lo, exec_lo, s24
.LBB256_884:                            ;   in Loop: Header=BB256_497 Depth=1
	s_delay_alu instid0(SALU_CYCLE_1)
	s_or_b32 exec_lo, exec_lo, s23
	v_cmp_lt_u64_e64 s0, s[8:9], v[20:21]
	v_mov_b32_e32 v20, 0
	s_and_saveexec_b32 s23, s0
	s_cbranch_execz .LBB256_892
; %bb.885:                              ;   in Loop: Header=BB256_497 Depth=1
	v_lshrrev_b32_e32 v10, 24, v21
	v_bfrev_b32_e32 v20, 1
	s_mov_b32 s24, exec_lo
	s_delay_alu instid0(VALU_DEP_2)
	v_cmpx_ne_u32_e32 0x80, v10
	s_cbranch_execz .LBB256_891
; %bb.886:                              ;   in Loop: Header=BB256_497 Depth=1
	v_and_b32_e32 v26, 0x7f, v10
	v_mov_b32_e32 v20, 0x7c010000
	s_mov_b32 s25, exec_lo
	s_delay_alu instid0(VALU_DEP_2)
	v_cmpx_ne_u32_e32 0x7f, v26
	s_cbranch_execz .LBB256_890
; %bb.887:                              ;   in Loop: Header=BB256_497 Depth=1
	v_and_b32_e32 v20, 7, v10
	v_lshrrev_b32_e32 v21, 3, v26
	s_mov_b32 s26, exec_lo
	v_cmpx_gt_u32_e32 8, v26
; %bb.888:                              ;   in Loop: Header=BB256_497 Depth=1
	s_delay_alu instid0(VALU_DEP_3) | instskip(NEXT) | instid1(VALU_DEP_1)
	v_clz_i32_u32_e32 v20, v20
	v_min_u32_e32 v26, 32, v20
	s_delay_alu instid0(VALU_DEP_1) | instskip(NEXT) | instid1(VALU_DEP_1)
	v_subrev_nc_u32_e32 v20, 28, v26
	v_lshlrev_b64_e32 v[20:21], v20, v[10:11]
	s_delay_alu instid0(VALU_DEP_1)
	v_dual_sub_nc_u32 v21, 29, v26 :: v_dual_bitop2_b32 v20, 7, v20 bitop3:0x40
; %bb.889:                              ;   in Loop: Header=BB256_497 Depth=1
	s_or_b32 exec_lo, exec_lo, s26
	s_delay_alu instid0(VALU_DEP_1) | instskip(NEXT) | instid1(VALU_DEP_2)
	v_dual_lshlrev_b32 v10, 8, v10 :: v_dual_lshlrev_b32 v20, 23, v20
	v_lshl_add_u32 v21, v21, 10, 0x2000
	s_delay_alu instid0(VALU_DEP_1) | instskip(NEXT) | instid1(VALU_DEP_1)
	v_and_or_b32 v10, 0x8000, v10, v21
	v_lshl_or_b32 v20, v10, 16, v20
.LBB256_890:                            ;   in Loop: Header=BB256_497 Depth=1
	s_or_b32 exec_lo, exec_lo, s25
.LBB256_891:                            ;   in Loop: Header=BB256_497 Depth=1
	s_delay_alu instid0(SALU_CYCLE_1)
	s_or_b32 exec_lo, exec_lo, s24
.LBB256_892:                            ;   in Loop: Header=BB256_497 Depth=1
	s_delay_alu instid0(SALU_CYCLE_1) | instskip(SKIP_3) | instid1(VALU_DEP_3)
	s_or_b32 exec_lo, exec_lo, s23
	v_dual_lshrrev_b32 v10, 16, v1 :: v_dual_lshrrev_b32 v21, 16, v19
	v_or_b32_e32 v1, v1, v3
	v_dual_lshrrev_b32 v22, 16, v20 :: v_dual_bitop2_b32 v3, v19, v22 bitop3:0x54
	v_cvt_f32_f16_e32 v45, v10
	s_delay_alu instid0(VALU_DEP_4) | instskip(SKIP_4) | instid1(VALU_DEP_3)
	v_cvt_f32_f16_e32 v44, v21
	v_lshrrev_b32_e32 v19, 16, v25
	v_cvt_f32_f16_e32 v21, v1
	v_cvt_f32_f16_e32 v22, v22
	s_wait_loadcnt 0x0
	v_pk_mul_f32 v[44:45], v[18:19], v[44:45] op_sel_hi:[0,1]
	s_delay_alu instid0(VALU_DEP_1) | instskip(SKIP_4) | instid1(VALU_DEP_3)
	v_cvt_pk_f16_f32 v1, v44, v45
	v_or_b32_e32 v10, v20, v24
	v_cvt_f32_f16_e32 v20, v3
	v_or_b32_e32 v3, v25, v23
	v_cvt_f32_f16_e32 v23, v19
	v_pk_mul_f32 v[20:21], v[18:19], v[20:21] op_sel_hi:[0,1]
	s_delay_alu instid0(VALU_DEP_3) | instskip(NEXT) | instid1(VALU_DEP_3)
	v_cvt_f32_f16_e32 v25, v3
	v_pk_mul_f32 v[22:23], v[18:19], v[22:23] op_sel_hi:[0,1]
	s_delay_alu instid0(VALU_DEP_3) | instskip(SKIP_2) | instid1(VALU_DEP_4)
	v_cvt_pk_f16_f32 v3, v20, v21
	v_lshlrev_b32_e32 v20, 16, v1
	v_cvt_f32_f16_e32 v24, v10
	v_cvt_pk_f16_f32 v10, v22, v23
	s_delay_alu instid0(VALU_DEP_4) | instskip(NEXT) | instid1(VALU_DEP_3)
	v_and_b32_e32 v26, 0xffff, v3
	v_pk_mul_f32 v[24:25], v[18:19], v[24:25] op_sel_hi:[0,1]
	v_and_b32_e32 v19, 0xffff0000, v1
	s_delay_alu instid0(VALU_DEP_4) | instskip(SKIP_1) | instid1(VALU_DEP_4)
	v_and_b32_e32 v1, 0xffff0000, v10
	v_lshlrev_b32_e32 v10, 16, v10
	v_cvt_pk_f16_f32 v18, v24, v25
	v_dual_lshrrev_b32 v25, 16, v3 :: v_dual_bitop2_b32 v24, v20, v26 bitop3:0x54
	s_delay_alu instid0(VALU_DEP_2) | instskip(SKIP_1) | instid1(VALU_DEP_3)
	v_lshrrev_b32_e32 v3, 16, v18
	v_and_b32_e32 v18, 0xffff, v18
	v_or_b32_e32 v23, v19, v25
	s_delay_alu instid0(VALU_DEP_3) | instskip(NEXT) | instid1(VALU_DEP_3)
	v_or_b32_e32 v21, v1, v3
	v_or_b32_e32 v22, v10, v18
	s_and_saveexec_b32 s23, vcc_lo
	s_cbranch_execz .LBB256_894
; %bb.893:                              ;   in Loop: Header=BB256_497 Depth=1
	v_cmp_gt_i32_e64 s0, s18, v36
	s_delay_alu instid0(VALU_DEP_1) | instskip(SKIP_1) | instid1(VALU_DEP_1)
	v_cndmask_b32_e64 v21, 0, v25, s0
	v_cmp_gt_i32_e64 s0, s34, v43
	v_cndmask_b32_e64 v22, 0, v26, s0
	v_cmp_gt_i32_e64 s0, s18, v42
	s_delay_alu instid0(VALU_DEP_1) | instskip(SKIP_1) | instid1(VALU_DEP_1)
	v_cndmask_b32_e64 v19, 0, v19, s0
	v_cmp_gt_i32_e64 s0, s34, v41
	v_cndmask_b32_e64 v20, 0, v20, s0
	v_cmp_gt_i32_e64 s0, s18, v40
	s_delay_alu instid0(VALU_DEP_4) | instskip(NEXT) | instid1(VALU_DEP_2)
	v_or_b32_e32 v23, v19, v21
	v_dual_cndmask_b32 v3, 0, v3, s0 :: v_dual_bitop2_b32 v24, v20, v22 bitop3:0x54
	v_cmp_gt_i32_e64 s0, s34, v39
	s_delay_alu instid0(VALU_DEP_1) | instskip(SKIP_1) | instid1(VALU_DEP_1)
	v_cndmask_b32_e64 v18, 0, v18, s0
	v_cmp_gt_i32_e64 s0, s18, v38
	v_cndmask_b32_e64 v1, 0, v1, s0
	v_cmp_gt_i32_e64 s0, s34, v37
	s_delay_alu instid0(VALU_DEP_1) | instskip(NEXT) | instid1(VALU_DEP_1)
	v_dual_cndmask_b32 v10, 0, v10, s0 :: v_dual_bitop2_b32 v21, v1, v3 bitop3:0x54
	v_or_b32_e32 v22, v10, v18
.LBB256_894:                            ;   in Loop: Header=BB256_497 Depth=1
	s_or_b32 exec_lo, exec_lo, s23
	;;#ASMSTART
	v_pk_mul_f16 v1, v51, v23;

	;;#ASMEND
	;;#ASMSTART
	v_pk_mul_f16 v3, v48, v24;

	;;#ASMEND
	;; [unrolled: 4-line block ×4, first 2 shown]
	;;#ASMSTART
	v_pk_add_f16 v1, v1, v3;

	;;#ASMEND
	;;#ASMSTART
	v_pk_add_f16 v1, v1, v10;

	;;#ASMEND
	;; [unrolled: 4-line block ×3, first 2 shown]
	v_and_b32_e32 v3, 0xffff, v1
	v_lshrrev_b32_e32 v1, 16, v1
	;;#ASMSTART
	v_cvt_f32_f16 v44, v3;
	;;#ASMEND
	v_mov_b32_e32 v3, 0
	;;#ASMSTART
	v_cvt_f32_f16 v45, v1;
	;;#ASMEND
	global_load_b64 v[18:19], v[16:17], off offset:1536
	v_mov_b32_e32 v1, 0
	s_mov_b32 s23, exec_lo
	global_load_b32 v16, v1, s[10:11]
	s_wait_loadcnt 0x1
	v_and_b32_e32 v10, 0xff, v18
	s_wait_xcnt 0x0
	s_delay_alu instid0(VALU_DEP_1)
	v_cmpx_ne_u16_e32 0, v10
	s_cbranch_execz .LBB256_902
; %bb.895:                              ;   in Loop: Header=BB256_497 Depth=1
	v_mov_b32_e32 v3, 0x8000
	s_mov_b32 s24, exec_lo
	v_cmpx_ne_u16_e32 0x80, v10
	s_cbranch_execz .LBB256_901
; %bb.896:                              ;   in Loop: Header=BB256_497 Depth=1
	v_and_b32_e32 v17, 0x7f, v18
	v_mov_b32_e32 v3, 0x7c01
	s_mov_b32 s25, exec_lo
	s_delay_alu instid0(VALU_DEP_2)
	v_cmpx_ne_u32_e32 0x7f, v17
	s_cbranch_execz .LBB256_900
; %bb.897:                              ;   in Loop: Header=BB256_497 Depth=1
	v_dual_lshrrev_b32 v10, 3, v17 :: v_dual_bitop2_b32 v3, 7, v18 bitop3:0x40
	s_mov_b32 s26, exec_lo
	v_cmpx_gt_u32_e32 8, v17
; %bb.898:                              ;   in Loop: Header=BB256_497 Depth=1
	s_delay_alu instid0(VALU_DEP_2) | instskip(NEXT) | instid1(VALU_DEP_1)
	v_clz_i32_u32_e32 v3, v3
	v_min_u32_e32 v3, 32, v3
	s_delay_alu instid0(VALU_DEP_1) | instskip(NEXT) | instid1(VALU_DEP_1)
	v_subrev_nc_u32_e32 v10, 28, v3
	v_lshlrev_b64_e32 v[20:21], v10, v[18:19]
	s_delay_alu instid0(VALU_DEP_1)
	v_dual_sub_nc_u32 v10, 29, v3 :: v_dual_bitop2_b32 v3, 7, v20 bitop3:0x40
; %bb.899:                              ;   in Loop: Header=BB256_497 Depth=1
	s_or_b32 exec_lo, exec_lo, s26
	s_delay_alu instid0(VALU_DEP_1) | instskip(NEXT) | instid1(VALU_DEP_2)
	v_dual_lshlrev_b32 v17, 8, v18 :: v_dual_lshlrev_b32 v3, 7, v3
	v_lshl_add_u32 v10, v10, 10, 0x2000
	s_delay_alu instid0(VALU_DEP_2) | instskip(NEXT) | instid1(VALU_DEP_2)
	v_and_b32_e32 v17, 0x8000, v17
	v_and_b32_e32 v10, 0xfc00, v10
	s_delay_alu instid0(VALU_DEP_1)
	v_or3_b32 v3, v17, v10, v3
.LBB256_900:                            ;   in Loop: Header=BB256_497 Depth=1
	s_or_b32 exec_lo, exec_lo, s25
.LBB256_901:                            ;   in Loop: Header=BB256_497 Depth=1
	s_delay_alu instid0(SALU_CYCLE_1)
	s_or_b32 exec_lo, exec_lo, s24
.LBB256_902:                            ;   in Loop: Header=BB256_497 Depth=1
	s_delay_alu instid0(SALU_CYCLE_1) | instskip(SKIP_2) | instid1(VALU_DEP_1)
	s_or_b32 exec_lo, exec_lo, s23
	v_lshrrev_b16 v10, 8, v18
	s_mov_b32 s23, exec_lo
	v_cmpx_ne_u16_e32 0, v10
	s_cbranch_execz .LBB256_910
; %bb.903:                              ;   in Loop: Header=BB256_497 Depth=1
	v_bfrev_b32_e32 v1, 1
	s_mov_b32 s24, exec_lo
	v_cmpx_ne_u16_e32 0x80, v10
	s_cbranch_execz .LBB256_909
; %bb.904:                              ;   in Loop: Header=BB256_497 Depth=1
	v_and_b32_e32 v17, 0xffff, v10
	v_mov_b32_e32 v1, 0x7c010000
	s_mov_b32 s25, exec_lo
	s_delay_alu instid0(VALU_DEP_2) | instskip(NEXT) | instid1(VALU_DEP_1)
	v_and_b32_e32 v21, 0x7f, v17
	v_cmpx_ne_u32_e32 0x7f, v21
	s_cbranch_execz .LBB256_908
; %bb.905:                              ;   in Loop: Header=BB256_497 Depth=1
	v_and_b32_e32 v1, 7, v17
	v_lshrrev_b32_e32 v20, 3, v21
	s_mov_b32 s26, exec_lo
	v_cmpx_gt_u32_e32 8, v21
; %bb.906:                              ;   in Loop: Header=BB256_497 Depth=1
	s_delay_alu instid0(VALU_DEP_3) | instskip(NEXT) | instid1(VALU_DEP_1)
	v_clz_i32_u32_e32 v1, v1
	v_min_u32_e32 v1, 32, v1
	s_delay_alu instid0(VALU_DEP_1) | instskip(NEXT) | instid1(VALU_DEP_1)
	v_subrev_nc_u32_e32 v20, 28, v1
	v_lshlrev_b64_e32 v[22:23], v20, v[10:11]
	s_delay_alu instid0(VALU_DEP_1)
	v_dual_sub_nc_u32 v20, 29, v1 :: v_dual_bitop2_b32 v1, 7, v22 bitop3:0x40
; %bb.907:                              ;   in Loop: Header=BB256_497 Depth=1
	s_or_b32 exec_lo, exec_lo, s26
	v_lshlrev_b32_e32 v10, 8, v17
	s_delay_alu instid0(VALU_DEP_2) | instskip(NEXT) | instid1(VALU_DEP_3)
	v_lshl_add_u32 v17, v20, 10, 0x2000
	v_lshlrev_b32_e32 v1, 23, v1
	s_delay_alu instid0(VALU_DEP_2) | instskip(NEXT) | instid1(VALU_DEP_1)
	v_and_or_b32 v10, 0x8000, v10, v17
	v_lshl_or_b32 v1, v10, 16, v1
.LBB256_908:                            ;   in Loop: Header=BB256_497 Depth=1
	s_or_b32 exec_lo, exec_lo, s25
.LBB256_909:                            ;   in Loop: Header=BB256_497 Depth=1
	s_delay_alu instid0(SALU_CYCLE_1)
	s_or_b32 exec_lo, exec_lo, s24
.LBB256_910:                            ;   in Loop: Header=BB256_497 Depth=1
	s_delay_alu instid0(SALU_CYCLE_1) | instskip(SKIP_3) | instid1(VALU_DEP_2)
	s_or_b32 exec_lo, exec_lo, s23
	v_dual_mov_b32 v17, 0 :: v_dual_lshrrev_b32 v10, 16, v18
	v_mov_b32_e32 v20, 0
	s_mov_b32 s23, exec_lo
	v_and_b32_e32 v21, 0xff, v10
	s_delay_alu instid0(VALU_DEP_1)
	v_cmpx_ne_u16_e32 0, v21
	s_cbranch_execz .LBB256_918
; %bb.911:                              ;   in Loop: Header=BB256_497 Depth=1
	v_mov_b32_e32 v20, 0x8000
	s_mov_b32 s24, exec_lo
	v_cmpx_ne_u16_e32 0x80, v21
	s_cbranch_execz .LBB256_917
; %bb.912:                              ;   in Loop: Header=BB256_497 Depth=1
	v_bfe_u32 v22, v18, 16, 7
	v_mov_b32_e32 v20, 0x7c01
	s_mov_b32 s25, exec_lo
	s_delay_alu instid0(VALU_DEP_2)
	v_cmpx_ne_u32_e32 0x7f, v22
	s_cbranch_execz .LBB256_916
; %bb.913:                              ;   in Loop: Header=BB256_497 Depth=1
	v_and_b32_e32 v20, 7, v10
	v_lshrrev_b32_e32 v21, 3, v22
	s_mov_b32 s26, exec_lo
	v_cmpx_gt_u32_e32 8, v22
; %bb.914:                              ;   in Loop: Header=BB256_497 Depth=1
	s_delay_alu instid0(VALU_DEP_3) | instskip(NEXT) | instid1(VALU_DEP_1)
	v_clz_i32_u32_e32 v20, v20
	v_min_u32_e32 v22, 32, v20
	s_delay_alu instid0(VALU_DEP_1) | instskip(NEXT) | instid1(VALU_DEP_1)
	v_subrev_nc_u32_e32 v20, 28, v22
	v_lshlrev_b64_e32 v[20:21], v20, v[10:11]
	s_delay_alu instid0(VALU_DEP_1)
	v_dual_sub_nc_u32 v21, 29, v22 :: v_dual_bitop2_b32 v20, 7, v20 bitop3:0x40
; %bb.915:                              ;   in Loop: Header=BB256_497 Depth=1
	s_or_b32 exec_lo, exec_lo, s26
	s_delay_alu instid0(VALU_DEP_1) | instskip(NEXT) | instid1(VALU_DEP_2)
	v_dual_lshlrev_b32 v10, 8, v10 :: v_dual_lshlrev_b32 v20, 7, v20
	v_lshl_add_u32 v21, v21, 10, 0x2000
	s_delay_alu instid0(VALU_DEP_2) | instskip(NEXT) | instid1(VALU_DEP_2)
	v_and_b32_e32 v10, 0x8000, v10
	v_and_b32_e32 v21, 0xfc00, v21
	s_delay_alu instid0(VALU_DEP_1)
	v_or3_b32 v20, v10, v21, v20
.LBB256_916:                            ;   in Loop: Header=BB256_497 Depth=1
	s_or_b32 exec_lo, exec_lo, s25
.LBB256_917:                            ;   in Loop: Header=BB256_497 Depth=1
	s_delay_alu instid0(SALU_CYCLE_1)
	s_or_b32 exec_lo, exec_lo, s24
.LBB256_918:                            ;   in Loop: Header=BB256_497 Depth=1
	s_delay_alu instid0(SALU_CYCLE_1) | instskip(NEXT) | instid1(SALU_CYCLE_1)
	s_or_b32 exec_lo, exec_lo, s23
	s_mov_b32 s23, exec_lo
	v_cmpx_lt_u32_e32 0xffffff, v18
	s_cbranch_execz .LBB256_926
; %bb.919:                              ;   in Loop: Header=BB256_497 Depth=1
	v_lshrrev_b32_e32 v10, 24, v18
	v_bfrev_b32_e32 v17, 1
	s_mov_b32 s24, exec_lo
	s_delay_alu instid0(VALU_DEP_2)
	v_cmpx_ne_u32_e32 0x80, v10
	s_cbranch_execz .LBB256_925
; %bb.920:                              ;   in Loop: Header=BB256_497 Depth=1
	v_and_b32_e32 v22, 0x7f, v10
	v_mov_b32_e32 v17, 0x7c010000
	s_mov_b32 s25, exec_lo
	s_delay_alu instid0(VALU_DEP_2)
	v_cmpx_ne_u32_e32 0x7f, v22
	s_cbranch_execz .LBB256_924
; %bb.921:                              ;   in Loop: Header=BB256_497 Depth=1
	v_and_b32_e32 v17, 7, v10
	v_lshrrev_b32_e32 v21, 3, v22
	s_mov_b32 s26, exec_lo
	v_cmpx_gt_u32_e32 8, v22
; %bb.922:                              ;   in Loop: Header=BB256_497 Depth=1
	s_delay_alu instid0(VALU_DEP_3) | instskip(NEXT) | instid1(VALU_DEP_1)
	v_clz_i32_u32_e32 v17, v17
	v_min_u32_e32 v17, 32, v17
	s_delay_alu instid0(VALU_DEP_1) | instskip(NEXT) | instid1(VALU_DEP_1)
	v_subrev_nc_u32_e32 v21, 28, v17
	v_lshlrev_b64_e32 v[22:23], v21, v[10:11]
	s_delay_alu instid0(VALU_DEP_1)
	v_dual_sub_nc_u32 v21, 29, v17 :: v_dual_bitop2_b32 v17, 7, v22 bitop3:0x40
; %bb.923:                              ;   in Loop: Header=BB256_497 Depth=1
	s_or_b32 exec_lo, exec_lo, s26
	s_delay_alu instid0(VALU_DEP_1) | instskip(NEXT) | instid1(VALU_DEP_2)
	v_dual_lshlrev_b32 v10, 8, v10 :: v_dual_lshlrev_b32 v17, 23, v17
	v_lshl_add_u32 v21, v21, 10, 0x2000
	s_delay_alu instid0(VALU_DEP_1) | instskip(NEXT) | instid1(VALU_DEP_1)
	v_and_or_b32 v10, 0x8000, v10, v21
	v_lshl_or_b32 v17, v10, 16, v17
.LBB256_924:                            ;   in Loop: Header=BB256_497 Depth=1
	s_or_b32 exec_lo, exec_lo, s25
.LBB256_925:                            ;   in Loop: Header=BB256_497 Depth=1
	s_delay_alu instid0(SALU_CYCLE_1)
	s_or_b32 exec_lo, exec_lo, s24
.LBB256_926:                            ;   in Loop: Header=BB256_497 Depth=1
	s_delay_alu instid0(SALU_CYCLE_1) | instskip(SKIP_4) | instid1(VALU_DEP_3)
	s_or_b32 exec_lo, exec_lo, s23
	v_and_b32_e32 v23, 0xff, v19
	v_dual_mov_b32 v10, v19 :: v_dual_mov_b32 v22, 0
	v_mov_b32_e32 v21, 0
	s_mov_b32 s23, exec_lo
	v_cmpx_ne_u16_e32 0, v23
	s_cbranch_execz .LBB256_934
; %bb.927:                              ;   in Loop: Header=BB256_497 Depth=1
	v_mov_b32_e32 v21, 0x8000
	s_mov_b32 s24, exec_lo
	v_cmpx_ne_u16_e32 0x80, v23
	s_cbranch_execz .LBB256_933
; %bb.928:                              ;   in Loop: Header=BB256_497 Depth=1
	v_and_b32_e32 v24, 0x7f, v19
	v_mov_b32_e32 v21, 0x7c01
	s_mov_b32 s25, exec_lo
	s_delay_alu instid0(VALU_DEP_2)
	v_cmpx_ne_u32_e32 0x7f, v24
	s_cbranch_execz .LBB256_932
; %bb.929:                              ;   in Loop: Header=BB256_497 Depth=1
	v_dual_lshrrev_b32 v23, 3, v24 :: v_dual_bitop2_b32 v21, 7, v19 bitop3:0x40
	s_mov_b32 s26, exec_lo
	v_cmpx_gt_u32_e32 8, v24
; %bb.930:                              ;   in Loop: Header=BB256_497 Depth=1
	s_delay_alu instid0(VALU_DEP_2) | instskip(NEXT) | instid1(VALU_DEP_1)
	v_clz_i32_u32_e32 v21, v21
	v_min_u32_e32 v21, 32, v21
	s_delay_alu instid0(VALU_DEP_1) | instskip(NEXT) | instid1(VALU_DEP_1)
	v_subrev_nc_u32_e32 v23, 28, v21
	v_lshlrev_b64_e32 v[24:25], v23, v[10:11]
	s_delay_alu instid0(VALU_DEP_1)
	v_dual_sub_nc_u32 v23, 29, v21 :: v_dual_bitop2_b32 v21, 7, v24 bitop3:0x40
; %bb.931:                              ;   in Loop: Header=BB256_497 Depth=1
	s_or_b32 exec_lo, exec_lo, s26
	s_delay_alu instid0(VALU_DEP_1) | instskip(NEXT) | instid1(VALU_DEP_2)
	v_dual_lshlrev_b32 v24, 8, v19 :: v_dual_lshlrev_b32 v21, 7, v21
	v_lshl_add_u32 v23, v23, 10, 0x2000
	s_delay_alu instid0(VALU_DEP_2) | instskip(NEXT) | instid1(VALU_DEP_2)
	v_and_b32_e32 v24, 0x8000, v24
	v_and_b32_e32 v23, 0xfc00, v23
	s_delay_alu instid0(VALU_DEP_1)
	v_or3_b32 v21, v24, v23, v21
.LBB256_932:                            ;   in Loop: Header=BB256_497 Depth=1
	s_or_b32 exec_lo, exec_lo, s25
.LBB256_933:                            ;   in Loop: Header=BB256_497 Depth=1
	s_delay_alu instid0(SALU_CYCLE_1)
	s_or_b32 exec_lo, exec_lo, s24
.LBB256_934:                            ;   in Loop: Header=BB256_497 Depth=1
	s_delay_alu instid0(SALU_CYCLE_1) | instskip(SKIP_3) | instid1(VALU_DEP_2)
	s_or_b32 exec_lo, exec_lo, s23
	v_lshrrev_b16 v10, 8, v10
	v_mov_b32_e32 v23, 0
	s_mov_b32 s23, exec_lo
	v_cmpx_ne_u16_e32 0, v10
	s_cbranch_execz .LBB256_942
; %bb.935:                              ;   in Loop: Header=BB256_497 Depth=1
	v_bfrev_b32_e32 v23, 1
	s_mov_b32 s24, exec_lo
	v_cmpx_ne_u16_e32 0x80, v10
	s_cbranch_execz .LBB256_941
; %bb.936:                              ;   in Loop: Header=BB256_497 Depth=1
	v_and_b32_e32 v24, 0xffff, v10
	v_mov_b32_e32 v23, 0x7c010000
	s_mov_b32 s25, exec_lo
	s_delay_alu instid0(VALU_DEP_2) | instskip(NEXT) | instid1(VALU_DEP_1)
	v_and_b32_e32 v26, 0x7f, v24
	v_cmpx_ne_u32_e32 0x7f, v26
	s_cbranch_execz .LBB256_940
; %bb.937:                              ;   in Loop: Header=BB256_497 Depth=1
	v_dual_lshrrev_b32 v25, 3, v26 :: v_dual_bitop2_b32 v23, 7, v24 bitop3:0x40
	s_mov_b32 s26, exec_lo
	v_cmpx_gt_u32_e32 8, v26
; %bb.938:                              ;   in Loop: Header=BB256_497 Depth=1
	s_delay_alu instid0(VALU_DEP_2) | instskip(NEXT) | instid1(VALU_DEP_1)
	v_clz_i32_u32_e32 v23, v23
	v_min_u32_e32 v23, 32, v23
	s_delay_alu instid0(VALU_DEP_1) | instskip(NEXT) | instid1(VALU_DEP_1)
	v_subrev_nc_u32_e32 v25, 28, v23
	v_lshlrev_b64_e32 v[60:61], v25, v[10:11]
	s_delay_alu instid0(VALU_DEP_1)
	v_dual_sub_nc_u32 v25, 29, v23 :: v_dual_bitop2_b32 v23, 7, v60 bitop3:0x40
; %bb.939:                              ;   in Loop: Header=BB256_497 Depth=1
	s_or_b32 exec_lo, exec_lo, s26
	s_delay_alu instid0(VALU_DEP_1) | instskip(NEXT) | instid1(VALU_DEP_2)
	v_dual_lshlrev_b32 v10, 8, v24 :: v_dual_lshlrev_b32 v23, 23, v23
	v_lshl_add_u32 v24, v25, 10, 0x2000
	s_delay_alu instid0(VALU_DEP_1) | instskip(NEXT) | instid1(VALU_DEP_1)
	v_and_or_b32 v10, 0x8000, v10, v24
	v_lshl_or_b32 v23, v10, 16, v23
.LBB256_940:                            ;   in Loop: Header=BB256_497 Depth=1
	s_or_b32 exec_lo, exec_lo, s25
.LBB256_941:                            ;   in Loop: Header=BB256_497 Depth=1
	s_delay_alu instid0(SALU_CYCLE_1)
	s_or_b32 exec_lo, exec_lo, s24
.LBB256_942:                            ;   in Loop: Header=BB256_497 Depth=1
	s_delay_alu instid0(SALU_CYCLE_1) | instskip(SKIP_2) | instid1(VALU_DEP_1)
	s_or_b32 exec_lo, exec_lo, s23
	v_lshrrev_b32_e32 v10, 16, v19
	s_mov_b32 s23, exec_lo
	v_and_b32_e32 v24, 0xff, v10
	s_delay_alu instid0(VALU_DEP_1)
	v_cmpx_ne_u16_e32 0, v24
	s_cbranch_execz .LBB256_950
; %bb.943:                              ;   in Loop: Header=BB256_497 Depth=1
	v_mov_b32_e32 v22, 0x8000
	s_mov_b32 s24, exec_lo
	v_cmpx_ne_u16_e32 0x80, v24
	s_cbranch_execz .LBB256_949
; %bb.944:                              ;   in Loop: Header=BB256_497 Depth=1
	v_bfe_u32 v25, v19, 16, 7
	v_mov_b32_e32 v22, 0x7c01
	s_mov_b32 s25, exec_lo
	s_delay_alu instid0(VALU_DEP_2)
	v_cmpx_ne_u32_e32 0x7f, v25
	s_cbranch_execz .LBB256_948
; %bb.945:                              ;   in Loop: Header=BB256_497 Depth=1
	v_dual_lshrrev_b32 v24, 3, v25 :: v_dual_bitop2_b32 v22, 7, v10 bitop3:0x40
	s_mov_b32 s26, exec_lo
	v_cmpx_gt_u32_e32 8, v25
; %bb.946:                              ;   in Loop: Header=BB256_497 Depth=1
	s_delay_alu instid0(VALU_DEP_2) | instskip(NEXT) | instid1(VALU_DEP_1)
	v_clz_i32_u32_e32 v22, v22
	v_min_u32_e32 v22, 32, v22
	s_delay_alu instid0(VALU_DEP_1) | instskip(NEXT) | instid1(VALU_DEP_1)
	v_subrev_nc_u32_e32 v24, 28, v22
	v_lshlrev_b64_e32 v[60:61], v24, v[10:11]
	s_delay_alu instid0(VALU_DEP_1)
	v_dual_sub_nc_u32 v24, 29, v22 :: v_dual_bitop2_b32 v22, 7, v60 bitop3:0x40
; %bb.947:                              ;   in Loop: Header=BB256_497 Depth=1
	s_or_b32 exec_lo, exec_lo, s26
	v_lshlrev_b32_e32 v10, 8, v10
	s_delay_alu instid0(VALU_DEP_2) | instskip(NEXT) | instid1(VALU_DEP_3)
	v_lshl_add_u32 v24, v24, 10, 0x2000
	v_lshlrev_b32_e32 v22, 7, v22
	s_delay_alu instid0(VALU_DEP_3) | instskip(NEXT) | instid1(VALU_DEP_3)
	v_and_b32_e32 v10, 0x8000, v10
	v_and_b32_e32 v24, 0xfc00, v24
	s_delay_alu instid0(VALU_DEP_1)
	v_or3_b32 v22, v10, v24, v22
.LBB256_948:                            ;   in Loop: Header=BB256_497 Depth=1
	s_or_b32 exec_lo, exec_lo, s25
.LBB256_949:                            ;   in Loop: Header=BB256_497 Depth=1
	s_delay_alu instid0(SALU_CYCLE_1)
	s_or_b32 exec_lo, exec_lo, s24
.LBB256_950:                            ;   in Loop: Header=BB256_497 Depth=1
	s_delay_alu instid0(SALU_CYCLE_1)
	s_or_b32 exec_lo, exec_lo, s23
	v_cmp_lt_u64_e64 s0, s[8:9], v[18:19]
	v_mov_b32_e32 v18, 0
	s_and_saveexec_b32 s23, s0
	s_cbranch_execz .LBB256_958
; %bb.951:                              ;   in Loop: Header=BB256_497 Depth=1
	v_lshrrev_b32_e32 v10, 24, v19
	v_bfrev_b32_e32 v18, 1
	s_mov_b32 s24, exec_lo
	s_delay_alu instid0(VALU_DEP_2)
	v_cmpx_ne_u32_e32 0x80, v10
	s_cbranch_execz .LBB256_957
; %bb.952:                              ;   in Loop: Header=BB256_497 Depth=1
	v_and_b32_e32 v24, 0x7f, v10
	v_mov_b32_e32 v18, 0x7c010000
	s_mov_b32 s25, exec_lo
	s_delay_alu instid0(VALU_DEP_2)
	v_cmpx_ne_u32_e32 0x7f, v24
	s_cbranch_execz .LBB256_956
; %bb.953:                              ;   in Loop: Header=BB256_497 Depth=1
	v_dual_lshrrev_b32 v19, 3, v24 :: v_dual_bitop2_b32 v18, 7, v10 bitop3:0x40
	s_mov_b32 s26, exec_lo
	v_cmpx_gt_u32_e32 8, v24
; %bb.954:                              ;   in Loop: Header=BB256_497 Depth=1
	s_delay_alu instid0(VALU_DEP_2) | instskip(NEXT) | instid1(VALU_DEP_1)
	v_clz_i32_u32_e32 v18, v18
	v_min_u32_e32 v24, 32, v18
	s_delay_alu instid0(VALU_DEP_1) | instskip(NEXT) | instid1(VALU_DEP_1)
	v_subrev_nc_u32_e32 v18, 28, v24
	v_lshlrev_b64_e32 v[18:19], v18, v[10:11]
	s_delay_alu instid0(VALU_DEP_1)
	v_dual_sub_nc_u32 v19, 29, v24 :: v_dual_bitop2_b32 v18, 7, v18 bitop3:0x40
; %bb.955:                              ;   in Loop: Header=BB256_497 Depth=1
	s_or_b32 exec_lo, exec_lo, s26
	v_lshlrev_b32_e32 v10, 8, v10
	s_delay_alu instid0(VALU_DEP_2) | instskip(NEXT) | instid1(VALU_DEP_3)
	v_lshl_add_u32 v19, v19, 10, 0x2000
	v_lshlrev_b32_e32 v18, 23, v18
	s_delay_alu instid0(VALU_DEP_2) | instskip(NEXT) | instid1(VALU_DEP_1)
	v_and_or_b32 v10, 0x8000, v10, v19
	v_lshl_or_b32 v18, v10, 16, v18
.LBB256_956:                            ;   in Loop: Header=BB256_497 Depth=1
	s_or_b32 exec_lo, exec_lo, s25
.LBB256_957:                            ;   in Loop: Header=BB256_497 Depth=1
	s_delay_alu instid0(SALU_CYCLE_1)
	s_or_b32 exec_lo, exec_lo, s24
.LBB256_958:                            ;   in Loop: Header=BB256_497 Depth=1
	s_delay_alu instid0(SALU_CYCLE_1) | instskip(SKIP_3) | instid1(VALU_DEP_3)
	s_or_b32 exec_lo, exec_lo, s23
	v_dual_lshrrev_b32 v10, 16, v1 :: v_dual_bitop2_b32 v1, v1, v3 bitop3:0x54
	v_dual_lshrrev_b32 v19, 16, v17 :: v_dual_bitop2_b32 v3, v17, v20 bitop3:0x54
	v_lshrrev_b32_e32 v20, 16, v18
	v_cvt_f32_f16_e32 v25, v10
	v_dual_lshrrev_b32 v17, 16, v23 :: v_dual_bitop2_b32 v10, v18, v22 bitop3:0x54
	s_delay_alu instid0(VALU_DEP_4)
	v_cvt_f32_f16_e32 v24, v19
	v_cvt_f32_f16_e32 v18, v3
	v_or_b32_e32 v3, v23, v21
	v_cvt_f32_f16_e32 v19, v1
	v_cvt_f32_f16_e32 v21, v17
	s_wait_loadcnt 0x0
	v_pk_mul_f32 v[24:25], v[16:17], v[24:25] op_sel_hi:[0,1]
	v_cvt_f32_f16_e32 v20, v20
	v_cvt_f32_f16_e32 v22, v10
	v_cvt_f32_f16_e32 v23, v3
	v_pk_mul_f32 v[18:19], v[16:17], v[18:19] op_sel_hi:[0,1]
	v_cvt_pk_f16_f32 v1, v24, v25
	v_pk_mul_f32 v[24:25], v[16:17], v[20:21] op_sel_hi:[0,1]
	s_delay_alu instid0(VALU_DEP_4) | instskip(NEXT) | instid1(VALU_DEP_4)
	v_pk_mul_f32 v[16:17], v[16:17], v[22:23] op_sel_hi:[0,1]
	v_cvt_pk_f16_f32 v3, v18, v19
	s_delay_alu instid0(VALU_DEP_4) | instskip(NEXT) | instid1(VALU_DEP_4)
	v_and_b32_e32 v21, 0xffff0000, v1
	v_cvt_pk_f16_f32 v10, v24, v25
	v_lshlrev_b32_e32 v22, 16, v1
	v_cvt_pk_f16_f32 v16, v16, v17
	v_lshrrev_b32_e32 v23, 16, v3
	v_and_b32_e32 v24, 0xffff, v3
	v_and_b32_e32 v1, 0xffff0000, v10
	s_delay_alu instid0(VALU_DEP_4) | instskip(SKIP_3) | instid1(VALU_DEP_4)
	v_dual_lshlrev_b32 v10, 16, v10 :: v_dual_lshrrev_b32 v19, 16, v16
	v_and_b32_e32 v20, 0xffff, v16
	v_or_b32_e32 v17, v21, v23
	v_or_b32_e32 v18, v22, v24
	;; [unrolled: 1-line block ×3, first 2 shown]
	s_delay_alu instid0(VALU_DEP_4)
	v_or_b32_e32 v16, v10, v20
	s_and_saveexec_b32 s0, vcc_lo
	s_cbranch_execz .LBB256_495
; %bb.959:                              ;   in Loop: Header=BB256_497 Depth=1
	v_cmp_gt_i32_e32 vcc_lo, s18, v36
	v_cndmask_b32_e32 v3, 0, v23, vcc_lo
	v_cmp_gt_i32_e32 vcc_lo, s34, v43
	v_cndmask_b32_e32 v16, 0, v24, vcc_lo
	;; [unrolled: 2-line block ×4, first 2 shown]
	v_cmp_gt_i32_e32 vcc_lo, s18, v40
	s_delay_alu instid0(VALU_DEP_4) | instskip(NEXT) | instid1(VALU_DEP_3)
	v_or_b32_e32 v17, v17, v3
	v_dual_cndmask_b32 v19, 0, v19, vcc_lo :: v_dual_bitop2_b32 v18, v18, v16 bitop3:0x54
	v_cmp_gt_i32_e32 vcc_lo, s34, v39
	v_cndmask_b32_e32 v20, 0, v20, vcc_lo
	v_cmp_gt_i32_e32 vcc_lo, s18, v38
	v_cndmask_b32_e32 v1, 0, v1, vcc_lo
	v_cmp_gt_i32_e32 vcc_lo, s34, v37
	s_delay_alu instid0(VALU_DEP_2) | instskip(NEXT) | instid1(VALU_DEP_1)
	v_dual_cndmask_b32 v10, 0, v10, vcc_lo :: v_dual_bitop2_b32 v3, v1, v19 bitop3:0x54
	v_or_b32_e32 v16, v10, v20
	s_branch .LBB256_495
.LBB256_960:
	s_or_b32 exec_lo, exec_lo, s19
.LBB256_961:
	s_delay_alu instid0(SALU_CYCLE_1)
	s_or_b32 exec_lo, exec_lo, s1
	ds_bpermute_b32 v2, v31, v8
	ds_bpermute_b32 v3, v31, v9
	;; [unrolled: 1-line block ×7, first 2 shown]
	v_and_b32_e32 v11, 0x3c1, v0
	v_lshrrev_b32_e32 v1, 1, v30
	s_mov_b32 s0, exec_lo
	s_wait_dscnt 0x0
	s_barrier_signal -1
	s_barrier_wait -1
	v_pk_add_f32 v[8:9], v[8:9], v[2:3]
	v_pk_add_f32 v[6:7], v[6:7], v[12:13]
	;; [unrolled: 1-line block ×3, first 2 shown]
	v_cmpx_ne_u32_e32 64, v11
	s_xor_b32 s0, exec_lo, s0
	s_delay_alu instid0(SALU_CYCLE_1)
	s_or_saveexec_b32 s0, s0
	v_add_f32_e32 v10, v32, v10
	v_lshl_add_u32 v4, v1, 2, 0x100
	v_mul_u32_u24_e32 v5, 0x1c0, v29
	s_xor_b32 exec_lo, exec_lo, s0
	s_cbranch_execz .LBB256_963
; %bb.962:
	s_delay_alu instid0(VALU_DEP_1) | instskip(NEXT) | instid1(VALU_DEP_1)
	v_add_nc_u32_e32 v11, v4, v5
	v_add_nc_u32_e32 v12, 0xfffffc80, v11
	;; [unrolled: 1-line block ×8, first 2 shown]
	ds_store_b32 v12, v8
	ds_store_b32 v13, v9
	;; [unrolled: 1-line block ×7, first 2 shown]
.LBB256_963:
	s_or_b32 exec_lo, exec_lo, s0
	v_lshlrev_b32_e32 v1, 2, v1
	s_mov_b32 s1, exec_lo
	v_cmp_eq_u32_e32 vcc_lo, 0, v28
	s_wait_dscnt 0x0
	s_barrier_signal -1
	v_add3_u32 v1, 0x100, v5, v1
	s_barrier_wait -1
	v_cmpx_gt_u32_e32 64, v0
	s_cbranch_execz .LBB256_973
; %bb.964:
	s_and_saveexec_b32 s0, vcc_lo
	s_cbranch_execnz .LBB256_988
; %bb.965:
	s_or_b32 exec_lo, exec_lo, s0
	s_and_saveexec_b32 s0, vcc_lo
	s_cbranch_execnz .LBB256_989
.LBB256_966:
	s_or_b32 exec_lo, exec_lo, s0
	s_and_saveexec_b32 s0, vcc_lo
	s_cbranch_execnz .LBB256_990
.LBB256_967:
	s_or_b32 exec_lo, exec_lo, s0
	s_and_saveexec_b32 s0, vcc_lo
	s_cbranch_execnz .LBB256_991
.LBB256_968:
	s_or_b32 exec_lo, exec_lo, s0
	s_and_saveexec_b32 s0, vcc_lo
	s_cbranch_execnz .LBB256_992
.LBB256_969:
	s_or_b32 exec_lo, exec_lo, s0
	s_and_saveexec_b32 s0, vcc_lo
	s_cbranch_execnz .LBB256_993
.LBB256_970:
	s_or_b32 exec_lo, exec_lo, s0
	s_and_saveexec_b32 s0, vcc_lo
	s_cbranch_execz .LBB256_972
.LBB256_971:
	ds_load_b32 v5, v1 offset:384
	s_wait_dscnt 0x0
	v_add_f32_e32 v10, v10, v5
.LBB256_972:
	s_or_b32 exec_lo, exec_lo, s0
.LBB256_973:
	s_delay_alu instid0(SALU_CYCLE_1) | instskip(SKIP_4) | instid1(VALU_DEP_1)
	s_or_b32 exec_lo, exec_lo, s1
	v_and_b32_e32 v5, 0x3e1, v0
	s_mov_b32 s1, exec_lo
	s_barrier_signal -1
	s_barrier_wait -1
	v_cmpx_eq_u32_e32 32, v5
	s_cbranch_execz .LBB256_975
; %bb.974:
	ds_store_2addr_b32 v4, v8, v9 offset1:16
	ds_store_2addr_b32 v4, v6, v7 offset0:32 offset1:48
	ds_store_2addr_b32 v4, v2, v3 offset0:64 offset1:80
	ds_store_b32 v4, v10 offset:384
.LBB256_975:
	s_or_b32 exec_lo, exec_lo, s1
	s_delay_alu instid0(SALU_CYCLE_1)
	s_mov_b32 s1, exec_lo
	s_wait_dscnt 0x0
	s_barrier_signal -1
	s_barrier_wait -1
	v_cmpx_gt_u32_e32 32, v0
	s_cbranch_execz .LBB256_985
; %bb.976:
	s_and_saveexec_b32 s0, vcc_lo
	s_cbranch_execnz .LBB256_994
; %bb.977:
	s_or_b32 exec_lo, exec_lo, s0
	s_and_saveexec_b32 s0, vcc_lo
	s_cbranch_execnz .LBB256_995
.LBB256_978:
	s_or_b32 exec_lo, exec_lo, s0
	s_and_saveexec_b32 s0, vcc_lo
	s_cbranch_execnz .LBB256_996
.LBB256_979:
	s_or_b32 exec_lo, exec_lo, s0
	s_and_saveexec_b32 s0, vcc_lo
	s_cbranch_execnz .LBB256_997
.LBB256_980:
	s_or_b32 exec_lo, exec_lo, s0
	s_and_saveexec_b32 s0, vcc_lo
	s_cbranch_execnz .LBB256_998
.LBB256_981:
	s_or_b32 exec_lo, exec_lo, s0
	s_and_saveexec_b32 s0, vcc_lo
	s_cbranch_execnz .LBB256_999
.LBB256_982:
	s_or_b32 exec_lo, exec_lo, s0
	s_and_saveexec_b32 s0, vcc_lo
	s_cbranch_execz .LBB256_984
.LBB256_983:
	ds_load_b32 v0, v1 offset:384
	s_wait_dscnt 0x0
	v_add_f32_e32 v10, v10, v0
.LBB256_984:
	s_or_b32 exec_lo, exec_lo, s0
.LBB256_985:
	s_delay_alu instid0(SALU_CYCLE_1)
	s_or_b32 exec_lo, exec_lo, s1
	s_mov_b32 s1, 0
	s_barrier_signal -1
	s_barrier_wait -1
	s_mov_b32 s0, exec_lo
	v_cmpx_eq_u32_e32 0, v5
	s_cbranch_execz .LBB256_987
; %bb.986:
	s_mul_i32 s0, s33, s7
	s_mul_i32 s2, s7, s6
	;; [unrolled: 1-line block ×3, first 2 shown]
	s_lshr_b32 s8, ttmp7, 16
	s_mul_i32 s6, s0, 0x70
	s_bfe_u32 s0, ttmp6, 0x40014
	s_ashr_i32 s7, s6, 31
	s_add_co_i32 s0, s0, 1
	s_ashr_i32 s3, s2, 31
	s_mul_i32 s0, s8, s0
	s_bfe_u32 s9, ttmp6, 0x40008
	s_lshl_b64 s[6:7], s[6:7], 1
	s_lshl_b64 s[2:3], s[2:3], 1
	s_add_co_i32 s9, s9, s0
	s_cmp_eq_u32 s30, 0
	s_wait_kmcnt 0x0
	s_add_nc_u64 s[4:5], s[4:5], s[6:7]
	s_cselect_b32 s0, s8, s9
	s_add_nc_u64 s[2:3], s[4:5], s[2:3]
	s_mulk_i32 s0, 0xe0
	;;#ASMSTART
	v_cvt_f16_f32 v0, v8;

	;;#ASMEND
	s_add_nc_u64 s[0:1], s[2:3], s[0:1]
	global_store_b16 v27, v0, s[0:1] scale_offset
	s_wait_xcnt 0x0
	;;#ASMSTART
	v_cvt_f16_f32 v0, v9;

	;;#ASMEND
	global_store_b16 v27, v0, s[0:1] offset:32 scale_offset
	s_wait_xcnt 0x0
	;;#ASMSTART
	v_cvt_f16_f32 v0, v6;

	;;#ASMEND
	global_store_b16 v27, v0, s[0:1] offset:64 scale_offset
	s_wait_xcnt 0x0
	;;#ASMSTART
	v_cvt_f16_f32 v0, v7;

	;;#ASMEND
	global_store_b16 v27, v0, s[0:1] offset:96 scale_offset
	s_wait_xcnt 0x0
	;;#ASMSTART
	v_cvt_f16_f32 v0, v2;

	;;#ASMEND
	global_store_b16 v27, v0, s[0:1] offset:128 scale_offset
	s_wait_xcnt 0x0
	;;#ASMSTART
	v_cvt_f16_f32 v0, v3;

	;;#ASMEND
	global_store_b16 v27, v0, s[0:1] offset:160 scale_offset
	s_wait_xcnt 0x0
	;;#ASMSTART
	v_cvt_f16_f32 v0, v10;

	;;#ASMEND
	global_store_b16 v27, v0, s[0:1] offset:192 scale_offset
.LBB256_987:
	s_sendmsg sendmsg(MSG_DEALLOC_VGPRS)
	s_endpgm
.LBB256_988:
	ds_load_b32 v5, v1
	s_wait_dscnt 0x0
	v_add_f32_e32 v8, v8, v5
	s_or_b32 exec_lo, exec_lo, s0
	s_and_saveexec_b32 s0, vcc_lo
	s_cbranch_execz .LBB256_966
.LBB256_989:
	ds_load_b32 v5, v1 offset:64
	s_wait_dscnt 0x0
	v_add_f32_e32 v9, v9, v5
	s_or_b32 exec_lo, exec_lo, s0
	s_and_saveexec_b32 s0, vcc_lo
	s_cbranch_execz .LBB256_967
.LBB256_990:
	ds_load_b32 v5, v1 offset:128
	s_wait_dscnt 0x0
	v_add_f32_e32 v6, v6, v5
	s_or_b32 exec_lo, exec_lo, s0
	s_and_saveexec_b32 s0, vcc_lo
	s_cbranch_execz .LBB256_968
.LBB256_991:
	ds_load_b32 v5, v1 offset:192
	s_wait_dscnt 0x0
	v_add_f32_e32 v7, v7, v5
	s_or_b32 exec_lo, exec_lo, s0
	s_and_saveexec_b32 s0, vcc_lo
	s_cbranch_execz .LBB256_969
.LBB256_992:
	ds_load_b32 v5, v1 offset:256
	s_wait_dscnt 0x0
	v_add_f32_e32 v2, v2, v5
	s_or_b32 exec_lo, exec_lo, s0
	s_and_saveexec_b32 s0, vcc_lo
	s_cbranch_execz .LBB256_970
.LBB256_993:
	ds_load_b32 v5, v1 offset:320
	s_wait_dscnt 0x0
	v_add_f32_e32 v3, v3, v5
	s_or_b32 exec_lo, exec_lo, s0
	s_and_saveexec_b32 s0, vcc_lo
	s_cbranch_execnz .LBB256_971
	s_branch .LBB256_972
.LBB256_994:
	ds_load_b32 v0, v1
	s_wait_dscnt 0x0
	v_add_f32_e32 v8, v8, v0
	s_or_b32 exec_lo, exec_lo, s0
	s_and_saveexec_b32 s0, vcc_lo
	s_cbranch_execz .LBB256_978
.LBB256_995:
	ds_load_b32 v0, v1 offset:64
	s_wait_dscnt 0x0
	v_add_f32_e32 v9, v9, v0
	s_or_b32 exec_lo, exec_lo, s0
	s_and_saveexec_b32 s0, vcc_lo
	s_cbranch_execz .LBB256_979
.LBB256_996:
	ds_load_b32 v0, v1 offset:128
	s_wait_dscnt 0x0
	v_add_f32_e32 v6, v6, v0
	s_or_b32 exec_lo, exec_lo, s0
	s_and_saveexec_b32 s0, vcc_lo
	s_cbranch_execz .LBB256_980
.LBB256_997:
	ds_load_b32 v0, v1 offset:192
	s_wait_dscnt 0x0
	v_add_f32_e32 v7, v7, v0
	s_or_b32 exec_lo, exec_lo, s0
	s_and_saveexec_b32 s0, vcc_lo
	s_cbranch_execz .LBB256_981
.LBB256_998:
	ds_load_b32 v0, v1 offset:256
	s_wait_dscnt 0x0
	v_add_f32_e32 v2, v2, v0
	s_or_b32 exec_lo, exec_lo, s0
	s_and_saveexec_b32 s0, vcc_lo
	s_cbranch_execz .LBB256_982
.LBB256_999:
	ds_load_b32 v0, v1 offset:320
	s_wait_dscnt 0x0
	v_add_f32_e32 v3, v3, v0
	s_or_b32 exec_lo, exec_lo, s0
	s_and_saveexec_b32 s0, vcc_lo
	s_cbranch_execnz .LBB256_983
	s_branch .LBB256_984
	.section	.rodata,"a",@progbits
	.p2align	6, 0x0
	.amdhsa_kernel _ZN4vllm25paged_attention_v1_kernelIthLi112ELi16ELi128ELNS_18Fp8KVCacheDataTypeE1ELb1EEEvPT_PKS2_PKT0_S8_ifPKiSA_iPKfiiiSC_SC_iiiii
		.amdhsa_group_segment_fixed_size 256
		.amdhsa_private_segment_fixed_size 0
		.amdhsa_kernarg_size 384
		.amdhsa_user_sgpr_count 2
		.amdhsa_user_sgpr_dispatch_ptr 0
		.amdhsa_user_sgpr_queue_ptr 0
		.amdhsa_user_sgpr_kernarg_segment_ptr 1
		.amdhsa_user_sgpr_dispatch_id 0
		.amdhsa_user_sgpr_kernarg_preload_length 0
		.amdhsa_user_sgpr_kernarg_preload_offset 0
		.amdhsa_user_sgpr_private_segment_size 0
		.amdhsa_wavefront_size32 1
		.amdhsa_uses_dynamic_stack 0
		.amdhsa_enable_private_segment 0
		.amdhsa_system_sgpr_workgroup_id_x 1
		.amdhsa_system_sgpr_workgroup_id_y 1
		.amdhsa_system_sgpr_workgroup_id_z 1
		.amdhsa_system_sgpr_workgroup_info 0
		.amdhsa_system_vgpr_workitem_id 0
		.amdhsa_next_free_vgpr 123
		.amdhsa_next_free_sgpr 45
		.amdhsa_named_barrier_count 0
		.amdhsa_reserve_vcc 1
		.amdhsa_float_round_mode_32 0
		.amdhsa_float_round_mode_16_64 0
		.amdhsa_float_denorm_mode_32 3
		.amdhsa_float_denorm_mode_16_64 3
		.amdhsa_fp16_overflow 0
		.amdhsa_memory_ordered 1
		.amdhsa_forward_progress 1
		.amdhsa_inst_pref_size 255
		.amdhsa_round_robin_scheduling 0
		.amdhsa_exception_fp_ieee_invalid_op 0
		.amdhsa_exception_fp_denorm_src 0
		.amdhsa_exception_fp_ieee_div_zero 0
		.amdhsa_exception_fp_ieee_overflow 0
		.amdhsa_exception_fp_ieee_underflow 0
		.amdhsa_exception_fp_ieee_inexact 0
		.amdhsa_exception_int_div_zero 0
	.end_amdhsa_kernel
	.section	.text._ZN4vllm25paged_attention_v1_kernelIthLi112ELi16ELi128ELNS_18Fp8KVCacheDataTypeE1ELb1EEEvPT_PKS2_PKT0_S8_ifPKiSA_iPKfiiiSC_SC_iiiii,"axG",@progbits,_ZN4vllm25paged_attention_v1_kernelIthLi112ELi16ELi128ELNS_18Fp8KVCacheDataTypeE1ELb1EEEvPT_PKS2_PKT0_S8_ifPKiSA_iPKfiiiSC_SC_iiiii,comdat
.Lfunc_end256:
	.size	_ZN4vllm25paged_attention_v1_kernelIthLi112ELi16ELi128ELNS_18Fp8KVCacheDataTypeE1ELb1EEEvPT_PKS2_PKT0_S8_ifPKiSA_iPKfiiiSC_SC_iiiii, .Lfunc_end256-_ZN4vllm25paged_attention_v1_kernelIthLi112ELi16ELi128ELNS_18Fp8KVCacheDataTypeE1ELb1EEEvPT_PKS2_PKT0_S8_ifPKiSA_iPKfiiiSC_SC_iiiii
                                        ; -- End function
	.set _ZN4vllm25paged_attention_v1_kernelIthLi112ELi16ELi128ELNS_18Fp8KVCacheDataTypeE1ELb1EEEvPT_PKS2_PKT0_S8_ifPKiSA_iPKfiiiSC_SC_iiiii.num_vgpr, 123
	.set _ZN4vllm25paged_attention_v1_kernelIthLi112ELi16ELi128ELNS_18Fp8KVCacheDataTypeE1ELb1EEEvPT_PKS2_PKT0_S8_ifPKiSA_iPKfiiiSC_SC_iiiii.num_agpr, 0
	.set _ZN4vllm25paged_attention_v1_kernelIthLi112ELi16ELi128ELNS_18Fp8KVCacheDataTypeE1ELb1EEEvPT_PKS2_PKT0_S8_ifPKiSA_iPKfiiiSC_SC_iiiii.numbered_sgpr, 45
	.set _ZN4vllm25paged_attention_v1_kernelIthLi112ELi16ELi128ELNS_18Fp8KVCacheDataTypeE1ELb1EEEvPT_PKS2_PKT0_S8_ifPKiSA_iPKfiiiSC_SC_iiiii.num_named_barrier, 0
	.set _ZN4vllm25paged_attention_v1_kernelIthLi112ELi16ELi128ELNS_18Fp8KVCacheDataTypeE1ELb1EEEvPT_PKS2_PKT0_S8_ifPKiSA_iPKfiiiSC_SC_iiiii.private_seg_size, 0
	.set _ZN4vllm25paged_attention_v1_kernelIthLi112ELi16ELi128ELNS_18Fp8KVCacheDataTypeE1ELb1EEEvPT_PKS2_PKT0_S8_ifPKiSA_iPKfiiiSC_SC_iiiii.uses_vcc, 1
	.set _ZN4vllm25paged_attention_v1_kernelIthLi112ELi16ELi128ELNS_18Fp8KVCacheDataTypeE1ELb1EEEvPT_PKS2_PKT0_S8_ifPKiSA_iPKfiiiSC_SC_iiiii.uses_flat_scratch, 0
	.set _ZN4vllm25paged_attention_v1_kernelIthLi112ELi16ELi128ELNS_18Fp8KVCacheDataTypeE1ELb1EEEvPT_PKS2_PKT0_S8_ifPKiSA_iPKfiiiSC_SC_iiiii.has_dyn_sized_stack, 0
	.set _ZN4vllm25paged_attention_v1_kernelIthLi112ELi16ELi128ELNS_18Fp8KVCacheDataTypeE1ELb1EEEvPT_PKS2_PKT0_S8_ifPKiSA_iPKfiiiSC_SC_iiiii.has_recursion, 0
	.set _ZN4vllm25paged_attention_v1_kernelIthLi112ELi16ELi128ELNS_18Fp8KVCacheDataTypeE1ELb1EEEvPT_PKS2_PKT0_S8_ifPKiSA_iPKfiiiSC_SC_iiiii.has_indirect_call, 0
	.section	.AMDGPU.csdata,"",@progbits
; Kernel info:
; codeLenInByte = 35624
; TotalNumSgprs: 47
; NumVgprs: 123
; ScratchSize: 0
; MemoryBound: 0
; FloatMode: 240
; IeeeMode: 1
; LDSByteSize: 256 bytes/workgroup (compile time only)
; SGPRBlocks: 0
; VGPRBlocks: 7
; NumSGPRsForWavesPerEU: 47
; NumVGPRsForWavesPerEU: 123
; NamedBarCnt: 0
; Occupancy: 8
; WaveLimiterHint : 1
; COMPUTE_PGM_RSRC2:SCRATCH_EN: 0
; COMPUTE_PGM_RSRC2:USER_SGPR: 2
; COMPUTE_PGM_RSRC2:TRAP_HANDLER: 0
; COMPUTE_PGM_RSRC2:TGID_X_EN: 1
; COMPUTE_PGM_RSRC2:TGID_Y_EN: 1
; COMPUTE_PGM_RSRC2:TGID_Z_EN: 1
; COMPUTE_PGM_RSRC2:TIDIG_COMP_CNT: 0
	.section	.text._ZN4vllm25paged_attention_v1_kernelIthLi120ELi16ELi128ELNS_18Fp8KVCacheDataTypeE1ELb1EEEvPT_PKS2_PKT0_S8_ifPKiSA_iPKfiiiSC_SC_iiiii,"axG",@progbits,_ZN4vllm25paged_attention_v1_kernelIthLi120ELi16ELi128ELNS_18Fp8KVCacheDataTypeE1ELb1EEEvPT_PKS2_PKT0_S8_ifPKiSA_iPKfiiiSC_SC_iiiii,comdat
	.protected	_ZN4vllm25paged_attention_v1_kernelIthLi120ELi16ELi128ELNS_18Fp8KVCacheDataTypeE1ELb1EEEvPT_PKS2_PKT0_S8_ifPKiSA_iPKfiiiSC_SC_iiiii ; -- Begin function _ZN4vllm25paged_attention_v1_kernelIthLi120ELi16ELi128ELNS_18Fp8KVCacheDataTypeE1ELb1EEEvPT_PKS2_PKT0_S8_ifPKiSA_iPKfiiiSC_SC_iiiii
	.globl	_ZN4vllm25paged_attention_v1_kernelIthLi120ELi16ELi128ELNS_18Fp8KVCacheDataTypeE1ELb1EEEvPT_PKS2_PKT0_S8_ifPKiSA_iPKfiiiSC_SC_iiiii
	.p2align	8
	.type	_ZN4vllm25paged_attention_v1_kernelIthLi120ELi16ELi128ELNS_18Fp8KVCacheDataTypeE1ELb1EEEvPT_PKS2_PKT0_S8_ifPKiSA_iPKfiiiSC_SC_iiiii,@function
_ZN4vllm25paged_attention_v1_kernelIthLi120ELi16ELi128ELNS_18Fp8KVCacheDataTypeE1ELb1EEEvPT_PKS2_PKT0_S8_ifPKiSA_iPKfiiiSC_SC_iiiii: ; @_ZN4vllm25paged_attention_v1_kernelIthLi120ELi16ELi128ELNS_18Fp8KVCacheDataTypeE1ELb1EEEvPT_PKS2_PKT0_S8_ifPKiSA_iPKfiiiSC_SC_iiiii
; %bb.0:
	s_load_b64 s[26:27], s[0:1], 0x20
	s_bfe_u32 s3, ttmp6, 0x4000c
	s_bfe_u32 s4, ttmp6, 0x40010
	s_and_b32 s6, ttmp7, 0xffff
	s_add_co_i32 s3, s3, 1
	s_add_co_i32 s4, s4, 1
	s_and_b32 s2, ttmp6, 15
	s_bfe_u32 s5, ttmp6, 0x40004
	s_mul_i32 s3, ttmp9, s3
	s_mul_i32 s4, s6, s4
	s_getreg_b32 s30, hwreg(HW_REG_IB_STS2, 6, 4)
	s_add_co_i32 s2, s2, s3
	s_add_co_i32 s3, s5, s4
	s_cmp_eq_u32 s30, 0
	s_clause 0x1
	s_load_b32 s31, s[0:1], 0x80
	s_load_b64 s[4:5], s[0:1], 0x30
	s_cselect_b32 s33, s6, s3
	s_cselect_b32 s2, ttmp9, s2
	s_wait_kmcnt 0x0
	s_abs_i32 s3, s26
	s_delay_alu instid0(SALU_CYCLE_1) | instskip(SKIP_1) | instid1(SALU_CYCLE_2)
	s_cvt_f32_u32 s6, s3
	s_sub_co_i32 s7, 0, s3
	v_rcp_iflag_f32_e32 v1, s6
	s_abs_i32 s8, s31
	v_nop
	s_delay_alu instid0(TRANS32_DEP_1) | instskip(SKIP_1) | instid1(SALU_CYCLE_3)
	v_readfirstlane_b32 s6, v1
	s_mul_f32 s6, s6, 0x4f7ffffe
	s_cvt_u32_f32 s6, s6
	s_delay_alu instid0(SALU_CYCLE_3) | instskip(NEXT) | instid1(SALU_CYCLE_1)
	s_mul_i32 s7, s7, s6
	s_mul_hi_u32 s7, s6, s7
	s_delay_alu instid0(SALU_CYCLE_1) | instskip(SKIP_4) | instid1(SALU_CYCLE_1)
	s_add_co_i32 s6, s6, s7
	s_xor_b32 s7, s31, s26
	s_mul_hi_u32 s6, s8, s6
	s_ashr_i32 s7, s7, 31
	s_mul_i32 s9, s6, s3
	s_sub_co_i32 s8, s8, s9
	s_add_co_i32 s9, s6, 1
	s_sub_co_i32 s10, s8, s3
	s_cmp_ge_u32 s8, s3
	s_cselect_b32 s6, s9, s6
	s_cselect_b32 s8, s10, s8
	s_add_co_i32 s9, s6, 1
	s_cmp_ge_u32 s8, s3
	s_load_b64 s[10:11], s[0:1], 0x40
	s_cselect_b32 s3, s9, s6
	s_mov_b32 s9, 0
	s_xor_b32 s3, s3, s7
	s_abs_i32 s8, s2
	s_sub_co_i32 s12, s3, s7
	s_mov_b32 s7, s9
	s_abs_i32 s19, s12
	s_mov_b32 s36, s9
	s_cvt_f32_u32 s3, s19
	s_sub_co_i32 s6, 0, s19
	s_delay_alu instid0(SALU_CYCLE_2) | instskip(SKIP_1) | instid1(TRANS32_DEP_1)
	v_rcp_iflag_f32_e32 v1, s3
	v_nop
	v_readfirstlane_b32 s3, v1
	s_mul_f32 s3, s3, 0x4f7ffffe
	s_delay_alu instid0(SALU_CYCLE_3) | instskip(NEXT) | instid1(SALU_CYCLE_3)
	s_cvt_u32_f32 s3, s3
	s_mul_i32 s6, s6, s3
	s_delay_alu instid0(SALU_CYCLE_1) | instskip(NEXT) | instid1(SALU_CYCLE_1)
	s_mul_hi_u32 s6, s3, s6
	s_add_co_i32 s6, s3, s6
	s_wait_kmcnt 0x0
	s_cmp_eq_u64 s[10:11], 0
	s_cbranch_scc1 .LBB257_2
; %bb.1:
	s_ashr_i32 s3, s2, 31
	s_delay_alu instid0(SALU_CYCLE_1) | instskip(NEXT) | instid1(SALU_CYCLE_1)
	s_lshl_b64 s[14:15], s[2:3], 2
	s_add_nc_u64 s[10:11], s[10:11], s[14:15]
	s_load_b32 s36, s[10:11], 0x0
.LBB257_2:
	s_load_b32 s34, s[4:5], s33 offset:0x0 scale_offset
	s_load_b96 s[16:18], s[0:1], 0x48
	v_dual_lshrrev_b32 v33, 1, v0 :: v_dual_bitop2_b32 v34, 1, v0 bitop3:0x40
	s_wait_xcnt 0x0
	s_mul_u64 s[4:5], s[8:9], s[6:7]
	s_ashr_i32 s3, s2, 31
	s_ashr_i32 s10, s12, 31
	s_mul_i32 s6, s2, 0x78
	s_mov_b32 s4, exec_lo
	v_cmpx_gt_u32_e32 30, v0
	s_cbranch_execz .LBB257_4
; %bb.3:
	s_load_b64 s[12:13], s[0:1], 0x8
	s_wait_kmcnt 0x0
	s_mul_i32 s14, s16, s33
	s_ashr_i32 s7, s6, 31
	s_ashr_i32 s15, s14, 31
	v_lshlrev_b32_e32 v1, 3, v33
	s_lshl_b64 s[14:15], s[14:15], 1
	s_delay_alu instid0(VALU_DEP_1) | instskip(SKIP_2) | instid1(SALU_CYCLE_1)
	v_mad_u32_u24 v1, 0x78, v34, v1
	s_add_nc_u64 s[12:13], s[12:13], s[14:15]
	s_lshl_b64 s[14:15], s[6:7], 1
	s_add_nc_u64 s[12:13], s[12:13], s[14:15]
	global_load_b64 v[2:3], v0, s[12:13] scale_offset
	s_wait_loadcnt 0x0
	ds_store_b64 v1, v[2:3]
.LBB257_4:
	s_or_b32 exec_lo, exec_lo, s4
	s_load_b128 s[12:15], s[0:1], 0x68
	s_mul_i32 s4, s5, s19
	s_xor_b32 s3, s3, s10
	s_sub_co_i32 s4, s8, s4
	s_add_co_i32 s7, s5, 1
	s_sub_co_i32 s8, s4, s19
	s_cmp_ge_u32 s4, s19
	s_mov_b32 s9, -1
	s_cselect_b32 s5, s7, s5
	s_cselect_b32 s4, s8, s4
	s_add_co_i32 s8, s5, 1
	s_cmp_ge_u32 s4, s19
	s_load_b32 s7, s[0:1], 0x78
	s_cselect_b32 s4, s8, s5
	s_wait_kmcnt 0x0
	s_add_co_i32 s8, s34, -1
	s_xor_b32 s4, s4, s3
	s_wait_dscnt 0x0
	s_sub_co_i32 s3, s4, s3
	s_barrier_signal -1
	s_barrier_wait -1
	s_abs_i32 s16, s15
	s_delay_alu instid0(SALU_CYCLE_1) | instskip(NEXT) | instid1(SALU_CYCLE_3)
	s_cvt_f32_u32 s5, s16
                                        ; implicit-def: $sgpr35
	v_rcp_iflag_f32_e32 v1, s5
	v_nop
	s_delay_alu instid0(TRANS32_DEP_1) | instskip(SKIP_1) | instid1(SALU_CYCLE_3)
	v_readfirstlane_b32 s5, v1
	s_mul_f32 s4, s5, 0x4f7ffffe
	s_cvt_u32_f32 s10, s4
	s_sub_co_i32 s4, 0, s16
	s_delay_alu instid0(SALU_CYCLE_2)
	s_mul_i32 s5, s4, s10
	s_abs_i32 s4, s8
	s_mul_hi_u32 s11, s10, s5
	s_mov_b32 s5, 0
	s_add_co_i32 s20, s10, s11
	s_cmp_lt_i32 s7, 0
	s_mov_b32 s21, s5
	s_cbranch_scc0 .LBB257_6
; %bb.5:
	s_mul_i32 s9, s12, s26
	s_delay_alu instid0(SALU_CYCLE_1) | instskip(NEXT) | instid1(SALU_CYCLE_1)
	s_add_co_i32 s9, s3, s9
	s_mul_i32 s9, s9, s7
	s_delay_alu instid0(SALU_CYCLE_1)
	s_sub_co_i32 s35, 1, s9
	s_mov_b32 s9, s5
.LBB257_6:
	s_ashr_i32 s8, s8, 31
	s_ashr_i32 s15, s15, 31
	s_and_not1_b32 vcc_lo, exec_lo, s9
	s_mul_u64 s[28:29], s[4:5], s[20:21]
	s_cbranch_vccnz .LBB257_8
; %bb.7:
	s_mul_i32 s5, s31, s12
	s_delay_alu instid0(SALU_CYCLE_1) | instskip(NEXT) | instid1(SALU_CYCLE_1)
	s_add_co_i32 s2, s5, s2
	s_mul_i32 s2, s2, s7
	s_delay_alu instid0(SALU_CYCLE_1)
	s_add_co_i32 s35, s2, 1
.LBB257_8:
	s_clause 0x1
	s_load_b32 s2, s[0:1], 0x38
	s_load_b64 s[22:23], s[0:1], 0x28
	s_mul_i32 s7, s29, s16
	s_xor_b32 s5, s8, s15
	s_sub_co_i32 s4, s4, s7
	s_add_co_i32 s12, s29, 1
	s_clause 0x1
	s_load_b32 s7, s[0:1], 0x88
	s_load_b128 s[8:11], s[0:1], 0x58
	v_dual_lshrrev_b32 v35, 5, v0 :: v_dual_lshrrev_b32 v1, 3, v0
	v_mov_b32_e32 v17, 0xff7fffff
	v_mbcnt_lo_u32_b32 v3, -1, 0
	s_mul_i32 s18, s3, s18
	s_delay_alu instid0(VALU_DEP_3)
	v_lshlrev_b32_e32 v2, 4, v35
	s_mov_b32 s37, exec_lo
	s_wait_kmcnt 0x0
	s_mul_i32 s24, s2, s33
	s_sub_co_i32 s2, s4, s16
	s_ashr_i32 s25, s24, 31
	s_cmp_ge_u32 s4, s16
	s_cselect_b32 s12, s12, s29
	s_cselect_b32 s2, s2, s4
	s_add_co_i32 s4, s12, 1
	s_cmp_ge_u32 s2, s16
	s_cselect_b32 s2, s4, s12
	s_add_co_i32 s4, s34, 15
	s_delay_alu instid0(SALU_CYCLE_1) | instskip(NEXT) | instid1(SALU_CYCLE_1)
	s_ashr_i32 s12, s4, 31
	s_lshr_b32 s12, s12, 28
	s_delay_alu instid0(SALU_CYCLE_1) | instskip(NEXT) | instid1(SALU_CYCLE_1)
	s_add_co_i32 s4, s4, s12
	s_ashr_i32 s26, s4, 4
	s_xor_b32 s4, s2, s5
	v_cmp_le_i32_e64 s2, s26, v35
	s_sub_co_i32 s12, s4, s5
	v_cmpx_gt_i32_e64 s26, v35
	s_cbranch_execz .LBB257_500
; %bb.9:
	s_load_b64 s[4:5], s[0:1], 0x10
	s_sub_co_i32 s38, s12, s13
	s_ashr_i32 s19, s18, 31
	s_cmp_neq_f32 s36, 0
	v_bfe_u32 v15, v0, 1, 4
	v_dual_mov_b32 v5, 0 :: v_dual_lshlrev_b32 v6, 4, v35
	s_cselect_b32 vcc_lo, -1, 0
	s_abs_i32 s39, s14
	s_delay_alu instid0(VALU_DEP_2)
	v_lshlrev_b32_e32 v4, 4, v15
	s_cvt_f32_u32 s28, s39
	s_lshl_b64 s[40:41], s[24:25], 2
	v_subrev_nc_u32_e32 v10, s34, v15
	v_cmp_eq_u32_e64 s3, 0, v34
	v_rcp_iflag_f32_e32 v7, s28
	v_mul_u32_u24_e32 v16, 0x78, v34
	v_mov_b32_e32 v20, 0xff7fffff
	v_dual_mov_b32 v21, v35 :: v_dual_add_nc_u32 v18, 1, v10
	s_mov_b32 s29, 0
	s_wait_kmcnt 0x0
	s_add_nc_u64 s[4:5], s[4:5], s[18:19]
	v_readfirstlane_b32 s28, v7
	v_lshlrev_b32_e32 v7, 2, v15
	v_add_nc_u64_e32 v[8:9], s[4:5], v[4:5]
	v_dual_mov_b32 v17, 0xff7fffff :: v_dual_lshlrev_b32 v4, 2, v34
	s_mul_f32 s19, s28, 0x4f7ffffe
	s_add_nc_u64 s[4:5], s[22:23], s[40:41]
	v_lshl_or_b32 v7, v35, 6, v7
	s_sub_co_i32 s28, 0, s39
	s_delay_alu instid0(VALU_DEP_3) | instskip(SKIP_4) | instid1(VALU_DEP_2)
	v_add_nc_u64_e32 v[8:9], v[8:9], v[4:5]
	v_and_b32_e32 v4, 0x7c, v1
	s_cvt_u32_f32 s40, s19
	v_add_nc_u32_e32 v19, 0x110, v7
	s_mov_b32 s19, s17
	v_add_nc_u64_e32 v[10:11], s[4:5], v[4:5]
	s_mul_i32 s28, s28, s40
	s_delay_alu instid0(SALU_CYCLE_1) | instskip(NEXT) | instid1(SALU_CYCLE_1)
	s_mul_hi_u32 s28, s40, s28
	s_add_co_i32 s28, s40, s28
	s_mov_b32 s40, s29
	s_branch .LBB257_12
.LBB257_10:                             ;   in Loop: Header=BB257_12 Depth=1
	s_or_b32 exec_lo, exec_lo, s41
.LBB257_11:                             ;   in Loop: Header=BB257_12 Depth=1
	s_delay_alu instid0(SALU_CYCLE_1) | instskip(SKIP_3) | instid1(VALU_DEP_3)
	s_or_b32 exec_lo, exec_lo, s5
	v_dual_add_nc_u32 v21, 4, v21 :: v_dual_add_nc_u32 v6, 64, v6
	v_add_nc_u64_e32 v[10:11], 16, v[10:11]
	v_add_nc_u32_e32 v19, 0x100, v19
	v_cmp_le_i32_e64 s4, s26, v21
	s_or_b32 s40, s4, s40
	s_delay_alu instid0(SALU_CYCLE_1)
	s_and_not1_b32 exec_lo, exec_lo, s40
	s_cbranch_execz .LBB257_499
.LBB257_12:                             ; =>This Inner Loop Header: Depth=1
	s_wait_dscnt 0x0
	v_mov_b32_e32 v7, v5
	s_delay_alu instid0(VALU_DEP_1) | instskip(NEXT) | instid1(VALU_DEP_1)
	v_mul_u64_e32 v[12:13], s[20:21], v[6:7]
	v_mul_lo_u32 v4, v13, s16
	s_delay_alu instid0(VALU_DEP_1) | instskip(NEXT) | instid1(VALU_DEP_1)
	v_sub_nc_u32_e32 v4, v6, v4
	v_subrev_nc_u32_e32 v12, s16, v4
	v_cmp_le_u32_e64 s4, s16, v4
	s_delay_alu instid0(VALU_DEP_1) | instskip(NEXT) | instid1(VALU_DEP_1)
	v_dual_add_nc_u32 v7, 1, v13 :: v_dual_cndmask_b32 v4, v4, v12, s4
	v_cndmask_b32_e64 v7, v13, v7, s4
	s_delay_alu instid0(VALU_DEP_2) | instskip(NEXT) | instid1(VALU_DEP_2)
	v_cmp_le_u32_e64 s4, s16, v4
	v_add_nc_u32_e32 v12, 1, v7
	s_delay_alu instid0(VALU_DEP_1) | instskip(NEXT) | instid1(VALU_DEP_1)
	v_cndmask_b32_e64 v4, v7, v12, s4
	v_xor_b32_e32 v4, s15, v4
	s_delay_alu instid0(VALU_DEP_1) | instskip(NEXT) | instid1(VALU_DEP_1)
	v_subrev_nc_u32_e32 v7, s15, v4
	v_add_nc_u32_e32 v14, s35, v7
	v_cmp_ge_i32_e64 s5, s38, v7
	s_delay_alu instid0(VALU_DEP_2) | instskip(NEXT) | instid1(VALU_DEP_1)
	v_sub_nc_u32_e32 v4, 0, v14
	v_max_i32_e32 v4, v14, v4
	s_delay_alu instid0(VALU_DEP_1) | instskip(NEXT) | instid1(VALU_DEP_1)
	v_mul_u64_e32 v[12:13], s[28:29], v[4:5]
	v_mul_lo_u32 v12, v13, s39
	s_delay_alu instid0(VALU_DEP_1) | instskip(NEXT) | instid1(VALU_DEP_1)
	v_dual_ashrrev_i32 v13, 31, v14 :: v_dual_sub_nc_u32 v4, v4, v12
	v_subrev_nc_u32_e32 v12, s39, v4
	v_cmp_le_u32_e64 s4, s39, v4
	s_delay_alu instid0(VALU_DEP_1) | instskip(NEXT) | instid1(VALU_DEP_1)
	v_cndmask_b32_e64 v4, v4, v12, s4
	v_subrev_nc_u32_e32 v12, s39, v4
	v_cmp_le_u32_e64 s4, s39, v4
	s_delay_alu instid0(VALU_DEP_1) | instskip(NEXT) | instid1(VALU_DEP_1)
	v_cndmask_b32_e64 v4, v4, v12, s4
	v_xor_b32_e32 v4, v4, v13
	s_delay_alu instid0(VALU_DEP_1) | instskip(NEXT) | instid1(VALU_DEP_1)
	v_sub_nc_u32_e32 v4, v4, v13
	v_cmp_ne_u32_e64 s4, 0, v4
	s_and_b32 s4, s4, s5
	s_delay_alu instid0(SALU_CYCLE_1) | instskip(NEXT) | instid1(SALU_CYCLE_1)
	s_and_saveexec_b32 s5, s4
	s_xor_b32 s4, exec_lo, s5
	s_cbranch_execz .LBB257_16
; %bb.13:                               ;   in Loop: Header=BB257_12 Depth=1
	s_and_saveexec_b32 s5, s3
; %bb.14:                               ;   in Loop: Header=BB257_12 Depth=1
	ds_store_b32 v19, v20
; %bb.15:                               ;   in Loop: Header=BB257_12 Depth=1
	s_or_b32 exec_lo, exec_lo, s5
.LBB257_16:                             ;   in Loop: Header=BB257_12 Depth=1
	s_and_not1_saveexec_b32 s5, s4
	s_cbranch_execz .LBB257_11
; %bb.17:                               ;   in Loop: Header=BB257_12 Depth=1
	global_load_b32 v4, v[10:11], off
	v_dual_mov_b32 v22, 0 :: v_dual_mov_b32 v23, 0
	s_mov_b32 s41, exec_lo
	global_load_b32 v7, v22, s[8:9]
	s_wait_loadcnt 0x1
	v_mad_nc_i64_i32 v[12:13], v4, s19, v[8:9]
	global_load_b32 v14, v[12:13], off
	s_wait_loadcnt 0x0
	v_and_b32_e32 v4, 0xff, v14
	s_delay_alu instid0(VALU_DEP_1)
	v_cmpx_ne_u16_e32 0, v4
	s_cbranch_execz .LBB257_25
; %bb.18:                               ;   in Loop: Header=BB257_12 Depth=1
	v_mov_b32_e32 v23, 0x8000
	s_mov_b32 s42, exec_lo
	v_cmpx_ne_u16_e32 0x80, v4
	s_cbranch_execz .LBB257_24
; %bb.19:                               ;   in Loop: Header=BB257_12 Depth=1
	v_and_b32_e32 v24, 0x7f, v14
	v_mov_b32_e32 v23, 0x7c01
	s_mov_b32 s43, exec_lo
	s_delay_alu instid0(VALU_DEP_2)
	v_cmpx_ne_u32_e32 0x7f, v24
	s_cbranch_execz .LBB257_23
; %bb.20:                               ;   in Loop: Header=BB257_12 Depth=1
	v_dual_lshrrev_b32 v23, 3, v24 :: v_dual_bitop2_b32 v4, 7, v14 bitop3:0x40
	s_mov_b32 s44, exec_lo
	v_cmpx_gt_u32_e32 8, v24
; %bb.21:                               ;   in Loop: Header=BB257_12 Depth=1
	s_delay_alu instid0(VALU_DEP_2) | instskip(NEXT) | instid1(VALU_DEP_1)
	v_clz_i32_u32_e32 v4, v4
	v_min_u32_e32 v4, 32, v4
	s_delay_alu instid0(VALU_DEP_1) | instskip(NEXT) | instid1(VALU_DEP_1)
	v_subrev_nc_u32_e32 v23, 28, v4
	v_lshlrev_b64_e32 v[24:25], v23, v[14:15]
	v_sub_nc_u32_e32 v23, 29, v4
	s_delay_alu instid0(VALU_DEP_2)
	v_and_b32_e32 v4, 7, v24
; %bb.22:                               ;   in Loop: Header=BB257_12 Depth=1
	s_or_b32 exec_lo, exec_lo, s44
	s_delay_alu instid0(VALU_DEP_1) | instskip(NEXT) | instid1(VALU_DEP_3)
	v_dual_lshlrev_b32 v24, 8, v14 :: v_dual_lshlrev_b32 v4, 7, v4
	v_lshl_add_u32 v23, v23, 10, 0x2000
	s_delay_alu instid0(VALU_DEP_2) | instskip(NEXT) | instid1(VALU_DEP_2)
	v_and_b32_e32 v24, 0x8000, v24
	v_and_b32_e32 v23, 0xfc00, v23
	s_delay_alu instid0(VALU_DEP_1)
	v_or3_b32 v23, v24, v23, v4
.LBB257_23:                             ;   in Loop: Header=BB257_12 Depth=1
	s_or_b32 exec_lo, exec_lo, s43
.LBB257_24:                             ;   in Loop: Header=BB257_12 Depth=1
	s_delay_alu instid0(SALU_CYCLE_1)
	s_or_b32 exec_lo, exec_lo, s42
.LBB257_25:                             ;   in Loop: Header=BB257_12 Depth=1
	s_delay_alu instid0(SALU_CYCLE_1) | instskip(SKIP_2) | instid1(VALU_DEP_1)
	s_or_b32 exec_lo, exec_lo, s41
	v_lshrrev_b16 v4, 8, v14
	s_mov_b32 s41, exec_lo
	v_cmpx_ne_u16_e32 0, v4
	s_cbranch_execz .LBB257_33
; %bb.26:                               ;   in Loop: Header=BB257_12 Depth=1
	v_bfrev_b32_e32 v22, 1
	s_mov_b32 s42, exec_lo
	v_cmpx_ne_u16_e32 0x80, v4
	s_cbranch_execz .LBB257_32
; %bb.27:                               ;   in Loop: Header=BB257_12 Depth=1
	v_and_b32_e32 v24, 0xffff, v4
	v_mov_b32_e32 v22, 0x7c010000
	s_mov_b32 s43, exec_lo
	s_delay_alu instid0(VALU_DEP_2) | instskip(NEXT) | instid1(VALU_DEP_1)
	v_and_b32_e32 v26, 0x7f, v24
	v_cmpx_ne_u32_e32 0x7f, v26
	s_cbranch_execz .LBB257_31
; %bb.28:                               ;   in Loop: Header=BB257_12 Depth=1
	v_dual_lshrrev_b32 v25, 3, v26 :: v_dual_bitop2_b32 v22, 7, v24 bitop3:0x40
	s_mov_b32 s44, exec_lo
	v_cmpx_gt_u32_e32 8, v26
; %bb.29:                               ;   in Loop: Header=BB257_12 Depth=1
	s_delay_alu instid0(VALU_DEP_2) | instskip(NEXT) | instid1(VALU_DEP_1)
	v_clz_i32_u32_e32 v22, v22
	v_min_u32_e32 v22, 32, v22
	s_delay_alu instid0(VALU_DEP_1) | instskip(NEXT) | instid1(VALU_DEP_1)
	v_subrev_nc_u32_e32 v25, 28, v22
	v_lshlrev_b64_e32 v[26:27], v25, v[4:5]
	v_sub_nc_u32_e32 v25, 29, v22
	s_delay_alu instid0(VALU_DEP_2)
	v_and_b32_e32 v22, 7, v26
; %bb.30:                               ;   in Loop: Header=BB257_12 Depth=1
	s_or_b32 exec_lo, exec_lo, s44
	s_delay_alu instid0(VALU_DEP_1) | instskip(NEXT) | instid1(VALU_DEP_3)
	v_dual_lshlrev_b32 v4, 8, v24 :: v_dual_lshlrev_b32 v22, 23, v22
	v_lshl_add_u32 v24, v25, 10, 0x2000
	s_delay_alu instid0(VALU_DEP_1) | instskip(NEXT) | instid1(VALU_DEP_1)
	v_and_or_b32 v4, 0x8000, v4, v24
	v_lshl_or_b32 v22, v4, 16, v22
.LBB257_31:                             ;   in Loop: Header=BB257_12 Depth=1
	s_or_b32 exec_lo, exec_lo, s43
.LBB257_32:                             ;   in Loop: Header=BB257_12 Depth=1
	s_delay_alu instid0(SALU_CYCLE_1)
	s_or_b32 exec_lo, exec_lo, s42
.LBB257_33:                             ;   in Loop: Header=BB257_12 Depth=1
	s_delay_alu instid0(SALU_CYCLE_1) | instskip(SKIP_3) | instid1(VALU_DEP_2)
	s_or_b32 exec_lo, exec_lo, s41
	v_dual_lshrrev_b32 v4, 16, v14 :: v_dual_mov_b32 v24, 0
	v_mov_b32_e32 v25, 0
	s_mov_b32 s41, exec_lo
	v_and_b32_e32 v26, 0xff, v4
	s_delay_alu instid0(VALU_DEP_1)
	v_cmpx_ne_u16_e32 0, v26
	s_cbranch_execz .LBB257_41
; %bb.34:                               ;   in Loop: Header=BB257_12 Depth=1
	v_mov_b32_e32 v25, 0x8000
	s_mov_b32 s42, exec_lo
	v_cmpx_ne_u16_e32 0x80, v26
	s_cbranch_execz .LBB257_40
; %bb.35:                               ;   in Loop: Header=BB257_12 Depth=1
	v_bfe_u32 v27, v14, 16, 7
	v_mov_b32_e32 v25, 0x7c01
	s_mov_b32 s43, exec_lo
	s_delay_alu instid0(VALU_DEP_2)
	v_cmpx_ne_u32_e32 0x7f, v27
	s_cbranch_execz .LBB257_39
; %bb.36:                               ;   in Loop: Header=BB257_12 Depth=1
	v_dual_lshrrev_b32 v26, 3, v27 :: v_dual_bitop2_b32 v25, 7, v4 bitop3:0x40
	s_mov_b32 s44, exec_lo
	v_cmpx_gt_u32_e32 8, v27
; %bb.37:                               ;   in Loop: Header=BB257_12 Depth=1
	s_delay_alu instid0(VALU_DEP_2) | instskip(NEXT) | instid1(VALU_DEP_1)
	v_clz_i32_u32_e32 v25, v25
	v_min_u32_e32 v25, 32, v25
	s_delay_alu instid0(VALU_DEP_1) | instskip(NEXT) | instid1(VALU_DEP_1)
	v_subrev_nc_u32_e32 v26, 28, v25
	v_lshlrev_b64_e32 v[28:29], v26, v[4:5]
	s_delay_alu instid0(VALU_DEP_1)
	v_dual_sub_nc_u32 v26, 29, v25 :: v_dual_bitop2_b32 v25, 7, v28 bitop3:0x40
; %bb.38:                               ;   in Loop: Header=BB257_12 Depth=1
	s_or_b32 exec_lo, exec_lo, s44
	s_delay_alu instid0(VALU_DEP_1) | instskip(NEXT) | instid1(VALU_DEP_2)
	v_dual_lshlrev_b32 v4, 8, v4 :: v_dual_lshlrev_b32 v25, 7, v25
	v_lshl_add_u32 v26, v26, 10, 0x2000
	s_delay_alu instid0(VALU_DEP_2) | instskip(NEXT) | instid1(VALU_DEP_2)
	v_and_b32_e32 v4, 0x8000, v4
	v_and_b32_e32 v26, 0xfc00, v26
	s_delay_alu instid0(VALU_DEP_1)
	v_or3_b32 v25, v4, v26, v25
.LBB257_39:                             ;   in Loop: Header=BB257_12 Depth=1
	s_or_b32 exec_lo, exec_lo, s43
.LBB257_40:                             ;   in Loop: Header=BB257_12 Depth=1
	s_delay_alu instid0(SALU_CYCLE_1)
	s_or_b32 exec_lo, exec_lo, s42
.LBB257_41:                             ;   in Loop: Header=BB257_12 Depth=1
	s_delay_alu instid0(SALU_CYCLE_1) | instskip(NEXT) | instid1(SALU_CYCLE_1)
	s_or_b32 exec_lo, exec_lo, s41
	s_mov_b32 s41, exec_lo
	v_cmpx_lt_u32_e32 0xffffff, v14
	s_cbranch_execz .LBB257_49
; %bb.42:                               ;   in Loop: Header=BB257_12 Depth=1
	v_lshrrev_b32_e32 v4, 24, v14
	v_bfrev_b32_e32 v24, 1
	s_mov_b32 s42, exec_lo
	s_delay_alu instid0(VALU_DEP_2)
	v_cmpx_ne_u32_e32 0x80, v4
	s_cbranch_execz .LBB257_48
; %bb.43:                               ;   in Loop: Header=BB257_12 Depth=1
	v_and_b32_e32 v26, 0x7f, v4
	v_mov_b32_e32 v24, 0x7c010000
	s_mov_b32 s43, exec_lo
	s_delay_alu instid0(VALU_DEP_2)
	v_cmpx_ne_u32_e32 0x7f, v26
	s_cbranch_execz .LBB257_47
; %bb.44:                               ;   in Loop: Header=BB257_12 Depth=1
	v_dual_lshrrev_b32 v24, 3, v26 :: v_dual_bitop2_b32 v14, 7, v4 bitop3:0x40
	s_mov_b32 s44, exec_lo
	v_cmpx_gt_u32_e32 8, v26
; %bb.45:                               ;   in Loop: Header=BB257_12 Depth=1
	s_delay_alu instid0(VALU_DEP_2) | instskip(NEXT) | instid1(VALU_DEP_1)
	v_clz_i32_u32_e32 v14, v14
	v_min_u32_e32 v14, 32, v14
	s_delay_alu instid0(VALU_DEP_1) | instskip(NEXT) | instid1(VALU_DEP_1)
	v_subrev_nc_u32_e32 v24, 28, v14
	v_lshlrev_b64_e32 v[26:27], v24, v[4:5]
	v_sub_nc_u32_e32 v24, 29, v14
	s_delay_alu instid0(VALU_DEP_2)
	v_and_b32_e32 v14, 7, v26
; %bb.46:                               ;   in Loop: Header=BB257_12 Depth=1
	s_or_b32 exec_lo, exec_lo, s44
	s_delay_alu instid0(VALU_DEP_1) | instskip(NEXT) | instid1(VALU_DEP_3)
	v_dual_lshlrev_b32 v4, 8, v4 :: v_dual_lshlrev_b32 v14, 23, v14
	v_lshl_add_u32 v24, v24, 10, 0x2000
	s_delay_alu instid0(VALU_DEP_1) | instskip(NEXT) | instid1(VALU_DEP_1)
	v_and_or_b32 v4, 0x8000, v4, v24
	v_lshl_or_b32 v24, v4, 16, v14
.LBB257_47:                             ;   in Loop: Header=BB257_12 Depth=1
	s_or_b32 exec_lo, exec_lo, s43
.LBB257_48:                             ;   in Loop: Header=BB257_12 Depth=1
	s_delay_alu instid0(SALU_CYCLE_1)
	s_or_b32 exec_lo, exec_lo, s42
.LBB257_49:                             ;   in Loop: Header=BB257_12 Depth=1
	s_delay_alu instid0(SALU_CYCLE_1)
	s_or_b32 exec_lo, exec_lo, s41
	global_load_b32 v14, v[12:13], off offset:8
	v_dual_mov_b32 v26, 0 :: v_dual_mov_b32 v27, 0
	s_mov_b32 s41, exec_lo
	s_wait_loadcnt 0x0
	v_and_b32_e32 v4, 0xff, v14
	s_delay_alu instid0(VALU_DEP_1)
	v_cmpx_ne_u16_e32 0, v4
	s_cbranch_execz .LBB257_57
; %bb.50:                               ;   in Loop: Header=BB257_12 Depth=1
	v_mov_b32_e32 v27, 0x8000
	s_mov_b32 s42, exec_lo
	v_cmpx_ne_u16_e32 0x80, v4
	s_cbranch_execz .LBB257_56
; %bb.51:                               ;   in Loop: Header=BB257_12 Depth=1
	v_and_b32_e32 v28, 0x7f, v14
	v_mov_b32_e32 v27, 0x7c01
	s_mov_b32 s43, exec_lo
	s_delay_alu instid0(VALU_DEP_2)
	v_cmpx_ne_u32_e32 0x7f, v28
	s_cbranch_execz .LBB257_55
; %bb.52:                               ;   in Loop: Header=BB257_12 Depth=1
	v_dual_lshrrev_b32 v27, 3, v28 :: v_dual_bitop2_b32 v4, 7, v14 bitop3:0x40
	s_mov_b32 s44, exec_lo
	v_cmpx_gt_u32_e32 8, v28
; %bb.53:                               ;   in Loop: Header=BB257_12 Depth=1
	s_delay_alu instid0(VALU_DEP_2) | instskip(NEXT) | instid1(VALU_DEP_1)
	v_clz_i32_u32_e32 v4, v4
	v_min_u32_e32 v4, 32, v4
	s_delay_alu instid0(VALU_DEP_1) | instskip(NEXT) | instid1(VALU_DEP_1)
	v_subrev_nc_u32_e32 v27, 28, v4
	v_lshlrev_b64_e32 v[28:29], v27, v[14:15]
	v_sub_nc_u32_e32 v27, 29, v4
	s_delay_alu instid0(VALU_DEP_2)
	v_and_b32_e32 v4, 7, v28
; %bb.54:                               ;   in Loop: Header=BB257_12 Depth=1
	s_or_b32 exec_lo, exec_lo, s44
	s_delay_alu instid0(VALU_DEP_1) | instskip(NEXT) | instid1(VALU_DEP_3)
	v_dual_lshlrev_b32 v28, 8, v14 :: v_dual_lshlrev_b32 v4, 7, v4
	v_lshl_add_u32 v27, v27, 10, 0x2000
	s_delay_alu instid0(VALU_DEP_2) | instskip(NEXT) | instid1(VALU_DEP_2)
	v_and_b32_e32 v28, 0x8000, v28
	v_and_b32_e32 v27, 0xfc00, v27
	s_delay_alu instid0(VALU_DEP_1)
	v_or3_b32 v27, v28, v27, v4
.LBB257_55:                             ;   in Loop: Header=BB257_12 Depth=1
	s_or_b32 exec_lo, exec_lo, s43
.LBB257_56:                             ;   in Loop: Header=BB257_12 Depth=1
	s_delay_alu instid0(SALU_CYCLE_1)
	s_or_b32 exec_lo, exec_lo, s42
.LBB257_57:                             ;   in Loop: Header=BB257_12 Depth=1
	s_delay_alu instid0(SALU_CYCLE_1) | instskip(SKIP_2) | instid1(VALU_DEP_1)
	s_or_b32 exec_lo, exec_lo, s41
	v_lshrrev_b16 v4, 8, v14
	s_mov_b32 s41, exec_lo
	v_cmpx_ne_u16_e32 0, v4
	s_cbranch_execz .LBB257_65
; %bb.58:                               ;   in Loop: Header=BB257_12 Depth=1
	v_bfrev_b32_e32 v26, 1
	s_mov_b32 s42, exec_lo
	v_cmpx_ne_u16_e32 0x80, v4
	s_cbranch_execz .LBB257_64
; %bb.59:                               ;   in Loop: Header=BB257_12 Depth=1
	v_and_b32_e32 v28, 0xffff, v4
	v_mov_b32_e32 v26, 0x7c010000
	s_mov_b32 s43, exec_lo
	s_delay_alu instid0(VALU_DEP_2) | instskip(NEXT) | instid1(VALU_DEP_1)
	v_and_b32_e32 v30, 0x7f, v28
	v_cmpx_ne_u32_e32 0x7f, v30
	s_cbranch_execz .LBB257_63
; %bb.60:                               ;   in Loop: Header=BB257_12 Depth=1
	v_dual_lshrrev_b32 v29, 3, v30 :: v_dual_bitop2_b32 v26, 7, v28 bitop3:0x40
	s_mov_b32 s44, exec_lo
	v_cmpx_gt_u32_e32 8, v30
; %bb.61:                               ;   in Loop: Header=BB257_12 Depth=1
	s_delay_alu instid0(VALU_DEP_2) | instskip(NEXT) | instid1(VALU_DEP_1)
	v_clz_i32_u32_e32 v26, v26
	v_min_u32_e32 v26, 32, v26
	s_delay_alu instid0(VALU_DEP_1) | instskip(NEXT) | instid1(VALU_DEP_1)
	v_subrev_nc_u32_e32 v29, 28, v26
	v_lshlrev_b64_e32 v[30:31], v29, v[4:5]
	v_sub_nc_u32_e32 v29, 29, v26
	s_delay_alu instid0(VALU_DEP_2)
	v_and_b32_e32 v26, 7, v30
; %bb.62:                               ;   in Loop: Header=BB257_12 Depth=1
	s_or_b32 exec_lo, exec_lo, s44
	s_delay_alu instid0(VALU_DEP_1) | instskip(NEXT) | instid1(VALU_DEP_3)
	v_dual_lshlrev_b32 v4, 8, v28 :: v_dual_lshlrev_b32 v26, 23, v26
	v_lshl_add_u32 v28, v29, 10, 0x2000
	s_delay_alu instid0(VALU_DEP_1) | instskip(NEXT) | instid1(VALU_DEP_1)
	v_and_or_b32 v4, 0x8000, v4, v28
	v_lshl_or_b32 v26, v4, 16, v26
.LBB257_63:                             ;   in Loop: Header=BB257_12 Depth=1
	s_or_b32 exec_lo, exec_lo, s43
.LBB257_64:                             ;   in Loop: Header=BB257_12 Depth=1
	s_delay_alu instid0(SALU_CYCLE_1)
	s_or_b32 exec_lo, exec_lo, s42
.LBB257_65:                             ;   in Loop: Header=BB257_12 Depth=1
	s_delay_alu instid0(SALU_CYCLE_1) | instskip(SKIP_3) | instid1(VALU_DEP_2)
	s_or_b32 exec_lo, exec_lo, s41
	v_dual_lshrrev_b32 v4, 16, v14 :: v_dual_mov_b32 v28, 0
	v_mov_b32_e32 v29, 0
	s_mov_b32 s41, exec_lo
	v_and_b32_e32 v30, 0xff, v4
	s_delay_alu instid0(VALU_DEP_1)
	v_cmpx_ne_u16_e32 0, v30
	s_cbranch_execz .LBB257_73
; %bb.66:                               ;   in Loop: Header=BB257_12 Depth=1
	v_mov_b32_e32 v29, 0x8000
	s_mov_b32 s42, exec_lo
	v_cmpx_ne_u16_e32 0x80, v30
	s_cbranch_execz .LBB257_72
; %bb.67:                               ;   in Loop: Header=BB257_12 Depth=1
	v_bfe_u32 v31, v14, 16, 7
	v_mov_b32_e32 v29, 0x7c01
	s_mov_b32 s43, exec_lo
	s_delay_alu instid0(VALU_DEP_2)
	v_cmpx_ne_u32_e32 0x7f, v31
	s_cbranch_execz .LBB257_71
; %bb.68:                               ;   in Loop: Header=BB257_12 Depth=1
	v_dual_lshrrev_b32 v30, 3, v31 :: v_dual_bitop2_b32 v29, 7, v4 bitop3:0x40
	s_mov_b32 s44, exec_lo
	v_cmpx_gt_u32_e32 8, v31
; %bb.69:                               ;   in Loop: Header=BB257_12 Depth=1
	s_delay_alu instid0(VALU_DEP_2) | instskip(NEXT) | instid1(VALU_DEP_1)
	v_clz_i32_u32_e32 v29, v29
	v_min_u32_e32 v29, 32, v29
	s_delay_alu instid0(VALU_DEP_1) | instskip(NEXT) | instid1(VALU_DEP_1)
	v_subrev_nc_u32_e32 v30, 28, v29
	v_lshlrev_b64_e32 v[36:37], v30, v[4:5]
	s_delay_alu instid0(VALU_DEP_1)
	v_dual_sub_nc_u32 v30, 29, v29 :: v_dual_bitop2_b32 v29, 7, v36 bitop3:0x40
; %bb.70:                               ;   in Loop: Header=BB257_12 Depth=1
	s_or_b32 exec_lo, exec_lo, s44
	s_delay_alu instid0(VALU_DEP_1) | instskip(NEXT) | instid1(VALU_DEP_2)
	v_dual_lshlrev_b32 v4, 8, v4 :: v_dual_lshlrev_b32 v29, 7, v29
	v_lshl_add_u32 v30, v30, 10, 0x2000
	s_delay_alu instid0(VALU_DEP_2) | instskip(NEXT) | instid1(VALU_DEP_2)
	v_and_b32_e32 v4, 0x8000, v4
	v_and_b32_e32 v30, 0xfc00, v30
	s_delay_alu instid0(VALU_DEP_1)
	v_or3_b32 v29, v4, v30, v29
.LBB257_71:                             ;   in Loop: Header=BB257_12 Depth=1
	s_or_b32 exec_lo, exec_lo, s43
.LBB257_72:                             ;   in Loop: Header=BB257_12 Depth=1
	s_delay_alu instid0(SALU_CYCLE_1)
	s_or_b32 exec_lo, exec_lo, s42
.LBB257_73:                             ;   in Loop: Header=BB257_12 Depth=1
	s_delay_alu instid0(SALU_CYCLE_1) | instskip(NEXT) | instid1(SALU_CYCLE_1)
	s_or_b32 exec_lo, exec_lo, s41
	s_mov_b32 s41, exec_lo
	v_cmpx_lt_u32_e32 0xffffff, v14
	s_cbranch_execz .LBB257_81
; %bb.74:                               ;   in Loop: Header=BB257_12 Depth=1
	v_lshrrev_b32_e32 v4, 24, v14
	v_bfrev_b32_e32 v28, 1
	s_mov_b32 s42, exec_lo
	s_delay_alu instid0(VALU_DEP_2)
	v_cmpx_ne_u32_e32 0x80, v4
	s_cbranch_execz .LBB257_80
; %bb.75:                               ;   in Loop: Header=BB257_12 Depth=1
	v_and_b32_e32 v30, 0x7f, v4
	v_mov_b32_e32 v28, 0x7c010000
	s_mov_b32 s43, exec_lo
	s_delay_alu instid0(VALU_DEP_2)
	v_cmpx_ne_u32_e32 0x7f, v30
	s_cbranch_execz .LBB257_79
; %bb.76:                               ;   in Loop: Header=BB257_12 Depth=1
	v_dual_lshrrev_b32 v28, 3, v30 :: v_dual_bitop2_b32 v14, 7, v4 bitop3:0x40
	s_mov_b32 s44, exec_lo
	v_cmpx_gt_u32_e32 8, v30
; %bb.77:                               ;   in Loop: Header=BB257_12 Depth=1
	s_delay_alu instid0(VALU_DEP_2) | instskip(NEXT) | instid1(VALU_DEP_1)
	v_clz_i32_u32_e32 v14, v14
	v_min_u32_e32 v14, 32, v14
	s_delay_alu instid0(VALU_DEP_1) | instskip(NEXT) | instid1(VALU_DEP_1)
	v_subrev_nc_u32_e32 v28, 28, v14
	v_lshlrev_b64_e32 v[30:31], v28, v[4:5]
	v_sub_nc_u32_e32 v28, 29, v14
	s_delay_alu instid0(VALU_DEP_2)
	v_and_b32_e32 v14, 7, v30
; %bb.78:                               ;   in Loop: Header=BB257_12 Depth=1
	s_or_b32 exec_lo, exec_lo, s44
	s_delay_alu instid0(VALU_DEP_1) | instskip(NEXT) | instid1(VALU_DEP_3)
	v_dual_lshlrev_b32 v4, 8, v4 :: v_dual_lshlrev_b32 v14, 23, v14
	v_lshl_add_u32 v28, v28, 10, 0x2000
	s_delay_alu instid0(VALU_DEP_1) | instskip(NEXT) | instid1(VALU_DEP_1)
	v_and_or_b32 v4, 0x8000, v4, v28
	v_lshl_or_b32 v28, v4, 16, v14
.LBB257_79:                             ;   in Loop: Header=BB257_12 Depth=1
	s_or_b32 exec_lo, exec_lo, s43
.LBB257_80:                             ;   in Loop: Header=BB257_12 Depth=1
	s_delay_alu instid0(SALU_CYCLE_1)
	s_or_b32 exec_lo, exec_lo, s42
.LBB257_81:                             ;   in Loop: Header=BB257_12 Depth=1
	s_delay_alu instid0(SALU_CYCLE_1)
	s_or_b32 exec_lo, exec_lo, s41
	global_load_b32 v14, v[12:13], off offset:256
	v_dual_mov_b32 v30, 0 :: v_dual_mov_b32 v31, 0
	s_mov_b32 s41, exec_lo
	s_wait_loadcnt 0x0
	v_and_b32_e32 v4, 0xff, v14
	s_delay_alu instid0(VALU_DEP_1)
	v_cmpx_ne_u16_e32 0, v4
	s_cbranch_execz .LBB257_89
; %bb.82:                               ;   in Loop: Header=BB257_12 Depth=1
	v_mov_b32_e32 v31, 0x8000
	s_mov_b32 s42, exec_lo
	v_cmpx_ne_u16_e32 0x80, v4
	s_cbranch_execz .LBB257_88
; %bb.83:                               ;   in Loop: Header=BB257_12 Depth=1
	v_and_b32_e32 v32, 0x7f, v14
	v_mov_b32_e32 v31, 0x7c01
	s_mov_b32 s43, exec_lo
	s_delay_alu instid0(VALU_DEP_2)
	v_cmpx_ne_u32_e32 0x7f, v32
	s_cbranch_execz .LBB257_87
; %bb.84:                               ;   in Loop: Header=BB257_12 Depth=1
	v_dual_lshrrev_b32 v31, 3, v32 :: v_dual_bitop2_b32 v4, 7, v14 bitop3:0x40
	s_mov_b32 s44, exec_lo
	v_cmpx_gt_u32_e32 8, v32
; %bb.85:                               ;   in Loop: Header=BB257_12 Depth=1
	s_delay_alu instid0(VALU_DEP_2) | instskip(NEXT) | instid1(VALU_DEP_1)
	v_clz_i32_u32_e32 v4, v4
	v_min_u32_e32 v4, 32, v4
	s_delay_alu instid0(VALU_DEP_1) | instskip(NEXT) | instid1(VALU_DEP_1)
	v_subrev_nc_u32_e32 v31, 28, v4
	v_lshlrev_b64_e32 v[36:37], v31, v[14:15]
	v_sub_nc_u32_e32 v31, 29, v4
	s_delay_alu instid0(VALU_DEP_2)
	v_and_b32_e32 v4, 7, v36
; %bb.86:                               ;   in Loop: Header=BB257_12 Depth=1
	s_or_b32 exec_lo, exec_lo, s44
	s_delay_alu instid0(VALU_DEP_1) | instskip(NEXT) | instid1(VALU_DEP_3)
	v_dual_lshlrev_b32 v32, 8, v14 :: v_dual_lshlrev_b32 v4, 7, v4
	v_lshl_add_u32 v31, v31, 10, 0x2000
	s_delay_alu instid0(VALU_DEP_2) | instskip(NEXT) | instid1(VALU_DEP_2)
	v_and_b32_e32 v32, 0x8000, v32
	v_and_b32_e32 v31, 0xfc00, v31
	s_delay_alu instid0(VALU_DEP_1)
	v_or3_b32 v31, v32, v31, v4
.LBB257_87:                             ;   in Loop: Header=BB257_12 Depth=1
	s_or_b32 exec_lo, exec_lo, s43
.LBB257_88:                             ;   in Loop: Header=BB257_12 Depth=1
	s_delay_alu instid0(SALU_CYCLE_1)
	s_or_b32 exec_lo, exec_lo, s42
.LBB257_89:                             ;   in Loop: Header=BB257_12 Depth=1
	s_delay_alu instid0(SALU_CYCLE_1) | instskip(SKIP_2) | instid1(VALU_DEP_1)
	s_or_b32 exec_lo, exec_lo, s41
	v_lshrrev_b16 v4, 8, v14
	s_mov_b32 s41, exec_lo
	v_cmpx_ne_u16_e32 0, v4
	s_cbranch_execz .LBB257_97
; %bb.90:                               ;   in Loop: Header=BB257_12 Depth=1
	v_bfrev_b32_e32 v30, 1
	s_mov_b32 s42, exec_lo
	v_cmpx_ne_u16_e32 0x80, v4
	s_cbranch_execz .LBB257_96
; %bb.91:                               ;   in Loop: Header=BB257_12 Depth=1
	v_and_b32_e32 v32, 0xffff, v4
	v_mov_b32_e32 v30, 0x7c010000
	s_mov_b32 s43, exec_lo
	s_delay_alu instid0(VALU_DEP_2) | instskip(NEXT) | instid1(VALU_DEP_1)
	v_and_b32_e32 v37, 0x7f, v32
	v_cmpx_ne_u32_e32 0x7f, v37
	s_cbranch_execz .LBB257_95
; %bb.92:                               ;   in Loop: Header=BB257_12 Depth=1
	v_dual_lshrrev_b32 v36, 3, v37 :: v_dual_bitop2_b32 v30, 7, v32 bitop3:0x40
	s_mov_b32 s44, exec_lo
	v_cmpx_gt_u32_e32 8, v37
; %bb.93:                               ;   in Loop: Header=BB257_12 Depth=1
	s_delay_alu instid0(VALU_DEP_2) | instskip(NEXT) | instid1(VALU_DEP_1)
	v_clz_i32_u32_e32 v30, v30
	v_min_u32_e32 v30, 32, v30
	s_delay_alu instid0(VALU_DEP_1) | instskip(NEXT) | instid1(VALU_DEP_1)
	v_subrev_nc_u32_e32 v36, 28, v30
	v_lshlrev_b64_e32 v[38:39], v36, v[4:5]
	v_sub_nc_u32_e32 v36, 29, v30
	s_delay_alu instid0(VALU_DEP_2)
	v_and_b32_e32 v30, 7, v38
; %bb.94:                               ;   in Loop: Header=BB257_12 Depth=1
	s_or_b32 exec_lo, exec_lo, s44
	s_delay_alu instid0(VALU_DEP_1) | instskip(NEXT) | instid1(VALU_DEP_3)
	v_dual_lshlrev_b32 v4, 8, v32 :: v_dual_lshlrev_b32 v30, 23, v30
	v_lshl_add_u32 v32, v36, 10, 0x2000
	s_delay_alu instid0(VALU_DEP_1) | instskip(NEXT) | instid1(VALU_DEP_1)
	v_and_or_b32 v4, 0x8000, v4, v32
	v_lshl_or_b32 v30, v4, 16, v30
.LBB257_95:                             ;   in Loop: Header=BB257_12 Depth=1
	s_or_b32 exec_lo, exec_lo, s43
.LBB257_96:                             ;   in Loop: Header=BB257_12 Depth=1
	s_delay_alu instid0(SALU_CYCLE_1)
	s_or_b32 exec_lo, exec_lo, s42
.LBB257_97:                             ;   in Loop: Header=BB257_12 Depth=1
	s_delay_alu instid0(SALU_CYCLE_1) | instskip(SKIP_3) | instid1(VALU_DEP_2)
	s_or_b32 exec_lo, exec_lo, s41
	v_dual_lshrrev_b32 v4, 16, v14 :: v_dual_mov_b32 v32, 0
	v_mov_b32_e32 v36, 0
	s_mov_b32 s41, exec_lo
	v_and_b32_e32 v37, 0xff, v4
	s_delay_alu instid0(VALU_DEP_1)
	v_cmpx_ne_u16_e32 0, v37
	s_cbranch_execz .LBB257_105
; %bb.98:                               ;   in Loop: Header=BB257_12 Depth=1
	v_mov_b32_e32 v36, 0x8000
	s_mov_b32 s42, exec_lo
	v_cmpx_ne_u16_e32 0x80, v37
	s_cbranch_execz .LBB257_104
; %bb.99:                               ;   in Loop: Header=BB257_12 Depth=1
	v_bfe_u32 v38, v14, 16, 7
	v_mov_b32_e32 v36, 0x7c01
	s_mov_b32 s43, exec_lo
	s_delay_alu instid0(VALU_DEP_2)
	v_cmpx_ne_u32_e32 0x7f, v38
	s_cbranch_execz .LBB257_103
; %bb.100:                              ;   in Loop: Header=BB257_12 Depth=1
	v_dual_lshrrev_b32 v37, 3, v38 :: v_dual_bitop2_b32 v36, 7, v4 bitop3:0x40
	s_mov_b32 s44, exec_lo
	v_cmpx_gt_u32_e32 8, v38
; %bb.101:                              ;   in Loop: Header=BB257_12 Depth=1
	s_delay_alu instid0(VALU_DEP_2) | instskip(NEXT) | instid1(VALU_DEP_1)
	v_clz_i32_u32_e32 v36, v36
	v_min_u32_e32 v38, 32, v36
	s_delay_alu instid0(VALU_DEP_1) | instskip(NEXT) | instid1(VALU_DEP_1)
	v_subrev_nc_u32_e32 v36, 28, v38
	v_lshlrev_b64_e32 v[36:37], v36, v[4:5]
	s_delay_alu instid0(VALU_DEP_1)
	v_dual_sub_nc_u32 v37, 29, v38 :: v_dual_bitop2_b32 v36, 7, v36 bitop3:0x40
; %bb.102:                              ;   in Loop: Header=BB257_12 Depth=1
	s_or_b32 exec_lo, exec_lo, s44
	v_lshlrev_b32_e32 v4, 8, v4
	s_delay_alu instid0(VALU_DEP_2) | instskip(NEXT) | instid1(VALU_DEP_3)
	v_lshl_add_u32 v37, v37, 10, 0x2000
	v_lshlrev_b32_e32 v36, 7, v36
	s_delay_alu instid0(VALU_DEP_3) | instskip(NEXT) | instid1(VALU_DEP_3)
	v_and_b32_e32 v4, 0x8000, v4
	v_and_b32_e32 v37, 0xfc00, v37
	s_delay_alu instid0(VALU_DEP_1)
	v_or3_b32 v36, v4, v37, v36
.LBB257_103:                            ;   in Loop: Header=BB257_12 Depth=1
	s_or_b32 exec_lo, exec_lo, s43
.LBB257_104:                            ;   in Loop: Header=BB257_12 Depth=1
	s_delay_alu instid0(SALU_CYCLE_1)
	s_or_b32 exec_lo, exec_lo, s42
.LBB257_105:                            ;   in Loop: Header=BB257_12 Depth=1
	s_delay_alu instid0(SALU_CYCLE_1) | instskip(NEXT) | instid1(SALU_CYCLE_1)
	s_or_b32 exec_lo, exec_lo, s41
	s_mov_b32 s41, exec_lo
	v_cmpx_lt_u32_e32 0xffffff, v14
	s_cbranch_execz .LBB257_113
; %bb.106:                              ;   in Loop: Header=BB257_12 Depth=1
	v_lshrrev_b32_e32 v4, 24, v14
	v_bfrev_b32_e32 v32, 1
	s_mov_b32 s42, exec_lo
	s_delay_alu instid0(VALU_DEP_2)
	v_cmpx_ne_u32_e32 0x80, v4
	s_cbranch_execz .LBB257_112
; %bb.107:                              ;   in Loop: Header=BB257_12 Depth=1
	v_and_b32_e32 v37, 0x7f, v4
	v_mov_b32_e32 v32, 0x7c010000
	s_mov_b32 s43, exec_lo
	s_delay_alu instid0(VALU_DEP_2)
	v_cmpx_ne_u32_e32 0x7f, v37
	s_cbranch_execz .LBB257_111
; %bb.108:                              ;   in Loop: Header=BB257_12 Depth=1
	v_dual_lshrrev_b32 v32, 3, v37 :: v_dual_bitop2_b32 v14, 7, v4 bitop3:0x40
	s_mov_b32 s44, exec_lo
	v_cmpx_gt_u32_e32 8, v37
; %bb.109:                              ;   in Loop: Header=BB257_12 Depth=1
	s_delay_alu instid0(VALU_DEP_2) | instskip(NEXT) | instid1(VALU_DEP_1)
	v_clz_i32_u32_e32 v14, v14
	v_min_u32_e32 v14, 32, v14
	s_delay_alu instid0(VALU_DEP_1) | instskip(NEXT) | instid1(VALU_DEP_1)
	v_subrev_nc_u32_e32 v32, 28, v14
	v_lshlrev_b64_e32 v[38:39], v32, v[4:5]
	v_sub_nc_u32_e32 v32, 29, v14
	s_delay_alu instid0(VALU_DEP_2)
	v_and_b32_e32 v14, 7, v38
; %bb.110:                              ;   in Loop: Header=BB257_12 Depth=1
	s_or_b32 exec_lo, exec_lo, s44
	s_delay_alu instid0(VALU_DEP_1) | instskip(NEXT) | instid1(VALU_DEP_3)
	v_dual_lshlrev_b32 v4, 8, v4 :: v_dual_lshlrev_b32 v14, 23, v14
	v_lshl_add_u32 v32, v32, 10, 0x2000
	s_delay_alu instid0(VALU_DEP_1) | instskip(NEXT) | instid1(VALU_DEP_1)
	v_and_or_b32 v4, 0x8000, v4, v32
	v_lshl_or_b32 v32, v4, 16, v14
.LBB257_111:                            ;   in Loop: Header=BB257_12 Depth=1
	s_or_b32 exec_lo, exec_lo, s43
.LBB257_112:                            ;   in Loop: Header=BB257_12 Depth=1
	s_delay_alu instid0(SALU_CYCLE_1)
	s_or_b32 exec_lo, exec_lo, s42
.LBB257_113:                            ;   in Loop: Header=BB257_12 Depth=1
	s_delay_alu instid0(SALU_CYCLE_1)
	s_or_b32 exec_lo, exec_lo, s41
	global_load_b32 v14, v[12:13], off offset:264
	v_dual_mov_b32 v37, 0 :: v_dual_mov_b32 v38, 0
	s_mov_b32 s41, exec_lo
	s_wait_loadcnt 0x0
	v_and_b32_e32 v4, 0xff, v14
	s_delay_alu instid0(VALU_DEP_1)
	v_cmpx_ne_u16_e32 0, v4
	s_cbranch_execz .LBB257_121
; %bb.114:                              ;   in Loop: Header=BB257_12 Depth=1
	v_mov_b32_e32 v38, 0x8000
	s_mov_b32 s42, exec_lo
	v_cmpx_ne_u16_e32 0x80, v4
	s_cbranch_execz .LBB257_120
; %bb.115:                              ;   in Loop: Header=BB257_12 Depth=1
	v_and_b32_e32 v39, 0x7f, v14
	v_mov_b32_e32 v38, 0x7c01
	s_mov_b32 s43, exec_lo
	s_delay_alu instid0(VALU_DEP_2)
	v_cmpx_ne_u32_e32 0x7f, v39
	s_cbranch_execz .LBB257_119
; %bb.116:                              ;   in Loop: Header=BB257_12 Depth=1
	v_dual_lshrrev_b32 v38, 3, v39 :: v_dual_bitop2_b32 v4, 7, v14 bitop3:0x40
	s_mov_b32 s44, exec_lo
	v_cmpx_gt_u32_e32 8, v39
; %bb.117:                              ;   in Loop: Header=BB257_12 Depth=1
	s_delay_alu instid0(VALU_DEP_2) | instskip(NEXT) | instid1(VALU_DEP_1)
	v_clz_i32_u32_e32 v4, v4
	v_min_u32_e32 v4, 32, v4
	s_delay_alu instid0(VALU_DEP_1) | instskip(NEXT) | instid1(VALU_DEP_1)
	v_subrev_nc_u32_e32 v38, 28, v4
	v_lshlrev_b64_e32 v[40:41], v38, v[14:15]
	v_sub_nc_u32_e32 v38, 29, v4
	s_delay_alu instid0(VALU_DEP_2)
	v_and_b32_e32 v4, 7, v40
; %bb.118:                              ;   in Loop: Header=BB257_12 Depth=1
	s_or_b32 exec_lo, exec_lo, s44
	s_delay_alu instid0(VALU_DEP_1) | instskip(NEXT) | instid1(VALU_DEP_3)
	v_dual_lshlrev_b32 v39, 8, v14 :: v_dual_lshlrev_b32 v4, 7, v4
	v_lshl_add_u32 v38, v38, 10, 0x2000
	s_delay_alu instid0(VALU_DEP_2) | instskip(NEXT) | instid1(VALU_DEP_2)
	v_and_b32_e32 v39, 0x8000, v39
	v_and_b32_e32 v38, 0xfc00, v38
	s_delay_alu instid0(VALU_DEP_1)
	v_or3_b32 v38, v39, v38, v4
.LBB257_119:                            ;   in Loop: Header=BB257_12 Depth=1
	s_or_b32 exec_lo, exec_lo, s43
.LBB257_120:                            ;   in Loop: Header=BB257_12 Depth=1
	s_delay_alu instid0(SALU_CYCLE_1)
	s_or_b32 exec_lo, exec_lo, s42
.LBB257_121:                            ;   in Loop: Header=BB257_12 Depth=1
	s_delay_alu instid0(SALU_CYCLE_1) | instskip(SKIP_2) | instid1(VALU_DEP_1)
	s_or_b32 exec_lo, exec_lo, s41
	v_lshrrev_b16 v4, 8, v14
	s_mov_b32 s41, exec_lo
	v_cmpx_ne_u16_e32 0, v4
	s_cbranch_execz .LBB257_129
; %bb.122:                              ;   in Loop: Header=BB257_12 Depth=1
	v_bfrev_b32_e32 v37, 1
	s_mov_b32 s42, exec_lo
	v_cmpx_ne_u16_e32 0x80, v4
	s_cbranch_execz .LBB257_128
; %bb.123:                              ;   in Loop: Header=BB257_12 Depth=1
	v_and_b32_e32 v39, 0xffff, v4
	v_mov_b32_e32 v37, 0x7c010000
	s_mov_b32 s43, exec_lo
	s_delay_alu instid0(VALU_DEP_2) | instskip(NEXT) | instid1(VALU_DEP_1)
	v_and_b32_e32 v41, 0x7f, v39
	v_cmpx_ne_u32_e32 0x7f, v41
	s_cbranch_execz .LBB257_127
; %bb.124:                              ;   in Loop: Header=BB257_12 Depth=1
	v_dual_lshrrev_b32 v40, 3, v41 :: v_dual_bitop2_b32 v37, 7, v39 bitop3:0x40
	s_mov_b32 s44, exec_lo
	v_cmpx_gt_u32_e32 8, v41
; %bb.125:                              ;   in Loop: Header=BB257_12 Depth=1
	s_delay_alu instid0(VALU_DEP_2) | instskip(NEXT) | instid1(VALU_DEP_1)
	v_clz_i32_u32_e32 v37, v37
	v_min_u32_e32 v37, 32, v37
	s_delay_alu instid0(VALU_DEP_1) | instskip(NEXT) | instid1(VALU_DEP_1)
	v_subrev_nc_u32_e32 v40, 28, v37
	v_lshlrev_b64_e32 v[42:43], v40, v[4:5]
	s_delay_alu instid0(VALU_DEP_1)
	v_dual_sub_nc_u32 v40, 29, v37 :: v_dual_bitop2_b32 v37, 7, v42 bitop3:0x40
; %bb.126:                              ;   in Loop: Header=BB257_12 Depth=1
	s_or_b32 exec_lo, exec_lo, s44
	s_delay_alu instid0(VALU_DEP_1) | instskip(NEXT) | instid1(VALU_DEP_2)
	v_dual_lshlrev_b32 v4, 8, v39 :: v_dual_lshlrev_b32 v37, 23, v37
	v_lshl_add_u32 v39, v40, 10, 0x2000
	s_delay_alu instid0(VALU_DEP_1) | instskip(NEXT) | instid1(VALU_DEP_1)
	v_and_or_b32 v4, 0x8000, v4, v39
	v_lshl_or_b32 v37, v4, 16, v37
.LBB257_127:                            ;   in Loop: Header=BB257_12 Depth=1
	s_or_b32 exec_lo, exec_lo, s43
.LBB257_128:                            ;   in Loop: Header=BB257_12 Depth=1
	s_delay_alu instid0(SALU_CYCLE_1)
	s_or_b32 exec_lo, exec_lo, s42
.LBB257_129:                            ;   in Loop: Header=BB257_12 Depth=1
	s_delay_alu instid0(SALU_CYCLE_1) | instskip(SKIP_3) | instid1(VALU_DEP_2)
	s_or_b32 exec_lo, exec_lo, s41
	v_dual_mov_b32 v39, 0 :: v_dual_lshrrev_b32 v4, 16, v14
	v_mov_b32_e32 v40, 0
	s_mov_b32 s41, exec_lo
	v_and_b32_e32 v41, 0xff, v4
	s_delay_alu instid0(VALU_DEP_1)
	v_cmpx_ne_u16_e32 0, v41
	s_cbranch_execz .LBB257_137
; %bb.130:                              ;   in Loop: Header=BB257_12 Depth=1
	v_mov_b32_e32 v40, 0x8000
	s_mov_b32 s42, exec_lo
	v_cmpx_ne_u16_e32 0x80, v41
	s_cbranch_execz .LBB257_136
; %bb.131:                              ;   in Loop: Header=BB257_12 Depth=1
	v_bfe_u32 v42, v14, 16, 7
	v_mov_b32_e32 v40, 0x7c01
	s_mov_b32 s43, exec_lo
	s_delay_alu instid0(VALU_DEP_2)
	v_cmpx_ne_u32_e32 0x7f, v42
	s_cbranch_execz .LBB257_135
; %bb.132:                              ;   in Loop: Header=BB257_12 Depth=1
	v_dual_lshrrev_b32 v41, 3, v42 :: v_dual_bitop2_b32 v40, 7, v4 bitop3:0x40
	s_mov_b32 s44, exec_lo
	v_cmpx_gt_u32_e32 8, v42
; %bb.133:                              ;   in Loop: Header=BB257_12 Depth=1
	s_delay_alu instid0(VALU_DEP_2) | instskip(NEXT) | instid1(VALU_DEP_1)
	v_clz_i32_u32_e32 v40, v40
	v_min_u32_e32 v42, 32, v40
	s_delay_alu instid0(VALU_DEP_1) | instskip(NEXT) | instid1(VALU_DEP_1)
	v_subrev_nc_u32_e32 v40, 28, v42
	v_lshlrev_b64_e32 v[40:41], v40, v[4:5]
	s_delay_alu instid0(VALU_DEP_1)
	v_dual_sub_nc_u32 v41, 29, v42 :: v_dual_bitop2_b32 v40, 7, v40 bitop3:0x40
; %bb.134:                              ;   in Loop: Header=BB257_12 Depth=1
	s_or_b32 exec_lo, exec_lo, s44
	v_lshlrev_b32_e32 v4, 8, v4
	s_delay_alu instid0(VALU_DEP_2) | instskip(NEXT) | instid1(VALU_DEP_3)
	v_lshl_add_u32 v41, v41, 10, 0x2000
	v_lshlrev_b32_e32 v40, 7, v40
	s_delay_alu instid0(VALU_DEP_3) | instskip(NEXT) | instid1(VALU_DEP_3)
	v_and_b32_e32 v4, 0x8000, v4
	v_and_b32_e32 v41, 0xfc00, v41
	s_delay_alu instid0(VALU_DEP_1)
	v_or3_b32 v40, v4, v41, v40
.LBB257_135:                            ;   in Loop: Header=BB257_12 Depth=1
	s_or_b32 exec_lo, exec_lo, s43
.LBB257_136:                            ;   in Loop: Header=BB257_12 Depth=1
	s_delay_alu instid0(SALU_CYCLE_1)
	s_or_b32 exec_lo, exec_lo, s42
.LBB257_137:                            ;   in Loop: Header=BB257_12 Depth=1
	s_delay_alu instid0(SALU_CYCLE_1) | instskip(NEXT) | instid1(SALU_CYCLE_1)
	s_or_b32 exec_lo, exec_lo, s41
	s_mov_b32 s41, exec_lo
	v_cmpx_lt_u32_e32 0xffffff, v14
	s_cbranch_execz .LBB257_145
; %bb.138:                              ;   in Loop: Header=BB257_12 Depth=1
	v_lshrrev_b32_e32 v4, 24, v14
	v_bfrev_b32_e32 v39, 1
	s_mov_b32 s42, exec_lo
	s_delay_alu instid0(VALU_DEP_2)
	v_cmpx_ne_u32_e32 0x80, v4
	s_cbranch_execz .LBB257_144
; %bb.139:                              ;   in Loop: Header=BB257_12 Depth=1
	v_and_b32_e32 v41, 0x7f, v4
	v_mov_b32_e32 v39, 0x7c010000
	s_mov_b32 s43, exec_lo
	s_delay_alu instid0(VALU_DEP_2)
	v_cmpx_ne_u32_e32 0x7f, v41
	s_cbranch_execz .LBB257_143
; %bb.140:                              ;   in Loop: Header=BB257_12 Depth=1
	v_dual_lshrrev_b32 v39, 3, v41 :: v_dual_bitop2_b32 v14, 7, v4 bitop3:0x40
	s_mov_b32 s44, exec_lo
	v_cmpx_gt_u32_e32 8, v41
; %bb.141:                              ;   in Loop: Header=BB257_12 Depth=1
	s_delay_alu instid0(VALU_DEP_2) | instskip(NEXT) | instid1(VALU_DEP_1)
	v_clz_i32_u32_e32 v14, v14
	v_min_u32_e32 v14, 32, v14
	s_delay_alu instid0(VALU_DEP_1) | instskip(NEXT) | instid1(VALU_DEP_1)
	v_subrev_nc_u32_e32 v39, 28, v14
	v_lshlrev_b64_e32 v[42:43], v39, v[4:5]
	v_sub_nc_u32_e32 v39, 29, v14
	s_delay_alu instid0(VALU_DEP_2)
	v_and_b32_e32 v14, 7, v42
; %bb.142:                              ;   in Loop: Header=BB257_12 Depth=1
	s_or_b32 exec_lo, exec_lo, s44
	s_delay_alu instid0(VALU_DEP_1) | instskip(NEXT) | instid1(VALU_DEP_3)
	v_dual_lshlrev_b32 v4, 8, v4 :: v_dual_lshlrev_b32 v14, 23, v14
	v_lshl_add_u32 v39, v39, 10, 0x2000
	s_delay_alu instid0(VALU_DEP_1) | instskip(NEXT) | instid1(VALU_DEP_1)
	v_and_or_b32 v4, 0x8000, v4, v39
	v_lshl_or_b32 v39, v4, 16, v14
.LBB257_143:                            ;   in Loop: Header=BB257_12 Depth=1
	s_or_b32 exec_lo, exec_lo, s43
.LBB257_144:                            ;   in Loop: Header=BB257_12 Depth=1
	s_delay_alu instid0(SALU_CYCLE_1)
	s_or_b32 exec_lo, exec_lo, s42
.LBB257_145:                            ;   in Loop: Header=BB257_12 Depth=1
	s_delay_alu instid0(SALU_CYCLE_1)
	s_or_b32 exec_lo, exec_lo, s41
	global_load_b32 v14, v[12:13], off offset:512
	v_dual_mov_b32 v41, 0 :: v_dual_mov_b32 v42, 0
	s_mov_b32 s41, exec_lo
	s_wait_loadcnt 0x0
	v_and_b32_e32 v4, 0xff, v14
	s_delay_alu instid0(VALU_DEP_1)
	v_cmpx_ne_u16_e32 0, v4
	s_cbranch_execz .LBB257_153
; %bb.146:                              ;   in Loop: Header=BB257_12 Depth=1
	v_mov_b32_e32 v42, 0x8000
	s_mov_b32 s42, exec_lo
	v_cmpx_ne_u16_e32 0x80, v4
	s_cbranch_execz .LBB257_152
; %bb.147:                              ;   in Loop: Header=BB257_12 Depth=1
	v_and_b32_e32 v43, 0x7f, v14
	v_mov_b32_e32 v42, 0x7c01
	s_mov_b32 s43, exec_lo
	s_delay_alu instid0(VALU_DEP_2)
	v_cmpx_ne_u32_e32 0x7f, v43
	s_cbranch_execz .LBB257_151
; %bb.148:                              ;   in Loop: Header=BB257_12 Depth=1
	v_dual_lshrrev_b32 v42, 3, v43 :: v_dual_bitop2_b32 v4, 7, v14 bitop3:0x40
	s_mov_b32 s44, exec_lo
	v_cmpx_gt_u32_e32 8, v43
; %bb.149:                              ;   in Loop: Header=BB257_12 Depth=1
	s_delay_alu instid0(VALU_DEP_2) | instskip(NEXT) | instid1(VALU_DEP_1)
	v_clz_i32_u32_e32 v4, v4
	v_min_u32_e32 v4, 32, v4
	s_delay_alu instid0(VALU_DEP_1) | instskip(NEXT) | instid1(VALU_DEP_1)
	v_subrev_nc_u32_e32 v42, 28, v4
	v_lshlrev_b64_e32 v[44:45], v42, v[14:15]
	v_sub_nc_u32_e32 v42, 29, v4
	s_delay_alu instid0(VALU_DEP_2)
	v_and_b32_e32 v4, 7, v44
; %bb.150:                              ;   in Loop: Header=BB257_12 Depth=1
	s_or_b32 exec_lo, exec_lo, s44
	s_delay_alu instid0(VALU_DEP_1) | instskip(NEXT) | instid1(VALU_DEP_3)
	v_dual_lshlrev_b32 v43, 8, v14 :: v_dual_lshlrev_b32 v4, 7, v4
	v_lshl_add_u32 v42, v42, 10, 0x2000
	s_delay_alu instid0(VALU_DEP_2) | instskip(NEXT) | instid1(VALU_DEP_2)
	v_and_b32_e32 v43, 0x8000, v43
	v_and_b32_e32 v42, 0xfc00, v42
	s_delay_alu instid0(VALU_DEP_1)
	v_or3_b32 v42, v43, v42, v4
.LBB257_151:                            ;   in Loop: Header=BB257_12 Depth=1
	s_or_b32 exec_lo, exec_lo, s43
.LBB257_152:                            ;   in Loop: Header=BB257_12 Depth=1
	s_delay_alu instid0(SALU_CYCLE_1)
	s_or_b32 exec_lo, exec_lo, s42
.LBB257_153:                            ;   in Loop: Header=BB257_12 Depth=1
	s_delay_alu instid0(SALU_CYCLE_1) | instskip(SKIP_2) | instid1(VALU_DEP_1)
	s_or_b32 exec_lo, exec_lo, s41
	v_lshrrev_b16 v4, 8, v14
	s_mov_b32 s41, exec_lo
	v_cmpx_ne_u16_e32 0, v4
	s_cbranch_execz .LBB257_161
; %bb.154:                              ;   in Loop: Header=BB257_12 Depth=1
	v_bfrev_b32_e32 v41, 1
	s_mov_b32 s42, exec_lo
	v_cmpx_ne_u16_e32 0x80, v4
	s_cbranch_execz .LBB257_160
; %bb.155:                              ;   in Loop: Header=BB257_12 Depth=1
	v_and_b32_e32 v43, 0xffff, v4
	v_mov_b32_e32 v41, 0x7c010000
	s_mov_b32 s43, exec_lo
	s_delay_alu instid0(VALU_DEP_2) | instskip(NEXT) | instid1(VALU_DEP_1)
	v_and_b32_e32 v45, 0x7f, v43
	v_cmpx_ne_u32_e32 0x7f, v45
	s_cbranch_execz .LBB257_159
; %bb.156:                              ;   in Loop: Header=BB257_12 Depth=1
	v_dual_lshrrev_b32 v44, 3, v45 :: v_dual_bitop2_b32 v41, 7, v43 bitop3:0x40
	s_mov_b32 s44, exec_lo
	v_cmpx_gt_u32_e32 8, v45
; %bb.157:                              ;   in Loop: Header=BB257_12 Depth=1
	s_delay_alu instid0(VALU_DEP_2) | instskip(NEXT) | instid1(VALU_DEP_1)
	v_clz_i32_u32_e32 v41, v41
	v_min_u32_e32 v41, 32, v41
	s_delay_alu instid0(VALU_DEP_1) | instskip(NEXT) | instid1(VALU_DEP_1)
	v_subrev_nc_u32_e32 v44, 28, v41
	v_lshlrev_b64_e32 v[46:47], v44, v[4:5]
	s_delay_alu instid0(VALU_DEP_1)
	v_dual_sub_nc_u32 v44, 29, v41 :: v_dual_bitop2_b32 v41, 7, v46 bitop3:0x40
; %bb.158:                              ;   in Loop: Header=BB257_12 Depth=1
	s_or_b32 exec_lo, exec_lo, s44
	s_delay_alu instid0(VALU_DEP_1) | instskip(NEXT) | instid1(VALU_DEP_2)
	v_dual_lshlrev_b32 v4, 8, v43 :: v_dual_lshlrev_b32 v41, 23, v41
	v_lshl_add_u32 v43, v44, 10, 0x2000
	s_delay_alu instid0(VALU_DEP_1) | instskip(NEXT) | instid1(VALU_DEP_1)
	v_and_or_b32 v4, 0x8000, v4, v43
	v_lshl_or_b32 v41, v4, 16, v41
.LBB257_159:                            ;   in Loop: Header=BB257_12 Depth=1
	s_or_b32 exec_lo, exec_lo, s43
.LBB257_160:                            ;   in Loop: Header=BB257_12 Depth=1
	s_delay_alu instid0(SALU_CYCLE_1)
	s_or_b32 exec_lo, exec_lo, s42
.LBB257_161:                            ;   in Loop: Header=BB257_12 Depth=1
	s_delay_alu instid0(SALU_CYCLE_1) | instskip(SKIP_3) | instid1(VALU_DEP_2)
	s_or_b32 exec_lo, exec_lo, s41
	v_dual_mov_b32 v43, 0 :: v_dual_lshrrev_b32 v4, 16, v14
	v_mov_b32_e32 v44, 0
	s_mov_b32 s41, exec_lo
	v_and_b32_e32 v45, 0xff, v4
	s_delay_alu instid0(VALU_DEP_1)
	v_cmpx_ne_u16_e32 0, v45
	s_cbranch_execz .LBB257_169
; %bb.162:                              ;   in Loop: Header=BB257_12 Depth=1
	v_mov_b32_e32 v44, 0x8000
	s_mov_b32 s42, exec_lo
	v_cmpx_ne_u16_e32 0x80, v45
	s_cbranch_execz .LBB257_168
; %bb.163:                              ;   in Loop: Header=BB257_12 Depth=1
	v_bfe_u32 v46, v14, 16, 7
	v_mov_b32_e32 v44, 0x7c01
	s_mov_b32 s43, exec_lo
	s_delay_alu instid0(VALU_DEP_2)
	v_cmpx_ne_u32_e32 0x7f, v46
	s_cbranch_execz .LBB257_167
; %bb.164:                              ;   in Loop: Header=BB257_12 Depth=1
	v_dual_lshrrev_b32 v45, 3, v46 :: v_dual_bitop2_b32 v44, 7, v4 bitop3:0x40
	s_mov_b32 s44, exec_lo
	v_cmpx_gt_u32_e32 8, v46
; %bb.165:                              ;   in Loop: Header=BB257_12 Depth=1
	s_delay_alu instid0(VALU_DEP_2) | instskip(NEXT) | instid1(VALU_DEP_1)
	v_clz_i32_u32_e32 v44, v44
	v_min_u32_e32 v46, 32, v44
	s_delay_alu instid0(VALU_DEP_1) | instskip(NEXT) | instid1(VALU_DEP_1)
	v_subrev_nc_u32_e32 v44, 28, v46
	v_lshlrev_b64_e32 v[44:45], v44, v[4:5]
	s_delay_alu instid0(VALU_DEP_1)
	v_dual_sub_nc_u32 v45, 29, v46 :: v_dual_bitop2_b32 v44, 7, v44 bitop3:0x40
; %bb.166:                              ;   in Loop: Header=BB257_12 Depth=1
	s_or_b32 exec_lo, exec_lo, s44
	v_lshlrev_b32_e32 v4, 8, v4
	s_delay_alu instid0(VALU_DEP_2) | instskip(NEXT) | instid1(VALU_DEP_3)
	v_lshl_add_u32 v45, v45, 10, 0x2000
	v_lshlrev_b32_e32 v44, 7, v44
	s_delay_alu instid0(VALU_DEP_3) | instskip(NEXT) | instid1(VALU_DEP_3)
	v_and_b32_e32 v4, 0x8000, v4
	v_and_b32_e32 v45, 0xfc00, v45
	s_delay_alu instid0(VALU_DEP_1)
	v_or3_b32 v44, v4, v45, v44
.LBB257_167:                            ;   in Loop: Header=BB257_12 Depth=1
	s_or_b32 exec_lo, exec_lo, s43
.LBB257_168:                            ;   in Loop: Header=BB257_12 Depth=1
	s_delay_alu instid0(SALU_CYCLE_1)
	s_or_b32 exec_lo, exec_lo, s42
.LBB257_169:                            ;   in Loop: Header=BB257_12 Depth=1
	s_delay_alu instid0(SALU_CYCLE_1) | instskip(NEXT) | instid1(SALU_CYCLE_1)
	s_or_b32 exec_lo, exec_lo, s41
	s_mov_b32 s41, exec_lo
	v_cmpx_lt_u32_e32 0xffffff, v14
	s_cbranch_execz .LBB257_177
; %bb.170:                              ;   in Loop: Header=BB257_12 Depth=1
	v_lshrrev_b32_e32 v4, 24, v14
	v_bfrev_b32_e32 v43, 1
	s_mov_b32 s42, exec_lo
	s_delay_alu instid0(VALU_DEP_2)
	v_cmpx_ne_u32_e32 0x80, v4
	s_cbranch_execz .LBB257_176
; %bb.171:                              ;   in Loop: Header=BB257_12 Depth=1
	v_and_b32_e32 v45, 0x7f, v4
	v_mov_b32_e32 v43, 0x7c010000
	s_mov_b32 s43, exec_lo
	s_delay_alu instid0(VALU_DEP_2)
	v_cmpx_ne_u32_e32 0x7f, v45
	s_cbranch_execz .LBB257_175
; %bb.172:                              ;   in Loop: Header=BB257_12 Depth=1
	v_dual_lshrrev_b32 v43, 3, v45 :: v_dual_bitop2_b32 v14, 7, v4 bitop3:0x40
	s_mov_b32 s44, exec_lo
	v_cmpx_gt_u32_e32 8, v45
; %bb.173:                              ;   in Loop: Header=BB257_12 Depth=1
	s_delay_alu instid0(VALU_DEP_2) | instskip(NEXT) | instid1(VALU_DEP_1)
	v_clz_i32_u32_e32 v14, v14
	v_min_u32_e32 v14, 32, v14
	s_delay_alu instid0(VALU_DEP_1) | instskip(NEXT) | instid1(VALU_DEP_1)
	v_subrev_nc_u32_e32 v43, 28, v14
	v_lshlrev_b64_e32 v[46:47], v43, v[4:5]
	v_sub_nc_u32_e32 v43, 29, v14
	s_delay_alu instid0(VALU_DEP_2)
	v_and_b32_e32 v14, 7, v46
; %bb.174:                              ;   in Loop: Header=BB257_12 Depth=1
	s_or_b32 exec_lo, exec_lo, s44
	s_delay_alu instid0(VALU_DEP_1) | instskip(NEXT) | instid1(VALU_DEP_3)
	v_dual_lshlrev_b32 v4, 8, v4 :: v_dual_lshlrev_b32 v14, 23, v14
	v_lshl_add_u32 v43, v43, 10, 0x2000
	s_delay_alu instid0(VALU_DEP_1) | instskip(NEXT) | instid1(VALU_DEP_1)
	v_and_or_b32 v4, 0x8000, v4, v43
	v_lshl_or_b32 v43, v4, 16, v14
.LBB257_175:                            ;   in Loop: Header=BB257_12 Depth=1
	s_or_b32 exec_lo, exec_lo, s43
.LBB257_176:                            ;   in Loop: Header=BB257_12 Depth=1
	s_delay_alu instid0(SALU_CYCLE_1)
	s_or_b32 exec_lo, exec_lo, s42
.LBB257_177:                            ;   in Loop: Header=BB257_12 Depth=1
	s_delay_alu instid0(SALU_CYCLE_1)
	s_or_b32 exec_lo, exec_lo, s41
	global_load_b32 v14, v[12:13], off offset:520
	v_dual_mov_b32 v45, 0 :: v_dual_mov_b32 v46, 0
	s_mov_b32 s41, exec_lo
	s_wait_loadcnt 0x0
	v_and_b32_e32 v4, 0xff, v14
	s_delay_alu instid0(VALU_DEP_1)
	v_cmpx_ne_u16_e32 0, v4
	s_cbranch_execz .LBB257_185
; %bb.178:                              ;   in Loop: Header=BB257_12 Depth=1
	v_mov_b32_e32 v46, 0x8000
	s_mov_b32 s42, exec_lo
	v_cmpx_ne_u16_e32 0x80, v4
	s_cbranch_execz .LBB257_184
; %bb.179:                              ;   in Loop: Header=BB257_12 Depth=1
	v_and_b32_e32 v47, 0x7f, v14
	v_mov_b32_e32 v46, 0x7c01
	s_mov_b32 s43, exec_lo
	s_delay_alu instid0(VALU_DEP_2)
	v_cmpx_ne_u32_e32 0x7f, v47
	s_cbranch_execz .LBB257_183
; %bb.180:                              ;   in Loop: Header=BB257_12 Depth=1
	v_dual_lshrrev_b32 v46, 3, v47 :: v_dual_bitop2_b32 v4, 7, v14 bitop3:0x40
	s_mov_b32 s44, exec_lo
	v_cmpx_gt_u32_e32 8, v47
; %bb.181:                              ;   in Loop: Header=BB257_12 Depth=1
	s_delay_alu instid0(VALU_DEP_2) | instskip(NEXT) | instid1(VALU_DEP_1)
	v_clz_i32_u32_e32 v4, v4
	v_min_u32_e32 v4, 32, v4
	s_delay_alu instid0(VALU_DEP_1) | instskip(NEXT) | instid1(VALU_DEP_1)
	v_subrev_nc_u32_e32 v46, 28, v4
	v_lshlrev_b64_e32 v[48:49], v46, v[14:15]
	v_sub_nc_u32_e32 v46, 29, v4
	s_delay_alu instid0(VALU_DEP_2)
	v_and_b32_e32 v4, 7, v48
; %bb.182:                              ;   in Loop: Header=BB257_12 Depth=1
	s_or_b32 exec_lo, exec_lo, s44
	s_delay_alu instid0(VALU_DEP_1) | instskip(NEXT) | instid1(VALU_DEP_3)
	v_dual_lshlrev_b32 v47, 8, v14 :: v_dual_lshlrev_b32 v4, 7, v4
	v_lshl_add_u32 v46, v46, 10, 0x2000
	s_delay_alu instid0(VALU_DEP_2) | instskip(NEXT) | instid1(VALU_DEP_2)
	v_and_b32_e32 v47, 0x8000, v47
	v_and_b32_e32 v46, 0xfc00, v46
	s_delay_alu instid0(VALU_DEP_1)
	v_or3_b32 v46, v47, v46, v4
.LBB257_183:                            ;   in Loop: Header=BB257_12 Depth=1
	s_or_b32 exec_lo, exec_lo, s43
.LBB257_184:                            ;   in Loop: Header=BB257_12 Depth=1
	s_delay_alu instid0(SALU_CYCLE_1)
	s_or_b32 exec_lo, exec_lo, s42
.LBB257_185:                            ;   in Loop: Header=BB257_12 Depth=1
	s_delay_alu instid0(SALU_CYCLE_1) | instskip(SKIP_2) | instid1(VALU_DEP_1)
	s_or_b32 exec_lo, exec_lo, s41
	v_lshrrev_b16 v4, 8, v14
	s_mov_b32 s41, exec_lo
	v_cmpx_ne_u16_e32 0, v4
	s_cbranch_execz .LBB257_193
; %bb.186:                              ;   in Loop: Header=BB257_12 Depth=1
	v_bfrev_b32_e32 v45, 1
	s_mov_b32 s42, exec_lo
	v_cmpx_ne_u16_e32 0x80, v4
	s_cbranch_execz .LBB257_192
; %bb.187:                              ;   in Loop: Header=BB257_12 Depth=1
	v_and_b32_e32 v47, 0xffff, v4
	v_mov_b32_e32 v45, 0x7c010000
	s_mov_b32 s43, exec_lo
	s_delay_alu instid0(VALU_DEP_2) | instskip(NEXT) | instid1(VALU_DEP_1)
	v_and_b32_e32 v49, 0x7f, v47
	v_cmpx_ne_u32_e32 0x7f, v49
	s_cbranch_execz .LBB257_191
; %bb.188:                              ;   in Loop: Header=BB257_12 Depth=1
	v_dual_lshrrev_b32 v48, 3, v49 :: v_dual_bitop2_b32 v45, 7, v47 bitop3:0x40
	s_mov_b32 s44, exec_lo
	v_cmpx_gt_u32_e32 8, v49
; %bb.189:                              ;   in Loop: Header=BB257_12 Depth=1
	s_delay_alu instid0(VALU_DEP_2) | instskip(NEXT) | instid1(VALU_DEP_1)
	v_clz_i32_u32_e32 v45, v45
	v_min_u32_e32 v45, 32, v45
	s_delay_alu instid0(VALU_DEP_1) | instskip(NEXT) | instid1(VALU_DEP_1)
	v_subrev_nc_u32_e32 v48, 28, v45
	v_lshlrev_b64_e32 v[50:51], v48, v[4:5]
	s_delay_alu instid0(VALU_DEP_1)
	v_dual_sub_nc_u32 v48, 29, v45 :: v_dual_bitop2_b32 v45, 7, v50 bitop3:0x40
; %bb.190:                              ;   in Loop: Header=BB257_12 Depth=1
	s_or_b32 exec_lo, exec_lo, s44
	s_delay_alu instid0(VALU_DEP_1) | instskip(NEXT) | instid1(VALU_DEP_2)
	v_dual_lshlrev_b32 v4, 8, v47 :: v_dual_lshlrev_b32 v45, 23, v45
	v_lshl_add_u32 v47, v48, 10, 0x2000
	s_delay_alu instid0(VALU_DEP_1) | instskip(NEXT) | instid1(VALU_DEP_1)
	v_and_or_b32 v4, 0x8000, v4, v47
	v_lshl_or_b32 v45, v4, 16, v45
.LBB257_191:                            ;   in Loop: Header=BB257_12 Depth=1
	s_or_b32 exec_lo, exec_lo, s43
.LBB257_192:                            ;   in Loop: Header=BB257_12 Depth=1
	s_delay_alu instid0(SALU_CYCLE_1)
	s_or_b32 exec_lo, exec_lo, s42
.LBB257_193:                            ;   in Loop: Header=BB257_12 Depth=1
	s_delay_alu instid0(SALU_CYCLE_1) | instskip(SKIP_3) | instid1(VALU_DEP_2)
	s_or_b32 exec_lo, exec_lo, s41
	v_dual_mov_b32 v49, 0 :: v_dual_lshrrev_b32 v4, 16, v14
	v_mov_b32_e32 v50, 0
	s_mov_b32 s41, exec_lo
	v_and_b32_e32 v47, 0xff, v4
	s_delay_alu instid0(VALU_DEP_1)
	v_cmpx_ne_u16_e32 0, v47
	s_cbranch_execz .LBB257_201
; %bb.194:                              ;   in Loop: Header=BB257_12 Depth=1
	v_mov_b32_e32 v50, 0x8000
	s_mov_b32 s42, exec_lo
	v_cmpx_ne_u16_e32 0x80, v47
	s_cbranch_execz .LBB257_200
; %bb.195:                              ;   in Loop: Header=BB257_12 Depth=1
	v_bfe_u32 v51, v14, 16, 7
	v_mov_b32_e32 v50, 0x7c01
	s_mov_b32 s43, exec_lo
	s_delay_alu instid0(VALU_DEP_2)
	v_cmpx_ne_u32_e32 0x7f, v51
	s_cbranch_execz .LBB257_199
; %bb.196:                              ;   in Loop: Header=BB257_12 Depth=1
	v_dual_lshrrev_b32 v48, 3, v51 :: v_dual_bitop2_b32 v47, 7, v4 bitop3:0x40
	s_mov_b32 s44, exec_lo
	v_cmpx_gt_u32_e32 8, v51
; %bb.197:                              ;   in Loop: Header=BB257_12 Depth=1
	s_delay_alu instid0(VALU_DEP_2) | instskip(NEXT) | instid1(VALU_DEP_1)
	v_clz_i32_u32_e32 v47, v47
	v_min_u32_e32 v47, 32, v47
	s_delay_alu instid0(VALU_DEP_1) | instskip(NEXT) | instid1(VALU_DEP_1)
	v_subrev_nc_u32_e32 v48, 28, v47
	v_lshlrev_b64_e32 v[50:51], v48, v[4:5]
	s_delay_alu instid0(VALU_DEP_1)
	v_dual_sub_nc_u32 v48, 29, v47 :: v_dual_bitop2_b32 v47, 7, v50 bitop3:0x40
; %bb.198:                              ;   in Loop: Header=BB257_12 Depth=1
	s_or_b32 exec_lo, exec_lo, s44
	s_delay_alu instid0(VALU_DEP_1) | instskip(NEXT) | instid1(VALU_DEP_2)
	v_dual_lshlrev_b32 v4, 8, v4 :: v_dual_lshlrev_b32 v47, 7, v47
	v_lshl_add_u32 v48, v48, 10, 0x2000
	s_delay_alu instid0(VALU_DEP_2) | instskip(NEXT) | instid1(VALU_DEP_2)
	v_and_b32_e32 v4, 0x8000, v4
	v_and_b32_e32 v48, 0xfc00, v48
	s_delay_alu instid0(VALU_DEP_1)
	v_or3_b32 v50, v4, v48, v47
.LBB257_199:                            ;   in Loop: Header=BB257_12 Depth=1
	s_or_b32 exec_lo, exec_lo, s43
.LBB257_200:                            ;   in Loop: Header=BB257_12 Depth=1
	s_delay_alu instid0(SALU_CYCLE_1)
	s_or_b32 exec_lo, exec_lo, s42
.LBB257_201:                            ;   in Loop: Header=BB257_12 Depth=1
	s_delay_alu instid0(SALU_CYCLE_1) | instskip(NEXT) | instid1(SALU_CYCLE_1)
	s_or_b32 exec_lo, exec_lo, s41
	s_mov_b32 s41, exec_lo
	v_cmpx_lt_u32_e32 0xffffff, v14
	s_cbranch_execz .LBB257_209
; %bb.202:                              ;   in Loop: Header=BB257_12 Depth=1
	v_lshrrev_b32_e32 v4, 24, v14
	v_bfrev_b32_e32 v49, 1
	s_mov_b32 s42, exec_lo
	s_delay_alu instid0(VALU_DEP_2)
	v_cmpx_ne_u32_e32 0x80, v4
	s_cbranch_execz .LBB257_208
; %bb.203:                              ;   in Loop: Header=BB257_12 Depth=1
	v_and_b32_e32 v48, 0x7f, v4
	v_mov_b32_e32 v49, 0x7c010000
	s_mov_b32 s43, exec_lo
	s_delay_alu instid0(VALU_DEP_2)
	v_cmpx_ne_u32_e32 0x7f, v48
	s_cbranch_execz .LBB257_207
; %bb.204:                              ;   in Loop: Header=BB257_12 Depth=1
	v_and_b32_e32 v14, 7, v4
	v_lshrrev_b32_e32 v47, 3, v48
	s_mov_b32 s44, exec_lo
	v_cmpx_gt_u32_e32 8, v48
; %bb.205:                              ;   in Loop: Header=BB257_12 Depth=1
	s_delay_alu instid0(VALU_DEP_3) | instskip(NEXT) | instid1(VALU_DEP_1)
	v_clz_i32_u32_e32 v14, v14
	v_min_u32_e32 v14, 32, v14
	s_delay_alu instid0(VALU_DEP_1) | instskip(NEXT) | instid1(VALU_DEP_1)
	v_subrev_nc_u32_e32 v47, 28, v14
	v_lshlrev_b64_e32 v[48:49], v47, v[4:5]
	s_delay_alu instid0(VALU_DEP_1)
	v_dual_sub_nc_u32 v47, 29, v14 :: v_dual_bitop2_b32 v14, 7, v48 bitop3:0x40
; %bb.206:                              ;   in Loop: Header=BB257_12 Depth=1
	s_or_b32 exec_lo, exec_lo, s44
	s_delay_alu instid0(VALU_DEP_1) | instskip(NEXT) | instid1(VALU_DEP_2)
	v_dual_lshlrev_b32 v4, 8, v4 :: v_dual_lshlrev_b32 v14, 23, v14
	v_lshl_add_u32 v47, v47, 10, 0x2000
	s_delay_alu instid0(VALU_DEP_1) | instskip(NEXT) | instid1(VALU_DEP_1)
	v_and_or_b32 v4, 0x8000, v4, v47
	v_lshl_or_b32 v49, v4, 16, v14
.LBB257_207:                            ;   in Loop: Header=BB257_12 Depth=1
	s_or_b32 exec_lo, exec_lo, s43
.LBB257_208:                            ;   in Loop: Header=BB257_12 Depth=1
	s_delay_alu instid0(SALU_CYCLE_1)
	s_or_b32 exec_lo, exec_lo, s42
.LBB257_209:                            ;   in Loop: Header=BB257_12 Depth=1
	s_delay_alu instid0(SALU_CYCLE_1)
	s_or_b32 exec_lo, exec_lo, s41
	global_load_b32 v14, v[12:13], off offset:768
	v_dual_mov_b32 v47, 0 :: v_dual_mov_b32 v48, 0
	s_mov_b32 s41, exec_lo
	s_wait_loadcnt 0x0
	v_and_b32_e32 v4, 0xff, v14
	s_delay_alu instid0(VALU_DEP_1)
	v_cmpx_ne_u16_e32 0, v4
	s_cbranch_execz .LBB257_217
; %bb.210:                              ;   in Loop: Header=BB257_12 Depth=1
	v_mov_b32_e32 v48, 0x8000
	s_mov_b32 s42, exec_lo
	v_cmpx_ne_u16_e32 0x80, v4
	s_cbranch_execz .LBB257_216
; %bb.211:                              ;   in Loop: Header=BB257_12 Depth=1
	v_and_b32_e32 v51, 0x7f, v14
	v_mov_b32_e32 v48, 0x7c01
	s_mov_b32 s43, exec_lo
	s_delay_alu instid0(VALU_DEP_2)
	v_cmpx_ne_u32_e32 0x7f, v51
	s_cbranch_execz .LBB257_215
; %bb.212:                              ;   in Loop: Header=BB257_12 Depth=1
	v_dual_lshrrev_b32 v48, 3, v51 :: v_dual_bitop2_b32 v4, 7, v14 bitop3:0x40
	s_mov_b32 s44, exec_lo
	v_cmpx_gt_u32_e32 8, v51
; %bb.213:                              ;   in Loop: Header=BB257_12 Depth=1
	s_delay_alu instid0(VALU_DEP_2) | instskip(NEXT) | instid1(VALU_DEP_1)
	v_clz_i32_u32_e32 v4, v4
	v_min_u32_e32 v4, 32, v4
	s_delay_alu instid0(VALU_DEP_1) | instskip(NEXT) | instid1(VALU_DEP_1)
	v_subrev_nc_u32_e32 v48, 28, v4
	v_lshlrev_b64_e32 v[52:53], v48, v[14:15]
	v_sub_nc_u32_e32 v48, 29, v4
	s_delay_alu instid0(VALU_DEP_2)
	v_and_b32_e32 v4, 7, v52
; %bb.214:                              ;   in Loop: Header=BB257_12 Depth=1
	s_or_b32 exec_lo, exec_lo, s44
	s_delay_alu instid0(VALU_DEP_1) | instskip(NEXT) | instid1(VALU_DEP_3)
	v_dual_lshlrev_b32 v51, 8, v14 :: v_dual_lshlrev_b32 v4, 7, v4
	v_lshl_add_u32 v48, v48, 10, 0x2000
	s_delay_alu instid0(VALU_DEP_2) | instskip(NEXT) | instid1(VALU_DEP_2)
	v_and_b32_e32 v51, 0x8000, v51
	v_and_b32_e32 v48, 0xfc00, v48
	s_delay_alu instid0(VALU_DEP_1)
	v_or3_b32 v48, v51, v48, v4
.LBB257_215:                            ;   in Loop: Header=BB257_12 Depth=1
	s_or_b32 exec_lo, exec_lo, s43
.LBB257_216:                            ;   in Loop: Header=BB257_12 Depth=1
	s_delay_alu instid0(SALU_CYCLE_1)
	s_or_b32 exec_lo, exec_lo, s42
.LBB257_217:                            ;   in Loop: Header=BB257_12 Depth=1
	s_delay_alu instid0(SALU_CYCLE_1) | instskip(SKIP_2) | instid1(VALU_DEP_1)
	s_or_b32 exec_lo, exec_lo, s41
	v_lshrrev_b16 v4, 8, v14
	s_mov_b32 s41, exec_lo
	v_cmpx_ne_u16_e32 0, v4
	s_cbranch_execz .LBB257_225
; %bb.218:                              ;   in Loop: Header=BB257_12 Depth=1
	v_bfrev_b32_e32 v47, 1
	s_mov_b32 s42, exec_lo
	v_cmpx_ne_u16_e32 0x80, v4
	s_cbranch_execz .LBB257_224
; %bb.219:                              ;   in Loop: Header=BB257_12 Depth=1
	v_and_b32_e32 v51, 0xffff, v4
	v_mov_b32_e32 v47, 0x7c010000
	s_mov_b32 s43, exec_lo
	s_delay_alu instid0(VALU_DEP_2) | instskip(NEXT) | instid1(VALU_DEP_1)
	v_and_b32_e32 v53, 0x7f, v51
	v_cmpx_ne_u32_e32 0x7f, v53
	s_cbranch_execz .LBB257_223
; %bb.220:                              ;   in Loop: Header=BB257_12 Depth=1
	v_dual_lshrrev_b32 v52, 3, v53 :: v_dual_bitop2_b32 v47, 7, v51 bitop3:0x40
	s_mov_b32 s44, exec_lo
	v_cmpx_gt_u32_e32 8, v53
; %bb.221:                              ;   in Loop: Header=BB257_12 Depth=1
	s_delay_alu instid0(VALU_DEP_2) | instskip(NEXT) | instid1(VALU_DEP_1)
	v_clz_i32_u32_e32 v47, v47
	v_min_u32_e32 v47, 32, v47
	s_delay_alu instid0(VALU_DEP_1) | instskip(NEXT) | instid1(VALU_DEP_1)
	v_subrev_nc_u32_e32 v52, 28, v47
	v_lshlrev_b64_e32 v[54:55], v52, v[4:5]
	s_delay_alu instid0(VALU_DEP_1)
	v_dual_sub_nc_u32 v52, 29, v47 :: v_dual_bitop2_b32 v47, 7, v54 bitop3:0x40
; %bb.222:                              ;   in Loop: Header=BB257_12 Depth=1
	s_or_b32 exec_lo, exec_lo, s44
	v_lshlrev_b32_e32 v4, 8, v51
	s_delay_alu instid0(VALU_DEP_2) | instskip(NEXT) | instid1(VALU_DEP_3)
	v_lshl_add_u32 v51, v52, 10, 0x2000
	v_lshlrev_b32_e32 v47, 23, v47
	s_delay_alu instid0(VALU_DEP_2) | instskip(NEXT) | instid1(VALU_DEP_1)
	v_and_or_b32 v4, 0x8000, v4, v51
	v_lshl_or_b32 v47, v4, 16, v47
.LBB257_223:                            ;   in Loop: Header=BB257_12 Depth=1
	s_or_b32 exec_lo, exec_lo, s43
.LBB257_224:                            ;   in Loop: Header=BB257_12 Depth=1
	s_delay_alu instid0(SALU_CYCLE_1)
	s_or_b32 exec_lo, exec_lo, s42
.LBB257_225:                            ;   in Loop: Header=BB257_12 Depth=1
	s_delay_alu instid0(SALU_CYCLE_1) | instskip(SKIP_3) | instid1(VALU_DEP_2)
	s_or_b32 exec_lo, exec_lo, s41
	v_dual_mov_b32 v51, 0 :: v_dual_lshrrev_b32 v4, 16, v14
	v_mov_b32_e32 v52, 0
	s_mov_b32 s41, exec_lo
	v_and_b32_e32 v53, 0xff, v4
	s_delay_alu instid0(VALU_DEP_1)
	v_cmpx_ne_u16_e32 0, v53
	s_cbranch_execz .LBB257_233
; %bb.226:                              ;   in Loop: Header=BB257_12 Depth=1
	v_mov_b32_e32 v52, 0x8000
	s_mov_b32 s42, exec_lo
	v_cmpx_ne_u16_e32 0x80, v53
	s_cbranch_execz .LBB257_232
; %bb.227:                              ;   in Loop: Header=BB257_12 Depth=1
	v_bfe_u32 v54, v14, 16, 7
	v_mov_b32_e32 v52, 0x7c01
	s_mov_b32 s43, exec_lo
	s_delay_alu instid0(VALU_DEP_2)
	v_cmpx_ne_u32_e32 0x7f, v54
	s_cbranch_execz .LBB257_231
; %bb.228:                              ;   in Loop: Header=BB257_12 Depth=1
	v_dual_lshrrev_b32 v53, 3, v54 :: v_dual_bitop2_b32 v52, 7, v4 bitop3:0x40
	s_mov_b32 s44, exec_lo
	v_cmpx_gt_u32_e32 8, v54
; %bb.229:                              ;   in Loop: Header=BB257_12 Depth=1
	s_delay_alu instid0(VALU_DEP_2) | instskip(NEXT) | instid1(VALU_DEP_1)
	v_clz_i32_u32_e32 v52, v52
	v_min_u32_e32 v54, 32, v52
	s_delay_alu instid0(VALU_DEP_1) | instskip(NEXT) | instid1(VALU_DEP_1)
	v_subrev_nc_u32_e32 v52, 28, v54
	v_lshlrev_b64_e32 v[52:53], v52, v[4:5]
	s_delay_alu instid0(VALU_DEP_1)
	v_dual_sub_nc_u32 v53, 29, v54 :: v_dual_bitop2_b32 v52, 7, v52 bitop3:0x40
; %bb.230:                              ;   in Loop: Header=BB257_12 Depth=1
	s_or_b32 exec_lo, exec_lo, s44
	v_lshlrev_b32_e32 v4, 8, v4
	s_delay_alu instid0(VALU_DEP_2) | instskip(NEXT) | instid1(VALU_DEP_3)
	v_lshl_add_u32 v53, v53, 10, 0x2000
	v_lshlrev_b32_e32 v52, 7, v52
	s_delay_alu instid0(VALU_DEP_3) | instskip(NEXT) | instid1(VALU_DEP_3)
	v_and_b32_e32 v4, 0x8000, v4
	v_and_b32_e32 v53, 0xfc00, v53
	s_delay_alu instid0(VALU_DEP_1)
	v_or3_b32 v52, v4, v53, v52
.LBB257_231:                            ;   in Loop: Header=BB257_12 Depth=1
	s_or_b32 exec_lo, exec_lo, s43
.LBB257_232:                            ;   in Loop: Header=BB257_12 Depth=1
	s_delay_alu instid0(SALU_CYCLE_1)
	s_or_b32 exec_lo, exec_lo, s42
.LBB257_233:                            ;   in Loop: Header=BB257_12 Depth=1
	s_delay_alu instid0(SALU_CYCLE_1) | instskip(NEXT) | instid1(SALU_CYCLE_1)
	s_or_b32 exec_lo, exec_lo, s41
	s_mov_b32 s41, exec_lo
	v_cmpx_lt_u32_e32 0xffffff, v14
	s_cbranch_execz .LBB257_241
; %bb.234:                              ;   in Loop: Header=BB257_12 Depth=1
	v_lshrrev_b32_e32 v4, 24, v14
	v_bfrev_b32_e32 v51, 1
	s_mov_b32 s42, exec_lo
	s_delay_alu instid0(VALU_DEP_2)
	v_cmpx_ne_u32_e32 0x80, v4
	s_cbranch_execz .LBB257_240
; %bb.235:                              ;   in Loop: Header=BB257_12 Depth=1
	v_and_b32_e32 v53, 0x7f, v4
	v_mov_b32_e32 v51, 0x7c010000
	s_mov_b32 s43, exec_lo
	s_delay_alu instid0(VALU_DEP_2)
	v_cmpx_ne_u32_e32 0x7f, v53
	s_cbranch_execz .LBB257_239
; %bb.236:                              ;   in Loop: Header=BB257_12 Depth=1
	v_dual_lshrrev_b32 v51, 3, v53 :: v_dual_bitop2_b32 v14, 7, v4 bitop3:0x40
	s_mov_b32 s44, exec_lo
	v_cmpx_gt_u32_e32 8, v53
; %bb.237:                              ;   in Loop: Header=BB257_12 Depth=1
	s_delay_alu instid0(VALU_DEP_2) | instskip(NEXT) | instid1(VALU_DEP_1)
	v_clz_i32_u32_e32 v14, v14
	v_min_u32_e32 v14, 32, v14
	s_delay_alu instid0(VALU_DEP_1) | instskip(NEXT) | instid1(VALU_DEP_1)
	v_subrev_nc_u32_e32 v51, 28, v14
	v_lshlrev_b64_e32 v[54:55], v51, v[4:5]
	v_sub_nc_u32_e32 v51, 29, v14
	s_delay_alu instid0(VALU_DEP_2)
	v_and_b32_e32 v14, 7, v54
; %bb.238:                              ;   in Loop: Header=BB257_12 Depth=1
	s_or_b32 exec_lo, exec_lo, s44
	s_delay_alu instid0(VALU_DEP_1) | instskip(NEXT) | instid1(VALU_DEP_3)
	v_dual_lshlrev_b32 v4, 8, v4 :: v_dual_lshlrev_b32 v14, 23, v14
	v_lshl_add_u32 v51, v51, 10, 0x2000
	s_delay_alu instid0(VALU_DEP_1) | instskip(NEXT) | instid1(VALU_DEP_1)
	v_and_or_b32 v4, 0x8000, v4, v51
	v_lshl_or_b32 v51, v4, 16, v14
.LBB257_239:                            ;   in Loop: Header=BB257_12 Depth=1
	s_or_b32 exec_lo, exec_lo, s43
.LBB257_240:                            ;   in Loop: Header=BB257_12 Depth=1
	s_delay_alu instid0(SALU_CYCLE_1)
	s_or_b32 exec_lo, exec_lo, s42
.LBB257_241:                            ;   in Loop: Header=BB257_12 Depth=1
	s_delay_alu instid0(SALU_CYCLE_1)
	s_or_b32 exec_lo, exec_lo, s41
	global_load_b32 v14, v[12:13], off offset:776
	v_dual_mov_b32 v53, 0 :: v_dual_mov_b32 v54, 0
	s_mov_b32 s41, exec_lo
	s_wait_loadcnt 0x0
	v_and_b32_e32 v4, 0xff, v14
	s_delay_alu instid0(VALU_DEP_1)
	v_cmpx_ne_u16_e32 0, v4
	s_cbranch_execz .LBB257_249
; %bb.242:                              ;   in Loop: Header=BB257_12 Depth=1
	v_mov_b32_e32 v54, 0x8000
	s_mov_b32 s42, exec_lo
	v_cmpx_ne_u16_e32 0x80, v4
	s_cbranch_execz .LBB257_248
; %bb.243:                              ;   in Loop: Header=BB257_12 Depth=1
	v_and_b32_e32 v55, 0x7f, v14
	v_mov_b32_e32 v54, 0x7c01
	s_mov_b32 s43, exec_lo
	s_delay_alu instid0(VALU_DEP_2)
	v_cmpx_ne_u32_e32 0x7f, v55
	s_cbranch_execz .LBB257_247
; %bb.244:                              ;   in Loop: Header=BB257_12 Depth=1
	v_dual_lshrrev_b32 v54, 3, v55 :: v_dual_bitop2_b32 v4, 7, v14 bitop3:0x40
	s_mov_b32 s44, exec_lo
	v_cmpx_gt_u32_e32 8, v55
; %bb.245:                              ;   in Loop: Header=BB257_12 Depth=1
	s_delay_alu instid0(VALU_DEP_2) | instskip(NEXT) | instid1(VALU_DEP_1)
	v_clz_i32_u32_e32 v4, v4
	v_min_u32_e32 v4, 32, v4
	s_delay_alu instid0(VALU_DEP_1) | instskip(NEXT) | instid1(VALU_DEP_1)
	v_subrev_nc_u32_e32 v54, 28, v4
	v_lshlrev_b64_e32 v[56:57], v54, v[14:15]
	v_sub_nc_u32_e32 v54, 29, v4
	s_delay_alu instid0(VALU_DEP_2)
	v_and_b32_e32 v4, 7, v56
; %bb.246:                              ;   in Loop: Header=BB257_12 Depth=1
	s_or_b32 exec_lo, exec_lo, s44
	s_delay_alu instid0(VALU_DEP_1) | instskip(NEXT) | instid1(VALU_DEP_3)
	v_dual_lshlrev_b32 v55, 8, v14 :: v_dual_lshlrev_b32 v4, 7, v4
	v_lshl_add_u32 v54, v54, 10, 0x2000
	s_delay_alu instid0(VALU_DEP_2) | instskip(NEXT) | instid1(VALU_DEP_2)
	v_and_b32_e32 v55, 0x8000, v55
	v_and_b32_e32 v54, 0xfc00, v54
	s_delay_alu instid0(VALU_DEP_1)
	v_or3_b32 v54, v55, v54, v4
.LBB257_247:                            ;   in Loop: Header=BB257_12 Depth=1
	s_or_b32 exec_lo, exec_lo, s43
.LBB257_248:                            ;   in Loop: Header=BB257_12 Depth=1
	s_delay_alu instid0(SALU_CYCLE_1)
	s_or_b32 exec_lo, exec_lo, s42
.LBB257_249:                            ;   in Loop: Header=BB257_12 Depth=1
	s_delay_alu instid0(SALU_CYCLE_1) | instskip(SKIP_2) | instid1(VALU_DEP_1)
	s_or_b32 exec_lo, exec_lo, s41
	v_lshrrev_b16 v4, 8, v14
	s_mov_b32 s41, exec_lo
	v_cmpx_ne_u16_e32 0, v4
	s_cbranch_execz .LBB257_257
; %bb.250:                              ;   in Loop: Header=BB257_12 Depth=1
	v_bfrev_b32_e32 v53, 1
	s_mov_b32 s42, exec_lo
	v_cmpx_ne_u16_e32 0x80, v4
	s_cbranch_execz .LBB257_256
; %bb.251:                              ;   in Loop: Header=BB257_12 Depth=1
	v_and_b32_e32 v55, 0xffff, v4
	v_mov_b32_e32 v53, 0x7c010000
	s_mov_b32 s43, exec_lo
	s_delay_alu instid0(VALU_DEP_2) | instskip(NEXT) | instid1(VALU_DEP_1)
	v_and_b32_e32 v57, 0x7f, v55
	v_cmpx_ne_u32_e32 0x7f, v57
	s_cbranch_execz .LBB257_255
; %bb.252:                              ;   in Loop: Header=BB257_12 Depth=1
	v_dual_lshrrev_b32 v56, 3, v57 :: v_dual_bitop2_b32 v53, 7, v55 bitop3:0x40
	s_mov_b32 s44, exec_lo
	v_cmpx_gt_u32_e32 8, v57
; %bb.253:                              ;   in Loop: Header=BB257_12 Depth=1
	s_delay_alu instid0(VALU_DEP_2) | instskip(NEXT) | instid1(VALU_DEP_1)
	v_clz_i32_u32_e32 v53, v53
	v_min_u32_e32 v53, 32, v53
	s_delay_alu instid0(VALU_DEP_1) | instskip(NEXT) | instid1(VALU_DEP_1)
	v_subrev_nc_u32_e32 v56, 28, v53
	v_lshlrev_b64_e32 v[58:59], v56, v[4:5]
	s_delay_alu instid0(VALU_DEP_1)
	v_dual_sub_nc_u32 v56, 29, v53 :: v_dual_bitop2_b32 v53, 7, v58 bitop3:0x40
; %bb.254:                              ;   in Loop: Header=BB257_12 Depth=1
	s_or_b32 exec_lo, exec_lo, s44
	s_delay_alu instid0(VALU_DEP_1) | instskip(NEXT) | instid1(VALU_DEP_2)
	v_dual_lshlrev_b32 v4, 8, v55 :: v_dual_lshlrev_b32 v53, 23, v53
	v_lshl_add_u32 v55, v56, 10, 0x2000
	s_delay_alu instid0(VALU_DEP_1) | instskip(NEXT) | instid1(VALU_DEP_1)
	v_and_or_b32 v4, 0x8000, v4, v55
	v_lshl_or_b32 v53, v4, 16, v53
.LBB257_255:                            ;   in Loop: Header=BB257_12 Depth=1
	s_or_b32 exec_lo, exec_lo, s43
.LBB257_256:                            ;   in Loop: Header=BB257_12 Depth=1
	s_delay_alu instid0(SALU_CYCLE_1)
	s_or_b32 exec_lo, exec_lo, s42
.LBB257_257:                            ;   in Loop: Header=BB257_12 Depth=1
	s_delay_alu instid0(SALU_CYCLE_1) | instskip(SKIP_3) | instid1(VALU_DEP_2)
	s_or_b32 exec_lo, exec_lo, s41
	v_dual_mov_b32 v55, 0 :: v_dual_lshrrev_b32 v4, 16, v14
	v_mov_b32_e32 v56, 0
	s_mov_b32 s41, exec_lo
	v_and_b32_e32 v57, 0xff, v4
	s_delay_alu instid0(VALU_DEP_1)
	v_cmpx_ne_u16_e32 0, v57
	s_cbranch_execz .LBB257_265
; %bb.258:                              ;   in Loop: Header=BB257_12 Depth=1
	v_mov_b32_e32 v56, 0x8000
	s_mov_b32 s42, exec_lo
	v_cmpx_ne_u16_e32 0x80, v57
	s_cbranch_execz .LBB257_264
; %bb.259:                              ;   in Loop: Header=BB257_12 Depth=1
	v_bfe_u32 v58, v14, 16, 7
	v_mov_b32_e32 v56, 0x7c01
	s_mov_b32 s43, exec_lo
	s_delay_alu instid0(VALU_DEP_2)
	v_cmpx_ne_u32_e32 0x7f, v58
	s_cbranch_execz .LBB257_263
; %bb.260:                              ;   in Loop: Header=BB257_12 Depth=1
	v_dual_lshrrev_b32 v57, 3, v58 :: v_dual_bitop2_b32 v56, 7, v4 bitop3:0x40
	s_mov_b32 s44, exec_lo
	v_cmpx_gt_u32_e32 8, v58
; %bb.261:                              ;   in Loop: Header=BB257_12 Depth=1
	s_delay_alu instid0(VALU_DEP_2) | instskip(NEXT) | instid1(VALU_DEP_1)
	v_clz_i32_u32_e32 v56, v56
	v_min_u32_e32 v58, 32, v56
	s_delay_alu instid0(VALU_DEP_1) | instskip(NEXT) | instid1(VALU_DEP_1)
	v_subrev_nc_u32_e32 v56, 28, v58
	v_lshlrev_b64_e32 v[56:57], v56, v[4:5]
	s_delay_alu instid0(VALU_DEP_1)
	v_dual_sub_nc_u32 v57, 29, v58 :: v_dual_bitop2_b32 v56, 7, v56 bitop3:0x40
; %bb.262:                              ;   in Loop: Header=BB257_12 Depth=1
	s_or_b32 exec_lo, exec_lo, s44
	v_lshlrev_b32_e32 v4, 8, v4
	s_delay_alu instid0(VALU_DEP_2) | instskip(NEXT) | instid1(VALU_DEP_3)
	v_lshl_add_u32 v57, v57, 10, 0x2000
	v_lshlrev_b32_e32 v56, 7, v56
	s_delay_alu instid0(VALU_DEP_3) | instskip(NEXT) | instid1(VALU_DEP_3)
	v_and_b32_e32 v4, 0x8000, v4
	v_and_b32_e32 v57, 0xfc00, v57
	s_delay_alu instid0(VALU_DEP_1)
	v_or3_b32 v56, v4, v57, v56
.LBB257_263:                            ;   in Loop: Header=BB257_12 Depth=1
	s_or_b32 exec_lo, exec_lo, s43
.LBB257_264:                            ;   in Loop: Header=BB257_12 Depth=1
	s_delay_alu instid0(SALU_CYCLE_1)
	s_or_b32 exec_lo, exec_lo, s42
.LBB257_265:                            ;   in Loop: Header=BB257_12 Depth=1
	s_delay_alu instid0(SALU_CYCLE_1) | instskip(NEXT) | instid1(SALU_CYCLE_1)
	s_or_b32 exec_lo, exec_lo, s41
	s_mov_b32 s41, exec_lo
	v_cmpx_lt_u32_e32 0xffffff, v14
	s_cbranch_execz .LBB257_273
; %bb.266:                              ;   in Loop: Header=BB257_12 Depth=1
	v_lshrrev_b32_e32 v4, 24, v14
	v_bfrev_b32_e32 v55, 1
	s_mov_b32 s42, exec_lo
	s_delay_alu instid0(VALU_DEP_2)
	v_cmpx_ne_u32_e32 0x80, v4
	s_cbranch_execz .LBB257_272
; %bb.267:                              ;   in Loop: Header=BB257_12 Depth=1
	v_and_b32_e32 v57, 0x7f, v4
	v_mov_b32_e32 v55, 0x7c010000
	s_mov_b32 s43, exec_lo
	s_delay_alu instid0(VALU_DEP_2)
	v_cmpx_ne_u32_e32 0x7f, v57
	s_cbranch_execz .LBB257_271
; %bb.268:                              ;   in Loop: Header=BB257_12 Depth=1
	v_dual_lshrrev_b32 v55, 3, v57 :: v_dual_bitop2_b32 v14, 7, v4 bitop3:0x40
	s_mov_b32 s44, exec_lo
	v_cmpx_gt_u32_e32 8, v57
; %bb.269:                              ;   in Loop: Header=BB257_12 Depth=1
	s_delay_alu instid0(VALU_DEP_2) | instskip(NEXT) | instid1(VALU_DEP_1)
	v_clz_i32_u32_e32 v14, v14
	v_min_u32_e32 v14, 32, v14
	s_delay_alu instid0(VALU_DEP_1) | instskip(NEXT) | instid1(VALU_DEP_1)
	v_subrev_nc_u32_e32 v55, 28, v14
	v_lshlrev_b64_e32 v[58:59], v55, v[4:5]
	v_sub_nc_u32_e32 v55, 29, v14
	s_delay_alu instid0(VALU_DEP_2)
	v_and_b32_e32 v14, 7, v58
; %bb.270:                              ;   in Loop: Header=BB257_12 Depth=1
	s_or_b32 exec_lo, exec_lo, s44
	s_delay_alu instid0(VALU_DEP_1) | instskip(NEXT) | instid1(VALU_DEP_3)
	v_dual_lshlrev_b32 v4, 8, v4 :: v_dual_lshlrev_b32 v14, 23, v14
	v_lshl_add_u32 v55, v55, 10, 0x2000
	s_delay_alu instid0(VALU_DEP_1) | instskip(NEXT) | instid1(VALU_DEP_1)
	v_and_or_b32 v4, 0x8000, v4, v55
	v_lshl_or_b32 v55, v4, 16, v14
.LBB257_271:                            ;   in Loop: Header=BB257_12 Depth=1
	s_or_b32 exec_lo, exec_lo, s43
.LBB257_272:                            ;   in Loop: Header=BB257_12 Depth=1
	s_delay_alu instid0(SALU_CYCLE_1)
	s_or_b32 exec_lo, exec_lo, s42
.LBB257_273:                            ;   in Loop: Header=BB257_12 Depth=1
	s_delay_alu instid0(SALU_CYCLE_1)
	s_or_b32 exec_lo, exec_lo, s41
	global_load_b32 v14, v[12:13], off offset:1024
	v_dual_mov_b32 v57, 0 :: v_dual_mov_b32 v58, 0
	s_mov_b32 s41, exec_lo
	s_wait_loadcnt 0x0
	v_and_b32_e32 v4, 0xff, v14
	s_delay_alu instid0(VALU_DEP_1)
	v_cmpx_ne_u16_e32 0, v4
	s_cbranch_execz .LBB257_281
; %bb.274:                              ;   in Loop: Header=BB257_12 Depth=1
	v_mov_b32_e32 v58, 0x8000
	s_mov_b32 s42, exec_lo
	v_cmpx_ne_u16_e32 0x80, v4
	s_cbranch_execz .LBB257_280
; %bb.275:                              ;   in Loop: Header=BB257_12 Depth=1
	v_and_b32_e32 v59, 0x7f, v14
	v_mov_b32_e32 v58, 0x7c01
	s_mov_b32 s43, exec_lo
	s_delay_alu instid0(VALU_DEP_2)
	v_cmpx_ne_u32_e32 0x7f, v59
	s_cbranch_execz .LBB257_279
; %bb.276:                              ;   in Loop: Header=BB257_12 Depth=1
	v_dual_lshrrev_b32 v58, 3, v59 :: v_dual_bitop2_b32 v4, 7, v14 bitop3:0x40
	s_mov_b32 s44, exec_lo
	v_cmpx_gt_u32_e32 8, v59
; %bb.277:                              ;   in Loop: Header=BB257_12 Depth=1
	s_delay_alu instid0(VALU_DEP_2) | instskip(NEXT) | instid1(VALU_DEP_1)
	v_clz_i32_u32_e32 v4, v4
	v_min_u32_e32 v4, 32, v4
	s_delay_alu instid0(VALU_DEP_1) | instskip(NEXT) | instid1(VALU_DEP_1)
	v_subrev_nc_u32_e32 v58, 28, v4
	v_lshlrev_b64_e32 v[60:61], v58, v[14:15]
	v_sub_nc_u32_e32 v58, 29, v4
	s_delay_alu instid0(VALU_DEP_2)
	v_and_b32_e32 v4, 7, v60
; %bb.278:                              ;   in Loop: Header=BB257_12 Depth=1
	s_or_b32 exec_lo, exec_lo, s44
	s_delay_alu instid0(VALU_DEP_1) | instskip(NEXT) | instid1(VALU_DEP_3)
	v_dual_lshlrev_b32 v59, 8, v14 :: v_dual_lshlrev_b32 v4, 7, v4
	v_lshl_add_u32 v58, v58, 10, 0x2000
	s_delay_alu instid0(VALU_DEP_2) | instskip(NEXT) | instid1(VALU_DEP_2)
	v_and_b32_e32 v59, 0x8000, v59
	v_and_b32_e32 v58, 0xfc00, v58
	s_delay_alu instid0(VALU_DEP_1)
	v_or3_b32 v58, v59, v58, v4
.LBB257_279:                            ;   in Loop: Header=BB257_12 Depth=1
	s_or_b32 exec_lo, exec_lo, s43
.LBB257_280:                            ;   in Loop: Header=BB257_12 Depth=1
	s_delay_alu instid0(SALU_CYCLE_1)
	s_or_b32 exec_lo, exec_lo, s42
.LBB257_281:                            ;   in Loop: Header=BB257_12 Depth=1
	s_delay_alu instid0(SALU_CYCLE_1) | instskip(SKIP_2) | instid1(VALU_DEP_1)
	s_or_b32 exec_lo, exec_lo, s41
	v_lshrrev_b16 v4, 8, v14
	s_mov_b32 s41, exec_lo
	v_cmpx_ne_u16_e32 0, v4
	s_cbranch_execz .LBB257_289
; %bb.282:                              ;   in Loop: Header=BB257_12 Depth=1
	v_bfrev_b32_e32 v57, 1
	s_mov_b32 s42, exec_lo
	v_cmpx_ne_u16_e32 0x80, v4
	s_cbranch_execz .LBB257_288
; %bb.283:                              ;   in Loop: Header=BB257_12 Depth=1
	v_and_b32_e32 v59, 0xffff, v4
	v_mov_b32_e32 v57, 0x7c010000
	s_mov_b32 s43, exec_lo
	s_delay_alu instid0(VALU_DEP_2) | instskip(NEXT) | instid1(VALU_DEP_1)
	v_and_b32_e32 v61, 0x7f, v59
	v_cmpx_ne_u32_e32 0x7f, v61
	s_cbranch_execz .LBB257_287
; %bb.284:                              ;   in Loop: Header=BB257_12 Depth=1
	v_dual_lshrrev_b32 v60, 3, v61 :: v_dual_bitop2_b32 v57, 7, v59 bitop3:0x40
	s_mov_b32 s44, exec_lo
	v_cmpx_gt_u32_e32 8, v61
; %bb.285:                              ;   in Loop: Header=BB257_12 Depth=1
	s_delay_alu instid0(VALU_DEP_2) | instskip(NEXT) | instid1(VALU_DEP_1)
	v_clz_i32_u32_e32 v57, v57
	v_min_u32_e32 v57, 32, v57
	s_delay_alu instid0(VALU_DEP_1) | instskip(NEXT) | instid1(VALU_DEP_1)
	v_subrev_nc_u32_e32 v60, 28, v57
	v_lshlrev_b64_e32 v[62:63], v60, v[4:5]
	s_delay_alu instid0(VALU_DEP_1)
	v_dual_sub_nc_u32 v60, 29, v57 :: v_dual_bitop2_b32 v57, 7, v62 bitop3:0x40
; %bb.286:                              ;   in Loop: Header=BB257_12 Depth=1
	s_or_b32 exec_lo, exec_lo, s44
	s_delay_alu instid0(VALU_DEP_1) | instskip(NEXT) | instid1(VALU_DEP_2)
	v_dual_lshlrev_b32 v4, 8, v59 :: v_dual_lshlrev_b32 v57, 23, v57
	v_lshl_add_u32 v59, v60, 10, 0x2000
	s_delay_alu instid0(VALU_DEP_1) | instskip(NEXT) | instid1(VALU_DEP_1)
	v_and_or_b32 v4, 0x8000, v4, v59
	v_lshl_or_b32 v57, v4, 16, v57
.LBB257_287:                            ;   in Loop: Header=BB257_12 Depth=1
	s_or_b32 exec_lo, exec_lo, s43
.LBB257_288:                            ;   in Loop: Header=BB257_12 Depth=1
	s_delay_alu instid0(SALU_CYCLE_1)
	s_or_b32 exec_lo, exec_lo, s42
.LBB257_289:                            ;   in Loop: Header=BB257_12 Depth=1
	s_delay_alu instid0(SALU_CYCLE_1) | instskip(SKIP_3) | instid1(VALU_DEP_2)
	s_or_b32 exec_lo, exec_lo, s41
	v_dual_mov_b32 v59, 0 :: v_dual_lshrrev_b32 v4, 16, v14
	v_mov_b32_e32 v60, 0
	s_mov_b32 s41, exec_lo
	v_and_b32_e32 v61, 0xff, v4
	s_delay_alu instid0(VALU_DEP_1)
	v_cmpx_ne_u16_e32 0, v61
	s_cbranch_execz .LBB257_297
; %bb.290:                              ;   in Loop: Header=BB257_12 Depth=1
	v_mov_b32_e32 v60, 0x8000
	s_mov_b32 s42, exec_lo
	v_cmpx_ne_u16_e32 0x80, v61
	s_cbranch_execz .LBB257_296
; %bb.291:                              ;   in Loop: Header=BB257_12 Depth=1
	v_bfe_u32 v62, v14, 16, 7
	v_mov_b32_e32 v60, 0x7c01
	s_mov_b32 s43, exec_lo
	s_delay_alu instid0(VALU_DEP_2)
	v_cmpx_ne_u32_e32 0x7f, v62
	s_cbranch_execz .LBB257_295
; %bb.292:                              ;   in Loop: Header=BB257_12 Depth=1
	v_dual_lshrrev_b32 v61, 3, v62 :: v_dual_bitop2_b32 v60, 7, v4 bitop3:0x40
	s_mov_b32 s44, exec_lo
	v_cmpx_gt_u32_e32 8, v62
; %bb.293:                              ;   in Loop: Header=BB257_12 Depth=1
	s_delay_alu instid0(VALU_DEP_2) | instskip(NEXT) | instid1(VALU_DEP_1)
	v_clz_i32_u32_e32 v60, v60
	v_min_u32_e32 v62, 32, v60
	s_delay_alu instid0(VALU_DEP_1) | instskip(NEXT) | instid1(VALU_DEP_1)
	v_subrev_nc_u32_e32 v60, 28, v62
	v_lshlrev_b64_e32 v[60:61], v60, v[4:5]
	s_delay_alu instid0(VALU_DEP_1)
	v_dual_sub_nc_u32 v61, 29, v62 :: v_dual_bitop2_b32 v60, 7, v60 bitop3:0x40
; %bb.294:                              ;   in Loop: Header=BB257_12 Depth=1
	s_or_b32 exec_lo, exec_lo, s44
	v_lshlrev_b32_e32 v4, 8, v4
	s_delay_alu instid0(VALU_DEP_2) | instskip(NEXT) | instid1(VALU_DEP_3)
	v_lshl_add_u32 v61, v61, 10, 0x2000
	v_lshlrev_b32_e32 v60, 7, v60
	s_delay_alu instid0(VALU_DEP_3) | instskip(NEXT) | instid1(VALU_DEP_3)
	v_and_b32_e32 v4, 0x8000, v4
	v_and_b32_e32 v61, 0xfc00, v61
	s_delay_alu instid0(VALU_DEP_1)
	v_or3_b32 v60, v4, v61, v60
.LBB257_295:                            ;   in Loop: Header=BB257_12 Depth=1
	s_or_b32 exec_lo, exec_lo, s43
.LBB257_296:                            ;   in Loop: Header=BB257_12 Depth=1
	s_delay_alu instid0(SALU_CYCLE_1)
	s_or_b32 exec_lo, exec_lo, s42
.LBB257_297:                            ;   in Loop: Header=BB257_12 Depth=1
	s_delay_alu instid0(SALU_CYCLE_1) | instskip(NEXT) | instid1(SALU_CYCLE_1)
	s_or_b32 exec_lo, exec_lo, s41
	s_mov_b32 s41, exec_lo
	v_cmpx_lt_u32_e32 0xffffff, v14
	s_cbranch_execz .LBB257_305
; %bb.298:                              ;   in Loop: Header=BB257_12 Depth=1
	v_lshrrev_b32_e32 v4, 24, v14
	v_bfrev_b32_e32 v59, 1
	s_mov_b32 s42, exec_lo
	s_delay_alu instid0(VALU_DEP_2)
	v_cmpx_ne_u32_e32 0x80, v4
	s_cbranch_execz .LBB257_304
; %bb.299:                              ;   in Loop: Header=BB257_12 Depth=1
	v_and_b32_e32 v61, 0x7f, v4
	v_mov_b32_e32 v59, 0x7c010000
	s_mov_b32 s43, exec_lo
	s_delay_alu instid0(VALU_DEP_2)
	v_cmpx_ne_u32_e32 0x7f, v61
	s_cbranch_execz .LBB257_303
; %bb.300:                              ;   in Loop: Header=BB257_12 Depth=1
	v_dual_lshrrev_b32 v59, 3, v61 :: v_dual_bitop2_b32 v14, 7, v4 bitop3:0x40
	s_mov_b32 s44, exec_lo
	v_cmpx_gt_u32_e32 8, v61
; %bb.301:                              ;   in Loop: Header=BB257_12 Depth=1
	s_delay_alu instid0(VALU_DEP_2) | instskip(NEXT) | instid1(VALU_DEP_1)
	v_clz_i32_u32_e32 v14, v14
	v_min_u32_e32 v14, 32, v14
	s_delay_alu instid0(VALU_DEP_1) | instskip(NEXT) | instid1(VALU_DEP_1)
	v_subrev_nc_u32_e32 v59, 28, v14
	v_lshlrev_b64_e32 v[62:63], v59, v[4:5]
	v_sub_nc_u32_e32 v59, 29, v14
	s_delay_alu instid0(VALU_DEP_2)
	v_and_b32_e32 v14, 7, v62
; %bb.302:                              ;   in Loop: Header=BB257_12 Depth=1
	s_or_b32 exec_lo, exec_lo, s44
	s_delay_alu instid0(VALU_DEP_1) | instskip(NEXT) | instid1(VALU_DEP_3)
	v_dual_lshlrev_b32 v4, 8, v4 :: v_dual_lshlrev_b32 v14, 23, v14
	v_lshl_add_u32 v59, v59, 10, 0x2000
	s_delay_alu instid0(VALU_DEP_1) | instskip(NEXT) | instid1(VALU_DEP_1)
	v_and_or_b32 v4, 0x8000, v4, v59
	v_lshl_or_b32 v59, v4, 16, v14
.LBB257_303:                            ;   in Loop: Header=BB257_12 Depth=1
	s_or_b32 exec_lo, exec_lo, s43
.LBB257_304:                            ;   in Loop: Header=BB257_12 Depth=1
	s_delay_alu instid0(SALU_CYCLE_1)
	s_or_b32 exec_lo, exec_lo, s42
.LBB257_305:                            ;   in Loop: Header=BB257_12 Depth=1
	s_delay_alu instid0(SALU_CYCLE_1)
	s_or_b32 exec_lo, exec_lo, s41
	global_load_b32 v14, v[12:13], off offset:1032
	v_dual_mov_b32 v61, 0 :: v_dual_mov_b32 v62, 0
	s_mov_b32 s41, exec_lo
	s_wait_loadcnt 0x0
	v_and_b32_e32 v4, 0xff, v14
	s_delay_alu instid0(VALU_DEP_1)
	v_cmpx_ne_u16_e32 0, v4
	s_cbranch_execz .LBB257_313
; %bb.306:                              ;   in Loop: Header=BB257_12 Depth=1
	v_mov_b32_e32 v62, 0x8000
	s_mov_b32 s42, exec_lo
	v_cmpx_ne_u16_e32 0x80, v4
	s_cbranch_execz .LBB257_312
; %bb.307:                              ;   in Loop: Header=BB257_12 Depth=1
	v_and_b32_e32 v63, 0x7f, v14
	v_mov_b32_e32 v62, 0x7c01
	s_mov_b32 s43, exec_lo
	s_delay_alu instid0(VALU_DEP_2)
	v_cmpx_ne_u32_e32 0x7f, v63
	s_cbranch_execz .LBB257_311
; %bb.308:                              ;   in Loop: Header=BB257_12 Depth=1
	v_dual_lshrrev_b32 v62, 3, v63 :: v_dual_bitop2_b32 v4, 7, v14 bitop3:0x40
	s_mov_b32 s44, exec_lo
	v_cmpx_gt_u32_e32 8, v63
; %bb.309:                              ;   in Loop: Header=BB257_12 Depth=1
	s_delay_alu instid0(VALU_DEP_2) | instskip(NEXT) | instid1(VALU_DEP_1)
	v_clz_i32_u32_e32 v4, v4
	v_min_u32_e32 v4, 32, v4
	s_delay_alu instid0(VALU_DEP_1) | instskip(NEXT) | instid1(VALU_DEP_1)
	v_subrev_nc_u32_e32 v62, 28, v4
	v_lshlrev_b64_e32 v[64:65], v62, v[14:15]
	v_sub_nc_u32_e32 v62, 29, v4
	s_delay_alu instid0(VALU_DEP_2)
	v_and_b32_e32 v4, 7, v64
; %bb.310:                              ;   in Loop: Header=BB257_12 Depth=1
	s_or_b32 exec_lo, exec_lo, s44
	s_delay_alu instid0(VALU_DEP_1) | instskip(NEXT) | instid1(VALU_DEP_3)
	v_dual_lshlrev_b32 v63, 8, v14 :: v_dual_lshlrev_b32 v4, 7, v4
	v_lshl_add_u32 v62, v62, 10, 0x2000
	s_delay_alu instid0(VALU_DEP_2) | instskip(NEXT) | instid1(VALU_DEP_2)
	v_and_b32_e32 v63, 0x8000, v63
	v_and_b32_e32 v62, 0xfc00, v62
	s_delay_alu instid0(VALU_DEP_1)
	v_or3_b32 v62, v63, v62, v4
.LBB257_311:                            ;   in Loop: Header=BB257_12 Depth=1
	s_or_b32 exec_lo, exec_lo, s43
.LBB257_312:                            ;   in Loop: Header=BB257_12 Depth=1
	s_delay_alu instid0(SALU_CYCLE_1)
	s_or_b32 exec_lo, exec_lo, s42
.LBB257_313:                            ;   in Loop: Header=BB257_12 Depth=1
	s_delay_alu instid0(SALU_CYCLE_1) | instskip(SKIP_2) | instid1(VALU_DEP_1)
	s_or_b32 exec_lo, exec_lo, s41
	v_lshrrev_b16 v4, 8, v14
	s_mov_b32 s41, exec_lo
	v_cmpx_ne_u16_e32 0, v4
	s_cbranch_execz .LBB257_321
; %bb.314:                              ;   in Loop: Header=BB257_12 Depth=1
	v_bfrev_b32_e32 v61, 1
	s_mov_b32 s42, exec_lo
	v_cmpx_ne_u16_e32 0x80, v4
	s_cbranch_execz .LBB257_320
; %bb.315:                              ;   in Loop: Header=BB257_12 Depth=1
	v_and_b32_e32 v63, 0xffff, v4
	v_mov_b32_e32 v61, 0x7c010000
	s_mov_b32 s43, exec_lo
	s_delay_alu instid0(VALU_DEP_2) | instskip(NEXT) | instid1(VALU_DEP_1)
	v_and_b32_e32 v65, 0x7f, v63
	v_cmpx_ne_u32_e32 0x7f, v65
	s_cbranch_execz .LBB257_319
; %bb.316:                              ;   in Loop: Header=BB257_12 Depth=1
	v_dual_lshrrev_b32 v64, 3, v65 :: v_dual_bitop2_b32 v61, 7, v63 bitop3:0x40
	s_mov_b32 s44, exec_lo
	v_cmpx_gt_u32_e32 8, v65
; %bb.317:                              ;   in Loop: Header=BB257_12 Depth=1
	s_delay_alu instid0(VALU_DEP_2) | instskip(NEXT) | instid1(VALU_DEP_1)
	v_clz_i32_u32_e32 v61, v61
	v_min_u32_e32 v61, 32, v61
	s_delay_alu instid0(VALU_DEP_1) | instskip(NEXT) | instid1(VALU_DEP_1)
	v_subrev_nc_u32_e32 v64, 28, v61
	v_lshlrev_b64_e32 v[66:67], v64, v[4:5]
	s_delay_alu instid0(VALU_DEP_1)
	v_dual_sub_nc_u32 v64, 29, v61 :: v_dual_bitop2_b32 v61, 7, v66 bitop3:0x40
; %bb.318:                              ;   in Loop: Header=BB257_12 Depth=1
	s_or_b32 exec_lo, exec_lo, s44
	s_delay_alu instid0(VALU_DEP_1) | instskip(NEXT) | instid1(VALU_DEP_2)
	v_dual_lshlrev_b32 v4, 8, v63 :: v_dual_lshlrev_b32 v61, 23, v61
	v_lshl_add_u32 v63, v64, 10, 0x2000
	s_delay_alu instid0(VALU_DEP_1) | instskip(NEXT) | instid1(VALU_DEP_1)
	v_and_or_b32 v4, 0x8000, v4, v63
	v_lshl_or_b32 v61, v4, 16, v61
.LBB257_319:                            ;   in Loop: Header=BB257_12 Depth=1
	s_or_b32 exec_lo, exec_lo, s43
.LBB257_320:                            ;   in Loop: Header=BB257_12 Depth=1
	s_delay_alu instid0(SALU_CYCLE_1)
	s_or_b32 exec_lo, exec_lo, s42
.LBB257_321:                            ;   in Loop: Header=BB257_12 Depth=1
	s_delay_alu instid0(SALU_CYCLE_1) | instskip(SKIP_3) | instid1(VALU_DEP_2)
	s_or_b32 exec_lo, exec_lo, s41
	v_dual_mov_b32 v63, 0 :: v_dual_lshrrev_b32 v4, 16, v14
	v_mov_b32_e32 v64, 0
	s_mov_b32 s41, exec_lo
	v_and_b32_e32 v65, 0xff, v4
	s_delay_alu instid0(VALU_DEP_1)
	v_cmpx_ne_u16_e32 0, v65
	s_cbranch_execz .LBB257_329
; %bb.322:                              ;   in Loop: Header=BB257_12 Depth=1
	v_mov_b32_e32 v64, 0x8000
	s_mov_b32 s42, exec_lo
	v_cmpx_ne_u16_e32 0x80, v65
	s_cbranch_execz .LBB257_328
; %bb.323:                              ;   in Loop: Header=BB257_12 Depth=1
	v_bfe_u32 v66, v14, 16, 7
	v_mov_b32_e32 v64, 0x7c01
	s_mov_b32 s43, exec_lo
	s_delay_alu instid0(VALU_DEP_2)
	v_cmpx_ne_u32_e32 0x7f, v66
	s_cbranch_execz .LBB257_327
; %bb.324:                              ;   in Loop: Header=BB257_12 Depth=1
	v_dual_lshrrev_b32 v65, 3, v66 :: v_dual_bitop2_b32 v64, 7, v4 bitop3:0x40
	s_mov_b32 s44, exec_lo
	v_cmpx_gt_u32_e32 8, v66
; %bb.325:                              ;   in Loop: Header=BB257_12 Depth=1
	s_delay_alu instid0(VALU_DEP_2) | instskip(NEXT) | instid1(VALU_DEP_1)
	v_clz_i32_u32_e32 v64, v64
	v_min_u32_e32 v66, 32, v64
	s_delay_alu instid0(VALU_DEP_1) | instskip(NEXT) | instid1(VALU_DEP_1)
	v_subrev_nc_u32_e32 v64, 28, v66
	v_lshlrev_b64_e32 v[64:65], v64, v[4:5]
	s_delay_alu instid0(VALU_DEP_1)
	v_dual_sub_nc_u32 v65, 29, v66 :: v_dual_bitop2_b32 v64, 7, v64 bitop3:0x40
; %bb.326:                              ;   in Loop: Header=BB257_12 Depth=1
	s_or_b32 exec_lo, exec_lo, s44
	v_lshlrev_b32_e32 v4, 8, v4
	s_delay_alu instid0(VALU_DEP_2) | instskip(NEXT) | instid1(VALU_DEP_3)
	v_lshl_add_u32 v65, v65, 10, 0x2000
	v_lshlrev_b32_e32 v64, 7, v64
	s_delay_alu instid0(VALU_DEP_3) | instskip(NEXT) | instid1(VALU_DEP_3)
	v_and_b32_e32 v4, 0x8000, v4
	v_and_b32_e32 v65, 0xfc00, v65
	s_delay_alu instid0(VALU_DEP_1)
	v_or3_b32 v64, v4, v65, v64
.LBB257_327:                            ;   in Loop: Header=BB257_12 Depth=1
	s_or_b32 exec_lo, exec_lo, s43
.LBB257_328:                            ;   in Loop: Header=BB257_12 Depth=1
	s_delay_alu instid0(SALU_CYCLE_1)
	s_or_b32 exec_lo, exec_lo, s42
.LBB257_329:                            ;   in Loop: Header=BB257_12 Depth=1
	s_delay_alu instid0(SALU_CYCLE_1) | instskip(NEXT) | instid1(SALU_CYCLE_1)
	s_or_b32 exec_lo, exec_lo, s41
	s_mov_b32 s41, exec_lo
	v_cmpx_lt_u32_e32 0xffffff, v14
	s_cbranch_execz .LBB257_337
; %bb.330:                              ;   in Loop: Header=BB257_12 Depth=1
	v_lshrrev_b32_e32 v4, 24, v14
	v_bfrev_b32_e32 v63, 1
	s_mov_b32 s42, exec_lo
	s_delay_alu instid0(VALU_DEP_2)
	v_cmpx_ne_u32_e32 0x80, v4
	s_cbranch_execz .LBB257_336
; %bb.331:                              ;   in Loop: Header=BB257_12 Depth=1
	v_and_b32_e32 v65, 0x7f, v4
	v_mov_b32_e32 v63, 0x7c010000
	s_mov_b32 s43, exec_lo
	s_delay_alu instid0(VALU_DEP_2)
	v_cmpx_ne_u32_e32 0x7f, v65
	s_cbranch_execz .LBB257_335
; %bb.332:                              ;   in Loop: Header=BB257_12 Depth=1
	v_dual_lshrrev_b32 v63, 3, v65 :: v_dual_bitop2_b32 v14, 7, v4 bitop3:0x40
	s_mov_b32 s44, exec_lo
	v_cmpx_gt_u32_e32 8, v65
; %bb.333:                              ;   in Loop: Header=BB257_12 Depth=1
	s_delay_alu instid0(VALU_DEP_2) | instskip(NEXT) | instid1(VALU_DEP_1)
	v_clz_i32_u32_e32 v14, v14
	v_min_u32_e32 v14, 32, v14
	s_delay_alu instid0(VALU_DEP_1) | instskip(NEXT) | instid1(VALU_DEP_1)
	v_subrev_nc_u32_e32 v63, 28, v14
	v_lshlrev_b64_e32 v[66:67], v63, v[4:5]
	v_sub_nc_u32_e32 v63, 29, v14
	s_delay_alu instid0(VALU_DEP_2)
	v_and_b32_e32 v14, 7, v66
; %bb.334:                              ;   in Loop: Header=BB257_12 Depth=1
	s_or_b32 exec_lo, exec_lo, s44
	s_delay_alu instid0(VALU_DEP_1) | instskip(NEXT) | instid1(VALU_DEP_3)
	v_dual_lshlrev_b32 v4, 8, v4 :: v_dual_lshlrev_b32 v14, 23, v14
	v_lshl_add_u32 v63, v63, 10, 0x2000
	s_delay_alu instid0(VALU_DEP_1) | instskip(NEXT) | instid1(VALU_DEP_1)
	v_and_or_b32 v4, 0x8000, v4, v63
	v_lshl_or_b32 v63, v4, 16, v14
.LBB257_335:                            ;   in Loop: Header=BB257_12 Depth=1
	s_or_b32 exec_lo, exec_lo, s43
.LBB257_336:                            ;   in Loop: Header=BB257_12 Depth=1
	s_delay_alu instid0(SALU_CYCLE_1)
	s_or_b32 exec_lo, exec_lo, s42
.LBB257_337:                            ;   in Loop: Header=BB257_12 Depth=1
	s_delay_alu instid0(SALU_CYCLE_1)
	s_or_b32 exec_lo, exec_lo, s41
	global_load_b32 v14, v[12:13], off offset:1280
	v_dual_mov_b32 v65, 0 :: v_dual_mov_b32 v66, 0
	s_mov_b32 s41, exec_lo
	s_wait_loadcnt 0x0
	v_and_b32_e32 v4, 0xff, v14
	s_delay_alu instid0(VALU_DEP_1)
	v_cmpx_ne_u16_e32 0, v4
	s_cbranch_execz .LBB257_345
; %bb.338:                              ;   in Loop: Header=BB257_12 Depth=1
	v_mov_b32_e32 v66, 0x8000
	s_mov_b32 s42, exec_lo
	v_cmpx_ne_u16_e32 0x80, v4
	s_cbranch_execz .LBB257_344
; %bb.339:                              ;   in Loop: Header=BB257_12 Depth=1
	v_and_b32_e32 v67, 0x7f, v14
	v_mov_b32_e32 v66, 0x7c01
	s_mov_b32 s43, exec_lo
	s_delay_alu instid0(VALU_DEP_2)
	v_cmpx_ne_u32_e32 0x7f, v67
	s_cbranch_execz .LBB257_343
; %bb.340:                              ;   in Loop: Header=BB257_12 Depth=1
	v_dual_lshrrev_b32 v66, 3, v67 :: v_dual_bitop2_b32 v4, 7, v14 bitop3:0x40
	s_mov_b32 s44, exec_lo
	v_cmpx_gt_u32_e32 8, v67
; %bb.341:                              ;   in Loop: Header=BB257_12 Depth=1
	s_delay_alu instid0(VALU_DEP_2) | instskip(NEXT) | instid1(VALU_DEP_1)
	v_clz_i32_u32_e32 v4, v4
	v_min_u32_e32 v4, 32, v4
	s_delay_alu instid0(VALU_DEP_1) | instskip(NEXT) | instid1(VALU_DEP_1)
	v_subrev_nc_u32_e32 v66, 28, v4
	v_lshlrev_b64_e32 v[68:69], v66, v[14:15]
	v_sub_nc_u32_e32 v66, 29, v4
	s_delay_alu instid0(VALU_DEP_2)
	v_and_b32_e32 v4, 7, v68
; %bb.342:                              ;   in Loop: Header=BB257_12 Depth=1
	s_or_b32 exec_lo, exec_lo, s44
	s_delay_alu instid0(VALU_DEP_1) | instskip(NEXT) | instid1(VALU_DEP_3)
	v_dual_lshlrev_b32 v67, 8, v14 :: v_dual_lshlrev_b32 v4, 7, v4
	v_lshl_add_u32 v66, v66, 10, 0x2000
	s_delay_alu instid0(VALU_DEP_2) | instskip(NEXT) | instid1(VALU_DEP_2)
	v_and_b32_e32 v67, 0x8000, v67
	v_and_b32_e32 v66, 0xfc00, v66
	s_delay_alu instid0(VALU_DEP_1)
	v_or3_b32 v66, v67, v66, v4
.LBB257_343:                            ;   in Loop: Header=BB257_12 Depth=1
	s_or_b32 exec_lo, exec_lo, s43
.LBB257_344:                            ;   in Loop: Header=BB257_12 Depth=1
	s_delay_alu instid0(SALU_CYCLE_1)
	s_or_b32 exec_lo, exec_lo, s42
.LBB257_345:                            ;   in Loop: Header=BB257_12 Depth=1
	s_delay_alu instid0(SALU_CYCLE_1) | instskip(SKIP_2) | instid1(VALU_DEP_1)
	s_or_b32 exec_lo, exec_lo, s41
	v_lshrrev_b16 v4, 8, v14
	s_mov_b32 s41, exec_lo
	v_cmpx_ne_u16_e32 0, v4
	s_cbranch_execz .LBB257_353
; %bb.346:                              ;   in Loop: Header=BB257_12 Depth=1
	v_bfrev_b32_e32 v65, 1
	s_mov_b32 s42, exec_lo
	v_cmpx_ne_u16_e32 0x80, v4
	s_cbranch_execz .LBB257_352
; %bb.347:                              ;   in Loop: Header=BB257_12 Depth=1
	v_and_b32_e32 v67, 0xffff, v4
	v_mov_b32_e32 v65, 0x7c010000
	s_mov_b32 s43, exec_lo
	s_delay_alu instid0(VALU_DEP_2) | instskip(NEXT) | instid1(VALU_DEP_1)
	v_and_b32_e32 v69, 0x7f, v67
	v_cmpx_ne_u32_e32 0x7f, v69
	s_cbranch_execz .LBB257_351
; %bb.348:                              ;   in Loop: Header=BB257_12 Depth=1
	v_dual_lshrrev_b32 v68, 3, v69 :: v_dual_bitop2_b32 v65, 7, v67 bitop3:0x40
	s_mov_b32 s44, exec_lo
	v_cmpx_gt_u32_e32 8, v69
; %bb.349:                              ;   in Loop: Header=BB257_12 Depth=1
	s_delay_alu instid0(VALU_DEP_2) | instskip(NEXT) | instid1(VALU_DEP_1)
	v_clz_i32_u32_e32 v65, v65
	v_min_u32_e32 v65, 32, v65
	s_delay_alu instid0(VALU_DEP_1) | instskip(NEXT) | instid1(VALU_DEP_1)
	v_subrev_nc_u32_e32 v68, 28, v65
	v_lshlrev_b64_e32 v[70:71], v68, v[4:5]
	s_delay_alu instid0(VALU_DEP_1)
	v_dual_sub_nc_u32 v68, 29, v65 :: v_dual_bitop2_b32 v65, 7, v70 bitop3:0x40
; %bb.350:                              ;   in Loop: Header=BB257_12 Depth=1
	s_or_b32 exec_lo, exec_lo, s44
	s_delay_alu instid0(VALU_DEP_1) | instskip(NEXT) | instid1(VALU_DEP_2)
	v_dual_lshlrev_b32 v4, 8, v67 :: v_dual_lshlrev_b32 v65, 23, v65
	v_lshl_add_u32 v67, v68, 10, 0x2000
	s_delay_alu instid0(VALU_DEP_1) | instskip(NEXT) | instid1(VALU_DEP_1)
	v_and_or_b32 v4, 0x8000, v4, v67
	v_lshl_or_b32 v65, v4, 16, v65
.LBB257_351:                            ;   in Loop: Header=BB257_12 Depth=1
	s_or_b32 exec_lo, exec_lo, s43
.LBB257_352:                            ;   in Loop: Header=BB257_12 Depth=1
	s_delay_alu instid0(SALU_CYCLE_1)
	s_or_b32 exec_lo, exec_lo, s42
.LBB257_353:                            ;   in Loop: Header=BB257_12 Depth=1
	s_delay_alu instid0(SALU_CYCLE_1) | instskip(SKIP_3) | instid1(VALU_DEP_2)
	s_or_b32 exec_lo, exec_lo, s41
	v_dual_mov_b32 v67, 0 :: v_dual_lshrrev_b32 v4, 16, v14
	v_mov_b32_e32 v68, 0
	s_mov_b32 s41, exec_lo
	v_and_b32_e32 v69, 0xff, v4
	s_delay_alu instid0(VALU_DEP_1)
	v_cmpx_ne_u16_e32 0, v69
	s_cbranch_execz .LBB257_361
; %bb.354:                              ;   in Loop: Header=BB257_12 Depth=1
	v_mov_b32_e32 v68, 0x8000
	s_mov_b32 s42, exec_lo
	v_cmpx_ne_u16_e32 0x80, v69
	s_cbranch_execz .LBB257_360
; %bb.355:                              ;   in Loop: Header=BB257_12 Depth=1
	v_bfe_u32 v70, v14, 16, 7
	v_mov_b32_e32 v68, 0x7c01
	s_mov_b32 s43, exec_lo
	s_delay_alu instid0(VALU_DEP_2)
	v_cmpx_ne_u32_e32 0x7f, v70
	s_cbranch_execz .LBB257_359
; %bb.356:                              ;   in Loop: Header=BB257_12 Depth=1
	v_dual_lshrrev_b32 v69, 3, v70 :: v_dual_bitop2_b32 v68, 7, v4 bitop3:0x40
	s_mov_b32 s44, exec_lo
	v_cmpx_gt_u32_e32 8, v70
; %bb.357:                              ;   in Loop: Header=BB257_12 Depth=1
	s_delay_alu instid0(VALU_DEP_2) | instskip(NEXT) | instid1(VALU_DEP_1)
	v_clz_i32_u32_e32 v68, v68
	v_min_u32_e32 v70, 32, v68
	s_delay_alu instid0(VALU_DEP_1) | instskip(NEXT) | instid1(VALU_DEP_1)
	v_subrev_nc_u32_e32 v68, 28, v70
	v_lshlrev_b64_e32 v[68:69], v68, v[4:5]
	s_delay_alu instid0(VALU_DEP_1)
	v_dual_sub_nc_u32 v69, 29, v70 :: v_dual_bitop2_b32 v68, 7, v68 bitop3:0x40
; %bb.358:                              ;   in Loop: Header=BB257_12 Depth=1
	s_or_b32 exec_lo, exec_lo, s44
	v_lshlrev_b32_e32 v4, 8, v4
	s_delay_alu instid0(VALU_DEP_2) | instskip(NEXT) | instid1(VALU_DEP_3)
	v_lshl_add_u32 v69, v69, 10, 0x2000
	v_lshlrev_b32_e32 v68, 7, v68
	s_delay_alu instid0(VALU_DEP_3) | instskip(NEXT) | instid1(VALU_DEP_3)
	v_and_b32_e32 v4, 0x8000, v4
	v_and_b32_e32 v69, 0xfc00, v69
	s_delay_alu instid0(VALU_DEP_1)
	v_or3_b32 v68, v4, v69, v68
.LBB257_359:                            ;   in Loop: Header=BB257_12 Depth=1
	s_or_b32 exec_lo, exec_lo, s43
.LBB257_360:                            ;   in Loop: Header=BB257_12 Depth=1
	s_delay_alu instid0(SALU_CYCLE_1)
	s_or_b32 exec_lo, exec_lo, s42
.LBB257_361:                            ;   in Loop: Header=BB257_12 Depth=1
	s_delay_alu instid0(SALU_CYCLE_1) | instskip(NEXT) | instid1(SALU_CYCLE_1)
	s_or_b32 exec_lo, exec_lo, s41
	s_mov_b32 s41, exec_lo
	v_cmpx_lt_u32_e32 0xffffff, v14
	s_cbranch_execz .LBB257_369
; %bb.362:                              ;   in Loop: Header=BB257_12 Depth=1
	v_lshrrev_b32_e32 v4, 24, v14
	v_bfrev_b32_e32 v67, 1
	s_mov_b32 s42, exec_lo
	s_delay_alu instid0(VALU_DEP_2)
	v_cmpx_ne_u32_e32 0x80, v4
	s_cbranch_execz .LBB257_368
; %bb.363:                              ;   in Loop: Header=BB257_12 Depth=1
	v_and_b32_e32 v69, 0x7f, v4
	v_mov_b32_e32 v67, 0x7c010000
	s_mov_b32 s43, exec_lo
	s_delay_alu instid0(VALU_DEP_2)
	v_cmpx_ne_u32_e32 0x7f, v69
	s_cbranch_execz .LBB257_367
; %bb.364:                              ;   in Loop: Header=BB257_12 Depth=1
	v_dual_lshrrev_b32 v67, 3, v69 :: v_dual_bitop2_b32 v14, 7, v4 bitop3:0x40
	s_mov_b32 s44, exec_lo
	v_cmpx_gt_u32_e32 8, v69
; %bb.365:                              ;   in Loop: Header=BB257_12 Depth=1
	s_delay_alu instid0(VALU_DEP_2) | instskip(NEXT) | instid1(VALU_DEP_1)
	v_clz_i32_u32_e32 v14, v14
	v_min_u32_e32 v14, 32, v14
	s_delay_alu instid0(VALU_DEP_1) | instskip(NEXT) | instid1(VALU_DEP_1)
	v_subrev_nc_u32_e32 v67, 28, v14
	v_lshlrev_b64_e32 v[70:71], v67, v[4:5]
	v_sub_nc_u32_e32 v67, 29, v14
	s_delay_alu instid0(VALU_DEP_2)
	v_and_b32_e32 v14, 7, v70
; %bb.366:                              ;   in Loop: Header=BB257_12 Depth=1
	s_or_b32 exec_lo, exec_lo, s44
	s_delay_alu instid0(VALU_DEP_1) | instskip(NEXT) | instid1(VALU_DEP_3)
	v_dual_lshlrev_b32 v4, 8, v4 :: v_dual_lshlrev_b32 v14, 23, v14
	v_lshl_add_u32 v67, v67, 10, 0x2000
	s_delay_alu instid0(VALU_DEP_1) | instskip(NEXT) | instid1(VALU_DEP_1)
	v_and_or_b32 v4, 0x8000, v4, v67
	v_lshl_or_b32 v67, v4, 16, v14
.LBB257_367:                            ;   in Loop: Header=BB257_12 Depth=1
	s_or_b32 exec_lo, exec_lo, s43
.LBB257_368:                            ;   in Loop: Header=BB257_12 Depth=1
	s_delay_alu instid0(SALU_CYCLE_1)
	s_or_b32 exec_lo, exec_lo, s42
.LBB257_369:                            ;   in Loop: Header=BB257_12 Depth=1
	s_delay_alu instid0(SALU_CYCLE_1)
	s_or_b32 exec_lo, exec_lo, s41
	global_load_b32 v14, v[12:13], off offset:1288
	v_dual_mov_b32 v69, 0 :: v_dual_mov_b32 v70, 0
	s_mov_b32 s41, exec_lo
	s_wait_loadcnt 0x0
	v_and_b32_e32 v4, 0xff, v14
	s_delay_alu instid0(VALU_DEP_1)
	v_cmpx_ne_u16_e32 0, v4
	s_cbranch_execz .LBB257_377
; %bb.370:                              ;   in Loop: Header=BB257_12 Depth=1
	v_mov_b32_e32 v70, 0x8000
	s_mov_b32 s42, exec_lo
	v_cmpx_ne_u16_e32 0x80, v4
	s_cbranch_execz .LBB257_376
; %bb.371:                              ;   in Loop: Header=BB257_12 Depth=1
	v_and_b32_e32 v71, 0x7f, v14
	v_mov_b32_e32 v70, 0x7c01
	s_mov_b32 s43, exec_lo
	s_delay_alu instid0(VALU_DEP_2)
	v_cmpx_ne_u32_e32 0x7f, v71
	s_cbranch_execz .LBB257_375
; %bb.372:                              ;   in Loop: Header=BB257_12 Depth=1
	v_dual_lshrrev_b32 v70, 3, v71 :: v_dual_bitop2_b32 v4, 7, v14 bitop3:0x40
	s_mov_b32 s44, exec_lo
	v_cmpx_gt_u32_e32 8, v71
; %bb.373:                              ;   in Loop: Header=BB257_12 Depth=1
	s_delay_alu instid0(VALU_DEP_2) | instskip(NEXT) | instid1(VALU_DEP_1)
	v_clz_i32_u32_e32 v4, v4
	v_min_u32_e32 v4, 32, v4
	s_delay_alu instid0(VALU_DEP_1) | instskip(NEXT) | instid1(VALU_DEP_1)
	v_subrev_nc_u32_e32 v70, 28, v4
	v_lshlrev_b64_e32 v[72:73], v70, v[14:15]
	v_sub_nc_u32_e32 v70, 29, v4
	s_delay_alu instid0(VALU_DEP_2)
	v_and_b32_e32 v4, 7, v72
; %bb.374:                              ;   in Loop: Header=BB257_12 Depth=1
	s_or_b32 exec_lo, exec_lo, s44
	s_delay_alu instid0(VALU_DEP_1) | instskip(NEXT) | instid1(VALU_DEP_3)
	v_dual_lshlrev_b32 v71, 8, v14 :: v_dual_lshlrev_b32 v4, 7, v4
	v_lshl_add_u32 v70, v70, 10, 0x2000
	s_delay_alu instid0(VALU_DEP_2) | instskip(NEXT) | instid1(VALU_DEP_2)
	v_and_b32_e32 v71, 0x8000, v71
	v_and_b32_e32 v70, 0xfc00, v70
	s_delay_alu instid0(VALU_DEP_1)
	v_or3_b32 v70, v71, v70, v4
.LBB257_375:                            ;   in Loop: Header=BB257_12 Depth=1
	s_or_b32 exec_lo, exec_lo, s43
.LBB257_376:                            ;   in Loop: Header=BB257_12 Depth=1
	s_delay_alu instid0(SALU_CYCLE_1)
	s_or_b32 exec_lo, exec_lo, s42
.LBB257_377:                            ;   in Loop: Header=BB257_12 Depth=1
	s_delay_alu instid0(SALU_CYCLE_1) | instskip(SKIP_2) | instid1(VALU_DEP_1)
	s_or_b32 exec_lo, exec_lo, s41
	v_lshrrev_b16 v4, 8, v14
	s_mov_b32 s41, exec_lo
	v_cmpx_ne_u16_e32 0, v4
	s_cbranch_execz .LBB257_385
; %bb.378:                              ;   in Loop: Header=BB257_12 Depth=1
	v_bfrev_b32_e32 v69, 1
	s_mov_b32 s42, exec_lo
	v_cmpx_ne_u16_e32 0x80, v4
	s_cbranch_execz .LBB257_384
; %bb.379:                              ;   in Loop: Header=BB257_12 Depth=1
	v_and_b32_e32 v71, 0xffff, v4
	v_mov_b32_e32 v69, 0x7c010000
	s_mov_b32 s43, exec_lo
	s_delay_alu instid0(VALU_DEP_2) | instskip(NEXT) | instid1(VALU_DEP_1)
	v_and_b32_e32 v73, 0x7f, v71
	v_cmpx_ne_u32_e32 0x7f, v73
	s_cbranch_execz .LBB257_383
; %bb.380:                              ;   in Loop: Header=BB257_12 Depth=1
	v_dual_lshrrev_b32 v72, 3, v73 :: v_dual_bitop2_b32 v69, 7, v71 bitop3:0x40
	s_mov_b32 s44, exec_lo
	v_cmpx_gt_u32_e32 8, v73
; %bb.381:                              ;   in Loop: Header=BB257_12 Depth=1
	s_delay_alu instid0(VALU_DEP_2) | instskip(NEXT) | instid1(VALU_DEP_1)
	v_clz_i32_u32_e32 v69, v69
	v_min_u32_e32 v69, 32, v69
	s_delay_alu instid0(VALU_DEP_1) | instskip(NEXT) | instid1(VALU_DEP_1)
	v_subrev_nc_u32_e32 v72, 28, v69
	v_lshlrev_b64_e32 v[74:75], v72, v[4:5]
	s_delay_alu instid0(VALU_DEP_1)
	v_dual_sub_nc_u32 v72, 29, v69 :: v_dual_bitop2_b32 v69, 7, v74 bitop3:0x40
; %bb.382:                              ;   in Loop: Header=BB257_12 Depth=1
	s_or_b32 exec_lo, exec_lo, s44
	s_delay_alu instid0(VALU_DEP_1) | instskip(NEXT) | instid1(VALU_DEP_2)
	v_dual_lshlrev_b32 v4, 8, v71 :: v_dual_lshlrev_b32 v69, 23, v69
	v_lshl_add_u32 v71, v72, 10, 0x2000
	s_delay_alu instid0(VALU_DEP_1) | instskip(NEXT) | instid1(VALU_DEP_1)
	v_and_or_b32 v4, 0x8000, v4, v71
	v_lshl_or_b32 v69, v4, 16, v69
.LBB257_383:                            ;   in Loop: Header=BB257_12 Depth=1
	s_or_b32 exec_lo, exec_lo, s43
.LBB257_384:                            ;   in Loop: Header=BB257_12 Depth=1
	s_delay_alu instid0(SALU_CYCLE_1)
	s_or_b32 exec_lo, exec_lo, s42
.LBB257_385:                            ;   in Loop: Header=BB257_12 Depth=1
	s_delay_alu instid0(SALU_CYCLE_1) | instskip(SKIP_3) | instid1(VALU_DEP_2)
	s_or_b32 exec_lo, exec_lo, s41
	v_dual_mov_b32 v71, 0 :: v_dual_lshrrev_b32 v4, 16, v14
	v_mov_b32_e32 v72, 0
	s_mov_b32 s41, exec_lo
	v_and_b32_e32 v73, 0xff, v4
	s_delay_alu instid0(VALU_DEP_1)
	v_cmpx_ne_u16_e32 0, v73
	s_cbranch_execz .LBB257_393
; %bb.386:                              ;   in Loop: Header=BB257_12 Depth=1
	v_mov_b32_e32 v72, 0x8000
	s_mov_b32 s42, exec_lo
	v_cmpx_ne_u16_e32 0x80, v73
	s_cbranch_execz .LBB257_392
; %bb.387:                              ;   in Loop: Header=BB257_12 Depth=1
	v_bfe_u32 v74, v14, 16, 7
	v_mov_b32_e32 v72, 0x7c01
	s_mov_b32 s43, exec_lo
	s_delay_alu instid0(VALU_DEP_2)
	v_cmpx_ne_u32_e32 0x7f, v74
	s_cbranch_execz .LBB257_391
; %bb.388:                              ;   in Loop: Header=BB257_12 Depth=1
	v_dual_lshrrev_b32 v73, 3, v74 :: v_dual_bitop2_b32 v72, 7, v4 bitop3:0x40
	s_mov_b32 s44, exec_lo
	v_cmpx_gt_u32_e32 8, v74
; %bb.389:                              ;   in Loop: Header=BB257_12 Depth=1
	s_delay_alu instid0(VALU_DEP_2) | instskip(NEXT) | instid1(VALU_DEP_1)
	v_clz_i32_u32_e32 v72, v72
	v_min_u32_e32 v74, 32, v72
	s_delay_alu instid0(VALU_DEP_1) | instskip(NEXT) | instid1(VALU_DEP_1)
	v_subrev_nc_u32_e32 v72, 28, v74
	v_lshlrev_b64_e32 v[72:73], v72, v[4:5]
	s_delay_alu instid0(VALU_DEP_1)
	v_dual_sub_nc_u32 v73, 29, v74 :: v_dual_bitop2_b32 v72, 7, v72 bitop3:0x40
; %bb.390:                              ;   in Loop: Header=BB257_12 Depth=1
	s_or_b32 exec_lo, exec_lo, s44
	v_lshlrev_b32_e32 v4, 8, v4
	s_delay_alu instid0(VALU_DEP_2) | instskip(NEXT) | instid1(VALU_DEP_3)
	v_lshl_add_u32 v73, v73, 10, 0x2000
	v_lshlrev_b32_e32 v72, 7, v72
	s_delay_alu instid0(VALU_DEP_3) | instskip(NEXT) | instid1(VALU_DEP_3)
	v_and_b32_e32 v4, 0x8000, v4
	v_and_b32_e32 v73, 0xfc00, v73
	s_delay_alu instid0(VALU_DEP_1)
	v_or3_b32 v72, v4, v73, v72
.LBB257_391:                            ;   in Loop: Header=BB257_12 Depth=1
	s_or_b32 exec_lo, exec_lo, s43
.LBB257_392:                            ;   in Loop: Header=BB257_12 Depth=1
	s_delay_alu instid0(SALU_CYCLE_1)
	s_or_b32 exec_lo, exec_lo, s42
.LBB257_393:                            ;   in Loop: Header=BB257_12 Depth=1
	s_delay_alu instid0(SALU_CYCLE_1) | instskip(NEXT) | instid1(SALU_CYCLE_1)
	s_or_b32 exec_lo, exec_lo, s41
	s_mov_b32 s41, exec_lo
	v_cmpx_lt_u32_e32 0xffffff, v14
	s_cbranch_execz .LBB257_401
; %bb.394:                              ;   in Loop: Header=BB257_12 Depth=1
	v_lshrrev_b32_e32 v4, 24, v14
	v_bfrev_b32_e32 v71, 1
	s_mov_b32 s42, exec_lo
	s_delay_alu instid0(VALU_DEP_2)
	v_cmpx_ne_u32_e32 0x80, v4
	s_cbranch_execz .LBB257_400
; %bb.395:                              ;   in Loop: Header=BB257_12 Depth=1
	v_and_b32_e32 v73, 0x7f, v4
	v_mov_b32_e32 v71, 0x7c010000
	s_mov_b32 s43, exec_lo
	s_delay_alu instid0(VALU_DEP_2)
	v_cmpx_ne_u32_e32 0x7f, v73
	s_cbranch_execz .LBB257_399
; %bb.396:                              ;   in Loop: Header=BB257_12 Depth=1
	v_dual_lshrrev_b32 v71, 3, v73 :: v_dual_bitop2_b32 v14, 7, v4 bitop3:0x40
	s_mov_b32 s44, exec_lo
	v_cmpx_gt_u32_e32 8, v73
; %bb.397:                              ;   in Loop: Header=BB257_12 Depth=1
	s_delay_alu instid0(VALU_DEP_2) | instskip(NEXT) | instid1(VALU_DEP_1)
	v_clz_i32_u32_e32 v14, v14
	v_min_u32_e32 v14, 32, v14
	s_delay_alu instid0(VALU_DEP_1) | instskip(NEXT) | instid1(VALU_DEP_1)
	v_subrev_nc_u32_e32 v71, 28, v14
	v_lshlrev_b64_e32 v[74:75], v71, v[4:5]
	v_sub_nc_u32_e32 v71, 29, v14
	s_delay_alu instid0(VALU_DEP_2)
	v_and_b32_e32 v14, 7, v74
; %bb.398:                              ;   in Loop: Header=BB257_12 Depth=1
	s_or_b32 exec_lo, exec_lo, s44
	s_delay_alu instid0(VALU_DEP_1) | instskip(NEXT) | instid1(VALU_DEP_3)
	v_dual_lshlrev_b32 v4, 8, v4 :: v_dual_lshlrev_b32 v14, 23, v14
	v_lshl_add_u32 v71, v71, 10, 0x2000
	s_delay_alu instid0(VALU_DEP_1) | instskip(NEXT) | instid1(VALU_DEP_1)
	v_and_or_b32 v4, 0x8000, v4, v71
	v_lshl_or_b32 v71, v4, 16, v14
.LBB257_399:                            ;   in Loop: Header=BB257_12 Depth=1
	s_or_b32 exec_lo, exec_lo, s43
.LBB257_400:                            ;   in Loop: Header=BB257_12 Depth=1
	s_delay_alu instid0(SALU_CYCLE_1)
	s_or_b32 exec_lo, exec_lo, s42
.LBB257_401:                            ;   in Loop: Header=BB257_12 Depth=1
	s_delay_alu instid0(SALU_CYCLE_1)
	s_or_b32 exec_lo, exec_lo, s41
	global_load_b32 v14, v[12:13], off offset:1536
	v_dual_mov_b32 v73, 0 :: v_dual_mov_b32 v74, 0
	s_mov_b32 s41, exec_lo
	s_wait_loadcnt 0x0
	v_and_b32_e32 v4, 0xff, v14
	s_delay_alu instid0(VALU_DEP_1)
	v_cmpx_ne_u16_e32 0, v4
	s_cbranch_execz .LBB257_409
; %bb.402:                              ;   in Loop: Header=BB257_12 Depth=1
	v_mov_b32_e32 v74, 0x8000
	s_mov_b32 s42, exec_lo
	v_cmpx_ne_u16_e32 0x80, v4
	s_cbranch_execz .LBB257_408
; %bb.403:                              ;   in Loop: Header=BB257_12 Depth=1
	v_and_b32_e32 v75, 0x7f, v14
	v_mov_b32_e32 v74, 0x7c01
	s_mov_b32 s43, exec_lo
	s_delay_alu instid0(VALU_DEP_2)
	v_cmpx_ne_u32_e32 0x7f, v75
	s_cbranch_execz .LBB257_407
; %bb.404:                              ;   in Loop: Header=BB257_12 Depth=1
	v_dual_lshrrev_b32 v74, 3, v75 :: v_dual_bitop2_b32 v4, 7, v14 bitop3:0x40
	s_mov_b32 s44, exec_lo
	v_cmpx_gt_u32_e32 8, v75
; %bb.405:                              ;   in Loop: Header=BB257_12 Depth=1
	s_delay_alu instid0(VALU_DEP_2) | instskip(NEXT) | instid1(VALU_DEP_1)
	v_clz_i32_u32_e32 v4, v4
	v_min_u32_e32 v4, 32, v4
	s_delay_alu instid0(VALU_DEP_1) | instskip(NEXT) | instid1(VALU_DEP_1)
	v_subrev_nc_u32_e32 v74, 28, v4
	v_lshlrev_b64_e32 v[76:77], v74, v[14:15]
	v_sub_nc_u32_e32 v74, 29, v4
	s_delay_alu instid0(VALU_DEP_2)
	v_and_b32_e32 v4, 7, v76
; %bb.406:                              ;   in Loop: Header=BB257_12 Depth=1
	s_or_b32 exec_lo, exec_lo, s44
	s_delay_alu instid0(VALU_DEP_1) | instskip(NEXT) | instid1(VALU_DEP_3)
	v_dual_lshlrev_b32 v75, 8, v14 :: v_dual_lshlrev_b32 v4, 7, v4
	v_lshl_add_u32 v74, v74, 10, 0x2000
	s_delay_alu instid0(VALU_DEP_2) | instskip(NEXT) | instid1(VALU_DEP_2)
	v_and_b32_e32 v75, 0x8000, v75
	v_and_b32_e32 v74, 0xfc00, v74
	s_delay_alu instid0(VALU_DEP_1)
	v_or3_b32 v74, v75, v74, v4
.LBB257_407:                            ;   in Loop: Header=BB257_12 Depth=1
	s_or_b32 exec_lo, exec_lo, s43
.LBB257_408:                            ;   in Loop: Header=BB257_12 Depth=1
	s_delay_alu instid0(SALU_CYCLE_1)
	s_or_b32 exec_lo, exec_lo, s42
.LBB257_409:                            ;   in Loop: Header=BB257_12 Depth=1
	s_delay_alu instid0(SALU_CYCLE_1) | instskip(SKIP_2) | instid1(VALU_DEP_1)
	s_or_b32 exec_lo, exec_lo, s41
	v_lshrrev_b16 v4, 8, v14
	s_mov_b32 s41, exec_lo
	v_cmpx_ne_u16_e32 0, v4
	s_cbranch_execz .LBB257_417
; %bb.410:                              ;   in Loop: Header=BB257_12 Depth=1
	v_bfrev_b32_e32 v73, 1
	s_mov_b32 s42, exec_lo
	v_cmpx_ne_u16_e32 0x80, v4
	s_cbranch_execz .LBB257_416
; %bb.411:                              ;   in Loop: Header=BB257_12 Depth=1
	v_and_b32_e32 v75, 0xffff, v4
	v_mov_b32_e32 v73, 0x7c010000
	s_mov_b32 s43, exec_lo
	s_delay_alu instid0(VALU_DEP_2) | instskip(NEXT) | instid1(VALU_DEP_1)
	v_and_b32_e32 v77, 0x7f, v75
	v_cmpx_ne_u32_e32 0x7f, v77
	s_cbranch_execz .LBB257_415
; %bb.412:                              ;   in Loop: Header=BB257_12 Depth=1
	v_dual_lshrrev_b32 v76, 3, v77 :: v_dual_bitop2_b32 v73, 7, v75 bitop3:0x40
	s_mov_b32 s44, exec_lo
	v_cmpx_gt_u32_e32 8, v77
; %bb.413:                              ;   in Loop: Header=BB257_12 Depth=1
	s_delay_alu instid0(VALU_DEP_2) | instskip(NEXT) | instid1(VALU_DEP_1)
	v_clz_i32_u32_e32 v73, v73
	v_min_u32_e32 v73, 32, v73
	s_delay_alu instid0(VALU_DEP_1) | instskip(NEXT) | instid1(VALU_DEP_1)
	v_subrev_nc_u32_e32 v76, 28, v73
	v_lshlrev_b64_e32 v[78:79], v76, v[4:5]
	s_delay_alu instid0(VALU_DEP_1)
	v_dual_sub_nc_u32 v76, 29, v73 :: v_dual_bitop2_b32 v73, 7, v78 bitop3:0x40
; %bb.414:                              ;   in Loop: Header=BB257_12 Depth=1
	s_or_b32 exec_lo, exec_lo, s44
	s_delay_alu instid0(VALU_DEP_1) | instskip(NEXT) | instid1(VALU_DEP_2)
	v_dual_lshlrev_b32 v4, 8, v75 :: v_dual_lshlrev_b32 v73, 23, v73
	v_lshl_add_u32 v75, v76, 10, 0x2000
	s_delay_alu instid0(VALU_DEP_1) | instskip(NEXT) | instid1(VALU_DEP_1)
	v_and_or_b32 v4, 0x8000, v4, v75
	v_lshl_or_b32 v73, v4, 16, v73
.LBB257_415:                            ;   in Loop: Header=BB257_12 Depth=1
	s_or_b32 exec_lo, exec_lo, s43
.LBB257_416:                            ;   in Loop: Header=BB257_12 Depth=1
	s_delay_alu instid0(SALU_CYCLE_1)
	s_or_b32 exec_lo, exec_lo, s42
.LBB257_417:                            ;   in Loop: Header=BB257_12 Depth=1
	s_delay_alu instid0(SALU_CYCLE_1) | instskip(SKIP_3) | instid1(VALU_DEP_2)
	s_or_b32 exec_lo, exec_lo, s41
	v_dual_mov_b32 v75, 0 :: v_dual_lshrrev_b32 v4, 16, v14
	v_mov_b32_e32 v76, 0
	s_mov_b32 s41, exec_lo
	v_and_b32_e32 v77, 0xff, v4
	s_delay_alu instid0(VALU_DEP_1)
	v_cmpx_ne_u16_e32 0, v77
	s_cbranch_execz .LBB257_425
; %bb.418:                              ;   in Loop: Header=BB257_12 Depth=1
	v_mov_b32_e32 v76, 0x8000
	s_mov_b32 s42, exec_lo
	v_cmpx_ne_u16_e32 0x80, v77
	s_cbranch_execz .LBB257_424
; %bb.419:                              ;   in Loop: Header=BB257_12 Depth=1
	v_bfe_u32 v78, v14, 16, 7
	v_mov_b32_e32 v76, 0x7c01
	s_mov_b32 s43, exec_lo
	s_delay_alu instid0(VALU_DEP_2)
	v_cmpx_ne_u32_e32 0x7f, v78
	s_cbranch_execz .LBB257_423
; %bb.420:                              ;   in Loop: Header=BB257_12 Depth=1
	v_dual_lshrrev_b32 v77, 3, v78 :: v_dual_bitop2_b32 v76, 7, v4 bitop3:0x40
	s_mov_b32 s44, exec_lo
	v_cmpx_gt_u32_e32 8, v78
; %bb.421:                              ;   in Loop: Header=BB257_12 Depth=1
	s_delay_alu instid0(VALU_DEP_2) | instskip(NEXT) | instid1(VALU_DEP_1)
	v_clz_i32_u32_e32 v76, v76
	v_min_u32_e32 v78, 32, v76
	s_delay_alu instid0(VALU_DEP_1) | instskip(NEXT) | instid1(VALU_DEP_1)
	v_subrev_nc_u32_e32 v76, 28, v78
	v_lshlrev_b64_e32 v[76:77], v76, v[4:5]
	s_delay_alu instid0(VALU_DEP_1)
	v_dual_sub_nc_u32 v77, 29, v78 :: v_dual_bitop2_b32 v76, 7, v76 bitop3:0x40
; %bb.422:                              ;   in Loop: Header=BB257_12 Depth=1
	s_or_b32 exec_lo, exec_lo, s44
	v_lshlrev_b32_e32 v4, 8, v4
	s_delay_alu instid0(VALU_DEP_2) | instskip(NEXT) | instid1(VALU_DEP_3)
	v_lshl_add_u32 v77, v77, 10, 0x2000
	v_lshlrev_b32_e32 v76, 7, v76
	s_delay_alu instid0(VALU_DEP_3) | instskip(NEXT) | instid1(VALU_DEP_3)
	v_and_b32_e32 v4, 0x8000, v4
	v_and_b32_e32 v77, 0xfc00, v77
	s_delay_alu instid0(VALU_DEP_1)
	v_or3_b32 v76, v4, v77, v76
.LBB257_423:                            ;   in Loop: Header=BB257_12 Depth=1
	s_or_b32 exec_lo, exec_lo, s43
.LBB257_424:                            ;   in Loop: Header=BB257_12 Depth=1
	s_delay_alu instid0(SALU_CYCLE_1)
	s_or_b32 exec_lo, exec_lo, s42
.LBB257_425:                            ;   in Loop: Header=BB257_12 Depth=1
	s_delay_alu instid0(SALU_CYCLE_1) | instskip(NEXT) | instid1(SALU_CYCLE_1)
	s_or_b32 exec_lo, exec_lo, s41
	s_mov_b32 s41, exec_lo
	v_cmpx_lt_u32_e32 0xffffff, v14
	s_cbranch_execz .LBB257_433
; %bb.426:                              ;   in Loop: Header=BB257_12 Depth=1
	v_lshrrev_b32_e32 v4, 24, v14
	v_bfrev_b32_e32 v75, 1
	s_mov_b32 s42, exec_lo
	s_delay_alu instid0(VALU_DEP_2)
	v_cmpx_ne_u32_e32 0x80, v4
	s_cbranch_execz .LBB257_432
; %bb.427:                              ;   in Loop: Header=BB257_12 Depth=1
	v_and_b32_e32 v77, 0x7f, v4
	v_mov_b32_e32 v75, 0x7c010000
	s_mov_b32 s43, exec_lo
	s_delay_alu instid0(VALU_DEP_2)
	v_cmpx_ne_u32_e32 0x7f, v77
	s_cbranch_execz .LBB257_431
; %bb.428:                              ;   in Loop: Header=BB257_12 Depth=1
	v_dual_lshrrev_b32 v75, 3, v77 :: v_dual_bitop2_b32 v14, 7, v4 bitop3:0x40
	s_mov_b32 s44, exec_lo
	v_cmpx_gt_u32_e32 8, v77
; %bb.429:                              ;   in Loop: Header=BB257_12 Depth=1
	s_delay_alu instid0(VALU_DEP_2) | instskip(NEXT) | instid1(VALU_DEP_1)
	v_clz_i32_u32_e32 v14, v14
	v_min_u32_e32 v14, 32, v14
	s_delay_alu instid0(VALU_DEP_1) | instskip(NEXT) | instid1(VALU_DEP_1)
	v_subrev_nc_u32_e32 v75, 28, v14
	v_lshlrev_b64_e32 v[78:79], v75, v[4:5]
	v_sub_nc_u32_e32 v75, 29, v14
	s_delay_alu instid0(VALU_DEP_2)
	v_and_b32_e32 v14, 7, v78
; %bb.430:                              ;   in Loop: Header=BB257_12 Depth=1
	s_or_b32 exec_lo, exec_lo, s44
	s_delay_alu instid0(VALU_DEP_1) | instskip(NEXT) | instid1(VALU_DEP_3)
	v_dual_lshlrev_b32 v4, 8, v4 :: v_dual_lshlrev_b32 v14, 23, v14
	v_lshl_add_u32 v75, v75, 10, 0x2000
	s_delay_alu instid0(VALU_DEP_1) | instskip(NEXT) | instid1(VALU_DEP_1)
	v_and_or_b32 v4, 0x8000, v4, v75
	v_lshl_or_b32 v75, v4, 16, v14
.LBB257_431:                            ;   in Loop: Header=BB257_12 Depth=1
	s_or_b32 exec_lo, exec_lo, s43
.LBB257_432:                            ;   in Loop: Header=BB257_12 Depth=1
	s_delay_alu instid0(SALU_CYCLE_1)
	s_or_b32 exec_lo, exec_lo, s42
.LBB257_433:                            ;   in Loop: Header=BB257_12 Depth=1
	s_delay_alu instid0(SALU_CYCLE_1)
	s_or_b32 exec_lo, exec_lo, s41
	global_load_b32 v14, v[12:13], off offset:1544
	v_dual_mov_b32 v77, 0 :: v_dual_mov_b32 v78, 0
	s_mov_b32 s41, exec_lo
	s_wait_loadcnt 0x0
	v_and_b32_e32 v4, 0xff, v14
	s_delay_alu instid0(VALU_DEP_1)
	v_cmpx_ne_u16_e32 0, v4
	s_cbranch_execz .LBB257_441
; %bb.434:                              ;   in Loop: Header=BB257_12 Depth=1
	v_mov_b32_e32 v78, 0x8000
	s_mov_b32 s42, exec_lo
	v_cmpx_ne_u16_e32 0x80, v4
	s_cbranch_execz .LBB257_440
; %bb.435:                              ;   in Loop: Header=BB257_12 Depth=1
	v_and_b32_e32 v79, 0x7f, v14
	v_mov_b32_e32 v78, 0x7c01
	s_mov_b32 s43, exec_lo
	s_delay_alu instid0(VALU_DEP_2)
	v_cmpx_ne_u32_e32 0x7f, v79
	s_cbranch_execz .LBB257_439
; %bb.436:                              ;   in Loop: Header=BB257_12 Depth=1
	v_dual_lshrrev_b32 v78, 3, v79 :: v_dual_bitop2_b32 v4, 7, v14 bitop3:0x40
	s_mov_b32 s44, exec_lo
	v_cmpx_gt_u32_e32 8, v79
; %bb.437:                              ;   in Loop: Header=BB257_12 Depth=1
	s_delay_alu instid0(VALU_DEP_2) | instskip(NEXT) | instid1(VALU_DEP_1)
	v_clz_i32_u32_e32 v4, v4
	v_min_u32_e32 v4, 32, v4
	s_delay_alu instid0(VALU_DEP_1) | instskip(NEXT) | instid1(VALU_DEP_1)
	v_subrev_nc_u32_e32 v78, 28, v4
	v_lshlrev_b64_e32 v[80:81], v78, v[14:15]
	v_sub_nc_u32_e32 v78, 29, v4
	s_delay_alu instid0(VALU_DEP_2)
	v_and_b32_e32 v4, 7, v80
; %bb.438:                              ;   in Loop: Header=BB257_12 Depth=1
	s_or_b32 exec_lo, exec_lo, s44
	s_delay_alu instid0(VALU_DEP_1) | instskip(NEXT) | instid1(VALU_DEP_3)
	v_dual_lshlrev_b32 v79, 8, v14 :: v_dual_lshlrev_b32 v4, 7, v4
	v_lshl_add_u32 v78, v78, 10, 0x2000
	s_delay_alu instid0(VALU_DEP_2) | instskip(NEXT) | instid1(VALU_DEP_2)
	v_and_b32_e32 v79, 0x8000, v79
	v_and_b32_e32 v78, 0xfc00, v78
	s_delay_alu instid0(VALU_DEP_1)
	v_or3_b32 v78, v79, v78, v4
.LBB257_439:                            ;   in Loop: Header=BB257_12 Depth=1
	s_or_b32 exec_lo, exec_lo, s43
.LBB257_440:                            ;   in Loop: Header=BB257_12 Depth=1
	s_delay_alu instid0(SALU_CYCLE_1)
	s_or_b32 exec_lo, exec_lo, s42
.LBB257_441:                            ;   in Loop: Header=BB257_12 Depth=1
	s_delay_alu instid0(SALU_CYCLE_1) | instskip(SKIP_2) | instid1(VALU_DEP_1)
	s_or_b32 exec_lo, exec_lo, s41
	v_lshrrev_b16 v4, 8, v14
	s_mov_b32 s41, exec_lo
	v_cmpx_ne_u16_e32 0, v4
	s_cbranch_execz .LBB257_449
; %bb.442:                              ;   in Loop: Header=BB257_12 Depth=1
	v_bfrev_b32_e32 v77, 1
	s_mov_b32 s42, exec_lo
	v_cmpx_ne_u16_e32 0x80, v4
	s_cbranch_execz .LBB257_448
; %bb.443:                              ;   in Loop: Header=BB257_12 Depth=1
	v_and_b32_e32 v79, 0xffff, v4
	v_mov_b32_e32 v77, 0x7c010000
	s_mov_b32 s43, exec_lo
	s_delay_alu instid0(VALU_DEP_2) | instskip(NEXT) | instid1(VALU_DEP_1)
	v_and_b32_e32 v81, 0x7f, v79
	v_cmpx_ne_u32_e32 0x7f, v81
	s_cbranch_execz .LBB257_447
; %bb.444:                              ;   in Loop: Header=BB257_12 Depth=1
	v_dual_lshrrev_b32 v80, 3, v81 :: v_dual_bitop2_b32 v77, 7, v79 bitop3:0x40
	s_mov_b32 s44, exec_lo
	v_cmpx_gt_u32_e32 8, v81
; %bb.445:                              ;   in Loop: Header=BB257_12 Depth=1
	s_delay_alu instid0(VALU_DEP_2) | instskip(NEXT) | instid1(VALU_DEP_1)
	v_clz_i32_u32_e32 v77, v77
	v_min_u32_e32 v77, 32, v77
	s_delay_alu instid0(VALU_DEP_1) | instskip(NEXT) | instid1(VALU_DEP_1)
	v_subrev_nc_u32_e32 v80, 28, v77
	v_lshlrev_b64_e32 v[82:83], v80, v[4:5]
	s_delay_alu instid0(VALU_DEP_1)
	v_dual_sub_nc_u32 v80, 29, v77 :: v_dual_bitop2_b32 v77, 7, v82 bitop3:0x40
; %bb.446:                              ;   in Loop: Header=BB257_12 Depth=1
	s_or_b32 exec_lo, exec_lo, s44
	s_delay_alu instid0(VALU_DEP_1) | instskip(NEXT) | instid1(VALU_DEP_2)
	v_dual_lshlrev_b32 v4, 8, v79 :: v_dual_lshlrev_b32 v77, 23, v77
	v_lshl_add_u32 v79, v80, 10, 0x2000
	s_delay_alu instid0(VALU_DEP_1) | instskip(NEXT) | instid1(VALU_DEP_1)
	v_and_or_b32 v4, 0x8000, v4, v79
	v_lshl_or_b32 v77, v4, 16, v77
.LBB257_447:                            ;   in Loop: Header=BB257_12 Depth=1
	s_or_b32 exec_lo, exec_lo, s43
.LBB257_448:                            ;   in Loop: Header=BB257_12 Depth=1
	s_delay_alu instid0(SALU_CYCLE_1)
	s_or_b32 exec_lo, exec_lo, s42
.LBB257_449:                            ;   in Loop: Header=BB257_12 Depth=1
	s_delay_alu instid0(SALU_CYCLE_1) | instskip(SKIP_3) | instid1(VALU_DEP_2)
	s_or_b32 exec_lo, exec_lo, s41
	v_dual_mov_b32 v79, 0 :: v_dual_lshrrev_b32 v4, 16, v14
	v_mov_b32_e32 v80, 0
	s_mov_b32 s41, exec_lo
	v_and_b32_e32 v81, 0xff, v4
	s_delay_alu instid0(VALU_DEP_1)
	v_cmpx_ne_u16_e32 0, v81
	s_cbranch_execz .LBB257_457
; %bb.450:                              ;   in Loop: Header=BB257_12 Depth=1
	v_mov_b32_e32 v80, 0x8000
	s_mov_b32 s42, exec_lo
	v_cmpx_ne_u16_e32 0x80, v81
	s_cbranch_execz .LBB257_456
; %bb.451:                              ;   in Loop: Header=BB257_12 Depth=1
	v_bfe_u32 v82, v14, 16, 7
	v_mov_b32_e32 v80, 0x7c01
	s_mov_b32 s43, exec_lo
	s_delay_alu instid0(VALU_DEP_2)
	v_cmpx_ne_u32_e32 0x7f, v82
	s_cbranch_execz .LBB257_455
; %bb.452:                              ;   in Loop: Header=BB257_12 Depth=1
	v_dual_lshrrev_b32 v81, 3, v82 :: v_dual_bitop2_b32 v80, 7, v4 bitop3:0x40
	s_mov_b32 s44, exec_lo
	v_cmpx_gt_u32_e32 8, v82
; %bb.453:                              ;   in Loop: Header=BB257_12 Depth=1
	s_delay_alu instid0(VALU_DEP_2) | instskip(NEXT) | instid1(VALU_DEP_1)
	v_clz_i32_u32_e32 v80, v80
	v_min_u32_e32 v82, 32, v80
	s_delay_alu instid0(VALU_DEP_1) | instskip(NEXT) | instid1(VALU_DEP_1)
	v_subrev_nc_u32_e32 v80, 28, v82
	v_lshlrev_b64_e32 v[80:81], v80, v[4:5]
	s_delay_alu instid0(VALU_DEP_1)
	v_dual_sub_nc_u32 v81, 29, v82 :: v_dual_bitop2_b32 v80, 7, v80 bitop3:0x40
; %bb.454:                              ;   in Loop: Header=BB257_12 Depth=1
	s_or_b32 exec_lo, exec_lo, s44
	v_lshlrev_b32_e32 v4, 8, v4
	s_delay_alu instid0(VALU_DEP_2) | instskip(NEXT) | instid1(VALU_DEP_3)
	v_lshl_add_u32 v81, v81, 10, 0x2000
	v_lshlrev_b32_e32 v80, 7, v80
	s_delay_alu instid0(VALU_DEP_3) | instskip(NEXT) | instid1(VALU_DEP_3)
	v_and_b32_e32 v4, 0x8000, v4
	v_and_b32_e32 v81, 0xfc00, v81
	s_delay_alu instid0(VALU_DEP_1)
	v_or3_b32 v80, v4, v81, v80
.LBB257_455:                            ;   in Loop: Header=BB257_12 Depth=1
	s_or_b32 exec_lo, exec_lo, s43
.LBB257_456:                            ;   in Loop: Header=BB257_12 Depth=1
	s_delay_alu instid0(SALU_CYCLE_1)
	s_or_b32 exec_lo, exec_lo, s42
.LBB257_457:                            ;   in Loop: Header=BB257_12 Depth=1
	s_delay_alu instid0(SALU_CYCLE_1) | instskip(NEXT) | instid1(SALU_CYCLE_1)
	s_or_b32 exec_lo, exec_lo, s41
	s_mov_b32 s41, exec_lo
	v_cmpx_lt_u32_e32 0xffffff, v14
	s_cbranch_execz .LBB257_465
; %bb.458:                              ;   in Loop: Header=BB257_12 Depth=1
	v_lshrrev_b32_e32 v4, 24, v14
	v_bfrev_b32_e32 v79, 1
	s_mov_b32 s42, exec_lo
	s_delay_alu instid0(VALU_DEP_2)
	v_cmpx_ne_u32_e32 0x80, v4
	s_cbranch_execz .LBB257_464
; %bb.459:                              ;   in Loop: Header=BB257_12 Depth=1
	v_and_b32_e32 v81, 0x7f, v4
	v_mov_b32_e32 v79, 0x7c010000
	s_mov_b32 s43, exec_lo
	s_delay_alu instid0(VALU_DEP_2)
	v_cmpx_ne_u32_e32 0x7f, v81
	s_cbranch_execz .LBB257_463
; %bb.460:                              ;   in Loop: Header=BB257_12 Depth=1
	v_dual_lshrrev_b32 v79, 3, v81 :: v_dual_bitop2_b32 v14, 7, v4 bitop3:0x40
	s_mov_b32 s44, exec_lo
	v_cmpx_gt_u32_e32 8, v81
; %bb.461:                              ;   in Loop: Header=BB257_12 Depth=1
	s_delay_alu instid0(VALU_DEP_2) | instskip(NEXT) | instid1(VALU_DEP_1)
	v_clz_i32_u32_e32 v14, v14
	v_min_u32_e32 v14, 32, v14
	s_delay_alu instid0(VALU_DEP_1) | instskip(NEXT) | instid1(VALU_DEP_1)
	v_subrev_nc_u32_e32 v79, 28, v14
	v_lshlrev_b64_e32 v[82:83], v79, v[4:5]
	v_sub_nc_u32_e32 v79, 29, v14
	s_delay_alu instid0(VALU_DEP_2)
	v_and_b32_e32 v14, 7, v82
; %bb.462:                              ;   in Loop: Header=BB257_12 Depth=1
	s_or_b32 exec_lo, exec_lo, s44
	s_delay_alu instid0(VALU_DEP_1) | instskip(NEXT) | instid1(VALU_DEP_3)
	v_dual_lshlrev_b32 v4, 8, v4 :: v_dual_lshlrev_b32 v14, 23, v14
	v_lshl_add_u32 v79, v79, 10, 0x2000
	s_delay_alu instid0(VALU_DEP_1) | instskip(NEXT) | instid1(VALU_DEP_1)
	v_and_or_b32 v4, 0x8000, v4, v79
	v_lshl_or_b32 v79, v4, 16, v14
.LBB257_463:                            ;   in Loop: Header=BB257_12 Depth=1
	s_or_b32 exec_lo, exec_lo, s43
.LBB257_464:                            ;   in Loop: Header=BB257_12 Depth=1
	s_delay_alu instid0(SALU_CYCLE_1)
	s_or_b32 exec_lo, exec_lo, s42
.LBB257_465:                            ;   in Loop: Header=BB257_12 Depth=1
	s_delay_alu instid0(SALU_CYCLE_1)
	s_or_b32 exec_lo, exec_lo, s41
	global_load_b32 v12, v[12:13], off offset:1792
	v_dual_mov_b32 v14, 0 :: v_dual_mov_b32 v81, 0
	s_mov_b32 s41, exec_lo
	s_wait_loadcnt 0x0
	v_and_b32_e32 v4, 0xff, v12
	s_delay_alu instid0(VALU_DEP_1)
	v_cmpx_ne_u16_e32 0, v4
	s_cbranch_execz .LBB257_473
; %bb.466:                              ;   in Loop: Header=BB257_12 Depth=1
	v_mov_b32_e32 v81, 0x8000
	s_mov_b32 s42, exec_lo
	v_cmpx_ne_u16_e32 0x80, v4
	s_cbranch_execz .LBB257_472
; %bb.467:                              ;   in Loop: Header=BB257_12 Depth=1
	v_and_b32_e32 v82, 0x7f, v12
	v_mov_b32_e32 v81, 0x7c01
	s_mov_b32 s43, exec_lo
	s_delay_alu instid0(VALU_DEP_2)
	v_cmpx_ne_u32_e32 0x7f, v82
	s_cbranch_execz .LBB257_471
; %bb.468:                              ;   in Loop: Header=BB257_12 Depth=1
	v_dual_lshrrev_b32 v13, 3, v82 :: v_dual_bitop2_b32 v4, 7, v12 bitop3:0x40
	s_mov_b32 s44, exec_lo
	v_cmpx_gt_u32_e32 8, v82
; %bb.469:                              ;   in Loop: Header=BB257_12 Depth=1
	s_delay_alu instid0(VALU_DEP_2) | instskip(NEXT) | instid1(VALU_DEP_1)
	v_clz_i32_u32_e32 v4, v4
	v_min_u32_e32 v4, 32, v4
	s_delay_alu instid0(VALU_DEP_1) | instskip(NEXT) | instid1(VALU_DEP_1)
	v_subrev_nc_u32_e32 v13, 28, v4
	v_lshlrev_b64_e32 v[82:83], v13, v[12:13]
	s_delay_alu instid0(VALU_DEP_1)
	v_dual_sub_nc_u32 v13, 29, v4 :: v_dual_bitop2_b32 v4, 7, v82 bitop3:0x40
; %bb.470:                              ;   in Loop: Header=BB257_12 Depth=1
	s_or_b32 exec_lo, exec_lo, s44
	v_lshlrev_b32_e32 v81, 8, v12
	s_delay_alu instid0(VALU_DEP_2) | instskip(NEXT) | instid1(VALU_DEP_3)
	v_lshl_add_u32 v13, v13, 10, 0x2000
	v_lshlrev_b32_e32 v4, 7, v4
	s_delay_alu instid0(VALU_DEP_3) | instskip(NEXT) | instid1(VALU_DEP_3)
	v_and_b32_e32 v81, 0x8000, v81
	v_and_b32_e32 v13, 0xfc00, v13
	s_delay_alu instid0(VALU_DEP_1)
	v_or3_b32 v81, v81, v13, v4
.LBB257_471:                            ;   in Loop: Header=BB257_12 Depth=1
	s_or_b32 exec_lo, exec_lo, s43
.LBB257_472:                            ;   in Loop: Header=BB257_12 Depth=1
	s_delay_alu instid0(SALU_CYCLE_1)
	s_or_b32 exec_lo, exec_lo, s42
.LBB257_473:                            ;   in Loop: Header=BB257_12 Depth=1
	s_delay_alu instid0(SALU_CYCLE_1) | instskip(SKIP_2) | instid1(VALU_DEP_1)
	s_or_b32 exec_lo, exec_lo, s41
	v_lshrrev_b16 v4, 8, v12
	s_mov_b32 s41, exec_lo
	v_cmpx_ne_u16_e32 0, v4
	s_cbranch_execz .LBB257_481
; %bb.474:                              ;   in Loop: Header=BB257_12 Depth=1
	v_bfrev_b32_e32 v14, 1
	s_mov_b32 s42, exec_lo
	v_cmpx_ne_u16_e32 0x80, v4
	s_cbranch_execz .LBB257_480
; %bb.475:                              ;   in Loop: Header=BB257_12 Depth=1
	v_and_b32_e32 v13, 0xffff, v4
	v_mov_b32_e32 v14, 0x7c010000
	s_mov_b32 s43, exec_lo
	s_delay_alu instid0(VALU_DEP_2) | instskip(NEXT) | instid1(VALU_DEP_1)
	v_and_b32_e32 v83, 0x7f, v13
	v_cmpx_ne_u32_e32 0x7f, v83
	s_cbranch_execz .LBB257_479
; %bb.476:                              ;   in Loop: Header=BB257_12 Depth=1
	v_dual_lshrrev_b32 v82, 3, v83 :: v_dual_bitop2_b32 v14, 7, v13 bitop3:0x40
	s_mov_b32 s44, exec_lo
	v_cmpx_gt_u32_e32 8, v83
; %bb.477:                              ;   in Loop: Header=BB257_12 Depth=1
	s_delay_alu instid0(VALU_DEP_2) | instskip(NEXT) | instid1(VALU_DEP_1)
	v_clz_i32_u32_e32 v14, v14
	v_min_u32_e32 v14, 32, v14
	s_delay_alu instid0(VALU_DEP_1) | instskip(NEXT) | instid1(VALU_DEP_1)
	v_subrev_nc_u32_e32 v82, 28, v14
	v_lshlrev_b64_e32 v[84:85], v82, v[4:5]
	s_delay_alu instid0(VALU_DEP_1)
	v_dual_sub_nc_u32 v82, 29, v14 :: v_dual_bitop2_b32 v14, 7, v84 bitop3:0x40
; %bb.478:                              ;   in Loop: Header=BB257_12 Depth=1
	s_or_b32 exec_lo, exec_lo, s44
	v_lshlrev_b32_e32 v4, 8, v13
	s_delay_alu instid0(VALU_DEP_2) | instskip(NEXT) | instid1(VALU_DEP_1)
	v_lshl_add_u32 v13, v82, 10, 0x2000
	v_and_or_b32 v4, 0x8000, v4, v13
	v_lshlrev_b32_e32 v13, 23, v14
	s_delay_alu instid0(VALU_DEP_1)
	v_lshl_or_b32 v14, v4, 16, v13
.LBB257_479:                            ;   in Loop: Header=BB257_12 Depth=1
	s_or_b32 exec_lo, exec_lo, s43
.LBB257_480:                            ;   in Loop: Header=BB257_12 Depth=1
	s_delay_alu instid0(SALU_CYCLE_1)
	s_or_b32 exec_lo, exec_lo, s42
.LBB257_481:                            ;   in Loop: Header=BB257_12 Depth=1
	s_delay_alu instid0(SALU_CYCLE_1) | instskip(SKIP_3) | instid1(VALU_DEP_2)
	s_or_b32 exec_lo, exec_lo, s41
	v_dual_lshrrev_b32 v4, 16, v12 :: v_dual_mov_b32 v82, 0
	v_mov_b32_e32 v83, 0
	s_mov_b32 s41, exec_lo
	v_and_b32_e32 v13, 0xff, v4
	s_delay_alu instid0(VALU_DEP_1)
	v_cmpx_ne_u16_e32 0, v13
	s_cbranch_execz .LBB257_489
; %bb.482:                              ;   in Loop: Header=BB257_12 Depth=1
	v_mov_b32_e32 v83, 0x8000
	s_mov_b32 s42, exec_lo
	v_cmpx_ne_u16_e32 0x80, v13
	s_cbranch_execz .LBB257_488
; %bb.483:                              ;   in Loop: Header=BB257_12 Depth=1
	v_bfe_u32 v84, v12, 16, 7
	v_mov_b32_e32 v83, 0x7c01
	s_mov_b32 s43, exec_lo
	s_delay_alu instid0(VALU_DEP_2)
	v_cmpx_ne_u32_e32 0x7f, v84
	s_cbranch_execz .LBB257_487
; %bb.484:                              ;   in Loop: Header=BB257_12 Depth=1
	v_and_b32_e32 v13, 7, v4
	v_lshrrev_b32_e32 v83, 3, v84
	s_mov_b32 s44, exec_lo
	v_cmpx_gt_u32_e32 8, v84
; %bb.485:                              ;   in Loop: Header=BB257_12 Depth=1
	s_delay_alu instid0(VALU_DEP_3) | instskip(NEXT) | instid1(VALU_DEP_1)
	v_clz_i32_u32_e32 v13, v13
	v_min_u32_e32 v13, 32, v13
	s_delay_alu instid0(VALU_DEP_1) | instskip(NEXT) | instid1(VALU_DEP_1)
	v_subrev_nc_u32_e32 v83, 28, v13
	v_lshlrev_b64_e32 v[84:85], v83, v[4:5]
	s_delay_alu instid0(VALU_DEP_1)
	v_dual_sub_nc_u32 v83, 29, v13 :: v_dual_bitop2_b32 v13, 7, v84 bitop3:0x40
; %bb.486:                              ;   in Loop: Header=BB257_12 Depth=1
	s_or_b32 exec_lo, exec_lo, s44
	s_delay_alu instid0(VALU_DEP_1) | instskip(NEXT) | instid1(VALU_DEP_2)
	v_dual_lshlrev_b32 v4, 8, v4 :: v_dual_lshlrev_b32 v13, 7, v13
	v_lshl_add_u32 v83, v83, 10, 0x2000
	s_delay_alu instid0(VALU_DEP_2) | instskip(NEXT) | instid1(VALU_DEP_2)
	v_and_b32_e32 v4, 0x8000, v4
	v_and_b32_e32 v83, 0xfc00, v83
	s_delay_alu instid0(VALU_DEP_1)
	v_or3_b32 v83, v4, v83, v13
.LBB257_487:                            ;   in Loop: Header=BB257_12 Depth=1
	s_or_b32 exec_lo, exec_lo, s43
.LBB257_488:                            ;   in Loop: Header=BB257_12 Depth=1
	s_delay_alu instid0(SALU_CYCLE_1)
	s_or_b32 exec_lo, exec_lo, s42
.LBB257_489:                            ;   in Loop: Header=BB257_12 Depth=1
	s_delay_alu instid0(SALU_CYCLE_1) | instskip(NEXT) | instid1(SALU_CYCLE_1)
	s_or_b32 exec_lo, exec_lo, s41
	s_mov_b32 s41, exec_lo
	v_cmpx_lt_u32_e32 0xffffff, v12
	s_cbranch_execz .LBB257_497
; %bb.490:                              ;   in Loop: Header=BB257_12 Depth=1
	v_lshrrev_b32_e32 v4, 24, v12
	v_bfrev_b32_e32 v82, 1
	s_mov_b32 s42, exec_lo
	s_delay_alu instid0(VALU_DEP_2)
	v_cmpx_ne_u32_e32 0x80, v4
	s_cbranch_execz .LBB257_496
; %bb.491:                              ;   in Loop: Header=BB257_12 Depth=1
	v_and_b32_e32 v84, 0x7f, v4
	v_mov_b32_e32 v82, 0x7c010000
	s_mov_b32 s43, exec_lo
	s_delay_alu instid0(VALU_DEP_2)
	v_cmpx_ne_u32_e32 0x7f, v84
	s_cbranch_execz .LBB257_495
; %bb.492:                              ;   in Loop: Header=BB257_12 Depth=1
	v_and_b32_e32 v12, 7, v4
	v_lshrrev_b32_e32 v13, 3, v84
	s_mov_b32 s44, exec_lo
	v_cmpx_gt_u32_e32 8, v84
; %bb.493:                              ;   in Loop: Header=BB257_12 Depth=1
	s_delay_alu instid0(VALU_DEP_3) | instskip(NEXT) | instid1(VALU_DEP_1)
	v_clz_i32_u32_e32 v12, v12
	v_min_u32_e32 v82, 32, v12
	s_delay_alu instid0(VALU_DEP_1) | instskip(NEXT) | instid1(VALU_DEP_1)
	v_subrev_nc_u32_e32 v12, 28, v82
	v_lshlrev_b64_e32 v[12:13], v12, v[4:5]
	s_delay_alu instid0(VALU_DEP_1)
	v_dual_sub_nc_u32 v13, 29, v82 :: v_dual_bitop2_b32 v12, 7, v12 bitop3:0x40
; %bb.494:                              ;   in Loop: Header=BB257_12 Depth=1
	s_or_b32 exec_lo, exec_lo, s44
	v_lshlrev_b32_e32 v4, 8, v4
	s_delay_alu instid0(VALU_DEP_2) | instskip(NEXT) | instid1(VALU_DEP_3)
	v_lshl_add_u32 v13, v13, 10, 0x2000
	v_lshlrev_b32_e32 v12, 23, v12
	s_delay_alu instid0(VALU_DEP_2) | instskip(NEXT) | instid1(VALU_DEP_1)
	v_and_or_b32 v4, 0x8000, v4, v13
	v_lshl_or_b32 v82, v4, 16, v12
.LBB257_495:                            ;   in Loop: Header=BB257_12 Depth=1
	s_or_b32 exec_lo, exec_lo, s43
.LBB257_496:                            ;   in Loop: Header=BB257_12 Depth=1
	s_delay_alu instid0(SALU_CYCLE_1)
	s_or_b32 exec_lo, exec_lo, s42
.LBB257_497:                            ;   in Loop: Header=BB257_12 Depth=1
	s_delay_alu instid0(SALU_CYCLE_1)
	s_or_b32 exec_lo, exec_lo, s41
	ds_load_b64 v[12:13], v16
	v_or_b32_e32 v4, v22, v23
	v_or_b32_e32 v23, v24, v25
	v_fma_mixlo_f16 v22, v7, v22, 0 op_sel:[0,1,0] op_sel_hi:[0,1,0]
	v_fma_mixlo_f16 v24, v7, v24, 0 op_sel:[0,1,0] op_sel_hi:[0,1,0]
	v_or_b32_e32 v29, v28, v29
	v_fma_mixlo_f16 v4, v7, v4, 0 op_sel_hi:[0,1,0]
	v_fma_mixlo_f16 v23, v7, v23, 0 op_sel_hi:[0,1,0]
	v_and_b32_e32 v22, 0xffff, v22
	v_and_b32_e32 v84, 0xffff, v24
	v_fma_mixlo_f16 v28, v7, v28, 0 op_sel:[0,1,0] op_sel_hi:[0,1,0]
	v_and_b32_e32 v24, 0xffff, v4
	v_and_b32_e32 v25, 0xffff, v23
	v_fma_mixlo_f16 v29, v7, v29, 0 op_sel_hi:[0,1,0]
	v_or_b32_e32 v27, v26, v27
	v_fma_mixlo_f16 v26, v7, v26, 0 op_sel:[0,1,0] op_sel_hi:[0,1,0]
	v_and_b32_e32 v88, 0xffff, v28
	v_or_b32_e32 v31, v30, v31
	v_and_b32_e32 v91, 0xffff, v29
	v_fma_mixlo_f16 v27, v7, v27, 0 op_sel_hi:[0,1,0]
	s_wait_dscnt 0x0
	v_and_b32_e32 v4, 0xffff, v12
	v_dual_lshrrev_b32 v12, 16, v12 :: v_dual_lshrrev_b32 v87, 16, v13
	v_and_b32_e32 v13, 0xffff, v13
	;;#ASMSTART
	v_cvt_f32_f16 v85, v4;
	;;#ASMEND
	;;#ASMSTART
	v_cvt_f32_f16 v4, v12;
	;;#ASMEND
	;; [unrolled: 3-line block ×8, first 2 shown]
	ds_load_b64 v[12:13], v16 offset:8
	v_and_b32_e32 v87, 0xffff, v26
	v_and_b32_e32 v27, 0xffff, v27
	v_fma_mixlo_f16 v30, v7, v30, 0 op_sel:[0,1,0] op_sel_hi:[0,1,0]
	v_fma_mixlo_f16 v31, v7, v31, 0 op_sel_hi:[0,1,0]
	s_wait_dscnt 0x0
	v_and_b32_e32 v26, 0xffff, v12
	v_dual_lshrrev_b32 v12, 16, v12 :: v_dual_lshrrev_b32 v29, 16, v13
	v_and_b32_e32 v13, 0xffff, v13
	;;#ASMSTART
	v_cvt_f32_f16 v89, v26;
	;;#ASMEND
	;;#ASMSTART
	v_cvt_f32_f16 v26, v12;
	;;#ASMEND
	;; [unrolled: 3-line block ×8, first 2 shown]
	ds_load_b64 v[12:13], v16 offset:16
	v_or_b32_e32 v36, v32, v36
	v_fma_mixlo_f16 v32, v7, v32, 0 op_sel:[0,1,0] op_sel_hi:[0,1,0]
	v_and_b32_e32 v91, 0xffff, v30
	v_mul_f32_e32 v28, v28, v87
	s_delay_alu instid0(VALU_DEP_3)
	v_and_b32_e32 v94, 0xffff, v32
	v_and_b32_e32 v32, 0xffff, v31
	s_wait_dscnt 0x0
	v_lshrrev_b32_e32 v92, 16, v13
	v_fma_mixlo_f16 v36, v7, v36, 0 op_sel_hi:[0,1,0]
	v_and_b32_e32 v30, 0xffff, v12
	v_lshrrev_b32_e32 v12, 16, v12
	v_and_b32_e32 v13, 0xffff, v13
	;;#ASMSTART
	v_cvt_f32_f16 v30, v30;
	;;#ASMEND
	v_and_b32_e32 v93, 0xffff, v36
	;;#ASMSTART
	v_cvt_f32_f16 v31, v12;
	;;#ASMEND
	;;#ASMSTART
	v_cvt_f32_f16 v32, v32;
	;;#ASMEND
	;; [unrolled: 3-line block ×7, first 2 shown]
	ds_load_b64 v[12:13], v16 offset:24
	v_or_b32_e32 v38, v37, v38
	v_or_b32_e32 v40, v39, v40
	v_fma_mixlo_f16 v37, v7, v37, 0 op_sel:[0,1,0] op_sel_hi:[0,1,0]
	v_fma_mixlo_f16 v39, v7, v39, 0 op_sel:[0,1,0] op_sel_hi:[0,1,0]
	s_delay_alu instid0(VALU_DEP_2) | instskip(NEXT) | instid1(VALU_DEP_2)
	v_and_b32_e32 v95, 0xffff, v37
	v_and_b32_e32 v98, 0xffff, v39
	s_wait_dscnt 0x0
	v_and_b32_e32 v37, 0xffff, v12
	v_lshrrev_b32_e32 v12, 16, v12
	v_fma_mixlo_f16 v38, v7, v38, 0 op_sel_hi:[0,1,0]
	v_lshrrev_b32_e32 v96, 16, v13
	v_fma_mixlo_f16 v40, v7, v40, 0 op_sel_hi:[0,1,0]
	v_and_b32_e32 v13, 0xffff, v13
	;;#ASMSTART
	v_cvt_f32_f16 v37, v37;
	;;#ASMEND
	v_and_b32_e32 v39, 0xffff, v38
	;;#ASMSTART
	v_cvt_f32_f16 v38, v12;
	;;#ASMEND
	v_and_b32_e32 v97, 0xffff, v40
	;;#ASMSTART
	v_cvt_f32_f16 v39, v39;
	;;#ASMEND
	;;#ASMSTART
	v_cvt_f32_f16 v40, v95;
	;;#ASMEND
	;;#ASMSTART
	v_cvt_f32_f16 v95, v13;
	;;#ASMEND
	;;#ASMSTART
	v_cvt_f32_f16 v96, v96;
	;;#ASMEND
	;;#ASMSTART
	v_cvt_f32_f16 v97, v97;
	;;#ASMEND
	;;#ASMSTART
	v_cvt_f32_f16 v98, v98;
	;;#ASMEND
	ds_load_b64 v[12:13], v16 offset:32
	v_or_b32_e32 v42, v41, v42
	v_or_b32_e32 v44, v43, v44
	v_fma_mixlo_f16 v41, v7, v41, 0 op_sel:[0,1,0] op_sel_hi:[0,1,0]
	v_fma_mixlo_f16 v43, v7, v43, 0 op_sel:[0,1,0] op_sel_hi:[0,1,0]
	s_delay_alu instid0(VALU_DEP_2) | instskip(NEXT) | instid1(VALU_DEP_2)
	v_and_b32_e32 v99, 0xffff, v41
	v_and_b32_e32 v102, 0xffff, v43
	s_wait_dscnt 0x0
	v_and_b32_e32 v41, 0xffff, v12
	v_lshrrev_b32_e32 v12, 16, v12
	v_fma_mixlo_f16 v42, v7, v42, 0 op_sel_hi:[0,1,0]
	v_lshrrev_b32_e32 v100, 16, v13
	v_fma_mixlo_f16 v44, v7, v44, 0 op_sel_hi:[0,1,0]
	v_and_b32_e32 v13, 0xffff, v13
	;;#ASMSTART
	v_cvt_f32_f16 v41, v41;
	;;#ASMEND
	v_and_b32_e32 v43, 0xffff, v42
	;;#ASMSTART
	v_cvt_f32_f16 v42, v12;
	;;#ASMEND
	v_and_b32_e32 v101, 0xffff, v44
	;;#ASMSTART
	v_cvt_f32_f16 v43, v43;
	;;#ASMEND
	;;#ASMSTART
	v_cvt_f32_f16 v44, v99;
	;;#ASMEND
	;;#ASMSTART
	v_cvt_f32_f16 v99, v13;
	;;#ASMEND
	;;#ASMSTART
	v_cvt_f32_f16 v100, v100;
	;;#ASMEND
	;;#ASMSTART
	v_cvt_f32_f16 v101, v101;
	;;#ASMEND
	;;#ASMSTART
	v_cvt_f32_f16 v102, v102;
	;;#ASMEND
	;; [unrolled: 41-line block ×3, first 2 shown]
	ds_load_b64 v[106:107], v16 offset:48
	v_or_b32_e32 v48, v47, v48
	v_or_b32_e32 v52, v51, v52
	v_fma_mixlo_f16 v47, v7, v47, 0 op_sel:[0,1,0] op_sel_hi:[0,1,0]
	v_fma_mixlo_f16 v51, v7, v51, 0 op_sel:[0,1,0] op_sel_hi:[0,1,0]
	s_delay_alu instid0(VALU_DEP_2) | instskip(NEXT) | instid1(VALU_DEP_2)
	v_and_b32_e32 v105, 0xffff, v47
	v_and_b32_e32 v108, 0xffff, v51
	s_wait_dscnt 0x0
	v_and_b32_e32 v47, 0xffff, v106
	v_lshrrev_b32_e32 v106, 16, v106
	v_fma_mixlo_f16 v48, v7, v48, 0 op_sel_hi:[0,1,0]
	v_lshrrev_b32_e32 v110, 16, v107
	v_fma_mixlo_f16 v52, v7, v52, 0 op_sel_hi:[0,1,0]
	s_delay_alu instid0(VALU_DEP_3) | instskip(SKIP_1) | instid1(VALU_DEP_2)
	v_and_b32_e32 v51, 0xffff, v48
	;;#ASMSTART
	v_cvt_f32_f16 v48, v47;
	;;#ASMEND
	v_and_b32_e32 v109, 0xffff, v52
	v_and_b32_e32 v52, 0xffff, v107
	;;#ASMSTART
	v_cvt_f32_f16 v47, v106;
	;;#ASMEND
	;;#ASMSTART
	v_cvt_f32_f16 v106, v51;
	;;#ASMEND
	;; [unrolled: 3-line block ×7, first 2 shown]
	ds_load_b64 v[110:111], v16 offset:56
	v_or_b32_e32 v54, v53, v54
	v_or_b32_e32 v56, v55, v56
	v_fma_mixlo_f16 v53, v7, v53, 0 op_sel:[0,1,0] op_sel_hi:[0,1,0]
	v_fma_mixlo_f16 v55, v7, v55, 0 op_sel:[0,1,0] op_sel_hi:[0,1,0]
	s_delay_alu instid0(VALU_DEP_2) | instskip(NEXT) | instid1(VALU_DEP_2)
	v_and_b32_e32 v109, 0xffff, v53
	v_and_b32_e32 v112, 0xffff, v55
	s_wait_dscnt 0x0
	v_and_b32_e32 v53, 0xffff, v110
	v_lshrrev_b32_e32 v110, 16, v110
	v_fma_mixlo_f16 v56, v7, v56, 0 op_sel_hi:[0,1,0]
	v_lshrrev_b32_e32 v114, 16, v111
	v_fma_mixlo_f16 v54, v7, v54, 0 op_sel_hi:[0,1,0]
	s_delay_alu instid0(VALU_DEP_3) | instskip(SKIP_1) | instid1(VALU_DEP_3)
	v_and_b32_e32 v113, 0xffff, v56
	v_and_b32_e32 v56, 0xffff, v111
	;; [unrolled: 1-line block ×3, first 2 shown]
	;;#ASMSTART
	v_cvt_f32_f16 v54, v53;
	;;#ASMEND
	;;#ASMSTART
	v_cvt_f32_f16 v53, v110;
	;;#ASMEND
	;; [unrolled: 3-line block ×8, first 2 shown]
	ds_load_b64 v[114:115], v16 offset:64
	v_or_b32_e32 v58, v57, v58
	v_or_b32_e32 v60, v59, v60
	v_fma_mixlo_f16 v57, v7, v57, 0 op_sel:[0,1,0] op_sel_hi:[0,1,0]
	v_fma_mixlo_f16 v59, v7, v59, 0 op_sel:[0,1,0] op_sel_hi:[0,1,0]
	s_delay_alu instid0(VALU_DEP_2) | instskip(NEXT) | instid1(VALU_DEP_2)
	v_and_b32_e32 v113, 0xffff, v57
	v_and_b32_e32 v116, 0xffff, v59
	s_wait_dscnt 0x0
	v_and_b32_e32 v57, 0xffff, v114
	v_lshrrev_b32_e32 v114, 16, v114
	v_fma_mixlo_f16 v60, v7, v60, 0 op_sel_hi:[0,1,0]
	v_lshrrev_b32_e32 v118, 16, v115
	v_fma_mixlo_f16 v58, v7, v58, 0 op_sel_hi:[0,1,0]
	s_delay_alu instid0(VALU_DEP_3) | instskip(SKIP_1) | instid1(VALU_DEP_3)
	v_and_b32_e32 v117, 0xffff, v60
	v_and_b32_e32 v60, 0xffff, v115
	;; [unrolled: 1-line block ×3, first 2 shown]
	;;#ASMSTART
	v_cvt_f32_f16 v58, v57;
	;;#ASMEND
	;;#ASMSTART
	v_cvt_f32_f16 v57, v114;
	;;#ASMEND
	;; [unrolled: 3-line block ×8, first 2 shown]
	ds_load_b64 v[118:119], v16 offset:72
	v_or_b32_e32 v62, v61, v62
	v_or_b32_e32 v64, v63, v64
	v_fma_mixlo_f16 v61, v7, v61, 0 op_sel:[0,1,0] op_sel_hi:[0,1,0]
	v_fma_mixlo_f16 v63, v7, v63, 0 op_sel:[0,1,0] op_sel_hi:[0,1,0]
	s_delay_alu instid0(VALU_DEP_2) | instskip(NEXT) | instid1(VALU_DEP_2)
	v_and_b32_e32 v61, 0xffff, v61
	v_and_b32_e32 v63, 0xffff, v63
	s_wait_dscnt 0x0
	v_lshrrev_b32_e32 v120, 16, v119
	v_fma_mixlo_f16 v62, v7, v62, 0 op_sel_hi:[0,1,0]
	v_and_b32_e32 v117, 0xffff, v118
	v_lshrrev_b32_e32 v118, 16, v118
	v_fma_mixlo_f16 v64, v7, v64, 0 op_sel_hi:[0,1,0]
	v_and_b32_e32 v119, 0xffff, v119
	v_and_b32_e32 v62, 0xffff, v62
	;;#ASMSTART
	v_cvt_f32_f16 v117, v117;
	;;#ASMEND
	;;#ASMSTART
	v_cvt_f32_f16 v121, v118;
	;;#ASMEND
	v_and_b32_e32 v64, 0xffff, v64
	;;#ASMSTART
	v_cvt_f32_f16 v122, v62;
	;;#ASMEND
	;;#ASMSTART
	v_cvt_f32_f16 v123, v61;
	;;#ASMEND
	;; [unrolled: 3-line block ×6, first 2 shown]
	ds_load_b64 v[118:119], v16 offset:80
	v_or_b32_e32 v63, v65, v66
	v_or_b32_e32 v64, v67, v68
	v_fma_mixlo_f16 v65, v7, v65, 0 op_sel:[0,1,0] op_sel_hi:[0,1,0]
	v_fma_mixlo_f16 v66, v7, v67, 0 op_sel:[0,1,0] op_sel_hi:[0,1,0]
	v_or_b32_e32 v67, v69, v70
	v_or_b32_e32 v68, v71, v72
	v_fma_mixlo_f16 v70, v7, v71, 0 op_sel:[0,1,0] op_sel_hi:[0,1,0]
	v_or_b32_e32 v71, v77, v78
	v_fma_mixlo_f16 v63, v7, v63, 0 op_sel_hi:[0,1,0]
	v_fma_mixlo_f16 v72, v7, v77, 0 op_sel:[0,1,0] op_sel_hi:[0,1,0]
	v_and_b32_e32 v65, 0xffff, v65
	v_and_b32_e32 v66, 0xffff, v66
	v_fma_mixlo_f16 v67, v7, v67, 0 op_sel_hi:[0,1,0]
	v_and_b32_e32 v77, 0xffff, v63
	v_mul_f32_e32 v63, v89, v90
	v_fma_mixlo_f16 v69, v7, v69, 0 op_sel:[0,1,0] op_sel_hi:[0,1,0]
	v_fma_mixlo_f16 v68, v7, v68, 0 op_sel_hi:[0,1,0]
	s_wait_dscnt 0x0
	v_and_b32_e32 v78, 0xffff, v118
	v_lshrrev_b32_e32 v118, 16, v118
	v_fma_mixlo_f16 v64, v7, v64, 0 op_sel_hi:[0,1,0]
	v_lshrrev_b32_e32 v89, 16, v119
	v_and_b32_e32 v90, 0xffff, v119
	;;#ASMSTART
	v_cvt_f32_f16 v78, v78;
	;;#ASMEND
	;;#ASMSTART
	v_cvt_f32_f16 v118, v118;
	;;#ASMEND
	v_and_b32_e32 v64, 0xffff, v64
	;;#ASMSTART
	v_cvt_f32_f16 v119, v77;
	;;#ASMEND
	;;#ASMSTART
	v_cvt_f32_f16 v125, v65;
	;;#ASMEND
	;; [unrolled: 3-line block ×6, first 2 shown]
	ds_load_b64 v[64:65], v16 offset:88
	v_or_b32_e32 v74, v73, v74
	v_or_b32_e32 v76, v75, v76
	v_dual_fmac_f32 v63, v85, v86 :: v_dual_bitop2_b32 v66, v79, v80 bitop3:0x54
	v_and_b32_e32 v80, 0xffff, v70
	s_delay_alu instid0(VALU_DEP_4)
	v_fma_mixlo_f16 v70, v7, v74, 0 op_sel_hi:[0,1,0]
	v_and_b32_e32 v74, 0xffff, v67
	v_mul_f32_e32 v67, v26, v27
	v_fma_mixlo_f16 v77, v7, v79, 0 op_sel:[0,1,0] op_sel_hi:[0,1,0]
	v_and_b32_e32 v79, 0xffff, v69
	v_and_b32_e32 v68, 0xffff, v68
	v_fma_mixlo_f16 v69, v7, v71, 0 op_sel_hi:[0,1,0]
	v_dual_mul_f32 v29, v29, v88 :: v_dual_fmac_f32 v67, v4, v22
	v_fmac_f32_e32 v28, v23, v25
	v_fma_mixlo_f16 v73, v7, v73, 0 op_sel:[0,1,0] op_sel_hi:[0,1,0]
	v_fma_mixlo_f16 v75, v7, v75, 0 op_sel:[0,1,0] op_sel_hi:[0,1,0]
	s_delay_alu instid0(VALU_DEP_4) | instskip(NEXT) | instid1(VALU_DEP_4)
	v_fmac_f32_e32 v29, v24, v84
	v_dual_fmac_f32 v63, v30, v32 :: v_dual_fmac_f32 v28, v91, v93
	s_wait_dscnt 0x0
	v_and_b32_e32 v26, 0xffff, v64
	v_dual_lshrrev_b32 v27, 16, v64 :: v_dual_lshrrev_b32 v64, 16, v65
	v_and_b32_e32 v65, 0xffff, v65
	v_fma_mixlo_f16 v71, v7, v76, 0 op_sel_hi:[0,1,0]
	;;#ASMSTART
	v_cvt_f32_f16 v76, v26;
	;;#ASMEND
	;;#ASMSTART
	v_cvt_f32_f16 v85, v27;
	;;#ASMEND
	;; [unrolled: 3-line block ×8, first 2 shown]
	ds_load_b64 v[26:27], v16 offset:96
	v_dual_fmac_f32 v67, v31, v36 :: v_dual_fmac_f32 v29, v92, v94
	v_dual_fmac_f32 v63, v37, v39 :: v_dual_fmac_f32 v28, v95, v97
	v_and_b32_e32 v22, 0xffff, v70
	s_delay_alu instid0(VALU_DEP_3) | instskip(NEXT) | instid1(VALU_DEP_3)
	v_dual_fmac_f32 v67, v38, v40 :: v_dual_fmac_f32 v29, v96, v98
	v_dual_fmac_f32 v63, v41, v43 :: v_dual_fmac_f32 v28, v99, v101
	v_and_b32_e32 v23, 0xffff, v71
	s_delay_alu instid0(VALU_DEP_3) | instskip(SKIP_3) | instid1(VALU_DEP_4)
	v_dual_fmac_f32 v67, v42, v44 :: v_dual_fmac_f32 v29, v100, v102
	v_and_b32_e32 v73, 0xffff, v73
	v_and_b32_e32 v4, 0xffff, v75
	v_fmac_f32_e32 v63, v103, v104
	v_fmac_f32_e32 v67, v12, v13
	v_dual_fmac_f32 v28, v45, v49 :: v_dual_fmac_f32 v29, v46, v50
	v_fma_mixlo_f16 v66, v7, v66, 0 op_sel_hi:[0,1,0]
	s_wait_dscnt 0x0
	v_and_b32_e32 v24, 0xffff, v26
	v_dual_lshrrev_b32 v25, 16, v26 :: v_dual_lshrrev_b32 v26, 16, v27
	v_and_b32_e32 v27, 0xffff, v27
	;;#ASMSTART
	v_cvt_f32_f16 v24, v24;
	;;#ASMEND
	;;#ASMSTART
	v_cvt_f32_f16 v25, v25;
	;;#ASMEND
	;; [unrolled: 3-line block ×8, first 2 shown]
	ds_load_b64 v[22:23], v16 offset:104
	v_dual_fmac_f32 v63, v48, v106 :: v_dual_bitop2_b32 v4, v14, v81 bitop3:0x54
	v_dual_fmac_f32 v67, v47, v51 :: v_dual_fmac_f32 v29, v105, v108
	s_delay_alu instid0(VALU_DEP_2) | instskip(SKIP_1) | instid1(VALU_DEP_3)
	v_dual_fmac_f32 v28, v52, v107 :: v_dual_fmac_f32 v63, v54, v110
	v_and_b32_e32 v40, 0xffff, v77
	v_fmac_f32_e32 v67, v53, v55
	s_delay_alu instid0(VALU_DEP_3) | instskip(NEXT) | instid1(VALU_DEP_4)
	v_dual_fmac_f32 v29, v109, v112 :: v_dual_fmac_f32 v28, v56, v111
	v_fmac_f32_e32 v63, v58, v114
	v_fma_mixlo_f16 v14, v7, v14, 0 op_sel:[0,1,0] op_sel_hi:[0,1,0]
	v_fma_mixlo_f16 v4, v7, v4, 0 op_sel_hi:[0,1,0]
	s_delay_alu instid0(VALU_DEP_4) | instskip(NEXT) | instid1(VALU_DEP_4)
	v_dual_fmac_f32 v29, v113, v116 :: v_dual_fmac_f32 v28, v60, v115
	v_fmac_f32_e32 v63, v117, v122
	s_delay_alu instid0(VALU_DEP_4) | instskip(NEXT) | instid1(VALU_DEP_4)
	v_and_b32_e32 v14, 0xffff, v14
	v_and_b32_e32 v4, 0xffff, v4
	s_wait_dscnt 0x0
	v_dual_lshrrev_b32 v13, 16, v22 :: v_dual_fmac_f32 v67, v57, v59
	v_fmac_f32_e32 v28, v124, v120
	v_and_b32_e32 v12, 0xffff, v22
	v_and_b32_e32 v22, 0xffff, v69
	;;#ASMSTART
	v_cvt_f32_f16 v37, v12;
	;;#ASMEND
	s_delay_alu instid0(VALU_DEP_3)
	v_dual_fmac_f32 v67, v121, v123 :: v_dual_fmac_f32 v28, v90, v126
	;;#ASMSTART
	v_cvt_f32_f16 v38, v13;
	;;#ASMEND
	;;#ASMSTART
	v_cvt_f32_f16 v39, v22;
	;;#ASMEND
	v_and_b32_e32 v12, 0xffff, v72
	v_and_b32_e32 v13, 0xffff, v23
	v_lshrrev_b32_e32 v22, 16, v23
	v_and_b32_e32 v23, 0xffff, v66
	;;#ASMSTART
	v_cvt_f32_f16 v41, v12;
	;;#ASMEND
	;;#ASMSTART
	v_cvt_f32_f16 v42, v13;
	;;#ASMEND
	;; [unrolled: 3-line block ×5, first 2 shown]
	ds_load_b64 v[12:13], v16 offset:112
	v_dual_fmac_f32 v29, v61, v62 :: v_dual_bitop2_b32 v22, v82, v83 bitop3:0x54
	v_fmac_f32_e32 v63, v78, v119
	v_dual_fmac_f32 v67, v118, v125 :: v_dual_fmac_f32 v28, v65, v68
	s_delay_alu instid0(VALU_DEP_3) | instskip(NEXT) | instid1(VALU_DEP_3)
	v_fma_mixlo_f16 v22, v7, v22, 0 op_sel_hi:[0,1,0]
	v_dual_fmac_f32 v29, v89, v127 :: v_dual_fmac_f32 v63, v76, v74
	s_delay_alu instid0(VALU_DEP_3) | instskip(SKIP_1) | instid1(VALU_DEP_3)
	v_dual_fmac_f32 v67, v85, v79 :: v_dual_fmac_f32 v28, v27, v32
	v_fma_mixlo_f16 v7, v7, v82, 0 op_sel:[0,1,0] op_sel_hi:[0,1,0]
	v_fmac_f32_e32 v29, v64, v80
	s_delay_alu instid0(VALU_DEP_4) | instskip(NEXT) | instid1(VALU_DEP_4)
	v_fmac_f32_e32 v63, v24, v30
	v_fmac_f32_e32 v67, v25, v31
	;; [unrolled: 1-line block ×3, first 2 shown]
	v_and_b32_e32 v22, 0xffff, v22
	s_delay_alu instid0(VALU_DEP_4) | instskip(NEXT) | instid1(VALU_DEP_4)
	v_dual_fmac_f32 v29, v26, v36 :: v_dual_fmac_f32 v63, v37, v39
	v_fmac_f32_e32 v67, v38, v41
	s_wait_dscnt 0x0
	v_and_b32_e32 v23, 0xffff, v12
	v_lshrrev_b32_e32 v12, 16, v12
	;;#ASMSTART
	v_cvt_f32_f16 v23, v23;
	;;#ASMEND
	;;#ASMSTART
	v_cvt_f32_f16 v12, v12;
	;;#ASMEND
	;; [unrolled: 3-line block ×4, first 2 shown]
	v_fmac_f32_e32 v29, v43, v40
	v_and_b32_e32 v24, 0xffff, v13
	v_dual_lshrrev_b32 v13, 16, v13 :: v_dual_fmac_f32 v63, v23, v4
	v_fmac_f32_e32 v67, v12, v14
	v_and_b32_e32 v14, 0xffff, v7
	v_xor_b32_e32 v7, 1, v3
	;;#ASMSTART
	v_cvt_f32_f16 v4, v24;
	;;#ASMEND
	;;#ASMSTART
	v_cvt_f32_f16 v12, v13;
	;;#ASMEND
	;; [unrolled: 3-line block ×3, first 2 shown]
	v_fmac_f32_e32 v28, v4, v13
	;;#ASMSTART
	v_cvt_f32_f16 v13, v14;
	;;#ASMEND
	v_dual_add_f32 v4, v63, v67 :: v_dual_fmac_f32 v29, v12, v13
	v_cmp_gt_i32_e64 s4, 32, v7
	s_delay_alu instid0(VALU_DEP_1) | instskip(NEXT) | instid1(VALU_DEP_1)
	v_dual_add_f32 v4, v4, v28 :: v_dual_cndmask_b32 v7, v3, v7, s4
	v_dual_add_f32 v4, v29, v4 :: v_dual_lshlrev_b32 v7, 2, v7
	ds_bpermute_b32 v7, v7, v4
	s_and_saveexec_b32 s41, s3
	s_cbranch_execz .LBB257_10
; %bb.498:                              ;   in Loop: Header=BB257_12 Depth=1
	s_wait_dscnt 0x0
	v_dual_add_nc_u32 v12, v18, v6 :: v_dual_add_f32 v4, v4, v7
	s_delay_alu instid0(VALU_DEP_1) | instskip(NEXT) | instid1(VALU_DEP_1)
	v_cvt_f32_i32_e32 v12, v12
	v_mul_f32_e32 v12, s36, v12
	s_delay_alu instid0(VALU_DEP_1) | instskip(NEXT) | instid1(VALU_DEP_1)
	v_dual_cndmask_b32 v7, 0, v12 :: v_dual_max_num_f32 v12, v17, v17
	v_dual_fmac_f32 v7, s27, v4 :: v_dual_add_nc_u32 v4, v15, v6
	s_delay_alu instid0(VALU_DEP_1) | instskip(NEXT) | instid1(VALU_DEP_1)
	v_cmp_gt_i32_e64 s4, s34, v4
	v_dual_max_num_f32 v12, v12, v7 :: v_dual_cndmask_b32 v4, 0, v7, s4
	s_delay_alu instid0(VALU_DEP_1)
	v_cndmask_b32_e64 v17, v17, v12, s4
	ds_store_b32 v19, v4
	s_branch .LBB257_10
.LBB257_499:
	s_or_b32 exec_lo, exec_lo, s40
.LBB257_500:
	s_delay_alu instid0(SALU_CYCLE_1)
	s_or_b32 exec_lo, exec_lo, s37
	v_dual_max_num_f32 v8, v17, v17 :: v_dual_bitop2_b32 v4, 16, v3 bitop3:0x14
	s_clause 0x1
	s_load_b64 s[4:5], s[0:1], 0x0
	s_load_b64 s[8:9], s[0:1], 0x18
	v_xor_b32_e32 v6, 8, v3
	v_cmp_gt_i32_e32 vcc_lo, 32, v4
	v_cndmask_b32_e32 v4, v3, v4, vcc_lo
	s_delay_alu instid0(VALU_DEP_3) | instskip(NEXT) | instid1(VALU_DEP_2)
	v_cmp_gt_i32_e32 vcc_lo, 32, v6
	v_dual_cndmask_b32 v6, v3, v6 :: v_dual_lshlrev_b32 v5, 2, v4
	ds_bpermute_b32 v4, v5, v17
	s_wait_dscnt 0x0
	v_dual_max_num_f32 v4, v4, v4 :: v_dual_lshlrev_b32 v7, 2, v6
	s_delay_alu instid0(VALU_DEP_1) | instskip(SKIP_4) | instid1(VALU_DEP_1)
	v_dual_max_num_f32 v4, v8, v4 :: v_dual_bitop2_b32 v8, 4, v3 bitop3:0x14
	ds_bpermute_b32 v6, v7, v4
	v_cmp_gt_i32_e32 vcc_lo, 32, v8
	s_wait_dscnt 0x0
	v_dual_cndmask_b32 v8, v3, v8, vcc_lo :: v_dual_max_num_f32 v6, v6, v6
	v_dual_lshlrev_b32 v8, 2, v8 :: v_dual_max_num_f32 v4, v4, v6
	ds_bpermute_b32 v6, v8, v4
	s_wait_dscnt 0x0
	v_dual_max_num_f32 v6, v6, v6 :: v_dual_bitop2_b32 v9, 2, v3 bitop3:0x14
	s_delay_alu instid0(VALU_DEP_1) | instskip(NEXT) | instid1(VALU_DEP_2)
	v_cmp_gt_i32_e32 vcc_lo, 32, v9
	v_dual_max_num_f32 v10, v4, v6 :: v_dual_cndmask_b32 v9, v3, v9
	s_delay_alu instid0(VALU_DEP_1) | instskip(SKIP_1) | instid1(VALU_DEP_2)
	v_dual_lshlrev_b32 v4, 2, v9 :: v_dual_bitop2_b32 v6, 31, v0 bitop3:0x40
	v_lshlrev_b32_e32 v9, 2, v35
	v_cmp_eq_u32_e32 vcc_lo, 0, v6
	ds_bpermute_b32 v11, v4, v10
	s_wait_xcnt 0x0
	s_and_saveexec_b32 s0, vcc_lo
	s_cbranch_execz .LBB257_502
; %bb.501:
	s_wait_dscnt 0x0
	v_dual_max_num_f32 v11, v11, v11 :: v_dual_max_num_f32 v10, v10, v10
	s_delay_alu instid0(VALU_DEP_1)
	v_max_num_f32_e32 v10, v10, v11
	ds_store_b32 v9, v10 offset:240
.LBB257_502:
	s_or_b32 exec_lo, exec_lo, s0
	v_cmp_gt_u32_e64 s0, 4, v6
	s_wait_dscnt 0x0
	v_dual_mov_b32 v11, 0xff7fffff :: v_dual_lshlrev_b32 v10, 2, v6
	s_barrier_signal -1
	s_barrier_wait -1
	s_and_saveexec_b32 s1, s0
; %bb.503:
	ds_load_b32 v11, v10 offset:240
; %bb.504:
	s_or_b32 exec_lo, exec_lo, s1
	s_wait_dscnt 0x0
	ds_bpermute_b32 v12, v4, v11
	v_xor_b32_e32 v13, 1, v3
	s_wait_dscnt 0x0
	v_dual_max_num_f32 v11, v11, v11 :: v_dual_max_num_f32 v12, v12, v12
	s_delay_alu instid0(VALU_DEP_2) | instskip(NEXT) | instid1(VALU_DEP_1)
	v_cmp_gt_i32_e64 s1, 32, v13
	v_cndmask_b32_e64 v3, v3, v13, s1
	s_lshl_b32 s1, s26, 4
	s_delay_alu instid0(SALU_CYCLE_1) | instskip(NEXT) | instid1(VALU_DEP_1)
	s_min_i32 s19, s1, s34
	v_dual_lshlrev_b32 v37, 2, v3 :: v_dual_max_num_f32 v3, v11, v12
	v_cmp_gt_i32_e64 s1, s19, v0
	ds_bpermute_b32 v11, v37, v3
	s_wait_dscnt 0x0
	v_max_num_f32_e32 v11, v11, v11
	s_delay_alu instid0(VALU_DEP_1)
	v_dual_max_num_f32 v11, v3, v11 :: v_dual_mov_b32 v3, 0
	ds_bpermute_b32 v11, v3, v11
	s_and_saveexec_b32 s27, s1
	s_cbranch_execz .LBB257_508
; %bb.505:
	v_lshl_add_u32 v12, v0, 2, 0x110
	v_dual_mov_b32 v3, 0 :: v_dual_mov_b32 v13, v0
	s_mov_b32 s28, 0
.LBB257_506:                            ; =>This Inner Loop Header: Depth=1
	ds_load_b32 v14, v12
	v_add_nc_u32_e32 v13, 0x80, v13
	s_delay_alu instid0(VALU_DEP_1) | instskip(SKIP_3) | instid1(VALU_DEP_1)
	v_cmp_le_i32_e64 s3, s19, v13
	s_or_b32 s28, s3, s28
	s_wait_dscnt 0x0
	v_sub_f32_e32 v14, v14, v11
	v_mul_f32_e32 v14, 0x3fb8aa3b, v14
	s_delay_alu instid0(VALU_DEP_1)
	v_exp_f32_e32 v14, v14
	ds_store_b32 v12, v14
	v_nop
	v_dual_add_f32 v3, v3, v14 :: v_dual_add_nc_u32 v12, 0x200, v12
	s_and_not1_b32 exec_lo, exec_lo, s28
	s_cbranch_execnz .LBB257_506
; %bb.507:
	s_or_b32 exec_lo, exec_lo, s28
.LBB257_508:
	s_delay_alu instid0(SALU_CYCLE_1)
	s_or_b32 exec_lo, exec_lo, s27
	ds_bpermute_b32 v5, v5, v3
	s_wait_dscnt 0x0
	v_add_f32_e32 v3, v3, v5
	ds_bpermute_b32 v5, v7, v3
	s_wait_dscnt 0x0
	v_add_f32_e32 v3, v3, v5
	;; [unrolled: 3-line block ×5, first 2 shown]
	s_and_saveexec_b32 s3, vcc_lo
; %bb.509:
	ds_store_b32 v9, v3 offset:256
; %bb.510:
	s_or_b32 exec_lo, exec_lo, s3
	s_wait_dscnt 0x0
	s_barrier_signal -1
	s_barrier_wait -1
	s_and_saveexec_b32 s3, s0
; %bb.511:
	ds_load_b32 v3, v10 offset:256
; %bb.512:
	s_or_b32 exec_lo, exec_lo, s3
	s_wait_dscnt 0x0
	ds_bpermute_b32 v4, v4, v3
	s_wait_dscnt 0x0
	v_add_f32_e32 v3, v3, v4
	ds_bpermute_b32 v4, v37, v3
	s_wait_dscnt 0x0
	v_dual_add_f32 v3, v3, v4 :: v_dual_mov_b32 v4, 0
	ds_bpermute_b32 v3, v4, v3
	s_and_saveexec_b32 s0, s1
	s_cbranch_execz .LBB257_525
; %bb.513:
	s_wait_dscnt 0x0
	v_add_f32_e32 v3, 0x358637bd, v3
	s_mov_b32 s3, -1
	s_mov_b32 s1, exec_lo
	s_delay_alu instid0(VALU_DEP_1) | instskip(SKIP_1) | instid1(VALU_DEP_2)
	v_div_scale_f32 v4, null, v3, v3, 1.0
	v_div_scale_f32 v8, vcc_lo, 1.0, v3, 1.0
	v_rcp_f32_e32 v7, v4
	v_nop
	s_delay_alu instid0(TRANS32_DEP_1) | instskip(NEXT) | instid1(VALU_DEP_1)
	v_fma_f32 v5, -v4, v7, 1.0
	v_fmac_f32_e32 v7, v5, v7
	s_delay_alu instid0(VALU_DEP_1) | instskip(NEXT) | instid1(VALU_DEP_1)
	v_mul_f32_e32 v9, v8, v7
	v_fma_f32 v5, -v4, v9, v8
	s_delay_alu instid0(VALU_DEP_1) | instskip(SKIP_1) | instid1(VALU_DEP_2)
	v_fmac_f32_e32 v9, v5, v7
	v_xad_u32 v5, v0, -1, s19
	v_fma_f32 v4, -v4, v9, v8
	s_delay_alu instid0(VALU_DEP_1) | instskip(NEXT) | instid1(VALU_DEP_1)
	v_div_fmas_f32 v4, v4, v7, v9
	v_div_fixup_f32 v4, v4, v3, 1.0
	v_mov_b32_e32 v3, v0
	v_cmpx_lt_u32_e32 0x7f, v5
	s_cbranch_execz .LBB257_522
; %bb.514:
	s_delay_alu instid0(VALU_DEP_3) | instskip(NEXT) | instid1(VALU_DEP_1)
	v_dual_lshrrev_b32 v3, 7, v5 :: v_dual_mov_b32 v5, v4
	v_dual_mov_b32 v10, 0 :: v_dual_add_nc_u32 v7, -1, v3
	s_delay_alu instid0(VALU_DEP_1) | instskip(SKIP_1) | instid1(VALU_DEP_2)
	v_lshrrev_b32_e32 v8, 1, v7
	v_cmp_lt_u32_e32 vcc_lo, 13, v7
	v_add_nc_u32_e32 v7, 1, v8
	s_and_saveexec_b32 s3, vcc_lo
	s_cbranch_execz .LBB257_518
; %bb.515:
	s_delay_alu instid0(VALU_DEP_1)
	v_and_b32_e32 v8, -8, v7
	v_lshl_add_u32 v9, v0, 2, 0x110
	s_mov_b32 s27, 0
	s_mov_b32 s28, 0
.LBB257_516:                            ; =>This Inner Loop Header: Depth=1
	ds_load_2addr_stride64_b32 v[10:11], v9 offset1:2
	ds_load_2addr_stride64_b32 v[12:13], v9 offset0:4 offset1:6
	ds_load_2addr_stride64_b32 v[14:15], v9 offset0:8 offset1:10
	;; [unrolled: 1-line block ×7, first 2 shown]
	s_add_co_i32 s28, s28, 16
	v_add_nc_u32_e32 v8, -8, v8
	s_wait_dscnt 0x7
	v_pk_mul_f32 v[10:11], v[4:5], v[10:11]
	s_wait_dscnt 0x6
	v_pk_mul_f32 v[12:13], v[4:5], v[12:13]
	;; [unrolled: 2-line block ×8, first 2 shown]
	ds_store_2addr_stride64_b32 v9, v10, v11 offset1:2
	ds_store_2addr_stride64_b32 v9, v12, v13 offset0:4 offset1:6
	ds_store_2addr_stride64_b32 v9, v14, v15 offset0:8 offset1:10
	;; [unrolled: 1-line block ×7, first 2 shown]
	v_mov_b32_e32 v10, s28
	v_cmp_eq_u32_e32 vcc_lo, 0, v8
	v_add_nc_u32_e32 v9, 0x2000, v9
	s_or_b32 s27, vcc_lo, s27
	s_delay_alu instid0(SALU_CYCLE_1)
	s_and_not1_b32 exec_lo, exec_lo, s27
	s_cbranch_execnz .LBB257_516
; %bb.517:
	s_or_b32 exec_lo, exec_lo, s27
.LBB257_518:
	s_delay_alu instid0(SALU_CYCLE_1) | instskip(NEXT) | instid1(VALU_DEP_1)
	s_or_b32 exec_lo, exec_lo, s3
	v_and_b32_e32 v7, 7, v7
	s_mov_b32 s27, 0
	s_mov_b32 s3, exec_lo
	s_delay_alu instid0(VALU_DEP_1)
	v_cmpx_ne_u32_e32 0, v7
	s_cbranch_execz .LBB257_521
; %bb.519:
	v_dual_lshlrev_b32 v8, 9, v10 :: v_dual_lshlrev_b32 v9, 2, v0
	s_delay_alu instid0(VALU_DEP_1)
	v_add3_u32 v8, v8, v9, 0x110
.LBB257_520:                            ; =>This Inner Loop Header: Depth=1
	ds_load_2addr_stride64_b32 v[10:11], v8 offset1:2
	v_add_nc_u32_e32 v7, -1, v7
	s_delay_alu instid0(VALU_DEP_1)
	v_cmp_eq_u32_e32 vcc_lo, 0, v7
	s_or_b32 s27, vcc_lo, s27
	s_wait_dscnt 0x0
	v_pk_mul_f32 v[10:11], v[4:5], v[10:11]
	ds_store_2addr_stride64_b32 v8, v10, v11 offset1:2
	v_add_nc_u32_e32 v8, 0x400, v8
	s_and_not1_b32 exec_lo, exec_lo, s27
	s_cbranch_execnz .LBB257_520
.LBB257_521:
	s_or_b32 exec_lo, exec_lo, s3
	v_add_nc_u32_e32 v3, 1, v3
	s_delay_alu instid0(VALU_DEP_1) | instskip(NEXT) | instid1(VALU_DEP_1)
	v_and_b32_e32 v5, 0x3fffffe, v3
	v_cmp_ne_u32_e32 vcc_lo, v3, v5
	v_lshl_add_u32 v3, v5, 7, v0
	s_or_not1_b32 s3, vcc_lo, exec_lo
.LBB257_522:
	s_or_b32 exec_lo, exec_lo, s1
	s_delay_alu instid0(SALU_CYCLE_1)
	s_and_b32 exec_lo, exec_lo, s3
	s_cbranch_execz .LBB257_525
; %bb.523:
	v_lshl_add_u32 v5, v3, 2, 0x110
	s_mov_b32 s1, 0
.LBB257_524:                            ; =>This Inner Loop Header: Depth=1
	ds_load_b32 v7, v5
	v_add_nc_u32_e32 v3, 0x80, v3
	s_delay_alu instid0(VALU_DEP_1)
	v_cmp_le_i32_e32 vcc_lo, s19, v3
	s_or_b32 s1, vcc_lo, s1
	s_wait_dscnt 0x0
	v_mul_f32_e32 v7, v4, v7
	ds_store_b32 v5, v7
	v_add_nc_u32_e32 v5, 0x200, v5
	s_and_not1_b32 exec_lo, exec_lo, s1
	s_cbranch_execnz .LBB257_524
.LBB257_525:
	s_or_b32 exec_lo, exec_lo, s0
	v_lshrrev_b32_e32 v36, 1, v6
	s_wait_dscnt 0x0
	s_barrier_signal -1
	s_barrier_wait -1
	s_and_saveexec_b32 s0, s2
	s_delay_alu instid0(SALU_CYCLE_1)
	s_xor_b32 s0, exec_lo, s0
; %bb.526:
	v_lshrrev_b32_e32 v36, 1, v6
                                        ; implicit-def: $vgpr2
                                        ; implicit-def: $vgpr1
; %bb.527:
	s_or_saveexec_b32 s27, s0
	v_dual_mov_b32 v5, 0 :: v_dual_mov_b32 v4, 0
	v_dual_mov_b32 v7, 0 :: v_dual_mov_b32 v6, 0
	;; [unrolled: 1-line block ×4, first 2 shown]
	s_xor_b32 exec_lo, exec_lo, s27
	s_cbranch_execz .LBB257_1063
; %bb.528:
	s_abs_i32 s14, s14
	v_dual_lshlrev_b32 v3, 3, v0 :: v_dual_mov_b32 v13, 0
	s_cvt_f32_u32 s0, s14
	v_and_b32_e32 v12, 0x7c, v1
	s_delay_alu instid0(VALU_DEP_2) | instskip(NEXT) | instid1(SALU_CYCLE_1)
	v_dual_lshlrev_b32 v1, 5, v34 :: v_dual_bitop2_b32 v38, 8, v3 bitop3:0x40
	v_rcp_iflag_f32_e32 v4, s0
	s_lshl_b64 s[0:1], s[24:25], 2
	v_or_b32_e32 v5, 0x70, v36
	s_delay_alu instid0(VALU_DEP_2)
	v_lshl_or_b32 v1, v35, 6, v1
	s_add_nc_u64 s[0:1], s[22:23], s[0:1]
	s_sub_co_i32 s28, s12, s13
	s_sub_co_i32 s12, 0, s14
	v_readfirstlane_b32 s2, v4
	v_add_nc_u64_e32 v[18:19], s[0:1], v[12:13]
	s_ashr_i32 s19, s18, 31
	v_dual_mov_b32 v15, v13 :: v_dual_mov_b32 v17, v13
	s_mul_f32 s2, s2, 0x4f7ffffe
	v_cmp_gt_u32_e32 vcc_lo, 0x78, v5
	v_lshl_or_b32 v14, v36, 4, v38
	v_lshl_or_b32 v16, v5, 4, v38
	s_cvt_u32_f32 s2, s2
	v_dual_mov_b32 v40, v35 :: v_dual_add_nc_u32 v39, 0x110, v1
	v_dual_mov_b32 v10, 0 :: v_dual_mov_b32 v11, 0
	s_delay_alu instid0(SALU_CYCLE_1)
	s_mul_i32 s12, s12, s2
	v_dual_mov_b32 v8, 0 :: v_dual_mov_b32 v9, 0
	v_dual_mov_b32 v6, 0 :: v_dual_mov_b32 v7, 0
	;; [unrolled: 1-line block ×3, first 2 shown]
	s_mov_b32 s3, 0
	s_wait_kmcnt 0x0
	s_add_nc_u64 s[8:9], s[8:9], s[18:19]
	s_mul_hi_u32 s19, s2, s12
	s_add_co_i32 s29, s26, -1
	s_mov_b64 s[12:13], 0xffffffffffffff
	s_mov_b32 s18, s34
	s_add_co_i32 s2, s2, s19
	s_mov_b32 s19, s3
	s_branch .LBB257_532
.LBB257_529:                            ;   in Loop: Header=BB257_532 Depth=1
	s_or_b32 exec_lo, exec_lo, s1
	;;#ASMSTART
	v_pk_mul_f16 v1, v49, v27;

	;;#ASMEND
	;;#ASMSTART
	v_pk_mul_f16 v3, v48, v28;

	;;#ASMEND
	;; [unrolled: 4-line block ×4, first 2 shown]
	;;#ASMSTART
	v_pk_add_f16 v1, v1, v3;

	;;#ASMEND
	;;#ASMSTART
	v_pk_add_f16 v1, v1, v12;

	;;#ASMEND
	;; [unrolled: 4-line block ×3, first 2 shown]
	v_and_b32_e32 v3, 0xffff, v1
	v_lshrrev_b32_e32 v1, 16, v1
	;;#ASMSTART
	v_cvt_f32_f16 v3, v3;
	;;#ASMEND
	;;#ASMSTART
	v_cvt_f32_f16 v1, v1;
	;;#ASMEND
	s_delay_alu instid0(VALU_DEP_1) | instskip(NEXT) | instid1(VALU_DEP_1)
	v_add_f32_e32 v1, v3, v1
	v_add_f32_e32 v5, v5, v1
.LBB257_530:                            ;   in Loop: Header=BB257_532 Depth=1
	s_or_b32 exec_lo, exec_lo, s23
	v_dual_add_f32 v1, v42, v43 :: v_dual_add_f32 v3, v56, v57
	v_dual_add_f32 v12, v54, v55 :: v_dual_add_f32 v20, v52, v53
	s_delay_alu instid0(VALU_DEP_2) | instskip(SKIP_2) | instid1(VALU_DEP_4)
	v_dual_add_f32 v7, v7, v1 :: v_dual_add_f32 v6, v6, v3
	v_dual_add_f32 v1, v50, v51 :: v_dual_add_f32 v3, v44, v45
	v_add_f32_e32 v21, v31, v32
	v_add_f32_e32 v9, v9, v12
	s_delay_alu instid0(VALU_DEP_3) | instskip(NEXT) | instid1(VALU_DEP_3)
	v_dual_add_f32 v8, v8, v20 :: v_dual_add_f32 v11, v11, v1
	v_dual_add_f32 v10, v10, v3 :: v_dual_add_f32 v4, v4, v21
.LBB257_531:                            ;   in Loop: Header=BB257_532 Depth=1
	s_or_b32 exec_lo, exec_lo, s22
	v_dual_add_nc_u32 v40, 4, v40 :: v_dual_add_nc_u32 v2, 64, v2
	v_add_nc_u64_e32 v[18:19], 16, v[18:19]
	v_add_nc_u32_e32 v39, 0x100, v39
	s_delay_alu instid0(VALU_DEP_3) | instskip(SKIP_1) | instid1(SALU_CYCLE_1)
	v_cmp_le_i32_e64 s0, s26, v40
	s_or_b32 s19, s0, s19
	s_and_not1_b32 exec_lo, exec_lo, s19
	s_cbranch_execz .LBB257_1062
.LBB257_532:                            ; =>This Inner Loop Header: Depth=1
	v_mov_b32_e32 v3, v13
	s_delay_alu instid0(VALU_DEP_1) | instskip(NEXT) | instid1(VALU_DEP_1)
	v_mul_u64_e32 v[20:21], s[20:21], v[2:3]
	v_mul_lo_u32 v1, v21, s16
	s_delay_alu instid0(VALU_DEP_1) | instskip(NEXT) | instid1(VALU_DEP_1)
	v_sub_nc_u32_e32 v1, v2, v1
	v_subrev_nc_u32_e32 v12, s16, v1
	v_cmp_le_u32_e64 s0, s16, v1
	s_delay_alu instid0(VALU_DEP_1) | instskip(NEXT) | instid1(VALU_DEP_1)
	v_dual_add_nc_u32 v3, 1, v21 :: v_dual_cndmask_b32 v1, v1, v12, s0
	v_cndmask_b32_e64 v3, v21, v3, s0
	s_delay_alu instid0(VALU_DEP_2) | instskip(NEXT) | instid1(VALU_DEP_2)
	v_cmp_le_u32_e64 s0, s16, v1
	v_add_nc_u32_e32 v12, 1, v3
	s_delay_alu instid0(VALU_DEP_1) | instskip(NEXT) | instid1(VALU_DEP_1)
	v_cndmask_b32_e64 v1, v3, v12, s0
	v_xor_b32_e32 v1, s15, v1
	s_delay_alu instid0(VALU_DEP_1) | instskip(NEXT) | instid1(VALU_DEP_1)
	v_subrev_nc_u32_e32 v1, s15, v1
	v_add_nc_u32_e32 v3, s35, v1
	v_cmp_lt_i32_e64 s1, s28, v1
	s_delay_alu instid0(VALU_DEP_2) | instskip(NEXT) | instid1(VALU_DEP_1)
	v_sub_nc_u32_e32 v12, 0, v3
	v_dual_ashrrev_i32 v3, 31, v3 :: v_dual_max_i32 v12, v3, v12
	s_delay_alu instid0(VALU_DEP_1) | instskip(NEXT) | instid1(VALU_DEP_1)
	v_mul_u64_e32 v[20:21], s[2:3], v[12:13]
	v_mul_lo_u32 v20, v21, s14
	s_delay_alu instid0(VALU_DEP_1) | instskip(NEXT) | instid1(VALU_DEP_1)
	v_sub_nc_u32_e32 v12, v12, v20
	v_subrev_nc_u32_e32 v20, s14, v12
	v_cmp_le_u32_e64 s0, s14, v12
	s_delay_alu instid0(VALU_DEP_1) | instskip(NEXT) | instid1(VALU_DEP_1)
	v_cndmask_b32_e64 v12, v12, v20, s0
	v_subrev_nc_u32_e32 v20, s14, v12
	v_cmp_le_u32_e64 s0, s14, v12
	s_delay_alu instid0(VALU_DEP_1) | instskip(NEXT) | instid1(VALU_DEP_1)
	v_cndmask_b32_e64 v12, v12, v20, s0
	v_xor_b32_e32 v12, v12, v3
	s_delay_alu instid0(VALU_DEP_1) | instskip(NEXT) | instid1(VALU_DEP_1)
	v_sub_nc_u32_e32 v3, v12, v3
	v_cmp_eq_u32_e64 s0, 0, v3
	s_or_b32 s0, s0, s1
	s_delay_alu instid0(SALU_CYCLE_1)
	s_and_saveexec_b32 s22, s0
	s_cbranch_execz .LBB257_531
; %bb.533:                              ;   in Loop: Header=BB257_532 Depth=1
	global_load_b32 v1, v[18:19], off
	ds_load_2addr_b64 v[22:25], v39 offset1:1
	ds_load_2addr_b64 v[26:29], v39 offset0:2 offset1:3
	s_mov_b32 s1, exec_lo
	s_wait_dscnt 0x1
	;;#ASMSTART
	v_cvt_f16_f32 v47, v22;

	;;#ASMEND
	;;#ASMSTART
	v_cvt_f16_f32 v43, v23;

	;;#ASMEND
	;;#ASMSTART
	v_cvt_f16_f32 v48, v24;

	;;#ASMEND
	;;#ASMSTART
	v_cvt_f16_f32 v44, v25;

	;;#ASMEND
	s_wait_dscnt 0x0
	;;#ASMSTART
	v_cvt_f16_f32 v49, v26;

	;;#ASMEND
	;;#ASMSTART
	v_cvt_f16_f32 v45, v27;

	;;#ASMEND
	;; [unrolled: 4-line block ×4, first 2 shown]
	v_mov_b32_e32 v3, 0
	s_wait_loadcnt 0x0
	v_mad_nc_i64_i32 v[20:21], v1, s17, s[8:9]
	v_mov_b32_e32 v1, 0
	global_load_b32 v24, v1, s[10:11]
	v_add_nc_u64_e32 v[22:23], v[20:21], v[14:15]
	global_load_b64 v[26:27], v[22:23], off
	s_wait_loadcnt 0x0
	v_and_b32_e32 v12, 0xff, v26
	s_delay_alu instid0(VALU_DEP_1)
	v_cmpx_ne_u16_e32 0, v12
	s_cbranch_execz .LBB257_541
; %bb.534:                              ;   in Loop: Header=BB257_532 Depth=1
	v_mov_b32_e32 v3, 0x8000
	s_mov_b32 s23, exec_lo
	v_cmpx_ne_u16_e32 0x80, v12
	s_cbranch_execz .LBB257_540
; %bb.535:                              ;   in Loop: Header=BB257_532 Depth=1
	v_and_b32_e32 v25, 0x7f, v26
	v_mov_b32_e32 v3, 0x7c01
	s_mov_b32 s24, exec_lo
	s_delay_alu instid0(VALU_DEP_2)
	v_cmpx_ne_u32_e32 0x7f, v25
	s_cbranch_execz .LBB257_539
; %bb.536:                              ;   in Loop: Header=BB257_532 Depth=1
	v_dual_lshrrev_b32 v12, 3, v25 :: v_dual_bitop2_b32 v3, 7, v26 bitop3:0x40
	s_mov_b32 s25, exec_lo
	v_cmpx_gt_u32_e32 8, v25
; %bb.537:                              ;   in Loop: Header=BB257_532 Depth=1
	s_delay_alu instid0(VALU_DEP_2) | instskip(NEXT) | instid1(VALU_DEP_1)
	v_clz_i32_u32_e32 v3, v3
	v_min_u32_e32 v3, 32, v3
	s_delay_alu instid0(VALU_DEP_1) | instskip(NEXT) | instid1(VALU_DEP_1)
	v_subrev_nc_u32_e32 v12, 28, v3
	v_lshlrev_b64_e32 v[28:29], v12, v[26:27]
	s_delay_alu instid0(VALU_DEP_1)
	v_dual_sub_nc_u32 v12, 29, v3 :: v_dual_bitop2_b32 v3, 7, v28 bitop3:0x40
; %bb.538:                              ;   in Loop: Header=BB257_532 Depth=1
	s_or_b32 exec_lo, exec_lo, s25
	s_delay_alu instid0(VALU_DEP_1) | instskip(NEXT) | instid1(VALU_DEP_2)
	v_dual_lshlrev_b32 v25, 8, v26 :: v_dual_lshlrev_b32 v3, 7, v3
	v_lshl_add_u32 v12, v12, 10, 0x2000
	s_delay_alu instid0(VALU_DEP_2) | instskip(NEXT) | instid1(VALU_DEP_2)
	v_and_b32_e32 v25, 0x8000, v25
	v_and_b32_e32 v12, 0xfc00, v12
	s_delay_alu instid0(VALU_DEP_1)
	v_or3_b32 v3, v25, v12, v3
.LBB257_539:                            ;   in Loop: Header=BB257_532 Depth=1
	s_or_b32 exec_lo, exec_lo, s24
.LBB257_540:                            ;   in Loop: Header=BB257_532 Depth=1
	s_delay_alu instid0(SALU_CYCLE_1)
	s_or_b32 exec_lo, exec_lo, s23
.LBB257_541:                            ;   in Loop: Header=BB257_532 Depth=1
	s_delay_alu instid0(SALU_CYCLE_1) | instskip(SKIP_2) | instid1(VALU_DEP_1)
	s_or_b32 exec_lo, exec_lo, s1
	v_lshrrev_b16 v12, 8, v26
	s_mov_b32 s1, exec_lo
	v_cmpx_ne_u16_e32 0, v12
	s_cbranch_execz .LBB257_549
; %bb.542:                              ;   in Loop: Header=BB257_532 Depth=1
	v_bfrev_b32_e32 v1, 1
	s_mov_b32 s23, exec_lo
	v_cmpx_ne_u16_e32 0x80, v12
	s_cbranch_execz .LBB257_548
; %bb.543:                              ;   in Loop: Header=BB257_532 Depth=1
	v_and_b32_e32 v25, 0xffff, v12
	v_mov_b32_e32 v1, 0x7c010000
	s_mov_b32 s24, exec_lo
	s_delay_alu instid0(VALU_DEP_2) | instskip(NEXT) | instid1(VALU_DEP_1)
	v_and_b32_e32 v29, 0x7f, v25
	v_cmpx_ne_u32_e32 0x7f, v29
	s_cbranch_execz .LBB257_547
; %bb.544:                              ;   in Loop: Header=BB257_532 Depth=1
	v_and_b32_e32 v1, 7, v25
	v_lshrrev_b32_e32 v28, 3, v29
	s_mov_b32 s25, exec_lo
	v_cmpx_gt_u32_e32 8, v29
; %bb.545:                              ;   in Loop: Header=BB257_532 Depth=1
	s_delay_alu instid0(VALU_DEP_3) | instskip(NEXT) | instid1(VALU_DEP_1)
	v_clz_i32_u32_e32 v1, v1
	v_min_u32_e32 v1, 32, v1
	s_delay_alu instid0(VALU_DEP_1) | instskip(NEXT) | instid1(VALU_DEP_1)
	v_subrev_nc_u32_e32 v28, 28, v1
	v_lshlrev_b64_e32 v[30:31], v28, v[12:13]
	s_delay_alu instid0(VALU_DEP_1)
	v_dual_sub_nc_u32 v28, 29, v1 :: v_dual_bitop2_b32 v1, 7, v30 bitop3:0x40
; %bb.546:                              ;   in Loop: Header=BB257_532 Depth=1
	s_or_b32 exec_lo, exec_lo, s25
	v_lshlrev_b32_e32 v12, 8, v25
	s_delay_alu instid0(VALU_DEP_2) | instskip(NEXT) | instid1(VALU_DEP_3)
	v_lshl_add_u32 v25, v28, 10, 0x2000
	v_lshlrev_b32_e32 v1, 23, v1
	s_delay_alu instid0(VALU_DEP_2) | instskip(NEXT) | instid1(VALU_DEP_1)
	v_and_or_b32 v12, 0x8000, v12, v25
	v_lshl_or_b32 v1, v12, 16, v1
.LBB257_547:                            ;   in Loop: Header=BB257_532 Depth=1
	s_or_b32 exec_lo, exec_lo, s24
.LBB257_548:                            ;   in Loop: Header=BB257_532 Depth=1
	s_delay_alu instid0(SALU_CYCLE_1)
	s_or_b32 exec_lo, exec_lo, s23
.LBB257_549:                            ;   in Loop: Header=BB257_532 Depth=1
	s_delay_alu instid0(SALU_CYCLE_1) | instskip(SKIP_3) | instid1(VALU_DEP_2)
	s_or_b32 exec_lo, exec_lo, s1
	v_dual_mov_b32 v25, 0 :: v_dual_lshrrev_b32 v12, 16, v26
	v_mov_b32_e32 v28, 0
	s_mov_b32 s1, exec_lo
	v_and_b32_e32 v29, 0xff, v12
	s_delay_alu instid0(VALU_DEP_1)
	v_cmpx_ne_u16_e32 0, v29
	s_cbranch_execz .LBB257_557
; %bb.550:                              ;   in Loop: Header=BB257_532 Depth=1
	v_mov_b32_e32 v28, 0x8000
	s_mov_b32 s23, exec_lo
	v_cmpx_ne_u16_e32 0x80, v29
	s_cbranch_execz .LBB257_556
; %bb.551:                              ;   in Loop: Header=BB257_532 Depth=1
	v_bfe_u32 v30, v26, 16, 7
	v_mov_b32_e32 v28, 0x7c01
	s_mov_b32 s24, exec_lo
	s_delay_alu instid0(VALU_DEP_2)
	v_cmpx_ne_u32_e32 0x7f, v30
	s_cbranch_execz .LBB257_555
; %bb.552:                              ;   in Loop: Header=BB257_532 Depth=1
	v_dual_lshrrev_b32 v29, 3, v30 :: v_dual_bitop2_b32 v28, 7, v12 bitop3:0x40
	s_mov_b32 s25, exec_lo
	v_cmpx_gt_u32_e32 8, v30
; %bb.553:                              ;   in Loop: Header=BB257_532 Depth=1
	s_delay_alu instid0(VALU_DEP_2) | instskip(NEXT) | instid1(VALU_DEP_1)
	v_clz_i32_u32_e32 v28, v28
	v_min_u32_e32 v30, 32, v28
	s_delay_alu instid0(VALU_DEP_1) | instskip(NEXT) | instid1(VALU_DEP_1)
	v_subrev_nc_u32_e32 v28, 28, v30
	v_lshlrev_b64_e32 v[28:29], v28, v[12:13]
	s_delay_alu instid0(VALU_DEP_1)
	v_dual_sub_nc_u32 v29, 29, v30 :: v_dual_bitop2_b32 v28, 7, v28 bitop3:0x40
; %bb.554:                              ;   in Loop: Header=BB257_532 Depth=1
	s_or_b32 exec_lo, exec_lo, s25
	v_lshlrev_b32_e32 v12, 8, v12
	s_delay_alu instid0(VALU_DEP_2) | instskip(NEXT) | instid1(VALU_DEP_3)
	v_lshl_add_u32 v29, v29, 10, 0x2000
	v_lshlrev_b32_e32 v28, 7, v28
	s_delay_alu instid0(VALU_DEP_3) | instskip(NEXT) | instid1(VALU_DEP_3)
	v_and_b32_e32 v12, 0x8000, v12
	v_and_b32_e32 v29, 0xfc00, v29
	s_delay_alu instid0(VALU_DEP_1)
	v_or3_b32 v28, v12, v29, v28
.LBB257_555:                            ;   in Loop: Header=BB257_532 Depth=1
	s_or_b32 exec_lo, exec_lo, s24
.LBB257_556:                            ;   in Loop: Header=BB257_532 Depth=1
	s_delay_alu instid0(SALU_CYCLE_1)
	s_or_b32 exec_lo, exec_lo, s23
.LBB257_557:                            ;   in Loop: Header=BB257_532 Depth=1
	s_delay_alu instid0(SALU_CYCLE_1) | instskip(NEXT) | instid1(SALU_CYCLE_1)
	s_or_b32 exec_lo, exec_lo, s1
	s_mov_b32 s1, exec_lo
	v_cmpx_lt_u32_e32 0xffffff, v26
	s_cbranch_execz .LBB257_565
; %bb.558:                              ;   in Loop: Header=BB257_532 Depth=1
	v_lshrrev_b32_e32 v12, 24, v26
	v_bfrev_b32_e32 v25, 1
	s_mov_b32 s23, exec_lo
	s_delay_alu instid0(VALU_DEP_2)
	v_cmpx_ne_u32_e32 0x80, v12
	s_cbranch_execz .LBB257_564
; %bb.559:                              ;   in Loop: Header=BB257_532 Depth=1
	v_and_b32_e32 v30, 0x7f, v12
	v_mov_b32_e32 v25, 0x7c010000
	s_mov_b32 s24, exec_lo
	s_delay_alu instid0(VALU_DEP_2)
	v_cmpx_ne_u32_e32 0x7f, v30
	s_cbranch_execz .LBB257_563
; %bb.560:                              ;   in Loop: Header=BB257_532 Depth=1
	v_dual_lshrrev_b32 v29, 3, v30 :: v_dual_bitop2_b32 v25, 7, v12 bitop3:0x40
	s_mov_b32 s25, exec_lo
	v_cmpx_gt_u32_e32 8, v30
; %bb.561:                              ;   in Loop: Header=BB257_532 Depth=1
	s_delay_alu instid0(VALU_DEP_2) | instskip(NEXT) | instid1(VALU_DEP_1)
	v_clz_i32_u32_e32 v25, v25
	v_min_u32_e32 v25, 32, v25
	s_delay_alu instid0(VALU_DEP_1) | instskip(NEXT) | instid1(VALU_DEP_1)
	v_subrev_nc_u32_e32 v29, 28, v25
	v_lshlrev_b64_e32 v[30:31], v29, v[12:13]
	s_delay_alu instid0(VALU_DEP_1)
	v_dual_sub_nc_u32 v29, 29, v25 :: v_dual_bitop2_b32 v25, 7, v30 bitop3:0x40
; %bb.562:                              ;   in Loop: Header=BB257_532 Depth=1
	s_or_b32 exec_lo, exec_lo, s25
	s_delay_alu instid0(VALU_DEP_1) | instskip(NEXT) | instid1(VALU_DEP_2)
	v_dual_lshlrev_b32 v12, 8, v12 :: v_dual_lshlrev_b32 v25, 23, v25
	v_lshl_add_u32 v29, v29, 10, 0x2000
	s_delay_alu instid0(VALU_DEP_1) | instskip(NEXT) | instid1(VALU_DEP_1)
	v_and_or_b32 v12, 0x8000, v12, v29
	v_lshl_or_b32 v25, v12, 16, v25
.LBB257_563:                            ;   in Loop: Header=BB257_532 Depth=1
	s_or_b32 exec_lo, exec_lo, s24
.LBB257_564:                            ;   in Loop: Header=BB257_532 Depth=1
	s_delay_alu instid0(SALU_CYCLE_1)
	s_or_b32 exec_lo, exec_lo, s23
.LBB257_565:                            ;   in Loop: Header=BB257_532 Depth=1
	s_delay_alu instid0(SALU_CYCLE_1) | instskip(SKIP_4) | instid1(VALU_DEP_3)
	s_or_b32 exec_lo, exec_lo, s1
	v_and_b32_e32 v31, 0xff, v27
	v_dual_mov_b32 v12, v27 :: v_dual_mov_b32 v30, 0
	v_mov_b32_e32 v29, 0
	s_mov_b32 s1, exec_lo
	v_cmpx_ne_u16_e32 0, v31
	s_cbranch_execz .LBB257_573
; %bb.566:                              ;   in Loop: Header=BB257_532 Depth=1
	v_mov_b32_e32 v29, 0x8000
	s_mov_b32 s23, exec_lo
	v_cmpx_ne_u16_e32 0x80, v31
	s_cbranch_execz .LBB257_572
; %bb.567:                              ;   in Loop: Header=BB257_532 Depth=1
	v_and_b32_e32 v32, 0x7f, v27
	v_mov_b32_e32 v29, 0x7c01
	s_mov_b32 s24, exec_lo
	s_delay_alu instid0(VALU_DEP_2)
	v_cmpx_ne_u32_e32 0x7f, v32
	s_cbranch_execz .LBB257_571
; %bb.568:                              ;   in Loop: Header=BB257_532 Depth=1
	v_dual_lshrrev_b32 v31, 3, v32 :: v_dual_bitop2_b32 v29, 7, v27 bitop3:0x40
	s_mov_b32 s25, exec_lo
	v_cmpx_gt_u32_e32 8, v32
; %bb.569:                              ;   in Loop: Header=BB257_532 Depth=1
	s_delay_alu instid0(VALU_DEP_2) | instskip(NEXT) | instid1(VALU_DEP_1)
	v_clz_i32_u32_e32 v29, v29
	v_min_u32_e32 v29, 32, v29
	s_delay_alu instid0(VALU_DEP_1) | instskip(NEXT) | instid1(VALU_DEP_1)
	v_subrev_nc_u32_e32 v31, 28, v29
	v_lshlrev_b64_e32 v[52:53], v31, v[12:13]
	s_delay_alu instid0(VALU_DEP_1)
	v_dual_sub_nc_u32 v31, 29, v29 :: v_dual_bitop2_b32 v29, 7, v52 bitop3:0x40
; %bb.570:                              ;   in Loop: Header=BB257_532 Depth=1
	s_or_b32 exec_lo, exec_lo, s25
	s_delay_alu instid0(VALU_DEP_1) | instskip(NEXT) | instid1(VALU_DEP_2)
	v_dual_lshlrev_b32 v32, 8, v27 :: v_dual_lshlrev_b32 v29, 7, v29
	v_lshl_add_u32 v31, v31, 10, 0x2000
	s_delay_alu instid0(VALU_DEP_2) | instskip(NEXT) | instid1(VALU_DEP_2)
	v_and_b32_e32 v32, 0x8000, v32
	v_and_b32_e32 v31, 0xfc00, v31
	s_delay_alu instid0(VALU_DEP_1)
	v_or3_b32 v29, v32, v31, v29
.LBB257_571:                            ;   in Loop: Header=BB257_532 Depth=1
	s_or_b32 exec_lo, exec_lo, s24
.LBB257_572:                            ;   in Loop: Header=BB257_532 Depth=1
	s_delay_alu instid0(SALU_CYCLE_1)
	s_or_b32 exec_lo, exec_lo, s23
.LBB257_573:                            ;   in Loop: Header=BB257_532 Depth=1
	s_delay_alu instid0(SALU_CYCLE_1) | instskip(SKIP_3) | instid1(VALU_DEP_2)
	s_or_b32 exec_lo, exec_lo, s1
	v_lshrrev_b16 v12, 8, v12
	v_mov_b32_e32 v31, 0
	s_mov_b32 s1, exec_lo
	v_cmpx_ne_u16_e32 0, v12
	s_cbranch_execz .LBB257_581
; %bb.574:                              ;   in Loop: Header=BB257_532 Depth=1
	v_bfrev_b32_e32 v31, 1
	s_mov_b32 s23, exec_lo
	v_cmpx_ne_u16_e32 0x80, v12
	s_cbranch_execz .LBB257_580
; %bb.575:                              ;   in Loop: Header=BB257_532 Depth=1
	v_and_b32_e32 v32, 0xffff, v12
	v_mov_b32_e32 v31, 0x7c010000
	s_mov_b32 s24, exec_lo
	s_delay_alu instid0(VALU_DEP_2) | instskip(NEXT) | instid1(VALU_DEP_1)
	v_and_b32_e32 v42, 0x7f, v32
	v_cmpx_ne_u32_e32 0x7f, v42
	s_cbranch_execz .LBB257_579
; %bb.576:                              ;   in Loop: Header=BB257_532 Depth=1
	v_dual_lshrrev_b32 v41, 3, v42 :: v_dual_bitop2_b32 v31, 7, v32 bitop3:0x40
	s_mov_b32 s25, exec_lo
	v_cmpx_gt_u32_e32 8, v42
; %bb.577:                              ;   in Loop: Header=BB257_532 Depth=1
	s_delay_alu instid0(VALU_DEP_2) | instskip(NEXT) | instid1(VALU_DEP_1)
	v_clz_i32_u32_e32 v31, v31
	v_min_u32_e32 v31, 32, v31
	s_delay_alu instid0(VALU_DEP_1) | instskip(NEXT) | instid1(VALU_DEP_1)
	v_subrev_nc_u32_e32 v41, 28, v31
	v_lshlrev_b64_e32 v[52:53], v41, v[12:13]
	s_delay_alu instid0(VALU_DEP_1)
	v_dual_sub_nc_u32 v41, 29, v31 :: v_dual_bitop2_b32 v31, 7, v52 bitop3:0x40
; %bb.578:                              ;   in Loop: Header=BB257_532 Depth=1
	s_or_b32 exec_lo, exec_lo, s25
	s_delay_alu instid0(VALU_DEP_1) | instskip(NEXT) | instid1(VALU_DEP_2)
	v_dual_lshlrev_b32 v12, 8, v32 :: v_dual_lshlrev_b32 v31, 23, v31
	v_lshl_add_u32 v32, v41, 10, 0x2000
	s_delay_alu instid0(VALU_DEP_1) | instskip(NEXT) | instid1(VALU_DEP_1)
	v_and_or_b32 v12, 0x8000, v12, v32
	v_lshl_or_b32 v31, v12, 16, v31
.LBB257_579:                            ;   in Loop: Header=BB257_532 Depth=1
	s_or_b32 exec_lo, exec_lo, s24
.LBB257_580:                            ;   in Loop: Header=BB257_532 Depth=1
	s_delay_alu instid0(SALU_CYCLE_1)
	s_or_b32 exec_lo, exec_lo, s23
.LBB257_581:                            ;   in Loop: Header=BB257_532 Depth=1
	s_delay_alu instid0(SALU_CYCLE_1) | instskip(SKIP_2) | instid1(VALU_DEP_1)
	s_or_b32 exec_lo, exec_lo, s1
	v_lshrrev_b32_e32 v12, 16, v27
	s_mov_b32 s1, exec_lo
	v_and_b32_e32 v32, 0xff, v12
	s_delay_alu instid0(VALU_DEP_1)
	v_cmpx_ne_u16_e32 0, v32
	s_cbranch_execz .LBB257_589
; %bb.582:                              ;   in Loop: Header=BB257_532 Depth=1
	v_mov_b32_e32 v30, 0x8000
	s_mov_b32 s23, exec_lo
	v_cmpx_ne_u16_e32 0x80, v32
	s_cbranch_execz .LBB257_588
; %bb.583:                              ;   in Loop: Header=BB257_532 Depth=1
	v_bfe_u32 v41, v27, 16, 7
	v_mov_b32_e32 v30, 0x7c01
	s_mov_b32 s24, exec_lo
	s_delay_alu instid0(VALU_DEP_2)
	v_cmpx_ne_u32_e32 0x7f, v41
	s_cbranch_execz .LBB257_587
; %bb.584:                              ;   in Loop: Header=BB257_532 Depth=1
	v_dual_lshrrev_b32 v32, 3, v41 :: v_dual_bitop2_b32 v30, 7, v12 bitop3:0x40
	s_mov_b32 s25, exec_lo
	v_cmpx_gt_u32_e32 8, v41
; %bb.585:                              ;   in Loop: Header=BB257_532 Depth=1
	s_delay_alu instid0(VALU_DEP_2) | instskip(NEXT) | instid1(VALU_DEP_1)
	v_clz_i32_u32_e32 v30, v30
	v_min_u32_e32 v30, 32, v30
	s_delay_alu instid0(VALU_DEP_1) | instskip(NEXT) | instid1(VALU_DEP_1)
	v_subrev_nc_u32_e32 v32, 28, v30
	v_lshlrev_b64_e32 v[52:53], v32, v[12:13]
	s_delay_alu instid0(VALU_DEP_1)
	v_dual_sub_nc_u32 v32, 29, v30 :: v_dual_bitop2_b32 v30, 7, v52 bitop3:0x40
; %bb.586:                              ;   in Loop: Header=BB257_532 Depth=1
	s_or_b32 exec_lo, exec_lo, s25
	s_delay_alu instid0(VALU_DEP_1) | instskip(NEXT) | instid1(VALU_DEP_2)
	v_dual_lshlrev_b32 v12, 8, v12 :: v_dual_lshlrev_b32 v30, 7, v30
	v_lshl_add_u32 v32, v32, 10, 0x2000
	s_delay_alu instid0(VALU_DEP_2) | instskip(NEXT) | instid1(VALU_DEP_2)
	v_and_b32_e32 v12, 0x8000, v12
	v_and_b32_e32 v32, 0xfc00, v32
	s_delay_alu instid0(VALU_DEP_1)
	v_or3_b32 v30, v12, v32, v30
.LBB257_587:                            ;   in Loop: Header=BB257_532 Depth=1
	s_or_b32 exec_lo, exec_lo, s24
.LBB257_588:                            ;   in Loop: Header=BB257_532 Depth=1
	s_delay_alu instid0(SALU_CYCLE_1)
	s_or_b32 exec_lo, exec_lo, s23
.LBB257_589:                            ;   in Loop: Header=BB257_532 Depth=1
	s_delay_alu instid0(SALU_CYCLE_1)
	s_or_b32 exec_lo, exec_lo, s1
	v_cmp_lt_u64_e64 s0, s[12:13], v[26:27]
	v_mov_b32_e32 v26, 0
	s_and_saveexec_b32 s1, s0
	s_cbranch_execz .LBB257_597
; %bb.590:                              ;   in Loop: Header=BB257_532 Depth=1
	v_lshrrev_b32_e32 v12, 24, v27
	v_bfrev_b32_e32 v26, 1
	s_mov_b32 s23, exec_lo
	s_delay_alu instid0(VALU_DEP_2)
	v_cmpx_ne_u32_e32 0x80, v12
	s_cbranch_execz .LBB257_596
; %bb.591:                              ;   in Loop: Header=BB257_532 Depth=1
	v_and_b32_e32 v32, 0x7f, v12
	v_mov_b32_e32 v26, 0x7c010000
	s_mov_b32 s24, exec_lo
	s_delay_alu instid0(VALU_DEP_2)
	v_cmpx_ne_u32_e32 0x7f, v32
	s_cbranch_execz .LBB257_595
; %bb.592:                              ;   in Loop: Header=BB257_532 Depth=1
	v_and_b32_e32 v26, 7, v12
	v_lshrrev_b32_e32 v27, 3, v32
	s_mov_b32 s25, exec_lo
	v_cmpx_gt_u32_e32 8, v32
; %bb.593:                              ;   in Loop: Header=BB257_532 Depth=1
	s_delay_alu instid0(VALU_DEP_3) | instskip(NEXT) | instid1(VALU_DEP_1)
	v_clz_i32_u32_e32 v26, v26
	v_min_u32_e32 v32, 32, v26
	s_delay_alu instid0(VALU_DEP_1) | instskip(NEXT) | instid1(VALU_DEP_1)
	v_subrev_nc_u32_e32 v26, 28, v32
	v_lshlrev_b64_e32 v[26:27], v26, v[12:13]
	s_delay_alu instid0(VALU_DEP_1)
	v_dual_sub_nc_u32 v27, 29, v32 :: v_dual_bitop2_b32 v26, 7, v26 bitop3:0x40
; %bb.594:                              ;   in Loop: Header=BB257_532 Depth=1
	s_or_b32 exec_lo, exec_lo, s25
	s_delay_alu instid0(VALU_DEP_1) | instskip(NEXT) | instid1(VALU_DEP_2)
	v_dual_lshlrev_b32 v12, 8, v12 :: v_dual_lshlrev_b32 v26, 23, v26
	v_lshl_add_u32 v27, v27, 10, 0x2000
	s_delay_alu instid0(VALU_DEP_1) | instskip(NEXT) | instid1(VALU_DEP_1)
	v_and_or_b32 v12, 0x8000, v12, v27
	v_lshl_or_b32 v26, v12, 16, v26
.LBB257_595:                            ;   in Loop: Header=BB257_532 Depth=1
	s_or_b32 exec_lo, exec_lo, s24
.LBB257_596:                            ;   in Loop: Header=BB257_532 Depth=1
	s_delay_alu instid0(SALU_CYCLE_1)
	s_or_b32 exec_lo, exec_lo, s23
.LBB257_597:                            ;   in Loop: Header=BB257_532 Depth=1
	s_delay_alu instid0(SALU_CYCLE_1) | instskip(SKIP_3) | instid1(VALU_DEP_3)
	s_or_b32 exec_lo, exec_lo, s1
	v_dual_lshrrev_b32 v12, 16, v1 :: v_dual_bitop2_b32 v1, v1, v3 bitop3:0x54
	v_dual_lshrrev_b32 v27, 16, v25 :: v_dual_bitop2_b32 v3, v25, v28 bitop3:0x54
	v_lshrrev_b32_e32 v28, 16, v26
	v_cvt_f32_f16_e32 v53, v12
	v_dual_lshrrev_b32 v25, 16, v31 :: v_dual_bitop2_b32 v12, v26, v30 bitop3:0x54
	s_delay_alu instid0(VALU_DEP_4)
	v_cvt_f32_f16_e32 v26, v3
	v_or_b32_e32 v3, v31, v29
	v_cvt_f32_f16_e32 v52, v27
	v_cvt_f32_f16_e32 v27, v1
	;; [unrolled: 1-line block ×6, first 2 shown]
	v_pk_mul_f32 v[52:53], v[24:25], v[52:53] op_sel_hi:[0,1]
	v_pk_mul_f32 v[26:27], v[24:25], v[26:27] op_sel_hi:[0,1]
	;; [unrolled: 1-line block ×3, first 2 shown]
	v_cmp_eq_u32_e64 s0, s29, v40
	v_pk_mul_f32 v[30:31], v[24:25], v[30:31] op_sel_hi:[0,1]
	v_cvt_pk_f16_f32 v1, v52, v53
	v_cvt_pk_f16_f32 v3, v26, v27
	;; [unrolled: 1-line block ×3, first 2 shown]
	v_add_nc_u32_e32 v41, v38, v2
	v_cvt_pk_f16_f32 v26, v30, v31
	v_and_b32_e32 v25, 0xffff0000, v1
	v_dual_lshlrev_b32 v24, 16, v1 :: v_dual_lshrrev_b32 v31, 16, v3
	v_and_b32_e32 v32, 0xffff, v3
	v_and_b32_e32 v1, 0xffff0000, v12
	v_dual_lshlrev_b32 v12, 16, v12 :: v_dual_lshrrev_b32 v3, 16, v26
	s_delay_alu instid0(VALU_DEP_4) | instskip(SKIP_2) | instid1(VALU_DEP_4)
	v_or_b32_e32 v29, v25, v31
	v_and_b32_e32 v26, 0xffff, v26
	v_or_b32_e32 v30, v24, v32
	v_or_b32_e32 v27, v1, v3
	s_delay_alu instid0(VALU_DEP_3)
	v_or_b32_e32 v28, v12, v26
	s_and_saveexec_b32 s23, s0
	s_cbranch_execz .LBB257_599
; %bb.598:                              ;   in Loop: Header=BB257_532 Depth=1
	v_dual_add_nc_u32 v27, 2, v41 :: v_dual_bitop2_b32 v28, 1, v41 bitop3:0x54
	v_cmp_gt_i32_e64 s1, s18, v41
	s_delay_alu instid0(VALU_DEP_1) | instskip(NEXT) | instid1(VALU_DEP_3)
	v_dual_cndmask_b32 v30, 0, v31, s1 :: v_dual_bitop2_b32 v29, 3, v41 bitop3:0x54
	v_cmp_gt_i32_e64 s1, s34, v27
	s_delay_alu instid0(VALU_DEP_1) | instskip(SKIP_2) | instid1(VALU_DEP_2)
	v_cndmask_b32_e64 v27, 0, v32, s1
	v_cmp_gt_i32_e64 s1, s18, v28
	v_or_b32_e32 v32, 7, v41
	v_cndmask_b32_e64 v25, 0, v25, s1
	v_cmp_gt_i32_e64 s1, s34, v29
	s_delay_alu instid0(VALU_DEP_1) | instskip(NEXT) | instid1(VALU_DEP_1)
	v_dual_cndmask_b32 v24, 0, v24, s1 :: v_dual_bitop2_b32 v28, 4, v41 bitop3:0x54
	v_cmp_gt_i32_e64 s1, s18, v28
	s_delay_alu instid0(VALU_DEP_1) | instskip(NEXT) | instid1(VALU_DEP_1)
	v_dual_cndmask_b32 v3, 0, v3, s1 :: v_dual_bitop2_b32 v29, 6, v41 bitop3:0x54
	v_cmp_gt_i32_e64 s1, s34, v29
	v_or_b32_e32 v31, 5, v41
	v_or_b32_e32 v29, v25, v30
	s_delay_alu instid0(VALU_DEP_3) | instskip(NEXT) | instid1(VALU_DEP_3)
	v_dual_cndmask_b32 v26, 0, v26, s1 :: v_dual_bitop2_b32 v30, v24, v27 bitop3:0x54
	v_cmp_gt_i32_e64 s1, s18, v31
	s_delay_alu instid0(VALU_DEP_1) | instskip(SKIP_1) | instid1(VALU_DEP_1)
	v_cndmask_b32_e64 v1, 0, v1, s1
	v_cmp_gt_i32_e64 s1, s34, v32
	v_dual_cndmask_b32 v12, 0, v12, s1 :: v_dual_bitop2_b32 v27, v1, v3 bitop3:0x54
	s_delay_alu instid0(VALU_DEP_1)
	v_or_b32_e32 v28, v12, v26
.LBB257_599:                            ;   in Loop: Header=BB257_532 Depth=1
	s_or_b32 exec_lo, exec_lo, s23
	v_and_b32_e32 v1, 0xffff, v47
	v_and_b32_e32 v3, 0xffff, v48
	;; [unrolled: 1-line block ×4, first 2 shown]
	s_mov_b32 s23, exec_lo
	v_lshl_or_b32 v49, v43, 16, v1
	;;#ASMSTART
	v_pk_mul_f16 v1, v49, v29;

	;;#ASMEND
	v_lshl_or_b32 v48, v44, 16, v3
	v_lshl_or_b32 v47, v45, 16, v12
	;; [unrolled: 1-line block ×3, first 2 shown]
	;;#ASMSTART
	v_pk_mul_f16 v3, v48, v30;

	;;#ASMEND
	;;#ASMSTART
	v_pk_mul_f16 v12, v47, v27;

	;;#ASMEND
	;; [unrolled: 4-line block ×3, first 2 shown]
	;;#ASMSTART
	v_pk_add_f16 v1, v1, v3;

	;;#ASMEND
	;;#ASMSTART
	v_pk_add_f16 v1, v1, v12;

	;;#ASMEND
	;; [unrolled: 4-line block ×3, first 2 shown]
	v_and_b32_e32 v3, 0xffff, v1
	v_lshrrev_b32_e32 v1, 16, v1
	;;#ASMSTART
	v_cvt_f32_f16 v44, v3;
	;;#ASMEND
	v_mov_b32_e32 v3, 0
	;;#ASMSTART
	v_cvt_f32_f16 v45, v1;
	;;#ASMEND
	global_load_b64 v[26:27], v[22:23], off offset:256
	v_mov_b32_e32 v1, 0
	global_load_b32 v24, v1, s[10:11]
	s_wait_loadcnt 0x1
	v_and_b32_e32 v12, 0xff, v26
	s_wait_xcnt 0x0
	s_delay_alu instid0(VALU_DEP_1)
	v_cmpx_ne_u16_e32 0, v12
	s_cbranch_execz .LBB257_607
; %bb.600:                              ;   in Loop: Header=BB257_532 Depth=1
	v_mov_b32_e32 v3, 0x8000
	s_mov_b32 s24, exec_lo
	v_cmpx_ne_u16_e32 0x80, v12
	s_cbranch_execz .LBB257_606
; %bb.601:                              ;   in Loop: Header=BB257_532 Depth=1
	v_and_b32_e32 v25, 0x7f, v26
	v_mov_b32_e32 v3, 0x7c01
	s_mov_b32 s25, exec_lo
	s_delay_alu instid0(VALU_DEP_2)
	v_cmpx_ne_u32_e32 0x7f, v25
	s_cbranch_execz .LBB257_605
; %bb.602:                              ;   in Loop: Header=BB257_532 Depth=1
	v_dual_lshrrev_b32 v12, 3, v25 :: v_dual_bitop2_b32 v3, 7, v26 bitop3:0x40
	s_mov_b32 s36, exec_lo
	v_cmpx_gt_u32_e32 8, v25
; %bb.603:                              ;   in Loop: Header=BB257_532 Depth=1
	s_delay_alu instid0(VALU_DEP_2) | instskip(NEXT) | instid1(VALU_DEP_1)
	v_clz_i32_u32_e32 v3, v3
	v_min_u32_e32 v3, 32, v3
	s_delay_alu instid0(VALU_DEP_1) | instskip(NEXT) | instid1(VALU_DEP_1)
	v_subrev_nc_u32_e32 v12, 28, v3
	v_lshlrev_b64_e32 v[28:29], v12, v[26:27]
	s_delay_alu instid0(VALU_DEP_1)
	v_dual_sub_nc_u32 v12, 29, v3 :: v_dual_bitop2_b32 v3, 7, v28 bitop3:0x40
; %bb.604:                              ;   in Loop: Header=BB257_532 Depth=1
	s_or_b32 exec_lo, exec_lo, s36
	s_delay_alu instid0(VALU_DEP_1) | instskip(NEXT) | instid1(VALU_DEP_2)
	v_dual_lshlrev_b32 v25, 8, v26 :: v_dual_lshlrev_b32 v3, 7, v3
	v_lshl_add_u32 v12, v12, 10, 0x2000
	s_delay_alu instid0(VALU_DEP_2) | instskip(NEXT) | instid1(VALU_DEP_2)
	v_and_b32_e32 v25, 0x8000, v25
	v_and_b32_e32 v12, 0xfc00, v12
	s_delay_alu instid0(VALU_DEP_1)
	v_or3_b32 v3, v25, v12, v3
.LBB257_605:                            ;   in Loop: Header=BB257_532 Depth=1
	s_or_b32 exec_lo, exec_lo, s25
.LBB257_606:                            ;   in Loop: Header=BB257_532 Depth=1
	s_delay_alu instid0(SALU_CYCLE_1)
	s_or_b32 exec_lo, exec_lo, s24
.LBB257_607:                            ;   in Loop: Header=BB257_532 Depth=1
	s_delay_alu instid0(SALU_CYCLE_1) | instskip(SKIP_2) | instid1(VALU_DEP_1)
	s_or_b32 exec_lo, exec_lo, s23
	v_lshrrev_b16 v12, 8, v26
	s_mov_b32 s23, exec_lo
	v_cmpx_ne_u16_e32 0, v12
	s_cbranch_execz .LBB257_615
; %bb.608:                              ;   in Loop: Header=BB257_532 Depth=1
	v_bfrev_b32_e32 v1, 1
	s_mov_b32 s24, exec_lo
	v_cmpx_ne_u16_e32 0x80, v12
	s_cbranch_execz .LBB257_614
; %bb.609:                              ;   in Loop: Header=BB257_532 Depth=1
	v_and_b32_e32 v25, 0xffff, v12
	v_mov_b32_e32 v1, 0x7c010000
	s_mov_b32 s25, exec_lo
	s_delay_alu instid0(VALU_DEP_2) | instskip(NEXT) | instid1(VALU_DEP_1)
	v_and_b32_e32 v29, 0x7f, v25
	v_cmpx_ne_u32_e32 0x7f, v29
	s_cbranch_execz .LBB257_613
; %bb.610:                              ;   in Loop: Header=BB257_532 Depth=1
	v_and_b32_e32 v1, 7, v25
	v_lshrrev_b32_e32 v28, 3, v29
	s_mov_b32 s36, exec_lo
	v_cmpx_gt_u32_e32 8, v29
; %bb.611:                              ;   in Loop: Header=BB257_532 Depth=1
	s_delay_alu instid0(VALU_DEP_3) | instskip(NEXT) | instid1(VALU_DEP_1)
	v_clz_i32_u32_e32 v1, v1
	v_min_u32_e32 v1, 32, v1
	s_delay_alu instid0(VALU_DEP_1) | instskip(NEXT) | instid1(VALU_DEP_1)
	v_subrev_nc_u32_e32 v28, 28, v1
	v_lshlrev_b64_e32 v[30:31], v28, v[12:13]
	s_delay_alu instid0(VALU_DEP_1)
	v_dual_sub_nc_u32 v28, 29, v1 :: v_dual_bitop2_b32 v1, 7, v30 bitop3:0x40
; %bb.612:                              ;   in Loop: Header=BB257_532 Depth=1
	s_or_b32 exec_lo, exec_lo, s36
	v_lshlrev_b32_e32 v12, 8, v25
	s_delay_alu instid0(VALU_DEP_2) | instskip(NEXT) | instid1(VALU_DEP_3)
	v_lshl_add_u32 v25, v28, 10, 0x2000
	v_lshlrev_b32_e32 v1, 23, v1
	s_delay_alu instid0(VALU_DEP_2) | instskip(NEXT) | instid1(VALU_DEP_1)
	v_and_or_b32 v12, 0x8000, v12, v25
	v_lshl_or_b32 v1, v12, 16, v1
.LBB257_613:                            ;   in Loop: Header=BB257_532 Depth=1
	s_or_b32 exec_lo, exec_lo, s25
.LBB257_614:                            ;   in Loop: Header=BB257_532 Depth=1
	s_delay_alu instid0(SALU_CYCLE_1)
	s_or_b32 exec_lo, exec_lo, s24
.LBB257_615:                            ;   in Loop: Header=BB257_532 Depth=1
	s_delay_alu instid0(SALU_CYCLE_1) | instskip(SKIP_3) | instid1(VALU_DEP_2)
	s_or_b32 exec_lo, exec_lo, s23
	v_dual_mov_b32 v25, 0 :: v_dual_lshrrev_b32 v12, 16, v26
	v_mov_b32_e32 v28, 0
	s_mov_b32 s23, exec_lo
	v_and_b32_e32 v29, 0xff, v12
	s_delay_alu instid0(VALU_DEP_1)
	v_cmpx_ne_u16_e32 0, v29
	s_cbranch_execz .LBB257_623
; %bb.616:                              ;   in Loop: Header=BB257_532 Depth=1
	v_mov_b32_e32 v28, 0x8000
	s_mov_b32 s24, exec_lo
	v_cmpx_ne_u16_e32 0x80, v29
	s_cbranch_execz .LBB257_622
; %bb.617:                              ;   in Loop: Header=BB257_532 Depth=1
	v_bfe_u32 v30, v26, 16, 7
	v_mov_b32_e32 v28, 0x7c01
	s_mov_b32 s25, exec_lo
	s_delay_alu instid0(VALU_DEP_2)
	v_cmpx_ne_u32_e32 0x7f, v30
	s_cbranch_execz .LBB257_621
; %bb.618:                              ;   in Loop: Header=BB257_532 Depth=1
	v_dual_lshrrev_b32 v29, 3, v30 :: v_dual_bitop2_b32 v28, 7, v12 bitop3:0x40
	s_mov_b32 s36, exec_lo
	v_cmpx_gt_u32_e32 8, v30
; %bb.619:                              ;   in Loop: Header=BB257_532 Depth=1
	s_delay_alu instid0(VALU_DEP_2) | instskip(NEXT) | instid1(VALU_DEP_1)
	v_clz_i32_u32_e32 v28, v28
	v_min_u32_e32 v30, 32, v28
	s_delay_alu instid0(VALU_DEP_1) | instskip(NEXT) | instid1(VALU_DEP_1)
	v_subrev_nc_u32_e32 v28, 28, v30
	v_lshlrev_b64_e32 v[28:29], v28, v[12:13]
	s_delay_alu instid0(VALU_DEP_1)
	v_dual_sub_nc_u32 v29, 29, v30 :: v_dual_bitop2_b32 v28, 7, v28 bitop3:0x40
; %bb.620:                              ;   in Loop: Header=BB257_532 Depth=1
	s_or_b32 exec_lo, exec_lo, s36
	v_lshlrev_b32_e32 v12, 8, v12
	s_delay_alu instid0(VALU_DEP_2) | instskip(NEXT) | instid1(VALU_DEP_3)
	v_lshl_add_u32 v29, v29, 10, 0x2000
	v_lshlrev_b32_e32 v28, 7, v28
	s_delay_alu instid0(VALU_DEP_3) | instskip(NEXT) | instid1(VALU_DEP_3)
	v_and_b32_e32 v12, 0x8000, v12
	v_and_b32_e32 v29, 0xfc00, v29
	s_delay_alu instid0(VALU_DEP_1)
	v_or3_b32 v28, v12, v29, v28
.LBB257_621:                            ;   in Loop: Header=BB257_532 Depth=1
	s_or_b32 exec_lo, exec_lo, s25
.LBB257_622:                            ;   in Loop: Header=BB257_532 Depth=1
	s_delay_alu instid0(SALU_CYCLE_1)
	s_or_b32 exec_lo, exec_lo, s24
.LBB257_623:                            ;   in Loop: Header=BB257_532 Depth=1
	s_delay_alu instid0(SALU_CYCLE_1) | instskip(NEXT) | instid1(SALU_CYCLE_1)
	s_or_b32 exec_lo, exec_lo, s23
	s_mov_b32 s23, exec_lo
	v_cmpx_lt_u32_e32 0xffffff, v26
	s_cbranch_execz .LBB257_631
; %bb.624:                              ;   in Loop: Header=BB257_532 Depth=1
	v_lshrrev_b32_e32 v12, 24, v26
	v_bfrev_b32_e32 v25, 1
	s_mov_b32 s24, exec_lo
	s_delay_alu instid0(VALU_DEP_2)
	v_cmpx_ne_u32_e32 0x80, v12
	s_cbranch_execz .LBB257_630
; %bb.625:                              ;   in Loop: Header=BB257_532 Depth=1
	v_and_b32_e32 v30, 0x7f, v12
	v_mov_b32_e32 v25, 0x7c010000
	s_mov_b32 s25, exec_lo
	s_delay_alu instid0(VALU_DEP_2)
	v_cmpx_ne_u32_e32 0x7f, v30
	s_cbranch_execz .LBB257_629
; %bb.626:                              ;   in Loop: Header=BB257_532 Depth=1
	v_dual_lshrrev_b32 v29, 3, v30 :: v_dual_bitop2_b32 v25, 7, v12 bitop3:0x40
	s_mov_b32 s36, exec_lo
	v_cmpx_gt_u32_e32 8, v30
; %bb.627:                              ;   in Loop: Header=BB257_532 Depth=1
	s_delay_alu instid0(VALU_DEP_2) | instskip(NEXT) | instid1(VALU_DEP_1)
	v_clz_i32_u32_e32 v25, v25
	v_min_u32_e32 v25, 32, v25
	s_delay_alu instid0(VALU_DEP_1) | instskip(NEXT) | instid1(VALU_DEP_1)
	v_subrev_nc_u32_e32 v29, 28, v25
	v_lshlrev_b64_e32 v[30:31], v29, v[12:13]
	s_delay_alu instid0(VALU_DEP_1)
	v_dual_sub_nc_u32 v29, 29, v25 :: v_dual_bitop2_b32 v25, 7, v30 bitop3:0x40
; %bb.628:                              ;   in Loop: Header=BB257_532 Depth=1
	s_or_b32 exec_lo, exec_lo, s36
	s_delay_alu instid0(VALU_DEP_1) | instskip(NEXT) | instid1(VALU_DEP_2)
	v_dual_lshlrev_b32 v12, 8, v12 :: v_dual_lshlrev_b32 v25, 23, v25
	v_lshl_add_u32 v29, v29, 10, 0x2000
	s_delay_alu instid0(VALU_DEP_1) | instskip(NEXT) | instid1(VALU_DEP_1)
	v_and_or_b32 v12, 0x8000, v12, v29
	v_lshl_or_b32 v25, v12, 16, v25
.LBB257_629:                            ;   in Loop: Header=BB257_532 Depth=1
	s_or_b32 exec_lo, exec_lo, s25
.LBB257_630:                            ;   in Loop: Header=BB257_532 Depth=1
	s_delay_alu instid0(SALU_CYCLE_1)
	s_or_b32 exec_lo, exec_lo, s24
.LBB257_631:                            ;   in Loop: Header=BB257_532 Depth=1
	s_delay_alu instid0(SALU_CYCLE_1) | instskip(SKIP_4) | instid1(VALU_DEP_3)
	s_or_b32 exec_lo, exec_lo, s23
	v_and_b32_e32 v31, 0xff, v27
	v_dual_mov_b32 v12, v27 :: v_dual_mov_b32 v30, 0
	v_mov_b32_e32 v29, 0
	s_mov_b32 s23, exec_lo
	v_cmpx_ne_u16_e32 0, v31
	s_cbranch_execz .LBB257_639
; %bb.632:                              ;   in Loop: Header=BB257_532 Depth=1
	v_mov_b32_e32 v29, 0x8000
	s_mov_b32 s24, exec_lo
	v_cmpx_ne_u16_e32 0x80, v31
	s_cbranch_execz .LBB257_638
; %bb.633:                              ;   in Loop: Header=BB257_532 Depth=1
	v_and_b32_e32 v32, 0x7f, v27
	v_mov_b32_e32 v29, 0x7c01
	s_mov_b32 s25, exec_lo
	s_delay_alu instid0(VALU_DEP_2)
	v_cmpx_ne_u32_e32 0x7f, v32
	s_cbranch_execz .LBB257_637
; %bb.634:                              ;   in Loop: Header=BB257_532 Depth=1
	v_dual_lshrrev_b32 v31, 3, v32 :: v_dual_bitop2_b32 v29, 7, v27 bitop3:0x40
	s_mov_b32 s36, exec_lo
	v_cmpx_gt_u32_e32 8, v32
; %bb.635:                              ;   in Loop: Header=BB257_532 Depth=1
	s_delay_alu instid0(VALU_DEP_2) | instskip(NEXT) | instid1(VALU_DEP_1)
	v_clz_i32_u32_e32 v29, v29
	v_min_u32_e32 v29, 32, v29
	s_delay_alu instid0(VALU_DEP_1) | instskip(NEXT) | instid1(VALU_DEP_1)
	v_subrev_nc_u32_e32 v31, 28, v29
	v_lshlrev_b64_e32 v[42:43], v31, v[12:13]
	s_delay_alu instid0(VALU_DEP_1)
	v_dual_sub_nc_u32 v31, 29, v29 :: v_dual_bitop2_b32 v29, 7, v42 bitop3:0x40
; %bb.636:                              ;   in Loop: Header=BB257_532 Depth=1
	s_or_b32 exec_lo, exec_lo, s36
	s_delay_alu instid0(VALU_DEP_1) | instskip(NEXT) | instid1(VALU_DEP_2)
	v_dual_lshlrev_b32 v32, 8, v27 :: v_dual_lshlrev_b32 v29, 7, v29
	v_lshl_add_u32 v31, v31, 10, 0x2000
	s_delay_alu instid0(VALU_DEP_2) | instskip(NEXT) | instid1(VALU_DEP_2)
	v_and_b32_e32 v32, 0x8000, v32
	v_and_b32_e32 v31, 0xfc00, v31
	s_delay_alu instid0(VALU_DEP_1)
	v_or3_b32 v29, v32, v31, v29
.LBB257_637:                            ;   in Loop: Header=BB257_532 Depth=1
	s_or_b32 exec_lo, exec_lo, s25
.LBB257_638:                            ;   in Loop: Header=BB257_532 Depth=1
	s_delay_alu instid0(SALU_CYCLE_1)
	s_or_b32 exec_lo, exec_lo, s24
.LBB257_639:                            ;   in Loop: Header=BB257_532 Depth=1
	s_delay_alu instid0(SALU_CYCLE_1) | instskip(SKIP_3) | instid1(VALU_DEP_2)
	s_or_b32 exec_lo, exec_lo, s23
	v_lshrrev_b16 v12, 8, v12
	v_mov_b32_e32 v31, 0
	s_mov_b32 s23, exec_lo
	v_cmpx_ne_u16_e32 0, v12
	s_cbranch_execz .LBB257_647
; %bb.640:                              ;   in Loop: Header=BB257_532 Depth=1
	v_bfrev_b32_e32 v31, 1
	s_mov_b32 s24, exec_lo
	v_cmpx_ne_u16_e32 0x80, v12
	s_cbranch_execz .LBB257_646
; %bb.641:                              ;   in Loop: Header=BB257_532 Depth=1
	v_and_b32_e32 v32, 0xffff, v12
	v_mov_b32_e32 v31, 0x7c010000
	s_mov_b32 s25, exec_lo
	s_delay_alu instid0(VALU_DEP_2) | instskip(NEXT) | instid1(VALU_DEP_1)
	v_and_b32_e32 v43, 0x7f, v32
	v_cmpx_ne_u32_e32 0x7f, v43
	s_cbranch_execz .LBB257_645
; %bb.642:                              ;   in Loop: Header=BB257_532 Depth=1
	v_dual_lshrrev_b32 v42, 3, v43 :: v_dual_bitop2_b32 v31, 7, v32 bitop3:0x40
	s_mov_b32 s36, exec_lo
	v_cmpx_gt_u32_e32 8, v43
; %bb.643:                              ;   in Loop: Header=BB257_532 Depth=1
	s_delay_alu instid0(VALU_DEP_2) | instskip(NEXT) | instid1(VALU_DEP_1)
	v_clz_i32_u32_e32 v31, v31
	v_min_u32_e32 v31, 32, v31
	s_delay_alu instid0(VALU_DEP_1) | instskip(NEXT) | instid1(VALU_DEP_1)
	v_subrev_nc_u32_e32 v42, 28, v31
	v_lshlrev_b64_e32 v[50:51], v42, v[12:13]
	s_delay_alu instid0(VALU_DEP_1)
	v_dual_sub_nc_u32 v42, 29, v31 :: v_dual_bitop2_b32 v31, 7, v50 bitop3:0x40
; %bb.644:                              ;   in Loop: Header=BB257_532 Depth=1
	s_or_b32 exec_lo, exec_lo, s36
	s_delay_alu instid0(VALU_DEP_1) | instskip(NEXT) | instid1(VALU_DEP_2)
	v_dual_lshlrev_b32 v12, 8, v32 :: v_dual_lshlrev_b32 v31, 23, v31
	v_lshl_add_u32 v32, v42, 10, 0x2000
	s_delay_alu instid0(VALU_DEP_1) | instskip(NEXT) | instid1(VALU_DEP_1)
	v_and_or_b32 v12, 0x8000, v12, v32
	v_lshl_or_b32 v31, v12, 16, v31
.LBB257_645:                            ;   in Loop: Header=BB257_532 Depth=1
	s_or_b32 exec_lo, exec_lo, s25
.LBB257_646:                            ;   in Loop: Header=BB257_532 Depth=1
	s_delay_alu instid0(SALU_CYCLE_1)
	s_or_b32 exec_lo, exec_lo, s24
.LBB257_647:                            ;   in Loop: Header=BB257_532 Depth=1
	s_delay_alu instid0(SALU_CYCLE_1) | instskip(SKIP_2) | instid1(VALU_DEP_1)
	s_or_b32 exec_lo, exec_lo, s23
	v_lshrrev_b32_e32 v12, 16, v27
	s_mov_b32 s23, exec_lo
	v_and_b32_e32 v32, 0xff, v12
	s_delay_alu instid0(VALU_DEP_1)
	v_cmpx_ne_u16_e32 0, v32
	s_cbranch_execz .LBB257_655
; %bb.648:                              ;   in Loop: Header=BB257_532 Depth=1
	v_mov_b32_e32 v30, 0x8000
	s_mov_b32 s24, exec_lo
	v_cmpx_ne_u16_e32 0x80, v32
	s_cbranch_execz .LBB257_654
; %bb.649:                              ;   in Loop: Header=BB257_532 Depth=1
	v_bfe_u32 v42, v27, 16, 7
	v_mov_b32_e32 v30, 0x7c01
	s_mov_b32 s25, exec_lo
	s_delay_alu instid0(VALU_DEP_2)
	v_cmpx_ne_u32_e32 0x7f, v42
	s_cbranch_execz .LBB257_653
; %bb.650:                              ;   in Loop: Header=BB257_532 Depth=1
	v_dual_lshrrev_b32 v32, 3, v42 :: v_dual_bitop2_b32 v30, 7, v12 bitop3:0x40
	s_mov_b32 s36, exec_lo
	v_cmpx_gt_u32_e32 8, v42
; %bb.651:                              ;   in Loop: Header=BB257_532 Depth=1
	s_delay_alu instid0(VALU_DEP_2) | instskip(NEXT) | instid1(VALU_DEP_1)
	v_clz_i32_u32_e32 v30, v30
	v_min_u32_e32 v30, 32, v30
	s_delay_alu instid0(VALU_DEP_1) | instskip(NEXT) | instid1(VALU_DEP_1)
	v_subrev_nc_u32_e32 v32, 28, v30
	v_lshlrev_b64_e32 v[42:43], v32, v[12:13]
	v_sub_nc_u32_e32 v32, 29, v30
	s_delay_alu instid0(VALU_DEP_2)
	v_and_b32_e32 v30, 7, v42
; %bb.652:                              ;   in Loop: Header=BB257_532 Depth=1
	s_or_b32 exec_lo, exec_lo, s36
	s_delay_alu instid0(VALU_DEP_1) | instskip(NEXT) | instid1(VALU_DEP_3)
	v_dual_lshlrev_b32 v12, 8, v12 :: v_dual_lshlrev_b32 v30, 7, v30
	v_lshl_add_u32 v32, v32, 10, 0x2000
	s_delay_alu instid0(VALU_DEP_2) | instskip(NEXT) | instid1(VALU_DEP_2)
	v_and_b32_e32 v12, 0x8000, v12
	v_and_b32_e32 v32, 0xfc00, v32
	s_delay_alu instid0(VALU_DEP_1)
	v_or3_b32 v30, v12, v32, v30
.LBB257_653:                            ;   in Loop: Header=BB257_532 Depth=1
	s_or_b32 exec_lo, exec_lo, s25
.LBB257_654:                            ;   in Loop: Header=BB257_532 Depth=1
	s_delay_alu instid0(SALU_CYCLE_1)
	s_or_b32 exec_lo, exec_lo, s24
.LBB257_655:                            ;   in Loop: Header=BB257_532 Depth=1
	s_delay_alu instid0(SALU_CYCLE_1)
	s_or_b32 exec_lo, exec_lo, s23
	v_cmp_lt_u64_e64 s1, s[12:13], v[26:27]
	v_mov_b32_e32 v26, 0
	s_and_saveexec_b32 s23, s1
	s_cbranch_execz .LBB257_663
; %bb.656:                              ;   in Loop: Header=BB257_532 Depth=1
	v_lshrrev_b32_e32 v12, 24, v27
	v_bfrev_b32_e32 v26, 1
	s_mov_b32 s24, exec_lo
	s_delay_alu instid0(VALU_DEP_2)
	v_cmpx_ne_u32_e32 0x80, v12
	s_cbranch_execz .LBB257_662
; %bb.657:                              ;   in Loop: Header=BB257_532 Depth=1
	v_and_b32_e32 v32, 0x7f, v12
	v_mov_b32_e32 v26, 0x7c010000
	s_mov_b32 s25, exec_lo
	s_delay_alu instid0(VALU_DEP_2)
	v_cmpx_ne_u32_e32 0x7f, v32
	s_cbranch_execz .LBB257_661
; %bb.658:                              ;   in Loop: Header=BB257_532 Depth=1
	v_and_b32_e32 v26, 7, v12
	v_lshrrev_b32_e32 v27, 3, v32
	s_mov_b32 s36, exec_lo
	v_cmpx_gt_u32_e32 8, v32
; %bb.659:                              ;   in Loop: Header=BB257_532 Depth=1
	s_delay_alu instid0(VALU_DEP_3) | instskip(NEXT) | instid1(VALU_DEP_1)
	v_clz_i32_u32_e32 v26, v26
	v_min_u32_e32 v32, 32, v26
	s_delay_alu instid0(VALU_DEP_1) | instskip(NEXT) | instid1(VALU_DEP_1)
	v_subrev_nc_u32_e32 v26, 28, v32
	v_lshlrev_b64_e32 v[26:27], v26, v[12:13]
	s_delay_alu instid0(VALU_DEP_1)
	v_dual_sub_nc_u32 v27, 29, v32 :: v_dual_bitop2_b32 v26, 7, v26 bitop3:0x40
; %bb.660:                              ;   in Loop: Header=BB257_532 Depth=1
	s_or_b32 exec_lo, exec_lo, s36
	s_delay_alu instid0(VALU_DEP_1) | instskip(NEXT) | instid1(VALU_DEP_2)
	v_dual_lshlrev_b32 v12, 8, v12 :: v_dual_lshlrev_b32 v26, 23, v26
	v_lshl_add_u32 v27, v27, 10, 0x2000
	s_delay_alu instid0(VALU_DEP_1) | instskip(NEXT) | instid1(VALU_DEP_1)
	v_and_or_b32 v12, 0x8000, v12, v27
	v_lshl_or_b32 v26, v12, 16, v26
.LBB257_661:                            ;   in Loop: Header=BB257_532 Depth=1
	s_or_b32 exec_lo, exec_lo, s25
.LBB257_662:                            ;   in Loop: Header=BB257_532 Depth=1
	s_delay_alu instid0(SALU_CYCLE_1)
	s_or_b32 exec_lo, exec_lo, s24
.LBB257_663:                            ;   in Loop: Header=BB257_532 Depth=1
	s_delay_alu instid0(SALU_CYCLE_1) | instskip(SKIP_3) | instid1(VALU_DEP_3)
	s_or_b32 exec_lo, exec_lo, s23
	v_dual_lshrrev_b32 v12, 16, v1 :: v_dual_bitop2_b32 v1, v1, v3 bitop3:0x54
	v_dual_lshrrev_b32 v27, 16, v25 :: v_dual_bitop2_b32 v3, v25, v28 bitop3:0x54
	v_lshrrev_b32_e32 v28, 16, v26
	v_cvt_f32_f16_e32 v43, v12
	v_dual_lshrrev_b32 v25, 16, v31 :: v_dual_bitop2_b32 v12, v26, v30 bitop3:0x54
	s_delay_alu instid0(VALU_DEP_4)
	v_cvt_f32_f16_e32 v26, v3
	v_or_b32_e32 v3, v31, v29
	v_cvt_f32_f16_e32 v42, v27
	v_cvt_f32_f16_e32 v27, v1
	v_cvt_f32_f16_e32 v29, v25
	v_cvt_f32_f16_e32 v28, v28
	v_cvt_f32_f16_e32 v30, v12
	v_cvt_f32_f16_e32 v31, v3
	s_wait_loadcnt 0x0
	v_pk_mul_f32 v[42:43], v[24:25], v[42:43] op_sel_hi:[0,1]
	v_pk_mul_f32 v[26:27], v[24:25], v[26:27] op_sel_hi:[0,1]
	v_pk_mul_f32 v[28:29], v[24:25], v[28:29] op_sel_hi:[0,1]
	v_pk_mul_f32 v[30:31], v[24:25], v[30:31] op_sel_hi:[0,1]
	s_delay_alu instid0(VALU_DEP_4) | instskip(NEXT) | instid1(VALU_DEP_4)
	v_cvt_pk_f16_f32 v1, v42, v43
	v_cvt_pk_f16_f32 v3, v26, v27
	s_delay_alu instid0(VALU_DEP_4) | instskip(NEXT) | instid1(VALU_DEP_4)
	v_cvt_pk_f16_f32 v12, v28, v29
	v_cvt_pk_f16_f32 v26, v30, v31
	s_delay_alu instid0(VALU_DEP_4) | instskip(NEXT) | instid1(VALU_DEP_4)
	v_and_b32_e32 v25, 0xffff0000, v1
	v_dual_lshlrev_b32 v24, 16, v1 :: v_dual_lshrrev_b32 v27, 16, v3
	v_and_b32_e32 v28, 0xffff, v3
	v_and_b32_e32 v1, 0xffff0000, v12
	v_dual_lshlrev_b32 v12, 16, v12 :: v_dual_lshrrev_b32 v3, 16, v26
	v_and_b32_e32 v26, 0xffff, v26
	v_or_b32_e32 v31, v25, v27
	v_or_b32_e32 v32, v24, v28
	s_delay_alu instid0(VALU_DEP_4) | instskip(NEXT) | instid1(VALU_DEP_4)
	v_or_b32_e32 v29, v1, v3
	v_or_b32_e32 v30, v12, v26
	s_and_saveexec_b32 s23, s0
	s_cbranch_execz .LBB257_665
; %bb.664:                              ;   in Loop: Header=BB257_532 Depth=1
	v_dual_add_nc_u32 v29, 2, v41 :: v_dual_bitop2_b32 v30, 1, v41 bitop3:0x54
	v_cmp_gt_i32_e64 s1, s18, v41
	v_or_b32_e32 v31, 3, v41
	s_delay_alu instid0(VALU_DEP_2) | instskip(NEXT) | instid1(VALU_DEP_4)
	v_dual_cndmask_b32 v27, 0, v27, s1 :: v_dual_bitop2_b32 v32, 7, v41 bitop3:0x54
	v_cmp_gt_i32_e64 s1, s34, v29
	s_delay_alu instid0(VALU_DEP_1) | instskip(SKIP_1) | instid1(VALU_DEP_1)
	v_cndmask_b32_e64 v28, 0, v28, s1
	v_cmp_gt_i32_e64 s1, s18, v30
	v_cndmask_b32_e64 v25, 0, v25, s1
	v_cmp_gt_i32_e64 s1, s34, v31
	s_delay_alu instid0(VALU_DEP_1) | instskip(NEXT) | instid1(VALU_DEP_1)
	v_dual_cndmask_b32 v24, 0, v24, s1 :: v_dual_bitop2_b32 v29, 4, v41 bitop3:0x54
	v_cmp_gt_i32_e64 s1, s18, v29
	s_delay_alu instid0(VALU_DEP_1) | instskip(NEXT) | instid1(VALU_DEP_1)
	v_dual_cndmask_b32 v3, 0, v3, s1 :: v_dual_bitop2_b32 v30, 6, v41 bitop3:0x54
	;; [unrolled: 3-line block ×3, first 2 shown]
	v_cmp_gt_i32_e64 s1, s18, v31
	s_delay_alu instid0(VALU_DEP_1) | instskip(SKIP_2) | instid1(VALU_DEP_2)
	v_dual_cndmask_b32 v1, 0, v1, s1 :: v_dual_bitop2_b32 v31, v25, v27 bitop3:0x54
	v_cmp_gt_i32_e64 s1, s34, v32
	v_or_b32_e32 v32, v24, v28
	v_dual_cndmask_b32 v12, 0, v12, s1 :: v_dual_bitop2_b32 v29, v1, v3 bitop3:0x54
	s_delay_alu instid0(VALU_DEP_1)
	v_or_b32_e32 v30, v12, v26
.LBB257_665:                            ;   in Loop: Header=BB257_532 Depth=1
	s_or_b32 exec_lo, exec_lo, s23
	;;#ASMSTART
	v_pk_mul_f16 v1, v49, v31;

	;;#ASMEND
	;;#ASMSTART
	v_pk_mul_f16 v3, v48, v32;

	;;#ASMEND
	;; [unrolled: 4-line block ×4, first 2 shown]
	;;#ASMSTART
	v_pk_add_f16 v1, v1, v3;

	;;#ASMEND
	;;#ASMSTART
	v_pk_add_f16 v1, v1, v12;

	;;#ASMEND
	;;#ASMSTART
	v_pk_add_f16 v1, v1, v24;

	;;#ASMEND
	v_and_b32_e32 v3, 0xffff, v1
	v_lshrrev_b32_e32 v1, 16, v1
	;;#ASMSTART
	v_cvt_f32_f16 v50, v3;
	;;#ASMEND
	v_mov_b32_e32 v3, 0
	;;#ASMSTART
	v_cvt_f32_f16 v51, v1;
	;;#ASMEND
	global_load_b64 v[26:27], v[22:23], off offset:512
	v_mov_b32_e32 v1, 0
	s_mov_b32 s23, exec_lo
	global_load_b32 v24, v1, s[10:11]
	s_wait_loadcnt 0x1
	v_and_b32_e32 v12, 0xff, v26
	s_wait_xcnt 0x0
	s_delay_alu instid0(VALU_DEP_1)
	v_cmpx_ne_u16_e32 0, v12
	s_cbranch_execz .LBB257_673
; %bb.666:                              ;   in Loop: Header=BB257_532 Depth=1
	v_mov_b32_e32 v3, 0x8000
	s_mov_b32 s24, exec_lo
	v_cmpx_ne_u16_e32 0x80, v12
	s_cbranch_execz .LBB257_672
; %bb.667:                              ;   in Loop: Header=BB257_532 Depth=1
	v_and_b32_e32 v25, 0x7f, v26
	v_mov_b32_e32 v3, 0x7c01
	s_mov_b32 s25, exec_lo
	s_delay_alu instid0(VALU_DEP_2)
	v_cmpx_ne_u32_e32 0x7f, v25
	s_cbranch_execz .LBB257_671
; %bb.668:                              ;   in Loop: Header=BB257_532 Depth=1
	v_dual_lshrrev_b32 v12, 3, v25 :: v_dual_bitop2_b32 v3, 7, v26 bitop3:0x40
	s_mov_b32 s36, exec_lo
	v_cmpx_gt_u32_e32 8, v25
; %bb.669:                              ;   in Loop: Header=BB257_532 Depth=1
	s_delay_alu instid0(VALU_DEP_2) | instskip(NEXT) | instid1(VALU_DEP_1)
	v_clz_i32_u32_e32 v3, v3
	v_min_u32_e32 v3, 32, v3
	s_delay_alu instid0(VALU_DEP_1) | instskip(NEXT) | instid1(VALU_DEP_1)
	v_subrev_nc_u32_e32 v12, 28, v3
	v_lshlrev_b64_e32 v[28:29], v12, v[26:27]
	s_delay_alu instid0(VALU_DEP_1)
	v_dual_sub_nc_u32 v12, 29, v3 :: v_dual_bitop2_b32 v3, 7, v28 bitop3:0x40
; %bb.670:                              ;   in Loop: Header=BB257_532 Depth=1
	s_or_b32 exec_lo, exec_lo, s36
	s_delay_alu instid0(VALU_DEP_1) | instskip(NEXT) | instid1(VALU_DEP_2)
	v_dual_lshlrev_b32 v25, 8, v26 :: v_dual_lshlrev_b32 v3, 7, v3
	v_lshl_add_u32 v12, v12, 10, 0x2000
	s_delay_alu instid0(VALU_DEP_2) | instskip(NEXT) | instid1(VALU_DEP_2)
	v_and_b32_e32 v25, 0x8000, v25
	v_and_b32_e32 v12, 0xfc00, v12
	s_delay_alu instid0(VALU_DEP_1)
	v_or3_b32 v3, v25, v12, v3
.LBB257_671:                            ;   in Loop: Header=BB257_532 Depth=1
	s_or_b32 exec_lo, exec_lo, s25
.LBB257_672:                            ;   in Loop: Header=BB257_532 Depth=1
	s_delay_alu instid0(SALU_CYCLE_1)
	s_or_b32 exec_lo, exec_lo, s24
.LBB257_673:                            ;   in Loop: Header=BB257_532 Depth=1
	s_delay_alu instid0(SALU_CYCLE_1) | instskip(SKIP_2) | instid1(VALU_DEP_1)
	s_or_b32 exec_lo, exec_lo, s23
	v_lshrrev_b16 v12, 8, v26
	s_mov_b32 s23, exec_lo
	v_cmpx_ne_u16_e32 0, v12
	s_cbranch_execz .LBB257_681
; %bb.674:                              ;   in Loop: Header=BB257_532 Depth=1
	v_bfrev_b32_e32 v1, 1
	s_mov_b32 s24, exec_lo
	v_cmpx_ne_u16_e32 0x80, v12
	s_cbranch_execz .LBB257_680
; %bb.675:                              ;   in Loop: Header=BB257_532 Depth=1
	v_and_b32_e32 v25, 0xffff, v12
	v_mov_b32_e32 v1, 0x7c010000
	s_mov_b32 s25, exec_lo
	s_delay_alu instid0(VALU_DEP_2) | instskip(NEXT) | instid1(VALU_DEP_1)
	v_and_b32_e32 v29, 0x7f, v25
	v_cmpx_ne_u32_e32 0x7f, v29
	s_cbranch_execz .LBB257_679
; %bb.676:                              ;   in Loop: Header=BB257_532 Depth=1
	v_and_b32_e32 v1, 7, v25
	v_lshrrev_b32_e32 v28, 3, v29
	s_mov_b32 s36, exec_lo
	v_cmpx_gt_u32_e32 8, v29
; %bb.677:                              ;   in Loop: Header=BB257_532 Depth=1
	s_delay_alu instid0(VALU_DEP_3) | instskip(NEXT) | instid1(VALU_DEP_1)
	v_clz_i32_u32_e32 v1, v1
	v_min_u32_e32 v1, 32, v1
	s_delay_alu instid0(VALU_DEP_1) | instskip(NEXT) | instid1(VALU_DEP_1)
	v_subrev_nc_u32_e32 v28, 28, v1
	v_lshlrev_b64_e32 v[30:31], v28, v[12:13]
	s_delay_alu instid0(VALU_DEP_1)
	v_dual_sub_nc_u32 v28, 29, v1 :: v_dual_bitop2_b32 v1, 7, v30 bitop3:0x40
; %bb.678:                              ;   in Loop: Header=BB257_532 Depth=1
	s_or_b32 exec_lo, exec_lo, s36
	v_lshlrev_b32_e32 v12, 8, v25
	s_delay_alu instid0(VALU_DEP_2) | instskip(NEXT) | instid1(VALU_DEP_3)
	v_lshl_add_u32 v25, v28, 10, 0x2000
	v_lshlrev_b32_e32 v1, 23, v1
	s_delay_alu instid0(VALU_DEP_2) | instskip(NEXT) | instid1(VALU_DEP_1)
	v_and_or_b32 v12, 0x8000, v12, v25
	v_lshl_or_b32 v1, v12, 16, v1
.LBB257_679:                            ;   in Loop: Header=BB257_532 Depth=1
	s_or_b32 exec_lo, exec_lo, s25
.LBB257_680:                            ;   in Loop: Header=BB257_532 Depth=1
	s_delay_alu instid0(SALU_CYCLE_1)
	s_or_b32 exec_lo, exec_lo, s24
.LBB257_681:                            ;   in Loop: Header=BB257_532 Depth=1
	s_delay_alu instid0(SALU_CYCLE_1) | instskip(SKIP_3) | instid1(VALU_DEP_2)
	s_or_b32 exec_lo, exec_lo, s23
	v_dual_mov_b32 v25, 0 :: v_dual_lshrrev_b32 v12, 16, v26
	v_mov_b32_e32 v28, 0
	s_mov_b32 s23, exec_lo
	v_and_b32_e32 v29, 0xff, v12
	s_delay_alu instid0(VALU_DEP_1)
	v_cmpx_ne_u16_e32 0, v29
	s_cbranch_execz .LBB257_689
; %bb.682:                              ;   in Loop: Header=BB257_532 Depth=1
	v_mov_b32_e32 v28, 0x8000
	s_mov_b32 s24, exec_lo
	v_cmpx_ne_u16_e32 0x80, v29
	s_cbranch_execz .LBB257_688
; %bb.683:                              ;   in Loop: Header=BB257_532 Depth=1
	v_bfe_u32 v30, v26, 16, 7
	v_mov_b32_e32 v28, 0x7c01
	s_mov_b32 s25, exec_lo
	s_delay_alu instid0(VALU_DEP_2)
	v_cmpx_ne_u32_e32 0x7f, v30
	s_cbranch_execz .LBB257_687
; %bb.684:                              ;   in Loop: Header=BB257_532 Depth=1
	v_dual_lshrrev_b32 v29, 3, v30 :: v_dual_bitop2_b32 v28, 7, v12 bitop3:0x40
	s_mov_b32 s36, exec_lo
	v_cmpx_gt_u32_e32 8, v30
; %bb.685:                              ;   in Loop: Header=BB257_532 Depth=1
	s_delay_alu instid0(VALU_DEP_2) | instskip(NEXT) | instid1(VALU_DEP_1)
	v_clz_i32_u32_e32 v28, v28
	v_min_u32_e32 v30, 32, v28
	s_delay_alu instid0(VALU_DEP_1) | instskip(NEXT) | instid1(VALU_DEP_1)
	v_subrev_nc_u32_e32 v28, 28, v30
	v_lshlrev_b64_e32 v[28:29], v28, v[12:13]
	s_delay_alu instid0(VALU_DEP_1)
	v_dual_sub_nc_u32 v29, 29, v30 :: v_dual_bitop2_b32 v28, 7, v28 bitop3:0x40
; %bb.686:                              ;   in Loop: Header=BB257_532 Depth=1
	s_or_b32 exec_lo, exec_lo, s36
	v_lshlrev_b32_e32 v12, 8, v12
	s_delay_alu instid0(VALU_DEP_2) | instskip(NEXT) | instid1(VALU_DEP_3)
	v_lshl_add_u32 v29, v29, 10, 0x2000
	v_lshlrev_b32_e32 v28, 7, v28
	s_delay_alu instid0(VALU_DEP_3) | instskip(NEXT) | instid1(VALU_DEP_3)
	v_and_b32_e32 v12, 0x8000, v12
	v_and_b32_e32 v29, 0xfc00, v29
	s_delay_alu instid0(VALU_DEP_1)
	v_or3_b32 v28, v12, v29, v28
.LBB257_687:                            ;   in Loop: Header=BB257_532 Depth=1
	s_or_b32 exec_lo, exec_lo, s25
.LBB257_688:                            ;   in Loop: Header=BB257_532 Depth=1
	s_delay_alu instid0(SALU_CYCLE_1)
	s_or_b32 exec_lo, exec_lo, s24
.LBB257_689:                            ;   in Loop: Header=BB257_532 Depth=1
	s_delay_alu instid0(SALU_CYCLE_1) | instskip(NEXT) | instid1(SALU_CYCLE_1)
	s_or_b32 exec_lo, exec_lo, s23
	s_mov_b32 s23, exec_lo
	v_cmpx_lt_u32_e32 0xffffff, v26
	s_cbranch_execz .LBB257_697
; %bb.690:                              ;   in Loop: Header=BB257_532 Depth=1
	v_lshrrev_b32_e32 v12, 24, v26
	v_bfrev_b32_e32 v25, 1
	s_mov_b32 s24, exec_lo
	s_delay_alu instid0(VALU_DEP_2)
	v_cmpx_ne_u32_e32 0x80, v12
	s_cbranch_execz .LBB257_696
; %bb.691:                              ;   in Loop: Header=BB257_532 Depth=1
	v_and_b32_e32 v30, 0x7f, v12
	v_mov_b32_e32 v25, 0x7c010000
	s_mov_b32 s25, exec_lo
	s_delay_alu instid0(VALU_DEP_2)
	v_cmpx_ne_u32_e32 0x7f, v30
	s_cbranch_execz .LBB257_695
; %bb.692:                              ;   in Loop: Header=BB257_532 Depth=1
	v_dual_lshrrev_b32 v29, 3, v30 :: v_dual_bitop2_b32 v25, 7, v12 bitop3:0x40
	s_mov_b32 s36, exec_lo
	v_cmpx_gt_u32_e32 8, v30
; %bb.693:                              ;   in Loop: Header=BB257_532 Depth=1
	s_delay_alu instid0(VALU_DEP_2) | instskip(NEXT) | instid1(VALU_DEP_1)
	v_clz_i32_u32_e32 v25, v25
	v_min_u32_e32 v25, 32, v25
	s_delay_alu instid0(VALU_DEP_1) | instskip(NEXT) | instid1(VALU_DEP_1)
	v_subrev_nc_u32_e32 v29, 28, v25
	v_lshlrev_b64_e32 v[30:31], v29, v[12:13]
	s_delay_alu instid0(VALU_DEP_1)
	v_dual_sub_nc_u32 v29, 29, v25 :: v_dual_bitop2_b32 v25, 7, v30 bitop3:0x40
; %bb.694:                              ;   in Loop: Header=BB257_532 Depth=1
	s_or_b32 exec_lo, exec_lo, s36
	s_delay_alu instid0(VALU_DEP_1) | instskip(NEXT) | instid1(VALU_DEP_2)
	v_dual_lshlrev_b32 v12, 8, v12 :: v_dual_lshlrev_b32 v25, 23, v25
	v_lshl_add_u32 v29, v29, 10, 0x2000
	s_delay_alu instid0(VALU_DEP_1) | instskip(NEXT) | instid1(VALU_DEP_1)
	v_and_or_b32 v12, 0x8000, v12, v29
	v_lshl_or_b32 v25, v12, 16, v25
.LBB257_695:                            ;   in Loop: Header=BB257_532 Depth=1
	s_or_b32 exec_lo, exec_lo, s25
.LBB257_696:                            ;   in Loop: Header=BB257_532 Depth=1
	s_delay_alu instid0(SALU_CYCLE_1)
	s_or_b32 exec_lo, exec_lo, s24
.LBB257_697:                            ;   in Loop: Header=BB257_532 Depth=1
	s_delay_alu instid0(SALU_CYCLE_1) | instskip(SKIP_4) | instid1(VALU_DEP_3)
	s_or_b32 exec_lo, exec_lo, s23
	v_and_b32_e32 v31, 0xff, v27
	v_dual_mov_b32 v12, v27 :: v_dual_mov_b32 v30, 0
	v_mov_b32_e32 v29, 0
	s_mov_b32 s23, exec_lo
	v_cmpx_ne_u16_e32 0, v31
	s_cbranch_execz .LBB257_705
; %bb.698:                              ;   in Loop: Header=BB257_532 Depth=1
	v_mov_b32_e32 v29, 0x8000
	s_mov_b32 s24, exec_lo
	v_cmpx_ne_u16_e32 0x80, v31
	s_cbranch_execz .LBB257_704
; %bb.699:                              ;   in Loop: Header=BB257_532 Depth=1
	v_and_b32_e32 v32, 0x7f, v27
	v_mov_b32_e32 v29, 0x7c01
	s_mov_b32 s25, exec_lo
	s_delay_alu instid0(VALU_DEP_2)
	v_cmpx_ne_u32_e32 0x7f, v32
	s_cbranch_execz .LBB257_703
; %bb.700:                              ;   in Loop: Header=BB257_532 Depth=1
	v_dual_lshrrev_b32 v31, 3, v32 :: v_dual_bitop2_b32 v29, 7, v27 bitop3:0x40
	s_mov_b32 s36, exec_lo
	v_cmpx_gt_u32_e32 8, v32
; %bb.701:                              ;   in Loop: Header=BB257_532 Depth=1
	s_delay_alu instid0(VALU_DEP_2) | instskip(NEXT) | instid1(VALU_DEP_1)
	v_clz_i32_u32_e32 v29, v29
	v_min_u32_e32 v29, 32, v29
	s_delay_alu instid0(VALU_DEP_1) | instskip(NEXT) | instid1(VALU_DEP_1)
	v_subrev_nc_u32_e32 v31, 28, v29
	v_lshlrev_b64_e32 v[42:43], v31, v[12:13]
	s_delay_alu instid0(VALU_DEP_1)
	v_dual_sub_nc_u32 v31, 29, v29 :: v_dual_bitop2_b32 v29, 7, v42 bitop3:0x40
; %bb.702:                              ;   in Loop: Header=BB257_532 Depth=1
	s_or_b32 exec_lo, exec_lo, s36
	s_delay_alu instid0(VALU_DEP_1) | instskip(NEXT) | instid1(VALU_DEP_2)
	v_dual_lshlrev_b32 v32, 8, v27 :: v_dual_lshlrev_b32 v29, 7, v29
	v_lshl_add_u32 v31, v31, 10, 0x2000
	s_delay_alu instid0(VALU_DEP_2) | instskip(NEXT) | instid1(VALU_DEP_2)
	v_and_b32_e32 v32, 0x8000, v32
	v_and_b32_e32 v31, 0xfc00, v31
	s_delay_alu instid0(VALU_DEP_1)
	v_or3_b32 v29, v32, v31, v29
.LBB257_703:                            ;   in Loop: Header=BB257_532 Depth=1
	s_or_b32 exec_lo, exec_lo, s25
.LBB257_704:                            ;   in Loop: Header=BB257_532 Depth=1
	s_delay_alu instid0(SALU_CYCLE_1)
	s_or_b32 exec_lo, exec_lo, s24
.LBB257_705:                            ;   in Loop: Header=BB257_532 Depth=1
	s_delay_alu instid0(SALU_CYCLE_1) | instskip(SKIP_3) | instid1(VALU_DEP_2)
	s_or_b32 exec_lo, exec_lo, s23
	v_lshrrev_b16 v12, 8, v12
	v_mov_b32_e32 v31, 0
	s_mov_b32 s23, exec_lo
	v_cmpx_ne_u16_e32 0, v12
	s_cbranch_execz .LBB257_713
; %bb.706:                              ;   in Loop: Header=BB257_532 Depth=1
	v_bfrev_b32_e32 v31, 1
	s_mov_b32 s24, exec_lo
	v_cmpx_ne_u16_e32 0x80, v12
	s_cbranch_execz .LBB257_712
; %bb.707:                              ;   in Loop: Header=BB257_532 Depth=1
	v_and_b32_e32 v32, 0xffff, v12
	v_mov_b32_e32 v31, 0x7c010000
	s_mov_b32 s25, exec_lo
	s_delay_alu instid0(VALU_DEP_2) | instskip(NEXT) | instid1(VALU_DEP_1)
	v_and_b32_e32 v43, 0x7f, v32
	v_cmpx_ne_u32_e32 0x7f, v43
	s_cbranch_execz .LBB257_711
; %bb.708:                              ;   in Loop: Header=BB257_532 Depth=1
	v_dual_lshrrev_b32 v42, 3, v43 :: v_dual_bitop2_b32 v31, 7, v32 bitop3:0x40
	s_mov_b32 s36, exec_lo
	v_cmpx_gt_u32_e32 8, v43
; %bb.709:                              ;   in Loop: Header=BB257_532 Depth=1
	s_delay_alu instid0(VALU_DEP_2) | instskip(NEXT) | instid1(VALU_DEP_1)
	v_clz_i32_u32_e32 v31, v31
	v_min_u32_e32 v31, 32, v31
	s_delay_alu instid0(VALU_DEP_1) | instskip(NEXT) | instid1(VALU_DEP_1)
	v_subrev_nc_u32_e32 v42, 28, v31
	v_lshlrev_b64_e32 v[52:53], v42, v[12:13]
	s_delay_alu instid0(VALU_DEP_1)
	v_dual_sub_nc_u32 v42, 29, v31 :: v_dual_bitop2_b32 v31, 7, v52 bitop3:0x40
; %bb.710:                              ;   in Loop: Header=BB257_532 Depth=1
	s_or_b32 exec_lo, exec_lo, s36
	s_delay_alu instid0(VALU_DEP_1) | instskip(NEXT) | instid1(VALU_DEP_2)
	v_dual_lshlrev_b32 v12, 8, v32 :: v_dual_lshlrev_b32 v31, 23, v31
	v_lshl_add_u32 v32, v42, 10, 0x2000
	s_delay_alu instid0(VALU_DEP_1) | instskip(NEXT) | instid1(VALU_DEP_1)
	v_and_or_b32 v12, 0x8000, v12, v32
	v_lshl_or_b32 v31, v12, 16, v31
.LBB257_711:                            ;   in Loop: Header=BB257_532 Depth=1
	s_or_b32 exec_lo, exec_lo, s25
.LBB257_712:                            ;   in Loop: Header=BB257_532 Depth=1
	s_delay_alu instid0(SALU_CYCLE_1)
	s_or_b32 exec_lo, exec_lo, s24
.LBB257_713:                            ;   in Loop: Header=BB257_532 Depth=1
	s_delay_alu instid0(SALU_CYCLE_1) | instskip(SKIP_2) | instid1(VALU_DEP_1)
	s_or_b32 exec_lo, exec_lo, s23
	v_lshrrev_b32_e32 v12, 16, v27
	s_mov_b32 s23, exec_lo
	v_and_b32_e32 v32, 0xff, v12
	s_delay_alu instid0(VALU_DEP_1)
	v_cmpx_ne_u16_e32 0, v32
	s_cbranch_execz .LBB257_721
; %bb.714:                              ;   in Loop: Header=BB257_532 Depth=1
	v_mov_b32_e32 v30, 0x8000
	s_mov_b32 s24, exec_lo
	v_cmpx_ne_u16_e32 0x80, v32
	s_cbranch_execz .LBB257_720
; %bb.715:                              ;   in Loop: Header=BB257_532 Depth=1
	v_bfe_u32 v42, v27, 16, 7
	v_mov_b32_e32 v30, 0x7c01
	s_mov_b32 s25, exec_lo
	s_delay_alu instid0(VALU_DEP_2)
	v_cmpx_ne_u32_e32 0x7f, v42
	s_cbranch_execz .LBB257_719
; %bb.716:                              ;   in Loop: Header=BB257_532 Depth=1
	v_dual_lshrrev_b32 v32, 3, v42 :: v_dual_bitop2_b32 v30, 7, v12 bitop3:0x40
	s_mov_b32 s36, exec_lo
	v_cmpx_gt_u32_e32 8, v42
; %bb.717:                              ;   in Loop: Header=BB257_532 Depth=1
	s_delay_alu instid0(VALU_DEP_2) | instskip(NEXT) | instid1(VALU_DEP_1)
	v_clz_i32_u32_e32 v30, v30
	v_min_u32_e32 v30, 32, v30
	s_delay_alu instid0(VALU_DEP_1) | instskip(NEXT) | instid1(VALU_DEP_1)
	v_subrev_nc_u32_e32 v32, 28, v30
	v_lshlrev_b64_e32 v[42:43], v32, v[12:13]
	v_sub_nc_u32_e32 v32, 29, v30
	s_delay_alu instid0(VALU_DEP_2)
	v_and_b32_e32 v30, 7, v42
; %bb.718:                              ;   in Loop: Header=BB257_532 Depth=1
	s_or_b32 exec_lo, exec_lo, s36
	s_delay_alu instid0(VALU_DEP_1) | instskip(NEXT) | instid1(VALU_DEP_3)
	v_dual_lshlrev_b32 v12, 8, v12 :: v_dual_lshlrev_b32 v30, 7, v30
	v_lshl_add_u32 v32, v32, 10, 0x2000
	s_delay_alu instid0(VALU_DEP_2) | instskip(NEXT) | instid1(VALU_DEP_2)
	v_and_b32_e32 v12, 0x8000, v12
	v_and_b32_e32 v32, 0xfc00, v32
	s_delay_alu instid0(VALU_DEP_1)
	v_or3_b32 v30, v12, v32, v30
.LBB257_719:                            ;   in Loop: Header=BB257_532 Depth=1
	s_or_b32 exec_lo, exec_lo, s25
.LBB257_720:                            ;   in Loop: Header=BB257_532 Depth=1
	s_delay_alu instid0(SALU_CYCLE_1)
	s_or_b32 exec_lo, exec_lo, s24
.LBB257_721:                            ;   in Loop: Header=BB257_532 Depth=1
	s_delay_alu instid0(SALU_CYCLE_1)
	s_or_b32 exec_lo, exec_lo, s23
	v_cmp_lt_u64_e64 s1, s[12:13], v[26:27]
	v_mov_b32_e32 v26, 0
	s_and_saveexec_b32 s23, s1
	s_cbranch_execz .LBB257_729
; %bb.722:                              ;   in Loop: Header=BB257_532 Depth=1
	v_lshrrev_b32_e32 v12, 24, v27
	v_bfrev_b32_e32 v26, 1
	s_mov_b32 s24, exec_lo
	s_delay_alu instid0(VALU_DEP_2)
	v_cmpx_ne_u32_e32 0x80, v12
	s_cbranch_execz .LBB257_728
; %bb.723:                              ;   in Loop: Header=BB257_532 Depth=1
	v_and_b32_e32 v32, 0x7f, v12
	v_mov_b32_e32 v26, 0x7c010000
	s_mov_b32 s25, exec_lo
	s_delay_alu instid0(VALU_DEP_2)
	v_cmpx_ne_u32_e32 0x7f, v32
	s_cbranch_execz .LBB257_727
; %bb.724:                              ;   in Loop: Header=BB257_532 Depth=1
	v_and_b32_e32 v26, 7, v12
	v_lshrrev_b32_e32 v27, 3, v32
	s_mov_b32 s36, exec_lo
	v_cmpx_gt_u32_e32 8, v32
; %bb.725:                              ;   in Loop: Header=BB257_532 Depth=1
	s_delay_alu instid0(VALU_DEP_3) | instskip(NEXT) | instid1(VALU_DEP_1)
	v_clz_i32_u32_e32 v26, v26
	v_min_u32_e32 v32, 32, v26
	s_delay_alu instid0(VALU_DEP_1) | instskip(NEXT) | instid1(VALU_DEP_1)
	v_subrev_nc_u32_e32 v26, 28, v32
	v_lshlrev_b64_e32 v[26:27], v26, v[12:13]
	s_delay_alu instid0(VALU_DEP_1)
	v_dual_sub_nc_u32 v27, 29, v32 :: v_dual_bitop2_b32 v26, 7, v26 bitop3:0x40
; %bb.726:                              ;   in Loop: Header=BB257_532 Depth=1
	s_or_b32 exec_lo, exec_lo, s36
	s_delay_alu instid0(VALU_DEP_1) | instskip(NEXT) | instid1(VALU_DEP_2)
	v_dual_lshlrev_b32 v12, 8, v12 :: v_dual_lshlrev_b32 v26, 23, v26
	v_lshl_add_u32 v27, v27, 10, 0x2000
	s_delay_alu instid0(VALU_DEP_1) | instskip(NEXT) | instid1(VALU_DEP_1)
	v_and_or_b32 v12, 0x8000, v12, v27
	v_lshl_or_b32 v26, v12, 16, v26
.LBB257_727:                            ;   in Loop: Header=BB257_532 Depth=1
	s_or_b32 exec_lo, exec_lo, s25
.LBB257_728:                            ;   in Loop: Header=BB257_532 Depth=1
	s_delay_alu instid0(SALU_CYCLE_1)
	s_or_b32 exec_lo, exec_lo, s24
.LBB257_729:                            ;   in Loop: Header=BB257_532 Depth=1
	s_delay_alu instid0(SALU_CYCLE_1) | instskip(SKIP_3) | instid1(VALU_DEP_3)
	s_or_b32 exec_lo, exec_lo, s23
	v_dual_lshrrev_b32 v12, 16, v1 :: v_dual_bitop2_b32 v1, v1, v3 bitop3:0x54
	v_dual_lshrrev_b32 v27, 16, v25 :: v_dual_bitop2_b32 v3, v25, v28 bitop3:0x54
	v_lshrrev_b32_e32 v28, 16, v26
	v_cvt_f32_f16_e32 v43, v12
	v_dual_lshrrev_b32 v25, 16, v31 :: v_dual_bitop2_b32 v12, v26, v30 bitop3:0x54
	s_delay_alu instid0(VALU_DEP_4)
	v_cvt_f32_f16_e32 v26, v3
	v_or_b32_e32 v3, v31, v29
	v_cvt_f32_f16_e32 v42, v27
	v_cvt_f32_f16_e32 v27, v1
	;; [unrolled: 1-line block ×6, first 2 shown]
	s_wait_loadcnt 0x0
	v_pk_mul_f32 v[42:43], v[24:25], v[42:43] op_sel_hi:[0,1]
	v_pk_mul_f32 v[26:27], v[24:25], v[26:27] op_sel_hi:[0,1]
	;; [unrolled: 1-line block ×4, first 2 shown]
	s_delay_alu instid0(VALU_DEP_4) | instskip(NEXT) | instid1(VALU_DEP_4)
	v_cvt_pk_f16_f32 v1, v42, v43
	v_cvt_pk_f16_f32 v3, v26, v27
	s_delay_alu instid0(VALU_DEP_4) | instskip(NEXT) | instid1(VALU_DEP_4)
	v_cvt_pk_f16_f32 v12, v28, v29
	v_cvt_pk_f16_f32 v26, v30, v31
	s_delay_alu instid0(VALU_DEP_4) | instskip(NEXT) | instid1(VALU_DEP_4)
	v_and_b32_e32 v25, 0xffff0000, v1
	v_dual_lshlrev_b32 v24, 16, v1 :: v_dual_lshrrev_b32 v27, 16, v3
	v_and_b32_e32 v28, 0xffff, v3
	v_and_b32_e32 v1, 0xffff0000, v12
	v_dual_lshlrev_b32 v12, 16, v12 :: v_dual_lshrrev_b32 v3, 16, v26
	v_and_b32_e32 v26, 0xffff, v26
	v_or_b32_e32 v31, v25, v27
	v_or_b32_e32 v32, v24, v28
	s_delay_alu instid0(VALU_DEP_4) | instskip(NEXT) | instid1(VALU_DEP_4)
	v_or_b32_e32 v29, v1, v3
	v_or_b32_e32 v30, v12, v26
	s_and_saveexec_b32 s23, s0
	s_cbranch_execz .LBB257_731
; %bb.730:                              ;   in Loop: Header=BB257_532 Depth=1
	v_dual_add_nc_u32 v29, 2, v41 :: v_dual_bitop2_b32 v30, 1, v41 bitop3:0x54
	v_cmp_gt_i32_e64 s1, s18, v41
	v_or_b32_e32 v31, 3, v41
	s_delay_alu instid0(VALU_DEP_2) | instskip(NEXT) | instid1(VALU_DEP_4)
	v_dual_cndmask_b32 v27, 0, v27, s1 :: v_dual_bitop2_b32 v32, 7, v41 bitop3:0x54
	v_cmp_gt_i32_e64 s1, s34, v29
	s_delay_alu instid0(VALU_DEP_1) | instskip(SKIP_1) | instid1(VALU_DEP_1)
	v_cndmask_b32_e64 v28, 0, v28, s1
	v_cmp_gt_i32_e64 s1, s18, v30
	v_cndmask_b32_e64 v25, 0, v25, s1
	v_cmp_gt_i32_e64 s1, s34, v31
	s_delay_alu instid0(VALU_DEP_1) | instskip(NEXT) | instid1(VALU_DEP_1)
	v_dual_cndmask_b32 v24, 0, v24, s1 :: v_dual_bitop2_b32 v29, 4, v41 bitop3:0x54
	v_cmp_gt_i32_e64 s1, s18, v29
	s_delay_alu instid0(VALU_DEP_1) | instskip(NEXT) | instid1(VALU_DEP_1)
	v_dual_cndmask_b32 v3, 0, v3, s1 :: v_dual_bitop2_b32 v30, 6, v41 bitop3:0x54
	;; [unrolled: 3-line block ×3, first 2 shown]
	v_cmp_gt_i32_e64 s1, s18, v31
	s_delay_alu instid0(VALU_DEP_1) | instskip(SKIP_2) | instid1(VALU_DEP_2)
	v_dual_cndmask_b32 v1, 0, v1, s1 :: v_dual_bitop2_b32 v31, v25, v27 bitop3:0x54
	v_cmp_gt_i32_e64 s1, s34, v32
	v_or_b32_e32 v32, v24, v28
	v_dual_cndmask_b32 v12, 0, v12, s1 :: v_dual_bitop2_b32 v29, v1, v3 bitop3:0x54
	s_delay_alu instid0(VALU_DEP_1)
	v_or_b32_e32 v30, v12, v26
.LBB257_731:                            ;   in Loop: Header=BB257_532 Depth=1
	s_or_b32 exec_lo, exec_lo, s23
	;;#ASMSTART
	v_pk_mul_f16 v1, v49, v31;

	;;#ASMEND
	;;#ASMSTART
	v_pk_mul_f16 v3, v48, v32;

	;;#ASMEND
	;; [unrolled: 4-line block ×4, first 2 shown]
	;;#ASMSTART
	v_pk_add_f16 v1, v1, v3;

	;;#ASMEND
	;;#ASMSTART
	v_pk_add_f16 v1, v1, v12;

	;;#ASMEND
	;; [unrolled: 4-line block ×3, first 2 shown]
	v_and_b32_e32 v3, 0xffff, v1
	v_lshrrev_b32_e32 v1, 16, v1
	;;#ASMSTART
	v_cvt_f32_f16 v52, v3;
	;;#ASMEND
	v_mov_b32_e32 v3, 0
	;;#ASMSTART
	v_cvt_f32_f16 v53, v1;
	;;#ASMEND
	global_load_b64 v[26:27], v[22:23], off offset:768
	v_mov_b32_e32 v1, 0
	s_mov_b32 s23, exec_lo
	global_load_b32 v24, v1, s[10:11]
	s_wait_loadcnt 0x1
	v_and_b32_e32 v12, 0xff, v26
	s_wait_xcnt 0x0
	s_delay_alu instid0(VALU_DEP_1)
	v_cmpx_ne_u16_e32 0, v12
	s_cbranch_execz .LBB257_739
; %bb.732:                              ;   in Loop: Header=BB257_532 Depth=1
	v_mov_b32_e32 v3, 0x8000
	s_mov_b32 s24, exec_lo
	v_cmpx_ne_u16_e32 0x80, v12
	s_cbranch_execz .LBB257_738
; %bb.733:                              ;   in Loop: Header=BB257_532 Depth=1
	v_and_b32_e32 v25, 0x7f, v26
	v_mov_b32_e32 v3, 0x7c01
	s_mov_b32 s25, exec_lo
	s_delay_alu instid0(VALU_DEP_2)
	v_cmpx_ne_u32_e32 0x7f, v25
	s_cbranch_execz .LBB257_737
; %bb.734:                              ;   in Loop: Header=BB257_532 Depth=1
	v_dual_lshrrev_b32 v12, 3, v25 :: v_dual_bitop2_b32 v3, 7, v26 bitop3:0x40
	s_mov_b32 s36, exec_lo
	v_cmpx_gt_u32_e32 8, v25
; %bb.735:                              ;   in Loop: Header=BB257_532 Depth=1
	s_delay_alu instid0(VALU_DEP_2) | instskip(NEXT) | instid1(VALU_DEP_1)
	v_clz_i32_u32_e32 v3, v3
	v_min_u32_e32 v3, 32, v3
	s_delay_alu instid0(VALU_DEP_1) | instskip(NEXT) | instid1(VALU_DEP_1)
	v_subrev_nc_u32_e32 v12, 28, v3
	v_lshlrev_b64_e32 v[28:29], v12, v[26:27]
	s_delay_alu instid0(VALU_DEP_1)
	v_dual_sub_nc_u32 v12, 29, v3 :: v_dual_bitop2_b32 v3, 7, v28 bitop3:0x40
; %bb.736:                              ;   in Loop: Header=BB257_532 Depth=1
	s_or_b32 exec_lo, exec_lo, s36
	s_delay_alu instid0(VALU_DEP_1) | instskip(NEXT) | instid1(VALU_DEP_2)
	v_dual_lshlrev_b32 v25, 8, v26 :: v_dual_lshlrev_b32 v3, 7, v3
	v_lshl_add_u32 v12, v12, 10, 0x2000
	s_delay_alu instid0(VALU_DEP_2) | instskip(NEXT) | instid1(VALU_DEP_2)
	v_and_b32_e32 v25, 0x8000, v25
	v_and_b32_e32 v12, 0xfc00, v12
	s_delay_alu instid0(VALU_DEP_1)
	v_or3_b32 v3, v25, v12, v3
.LBB257_737:                            ;   in Loop: Header=BB257_532 Depth=1
	s_or_b32 exec_lo, exec_lo, s25
.LBB257_738:                            ;   in Loop: Header=BB257_532 Depth=1
	s_delay_alu instid0(SALU_CYCLE_1)
	s_or_b32 exec_lo, exec_lo, s24
.LBB257_739:                            ;   in Loop: Header=BB257_532 Depth=1
	s_delay_alu instid0(SALU_CYCLE_1) | instskip(SKIP_2) | instid1(VALU_DEP_1)
	s_or_b32 exec_lo, exec_lo, s23
	v_lshrrev_b16 v12, 8, v26
	s_mov_b32 s23, exec_lo
	v_cmpx_ne_u16_e32 0, v12
	s_cbranch_execz .LBB257_747
; %bb.740:                              ;   in Loop: Header=BB257_532 Depth=1
	v_bfrev_b32_e32 v1, 1
	s_mov_b32 s24, exec_lo
	v_cmpx_ne_u16_e32 0x80, v12
	s_cbranch_execz .LBB257_746
; %bb.741:                              ;   in Loop: Header=BB257_532 Depth=1
	v_and_b32_e32 v25, 0xffff, v12
	v_mov_b32_e32 v1, 0x7c010000
	s_mov_b32 s25, exec_lo
	s_delay_alu instid0(VALU_DEP_2) | instskip(NEXT) | instid1(VALU_DEP_1)
	v_and_b32_e32 v29, 0x7f, v25
	v_cmpx_ne_u32_e32 0x7f, v29
	s_cbranch_execz .LBB257_745
; %bb.742:                              ;   in Loop: Header=BB257_532 Depth=1
	v_and_b32_e32 v1, 7, v25
	v_lshrrev_b32_e32 v28, 3, v29
	s_mov_b32 s36, exec_lo
	v_cmpx_gt_u32_e32 8, v29
; %bb.743:                              ;   in Loop: Header=BB257_532 Depth=1
	s_delay_alu instid0(VALU_DEP_3) | instskip(NEXT) | instid1(VALU_DEP_1)
	v_clz_i32_u32_e32 v1, v1
	v_min_u32_e32 v1, 32, v1
	s_delay_alu instid0(VALU_DEP_1) | instskip(NEXT) | instid1(VALU_DEP_1)
	v_subrev_nc_u32_e32 v28, 28, v1
	v_lshlrev_b64_e32 v[30:31], v28, v[12:13]
	s_delay_alu instid0(VALU_DEP_1)
	v_dual_sub_nc_u32 v28, 29, v1 :: v_dual_bitop2_b32 v1, 7, v30 bitop3:0x40
; %bb.744:                              ;   in Loop: Header=BB257_532 Depth=1
	s_or_b32 exec_lo, exec_lo, s36
	v_lshlrev_b32_e32 v12, 8, v25
	s_delay_alu instid0(VALU_DEP_2) | instskip(NEXT) | instid1(VALU_DEP_3)
	v_lshl_add_u32 v25, v28, 10, 0x2000
	v_lshlrev_b32_e32 v1, 23, v1
	s_delay_alu instid0(VALU_DEP_2) | instskip(NEXT) | instid1(VALU_DEP_1)
	v_and_or_b32 v12, 0x8000, v12, v25
	v_lshl_or_b32 v1, v12, 16, v1
.LBB257_745:                            ;   in Loop: Header=BB257_532 Depth=1
	s_or_b32 exec_lo, exec_lo, s25
.LBB257_746:                            ;   in Loop: Header=BB257_532 Depth=1
	s_delay_alu instid0(SALU_CYCLE_1)
	s_or_b32 exec_lo, exec_lo, s24
.LBB257_747:                            ;   in Loop: Header=BB257_532 Depth=1
	s_delay_alu instid0(SALU_CYCLE_1) | instskip(SKIP_3) | instid1(VALU_DEP_2)
	s_or_b32 exec_lo, exec_lo, s23
	v_dual_mov_b32 v25, 0 :: v_dual_lshrrev_b32 v12, 16, v26
	v_mov_b32_e32 v28, 0
	s_mov_b32 s23, exec_lo
	v_and_b32_e32 v29, 0xff, v12
	s_delay_alu instid0(VALU_DEP_1)
	v_cmpx_ne_u16_e32 0, v29
	s_cbranch_execz .LBB257_755
; %bb.748:                              ;   in Loop: Header=BB257_532 Depth=1
	v_mov_b32_e32 v28, 0x8000
	s_mov_b32 s24, exec_lo
	v_cmpx_ne_u16_e32 0x80, v29
	s_cbranch_execz .LBB257_754
; %bb.749:                              ;   in Loop: Header=BB257_532 Depth=1
	v_bfe_u32 v30, v26, 16, 7
	v_mov_b32_e32 v28, 0x7c01
	s_mov_b32 s25, exec_lo
	s_delay_alu instid0(VALU_DEP_2)
	v_cmpx_ne_u32_e32 0x7f, v30
	s_cbranch_execz .LBB257_753
; %bb.750:                              ;   in Loop: Header=BB257_532 Depth=1
	v_dual_lshrrev_b32 v29, 3, v30 :: v_dual_bitop2_b32 v28, 7, v12 bitop3:0x40
	s_mov_b32 s36, exec_lo
	v_cmpx_gt_u32_e32 8, v30
; %bb.751:                              ;   in Loop: Header=BB257_532 Depth=1
	s_delay_alu instid0(VALU_DEP_2) | instskip(NEXT) | instid1(VALU_DEP_1)
	v_clz_i32_u32_e32 v28, v28
	v_min_u32_e32 v30, 32, v28
	s_delay_alu instid0(VALU_DEP_1) | instskip(NEXT) | instid1(VALU_DEP_1)
	v_subrev_nc_u32_e32 v28, 28, v30
	v_lshlrev_b64_e32 v[28:29], v28, v[12:13]
	s_delay_alu instid0(VALU_DEP_1)
	v_dual_sub_nc_u32 v29, 29, v30 :: v_dual_bitop2_b32 v28, 7, v28 bitop3:0x40
; %bb.752:                              ;   in Loop: Header=BB257_532 Depth=1
	s_or_b32 exec_lo, exec_lo, s36
	v_lshlrev_b32_e32 v12, 8, v12
	s_delay_alu instid0(VALU_DEP_2) | instskip(NEXT) | instid1(VALU_DEP_3)
	v_lshl_add_u32 v29, v29, 10, 0x2000
	v_lshlrev_b32_e32 v28, 7, v28
	s_delay_alu instid0(VALU_DEP_3) | instskip(NEXT) | instid1(VALU_DEP_3)
	v_and_b32_e32 v12, 0x8000, v12
	v_and_b32_e32 v29, 0xfc00, v29
	s_delay_alu instid0(VALU_DEP_1)
	v_or3_b32 v28, v12, v29, v28
.LBB257_753:                            ;   in Loop: Header=BB257_532 Depth=1
	s_or_b32 exec_lo, exec_lo, s25
.LBB257_754:                            ;   in Loop: Header=BB257_532 Depth=1
	s_delay_alu instid0(SALU_CYCLE_1)
	s_or_b32 exec_lo, exec_lo, s24
.LBB257_755:                            ;   in Loop: Header=BB257_532 Depth=1
	s_delay_alu instid0(SALU_CYCLE_1) | instskip(NEXT) | instid1(SALU_CYCLE_1)
	s_or_b32 exec_lo, exec_lo, s23
	s_mov_b32 s23, exec_lo
	v_cmpx_lt_u32_e32 0xffffff, v26
	s_cbranch_execz .LBB257_763
; %bb.756:                              ;   in Loop: Header=BB257_532 Depth=1
	v_lshrrev_b32_e32 v12, 24, v26
	v_bfrev_b32_e32 v25, 1
	s_mov_b32 s24, exec_lo
	s_delay_alu instid0(VALU_DEP_2)
	v_cmpx_ne_u32_e32 0x80, v12
	s_cbranch_execz .LBB257_762
; %bb.757:                              ;   in Loop: Header=BB257_532 Depth=1
	v_and_b32_e32 v30, 0x7f, v12
	v_mov_b32_e32 v25, 0x7c010000
	s_mov_b32 s25, exec_lo
	s_delay_alu instid0(VALU_DEP_2)
	v_cmpx_ne_u32_e32 0x7f, v30
	s_cbranch_execz .LBB257_761
; %bb.758:                              ;   in Loop: Header=BB257_532 Depth=1
	v_dual_lshrrev_b32 v29, 3, v30 :: v_dual_bitop2_b32 v25, 7, v12 bitop3:0x40
	s_mov_b32 s36, exec_lo
	v_cmpx_gt_u32_e32 8, v30
; %bb.759:                              ;   in Loop: Header=BB257_532 Depth=1
	s_delay_alu instid0(VALU_DEP_2) | instskip(NEXT) | instid1(VALU_DEP_1)
	v_clz_i32_u32_e32 v25, v25
	v_min_u32_e32 v25, 32, v25
	s_delay_alu instid0(VALU_DEP_1) | instskip(NEXT) | instid1(VALU_DEP_1)
	v_subrev_nc_u32_e32 v29, 28, v25
	v_lshlrev_b64_e32 v[30:31], v29, v[12:13]
	s_delay_alu instid0(VALU_DEP_1)
	v_dual_sub_nc_u32 v29, 29, v25 :: v_dual_bitop2_b32 v25, 7, v30 bitop3:0x40
; %bb.760:                              ;   in Loop: Header=BB257_532 Depth=1
	s_or_b32 exec_lo, exec_lo, s36
	s_delay_alu instid0(VALU_DEP_1) | instskip(NEXT) | instid1(VALU_DEP_2)
	v_dual_lshlrev_b32 v12, 8, v12 :: v_dual_lshlrev_b32 v25, 23, v25
	v_lshl_add_u32 v29, v29, 10, 0x2000
	s_delay_alu instid0(VALU_DEP_1) | instskip(NEXT) | instid1(VALU_DEP_1)
	v_and_or_b32 v12, 0x8000, v12, v29
	v_lshl_or_b32 v25, v12, 16, v25
.LBB257_761:                            ;   in Loop: Header=BB257_532 Depth=1
	s_or_b32 exec_lo, exec_lo, s25
.LBB257_762:                            ;   in Loop: Header=BB257_532 Depth=1
	s_delay_alu instid0(SALU_CYCLE_1)
	s_or_b32 exec_lo, exec_lo, s24
.LBB257_763:                            ;   in Loop: Header=BB257_532 Depth=1
	s_delay_alu instid0(SALU_CYCLE_1) | instskip(SKIP_4) | instid1(VALU_DEP_3)
	s_or_b32 exec_lo, exec_lo, s23
	v_and_b32_e32 v31, 0xff, v27
	v_dual_mov_b32 v12, v27 :: v_dual_mov_b32 v30, 0
	v_mov_b32_e32 v29, 0
	s_mov_b32 s23, exec_lo
	v_cmpx_ne_u16_e32 0, v31
	s_cbranch_execz .LBB257_771
; %bb.764:                              ;   in Loop: Header=BB257_532 Depth=1
	v_mov_b32_e32 v29, 0x8000
	s_mov_b32 s24, exec_lo
	v_cmpx_ne_u16_e32 0x80, v31
	s_cbranch_execz .LBB257_770
; %bb.765:                              ;   in Loop: Header=BB257_532 Depth=1
	v_and_b32_e32 v32, 0x7f, v27
	v_mov_b32_e32 v29, 0x7c01
	s_mov_b32 s25, exec_lo
	s_delay_alu instid0(VALU_DEP_2)
	v_cmpx_ne_u32_e32 0x7f, v32
	s_cbranch_execz .LBB257_769
; %bb.766:                              ;   in Loop: Header=BB257_532 Depth=1
	v_dual_lshrrev_b32 v31, 3, v32 :: v_dual_bitop2_b32 v29, 7, v27 bitop3:0x40
	s_mov_b32 s36, exec_lo
	v_cmpx_gt_u32_e32 8, v32
; %bb.767:                              ;   in Loop: Header=BB257_532 Depth=1
	s_delay_alu instid0(VALU_DEP_2) | instskip(NEXT) | instid1(VALU_DEP_1)
	v_clz_i32_u32_e32 v29, v29
	v_min_u32_e32 v29, 32, v29
	s_delay_alu instid0(VALU_DEP_1) | instskip(NEXT) | instid1(VALU_DEP_1)
	v_subrev_nc_u32_e32 v31, 28, v29
	v_lshlrev_b64_e32 v[42:43], v31, v[12:13]
	s_delay_alu instid0(VALU_DEP_1)
	v_dual_sub_nc_u32 v31, 29, v29 :: v_dual_bitop2_b32 v29, 7, v42 bitop3:0x40
; %bb.768:                              ;   in Loop: Header=BB257_532 Depth=1
	s_or_b32 exec_lo, exec_lo, s36
	s_delay_alu instid0(VALU_DEP_1) | instskip(NEXT) | instid1(VALU_DEP_2)
	v_dual_lshlrev_b32 v32, 8, v27 :: v_dual_lshlrev_b32 v29, 7, v29
	v_lshl_add_u32 v31, v31, 10, 0x2000
	s_delay_alu instid0(VALU_DEP_2) | instskip(NEXT) | instid1(VALU_DEP_2)
	v_and_b32_e32 v32, 0x8000, v32
	v_and_b32_e32 v31, 0xfc00, v31
	s_delay_alu instid0(VALU_DEP_1)
	v_or3_b32 v29, v32, v31, v29
.LBB257_769:                            ;   in Loop: Header=BB257_532 Depth=1
	s_or_b32 exec_lo, exec_lo, s25
.LBB257_770:                            ;   in Loop: Header=BB257_532 Depth=1
	s_delay_alu instid0(SALU_CYCLE_1)
	s_or_b32 exec_lo, exec_lo, s24
.LBB257_771:                            ;   in Loop: Header=BB257_532 Depth=1
	s_delay_alu instid0(SALU_CYCLE_1) | instskip(SKIP_3) | instid1(VALU_DEP_2)
	s_or_b32 exec_lo, exec_lo, s23
	v_lshrrev_b16 v12, 8, v12
	v_mov_b32_e32 v31, 0
	s_mov_b32 s23, exec_lo
	v_cmpx_ne_u16_e32 0, v12
	s_cbranch_execz .LBB257_779
; %bb.772:                              ;   in Loop: Header=BB257_532 Depth=1
	v_bfrev_b32_e32 v31, 1
	s_mov_b32 s24, exec_lo
	v_cmpx_ne_u16_e32 0x80, v12
	s_cbranch_execz .LBB257_778
; %bb.773:                              ;   in Loop: Header=BB257_532 Depth=1
	v_and_b32_e32 v32, 0xffff, v12
	v_mov_b32_e32 v31, 0x7c010000
	s_mov_b32 s25, exec_lo
	s_delay_alu instid0(VALU_DEP_2) | instskip(NEXT) | instid1(VALU_DEP_1)
	v_and_b32_e32 v43, 0x7f, v32
	v_cmpx_ne_u32_e32 0x7f, v43
	s_cbranch_execz .LBB257_777
; %bb.774:                              ;   in Loop: Header=BB257_532 Depth=1
	v_dual_lshrrev_b32 v42, 3, v43 :: v_dual_bitop2_b32 v31, 7, v32 bitop3:0x40
	s_mov_b32 s36, exec_lo
	v_cmpx_gt_u32_e32 8, v43
; %bb.775:                              ;   in Loop: Header=BB257_532 Depth=1
	s_delay_alu instid0(VALU_DEP_2) | instskip(NEXT) | instid1(VALU_DEP_1)
	v_clz_i32_u32_e32 v31, v31
	v_min_u32_e32 v31, 32, v31
	s_delay_alu instid0(VALU_DEP_1) | instskip(NEXT) | instid1(VALU_DEP_1)
	v_subrev_nc_u32_e32 v42, 28, v31
	v_lshlrev_b64_e32 v[54:55], v42, v[12:13]
	s_delay_alu instid0(VALU_DEP_1)
	v_dual_sub_nc_u32 v42, 29, v31 :: v_dual_bitop2_b32 v31, 7, v54 bitop3:0x40
; %bb.776:                              ;   in Loop: Header=BB257_532 Depth=1
	s_or_b32 exec_lo, exec_lo, s36
	s_delay_alu instid0(VALU_DEP_1) | instskip(NEXT) | instid1(VALU_DEP_2)
	v_dual_lshlrev_b32 v12, 8, v32 :: v_dual_lshlrev_b32 v31, 23, v31
	v_lshl_add_u32 v32, v42, 10, 0x2000
	s_delay_alu instid0(VALU_DEP_1) | instskip(NEXT) | instid1(VALU_DEP_1)
	v_and_or_b32 v12, 0x8000, v12, v32
	v_lshl_or_b32 v31, v12, 16, v31
.LBB257_777:                            ;   in Loop: Header=BB257_532 Depth=1
	s_or_b32 exec_lo, exec_lo, s25
.LBB257_778:                            ;   in Loop: Header=BB257_532 Depth=1
	s_delay_alu instid0(SALU_CYCLE_1)
	s_or_b32 exec_lo, exec_lo, s24
.LBB257_779:                            ;   in Loop: Header=BB257_532 Depth=1
	s_delay_alu instid0(SALU_CYCLE_1) | instskip(SKIP_2) | instid1(VALU_DEP_1)
	s_or_b32 exec_lo, exec_lo, s23
	v_lshrrev_b32_e32 v12, 16, v27
	s_mov_b32 s23, exec_lo
	v_and_b32_e32 v32, 0xff, v12
	s_delay_alu instid0(VALU_DEP_1)
	v_cmpx_ne_u16_e32 0, v32
	s_cbranch_execz .LBB257_787
; %bb.780:                              ;   in Loop: Header=BB257_532 Depth=1
	v_mov_b32_e32 v30, 0x8000
	s_mov_b32 s24, exec_lo
	v_cmpx_ne_u16_e32 0x80, v32
	s_cbranch_execz .LBB257_786
; %bb.781:                              ;   in Loop: Header=BB257_532 Depth=1
	v_bfe_u32 v42, v27, 16, 7
	v_mov_b32_e32 v30, 0x7c01
	s_mov_b32 s25, exec_lo
	s_delay_alu instid0(VALU_DEP_2)
	v_cmpx_ne_u32_e32 0x7f, v42
	s_cbranch_execz .LBB257_785
; %bb.782:                              ;   in Loop: Header=BB257_532 Depth=1
	v_dual_lshrrev_b32 v32, 3, v42 :: v_dual_bitop2_b32 v30, 7, v12 bitop3:0x40
	s_mov_b32 s36, exec_lo
	v_cmpx_gt_u32_e32 8, v42
; %bb.783:                              ;   in Loop: Header=BB257_532 Depth=1
	s_delay_alu instid0(VALU_DEP_2) | instskip(NEXT) | instid1(VALU_DEP_1)
	v_clz_i32_u32_e32 v30, v30
	v_min_u32_e32 v30, 32, v30
	s_delay_alu instid0(VALU_DEP_1) | instskip(NEXT) | instid1(VALU_DEP_1)
	v_subrev_nc_u32_e32 v32, 28, v30
	v_lshlrev_b64_e32 v[42:43], v32, v[12:13]
	v_sub_nc_u32_e32 v32, 29, v30
	s_delay_alu instid0(VALU_DEP_2)
	v_and_b32_e32 v30, 7, v42
; %bb.784:                              ;   in Loop: Header=BB257_532 Depth=1
	s_or_b32 exec_lo, exec_lo, s36
	s_delay_alu instid0(VALU_DEP_1) | instskip(NEXT) | instid1(VALU_DEP_3)
	v_dual_lshlrev_b32 v12, 8, v12 :: v_dual_lshlrev_b32 v30, 7, v30
	v_lshl_add_u32 v32, v32, 10, 0x2000
	s_delay_alu instid0(VALU_DEP_2) | instskip(NEXT) | instid1(VALU_DEP_2)
	v_and_b32_e32 v12, 0x8000, v12
	v_and_b32_e32 v32, 0xfc00, v32
	s_delay_alu instid0(VALU_DEP_1)
	v_or3_b32 v30, v12, v32, v30
.LBB257_785:                            ;   in Loop: Header=BB257_532 Depth=1
	s_or_b32 exec_lo, exec_lo, s25
.LBB257_786:                            ;   in Loop: Header=BB257_532 Depth=1
	s_delay_alu instid0(SALU_CYCLE_1)
	s_or_b32 exec_lo, exec_lo, s24
.LBB257_787:                            ;   in Loop: Header=BB257_532 Depth=1
	s_delay_alu instid0(SALU_CYCLE_1)
	s_or_b32 exec_lo, exec_lo, s23
	v_cmp_lt_u64_e64 s1, s[12:13], v[26:27]
	v_mov_b32_e32 v26, 0
	s_and_saveexec_b32 s23, s1
	s_cbranch_execz .LBB257_795
; %bb.788:                              ;   in Loop: Header=BB257_532 Depth=1
	v_lshrrev_b32_e32 v12, 24, v27
	v_bfrev_b32_e32 v26, 1
	s_mov_b32 s24, exec_lo
	s_delay_alu instid0(VALU_DEP_2)
	v_cmpx_ne_u32_e32 0x80, v12
	s_cbranch_execz .LBB257_794
; %bb.789:                              ;   in Loop: Header=BB257_532 Depth=1
	v_and_b32_e32 v32, 0x7f, v12
	v_mov_b32_e32 v26, 0x7c010000
	s_mov_b32 s25, exec_lo
	s_delay_alu instid0(VALU_DEP_2)
	v_cmpx_ne_u32_e32 0x7f, v32
	s_cbranch_execz .LBB257_793
; %bb.790:                              ;   in Loop: Header=BB257_532 Depth=1
	v_and_b32_e32 v26, 7, v12
	v_lshrrev_b32_e32 v27, 3, v32
	s_mov_b32 s36, exec_lo
	v_cmpx_gt_u32_e32 8, v32
; %bb.791:                              ;   in Loop: Header=BB257_532 Depth=1
	s_delay_alu instid0(VALU_DEP_3) | instskip(NEXT) | instid1(VALU_DEP_1)
	v_clz_i32_u32_e32 v26, v26
	v_min_u32_e32 v32, 32, v26
	s_delay_alu instid0(VALU_DEP_1) | instskip(NEXT) | instid1(VALU_DEP_1)
	v_subrev_nc_u32_e32 v26, 28, v32
	v_lshlrev_b64_e32 v[26:27], v26, v[12:13]
	s_delay_alu instid0(VALU_DEP_1)
	v_dual_sub_nc_u32 v27, 29, v32 :: v_dual_bitop2_b32 v26, 7, v26 bitop3:0x40
; %bb.792:                              ;   in Loop: Header=BB257_532 Depth=1
	s_or_b32 exec_lo, exec_lo, s36
	s_delay_alu instid0(VALU_DEP_1) | instskip(NEXT) | instid1(VALU_DEP_2)
	v_dual_lshlrev_b32 v12, 8, v12 :: v_dual_lshlrev_b32 v26, 23, v26
	v_lshl_add_u32 v27, v27, 10, 0x2000
	s_delay_alu instid0(VALU_DEP_1) | instskip(NEXT) | instid1(VALU_DEP_1)
	v_and_or_b32 v12, 0x8000, v12, v27
	v_lshl_or_b32 v26, v12, 16, v26
.LBB257_793:                            ;   in Loop: Header=BB257_532 Depth=1
	s_or_b32 exec_lo, exec_lo, s25
.LBB257_794:                            ;   in Loop: Header=BB257_532 Depth=1
	s_delay_alu instid0(SALU_CYCLE_1)
	s_or_b32 exec_lo, exec_lo, s24
.LBB257_795:                            ;   in Loop: Header=BB257_532 Depth=1
	s_delay_alu instid0(SALU_CYCLE_1) | instskip(SKIP_3) | instid1(VALU_DEP_3)
	s_or_b32 exec_lo, exec_lo, s23
	v_dual_lshrrev_b32 v12, 16, v1 :: v_dual_bitop2_b32 v1, v1, v3 bitop3:0x54
	v_dual_lshrrev_b32 v27, 16, v25 :: v_dual_bitop2_b32 v3, v25, v28 bitop3:0x54
	v_lshrrev_b32_e32 v28, 16, v26
	v_cvt_f32_f16_e32 v43, v12
	v_dual_lshrrev_b32 v25, 16, v31 :: v_dual_bitop2_b32 v12, v26, v30 bitop3:0x54
	s_delay_alu instid0(VALU_DEP_4)
	v_cvt_f32_f16_e32 v26, v3
	v_or_b32_e32 v3, v31, v29
	v_cvt_f32_f16_e32 v42, v27
	v_cvt_f32_f16_e32 v27, v1
	;; [unrolled: 1-line block ×6, first 2 shown]
	s_wait_loadcnt 0x0
	v_pk_mul_f32 v[42:43], v[24:25], v[42:43] op_sel_hi:[0,1]
	v_pk_mul_f32 v[26:27], v[24:25], v[26:27] op_sel_hi:[0,1]
	;; [unrolled: 1-line block ×4, first 2 shown]
	s_delay_alu instid0(VALU_DEP_4) | instskip(NEXT) | instid1(VALU_DEP_4)
	v_cvt_pk_f16_f32 v1, v42, v43
	v_cvt_pk_f16_f32 v3, v26, v27
	s_delay_alu instid0(VALU_DEP_4) | instskip(NEXT) | instid1(VALU_DEP_4)
	v_cvt_pk_f16_f32 v12, v28, v29
	v_cvt_pk_f16_f32 v26, v30, v31
	s_delay_alu instid0(VALU_DEP_4) | instskip(NEXT) | instid1(VALU_DEP_4)
	v_and_b32_e32 v25, 0xffff0000, v1
	v_dual_lshlrev_b32 v24, 16, v1 :: v_dual_lshrrev_b32 v27, 16, v3
	v_and_b32_e32 v28, 0xffff, v3
	v_and_b32_e32 v1, 0xffff0000, v12
	v_dual_lshlrev_b32 v12, 16, v12 :: v_dual_lshrrev_b32 v3, 16, v26
	v_and_b32_e32 v26, 0xffff, v26
	v_or_b32_e32 v31, v25, v27
	v_or_b32_e32 v32, v24, v28
	s_delay_alu instid0(VALU_DEP_4) | instskip(NEXT) | instid1(VALU_DEP_4)
	v_or_b32_e32 v29, v1, v3
	v_or_b32_e32 v30, v12, v26
	s_and_saveexec_b32 s23, s0
	s_cbranch_execz .LBB257_797
; %bb.796:                              ;   in Loop: Header=BB257_532 Depth=1
	v_dual_add_nc_u32 v29, 2, v41 :: v_dual_bitop2_b32 v30, 1, v41 bitop3:0x54
	v_cmp_gt_i32_e64 s1, s18, v41
	v_or_b32_e32 v31, 3, v41
	s_delay_alu instid0(VALU_DEP_2) | instskip(NEXT) | instid1(VALU_DEP_4)
	v_dual_cndmask_b32 v27, 0, v27, s1 :: v_dual_bitop2_b32 v32, 7, v41 bitop3:0x54
	v_cmp_gt_i32_e64 s1, s34, v29
	s_delay_alu instid0(VALU_DEP_1) | instskip(SKIP_1) | instid1(VALU_DEP_1)
	v_cndmask_b32_e64 v28, 0, v28, s1
	v_cmp_gt_i32_e64 s1, s18, v30
	v_cndmask_b32_e64 v25, 0, v25, s1
	v_cmp_gt_i32_e64 s1, s34, v31
	s_delay_alu instid0(VALU_DEP_1) | instskip(NEXT) | instid1(VALU_DEP_1)
	v_dual_cndmask_b32 v24, 0, v24, s1 :: v_dual_bitop2_b32 v29, 4, v41 bitop3:0x54
	v_cmp_gt_i32_e64 s1, s18, v29
	s_delay_alu instid0(VALU_DEP_1) | instskip(NEXT) | instid1(VALU_DEP_1)
	v_dual_cndmask_b32 v3, 0, v3, s1 :: v_dual_bitop2_b32 v30, 6, v41 bitop3:0x54
	;; [unrolled: 3-line block ×3, first 2 shown]
	v_cmp_gt_i32_e64 s1, s18, v31
	s_delay_alu instid0(VALU_DEP_1) | instskip(SKIP_2) | instid1(VALU_DEP_2)
	v_dual_cndmask_b32 v1, 0, v1, s1 :: v_dual_bitop2_b32 v31, v25, v27 bitop3:0x54
	v_cmp_gt_i32_e64 s1, s34, v32
	v_or_b32_e32 v32, v24, v28
	v_dual_cndmask_b32 v12, 0, v12, s1 :: v_dual_bitop2_b32 v29, v1, v3 bitop3:0x54
	s_delay_alu instid0(VALU_DEP_1)
	v_or_b32_e32 v30, v12, v26
.LBB257_797:                            ;   in Loop: Header=BB257_532 Depth=1
	s_or_b32 exec_lo, exec_lo, s23
	;;#ASMSTART
	v_pk_mul_f16 v1, v49, v31;

	;;#ASMEND
	;;#ASMSTART
	v_pk_mul_f16 v3, v48, v32;

	;;#ASMEND
	;; [unrolled: 4-line block ×4, first 2 shown]
	;;#ASMSTART
	v_pk_add_f16 v1, v1, v3;

	;;#ASMEND
	;;#ASMSTART
	v_pk_add_f16 v1, v1, v12;

	;;#ASMEND
	;; [unrolled: 4-line block ×3, first 2 shown]
	v_and_b32_e32 v3, 0xffff, v1
	v_lshrrev_b32_e32 v1, 16, v1
	;;#ASMSTART
	v_cvt_f32_f16 v54, v3;
	;;#ASMEND
	v_mov_b32_e32 v3, 0
	;;#ASMSTART
	v_cvt_f32_f16 v55, v1;
	;;#ASMEND
	global_load_b64 v[26:27], v[22:23], off offset:1024
	v_mov_b32_e32 v1, 0
	s_mov_b32 s23, exec_lo
	global_load_b32 v24, v1, s[10:11]
	s_wait_loadcnt 0x1
	v_and_b32_e32 v12, 0xff, v26
	s_wait_xcnt 0x0
	s_delay_alu instid0(VALU_DEP_1)
	v_cmpx_ne_u16_e32 0, v12
	s_cbranch_execz .LBB257_805
; %bb.798:                              ;   in Loop: Header=BB257_532 Depth=1
	v_mov_b32_e32 v3, 0x8000
	s_mov_b32 s24, exec_lo
	v_cmpx_ne_u16_e32 0x80, v12
	s_cbranch_execz .LBB257_804
; %bb.799:                              ;   in Loop: Header=BB257_532 Depth=1
	v_and_b32_e32 v25, 0x7f, v26
	v_mov_b32_e32 v3, 0x7c01
	s_mov_b32 s25, exec_lo
	s_delay_alu instid0(VALU_DEP_2)
	v_cmpx_ne_u32_e32 0x7f, v25
	s_cbranch_execz .LBB257_803
; %bb.800:                              ;   in Loop: Header=BB257_532 Depth=1
	v_dual_lshrrev_b32 v12, 3, v25 :: v_dual_bitop2_b32 v3, 7, v26 bitop3:0x40
	s_mov_b32 s36, exec_lo
	v_cmpx_gt_u32_e32 8, v25
; %bb.801:                              ;   in Loop: Header=BB257_532 Depth=1
	s_delay_alu instid0(VALU_DEP_2) | instskip(NEXT) | instid1(VALU_DEP_1)
	v_clz_i32_u32_e32 v3, v3
	v_min_u32_e32 v3, 32, v3
	s_delay_alu instid0(VALU_DEP_1) | instskip(NEXT) | instid1(VALU_DEP_1)
	v_subrev_nc_u32_e32 v12, 28, v3
	v_lshlrev_b64_e32 v[28:29], v12, v[26:27]
	s_delay_alu instid0(VALU_DEP_1)
	v_dual_sub_nc_u32 v12, 29, v3 :: v_dual_bitop2_b32 v3, 7, v28 bitop3:0x40
; %bb.802:                              ;   in Loop: Header=BB257_532 Depth=1
	s_or_b32 exec_lo, exec_lo, s36
	s_delay_alu instid0(VALU_DEP_1) | instskip(NEXT) | instid1(VALU_DEP_2)
	v_dual_lshlrev_b32 v25, 8, v26 :: v_dual_lshlrev_b32 v3, 7, v3
	v_lshl_add_u32 v12, v12, 10, 0x2000
	s_delay_alu instid0(VALU_DEP_2) | instskip(NEXT) | instid1(VALU_DEP_2)
	v_and_b32_e32 v25, 0x8000, v25
	v_and_b32_e32 v12, 0xfc00, v12
	s_delay_alu instid0(VALU_DEP_1)
	v_or3_b32 v3, v25, v12, v3
.LBB257_803:                            ;   in Loop: Header=BB257_532 Depth=1
	s_or_b32 exec_lo, exec_lo, s25
.LBB257_804:                            ;   in Loop: Header=BB257_532 Depth=1
	s_delay_alu instid0(SALU_CYCLE_1)
	s_or_b32 exec_lo, exec_lo, s24
.LBB257_805:                            ;   in Loop: Header=BB257_532 Depth=1
	s_delay_alu instid0(SALU_CYCLE_1) | instskip(SKIP_2) | instid1(VALU_DEP_1)
	s_or_b32 exec_lo, exec_lo, s23
	v_lshrrev_b16 v12, 8, v26
	s_mov_b32 s23, exec_lo
	v_cmpx_ne_u16_e32 0, v12
	s_cbranch_execz .LBB257_813
; %bb.806:                              ;   in Loop: Header=BB257_532 Depth=1
	v_bfrev_b32_e32 v1, 1
	s_mov_b32 s24, exec_lo
	v_cmpx_ne_u16_e32 0x80, v12
	s_cbranch_execz .LBB257_812
; %bb.807:                              ;   in Loop: Header=BB257_532 Depth=1
	v_and_b32_e32 v25, 0xffff, v12
	v_mov_b32_e32 v1, 0x7c010000
	s_mov_b32 s25, exec_lo
	s_delay_alu instid0(VALU_DEP_2) | instskip(NEXT) | instid1(VALU_DEP_1)
	v_and_b32_e32 v29, 0x7f, v25
	v_cmpx_ne_u32_e32 0x7f, v29
	s_cbranch_execz .LBB257_811
; %bb.808:                              ;   in Loop: Header=BB257_532 Depth=1
	v_and_b32_e32 v1, 7, v25
	v_lshrrev_b32_e32 v28, 3, v29
	s_mov_b32 s36, exec_lo
	v_cmpx_gt_u32_e32 8, v29
; %bb.809:                              ;   in Loop: Header=BB257_532 Depth=1
	s_delay_alu instid0(VALU_DEP_3) | instskip(NEXT) | instid1(VALU_DEP_1)
	v_clz_i32_u32_e32 v1, v1
	v_min_u32_e32 v1, 32, v1
	s_delay_alu instid0(VALU_DEP_1) | instskip(NEXT) | instid1(VALU_DEP_1)
	v_subrev_nc_u32_e32 v28, 28, v1
	v_lshlrev_b64_e32 v[30:31], v28, v[12:13]
	s_delay_alu instid0(VALU_DEP_1)
	v_dual_sub_nc_u32 v28, 29, v1 :: v_dual_bitop2_b32 v1, 7, v30 bitop3:0x40
; %bb.810:                              ;   in Loop: Header=BB257_532 Depth=1
	s_or_b32 exec_lo, exec_lo, s36
	v_lshlrev_b32_e32 v12, 8, v25
	s_delay_alu instid0(VALU_DEP_2) | instskip(NEXT) | instid1(VALU_DEP_3)
	v_lshl_add_u32 v25, v28, 10, 0x2000
	v_lshlrev_b32_e32 v1, 23, v1
	s_delay_alu instid0(VALU_DEP_2) | instskip(NEXT) | instid1(VALU_DEP_1)
	v_and_or_b32 v12, 0x8000, v12, v25
	v_lshl_or_b32 v1, v12, 16, v1
.LBB257_811:                            ;   in Loop: Header=BB257_532 Depth=1
	s_or_b32 exec_lo, exec_lo, s25
.LBB257_812:                            ;   in Loop: Header=BB257_532 Depth=1
	s_delay_alu instid0(SALU_CYCLE_1)
	s_or_b32 exec_lo, exec_lo, s24
.LBB257_813:                            ;   in Loop: Header=BB257_532 Depth=1
	s_delay_alu instid0(SALU_CYCLE_1) | instskip(SKIP_3) | instid1(VALU_DEP_2)
	s_or_b32 exec_lo, exec_lo, s23
	v_dual_mov_b32 v25, 0 :: v_dual_lshrrev_b32 v12, 16, v26
	v_mov_b32_e32 v28, 0
	s_mov_b32 s23, exec_lo
	v_and_b32_e32 v29, 0xff, v12
	s_delay_alu instid0(VALU_DEP_1)
	v_cmpx_ne_u16_e32 0, v29
	s_cbranch_execz .LBB257_821
; %bb.814:                              ;   in Loop: Header=BB257_532 Depth=1
	v_mov_b32_e32 v28, 0x8000
	s_mov_b32 s24, exec_lo
	v_cmpx_ne_u16_e32 0x80, v29
	s_cbranch_execz .LBB257_820
; %bb.815:                              ;   in Loop: Header=BB257_532 Depth=1
	v_bfe_u32 v30, v26, 16, 7
	v_mov_b32_e32 v28, 0x7c01
	s_mov_b32 s25, exec_lo
	s_delay_alu instid0(VALU_DEP_2)
	v_cmpx_ne_u32_e32 0x7f, v30
	s_cbranch_execz .LBB257_819
; %bb.816:                              ;   in Loop: Header=BB257_532 Depth=1
	v_dual_lshrrev_b32 v29, 3, v30 :: v_dual_bitop2_b32 v28, 7, v12 bitop3:0x40
	s_mov_b32 s36, exec_lo
	v_cmpx_gt_u32_e32 8, v30
; %bb.817:                              ;   in Loop: Header=BB257_532 Depth=1
	s_delay_alu instid0(VALU_DEP_2) | instskip(NEXT) | instid1(VALU_DEP_1)
	v_clz_i32_u32_e32 v28, v28
	v_min_u32_e32 v30, 32, v28
	s_delay_alu instid0(VALU_DEP_1) | instskip(NEXT) | instid1(VALU_DEP_1)
	v_subrev_nc_u32_e32 v28, 28, v30
	v_lshlrev_b64_e32 v[28:29], v28, v[12:13]
	s_delay_alu instid0(VALU_DEP_1)
	v_dual_sub_nc_u32 v29, 29, v30 :: v_dual_bitop2_b32 v28, 7, v28 bitop3:0x40
; %bb.818:                              ;   in Loop: Header=BB257_532 Depth=1
	s_or_b32 exec_lo, exec_lo, s36
	v_lshlrev_b32_e32 v12, 8, v12
	s_delay_alu instid0(VALU_DEP_2) | instskip(NEXT) | instid1(VALU_DEP_3)
	v_lshl_add_u32 v29, v29, 10, 0x2000
	v_lshlrev_b32_e32 v28, 7, v28
	s_delay_alu instid0(VALU_DEP_3) | instskip(NEXT) | instid1(VALU_DEP_3)
	v_and_b32_e32 v12, 0x8000, v12
	v_and_b32_e32 v29, 0xfc00, v29
	s_delay_alu instid0(VALU_DEP_1)
	v_or3_b32 v28, v12, v29, v28
.LBB257_819:                            ;   in Loop: Header=BB257_532 Depth=1
	s_or_b32 exec_lo, exec_lo, s25
.LBB257_820:                            ;   in Loop: Header=BB257_532 Depth=1
	s_delay_alu instid0(SALU_CYCLE_1)
	s_or_b32 exec_lo, exec_lo, s24
.LBB257_821:                            ;   in Loop: Header=BB257_532 Depth=1
	s_delay_alu instid0(SALU_CYCLE_1) | instskip(NEXT) | instid1(SALU_CYCLE_1)
	s_or_b32 exec_lo, exec_lo, s23
	s_mov_b32 s23, exec_lo
	v_cmpx_lt_u32_e32 0xffffff, v26
	s_cbranch_execz .LBB257_829
; %bb.822:                              ;   in Loop: Header=BB257_532 Depth=1
	v_lshrrev_b32_e32 v12, 24, v26
	v_bfrev_b32_e32 v25, 1
	s_mov_b32 s24, exec_lo
	s_delay_alu instid0(VALU_DEP_2)
	v_cmpx_ne_u32_e32 0x80, v12
	s_cbranch_execz .LBB257_828
; %bb.823:                              ;   in Loop: Header=BB257_532 Depth=1
	v_and_b32_e32 v30, 0x7f, v12
	v_mov_b32_e32 v25, 0x7c010000
	s_mov_b32 s25, exec_lo
	s_delay_alu instid0(VALU_DEP_2)
	v_cmpx_ne_u32_e32 0x7f, v30
	s_cbranch_execz .LBB257_827
; %bb.824:                              ;   in Loop: Header=BB257_532 Depth=1
	v_dual_lshrrev_b32 v29, 3, v30 :: v_dual_bitop2_b32 v25, 7, v12 bitop3:0x40
	s_mov_b32 s36, exec_lo
	v_cmpx_gt_u32_e32 8, v30
; %bb.825:                              ;   in Loop: Header=BB257_532 Depth=1
	s_delay_alu instid0(VALU_DEP_2) | instskip(NEXT) | instid1(VALU_DEP_1)
	v_clz_i32_u32_e32 v25, v25
	v_min_u32_e32 v25, 32, v25
	s_delay_alu instid0(VALU_DEP_1) | instskip(NEXT) | instid1(VALU_DEP_1)
	v_subrev_nc_u32_e32 v29, 28, v25
	v_lshlrev_b64_e32 v[30:31], v29, v[12:13]
	s_delay_alu instid0(VALU_DEP_1)
	v_dual_sub_nc_u32 v29, 29, v25 :: v_dual_bitop2_b32 v25, 7, v30 bitop3:0x40
; %bb.826:                              ;   in Loop: Header=BB257_532 Depth=1
	s_or_b32 exec_lo, exec_lo, s36
	s_delay_alu instid0(VALU_DEP_1) | instskip(NEXT) | instid1(VALU_DEP_2)
	v_dual_lshlrev_b32 v12, 8, v12 :: v_dual_lshlrev_b32 v25, 23, v25
	v_lshl_add_u32 v29, v29, 10, 0x2000
	s_delay_alu instid0(VALU_DEP_1) | instskip(NEXT) | instid1(VALU_DEP_1)
	v_and_or_b32 v12, 0x8000, v12, v29
	v_lshl_or_b32 v25, v12, 16, v25
.LBB257_827:                            ;   in Loop: Header=BB257_532 Depth=1
	s_or_b32 exec_lo, exec_lo, s25
.LBB257_828:                            ;   in Loop: Header=BB257_532 Depth=1
	s_delay_alu instid0(SALU_CYCLE_1)
	s_or_b32 exec_lo, exec_lo, s24
.LBB257_829:                            ;   in Loop: Header=BB257_532 Depth=1
	s_delay_alu instid0(SALU_CYCLE_1) | instskip(SKIP_4) | instid1(VALU_DEP_3)
	s_or_b32 exec_lo, exec_lo, s23
	v_and_b32_e32 v31, 0xff, v27
	v_dual_mov_b32 v12, v27 :: v_dual_mov_b32 v30, 0
	v_mov_b32_e32 v29, 0
	s_mov_b32 s23, exec_lo
	v_cmpx_ne_u16_e32 0, v31
	s_cbranch_execz .LBB257_837
; %bb.830:                              ;   in Loop: Header=BB257_532 Depth=1
	v_mov_b32_e32 v29, 0x8000
	s_mov_b32 s24, exec_lo
	v_cmpx_ne_u16_e32 0x80, v31
	s_cbranch_execz .LBB257_836
; %bb.831:                              ;   in Loop: Header=BB257_532 Depth=1
	v_and_b32_e32 v32, 0x7f, v27
	v_mov_b32_e32 v29, 0x7c01
	s_mov_b32 s25, exec_lo
	s_delay_alu instid0(VALU_DEP_2)
	v_cmpx_ne_u32_e32 0x7f, v32
	s_cbranch_execz .LBB257_835
; %bb.832:                              ;   in Loop: Header=BB257_532 Depth=1
	v_dual_lshrrev_b32 v31, 3, v32 :: v_dual_bitop2_b32 v29, 7, v27 bitop3:0x40
	s_mov_b32 s36, exec_lo
	v_cmpx_gt_u32_e32 8, v32
; %bb.833:                              ;   in Loop: Header=BB257_532 Depth=1
	s_delay_alu instid0(VALU_DEP_2) | instskip(NEXT) | instid1(VALU_DEP_1)
	v_clz_i32_u32_e32 v29, v29
	v_min_u32_e32 v29, 32, v29
	s_delay_alu instid0(VALU_DEP_1) | instskip(NEXT) | instid1(VALU_DEP_1)
	v_subrev_nc_u32_e32 v31, 28, v29
	v_lshlrev_b64_e32 v[42:43], v31, v[12:13]
	s_delay_alu instid0(VALU_DEP_1)
	v_dual_sub_nc_u32 v31, 29, v29 :: v_dual_bitop2_b32 v29, 7, v42 bitop3:0x40
; %bb.834:                              ;   in Loop: Header=BB257_532 Depth=1
	s_or_b32 exec_lo, exec_lo, s36
	s_delay_alu instid0(VALU_DEP_1) | instskip(NEXT) | instid1(VALU_DEP_2)
	v_dual_lshlrev_b32 v32, 8, v27 :: v_dual_lshlrev_b32 v29, 7, v29
	v_lshl_add_u32 v31, v31, 10, 0x2000
	s_delay_alu instid0(VALU_DEP_2) | instskip(NEXT) | instid1(VALU_DEP_2)
	v_and_b32_e32 v32, 0x8000, v32
	v_and_b32_e32 v31, 0xfc00, v31
	s_delay_alu instid0(VALU_DEP_1)
	v_or3_b32 v29, v32, v31, v29
.LBB257_835:                            ;   in Loop: Header=BB257_532 Depth=1
	s_or_b32 exec_lo, exec_lo, s25
.LBB257_836:                            ;   in Loop: Header=BB257_532 Depth=1
	s_delay_alu instid0(SALU_CYCLE_1)
	s_or_b32 exec_lo, exec_lo, s24
.LBB257_837:                            ;   in Loop: Header=BB257_532 Depth=1
	s_delay_alu instid0(SALU_CYCLE_1) | instskip(SKIP_3) | instid1(VALU_DEP_2)
	s_or_b32 exec_lo, exec_lo, s23
	v_lshrrev_b16 v12, 8, v12
	v_mov_b32_e32 v31, 0
	s_mov_b32 s23, exec_lo
	v_cmpx_ne_u16_e32 0, v12
	s_cbranch_execz .LBB257_845
; %bb.838:                              ;   in Loop: Header=BB257_532 Depth=1
	v_bfrev_b32_e32 v31, 1
	s_mov_b32 s24, exec_lo
	v_cmpx_ne_u16_e32 0x80, v12
	s_cbranch_execz .LBB257_844
; %bb.839:                              ;   in Loop: Header=BB257_532 Depth=1
	v_and_b32_e32 v32, 0xffff, v12
	v_mov_b32_e32 v31, 0x7c010000
	s_mov_b32 s25, exec_lo
	s_delay_alu instid0(VALU_DEP_2) | instskip(NEXT) | instid1(VALU_DEP_1)
	v_and_b32_e32 v43, 0x7f, v32
	v_cmpx_ne_u32_e32 0x7f, v43
	s_cbranch_execz .LBB257_843
; %bb.840:                              ;   in Loop: Header=BB257_532 Depth=1
	v_dual_lshrrev_b32 v42, 3, v43 :: v_dual_bitop2_b32 v31, 7, v32 bitop3:0x40
	s_mov_b32 s36, exec_lo
	v_cmpx_gt_u32_e32 8, v43
; %bb.841:                              ;   in Loop: Header=BB257_532 Depth=1
	s_delay_alu instid0(VALU_DEP_2) | instskip(NEXT) | instid1(VALU_DEP_1)
	v_clz_i32_u32_e32 v31, v31
	v_min_u32_e32 v31, 32, v31
	s_delay_alu instid0(VALU_DEP_1) | instskip(NEXT) | instid1(VALU_DEP_1)
	v_subrev_nc_u32_e32 v42, 28, v31
	v_lshlrev_b64_e32 v[56:57], v42, v[12:13]
	s_delay_alu instid0(VALU_DEP_1)
	v_dual_sub_nc_u32 v42, 29, v31 :: v_dual_bitop2_b32 v31, 7, v56 bitop3:0x40
; %bb.842:                              ;   in Loop: Header=BB257_532 Depth=1
	s_or_b32 exec_lo, exec_lo, s36
	s_delay_alu instid0(VALU_DEP_1) | instskip(NEXT) | instid1(VALU_DEP_2)
	v_dual_lshlrev_b32 v12, 8, v32 :: v_dual_lshlrev_b32 v31, 23, v31
	v_lshl_add_u32 v32, v42, 10, 0x2000
	s_delay_alu instid0(VALU_DEP_1) | instskip(NEXT) | instid1(VALU_DEP_1)
	v_and_or_b32 v12, 0x8000, v12, v32
	v_lshl_or_b32 v31, v12, 16, v31
.LBB257_843:                            ;   in Loop: Header=BB257_532 Depth=1
	s_or_b32 exec_lo, exec_lo, s25
.LBB257_844:                            ;   in Loop: Header=BB257_532 Depth=1
	s_delay_alu instid0(SALU_CYCLE_1)
	s_or_b32 exec_lo, exec_lo, s24
.LBB257_845:                            ;   in Loop: Header=BB257_532 Depth=1
	s_delay_alu instid0(SALU_CYCLE_1) | instskip(SKIP_2) | instid1(VALU_DEP_1)
	s_or_b32 exec_lo, exec_lo, s23
	v_lshrrev_b32_e32 v12, 16, v27
	s_mov_b32 s23, exec_lo
	v_and_b32_e32 v32, 0xff, v12
	s_delay_alu instid0(VALU_DEP_1)
	v_cmpx_ne_u16_e32 0, v32
	s_cbranch_execz .LBB257_853
; %bb.846:                              ;   in Loop: Header=BB257_532 Depth=1
	v_mov_b32_e32 v30, 0x8000
	s_mov_b32 s24, exec_lo
	v_cmpx_ne_u16_e32 0x80, v32
	s_cbranch_execz .LBB257_852
; %bb.847:                              ;   in Loop: Header=BB257_532 Depth=1
	v_bfe_u32 v42, v27, 16, 7
	v_mov_b32_e32 v30, 0x7c01
	s_mov_b32 s25, exec_lo
	s_delay_alu instid0(VALU_DEP_2)
	v_cmpx_ne_u32_e32 0x7f, v42
	s_cbranch_execz .LBB257_851
; %bb.848:                              ;   in Loop: Header=BB257_532 Depth=1
	v_dual_lshrrev_b32 v32, 3, v42 :: v_dual_bitop2_b32 v30, 7, v12 bitop3:0x40
	s_mov_b32 s36, exec_lo
	v_cmpx_gt_u32_e32 8, v42
; %bb.849:                              ;   in Loop: Header=BB257_532 Depth=1
	s_delay_alu instid0(VALU_DEP_2) | instskip(NEXT) | instid1(VALU_DEP_1)
	v_clz_i32_u32_e32 v30, v30
	v_min_u32_e32 v30, 32, v30
	s_delay_alu instid0(VALU_DEP_1) | instskip(NEXT) | instid1(VALU_DEP_1)
	v_subrev_nc_u32_e32 v32, 28, v30
	v_lshlrev_b64_e32 v[42:43], v32, v[12:13]
	v_sub_nc_u32_e32 v32, 29, v30
	s_delay_alu instid0(VALU_DEP_2)
	v_and_b32_e32 v30, 7, v42
; %bb.850:                              ;   in Loop: Header=BB257_532 Depth=1
	s_or_b32 exec_lo, exec_lo, s36
	s_delay_alu instid0(VALU_DEP_1) | instskip(NEXT) | instid1(VALU_DEP_3)
	v_dual_lshlrev_b32 v12, 8, v12 :: v_dual_lshlrev_b32 v30, 7, v30
	v_lshl_add_u32 v32, v32, 10, 0x2000
	s_delay_alu instid0(VALU_DEP_2) | instskip(NEXT) | instid1(VALU_DEP_2)
	v_and_b32_e32 v12, 0x8000, v12
	v_and_b32_e32 v32, 0xfc00, v32
	s_delay_alu instid0(VALU_DEP_1)
	v_or3_b32 v30, v12, v32, v30
.LBB257_851:                            ;   in Loop: Header=BB257_532 Depth=1
	s_or_b32 exec_lo, exec_lo, s25
.LBB257_852:                            ;   in Loop: Header=BB257_532 Depth=1
	s_delay_alu instid0(SALU_CYCLE_1)
	s_or_b32 exec_lo, exec_lo, s24
.LBB257_853:                            ;   in Loop: Header=BB257_532 Depth=1
	s_delay_alu instid0(SALU_CYCLE_1)
	s_or_b32 exec_lo, exec_lo, s23
	v_cmp_lt_u64_e64 s1, s[12:13], v[26:27]
	v_mov_b32_e32 v26, 0
	s_and_saveexec_b32 s23, s1
	s_cbranch_execz .LBB257_861
; %bb.854:                              ;   in Loop: Header=BB257_532 Depth=1
	v_lshrrev_b32_e32 v12, 24, v27
	v_bfrev_b32_e32 v26, 1
	s_mov_b32 s24, exec_lo
	s_delay_alu instid0(VALU_DEP_2)
	v_cmpx_ne_u32_e32 0x80, v12
	s_cbranch_execz .LBB257_860
; %bb.855:                              ;   in Loop: Header=BB257_532 Depth=1
	v_and_b32_e32 v32, 0x7f, v12
	v_mov_b32_e32 v26, 0x7c010000
	s_mov_b32 s25, exec_lo
	s_delay_alu instid0(VALU_DEP_2)
	v_cmpx_ne_u32_e32 0x7f, v32
	s_cbranch_execz .LBB257_859
; %bb.856:                              ;   in Loop: Header=BB257_532 Depth=1
	v_and_b32_e32 v26, 7, v12
	v_lshrrev_b32_e32 v27, 3, v32
	s_mov_b32 s36, exec_lo
	v_cmpx_gt_u32_e32 8, v32
; %bb.857:                              ;   in Loop: Header=BB257_532 Depth=1
	s_delay_alu instid0(VALU_DEP_3) | instskip(NEXT) | instid1(VALU_DEP_1)
	v_clz_i32_u32_e32 v26, v26
	v_min_u32_e32 v32, 32, v26
	s_delay_alu instid0(VALU_DEP_1) | instskip(NEXT) | instid1(VALU_DEP_1)
	v_subrev_nc_u32_e32 v26, 28, v32
	v_lshlrev_b64_e32 v[26:27], v26, v[12:13]
	s_delay_alu instid0(VALU_DEP_1)
	v_dual_sub_nc_u32 v27, 29, v32 :: v_dual_bitop2_b32 v26, 7, v26 bitop3:0x40
; %bb.858:                              ;   in Loop: Header=BB257_532 Depth=1
	s_or_b32 exec_lo, exec_lo, s36
	s_delay_alu instid0(VALU_DEP_1) | instskip(NEXT) | instid1(VALU_DEP_2)
	v_dual_lshlrev_b32 v12, 8, v12 :: v_dual_lshlrev_b32 v26, 23, v26
	v_lshl_add_u32 v27, v27, 10, 0x2000
	s_delay_alu instid0(VALU_DEP_1) | instskip(NEXT) | instid1(VALU_DEP_1)
	v_and_or_b32 v12, 0x8000, v12, v27
	v_lshl_or_b32 v26, v12, 16, v26
.LBB257_859:                            ;   in Loop: Header=BB257_532 Depth=1
	s_or_b32 exec_lo, exec_lo, s25
.LBB257_860:                            ;   in Loop: Header=BB257_532 Depth=1
	s_delay_alu instid0(SALU_CYCLE_1)
	s_or_b32 exec_lo, exec_lo, s24
.LBB257_861:                            ;   in Loop: Header=BB257_532 Depth=1
	s_delay_alu instid0(SALU_CYCLE_1) | instskip(SKIP_3) | instid1(VALU_DEP_3)
	s_or_b32 exec_lo, exec_lo, s23
	v_dual_lshrrev_b32 v12, 16, v1 :: v_dual_bitop2_b32 v1, v1, v3 bitop3:0x54
	v_dual_lshrrev_b32 v27, 16, v25 :: v_dual_bitop2_b32 v3, v25, v28 bitop3:0x54
	v_lshrrev_b32_e32 v28, 16, v26
	v_cvt_f32_f16_e32 v43, v12
	v_dual_lshrrev_b32 v25, 16, v31 :: v_dual_bitop2_b32 v12, v26, v30 bitop3:0x54
	s_delay_alu instid0(VALU_DEP_4)
	v_cvt_f32_f16_e32 v26, v3
	v_or_b32_e32 v3, v31, v29
	v_cvt_f32_f16_e32 v42, v27
	v_cvt_f32_f16_e32 v27, v1
	;; [unrolled: 1-line block ×6, first 2 shown]
	s_wait_loadcnt 0x0
	v_pk_mul_f32 v[42:43], v[24:25], v[42:43] op_sel_hi:[0,1]
	v_pk_mul_f32 v[26:27], v[24:25], v[26:27] op_sel_hi:[0,1]
	;; [unrolled: 1-line block ×4, first 2 shown]
	s_delay_alu instid0(VALU_DEP_4) | instskip(NEXT) | instid1(VALU_DEP_4)
	v_cvt_pk_f16_f32 v1, v42, v43
	v_cvt_pk_f16_f32 v3, v26, v27
	s_delay_alu instid0(VALU_DEP_4) | instskip(NEXT) | instid1(VALU_DEP_4)
	v_cvt_pk_f16_f32 v12, v28, v29
	v_cvt_pk_f16_f32 v26, v30, v31
	s_delay_alu instid0(VALU_DEP_4) | instskip(NEXT) | instid1(VALU_DEP_4)
	v_and_b32_e32 v25, 0xffff0000, v1
	v_dual_lshlrev_b32 v24, 16, v1 :: v_dual_lshrrev_b32 v27, 16, v3
	v_and_b32_e32 v28, 0xffff, v3
	v_and_b32_e32 v1, 0xffff0000, v12
	v_dual_lshlrev_b32 v12, 16, v12 :: v_dual_lshrrev_b32 v3, 16, v26
	v_and_b32_e32 v26, 0xffff, v26
	v_or_b32_e32 v31, v25, v27
	v_or_b32_e32 v32, v24, v28
	s_delay_alu instid0(VALU_DEP_4) | instskip(NEXT) | instid1(VALU_DEP_4)
	v_or_b32_e32 v29, v1, v3
	v_or_b32_e32 v30, v12, v26
	s_and_saveexec_b32 s23, s0
	s_cbranch_execz .LBB257_863
; %bb.862:                              ;   in Loop: Header=BB257_532 Depth=1
	v_dual_add_nc_u32 v29, 2, v41 :: v_dual_bitop2_b32 v30, 1, v41 bitop3:0x54
	v_cmp_gt_i32_e64 s1, s18, v41
	v_or_b32_e32 v31, 3, v41
	s_delay_alu instid0(VALU_DEP_2) | instskip(NEXT) | instid1(VALU_DEP_4)
	v_dual_cndmask_b32 v27, 0, v27, s1 :: v_dual_bitop2_b32 v32, 7, v41 bitop3:0x54
	v_cmp_gt_i32_e64 s1, s34, v29
	s_delay_alu instid0(VALU_DEP_1) | instskip(SKIP_1) | instid1(VALU_DEP_1)
	v_cndmask_b32_e64 v28, 0, v28, s1
	v_cmp_gt_i32_e64 s1, s18, v30
	v_cndmask_b32_e64 v25, 0, v25, s1
	v_cmp_gt_i32_e64 s1, s34, v31
	s_delay_alu instid0(VALU_DEP_1) | instskip(NEXT) | instid1(VALU_DEP_1)
	v_dual_cndmask_b32 v24, 0, v24, s1 :: v_dual_bitop2_b32 v29, 4, v41 bitop3:0x54
	v_cmp_gt_i32_e64 s1, s18, v29
	s_delay_alu instid0(VALU_DEP_1) | instskip(NEXT) | instid1(VALU_DEP_1)
	v_dual_cndmask_b32 v3, 0, v3, s1 :: v_dual_bitop2_b32 v30, 6, v41 bitop3:0x54
	;; [unrolled: 3-line block ×3, first 2 shown]
	v_cmp_gt_i32_e64 s1, s18, v31
	s_delay_alu instid0(VALU_DEP_1) | instskip(SKIP_2) | instid1(VALU_DEP_2)
	v_dual_cndmask_b32 v1, 0, v1, s1 :: v_dual_bitop2_b32 v31, v25, v27 bitop3:0x54
	v_cmp_gt_i32_e64 s1, s34, v32
	v_or_b32_e32 v32, v24, v28
	v_dual_cndmask_b32 v12, 0, v12, s1 :: v_dual_bitop2_b32 v29, v1, v3 bitop3:0x54
	s_delay_alu instid0(VALU_DEP_1)
	v_or_b32_e32 v30, v12, v26
.LBB257_863:                            ;   in Loop: Header=BB257_532 Depth=1
	s_or_b32 exec_lo, exec_lo, s23
	;;#ASMSTART
	v_pk_mul_f16 v1, v49, v31;

	;;#ASMEND
	;;#ASMSTART
	v_pk_mul_f16 v3, v48, v32;

	;;#ASMEND
	;; [unrolled: 4-line block ×4, first 2 shown]
	;;#ASMSTART
	v_pk_add_f16 v1, v1, v3;

	;;#ASMEND
	;;#ASMSTART
	v_pk_add_f16 v1, v1, v12;

	;;#ASMEND
	;; [unrolled: 4-line block ×3, first 2 shown]
	v_and_b32_e32 v3, 0xffff, v1
	v_lshrrev_b32_e32 v1, 16, v1
	;;#ASMSTART
	v_cvt_f32_f16 v56, v3;
	;;#ASMEND
	v_mov_b32_e32 v3, 0
	;;#ASMSTART
	v_cvt_f32_f16 v57, v1;
	;;#ASMEND
	global_load_b64 v[26:27], v[22:23], off offset:1280
	v_mov_b32_e32 v1, 0
	s_mov_b32 s23, exec_lo
	global_load_b32 v24, v1, s[10:11]
	s_wait_loadcnt 0x1
	v_and_b32_e32 v12, 0xff, v26
	s_wait_xcnt 0x0
	s_delay_alu instid0(VALU_DEP_1)
	v_cmpx_ne_u16_e32 0, v12
	s_cbranch_execz .LBB257_871
; %bb.864:                              ;   in Loop: Header=BB257_532 Depth=1
	v_mov_b32_e32 v3, 0x8000
	s_mov_b32 s24, exec_lo
	v_cmpx_ne_u16_e32 0x80, v12
	s_cbranch_execz .LBB257_870
; %bb.865:                              ;   in Loop: Header=BB257_532 Depth=1
	v_and_b32_e32 v25, 0x7f, v26
	v_mov_b32_e32 v3, 0x7c01
	s_mov_b32 s25, exec_lo
	s_delay_alu instid0(VALU_DEP_2)
	v_cmpx_ne_u32_e32 0x7f, v25
	s_cbranch_execz .LBB257_869
; %bb.866:                              ;   in Loop: Header=BB257_532 Depth=1
	v_dual_lshrrev_b32 v12, 3, v25 :: v_dual_bitop2_b32 v3, 7, v26 bitop3:0x40
	s_mov_b32 s36, exec_lo
	v_cmpx_gt_u32_e32 8, v25
; %bb.867:                              ;   in Loop: Header=BB257_532 Depth=1
	s_delay_alu instid0(VALU_DEP_2) | instskip(NEXT) | instid1(VALU_DEP_1)
	v_clz_i32_u32_e32 v3, v3
	v_min_u32_e32 v3, 32, v3
	s_delay_alu instid0(VALU_DEP_1) | instskip(NEXT) | instid1(VALU_DEP_1)
	v_subrev_nc_u32_e32 v12, 28, v3
	v_lshlrev_b64_e32 v[28:29], v12, v[26:27]
	s_delay_alu instid0(VALU_DEP_1)
	v_dual_sub_nc_u32 v12, 29, v3 :: v_dual_bitop2_b32 v3, 7, v28 bitop3:0x40
; %bb.868:                              ;   in Loop: Header=BB257_532 Depth=1
	s_or_b32 exec_lo, exec_lo, s36
	s_delay_alu instid0(VALU_DEP_1) | instskip(NEXT) | instid1(VALU_DEP_2)
	v_dual_lshlrev_b32 v25, 8, v26 :: v_dual_lshlrev_b32 v3, 7, v3
	v_lshl_add_u32 v12, v12, 10, 0x2000
	s_delay_alu instid0(VALU_DEP_2) | instskip(NEXT) | instid1(VALU_DEP_2)
	v_and_b32_e32 v25, 0x8000, v25
	v_and_b32_e32 v12, 0xfc00, v12
	s_delay_alu instid0(VALU_DEP_1)
	v_or3_b32 v3, v25, v12, v3
.LBB257_869:                            ;   in Loop: Header=BB257_532 Depth=1
	s_or_b32 exec_lo, exec_lo, s25
.LBB257_870:                            ;   in Loop: Header=BB257_532 Depth=1
	s_delay_alu instid0(SALU_CYCLE_1)
	s_or_b32 exec_lo, exec_lo, s24
.LBB257_871:                            ;   in Loop: Header=BB257_532 Depth=1
	s_delay_alu instid0(SALU_CYCLE_1) | instskip(SKIP_2) | instid1(VALU_DEP_1)
	s_or_b32 exec_lo, exec_lo, s23
	v_lshrrev_b16 v12, 8, v26
	s_mov_b32 s23, exec_lo
	v_cmpx_ne_u16_e32 0, v12
	s_cbranch_execz .LBB257_879
; %bb.872:                              ;   in Loop: Header=BB257_532 Depth=1
	v_bfrev_b32_e32 v1, 1
	s_mov_b32 s24, exec_lo
	v_cmpx_ne_u16_e32 0x80, v12
	s_cbranch_execz .LBB257_878
; %bb.873:                              ;   in Loop: Header=BB257_532 Depth=1
	v_and_b32_e32 v25, 0xffff, v12
	v_mov_b32_e32 v1, 0x7c010000
	s_mov_b32 s25, exec_lo
	s_delay_alu instid0(VALU_DEP_2) | instskip(NEXT) | instid1(VALU_DEP_1)
	v_and_b32_e32 v29, 0x7f, v25
	v_cmpx_ne_u32_e32 0x7f, v29
	s_cbranch_execz .LBB257_877
; %bb.874:                              ;   in Loop: Header=BB257_532 Depth=1
	v_and_b32_e32 v1, 7, v25
	v_lshrrev_b32_e32 v28, 3, v29
	s_mov_b32 s36, exec_lo
	v_cmpx_gt_u32_e32 8, v29
; %bb.875:                              ;   in Loop: Header=BB257_532 Depth=1
	s_delay_alu instid0(VALU_DEP_3) | instskip(NEXT) | instid1(VALU_DEP_1)
	v_clz_i32_u32_e32 v1, v1
	v_min_u32_e32 v1, 32, v1
	s_delay_alu instid0(VALU_DEP_1) | instskip(NEXT) | instid1(VALU_DEP_1)
	v_subrev_nc_u32_e32 v28, 28, v1
	v_lshlrev_b64_e32 v[30:31], v28, v[12:13]
	s_delay_alu instid0(VALU_DEP_1)
	v_dual_sub_nc_u32 v28, 29, v1 :: v_dual_bitop2_b32 v1, 7, v30 bitop3:0x40
; %bb.876:                              ;   in Loop: Header=BB257_532 Depth=1
	s_or_b32 exec_lo, exec_lo, s36
	v_lshlrev_b32_e32 v12, 8, v25
	s_delay_alu instid0(VALU_DEP_2) | instskip(NEXT) | instid1(VALU_DEP_3)
	v_lshl_add_u32 v25, v28, 10, 0x2000
	v_lshlrev_b32_e32 v1, 23, v1
	s_delay_alu instid0(VALU_DEP_2) | instskip(NEXT) | instid1(VALU_DEP_1)
	v_and_or_b32 v12, 0x8000, v12, v25
	v_lshl_or_b32 v1, v12, 16, v1
.LBB257_877:                            ;   in Loop: Header=BB257_532 Depth=1
	s_or_b32 exec_lo, exec_lo, s25
.LBB257_878:                            ;   in Loop: Header=BB257_532 Depth=1
	s_delay_alu instid0(SALU_CYCLE_1)
	s_or_b32 exec_lo, exec_lo, s24
.LBB257_879:                            ;   in Loop: Header=BB257_532 Depth=1
	s_delay_alu instid0(SALU_CYCLE_1) | instskip(SKIP_3) | instid1(VALU_DEP_2)
	s_or_b32 exec_lo, exec_lo, s23
	v_dual_mov_b32 v25, 0 :: v_dual_lshrrev_b32 v12, 16, v26
	v_mov_b32_e32 v28, 0
	s_mov_b32 s23, exec_lo
	v_and_b32_e32 v29, 0xff, v12
	s_delay_alu instid0(VALU_DEP_1)
	v_cmpx_ne_u16_e32 0, v29
	s_cbranch_execz .LBB257_887
; %bb.880:                              ;   in Loop: Header=BB257_532 Depth=1
	v_mov_b32_e32 v28, 0x8000
	s_mov_b32 s24, exec_lo
	v_cmpx_ne_u16_e32 0x80, v29
	s_cbranch_execz .LBB257_886
; %bb.881:                              ;   in Loop: Header=BB257_532 Depth=1
	v_bfe_u32 v30, v26, 16, 7
	v_mov_b32_e32 v28, 0x7c01
	s_mov_b32 s25, exec_lo
	s_delay_alu instid0(VALU_DEP_2)
	v_cmpx_ne_u32_e32 0x7f, v30
	s_cbranch_execz .LBB257_885
; %bb.882:                              ;   in Loop: Header=BB257_532 Depth=1
	v_dual_lshrrev_b32 v29, 3, v30 :: v_dual_bitop2_b32 v28, 7, v12 bitop3:0x40
	s_mov_b32 s36, exec_lo
	v_cmpx_gt_u32_e32 8, v30
; %bb.883:                              ;   in Loop: Header=BB257_532 Depth=1
	s_delay_alu instid0(VALU_DEP_2) | instskip(NEXT) | instid1(VALU_DEP_1)
	v_clz_i32_u32_e32 v28, v28
	v_min_u32_e32 v30, 32, v28
	s_delay_alu instid0(VALU_DEP_1) | instskip(NEXT) | instid1(VALU_DEP_1)
	v_subrev_nc_u32_e32 v28, 28, v30
	v_lshlrev_b64_e32 v[28:29], v28, v[12:13]
	s_delay_alu instid0(VALU_DEP_1)
	v_dual_sub_nc_u32 v29, 29, v30 :: v_dual_bitop2_b32 v28, 7, v28 bitop3:0x40
; %bb.884:                              ;   in Loop: Header=BB257_532 Depth=1
	s_or_b32 exec_lo, exec_lo, s36
	v_lshlrev_b32_e32 v12, 8, v12
	s_delay_alu instid0(VALU_DEP_2) | instskip(NEXT) | instid1(VALU_DEP_3)
	v_lshl_add_u32 v29, v29, 10, 0x2000
	v_lshlrev_b32_e32 v28, 7, v28
	s_delay_alu instid0(VALU_DEP_3) | instskip(NEXT) | instid1(VALU_DEP_3)
	v_and_b32_e32 v12, 0x8000, v12
	v_and_b32_e32 v29, 0xfc00, v29
	s_delay_alu instid0(VALU_DEP_1)
	v_or3_b32 v28, v12, v29, v28
.LBB257_885:                            ;   in Loop: Header=BB257_532 Depth=1
	s_or_b32 exec_lo, exec_lo, s25
.LBB257_886:                            ;   in Loop: Header=BB257_532 Depth=1
	s_delay_alu instid0(SALU_CYCLE_1)
	s_or_b32 exec_lo, exec_lo, s24
.LBB257_887:                            ;   in Loop: Header=BB257_532 Depth=1
	s_delay_alu instid0(SALU_CYCLE_1) | instskip(NEXT) | instid1(SALU_CYCLE_1)
	s_or_b32 exec_lo, exec_lo, s23
	s_mov_b32 s23, exec_lo
	v_cmpx_lt_u32_e32 0xffffff, v26
	s_cbranch_execz .LBB257_895
; %bb.888:                              ;   in Loop: Header=BB257_532 Depth=1
	v_lshrrev_b32_e32 v12, 24, v26
	v_bfrev_b32_e32 v25, 1
	s_mov_b32 s24, exec_lo
	s_delay_alu instid0(VALU_DEP_2)
	v_cmpx_ne_u32_e32 0x80, v12
	s_cbranch_execz .LBB257_894
; %bb.889:                              ;   in Loop: Header=BB257_532 Depth=1
	v_and_b32_e32 v30, 0x7f, v12
	v_mov_b32_e32 v25, 0x7c010000
	s_mov_b32 s25, exec_lo
	s_delay_alu instid0(VALU_DEP_2)
	v_cmpx_ne_u32_e32 0x7f, v30
	s_cbranch_execz .LBB257_893
; %bb.890:                              ;   in Loop: Header=BB257_532 Depth=1
	v_dual_lshrrev_b32 v29, 3, v30 :: v_dual_bitop2_b32 v25, 7, v12 bitop3:0x40
	s_mov_b32 s36, exec_lo
	v_cmpx_gt_u32_e32 8, v30
; %bb.891:                              ;   in Loop: Header=BB257_532 Depth=1
	s_delay_alu instid0(VALU_DEP_2) | instskip(NEXT) | instid1(VALU_DEP_1)
	v_clz_i32_u32_e32 v25, v25
	v_min_u32_e32 v25, 32, v25
	s_delay_alu instid0(VALU_DEP_1) | instskip(NEXT) | instid1(VALU_DEP_1)
	v_subrev_nc_u32_e32 v29, 28, v25
	v_lshlrev_b64_e32 v[30:31], v29, v[12:13]
	s_delay_alu instid0(VALU_DEP_1)
	v_dual_sub_nc_u32 v29, 29, v25 :: v_dual_bitop2_b32 v25, 7, v30 bitop3:0x40
; %bb.892:                              ;   in Loop: Header=BB257_532 Depth=1
	s_or_b32 exec_lo, exec_lo, s36
	s_delay_alu instid0(VALU_DEP_1) | instskip(NEXT) | instid1(VALU_DEP_2)
	v_dual_lshlrev_b32 v12, 8, v12 :: v_dual_lshlrev_b32 v25, 23, v25
	v_lshl_add_u32 v29, v29, 10, 0x2000
	s_delay_alu instid0(VALU_DEP_1) | instskip(NEXT) | instid1(VALU_DEP_1)
	v_and_or_b32 v12, 0x8000, v12, v29
	v_lshl_or_b32 v25, v12, 16, v25
.LBB257_893:                            ;   in Loop: Header=BB257_532 Depth=1
	s_or_b32 exec_lo, exec_lo, s25
.LBB257_894:                            ;   in Loop: Header=BB257_532 Depth=1
	s_delay_alu instid0(SALU_CYCLE_1)
	s_or_b32 exec_lo, exec_lo, s24
.LBB257_895:                            ;   in Loop: Header=BB257_532 Depth=1
	s_delay_alu instid0(SALU_CYCLE_1) | instskip(SKIP_4) | instid1(VALU_DEP_3)
	s_or_b32 exec_lo, exec_lo, s23
	v_and_b32_e32 v31, 0xff, v27
	v_dual_mov_b32 v12, v27 :: v_dual_mov_b32 v30, 0
	v_mov_b32_e32 v29, 0
	s_mov_b32 s23, exec_lo
	v_cmpx_ne_u16_e32 0, v31
	s_cbranch_execz .LBB257_903
; %bb.896:                              ;   in Loop: Header=BB257_532 Depth=1
	v_mov_b32_e32 v29, 0x8000
	s_mov_b32 s24, exec_lo
	v_cmpx_ne_u16_e32 0x80, v31
	s_cbranch_execz .LBB257_902
; %bb.897:                              ;   in Loop: Header=BB257_532 Depth=1
	v_and_b32_e32 v32, 0x7f, v27
	v_mov_b32_e32 v29, 0x7c01
	s_mov_b32 s25, exec_lo
	s_delay_alu instid0(VALU_DEP_2)
	v_cmpx_ne_u32_e32 0x7f, v32
	s_cbranch_execz .LBB257_901
; %bb.898:                              ;   in Loop: Header=BB257_532 Depth=1
	v_dual_lshrrev_b32 v31, 3, v32 :: v_dual_bitop2_b32 v29, 7, v27 bitop3:0x40
	s_mov_b32 s36, exec_lo
	v_cmpx_gt_u32_e32 8, v32
; %bb.899:                              ;   in Loop: Header=BB257_532 Depth=1
	s_delay_alu instid0(VALU_DEP_2) | instskip(NEXT) | instid1(VALU_DEP_1)
	v_clz_i32_u32_e32 v29, v29
	v_min_u32_e32 v29, 32, v29
	s_delay_alu instid0(VALU_DEP_1) | instskip(NEXT) | instid1(VALU_DEP_1)
	v_subrev_nc_u32_e32 v31, 28, v29
	v_lshlrev_b64_e32 v[42:43], v31, v[12:13]
	s_delay_alu instid0(VALU_DEP_1)
	v_dual_sub_nc_u32 v31, 29, v29 :: v_dual_bitop2_b32 v29, 7, v42 bitop3:0x40
; %bb.900:                              ;   in Loop: Header=BB257_532 Depth=1
	s_or_b32 exec_lo, exec_lo, s36
	s_delay_alu instid0(VALU_DEP_1) | instskip(NEXT) | instid1(VALU_DEP_2)
	v_dual_lshlrev_b32 v32, 8, v27 :: v_dual_lshlrev_b32 v29, 7, v29
	v_lshl_add_u32 v31, v31, 10, 0x2000
	s_delay_alu instid0(VALU_DEP_2) | instskip(NEXT) | instid1(VALU_DEP_2)
	v_and_b32_e32 v32, 0x8000, v32
	v_and_b32_e32 v31, 0xfc00, v31
	s_delay_alu instid0(VALU_DEP_1)
	v_or3_b32 v29, v32, v31, v29
.LBB257_901:                            ;   in Loop: Header=BB257_532 Depth=1
	s_or_b32 exec_lo, exec_lo, s25
.LBB257_902:                            ;   in Loop: Header=BB257_532 Depth=1
	s_delay_alu instid0(SALU_CYCLE_1)
	s_or_b32 exec_lo, exec_lo, s24
.LBB257_903:                            ;   in Loop: Header=BB257_532 Depth=1
	s_delay_alu instid0(SALU_CYCLE_1) | instskip(SKIP_3) | instid1(VALU_DEP_2)
	s_or_b32 exec_lo, exec_lo, s23
	v_lshrrev_b16 v12, 8, v12
	v_mov_b32_e32 v31, 0
	s_mov_b32 s23, exec_lo
	v_cmpx_ne_u16_e32 0, v12
	s_cbranch_execz .LBB257_911
; %bb.904:                              ;   in Loop: Header=BB257_532 Depth=1
	v_bfrev_b32_e32 v31, 1
	s_mov_b32 s24, exec_lo
	v_cmpx_ne_u16_e32 0x80, v12
	s_cbranch_execz .LBB257_910
; %bb.905:                              ;   in Loop: Header=BB257_532 Depth=1
	v_and_b32_e32 v32, 0xffff, v12
	v_mov_b32_e32 v31, 0x7c010000
	s_mov_b32 s25, exec_lo
	s_delay_alu instid0(VALU_DEP_2) | instskip(NEXT) | instid1(VALU_DEP_1)
	v_and_b32_e32 v43, 0x7f, v32
	v_cmpx_ne_u32_e32 0x7f, v43
	s_cbranch_execz .LBB257_909
; %bb.906:                              ;   in Loop: Header=BB257_532 Depth=1
	v_dual_lshrrev_b32 v42, 3, v43 :: v_dual_bitop2_b32 v31, 7, v32 bitop3:0x40
	s_mov_b32 s36, exec_lo
	v_cmpx_gt_u32_e32 8, v43
; %bb.907:                              ;   in Loop: Header=BB257_532 Depth=1
	s_delay_alu instid0(VALU_DEP_2) | instskip(NEXT) | instid1(VALU_DEP_1)
	v_clz_i32_u32_e32 v31, v31
	v_min_u32_e32 v31, 32, v31
	s_delay_alu instid0(VALU_DEP_1) | instskip(NEXT) | instid1(VALU_DEP_1)
	v_subrev_nc_u32_e32 v42, 28, v31
	v_lshlrev_b64_e32 v[58:59], v42, v[12:13]
	s_delay_alu instid0(VALU_DEP_1)
	v_dual_sub_nc_u32 v42, 29, v31 :: v_dual_bitop2_b32 v31, 7, v58 bitop3:0x40
; %bb.908:                              ;   in Loop: Header=BB257_532 Depth=1
	s_or_b32 exec_lo, exec_lo, s36
	s_delay_alu instid0(VALU_DEP_1) | instskip(NEXT) | instid1(VALU_DEP_2)
	v_dual_lshlrev_b32 v12, 8, v32 :: v_dual_lshlrev_b32 v31, 23, v31
	v_lshl_add_u32 v32, v42, 10, 0x2000
	s_delay_alu instid0(VALU_DEP_1) | instskip(NEXT) | instid1(VALU_DEP_1)
	v_and_or_b32 v12, 0x8000, v12, v32
	v_lshl_or_b32 v31, v12, 16, v31
.LBB257_909:                            ;   in Loop: Header=BB257_532 Depth=1
	s_or_b32 exec_lo, exec_lo, s25
.LBB257_910:                            ;   in Loop: Header=BB257_532 Depth=1
	s_delay_alu instid0(SALU_CYCLE_1)
	s_or_b32 exec_lo, exec_lo, s24
.LBB257_911:                            ;   in Loop: Header=BB257_532 Depth=1
	s_delay_alu instid0(SALU_CYCLE_1) | instskip(SKIP_2) | instid1(VALU_DEP_1)
	s_or_b32 exec_lo, exec_lo, s23
	v_lshrrev_b32_e32 v12, 16, v27
	s_mov_b32 s23, exec_lo
	v_and_b32_e32 v32, 0xff, v12
	s_delay_alu instid0(VALU_DEP_1)
	v_cmpx_ne_u16_e32 0, v32
	s_cbranch_execz .LBB257_919
; %bb.912:                              ;   in Loop: Header=BB257_532 Depth=1
	v_mov_b32_e32 v30, 0x8000
	s_mov_b32 s24, exec_lo
	v_cmpx_ne_u16_e32 0x80, v32
	s_cbranch_execz .LBB257_918
; %bb.913:                              ;   in Loop: Header=BB257_532 Depth=1
	v_bfe_u32 v42, v27, 16, 7
	v_mov_b32_e32 v30, 0x7c01
	s_mov_b32 s25, exec_lo
	s_delay_alu instid0(VALU_DEP_2)
	v_cmpx_ne_u32_e32 0x7f, v42
	s_cbranch_execz .LBB257_917
; %bb.914:                              ;   in Loop: Header=BB257_532 Depth=1
	v_dual_lshrrev_b32 v32, 3, v42 :: v_dual_bitop2_b32 v30, 7, v12 bitop3:0x40
	s_mov_b32 s36, exec_lo
	v_cmpx_gt_u32_e32 8, v42
; %bb.915:                              ;   in Loop: Header=BB257_532 Depth=1
	s_delay_alu instid0(VALU_DEP_2) | instskip(NEXT) | instid1(VALU_DEP_1)
	v_clz_i32_u32_e32 v30, v30
	v_min_u32_e32 v30, 32, v30
	s_delay_alu instid0(VALU_DEP_1) | instskip(NEXT) | instid1(VALU_DEP_1)
	v_subrev_nc_u32_e32 v32, 28, v30
	v_lshlrev_b64_e32 v[42:43], v32, v[12:13]
	v_sub_nc_u32_e32 v32, 29, v30
	s_delay_alu instid0(VALU_DEP_2)
	v_and_b32_e32 v30, 7, v42
; %bb.916:                              ;   in Loop: Header=BB257_532 Depth=1
	s_or_b32 exec_lo, exec_lo, s36
	s_delay_alu instid0(VALU_DEP_1) | instskip(NEXT) | instid1(VALU_DEP_3)
	v_dual_lshlrev_b32 v12, 8, v12 :: v_dual_lshlrev_b32 v30, 7, v30
	v_lshl_add_u32 v32, v32, 10, 0x2000
	s_delay_alu instid0(VALU_DEP_2) | instskip(NEXT) | instid1(VALU_DEP_2)
	v_and_b32_e32 v12, 0x8000, v12
	v_and_b32_e32 v32, 0xfc00, v32
	s_delay_alu instid0(VALU_DEP_1)
	v_or3_b32 v30, v12, v32, v30
.LBB257_917:                            ;   in Loop: Header=BB257_532 Depth=1
	s_or_b32 exec_lo, exec_lo, s25
.LBB257_918:                            ;   in Loop: Header=BB257_532 Depth=1
	s_delay_alu instid0(SALU_CYCLE_1)
	s_or_b32 exec_lo, exec_lo, s24
.LBB257_919:                            ;   in Loop: Header=BB257_532 Depth=1
	s_delay_alu instid0(SALU_CYCLE_1)
	s_or_b32 exec_lo, exec_lo, s23
	v_cmp_lt_u64_e64 s1, s[12:13], v[26:27]
	v_mov_b32_e32 v26, 0
	s_and_saveexec_b32 s23, s1
	s_cbranch_execz .LBB257_927
; %bb.920:                              ;   in Loop: Header=BB257_532 Depth=1
	v_lshrrev_b32_e32 v12, 24, v27
	v_bfrev_b32_e32 v26, 1
	s_mov_b32 s24, exec_lo
	s_delay_alu instid0(VALU_DEP_2)
	v_cmpx_ne_u32_e32 0x80, v12
	s_cbranch_execz .LBB257_926
; %bb.921:                              ;   in Loop: Header=BB257_532 Depth=1
	v_and_b32_e32 v32, 0x7f, v12
	v_mov_b32_e32 v26, 0x7c010000
	s_mov_b32 s25, exec_lo
	s_delay_alu instid0(VALU_DEP_2)
	v_cmpx_ne_u32_e32 0x7f, v32
	s_cbranch_execz .LBB257_925
; %bb.922:                              ;   in Loop: Header=BB257_532 Depth=1
	v_and_b32_e32 v26, 7, v12
	v_lshrrev_b32_e32 v27, 3, v32
	s_mov_b32 s36, exec_lo
	v_cmpx_gt_u32_e32 8, v32
; %bb.923:                              ;   in Loop: Header=BB257_532 Depth=1
	s_delay_alu instid0(VALU_DEP_3) | instskip(NEXT) | instid1(VALU_DEP_1)
	v_clz_i32_u32_e32 v26, v26
	v_min_u32_e32 v32, 32, v26
	s_delay_alu instid0(VALU_DEP_1) | instskip(NEXT) | instid1(VALU_DEP_1)
	v_subrev_nc_u32_e32 v26, 28, v32
	v_lshlrev_b64_e32 v[26:27], v26, v[12:13]
	s_delay_alu instid0(VALU_DEP_1)
	v_dual_sub_nc_u32 v27, 29, v32 :: v_dual_bitop2_b32 v26, 7, v26 bitop3:0x40
; %bb.924:                              ;   in Loop: Header=BB257_532 Depth=1
	s_or_b32 exec_lo, exec_lo, s36
	s_delay_alu instid0(VALU_DEP_1) | instskip(NEXT) | instid1(VALU_DEP_2)
	v_dual_lshlrev_b32 v12, 8, v12 :: v_dual_lshlrev_b32 v26, 23, v26
	v_lshl_add_u32 v27, v27, 10, 0x2000
	s_delay_alu instid0(VALU_DEP_1) | instskip(NEXT) | instid1(VALU_DEP_1)
	v_and_or_b32 v12, 0x8000, v12, v27
	v_lshl_or_b32 v26, v12, 16, v26
.LBB257_925:                            ;   in Loop: Header=BB257_532 Depth=1
	s_or_b32 exec_lo, exec_lo, s25
.LBB257_926:                            ;   in Loop: Header=BB257_532 Depth=1
	s_delay_alu instid0(SALU_CYCLE_1)
	s_or_b32 exec_lo, exec_lo, s24
.LBB257_927:                            ;   in Loop: Header=BB257_532 Depth=1
	s_delay_alu instid0(SALU_CYCLE_1) | instskip(SKIP_3) | instid1(VALU_DEP_3)
	s_or_b32 exec_lo, exec_lo, s23
	v_dual_lshrrev_b32 v12, 16, v1 :: v_dual_bitop2_b32 v1, v1, v3 bitop3:0x54
	v_dual_lshrrev_b32 v27, 16, v25 :: v_dual_bitop2_b32 v3, v25, v28 bitop3:0x54
	v_lshrrev_b32_e32 v28, 16, v26
	v_cvt_f32_f16_e32 v43, v12
	v_dual_lshrrev_b32 v25, 16, v31 :: v_dual_bitop2_b32 v12, v26, v30 bitop3:0x54
	s_delay_alu instid0(VALU_DEP_4)
	v_cvt_f32_f16_e32 v26, v3
	v_or_b32_e32 v3, v31, v29
	v_cvt_f32_f16_e32 v42, v27
	v_cvt_f32_f16_e32 v27, v1
	;; [unrolled: 1-line block ×6, first 2 shown]
	s_wait_loadcnt 0x0
	v_pk_mul_f32 v[42:43], v[24:25], v[42:43] op_sel_hi:[0,1]
	v_pk_mul_f32 v[26:27], v[24:25], v[26:27] op_sel_hi:[0,1]
	;; [unrolled: 1-line block ×4, first 2 shown]
	s_delay_alu instid0(VALU_DEP_4) | instskip(NEXT) | instid1(VALU_DEP_4)
	v_cvt_pk_f16_f32 v1, v42, v43
	v_cvt_pk_f16_f32 v3, v26, v27
	s_delay_alu instid0(VALU_DEP_4) | instskip(NEXT) | instid1(VALU_DEP_4)
	v_cvt_pk_f16_f32 v12, v28, v29
	v_cvt_pk_f16_f32 v26, v30, v31
	s_delay_alu instid0(VALU_DEP_4) | instskip(NEXT) | instid1(VALU_DEP_4)
	v_and_b32_e32 v25, 0xffff0000, v1
	v_dual_lshlrev_b32 v24, 16, v1 :: v_dual_lshrrev_b32 v27, 16, v3
	v_and_b32_e32 v28, 0xffff, v3
	v_and_b32_e32 v1, 0xffff0000, v12
	v_dual_lshlrev_b32 v12, 16, v12 :: v_dual_lshrrev_b32 v3, 16, v26
	v_and_b32_e32 v26, 0xffff, v26
	v_or_b32_e32 v31, v25, v27
	v_or_b32_e32 v32, v24, v28
	s_delay_alu instid0(VALU_DEP_4) | instskip(NEXT) | instid1(VALU_DEP_4)
	v_or_b32_e32 v29, v1, v3
	v_or_b32_e32 v30, v12, v26
	s_and_saveexec_b32 s23, s0
	s_cbranch_execz .LBB257_929
; %bb.928:                              ;   in Loop: Header=BB257_532 Depth=1
	v_dual_add_nc_u32 v29, 2, v41 :: v_dual_bitop2_b32 v30, 1, v41 bitop3:0x54
	v_cmp_gt_i32_e64 s1, s18, v41
	v_or_b32_e32 v31, 3, v41
	s_delay_alu instid0(VALU_DEP_2) | instskip(NEXT) | instid1(VALU_DEP_4)
	v_dual_cndmask_b32 v27, 0, v27, s1 :: v_dual_bitop2_b32 v32, 7, v41 bitop3:0x54
	v_cmp_gt_i32_e64 s1, s34, v29
	s_delay_alu instid0(VALU_DEP_1) | instskip(SKIP_1) | instid1(VALU_DEP_1)
	v_cndmask_b32_e64 v28, 0, v28, s1
	v_cmp_gt_i32_e64 s1, s18, v30
	v_cndmask_b32_e64 v25, 0, v25, s1
	v_cmp_gt_i32_e64 s1, s34, v31
	s_delay_alu instid0(VALU_DEP_1) | instskip(NEXT) | instid1(VALU_DEP_1)
	v_dual_cndmask_b32 v24, 0, v24, s1 :: v_dual_bitop2_b32 v29, 4, v41 bitop3:0x54
	v_cmp_gt_i32_e64 s1, s18, v29
	s_delay_alu instid0(VALU_DEP_1) | instskip(NEXT) | instid1(VALU_DEP_1)
	v_dual_cndmask_b32 v3, 0, v3, s1 :: v_dual_bitop2_b32 v30, 6, v41 bitop3:0x54
	v_cmp_gt_i32_e64 s1, s34, v30
	s_delay_alu instid0(VALU_DEP_1) | instskip(NEXT) | instid1(VALU_DEP_1)
	v_dual_cndmask_b32 v26, 0, v26, s1 :: v_dual_bitop2_b32 v31, 5, v41 bitop3:0x54
	v_cmp_gt_i32_e64 s1, s18, v31
	s_delay_alu instid0(VALU_DEP_1) | instskip(SKIP_2) | instid1(VALU_DEP_2)
	v_dual_cndmask_b32 v1, 0, v1, s1 :: v_dual_bitop2_b32 v31, v25, v27 bitop3:0x54
	v_cmp_gt_i32_e64 s1, s34, v32
	v_or_b32_e32 v32, v24, v28
	v_dual_cndmask_b32 v12, 0, v12, s1 :: v_dual_bitop2_b32 v29, v1, v3 bitop3:0x54
	s_delay_alu instid0(VALU_DEP_1)
	v_or_b32_e32 v30, v12, v26
.LBB257_929:                            ;   in Loop: Header=BB257_532 Depth=1
	s_or_b32 exec_lo, exec_lo, s23
	;;#ASMSTART
	v_pk_mul_f16 v1, v49, v31;

	;;#ASMEND
	;;#ASMSTART
	v_pk_mul_f16 v3, v48, v32;

	;;#ASMEND
	;; [unrolled: 4-line block ×4, first 2 shown]
	;;#ASMSTART
	v_pk_add_f16 v1, v1, v3;

	;;#ASMEND
	;;#ASMSTART
	v_pk_add_f16 v1, v1, v12;

	;;#ASMEND
	;; [unrolled: 4-line block ×3, first 2 shown]
	v_and_b32_e32 v3, 0xffff, v1
	v_lshrrev_b32_e32 v1, 16, v1
	;;#ASMSTART
	v_cvt_f32_f16 v42, v3;
	;;#ASMEND
	v_mov_b32_e32 v3, 0
	;;#ASMSTART
	v_cvt_f32_f16 v43, v1;
	;;#ASMEND
	global_load_b64 v[24:25], v[22:23], off offset:1536
	v_mov_b32_e32 v1, 0
	s_mov_b32 s23, exec_lo
	global_load_b32 v22, v1, s[10:11]
	s_wait_loadcnt 0x1
	v_and_b32_e32 v12, 0xff, v24
	s_wait_xcnt 0x0
	s_delay_alu instid0(VALU_DEP_1)
	v_cmpx_ne_u16_e32 0, v12
	s_cbranch_execz .LBB257_937
; %bb.930:                              ;   in Loop: Header=BB257_532 Depth=1
	v_mov_b32_e32 v3, 0x8000
	s_mov_b32 s24, exec_lo
	v_cmpx_ne_u16_e32 0x80, v12
	s_cbranch_execz .LBB257_936
; %bb.931:                              ;   in Loop: Header=BB257_532 Depth=1
	v_and_b32_e32 v23, 0x7f, v24
	v_mov_b32_e32 v3, 0x7c01
	s_mov_b32 s25, exec_lo
	s_delay_alu instid0(VALU_DEP_2)
	v_cmpx_ne_u32_e32 0x7f, v23
	s_cbranch_execz .LBB257_935
; %bb.932:                              ;   in Loop: Header=BB257_532 Depth=1
	v_dual_lshrrev_b32 v12, 3, v23 :: v_dual_bitop2_b32 v3, 7, v24 bitop3:0x40
	s_mov_b32 s36, exec_lo
	v_cmpx_gt_u32_e32 8, v23
; %bb.933:                              ;   in Loop: Header=BB257_532 Depth=1
	s_delay_alu instid0(VALU_DEP_2) | instskip(NEXT) | instid1(VALU_DEP_1)
	v_clz_i32_u32_e32 v3, v3
	v_min_u32_e32 v3, 32, v3
	s_delay_alu instid0(VALU_DEP_1) | instskip(NEXT) | instid1(VALU_DEP_1)
	v_subrev_nc_u32_e32 v12, 28, v3
	v_lshlrev_b64_e32 v[26:27], v12, v[24:25]
	s_delay_alu instid0(VALU_DEP_1)
	v_dual_sub_nc_u32 v12, 29, v3 :: v_dual_bitop2_b32 v3, 7, v26 bitop3:0x40
; %bb.934:                              ;   in Loop: Header=BB257_532 Depth=1
	s_or_b32 exec_lo, exec_lo, s36
	s_delay_alu instid0(VALU_DEP_1) | instskip(NEXT) | instid1(VALU_DEP_2)
	v_dual_lshlrev_b32 v23, 8, v24 :: v_dual_lshlrev_b32 v3, 7, v3
	v_lshl_add_u32 v12, v12, 10, 0x2000
	s_delay_alu instid0(VALU_DEP_2) | instskip(NEXT) | instid1(VALU_DEP_2)
	v_and_b32_e32 v23, 0x8000, v23
	v_and_b32_e32 v12, 0xfc00, v12
	s_delay_alu instid0(VALU_DEP_1)
	v_or3_b32 v3, v23, v12, v3
.LBB257_935:                            ;   in Loop: Header=BB257_532 Depth=1
	s_or_b32 exec_lo, exec_lo, s25
.LBB257_936:                            ;   in Loop: Header=BB257_532 Depth=1
	s_delay_alu instid0(SALU_CYCLE_1)
	s_or_b32 exec_lo, exec_lo, s24
.LBB257_937:                            ;   in Loop: Header=BB257_532 Depth=1
	s_delay_alu instid0(SALU_CYCLE_1) | instskip(SKIP_2) | instid1(VALU_DEP_1)
	s_or_b32 exec_lo, exec_lo, s23
	v_lshrrev_b16 v12, 8, v24
	s_mov_b32 s23, exec_lo
	v_cmpx_ne_u16_e32 0, v12
	s_cbranch_execz .LBB257_945
; %bb.938:                              ;   in Loop: Header=BB257_532 Depth=1
	v_bfrev_b32_e32 v1, 1
	s_mov_b32 s24, exec_lo
	v_cmpx_ne_u16_e32 0x80, v12
	s_cbranch_execz .LBB257_944
; %bb.939:                              ;   in Loop: Header=BB257_532 Depth=1
	v_and_b32_e32 v23, 0xffff, v12
	v_mov_b32_e32 v1, 0x7c010000
	s_mov_b32 s25, exec_lo
	s_delay_alu instid0(VALU_DEP_2) | instskip(NEXT) | instid1(VALU_DEP_1)
	v_and_b32_e32 v27, 0x7f, v23
	v_cmpx_ne_u32_e32 0x7f, v27
	s_cbranch_execz .LBB257_943
; %bb.940:                              ;   in Loop: Header=BB257_532 Depth=1
	v_and_b32_e32 v1, 7, v23
	v_lshrrev_b32_e32 v26, 3, v27
	s_mov_b32 s36, exec_lo
	v_cmpx_gt_u32_e32 8, v27
; %bb.941:                              ;   in Loop: Header=BB257_532 Depth=1
	s_delay_alu instid0(VALU_DEP_3) | instskip(NEXT) | instid1(VALU_DEP_1)
	v_clz_i32_u32_e32 v1, v1
	v_min_u32_e32 v1, 32, v1
	s_delay_alu instid0(VALU_DEP_1) | instskip(NEXT) | instid1(VALU_DEP_1)
	v_subrev_nc_u32_e32 v26, 28, v1
	v_lshlrev_b64_e32 v[28:29], v26, v[12:13]
	s_delay_alu instid0(VALU_DEP_1)
	v_dual_sub_nc_u32 v26, 29, v1 :: v_dual_bitop2_b32 v1, 7, v28 bitop3:0x40
; %bb.942:                              ;   in Loop: Header=BB257_532 Depth=1
	s_or_b32 exec_lo, exec_lo, s36
	s_delay_alu instid0(VALU_DEP_1) | instskip(NEXT) | instid1(VALU_DEP_2)
	v_dual_lshlrev_b32 v12, 8, v23 :: v_dual_lshlrev_b32 v1, 23, v1
	v_lshl_add_u32 v23, v26, 10, 0x2000
	s_delay_alu instid0(VALU_DEP_1) | instskip(NEXT) | instid1(VALU_DEP_1)
	v_and_or_b32 v12, 0x8000, v12, v23
	v_lshl_or_b32 v1, v12, 16, v1
.LBB257_943:                            ;   in Loop: Header=BB257_532 Depth=1
	s_or_b32 exec_lo, exec_lo, s25
.LBB257_944:                            ;   in Loop: Header=BB257_532 Depth=1
	s_delay_alu instid0(SALU_CYCLE_1)
	s_or_b32 exec_lo, exec_lo, s24
.LBB257_945:                            ;   in Loop: Header=BB257_532 Depth=1
	s_delay_alu instid0(SALU_CYCLE_1) | instskip(SKIP_3) | instid1(VALU_DEP_2)
	s_or_b32 exec_lo, exec_lo, s23
	v_dual_mov_b32 v23, 0 :: v_dual_lshrrev_b32 v12, 16, v24
	v_mov_b32_e32 v26, 0
	s_mov_b32 s23, exec_lo
	v_and_b32_e32 v27, 0xff, v12
	s_delay_alu instid0(VALU_DEP_1)
	v_cmpx_ne_u16_e32 0, v27
	s_cbranch_execz .LBB257_953
; %bb.946:                              ;   in Loop: Header=BB257_532 Depth=1
	v_mov_b32_e32 v26, 0x8000
	s_mov_b32 s24, exec_lo
	v_cmpx_ne_u16_e32 0x80, v27
	s_cbranch_execz .LBB257_952
; %bb.947:                              ;   in Loop: Header=BB257_532 Depth=1
	v_bfe_u32 v28, v24, 16, 7
	v_mov_b32_e32 v26, 0x7c01
	s_mov_b32 s25, exec_lo
	s_delay_alu instid0(VALU_DEP_2)
	v_cmpx_ne_u32_e32 0x7f, v28
	s_cbranch_execz .LBB257_951
; %bb.948:                              ;   in Loop: Header=BB257_532 Depth=1
	v_and_b32_e32 v26, 7, v12
	v_lshrrev_b32_e32 v27, 3, v28
	s_mov_b32 s36, exec_lo
	v_cmpx_gt_u32_e32 8, v28
; %bb.949:                              ;   in Loop: Header=BB257_532 Depth=1
	s_delay_alu instid0(VALU_DEP_3) | instskip(NEXT) | instid1(VALU_DEP_1)
	v_clz_i32_u32_e32 v26, v26
	v_min_u32_e32 v28, 32, v26
	s_delay_alu instid0(VALU_DEP_1) | instskip(NEXT) | instid1(VALU_DEP_1)
	v_subrev_nc_u32_e32 v26, 28, v28
	v_lshlrev_b64_e32 v[26:27], v26, v[12:13]
	s_delay_alu instid0(VALU_DEP_1)
	v_dual_sub_nc_u32 v27, 29, v28 :: v_dual_bitop2_b32 v26, 7, v26 bitop3:0x40
; %bb.950:                              ;   in Loop: Header=BB257_532 Depth=1
	s_or_b32 exec_lo, exec_lo, s36
	s_delay_alu instid0(VALU_DEP_1) | instskip(NEXT) | instid1(VALU_DEP_2)
	v_dual_lshlrev_b32 v12, 8, v12 :: v_dual_lshlrev_b32 v26, 7, v26
	v_lshl_add_u32 v27, v27, 10, 0x2000
	s_delay_alu instid0(VALU_DEP_2) | instskip(NEXT) | instid1(VALU_DEP_2)
	v_and_b32_e32 v12, 0x8000, v12
	v_and_b32_e32 v27, 0xfc00, v27
	s_delay_alu instid0(VALU_DEP_1)
	v_or3_b32 v26, v12, v27, v26
.LBB257_951:                            ;   in Loop: Header=BB257_532 Depth=1
	s_or_b32 exec_lo, exec_lo, s25
.LBB257_952:                            ;   in Loop: Header=BB257_532 Depth=1
	s_delay_alu instid0(SALU_CYCLE_1)
	s_or_b32 exec_lo, exec_lo, s24
.LBB257_953:                            ;   in Loop: Header=BB257_532 Depth=1
	s_delay_alu instid0(SALU_CYCLE_1) | instskip(NEXT) | instid1(SALU_CYCLE_1)
	s_or_b32 exec_lo, exec_lo, s23
	s_mov_b32 s23, exec_lo
	v_cmpx_lt_u32_e32 0xffffff, v24
	s_cbranch_execz .LBB257_961
; %bb.954:                              ;   in Loop: Header=BB257_532 Depth=1
	v_lshrrev_b32_e32 v12, 24, v24
	v_bfrev_b32_e32 v23, 1
	s_mov_b32 s24, exec_lo
	s_delay_alu instid0(VALU_DEP_2)
	v_cmpx_ne_u32_e32 0x80, v12
	s_cbranch_execz .LBB257_960
; %bb.955:                              ;   in Loop: Header=BB257_532 Depth=1
	v_and_b32_e32 v28, 0x7f, v12
	v_mov_b32_e32 v23, 0x7c010000
	s_mov_b32 s25, exec_lo
	s_delay_alu instid0(VALU_DEP_2)
	v_cmpx_ne_u32_e32 0x7f, v28
	s_cbranch_execz .LBB257_959
; %bb.956:                              ;   in Loop: Header=BB257_532 Depth=1
	v_and_b32_e32 v23, 7, v12
	v_lshrrev_b32_e32 v27, 3, v28
	s_mov_b32 s36, exec_lo
	v_cmpx_gt_u32_e32 8, v28
; %bb.957:                              ;   in Loop: Header=BB257_532 Depth=1
	s_delay_alu instid0(VALU_DEP_3) | instskip(NEXT) | instid1(VALU_DEP_1)
	v_clz_i32_u32_e32 v23, v23
	v_min_u32_e32 v23, 32, v23
	s_delay_alu instid0(VALU_DEP_1) | instskip(NEXT) | instid1(VALU_DEP_1)
	v_subrev_nc_u32_e32 v27, 28, v23
	v_lshlrev_b64_e32 v[28:29], v27, v[12:13]
	s_delay_alu instid0(VALU_DEP_1)
	v_dual_sub_nc_u32 v27, 29, v23 :: v_dual_bitop2_b32 v23, 7, v28 bitop3:0x40
; %bb.958:                              ;   in Loop: Header=BB257_532 Depth=1
	s_or_b32 exec_lo, exec_lo, s36
	s_delay_alu instid0(VALU_DEP_1) | instskip(NEXT) | instid1(VALU_DEP_2)
	v_dual_lshlrev_b32 v12, 8, v12 :: v_dual_lshlrev_b32 v23, 23, v23
	v_lshl_add_u32 v27, v27, 10, 0x2000
	s_delay_alu instid0(VALU_DEP_1) | instskip(NEXT) | instid1(VALU_DEP_1)
	v_and_or_b32 v12, 0x8000, v12, v27
	v_lshl_or_b32 v23, v12, 16, v23
.LBB257_959:                            ;   in Loop: Header=BB257_532 Depth=1
	s_or_b32 exec_lo, exec_lo, s25
.LBB257_960:                            ;   in Loop: Header=BB257_532 Depth=1
	s_delay_alu instid0(SALU_CYCLE_1)
	s_or_b32 exec_lo, exec_lo, s24
.LBB257_961:                            ;   in Loop: Header=BB257_532 Depth=1
	s_delay_alu instid0(SALU_CYCLE_1) | instskip(SKIP_4) | instid1(VALU_DEP_3)
	s_or_b32 exec_lo, exec_lo, s23
	v_and_b32_e32 v29, 0xff, v25
	v_dual_mov_b32 v12, v25 :: v_dual_mov_b32 v28, 0
	v_mov_b32_e32 v27, 0
	s_mov_b32 s23, exec_lo
	v_cmpx_ne_u16_e32 0, v29
	s_cbranch_execz .LBB257_969
; %bb.962:                              ;   in Loop: Header=BB257_532 Depth=1
	v_mov_b32_e32 v27, 0x8000
	s_mov_b32 s24, exec_lo
	v_cmpx_ne_u16_e32 0x80, v29
	s_cbranch_execz .LBB257_968
; %bb.963:                              ;   in Loop: Header=BB257_532 Depth=1
	v_and_b32_e32 v30, 0x7f, v25
	v_mov_b32_e32 v27, 0x7c01
	s_mov_b32 s25, exec_lo
	s_delay_alu instid0(VALU_DEP_2)
	v_cmpx_ne_u32_e32 0x7f, v30
	s_cbranch_execz .LBB257_967
; %bb.964:                              ;   in Loop: Header=BB257_532 Depth=1
	v_dual_lshrrev_b32 v29, 3, v30 :: v_dual_bitop2_b32 v27, 7, v25 bitop3:0x40
	s_mov_b32 s36, exec_lo
	v_cmpx_gt_u32_e32 8, v30
; %bb.965:                              ;   in Loop: Header=BB257_532 Depth=1
	s_delay_alu instid0(VALU_DEP_2) | instskip(NEXT) | instid1(VALU_DEP_1)
	v_clz_i32_u32_e32 v27, v27
	v_min_u32_e32 v27, 32, v27
	s_delay_alu instid0(VALU_DEP_1) | instskip(NEXT) | instid1(VALU_DEP_1)
	v_subrev_nc_u32_e32 v29, 28, v27
	v_lshlrev_b64_e32 v[30:31], v29, v[12:13]
	s_delay_alu instid0(VALU_DEP_1)
	v_dual_sub_nc_u32 v29, 29, v27 :: v_dual_bitop2_b32 v27, 7, v30 bitop3:0x40
; %bb.966:                              ;   in Loop: Header=BB257_532 Depth=1
	s_or_b32 exec_lo, exec_lo, s36
	s_delay_alu instid0(VALU_DEP_1) | instskip(NEXT) | instid1(VALU_DEP_2)
	v_dual_lshlrev_b32 v30, 8, v25 :: v_dual_lshlrev_b32 v27, 7, v27
	v_lshl_add_u32 v29, v29, 10, 0x2000
	s_delay_alu instid0(VALU_DEP_2) | instskip(NEXT) | instid1(VALU_DEP_2)
	v_and_b32_e32 v30, 0x8000, v30
	v_and_b32_e32 v29, 0xfc00, v29
	s_delay_alu instid0(VALU_DEP_1)
	v_or3_b32 v27, v30, v29, v27
.LBB257_967:                            ;   in Loop: Header=BB257_532 Depth=1
	s_or_b32 exec_lo, exec_lo, s25
.LBB257_968:                            ;   in Loop: Header=BB257_532 Depth=1
	s_delay_alu instid0(SALU_CYCLE_1)
	s_or_b32 exec_lo, exec_lo, s24
.LBB257_969:                            ;   in Loop: Header=BB257_532 Depth=1
	s_delay_alu instid0(SALU_CYCLE_1) | instskip(SKIP_3) | instid1(VALU_DEP_2)
	s_or_b32 exec_lo, exec_lo, s23
	v_lshrrev_b16 v12, 8, v12
	v_mov_b32_e32 v29, 0
	s_mov_b32 s23, exec_lo
	v_cmpx_ne_u16_e32 0, v12
	s_cbranch_execz .LBB257_977
; %bb.970:                              ;   in Loop: Header=BB257_532 Depth=1
	v_bfrev_b32_e32 v29, 1
	s_mov_b32 s24, exec_lo
	v_cmpx_ne_u16_e32 0x80, v12
	s_cbranch_execz .LBB257_976
; %bb.971:                              ;   in Loop: Header=BB257_532 Depth=1
	v_and_b32_e32 v30, 0xffff, v12
	v_mov_b32_e32 v29, 0x7c010000
	s_mov_b32 s25, exec_lo
	s_delay_alu instid0(VALU_DEP_2) | instskip(NEXT) | instid1(VALU_DEP_1)
	v_and_b32_e32 v32, 0x7f, v30
	v_cmpx_ne_u32_e32 0x7f, v32
	s_cbranch_execz .LBB257_975
; %bb.972:                              ;   in Loop: Header=BB257_532 Depth=1
	v_dual_lshrrev_b32 v31, 3, v32 :: v_dual_bitop2_b32 v29, 7, v30 bitop3:0x40
	s_mov_b32 s36, exec_lo
	v_cmpx_gt_u32_e32 8, v32
; %bb.973:                              ;   in Loop: Header=BB257_532 Depth=1
	s_delay_alu instid0(VALU_DEP_2) | instskip(NEXT) | instid1(VALU_DEP_1)
	v_clz_i32_u32_e32 v29, v29
	v_min_u32_e32 v29, 32, v29
	s_delay_alu instid0(VALU_DEP_1) | instskip(NEXT) | instid1(VALU_DEP_1)
	v_subrev_nc_u32_e32 v31, 28, v29
	v_lshlrev_b64_e32 v[58:59], v31, v[12:13]
	s_delay_alu instid0(VALU_DEP_1)
	v_dual_sub_nc_u32 v31, 29, v29 :: v_dual_bitop2_b32 v29, 7, v58 bitop3:0x40
; %bb.974:                              ;   in Loop: Header=BB257_532 Depth=1
	s_or_b32 exec_lo, exec_lo, s36
	s_delay_alu instid0(VALU_DEP_1) | instskip(NEXT) | instid1(VALU_DEP_2)
	v_dual_lshlrev_b32 v12, 8, v30 :: v_dual_lshlrev_b32 v29, 23, v29
	v_lshl_add_u32 v30, v31, 10, 0x2000
	s_delay_alu instid0(VALU_DEP_1) | instskip(NEXT) | instid1(VALU_DEP_1)
	v_and_or_b32 v12, 0x8000, v12, v30
	v_lshl_or_b32 v29, v12, 16, v29
.LBB257_975:                            ;   in Loop: Header=BB257_532 Depth=1
	s_or_b32 exec_lo, exec_lo, s25
.LBB257_976:                            ;   in Loop: Header=BB257_532 Depth=1
	s_delay_alu instid0(SALU_CYCLE_1)
	s_or_b32 exec_lo, exec_lo, s24
.LBB257_977:                            ;   in Loop: Header=BB257_532 Depth=1
	s_delay_alu instid0(SALU_CYCLE_1) | instskip(SKIP_2) | instid1(VALU_DEP_1)
	s_or_b32 exec_lo, exec_lo, s23
	v_lshrrev_b32_e32 v12, 16, v25
	s_mov_b32 s23, exec_lo
	v_and_b32_e32 v30, 0xff, v12
	s_delay_alu instid0(VALU_DEP_1)
	v_cmpx_ne_u16_e32 0, v30
	s_cbranch_execz .LBB257_985
; %bb.978:                              ;   in Loop: Header=BB257_532 Depth=1
	v_mov_b32_e32 v28, 0x8000
	s_mov_b32 s24, exec_lo
	v_cmpx_ne_u16_e32 0x80, v30
	s_cbranch_execz .LBB257_984
; %bb.979:                              ;   in Loop: Header=BB257_532 Depth=1
	v_bfe_u32 v31, v25, 16, 7
	v_mov_b32_e32 v28, 0x7c01
	s_mov_b32 s25, exec_lo
	s_delay_alu instid0(VALU_DEP_2)
	v_cmpx_ne_u32_e32 0x7f, v31
	s_cbranch_execz .LBB257_983
; %bb.980:                              ;   in Loop: Header=BB257_532 Depth=1
	v_dual_lshrrev_b32 v30, 3, v31 :: v_dual_bitop2_b32 v28, 7, v12 bitop3:0x40
	s_mov_b32 s36, exec_lo
	v_cmpx_gt_u32_e32 8, v31
; %bb.981:                              ;   in Loop: Header=BB257_532 Depth=1
	s_delay_alu instid0(VALU_DEP_2) | instskip(NEXT) | instid1(VALU_DEP_1)
	v_clz_i32_u32_e32 v28, v28
	v_min_u32_e32 v28, 32, v28
	s_delay_alu instid0(VALU_DEP_1) | instskip(NEXT) | instid1(VALU_DEP_1)
	v_subrev_nc_u32_e32 v30, 28, v28
	v_lshlrev_b64_e32 v[58:59], v30, v[12:13]
	s_delay_alu instid0(VALU_DEP_1)
	v_dual_sub_nc_u32 v30, 29, v28 :: v_dual_bitop2_b32 v28, 7, v58 bitop3:0x40
; %bb.982:                              ;   in Loop: Header=BB257_532 Depth=1
	s_or_b32 exec_lo, exec_lo, s36
	v_lshlrev_b32_e32 v12, 8, v12
	s_delay_alu instid0(VALU_DEP_2) | instskip(NEXT) | instid1(VALU_DEP_3)
	v_lshl_add_u32 v30, v30, 10, 0x2000
	v_lshlrev_b32_e32 v28, 7, v28
	s_delay_alu instid0(VALU_DEP_3) | instskip(NEXT) | instid1(VALU_DEP_3)
	v_and_b32_e32 v12, 0x8000, v12
	v_and_b32_e32 v30, 0xfc00, v30
	s_delay_alu instid0(VALU_DEP_1)
	v_or3_b32 v28, v12, v30, v28
.LBB257_983:                            ;   in Loop: Header=BB257_532 Depth=1
	s_or_b32 exec_lo, exec_lo, s25
.LBB257_984:                            ;   in Loop: Header=BB257_532 Depth=1
	s_delay_alu instid0(SALU_CYCLE_1)
	s_or_b32 exec_lo, exec_lo, s24
.LBB257_985:                            ;   in Loop: Header=BB257_532 Depth=1
	s_delay_alu instid0(SALU_CYCLE_1)
	s_or_b32 exec_lo, exec_lo, s23
	v_cmp_lt_u64_e64 s1, s[12:13], v[24:25]
	v_mov_b32_e32 v24, 0
	s_and_saveexec_b32 s23, s1
	s_cbranch_execz .LBB257_993
; %bb.986:                              ;   in Loop: Header=BB257_532 Depth=1
	v_lshrrev_b32_e32 v12, 24, v25
	v_bfrev_b32_e32 v24, 1
	s_mov_b32 s24, exec_lo
	s_delay_alu instid0(VALU_DEP_2)
	v_cmpx_ne_u32_e32 0x80, v12
	s_cbranch_execz .LBB257_992
; %bb.987:                              ;   in Loop: Header=BB257_532 Depth=1
	v_and_b32_e32 v30, 0x7f, v12
	v_mov_b32_e32 v24, 0x7c010000
	s_mov_b32 s25, exec_lo
	s_delay_alu instid0(VALU_DEP_2)
	v_cmpx_ne_u32_e32 0x7f, v30
	s_cbranch_execz .LBB257_991
; %bb.988:                              ;   in Loop: Header=BB257_532 Depth=1
	v_dual_lshrrev_b32 v25, 3, v30 :: v_dual_bitop2_b32 v24, 7, v12 bitop3:0x40
	s_mov_b32 s36, exec_lo
	v_cmpx_gt_u32_e32 8, v30
; %bb.989:                              ;   in Loop: Header=BB257_532 Depth=1
	s_delay_alu instid0(VALU_DEP_2) | instskip(NEXT) | instid1(VALU_DEP_1)
	v_clz_i32_u32_e32 v24, v24
	v_min_u32_e32 v30, 32, v24
	s_delay_alu instid0(VALU_DEP_1) | instskip(NEXT) | instid1(VALU_DEP_1)
	v_subrev_nc_u32_e32 v24, 28, v30
	v_lshlrev_b64_e32 v[24:25], v24, v[12:13]
	s_delay_alu instid0(VALU_DEP_1)
	v_dual_sub_nc_u32 v25, 29, v30 :: v_dual_bitop2_b32 v24, 7, v24 bitop3:0x40
; %bb.990:                              ;   in Loop: Header=BB257_532 Depth=1
	s_or_b32 exec_lo, exec_lo, s36
	v_lshlrev_b32_e32 v12, 8, v12
	s_delay_alu instid0(VALU_DEP_2) | instskip(NEXT) | instid1(VALU_DEP_3)
	v_lshl_add_u32 v25, v25, 10, 0x2000
	v_lshlrev_b32_e32 v24, 23, v24
	s_delay_alu instid0(VALU_DEP_2) | instskip(NEXT) | instid1(VALU_DEP_1)
	v_and_or_b32 v12, 0x8000, v12, v25
	v_lshl_or_b32 v24, v12, 16, v24
.LBB257_991:                            ;   in Loop: Header=BB257_532 Depth=1
	s_or_b32 exec_lo, exec_lo, s25
.LBB257_992:                            ;   in Loop: Header=BB257_532 Depth=1
	s_delay_alu instid0(SALU_CYCLE_1)
	s_or_b32 exec_lo, exec_lo, s24
.LBB257_993:                            ;   in Loop: Header=BB257_532 Depth=1
	s_delay_alu instid0(SALU_CYCLE_1) | instskip(SKIP_3) | instid1(VALU_DEP_3)
	s_or_b32 exec_lo, exec_lo, s23
	v_dual_lshrrev_b32 v12, 16, v1 :: v_dual_lshrrev_b32 v25, 16, v23
	v_or_b32_e32 v1, v1, v3
	v_dual_lshrrev_b32 v26, 16, v24 :: v_dual_bitop2_b32 v3, v23, v26 bitop3:0x54
	v_cvt_f32_f16_e32 v31, v12
	s_delay_alu instid0(VALU_DEP_4) | instskip(SKIP_4) | instid1(VALU_DEP_3)
	v_cvt_f32_f16_e32 v30, v25
	v_lshrrev_b32_e32 v23, 16, v29
	v_cvt_f32_f16_e32 v25, v1
	v_cvt_f32_f16_e32 v26, v26
	s_wait_loadcnt 0x0
	v_pk_mul_f32 v[30:31], v[22:23], v[30:31] op_sel_hi:[0,1]
	s_delay_alu instid0(VALU_DEP_1) | instskip(SKIP_4) | instid1(VALU_DEP_4)
	v_cvt_pk_f16_f32 v1, v30, v31
	v_or_b32_e32 v12, v24, v28
	v_cvt_f32_f16_e32 v24, v3
	v_or_b32_e32 v3, v29, v27
	v_cvt_f32_f16_e32 v27, v23
	v_cvt_f32_f16_e32 v28, v12
	s_delay_alu instid0(VALU_DEP_4) | instskip(NEXT) | instid1(VALU_DEP_4)
	v_pk_mul_f32 v[24:25], v[22:23], v[24:25] op_sel_hi:[0,1]
	v_cvt_f32_f16_e32 v29, v3
	s_delay_alu instid0(VALU_DEP_4) | instskip(NEXT) | instid1(VALU_DEP_3)
	v_pk_mul_f32 v[26:27], v[22:23], v[26:27] op_sel_hi:[0,1]
	v_cvt_pk_f16_f32 v3, v24, v25
	s_delay_alu instid0(VALU_DEP_3) | instskip(NEXT) | instid1(VALU_DEP_3)
	v_pk_mul_f32 v[28:29], v[22:23], v[28:29] op_sel_hi:[0,1]
	v_cvt_pk_f16_f32 v12, v26, v27
	v_and_b32_e32 v23, 0xffff0000, v1
	v_lshlrev_b32_e32 v22, 16, v1
	v_and_b32_e32 v26, 0xffff, v3
	v_cvt_pk_f16_f32 v24, v28, v29
	v_lshrrev_b32_e32 v25, 16, v3
	v_and_b32_e32 v1, 0xffff0000, v12
	s_delay_alu instid0(VALU_DEP_4) | instskip(NEXT) | instid1(VALU_DEP_4)
	v_dual_lshlrev_b32 v12, 16, v12 :: v_dual_bitop2_b32 v30, v22, v26 bitop3:0x54
	v_lshrrev_b32_e32 v3, 16, v24
	v_and_b32_e32 v24, 0xffff, v24
	v_or_b32_e32 v29, v23, v25
	s_delay_alu instid0(VALU_DEP_3) | instskip(NEXT) | instid1(VALU_DEP_3)
	v_or_b32_e32 v27, v1, v3
	v_or_b32_e32 v28, v12, v24
	s_and_saveexec_b32 s23, s0
	s_cbranch_execz .LBB257_995
; %bb.994:                              ;   in Loop: Header=BB257_532 Depth=1
	v_dual_add_nc_u32 v27, 2, v41 :: v_dual_bitop2_b32 v28, 1, v41 bitop3:0x54
	v_cmp_gt_i32_e64 s1, s18, v41
	v_or_b32_e32 v30, 7, v41
	s_delay_alu instid0(VALU_DEP_2) | instskip(NEXT) | instid1(VALU_DEP_4)
	v_cndmask_b32_e64 v25, 0, v25, s1
	v_cmp_gt_i32_e64 s1, s34, v27
	s_delay_alu instid0(VALU_DEP_1) | instskip(SKIP_1) | instid1(VALU_DEP_1)
	v_dual_cndmask_b32 v26, 0, v26, s1 :: v_dual_bitop2_b32 v29, 3, v41 bitop3:0x54
	v_cmp_gt_i32_e64 s1, s18, v28
	v_cndmask_b32_e64 v23, 0, v23, s1
	s_delay_alu instid0(VALU_DEP_3) | instskip(NEXT) | instid1(VALU_DEP_1)
	v_cmp_gt_i32_e64 s1, s34, v29
	v_dual_cndmask_b32 v22, 0, v22, s1 :: v_dual_bitop2_b32 v27, 4, v41 bitop3:0x54
	s_delay_alu instid0(VALU_DEP_1) | instskip(NEXT) | instid1(VALU_DEP_1)
	v_cmp_gt_i32_e64 s1, s18, v27
	v_dual_cndmask_b32 v3, 0, v3, s1 :: v_dual_bitop2_b32 v28, 6, v41 bitop3:0x54
	s_delay_alu instid0(VALU_DEP_1) | instskip(NEXT) | instid1(VALU_DEP_1)
	v_cmp_gt_i32_e64 s1, s34, v28
	v_dual_cndmask_b32 v24, 0, v24, s1 :: v_dual_bitop2_b32 v29, 5, v41 bitop3:0x54
	s_delay_alu instid0(VALU_DEP_1) | instskip(SKIP_1) | instid1(VALU_DEP_2)
	v_cmp_gt_i32_e64 s1, s18, v29
	v_or_b32_e32 v29, v23, v25
	v_cndmask_b32_e64 v1, 0, v1, s1
	v_cmp_gt_i32_e64 s1, s34, v30
	v_or_b32_e32 v30, v22, v26
	s_delay_alu instid0(VALU_DEP_2) | instskip(NEXT) | instid1(VALU_DEP_1)
	v_dual_cndmask_b32 v12, 0, v12, s1 :: v_dual_bitop2_b32 v27, v1, v3 bitop3:0x54
	v_or_b32_e32 v28, v12, v24
.LBB257_995:                            ;   in Loop: Header=BB257_532 Depth=1
	s_or_b32 exec_lo, exec_lo, s23
	;;#ASMSTART
	v_pk_mul_f16 v1, v49, v29;

	;;#ASMEND
	;;#ASMSTART
	v_pk_mul_f16 v3, v48, v30;

	;;#ASMEND
	;; [unrolled: 4-line block ×4, first 2 shown]
	;;#ASMSTART
	v_pk_add_f16 v1, v1, v3;

	;;#ASMEND
	;;#ASMSTART
	v_pk_add_f16 v1, v1, v12;

	;;#ASMEND
	;; [unrolled: 4-line block ×3, first 2 shown]
	v_and_b32_e32 v3, 0xffff, v1
	v_lshrrev_b32_e32 v1, 16, v1
	;;#ASMSTART
	v_cvt_f32_f16 v31, v3;
	;;#ASMEND
	;;#ASMSTART
	v_cvt_f32_f16 v32, v1;
	;;#ASMEND
	s_and_saveexec_b32 s23, vcc_lo
	s_cbranch_execz .LBB257_530
; %bb.996:                              ;   in Loop: Header=BB257_532 Depth=1
	v_add_nc_u64_e32 v[20:21], v[20:21], v[16:17]
	v_dual_mov_b32 v1, 0 :: v_dual_mov_b32 v3, 0
	s_mov_b32 s24, exec_lo
	global_load_b64 v[22:23], v[20:21], off
	global_load_b32 v20, v1, s[10:11]
	s_wait_loadcnt 0x1
	v_and_b32_e32 v12, 0xff, v22
	s_wait_xcnt 0x0
	s_delay_alu instid0(VALU_DEP_1)
	v_cmpx_ne_u16_e32 0, v12
	s_cbranch_execz .LBB257_1004
; %bb.997:                              ;   in Loop: Header=BB257_532 Depth=1
	v_mov_b32_e32 v3, 0x8000
	s_mov_b32 s25, exec_lo
	v_cmpx_ne_u16_e32 0x80, v12
	s_cbranch_execz .LBB257_1003
; %bb.998:                              ;   in Loop: Header=BB257_532 Depth=1
	v_and_b32_e32 v21, 0x7f, v22
	v_mov_b32_e32 v3, 0x7c01
	s_mov_b32 s36, exec_lo
	s_delay_alu instid0(VALU_DEP_2)
	v_cmpx_ne_u32_e32 0x7f, v21
	s_cbranch_execz .LBB257_1002
; %bb.999:                              ;   in Loop: Header=BB257_532 Depth=1
	v_dual_lshrrev_b32 v12, 3, v21 :: v_dual_bitop2_b32 v3, 7, v22 bitop3:0x40
	s_mov_b32 s37, exec_lo
	v_cmpx_gt_u32_e32 8, v21
; %bb.1000:                             ;   in Loop: Header=BB257_532 Depth=1
	s_delay_alu instid0(VALU_DEP_2) | instskip(NEXT) | instid1(VALU_DEP_1)
	v_clz_i32_u32_e32 v3, v3
	v_min_u32_e32 v3, 32, v3
	s_delay_alu instid0(VALU_DEP_1) | instskip(NEXT) | instid1(VALU_DEP_1)
	v_subrev_nc_u32_e32 v12, 28, v3
	v_lshlrev_b64_e32 v[24:25], v12, v[22:23]
	s_delay_alu instid0(VALU_DEP_1)
	v_dual_sub_nc_u32 v12, 29, v3 :: v_dual_bitop2_b32 v3, 7, v24 bitop3:0x40
; %bb.1001:                             ;   in Loop: Header=BB257_532 Depth=1
	s_or_b32 exec_lo, exec_lo, s37
	s_delay_alu instid0(VALU_DEP_1) | instskip(NEXT) | instid1(VALU_DEP_2)
	v_dual_lshlrev_b32 v21, 8, v22 :: v_dual_lshlrev_b32 v3, 7, v3
	v_lshl_add_u32 v12, v12, 10, 0x2000
	s_delay_alu instid0(VALU_DEP_2) | instskip(NEXT) | instid1(VALU_DEP_2)
	v_and_b32_e32 v21, 0x8000, v21
	v_and_b32_e32 v12, 0xfc00, v12
	s_delay_alu instid0(VALU_DEP_1)
	v_or3_b32 v3, v21, v12, v3
.LBB257_1002:                           ;   in Loop: Header=BB257_532 Depth=1
	s_or_b32 exec_lo, exec_lo, s36
.LBB257_1003:                           ;   in Loop: Header=BB257_532 Depth=1
	s_delay_alu instid0(SALU_CYCLE_1)
	s_or_b32 exec_lo, exec_lo, s25
.LBB257_1004:                           ;   in Loop: Header=BB257_532 Depth=1
	s_delay_alu instid0(SALU_CYCLE_1) | instskip(SKIP_2) | instid1(VALU_DEP_1)
	s_or_b32 exec_lo, exec_lo, s24
	v_lshrrev_b16 v12, 8, v22
	s_mov_b32 s24, exec_lo
	v_cmpx_ne_u16_e32 0, v12
	s_cbranch_execz .LBB257_1012
; %bb.1005:                             ;   in Loop: Header=BB257_532 Depth=1
	v_bfrev_b32_e32 v1, 1
	s_mov_b32 s25, exec_lo
	v_cmpx_ne_u16_e32 0x80, v12
	s_cbranch_execz .LBB257_1011
; %bb.1006:                             ;   in Loop: Header=BB257_532 Depth=1
	v_and_b32_e32 v21, 0xffff, v12
	v_mov_b32_e32 v1, 0x7c010000
	s_mov_b32 s36, exec_lo
	s_delay_alu instid0(VALU_DEP_2) | instskip(NEXT) | instid1(VALU_DEP_1)
	v_and_b32_e32 v25, 0x7f, v21
	v_cmpx_ne_u32_e32 0x7f, v25
	s_cbranch_execz .LBB257_1010
; %bb.1007:                             ;   in Loop: Header=BB257_532 Depth=1
	v_and_b32_e32 v1, 7, v21
	v_lshrrev_b32_e32 v24, 3, v25
	s_mov_b32 s37, exec_lo
	v_cmpx_gt_u32_e32 8, v25
; %bb.1008:                             ;   in Loop: Header=BB257_532 Depth=1
	s_delay_alu instid0(VALU_DEP_3) | instskip(NEXT) | instid1(VALU_DEP_1)
	v_clz_i32_u32_e32 v1, v1
	v_min_u32_e32 v1, 32, v1
	s_delay_alu instid0(VALU_DEP_1) | instskip(NEXT) | instid1(VALU_DEP_1)
	v_subrev_nc_u32_e32 v24, 28, v1
	v_lshlrev_b64_e32 v[26:27], v24, v[12:13]
	s_delay_alu instid0(VALU_DEP_1)
	v_dual_sub_nc_u32 v24, 29, v1 :: v_dual_bitop2_b32 v1, 7, v26 bitop3:0x40
; %bb.1009:                             ;   in Loop: Header=BB257_532 Depth=1
	s_or_b32 exec_lo, exec_lo, s37
	v_lshlrev_b32_e32 v12, 8, v21
	s_delay_alu instid0(VALU_DEP_2) | instskip(NEXT) | instid1(VALU_DEP_3)
	v_lshl_add_u32 v21, v24, 10, 0x2000
	v_lshlrev_b32_e32 v1, 23, v1
	s_delay_alu instid0(VALU_DEP_2) | instskip(NEXT) | instid1(VALU_DEP_1)
	v_and_or_b32 v12, 0x8000, v12, v21
	v_lshl_or_b32 v1, v12, 16, v1
.LBB257_1010:                           ;   in Loop: Header=BB257_532 Depth=1
	s_or_b32 exec_lo, exec_lo, s36
.LBB257_1011:                           ;   in Loop: Header=BB257_532 Depth=1
	s_delay_alu instid0(SALU_CYCLE_1)
	s_or_b32 exec_lo, exec_lo, s25
.LBB257_1012:                           ;   in Loop: Header=BB257_532 Depth=1
	s_delay_alu instid0(SALU_CYCLE_1) | instskip(SKIP_3) | instid1(VALU_DEP_2)
	s_or_b32 exec_lo, exec_lo, s24
	v_dual_mov_b32 v21, 0 :: v_dual_lshrrev_b32 v12, 16, v22
	v_mov_b32_e32 v24, 0
	s_mov_b32 s24, exec_lo
	v_and_b32_e32 v25, 0xff, v12
	s_delay_alu instid0(VALU_DEP_1)
	v_cmpx_ne_u16_e32 0, v25
	s_cbranch_execz .LBB257_1020
; %bb.1013:                             ;   in Loop: Header=BB257_532 Depth=1
	v_mov_b32_e32 v24, 0x8000
	s_mov_b32 s25, exec_lo
	v_cmpx_ne_u16_e32 0x80, v25
	s_cbranch_execz .LBB257_1019
; %bb.1014:                             ;   in Loop: Header=BB257_532 Depth=1
	v_bfe_u32 v26, v22, 16, 7
	v_mov_b32_e32 v24, 0x7c01
	s_mov_b32 s36, exec_lo
	s_delay_alu instid0(VALU_DEP_2)
	v_cmpx_ne_u32_e32 0x7f, v26
	s_cbranch_execz .LBB257_1018
; %bb.1015:                             ;   in Loop: Header=BB257_532 Depth=1
	v_dual_lshrrev_b32 v25, 3, v26 :: v_dual_bitop2_b32 v24, 7, v12 bitop3:0x40
	s_mov_b32 s37, exec_lo
	v_cmpx_gt_u32_e32 8, v26
; %bb.1016:                             ;   in Loop: Header=BB257_532 Depth=1
	s_delay_alu instid0(VALU_DEP_2) | instskip(NEXT) | instid1(VALU_DEP_1)
	v_clz_i32_u32_e32 v24, v24
	v_min_u32_e32 v26, 32, v24
	s_delay_alu instid0(VALU_DEP_1) | instskip(NEXT) | instid1(VALU_DEP_1)
	v_subrev_nc_u32_e32 v24, 28, v26
	v_lshlrev_b64_e32 v[24:25], v24, v[12:13]
	s_delay_alu instid0(VALU_DEP_1)
	v_dual_sub_nc_u32 v25, 29, v26 :: v_dual_bitop2_b32 v24, 7, v24 bitop3:0x40
; %bb.1017:                             ;   in Loop: Header=BB257_532 Depth=1
	s_or_b32 exec_lo, exec_lo, s37
	v_lshlrev_b32_e32 v12, 8, v12
	s_delay_alu instid0(VALU_DEP_2) | instskip(NEXT) | instid1(VALU_DEP_3)
	v_lshl_add_u32 v25, v25, 10, 0x2000
	v_lshlrev_b32_e32 v24, 7, v24
	s_delay_alu instid0(VALU_DEP_3) | instskip(NEXT) | instid1(VALU_DEP_3)
	v_and_b32_e32 v12, 0x8000, v12
	v_and_b32_e32 v25, 0xfc00, v25
	s_delay_alu instid0(VALU_DEP_1)
	v_or3_b32 v24, v12, v25, v24
.LBB257_1018:                           ;   in Loop: Header=BB257_532 Depth=1
	s_or_b32 exec_lo, exec_lo, s36
.LBB257_1019:                           ;   in Loop: Header=BB257_532 Depth=1
	s_delay_alu instid0(SALU_CYCLE_1)
	s_or_b32 exec_lo, exec_lo, s25
.LBB257_1020:                           ;   in Loop: Header=BB257_532 Depth=1
	s_delay_alu instid0(SALU_CYCLE_1) | instskip(NEXT) | instid1(SALU_CYCLE_1)
	s_or_b32 exec_lo, exec_lo, s24
	s_mov_b32 s24, exec_lo
	v_cmpx_lt_u32_e32 0xffffff, v22
	s_cbranch_execz .LBB257_1028
; %bb.1021:                             ;   in Loop: Header=BB257_532 Depth=1
	v_lshrrev_b32_e32 v12, 24, v22
	v_bfrev_b32_e32 v21, 1
	s_mov_b32 s25, exec_lo
	s_delay_alu instid0(VALU_DEP_2)
	v_cmpx_ne_u32_e32 0x80, v12
	s_cbranch_execz .LBB257_1027
; %bb.1022:                             ;   in Loop: Header=BB257_532 Depth=1
	v_and_b32_e32 v26, 0x7f, v12
	v_mov_b32_e32 v21, 0x7c010000
	s_mov_b32 s36, exec_lo
	s_delay_alu instid0(VALU_DEP_2)
	v_cmpx_ne_u32_e32 0x7f, v26
	s_cbranch_execz .LBB257_1026
; %bb.1023:                             ;   in Loop: Header=BB257_532 Depth=1
	v_dual_lshrrev_b32 v25, 3, v26 :: v_dual_bitop2_b32 v21, 7, v12 bitop3:0x40
	s_mov_b32 s37, exec_lo
	v_cmpx_gt_u32_e32 8, v26
; %bb.1024:                             ;   in Loop: Header=BB257_532 Depth=1
	s_delay_alu instid0(VALU_DEP_2) | instskip(NEXT) | instid1(VALU_DEP_1)
	v_clz_i32_u32_e32 v21, v21
	v_min_u32_e32 v21, 32, v21
	s_delay_alu instid0(VALU_DEP_1) | instskip(NEXT) | instid1(VALU_DEP_1)
	v_subrev_nc_u32_e32 v25, 28, v21
	v_lshlrev_b64_e32 v[26:27], v25, v[12:13]
	s_delay_alu instid0(VALU_DEP_1)
	v_dual_sub_nc_u32 v25, 29, v21 :: v_dual_bitop2_b32 v21, 7, v26 bitop3:0x40
; %bb.1025:                             ;   in Loop: Header=BB257_532 Depth=1
	s_or_b32 exec_lo, exec_lo, s37
	s_delay_alu instid0(VALU_DEP_1) | instskip(NEXT) | instid1(VALU_DEP_2)
	v_dual_lshlrev_b32 v12, 8, v12 :: v_dual_lshlrev_b32 v21, 23, v21
	v_lshl_add_u32 v25, v25, 10, 0x2000
	s_delay_alu instid0(VALU_DEP_1) | instskip(NEXT) | instid1(VALU_DEP_1)
	v_and_or_b32 v12, 0x8000, v12, v25
	v_lshl_or_b32 v21, v12, 16, v21
.LBB257_1026:                           ;   in Loop: Header=BB257_532 Depth=1
	s_or_b32 exec_lo, exec_lo, s36
.LBB257_1027:                           ;   in Loop: Header=BB257_532 Depth=1
	s_delay_alu instid0(SALU_CYCLE_1)
	s_or_b32 exec_lo, exec_lo, s25
.LBB257_1028:                           ;   in Loop: Header=BB257_532 Depth=1
	s_delay_alu instid0(SALU_CYCLE_1) | instskip(SKIP_4) | instid1(VALU_DEP_3)
	s_or_b32 exec_lo, exec_lo, s24
	v_and_b32_e32 v27, 0xff, v23
	v_dual_mov_b32 v12, v23 :: v_dual_mov_b32 v26, 0
	v_mov_b32_e32 v25, 0
	s_mov_b32 s24, exec_lo
	v_cmpx_ne_u16_e32 0, v27
	s_cbranch_execz .LBB257_1036
; %bb.1029:                             ;   in Loop: Header=BB257_532 Depth=1
	v_mov_b32_e32 v25, 0x8000
	s_mov_b32 s25, exec_lo
	v_cmpx_ne_u16_e32 0x80, v27
	s_cbranch_execz .LBB257_1035
; %bb.1030:                             ;   in Loop: Header=BB257_532 Depth=1
	v_and_b32_e32 v28, 0x7f, v23
	v_mov_b32_e32 v25, 0x7c01
	s_mov_b32 s36, exec_lo
	s_delay_alu instid0(VALU_DEP_2)
	v_cmpx_ne_u32_e32 0x7f, v28
	s_cbranch_execz .LBB257_1034
; %bb.1031:                             ;   in Loop: Header=BB257_532 Depth=1
	v_dual_lshrrev_b32 v27, 3, v28 :: v_dual_bitop2_b32 v25, 7, v23 bitop3:0x40
	s_mov_b32 s37, exec_lo
	v_cmpx_gt_u32_e32 8, v28
; %bb.1032:                             ;   in Loop: Header=BB257_532 Depth=1
	s_delay_alu instid0(VALU_DEP_2) | instskip(NEXT) | instid1(VALU_DEP_1)
	v_clz_i32_u32_e32 v25, v25
	v_min_u32_e32 v25, 32, v25
	s_delay_alu instid0(VALU_DEP_1) | instskip(NEXT) | instid1(VALU_DEP_1)
	v_subrev_nc_u32_e32 v27, 28, v25
	v_lshlrev_b64_e32 v[28:29], v27, v[12:13]
	s_delay_alu instid0(VALU_DEP_1)
	v_dual_sub_nc_u32 v27, 29, v25 :: v_dual_bitop2_b32 v25, 7, v28 bitop3:0x40
; %bb.1033:                             ;   in Loop: Header=BB257_532 Depth=1
	s_or_b32 exec_lo, exec_lo, s37
	s_delay_alu instid0(VALU_DEP_1) | instskip(NEXT) | instid1(VALU_DEP_2)
	v_dual_lshlrev_b32 v28, 8, v23 :: v_dual_lshlrev_b32 v25, 7, v25
	v_lshl_add_u32 v27, v27, 10, 0x2000
	s_delay_alu instid0(VALU_DEP_2) | instskip(NEXT) | instid1(VALU_DEP_2)
	v_and_b32_e32 v28, 0x8000, v28
	v_and_b32_e32 v27, 0xfc00, v27
	s_delay_alu instid0(VALU_DEP_1)
	v_or3_b32 v25, v28, v27, v25
.LBB257_1034:                           ;   in Loop: Header=BB257_532 Depth=1
	s_or_b32 exec_lo, exec_lo, s36
.LBB257_1035:                           ;   in Loop: Header=BB257_532 Depth=1
	s_delay_alu instid0(SALU_CYCLE_1)
	s_or_b32 exec_lo, exec_lo, s25
.LBB257_1036:                           ;   in Loop: Header=BB257_532 Depth=1
	s_delay_alu instid0(SALU_CYCLE_1) | instskip(SKIP_3) | instid1(VALU_DEP_2)
	s_or_b32 exec_lo, exec_lo, s24
	v_lshrrev_b16 v12, 8, v12
	v_mov_b32_e32 v27, 0
	s_mov_b32 s24, exec_lo
	v_cmpx_ne_u16_e32 0, v12
	s_cbranch_execz .LBB257_1044
; %bb.1037:                             ;   in Loop: Header=BB257_532 Depth=1
	v_bfrev_b32_e32 v27, 1
	s_mov_b32 s25, exec_lo
	v_cmpx_ne_u16_e32 0x80, v12
	s_cbranch_execz .LBB257_1043
; %bb.1038:                             ;   in Loop: Header=BB257_532 Depth=1
	v_and_b32_e32 v28, 0xffff, v12
	v_mov_b32_e32 v27, 0x7c010000
	s_mov_b32 s36, exec_lo
	s_delay_alu instid0(VALU_DEP_2) | instskip(NEXT) | instid1(VALU_DEP_1)
	v_and_b32_e32 v30, 0x7f, v28
	v_cmpx_ne_u32_e32 0x7f, v30
	s_cbranch_execz .LBB257_1042
; %bb.1039:                             ;   in Loop: Header=BB257_532 Depth=1
	v_dual_lshrrev_b32 v29, 3, v30 :: v_dual_bitop2_b32 v27, 7, v28 bitop3:0x40
	s_mov_b32 s37, exec_lo
	v_cmpx_gt_u32_e32 8, v30
; %bb.1040:                             ;   in Loop: Header=BB257_532 Depth=1
	s_delay_alu instid0(VALU_DEP_2) | instskip(NEXT) | instid1(VALU_DEP_1)
	v_clz_i32_u32_e32 v27, v27
	v_min_u32_e32 v27, 32, v27
	s_delay_alu instid0(VALU_DEP_1) | instskip(NEXT) | instid1(VALU_DEP_1)
	v_subrev_nc_u32_e32 v29, 28, v27
	v_lshlrev_b64_e32 v[58:59], v29, v[12:13]
	s_delay_alu instid0(VALU_DEP_1)
	v_dual_sub_nc_u32 v29, 29, v27 :: v_dual_bitop2_b32 v27, 7, v58 bitop3:0x40
; %bb.1041:                             ;   in Loop: Header=BB257_532 Depth=1
	s_or_b32 exec_lo, exec_lo, s37
	s_delay_alu instid0(VALU_DEP_1) | instskip(NEXT) | instid1(VALU_DEP_2)
	v_dual_lshlrev_b32 v12, 8, v28 :: v_dual_lshlrev_b32 v27, 23, v27
	v_lshl_add_u32 v28, v29, 10, 0x2000
	s_delay_alu instid0(VALU_DEP_1) | instskip(NEXT) | instid1(VALU_DEP_1)
	v_and_or_b32 v12, 0x8000, v12, v28
	v_lshl_or_b32 v27, v12, 16, v27
.LBB257_1042:                           ;   in Loop: Header=BB257_532 Depth=1
	s_or_b32 exec_lo, exec_lo, s36
.LBB257_1043:                           ;   in Loop: Header=BB257_532 Depth=1
	s_delay_alu instid0(SALU_CYCLE_1)
	s_or_b32 exec_lo, exec_lo, s25
.LBB257_1044:                           ;   in Loop: Header=BB257_532 Depth=1
	s_delay_alu instid0(SALU_CYCLE_1) | instskip(SKIP_2) | instid1(VALU_DEP_1)
	s_or_b32 exec_lo, exec_lo, s24
	v_lshrrev_b32_e32 v12, 16, v23
	s_mov_b32 s24, exec_lo
	v_and_b32_e32 v28, 0xff, v12
	s_delay_alu instid0(VALU_DEP_1)
	v_cmpx_ne_u16_e32 0, v28
	s_cbranch_execz .LBB257_1052
; %bb.1045:                             ;   in Loop: Header=BB257_532 Depth=1
	v_mov_b32_e32 v26, 0x8000
	s_mov_b32 s25, exec_lo
	v_cmpx_ne_u16_e32 0x80, v28
	s_cbranch_execz .LBB257_1051
; %bb.1046:                             ;   in Loop: Header=BB257_532 Depth=1
	v_bfe_u32 v29, v23, 16, 7
	v_mov_b32_e32 v26, 0x7c01
	s_mov_b32 s36, exec_lo
	s_delay_alu instid0(VALU_DEP_2)
	v_cmpx_ne_u32_e32 0x7f, v29
	s_cbranch_execz .LBB257_1050
; %bb.1047:                             ;   in Loop: Header=BB257_532 Depth=1
	v_dual_lshrrev_b32 v28, 3, v29 :: v_dual_bitop2_b32 v26, 7, v12 bitop3:0x40
	s_mov_b32 s37, exec_lo
	v_cmpx_gt_u32_e32 8, v29
; %bb.1048:                             ;   in Loop: Header=BB257_532 Depth=1
	s_delay_alu instid0(VALU_DEP_2) | instskip(NEXT) | instid1(VALU_DEP_1)
	v_clz_i32_u32_e32 v26, v26
	v_min_u32_e32 v26, 32, v26
	s_delay_alu instid0(VALU_DEP_1) | instskip(NEXT) | instid1(VALU_DEP_1)
	v_subrev_nc_u32_e32 v28, 28, v26
	v_lshlrev_b64_e32 v[58:59], v28, v[12:13]
	v_sub_nc_u32_e32 v28, 29, v26
	s_delay_alu instid0(VALU_DEP_2)
	v_and_b32_e32 v26, 7, v58
; %bb.1049:                             ;   in Loop: Header=BB257_532 Depth=1
	s_or_b32 exec_lo, exec_lo, s37
	s_delay_alu instid0(VALU_DEP_1) | instskip(NEXT) | instid1(VALU_DEP_3)
	v_dual_lshlrev_b32 v12, 8, v12 :: v_dual_lshlrev_b32 v26, 7, v26
	v_lshl_add_u32 v28, v28, 10, 0x2000
	s_delay_alu instid0(VALU_DEP_2) | instskip(NEXT) | instid1(VALU_DEP_2)
	v_and_b32_e32 v12, 0x8000, v12
	v_and_b32_e32 v28, 0xfc00, v28
	s_delay_alu instid0(VALU_DEP_1)
	v_or3_b32 v26, v12, v28, v26
.LBB257_1050:                           ;   in Loop: Header=BB257_532 Depth=1
	s_or_b32 exec_lo, exec_lo, s36
.LBB257_1051:                           ;   in Loop: Header=BB257_532 Depth=1
	s_delay_alu instid0(SALU_CYCLE_1)
	s_or_b32 exec_lo, exec_lo, s25
.LBB257_1052:                           ;   in Loop: Header=BB257_532 Depth=1
	s_delay_alu instid0(SALU_CYCLE_1)
	s_or_b32 exec_lo, exec_lo, s24
	v_cmp_lt_u64_e64 s1, s[12:13], v[22:23]
	v_mov_b32_e32 v22, 0
	s_and_saveexec_b32 s24, s1
	s_cbranch_execz .LBB257_1060
; %bb.1053:                             ;   in Loop: Header=BB257_532 Depth=1
	v_lshrrev_b32_e32 v12, 24, v23
	v_bfrev_b32_e32 v22, 1
	s_mov_b32 s25, exec_lo
	s_delay_alu instid0(VALU_DEP_2)
	v_cmpx_ne_u32_e32 0x80, v12
	s_cbranch_execz .LBB257_1059
; %bb.1054:                             ;   in Loop: Header=BB257_532 Depth=1
	v_and_b32_e32 v28, 0x7f, v12
	v_mov_b32_e32 v22, 0x7c010000
	s_mov_b32 s36, exec_lo
	s_delay_alu instid0(VALU_DEP_2)
	v_cmpx_ne_u32_e32 0x7f, v28
	s_cbranch_execz .LBB257_1058
; %bb.1055:                             ;   in Loop: Header=BB257_532 Depth=1
	v_and_b32_e32 v22, 7, v12
	v_lshrrev_b32_e32 v23, 3, v28
	s_mov_b32 s37, exec_lo
	v_cmpx_gt_u32_e32 8, v28
; %bb.1056:                             ;   in Loop: Header=BB257_532 Depth=1
	s_delay_alu instid0(VALU_DEP_3) | instskip(NEXT) | instid1(VALU_DEP_1)
	v_clz_i32_u32_e32 v22, v22
	v_min_u32_e32 v28, 32, v22
	s_delay_alu instid0(VALU_DEP_1) | instskip(NEXT) | instid1(VALU_DEP_1)
	v_subrev_nc_u32_e32 v22, 28, v28
	v_lshlrev_b64_e32 v[22:23], v22, v[12:13]
	s_delay_alu instid0(VALU_DEP_1)
	v_dual_sub_nc_u32 v23, 29, v28 :: v_dual_bitop2_b32 v22, 7, v22 bitop3:0x40
; %bb.1057:                             ;   in Loop: Header=BB257_532 Depth=1
	s_or_b32 exec_lo, exec_lo, s37
	s_delay_alu instid0(VALU_DEP_1) | instskip(NEXT) | instid1(VALU_DEP_2)
	v_dual_lshlrev_b32 v12, 8, v12 :: v_dual_lshlrev_b32 v22, 23, v22
	v_lshl_add_u32 v23, v23, 10, 0x2000
	s_delay_alu instid0(VALU_DEP_1) | instskip(NEXT) | instid1(VALU_DEP_1)
	v_and_or_b32 v12, 0x8000, v12, v23
	v_lshl_or_b32 v22, v12, 16, v22
.LBB257_1058:                           ;   in Loop: Header=BB257_532 Depth=1
	s_or_b32 exec_lo, exec_lo, s36
.LBB257_1059:                           ;   in Loop: Header=BB257_532 Depth=1
	s_delay_alu instid0(SALU_CYCLE_1)
	s_or_b32 exec_lo, exec_lo, s25
.LBB257_1060:                           ;   in Loop: Header=BB257_532 Depth=1
	s_delay_alu instid0(SALU_CYCLE_1) | instskip(SKIP_3) | instid1(VALU_DEP_3)
	s_or_b32 exec_lo, exec_lo, s24
	v_dual_lshrrev_b32 v12, 16, v1 :: v_dual_bitop2_b32 v1, v1, v3 bitop3:0x54
	v_dual_lshrrev_b32 v23, 16, v21 :: v_dual_bitop2_b32 v3, v21, v24 bitop3:0x54
	v_lshrrev_b32_e32 v24, 16, v22
	v_cvt_f32_f16_e32 v29, v12
	v_dual_lshrrev_b32 v21, 16, v27 :: v_dual_bitop2_b32 v12, v22, v26 bitop3:0x54
	s_delay_alu instid0(VALU_DEP_4)
	v_cvt_f32_f16_e32 v22, v3
	v_or_b32_e32 v3, v27, v25
	v_cvt_f32_f16_e32 v28, v23
	v_cvt_f32_f16_e32 v23, v1
	;; [unrolled: 1-line block ×6, first 2 shown]
	s_wait_loadcnt 0x0
	v_pk_mul_f32 v[28:29], v[20:21], v[28:29] op_sel_hi:[0,1]
	v_pk_mul_f32 v[22:23], v[20:21], v[22:23] op_sel_hi:[0,1]
	;; [unrolled: 1-line block ×4, first 2 shown]
	s_delay_alu instid0(VALU_DEP_4) | instskip(NEXT) | instid1(VALU_DEP_4)
	v_cvt_pk_f16_f32 v1, v28, v29
	v_cvt_pk_f16_f32 v3, v22, v23
	s_delay_alu instid0(VALU_DEP_4) | instskip(NEXT) | instid1(VALU_DEP_4)
	v_cvt_pk_f16_f32 v12, v24, v25
	v_cvt_pk_f16_f32 v22, v26, v27
	s_delay_alu instid0(VALU_DEP_4) | instskip(NEXT) | instid1(VALU_DEP_4)
	v_and_b32_e32 v21, 0xffff0000, v1
	v_dual_lshlrev_b32 v20, 16, v1 :: v_dual_lshrrev_b32 v23, 16, v3
	v_and_b32_e32 v24, 0xffff, v3
	v_and_b32_e32 v1, 0xffff0000, v12
	v_dual_lshlrev_b32 v12, 16, v12 :: v_dual_lshrrev_b32 v3, 16, v22
	v_and_b32_e32 v22, 0xffff, v22
	v_or_b32_e32 v27, v21, v23
	v_or_b32_e32 v28, v20, v24
	s_delay_alu instid0(VALU_DEP_4) | instskip(NEXT) | instid1(VALU_DEP_4)
	v_or_b32_e32 v25, v1, v3
	v_or_b32_e32 v26, v12, v22
	s_and_saveexec_b32 s1, s0
	s_cbranch_execz .LBB257_529
; %bb.1061:                             ;   in Loop: Header=BB257_532 Depth=1
	v_dual_add_nc_u32 v25, 2, v41 :: v_dual_bitop2_b32 v26, 1, v41 bitop3:0x54
	v_cmp_gt_i32_e64 s0, s18, v41
	v_or_b32_e32 v27, 3, v41
	s_delay_alu instid0(VALU_DEP_2) | instskip(NEXT) | instid1(VALU_DEP_4)
	v_dual_cndmask_b32 v23, 0, v23, s0 :: v_dual_bitop2_b32 v28, 7, v41 bitop3:0x54
	v_cmp_gt_i32_e64 s0, s34, v25
	s_delay_alu instid0(VALU_DEP_1) | instskip(SKIP_1) | instid1(VALU_DEP_1)
	v_cndmask_b32_e64 v24, 0, v24, s0
	v_cmp_gt_i32_e64 s0, s18, v26
	v_cndmask_b32_e64 v21, 0, v21, s0
	v_cmp_gt_i32_e64 s0, s34, v27
	s_delay_alu instid0(VALU_DEP_1) | instskip(NEXT) | instid1(VALU_DEP_1)
	v_dual_cndmask_b32 v20, 0, v20, s0 :: v_dual_bitop2_b32 v25, 4, v41 bitop3:0x54
	v_cmp_gt_i32_e64 s0, s18, v25
	s_delay_alu instid0(VALU_DEP_1) | instskip(NEXT) | instid1(VALU_DEP_1)
	v_dual_cndmask_b32 v3, 0, v3, s0 :: v_dual_bitop2_b32 v26, 6, v41 bitop3:0x54
	;; [unrolled: 3-line block ×3, first 2 shown]
	v_cmp_gt_i32_e64 s0, s18, v27
	s_delay_alu instid0(VALU_DEP_1) | instskip(SKIP_2) | instid1(VALU_DEP_2)
	v_dual_cndmask_b32 v1, 0, v1, s0 :: v_dual_bitop2_b32 v27, v21, v23 bitop3:0x54
	v_cmp_gt_i32_e64 s0, s34, v28
	v_or_b32_e32 v28, v20, v24
	v_dual_cndmask_b32 v12, 0, v12, s0 :: v_dual_bitop2_b32 v25, v1, v3 bitop3:0x54
	s_delay_alu instid0(VALU_DEP_1)
	v_or_b32_e32 v26, v12, v22
	s_branch .LBB257_529
.LBB257_1062:
	s_or_b32 exec_lo, exec_lo, s19
.LBB257_1063:
	s_delay_alu instid0(SALU_CYCLE_1)
	s_or_b32 exec_lo, exec_lo, s27
	ds_bpermute_b32 v2, v37, v10
	ds_bpermute_b32 v3, v37, v11
	;; [unrolled: 1-line block ×8, first 2 shown]
	s_movk_i32 s0, 0x1e0
	v_and_b32_e32 v18, 0x3c0, v0
	v_mad_u32_u24 v1, v35, s0, 0x110
	s_mov_b32 s1, exec_lo
	v_cmp_eq_u32_e32 vcc_lo, 0, v34
	s_wait_dscnt 0x0
	s_barrier_signal -1
	s_barrier_wait -1
	v_pk_add_f32 v[10:11], v[10:11], v[2:3]
	v_pk_add_f32 v[8:9], v[8:9], v[12:13]
	;; [unrolled: 1-line block ×4, first 2 shown]
	v_cmpx_eq_u32_e32 64, v18
	s_cbranch_execz .LBB257_1068
; %bb.1064:
	v_add_nc_u32_e32 v4, 0xfffffc40, v1
	s_and_saveexec_b32 s0, vcc_lo
	s_cbranch_execz .LBB257_1066
; %bb.1065:
	s_delay_alu instid0(VALU_DEP_1)
	v_lshl_add_u32 v5, v36, 2, v4
	ds_store_2addr_b32 v5, v10, v11 offset1:16
	ds_store_2addr_b32 v5, v8, v9 offset0:32 offset1:48
	ds_store_2addr_b32 v5, v6, v7 offset0:64 offset1:80
	ds_store_b32 v5, v2 offset:384
.LBB257_1066:
	s_or_b32 exec_lo, exec_lo, s0
	v_or_b32_e32 v5, 0x70, v36
	s_delay_alu instid0(VALU_DEP_1) | instskip(SKIP_1) | instid1(SALU_CYCLE_1)
	v_cmp_gt_u32_e64 s0, 0x78, v5
	s_and_b32 s0, vcc_lo, s0
	s_and_b32 exec_lo, exec_lo, s0
; %bb.1067:
	v_lshl_add_u32 v4, v5, 2, v4
	ds_store_b32 v4, v3
.LBB257_1068:
	s_or_b32 exec_lo, exec_lo, s1
	s_delay_alu instid0(SALU_CYCLE_1)
	s_mov_b32 s1, exec_lo
	s_wait_dscnt 0x0
	s_barrier_signal -1
	s_barrier_wait -1
	v_cmpx_gt_u32_e32 64, v0
	s_cbranch_execz .LBB257_1080
; %bb.1069:
	s_and_saveexec_b32 s0, vcc_lo
	s_cbranch_execnz .LBB257_1115
; %bb.1070:
	s_or_b32 exec_lo, exec_lo, s0
	s_and_saveexec_b32 s0, vcc_lo
	s_cbranch_execnz .LBB257_1116
.LBB257_1071:
	s_or_b32 exec_lo, exec_lo, s0
	s_and_saveexec_b32 s0, vcc_lo
	s_cbranch_execnz .LBB257_1117
.LBB257_1072:
	s_or_b32 exec_lo, exec_lo, s0
	s_and_saveexec_b32 s0, vcc_lo
	s_cbranch_execnz .LBB257_1118
.LBB257_1073:
	s_or_b32 exec_lo, exec_lo, s0
	s_and_saveexec_b32 s0, vcc_lo
	s_cbranch_execnz .LBB257_1119
.LBB257_1074:
	s_or_b32 exec_lo, exec_lo, s0
	s_and_saveexec_b32 s0, vcc_lo
	s_cbranch_execnz .LBB257_1120
.LBB257_1075:
	s_or_b32 exec_lo, exec_lo, s0
	s_and_saveexec_b32 s0, vcc_lo
	s_cbranch_execz .LBB257_1077
.LBB257_1076:
	v_lshl_add_u32 v4, v36, 2, v1
	ds_load_b32 v4, v4 offset:384
	s_wait_dscnt 0x0
	v_add_f32_e32 v2, v2, v4
.LBB257_1077:
	s_or_b32 exec_lo, exec_lo, s0
	v_or_b32_e32 v4, 0x70, v36
	s_delay_alu instid0(VALU_DEP_1) | instskip(SKIP_1) | instid1(SALU_CYCLE_1)
	v_cmp_gt_u32_e64 s0, 0x78, v4
	s_and_b32 s2, vcc_lo, s0
	s_and_saveexec_b32 s0, s2
	s_cbranch_execz .LBB257_1079
; %bb.1078:
	v_lshl_add_u32 v4, v36, 2, v1
	ds_load_b32 v4, v4 offset:448
	s_wait_dscnt 0x0
	v_add_f32_e32 v3, v3, v4
.LBB257_1079:
	s_or_b32 exec_lo, exec_lo, s0
.LBB257_1080:
	s_delay_alu instid0(SALU_CYCLE_1) | instskip(SKIP_4) | instid1(VALU_DEP_1)
	s_or_b32 exec_lo, exec_lo, s1
	v_and_b32_e32 v4, 0x3e0, v0
	s_mov_b32 s1, exec_lo
	s_barrier_signal -1
	s_barrier_wait -1
	v_cmpx_eq_u32_e32 32, v4
	s_cbranch_execz .LBB257_1085
; %bb.1081:
	v_lshl_add_u32 v4, v36, 2, 0x110
	s_and_saveexec_b32 s0, vcc_lo
	s_cbranch_execz .LBB257_1083
; %bb.1082:
	ds_store_2addr_b32 v4, v10, v11 offset1:16
	ds_store_2addr_b32 v4, v8, v9 offset0:32 offset1:48
	ds_store_2addr_b32 v4, v6, v7 offset0:64 offset1:80
	ds_store_b32 v4, v2 offset:384
.LBB257_1083:
	s_or_b32 exec_lo, exec_lo, s0
	v_or_b32_e32 v5, 0x70, v36
	s_delay_alu instid0(VALU_DEP_1) | instskip(SKIP_1) | instid1(SALU_CYCLE_1)
	v_cmp_gt_u32_e64 s0, 0x78, v5
	s_and_b32 s0, vcc_lo, s0
	s_and_b32 exec_lo, exec_lo, s0
; %bb.1084:
	ds_store_b32 v4, v3 offset:448
.LBB257_1085:
	s_or_b32 exec_lo, exec_lo, s1
	v_cmp_gt_u32_e64 s0, 32, v0
	s_wait_dscnt 0x0
	s_barrier_signal -1
	s_barrier_wait -1
	s_and_saveexec_b32 s2, s0
	s_cbranch_execz .LBB257_1097
; %bb.1086:
	v_lshl_add_u32 v0, v36, 2, v1
	s_and_saveexec_b32 s1, vcc_lo
	s_cbranch_execnz .LBB257_1121
; %bb.1087:
	s_or_b32 exec_lo, exec_lo, s1
	s_and_saveexec_b32 s1, vcc_lo
	s_cbranch_execnz .LBB257_1122
.LBB257_1088:
	s_or_b32 exec_lo, exec_lo, s1
	s_and_saveexec_b32 s1, vcc_lo
	s_cbranch_execnz .LBB257_1123
.LBB257_1089:
	s_or_b32 exec_lo, exec_lo, s1
	s_and_saveexec_b32 s1, vcc_lo
	s_cbranch_execnz .LBB257_1124
.LBB257_1090:
	s_or_b32 exec_lo, exec_lo, s1
	s_and_saveexec_b32 s1, vcc_lo
	s_cbranch_execnz .LBB257_1125
.LBB257_1091:
	s_or_b32 exec_lo, exec_lo, s1
	s_and_saveexec_b32 s1, vcc_lo
	s_cbranch_execnz .LBB257_1126
.LBB257_1092:
	s_or_b32 exec_lo, exec_lo, s1
	s_and_saveexec_b32 s1, vcc_lo
	s_cbranch_execz .LBB257_1094
.LBB257_1093:
	ds_load_b32 v1, v0 offset:384
	s_wait_dscnt 0x0
	v_add_f32_e32 v2, v2, v1
.LBB257_1094:
	s_or_b32 exec_lo, exec_lo, s1
	v_or_b32_e32 v1, 0x70, v36
	s_delay_alu instid0(VALU_DEP_1) | instskip(SKIP_1) | instid1(SALU_CYCLE_1)
	v_cmp_gt_u32_e64 s1, 0x78, v1
	s_and_b32 s3, vcc_lo, s1
	s_and_saveexec_b32 s1, s3
	s_cbranch_execz .LBB257_1096
; %bb.1095:
	ds_load_b32 v0, v0 offset:448
	s_wait_dscnt 0x0
	v_add_f32_e32 v3, v3, v0
.LBB257_1096:
	s_or_b32 exec_lo, exec_lo, s1
.LBB257_1097:
	s_delay_alu instid0(SALU_CYCLE_1)
	s_or_b32 exec_lo, exec_lo, s2
	s_barrier_signal -1
	s_barrier_wait -1
	s_and_saveexec_b32 s1, s0
	s_cbranch_execz .LBB257_1114
; %bb.1098:
	s_mul_i32 s1, s33, s7
	s_mul_i32 s0, s7, s6
	;; [unrolled: 1-line block ×3, first 2 shown]
	s_bfe_u32 s7, ttmp6, 0x40014
	s_mul_i32 s2, s1, 0x78
	s_lshr_b32 s6, ttmp7, 16
	s_ashr_i32 s3, s2, 31
	s_add_co_i32 s7, s7, 1
	s_lshl_b64 s[2:3], s[2:3], 1
	s_ashr_i32 s1, s0, 31
	s_wait_kmcnt 0x0
	s_add_nc_u64 s[2:3], s[4:5], s[2:3]
	s_mul_i32 s4, s6, s7
	s_bfe_u32 s5, ttmp6, 0x40008
	s_lshl_b64 s[0:1], s[0:1], 1
	s_add_co_i32 s5, s5, s4
	s_cmp_eq_u32 s30, 0
	s_add_nc_u64 s[0:1], s[2:3], s[0:1]
	s_cselect_b32 s2, s6, s5
	s_mov_b32 s3, 0
	s_mulk_i32 s2, 0xf0
	s_delay_alu instid0(SALU_CYCLE_1)
	s_add_nc_u64 s[2:3], s[0:1], s[2:3]
	s_and_saveexec_b32 s0, vcc_lo
	s_cbranch_execz .LBB257_1100
; %bb.1099:
	;;#ASMSTART
	v_cvt_f16_f32 v0, v10;

	;;#ASMEND
	global_store_b16 v33, v0, s[2:3] scale_offset
.LBB257_1100:
	s_wait_xcnt 0x0
	s_or_b32 exec_lo, exec_lo, s0
	v_or_b32_e32 v0, 16, v33
	s_delay_alu instid0(VALU_DEP_1) | instskip(SKIP_1) | instid1(SALU_CYCLE_1)
	v_cmp_gt_u32_e64 s0, 0x78, v0
	s_and_b32 s1, vcc_lo, s0
	s_and_saveexec_b32 s0, s1
	s_cbranch_execz .LBB257_1102
; %bb.1101:
	;;#ASMSTART
	v_cvt_f16_f32 v0, v11;

	;;#ASMEND
	global_store_b16 v33, v0, s[2:3] offset:32 scale_offset
.LBB257_1102:
	s_wait_xcnt 0x0
	s_or_b32 exec_lo, exec_lo, s0
	v_or_b32_e32 v0, 32, v33
	s_delay_alu instid0(VALU_DEP_1) | instskip(SKIP_1) | instid1(SALU_CYCLE_1)
	v_cmp_gt_u32_e64 s0, 0x78, v0
	s_and_b32 s1, vcc_lo, s0
	s_and_saveexec_b32 s0, s1
	s_cbranch_execz .LBB257_1104
; %bb.1103:
	;;#ASMSTART
	v_cvt_f16_f32 v0, v8;

	;;#ASMEND
	global_store_b16 v33, v0, s[2:3] offset:64 scale_offset
.LBB257_1104:
	;; [unrolled: 15-line block ×6, first 2 shown]
	s_wait_xcnt 0x0
	s_or_b32 exec_lo, exec_lo, s0
	v_or_b32_e32 v0, 0x70, v33
	s_delay_alu instid0(VALU_DEP_1) | instskip(SKIP_1) | instid1(SALU_CYCLE_1)
	v_cmp_gt_u32_e64 s0, 0x78, v0
	s_and_b32 s0, vcc_lo, s0
	s_and_b32 exec_lo, exec_lo, s0
	s_cbranch_execz .LBB257_1114
; %bb.1113:
	;;#ASMSTART
	v_cvt_f16_f32 v0, v3;

	;;#ASMEND
	global_store_b16 v33, v0, s[2:3] offset:224 scale_offset
.LBB257_1114:
	s_sendmsg sendmsg(MSG_DEALLOC_VGPRS)
	s_endpgm
.LBB257_1115:
	v_lshl_add_u32 v4, v36, 2, v1
	ds_load_b32 v4, v4
	s_wait_dscnt 0x0
	v_add_f32_e32 v10, v10, v4
	s_or_b32 exec_lo, exec_lo, s0
	s_and_saveexec_b32 s0, vcc_lo
	s_cbranch_execz .LBB257_1071
.LBB257_1116:
	v_lshl_add_u32 v4, v36, 2, v1
	ds_load_b32 v4, v4 offset:64
	s_wait_dscnt 0x0
	v_add_f32_e32 v11, v11, v4
	s_or_b32 exec_lo, exec_lo, s0
	s_and_saveexec_b32 s0, vcc_lo
	s_cbranch_execz .LBB257_1072
.LBB257_1117:
	v_lshl_add_u32 v4, v36, 2, v1
	ds_load_b32 v4, v4 offset:128
	s_wait_dscnt 0x0
	v_add_f32_e32 v8, v8, v4
	s_or_b32 exec_lo, exec_lo, s0
	s_and_saveexec_b32 s0, vcc_lo
	s_cbranch_execz .LBB257_1073
.LBB257_1118:
	v_lshl_add_u32 v4, v36, 2, v1
	ds_load_b32 v4, v4 offset:192
	s_wait_dscnt 0x0
	v_add_f32_e32 v9, v9, v4
	s_or_b32 exec_lo, exec_lo, s0
	s_and_saveexec_b32 s0, vcc_lo
	s_cbranch_execz .LBB257_1074
.LBB257_1119:
	v_lshl_add_u32 v4, v36, 2, v1
	ds_load_b32 v4, v4 offset:256
	s_wait_dscnt 0x0
	v_add_f32_e32 v6, v6, v4
	s_or_b32 exec_lo, exec_lo, s0
	s_and_saveexec_b32 s0, vcc_lo
	s_cbranch_execz .LBB257_1075
.LBB257_1120:
	v_lshl_add_u32 v4, v36, 2, v1
	ds_load_b32 v4, v4 offset:320
	s_wait_dscnt 0x0
	v_add_f32_e32 v7, v7, v4
	s_or_b32 exec_lo, exec_lo, s0
	s_and_saveexec_b32 s0, vcc_lo
	s_cbranch_execnz .LBB257_1076
	s_branch .LBB257_1077
.LBB257_1121:
	ds_load_b32 v1, v0
	s_wait_dscnt 0x0
	v_add_f32_e32 v10, v10, v1
	s_or_b32 exec_lo, exec_lo, s1
	s_and_saveexec_b32 s1, vcc_lo
	s_cbranch_execz .LBB257_1088
.LBB257_1122:
	ds_load_b32 v1, v0 offset:64
	s_wait_dscnt 0x0
	v_add_f32_e32 v11, v11, v1
	s_or_b32 exec_lo, exec_lo, s1
	s_and_saveexec_b32 s1, vcc_lo
	s_cbranch_execz .LBB257_1089
.LBB257_1123:
	ds_load_b32 v1, v0 offset:128
	s_wait_dscnt 0x0
	v_add_f32_e32 v8, v8, v1
	s_or_b32 exec_lo, exec_lo, s1
	s_and_saveexec_b32 s1, vcc_lo
	s_cbranch_execz .LBB257_1090
.LBB257_1124:
	ds_load_b32 v1, v0 offset:192
	s_wait_dscnt 0x0
	v_add_f32_e32 v9, v9, v1
	s_or_b32 exec_lo, exec_lo, s1
	s_and_saveexec_b32 s1, vcc_lo
	s_cbranch_execz .LBB257_1091
.LBB257_1125:
	ds_load_b32 v1, v0 offset:256
	s_wait_dscnt 0x0
	v_add_f32_e32 v6, v6, v1
	s_or_b32 exec_lo, exec_lo, s1
	s_and_saveexec_b32 s1, vcc_lo
	s_cbranch_execz .LBB257_1092
.LBB257_1126:
	ds_load_b32 v1, v0 offset:320
	s_wait_dscnt 0x0
	v_add_f32_e32 v7, v7, v1
	s_or_b32 exec_lo, exec_lo, s1
	s_and_saveexec_b32 s1, vcc_lo
	s_cbranch_execnz .LBB257_1093
	s_branch .LBB257_1094
	.section	.rodata,"a",@progbits
	.p2align	6, 0x0
	.amdhsa_kernel _ZN4vllm25paged_attention_v1_kernelIthLi120ELi16ELi128ELNS_18Fp8KVCacheDataTypeE1ELb1EEEvPT_PKS2_PKT0_S8_ifPKiSA_iPKfiiiSC_SC_iiiii
		.amdhsa_group_segment_fixed_size 272
		.amdhsa_private_segment_fixed_size 0
		.amdhsa_kernarg_size 384
		.amdhsa_user_sgpr_count 2
		.amdhsa_user_sgpr_dispatch_ptr 0
		.amdhsa_user_sgpr_queue_ptr 0
		.amdhsa_user_sgpr_kernarg_segment_ptr 1
		.amdhsa_user_sgpr_dispatch_id 0
		.amdhsa_user_sgpr_kernarg_preload_length 0
		.amdhsa_user_sgpr_kernarg_preload_offset 0
		.amdhsa_user_sgpr_private_segment_size 0
		.amdhsa_wavefront_size32 1
		.amdhsa_uses_dynamic_stack 0
		.amdhsa_enable_private_segment 0
		.amdhsa_system_sgpr_workgroup_id_x 1
		.amdhsa_system_sgpr_workgroup_id_y 1
		.amdhsa_system_sgpr_workgroup_id_z 1
		.amdhsa_system_sgpr_workgroup_info 0
		.amdhsa_system_vgpr_workitem_id 0
		.amdhsa_next_free_vgpr 128
		.amdhsa_next_free_sgpr 45
		.amdhsa_named_barrier_count 0
		.amdhsa_reserve_vcc 1
		.amdhsa_float_round_mode_32 0
		.amdhsa_float_round_mode_16_64 0
		.amdhsa_float_denorm_mode_32 3
		.amdhsa_float_denorm_mode_16_64 3
		.amdhsa_fp16_overflow 0
		.amdhsa_memory_ordered 1
		.amdhsa_forward_progress 1
		.amdhsa_inst_pref_size 255
		.amdhsa_round_robin_scheduling 0
		.amdhsa_exception_fp_ieee_invalid_op 0
		.amdhsa_exception_fp_denorm_src 0
		.amdhsa_exception_fp_ieee_div_zero 0
		.amdhsa_exception_fp_ieee_overflow 0
		.amdhsa_exception_fp_ieee_underflow 0
		.amdhsa_exception_fp_ieee_inexact 0
		.amdhsa_exception_int_div_zero 0
	.end_amdhsa_kernel
	.section	.text._ZN4vllm25paged_attention_v1_kernelIthLi120ELi16ELi128ELNS_18Fp8KVCacheDataTypeE1ELb1EEEvPT_PKS2_PKT0_S8_ifPKiSA_iPKfiiiSC_SC_iiiii,"axG",@progbits,_ZN4vllm25paged_attention_v1_kernelIthLi120ELi16ELi128ELNS_18Fp8KVCacheDataTypeE1ELb1EEEvPT_PKS2_PKT0_S8_ifPKiSA_iPKfiiiSC_SC_iiiii,comdat
.Lfunc_end257:
	.size	_ZN4vllm25paged_attention_v1_kernelIthLi120ELi16ELi128ELNS_18Fp8KVCacheDataTypeE1ELb1EEEvPT_PKS2_PKT0_S8_ifPKiSA_iPKfiiiSC_SC_iiiii, .Lfunc_end257-_ZN4vllm25paged_attention_v1_kernelIthLi120ELi16ELi128ELNS_18Fp8KVCacheDataTypeE1ELb1EEEvPT_PKS2_PKT0_S8_ifPKiSA_iPKfiiiSC_SC_iiiii
                                        ; -- End function
	.set _ZN4vllm25paged_attention_v1_kernelIthLi120ELi16ELi128ELNS_18Fp8KVCacheDataTypeE1ELb1EEEvPT_PKS2_PKT0_S8_ifPKiSA_iPKfiiiSC_SC_iiiii.num_vgpr, 128
	.set _ZN4vllm25paged_attention_v1_kernelIthLi120ELi16ELi128ELNS_18Fp8KVCacheDataTypeE1ELb1EEEvPT_PKS2_PKT0_S8_ifPKiSA_iPKfiiiSC_SC_iiiii.num_agpr, 0
	.set _ZN4vllm25paged_attention_v1_kernelIthLi120ELi16ELi128ELNS_18Fp8KVCacheDataTypeE1ELb1EEEvPT_PKS2_PKT0_S8_ifPKiSA_iPKfiiiSC_SC_iiiii.numbered_sgpr, 45
	.set _ZN4vllm25paged_attention_v1_kernelIthLi120ELi16ELi128ELNS_18Fp8KVCacheDataTypeE1ELb1EEEvPT_PKS2_PKT0_S8_ifPKiSA_iPKfiiiSC_SC_iiiii.num_named_barrier, 0
	.set _ZN4vllm25paged_attention_v1_kernelIthLi120ELi16ELi128ELNS_18Fp8KVCacheDataTypeE1ELb1EEEvPT_PKS2_PKT0_S8_ifPKiSA_iPKfiiiSC_SC_iiiii.private_seg_size, 0
	.set _ZN4vllm25paged_attention_v1_kernelIthLi120ELi16ELi128ELNS_18Fp8KVCacheDataTypeE1ELb1EEEvPT_PKS2_PKT0_S8_ifPKiSA_iPKfiiiSC_SC_iiiii.uses_vcc, 1
	.set _ZN4vllm25paged_attention_v1_kernelIthLi120ELi16ELi128ELNS_18Fp8KVCacheDataTypeE1ELb1EEEvPT_PKS2_PKT0_S8_ifPKiSA_iPKfiiiSC_SC_iiiii.uses_flat_scratch, 0
	.set _ZN4vllm25paged_attention_v1_kernelIthLi120ELi16ELi128ELNS_18Fp8KVCacheDataTypeE1ELb1EEEvPT_PKS2_PKT0_S8_ifPKiSA_iPKfiiiSC_SC_iiiii.has_dyn_sized_stack, 0
	.set _ZN4vllm25paged_attention_v1_kernelIthLi120ELi16ELi128ELNS_18Fp8KVCacheDataTypeE1ELb1EEEvPT_PKS2_PKT0_S8_ifPKiSA_iPKfiiiSC_SC_iiiii.has_recursion, 0
	.set _ZN4vllm25paged_attention_v1_kernelIthLi120ELi16ELi128ELNS_18Fp8KVCacheDataTypeE1ELb1EEEvPT_PKS2_PKT0_S8_ifPKiSA_iPKfiiiSC_SC_iiiii.has_indirect_call, 0
	.section	.AMDGPU.csdata,"",@progbits
; Kernel info:
; codeLenInByte = 39948
; TotalNumSgprs: 47
; NumVgprs: 128
; ScratchSize: 0
; MemoryBound: 0
; FloatMode: 240
; IeeeMode: 1
; LDSByteSize: 272 bytes/workgroup (compile time only)
; SGPRBlocks: 0
; VGPRBlocks: 7
; NumSGPRsForWavesPerEU: 47
; NumVGPRsForWavesPerEU: 128
; NamedBarCnt: 0
; Occupancy: 8
; WaveLimiterHint : 1
; COMPUTE_PGM_RSRC2:SCRATCH_EN: 0
; COMPUTE_PGM_RSRC2:USER_SGPR: 2
; COMPUTE_PGM_RSRC2:TRAP_HANDLER: 0
; COMPUTE_PGM_RSRC2:TGID_X_EN: 1
; COMPUTE_PGM_RSRC2:TGID_Y_EN: 1
; COMPUTE_PGM_RSRC2:TGID_Z_EN: 1
; COMPUTE_PGM_RSRC2:TIDIG_COMP_CNT: 0
	.section	.text._ZN4vllm25paged_attention_v1_kernelIthLi128ELi16ELi128ELNS_18Fp8KVCacheDataTypeE1ELb1EEEvPT_PKS2_PKT0_S8_ifPKiSA_iPKfiiiSC_SC_iiiii,"axG",@progbits,_ZN4vllm25paged_attention_v1_kernelIthLi128ELi16ELi128ELNS_18Fp8KVCacheDataTypeE1ELb1EEEvPT_PKS2_PKT0_S8_ifPKiSA_iPKfiiiSC_SC_iiiii,comdat
	.protected	_ZN4vllm25paged_attention_v1_kernelIthLi128ELi16ELi128ELNS_18Fp8KVCacheDataTypeE1ELb1EEEvPT_PKS2_PKT0_S8_ifPKiSA_iPKfiiiSC_SC_iiiii ; -- Begin function _ZN4vllm25paged_attention_v1_kernelIthLi128ELi16ELi128ELNS_18Fp8KVCacheDataTypeE1ELb1EEEvPT_PKS2_PKT0_S8_ifPKiSA_iPKfiiiSC_SC_iiiii
	.globl	_ZN4vllm25paged_attention_v1_kernelIthLi128ELi16ELi128ELNS_18Fp8KVCacheDataTypeE1ELb1EEEvPT_PKS2_PKT0_S8_ifPKiSA_iPKfiiiSC_SC_iiiii
	.p2align	8
	.type	_ZN4vllm25paged_attention_v1_kernelIthLi128ELi16ELi128ELNS_18Fp8KVCacheDataTypeE1ELb1EEEvPT_PKS2_PKT0_S8_ifPKiSA_iPKfiiiSC_SC_iiiii,@function
_ZN4vllm25paged_attention_v1_kernelIthLi128ELi16ELi128ELNS_18Fp8KVCacheDataTypeE1ELb1EEEvPT_PKS2_PKT0_S8_ifPKiSA_iPKfiiiSC_SC_iiiii: ; @_ZN4vllm25paged_attention_v1_kernelIthLi128ELi16ELi128ELNS_18Fp8KVCacheDataTypeE1ELb1EEEvPT_PKS2_PKT0_S8_ifPKiSA_iPKfiiiSC_SC_iiiii
; %bb.0:
	s_load_b64 s[6:7], s[0:1], 0x20
	s_bfe_u32 s3, ttmp6, 0x4000c
	s_bfe_u32 s5, ttmp6, 0x40010
	s_and_b32 s4, ttmp7, 0xffff
	s_add_co_i32 s3, s3, 1
	s_add_co_i32 s5, s5, 1
	s_and_b32 s2, ttmp6, 15
	s_bfe_u32 s8, ttmp6, 0x40004
	s_mul_i32 s3, ttmp9, s3
	s_mul_i32 s5, s4, s5
	s_getreg_b32 s30, hwreg(HW_REG_IB_STS2, 6, 4)
	s_add_co_i32 s9, s2, s3
	s_add_co_i32 s8, s8, s5
	s_cmp_eq_u32 s30, 0
	s_clause 0x1
	s_load_b32 s31, s[0:1], 0x80
	s_load_b64 s[2:3], s[0:1], 0x30
	s_cselect_b32 s33, s4, s8
	s_cselect_b32 s4, ttmp9, s9
	s_wait_kmcnt 0x0
	s_abs_i32 s5, s6
	s_delay_alu instid0(SALU_CYCLE_1) | instskip(SKIP_1) | instid1(SALU_CYCLE_2)
	s_cvt_f32_u32 s8, s5
	s_sub_co_i32 s9, 0, s5
	v_rcp_iflag_f32_e32 v1, s8
	s_abs_i32 s10, s31
	v_nop
	s_delay_alu instid0(TRANS32_DEP_1) | instskip(SKIP_1) | instid1(SALU_CYCLE_3)
	v_readfirstlane_b32 s8, v1
	s_mul_f32 s8, s8, 0x4f7ffffe
	s_cvt_u32_f32 s8, s8
	s_delay_alu instid0(SALU_CYCLE_3) | instskip(NEXT) | instid1(SALU_CYCLE_1)
	s_mul_i32 s9, s9, s8
	s_mul_hi_u32 s9, s8, s9
	s_delay_alu instid0(SALU_CYCLE_1) | instskip(SKIP_4) | instid1(SALU_CYCLE_1)
	s_add_co_i32 s8, s8, s9
	s_xor_b32 s9, s31, s6
	s_mul_hi_u32 s8, s10, s8
	s_ashr_i32 s9, s9, 31
	s_mul_i32 s11, s8, s5
	s_sub_co_i32 s10, s10, s11
	s_add_co_i32 s11, s8, 1
	s_sub_co_i32 s12, s10, s5
	s_cmp_ge_u32 s10, s5
	s_cselect_b32 s8, s11, s8
	s_cselect_b32 s10, s12, s10
	s_add_co_i32 s11, s8, 1
	s_cmp_ge_u32 s10, s5
	s_load_b64 s[12:13], s[0:1], 0x40
	s_cselect_b32 s5, s11, s8
	s_delay_alu instid0(SALU_CYCLE_1) | instskip(NEXT) | instid1(SALU_CYCLE_1)
	s_xor_b32 s5, s5, s9
	s_sub_co_i32 s14, s5, s9
	s_mov_b32 s9, 0
	s_abs_i32 s19, s14
	s_mov_b32 s11, s9
	s_cvt_f32_u32 s5, s19
	s_sub_co_i32 s8, 0, s19
	s_mov_b32 s37, s9
	s_delay_alu instid0(SALU_CYCLE_1) | instskip(SKIP_1) | instid1(TRANS32_DEP_1)
	v_rcp_iflag_f32_e32 v1, s5
	v_nop
	v_readfirstlane_b32 s5, v1
	s_mul_f32 s5, s5, 0x4f7ffffe
	s_delay_alu instid0(SALU_CYCLE_3) | instskip(NEXT) | instid1(SALU_CYCLE_3)
	s_cvt_u32_f32 s5, s5
	s_mul_i32 s8, s8, s5
	s_delay_alu instid0(SALU_CYCLE_1)
	s_mul_hi_u32 s10, s5, s8
	s_abs_i32 s8, s4
	s_add_co_i32 s10, s5, s10
	s_wait_kmcnt 0x0
	s_cmp_eq_u64 s[12:13], 0
	s_cbranch_scc1 .LBB258_2
; %bb.1:
	s_ashr_i32 s5, s4, 31
	s_delay_alu instid0(SALU_CYCLE_1) | instskip(NEXT) | instid1(SALU_CYCLE_1)
	s_lshl_b64 s[16:17], s[4:5], 2
	s_add_nc_u64 s[12:13], s[12:13], s[16:17]
	s_load_b32 s37, s[12:13], 0x0
.LBB258_2:
	s_load_b32 s34, s[2:3], s33 offset:0x0 scale_offset
	s_load_b96 s[16:18], s[0:1], 0x48
	v_dual_lshrrev_b32 v29, 1, v0 :: v_dual_bitop2_b32 v19, 1, v0 bitop3:0x40
	s_wait_xcnt 0x0
	v_cmp_gt_u32_e64 s2, 32, v0
	s_ashr_i32 s3, s4, 31
	s_ashr_i32 s5, s14, 31
	s_mul_u64 s[10:11], s[8:9], s[10:11]
	s_lshl_b32 s20, s4, 7
	s_and_saveexec_b32 s9, s2
	s_cbranch_execz .LBB258_4
; %bb.3:
	s_load_b64 s[12:13], s[0:1], 0x8
	s_wait_kmcnt 0x0
	s_mul_i32 s14, s16, s33
	s_ashr_i32 s21, s20, 31
	s_ashr_i32 s15, s14, 31
	v_lshlrev_b32_e32 v1, 3, v29
	s_lshl_b64 s[14:15], s[14:15], 1
	s_delay_alu instid0(VALU_DEP_1) | instskip(SKIP_2) | instid1(SALU_CYCLE_1)
	v_lshl_add_u32 v1, v19, 7, v1
	s_add_nc_u64 s[12:13], s[12:13], s[14:15]
	s_lshl_b64 s[14:15], s[20:21], 1
	s_add_nc_u64 s[12:13], s[12:13], s[14:15]
	global_load_b64 v[2:3], v0, s[12:13] scale_offset
	s_wait_loadcnt 0x0
	ds_store_b64 v1, v[2:3]
.LBB258_4:
	s_or_b32 exec_lo, exec_lo, s9
	s_load_b128 s[12:15], s[0:1], 0x68
	s_mul_i32 s9, s11, s19
	s_xor_b32 s5, s3, s5
	s_sub_co_i32 s3, s8, s9
	s_add_co_i32 s8, s11, 1
	s_sub_co_i32 s9, s3, s19
	s_cmp_ge_u32 s3, s19
	s_wait_dscnt 0x0
	s_cselect_b32 s8, s8, s11
	s_cselect_b32 s3, s9, s3
	s_add_co_i32 s9, s8, 1
	s_cmp_ge_u32 s3, s19
	s_load_b32 s3, s[0:1], 0x78
	s_cselect_b32 s8, s9, s8
	s_wait_kmcnt 0x0
	s_add_co_i32 s10, s34, -1
	s_xor_b32 s8, s8, s5
	s_mov_b32 s11, -1
	s_sub_co_i32 s5, s8, s5
	s_barrier_signal -1
	s_barrier_wait -1
	s_abs_i32 s16, s15
	s_delay_alu instid0(SALU_CYCLE_1) | instskip(NEXT) | instid1(SALU_CYCLE_3)
	s_cvt_f32_u32 s9, s16
	v_rcp_iflag_f32_e32 v1, s9
	v_nop
	s_delay_alu instid0(TRANS32_DEP_1) | instskip(SKIP_1) | instid1(SALU_CYCLE_3)
	v_readfirstlane_b32 s9, v1
	s_mul_f32 s8, s9, 0x4f7ffffe
	s_cvt_u32_f32 s19, s8
	s_sub_co_i32 s8, 0, s16
	s_delay_alu instid0(SALU_CYCLE_2)
	s_mul_i32 s9, s8, s19
	s_abs_i32 s8, s10
	s_mul_hi_u32 s21, s19, s9
	s_mov_b32 s9, 0
	s_add_co_i32 s22, s19, s21
	s_cmp_lt_i32 s3, 0
	s_mov_b32 s23, s9
                                        ; implicit-def: $sgpr21
	s_cbranch_scc0 .LBB258_6
; %bb.5:
	s_mul_i32 s6, s12, s6
	s_mov_b32 s11, s9
	s_add_co_i32 s6, s5, s6
	s_delay_alu instid0(SALU_CYCLE_1) | instskip(NEXT) | instid1(SALU_CYCLE_1)
	s_mul_i32 s6, s6, s3
	s_sub_co_i32 s21, 1, s6
.LBB258_6:
	s_ashr_i32 s6, s10, 31
	s_ashr_i32 s15, s15, 31
	s_and_not1_b32 vcc_lo, exec_lo, s11
	s_mul_u64 s[28:29], s[8:9], s[22:23]
	s_cbranch_vccnz .LBB258_8
; %bb.7:
	s_mul_i32 s9, s31, s12
	s_delay_alu instid0(SALU_CYCLE_1) | instskip(NEXT) | instid1(SALU_CYCLE_1)
	s_add_co_i32 s4, s9, s4
	s_mul_i32 s3, s4, s3
	s_delay_alu instid0(SALU_CYCLE_1)
	s_add_co_i32 s21, s3, 1
.LBB258_8:
	s_clause 0x1
	s_load_b32 s3, s[0:1], 0x38
	s_load_b64 s[24:25], s[0:1], 0x28
	s_xor_b32 s4, s6, s15
	s_mul_i32 s6, s29, s16
	s_add_co_i32 s19, s29, 1
	s_sub_co_i32 s6, s8, s6
	s_clause 0x1
	s_load_b32 s12, s[0:1], 0x88
	s_load_b128 s[8:11], s[0:1], 0x58
	v_dual_lshrrev_b32 v1, 5, v0 :: v_dual_lshrrev_b32 v18, 3, v0
	v_mov_b32_e32 v17, 0xff7fffff
	v_mbcnt_lo_u32_b32 v3, -1, 0
	s_mul_i32 s18, s5, s18
	s_delay_alu instid0(VALU_DEP_3)
	v_lshlrev_b32_e32 v2, 4, v1
	s_wait_kmcnt 0x0
	s_mul_i32 s26, s3, s33
	s_sub_co_i32 s3, s6, s16
	s_ashr_i32 s27, s26, 31
	s_cmp_ge_u32 s6, s16
	s_cselect_b32 s19, s19, s29
	s_cselect_b32 s3, s3, s6
	s_add_co_i32 s6, s19, 1
	s_cmp_ge_u32 s3, s16
	s_cselect_b32 s3, s6, s19
	s_add_co_i32 s6, s34, 15
	s_delay_alu instid0(SALU_CYCLE_1) | instskip(NEXT) | instid1(SALU_CYCLE_1)
	s_ashr_i32 s19, s6, 31
	s_lshr_b32 s19, s19, 28
	s_delay_alu instid0(SALU_CYCLE_1) | instskip(NEXT) | instid1(SALU_CYCLE_1)
	s_add_co_i32 s6, s6, s19
	s_ashr_i32 s35, s6, 4
	s_xor_b32 s6, s3, s4
	v_cmp_gt_i32_e64 s3, s35, v1
	s_sub_co_i32 s36, s6, s4
	s_and_saveexec_b32 s38, s3
	s_cbranch_execz .LBB258_532
; %bb.9:
	s_load_b64 s[42:43], s[0:1], 0x10
	s_sub_co_i32 s39, s36, s13
	s_ashr_i32 s19, s18, 31
	s_cmp_neq_f32 s37, 0
	v_bfe_u32 v15, v0, 1, 4
	v_dual_mov_b32 v5, 0 :: v_dual_lshlrev_b32 v16, 7, v19
	s_cselect_b32 vcc_lo, -1, 0
	s_abs_i32 s40, s14
	s_delay_alu instid0(VALU_DEP_2) | instskip(SKIP_3) | instid1(VALU_DEP_2)
	v_dual_lshrrev_b32 v21, 5, v0 :: v_dual_lshlrev_b32 v4, 4, v15
	s_cvt_f32_u32 s5, s40
	v_subrev_nc_u32_e32 v10, s34, v15
	s_lshl_b64 s[44:45], s[26:27], 2
	v_lshlrev_b32_e32 v6, 4, v21
	v_rcp_iflag_f32_e32 v7, s5
	s_sub_co_i32 s6, 0, s40
	v_cmp_eq_u32_e64 s4, 0, v19
	v_dual_mov_b32 v20, 0xff7fffff :: v_dual_mov_b32 v17, 0xff7fffff
	s_wait_kmcnt 0x0
	s_add_nc_u64 s[42:43], s[42:43], s[18:19]
	s_mov_b32 s29, 0
	v_readfirstlane_b32 s5, v7
	v_add_nc_u64_e32 v[8:9], s[42:43], v[4:5]
	v_lshlrev_b32_e32 v4, 2, v19
	v_lshlrev_b32_e32 v7, 2, v15
	s_add_nc_u64 s[42:43], s[24:25], s[44:45]
	s_mul_f32 s5, s5, 0x4f7ffffe
	s_mov_b32 s19, s17
	s_mov_b32 s41, s29
	v_add_nc_u64_e32 v[8:9], v[8:9], v[4:5]
	v_and_b32_e32 v4, 0x7c, v18
	v_lshl_or_b32 v7, v21, 6, v7
	s_cvt_u32_f32 s5, s5
	v_add_nc_u32_e32 v18, 1, v10
	s_delay_alu instid0(VALU_DEP_3) | instskip(NEXT) | instid1(SALU_CYCLE_1)
	v_add_nc_u64_e32 v[10:11], s[42:43], v[4:5]
	s_mul_i32 s6, s6, s5
	v_add_nc_u32_e32 v19, 0x120, v7
	s_mul_hi_u32 s6, s5, s6
	s_delay_alu instid0(SALU_CYCLE_1)
	s_add_co_i32 s28, s5, s6
	s_branch .LBB258_12
.LBB258_10:                             ;   in Loop: Header=BB258_12 Depth=1
	s_or_b32 exec_lo, exec_lo, s42
.LBB258_11:                             ;   in Loop: Header=BB258_12 Depth=1
	s_delay_alu instid0(SALU_CYCLE_1) | instskip(SKIP_3) | instid1(VALU_DEP_3)
	s_or_b32 exec_lo, exec_lo, s6
	v_dual_add_nc_u32 v21, 4, v21 :: v_dual_add_nc_u32 v6, 64, v6
	v_add_nc_u64_e32 v[10:11], 16, v[10:11]
	v_add_nc_u32_e32 v19, 0x100, v19
	v_cmp_le_i32_e64 s5, s35, v21
	s_or_b32 s41, s5, s41
	s_delay_alu instid0(SALU_CYCLE_1)
	s_and_not1_b32 exec_lo, exec_lo, s41
	s_cbranch_execz .LBB258_531
.LBB258_12:                             ; =>This Inner Loop Header: Depth=1
	s_wait_dscnt 0x0
	v_mov_b32_e32 v7, v5
	s_delay_alu instid0(VALU_DEP_1) | instskip(NEXT) | instid1(VALU_DEP_1)
	v_mul_u64_e32 v[12:13], s[22:23], v[6:7]
	v_mul_lo_u32 v4, v13, s16
	s_delay_alu instid0(VALU_DEP_1) | instskip(NEXT) | instid1(VALU_DEP_1)
	v_sub_nc_u32_e32 v4, v6, v4
	v_subrev_nc_u32_e32 v12, s16, v4
	v_cmp_le_u32_e64 s5, s16, v4
	s_delay_alu instid0(VALU_DEP_1) | instskip(NEXT) | instid1(VALU_DEP_1)
	v_dual_add_nc_u32 v7, 1, v13 :: v_dual_cndmask_b32 v4, v4, v12, s5
	v_cndmask_b32_e64 v7, v13, v7, s5
	s_delay_alu instid0(VALU_DEP_2) | instskip(NEXT) | instid1(VALU_DEP_2)
	v_cmp_le_u32_e64 s5, s16, v4
	v_add_nc_u32_e32 v12, 1, v7
	s_delay_alu instid0(VALU_DEP_1) | instskip(NEXT) | instid1(VALU_DEP_1)
	v_cndmask_b32_e64 v4, v7, v12, s5
	v_xor_b32_e32 v4, s15, v4
	s_delay_alu instid0(VALU_DEP_1) | instskip(NEXT) | instid1(VALU_DEP_1)
	v_subrev_nc_u32_e32 v7, s15, v4
	v_add_nc_u32_e32 v14, s21, v7
	v_cmp_ge_i32_e64 s6, s39, v7
	s_delay_alu instid0(VALU_DEP_2) | instskip(NEXT) | instid1(VALU_DEP_1)
	v_sub_nc_u32_e32 v4, 0, v14
	v_max_i32_e32 v4, v14, v4
	s_delay_alu instid0(VALU_DEP_1) | instskip(NEXT) | instid1(VALU_DEP_1)
	v_mul_u64_e32 v[12:13], s[28:29], v[4:5]
	v_mul_lo_u32 v12, v13, s40
	s_delay_alu instid0(VALU_DEP_1) | instskip(NEXT) | instid1(VALU_DEP_1)
	v_dual_ashrrev_i32 v13, 31, v14 :: v_dual_sub_nc_u32 v4, v4, v12
	v_subrev_nc_u32_e32 v12, s40, v4
	v_cmp_le_u32_e64 s5, s40, v4
	s_delay_alu instid0(VALU_DEP_1) | instskip(NEXT) | instid1(VALU_DEP_1)
	v_cndmask_b32_e64 v4, v4, v12, s5
	v_subrev_nc_u32_e32 v12, s40, v4
	v_cmp_le_u32_e64 s5, s40, v4
	s_delay_alu instid0(VALU_DEP_1) | instskip(NEXT) | instid1(VALU_DEP_1)
	v_cndmask_b32_e64 v4, v4, v12, s5
	v_xor_b32_e32 v4, v4, v13
	s_delay_alu instid0(VALU_DEP_1) | instskip(NEXT) | instid1(VALU_DEP_1)
	v_sub_nc_u32_e32 v4, v4, v13
	v_cmp_ne_u32_e64 s5, 0, v4
	s_and_b32 s5, s5, s6
	s_delay_alu instid0(SALU_CYCLE_1) | instskip(NEXT) | instid1(SALU_CYCLE_1)
	s_and_saveexec_b32 s6, s5
	s_xor_b32 s5, exec_lo, s6
	s_cbranch_execz .LBB258_16
; %bb.13:                               ;   in Loop: Header=BB258_12 Depth=1
	s_and_saveexec_b32 s6, s4
; %bb.14:                               ;   in Loop: Header=BB258_12 Depth=1
	ds_store_b32 v19, v20
; %bb.15:                               ;   in Loop: Header=BB258_12 Depth=1
	s_or_b32 exec_lo, exec_lo, s6
.LBB258_16:                             ;   in Loop: Header=BB258_12 Depth=1
	s_and_not1_saveexec_b32 s6, s5
	s_cbranch_execz .LBB258_11
; %bb.17:                               ;   in Loop: Header=BB258_12 Depth=1
	global_load_b32 v4, v[10:11], off
	v_dual_mov_b32 v22, 0 :: v_dual_mov_b32 v23, 0
	s_mov_b32 s42, exec_lo
	global_load_b32 v7, v22, s[8:9]
	s_wait_loadcnt 0x1
	v_mad_nc_i64_i32 v[12:13], v4, s19, v[8:9]
	global_load_b32 v14, v[12:13], off
	s_wait_loadcnt 0x0
	v_and_b32_e32 v4, 0xff, v14
	s_delay_alu instid0(VALU_DEP_1)
	v_cmpx_ne_u16_e32 0, v4
	s_cbranch_execz .LBB258_25
; %bb.18:                               ;   in Loop: Header=BB258_12 Depth=1
	v_mov_b32_e32 v23, 0x8000
	s_mov_b32 s43, exec_lo
	v_cmpx_ne_u16_e32 0x80, v4
	s_cbranch_execz .LBB258_24
; %bb.19:                               ;   in Loop: Header=BB258_12 Depth=1
	v_and_b32_e32 v24, 0x7f, v14
	v_mov_b32_e32 v23, 0x7c01
	s_mov_b32 s44, exec_lo
	s_delay_alu instid0(VALU_DEP_2)
	v_cmpx_ne_u32_e32 0x7f, v24
	s_cbranch_execz .LBB258_23
; %bb.20:                               ;   in Loop: Header=BB258_12 Depth=1
	v_dual_lshrrev_b32 v23, 3, v24 :: v_dual_bitop2_b32 v4, 7, v14 bitop3:0x40
	s_mov_b32 s45, exec_lo
	v_cmpx_gt_u32_e32 8, v24
; %bb.21:                               ;   in Loop: Header=BB258_12 Depth=1
	s_delay_alu instid0(VALU_DEP_2) | instskip(NEXT) | instid1(VALU_DEP_1)
	v_clz_i32_u32_e32 v4, v4
	v_min_u32_e32 v4, 32, v4
	s_delay_alu instid0(VALU_DEP_1) | instskip(NEXT) | instid1(VALU_DEP_1)
	v_subrev_nc_u32_e32 v23, 28, v4
	v_lshlrev_b64_e32 v[24:25], v23, v[14:15]
	v_sub_nc_u32_e32 v23, 29, v4
	s_delay_alu instid0(VALU_DEP_2)
	v_and_b32_e32 v4, 7, v24
; %bb.22:                               ;   in Loop: Header=BB258_12 Depth=1
	s_or_b32 exec_lo, exec_lo, s45
	s_delay_alu instid0(VALU_DEP_1) | instskip(NEXT) | instid1(VALU_DEP_3)
	v_dual_lshlrev_b32 v24, 8, v14 :: v_dual_lshlrev_b32 v4, 7, v4
	v_lshl_add_u32 v23, v23, 10, 0x2000
	s_delay_alu instid0(VALU_DEP_2) | instskip(NEXT) | instid1(VALU_DEP_2)
	v_and_b32_e32 v24, 0x8000, v24
	v_and_b32_e32 v23, 0xfc00, v23
	s_delay_alu instid0(VALU_DEP_1)
	v_or3_b32 v23, v24, v23, v4
.LBB258_23:                             ;   in Loop: Header=BB258_12 Depth=1
	s_or_b32 exec_lo, exec_lo, s44
.LBB258_24:                             ;   in Loop: Header=BB258_12 Depth=1
	s_delay_alu instid0(SALU_CYCLE_1)
	s_or_b32 exec_lo, exec_lo, s43
.LBB258_25:                             ;   in Loop: Header=BB258_12 Depth=1
	s_delay_alu instid0(SALU_CYCLE_1) | instskip(SKIP_2) | instid1(VALU_DEP_1)
	s_or_b32 exec_lo, exec_lo, s42
	v_lshrrev_b16 v4, 8, v14
	s_mov_b32 s42, exec_lo
	v_cmpx_ne_u16_e32 0, v4
	s_cbranch_execz .LBB258_33
; %bb.26:                               ;   in Loop: Header=BB258_12 Depth=1
	v_bfrev_b32_e32 v22, 1
	s_mov_b32 s43, exec_lo
	v_cmpx_ne_u16_e32 0x80, v4
	s_cbranch_execz .LBB258_32
; %bb.27:                               ;   in Loop: Header=BB258_12 Depth=1
	v_and_b32_e32 v24, 0xffff, v4
	v_mov_b32_e32 v22, 0x7c010000
	s_mov_b32 s44, exec_lo
	s_delay_alu instid0(VALU_DEP_2) | instskip(NEXT) | instid1(VALU_DEP_1)
	v_and_b32_e32 v26, 0x7f, v24
	v_cmpx_ne_u32_e32 0x7f, v26
	s_cbranch_execz .LBB258_31
; %bb.28:                               ;   in Loop: Header=BB258_12 Depth=1
	v_dual_lshrrev_b32 v25, 3, v26 :: v_dual_bitop2_b32 v22, 7, v24 bitop3:0x40
	s_mov_b32 s45, exec_lo
	v_cmpx_gt_u32_e32 8, v26
; %bb.29:                               ;   in Loop: Header=BB258_12 Depth=1
	s_delay_alu instid0(VALU_DEP_2) | instskip(NEXT) | instid1(VALU_DEP_1)
	v_clz_i32_u32_e32 v22, v22
	v_min_u32_e32 v22, 32, v22
	s_delay_alu instid0(VALU_DEP_1) | instskip(NEXT) | instid1(VALU_DEP_1)
	v_subrev_nc_u32_e32 v25, 28, v22
	v_lshlrev_b64_e32 v[26:27], v25, v[4:5]
	v_sub_nc_u32_e32 v25, 29, v22
	s_delay_alu instid0(VALU_DEP_2)
	v_and_b32_e32 v22, 7, v26
; %bb.30:                               ;   in Loop: Header=BB258_12 Depth=1
	s_or_b32 exec_lo, exec_lo, s45
	s_delay_alu instid0(VALU_DEP_1) | instskip(NEXT) | instid1(VALU_DEP_3)
	v_dual_lshlrev_b32 v4, 8, v24 :: v_dual_lshlrev_b32 v22, 23, v22
	v_lshl_add_u32 v24, v25, 10, 0x2000
	s_delay_alu instid0(VALU_DEP_1) | instskip(NEXT) | instid1(VALU_DEP_1)
	v_and_or_b32 v4, 0x8000, v4, v24
	v_lshl_or_b32 v22, v4, 16, v22
.LBB258_31:                             ;   in Loop: Header=BB258_12 Depth=1
	s_or_b32 exec_lo, exec_lo, s44
.LBB258_32:                             ;   in Loop: Header=BB258_12 Depth=1
	s_delay_alu instid0(SALU_CYCLE_1)
	s_or_b32 exec_lo, exec_lo, s43
.LBB258_33:                             ;   in Loop: Header=BB258_12 Depth=1
	s_delay_alu instid0(SALU_CYCLE_1) | instskip(SKIP_3) | instid1(VALU_DEP_2)
	s_or_b32 exec_lo, exec_lo, s42
	v_dual_lshrrev_b32 v4, 16, v14 :: v_dual_mov_b32 v24, 0
	v_mov_b32_e32 v25, 0
	s_mov_b32 s42, exec_lo
	v_and_b32_e32 v26, 0xff, v4
	s_delay_alu instid0(VALU_DEP_1)
	v_cmpx_ne_u16_e32 0, v26
	s_cbranch_execz .LBB258_41
; %bb.34:                               ;   in Loop: Header=BB258_12 Depth=1
	v_mov_b32_e32 v25, 0x8000
	s_mov_b32 s43, exec_lo
	v_cmpx_ne_u16_e32 0x80, v26
	s_cbranch_execz .LBB258_40
; %bb.35:                               ;   in Loop: Header=BB258_12 Depth=1
	v_bfe_u32 v27, v14, 16, 7
	v_mov_b32_e32 v25, 0x7c01
	s_mov_b32 s44, exec_lo
	s_delay_alu instid0(VALU_DEP_2)
	v_cmpx_ne_u32_e32 0x7f, v27
	s_cbranch_execz .LBB258_39
; %bb.36:                               ;   in Loop: Header=BB258_12 Depth=1
	v_dual_lshrrev_b32 v26, 3, v27 :: v_dual_bitop2_b32 v25, 7, v4 bitop3:0x40
	s_mov_b32 s45, exec_lo
	v_cmpx_gt_u32_e32 8, v27
; %bb.37:                               ;   in Loop: Header=BB258_12 Depth=1
	s_delay_alu instid0(VALU_DEP_2) | instskip(NEXT) | instid1(VALU_DEP_1)
	v_clz_i32_u32_e32 v25, v25
	v_min_u32_e32 v25, 32, v25
	s_delay_alu instid0(VALU_DEP_1) | instskip(NEXT) | instid1(VALU_DEP_1)
	v_subrev_nc_u32_e32 v26, 28, v25
	v_lshlrev_b64_e32 v[32:33], v26, v[4:5]
	s_delay_alu instid0(VALU_DEP_1)
	v_dual_sub_nc_u32 v26, 29, v25 :: v_dual_bitop2_b32 v25, 7, v32 bitop3:0x40
; %bb.38:                               ;   in Loop: Header=BB258_12 Depth=1
	s_or_b32 exec_lo, exec_lo, s45
	s_delay_alu instid0(VALU_DEP_1) | instskip(NEXT) | instid1(VALU_DEP_2)
	v_dual_lshlrev_b32 v4, 8, v4 :: v_dual_lshlrev_b32 v25, 7, v25
	v_lshl_add_u32 v26, v26, 10, 0x2000
	s_delay_alu instid0(VALU_DEP_2) | instskip(NEXT) | instid1(VALU_DEP_2)
	v_and_b32_e32 v4, 0x8000, v4
	v_and_b32_e32 v26, 0xfc00, v26
	s_delay_alu instid0(VALU_DEP_1)
	v_or3_b32 v25, v4, v26, v25
.LBB258_39:                             ;   in Loop: Header=BB258_12 Depth=1
	s_or_b32 exec_lo, exec_lo, s44
.LBB258_40:                             ;   in Loop: Header=BB258_12 Depth=1
	s_delay_alu instid0(SALU_CYCLE_1)
	s_or_b32 exec_lo, exec_lo, s43
.LBB258_41:                             ;   in Loop: Header=BB258_12 Depth=1
	s_delay_alu instid0(SALU_CYCLE_1) | instskip(NEXT) | instid1(SALU_CYCLE_1)
	s_or_b32 exec_lo, exec_lo, s42
	s_mov_b32 s42, exec_lo
	v_cmpx_lt_u32_e32 0xffffff, v14
	s_cbranch_execz .LBB258_49
; %bb.42:                               ;   in Loop: Header=BB258_12 Depth=1
	v_lshrrev_b32_e32 v4, 24, v14
	v_bfrev_b32_e32 v24, 1
	s_mov_b32 s43, exec_lo
	s_delay_alu instid0(VALU_DEP_2)
	v_cmpx_ne_u32_e32 0x80, v4
	s_cbranch_execz .LBB258_48
; %bb.43:                               ;   in Loop: Header=BB258_12 Depth=1
	v_and_b32_e32 v26, 0x7f, v4
	v_mov_b32_e32 v24, 0x7c010000
	s_mov_b32 s44, exec_lo
	s_delay_alu instid0(VALU_DEP_2)
	v_cmpx_ne_u32_e32 0x7f, v26
	s_cbranch_execz .LBB258_47
; %bb.44:                               ;   in Loop: Header=BB258_12 Depth=1
	v_dual_lshrrev_b32 v24, 3, v26 :: v_dual_bitop2_b32 v14, 7, v4 bitop3:0x40
	s_mov_b32 s45, exec_lo
	v_cmpx_gt_u32_e32 8, v26
; %bb.45:                               ;   in Loop: Header=BB258_12 Depth=1
	s_delay_alu instid0(VALU_DEP_2) | instskip(NEXT) | instid1(VALU_DEP_1)
	v_clz_i32_u32_e32 v14, v14
	v_min_u32_e32 v14, 32, v14
	s_delay_alu instid0(VALU_DEP_1) | instskip(NEXT) | instid1(VALU_DEP_1)
	v_subrev_nc_u32_e32 v24, 28, v14
	v_lshlrev_b64_e32 v[26:27], v24, v[4:5]
	v_sub_nc_u32_e32 v24, 29, v14
	s_delay_alu instid0(VALU_DEP_2)
	v_and_b32_e32 v14, 7, v26
; %bb.46:                               ;   in Loop: Header=BB258_12 Depth=1
	s_or_b32 exec_lo, exec_lo, s45
	s_delay_alu instid0(VALU_DEP_1) | instskip(NEXT) | instid1(VALU_DEP_3)
	v_dual_lshlrev_b32 v4, 8, v4 :: v_dual_lshlrev_b32 v14, 23, v14
	v_lshl_add_u32 v24, v24, 10, 0x2000
	s_delay_alu instid0(VALU_DEP_1) | instskip(NEXT) | instid1(VALU_DEP_1)
	v_and_or_b32 v4, 0x8000, v4, v24
	v_lshl_or_b32 v24, v4, 16, v14
.LBB258_47:                             ;   in Loop: Header=BB258_12 Depth=1
	s_or_b32 exec_lo, exec_lo, s44
.LBB258_48:                             ;   in Loop: Header=BB258_12 Depth=1
	s_delay_alu instid0(SALU_CYCLE_1)
	s_or_b32 exec_lo, exec_lo, s43
.LBB258_49:                             ;   in Loop: Header=BB258_12 Depth=1
	s_delay_alu instid0(SALU_CYCLE_1)
	s_or_b32 exec_lo, exec_lo, s42
	global_load_b32 v14, v[12:13], off offset:8
	v_dual_mov_b32 v26, 0 :: v_dual_mov_b32 v27, 0
	s_mov_b32 s42, exec_lo
	s_wait_loadcnt 0x0
	v_and_b32_e32 v4, 0xff, v14
	s_delay_alu instid0(VALU_DEP_1)
	v_cmpx_ne_u16_e32 0, v4
	s_cbranch_execz .LBB258_57
; %bb.50:                               ;   in Loop: Header=BB258_12 Depth=1
	v_mov_b32_e32 v27, 0x8000
	s_mov_b32 s43, exec_lo
	v_cmpx_ne_u16_e32 0x80, v4
	s_cbranch_execz .LBB258_56
; %bb.51:                               ;   in Loop: Header=BB258_12 Depth=1
	v_and_b32_e32 v28, 0x7f, v14
	v_mov_b32_e32 v27, 0x7c01
	s_mov_b32 s44, exec_lo
	s_delay_alu instid0(VALU_DEP_2)
	v_cmpx_ne_u32_e32 0x7f, v28
	s_cbranch_execz .LBB258_55
; %bb.52:                               ;   in Loop: Header=BB258_12 Depth=1
	v_dual_lshrrev_b32 v27, 3, v28 :: v_dual_bitop2_b32 v4, 7, v14 bitop3:0x40
	s_mov_b32 s45, exec_lo
	v_cmpx_gt_u32_e32 8, v28
; %bb.53:                               ;   in Loop: Header=BB258_12 Depth=1
	s_delay_alu instid0(VALU_DEP_2) | instskip(NEXT) | instid1(VALU_DEP_1)
	v_clz_i32_u32_e32 v4, v4
	v_min_u32_e32 v4, 32, v4
	s_delay_alu instid0(VALU_DEP_1) | instskip(NEXT) | instid1(VALU_DEP_1)
	v_subrev_nc_u32_e32 v27, 28, v4
	v_lshlrev_b64_e32 v[32:33], v27, v[14:15]
	v_sub_nc_u32_e32 v27, 29, v4
	s_delay_alu instid0(VALU_DEP_2)
	v_and_b32_e32 v4, 7, v32
; %bb.54:                               ;   in Loop: Header=BB258_12 Depth=1
	s_or_b32 exec_lo, exec_lo, s45
	s_delay_alu instid0(VALU_DEP_1) | instskip(NEXT) | instid1(VALU_DEP_3)
	v_dual_lshlrev_b32 v28, 8, v14 :: v_dual_lshlrev_b32 v4, 7, v4
	v_lshl_add_u32 v27, v27, 10, 0x2000
	s_delay_alu instid0(VALU_DEP_2) | instskip(NEXT) | instid1(VALU_DEP_2)
	v_and_b32_e32 v28, 0x8000, v28
	v_and_b32_e32 v27, 0xfc00, v27
	s_delay_alu instid0(VALU_DEP_1)
	v_or3_b32 v27, v28, v27, v4
.LBB258_55:                             ;   in Loop: Header=BB258_12 Depth=1
	s_or_b32 exec_lo, exec_lo, s44
.LBB258_56:                             ;   in Loop: Header=BB258_12 Depth=1
	s_delay_alu instid0(SALU_CYCLE_1)
	s_or_b32 exec_lo, exec_lo, s43
.LBB258_57:                             ;   in Loop: Header=BB258_12 Depth=1
	s_delay_alu instid0(SALU_CYCLE_1) | instskip(SKIP_2) | instid1(VALU_DEP_1)
	s_or_b32 exec_lo, exec_lo, s42
	v_lshrrev_b16 v4, 8, v14
	s_mov_b32 s42, exec_lo
	v_cmpx_ne_u16_e32 0, v4
	s_cbranch_execz .LBB258_65
; %bb.58:                               ;   in Loop: Header=BB258_12 Depth=1
	v_bfrev_b32_e32 v26, 1
	s_mov_b32 s43, exec_lo
	v_cmpx_ne_u16_e32 0x80, v4
	s_cbranch_execz .LBB258_64
; %bb.59:                               ;   in Loop: Header=BB258_12 Depth=1
	v_and_b32_e32 v28, 0xffff, v4
	v_mov_b32_e32 v26, 0x7c010000
	s_mov_b32 s44, exec_lo
	s_delay_alu instid0(VALU_DEP_2) | instskip(NEXT) | instid1(VALU_DEP_1)
	v_and_b32_e32 v33, 0x7f, v28
	v_cmpx_ne_u32_e32 0x7f, v33
	s_cbranch_execz .LBB258_63
; %bb.60:                               ;   in Loop: Header=BB258_12 Depth=1
	v_dual_lshrrev_b32 v32, 3, v33 :: v_dual_bitop2_b32 v26, 7, v28 bitop3:0x40
	s_mov_b32 s45, exec_lo
	v_cmpx_gt_u32_e32 8, v33
; %bb.61:                               ;   in Loop: Header=BB258_12 Depth=1
	s_delay_alu instid0(VALU_DEP_2) | instskip(NEXT) | instid1(VALU_DEP_1)
	v_clz_i32_u32_e32 v26, v26
	v_min_u32_e32 v26, 32, v26
	s_delay_alu instid0(VALU_DEP_1) | instskip(NEXT) | instid1(VALU_DEP_1)
	v_subrev_nc_u32_e32 v32, 28, v26
	v_lshlrev_b64_e32 v[34:35], v32, v[4:5]
	v_sub_nc_u32_e32 v32, 29, v26
	s_delay_alu instid0(VALU_DEP_2)
	v_and_b32_e32 v26, 7, v34
; %bb.62:                               ;   in Loop: Header=BB258_12 Depth=1
	s_or_b32 exec_lo, exec_lo, s45
	s_delay_alu instid0(VALU_DEP_1) | instskip(NEXT) | instid1(VALU_DEP_3)
	v_dual_lshlrev_b32 v4, 8, v28 :: v_dual_lshlrev_b32 v26, 23, v26
	v_lshl_add_u32 v28, v32, 10, 0x2000
	s_delay_alu instid0(VALU_DEP_1) | instskip(NEXT) | instid1(VALU_DEP_1)
	v_and_or_b32 v4, 0x8000, v4, v28
	v_lshl_or_b32 v26, v4, 16, v26
.LBB258_63:                             ;   in Loop: Header=BB258_12 Depth=1
	s_or_b32 exec_lo, exec_lo, s44
.LBB258_64:                             ;   in Loop: Header=BB258_12 Depth=1
	s_delay_alu instid0(SALU_CYCLE_1)
	s_or_b32 exec_lo, exec_lo, s43
.LBB258_65:                             ;   in Loop: Header=BB258_12 Depth=1
	s_delay_alu instid0(SALU_CYCLE_1) | instskip(SKIP_3) | instid1(VALU_DEP_2)
	s_or_b32 exec_lo, exec_lo, s42
	v_dual_lshrrev_b32 v4, 16, v14 :: v_dual_mov_b32 v28, 0
	v_mov_b32_e32 v32, 0
	s_mov_b32 s42, exec_lo
	v_and_b32_e32 v33, 0xff, v4
	s_delay_alu instid0(VALU_DEP_1)
	v_cmpx_ne_u16_e32 0, v33
	s_cbranch_execz .LBB258_73
; %bb.66:                               ;   in Loop: Header=BB258_12 Depth=1
	v_mov_b32_e32 v32, 0x8000
	s_mov_b32 s43, exec_lo
	v_cmpx_ne_u16_e32 0x80, v33
	s_cbranch_execz .LBB258_72
; %bb.67:                               ;   in Loop: Header=BB258_12 Depth=1
	v_bfe_u32 v34, v14, 16, 7
	v_mov_b32_e32 v32, 0x7c01
	s_mov_b32 s44, exec_lo
	s_delay_alu instid0(VALU_DEP_2)
	v_cmpx_ne_u32_e32 0x7f, v34
	s_cbranch_execz .LBB258_71
; %bb.68:                               ;   in Loop: Header=BB258_12 Depth=1
	v_dual_lshrrev_b32 v33, 3, v34 :: v_dual_bitop2_b32 v32, 7, v4 bitop3:0x40
	s_mov_b32 s45, exec_lo
	v_cmpx_gt_u32_e32 8, v34
; %bb.69:                               ;   in Loop: Header=BB258_12 Depth=1
	s_delay_alu instid0(VALU_DEP_2) | instskip(NEXT) | instid1(VALU_DEP_1)
	v_clz_i32_u32_e32 v32, v32
	v_min_u32_e32 v34, 32, v32
	s_delay_alu instid0(VALU_DEP_1) | instskip(NEXT) | instid1(VALU_DEP_1)
	v_subrev_nc_u32_e32 v32, 28, v34
	v_lshlrev_b64_e32 v[32:33], v32, v[4:5]
	s_delay_alu instid0(VALU_DEP_1)
	v_dual_sub_nc_u32 v33, 29, v34 :: v_dual_bitop2_b32 v32, 7, v32 bitop3:0x40
; %bb.70:                               ;   in Loop: Header=BB258_12 Depth=1
	s_or_b32 exec_lo, exec_lo, s45
	v_lshlrev_b32_e32 v4, 8, v4
	s_delay_alu instid0(VALU_DEP_2) | instskip(NEXT) | instid1(VALU_DEP_3)
	v_lshl_add_u32 v33, v33, 10, 0x2000
	v_lshlrev_b32_e32 v32, 7, v32
	s_delay_alu instid0(VALU_DEP_3) | instskip(NEXT) | instid1(VALU_DEP_3)
	v_and_b32_e32 v4, 0x8000, v4
	v_and_b32_e32 v33, 0xfc00, v33
	s_delay_alu instid0(VALU_DEP_1)
	v_or3_b32 v32, v4, v33, v32
.LBB258_71:                             ;   in Loop: Header=BB258_12 Depth=1
	s_or_b32 exec_lo, exec_lo, s44
.LBB258_72:                             ;   in Loop: Header=BB258_12 Depth=1
	s_delay_alu instid0(SALU_CYCLE_1)
	s_or_b32 exec_lo, exec_lo, s43
.LBB258_73:                             ;   in Loop: Header=BB258_12 Depth=1
	s_delay_alu instid0(SALU_CYCLE_1) | instskip(NEXT) | instid1(SALU_CYCLE_1)
	s_or_b32 exec_lo, exec_lo, s42
	s_mov_b32 s42, exec_lo
	v_cmpx_lt_u32_e32 0xffffff, v14
	s_cbranch_execz .LBB258_81
; %bb.74:                               ;   in Loop: Header=BB258_12 Depth=1
	v_lshrrev_b32_e32 v4, 24, v14
	v_bfrev_b32_e32 v28, 1
	s_mov_b32 s43, exec_lo
	s_delay_alu instid0(VALU_DEP_2)
	v_cmpx_ne_u32_e32 0x80, v4
	s_cbranch_execz .LBB258_80
; %bb.75:                               ;   in Loop: Header=BB258_12 Depth=1
	v_and_b32_e32 v33, 0x7f, v4
	v_mov_b32_e32 v28, 0x7c010000
	s_mov_b32 s44, exec_lo
	s_delay_alu instid0(VALU_DEP_2)
	v_cmpx_ne_u32_e32 0x7f, v33
	s_cbranch_execz .LBB258_79
; %bb.76:                               ;   in Loop: Header=BB258_12 Depth=1
	v_dual_lshrrev_b32 v28, 3, v33 :: v_dual_bitop2_b32 v14, 7, v4 bitop3:0x40
	s_mov_b32 s45, exec_lo
	v_cmpx_gt_u32_e32 8, v33
; %bb.77:                               ;   in Loop: Header=BB258_12 Depth=1
	s_delay_alu instid0(VALU_DEP_2) | instskip(NEXT) | instid1(VALU_DEP_1)
	v_clz_i32_u32_e32 v14, v14
	v_min_u32_e32 v14, 32, v14
	s_delay_alu instid0(VALU_DEP_1) | instskip(NEXT) | instid1(VALU_DEP_1)
	v_subrev_nc_u32_e32 v28, 28, v14
	v_lshlrev_b64_e32 v[34:35], v28, v[4:5]
	v_sub_nc_u32_e32 v28, 29, v14
	s_delay_alu instid0(VALU_DEP_2)
	v_and_b32_e32 v14, 7, v34
; %bb.78:                               ;   in Loop: Header=BB258_12 Depth=1
	s_or_b32 exec_lo, exec_lo, s45
	s_delay_alu instid0(VALU_DEP_1) | instskip(NEXT) | instid1(VALU_DEP_3)
	v_dual_lshlrev_b32 v4, 8, v4 :: v_dual_lshlrev_b32 v14, 23, v14
	v_lshl_add_u32 v28, v28, 10, 0x2000
	s_delay_alu instid0(VALU_DEP_1) | instskip(NEXT) | instid1(VALU_DEP_1)
	v_and_or_b32 v4, 0x8000, v4, v28
	v_lshl_or_b32 v28, v4, 16, v14
.LBB258_79:                             ;   in Loop: Header=BB258_12 Depth=1
	s_or_b32 exec_lo, exec_lo, s44
.LBB258_80:                             ;   in Loop: Header=BB258_12 Depth=1
	s_delay_alu instid0(SALU_CYCLE_1)
	s_or_b32 exec_lo, exec_lo, s43
.LBB258_81:                             ;   in Loop: Header=BB258_12 Depth=1
	s_delay_alu instid0(SALU_CYCLE_1)
	s_or_b32 exec_lo, exec_lo, s42
	global_load_b32 v14, v[12:13], off offset:256
	v_dual_mov_b32 v33, 0 :: v_dual_mov_b32 v34, 0
	s_mov_b32 s42, exec_lo
	s_wait_loadcnt 0x0
	v_and_b32_e32 v4, 0xff, v14
	s_delay_alu instid0(VALU_DEP_1)
	v_cmpx_ne_u16_e32 0, v4
	s_cbranch_execz .LBB258_89
; %bb.82:                               ;   in Loop: Header=BB258_12 Depth=1
	v_mov_b32_e32 v34, 0x8000
	s_mov_b32 s43, exec_lo
	v_cmpx_ne_u16_e32 0x80, v4
	s_cbranch_execz .LBB258_88
; %bb.83:                               ;   in Loop: Header=BB258_12 Depth=1
	v_and_b32_e32 v35, 0x7f, v14
	v_mov_b32_e32 v34, 0x7c01
	s_mov_b32 s44, exec_lo
	s_delay_alu instid0(VALU_DEP_2)
	v_cmpx_ne_u32_e32 0x7f, v35
	s_cbranch_execz .LBB258_87
; %bb.84:                               ;   in Loop: Header=BB258_12 Depth=1
	v_dual_lshrrev_b32 v34, 3, v35 :: v_dual_bitop2_b32 v4, 7, v14 bitop3:0x40
	s_mov_b32 s45, exec_lo
	v_cmpx_gt_u32_e32 8, v35
; %bb.85:                               ;   in Loop: Header=BB258_12 Depth=1
	s_delay_alu instid0(VALU_DEP_2) | instskip(NEXT) | instid1(VALU_DEP_1)
	v_clz_i32_u32_e32 v4, v4
	v_min_u32_e32 v4, 32, v4
	s_delay_alu instid0(VALU_DEP_1) | instskip(NEXT) | instid1(VALU_DEP_1)
	v_subrev_nc_u32_e32 v34, 28, v4
	v_lshlrev_b64_e32 v[36:37], v34, v[14:15]
	v_sub_nc_u32_e32 v34, 29, v4
	s_delay_alu instid0(VALU_DEP_2)
	v_and_b32_e32 v4, 7, v36
; %bb.86:                               ;   in Loop: Header=BB258_12 Depth=1
	s_or_b32 exec_lo, exec_lo, s45
	s_delay_alu instid0(VALU_DEP_1) | instskip(NEXT) | instid1(VALU_DEP_3)
	v_dual_lshlrev_b32 v35, 8, v14 :: v_dual_lshlrev_b32 v4, 7, v4
	v_lshl_add_u32 v34, v34, 10, 0x2000
	s_delay_alu instid0(VALU_DEP_2) | instskip(NEXT) | instid1(VALU_DEP_2)
	v_and_b32_e32 v35, 0x8000, v35
	v_and_b32_e32 v34, 0xfc00, v34
	s_delay_alu instid0(VALU_DEP_1)
	v_or3_b32 v34, v35, v34, v4
.LBB258_87:                             ;   in Loop: Header=BB258_12 Depth=1
	s_or_b32 exec_lo, exec_lo, s44
.LBB258_88:                             ;   in Loop: Header=BB258_12 Depth=1
	s_delay_alu instid0(SALU_CYCLE_1)
	s_or_b32 exec_lo, exec_lo, s43
.LBB258_89:                             ;   in Loop: Header=BB258_12 Depth=1
	s_delay_alu instid0(SALU_CYCLE_1) | instskip(SKIP_2) | instid1(VALU_DEP_1)
	s_or_b32 exec_lo, exec_lo, s42
	v_lshrrev_b16 v4, 8, v14
	s_mov_b32 s42, exec_lo
	v_cmpx_ne_u16_e32 0, v4
	s_cbranch_execz .LBB258_97
; %bb.90:                               ;   in Loop: Header=BB258_12 Depth=1
	v_bfrev_b32_e32 v33, 1
	s_mov_b32 s43, exec_lo
	v_cmpx_ne_u16_e32 0x80, v4
	s_cbranch_execz .LBB258_96
; %bb.91:                               ;   in Loop: Header=BB258_12 Depth=1
	v_and_b32_e32 v35, 0xffff, v4
	v_mov_b32_e32 v33, 0x7c010000
	s_mov_b32 s44, exec_lo
	s_delay_alu instid0(VALU_DEP_2) | instskip(NEXT) | instid1(VALU_DEP_1)
	v_and_b32_e32 v37, 0x7f, v35
	v_cmpx_ne_u32_e32 0x7f, v37
	s_cbranch_execz .LBB258_95
; %bb.92:                               ;   in Loop: Header=BB258_12 Depth=1
	v_dual_lshrrev_b32 v36, 3, v37 :: v_dual_bitop2_b32 v33, 7, v35 bitop3:0x40
	s_mov_b32 s45, exec_lo
	v_cmpx_gt_u32_e32 8, v37
; %bb.93:                               ;   in Loop: Header=BB258_12 Depth=1
	s_delay_alu instid0(VALU_DEP_2) | instskip(NEXT) | instid1(VALU_DEP_1)
	v_clz_i32_u32_e32 v33, v33
	v_min_u32_e32 v33, 32, v33
	s_delay_alu instid0(VALU_DEP_1) | instskip(NEXT) | instid1(VALU_DEP_1)
	v_subrev_nc_u32_e32 v36, 28, v33
	v_lshlrev_b64_e32 v[38:39], v36, v[4:5]
	s_delay_alu instid0(VALU_DEP_1)
	v_dual_sub_nc_u32 v36, 29, v33 :: v_dual_bitop2_b32 v33, 7, v38 bitop3:0x40
; %bb.94:                               ;   in Loop: Header=BB258_12 Depth=1
	s_or_b32 exec_lo, exec_lo, s45
	s_delay_alu instid0(VALU_DEP_1) | instskip(NEXT) | instid1(VALU_DEP_2)
	v_dual_lshlrev_b32 v4, 8, v35 :: v_dual_lshlrev_b32 v33, 23, v33
	v_lshl_add_u32 v35, v36, 10, 0x2000
	s_delay_alu instid0(VALU_DEP_1) | instskip(NEXT) | instid1(VALU_DEP_1)
	v_and_or_b32 v4, 0x8000, v4, v35
	v_lshl_or_b32 v33, v4, 16, v33
.LBB258_95:                             ;   in Loop: Header=BB258_12 Depth=1
	s_or_b32 exec_lo, exec_lo, s44
.LBB258_96:                             ;   in Loop: Header=BB258_12 Depth=1
	s_delay_alu instid0(SALU_CYCLE_1)
	s_or_b32 exec_lo, exec_lo, s43
.LBB258_97:                             ;   in Loop: Header=BB258_12 Depth=1
	s_delay_alu instid0(SALU_CYCLE_1) | instskip(SKIP_3) | instid1(VALU_DEP_2)
	s_or_b32 exec_lo, exec_lo, s42
	v_dual_mov_b32 v35, 0 :: v_dual_lshrrev_b32 v4, 16, v14
	v_mov_b32_e32 v36, 0
	s_mov_b32 s42, exec_lo
	v_and_b32_e32 v37, 0xff, v4
	s_delay_alu instid0(VALU_DEP_1)
	v_cmpx_ne_u16_e32 0, v37
	s_cbranch_execz .LBB258_105
; %bb.98:                               ;   in Loop: Header=BB258_12 Depth=1
	v_mov_b32_e32 v36, 0x8000
	s_mov_b32 s43, exec_lo
	v_cmpx_ne_u16_e32 0x80, v37
	s_cbranch_execz .LBB258_104
; %bb.99:                               ;   in Loop: Header=BB258_12 Depth=1
	v_bfe_u32 v38, v14, 16, 7
	v_mov_b32_e32 v36, 0x7c01
	s_mov_b32 s44, exec_lo
	s_delay_alu instid0(VALU_DEP_2)
	v_cmpx_ne_u32_e32 0x7f, v38
	s_cbranch_execz .LBB258_103
; %bb.100:                              ;   in Loop: Header=BB258_12 Depth=1
	v_dual_lshrrev_b32 v37, 3, v38 :: v_dual_bitop2_b32 v36, 7, v4 bitop3:0x40
	s_mov_b32 s45, exec_lo
	v_cmpx_gt_u32_e32 8, v38
; %bb.101:                              ;   in Loop: Header=BB258_12 Depth=1
	s_delay_alu instid0(VALU_DEP_2) | instskip(NEXT) | instid1(VALU_DEP_1)
	v_clz_i32_u32_e32 v36, v36
	v_min_u32_e32 v38, 32, v36
	s_delay_alu instid0(VALU_DEP_1) | instskip(NEXT) | instid1(VALU_DEP_1)
	v_subrev_nc_u32_e32 v36, 28, v38
	v_lshlrev_b64_e32 v[36:37], v36, v[4:5]
	s_delay_alu instid0(VALU_DEP_1)
	v_dual_sub_nc_u32 v37, 29, v38 :: v_dual_bitop2_b32 v36, 7, v36 bitop3:0x40
; %bb.102:                              ;   in Loop: Header=BB258_12 Depth=1
	s_or_b32 exec_lo, exec_lo, s45
	v_lshlrev_b32_e32 v4, 8, v4
	s_delay_alu instid0(VALU_DEP_2) | instskip(NEXT) | instid1(VALU_DEP_3)
	v_lshl_add_u32 v37, v37, 10, 0x2000
	v_lshlrev_b32_e32 v36, 7, v36
	s_delay_alu instid0(VALU_DEP_3) | instskip(NEXT) | instid1(VALU_DEP_3)
	v_and_b32_e32 v4, 0x8000, v4
	v_and_b32_e32 v37, 0xfc00, v37
	s_delay_alu instid0(VALU_DEP_1)
	v_or3_b32 v36, v4, v37, v36
.LBB258_103:                            ;   in Loop: Header=BB258_12 Depth=1
	s_or_b32 exec_lo, exec_lo, s44
.LBB258_104:                            ;   in Loop: Header=BB258_12 Depth=1
	s_delay_alu instid0(SALU_CYCLE_1)
	s_or_b32 exec_lo, exec_lo, s43
.LBB258_105:                            ;   in Loop: Header=BB258_12 Depth=1
	s_delay_alu instid0(SALU_CYCLE_1) | instskip(NEXT) | instid1(SALU_CYCLE_1)
	s_or_b32 exec_lo, exec_lo, s42
	s_mov_b32 s42, exec_lo
	v_cmpx_lt_u32_e32 0xffffff, v14
	s_cbranch_execz .LBB258_113
; %bb.106:                              ;   in Loop: Header=BB258_12 Depth=1
	v_lshrrev_b32_e32 v4, 24, v14
	v_bfrev_b32_e32 v35, 1
	s_mov_b32 s43, exec_lo
	s_delay_alu instid0(VALU_DEP_2)
	v_cmpx_ne_u32_e32 0x80, v4
	s_cbranch_execz .LBB258_112
; %bb.107:                              ;   in Loop: Header=BB258_12 Depth=1
	v_and_b32_e32 v37, 0x7f, v4
	v_mov_b32_e32 v35, 0x7c010000
	s_mov_b32 s44, exec_lo
	s_delay_alu instid0(VALU_DEP_2)
	v_cmpx_ne_u32_e32 0x7f, v37
	s_cbranch_execz .LBB258_111
; %bb.108:                              ;   in Loop: Header=BB258_12 Depth=1
	v_dual_lshrrev_b32 v35, 3, v37 :: v_dual_bitop2_b32 v14, 7, v4 bitop3:0x40
	s_mov_b32 s45, exec_lo
	v_cmpx_gt_u32_e32 8, v37
; %bb.109:                              ;   in Loop: Header=BB258_12 Depth=1
	s_delay_alu instid0(VALU_DEP_2) | instskip(NEXT) | instid1(VALU_DEP_1)
	v_clz_i32_u32_e32 v14, v14
	v_min_u32_e32 v14, 32, v14
	s_delay_alu instid0(VALU_DEP_1) | instskip(NEXT) | instid1(VALU_DEP_1)
	v_subrev_nc_u32_e32 v35, 28, v14
	v_lshlrev_b64_e32 v[38:39], v35, v[4:5]
	v_sub_nc_u32_e32 v35, 29, v14
	s_delay_alu instid0(VALU_DEP_2)
	v_and_b32_e32 v14, 7, v38
; %bb.110:                              ;   in Loop: Header=BB258_12 Depth=1
	s_or_b32 exec_lo, exec_lo, s45
	s_delay_alu instid0(VALU_DEP_1) | instskip(NEXT) | instid1(VALU_DEP_3)
	v_dual_lshlrev_b32 v4, 8, v4 :: v_dual_lshlrev_b32 v14, 23, v14
	v_lshl_add_u32 v35, v35, 10, 0x2000
	s_delay_alu instid0(VALU_DEP_1) | instskip(NEXT) | instid1(VALU_DEP_1)
	v_and_or_b32 v4, 0x8000, v4, v35
	v_lshl_or_b32 v35, v4, 16, v14
.LBB258_111:                            ;   in Loop: Header=BB258_12 Depth=1
	s_or_b32 exec_lo, exec_lo, s44
.LBB258_112:                            ;   in Loop: Header=BB258_12 Depth=1
	s_delay_alu instid0(SALU_CYCLE_1)
	s_or_b32 exec_lo, exec_lo, s43
.LBB258_113:                            ;   in Loop: Header=BB258_12 Depth=1
	s_delay_alu instid0(SALU_CYCLE_1)
	s_or_b32 exec_lo, exec_lo, s42
	global_load_b32 v14, v[12:13], off offset:264
	v_dual_mov_b32 v37, 0 :: v_dual_mov_b32 v38, 0
	s_mov_b32 s42, exec_lo
	s_wait_loadcnt 0x0
	v_and_b32_e32 v4, 0xff, v14
	s_delay_alu instid0(VALU_DEP_1)
	v_cmpx_ne_u16_e32 0, v4
	s_cbranch_execz .LBB258_121
; %bb.114:                              ;   in Loop: Header=BB258_12 Depth=1
	v_mov_b32_e32 v38, 0x8000
	s_mov_b32 s43, exec_lo
	v_cmpx_ne_u16_e32 0x80, v4
	s_cbranch_execz .LBB258_120
; %bb.115:                              ;   in Loop: Header=BB258_12 Depth=1
	v_and_b32_e32 v39, 0x7f, v14
	v_mov_b32_e32 v38, 0x7c01
	s_mov_b32 s44, exec_lo
	s_delay_alu instid0(VALU_DEP_2)
	v_cmpx_ne_u32_e32 0x7f, v39
	s_cbranch_execz .LBB258_119
; %bb.116:                              ;   in Loop: Header=BB258_12 Depth=1
	v_dual_lshrrev_b32 v38, 3, v39 :: v_dual_bitop2_b32 v4, 7, v14 bitop3:0x40
	s_mov_b32 s45, exec_lo
	v_cmpx_gt_u32_e32 8, v39
; %bb.117:                              ;   in Loop: Header=BB258_12 Depth=1
	s_delay_alu instid0(VALU_DEP_2) | instskip(NEXT) | instid1(VALU_DEP_1)
	v_clz_i32_u32_e32 v4, v4
	v_min_u32_e32 v4, 32, v4
	s_delay_alu instid0(VALU_DEP_1) | instskip(NEXT) | instid1(VALU_DEP_1)
	v_subrev_nc_u32_e32 v38, 28, v4
	v_lshlrev_b64_e32 v[40:41], v38, v[14:15]
	v_sub_nc_u32_e32 v38, 29, v4
	s_delay_alu instid0(VALU_DEP_2)
	v_and_b32_e32 v4, 7, v40
; %bb.118:                              ;   in Loop: Header=BB258_12 Depth=1
	s_or_b32 exec_lo, exec_lo, s45
	s_delay_alu instid0(VALU_DEP_1) | instskip(NEXT) | instid1(VALU_DEP_3)
	v_dual_lshlrev_b32 v39, 8, v14 :: v_dual_lshlrev_b32 v4, 7, v4
	v_lshl_add_u32 v38, v38, 10, 0x2000
	s_delay_alu instid0(VALU_DEP_2) | instskip(NEXT) | instid1(VALU_DEP_2)
	v_and_b32_e32 v39, 0x8000, v39
	v_and_b32_e32 v38, 0xfc00, v38
	s_delay_alu instid0(VALU_DEP_1)
	v_or3_b32 v38, v39, v38, v4
.LBB258_119:                            ;   in Loop: Header=BB258_12 Depth=1
	s_or_b32 exec_lo, exec_lo, s44
.LBB258_120:                            ;   in Loop: Header=BB258_12 Depth=1
	s_delay_alu instid0(SALU_CYCLE_1)
	s_or_b32 exec_lo, exec_lo, s43
.LBB258_121:                            ;   in Loop: Header=BB258_12 Depth=1
	s_delay_alu instid0(SALU_CYCLE_1) | instskip(SKIP_2) | instid1(VALU_DEP_1)
	s_or_b32 exec_lo, exec_lo, s42
	v_lshrrev_b16 v4, 8, v14
	s_mov_b32 s42, exec_lo
	v_cmpx_ne_u16_e32 0, v4
	s_cbranch_execz .LBB258_129
; %bb.122:                              ;   in Loop: Header=BB258_12 Depth=1
	v_bfrev_b32_e32 v37, 1
	s_mov_b32 s43, exec_lo
	v_cmpx_ne_u16_e32 0x80, v4
	s_cbranch_execz .LBB258_128
; %bb.123:                              ;   in Loop: Header=BB258_12 Depth=1
	v_and_b32_e32 v39, 0xffff, v4
	v_mov_b32_e32 v37, 0x7c010000
	s_mov_b32 s44, exec_lo
	s_delay_alu instid0(VALU_DEP_2) | instskip(NEXT) | instid1(VALU_DEP_1)
	v_and_b32_e32 v41, 0x7f, v39
	v_cmpx_ne_u32_e32 0x7f, v41
	s_cbranch_execz .LBB258_127
; %bb.124:                              ;   in Loop: Header=BB258_12 Depth=1
	v_dual_lshrrev_b32 v40, 3, v41 :: v_dual_bitop2_b32 v37, 7, v39 bitop3:0x40
	s_mov_b32 s45, exec_lo
	v_cmpx_gt_u32_e32 8, v41
; %bb.125:                              ;   in Loop: Header=BB258_12 Depth=1
	s_delay_alu instid0(VALU_DEP_2) | instskip(NEXT) | instid1(VALU_DEP_1)
	v_clz_i32_u32_e32 v37, v37
	v_min_u32_e32 v37, 32, v37
	s_delay_alu instid0(VALU_DEP_1) | instskip(NEXT) | instid1(VALU_DEP_1)
	v_subrev_nc_u32_e32 v40, 28, v37
	v_lshlrev_b64_e32 v[42:43], v40, v[4:5]
	s_delay_alu instid0(VALU_DEP_1)
	v_dual_sub_nc_u32 v40, 29, v37 :: v_dual_bitop2_b32 v37, 7, v42 bitop3:0x40
; %bb.126:                              ;   in Loop: Header=BB258_12 Depth=1
	s_or_b32 exec_lo, exec_lo, s45
	s_delay_alu instid0(VALU_DEP_1) | instskip(NEXT) | instid1(VALU_DEP_2)
	v_dual_lshlrev_b32 v4, 8, v39 :: v_dual_lshlrev_b32 v37, 23, v37
	v_lshl_add_u32 v39, v40, 10, 0x2000
	s_delay_alu instid0(VALU_DEP_1) | instskip(NEXT) | instid1(VALU_DEP_1)
	v_and_or_b32 v4, 0x8000, v4, v39
	v_lshl_or_b32 v37, v4, 16, v37
.LBB258_127:                            ;   in Loop: Header=BB258_12 Depth=1
	s_or_b32 exec_lo, exec_lo, s44
.LBB258_128:                            ;   in Loop: Header=BB258_12 Depth=1
	s_delay_alu instid0(SALU_CYCLE_1)
	s_or_b32 exec_lo, exec_lo, s43
.LBB258_129:                            ;   in Loop: Header=BB258_12 Depth=1
	s_delay_alu instid0(SALU_CYCLE_1) | instskip(SKIP_3) | instid1(VALU_DEP_2)
	s_or_b32 exec_lo, exec_lo, s42
	v_dual_mov_b32 v39, 0 :: v_dual_lshrrev_b32 v4, 16, v14
	v_mov_b32_e32 v40, 0
	s_mov_b32 s42, exec_lo
	v_and_b32_e32 v41, 0xff, v4
	s_delay_alu instid0(VALU_DEP_1)
	v_cmpx_ne_u16_e32 0, v41
	s_cbranch_execz .LBB258_137
; %bb.130:                              ;   in Loop: Header=BB258_12 Depth=1
	v_mov_b32_e32 v40, 0x8000
	s_mov_b32 s43, exec_lo
	v_cmpx_ne_u16_e32 0x80, v41
	s_cbranch_execz .LBB258_136
; %bb.131:                              ;   in Loop: Header=BB258_12 Depth=1
	v_bfe_u32 v42, v14, 16, 7
	v_mov_b32_e32 v40, 0x7c01
	s_mov_b32 s44, exec_lo
	s_delay_alu instid0(VALU_DEP_2)
	v_cmpx_ne_u32_e32 0x7f, v42
	s_cbranch_execz .LBB258_135
; %bb.132:                              ;   in Loop: Header=BB258_12 Depth=1
	v_dual_lshrrev_b32 v41, 3, v42 :: v_dual_bitop2_b32 v40, 7, v4 bitop3:0x40
	s_mov_b32 s45, exec_lo
	v_cmpx_gt_u32_e32 8, v42
; %bb.133:                              ;   in Loop: Header=BB258_12 Depth=1
	s_delay_alu instid0(VALU_DEP_2) | instskip(NEXT) | instid1(VALU_DEP_1)
	v_clz_i32_u32_e32 v40, v40
	v_min_u32_e32 v42, 32, v40
	s_delay_alu instid0(VALU_DEP_1) | instskip(NEXT) | instid1(VALU_DEP_1)
	v_subrev_nc_u32_e32 v40, 28, v42
	v_lshlrev_b64_e32 v[40:41], v40, v[4:5]
	s_delay_alu instid0(VALU_DEP_1)
	v_dual_sub_nc_u32 v41, 29, v42 :: v_dual_bitop2_b32 v40, 7, v40 bitop3:0x40
; %bb.134:                              ;   in Loop: Header=BB258_12 Depth=1
	s_or_b32 exec_lo, exec_lo, s45
	v_lshlrev_b32_e32 v4, 8, v4
	s_delay_alu instid0(VALU_DEP_2) | instskip(NEXT) | instid1(VALU_DEP_3)
	v_lshl_add_u32 v41, v41, 10, 0x2000
	v_lshlrev_b32_e32 v40, 7, v40
	s_delay_alu instid0(VALU_DEP_3) | instskip(NEXT) | instid1(VALU_DEP_3)
	v_and_b32_e32 v4, 0x8000, v4
	v_and_b32_e32 v41, 0xfc00, v41
	s_delay_alu instid0(VALU_DEP_1)
	v_or3_b32 v40, v4, v41, v40
.LBB258_135:                            ;   in Loop: Header=BB258_12 Depth=1
	s_or_b32 exec_lo, exec_lo, s44
.LBB258_136:                            ;   in Loop: Header=BB258_12 Depth=1
	s_delay_alu instid0(SALU_CYCLE_1)
	s_or_b32 exec_lo, exec_lo, s43
.LBB258_137:                            ;   in Loop: Header=BB258_12 Depth=1
	s_delay_alu instid0(SALU_CYCLE_1) | instskip(NEXT) | instid1(SALU_CYCLE_1)
	s_or_b32 exec_lo, exec_lo, s42
	s_mov_b32 s42, exec_lo
	v_cmpx_lt_u32_e32 0xffffff, v14
	s_cbranch_execz .LBB258_145
; %bb.138:                              ;   in Loop: Header=BB258_12 Depth=1
	v_lshrrev_b32_e32 v4, 24, v14
	v_bfrev_b32_e32 v39, 1
	s_mov_b32 s43, exec_lo
	s_delay_alu instid0(VALU_DEP_2)
	v_cmpx_ne_u32_e32 0x80, v4
	s_cbranch_execz .LBB258_144
; %bb.139:                              ;   in Loop: Header=BB258_12 Depth=1
	v_and_b32_e32 v41, 0x7f, v4
	v_mov_b32_e32 v39, 0x7c010000
	s_mov_b32 s44, exec_lo
	s_delay_alu instid0(VALU_DEP_2)
	v_cmpx_ne_u32_e32 0x7f, v41
	s_cbranch_execz .LBB258_143
; %bb.140:                              ;   in Loop: Header=BB258_12 Depth=1
	v_dual_lshrrev_b32 v39, 3, v41 :: v_dual_bitop2_b32 v14, 7, v4 bitop3:0x40
	s_mov_b32 s45, exec_lo
	v_cmpx_gt_u32_e32 8, v41
; %bb.141:                              ;   in Loop: Header=BB258_12 Depth=1
	s_delay_alu instid0(VALU_DEP_2) | instskip(NEXT) | instid1(VALU_DEP_1)
	v_clz_i32_u32_e32 v14, v14
	v_min_u32_e32 v14, 32, v14
	s_delay_alu instid0(VALU_DEP_1) | instskip(NEXT) | instid1(VALU_DEP_1)
	v_subrev_nc_u32_e32 v39, 28, v14
	v_lshlrev_b64_e32 v[42:43], v39, v[4:5]
	v_sub_nc_u32_e32 v39, 29, v14
	s_delay_alu instid0(VALU_DEP_2)
	v_and_b32_e32 v14, 7, v42
; %bb.142:                              ;   in Loop: Header=BB258_12 Depth=1
	s_or_b32 exec_lo, exec_lo, s45
	s_delay_alu instid0(VALU_DEP_1) | instskip(NEXT) | instid1(VALU_DEP_3)
	v_dual_lshlrev_b32 v4, 8, v4 :: v_dual_lshlrev_b32 v14, 23, v14
	v_lshl_add_u32 v39, v39, 10, 0x2000
	s_delay_alu instid0(VALU_DEP_1) | instskip(NEXT) | instid1(VALU_DEP_1)
	v_and_or_b32 v4, 0x8000, v4, v39
	v_lshl_or_b32 v39, v4, 16, v14
.LBB258_143:                            ;   in Loop: Header=BB258_12 Depth=1
	s_or_b32 exec_lo, exec_lo, s44
.LBB258_144:                            ;   in Loop: Header=BB258_12 Depth=1
	s_delay_alu instid0(SALU_CYCLE_1)
	s_or_b32 exec_lo, exec_lo, s43
.LBB258_145:                            ;   in Loop: Header=BB258_12 Depth=1
	s_delay_alu instid0(SALU_CYCLE_1)
	s_or_b32 exec_lo, exec_lo, s42
	global_load_b32 v14, v[12:13], off offset:512
	v_dual_mov_b32 v41, 0 :: v_dual_mov_b32 v42, 0
	s_mov_b32 s42, exec_lo
	s_wait_loadcnt 0x0
	v_and_b32_e32 v4, 0xff, v14
	s_delay_alu instid0(VALU_DEP_1)
	v_cmpx_ne_u16_e32 0, v4
	s_cbranch_execz .LBB258_153
; %bb.146:                              ;   in Loop: Header=BB258_12 Depth=1
	v_mov_b32_e32 v42, 0x8000
	s_mov_b32 s43, exec_lo
	v_cmpx_ne_u16_e32 0x80, v4
	s_cbranch_execz .LBB258_152
; %bb.147:                              ;   in Loop: Header=BB258_12 Depth=1
	v_and_b32_e32 v43, 0x7f, v14
	v_mov_b32_e32 v42, 0x7c01
	s_mov_b32 s44, exec_lo
	s_delay_alu instid0(VALU_DEP_2)
	v_cmpx_ne_u32_e32 0x7f, v43
	s_cbranch_execz .LBB258_151
; %bb.148:                              ;   in Loop: Header=BB258_12 Depth=1
	v_dual_lshrrev_b32 v42, 3, v43 :: v_dual_bitop2_b32 v4, 7, v14 bitop3:0x40
	s_mov_b32 s45, exec_lo
	v_cmpx_gt_u32_e32 8, v43
; %bb.149:                              ;   in Loop: Header=BB258_12 Depth=1
	s_delay_alu instid0(VALU_DEP_2) | instskip(NEXT) | instid1(VALU_DEP_1)
	v_clz_i32_u32_e32 v4, v4
	v_min_u32_e32 v4, 32, v4
	s_delay_alu instid0(VALU_DEP_1) | instskip(NEXT) | instid1(VALU_DEP_1)
	v_subrev_nc_u32_e32 v42, 28, v4
	v_lshlrev_b64_e32 v[44:45], v42, v[14:15]
	v_sub_nc_u32_e32 v42, 29, v4
	s_delay_alu instid0(VALU_DEP_2)
	v_and_b32_e32 v4, 7, v44
; %bb.150:                              ;   in Loop: Header=BB258_12 Depth=1
	s_or_b32 exec_lo, exec_lo, s45
	s_delay_alu instid0(VALU_DEP_1) | instskip(NEXT) | instid1(VALU_DEP_3)
	v_dual_lshlrev_b32 v43, 8, v14 :: v_dual_lshlrev_b32 v4, 7, v4
	v_lshl_add_u32 v42, v42, 10, 0x2000
	s_delay_alu instid0(VALU_DEP_2) | instskip(NEXT) | instid1(VALU_DEP_2)
	v_and_b32_e32 v43, 0x8000, v43
	v_and_b32_e32 v42, 0xfc00, v42
	s_delay_alu instid0(VALU_DEP_1)
	v_or3_b32 v42, v43, v42, v4
.LBB258_151:                            ;   in Loop: Header=BB258_12 Depth=1
	s_or_b32 exec_lo, exec_lo, s44
.LBB258_152:                            ;   in Loop: Header=BB258_12 Depth=1
	s_delay_alu instid0(SALU_CYCLE_1)
	s_or_b32 exec_lo, exec_lo, s43
.LBB258_153:                            ;   in Loop: Header=BB258_12 Depth=1
	s_delay_alu instid0(SALU_CYCLE_1) | instskip(SKIP_2) | instid1(VALU_DEP_1)
	s_or_b32 exec_lo, exec_lo, s42
	v_lshrrev_b16 v4, 8, v14
	s_mov_b32 s42, exec_lo
	v_cmpx_ne_u16_e32 0, v4
	s_cbranch_execz .LBB258_161
; %bb.154:                              ;   in Loop: Header=BB258_12 Depth=1
	v_bfrev_b32_e32 v41, 1
	s_mov_b32 s43, exec_lo
	v_cmpx_ne_u16_e32 0x80, v4
	s_cbranch_execz .LBB258_160
; %bb.155:                              ;   in Loop: Header=BB258_12 Depth=1
	v_and_b32_e32 v43, 0xffff, v4
	v_mov_b32_e32 v41, 0x7c010000
	s_mov_b32 s44, exec_lo
	s_delay_alu instid0(VALU_DEP_2) | instskip(NEXT) | instid1(VALU_DEP_1)
	v_and_b32_e32 v45, 0x7f, v43
	v_cmpx_ne_u32_e32 0x7f, v45
	s_cbranch_execz .LBB258_159
; %bb.156:                              ;   in Loop: Header=BB258_12 Depth=1
	v_dual_lshrrev_b32 v44, 3, v45 :: v_dual_bitop2_b32 v41, 7, v43 bitop3:0x40
	s_mov_b32 s45, exec_lo
	v_cmpx_gt_u32_e32 8, v45
; %bb.157:                              ;   in Loop: Header=BB258_12 Depth=1
	s_delay_alu instid0(VALU_DEP_2) | instskip(NEXT) | instid1(VALU_DEP_1)
	v_clz_i32_u32_e32 v41, v41
	v_min_u32_e32 v41, 32, v41
	s_delay_alu instid0(VALU_DEP_1) | instskip(NEXT) | instid1(VALU_DEP_1)
	v_subrev_nc_u32_e32 v44, 28, v41
	v_lshlrev_b64_e32 v[46:47], v44, v[4:5]
	s_delay_alu instid0(VALU_DEP_1)
	v_dual_sub_nc_u32 v44, 29, v41 :: v_dual_bitop2_b32 v41, 7, v46 bitop3:0x40
; %bb.158:                              ;   in Loop: Header=BB258_12 Depth=1
	s_or_b32 exec_lo, exec_lo, s45
	s_delay_alu instid0(VALU_DEP_1) | instskip(NEXT) | instid1(VALU_DEP_2)
	v_dual_lshlrev_b32 v4, 8, v43 :: v_dual_lshlrev_b32 v41, 23, v41
	v_lshl_add_u32 v43, v44, 10, 0x2000
	s_delay_alu instid0(VALU_DEP_1) | instskip(NEXT) | instid1(VALU_DEP_1)
	v_and_or_b32 v4, 0x8000, v4, v43
	v_lshl_or_b32 v41, v4, 16, v41
.LBB258_159:                            ;   in Loop: Header=BB258_12 Depth=1
	s_or_b32 exec_lo, exec_lo, s44
.LBB258_160:                            ;   in Loop: Header=BB258_12 Depth=1
	s_delay_alu instid0(SALU_CYCLE_1)
	s_or_b32 exec_lo, exec_lo, s43
.LBB258_161:                            ;   in Loop: Header=BB258_12 Depth=1
	s_delay_alu instid0(SALU_CYCLE_1) | instskip(SKIP_3) | instid1(VALU_DEP_2)
	s_or_b32 exec_lo, exec_lo, s42
	v_dual_mov_b32 v45, 0 :: v_dual_lshrrev_b32 v4, 16, v14
	v_mov_b32_e32 v46, 0
	s_mov_b32 s42, exec_lo
	v_and_b32_e32 v43, 0xff, v4
	s_delay_alu instid0(VALU_DEP_1)
	v_cmpx_ne_u16_e32 0, v43
	s_cbranch_execz .LBB258_169
; %bb.162:                              ;   in Loop: Header=BB258_12 Depth=1
	v_mov_b32_e32 v46, 0x8000
	s_mov_b32 s43, exec_lo
	v_cmpx_ne_u16_e32 0x80, v43
	s_cbranch_execz .LBB258_168
; %bb.163:                              ;   in Loop: Header=BB258_12 Depth=1
	v_bfe_u32 v47, v14, 16, 7
	v_mov_b32_e32 v46, 0x7c01
	s_mov_b32 s44, exec_lo
	s_delay_alu instid0(VALU_DEP_2)
	v_cmpx_ne_u32_e32 0x7f, v47
	s_cbranch_execz .LBB258_167
; %bb.164:                              ;   in Loop: Header=BB258_12 Depth=1
	v_dual_lshrrev_b32 v44, 3, v47 :: v_dual_bitop2_b32 v43, 7, v4 bitop3:0x40
	s_mov_b32 s45, exec_lo
	v_cmpx_gt_u32_e32 8, v47
; %bb.165:                              ;   in Loop: Header=BB258_12 Depth=1
	s_delay_alu instid0(VALU_DEP_2) | instskip(NEXT) | instid1(VALU_DEP_1)
	v_clz_i32_u32_e32 v43, v43
	v_min_u32_e32 v43, 32, v43
	s_delay_alu instid0(VALU_DEP_1) | instskip(NEXT) | instid1(VALU_DEP_1)
	v_subrev_nc_u32_e32 v44, 28, v43
	v_lshlrev_b64_e32 v[46:47], v44, v[4:5]
	s_delay_alu instid0(VALU_DEP_1)
	v_dual_sub_nc_u32 v44, 29, v43 :: v_dual_bitop2_b32 v43, 7, v46 bitop3:0x40
; %bb.166:                              ;   in Loop: Header=BB258_12 Depth=1
	s_or_b32 exec_lo, exec_lo, s45
	s_delay_alu instid0(VALU_DEP_1) | instskip(NEXT) | instid1(VALU_DEP_2)
	v_dual_lshlrev_b32 v4, 8, v4 :: v_dual_lshlrev_b32 v43, 7, v43
	v_lshl_add_u32 v44, v44, 10, 0x2000
	s_delay_alu instid0(VALU_DEP_2) | instskip(NEXT) | instid1(VALU_DEP_2)
	v_and_b32_e32 v4, 0x8000, v4
	v_and_b32_e32 v44, 0xfc00, v44
	s_delay_alu instid0(VALU_DEP_1)
	v_or3_b32 v46, v4, v44, v43
.LBB258_167:                            ;   in Loop: Header=BB258_12 Depth=1
	s_or_b32 exec_lo, exec_lo, s44
.LBB258_168:                            ;   in Loop: Header=BB258_12 Depth=1
	s_delay_alu instid0(SALU_CYCLE_1)
	s_or_b32 exec_lo, exec_lo, s43
.LBB258_169:                            ;   in Loop: Header=BB258_12 Depth=1
	s_delay_alu instid0(SALU_CYCLE_1) | instskip(NEXT) | instid1(SALU_CYCLE_1)
	s_or_b32 exec_lo, exec_lo, s42
	s_mov_b32 s42, exec_lo
	v_cmpx_lt_u32_e32 0xffffff, v14
	s_cbranch_execz .LBB258_177
; %bb.170:                              ;   in Loop: Header=BB258_12 Depth=1
	v_lshrrev_b32_e32 v4, 24, v14
	v_bfrev_b32_e32 v45, 1
	s_mov_b32 s43, exec_lo
	s_delay_alu instid0(VALU_DEP_2)
	v_cmpx_ne_u32_e32 0x80, v4
	s_cbranch_execz .LBB258_176
; %bb.171:                              ;   in Loop: Header=BB258_12 Depth=1
	v_and_b32_e32 v44, 0x7f, v4
	v_mov_b32_e32 v45, 0x7c010000
	s_mov_b32 s44, exec_lo
	s_delay_alu instid0(VALU_DEP_2)
	v_cmpx_ne_u32_e32 0x7f, v44
	s_cbranch_execz .LBB258_175
; %bb.172:                              ;   in Loop: Header=BB258_12 Depth=1
	v_and_b32_e32 v14, 7, v4
	v_lshrrev_b32_e32 v43, 3, v44
	s_mov_b32 s45, exec_lo
	v_cmpx_gt_u32_e32 8, v44
; %bb.173:                              ;   in Loop: Header=BB258_12 Depth=1
	s_delay_alu instid0(VALU_DEP_3) | instskip(NEXT) | instid1(VALU_DEP_1)
	v_clz_i32_u32_e32 v14, v14
	v_min_u32_e32 v14, 32, v14
	s_delay_alu instid0(VALU_DEP_1) | instskip(NEXT) | instid1(VALU_DEP_1)
	v_subrev_nc_u32_e32 v43, 28, v14
	v_lshlrev_b64_e32 v[44:45], v43, v[4:5]
	s_delay_alu instid0(VALU_DEP_1)
	v_dual_sub_nc_u32 v43, 29, v14 :: v_dual_bitop2_b32 v14, 7, v44 bitop3:0x40
; %bb.174:                              ;   in Loop: Header=BB258_12 Depth=1
	s_or_b32 exec_lo, exec_lo, s45
	s_delay_alu instid0(VALU_DEP_1) | instskip(NEXT) | instid1(VALU_DEP_2)
	v_dual_lshlrev_b32 v4, 8, v4 :: v_dual_lshlrev_b32 v14, 23, v14
	v_lshl_add_u32 v43, v43, 10, 0x2000
	s_delay_alu instid0(VALU_DEP_1) | instskip(NEXT) | instid1(VALU_DEP_1)
	v_and_or_b32 v4, 0x8000, v4, v43
	v_lshl_or_b32 v45, v4, 16, v14
.LBB258_175:                            ;   in Loop: Header=BB258_12 Depth=1
	s_or_b32 exec_lo, exec_lo, s44
.LBB258_176:                            ;   in Loop: Header=BB258_12 Depth=1
	s_delay_alu instid0(SALU_CYCLE_1)
	s_or_b32 exec_lo, exec_lo, s43
.LBB258_177:                            ;   in Loop: Header=BB258_12 Depth=1
	s_delay_alu instid0(SALU_CYCLE_1)
	s_or_b32 exec_lo, exec_lo, s42
	global_load_b32 v14, v[12:13], off offset:520
	v_dual_mov_b32 v43, 0 :: v_dual_mov_b32 v44, 0
	s_mov_b32 s42, exec_lo
	s_wait_loadcnt 0x0
	v_and_b32_e32 v4, 0xff, v14
	s_delay_alu instid0(VALU_DEP_1)
	v_cmpx_ne_u16_e32 0, v4
	s_cbranch_execz .LBB258_185
; %bb.178:                              ;   in Loop: Header=BB258_12 Depth=1
	v_mov_b32_e32 v44, 0x8000
	s_mov_b32 s43, exec_lo
	v_cmpx_ne_u16_e32 0x80, v4
	s_cbranch_execz .LBB258_184
; %bb.179:                              ;   in Loop: Header=BB258_12 Depth=1
	v_and_b32_e32 v47, 0x7f, v14
	v_mov_b32_e32 v44, 0x7c01
	s_mov_b32 s44, exec_lo
	s_delay_alu instid0(VALU_DEP_2)
	v_cmpx_ne_u32_e32 0x7f, v47
	s_cbranch_execz .LBB258_183
; %bb.180:                              ;   in Loop: Header=BB258_12 Depth=1
	v_dual_lshrrev_b32 v44, 3, v47 :: v_dual_bitop2_b32 v4, 7, v14 bitop3:0x40
	s_mov_b32 s45, exec_lo
	v_cmpx_gt_u32_e32 8, v47
; %bb.181:                              ;   in Loop: Header=BB258_12 Depth=1
	s_delay_alu instid0(VALU_DEP_2) | instskip(NEXT) | instid1(VALU_DEP_1)
	v_clz_i32_u32_e32 v4, v4
	v_min_u32_e32 v4, 32, v4
	s_delay_alu instid0(VALU_DEP_1) | instskip(NEXT) | instid1(VALU_DEP_1)
	v_subrev_nc_u32_e32 v44, 28, v4
	v_lshlrev_b64_e32 v[48:49], v44, v[14:15]
	v_sub_nc_u32_e32 v44, 29, v4
	s_delay_alu instid0(VALU_DEP_2)
	v_and_b32_e32 v4, 7, v48
; %bb.182:                              ;   in Loop: Header=BB258_12 Depth=1
	s_or_b32 exec_lo, exec_lo, s45
	s_delay_alu instid0(VALU_DEP_1) | instskip(NEXT) | instid1(VALU_DEP_3)
	v_dual_lshlrev_b32 v47, 8, v14 :: v_dual_lshlrev_b32 v4, 7, v4
	v_lshl_add_u32 v44, v44, 10, 0x2000
	s_delay_alu instid0(VALU_DEP_2) | instskip(NEXT) | instid1(VALU_DEP_2)
	v_and_b32_e32 v47, 0x8000, v47
	v_and_b32_e32 v44, 0xfc00, v44
	s_delay_alu instid0(VALU_DEP_1)
	v_or3_b32 v44, v47, v44, v4
.LBB258_183:                            ;   in Loop: Header=BB258_12 Depth=1
	s_or_b32 exec_lo, exec_lo, s44
.LBB258_184:                            ;   in Loop: Header=BB258_12 Depth=1
	s_delay_alu instid0(SALU_CYCLE_1)
	s_or_b32 exec_lo, exec_lo, s43
.LBB258_185:                            ;   in Loop: Header=BB258_12 Depth=1
	s_delay_alu instid0(SALU_CYCLE_1) | instskip(SKIP_2) | instid1(VALU_DEP_1)
	s_or_b32 exec_lo, exec_lo, s42
	v_lshrrev_b16 v4, 8, v14
	s_mov_b32 s42, exec_lo
	v_cmpx_ne_u16_e32 0, v4
	s_cbranch_execz .LBB258_193
; %bb.186:                              ;   in Loop: Header=BB258_12 Depth=1
	v_bfrev_b32_e32 v43, 1
	s_mov_b32 s43, exec_lo
	v_cmpx_ne_u16_e32 0x80, v4
	s_cbranch_execz .LBB258_192
; %bb.187:                              ;   in Loop: Header=BB258_12 Depth=1
	v_and_b32_e32 v47, 0xffff, v4
	v_mov_b32_e32 v43, 0x7c010000
	s_mov_b32 s44, exec_lo
	s_delay_alu instid0(VALU_DEP_2) | instskip(NEXT) | instid1(VALU_DEP_1)
	v_and_b32_e32 v49, 0x7f, v47
	v_cmpx_ne_u32_e32 0x7f, v49
	s_cbranch_execz .LBB258_191
; %bb.188:                              ;   in Loop: Header=BB258_12 Depth=1
	v_dual_lshrrev_b32 v48, 3, v49 :: v_dual_bitop2_b32 v43, 7, v47 bitop3:0x40
	s_mov_b32 s45, exec_lo
	v_cmpx_gt_u32_e32 8, v49
; %bb.189:                              ;   in Loop: Header=BB258_12 Depth=1
	s_delay_alu instid0(VALU_DEP_2) | instskip(NEXT) | instid1(VALU_DEP_1)
	v_clz_i32_u32_e32 v43, v43
	v_min_u32_e32 v43, 32, v43
	s_delay_alu instid0(VALU_DEP_1) | instskip(NEXT) | instid1(VALU_DEP_1)
	v_subrev_nc_u32_e32 v48, 28, v43
	v_lshlrev_b64_e32 v[50:51], v48, v[4:5]
	s_delay_alu instid0(VALU_DEP_1)
	v_dual_sub_nc_u32 v48, 29, v43 :: v_dual_bitop2_b32 v43, 7, v50 bitop3:0x40
; %bb.190:                              ;   in Loop: Header=BB258_12 Depth=1
	s_or_b32 exec_lo, exec_lo, s45
	v_lshlrev_b32_e32 v4, 8, v47
	s_delay_alu instid0(VALU_DEP_2) | instskip(NEXT) | instid1(VALU_DEP_3)
	v_lshl_add_u32 v47, v48, 10, 0x2000
	v_lshlrev_b32_e32 v43, 23, v43
	s_delay_alu instid0(VALU_DEP_2) | instskip(NEXT) | instid1(VALU_DEP_1)
	v_and_or_b32 v4, 0x8000, v4, v47
	v_lshl_or_b32 v43, v4, 16, v43
.LBB258_191:                            ;   in Loop: Header=BB258_12 Depth=1
	s_or_b32 exec_lo, exec_lo, s44
.LBB258_192:                            ;   in Loop: Header=BB258_12 Depth=1
	s_delay_alu instid0(SALU_CYCLE_1)
	s_or_b32 exec_lo, exec_lo, s43
.LBB258_193:                            ;   in Loop: Header=BB258_12 Depth=1
	s_delay_alu instid0(SALU_CYCLE_1) | instskip(SKIP_3) | instid1(VALU_DEP_2)
	s_or_b32 exec_lo, exec_lo, s42
	v_dual_mov_b32 v47, 0 :: v_dual_lshrrev_b32 v4, 16, v14
	v_mov_b32_e32 v48, 0
	s_mov_b32 s42, exec_lo
	v_and_b32_e32 v49, 0xff, v4
	s_delay_alu instid0(VALU_DEP_1)
	v_cmpx_ne_u16_e32 0, v49
	s_cbranch_execz .LBB258_201
; %bb.194:                              ;   in Loop: Header=BB258_12 Depth=1
	v_mov_b32_e32 v48, 0x8000
	s_mov_b32 s43, exec_lo
	v_cmpx_ne_u16_e32 0x80, v49
	s_cbranch_execz .LBB258_200
; %bb.195:                              ;   in Loop: Header=BB258_12 Depth=1
	v_bfe_u32 v50, v14, 16, 7
	v_mov_b32_e32 v48, 0x7c01
	s_mov_b32 s44, exec_lo
	s_delay_alu instid0(VALU_DEP_2)
	v_cmpx_ne_u32_e32 0x7f, v50
	s_cbranch_execz .LBB258_199
; %bb.196:                              ;   in Loop: Header=BB258_12 Depth=1
	v_dual_lshrrev_b32 v49, 3, v50 :: v_dual_bitop2_b32 v48, 7, v4 bitop3:0x40
	s_mov_b32 s45, exec_lo
	v_cmpx_gt_u32_e32 8, v50
; %bb.197:                              ;   in Loop: Header=BB258_12 Depth=1
	s_delay_alu instid0(VALU_DEP_2) | instskip(NEXT) | instid1(VALU_DEP_1)
	v_clz_i32_u32_e32 v48, v48
	v_min_u32_e32 v50, 32, v48
	s_delay_alu instid0(VALU_DEP_1) | instskip(NEXT) | instid1(VALU_DEP_1)
	v_subrev_nc_u32_e32 v48, 28, v50
	v_lshlrev_b64_e32 v[48:49], v48, v[4:5]
	s_delay_alu instid0(VALU_DEP_1)
	v_dual_sub_nc_u32 v49, 29, v50 :: v_dual_bitop2_b32 v48, 7, v48 bitop3:0x40
; %bb.198:                              ;   in Loop: Header=BB258_12 Depth=1
	s_or_b32 exec_lo, exec_lo, s45
	v_lshlrev_b32_e32 v4, 8, v4
	s_delay_alu instid0(VALU_DEP_2) | instskip(NEXT) | instid1(VALU_DEP_3)
	v_lshl_add_u32 v49, v49, 10, 0x2000
	v_lshlrev_b32_e32 v48, 7, v48
	s_delay_alu instid0(VALU_DEP_3) | instskip(NEXT) | instid1(VALU_DEP_3)
	v_and_b32_e32 v4, 0x8000, v4
	v_and_b32_e32 v49, 0xfc00, v49
	s_delay_alu instid0(VALU_DEP_1)
	v_or3_b32 v48, v4, v49, v48
.LBB258_199:                            ;   in Loop: Header=BB258_12 Depth=1
	s_or_b32 exec_lo, exec_lo, s44
.LBB258_200:                            ;   in Loop: Header=BB258_12 Depth=1
	s_delay_alu instid0(SALU_CYCLE_1)
	s_or_b32 exec_lo, exec_lo, s43
.LBB258_201:                            ;   in Loop: Header=BB258_12 Depth=1
	s_delay_alu instid0(SALU_CYCLE_1) | instskip(NEXT) | instid1(SALU_CYCLE_1)
	s_or_b32 exec_lo, exec_lo, s42
	s_mov_b32 s42, exec_lo
	v_cmpx_lt_u32_e32 0xffffff, v14
	s_cbranch_execz .LBB258_209
; %bb.202:                              ;   in Loop: Header=BB258_12 Depth=1
	v_lshrrev_b32_e32 v4, 24, v14
	v_bfrev_b32_e32 v47, 1
	s_mov_b32 s43, exec_lo
	s_delay_alu instid0(VALU_DEP_2)
	v_cmpx_ne_u32_e32 0x80, v4
	s_cbranch_execz .LBB258_208
; %bb.203:                              ;   in Loop: Header=BB258_12 Depth=1
	v_and_b32_e32 v49, 0x7f, v4
	v_mov_b32_e32 v47, 0x7c010000
	s_mov_b32 s44, exec_lo
	s_delay_alu instid0(VALU_DEP_2)
	v_cmpx_ne_u32_e32 0x7f, v49
	s_cbranch_execz .LBB258_207
; %bb.204:                              ;   in Loop: Header=BB258_12 Depth=1
	v_dual_lshrrev_b32 v47, 3, v49 :: v_dual_bitop2_b32 v14, 7, v4 bitop3:0x40
	s_mov_b32 s45, exec_lo
	v_cmpx_gt_u32_e32 8, v49
; %bb.205:                              ;   in Loop: Header=BB258_12 Depth=1
	s_delay_alu instid0(VALU_DEP_2) | instskip(NEXT) | instid1(VALU_DEP_1)
	v_clz_i32_u32_e32 v14, v14
	v_min_u32_e32 v14, 32, v14
	s_delay_alu instid0(VALU_DEP_1) | instskip(NEXT) | instid1(VALU_DEP_1)
	v_subrev_nc_u32_e32 v47, 28, v14
	v_lshlrev_b64_e32 v[50:51], v47, v[4:5]
	v_sub_nc_u32_e32 v47, 29, v14
	s_delay_alu instid0(VALU_DEP_2)
	v_and_b32_e32 v14, 7, v50
; %bb.206:                              ;   in Loop: Header=BB258_12 Depth=1
	s_or_b32 exec_lo, exec_lo, s45
	s_delay_alu instid0(VALU_DEP_1) | instskip(NEXT) | instid1(VALU_DEP_3)
	v_dual_lshlrev_b32 v4, 8, v4 :: v_dual_lshlrev_b32 v14, 23, v14
	v_lshl_add_u32 v47, v47, 10, 0x2000
	s_delay_alu instid0(VALU_DEP_1) | instskip(NEXT) | instid1(VALU_DEP_1)
	v_and_or_b32 v4, 0x8000, v4, v47
	v_lshl_or_b32 v47, v4, 16, v14
.LBB258_207:                            ;   in Loop: Header=BB258_12 Depth=1
	s_or_b32 exec_lo, exec_lo, s44
.LBB258_208:                            ;   in Loop: Header=BB258_12 Depth=1
	s_delay_alu instid0(SALU_CYCLE_1)
	s_or_b32 exec_lo, exec_lo, s43
.LBB258_209:                            ;   in Loop: Header=BB258_12 Depth=1
	s_delay_alu instid0(SALU_CYCLE_1)
	s_or_b32 exec_lo, exec_lo, s42
	global_load_b32 v14, v[12:13], off offset:768
	v_dual_mov_b32 v49, 0 :: v_dual_mov_b32 v50, 0
	s_mov_b32 s42, exec_lo
	s_wait_loadcnt 0x0
	v_and_b32_e32 v4, 0xff, v14
	s_delay_alu instid0(VALU_DEP_1)
	v_cmpx_ne_u16_e32 0, v4
	s_cbranch_execz .LBB258_217
; %bb.210:                              ;   in Loop: Header=BB258_12 Depth=1
	v_mov_b32_e32 v50, 0x8000
	s_mov_b32 s43, exec_lo
	v_cmpx_ne_u16_e32 0x80, v4
	s_cbranch_execz .LBB258_216
; %bb.211:                              ;   in Loop: Header=BB258_12 Depth=1
	v_and_b32_e32 v51, 0x7f, v14
	v_mov_b32_e32 v50, 0x7c01
	s_mov_b32 s44, exec_lo
	s_delay_alu instid0(VALU_DEP_2)
	v_cmpx_ne_u32_e32 0x7f, v51
	s_cbranch_execz .LBB258_215
; %bb.212:                              ;   in Loop: Header=BB258_12 Depth=1
	v_dual_lshrrev_b32 v50, 3, v51 :: v_dual_bitop2_b32 v4, 7, v14 bitop3:0x40
	s_mov_b32 s45, exec_lo
	v_cmpx_gt_u32_e32 8, v51
; %bb.213:                              ;   in Loop: Header=BB258_12 Depth=1
	s_delay_alu instid0(VALU_DEP_2) | instskip(NEXT) | instid1(VALU_DEP_1)
	v_clz_i32_u32_e32 v4, v4
	v_min_u32_e32 v4, 32, v4
	s_delay_alu instid0(VALU_DEP_1) | instskip(NEXT) | instid1(VALU_DEP_1)
	v_subrev_nc_u32_e32 v50, 28, v4
	v_lshlrev_b64_e32 v[52:53], v50, v[14:15]
	v_sub_nc_u32_e32 v50, 29, v4
	s_delay_alu instid0(VALU_DEP_2)
	v_and_b32_e32 v4, 7, v52
; %bb.214:                              ;   in Loop: Header=BB258_12 Depth=1
	s_or_b32 exec_lo, exec_lo, s45
	s_delay_alu instid0(VALU_DEP_1) | instskip(NEXT) | instid1(VALU_DEP_3)
	v_dual_lshlrev_b32 v51, 8, v14 :: v_dual_lshlrev_b32 v4, 7, v4
	v_lshl_add_u32 v50, v50, 10, 0x2000
	s_delay_alu instid0(VALU_DEP_2) | instskip(NEXT) | instid1(VALU_DEP_2)
	v_and_b32_e32 v51, 0x8000, v51
	v_and_b32_e32 v50, 0xfc00, v50
	s_delay_alu instid0(VALU_DEP_1)
	v_or3_b32 v50, v51, v50, v4
.LBB258_215:                            ;   in Loop: Header=BB258_12 Depth=1
	s_or_b32 exec_lo, exec_lo, s44
.LBB258_216:                            ;   in Loop: Header=BB258_12 Depth=1
	s_delay_alu instid0(SALU_CYCLE_1)
	s_or_b32 exec_lo, exec_lo, s43
.LBB258_217:                            ;   in Loop: Header=BB258_12 Depth=1
	s_delay_alu instid0(SALU_CYCLE_1) | instskip(SKIP_2) | instid1(VALU_DEP_1)
	s_or_b32 exec_lo, exec_lo, s42
	v_lshrrev_b16 v4, 8, v14
	s_mov_b32 s42, exec_lo
	v_cmpx_ne_u16_e32 0, v4
	s_cbranch_execz .LBB258_225
; %bb.218:                              ;   in Loop: Header=BB258_12 Depth=1
	v_bfrev_b32_e32 v49, 1
	s_mov_b32 s43, exec_lo
	v_cmpx_ne_u16_e32 0x80, v4
	s_cbranch_execz .LBB258_224
; %bb.219:                              ;   in Loop: Header=BB258_12 Depth=1
	v_and_b32_e32 v51, 0xffff, v4
	v_mov_b32_e32 v49, 0x7c010000
	s_mov_b32 s44, exec_lo
	s_delay_alu instid0(VALU_DEP_2) | instskip(NEXT) | instid1(VALU_DEP_1)
	v_and_b32_e32 v53, 0x7f, v51
	v_cmpx_ne_u32_e32 0x7f, v53
	s_cbranch_execz .LBB258_223
; %bb.220:                              ;   in Loop: Header=BB258_12 Depth=1
	v_dual_lshrrev_b32 v52, 3, v53 :: v_dual_bitop2_b32 v49, 7, v51 bitop3:0x40
	s_mov_b32 s45, exec_lo
	v_cmpx_gt_u32_e32 8, v53
; %bb.221:                              ;   in Loop: Header=BB258_12 Depth=1
	s_delay_alu instid0(VALU_DEP_2) | instskip(NEXT) | instid1(VALU_DEP_1)
	v_clz_i32_u32_e32 v49, v49
	v_min_u32_e32 v49, 32, v49
	s_delay_alu instid0(VALU_DEP_1) | instskip(NEXT) | instid1(VALU_DEP_1)
	v_subrev_nc_u32_e32 v52, 28, v49
	v_lshlrev_b64_e32 v[54:55], v52, v[4:5]
	s_delay_alu instid0(VALU_DEP_1)
	v_dual_sub_nc_u32 v52, 29, v49 :: v_dual_bitop2_b32 v49, 7, v54 bitop3:0x40
; %bb.222:                              ;   in Loop: Header=BB258_12 Depth=1
	s_or_b32 exec_lo, exec_lo, s45
	s_delay_alu instid0(VALU_DEP_1) | instskip(NEXT) | instid1(VALU_DEP_2)
	v_dual_lshlrev_b32 v4, 8, v51 :: v_dual_lshlrev_b32 v49, 23, v49
	v_lshl_add_u32 v51, v52, 10, 0x2000
	s_delay_alu instid0(VALU_DEP_1) | instskip(NEXT) | instid1(VALU_DEP_1)
	v_and_or_b32 v4, 0x8000, v4, v51
	v_lshl_or_b32 v49, v4, 16, v49
.LBB258_223:                            ;   in Loop: Header=BB258_12 Depth=1
	s_or_b32 exec_lo, exec_lo, s44
.LBB258_224:                            ;   in Loop: Header=BB258_12 Depth=1
	s_delay_alu instid0(SALU_CYCLE_1)
	s_or_b32 exec_lo, exec_lo, s43
.LBB258_225:                            ;   in Loop: Header=BB258_12 Depth=1
	s_delay_alu instid0(SALU_CYCLE_1) | instskip(SKIP_3) | instid1(VALU_DEP_2)
	s_or_b32 exec_lo, exec_lo, s42
	v_dual_mov_b32 v51, 0 :: v_dual_lshrrev_b32 v4, 16, v14
	v_mov_b32_e32 v52, 0
	s_mov_b32 s42, exec_lo
	v_and_b32_e32 v53, 0xff, v4
	s_delay_alu instid0(VALU_DEP_1)
	v_cmpx_ne_u16_e32 0, v53
	s_cbranch_execz .LBB258_233
; %bb.226:                              ;   in Loop: Header=BB258_12 Depth=1
	v_mov_b32_e32 v52, 0x8000
	s_mov_b32 s43, exec_lo
	v_cmpx_ne_u16_e32 0x80, v53
	s_cbranch_execz .LBB258_232
; %bb.227:                              ;   in Loop: Header=BB258_12 Depth=1
	v_bfe_u32 v54, v14, 16, 7
	v_mov_b32_e32 v52, 0x7c01
	s_mov_b32 s44, exec_lo
	s_delay_alu instid0(VALU_DEP_2)
	v_cmpx_ne_u32_e32 0x7f, v54
	s_cbranch_execz .LBB258_231
; %bb.228:                              ;   in Loop: Header=BB258_12 Depth=1
	v_dual_lshrrev_b32 v53, 3, v54 :: v_dual_bitop2_b32 v52, 7, v4 bitop3:0x40
	s_mov_b32 s45, exec_lo
	v_cmpx_gt_u32_e32 8, v54
; %bb.229:                              ;   in Loop: Header=BB258_12 Depth=1
	s_delay_alu instid0(VALU_DEP_2) | instskip(NEXT) | instid1(VALU_DEP_1)
	v_clz_i32_u32_e32 v52, v52
	v_min_u32_e32 v54, 32, v52
	s_delay_alu instid0(VALU_DEP_1) | instskip(NEXT) | instid1(VALU_DEP_1)
	v_subrev_nc_u32_e32 v52, 28, v54
	v_lshlrev_b64_e32 v[52:53], v52, v[4:5]
	s_delay_alu instid0(VALU_DEP_1)
	v_dual_sub_nc_u32 v53, 29, v54 :: v_dual_bitop2_b32 v52, 7, v52 bitop3:0x40
; %bb.230:                              ;   in Loop: Header=BB258_12 Depth=1
	s_or_b32 exec_lo, exec_lo, s45
	v_lshlrev_b32_e32 v4, 8, v4
	s_delay_alu instid0(VALU_DEP_2) | instskip(NEXT) | instid1(VALU_DEP_3)
	v_lshl_add_u32 v53, v53, 10, 0x2000
	v_lshlrev_b32_e32 v52, 7, v52
	s_delay_alu instid0(VALU_DEP_3) | instskip(NEXT) | instid1(VALU_DEP_3)
	v_and_b32_e32 v4, 0x8000, v4
	v_and_b32_e32 v53, 0xfc00, v53
	s_delay_alu instid0(VALU_DEP_1)
	v_or3_b32 v52, v4, v53, v52
.LBB258_231:                            ;   in Loop: Header=BB258_12 Depth=1
	s_or_b32 exec_lo, exec_lo, s44
.LBB258_232:                            ;   in Loop: Header=BB258_12 Depth=1
	s_delay_alu instid0(SALU_CYCLE_1)
	s_or_b32 exec_lo, exec_lo, s43
.LBB258_233:                            ;   in Loop: Header=BB258_12 Depth=1
	s_delay_alu instid0(SALU_CYCLE_1) | instskip(NEXT) | instid1(SALU_CYCLE_1)
	s_or_b32 exec_lo, exec_lo, s42
	s_mov_b32 s42, exec_lo
	v_cmpx_lt_u32_e32 0xffffff, v14
	s_cbranch_execz .LBB258_241
; %bb.234:                              ;   in Loop: Header=BB258_12 Depth=1
	v_lshrrev_b32_e32 v4, 24, v14
	v_bfrev_b32_e32 v51, 1
	s_mov_b32 s43, exec_lo
	s_delay_alu instid0(VALU_DEP_2)
	v_cmpx_ne_u32_e32 0x80, v4
	s_cbranch_execz .LBB258_240
; %bb.235:                              ;   in Loop: Header=BB258_12 Depth=1
	v_and_b32_e32 v53, 0x7f, v4
	v_mov_b32_e32 v51, 0x7c010000
	s_mov_b32 s44, exec_lo
	s_delay_alu instid0(VALU_DEP_2)
	v_cmpx_ne_u32_e32 0x7f, v53
	s_cbranch_execz .LBB258_239
; %bb.236:                              ;   in Loop: Header=BB258_12 Depth=1
	v_dual_lshrrev_b32 v51, 3, v53 :: v_dual_bitop2_b32 v14, 7, v4 bitop3:0x40
	s_mov_b32 s45, exec_lo
	v_cmpx_gt_u32_e32 8, v53
; %bb.237:                              ;   in Loop: Header=BB258_12 Depth=1
	s_delay_alu instid0(VALU_DEP_2) | instskip(NEXT) | instid1(VALU_DEP_1)
	v_clz_i32_u32_e32 v14, v14
	v_min_u32_e32 v14, 32, v14
	s_delay_alu instid0(VALU_DEP_1) | instskip(NEXT) | instid1(VALU_DEP_1)
	v_subrev_nc_u32_e32 v51, 28, v14
	v_lshlrev_b64_e32 v[54:55], v51, v[4:5]
	v_sub_nc_u32_e32 v51, 29, v14
	s_delay_alu instid0(VALU_DEP_2)
	v_and_b32_e32 v14, 7, v54
; %bb.238:                              ;   in Loop: Header=BB258_12 Depth=1
	s_or_b32 exec_lo, exec_lo, s45
	s_delay_alu instid0(VALU_DEP_1) | instskip(NEXT) | instid1(VALU_DEP_3)
	v_dual_lshlrev_b32 v4, 8, v4 :: v_dual_lshlrev_b32 v14, 23, v14
	v_lshl_add_u32 v51, v51, 10, 0x2000
	s_delay_alu instid0(VALU_DEP_1) | instskip(NEXT) | instid1(VALU_DEP_1)
	v_and_or_b32 v4, 0x8000, v4, v51
	v_lshl_or_b32 v51, v4, 16, v14
.LBB258_239:                            ;   in Loop: Header=BB258_12 Depth=1
	s_or_b32 exec_lo, exec_lo, s44
.LBB258_240:                            ;   in Loop: Header=BB258_12 Depth=1
	s_delay_alu instid0(SALU_CYCLE_1)
	s_or_b32 exec_lo, exec_lo, s43
.LBB258_241:                            ;   in Loop: Header=BB258_12 Depth=1
	s_delay_alu instid0(SALU_CYCLE_1)
	s_or_b32 exec_lo, exec_lo, s42
	global_load_b32 v14, v[12:13], off offset:776
	v_dual_mov_b32 v53, 0 :: v_dual_mov_b32 v54, 0
	s_mov_b32 s42, exec_lo
	s_wait_loadcnt 0x0
	v_and_b32_e32 v4, 0xff, v14
	s_delay_alu instid0(VALU_DEP_1)
	v_cmpx_ne_u16_e32 0, v4
	s_cbranch_execz .LBB258_249
; %bb.242:                              ;   in Loop: Header=BB258_12 Depth=1
	v_mov_b32_e32 v54, 0x8000
	s_mov_b32 s43, exec_lo
	v_cmpx_ne_u16_e32 0x80, v4
	s_cbranch_execz .LBB258_248
; %bb.243:                              ;   in Loop: Header=BB258_12 Depth=1
	v_and_b32_e32 v55, 0x7f, v14
	v_mov_b32_e32 v54, 0x7c01
	s_mov_b32 s44, exec_lo
	s_delay_alu instid0(VALU_DEP_2)
	v_cmpx_ne_u32_e32 0x7f, v55
	s_cbranch_execz .LBB258_247
; %bb.244:                              ;   in Loop: Header=BB258_12 Depth=1
	v_dual_lshrrev_b32 v54, 3, v55 :: v_dual_bitop2_b32 v4, 7, v14 bitop3:0x40
	s_mov_b32 s45, exec_lo
	v_cmpx_gt_u32_e32 8, v55
; %bb.245:                              ;   in Loop: Header=BB258_12 Depth=1
	s_delay_alu instid0(VALU_DEP_2) | instskip(NEXT) | instid1(VALU_DEP_1)
	v_clz_i32_u32_e32 v4, v4
	v_min_u32_e32 v4, 32, v4
	s_delay_alu instid0(VALU_DEP_1) | instskip(NEXT) | instid1(VALU_DEP_1)
	v_subrev_nc_u32_e32 v54, 28, v4
	v_lshlrev_b64_e32 v[56:57], v54, v[14:15]
	v_sub_nc_u32_e32 v54, 29, v4
	s_delay_alu instid0(VALU_DEP_2)
	v_and_b32_e32 v4, 7, v56
; %bb.246:                              ;   in Loop: Header=BB258_12 Depth=1
	s_or_b32 exec_lo, exec_lo, s45
	s_delay_alu instid0(VALU_DEP_1) | instskip(NEXT) | instid1(VALU_DEP_3)
	v_dual_lshlrev_b32 v55, 8, v14 :: v_dual_lshlrev_b32 v4, 7, v4
	v_lshl_add_u32 v54, v54, 10, 0x2000
	s_delay_alu instid0(VALU_DEP_2) | instskip(NEXT) | instid1(VALU_DEP_2)
	v_and_b32_e32 v55, 0x8000, v55
	v_and_b32_e32 v54, 0xfc00, v54
	s_delay_alu instid0(VALU_DEP_1)
	v_or3_b32 v54, v55, v54, v4
.LBB258_247:                            ;   in Loop: Header=BB258_12 Depth=1
	s_or_b32 exec_lo, exec_lo, s44
.LBB258_248:                            ;   in Loop: Header=BB258_12 Depth=1
	s_delay_alu instid0(SALU_CYCLE_1)
	s_or_b32 exec_lo, exec_lo, s43
.LBB258_249:                            ;   in Loop: Header=BB258_12 Depth=1
	s_delay_alu instid0(SALU_CYCLE_1) | instskip(SKIP_2) | instid1(VALU_DEP_1)
	s_or_b32 exec_lo, exec_lo, s42
	v_lshrrev_b16 v4, 8, v14
	s_mov_b32 s42, exec_lo
	v_cmpx_ne_u16_e32 0, v4
	s_cbranch_execz .LBB258_257
; %bb.250:                              ;   in Loop: Header=BB258_12 Depth=1
	v_bfrev_b32_e32 v53, 1
	s_mov_b32 s43, exec_lo
	v_cmpx_ne_u16_e32 0x80, v4
	s_cbranch_execz .LBB258_256
; %bb.251:                              ;   in Loop: Header=BB258_12 Depth=1
	v_and_b32_e32 v55, 0xffff, v4
	v_mov_b32_e32 v53, 0x7c010000
	s_mov_b32 s44, exec_lo
	s_delay_alu instid0(VALU_DEP_2) | instskip(NEXT) | instid1(VALU_DEP_1)
	v_and_b32_e32 v57, 0x7f, v55
	v_cmpx_ne_u32_e32 0x7f, v57
	s_cbranch_execz .LBB258_255
; %bb.252:                              ;   in Loop: Header=BB258_12 Depth=1
	v_dual_lshrrev_b32 v56, 3, v57 :: v_dual_bitop2_b32 v53, 7, v55 bitop3:0x40
	s_mov_b32 s45, exec_lo
	v_cmpx_gt_u32_e32 8, v57
; %bb.253:                              ;   in Loop: Header=BB258_12 Depth=1
	s_delay_alu instid0(VALU_DEP_2) | instskip(NEXT) | instid1(VALU_DEP_1)
	v_clz_i32_u32_e32 v53, v53
	v_min_u32_e32 v53, 32, v53
	s_delay_alu instid0(VALU_DEP_1) | instskip(NEXT) | instid1(VALU_DEP_1)
	v_subrev_nc_u32_e32 v56, 28, v53
	v_lshlrev_b64_e32 v[58:59], v56, v[4:5]
	s_delay_alu instid0(VALU_DEP_1)
	v_dual_sub_nc_u32 v56, 29, v53 :: v_dual_bitop2_b32 v53, 7, v58 bitop3:0x40
; %bb.254:                              ;   in Loop: Header=BB258_12 Depth=1
	s_or_b32 exec_lo, exec_lo, s45
	s_delay_alu instid0(VALU_DEP_1) | instskip(NEXT) | instid1(VALU_DEP_2)
	v_dual_lshlrev_b32 v4, 8, v55 :: v_dual_lshlrev_b32 v53, 23, v53
	v_lshl_add_u32 v55, v56, 10, 0x2000
	s_delay_alu instid0(VALU_DEP_1) | instskip(NEXT) | instid1(VALU_DEP_1)
	v_and_or_b32 v4, 0x8000, v4, v55
	v_lshl_or_b32 v53, v4, 16, v53
.LBB258_255:                            ;   in Loop: Header=BB258_12 Depth=1
	s_or_b32 exec_lo, exec_lo, s44
.LBB258_256:                            ;   in Loop: Header=BB258_12 Depth=1
	s_delay_alu instid0(SALU_CYCLE_1)
	s_or_b32 exec_lo, exec_lo, s43
.LBB258_257:                            ;   in Loop: Header=BB258_12 Depth=1
	s_delay_alu instid0(SALU_CYCLE_1) | instskip(SKIP_3) | instid1(VALU_DEP_2)
	s_or_b32 exec_lo, exec_lo, s42
	v_dual_mov_b32 v55, 0 :: v_dual_lshrrev_b32 v4, 16, v14
	v_mov_b32_e32 v56, 0
	s_mov_b32 s42, exec_lo
	v_and_b32_e32 v57, 0xff, v4
	s_delay_alu instid0(VALU_DEP_1)
	v_cmpx_ne_u16_e32 0, v57
	s_cbranch_execz .LBB258_265
; %bb.258:                              ;   in Loop: Header=BB258_12 Depth=1
	v_mov_b32_e32 v56, 0x8000
	s_mov_b32 s43, exec_lo
	v_cmpx_ne_u16_e32 0x80, v57
	s_cbranch_execz .LBB258_264
; %bb.259:                              ;   in Loop: Header=BB258_12 Depth=1
	v_bfe_u32 v58, v14, 16, 7
	v_mov_b32_e32 v56, 0x7c01
	s_mov_b32 s44, exec_lo
	s_delay_alu instid0(VALU_DEP_2)
	v_cmpx_ne_u32_e32 0x7f, v58
	s_cbranch_execz .LBB258_263
; %bb.260:                              ;   in Loop: Header=BB258_12 Depth=1
	v_dual_lshrrev_b32 v57, 3, v58 :: v_dual_bitop2_b32 v56, 7, v4 bitop3:0x40
	s_mov_b32 s45, exec_lo
	v_cmpx_gt_u32_e32 8, v58
; %bb.261:                              ;   in Loop: Header=BB258_12 Depth=1
	s_delay_alu instid0(VALU_DEP_2) | instskip(NEXT) | instid1(VALU_DEP_1)
	v_clz_i32_u32_e32 v56, v56
	v_min_u32_e32 v58, 32, v56
	s_delay_alu instid0(VALU_DEP_1) | instskip(NEXT) | instid1(VALU_DEP_1)
	v_subrev_nc_u32_e32 v56, 28, v58
	v_lshlrev_b64_e32 v[56:57], v56, v[4:5]
	s_delay_alu instid0(VALU_DEP_1)
	v_dual_sub_nc_u32 v57, 29, v58 :: v_dual_bitop2_b32 v56, 7, v56 bitop3:0x40
; %bb.262:                              ;   in Loop: Header=BB258_12 Depth=1
	s_or_b32 exec_lo, exec_lo, s45
	v_lshlrev_b32_e32 v4, 8, v4
	s_delay_alu instid0(VALU_DEP_2) | instskip(NEXT) | instid1(VALU_DEP_3)
	v_lshl_add_u32 v57, v57, 10, 0x2000
	v_lshlrev_b32_e32 v56, 7, v56
	s_delay_alu instid0(VALU_DEP_3) | instskip(NEXT) | instid1(VALU_DEP_3)
	v_and_b32_e32 v4, 0x8000, v4
	v_and_b32_e32 v57, 0xfc00, v57
	s_delay_alu instid0(VALU_DEP_1)
	v_or3_b32 v56, v4, v57, v56
.LBB258_263:                            ;   in Loop: Header=BB258_12 Depth=1
	s_or_b32 exec_lo, exec_lo, s44
.LBB258_264:                            ;   in Loop: Header=BB258_12 Depth=1
	s_delay_alu instid0(SALU_CYCLE_1)
	s_or_b32 exec_lo, exec_lo, s43
.LBB258_265:                            ;   in Loop: Header=BB258_12 Depth=1
	s_delay_alu instid0(SALU_CYCLE_1) | instskip(NEXT) | instid1(SALU_CYCLE_1)
	s_or_b32 exec_lo, exec_lo, s42
	s_mov_b32 s42, exec_lo
	v_cmpx_lt_u32_e32 0xffffff, v14
	s_cbranch_execz .LBB258_273
; %bb.266:                              ;   in Loop: Header=BB258_12 Depth=1
	v_lshrrev_b32_e32 v4, 24, v14
	v_bfrev_b32_e32 v55, 1
	s_mov_b32 s43, exec_lo
	s_delay_alu instid0(VALU_DEP_2)
	v_cmpx_ne_u32_e32 0x80, v4
	s_cbranch_execz .LBB258_272
; %bb.267:                              ;   in Loop: Header=BB258_12 Depth=1
	v_and_b32_e32 v57, 0x7f, v4
	v_mov_b32_e32 v55, 0x7c010000
	s_mov_b32 s44, exec_lo
	s_delay_alu instid0(VALU_DEP_2)
	v_cmpx_ne_u32_e32 0x7f, v57
	s_cbranch_execz .LBB258_271
; %bb.268:                              ;   in Loop: Header=BB258_12 Depth=1
	v_dual_lshrrev_b32 v55, 3, v57 :: v_dual_bitop2_b32 v14, 7, v4 bitop3:0x40
	s_mov_b32 s45, exec_lo
	v_cmpx_gt_u32_e32 8, v57
; %bb.269:                              ;   in Loop: Header=BB258_12 Depth=1
	s_delay_alu instid0(VALU_DEP_2) | instskip(NEXT) | instid1(VALU_DEP_1)
	v_clz_i32_u32_e32 v14, v14
	v_min_u32_e32 v14, 32, v14
	s_delay_alu instid0(VALU_DEP_1) | instskip(NEXT) | instid1(VALU_DEP_1)
	v_subrev_nc_u32_e32 v55, 28, v14
	v_lshlrev_b64_e32 v[58:59], v55, v[4:5]
	v_sub_nc_u32_e32 v55, 29, v14
	s_delay_alu instid0(VALU_DEP_2)
	v_and_b32_e32 v14, 7, v58
; %bb.270:                              ;   in Loop: Header=BB258_12 Depth=1
	s_or_b32 exec_lo, exec_lo, s45
	s_delay_alu instid0(VALU_DEP_1) | instskip(NEXT) | instid1(VALU_DEP_3)
	v_dual_lshlrev_b32 v4, 8, v4 :: v_dual_lshlrev_b32 v14, 23, v14
	v_lshl_add_u32 v55, v55, 10, 0x2000
	s_delay_alu instid0(VALU_DEP_1) | instskip(NEXT) | instid1(VALU_DEP_1)
	v_and_or_b32 v4, 0x8000, v4, v55
	v_lshl_or_b32 v55, v4, 16, v14
.LBB258_271:                            ;   in Loop: Header=BB258_12 Depth=1
	s_or_b32 exec_lo, exec_lo, s44
.LBB258_272:                            ;   in Loop: Header=BB258_12 Depth=1
	s_delay_alu instid0(SALU_CYCLE_1)
	s_or_b32 exec_lo, exec_lo, s43
.LBB258_273:                            ;   in Loop: Header=BB258_12 Depth=1
	s_delay_alu instid0(SALU_CYCLE_1)
	s_or_b32 exec_lo, exec_lo, s42
	global_load_b32 v14, v[12:13], off offset:1024
	v_dual_mov_b32 v57, 0 :: v_dual_mov_b32 v58, 0
	s_mov_b32 s42, exec_lo
	s_wait_loadcnt 0x0
	v_and_b32_e32 v4, 0xff, v14
	s_delay_alu instid0(VALU_DEP_1)
	v_cmpx_ne_u16_e32 0, v4
	s_cbranch_execz .LBB258_281
; %bb.274:                              ;   in Loop: Header=BB258_12 Depth=1
	v_mov_b32_e32 v58, 0x8000
	s_mov_b32 s43, exec_lo
	v_cmpx_ne_u16_e32 0x80, v4
	s_cbranch_execz .LBB258_280
; %bb.275:                              ;   in Loop: Header=BB258_12 Depth=1
	v_and_b32_e32 v59, 0x7f, v14
	v_mov_b32_e32 v58, 0x7c01
	s_mov_b32 s44, exec_lo
	s_delay_alu instid0(VALU_DEP_2)
	v_cmpx_ne_u32_e32 0x7f, v59
	s_cbranch_execz .LBB258_279
; %bb.276:                              ;   in Loop: Header=BB258_12 Depth=1
	v_dual_lshrrev_b32 v58, 3, v59 :: v_dual_bitop2_b32 v4, 7, v14 bitop3:0x40
	s_mov_b32 s45, exec_lo
	v_cmpx_gt_u32_e32 8, v59
; %bb.277:                              ;   in Loop: Header=BB258_12 Depth=1
	s_delay_alu instid0(VALU_DEP_2) | instskip(NEXT) | instid1(VALU_DEP_1)
	v_clz_i32_u32_e32 v4, v4
	v_min_u32_e32 v4, 32, v4
	s_delay_alu instid0(VALU_DEP_1) | instskip(NEXT) | instid1(VALU_DEP_1)
	v_subrev_nc_u32_e32 v58, 28, v4
	v_lshlrev_b64_e32 v[60:61], v58, v[14:15]
	v_sub_nc_u32_e32 v58, 29, v4
	s_delay_alu instid0(VALU_DEP_2)
	v_and_b32_e32 v4, 7, v60
; %bb.278:                              ;   in Loop: Header=BB258_12 Depth=1
	s_or_b32 exec_lo, exec_lo, s45
	s_delay_alu instid0(VALU_DEP_1) | instskip(NEXT) | instid1(VALU_DEP_3)
	v_dual_lshlrev_b32 v59, 8, v14 :: v_dual_lshlrev_b32 v4, 7, v4
	v_lshl_add_u32 v58, v58, 10, 0x2000
	s_delay_alu instid0(VALU_DEP_2) | instskip(NEXT) | instid1(VALU_DEP_2)
	v_and_b32_e32 v59, 0x8000, v59
	v_and_b32_e32 v58, 0xfc00, v58
	s_delay_alu instid0(VALU_DEP_1)
	v_or3_b32 v58, v59, v58, v4
.LBB258_279:                            ;   in Loop: Header=BB258_12 Depth=1
	s_or_b32 exec_lo, exec_lo, s44
.LBB258_280:                            ;   in Loop: Header=BB258_12 Depth=1
	s_delay_alu instid0(SALU_CYCLE_1)
	s_or_b32 exec_lo, exec_lo, s43
.LBB258_281:                            ;   in Loop: Header=BB258_12 Depth=1
	s_delay_alu instid0(SALU_CYCLE_1) | instskip(SKIP_2) | instid1(VALU_DEP_1)
	s_or_b32 exec_lo, exec_lo, s42
	v_lshrrev_b16 v4, 8, v14
	s_mov_b32 s42, exec_lo
	v_cmpx_ne_u16_e32 0, v4
	s_cbranch_execz .LBB258_289
; %bb.282:                              ;   in Loop: Header=BB258_12 Depth=1
	v_bfrev_b32_e32 v57, 1
	s_mov_b32 s43, exec_lo
	v_cmpx_ne_u16_e32 0x80, v4
	s_cbranch_execz .LBB258_288
; %bb.283:                              ;   in Loop: Header=BB258_12 Depth=1
	v_and_b32_e32 v59, 0xffff, v4
	v_mov_b32_e32 v57, 0x7c010000
	s_mov_b32 s44, exec_lo
	s_delay_alu instid0(VALU_DEP_2) | instskip(NEXT) | instid1(VALU_DEP_1)
	v_and_b32_e32 v61, 0x7f, v59
	v_cmpx_ne_u32_e32 0x7f, v61
	s_cbranch_execz .LBB258_287
; %bb.284:                              ;   in Loop: Header=BB258_12 Depth=1
	v_dual_lshrrev_b32 v60, 3, v61 :: v_dual_bitop2_b32 v57, 7, v59 bitop3:0x40
	s_mov_b32 s45, exec_lo
	v_cmpx_gt_u32_e32 8, v61
; %bb.285:                              ;   in Loop: Header=BB258_12 Depth=1
	s_delay_alu instid0(VALU_DEP_2) | instskip(NEXT) | instid1(VALU_DEP_1)
	v_clz_i32_u32_e32 v57, v57
	v_min_u32_e32 v57, 32, v57
	s_delay_alu instid0(VALU_DEP_1) | instskip(NEXT) | instid1(VALU_DEP_1)
	v_subrev_nc_u32_e32 v60, 28, v57
	v_lshlrev_b64_e32 v[62:63], v60, v[4:5]
	s_delay_alu instid0(VALU_DEP_1)
	v_dual_sub_nc_u32 v60, 29, v57 :: v_dual_bitop2_b32 v57, 7, v62 bitop3:0x40
; %bb.286:                              ;   in Loop: Header=BB258_12 Depth=1
	s_or_b32 exec_lo, exec_lo, s45
	s_delay_alu instid0(VALU_DEP_1) | instskip(NEXT) | instid1(VALU_DEP_2)
	v_dual_lshlrev_b32 v4, 8, v59 :: v_dual_lshlrev_b32 v57, 23, v57
	v_lshl_add_u32 v59, v60, 10, 0x2000
	s_delay_alu instid0(VALU_DEP_1) | instskip(NEXT) | instid1(VALU_DEP_1)
	v_and_or_b32 v4, 0x8000, v4, v59
	v_lshl_or_b32 v57, v4, 16, v57
.LBB258_287:                            ;   in Loop: Header=BB258_12 Depth=1
	s_or_b32 exec_lo, exec_lo, s44
.LBB258_288:                            ;   in Loop: Header=BB258_12 Depth=1
	s_delay_alu instid0(SALU_CYCLE_1)
	s_or_b32 exec_lo, exec_lo, s43
.LBB258_289:                            ;   in Loop: Header=BB258_12 Depth=1
	s_delay_alu instid0(SALU_CYCLE_1) | instskip(SKIP_3) | instid1(VALU_DEP_2)
	s_or_b32 exec_lo, exec_lo, s42
	v_dual_mov_b32 v59, 0 :: v_dual_lshrrev_b32 v4, 16, v14
	v_mov_b32_e32 v60, 0
	s_mov_b32 s42, exec_lo
	v_and_b32_e32 v61, 0xff, v4
	s_delay_alu instid0(VALU_DEP_1)
	v_cmpx_ne_u16_e32 0, v61
	s_cbranch_execz .LBB258_297
; %bb.290:                              ;   in Loop: Header=BB258_12 Depth=1
	v_mov_b32_e32 v60, 0x8000
	s_mov_b32 s43, exec_lo
	v_cmpx_ne_u16_e32 0x80, v61
	s_cbranch_execz .LBB258_296
; %bb.291:                              ;   in Loop: Header=BB258_12 Depth=1
	v_bfe_u32 v62, v14, 16, 7
	v_mov_b32_e32 v60, 0x7c01
	s_mov_b32 s44, exec_lo
	s_delay_alu instid0(VALU_DEP_2)
	v_cmpx_ne_u32_e32 0x7f, v62
	s_cbranch_execz .LBB258_295
; %bb.292:                              ;   in Loop: Header=BB258_12 Depth=1
	v_dual_lshrrev_b32 v61, 3, v62 :: v_dual_bitop2_b32 v60, 7, v4 bitop3:0x40
	s_mov_b32 s45, exec_lo
	v_cmpx_gt_u32_e32 8, v62
; %bb.293:                              ;   in Loop: Header=BB258_12 Depth=1
	s_delay_alu instid0(VALU_DEP_2) | instskip(NEXT) | instid1(VALU_DEP_1)
	v_clz_i32_u32_e32 v60, v60
	v_min_u32_e32 v62, 32, v60
	s_delay_alu instid0(VALU_DEP_1) | instskip(NEXT) | instid1(VALU_DEP_1)
	v_subrev_nc_u32_e32 v60, 28, v62
	v_lshlrev_b64_e32 v[60:61], v60, v[4:5]
	s_delay_alu instid0(VALU_DEP_1)
	v_dual_sub_nc_u32 v61, 29, v62 :: v_dual_bitop2_b32 v60, 7, v60 bitop3:0x40
; %bb.294:                              ;   in Loop: Header=BB258_12 Depth=1
	s_or_b32 exec_lo, exec_lo, s45
	v_lshlrev_b32_e32 v4, 8, v4
	s_delay_alu instid0(VALU_DEP_2) | instskip(NEXT) | instid1(VALU_DEP_3)
	v_lshl_add_u32 v61, v61, 10, 0x2000
	v_lshlrev_b32_e32 v60, 7, v60
	s_delay_alu instid0(VALU_DEP_3) | instskip(NEXT) | instid1(VALU_DEP_3)
	v_and_b32_e32 v4, 0x8000, v4
	v_and_b32_e32 v61, 0xfc00, v61
	s_delay_alu instid0(VALU_DEP_1)
	v_or3_b32 v60, v4, v61, v60
.LBB258_295:                            ;   in Loop: Header=BB258_12 Depth=1
	s_or_b32 exec_lo, exec_lo, s44
.LBB258_296:                            ;   in Loop: Header=BB258_12 Depth=1
	s_delay_alu instid0(SALU_CYCLE_1)
	s_or_b32 exec_lo, exec_lo, s43
.LBB258_297:                            ;   in Loop: Header=BB258_12 Depth=1
	s_delay_alu instid0(SALU_CYCLE_1) | instskip(NEXT) | instid1(SALU_CYCLE_1)
	s_or_b32 exec_lo, exec_lo, s42
	s_mov_b32 s42, exec_lo
	v_cmpx_lt_u32_e32 0xffffff, v14
	s_cbranch_execz .LBB258_305
; %bb.298:                              ;   in Loop: Header=BB258_12 Depth=1
	v_lshrrev_b32_e32 v4, 24, v14
	v_bfrev_b32_e32 v59, 1
	s_mov_b32 s43, exec_lo
	s_delay_alu instid0(VALU_DEP_2)
	v_cmpx_ne_u32_e32 0x80, v4
	s_cbranch_execz .LBB258_304
; %bb.299:                              ;   in Loop: Header=BB258_12 Depth=1
	v_and_b32_e32 v61, 0x7f, v4
	v_mov_b32_e32 v59, 0x7c010000
	s_mov_b32 s44, exec_lo
	s_delay_alu instid0(VALU_DEP_2)
	v_cmpx_ne_u32_e32 0x7f, v61
	s_cbranch_execz .LBB258_303
; %bb.300:                              ;   in Loop: Header=BB258_12 Depth=1
	v_dual_lshrrev_b32 v59, 3, v61 :: v_dual_bitop2_b32 v14, 7, v4 bitop3:0x40
	s_mov_b32 s45, exec_lo
	v_cmpx_gt_u32_e32 8, v61
; %bb.301:                              ;   in Loop: Header=BB258_12 Depth=1
	s_delay_alu instid0(VALU_DEP_2) | instskip(NEXT) | instid1(VALU_DEP_1)
	v_clz_i32_u32_e32 v14, v14
	v_min_u32_e32 v14, 32, v14
	s_delay_alu instid0(VALU_DEP_1) | instskip(NEXT) | instid1(VALU_DEP_1)
	v_subrev_nc_u32_e32 v59, 28, v14
	v_lshlrev_b64_e32 v[62:63], v59, v[4:5]
	v_sub_nc_u32_e32 v59, 29, v14
	s_delay_alu instid0(VALU_DEP_2)
	v_and_b32_e32 v14, 7, v62
; %bb.302:                              ;   in Loop: Header=BB258_12 Depth=1
	s_or_b32 exec_lo, exec_lo, s45
	s_delay_alu instid0(VALU_DEP_1) | instskip(NEXT) | instid1(VALU_DEP_3)
	v_dual_lshlrev_b32 v4, 8, v4 :: v_dual_lshlrev_b32 v14, 23, v14
	v_lshl_add_u32 v59, v59, 10, 0x2000
	s_delay_alu instid0(VALU_DEP_1) | instskip(NEXT) | instid1(VALU_DEP_1)
	v_and_or_b32 v4, 0x8000, v4, v59
	v_lshl_or_b32 v59, v4, 16, v14
.LBB258_303:                            ;   in Loop: Header=BB258_12 Depth=1
	s_or_b32 exec_lo, exec_lo, s44
.LBB258_304:                            ;   in Loop: Header=BB258_12 Depth=1
	s_delay_alu instid0(SALU_CYCLE_1)
	s_or_b32 exec_lo, exec_lo, s43
.LBB258_305:                            ;   in Loop: Header=BB258_12 Depth=1
	s_delay_alu instid0(SALU_CYCLE_1)
	s_or_b32 exec_lo, exec_lo, s42
	global_load_b32 v14, v[12:13], off offset:1032
	v_dual_mov_b32 v61, 0 :: v_dual_mov_b32 v62, 0
	s_mov_b32 s42, exec_lo
	s_wait_loadcnt 0x0
	v_and_b32_e32 v4, 0xff, v14
	s_delay_alu instid0(VALU_DEP_1)
	v_cmpx_ne_u16_e32 0, v4
	s_cbranch_execz .LBB258_313
; %bb.306:                              ;   in Loop: Header=BB258_12 Depth=1
	v_mov_b32_e32 v62, 0x8000
	s_mov_b32 s43, exec_lo
	v_cmpx_ne_u16_e32 0x80, v4
	s_cbranch_execz .LBB258_312
; %bb.307:                              ;   in Loop: Header=BB258_12 Depth=1
	v_and_b32_e32 v63, 0x7f, v14
	v_mov_b32_e32 v62, 0x7c01
	s_mov_b32 s44, exec_lo
	s_delay_alu instid0(VALU_DEP_2)
	v_cmpx_ne_u32_e32 0x7f, v63
	s_cbranch_execz .LBB258_311
; %bb.308:                              ;   in Loop: Header=BB258_12 Depth=1
	v_dual_lshrrev_b32 v62, 3, v63 :: v_dual_bitop2_b32 v4, 7, v14 bitop3:0x40
	s_mov_b32 s45, exec_lo
	v_cmpx_gt_u32_e32 8, v63
; %bb.309:                              ;   in Loop: Header=BB258_12 Depth=1
	s_delay_alu instid0(VALU_DEP_2) | instskip(NEXT) | instid1(VALU_DEP_1)
	v_clz_i32_u32_e32 v4, v4
	v_min_u32_e32 v4, 32, v4
	s_delay_alu instid0(VALU_DEP_1) | instskip(NEXT) | instid1(VALU_DEP_1)
	v_subrev_nc_u32_e32 v62, 28, v4
	v_lshlrev_b64_e32 v[64:65], v62, v[14:15]
	v_sub_nc_u32_e32 v62, 29, v4
	s_delay_alu instid0(VALU_DEP_2)
	v_and_b32_e32 v4, 7, v64
; %bb.310:                              ;   in Loop: Header=BB258_12 Depth=1
	s_or_b32 exec_lo, exec_lo, s45
	s_delay_alu instid0(VALU_DEP_1) | instskip(NEXT) | instid1(VALU_DEP_3)
	v_dual_lshlrev_b32 v63, 8, v14 :: v_dual_lshlrev_b32 v4, 7, v4
	v_lshl_add_u32 v62, v62, 10, 0x2000
	s_delay_alu instid0(VALU_DEP_2) | instskip(NEXT) | instid1(VALU_DEP_2)
	v_and_b32_e32 v63, 0x8000, v63
	v_and_b32_e32 v62, 0xfc00, v62
	s_delay_alu instid0(VALU_DEP_1)
	v_or3_b32 v62, v63, v62, v4
.LBB258_311:                            ;   in Loop: Header=BB258_12 Depth=1
	s_or_b32 exec_lo, exec_lo, s44
.LBB258_312:                            ;   in Loop: Header=BB258_12 Depth=1
	s_delay_alu instid0(SALU_CYCLE_1)
	s_or_b32 exec_lo, exec_lo, s43
.LBB258_313:                            ;   in Loop: Header=BB258_12 Depth=1
	s_delay_alu instid0(SALU_CYCLE_1) | instskip(SKIP_2) | instid1(VALU_DEP_1)
	s_or_b32 exec_lo, exec_lo, s42
	v_lshrrev_b16 v4, 8, v14
	s_mov_b32 s42, exec_lo
	v_cmpx_ne_u16_e32 0, v4
	s_cbranch_execz .LBB258_321
; %bb.314:                              ;   in Loop: Header=BB258_12 Depth=1
	v_bfrev_b32_e32 v61, 1
	s_mov_b32 s43, exec_lo
	v_cmpx_ne_u16_e32 0x80, v4
	s_cbranch_execz .LBB258_320
; %bb.315:                              ;   in Loop: Header=BB258_12 Depth=1
	v_and_b32_e32 v63, 0xffff, v4
	v_mov_b32_e32 v61, 0x7c010000
	s_mov_b32 s44, exec_lo
	s_delay_alu instid0(VALU_DEP_2) | instskip(NEXT) | instid1(VALU_DEP_1)
	v_and_b32_e32 v65, 0x7f, v63
	v_cmpx_ne_u32_e32 0x7f, v65
	s_cbranch_execz .LBB258_319
; %bb.316:                              ;   in Loop: Header=BB258_12 Depth=1
	v_dual_lshrrev_b32 v64, 3, v65 :: v_dual_bitop2_b32 v61, 7, v63 bitop3:0x40
	s_mov_b32 s45, exec_lo
	v_cmpx_gt_u32_e32 8, v65
; %bb.317:                              ;   in Loop: Header=BB258_12 Depth=1
	s_delay_alu instid0(VALU_DEP_2) | instskip(NEXT) | instid1(VALU_DEP_1)
	v_clz_i32_u32_e32 v61, v61
	v_min_u32_e32 v61, 32, v61
	s_delay_alu instid0(VALU_DEP_1) | instskip(NEXT) | instid1(VALU_DEP_1)
	v_subrev_nc_u32_e32 v64, 28, v61
	v_lshlrev_b64_e32 v[66:67], v64, v[4:5]
	s_delay_alu instid0(VALU_DEP_1)
	v_dual_sub_nc_u32 v64, 29, v61 :: v_dual_bitop2_b32 v61, 7, v66 bitop3:0x40
; %bb.318:                              ;   in Loop: Header=BB258_12 Depth=1
	s_or_b32 exec_lo, exec_lo, s45
	s_delay_alu instid0(VALU_DEP_1) | instskip(NEXT) | instid1(VALU_DEP_2)
	v_dual_lshlrev_b32 v4, 8, v63 :: v_dual_lshlrev_b32 v61, 23, v61
	v_lshl_add_u32 v63, v64, 10, 0x2000
	s_delay_alu instid0(VALU_DEP_1) | instskip(NEXT) | instid1(VALU_DEP_1)
	v_and_or_b32 v4, 0x8000, v4, v63
	v_lshl_or_b32 v61, v4, 16, v61
.LBB258_319:                            ;   in Loop: Header=BB258_12 Depth=1
	s_or_b32 exec_lo, exec_lo, s44
.LBB258_320:                            ;   in Loop: Header=BB258_12 Depth=1
	s_delay_alu instid0(SALU_CYCLE_1)
	s_or_b32 exec_lo, exec_lo, s43
.LBB258_321:                            ;   in Loop: Header=BB258_12 Depth=1
	s_delay_alu instid0(SALU_CYCLE_1) | instskip(SKIP_3) | instid1(VALU_DEP_2)
	s_or_b32 exec_lo, exec_lo, s42
	v_dual_mov_b32 v63, 0 :: v_dual_lshrrev_b32 v4, 16, v14
	v_mov_b32_e32 v64, 0
	s_mov_b32 s42, exec_lo
	v_and_b32_e32 v65, 0xff, v4
	s_delay_alu instid0(VALU_DEP_1)
	v_cmpx_ne_u16_e32 0, v65
	s_cbranch_execz .LBB258_329
; %bb.322:                              ;   in Loop: Header=BB258_12 Depth=1
	v_mov_b32_e32 v64, 0x8000
	s_mov_b32 s43, exec_lo
	v_cmpx_ne_u16_e32 0x80, v65
	s_cbranch_execz .LBB258_328
; %bb.323:                              ;   in Loop: Header=BB258_12 Depth=1
	v_bfe_u32 v66, v14, 16, 7
	v_mov_b32_e32 v64, 0x7c01
	s_mov_b32 s44, exec_lo
	s_delay_alu instid0(VALU_DEP_2)
	v_cmpx_ne_u32_e32 0x7f, v66
	s_cbranch_execz .LBB258_327
; %bb.324:                              ;   in Loop: Header=BB258_12 Depth=1
	v_dual_lshrrev_b32 v65, 3, v66 :: v_dual_bitop2_b32 v64, 7, v4 bitop3:0x40
	s_mov_b32 s45, exec_lo
	v_cmpx_gt_u32_e32 8, v66
; %bb.325:                              ;   in Loop: Header=BB258_12 Depth=1
	s_delay_alu instid0(VALU_DEP_2) | instskip(NEXT) | instid1(VALU_DEP_1)
	v_clz_i32_u32_e32 v64, v64
	v_min_u32_e32 v66, 32, v64
	s_delay_alu instid0(VALU_DEP_1) | instskip(NEXT) | instid1(VALU_DEP_1)
	v_subrev_nc_u32_e32 v64, 28, v66
	v_lshlrev_b64_e32 v[64:65], v64, v[4:5]
	s_delay_alu instid0(VALU_DEP_1)
	v_dual_sub_nc_u32 v65, 29, v66 :: v_dual_bitop2_b32 v64, 7, v64 bitop3:0x40
; %bb.326:                              ;   in Loop: Header=BB258_12 Depth=1
	s_or_b32 exec_lo, exec_lo, s45
	v_lshlrev_b32_e32 v4, 8, v4
	s_delay_alu instid0(VALU_DEP_2) | instskip(NEXT) | instid1(VALU_DEP_3)
	v_lshl_add_u32 v65, v65, 10, 0x2000
	v_lshlrev_b32_e32 v64, 7, v64
	s_delay_alu instid0(VALU_DEP_3) | instskip(NEXT) | instid1(VALU_DEP_3)
	v_and_b32_e32 v4, 0x8000, v4
	v_and_b32_e32 v65, 0xfc00, v65
	s_delay_alu instid0(VALU_DEP_1)
	v_or3_b32 v64, v4, v65, v64
.LBB258_327:                            ;   in Loop: Header=BB258_12 Depth=1
	s_or_b32 exec_lo, exec_lo, s44
.LBB258_328:                            ;   in Loop: Header=BB258_12 Depth=1
	s_delay_alu instid0(SALU_CYCLE_1)
	s_or_b32 exec_lo, exec_lo, s43
.LBB258_329:                            ;   in Loop: Header=BB258_12 Depth=1
	s_delay_alu instid0(SALU_CYCLE_1) | instskip(NEXT) | instid1(SALU_CYCLE_1)
	s_or_b32 exec_lo, exec_lo, s42
	s_mov_b32 s42, exec_lo
	v_cmpx_lt_u32_e32 0xffffff, v14
	s_cbranch_execz .LBB258_337
; %bb.330:                              ;   in Loop: Header=BB258_12 Depth=1
	v_lshrrev_b32_e32 v4, 24, v14
	v_bfrev_b32_e32 v63, 1
	s_mov_b32 s43, exec_lo
	s_delay_alu instid0(VALU_DEP_2)
	v_cmpx_ne_u32_e32 0x80, v4
	s_cbranch_execz .LBB258_336
; %bb.331:                              ;   in Loop: Header=BB258_12 Depth=1
	v_and_b32_e32 v65, 0x7f, v4
	v_mov_b32_e32 v63, 0x7c010000
	s_mov_b32 s44, exec_lo
	s_delay_alu instid0(VALU_DEP_2)
	v_cmpx_ne_u32_e32 0x7f, v65
	s_cbranch_execz .LBB258_335
; %bb.332:                              ;   in Loop: Header=BB258_12 Depth=1
	v_dual_lshrrev_b32 v63, 3, v65 :: v_dual_bitop2_b32 v14, 7, v4 bitop3:0x40
	s_mov_b32 s45, exec_lo
	v_cmpx_gt_u32_e32 8, v65
; %bb.333:                              ;   in Loop: Header=BB258_12 Depth=1
	s_delay_alu instid0(VALU_DEP_2) | instskip(NEXT) | instid1(VALU_DEP_1)
	v_clz_i32_u32_e32 v14, v14
	v_min_u32_e32 v14, 32, v14
	s_delay_alu instid0(VALU_DEP_1) | instskip(NEXT) | instid1(VALU_DEP_1)
	v_subrev_nc_u32_e32 v63, 28, v14
	v_lshlrev_b64_e32 v[66:67], v63, v[4:5]
	v_sub_nc_u32_e32 v63, 29, v14
	s_delay_alu instid0(VALU_DEP_2)
	v_and_b32_e32 v14, 7, v66
; %bb.334:                              ;   in Loop: Header=BB258_12 Depth=1
	s_or_b32 exec_lo, exec_lo, s45
	s_delay_alu instid0(VALU_DEP_1) | instskip(NEXT) | instid1(VALU_DEP_3)
	v_dual_lshlrev_b32 v4, 8, v4 :: v_dual_lshlrev_b32 v14, 23, v14
	v_lshl_add_u32 v63, v63, 10, 0x2000
	s_delay_alu instid0(VALU_DEP_1) | instskip(NEXT) | instid1(VALU_DEP_1)
	v_and_or_b32 v4, 0x8000, v4, v63
	v_lshl_or_b32 v63, v4, 16, v14
.LBB258_335:                            ;   in Loop: Header=BB258_12 Depth=1
	s_or_b32 exec_lo, exec_lo, s44
.LBB258_336:                            ;   in Loop: Header=BB258_12 Depth=1
	s_delay_alu instid0(SALU_CYCLE_1)
	s_or_b32 exec_lo, exec_lo, s43
.LBB258_337:                            ;   in Loop: Header=BB258_12 Depth=1
	s_delay_alu instid0(SALU_CYCLE_1)
	s_or_b32 exec_lo, exec_lo, s42
	global_load_b32 v14, v[12:13], off offset:1280
	v_dual_mov_b32 v65, 0 :: v_dual_mov_b32 v66, 0
	s_mov_b32 s42, exec_lo
	s_wait_loadcnt 0x0
	v_and_b32_e32 v4, 0xff, v14
	s_delay_alu instid0(VALU_DEP_1)
	v_cmpx_ne_u16_e32 0, v4
	s_cbranch_execz .LBB258_345
; %bb.338:                              ;   in Loop: Header=BB258_12 Depth=1
	v_mov_b32_e32 v66, 0x8000
	s_mov_b32 s43, exec_lo
	v_cmpx_ne_u16_e32 0x80, v4
	s_cbranch_execz .LBB258_344
; %bb.339:                              ;   in Loop: Header=BB258_12 Depth=1
	v_and_b32_e32 v67, 0x7f, v14
	v_mov_b32_e32 v66, 0x7c01
	s_mov_b32 s44, exec_lo
	s_delay_alu instid0(VALU_DEP_2)
	v_cmpx_ne_u32_e32 0x7f, v67
	s_cbranch_execz .LBB258_343
; %bb.340:                              ;   in Loop: Header=BB258_12 Depth=1
	v_dual_lshrrev_b32 v66, 3, v67 :: v_dual_bitop2_b32 v4, 7, v14 bitop3:0x40
	s_mov_b32 s45, exec_lo
	v_cmpx_gt_u32_e32 8, v67
; %bb.341:                              ;   in Loop: Header=BB258_12 Depth=1
	s_delay_alu instid0(VALU_DEP_2) | instskip(NEXT) | instid1(VALU_DEP_1)
	v_clz_i32_u32_e32 v4, v4
	v_min_u32_e32 v4, 32, v4
	s_delay_alu instid0(VALU_DEP_1) | instskip(NEXT) | instid1(VALU_DEP_1)
	v_subrev_nc_u32_e32 v66, 28, v4
	v_lshlrev_b64_e32 v[68:69], v66, v[14:15]
	v_sub_nc_u32_e32 v66, 29, v4
	s_delay_alu instid0(VALU_DEP_2)
	v_and_b32_e32 v4, 7, v68
; %bb.342:                              ;   in Loop: Header=BB258_12 Depth=1
	s_or_b32 exec_lo, exec_lo, s45
	s_delay_alu instid0(VALU_DEP_1) | instskip(NEXT) | instid1(VALU_DEP_3)
	v_dual_lshlrev_b32 v67, 8, v14 :: v_dual_lshlrev_b32 v4, 7, v4
	v_lshl_add_u32 v66, v66, 10, 0x2000
	s_delay_alu instid0(VALU_DEP_2) | instskip(NEXT) | instid1(VALU_DEP_2)
	v_and_b32_e32 v67, 0x8000, v67
	v_and_b32_e32 v66, 0xfc00, v66
	s_delay_alu instid0(VALU_DEP_1)
	v_or3_b32 v66, v67, v66, v4
.LBB258_343:                            ;   in Loop: Header=BB258_12 Depth=1
	s_or_b32 exec_lo, exec_lo, s44
.LBB258_344:                            ;   in Loop: Header=BB258_12 Depth=1
	s_delay_alu instid0(SALU_CYCLE_1)
	s_or_b32 exec_lo, exec_lo, s43
.LBB258_345:                            ;   in Loop: Header=BB258_12 Depth=1
	s_delay_alu instid0(SALU_CYCLE_1) | instskip(SKIP_2) | instid1(VALU_DEP_1)
	s_or_b32 exec_lo, exec_lo, s42
	v_lshrrev_b16 v4, 8, v14
	s_mov_b32 s42, exec_lo
	v_cmpx_ne_u16_e32 0, v4
	s_cbranch_execz .LBB258_353
; %bb.346:                              ;   in Loop: Header=BB258_12 Depth=1
	v_bfrev_b32_e32 v65, 1
	s_mov_b32 s43, exec_lo
	v_cmpx_ne_u16_e32 0x80, v4
	s_cbranch_execz .LBB258_352
; %bb.347:                              ;   in Loop: Header=BB258_12 Depth=1
	v_and_b32_e32 v67, 0xffff, v4
	v_mov_b32_e32 v65, 0x7c010000
	s_mov_b32 s44, exec_lo
	s_delay_alu instid0(VALU_DEP_2) | instskip(NEXT) | instid1(VALU_DEP_1)
	v_and_b32_e32 v69, 0x7f, v67
	v_cmpx_ne_u32_e32 0x7f, v69
	s_cbranch_execz .LBB258_351
; %bb.348:                              ;   in Loop: Header=BB258_12 Depth=1
	v_dual_lshrrev_b32 v68, 3, v69 :: v_dual_bitop2_b32 v65, 7, v67 bitop3:0x40
	s_mov_b32 s45, exec_lo
	v_cmpx_gt_u32_e32 8, v69
; %bb.349:                              ;   in Loop: Header=BB258_12 Depth=1
	s_delay_alu instid0(VALU_DEP_2) | instskip(NEXT) | instid1(VALU_DEP_1)
	v_clz_i32_u32_e32 v65, v65
	v_min_u32_e32 v65, 32, v65
	s_delay_alu instid0(VALU_DEP_1) | instskip(NEXT) | instid1(VALU_DEP_1)
	v_subrev_nc_u32_e32 v68, 28, v65
	v_lshlrev_b64_e32 v[70:71], v68, v[4:5]
	s_delay_alu instid0(VALU_DEP_1)
	v_dual_sub_nc_u32 v68, 29, v65 :: v_dual_bitop2_b32 v65, 7, v70 bitop3:0x40
; %bb.350:                              ;   in Loop: Header=BB258_12 Depth=1
	s_or_b32 exec_lo, exec_lo, s45
	s_delay_alu instid0(VALU_DEP_1) | instskip(NEXT) | instid1(VALU_DEP_2)
	v_dual_lshlrev_b32 v4, 8, v67 :: v_dual_lshlrev_b32 v65, 23, v65
	v_lshl_add_u32 v67, v68, 10, 0x2000
	s_delay_alu instid0(VALU_DEP_1) | instskip(NEXT) | instid1(VALU_DEP_1)
	v_and_or_b32 v4, 0x8000, v4, v67
	v_lshl_or_b32 v65, v4, 16, v65
.LBB258_351:                            ;   in Loop: Header=BB258_12 Depth=1
	s_or_b32 exec_lo, exec_lo, s44
.LBB258_352:                            ;   in Loop: Header=BB258_12 Depth=1
	s_delay_alu instid0(SALU_CYCLE_1)
	s_or_b32 exec_lo, exec_lo, s43
.LBB258_353:                            ;   in Loop: Header=BB258_12 Depth=1
	s_delay_alu instid0(SALU_CYCLE_1) | instskip(SKIP_3) | instid1(VALU_DEP_2)
	s_or_b32 exec_lo, exec_lo, s42
	v_dual_mov_b32 v67, 0 :: v_dual_lshrrev_b32 v4, 16, v14
	v_mov_b32_e32 v68, 0
	s_mov_b32 s42, exec_lo
	v_and_b32_e32 v69, 0xff, v4
	s_delay_alu instid0(VALU_DEP_1)
	v_cmpx_ne_u16_e32 0, v69
	s_cbranch_execz .LBB258_361
; %bb.354:                              ;   in Loop: Header=BB258_12 Depth=1
	v_mov_b32_e32 v68, 0x8000
	s_mov_b32 s43, exec_lo
	v_cmpx_ne_u16_e32 0x80, v69
	s_cbranch_execz .LBB258_360
; %bb.355:                              ;   in Loop: Header=BB258_12 Depth=1
	v_bfe_u32 v70, v14, 16, 7
	v_mov_b32_e32 v68, 0x7c01
	s_mov_b32 s44, exec_lo
	s_delay_alu instid0(VALU_DEP_2)
	v_cmpx_ne_u32_e32 0x7f, v70
	s_cbranch_execz .LBB258_359
; %bb.356:                              ;   in Loop: Header=BB258_12 Depth=1
	v_dual_lshrrev_b32 v69, 3, v70 :: v_dual_bitop2_b32 v68, 7, v4 bitop3:0x40
	s_mov_b32 s45, exec_lo
	v_cmpx_gt_u32_e32 8, v70
; %bb.357:                              ;   in Loop: Header=BB258_12 Depth=1
	s_delay_alu instid0(VALU_DEP_2) | instskip(NEXT) | instid1(VALU_DEP_1)
	v_clz_i32_u32_e32 v68, v68
	v_min_u32_e32 v70, 32, v68
	s_delay_alu instid0(VALU_DEP_1) | instskip(NEXT) | instid1(VALU_DEP_1)
	v_subrev_nc_u32_e32 v68, 28, v70
	v_lshlrev_b64_e32 v[68:69], v68, v[4:5]
	s_delay_alu instid0(VALU_DEP_1)
	v_dual_sub_nc_u32 v69, 29, v70 :: v_dual_bitop2_b32 v68, 7, v68 bitop3:0x40
; %bb.358:                              ;   in Loop: Header=BB258_12 Depth=1
	s_or_b32 exec_lo, exec_lo, s45
	v_lshlrev_b32_e32 v4, 8, v4
	s_delay_alu instid0(VALU_DEP_2) | instskip(NEXT) | instid1(VALU_DEP_3)
	v_lshl_add_u32 v69, v69, 10, 0x2000
	v_lshlrev_b32_e32 v68, 7, v68
	s_delay_alu instid0(VALU_DEP_3) | instskip(NEXT) | instid1(VALU_DEP_3)
	v_and_b32_e32 v4, 0x8000, v4
	v_and_b32_e32 v69, 0xfc00, v69
	s_delay_alu instid0(VALU_DEP_1)
	v_or3_b32 v68, v4, v69, v68
.LBB258_359:                            ;   in Loop: Header=BB258_12 Depth=1
	s_or_b32 exec_lo, exec_lo, s44
.LBB258_360:                            ;   in Loop: Header=BB258_12 Depth=1
	s_delay_alu instid0(SALU_CYCLE_1)
	s_or_b32 exec_lo, exec_lo, s43
.LBB258_361:                            ;   in Loop: Header=BB258_12 Depth=1
	s_delay_alu instid0(SALU_CYCLE_1) | instskip(NEXT) | instid1(SALU_CYCLE_1)
	s_or_b32 exec_lo, exec_lo, s42
	s_mov_b32 s42, exec_lo
	v_cmpx_lt_u32_e32 0xffffff, v14
	s_cbranch_execz .LBB258_369
; %bb.362:                              ;   in Loop: Header=BB258_12 Depth=1
	v_lshrrev_b32_e32 v4, 24, v14
	v_bfrev_b32_e32 v67, 1
	s_mov_b32 s43, exec_lo
	s_delay_alu instid0(VALU_DEP_2)
	v_cmpx_ne_u32_e32 0x80, v4
	s_cbranch_execz .LBB258_368
; %bb.363:                              ;   in Loop: Header=BB258_12 Depth=1
	v_and_b32_e32 v69, 0x7f, v4
	v_mov_b32_e32 v67, 0x7c010000
	s_mov_b32 s44, exec_lo
	s_delay_alu instid0(VALU_DEP_2)
	v_cmpx_ne_u32_e32 0x7f, v69
	s_cbranch_execz .LBB258_367
; %bb.364:                              ;   in Loop: Header=BB258_12 Depth=1
	v_dual_lshrrev_b32 v67, 3, v69 :: v_dual_bitop2_b32 v14, 7, v4 bitop3:0x40
	s_mov_b32 s45, exec_lo
	v_cmpx_gt_u32_e32 8, v69
; %bb.365:                              ;   in Loop: Header=BB258_12 Depth=1
	s_delay_alu instid0(VALU_DEP_2) | instskip(NEXT) | instid1(VALU_DEP_1)
	v_clz_i32_u32_e32 v14, v14
	v_min_u32_e32 v14, 32, v14
	s_delay_alu instid0(VALU_DEP_1) | instskip(NEXT) | instid1(VALU_DEP_1)
	v_subrev_nc_u32_e32 v67, 28, v14
	v_lshlrev_b64_e32 v[70:71], v67, v[4:5]
	v_sub_nc_u32_e32 v67, 29, v14
	s_delay_alu instid0(VALU_DEP_2)
	v_and_b32_e32 v14, 7, v70
; %bb.366:                              ;   in Loop: Header=BB258_12 Depth=1
	s_or_b32 exec_lo, exec_lo, s45
	s_delay_alu instid0(VALU_DEP_1) | instskip(NEXT) | instid1(VALU_DEP_3)
	v_dual_lshlrev_b32 v4, 8, v4 :: v_dual_lshlrev_b32 v14, 23, v14
	v_lshl_add_u32 v67, v67, 10, 0x2000
	s_delay_alu instid0(VALU_DEP_1) | instskip(NEXT) | instid1(VALU_DEP_1)
	v_and_or_b32 v4, 0x8000, v4, v67
	v_lshl_or_b32 v67, v4, 16, v14
.LBB258_367:                            ;   in Loop: Header=BB258_12 Depth=1
	s_or_b32 exec_lo, exec_lo, s44
.LBB258_368:                            ;   in Loop: Header=BB258_12 Depth=1
	s_delay_alu instid0(SALU_CYCLE_1)
	s_or_b32 exec_lo, exec_lo, s43
.LBB258_369:                            ;   in Loop: Header=BB258_12 Depth=1
	s_delay_alu instid0(SALU_CYCLE_1)
	s_or_b32 exec_lo, exec_lo, s42
	global_load_b32 v14, v[12:13], off offset:1288
	v_dual_mov_b32 v69, 0 :: v_dual_mov_b32 v70, 0
	s_mov_b32 s42, exec_lo
	s_wait_loadcnt 0x0
	v_and_b32_e32 v4, 0xff, v14
	s_delay_alu instid0(VALU_DEP_1)
	v_cmpx_ne_u16_e32 0, v4
	s_cbranch_execz .LBB258_377
; %bb.370:                              ;   in Loop: Header=BB258_12 Depth=1
	v_mov_b32_e32 v70, 0x8000
	s_mov_b32 s43, exec_lo
	v_cmpx_ne_u16_e32 0x80, v4
	s_cbranch_execz .LBB258_376
; %bb.371:                              ;   in Loop: Header=BB258_12 Depth=1
	v_and_b32_e32 v71, 0x7f, v14
	v_mov_b32_e32 v70, 0x7c01
	s_mov_b32 s44, exec_lo
	s_delay_alu instid0(VALU_DEP_2)
	v_cmpx_ne_u32_e32 0x7f, v71
	s_cbranch_execz .LBB258_375
; %bb.372:                              ;   in Loop: Header=BB258_12 Depth=1
	v_dual_lshrrev_b32 v70, 3, v71 :: v_dual_bitop2_b32 v4, 7, v14 bitop3:0x40
	s_mov_b32 s45, exec_lo
	v_cmpx_gt_u32_e32 8, v71
; %bb.373:                              ;   in Loop: Header=BB258_12 Depth=1
	s_delay_alu instid0(VALU_DEP_2) | instskip(NEXT) | instid1(VALU_DEP_1)
	v_clz_i32_u32_e32 v4, v4
	v_min_u32_e32 v4, 32, v4
	s_delay_alu instid0(VALU_DEP_1) | instskip(NEXT) | instid1(VALU_DEP_1)
	v_subrev_nc_u32_e32 v70, 28, v4
	v_lshlrev_b64_e32 v[72:73], v70, v[14:15]
	v_sub_nc_u32_e32 v70, 29, v4
	s_delay_alu instid0(VALU_DEP_2)
	v_and_b32_e32 v4, 7, v72
; %bb.374:                              ;   in Loop: Header=BB258_12 Depth=1
	s_or_b32 exec_lo, exec_lo, s45
	s_delay_alu instid0(VALU_DEP_1) | instskip(NEXT) | instid1(VALU_DEP_3)
	v_dual_lshlrev_b32 v71, 8, v14 :: v_dual_lshlrev_b32 v4, 7, v4
	v_lshl_add_u32 v70, v70, 10, 0x2000
	s_delay_alu instid0(VALU_DEP_2) | instskip(NEXT) | instid1(VALU_DEP_2)
	v_and_b32_e32 v71, 0x8000, v71
	v_and_b32_e32 v70, 0xfc00, v70
	s_delay_alu instid0(VALU_DEP_1)
	v_or3_b32 v70, v71, v70, v4
.LBB258_375:                            ;   in Loop: Header=BB258_12 Depth=1
	s_or_b32 exec_lo, exec_lo, s44
.LBB258_376:                            ;   in Loop: Header=BB258_12 Depth=1
	s_delay_alu instid0(SALU_CYCLE_1)
	s_or_b32 exec_lo, exec_lo, s43
.LBB258_377:                            ;   in Loop: Header=BB258_12 Depth=1
	s_delay_alu instid0(SALU_CYCLE_1) | instskip(SKIP_2) | instid1(VALU_DEP_1)
	s_or_b32 exec_lo, exec_lo, s42
	v_lshrrev_b16 v4, 8, v14
	s_mov_b32 s42, exec_lo
	v_cmpx_ne_u16_e32 0, v4
	s_cbranch_execz .LBB258_385
; %bb.378:                              ;   in Loop: Header=BB258_12 Depth=1
	v_bfrev_b32_e32 v69, 1
	s_mov_b32 s43, exec_lo
	v_cmpx_ne_u16_e32 0x80, v4
	s_cbranch_execz .LBB258_384
; %bb.379:                              ;   in Loop: Header=BB258_12 Depth=1
	v_and_b32_e32 v71, 0xffff, v4
	v_mov_b32_e32 v69, 0x7c010000
	s_mov_b32 s44, exec_lo
	s_delay_alu instid0(VALU_DEP_2) | instskip(NEXT) | instid1(VALU_DEP_1)
	v_and_b32_e32 v73, 0x7f, v71
	v_cmpx_ne_u32_e32 0x7f, v73
	s_cbranch_execz .LBB258_383
; %bb.380:                              ;   in Loop: Header=BB258_12 Depth=1
	v_dual_lshrrev_b32 v72, 3, v73 :: v_dual_bitop2_b32 v69, 7, v71 bitop3:0x40
	s_mov_b32 s45, exec_lo
	v_cmpx_gt_u32_e32 8, v73
; %bb.381:                              ;   in Loop: Header=BB258_12 Depth=1
	s_delay_alu instid0(VALU_DEP_2) | instskip(NEXT) | instid1(VALU_DEP_1)
	v_clz_i32_u32_e32 v69, v69
	v_min_u32_e32 v69, 32, v69
	s_delay_alu instid0(VALU_DEP_1) | instskip(NEXT) | instid1(VALU_DEP_1)
	v_subrev_nc_u32_e32 v72, 28, v69
	v_lshlrev_b64_e32 v[74:75], v72, v[4:5]
	s_delay_alu instid0(VALU_DEP_1)
	v_dual_sub_nc_u32 v72, 29, v69 :: v_dual_bitop2_b32 v69, 7, v74 bitop3:0x40
; %bb.382:                              ;   in Loop: Header=BB258_12 Depth=1
	s_or_b32 exec_lo, exec_lo, s45
	s_delay_alu instid0(VALU_DEP_1) | instskip(NEXT) | instid1(VALU_DEP_2)
	v_dual_lshlrev_b32 v4, 8, v71 :: v_dual_lshlrev_b32 v69, 23, v69
	v_lshl_add_u32 v71, v72, 10, 0x2000
	s_delay_alu instid0(VALU_DEP_1) | instskip(NEXT) | instid1(VALU_DEP_1)
	v_and_or_b32 v4, 0x8000, v4, v71
	v_lshl_or_b32 v69, v4, 16, v69
.LBB258_383:                            ;   in Loop: Header=BB258_12 Depth=1
	s_or_b32 exec_lo, exec_lo, s44
.LBB258_384:                            ;   in Loop: Header=BB258_12 Depth=1
	s_delay_alu instid0(SALU_CYCLE_1)
	s_or_b32 exec_lo, exec_lo, s43
.LBB258_385:                            ;   in Loop: Header=BB258_12 Depth=1
	s_delay_alu instid0(SALU_CYCLE_1) | instskip(SKIP_3) | instid1(VALU_DEP_2)
	s_or_b32 exec_lo, exec_lo, s42
	v_dual_mov_b32 v71, 0 :: v_dual_lshrrev_b32 v4, 16, v14
	v_mov_b32_e32 v72, 0
	s_mov_b32 s42, exec_lo
	v_and_b32_e32 v73, 0xff, v4
	s_delay_alu instid0(VALU_DEP_1)
	v_cmpx_ne_u16_e32 0, v73
	s_cbranch_execz .LBB258_393
; %bb.386:                              ;   in Loop: Header=BB258_12 Depth=1
	v_mov_b32_e32 v72, 0x8000
	s_mov_b32 s43, exec_lo
	v_cmpx_ne_u16_e32 0x80, v73
	s_cbranch_execz .LBB258_392
; %bb.387:                              ;   in Loop: Header=BB258_12 Depth=1
	v_bfe_u32 v74, v14, 16, 7
	v_mov_b32_e32 v72, 0x7c01
	s_mov_b32 s44, exec_lo
	s_delay_alu instid0(VALU_DEP_2)
	v_cmpx_ne_u32_e32 0x7f, v74
	s_cbranch_execz .LBB258_391
; %bb.388:                              ;   in Loop: Header=BB258_12 Depth=1
	v_dual_lshrrev_b32 v73, 3, v74 :: v_dual_bitop2_b32 v72, 7, v4 bitop3:0x40
	s_mov_b32 s45, exec_lo
	v_cmpx_gt_u32_e32 8, v74
; %bb.389:                              ;   in Loop: Header=BB258_12 Depth=1
	s_delay_alu instid0(VALU_DEP_2) | instskip(NEXT) | instid1(VALU_DEP_1)
	v_clz_i32_u32_e32 v72, v72
	v_min_u32_e32 v74, 32, v72
	s_delay_alu instid0(VALU_DEP_1) | instskip(NEXT) | instid1(VALU_DEP_1)
	v_subrev_nc_u32_e32 v72, 28, v74
	v_lshlrev_b64_e32 v[72:73], v72, v[4:5]
	s_delay_alu instid0(VALU_DEP_1)
	v_dual_sub_nc_u32 v73, 29, v74 :: v_dual_bitop2_b32 v72, 7, v72 bitop3:0x40
; %bb.390:                              ;   in Loop: Header=BB258_12 Depth=1
	s_or_b32 exec_lo, exec_lo, s45
	v_lshlrev_b32_e32 v4, 8, v4
	s_delay_alu instid0(VALU_DEP_2) | instskip(NEXT) | instid1(VALU_DEP_3)
	v_lshl_add_u32 v73, v73, 10, 0x2000
	v_lshlrev_b32_e32 v72, 7, v72
	s_delay_alu instid0(VALU_DEP_3) | instskip(NEXT) | instid1(VALU_DEP_3)
	v_and_b32_e32 v4, 0x8000, v4
	v_and_b32_e32 v73, 0xfc00, v73
	s_delay_alu instid0(VALU_DEP_1)
	v_or3_b32 v72, v4, v73, v72
.LBB258_391:                            ;   in Loop: Header=BB258_12 Depth=1
	s_or_b32 exec_lo, exec_lo, s44
.LBB258_392:                            ;   in Loop: Header=BB258_12 Depth=1
	s_delay_alu instid0(SALU_CYCLE_1)
	s_or_b32 exec_lo, exec_lo, s43
.LBB258_393:                            ;   in Loop: Header=BB258_12 Depth=1
	s_delay_alu instid0(SALU_CYCLE_1) | instskip(NEXT) | instid1(SALU_CYCLE_1)
	s_or_b32 exec_lo, exec_lo, s42
	s_mov_b32 s42, exec_lo
	v_cmpx_lt_u32_e32 0xffffff, v14
	s_cbranch_execz .LBB258_401
; %bb.394:                              ;   in Loop: Header=BB258_12 Depth=1
	v_lshrrev_b32_e32 v4, 24, v14
	v_bfrev_b32_e32 v71, 1
	s_mov_b32 s43, exec_lo
	s_delay_alu instid0(VALU_DEP_2)
	v_cmpx_ne_u32_e32 0x80, v4
	s_cbranch_execz .LBB258_400
; %bb.395:                              ;   in Loop: Header=BB258_12 Depth=1
	v_and_b32_e32 v73, 0x7f, v4
	v_mov_b32_e32 v71, 0x7c010000
	s_mov_b32 s44, exec_lo
	s_delay_alu instid0(VALU_DEP_2)
	v_cmpx_ne_u32_e32 0x7f, v73
	s_cbranch_execz .LBB258_399
; %bb.396:                              ;   in Loop: Header=BB258_12 Depth=1
	v_dual_lshrrev_b32 v71, 3, v73 :: v_dual_bitop2_b32 v14, 7, v4 bitop3:0x40
	s_mov_b32 s45, exec_lo
	v_cmpx_gt_u32_e32 8, v73
; %bb.397:                              ;   in Loop: Header=BB258_12 Depth=1
	s_delay_alu instid0(VALU_DEP_2) | instskip(NEXT) | instid1(VALU_DEP_1)
	v_clz_i32_u32_e32 v14, v14
	v_min_u32_e32 v14, 32, v14
	s_delay_alu instid0(VALU_DEP_1) | instskip(NEXT) | instid1(VALU_DEP_1)
	v_subrev_nc_u32_e32 v71, 28, v14
	v_lshlrev_b64_e32 v[74:75], v71, v[4:5]
	v_sub_nc_u32_e32 v71, 29, v14
	s_delay_alu instid0(VALU_DEP_2)
	v_and_b32_e32 v14, 7, v74
; %bb.398:                              ;   in Loop: Header=BB258_12 Depth=1
	s_or_b32 exec_lo, exec_lo, s45
	s_delay_alu instid0(VALU_DEP_1) | instskip(NEXT) | instid1(VALU_DEP_3)
	v_dual_lshlrev_b32 v4, 8, v4 :: v_dual_lshlrev_b32 v14, 23, v14
	v_lshl_add_u32 v71, v71, 10, 0x2000
	s_delay_alu instid0(VALU_DEP_1) | instskip(NEXT) | instid1(VALU_DEP_1)
	v_and_or_b32 v4, 0x8000, v4, v71
	v_lshl_or_b32 v71, v4, 16, v14
.LBB258_399:                            ;   in Loop: Header=BB258_12 Depth=1
	s_or_b32 exec_lo, exec_lo, s44
.LBB258_400:                            ;   in Loop: Header=BB258_12 Depth=1
	s_delay_alu instid0(SALU_CYCLE_1)
	s_or_b32 exec_lo, exec_lo, s43
.LBB258_401:                            ;   in Loop: Header=BB258_12 Depth=1
	s_delay_alu instid0(SALU_CYCLE_1)
	s_or_b32 exec_lo, exec_lo, s42
	global_load_b32 v14, v[12:13], off offset:1536
	v_dual_mov_b32 v73, 0 :: v_dual_mov_b32 v74, 0
	s_mov_b32 s42, exec_lo
	s_wait_loadcnt 0x0
	v_and_b32_e32 v4, 0xff, v14
	s_delay_alu instid0(VALU_DEP_1)
	v_cmpx_ne_u16_e32 0, v4
	s_cbranch_execz .LBB258_409
; %bb.402:                              ;   in Loop: Header=BB258_12 Depth=1
	v_mov_b32_e32 v74, 0x8000
	s_mov_b32 s43, exec_lo
	v_cmpx_ne_u16_e32 0x80, v4
	s_cbranch_execz .LBB258_408
; %bb.403:                              ;   in Loop: Header=BB258_12 Depth=1
	v_and_b32_e32 v75, 0x7f, v14
	v_mov_b32_e32 v74, 0x7c01
	s_mov_b32 s44, exec_lo
	s_delay_alu instid0(VALU_DEP_2)
	v_cmpx_ne_u32_e32 0x7f, v75
	s_cbranch_execz .LBB258_407
; %bb.404:                              ;   in Loop: Header=BB258_12 Depth=1
	v_dual_lshrrev_b32 v74, 3, v75 :: v_dual_bitop2_b32 v4, 7, v14 bitop3:0x40
	s_mov_b32 s45, exec_lo
	v_cmpx_gt_u32_e32 8, v75
; %bb.405:                              ;   in Loop: Header=BB258_12 Depth=1
	s_delay_alu instid0(VALU_DEP_2) | instskip(NEXT) | instid1(VALU_DEP_1)
	v_clz_i32_u32_e32 v4, v4
	v_min_u32_e32 v4, 32, v4
	s_delay_alu instid0(VALU_DEP_1) | instskip(NEXT) | instid1(VALU_DEP_1)
	v_subrev_nc_u32_e32 v74, 28, v4
	v_lshlrev_b64_e32 v[76:77], v74, v[14:15]
	v_sub_nc_u32_e32 v74, 29, v4
	s_delay_alu instid0(VALU_DEP_2)
	v_and_b32_e32 v4, 7, v76
; %bb.406:                              ;   in Loop: Header=BB258_12 Depth=1
	s_or_b32 exec_lo, exec_lo, s45
	s_delay_alu instid0(VALU_DEP_1) | instskip(NEXT) | instid1(VALU_DEP_3)
	v_dual_lshlrev_b32 v75, 8, v14 :: v_dual_lshlrev_b32 v4, 7, v4
	v_lshl_add_u32 v74, v74, 10, 0x2000
	s_delay_alu instid0(VALU_DEP_2) | instskip(NEXT) | instid1(VALU_DEP_2)
	v_and_b32_e32 v75, 0x8000, v75
	v_and_b32_e32 v74, 0xfc00, v74
	s_delay_alu instid0(VALU_DEP_1)
	v_or3_b32 v74, v75, v74, v4
.LBB258_407:                            ;   in Loop: Header=BB258_12 Depth=1
	s_or_b32 exec_lo, exec_lo, s44
.LBB258_408:                            ;   in Loop: Header=BB258_12 Depth=1
	s_delay_alu instid0(SALU_CYCLE_1)
	s_or_b32 exec_lo, exec_lo, s43
.LBB258_409:                            ;   in Loop: Header=BB258_12 Depth=1
	s_delay_alu instid0(SALU_CYCLE_1) | instskip(SKIP_2) | instid1(VALU_DEP_1)
	s_or_b32 exec_lo, exec_lo, s42
	v_lshrrev_b16 v4, 8, v14
	s_mov_b32 s42, exec_lo
	v_cmpx_ne_u16_e32 0, v4
	s_cbranch_execz .LBB258_417
; %bb.410:                              ;   in Loop: Header=BB258_12 Depth=1
	v_bfrev_b32_e32 v73, 1
	s_mov_b32 s43, exec_lo
	v_cmpx_ne_u16_e32 0x80, v4
	s_cbranch_execz .LBB258_416
; %bb.411:                              ;   in Loop: Header=BB258_12 Depth=1
	v_and_b32_e32 v75, 0xffff, v4
	v_mov_b32_e32 v73, 0x7c010000
	s_mov_b32 s44, exec_lo
	s_delay_alu instid0(VALU_DEP_2) | instskip(NEXT) | instid1(VALU_DEP_1)
	v_and_b32_e32 v77, 0x7f, v75
	v_cmpx_ne_u32_e32 0x7f, v77
	s_cbranch_execz .LBB258_415
; %bb.412:                              ;   in Loop: Header=BB258_12 Depth=1
	v_dual_lshrrev_b32 v76, 3, v77 :: v_dual_bitop2_b32 v73, 7, v75 bitop3:0x40
	s_mov_b32 s45, exec_lo
	v_cmpx_gt_u32_e32 8, v77
; %bb.413:                              ;   in Loop: Header=BB258_12 Depth=1
	s_delay_alu instid0(VALU_DEP_2) | instskip(NEXT) | instid1(VALU_DEP_1)
	v_clz_i32_u32_e32 v73, v73
	v_min_u32_e32 v73, 32, v73
	s_delay_alu instid0(VALU_DEP_1) | instskip(NEXT) | instid1(VALU_DEP_1)
	v_subrev_nc_u32_e32 v76, 28, v73
	v_lshlrev_b64_e32 v[78:79], v76, v[4:5]
	s_delay_alu instid0(VALU_DEP_1)
	v_dual_sub_nc_u32 v76, 29, v73 :: v_dual_bitop2_b32 v73, 7, v78 bitop3:0x40
; %bb.414:                              ;   in Loop: Header=BB258_12 Depth=1
	s_or_b32 exec_lo, exec_lo, s45
	s_delay_alu instid0(VALU_DEP_1) | instskip(NEXT) | instid1(VALU_DEP_2)
	v_dual_lshlrev_b32 v4, 8, v75 :: v_dual_lshlrev_b32 v73, 23, v73
	v_lshl_add_u32 v75, v76, 10, 0x2000
	s_delay_alu instid0(VALU_DEP_1) | instskip(NEXT) | instid1(VALU_DEP_1)
	v_and_or_b32 v4, 0x8000, v4, v75
	v_lshl_or_b32 v73, v4, 16, v73
.LBB258_415:                            ;   in Loop: Header=BB258_12 Depth=1
	s_or_b32 exec_lo, exec_lo, s44
.LBB258_416:                            ;   in Loop: Header=BB258_12 Depth=1
	s_delay_alu instid0(SALU_CYCLE_1)
	s_or_b32 exec_lo, exec_lo, s43
.LBB258_417:                            ;   in Loop: Header=BB258_12 Depth=1
	s_delay_alu instid0(SALU_CYCLE_1) | instskip(SKIP_3) | instid1(VALU_DEP_2)
	s_or_b32 exec_lo, exec_lo, s42
	v_dual_mov_b32 v75, 0 :: v_dual_lshrrev_b32 v4, 16, v14
	v_mov_b32_e32 v76, 0
	s_mov_b32 s42, exec_lo
	v_and_b32_e32 v77, 0xff, v4
	s_delay_alu instid0(VALU_DEP_1)
	v_cmpx_ne_u16_e32 0, v77
	s_cbranch_execz .LBB258_425
; %bb.418:                              ;   in Loop: Header=BB258_12 Depth=1
	v_mov_b32_e32 v76, 0x8000
	s_mov_b32 s43, exec_lo
	v_cmpx_ne_u16_e32 0x80, v77
	s_cbranch_execz .LBB258_424
; %bb.419:                              ;   in Loop: Header=BB258_12 Depth=1
	v_bfe_u32 v78, v14, 16, 7
	v_mov_b32_e32 v76, 0x7c01
	s_mov_b32 s44, exec_lo
	s_delay_alu instid0(VALU_DEP_2)
	v_cmpx_ne_u32_e32 0x7f, v78
	s_cbranch_execz .LBB258_423
; %bb.420:                              ;   in Loop: Header=BB258_12 Depth=1
	v_dual_lshrrev_b32 v77, 3, v78 :: v_dual_bitop2_b32 v76, 7, v4 bitop3:0x40
	s_mov_b32 s45, exec_lo
	v_cmpx_gt_u32_e32 8, v78
; %bb.421:                              ;   in Loop: Header=BB258_12 Depth=1
	s_delay_alu instid0(VALU_DEP_2) | instskip(NEXT) | instid1(VALU_DEP_1)
	v_clz_i32_u32_e32 v76, v76
	v_min_u32_e32 v78, 32, v76
	s_delay_alu instid0(VALU_DEP_1) | instskip(NEXT) | instid1(VALU_DEP_1)
	v_subrev_nc_u32_e32 v76, 28, v78
	v_lshlrev_b64_e32 v[76:77], v76, v[4:5]
	s_delay_alu instid0(VALU_DEP_1)
	v_dual_sub_nc_u32 v77, 29, v78 :: v_dual_bitop2_b32 v76, 7, v76 bitop3:0x40
; %bb.422:                              ;   in Loop: Header=BB258_12 Depth=1
	s_or_b32 exec_lo, exec_lo, s45
	v_lshlrev_b32_e32 v4, 8, v4
	s_delay_alu instid0(VALU_DEP_2) | instskip(NEXT) | instid1(VALU_DEP_3)
	v_lshl_add_u32 v77, v77, 10, 0x2000
	v_lshlrev_b32_e32 v76, 7, v76
	s_delay_alu instid0(VALU_DEP_3) | instskip(NEXT) | instid1(VALU_DEP_3)
	v_and_b32_e32 v4, 0x8000, v4
	v_and_b32_e32 v77, 0xfc00, v77
	s_delay_alu instid0(VALU_DEP_1)
	v_or3_b32 v76, v4, v77, v76
.LBB258_423:                            ;   in Loop: Header=BB258_12 Depth=1
	s_or_b32 exec_lo, exec_lo, s44
.LBB258_424:                            ;   in Loop: Header=BB258_12 Depth=1
	s_delay_alu instid0(SALU_CYCLE_1)
	s_or_b32 exec_lo, exec_lo, s43
.LBB258_425:                            ;   in Loop: Header=BB258_12 Depth=1
	s_delay_alu instid0(SALU_CYCLE_1) | instskip(NEXT) | instid1(SALU_CYCLE_1)
	s_or_b32 exec_lo, exec_lo, s42
	s_mov_b32 s42, exec_lo
	v_cmpx_lt_u32_e32 0xffffff, v14
	s_cbranch_execz .LBB258_433
; %bb.426:                              ;   in Loop: Header=BB258_12 Depth=1
	v_lshrrev_b32_e32 v4, 24, v14
	v_bfrev_b32_e32 v75, 1
	s_mov_b32 s43, exec_lo
	s_delay_alu instid0(VALU_DEP_2)
	v_cmpx_ne_u32_e32 0x80, v4
	s_cbranch_execz .LBB258_432
; %bb.427:                              ;   in Loop: Header=BB258_12 Depth=1
	v_and_b32_e32 v77, 0x7f, v4
	v_mov_b32_e32 v75, 0x7c010000
	s_mov_b32 s44, exec_lo
	s_delay_alu instid0(VALU_DEP_2)
	v_cmpx_ne_u32_e32 0x7f, v77
	s_cbranch_execz .LBB258_431
; %bb.428:                              ;   in Loop: Header=BB258_12 Depth=1
	v_dual_lshrrev_b32 v75, 3, v77 :: v_dual_bitop2_b32 v14, 7, v4 bitop3:0x40
	s_mov_b32 s45, exec_lo
	v_cmpx_gt_u32_e32 8, v77
; %bb.429:                              ;   in Loop: Header=BB258_12 Depth=1
	s_delay_alu instid0(VALU_DEP_2) | instskip(NEXT) | instid1(VALU_DEP_1)
	v_clz_i32_u32_e32 v14, v14
	v_min_u32_e32 v14, 32, v14
	s_delay_alu instid0(VALU_DEP_1) | instskip(NEXT) | instid1(VALU_DEP_1)
	v_subrev_nc_u32_e32 v75, 28, v14
	v_lshlrev_b64_e32 v[78:79], v75, v[4:5]
	v_sub_nc_u32_e32 v75, 29, v14
	s_delay_alu instid0(VALU_DEP_2)
	v_and_b32_e32 v14, 7, v78
; %bb.430:                              ;   in Loop: Header=BB258_12 Depth=1
	s_or_b32 exec_lo, exec_lo, s45
	s_delay_alu instid0(VALU_DEP_1) | instskip(NEXT) | instid1(VALU_DEP_3)
	v_dual_lshlrev_b32 v4, 8, v4 :: v_dual_lshlrev_b32 v14, 23, v14
	v_lshl_add_u32 v75, v75, 10, 0x2000
	s_delay_alu instid0(VALU_DEP_1) | instskip(NEXT) | instid1(VALU_DEP_1)
	v_and_or_b32 v4, 0x8000, v4, v75
	v_lshl_or_b32 v75, v4, 16, v14
.LBB258_431:                            ;   in Loop: Header=BB258_12 Depth=1
	s_or_b32 exec_lo, exec_lo, s44
.LBB258_432:                            ;   in Loop: Header=BB258_12 Depth=1
	s_delay_alu instid0(SALU_CYCLE_1)
	s_or_b32 exec_lo, exec_lo, s43
.LBB258_433:                            ;   in Loop: Header=BB258_12 Depth=1
	s_delay_alu instid0(SALU_CYCLE_1)
	s_or_b32 exec_lo, exec_lo, s42
	global_load_b32 v14, v[12:13], off offset:1544
	v_dual_mov_b32 v77, 0 :: v_dual_mov_b32 v78, 0
	s_mov_b32 s42, exec_lo
	s_wait_loadcnt 0x0
	v_and_b32_e32 v4, 0xff, v14
	s_delay_alu instid0(VALU_DEP_1)
	v_cmpx_ne_u16_e32 0, v4
	s_cbranch_execz .LBB258_441
; %bb.434:                              ;   in Loop: Header=BB258_12 Depth=1
	v_mov_b32_e32 v78, 0x8000
	s_mov_b32 s43, exec_lo
	v_cmpx_ne_u16_e32 0x80, v4
	s_cbranch_execz .LBB258_440
; %bb.435:                              ;   in Loop: Header=BB258_12 Depth=1
	v_and_b32_e32 v79, 0x7f, v14
	v_mov_b32_e32 v78, 0x7c01
	s_mov_b32 s44, exec_lo
	s_delay_alu instid0(VALU_DEP_2)
	v_cmpx_ne_u32_e32 0x7f, v79
	s_cbranch_execz .LBB258_439
; %bb.436:                              ;   in Loop: Header=BB258_12 Depth=1
	v_dual_lshrrev_b32 v78, 3, v79 :: v_dual_bitop2_b32 v4, 7, v14 bitop3:0x40
	s_mov_b32 s45, exec_lo
	v_cmpx_gt_u32_e32 8, v79
; %bb.437:                              ;   in Loop: Header=BB258_12 Depth=1
	s_delay_alu instid0(VALU_DEP_2) | instskip(NEXT) | instid1(VALU_DEP_1)
	v_clz_i32_u32_e32 v4, v4
	v_min_u32_e32 v4, 32, v4
	s_delay_alu instid0(VALU_DEP_1) | instskip(NEXT) | instid1(VALU_DEP_1)
	v_subrev_nc_u32_e32 v78, 28, v4
	v_lshlrev_b64_e32 v[80:81], v78, v[14:15]
	v_sub_nc_u32_e32 v78, 29, v4
	s_delay_alu instid0(VALU_DEP_2)
	v_and_b32_e32 v4, 7, v80
; %bb.438:                              ;   in Loop: Header=BB258_12 Depth=1
	s_or_b32 exec_lo, exec_lo, s45
	s_delay_alu instid0(VALU_DEP_1) | instskip(NEXT) | instid1(VALU_DEP_3)
	v_dual_lshlrev_b32 v79, 8, v14 :: v_dual_lshlrev_b32 v4, 7, v4
	v_lshl_add_u32 v78, v78, 10, 0x2000
	s_delay_alu instid0(VALU_DEP_2) | instskip(NEXT) | instid1(VALU_DEP_2)
	v_and_b32_e32 v79, 0x8000, v79
	v_and_b32_e32 v78, 0xfc00, v78
	s_delay_alu instid0(VALU_DEP_1)
	v_or3_b32 v78, v79, v78, v4
.LBB258_439:                            ;   in Loop: Header=BB258_12 Depth=1
	s_or_b32 exec_lo, exec_lo, s44
.LBB258_440:                            ;   in Loop: Header=BB258_12 Depth=1
	s_delay_alu instid0(SALU_CYCLE_1)
	s_or_b32 exec_lo, exec_lo, s43
.LBB258_441:                            ;   in Loop: Header=BB258_12 Depth=1
	s_delay_alu instid0(SALU_CYCLE_1) | instskip(SKIP_2) | instid1(VALU_DEP_1)
	s_or_b32 exec_lo, exec_lo, s42
	v_lshrrev_b16 v4, 8, v14
	s_mov_b32 s42, exec_lo
	v_cmpx_ne_u16_e32 0, v4
	s_cbranch_execz .LBB258_449
; %bb.442:                              ;   in Loop: Header=BB258_12 Depth=1
	v_bfrev_b32_e32 v77, 1
	s_mov_b32 s43, exec_lo
	v_cmpx_ne_u16_e32 0x80, v4
	s_cbranch_execz .LBB258_448
; %bb.443:                              ;   in Loop: Header=BB258_12 Depth=1
	v_and_b32_e32 v79, 0xffff, v4
	v_mov_b32_e32 v77, 0x7c010000
	s_mov_b32 s44, exec_lo
	s_delay_alu instid0(VALU_DEP_2) | instskip(NEXT) | instid1(VALU_DEP_1)
	v_and_b32_e32 v81, 0x7f, v79
	v_cmpx_ne_u32_e32 0x7f, v81
	s_cbranch_execz .LBB258_447
; %bb.444:                              ;   in Loop: Header=BB258_12 Depth=1
	v_dual_lshrrev_b32 v80, 3, v81 :: v_dual_bitop2_b32 v77, 7, v79 bitop3:0x40
	s_mov_b32 s45, exec_lo
	v_cmpx_gt_u32_e32 8, v81
; %bb.445:                              ;   in Loop: Header=BB258_12 Depth=1
	s_delay_alu instid0(VALU_DEP_2) | instskip(NEXT) | instid1(VALU_DEP_1)
	v_clz_i32_u32_e32 v77, v77
	v_min_u32_e32 v77, 32, v77
	s_delay_alu instid0(VALU_DEP_1) | instskip(NEXT) | instid1(VALU_DEP_1)
	v_subrev_nc_u32_e32 v80, 28, v77
	v_lshlrev_b64_e32 v[82:83], v80, v[4:5]
	s_delay_alu instid0(VALU_DEP_1)
	v_dual_sub_nc_u32 v80, 29, v77 :: v_dual_bitop2_b32 v77, 7, v82 bitop3:0x40
; %bb.446:                              ;   in Loop: Header=BB258_12 Depth=1
	s_or_b32 exec_lo, exec_lo, s45
	s_delay_alu instid0(VALU_DEP_1) | instskip(NEXT) | instid1(VALU_DEP_2)
	v_dual_lshlrev_b32 v4, 8, v79 :: v_dual_lshlrev_b32 v77, 23, v77
	v_lshl_add_u32 v79, v80, 10, 0x2000
	s_delay_alu instid0(VALU_DEP_1) | instskip(NEXT) | instid1(VALU_DEP_1)
	v_and_or_b32 v4, 0x8000, v4, v79
	v_lshl_or_b32 v77, v4, 16, v77
.LBB258_447:                            ;   in Loop: Header=BB258_12 Depth=1
	s_or_b32 exec_lo, exec_lo, s44
.LBB258_448:                            ;   in Loop: Header=BB258_12 Depth=1
	s_delay_alu instid0(SALU_CYCLE_1)
	s_or_b32 exec_lo, exec_lo, s43
.LBB258_449:                            ;   in Loop: Header=BB258_12 Depth=1
	s_delay_alu instid0(SALU_CYCLE_1) | instskip(SKIP_3) | instid1(VALU_DEP_2)
	s_or_b32 exec_lo, exec_lo, s42
	v_dual_mov_b32 v79, 0 :: v_dual_lshrrev_b32 v4, 16, v14
	v_mov_b32_e32 v80, 0
	s_mov_b32 s42, exec_lo
	v_and_b32_e32 v81, 0xff, v4
	s_delay_alu instid0(VALU_DEP_1)
	v_cmpx_ne_u16_e32 0, v81
	s_cbranch_execz .LBB258_457
; %bb.450:                              ;   in Loop: Header=BB258_12 Depth=1
	v_mov_b32_e32 v80, 0x8000
	s_mov_b32 s43, exec_lo
	v_cmpx_ne_u16_e32 0x80, v81
	s_cbranch_execz .LBB258_456
; %bb.451:                              ;   in Loop: Header=BB258_12 Depth=1
	v_bfe_u32 v82, v14, 16, 7
	v_mov_b32_e32 v80, 0x7c01
	s_mov_b32 s44, exec_lo
	s_delay_alu instid0(VALU_DEP_2)
	v_cmpx_ne_u32_e32 0x7f, v82
	s_cbranch_execz .LBB258_455
; %bb.452:                              ;   in Loop: Header=BB258_12 Depth=1
	v_dual_lshrrev_b32 v81, 3, v82 :: v_dual_bitop2_b32 v80, 7, v4 bitop3:0x40
	s_mov_b32 s45, exec_lo
	v_cmpx_gt_u32_e32 8, v82
; %bb.453:                              ;   in Loop: Header=BB258_12 Depth=1
	s_delay_alu instid0(VALU_DEP_2) | instskip(NEXT) | instid1(VALU_DEP_1)
	v_clz_i32_u32_e32 v80, v80
	v_min_u32_e32 v82, 32, v80
	s_delay_alu instid0(VALU_DEP_1) | instskip(NEXT) | instid1(VALU_DEP_1)
	v_subrev_nc_u32_e32 v80, 28, v82
	v_lshlrev_b64_e32 v[80:81], v80, v[4:5]
	s_delay_alu instid0(VALU_DEP_1)
	v_dual_sub_nc_u32 v81, 29, v82 :: v_dual_bitop2_b32 v80, 7, v80 bitop3:0x40
; %bb.454:                              ;   in Loop: Header=BB258_12 Depth=1
	s_or_b32 exec_lo, exec_lo, s45
	v_lshlrev_b32_e32 v4, 8, v4
	s_delay_alu instid0(VALU_DEP_2) | instskip(NEXT) | instid1(VALU_DEP_3)
	v_lshl_add_u32 v81, v81, 10, 0x2000
	v_lshlrev_b32_e32 v80, 7, v80
	s_delay_alu instid0(VALU_DEP_3) | instskip(NEXT) | instid1(VALU_DEP_3)
	v_and_b32_e32 v4, 0x8000, v4
	v_and_b32_e32 v81, 0xfc00, v81
	s_delay_alu instid0(VALU_DEP_1)
	v_or3_b32 v80, v4, v81, v80
.LBB258_455:                            ;   in Loop: Header=BB258_12 Depth=1
	s_or_b32 exec_lo, exec_lo, s44
.LBB258_456:                            ;   in Loop: Header=BB258_12 Depth=1
	s_delay_alu instid0(SALU_CYCLE_1)
	s_or_b32 exec_lo, exec_lo, s43
.LBB258_457:                            ;   in Loop: Header=BB258_12 Depth=1
	s_delay_alu instid0(SALU_CYCLE_1) | instskip(NEXT) | instid1(SALU_CYCLE_1)
	s_or_b32 exec_lo, exec_lo, s42
	s_mov_b32 s42, exec_lo
	v_cmpx_lt_u32_e32 0xffffff, v14
	s_cbranch_execz .LBB258_465
; %bb.458:                              ;   in Loop: Header=BB258_12 Depth=1
	v_lshrrev_b32_e32 v4, 24, v14
	v_bfrev_b32_e32 v79, 1
	s_mov_b32 s43, exec_lo
	s_delay_alu instid0(VALU_DEP_2)
	v_cmpx_ne_u32_e32 0x80, v4
	s_cbranch_execz .LBB258_464
; %bb.459:                              ;   in Loop: Header=BB258_12 Depth=1
	v_and_b32_e32 v81, 0x7f, v4
	v_mov_b32_e32 v79, 0x7c010000
	s_mov_b32 s44, exec_lo
	s_delay_alu instid0(VALU_DEP_2)
	v_cmpx_ne_u32_e32 0x7f, v81
	s_cbranch_execz .LBB258_463
; %bb.460:                              ;   in Loop: Header=BB258_12 Depth=1
	v_dual_lshrrev_b32 v79, 3, v81 :: v_dual_bitop2_b32 v14, 7, v4 bitop3:0x40
	s_mov_b32 s45, exec_lo
	v_cmpx_gt_u32_e32 8, v81
; %bb.461:                              ;   in Loop: Header=BB258_12 Depth=1
	s_delay_alu instid0(VALU_DEP_2) | instskip(NEXT) | instid1(VALU_DEP_1)
	v_clz_i32_u32_e32 v14, v14
	v_min_u32_e32 v14, 32, v14
	s_delay_alu instid0(VALU_DEP_1) | instskip(NEXT) | instid1(VALU_DEP_1)
	v_subrev_nc_u32_e32 v79, 28, v14
	v_lshlrev_b64_e32 v[82:83], v79, v[4:5]
	v_sub_nc_u32_e32 v79, 29, v14
	s_delay_alu instid0(VALU_DEP_2)
	v_and_b32_e32 v14, 7, v82
; %bb.462:                              ;   in Loop: Header=BB258_12 Depth=1
	s_or_b32 exec_lo, exec_lo, s45
	s_delay_alu instid0(VALU_DEP_1) | instskip(NEXT) | instid1(VALU_DEP_3)
	v_dual_lshlrev_b32 v4, 8, v4 :: v_dual_lshlrev_b32 v14, 23, v14
	v_lshl_add_u32 v79, v79, 10, 0x2000
	s_delay_alu instid0(VALU_DEP_1) | instskip(NEXT) | instid1(VALU_DEP_1)
	v_and_or_b32 v4, 0x8000, v4, v79
	v_lshl_or_b32 v79, v4, 16, v14
.LBB258_463:                            ;   in Loop: Header=BB258_12 Depth=1
	s_or_b32 exec_lo, exec_lo, s44
.LBB258_464:                            ;   in Loop: Header=BB258_12 Depth=1
	s_delay_alu instid0(SALU_CYCLE_1)
	s_or_b32 exec_lo, exec_lo, s43
.LBB258_465:                            ;   in Loop: Header=BB258_12 Depth=1
	s_delay_alu instid0(SALU_CYCLE_1)
	s_or_b32 exec_lo, exec_lo, s42
	global_load_b32 v14, v[12:13], off offset:1792
	v_dual_mov_b32 v81, 0 :: v_dual_mov_b32 v82, 0
	s_mov_b32 s42, exec_lo
	s_wait_loadcnt 0x0
	v_and_b32_e32 v4, 0xff, v14
	s_delay_alu instid0(VALU_DEP_1)
	v_cmpx_ne_u16_e32 0, v4
	s_cbranch_execz .LBB258_473
; %bb.466:                              ;   in Loop: Header=BB258_12 Depth=1
	v_mov_b32_e32 v82, 0x8000
	s_mov_b32 s43, exec_lo
	v_cmpx_ne_u16_e32 0x80, v4
	s_cbranch_execz .LBB258_472
; %bb.467:                              ;   in Loop: Header=BB258_12 Depth=1
	v_and_b32_e32 v83, 0x7f, v14
	v_mov_b32_e32 v82, 0x7c01
	s_mov_b32 s44, exec_lo
	s_delay_alu instid0(VALU_DEP_2)
	v_cmpx_ne_u32_e32 0x7f, v83
	s_cbranch_execz .LBB258_471
; %bb.468:                              ;   in Loop: Header=BB258_12 Depth=1
	v_dual_lshrrev_b32 v82, 3, v83 :: v_dual_bitop2_b32 v4, 7, v14 bitop3:0x40
	s_mov_b32 s45, exec_lo
	v_cmpx_gt_u32_e32 8, v83
; %bb.469:                              ;   in Loop: Header=BB258_12 Depth=1
	s_delay_alu instid0(VALU_DEP_2) | instskip(NEXT) | instid1(VALU_DEP_1)
	v_clz_i32_u32_e32 v4, v4
	v_min_u32_e32 v4, 32, v4
	s_delay_alu instid0(VALU_DEP_1) | instskip(NEXT) | instid1(VALU_DEP_1)
	v_subrev_nc_u32_e32 v82, 28, v4
	v_lshlrev_b64_e32 v[84:85], v82, v[14:15]
	v_sub_nc_u32_e32 v82, 29, v4
	s_delay_alu instid0(VALU_DEP_2)
	v_and_b32_e32 v4, 7, v84
; %bb.470:                              ;   in Loop: Header=BB258_12 Depth=1
	s_or_b32 exec_lo, exec_lo, s45
	s_delay_alu instid0(VALU_DEP_1) | instskip(NEXT) | instid1(VALU_DEP_3)
	v_dual_lshlrev_b32 v83, 8, v14 :: v_dual_lshlrev_b32 v4, 7, v4
	v_lshl_add_u32 v82, v82, 10, 0x2000
	s_delay_alu instid0(VALU_DEP_2) | instskip(NEXT) | instid1(VALU_DEP_2)
	v_and_b32_e32 v83, 0x8000, v83
	v_and_b32_e32 v82, 0xfc00, v82
	s_delay_alu instid0(VALU_DEP_1)
	v_or3_b32 v82, v83, v82, v4
.LBB258_471:                            ;   in Loop: Header=BB258_12 Depth=1
	s_or_b32 exec_lo, exec_lo, s44
.LBB258_472:                            ;   in Loop: Header=BB258_12 Depth=1
	s_delay_alu instid0(SALU_CYCLE_1)
	s_or_b32 exec_lo, exec_lo, s43
.LBB258_473:                            ;   in Loop: Header=BB258_12 Depth=1
	s_delay_alu instid0(SALU_CYCLE_1) | instskip(SKIP_2) | instid1(VALU_DEP_1)
	s_or_b32 exec_lo, exec_lo, s42
	v_lshrrev_b16 v4, 8, v14
	s_mov_b32 s42, exec_lo
	v_cmpx_ne_u16_e32 0, v4
	s_cbranch_execz .LBB258_481
; %bb.474:                              ;   in Loop: Header=BB258_12 Depth=1
	v_bfrev_b32_e32 v81, 1
	s_mov_b32 s43, exec_lo
	v_cmpx_ne_u16_e32 0x80, v4
	s_cbranch_execz .LBB258_480
; %bb.475:                              ;   in Loop: Header=BB258_12 Depth=1
	v_and_b32_e32 v83, 0xffff, v4
	v_mov_b32_e32 v81, 0x7c010000
	s_mov_b32 s44, exec_lo
	s_delay_alu instid0(VALU_DEP_2) | instskip(NEXT) | instid1(VALU_DEP_1)
	v_and_b32_e32 v85, 0x7f, v83
	v_cmpx_ne_u32_e32 0x7f, v85
	s_cbranch_execz .LBB258_479
; %bb.476:                              ;   in Loop: Header=BB258_12 Depth=1
	v_dual_lshrrev_b32 v84, 3, v85 :: v_dual_bitop2_b32 v81, 7, v83 bitop3:0x40
	s_mov_b32 s45, exec_lo
	v_cmpx_gt_u32_e32 8, v85
; %bb.477:                              ;   in Loop: Header=BB258_12 Depth=1
	s_delay_alu instid0(VALU_DEP_2) | instskip(NEXT) | instid1(VALU_DEP_1)
	v_clz_i32_u32_e32 v81, v81
	v_min_u32_e32 v81, 32, v81
	s_delay_alu instid0(VALU_DEP_1) | instskip(NEXT) | instid1(VALU_DEP_1)
	v_subrev_nc_u32_e32 v84, 28, v81
	v_lshlrev_b64_e32 v[86:87], v84, v[4:5]
	s_delay_alu instid0(VALU_DEP_1)
	v_dual_sub_nc_u32 v84, 29, v81 :: v_dual_bitop2_b32 v81, 7, v86 bitop3:0x40
; %bb.478:                              ;   in Loop: Header=BB258_12 Depth=1
	s_or_b32 exec_lo, exec_lo, s45
	s_delay_alu instid0(VALU_DEP_1) | instskip(NEXT) | instid1(VALU_DEP_2)
	v_dual_lshlrev_b32 v4, 8, v83 :: v_dual_lshlrev_b32 v81, 23, v81
	v_lshl_add_u32 v83, v84, 10, 0x2000
	s_delay_alu instid0(VALU_DEP_1) | instskip(NEXT) | instid1(VALU_DEP_1)
	v_and_or_b32 v4, 0x8000, v4, v83
	v_lshl_or_b32 v81, v4, 16, v81
.LBB258_479:                            ;   in Loop: Header=BB258_12 Depth=1
	s_or_b32 exec_lo, exec_lo, s44
.LBB258_480:                            ;   in Loop: Header=BB258_12 Depth=1
	s_delay_alu instid0(SALU_CYCLE_1)
	s_or_b32 exec_lo, exec_lo, s43
.LBB258_481:                            ;   in Loop: Header=BB258_12 Depth=1
	s_delay_alu instid0(SALU_CYCLE_1) | instskip(SKIP_3) | instid1(VALU_DEP_2)
	s_or_b32 exec_lo, exec_lo, s42
	v_dual_mov_b32 v83, 0 :: v_dual_lshrrev_b32 v4, 16, v14
	v_mov_b32_e32 v84, 0
	s_mov_b32 s42, exec_lo
	v_and_b32_e32 v85, 0xff, v4
	s_delay_alu instid0(VALU_DEP_1)
	v_cmpx_ne_u16_e32 0, v85
	s_cbranch_execz .LBB258_489
; %bb.482:                              ;   in Loop: Header=BB258_12 Depth=1
	v_mov_b32_e32 v84, 0x8000
	s_mov_b32 s43, exec_lo
	v_cmpx_ne_u16_e32 0x80, v85
	s_cbranch_execz .LBB258_488
; %bb.483:                              ;   in Loop: Header=BB258_12 Depth=1
	v_bfe_u32 v86, v14, 16, 7
	v_mov_b32_e32 v84, 0x7c01
	s_mov_b32 s44, exec_lo
	s_delay_alu instid0(VALU_DEP_2)
	v_cmpx_ne_u32_e32 0x7f, v86
	s_cbranch_execz .LBB258_487
; %bb.484:                              ;   in Loop: Header=BB258_12 Depth=1
	v_dual_lshrrev_b32 v85, 3, v86 :: v_dual_bitop2_b32 v84, 7, v4 bitop3:0x40
	s_mov_b32 s45, exec_lo
	v_cmpx_gt_u32_e32 8, v86
; %bb.485:                              ;   in Loop: Header=BB258_12 Depth=1
	s_delay_alu instid0(VALU_DEP_2) | instskip(NEXT) | instid1(VALU_DEP_1)
	v_clz_i32_u32_e32 v84, v84
	v_min_u32_e32 v86, 32, v84
	s_delay_alu instid0(VALU_DEP_1) | instskip(NEXT) | instid1(VALU_DEP_1)
	v_subrev_nc_u32_e32 v84, 28, v86
	v_lshlrev_b64_e32 v[84:85], v84, v[4:5]
	s_delay_alu instid0(VALU_DEP_1)
	v_dual_sub_nc_u32 v85, 29, v86 :: v_dual_bitop2_b32 v84, 7, v84 bitop3:0x40
; %bb.486:                              ;   in Loop: Header=BB258_12 Depth=1
	s_or_b32 exec_lo, exec_lo, s45
	v_lshlrev_b32_e32 v4, 8, v4
	s_delay_alu instid0(VALU_DEP_2) | instskip(NEXT) | instid1(VALU_DEP_3)
	v_lshl_add_u32 v85, v85, 10, 0x2000
	v_lshlrev_b32_e32 v84, 7, v84
	s_delay_alu instid0(VALU_DEP_3) | instskip(NEXT) | instid1(VALU_DEP_3)
	v_and_b32_e32 v4, 0x8000, v4
	v_and_b32_e32 v85, 0xfc00, v85
	s_delay_alu instid0(VALU_DEP_1)
	v_or3_b32 v84, v4, v85, v84
.LBB258_487:                            ;   in Loop: Header=BB258_12 Depth=1
	s_or_b32 exec_lo, exec_lo, s44
.LBB258_488:                            ;   in Loop: Header=BB258_12 Depth=1
	s_delay_alu instid0(SALU_CYCLE_1)
	s_or_b32 exec_lo, exec_lo, s43
.LBB258_489:                            ;   in Loop: Header=BB258_12 Depth=1
	s_delay_alu instid0(SALU_CYCLE_1) | instskip(NEXT) | instid1(SALU_CYCLE_1)
	s_or_b32 exec_lo, exec_lo, s42
	s_mov_b32 s42, exec_lo
	v_cmpx_lt_u32_e32 0xffffff, v14
	s_cbranch_execz .LBB258_497
; %bb.490:                              ;   in Loop: Header=BB258_12 Depth=1
	v_lshrrev_b32_e32 v4, 24, v14
	v_bfrev_b32_e32 v83, 1
	s_mov_b32 s43, exec_lo
	s_delay_alu instid0(VALU_DEP_2)
	v_cmpx_ne_u32_e32 0x80, v4
	s_cbranch_execz .LBB258_496
; %bb.491:                              ;   in Loop: Header=BB258_12 Depth=1
	v_and_b32_e32 v85, 0x7f, v4
	v_mov_b32_e32 v83, 0x7c010000
	s_mov_b32 s44, exec_lo
	s_delay_alu instid0(VALU_DEP_2)
	v_cmpx_ne_u32_e32 0x7f, v85
	s_cbranch_execz .LBB258_495
; %bb.492:                              ;   in Loop: Header=BB258_12 Depth=1
	v_dual_lshrrev_b32 v83, 3, v85 :: v_dual_bitop2_b32 v14, 7, v4 bitop3:0x40
	s_mov_b32 s45, exec_lo
	v_cmpx_gt_u32_e32 8, v85
; %bb.493:                              ;   in Loop: Header=BB258_12 Depth=1
	s_delay_alu instid0(VALU_DEP_2) | instskip(NEXT) | instid1(VALU_DEP_1)
	v_clz_i32_u32_e32 v14, v14
	v_min_u32_e32 v14, 32, v14
	s_delay_alu instid0(VALU_DEP_1) | instskip(NEXT) | instid1(VALU_DEP_1)
	v_subrev_nc_u32_e32 v83, 28, v14
	v_lshlrev_b64_e32 v[86:87], v83, v[4:5]
	v_sub_nc_u32_e32 v83, 29, v14
	s_delay_alu instid0(VALU_DEP_2)
	v_and_b32_e32 v14, 7, v86
; %bb.494:                              ;   in Loop: Header=BB258_12 Depth=1
	s_or_b32 exec_lo, exec_lo, s45
	s_delay_alu instid0(VALU_DEP_1) | instskip(NEXT) | instid1(VALU_DEP_3)
	v_dual_lshlrev_b32 v4, 8, v4 :: v_dual_lshlrev_b32 v14, 23, v14
	v_lshl_add_u32 v83, v83, 10, 0x2000
	s_delay_alu instid0(VALU_DEP_1) | instskip(NEXT) | instid1(VALU_DEP_1)
	v_and_or_b32 v4, 0x8000, v4, v83
	v_lshl_or_b32 v83, v4, 16, v14
.LBB258_495:                            ;   in Loop: Header=BB258_12 Depth=1
	s_or_b32 exec_lo, exec_lo, s44
.LBB258_496:                            ;   in Loop: Header=BB258_12 Depth=1
	s_delay_alu instid0(SALU_CYCLE_1)
	s_or_b32 exec_lo, exec_lo, s43
.LBB258_497:                            ;   in Loop: Header=BB258_12 Depth=1
	s_delay_alu instid0(SALU_CYCLE_1)
	s_or_b32 exec_lo, exec_lo, s42
	global_load_b32 v12, v[12:13], off offset:1800
	v_dual_mov_b32 v14, 0 :: v_dual_mov_b32 v85, 0
	s_mov_b32 s42, exec_lo
	s_wait_loadcnt 0x0
	v_and_b32_e32 v4, 0xff, v12
	s_delay_alu instid0(VALU_DEP_1)
	v_cmpx_ne_u16_e32 0, v4
	s_cbranch_execz .LBB258_505
; %bb.498:                              ;   in Loop: Header=BB258_12 Depth=1
	v_mov_b32_e32 v85, 0x8000
	s_mov_b32 s43, exec_lo
	v_cmpx_ne_u16_e32 0x80, v4
	s_cbranch_execz .LBB258_504
; %bb.499:                              ;   in Loop: Header=BB258_12 Depth=1
	v_and_b32_e32 v86, 0x7f, v12
	v_mov_b32_e32 v85, 0x7c01
	s_mov_b32 s44, exec_lo
	s_delay_alu instid0(VALU_DEP_2)
	v_cmpx_ne_u32_e32 0x7f, v86
	s_cbranch_execz .LBB258_503
; %bb.500:                              ;   in Loop: Header=BB258_12 Depth=1
	v_dual_lshrrev_b32 v13, 3, v86 :: v_dual_bitop2_b32 v4, 7, v12 bitop3:0x40
	s_mov_b32 s45, exec_lo
	v_cmpx_gt_u32_e32 8, v86
; %bb.501:                              ;   in Loop: Header=BB258_12 Depth=1
	s_delay_alu instid0(VALU_DEP_2) | instskip(NEXT) | instid1(VALU_DEP_1)
	v_clz_i32_u32_e32 v4, v4
	v_min_u32_e32 v4, 32, v4
	s_delay_alu instid0(VALU_DEP_1) | instskip(NEXT) | instid1(VALU_DEP_1)
	v_subrev_nc_u32_e32 v13, 28, v4
	v_lshlrev_b64_e32 v[86:87], v13, v[12:13]
	s_delay_alu instid0(VALU_DEP_1)
	v_dual_sub_nc_u32 v13, 29, v4 :: v_dual_bitop2_b32 v4, 7, v86 bitop3:0x40
; %bb.502:                              ;   in Loop: Header=BB258_12 Depth=1
	s_or_b32 exec_lo, exec_lo, s45
	v_lshlrev_b32_e32 v85, 8, v12
	s_delay_alu instid0(VALU_DEP_2) | instskip(NEXT) | instid1(VALU_DEP_3)
	v_lshl_add_u32 v13, v13, 10, 0x2000
	v_lshlrev_b32_e32 v4, 7, v4
	s_delay_alu instid0(VALU_DEP_3) | instskip(NEXT) | instid1(VALU_DEP_3)
	v_and_b32_e32 v85, 0x8000, v85
	v_and_b32_e32 v13, 0xfc00, v13
	s_delay_alu instid0(VALU_DEP_1)
	v_or3_b32 v85, v85, v13, v4
.LBB258_503:                            ;   in Loop: Header=BB258_12 Depth=1
	s_or_b32 exec_lo, exec_lo, s44
.LBB258_504:                            ;   in Loop: Header=BB258_12 Depth=1
	s_delay_alu instid0(SALU_CYCLE_1)
	s_or_b32 exec_lo, exec_lo, s43
.LBB258_505:                            ;   in Loop: Header=BB258_12 Depth=1
	s_delay_alu instid0(SALU_CYCLE_1) | instskip(SKIP_2) | instid1(VALU_DEP_1)
	s_or_b32 exec_lo, exec_lo, s42
	v_lshrrev_b16 v4, 8, v12
	s_mov_b32 s42, exec_lo
	v_cmpx_ne_u16_e32 0, v4
	s_cbranch_execz .LBB258_513
; %bb.506:                              ;   in Loop: Header=BB258_12 Depth=1
	v_bfrev_b32_e32 v14, 1
	s_mov_b32 s43, exec_lo
	v_cmpx_ne_u16_e32 0x80, v4
	s_cbranch_execz .LBB258_512
; %bb.507:                              ;   in Loop: Header=BB258_12 Depth=1
	v_and_b32_e32 v13, 0xffff, v4
	v_mov_b32_e32 v14, 0x7c010000
	s_mov_b32 s44, exec_lo
	s_delay_alu instid0(VALU_DEP_2) | instskip(NEXT) | instid1(VALU_DEP_1)
	v_and_b32_e32 v87, 0x7f, v13
	v_cmpx_ne_u32_e32 0x7f, v87
	s_cbranch_execz .LBB258_511
; %bb.508:                              ;   in Loop: Header=BB258_12 Depth=1
	v_dual_lshrrev_b32 v86, 3, v87 :: v_dual_bitop2_b32 v14, 7, v13 bitop3:0x40
	s_mov_b32 s45, exec_lo
	v_cmpx_gt_u32_e32 8, v87
; %bb.509:                              ;   in Loop: Header=BB258_12 Depth=1
	s_delay_alu instid0(VALU_DEP_2) | instskip(NEXT) | instid1(VALU_DEP_1)
	v_clz_i32_u32_e32 v14, v14
	v_min_u32_e32 v14, 32, v14
	s_delay_alu instid0(VALU_DEP_1) | instskip(NEXT) | instid1(VALU_DEP_1)
	v_subrev_nc_u32_e32 v86, 28, v14
	v_lshlrev_b64_e32 v[88:89], v86, v[4:5]
	s_delay_alu instid0(VALU_DEP_1)
	v_dual_sub_nc_u32 v86, 29, v14 :: v_dual_bitop2_b32 v14, 7, v88 bitop3:0x40
; %bb.510:                              ;   in Loop: Header=BB258_12 Depth=1
	s_or_b32 exec_lo, exec_lo, s45
	v_lshlrev_b32_e32 v4, 8, v13
	s_delay_alu instid0(VALU_DEP_2) | instskip(NEXT) | instid1(VALU_DEP_1)
	v_lshl_add_u32 v13, v86, 10, 0x2000
	v_and_or_b32 v4, 0x8000, v4, v13
	v_lshlrev_b32_e32 v13, 23, v14
	s_delay_alu instid0(VALU_DEP_1)
	v_lshl_or_b32 v14, v4, 16, v13
.LBB258_511:                            ;   in Loop: Header=BB258_12 Depth=1
	s_or_b32 exec_lo, exec_lo, s44
.LBB258_512:                            ;   in Loop: Header=BB258_12 Depth=1
	s_delay_alu instid0(SALU_CYCLE_1)
	s_or_b32 exec_lo, exec_lo, s43
.LBB258_513:                            ;   in Loop: Header=BB258_12 Depth=1
	s_delay_alu instid0(SALU_CYCLE_1) | instskip(SKIP_3) | instid1(VALU_DEP_2)
	s_or_b32 exec_lo, exec_lo, s42
	v_dual_lshrrev_b32 v4, 16, v12 :: v_dual_mov_b32 v86, 0
	v_mov_b32_e32 v87, 0
	s_mov_b32 s42, exec_lo
	v_and_b32_e32 v13, 0xff, v4
	s_delay_alu instid0(VALU_DEP_1)
	v_cmpx_ne_u16_e32 0, v13
	s_cbranch_execz .LBB258_521
; %bb.514:                              ;   in Loop: Header=BB258_12 Depth=1
	v_mov_b32_e32 v87, 0x8000
	s_mov_b32 s43, exec_lo
	v_cmpx_ne_u16_e32 0x80, v13
	s_cbranch_execz .LBB258_520
; %bb.515:                              ;   in Loop: Header=BB258_12 Depth=1
	v_bfe_u32 v88, v12, 16, 7
	v_mov_b32_e32 v87, 0x7c01
	s_mov_b32 s44, exec_lo
	s_delay_alu instid0(VALU_DEP_2)
	v_cmpx_ne_u32_e32 0x7f, v88
	s_cbranch_execz .LBB258_519
; %bb.516:                              ;   in Loop: Header=BB258_12 Depth=1
	v_and_b32_e32 v13, 7, v4
	v_lshrrev_b32_e32 v87, 3, v88
	s_mov_b32 s45, exec_lo
	v_cmpx_gt_u32_e32 8, v88
; %bb.517:                              ;   in Loop: Header=BB258_12 Depth=1
	s_delay_alu instid0(VALU_DEP_3) | instskip(NEXT) | instid1(VALU_DEP_1)
	v_clz_i32_u32_e32 v13, v13
	v_min_u32_e32 v13, 32, v13
	s_delay_alu instid0(VALU_DEP_1) | instskip(NEXT) | instid1(VALU_DEP_1)
	v_subrev_nc_u32_e32 v87, 28, v13
	v_lshlrev_b64_e32 v[88:89], v87, v[4:5]
	s_delay_alu instid0(VALU_DEP_1)
	v_dual_sub_nc_u32 v87, 29, v13 :: v_dual_bitop2_b32 v13, 7, v88 bitop3:0x40
; %bb.518:                              ;   in Loop: Header=BB258_12 Depth=1
	s_or_b32 exec_lo, exec_lo, s45
	s_delay_alu instid0(VALU_DEP_1) | instskip(NEXT) | instid1(VALU_DEP_2)
	v_dual_lshlrev_b32 v4, 8, v4 :: v_dual_lshlrev_b32 v13, 7, v13
	v_lshl_add_u32 v87, v87, 10, 0x2000
	s_delay_alu instid0(VALU_DEP_2) | instskip(NEXT) | instid1(VALU_DEP_2)
	v_and_b32_e32 v4, 0x8000, v4
	v_and_b32_e32 v87, 0xfc00, v87
	s_delay_alu instid0(VALU_DEP_1)
	v_or3_b32 v87, v4, v87, v13
.LBB258_519:                            ;   in Loop: Header=BB258_12 Depth=1
	s_or_b32 exec_lo, exec_lo, s44
.LBB258_520:                            ;   in Loop: Header=BB258_12 Depth=1
	s_delay_alu instid0(SALU_CYCLE_1)
	s_or_b32 exec_lo, exec_lo, s43
.LBB258_521:                            ;   in Loop: Header=BB258_12 Depth=1
	s_delay_alu instid0(SALU_CYCLE_1) | instskip(NEXT) | instid1(SALU_CYCLE_1)
	s_or_b32 exec_lo, exec_lo, s42
	s_mov_b32 s42, exec_lo
	v_cmpx_lt_u32_e32 0xffffff, v12
	s_cbranch_execz .LBB258_529
; %bb.522:                              ;   in Loop: Header=BB258_12 Depth=1
	v_lshrrev_b32_e32 v4, 24, v12
	v_bfrev_b32_e32 v86, 1
	s_mov_b32 s43, exec_lo
	s_delay_alu instid0(VALU_DEP_2)
	v_cmpx_ne_u32_e32 0x80, v4
	s_cbranch_execz .LBB258_528
; %bb.523:                              ;   in Loop: Header=BB258_12 Depth=1
	v_and_b32_e32 v88, 0x7f, v4
	v_mov_b32_e32 v86, 0x7c010000
	s_mov_b32 s44, exec_lo
	s_delay_alu instid0(VALU_DEP_2)
	v_cmpx_ne_u32_e32 0x7f, v88
	s_cbranch_execz .LBB258_527
; %bb.524:                              ;   in Loop: Header=BB258_12 Depth=1
	v_and_b32_e32 v12, 7, v4
	v_lshrrev_b32_e32 v13, 3, v88
	s_mov_b32 s45, exec_lo
	v_cmpx_gt_u32_e32 8, v88
; %bb.525:                              ;   in Loop: Header=BB258_12 Depth=1
	s_delay_alu instid0(VALU_DEP_3) | instskip(NEXT) | instid1(VALU_DEP_1)
	v_clz_i32_u32_e32 v12, v12
	v_min_u32_e32 v86, 32, v12
	s_delay_alu instid0(VALU_DEP_1) | instskip(NEXT) | instid1(VALU_DEP_1)
	v_subrev_nc_u32_e32 v12, 28, v86
	v_lshlrev_b64_e32 v[12:13], v12, v[4:5]
	s_delay_alu instid0(VALU_DEP_1)
	v_dual_sub_nc_u32 v13, 29, v86 :: v_dual_bitop2_b32 v12, 7, v12 bitop3:0x40
; %bb.526:                              ;   in Loop: Header=BB258_12 Depth=1
	s_or_b32 exec_lo, exec_lo, s45
	v_lshlrev_b32_e32 v4, 8, v4
	s_delay_alu instid0(VALU_DEP_2) | instskip(NEXT) | instid1(VALU_DEP_3)
	v_lshl_add_u32 v13, v13, 10, 0x2000
	v_lshlrev_b32_e32 v12, 23, v12
	s_delay_alu instid0(VALU_DEP_2) | instskip(NEXT) | instid1(VALU_DEP_1)
	v_and_or_b32 v4, 0x8000, v4, v13
	v_lshl_or_b32 v86, v4, 16, v12
.LBB258_527:                            ;   in Loop: Header=BB258_12 Depth=1
	s_or_b32 exec_lo, exec_lo, s44
.LBB258_528:                            ;   in Loop: Header=BB258_12 Depth=1
	s_delay_alu instid0(SALU_CYCLE_1)
	s_or_b32 exec_lo, exec_lo, s43
.LBB258_529:                            ;   in Loop: Header=BB258_12 Depth=1
	s_delay_alu instid0(SALU_CYCLE_1)
	s_or_b32 exec_lo, exec_lo, s42
	ds_load_b64 v[12:13], v16
	v_or_b32_e32 v4, v22, v23
	v_or_b32_e32 v23, v24, v25
	v_fma_mixlo_f16 v24, v7, v24, 0 op_sel:[0,1,0] op_sel_hi:[0,1,0]
	v_fma_mixlo_f16 v22, v7, v22, 0 op_sel:[0,1,0] op_sel_hi:[0,1,0]
	v_or_b32_e32 v48, v47, v48
	v_fma_mixlo_f16 v47, v7, v47, 0 op_sel:[0,1,0] op_sel_hi:[0,1,0]
	v_fma_mixlo_f16 v23, v7, v23, 0 op_sel_hi:[0,1,0]
	v_and_b32_e32 v90, 0xffff, v24
	v_and_b32_e32 v22, 0xffff, v22
	v_fma_mixlo_f16 v48, v7, v48, 0 op_sel_hi:[0,1,0]
	v_and_b32_e32 v110, 0xffff, v47
	v_and_b32_e32 v23, 0xffff, v23
	v_or_b32_e32 v52, v51, v52
	v_fma_mixlo_f16 v51, v7, v51, 0 op_sel:[0,1,0] op_sel_hi:[0,1,0]
	v_and_b32_e32 v109, 0xffff, v48
	v_or_b32_e32 v56, v55, v56
	v_fma_mixlo_f16 v55, v7, v55, 0 op_sel:[0,1,0] op_sel_hi:[0,1,0]
	v_fma_mixlo_f16 v52, v7, v52, 0 op_sel_hi:[0,1,0]
	v_and_b32_e32 v112, 0xffff, v51
	s_wait_dscnt 0x0
	v_and_b32_e32 v24, 0xffff, v12
	v_lshrrev_b32_e32 v12, 16, v12
	v_fma_mixlo_f16 v4, v7, v4, 0 op_sel_hi:[0,1,0]
	v_lshrrev_b32_e32 v89, 16, v13
	v_and_b32_e32 v13, 0xffff, v13
	;;#ASMSTART
	v_cvt_f32_f16 v96, v24;
	;;#ASMEND
	;;#ASMSTART
	v_cvt_f32_f16 v24, v12;
	;;#ASMEND
	v_and_b32_e32 v4, 0xffff, v4
	;;#ASMSTART
	v_cvt_f32_f16 v97, v4;
	;;#ASMEND
	;;#ASMSTART
	v_cvt_f32_f16 v88, v22;
	;;#ASMEND
	;; [unrolled: 3-line block ×3, first 2 shown]
	v_or_b32_e32 v4, v26, v27
	;;#ASMSTART
	v_cvt_f32_f16 v22, v89;
	;;#ASMEND
	;;#ASMSTART
	v_cvt_f32_f16 v89, v23;
	;;#ASMEND
	;; [unrolled: 3-line block ×3, first 2 shown]
	ds_load_b64 v[12:13], v16 offset:8
	v_or_b32_e32 v27, v28, v32
	v_fma_mixlo_f16 v26, v7, v26, 0 op_sel:[0,1,0] op_sel_hi:[0,1,0]
	v_fma_mixlo_f16 v4, v7, v4, 0 op_sel_hi:[0,1,0]
	v_fma_mixlo_f16 v28, v7, v28, 0 op_sel:[0,1,0] op_sel_hi:[0,1,0]
	v_and_b32_e32 v115, 0xffff, v52
	v_fma_mixlo_f16 v56, v7, v56, 0 op_sel_hi:[0,1,0]
	v_and_b32_e32 v26, 0xffff, v26
	v_and_b32_e32 v32, 0xffff, v4
	;; [unrolled: 1-line block ×5, first 2 shown]
	v_or_b32_e32 v50, v49, v50
	v_fma_mixlo_f16 v49, v7, v49, 0 op_sel:[0,1,0] op_sel_hi:[0,1,0]
	v_or_b32_e32 v54, v53, v54
	v_fma_mixlo_f16 v53, v7, v53, 0 op_sel:[0,1,0] op_sel_hi:[0,1,0]
	v_or_b32_e32 v58, v57, v58
	v_fma_mixlo_f16 v50, v7, v50, 0 op_sel_hi:[0,1,0]
	v_and_b32_e32 v111, 0xffff, v49
	v_fma_mixlo_f16 v54, v7, v54, 0 op_sel_hi:[0,1,0]
	s_wait_dscnt 0x0
	v_lshrrev_b32_e32 v90, 16, v13
	v_fma_mixlo_f16 v27, v7, v27, 0 op_sel_hi:[0,1,0]
	v_and_b32_e32 v4, 0xffff, v12
	v_lshrrev_b32_e32 v12, 16, v12
	v_and_b32_e32 v13, 0xffff, v13
	;;#ASMSTART
	v_cvt_f32_f16 v4, v4;
	;;#ASMEND
	v_and_b32_e32 v27, 0xffff, v27
	;;#ASMSTART
	v_cvt_f32_f16 v98, v12;
	;;#ASMEND
	;;#ASMSTART
	v_cvt_f32_f16 v102, v32;
	;;#ASMEND
	;; [unrolled: 3-line block ×7, first 2 shown]
	ds_load_b64 v[12:13], v16 offset:16
	v_or_b32_e32 v28, v33, v34
	v_or_b32_e32 v32, v35, v36
	v_fma_mixlo_f16 v33, v7, v33, 0 op_sel:[0,1,0] op_sel_hi:[0,1,0]
	v_fma_mixlo_f16 v34, v7, v35, 0 op_sel:[0,1,0] op_sel_hi:[0,1,0]
	v_and_b32_e32 v50, 0xffff, v50
	v_fma_mixlo_f16 v28, v7, v28, 0 op_sel_hi:[0,1,0]
	v_and_b32_e32 v55, 0xffff, v54
	v_and_b32_e32 v33, 0xffff, v33
	;; [unrolled: 1-line block ×3, first 2 shown]
	v_dual_mul_f32 v4, v4, v102 :: v_dual_bitop2_b32 v60, v59, v60 bitop3:0x54
	v_and_b32_e32 v34, 0xffff, v28
	v_fma_mixlo_f16 v57, v7, v57, 0 op_sel:[0,1,0] op_sel_hi:[0,1,0]
	v_fma_mixlo_f16 v59, v7, v59, 0 op_sel:[0,1,0] op_sel_hi:[0,1,0]
	s_delay_alu instid0(VALU_DEP_4)
	v_fma_mixlo_f16 v60, v7, v60, 0 op_sel_hi:[0,1,0]
	v_fma_mixlo_f16 v58, v7, v58, 0 op_sel_hi:[0,1,0]
	v_or_b32_e32 v62, v61, v62
	v_fma_mixlo_f16 v61, v7, v61, 0 op_sel:[0,1,0] op_sel_hi:[0,1,0]
	v_and_b32_e32 v122, 0xffff, v59
	s_wait_dscnt 0x0
	v_lshrrev_b32_e32 v92, 16, v13
	v_fma_mixlo_f16 v32, v7, v32, 0 op_sel_hi:[0,1,0]
	v_and_b32_e32 v28, 0xffff, v12
	v_lshrrev_b32_e32 v12, 16, v12
	v_and_b32_e32 v13, 0xffff, v13
	;;#ASMSTART
	v_cvt_f32_f16 v90, v28;
	;;#ASMEND
	v_and_b32_e32 v35, 0xffff, v32
	;;#ASMSTART
	v_cvt_f32_f16 v28, v12;
	;;#ASMEND
	;;#ASMSTART
	v_cvt_f32_f16 v91, v34;
	;;#ASMEND
	;; [unrolled: 3-line block ×7, first 2 shown]
	ds_load_b64 v[12:13], v16 offset:24
	v_or_b32_e32 v38, v37, v38
	v_or_b32_e32 v40, v39, v40
	v_fma_mixlo_f16 v37, v7, v37, 0 op_sel:[0,1,0] op_sel_hi:[0,1,0]
	v_fma_mixlo_f16 v39, v7, v39, 0 op_sel:[0,1,0] op_sel_hi:[0,1,0]
	v_and_b32_e32 v59, 0xffff, v58
	v_and_b32_e32 v121, 0xffff, v60
	v_fma_mixlo_f16 v62, v7, v62, 0 op_sel_hi:[0,1,0]
	v_and_b32_e32 v92, 0xffff, v37
	v_and_b32_e32 v95, 0xffff, v39
	;; [unrolled: 1-line block ×3, first 2 shown]
	v_dual_fmac_f32 v4, v96, v97 :: v_dual_mul_f32 v26, v26, v27
	s_delay_alu instid0(VALU_DEP_1) | instskip(NEXT) | instid1(VALU_DEP_2)
	v_fmac_f32_e32 v4, v90, v91
	v_fmac_f32_e32 v26, v22, v23
	s_wait_dscnt 0x0
	v_and_b32_e32 v37, 0xffff, v12
	v_lshrrev_b32_e32 v12, 16, v12
	v_fma_mixlo_f16 v38, v7, v38, 0 op_sel_hi:[0,1,0]
	v_lshrrev_b32_e32 v93, 16, v13
	v_fma_mixlo_f16 v40, v7, v40, 0 op_sel_hi:[0,1,0]
	v_and_b32_e32 v13, 0xffff, v13
	;;#ASMSTART
	v_cvt_f32_f16 v37, v37;
	;;#ASMEND
	v_and_b32_e32 v39, 0xffff, v38
	;;#ASMSTART
	v_cvt_f32_f16 v38, v12;
	;;#ASMEND
	;; [unrolled: 4-line block ×3, first 2 shown]
	;;#ASMSTART
	v_cvt_f32_f16 v40, v92;
	;;#ASMEND
	;;#ASMSTART
	v_cvt_f32_f16 v92, v13;
	;;#ASMEND
	;; [unrolled: 3-line block ×5, first 2 shown]
	ds_load_b64 v[12:13], v16 offset:32
	v_or_b32_e32 v42, v41, v42
	v_or_b32_e32 v46, v45, v46
	v_fma_mixlo_f16 v41, v7, v41, 0 op_sel:[0,1,0] op_sel_hi:[0,1,0]
	v_fma_mixlo_f16 v45, v7, v45, 0 op_sel:[0,1,0] op_sel_hi:[0,1,0]
	v_fmac_f32_e32 v26, v34, v36
	s_delay_alu instid0(VALU_DEP_3) | instskip(NEXT) | instid1(VALU_DEP_3)
	v_and_b32_e32 v103, 0xffff, v41
	v_and_b32_e32 v106, 0xffff, v45
	s_delay_alu instid0(VALU_DEP_3)
	v_fmac_f32_e32 v26, v93, v95
	s_wait_dscnt 0x0
	v_and_b32_e32 v41, 0xffff, v12
	v_lshrrev_b32_e32 v12, 16, v12
	v_fma_mixlo_f16 v42, v7, v42, 0 op_sel_hi:[0,1,0]
	v_lshrrev_b32_e32 v104, 16, v13
	v_fma_mixlo_f16 v46, v7, v46, 0 op_sel_hi:[0,1,0]
	v_and_b32_e32 v13, 0xffff, v13
	;;#ASMSTART
	v_cvt_f32_f16 v41, v41;
	;;#ASMEND
	v_and_b32_e32 v45, 0xffff, v42
	;;#ASMSTART
	v_cvt_f32_f16 v42, v12;
	;;#ASMEND
	;; [unrolled: 4-line block ×3, first 2 shown]
	;;#ASMSTART
	v_cvt_f32_f16 v46, v103;
	;;#ASMEND
	;;#ASMSTART
	v_cvt_f32_f16 v103, v13;
	;;#ASMEND
	;; [unrolled: 3-line block ×5, first 2 shown]
	ds_load_b64 v[12:13], v16 offset:40
	v_or_b32_e32 v44, v43, v44
	v_fma_mixlo_f16 v43, v7, v43, 0 op_sel:[0,1,0] op_sel_hi:[0,1,0]
	v_fmac_f32_e32 v26, v104, v106
	s_delay_alu instid0(VALU_DEP_2)
	v_and_b32_e32 v107, 0xffff, v43
	s_wait_dscnt 0x0
	v_lshrrev_b32_e32 v108, 16, v13
	v_fma_mixlo_f16 v44, v7, v44, 0 op_sel_hi:[0,1,0]
	v_and_b32_e32 v43, 0xffff, v12
	v_lshrrev_b32_e32 v12, 16, v12
	v_and_b32_e32 v13, 0xffff, v13
	;;#ASMSTART
	v_cvt_f32_f16 v43, v43;
	;;#ASMEND
	v_and_b32_e32 v47, 0xffff, v44
	;;#ASMSTART
	v_cvt_f32_f16 v44, v12;
	;;#ASMEND
	;;#ASMSTART
	v_cvt_f32_f16 v47, v47;
	;;#ASMEND
	;; [unrolled: 3-line block ×7, first 2 shown]
	ds_load_b64 v[12:13], v16 offset:48
	v_fmac_f32_e32 v26, v108, v110
	s_wait_dscnt 0x0
	v_and_b32_e32 v49, 0xffff, v12
	v_dual_lshrrev_b32 v12, 16, v12 :: v_dual_lshrrev_b32 v52, 16, v13
	v_and_b32_e32 v13, 0xffff, v13
	;;#ASMSTART
	v_cvt_f32_f16 v113, v49;
	;;#ASMEND
	;;#ASMSTART
	v_cvt_f32_f16 v49, v12;
	;;#ASMEND
	;;#ASMSTART
	v_cvt_f32_f16 v114, v50;
	;;#ASMEND
	;;#ASMSTART
	v_cvt_f32_f16 v50, v111;
	;;#ASMEND
	;;#ASMSTART
	v_cvt_f32_f16 v51, v13;
	;;#ASMEND
	;;#ASMSTART
	v_cvt_f32_f16 v52, v52;
	;;#ASMEND
	;;#ASMSTART
	v_cvt_f32_f16 v111, v115;
	;;#ASMEND
	;;#ASMSTART
	v_cvt_f32_f16 v112, v112;
	;;#ASMEND
	ds_load_b64 v[12:13], v16 offset:56
	v_and_b32_e32 v115, 0xffff, v53
	v_fmac_f32_e32 v26, v52, v112
	s_wait_dscnt 0x0
	v_and_b32_e32 v53, 0xffff, v12
	v_dual_lshrrev_b32 v12, 16, v12 :: v_dual_lshrrev_b32 v119, 16, v13
	v_and_b32_e32 v13, 0xffff, v13
	;;#ASMSTART
	v_cvt_f32_f16 v54, v53;
	;;#ASMEND
	;;#ASMSTART
	v_cvt_f32_f16 v53, v12;
	;;#ASMEND
	;; [unrolled: 3-line block ×8, first 2 shown]
	ds_load_b64 v[12:13], v16 offset:64
	v_and_b32_e32 v119, 0xffff, v57
	v_fmac_f32_e32 v26, v115, v118
	s_wait_dscnt 0x0
	v_and_b32_e32 v57, 0xffff, v12
	v_dual_lshrrev_b32 v12, 16, v12 :: v_dual_lshrrev_b32 v123, 16, v13
	v_and_b32_e32 v13, 0xffff, v13
	;;#ASMSTART
	v_cvt_f32_f16 v58, v57;
	;;#ASMEND
	;;#ASMSTART
	v_cvt_f32_f16 v57, v12;
	;;#ASMEND
	;; [unrolled: 3-line block ×8, first 2 shown]
	ds_load_b64 v[12:13], v16 offset:72
	v_or_b32_e32 v64, v63, v64
	v_fma_mixlo_f16 v63, v7, v63, 0 op_sel:[0,1,0] op_sel_hi:[0,1,0]
	v_fmac_f32_e32 v26, v119, v122
	s_delay_alu instid0(VALU_DEP_2)
	v_and_b32_e32 v125, 0xffff, v63
	v_and_b32_e32 v63, 0xffff, v62
	s_wait_dscnt 0x0
	v_lshrrev_b32_e32 v102, 16, v13
	v_fma_mixlo_f16 v64, v7, v64, 0 op_sel_hi:[0,1,0]
	v_and_b32_e32 v61, 0xffff, v12
	v_lshrrev_b32_e32 v12, 16, v12
	v_and_b32_e32 v13, 0xffff, v13
	;;#ASMSTART
	v_cvt_f32_f16 v62, v61;
	;;#ASMEND
	v_and_b32_e32 v126, 0xffff, v64
	;;#ASMSTART
	v_cvt_f32_f16 v61, v12;
	;;#ASMEND
	;;#ASMSTART
	v_cvt_f32_f16 v123, v63;
	;;#ASMEND
	;; [unrolled: 3-line block ×7, first 2 shown]
	ds_load_b64 v[126:127], v16 offset:80
	v_or_b32_e32 v12, v65, v66
	v_or_b32_e32 v13, v67, v68
	v_fma_mixlo_f16 v65, v7, v65, 0 op_sel:[0,1,0] op_sel_hi:[0,1,0]
	v_fma_mixlo_f16 v66, v7, v67, 0 op_sel:[0,1,0] op_sel_hi:[0,1,0]
	v_fmac_f32_e32 v26, v102, v125
	v_fma_mixlo_f16 v12, v7, v12, 0 op_sel_hi:[0,1,0]
	s_delay_alu instid0(VALU_DEP_4) | instskip(NEXT) | instid1(VALU_DEP_4)
	v_and_b32_e32 v65, 0xffff, v65
	v_and_b32_e32 v66, 0xffff, v66
	s_delay_alu instid0(VALU_DEP_3) | instskip(SKIP_2) | instid1(VALU_DEP_2)
	v_and_b32_e32 v67, 0xffff, v12
	v_mul_f32_e32 v12, v100, v101
	v_fma_mixlo_f16 v13, v7, v13, 0 op_sel_hi:[0,1,0]
	v_fmac_f32_e32 v12, v25, v89
	s_delay_alu instid0(VALU_DEP_2)
	v_and_b32_e32 v68, 0xffff, v13
	v_mul_f32_e32 v13, v98, v99
	s_wait_dscnt 0x0
	v_and_b32_e32 v98, 0xffff, v126
	v_dual_lshrrev_b32 v99, 16, v126 :: v_dual_lshrrev_b32 v96, 16, v127
	v_and_b32_e32 v97, 0xffff, v127
	;;#ASMSTART
	v_cvt_f32_f16 v98, v98;
	;;#ASMEND
	;;#ASMSTART
	v_cvt_f32_f16 v99, v99;
	;;#ASMEND
	;; [unrolled: 3-line block ×8, first 2 shown]
	ds_load_b64 v[96:97], v16 offset:88
	v_dual_fmac_f32 v13, v24, v88 :: v_dual_bitop2_b32 v67, v69, v70 bitop3:0x54
	v_or_b32_e32 v68, v71, v72
	v_fma_mixlo_f16 v69, v7, v69, 0 op_sel:[0,1,0] op_sel_hi:[0,1,0]
	v_fma_mixlo_f16 v70, v7, v71, 0 op_sel:[0,1,0] op_sel_hi:[0,1,0]
	s_delay_alu instid0(VALU_DEP_4)
	v_fma_mixlo_f16 v67, v7, v67, 0 op_sel_hi:[0,1,0]
	v_or_b32_e32 v71, v73, v74
	v_fma_mixlo_f16 v68, v7, v68, 0 op_sel_hi:[0,1,0]
	v_or_b32_e32 v72, v75, v76
	v_fma_mixlo_f16 v74, v7, v75, 0 op_sel:[0,1,0] op_sel_hi:[0,1,0]
	v_or_b32_e32 v75, v81, v82
	v_and_b32_e32 v69, 0xffff, v69
	v_and_b32_e32 v70, 0xffff, v70
	;; [unrolled: 1-line block ×4, first 2 shown]
	v_fma_mixlo_f16 v73, v7, v73, 0 op_sel:[0,1,0] op_sel_hi:[0,1,0]
	v_and_b32_e32 v74, 0xffff, v74
	v_dual_fmac_f32 v13, v28, v32 :: v_dual_fmac_f32 v12, v33, v35
	s_wait_dscnt 0x0
	v_and_b32_e32 v24, 0xffff, v96
	v_lshrrev_b32_e32 v25, 16, v97
	v_and_b32_e32 v82, 0xffff, v97
	v_lshrrev_b32_e32 v76, 16, v96
	;;#ASMSTART
	v_cvt_f32_f16 v88, v24;
	;;#ASMEND
	;;#ASMSTART
	v_cvt_f32_f16 v89, v76;
	;;#ASMEND
	;;#ASMSTART
	v_cvt_f32_f16 v96, v67;
	;;#ASMEND
	;;#ASMSTART
	v_cvt_f32_f16 v97, v69;
	;;#ASMEND
	;;#ASMSTART
	v_cvt_f32_f16 v82, v82;
	;;#ASMEND
	;;#ASMSTART
	v_cvt_f32_f16 v1, v25;
	;;#ASMEND
	;;#ASMSTART
	v_cvt_f32_f16 v30, v68;
	;;#ASMEND
	;;#ASMSTART
	v_cvt_f32_f16 v31, v70;
	;;#ASMEND
	ds_load_b64 v[24:25], v16 offset:96
	v_fma_mixlo_f16 v71, v7, v71, 0 op_sel_hi:[0,1,0]
	v_fma_mixlo_f16 v72, v7, v72, 0 op_sel_hi:[0,1,0]
	v_or_b32_e32 v76, v79, v80
	v_or_b32_e32 v68, v83, v84
	;; [unrolled: 1-line block ×3, first 2 shown]
	v_fma_mixlo_f16 v78, v7, v79, 0 op_sel:[0,1,0] op_sel_hi:[0,1,0]
	v_and_b32_e32 v79, 0xffff, v73
	v_and_b32_e32 v71, 0xffff, v71
	;; [unrolled: 1-line block ×3, first 2 shown]
	v_fma_mixlo_f16 v67, v7, v81, 0 op_sel:[0,1,0] op_sel_hi:[0,1,0]
	v_fma_mixlo_f16 v73, v7, v75, 0 op_sel_hi:[0,1,0]
	v_fma_mixlo_f16 v27, v7, v76, 0 op_sel_hi:[0,1,0]
	v_dual_fmac_f32 v4, v37, v39 :: v_dual_fmac_f32 v13, v38, v40
	v_fmac_f32_e32 v12, v92, v94
	v_fma_mixlo_f16 v77, v7, v77, 0 op_sel:[0,1,0] op_sel_hi:[0,1,0]
	s_delay_alu instid0(VALU_DEP_4) | instskip(NEXT) | instid1(VALU_DEP_4)
	v_and_b32_e32 v27, 0xffff, v27
	v_dual_fmac_f32 v4, v41, v45 :: v_dual_fmac_f32 v13, v42, v46
	s_wait_dscnt 0x0
	v_and_b32_e32 v22, 0xffff, v24
	v_dual_lshrrev_b32 v23, 16, v24 :: v_dual_lshrrev_b32 v24, 16, v25
	v_and_b32_e32 v25, 0xffff, v25
	;;#ASMSTART
	v_cvt_f32_f16 v75, v22;
	;;#ASMEND
	;;#ASMSTART
	v_cvt_f32_f16 v76, v23;
	;;#ASMEND
	;; [unrolled: 3-line block ×8, first 2 shown]
	ds_load_b64 v[22:23], v16 offset:104
	v_fma_mixlo_f16 v70, v7, v70, 0 op_sel_hi:[0,1,0]
	v_fmac_f32_e32 v12, v103, v105
	v_dual_fmac_f32 v4, v43, v47 :: v_dual_fmac_f32 v13, v44, v48
	v_and_b32_e32 v24, 0xffff, v77
	s_delay_alu instid0(VALU_DEP_4)
	v_and_b32_e32 v28, 0xffff, v70
	v_and_b32_e32 v25, 0xffff, v78
	v_fmac_f32_e32 v12, v107, v109
	v_fmac_f32_e32 v4, v113, v114
	;; [unrolled: 1-line block ×3, first 2 shown]
	v_fma_mixlo_f16 v69, v7, v83, 0 op_sel:[0,1,0] op_sel_hi:[0,1,0]
	v_fma_mixlo_f16 v68, v7, v68, 0 op_sel_hi:[0,1,0]
	v_fmac_f32_e32 v12, v51, v111
	s_delay_alu instid0(VALU_DEP_4) | instskip(SKIP_1) | instid1(VALU_DEP_4)
	v_dual_fmac_f32 v4, v54, v116 :: v_dual_fmac_f32 v13, v53, v55
	v_and_b32_e32 v38, 0xffff, v73
	v_and_b32_e32 v41, 0xffff, v68
	s_delay_alu instid0(VALU_DEP_4) | instskip(NEXT) | instid1(VALU_DEP_4)
	v_fmac_f32_e32 v12, v56, v117
	v_fmac_f32_e32 v4, v58, v120
	s_wait_dscnt 0x0
	v_and_b32_e32 v32, 0xffff, v22
	v_dual_lshrrev_b32 v22, 16, v22 :: v_dual_lshrrev_b32 v33, 16, v23
	v_and_b32_e32 v23, 0xffff, v23
	;;#ASMSTART
	v_cvt_f32_f16 v32, v32;
	;;#ASMEND
	;;#ASMSTART
	v_cvt_f32_f16 v34, v22;
	;;#ASMEND
	;; [unrolled: 3-line block ×8, first 2 shown]
	ds_load_b64 v[22:23], v16 offset:112
	v_dual_fmac_f32 v13, v57, v59 :: v_dual_bitop2_b32 v24, v14, v85 bitop3:0x54
	v_fmac_f32_e32 v12, v60, v121
	v_fmac_f32_e32 v4, v62, v123
	v_and_b32_e32 v42, 0xffff, v69
	v_fmac_f32_e32 v26, v65, v66
	s_delay_alu instid0(VALU_DEP_4) | instskip(SKIP_2) | instid1(VALU_DEP_3)
	v_dual_fmac_f32 v13, v61, v63 :: v_dual_fmac_f32 v12, v64, v124
	v_fma_mixlo_f16 v14, v7, v14, 0 op_sel:[0,1,0] op_sel_hi:[0,1,0]
	v_fma_mixlo_f16 v24, v7, v24, 0 op_sel_hi:[0,1,0]
	v_dual_fmac_f32 v13, v99, v101 :: v_dual_fmac_f32 v12, v126, v127
	s_delay_alu instid0(VALU_DEP_3) | instskip(NEXT) | instid1(VALU_DEP_3)
	v_and_b32_e32 v14, 0xffff, v14
	v_and_b32_e32 v24, 0xffff, v24
	s_delay_alu instid0(VALU_DEP_3)
	v_dual_fmac_f32 v13, v89, v97 :: v_dual_fmac_f32 v12, v82, v30
	s_wait_dscnt 0x0
	v_and_b32_e32 v25, 0xffff, v22
	v_dual_lshrrev_b32 v22, 16, v22 :: v_dual_fmac_f32 v4, v98, v100
	;;#ASMSTART
	v_cvt_f32_f16 v39, v25;
	;;#ASMEND
	;;#ASMSTART
	v_cvt_f32_f16 v40, v22;
	;;#ASMEND
	v_and_b32_e32 v22, 0xffff, v67
	v_and_b32_e32 v25, 0xffff, v23
	v_dual_fmac_f32 v4, v88, v96 :: v_dual_lshrrev_b32 v23, 16, v23
	;;#ASMSTART
	v_cvt_f32_f16 v38, v38;
	;;#ASMEND
	;;#ASMSTART
	v_cvt_f32_f16 v43, v22;
	;;#ASMEND
	;; [unrolled: 3-line block ×6, first 2 shown]
	ds_load_b64 v[22:23], v16 offset:120
	v_fmac_f32_e32 v4, v75, v71
	v_fmac_f32_e32 v26, v1, v31
	v_dual_fmac_f32 v12, v80, v72 :: v_dual_bitop2_b32 v25, v86, v87 bitop3:0x54
	s_delay_alu instid0(VALU_DEP_2) | instskip(SKIP_1) | instid1(VALU_DEP_3)
	v_dual_fmac_f32 v4, v32, v28 :: v_dual_fmac_f32 v26, v81, v74
	v_fmac_f32_e32 v13, v76, v79
	v_fmac_f32_e32 v12, v36, v27
	s_delay_alu instid0(VALU_DEP_4) | instskip(NEXT) | instid1(VALU_DEP_4)
	v_fma_mixlo_f16 v25, v7, v25, 0 op_sel_hi:[0,1,0]
	v_dual_fmac_f32 v4, v39, v38 :: v_dual_fmac_f32 v26, v33, v37
	s_delay_alu instid0(VALU_DEP_4) | instskip(SKIP_1) | instid1(VALU_DEP_4)
	v_fmac_f32_e32 v13, v34, v35
	v_fma_mixlo_f16 v7, v7, v86, 0 op_sel:[0,1,0] op_sel_hi:[0,1,0]
	v_and_b32_e32 v25, 0xffff, v25
	s_delay_alu instid0(VALU_DEP_3)
	v_dual_fmac_f32 v26, v45, v42 :: v_dual_fmac_f32 v13, v40, v43
	s_wait_dscnt 0x0
	v_and_b32_e32 v1, 0xffff, v22
	v_dual_lshrrev_b32 v22, 16, v22 :: v_dual_fmac_f32 v12, v44, v41
	;;#ASMSTART
	v_cvt_f32_f16 v1, v1;
	;;#ASMEND
	;;#ASMSTART
	v_cvt_f32_f16 v22, v22;
	;;#ASMEND
	;; [unrolled: 3-line block ×4, first 2 shown]
	v_and_b32_e32 v27, 0xffff, v23
	v_dual_fmac_f32 v4, v1, v24 :: v_dual_lshrrev_b32 v23, 16, v23
	v_fmac_f32_e32 v13, v22, v14
	;;#ASMSTART
	v_cvt_f32_f16 v1, v27;
	;;#ASMEND
	;;#ASMSTART
	v_cvt_f32_f16 v14, v23;
	;;#ASMEND
	;; [unrolled: 3-line block ×3, first 2 shown]
	v_and_b32_e32 v23, 0xffff, v7
	v_dual_fmac_f32 v12, v1, v22 :: v_dual_add_f32 v4, v4, v13
	;;#ASMSTART
	v_cvt_f32_f16 v1, v23;
	;;#ASMEND
	v_dual_fmac_f32 v26, v14, v1 :: v_dual_bitop2_b32 v7, 1, v3 bitop3:0x14
	s_delay_alu instid0(VALU_DEP_1) | instskip(NEXT) | instid1(VALU_DEP_1)
	v_cmp_gt_i32_e64 s5, 32, v7
	v_dual_add_f32 v4, v4, v12 :: v_dual_cndmask_b32 v7, v3, v7, s5
	s_delay_alu instid0(VALU_DEP_1)
	v_dual_add_f32 v4, v26, v4 :: v_dual_lshlrev_b32 v7, 2, v7
	ds_bpermute_b32 v7, v7, v4
	s_and_saveexec_b32 s42, s4
	s_cbranch_execz .LBB258_10
; %bb.530:                              ;   in Loop: Header=BB258_12 Depth=1
	s_wait_dscnt 0x0
	v_dual_add_nc_u32 v12, v18, v6 :: v_dual_add_f32 v4, v4, v7
	s_delay_alu instid0(VALU_DEP_1) | instskip(NEXT) | instid1(VALU_DEP_1)
	v_cvt_f32_i32_e32 v12, v12
	v_mul_f32_e32 v12, s37, v12
	s_delay_alu instid0(VALU_DEP_1) | instskip(NEXT) | instid1(VALU_DEP_1)
	v_dual_cndmask_b32 v7, 0, v12 :: v_dual_max_num_f32 v12, v17, v17
	v_dual_fmac_f32 v7, s7, v4 :: v_dual_add_nc_u32 v4, v15, v6
	s_delay_alu instid0(VALU_DEP_1) | instskip(NEXT) | instid1(VALU_DEP_1)
	v_cmp_gt_i32_e64 s5, s34, v4
	v_dual_max_num_f32 v12, v12, v7 :: v_dual_cndmask_b32 v4, 0, v7, s5
	s_delay_alu instid0(VALU_DEP_1)
	v_cndmask_b32_e64 v17, v17, v12, s5
	ds_store_b32 v19, v4
	s_branch .LBB258_10
.LBB258_531:
	s_or_b32 exec_lo, exec_lo, s41
	v_dual_lshrrev_b32 v18, 3, v0 :: v_dual_bitop2_b32 v19, 1, v0 bitop3:0x40
.LBB258_532:
	s_or_b32 exec_lo, exec_lo, s38
	s_wait_dscnt 0x0
	v_dual_max_num_f32 v7, v17, v17 :: v_dual_bitop2_b32 v4, 16, v3 bitop3:0x14
	s_clause 0x1
	s_load_b64 s[6:7], s[0:1], 0x0
	s_load_b64 s[28:29], s[0:1], 0x18
	v_dual_lshrrev_b32 v1, 5, v0 :: v_dual_bitop2_b32 v6, 8, v3 bitop3:0x14
	v_cmp_gt_i32_e32 vcc_lo, 32, v4
	v_xor_b32_e32 v8, 4, v3
	v_and_b32_e32 v32, 31, v0
	v_cndmask_b32_e32 v4, v3, v4, vcc_lo
	v_cmp_gt_i32_e32 vcc_lo, 32, v6
	s_delay_alu instid0(VALU_DEP_2) | instskip(SKIP_4) | instid1(VALU_DEP_1)
	v_dual_cndmask_b32 v6, v3, v6 :: v_dual_lshlrev_b32 v5, 2, v4
	v_cmp_gt_i32_e32 vcc_lo, 32, v8
	ds_bpermute_b32 v4, v5, v17
	s_wait_dscnt 0x0
	v_dual_lshlrev_b32 v6, 2, v6 :: v_dual_max_num_f32 v4, v4, v4
	v_max_num_f32_e32 v4, v7, v4
	ds_bpermute_b32 v7, v6, v4
	s_wait_dscnt 0x0
	v_max_num_f32_e32 v9, v7, v7
	s_delay_alu instid0(VALU_DEP_1) | instskip(NEXT) | instid1(VALU_DEP_1)
	v_dual_cndmask_b32 v8, v3, v8, vcc_lo :: v_dual_max_num_f32 v4, v4, v9
	v_lshlrev_b32_e32 v7, 2, v8
	ds_bpermute_b32 v8, v7, v4
	s_wait_dscnt 0x0
	v_dual_max_num_f32 v8, v8, v8 :: v_dual_bitop2_b32 v9, 2, v3 bitop3:0x14
	s_delay_alu instid0(VALU_DEP_1) | instskip(NEXT) | instid1(VALU_DEP_2)
	v_cmp_gt_i32_e32 vcc_lo, 32, v9
	v_dual_cndmask_b32 v10, v3, v9 :: v_dual_max_num_f32 v9, v4, v8
	v_lshlrev_b32_e32 v8, 2, v1
	v_cmp_eq_u32_e32 vcc_lo, 0, v32
	s_delay_alu instid0(VALU_DEP_3)
	v_lshlrev_b32_e32 v4, 2, v10
	ds_bpermute_b32 v10, v4, v9
	s_wait_xcnt 0x0
	s_and_saveexec_b32 s0, vcc_lo
	s_cbranch_execz .LBB258_534
; %bb.533:
	s_wait_dscnt 0x0
	v_dual_max_num_f32 v10, v10, v10 :: v_dual_max_num_f32 v9, v9, v9
	s_delay_alu instid0(VALU_DEP_1)
	v_max_num_f32_e32 v9, v9, v10
	ds_store_b32 v8, v9 offset:256
.LBB258_534:
	s_or_b32 exec_lo, exec_lo, s0
	v_cmp_gt_u32_e64 s0, 4, v32
	s_wait_dscnt 0x0
	v_dual_mov_b32 v10, 0xff7fffff :: v_dual_lshlrev_b32 v9, 2, v32
	s_barrier_signal -1
	s_barrier_wait -1
	s_and_saveexec_b32 s1, s0
; %bb.535:
	ds_load_b32 v10, v9 offset:256
; %bb.536:
	s_or_b32 exec_lo, exec_lo, s1
	s_wait_dscnt 0x0
	ds_bpermute_b32 v11, v4, v10
	v_dual_max_num_f32 v10, v10, v10 :: v_dual_bitop2_b32 v12, 1, v3 bitop3:0x14
	s_delay_alu instid0(VALU_DEP_1) | instskip(NEXT) | instid1(VALU_DEP_1)
	v_cmp_gt_i32_e64 s1, 32, v12
	v_cndmask_b32_e64 v3, v3, v12, s1
	s_lshl_b32 s1, s35, 4
	s_delay_alu instid0(SALU_CYCLE_1) | instskip(NEXT) | instid1(VALU_DEP_1)
	s_min_i32 s5, s1, s34
	v_lshlrev_b32_e32 v33, 2, v3
	v_cmp_gt_i32_e64 s1, s5, v0
	s_wait_dscnt 0x0
	v_max_num_f32_e32 v11, v11, v11
	s_delay_alu instid0(VALU_DEP_1) | instskip(SKIP_3) | instid1(VALU_DEP_1)
	v_max_num_f32_e32 v3, v10, v11
	ds_bpermute_b32 v10, v33, v3
	s_wait_dscnt 0x0
	v_max_num_f32_e32 v10, v10, v10
	v_dual_max_num_f32 v10, v3, v10 :: v_dual_mov_b32 v3, 0
	ds_bpermute_b32 v10, v3, v10
	s_and_saveexec_b32 s8, s1
	s_cbranch_execz .LBB258_540
; %bb.537:
	v_lshl_add_u32 v11, v0, 2, 0x120
	v_dual_mov_b32 v3, 0 :: v_dual_mov_b32 v12, v0
	s_mov_b32 s9, 0
.LBB258_538:                            ; =>This Inner Loop Header: Depth=1
	ds_load_b32 v13, v11
	v_add_nc_u32_e32 v12, 0x80, v12
	s_delay_alu instid0(VALU_DEP_1) | instskip(SKIP_3) | instid1(VALU_DEP_1)
	v_cmp_le_i32_e64 s4, s5, v12
	s_or_b32 s9, s4, s9
	s_wait_dscnt 0x0
	v_sub_f32_e32 v13, v13, v10
	v_mul_f32_e32 v13, 0x3fb8aa3b, v13
	s_delay_alu instid0(VALU_DEP_1)
	v_exp_f32_e32 v13, v13
	ds_store_b32 v11, v13
	v_nop
	v_add_f32_e32 v3, v3, v13
	v_add_nc_u32_e32 v11, 0x200, v11
	s_and_not1_b32 exec_lo, exec_lo, s9
	s_cbranch_execnz .LBB258_538
; %bb.539:
	s_or_b32 exec_lo, exec_lo, s9
.LBB258_540:
	s_delay_alu instid0(SALU_CYCLE_1)
	s_or_b32 exec_lo, exec_lo, s8
	ds_bpermute_b32 v5, v5, v3
	s_wait_dscnt 0x0
	v_add_f32_e32 v3, v3, v5
	ds_bpermute_b32 v5, v6, v3
	s_wait_dscnt 0x0
	v_add_f32_e32 v3, v3, v5
	;; [unrolled: 3-line block ×5, first 2 shown]
	s_and_saveexec_b32 s4, vcc_lo
; %bb.541:
	ds_store_b32 v8, v3 offset:272
; %bb.542:
	s_or_b32 exec_lo, exec_lo, s4
	s_wait_dscnt 0x0
	s_barrier_signal -1
	s_barrier_wait -1
	s_and_saveexec_b32 s4, s0
; %bb.543:
	ds_load_b32 v3, v9 offset:272
; %bb.544:
	s_or_b32 exec_lo, exec_lo, s4
	s_wait_dscnt 0x0
	ds_bpermute_b32 v4, v4, v3
	s_wait_dscnt 0x0
	v_dual_mov_b32 v5, 0 :: v_dual_add_f32 v3, v3, v4
	ds_bpermute_b32 v4, v33, v3
	s_wait_dscnt 0x0
	v_add_f32_e32 v3, v3, v4
	ds_bpermute_b32 v3, v5, v3
	s_and_saveexec_b32 s0, s1
	s_cbranch_execz .LBB258_557
; %bb.545:
	s_wait_dscnt 0x0
	v_add_f32_e32 v3, 0x358637bd, v3
	s_mov_b32 s4, -1
	s_mov_b32 s1, exec_lo
	s_delay_alu instid0(VALU_DEP_1) | instskip(NEXT) | instid1(VALU_DEP_1)
	v_div_scale_f32 v4, null, v3, v3, 1.0
	v_rcp_f32_e32 v6, v4
	v_nop
	s_delay_alu instid0(TRANS32_DEP_1) | instskip(NEXT) | instid1(VALU_DEP_1)
	v_fma_f32 v7, -v4, v6, 1.0
	v_fmac_f32_e32 v6, v7, v6
	v_div_scale_f32 v8, vcc_lo, 1.0, v3, 1.0
	s_delay_alu instid0(VALU_DEP_1) | instskip(NEXT) | instid1(VALU_DEP_1)
	v_mul_f32_e32 v7, v8, v6
	v_fma_f32 v9, -v4, v7, v8
	s_delay_alu instid0(VALU_DEP_1) | instskip(NEXT) | instid1(VALU_DEP_1)
	v_fmac_f32_e32 v7, v9, v6
	v_fma_f32 v8, -v4, v7, v8
	v_xad_u32 v4, v0, -1, s5
	s_delay_alu instid0(VALU_DEP_2) | instskip(NEXT) | instid1(VALU_DEP_1)
	v_div_fmas_f32 v6, v8, v6, v7
	v_div_fixup_f32 v6, v6, v3, 1.0
	v_mov_b32_e32 v3, v0
	s_delay_alu instid0(VALU_DEP_4)
	v_cmpx_lt_u32_e32 0x7f, v4
	s_cbranch_execz .LBB258_554
; %bb.546:
	s_delay_alu instid0(VALU_DEP_3) | instskip(NEXT) | instid1(VALU_DEP_1)
	v_dual_lshrrev_b32 v3, 7, v4 :: v_dual_mov_b32 v7, v6
	v_dual_mov_b32 v10, 0 :: v_dual_add_nc_u32 v4, -1, v3
	s_delay_alu instid0(VALU_DEP_1) | instskip(SKIP_1) | instid1(VALU_DEP_2)
	v_lshrrev_b32_e32 v8, 1, v4
	v_cmp_lt_u32_e32 vcc_lo, 13, v4
	v_add_nc_u32_e32 v4, 1, v8
	s_and_saveexec_b32 s4, vcc_lo
	s_cbranch_execz .LBB258_550
; %bb.547:
	s_delay_alu instid0(VALU_DEP_1)
	v_dual_mov_b32 v1, v18 :: v_dual_bitop2_b32 v8, -8, v4 bitop3:0x40
	v_lshl_add_u32 v9, v0, 2, 0x120
	s_mov_b32 s8, 0
	s_mov_b32 s9, 0
.LBB258_548:                            ; =>This Inner Loop Header: Depth=1
	ds_load_2addr_stride64_b32 v[10:11], v9 offset1:2
	ds_load_2addr_stride64_b32 v[12:13], v9 offset0:4 offset1:6
	ds_load_2addr_stride64_b32 v[14:15], v9 offset0:8 offset1:10
	;; [unrolled: 1-line block ×7, first 2 shown]
	s_add_co_i32 s9, s9, 16
	v_add_nc_u32_e32 v8, -8, v8
	s_wait_dscnt 0x7
	v_pk_mul_f32 v[10:11], v[6:7], v[10:11]
	s_wait_dscnt 0x6
	v_pk_mul_f32 v[12:13], v[6:7], v[12:13]
	;; [unrolled: 2-line block ×8, first 2 shown]
	ds_store_2addr_stride64_b32 v9, v10, v11 offset1:2
	ds_store_2addr_stride64_b32 v9, v12, v13 offset0:4 offset1:6
	ds_store_2addr_stride64_b32 v9, v14, v15 offset0:8 offset1:10
	ds_store_2addr_stride64_b32 v9, v16, v17 offset0:12 offset1:14
	ds_store_2addr_stride64_b32 v9, v18, v19 offset0:16 offset1:18
	ds_store_2addr_stride64_b32 v9, v20, v21 offset0:20 offset1:22
	ds_store_2addr_stride64_b32 v9, v22, v23 offset0:24 offset1:26
	ds_store_2addr_stride64_b32 v9, v24, v25 offset0:28 offset1:30
	v_mov_b32_e32 v10, s9
	v_cmp_eq_u32_e32 vcc_lo, 0, v8
	v_add_nc_u32_e32 v9, 0x2000, v9
	s_or_b32 s8, vcc_lo, s8
	s_delay_alu instid0(SALU_CYCLE_1)
	s_and_not1_b32 exec_lo, exec_lo, s8
	s_cbranch_execnz .LBB258_548
; %bb.549:
	s_or_b32 exec_lo, exec_lo, s8
	v_dual_mov_b32 v18, v1 :: v_dual_bitop2_b32 v19, 1, v0 bitop3:0x40
.LBB258_550:
	s_or_b32 exec_lo, exec_lo, s4
	s_delay_alu instid0(VALU_DEP_1) | instskip(SKIP_2) | instid1(VALU_DEP_1)
	v_and_b32_e32 v4, 7, v4
	s_mov_b32 s8, 0
	s_mov_b32 s4, exec_lo
	v_cmpx_ne_u32_e32 0, v4
	s_cbranch_execz .LBB258_553
; %bb.551:
	v_dual_lshlrev_b32 v8, 9, v10 :: v_dual_lshlrev_b32 v9, 2, v0
	s_delay_alu instid0(VALU_DEP_1)
	v_add3_u32 v8, v8, v9, 0x120
.LBB258_552:                            ; =>This Inner Loop Header: Depth=1
	ds_load_2addr_stride64_b32 v[10:11], v8 offset1:2
	v_add_nc_u32_e32 v4, -1, v4
	s_delay_alu instid0(VALU_DEP_1)
	v_cmp_eq_u32_e32 vcc_lo, 0, v4
	s_or_b32 s8, vcc_lo, s8
	s_wait_dscnt 0x0
	v_pk_mul_f32 v[10:11], v[6:7], v[10:11]
	ds_store_2addr_stride64_b32 v8, v10, v11 offset1:2
	v_add_nc_u32_e32 v8, 0x400, v8
	s_and_not1_b32 exec_lo, exec_lo, s8
	s_cbranch_execnz .LBB258_552
.LBB258_553:
	s_or_b32 exec_lo, exec_lo, s4
	v_add_nc_u32_e32 v3, 1, v3
	s_delay_alu instid0(VALU_DEP_1) | instskip(NEXT) | instid1(VALU_DEP_1)
	v_and_b32_e32 v4, 0x3fffffe, v3
	v_cmp_ne_u32_e32 vcc_lo, v3, v4
	v_lshl_add_u32 v3, v4, 7, v0
	s_or_not1_b32 s4, vcc_lo, exec_lo
.LBB258_554:
	s_or_b32 exec_lo, exec_lo, s1
	s_delay_alu instid0(SALU_CYCLE_1)
	s_and_b32 exec_lo, exec_lo, s4
	s_cbranch_execz .LBB258_557
; %bb.555:
	v_lshl_add_u32 v4, v3, 2, 0x120
	s_mov_b32 s1, 0
.LBB258_556:                            ; =>This Inner Loop Header: Depth=1
	ds_load_b32 v7, v4
	v_add_nc_u32_e32 v3, 0x80, v3
	s_delay_alu instid0(VALU_DEP_1)
	v_cmp_le_i32_e32 vcc_lo, s5, v3
	s_or_b32 s1, vcc_lo, s1
	s_wait_dscnt 0x0
	v_mul_f32_e32 v7, v6, v7
	ds_store_b32 v4, v7
	v_add_nc_u32_e32 v4, 0x200, v4
	s_and_not1_b32 exec_lo, exec_lo, s1
	s_cbranch_execnz .LBB258_556
.LBB258_557:
	s_or_b32 exec_lo, exec_lo, s0
	v_dual_mov_b32 v4, 0 :: v_dual_mov_b32 v7, 0
	v_dual_mov_b32 v6, 0 :: v_dual_mov_b32 v9, 0
	;; [unrolled: 1-line block ×3, first 2 shown]
	v_mov_b32_e32 v10, 0
	s_wait_dscnt 0x0
	s_barrier_signal -1
	s_barrier_wait -1
	s_and_saveexec_b32 s1, s3
	s_cbranch_execz .LBB258_1091
; %bb.558:
	s_abs_i32 s3, s14
	v_dual_lshlrev_b32 v3, 3, v0 :: v_dual_mov_b32 v13, 0
	s_cvt_f32_u32 s0, s3
	s_ashr_i32 s19, s18, 31
	v_dual_lshlrev_b32 v5, 5, v19 :: v_dual_lshrrev_b32 v36, 5, v0
	s_delay_alu instid0(SALU_CYCLE_1)
	v_rcp_iflag_f32_e32 v4, s0
	v_and_b32_e32 v12, 0xf8, v3
	s_wait_kmcnt 0x0
	s_add_nc_u64 s[18:19], s[28:29], s[18:19]
	s_lshl_b64 s[26:27], s[26:27], 2
	s_sub_co_i32 s4, 0, s3
	v_dual_mov_b32 v10, 0 :: v_dual_bitop2_b32 v34, 8, v3 bitop3:0x40
	v_readfirstlane_b32 s0, v4
	v_add_nc_u64_e32 v[14:15], s[18:19], v[12:13]
	v_and_b32_e32 v12, 0x7c, v18
	v_lshl_or_b32 v4, v36, 6, v5
	s_add_nc_u64 s[18:19], s[24:25], s[26:27]
	s_mul_f32 s0, s0, 0x4f7ffffe
	v_dual_mov_b32 v11, 0 :: v_dual_mov_b32 v9, 0
	v_add_nc_u64_e32 v[16:17], s[18:19], v[12:13]
	s_delay_alu instid0(SALU_CYCLE_1) | instskip(SKIP_2) | instid1(SALU_CYCLE_1)
	s_cvt_u32_f32 s0, s0
	v_dual_mov_b32 v8, 0 :: v_dual_add_nc_u32 v35, 0x120, v4
	v_dual_mov_b32 v6, 0 :: v_dual_mov_b32 v7, 0
	s_mul_i32 s4, s4, s0
	v_dual_mov_b32 v4, 0 :: v_dual_mov_b32 v5, 0
	s_mov_b32 s5, 0
	s_mul_hi_u32 s4, s0, s4
	s_sub_co_i32 s13, s36, s13
	s_mov_b32 s14, s17
	s_add_co_i32 s17, s35, -1
	s_mov_b64 s[8:9], 0xffffffffffffff
	s_mov_b32 s18, s34
	s_add_co_i32 s4, s0, s4
	s_mov_b32 s19, s5
	s_branch .LBB258_561
.LBB258_559:                            ;   in Loop: Header=BB258_561 Depth=1
	s_or_b32 exec_lo, exec_lo, s0
	v_dual_add_f32 v19, v45, v46 :: v_dual_add_f32 v21, v59, v60
	v_add_f32_e32 v20, v61, v62
	;;#ASMSTART
	v_pk_mul_f16 v3, v51, v3;

	;;#ASMEND
	;;#ASMSTART
	v_pk_mul_f16 v18, v49, v18;

	;;#ASMEND
	;;#ASMSTART
	v_pk_mul_f16 v1, v48, v1;

	;;#ASMEND
	;;#ASMSTART
	v_pk_mul_f16 v12, v47, v12;

	;;#ASMEND
	;;#ASMSTART
	v_pk_add_f16 v3, v3, v18;

	;;#ASMEND
	;;#ASMSTART
	v_pk_add_f16 v1, v3, v1;

	;;#ASMEND
	;; [unrolled: 4-line block ×3, first 2 shown]
	v_and_b32_e32 v18, 0xffff, v1
	v_dual_add_f32 v4, v4, v19 :: v_dual_add_f32 v7, v7, v20
	v_dual_add_f32 v6, v6, v21 :: v_dual_add_f32 v19, v57, v58
	v_lshrrev_b32_e32 v20, 16, v1
	;;#ASMSTART
	v_cvt_f32_f16 v18, v18;
	;;#ASMEND
	v_dual_add_f32 v1, v55, v56 :: v_dual_add_f32 v3, v53, v54
	s_delay_alu instid0(VALU_DEP_3) | instskip(SKIP_1) | instid1(VALU_DEP_2)
	v_dual_add_f32 v12, v50, v52 :: v_dual_add_f32 v9, v9, v19
	;;#ASMSTART
	v_cvt_f32_f16 v20, v20;
	;;#ASMEND
	v_dual_add_f32 v18, v18, v20 :: v_dual_add_f32 v8, v8, v1
	s_delay_alu instid0(VALU_DEP_2) | instskip(NEXT) | instid1(VALU_DEP_2)
	v_dual_add_f32 v11, v11, v3 :: v_dual_add_f32 v10, v10, v12
	v_add_f32_e32 v5, v5, v18
.LBB258_560:                            ;   in Loop: Header=BB258_561 Depth=1
	s_or_b32 exec_lo, exec_lo, s24
	v_dual_add_nc_u32 v36, 4, v36 :: v_dual_add_nc_u32 v2, 64, v2
	v_add_nc_u64_e32 v[16:17], 16, v[16:17]
	v_add_nc_u32_e32 v35, 0x100, v35
	s_delay_alu instid0(VALU_DEP_3) | instskip(SKIP_1) | instid1(SALU_CYCLE_1)
	v_cmp_le_i32_e32 vcc_lo, s35, v36
	s_or_b32 s19, vcc_lo, s19
	s_and_not1_b32 exec_lo, exec_lo, s19
	s_cbranch_execz .LBB258_1090
.LBB258_561:                            ; =>This Inner Loop Header: Depth=1
	v_mov_b32_e32 v3, v13
	s_delay_alu instid0(VALU_DEP_1) | instskip(NEXT) | instid1(VALU_DEP_1)
	v_mul_u64_e32 v[18:19], s[22:23], v[2:3]
	v_mul_lo_u32 v1, v19, s16
	s_delay_alu instid0(VALU_DEP_1) | instskip(NEXT) | instid1(VALU_DEP_1)
	v_sub_nc_u32_e32 v1, v2, v1
	v_subrev_nc_u32_e32 v12, s16, v1
	v_cmp_le_u32_e32 vcc_lo, s16, v1
	s_delay_alu instid0(VALU_DEP_2) | instskip(NEXT) | instid1(VALU_DEP_1)
	v_dual_add_nc_u32 v3, 1, v19 :: v_dual_cndmask_b32 v1, v1, v12, vcc_lo
	v_cndmask_b32_e32 v3, v19, v3, vcc_lo
	s_delay_alu instid0(VALU_DEP_2) | instskip(NEXT) | instid1(VALU_DEP_2)
	v_cmp_le_u32_e32 vcc_lo, s16, v1
	v_add_nc_u32_e32 v12, 1, v3
	s_delay_alu instid0(VALU_DEP_1) | instskip(NEXT) | instid1(VALU_DEP_1)
	v_cndmask_b32_e32 v1, v3, v12, vcc_lo
	v_xor_b32_e32 v1, s15, v1
	s_delay_alu instid0(VALU_DEP_1) | instskip(NEXT) | instid1(VALU_DEP_1)
	v_subrev_nc_u32_e32 v1, s15, v1
	v_add_nc_u32_e32 v3, s21, v1
	v_cmp_lt_i32_e64 s0, s13, v1
	s_delay_alu instid0(VALU_DEP_2) | instskip(NEXT) | instid1(VALU_DEP_1)
	v_sub_nc_u32_e32 v12, 0, v3
	v_dual_ashrrev_i32 v3, 31, v3 :: v_dual_max_i32 v12, v3, v12
	s_delay_alu instid0(VALU_DEP_1) | instskip(NEXT) | instid1(VALU_DEP_1)
	v_mul_u64_e32 v[18:19], s[4:5], v[12:13]
	v_mul_lo_u32 v18, v19, s3
	s_delay_alu instid0(VALU_DEP_1) | instskip(NEXT) | instid1(VALU_DEP_1)
	v_sub_nc_u32_e32 v12, v12, v18
	v_subrev_nc_u32_e32 v18, s3, v12
	v_cmp_le_u32_e32 vcc_lo, s3, v12
	s_delay_alu instid0(VALU_DEP_2) | instskip(NEXT) | instid1(VALU_DEP_1)
	v_cndmask_b32_e32 v12, v12, v18, vcc_lo
	v_subrev_nc_u32_e32 v18, s3, v12
	v_cmp_le_u32_e32 vcc_lo, s3, v12
	s_delay_alu instid0(VALU_DEP_2) | instskip(NEXT) | instid1(VALU_DEP_1)
	v_cndmask_b32_e32 v12, v12, v18, vcc_lo
	v_xor_b32_e32 v12, v12, v3
	s_delay_alu instid0(VALU_DEP_1) | instskip(NEXT) | instid1(VALU_DEP_1)
	v_sub_nc_u32_e32 v3, v12, v3
	v_cmp_eq_u32_e32 vcc_lo, 0, v3
	s_or_b32 s0, vcc_lo, s0
	s_delay_alu instid0(SALU_CYCLE_1)
	s_and_saveexec_b32 s24, s0
	s_cbranch_execz .LBB258_560
; %bb.562:                              ;   in Loop: Header=BB258_561 Depth=1
	global_load_b32 v1, v[16:17], off
	ds_load_2addr_b64 v[20:23], v35 offset1:1
	ds_load_2addr_b64 v[24:27], v35 offset0:2 offset1:3
	s_mov_b32 s0, exec_lo
	s_wait_dscnt 0x1
	;;#ASMSTART
	v_cvt_f16_f32 v48, v20;

	;;#ASMEND
	;;#ASMSTART
	v_cvt_f16_f32 v45, v21;

	;;#ASMEND
	;; [unrolled: 4-line block ×4, first 2 shown]
	s_wait_dscnt 0x0
	;;#ASMSTART
	v_cvt_f16_f32 v51, v24;

	;;#ASMEND
	;;#ASMSTART
	v_cvt_f16_f32 v47, v25;

	;;#ASMEND
	;; [unrolled: 4-line block ×4, first 2 shown]
	v_mov_b32_e32 v3, 0
	s_wait_loadcnt 0x0
	v_mad_nc_i64_i32 v[18:19], v1, s14, v[14:15]
	v_mov_b32_e32 v1, 0
	global_load_b32 v20, v1, s[10:11]
	global_load_b64 v[22:23], v[18:19], off
	s_wait_loadcnt 0x0
	v_and_b32_e32 v12, 0xff, v22
	s_delay_alu instid0(VALU_DEP_1)
	v_cmpx_ne_u16_e32 0, v12
	s_cbranch_execz .LBB258_570
; %bb.563:                              ;   in Loop: Header=BB258_561 Depth=1
	v_mov_b32_e32 v3, 0x8000
	s_mov_b32 s25, exec_lo
	v_cmpx_ne_u16_e32 0x80, v12
	s_cbranch_execz .LBB258_569
; %bb.564:                              ;   in Loop: Header=BB258_561 Depth=1
	v_and_b32_e32 v21, 0x7f, v22
	v_mov_b32_e32 v3, 0x7c01
	s_mov_b32 s26, exec_lo
	s_delay_alu instid0(VALU_DEP_2)
	v_cmpx_ne_u32_e32 0x7f, v21
	s_cbranch_execz .LBB258_568
; %bb.565:                              ;   in Loop: Header=BB258_561 Depth=1
	v_dual_lshrrev_b32 v12, 3, v21 :: v_dual_bitop2_b32 v3, 7, v22 bitop3:0x40
	s_mov_b32 s27, exec_lo
	v_cmpx_gt_u32_e32 8, v21
; %bb.566:                              ;   in Loop: Header=BB258_561 Depth=1
	s_delay_alu instid0(VALU_DEP_2) | instskip(NEXT) | instid1(VALU_DEP_1)
	v_clz_i32_u32_e32 v3, v3
	v_min_u32_e32 v3, 32, v3
	s_delay_alu instid0(VALU_DEP_1) | instskip(NEXT) | instid1(VALU_DEP_1)
	v_subrev_nc_u32_e32 v12, 28, v3
	v_lshlrev_b64_e32 v[24:25], v12, v[22:23]
	s_delay_alu instid0(VALU_DEP_1)
	v_dual_sub_nc_u32 v12, 29, v3 :: v_dual_bitop2_b32 v3, 7, v24 bitop3:0x40
; %bb.567:                              ;   in Loop: Header=BB258_561 Depth=1
	s_or_b32 exec_lo, exec_lo, s27
	s_delay_alu instid0(VALU_DEP_1) | instskip(NEXT) | instid1(VALU_DEP_2)
	v_dual_lshlrev_b32 v21, 8, v22 :: v_dual_lshlrev_b32 v3, 7, v3
	v_lshl_add_u32 v12, v12, 10, 0x2000
	s_delay_alu instid0(VALU_DEP_2) | instskip(NEXT) | instid1(VALU_DEP_2)
	v_and_b32_e32 v21, 0x8000, v21
	v_and_b32_e32 v12, 0xfc00, v12
	s_delay_alu instid0(VALU_DEP_1)
	v_or3_b32 v3, v21, v12, v3
.LBB258_568:                            ;   in Loop: Header=BB258_561 Depth=1
	s_or_b32 exec_lo, exec_lo, s26
.LBB258_569:                            ;   in Loop: Header=BB258_561 Depth=1
	s_delay_alu instid0(SALU_CYCLE_1)
	s_or_b32 exec_lo, exec_lo, s25
.LBB258_570:                            ;   in Loop: Header=BB258_561 Depth=1
	s_delay_alu instid0(SALU_CYCLE_1) | instskip(SKIP_2) | instid1(VALU_DEP_1)
	s_or_b32 exec_lo, exec_lo, s0
	v_lshrrev_b16 v12, 8, v22
	s_mov_b32 s0, exec_lo
	v_cmpx_ne_u16_e32 0, v12
	s_cbranch_execz .LBB258_578
; %bb.571:                              ;   in Loop: Header=BB258_561 Depth=1
	v_bfrev_b32_e32 v1, 1
	s_mov_b32 s25, exec_lo
	v_cmpx_ne_u16_e32 0x80, v12
	s_cbranch_execz .LBB258_577
; %bb.572:                              ;   in Loop: Header=BB258_561 Depth=1
	v_and_b32_e32 v21, 0xffff, v12
	v_mov_b32_e32 v1, 0x7c010000
	s_mov_b32 s26, exec_lo
	s_delay_alu instid0(VALU_DEP_2) | instskip(NEXT) | instid1(VALU_DEP_1)
	v_and_b32_e32 v25, 0x7f, v21
	v_cmpx_ne_u32_e32 0x7f, v25
	s_cbranch_execz .LBB258_576
; %bb.573:                              ;   in Loop: Header=BB258_561 Depth=1
	v_and_b32_e32 v1, 7, v21
	v_lshrrev_b32_e32 v24, 3, v25
	s_mov_b32 s27, exec_lo
	v_cmpx_gt_u32_e32 8, v25
; %bb.574:                              ;   in Loop: Header=BB258_561 Depth=1
	s_delay_alu instid0(VALU_DEP_3) | instskip(NEXT) | instid1(VALU_DEP_1)
	v_clz_i32_u32_e32 v1, v1
	v_min_u32_e32 v1, 32, v1
	s_delay_alu instid0(VALU_DEP_1) | instskip(NEXT) | instid1(VALU_DEP_1)
	v_subrev_nc_u32_e32 v24, 28, v1
	v_lshlrev_b64_e32 v[26:27], v24, v[12:13]
	s_delay_alu instid0(VALU_DEP_1)
	v_dual_sub_nc_u32 v24, 29, v1 :: v_dual_bitop2_b32 v1, 7, v26 bitop3:0x40
; %bb.575:                              ;   in Loop: Header=BB258_561 Depth=1
	s_or_b32 exec_lo, exec_lo, s27
	v_lshlrev_b32_e32 v12, 8, v21
	s_delay_alu instid0(VALU_DEP_2) | instskip(NEXT) | instid1(VALU_DEP_3)
	v_lshl_add_u32 v21, v24, 10, 0x2000
	v_lshlrev_b32_e32 v1, 23, v1
	s_delay_alu instid0(VALU_DEP_2) | instskip(NEXT) | instid1(VALU_DEP_1)
	v_and_or_b32 v12, 0x8000, v12, v21
	v_lshl_or_b32 v1, v12, 16, v1
.LBB258_576:                            ;   in Loop: Header=BB258_561 Depth=1
	s_or_b32 exec_lo, exec_lo, s26
.LBB258_577:                            ;   in Loop: Header=BB258_561 Depth=1
	s_delay_alu instid0(SALU_CYCLE_1)
	s_or_b32 exec_lo, exec_lo, s25
.LBB258_578:                            ;   in Loop: Header=BB258_561 Depth=1
	s_delay_alu instid0(SALU_CYCLE_1) | instskip(SKIP_3) | instid1(VALU_DEP_2)
	s_or_b32 exec_lo, exec_lo, s0
	v_dual_mov_b32 v21, 0 :: v_dual_lshrrev_b32 v12, 16, v22
	v_mov_b32_e32 v24, 0
	s_mov_b32 s0, exec_lo
	v_and_b32_e32 v25, 0xff, v12
	s_delay_alu instid0(VALU_DEP_1)
	v_cmpx_ne_u16_e32 0, v25
	s_cbranch_execz .LBB258_586
; %bb.579:                              ;   in Loop: Header=BB258_561 Depth=1
	v_mov_b32_e32 v24, 0x8000
	s_mov_b32 s25, exec_lo
	v_cmpx_ne_u16_e32 0x80, v25
	s_cbranch_execz .LBB258_585
; %bb.580:                              ;   in Loop: Header=BB258_561 Depth=1
	v_bfe_u32 v26, v22, 16, 7
	v_mov_b32_e32 v24, 0x7c01
	s_mov_b32 s26, exec_lo
	s_delay_alu instid0(VALU_DEP_2)
	v_cmpx_ne_u32_e32 0x7f, v26
	s_cbranch_execz .LBB258_584
; %bb.581:                              ;   in Loop: Header=BB258_561 Depth=1
	v_dual_lshrrev_b32 v25, 3, v26 :: v_dual_bitop2_b32 v24, 7, v12 bitop3:0x40
	s_mov_b32 s27, exec_lo
	v_cmpx_gt_u32_e32 8, v26
; %bb.582:                              ;   in Loop: Header=BB258_561 Depth=1
	s_delay_alu instid0(VALU_DEP_2) | instskip(NEXT) | instid1(VALU_DEP_1)
	v_clz_i32_u32_e32 v24, v24
	v_min_u32_e32 v26, 32, v24
	s_delay_alu instid0(VALU_DEP_1) | instskip(NEXT) | instid1(VALU_DEP_1)
	v_subrev_nc_u32_e32 v24, 28, v26
	v_lshlrev_b64_e32 v[24:25], v24, v[12:13]
	s_delay_alu instid0(VALU_DEP_1)
	v_dual_sub_nc_u32 v25, 29, v26 :: v_dual_bitop2_b32 v24, 7, v24 bitop3:0x40
; %bb.583:                              ;   in Loop: Header=BB258_561 Depth=1
	s_or_b32 exec_lo, exec_lo, s27
	v_lshlrev_b32_e32 v12, 8, v12
	s_delay_alu instid0(VALU_DEP_2) | instskip(NEXT) | instid1(VALU_DEP_3)
	v_lshl_add_u32 v25, v25, 10, 0x2000
	v_lshlrev_b32_e32 v24, 7, v24
	s_delay_alu instid0(VALU_DEP_3) | instskip(NEXT) | instid1(VALU_DEP_3)
	v_and_b32_e32 v12, 0x8000, v12
	v_and_b32_e32 v25, 0xfc00, v25
	s_delay_alu instid0(VALU_DEP_1)
	v_or3_b32 v24, v12, v25, v24
.LBB258_584:                            ;   in Loop: Header=BB258_561 Depth=1
	s_or_b32 exec_lo, exec_lo, s26
.LBB258_585:                            ;   in Loop: Header=BB258_561 Depth=1
	s_delay_alu instid0(SALU_CYCLE_1)
	s_or_b32 exec_lo, exec_lo, s25
.LBB258_586:                            ;   in Loop: Header=BB258_561 Depth=1
	s_delay_alu instid0(SALU_CYCLE_1) | instskip(NEXT) | instid1(SALU_CYCLE_1)
	s_or_b32 exec_lo, exec_lo, s0
	s_mov_b32 s0, exec_lo
	v_cmpx_lt_u32_e32 0xffffff, v22
	s_cbranch_execz .LBB258_594
; %bb.587:                              ;   in Loop: Header=BB258_561 Depth=1
	v_lshrrev_b32_e32 v12, 24, v22
	v_bfrev_b32_e32 v21, 1
	s_mov_b32 s25, exec_lo
	s_delay_alu instid0(VALU_DEP_2)
	v_cmpx_ne_u32_e32 0x80, v12
	s_cbranch_execz .LBB258_593
; %bb.588:                              ;   in Loop: Header=BB258_561 Depth=1
	v_and_b32_e32 v26, 0x7f, v12
	v_mov_b32_e32 v21, 0x7c010000
	s_mov_b32 s26, exec_lo
	s_delay_alu instid0(VALU_DEP_2)
	v_cmpx_ne_u32_e32 0x7f, v26
	s_cbranch_execz .LBB258_592
; %bb.589:                              ;   in Loop: Header=BB258_561 Depth=1
	v_dual_lshrrev_b32 v25, 3, v26 :: v_dual_bitop2_b32 v21, 7, v12 bitop3:0x40
	s_mov_b32 s27, exec_lo
	v_cmpx_gt_u32_e32 8, v26
; %bb.590:                              ;   in Loop: Header=BB258_561 Depth=1
	s_delay_alu instid0(VALU_DEP_2) | instskip(NEXT) | instid1(VALU_DEP_1)
	v_clz_i32_u32_e32 v21, v21
	v_min_u32_e32 v21, 32, v21
	s_delay_alu instid0(VALU_DEP_1) | instskip(NEXT) | instid1(VALU_DEP_1)
	v_subrev_nc_u32_e32 v25, 28, v21
	v_lshlrev_b64_e32 v[26:27], v25, v[12:13]
	s_delay_alu instid0(VALU_DEP_1)
	v_dual_sub_nc_u32 v25, 29, v21 :: v_dual_bitop2_b32 v21, 7, v26 bitop3:0x40
; %bb.591:                              ;   in Loop: Header=BB258_561 Depth=1
	s_or_b32 exec_lo, exec_lo, s27
	s_delay_alu instid0(VALU_DEP_1) | instskip(NEXT) | instid1(VALU_DEP_2)
	v_dual_lshlrev_b32 v12, 8, v12 :: v_dual_lshlrev_b32 v21, 23, v21
	v_lshl_add_u32 v25, v25, 10, 0x2000
	s_delay_alu instid0(VALU_DEP_1) | instskip(NEXT) | instid1(VALU_DEP_1)
	v_and_or_b32 v12, 0x8000, v12, v25
	v_lshl_or_b32 v21, v12, 16, v21
.LBB258_592:                            ;   in Loop: Header=BB258_561 Depth=1
	s_or_b32 exec_lo, exec_lo, s26
.LBB258_593:                            ;   in Loop: Header=BB258_561 Depth=1
	s_delay_alu instid0(SALU_CYCLE_1)
	s_or_b32 exec_lo, exec_lo, s25
.LBB258_594:                            ;   in Loop: Header=BB258_561 Depth=1
	s_delay_alu instid0(SALU_CYCLE_1) | instskip(SKIP_4) | instid1(VALU_DEP_3)
	s_or_b32 exec_lo, exec_lo, s0
	v_and_b32_e32 v27, 0xff, v23
	v_dual_mov_b32 v12, v23 :: v_dual_mov_b32 v26, 0
	v_mov_b32_e32 v25, 0
	s_mov_b32 s0, exec_lo
	v_cmpx_ne_u16_e32 0, v27
	s_cbranch_execz .LBB258_602
; %bb.595:                              ;   in Loop: Header=BB258_561 Depth=1
	v_mov_b32_e32 v25, 0x8000
	s_mov_b32 s25, exec_lo
	v_cmpx_ne_u16_e32 0x80, v27
	s_cbranch_execz .LBB258_601
; %bb.596:                              ;   in Loop: Header=BB258_561 Depth=1
	v_and_b32_e32 v28, 0x7f, v23
	v_mov_b32_e32 v25, 0x7c01
	s_mov_b32 s26, exec_lo
	s_delay_alu instid0(VALU_DEP_2)
	v_cmpx_ne_u32_e32 0x7f, v28
	s_cbranch_execz .LBB258_600
; %bb.597:                              ;   in Loop: Header=BB258_561 Depth=1
	v_dual_lshrrev_b32 v27, 3, v28 :: v_dual_bitop2_b32 v25, 7, v23 bitop3:0x40
	s_mov_b32 s27, exec_lo
	v_cmpx_gt_u32_e32 8, v28
; %bb.598:                              ;   in Loop: Header=BB258_561 Depth=1
	s_delay_alu instid0(VALU_DEP_2) | instskip(NEXT) | instid1(VALU_DEP_1)
	v_clz_i32_u32_e32 v25, v25
	v_min_u32_e32 v25, 32, v25
	s_delay_alu instid0(VALU_DEP_1) | instskip(NEXT) | instid1(VALU_DEP_1)
	v_subrev_nc_u32_e32 v27, 28, v25
	v_lshlrev_b64_e32 v[38:39], v27, v[12:13]
	s_delay_alu instid0(VALU_DEP_1)
	v_dual_sub_nc_u32 v27, 29, v25 :: v_dual_bitop2_b32 v25, 7, v38 bitop3:0x40
; %bb.599:                              ;   in Loop: Header=BB258_561 Depth=1
	s_or_b32 exec_lo, exec_lo, s27
	s_delay_alu instid0(VALU_DEP_1) | instskip(NEXT) | instid1(VALU_DEP_2)
	v_dual_lshlrev_b32 v28, 8, v23 :: v_dual_lshlrev_b32 v25, 7, v25
	v_lshl_add_u32 v27, v27, 10, 0x2000
	s_delay_alu instid0(VALU_DEP_2) | instskip(NEXT) | instid1(VALU_DEP_2)
	v_and_b32_e32 v28, 0x8000, v28
	v_and_b32_e32 v27, 0xfc00, v27
	s_delay_alu instid0(VALU_DEP_1)
	v_or3_b32 v25, v28, v27, v25
.LBB258_600:                            ;   in Loop: Header=BB258_561 Depth=1
	s_or_b32 exec_lo, exec_lo, s26
.LBB258_601:                            ;   in Loop: Header=BB258_561 Depth=1
	s_delay_alu instid0(SALU_CYCLE_1)
	s_or_b32 exec_lo, exec_lo, s25
.LBB258_602:                            ;   in Loop: Header=BB258_561 Depth=1
	s_delay_alu instid0(SALU_CYCLE_1) | instskip(SKIP_3) | instid1(VALU_DEP_2)
	s_or_b32 exec_lo, exec_lo, s0
	v_lshrrev_b16 v12, 8, v12
	v_mov_b32_e32 v27, 0
	s_mov_b32 s0, exec_lo
	v_cmpx_ne_u16_e32 0, v12
	s_cbranch_execz .LBB258_610
; %bb.603:                              ;   in Loop: Header=BB258_561 Depth=1
	v_bfrev_b32_e32 v27, 1
	s_mov_b32 s25, exec_lo
	v_cmpx_ne_u16_e32 0x80, v12
	s_cbranch_execz .LBB258_609
; %bb.604:                              ;   in Loop: Header=BB258_561 Depth=1
	v_and_b32_e32 v28, 0xffff, v12
	v_mov_b32_e32 v27, 0x7c010000
	s_mov_b32 s26, exec_lo
	s_delay_alu instid0(VALU_DEP_2) | instskip(NEXT) | instid1(VALU_DEP_1)
	v_and_b32_e32 v38, 0x7f, v28
	v_cmpx_ne_u32_e32 0x7f, v38
	s_cbranch_execz .LBB258_608
; %bb.605:                              ;   in Loop: Header=BB258_561 Depth=1
	v_dual_lshrrev_b32 v37, 3, v38 :: v_dual_bitop2_b32 v27, 7, v28 bitop3:0x40
	s_mov_b32 s27, exec_lo
	v_cmpx_gt_u32_e32 8, v38
; %bb.606:                              ;   in Loop: Header=BB258_561 Depth=1
	s_delay_alu instid0(VALU_DEP_2) | instskip(NEXT) | instid1(VALU_DEP_1)
	v_clz_i32_u32_e32 v27, v27
	v_min_u32_e32 v27, 32, v27
	s_delay_alu instid0(VALU_DEP_1) | instskip(NEXT) | instid1(VALU_DEP_1)
	v_subrev_nc_u32_e32 v37, 28, v27
	v_lshlrev_b64_e32 v[38:39], v37, v[12:13]
	s_delay_alu instid0(VALU_DEP_1)
	v_dual_sub_nc_u32 v37, 29, v27 :: v_dual_bitop2_b32 v27, 7, v38 bitop3:0x40
; %bb.607:                              ;   in Loop: Header=BB258_561 Depth=1
	s_or_b32 exec_lo, exec_lo, s27
	s_delay_alu instid0(VALU_DEP_1) | instskip(NEXT) | instid1(VALU_DEP_2)
	v_dual_lshlrev_b32 v12, 8, v28 :: v_dual_lshlrev_b32 v27, 23, v27
	v_lshl_add_u32 v28, v37, 10, 0x2000
	s_delay_alu instid0(VALU_DEP_1) | instskip(NEXT) | instid1(VALU_DEP_1)
	v_and_or_b32 v12, 0x8000, v12, v28
	v_lshl_or_b32 v27, v12, 16, v27
.LBB258_608:                            ;   in Loop: Header=BB258_561 Depth=1
	s_or_b32 exec_lo, exec_lo, s26
.LBB258_609:                            ;   in Loop: Header=BB258_561 Depth=1
	s_delay_alu instid0(SALU_CYCLE_1)
	s_or_b32 exec_lo, exec_lo, s25
.LBB258_610:                            ;   in Loop: Header=BB258_561 Depth=1
	s_delay_alu instid0(SALU_CYCLE_1) | instskip(SKIP_2) | instid1(VALU_DEP_1)
	s_or_b32 exec_lo, exec_lo, s0
	v_lshrrev_b32_e32 v12, 16, v23
	s_mov_b32 s0, exec_lo
	v_and_b32_e32 v28, 0xff, v12
	s_delay_alu instid0(VALU_DEP_1)
	v_cmpx_ne_u16_e32 0, v28
	s_cbranch_execz .LBB258_618
; %bb.611:                              ;   in Loop: Header=BB258_561 Depth=1
	v_mov_b32_e32 v26, 0x8000
	s_mov_b32 s25, exec_lo
	v_cmpx_ne_u16_e32 0x80, v28
	s_cbranch_execz .LBB258_617
; %bb.612:                              ;   in Loop: Header=BB258_561 Depth=1
	v_bfe_u32 v37, v23, 16, 7
	v_mov_b32_e32 v26, 0x7c01
	s_mov_b32 s26, exec_lo
	s_delay_alu instid0(VALU_DEP_2)
	v_cmpx_ne_u32_e32 0x7f, v37
	s_cbranch_execz .LBB258_616
; %bb.613:                              ;   in Loop: Header=BB258_561 Depth=1
	v_dual_lshrrev_b32 v28, 3, v37 :: v_dual_bitop2_b32 v26, 7, v12 bitop3:0x40
	s_mov_b32 s27, exec_lo
	v_cmpx_gt_u32_e32 8, v37
; %bb.614:                              ;   in Loop: Header=BB258_561 Depth=1
	s_delay_alu instid0(VALU_DEP_2) | instskip(NEXT) | instid1(VALU_DEP_1)
	v_clz_i32_u32_e32 v26, v26
	v_min_u32_e32 v26, 32, v26
	s_delay_alu instid0(VALU_DEP_1) | instskip(NEXT) | instid1(VALU_DEP_1)
	v_subrev_nc_u32_e32 v28, 28, v26
	v_lshlrev_b64_e32 v[38:39], v28, v[12:13]
	v_sub_nc_u32_e32 v28, 29, v26
	s_delay_alu instid0(VALU_DEP_2)
	v_and_b32_e32 v26, 7, v38
; %bb.615:                              ;   in Loop: Header=BB258_561 Depth=1
	s_or_b32 exec_lo, exec_lo, s27
	s_delay_alu instid0(VALU_DEP_1) | instskip(NEXT) | instid1(VALU_DEP_3)
	v_dual_lshlrev_b32 v12, 8, v12 :: v_dual_lshlrev_b32 v26, 7, v26
	v_lshl_add_u32 v28, v28, 10, 0x2000
	s_delay_alu instid0(VALU_DEP_2) | instskip(NEXT) | instid1(VALU_DEP_2)
	v_and_b32_e32 v12, 0x8000, v12
	v_and_b32_e32 v28, 0xfc00, v28
	s_delay_alu instid0(VALU_DEP_1)
	v_or3_b32 v26, v12, v28, v26
.LBB258_616:                            ;   in Loop: Header=BB258_561 Depth=1
	s_or_b32 exec_lo, exec_lo, s26
.LBB258_617:                            ;   in Loop: Header=BB258_561 Depth=1
	s_delay_alu instid0(SALU_CYCLE_1)
	s_or_b32 exec_lo, exec_lo, s25
.LBB258_618:                            ;   in Loop: Header=BB258_561 Depth=1
	s_delay_alu instid0(SALU_CYCLE_1)
	s_or_b32 exec_lo, exec_lo, s0
	v_cmp_lt_u64_e32 vcc_lo, s[8:9], v[22:23]
	v_mov_b32_e32 v22, 0
	s_and_saveexec_b32 s0, vcc_lo
	s_cbranch_execz .LBB258_626
; %bb.619:                              ;   in Loop: Header=BB258_561 Depth=1
	v_lshrrev_b32_e32 v12, 24, v23
	v_bfrev_b32_e32 v22, 1
	s_mov_b32 s25, exec_lo
	s_delay_alu instid0(VALU_DEP_2)
	v_cmpx_ne_u32_e32 0x80, v12
	s_cbranch_execz .LBB258_625
; %bb.620:                              ;   in Loop: Header=BB258_561 Depth=1
	v_and_b32_e32 v28, 0x7f, v12
	v_mov_b32_e32 v22, 0x7c010000
	s_mov_b32 s26, exec_lo
	s_delay_alu instid0(VALU_DEP_2)
	v_cmpx_ne_u32_e32 0x7f, v28
	s_cbranch_execz .LBB258_624
; %bb.621:                              ;   in Loop: Header=BB258_561 Depth=1
	v_and_b32_e32 v22, 7, v12
	v_lshrrev_b32_e32 v23, 3, v28
	s_mov_b32 s27, exec_lo
	v_cmpx_gt_u32_e32 8, v28
; %bb.622:                              ;   in Loop: Header=BB258_561 Depth=1
	s_delay_alu instid0(VALU_DEP_3) | instskip(NEXT) | instid1(VALU_DEP_1)
	v_clz_i32_u32_e32 v22, v22
	v_min_u32_e32 v28, 32, v22
	s_delay_alu instid0(VALU_DEP_1) | instskip(NEXT) | instid1(VALU_DEP_1)
	v_subrev_nc_u32_e32 v22, 28, v28
	v_lshlrev_b64_e32 v[22:23], v22, v[12:13]
	s_delay_alu instid0(VALU_DEP_1)
	v_dual_sub_nc_u32 v23, 29, v28 :: v_dual_bitop2_b32 v22, 7, v22 bitop3:0x40
; %bb.623:                              ;   in Loop: Header=BB258_561 Depth=1
	s_or_b32 exec_lo, exec_lo, s27
	s_delay_alu instid0(VALU_DEP_1) | instskip(NEXT) | instid1(VALU_DEP_2)
	v_dual_lshlrev_b32 v12, 8, v12 :: v_dual_lshlrev_b32 v22, 23, v22
	v_lshl_add_u32 v23, v23, 10, 0x2000
	s_delay_alu instid0(VALU_DEP_1) | instskip(NEXT) | instid1(VALU_DEP_1)
	v_and_or_b32 v12, 0x8000, v12, v23
	v_lshl_or_b32 v22, v12, 16, v22
.LBB258_624:                            ;   in Loop: Header=BB258_561 Depth=1
	s_or_b32 exec_lo, exec_lo, s26
.LBB258_625:                            ;   in Loop: Header=BB258_561 Depth=1
	s_delay_alu instid0(SALU_CYCLE_1)
	s_or_b32 exec_lo, exec_lo, s25
.LBB258_626:                            ;   in Loop: Header=BB258_561 Depth=1
	s_delay_alu instid0(SALU_CYCLE_1) | instskip(SKIP_3) | instid1(VALU_DEP_3)
	s_or_b32 exec_lo, exec_lo, s0
	v_dual_lshrrev_b32 v12, 16, v1 :: v_dual_bitop2_b32 v1, v1, v3 bitop3:0x54
	v_dual_lshrrev_b32 v23, 16, v21 :: v_dual_bitop2_b32 v3, v21, v24 bitop3:0x54
	v_lshrrev_b32_e32 v24, 16, v22
	v_cvt_f32_f16_e32 v39, v12
	v_dual_lshrrev_b32 v21, 16, v27 :: v_dual_bitop2_b32 v12, v22, v26 bitop3:0x54
	s_delay_alu instid0(VALU_DEP_4)
	v_cvt_f32_f16_e32 v38, v23
	v_cvt_f32_f16_e32 v22, v3
	v_or_b32_e32 v3, v27, v25
	v_cvt_f32_f16_e32 v23, v1
	v_cvt_f32_f16_e32 v25, v21
	v_pk_mul_f32 v[38:39], v[20:21], v[38:39] op_sel_hi:[0,1]
	v_cvt_f32_f16_e32 v24, v24
	v_cvt_f32_f16_e32 v26, v12
	v_cvt_f32_f16_e32 v27, v3
	v_pk_mul_f32 v[22:23], v[20:21], v[22:23] op_sel_hi:[0,1]
	v_cvt_pk_f16_f32 v1, v38, v39
	v_pk_mul_f32 v[38:39], v[20:21], v[24:25] op_sel_hi:[0,1]
	v_add_nc_u32_e32 v37, v34, v2
	v_pk_mul_f32 v[20:21], v[20:21], v[26:27] op_sel_hi:[0,1]
	v_cvt_pk_f16_f32 v3, v22, v23
	v_and_b32_e32 v25, 0xffff0000, v1
	v_cvt_pk_f16_f32 v12, v38, v39
	v_lshlrev_b32_e32 v26, 16, v1
	v_cvt_pk_f16_f32 v20, v20, v21
	v_lshrrev_b32_e32 v27, 16, v3
	v_and_b32_e32 v28, 0xffff, v3
	v_and_b32_e32 v1, 0xffff0000, v12
	v_lshlrev_b32_e32 v12, 16, v12
	s_delay_alu instid0(VALU_DEP_4) | instskip(SKIP_3) | instid1(VALU_DEP_4)
	v_dual_lshrrev_b32 v23, 16, v20 :: v_dual_bitop2_b32 v21, v25, v27 bitop3:0x54
	v_and_b32_e32 v24, 0xffff, v20
	v_cmp_eq_u32_e32 vcc_lo, s17, v36
	v_dual_add_nc_u32 v44, 2, v37 :: v_dual_bitop2_b32 v22, v26, v28 bitop3:0x54
	v_or_b32_e32 v3, v1, v23
	s_delay_alu instid0(VALU_DEP_4)
	v_or_b32_e32 v20, v12, v24
	v_or_b32_e32 v43, 1, v37
	;; [unrolled: 1-line block ×7, first 2 shown]
	s_and_saveexec_b32 s25, vcc_lo
	s_cbranch_execz .LBB258_628
; %bb.627:                              ;   in Loop: Header=BB258_561 Depth=1
	v_cmp_gt_i32_e64 s0, s18, v37
	s_delay_alu instid0(VALU_DEP_1) | instskip(SKIP_1) | instid1(VALU_DEP_1)
	v_cndmask_b32_e64 v3, 0, v27, s0
	v_cmp_gt_i32_e64 s0, s34, v44
	v_cndmask_b32_e64 v20, 0, v28, s0
	v_cmp_gt_i32_e64 s0, s18, v43
	s_delay_alu instid0(VALU_DEP_1) | instskip(SKIP_1) | instid1(VALU_DEP_1)
	v_cndmask_b32_e64 v21, 0, v25, s0
	v_cmp_gt_i32_e64 s0, s34, v42
	v_cndmask_b32_e64 v22, 0, v26, s0
	v_cmp_gt_i32_e64 s0, s18, v41
	s_delay_alu instid0(VALU_DEP_4) | instskip(NEXT) | instid1(VALU_DEP_2)
	v_or_b32_e32 v21, v21, v3
	v_dual_cndmask_b32 v23, 0, v23, s0 :: v_dual_bitop2_b32 v22, v22, v20 bitop3:0x54
	v_cmp_gt_i32_e64 s0, s34, v40
	s_delay_alu instid0(VALU_DEP_1) | instskip(SKIP_1) | instid1(VALU_DEP_1)
	v_cndmask_b32_e64 v24, 0, v24, s0
	v_cmp_gt_i32_e64 s0, s18, v39
	v_cndmask_b32_e64 v1, 0, v1, s0
	v_cmp_gt_i32_e64 s0, s34, v38
	s_delay_alu instid0(VALU_DEP_1) | instskip(NEXT) | instid1(VALU_DEP_1)
	v_dual_cndmask_b32 v12, 0, v12, s0 :: v_dual_bitop2_b32 v3, v1, v23 bitop3:0x54
	v_or_b32_e32 v20, v12, v24
.LBB258_628:                            ;   in Loop: Header=BB258_561 Depth=1
	s_or_b32 exec_lo, exec_lo, s25
	v_and_b32_e32 v1, 0xffff, v48
	v_and_b32_e32 v12, 0xffff, v49
	;; [unrolled: 1-line block ×4, first 2 shown]
	s_mov_b32 s25, exec_lo
	v_lshl_or_b32 v51, v45, 16, v1
	;;#ASMSTART
	v_pk_mul_f16 v1, v51, v21;

	;;#ASMEND
	v_lshl_or_b32 v49, v46, 16, v12
	v_lshl_or_b32 v48, v47, 16, v23
	;; [unrolled: 1-line block ×3, first 2 shown]
	;;#ASMSTART
	v_pk_mul_f16 v12, v49, v22;

	;;#ASMEND
	;;#ASMSTART
	v_pk_mul_f16 v3, v48, v3;

	;;#ASMEND
	;; [unrolled: 4-line block ×3, first 2 shown]
	;;#ASMSTART
	v_pk_add_f16 v1, v1, v12;

	;;#ASMEND
	;;#ASMSTART
	v_pk_add_f16 v1, v1, v3;

	;;#ASMEND
	;; [unrolled: 4-line block ×3, first 2 shown]
	v_and_b32_e32 v3, 0xffff, v1
	v_lshrrev_b32_e32 v1, 16, v1
	;;#ASMSTART
	v_cvt_f32_f16 v50, v3;
	;;#ASMEND
	v_mov_b32_e32 v3, 0
	;;#ASMSTART
	v_cvt_f32_f16 v52, v1;
	;;#ASMEND
	global_load_b64 v[22:23], v[18:19], off offset:256
	v_mov_b32_e32 v1, 0
	global_load_b32 v20, v1, s[10:11]
	s_wait_loadcnt 0x1
	v_and_b32_e32 v12, 0xff, v22
	s_wait_xcnt 0x0
	s_delay_alu instid0(VALU_DEP_1)
	v_cmpx_ne_u16_e32 0, v12
	s_cbranch_execz .LBB258_636
; %bb.629:                              ;   in Loop: Header=BB258_561 Depth=1
	v_mov_b32_e32 v3, 0x8000
	s_mov_b32 s26, exec_lo
	v_cmpx_ne_u16_e32 0x80, v12
	s_cbranch_execz .LBB258_635
; %bb.630:                              ;   in Loop: Header=BB258_561 Depth=1
	v_and_b32_e32 v21, 0x7f, v22
	v_mov_b32_e32 v3, 0x7c01
	s_mov_b32 s27, exec_lo
	s_delay_alu instid0(VALU_DEP_2)
	v_cmpx_ne_u32_e32 0x7f, v21
	s_cbranch_execz .LBB258_634
; %bb.631:                              ;   in Loop: Header=BB258_561 Depth=1
	v_dual_lshrrev_b32 v12, 3, v21 :: v_dual_bitop2_b32 v3, 7, v22 bitop3:0x40
	s_mov_b32 s28, exec_lo
	v_cmpx_gt_u32_e32 8, v21
; %bb.632:                              ;   in Loop: Header=BB258_561 Depth=1
	s_delay_alu instid0(VALU_DEP_2) | instskip(NEXT) | instid1(VALU_DEP_1)
	v_clz_i32_u32_e32 v3, v3
	v_min_u32_e32 v3, 32, v3
	s_delay_alu instid0(VALU_DEP_1) | instskip(NEXT) | instid1(VALU_DEP_1)
	v_subrev_nc_u32_e32 v12, 28, v3
	v_lshlrev_b64_e32 v[24:25], v12, v[22:23]
	s_delay_alu instid0(VALU_DEP_1)
	v_dual_sub_nc_u32 v12, 29, v3 :: v_dual_bitop2_b32 v3, 7, v24 bitop3:0x40
; %bb.633:                              ;   in Loop: Header=BB258_561 Depth=1
	s_or_b32 exec_lo, exec_lo, s28
	s_delay_alu instid0(VALU_DEP_1) | instskip(NEXT) | instid1(VALU_DEP_2)
	v_dual_lshlrev_b32 v21, 8, v22 :: v_dual_lshlrev_b32 v3, 7, v3
	v_lshl_add_u32 v12, v12, 10, 0x2000
	s_delay_alu instid0(VALU_DEP_2) | instskip(NEXT) | instid1(VALU_DEP_2)
	v_and_b32_e32 v21, 0x8000, v21
	v_and_b32_e32 v12, 0xfc00, v12
	s_delay_alu instid0(VALU_DEP_1)
	v_or3_b32 v3, v21, v12, v3
.LBB258_634:                            ;   in Loop: Header=BB258_561 Depth=1
	s_or_b32 exec_lo, exec_lo, s27
.LBB258_635:                            ;   in Loop: Header=BB258_561 Depth=1
	s_delay_alu instid0(SALU_CYCLE_1)
	s_or_b32 exec_lo, exec_lo, s26
.LBB258_636:                            ;   in Loop: Header=BB258_561 Depth=1
	s_delay_alu instid0(SALU_CYCLE_1) | instskip(SKIP_2) | instid1(VALU_DEP_1)
	s_or_b32 exec_lo, exec_lo, s25
	v_lshrrev_b16 v12, 8, v22
	s_mov_b32 s25, exec_lo
	v_cmpx_ne_u16_e32 0, v12
	s_cbranch_execz .LBB258_644
; %bb.637:                              ;   in Loop: Header=BB258_561 Depth=1
	v_bfrev_b32_e32 v1, 1
	s_mov_b32 s26, exec_lo
	v_cmpx_ne_u16_e32 0x80, v12
	s_cbranch_execz .LBB258_643
; %bb.638:                              ;   in Loop: Header=BB258_561 Depth=1
	v_and_b32_e32 v21, 0xffff, v12
	v_mov_b32_e32 v1, 0x7c010000
	s_mov_b32 s27, exec_lo
	s_delay_alu instid0(VALU_DEP_2) | instskip(NEXT) | instid1(VALU_DEP_1)
	v_and_b32_e32 v25, 0x7f, v21
	v_cmpx_ne_u32_e32 0x7f, v25
	s_cbranch_execz .LBB258_642
; %bb.639:                              ;   in Loop: Header=BB258_561 Depth=1
	v_and_b32_e32 v1, 7, v21
	v_lshrrev_b32_e32 v24, 3, v25
	s_mov_b32 s28, exec_lo
	v_cmpx_gt_u32_e32 8, v25
; %bb.640:                              ;   in Loop: Header=BB258_561 Depth=1
	s_delay_alu instid0(VALU_DEP_3) | instskip(NEXT) | instid1(VALU_DEP_1)
	v_clz_i32_u32_e32 v1, v1
	v_min_u32_e32 v1, 32, v1
	s_delay_alu instid0(VALU_DEP_1) | instskip(NEXT) | instid1(VALU_DEP_1)
	v_subrev_nc_u32_e32 v24, 28, v1
	v_lshlrev_b64_e32 v[26:27], v24, v[12:13]
	s_delay_alu instid0(VALU_DEP_1)
	v_dual_sub_nc_u32 v24, 29, v1 :: v_dual_bitop2_b32 v1, 7, v26 bitop3:0x40
; %bb.641:                              ;   in Loop: Header=BB258_561 Depth=1
	s_or_b32 exec_lo, exec_lo, s28
	v_lshlrev_b32_e32 v12, 8, v21
	s_delay_alu instid0(VALU_DEP_2) | instskip(NEXT) | instid1(VALU_DEP_3)
	v_lshl_add_u32 v21, v24, 10, 0x2000
	v_lshlrev_b32_e32 v1, 23, v1
	s_delay_alu instid0(VALU_DEP_2) | instskip(NEXT) | instid1(VALU_DEP_1)
	v_and_or_b32 v12, 0x8000, v12, v21
	v_lshl_or_b32 v1, v12, 16, v1
.LBB258_642:                            ;   in Loop: Header=BB258_561 Depth=1
	s_or_b32 exec_lo, exec_lo, s27
.LBB258_643:                            ;   in Loop: Header=BB258_561 Depth=1
	s_delay_alu instid0(SALU_CYCLE_1)
	s_or_b32 exec_lo, exec_lo, s26
.LBB258_644:                            ;   in Loop: Header=BB258_561 Depth=1
	s_delay_alu instid0(SALU_CYCLE_1) | instskip(SKIP_3) | instid1(VALU_DEP_2)
	s_or_b32 exec_lo, exec_lo, s25
	v_dual_mov_b32 v21, 0 :: v_dual_lshrrev_b32 v12, 16, v22
	v_mov_b32_e32 v24, 0
	s_mov_b32 s25, exec_lo
	v_and_b32_e32 v25, 0xff, v12
	s_delay_alu instid0(VALU_DEP_1)
	v_cmpx_ne_u16_e32 0, v25
	s_cbranch_execz .LBB258_652
; %bb.645:                              ;   in Loop: Header=BB258_561 Depth=1
	v_mov_b32_e32 v24, 0x8000
	s_mov_b32 s26, exec_lo
	v_cmpx_ne_u16_e32 0x80, v25
	s_cbranch_execz .LBB258_651
; %bb.646:                              ;   in Loop: Header=BB258_561 Depth=1
	v_bfe_u32 v26, v22, 16, 7
	v_mov_b32_e32 v24, 0x7c01
	s_mov_b32 s27, exec_lo
	s_delay_alu instid0(VALU_DEP_2)
	v_cmpx_ne_u32_e32 0x7f, v26
	s_cbranch_execz .LBB258_650
; %bb.647:                              ;   in Loop: Header=BB258_561 Depth=1
	v_dual_lshrrev_b32 v25, 3, v26 :: v_dual_bitop2_b32 v24, 7, v12 bitop3:0x40
	s_mov_b32 s28, exec_lo
	v_cmpx_gt_u32_e32 8, v26
; %bb.648:                              ;   in Loop: Header=BB258_561 Depth=1
	s_delay_alu instid0(VALU_DEP_2) | instskip(NEXT) | instid1(VALU_DEP_1)
	v_clz_i32_u32_e32 v24, v24
	v_min_u32_e32 v26, 32, v24
	s_delay_alu instid0(VALU_DEP_1) | instskip(NEXT) | instid1(VALU_DEP_1)
	v_subrev_nc_u32_e32 v24, 28, v26
	v_lshlrev_b64_e32 v[24:25], v24, v[12:13]
	s_delay_alu instid0(VALU_DEP_1)
	v_dual_sub_nc_u32 v25, 29, v26 :: v_dual_bitop2_b32 v24, 7, v24 bitop3:0x40
; %bb.649:                              ;   in Loop: Header=BB258_561 Depth=1
	s_or_b32 exec_lo, exec_lo, s28
	v_lshlrev_b32_e32 v12, 8, v12
	s_delay_alu instid0(VALU_DEP_2) | instskip(NEXT) | instid1(VALU_DEP_3)
	v_lshl_add_u32 v25, v25, 10, 0x2000
	v_lshlrev_b32_e32 v24, 7, v24
	s_delay_alu instid0(VALU_DEP_3) | instskip(NEXT) | instid1(VALU_DEP_3)
	v_and_b32_e32 v12, 0x8000, v12
	v_and_b32_e32 v25, 0xfc00, v25
	s_delay_alu instid0(VALU_DEP_1)
	v_or3_b32 v24, v12, v25, v24
.LBB258_650:                            ;   in Loop: Header=BB258_561 Depth=1
	s_or_b32 exec_lo, exec_lo, s27
.LBB258_651:                            ;   in Loop: Header=BB258_561 Depth=1
	s_delay_alu instid0(SALU_CYCLE_1)
	s_or_b32 exec_lo, exec_lo, s26
.LBB258_652:                            ;   in Loop: Header=BB258_561 Depth=1
	s_delay_alu instid0(SALU_CYCLE_1) | instskip(NEXT) | instid1(SALU_CYCLE_1)
	s_or_b32 exec_lo, exec_lo, s25
	s_mov_b32 s25, exec_lo
	v_cmpx_lt_u32_e32 0xffffff, v22
	s_cbranch_execz .LBB258_660
; %bb.653:                              ;   in Loop: Header=BB258_561 Depth=1
	v_lshrrev_b32_e32 v12, 24, v22
	v_bfrev_b32_e32 v21, 1
	s_mov_b32 s26, exec_lo
	s_delay_alu instid0(VALU_DEP_2)
	v_cmpx_ne_u32_e32 0x80, v12
	s_cbranch_execz .LBB258_659
; %bb.654:                              ;   in Loop: Header=BB258_561 Depth=1
	v_and_b32_e32 v26, 0x7f, v12
	v_mov_b32_e32 v21, 0x7c010000
	s_mov_b32 s27, exec_lo
	s_delay_alu instid0(VALU_DEP_2)
	v_cmpx_ne_u32_e32 0x7f, v26
	s_cbranch_execz .LBB258_658
; %bb.655:                              ;   in Loop: Header=BB258_561 Depth=1
	v_dual_lshrrev_b32 v25, 3, v26 :: v_dual_bitop2_b32 v21, 7, v12 bitop3:0x40
	s_mov_b32 s28, exec_lo
	v_cmpx_gt_u32_e32 8, v26
; %bb.656:                              ;   in Loop: Header=BB258_561 Depth=1
	s_delay_alu instid0(VALU_DEP_2) | instskip(NEXT) | instid1(VALU_DEP_1)
	v_clz_i32_u32_e32 v21, v21
	v_min_u32_e32 v21, 32, v21
	s_delay_alu instid0(VALU_DEP_1) | instskip(NEXT) | instid1(VALU_DEP_1)
	v_subrev_nc_u32_e32 v25, 28, v21
	v_lshlrev_b64_e32 v[26:27], v25, v[12:13]
	s_delay_alu instid0(VALU_DEP_1)
	v_dual_sub_nc_u32 v25, 29, v21 :: v_dual_bitop2_b32 v21, 7, v26 bitop3:0x40
; %bb.657:                              ;   in Loop: Header=BB258_561 Depth=1
	s_or_b32 exec_lo, exec_lo, s28
	s_delay_alu instid0(VALU_DEP_1) | instskip(NEXT) | instid1(VALU_DEP_2)
	v_dual_lshlrev_b32 v12, 8, v12 :: v_dual_lshlrev_b32 v21, 23, v21
	v_lshl_add_u32 v25, v25, 10, 0x2000
	s_delay_alu instid0(VALU_DEP_1) | instskip(NEXT) | instid1(VALU_DEP_1)
	v_and_or_b32 v12, 0x8000, v12, v25
	v_lshl_or_b32 v21, v12, 16, v21
.LBB258_658:                            ;   in Loop: Header=BB258_561 Depth=1
	s_or_b32 exec_lo, exec_lo, s27
.LBB258_659:                            ;   in Loop: Header=BB258_561 Depth=1
	s_delay_alu instid0(SALU_CYCLE_1)
	s_or_b32 exec_lo, exec_lo, s26
.LBB258_660:                            ;   in Loop: Header=BB258_561 Depth=1
	s_delay_alu instid0(SALU_CYCLE_1) | instskip(SKIP_4) | instid1(VALU_DEP_3)
	s_or_b32 exec_lo, exec_lo, s25
	v_and_b32_e32 v27, 0xff, v23
	v_dual_mov_b32 v12, v23 :: v_dual_mov_b32 v26, 0
	v_mov_b32_e32 v25, 0
	s_mov_b32 s25, exec_lo
	v_cmpx_ne_u16_e32 0, v27
	s_cbranch_execz .LBB258_668
; %bb.661:                              ;   in Loop: Header=BB258_561 Depth=1
	v_mov_b32_e32 v25, 0x8000
	s_mov_b32 s26, exec_lo
	v_cmpx_ne_u16_e32 0x80, v27
	s_cbranch_execz .LBB258_667
; %bb.662:                              ;   in Loop: Header=BB258_561 Depth=1
	v_and_b32_e32 v28, 0x7f, v23
	v_mov_b32_e32 v25, 0x7c01
	s_mov_b32 s27, exec_lo
	s_delay_alu instid0(VALU_DEP_2)
	v_cmpx_ne_u32_e32 0x7f, v28
	s_cbranch_execz .LBB258_666
; %bb.663:                              ;   in Loop: Header=BB258_561 Depth=1
	v_dual_lshrrev_b32 v27, 3, v28 :: v_dual_bitop2_b32 v25, 7, v23 bitop3:0x40
	s_mov_b32 s28, exec_lo
	v_cmpx_gt_u32_e32 8, v28
; %bb.664:                              ;   in Loop: Header=BB258_561 Depth=1
	s_delay_alu instid0(VALU_DEP_2) | instskip(NEXT) | instid1(VALU_DEP_1)
	v_clz_i32_u32_e32 v25, v25
	v_min_u32_e32 v25, 32, v25
	s_delay_alu instid0(VALU_DEP_1) | instskip(NEXT) | instid1(VALU_DEP_1)
	v_subrev_nc_u32_e32 v27, 28, v25
	v_lshlrev_b64_e32 v[54:55], v27, v[12:13]
	s_delay_alu instid0(VALU_DEP_1)
	v_dual_sub_nc_u32 v27, 29, v25 :: v_dual_bitop2_b32 v25, 7, v54 bitop3:0x40
; %bb.665:                              ;   in Loop: Header=BB258_561 Depth=1
	s_or_b32 exec_lo, exec_lo, s28
	s_delay_alu instid0(VALU_DEP_1) | instskip(NEXT) | instid1(VALU_DEP_2)
	v_dual_lshlrev_b32 v28, 8, v23 :: v_dual_lshlrev_b32 v25, 7, v25
	v_lshl_add_u32 v27, v27, 10, 0x2000
	s_delay_alu instid0(VALU_DEP_2) | instskip(NEXT) | instid1(VALU_DEP_2)
	v_and_b32_e32 v28, 0x8000, v28
	v_and_b32_e32 v27, 0xfc00, v27
	s_delay_alu instid0(VALU_DEP_1)
	v_or3_b32 v25, v28, v27, v25
.LBB258_666:                            ;   in Loop: Header=BB258_561 Depth=1
	s_or_b32 exec_lo, exec_lo, s27
.LBB258_667:                            ;   in Loop: Header=BB258_561 Depth=1
	s_delay_alu instid0(SALU_CYCLE_1)
	s_or_b32 exec_lo, exec_lo, s26
.LBB258_668:                            ;   in Loop: Header=BB258_561 Depth=1
	s_delay_alu instid0(SALU_CYCLE_1) | instskip(SKIP_3) | instid1(VALU_DEP_2)
	s_or_b32 exec_lo, exec_lo, s25
	v_lshrrev_b16 v12, 8, v12
	v_mov_b32_e32 v27, 0
	s_mov_b32 s25, exec_lo
	v_cmpx_ne_u16_e32 0, v12
	s_cbranch_execz .LBB258_676
; %bb.669:                              ;   in Loop: Header=BB258_561 Depth=1
	v_bfrev_b32_e32 v27, 1
	s_mov_b32 s26, exec_lo
	v_cmpx_ne_u16_e32 0x80, v12
	s_cbranch_execz .LBB258_675
; %bb.670:                              ;   in Loop: Header=BB258_561 Depth=1
	v_and_b32_e32 v28, 0xffff, v12
	v_mov_b32_e32 v27, 0x7c010000
	s_mov_b32 s27, exec_lo
	s_delay_alu instid0(VALU_DEP_2) | instskip(NEXT) | instid1(VALU_DEP_1)
	v_and_b32_e32 v46, 0x7f, v28
	v_cmpx_ne_u32_e32 0x7f, v46
	s_cbranch_execz .LBB258_674
; %bb.671:                              ;   in Loop: Header=BB258_561 Depth=1
	v_dual_lshrrev_b32 v45, 3, v46 :: v_dual_bitop2_b32 v27, 7, v28 bitop3:0x40
	s_mov_b32 s28, exec_lo
	v_cmpx_gt_u32_e32 8, v46
; %bb.672:                              ;   in Loop: Header=BB258_561 Depth=1
	s_delay_alu instid0(VALU_DEP_2) | instskip(NEXT) | instid1(VALU_DEP_1)
	v_clz_i32_u32_e32 v27, v27
	v_min_u32_e32 v27, 32, v27
	s_delay_alu instid0(VALU_DEP_1) | instskip(NEXT) | instid1(VALU_DEP_1)
	v_subrev_nc_u32_e32 v45, 28, v27
	v_lshlrev_b64_e32 v[54:55], v45, v[12:13]
	s_delay_alu instid0(VALU_DEP_1)
	v_dual_sub_nc_u32 v45, 29, v27 :: v_dual_bitop2_b32 v27, 7, v54 bitop3:0x40
; %bb.673:                              ;   in Loop: Header=BB258_561 Depth=1
	s_or_b32 exec_lo, exec_lo, s28
	s_delay_alu instid0(VALU_DEP_1) | instskip(NEXT) | instid1(VALU_DEP_2)
	v_dual_lshlrev_b32 v12, 8, v28 :: v_dual_lshlrev_b32 v27, 23, v27
	v_lshl_add_u32 v28, v45, 10, 0x2000
	s_delay_alu instid0(VALU_DEP_1) | instskip(NEXT) | instid1(VALU_DEP_1)
	v_and_or_b32 v12, 0x8000, v12, v28
	v_lshl_or_b32 v27, v12, 16, v27
.LBB258_674:                            ;   in Loop: Header=BB258_561 Depth=1
	s_or_b32 exec_lo, exec_lo, s27
.LBB258_675:                            ;   in Loop: Header=BB258_561 Depth=1
	s_delay_alu instid0(SALU_CYCLE_1)
	s_or_b32 exec_lo, exec_lo, s26
.LBB258_676:                            ;   in Loop: Header=BB258_561 Depth=1
	s_delay_alu instid0(SALU_CYCLE_1) | instskip(SKIP_2) | instid1(VALU_DEP_1)
	s_or_b32 exec_lo, exec_lo, s25
	v_lshrrev_b32_e32 v12, 16, v23
	s_mov_b32 s25, exec_lo
	v_and_b32_e32 v28, 0xff, v12
	s_delay_alu instid0(VALU_DEP_1)
	v_cmpx_ne_u16_e32 0, v28
	s_cbranch_execz .LBB258_684
; %bb.677:                              ;   in Loop: Header=BB258_561 Depth=1
	v_mov_b32_e32 v26, 0x8000
	s_mov_b32 s26, exec_lo
	v_cmpx_ne_u16_e32 0x80, v28
	s_cbranch_execz .LBB258_683
; %bb.678:                              ;   in Loop: Header=BB258_561 Depth=1
	v_bfe_u32 v45, v23, 16, 7
	v_mov_b32_e32 v26, 0x7c01
	s_mov_b32 s27, exec_lo
	s_delay_alu instid0(VALU_DEP_2)
	v_cmpx_ne_u32_e32 0x7f, v45
	s_cbranch_execz .LBB258_682
; %bb.679:                              ;   in Loop: Header=BB258_561 Depth=1
	v_dual_lshrrev_b32 v28, 3, v45 :: v_dual_bitop2_b32 v26, 7, v12 bitop3:0x40
	s_mov_b32 s28, exec_lo
	v_cmpx_gt_u32_e32 8, v45
; %bb.680:                              ;   in Loop: Header=BB258_561 Depth=1
	s_delay_alu instid0(VALU_DEP_2) | instskip(NEXT) | instid1(VALU_DEP_1)
	v_clz_i32_u32_e32 v26, v26
	v_min_u32_e32 v26, 32, v26
	s_delay_alu instid0(VALU_DEP_1) | instskip(NEXT) | instid1(VALU_DEP_1)
	v_subrev_nc_u32_e32 v28, 28, v26
	v_lshlrev_b64_e32 v[54:55], v28, v[12:13]
	v_sub_nc_u32_e32 v28, 29, v26
	s_delay_alu instid0(VALU_DEP_2)
	v_and_b32_e32 v26, 7, v54
; %bb.681:                              ;   in Loop: Header=BB258_561 Depth=1
	s_or_b32 exec_lo, exec_lo, s28
	s_delay_alu instid0(VALU_DEP_1) | instskip(NEXT) | instid1(VALU_DEP_3)
	v_dual_lshlrev_b32 v12, 8, v12 :: v_dual_lshlrev_b32 v26, 7, v26
	v_lshl_add_u32 v28, v28, 10, 0x2000
	s_delay_alu instid0(VALU_DEP_2) | instskip(NEXT) | instid1(VALU_DEP_2)
	v_and_b32_e32 v12, 0x8000, v12
	v_and_b32_e32 v28, 0xfc00, v28
	s_delay_alu instid0(VALU_DEP_1)
	v_or3_b32 v26, v12, v28, v26
.LBB258_682:                            ;   in Loop: Header=BB258_561 Depth=1
	s_or_b32 exec_lo, exec_lo, s27
.LBB258_683:                            ;   in Loop: Header=BB258_561 Depth=1
	s_delay_alu instid0(SALU_CYCLE_1)
	s_or_b32 exec_lo, exec_lo, s26
.LBB258_684:                            ;   in Loop: Header=BB258_561 Depth=1
	s_delay_alu instid0(SALU_CYCLE_1)
	s_or_b32 exec_lo, exec_lo, s25
	v_cmp_lt_u64_e64 s0, s[8:9], v[22:23]
	v_mov_b32_e32 v22, 0
	s_and_saveexec_b32 s25, s0
	s_cbranch_execz .LBB258_692
; %bb.685:                              ;   in Loop: Header=BB258_561 Depth=1
	v_lshrrev_b32_e32 v12, 24, v23
	v_bfrev_b32_e32 v22, 1
	s_mov_b32 s26, exec_lo
	s_delay_alu instid0(VALU_DEP_2)
	v_cmpx_ne_u32_e32 0x80, v12
	s_cbranch_execz .LBB258_691
; %bb.686:                              ;   in Loop: Header=BB258_561 Depth=1
	v_and_b32_e32 v28, 0x7f, v12
	v_mov_b32_e32 v22, 0x7c010000
	s_mov_b32 s27, exec_lo
	s_delay_alu instid0(VALU_DEP_2)
	v_cmpx_ne_u32_e32 0x7f, v28
	s_cbranch_execz .LBB258_690
; %bb.687:                              ;   in Loop: Header=BB258_561 Depth=1
	v_and_b32_e32 v22, 7, v12
	v_lshrrev_b32_e32 v23, 3, v28
	s_mov_b32 s28, exec_lo
	v_cmpx_gt_u32_e32 8, v28
; %bb.688:                              ;   in Loop: Header=BB258_561 Depth=1
	s_delay_alu instid0(VALU_DEP_3) | instskip(NEXT) | instid1(VALU_DEP_1)
	v_clz_i32_u32_e32 v22, v22
	v_min_u32_e32 v28, 32, v22
	s_delay_alu instid0(VALU_DEP_1) | instskip(NEXT) | instid1(VALU_DEP_1)
	v_subrev_nc_u32_e32 v22, 28, v28
	v_lshlrev_b64_e32 v[22:23], v22, v[12:13]
	s_delay_alu instid0(VALU_DEP_1)
	v_dual_sub_nc_u32 v23, 29, v28 :: v_dual_bitop2_b32 v22, 7, v22 bitop3:0x40
; %bb.689:                              ;   in Loop: Header=BB258_561 Depth=1
	s_or_b32 exec_lo, exec_lo, s28
	s_delay_alu instid0(VALU_DEP_1) | instskip(NEXT) | instid1(VALU_DEP_2)
	v_dual_lshlrev_b32 v12, 8, v12 :: v_dual_lshlrev_b32 v22, 23, v22
	v_lshl_add_u32 v23, v23, 10, 0x2000
	s_delay_alu instid0(VALU_DEP_1) | instskip(NEXT) | instid1(VALU_DEP_1)
	v_and_or_b32 v12, 0x8000, v12, v23
	v_lshl_or_b32 v22, v12, 16, v22
.LBB258_690:                            ;   in Loop: Header=BB258_561 Depth=1
	s_or_b32 exec_lo, exec_lo, s27
.LBB258_691:                            ;   in Loop: Header=BB258_561 Depth=1
	s_delay_alu instid0(SALU_CYCLE_1)
	s_or_b32 exec_lo, exec_lo, s26
.LBB258_692:                            ;   in Loop: Header=BB258_561 Depth=1
	s_delay_alu instid0(SALU_CYCLE_1) | instskip(SKIP_3) | instid1(VALU_DEP_3)
	s_or_b32 exec_lo, exec_lo, s25
	v_dual_lshrrev_b32 v12, 16, v1 :: v_dual_bitop2_b32 v1, v1, v3 bitop3:0x54
	v_dual_lshrrev_b32 v23, 16, v21 :: v_dual_bitop2_b32 v3, v21, v24 bitop3:0x54
	v_lshrrev_b32_e32 v24, 16, v22
	v_cvt_f32_f16_e32 v55, v12
	v_dual_lshrrev_b32 v21, 16, v27 :: v_dual_bitop2_b32 v12, v22, v26 bitop3:0x54
	s_delay_alu instid0(VALU_DEP_4)
	v_cvt_f32_f16_e32 v54, v23
	v_cvt_f32_f16_e32 v22, v3
	v_or_b32_e32 v3, v27, v25
	v_cvt_f32_f16_e32 v23, v1
	v_cvt_f32_f16_e32 v25, v21
	s_wait_loadcnt 0x0
	v_pk_mul_f32 v[54:55], v[20:21], v[54:55] op_sel_hi:[0,1]
	v_cvt_f32_f16_e32 v24, v24
	v_cvt_f32_f16_e32 v26, v12
	;; [unrolled: 1-line block ×3, first 2 shown]
	v_pk_mul_f32 v[22:23], v[20:21], v[22:23] op_sel_hi:[0,1]
	v_cvt_pk_f16_f32 v1, v54, v55
	v_pk_mul_f32 v[24:25], v[20:21], v[24:25] op_sel_hi:[0,1]
	s_delay_alu instid0(VALU_DEP_4) | instskip(NEXT) | instid1(VALU_DEP_4)
	v_pk_mul_f32 v[26:27], v[20:21], v[26:27] op_sel_hi:[0,1]
	v_cvt_pk_f16_f32 v3, v22, v23
	s_delay_alu instid0(VALU_DEP_4) | instskip(NEXT) | instid1(VALU_DEP_4)
	v_and_b32_e32 v21, 0xffff0000, v1
	v_cvt_pk_f16_f32 v12, v24, v25
	v_lshlrev_b32_e32 v22, 16, v1
	v_cvt_pk_f16_f32 v20, v26, v27
	v_lshrrev_b32_e32 v27, 16, v3
	v_and_b32_e32 v28, 0xffff, v3
	v_and_b32_e32 v1, 0xffff0000, v12
	s_delay_alu instid0(VALU_DEP_3) | instskip(SKIP_3) | instid1(VALU_DEP_2)
	v_dual_lshlrev_b32 v12, 16, v12 :: v_dual_bitop2_b32 v25, v21, v27 bitop3:0x54
	v_lshrrev_b32_e32 v3, 16, v20
	v_and_b32_e32 v20, 0xffff, v20
	v_or_b32_e32 v26, v22, v28
	v_or_b32_e32 v24, v12, v20
	s_delay_alu instid0(VALU_DEP_4)
	v_or_b32_e32 v23, v1, v3
	s_and_saveexec_b32 s25, vcc_lo
	s_cbranch_execz .LBB258_694
; %bb.693:                              ;   in Loop: Header=BB258_561 Depth=1
	v_cmp_gt_i32_e64 s0, s18, v37
	s_delay_alu instid0(VALU_DEP_1) | instskip(SKIP_1) | instid1(VALU_DEP_1)
	v_cndmask_b32_e64 v23, 0, v27, s0
	v_cmp_gt_i32_e64 s0, s34, v44
	v_cndmask_b32_e64 v24, 0, v28, s0
	v_cmp_gt_i32_e64 s0, s18, v43
	s_delay_alu instid0(VALU_DEP_1) | instskip(SKIP_1) | instid1(VALU_DEP_1)
	v_cndmask_b32_e64 v21, 0, v21, s0
	v_cmp_gt_i32_e64 s0, s34, v42
	v_cndmask_b32_e64 v22, 0, v22, s0
	v_cmp_gt_i32_e64 s0, s18, v41
	s_delay_alu instid0(VALU_DEP_4) | instskip(NEXT) | instid1(VALU_DEP_2)
	v_or_b32_e32 v25, v21, v23
	v_dual_cndmask_b32 v3, 0, v3, s0 :: v_dual_bitop2_b32 v26, v22, v24 bitop3:0x54
	v_cmp_gt_i32_e64 s0, s34, v40
	s_delay_alu instid0(VALU_DEP_1) | instskip(SKIP_1) | instid1(VALU_DEP_1)
	v_cndmask_b32_e64 v20, 0, v20, s0
	v_cmp_gt_i32_e64 s0, s18, v39
	v_cndmask_b32_e64 v1, 0, v1, s0
	v_cmp_gt_i32_e64 s0, s34, v38
	s_delay_alu instid0(VALU_DEP_1) | instskip(NEXT) | instid1(VALU_DEP_1)
	v_dual_cndmask_b32 v12, 0, v12, s0 :: v_dual_bitop2_b32 v23, v1, v3 bitop3:0x54
	v_or_b32_e32 v24, v12, v20
.LBB258_694:                            ;   in Loop: Header=BB258_561 Depth=1
	s_or_b32 exec_lo, exec_lo, s25
	;;#ASMSTART
	v_pk_mul_f16 v1, v51, v25;

	;;#ASMEND
	;;#ASMSTART
	v_pk_mul_f16 v3, v49, v26;

	;;#ASMEND
	;; [unrolled: 4-line block ×4, first 2 shown]
	;;#ASMSTART
	v_pk_add_f16 v1, v1, v3;

	;;#ASMEND
	;;#ASMSTART
	v_pk_add_f16 v1, v1, v12;

	;;#ASMEND
	;; [unrolled: 4-line block ×3, first 2 shown]
	v_and_b32_e32 v3, 0xffff, v1
	v_lshrrev_b32_e32 v1, 16, v1
	;;#ASMSTART
	v_cvt_f32_f16 v53, v3;
	;;#ASMEND
	v_mov_b32_e32 v3, 0
	;;#ASMSTART
	v_cvt_f32_f16 v54, v1;
	;;#ASMEND
	global_load_b64 v[22:23], v[18:19], off offset:512
	v_mov_b32_e32 v1, 0
	s_mov_b32 s25, exec_lo
	global_load_b32 v20, v1, s[10:11]
	s_wait_loadcnt 0x1
	v_and_b32_e32 v12, 0xff, v22
	s_wait_xcnt 0x0
	s_delay_alu instid0(VALU_DEP_1)
	v_cmpx_ne_u16_e32 0, v12
	s_cbranch_execz .LBB258_702
; %bb.695:                              ;   in Loop: Header=BB258_561 Depth=1
	v_mov_b32_e32 v3, 0x8000
	s_mov_b32 s26, exec_lo
	v_cmpx_ne_u16_e32 0x80, v12
	s_cbranch_execz .LBB258_701
; %bb.696:                              ;   in Loop: Header=BB258_561 Depth=1
	v_and_b32_e32 v21, 0x7f, v22
	v_mov_b32_e32 v3, 0x7c01
	s_mov_b32 s27, exec_lo
	s_delay_alu instid0(VALU_DEP_2)
	v_cmpx_ne_u32_e32 0x7f, v21
	s_cbranch_execz .LBB258_700
; %bb.697:                              ;   in Loop: Header=BB258_561 Depth=1
	v_dual_lshrrev_b32 v12, 3, v21 :: v_dual_bitop2_b32 v3, 7, v22 bitop3:0x40
	s_mov_b32 s28, exec_lo
	v_cmpx_gt_u32_e32 8, v21
; %bb.698:                              ;   in Loop: Header=BB258_561 Depth=1
	s_delay_alu instid0(VALU_DEP_2) | instskip(NEXT) | instid1(VALU_DEP_1)
	v_clz_i32_u32_e32 v3, v3
	v_min_u32_e32 v3, 32, v3
	s_delay_alu instid0(VALU_DEP_1) | instskip(NEXT) | instid1(VALU_DEP_1)
	v_subrev_nc_u32_e32 v12, 28, v3
	v_lshlrev_b64_e32 v[24:25], v12, v[22:23]
	s_delay_alu instid0(VALU_DEP_1)
	v_dual_sub_nc_u32 v12, 29, v3 :: v_dual_bitop2_b32 v3, 7, v24 bitop3:0x40
; %bb.699:                              ;   in Loop: Header=BB258_561 Depth=1
	s_or_b32 exec_lo, exec_lo, s28
	s_delay_alu instid0(VALU_DEP_1) | instskip(NEXT) | instid1(VALU_DEP_2)
	v_dual_lshlrev_b32 v21, 8, v22 :: v_dual_lshlrev_b32 v3, 7, v3
	v_lshl_add_u32 v12, v12, 10, 0x2000
	s_delay_alu instid0(VALU_DEP_2) | instskip(NEXT) | instid1(VALU_DEP_2)
	v_and_b32_e32 v21, 0x8000, v21
	v_and_b32_e32 v12, 0xfc00, v12
	s_delay_alu instid0(VALU_DEP_1)
	v_or3_b32 v3, v21, v12, v3
.LBB258_700:                            ;   in Loop: Header=BB258_561 Depth=1
	s_or_b32 exec_lo, exec_lo, s27
.LBB258_701:                            ;   in Loop: Header=BB258_561 Depth=1
	s_delay_alu instid0(SALU_CYCLE_1)
	s_or_b32 exec_lo, exec_lo, s26
.LBB258_702:                            ;   in Loop: Header=BB258_561 Depth=1
	s_delay_alu instid0(SALU_CYCLE_1) | instskip(SKIP_2) | instid1(VALU_DEP_1)
	s_or_b32 exec_lo, exec_lo, s25
	v_lshrrev_b16 v12, 8, v22
	s_mov_b32 s25, exec_lo
	v_cmpx_ne_u16_e32 0, v12
	s_cbranch_execz .LBB258_710
; %bb.703:                              ;   in Loop: Header=BB258_561 Depth=1
	v_bfrev_b32_e32 v1, 1
	s_mov_b32 s26, exec_lo
	v_cmpx_ne_u16_e32 0x80, v12
	s_cbranch_execz .LBB258_709
; %bb.704:                              ;   in Loop: Header=BB258_561 Depth=1
	v_and_b32_e32 v21, 0xffff, v12
	v_mov_b32_e32 v1, 0x7c010000
	s_mov_b32 s27, exec_lo
	s_delay_alu instid0(VALU_DEP_2) | instskip(NEXT) | instid1(VALU_DEP_1)
	v_and_b32_e32 v25, 0x7f, v21
	v_cmpx_ne_u32_e32 0x7f, v25
	s_cbranch_execz .LBB258_708
; %bb.705:                              ;   in Loop: Header=BB258_561 Depth=1
	v_and_b32_e32 v1, 7, v21
	v_lshrrev_b32_e32 v24, 3, v25
	s_mov_b32 s28, exec_lo
	v_cmpx_gt_u32_e32 8, v25
; %bb.706:                              ;   in Loop: Header=BB258_561 Depth=1
	s_delay_alu instid0(VALU_DEP_3) | instskip(NEXT) | instid1(VALU_DEP_1)
	v_clz_i32_u32_e32 v1, v1
	v_min_u32_e32 v1, 32, v1
	s_delay_alu instid0(VALU_DEP_1) | instskip(NEXT) | instid1(VALU_DEP_1)
	v_subrev_nc_u32_e32 v24, 28, v1
	v_lshlrev_b64_e32 v[26:27], v24, v[12:13]
	s_delay_alu instid0(VALU_DEP_1)
	v_dual_sub_nc_u32 v24, 29, v1 :: v_dual_bitop2_b32 v1, 7, v26 bitop3:0x40
; %bb.707:                              ;   in Loop: Header=BB258_561 Depth=1
	s_or_b32 exec_lo, exec_lo, s28
	v_lshlrev_b32_e32 v12, 8, v21
	s_delay_alu instid0(VALU_DEP_2) | instskip(NEXT) | instid1(VALU_DEP_3)
	v_lshl_add_u32 v21, v24, 10, 0x2000
	v_lshlrev_b32_e32 v1, 23, v1
	s_delay_alu instid0(VALU_DEP_2) | instskip(NEXT) | instid1(VALU_DEP_1)
	v_and_or_b32 v12, 0x8000, v12, v21
	v_lshl_or_b32 v1, v12, 16, v1
.LBB258_708:                            ;   in Loop: Header=BB258_561 Depth=1
	s_or_b32 exec_lo, exec_lo, s27
.LBB258_709:                            ;   in Loop: Header=BB258_561 Depth=1
	s_delay_alu instid0(SALU_CYCLE_1)
	s_or_b32 exec_lo, exec_lo, s26
.LBB258_710:                            ;   in Loop: Header=BB258_561 Depth=1
	s_delay_alu instid0(SALU_CYCLE_1) | instskip(SKIP_3) | instid1(VALU_DEP_2)
	s_or_b32 exec_lo, exec_lo, s25
	v_dual_mov_b32 v21, 0 :: v_dual_lshrrev_b32 v12, 16, v22
	v_mov_b32_e32 v24, 0
	s_mov_b32 s25, exec_lo
	v_and_b32_e32 v25, 0xff, v12
	s_delay_alu instid0(VALU_DEP_1)
	v_cmpx_ne_u16_e32 0, v25
	s_cbranch_execz .LBB258_718
; %bb.711:                              ;   in Loop: Header=BB258_561 Depth=1
	v_mov_b32_e32 v24, 0x8000
	s_mov_b32 s26, exec_lo
	v_cmpx_ne_u16_e32 0x80, v25
	s_cbranch_execz .LBB258_717
; %bb.712:                              ;   in Loop: Header=BB258_561 Depth=1
	v_bfe_u32 v26, v22, 16, 7
	v_mov_b32_e32 v24, 0x7c01
	s_mov_b32 s27, exec_lo
	s_delay_alu instid0(VALU_DEP_2)
	v_cmpx_ne_u32_e32 0x7f, v26
	s_cbranch_execz .LBB258_716
; %bb.713:                              ;   in Loop: Header=BB258_561 Depth=1
	v_dual_lshrrev_b32 v25, 3, v26 :: v_dual_bitop2_b32 v24, 7, v12 bitop3:0x40
	s_mov_b32 s28, exec_lo
	v_cmpx_gt_u32_e32 8, v26
; %bb.714:                              ;   in Loop: Header=BB258_561 Depth=1
	s_delay_alu instid0(VALU_DEP_2) | instskip(NEXT) | instid1(VALU_DEP_1)
	v_clz_i32_u32_e32 v24, v24
	v_min_u32_e32 v26, 32, v24
	s_delay_alu instid0(VALU_DEP_1) | instskip(NEXT) | instid1(VALU_DEP_1)
	v_subrev_nc_u32_e32 v24, 28, v26
	v_lshlrev_b64_e32 v[24:25], v24, v[12:13]
	s_delay_alu instid0(VALU_DEP_1)
	v_dual_sub_nc_u32 v25, 29, v26 :: v_dual_bitop2_b32 v24, 7, v24 bitop3:0x40
; %bb.715:                              ;   in Loop: Header=BB258_561 Depth=1
	s_or_b32 exec_lo, exec_lo, s28
	v_lshlrev_b32_e32 v12, 8, v12
	s_delay_alu instid0(VALU_DEP_2) | instskip(NEXT) | instid1(VALU_DEP_3)
	v_lshl_add_u32 v25, v25, 10, 0x2000
	v_lshlrev_b32_e32 v24, 7, v24
	s_delay_alu instid0(VALU_DEP_3) | instskip(NEXT) | instid1(VALU_DEP_3)
	v_and_b32_e32 v12, 0x8000, v12
	v_and_b32_e32 v25, 0xfc00, v25
	s_delay_alu instid0(VALU_DEP_1)
	v_or3_b32 v24, v12, v25, v24
.LBB258_716:                            ;   in Loop: Header=BB258_561 Depth=1
	s_or_b32 exec_lo, exec_lo, s27
.LBB258_717:                            ;   in Loop: Header=BB258_561 Depth=1
	s_delay_alu instid0(SALU_CYCLE_1)
	s_or_b32 exec_lo, exec_lo, s26
.LBB258_718:                            ;   in Loop: Header=BB258_561 Depth=1
	s_delay_alu instid0(SALU_CYCLE_1) | instskip(NEXT) | instid1(SALU_CYCLE_1)
	s_or_b32 exec_lo, exec_lo, s25
	s_mov_b32 s25, exec_lo
	v_cmpx_lt_u32_e32 0xffffff, v22
	s_cbranch_execz .LBB258_726
; %bb.719:                              ;   in Loop: Header=BB258_561 Depth=1
	v_lshrrev_b32_e32 v12, 24, v22
	v_bfrev_b32_e32 v21, 1
	s_mov_b32 s26, exec_lo
	s_delay_alu instid0(VALU_DEP_2)
	v_cmpx_ne_u32_e32 0x80, v12
	s_cbranch_execz .LBB258_725
; %bb.720:                              ;   in Loop: Header=BB258_561 Depth=1
	v_and_b32_e32 v26, 0x7f, v12
	v_mov_b32_e32 v21, 0x7c010000
	s_mov_b32 s27, exec_lo
	s_delay_alu instid0(VALU_DEP_2)
	v_cmpx_ne_u32_e32 0x7f, v26
	s_cbranch_execz .LBB258_724
; %bb.721:                              ;   in Loop: Header=BB258_561 Depth=1
	v_dual_lshrrev_b32 v25, 3, v26 :: v_dual_bitop2_b32 v21, 7, v12 bitop3:0x40
	s_mov_b32 s28, exec_lo
	v_cmpx_gt_u32_e32 8, v26
; %bb.722:                              ;   in Loop: Header=BB258_561 Depth=1
	s_delay_alu instid0(VALU_DEP_2) | instskip(NEXT) | instid1(VALU_DEP_1)
	v_clz_i32_u32_e32 v21, v21
	v_min_u32_e32 v21, 32, v21
	s_delay_alu instid0(VALU_DEP_1) | instskip(NEXT) | instid1(VALU_DEP_1)
	v_subrev_nc_u32_e32 v25, 28, v21
	v_lshlrev_b64_e32 v[26:27], v25, v[12:13]
	s_delay_alu instid0(VALU_DEP_1)
	v_dual_sub_nc_u32 v25, 29, v21 :: v_dual_bitop2_b32 v21, 7, v26 bitop3:0x40
; %bb.723:                              ;   in Loop: Header=BB258_561 Depth=1
	s_or_b32 exec_lo, exec_lo, s28
	s_delay_alu instid0(VALU_DEP_1) | instskip(NEXT) | instid1(VALU_DEP_2)
	v_dual_lshlrev_b32 v12, 8, v12 :: v_dual_lshlrev_b32 v21, 23, v21
	v_lshl_add_u32 v25, v25, 10, 0x2000
	s_delay_alu instid0(VALU_DEP_1) | instskip(NEXT) | instid1(VALU_DEP_1)
	v_and_or_b32 v12, 0x8000, v12, v25
	v_lshl_or_b32 v21, v12, 16, v21
.LBB258_724:                            ;   in Loop: Header=BB258_561 Depth=1
	s_or_b32 exec_lo, exec_lo, s27
.LBB258_725:                            ;   in Loop: Header=BB258_561 Depth=1
	s_delay_alu instid0(SALU_CYCLE_1)
	s_or_b32 exec_lo, exec_lo, s26
.LBB258_726:                            ;   in Loop: Header=BB258_561 Depth=1
	s_delay_alu instid0(SALU_CYCLE_1) | instskip(SKIP_4) | instid1(VALU_DEP_3)
	s_or_b32 exec_lo, exec_lo, s25
	v_and_b32_e32 v27, 0xff, v23
	v_dual_mov_b32 v12, v23 :: v_dual_mov_b32 v26, 0
	v_mov_b32_e32 v25, 0
	s_mov_b32 s25, exec_lo
	v_cmpx_ne_u16_e32 0, v27
	s_cbranch_execz .LBB258_734
; %bb.727:                              ;   in Loop: Header=BB258_561 Depth=1
	v_mov_b32_e32 v25, 0x8000
	s_mov_b32 s26, exec_lo
	v_cmpx_ne_u16_e32 0x80, v27
	s_cbranch_execz .LBB258_733
; %bb.728:                              ;   in Loop: Header=BB258_561 Depth=1
	v_and_b32_e32 v28, 0x7f, v23
	v_mov_b32_e32 v25, 0x7c01
	s_mov_b32 s27, exec_lo
	s_delay_alu instid0(VALU_DEP_2)
	v_cmpx_ne_u32_e32 0x7f, v28
	s_cbranch_execz .LBB258_732
; %bb.729:                              ;   in Loop: Header=BB258_561 Depth=1
	v_dual_lshrrev_b32 v27, 3, v28 :: v_dual_bitop2_b32 v25, 7, v23 bitop3:0x40
	s_mov_b32 s28, exec_lo
	v_cmpx_gt_u32_e32 8, v28
; %bb.730:                              ;   in Loop: Header=BB258_561 Depth=1
	s_delay_alu instid0(VALU_DEP_2) | instskip(NEXT) | instid1(VALU_DEP_1)
	v_clz_i32_u32_e32 v25, v25
	v_min_u32_e32 v25, 32, v25
	s_delay_alu instid0(VALU_DEP_1) | instskip(NEXT) | instid1(VALU_DEP_1)
	v_subrev_nc_u32_e32 v27, 28, v25
	v_lshlrev_b64_e32 v[56:57], v27, v[12:13]
	s_delay_alu instid0(VALU_DEP_1)
	v_dual_sub_nc_u32 v27, 29, v25 :: v_dual_bitop2_b32 v25, 7, v56 bitop3:0x40
; %bb.731:                              ;   in Loop: Header=BB258_561 Depth=1
	s_or_b32 exec_lo, exec_lo, s28
	s_delay_alu instid0(VALU_DEP_1) | instskip(NEXT) | instid1(VALU_DEP_2)
	v_dual_lshlrev_b32 v28, 8, v23 :: v_dual_lshlrev_b32 v25, 7, v25
	v_lshl_add_u32 v27, v27, 10, 0x2000
	s_delay_alu instid0(VALU_DEP_2) | instskip(NEXT) | instid1(VALU_DEP_2)
	v_and_b32_e32 v28, 0x8000, v28
	v_and_b32_e32 v27, 0xfc00, v27
	s_delay_alu instid0(VALU_DEP_1)
	v_or3_b32 v25, v28, v27, v25
.LBB258_732:                            ;   in Loop: Header=BB258_561 Depth=1
	s_or_b32 exec_lo, exec_lo, s27
.LBB258_733:                            ;   in Loop: Header=BB258_561 Depth=1
	s_delay_alu instid0(SALU_CYCLE_1)
	s_or_b32 exec_lo, exec_lo, s26
.LBB258_734:                            ;   in Loop: Header=BB258_561 Depth=1
	s_delay_alu instid0(SALU_CYCLE_1) | instskip(SKIP_3) | instid1(VALU_DEP_2)
	s_or_b32 exec_lo, exec_lo, s25
	v_lshrrev_b16 v12, 8, v12
	v_mov_b32_e32 v27, 0
	s_mov_b32 s25, exec_lo
	v_cmpx_ne_u16_e32 0, v12
	s_cbranch_execz .LBB258_742
; %bb.735:                              ;   in Loop: Header=BB258_561 Depth=1
	v_bfrev_b32_e32 v27, 1
	s_mov_b32 s26, exec_lo
	v_cmpx_ne_u16_e32 0x80, v12
	s_cbranch_execz .LBB258_741
; %bb.736:                              ;   in Loop: Header=BB258_561 Depth=1
	v_and_b32_e32 v28, 0xffff, v12
	v_mov_b32_e32 v27, 0x7c010000
	s_mov_b32 s27, exec_lo
	s_delay_alu instid0(VALU_DEP_2) | instskip(NEXT) | instid1(VALU_DEP_1)
	v_and_b32_e32 v46, 0x7f, v28
	v_cmpx_ne_u32_e32 0x7f, v46
	s_cbranch_execz .LBB258_740
; %bb.737:                              ;   in Loop: Header=BB258_561 Depth=1
	v_dual_lshrrev_b32 v45, 3, v46 :: v_dual_bitop2_b32 v27, 7, v28 bitop3:0x40
	s_mov_b32 s28, exec_lo
	v_cmpx_gt_u32_e32 8, v46
; %bb.738:                              ;   in Loop: Header=BB258_561 Depth=1
	s_delay_alu instid0(VALU_DEP_2) | instskip(NEXT) | instid1(VALU_DEP_1)
	v_clz_i32_u32_e32 v27, v27
	v_min_u32_e32 v27, 32, v27
	s_delay_alu instid0(VALU_DEP_1) | instskip(NEXT) | instid1(VALU_DEP_1)
	v_subrev_nc_u32_e32 v45, 28, v27
	v_lshlrev_b64_e32 v[56:57], v45, v[12:13]
	s_delay_alu instid0(VALU_DEP_1)
	v_dual_sub_nc_u32 v45, 29, v27 :: v_dual_bitop2_b32 v27, 7, v56 bitop3:0x40
; %bb.739:                              ;   in Loop: Header=BB258_561 Depth=1
	s_or_b32 exec_lo, exec_lo, s28
	s_delay_alu instid0(VALU_DEP_1) | instskip(NEXT) | instid1(VALU_DEP_2)
	v_dual_lshlrev_b32 v12, 8, v28 :: v_dual_lshlrev_b32 v27, 23, v27
	v_lshl_add_u32 v28, v45, 10, 0x2000
	s_delay_alu instid0(VALU_DEP_1) | instskip(NEXT) | instid1(VALU_DEP_1)
	v_and_or_b32 v12, 0x8000, v12, v28
	v_lshl_or_b32 v27, v12, 16, v27
.LBB258_740:                            ;   in Loop: Header=BB258_561 Depth=1
	s_or_b32 exec_lo, exec_lo, s27
.LBB258_741:                            ;   in Loop: Header=BB258_561 Depth=1
	s_delay_alu instid0(SALU_CYCLE_1)
	s_or_b32 exec_lo, exec_lo, s26
.LBB258_742:                            ;   in Loop: Header=BB258_561 Depth=1
	s_delay_alu instid0(SALU_CYCLE_1) | instskip(SKIP_2) | instid1(VALU_DEP_1)
	s_or_b32 exec_lo, exec_lo, s25
	v_lshrrev_b32_e32 v12, 16, v23
	s_mov_b32 s25, exec_lo
	v_and_b32_e32 v28, 0xff, v12
	s_delay_alu instid0(VALU_DEP_1)
	v_cmpx_ne_u16_e32 0, v28
	s_cbranch_execz .LBB258_750
; %bb.743:                              ;   in Loop: Header=BB258_561 Depth=1
	v_mov_b32_e32 v26, 0x8000
	s_mov_b32 s26, exec_lo
	v_cmpx_ne_u16_e32 0x80, v28
	s_cbranch_execz .LBB258_749
; %bb.744:                              ;   in Loop: Header=BB258_561 Depth=1
	v_bfe_u32 v45, v23, 16, 7
	v_mov_b32_e32 v26, 0x7c01
	s_mov_b32 s27, exec_lo
	s_delay_alu instid0(VALU_DEP_2)
	v_cmpx_ne_u32_e32 0x7f, v45
	s_cbranch_execz .LBB258_748
; %bb.745:                              ;   in Loop: Header=BB258_561 Depth=1
	v_dual_lshrrev_b32 v28, 3, v45 :: v_dual_bitop2_b32 v26, 7, v12 bitop3:0x40
	s_mov_b32 s28, exec_lo
	v_cmpx_gt_u32_e32 8, v45
; %bb.746:                              ;   in Loop: Header=BB258_561 Depth=1
	s_delay_alu instid0(VALU_DEP_2) | instskip(NEXT) | instid1(VALU_DEP_1)
	v_clz_i32_u32_e32 v26, v26
	v_min_u32_e32 v26, 32, v26
	s_delay_alu instid0(VALU_DEP_1) | instskip(NEXT) | instid1(VALU_DEP_1)
	v_subrev_nc_u32_e32 v28, 28, v26
	v_lshlrev_b64_e32 v[56:57], v28, v[12:13]
	s_delay_alu instid0(VALU_DEP_1)
	v_dual_sub_nc_u32 v28, 29, v26 :: v_dual_bitop2_b32 v26, 7, v56 bitop3:0x40
; %bb.747:                              ;   in Loop: Header=BB258_561 Depth=1
	s_or_b32 exec_lo, exec_lo, s28
	s_delay_alu instid0(VALU_DEP_1) | instskip(NEXT) | instid1(VALU_DEP_2)
	v_dual_lshlrev_b32 v12, 8, v12 :: v_dual_lshlrev_b32 v26, 7, v26
	v_lshl_add_u32 v28, v28, 10, 0x2000
	s_delay_alu instid0(VALU_DEP_2) | instskip(NEXT) | instid1(VALU_DEP_2)
	v_and_b32_e32 v12, 0x8000, v12
	v_and_b32_e32 v28, 0xfc00, v28
	s_delay_alu instid0(VALU_DEP_1)
	v_or3_b32 v26, v12, v28, v26
.LBB258_748:                            ;   in Loop: Header=BB258_561 Depth=1
	s_or_b32 exec_lo, exec_lo, s27
.LBB258_749:                            ;   in Loop: Header=BB258_561 Depth=1
	s_delay_alu instid0(SALU_CYCLE_1)
	s_or_b32 exec_lo, exec_lo, s26
.LBB258_750:                            ;   in Loop: Header=BB258_561 Depth=1
	s_delay_alu instid0(SALU_CYCLE_1)
	s_or_b32 exec_lo, exec_lo, s25
	v_cmp_lt_u64_e64 s0, s[8:9], v[22:23]
	v_mov_b32_e32 v22, 0
	s_and_saveexec_b32 s25, s0
	s_cbranch_execz .LBB258_758
; %bb.751:                              ;   in Loop: Header=BB258_561 Depth=1
	v_lshrrev_b32_e32 v12, 24, v23
	v_bfrev_b32_e32 v22, 1
	s_mov_b32 s26, exec_lo
	s_delay_alu instid0(VALU_DEP_2)
	v_cmpx_ne_u32_e32 0x80, v12
	s_cbranch_execz .LBB258_757
; %bb.752:                              ;   in Loop: Header=BB258_561 Depth=1
	v_and_b32_e32 v28, 0x7f, v12
	v_mov_b32_e32 v22, 0x7c010000
	s_mov_b32 s27, exec_lo
	s_delay_alu instid0(VALU_DEP_2)
	v_cmpx_ne_u32_e32 0x7f, v28
	s_cbranch_execz .LBB258_756
; %bb.753:                              ;   in Loop: Header=BB258_561 Depth=1
	v_and_b32_e32 v22, 7, v12
	v_lshrrev_b32_e32 v23, 3, v28
	s_mov_b32 s28, exec_lo
	v_cmpx_gt_u32_e32 8, v28
; %bb.754:                              ;   in Loop: Header=BB258_561 Depth=1
	s_delay_alu instid0(VALU_DEP_3) | instskip(NEXT) | instid1(VALU_DEP_1)
	v_clz_i32_u32_e32 v22, v22
	v_min_u32_e32 v28, 32, v22
	s_delay_alu instid0(VALU_DEP_1) | instskip(NEXT) | instid1(VALU_DEP_1)
	v_subrev_nc_u32_e32 v22, 28, v28
	v_lshlrev_b64_e32 v[22:23], v22, v[12:13]
	s_delay_alu instid0(VALU_DEP_1)
	v_dual_sub_nc_u32 v23, 29, v28 :: v_dual_bitop2_b32 v22, 7, v22 bitop3:0x40
; %bb.755:                              ;   in Loop: Header=BB258_561 Depth=1
	s_or_b32 exec_lo, exec_lo, s28
	s_delay_alu instid0(VALU_DEP_1) | instskip(NEXT) | instid1(VALU_DEP_2)
	v_dual_lshlrev_b32 v12, 8, v12 :: v_dual_lshlrev_b32 v22, 23, v22
	v_lshl_add_u32 v23, v23, 10, 0x2000
	s_delay_alu instid0(VALU_DEP_1) | instskip(NEXT) | instid1(VALU_DEP_1)
	v_and_or_b32 v12, 0x8000, v12, v23
	v_lshl_or_b32 v22, v12, 16, v22
.LBB258_756:                            ;   in Loop: Header=BB258_561 Depth=1
	s_or_b32 exec_lo, exec_lo, s27
.LBB258_757:                            ;   in Loop: Header=BB258_561 Depth=1
	s_delay_alu instid0(SALU_CYCLE_1)
	s_or_b32 exec_lo, exec_lo, s26
.LBB258_758:                            ;   in Loop: Header=BB258_561 Depth=1
	s_delay_alu instid0(SALU_CYCLE_1) | instskip(SKIP_3) | instid1(VALU_DEP_3)
	s_or_b32 exec_lo, exec_lo, s25
	v_dual_lshrrev_b32 v12, 16, v1 :: v_dual_bitop2_b32 v1, v1, v3 bitop3:0x54
	v_dual_lshrrev_b32 v23, 16, v21 :: v_dual_bitop2_b32 v3, v21, v24 bitop3:0x54
	v_lshrrev_b32_e32 v24, 16, v22
	v_cvt_f32_f16_e32 v57, v12
	v_dual_lshrrev_b32 v21, 16, v27 :: v_dual_bitop2_b32 v12, v22, v26 bitop3:0x54
	s_delay_alu instid0(VALU_DEP_4)
	v_cvt_f32_f16_e32 v56, v23
	v_cvt_f32_f16_e32 v22, v3
	v_or_b32_e32 v3, v27, v25
	v_cvt_f32_f16_e32 v23, v1
	v_cvt_f32_f16_e32 v25, v21
	s_wait_loadcnt 0x0
	v_pk_mul_f32 v[56:57], v[20:21], v[56:57] op_sel_hi:[0,1]
	v_cvt_f32_f16_e32 v24, v24
	v_cvt_f32_f16_e32 v26, v12
	;; [unrolled: 1-line block ×3, first 2 shown]
	v_pk_mul_f32 v[22:23], v[20:21], v[22:23] op_sel_hi:[0,1]
	v_cvt_pk_f16_f32 v1, v56, v57
	v_pk_mul_f32 v[24:25], v[20:21], v[24:25] op_sel_hi:[0,1]
	s_delay_alu instid0(VALU_DEP_4) | instskip(NEXT) | instid1(VALU_DEP_4)
	v_pk_mul_f32 v[26:27], v[20:21], v[26:27] op_sel_hi:[0,1]
	v_cvt_pk_f16_f32 v3, v22, v23
	s_delay_alu instid0(VALU_DEP_4) | instskip(NEXT) | instid1(VALU_DEP_4)
	v_and_b32_e32 v21, 0xffff0000, v1
	v_cvt_pk_f16_f32 v12, v24, v25
	v_lshlrev_b32_e32 v22, 16, v1
	v_cvt_pk_f16_f32 v20, v26, v27
	v_lshrrev_b32_e32 v27, 16, v3
	v_and_b32_e32 v28, 0xffff, v3
	v_and_b32_e32 v1, 0xffff0000, v12
	s_delay_alu instid0(VALU_DEP_3) | instskip(SKIP_3) | instid1(VALU_DEP_2)
	v_dual_lshlrev_b32 v12, 16, v12 :: v_dual_bitop2_b32 v25, v21, v27 bitop3:0x54
	v_lshrrev_b32_e32 v3, 16, v20
	v_and_b32_e32 v20, 0xffff, v20
	v_or_b32_e32 v26, v22, v28
	v_or_b32_e32 v24, v12, v20
	s_delay_alu instid0(VALU_DEP_4)
	v_or_b32_e32 v23, v1, v3
	s_and_saveexec_b32 s25, vcc_lo
	s_cbranch_execz .LBB258_760
; %bb.759:                              ;   in Loop: Header=BB258_561 Depth=1
	v_cmp_gt_i32_e64 s0, s18, v37
	s_delay_alu instid0(VALU_DEP_1) | instskip(SKIP_1) | instid1(VALU_DEP_1)
	v_cndmask_b32_e64 v23, 0, v27, s0
	v_cmp_gt_i32_e64 s0, s34, v44
	v_cndmask_b32_e64 v24, 0, v28, s0
	v_cmp_gt_i32_e64 s0, s18, v43
	s_delay_alu instid0(VALU_DEP_1) | instskip(SKIP_1) | instid1(VALU_DEP_1)
	v_cndmask_b32_e64 v21, 0, v21, s0
	v_cmp_gt_i32_e64 s0, s34, v42
	v_cndmask_b32_e64 v22, 0, v22, s0
	v_cmp_gt_i32_e64 s0, s18, v41
	s_delay_alu instid0(VALU_DEP_4) | instskip(NEXT) | instid1(VALU_DEP_2)
	v_or_b32_e32 v25, v21, v23
	v_dual_cndmask_b32 v3, 0, v3, s0 :: v_dual_bitop2_b32 v26, v22, v24 bitop3:0x54
	v_cmp_gt_i32_e64 s0, s34, v40
	s_delay_alu instid0(VALU_DEP_1) | instskip(SKIP_1) | instid1(VALU_DEP_1)
	v_cndmask_b32_e64 v20, 0, v20, s0
	v_cmp_gt_i32_e64 s0, s18, v39
	v_cndmask_b32_e64 v1, 0, v1, s0
	v_cmp_gt_i32_e64 s0, s34, v38
	s_delay_alu instid0(VALU_DEP_1) | instskip(NEXT) | instid1(VALU_DEP_1)
	v_dual_cndmask_b32 v12, 0, v12, s0 :: v_dual_bitop2_b32 v23, v1, v3 bitop3:0x54
	v_or_b32_e32 v24, v12, v20
.LBB258_760:                            ;   in Loop: Header=BB258_561 Depth=1
	s_or_b32 exec_lo, exec_lo, s25
	;;#ASMSTART
	v_pk_mul_f16 v1, v51, v25;

	;;#ASMEND
	;;#ASMSTART
	v_pk_mul_f16 v3, v49, v26;

	;;#ASMEND
	;; [unrolled: 4-line block ×4, first 2 shown]
	;;#ASMSTART
	v_pk_add_f16 v1, v1, v3;

	;;#ASMEND
	;;#ASMSTART
	v_pk_add_f16 v1, v1, v12;

	;;#ASMEND
	;;#ASMSTART
	v_pk_add_f16 v1, v1, v20;

	;;#ASMEND
	v_and_b32_e32 v3, 0xffff, v1
	v_lshrrev_b32_e32 v1, 16, v1
	;;#ASMSTART
	v_cvt_f32_f16 v55, v3;
	;;#ASMEND
	v_mov_b32_e32 v3, 0
	;;#ASMSTART
	v_cvt_f32_f16 v56, v1;
	;;#ASMEND
	global_load_b64 v[22:23], v[18:19], off offset:768
	v_mov_b32_e32 v1, 0
	s_mov_b32 s25, exec_lo
	global_load_b32 v20, v1, s[10:11]
	s_wait_loadcnt 0x1
	v_and_b32_e32 v12, 0xff, v22
	s_wait_xcnt 0x0
	s_delay_alu instid0(VALU_DEP_1)
	v_cmpx_ne_u16_e32 0, v12
	s_cbranch_execz .LBB258_768
; %bb.761:                              ;   in Loop: Header=BB258_561 Depth=1
	v_mov_b32_e32 v3, 0x8000
	s_mov_b32 s26, exec_lo
	v_cmpx_ne_u16_e32 0x80, v12
	s_cbranch_execz .LBB258_767
; %bb.762:                              ;   in Loop: Header=BB258_561 Depth=1
	v_and_b32_e32 v21, 0x7f, v22
	v_mov_b32_e32 v3, 0x7c01
	s_mov_b32 s27, exec_lo
	s_delay_alu instid0(VALU_DEP_2)
	v_cmpx_ne_u32_e32 0x7f, v21
	s_cbranch_execz .LBB258_766
; %bb.763:                              ;   in Loop: Header=BB258_561 Depth=1
	v_dual_lshrrev_b32 v12, 3, v21 :: v_dual_bitop2_b32 v3, 7, v22 bitop3:0x40
	s_mov_b32 s28, exec_lo
	v_cmpx_gt_u32_e32 8, v21
; %bb.764:                              ;   in Loop: Header=BB258_561 Depth=1
	s_delay_alu instid0(VALU_DEP_2) | instskip(NEXT) | instid1(VALU_DEP_1)
	v_clz_i32_u32_e32 v3, v3
	v_min_u32_e32 v3, 32, v3
	s_delay_alu instid0(VALU_DEP_1) | instskip(NEXT) | instid1(VALU_DEP_1)
	v_subrev_nc_u32_e32 v12, 28, v3
	v_lshlrev_b64_e32 v[24:25], v12, v[22:23]
	s_delay_alu instid0(VALU_DEP_1)
	v_dual_sub_nc_u32 v12, 29, v3 :: v_dual_bitop2_b32 v3, 7, v24 bitop3:0x40
; %bb.765:                              ;   in Loop: Header=BB258_561 Depth=1
	s_or_b32 exec_lo, exec_lo, s28
	s_delay_alu instid0(VALU_DEP_1) | instskip(NEXT) | instid1(VALU_DEP_2)
	v_dual_lshlrev_b32 v21, 8, v22 :: v_dual_lshlrev_b32 v3, 7, v3
	v_lshl_add_u32 v12, v12, 10, 0x2000
	s_delay_alu instid0(VALU_DEP_2) | instskip(NEXT) | instid1(VALU_DEP_2)
	v_and_b32_e32 v21, 0x8000, v21
	v_and_b32_e32 v12, 0xfc00, v12
	s_delay_alu instid0(VALU_DEP_1)
	v_or3_b32 v3, v21, v12, v3
.LBB258_766:                            ;   in Loop: Header=BB258_561 Depth=1
	s_or_b32 exec_lo, exec_lo, s27
.LBB258_767:                            ;   in Loop: Header=BB258_561 Depth=1
	s_delay_alu instid0(SALU_CYCLE_1)
	s_or_b32 exec_lo, exec_lo, s26
.LBB258_768:                            ;   in Loop: Header=BB258_561 Depth=1
	s_delay_alu instid0(SALU_CYCLE_1) | instskip(SKIP_2) | instid1(VALU_DEP_1)
	s_or_b32 exec_lo, exec_lo, s25
	v_lshrrev_b16 v12, 8, v22
	s_mov_b32 s25, exec_lo
	v_cmpx_ne_u16_e32 0, v12
	s_cbranch_execz .LBB258_776
; %bb.769:                              ;   in Loop: Header=BB258_561 Depth=1
	v_bfrev_b32_e32 v1, 1
	s_mov_b32 s26, exec_lo
	v_cmpx_ne_u16_e32 0x80, v12
	s_cbranch_execz .LBB258_775
; %bb.770:                              ;   in Loop: Header=BB258_561 Depth=1
	v_and_b32_e32 v21, 0xffff, v12
	v_mov_b32_e32 v1, 0x7c010000
	s_mov_b32 s27, exec_lo
	s_delay_alu instid0(VALU_DEP_2) | instskip(NEXT) | instid1(VALU_DEP_1)
	v_and_b32_e32 v25, 0x7f, v21
	v_cmpx_ne_u32_e32 0x7f, v25
	s_cbranch_execz .LBB258_774
; %bb.771:                              ;   in Loop: Header=BB258_561 Depth=1
	v_and_b32_e32 v1, 7, v21
	v_lshrrev_b32_e32 v24, 3, v25
	s_mov_b32 s28, exec_lo
	v_cmpx_gt_u32_e32 8, v25
; %bb.772:                              ;   in Loop: Header=BB258_561 Depth=1
	s_delay_alu instid0(VALU_DEP_3) | instskip(NEXT) | instid1(VALU_DEP_1)
	v_clz_i32_u32_e32 v1, v1
	v_min_u32_e32 v1, 32, v1
	s_delay_alu instid0(VALU_DEP_1) | instskip(NEXT) | instid1(VALU_DEP_1)
	v_subrev_nc_u32_e32 v24, 28, v1
	v_lshlrev_b64_e32 v[26:27], v24, v[12:13]
	s_delay_alu instid0(VALU_DEP_1)
	v_dual_sub_nc_u32 v24, 29, v1 :: v_dual_bitop2_b32 v1, 7, v26 bitop3:0x40
; %bb.773:                              ;   in Loop: Header=BB258_561 Depth=1
	s_or_b32 exec_lo, exec_lo, s28
	v_lshlrev_b32_e32 v12, 8, v21
	s_delay_alu instid0(VALU_DEP_2) | instskip(NEXT) | instid1(VALU_DEP_3)
	v_lshl_add_u32 v21, v24, 10, 0x2000
	v_lshlrev_b32_e32 v1, 23, v1
	s_delay_alu instid0(VALU_DEP_2) | instskip(NEXT) | instid1(VALU_DEP_1)
	v_and_or_b32 v12, 0x8000, v12, v21
	v_lshl_or_b32 v1, v12, 16, v1
.LBB258_774:                            ;   in Loop: Header=BB258_561 Depth=1
	s_or_b32 exec_lo, exec_lo, s27
.LBB258_775:                            ;   in Loop: Header=BB258_561 Depth=1
	s_delay_alu instid0(SALU_CYCLE_1)
	s_or_b32 exec_lo, exec_lo, s26
.LBB258_776:                            ;   in Loop: Header=BB258_561 Depth=1
	s_delay_alu instid0(SALU_CYCLE_1) | instskip(SKIP_3) | instid1(VALU_DEP_2)
	s_or_b32 exec_lo, exec_lo, s25
	v_dual_mov_b32 v21, 0 :: v_dual_lshrrev_b32 v12, 16, v22
	v_mov_b32_e32 v24, 0
	s_mov_b32 s25, exec_lo
	v_and_b32_e32 v25, 0xff, v12
	s_delay_alu instid0(VALU_DEP_1)
	v_cmpx_ne_u16_e32 0, v25
	s_cbranch_execz .LBB258_784
; %bb.777:                              ;   in Loop: Header=BB258_561 Depth=1
	v_mov_b32_e32 v24, 0x8000
	s_mov_b32 s26, exec_lo
	v_cmpx_ne_u16_e32 0x80, v25
	s_cbranch_execz .LBB258_783
; %bb.778:                              ;   in Loop: Header=BB258_561 Depth=1
	v_bfe_u32 v26, v22, 16, 7
	v_mov_b32_e32 v24, 0x7c01
	s_mov_b32 s27, exec_lo
	s_delay_alu instid0(VALU_DEP_2)
	v_cmpx_ne_u32_e32 0x7f, v26
	s_cbranch_execz .LBB258_782
; %bb.779:                              ;   in Loop: Header=BB258_561 Depth=1
	v_dual_lshrrev_b32 v25, 3, v26 :: v_dual_bitop2_b32 v24, 7, v12 bitop3:0x40
	s_mov_b32 s28, exec_lo
	v_cmpx_gt_u32_e32 8, v26
; %bb.780:                              ;   in Loop: Header=BB258_561 Depth=1
	s_delay_alu instid0(VALU_DEP_2) | instskip(NEXT) | instid1(VALU_DEP_1)
	v_clz_i32_u32_e32 v24, v24
	v_min_u32_e32 v26, 32, v24
	s_delay_alu instid0(VALU_DEP_1) | instskip(NEXT) | instid1(VALU_DEP_1)
	v_subrev_nc_u32_e32 v24, 28, v26
	v_lshlrev_b64_e32 v[24:25], v24, v[12:13]
	s_delay_alu instid0(VALU_DEP_1)
	v_dual_sub_nc_u32 v25, 29, v26 :: v_dual_bitop2_b32 v24, 7, v24 bitop3:0x40
; %bb.781:                              ;   in Loop: Header=BB258_561 Depth=1
	s_or_b32 exec_lo, exec_lo, s28
	v_lshlrev_b32_e32 v12, 8, v12
	s_delay_alu instid0(VALU_DEP_2) | instskip(NEXT) | instid1(VALU_DEP_3)
	v_lshl_add_u32 v25, v25, 10, 0x2000
	v_lshlrev_b32_e32 v24, 7, v24
	s_delay_alu instid0(VALU_DEP_3) | instskip(NEXT) | instid1(VALU_DEP_3)
	v_and_b32_e32 v12, 0x8000, v12
	v_and_b32_e32 v25, 0xfc00, v25
	s_delay_alu instid0(VALU_DEP_1)
	v_or3_b32 v24, v12, v25, v24
.LBB258_782:                            ;   in Loop: Header=BB258_561 Depth=1
	s_or_b32 exec_lo, exec_lo, s27
.LBB258_783:                            ;   in Loop: Header=BB258_561 Depth=1
	s_delay_alu instid0(SALU_CYCLE_1)
	s_or_b32 exec_lo, exec_lo, s26
.LBB258_784:                            ;   in Loop: Header=BB258_561 Depth=1
	s_delay_alu instid0(SALU_CYCLE_1) | instskip(NEXT) | instid1(SALU_CYCLE_1)
	s_or_b32 exec_lo, exec_lo, s25
	s_mov_b32 s25, exec_lo
	v_cmpx_lt_u32_e32 0xffffff, v22
	s_cbranch_execz .LBB258_792
; %bb.785:                              ;   in Loop: Header=BB258_561 Depth=1
	v_lshrrev_b32_e32 v12, 24, v22
	v_bfrev_b32_e32 v21, 1
	s_mov_b32 s26, exec_lo
	s_delay_alu instid0(VALU_DEP_2)
	v_cmpx_ne_u32_e32 0x80, v12
	s_cbranch_execz .LBB258_791
; %bb.786:                              ;   in Loop: Header=BB258_561 Depth=1
	v_and_b32_e32 v26, 0x7f, v12
	v_mov_b32_e32 v21, 0x7c010000
	s_mov_b32 s27, exec_lo
	s_delay_alu instid0(VALU_DEP_2)
	v_cmpx_ne_u32_e32 0x7f, v26
	s_cbranch_execz .LBB258_790
; %bb.787:                              ;   in Loop: Header=BB258_561 Depth=1
	v_dual_lshrrev_b32 v25, 3, v26 :: v_dual_bitop2_b32 v21, 7, v12 bitop3:0x40
	s_mov_b32 s28, exec_lo
	v_cmpx_gt_u32_e32 8, v26
; %bb.788:                              ;   in Loop: Header=BB258_561 Depth=1
	s_delay_alu instid0(VALU_DEP_2) | instskip(NEXT) | instid1(VALU_DEP_1)
	v_clz_i32_u32_e32 v21, v21
	v_min_u32_e32 v21, 32, v21
	s_delay_alu instid0(VALU_DEP_1) | instskip(NEXT) | instid1(VALU_DEP_1)
	v_subrev_nc_u32_e32 v25, 28, v21
	v_lshlrev_b64_e32 v[26:27], v25, v[12:13]
	s_delay_alu instid0(VALU_DEP_1)
	v_dual_sub_nc_u32 v25, 29, v21 :: v_dual_bitop2_b32 v21, 7, v26 bitop3:0x40
; %bb.789:                              ;   in Loop: Header=BB258_561 Depth=1
	s_or_b32 exec_lo, exec_lo, s28
	s_delay_alu instid0(VALU_DEP_1) | instskip(NEXT) | instid1(VALU_DEP_2)
	v_dual_lshlrev_b32 v12, 8, v12 :: v_dual_lshlrev_b32 v21, 23, v21
	v_lshl_add_u32 v25, v25, 10, 0x2000
	s_delay_alu instid0(VALU_DEP_1) | instskip(NEXT) | instid1(VALU_DEP_1)
	v_and_or_b32 v12, 0x8000, v12, v25
	v_lshl_or_b32 v21, v12, 16, v21
.LBB258_790:                            ;   in Loop: Header=BB258_561 Depth=1
	s_or_b32 exec_lo, exec_lo, s27
.LBB258_791:                            ;   in Loop: Header=BB258_561 Depth=1
	s_delay_alu instid0(SALU_CYCLE_1)
	s_or_b32 exec_lo, exec_lo, s26
.LBB258_792:                            ;   in Loop: Header=BB258_561 Depth=1
	s_delay_alu instid0(SALU_CYCLE_1) | instskip(SKIP_4) | instid1(VALU_DEP_3)
	s_or_b32 exec_lo, exec_lo, s25
	v_and_b32_e32 v27, 0xff, v23
	v_dual_mov_b32 v12, v23 :: v_dual_mov_b32 v26, 0
	v_mov_b32_e32 v25, 0
	s_mov_b32 s25, exec_lo
	v_cmpx_ne_u16_e32 0, v27
	s_cbranch_execz .LBB258_800
; %bb.793:                              ;   in Loop: Header=BB258_561 Depth=1
	v_mov_b32_e32 v25, 0x8000
	s_mov_b32 s26, exec_lo
	v_cmpx_ne_u16_e32 0x80, v27
	s_cbranch_execz .LBB258_799
; %bb.794:                              ;   in Loop: Header=BB258_561 Depth=1
	v_and_b32_e32 v28, 0x7f, v23
	v_mov_b32_e32 v25, 0x7c01
	s_mov_b32 s27, exec_lo
	s_delay_alu instid0(VALU_DEP_2)
	v_cmpx_ne_u32_e32 0x7f, v28
	s_cbranch_execz .LBB258_798
; %bb.795:                              ;   in Loop: Header=BB258_561 Depth=1
	v_dual_lshrrev_b32 v27, 3, v28 :: v_dual_bitop2_b32 v25, 7, v23 bitop3:0x40
	s_mov_b32 s28, exec_lo
	v_cmpx_gt_u32_e32 8, v28
; %bb.796:                              ;   in Loop: Header=BB258_561 Depth=1
	s_delay_alu instid0(VALU_DEP_2) | instskip(NEXT) | instid1(VALU_DEP_1)
	v_clz_i32_u32_e32 v25, v25
	v_min_u32_e32 v25, 32, v25
	s_delay_alu instid0(VALU_DEP_1) | instskip(NEXT) | instid1(VALU_DEP_1)
	v_subrev_nc_u32_e32 v27, 28, v25
	v_lshlrev_b64_e32 v[58:59], v27, v[12:13]
	s_delay_alu instid0(VALU_DEP_1)
	v_dual_sub_nc_u32 v27, 29, v25 :: v_dual_bitop2_b32 v25, 7, v58 bitop3:0x40
; %bb.797:                              ;   in Loop: Header=BB258_561 Depth=1
	s_or_b32 exec_lo, exec_lo, s28
	s_delay_alu instid0(VALU_DEP_1) | instskip(NEXT) | instid1(VALU_DEP_2)
	v_dual_lshlrev_b32 v28, 8, v23 :: v_dual_lshlrev_b32 v25, 7, v25
	v_lshl_add_u32 v27, v27, 10, 0x2000
	s_delay_alu instid0(VALU_DEP_2) | instskip(NEXT) | instid1(VALU_DEP_2)
	v_and_b32_e32 v28, 0x8000, v28
	v_and_b32_e32 v27, 0xfc00, v27
	s_delay_alu instid0(VALU_DEP_1)
	v_or3_b32 v25, v28, v27, v25
.LBB258_798:                            ;   in Loop: Header=BB258_561 Depth=1
	s_or_b32 exec_lo, exec_lo, s27
.LBB258_799:                            ;   in Loop: Header=BB258_561 Depth=1
	s_delay_alu instid0(SALU_CYCLE_1)
	s_or_b32 exec_lo, exec_lo, s26
.LBB258_800:                            ;   in Loop: Header=BB258_561 Depth=1
	s_delay_alu instid0(SALU_CYCLE_1) | instskip(SKIP_3) | instid1(VALU_DEP_2)
	s_or_b32 exec_lo, exec_lo, s25
	v_lshrrev_b16 v12, 8, v12
	v_mov_b32_e32 v27, 0
	s_mov_b32 s25, exec_lo
	v_cmpx_ne_u16_e32 0, v12
	s_cbranch_execz .LBB258_808
; %bb.801:                              ;   in Loop: Header=BB258_561 Depth=1
	v_bfrev_b32_e32 v27, 1
	s_mov_b32 s26, exec_lo
	v_cmpx_ne_u16_e32 0x80, v12
	s_cbranch_execz .LBB258_807
; %bb.802:                              ;   in Loop: Header=BB258_561 Depth=1
	v_and_b32_e32 v28, 0xffff, v12
	v_mov_b32_e32 v27, 0x7c010000
	s_mov_b32 s27, exec_lo
	s_delay_alu instid0(VALU_DEP_2) | instskip(NEXT) | instid1(VALU_DEP_1)
	v_and_b32_e32 v46, 0x7f, v28
	v_cmpx_ne_u32_e32 0x7f, v46
	s_cbranch_execz .LBB258_806
; %bb.803:                              ;   in Loop: Header=BB258_561 Depth=1
	v_dual_lshrrev_b32 v45, 3, v46 :: v_dual_bitop2_b32 v27, 7, v28 bitop3:0x40
	s_mov_b32 s28, exec_lo
	v_cmpx_gt_u32_e32 8, v46
; %bb.804:                              ;   in Loop: Header=BB258_561 Depth=1
	s_delay_alu instid0(VALU_DEP_2) | instskip(NEXT) | instid1(VALU_DEP_1)
	v_clz_i32_u32_e32 v27, v27
	v_min_u32_e32 v27, 32, v27
	s_delay_alu instid0(VALU_DEP_1) | instskip(NEXT) | instid1(VALU_DEP_1)
	v_subrev_nc_u32_e32 v45, 28, v27
	v_lshlrev_b64_e32 v[58:59], v45, v[12:13]
	s_delay_alu instid0(VALU_DEP_1)
	v_dual_sub_nc_u32 v45, 29, v27 :: v_dual_bitop2_b32 v27, 7, v58 bitop3:0x40
; %bb.805:                              ;   in Loop: Header=BB258_561 Depth=1
	s_or_b32 exec_lo, exec_lo, s28
	s_delay_alu instid0(VALU_DEP_1) | instskip(NEXT) | instid1(VALU_DEP_2)
	v_dual_lshlrev_b32 v12, 8, v28 :: v_dual_lshlrev_b32 v27, 23, v27
	v_lshl_add_u32 v28, v45, 10, 0x2000
	s_delay_alu instid0(VALU_DEP_1) | instskip(NEXT) | instid1(VALU_DEP_1)
	v_and_or_b32 v12, 0x8000, v12, v28
	v_lshl_or_b32 v27, v12, 16, v27
.LBB258_806:                            ;   in Loop: Header=BB258_561 Depth=1
	s_or_b32 exec_lo, exec_lo, s27
.LBB258_807:                            ;   in Loop: Header=BB258_561 Depth=1
	s_delay_alu instid0(SALU_CYCLE_1)
	s_or_b32 exec_lo, exec_lo, s26
.LBB258_808:                            ;   in Loop: Header=BB258_561 Depth=1
	s_delay_alu instid0(SALU_CYCLE_1) | instskip(SKIP_2) | instid1(VALU_DEP_1)
	s_or_b32 exec_lo, exec_lo, s25
	v_lshrrev_b32_e32 v12, 16, v23
	s_mov_b32 s25, exec_lo
	v_and_b32_e32 v28, 0xff, v12
	s_delay_alu instid0(VALU_DEP_1)
	v_cmpx_ne_u16_e32 0, v28
	s_cbranch_execz .LBB258_816
; %bb.809:                              ;   in Loop: Header=BB258_561 Depth=1
	v_mov_b32_e32 v26, 0x8000
	s_mov_b32 s26, exec_lo
	v_cmpx_ne_u16_e32 0x80, v28
	s_cbranch_execz .LBB258_815
; %bb.810:                              ;   in Loop: Header=BB258_561 Depth=1
	v_bfe_u32 v45, v23, 16, 7
	v_mov_b32_e32 v26, 0x7c01
	s_mov_b32 s27, exec_lo
	s_delay_alu instid0(VALU_DEP_2)
	v_cmpx_ne_u32_e32 0x7f, v45
	s_cbranch_execz .LBB258_814
; %bb.811:                              ;   in Loop: Header=BB258_561 Depth=1
	v_dual_lshrrev_b32 v28, 3, v45 :: v_dual_bitop2_b32 v26, 7, v12 bitop3:0x40
	s_mov_b32 s28, exec_lo
	v_cmpx_gt_u32_e32 8, v45
; %bb.812:                              ;   in Loop: Header=BB258_561 Depth=1
	s_delay_alu instid0(VALU_DEP_2) | instskip(NEXT) | instid1(VALU_DEP_1)
	v_clz_i32_u32_e32 v26, v26
	v_min_u32_e32 v26, 32, v26
	s_delay_alu instid0(VALU_DEP_1) | instskip(NEXT) | instid1(VALU_DEP_1)
	v_subrev_nc_u32_e32 v28, 28, v26
	v_lshlrev_b64_e32 v[58:59], v28, v[12:13]
	v_sub_nc_u32_e32 v28, 29, v26
	s_delay_alu instid0(VALU_DEP_2)
	v_and_b32_e32 v26, 7, v58
; %bb.813:                              ;   in Loop: Header=BB258_561 Depth=1
	s_or_b32 exec_lo, exec_lo, s28
	s_delay_alu instid0(VALU_DEP_1) | instskip(NEXT) | instid1(VALU_DEP_3)
	v_dual_lshlrev_b32 v12, 8, v12 :: v_dual_lshlrev_b32 v26, 7, v26
	v_lshl_add_u32 v28, v28, 10, 0x2000
	s_delay_alu instid0(VALU_DEP_2) | instskip(NEXT) | instid1(VALU_DEP_2)
	v_and_b32_e32 v12, 0x8000, v12
	v_and_b32_e32 v28, 0xfc00, v28
	s_delay_alu instid0(VALU_DEP_1)
	v_or3_b32 v26, v12, v28, v26
.LBB258_814:                            ;   in Loop: Header=BB258_561 Depth=1
	s_or_b32 exec_lo, exec_lo, s27
.LBB258_815:                            ;   in Loop: Header=BB258_561 Depth=1
	s_delay_alu instid0(SALU_CYCLE_1)
	s_or_b32 exec_lo, exec_lo, s26
.LBB258_816:                            ;   in Loop: Header=BB258_561 Depth=1
	s_delay_alu instid0(SALU_CYCLE_1)
	s_or_b32 exec_lo, exec_lo, s25
	v_cmp_lt_u64_e64 s0, s[8:9], v[22:23]
	v_mov_b32_e32 v22, 0
	s_and_saveexec_b32 s25, s0
	s_cbranch_execz .LBB258_824
; %bb.817:                              ;   in Loop: Header=BB258_561 Depth=1
	v_lshrrev_b32_e32 v12, 24, v23
	v_bfrev_b32_e32 v22, 1
	s_mov_b32 s26, exec_lo
	s_delay_alu instid0(VALU_DEP_2)
	v_cmpx_ne_u32_e32 0x80, v12
	s_cbranch_execz .LBB258_823
; %bb.818:                              ;   in Loop: Header=BB258_561 Depth=1
	v_and_b32_e32 v28, 0x7f, v12
	v_mov_b32_e32 v22, 0x7c010000
	s_mov_b32 s27, exec_lo
	s_delay_alu instid0(VALU_DEP_2)
	v_cmpx_ne_u32_e32 0x7f, v28
	s_cbranch_execz .LBB258_822
; %bb.819:                              ;   in Loop: Header=BB258_561 Depth=1
	v_and_b32_e32 v22, 7, v12
	v_lshrrev_b32_e32 v23, 3, v28
	s_mov_b32 s28, exec_lo
	v_cmpx_gt_u32_e32 8, v28
; %bb.820:                              ;   in Loop: Header=BB258_561 Depth=1
	s_delay_alu instid0(VALU_DEP_3) | instskip(NEXT) | instid1(VALU_DEP_1)
	v_clz_i32_u32_e32 v22, v22
	v_min_u32_e32 v28, 32, v22
	s_delay_alu instid0(VALU_DEP_1) | instskip(NEXT) | instid1(VALU_DEP_1)
	v_subrev_nc_u32_e32 v22, 28, v28
	v_lshlrev_b64_e32 v[22:23], v22, v[12:13]
	s_delay_alu instid0(VALU_DEP_1)
	v_dual_sub_nc_u32 v23, 29, v28 :: v_dual_bitop2_b32 v22, 7, v22 bitop3:0x40
; %bb.821:                              ;   in Loop: Header=BB258_561 Depth=1
	s_or_b32 exec_lo, exec_lo, s28
	s_delay_alu instid0(VALU_DEP_1) | instskip(NEXT) | instid1(VALU_DEP_2)
	v_dual_lshlrev_b32 v12, 8, v12 :: v_dual_lshlrev_b32 v22, 23, v22
	v_lshl_add_u32 v23, v23, 10, 0x2000
	s_delay_alu instid0(VALU_DEP_1) | instskip(NEXT) | instid1(VALU_DEP_1)
	v_and_or_b32 v12, 0x8000, v12, v23
	v_lshl_or_b32 v22, v12, 16, v22
.LBB258_822:                            ;   in Loop: Header=BB258_561 Depth=1
	s_or_b32 exec_lo, exec_lo, s27
.LBB258_823:                            ;   in Loop: Header=BB258_561 Depth=1
	s_delay_alu instid0(SALU_CYCLE_1)
	s_or_b32 exec_lo, exec_lo, s26
.LBB258_824:                            ;   in Loop: Header=BB258_561 Depth=1
	s_delay_alu instid0(SALU_CYCLE_1) | instskip(SKIP_3) | instid1(VALU_DEP_3)
	s_or_b32 exec_lo, exec_lo, s25
	v_dual_lshrrev_b32 v12, 16, v1 :: v_dual_bitop2_b32 v1, v1, v3 bitop3:0x54
	v_dual_lshrrev_b32 v23, 16, v21 :: v_dual_bitop2_b32 v3, v21, v24 bitop3:0x54
	v_lshrrev_b32_e32 v24, 16, v22
	v_cvt_f32_f16_e32 v59, v12
	v_dual_lshrrev_b32 v21, 16, v27 :: v_dual_bitop2_b32 v12, v22, v26 bitop3:0x54
	s_delay_alu instid0(VALU_DEP_4)
	v_cvt_f32_f16_e32 v58, v23
	v_cvt_f32_f16_e32 v22, v3
	v_or_b32_e32 v3, v27, v25
	v_cvt_f32_f16_e32 v23, v1
	v_cvt_f32_f16_e32 v25, v21
	s_wait_loadcnt 0x0
	v_pk_mul_f32 v[58:59], v[20:21], v[58:59] op_sel_hi:[0,1]
	v_cvt_f32_f16_e32 v24, v24
	v_cvt_f32_f16_e32 v26, v12
	;; [unrolled: 1-line block ×3, first 2 shown]
	v_pk_mul_f32 v[22:23], v[20:21], v[22:23] op_sel_hi:[0,1]
	v_cvt_pk_f16_f32 v1, v58, v59
	v_pk_mul_f32 v[24:25], v[20:21], v[24:25] op_sel_hi:[0,1]
	s_delay_alu instid0(VALU_DEP_4) | instskip(NEXT) | instid1(VALU_DEP_4)
	v_pk_mul_f32 v[26:27], v[20:21], v[26:27] op_sel_hi:[0,1]
	v_cvt_pk_f16_f32 v3, v22, v23
	s_delay_alu instid0(VALU_DEP_4) | instskip(NEXT) | instid1(VALU_DEP_4)
	v_and_b32_e32 v21, 0xffff0000, v1
	v_cvt_pk_f16_f32 v12, v24, v25
	v_lshlrev_b32_e32 v22, 16, v1
	v_cvt_pk_f16_f32 v20, v26, v27
	v_lshrrev_b32_e32 v27, 16, v3
	v_and_b32_e32 v28, 0xffff, v3
	v_and_b32_e32 v1, 0xffff0000, v12
	s_delay_alu instid0(VALU_DEP_3) | instskip(SKIP_3) | instid1(VALU_DEP_2)
	v_dual_lshlrev_b32 v12, 16, v12 :: v_dual_bitop2_b32 v25, v21, v27 bitop3:0x54
	v_lshrrev_b32_e32 v3, 16, v20
	v_and_b32_e32 v20, 0xffff, v20
	v_or_b32_e32 v26, v22, v28
	v_or_b32_e32 v24, v12, v20
	s_delay_alu instid0(VALU_DEP_4)
	v_or_b32_e32 v23, v1, v3
	s_and_saveexec_b32 s25, vcc_lo
	s_cbranch_execz .LBB258_826
; %bb.825:                              ;   in Loop: Header=BB258_561 Depth=1
	v_cmp_gt_i32_e64 s0, s18, v37
	s_delay_alu instid0(VALU_DEP_1) | instskip(SKIP_1) | instid1(VALU_DEP_1)
	v_cndmask_b32_e64 v23, 0, v27, s0
	v_cmp_gt_i32_e64 s0, s34, v44
	v_cndmask_b32_e64 v24, 0, v28, s0
	v_cmp_gt_i32_e64 s0, s18, v43
	s_delay_alu instid0(VALU_DEP_1) | instskip(SKIP_1) | instid1(VALU_DEP_1)
	v_cndmask_b32_e64 v21, 0, v21, s0
	v_cmp_gt_i32_e64 s0, s34, v42
	v_cndmask_b32_e64 v22, 0, v22, s0
	v_cmp_gt_i32_e64 s0, s18, v41
	s_delay_alu instid0(VALU_DEP_4) | instskip(NEXT) | instid1(VALU_DEP_2)
	v_or_b32_e32 v25, v21, v23
	v_dual_cndmask_b32 v3, 0, v3, s0 :: v_dual_bitop2_b32 v26, v22, v24 bitop3:0x54
	v_cmp_gt_i32_e64 s0, s34, v40
	s_delay_alu instid0(VALU_DEP_1) | instskip(SKIP_1) | instid1(VALU_DEP_1)
	v_cndmask_b32_e64 v20, 0, v20, s0
	v_cmp_gt_i32_e64 s0, s18, v39
	v_cndmask_b32_e64 v1, 0, v1, s0
	v_cmp_gt_i32_e64 s0, s34, v38
	s_delay_alu instid0(VALU_DEP_1) | instskip(NEXT) | instid1(VALU_DEP_1)
	v_dual_cndmask_b32 v12, 0, v12, s0 :: v_dual_bitop2_b32 v23, v1, v3 bitop3:0x54
	v_or_b32_e32 v24, v12, v20
.LBB258_826:                            ;   in Loop: Header=BB258_561 Depth=1
	s_or_b32 exec_lo, exec_lo, s25
	;;#ASMSTART
	v_pk_mul_f16 v1, v51, v25;

	;;#ASMEND
	;;#ASMSTART
	v_pk_mul_f16 v3, v49, v26;

	;;#ASMEND
	;; [unrolled: 4-line block ×4, first 2 shown]
	;;#ASMSTART
	v_pk_add_f16 v1, v1, v3;

	;;#ASMEND
	;;#ASMSTART
	v_pk_add_f16 v1, v1, v12;

	;;#ASMEND
	;; [unrolled: 4-line block ×3, first 2 shown]
	v_and_b32_e32 v3, 0xffff, v1
	v_lshrrev_b32_e32 v1, 16, v1
	;;#ASMSTART
	v_cvt_f32_f16 v57, v3;
	;;#ASMEND
	v_mov_b32_e32 v3, 0
	;;#ASMSTART
	v_cvt_f32_f16 v58, v1;
	;;#ASMEND
	global_load_b64 v[22:23], v[18:19], off offset:1024
	v_mov_b32_e32 v1, 0
	s_mov_b32 s25, exec_lo
	global_load_b32 v20, v1, s[10:11]
	s_wait_loadcnt 0x1
	v_and_b32_e32 v12, 0xff, v22
	s_wait_xcnt 0x0
	s_delay_alu instid0(VALU_DEP_1)
	v_cmpx_ne_u16_e32 0, v12
	s_cbranch_execz .LBB258_834
; %bb.827:                              ;   in Loop: Header=BB258_561 Depth=1
	v_mov_b32_e32 v3, 0x8000
	s_mov_b32 s26, exec_lo
	v_cmpx_ne_u16_e32 0x80, v12
	s_cbranch_execz .LBB258_833
; %bb.828:                              ;   in Loop: Header=BB258_561 Depth=1
	v_and_b32_e32 v21, 0x7f, v22
	v_mov_b32_e32 v3, 0x7c01
	s_mov_b32 s27, exec_lo
	s_delay_alu instid0(VALU_DEP_2)
	v_cmpx_ne_u32_e32 0x7f, v21
	s_cbranch_execz .LBB258_832
; %bb.829:                              ;   in Loop: Header=BB258_561 Depth=1
	v_dual_lshrrev_b32 v12, 3, v21 :: v_dual_bitop2_b32 v3, 7, v22 bitop3:0x40
	s_mov_b32 s28, exec_lo
	v_cmpx_gt_u32_e32 8, v21
; %bb.830:                              ;   in Loop: Header=BB258_561 Depth=1
	s_delay_alu instid0(VALU_DEP_2) | instskip(NEXT) | instid1(VALU_DEP_1)
	v_clz_i32_u32_e32 v3, v3
	v_min_u32_e32 v3, 32, v3
	s_delay_alu instid0(VALU_DEP_1) | instskip(NEXT) | instid1(VALU_DEP_1)
	v_subrev_nc_u32_e32 v12, 28, v3
	v_lshlrev_b64_e32 v[24:25], v12, v[22:23]
	s_delay_alu instid0(VALU_DEP_1)
	v_dual_sub_nc_u32 v12, 29, v3 :: v_dual_bitop2_b32 v3, 7, v24 bitop3:0x40
; %bb.831:                              ;   in Loop: Header=BB258_561 Depth=1
	s_or_b32 exec_lo, exec_lo, s28
	s_delay_alu instid0(VALU_DEP_1) | instskip(NEXT) | instid1(VALU_DEP_2)
	v_dual_lshlrev_b32 v21, 8, v22 :: v_dual_lshlrev_b32 v3, 7, v3
	v_lshl_add_u32 v12, v12, 10, 0x2000
	s_delay_alu instid0(VALU_DEP_2) | instskip(NEXT) | instid1(VALU_DEP_2)
	v_and_b32_e32 v21, 0x8000, v21
	v_and_b32_e32 v12, 0xfc00, v12
	s_delay_alu instid0(VALU_DEP_1)
	v_or3_b32 v3, v21, v12, v3
.LBB258_832:                            ;   in Loop: Header=BB258_561 Depth=1
	s_or_b32 exec_lo, exec_lo, s27
.LBB258_833:                            ;   in Loop: Header=BB258_561 Depth=1
	s_delay_alu instid0(SALU_CYCLE_1)
	s_or_b32 exec_lo, exec_lo, s26
.LBB258_834:                            ;   in Loop: Header=BB258_561 Depth=1
	s_delay_alu instid0(SALU_CYCLE_1) | instskip(SKIP_2) | instid1(VALU_DEP_1)
	s_or_b32 exec_lo, exec_lo, s25
	v_lshrrev_b16 v12, 8, v22
	s_mov_b32 s25, exec_lo
	v_cmpx_ne_u16_e32 0, v12
	s_cbranch_execz .LBB258_842
; %bb.835:                              ;   in Loop: Header=BB258_561 Depth=1
	v_bfrev_b32_e32 v1, 1
	s_mov_b32 s26, exec_lo
	v_cmpx_ne_u16_e32 0x80, v12
	s_cbranch_execz .LBB258_841
; %bb.836:                              ;   in Loop: Header=BB258_561 Depth=1
	v_and_b32_e32 v21, 0xffff, v12
	v_mov_b32_e32 v1, 0x7c010000
	s_mov_b32 s27, exec_lo
	s_delay_alu instid0(VALU_DEP_2) | instskip(NEXT) | instid1(VALU_DEP_1)
	v_and_b32_e32 v25, 0x7f, v21
	v_cmpx_ne_u32_e32 0x7f, v25
	s_cbranch_execz .LBB258_840
; %bb.837:                              ;   in Loop: Header=BB258_561 Depth=1
	v_and_b32_e32 v1, 7, v21
	v_lshrrev_b32_e32 v24, 3, v25
	s_mov_b32 s28, exec_lo
	v_cmpx_gt_u32_e32 8, v25
; %bb.838:                              ;   in Loop: Header=BB258_561 Depth=1
	s_delay_alu instid0(VALU_DEP_3) | instskip(NEXT) | instid1(VALU_DEP_1)
	v_clz_i32_u32_e32 v1, v1
	v_min_u32_e32 v1, 32, v1
	s_delay_alu instid0(VALU_DEP_1) | instskip(NEXT) | instid1(VALU_DEP_1)
	v_subrev_nc_u32_e32 v24, 28, v1
	v_lshlrev_b64_e32 v[26:27], v24, v[12:13]
	s_delay_alu instid0(VALU_DEP_1)
	v_dual_sub_nc_u32 v24, 29, v1 :: v_dual_bitop2_b32 v1, 7, v26 bitop3:0x40
; %bb.839:                              ;   in Loop: Header=BB258_561 Depth=1
	s_or_b32 exec_lo, exec_lo, s28
	v_lshlrev_b32_e32 v12, 8, v21
	s_delay_alu instid0(VALU_DEP_2) | instskip(NEXT) | instid1(VALU_DEP_3)
	v_lshl_add_u32 v21, v24, 10, 0x2000
	v_lshlrev_b32_e32 v1, 23, v1
	s_delay_alu instid0(VALU_DEP_2) | instskip(NEXT) | instid1(VALU_DEP_1)
	v_and_or_b32 v12, 0x8000, v12, v21
	v_lshl_or_b32 v1, v12, 16, v1
.LBB258_840:                            ;   in Loop: Header=BB258_561 Depth=1
	s_or_b32 exec_lo, exec_lo, s27
.LBB258_841:                            ;   in Loop: Header=BB258_561 Depth=1
	s_delay_alu instid0(SALU_CYCLE_1)
	s_or_b32 exec_lo, exec_lo, s26
.LBB258_842:                            ;   in Loop: Header=BB258_561 Depth=1
	s_delay_alu instid0(SALU_CYCLE_1) | instskip(SKIP_3) | instid1(VALU_DEP_2)
	s_or_b32 exec_lo, exec_lo, s25
	v_dual_mov_b32 v21, 0 :: v_dual_lshrrev_b32 v12, 16, v22
	v_mov_b32_e32 v24, 0
	s_mov_b32 s25, exec_lo
	v_and_b32_e32 v25, 0xff, v12
	s_delay_alu instid0(VALU_DEP_1)
	v_cmpx_ne_u16_e32 0, v25
	s_cbranch_execz .LBB258_850
; %bb.843:                              ;   in Loop: Header=BB258_561 Depth=1
	v_mov_b32_e32 v24, 0x8000
	s_mov_b32 s26, exec_lo
	v_cmpx_ne_u16_e32 0x80, v25
	s_cbranch_execz .LBB258_849
; %bb.844:                              ;   in Loop: Header=BB258_561 Depth=1
	v_bfe_u32 v26, v22, 16, 7
	v_mov_b32_e32 v24, 0x7c01
	s_mov_b32 s27, exec_lo
	s_delay_alu instid0(VALU_DEP_2)
	v_cmpx_ne_u32_e32 0x7f, v26
	s_cbranch_execz .LBB258_848
; %bb.845:                              ;   in Loop: Header=BB258_561 Depth=1
	v_dual_lshrrev_b32 v25, 3, v26 :: v_dual_bitop2_b32 v24, 7, v12 bitop3:0x40
	s_mov_b32 s28, exec_lo
	v_cmpx_gt_u32_e32 8, v26
; %bb.846:                              ;   in Loop: Header=BB258_561 Depth=1
	s_delay_alu instid0(VALU_DEP_2) | instskip(NEXT) | instid1(VALU_DEP_1)
	v_clz_i32_u32_e32 v24, v24
	v_min_u32_e32 v26, 32, v24
	s_delay_alu instid0(VALU_DEP_1) | instskip(NEXT) | instid1(VALU_DEP_1)
	v_subrev_nc_u32_e32 v24, 28, v26
	v_lshlrev_b64_e32 v[24:25], v24, v[12:13]
	s_delay_alu instid0(VALU_DEP_1)
	v_dual_sub_nc_u32 v25, 29, v26 :: v_dual_bitop2_b32 v24, 7, v24 bitop3:0x40
; %bb.847:                              ;   in Loop: Header=BB258_561 Depth=1
	s_or_b32 exec_lo, exec_lo, s28
	v_lshlrev_b32_e32 v12, 8, v12
	s_delay_alu instid0(VALU_DEP_2) | instskip(NEXT) | instid1(VALU_DEP_3)
	v_lshl_add_u32 v25, v25, 10, 0x2000
	v_lshlrev_b32_e32 v24, 7, v24
	s_delay_alu instid0(VALU_DEP_3) | instskip(NEXT) | instid1(VALU_DEP_3)
	v_and_b32_e32 v12, 0x8000, v12
	v_and_b32_e32 v25, 0xfc00, v25
	s_delay_alu instid0(VALU_DEP_1)
	v_or3_b32 v24, v12, v25, v24
.LBB258_848:                            ;   in Loop: Header=BB258_561 Depth=1
	s_or_b32 exec_lo, exec_lo, s27
.LBB258_849:                            ;   in Loop: Header=BB258_561 Depth=1
	s_delay_alu instid0(SALU_CYCLE_1)
	s_or_b32 exec_lo, exec_lo, s26
.LBB258_850:                            ;   in Loop: Header=BB258_561 Depth=1
	s_delay_alu instid0(SALU_CYCLE_1) | instskip(NEXT) | instid1(SALU_CYCLE_1)
	s_or_b32 exec_lo, exec_lo, s25
	s_mov_b32 s25, exec_lo
	v_cmpx_lt_u32_e32 0xffffff, v22
	s_cbranch_execz .LBB258_858
; %bb.851:                              ;   in Loop: Header=BB258_561 Depth=1
	v_lshrrev_b32_e32 v12, 24, v22
	v_bfrev_b32_e32 v21, 1
	s_mov_b32 s26, exec_lo
	s_delay_alu instid0(VALU_DEP_2)
	v_cmpx_ne_u32_e32 0x80, v12
	s_cbranch_execz .LBB258_857
; %bb.852:                              ;   in Loop: Header=BB258_561 Depth=1
	v_and_b32_e32 v26, 0x7f, v12
	v_mov_b32_e32 v21, 0x7c010000
	s_mov_b32 s27, exec_lo
	s_delay_alu instid0(VALU_DEP_2)
	v_cmpx_ne_u32_e32 0x7f, v26
	s_cbranch_execz .LBB258_856
; %bb.853:                              ;   in Loop: Header=BB258_561 Depth=1
	v_dual_lshrrev_b32 v25, 3, v26 :: v_dual_bitop2_b32 v21, 7, v12 bitop3:0x40
	s_mov_b32 s28, exec_lo
	v_cmpx_gt_u32_e32 8, v26
; %bb.854:                              ;   in Loop: Header=BB258_561 Depth=1
	s_delay_alu instid0(VALU_DEP_2) | instskip(NEXT) | instid1(VALU_DEP_1)
	v_clz_i32_u32_e32 v21, v21
	v_min_u32_e32 v21, 32, v21
	s_delay_alu instid0(VALU_DEP_1) | instskip(NEXT) | instid1(VALU_DEP_1)
	v_subrev_nc_u32_e32 v25, 28, v21
	v_lshlrev_b64_e32 v[26:27], v25, v[12:13]
	s_delay_alu instid0(VALU_DEP_1)
	v_dual_sub_nc_u32 v25, 29, v21 :: v_dual_bitop2_b32 v21, 7, v26 bitop3:0x40
; %bb.855:                              ;   in Loop: Header=BB258_561 Depth=1
	s_or_b32 exec_lo, exec_lo, s28
	s_delay_alu instid0(VALU_DEP_1) | instskip(NEXT) | instid1(VALU_DEP_2)
	v_dual_lshlrev_b32 v12, 8, v12 :: v_dual_lshlrev_b32 v21, 23, v21
	v_lshl_add_u32 v25, v25, 10, 0x2000
	s_delay_alu instid0(VALU_DEP_1) | instskip(NEXT) | instid1(VALU_DEP_1)
	v_and_or_b32 v12, 0x8000, v12, v25
	v_lshl_or_b32 v21, v12, 16, v21
.LBB258_856:                            ;   in Loop: Header=BB258_561 Depth=1
	s_or_b32 exec_lo, exec_lo, s27
.LBB258_857:                            ;   in Loop: Header=BB258_561 Depth=1
	s_delay_alu instid0(SALU_CYCLE_1)
	s_or_b32 exec_lo, exec_lo, s26
.LBB258_858:                            ;   in Loop: Header=BB258_561 Depth=1
	s_delay_alu instid0(SALU_CYCLE_1) | instskip(SKIP_4) | instid1(VALU_DEP_3)
	s_or_b32 exec_lo, exec_lo, s25
	v_and_b32_e32 v27, 0xff, v23
	v_dual_mov_b32 v12, v23 :: v_dual_mov_b32 v26, 0
	v_mov_b32_e32 v25, 0
	s_mov_b32 s25, exec_lo
	v_cmpx_ne_u16_e32 0, v27
	s_cbranch_execz .LBB258_866
; %bb.859:                              ;   in Loop: Header=BB258_561 Depth=1
	v_mov_b32_e32 v25, 0x8000
	s_mov_b32 s26, exec_lo
	v_cmpx_ne_u16_e32 0x80, v27
	s_cbranch_execz .LBB258_865
; %bb.860:                              ;   in Loop: Header=BB258_561 Depth=1
	v_and_b32_e32 v28, 0x7f, v23
	v_mov_b32_e32 v25, 0x7c01
	s_mov_b32 s27, exec_lo
	s_delay_alu instid0(VALU_DEP_2)
	v_cmpx_ne_u32_e32 0x7f, v28
	s_cbranch_execz .LBB258_864
; %bb.861:                              ;   in Loop: Header=BB258_561 Depth=1
	v_dual_lshrrev_b32 v27, 3, v28 :: v_dual_bitop2_b32 v25, 7, v23 bitop3:0x40
	s_mov_b32 s28, exec_lo
	v_cmpx_gt_u32_e32 8, v28
; %bb.862:                              ;   in Loop: Header=BB258_561 Depth=1
	s_delay_alu instid0(VALU_DEP_2) | instskip(NEXT) | instid1(VALU_DEP_1)
	v_clz_i32_u32_e32 v25, v25
	v_min_u32_e32 v25, 32, v25
	s_delay_alu instid0(VALU_DEP_1) | instskip(NEXT) | instid1(VALU_DEP_1)
	v_subrev_nc_u32_e32 v27, 28, v25
	v_lshlrev_b64_e32 v[60:61], v27, v[12:13]
	s_delay_alu instid0(VALU_DEP_1)
	v_dual_sub_nc_u32 v27, 29, v25 :: v_dual_bitop2_b32 v25, 7, v60 bitop3:0x40
; %bb.863:                              ;   in Loop: Header=BB258_561 Depth=1
	s_or_b32 exec_lo, exec_lo, s28
	s_delay_alu instid0(VALU_DEP_1) | instskip(NEXT) | instid1(VALU_DEP_2)
	v_dual_lshlrev_b32 v28, 8, v23 :: v_dual_lshlrev_b32 v25, 7, v25
	v_lshl_add_u32 v27, v27, 10, 0x2000
	s_delay_alu instid0(VALU_DEP_2) | instskip(NEXT) | instid1(VALU_DEP_2)
	v_and_b32_e32 v28, 0x8000, v28
	v_and_b32_e32 v27, 0xfc00, v27
	s_delay_alu instid0(VALU_DEP_1)
	v_or3_b32 v25, v28, v27, v25
.LBB258_864:                            ;   in Loop: Header=BB258_561 Depth=1
	s_or_b32 exec_lo, exec_lo, s27
.LBB258_865:                            ;   in Loop: Header=BB258_561 Depth=1
	s_delay_alu instid0(SALU_CYCLE_1)
	s_or_b32 exec_lo, exec_lo, s26
.LBB258_866:                            ;   in Loop: Header=BB258_561 Depth=1
	s_delay_alu instid0(SALU_CYCLE_1) | instskip(SKIP_3) | instid1(VALU_DEP_2)
	s_or_b32 exec_lo, exec_lo, s25
	v_lshrrev_b16 v12, 8, v12
	v_mov_b32_e32 v27, 0
	s_mov_b32 s25, exec_lo
	v_cmpx_ne_u16_e32 0, v12
	s_cbranch_execz .LBB258_874
; %bb.867:                              ;   in Loop: Header=BB258_561 Depth=1
	v_bfrev_b32_e32 v27, 1
	s_mov_b32 s26, exec_lo
	v_cmpx_ne_u16_e32 0x80, v12
	s_cbranch_execz .LBB258_873
; %bb.868:                              ;   in Loop: Header=BB258_561 Depth=1
	v_and_b32_e32 v28, 0xffff, v12
	v_mov_b32_e32 v27, 0x7c010000
	s_mov_b32 s27, exec_lo
	s_delay_alu instid0(VALU_DEP_2) | instskip(NEXT) | instid1(VALU_DEP_1)
	v_and_b32_e32 v46, 0x7f, v28
	v_cmpx_ne_u32_e32 0x7f, v46
	s_cbranch_execz .LBB258_872
; %bb.869:                              ;   in Loop: Header=BB258_561 Depth=1
	v_dual_lshrrev_b32 v45, 3, v46 :: v_dual_bitop2_b32 v27, 7, v28 bitop3:0x40
	s_mov_b32 s28, exec_lo
	v_cmpx_gt_u32_e32 8, v46
; %bb.870:                              ;   in Loop: Header=BB258_561 Depth=1
	s_delay_alu instid0(VALU_DEP_2) | instskip(NEXT) | instid1(VALU_DEP_1)
	v_clz_i32_u32_e32 v27, v27
	v_min_u32_e32 v27, 32, v27
	s_delay_alu instid0(VALU_DEP_1) | instskip(NEXT) | instid1(VALU_DEP_1)
	v_subrev_nc_u32_e32 v45, 28, v27
	v_lshlrev_b64_e32 v[60:61], v45, v[12:13]
	s_delay_alu instid0(VALU_DEP_1)
	v_dual_sub_nc_u32 v45, 29, v27 :: v_dual_bitop2_b32 v27, 7, v60 bitop3:0x40
; %bb.871:                              ;   in Loop: Header=BB258_561 Depth=1
	s_or_b32 exec_lo, exec_lo, s28
	s_delay_alu instid0(VALU_DEP_1) | instskip(NEXT) | instid1(VALU_DEP_2)
	v_dual_lshlrev_b32 v12, 8, v28 :: v_dual_lshlrev_b32 v27, 23, v27
	v_lshl_add_u32 v28, v45, 10, 0x2000
	s_delay_alu instid0(VALU_DEP_1) | instskip(NEXT) | instid1(VALU_DEP_1)
	v_and_or_b32 v12, 0x8000, v12, v28
	v_lshl_or_b32 v27, v12, 16, v27
.LBB258_872:                            ;   in Loop: Header=BB258_561 Depth=1
	s_or_b32 exec_lo, exec_lo, s27
.LBB258_873:                            ;   in Loop: Header=BB258_561 Depth=1
	s_delay_alu instid0(SALU_CYCLE_1)
	s_or_b32 exec_lo, exec_lo, s26
.LBB258_874:                            ;   in Loop: Header=BB258_561 Depth=1
	s_delay_alu instid0(SALU_CYCLE_1) | instskip(SKIP_2) | instid1(VALU_DEP_1)
	s_or_b32 exec_lo, exec_lo, s25
	v_lshrrev_b32_e32 v12, 16, v23
	s_mov_b32 s25, exec_lo
	v_and_b32_e32 v28, 0xff, v12
	s_delay_alu instid0(VALU_DEP_1)
	v_cmpx_ne_u16_e32 0, v28
	s_cbranch_execz .LBB258_882
; %bb.875:                              ;   in Loop: Header=BB258_561 Depth=1
	v_mov_b32_e32 v26, 0x8000
	s_mov_b32 s26, exec_lo
	v_cmpx_ne_u16_e32 0x80, v28
	s_cbranch_execz .LBB258_881
; %bb.876:                              ;   in Loop: Header=BB258_561 Depth=1
	v_bfe_u32 v45, v23, 16, 7
	v_mov_b32_e32 v26, 0x7c01
	s_mov_b32 s27, exec_lo
	s_delay_alu instid0(VALU_DEP_2)
	v_cmpx_ne_u32_e32 0x7f, v45
	s_cbranch_execz .LBB258_880
; %bb.877:                              ;   in Loop: Header=BB258_561 Depth=1
	v_dual_lshrrev_b32 v28, 3, v45 :: v_dual_bitop2_b32 v26, 7, v12 bitop3:0x40
	s_mov_b32 s28, exec_lo
	v_cmpx_gt_u32_e32 8, v45
; %bb.878:                              ;   in Loop: Header=BB258_561 Depth=1
	s_delay_alu instid0(VALU_DEP_2) | instskip(NEXT) | instid1(VALU_DEP_1)
	v_clz_i32_u32_e32 v26, v26
	v_min_u32_e32 v26, 32, v26
	s_delay_alu instid0(VALU_DEP_1) | instskip(NEXT) | instid1(VALU_DEP_1)
	v_subrev_nc_u32_e32 v28, 28, v26
	v_lshlrev_b64_e32 v[60:61], v28, v[12:13]
	s_delay_alu instid0(VALU_DEP_1)
	v_dual_sub_nc_u32 v28, 29, v26 :: v_dual_bitop2_b32 v26, 7, v60 bitop3:0x40
; %bb.879:                              ;   in Loop: Header=BB258_561 Depth=1
	s_or_b32 exec_lo, exec_lo, s28
	s_delay_alu instid0(VALU_DEP_1) | instskip(NEXT) | instid1(VALU_DEP_2)
	v_dual_lshlrev_b32 v12, 8, v12 :: v_dual_lshlrev_b32 v26, 7, v26
	v_lshl_add_u32 v28, v28, 10, 0x2000
	s_delay_alu instid0(VALU_DEP_2) | instskip(NEXT) | instid1(VALU_DEP_2)
	v_and_b32_e32 v12, 0x8000, v12
	v_and_b32_e32 v28, 0xfc00, v28
	s_delay_alu instid0(VALU_DEP_1)
	v_or3_b32 v26, v12, v28, v26
.LBB258_880:                            ;   in Loop: Header=BB258_561 Depth=1
	s_or_b32 exec_lo, exec_lo, s27
.LBB258_881:                            ;   in Loop: Header=BB258_561 Depth=1
	s_delay_alu instid0(SALU_CYCLE_1)
	s_or_b32 exec_lo, exec_lo, s26
.LBB258_882:                            ;   in Loop: Header=BB258_561 Depth=1
	s_delay_alu instid0(SALU_CYCLE_1)
	s_or_b32 exec_lo, exec_lo, s25
	v_cmp_lt_u64_e64 s0, s[8:9], v[22:23]
	v_mov_b32_e32 v22, 0
	s_and_saveexec_b32 s25, s0
	s_cbranch_execz .LBB258_890
; %bb.883:                              ;   in Loop: Header=BB258_561 Depth=1
	v_lshrrev_b32_e32 v12, 24, v23
	v_bfrev_b32_e32 v22, 1
	s_mov_b32 s26, exec_lo
	s_delay_alu instid0(VALU_DEP_2)
	v_cmpx_ne_u32_e32 0x80, v12
	s_cbranch_execz .LBB258_889
; %bb.884:                              ;   in Loop: Header=BB258_561 Depth=1
	v_and_b32_e32 v28, 0x7f, v12
	v_mov_b32_e32 v22, 0x7c010000
	s_mov_b32 s27, exec_lo
	s_delay_alu instid0(VALU_DEP_2)
	v_cmpx_ne_u32_e32 0x7f, v28
	s_cbranch_execz .LBB258_888
; %bb.885:                              ;   in Loop: Header=BB258_561 Depth=1
	v_and_b32_e32 v22, 7, v12
	v_lshrrev_b32_e32 v23, 3, v28
	s_mov_b32 s28, exec_lo
	v_cmpx_gt_u32_e32 8, v28
; %bb.886:                              ;   in Loop: Header=BB258_561 Depth=1
	s_delay_alu instid0(VALU_DEP_3) | instskip(NEXT) | instid1(VALU_DEP_1)
	v_clz_i32_u32_e32 v22, v22
	v_min_u32_e32 v28, 32, v22
	s_delay_alu instid0(VALU_DEP_1) | instskip(NEXT) | instid1(VALU_DEP_1)
	v_subrev_nc_u32_e32 v22, 28, v28
	v_lshlrev_b64_e32 v[22:23], v22, v[12:13]
	s_delay_alu instid0(VALU_DEP_1)
	v_dual_sub_nc_u32 v23, 29, v28 :: v_dual_bitop2_b32 v22, 7, v22 bitop3:0x40
; %bb.887:                              ;   in Loop: Header=BB258_561 Depth=1
	s_or_b32 exec_lo, exec_lo, s28
	s_delay_alu instid0(VALU_DEP_1) | instskip(NEXT) | instid1(VALU_DEP_2)
	v_dual_lshlrev_b32 v12, 8, v12 :: v_dual_lshlrev_b32 v22, 23, v22
	v_lshl_add_u32 v23, v23, 10, 0x2000
	s_delay_alu instid0(VALU_DEP_1) | instskip(NEXT) | instid1(VALU_DEP_1)
	v_and_or_b32 v12, 0x8000, v12, v23
	v_lshl_or_b32 v22, v12, 16, v22
.LBB258_888:                            ;   in Loop: Header=BB258_561 Depth=1
	s_or_b32 exec_lo, exec_lo, s27
.LBB258_889:                            ;   in Loop: Header=BB258_561 Depth=1
	s_delay_alu instid0(SALU_CYCLE_1)
	s_or_b32 exec_lo, exec_lo, s26
.LBB258_890:                            ;   in Loop: Header=BB258_561 Depth=1
	s_delay_alu instid0(SALU_CYCLE_1) | instskip(SKIP_3) | instid1(VALU_DEP_3)
	s_or_b32 exec_lo, exec_lo, s25
	v_dual_lshrrev_b32 v12, 16, v1 :: v_dual_bitop2_b32 v1, v1, v3 bitop3:0x54
	v_dual_lshrrev_b32 v23, 16, v21 :: v_dual_bitop2_b32 v3, v21, v24 bitop3:0x54
	v_lshrrev_b32_e32 v24, 16, v22
	v_cvt_f32_f16_e32 v61, v12
	v_dual_lshrrev_b32 v21, 16, v27 :: v_dual_bitop2_b32 v12, v22, v26 bitop3:0x54
	s_delay_alu instid0(VALU_DEP_4)
	v_cvt_f32_f16_e32 v60, v23
	v_cvt_f32_f16_e32 v22, v3
	v_or_b32_e32 v3, v27, v25
	v_cvt_f32_f16_e32 v23, v1
	v_cvt_f32_f16_e32 v25, v21
	s_wait_loadcnt 0x0
	v_pk_mul_f32 v[60:61], v[20:21], v[60:61] op_sel_hi:[0,1]
	v_cvt_f32_f16_e32 v24, v24
	v_cvt_f32_f16_e32 v26, v12
	;; [unrolled: 1-line block ×3, first 2 shown]
	v_pk_mul_f32 v[22:23], v[20:21], v[22:23] op_sel_hi:[0,1]
	v_cvt_pk_f16_f32 v1, v60, v61
	v_pk_mul_f32 v[24:25], v[20:21], v[24:25] op_sel_hi:[0,1]
	s_delay_alu instid0(VALU_DEP_4) | instskip(NEXT) | instid1(VALU_DEP_4)
	v_pk_mul_f32 v[26:27], v[20:21], v[26:27] op_sel_hi:[0,1]
	v_cvt_pk_f16_f32 v3, v22, v23
	s_delay_alu instid0(VALU_DEP_4) | instskip(NEXT) | instid1(VALU_DEP_4)
	v_and_b32_e32 v21, 0xffff0000, v1
	v_cvt_pk_f16_f32 v12, v24, v25
	v_lshlrev_b32_e32 v22, 16, v1
	v_cvt_pk_f16_f32 v20, v26, v27
	v_lshrrev_b32_e32 v27, 16, v3
	v_and_b32_e32 v28, 0xffff, v3
	v_and_b32_e32 v1, 0xffff0000, v12
	s_delay_alu instid0(VALU_DEP_3) | instskip(SKIP_3) | instid1(VALU_DEP_2)
	v_dual_lshlrev_b32 v12, 16, v12 :: v_dual_bitop2_b32 v25, v21, v27 bitop3:0x54
	v_lshrrev_b32_e32 v3, 16, v20
	v_and_b32_e32 v20, 0xffff, v20
	v_or_b32_e32 v26, v22, v28
	v_or_b32_e32 v24, v12, v20
	s_delay_alu instid0(VALU_DEP_4)
	v_or_b32_e32 v23, v1, v3
	s_and_saveexec_b32 s25, vcc_lo
	s_cbranch_execz .LBB258_892
; %bb.891:                              ;   in Loop: Header=BB258_561 Depth=1
	v_cmp_gt_i32_e64 s0, s18, v37
	s_delay_alu instid0(VALU_DEP_1) | instskip(SKIP_1) | instid1(VALU_DEP_1)
	v_cndmask_b32_e64 v23, 0, v27, s0
	v_cmp_gt_i32_e64 s0, s34, v44
	v_cndmask_b32_e64 v24, 0, v28, s0
	v_cmp_gt_i32_e64 s0, s18, v43
	s_delay_alu instid0(VALU_DEP_1) | instskip(SKIP_1) | instid1(VALU_DEP_1)
	v_cndmask_b32_e64 v21, 0, v21, s0
	v_cmp_gt_i32_e64 s0, s34, v42
	v_cndmask_b32_e64 v22, 0, v22, s0
	v_cmp_gt_i32_e64 s0, s18, v41
	s_delay_alu instid0(VALU_DEP_4) | instskip(NEXT) | instid1(VALU_DEP_2)
	v_or_b32_e32 v25, v21, v23
	v_dual_cndmask_b32 v3, 0, v3, s0 :: v_dual_bitop2_b32 v26, v22, v24 bitop3:0x54
	v_cmp_gt_i32_e64 s0, s34, v40
	s_delay_alu instid0(VALU_DEP_1) | instskip(SKIP_1) | instid1(VALU_DEP_1)
	v_cndmask_b32_e64 v20, 0, v20, s0
	v_cmp_gt_i32_e64 s0, s18, v39
	v_cndmask_b32_e64 v1, 0, v1, s0
	v_cmp_gt_i32_e64 s0, s34, v38
	s_delay_alu instid0(VALU_DEP_1) | instskip(NEXT) | instid1(VALU_DEP_1)
	v_dual_cndmask_b32 v12, 0, v12, s0 :: v_dual_bitop2_b32 v23, v1, v3 bitop3:0x54
	v_or_b32_e32 v24, v12, v20
.LBB258_892:                            ;   in Loop: Header=BB258_561 Depth=1
	s_or_b32 exec_lo, exec_lo, s25
	;;#ASMSTART
	v_pk_mul_f16 v1, v51, v25;

	;;#ASMEND
	;;#ASMSTART
	v_pk_mul_f16 v3, v49, v26;

	;;#ASMEND
	;; [unrolled: 4-line block ×4, first 2 shown]
	;;#ASMSTART
	v_pk_add_f16 v1, v1, v3;

	;;#ASMEND
	;;#ASMSTART
	v_pk_add_f16 v1, v1, v12;

	;;#ASMEND
	;; [unrolled: 4-line block ×3, first 2 shown]
	v_and_b32_e32 v3, 0xffff, v1
	v_lshrrev_b32_e32 v1, 16, v1
	;;#ASMSTART
	v_cvt_f32_f16 v59, v3;
	;;#ASMEND
	v_mov_b32_e32 v3, 0
	;;#ASMSTART
	v_cvt_f32_f16 v60, v1;
	;;#ASMEND
	global_load_b64 v[22:23], v[18:19], off offset:1280
	v_mov_b32_e32 v1, 0
	s_mov_b32 s25, exec_lo
	global_load_b32 v20, v1, s[10:11]
	s_wait_loadcnt 0x1
	v_and_b32_e32 v12, 0xff, v22
	s_wait_xcnt 0x0
	s_delay_alu instid0(VALU_DEP_1)
	v_cmpx_ne_u16_e32 0, v12
	s_cbranch_execz .LBB258_900
; %bb.893:                              ;   in Loop: Header=BB258_561 Depth=1
	v_mov_b32_e32 v3, 0x8000
	s_mov_b32 s26, exec_lo
	v_cmpx_ne_u16_e32 0x80, v12
	s_cbranch_execz .LBB258_899
; %bb.894:                              ;   in Loop: Header=BB258_561 Depth=1
	v_and_b32_e32 v21, 0x7f, v22
	v_mov_b32_e32 v3, 0x7c01
	s_mov_b32 s27, exec_lo
	s_delay_alu instid0(VALU_DEP_2)
	v_cmpx_ne_u32_e32 0x7f, v21
	s_cbranch_execz .LBB258_898
; %bb.895:                              ;   in Loop: Header=BB258_561 Depth=1
	v_dual_lshrrev_b32 v12, 3, v21 :: v_dual_bitop2_b32 v3, 7, v22 bitop3:0x40
	s_mov_b32 s28, exec_lo
	v_cmpx_gt_u32_e32 8, v21
; %bb.896:                              ;   in Loop: Header=BB258_561 Depth=1
	s_delay_alu instid0(VALU_DEP_2) | instskip(NEXT) | instid1(VALU_DEP_1)
	v_clz_i32_u32_e32 v3, v3
	v_min_u32_e32 v3, 32, v3
	s_delay_alu instid0(VALU_DEP_1) | instskip(NEXT) | instid1(VALU_DEP_1)
	v_subrev_nc_u32_e32 v12, 28, v3
	v_lshlrev_b64_e32 v[24:25], v12, v[22:23]
	s_delay_alu instid0(VALU_DEP_1)
	v_dual_sub_nc_u32 v12, 29, v3 :: v_dual_bitop2_b32 v3, 7, v24 bitop3:0x40
; %bb.897:                              ;   in Loop: Header=BB258_561 Depth=1
	s_or_b32 exec_lo, exec_lo, s28
	s_delay_alu instid0(VALU_DEP_1) | instskip(NEXT) | instid1(VALU_DEP_2)
	v_dual_lshlrev_b32 v21, 8, v22 :: v_dual_lshlrev_b32 v3, 7, v3
	v_lshl_add_u32 v12, v12, 10, 0x2000
	s_delay_alu instid0(VALU_DEP_2) | instskip(NEXT) | instid1(VALU_DEP_2)
	v_and_b32_e32 v21, 0x8000, v21
	v_and_b32_e32 v12, 0xfc00, v12
	s_delay_alu instid0(VALU_DEP_1)
	v_or3_b32 v3, v21, v12, v3
.LBB258_898:                            ;   in Loop: Header=BB258_561 Depth=1
	s_or_b32 exec_lo, exec_lo, s27
.LBB258_899:                            ;   in Loop: Header=BB258_561 Depth=1
	s_delay_alu instid0(SALU_CYCLE_1)
	s_or_b32 exec_lo, exec_lo, s26
.LBB258_900:                            ;   in Loop: Header=BB258_561 Depth=1
	s_delay_alu instid0(SALU_CYCLE_1) | instskip(SKIP_2) | instid1(VALU_DEP_1)
	s_or_b32 exec_lo, exec_lo, s25
	v_lshrrev_b16 v12, 8, v22
	s_mov_b32 s25, exec_lo
	v_cmpx_ne_u16_e32 0, v12
	s_cbranch_execz .LBB258_908
; %bb.901:                              ;   in Loop: Header=BB258_561 Depth=1
	v_bfrev_b32_e32 v1, 1
	s_mov_b32 s26, exec_lo
	v_cmpx_ne_u16_e32 0x80, v12
	s_cbranch_execz .LBB258_907
; %bb.902:                              ;   in Loop: Header=BB258_561 Depth=1
	v_and_b32_e32 v21, 0xffff, v12
	v_mov_b32_e32 v1, 0x7c010000
	s_mov_b32 s27, exec_lo
	s_delay_alu instid0(VALU_DEP_2) | instskip(NEXT) | instid1(VALU_DEP_1)
	v_and_b32_e32 v25, 0x7f, v21
	v_cmpx_ne_u32_e32 0x7f, v25
	s_cbranch_execz .LBB258_906
; %bb.903:                              ;   in Loop: Header=BB258_561 Depth=1
	v_and_b32_e32 v1, 7, v21
	v_lshrrev_b32_e32 v24, 3, v25
	s_mov_b32 s28, exec_lo
	v_cmpx_gt_u32_e32 8, v25
; %bb.904:                              ;   in Loop: Header=BB258_561 Depth=1
	s_delay_alu instid0(VALU_DEP_3) | instskip(NEXT) | instid1(VALU_DEP_1)
	v_clz_i32_u32_e32 v1, v1
	v_min_u32_e32 v1, 32, v1
	s_delay_alu instid0(VALU_DEP_1) | instskip(NEXT) | instid1(VALU_DEP_1)
	v_subrev_nc_u32_e32 v24, 28, v1
	v_lshlrev_b64_e32 v[26:27], v24, v[12:13]
	s_delay_alu instid0(VALU_DEP_1)
	v_dual_sub_nc_u32 v24, 29, v1 :: v_dual_bitop2_b32 v1, 7, v26 bitop3:0x40
; %bb.905:                              ;   in Loop: Header=BB258_561 Depth=1
	s_or_b32 exec_lo, exec_lo, s28
	v_lshlrev_b32_e32 v12, 8, v21
	s_delay_alu instid0(VALU_DEP_2) | instskip(NEXT) | instid1(VALU_DEP_3)
	v_lshl_add_u32 v21, v24, 10, 0x2000
	v_lshlrev_b32_e32 v1, 23, v1
	s_delay_alu instid0(VALU_DEP_2) | instskip(NEXT) | instid1(VALU_DEP_1)
	v_and_or_b32 v12, 0x8000, v12, v21
	v_lshl_or_b32 v1, v12, 16, v1
.LBB258_906:                            ;   in Loop: Header=BB258_561 Depth=1
	s_or_b32 exec_lo, exec_lo, s27
.LBB258_907:                            ;   in Loop: Header=BB258_561 Depth=1
	s_delay_alu instid0(SALU_CYCLE_1)
	s_or_b32 exec_lo, exec_lo, s26
.LBB258_908:                            ;   in Loop: Header=BB258_561 Depth=1
	s_delay_alu instid0(SALU_CYCLE_1) | instskip(SKIP_3) | instid1(VALU_DEP_2)
	s_or_b32 exec_lo, exec_lo, s25
	v_dual_mov_b32 v21, 0 :: v_dual_lshrrev_b32 v12, 16, v22
	v_mov_b32_e32 v24, 0
	s_mov_b32 s25, exec_lo
	v_and_b32_e32 v25, 0xff, v12
	s_delay_alu instid0(VALU_DEP_1)
	v_cmpx_ne_u16_e32 0, v25
	s_cbranch_execz .LBB258_916
; %bb.909:                              ;   in Loop: Header=BB258_561 Depth=1
	v_mov_b32_e32 v24, 0x8000
	s_mov_b32 s26, exec_lo
	v_cmpx_ne_u16_e32 0x80, v25
	s_cbranch_execz .LBB258_915
; %bb.910:                              ;   in Loop: Header=BB258_561 Depth=1
	v_bfe_u32 v26, v22, 16, 7
	v_mov_b32_e32 v24, 0x7c01
	s_mov_b32 s27, exec_lo
	s_delay_alu instid0(VALU_DEP_2)
	v_cmpx_ne_u32_e32 0x7f, v26
	s_cbranch_execz .LBB258_914
; %bb.911:                              ;   in Loop: Header=BB258_561 Depth=1
	v_dual_lshrrev_b32 v25, 3, v26 :: v_dual_bitop2_b32 v24, 7, v12 bitop3:0x40
	s_mov_b32 s28, exec_lo
	v_cmpx_gt_u32_e32 8, v26
; %bb.912:                              ;   in Loop: Header=BB258_561 Depth=1
	s_delay_alu instid0(VALU_DEP_2) | instskip(NEXT) | instid1(VALU_DEP_1)
	v_clz_i32_u32_e32 v24, v24
	v_min_u32_e32 v26, 32, v24
	s_delay_alu instid0(VALU_DEP_1) | instskip(NEXT) | instid1(VALU_DEP_1)
	v_subrev_nc_u32_e32 v24, 28, v26
	v_lshlrev_b64_e32 v[24:25], v24, v[12:13]
	s_delay_alu instid0(VALU_DEP_1)
	v_dual_sub_nc_u32 v25, 29, v26 :: v_dual_bitop2_b32 v24, 7, v24 bitop3:0x40
; %bb.913:                              ;   in Loop: Header=BB258_561 Depth=1
	s_or_b32 exec_lo, exec_lo, s28
	v_lshlrev_b32_e32 v12, 8, v12
	s_delay_alu instid0(VALU_DEP_2) | instskip(NEXT) | instid1(VALU_DEP_3)
	v_lshl_add_u32 v25, v25, 10, 0x2000
	v_lshlrev_b32_e32 v24, 7, v24
	s_delay_alu instid0(VALU_DEP_3) | instskip(NEXT) | instid1(VALU_DEP_3)
	v_and_b32_e32 v12, 0x8000, v12
	v_and_b32_e32 v25, 0xfc00, v25
	s_delay_alu instid0(VALU_DEP_1)
	v_or3_b32 v24, v12, v25, v24
.LBB258_914:                            ;   in Loop: Header=BB258_561 Depth=1
	s_or_b32 exec_lo, exec_lo, s27
.LBB258_915:                            ;   in Loop: Header=BB258_561 Depth=1
	s_delay_alu instid0(SALU_CYCLE_1)
	s_or_b32 exec_lo, exec_lo, s26
.LBB258_916:                            ;   in Loop: Header=BB258_561 Depth=1
	s_delay_alu instid0(SALU_CYCLE_1) | instskip(NEXT) | instid1(SALU_CYCLE_1)
	s_or_b32 exec_lo, exec_lo, s25
	s_mov_b32 s25, exec_lo
	v_cmpx_lt_u32_e32 0xffffff, v22
	s_cbranch_execz .LBB258_924
; %bb.917:                              ;   in Loop: Header=BB258_561 Depth=1
	v_lshrrev_b32_e32 v12, 24, v22
	v_bfrev_b32_e32 v21, 1
	s_mov_b32 s26, exec_lo
	s_delay_alu instid0(VALU_DEP_2)
	v_cmpx_ne_u32_e32 0x80, v12
	s_cbranch_execz .LBB258_923
; %bb.918:                              ;   in Loop: Header=BB258_561 Depth=1
	v_and_b32_e32 v26, 0x7f, v12
	v_mov_b32_e32 v21, 0x7c010000
	s_mov_b32 s27, exec_lo
	s_delay_alu instid0(VALU_DEP_2)
	v_cmpx_ne_u32_e32 0x7f, v26
	s_cbranch_execz .LBB258_922
; %bb.919:                              ;   in Loop: Header=BB258_561 Depth=1
	v_dual_lshrrev_b32 v25, 3, v26 :: v_dual_bitop2_b32 v21, 7, v12 bitop3:0x40
	s_mov_b32 s28, exec_lo
	v_cmpx_gt_u32_e32 8, v26
; %bb.920:                              ;   in Loop: Header=BB258_561 Depth=1
	s_delay_alu instid0(VALU_DEP_2) | instskip(NEXT) | instid1(VALU_DEP_1)
	v_clz_i32_u32_e32 v21, v21
	v_min_u32_e32 v21, 32, v21
	s_delay_alu instid0(VALU_DEP_1) | instskip(NEXT) | instid1(VALU_DEP_1)
	v_subrev_nc_u32_e32 v25, 28, v21
	v_lshlrev_b64_e32 v[26:27], v25, v[12:13]
	s_delay_alu instid0(VALU_DEP_1)
	v_dual_sub_nc_u32 v25, 29, v21 :: v_dual_bitop2_b32 v21, 7, v26 bitop3:0x40
; %bb.921:                              ;   in Loop: Header=BB258_561 Depth=1
	s_or_b32 exec_lo, exec_lo, s28
	s_delay_alu instid0(VALU_DEP_1) | instskip(NEXT) | instid1(VALU_DEP_2)
	v_dual_lshlrev_b32 v12, 8, v12 :: v_dual_lshlrev_b32 v21, 23, v21
	v_lshl_add_u32 v25, v25, 10, 0x2000
	s_delay_alu instid0(VALU_DEP_1) | instskip(NEXT) | instid1(VALU_DEP_1)
	v_and_or_b32 v12, 0x8000, v12, v25
	v_lshl_or_b32 v21, v12, 16, v21
.LBB258_922:                            ;   in Loop: Header=BB258_561 Depth=1
	s_or_b32 exec_lo, exec_lo, s27
.LBB258_923:                            ;   in Loop: Header=BB258_561 Depth=1
	s_delay_alu instid0(SALU_CYCLE_1)
	s_or_b32 exec_lo, exec_lo, s26
.LBB258_924:                            ;   in Loop: Header=BB258_561 Depth=1
	s_delay_alu instid0(SALU_CYCLE_1) | instskip(SKIP_4) | instid1(VALU_DEP_3)
	s_or_b32 exec_lo, exec_lo, s25
	v_and_b32_e32 v27, 0xff, v23
	v_dual_mov_b32 v12, v23 :: v_dual_mov_b32 v26, 0
	v_mov_b32_e32 v25, 0
	s_mov_b32 s25, exec_lo
	v_cmpx_ne_u16_e32 0, v27
	s_cbranch_execz .LBB258_932
; %bb.925:                              ;   in Loop: Header=BB258_561 Depth=1
	v_mov_b32_e32 v25, 0x8000
	s_mov_b32 s26, exec_lo
	v_cmpx_ne_u16_e32 0x80, v27
	s_cbranch_execz .LBB258_931
; %bb.926:                              ;   in Loop: Header=BB258_561 Depth=1
	v_and_b32_e32 v28, 0x7f, v23
	v_mov_b32_e32 v25, 0x7c01
	s_mov_b32 s27, exec_lo
	s_delay_alu instid0(VALU_DEP_2)
	v_cmpx_ne_u32_e32 0x7f, v28
	s_cbranch_execz .LBB258_930
; %bb.927:                              ;   in Loop: Header=BB258_561 Depth=1
	v_dual_lshrrev_b32 v27, 3, v28 :: v_dual_bitop2_b32 v25, 7, v23 bitop3:0x40
	s_mov_b32 s28, exec_lo
	v_cmpx_gt_u32_e32 8, v28
; %bb.928:                              ;   in Loop: Header=BB258_561 Depth=1
	s_delay_alu instid0(VALU_DEP_2) | instskip(NEXT) | instid1(VALU_DEP_1)
	v_clz_i32_u32_e32 v25, v25
	v_min_u32_e32 v25, 32, v25
	s_delay_alu instid0(VALU_DEP_1) | instskip(NEXT) | instid1(VALU_DEP_1)
	v_subrev_nc_u32_e32 v27, 28, v25
	v_lshlrev_b64_e32 v[62:63], v27, v[12:13]
	s_delay_alu instid0(VALU_DEP_1)
	v_dual_sub_nc_u32 v27, 29, v25 :: v_dual_bitop2_b32 v25, 7, v62 bitop3:0x40
; %bb.929:                              ;   in Loop: Header=BB258_561 Depth=1
	s_or_b32 exec_lo, exec_lo, s28
	s_delay_alu instid0(VALU_DEP_1) | instskip(NEXT) | instid1(VALU_DEP_2)
	v_dual_lshlrev_b32 v28, 8, v23 :: v_dual_lshlrev_b32 v25, 7, v25
	v_lshl_add_u32 v27, v27, 10, 0x2000
	s_delay_alu instid0(VALU_DEP_2) | instskip(NEXT) | instid1(VALU_DEP_2)
	v_and_b32_e32 v28, 0x8000, v28
	v_and_b32_e32 v27, 0xfc00, v27
	s_delay_alu instid0(VALU_DEP_1)
	v_or3_b32 v25, v28, v27, v25
.LBB258_930:                            ;   in Loop: Header=BB258_561 Depth=1
	s_or_b32 exec_lo, exec_lo, s27
.LBB258_931:                            ;   in Loop: Header=BB258_561 Depth=1
	s_delay_alu instid0(SALU_CYCLE_1)
	s_or_b32 exec_lo, exec_lo, s26
.LBB258_932:                            ;   in Loop: Header=BB258_561 Depth=1
	s_delay_alu instid0(SALU_CYCLE_1) | instskip(SKIP_3) | instid1(VALU_DEP_2)
	s_or_b32 exec_lo, exec_lo, s25
	v_lshrrev_b16 v12, 8, v12
	v_mov_b32_e32 v27, 0
	s_mov_b32 s25, exec_lo
	v_cmpx_ne_u16_e32 0, v12
	s_cbranch_execz .LBB258_940
; %bb.933:                              ;   in Loop: Header=BB258_561 Depth=1
	v_bfrev_b32_e32 v27, 1
	s_mov_b32 s26, exec_lo
	v_cmpx_ne_u16_e32 0x80, v12
	s_cbranch_execz .LBB258_939
; %bb.934:                              ;   in Loop: Header=BB258_561 Depth=1
	v_and_b32_e32 v28, 0xffff, v12
	v_mov_b32_e32 v27, 0x7c010000
	s_mov_b32 s27, exec_lo
	s_delay_alu instid0(VALU_DEP_2) | instskip(NEXT) | instid1(VALU_DEP_1)
	v_and_b32_e32 v46, 0x7f, v28
	v_cmpx_ne_u32_e32 0x7f, v46
	s_cbranch_execz .LBB258_938
; %bb.935:                              ;   in Loop: Header=BB258_561 Depth=1
	v_dual_lshrrev_b32 v45, 3, v46 :: v_dual_bitop2_b32 v27, 7, v28 bitop3:0x40
	s_mov_b32 s28, exec_lo
	v_cmpx_gt_u32_e32 8, v46
; %bb.936:                              ;   in Loop: Header=BB258_561 Depth=1
	s_delay_alu instid0(VALU_DEP_2) | instskip(NEXT) | instid1(VALU_DEP_1)
	v_clz_i32_u32_e32 v27, v27
	v_min_u32_e32 v27, 32, v27
	s_delay_alu instid0(VALU_DEP_1) | instskip(NEXT) | instid1(VALU_DEP_1)
	v_subrev_nc_u32_e32 v45, 28, v27
	v_lshlrev_b64_e32 v[62:63], v45, v[12:13]
	s_delay_alu instid0(VALU_DEP_1)
	v_dual_sub_nc_u32 v45, 29, v27 :: v_dual_bitop2_b32 v27, 7, v62 bitop3:0x40
; %bb.937:                              ;   in Loop: Header=BB258_561 Depth=1
	s_or_b32 exec_lo, exec_lo, s28
	s_delay_alu instid0(VALU_DEP_1) | instskip(NEXT) | instid1(VALU_DEP_2)
	v_dual_lshlrev_b32 v12, 8, v28 :: v_dual_lshlrev_b32 v27, 23, v27
	v_lshl_add_u32 v28, v45, 10, 0x2000
	s_delay_alu instid0(VALU_DEP_1) | instskip(NEXT) | instid1(VALU_DEP_1)
	v_and_or_b32 v12, 0x8000, v12, v28
	v_lshl_or_b32 v27, v12, 16, v27
.LBB258_938:                            ;   in Loop: Header=BB258_561 Depth=1
	s_or_b32 exec_lo, exec_lo, s27
.LBB258_939:                            ;   in Loop: Header=BB258_561 Depth=1
	s_delay_alu instid0(SALU_CYCLE_1)
	s_or_b32 exec_lo, exec_lo, s26
.LBB258_940:                            ;   in Loop: Header=BB258_561 Depth=1
	s_delay_alu instid0(SALU_CYCLE_1) | instskip(SKIP_2) | instid1(VALU_DEP_1)
	s_or_b32 exec_lo, exec_lo, s25
	v_lshrrev_b32_e32 v12, 16, v23
	s_mov_b32 s25, exec_lo
	v_and_b32_e32 v28, 0xff, v12
	s_delay_alu instid0(VALU_DEP_1)
	v_cmpx_ne_u16_e32 0, v28
	s_cbranch_execz .LBB258_948
; %bb.941:                              ;   in Loop: Header=BB258_561 Depth=1
	v_mov_b32_e32 v26, 0x8000
	s_mov_b32 s26, exec_lo
	v_cmpx_ne_u16_e32 0x80, v28
	s_cbranch_execz .LBB258_947
; %bb.942:                              ;   in Loop: Header=BB258_561 Depth=1
	v_bfe_u32 v45, v23, 16, 7
	v_mov_b32_e32 v26, 0x7c01
	s_mov_b32 s27, exec_lo
	s_delay_alu instid0(VALU_DEP_2)
	v_cmpx_ne_u32_e32 0x7f, v45
	s_cbranch_execz .LBB258_946
; %bb.943:                              ;   in Loop: Header=BB258_561 Depth=1
	v_dual_lshrrev_b32 v28, 3, v45 :: v_dual_bitop2_b32 v26, 7, v12 bitop3:0x40
	s_mov_b32 s28, exec_lo
	v_cmpx_gt_u32_e32 8, v45
; %bb.944:                              ;   in Loop: Header=BB258_561 Depth=1
	s_delay_alu instid0(VALU_DEP_2) | instskip(NEXT) | instid1(VALU_DEP_1)
	v_clz_i32_u32_e32 v26, v26
	v_min_u32_e32 v26, 32, v26
	s_delay_alu instid0(VALU_DEP_1) | instskip(NEXT) | instid1(VALU_DEP_1)
	v_subrev_nc_u32_e32 v28, 28, v26
	v_lshlrev_b64_e32 v[62:63], v28, v[12:13]
	v_sub_nc_u32_e32 v28, 29, v26
	s_delay_alu instid0(VALU_DEP_2)
	v_and_b32_e32 v26, 7, v62
; %bb.945:                              ;   in Loop: Header=BB258_561 Depth=1
	s_or_b32 exec_lo, exec_lo, s28
	s_delay_alu instid0(VALU_DEP_1) | instskip(NEXT) | instid1(VALU_DEP_3)
	v_dual_lshlrev_b32 v12, 8, v12 :: v_dual_lshlrev_b32 v26, 7, v26
	v_lshl_add_u32 v28, v28, 10, 0x2000
	s_delay_alu instid0(VALU_DEP_2) | instskip(NEXT) | instid1(VALU_DEP_2)
	v_and_b32_e32 v12, 0x8000, v12
	v_and_b32_e32 v28, 0xfc00, v28
	s_delay_alu instid0(VALU_DEP_1)
	v_or3_b32 v26, v12, v28, v26
.LBB258_946:                            ;   in Loop: Header=BB258_561 Depth=1
	s_or_b32 exec_lo, exec_lo, s27
.LBB258_947:                            ;   in Loop: Header=BB258_561 Depth=1
	s_delay_alu instid0(SALU_CYCLE_1)
	s_or_b32 exec_lo, exec_lo, s26
.LBB258_948:                            ;   in Loop: Header=BB258_561 Depth=1
	s_delay_alu instid0(SALU_CYCLE_1)
	s_or_b32 exec_lo, exec_lo, s25
	v_cmp_lt_u64_e64 s0, s[8:9], v[22:23]
	v_mov_b32_e32 v22, 0
	s_and_saveexec_b32 s25, s0
	s_cbranch_execz .LBB258_956
; %bb.949:                              ;   in Loop: Header=BB258_561 Depth=1
	v_lshrrev_b32_e32 v12, 24, v23
	v_bfrev_b32_e32 v22, 1
	s_mov_b32 s26, exec_lo
	s_delay_alu instid0(VALU_DEP_2)
	v_cmpx_ne_u32_e32 0x80, v12
	s_cbranch_execz .LBB258_955
; %bb.950:                              ;   in Loop: Header=BB258_561 Depth=1
	v_and_b32_e32 v28, 0x7f, v12
	v_mov_b32_e32 v22, 0x7c010000
	s_mov_b32 s27, exec_lo
	s_delay_alu instid0(VALU_DEP_2)
	v_cmpx_ne_u32_e32 0x7f, v28
	s_cbranch_execz .LBB258_954
; %bb.951:                              ;   in Loop: Header=BB258_561 Depth=1
	v_and_b32_e32 v22, 7, v12
	v_lshrrev_b32_e32 v23, 3, v28
	s_mov_b32 s28, exec_lo
	v_cmpx_gt_u32_e32 8, v28
; %bb.952:                              ;   in Loop: Header=BB258_561 Depth=1
	s_delay_alu instid0(VALU_DEP_3) | instskip(NEXT) | instid1(VALU_DEP_1)
	v_clz_i32_u32_e32 v22, v22
	v_min_u32_e32 v28, 32, v22
	s_delay_alu instid0(VALU_DEP_1) | instskip(NEXT) | instid1(VALU_DEP_1)
	v_subrev_nc_u32_e32 v22, 28, v28
	v_lshlrev_b64_e32 v[22:23], v22, v[12:13]
	s_delay_alu instid0(VALU_DEP_1)
	v_dual_sub_nc_u32 v23, 29, v28 :: v_dual_bitop2_b32 v22, 7, v22 bitop3:0x40
; %bb.953:                              ;   in Loop: Header=BB258_561 Depth=1
	s_or_b32 exec_lo, exec_lo, s28
	s_delay_alu instid0(VALU_DEP_1) | instskip(NEXT) | instid1(VALU_DEP_2)
	v_dual_lshlrev_b32 v12, 8, v12 :: v_dual_lshlrev_b32 v22, 23, v22
	v_lshl_add_u32 v23, v23, 10, 0x2000
	s_delay_alu instid0(VALU_DEP_1) | instskip(NEXT) | instid1(VALU_DEP_1)
	v_and_or_b32 v12, 0x8000, v12, v23
	v_lshl_or_b32 v22, v12, 16, v22
.LBB258_954:                            ;   in Loop: Header=BB258_561 Depth=1
	s_or_b32 exec_lo, exec_lo, s27
.LBB258_955:                            ;   in Loop: Header=BB258_561 Depth=1
	s_delay_alu instid0(SALU_CYCLE_1)
	s_or_b32 exec_lo, exec_lo, s26
.LBB258_956:                            ;   in Loop: Header=BB258_561 Depth=1
	s_delay_alu instid0(SALU_CYCLE_1) | instskip(SKIP_3) | instid1(VALU_DEP_3)
	s_or_b32 exec_lo, exec_lo, s25
	v_dual_lshrrev_b32 v12, 16, v1 :: v_dual_bitop2_b32 v1, v1, v3 bitop3:0x54
	v_dual_lshrrev_b32 v23, 16, v21 :: v_dual_bitop2_b32 v3, v21, v24 bitop3:0x54
	v_lshrrev_b32_e32 v24, 16, v22
	v_cvt_f32_f16_e32 v63, v12
	v_dual_lshrrev_b32 v21, 16, v27 :: v_dual_bitop2_b32 v12, v22, v26 bitop3:0x54
	s_delay_alu instid0(VALU_DEP_4)
	v_cvt_f32_f16_e32 v62, v23
	v_cvt_f32_f16_e32 v22, v3
	v_or_b32_e32 v3, v27, v25
	v_cvt_f32_f16_e32 v23, v1
	v_cvt_f32_f16_e32 v25, v21
	s_wait_loadcnt 0x0
	v_pk_mul_f32 v[62:63], v[20:21], v[62:63] op_sel_hi:[0,1]
	v_cvt_f32_f16_e32 v24, v24
	v_cvt_f32_f16_e32 v26, v12
	v_cvt_f32_f16_e32 v27, v3
	v_pk_mul_f32 v[22:23], v[20:21], v[22:23] op_sel_hi:[0,1]
	v_cvt_pk_f16_f32 v1, v62, v63
	v_pk_mul_f32 v[24:25], v[20:21], v[24:25] op_sel_hi:[0,1]
	s_delay_alu instid0(VALU_DEP_4) | instskip(NEXT) | instid1(VALU_DEP_4)
	v_pk_mul_f32 v[26:27], v[20:21], v[26:27] op_sel_hi:[0,1]
	v_cvt_pk_f16_f32 v3, v22, v23
	s_delay_alu instid0(VALU_DEP_4) | instskip(NEXT) | instid1(VALU_DEP_4)
	v_and_b32_e32 v21, 0xffff0000, v1
	v_cvt_pk_f16_f32 v12, v24, v25
	v_lshlrev_b32_e32 v22, 16, v1
	v_cvt_pk_f16_f32 v20, v26, v27
	v_lshrrev_b32_e32 v27, 16, v3
	v_and_b32_e32 v28, 0xffff, v3
	v_and_b32_e32 v1, 0xffff0000, v12
	s_delay_alu instid0(VALU_DEP_3) | instskip(SKIP_3) | instid1(VALU_DEP_2)
	v_dual_lshlrev_b32 v12, 16, v12 :: v_dual_bitop2_b32 v25, v21, v27 bitop3:0x54
	v_lshrrev_b32_e32 v3, 16, v20
	v_and_b32_e32 v20, 0xffff, v20
	v_or_b32_e32 v26, v22, v28
	v_or_b32_e32 v24, v12, v20
	s_delay_alu instid0(VALU_DEP_4)
	v_or_b32_e32 v23, v1, v3
	s_and_saveexec_b32 s25, vcc_lo
	s_cbranch_execz .LBB258_958
; %bb.957:                              ;   in Loop: Header=BB258_561 Depth=1
	v_cmp_gt_i32_e64 s0, s18, v37
	s_delay_alu instid0(VALU_DEP_1) | instskip(SKIP_1) | instid1(VALU_DEP_1)
	v_cndmask_b32_e64 v23, 0, v27, s0
	v_cmp_gt_i32_e64 s0, s34, v44
	v_cndmask_b32_e64 v24, 0, v28, s0
	v_cmp_gt_i32_e64 s0, s18, v43
	s_delay_alu instid0(VALU_DEP_1) | instskip(SKIP_1) | instid1(VALU_DEP_1)
	v_cndmask_b32_e64 v21, 0, v21, s0
	v_cmp_gt_i32_e64 s0, s34, v42
	v_cndmask_b32_e64 v22, 0, v22, s0
	v_cmp_gt_i32_e64 s0, s18, v41
	s_delay_alu instid0(VALU_DEP_4) | instskip(NEXT) | instid1(VALU_DEP_2)
	v_or_b32_e32 v25, v21, v23
	v_dual_cndmask_b32 v3, 0, v3, s0 :: v_dual_bitop2_b32 v26, v22, v24 bitop3:0x54
	v_cmp_gt_i32_e64 s0, s34, v40
	s_delay_alu instid0(VALU_DEP_1) | instskip(SKIP_1) | instid1(VALU_DEP_1)
	v_cndmask_b32_e64 v20, 0, v20, s0
	v_cmp_gt_i32_e64 s0, s18, v39
	v_cndmask_b32_e64 v1, 0, v1, s0
	v_cmp_gt_i32_e64 s0, s34, v38
	s_delay_alu instid0(VALU_DEP_1) | instskip(NEXT) | instid1(VALU_DEP_1)
	v_dual_cndmask_b32 v12, 0, v12, s0 :: v_dual_bitop2_b32 v23, v1, v3 bitop3:0x54
	v_or_b32_e32 v24, v12, v20
.LBB258_958:                            ;   in Loop: Header=BB258_561 Depth=1
	s_or_b32 exec_lo, exec_lo, s25
	;;#ASMSTART
	v_pk_mul_f16 v1, v51, v25;

	;;#ASMEND
	;;#ASMSTART
	v_pk_mul_f16 v3, v49, v26;

	;;#ASMEND
	;; [unrolled: 4-line block ×4, first 2 shown]
	;;#ASMSTART
	v_pk_add_f16 v1, v1, v3;

	;;#ASMEND
	;;#ASMSTART
	v_pk_add_f16 v1, v1, v12;

	;;#ASMEND
	;; [unrolled: 4-line block ×3, first 2 shown]
	v_and_b32_e32 v3, 0xffff, v1
	v_lshrrev_b32_e32 v1, 16, v1
	;;#ASMSTART
	v_cvt_f32_f16 v61, v3;
	;;#ASMEND
	v_mov_b32_e32 v3, 0
	;;#ASMSTART
	v_cvt_f32_f16 v62, v1;
	;;#ASMEND
	global_load_b64 v[22:23], v[18:19], off offset:1536
	v_mov_b32_e32 v1, 0
	s_mov_b32 s25, exec_lo
	global_load_b32 v20, v1, s[10:11]
	s_wait_loadcnt 0x1
	v_and_b32_e32 v12, 0xff, v22
	s_wait_xcnt 0x0
	s_delay_alu instid0(VALU_DEP_1)
	v_cmpx_ne_u16_e32 0, v12
	s_cbranch_execz .LBB258_966
; %bb.959:                              ;   in Loop: Header=BB258_561 Depth=1
	v_mov_b32_e32 v3, 0x8000
	s_mov_b32 s26, exec_lo
	v_cmpx_ne_u16_e32 0x80, v12
	s_cbranch_execz .LBB258_965
; %bb.960:                              ;   in Loop: Header=BB258_561 Depth=1
	v_and_b32_e32 v21, 0x7f, v22
	v_mov_b32_e32 v3, 0x7c01
	s_mov_b32 s27, exec_lo
	s_delay_alu instid0(VALU_DEP_2)
	v_cmpx_ne_u32_e32 0x7f, v21
	s_cbranch_execz .LBB258_964
; %bb.961:                              ;   in Loop: Header=BB258_561 Depth=1
	v_dual_lshrrev_b32 v12, 3, v21 :: v_dual_bitop2_b32 v3, 7, v22 bitop3:0x40
	s_mov_b32 s28, exec_lo
	v_cmpx_gt_u32_e32 8, v21
; %bb.962:                              ;   in Loop: Header=BB258_561 Depth=1
	s_delay_alu instid0(VALU_DEP_2) | instskip(NEXT) | instid1(VALU_DEP_1)
	v_clz_i32_u32_e32 v3, v3
	v_min_u32_e32 v3, 32, v3
	s_delay_alu instid0(VALU_DEP_1) | instskip(NEXT) | instid1(VALU_DEP_1)
	v_subrev_nc_u32_e32 v12, 28, v3
	v_lshlrev_b64_e32 v[24:25], v12, v[22:23]
	s_delay_alu instid0(VALU_DEP_1)
	v_dual_sub_nc_u32 v12, 29, v3 :: v_dual_bitop2_b32 v3, 7, v24 bitop3:0x40
; %bb.963:                              ;   in Loop: Header=BB258_561 Depth=1
	s_or_b32 exec_lo, exec_lo, s28
	s_delay_alu instid0(VALU_DEP_1) | instskip(NEXT) | instid1(VALU_DEP_2)
	v_dual_lshlrev_b32 v21, 8, v22 :: v_dual_lshlrev_b32 v3, 7, v3
	v_lshl_add_u32 v12, v12, 10, 0x2000
	s_delay_alu instid0(VALU_DEP_2) | instskip(NEXT) | instid1(VALU_DEP_2)
	v_and_b32_e32 v21, 0x8000, v21
	v_and_b32_e32 v12, 0xfc00, v12
	s_delay_alu instid0(VALU_DEP_1)
	v_or3_b32 v3, v21, v12, v3
.LBB258_964:                            ;   in Loop: Header=BB258_561 Depth=1
	s_or_b32 exec_lo, exec_lo, s27
.LBB258_965:                            ;   in Loop: Header=BB258_561 Depth=1
	s_delay_alu instid0(SALU_CYCLE_1)
	s_or_b32 exec_lo, exec_lo, s26
.LBB258_966:                            ;   in Loop: Header=BB258_561 Depth=1
	s_delay_alu instid0(SALU_CYCLE_1) | instskip(SKIP_2) | instid1(VALU_DEP_1)
	s_or_b32 exec_lo, exec_lo, s25
	v_lshrrev_b16 v12, 8, v22
	s_mov_b32 s25, exec_lo
	v_cmpx_ne_u16_e32 0, v12
	s_cbranch_execz .LBB258_974
; %bb.967:                              ;   in Loop: Header=BB258_561 Depth=1
	v_bfrev_b32_e32 v1, 1
	s_mov_b32 s26, exec_lo
	v_cmpx_ne_u16_e32 0x80, v12
	s_cbranch_execz .LBB258_973
; %bb.968:                              ;   in Loop: Header=BB258_561 Depth=1
	v_and_b32_e32 v21, 0xffff, v12
	v_mov_b32_e32 v1, 0x7c010000
	s_mov_b32 s27, exec_lo
	s_delay_alu instid0(VALU_DEP_2) | instskip(NEXT) | instid1(VALU_DEP_1)
	v_and_b32_e32 v25, 0x7f, v21
	v_cmpx_ne_u32_e32 0x7f, v25
	s_cbranch_execz .LBB258_972
; %bb.969:                              ;   in Loop: Header=BB258_561 Depth=1
	v_and_b32_e32 v1, 7, v21
	v_lshrrev_b32_e32 v24, 3, v25
	s_mov_b32 s28, exec_lo
	v_cmpx_gt_u32_e32 8, v25
; %bb.970:                              ;   in Loop: Header=BB258_561 Depth=1
	s_delay_alu instid0(VALU_DEP_3) | instskip(NEXT) | instid1(VALU_DEP_1)
	v_clz_i32_u32_e32 v1, v1
	v_min_u32_e32 v1, 32, v1
	s_delay_alu instid0(VALU_DEP_1) | instskip(NEXT) | instid1(VALU_DEP_1)
	v_subrev_nc_u32_e32 v24, 28, v1
	v_lshlrev_b64_e32 v[26:27], v24, v[12:13]
	s_delay_alu instid0(VALU_DEP_1)
	v_dual_sub_nc_u32 v24, 29, v1 :: v_dual_bitop2_b32 v1, 7, v26 bitop3:0x40
; %bb.971:                              ;   in Loop: Header=BB258_561 Depth=1
	s_or_b32 exec_lo, exec_lo, s28
	v_lshlrev_b32_e32 v12, 8, v21
	s_delay_alu instid0(VALU_DEP_2) | instskip(NEXT) | instid1(VALU_DEP_3)
	v_lshl_add_u32 v21, v24, 10, 0x2000
	v_lshlrev_b32_e32 v1, 23, v1
	s_delay_alu instid0(VALU_DEP_2) | instskip(NEXT) | instid1(VALU_DEP_1)
	v_and_or_b32 v12, 0x8000, v12, v21
	v_lshl_or_b32 v1, v12, 16, v1
.LBB258_972:                            ;   in Loop: Header=BB258_561 Depth=1
	s_or_b32 exec_lo, exec_lo, s27
.LBB258_973:                            ;   in Loop: Header=BB258_561 Depth=1
	s_delay_alu instid0(SALU_CYCLE_1)
	s_or_b32 exec_lo, exec_lo, s26
.LBB258_974:                            ;   in Loop: Header=BB258_561 Depth=1
	s_delay_alu instid0(SALU_CYCLE_1) | instskip(SKIP_3) | instid1(VALU_DEP_2)
	s_or_b32 exec_lo, exec_lo, s25
	v_dual_mov_b32 v21, 0 :: v_dual_lshrrev_b32 v12, 16, v22
	v_mov_b32_e32 v24, 0
	s_mov_b32 s25, exec_lo
	v_and_b32_e32 v25, 0xff, v12
	s_delay_alu instid0(VALU_DEP_1)
	v_cmpx_ne_u16_e32 0, v25
	s_cbranch_execz .LBB258_982
; %bb.975:                              ;   in Loop: Header=BB258_561 Depth=1
	v_mov_b32_e32 v24, 0x8000
	s_mov_b32 s26, exec_lo
	v_cmpx_ne_u16_e32 0x80, v25
	s_cbranch_execz .LBB258_981
; %bb.976:                              ;   in Loop: Header=BB258_561 Depth=1
	v_bfe_u32 v26, v22, 16, 7
	v_mov_b32_e32 v24, 0x7c01
	s_mov_b32 s27, exec_lo
	s_delay_alu instid0(VALU_DEP_2)
	v_cmpx_ne_u32_e32 0x7f, v26
	s_cbranch_execz .LBB258_980
; %bb.977:                              ;   in Loop: Header=BB258_561 Depth=1
	v_dual_lshrrev_b32 v25, 3, v26 :: v_dual_bitop2_b32 v24, 7, v12 bitop3:0x40
	s_mov_b32 s28, exec_lo
	v_cmpx_gt_u32_e32 8, v26
; %bb.978:                              ;   in Loop: Header=BB258_561 Depth=1
	s_delay_alu instid0(VALU_DEP_2) | instskip(NEXT) | instid1(VALU_DEP_1)
	v_clz_i32_u32_e32 v24, v24
	v_min_u32_e32 v26, 32, v24
	s_delay_alu instid0(VALU_DEP_1) | instskip(NEXT) | instid1(VALU_DEP_1)
	v_subrev_nc_u32_e32 v24, 28, v26
	v_lshlrev_b64_e32 v[24:25], v24, v[12:13]
	s_delay_alu instid0(VALU_DEP_1)
	v_dual_sub_nc_u32 v25, 29, v26 :: v_dual_bitop2_b32 v24, 7, v24 bitop3:0x40
; %bb.979:                              ;   in Loop: Header=BB258_561 Depth=1
	s_or_b32 exec_lo, exec_lo, s28
	v_lshlrev_b32_e32 v12, 8, v12
	s_delay_alu instid0(VALU_DEP_2) | instskip(NEXT) | instid1(VALU_DEP_3)
	v_lshl_add_u32 v25, v25, 10, 0x2000
	v_lshlrev_b32_e32 v24, 7, v24
	s_delay_alu instid0(VALU_DEP_3) | instskip(NEXT) | instid1(VALU_DEP_3)
	v_and_b32_e32 v12, 0x8000, v12
	v_and_b32_e32 v25, 0xfc00, v25
	s_delay_alu instid0(VALU_DEP_1)
	v_or3_b32 v24, v12, v25, v24
.LBB258_980:                            ;   in Loop: Header=BB258_561 Depth=1
	s_or_b32 exec_lo, exec_lo, s27
.LBB258_981:                            ;   in Loop: Header=BB258_561 Depth=1
	s_delay_alu instid0(SALU_CYCLE_1)
	s_or_b32 exec_lo, exec_lo, s26
.LBB258_982:                            ;   in Loop: Header=BB258_561 Depth=1
	s_delay_alu instid0(SALU_CYCLE_1) | instskip(NEXT) | instid1(SALU_CYCLE_1)
	s_or_b32 exec_lo, exec_lo, s25
	s_mov_b32 s25, exec_lo
	v_cmpx_lt_u32_e32 0xffffff, v22
	s_cbranch_execz .LBB258_990
; %bb.983:                              ;   in Loop: Header=BB258_561 Depth=1
	v_lshrrev_b32_e32 v12, 24, v22
	v_bfrev_b32_e32 v21, 1
	s_mov_b32 s26, exec_lo
	s_delay_alu instid0(VALU_DEP_2)
	v_cmpx_ne_u32_e32 0x80, v12
	s_cbranch_execz .LBB258_989
; %bb.984:                              ;   in Loop: Header=BB258_561 Depth=1
	v_and_b32_e32 v26, 0x7f, v12
	v_mov_b32_e32 v21, 0x7c010000
	s_mov_b32 s27, exec_lo
	s_delay_alu instid0(VALU_DEP_2)
	v_cmpx_ne_u32_e32 0x7f, v26
	s_cbranch_execz .LBB258_988
; %bb.985:                              ;   in Loop: Header=BB258_561 Depth=1
	v_dual_lshrrev_b32 v25, 3, v26 :: v_dual_bitop2_b32 v21, 7, v12 bitop3:0x40
	s_mov_b32 s28, exec_lo
	v_cmpx_gt_u32_e32 8, v26
; %bb.986:                              ;   in Loop: Header=BB258_561 Depth=1
	s_delay_alu instid0(VALU_DEP_2) | instskip(NEXT) | instid1(VALU_DEP_1)
	v_clz_i32_u32_e32 v21, v21
	v_min_u32_e32 v21, 32, v21
	s_delay_alu instid0(VALU_DEP_1) | instskip(NEXT) | instid1(VALU_DEP_1)
	v_subrev_nc_u32_e32 v25, 28, v21
	v_lshlrev_b64_e32 v[26:27], v25, v[12:13]
	s_delay_alu instid0(VALU_DEP_1)
	v_dual_sub_nc_u32 v25, 29, v21 :: v_dual_bitop2_b32 v21, 7, v26 bitop3:0x40
; %bb.987:                              ;   in Loop: Header=BB258_561 Depth=1
	s_or_b32 exec_lo, exec_lo, s28
	s_delay_alu instid0(VALU_DEP_1) | instskip(NEXT) | instid1(VALU_DEP_2)
	v_dual_lshlrev_b32 v12, 8, v12 :: v_dual_lshlrev_b32 v21, 23, v21
	v_lshl_add_u32 v25, v25, 10, 0x2000
	s_delay_alu instid0(VALU_DEP_1) | instskip(NEXT) | instid1(VALU_DEP_1)
	v_and_or_b32 v12, 0x8000, v12, v25
	v_lshl_or_b32 v21, v12, 16, v21
.LBB258_988:                            ;   in Loop: Header=BB258_561 Depth=1
	s_or_b32 exec_lo, exec_lo, s27
.LBB258_989:                            ;   in Loop: Header=BB258_561 Depth=1
	s_delay_alu instid0(SALU_CYCLE_1)
	s_or_b32 exec_lo, exec_lo, s26
.LBB258_990:                            ;   in Loop: Header=BB258_561 Depth=1
	s_delay_alu instid0(SALU_CYCLE_1) | instskip(SKIP_4) | instid1(VALU_DEP_3)
	s_or_b32 exec_lo, exec_lo, s25
	v_and_b32_e32 v27, 0xff, v23
	v_dual_mov_b32 v12, v23 :: v_dual_mov_b32 v26, 0
	v_mov_b32_e32 v25, 0
	s_mov_b32 s25, exec_lo
	v_cmpx_ne_u16_e32 0, v27
	s_cbranch_execz .LBB258_998
; %bb.991:                              ;   in Loop: Header=BB258_561 Depth=1
	v_mov_b32_e32 v25, 0x8000
	s_mov_b32 s26, exec_lo
	v_cmpx_ne_u16_e32 0x80, v27
	s_cbranch_execz .LBB258_997
; %bb.992:                              ;   in Loop: Header=BB258_561 Depth=1
	v_and_b32_e32 v28, 0x7f, v23
	v_mov_b32_e32 v25, 0x7c01
	s_mov_b32 s27, exec_lo
	s_delay_alu instid0(VALU_DEP_2)
	v_cmpx_ne_u32_e32 0x7f, v28
	s_cbranch_execz .LBB258_996
; %bb.993:                              ;   in Loop: Header=BB258_561 Depth=1
	v_dual_lshrrev_b32 v27, 3, v28 :: v_dual_bitop2_b32 v25, 7, v23 bitop3:0x40
	s_mov_b32 s28, exec_lo
	v_cmpx_gt_u32_e32 8, v28
; %bb.994:                              ;   in Loop: Header=BB258_561 Depth=1
	s_delay_alu instid0(VALU_DEP_2) | instskip(NEXT) | instid1(VALU_DEP_1)
	v_clz_i32_u32_e32 v25, v25
	v_min_u32_e32 v25, 32, v25
	s_delay_alu instid0(VALU_DEP_1) | instskip(NEXT) | instid1(VALU_DEP_1)
	v_subrev_nc_u32_e32 v27, 28, v25
	v_lshlrev_b64_e32 v[64:65], v27, v[12:13]
	s_delay_alu instid0(VALU_DEP_1)
	v_dual_sub_nc_u32 v27, 29, v25 :: v_dual_bitop2_b32 v25, 7, v64 bitop3:0x40
; %bb.995:                              ;   in Loop: Header=BB258_561 Depth=1
	s_or_b32 exec_lo, exec_lo, s28
	s_delay_alu instid0(VALU_DEP_1) | instskip(NEXT) | instid1(VALU_DEP_2)
	v_dual_lshlrev_b32 v28, 8, v23 :: v_dual_lshlrev_b32 v25, 7, v25
	v_lshl_add_u32 v27, v27, 10, 0x2000
	s_delay_alu instid0(VALU_DEP_2) | instskip(NEXT) | instid1(VALU_DEP_2)
	v_and_b32_e32 v28, 0x8000, v28
	v_and_b32_e32 v27, 0xfc00, v27
	s_delay_alu instid0(VALU_DEP_1)
	v_or3_b32 v25, v28, v27, v25
.LBB258_996:                            ;   in Loop: Header=BB258_561 Depth=1
	s_or_b32 exec_lo, exec_lo, s27
.LBB258_997:                            ;   in Loop: Header=BB258_561 Depth=1
	s_delay_alu instid0(SALU_CYCLE_1)
	s_or_b32 exec_lo, exec_lo, s26
.LBB258_998:                            ;   in Loop: Header=BB258_561 Depth=1
	s_delay_alu instid0(SALU_CYCLE_1) | instskip(SKIP_3) | instid1(VALU_DEP_2)
	s_or_b32 exec_lo, exec_lo, s25
	v_lshrrev_b16 v12, 8, v12
	v_mov_b32_e32 v27, 0
	s_mov_b32 s25, exec_lo
	v_cmpx_ne_u16_e32 0, v12
	s_cbranch_execz .LBB258_1006
; %bb.999:                              ;   in Loop: Header=BB258_561 Depth=1
	v_bfrev_b32_e32 v27, 1
	s_mov_b32 s26, exec_lo
	v_cmpx_ne_u16_e32 0x80, v12
	s_cbranch_execz .LBB258_1005
; %bb.1000:                             ;   in Loop: Header=BB258_561 Depth=1
	v_and_b32_e32 v28, 0xffff, v12
	v_mov_b32_e32 v27, 0x7c010000
	s_mov_b32 s27, exec_lo
	s_delay_alu instid0(VALU_DEP_2) | instskip(NEXT) | instid1(VALU_DEP_1)
	v_and_b32_e32 v46, 0x7f, v28
	v_cmpx_ne_u32_e32 0x7f, v46
	s_cbranch_execz .LBB258_1004
; %bb.1001:                             ;   in Loop: Header=BB258_561 Depth=1
	v_dual_lshrrev_b32 v45, 3, v46 :: v_dual_bitop2_b32 v27, 7, v28 bitop3:0x40
	s_mov_b32 s28, exec_lo
	v_cmpx_gt_u32_e32 8, v46
; %bb.1002:                             ;   in Loop: Header=BB258_561 Depth=1
	s_delay_alu instid0(VALU_DEP_2) | instskip(NEXT) | instid1(VALU_DEP_1)
	v_clz_i32_u32_e32 v27, v27
	v_min_u32_e32 v27, 32, v27
	s_delay_alu instid0(VALU_DEP_1) | instskip(NEXT) | instid1(VALU_DEP_1)
	v_subrev_nc_u32_e32 v45, 28, v27
	v_lshlrev_b64_e32 v[64:65], v45, v[12:13]
	s_delay_alu instid0(VALU_DEP_1)
	v_dual_sub_nc_u32 v45, 29, v27 :: v_dual_bitop2_b32 v27, 7, v64 bitop3:0x40
; %bb.1003:                             ;   in Loop: Header=BB258_561 Depth=1
	s_or_b32 exec_lo, exec_lo, s28
	s_delay_alu instid0(VALU_DEP_1) | instskip(NEXT) | instid1(VALU_DEP_2)
	v_dual_lshlrev_b32 v12, 8, v28 :: v_dual_lshlrev_b32 v27, 23, v27
	v_lshl_add_u32 v28, v45, 10, 0x2000
	s_delay_alu instid0(VALU_DEP_1) | instskip(NEXT) | instid1(VALU_DEP_1)
	v_and_or_b32 v12, 0x8000, v12, v28
	v_lshl_or_b32 v27, v12, 16, v27
.LBB258_1004:                           ;   in Loop: Header=BB258_561 Depth=1
	s_or_b32 exec_lo, exec_lo, s27
.LBB258_1005:                           ;   in Loop: Header=BB258_561 Depth=1
	s_delay_alu instid0(SALU_CYCLE_1)
	s_or_b32 exec_lo, exec_lo, s26
.LBB258_1006:                           ;   in Loop: Header=BB258_561 Depth=1
	s_delay_alu instid0(SALU_CYCLE_1) | instskip(SKIP_2) | instid1(VALU_DEP_1)
	s_or_b32 exec_lo, exec_lo, s25
	v_lshrrev_b32_e32 v12, 16, v23
	s_mov_b32 s25, exec_lo
	v_and_b32_e32 v28, 0xff, v12
	s_delay_alu instid0(VALU_DEP_1)
	v_cmpx_ne_u16_e32 0, v28
	s_cbranch_execz .LBB258_1014
; %bb.1007:                             ;   in Loop: Header=BB258_561 Depth=1
	v_mov_b32_e32 v26, 0x8000
	s_mov_b32 s26, exec_lo
	v_cmpx_ne_u16_e32 0x80, v28
	s_cbranch_execz .LBB258_1013
; %bb.1008:                             ;   in Loop: Header=BB258_561 Depth=1
	v_bfe_u32 v45, v23, 16, 7
	v_mov_b32_e32 v26, 0x7c01
	s_mov_b32 s27, exec_lo
	s_delay_alu instid0(VALU_DEP_2)
	v_cmpx_ne_u32_e32 0x7f, v45
	s_cbranch_execz .LBB258_1012
; %bb.1009:                             ;   in Loop: Header=BB258_561 Depth=1
	v_dual_lshrrev_b32 v28, 3, v45 :: v_dual_bitop2_b32 v26, 7, v12 bitop3:0x40
	s_mov_b32 s28, exec_lo
	v_cmpx_gt_u32_e32 8, v45
; %bb.1010:                             ;   in Loop: Header=BB258_561 Depth=1
	s_delay_alu instid0(VALU_DEP_2) | instskip(NEXT) | instid1(VALU_DEP_1)
	v_clz_i32_u32_e32 v26, v26
	v_min_u32_e32 v26, 32, v26
	s_delay_alu instid0(VALU_DEP_1) | instskip(NEXT) | instid1(VALU_DEP_1)
	v_subrev_nc_u32_e32 v28, 28, v26
	v_lshlrev_b64_e32 v[64:65], v28, v[12:13]
	s_delay_alu instid0(VALU_DEP_1)
	v_dual_sub_nc_u32 v28, 29, v26 :: v_dual_bitop2_b32 v26, 7, v64 bitop3:0x40
; %bb.1011:                             ;   in Loop: Header=BB258_561 Depth=1
	s_or_b32 exec_lo, exec_lo, s28
	s_delay_alu instid0(VALU_DEP_1) | instskip(NEXT) | instid1(VALU_DEP_2)
	v_dual_lshlrev_b32 v12, 8, v12 :: v_dual_lshlrev_b32 v26, 7, v26
	v_lshl_add_u32 v28, v28, 10, 0x2000
	s_delay_alu instid0(VALU_DEP_2) | instskip(NEXT) | instid1(VALU_DEP_2)
	v_and_b32_e32 v12, 0x8000, v12
	v_and_b32_e32 v28, 0xfc00, v28
	s_delay_alu instid0(VALU_DEP_1)
	v_or3_b32 v26, v12, v28, v26
.LBB258_1012:                           ;   in Loop: Header=BB258_561 Depth=1
	s_or_b32 exec_lo, exec_lo, s27
.LBB258_1013:                           ;   in Loop: Header=BB258_561 Depth=1
	s_delay_alu instid0(SALU_CYCLE_1)
	s_or_b32 exec_lo, exec_lo, s26
.LBB258_1014:                           ;   in Loop: Header=BB258_561 Depth=1
	s_delay_alu instid0(SALU_CYCLE_1)
	s_or_b32 exec_lo, exec_lo, s25
	v_cmp_lt_u64_e64 s0, s[8:9], v[22:23]
	v_mov_b32_e32 v22, 0
	s_and_saveexec_b32 s25, s0
	s_cbranch_execz .LBB258_1022
; %bb.1015:                             ;   in Loop: Header=BB258_561 Depth=1
	v_lshrrev_b32_e32 v12, 24, v23
	v_bfrev_b32_e32 v22, 1
	s_mov_b32 s26, exec_lo
	s_delay_alu instid0(VALU_DEP_2)
	v_cmpx_ne_u32_e32 0x80, v12
	s_cbranch_execz .LBB258_1021
; %bb.1016:                             ;   in Loop: Header=BB258_561 Depth=1
	v_and_b32_e32 v28, 0x7f, v12
	v_mov_b32_e32 v22, 0x7c010000
	s_mov_b32 s27, exec_lo
	s_delay_alu instid0(VALU_DEP_2)
	v_cmpx_ne_u32_e32 0x7f, v28
	s_cbranch_execz .LBB258_1020
; %bb.1017:                             ;   in Loop: Header=BB258_561 Depth=1
	v_and_b32_e32 v22, 7, v12
	v_lshrrev_b32_e32 v23, 3, v28
	s_mov_b32 s28, exec_lo
	v_cmpx_gt_u32_e32 8, v28
; %bb.1018:                             ;   in Loop: Header=BB258_561 Depth=1
	s_delay_alu instid0(VALU_DEP_3) | instskip(NEXT) | instid1(VALU_DEP_1)
	v_clz_i32_u32_e32 v22, v22
	v_min_u32_e32 v28, 32, v22
	s_delay_alu instid0(VALU_DEP_1) | instskip(NEXT) | instid1(VALU_DEP_1)
	v_subrev_nc_u32_e32 v22, 28, v28
	v_lshlrev_b64_e32 v[22:23], v22, v[12:13]
	s_delay_alu instid0(VALU_DEP_1)
	v_dual_sub_nc_u32 v23, 29, v28 :: v_dual_bitop2_b32 v22, 7, v22 bitop3:0x40
; %bb.1019:                             ;   in Loop: Header=BB258_561 Depth=1
	s_or_b32 exec_lo, exec_lo, s28
	s_delay_alu instid0(VALU_DEP_1) | instskip(NEXT) | instid1(VALU_DEP_2)
	v_dual_lshlrev_b32 v12, 8, v12 :: v_dual_lshlrev_b32 v22, 23, v22
	v_lshl_add_u32 v23, v23, 10, 0x2000
	s_delay_alu instid0(VALU_DEP_1) | instskip(NEXT) | instid1(VALU_DEP_1)
	v_and_or_b32 v12, 0x8000, v12, v23
	v_lshl_or_b32 v22, v12, 16, v22
.LBB258_1020:                           ;   in Loop: Header=BB258_561 Depth=1
	s_or_b32 exec_lo, exec_lo, s27
.LBB258_1021:                           ;   in Loop: Header=BB258_561 Depth=1
	s_delay_alu instid0(SALU_CYCLE_1)
	s_or_b32 exec_lo, exec_lo, s26
.LBB258_1022:                           ;   in Loop: Header=BB258_561 Depth=1
	s_delay_alu instid0(SALU_CYCLE_1) | instskip(SKIP_3) | instid1(VALU_DEP_3)
	s_or_b32 exec_lo, exec_lo, s25
	v_dual_lshrrev_b32 v12, 16, v1 :: v_dual_bitop2_b32 v1, v1, v3 bitop3:0x54
	v_dual_lshrrev_b32 v23, 16, v21 :: v_dual_bitop2_b32 v3, v21, v24 bitop3:0x54
	v_lshrrev_b32_e32 v24, 16, v22
	v_cvt_f32_f16_e32 v65, v12
	v_dual_lshrrev_b32 v21, 16, v27 :: v_dual_bitop2_b32 v12, v22, v26 bitop3:0x54
	s_delay_alu instid0(VALU_DEP_4)
	v_cvt_f32_f16_e32 v64, v23
	v_cvt_f32_f16_e32 v22, v3
	v_or_b32_e32 v3, v27, v25
	v_cvt_f32_f16_e32 v23, v1
	v_cvt_f32_f16_e32 v25, v21
	s_wait_loadcnt 0x0
	v_pk_mul_f32 v[64:65], v[20:21], v[64:65] op_sel_hi:[0,1]
	v_cvt_f32_f16_e32 v24, v24
	v_cvt_f32_f16_e32 v26, v12
	;; [unrolled: 1-line block ×3, first 2 shown]
	v_pk_mul_f32 v[22:23], v[20:21], v[22:23] op_sel_hi:[0,1]
	v_cvt_pk_f16_f32 v1, v64, v65
	v_pk_mul_f32 v[24:25], v[20:21], v[24:25] op_sel_hi:[0,1]
	s_delay_alu instid0(VALU_DEP_4) | instskip(NEXT) | instid1(VALU_DEP_4)
	v_pk_mul_f32 v[26:27], v[20:21], v[26:27] op_sel_hi:[0,1]
	v_cvt_pk_f16_f32 v3, v22, v23
	s_delay_alu instid0(VALU_DEP_4) | instskip(NEXT) | instid1(VALU_DEP_4)
	v_and_b32_e32 v21, 0xffff0000, v1
	v_cvt_pk_f16_f32 v12, v24, v25
	v_lshlrev_b32_e32 v22, 16, v1
	v_cvt_pk_f16_f32 v20, v26, v27
	v_lshrrev_b32_e32 v27, 16, v3
	v_and_b32_e32 v28, 0xffff, v3
	v_and_b32_e32 v1, 0xffff0000, v12
	s_delay_alu instid0(VALU_DEP_3) | instskip(SKIP_3) | instid1(VALU_DEP_2)
	v_dual_lshlrev_b32 v12, 16, v12 :: v_dual_bitop2_b32 v25, v21, v27 bitop3:0x54
	v_lshrrev_b32_e32 v3, 16, v20
	v_and_b32_e32 v20, 0xffff, v20
	v_or_b32_e32 v26, v22, v28
	v_or_b32_e32 v24, v12, v20
	s_delay_alu instid0(VALU_DEP_4)
	v_or_b32_e32 v23, v1, v3
	s_and_saveexec_b32 s25, vcc_lo
	s_cbranch_execz .LBB258_1024
; %bb.1023:                             ;   in Loop: Header=BB258_561 Depth=1
	v_cmp_gt_i32_e64 s0, s18, v37
	s_delay_alu instid0(VALU_DEP_1) | instskip(SKIP_1) | instid1(VALU_DEP_1)
	v_cndmask_b32_e64 v23, 0, v27, s0
	v_cmp_gt_i32_e64 s0, s34, v44
	v_cndmask_b32_e64 v24, 0, v28, s0
	v_cmp_gt_i32_e64 s0, s18, v43
	s_delay_alu instid0(VALU_DEP_1) | instskip(SKIP_1) | instid1(VALU_DEP_1)
	v_cndmask_b32_e64 v21, 0, v21, s0
	v_cmp_gt_i32_e64 s0, s34, v42
	v_cndmask_b32_e64 v22, 0, v22, s0
	v_cmp_gt_i32_e64 s0, s18, v41
	s_delay_alu instid0(VALU_DEP_4) | instskip(NEXT) | instid1(VALU_DEP_2)
	v_or_b32_e32 v25, v21, v23
	v_dual_cndmask_b32 v3, 0, v3, s0 :: v_dual_bitop2_b32 v26, v22, v24 bitop3:0x54
	v_cmp_gt_i32_e64 s0, s34, v40
	s_delay_alu instid0(VALU_DEP_1) | instskip(SKIP_1) | instid1(VALU_DEP_1)
	v_cndmask_b32_e64 v20, 0, v20, s0
	v_cmp_gt_i32_e64 s0, s18, v39
	v_cndmask_b32_e64 v1, 0, v1, s0
	v_cmp_gt_i32_e64 s0, s34, v38
	s_delay_alu instid0(VALU_DEP_1) | instskip(NEXT) | instid1(VALU_DEP_1)
	v_dual_cndmask_b32 v12, 0, v12, s0 :: v_dual_bitop2_b32 v23, v1, v3 bitop3:0x54
	v_or_b32_e32 v24, v12, v20
.LBB258_1024:                           ;   in Loop: Header=BB258_561 Depth=1
	s_or_b32 exec_lo, exec_lo, s25
	;;#ASMSTART
	v_pk_mul_f16 v1, v51, v25;

	;;#ASMEND
	;;#ASMSTART
	v_pk_mul_f16 v3, v49, v26;

	;;#ASMEND
	;; [unrolled: 4-line block ×4, first 2 shown]
	;;#ASMSTART
	v_pk_add_f16 v1, v1, v3;

	;;#ASMEND
	;;#ASMSTART
	v_pk_add_f16 v1, v1, v12;

	;;#ASMEND
	;; [unrolled: 4-line block ×3, first 2 shown]
	v_and_b32_e32 v3, 0xffff, v1
	v_lshrrev_b32_e32 v1, 16, v1
	;;#ASMSTART
	v_cvt_f32_f16 v45, v3;
	;;#ASMEND
	v_mov_b32_e32 v3, 0
	;;#ASMSTART
	v_cvt_f32_f16 v46, v1;
	;;#ASMEND
	global_load_b64 v[20:21], v[18:19], off offset:1792
	v_mov_b32_e32 v1, 0
	s_mov_b32 s25, exec_lo
	global_load_b32 v18, v1, s[10:11]
	s_wait_loadcnt 0x1
	v_and_b32_e32 v12, 0xff, v20
	s_wait_xcnt 0x0
	s_delay_alu instid0(VALU_DEP_1)
	v_cmpx_ne_u16_e32 0, v12
	s_cbranch_execz .LBB258_1032
; %bb.1025:                             ;   in Loop: Header=BB258_561 Depth=1
	v_mov_b32_e32 v3, 0x8000
	s_mov_b32 s26, exec_lo
	v_cmpx_ne_u16_e32 0x80, v12
	s_cbranch_execz .LBB258_1031
; %bb.1026:                             ;   in Loop: Header=BB258_561 Depth=1
	v_and_b32_e32 v19, 0x7f, v20
	v_mov_b32_e32 v3, 0x7c01
	s_mov_b32 s27, exec_lo
	s_delay_alu instid0(VALU_DEP_2)
	v_cmpx_ne_u32_e32 0x7f, v19
	s_cbranch_execz .LBB258_1030
; %bb.1027:                             ;   in Loop: Header=BB258_561 Depth=1
	v_dual_lshrrev_b32 v12, 3, v19 :: v_dual_bitop2_b32 v3, 7, v20 bitop3:0x40
	s_mov_b32 s28, exec_lo
	v_cmpx_gt_u32_e32 8, v19
; %bb.1028:                             ;   in Loop: Header=BB258_561 Depth=1
	s_delay_alu instid0(VALU_DEP_2) | instskip(NEXT) | instid1(VALU_DEP_1)
	v_clz_i32_u32_e32 v3, v3
	v_min_u32_e32 v3, 32, v3
	s_delay_alu instid0(VALU_DEP_1) | instskip(NEXT) | instid1(VALU_DEP_1)
	v_subrev_nc_u32_e32 v12, 28, v3
	v_lshlrev_b64_e32 v[22:23], v12, v[20:21]
	s_delay_alu instid0(VALU_DEP_1)
	v_dual_sub_nc_u32 v12, 29, v3 :: v_dual_bitop2_b32 v3, 7, v22 bitop3:0x40
; %bb.1029:                             ;   in Loop: Header=BB258_561 Depth=1
	s_or_b32 exec_lo, exec_lo, s28
	s_delay_alu instid0(VALU_DEP_1) | instskip(NEXT) | instid1(VALU_DEP_2)
	v_dual_lshlrev_b32 v19, 8, v20 :: v_dual_lshlrev_b32 v3, 7, v3
	v_lshl_add_u32 v12, v12, 10, 0x2000
	s_delay_alu instid0(VALU_DEP_2) | instskip(NEXT) | instid1(VALU_DEP_2)
	v_and_b32_e32 v19, 0x8000, v19
	v_and_b32_e32 v12, 0xfc00, v12
	s_delay_alu instid0(VALU_DEP_1)
	v_or3_b32 v3, v19, v12, v3
.LBB258_1030:                           ;   in Loop: Header=BB258_561 Depth=1
	s_or_b32 exec_lo, exec_lo, s27
.LBB258_1031:                           ;   in Loop: Header=BB258_561 Depth=1
	s_delay_alu instid0(SALU_CYCLE_1)
	s_or_b32 exec_lo, exec_lo, s26
.LBB258_1032:                           ;   in Loop: Header=BB258_561 Depth=1
	s_delay_alu instid0(SALU_CYCLE_1) | instskip(SKIP_2) | instid1(VALU_DEP_1)
	s_or_b32 exec_lo, exec_lo, s25
	v_lshrrev_b16 v12, 8, v20
	s_mov_b32 s25, exec_lo
	v_cmpx_ne_u16_e32 0, v12
	s_cbranch_execz .LBB258_1040
; %bb.1033:                             ;   in Loop: Header=BB258_561 Depth=1
	v_bfrev_b32_e32 v1, 1
	s_mov_b32 s26, exec_lo
	v_cmpx_ne_u16_e32 0x80, v12
	s_cbranch_execz .LBB258_1039
; %bb.1034:                             ;   in Loop: Header=BB258_561 Depth=1
	v_and_b32_e32 v19, 0xffff, v12
	v_mov_b32_e32 v1, 0x7c010000
	s_mov_b32 s27, exec_lo
	s_delay_alu instid0(VALU_DEP_2) | instskip(NEXT) | instid1(VALU_DEP_1)
	v_and_b32_e32 v23, 0x7f, v19
	v_cmpx_ne_u32_e32 0x7f, v23
	s_cbranch_execz .LBB258_1038
; %bb.1035:                             ;   in Loop: Header=BB258_561 Depth=1
	v_and_b32_e32 v1, 7, v19
	v_lshrrev_b32_e32 v22, 3, v23
	s_mov_b32 s28, exec_lo
	v_cmpx_gt_u32_e32 8, v23
; %bb.1036:                             ;   in Loop: Header=BB258_561 Depth=1
	s_delay_alu instid0(VALU_DEP_3) | instskip(NEXT) | instid1(VALU_DEP_1)
	v_clz_i32_u32_e32 v1, v1
	v_min_u32_e32 v1, 32, v1
	s_delay_alu instid0(VALU_DEP_1) | instskip(NEXT) | instid1(VALU_DEP_1)
	v_subrev_nc_u32_e32 v22, 28, v1
	v_lshlrev_b64_e32 v[24:25], v22, v[12:13]
	s_delay_alu instid0(VALU_DEP_1)
	v_dual_sub_nc_u32 v22, 29, v1 :: v_dual_bitop2_b32 v1, 7, v24 bitop3:0x40
; %bb.1037:                             ;   in Loop: Header=BB258_561 Depth=1
	s_or_b32 exec_lo, exec_lo, s28
	s_delay_alu instid0(VALU_DEP_1) | instskip(NEXT) | instid1(VALU_DEP_2)
	v_dual_lshlrev_b32 v12, 8, v19 :: v_dual_lshlrev_b32 v1, 23, v1
	v_lshl_add_u32 v19, v22, 10, 0x2000
	s_delay_alu instid0(VALU_DEP_1) | instskip(NEXT) | instid1(VALU_DEP_1)
	v_and_or_b32 v12, 0x8000, v12, v19
	v_lshl_or_b32 v1, v12, 16, v1
.LBB258_1038:                           ;   in Loop: Header=BB258_561 Depth=1
	s_or_b32 exec_lo, exec_lo, s27
.LBB258_1039:                           ;   in Loop: Header=BB258_561 Depth=1
	s_delay_alu instid0(SALU_CYCLE_1)
	s_or_b32 exec_lo, exec_lo, s26
.LBB258_1040:                           ;   in Loop: Header=BB258_561 Depth=1
	s_delay_alu instid0(SALU_CYCLE_1) | instskip(SKIP_3) | instid1(VALU_DEP_2)
	s_or_b32 exec_lo, exec_lo, s25
	v_dual_mov_b32 v19, 0 :: v_dual_lshrrev_b32 v12, 16, v20
	v_mov_b32_e32 v22, 0
	s_mov_b32 s25, exec_lo
	v_and_b32_e32 v23, 0xff, v12
	s_delay_alu instid0(VALU_DEP_1)
	v_cmpx_ne_u16_e32 0, v23
	s_cbranch_execz .LBB258_1048
; %bb.1041:                             ;   in Loop: Header=BB258_561 Depth=1
	v_mov_b32_e32 v22, 0x8000
	s_mov_b32 s26, exec_lo
	v_cmpx_ne_u16_e32 0x80, v23
	s_cbranch_execz .LBB258_1047
; %bb.1042:                             ;   in Loop: Header=BB258_561 Depth=1
	v_bfe_u32 v24, v20, 16, 7
	v_mov_b32_e32 v22, 0x7c01
	s_mov_b32 s27, exec_lo
	s_delay_alu instid0(VALU_DEP_2)
	v_cmpx_ne_u32_e32 0x7f, v24
	s_cbranch_execz .LBB258_1046
; %bb.1043:                             ;   in Loop: Header=BB258_561 Depth=1
	v_and_b32_e32 v22, 7, v12
	v_lshrrev_b32_e32 v23, 3, v24
	s_mov_b32 s28, exec_lo
	v_cmpx_gt_u32_e32 8, v24
; %bb.1044:                             ;   in Loop: Header=BB258_561 Depth=1
	s_delay_alu instid0(VALU_DEP_3) | instskip(NEXT) | instid1(VALU_DEP_1)
	v_clz_i32_u32_e32 v22, v22
	v_min_u32_e32 v24, 32, v22
	s_delay_alu instid0(VALU_DEP_1) | instskip(NEXT) | instid1(VALU_DEP_1)
	v_subrev_nc_u32_e32 v22, 28, v24
	v_lshlrev_b64_e32 v[22:23], v22, v[12:13]
	s_delay_alu instid0(VALU_DEP_1)
	v_dual_sub_nc_u32 v23, 29, v24 :: v_dual_bitop2_b32 v22, 7, v22 bitop3:0x40
; %bb.1045:                             ;   in Loop: Header=BB258_561 Depth=1
	s_or_b32 exec_lo, exec_lo, s28
	s_delay_alu instid0(VALU_DEP_1) | instskip(NEXT) | instid1(VALU_DEP_2)
	v_dual_lshlrev_b32 v12, 8, v12 :: v_dual_lshlrev_b32 v22, 7, v22
	v_lshl_add_u32 v23, v23, 10, 0x2000
	s_delay_alu instid0(VALU_DEP_2) | instskip(NEXT) | instid1(VALU_DEP_2)
	v_and_b32_e32 v12, 0x8000, v12
	v_and_b32_e32 v23, 0xfc00, v23
	s_delay_alu instid0(VALU_DEP_1)
	v_or3_b32 v22, v12, v23, v22
.LBB258_1046:                           ;   in Loop: Header=BB258_561 Depth=1
	s_or_b32 exec_lo, exec_lo, s27
.LBB258_1047:                           ;   in Loop: Header=BB258_561 Depth=1
	s_delay_alu instid0(SALU_CYCLE_1)
	s_or_b32 exec_lo, exec_lo, s26
.LBB258_1048:                           ;   in Loop: Header=BB258_561 Depth=1
	s_delay_alu instid0(SALU_CYCLE_1) | instskip(NEXT) | instid1(SALU_CYCLE_1)
	s_or_b32 exec_lo, exec_lo, s25
	s_mov_b32 s25, exec_lo
	v_cmpx_lt_u32_e32 0xffffff, v20
	s_cbranch_execz .LBB258_1056
; %bb.1049:                             ;   in Loop: Header=BB258_561 Depth=1
	v_lshrrev_b32_e32 v12, 24, v20
	v_bfrev_b32_e32 v19, 1
	s_mov_b32 s26, exec_lo
	s_delay_alu instid0(VALU_DEP_2)
	v_cmpx_ne_u32_e32 0x80, v12
	s_cbranch_execz .LBB258_1055
; %bb.1050:                             ;   in Loop: Header=BB258_561 Depth=1
	v_and_b32_e32 v24, 0x7f, v12
	v_mov_b32_e32 v19, 0x7c010000
	s_mov_b32 s27, exec_lo
	s_delay_alu instid0(VALU_DEP_2)
	v_cmpx_ne_u32_e32 0x7f, v24
	s_cbranch_execz .LBB258_1054
; %bb.1051:                             ;   in Loop: Header=BB258_561 Depth=1
	v_and_b32_e32 v19, 7, v12
	v_lshrrev_b32_e32 v23, 3, v24
	s_mov_b32 s28, exec_lo
	v_cmpx_gt_u32_e32 8, v24
; %bb.1052:                             ;   in Loop: Header=BB258_561 Depth=1
	s_delay_alu instid0(VALU_DEP_3) | instskip(NEXT) | instid1(VALU_DEP_1)
	v_clz_i32_u32_e32 v19, v19
	v_min_u32_e32 v19, 32, v19
	s_delay_alu instid0(VALU_DEP_1) | instskip(NEXT) | instid1(VALU_DEP_1)
	v_subrev_nc_u32_e32 v23, 28, v19
	v_lshlrev_b64_e32 v[24:25], v23, v[12:13]
	s_delay_alu instid0(VALU_DEP_1)
	v_dual_sub_nc_u32 v23, 29, v19 :: v_dual_bitop2_b32 v19, 7, v24 bitop3:0x40
; %bb.1053:                             ;   in Loop: Header=BB258_561 Depth=1
	s_or_b32 exec_lo, exec_lo, s28
	s_delay_alu instid0(VALU_DEP_1) | instskip(NEXT) | instid1(VALU_DEP_2)
	v_dual_lshlrev_b32 v12, 8, v12 :: v_dual_lshlrev_b32 v19, 23, v19
	v_lshl_add_u32 v23, v23, 10, 0x2000
	s_delay_alu instid0(VALU_DEP_1) | instskip(NEXT) | instid1(VALU_DEP_1)
	v_and_or_b32 v12, 0x8000, v12, v23
	v_lshl_or_b32 v19, v12, 16, v19
.LBB258_1054:                           ;   in Loop: Header=BB258_561 Depth=1
	s_or_b32 exec_lo, exec_lo, s27
.LBB258_1055:                           ;   in Loop: Header=BB258_561 Depth=1
	s_delay_alu instid0(SALU_CYCLE_1)
	s_or_b32 exec_lo, exec_lo, s26
.LBB258_1056:                           ;   in Loop: Header=BB258_561 Depth=1
	s_delay_alu instid0(SALU_CYCLE_1) | instskip(SKIP_4) | instid1(VALU_DEP_3)
	s_or_b32 exec_lo, exec_lo, s25
	v_and_b32_e32 v25, 0xff, v21
	v_dual_mov_b32 v12, v21 :: v_dual_mov_b32 v24, 0
	v_mov_b32_e32 v23, 0
	s_mov_b32 s25, exec_lo
	v_cmpx_ne_u16_e32 0, v25
	s_cbranch_execz .LBB258_1064
; %bb.1057:                             ;   in Loop: Header=BB258_561 Depth=1
	v_mov_b32_e32 v23, 0x8000
	s_mov_b32 s26, exec_lo
	v_cmpx_ne_u16_e32 0x80, v25
	s_cbranch_execz .LBB258_1063
; %bb.1058:                             ;   in Loop: Header=BB258_561 Depth=1
	v_and_b32_e32 v26, 0x7f, v21
	v_mov_b32_e32 v23, 0x7c01
	s_mov_b32 s27, exec_lo
	s_delay_alu instid0(VALU_DEP_2)
	v_cmpx_ne_u32_e32 0x7f, v26
	s_cbranch_execz .LBB258_1062
; %bb.1059:                             ;   in Loop: Header=BB258_561 Depth=1
	v_dual_lshrrev_b32 v25, 3, v26 :: v_dual_bitop2_b32 v23, 7, v21 bitop3:0x40
	s_mov_b32 s28, exec_lo
	v_cmpx_gt_u32_e32 8, v26
; %bb.1060:                             ;   in Loop: Header=BB258_561 Depth=1
	s_delay_alu instid0(VALU_DEP_2) | instskip(NEXT) | instid1(VALU_DEP_1)
	v_clz_i32_u32_e32 v23, v23
	v_min_u32_e32 v23, 32, v23
	s_delay_alu instid0(VALU_DEP_1) | instskip(NEXT) | instid1(VALU_DEP_1)
	v_subrev_nc_u32_e32 v25, 28, v23
	v_lshlrev_b64_e32 v[26:27], v25, v[12:13]
	s_delay_alu instid0(VALU_DEP_1)
	v_dual_sub_nc_u32 v25, 29, v23 :: v_dual_bitop2_b32 v23, 7, v26 bitop3:0x40
; %bb.1061:                             ;   in Loop: Header=BB258_561 Depth=1
	s_or_b32 exec_lo, exec_lo, s28
	s_delay_alu instid0(VALU_DEP_1) | instskip(NEXT) | instid1(VALU_DEP_2)
	v_dual_lshlrev_b32 v26, 8, v21 :: v_dual_lshlrev_b32 v23, 7, v23
	v_lshl_add_u32 v25, v25, 10, 0x2000
	s_delay_alu instid0(VALU_DEP_2) | instskip(NEXT) | instid1(VALU_DEP_2)
	v_and_b32_e32 v26, 0x8000, v26
	v_and_b32_e32 v25, 0xfc00, v25
	s_delay_alu instid0(VALU_DEP_1)
	v_or3_b32 v23, v26, v25, v23
.LBB258_1062:                           ;   in Loop: Header=BB258_561 Depth=1
	s_or_b32 exec_lo, exec_lo, s27
.LBB258_1063:                           ;   in Loop: Header=BB258_561 Depth=1
	s_delay_alu instid0(SALU_CYCLE_1)
	s_or_b32 exec_lo, exec_lo, s26
.LBB258_1064:                           ;   in Loop: Header=BB258_561 Depth=1
	s_delay_alu instid0(SALU_CYCLE_1) | instskip(SKIP_3) | instid1(VALU_DEP_2)
	s_or_b32 exec_lo, exec_lo, s25
	v_lshrrev_b16 v12, 8, v12
	v_mov_b32_e32 v25, 0
	s_mov_b32 s25, exec_lo
	v_cmpx_ne_u16_e32 0, v12
	s_cbranch_execz .LBB258_1072
; %bb.1065:                             ;   in Loop: Header=BB258_561 Depth=1
	v_bfrev_b32_e32 v25, 1
	s_mov_b32 s26, exec_lo
	v_cmpx_ne_u16_e32 0x80, v12
	s_cbranch_execz .LBB258_1071
; %bb.1066:                             ;   in Loop: Header=BB258_561 Depth=1
	v_and_b32_e32 v26, 0xffff, v12
	v_mov_b32_e32 v25, 0x7c010000
	s_mov_b32 s27, exec_lo
	s_delay_alu instid0(VALU_DEP_2) | instskip(NEXT) | instid1(VALU_DEP_1)
	v_and_b32_e32 v28, 0x7f, v26
	v_cmpx_ne_u32_e32 0x7f, v28
	s_cbranch_execz .LBB258_1070
; %bb.1067:                             ;   in Loop: Header=BB258_561 Depth=1
	v_dual_lshrrev_b32 v27, 3, v28 :: v_dual_bitop2_b32 v25, 7, v26 bitop3:0x40
	s_mov_b32 s28, exec_lo
	v_cmpx_gt_u32_e32 8, v28
; %bb.1068:                             ;   in Loop: Header=BB258_561 Depth=1
	s_delay_alu instid0(VALU_DEP_2) | instskip(NEXT) | instid1(VALU_DEP_1)
	v_clz_i32_u32_e32 v25, v25
	v_min_u32_e32 v25, 32, v25
	s_delay_alu instid0(VALU_DEP_1) | instskip(NEXT) | instid1(VALU_DEP_1)
	v_subrev_nc_u32_e32 v27, 28, v25
	v_lshlrev_b64_e32 v[64:65], v27, v[12:13]
	s_delay_alu instid0(VALU_DEP_1)
	v_dual_sub_nc_u32 v27, 29, v25 :: v_dual_bitop2_b32 v25, 7, v64 bitop3:0x40
; %bb.1069:                             ;   in Loop: Header=BB258_561 Depth=1
	s_or_b32 exec_lo, exec_lo, s28
	s_delay_alu instid0(VALU_DEP_1) | instskip(NEXT) | instid1(VALU_DEP_2)
	v_dual_lshlrev_b32 v12, 8, v26 :: v_dual_lshlrev_b32 v25, 23, v25
	v_lshl_add_u32 v26, v27, 10, 0x2000
	s_delay_alu instid0(VALU_DEP_1) | instskip(NEXT) | instid1(VALU_DEP_1)
	v_and_or_b32 v12, 0x8000, v12, v26
	v_lshl_or_b32 v25, v12, 16, v25
.LBB258_1070:                           ;   in Loop: Header=BB258_561 Depth=1
	s_or_b32 exec_lo, exec_lo, s27
.LBB258_1071:                           ;   in Loop: Header=BB258_561 Depth=1
	s_delay_alu instid0(SALU_CYCLE_1)
	s_or_b32 exec_lo, exec_lo, s26
.LBB258_1072:                           ;   in Loop: Header=BB258_561 Depth=1
	s_delay_alu instid0(SALU_CYCLE_1) | instskip(SKIP_2) | instid1(VALU_DEP_1)
	s_or_b32 exec_lo, exec_lo, s25
	v_lshrrev_b32_e32 v12, 16, v21
	s_mov_b32 s25, exec_lo
	v_and_b32_e32 v26, 0xff, v12
	s_delay_alu instid0(VALU_DEP_1)
	v_cmpx_ne_u16_e32 0, v26
	s_cbranch_execz .LBB258_1080
; %bb.1073:                             ;   in Loop: Header=BB258_561 Depth=1
	v_mov_b32_e32 v24, 0x8000
	s_mov_b32 s26, exec_lo
	v_cmpx_ne_u16_e32 0x80, v26
	s_cbranch_execz .LBB258_1079
; %bb.1074:                             ;   in Loop: Header=BB258_561 Depth=1
	v_bfe_u32 v27, v21, 16, 7
	v_mov_b32_e32 v24, 0x7c01
	s_mov_b32 s27, exec_lo
	s_delay_alu instid0(VALU_DEP_2)
	v_cmpx_ne_u32_e32 0x7f, v27
	s_cbranch_execz .LBB258_1078
; %bb.1075:                             ;   in Loop: Header=BB258_561 Depth=1
	v_dual_lshrrev_b32 v26, 3, v27 :: v_dual_bitop2_b32 v24, 7, v12 bitop3:0x40
	s_mov_b32 s28, exec_lo
	v_cmpx_gt_u32_e32 8, v27
; %bb.1076:                             ;   in Loop: Header=BB258_561 Depth=1
	s_delay_alu instid0(VALU_DEP_2) | instskip(NEXT) | instid1(VALU_DEP_1)
	v_clz_i32_u32_e32 v24, v24
	v_min_u32_e32 v24, 32, v24
	s_delay_alu instid0(VALU_DEP_1) | instskip(NEXT) | instid1(VALU_DEP_1)
	v_subrev_nc_u32_e32 v26, 28, v24
	v_lshlrev_b64_e32 v[64:65], v26, v[12:13]
	v_sub_nc_u32_e32 v26, 29, v24
	s_delay_alu instid0(VALU_DEP_2)
	v_and_b32_e32 v24, 7, v64
; %bb.1077:                             ;   in Loop: Header=BB258_561 Depth=1
	s_or_b32 exec_lo, exec_lo, s28
	v_lshlrev_b32_e32 v12, 8, v12
	s_delay_alu instid0(VALU_DEP_3) | instskip(NEXT) | instid1(VALU_DEP_3)
	v_lshl_add_u32 v26, v26, 10, 0x2000
	v_lshlrev_b32_e32 v24, 7, v24
	s_delay_alu instid0(VALU_DEP_3) | instskip(NEXT) | instid1(VALU_DEP_3)
	v_and_b32_e32 v12, 0x8000, v12
	v_and_b32_e32 v26, 0xfc00, v26
	s_delay_alu instid0(VALU_DEP_1)
	v_or3_b32 v24, v12, v26, v24
.LBB258_1078:                           ;   in Loop: Header=BB258_561 Depth=1
	s_or_b32 exec_lo, exec_lo, s27
.LBB258_1079:                           ;   in Loop: Header=BB258_561 Depth=1
	s_delay_alu instid0(SALU_CYCLE_1)
	s_or_b32 exec_lo, exec_lo, s26
.LBB258_1080:                           ;   in Loop: Header=BB258_561 Depth=1
	s_delay_alu instid0(SALU_CYCLE_1)
	s_or_b32 exec_lo, exec_lo, s25
	v_cmp_lt_u64_e64 s0, s[8:9], v[20:21]
	v_mov_b32_e32 v20, 0
	s_and_saveexec_b32 s25, s0
	s_cbranch_execz .LBB258_1088
; %bb.1081:                             ;   in Loop: Header=BB258_561 Depth=1
	v_lshrrev_b32_e32 v12, 24, v21
	v_bfrev_b32_e32 v20, 1
	s_mov_b32 s26, exec_lo
	s_delay_alu instid0(VALU_DEP_2)
	v_cmpx_ne_u32_e32 0x80, v12
	s_cbranch_execz .LBB258_1087
; %bb.1082:                             ;   in Loop: Header=BB258_561 Depth=1
	v_and_b32_e32 v26, 0x7f, v12
	v_mov_b32_e32 v20, 0x7c010000
	s_mov_b32 s27, exec_lo
	s_delay_alu instid0(VALU_DEP_2)
	v_cmpx_ne_u32_e32 0x7f, v26
	s_cbranch_execz .LBB258_1086
; %bb.1083:                             ;   in Loop: Header=BB258_561 Depth=1
	v_dual_lshrrev_b32 v21, 3, v26 :: v_dual_bitop2_b32 v20, 7, v12 bitop3:0x40
	s_mov_b32 s28, exec_lo
	v_cmpx_gt_u32_e32 8, v26
; %bb.1084:                             ;   in Loop: Header=BB258_561 Depth=1
	s_delay_alu instid0(VALU_DEP_2) | instskip(NEXT) | instid1(VALU_DEP_1)
	v_clz_i32_u32_e32 v20, v20
	v_min_u32_e32 v26, 32, v20
	s_delay_alu instid0(VALU_DEP_1) | instskip(NEXT) | instid1(VALU_DEP_1)
	v_subrev_nc_u32_e32 v20, 28, v26
	v_lshlrev_b64_e32 v[20:21], v20, v[12:13]
	s_delay_alu instid0(VALU_DEP_1)
	v_dual_sub_nc_u32 v21, 29, v26 :: v_dual_bitop2_b32 v20, 7, v20 bitop3:0x40
; %bb.1085:                             ;   in Loop: Header=BB258_561 Depth=1
	s_or_b32 exec_lo, exec_lo, s28
	v_lshlrev_b32_e32 v12, 8, v12
	s_delay_alu instid0(VALU_DEP_2) | instskip(NEXT) | instid1(VALU_DEP_3)
	v_lshl_add_u32 v21, v21, 10, 0x2000
	v_lshlrev_b32_e32 v20, 23, v20
	s_delay_alu instid0(VALU_DEP_2) | instskip(NEXT) | instid1(VALU_DEP_1)
	v_and_or_b32 v12, 0x8000, v12, v21
	v_lshl_or_b32 v20, v12, 16, v20
.LBB258_1086:                           ;   in Loop: Header=BB258_561 Depth=1
	s_or_b32 exec_lo, exec_lo, s27
.LBB258_1087:                           ;   in Loop: Header=BB258_561 Depth=1
	s_delay_alu instid0(SALU_CYCLE_1)
	s_or_b32 exec_lo, exec_lo, s26
.LBB258_1088:                           ;   in Loop: Header=BB258_561 Depth=1
	s_delay_alu instid0(SALU_CYCLE_1) | instskip(SKIP_3) | instid1(VALU_DEP_3)
	s_or_b32 exec_lo, exec_lo, s25
	v_dual_lshrrev_b32 v12, 16, v1 :: v_dual_lshrrev_b32 v21, 16, v19
	v_or_b32_e32 v1, v1, v3
	v_dual_lshrrev_b32 v22, 16, v20 :: v_dual_bitop2_b32 v3, v19, v22 bitop3:0x54
	v_cvt_f32_f16_e32 v27, v12
	s_delay_alu instid0(VALU_DEP_4) | instskip(SKIP_4) | instid1(VALU_DEP_3)
	v_cvt_f32_f16_e32 v26, v21
	v_lshrrev_b32_e32 v19, 16, v25
	v_cvt_f32_f16_e32 v21, v1
	v_cvt_f32_f16_e32 v22, v22
	s_wait_loadcnt 0x0
	v_pk_mul_f32 v[26:27], v[18:19], v[26:27] op_sel_hi:[0,1]
	s_delay_alu instid0(VALU_DEP_1) | instskip(SKIP_4) | instid1(VALU_DEP_4)
	v_cvt_pk_f16_f32 v1, v26, v27
	v_or_b32_e32 v12, v20, v24
	v_cvt_f32_f16_e32 v20, v3
	v_or_b32_e32 v3, v25, v23
	v_cvt_f32_f16_e32 v23, v19
	v_cvt_f32_f16_e32 v24, v12
	s_delay_alu instid0(VALU_DEP_4) | instskip(NEXT) | instid1(VALU_DEP_4)
	v_pk_mul_f32 v[20:21], v[18:19], v[20:21] op_sel_hi:[0,1]
	v_cvt_f32_f16_e32 v25, v3
	s_delay_alu instid0(VALU_DEP_4) | instskip(SKIP_1) | instid1(VALU_DEP_4)
	v_pk_mul_f32 v[26:27], v[18:19], v[22:23] op_sel_hi:[0,1]
	v_and_b32_e32 v23, 0xffff0000, v1
	v_cvt_pk_f16_f32 v3, v20, v21
	s_delay_alu instid0(VALU_DEP_4) | instskip(NEXT) | instid1(VALU_DEP_4)
	v_pk_mul_f32 v[18:19], v[18:19], v[24:25] op_sel_hi:[0,1]
	v_cvt_pk_f16_f32 v12, v26, v27
	v_lshlrev_b32_e32 v24, 16, v1
	s_delay_alu instid0(VALU_DEP_4) | instskip(NEXT) | instid1(VALU_DEP_4)
	v_and_b32_e32 v26, 0xffff, v3
	v_cvt_pk_f16_f32 v1, v18, v19
	v_lshrrev_b32_e32 v25, 16, v3
	v_and_b32_e32 v19, 0xffff0000, v12
	s_delay_alu instid0(VALU_DEP_4) | instskip(NEXT) | instid1(VALU_DEP_4)
	v_dual_lshlrev_b32 v20, 16, v12 :: v_dual_bitop2_b32 v18, v24, v26 bitop3:0x54
	v_lshrrev_b32_e32 v21, 16, v1
	v_and_b32_e32 v22, 0xffff, v1
	v_or_b32_e32 v3, v23, v25
	s_delay_alu instid0(VALU_DEP_3) | instskip(NEXT) | instid1(VALU_DEP_3)
	v_or_b32_e32 v1, v19, v21
	v_or_b32_e32 v12, v20, v22
	s_and_saveexec_b32 s0, vcc_lo
	s_cbranch_execz .LBB258_559
; %bb.1089:                             ;   in Loop: Header=BB258_561 Depth=1
	v_cmp_gt_i32_e32 vcc_lo, s18, v37
	v_cndmask_b32_e32 v1, 0, v25, vcc_lo
	v_cmp_gt_i32_e32 vcc_lo, s34, v44
	v_cndmask_b32_e32 v12, 0, v26, vcc_lo
	;; [unrolled: 2-line block ×4, first 2 shown]
	v_cmp_gt_i32_e32 vcc_lo, s18, v41
	s_delay_alu instid0(VALU_DEP_4) | instskip(NEXT) | instid1(VALU_DEP_3)
	v_or_b32_e32 v3, v3, v1
	v_dual_cndmask_b32 v21, 0, v21, vcc_lo :: v_dual_bitop2_b32 v18, v18, v12 bitop3:0x54
	v_cmp_gt_i32_e32 vcc_lo, s34, v40
	v_cndmask_b32_e32 v22, 0, v22, vcc_lo
	v_cmp_gt_i32_e32 vcc_lo, s18, v39
	v_cndmask_b32_e32 v19, 0, v19, vcc_lo
	v_cmp_gt_i32_e32 vcc_lo, s34, v38
	s_delay_alu instid0(VALU_DEP_2) | instskip(NEXT) | instid1(VALU_DEP_1)
	v_dual_cndmask_b32 v20, 0, v20, vcc_lo :: v_dual_bitop2_b32 v1, v19, v21 bitop3:0x54
	v_or_b32_e32 v12, v20, v22
	s_branch .LBB258_559
.LBB258_1090:
	s_or_b32 exec_lo, exec_lo, s19
	v_and_b32_e32 v19, 1, v0
.LBB258_1091:
	s_or_b32 exec_lo, exec_lo, s1
	ds_bpermute_b32 v2, v33, v10
	ds_bpermute_b32 v3, v33, v11
	;; [unrolled: 1-line block ×6, first 2 shown]
	v_and_b32_e32 v18, 0x3c1, v0
	v_lshrrev_b32_e32 v1, 1, v32
	s_mov_b32 s0, exec_lo
	ds_bpermute_b32 v12, v33, v4
	ds_bpermute_b32 v13, v33, v5
	s_wait_dscnt 0x0
	s_barrier_signal -1
	s_barrier_wait -1
	v_pk_add_f32 v[10:11], v[10:11], v[2:3]
	v_pk_add_f32 v[8:9], v[8:9], v[14:15]
	;; [unrolled: 1-line block ×3, first 2 shown]
	v_cmpx_ne_u32_e32 64, v18
	s_xor_b32 s0, exec_lo, s0
	s_delay_alu instid0(SALU_CYCLE_1) | instskip(SKIP_3) | instid1(VALU_DEP_3)
	s_or_saveexec_b32 s0, s0
	v_lshrrev_b32_e32 v7, 5, v0
	v_pk_add_f32 v[4:5], v[4:5], v[12:13]
	v_lshl_add_u32 v6, v1, 2, 0x120
	v_lshlrev_b32_e32 v7, 9, v7
	s_xor_b32 exec_lo, exec_lo, s0
	s_cbranch_execz .LBB258_1093
; %bb.1092:
	s_delay_alu instid0(VALU_DEP_1) | instskip(NEXT) | instid1(VALU_DEP_1)
	v_add_nc_u32_e32 v12, v6, v7
	v_add_nc_u32_e32 v13, 0xfffffc00, v12
	;; [unrolled: 1-line block ×8, first 2 shown]
	ds_store_b32 v13, v10
	ds_store_b32 v14, v11
	;; [unrolled: 1-line block ×7, first 2 shown]
	v_and_b32_e32 v19, 1, v0
	v_add_nc_u32_e32 v12, 0xfffffdc0, v12
	ds_store_b32 v12, v5
.LBB258_1093:
	s_or_b32 exec_lo, exec_lo, s0
	v_lshlrev_b32_e32 v1, 2, v1
	s_mov_b32 s1, exec_lo
	v_cmp_eq_u32_e32 vcc_lo, 0, v19
	s_wait_dscnt 0x0
	s_barrier_signal -1
	v_add3_u32 v1, 0x120, v7, v1
	s_barrier_wait -1
	v_cmpx_gt_u32_e32 64, v0
	s_cbranch_execz .LBB258_1104
; %bb.1094:
	s_and_saveexec_b32 s0, vcc_lo
	s_cbranch_execnz .LBB258_1120
; %bb.1095:
	s_or_b32 exec_lo, exec_lo, s0
	s_and_saveexec_b32 s0, vcc_lo
	s_cbranch_execnz .LBB258_1121
.LBB258_1096:
	s_or_b32 exec_lo, exec_lo, s0
	s_and_saveexec_b32 s0, vcc_lo
	s_cbranch_execnz .LBB258_1122
.LBB258_1097:
	s_or_b32 exec_lo, exec_lo, s0
	s_and_saveexec_b32 s0, vcc_lo
	s_cbranch_execnz .LBB258_1123
.LBB258_1098:
	s_or_b32 exec_lo, exec_lo, s0
	s_and_saveexec_b32 s0, vcc_lo
	s_cbranch_execnz .LBB258_1124
.LBB258_1099:
	s_or_b32 exec_lo, exec_lo, s0
	s_and_saveexec_b32 s0, vcc_lo
	s_cbranch_execnz .LBB258_1125
.LBB258_1100:
	s_or_b32 exec_lo, exec_lo, s0
	s_and_saveexec_b32 s0, vcc_lo
	s_cbranch_execnz .LBB258_1126
.LBB258_1101:
	s_or_b32 exec_lo, exec_lo, s0
	s_and_saveexec_b32 s0, vcc_lo
	s_cbranch_execz .LBB258_1103
.LBB258_1102:
	ds_load_b32 v7, v1 offset:448
	s_wait_dscnt 0x0
	v_add_f32_e32 v5, v5, v7
.LBB258_1103:
	s_or_b32 exec_lo, exec_lo, s0
.LBB258_1104:
	s_delay_alu instid0(SALU_CYCLE_1) | instskip(SKIP_4) | instid1(VALU_DEP_1)
	s_or_b32 exec_lo, exec_lo, s1
	v_and_b32_e32 v0, 0x3e1, v0
	s_mov_b32 s1, exec_lo
	s_barrier_signal -1
	s_barrier_wait -1
	v_cmpx_eq_u32_e32 32, v0
	s_cbranch_execz .LBB258_1106
; %bb.1105:
	ds_store_2addr_b32 v6, v10, v11 offset1:16
	ds_store_2addr_b32 v6, v8, v9 offset0:32 offset1:48
	ds_store_2addr_b32 v6, v2, v3 offset0:64 offset1:80
	;; [unrolled: 1-line block ×3, first 2 shown]
.LBB258_1106:
	s_or_b32 exec_lo, exec_lo, s1
	s_wait_dscnt 0x0
	s_barrier_signal -1
	s_barrier_wait -1
	s_and_saveexec_b32 s0, s2
	s_cbranch_execz .LBB258_1117
; %bb.1107:
	s_and_saveexec_b32 s1, vcc_lo
	s_cbranch_execnz .LBB258_1127
; %bb.1108:
	s_or_b32 exec_lo, exec_lo, s1
	s_and_saveexec_b32 s1, vcc_lo
	s_cbranch_execnz .LBB258_1128
.LBB258_1109:
	s_or_b32 exec_lo, exec_lo, s1
	s_and_saveexec_b32 s1, vcc_lo
	s_cbranch_execnz .LBB258_1129
.LBB258_1110:
	s_or_b32 exec_lo, exec_lo, s1
	s_and_saveexec_b32 s1, vcc_lo
	s_cbranch_execnz .LBB258_1130
.LBB258_1111:
	s_or_b32 exec_lo, exec_lo, s1
	s_and_saveexec_b32 s1, vcc_lo
	s_cbranch_execnz .LBB258_1131
.LBB258_1112:
	s_or_b32 exec_lo, exec_lo, s1
	s_and_saveexec_b32 s1, vcc_lo
	s_cbranch_execnz .LBB258_1132
.LBB258_1113:
	s_or_b32 exec_lo, exec_lo, s1
	s_and_saveexec_b32 s1, vcc_lo
	s_cbranch_execnz .LBB258_1133
.LBB258_1114:
	s_or_b32 exec_lo, exec_lo, s1
	s_and_saveexec_b32 s1, vcc_lo
	s_cbranch_execz .LBB258_1116
.LBB258_1115:
	ds_load_b32 v1, v1 offset:448
	s_wait_dscnt 0x0
	v_add_f32_e32 v5, v5, v1
.LBB258_1116:
	s_or_b32 exec_lo, exec_lo, s1
.LBB258_1117:
	s_delay_alu instid0(SALU_CYCLE_1)
	s_or_b32 exec_lo, exec_lo, s0
	s_mov_b32 s1, 0
	s_barrier_signal -1
	s_barrier_wait -1
	s_mov_b32 s0, exec_lo
	v_cmpx_eq_u32_e32 0, v0
	s_cbranch_execz .LBB258_1119
; %bb.1118:
	s_mul_i32 s0, s33, s12
	s_mul_i32 s2, s12, s20
	;; [unrolled: 1-line block ×3, first 2 shown]
	s_lshr_b32 s8, ttmp7, 16
	s_lshl_b32 s4, s0, 7
	s_bfe_u32 s0, ttmp6, 0x40014
	s_ashr_i32 s5, s4, 31
	s_add_co_i32 s0, s0, 1
	s_ashr_i32 s3, s2, 31
	s_mul_i32 s0, s8, s0
	s_bfe_u32 s9, ttmp6, 0x40008
	s_lshl_b64 s[4:5], s[4:5], 1
	s_lshl_b64 s[2:3], s[2:3], 1
	s_add_co_i32 s9, s9, s0
	s_cmp_eq_u32 s30, 0
	s_wait_kmcnt 0x0
	s_add_nc_u64 s[4:5], s[6:7], s[4:5]
	s_cselect_b32 s0, s8, s9
	s_add_nc_u64 s[2:3], s[4:5], s[2:3]
	s_lshl_b32 s0, s0, 8
	;;#ASMSTART
	v_cvt_f16_f32 v0, v10;

	;;#ASMEND
	s_add_nc_u64 s[0:1], s[2:3], s[0:1]
	global_store_b16 v29, v0, s[0:1] scale_offset
	s_wait_xcnt 0x0
	;;#ASMSTART
	v_cvt_f16_f32 v0, v11;

	;;#ASMEND
	global_store_b16 v29, v0, s[0:1] offset:32 scale_offset
	s_wait_xcnt 0x0
	;;#ASMSTART
	v_cvt_f16_f32 v0, v8;

	;;#ASMEND
	global_store_b16 v29, v0, s[0:1] offset:64 scale_offset
	;; [unrolled: 6-line block ×7, first 2 shown]
.LBB258_1119:
	s_sendmsg sendmsg(MSG_DEALLOC_VGPRS)
	s_endpgm
.LBB258_1120:
	ds_load_b32 v7, v1
	s_wait_dscnt 0x0
	v_add_f32_e32 v10, v10, v7
	s_or_b32 exec_lo, exec_lo, s0
	s_and_saveexec_b32 s0, vcc_lo
	s_cbranch_execz .LBB258_1096
.LBB258_1121:
	ds_load_b32 v7, v1 offset:64
	s_wait_dscnt 0x0
	v_add_f32_e32 v11, v11, v7
	s_or_b32 exec_lo, exec_lo, s0
	s_and_saveexec_b32 s0, vcc_lo
	s_cbranch_execz .LBB258_1097
.LBB258_1122:
	ds_load_b32 v7, v1 offset:128
	s_wait_dscnt 0x0
	v_add_f32_e32 v8, v8, v7
	s_or_b32 exec_lo, exec_lo, s0
	s_and_saveexec_b32 s0, vcc_lo
	s_cbranch_execz .LBB258_1098
.LBB258_1123:
	ds_load_b32 v7, v1 offset:192
	s_wait_dscnt 0x0
	v_add_f32_e32 v9, v9, v7
	s_or_b32 exec_lo, exec_lo, s0
	s_and_saveexec_b32 s0, vcc_lo
	s_cbranch_execz .LBB258_1099
.LBB258_1124:
	ds_load_b32 v7, v1 offset:256
	s_wait_dscnt 0x0
	v_add_f32_e32 v2, v2, v7
	s_or_b32 exec_lo, exec_lo, s0
	s_and_saveexec_b32 s0, vcc_lo
	s_cbranch_execz .LBB258_1100
.LBB258_1125:
	ds_load_b32 v7, v1 offset:320
	s_wait_dscnt 0x0
	v_add_f32_e32 v3, v3, v7
	s_or_b32 exec_lo, exec_lo, s0
	s_and_saveexec_b32 s0, vcc_lo
	s_cbranch_execz .LBB258_1101
.LBB258_1126:
	ds_load_b32 v7, v1 offset:384
	s_wait_dscnt 0x0
	v_add_f32_e32 v4, v4, v7
	s_or_b32 exec_lo, exec_lo, s0
	s_and_saveexec_b32 s0, vcc_lo
	s_cbranch_execnz .LBB258_1102
	s_branch .LBB258_1103
.LBB258_1127:
	ds_load_b32 v6, v1
	s_wait_dscnt 0x0
	v_add_f32_e32 v10, v10, v6
	s_or_b32 exec_lo, exec_lo, s1
	s_and_saveexec_b32 s1, vcc_lo
	s_cbranch_execz .LBB258_1109
.LBB258_1128:
	ds_load_b32 v6, v1 offset:64
	s_wait_dscnt 0x0
	v_add_f32_e32 v11, v11, v6
	s_or_b32 exec_lo, exec_lo, s1
	s_and_saveexec_b32 s1, vcc_lo
	s_cbranch_execz .LBB258_1110
.LBB258_1129:
	ds_load_b32 v6, v1 offset:128
	s_wait_dscnt 0x0
	v_add_f32_e32 v8, v8, v6
	s_or_b32 exec_lo, exec_lo, s1
	s_and_saveexec_b32 s1, vcc_lo
	s_cbranch_execz .LBB258_1111
.LBB258_1130:
	ds_load_b32 v6, v1 offset:192
	s_wait_dscnt 0x0
	v_add_f32_e32 v9, v9, v6
	s_or_b32 exec_lo, exec_lo, s1
	s_and_saveexec_b32 s1, vcc_lo
	s_cbranch_execz .LBB258_1112
.LBB258_1131:
	ds_load_b32 v6, v1 offset:256
	s_wait_dscnt 0x0
	v_add_f32_e32 v2, v2, v6
	s_or_b32 exec_lo, exec_lo, s1
	s_and_saveexec_b32 s1, vcc_lo
	s_cbranch_execz .LBB258_1113
.LBB258_1132:
	ds_load_b32 v6, v1 offset:320
	s_wait_dscnt 0x0
	v_add_f32_e32 v3, v3, v6
	s_or_b32 exec_lo, exec_lo, s1
	s_and_saveexec_b32 s1, vcc_lo
	s_cbranch_execz .LBB258_1114
.LBB258_1133:
	ds_load_b32 v6, v1 offset:384
	s_wait_dscnt 0x0
	v_add_f32_e32 v4, v4, v6
	s_or_b32 exec_lo, exec_lo, s1
	s_and_saveexec_b32 s1, vcc_lo
	s_cbranch_execnz .LBB258_1115
	s_branch .LBB258_1116
	.section	.rodata,"a",@progbits
	.p2align	6, 0x0
	.amdhsa_kernel _ZN4vllm25paged_attention_v1_kernelIthLi128ELi16ELi128ELNS_18Fp8KVCacheDataTypeE1ELb1EEEvPT_PKS2_PKT0_S8_ifPKiSA_iPKfiiiSC_SC_iiiii
		.amdhsa_group_segment_fixed_size 288
		.amdhsa_private_segment_fixed_size 0
		.amdhsa_kernarg_size 384
		.amdhsa_user_sgpr_count 2
		.amdhsa_user_sgpr_dispatch_ptr 0
		.amdhsa_user_sgpr_queue_ptr 0
		.amdhsa_user_sgpr_kernarg_segment_ptr 1
		.amdhsa_user_sgpr_dispatch_id 0
		.amdhsa_user_sgpr_kernarg_preload_length 0
		.amdhsa_user_sgpr_kernarg_preload_offset 0
		.amdhsa_user_sgpr_private_segment_size 0
		.amdhsa_wavefront_size32 1
		.amdhsa_uses_dynamic_stack 0
		.amdhsa_enable_private_segment 0
		.amdhsa_system_sgpr_workgroup_id_x 1
		.amdhsa_system_sgpr_workgroup_id_y 1
		.amdhsa_system_sgpr_workgroup_id_z 1
		.amdhsa_system_sgpr_workgroup_info 0
		.amdhsa_system_vgpr_workitem_id 0
		.amdhsa_next_free_vgpr 128
		.amdhsa_next_free_sgpr 46
		.amdhsa_named_barrier_count 0
		.amdhsa_reserve_vcc 1
		.amdhsa_float_round_mode_32 0
		.amdhsa_float_round_mode_16_64 0
		.amdhsa_float_denorm_mode_32 3
		.amdhsa_float_denorm_mode_16_64 3
		.amdhsa_fp16_overflow 0
		.amdhsa_memory_ordered 1
		.amdhsa_forward_progress 1
		.amdhsa_inst_pref_size 255
		.amdhsa_round_robin_scheduling 0
		.amdhsa_exception_fp_ieee_invalid_op 0
		.amdhsa_exception_fp_denorm_src 0
		.amdhsa_exception_fp_ieee_div_zero 0
		.amdhsa_exception_fp_ieee_overflow 0
		.amdhsa_exception_fp_ieee_underflow 0
		.amdhsa_exception_fp_ieee_inexact 0
		.amdhsa_exception_int_div_zero 0
	.end_amdhsa_kernel
	.section	.text._ZN4vllm25paged_attention_v1_kernelIthLi128ELi16ELi128ELNS_18Fp8KVCacheDataTypeE1ELb1EEEvPT_PKS2_PKT0_S8_ifPKiSA_iPKfiiiSC_SC_iiiii,"axG",@progbits,_ZN4vllm25paged_attention_v1_kernelIthLi128ELi16ELi128ELNS_18Fp8KVCacheDataTypeE1ELb1EEEvPT_PKS2_PKT0_S8_ifPKiSA_iPKfiiiSC_SC_iiiii,comdat
.Lfunc_end258:
	.size	_ZN4vllm25paged_attention_v1_kernelIthLi128ELi16ELi128ELNS_18Fp8KVCacheDataTypeE1ELb1EEEvPT_PKS2_PKT0_S8_ifPKiSA_iPKfiiiSC_SC_iiiii, .Lfunc_end258-_ZN4vllm25paged_attention_v1_kernelIthLi128ELi16ELi128ELNS_18Fp8KVCacheDataTypeE1ELb1EEEvPT_PKS2_PKT0_S8_ifPKiSA_iPKfiiiSC_SC_iiiii
                                        ; -- End function
	.set _ZN4vllm25paged_attention_v1_kernelIthLi128ELi16ELi128ELNS_18Fp8KVCacheDataTypeE1ELb1EEEvPT_PKS2_PKT0_S8_ifPKiSA_iPKfiiiSC_SC_iiiii.num_vgpr, 128
	.set _ZN4vllm25paged_attention_v1_kernelIthLi128ELi16ELi128ELNS_18Fp8KVCacheDataTypeE1ELb1EEEvPT_PKS2_PKT0_S8_ifPKiSA_iPKfiiiSC_SC_iiiii.num_agpr, 0
	.set _ZN4vllm25paged_attention_v1_kernelIthLi128ELi16ELi128ELNS_18Fp8KVCacheDataTypeE1ELb1EEEvPT_PKS2_PKT0_S8_ifPKiSA_iPKfiiiSC_SC_iiiii.numbered_sgpr, 46
	.set _ZN4vllm25paged_attention_v1_kernelIthLi128ELi16ELi128ELNS_18Fp8KVCacheDataTypeE1ELb1EEEvPT_PKS2_PKT0_S8_ifPKiSA_iPKfiiiSC_SC_iiiii.num_named_barrier, 0
	.set _ZN4vllm25paged_attention_v1_kernelIthLi128ELi16ELi128ELNS_18Fp8KVCacheDataTypeE1ELb1EEEvPT_PKS2_PKT0_S8_ifPKiSA_iPKfiiiSC_SC_iiiii.private_seg_size, 0
	.set _ZN4vllm25paged_attention_v1_kernelIthLi128ELi16ELi128ELNS_18Fp8KVCacheDataTypeE1ELb1EEEvPT_PKS2_PKT0_S8_ifPKiSA_iPKfiiiSC_SC_iiiii.uses_vcc, 1
	.set _ZN4vllm25paged_attention_v1_kernelIthLi128ELi16ELi128ELNS_18Fp8KVCacheDataTypeE1ELb1EEEvPT_PKS2_PKT0_S8_ifPKiSA_iPKfiiiSC_SC_iiiii.uses_flat_scratch, 0
	.set _ZN4vllm25paged_attention_v1_kernelIthLi128ELi16ELi128ELNS_18Fp8KVCacheDataTypeE1ELb1EEEvPT_PKS2_PKT0_S8_ifPKiSA_iPKfiiiSC_SC_iiiii.has_dyn_sized_stack, 0
	.set _ZN4vllm25paged_attention_v1_kernelIthLi128ELi16ELi128ELNS_18Fp8KVCacheDataTypeE1ELb1EEEvPT_PKS2_PKT0_S8_ifPKiSA_iPKfiiiSC_SC_iiiii.has_recursion, 0
	.set _ZN4vllm25paged_attention_v1_kernelIthLi128ELi16ELi128ELNS_18Fp8KVCacheDataTypeE1ELb1EEEvPT_PKS2_PKT0_S8_ifPKiSA_iPKfiiiSC_SC_iiiii.has_indirect_call, 0
	.section	.AMDGPU.csdata,"",@progbits
; Kernel info:
; codeLenInByte = 40100
; TotalNumSgprs: 48
; NumVgprs: 128
; ScratchSize: 0
; MemoryBound: 0
; FloatMode: 240
; IeeeMode: 1
; LDSByteSize: 288 bytes/workgroup (compile time only)
; SGPRBlocks: 0
; VGPRBlocks: 7
; NumSGPRsForWavesPerEU: 48
; NumVGPRsForWavesPerEU: 128
; NamedBarCnt: 0
; Occupancy: 8
; WaveLimiterHint : 1
; COMPUTE_PGM_RSRC2:SCRATCH_EN: 0
; COMPUTE_PGM_RSRC2:USER_SGPR: 2
; COMPUTE_PGM_RSRC2:TRAP_HANDLER: 0
; COMPUTE_PGM_RSRC2:TGID_X_EN: 1
; COMPUTE_PGM_RSRC2:TGID_Y_EN: 1
; COMPUTE_PGM_RSRC2:TGID_Z_EN: 1
; COMPUTE_PGM_RSRC2:TIDIG_COMP_CNT: 0
	.text
	.p2align	2                               ; -- Begin function _ZN4vllm22paged_attention_kernelIthLi192ELi16ELi128ELNS_18Fp8KVCacheDataTypeE1ELb1ELi0EEEvPfS2_PT_PKS3_PKT0_S9_ifPKiSB_iPKfiiiSD_SD_iiiii
	.type	_ZN4vllm22paged_attention_kernelIthLi192ELi16ELi128ELNS_18Fp8KVCacheDataTypeE1ELb1ELi0EEEvPfS2_PT_PKS3_PKT0_S9_ifPKiSB_iPKfiiiSD_SD_iiiii,@function
_ZN4vllm22paged_attention_kernelIthLi192ELi16ELi128ELNS_18Fp8KVCacheDataTypeE1ELb1ELi0EEEvPfS2_PT_PKS3_PKT0_S9_ifPKiSB_iPKfiiiSD_SD_iiiii: ; @_ZN4vllm22paged_attention_kernelIthLi192ELi16ELi128ELNS_18Fp8KVCacheDataTypeE1ELb1ELi0EEEvPfS2_PT_PKS3_PKT0_S9_ifPKiSB_iPKfiiiSD_SD_iiiii
; %bb.0:
	s_wait_loadcnt_dscnt 0x0
	s_wait_kmcnt 0x0
	s_clause 0x2f
	scratch_store_b32 off, v40, s32 offset:188
	; meta instruction
	scratch_store_b32 off, v41, s32 offset:184
	; meta instruction
	scratch_store_b32 off, v42, s32 offset:180
	; meta instruction
	scratch_store_b32 off, v43, s32 offset:176
	; meta instruction
	scratch_store_b32 off, v44, s32 offset:172
	; meta instruction
	scratch_store_b32 off, v45, s32 offset:168
	; meta instruction
	scratch_store_b32 off, v46, s32 offset:164
	; meta instruction
	scratch_store_b32 off, v47, s32 offset:160
	; meta instruction
	scratch_store_b32 off, v56, s32 offset:156
	; meta instruction
	scratch_store_b32 off, v57, s32 offset:152
	; meta instruction
	scratch_store_b32 off, v58, s32 offset:148
	; meta instruction
	scratch_store_b32 off, v59, s32 offset:144
	; meta instruction
	scratch_store_b32 off, v60, s32 offset:140
	; meta instruction
	scratch_store_b32 off, v61, s32 offset:136
	; meta instruction
	scratch_store_b32 off, v62, s32 offset:132
	; meta instruction
	scratch_store_b32 off, v63, s32 offset:128
	; meta instruction
	scratch_store_b32 off, v72, s32 offset:124
	; meta instruction
	scratch_store_b32 off, v73, s32 offset:120
	; meta instruction
	scratch_store_b32 off, v74, s32 offset:116
	; meta instruction
	scratch_store_b32 off, v75, s32 offset:112
	; meta instruction
	scratch_store_b32 off, v76, s32 offset:108
	; meta instruction
	scratch_store_b32 off, v77, s32 offset:104
	; meta instruction
	scratch_store_b32 off, v78, s32 offset:100
	; meta instruction
	scratch_store_b32 off, v79, s32 offset:96
	; meta instruction
	scratch_store_b32 off, v88, s32 offset:92
	; meta instruction
	scratch_store_b32 off, v89, s32 offset:88
	; meta instruction
	scratch_store_b32 off, v90, s32 offset:84
	; meta instruction
	scratch_store_b32 off, v91, s32 offset:80
	; meta instruction
	scratch_store_b32 off, v92, s32 offset:76
	; meta instruction
	scratch_store_b32 off, v93, s32 offset:72
	; meta instruction
	scratch_store_b32 off, v94, s32 offset:68
	; meta instruction
	scratch_store_b32 off, v95, s32 offset:64
	; meta instruction
	scratch_store_b32 off, v104, s32 offset:60
	; meta instruction
	scratch_store_b32 off, v105, s32 offset:56
	; meta instruction
	scratch_store_b32 off, v106, s32 offset:52
	; meta instruction
	scratch_store_b32 off, v107, s32 offset:48
	; meta instruction
	scratch_store_b32 off, v108, s32 offset:44
	; meta instruction
	scratch_store_b32 off, v109, s32 offset:40
	; meta instruction
	scratch_store_b32 off, v110, s32 offset:36
	; meta instruction
	scratch_store_b32 off, v111, s32 offset:32
	; meta instruction
	scratch_store_b32 off, v120, s32 offset:28
	; meta instruction
	scratch_store_b32 off, v121, s32 offset:24
	; meta instruction
	scratch_store_b32 off, v122, s32 offset:20
	; meta instruction
	scratch_store_b32 off, v123, s32 offset:16
	; meta instruction
	scratch_store_b32 off, v124, s32 offset:12
	; meta instruction
	scratch_store_b32 off, v125, s32 offset:8
	; meta instruction
	scratch_store_b32 off, v126, s32 offset:4
	; meta instruction
	scratch_store_b32 off, v127, s32
	s_bfe_u32 s0, ttmp6, 0x4000c
	s_bfe_u32 s2, ttmp6, 0x40010
	s_add_co_i32 s0, s0, 1
	s_and_b32 s1, ttmp6, 15
	s_mul_i32 s0, ttmp9, s0
	s_and_b32 s4, ttmp7, 0xffff
	s_add_co_i32 s2, s2, 1
	s_add_co_i32 s1, s1, s0
	s_mul_i32 s0, s4, s2
	s_bfe_u32 s2, ttmp6, 0x40004
	s_getreg_b32 s12, hwreg(HW_REG_IB_STS2, 6, 4)
	s_add_co_i32 s2, s2, s0
	s_cmp_eq_u32 s12, 0
	s_mov_b32 s3, 0
	s_cselect_b32 s13, s4, s2
	s_cselect_b32 s0, ttmp9, s1
	s_lshl_b32 s2, s13, 2
	s_clause 0x3
	scratch_store_b64 off, v[20:21], s32 offset:192
	scratch_store_b64 off, v[10:11], s32 offset:236
	scratch_store_b32 off, v9, s32 offset:212
	scratch_store_b64 off, v[0:1], s32 offset:256
	s_wait_xcnt 0x0
	v_add_nc_u64_e32 v[0:1], s[2:3], v[12:13]
	v_dual_mov_b32 v35, 0 :: v_dual_mov_b32 v39, v7
	v_mov_b32_e32 v38, v6
	s_clause 0x1
	s_load_u16 s1, s[8:9], 0x12
	s_load_b32 s2, s[8:9], 0x0
	v_dual_mov_b32 v33, v16 :: v_dual_mov_b32 v32, v15
	flat_load_b32 v12, v[0:1]
	s_wait_xcnt 0x0
	v_sub_nc_u32_e32 v0, 0, v8
	global_load_u16 v6, v35, s[8:9] offset:22
	s_mov_b32 s6, s15
	s_mov_b32 s4, exec_lo
	v_max_i32_e32 v0, v8, v0
	s_delay_alu instid0(VALU_DEP_1) | instskip(NEXT) | instid1(VALU_DEP_1)
	v_cvt_f32_u32_e32 v1, v0
	v_rcp_iflag_f32_e32 v1, v1
	s_wait_kmcnt 0x0
	s_cmp_lg_u32 s1, 0
	s_cselect_b32 s1, -1, 0
	s_delay_alu instid0(SALU_CYCLE_1) | instskip(SKIP_1) | instid1(TRANS32_DEP_1)
	s_cmp_lg_u32 s1, 0
	v_nop
	v_mul_f32_e32 v1, 0x4f7ffffe, v1
	v_sub_nc_u32_e32 v7, 0, v0
	s_add_co_ci_u32 s14, s2, 0
	s_abs_i32 s2, s0
	s_abs_i32 s1, s14
	v_cvt_u32_f32_e32 v1, v1
	s_delay_alu instid0(VALU_DEP_1) | instskip(NEXT) | instid1(VALU_DEP_1)
	v_mul_lo_u32 v7, v7, v1
	v_mul_hi_u32 v7, v1, v7
	s_delay_alu instid0(VALU_DEP_1) | instskip(NEXT) | instid1(VALU_DEP_1)
	v_add_nc_u32_e32 v1, v1, v7
	v_mul_hi_u32 v1, s1, v1
	s_delay_alu instid0(VALU_DEP_1) | instskip(NEXT) | instid1(VALU_DEP_1)
	v_mul_lo_u32 v7, v1, v0
	v_dual_add_nc_u32 v9, 1, v1 :: v_dual_sub_nc_u32 v7, s1, v7
	s_delay_alu instid0(VALU_DEP_1) | instskip(NEXT) | instid1(VALU_DEP_2)
	v_cmp_ge_u32_e32 vcc_lo, v7, v0
	v_dual_cndmask_b32 v1, v1, v9 :: v_dual_sub_nc_u32 v10, v7, v0
	s_delay_alu instid0(VALU_DEP_1) | instskip(NEXT) | instid1(VALU_DEP_2)
	v_dual_cndmask_b32 v7, v7, v10, vcc_lo :: v_dual_bitop2_b32 v9, s14, v8 bitop3:0x14
	v_add_nc_u32_e32 v10, 1, v1
	s_delay_alu instid0(VALU_DEP_2) | instskip(NEXT) | instid1(VALU_DEP_2)
	v_cmp_ge_u32_e32 vcc_lo, v7, v0
	v_dual_cndmask_b32 v0, v1, v10 :: v_dual_ashrrev_i32 v9, 31, v9
	s_delay_alu instid0(VALU_DEP_1) | instskip(NEXT) | instid1(VALU_DEP_1)
	v_xor_b32_e32 v0, v0, v9
	v_sub_nc_u32_e32 v1, v0, v9
	s_delay_alu instid0(VALU_DEP_1) | instskip(NEXT) | instid1(VALU_DEP_1)
	v_sub_nc_u32_e32 v0, 0, v1
	v_max_i32_e32 v0, v1, v0
	s_delay_alu instid0(VALU_DEP_1) | instskip(NEXT) | instid1(VALU_DEP_1)
	v_cvt_f32_u32_e32 v7, v0
	v_rcp_iflag_f32_e32 v7, v7
	v_nop
	s_delay_alu instid0(TRANS32_DEP_1) | instskip(SKIP_1) | instid1(VALU_DEP_2)
	v_mul_f32_e32 v7, 0x4f7ffffe, v7
	v_sub_nc_u32_e32 v9, 0, v0
	v_cvt_u32_f32_e32 v7, v7
	s_delay_alu instid0(VALU_DEP_1) | instskip(NEXT) | instid1(VALU_DEP_1)
	v_mul_lo_u32 v9, v9, v7
	v_mul_hi_u32 v9, v7, v9
	s_delay_alu instid0(VALU_DEP_1)
	v_add_nc_u32_e32 v34, v7, v9
	s_wait_loadcnt 0x0
	v_readfirstlane_b32 s15, v6
	v_mov_b32_e32 v6, v35
	scratch_store_b32 off, v6, s32 offset:208 ; 4-byte Folded Spill
	s_wait_xcnt 0x0
	v_cmpx_ne_u64_e32 0, v[32:33]
	s_cbranch_execz .LBB259_2
; %bb.1:
	s_ashr_i32 s1, s0, 31
	s_delay_alu instid0(SALU_CYCLE_1)
	v_lshl_add_u64 v[6:7], s[0:1], 2, v[32:33]
	flat_load_b32 v6, v[6:7]
	s_wait_loadcnt_dscnt 0x0
	scratch_store_b32 off, v6, s32 offset:208 ; 4-byte Folded Spill
.LBB259_2:
	s_wait_xcnt 0x0
	s_or_b32 exec_lo, exec_lo, s4
	v_mul_u64_e32 v[32:33], s[2:3], v[34:35]
	v_and_b32_e32 v58, 0x3ff, v31
	v_dual_ashrrev_i32 v1, 31, v1 :: v_dual_bitop2_b32 v59, 1, v31 bitop3:0x40
	v_bfe_u32 v6, v31, 1, 9
	s_ashr_i32 s1, s0, 31
	s_delay_alu instid0(VALU_DEP_3)
	v_lshlrev_b32_e32 v50, 3, v58
	s_mul_i32 s4, s0, 0xc0
	s_mov_b32 s3, exec_lo
	scratch_store_b32 off, v6, s32 offset:232 ; 4-byte Folded Spill
	s_wait_xcnt 0x0
	v_cmpx_gt_u32_e32 48, v58
	s_cbranch_execz .LBB259_4
; %bb.3:
	v_mul_lo_u32 v6, v17, s13
	s_ashr_i32 s5, s4, 31
	s_delay_alu instid0(VALU_DEP_1) | instskip(NEXT) | instid1(VALU_DEP_1)
	v_dual_mov_b32 v51, 0 :: v_dual_ashrrev_i32 v7, 31, v6
	v_lshl_add_u64 v[2:3], v[6:7], 1, v[2:3]
	s_delay_alu instid0(VALU_DEP_1) | instskip(NEXT) | instid1(VALU_DEP_1)
	v_lshl_add_u64 v[2:3], s[4:5], 1, v[2:3]
	v_add_nc_u64_e32 v[2:3], v[2:3], v[50:51]
	flat_load_b64 v[2:3], v[2:3]
	scratch_load_b32 v6, off, s32 offset:232 ; 4-byte Folded Reload
	s_wait_loadcnt 0x0
	v_lshlrev_b32_e32 v6, 3, v6
	s_delay_alu instid0(VALU_DEP_1)
	v_mad_u32_u24 v6, 0xc0, v59, v6
	s_wait_dscnt 0x0
	ds_store_b64 v6, v[2:3]
.LBB259_4:
	s_wait_xcnt 0x0
	s_or_b32 exec_lo, exec_lo, s3
	v_dual_sub_nc_u32 v2, 0, v27 :: v_dual_add_nc_u32 v7, 1, v33
	v_mul_lo_u32 v3, v33, v0
	s_wait_storecnt_dscnt 0x0
	s_barrier_signal -1
	s_delay_alu instid0(VALU_DEP_2) | instskip(SKIP_3) | instid1(VALU_DEP_2)
	v_max_i32_e32 v55, v27, v2
	s_barrier_wait -1
                                        ; implicit-def: $vgpr64
	v_xor_b32_e32 v10, s1, v1
	s_mov_b32 s1, exec_lo
	v_cvt_f32_u32_e32 v2, v55
	v_dual_add_nc_u32 v1, -1, v12 :: v_dual_mov_b32 v31, 0
	v_sub_nc_u32_e32 v3, s2, v3
	s_delay_alu instid0(VALU_DEP_3) | instskip(NEXT) | instid1(VALU_DEP_1)
	v_rcp_iflag_f32_e32 v2, v2
	v_sub_nc_u32_e32 v9, v3, v0
	v_cmp_ge_u32_e32 vcc_lo, v3, v0
	s_delay_alu instid0(TRANS32_DEP_1) | instskip(SKIP_1) | instid1(VALU_DEP_4)
	v_mul_f32_e32 v2, 0x4f7ffffe, v2
	v_sub_nc_u32_e32 v6, 0, v55
	v_dual_cndmask_b32 v7, v33, v7, vcc_lo :: v_dual_cndmask_b32 v3, v3, v9, vcc_lo
	s_delay_alu instid0(VALU_DEP_3) | instskip(NEXT) | instid1(VALU_DEP_2)
	v_cvt_u32_f32_e32 v2, v2
	v_add_nc_u32_e32 v9, 1, v7
	s_delay_alu instid0(VALU_DEP_3) | instskip(NEXT) | instid1(VALU_DEP_3)
	v_cmp_ge_u32_e32 vcc_lo, v3, v0
	v_mul_lo_u32 v6, v6, v2
	s_delay_alu instid0(VALU_DEP_3) | instskip(NEXT) | instid1(VALU_DEP_1)
	v_cndmask_b32_e32 v0, v7, v9, vcc_lo
	v_dual_sub_nc_u32 v7, 0, v1 :: v_dual_bitop2_b32 v0, v0, v10 bitop3:0x14
	s_delay_alu instid0(VALU_DEP_1) | instskip(NEXT) | instid1(VALU_DEP_4)
	v_dual_mov_b32 v3, v31 :: v_dual_max_i32 v30, v1, v7
	v_mul_hi_u32 v6, v2, v6
	s_delay_alu instid0(VALU_DEP_3) | instskip(NEXT) | instid1(VALU_DEP_2)
	v_sub_nc_u32_e32 v0, v0, v10
	v_add_nc_u32_e32 v2, v2, v6
	v_cmpx_gt_i32_e32 0, v28
	s_xor_b32 s1, exec_lo, s1
; %bb.5:
	s_delay_alu instid0(VALU_DEP_3) | instskip(NEXT) | instid1(VALU_DEP_1)
	v_mad_u32 v6, v24, v8, v0
                                        ; implicit-def: $vgpr24
	v_mul_lo_u32 v6, v6, v28
                                        ; implicit-def: $vgpr28
	s_delay_alu instid0(VALU_DEP_1)
	v_sub_nc_u32_e32 v64, 1, v6
; %bb.6:
	s_or_saveexec_b32 s1, s1
	v_mul_u64_e32 v[32:33], v[30:31], v[2:3]
	v_dual_ashrrev_i32 v1, 31, v1 :: v_dual_ashrrev_i32 v65, 31, v27
	s_xor_b32 exec_lo, exec_lo, s1
; %bb.7:
	v_mad_u32 v6, s14, v24, s0
	s_delay_alu instid0(VALU_DEP_1)
	v_mad_u32 v64, v6, v28, 1
; %bb.8:
	s_or_b32 exec_lo, exec_lo, s1
	s_delay_alu instid0(VALU_DEP_4)
	v_mul_lo_u32 v6, v33, v55
	v_mul_lo_u32 v14, v14, s13
	;; [unrolled: 1-line block ×3, first 2 shown]
	s_load_b32 s5, s[8:9], 0x8
	v_dual_lshrrev_b32 v70, 5, v58 :: v_dual_bitop2_b32 v1, v1, v65 bitop3:0x14
	v_dual_mov_b32 v48, 0xff7fffff :: v_dual_sub_nc_u32 v19, 0, v26
	s_mov_b32 s16, exec_lo
	s_wait_xcnt 0x0
	s_get_pc_i64 s[8:9]
	s_add_nc_u64 s[8:9], s[8:9], llvm.amdgcn.dynlds.offset.table@rel64+4
	v_dual_add_nc_u32 v7, 1, v33 :: v_dual_sub_nc_u32 v6, v30, v6
	v_dual_add_nc_u32 v8, 15, v12 :: v_dual_ashrrev_i32 v15, 31, v14
	s_delay_alu instid0(VALU_DEP_2) | instskip(SKIP_1) | instid1(VALU_DEP_3)
	v_dual_ashrrev_i32 v17, 31, v16 :: v_dual_sub_nc_u32 v9, v6, v55
	v_cmp_ge_u32_e32 vcc_lo, v6, v55
	v_ashrrev_i32_e32 v10, 31, v8
	s_clause 0x1
	scratch_store_b64 off, v[14:15], s32 offset:244
	scratch_store_b64 off, v[16:17], s32 offset:224
	s_wait_xcnt 0x0
	v_mbcnt_lo_u32_b32 v17, -1, 0
	v_dual_cndmask_b32 v7, v33, v7 :: v_dual_cndmask_b32 v6, v6, v9
	s_delay_alu instid0(VALU_DEP_1) | instskip(NEXT) | instid1(VALU_DEP_2)
	v_add_nc_u32_e32 v9, 1, v7
	v_cmp_ge_u32_e32 vcc_lo, v6, v55
	s_delay_alu instid0(VALU_DEP_2) | instskip(NEXT) | instid1(VALU_DEP_1)
	v_dual_lshrrev_b32 v10, 28, v10 :: v_dual_cndmask_b32 v6, v7, v9, vcc_lo
	v_dual_add_nc_u32 v0, v8, v10 :: v_dual_bitop2_b32 v6, v6, v1 bitop3:0x14
	s_delay_alu instid0(VALU_DEP_1) | instskip(NEXT) | instid1(VALU_DEP_2)
	v_dual_lshrrev_b32 v7, 3, v58 :: v_dual_ashrrev_i32 v66, 4, v0
	v_dual_lshlrev_b32 v8, 4, v70 :: v_dual_sub_nc_u32 v0, v6, v1
	scratch_store_b32 off, v7, s32 offset:252 ; 4-byte Folded Spill
	v_cmp_ge_i32_e64 s0, v70, v66
	v_sub_nc_u32_e32 v67, v0, v25
	s_wait_xcnt 0x0
	v_cmpx_lt_i32_e64 v70, v66
	s_cbranch_execz .LBB259_788
; %bb.9:
	v_max_i32_e32 v27, v26, v19
	s_clause 0x3
	scratch_store_b64 off, v[50:51], s32 offset:288
	scratch_store_b64 off, v[38:39], s32 offset:280
	scratch_store_b32 off, v26, s32 offset:276
	scratch_store_b32 off, v19, s32 offset:296
	v_bfe_u32 v10, v58, 1, 4
	s_ashr_i32 s7, s6, 31
	s_wait_xcnt 0x3
	v_mul_u32_u24_e32 v50, 0xc0, v59
	v_cvt_f32_u32_e32 v0, v27
	s_lshl_b64 s[2:3], s[6:7], 2
	v_mov_b32_e32 v48, 0xff7fffff
	s_add_nc_u64 s[10:11], s[8:9], s[2:3]
	s_mov_b32 s17, 0
	v_rcp_iflag_f32_e32 v0, v0
	s_load_b32 s7, s[10:11], 0x0
	v_cmp_eq_u32_e32 vcc_lo, 0, v59
	v_lshlrev_b32_e32 v9, 2, v10
	v_lshlrev_b32_e32 v30, 4, v70
	s_clause 0x1
	scratch_store_b32 off, v10, s32 offset:216
	scratch_store_b32 off, v70, s32 offset:272
	v_mul_f32_e32 v6, 0x4f7ffffe, v0
	scratch_load_b64 v[0:1], off, s32 offset:224 ; 8-byte Folded Reload
	v_sub_nc_u32_e32 v7, 0, v27
	v_lshl_or_b32 v68, v70, 6, v9
	v_cvt_u32_f32_e32 v6, v6
	s_wait_loadcnt 0x0
	v_add_nc_u64_e32 v[0:1], v[4:5], v[0:1]
	v_dual_mov_b32 v5, 0 :: v_dual_lshlrev_b32 v4, 4, v10
	s_delay_alu instid0(VALU_DEP_3) | instskip(SKIP_1) | instid1(VALU_DEP_2)
	v_mul_lo_u32 v7, v7, v6
	s_wait_xcnt 0x2
	v_dual_mov_b32 v21, v5 :: v_dual_sub_nc_u32 v10, v10, v12
	s_delay_alu instid0(VALU_DEP_3) | instskip(SKIP_1) | instid1(VALU_DEP_1)
	v_add_nc_u64_e32 v[0:1], v[0:1], v[4:5]
	v_lshlrev_b32_e32 v4, 2, v59
	v_add_nc_u64_e32 v[0:1], v[0:1], v[4:5]
	v_mul_hi_u32 v7, v6, v7
	s_clause 0x2
	scratch_store_b64 off, v[0:1], s32 offset:200
	scratch_store_b32 off, v58, s32 offset:264
	scratch_load_b32 v0, off, s32 offset:252
	v_add_nc_u32_e32 v20, v6, v7
	s_wait_loadcnt 0x0
	v_and_b32_e32 v4, 0x7c, v0
	scratch_load_b32 v0, off, s32 offset:208 ; 4-byte Folded Reload
	s_wait_loadcnt 0x0
	v_cmp_neq_f32_e64 s1, 0, v0
	scratch_load_b64 v[0:1], off, s32 offset:244 ; 8-byte Folded Reload
	s_wait_loadcnt 0x0
	v_lshl_add_u64 v[0:1], v[0:1], 2, v[4:5]
	v_add_nc_u32_e32 v4, 1, v10
	s_clause 0x2
	scratch_load_b64 v[10:11], off, s32 offset:236
	scratch_store_b32 off, v59, s32 offset:268
	scratch_store_b32 off, v4, s32 offset:220
	s_wait_loadcnt 0x0
	v_add_nc_u64_e32 v[34:35], v[10:11], v[0:1]
	s_branch .LBB259_12
.LBB259_10:                             ;   in Loop: Header=BB259_12 Depth=1
	s_wait_xcnt 0x0
	s_or_b32 exec_lo, exec_lo, s18
.LBB259_11:                             ;   in Loop: Header=BB259_12 Depth=1
	s_delay_alu instid0(SALU_CYCLE_1) | instskip(SKIP_4) | instid1(VALU_DEP_4)
	s_or_b32 exec_lo, exec_lo, s3
	v_add_nc_u32_e32 v70, 4, v70
	v_add_nc_u64_e32 v[34:35], 16, v[34:35]
	v_add_nc_u32_e32 v30, 64, v30
	v_add_nc_u32_e32 v68, 0x100, v68
	v_cmp_ge_i32_e64 s2, v70, v66
	s_or_b32 s17, s2, s17
	s_delay_alu instid0(SALU_CYCLE_1)
	s_and_not1_b32 exec_lo, exec_lo, s17
	s_cbranch_execz .LBB259_787
.LBB259_12:                             ; =>This Inner Loop Header: Depth=1
	v_mov_b32_e32 v31, v5
	s_wait_dscnt 0x0
	s_delay_alu instid0(VALU_DEP_1) | instskip(NEXT) | instid1(VALU_DEP_1)
	v_mul_u64_e32 v[0:1], v[30:31], v[2:3]
	v_mul_lo_u32 v0, v1, v55
	s_wait_xcnt 0x0
	s_delay_alu instid0(VALU_DEP_1) | instskip(NEXT) | instid1(VALU_DEP_1)
	v_dual_sub_nc_u32 v0, v30, v0 :: v_dual_add_nc_u32 v4, 1, v1
	v_sub_nc_u32_e32 v6, v0, v55
	v_cmp_ge_u32_e64 s2, v0, v55
	s_delay_alu instid0(VALU_DEP_1) | instskip(NEXT) | instid1(VALU_DEP_1)
	v_dual_cndmask_b32 v1, v1, v4, s2 :: v_dual_cndmask_b32 v0, v0, v6, s2
	v_add_nc_u32_e32 v4, 1, v1
	s_delay_alu instid0(VALU_DEP_2) | instskip(NEXT) | instid1(VALU_DEP_1)
	v_cmp_ge_u32_e64 s2, v0, v55
	v_cndmask_b32_e64 v0, v1, v4, s2
	s_delay_alu instid0(VALU_DEP_1) | instskip(NEXT) | instid1(VALU_DEP_1)
	v_xor_b32_e32 v0, v0, v65
	v_sub_nc_u32_e32 v6, v0, v65
	s_delay_alu instid0(VALU_DEP_1) | instskip(NEXT) | instid1(VALU_DEP_1)
	v_add_nc_u32_e32 v7, v6, v64
	v_sub_nc_u32_e32 v0, 0, v7
	v_cmp_le_i32_e64 s3, v6, v67
	s_delay_alu instid0(VALU_DEP_2) | instskip(NEXT) | instid1(VALU_DEP_1)
	v_max_i32_e32 v4, v7, v0
	v_mul_u64_e32 v[0:1], v[4:5], v[20:21]
	s_delay_alu instid0(VALU_DEP_1) | instskip(NEXT) | instid1(VALU_DEP_1)
	v_mul_lo_u32 v0, v1, v27
	v_dual_sub_nc_u32 v0, v4, v0 :: v_dual_ashrrev_i32 v4, 31, v7
	s_delay_alu instid0(VALU_DEP_1) | instskip(SKIP_1) | instid1(VALU_DEP_1)
	v_sub_nc_u32_e32 v1, v0, v27
	v_cmp_ge_u32_e64 s2, v0, v27
	v_cndmask_b32_e64 v0, v0, v1, s2
	s_delay_alu instid0(VALU_DEP_1) | instskip(SKIP_1) | instid1(VALU_DEP_1)
	v_sub_nc_u32_e32 v1, v0, v27
	v_cmp_ge_u32_e64 s2, v0, v27
	v_cndmask_b32_e64 v0, v0, v1, s2
	s_delay_alu instid0(VALU_DEP_1) | instskip(NEXT) | instid1(VALU_DEP_1)
	v_xor_b32_e32 v0, v0, v4
	v_sub_nc_u32_e32 v0, v0, v4
	s_delay_alu instid0(VALU_DEP_1) | instskip(SKIP_1) | instid1(SALU_CYCLE_1)
	v_cmp_ne_u32_e64 s2, 0, v0
	s_and_b32 s2, s2, s3
	s_and_saveexec_b32 s3, s2
	s_delay_alu instid0(SALU_CYCLE_1)
	s_xor_b32 s2, exec_lo, s3
	s_cbranch_execz .LBB259_16
; %bb.13:                               ;   in Loop: Header=BB259_12 Depth=1
	s_and_saveexec_b32 s3, vcc_lo
	s_cbranch_execz .LBB259_15
; %bb.14:                               ;   in Loop: Header=BB259_12 Depth=1
	s_wait_kmcnt 0x0
	v_dual_mov_b32 v1, 0xff7fffff :: v_dual_add_nc_u32 v0, s7, v68
	ds_store_b32 v0, v1
.LBB259_15:                             ;   in Loop: Header=BB259_12 Depth=1
	s_or_b32 exec_lo, exec_lo, s3
.LBB259_16:                             ;   in Loop: Header=BB259_12 Depth=1
	s_and_not1_saveexec_b32 s3, s2
	s_cbranch_execz .LBB259_11
; %bb.17:                               ;   in Loop: Header=BB259_12 Depth=1
	flat_load_b32 v0, v[34:35]
	scratch_load_b64 v[6:7], off, s32 offset:200 ; 8-byte Folded Reload
	v_dual_mov_b32 v71, 0 :: v_dual_mov_b32 v80, 0
	s_mov_b32 s18, exec_lo
	s_wait_loadcnt_dscnt 0x0
	v_mad_nc_i64_i32 v[36:37], v0, v18, v[6:7]
	flat_load_b32 v38, v[36:37]
	scratch_load_b64 v[0:1], off, s32 offset:192 ; 8-byte Folded Reload
	s_wait_loadcnt 0x0
	flat_load_b32 v31, v[0:1]
	s_wait_dscnt 0x1
	s_wait_xcnt 0x0
	v_and_b32_e32 v0, 0xff, v38
	s_delay_alu instid0(VALU_DEP_1)
	v_cmpx_ne_u16_e32 0, v0
	s_cbranch_execz .LBB259_25
; %bb.18:                               ;   in Loop: Header=BB259_12 Depth=1
	v_mov_b32_e32 v80, 0x8000
	s_mov_b32 s19, exec_lo
	v_cmpx_ne_u16_e32 0x80, v0
	s_cbranch_execz .LBB259_24
; %bb.19:                               ;   in Loop: Header=BB259_12 Depth=1
	v_and_b32_e32 v4, 0x7f, v38
	v_mov_b32_e32 v80, 0x7c01
	s_mov_b32 s20, exec_lo
	s_delay_alu instid0(VALU_DEP_2)
	v_cmpx_ne_u32_e32 0x7f, v4
	s_cbranch_execz .LBB259_23
; %bb.20:                               ;   in Loop: Header=BB259_12 Depth=1
	v_dual_lshrrev_b32 v1, 3, v4 :: v_dual_bitop2_b32 v0, 7, v38 bitop3:0x40
	s_mov_b32 s21, exec_lo
	v_cmpx_gt_u32_e32 8, v4
; %bb.21:                               ;   in Loop: Header=BB259_12 Depth=1
	s_delay_alu instid0(VALU_DEP_2) | instskip(NEXT) | instid1(VALU_DEP_1)
	v_clz_i32_u32_e32 v0, v0
	v_min_u32_e32 v4, 32, v0
	s_delay_alu instid0(VALU_DEP_1) | instskip(NEXT) | instid1(VALU_DEP_1)
	v_subrev_nc_u32_e32 v0, 28, v4
	v_lshlrev_b64_e32 v[0:1], v0, v[38:39]
	v_sub_nc_u32_e32 v1, 29, v4
	s_delay_alu instid0(VALU_DEP_2)
	v_and_b32_e32 v0, 7, v0
; %bb.22:                               ;   in Loop: Header=BB259_12 Depth=1
	s_or_b32 exec_lo, exec_lo, s21
	s_delay_alu instid0(VALU_DEP_1) | instskip(NEXT) | instid1(VALU_DEP_3)
	v_dual_lshlrev_b32 v4, 8, v38 :: v_dual_lshlrev_b32 v0, 7, v0
	v_lshl_add_u32 v1, v1, 10, 0x2000
	s_delay_alu instid0(VALU_DEP_2) | instskip(NEXT) | instid1(VALU_DEP_2)
	v_and_b32_e32 v4, 0x8000, v4
	v_and_b32_e32 v1, 0xfc00, v1
	s_delay_alu instid0(VALU_DEP_1)
	v_or3_b32 v80, v4, v1, v0
.LBB259_23:                             ;   in Loop: Header=BB259_12 Depth=1
	s_or_b32 exec_lo, exec_lo, s20
.LBB259_24:                             ;   in Loop: Header=BB259_12 Depth=1
	s_delay_alu instid0(SALU_CYCLE_1)
	s_or_b32 exec_lo, exec_lo, s19
.LBB259_25:                             ;   in Loop: Header=BB259_12 Depth=1
	s_delay_alu instid0(SALU_CYCLE_1) | instskip(SKIP_2) | instid1(VALU_DEP_1)
	s_or_b32 exec_lo, exec_lo, s18
	v_lshrrev_b16 v4, 8, v38
	s_mov_b32 s18, exec_lo
	v_cmpx_ne_u16_e32 0, v4
	s_cbranch_execz .LBB259_33
; %bb.26:                               ;   in Loop: Header=BB259_12 Depth=1
	v_bfrev_b32_e32 v71, 1
	s_mov_b32 s19, exec_lo
	v_cmpx_ne_u16_e32 0x80, v4
	s_cbranch_execz .LBB259_32
; %bb.27:                               ;   in Loop: Header=BB259_12 Depth=1
	v_and_b32_e32 v0, 0xffff, v4
	v_mov_b32_e32 v71, 0x7c010000
	s_mov_b32 s20, exec_lo
	s_delay_alu instid0(VALU_DEP_2) | instskip(NEXT) | instid1(VALU_DEP_1)
	v_and_b32_e32 v7, 0x7f, v0
	v_cmpx_ne_u32_e32 0x7f, v7
	s_cbranch_execz .LBB259_31
; %bb.28:                               ;   in Loop: Header=BB259_12 Depth=1
	v_dual_lshrrev_b32 v6, 3, v7 :: v_dual_bitop2_b32 v1, 7, v0 bitop3:0x40
	s_mov_b32 s21, exec_lo
	v_cmpx_gt_u32_e32 8, v7
; %bb.29:                               ;   in Loop: Header=BB259_12 Depth=1
	s_delay_alu instid0(VALU_DEP_2) | instskip(NEXT) | instid1(VALU_DEP_1)
	v_clz_i32_u32_e32 v1, v1
	v_min_u32_e32 v1, 32, v1
	s_delay_alu instid0(VALU_DEP_1) | instskip(NEXT) | instid1(VALU_DEP_1)
	v_subrev_nc_u32_e32 v6, 28, v1
	v_lshlrev_b64_e32 v[10:11], v6, v[4:5]
	s_delay_alu instid0(VALU_DEP_1)
	v_dual_sub_nc_u32 v6, 29, v1 :: v_dual_bitop2_b32 v1, 7, v10 bitop3:0x40
; %bb.30:                               ;   in Loop: Header=BB259_12 Depth=1
	s_or_b32 exec_lo, exec_lo, s21
	s_delay_alu instid0(VALU_DEP_1) | instskip(NEXT) | instid1(VALU_DEP_2)
	v_dual_lshlrev_b32 v0, 8, v0 :: v_dual_lshlrev_b32 v1, 23, v1
	v_lshl_add_u32 v4, v6, 10, 0x2000
	s_delay_alu instid0(VALU_DEP_1) | instskip(NEXT) | instid1(VALU_DEP_1)
	v_and_or_b32 v0, 0x8000, v0, v4
	v_lshl_or_b32 v71, v0, 16, v1
.LBB259_31:                             ;   in Loop: Header=BB259_12 Depth=1
	s_or_b32 exec_lo, exec_lo, s20
.LBB259_32:                             ;   in Loop: Header=BB259_12 Depth=1
	s_delay_alu instid0(SALU_CYCLE_1)
	s_or_b32 exec_lo, exec_lo, s19
.LBB259_33:                             ;   in Loop: Header=BB259_12 Depth=1
	s_delay_alu instid0(SALU_CYCLE_1) | instskip(SKIP_3) | instid1(VALU_DEP_2)
	s_or_b32 exec_lo, exec_lo, s18
	v_dual_mov_b32 v81, 0 :: v_dual_lshrrev_b32 v4, 16, v38
	v_mov_b32_e32 v82, 0
	s_mov_b32 s18, exec_lo
	v_and_b32_e32 v0, 0xff, v4
	s_delay_alu instid0(VALU_DEP_1)
	v_cmpx_ne_u16_e32 0, v0
	s_cbranch_execz .LBB259_41
; %bb.34:                               ;   in Loop: Header=BB259_12 Depth=1
	v_mov_b32_e32 v82, 0x8000
	s_mov_b32 s19, exec_lo
	v_cmpx_ne_u16_e32 0x80, v0
	s_cbranch_execz .LBB259_40
; %bb.35:                               ;   in Loop: Header=BB259_12 Depth=1
	v_bfe_u32 v6, v38, 16, 7
	v_mov_b32_e32 v82, 0x7c01
	s_mov_b32 s20, exec_lo
	s_delay_alu instid0(VALU_DEP_2)
	v_cmpx_ne_u32_e32 0x7f, v6
	s_cbranch_execz .LBB259_39
; %bb.36:                               ;   in Loop: Header=BB259_12 Depth=1
	v_dual_lshrrev_b32 v1, 3, v6 :: v_dual_bitop2_b32 v0, 7, v4 bitop3:0x40
	s_mov_b32 s21, exec_lo
	v_cmpx_gt_u32_e32 8, v6
; %bb.37:                               ;   in Loop: Header=BB259_12 Depth=1
	s_delay_alu instid0(VALU_DEP_2) | instskip(NEXT) | instid1(VALU_DEP_1)
	v_clz_i32_u32_e32 v0, v0
	v_min_u32_e32 v6, 32, v0
	s_delay_alu instid0(VALU_DEP_1) | instskip(NEXT) | instid1(VALU_DEP_1)
	v_subrev_nc_u32_e32 v0, 28, v6
	v_lshlrev_b64_e32 v[0:1], v0, v[4:5]
	s_delay_alu instid0(VALU_DEP_1)
	v_dual_sub_nc_u32 v1, 29, v6 :: v_dual_bitop2_b32 v0, 7, v0 bitop3:0x40
; %bb.38:                               ;   in Loop: Header=BB259_12 Depth=1
	s_or_b32 exec_lo, exec_lo, s21
	v_lshlrev_b32_e32 v4, 8, v4
	s_delay_alu instid0(VALU_DEP_2) | instskip(NEXT) | instid1(VALU_DEP_3)
	v_lshl_add_u32 v1, v1, 10, 0x2000
	v_lshlrev_b32_e32 v0, 7, v0
	s_delay_alu instid0(VALU_DEP_3) | instskip(NEXT) | instid1(VALU_DEP_3)
	v_and_b32_e32 v4, 0x8000, v4
	v_and_b32_e32 v1, 0xfc00, v1
	s_delay_alu instid0(VALU_DEP_1)
	v_or3_b32 v82, v4, v1, v0
.LBB259_39:                             ;   in Loop: Header=BB259_12 Depth=1
	s_or_b32 exec_lo, exec_lo, s20
.LBB259_40:                             ;   in Loop: Header=BB259_12 Depth=1
	s_delay_alu instid0(SALU_CYCLE_1)
	s_or_b32 exec_lo, exec_lo, s19
.LBB259_41:                             ;   in Loop: Header=BB259_12 Depth=1
	s_delay_alu instid0(SALU_CYCLE_1) | instskip(NEXT) | instid1(SALU_CYCLE_1)
	s_or_b32 exec_lo, exec_lo, s18
	s_mov_b32 s18, exec_lo
	v_cmpx_lt_u32_e32 0xffffff, v38
	s_cbranch_execz .LBB259_49
; %bb.42:                               ;   in Loop: Header=BB259_12 Depth=1
	v_lshrrev_b32_e32 v4, 24, v38
	v_bfrev_b32_e32 v81, 1
	s_mov_b32 s19, exec_lo
	s_delay_alu instid0(VALU_DEP_2)
	v_cmpx_ne_u32_e32 0x80, v4
	s_cbranch_execz .LBB259_48
; %bb.43:                               ;   in Loop: Header=BB259_12 Depth=1
	v_and_b32_e32 v6, 0x7f, v4
	v_mov_b32_e32 v81, 0x7c010000
	s_mov_b32 s20, exec_lo
	s_delay_alu instid0(VALU_DEP_2)
	v_cmpx_ne_u32_e32 0x7f, v6
	s_cbranch_execz .LBB259_47
; %bb.44:                               ;   in Loop: Header=BB259_12 Depth=1
	v_dual_lshrrev_b32 v1, 3, v6 :: v_dual_bitop2_b32 v0, 7, v4 bitop3:0x40
	s_mov_b32 s21, exec_lo
	v_cmpx_gt_u32_e32 8, v6
; %bb.45:                               ;   in Loop: Header=BB259_12 Depth=1
	s_delay_alu instid0(VALU_DEP_2) | instskip(NEXT) | instid1(VALU_DEP_1)
	v_clz_i32_u32_e32 v0, v0
	v_min_u32_e32 v6, 32, v0
	s_delay_alu instid0(VALU_DEP_1) | instskip(NEXT) | instid1(VALU_DEP_1)
	v_subrev_nc_u32_e32 v0, 28, v6
	v_lshlrev_b64_e32 v[0:1], v0, v[4:5]
	s_delay_alu instid0(VALU_DEP_1)
	v_dual_sub_nc_u32 v1, 29, v6 :: v_dual_bitop2_b32 v0, 7, v0 bitop3:0x40
; %bb.46:                               ;   in Loop: Header=BB259_12 Depth=1
	s_or_b32 exec_lo, exec_lo, s21
	v_lshlrev_b32_e32 v4, 8, v4
	s_delay_alu instid0(VALU_DEP_2) | instskip(NEXT) | instid1(VALU_DEP_3)
	v_lshl_add_u32 v1, v1, 10, 0x2000
	v_lshlrev_b32_e32 v0, 23, v0
	s_delay_alu instid0(VALU_DEP_2) | instskip(NEXT) | instid1(VALU_DEP_1)
	v_and_or_b32 v1, 0x8000, v4, v1
	v_lshl_or_b32 v81, v1, 16, v0
.LBB259_47:                             ;   in Loop: Header=BB259_12 Depth=1
	s_or_b32 exec_lo, exec_lo, s20
.LBB259_48:                             ;   in Loop: Header=BB259_12 Depth=1
	s_delay_alu instid0(SALU_CYCLE_1)
	s_or_b32 exec_lo, exec_lo, s19
.LBB259_49:                             ;   in Loop: Header=BB259_12 Depth=1
	s_delay_alu instid0(SALU_CYCLE_1)
	s_or_b32 exec_lo, exec_lo, s18
	flat_load_b32 v38, v[36:37] offset:8
	v_dual_mov_b32 v83, 0 :: v_dual_mov_b32 v84, 0
	s_mov_b32 s18, exec_lo
	s_wait_loadcnt_dscnt 0x0
	v_and_b32_e32 v0, 0xff, v38
	s_wait_xcnt 0x0
	s_delay_alu instid0(VALU_DEP_1)
	v_cmpx_ne_u16_e32 0, v0
	s_cbranch_execz .LBB259_57
; %bb.50:                               ;   in Loop: Header=BB259_12 Depth=1
	v_mov_b32_e32 v84, 0x8000
	s_mov_b32 s19, exec_lo
	v_cmpx_ne_u16_e32 0x80, v0
	s_cbranch_execz .LBB259_56
; %bb.51:                               ;   in Loop: Header=BB259_12 Depth=1
	v_and_b32_e32 v4, 0x7f, v38
	v_mov_b32_e32 v84, 0x7c01
	s_mov_b32 s20, exec_lo
	s_delay_alu instid0(VALU_DEP_2)
	v_cmpx_ne_u32_e32 0x7f, v4
	s_cbranch_execz .LBB259_55
; %bb.52:                               ;   in Loop: Header=BB259_12 Depth=1
	v_dual_lshrrev_b32 v1, 3, v4 :: v_dual_bitop2_b32 v0, 7, v38 bitop3:0x40
	s_mov_b32 s21, exec_lo
	v_cmpx_gt_u32_e32 8, v4
; %bb.53:                               ;   in Loop: Header=BB259_12 Depth=1
	s_delay_alu instid0(VALU_DEP_2) | instskip(NEXT) | instid1(VALU_DEP_1)
	v_clz_i32_u32_e32 v0, v0
	v_min_u32_e32 v4, 32, v0
	s_delay_alu instid0(VALU_DEP_1) | instskip(NEXT) | instid1(VALU_DEP_1)
	v_subrev_nc_u32_e32 v0, 28, v4
	v_lshlrev_b64_e32 v[0:1], v0, v[38:39]
	v_sub_nc_u32_e32 v1, 29, v4
	s_delay_alu instid0(VALU_DEP_2)
	v_and_b32_e32 v0, 7, v0
; %bb.54:                               ;   in Loop: Header=BB259_12 Depth=1
	s_or_b32 exec_lo, exec_lo, s21
	s_delay_alu instid0(VALU_DEP_1) | instskip(NEXT) | instid1(VALU_DEP_3)
	v_dual_lshlrev_b32 v4, 8, v38 :: v_dual_lshlrev_b32 v0, 7, v0
	v_lshl_add_u32 v1, v1, 10, 0x2000
	s_delay_alu instid0(VALU_DEP_2) | instskip(NEXT) | instid1(VALU_DEP_2)
	v_and_b32_e32 v4, 0x8000, v4
	v_and_b32_e32 v1, 0xfc00, v1
	s_delay_alu instid0(VALU_DEP_1)
	v_or3_b32 v84, v4, v1, v0
.LBB259_55:                             ;   in Loop: Header=BB259_12 Depth=1
	s_or_b32 exec_lo, exec_lo, s20
.LBB259_56:                             ;   in Loop: Header=BB259_12 Depth=1
	s_delay_alu instid0(SALU_CYCLE_1)
	s_or_b32 exec_lo, exec_lo, s19
.LBB259_57:                             ;   in Loop: Header=BB259_12 Depth=1
	s_delay_alu instid0(SALU_CYCLE_1) | instskip(SKIP_2) | instid1(VALU_DEP_1)
	s_or_b32 exec_lo, exec_lo, s18
	v_lshrrev_b16 v4, 8, v38
	s_mov_b32 s18, exec_lo
	v_cmpx_ne_u16_e32 0, v4
	s_cbranch_execz .LBB259_65
; %bb.58:                               ;   in Loop: Header=BB259_12 Depth=1
	v_bfrev_b32_e32 v83, 1
	s_mov_b32 s19, exec_lo
	v_cmpx_ne_u16_e32 0x80, v4
	s_cbranch_execz .LBB259_64
; %bb.59:                               ;   in Loop: Header=BB259_12 Depth=1
	v_and_b32_e32 v0, 0xffff, v4
	v_mov_b32_e32 v83, 0x7c010000
	s_mov_b32 s20, exec_lo
	s_delay_alu instid0(VALU_DEP_2) | instskip(NEXT) | instid1(VALU_DEP_1)
	v_and_b32_e32 v7, 0x7f, v0
	v_cmpx_ne_u32_e32 0x7f, v7
	s_cbranch_execz .LBB259_63
; %bb.60:                               ;   in Loop: Header=BB259_12 Depth=1
	v_dual_lshrrev_b32 v6, 3, v7 :: v_dual_bitop2_b32 v1, 7, v0 bitop3:0x40
	s_mov_b32 s21, exec_lo
	v_cmpx_gt_u32_e32 8, v7
; %bb.61:                               ;   in Loop: Header=BB259_12 Depth=1
	s_delay_alu instid0(VALU_DEP_2) | instskip(NEXT) | instid1(VALU_DEP_1)
	v_clz_i32_u32_e32 v1, v1
	v_min_u32_e32 v1, 32, v1
	s_delay_alu instid0(VALU_DEP_1) | instskip(NEXT) | instid1(VALU_DEP_1)
	v_subrev_nc_u32_e32 v6, 28, v1
	v_lshlrev_b64_e32 v[10:11], v6, v[4:5]
	s_delay_alu instid0(VALU_DEP_1)
	v_dual_sub_nc_u32 v6, 29, v1 :: v_dual_bitop2_b32 v1, 7, v10 bitop3:0x40
; %bb.62:                               ;   in Loop: Header=BB259_12 Depth=1
	s_or_b32 exec_lo, exec_lo, s21
	s_delay_alu instid0(VALU_DEP_1) | instskip(NEXT) | instid1(VALU_DEP_2)
	v_dual_lshlrev_b32 v0, 8, v0 :: v_dual_lshlrev_b32 v1, 23, v1
	v_lshl_add_u32 v4, v6, 10, 0x2000
	s_delay_alu instid0(VALU_DEP_1) | instskip(NEXT) | instid1(VALU_DEP_1)
	v_and_or_b32 v0, 0x8000, v0, v4
	v_lshl_or_b32 v83, v0, 16, v1
.LBB259_63:                             ;   in Loop: Header=BB259_12 Depth=1
	s_or_b32 exec_lo, exec_lo, s20
.LBB259_64:                             ;   in Loop: Header=BB259_12 Depth=1
	s_delay_alu instid0(SALU_CYCLE_1)
	s_or_b32 exec_lo, exec_lo, s19
.LBB259_65:                             ;   in Loop: Header=BB259_12 Depth=1
	s_delay_alu instid0(SALU_CYCLE_1) | instskip(SKIP_3) | instid1(VALU_DEP_2)
	s_or_b32 exec_lo, exec_lo, s18
	v_dual_mov_b32 v85, 0 :: v_dual_lshrrev_b32 v4, 16, v38
	v_mov_b32_e32 v86, 0
	s_mov_b32 s18, exec_lo
	v_and_b32_e32 v0, 0xff, v4
	s_delay_alu instid0(VALU_DEP_1)
	v_cmpx_ne_u16_e32 0, v0
	s_cbranch_execz .LBB259_73
; %bb.66:                               ;   in Loop: Header=BB259_12 Depth=1
	v_mov_b32_e32 v86, 0x8000
	s_mov_b32 s19, exec_lo
	v_cmpx_ne_u16_e32 0x80, v0
	s_cbranch_execz .LBB259_72
; %bb.67:                               ;   in Loop: Header=BB259_12 Depth=1
	v_bfe_u32 v6, v38, 16, 7
	v_mov_b32_e32 v86, 0x7c01
	s_mov_b32 s20, exec_lo
	s_delay_alu instid0(VALU_DEP_2)
	v_cmpx_ne_u32_e32 0x7f, v6
	s_cbranch_execz .LBB259_71
; %bb.68:                               ;   in Loop: Header=BB259_12 Depth=1
	v_dual_lshrrev_b32 v1, 3, v6 :: v_dual_bitop2_b32 v0, 7, v4 bitop3:0x40
	s_mov_b32 s21, exec_lo
	v_cmpx_gt_u32_e32 8, v6
; %bb.69:                               ;   in Loop: Header=BB259_12 Depth=1
	s_delay_alu instid0(VALU_DEP_2) | instskip(NEXT) | instid1(VALU_DEP_1)
	v_clz_i32_u32_e32 v0, v0
	v_min_u32_e32 v6, 32, v0
	s_delay_alu instid0(VALU_DEP_1) | instskip(NEXT) | instid1(VALU_DEP_1)
	v_subrev_nc_u32_e32 v0, 28, v6
	v_lshlrev_b64_e32 v[0:1], v0, v[4:5]
	s_delay_alu instid0(VALU_DEP_1)
	v_dual_sub_nc_u32 v1, 29, v6 :: v_dual_bitop2_b32 v0, 7, v0 bitop3:0x40
; %bb.70:                               ;   in Loop: Header=BB259_12 Depth=1
	s_or_b32 exec_lo, exec_lo, s21
	v_lshlrev_b32_e32 v4, 8, v4
	s_delay_alu instid0(VALU_DEP_2) | instskip(NEXT) | instid1(VALU_DEP_3)
	v_lshl_add_u32 v1, v1, 10, 0x2000
	v_lshlrev_b32_e32 v0, 7, v0
	s_delay_alu instid0(VALU_DEP_3) | instskip(NEXT) | instid1(VALU_DEP_3)
	v_and_b32_e32 v4, 0x8000, v4
	v_and_b32_e32 v1, 0xfc00, v1
	s_delay_alu instid0(VALU_DEP_1)
	v_or3_b32 v86, v4, v1, v0
.LBB259_71:                             ;   in Loop: Header=BB259_12 Depth=1
	s_or_b32 exec_lo, exec_lo, s20
.LBB259_72:                             ;   in Loop: Header=BB259_12 Depth=1
	s_delay_alu instid0(SALU_CYCLE_1)
	s_or_b32 exec_lo, exec_lo, s19
.LBB259_73:                             ;   in Loop: Header=BB259_12 Depth=1
	s_delay_alu instid0(SALU_CYCLE_1) | instskip(NEXT) | instid1(SALU_CYCLE_1)
	s_or_b32 exec_lo, exec_lo, s18
	s_mov_b32 s18, exec_lo
	v_cmpx_lt_u32_e32 0xffffff, v38
	s_cbranch_execz .LBB259_81
; %bb.74:                               ;   in Loop: Header=BB259_12 Depth=1
	v_lshrrev_b32_e32 v4, 24, v38
	v_bfrev_b32_e32 v85, 1
	s_mov_b32 s19, exec_lo
	s_delay_alu instid0(VALU_DEP_2)
	v_cmpx_ne_u32_e32 0x80, v4
	s_cbranch_execz .LBB259_80
; %bb.75:                               ;   in Loop: Header=BB259_12 Depth=1
	v_and_b32_e32 v6, 0x7f, v4
	v_mov_b32_e32 v85, 0x7c010000
	s_mov_b32 s20, exec_lo
	s_delay_alu instid0(VALU_DEP_2)
	v_cmpx_ne_u32_e32 0x7f, v6
	s_cbranch_execz .LBB259_79
; %bb.76:                               ;   in Loop: Header=BB259_12 Depth=1
	v_dual_lshrrev_b32 v1, 3, v6 :: v_dual_bitop2_b32 v0, 7, v4 bitop3:0x40
	s_mov_b32 s21, exec_lo
	v_cmpx_gt_u32_e32 8, v6
; %bb.77:                               ;   in Loop: Header=BB259_12 Depth=1
	s_delay_alu instid0(VALU_DEP_2) | instskip(NEXT) | instid1(VALU_DEP_1)
	v_clz_i32_u32_e32 v0, v0
	v_min_u32_e32 v6, 32, v0
	s_delay_alu instid0(VALU_DEP_1) | instskip(NEXT) | instid1(VALU_DEP_1)
	v_subrev_nc_u32_e32 v0, 28, v6
	v_lshlrev_b64_e32 v[0:1], v0, v[4:5]
	s_delay_alu instid0(VALU_DEP_1)
	v_dual_sub_nc_u32 v1, 29, v6 :: v_dual_bitop2_b32 v0, 7, v0 bitop3:0x40
; %bb.78:                               ;   in Loop: Header=BB259_12 Depth=1
	s_or_b32 exec_lo, exec_lo, s21
	v_lshlrev_b32_e32 v4, 8, v4
	s_delay_alu instid0(VALU_DEP_2) | instskip(NEXT) | instid1(VALU_DEP_3)
	v_lshl_add_u32 v1, v1, 10, 0x2000
	v_lshlrev_b32_e32 v0, 23, v0
	s_delay_alu instid0(VALU_DEP_2) | instskip(NEXT) | instid1(VALU_DEP_1)
	v_and_or_b32 v1, 0x8000, v4, v1
	v_lshl_or_b32 v85, v1, 16, v0
.LBB259_79:                             ;   in Loop: Header=BB259_12 Depth=1
	s_or_b32 exec_lo, exec_lo, s20
.LBB259_80:                             ;   in Loop: Header=BB259_12 Depth=1
	s_delay_alu instid0(SALU_CYCLE_1)
	s_or_b32 exec_lo, exec_lo, s19
.LBB259_81:                             ;   in Loop: Header=BB259_12 Depth=1
	s_delay_alu instid0(SALU_CYCLE_1)
	s_or_b32 exec_lo, exec_lo, s18
	flat_load_b32 v38, v[36:37] offset:256
	v_dual_mov_b32 v87, 0 :: v_dual_mov_b32 v96, 0
	s_mov_b32 s18, exec_lo
	s_wait_loadcnt_dscnt 0x0
	v_and_b32_e32 v0, 0xff, v38
	s_wait_xcnt 0x0
	s_delay_alu instid0(VALU_DEP_1)
	v_cmpx_ne_u16_e32 0, v0
	s_cbranch_execz .LBB259_89
; %bb.82:                               ;   in Loop: Header=BB259_12 Depth=1
	v_mov_b32_e32 v96, 0x8000
	s_mov_b32 s19, exec_lo
	v_cmpx_ne_u16_e32 0x80, v0
	s_cbranch_execz .LBB259_88
; %bb.83:                               ;   in Loop: Header=BB259_12 Depth=1
	v_and_b32_e32 v4, 0x7f, v38
	v_mov_b32_e32 v96, 0x7c01
	s_mov_b32 s20, exec_lo
	s_delay_alu instid0(VALU_DEP_2)
	v_cmpx_ne_u32_e32 0x7f, v4
	s_cbranch_execz .LBB259_87
; %bb.84:                               ;   in Loop: Header=BB259_12 Depth=1
	v_dual_lshrrev_b32 v1, 3, v4 :: v_dual_bitop2_b32 v0, 7, v38 bitop3:0x40
	s_mov_b32 s21, exec_lo
	v_cmpx_gt_u32_e32 8, v4
; %bb.85:                               ;   in Loop: Header=BB259_12 Depth=1
	s_delay_alu instid0(VALU_DEP_2) | instskip(NEXT) | instid1(VALU_DEP_1)
	v_clz_i32_u32_e32 v0, v0
	v_min_u32_e32 v4, 32, v0
	s_delay_alu instid0(VALU_DEP_1) | instskip(NEXT) | instid1(VALU_DEP_1)
	v_subrev_nc_u32_e32 v0, 28, v4
	v_lshlrev_b64_e32 v[0:1], v0, v[38:39]
	v_sub_nc_u32_e32 v1, 29, v4
	s_delay_alu instid0(VALU_DEP_2)
	v_and_b32_e32 v0, 7, v0
; %bb.86:                               ;   in Loop: Header=BB259_12 Depth=1
	s_or_b32 exec_lo, exec_lo, s21
	s_delay_alu instid0(VALU_DEP_1) | instskip(NEXT) | instid1(VALU_DEP_3)
	v_dual_lshlrev_b32 v4, 8, v38 :: v_dual_lshlrev_b32 v0, 7, v0
	v_lshl_add_u32 v1, v1, 10, 0x2000
	s_delay_alu instid0(VALU_DEP_2) | instskip(NEXT) | instid1(VALU_DEP_2)
	v_and_b32_e32 v4, 0x8000, v4
	v_and_b32_e32 v1, 0xfc00, v1
	s_delay_alu instid0(VALU_DEP_1)
	v_or3_b32 v96, v4, v1, v0
.LBB259_87:                             ;   in Loop: Header=BB259_12 Depth=1
	s_or_b32 exec_lo, exec_lo, s20
.LBB259_88:                             ;   in Loop: Header=BB259_12 Depth=1
	s_delay_alu instid0(SALU_CYCLE_1)
	s_or_b32 exec_lo, exec_lo, s19
.LBB259_89:                             ;   in Loop: Header=BB259_12 Depth=1
	s_delay_alu instid0(SALU_CYCLE_1) | instskip(SKIP_2) | instid1(VALU_DEP_1)
	s_or_b32 exec_lo, exec_lo, s18
	v_lshrrev_b16 v4, 8, v38
	s_mov_b32 s18, exec_lo
	v_cmpx_ne_u16_e32 0, v4
	s_cbranch_execz .LBB259_97
; %bb.90:                               ;   in Loop: Header=BB259_12 Depth=1
	v_bfrev_b32_e32 v87, 1
	s_mov_b32 s19, exec_lo
	v_cmpx_ne_u16_e32 0x80, v4
	s_cbranch_execz .LBB259_96
; %bb.91:                               ;   in Loop: Header=BB259_12 Depth=1
	v_and_b32_e32 v0, 0xffff, v4
	v_mov_b32_e32 v87, 0x7c010000
	s_mov_b32 s20, exec_lo
	s_delay_alu instid0(VALU_DEP_2) | instskip(NEXT) | instid1(VALU_DEP_1)
	v_and_b32_e32 v7, 0x7f, v0
	v_cmpx_ne_u32_e32 0x7f, v7
	s_cbranch_execz .LBB259_95
; %bb.92:                               ;   in Loop: Header=BB259_12 Depth=1
	v_dual_lshrrev_b32 v6, 3, v7 :: v_dual_bitop2_b32 v1, 7, v0 bitop3:0x40
	s_mov_b32 s21, exec_lo
	v_cmpx_gt_u32_e32 8, v7
; %bb.93:                               ;   in Loop: Header=BB259_12 Depth=1
	s_delay_alu instid0(VALU_DEP_2) | instskip(NEXT) | instid1(VALU_DEP_1)
	v_clz_i32_u32_e32 v1, v1
	v_min_u32_e32 v1, 32, v1
	s_delay_alu instid0(VALU_DEP_1) | instskip(NEXT) | instid1(VALU_DEP_1)
	v_subrev_nc_u32_e32 v6, 28, v1
	v_lshlrev_b64_e32 v[10:11], v6, v[4:5]
	s_delay_alu instid0(VALU_DEP_1)
	v_dual_sub_nc_u32 v6, 29, v1 :: v_dual_bitop2_b32 v1, 7, v10 bitop3:0x40
; %bb.94:                               ;   in Loop: Header=BB259_12 Depth=1
	s_or_b32 exec_lo, exec_lo, s21
	s_delay_alu instid0(VALU_DEP_1) | instskip(NEXT) | instid1(VALU_DEP_2)
	v_dual_lshlrev_b32 v0, 8, v0 :: v_dual_lshlrev_b32 v1, 23, v1
	v_lshl_add_u32 v4, v6, 10, 0x2000
	s_delay_alu instid0(VALU_DEP_1) | instskip(NEXT) | instid1(VALU_DEP_1)
	v_and_or_b32 v0, 0x8000, v0, v4
	v_lshl_or_b32 v87, v0, 16, v1
.LBB259_95:                             ;   in Loop: Header=BB259_12 Depth=1
	s_or_b32 exec_lo, exec_lo, s20
.LBB259_96:                             ;   in Loop: Header=BB259_12 Depth=1
	s_delay_alu instid0(SALU_CYCLE_1)
	s_or_b32 exec_lo, exec_lo, s19
.LBB259_97:                             ;   in Loop: Header=BB259_12 Depth=1
	s_delay_alu instid0(SALU_CYCLE_1) | instskip(SKIP_3) | instid1(VALU_DEP_2)
	s_or_b32 exec_lo, exec_lo, s18
	v_dual_mov_b32 v97, 0 :: v_dual_lshrrev_b32 v4, 16, v38
	v_mov_b32_e32 v98, 0
	s_mov_b32 s18, exec_lo
	v_and_b32_e32 v0, 0xff, v4
	s_delay_alu instid0(VALU_DEP_1)
	v_cmpx_ne_u16_e32 0, v0
	s_cbranch_execz .LBB259_105
; %bb.98:                               ;   in Loop: Header=BB259_12 Depth=1
	v_mov_b32_e32 v98, 0x8000
	s_mov_b32 s19, exec_lo
	v_cmpx_ne_u16_e32 0x80, v0
	s_cbranch_execz .LBB259_104
; %bb.99:                               ;   in Loop: Header=BB259_12 Depth=1
	v_bfe_u32 v6, v38, 16, 7
	v_mov_b32_e32 v98, 0x7c01
	s_mov_b32 s20, exec_lo
	s_delay_alu instid0(VALU_DEP_2)
	v_cmpx_ne_u32_e32 0x7f, v6
	s_cbranch_execz .LBB259_103
; %bb.100:                              ;   in Loop: Header=BB259_12 Depth=1
	v_dual_lshrrev_b32 v1, 3, v6 :: v_dual_bitop2_b32 v0, 7, v4 bitop3:0x40
	s_mov_b32 s21, exec_lo
	v_cmpx_gt_u32_e32 8, v6
; %bb.101:                              ;   in Loop: Header=BB259_12 Depth=1
	s_delay_alu instid0(VALU_DEP_2) | instskip(NEXT) | instid1(VALU_DEP_1)
	v_clz_i32_u32_e32 v0, v0
	v_min_u32_e32 v6, 32, v0
	s_delay_alu instid0(VALU_DEP_1) | instskip(NEXT) | instid1(VALU_DEP_1)
	v_subrev_nc_u32_e32 v0, 28, v6
	v_lshlrev_b64_e32 v[0:1], v0, v[4:5]
	s_delay_alu instid0(VALU_DEP_1)
	v_dual_sub_nc_u32 v1, 29, v6 :: v_dual_bitop2_b32 v0, 7, v0 bitop3:0x40
; %bb.102:                              ;   in Loop: Header=BB259_12 Depth=1
	s_or_b32 exec_lo, exec_lo, s21
	v_lshlrev_b32_e32 v4, 8, v4
	s_delay_alu instid0(VALU_DEP_2) | instskip(NEXT) | instid1(VALU_DEP_3)
	v_lshl_add_u32 v1, v1, 10, 0x2000
	v_lshlrev_b32_e32 v0, 7, v0
	s_delay_alu instid0(VALU_DEP_3) | instskip(NEXT) | instid1(VALU_DEP_3)
	v_and_b32_e32 v4, 0x8000, v4
	v_and_b32_e32 v1, 0xfc00, v1
	s_delay_alu instid0(VALU_DEP_1)
	v_or3_b32 v98, v4, v1, v0
.LBB259_103:                            ;   in Loop: Header=BB259_12 Depth=1
	s_or_b32 exec_lo, exec_lo, s20
.LBB259_104:                            ;   in Loop: Header=BB259_12 Depth=1
	s_delay_alu instid0(SALU_CYCLE_1)
	s_or_b32 exec_lo, exec_lo, s19
.LBB259_105:                            ;   in Loop: Header=BB259_12 Depth=1
	s_delay_alu instid0(SALU_CYCLE_1) | instskip(NEXT) | instid1(SALU_CYCLE_1)
	s_or_b32 exec_lo, exec_lo, s18
	s_mov_b32 s18, exec_lo
	v_cmpx_lt_u32_e32 0xffffff, v38
	s_cbranch_execz .LBB259_113
; %bb.106:                              ;   in Loop: Header=BB259_12 Depth=1
	v_lshrrev_b32_e32 v4, 24, v38
	v_bfrev_b32_e32 v97, 1
	s_mov_b32 s19, exec_lo
	s_delay_alu instid0(VALU_DEP_2)
	v_cmpx_ne_u32_e32 0x80, v4
	s_cbranch_execz .LBB259_112
; %bb.107:                              ;   in Loop: Header=BB259_12 Depth=1
	v_and_b32_e32 v6, 0x7f, v4
	v_mov_b32_e32 v97, 0x7c010000
	s_mov_b32 s20, exec_lo
	s_delay_alu instid0(VALU_DEP_2)
	v_cmpx_ne_u32_e32 0x7f, v6
	s_cbranch_execz .LBB259_111
; %bb.108:                              ;   in Loop: Header=BB259_12 Depth=1
	v_dual_lshrrev_b32 v1, 3, v6 :: v_dual_bitop2_b32 v0, 7, v4 bitop3:0x40
	s_mov_b32 s21, exec_lo
	v_cmpx_gt_u32_e32 8, v6
; %bb.109:                              ;   in Loop: Header=BB259_12 Depth=1
	s_delay_alu instid0(VALU_DEP_2) | instskip(NEXT) | instid1(VALU_DEP_1)
	v_clz_i32_u32_e32 v0, v0
	v_min_u32_e32 v6, 32, v0
	s_delay_alu instid0(VALU_DEP_1) | instskip(NEXT) | instid1(VALU_DEP_1)
	v_subrev_nc_u32_e32 v0, 28, v6
	v_lshlrev_b64_e32 v[0:1], v0, v[4:5]
	s_delay_alu instid0(VALU_DEP_1)
	v_dual_sub_nc_u32 v1, 29, v6 :: v_dual_bitop2_b32 v0, 7, v0 bitop3:0x40
; %bb.110:                              ;   in Loop: Header=BB259_12 Depth=1
	s_or_b32 exec_lo, exec_lo, s21
	v_lshlrev_b32_e32 v4, 8, v4
	s_delay_alu instid0(VALU_DEP_2) | instskip(NEXT) | instid1(VALU_DEP_3)
	v_lshl_add_u32 v1, v1, 10, 0x2000
	v_lshlrev_b32_e32 v0, 23, v0
	s_delay_alu instid0(VALU_DEP_2) | instskip(NEXT) | instid1(VALU_DEP_1)
	v_and_or_b32 v1, 0x8000, v4, v1
	v_lshl_or_b32 v97, v1, 16, v0
.LBB259_111:                            ;   in Loop: Header=BB259_12 Depth=1
	s_or_b32 exec_lo, exec_lo, s20
.LBB259_112:                            ;   in Loop: Header=BB259_12 Depth=1
	s_delay_alu instid0(SALU_CYCLE_1)
	s_or_b32 exec_lo, exec_lo, s19
.LBB259_113:                            ;   in Loop: Header=BB259_12 Depth=1
	s_delay_alu instid0(SALU_CYCLE_1)
	s_or_b32 exec_lo, exec_lo, s18
	flat_load_b32 v38, v[36:37] offset:264
	v_dual_mov_b32 v99, 0 :: v_dual_mov_b32 v100, 0
	s_mov_b32 s18, exec_lo
	s_wait_loadcnt_dscnt 0x0
	v_and_b32_e32 v0, 0xff, v38
	s_wait_xcnt 0x0
	s_delay_alu instid0(VALU_DEP_1)
	v_cmpx_ne_u16_e32 0, v0
	s_cbranch_execz .LBB259_121
; %bb.114:                              ;   in Loop: Header=BB259_12 Depth=1
	v_mov_b32_e32 v100, 0x8000
	s_mov_b32 s19, exec_lo
	v_cmpx_ne_u16_e32 0x80, v0
	s_cbranch_execz .LBB259_120
; %bb.115:                              ;   in Loop: Header=BB259_12 Depth=1
	v_and_b32_e32 v4, 0x7f, v38
	v_mov_b32_e32 v100, 0x7c01
	s_mov_b32 s20, exec_lo
	s_delay_alu instid0(VALU_DEP_2)
	v_cmpx_ne_u32_e32 0x7f, v4
	s_cbranch_execz .LBB259_119
; %bb.116:                              ;   in Loop: Header=BB259_12 Depth=1
	v_dual_lshrrev_b32 v1, 3, v4 :: v_dual_bitop2_b32 v0, 7, v38 bitop3:0x40
	s_mov_b32 s21, exec_lo
	v_cmpx_gt_u32_e32 8, v4
; %bb.117:                              ;   in Loop: Header=BB259_12 Depth=1
	s_delay_alu instid0(VALU_DEP_2) | instskip(NEXT) | instid1(VALU_DEP_1)
	v_clz_i32_u32_e32 v0, v0
	v_min_u32_e32 v4, 32, v0
	s_delay_alu instid0(VALU_DEP_1) | instskip(NEXT) | instid1(VALU_DEP_1)
	v_subrev_nc_u32_e32 v0, 28, v4
	v_lshlrev_b64_e32 v[0:1], v0, v[38:39]
	v_sub_nc_u32_e32 v1, 29, v4
	s_delay_alu instid0(VALU_DEP_2)
	v_and_b32_e32 v0, 7, v0
; %bb.118:                              ;   in Loop: Header=BB259_12 Depth=1
	s_or_b32 exec_lo, exec_lo, s21
	s_delay_alu instid0(VALU_DEP_1) | instskip(NEXT) | instid1(VALU_DEP_3)
	v_dual_lshlrev_b32 v4, 8, v38 :: v_dual_lshlrev_b32 v0, 7, v0
	v_lshl_add_u32 v1, v1, 10, 0x2000
	s_delay_alu instid0(VALU_DEP_2) | instskip(NEXT) | instid1(VALU_DEP_2)
	v_and_b32_e32 v4, 0x8000, v4
	v_and_b32_e32 v1, 0xfc00, v1
	s_delay_alu instid0(VALU_DEP_1)
	v_or3_b32 v100, v4, v1, v0
.LBB259_119:                            ;   in Loop: Header=BB259_12 Depth=1
	s_or_b32 exec_lo, exec_lo, s20
.LBB259_120:                            ;   in Loop: Header=BB259_12 Depth=1
	s_delay_alu instid0(SALU_CYCLE_1)
	s_or_b32 exec_lo, exec_lo, s19
.LBB259_121:                            ;   in Loop: Header=BB259_12 Depth=1
	s_delay_alu instid0(SALU_CYCLE_1) | instskip(SKIP_2) | instid1(VALU_DEP_1)
	s_or_b32 exec_lo, exec_lo, s18
	v_lshrrev_b16 v4, 8, v38
	s_mov_b32 s18, exec_lo
	v_cmpx_ne_u16_e32 0, v4
	s_cbranch_execz .LBB259_129
; %bb.122:                              ;   in Loop: Header=BB259_12 Depth=1
	v_bfrev_b32_e32 v99, 1
	s_mov_b32 s19, exec_lo
	v_cmpx_ne_u16_e32 0x80, v4
	s_cbranch_execz .LBB259_128
; %bb.123:                              ;   in Loop: Header=BB259_12 Depth=1
	v_and_b32_e32 v0, 0xffff, v4
	v_mov_b32_e32 v99, 0x7c010000
	s_mov_b32 s20, exec_lo
	s_delay_alu instid0(VALU_DEP_2) | instskip(NEXT) | instid1(VALU_DEP_1)
	v_and_b32_e32 v7, 0x7f, v0
	v_cmpx_ne_u32_e32 0x7f, v7
	s_cbranch_execz .LBB259_127
; %bb.124:                              ;   in Loop: Header=BB259_12 Depth=1
	v_dual_lshrrev_b32 v6, 3, v7 :: v_dual_bitop2_b32 v1, 7, v0 bitop3:0x40
	s_mov_b32 s21, exec_lo
	v_cmpx_gt_u32_e32 8, v7
; %bb.125:                              ;   in Loop: Header=BB259_12 Depth=1
	s_delay_alu instid0(VALU_DEP_2) | instskip(NEXT) | instid1(VALU_DEP_1)
	v_clz_i32_u32_e32 v1, v1
	v_min_u32_e32 v1, 32, v1
	s_delay_alu instid0(VALU_DEP_1) | instskip(NEXT) | instid1(VALU_DEP_1)
	v_subrev_nc_u32_e32 v6, 28, v1
	v_lshlrev_b64_e32 v[10:11], v6, v[4:5]
	s_delay_alu instid0(VALU_DEP_1)
	v_dual_sub_nc_u32 v6, 29, v1 :: v_dual_bitop2_b32 v1, 7, v10 bitop3:0x40
; %bb.126:                              ;   in Loop: Header=BB259_12 Depth=1
	s_or_b32 exec_lo, exec_lo, s21
	s_delay_alu instid0(VALU_DEP_1) | instskip(NEXT) | instid1(VALU_DEP_2)
	v_dual_lshlrev_b32 v0, 8, v0 :: v_dual_lshlrev_b32 v1, 23, v1
	v_lshl_add_u32 v4, v6, 10, 0x2000
	s_delay_alu instid0(VALU_DEP_1) | instskip(NEXT) | instid1(VALU_DEP_1)
	v_and_or_b32 v0, 0x8000, v0, v4
	v_lshl_or_b32 v99, v0, 16, v1
.LBB259_127:                            ;   in Loop: Header=BB259_12 Depth=1
	s_or_b32 exec_lo, exec_lo, s20
.LBB259_128:                            ;   in Loop: Header=BB259_12 Depth=1
	s_delay_alu instid0(SALU_CYCLE_1)
	s_or_b32 exec_lo, exec_lo, s19
.LBB259_129:                            ;   in Loop: Header=BB259_12 Depth=1
	s_delay_alu instid0(SALU_CYCLE_1) | instskip(SKIP_3) | instid1(VALU_DEP_2)
	s_or_b32 exec_lo, exec_lo, s18
	v_dual_mov_b32 v101, 0 :: v_dual_lshrrev_b32 v4, 16, v38
	v_mov_b32_e32 v102, 0
	s_mov_b32 s18, exec_lo
	v_and_b32_e32 v0, 0xff, v4
	s_delay_alu instid0(VALU_DEP_1)
	v_cmpx_ne_u16_e32 0, v0
	s_cbranch_execz .LBB259_137
; %bb.130:                              ;   in Loop: Header=BB259_12 Depth=1
	v_mov_b32_e32 v102, 0x8000
	s_mov_b32 s19, exec_lo
	v_cmpx_ne_u16_e32 0x80, v0
	s_cbranch_execz .LBB259_136
; %bb.131:                              ;   in Loop: Header=BB259_12 Depth=1
	v_bfe_u32 v6, v38, 16, 7
	v_mov_b32_e32 v102, 0x7c01
	s_mov_b32 s20, exec_lo
	s_delay_alu instid0(VALU_DEP_2)
	v_cmpx_ne_u32_e32 0x7f, v6
	s_cbranch_execz .LBB259_135
; %bb.132:                              ;   in Loop: Header=BB259_12 Depth=1
	v_dual_lshrrev_b32 v1, 3, v6 :: v_dual_bitop2_b32 v0, 7, v4 bitop3:0x40
	s_mov_b32 s21, exec_lo
	v_cmpx_gt_u32_e32 8, v6
; %bb.133:                              ;   in Loop: Header=BB259_12 Depth=1
	s_delay_alu instid0(VALU_DEP_2) | instskip(NEXT) | instid1(VALU_DEP_1)
	v_clz_i32_u32_e32 v0, v0
	v_min_u32_e32 v6, 32, v0
	s_delay_alu instid0(VALU_DEP_1) | instskip(NEXT) | instid1(VALU_DEP_1)
	v_subrev_nc_u32_e32 v0, 28, v6
	v_lshlrev_b64_e32 v[0:1], v0, v[4:5]
	s_delay_alu instid0(VALU_DEP_1)
	v_dual_sub_nc_u32 v1, 29, v6 :: v_dual_bitop2_b32 v0, 7, v0 bitop3:0x40
; %bb.134:                              ;   in Loop: Header=BB259_12 Depth=1
	s_or_b32 exec_lo, exec_lo, s21
	v_lshlrev_b32_e32 v4, 8, v4
	s_delay_alu instid0(VALU_DEP_2) | instskip(NEXT) | instid1(VALU_DEP_3)
	v_lshl_add_u32 v1, v1, 10, 0x2000
	v_lshlrev_b32_e32 v0, 7, v0
	s_delay_alu instid0(VALU_DEP_3) | instskip(NEXT) | instid1(VALU_DEP_3)
	v_and_b32_e32 v4, 0x8000, v4
	v_and_b32_e32 v1, 0xfc00, v1
	s_delay_alu instid0(VALU_DEP_1)
	v_or3_b32 v102, v4, v1, v0
.LBB259_135:                            ;   in Loop: Header=BB259_12 Depth=1
	s_or_b32 exec_lo, exec_lo, s20
.LBB259_136:                            ;   in Loop: Header=BB259_12 Depth=1
	s_delay_alu instid0(SALU_CYCLE_1)
	s_or_b32 exec_lo, exec_lo, s19
.LBB259_137:                            ;   in Loop: Header=BB259_12 Depth=1
	s_delay_alu instid0(SALU_CYCLE_1) | instskip(NEXT) | instid1(SALU_CYCLE_1)
	s_or_b32 exec_lo, exec_lo, s18
	s_mov_b32 s18, exec_lo
	v_cmpx_lt_u32_e32 0xffffff, v38
	s_cbranch_execz .LBB259_145
; %bb.138:                              ;   in Loop: Header=BB259_12 Depth=1
	v_lshrrev_b32_e32 v4, 24, v38
	v_bfrev_b32_e32 v101, 1
	s_mov_b32 s19, exec_lo
	s_delay_alu instid0(VALU_DEP_2)
	v_cmpx_ne_u32_e32 0x80, v4
	s_cbranch_execz .LBB259_144
; %bb.139:                              ;   in Loop: Header=BB259_12 Depth=1
	v_and_b32_e32 v6, 0x7f, v4
	v_mov_b32_e32 v101, 0x7c010000
	s_mov_b32 s20, exec_lo
	s_delay_alu instid0(VALU_DEP_2)
	v_cmpx_ne_u32_e32 0x7f, v6
	s_cbranch_execz .LBB259_143
; %bb.140:                              ;   in Loop: Header=BB259_12 Depth=1
	v_dual_lshrrev_b32 v1, 3, v6 :: v_dual_bitop2_b32 v0, 7, v4 bitop3:0x40
	s_mov_b32 s21, exec_lo
	v_cmpx_gt_u32_e32 8, v6
; %bb.141:                              ;   in Loop: Header=BB259_12 Depth=1
	s_delay_alu instid0(VALU_DEP_2) | instskip(NEXT) | instid1(VALU_DEP_1)
	v_clz_i32_u32_e32 v0, v0
	v_min_u32_e32 v6, 32, v0
	s_delay_alu instid0(VALU_DEP_1) | instskip(NEXT) | instid1(VALU_DEP_1)
	v_subrev_nc_u32_e32 v0, 28, v6
	v_lshlrev_b64_e32 v[0:1], v0, v[4:5]
	s_delay_alu instid0(VALU_DEP_1)
	v_dual_sub_nc_u32 v1, 29, v6 :: v_dual_bitop2_b32 v0, 7, v0 bitop3:0x40
; %bb.142:                              ;   in Loop: Header=BB259_12 Depth=1
	s_or_b32 exec_lo, exec_lo, s21
	v_lshlrev_b32_e32 v4, 8, v4
	s_delay_alu instid0(VALU_DEP_2) | instskip(NEXT) | instid1(VALU_DEP_3)
	v_lshl_add_u32 v1, v1, 10, 0x2000
	v_lshlrev_b32_e32 v0, 23, v0
	s_delay_alu instid0(VALU_DEP_2) | instskip(NEXT) | instid1(VALU_DEP_1)
	v_and_or_b32 v1, 0x8000, v4, v1
	v_lshl_or_b32 v101, v1, 16, v0
.LBB259_143:                            ;   in Loop: Header=BB259_12 Depth=1
	s_or_b32 exec_lo, exec_lo, s20
.LBB259_144:                            ;   in Loop: Header=BB259_12 Depth=1
	s_delay_alu instid0(SALU_CYCLE_1)
	s_or_b32 exec_lo, exec_lo, s19
.LBB259_145:                            ;   in Loop: Header=BB259_12 Depth=1
	s_delay_alu instid0(SALU_CYCLE_1)
	s_or_b32 exec_lo, exec_lo, s18
	flat_load_b32 v38, v[36:37] offset:512
	v_dual_mov_b32 v103, 0 :: v_dual_mov_b32 v112, 0
	s_mov_b32 s18, exec_lo
	s_wait_loadcnt_dscnt 0x0
	v_and_b32_e32 v0, 0xff, v38
	s_wait_xcnt 0x0
	s_delay_alu instid0(VALU_DEP_1)
	v_cmpx_ne_u16_e32 0, v0
	s_cbranch_execz .LBB259_153
; %bb.146:                              ;   in Loop: Header=BB259_12 Depth=1
	v_mov_b32_e32 v112, 0x8000
	s_mov_b32 s19, exec_lo
	v_cmpx_ne_u16_e32 0x80, v0
	s_cbranch_execz .LBB259_152
; %bb.147:                              ;   in Loop: Header=BB259_12 Depth=1
	v_and_b32_e32 v4, 0x7f, v38
	v_mov_b32_e32 v112, 0x7c01
	s_mov_b32 s20, exec_lo
	s_delay_alu instid0(VALU_DEP_2)
	v_cmpx_ne_u32_e32 0x7f, v4
	s_cbranch_execz .LBB259_151
; %bb.148:                              ;   in Loop: Header=BB259_12 Depth=1
	v_dual_lshrrev_b32 v1, 3, v4 :: v_dual_bitop2_b32 v0, 7, v38 bitop3:0x40
	s_mov_b32 s21, exec_lo
	v_cmpx_gt_u32_e32 8, v4
; %bb.149:                              ;   in Loop: Header=BB259_12 Depth=1
	s_delay_alu instid0(VALU_DEP_2) | instskip(NEXT) | instid1(VALU_DEP_1)
	v_clz_i32_u32_e32 v0, v0
	v_min_u32_e32 v4, 32, v0
	s_delay_alu instid0(VALU_DEP_1) | instskip(NEXT) | instid1(VALU_DEP_1)
	v_subrev_nc_u32_e32 v0, 28, v4
	v_lshlrev_b64_e32 v[0:1], v0, v[38:39]
	v_sub_nc_u32_e32 v1, 29, v4
	s_delay_alu instid0(VALU_DEP_2)
	v_and_b32_e32 v0, 7, v0
; %bb.150:                              ;   in Loop: Header=BB259_12 Depth=1
	s_or_b32 exec_lo, exec_lo, s21
	s_delay_alu instid0(VALU_DEP_1) | instskip(NEXT) | instid1(VALU_DEP_3)
	v_dual_lshlrev_b32 v4, 8, v38 :: v_dual_lshlrev_b32 v0, 7, v0
	v_lshl_add_u32 v1, v1, 10, 0x2000
	s_delay_alu instid0(VALU_DEP_2) | instskip(NEXT) | instid1(VALU_DEP_2)
	v_and_b32_e32 v4, 0x8000, v4
	v_and_b32_e32 v1, 0xfc00, v1
	s_delay_alu instid0(VALU_DEP_1)
	v_or3_b32 v112, v4, v1, v0
.LBB259_151:                            ;   in Loop: Header=BB259_12 Depth=1
	s_or_b32 exec_lo, exec_lo, s20
.LBB259_152:                            ;   in Loop: Header=BB259_12 Depth=1
	s_delay_alu instid0(SALU_CYCLE_1)
	s_or_b32 exec_lo, exec_lo, s19
.LBB259_153:                            ;   in Loop: Header=BB259_12 Depth=1
	s_delay_alu instid0(SALU_CYCLE_1) | instskip(SKIP_2) | instid1(VALU_DEP_1)
	s_or_b32 exec_lo, exec_lo, s18
	v_lshrrev_b16 v4, 8, v38
	s_mov_b32 s18, exec_lo
	v_cmpx_ne_u16_e32 0, v4
	s_cbranch_execz .LBB259_161
; %bb.154:                              ;   in Loop: Header=BB259_12 Depth=1
	v_bfrev_b32_e32 v103, 1
	s_mov_b32 s19, exec_lo
	v_cmpx_ne_u16_e32 0x80, v4
	s_cbranch_execz .LBB259_160
; %bb.155:                              ;   in Loop: Header=BB259_12 Depth=1
	v_and_b32_e32 v0, 0xffff, v4
	v_mov_b32_e32 v103, 0x7c010000
	s_mov_b32 s20, exec_lo
	s_delay_alu instid0(VALU_DEP_2) | instskip(NEXT) | instid1(VALU_DEP_1)
	v_and_b32_e32 v7, 0x7f, v0
	v_cmpx_ne_u32_e32 0x7f, v7
	s_cbranch_execz .LBB259_159
; %bb.156:                              ;   in Loop: Header=BB259_12 Depth=1
	v_dual_lshrrev_b32 v6, 3, v7 :: v_dual_bitop2_b32 v1, 7, v0 bitop3:0x40
	s_mov_b32 s21, exec_lo
	v_cmpx_gt_u32_e32 8, v7
; %bb.157:                              ;   in Loop: Header=BB259_12 Depth=1
	s_delay_alu instid0(VALU_DEP_2) | instskip(NEXT) | instid1(VALU_DEP_1)
	v_clz_i32_u32_e32 v1, v1
	v_min_u32_e32 v1, 32, v1
	s_delay_alu instid0(VALU_DEP_1) | instskip(NEXT) | instid1(VALU_DEP_1)
	v_subrev_nc_u32_e32 v6, 28, v1
	v_lshlrev_b64_e32 v[10:11], v6, v[4:5]
	s_delay_alu instid0(VALU_DEP_1)
	v_dual_sub_nc_u32 v6, 29, v1 :: v_dual_bitop2_b32 v1, 7, v10 bitop3:0x40
; %bb.158:                              ;   in Loop: Header=BB259_12 Depth=1
	s_or_b32 exec_lo, exec_lo, s21
	s_delay_alu instid0(VALU_DEP_1) | instskip(NEXT) | instid1(VALU_DEP_2)
	v_dual_lshlrev_b32 v0, 8, v0 :: v_dual_lshlrev_b32 v1, 23, v1
	v_lshl_add_u32 v4, v6, 10, 0x2000
	s_delay_alu instid0(VALU_DEP_1) | instskip(NEXT) | instid1(VALU_DEP_1)
	v_and_or_b32 v0, 0x8000, v0, v4
	v_lshl_or_b32 v103, v0, 16, v1
.LBB259_159:                            ;   in Loop: Header=BB259_12 Depth=1
	s_or_b32 exec_lo, exec_lo, s20
.LBB259_160:                            ;   in Loop: Header=BB259_12 Depth=1
	s_delay_alu instid0(SALU_CYCLE_1)
	s_or_b32 exec_lo, exec_lo, s19
.LBB259_161:                            ;   in Loop: Header=BB259_12 Depth=1
	s_delay_alu instid0(SALU_CYCLE_1) | instskip(SKIP_3) | instid1(VALU_DEP_2)
	s_or_b32 exec_lo, exec_lo, s18
	v_dual_mov_b32 v113, 0 :: v_dual_lshrrev_b32 v4, 16, v38
	v_mov_b32_e32 v114, 0
	s_mov_b32 s18, exec_lo
	v_and_b32_e32 v0, 0xff, v4
	s_delay_alu instid0(VALU_DEP_1)
	v_cmpx_ne_u16_e32 0, v0
	s_cbranch_execz .LBB259_169
; %bb.162:                              ;   in Loop: Header=BB259_12 Depth=1
	v_mov_b32_e32 v114, 0x8000
	s_mov_b32 s19, exec_lo
	v_cmpx_ne_u16_e32 0x80, v0
	s_cbranch_execz .LBB259_168
; %bb.163:                              ;   in Loop: Header=BB259_12 Depth=1
	v_bfe_u32 v6, v38, 16, 7
	v_mov_b32_e32 v114, 0x7c01
	s_mov_b32 s20, exec_lo
	s_delay_alu instid0(VALU_DEP_2)
	v_cmpx_ne_u32_e32 0x7f, v6
	s_cbranch_execz .LBB259_167
; %bb.164:                              ;   in Loop: Header=BB259_12 Depth=1
	v_dual_lshrrev_b32 v1, 3, v6 :: v_dual_bitop2_b32 v0, 7, v4 bitop3:0x40
	s_mov_b32 s21, exec_lo
	v_cmpx_gt_u32_e32 8, v6
; %bb.165:                              ;   in Loop: Header=BB259_12 Depth=1
	s_delay_alu instid0(VALU_DEP_2) | instskip(NEXT) | instid1(VALU_DEP_1)
	v_clz_i32_u32_e32 v0, v0
	v_min_u32_e32 v6, 32, v0
	s_delay_alu instid0(VALU_DEP_1) | instskip(NEXT) | instid1(VALU_DEP_1)
	v_subrev_nc_u32_e32 v0, 28, v6
	v_lshlrev_b64_e32 v[0:1], v0, v[4:5]
	s_delay_alu instid0(VALU_DEP_1)
	v_dual_sub_nc_u32 v1, 29, v6 :: v_dual_bitop2_b32 v0, 7, v0 bitop3:0x40
; %bb.166:                              ;   in Loop: Header=BB259_12 Depth=1
	s_or_b32 exec_lo, exec_lo, s21
	v_lshlrev_b32_e32 v4, 8, v4
	s_delay_alu instid0(VALU_DEP_2) | instskip(NEXT) | instid1(VALU_DEP_3)
	v_lshl_add_u32 v1, v1, 10, 0x2000
	v_lshlrev_b32_e32 v0, 7, v0
	s_delay_alu instid0(VALU_DEP_3) | instskip(NEXT) | instid1(VALU_DEP_3)
	v_and_b32_e32 v4, 0x8000, v4
	v_and_b32_e32 v1, 0xfc00, v1
	s_delay_alu instid0(VALU_DEP_1)
	v_or3_b32 v114, v4, v1, v0
.LBB259_167:                            ;   in Loop: Header=BB259_12 Depth=1
	s_or_b32 exec_lo, exec_lo, s20
.LBB259_168:                            ;   in Loop: Header=BB259_12 Depth=1
	s_delay_alu instid0(SALU_CYCLE_1)
	s_or_b32 exec_lo, exec_lo, s19
.LBB259_169:                            ;   in Loop: Header=BB259_12 Depth=1
	s_delay_alu instid0(SALU_CYCLE_1) | instskip(NEXT) | instid1(SALU_CYCLE_1)
	s_or_b32 exec_lo, exec_lo, s18
	s_mov_b32 s18, exec_lo
	v_cmpx_lt_u32_e32 0xffffff, v38
	s_cbranch_execz .LBB259_177
; %bb.170:                              ;   in Loop: Header=BB259_12 Depth=1
	v_lshrrev_b32_e32 v4, 24, v38
	v_bfrev_b32_e32 v113, 1
	s_mov_b32 s19, exec_lo
	s_delay_alu instid0(VALU_DEP_2)
	v_cmpx_ne_u32_e32 0x80, v4
	s_cbranch_execz .LBB259_176
; %bb.171:                              ;   in Loop: Header=BB259_12 Depth=1
	v_and_b32_e32 v6, 0x7f, v4
	v_mov_b32_e32 v113, 0x7c010000
	s_mov_b32 s20, exec_lo
	s_delay_alu instid0(VALU_DEP_2)
	v_cmpx_ne_u32_e32 0x7f, v6
	s_cbranch_execz .LBB259_175
; %bb.172:                              ;   in Loop: Header=BB259_12 Depth=1
	v_dual_lshrrev_b32 v1, 3, v6 :: v_dual_bitop2_b32 v0, 7, v4 bitop3:0x40
	s_mov_b32 s21, exec_lo
	v_cmpx_gt_u32_e32 8, v6
; %bb.173:                              ;   in Loop: Header=BB259_12 Depth=1
	s_delay_alu instid0(VALU_DEP_2) | instskip(NEXT) | instid1(VALU_DEP_1)
	v_clz_i32_u32_e32 v0, v0
	v_min_u32_e32 v6, 32, v0
	s_delay_alu instid0(VALU_DEP_1) | instskip(NEXT) | instid1(VALU_DEP_1)
	v_subrev_nc_u32_e32 v0, 28, v6
	v_lshlrev_b64_e32 v[0:1], v0, v[4:5]
	s_delay_alu instid0(VALU_DEP_1)
	v_dual_sub_nc_u32 v1, 29, v6 :: v_dual_bitop2_b32 v0, 7, v0 bitop3:0x40
; %bb.174:                              ;   in Loop: Header=BB259_12 Depth=1
	s_or_b32 exec_lo, exec_lo, s21
	v_lshlrev_b32_e32 v4, 8, v4
	s_delay_alu instid0(VALU_DEP_2) | instskip(NEXT) | instid1(VALU_DEP_3)
	v_lshl_add_u32 v1, v1, 10, 0x2000
	v_lshlrev_b32_e32 v0, 23, v0
	s_delay_alu instid0(VALU_DEP_2) | instskip(NEXT) | instid1(VALU_DEP_1)
	v_and_or_b32 v1, 0x8000, v4, v1
	v_lshl_or_b32 v113, v1, 16, v0
.LBB259_175:                            ;   in Loop: Header=BB259_12 Depth=1
	s_or_b32 exec_lo, exec_lo, s20
.LBB259_176:                            ;   in Loop: Header=BB259_12 Depth=1
	s_delay_alu instid0(SALU_CYCLE_1)
	s_or_b32 exec_lo, exec_lo, s19
.LBB259_177:                            ;   in Loop: Header=BB259_12 Depth=1
	s_delay_alu instid0(SALU_CYCLE_1)
	s_or_b32 exec_lo, exec_lo, s18
	flat_load_b32 v38, v[36:37] offset:520
	v_dual_mov_b32 v115, 0 :: v_dual_mov_b32 v116, 0
	s_mov_b32 s18, exec_lo
	s_wait_loadcnt_dscnt 0x0
	v_and_b32_e32 v0, 0xff, v38
	s_wait_xcnt 0x0
	s_delay_alu instid0(VALU_DEP_1)
	v_cmpx_ne_u16_e32 0, v0
	s_cbranch_execz .LBB259_185
; %bb.178:                              ;   in Loop: Header=BB259_12 Depth=1
	v_mov_b32_e32 v116, 0x8000
	s_mov_b32 s19, exec_lo
	v_cmpx_ne_u16_e32 0x80, v0
	s_cbranch_execz .LBB259_184
; %bb.179:                              ;   in Loop: Header=BB259_12 Depth=1
	v_and_b32_e32 v4, 0x7f, v38
	v_mov_b32_e32 v116, 0x7c01
	s_mov_b32 s20, exec_lo
	s_delay_alu instid0(VALU_DEP_2)
	v_cmpx_ne_u32_e32 0x7f, v4
	s_cbranch_execz .LBB259_183
; %bb.180:                              ;   in Loop: Header=BB259_12 Depth=1
	v_dual_lshrrev_b32 v1, 3, v4 :: v_dual_bitop2_b32 v0, 7, v38 bitop3:0x40
	s_mov_b32 s21, exec_lo
	v_cmpx_gt_u32_e32 8, v4
; %bb.181:                              ;   in Loop: Header=BB259_12 Depth=1
	s_delay_alu instid0(VALU_DEP_2) | instskip(NEXT) | instid1(VALU_DEP_1)
	v_clz_i32_u32_e32 v0, v0
	v_min_u32_e32 v4, 32, v0
	s_delay_alu instid0(VALU_DEP_1) | instskip(NEXT) | instid1(VALU_DEP_1)
	v_subrev_nc_u32_e32 v0, 28, v4
	v_lshlrev_b64_e32 v[0:1], v0, v[38:39]
	v_sub_nc_u32_e32 v1, 29, v4
	s_delay_alu instid0(VALU_DEP_2)
	v_and_b32_e32 v0, 7, v0
; %bb.182:                              ;   in Loop: Header=BB259_12 Depth=1
	s_or_b32 exec_lo, exec_lo, s21
	s_delay_alu instid0(VALU_DEP_1) | instskip(NEXT) | instid1(VALU_DEP_3)
	v_dual_lshlrev_b32 v4, 8, v38 :: v_dual_lshlrev_b32 v0, 7, v0
	v_lshl_add_u32 v1, v1, 10, 0x2000
	s_delay_alu instid0(VALU_DEP_2) | instskip(NEXT) | instid1(VALU_DEP_2)
	v_and_b32_e32 v4, 0x8000, v4
	v_and_b32_e32 v1, 0xfc00, v1
	s_delay_alu instid0(VALU_DEP_1)
	v_or3_b32 v116, v4, v1, v0
.LBB259_183:                            ;   in Loop: Header=BB259_12 Depth=1
	s_or_b32 exec_lo, exec_lo, s20
.LBB259_184:                            ;   in Loop: Header=BB259_12 Depth=1
	s_delay_alu instid0(SALU_CYCLE_1)
	s_or_b32 exec_lo, exec_lo, s19
.LBB259_185:                            ;   in Loop: Header=BB259_12 Depth=1
	s_delay_alu instid0(SALU_CYCLE_1) | instskip(SKIP_2) | instid1(VALU_DEP_1)
	s_or_b32 exec_lo, exec_lo, s18
	v_lshrrev_b16 v4, 8, v38
	s_mov_b32 s18, exec_lo
	v_cmpx_ne_u16_e32 0, v4
	s_cbranch_execz .LBB259_193
; %bb.186:                              ;   in Loop: Header=BB259_12 Depth=1
	v_bfrev_b32_e32 v115, 1
	s_mov_b32 s19, exec_lo
	v_cmpx_ne_u16_e32 0x80, v4
	s_cbranch_execz .LBB259_192
; %bb.187:                              ;   in Loop: Header=BB259_12 Depth=1
	v_and_b32_e32 v0, 0xffff, v4
	v_mov_b32_e32 v115, 0x7c010000
	s_mov_b32 s20, exec_lo
	s_delay_alu instid0(VALU_DEP_2) | instskip(NEXT) | instid1(VALU_DEP_1)
	v_and_b32_e32 v7, 0x7f, v0
	v_cmpx_ne_u32_e32 0x7f, v7
	s_cbranch_execz .LBB259_191
; %bb.188:                              ;   in Loop: Header=BB259_12 Depth=1
	v_dual_lshrrev_b32 v6, 3, v7 :: v_dual_bitop2_b32 v1, 7, v0 bitop3:0x40
	s_mov_b32 s21, exec_lo
	v_cmpx_gt_u32_e32 8, v7
; %bb.189:                              ;   in Loop: Header=BB259_12 Depth=1
	s_delay_alu instid0(VALU_DEP_2) | instskip(NEXT) | instid1(VALU_DEP_1)
	v_clz_i32_u32_e32 v1, v1
	v_min_u32_e32 v1, 32, v1
	s_delay_alu instid0(VALU_DEP_1) | instskip(NEXT) | instid1(VALU_DEP_1)
	v_subrev_nc_u32_e32 v6, 28, v1
	v_lshlrev_b64_e32 v[10:11], v6, v[4:5]
	s_delay_alu instid0(VALU_DEP_1)
	v_dual_sub_nc_u32 v6, 29, v1 :: v_dual_bitop2_b32 v1, 7, v10 bitop3:0x40
; %bb.190:                              ;   in Loop: Header=BB259_12 Depth=1
	s_or_b32 exec_lo, exec_lo, s21
	s_delay_alu instid0(VALU_DEP_1) | instskip(NEXT) | instid1(VALU_DEP_2)
	v_dual_lshlrev_b32 v0, 8, v0 :: v_dual_lshlrev_b32 v1, 23, v1
	v_lshl_add_u32 v4, v6, 10, 0x2000
	s_delay_alu instid0(VALU_DEP_1) | instskip(NEXT) | instid1(VALU_DEP_1)
	v_and_or_b32 v0, 0x8000, v0, v4
	v_lshl_or_b32 v115, v0, 16, v1
.LBB259_191:                            ;   in Loop: Header=BB259_12 Depth=1
	s_or_b32 exec_lo, exec_lo, s20
.LBB259_192:                            ;   in Loop: Header=BB259_12 Depth=1
	s_delay_alu instid0(SALU_CYCLE_1)
	s_or_b32 exec_lo, exec_lo, s19
.LBB259_193:                            ;   in Loop: Header=BB259_12 Depth=1
	s_delay_alu instid0(SALU_CYCLE_1) | instskip(SKIP_3) | instid1(VALU_DEP_2)
	s_or_b32 exec_lo, exec_lo, s18
	v_dual_mov_b32 v117, 0 :: v_dual_lshrrev_b32 v4, 16, v38
	v_mov_b32_e32 v118, 0
	s_mov_b32 s18, exec_lo
	v_and_b32_e32 v0, 0xff, v4
	s_delay_alu instid0(VALU_DEP_1)
	v_cmpx_ne_u16_e32 0, v0
	s_cbranch_execz .LBB259_201
; %bb.194:                              ;   in Loop: Header=BB259_12 Depth=1
	v_mov_b32_e32 v118, 0x8000
	s_mov_b32 s19, exec_lo
	v_cmpx_ne_u16_e32 0x80, v0
	s_cbranch_execz .LBB259_200
; %bb.195:                              ;   in Loop: Header=BB259_12 Depth=1
	v_bfe_u32 v6, v38, 16, 7
	v_mov_b32_e32 v118, 0x7c01
	s_mov_b32 s20, exec_lo
	s_delay_alu instid0(VALU_DEP_2)
	v_cmpx_ne_u32_e32 0x7f, v6
	s_cbranch_execz .LBB259_199
; %bb.196:                              ;   in Loop: Header=BB259_12 Depth=1
	v_dual_lshrrev_b32 v1, 3, v6 :: v_dual_bitop2_b32 v0, 7, v4 bitop3:0x40
	s_mov_b32 s21, exec_lo
	v_cmpx_gt_u32_e32 8, v6
; %bb.197:                              ;   in Loop: Header=BB259_12 Depth=1
	s_delay_alu instid0(VALU_DEP_2) | instskip(NEXT) | instid1(VALU_DEP_1)
	v_clz_i32_u32_e32 v0, v0
	v_min_u32_e32 v6, 32, v0
	s_delay_alu instid0(VALU_DEP_1) | instskip(NEXT) | instid1(VALU_DEP_1)
	v_subrev_nc_u32_e32 v0, 28, v6
	v_lshlrev_b64_e32 v[0:1], v0, v[4:5]
	s_delay_alu instid0(VALU_DEP_1)
	v_dual_sub_nc_u32 v1, 29, v6 :: v_dual_bitop2_b32 v0, 7, v0 bitop3:0x40
; %bb.198:                              ;   in Loop: Header=BB259_12 Depth=1
	s_or_b32 exec_lo, exec_lo, s21
	v_lshlrev_b32_e32 v4, 8, v4
	s_delay_alu instid0(VALU_DEP_2) | instskip(NEXT) | instid1(VALU_DEP_3)
	v_lshl_add_u32 v1, v1, 10, 0x2000
	v_lshlrev_b32_e32 v0, 7, v0
	s_delay_alu instid0(VALU_DEP_3) | instskip(NEXT) | instid1(VALU_DEP_3)
	v_and_b32_e32 v4, 0x8000, v4
	v_and_b32_e32 v1, 0xfc00, v1
	s_delay_alu instid0(VALU_DEP_1)
	v_or3_b32 v118, v4, v1, v0
.LBB259_199:                            ;   in Loop: Header=BB259_12 Depth=1
	s_or_b32 exec_lo, exec_lo, s20
.LBB259_200:                            ;   in Loop: Header=BB259_12 Depth=1
	s_delay_alu instid0(SALU_CYCLE_1)
	s_or_b32 exec_lo, exec_lo, s19
.LBB259_201:                            ;   in Loop: Header=BB259_12 Depth=1
	s_delay_alu instid0(SALU_CYCLE_1) | instskip(NEXT) | instid1(SALU_CYCLE_1)
	s_or_b32 exec_lo, exec_lo, s18
	s_mov_b32 s18, exec_lo
	v_cmpx_lt_u32_e32 0xffffff, v38
	s_cbranch_execz .LBB259_209
; %bb.202:                              ;   in Loop: Header=BB259_12 Depth=1
	v_lshrrev_b32_e32 v4, 24, v38
	v_bfrev_b32_e32 v117, 1
	s_mov_b32 s19, exec_lo
	s_delay_alu instid0(VALU_DEP_2)
	v_cmpx_ne_u32_e32 0x80, v4
	s_cbranch_execz .LBB259_208
; %bb.203:                              ;   in Loop: Header=BB259_12 Depth=1
	v_and_b32_e32 v6, 0x7f, v4
	v_mov_b32_e32 v117, 0x7c010000
	s_mov_b32 s20, exec_lo
	s_delay_alu instid0(VALU_DEP_2)
	v_cmpx_ne_u32_e32 0x7f, v6
	s_cbranch_execz .LBB259_207
; %bb.204:                              ;   in Loop: Header=BB259_12 Depth=1
	v_dual_lshrrev_b32 v1, 3, v6 :: v_dual_bitop2_b32 v0, 7, v4 bitop3:0x40
	s_mov_b32 s21, exec_lo
	v_cmpx_gt_u32_e32 8, v6
; %bb.205:                              ;   in Loop: Header=BB259_12 Depth=1
	s_delay_alu instid0(VALU_DEP_2) | instskip(NEXT) | instid1(VALU_DEP_1)
	v_clz_i32_u32_e32 v0, v0
	v_min_u32_e32 v6, 32, v0
	s_delay_alu instid0(VALU_DEP_1) | instskip(NEXT) | instid1(VALU_DEP_1)
	v_subrev_nc_u32_e32 v0, 28, v6
	v_lshlrev_b64_e32 v[0:1], v0, v[4:5]
	s_delay_alu instid0(VALU_DEP_1)
	v_dual_sub_nc_u32 v1, 29, v6 :: v_dual_bitop2_b32 v0, 7, v0 bitop3:0x40
; %bb.206:                              ;   in Loop: Header=BB259_12 Depth=1
	s_or_b32 exec_lo, exec_lo, s21
	v_lshlrev_b32_e32 v4, 8, v4
	s_delay_alu instid0(VALU_DEP_2) | instskip(NEXT) | instid1(VALU_DEP_3)
	v_lshl_add_u32 v1, v1, 10, 0x2000
	v_lshlrev_b32_e32 v0, 23, v0
	s_delay_alu instid0(VALU_DEP_2) | instskip(NEXT) | instid1(VALU_DEP_1)
	v_and_or_b32 v1, 0x8000, v4, v1
	v_lshl_or_b32 v117, v1, 16, v0
.LBB259_207:                            ;   in Loop: Header=BB259_12 Depth=1
	s_or_b32 exec_lo, exec_lo, s20
.LBB259_208:                            ;   in Loop: Header=BB259_12 Depth=1
	s_delay_alu instid0(SALU_CYCLE_1)
	s_or_b32 exec_lo, exec_lo, s19
.LBB259_209:                            ;   in Loop: Header=BB259_12 Depth=1
	s_delay_alu instid0(SALU_CYCLE_1)
	s_or_b32 exec_lo, exec_lo, s18
	flat_load_b32 v38, v[36:37] offset:768
	v_dual_mov_b32 v119, 0 :: v_dual_mov_b32 v40, 0
	s_mov_b32 s18, exec_lo
	s_wait_loadcnt_dscnt 0x0
	v_and_b32_e32 v0, 0xff, v38
	s_wait_xcnt 0x0
	s_delay_alu instid0(VALU_DEP_1)
	v_cmpx_ne_u16_e32 0, v0
	s_cbranch_execz .LBB259_217
; %bb.210:                              ;   in Loop: Header=BB259_12 Depth=1
	v_mov_b32_e32 v40, 0x8000
	s_mov_b32 s19, exec_lo
	v_cmpx_ne_u16_e32 0x80, v0
	s_cbranch_execz .LBB259_216
; %bb.211:                              ;   in Loop: Header=BB259_12 Depth=1
	v_and_b32_e32 v4, 0x7f, v38
	v_mov_b32_e32 v40, 0x7c01
	s_mov_b32 s20, exec_lo
	s_delay_alu instid0(VALU_DEP_2)
	v_cmpx_ne_u32_e32 0x7f, v4
	s_cbranch_execz .LBB259_215
; %bb.212:                              ;   in Loop: Header=BB259_12 Depth=1
	v_dual_lshrrev_b32 v1, 3, v4 :: v_dual_bitop2_b32 v0, 7, v38 bitop3:0x40
	s_mov_b32 s21, exec_lo
	v_cmpx_gt_u32_e32 8, v4
; %bb.213:                              ;   in Loop: Header=BB259_12 Depth=1
	s_delay_alu instid0(VALU_DEP_2) | instskip(NEXT) | instid1(VALU_DEP_1)
	v_clz_i32_u32_e32 v0, v0
	v_min_u32_e32 v4, 32, v0
	s_delay_alu instid0(VALU_DEP_1) | instskip(NEXT) | instid1(VALU_DEP_1)
	v_subrev_nc_u32_e32 v0, 28, v4
	v_lshlrev_b64_e32 v[0:1], v0, v[38:39]
	v_sub_nc_u32_e32 v1, 29, v4
	s_delay_alu instid0(VALU_DEP_2)
	v_and_b32_e32 v0, 7, v0
; %bb.214:                              ;   in Loop: Header=BB259_12 Depth=1
	s_or_b32 exec_lo, exec_lo, s21
	s_delay_alu instid0(VALU_DEP_1) | instskip(NEXT) | instid1(VALU_DEP_3)
	v_dual_lshlrev_b32 v4, 8, v38 :: v_dual_lshlrev_b32 v0, 7, v0
	v_lshl_add_u32 v1, v1, 10, 0x2000
	s_delay_alu instid0(VALU_DEP_2) | instskip(NEXT) | instid1(VALU_DEP_2)
	v_and_b32_e32 v4, 0x8000, v4
	v_and_b32_e32 v1, 0xfc00, v1
	s_delay_alu instid0(VALU_DEP_1)
	v_or3_b32 v40, v4, v1, v0
.LBB259_215:                            ;   in Loop: Header=BB259_12 Depth=1
	s_or_b32 exec_lo, exec_lo, s20
.LBB259_216:                            ;   in Loop: Header=BB259_12 Depth=1
	s_delay_alu instid0(SALU_CYCLE_1)
	s_or_b32 exec_lo, exec_lo, s19
.LBB259_217:                            ;   in Loop: Header=BB259_12 Depth=1
	s_delay_alu instid0(SALU_CYCLE_1) | instskip(SKIP_2) | instid1(VALU_DEP_1)
	s_or_b32 exec_lo, exec_lo, s18
	v_lshrrev_b16 v4, 8, v38
	s_mov_b32 s18, exec_lo
	v_cmpx_ne_u16_e32 0, v4
	s_cbranch_execz .LBB259_225
; %bb.218:                              ;   in Loop: Header=BB259_12 Depth=1
	v_bfrev_b32_e32 v119, 1
	s_mov_b32 s19, exec_lo
	v_cmpx_ne_u16_e32 0x80, v4
	s_cbranch_execz .LBB259_224
; %bb.219:                              ;   in Loop: Header=BB259_12 Depth=1
	v_and_b32_e32 v0, 0xffff, v4
	v_mov_b32_e32 v119, 0x7c010000
	s_mov_b32 s20, exec_lo
	s_delay_alu instid0(VALU_DEP_2) | instskip(NEXT) | instid1(VALU_DEP_1)
	v_and_b32_e32 v7, 0x7f, v0
	v_cmpx_ne_u32_e32 0x7f, v7
	s_cbranch_execz .LBB259_223
; %bb.220:                              ;   in Loop: Header=BB259_12 Depth=1
	v_dual_lshrrev_b32 v6, 3, v7 :: v_dual_bitop2_b32 v1, 7, v0 bitop3:0x40
	s_mov_b32 s21, exec_lo
	v_cmpx_gt_u32_e32 8, v7
; %bb.221:                              ;   in Loop: Header=BB259_12 Depth=1
	s_delay_alu instid0(VALU_DEP_2) | instskip(NEXT) | instid1(VALU_DEP_1)
	v_clz_i32_u32_e32 v1, v1
	v_min_u32_e32 v1, 32, v1
	s_delay_alu instid0(VALU_DEP_1) | instskip(NEXT) | instid1(VALU_DEP_1)
	v_subrev_nc_u32_e32 v6, 28, v1
	v_lshlrev_b64_e32 v[10:11], v6, v[4:5]
	s_delay_alu instid0(VALU_DEP_1)
	v_dual_sub_nc_u32 v6, 29, v1 :: v_dual_bitop2_b32 v1, 7, v10 bitop3:0x40
; %bb.222:                              ;   in Loop: Header=BB259_12 Depth=1
	s_or_b32 exec_lo, exec_lo, s21
	s_delay_alu instid0(VALU_DEP_1) | instskip(NEXT) | instid1(VALU_DEP_2)
	v_dual_lshlrev_b32 v0, 8, v0 :: v_dual_lshlrev_b32 v1, 23, v1
	v_lshl_add_u32 v4, v6, 10, 0x2000
	s_delay_alu instid0(VALU_DEP_1) | instskip(NEXT) | instid1(VALU_DEP_1)
	v_and_or_b32 v0, 0x8000, v0, v4
	v_lshl_or_b32 v119, v0, 16, v1
.LBB259_223:                            ;   in Loop: Header=BB259_12 Depth=1
	s_or_b32 exec_lo, exec_lo, s20
.LBB259_224:                            ;   in Loop: Header=BB259_12 Depth=1
	s_delay_alu instid0(SALU_CYCLE_1)
	s_or_b32 exec_lo, exec_lo, s19
.LBB259_225:                            ;   in Loop: Header=BB259_12 Depth=1
	s_delay_alu instid0(SALU_CYCLE_1) | instskip(SKIP_3) | instid1(VALU_DEP_2)
	s_or_b32 exec_lo, exec_lo, s18
	v_dual_mov_b32 v41, 0 :: v_dual_lshrrev_b32 v4, 16, v38
	v_mov_b32_e32 v42, 0
	s_mov_b32 s18, exec_lo
	v_and_b32_e32 v0, 0xff, v4
	s_delay_alu instid0(VALU_DEP_1)
	v_cmpx_ne_u16_e32 0, v0
	s_cbranch_execz .LBB259_233
; %bb.226:                              ;   in Loop: Header=BB259_12 Depth=1
	v_mov_b32_e32 v42, 0x8000
	s_mov_b32 s19, exec_lo
	v_cmpx_ne_u16_e32 0x80, v0
	s_cbranch_execz .LBB259_232
; %bb.227:                              ;   in Loop: Header=BB259_12 Depth=1
	v_bfe_u32 v6, v38, 16, 7
	v_mov_b32_e32 v42, 0x7c01
	s_mov_b32 s20, exec_lo
	s_delay_alu instid0(VALU_DEP_2)
	v_cmpx_ne_u32_e32 0x7f, v6
	s_cbranch_execz .LBB259_231
; %bb.228:                              ;   in Loop: Header=BB259_12 Depth=1
	v_dual_lshrrev_b32 v1, 3, v6 :: v_dual_bitop2_b32 v0, 7, v4 bitop3:0x40
	s_mov_b32 s21, exec_lo
	v_cmpx_gt_u32_e32 8, v6
; %bb.229:                              ;   in Loop: Header=BB259_12 Depth=1
	s_delay_alu instid0(VALU_DEP_2) | instskip(NEXT) | instid1(VALU_DEP_1)
	v_clz_i32_u32_e32 v0, v0
	v_min_u32_e32 v6, 32, v0
	s_delay_alu instid0(VALU_DEP_1) | instskip(NEXT) | instid1(VALU_DEP_1)
	v_subrev_nc_u32_e32 v0, 28, v6
	v_lshlrev_b64_e32 v[0:1], v0, v[4:5]
	s_delay_alu instid0(VALU_DEP_1)
	v_dual_sub_nc_u32 v1, 29, v6 :: v_dual_bitop2_b32 v0, 7, v0 bitop3:0x40
; %bb.230:                              ;   in Loop: Header=BB259_12 Depth=1
	s_or_b32 exec_lo, exec_lo, s21
	v_lshlrev_b32_e32 v4, 8, v4
	s_delay_alu instid0(VALU_DEP_2) | instskip(NEXT) | instid1(VALU_DEP_3)
	v_lshl_add_u32 v1, v1, 10, 0x2000
	v_lshlrev_b32_e32 v0, 7, v0
	s_delay_alu instid0(VALU_DEP_3) | instskip(NEXT) | instid1(VALU_DEP_3)
	v_and_b32_e32 v4, 0x8000, v4
	v_and_b32_e32 v1, 0xfc00, v1
	s_delay_alu instid0(VALU_DEP_1)
	v_or3_b32 v42, v4, v1, v0
.LBB259_231:                            ;   in Loop: Header=BB259_12 Depth=1
	s_or_b32 exec_lo, exec_lo, s20
.LBB259_232:                            ;   in Loop: Header=BB259_12 Depth=1
	s_delay_alu instid0(SALU_CYCLE_1)
	s_or_b32 exec_lo, exec_lo, s19
.LBB259_233:                            ;   in Loop: Header=BB259_12 Depth=1
	s_delay_alu instid0(SALU_CYCLE_1) | instskip(NEXT) | instid1(SALU_CYCLE_1)
	s_or_b32 exec_lo, exec_lo, s18
	s_mov_b32 s18, exec_lo
	v_cmpx_lt_u32_e32 0xffffff, v38
	s_cbranch_execz .LBB259_241
; %bb.234:                              ;   in Loop: Header=BB259_12 Depth=1
	v_lshrrev_b32_e32 v4, 24, v38
	v_bfrev_b32_e32 v41, 1
	s_mov_b32 s19, exec_lo
	s_delay_alu instid0(VALU_DEP_2)
	v_cmpx_ne_u32_e32 0x80, v4
	s_cbranch_execz .LBB259_240
; %bb.235:                              ;   in Loop: Header=BB259_12 Depth=1
	v_and_b32_e32 v6, 0x7f, v4
	v_mov_b32_e32 v41, 0x7c010000
	s_mov_b32 s20, exec_lo
	s_delay_alu instid0(VALU_DEP_2)
	v_cmpx_ne_u32_e32 0x7f, v6
	s_cbranch_execz .LBB259_239
; %bb.236:                              ;   in Loop: Header=BB259_12 Depth=1
	v_dual_lshrrev_b32 v1, 3, v6 :: v_dual_bitop2_b32 v0, 7, v4 bitop3:0x40
	s_mov_b32 s21, exec_lo
	v_cmpx_gt_u32_e32 8, v6
; %bb.237:                              ;   in Loop: Header=BB259_12 Depth=1
	s_delay_alu instid0(VALU_DEP_2) | instskip(NEXT) | instid1(VALU_DEP_1)
	v_clz_i32_u32_e32 v0, v0
	v_min_u32_e32 v6, 32, v0
	s_delay_alu instid0(VALU_DEP_1) | instskip(NEXT) | instid1(VALU_DEP_1)
	v_subrev_nc_u32_e32 v0, 28, v6
	v_lshlrev_b64_e32 v[0:1], v0, v[4:5]
	s_delay_alu instid0(VALU_DEP_1)
	v_dual_sub_nc_u32 v1, 29, v6 :: v_dual_bitop2_b32 v0, 7, v0 bitop3:0x40
; %bb.238:                              ;   in Loop: Header=BB259_12 Depth=1
	s_or_b32 exec_lo, exec_lo, s21
	v_lshlrev_b32_e32 v4, 8, v4
	s_delay_alu instid0(VALU_DEP_2) | instskip(NEXT) | instid1(VALU_DEP_3)
	v_lshl_add_u32 v1, v1, 10, 0x2000
	v_lshlrev_b32_e32 v0, 23, v0
	s_delay_alu instid0(VALU_DEP_2) | instskip(NEXT) | instid1(VALU_DEP_1)
	v_and_or_b32 v1, 0x8000, v4, v1
	v_lshl_or_b32 v41, v1, 16, v0
.LBB259_239:                            ;   in Loop: Header=BB259_12 Depth=1
	s_or_b32 exec_lo, exec_lo, s20
.LBB259_240:                            ;   in Loop: Header=BB259_12 Depth=1
	s_delay_alu instid0(SALU_CYCLE_1)
	s_or_b32 exec_lo, exec_lo, s19
.LBB259_241:                            ;   in Loop: Header=BB259_12 Depth=1
	s_delay_alu instid0(SALU_CYCLE_1)
	s_or_b32 exec_lo, exec_lo, s18
	flat_load_b32 v38, v[36:37] offset:776
	v_dual_mov_b32 v43, 0 :: v_dual_mov_b32 v44, 0
	s_mov_b32 s18, exec_lo
	s_wait_loadcnt_dscnt 0x0
	v_and_b32_e32 v0, 0xff, v38
	s_wait_xcnt 0x0
	s_delay_alu instid0(VALU_DEP_1)
	v_cmpx_ne_u16_e32 0, v0
	s_cbranch_execz .LBB259_249
; %bb.242:                              ;   in Loop: Header=BB259_12 Depth=1
	v_mov_b32_e32 v44, 0x8000
	s_mov_b32 s19, exec_lo
	v_cmpx_ne_u16_e32 0x80, v0
	s_cbranch_execz .LBB259_248
; %bb.243:                              ;   in Loop: Header=BB259_12 Depth=1
	v_and_b32_e32 v4, 0x7f, v38
	v_mov_b32_e32 v44, 0x7c01
	s_mov_b32 s20, exec_lo
	s_delay_alu instid0(VALU_DEP_2)
	v_cmpx_ne_u32_e32 0x7f, v4
	s_cbranch_execz .LBB259_247
; %bb.244:                              ;   in Loop: Header=BB259_12 Depth=1
	v_dual_lshrrev_b32 v1, 3, v4 :: v_dual_bitop2_b32 v0, 7, v38 bitop3:0x40
	s_mov_b32 s21, exec_lo
	v_cmpx_gt_u32_e32 8, v4
; %bb.245:                              ;   in Loop: Header=BB259_12 Depth=1
	s_delay_alu instid0(VALU_DEP_2) | instskip(NEXT) | instid1(VALU_DEP_1)
	v_clz_i32_u32_e32 v0, v0
	v_min_u32_e32 v4, 32, v0
	s_delay_alu instid0(VALU_DEP_1) | instskip(NEXT) | instid1(VALU_DEP_1)
	v_subrev_nc_u32_e32 v0, 28, v4
	v_lshlrev_b64_e32 v[0:1], v0, v[38:39]
	v_sub_nc_u32_e32 v1, 29, v4
	s_delay_alu instid0(VALU_DEP_2)
	v_and_b32_e32 v0, 7, v0
; %bb.246:                              ;   in Loop: Header=BB259_12 Depth=1
	s_or_b32 exec_lo, exec_lo, s21
	s_delay_alu instid0(VALU_DEP_1) | instskip(NEXT) | instid1(VALU_DEP_3)
	v_dual_lshlrev_b32 v4, 8, v38 :: v_dual_lshlrev_b32 v0, 7, v0
	v_lshl_add_u32 v1, v1, 10, 0x2000
	s_delay_alu instid0(VALU_DEP_2) | instskip(NEXT) | instid1(VALU_DEP_2)
	v_and_b32_e32 v4, 0x8000, v4
	v_and_b32_e32 v1, 0xfc00, v1
	s_delay_alu instid0(VALU_DEP_1)
	v_or3_b32 v44, v4, v1, v0
.LBB259_247:                            ;   in Loop: Header=BB259_12 Depth=1
	s_or_b32 exec_lo, exec_lo, s20
.LBB259_248:                            ;   in Loop: Header=BB259_12 Depth=1
	s_delay_alu instid0(SALU_CYCLE_1)
	s_or_b32 exec_lo, exec_lo, s19
.LBB259_249:                            ;   in Loop: Header=BB259_12 Depth=1
	s_delay_alu instid0(SALU_CYCLE_1) | instskip(SKIP_2) | instid1(VALU_DEP_1)
	s_or_b32 exec_lo, exec_lo, s18
	v_lshrrev_b16 v4, 8, v38
	s_mov_b32 s18, exec_lo
	v_cmpx_ne_u16_e32 0, v4
	s_cbranch_execz .LBB259_257
; %bb.250:                              ;   in Loop: Header=BB259_12 Depth=1
	v_bfrev_b32_e32 v43, 1
	s_mov_b32 s19, exec_lo
	v_cmpx_ne_u16_e32 0x80, v4
	s_cbranch_execz .LBB259_256
; %bb.251:                              ;   in Loop: Header=BB259_12 Depth=1
	v_and_b32_e32 v0, 0xffff, v4
	v_mov_b32_e32 v43, 0x7c010000
	s_mov_b32 s20, exec_lo
	s_delay_alu instid0(VALU_DEP_2) | instskip(NEXT) | instid1(VALU_DEP_1)
	v_and_b32_e32 v7, 0x7f, v0
	v_cmpx_ne_u32_e32 0x7f, v7
	s_cbranch_execz .LBB259_255
; %bb.252:                              ;   in Loop: Header=BB259_12 Depth=1
	v_dual_lshrrev_b32 v6, 3, v7 :: v_dual_bitop2_b32 v1, 7, v0 bitop3:0x40
	s_mov_b32 s21, exec_lo
	v_cmpx_gt_u32_e32 8, v7
; %bb.253:                              ;   in Loop: Header=BB259_12 Depth=1
	s_delay_alu instid0(VALU_DEP_2) | instskip(NEXT) | instid1(VALU_DEP_1)
	v_clz_i32_u32_e32 v1, v1
	v_min_u32_e32 v1, 32, v1
	s_delay_alu instid0(VALU_DEP_1) | instskip(NEXT) | instid1(VALU_DEP_1)
	v_subrev_nc_u32_e32 v6, 28, v1
	v_lshlrev_b64_e32 v[10:11], v6, v[4:5]
	s_delay_alu instid0(VALU_DEP_1)
	v_dual_sub_nc_u32 v6, 29, v1 :: v_dual_bitop2_b32 v1, 7, v10 bitop3:0x40
; %bb.254:                              ;   in Loop: Header=BB259_12 Depth=1
	s_or_b32 exec_lo, exec_lo, s21
	s_delay_alu instid0(VALU_DEP_1) | instskip(NEXT) | instid1(VALU_DEP_2)
	v_dual_lshlrev_b32 v0, 8, v0 :: v_dual_lshlrev_b32 v1, 23, v1
	v_lshl_add_u32 v4, v6, 10, 0x2000
	s_delay_alu instid0(VALU_DEP_1) | instskip(NEXT) | instid1(VALU_DEP_1)
	v_and_or_b32 v0, 0x8000, v0, v4
	v_lshl_or_b32 v43, v0, 16, v1
.LBB259_255:                            ;   in Loop: Header=BB259_12 Depth=1
	s_or_b32 exec_lo, exec_lo, s20
.LBB259_256:                            ;   in Loop: Header=BB259_12 Depth=1
	s_delay_alu instid0(SALU_CYCLE_1)
	s_or_b32 exec_lo, exec_lo, s19
.LBB259_257:                            ;   in Loop: Header=BB259_12 Depth=1
	s_delay_alu instid0(SALU_CYCLE_1) | instskip(SKIP_3) | instid1(VALU_DEP_2)
	s_or_b32 exec_lo, exec_lo, s18
	v_dual_mov_b32 v45, 0 :: v_dual_lshrrev_b32 v4, 16, v38
	v_mov_b32_e32 v46, 0
	s_mov_b32 s18, exec_lo
	v_and_b32_e32 v0, 0xff, v4
	s_delay_alu instid0(VALU_DEP_1)
	v_cmpx_ne_u16_e32 0, v0
	s_cbranch_execz .LBB259_265
; %bb.258:                              ;   in Loop: Header=BB259_12 Depth=1
	v_mov_b32_e32 v46, 0x8000
	s_mov_b32 s19, exec_lo
	v_cmpx_ne_u16_e32 0x80, v0
	s_cbranch_execz .LBB259_264
; %bb.259:                              ;   in Loop: Header=BB259_12 Depth=1
	v_bfe_u32 v6, v38, 16, 7
	v_mov_b32_e32 v46, 0x7c01
	s_mov_b32 s20, exec_lo
	s_delay_alu instid0(VALU_DEP_2)
	v_cmpx_ne_u32_e32 0x7f, v6
	s_cbranch_execz .LBB259_263
; %bb.260:                              ;   in Loop: Header=BB259_12 Depth=1
	v_dual_lshrrev_b32 v1, 3, v6 :: v_dual_bitop2_b32 v0, 7, v4 bitop3:0x40
	s_mov_b32 s21, exec_lo
	v_cmpx_gt_u32_e32 8, v6
; %bb.261:                              ;   in Loop: Header=BB259_12 Depth=1
	s_delay_alu instid0(VALU_DEP_2) | instskip(NEXT) | instid1(VALU_DEP_1)
	v_clz_i32_u32_e32 v0, v0
	v_min_u32_e32 v6, 32, v0
	s_delay_alu instid0(VALU_DEP_1) | instskip(NEXT) | instid1(VALU_DEP_1)
	v_subrev_nc_u32_e32 v0, 28, v6
	v_lshlrev_b64_e32 v[0:1], v0, v[4:5]
	s_delay_alu instid0(VALU_DEP_1)
	v_dual_sub_nc_u32 v1, 29, v6 :: v_dual_bitop2_b32 v0, 7, v0 bitop3:0x40
; %bb.262:                              ;   in Loop: Header=BB259_12 Depth=1
	s_or_b32 exec_lo, exec_lo, s21
	v_lshlrev_b32_e32 v4, 8, v4
	s_delay_alu instid0(VALU_DEP_2) | instskip(NEXT) | instid1(VALU_DEP_3)
	v_lshl_add_u32 v1, v1, 10, 0x2000
	v_lshlrev_b32_e32 v0, 7, v0
	s_delay_alu instid0(VALU_DEP_3) | instskip(NEXT) | instid1(VALU_DEP_3)
	v_and_b32_e32 v4, 0x8000, v4
	v_and_b32_e32 v1, 0xfc00, v1
	s_delay_alu instid0(VALU_DEP_1)
	v_or3_b32 v46, v4, v1, v0
.LBB259_263:                            ;   in Loop: Header=BB259_12 Depth=1
	s_or_b32 exec_lo, exec_lo, s20
.LBB259_264:                            ;   in Loop: Header=BB259_12 Depth=1
	s_delay_alu instid0(SALU_CYCLE_1)
	s_or_b32 exec_lo, exec_lo, s19
.LBB259_265:                            ;   in Loop: Header=BB259_12 Depth=1
	s_delay_alu instid0(SALU_CYCLE_1) | instskip(NEXT) | instid1(SALU_CYCLE_1)
	s_or_b32 exec_lo, exec_lo, s18
	s_mov_b32 s18, exec_lo
	v_cmpx_lt_u32_e32 0xffffff, v38
	s_cbranch_execz .LBB259_273
; %bb.266:                              ;   in Loop: Header=BB259_12 Depth=1
	v_lshrrev_b32_e32 v4, 24, v38
	v_bfrev_b32_e32 v45, 1
	s_mov_b32 s19, exec_lo
	s_delay_alu instid0(VALU_DEP_2)
	v_cmpx_ne_u32_e32 0x80, v4
	s_cbranch_execz .LBB259_272
; %bb.267:                              ;   in Loop: Header=BB259_12 Depth=1
	v_and_b32_e32 v6, 0x7f, v4
	v_mov_b32_e32 v45, 0x7c010000
	s_mov_b32 s20, exec_lo
	s_delay_alu instid0(VALU_DEP_2)
	v_cmpx_ne_u32_e32 0x7f, v6
	s_cbranch_execz .LBB259_271
; %bb.268:                              ;   in Loop: Header=BB259_12 Depth=1
	v_dual_lshrrev_b32 v1, 3, v6 :: v_dual_bitop2_b32 v0, 7, v4 bitop3:0x40
	s_mov_b32 s21, exec_lo
	v_cmpx_gt_u32_e32 8, v6
; %bb.269:                              ;   in Loop: Header=BB259_12 Depth=1
	s_delay_alu instid0(VALU_DEP_2) | instskip(NEXT) | instid1(VALU_DEP_1)
	v_clz_i32_u32_e32 v0, v0
	v_min_u32_e32 v6, 32, v0
	s_delay_alu instid0(VALU_DEP_1) | instskip(NEXT) | instid1(VALU_DEP_1)
	v_subrev_nc_u32_e32 v0, 28, v6
	v_lshlrev_b64_e32 v[0:1], v0, v[4:5]
	s_delay_alu instid0(VALU_DEP_1)
	v_dual_sub_nc_u32 v1, 29, v6 :: v_dual_bitop2_b32 v0, 7, v0 bitop3:0x40
; %bb.270:                              ;   in Loop: Header=BB259_12 Depth=1
	s_or_b32 exec_lo, exec_lo, s21
	v_lshlrev_b32_e32 v4, 8, v4
	s_delay_alu instid0(VALU_DEP_2) | instskip(NEXT) | instid1(VALU_DEP_3)
	v_lshl_add_u32 v1, v1, 10, 0x2000
	v_lshlrev_b32_e32 v0, 23, v0
	s_delay_alu instid0(VALU_DEP_2) | instskip(NEXT) | instid1(VALU_DEP_1)
	v_and_or_b32 v1, 0x8000, v4, v1
	v_lshl_or_b32 v45, v1, 16, v0
.LBB259_271:                            ;   in Loop: Header=BB259_12 Depth=1
	s_or_b32 exec_lo, exec_lo, s20
.LBB259_272:                            ;   in Loop: Header=BB259_12 Depth=1
	s_delay_alu instid0(SALU_CYCLE_1)
	s_or_b32 exec_lo, exec_lo, s19
.LBB259_273:                            ;   in Loop: Header=BB259_12 Depth=1
	s_delay_alu instid0(SALU_CYCLE_1)
	s_or_b32 exec_lo, exec_lo, s18
	flat_load_b32 v38, v[36:37] offset:1024
	v_dual_mov_b32 v59, 0 :: v_dual_mov_b32 v60, 0
	s_mov_b32 s18, exec_lo
	s_wait_loadcnt_dscnt 0x0
	v_and_b32_e32 v0, 0xff, v38
	s_wait_xcnt 0x0
	s_delay_alu instid0(VALU_DEP_1)
	v_cmpx_ne_u16_e32 0, v0
	s_cbranch_execz .LBB259_281
; %bb.274:                              ;   in Loop: Header=BB259_12 Depth=1
	v_mov_b32_e32 v60, 0x8000
	s_mov_b32 s19, exec_lo
	v_cmpx_ne_u16_e32 0x80, v0
	s_cbranch_execz .LBB259_280
; %bb.275:                              ;   in Loop: Header=BB259_12 Depth=1
	v_and_b32_e32 v4, 0x7f, v38
	v_mov_b32_e32 v60, 0x7c01
	s_mov_b32 s20, exec_lo
	s_delay_alu instid0(VALU_DEP_2)
	v_cmpx_ne_u32_e32 0x7f, v4
	s_cbranch_execz .LBB259_279
; %bb.276:                              ;   in Loop: Header=BB259_12 Depth=1
	v_dual_lshrrev_b32 v1, 3, v4 :: v_dual_bitop2_b32 v0, 7, v38 bitop3:0x40
	s_mov_b32 s21, exec_lo
	v_cmpx_gt_u32_e32 8, v4
; %bb.277:                              ;   in Loop: Header=BB259_12 Depth=1
	s_delay_alu instid0(VALU_DEP_2) | instskip(NEXT) | instid1(VALU_DEP_1)
	v_clz_i32_u32_e32 v0, v0
	v_min_u32_e32 v4, 32, v0
	s_delay_alu instid0(VALU_DEP_1) | instskip(NEXT) | instid1(VALU_DEP_1)
	v_subrev_nc_u32_e32 v0, 28, v4
	v_lshlrev_b64_e32 v[0:1], v0, v[38:39]
	v_sub_nc_u32_e32 v1, 29, v4
	s_delay_alu instid0(VALU_DEP_2)
	v_and_b32_e32 v0, 7, v0
; %bb.278:                              ;   in Loop: Header=BB259_12 Depth=1
	s_or_b32 exec_lo, exec_lo, s21
	s_delay_alu instid0(VALU_DEP_1) | instskip(NEXT) | instid1(VALU_DEP_3)
	v_dual_lshlrev_b32 v4, 8, v38 :: v_dual_lshlrev_b32 v0, 7, v0
	v_lshl_add_u32 v1, v1, 10, 0x2000
	s_delay_alu instid0(VALU_DEP_2) | instskip(NEXT) | instid1(VALU_DEP_2)
	v_and_b32_e32 v4, 0x8000, v4
	v_and_b32_e32 v1, 0xfc00, v1
	s_delay_alu instid0(VALU_DEP_1)
	v_or3_b32 v60, v4, v1, v0
.LBB259_279:                            ;   in Loop: Header=BB259_12 Depth=1
	s_or_b32 exec_lo, exec_lo, s20
.LBB259_280:                            ;   in Loop: Header=BB259_12 Depth=1
	s_delay_alu instid0(SALU_CYCLE_1)
	s_or_b32 exec_lo, exec_lo, s19
.LBB259_281:                            ;   in Loop: Header=BB259_12 Depth=1
	s_delay_alu instid0(SALU_CYCLE_1) | instskip(SKIP_2) | instid1(VALU_DEP_1)
	s_or_b32 exec_lo, exec_lo, s18
	v_lshrrev_b16 v4, 8, v38
	s_mov_b32 s18, exec_lo
	v_cmpx_ne_u16_e32 0, v4
	s_cbranch_execz .LBB259_289
; %bb.282:                              ;   in Loop: Header=BB259_12 Depth=1
	v_bfrev_b32_e32 v59, 1
	s_mov_b32 s19, exec_lo
	v_cmpx_ne_u16_e32 0x80, v4
	s_cbranch_execz .LBB259_288
; %bb.283:                              ;   in Loop: Header=BB259_12 Depth=1
	v_and_b32_e32 v0, 0xffff, v4
	v_mov_b32_e32 v59, 0x7c010000
	s_mov_b32 s20, exec_lo
	s_delay_alu instid0(VALU_DEP_2) | instskip(NEXT) | instid1(VALU_DEP_1)
	v_and_b32_e32 v7, 0x7f, v0
	v_cmpx_ne_u32_e32 0x7f, v7
	s_cbranch_execz .LBB259_287
; %bb.284:                              ;   in Loop: Header=BB259_12 Depth=1
	v_dual_lshrrev_b32 v6, 3, v7 :: v_dual_bitop2_b32 v1, 7, v0 bitop3:0x40
	s_mov_b32 s21, exec_lo
	v_cmpx_gt_u32_e32 8, v7
; %bb.285:                              ;   in Loop: Header=BB259_12 Depth=1
	s_delay_alu instid0(VALU_DEP_2) | instskip(NEXT) | instid1(VALU_DEP_1)
	v_clz_i32_u32_e32 v1, v1
	v_min_u32_e32 v1, 32, v1
	s_delay_alu instid0(VALU_DEP_1) | instskip(NEXT) | instid1(VALU_DEP_1)
	v_subrev_nc_u32_e32 v6, 28, v1
	v_lshlrev_b64_e32 v[10:11], v6, v[4:5]
	s_delay_alu instid0(VALU_DEP_1)
	v_dual_sub_nc_u32 v6, 29, v1 :: v_dual_bitop2_b32 v1, 7, v10 bitop3:0x40
; %bb.286:                              ;   in Loop: Header=BB259_12 Depth=1
	s_or_b32 exec_lo, exec_lo, s21
	s_delay_alu instid0(VALU_DEP_1) | instskip(NEXT) | instid1(VALU_DEP_2)
	v_dual_lshlrev_b32 v0, 8, v0 :: v_dual_lshlrev_b32 v1, 23, v1
	v_lshl_add_u32 v4, v6, 10, 0x2000
	s_delay_alu instid0(VALU_DEP_1) | instskip(NEXT) | instid1(VALU_DEP_1)
	v_and_or_b32 v0, 0x8000, v0, v4
	v_lshl_or_b32 v59, v0, 16, v1
.LBB259_287:                            ;   in Loop: Header=BB259_12 Depth=1
	s_or_b32 exec_lo, exec_lo, s20
.LBB259_288:                            ;   in Loop: Header=BB259_12 Depth=1
	s_delay_alu instid0(SALU_CYCLE_1)
	s_or_b32 exec_lo, exec_lo, s19
.LBB259_289:                            ;   in Loop: Header=BB259_12 Depth=1
	s_delay_alu instid0(SALU_CYCLE_1) | instskip(SKIP_3) | instid1(VALU_DEP_2)
	s_or_b32 exec_lo, exec_lo, s18
	v_dual_mov_b32 v73, 0 :: v_dual_lshrrev_b32 v4, 16, v38
	v_mov_b32_e32 v74, 0
	s_mov_b32 s18, exec_lo
	v_and_b32_e32 v0, 0xff, v4
	s_delay_alu instid0(VALU_DEP_1)
	v_cmpx_ne_u16_e32 0, v0
	s_cbranch_execz .LBB259_297
; %bb.290:                              ;   in Loop: Header=BB259_12 Depth=1
	v_mov_b32_e32 v74, 0x8000
	s_mov_b32 s19, exec_lo
	v_cmpx_ne_u16_e32 0x80, v0
	s_cbranch_execz .LBB259_296
; %bb.291:                              ;   in Loop: Header=BB259_12 Depth=1
	v_bfe_u32 v6, v38, 16, 7
	v_mov_b32_e32 v74, 0x7c01
	s_mov_b32 s20, exec_lo
	s_delay_alu instid0(VALU_DEP_2)
	v_cmpx_ne_u32_e32 0x7f, v6
	s_cbranch_execz .LBB259_295
; %bb.292:                              ;   in Loop: Header=BB259_12 Depth=1
	v_dual_lshrrev_b32 v1, 3, v6 :: v_dual_bitop2_b32 v0, 7, v4 bitop3:0x40
	s_mov_b32 s21, exec_lo
	v_cmpx_gt_u32_e32 8, v6
; %bb.293:                              ;   in Loop: Header=BB259_12 Depth=1
	s_delay_alu instid0(VALU_DEP_2) | instskip(NEXT) | instid1(VALU_DEP_1)
	v_clz_i32_u32_e32 v0, v0
	v_min_u32_e32 v6, 32, v0
	s_delay_alu instid0(VALU_DEP_1) | instskip(NEXT) | instid1(VALU_DEP_1)
	v_subrev_nc_u32_e32 v0, 28, v6
	v_lshlrev_b64_e32 v[0:1], v0, v[4:5]
	s_delay_alu instid0(VALU_DEP_1)
	v_dual_sub_nc_u32 v1, 29, v6 :: v_dual_bitop2_b32 v0, 7, v0 bitop3:0x40
; %bb.294:                              ;   in Loop: Header=BB259_12 Depth=1
	s_or_b32 exec_lo, exec_lo, s21
	v_lshlrev_b32_e32 v4, 8, v4
	s_delay_alu instid0(VALU_DEP_2) | instskip(NEXT) | instid1(VALU_DEP_3)
	v_lshl_add_u32 v1, v1, 10, 0x2000
	v_lshlrev_b32_e32 v0, 7, v0
	s_delay_alu instid0(VALU_DEP_3) | instskip(NEXT) | instid1(VALU_DEP_3)
	v_and_b32_e32 v4, 0x8000, v4
	v_and_b32_e32 v1, 0xfc00, v1
	s_delay_alu instid0(VALU_DEP_1)
	v_or3_b32 v74, v4, v1, v0
.LBB259_295:                            ;   in Loop: Header=BB259_12 Depth=1
	s_or_b32 exec_lo, exec_lo, s20
.LBB259_296:                            ;   in Loop: Header=BB259_12 Depth=1
	s_delay_alu instid0(SALU_CYCLE_1)
	s_or_b32 exec_lo, exec_lo, s19
.LBB259_297:                            ;   in Loop: Header=BB259_12 Depth=1
	s_delay_alu instid0(SALU_CYCLE_1) | instskip(NEXT) | instid1(SALU_CYCLE_1)
	s_or_b32 exec_lo, exec_lo, s18
	s_mov_b32 s18, exec_lo
	v_cmpx_lt_u32_e32 0xffffff, v38
	s_cbranch_execz .LBB259_305
; %bb.298:                              ;   in Loop: Header=BB259_12 Depth=1
	v_lshrrev_b32_e32 v4, 24, v38
	v_bfrev_b32_e32 v73, 1
	s_mov_b32 s19, exec_lo
	s_delay_alu instid0(VALU_DEP_2)
	v_cmpx_ne_u32_e32 0x80, v4
	s_cbranch_execz .LBB259_304
; %bb.299:                              ;   in Loop: Header=BB259_12 Depth=1
	v_and_b32_e32 v6, 0x7f, v4
	v_mov_b32_e32 v73, 0x7c010000
	s_mov_b32 s20, exec_lo
	s_delay_alu instid0(VALU_DEP_2)
	v_cmpx_ne_u32_e32 0x7f, v6
	s_cbranch_execz .LBB259_303
; %bb.300:                              ;   in Loop: Header=BB259_12 Depth=1
	v_dual_lshrrev_b32 v1, 3, v6 :: v_dual_bitop2_b32 v0, 7, v4 bitop3:0x40
	s_mov_b32 s21, exec_lo
	v_cmpx_gt_u32_e32 8, v6
; %bb.301:                              ;   in Loop: Header=BB259_12 Depth=1
	s_delay_alu instid0(VALU_DEP_2) | instskip(NEXT) | instid1(VALU_DEP_1)
	v_clz_i32_u32_e32 v0, v0
	v_min_u32_e32 v6, 32, v0
	s_delay_alu instid0(VALU_DEP_1) | instskip(NEXT) | instid1(VALU_DEP_1)
	v_subrev_nc_u32_e32 v0, 28, v6
	v_lshlrev_b64_e32 v[0:1], v0, v[4:5]
	s_delay_alu instid0(VALU_DEP_1)
	v_dual_sub_nc_u32 v1, 29, v6 :: v_dual_bitop2_b32 v0, 7, v0 bitop3:0x40
; %bb.302:                              ;   in Loop: Header=BB259_12 Depth=1
	s_or_b32 exec_lo, exec_lo, s21
	v_lshlrev_b32_e32 v4, 8, v4
	s_delay_alu instid0(VALU_DEP_2) | instskip(NEXT) | instid1(VALU_DEP_3)
	v_lshl_add_u32 v1, v1, 10, 0x2000
	v_lshlrev_b32_e32 v0, 23, v0
	s_delay_alu instid0(VALU_DEP_2) | instskip(NEXT) | instid1(VALU_DEP_1)
	v_and_or_b32 v1, 0x8000, v4, v1
	v_lshl_or_b32 v73, v1, 16, v0
.LBB259_303:                            ;   in Loop: Header=BB259_12 Depth=1
	s_or_b32 exec_lo, exec_lo, s20
.LBB259_304:                            ;   in Loop: Header=BB259_12 Depth=1
	s_delay_alu instid0(SALU_CYCLE_1)
	s_or_b32 exec_lo, exec_lo, s19
.LBB259_305:                            ;   in Loop: Header=BB259_12 Depth=1
	s_delay_alu instid0(SALU_CYCLE_1)
	s_or_b32 exec_lo, exec_lo, s18
	flat_load_b32 v38, v[36:37] offset:1032
	v_dual_mov_b32 v75, 0 :: v_dual_mov_b32 v76, 0
	s_mov_b32 s18, exec_lo
	s_wait_loadcnt_dscnt 0x0
	v_and_b32_e32 v0, 0xff, v38
	s_wait_xcnt 0x0
	s_delay_alu instid0(VALU_DEP_1)
	v_cmpx_ne_u16_e32 0, v0
	s_cbranch_execz .LBB259_313
; %bb.306:                              ;   in Loop: Header=BB259_12 Depth=1
	v_mov_b32_e32 v76, 0x8000
	s_mov_b32 s19, exec_lo
	v_cmpx_ne_u16_e32 0x80, v0
	s_cbranch_execz .LBB259_312
; %bb.307:                              ;   in Loop: Header=BB259_12 Depth=1
	v_and_b32_e32 v4, 0x7f, v38
	v_mov_b32_e32 v76, 0x7c01
	s_mov_b32 s20, exec_lo
	s_delay_alu instid0(VALU_DEP_2)
	v_cmpx_ne_u32_e32 0x7f, v4
	s_cbranch_execz .LBB259_311
; %bb.308:                              ;   in Loop: Header=BB259_12 Depth=1
	v_dual_lshrrev_b32 v1, 3, v4 :: v_dual_bitop2_b32 v0, 7, v38 bitop3:0x40
	s_mov_b32 s21, exec_lo
	v_cmpx_gt_u32_e32 8, v4
; %bb.309:                              ;   in Loop: Header=BB259_12 Depth=1
	s_delay_alu instid0(VALU_DEP_2) | instskip(NEXT) | instid1(VALU_DEP_1)
	v_clz_i32_u32_e32 v0, v0
	v_min_u32_e32 v4, 32, v0
	s_delay_alu instid0(VALU_DEP_1) | instskip(NEXT) | instid1(VALU_DEP_1)
	v_subrev_nc_u32_e32 v0, 28, v4
	v_lshlrev_b64_e32 v[0:1], v0, v[38:39]
	v_sub_nc_u32_e32 v1, 29, v4
	s_delay_alu instid0(VALU_DEP_2)
	v_and_b32_e32 v0, 7, v0
; %bb.310:                              ;   in Loop: Header=BB259_12 Depth=1
	s_or_b32 exec_lo, exec_lo, s21
	s_delay_alu instid0(VALU_DEP_1) | instskip(NEXT) | instid1(VALU_DEP_3)
	v_dual_lshlrev_b32 v4, 8, v38 :: v_dual_lshlrev_b32 v0, 7, v0
	v_lshl_add_u32 v1, v1, 10, 0x2000
	s_delay_alu instid0(VALU_DEP_2) | instskip(NEXT) | instid1(VALU_DEP_2)
	v_and_b32_e32 v4, 0x8000, v4
	v_and_b32_e32 v1, 0xfc00, v1
	s_delay_alu instid0(VALU_DEP_1)
	v_or3_b32 v76, v4, v1, v0
.LBB259_311:                            ;   in Loop: Header=BB259_12 Depth=1
	s_or_b32 exec_lo, exec_lo, s20
.LBB259_312:                            ;   in Loop: Header=BB259_12 Depth=1
	s_delay_alu instid0(SALU_CYCLE_1)
	s_or_b32 exec_lo, exec_lo, s19
.LBB259_313:                            ;   in Loop: Header=BB259_12 Depth=1
	s_delay_alu instid0(SALU_CYCLE_1) | instskip(SKIP_2) | instid1(VALU_DEP_1)
	s_or_b32 exec_lo, exec_lo, s18
	v_lshrrev_b16 v4, 8, v38
	s_mov_b32 s18, exec_lo
	v_cmpx_ne_u16_e32 0, v4
	s_cbranch_execz .LBB259_321
; %bb.314:                              ;   in Loop: Header=BB259_12 Depth=1
	v_bfrev_b32_e32 v75, 1
	s_mov_b32 s19, exec_lo
	v_cmpx_ne_u16_e32 0x80, v4
	s_cbranch_execz .LBB259_320
; %bb.315:                              ;   in Loop: Header=BB259_12 Depth=1
	v_and_b32_e32 v0, 0xffff, v4
	v_mov_b32_e32 v75, 0x7c010000
	s_mov_b32 s20, exec_lo
	s_delay_alu instid0(VALU_DEP_2) | instskip(NEXT) | instid1(VALU_DEP_1)
	v_and_b32_e32 v7, 0x7f, v0
	v_cmpx_ne_u32_e32 0x7f, v7
	s_cbranch_execz .LBB259_319
; %bb.316:                              ;   in Loop: Header=BB259_12 Depth=1
	v_dual_lshrrev_b32 v6, 3, v7 :: v_dual_bitop2_b32 v1, 7, v0 bitop3:0x40
	s_mov_b32 s21, exec_lo
	v_cmpx_gt_u32_e32 8, v7
; %bb.317:                              ;   in Loop: Header=BB259_12 Depth=1
	s_delay_alu instid0(VALU_DEP_2) | instskip(NEXT) | instid1(VALU_DEP_1)
	v_clz_i32_u32_e32 v1, v1
	v_min_u32_e32 v1, 32, v1
	s_delay_alu instid0(VALU_DEP_1) | instskip(NEXT) | instid1(VALU_DEP_1)
	v_subrev_nc_u32_e32 v6, 28, v1
	v_lshlrev_b64_e32 v[10:11], v6, v[4:5]
	s_delay_alu instid0(VALU_DEP_1)
	v_dual_sub_nc_u32 v6, 29, v1 :: v_dual_bitop2_b32 v1, 7, v10 bitop3:0x40
; %bb.318:                              ;   in Loop: Header=BB259_12 Depth=1
	s_or_b32 exec_lo, exec_lo, s21
	s_delay_alu instid0(VALU_DEP_1) | instskip(NEXT) | instid1(VALU_DEP_2)
	v_dual_lshlrev_b32 v0, 8, v0 :: v_dual_lshlrev_b32 v1, 23, v1
	v_lshl_add_u32 v4, v6, 10, 0x2000
	s_delay_alu instid0(VALU_DEP_1) | instskip(NEXT) | instid1(VALU_DEP_1)
	v_and_or_b32 v0, 0x8000, v0, v4
	v_lshl_or_b32 v75, v0, 16, v1
.LBB259_319:                            ;   in Loop: Header=BB259_12 Depth=1
	s_or_b32 exec_lo, exec_lo, s20
.LBB259_320:                            ;   in Loop: Header=BB259_12 Depth=1
	s_delay_alu instid0(SALU_CYCLE_1)
	s_or_b32 exec_lo, exec_lo, s19
.LBB259_321:                            ;   in Loop: Header=BB259_12 Depth=1
	s_delay_alu instid0(SALU_CYCLE_1) | instskip(SKIP_3) | instid1(VALU_DEP_2)
	s_or_b32 exec_lo, exec_lo, s18
	v_dual_lshrrev_b32 v4, 16, v38 :: v_dual_mov_b32 v78, 0
	v_mov_b32_e32 v79, 0
	s_mov_b32 s18, exec_lo
	v_and_b32_e32 v0, 0xff, v4
	s_delay_alu instid0(VALU_DEP_1)
	v_cmpx_ne_u16_e32 0, v0
	s_cbranch_execz .LBB259_329
; %bb.322:                              ;   in Loop: Header=BB259_12 Depth=1
	v_mov_b32_e32 v79, 0x8000
	s_mov_b32 s19, exec_lo
	v_cmpx_ne_u16_e32 0x80, v0
	s_cbranch_execz .LBB259_328
; %bb.323:                              ;   in Loop: Header=BB259_12 Depth=1
	v_bfe_u32 v6, v38, 16, 7
	v_mov_b32_e32 v79, 0x7c01
	s_mov_b32 s20, exec_lo
	s_delay_alu instid0(VALU_DEP_2)
	v_cmpx_ne_u32_e32 0x7f, v6
	s_cbranch_execz .LBB259_327
; %bb.324:                              ;   in Loop: Header=BB259_12 Depth=1
	v_dual_lshrrev_b32 v1, 3, v6 :: v_dual_bitop2_b32 v0, 7, v4 bitop3:0x40
	s_mov_b32 s21, exec_lo
	v_cmpx_gt_u32_e32 8, v6
; %bb.325:                              ;   in Loop: Header=BB259_12 Depth=1
	s_delay_alu instid0(VALU_DEP_2) | instskip(NEXT) | instid1(VALU_DEP_1)
	v_clz_i32_u32_e32 v0, v0
	v_min_u32_e32 v6, 32, v0
	s_delay_alu instid0(VALU_DEP_1) | instskip(NEXT) | instid1(VALU_DEP_1)
	v_subrev_nc_u32_e32 v0, 28, v6
	v_lshlrev_b64_e32 v[0:1], v0, v[4:5]
	s_delay_alu instid0(VALU_DEP_1)
	v_dual_sub_nc_u32 v1, 29, v6 :: v_dual_bitop2_b32 v0, 7, v0 bitop3:0x40
; %bb.326:                              ;   in Loop: Header=BB259_12 Depth=1
	s_or_b32 exec_lo, exec_lo, s21
	v_lshlrev_b32_e32 v4, 8, v4
	s_delay_alu instid0(VALU_DEP_2) | instskip(NEXT) | instid1(VALU_DEP_3)
	v_lshl_add_u32 v1, v1, 10, 0x2000
	v_lshlrev_b32_e32 v0, 7, v0
	s_delay_alu instid0(VALU_DEP_3) | instskip(NEXT) | instid1(VALU_DEP_3)
	v_and_b32_e32 v4, 0x8000, v4
	v_and_b32_e32 v1, 0xfc00, v1
	s_delay_alu instid0(VALU_DEP_1)
	v_or3_b32 v79, v4, v1, v0
.LBB259_327:                            ;   in Loop: Header=BB259_12 Depth=1
	s_or_b32 exec_lo, exec_lo, s20
.LBB259_328:                            ;   in Loop: Header=BB259_12 Depth=1
	s_delay_alu instid0(SALU_CYCLE_1)
	s_or_b32 exec_lo, exec_lo, s19
.LBB259_329:                            ;   in Loop: Header=BB259_12 Depth=1
	s_delay_alu instid0(SALU_CYCLE_1) | instskip(NEXT) | instid1(SALU_CYCLE_1)
	s_or_b32 exec_lo, exec_lo, s18
	s_mov_b32 s18, exec_lo
	v_cmpx_lt_u32_e32 0xffffff, v38
	s_cbranch_execz .LBB259_337
; %bb.330:                              ;   in Loop: Header=BB259_12 Depth=1
	v_lshrrev_b32_e32 v4, 24, v38
	v_bfrev_b32_e32 v78, 1
	s_mov_b32 s19, exec_lo
	s_delay_alu instid0(VALU_DEP_2)
	v_cmpx_ne_u32_e32 0x80, v4
	s_cbranch_execz .LBB259_336
; %bb.331:                              ;   in Loop: Header=BB259_12 Depth=1
	v_and_b32_e32 v6, 0x7f, v4
	v_mov_b32_e32 v78, 0x7c010000
	s_mov_b32 s20, exec_lo
	s_delay_alu instid0(VALU_DEP_2)
	v_cmpx_ne_u32_e32 0x7f, v6
	s_cbranch_execz .LBB259_335
; %bb.332:                              ;   in Loop: Header=BB259_12 Depth=1
	v_dual_lshrrev_b32 v1, 3, v6 :: v_dual_bitop2_b32 v0, 7, v4 bitop3:0x40
	s_mov_b32 s21, exec_lo
	v_cmpx_gt_u32_e32 8, v6
; %bb.333:                              ;   in Loop: Header=BB259_12 Depth=1
	s_delay_alu instid0(VALU_DEP_2) | instskip(NEXT) | instid1(VALU_DEP_1)
	v_clz_i32_u32_e32 v0, v0
	v_min_u32_e32 v6, 32, v0
	s_delay_alu instid0(VALU_DEP_1) | instskip(NEXT) | instid1(VALU_DEP_1)
	v_subrev_nc_u32_e32 v0, 28, v6
	v_lshlrev_b64_e32 v[0:1], v0, v[4:5]
	s_delay_alu instid0(VALU_DEP_1)
	v_dual_sub_nc_u32 v1, 29, v6 :: v_dual_bitop2_b32 v0, 7, v0 bitop3:0x40
; %bb.334:                              ;   in Loop: Header=BB259_12 Depth=1
	s_or_b32 exec_lo, exec_lo, s21
	v_lshlrev_b32_e32 v4, 8, v4
	s_delay_alu instid0(VALU_DEP_2) | instskip(NEXT) | instid1(VALU_DEP_3)
	v_lshl_add_u32 v1, v1, 10, 0x2000
	v_lshlrev_b32_e32 v0, 23, v0
	s_delay_alu instid0(VALU_DEP_2) | instskip(NEXT) | instid1(VALU_DEP_1)
	v_and_or_b32 v1, 0x8000, v4, v1
	v_lshl_or_b32 v78, v1, 16, v0
.LBB259_335:                            ;   in Loop: Header=BB259_12 Depth=1
	s_or_b32 exec_lo, exec_lo, s20
.LBB259_336:                            ;   in Loop: Header=BB259_12 Depth=1
	s_delay_alu instid0(SALU_CYCLE_1)
	s_or_b32 exec_lo, exec_lo, s19
.LBB259_337:                            ;   in Loop: Header=BB259_12 Depth=1
	s_delay_alu instid0(SALU_CYCLE_1)
	s_or_b32 exec_lo, exec_lo, s18
	flat_load_b32 v38, v[36:37] offset:1280
	v_dual_mov_b32 v92, 0 :: v_dual_mov_b32 v93, 0
	s_mov_b32 s18, exec_lo
	s_wait_loadcnt_dscnt 0x0
	v_and_b32_e32 v0, 0xff, v38
	s_wait_xcnt 0x0
	s_delay_alu instid0(VALU_DEP_1)
	v_cmpx_ne_u16_e32 0, v0
	s_cbranch_execz .LBB259_345
; %bb.338:                              ;   in Loop: Header=BB259_12 Depth=1
	v_mov_b32_e32 v93, 0x8000
	s_mov_b32 s19, exec_lo
	v_cmpx_ne_u16_e32 0x80, v0
	s_cbranch_execz .LBB259_344
; %bb.339:                              ;   in Loop: Header=BB259_12 Depth=1
	v_and_b32_e32 v4, 0x7f, v38
	v_mov_b32_e32 v93, 0x7c01
	s_mov_b32 s20, exec_lo
	s_delay_alu instid0(VALU_DEP_2)
	v_cmpx_ne_u32_e32 0x7f, v4
	s_cbranch_execz .LBB259_343
; %bb.340:                              ;   in Loop: Header=BB259_12 Depth=1
	v_dual_lshrrev_b32 v1, 3, v4 :: v_dual_bitop2_b32 v0, 7, v38 bitop3:0x40
	s_mov_b32 s21, exec_lo
	v_cmpx_gt_u32_e32 8, v4
; %bb.341:                              ;   in Loop: Header=BB259_12 Depth=1
	s_delay_alu instid0(VALU_DEP_2) | instskip(NEXT) | instid1(VALU_DEP_1)
	v_clz_i32_u32_e32 v0, v0
	v_min_u32_e32 v4, 32, v0
	s_delay_alu instid0(VALU_DEP_1) | instskip(NEXT) | instid1(VALU_DEP_1)
	v_subrev_nc_u32_e32 v0, 28, v4
	v_lshlrev_b64_e32 v[0:1], v0, v[38:39]
	v_sub_nc_u32_e32 v1, 29, v4
	s_delay_alu instid0(VALU_DEP_2)
	v_and_b32_e32 v0, 7, v0
; %bb.342:                              ;   in Loop: Header=BB259_12 Depth=1
	s_or_b32 exec_lo, exec_lo, s21
	s_delay_alu instid0(VALU_DEP_1) | instskip(NEXT) | instid1(VALU_DEP_3)
	v_dual_lshlrev_b32 v4, 8, v38 :: v_dual_lshlrev_b32 v0, 7, v0
	v_lshl_add_u32 v1, v1, 10, 0x2000
	s_delay_alu instid0(VALU_DEP_2) | instskip(NEXT) | instid1(VALU_DEP_2)
	v_and_b32_e32 v4, 0x8000, v4
	v_and_b32_e32 v1, 0xfc00, v1
	s_delay_alu instid0(VALU_DEP_1)
	v_or3_b32 v93, v4, v1, v0
.LBB259_343:                            ;   in Loop: Header=BB259_12 Depth=1
	s_or_b32 exec_lo, exec_lo, s20
.LBB259_344:                            ;   in Loop: Header=BB259_12 Depth=1
	s_delay_alu instid0(SALU_CYCLE_1)
	s_or_b32 exec_lo, exec_lo, s19
.LBB259_345:                            ;   in Loop: Header=BB259_12 Depth=1
	s_delay_alu instid0(SALU_CYCLE_1) | instskip(SKIP_2) | instid1(VALU_DEP_1)
	s_or_b32 exec_lo, exec_lo, s18
	v_lshrrev_b16 v4, 8, v38
	s_mov_b32 s18, exec_lo
	v_cmpx_ne_u16_e32 0, v4
	s_cbranch_execz .LBB259_353
; %bb.346:                              ;   in Loop: Header=BB259_12 Depth=1
	v_bfrev_b32_e32 v92, 1
	s_mov_b32 s19, exec_lo
	v_cmpx_ne_u16_e32 0x80, v4
	s_cbranch_execz .LBB259_352
; %bb.347:                              ;   in Loop: Header=BB259_12 Depth=1
	v_and_b32_e32 v0, 0xffff, v4
	v_mov_b32_e32 v92, 0x7c010000
	s_mov_b32 s20, exec_lo
	s_delay_alu instid0(VALU_DEP_2) | instskip(NEXT) | instid1(VALU_DEP_1)
	v_and_b32_e32 v7, 0x7f, v0
	v_cmpx_ne_u32_e32 0x7f, v7
	s_cbranch_execz .LBB259_351
; %bb.348:                              ;   in Loop: Header=BB259_12 Depth=1
	v_dual_lshrrev_b32 v6, 3, v7 :: v_dual_bitop2_b32 v1, 7, v0 bitop3:0x40
	s_mov_b32 s21, exec_lo
	v_cmpx_gt_u32_e32 8, v7
; %bb.349:                              ;   in Loop: Header=BB259_12 Depth=1
	s_delay_alu instid0(VALU_DEP_2) | instskip(NEXT) | instid1(VALU_DEP_1)
	v_clz_i32_u32_e32 v1, v1
	v_min_u32_e32 v1, 32, v1
	s_delay_alu instid0(VALU_DEP_1) | instskip(NEXT) | instid1(VALU_DEP_1)
	v_subrev_nc_u32_e32 v6, 28, v1
	v_lshlrev_b64_e32 v[10:11], v6, v[4:5]
	s_delay_alu instid0(VALU_DEP_1)
	v_dual_sub_nc_u32 v6, 29, v1 :: v_dual_bitop2_b32 v1, 7, v10 bitop3:0x40
; %bb.350:                              ;   in Loop: Header=BB259_12 Depth=1
	s_or_b32 exec_lo, exec_lo, s21
	s_delay_alu instid0(VALU_DEP_1) | instskip(NEXT) | instid1(VALU_DEP_2)
	v_dual_lshlrev_b32 v0, 8, v0 :: v_dual_lshlrev_b32 v1, 23, v1
	v_lshl_add_u32 v4, v6, 10, 0x2000
	s_delay_alu instid0(VALU_DEP_1) | instskip(NEXT) | instid1(VALU_DEP_1)
	v_and_or_b32 v0, 0x8000, v0, v4
	v_lshl_or_b32 v92, v0, 16, v1
.LBB259_351:                            ;   in Loop: Header=BB259_12 Depth=1
	s_or_b32 exec_lo, exec_lo, s20
.LBB259_352:                            ;   in Loop: Header=BB259_12 Depth=1
	s_delay_alu instid0(SALU_CYCLE_1)
	s_or_b32 exec_lo, exec_lo, s19
.LBB259_353:                            ;   in Loop: Header=BB259_12 Depth=1
	s_delay_alu instid0(SALU_CYCLE_1) | instskip(SKIP_3) | instid1(VALU_DEP_2)
	s_or_b32 exec_lo, exec_lo, s18
	v_dual_mov_b32 v95, 0 :: v_dual_lshrrev_b32 v4, 16, v38
	v_mov_b32_e32 v105, 0
	s_mov_b32 s18, exec_lo
	v_and_b32_e32 v0, 0xff, v4
	s_delay_alu instid0(VALU_DEP_1)
	v_cmpx_ne_u16_e32 0, v0
	s_cbranch_execz .LBB259_361
; %bb.354:                              ;   in Loop: Header=BB259_12 Depth=1
	v_mov_b32_e32 v105, 0x8000
	s_mov_b32 s19, exec_lo
	v_cmpx_ne_u16_e32 0x80, v0
	s_cbranch_execz .LBB259_360
; %bb.355:                              ;   in Loop: Header=BB259_12 Depth=1
	v_bfe_u32 v6, v38, 16, 7
	v_mov_b32_e32 v105, 0x7c01
	s_mov_b32 s20, exec_lo
	s_delay_alu instid0(VALU_DEP_2)
	v_cmpx_ne_u32_e32 0x7f, v6
	s_cbranch_execz .LBB259_359
; %bb.356:                              ;   in Loop: Header=BB259_12 Depth=1
	v_dual_lshrrev_b32 v1, 3, v6 :: v_dual_bitop2_b32 v0, 7, v4 bitop3:0x40
	s_mov_b32 s21, exec_lo
	v_cmpx_gt_u32_e32 8, v6
; %bb.357:                              ;   in Loop: Header=BB259_12 Depth=1
	s_delay_alu instid0(VALU_DEP_2) | instskip(NEXT) | instid1(VALU_DEP_1)
	v_clz_i32_u32_e32 v0, v0
	v_min_u32_e32 v6, 32, v0
	s_delay_alu instid0(VALU_DEP_1) | instskip(NEXT) | instid1(VALU_DEP_1)
	v_subrev_nc_u32_e32 v0, 28, v6
	v_lshlrev_b64_e32 v[0:1], v0, v[4:5]
	s_delay_alu instid0(VALU_DEP_1)
	v_dual_sub_nc_u32 v1, 29, v6 :: v_dual_bitop2_b32 v0, 7, v0 bitop3:0x40
; %bb.358:                              ;   in Loop: Header=BB259_12 Depth=1
	s_or_b32 exec_lo, exec_lo, s21
	v_lshlrev_b32_e32 v4, 8, v4
	s_delay_alu instid0(VALU_DEP_2) | instskip(NEXT) | instid1(VALU_DEP_3)
	v_lshl_add_u32 v1, v1, 10, 0x2000
	v_lshlrev_b32_e32 v0, 7, v0
	s_delay_alu instid0(VALU_DEP_3) | instskip(NEXT) | instid1(VALU_DEP_3)
	v_and_b32_e32 v4, 0x8000, v4
	v_and_b32_e32 v1, 0xfc00, v1
	s_delay_alu instid0(VALU_DEP_1)
	v_or3_b32 v105, v4, v1, v0
.LBB259_359:                            ;   in Loop: Header=BB259_12 Depth=1
	s_or_b32 exec_lo, exec_lo, s20
.LBB259_360:                            ;   in Loop: Header=BB259_12 Depth=1
	s_delay_alu instid0(SALU_CYCLE_1)
	s_or_b32 exec_lo, exec_lo, s19
.LBB259_361:                            ;   in Loop: Header=BB259_12 Depth=1
	s_delay_alu instid0(SALU_CYCLE_1) | instskip(NEXT) | instid1(SALU_CYCLE_1)
	s_or_b32 exec_lo, exec_lo, s18
	s_mov_b32 s18, exec_lo
	v_cmpx_lt_u32_e32 0xffffff, v38
	s_cbranch_execz .LBB259_369
; %bb.362:                              ;   in Loop: Header=BB259_12 Depth=1
	v_lshrrev_b32_e32 v4, 24, v38
	v_bfrev_b32_e32 v95, 1
	s_mov_b32 s19, exec_lo
	s_delay_alu instid0(VALU_DEP_2)
	v_cmpx_ne_u32_e32 0x80, v4
	s_cbranch_execz .LBB259_368
; %bb.363:                              ;   in Loop: Header=BB259_12 Depth=1
	v_and_b32_e32 v6, 0x7f, v4
	v_mov_b32_e32 v95, 0x7c010000
	s_mov_b32 s20, exec_lo
	s_delay_alu instid0(VALU_DEP_2)
	v_cmpx_ne_u32_e32 0x7f, v6
	s_cbranch_execz .LBB259_367
; %bb.364:                              ;   in Loop: Header=BB259_12 Depth=1
	v_dual_lshrrev_b32 v1, 3, v6 :: v_dual_bitop2_b32 v0, 7, v4 bitop3:0x40
	s_mov_b32 s21, exec_lo
	v_cmpx_gt_u32_e32 8, v6
; %bb.365:                              ;   in Loop: Header=BB259_12 Depth=1
	s_delay_alu instid0(VALU_DEP_2) | instskip(NEXT) | instid1(VALU_DEP_1)
	v_clz_i32_u32_e32 v0, v0
	v_min_u32_e32 v6, 32, v0
	s_delay_alu instid0(VALU_DEP_1) | instskip(NEXT) | instid1(VALU_DEP_1)
	v_subrev_nc_u32_e32 v0, 28, v6
	v_lshlrev_b64_e32 v[0:1], v0, v[4:5]
	s_delay_alu instid0(VALU_DEP_1)
	v_dual_sub_nc_u32 v1, 29, v6 :: v_dual_bitop2_b32 v0, 7, v0 bitop3:0x40
; %bb.366:                              ;   in Loop: Header=BB259_12 Depth=1
	s_or_b32 exec_lo, exec_lo, s21
	v_lshlrev_b32_e32 v4, 8, v4
	s_delay_alu instid0(VALU_DEP_2) | instskip(NEXT) | instid1(VALU_DEP_3)
	v_lshl_add_u32 v1, v1, 10, 0x2000
	v_lshlrev_b32_e32 v0, 23, v0
	s_delay_alu instid0(VALU_DEP_2) | instskip(NEXT) | instid1(VALU_DEP_1)
	v_and_or_b32 v1, 0x8000, v4, v1
	v_lshl_or_b32 v95, v1, 16, v0
.LBB259_367:                            ;   in Loop: Header=BB259_12 Depth=1
	s_or_b32 exec_lo, exec_lo, s20
.LBB259_368:                            ;   in Loop: Header=BB259_12 Depth=1
	s_delay_alu instid0(SALU_CYCLE_1)
	s_or_b32 exec_lo, exec_lo, s19
.LBB259_369:                            ;   in Loop: Header=BB259_12 Depth=1
	s_delay_alu instid0(SALU_CYCLE_1)
	s_or_b32 exec_lo, exec_lo, s18
	flat_load_b32 v38, v[36:37] offset:1288
	v_dual_mov_b32 v109, 0 :: v_dual_mov_b32 v110, 0
	s_mov_b32 s18, exec_lo
	s_wait_loadcnt_dscnt 0x0
	v_and_b32_e32 v0, 0xff, v38
	s_wait_xcnt 0x0
	s_delay_alu instid0(VALU_DEP_1)
	v_cmpx_ne_u16_e32 0, v0
	s_cbranch_execz .LBB259_377
; %bb.370:                              ;   in Loop: Header=BB259_12 Depth=1
	v_mov_b32_e32 v110, 0x8000
	s_mov_b32 s19, exec_lo
	v_cmpx_ne_u16_e32 0x80, v0
	s_cbranch_execz .LBB259_376
; %bb.371:                              ;   in Loop: Header=BB259_12 Depth=1
	v_and_b32_e32 v4, 0x7f, v38
	v_mov_b32_e32 v110, 0x7c01
	s_mov_b32 s20, exec_lo
	s_delay_alu instid0(VALU_DEP_2)
	v_cmpx_ne_u32_e32 0x7f, v4
	s_cbranch_execz .LBB259_375
; %bb.372:                              ;   in Loop: Header=BB259_12 Depth=1
	v_dual_lshrrev_b32 v1, 3, v4 :: v_dual_bitop2_b32 v0, 7, v38 bitop3:0x40
	s_mov_b32 s21, exec_lo
	v_cmpx_gt_u32_e32 8, v4
; %bb.373:                              ;   in Loop: Header=BB259_12 Depth=1
	s_delay_alu instid0(VALU_DEP_2) | instskip(NEXT) | instid1(VALU_DEP_1)
	v_clz_i32_u32_e32 v0, v0
	v_min_u32_e32 v4, 32, v0
	s_delay_alu instid0(VALU_DEP_1) | instskip(NEXT) | instid1(VALU_DEP_1)
	v_subrev_nc_u32_e32 v0, 28, v4
	v_lshlrev_b64_e32 v[0:1], v0, v[38:39]
	v_sub_nc_u32_e32 v1, 29, v4
	s_delay_alu instid0(VALU_DEP_2)
	v_and_b32_e32 v0, 7, v0
; %bb.374:                              ;   in Loop: Header=BB259_12 Depth=1
	s_or_b32 exec_lo, exec_lo, s21
	s_delay_alu instid0(VALU_DEP_1) | instskip(NEXT) | instid1(VALU_DEP_3)
	v_dual_lshlrev_b32 v4, 8, v38 :: v_dual_lshlrev_b32 v0, 7, v0
	v_lshl_add_u32 v1, v1, 10, 0x2000
	s_delay_alu instid0(VALU_DEP_2) | instskip(NEXT) | instid1(VALU_DEP_2)
	v_and_b32_e32 v4, 0x8000, v4
	v_and_b32_e32 v1, 0xfc00, v1
	s_delay_alu instid0(VALU_DEP_1)
	v_or3_b32 v110, v4, v1, v0
.LBB259_375:                            ;   in Loop: Header=BB259_12 Depth=1
	s_or_b32 exec_lo, exec_lo, s20
.LBB259_376:                            ;   in Loop: Header=BB259_12 Depth=1
	s_delay_alu instid0(SALU_CYCLE_1)
	s_or_b32 exec_lo, exec_lo, s19
.LBB259_377:                            ;   in Loop: Header=BB259_12 Depth=1
	s_delay_alu instid0(SALU_CYCLE_1) | instskip(SKIP_2) | instid1(VALU_DEP_1)
	s_or_b32 exec_lo, exec_lo, s18
	v_lshrrev_b16 v4, 8, v38
	s_mov_b32 s18, exec_lo
	v_cmpx_ne_u16_e32 0, v4
	s_cbranch_execz .LBB259_385
; %bb.378:                              ;   in Loop: Header=BB259_12 Depth=1
	v_bfrev_b32_e32 v109, 1
	s_mov_b32 s19, exec_lo
	v_cmpx_ne_u16_e32 0x80, v4
	s_cbranch_execz .LBB259_384
; %bb.379:                              ;   in Loop: Header=BB259_12 Depth=1
	v_and_b32_e32 v0, 0xffff, v4
	v_mov_b32_e32 v109, 0x7c010000
	s_mov_b32 s20, exec_lo
	s_delay_alu instid0(VALU_DEP_2) | instskip(NEXT) | instid1(VALU_DEP_1)
	v_and_b32_e32 v7, 0x7f, v0
	v_cmpx_ne_u32_e32 0x7f, v7
	s_cbranch_execz .LBB259_383
; %bb.380:                              ;   in Loop: Header=BB259_12 Depth=1
	v_dual_lshrrev_b32 v6, 3, v7 :: v_dual_bitop2_b32 v1, 7, v0 bitop3:0x40
	s_mov_b32 s21, exec_lo
	v_cmpx_gt_u32_e32 8, v7
; %bb.381:                              ;   in Loop: Header=BB259_12 Depth=1
	s_delay_alu instid0(VALU_DEP_2) | instskip(NEXT) | instid1(VALU_DEP_1)
	v_clz_i32_u32_e32 v1, v1
	v_min_u32_e32 v1, 32, v1
	s_delay_alu instid0(VALU_DEP_1) | instskip(NEXT) | instid1(VALU_DEP_1)
	v_subrev_nc_u32_e32 v6, 28, v1
	v_lshlrev_b64_e32 v[10:11], v6, v[4:5]
	s_delay_alu instid0(VALU_DEP_1)
	v_dual_sub_nc_u32 v6, 29, v1 :: v_dual_bitop2_b32 v1, 7, v10 bitop3:0x40
; %bb.382:                              ;   in Loop: Header=BB259_12 Depth=1
	s_or_b32 exec_lo, exec_lo, s21
	s_delay_alu instid0(VALU_DEP_1) | instskip(NEXT) | instid1(VALU_DEP_2)
	v_dual_lshlrev_b32 v0, 8, v0 :: v_dual_lshlrev_b32 v1, 23, v1
	v_lshl_add_u32 v4, v6, 10, 0x2000
	s_delay_alu instid0(VALU_DEP_1) | instskip(NEXT) | instid1(VALU_DEP_1)
	v_and_or_b32 v0, 0x8000, v0, v4
	v_lshl_or_b32 v109, v0, 16, v1
.LBB259_383:                            ;   in Loop: Header=BB259_12 Depth=1
	s_or_b32 exec_lo, exec_lo, s20
.LBB259_384:                            ;   in Loop: Header=BB259_12 Depth=1
	s_delay_alu instid0(SALU_CYCLE_1)
	s_or_b32 exec_lo, exec_lo, s19
.LBB259_385:                            ;   in Loop: Header=BB259_12 Depth=1
	s_delay_alu instid0(SALU_CYCLE_1) | instskip(SKIP_3) | instid1(VALU_DEP_2)
	s_or_b32 exec_lo, exec_lo, s18
	v_dual_mov_b32 v123, 0 :: v_dual_lshrrev_b32 v4, 16, v38
	v_mov_b32_e32 v124, 0
	s_mov_b32 s18, exec_lo
	v_and_b32_e32 v0, 0xff, v4
	s_delay_alu instid0(VALU_DEP_1)
	v_cmpx_ne_u16_e32 0, v0
	s_cbranch_execz .LBB259_393
; %bb.386:                              ;   in Loop: Header=BB259_12 Depth=1
	v_mov_b32_e32 v124, 0x8000
	s_mov_b32 s19, exec_lo
	v_cmpx_ne_u16_e32 0x80, v0
	s_cbranch_execz .LBB259_392
; %bb.387:                              ;   in Loop: Header=BB259_12 Depth=1
	v_bfe_u32 v6, v38, 16, 7
	v_mov_b32_e32 v124, 0x7c01
	s_mov_b32 s20, exec_lo
	s_delay_alu instid0(VALU_DEP_2)
	v_cmpx_ne_u32_e32 0x7f, v6
	s_cbranch_execz .LBB259_391
; %bb.388:                              ;   in Loop: Header=BB259_12 Depth=1
	v_dual_lshrrev_b32 v1, 3, v6 :: v_dual_bitop2_b32 v0, 7, v4 bitop3:0x40
	s_mov_b32 s21, exec_lo
	v_cmpx_gt_u32_e32 8, v6
; %bb.389:                              ;   in Loop: Header=BB259_12 Depth=1
	s_delay_alu instid0(VALU_DEP_2) | instskip(NEXT) | instid1(VALU_DEP_1)
	v_clz_i32_u32_e32 v0, v0
	v_min_u32_e32 v6, 32, v0
	s_delay_alu instid0(VALU_DEP_1) | instskip(NEXT) | instid1(VALU_DEP_1)
	v_subrev_nc_u32_e32 v0, 28, v6
	v_lshlrev_b64_e32 v[0:1], v0, v[4:5]
	s_delay_alu instid0(VALU_DEP_1)
	v_dual_sub_nc_u32 v1, 29, v6 :: v_dual_bitop2_b32 v0, 7, v0 bitop3:0x40
; %bb.390:                              ;   in Loop: Header=BB259_12 Depth=1
	s_or_b32 exec_lo, exec_lo, s21
	v_lshlrev_b32_e32 v4, 8, v4
	s_delay_alu instid0(VALU_DEP_2) | instskip(NEXT) | instid1(VALU_DEP_3)
	v_lshl_add_u32 v1, v1, 10, 0x2000
	v_lshlrev_b32_e32 v0, 7, v0
	s_delay_alu instid0(VALU_DEP_3) | instskip(NEXT) | instid1(VALU_DEP_3)
	v_and_b32_e32 v4, 0x8000, v4
	v_and_b32_e32 v1, 0xfc00, v1
	s_delay_alu instid0(VALU_DEP_1)
	v_or3_b32 v124, v4, v1, v0
.LBB259_391:                            ;   in Loop: Header=BB259_12 Depth=1
	s_or_b32 exec_lo, exec_lo, s20
.LBB259_392:                            ;   in Loop: Header=BB259_12 Depth=1
	s_delay_alu instid0(SALU_CYCLE_1)
	s_or_b32 exec_lo, exec_lo, s19
.LBB259_393:                            ;   in Loop: Header=BB259_12 Depth=1
	s_delay_alu instid0(SALU_CYCLE_1) | instskip(NEXT) | instid1(SALU_CYCLE_1)
	s_or_b32 exec_lo, exec_lo, s18
	s_mov_b32 s18, exec_lo
	v_cmpx_lt_u32_e32 0xffffff, v38
	s_cbranch_execz .LBB259_401
; %bb.394:                              ;   in Loop: Header=BB259_12 Depth=1
	v_lshrrev_b32_e32 v4, 24, v38
	v_bfrev_b32_e32 v123, 1
	s_mov_b32 s19, exec_lo
	s_delay_alu instid0(VALU_DEP_2)
	v_cmpx_ne_u32_e32 0x80, v4
	s_cbranch_execz .LBB259_400
; %bb.395:                              ;   in Loop: Header=BB259_12 Depth=1
	v_and_b32_e32 v6, 0x7f, v4
	v_mov_b32_e32 v123, 0x7c010000
	s_mov_b32 s20, exec_lo
	s_delay_alu instid0(VALU_DEP_2)
	v_cmpx_ne_u32_e32 0x7f, v6
	s_cbranch_execz .LBB259_399
; %bb.396:                              ;   in Loop: Header=BB259_12 Depth=1
	v_dual_lshrrev_b32 v1, 3, v6 :: v_dual_bitop2_b32 v0, 7, v4 bitop3:0x40
	s_mov_b32 s21, exec_lo
	v_cmpx_gt_u32_e32 8, v6
; %bb.397:                              ;   in Loop: Header=BB259_12 Depth=1
	s_delay_alu instid0(VALU_DEP_2) | instskip(NEXT) | instid1(VALU_DEP_1)
	v_clz_i32_u32_e32 v0, v0
	v_min_u32_e32 v6, 32, v0
	s_delay_alu instid0(VALU_DEP_1) | instskip(NEXT) | instid1(VALU_DEP_1)
	v_subrev_nc_u32_e32 v0, 28, v6
	v_lshlrev_b64_e32 v[0:1], v0, v[4:5]
	s_delay_alu instid0(VALU_DEP_1)
	v_dual_sub_nc_u32 v1, 29, v6 :: v_dual_bitop2_b32 v0, 7, v0 bitop3:0x40
; %bb.398:                              ;   in Loop: Header=BB259_12 Depth=1
	s_or_b32 exec_lo, exec_lo, s21
	v_lshlrev_b32_e32 v4, 8, v4
	s_delay_alu instid0(VALU_DEP_2) | instskip(NEXT) | instid1(VALU_DEP_3)
	v_lshl_add_u32 v1, v1, 10, 0x2000
	v_lshlrev_b32_e32 v0, 23, v0
	s_delay_alu instid0(VALU_DEP_2) | instskip(NEXT) | instid1(VALU_DEP_1)
	v_and_or_b32 v1, 0x8000, v4, v1
	v_lshl_or_b32 v123, v1, 16, v0
.LBB259_399:                            ;   in Loop: Header=BB259_12 Depth=1
	s_or_b32 exec_lo, exec_lo, s20
.LBB259_400:                            ;   in Loop: Header=BB259_12 Depth=1
	s_delay_alu instid0(SALU_CYCLE_1)
	s_or_b32 exec_lo, exec_lo, s19
.LBB259_401:                            ;   in Loop: Header=BB259_12 Depth=1
	s_delay_alu instid0(SALU_CYCLE_1)
	s_or_b32 exec_lo, exec_lo, s18
	flat_load_b32 v38, v[36:37] offset:1536
	v_dual_mov_b32 v51, 0 :: v_dual_mov_b32 v19, 0
	s_mov_b32 s18, exec_lo
	s_wait_loadcnt_dscnt 0x0
	v_and_b32_e32 v0, 0xff, v38
	s_wait_xcnt 0x0
	s_delay_alu instid0(VALU_DEP_1)
	v_cmpx_ne_u16_e32 0, v0
	s_cbranch_execz .LBB259_409
; %bb.402:                              ;   in Loop: Header=BB259_12 Depth=1
	v_mov_b32_e32 v19, 0x8000
	s_mov_b32 s19, exec_lo
	v_cmpx_ne_u16_e32 0x80, v0
	s_cbranch_execz .LBB259_408
; %bb.403:                              ;   in Loop: Header=BB259_12 Depth=1
	v_and_b32_e32 v4, 0x7f, v38
	v_mov_b32_e32 v19, 0x7c01
	s_mov_b32 s20, exec_lo
	s_delay_alu instid0(VALU_DEP_2)
	v_cmpx_ne_u32_e32 0x7f, v4
	s_cbranch_execz .LBB259_407
; %bb.404:                              ;   in Loop: Header=BB259_12 Depth=1
	v_dual_lshrrev_b32 v1, 3, v4 :: v_dual_bitop2_b32 v0, 7, v38 bitop3:0x40
	s_mov_b32 s21, exec_lo
	v_cmpx_gt_u32_e32 8, v4
; %bb.405:                              ;   in Loop: Header=BB259_12 Depth=1
	s_delay_alu instid0(VALU_DEP_2) | instskip(NEXT) | instid1(VALU_DEP_1)
	v_clz_i32_u32_e32 v0, v0
	v_min_u32_e32 v4, 32, v0
	s_delay_alu instid0(VALU_DEP_1) | instskip(NEXT) | instid1(VALU_DEP_1)
	v_subrev_nc_u32_e32 v0, 28, v4
	v_lshlrev_b64_e32 v[0:1], v0, v[38:39]
	v_sub_nc_u32_e32 v1, 29, v4
	s_delay_alu instid0(VALU_DEP_2)
	v_and_b32_e32 v0, 7, v0
; %bb.406:                              ;   in Loop: Header=BB259_12 Depth=1
	s_or_b32 exec_lo, exec_lo, s21
	s_delay_alu instid0(VALU_DEP_1) | instskip(NEXT) | instid1(VALU_DEP_3)
	v_dual_lshlrev_b32 v4, 8, v38 :: v_dual_lshlrev_b32 v0, 7, v0
	v_lshl_add_u32 v1, v1, 10, 0x2000
	s_delay_alu instid0(VALU_DEP_2) | instskip(NEXT) | instid1(VALU_DEP_2)
	v_and_b32_e32 v4, 0x8000, v4
	v_and_b32_e32 v1, 0xfc00, v1
	s_delay_alu instid0(VALU_DEP_1)
	v_or3_b32 v19, v4, v1, v0
.LBB259_407:                            ;   in Loop: Header=BB259_12 Depth=1
	s_or_b32 exec_lo, exec_lo, s20
.LBB259_408:                            ;   in Loop: Header=BB259_12 Depth=1
	s_delay_alu instid0(SALU_CYCLE_1)
	s_or_b32 exec_lo, exec_lo, s19
.LBB259_409:                            ;   in Loop: Header=BB259_12 Depth=1
	s_delay_alu instid0(SALU_CYCLE_1) | instskip(SKIP_2) | instid1(VALU_DEP_1)
	s_or_b32 exec_lo, exec_lo, s18
	v_lshrrev_b16 v4, 8, v38
	s_mov_b32 s18, exec_lo
	v_cmpx_ne_u16_e32 0, v4
	s_cbranch_execz .LBB259_417
; %bb.410:                              ;   in Loop: Header=BB259_12 Depth=1
	v_bfrev_b32_e32 v51, 1
	s_mov_b32 s19, exec_lo
	v_cmpx_ne_u16_e32 0x80, v4
	s_cbranch_execz .LBB259_416
; %bb.411:                              ;   in Loop: Header=BB259_12 Depth=1
	v_and_b32_e32 v0, 0xffff, v4
	v_mov_b32_e32 v51, 0x7c010000
	s_mov_b32 s20, exec_lo
	s_delay_alu instid0(VALU_DEP_2) | instskip(NEXT) | instid1(VALU_DEP_1)
	v_and_b32_e32 v7, 0x7f, v0
	v_cmpx_ne_u32_e32 0x7f, v7
	s_cbranch_execz .LBB259_415
; %bb.412:                              ;   in Loop: Header=BB259_12 Depth=1
	v_dual_lshrrev_b32 v6, 3, v7 :: v_dual_bitop2_b32 v1, 7, v0 bitop3:0x40
	s_mov_b32 s21, exec_lo
	v_cmpx_gt_u32_e32 8, v7
; %bb.413:                              ;   in Loop: Header=BB259_12 Depth=1
	s_delay_alu instid0(VALU_DEP_2) | instskip(NEXT) | instid1(VALU_DEP_1)
	v_clz_i32_u32_e32 v1, v1
	v_min_u32_e32 v1, 32, v1
	s_delay_alu instid0(VALU_DEP_1) | instskip(NEXT) | instid1(VALU_DEP_1)
	v_subrev_nc_u32_e32 v6, 28, v1
	v_lshlrev_b64_e32 v[10:11], v6, v[4:5]
	s_delay_alu instid0(VALU_DEP_1)
	v_dual_sub_nc_u32 v6, 29, v1 :: v_dual_bitop2_b32 v1, 7, v10 bitop3:0x40
; %bb.414:                              ;   in Loop: Header=BB259_12 Depth=1
	s_or_b32 exec_lo, exec_lo, s21
	s_delay_alu instid0(VALU_DEP_1) | instskip(NEXT) | instid1(VALU_DEP_2)
	v_dual_lshlrev_b32 v0, 8, v0 :: v_dual_lshlrev_b32 v1, 23, v1
	v_lshl_add_u32 v4, v6, 10, 0x2000
	s_delay_alu instid0(VALU_DEP_1) | instskip(NEXT) | instid1(VALU_DEP_1)
	v_and_or_b32 v0, 0x8000, v0, v4
	v_lshl_or_b32 v51, v0, 16, v1
.LBB259_415:                            ;   in Loop: Header=BB259_12 Depth=1
	s_or_b32 exec_lo, exec_lo, s20
.LBB259_416:                            ;   in Loop: Header=BB259_12 Depth=1
	s_delay_alu instid0(SALU_CYCLE_1)
	s_or_b32 exec_lo, exec_lo, s19
.LBB259_417:                            ;   in Loop: Header=BB259_12 Depth=1
	s_delay_alu instid0(SALU_CYCLE_1) | instskip(SKIP_3) | instid1(VALU_DEP_2)
	s_or_b32 exec_lo, exec_lo, s18
	v_dual_mov_b32 v13, 0 :: v_dual_lshrrev_b32 v4, 16, v38
	v_mov_b32_e32 v53, 0
	s_mov_b32 s18, exec_lo
	v_and_b32_e32 v0, 0xff, v4
	s_delay_alu instid0(VALU_DEP_1)
	v_cmpx_ne_u16_e32 0, v0
	s_cbranch_execz .LBB259_425
; %bb.418:                              ;   in Loop: Header=BB259_12 Depth=1
	v_mov_b32_e32 v53, 0x8000
	s_mov_b32 s19, exec_lo
	v_cmpx_ne_u16_e32 0x80, v0
	s_cbranch_execz .LBB259_424
; %bb.419:                              ;   in Loop: Header=BB259_12 Depth=1
	v_bfe_u32 v6, v38, 16, 7
	v_mov_b32_e32 v53, 0x7c01
	s_mov_b32 s20, exec_lo
	s_delay_alu instid0(VALU_DEP_2)
	v_cmpx_ne_u32_e32 0x7f, v6
	s_cbranch_execz .LBB259_423
; %bb.420:                              ;   in Loop: Header=BB259_12 Depth=1
	v_dual_lshrrev_b32 v1, 3, v6 :: v_dual_bitop2_b32 v0, 7, v4 bitop3:0x40
	s_mov_b32 s21, exec_lo
	v_cmpx_gt_u32_e32 8, v6
; %bb.421:                              ;   in Loop: Header=BB259_12 Depth=1
	s_delay_alu instid0(VALU_DEP_2) | instskip(NEXT) | instid1(VALU_DEP_1)
	v_clz_i32_u32_e32 v0, v0
	v_min_u32_e32 v6, 32, v0
	s_delay_alu instid0(VALU_DEP_1) | instskip(NEXT) | instid1(VALU_DEP_1)
	v_subrev_nc_u32_e32 v0, 28, v6
	v_lshlrev_b64_e32 v[0:1], v0, v[4:5]
	s_delay_alu instid0(VALU_DEP_1)
	v_dual_sub_nc_u32 v1, 29, v6 :: v_dual_bitop2_b32 v0, 7, v0 bitop3:0x40
; %bb.422:                              ;   in Loop: Header=BB259_12 Depth=1
	s_or_b32 exec_lo, exec_lo, s21
	v_lshlrev_b32_e32 v4, 8, v4
	s_delay_alu instid0(VALU_DEP_2) | instskip(NEXT) | instid1(VALU_DEP_3)
	v_lshl_add_u32 v1, v1, 10, 0x2000
	v_lshlrev_b32_e32 v0, 7, v0
	s_delay_alu instid0(VALU_DEP_3) | instskip(NEXT) | instid1(VALU_DEP_3)
	v_and_b32_e32 v4, 0x8000, v4
	v_and_b32_e32 v1, 0xfc00, v1
	s_delay_alu instid0(VALU_DEP_1)
	v_or3_b32 v53, v4, v1, v0
.LBB259_423:                            ;   in Loop: Header=BB259_12 Depth=1
	s_or_b32 exec_lo, exec_lo, s20
.LBB259_424:                            ;   in Loop: Header=BB259_12 Depth=1
	s_delay_alu instid0(SALU_CYCLE_1)
	s_or_b32 exec_lo, exec_lo, s19
.LBB259_425:                            ;   in Loop: Header=BB259_12 Depth=1
	s_delay_alu instid0(SALU_CYCLE_1) | instskip(NEXT) | instid1(SALU_CYCLE_1)
	s_or_b32 exec_lo, exec_lo, s18
	s_mov_b32 s18, exec_lo
	v_cmpx_lt_u32_e32 0xffffff, v38
	s_cbranch_execz .LBB259_433
; %bb.426:                              ;   in Loop: Header=BB259_12 Depth=1
	v_lshrrev_b32_e32 v4, 24, v38
	v_bfrev_b32_e32 v13, 1
	s_mov_b32 s19, exec_lo
	s_delay_alu instid0(VALU_DEP_2)
	v_cmpx_ne_u32_e32 0x80, v4
	s_cbranch_execz .LBB259_432
; %bb.427:                              ;   in Loop: Header=BB259_12 Depth=1
	v_and_b32_e32 v6, 0x7f, v4
	v_mov_b32_e32 v13, 0x7c010000
	s_mov_b32 s20, exec_lo
	s_delay_alu instid0(VALU_DEP_2)
	v_cmpx_ne_u32_e32 0x7f, v6
	s_cbranch_execz .LBB259_431
; %bb.428:                              ;   in Loop: Header=BB259_12 Depth=1
	v_dual_lshrrev_b32 v1, 3, v6 :: v_dual_bitop2_b32 v0, 7, v4 bitop3:0x40
	s_mov_b32 s21, exec_lo
	v_cmpx_gt_u32_e32 8, v6
; %bb.429:                              ;   in Loop: Header=BB259_12 Depth=1
	s_delay_alu instid0(VALU_DEP_2) | instskip(NEXT) | instid1(VALU_DEP_1)
	v_clz_i32_u32_e32 v0, v0
	v_min_u32_e32 v6, 32, v0
	s_delay_alu instid0(VALU_DEP_1) | instskip(NEXT) | instid1(VALU_DEP_1)
	v_subrev_nc_u32_e32 v0, 28, v6
	v_lshlrev_b64_e32 v[0:1], v0, v[4:5]
	s_delay_alu instid0(VALU_DEP_1)
	v_dual_sub_nc_u32 v1, 29, v6 :: v_dual_bitop2_b32 v0, 7, v0 bitop3:0x40
; %bb.430:                              ;   in Loop: Header=BB259_12 Depth=1
	s_or_b32 exec_lo, exec_lo, s21
	v_lshlrev_b32_e32 v4, 8, v4
	s_delay_alu instid0(VALU_DEP_2) | instskip(NEXT) | instid1(VALU_DEP_3)
	v_lshl_add_u32 v1, v1, 10, 0x2000
	v_lshlrev_b32_e32 v0, 23, v0
	s_delay_alu instid0(VALU_DEP_2) | instskip(NEXT) | instid1(VALU_DEP_1)
	v_and_or_b32 v1, 0x8000, v4, v1
	v_lshl_or_b32 v13, v1, 16, v0
.LBB259_431:                            ;   in Loop: Header=BB259_12 Depth=1
	s_or_b32 exec_lo, exec_lo, s20
.LBB259_432:                            ;   in Loop: Header=BB259_12 Depth=1
	s_delay_alu instid0(SALU_CYCLE_1)
	s_or_b32 exec_lo, exec_lo, s19
.LBB259_433:                            ;   in Loop: Header=BB259_12 Depth=1
	s_delay_alu instid0(SALU_CYCLE_1)
	s_or_b32 exec_lo, exec_lo, s18
	flat_load_b32 v38, v[36:37] offset:1544
	v_dual_mov_b32 v7, 0 :: v_dual_mov_b32 v6, 0
	s_mov_b32 s18, exec_lo
	s_wait_loadcnt_dscnt 0x0
	v_and_b32_e32 v0, 0xff, v38
	s_wait_xcnt 0x0
	s_delay_alu instid0(VALU_DEP_1)
	v_cmpx_ne_u16_e32 0, v0
	s_cbranch_execz .LBB259_441
; %bb.434:                              ;   in Loop: Header=BB259_12 Depth=1
	v_mov_b32_e32 v6, 0x8000
	s_mov_b32 s19, exec_lo
	v_cmpx_ne_u16_e32 0x80, v0
	s_cbranch_execz .LBB259_440
; %bb.435:                              ;   in Loop: Header=BB259_12 Depth=1
	v_and_b32_e32 v4, 0x7f, v38
	v_mov_b32_e32 v6, 0x7c01
	s_mov_b32 s20, exec_lo
	s_delay_alu instid0(VALU_DEP_2)
	v_cmpx_ne_u32_e32 0x7f, v4
	s_cbranch_execz .LBB259_439
; %bb.436:                              ;   in Loop: Header=BB259_12 Depth=1
	v_dual_lshrrev_b32 v1, 3, v4 :: v_dual_bitop2_b32 v0, 7, v38 bitop3:0x40
	s_mov_b32 s21, exec_lo
	v_cmpx_gt_u32_e32 8, v4
; %bb.437:                              ;   in Loop: Header=BB259_12 Depth=1
	s_delay_alu instid0(VALU_DEP_2) | instskip(NEXT) | instid1(VALU_DEP_1)
	v_clz_i32_u32_e32 v0, v0
	v_min_u32_e32 v4, 32, v0
	s_delay_alu instid0(VALU_DEP_1) | instskip(NEXT) | instid1(VALU_DEP_1)
	v_subrev_nc_u32_e32 v0, 28, v4
	v_lshlrev_b64_e32 v[0:1], v0, v[38:39]
	v_sub_nc_u32_e32 v1, 29, v4
	s_delay_alu instid0(VALU_DEP_2)
	v_and_b32_e32 v0, 7, v0
; %bb.438:                              ;   in Loop: Header=BB259_12 Depth=1
	s_or_b32 exec_lo, exec_lo, s21
	s_delay_alu instid0(VALU_DEP_1) | instskip(NEXT) | instid1(VALU_DEP_3)
	v_dual_lshlrev_b32 v4, 8, v38 :: v_dual_lshlrev_b32 v0, 7, v0
	v_lshl_add_u32 v1, v1, 10, 0x2000
	s_delay_alu instid0(VALU_DEP_2) | instskip(NEXT) | instid1(VALU_DEP_2)
	v_and_b32_e32 v4, 0x8000, v4
	v_and_b32_e32 v1, 0xfc00, v1
	s_delay_alu instid0(VALU_DEP_1)
	v_or3_b32 v6, v4, v1, v0
.LBB259_439:                            ;   in Loop: Header=BB259_12 Depth=1
	s_or_b32 exec_lo, exec_lo, s20
.LBB259_440:                            ;   in Loop: Header=BB259_12 Depth=1
	s_delay_alu instid0(SALU_CYCLE_1)
	s_or_b32 exec_lo, exec_lo, s19
.LBB259_441:                            ;   in Loop: Header=BB259_12 Depth=1
	s_delay_alu instid0(SALU_CYCLE_1) | instskip(SKIP_2) | instid1(VALU_DEP_1)
	s_or_b32 exec_lo, exec_lo, s18
	v_lshrrev_b16 v4, 8, v38
	s_mov_b32 s18, exec_lo
	v_cmpx_ne_u16_e32 0, v4
	s_cbranch_execz .LBB259_449
; %bb.442:                              ;   in Loop: Header=BB259_12 Depth=1
	v_bfrev_b32_e32 v7, 1
	s_mov_b32 s19, exec_lo
	v_cmpx_ne_u16_e32 0x80, v4
	s_cbranch_execz .LBB259_448
; %bb.443:                              ;   in Loop: Header=BB259_12 Depth=1
	v_and_b32_e32 v0, 0xffff, v4
	v_mov_b32_e32 v7, 0x7c010000
	s_mov_b32 s20, exec_lo
	s_delay_alu instid0(VALU_DEP_2) | instskip(NEXT) | instid1(VALU_DEP_1)
	v_and_b32_e32 v9, 0x7f, v0
	v_cmpx_ne_u32_e32 0x7f, v9
	s_cbranch_execz .LBB259_447
; %bb.444:                              ;   in Loop: Header=BB259_12 Depth=1
	v_dual_lshrrev_b32 v7, 3, v9 :: v_dual_bitop2_b32 v1, 7, v0 bitop3:0x40
	s_mov_b32 s21, exec_lo
	v_cmpx_gt_u32_e32 8, v9
; %bb.445:                              ;   in Loop: Header=BB259_12 Depth=1
	s_delay_alu instid0(VALU_DEP_2) | instskip(NEXT) | instid1(VALU_DEP_1)
	v_clz_i32_u32_e32 v1, v1
	v_min_u32_e32 v1, 32, v1
	s_delay_alu instid0(VALU_DEP_1) | instskip(NEXT) | instid1(VALU_DEP_1)
	v_subrev_nc_u32_e32 v7, 28, v1
	v_lshlrev_b64_e32 v[10:11], v7, v[4:5]
	s_delay_alu instid0(VALU_DEP_1)
	v_dual_sub_nc_u32 v7, 29, v1 :: v_dual_bitop2_b32 v1, 7, v10 bitop3:0x40
; %bb.446:                              ;   in Loop: Header=BB259_12 Depth=1
	s_or_b32 exec_lo, exec_lo, s21
	s_delay_alu instid0(VALU_DEP_1) | instskip(NEXT) | instid1(VALU_DEP_2)
	v_dual_lshlrev_b32 v0, 8, v0 :: v_dual_lshlrev_b32 v1, 23, v1
	v_lshl_add_u32 v4, v7, 10, 0x2000
	s_delay_alu instid0(VALU_DEP_1) | instskip(NEXT) | instid1(VALU_DEP_1)
	v_and_or_b32 v0, 0x8000, v0, v4
	v_lshl_or_b32 v7, v0, 16, v1
.LBB259_447:                            ;   in Loop: Header=BB259_12 Depth=1
	s_or_b32 exec_lo, exec_lo, s20
.LBB259_448:                            ;   in Loop: Header=BB259_12 Depth=1
	s_delay_alu instid0(SALU_CYCLE_1)
	s_or_b32 exec_lo, exec_lo, s19
.LBB259_449:                            ;   in Loop: Header=BB259_12 Depth=1
	s_delay_alu instid0(SALU_CYCLE_1) | instskip(SKIP_3) | instid1(VALU_DEP_2)
	s_or_b32 exec_lo, exec_lo, s18
	v_dual_mov_b32 v11, 0 :: v_dual_lshrrev_b32 v4, 16, v38
	v_mov_b32_e32 v28, 0
	s_mov_b32 s18, exec_lo
	v_and_b32_e32 v0, 0xff, v4
	s_delay_alu instid0(VALU_DEP_1)
	v_cmpx_ne_u16_e32 0, v0
	s_cbranch_execz .LBB259_457
; %bb.450:                              ;   in Loop: Header=BB259_12 Depth=1
	v_mov_b32_e32 v28, 0x8000
	s_mov_b32 s19, exec_lo
	v_cmpx_ne_u16_e32 0x80, v0
	s_cbranch_execz .LBB259_456
; %bb.451:                              ;   in Loop: Header=BB259_12 Depth=1
	v_bfe_u32 v9, v38, 16, 7
	v_mov_b32_e32 v28, 0x7c01
	s_mov_b32 s20, exec_lo
	s_delay_alu instid0(VALU_DEP_2)
	v_cmpx_ne_u32_e32 0x7f, v9
	s_cbranch_execz .LBB259_455
; %bb.452:                              ;   in Loop: Header=BB259_12 Depth=1
	v_dual_lshrrev_b32 v1, 3, v9 :: v_dual_bitop2_b32 v0, 7, v4 bitop3:0x40
	s_mov_b32 s21, exec_lo
	v_cmpx_gt_u32_e32 8, v9
; %bb.453:                              ;   in Loop: Header=BB259_12 Depth=1
	s_delay_alu instid0(VALU_DEP_2) | instskip(NEXT) | instid1(VALU_DEP_1)
	v_clz_i32_u32_e32 v0, v0
	v_min_u32_e32 v9, 32, v0
	s_delay_alu instid0(VALU_DEP_1) | instskip(NEXT) | instid1(VALU_DEP_1)
	v_subrev_nc_u32_e32 v0, 28, v9
	v_lshlrev_b64_e32 v[0:1], v0, v[4:5]
	s_delay_alu instid0(VALU_DEP_1)
	v_dual_sub_nc_u32 v1, 29, v9 :: v_dual_bitop2_b32 v0, 7, v0 bitop3:0x40
; %bb.454:                              ;   in Loop: Header=BB259_12 Depth=1
	s_or_b32 exec_lo, exec_lo, s21
	v_lshlrev_b32_e32 v4, 8, v4
	s_delay_alu instid0(VALU_DEP_2) | instskip(NEXT) | instid1(VALU_DEP_3)
	v_lshl_add_u32 v1, v1, 10, 0x2000
	v_lshlrev_b32_e32 v0, 7, v0
	s_delay_alu instid0(VALU_DEP_3) | instskip(NEXT) | instid1(VALU_DEP_3)
	v_and_b32_e32 v4, 0x8000, v4
	v_and_b32_e32 v1, 0xfc00, v1
	s_delay_alu instid0(VALU_DEP_1)
	v_or3_b32 v28, v4, v1, v0
.LBB259_455:                            ;   in Loop: Header=BB259_12 Depth=1
	s_or_b32 exec_lo, exec_lo, s20
.LBB259_456:                            ;   in Loop: Header=BB259_12 Depth=1
	s_delay_alu instid0(SALU_CYCLE_1)
	s_or_b32 exec_lo, exec_lo, s19
.LBB259_457:                            ;   in Loop: Header=BB259_12 Depth=1
	s_delay_alu instid0(SALU_CYCLE_1) | instskip(NEXT) | instid1(SALU_CYCLE_1)
	s_or_b32 exec_lo, exec_lo, s18
	s_mov_b32 s18, exec_lo
	v_cmpx_lt_u32_e32 0xffffff, v38
	s_cbranch_execz .LBB259_465
; %bb.458:                              ;   in Loop: Header=BB259_12 Depth=1
	v_lshrrev_b32_e32 v4, 24, v38
	v_bfrev_b32_e32 v11, 1
	s_mov_b32 s19, exec_lo
	s_delay_alu instid0(VALU_DEP_2)
	v_cmpx_ne_u32_e32 0x80, v4
	s_cbranch_execz .LBB259_464
; %bb.459:                              ;   in Loop: Header=BB259_12 Depth=1
	v_and_b32_e32 v9, 0x7f, v4
	v_mov_b32_e32 v11, 0x7c010000
	s_mov_b32 s20, exec_lo
	s_delay_alu instid0(VALU_DEP_2)
	v_cmpx_ne_u32_e32 0x7f, v9
	s_cbranch_execz .LBB259_463
; %bb.460:                              ;   in Loop: Header=BB259_12 Depth=1
	v_dual_lshrrev_b32 v1, 3, v9 :: v_dual_bitop2_b32 v0, 7, v4 bitop3:0x40
	s_mov_b32 s21, exec_lo
	v_cmpx_gt_u32_e32 8, v9
; %bb.461:                              ;   in Loop: Header=BB259_12 Depth=1
	s_delay_alu instid0(VALU_DEP_2) | instskip(NEXT) | instid1(VALU_DEP_1)
	v_clz_i32_u32_e32 v0, v0
	v_min_u32_e32 v9, 32, v0
	s_delay_alu instid0(VALU_DEP_1) | instskip(NEXT) | instid1(VALU_DEP_1)
	v_subrev_nc_u32_e32 v0, 28, v9
	v_lshlrev_b64_e32 v[0:1], v0, v[4:5]
	s_delay_alu instid0(VALU_DEP_1)
	v_dual_sub_nc_u32 v1, 29, v9 :: v_dual_bitop2_b32 v0, 7, v0 bitop3:0x40
; %bb.462:                              ;   in Loop: Header=BB259_12 Depth=1
	s_or_b32 exec_lo, exec_lo, s21
	v_lshlrev_b32_e32 v4, 8, v4
	s_delay_alu instid0(VALU_DEP_2) | instskip(NEXT) | instid1(VALU_DEP_3)
	v_lshl_add_u32 v1, v1, 10, 0x2000
	v_lshlrev_b32_e32 v0, 23, v0
	s_delay_alu instid0(VALU_DEP_2) | instskip(NEXT) | instid1(VALU_DEP_1)
	v_and_or_b32 v1, 0x8000, v4, v1
	v_lshl_or_b32 v11, v1, 16, v0
.LBB259_463:                            ;   in Loop: Header=BB259_12 Depth=1
	s_or_b32 exec_lo, exec_lo, s20
.LBB259_464:                            ;   in Loop: Header=BB259_12 Depth=1
	s_delay_alu instid0(SALU_CYCLE_1)
	s_or_b32 exec_lo, exec_lo, s19
.LBB259_465:                            ;   in Loop: Header=BB259_12 Depth=1
	s_delay_alu instid0(SALU_CYCLE_1)
	s_or_b32 exec_lo, exec_lo, s18
	flat_load_b32 v38, v[36:37] offset:1792
	v_dual_mov_b32 v10, 0 :: v_dual_mov_b32 v14, 0
	s_mov_b32 s18, exec_lo
	s_wait_loadcnt_dscnt 0x0
	v_and_b32_e32 v0, 0xff, v38
	s_wait_xcnt 0x0
	s_delay_alu instid0(VALU_DEP_1)
	v_cmpx_ne_u16_e32 0, v0
	s_cbranch_execz .LBB259_473
; %bb.466:                              ;   in Loop: Header=BB259_12 Depth=1
	v_mov_b32_e32 v14, 0x8000
	s_mov_b32 s19, exec_lo
	v_cmpx_ne_u16_e32 0x80, v0
	s_cbranch_execz .LBB259_472
; %bb.467:                              ;   in Loop: Header=BB259_12 Depth=1
	v_and_b32_e32 v4, 0x7f, v38
	v_mov_b32_e32 v14, 0x7c01
	s_mov_b32 s20, exec_lo
	s_delay_alu instid0(VALU_DEP_2)
	v_cmpx_ne_u32_e32 0x7f, v4
	s_cbranch_execz .LBB259_471
; %bb.468:                              ;   in Loop: Header=BB259_12 Depth=1
	v_dual_lshrrev_b32 v1, 3, v4 :: v_dual_bitop2_b32 v0, 7, v38 bitop3:0x40
	s_mov_b32 s21, exec_lo
	v_cmpx_gt_u32_e32 8, v4
; %bb.469:                              ;   in Loop: Header=BB259_12 Depth=1
	s_delay_alu instid0(VALU_DEP_2) | instskip(NEXT) | instid1(VALU_DEP_1)
	v_clz_i32_u32_e32 v0, v0
	v_min_u32_e32 v4, 32, v0
	s_delay_alu instid0(VALU_DEP_1) | instskip(NEXT) | instid1(VALU_DEP_1)
	v_subrev_nc_u32_e32 v0, 28, v4
	v_lshlrev_b64_e32 v[0:1], v0, v[38:39]
	v_sub_nc_u32_e32 v1, 29, v4
	s_delay_alu instid0(VALU_DEP_2)
	v_and_b32_e32 v0, 7, v0
; %bb.470:                              ;   in Loop: Header=BB259_12 Depth=1
	s_or_b32 exec_lo, exec_lo, s21
	s_delay_alu instid0(VALU_DEP_1) | instskip(NEXT) | instid1(VALU_DEP_3)
	v_dual_lshlrev_b32 v4, 8, v38 :: v_dual_lshlrev_b32 v0, 7, v0
	v_lshl_add_u32 v1, v1, 10, 0x2000
	s_delay_alu instid0(VALU_DEP_2) | instskip(NEXT) | instid1(VALU_DEP_2)
	v_and_b32_e32 v4, 0x8000, v4
	v_and_b32_e32 v1, 0xfc00, v1
	s_delay_alu instid0(VALU_DEP_1)
	v_or3_b32 v14, v4, v1, v0
.LBB259_471:                            ;   in Loop: Header=BB259_12 Depth=1
	s_or_b32 exec_lo, exec_lo, s20
.LBB259_472:                            ;   in Loop: Header=BB259_12 Depth=1
	s_delay_alu instid0(SALU_CYCLE_1)
	s_or_b32 exec_lo, exec_lo, s19
.LBB259_473:                            ;   in Loop: Header=BB259_12 Depth=1
	s_delay_alu instid0(SALU_CYCLE_1) | instskip(SKIP_2) | instid1(VALU_DEP_1)
	s_or_b32 exec_lo, exec_lo, s18
	v_lshrrev_b16 v4, 8, v38
	s_mov_b32 s18, exec_lo
	v_cmpx_ne_u16_e32 0, v4
	s_cbranch_execz .LBB259_481
; %bb.474:                              ;   in Loop: Header=BB259_12 Depth=1
	v_bfrev_b32_e32 v10, 1
	s_mov_b32 s19, exec_lo
	v_cmpx_ne_u16_e32 0x80, v4
	s_cbranch_execz .LBB259_480
; %bb.475:                              ;   in Loop: Header=BB259_12 Depth=1
	v_and_b32_e32 v0, 0xffff, v4
	v_mov_b32_e32 v10, 0x7c010000
	s_mov_b32 s20, exec_lo
	s_delay_alu instid0(VALU_DEP_2) | instskip(NEXT) | instid1(VALU_DEP_1)
	v_and_b32_e32 v15, 0x7f, v0
	v_cmpx_ne_u32_e32 0x7f, v15
	s_cbranch_execz .LBB259_479
; %bb.476:                              ;   in Loop: Header=BB259_12 Depth=1
	v_dual_lshrrev_b32 v9, 3, v15 :: v_dual_bitop2_b32 v1, 7, v0 bitop3:0x40
	s_mov_b32 s21, exec_lo
	v_cmpx_gt_u32_e32 8, v15
; %bb.477:                              ;   in Loop: Header=BB259_12 Depth=1
	s_delay_alu instid0(VALU_DEP_2) | instskip(NEXT) | instid1(VALU_DEP_1)
	v_clz_i32_u32_e32 v1, v1
	v_min_u32_e32 v1, 32, v1
	s_delay_alu instid0(VALU_DEP_1) | instskip(NEXT) | instid1(VALU_DEP_1)
	v_subrev_nc_u32_e32 v9, 28, v1
	v_lshlrev_b64_e32 v[24:25], v9, v[4:5]
	s_delay_alu instid0(VALU_DEP_1)
	v_dual_sub_nc_u32 v9, 29, v1 :: v_dual_bitop2_b32 v1, 7, v24 bitop3:0x40
; %bb.478:                              ;   in Loop: Header=BB259_12 Depth=1
	s_or_b32 exec_lo, exec_lo, s21
	s_delay_alu instid0(VALU_DEP_1) | instskip(NEXT) | instid1(VALU_DEP_2)
	v_dual_lshlrev_b32 v0, 8, v0 :: v_dual_lshlrev_b32 v1, 23, v1
	v_lshl_add_u32 v4, v9, 10, 0x2000
	s_delay_alu instid0(VALU_DEP_1) | instskip(NEXT) | instid1(VALU_DEP_1)
	v_and_or_b32 v0, 0x8000, v0, v4
	v_lshl_or_b32 v10, v0, 16, v1
.LBB259_479:                            ;   in Loop: Header=BB259_12 Depth=1
	s_or_b32 exec_lo, exec_lo, s20
.LBB259_480:                            ;   in Loop: Header=BB259_12 Depth=1
	s_delay_alu instid0(SALU_CYCLE_1)
	s_or_b32 exec_lo, exec_lo, s19
.LBB259_481:                            ;   in Loop: Header=BB259_12 Depth=1
	s_delay_alu instid0(SALU_CYCLE_1) | instskip(SKIP_3) | instid1(VALU_DEP_2)
	s_or_b32 exec_lo, exec_lo, s18
	v_dual_lshrrev_b32 v4, 16, v38 :: v_dual_mov_b32 v16, 0
	v_mov_b32_e32 v29, 0
	s_mov_b32 s18, exec_lo
	v_and_b32_e32 v0, 0xff, v4
	s_delay_alu instid0(VALU_DEP_1)
	v_cmpx_ne_u16_e32 0, v0
	s_cbranch_execz .LBB259_489
; %bb.482:                              ;   in Loop: Header=BB259_12 Depth=1
	v_mov_b32_e32 v29, 0x8000
	s_mov_b32 s19, exec_lo
	v_cmpx_ne_u16_e32 0x80, v0
	s_cbranch_execz .LBB259_488
; %bb.483:                              ;   in Loop: Header=BB259_12 Depth=1
	v_bfe_u32 v9, v38, 16, 7
	v_mov_b32_e32 v29, 0x7c01
	s_mov_b32 s20, exec_lo
	s_delay_alu instid0(VALU_DEP_2)
	v_cmpx_ne_u32_e32 0x7f, v9
	s_cbranch_execz .LBB259_487
; %bb.484:                              ;   in Loop: Header=BB259_12 Depth=1
	v_dual_lshrrev_b32 v1, 3, v9 :: v_dual_bitop2_b32 v0, 7, v4 bitop3:0x40
	s_mov_b32 s21, exec_lo
	v_cmpx_gt_u32_e32 8, v9
; %bb.485:                              ;   in Loop: Header=BB259_12 Depth=1
	s_delay_alu instid0(VALU_DEP_2) | instskip(NEXT) | instid1(VALU_DEP_1)
	v_clz_i32_u32_e32 v0, v0
	v_min_u32_e32 v9, 32, v0
	s_delay_alu instid0(VALU_DEP_1) | instskip(NEXT) | instid1(VALU_DEP_1)
	v_subrev_nc_u32_e32 v0, 28, v9
	v_lshlrev_b64_e32 v[0:1], v0, v[4:5]
	s_delay_alu instid0(VALU_DEP_1)
	v_dual_sub_nc_u32 v1, 29, v9 :: v_dual_bitop2_b32 v0, 7, v0 bitop3:0x40
; %bb.486:                              ;   in Loop: Header=BB259_12 Depth=1
	s_or_b32 exec_lo, exec_lo, s21
	v_lshlrev_b32_e32 v4, 8, v4
	s_delay_alu instid0(VALU_DEP_2) | instskip(NEXT) | instid1(VALU_DEP_3)
	v_lshl_add_u32 v1, v1, 10, 0x2000
	v_lshlrev_b32_e32 v0, 7, v0
	s_delay_alu instid0(VALU_DEP_3) | instskip(NEXT) | instid1(VALU_DEP_3)
	v_and_b32_e32 v4, 0x8000, v4
	v_and_b32_e32 v1, 0xfc00, v1
	s_delay_alu instid0(VALU_DEP_1)
	v_or3_b32 v29, v4, v1, v0
.LBB259_487:                            ;   in Loop: Header=BB259_12 Depth=1
	s_or_b32 exec_lo, exec_lo, s20
.LBB259_488:                            ;   in Loop: Header=BB259_12 Depth=1
	s_delay_alu instid0(SALU_CYCLE_1)
	s_or_b32 exec_lo, exec_lo, s19
.LBB259_489:                            ;   in Loop: Header=BB259_12 Depth=1
	s_delay_alu instid0(SALU_CYCLE_1) | instskip(NEXT) | instid1(SALU_CYCLE_1)
	s_or_b32 exec_lo, exec_lo, s18
	s_mov_b32 s18, exec_lo
	v_cmpx_lt_u32_e32 0xffffff, v38
	s_cbranch_execz .LBB259_497
; %bb.490:                              ;   in Loop: Header=BB259_12 Depth=1
	v_lshrrev_b32_e32 v4, 24, v38
	v_bfrev_b32_e32 v16, 1
	s_mov_b32 s19, exec_lo
	s_delay_alu instid0(VALU_DEP_2)
	v_cmpx_ne_u32_e32 0x80, v4
	s_cbranch_execz .LBB259_496
; %bb.491:                              ;   in Loop: Header=BB259_12 Depth=1
	v_and_b32_e32 v9, 0x7f, v4
	v_mov_b32_e32 v16, 0x7c010000
	s_mov_b32 s20, exec_lo
	s_delay_alu instid0(VALU_DEP_2)
	v_cmpx_ne_u32_e32 0x7f, v9
	s_cbranch_execz .LBB259_495
; %bb.492:                              ;   in Loop: Header=BB259_12 Depth=1
	v_dual_lshrrev_b32 v1, 3, v9 :: v_dual_bitop2_b32 v0, 7, v4 bitop3:0x40
	s_mov_b32 s21, exec_lo
	v_cmpx_gt_u32_e32 8, v9
; %bb.493:                              ;   in Loop: Header=BB259_12 Depth=1
	s_delay_alu instid0(VALU_DEP_2) | instskip(NEXT) | instid1(VALU_DEP_1)
	v_clz_i32_u32_e32 v0, v0
	v_min_u32_e32 v9, 32, v0
	s_delay_alu instid0(VALU_DEP_1) | instskip(NEXT) | instid1(VALU_DEP_1)
	v_subrev_nc_u32_e32 v0, 28, v9
	v_lshlrev_b64_e32 v[0:1], v0, v[4:5]
	s_delay_alu instid0(VALU_DEP_1)
	v_dual_sub_nc_u32 v1, 29, v9 :: v_dual_bitop2_b32 v0, 7, v0 bitop3:0x40
; %bb.494:                              ;   in Loop: Header=BB259_12 Depth=1
	s_or_b32 exec_lo, exec_lo, s21
	v_lshlrev_b32_e32 v4, 8, v4
	s_delay_alu instid0(VALU_DEP_2) | instskip(NEXT) | instid1(VALU_DEP_3)
	v_lshl_add_u32 v1, v1, 10, 0x2000
	v_lshlrev_b32_e32 v0, 23, v0
	s_delay_alu instid0(VALU_DEP_2) | instskip(NEXT) | instid1(VALU_DEP_1)
	v_and_or_b32 v1, 0x8000, v4, v1
	v_lshl_or_b32 v16, v1, 16, v0
.LBB259_495:                            ;   in Loop: Header=BB259_12 Depth=1
	s_or_b32 exec_lo, exec_lo, s20
.LBB259_496:                            ;   in Loop: Header=BB259_12 Depth=1
	s_delay_alu instid0(SALU_CYCLE_1)
	s_or_b32 exec_lo, exec_lo, s19
.LBB259_497:                            ;   in Loop: Header=BB259_12 Depth=1
	s_delay_alu instid0(SALU_CYCLE_1)
	s_or_b32 exec_lo, exec_lo, s18
	flat_load_b32 v38, v[36:37] offset:1800
	v_dual_mov_b32 v0, 0 :: v_dual_mov_b32 v15, 0
	s_mov_b32 s18, exec_lo
	s_wait_loadcnt_dscnt 0x0
	v_and_b32_e32 v1, 0xff, v38
	s_wait_xcnt 0x0
	s_delay_alu instid0(VALU_DEP_1)
	v_cmpx_ne_u16_e32 0, v1
	s_cbranch_execz .LBB259_505
; %bb.498:                              ;   in Loop: Header=BB259_12 Depth=1
	v_mov_b32_e32 v15, 0x8000
	s_mov_b32 s19, exec_lo
	v_cmpx_ne_u16_e32 0x80, v1
	s_cbranch_execz .LBB259_504
; %bb.499:                              ;   in Loop: Header=BB259_12 Depth=1
	v_and_b32_e32 v9, 0x7f, v38
	v_mov_b32_e32 v15, 0x7c01
	s_mov_b32 s20, exec_lo
	s_delay_alu instid0(VALU_DEP_2)
	v_cmpx_ne_u32_e32 0x7f, v9
	s_cbranch_execz .LBB259_503
; %bb.500:                              ;   in Loop: Header=BB259_12 Depth=1
	v_dual_lshrrev_b32 v4, 3, v9 :: v_dual_bitop2_b32 v1, 7, v38 bitop3:0x40
	s_mov_b32 s21, exec_lo
	v_cmpx_gt_u32_e32 8, v9
; %bb.501:                              ;   in Loop: Header=BB259_12 Depth=1
	s_delay_alu instid0(VALU_DEP_2) | instskip(NEXT) | instid1(VALU_DEP_1)
	v_clz_i32_u32_e32 v1, v1
	v_min_u32_e32 v1, 32, v1
	s_delay_alu instid0(VALU_DEP_1) | instskip(NEXT) | instid1(VALU_DEP_1)
	v_subrev_nc_u32_e32 v4, 28, v1
	v_lshlrev_b64_e32 v[24:25], v4, v[38:39]
	s_delay_alu instid0(VALU_DEP_1)
	v_dual_sub_nc_u32 v4, 29, v1 :: v_dual_bitop2_b32 v1, 7, v24 bitop3:0x40
; %bb.502:                              ;   in Loop: Header=BB259_12 Depth=1
	s_or_b32 exec_lo, exec_lo, s21
	s_delay_alu instid0(VALU_DEP_1) | instskip(NEXT) | instid1(VALU_DEP_2)
	v_dual_lshlrev_b32 v9, 8, v38 :: v_dual_lshlrev_b32 v1, 7, v1
	v_lshl_add_u32 v4, v4, 10, 0x2000
	s_delay_alu instid0(VALU_DEP_2) | instskip(NEXT) | instid1(VALU_DEP_2)
	v_and_b32_e32 v9, 0x8000, v9
	v_and_b32_e32 v4, 0xfc00, v4
	s_delay_alu instid0(VALU_DEP_1)
	v_or3_b32 v15, v9, v4, v1
.LBB259_503:                            ;   in Loop: Header=BB259_12 Depth=1
	s_or_b32 exec_lo, exec_lo, s20
.LBB259_504:                            ;   in Loop: Header=BB259_12 Depth=1
	s_delay_alu instid0(SALU_CYCLE_1)
	s_or_b32 exec_lo, exec_lo, s19
.LBB259_505:                            ;   in Loop: Header=BB259_12 Depth=1
	s_delay_alu instid0(SALU_CYCLE_1) | instskip(SKIP_2) | instid1(VALU_DEP_1)
	s_or_b32 exec_lo, exec_lo, s18
	v_lshrrev_b16 v4, 8, v38
	s_mov_b32 s18, exec_lo
	v_cmpx_ne_u16_e32 0, v4
	s_cbranch_execz .LBB259_513
; %bb.506:                              ;   in Loop: Header=BB259_12 Depth=1
	v_bfrev_b32_e32 v0, 1
	s_mov_b32 s19, exec_lo
	v_cmpx_ne_u16_e32 0x80, v4
	s_cbranch_execz .LBB259_512
; %bb.507:                              ;   in Loop: Header=BB259_12 Depth=1
	v_and_b32_e32 v1, 0xffff, v4
	v_mov_b32_e32 v0, 0x7c010000
	s_mov_b32 s20, exec_lo
	s_delay_alu instid0(VALU_DEP_2) | instskip(NEXT) | instid1(VALU_DEP_1)
	v_and_b32_e32 v24, 0x7f, v1
	v_cmpx_ne_u32_e32 0x7f, v24
	s_cbranch_execz .LBB259_511
; %bb.508:                              ;   in Loop: Header=BB259_12 Depth=1
	v_dual_lshrrev_b32 v9, 3, v24 :: v_dual_bitop2_b32 v0, 7, v1 bitop3:0x40
	s_mov_b32 s21, exec_lo
	v_cmpx_gt_u32_e32 8, v24
; %bb.509:                              ;   in Loop: Header=BB259_12 Depth=1
	s_delay_alu instid0(VALU_DEP_2) | instskip(NEXT) | instid1(VALU_DEP_1)
	v_clz_i32_u32_e32 v0, v0
	v_min_u32_e32 v0, 32, v0
	s_delay_alu instid0(VALU_DEP_1) | instskip(NEXT) | instid1(VALU_DEP_1)
	v_subrev_nc_u32_e32 v9, 28, v0
	v_lshlrev_b64_e32 v[24:25], v9, v[4:5]
	v_sub_nc_u32_e32 v9, 29, v0
	s_delay_alu instid0(VALU_DEP_2)
	v_and_b32_e32 v0, 7, v24
; %bb.510:                              ;   in Loop: Header=BB259_12 Depth=1
	s_or_b32 exec_lo, exec_lo, s21
	s_delay_alu instid0(VALU_DEP_1) | instskip(NEXT) | instid1(VALU_DEP_3)
	v_dual_lshlrev_b32 v1, 8, v1 :: v_dual_lshlrev_b32 v0, 23, v0
	v_lshl_add_u32 v4, v9, 10, 0x2000
	s_delay_alu instid0(VALU_DEP_1) | instskip(NEXT) | instid1(VALU_DEP_1)
	v_and_or_b32 v1, 0x8000, v1, v4
	v_lshl_or_b32 v0, v1, 16, v0
.LBB259_511:                            ;   in Loop: Header=BB259_12 Depth=1
	s_or_b32 exec_lo, exec_lo, s20
.LBB259_512:                            ;   in Loop: Header=BB259_12 Depth=1
	s_delay_alu instid0(SALU_CYCLE_1)
	s_or_b32 exec_lo, exec_lo, s19
.LBB259_513:                            ;   in Loop: Header=BB259_12 Depth=1
	s_delay_alu instid0(SALU_CYCLE_1) | instskip(SKIP_3) | instid1(VALU_DEP_2)
	s_or_b32 exec_lo, exec_lo, s18
	v_dual_mov_b32 v69, 0 :: v_dual_lshrrev_b32 v4, 16, v38
	v_mov_b32_e32 v54, 0
	s_mov_b32 s18, exec_lo
	v_and_b32_e32 v1, 0xff, v4
	s_delay_alu instid0(VALU_DEP_1)
	v_cmpx_ne_u16_e32 0, v1
	s_cbranch_execz .LBB259_521
; %bb.514:                              ;   in Loop: Header=BB259_12 Depth=1
	v_mov_b32_e32 v54, 0x8000
	s_mov_b32 s19, exec_lo
	v_cmpx_ne_u16_e32 0x80, v1
	s_cbranch_execz .LBB259_520
; %bb.515:                              ;   in Loop: Header=BB259_12 Depth=1
	v_bfe_u32 v24, v38, 16, 7
	v_mov_b32_e32 v54, 0x7c01
	s_mov_b32 s20, exec_lo
	s_delay_alu instid0(VALU_DEP_2)
	v_cmpx_ne_u32_e32 0x7f, v24
	s_cbranch_execz .LBB259_519
; %bb.516:                              ;   in Loop: Header=BB259_12 Depth=1
	v_and_b32_e32 v1, 7, v4
	v_lshrrev_b32_e32 v9, 3, v24
	s_mov_b32 s21, exec_lo
	v_cmpx_gt_u32_e32 8, v24
; %bb.517:                              ;   in Loop: Header=BB259_12 Depth=1
	s_delay_alu instid0(VALU_DEP_3) | instskip(NEXT) | instid1(VALU_DEP_1)
	v_clz_i32_u32_e32 v1, v1
	v_min_u32_e32 v1, 32, v1
	s_delay_alu instid0(VALU_DEP_1) | instskip(NEXT) | instid1(VALU_DEP_1)
	v_subrev_nc_u32_e32 v9, 28, v1
	v_lshlrev_b64_e32 v[24:25], v9, v[4:5]
	s_delay_alu instid0(VALU_DEP_1)
	v_dual_sub_nc_u32 v9, 29, v1 :: v_dual_bitop2_b32 v1, 7, v24 bitop3:0x40
; %bb.518:                              ;   in Loop: Header=BB259_12 Depth=1
	s_or_b32 exec_lo, exec_lo, s21
	s_delay_alu instid0(VALU_DEP_1) | instskip(NEXT) | instid1(VALU_DEP_2)
	v_dual_lshlrev_b32 v4, 8, v4 :: v_dual_lshlrev_b32 v1, 7, v1
	v_lshl_add_u32 v9, v9, 10, 0x2000
	s_delay_alu instid0(VALU_DEP_2) | instskip(NEXT) | instid1(VALU_DEP_2)
	v_and_b32_e32 v4, 0x8000, v4
	v_and_b32_e32 v9, 0xfc00, v9
	s_delay_alu instid0(VALU_DEP_1)
	v_or3_b32 v54, v4, v9, v1
.LBB259_519:                            ;   in Loop: Header=BB259_12 Depth=1
	s_or_b32 exec_lo, exec_lo, s20
.LBB259_520:                            ;   in Loop: Header=BB259_12 Depth=1
	s_delay_alu instid0(SALU_CYCLE_1)
	s_or_b32 exec_lo, exec_lo, s19
.LBB259_521:                            ;   in Loop: Header=BB259_12 Depth=1
	s_delay_alu instid0(SALU_CYCLE_1) | instskip(NEXT) | instid1(SALU_CYCLE_1)
	s_or_b32 exec_lo, exec_lo, s18
	s_mov_b32 s18, exec_lo
	v_cmpx_lt_u32_e32 0xffffff, v38
	s_cbranch_execz .LBB259_529
; %bb.522:                              ;   in Loop: Header=BB259_12 Depth=1
	v_lshrrev_b32_e32 v4, 24, v38
	v_bfrev_b32_e32 v69, 1
	s_mov_b32 s19, exec_lo
	s_delay_alu instid0(VALU_DEP_2)
	v_cmpx_ne_u32_e32 0x80, v4
	s_cbranch_execz .LBB259_528
; %bb.523:                              ;   in Loop: Header=BB259_12 Depth=1
	v_and_b32_e32 v24, 0x7f, v4
	v_mov_b32_e32 v69, 0x7c010000
	s_mov_b32 s20, exec_lo
	s_delay_alu instid0(VALU_DEP_2)
	v_cmpx_ne_u32_e32 0x7f, v24
	s_cbranch_execz .LBB259_527
; %bb.524:                              ;   in Loop: Header=BB259_12 Depth=1
	v_and_b32_e32 v1, 7, v4
	v_lshrrev_b32_e32 v9, 3, v24
	s_mov_b32 s21, exec_lo
	v_cmpx_gt_u32_e32 8, v24
; %bb.525:                              ;   in Loop: Header=BB259_12 Depth=1
	s_delay_alu instid0(VALU_DEP_3) | instskip(NEXT) | instid1(VALU_DEP_1)
	v_clz_i32_u32_e32 v1, v1
	v_min_u32_e32 v1, 32, v1
	s_delay_alu instid0(VALU_DEP_1) | instskip(NEXT) | instid1(VALU_DEP_1)
	v_subrev_nc_u32_e32 v9, 28, v1
	v_lshlrev_b64_e32 v[24:25], v9, v[4:5]
	s_delay_alu instid0(VALU_DEP_1)
	v_dual_sub_nc_u32 v9, 29, v1 :: v_dual_bitop2_b32 v1, 7, v24 bitop3:0x40
; %bb.526:                              ;   in Loop: Header=BB259_12 Depth=1
	s_or_b32 exec_lo, exec_lo, s21
	s_delay_alu instid0(VALU_DEP_1) | instskip(NEXT) | instid1(VALU_DEP_2)
	v_dual_lshlrev_b32 v4, 8, v4 :: v_dual_lshlrev_b32 v1, 23, v1
	v_lshl_add_u32 v9, v9, 10, 0x2000
	s_delay_alu instid0(VALU_DEP_1) | instskip(NEXT) | instid1(VALU_DEP_1)
	v_and_or_b32 v4, 0x8000, v4, v9
	v_lshl_or_b32 v69, v4, 16, v1
.LBB259_527:                            ;   in Loop: Header=BB259_12 Depth=1
	s_or_b32 exec_lo, exec_lo, s20
.LBB259_528:                            ;   in Loop: Header=BB259_12 Depth=1
	s_delay_alu instid0(SALU_CYCLE_1)
	s_or_b32 exec_lo, exec_lo, s19
.LBB259_529:                            ;   in Loop: Header=BB259_12 Depth=1
	s_delay_alu instid0(SALU_CYCLE_1)
	s_or_b32 exec_lo, exec_lo, s18
	flat_load_b32 v38, v[36:37] offset:2048
	v_dual_mov_b32 v1, 0 :: v_dual_mov_b32 v26, 0
	s_mov_b32 s18, exec_lo
	s_wait_loadcnt_dscnt 0x0
	v_and_b32_e32 v4, 0xff, v38
	s_wait_xcnt 0x0
	s_delay_alu instid0(VALU_DEP_1)
	v_cmpx_ne_u16_e32 0, v4
	s_cbranch_execz .LBB259_537
; %bb.530:                              ;   in Loop: Header=BB259_12 Depth=1
	v_mov_b32_e32 v26, 0x8000
	s_mov_b32 s19, exec_lo
	v_cmpx_ne_u16_e32 0x80, v4
	s_cbranch_execz .LBB259_536
; %bb.531:                              ;   in Loop: Header=BB259_12 Depth=1
	v_and_b32_e32 v24, 0x7f, v38
	v_mov_b32_e32 v26, 0x7c01
	s_mov_b32 s20, exec_lo
	s_delay_alu instid0(VALU_DEP_2)
	v_cmpx_ne_u32_e32 0x7f, v24
	s_cbranch_execz .LBB259_535
; %bb.532:                              ;   in Loop: Header=BB259_12 Depth=1
	v_dual_lshrrev_b32 v9, 3, v24 :: v_dual_bitop2_b32 v4, 7, v38 bitop3:0x40
	s_mov_b32 s21, exec_lo
	v_cmpx_gt_u32_e32 8, v24
; %bb.533:                              ;   in Loop: Header=BB259_12 Depth=1
	s_delay_alu instid0(VALU_DEP_2) | instskip(NEXT) | instid1(VALU_DEP_1)
	v_clz_i32_u32_e32 v4, v4
	v_min_u32_e32 v4, 32, v4
	s_delay_alu instid0(VALU_DEP_1) | instskip(NEXT) | instid1(VALU_DEP_1)
	v_subrev_nc_u32_e32 v9, 28, v4
	v_lshlrev_b64_e32 v[24:25], v9, v[38:39]
	v_sub_nc_u32_e32 v9, 29, v4
	s_delay_alu instid0(VALU_DEP_2)
	v_and_b32_e32 v4, 7, v24
; %bb.534:                              ;   in Loop: Header=BB259_12 Depth=1
	s_or_b32 exec_lo, exec_lo, s21
	s_delay_alu instid0(VALU_DEP_1) | instskip(NEXT) | instid1(VALU_DEP_3)
	v_dual_lshlrev_b32 v24, 8, v38 :: v_dual_lshlrev_b32 v4, 7, v4
	v_lshl_add_u32 v9, v9, 10, 0x2000
	s_delay_alu instid0(VALU_DEP_2) | instskip(NEXT) | instid1(VALU_DEP_2)
	v_and_b32_e32 v24, 0x8000, v24
	v_and_b32_e32 v9, 0xfc00, v9
	s_delay_alu instid0(VALU_DEP_1)
	v_or3_b32 v26, v24, v9, v4
.LBB259_535:                            ;   in Loop: Header=BB259_12 Depth=1
	s_or_b32 exec_lo, exec_lo, s20
.LBB259_536:                            ;   in Loop: Header=BB259_12 Depth=1
	s_delay_alu instid0(SALU_CYCLE_1)
	s_or_b32 exec_lo, exec_lo, s19
.LBB259_537:                            ;   in Loop: Header=BB259_12 Depth=1
	s_delay_alu instid0(SALU_CYCLE_1) | instskip(SKIP_2) | instid1(VALU_DEP_1)
	s_or_b32 exec_lo, exec_lo, s18
	v_lshrrev_b16 v4, 8, v38
	s_mov_b32 s18, exec_lo
	v_cmpx_ne_u16_e32 0, v4
	s_cbranch_execz .LBB259_545
; %bb.538:                              ;   in Loop: Header=BB259_12 Depth=1
	v_bfrev_b32_e32 v1, 1
	s_mov_b32 s19, exec_lo
	v_cmpx_ne_u16_e32 0x80, v4
	s_cbranch_execz .LBB259_544
; %bb.539:                              ;   in Loop: Header=BB259_12 Depth=1
	v_and_b32_e32 v9, 0xffff, v4
	v_mov_b32_e32 v1, 0x7c010000
	s_mov_b32 s20, exec_lo
	s_delay_alu instid0(VALU_DEP_2) | instskip(NEXT) | instid1(VALU_DEP_1)
	v_and_b32_e32 v25, 0x7f, v9
	v_cmpx_ne_u32_e32 0x7f, v25
	s_cbranch_execz .LBB259_543
; %bb.540:                              ;   in Loop: Header=BB259_12 Depth=1
	v_and_b32_e32 v1, 7, v9
	v_lshrrev_b32_e32 v24, 3, v25
	s_mov_b32 s21, exec_lo
	v_cmpx_gt_u32_e32 8, v25
; %bb.541:                              ;   in Loop: Header=BB259_12 Depth=1
	s_delay_alu instid0(VALU_DEP_3) | instskip(NEXT) | instid1(VALU_DEP_1)
	v_clz_i32_u32_e32 v1, v1
	v_min_u32_e32 v1, 32, v1
	s_delay_alu instid0(VALU_DEP_1) | instskip(NEXT) | instid1(VALU_DEP_1)
	v_subrev_nc_u32_e32 v24, 28, v1
	v_lshlrev_b64_e32 v[56:57], v24, v[4:5]
	s_delay_alu instid0(VALU_DEP_1)
	v_dual_sub_nc_u32 v24, 29, v1 :: v_dual_bitop2_b32 v1, 7, v56 bitop3:0x40
; %bb.542:                              ;   in Loop: Header=BB259_12 Depth=1
	s_or_b32 exec_lo, exec_lo, s21
	v_lshlrev_b32_e32 v4, 8, v9
	s_delay_alu instid0(VALU_DEP_2) | instskip(NEXT) | instid1(VALU_DEP_3)
	v_lshl_add_u32 v9, v24, 10, 0x2000
	v_lshlrev_b32_e32 v1, 23, v1
	s_delay_alu instid0(VALU_DEP_2) | instskip(NEXT) | instid1(VALU_DEP_1)
	v_and_or_b32 v4, 0x8000, v4, v9
	v_lshl_or_b32 v1, v4, 16, v1
.LBB259_543:                            ;   in Loop: Header=BB259_12 Depth=1
	s_or_b32 exec_lo, exec_lo, s20
.LBB259_544:                            ;   in Loop: Header=BB259_12 Depth=1
	s_delay_alu instid0(SALU_CYCLE_1)
	s_or_b32 exec_lo, exec_lo, s19
.LBB259_545:                            ;   in Loop: Header=BB259_12 Depth=1
	s_delay_alu instid0(SALU_CYCLE_1) | instskip(SKIP_3) | instid1(VALU_DEP_2)
	s_or_b32 exec_lo, exec_lo, s18
	v_dual_mov_b32 v49, 0 :: v_dual_lshrrev_b32 v4, 16, v38
	v_mov_b32_e32 v125, 0
	s_mov_b32 s18, exec_lo
	v_and_b32_e32 v9, 0xff, v4
	s_delay_alu instid0(VALU_DEP_1)
	v_cmpx_ne_u16_e32 0, v9
	s_cbranch_execz .LBB259_553
; %bb.546:                              ;   in Loop: Header=BB259_12 Depth=1
	v_mov_b32_e32 v125, 0x8000
	s_mov_b32 s19, exec_lo
	v_cmpx_ne_u16_e32 0x80, v9
	s_cbranch_execz .LBB259_552
; %bb.547:                              ;   in Loop: Header=BB259_12 Depth=1
	v_bfe_u32 v25, v38, 16, 7
	v_mov_b32_e32 v125, 0x7c01
	s_mov_b32 s20, exec_lo
	s_delay_alu instid0(VALU_DEP_2)
	v_cmpx_ne_u32_e32 0x7f, v25
	s_cbranch_execz .LBB259_551
; %bb.548:                              ;   in Loop: Header=BB259_12 Depth=1
	v_dual_lshrrev_b32 v24, 3, v25 :: v_dual_bitop2_b32 v9, 7, v4 bitop3:0x40
	s_mov_b32 s21, exec_lo
	v_cmpx_gt_u32_e32 8, v25
; %bb.549:                              ;   in Loop: Header=BB259_12 Depth=1
	s_delay_alu instid0(VALU_DEP_2) | instskip(NEXT) | instid1(VALU_DEP_1)
	v_clz_i32_u32_e32 v9, v9
	v_min_u32_e32 v9, 32, v9
	s_delay_alu instid0(VALU_DEP_1) | instskip(NEXT) | instid1(VALU_DEP_1)
	v_subrev_nc_u32_e32 v24, 28, v9
	v_lshlrev_b64_e32 v[56:57], v24, v[4:5]
	s_delay_alu instid0(VALU_DEP_1)
	v_dual_sub_nc_u32 v24, 29, v9 :: v_dual_bitop2_b32 v9, 7, v56 bitop3:0x40
; %bb.550:                              ;   in Loop: Header=BB259_12 Depth=1
	s_or_b32 exec_lo, exec_lo, s21
	s_delay_alu instid0(VALU_DEP_1) | instskip(NEXT) | instid1(VALU_DEP_2)
	v_dual_lshlrev_b32 v4, 8, v4 :: v_dual_lshlrev_b32 v9, 7, v9
	v_lshl_add_u32 v24, v24, 10, 0x2000
	s_delay_alu instid0(VALU_DEP_2) | instskip(NEXT) | instid1(VALU_DEP_2)
	v_and_b32_e32 v4, 0x8000, v4
	v_and_b32_e32 v24, 0xfc00, v24
	s_delay_alu instid0(VALU_DEP_1)
	v_or3_b32 v125, v4, v24, v9
.LBB259_551:                            ;   in Loop: Header=BB259_12 Depth=1
	s_or_b32 exec_lo, exec_lo, s20
.LBB259_552:                            ;   in Loop: Header=BB259_12 Depth=1
	s_delay_alu instid0(SALU_CYCLE_1)
	s_or_b32 exec_lo, exec_lo, s19
.LBB259_553:                            ;   in Loop: Header=BB259_12 Depth=1
	s_delay_alu instid0(SALU_CYCLE_1) | instskip(NEXT) | instid1(SALU_CYCLE_1)
	s_or_b32 exec_lo, exec_lo, s18
	s_mov_b32 s18, exec_lo
	v_cmpx_lt_u32_e32 0xffffff, v38
	s_cbranch_execz .LBB259_561
; %bb.554:                              ;   in Loop: Header=BB259_12 Depth=1
	v_lshrrev_b32_e32 v4, 24, v38
	v_bfrev_b32_e32 v49, 1
	s_mov_b32 s19, exec_lo
	s_delay_alu instid0(VALU_DEP_2)
	v_cmpx_ne_u32_e32 0x80, v4
	s_cbranch_execz .LBB259_560
; %bb.555:                              ;   in Loop: Header=BB259_12 Depth=1
	v_and_b32_e32 v25, 0x7f, v4
	v_mov_b32_e32 v49, 0x7c010000
	s_mov_b32 s20, exec_lo
	s_delay_alu instid0(VALU_DEP_2)
	v_cmpx_ne_u32_e32 0x7f, v25
	s_cbranch_execz .LBB259_559
; %bb.556:                              ;   in Loop: Header=BB259_12 Depth=1
	v_dual_lshrrev_b32 v24, 3, v25 :: v_dual_bitop2_b32 v9, 7, v4 bitop3:0x40
	s_mov_b32 s21, exec_lo
	v_cmpx_gt_u32_e32 8, v25
; %bb.557:                              ;   in Loop: Header=BB259_12 Depth=1
	s_delay_alu instid0(VALU_DEP_2) | instskip(NEXT) | instid1(VALU_DEP_1)
	v_clz_i32_u32_e32 v9, v9
	v_min_u32_e32 v9, 32, v9
	s_delay_alu instid0(VALU_DEP_1) | instskip(NEXT) | instid1(VALU_DEP_1)
	v_subrev_nc_u32_e32 v24, 28, v9
	v_lshlrev_b64_e32 v[38:39], v24, v[4:5]
	s_delay_alu instid0(VALU_DEP_1)
	v_dual_sub_nc_u32 v24, 29, v9 :: v_dual_bitop2_b32 v9, 7, v38 bitop3:0x40
; %bb.558:                              ;   in Loop: Header=BB259_12 Depth=1
	s_or_b32 exec_lo, exec_lo, s21
	s_delay_alu instid0(VALU_DEP_1) | instskip(NEXT) | instid1(VALU_DEP_2)
	v_dual_lshlrev_b32 v4, 8, v4 :: v_dual_lshlrev_b32 v9, 23, v9
	v_lshl_add_u32 v24, v24, 10, 0x2000
	s_delay_alu instid0(VALU_DEP_1) | instskip(NEXT) | instid1(VALU_DEP_1)
	v_and_or_b32 v4, 0x8000, v4, v24
	v_lshl_or_b32 v49, v4, 16, v9
.LBB259_559:                            ;   in Loop: Header=BB259_12 Depth=1
	s_or_b32 exec_lo, exec_lo, s20
.LBB259_560:                            ;   in Loop: Header=BB259_12 Depth=1
	s_delay_alu instid0(SALU_CYCLE_1)
	s_or_b32 exec_lo, exec_lo, s19
.LBB259_561:                            ;   in Loop: Header=BB259_12 Depth=1
	s_delay_alu instid0(SALU_CYCLE_1)
	s_or_b32 exec_lo, exec_lo, s18
	flat_load_b32 v38, v[36:37] offset:2056
	v_dual_mov_b32 v111, 0 :: v_dual_mov_b32 v120, 0
	s_mov_b32 s18, exec_lo
	s_wait_loadcnt_dscnt 0x0
	v_and_b32_e32 v4, 0xff, v38
	s_wait_xcnt 0x0
	s_delay_alu instid0(VALU_DEP_1)
	v_cmpx_ne_u16_e32 0, v4
	s_cbranch_execz .LBB259_569
; %bb.562:                              ;   in Loop: Header=BB259_12 Depth=1
	v_mov_b32_e32 v120, 0x8000
	s_mov_b32 s19, exec_lo
	v_cmpx_ne_u16_e32 0x80, v4
	s_cbranch_execz .LBB259_568
; %bb.563:                              ;   in Loop: Header=BB259_12 Depth=1
	v_and_b32_e32 v24, 0x7f, v38
	v_mov_b32_e32 v120, 0x7c01
	s_mov_b32 s20, exec_lo
	s_delay_alu instid0(VALU_DEP_2)
	v_cmpx_ne_u32_e32 0x7f, v24
	s_cbranch_execz .LBB259_567
; %bb.564:                              ;   in Loop: Header=BB259_12 Depth=1
	v_dual_lshrrev_b32 v9, 3, v24 :: v_dual_bitop2_b32 v4, 7, v38 bitop3:0x40
	s_mov_b32 s21, exec_lo
	v_cmpx_gt_u32_e32 8, v24
; %bb.565:                              ;   in Loop: Header=BB259_12 Depth=1
	s_delay_alu instid0(VALU_DEP_2) | instskip(NEXT) | instid1(VALU_DEP_1)
	v_clz_i32_u32_e32 v4, v4
	v_min_u32_e32 v4, 32, v4
	s_delay_alu instid0(VALU_DEP_1) | instskip(NEXT) | instid1(VALU_DEP_1)
	v_subrev_nc_u32_e32 v9, 28, v4
	v_lshlrev_b64_e32 v[24:25], v9, v[38:39]
	v_sub_nc_u32_e32 v9, 29, v4
	s_delay_alu instid0(VALU_DEP_2)
	v_and_b32_e32 v4, 7, v24
; %bb.566:                              ;   in Loop: Header=BB259_12 Depth=1
	s_or_b32 exec_lo, exec_lo, s21
	s_delay_alu instid0(VALU_DEP_1) | instskip(NEXT) | instid1(VALU_DEP_3)
	v_dual_lshlrev_b32 v24, 8, v38 :: v_dual_lshlrev_b32 v4, 7, v4
	v_lshl_add_u32 v9, v9, 10, 0x2000
	s_delay_alu instid0(VALU_DEP_2) | instskip(NEXT) | instid1(VALU_DEP_2)
	v_and_b32_e32 v24, 0x8000, v24
	v_and_b32_e32 v9, 0xfc00, v9
	s_delay_alu instid0(VALU_DEP_1)
	v_or3_b32 v120, v24, v9, v4
.LBB259_567:                            ;   in Loop: Header=BB259_12 Depth=1
	s_or_b32 exec_lo, exec_lo, s20
.LBB259_568:                            ;   in Loop: Header=BB259_12 Depth=1
	s_delay_alu instid0(SALU_CYCLE_1)
	s_or_b32 exec_lo, exec_lo, s19
.LBB259_569:                            ;   in Loop: Header=BB259_12 Depth=1
	s_delay_alu instid0(SALU_CYCLE_1) | instskip(SKIP_2) | instid1(VALU_DEP_1)
	s_or_b32 exec_lo, exec_lo, s18
	v_lshrrev_b16 v4, 8, v38
	s_mov_b32 s18, exec_lo
	v_cmpx_ne_u16_e32 0, v4
	s_cbranch_execz .LBB259_577
; %bb.570:                              ;   in Loop: Header=BB259_12 Depth=1
	v_bfrev_b32_e32 v111, 1
	s_mov_b32 s19, exec_lo
	v_cmpx_ne_u16_e32 0x80, v4
	s_cbranch_execz .LBB259_576
; %bb.571:                              ;   in Loop: Header=BB259_12 Depth=1
	v_and_b32_e32 v9, 0xffff, v4
	v_mov_b32_e32 v111, 0x7c010000
	s_mov_b32 s20, exec_lo
	s_delay_alu instid0(VALU_DEP_2) | instskip(NEXT) | instid1(VALU_DEP_1)
	v_and_b32_e32 v39, 0x7f, v9
	v_cmpx_ne_u32_e32 0x7f, v39
	s_cbranch_execz .LBB259_575
; %bb.572:                              ;   in Loop: Header=BB259_12 Depth=1
	v_dual_lshrrev_b32 v25, 3, v39 :: v_dual_bitop2_b32 v24, 7, v9 bitop3:0x40
	s_mov_b32 s21, exec_lo
	v_cmpx_gt_u32_e32 8, v39
; %bb.573:                              ;   in Loop: Header=BB259_12 Depth=1
	s_delay_alu instid0(VALU_DEP_2) | instskip(NEXT) | instid1(VALU_DEP_1)
	v_clz_i32_u32_e32 v24, v24
	v_min_u32_e32 v32, 32, v24
	s_delay_alu instid0(VALU_DEP_1) | instskip(NEXT) | instid1(VALU_DEP_1)
	v_subrev_nc_u32_e32 v24, 28, v32
	v_lshlrev_b64_e32 v[24:25], v24, v[4:5]
	v_sub_nc_u32_e32 v25, 29, v32
	s_delay_alu instid0(VALU_DEP_2)
	v_and_b32_e32 v24, 7, v24
; %bb.574:                              ;   in Loop: Header=BB259_12 Depth=1
	s_or_b32 exec_lo, exec_lo, s21
	v_lshlrev_b32_e32 v4, 8, v9
	s_delay_alu instid0(VALU_DEP_3) | instskip(NEXT) | instid1(VALU_DEP_1)
	v_lshl_add_u32 v9, v25, 10, 0x2000
	v_and_or_b32 v4, 0x8000, v4, v9
	v_lshlrev_b32_e32 v9, 23, v24
	s_delay_alu instid0(VALU_DEP_1)
	v_lshl_or_b32 v111, v4, 16, v9
.LBB259_575:                            ;   in Loop: Header=BB259_12 Depth=1
	s_or_b32 exec_lo, exec_lo, s20
.LBB259_576:                            ;   in Loop: Header=BB259_12 Depth=1
	s_delay_alu instid0(SALU_CYCLE_1)
	s_or_b32 exec_lo, exec_lo, s19
.LBB259_577:                            ;   in Loop: Header=BB259_12 Depth=1
	s_delay_alu instid0(SALU_CYCLE_1) | instskip(SKIP_3) | instid1(VALU_DEP_2)
	s_or_b32 exec_lo, exec_lo, s18
	v_dual_lshrrev_b32 v4, 16, v38 :: v_dual_mov_b32 v126, 0
	v_mov_b32_e32 v127, 0
	s_mov_b32 s18, exec_lo
	v_and_b32_e32 v9, 0xff, v4
	s_delay_alu instid0(VALU_DEP_1)
	v_cmpx_ne_u16_e32 0, v9
	s_cbranch_execz .LBB259_585
; %bb.578:                              ;   in Loop: Header=BB259_12 Depth=1
	v_mov_b32_e32 v127, 0x8000
	s_mov_b32 s19, exec_lo
	v_cmpx_ne_u16_e32 0x80, v9
	s_cbranch_execz .LBB259_584
; %bb.579:                              ;   in Loop: Header=BB259_12 Depth=1
	v_bfe_u32 v25, v38, 16, 7
	v_mov_b32_e32 v127, 0x7c01
	s_mov_b32 s20, exec_lo
	s_delay_alu instid0(VALU_DEP_2)
	v_cmpx_ne_u32_e32 0x7f, v25
	s_cbranch_execz .LBB259_583
; %bb.580:                              ;   in Loop: Header=BB259_12 Depth=1
	v_dual_lshrrev_b32 v24, 3, v25 :: v_dual_bitop2_b32 v9, 7, v4 bitop3:0x40
	s_mov_b32 s21, exec_lo
	v_cmpx_gt_u32_e32 8, v25
; %bb.581:                              ;   in Loop: Header=BB259_12 Depth=1
	s_delay_alu instid0(VALU_DEP_2) | instskip(NEXT) | instid1(VALU_DEP_1)
	v_clz_i32_u32_e32 v9, v9
	v_min_u32_e32 v9, 32, v9
	s_delay_alu instid0(VALU_DEP_1) | instskip(NEXT) | instid1(VALU_DEP_1)
	v_subrev_nc_u32_e32 v24, 28, v9
	v_lshlrev_b64_e32 v[56:57], v24, v[4:5]
	s_delay_alu instid0(VALU_DEP_1)
	v_dual_sub_nc_u32 v24, 29, v9 :: v_dual_bitop2_b32 v9, 7, v56 bitop3:0x40
; %bb.582:                              ;   in Loop: Header=BB259_12 Depth=1
	s_or_b32 exec_lo, exec_lo, s21
	s_delay_alu instid0(VALU_DEP_1) | instskip(NEXT) | instid1(VALU_DEP_2)
	v_dual_lshlrev_b32 v4, 8, v4 :: v_dual_lshlrev_b32 v9, 7, v9
	v_lshl_add_u32 v24, v24, 10, 0x2000
	s_delay_alu instid0(VALU_DEP_2) | instskip(NEXT) | instid1(VALU_DEP_2)
	v_and_b32_e32 v4, 0x8000, v4
	v_and_b32_e32 v24, 0xfc00, v24
	s_delay_alu instid0(VALU_DEP_1)
	v_or3_b32 v127, v4, v24, v9
.LBB259_583:                            ;   in Loop: Header=BB259_12 Depth=1
	s_or_b32 exec_lo, exec_lo, s20
.LBB259_584:                            ;   in Loop: Header=BB259_12 Depth=1
	s_delay_alu instid0(SALU_CYCLE_1)
	s_or_b32 exec_lo, exec_lo, s19
.LBB259_585:                            ;   in Loop: Header=BB259_12 Depth=1
	s_delay_alu instid0(SALU_CYCLE_1) | instskip(NEXT) | instid1(SALU_CYCLE_1)
	s_or_b32 exec_lo, exec_lo, s18
	s_mov_b32 s18, exec_lo
	v_cmpx_lt_u32_e32 0xffffff, v38
	s_cbranch_execz .LBB259_593
; %bb.586:                              ;   in Loop: Header=BB259_12 Depth=1
	v_lshrrev_b32_e32 v4, 24, v38
	v_bfrev_b32_e32 v126, 1
	s_mov_b32 s19, exec_lo
	s_delay_alu instid0(VALU_DEP_2)
	v_cmpx_ne_u32_e32 0x80, v4
	s_cbranch_execz .LBB259_592
; %bb.587:                              ;   in Loop: Header=BB259_12 Depth=1
	v_and_b32_e32 v25, 0x7f, v4
	v_mov_b32_e32 v126, 0x7c010000
	s_mov_b32 s20, exec_lo
	s_delay_alu instid0(VALU_DEP_2)
	v_cmpx_ne_u32_e32 0x7f, v25
	s_cbranch_execz .LBB259_591
; %bb.588:                              ;   in Loop: Header=BB259_12 Depth=1
	v_dual_lshrrev_b32 v24, 3, v25 :: v_dual_bitop2_b32 v9, 7, v4 bitop3:0x40
	s_mov_b32 s21, exec_lo
	v_cmpx_gt_u32_e32 8, v25
; %bb.589:                              ;   in Loop: Header=BB259_12 Depth=1
	s_delay_alu instid0(VALU_DEP_2) | instskip(NEXT) | instid1(VALU_DEP_1)
	v_clz_i32_u32_e32 v9, v9
	v_min_u32_e32 v9, 32, v9
	s_delay_alu instid0(VALU_DEP_1) | instskip(NEXT) | instid1(VALU_DEP_1)
	v_subrev_nc_u32_e32 v24, 28, v9
	v_lshlrev_b64_e32 v[38:39], v24, v[4:5]
	s_delay_alu instid0(VALU_DEP_1)
	v_dual_sub_nc_u32 v24, 29, v9 :: v_dual_bitop2_b32 v9, 7, v38 bitop3:0x40
; %bb.590:                              ;   in Loop: Header=BB259_12 Depth=1
	s_or_b32 exec_lo, exec_lo, s21
	s_delay_alu instid0(VALU_DEP_1) | instskip(NEXT) | instid1(VALU_DEP_2)
	v_dual_lshlrev_b32 v4, 8, v4 :: v_dual_lshlrev_b32 v9, 23, v9
	v_lshl_add_u32 v24, v24, 10, 0x2000
	s_delay_alu instid0(VALU_DEP_1) | instskip(NEXT) | instid1(VALU_DEP_1)
	v_and_or_b32 v4, 0x8000, v4, v24
	v_lshl_or_b32 v126, v4, 16, v9
.LBB259_591:                            ;   in Loop: Header=BB259_12 Depth=1
	s_or_b32 exec_lo, exec_lo, s20
.LBB259_592:                            ;   in Loop: Header=BB259_12 Depth=1
	s_delay_alu instid0(SALU_CYCLE_1)
	s_or_b32 exec_lo, exec_lo, s19
.LBB259_593:                            ;   in Loop: Header=BB259_12 Depth=1
	s_delay_alu instid0(SALU_CYCLE_1)
	s_or_b32 exec_lo, exec_lo, s18
	flat_load_b32 v38, v[36:37] offset:2304
	v_dual_mov_b32 v104, 0 :: v_dual_mov_b32 v106, 0
	s_mov_b32 s18, exec_lo
	s_wait_loadcnt_dscnt 0x0
	v_and_b32_e32 v4, 0xff, v38
	s_wait_xcnt 0x0
	s_delay_alu instid0(VALU_DEP_1)
	v_cmpx_ne_u16_e32 0, v4
	s_cbranch_execz .LBB259_601
; %bb.594:                              ;   in Loop: Header=BB259_12 Depth=1
	v_mov_b32_e32 v106, 0x8000
	s_mov_b32 s19, exec_lo
	v_cmpx_ne_u16_e32 0x80, v4
	s_cbranch_execz .LBB259_600
; %bb.595:                              ;   in Loop: Header=BB259_12 Depth=1
	v_and_b32_e32 v24, 0x7f, v38
	v_mov_b32_e32 v106, 0x7c01
	s_mov_b32 s20, exec_lo
	s_delay_alu instid0(VALU_DEP_2)
	v_cmpx_ne_u32_e32 0x7f, v24
	s_cbranch_execz .LBB259_599
; %bb.596:                              ;   in Loop: Header=BB259_12 Depth=1
	v_dual_lshrrev_b32 v9, 3, v24 :: v_dual_bitop2_b32 v4, 7, v38 bitop3:0x40
	s_mov_b32 s21, exec_lo
	v_cmpx_gt_u32_e32 8, v24
; %bb.597:                              ;   in Loop: Header=BB259_12 Depth=1
	s_delay_alu instid0(VALU_DEP_2) | instskip(NEXT) | instid1(VALU_DEP_1)
	v_clz_i32_u32_e32 v4, v4
	v_min_u32_e32 v4, 32, v4
	s_delay_alu instid0(VALU_DEP_1) | instskip(NEXT) | instid1(VALU_DEP_1)
	v_subrev_nc_u32_e32 v9, 28, v4
	v_lshlrev_b64_e32 v[24:25], v9, v[38:39]
	v_sub_nc_u32_e32 v9, 29, v4
	s_delay_alu instid0(VALU_DEP_2)
	v_and_b32_e32 v4, 7, v24
; %bb.598:                              ;   in Loop: Header=BB259_12 Depth=1
	s_or_b32 exec_lo, exec_lo, s21
	s_delay_alu instid0(VALU_DEP_1) | instskip(NEXT) | instid1(VALU_DEP_3)
	v_dual_lshlrev_b32 v24, 8, v38 :: v_dual_lshlrev_b32 v4, 7, v4
	v_lshl_add_u32 v9, v9, 10, 0x2000
	s_delay_alu instid0(VALU_DEP_2) | instskip(NEXT) | instid1(VALU_DEP_2)
	v_and_b32_e32 v24, 0x8000, v24
	v_and_b32_e32 v9, 0xfc00, v9
	s_delay_alu instid0(VALU_DEP_1)
	v_or3_b32 v106, v24, v9, v4
.LBB259_599:                            ;   in Loop: Header=BB259_12 Depth=1
	s_or_b32 exec_lo, exec_lo, s20
.LBB259_600:                            ;   in Loop: Header=BB259_12 Depth=1
	s_delay_alu instid0(SALU_CYCLE_1)
	s_or_b32 exec_lo, exec_lo, s19
.LBB259_601:                            ;   in Loop: Header=BB259_12 Depth=1
	s_delay_alu instid0(SALU_CYCLE_1) | instskip(SKIP_2) | instid1(VALU_DEP_1)
	s_or_b32 exec_lo, exec_lo, s18
	v_lshrrev_b16 v4, 8, v38
	s_mov_b32 s18, exec_lo
	v_cmpx_ne_u16_e32 0, v4
	s_cbranch_execz .LBB259_609
; %bb.602:                              ;   in Loop: Header=BB259_12 Depth=1
	v_bfrev_b32_e32 v104, 1
	s_mov_b32 s19, exec_lo
	v_cmpx_ne_u16_e32 0x80, v4
	s_cbranch_execz .LBB259_608
; %bb.603:                              ;   in Loop: Header=BB259_12 Depth=1
	v_and_b32_e32 v9, 0xffff, v4
	v_mov_b32_e32 v104, 0x7c010000
	s_mov_b32 s20, exec_lo
	s_delay_alu instid0(VALU_DEP_2) | instskip(NEXT) | instid1(VALU_DEP_1)
	v_and_b32_e32 v39, 0x7f, v9
	v_cmpx_ne_u32_e32 0x7f, v39
	s_cbranch_execz .LBB259_607
; %bb.604:                              ;   in Loop: Header=BB259_12 Depth=1
	v_dual_lshrrev_b32 v25, 3, v39 :: v_dual_bitop2_b32 v24, 7, v9 bitop3:0x40
	s_mov_b32 s21, exec_lo
	v_cmpx_gt_u32_e32 8, v39
; %bb.605:                              ;   in Loop: Header=BB259_12 Depth=1
	s_delay_alu instid0(VALU_DEP_2) | instskip(NEXT) | instid1(VALU_DEP_1)
	v_clz_i32_u32_e32 v24, v24
	v_min_u32_e32 v32, 32, v24
	s_delay_alu instid0(VALU_DEP_1) | instskip(NEXT) | instid1(VALU_DEP_1)
	v_subrev_nc_u32_e32 v24, 28, v32
	v_lshlrev_b64_e32 v[24:25], v24, v[4:5]
	v_sub_nc_u32_e32 v25, 29, v32
	s_delay_alu instid0(VALU_DEP_2)
	v_and_b32_e32 v24, 7, v24
; %bb.606:                              ;   in Loop: Header=BB259_12 Depth=1
	s_or_b32 exec_lo, exec_lo, s21
	v_lshlrev_b32_e32 v4, 8, v9
	s_delay_alu instid0(VALU_DEP_3) | instskip(NEXT) | instid1(VALU_DEP_1)
	v_lshl_add_u32 v9, v25, 10, 0x2000
	v_and_or_b32 v4, 0x8000, v4, v9
	v_lshlrev_b32_e32 v9, 23, v24
	s_delay_alu instid0(VALU_DEP_1)
	v_lshl_or_b32 v104, v4, 16, v9
.LBB259_607:                            ;   in Loop: Header=BB259_12 Depth=1
	s_or_b32 exec_lo, exec_lo, s20
.LBB259_608:                            ;   in Loop: Header=BB259_12 Depth=1
	s_delay_alu instid0(SALU_CYCLE_1)
	s_or_b32 exec_lo, exec_lo, s19
.LBB259_609:                            ;   in Loop: Header=BB259_12 Depth=1
	s_delay_alu instid0(SALU_CYCLE_1) | instskip(SKIP_3) | instid1(VALU_DEP_2)
	s_or_b32 exec_lo, exec_lo, s18
	v_dual_mov_b32 v121, 0 :: v_dual_lshrrev_b32 v4, 16, v38
	v_mov_b32_e32 v122, 0
	s_mov_b32 s18, exec_lo
	v_and_b32_e32 v9, 0xff, v4
	s_delay_alu instid0(VALU_DEP_1)
	v_cmpx_ne_u16_e32 0, v9
	s_cbranch_execz .LBB259_617
; %bb.610:                              ;   in Loop: Header=BB259_12 Depth=1
	v_mov_b32_e32 v122, 0x8000
	s_mov_b32 s19, exec_lo
	v_cmpx_ne_u16_e32 0x80, v9
	s_cbranch_execz .LBB259_616
; %bb.611:                              ;   in Loop: Header=BB259_12 Depth=1
	v_bfe_u32 v25, v38, 16, 7
	v_mov_b32_e32 v122, 0x7c01
	s_mov_b32 s20, exec_lo
	s_delay_alu instid0(VALU_DEP_2)
	v_cmpx_ne_u32_e32 0x7f, v25
	s_cbranch_execz .LBB259_615
; %bb.612:                              ;   in Loop: Header=BB259_12 Depth=1
	v_dual_lshrrev_b32 v24, 3, v25 :: v_dual_bitop2_b32 v9, 7, v4 bitop3:0x40
	s_mov_b32 s21, exec_lo
	v_cmpx_gt_u32_e32 8, v25
; %bb.613:                              ;   in Loop: Header=BB259_12 Depth=1
	s_delay_alu instid0(VALU_DEP_2) | instskip(NEXT) | instid1(VALU_DEP_1)
	v_clz_i32_u32_e32 v9, v9
	v_min_u32_e32 v9, 32, v9
	s_delay_alu instid0(VALU_DEP_1) | instskip(NEXT) | instid1(VALU_DEP_1)
	v_subrev_nc_u32_e32 v24, 28, v9
	v_lshlrev_b64_e32 v[56:57], v24, v[4:5]
	s_delay_alu instid0(VALU_DEP_1)
	v_dual_sub_nc_u32 v24, 29, v9 :: v_dual_bitop2_b32 v9, 7, v56 bitop3:0x40
; %bb.614:                              ;   in Loop: Header=BB259_12 Depth=1
	s_or_b32 exec_lo, exec_lo, s21
	s_delay_alu instid0(VALU_DEP_1) | instskip(NEXT) | instid1(VALU_DEP_2)
	v_dual_lshlrev_b32 v4, 8, v4 :: v_dual_lshlrev_b32 v9, 7, v9
	v_lshl_add_u32 v24, v24, 10, 0x2000
	s_delay_alu instid0(VALU_DEP_2) | instskip(NEXT) | instid1(VALU_DEP_2)
	v_and_b32_e32 v4, 0x8000, v4
	v_and_b32_e32 v24, 0xfc00, v24
	s_delay_alu instid0(VALU_DEP_1)
	v_or3_b32 v122, v4, v24, v9
.LBB259_615:                            ;   in Loop: Header=BB259_12 Depth=1
	s_or_b32 exec_lo, exec_lo, s20
.LBB259_616:                            ;   in Loop: Header=BB259_12 Depth=1
	s_delay_alu instid0(SALU_CYCLE_1)
	s_or_b32 exec_lo, exec_lo, s19
.LBB259_617:                            ;   in Loop: Header=BB259_12 Depth=1
	s_delay_alu instid0(SALU_CYCLE_1) | instskip(NEXT) | instid1(SALU_CYCLE_1)
	s_or_b32 exec_lo, exec_lo, s18
	s_mov_b32 s18, exec_lo
	v_cmpx_lt_u32_e32 0xffffff, v38
	s_cbranch_execz .LBB259_625
; %bb.618:                              ;   in Loop: Header=BB259_12 Depth=1
	v_lshrrev_b32_e32 v4, 24, v38
	v_bfrev_b32_e32 v121, 1
	s_mov_b32 s19, exec_lo
	s_delay_alu instid0(VALU_DEP_2)
	v_cmpx_ne_u32_e32 0x80, v4
	s_cbranch_execz .LBB259_624
; %bb.619:                              ;   in Loop: Header=BB259_12 Depth=1
	v_and_b32_e32 v25, 0x7f, v4
	v_mov_b32_e32 v121, 0x7c010000
	s_mov_b32 s20, exec_lo
	s_delay_alu instid0(VALU_DEP_2)
	v_cmpx_ne_u32_e32 0x7f, v25
	s_cbranch_execz .LBB259_623
; %bb.620:                              ;   in Loop: Header=BB259_12 Depth=1
	v_dual_lshrrev_b32 v24, 3, v25 :: v_dual_bitop2_b32 v9, 7, v4 bitop3:0x40
	s_mov_b32 s21, exec_lo
	v_cmpx_gt_u32_e32 8, v25
; %bb.621:                              ;   in Loop: Header=BB259_12 Depth=1
	s_delay_alu instid0(VALU_DEP_2) | instskip(NEXT) | instid1(VALU_DEP_1)
	v_clz_i32_u32_e32 v9, v9
	v_min_u32_e32 v9, 32, v9
	s_delay_alu instid0(VALU_DEP_1) | instskip(NEXT) | instid1(VALU_DEP_1)
	v_subrev_nc_u32_e32 v24, 28, v9
	v_lshlrev_b64_e32 v[38:39], v24, v[4:5]
	s_delay_alu instid0(VALU_DEP_1)
	v_dual_sub_nc_u32 v24, 29, v9 :: v_dual_bitop2_b32 v9, 7, v38 bitop3:0x40
; %bb.622:                              ;   in Loop: Header=BB259_12 Depth=1
	s_or_b32 exec_lo, exec_lo, s21
	s_delay_alu instid0(VALU_DEP_1) | instskip(NEXT) | instid1(VALU_DEP_2)
	v_dual_lshlrev_b32 v4, 8, v4 :: v_dual_lshlrev_b32 v9, 23, v9
	v_lshl_add_u32 v24, v24, 10, 0x2000
	s_delay_alu instid0(VALU_DEP_1) | instskip(NEXT) | instid1(VALU_DEP_1)
	v_and_or_b32 v4, 0x8000, v4, v24
	v_lshl_or_b32 v121, v4, 16, v9
.LBB259_623:                            ;   in Loop: Header=BB259_12 Depth=1
	s_or_b32 exec_lo, exec_lo, s20
.LBB259_624:                            ;   in Loop: Header=BB259_12 Depth=1
	s_delay_alu instid0(SALU_CYCLE_1)
	s_or_b32 exec_lo, exec_lo, s19
.LBB259_625:                            ;   in Loop: Header=BB259_12 Depth=1
	s_delay_alu instid0(SALU_CYCLE_1)
	s_or_b32 exec_lo, exec_lo, s18
	flat_load_b32 v38, v[36:37] offset:2312
	v_dual_mov_b32 v89, 0 :: v_dual_mov_b32 v90, 0
	s_mov_b32 s18, exec_lo
	s_wait_loadcnt_dscnt 0x0
	v_and_b32_e32 v4, 0xff, v38
	s_wait_xcnt 0x0
	s_delay_alu instid0(VALU_DEP_1)
	v_cmpx_ne_u16_e32 0, v4
	s_cbranch_execz .LBB259_633
; %bb.626:                              ;   in Loop: Header=BB259_12 Depth=1
	v_mov_b32_e32 v90, 0x8000
	s_mov_b32 s19, exec_lo
	v_cmpx_ne_u16_e32 0x80, v4
	s_cbranch_execz .LBB259_632
; %bb.627:                              ;   in Loop: Header=BB259_12 Depth=1
	v_and_b32_e32 v24, 0x7f, v38
	v_mov_b32_e32 v90, 0x7c01
	s_mov_b32 s20, exec_lo
	s_delay_alu instid0(VALU_DEP_2)
	v_cmpx_ne_u32_e32 0x7f, v24
	s_cbranch_execz .LBB259_631
; %bb.628:                              ;   in Loop: Header=BB259_12 Depth=1
	v_dual_lshrrev_b32 v9, 3, v24 :: v_dual_bitop2_b32 v4, 7, v38 bitop3:0x40
	s_mov_b32 s21, exec_lo
	v_cmpx_gt_u32_e32 8, v24
; %bb.629:                              ;   in Loop: Header=BB259_12 Depth=1
	s_delay_alu instid0(VALU_DEP_2) | instskip(NEXT) | instid1(VALU_DEP_1)
	v_clz_i32_u32_e32 v4, v4
	v_min_u32_e32 v4, 32, v4
	s_delay_alu instid0(VALU_DEP_1) | instskip(NEXT) | instid1(VALU_DEP_1)
	v_subrev_nc_u32_e32 v9, 28, v4
	v_lshlrev_b64_e32 v[24:25], v9, v[38:39]
	v_sub_nc_u32_e32 v9, 29, v4
	s_delay_alu instid0(VALU_DEP_2)
	v_and_b32_e32 v4, 7, v24
; %bb.630:                              ;   in Loop: Header=BB259_12 Depth=1
	s_or_b32 exec_lo, exec_lo, s21
	s_delay_alu instid0(VALU_DEP_1) | instskip(NEXT) | instid1(VALU_DEP_3)
	v_dual_lshlrev_b32 v24, 8, v38 :: v_dual_lshlrev_b32 v4, 7, v4
	v_lshl_add_u32 v9, v9, 10, 0x2000
	s_delay_alu instid0(VALU_DEP_2) | instskip(NEXT) | instid1(VALU_DEP_2)
	v_and_b32_e32 v24, 0x8000, v24
	v_and_b32_e32 v9, 0xfc00, v9
	s_delay_alu instid0(VALU_DEP_1)
	v_or3_b32 v90, v24, v9, v4
.LBB259_631:                            ;   in Loop: Header=BB259_12 Depth=1
	s_or_b32 exec_lo, exec_lo, s20
.LBB259_632:                            ;   in Loop: Header=BB259_12 Depth=1
	s_delay_alu instid0(SALU_CYCLE_1)
	s_or_b32 exec_lo, exec_lo, s19
.LBB259_633:                            ;   in Loop: Header=BB259_12 Depth=1
	s_delay_alu instid0(SALU_CYCLE_1) | instskip(SKIP_2) | instid1(VALU_DEP_1)
	s_or_b32 exec_lo, exec_lo, s18
	v_lshrrev_b16 v4, 8, v38
	s_mov_b32 s18, exec_lo
	v_cmpx_ne_u16_e32 0, v4
	s_cbranch_execz .LBB259_641
; %bb.634:                              ;   in Loop: Header=BB259_12 Depth=1
	v_bfrev_b32_e32 v89, 1
	s_mov_b32 s19, exec_lo
	v_cmpx_ne_u16_e32 0x80, v4
	s_cbranch_execz .LBB259_640
; %bb.635:                              ;   in Loop: Header=BB259_12 Depth=1
	v_and_b32_e32 v9, 0xffff, v4
	v_mov_b32_e32 v89, 0x7c010000
	s_mov_b32 s20, exec_lo
	s_delay_alu instid0(VALU_DEP_2) | instskip(NEXT) | instid1(VALU_DEP_1)
	v_and_b32_e32 v39, 0x7f, v9
	v_cmpx_ne_u32_e32 0x7f, v39
	s_cbranch_execz .LBB259_639
; %bb.636:                              ;   in Loop: Header=BB259_12 Depth=1
	v_dual_lshrrev_b32 v25, 3, v39 :: v_dual_bitop2_b32 v24, 7, v9 bitop3:0x40
	s_mov_b32 s21, exec_lo
	v_cmpx_gt_u32_e32 8, v39
; %bb.637:                              ;   in Loop: Header=BB259_12 Depth=1
	s_delay_alu instid0(VALU_DEP_2) | instskip(NEXT) | instid1(VALU_DEP_1)
	v_clz_i32_u32_e32 v24, v24
	v_min_u32_e32 v32, 32, v24
	s_delay_alu instid0(VALU_DEP_1) | instskip(NEXT) | instid1(VALU_DEP_1)
	v_subrev_nc_u32_e32 v24, 28, v32
	v_lshlrev_b64_e32 v[24:25], v24, v[4:5]
	v_sub_nc_u32_e32 v25, 29, v32
	s_delay_alu instid0(VALU_DEP_2)
	v_and_b32_e32 v24, 7, v24
; %bb.638:                              ;   in Loop: Header=BB259_12 Depth=1
	s_or_b32 exec_lo, exec_lo, s21
	v_lshlrev_b32_e32 v4, 8, v9
	s_delay_alu instid0(VALU_DEP_3) | instskip(NEXT) | instid1(VALU_DEP_1)
	v_lshl_add_u32 v9, v25, 10, 0x2000
	v_and_or_b32 v4, 0x8000, v4, v9
	v_lshlrev_b32_e32 v9, 23, v24
	s_delay_alu instid0(VALU_DEP_1)
	v_lshl_or_b32 v89, v4, 16, v9
.LBB259_639:                            ;   in Loop: Header=BB259_12 Depth=1
	s_or_b32 exec_lo, exec_lo, s20
.LBB259_640:                            ;   in Loop: Header=BB259_12 Depth=1
	s_delay_alu instid0(SALU_CYCLE_1)
	s_or_b32 exec_lo, exec_lo, s19
.LBB259_641:                            ;   in Loop: Header=BB259_12 Depth=1
	s_delay_alu instid0(SALU_CYCLE_1) | instskip(SKIP_3) | instid1(VALU_DEP_2)
	s_or_b32 exec_lo, exec_lo, s18
	v_dual_mov_b32 v107, 0 :: v_dual_lshrrev_b32 v4, 16, v38
	v_mov_b32_e32 v108, 0
	s_mov_b32 s18, exec_lo
	v_and_b32_e32 v9, 0xff, v4
	s_delay_alu instid0(VALU_DEP_1)
	v_cmpx_ne_u16_e32 0, v9
	s_cbranch_execz .LBB259_649
; %bb.642:                              ;   in Loop: Header=BB259_12 Depth=1
	v_mov_b32_e32 v108, 0x8000
	s_mov_b32 s19, exec_lo
	v_cmpx_ne_u16_e32 0x80, v9
	s_cbranch_execz .LBB259_648
; %bb.643:                              ;   in Loop: Header=BB259_12 Depth=1
	v_bfe_u32 v25, v38, 16, 7
	v_mov_b32_e32 v108, 0x7c01
	s_mov_b32 s20, exec_lo
	s_delay_alu instid0(VALU_DEP_2)
	v_cmpx_ne_u32_e32 0x7f, v25
	s_cbranch_execz .LBB259_647
; %bb.644:                              ;   in Loop: Header=BB259_12 Depth=1
	v_dual_lshrrev_b32 v24, 3, v25 :: v_dual_bitop2_b32 v9, 7, v4 bitop3:0x40
	s_mov_b32 s21, exec_lo
	v_cmpx_gt_u32_e32 8, v25
; %bb.645:                              ;   in Loop: Header=BB259_12 Depth=1
	s_delay_alu instid0(VALU_DEP_2) | instskip(NEXT) | instid1(VALU_DEP_1)
	v_clz_i32_u32_e32 v9, v9
	v_min_u32_e32 v9, 32, v9
	s_delay_alu instid0(VALU_DEP_1) | instskip(NEXT) | instid1(VALU_DEP_1)
	v_subrev_nc_u32_e32 v24, 28, v9
	v_lshlrev_b64_e32 v[56:57], v24, v[4:5]
	s_delay_alu instid0(VALU_DEP_1)
	v_dual_sub_nc_u32 v24, 29, v9 :: v_dual_bitop2_b32 v9, 7, v56 bitop3:0x40
; %bb.646:                              ;   in Loop: Header=BB259_12 Depth=1
	s_or_b32 exec_lo, exec_lo, s21
	s_delay_alu instid0(VALU_DEP_1) | instskip(NEXT) | instid1(VALU_DEP_2)
	v_dual_lshlrev_b32 v4, 8, v4 :: v_dual_lshlrev_b32 v9, 7, v9
	v_lshl_add_u32 v24, v24, 10, 0x2000
	s_delay_alu instid0(VALU_DEP_2) | instskip(NEXT) | instid1(VALU_DEP_2)
	v_and_b32_e32 v4, 0x8000, v4
	v_and_b32_e32 v24, 0xfc00, v24
	s_delay_alu instid0(VALU_DEP_1)
	v_or3_b32 v108, v4, v24, v9
.LBB259_647:                            ;   in Loop: Header=BB259_12 Depth=1
	s_or_b32 exec_lo, exec_lo, s20
.LBB259_648:                            ;   in Loop: Header=BB259_12 Depth=1
	s_delay_alu instid0(SALU_CYCLE_1)
	s_or_b32 exec_lo, exec_lo, s19
.LBB259_649:                            ;   in Loop: Header=BB259_12 Depth=1
	s_delay_alu instid0(SALU_CYCLE_1) | instskip(NEXT) | instid1(SALU_CYCLE_1)
	s_or_b32 exec_lo, exec_lo, s18
	s_mov_b32 s18, exec_lo
	v_cmpx_lt_u32_e32 0xffffff, v38
	s_cbranch_execz .LBB259_657
; %bb.650:                              ;   in Loop: Header=BB259_12 Depth=1
	v_lshrrev_b32_e32 v4, 24, v38
	v_bfrev_b32_e32 v107, 1
	s_mov_b32 s19, exec_lo
	s_delay_alu instid0(VALU_DEP_2)
	v_cmpx_ne_u32_e32 0x80, v4
	s_cbranch_execz .LBB259_656
; %bb.651:                              ;   in Loop: Header=BB259_12 Depth=1
	v_and_b32_e32 v25, 0x7f, v4
	v_mov_b32_e32 v107, 0x7c010000
	s_mov_b32 s20, exec_lo
	s_delay_alu instid0(VALU_DEP_2)
	v_cmpx_ne_u32_e32 0x7f, v25
	s_cbranch_execz .LBB259_655
; %bb.652:                              ;   in Loop: Header=BB259_12 Depth=1
	v_dual_lshrrev_b32 v24, 3, v25 :: v_dual_bitop2_b32 v9, 7, v4 bitop3:0x40
	s_mov_b32 s21, exec_lo
	v_cmpx_gt_u32_e32 8, v25
; %bb.653:                              ;   in Loop: Header=BB259_12 Depth=1
	s_delay_alu instid0(VALU_DEP_2) | instskip(NEXT) | instid1(VALU_DEP_1)
	v_clz_i32_u32_e32 v9, v9
	v_min_u32_e32 v9, 32, v9
	s_delay_alu instid0(VALU_DEP_1) | instskip(NEXT) | instid1(VALU_DEP_1)
	v_subrev_nc_u32_e32 v24, 28, v9
	v_lshlrev_b64_e32 v[38:39], v24, v[4:5]
	s_delay_alu instid0(VALU_DEP_1)
	v_dual_sub_nc_u32 v24, 29, v9 :: v_dual_bitop2_b32 v9, 7, v38 bitop3:0x40
; %bb.654:                              ;   in Loop: Header=BB259_12 Depth=1
	s_or_b32 exec_lo, exec_lo, s21
	s_delay_alu instid0(VALU_DEP_1) | instskip(NEXT) | instid1(VALU_DEP_2)
	v_dual_lshlrev_b32 v4, 8, v4 :: v_dual_lshlrev_b32 v9, 23, v9
	v_lshl_add_u32 v24, v24, 10, 0x2000
	s_delay_alu instid0(VALU_DEP_1) | instskip(NEXT) | instid1(VALU_DEP_1)
	v_and_or_b32 v4, 0x8000, v4, v24
	v_lshl_or_b32 v107, v4, 16, v9
.LBB259_655:                            ;   in Loop: Header=BB259_12 Depth=1
	s_or_b32 exec_lo, exec_lo, s20
.LBB259_656:                            ;   in Loop: Header=BB259_12 Depth=1
	s_delay_alu instid0(SALU_CYCLE_1)
	s_or_b32 exec_lo, exec_lo, s19
.LBB259_657:                            ;   in Loop: Header=BB259_12 Depth=1
	s_delay_alu instid0(SALU_CYCLE_1)
	s_or_b32 exec_lo, exec_lo, s18
	flat_load_b32 v38, v[36:37] offset:2560
	v_dual_mov_b32 v77, 0 :: v_dual_mov_b32 v88, 0
	s_mov_b32 s18, exec_lo
	s_wait_loadcnt_dscnt 0x0
	v_and_b32_e32 v4, 0xff, v38
	s_wait_xcnt 0x0
	s_delay_alu instid0(VALU_DEP_1)
	v_cmpx_ne_u16_e32 0, v4
	s_cbranch_execz .LBB259_665
; %bb.658:                              ;   in Loop: Header=BB259_12 Depth=1
	v_mov_b32_e32 v88, 0x8000
	s_mov_b32 s19, exec_lo
	v_cmpx_ne_u16_e32 0x80, v4
	s_cbranch_execz .LBB259_664
; %bb.659:                              ;   in Loop: Header=BB259_12 Depth=1
	v_and_b32_e32 v24, 0x7f, v38
	v_mov_b32_e32 v88, 0x7c01
	s_mov_b32 s20, exec_lo
	s_delay_alu instid0(VALU_DEP_2)
	v_cmpx_ne_u32_e32 0x7f, v24
	s_cbranch_execz .LBB259_663
; %bb.660:                              ;   in Loop: Header=BB259_12 Depth=1
	v_dual_lshrrev_b32 v9, 3, v24 :: v_dual_bitop2_b32 v4, 7, v38 bitop3:0x40
	s_mov_b32 s21, exec_lo
	v_cmpx_gt_u32_e32 8, v24
; %bb.661:                              ;   in Loop: Header=BB259_12 Depth=1
	s_delay_alu instid0(VALU_DEP_2) | instskip(NEXT) | instid1(VALU_DEP_1)
	v_clz_i32_u32_e32 v4, v4
	v_min_u32_e32 v4, 32, v4
	s_delay_alu instid0(VALU_DEP_1) | instskip(NEXT) | instid1(VALU_DEP_1)
	v_subrev_nc_u32_e32 v9, 28, v4
	v_lshlrev_b64_e32 v[24:25], v9, v[38:39]
	v_sub_nc_u32_e32 v9, 29, v4
	s_delay_alu instid0(VALU_DEP_2)
	v_and_b32_e32 v4, 7, v24
; %bb.662:                              ;   in Loop: Header=BB259_12 Depth=1
	s_or_b32 exec_lo, exec_lo, s21
	s_delay_alu instid0(VALU_DEP_1) | instskip(NEXT) | instid1(VALU_DEP_3)
	v_dual_lshlrev_b32 v24, 8, v38 :: v_dual_lshlrev_b32 v4, 7, v4
	v_lshl_add_u32 v9, v9, 10, 0x2000
	s_delay_alu instid0(VALU_DEP_2) | instskip(NEXT) | instid1(VALU_DEP_2)
	v_and_b32_e32 v24, 0x8000, v24
	v_and_b32_e32 v9, 0xfc00, v9
	s_delay_alu instid0(VALU_DEP_1)
	v_or3_b32 v88, v24, v9, v4
.LBB259_663:                            ;   in Loop: Header=BB259_12 Depth=1
	s_or_b32 exec_lo, exec_lo, s20
.LBB259_664:                            ;   in Loop: Header=BB259_12 Depth=1
	s_delay_alu instid0(SALU_CYCLE_1)
	s_or_b32 exec_lo, exec_lo, s19
.LBB259_665:                            ;   in Loop: Header=BB259_12 Depth=1
	s_delay_alu instid0(SALU_CYCLE_1) | instskip(SKIP_2) | instid1(VALU_DEP_1)
	s_or_b32 exec_lo, exec_lo, s18
	v_lshrrev_b16 v4, 8, v38
	s_mov_b32 s18, exec_lo
	v_cmpx_ne_u16_e32 0, v4
	s_cbranch_execz .LBB259_673
; %bb.666:                              ;   in Loop: Header=BB259_12 Depth=1
	v_bfrev_b32_e32 v77, 1
	s_mov_b32 s19, exec_lo
	v_cmpx_ne_u16_e32 0x80, v4
	s_cbranch_execz .LBB259_672
; %bb.667:                              ;   in Loop: Header=BB259_12 Depth=1
	v_and_b32_e32 v9, 0xffff, v4
	v_mov_b32_e32 v77, 0x7c010000
	s_mov_b32 s20, exec_lo
	s_delay_alu instid0(VALU_DEP_2) | instskip(NEXT) | instid1(VALU_DEP_1)
	v_and_b32_e32 v39, 0x7f, v9
	v_cmpx_ne_u32_e32 0x7f, v39
	s_cbranch_execz .LBB259_671
; %bb.668:                              ;   in Loop: Header=BB259_12 Depth=1
	v_dual_lshrrev_b32 v25, 3, v39 :: v_dual_bitop2_b32 v24, 7, v9 bitop3:0x40
	s_mov_b32 s21, exec_lo
	v_cmpx_gt_u32_e32 8, v39
; %bb.669:                              ;   in Loop: Header=BB259_12 Depth=1
	s_delay_alu instid0(VALU_DEP_2) | instskip(NEXT) | instid1(VALU_DEP_1)
	v_clz_i32_u32_e32 v24, v24
	v_min_u32_e32 v32, 32, v24
	s_delay_alu instid0(VALU_DEP_1) | instskip(NEXT) | instid1(VALU_DEP_1)
	v_subrev_nc_u32_e32 v24, 28, v32
	v_lshlrev_b64_e32 v[24:25], v24, v[4:5]
	v_sub_nc_u32_e32 v25, 29, v32
	s_delay_alu instid0(VALU_DEP_2)
	v_and_b32_e32 v24, 7, v24
; %bb.670:                              ;   in Loop: Header=BB259_12 Depth=1
	s_or_b32 exec_lo, exec_lo, s21
	v_lshlrev_b32_e32 v4, 8, v9
	s_delay_alu instid0(VALU_DEP_3) | instskip(NEXT) | instid1(VALU_DEP_1)
	v_lshl_add_u32 v9, v25, 10, 0x2000
	v_and_or_b32 v4, 0x8000, v4, v9
	v_lshlrev_b32_e32 v9, 23, v24
	s_delay_alu instid0(VALU_DEP_1)
	v_lshl_or_b32 v77, v4, 16, v9
.LBB259_671:                            ;   in Loop: Header=BB259_12 Depth=1
	s_or_b32 exec_lo, exec_lo, s20
.LBB259_672:                            ;   in Loop: Header=BB259_12 Depth=1
	s_delay_alu instid0(SALU_CYCLE_1)
	s_or_b32 exec_lo, exec_lo, s19
.LBB259_673:                            ;   in Loop: Header=BB259_12 Depth=1
	s_delay_alu instid0(SALU_CYCLE_1) | instskip(SKIP_3) | instid1(VALU_DEP_2)
	s_or_b32 exec_lo, exec_lo, s18
	v_dual_mov_b32 v91, 0 :: v_dual_lshrrev_b32 v4, 16, v38
	v_mov_b32_e32 v94, 0
	s_mov_b32 s18, exec_lo
	v_and_b32_e32 v9, 0xff, v4
	s_delay_alu instid0(VALU_DEP_1)
	v_cmpx_ne_u16_e32 0, v9
	s_cbranch_execz .LBB259_681
; %bb.674:                              ;   in Loop: Header=BB259_12 Depth=1
	v_mov_b32_e32 v94, 0x8000
	s_mov_b32 s19, exec_lo
	v_cmpx_ne_u16_e32 0x80, v9
	s_cbranch_execz .LBB259_680
; %bb.675:                              ;   in Loop: Header=BB259_12 Depth=1
	v_bfe_u32 v25, v38, 16, 7
	v_mov_b32_e32 v94, 0x7c01
	s_mov_b32 s20, exec_lo
	s_delay_alu instid0(VALU_DEP_2)
	v_cmpx_ne_u32_e32 0x7f, v25
	s_cbranch_execz .LBB259_679
; %bb.676:                              ;   in Loop: Header=BB259_12 Depth=1
	v_dual_lshrrev_b32 v24, 3, v25 :: v_dual_bitop2_b32 v9, 7, v4 bitop3:0x40
	s_mov_b32 s21, exec_lo
	v_cmpx_gt_u32_e32 8, v25
; %bb.677:                              ;   in Loop: Header=BB259_12 Depth=1
	s_delay_alu instid0(VALU_DEP_2) | instskip(NEXT) | instid1(VALU_DEP_1)
	v_clz_i32_u32_e32 v9, v9
	v_min_u32_e32 v9, 32, v9
	s_delay_alu instid0(VALU_DEP_1) | instskip(NEXT) | instid1(VALU_DEP_1)
	v_subrev_nc_u32_e32 v24, 28, v9
	v_lshlrev_b64_e32 v[56:57], v24, v[4:5]
	s_delay_alu instid0(VALU_DEP_1)
	v_dual_sub_nc_u32 v24, 29, v9 :: v_dual_bitop2_b32 v9, 7, v56 bitop3:0x40
; %bb.678:                              ;   in Loop: Header=BB259_12 Depth=1
	s_or_b32 exec_lo, exec_lo, s21
	s_delay_alu instid0(VALU_DEP_1) | instskip(NEXT) | instid1(VALU_DEP_2)
	v_dual_lshlrev_b32 v4, 8, v4 :: v_dual_lshlrev_b32 v9, 7, v9
	v_lshl_add_u32 v24, v24, 10, 0x2000
	s_delay_alu instid0(VALU_DEP_2) | instskip(NEXT) | instid1(VALU_DEP_2)
	v_and_b32_e32 v4, 0x8000, v4
	v_and_b32_e32 v24, 0xfc00, v24
	s_delay_alu instid0(VALU_DEP_1)
	v_or3_b32 v94, v4, v24, v9
.LBB259_679:                            ;   in Loop: Header=BB259_12 Depth=1
	s_or_b32 exec_lo, exec_lo, s20
.LBB259_680:                            ;   in Loop: Header=BB259_12 Depth=1
	s_delay_alu instid0(SALU_CYCLE_1)
	s_or_b32 exec_lo, exec_lo, s19
.LBB259_681:                            ;   in Loop: Header=BB259_12 Depth=1
	s_delay_alu instid0(SALU_CYCLE_1) | instskip(NEXT) | instid1(SALU_CYCLE_1)
	s_or_b32 exec_lo, exec_lo, s18
	s_mov_b32 s18, exec_lo
	v_cmpx_lt_u32_e32 0xffffff, v38
	s_cbranch_execz .LBB259_689
; %bb.682:                              ;   in Loop: Header=BB259_12 Depth=1
	v_lshrrev_b32_e32 v4, 24, v38
	v_bfrev_b32_e32 v91, 1
	s_mov_b32 s19, exec_lo
	s_delay_alu instid0(VALU_DEP_2)
	v_cmpx_ne_u32_e32 0x80, v4
	s_cbranch_execz .LBB259_688
; %bb.683:                              ;   in Loop: Header=BB259_12 Depth=1
	v_and_b32_e32 v25, 0x7f, v4
	v_mov_b32_e32 v91, 0x7c010000
	s_mov_b32 s20, exec_lo
	s_delay_alu instid0(VALU_DEP_2)
	v_cmpx_ne_u32_e32 0x7f, v25
	s_cbranch_execz .LBB259_687
; %bb.684:                              ;   in Loop: Header=BB259_12 Depth=1
	v_dual_lshrrev_b32 v24, 3, v25 :: v_dual_bitop2_b32 v9, 7, v4 bitop3:0x40
	s_mov_b32 s21, exec_lo
	v_cmpx_gt_u32_e32 8, v25
; %bb.685:                              ;   in Loop: Header=BB259_12 Depth=1
	s_delay_alu instid0(VALU_DEP_2) | instskip(NEXT) | instid1(VALU_DEP_1)
	v_clz_i32_u32_e32 v9, v9
	v_min_u32_e32 v9, 32, v9
	s_delay_alu instid0(VALU_DEP_1) | instskip(NEXT) | instid1(VALU_DEP_1)
	v_subrev_nc_u32_e32 v24, 28, v9
	v_lshlrev_b64_e32 v[38:39], v24, v[4:5]
	s_delay_alu instid0(VALU_DEP_1)
	v_dual_sub_nc_u32 v24, 29, v9 :: v_dual_bitop2_b32 v9, 7, v38 bitop3:0x40
; %bb.686:                              ;   in Loop: Header=BB259_12 Depth=1
	s_or_b32 exec_lo, exec_lo, s21
	s_delay_alu instid0(VALU_DEP_1) | instskip(NEXT) | instid1(VALU_DEP_2)
	v_dual_lshlrev_b32 v4, 8, v4 :: v_dual_lshlrev_b32 v9, 23, v9
	v_lshl_add_u32 v24, v24, 10, 0x2000
	s_delay_alu instid0(VALU_DEP_1) | instskip(NEXT) | instid1(VALU_DEP_1)
	v_and_or_b32 v4, 0x8000, v4, v24
	v_lshl_or_b32 v91, v4, 16, v9
.LBB259_687:                            ;   in Loop: Header=BB259_12 Depth=1
	s_or_b32 exec_lo, exec_lo, s20
.LBB259_688:                            ;   in Loop: Header=BB259_12 Depth=1
	s_delay_alu instid0(SALU_CYCLE_1)
	s_or_b32 exec_lo, exec_lo, s19
.LBB259_689:                            ;   in Loop: Header=BB259_12 Depth=1
	s_delay_alu instid0(SALU_CYCLE_1)
	s_or_b32 exec_lo, exec_lo, s18
	flat_load_b32 v38, v[36:37] offset:2568
	v_dual_mov_b32 v61, 0 :: v_dual_mov_b32 v62, 0
	s_mov_b32 s18, exec_lo
	s_wait_loadcnt_dscnt 0x0
	v_and_b32_e32 v4, 0xff, v38
	s_wait_xcnt 0x0
	s_delay_alu instid0(VALU_DEP_1)
	v_cmpx_ne_u16_e32 0, v4
	s_cbranch_execz .LBB259_697
; %bb.690:                              ;   in Loop: Header=BB259_12 Depth=1
	v_mov_b32_e32 v62, 0x8000
	s_mov_b32 s19, exec_lo
	v_cmpx_ne_u16_e32 0x80, v4
	s_cbranch_execz .LBB259_696
; %bb.691:                              ;   in Loop: Header=BB259_12 Depth=1
	v_and_b32_e32 v24, 0x7f, v38
	v_mov_b32_e32 v62, 0x7c01
	s_mov_b32 s20, exec_lo
	s_delay_alu instid0(VALU_DEP_2)
	v_cmpx_ne_u32_e32 0x7f, v24
	s_cbranch_execz .LBB259_695
; %bb.692:                              ;   in Loop: Header=BB259_12 Depth=1
	v_dual_lshrrev_b32 v9, 3, v24 :: v_dual_bitop2_b32 v4, 7, v38 bitop3:0x40
	s_mov_b32 s21, exec_lo
	v_cmpx_gt_u32_e32 8, v24
; %bb.693:                              ;   in Loop: Header=BB259_12 Depth=1
	s_delay_alu instid0(VALU_DEP_2) | instskip(NEXT) | instid1(VALU_DEP_1)
	v_clz_i32_u32_e32 v4, v4
	v_min_u32_e32 v4, 32, v4
	s_delay_alu instid0(VALU_DEP_1) | instskip(NEXT) | instid1(VALU_DEP_1)
	v_subrev_nc_u32_e32 v9, 28, v4
	v_lshlrev_b64_e32 v[24:25], v9, v[38:39]
	v_sub_nc_u32_e32 v9, 29, v4
	s_delay_alu instid0(VALU_DEP_2)
	v_and_b32_e32 v4, 7, v24
; %bb.694:                              ;   in Loop: Header=BB259_12 Depth=1
	s_or_b32 exec_lo, exec_lo, s21
	s_delay_alu instid0(VALU_DEP_1) | instskip(NEXT) | instid1(VALU_DEP_3)
	v_dual_lshlrev_b32 v24, 8, v38 :: v_dual_lshlrev_b32 v4, 7, v4
	v_lshl_add_u32 v9, v9, 10, 0x2000
	s_delay_alu instid0(VALU_DEP_2) | instskip(NEXT) | instid1(VALU_DEP_2)
	v_and_b32_e32 v24, 0x8000, v24
	v_and_b32_e32 v9, 0xfc00, v9
	s_delay_alu instid0(VALU_DEP_1)
	v_or3_b32 v62, v24, v9, v4
.LBB259_695:                            ;   in Loop: Header=BB259_12 Depth=1
	s_or_b32 exec_lo, exec_lo, s20
.LBB259_696:                            ;   in Loop: Header=BB259_12 Depth=1
	s_delay_alu instid0(SALU_CYCLE_1)
	s_or_b32 exec_lo, exec_lo, s19
.LBB259_697:                            ;   in Loop: Header=BB259_12 Depth=1
	s_delay_alu instid0(SALU_CYCLE_1) | instskip(SKIP_2) | instid1(VALU_DEP_1)
	s_or_b32 exec_lo, exec_lo, s18
	v_lshrrev_b16 v4, 8, v38
	s_mov_b32 s18, exec_lo
	v_cmpx_ne_u16_e32 0, v4
	s_cbranch_execz .LBB259_705
; %bb.698:                              ;   in Loop: Header=BB259_12 Depth=1
	v_bfrev_b32_e32 v61, 1
	s_mov_b32 s19, exec_lo
	v_cmpx_ne_u16_e32 0x80, v4
	s_cbranch_execz .LBB259_704
; %bb.699:                              ;   in Loop: Header=BB259_12 Depth=1
	v_and_b32_e32 v9, 0xffff, v4
	v_mov_b32_e32 v61, 0x7c010000
	s_mov_b32 s20, exec_lo
	s_delay_alu instid0(VALU_DEP_2) | instskip(NEXT) | instid1(VALU_DEP_1)
	v_and_b32_e32 v39, 0x7f, v9
	v_cmpx_ne_u32_e32 0x7f, v39
	s_cbranch_execz .LBB259_703
; %bb.700:                              ;   in Loop: Header=BB259_12 Depth=1
	v_dual_lshrrev_b32 v25, 3, v39 :: v_dual_bitop2_b32 v24, 7, v9 bitop3:0x40
	s_mov_b32 s21, exec_lo
	v_cmpx_gt_u32_e32 8, v39
; %bb.701:                              ;   in Loop: Header=BB259_12 Depth=1
	s_delay_alu instid0(VALU_DEP_2) | instskip(NEXT) | instid1(VALU_DEP_1)
	v_clz_i32_u32_e32 v24, v24
	v_min_u32_e32 v32, 32, v24
	s_delay_alu instid0(VALU_DEP_1) | instskip(NEXT) | instid1(VALU_DEP_1)
	v_subrev_nc_u32_e32 v24, 28, v32
	v_lshlrev_b64_e32 v[24:25], v24, v[4:5]
	v_sub_nc_u32_e32 v25, 29, v32
	s_delay_alu instid0(VALU_DEP_2)
	v_and_b32_e32 v24, 7, v24
; %bb.702:                              ;   in Loop: Header=BB259_12 Depth=1
	s_or_b32 exec_lo, exec_lo, s21
	v_lshlrev_b32_e32 v4, 8, v9
	s_delay_alu instid0(VALU_DEP_3) | instskip(NEXT) | instid1(VALU_DEP_1)
	v_lshl_add_u32 v9, v25, 10, 0x2000
	v_and_or_b32 v4, 0x8000, v4, v9
	v_lshlrev_b32_e32 v9, 23, v24
	s_delay_alu instid0(VALU_DEP_1)
	v_lshl_or_b32 v61, v4, 16, v9
.LBB259_703:                            ;   in Loop: Header=BB259_12 Depth=1
	s_or_b32 exec_lo, exec_lo, s20
.LBB259_704:                            ;   in Loop: Header=BB259_12 Depth=1
	s_delay_alu instid0(SALU_CYCLE_1)
	s_or_b32 exec_lo, exec_lo, s19
.LBB259_705:                            ;   in Loop: Header=BB259_12 Depth=1
	s_delay_alu instid0(SALU_CYCLE_1) | instskip(SKIP_3) | instid1(VALU_DEP_2)
	s_or_b32 exec_lo, exec_lo, s18
	v_dual_mov_b32 v39, 0 :: v_dual_lshrrev_b32 v4, 16, v38
	v_mov_b32_e32 v9, 0
	s_mov_b32 s18, exec_lo
	v_and_b32_e32 v24, 0xff, v4
	s_delay_alu instid0(VALU_DEP_1)
	v_cmpx_ne_u16_e32 0, v24
	s_cbranch_execz .LBB259_713
; %bb.706:                              ;   in Loop: Header=BB259_12 Depth=1
	v_mov_b32_e32 v9, 0x8000
	s_mov_b32 s19, exec_lo
	v_cmpx_ne_u16_e32 0x80, v24
	s_cbranch_execz .LBB259_712
; %bb.707:                              ;   in Loop: Header=BB259_12 Depth=1
	v_bfe_u32 v25, v38, 16, 7
	v_mov_b32_e32 v9, 0x7c01
	s_mov_b32 s20, exec_lo
	s_delay_alu instid0(VALU_DEP_2)
	v_cmpx_ne_u32_e32 0x7f, v25
	s_cbranch_execz .LBB259_711
; %bb.708:                              ;   in Loop: Header=BB259_12 Depth=1
	v_dual_lshrrev_b32 v24, 3, v25 :: v_dual_bitop2_b32 v9, 7, v4 bitop3:0x40
	s_mov_b32 s21, exec_lo
	v_cmpx_gt_u32_e32 8, v25
; %bb.709:                              ;   in Loop: Header=BB259_12 Depth=1
	s_delay_alu instid0(VALU_DEP_2) | instskip(NEXT) | instid1(VALU_DEP_1)
	v_clz_i32_u32_e32 v9, v9
	v_min_u32_e32 v9, 32, v9
	s_delay_alu instid0(VALU_DEP_1) | instskip(NEXT) | instid1(VALU_DEP_1)
	v_subrev_nc_u32_e32 v24, 28, v9
	v_lshlrev_b64_e32 v[56:57], v24, v[4:5]
	s_delay_alu instid0(VALU_DEP_1)
	v_dual_sub_nc_u32 v24, 29, v9 :: v_dual_bitop2_b32 v9, 7, v56 bitop3:0x40
; %bb.710:                              ;   in Loop: Header=BB259_12 Depth=1
	s_or_b32 exec_lo, exec_lo, s21
	s_delay_alu instid0(VALU_DEP_1) | instskip(NEXT) | instid1(VALU_DEP_2)
	v_dual_lshlrev_b32 v4, 8, v4 :: v_dual_lshlrev_b32 v9, 7, v9
	v_lshl_add_u32 v24, v24, 10, 0x2000
	s_delay_alu instid0(VALU_DEP_2) | instskip(NEXT) | instid1(VALU_DEP_2)
	v_and_b32_e32 v4, 0x8000, v4
	v_and_b32_e32 v24, 0xfc00, v24
	s_delay_alu instid0(VALU_DEP_1)
	v_or3_b32 v9, v4, v24, v9
.LBB259_711:                            ;   in Loop: Header=BB259_12 Depth=1
	s_or_b32 exec_lo, exec_lo, s20
.LBB259_712:                            ;   in Loop: Header=BB259_12 Depth=1
	s_delay_alu instid0(SALU_CYCLE_1)
	s_or_b32 exec_lo, exec_lo, s19
.LBB259_713:                            ;   in Loop: Header=BB259_12 Depth=1
	s_delay_alu instid0(SALU_CYCLE_1) | instskip(NEXT) | instid1(SALU_CYCLE_1)
	s_or_b32 exec_lo, exec_lo, s18
	s_mov_b32 s18, exec_lo
	v_cmpx_lt_u32_e32 0xffffff, v38
	s_cbranch_execz .LBB259_721
; %bb.714:                              ;   in Loop: Header=BB259_12 Depth=1
	v_lshrrev_b32_e32 v4, 24, v38
	v_bfrev_b32_e32 v39, 1
	s_mov_b32 s19, exec_lo
	s_delay_alu instid0(VALU_DEP_2)
	v_cmpx_ne_u32_e32 0x80, v4
	s_cbranch_execz .LBB259_720
; %bb.715:                              ;   in Loop: Header=BB259_12 Depth=1
	v_and_b32_e32 v38, 0x7f, v4
	v_mov_b32_e32 v39, 0x7c010000
	s_mov_b32 s20, exec_lo
	s_delay_alu instid0(VALU_DEP_2)
	v_cmpx_ne_u32_e32 0x7f, v38
	s_cbranch_execz .LBB259_719
; %bb.716:                              ;   in Loop: Header=BB259_12 Depth=1
	v_dual_lshrrev_b32 v25, 3, v38 :: v_dual_bitop2_b32 v24, 7, v4 bitop3:0x40
	s_mov_b32 s21, exec_lo
	v_cmpx_gt_u32_e32 8, v38
; %bb.717:                              ;   in Loop: Header=BB259_12 Depth=1
	s_delay_alu instid0(VALU_DEP_2) | instskip(NEXT) | instid1(VALU_DEP_1)
	v_clz_i32_u32_e32 v24, v24
	v_min_u32_e32 v32, 32, v24
	s_delay_alu instid0(VALU_DEP_1) | instskip(NEXT) | instid1(VALU_DEP_1)
	v_subrev_nc_u32_e32 v24, 28, v32
	v_lshlrev_b64_e32 v[24:25], v24, v[4:5]
	v_sub_nc_u32_e32 v25, 29, v32
	s_delay_alu instid0(VALU_DEP_2)
	v_and_b32_e32 v24, 7, v24
; %bb.718:                              ;   in Loop: Header=BB259_12 Depth=1
	s_or_b32 exec_lo, exec_lo, s21
	v_lshlrev_b32_e32 v4, 8, v4
	s_delay_alu instid0(VALU_DEP_3) | instskip(NEXT) | instid1(VALU_DEP_3)
	v_lshl_add_u32 v25, v25, 10, 0x2000
	v_lshlrev_b32_e32 v24, 23, v24
	s_delay_alu instid0(VALU_DEP_2) | instskip(NEXT) | instid1(VALU_DEP_1)
	v_and_or_b32 v4, 0x8000, v4, v25
	v_lshl_or_b32 v39, v4, 16, v24
.LBB259_719:                            ;   in Loop: Header=BB259_12 Depth=1
	s_or_b32 exec_lo, exec_lo, s20
.LBB259_720:                            ;   in Loop: Header=BB259_12 Depth=1
	s_delay_alu instid0(SALU_CYCLE_1)
	s_or_b32 exec_lo, exec_lo, s19
.LBB259_721:                            ;   in Loop: Header=BB259_12 Depth=1
	s_delay_alu instid0(SALU_CYCLE_1)
	s_or_b32 exec_lo, exec_lo, s18
	flat_load_b32 v38, v[36:37] offset:2816
	v_dual_mov_b32 v47, 0 :: v_dual_mov_b32 v56, 0
	s_mov_b32 s18, exec_lo
	s_wait_loadcnt_dscnt 0x0
	v_and_b32_e32 v4, 0xff, v38
	s_wait_xcnt 0x0
	s_delay_alu instid0(VALU_DEP_1)
	v_cmpx_ne_u16_e32 0, v4
	s_cbranch_execz .LBB259_729
; %bb.722:                              ;   in Loop: Header=BB259_12 Depth=1
	v_mov_b32_e32 v56, 0x8000
	s_mov_b32 s19, exec_lo
	v_cmpx_ne_u16_e32 0x80, v4
	s_cbranch_execz .LBB259_728
; %bb.723:                              ;   in Loop: Header=BB259_12 Depth=1
	v_and_b32_e32 v25, 0x7f, v38
	v_mov_b32_e32 v56, 0x7c01
	s_mov_b32 s20, exec_lo
	s_delay_alu instid0(VALU_DEP_2)
	v_cmpx_ne_u32_e32 0x7f, v25
	s_cbranch_execz .LBB259_727
; %bb.724:                              ;   in Loop: Header=BB259_12 Depth=1
	v_dual_lshrrev_b32 v24, 3, v25 :: v_dual_bitop2_b32 v4, 7, v38 bitop3:0x40
	s_mov_b32 s21, exec_lo
	v_cmpx_gt_u32_e32 8, v25
; %bb.725:                              ;   in Loop: Header=BB259_12 Depth=1
	s_delay_alu instid0(VALU_DEP_2) | instskip(NEXT) | instid1(VALU_DEP_1)
	v_clz_i32_u32_e32 v4, v4
	v_min_u32_e32 v4, 32, v4
	s_delay_alu instid0(VALU_DEP_1) | instskip(NEXT) | instid1(VALU_DEP_1)
	v_subrev_nc_u32_e32 v24, 28, v4
	v_lshlrev_b64_e32 v[56:57], v24, v[38:39]
	v_sub_nc_u32_e32 v24, 29, v4
	s_delay_alu instid0(VALU_DEP_2)
	v_and_b32_e32 v4, 7, v56
; %bb.726:                              ;   in Loop: Header=BB259_12 Depth=1
	s_or_b32 exec_lo, exec_lo, s21
	s_delay_alu instid0(VALU_DEP_1) | instskip(NEXT) | instid1(VALU_DEP_3)
	v_dual_lshlrev_b32 v25, 8, v38 :: v_dual_lshlrev_b32 v4, 7, v4
	v_lshl_add_u32 v24, v24, 10, 0x2000
	s_delay_alu instid0(VALU_DEP_2) | instskip(NEXT) | instid1(VALU_DEP_2)
	v_and_b32_e32 v25, 0x8000, v25
	v_and_b32_e32 v24, 0xfc00, v24
	s_delay_alu instid0(VALU_DEP_1)
	v_or3_b32 v56, v25, v24, v4
.LBB259_727:                            ;   in Loop: Header=BB259_12 Depth=1
	s_or_b32 exec_lo, exec_lo, s20
.LBB259_728:                            ;   in Loop: Header=BB259_12 Depth=1
	s_delay_alu instid0(SALU_CYCLE_1)
	s_or_b32 exec_lo, exec_lo, s19
.LBB259_729:                            ;   in Loop: Header=BB259_12 Depth=1
	s_delay_alu instid0(SALU_CYCLE_1) | instskip(SKIP_2) | instid1(VALU_DEP_1)
	s_or_b32 exec_lo, exec_lo, s18
	v_lshrrev_b16 v4, 8, v38
	s_mov_b32 s18, exec_lo
	v_cmpx_ne_u16_e32 0, v4
	s_cbranch_execz .LBB259_737
; %bb.730:                              ;   in Loop: Header=BB259_12 Depth=1
	v_bfrev_b32_e32 v47, 1
	s_mov_b32 s19, exec_lo
	v_cmpx_ne_u16_e32 0x80, v4
	s_cbranch_execz .LBB259_736
; %bb.731:                              ;   in Loop: Header=BB259_12 Depth=1
	v_and_b32_e32 v24, 0xffff, v4
	v_mov_b32_e32 v47, 0x7c010000
	s_mov_b32 s20, exec_lo
	s_delay_alu instid0(VALU_DEP_2) | instskip(NEXT) | instid1(VALU_DEP_1)
	v_and_b32_e32 v57, 0x7f, v24
	v_cmpx_ne_u32_e32 0x7f, v57
	s_cbranch_execz .LBB259_735
; %bb.732:                              ;   in Loop: Header=BB259_12 Depth=1
	v_dual_lshrrev_b32 v52, 3, v57 :: v_dual_bitop2_b32 v25, 7, v24 bitop3:0x40
	s_mov_b32 s21, exec_lo
	v_cmpx_gt_u32_e32 8, v57
; %bb.733:                              ;   in Loop: Header=BB259_12 Depth=1
	s_delay_alu instid0(VALU_DEP_2) | instskip(NEXT) | instid1(VALU_DEP_1)
	v_clz_i32_u32_e32 v25, v25
	v_min_u32_e32 v25, 32, v25
	s_delay_alu instid0(VALU_DEP_1) | instskip(NEXT) | instid1(VALU_DEP_1)
	v_subrev_nc_u32_e32 v32, 28, v25
	v_lshlrev_b64_e32 v[32:33], v32, v[4:5]
	s_delay_alu instid0(VALU_DEP_1)
	v_dual_sub_nc_u32 v52, 29, v25 :: v_dual_bitop2_b32 v25, 7, v32 bitop3:0x40
; %bb.734:                              ;   in Loop: Header=BB259_12 Depth=1
	s_or_b32 exec_lo, exec_lo, s21
	v_lshlrev_b32_e32 v4, 8, v24
	s_delay_alu instid0(VALU_DEP_2) | instskip(NEXT) | instid1(VALU_DEP_1)
	v_lshl_add_u32 v24, v52, 10, 0x2000
	v_and_or_b32 v4, 0x8000, v4, v24
	v_lshlrev_b32_e32 v24, 23, v25
	s_delay_alu instid0(VALU_DEP_1)
	v_lshl_or_b32 v47, v4, 16, v24
.LBB259_735:                            ;   in Loop: Header=BB259_12 Depth=1
	s_or_b32 exec_lo, exec_lo, s20
.LBB259_736:                            ;   in Loop: Header=BB259_12 Depth=1
	s_delay_alu instid0(SALU_CYCLE_1)
	s_or_b32 exec_lo, exec_lo, s19
.LBB259_737:                            ;   in Loop: Header=BB259_12 Depth=1
	s_delay_alu instid0(SALU_CYCLE_1) | instskip(SKIP_3) | instid1(VALU_DEP_2)
	s_or_b32 exec_lo, exec_lo, s18
	v_dual_mov_b32 v63, 0 :: v_dual_lshrrev_b32 v4, 16, v38
	v_mov_b32_e32 v72, 0
	s_mov_b32 s18, exec_lo
	v_and_b32_e32 v24, 0xff, v4
	s_delay_alu instid0(VALU_DEP_1)
	v_cmpx_ne_u16_e32 0, v24
	s_cbranch_execz .LBB259_745
; %bb.738:                              ;   in Loop: Header=BB259_12 Depth=1
	v_mov_b32_e32 v72, 0x8000
	s_mov_b32 s19, exec_lo
	v_cmpx_ne_u16_e32 0x80, v24
	s_cbranch_execz .LBB259_744
; %bb.739:                              ;   in Loop: Header=BB259_12 Depth=1
	v_bfe_u32 v52, v38, 16, 7
	v_mov_b32_e32 v72, 0x7c01
	s_mov_b32 s20, exec_lo
	s_delay_alu instid0(VALU_DEP_2)
	v_cmpx_ne_u32_e32 0x7f, v52
	s_cbranch_execz .LBB259_743
; %bb.740:                              ;   in Loop: Header=BB259_12 Depth=1
	v_and_b32_e32 v24, 7, v4
	v_lshrrev_b32_e32 v25, 3, v52
	s_mov_b32 s21, exec_lo
	v_cmpx_gt_u32_e32 8, v52
; %bb.741:                              ;   in Loop: Header=BB259_12 Depth=1
	s_delay_alu instid0(VALU_DEP_3) | instskip(NEXT) | instid1(VALU_DEP_1)
	v_clz_i32_u32_e32 v24, v24
	v_min_u32_e32 v32, 32, v24
	s_delay_alu instid0(VALU_DEP_1) | instskip(NEXT) | instid1(VALU_DEP_1)
	v_subrev_nc_u32_e32 v24, 28, v32
	v_lshlrev_b64_e32 v[24:25], v24, v[4:5]
	v_sub_nc_u32_e32 v25, 29, v32
	s_delay_alu instid0(VALU_DEP_2)
	v_and_b32_e32 v24, 7, v24
; %bb.742:                              ;   in Loop: Header=BB259_12 Depth=1
	s_or_b32 exec_lo, exec_lo, s21
	v_lshlrev_b32_e32 v4, 8, v4
	s_delay_alu instid0(VALU_DEP_3) | instskip(NEXT) | instid1(VALU_DEP_3)
	v_lshl_add_u32 v25, v25, 10, 0x2000
	v_lshlrev_b32_e32 v24, 7, v24
	s_delay_alu instid0(VALU_DEP_3) | instskip(NEXT) | instid1(VALU_DEP_3)
	v_and_b32_e32 v4, 0x8000, v4
	v_and_b32_e32 v25, 0xfc00, v25
	s_delay_alu instid0(VALU_DEP_1)
	v_or3_b32 v72, v4, v25, v24
.LBB259_743:                            ;   in Loop: Header=BB259_12 Depth=1
	s_or_b32 exec_lo, exec_lo, s20
.LBB259_744:                            ;   in Loop: Header=BB259_12 Depth=1
	s_delay_alu instid0(SALU_CYCLE_1)
	s_or_b32 exec_lo, exec_lo, s19
.LBB259_745:                            ;   in Loop: Header=BB259_12 Depth=1
	s_delay_alu instid0(SALU_CYCLE_1) | instskip(NEXT) | instid1(SALU_CYCLE_1)
	s_or_b32 exec_lo, exec_lo, s18
	s_mov_b32 s18, exec_lo
	v_cmpx_lt_u32_e32 0xffffff, v38
	s_cbranch_execz .LBB259_753
; %bb.746:                              ;   in Loop: Header=BB259_12 Depth=1
	v_lshrrev_b32_e32 v4, 24, v38
	v_bfrev_b32_e32 v63, 1
	s_mov_b32 s19, exec_lo
	s_delay_alu instid0(VALU_DEP_2)
	v_cmpx_ne_u32_e32 0x80, v4
	s_cbranch_execz .LBB259_752
; %bb.747:                              ;   in Loop: Header=BB259_12 Depth=1
	v_and_b32_e32 v38, 0x7f, v4
	v_mov_b32_e32 v63, 0x7c010000
	s_mov_b32 s20, exec_lo
	s_delay_alu instid0(VALU_DEP_2)
	v_cmpx_ne_u32_e32 0x7f, v38
	s_cbranch_execz .LBB259_751
; %bb.748:                              ;   in Loop: Header=BB259_12 Depth=1
	v_dual_lshrrev_b32 v25, 3, v38 :: v_dual_bitop2_b32 v24, 7, v4 bitop3:0x40
	s_mov_b32 s21, exec_lo
	v_cmpx_gt_u32_e32 8, v38
; %bb.749:                              ;   in Loop: Header=BB259_12 Depth=1
	s_delay_alu instid0(VALU_DEP_2) | instskip(NEXT) | instid1(VALU_DEP_1)
	v_clz_i32_u32_e32 v24, v24
	v_min_u32_e32 v32, 32, v24
	s_delay_alu instid0(VALU_DEP_1) | instskip(NEXT) | instid1(VALU_DEP_1)
	v_subrev_nc_u32_e32 v24, 28, v32
	v_lshlrev_b64_e32 v[24:25], v24, v[4:5]
	v_sub_nc_u32_e32 v25, 29, v32
	s_delay_alu instid0(VALU_DEP_2)
	v_and_b32_e32 v24, 7, v24
; %bb.750:                              ;   in Loop: Header=BB259_12 Depth=1
	s_or_b32 exec_lo, exec_lo, s21
	v_lshlrev_b32_e32 v4, 8, v4
	s_delay_alu instid0(VALU_DEP_3) | instskip(NEXT) | instid1(VALU_DEP_3)
	v_lshl_add_u32 v25, v25, 10, 0x2000
	v_lshlrev_b32_e32 v24, 23, v24
	s_delay_alu instid0(VALU_DEP_2) | instskip(NEXT) | instid1(VALU_DEP_1)
	v_and_or_b32 v4, 0x8000, v4, v25
	v_lshl_or_b32 v63, v4, 16, v24
.LBB259_751:                            ;   in Loop: Header=BB259_12 Depth=1
	s_or_b32 exec_lo, exec_lo, s20
.LBB259_752:                            ;   in Loop: Header=BB259_12 Depth=1
	s_delay_alu instid0(SALU_CYCLE_1)
	s_or_b32 exec_lo, exec_lo, s19
.LBB259_753:                            ;   in Loop: Header=BB259_12 Depth=1
	s_delay_alu instid0(SALU_CYCLE_1)
	s_or_b32 exec_lo, exec_lo, s18
	flat_load_b32 v36, v[36:37] offset:2824
	v_dual_mov_b32 v38, 0 :: v_dual_mov_b32 v52, 0
	s_mov_b32 s18, exec_lo
	s_wait_loadcnt_dscnt 0x0
	v_and_b32_e32 v4, 0xff, v36
	s_wait_xcnt 0x0
	s_delay_alu instid0(VALU_DEP_1)
	v_cmpx_ne_u16_e32 0, v4
	s_cbranch_execz .LBB259_761
; %bb.754:                              ;   in Loop: Header=BB259_12 Depth=1
	v_mov_b32_e32 v52, 0x8000
	s_mov_b32 s19, exec_lo
	v_cmpx_ne_u16_e32 0x80, v4
	s_cbranch_execz .LBB259_760
; %bb.755:                              ;   in Loop: Header=BB259_12 Depth=1
	v_and_b32_e32 v25, 0x7f, v36
	v_mov_b32_e32 v52, 0x7c01
	s_mov_b32 s20, exec_lo
	s_delay_alu instid0(VALU_DEP_2)
	v_cmpx_ne_u32_e32 0x7f, v25
	s_cbranch_execz .LBB259_759
; %bb.756:                              ;   in Loop: Header=BB259_12 Depth=1
	v_dual_lshrrev_b32 v24, 3, v25 :: v_dual_bitop2_b32 v4, 7, v36 bitop3:0x40
	s_mov_b32 s21, exec_lo
	v_cmpx_gt_u32_e32 8, v25
; %bb.757:                              ;   in Loop: Header=BB259_12 Depth=1
	s_delay_alu instid0(VALU_DEP_2) | instskip(NEXT) | instid1(VALU_DEP_1)
	v_clz_i32_u32_e32 v4, v4
	v_min_u32_e32 v4, 32, v4
	s_delay_alu instid0(VALU_DEP_1) | instskip(NEXT) | instid1(VALU_DEP_1)
	v_subrev_nc_u32_e32 v24, 28, v4
	v_lshlrev_b64_e32 v[32:33], v24, v[36:37]
	v_sub_nc_u32_e32 v24, 29, v4
	s_delay_alu instid0(VALU_DEP_2)
	v_and_b32_e32 v4, 7, v32
; %bb.758:                              ;   in Loop: Header=BB259_12 Depth=1
	s_or_b32 exec_lo, exec_lo, s21
	v_lshlrev_b32_e32 v25, 8, v36
	s_delay_alu instid0(VALU_DEP_3) | instskip(NEXT) | instid1(VALU_DEP_3)
	v_lshl_add_u32 v24, v24, 10, 0x2000
	v_lshlrev_b32_e32 v4, 7, v4
	s_delay_alu instid0(VALU_DEP_3) | instskip(NEXT) | instid1(VALU_DEP_3)
	v_and_b32_e32 v25, 0x8000, v25
	v_and_b32_e32 v24, 0xfc00, v24
	s_delay_alu instid0(VALU_DEP_1)
	v_or3_b32 v52, v25, v24, v4
.LBB259_759:                            ;   in Loop: Header=BB259_12 Depth=1
	s_or_b32 exec_lo, exec_lo, s20
.LBB259_760:                            ;   in Loop: Header=BB259_12 Depth=1
	s_delay_alu instid0(SALU_CYCLE_1)
	s_or_b32 exec_lo, exec_lo, s19
.LBB259_761:                            ;   in Loop: Header=BB259_12 Depth=1
	s_delay_alu instid0(SALU_CYCLE_1) | instskip(SKIP_2) | instid1(VALU_DEP_1)
	s_or_b32 exec_lo, exec_lo, s18
	v_lshrrev_b16 v4, 8, v36
	s_mov_b32 s18, exec_lo
	v_cmpx_ne_u16_e32 0, v4
	s_cbranch_execz .LBB259_769
; %bb.762:                              ;   in Loop: Header=BB259_12 Depth=1
	v_bfrev_b32_e32 v38, 1
	s_mov_b32 s19, exec_lo
	v_cmpx_ne_u16_e32 0x80, v4
	s_cbranch_execz .LBB259_768
; %bb.763:                              ;   in Loop: Header=BB259_12 Depth=1
	v_and_b32_e32 v24, 0xffff, v4
	v_mov_b32_e32 v38, 0x7c010000
	s_mov_b32 s20, exec_lo
	s_delay_alu instid0(VALU_DEP_2) | instskip(NEXT) | instid1(VALU_DEP_1)
	v_and_b32_e32 v57, 0x7f, v24
	v_cmpx_ne_u32_e32 0x7f, v57
	s_cbranch_execz .LBB259_767
; %bb.764:                              ;   in Loop: Header=BB259_12 Depth=1
	v_dual_lshrrev_b32 v37, 3, v57 :: v_dual_bitop2_b32 v25, 7, v24 bitop3:0x40
	s_mov_b32 s21, exec_lo
	v_cmpx_gt_u32_e32 8, v57
; %bb.765:                              ;   in Loop: Header=BB259_12 Depth=1
	s_delay_alu instid0(VALU_DEP_2) | instskip(NEXT) | instid1(VALU_DEP_1)
	v_clz_i32_u32_e32 v25, v25
	v_min_u32_e32 v25, 32, v25
	s_delay_alu instid0(VALU_DEP_1) | instskip(NEXT) | instid1(VALU_DEP_1)
	v_subrev_nc_u32_e32 v32, 28, v25
	v_lshlrev_b64_e32 v[32:33], v32, v[4:5]
	s_delay_alu instid0(VALU_DEP_1)
	v_dual_sub_nc_u32 v37, 29, v25 :: v_dual_bitop2_b32 v25, 7, v32 bitop3:0x40
; %bb.766:                              ;   in Loop: Header=BB259_12 Depth=1
	s_or_b32 exec_lo, exec_lo, s21
	v_lshlrev_b32_e32 v4, 8, v24
	s_delay_alu instid0(VALU_DEP_2) | instskip(NEXT) | instid1(VALU_DEP_1)
	v_lshl_add_u32 v24, v37, 10, 0x2000
	v_and_or_b32 v4, 0x8000, v4, v24
	v_lshlrev_b32_e32 v24, 23, v25
	s_delay_alu instid0(VALU_DEP_1)
	v_lshl_or_b32 v38, v4, 16, v24
.LBB259_767:                            ;   in Loop: Header=BB259_12 Depth=1
	s_or_b32 exec_lo, exec_lo, s20
.LBB259_768:                            ;   in Loop: Header=BB259_12 Depth=1
	s_delay_alu instid0(SALU_CYCLE_1)
	s_or_b32 exec_lo, exec_lo, s19
.LBB259_769:                            ;   in Loop: Header=BB259_12 Depth=1
	s_delay_alu instid0(SALU_CYCLE_1) | instskip(SKIP_3) | instid1(VALU_DEP_2)
	s_or_b32 exec_lo, exec_lo, s18
	v_dual_lshrrev_b32 v4, 16, v36 :: v_dual_mov_b32 v24, 0
	v_mov_b32_e32 v25, 0
	s_mov_b32 s18, exec_lo
	v_and_b32_e32 v37, 0xff, v4
	s_delay_alu instid0(VALU_DEP_1)
	v_cmpx_ne_u16_e32 0, v37
	s_cbranch_execz .LBB259_777
; %bb.770:                              ;   in Loop: Header=BB259_12 Depth=1
	v_mov_b32_e32 v25, 0x8000
	s_mov_b32 s19, exec_lo
	v_cmpx_ne_u16_e32 0x80, v37
	s_cbranch_execz .LBB259_776
; %bb.771:                              ;   in Loop: Header=BB259_12 Depth=1
	v_bfe_u32 v57, v36, 16, 7
	v_mov_b32_e32 v25, 0x7c01
	s_mov_b32 s20, exec_lo
	s_delay_alu instid0(VALU_DEP_2)
	v_cmpx_ne_u32_e32 0x7f, v57
	s_cbranch_execz .LBB259_775
; %bb.772:                              ;   in Loop: Header=BB259_12 Depth=1
	v_dual_lshrrev_b32 v37, 3, v57 :: v_dual_bitop2_b32 v25, 7, v4 bitop3:0x40
	s_mov_b32 s21, exec_lo
	v_cmpx_gt_u32_e32 8, v57
; %bb.773:                              ;   in Loop: Header=BB259_12 Depth=1
	s_delay_alu instid0(VALU_DEP_2) | instskip(NEXT) | instid1(VALU_DEP_1)
	v_clz_i32_u32_e32 v25, v25
	v_min_u32_e32 v25, 32, v25
	s_delay_alu instid0(VALU_DEP_1) | instskip(NEXT) | instid1(VALU_DEP_1)
	v_subrev_nc_u32_e32 v32, 28, v25
	v_lshlrev_b64_e32 v[32:33], v32, v[4:5]
	s_delay_alu instid0(VALU_DEP_1)
	v_dual_sub_nc_u32 v37, 29, v25 :: v_dual_bitop2_b32 v25, 7, v32 bitop3:0x40
; %bb.774:                              ;   in Loop: Header=BB259_12 Depth=1
	s_or_b32 exec_lo, exec_lo, s21
	s_delay_alu instid0(VALU_DEP_1) | instskip(NEXT) | instid1(VALU_DEP_2)
	v_dual_lshlrev_b32 v4, 8, v4 :: v_dual_lshlrev_b32 v25, 7, v25
	v_lshl_add_u32 v32, v37, 10, 0x2000
	s_delay_alu instid0(VALU_DEP_2) | instskip(NEXT) | instid1(VALU_DEP_2)
	v_and_b32_e32 v4, 0x8000, v4
	v_and_b32_e32 v32, 0xfc00, v32
	s_delay_alu instid0(VALU_DEP_1)
	v_or3_b32 v25, v4, v32, v25
.LBB259_775:                            ;   in Loop: Header=BB259_12 Depth=1
	s_or_b32 exec_lo, exec_lo, s20
.LBB259_776:                            ;   in Loop: Header=BB259_12 Depth=1
	s_delay_alu instid0(SALU_CYCLE_1)
	s_or_b32 exec_lo, exec_lo, s19
.LBB259_777:                            ;   in Loop: Header=BB259_12 Depth=1
	s_delay_alu instid0(SALU_CYCLE_1) | instskip(NEXT) | instid1(SALU_CYCLE_1)
	s_or_b32 exec_lo, exec_lo, s18
	s_mov_b32 s18, exec_lo
	v_cmpx_lt_u32_e32 0xffffff, v36
	s_cbranch_execz .LBB259_785
; %bb.778:                              ;   in Loop: Header=BB259_12 Depth=1
	v_lshrrev_b32_e32 v4, 24, v36
	v_bfrev_b32_e32 v24, 1
	s_mov_b32 s19, exec_lo
	s_delay_alu instid0(VALU_DEP_2)
	v_cmpx_ne_u32_e32 0x80, v4
	s_cbranch_execz .LBB259_784
; %bb.779:                              ;   in Loop: Header=BB259_12 Depth=1
	v_and_b32_e32 v37, 0x7f, v4
	v_mov_b32_e32 v24, 0x7c010000
	s_mov_b32 s20, exec_lo
	s_delay_alu instid0(VALU_DEP_2)
	v_cmpx_ne_u32_e32 0x7f, v37
	s_cbranch_execz .LBB259_783
; %bb.780:                              ;   in Loop: Header=BB259_12 Depth=1
	v_dual_lshrrev_b32 v36, 3, v37 :: v_dual_bitop2_b32 v24, 7, v4 bitop3:0x40
	s_mov_b32 s21, exec_lo
	v_cmpx_gt_u32_e32 8, v37
; %bb.781:                              ;   in Loop: Header=BB259_12 Depth=1
	s_delay_alu instid0(VALU_DEP_2) | instskip(NEXT) | instid1(VALU_DEP_1)
	v_clz_i32_u32_e32 v24, v24
	v_min_u32_e32 v24, 32, v24
	s_delay_alu instid0(VALU_DEP_1) | instskip(SKIP_1) | instid1(VALU_DEP_2)
	v_subrev_nc_u32_e32 v32, 28, v24
	v_sub_nc_u32_e32 v36, 29, v24
	v_lshlrev_b64_e32 v[32:33], v32, v[4:5]
	s_delay_alu instid0(VALU_DEP_1)
	v_and_b32_e32 v24, 7, v32
; %bb.782:                              ;   in Loop: Header=BB259_12 Depth=1
	s_or_b32 exec_lo, exec_lo, s21
	v_lshlrev_b32_e32 v4, 8, v4
	v_lshl_add_u32 v32, v36, 10, 0x2000
	s_delay_alu instid0(VALU_DEP_3) | instskip(NEXT) | instid1(VALU_DEP_2)
	v_lshlrev_b32_e32 v24, 23, v24
	v_and_or_b32 v4, 0x8000, v4, v32
	s_delay_alu instid0(VALU_DEP_1)
	v_lshl_or_b32 v24, v4, 16, v24
.LBB259_783:                            ;   in Loop: Header=BB259_12 Depth=1
	s_or_b32 exec_lo, exec_lo, s20
.LBB259_784:                            ;   in Loop: Header=BB259_12 Depth=1
	s_delay_alu instid0(SALU_CYCLE_1)
	s_or_b32 exec_lo, exec_lo, s19
.LBB259_785:                            ;   in Loop: Header=BB259_12 Depth=1
	s_delay_alu instid0(SALU_CYCLE_1) | instskip(SKIP_4) | instid1(VALU_DEP_4)
	s_or_b32 exec_lo, exec_lo, s18
	v_or_b32_e32 v4, v47, v56
	v_fma_mixlo_f16 v36, v31, v91, 0 op_sel:[0,1,0] op_sel_hi:[0,1,0]
	v_fma_mixlo_f16 v57, v31, v47, 0 op_sel:[0,1,0] op_sel_hi:[0,1,0]
	v_fma_mixlo_f16 v47, v31, v63, 0 op_sel:[0,1,0] op_sel_hi:[0,1,0]
	v_fma_mixlo_f16 v58, v31, v4, 0 op_sel_hi:[0,1,0]
	v_or_b32_e32 v4, v63, v72
	v_fma_mixlo_f16 v63, v31, v61, 0 op_sel:[0,1,0] op_sel_hi:[0,1,0]
	s_delay_alu instid0(VALU_DEP_2) | instskip(SKIP_2) | instid1(VALU_DEP_2)
	v_fma_mixlo_f16 v56, v31, v4, 0 op_sel_hi:[0,1,0]
	v_or_b32_e32 v4, v61, v62
	v_fma_mixlo_f16 v61, v31, v39, 0 op_sel:[0,1,0] op_sel_hi:[0,1,0]
	v_fma_mixlo_f16 v72, v31, v4, 0 op_sel_hi:[0,1,0]
	v_or_b32_e32 v4, v39, v9
	v_fma_mixlo_f16 v9, v31, v81, 0 op_sel:[0,1,0] op_sel_hi:[0,1,0]
	s_delay_alu instid0(VALU_DEP_2) | instskip(SKIP_2) | instid1(VALU_DEP_4)
	v_fma_mixlo_f16 v62, v31, v4, 0 op_sel_hi:[0,1,0]
	v_or_b32_e32 v4, v77, v88
	v_fma_mixlo_f16 v77, v31, v77, 0 op_sel:[0,1,0] op_sel_hi:[0,1,0]
	v_and_b32_e32 v9, 0xffff, v9
	s_delay_alu instid0(VALU_DEP_3) | instskip(SKIP_2) | instid1(VALU_DEP_2)
	v_fma_mixlo_f16 v88, v31, v4, 0 op_sel_hi:[0,1,0]
	v_or_b32_e32 v4, v91, v94
	v_fma_mixlo_f16 v91, v31, v89, 0 op_sel:[0,1,0] op_sel_hi:[0,1,0]
	v_fma_mixlo_f16 v37, v31, v4, 0 op_sel_hi:[0,1,0]
	v_or_b32_e32 v4, v89, v90
	v_fma_mixlo_f16 v89, v31, v107, 0 op_sel:[0,1,0] op_sel_hi:[0,1,0]
	s_delay_alu instid0(VALU_DEP_2) | instskip(SKIP_2) | instid1(VALU_DEP_2)
	v_fma_mixlo_f16 v94, v31, v4, 0 op_sel_hi:[0,1,0]
	v_or_b32_e32 v4, v107, v108
	v_fma_mixlo_f16 v107, v31, v104, 0 op_sel:[0,1,0] op_sel_hi:[0,1,0]
	v_fma_mixlo_f16 v90, v31, v4, 0 op_sel_hi:[0,1,0]
	v_or_b32_e32 v4, v104, v106
	v_fma_mixlo_f16 v104, v31, v121, 0 op_sel:[0,1,0] op_sel_hi:[0,1,0]
	s_delay_alu instid0(VALU_DEP_2) | instskip(SKIP_2) | instid1(VALU_DEP_2)
	;; [unrolled: 7-line block ×3, first 2 shown]
	v_fma_mixlo_f16 v122, v31, v4, 0 op_sel_hi:[0,1,0]
	v_or_b32_e32 v4, v126, v127
	v_fma_mixlo_f16 v127, v31, v1, 0 op_sel:[0,1,0] op_sel_hi:[0,1,0]
	v_fma_mixlo_f16 v120, v31, v4, 0 op_sel_hi:[0,1,0]
	v_or_b32_e32 v4, v1, v26
	s_delay_alu instid0(VALU_DEP_1) | instskip(SKIP_3) | instid1(VALU_DEP_4)
	v_fma_mixlo_f16 v1, v31, v4, 0 op_sel_hi:[0,1,0]
	v_or_b32_e32 v4, v49, v125
	v_fma_mixlo_f16 v125, v31, v49, 0 op_sel:[0,1,0] op_sel_hi:[0,1,0]
	v_fma_mixlo_f16 v49, v31, v0, 0 op_sel:[0,1,0] op_sel_hi:[0,1,0]
	v_and_b32_e32 v1, 0xffff, v1
	s_delay_alu instid0(VALU_DEP_4) | instskip(SKIP_3) | instid1(VALU_DEP_3)
	v_fma_mixlo_f16 v126, v31, v4, 0 op_sel_hi:[0,1,0]
	v_or_b32_e32 v4, v0, v15
	v_fma_mixlo_f16 v15, v31, v10, 0 op_sel:[0,1,0] op_sel_hi:[0,1,0]
	v_or_b32_e32 v0, v69, v54
	v_fma_mixlo_f16 v26, v31, v4, 0 op_sel_hi:[0,1,0]
	v_or_b32_e32 v4, v10, v14
	s_delay_alu instid0(VALU_DEP_3) | instskip(SKIP_1) | instid1(VALU_DEP_3)
	v_fma_mixlo_f16 v54, v31, v0, 0 op_sel_hi:[0,1,0]
	v_fma_mixlo_f16 v0, v31, v69, 0 op_sel:[0,1,0] op_sel_hi:[0,1,0]
	v_fma_mixlo_f16 v10, v31, v4, 0 op_sel_hi:[0,1,0]
	v_or_b32_e32 v4, v16, v29
	v_fma_mixlo_f16 v29, v31, v7, 0 op_sel:[0,1,0] op_sel_hi:[0,1,0]
	v_fma_mixlo_f16 v16, v31, v16, 0 op_sel:[0,1,0] op_sel_hi:[0,1,0]
	v_and_b32_e32 v0, 0xffff, v0
	v_and_b32_e32 v10, 0xffff, v10
	v_fma_mixlo_f16 v14, v31, v4, 0 op_sel_hi:[0,1,0]
	v_or_b32_e32 v4, v7, v6
	v_fma_mixlo_f16 v6, v31, v11, 0 op_sel:[0,1,0] op_sel_hi:[0,1,0]
	s_delay_alu instid0(VALU_DEP_2) | instskip(SKIP_4) | instid1(VALU_DEP_4)
	v_fma_mixlo_f16 v69, v31, v4, 0 op_sel_hi:[0,1,0]
	v_or_b32_e32 v4, v11, v28
	v_fma_mixlo_f16 v28, v31, v51, 0 op_sel:[0,1,0] op_sel_hi:[0,1,0]
	v_fma_mixlo_f16 v11, v31, v13, 0 op_sel:[0,1,0] op_sel_hi:[0,1,0]
	v_and_b32_e32 v6, 0xffff, v6
	v_fma_mixlo_f16 v7, v31, v4, 0 op_sel_hi:[0,1,0]
	v_or_b32_e32 v4, v51, v19
	v_and_b32_e32 v28, 0xffff, v28
	v_and_b32_e32 v11, 0xffff, v11
	s_delay_alu instid0(VALU_DEP_4) | instskip(NEXT) | instid1(VALU_DEP_4)
	v_and_b32_e32 v7, 0xffff, v7
	v_fma_mixlo_f16 v51, v31, v4, 0 op_sel_hi:[0,1,0]
	v_or_b32_e32 v4, v13, v53
	v_fma_mixlo_f16 v13, v31, v123, 0 op_sel:[0,1,0] op_sel_hi:[0,1,0]
	s_delay_alu instid0(VALU_DEP_2) | instskip(SKIP_2) | instid1(VALU_DEP_4)
	v_fma_mixlo_f16 v19, v31, v4, 0 op_sel_hi:[0,1,0]
	v_or_b32_e32 v4, v109, v110
	v_fma_mixlo_f16 v109, v31, v109, 0 op_sel:[0,1,0] op_sel_hi:[0,1,0]
	v_and_b32_e32 v13, 0xffff, v13
	s_delay_alu instid0(VALU_DEP_4) | instskip(NEXT) | instid1(VALU_DEP_4)
	v_and_b32_e32 v19, 0xffff, v19
	v_fma_mixlo_f16 v110, v31, v4, 0 op_sel_hi:[0,1,0]
	v_or_b32_e32 v4, v123, v124
	v_fma_mixlo_f16 v123, v31, v92, 0 op_sel:[0,1,0] op_sel_hi:[0,1,0]
	s_delay_alu instid0(VALU_DEP_2) | instskip(SKIP_2) | instid1(VALU_DEP_2)
	v_fma_mixlo_f16 v53, v31, v4, 0 op_sel_hi:[0,1,0]
	v_or_b32_e32 v4, v92, v93
	v_fma_mixlo_f16 v92, v31, v95, 0 op_sel:[0,1,0] op_sel_hi:[0,1,0]
	v_fma_mixlo_f16 v124, v31, v4, 0 op_sel_hi:[0,1,0]
	v_or_b32_e32 v4, v95, v105
	v_fma_mixlo_f16 v95, v31, v75, 0 op_sel:[0,1,0] op_sel_hi:[0,1,0]
	s_delay_alu instid0(VALU_DEP_2) | instskip(SKIP_2) | instid1(VALU_DEP_2)
	v_fma_mixlo_f16 v93, v31, v4, 0 op_sel_hi:[0,1,0]
	v_or_b32_e32 v4, v75, v76
	v_fma_mixlo_f16 v75, v31, v78, 0 op_sel:[0,1,0] op_sel_hi:[0,1,0]
	;; [unrolled: 7-line block ×9, first 2 shown]
	v_fma_mixlo_f16 v102, v31, v4, 0 op_sel_hi:[0,1,0]
	v_or_b32_e32 v4, v97, v98
	v_fma_mixlo_f16 v97, v31, v83, 0 op_sel:[0,1,0] op_sel_hi:[0,1,0]
	s_delay_alu instid0(VALU_DEP_2) | instskip(SKIP_2) | instid1(VALU_DEP_4)
	v_fma_mixlo_f16 v96, v31, v4, 0 op_sel_hi:[0,1,0]
	v_or_b32_e32 v4, v83, v84
	v_fma_mixlo_f16 v83, v31, v85, 0 op_sel:[0,1,0] op_sel_hi:[0,1,0]
	v_and_b32_e32 v97, 0xffff, v97
	s_delay_alu instid0(VALU_DEP_3) | instskip(SKIP_2) | instid1(VALU_DEP_2)
	v_fma_mixlo_f16 v98, v31, v4, 0 op_sel_hi:[0,1,0]
	v_or_b32_e32 v4, v85, v86
	v_fma_mixlo_f16 v85, v31, v71, 0 op_sel:[0,1,0] op_sel_hi:[0,1,0]
	v_fma_mixlo_f16 v84, v31, v4, 0 op_sel_hi:[0,1,0]
	v_or_b32_e32 v4, v71, v80
	v_fma_mixlo_f16 v71, v31, v38, 0 op_sel:[0,1,0] op_sel_hi:[0,1,0]
	s_delay_alu instid0(VALU_DEP_2) | instskip(SKIP_1) | instid1(VALU_DEP_1)
	v_fma_mixlo_f16 v86, v31, v4, 0 op_sel_hi:[0,1,0]
	v_or_b32_e32 v4, v81, v82
	v_fma_mixlo_f16 v39, v31, v4, 0 op_sel_hi:[0,1,0]
	v_or_b32_e32 v4, v38, v52
	s_delay_alu instid0(VALU_DEP_1) | instskip(SKIP_1) | instid1(VALU_DEP_1)
	v_fma_mixlo_f16 v80, v31, v4, 0 op_sel_hi:[0,1,0]
	v_or_b32_e32 v4, v24, v25
	v_fma_mixlo_f16 v38, v31, v4, 0 op_sel_hi:[0,1,0]
	v_fma_mixlo_f16 v4, v31, v24, 0 op_sel:[0,1,0] op_sel_hi:[0,1,0]
	ds_load_b64 v[24:25], v50
	v_and_b32_e32 v4, 0xffff, v4
	s_wait_dscnt 0x0
	v_lshrrev_b32_e32 v31, 16, v24
	v_and_b32_e32 v24, 0xffff, v24
	;;#ASMSTART
	v_cvt_f32_f16 v52, v24;
	;;#ASMEND
	v_and_b32_e32 v24, 0xffff, v86
	;;#ASMSTART
	v_cvt_f32_f16 v82, v31;
	;;#ASMEND
	;;#ASMSTART
	v_cvt_f32_f16 v81, v24;
	;;#ASMEND
	v_and_b32_e32 v24, 0xffff, v85
	;;#ASMSTART
	v_cvt_f32_f16 v85, v24;
	;;#ASMEND
	v_lshrrev_b32_e32 v24, 16, v25
	v_and_b32_e32 v25, 0xffff, v25
	;;#ASMSTART
	v_cvt_f32_f16 v25, v25;
	;;#ASMEND
	;;#ASMSTART
	v_cvt_f32_f16 v24, v24;
	;;#ASMEND
	v_and_b32_e32 v31, 0xffff, v39
	;;#ASMSTART
	v_cvt_f32_f16 v39, v31;
	;;#ASMEND
	;;#ASMSTART
	v_cvt_f32_f16 v9, v9;
	;;#ASMEND
	ds_load_b64 v[32:33], v50 offset:8
	s_wait_dscnt 0x0
	v_lshrrev_b32_e32 v31, 16, v32
	v_and_b32_e32 v32, 0xffff, v32
	;;#ASMSTART
	v_cvt_f32_f16 v32, v32;
	;;#ASMEND
	;;#ASMSTART
	v_cvt_f32_f16 v86, v31;
	;;#ASMEND
	v_and_b32_e32 v31, 0xffff, v98
	;;#ASMSTART
	v_cvt_f32_f16 v31, v31;
	;;#ASMEND
	s_delay_alu instid0(VALU_DEP_1)
	v_mul_f32_e32 v31, v32, v31
	;;#ASMSTART
	v_cvt_f32_f16 v97, v97;
	;;#ASMEND
	v_lshrrev_b32_e32 v32, 16, v33
	v_and_b32_e32 v33, 0xffff, v33
	;;#ASMSTART
	v_cvt_f32_f16 v33, v33;
	;;#ASMEND
	v_fmac_f32_e32 v31, v52, v81
	v_mul_f32_e32 v81, v86, v97
	v_and_b32_e32 v52, 0xffff, v84
	;;#ASMSTART
	v_cvt_f32_f16 v32, v32;
	;;#ASMEND
	;;#ASMSTART
	v_cvt_f32_f16 v52, v52;
	;;#ASMEND
	s_delay_alu instid0(VALU_DEP_2)
	v_fmac_f32_e32 v81, v82, v85
	v_and_b32_e32 v82, 0xffff, v83
	;;#ASMSTART
	v_cvt_f32_f16 v83, v82;
	;;#ASMEND
	v_dual_mul_f32 v82, v33, v52 :: v_dual_mul_f32 v83, v32, v83
	v_and_b32_e32 v32, 0xffff, v102
	v_and_b32_e32 v33, 0xffff, v101
	s_delay_alu instid0(VALU_DEP_3)
	v_dual_fmac_f32 v82, v25, v39 :: v_dual_fmac_f32 v83, v24, v9
	ds_load_b64 v[24:25], v50 offset:16
	s_wait_dscnt 0x0
	v_lshrrev_b32_e32 v9, 16, v24
	v_and_b32_e32 v24, 0xffff, v24
	;;#ASMSTART
	v_cvt_f32_f16 v24, v24;
	;;#ASMEND
	;;#ASMSTART
	v_cvt_f32_f16 v9, v9;
	;;#ASMEND
	;;#ASMSTART
	v_cvt_f32_f16 v32, v32;
	;;#ASMEND
	;;#ASMSTART
	v_cvt_f32_f16 v33, v33;
	;;#ASMEND
	v_dual_fmac_f32 v31, v24, v32 :: v_dual_fmac_f32 v81, v9, v33
	v_lshrrev_b32_e32 v9, 16, v25
	v_and_b32_e32 v24, 0xffff, v25
	v_and_b32_e32 v25, 0xffff, v96
	;;#ASMSTART
	v_cvt_f32_f16 v24, v24;
	;;#ASMEND
	;;#ASMSTART
	v_cvt_f32_f16 v9, v9;
	;;#ASMEND
	;;#ASMSTART
	v_cvt_f32_f16 v25, v25;
	;;#ASMEND
	v_and_b32_e32 v32, 0xffff, v87
	;;#ASMSTART
	v_cvt_f32_f16 v32, v32;
	;;#ASMEND
	v_fmac_f32_e32 v82, v24, v25
	ds_load_b64 v[24:25], v50 offset:24
	v_fmac_f32_e32 v83, v9, v32
	v_and_b32_e32 v32, 0xffff, v114
	v_and_b32_e32 v33, 0xffff, v113
	s_wait_dscnt 0x0
	v_lshrrev_b32_e32 v9, 16, v24
	v_and_b32_e32 v24, 0xffff, v24
	;;#ASMSTART
	v_cvt_f32_f16 v24, v24;
	;;#ASMEND
	;;#ASMSTART
	v_cvt_f32_f16 v9, v9;
	;;#ASMEND
	;;#ASMSTART
	v_cvt_f32_f16 v32, v32;
	;;#ASMEND
	;;#ASMSTART
	v_cvt_f32_f16 v33, v33;
	;;#ASMEND
	v_dual_fmac_f32 v31, v24, v32 :: v_dual_fmac_f32 v81, v9, v33
	v_lshrrev_b32_e32 v9, 16, v25
	v_and_b32_e32 v24, 0xffff, v25
	v_and_b32_e32 v25, 0xffff, v100
	;;#ASMSTART
	v_cvt_f32_f16 v24, v24;
	;;#ASMEND
	;;#ASMSTART
	v_cvt_f32_f16 v9, v9;
	;;#ASMEND
	;;#ASMSTART
	v_cvt_f32_f16 v25, v25;
	;;#ASMEND
	v_and_b32_e32 v32, 0xffff, v99
	;;#ASMSTART
	v_cvt_f32_f16 v32, v32;
	;;#ASMEND
	v_fmac_f32_e32 v82, v24, v25
	ds_load_b64 v[24:25], v50 offset:32
	v_fmac_f32_e32 v83, v9, v32
	v_and_b32_e32 v32, 0xffff, v118
	v_and_b32_e32 v33, 0xffff, v117
	;; [unrolled: 37-line block ×8, first 2 shown]
	s_wait_dscnt 0x0
	v_lshrrev_b32_e32 v9, 16, v24
	v_and_b32_e32 v24, 0xffff, v24
	;;#ASMSTART
	v_cvt_f32_f16 v24, v24;
	;;#ASMEND
	;;#ASMSTART
	v_cvt_f32_f16 v9, v9;
	;;#ASMEND
	;; [unrolled: 3-line block ×4, first 2 shown]
	v_fmac_f32_e32 v81, v9, v33
	v_dual_lshrrev_b32 v9, 16, v25 :: v_dual_fmac_f32 v31, v24, v32
	v_and_b32_e32 v24, 0xffff, v25
	v_and_b32_e32 v25, 0xffff, v93
	;;#ASMSTART
	v_cvt_f32_f16 v24, v24;
	;;#ASMEND
	;;#ASMSTART
	v_cvt_f32_f16 v9, v9;
	;;#ASMEND
	;; [unrolled: 3-line block ×3, first 2 shown]
	v_and_b32_e32 v32, 0xffff, v92
	;;#ASMSTART
	v_cvt_f32_f16 v32, v32;
	;;#ASMEND
	v_fmac_f32_e32 v82, v24, v25
	ds_load_b64 v[24:25], v50 offset:88
	v_fmac_f32_e32 v83, v9, v32
	v_and_b32_e32 v32, 0xffff, v110
	v_and_b32_e32 v33, 0xffff, v109
	s_wait_dscnt 0x0
	v_lshrrev_b32_e32 v9, 16, v24
	v_and_b32_e32 v24, 0xffff, v24
	;;#ASMSTART
	v_cvt_f32_f16 v24, v24;
	;;#ASMEND
	;;#ASMSTART
	v_cvt_f32_f16 v9, v9;
	;;#ASMEND
	;; [unrolled: 3-line block ×4, first 2 shown]
	v_fmac_f32_e32 v81, v9, v33
	v_dual_lshrrev_b32 v9, 16, v25 :: v_dual_fmac_f32 v31, v24, v32
	v_and_b32_e32 v24, 0xffff, v25
	v_and_b32_e32 v25, 0xffff, v53
	;;#ASMSTART
	v_cvt_f32_f16 v24, v24;
	;;#ASMEND
	;;#ASMSTART
	v_cvt_f32_f16 v9, v9;
	;;#ASMEND
	;; [unrolled: 3-line block ×4, first 2 shown]
	v_fmac_f32_e32 v82, v24, v25
	ds_load_b64 v[24:25], v50 offset:96
	s_wait_dscnt 0x0
	v_dual_fmac_f32 v83, v9, v13 :: v_dual_lshrrev_b32 v9, 16, v24
	v_and_b32_e32 v13, 0xffff, v24
	;;#ASMSTART
	v_cvt_f32_f16 v13, v13;
	;;#ASMEND
	;;#ASMSTART
	v_cvt_f32_f16 v9, v9;
	;;#ASMEND
	v_and_b32_e32 v24, 0xffff, v51
	;;#ASMSTART
	v_cvt_f32_f16 v24, v24;
	;;#ASMEND
	;;#ASMSTART
	v_cvt_f32_f16 v28, v28;
	;;#ASMEND
	s_delay_alu instid0(VALU_DEP_1)
	v_fmac_f32_e32 v31, v13, v24
	v_dual_fmac_f32 v81, v9, v28 :: v_dual_lshrrev_b32 v9, 16, v25
	v_and_b32_e32 v13, 0xffff, v25
	;;#ASMSTART
	v_cvt_f32_f16 v13, v13;
	;;#ASMEND
	;;#ASMSTART
	v_cvt_f32_f16 v9, v9;
	;;#ASMEND
	;; [unrolled: 3-line block ×4, first 2 shown]
	ds_load_b64 v[24:25], v50 offset:104
	v_fmac_f32_e32 v82, v13, v19
	v_fmac_f32_e32 v83, v9, v11
	v_and_b32_e32 v13, 0xffff, v69
	v_and_b32_e32 v19, 0xffff, v29
	s_wait_dscnt 0x0
	v_and_b32_e32 v11, 0xffff, v24
	;;#ASMSTART
	v_cvt_f32_f16 v11, v11;
	;;#ASMEND
	v_lshrrev_b32_e32 v9, 16, v24
	;;#ASMSTART
	v_cvt_f32_f16 v9, v9;
	;;#ASMEND
	;;#ASMSTART
	v_cvt_f32_f16 v13, v13;
	;;#ASMEND
	;; [unrolled: 3-line block ×3, first 2 shown]
	s_delay_alu instid0(VALU_DEP_1)
	v_dual_fmac_f32 v31, v11, v13 :: v_dual_fmac_f32 v81, v9, v19
	v_lshrrev_b32_e32 v9, 16, v25
	v_and_b32_e32 v11, 0xffff, v25
	;;#ASMSTART
	v_cvt_f32_f16 v11, v11;
	;;#ASMEND
	;;#ASMSTART
	v_cvt_f32_f16 v9, v9;
	;;#ASMEND
	;; [unrolled: 3-line block ×4, first 2 shown]
	v_dual_fmac_f32 v82, v11, v7 :: v_dual_fmac_f32 v83, v9, v6
	ds_load_b64 v[6:7], v50 offset:112
	v_and_b32_e32 v11, 0xffff, v15
	s_wait_dscnt 0x0
	v_lshrrev_b32_e32 v9, 16, v6
	v_and_b32_e32 v6, 0xffff, v6
	;;#ASMSTART
	v_cvt_f32_f16 v6, v6;
	;;#ASMEND
	;;#ASMSTART
	v_cvt_f32_f16 v9, v9;
	;;#ASMEND
	;;#ASMSTART
	v_cvt_f32_f16 v10, v10;
	;;#ASMEND
	;;#ASMSTART
	v_cvt_f32_f16 v11, v11;
	;;#ASMEND
	v_dual_fmac_f32 v31, v6, v10 :: v_dual_fmac_f32 v81, v9, v11
	v_lshrrev_b32_e32 v6, 16, v7
	v_and_b32_e32 v7, 0xffff, v7
	;;#ASMSTART
	v_cvt_f32_f16 v7, v7;
	;;#ASMEND
	;;#ASMSTART
	v_cvt_f32_f16 v6, v6;
	;;#ASMEND
	v_and_b32_e32 v9, 0xffff, v14
	v_and_b32_e32 v10, 0xffff, v16
	;;#ASMSTART
	v_cvt_f32_f16 v9, v9;
	;;#ASMEND
	;;#ASMSTART
	v_cvt_f32_f16 v10, v10;
	;;#ASMEND
	s_delay_alu instid0(VALU_DEP_1)
	v_dual_fmac_f32 v82, v7, v9 :: v_dual_fmac_f32 v83, v6, v10
	ds_load_b64 v[6:7], v50 offset:120
	v_and_b32_e32 v10, 0xffff, v26
	v_and_b32_e32 v11, 0xffff, v49
	s_wait_dscnt 0x0
	v_lshrrev_b32_e32 v9, 16, v6
	v_and_b32_e32 v6, 0xffff, v6
	;;#ASMSTART
	v_cvt_f32_f16 v6, v6;
	;;#ASMEND
	;;#ASMSTART
	v_cvt_f32_f16 v9, v9;
	;;#ASMEND
	;; [unrolled: 3-line block ×4, first 2 shown]
	v_dual_fmac_f32 v31, v6, v10 :: v_dual_fmac_f32 v81, v9, v11
	v_lshrrev_b32_e32 v6, 16, v7
	v_and_b32_e32 v7, 0xffff, v7
	;;#ASMSTART
	v_cvt_f32_f16 v7, v7;
	;;#ASMEND
	;;#ASMSTART
	v_cvt_f32_f16 v6, v6;
	;;#ASMEND
	v_and_b32_e32 v9, 0xffff, v54
	;;#ASMSTART
	v_cvt_f32_f16 v9, v9;
	;;#ASMEND
	;;#ASMSTART
	v_cvt_f32_f16 v0, v0;
	;;#ASMEND
	s_delay_alu instid0(VALU_DEP_1)
	v_dual_fmac_f32 v82, v7, v9 :: v_dual_fmac_f32 v83, v6, v0
	ds_load_b64 v[6:7], v50 offset:128
	v_and_b32_e32 v9, 0xffff, v127
	s_wait_dscnt 0x0
	v_lshrrev_b32_e32 v0, 16, v6
	v_and_b32_e32 v6, 0xffff, v6
	;;#ASMSTART
	v_cvt_f32_f16 v6, v6;
	;;#ASMEND
	;;#ASMSTART
	v_cvt_f32_f16 v0, v0;
	;;#ASMEND
	;; [unrolled: 3-line block ×4, first 2 shown]
	v_fmac_f32_e32 v31, v6, v1
	v_dual_fmac_f32 v81, v0, v9 :: v_dual_lshrrev_b32 v0, 16, v7
	v_and_b32_e32 v1, 0xffff, v7
	;;#ASMSTART
	v_cvt_f32_f16 v1, v1;
	;;#ASMEND
	;;#ASMSTART
	v_cvt_f32_f16 v0, v0;
	;;#ASMEND
	v_and_b32_e32 v6, 0xffff, v126
	v_and_b32_e32 v7, 0xffff, v125
	;;#ASMSTART
	v_cvt_f32_f16 v6, v6;
	;;#ASMEND
	;;#ASMSTART
	v_cvt_f32_f16 v7, v7;
	;;#ASMEND
	s_delay_alu instid0(VALU_DEP_1)
	v_dual_fmac_f32 v82, v1, v6 :: v_dual_fmac_f32 v83, v0, v7
	ds_load_b64 v[0:1], v50 offset:136
	v_and_b32_e32 v7, 0xffff, v122
	v_and_b32_e32 v9, 0xffff, v121
	s_wait_dscnt 0x0
	v_lshrrev_b32_e32 v6, 16, v0
	v_and_b32_e32 v0, 0xffff, v0
	;;#ASMSTART
	v_cvt_f32_f16 v0, v0;
	;;#ASMEND
	;;#ASMSTART
	v_cvt_f32_f16 v6, v6;
	;;#ASMEND
	;; [unrolled: 3-line block ×3, first 2 shown]
	s_delay_alu instid0(VALU_DEP_1)
	v_dual_fmac_f32 v31, v0, v7 :: v_dual_lshrrev_b32 v0, 16, v1
	v_and_b32_e32 v1, 0xffff, v1
	;;#ASMSTART
	v_cvt_f32_f16 v9, v9;
	;;#ASMEND
	;;#ASMSTART
	v_cvt_f32_f16 v1, v1;
	;;#ASMEND
	v_fmac_f32_e32 v81, v6, v9
	;;#ASMSTART
	v_cvt_f32_f16 v0, v0;
	;;#ASMEND
	v_and_b32_e32 v6, 0xffff, v120
	v_and_b32_e32 v7, 0xffff, v111
	;;#ASMSTART
	v_cvt_f32_f16 v6, v6;
	;;#ASMEND
	;;#ASMSTART
	v_cvt_f32_f16 v7, v7;
	;;#ASMEND
	s_delay_alu instid0(VALU_DEP_1)
	v_dual_fmac_f32 v82, v1, v6 :: v_dual_fmac_f32 v83, v0, v7
	ds_load_b64 v[0:1], v50 offset:144
	v_and_b32_e32 v7, 0xffff, v108
	v_and_b32_e32 v9, 0xffff, v107
	s_wait_dscnt 0x0
	v_lshrrev_b32_e32 v6, 16, v0
	v_and_b32_e32 v0, 0xffff, v0
	;;#ASMSTART
	v_cvt_f32_f16 v0, v0;
	;;#ASMEND
	;;#ASMSTART
	v_cvt_f32_f16 v6, v6;
	;;#ASMEND
	;; [unrolled: 3-line block ×4, first 2 shown]
	v_dual_fmac_f32 v31, v0, v7 :: v_dual_fmac_f32 v81, v6, v9
	v_lshrrev_b32_e32 v0, 16, v1
	v_and_b32_e32 v1, 0xffff, v1
	;;#ASMSTART
	v_cvt_f32_f16 v1, v1;
	;;#ASMEND
	;;#ASMSTART
	v_cvt_f32_f16 v0, v0;
	;;#ASMEND
	v_and_b32_e32 v6, 0xffff, v106
	v_and_b32_e32 v7, 0xffff, v104
	;;#ASMSTART
	v_cvt_f32_f16 v6, v6;
	;;#ASMEND
	;;#ASMSTART
	v_cvt_f32_f16 v7, v7;
	;;#ASMEND
	s_delay_alu instid0(VALU_DEP_1)
	v_dual_fmac_f32 v82, v1, v6 :: v_dual_fmac_f32 v83, v0, v7
	ds_load_b64 v[0:1], v50 offset:152
	v_and_b32_e32 v7, 0xffff, v94
	v_and_b32_e32 v9, 0xffff, v91
	s_wait_dscnt 0x0
	v_lshrrev_b32_e32 v6, 16, v0
	v_and_b32_e32 v0, 0xffff, v0
	;;#ASMSTART
	v_cvt_f32_f16 v0, v0;
	;;#ASMEND
	;;#ASMSTART
	v_cvt_f32_f16 v6, v6;
	;;#ASMEND
	;; [unrolled: 3-line block ×4, first 2 shown]
	v_dual_fmac_f32 v31, v0, v7 :: v_dual_fmac_f32 v81, v6, v9
	v_lshrrev_b32_e32 v0, 16, v1
	v_and_b32_e32 v1, 0xffff, v1
	;;#ASMSTART
	v_cvt_f32_f16 v1, v1;
	;;#ASMEND
	;;#ASMSTART
	v_cvt_f32_f16 v0, v0;
	;;#ASMEND
	v_and_b32_e32 v6, 0xffff, v90
	v_and_b32_e32 v7, 0xffff, v89
	;;#ASMSTART
	v_cvt_f32_f16 v6, v6;
	;;#ASMEND
	;;#ASMSTART
	v_cvt_f32_f16 v7, v7;
	;;#ASMEND
	s_delay_alu instid0(VALU_DEP_1)
	v_dual_fmac_f32 v82, v1, v6 :: v_dual_fmac_f32 v83, v0, v7
	ds_load_b64 v[0:1], v50 offset:160
	v_and_b32_e32 v7, 0xffff, v88
	v_and_b32_e32 v9, 0xffff, v77
	s_wait_dscnt 0x0
	v_lshrrev_b32_e32 v6, 16, v0
	v_and_b32_e32 v0, 0xffff, v0
	;;#ASMSTART
	v_cvt_f32_f16 v0, v0;
	;;#ASMEND
	;;#ASMSTART
	v_cvt_f32_f16 v6, v6;
	;;#ASMEND
	;; [unrolled: 3-line block ×4, first 2 shown]
	v_dual_fmac_f32 v31, v0, v7 :: v_dual_fmac_f32 v81, v6, v9
	v_lshrrev_b32_e32 v0, 16, v1
	v_and_b32_e32 v1, 0xffff, v1
	v_and_b32_e32 v6, 0xffff, v37
	;; [unrolled: 1-line block ×3, first 2 shown]
	;;#ASMSTART
	v_cvt_f32_f16 v1, v1;
	;;#ASMEND
	;;#ASMSTART
	v_cvt_f32_f16 v0, v0;
	;;#ASMEND
	;; [unrolled: 3-line block ×4, first 2 shown]
	ds_load_b64 v[36:37], v50 offset:168
	v_dual_fmac_f32 v82, v1, v6 :: v_dual_fmac_f32 v83, v0, v7
	v_and_b32_e32 v6, 0xffff, v72
	v_and_b32_e32 v7, 0xffff, v63
	s_wait_dscnt 0x0
	v_lshrrev_b32_e32 v0, 16, v36
	v_and_b32_e32 v1, 0xffff, v36
	;;#ASMSTART
	v_cvt_f32_f16 v1, v1;
	;;#ASMEND
	;;#ASMSTART
	v_cvt_f32_f16 v0, v0;
	;;#ASMEND
	;; [unrolled: 3-line block ×4, first 2 shown]
	v_dual_fmac_f32 v31, v1, v6 :: v_dual_fmac_f32 v81, v0, v7
	v_lshrrev_b32_e32 v0, 16, v37
	v_and_b32_e32 v1, 0xffff, v37
	v_and_b32_e32 v6, 0xffff, v62
	;; [unrolled: 1-line block ×3, first 2 shown]
	;;#ASMSTART
	v_cvt_f32_f16 v1, v1;
	;;#ASMEND
	;;#ASMSTART
	v_cvt_f32_f16 v0, v0;
	;;#ASMEND
	;; [unrolled: 3-line block ×4, first 2 shown]
	ds_load_b64 v[36:37], v50 offset:176
	v_dual_fmac_f32 v82, v1, v6 :: v_dual_fmac_f32 v83, v0, v7
	v_and_b32_e32 v6, 0xffff, v58
	v_and_b32_e32 v7, 0xffff, v57
	s_wait_dscnt 0x0
	v_and_b32_e32 v1, 0xffff, v36
	;;#ASMSTART
	v_cvt_f32_f16 v1, v1;
	;;#ASMEND
	v_lshrrev_b32_e32 v0, 16, v36
	;;#ASMSTART
	v_cvt_f32_f16 v0, v0;
	;;#ASMEND
	;;#ASMSTART
	v_cvt_f32_f16 v6, v6;
	;;#ASMEND
	;; [unrolled: 3-line block ×3, first 2 shown]
	s_delay_alu instid0(VALU_DEP_1)
	v_dual_fmac_f32 v31, v1, v6 :: v_dual_fmac_f32 v81, v0, v7
	v_lshrrev_b32_e32 v0, 16, v37
	v_and_b32_e32 v1, 0xffff, v37
	v_and_b32_e32 v6, 0xffff, v56
	;; [unrolled: 1-line block ×3, first 2 shown]
	;;#ASMSTART
	v_cvt_f32_f16 v1, v1;
	;;#ASMEND
	;;#ASMSTART
	v_cvt_f32_f16 v0, v0;
	;;#ASMEND
	;; [unrolled: 3-line block ×4, first 2 shown]
	ds_load_b64 v[36:37], v50 offset:184
	v_dual_fmac_f32 v82, v1, v6 :: v_dual_fmac_f32 v83, v0, v7
	v_and_b32_e32 v6, 0xffff, v80
	v_and_b32_e32 v7, 0xffff, v71
	s_wait_dscnt 0x0
	v_and_b32_e32 v1, 0xffff, v36
	;;#ASMSTART
	v_cvt_f32_f16 v1, v1;
	;;#ASMEND
	v_lshrrev_b32_e32 v0, 16, v36
	;;#ASMSTART
	v_cvt_f32_f16 v0, v0;
	;;#ASMEND
	;;#ASMSTART
	v_cvt_f32_f16 v6, v6;
	;;#ASMEND
	;; [unrolled: 3-line block ×3, first 2 shown]
	s_delay_alu instid0(VALU_DEP_1)
	v_dual_fmac_f32 v31, v1, v6 :: v_dual_fmac_f32 v81, v0, v7
	v_lshrrev_b32_e32 v0, 16, v37
	v_and_b32_e32 v1, 0xffff, v37
	;;#ASMSTART
	v_cvt_f32_f16 v1, v1;
	;;#ASMEND
	;;#ASMSTART
	v_cvt_f32_f16 v0, v0;
	;;#ASMEND
	v_and_b32_e32 v6, 0xffff, v38
	;;#ASMSTART
	v_cvt_f32_f16 v6, v6;
	;;#ASMEND
	;;#ASMSTART
	v_cvt_f32_f16 v4, v4;
	;;#ASMEND
	s_delay_alu instid0(VALU_DEP_1) | instskip(SKIP_1) | instid1(VALU_DEP_1)
	v_dual_fmac_f32 v82, v1, v6 :: v_dual_fmac_f32 v83, v0, v4
	v_add_f32_e32 v0, v31, v81
	v_dual_add_f32 v0, v0, v82 :: v_dual_bitop2_b32 v1, 1, v17 bitop3:0x14
	s_delay_alu instid0(VALU_DEP_1) | instskip(NEXT) | instid1(VALU_DEP_1)
	v_cmp_gt_i32_e64 s2, 32, v1
	v_dual_add_f32 v0, v83, v0 :: v_dual_cndmask_b32 v1, v17, v1, s2
	s_delay_alu instid0(VALU_DEP_1)
	v_lshlrev_b32_e32 v1, 2, v1
	ds_bpermute_b32 v1, v1, v0
	s_and_saveexec_b32 s18, vcc_lo
	s_cbranch_execz .LBB259_10
; %bb.786:                              ;   in Loop: Header=BB259_12 Depth=1
	s_clause 0x1
	scratch_load_b32 v4, off, s32 offset:220
	scratch_load_b32 v6, off, s32 offset:208
	s_wait_dscnt 0x0
	v_add_f32_e32 v0, v0, v1
	s_load_b32 s19, s[10:11], 0x0
	s_wait_loadcnt 0x1
	v_add_nc_u32_e32 v4, v4, v30
	s_delay_alu instid0(VALU_DEP_1) | instskip(SKIP_1) | instid1(VALU_DEP_1)
	v_cvt_f32_i32_e32 v4, v4
	s_wait_loadcnt 0x0
	v_mul_f32_e32 v4, v6, v4
	scratch_load_b32 v6, off, s32 offset:212 ; 4-byte Folded Reload
	v_cndmask_b32_e64 v1, 0, v4, s1
	scratch_load_b32 v4, off, s32 offset:216 ; 4-byte Folded Reload
	s_wait_loadcnt 0x1
	v_fmac_f32_e32 v1, v6, v0
	v_max_num_f32_e32 v0, v48, v48
	s_wait_loadcnt 0x0
	v_add_nc_u32_e32 v4, v4, v30
	s_delay_alu instid0(VALU_DEP_2) | instskip(NEXT) | instid1(VALU_DEP_2)
	v_max_num_f32_e32 v0, v0, v1
	v_cmp_lt_i32_e64 s2, v4, v12
	s_wait_kmcnt 0x0
	s_delay_alu instid0(VALU_DEP_1) | instskip(NEXT) | instid1(VALU_DEP_3)
	v_dual_add_nc_u32 v4, s19, v68 :: v_dual_cndmask_b32 v1, 0, v1, s2
	v_cndmask_b32_e64 v48, v48, v0, s2
	ds_store_b32 v4, v1
	s_branch .LBB259_10
.LBB259_787:
	s_or_b32 exec_lo, exec_lo, s17
	s_clause 0x6
	scratch_load_b32 v58, off, s32 offset:264
	scratch_load_b32 v59, off, s32 offset:268
	;; [unrolled: 1-line block ×4, first 2 shown]
	scratch_load_b64 v[38:39], off, s32 offset:280
	scratch_load_b64 v[50:51], off, s32 offset:288
	scratch_load_b32 v19, off, s32 offset:296
.LBB259_788:
	s_wait_xcnt 0x0
	s_or_b32 exec_lo, exec_lo, s16
	v_dual_max_num_f32 v6, v48, v48 :: v_dual_bitop2_b32 v0, 16, v17 bitop3:0x14
	v_xor_b32_e32 v7, 2, v17
	s_wait_dscnt 0x0
	v_xor_b32_e32 v1, 8, v17
	s_wait_loadcnt 0x6
	v_and_b32_e32 v68, 31, v58
	v_cmp_gt_i32_e32 vcc_lo, 32, v0
	v_cndmask_b32_e32 v0, v17, v0, vcc_lo
	v_cmp_gt_i32_e32 vcc_lo, 32, v1
	s_delay_alu instid0(VALU_DEP_2) | instskip(SKIP_3) | instid1(VALU_DEP_1)
	v_dual_cndmask_b32 v1, v17, v1 :: v_dual_lshlrev_b32 v4, 2, v0
	ds_bpermute_b32 v0, v4, v48
	s_wait_dscnt 0x0
	v_dual_max_num_f32 v0, v0, v0 :: v_dual_lshlrev_b32 v5, 2, v1
	v_dual_max_num_f32 v0, v6, v0 :: v_dual_bitop2_b32 v6, 4, v17 bitop3:0x14
	ds_bpermute_b32 v1, v5, v0
	v_cmp_gt_i32_e32 vcc_lo, 32, v6
	s_wait_dscnt 0x0
	v_max_num_f32_e32 v1, v1, v1
	v_cndmask_b32_e32 v6, v17, v6, vcc_lo
	v_cmp_gt_i32_e32 vcc_lo, 32, v7
	s_delay_alu instid0(VALU_DEP_2)
	v_dual_max_num_f32 v0, v0, v1 :: v_dual_lshlrev_b32 v6, 2, v6
	ds_bpermute_b32 v1, v6, v0
	s_wait_dscnt 0x0
	v_max_num_f32_e32 v1, v1, v1
	v_cndmask_b32_e32 v7, v17, v7, vcc_lo
	v_cmp_eq_u32_e32 vcc_lo, 0, v68
	s_delay_alu instid0(VALU_DEP_2)
	v_dual_max_num_f32 v0, v0, v1 :: v_dual_lshlrev_b32 v1, 2, v7
	s_wait_loadcnt 0x4
	v_lshlrev_b32_e32 v7, 2, v70
	ds_bpermute_b32 v9, v1, v0
	s_and_saveexec_b32 s1, vcc_lo
	s_cbranch_execz .LBB259_790
; %bb.789:
	s_wait_dscnt 0x0
	v_dual_max_num_f32 v9, v9, v9 :: v_dual_max_num_f32 v0, v0, v0
	s_delay_alu instid0(VALU_DEP_1)
	v_max_num_f32_e32 v0, v0, v9
	ds_store_b32 v7, v0 offset:384
.LBB259_790:
	s_or_b32 exec_lo, exec_lo, s1
	v_cmp_gt_u32_e64 s1, 4, v68
	s_wait_dscnt 0x0
	v_dual_mov_b32 v0, 0xff7fffff :: v_dual_lshlrev_b32 v9, 2, v68
	s_wait_loadcnt 0x0
	s_wait_storecnt 0x0
	s_barrier_signal -1
	s_barrier_wait -1
	s_and_saveexec_b32 s2, s1
; %bb.791:
	ds_load_b32 v0, v9 offset:384
; %bb.792:
	s_or_b32 exec_lo, exec_lo, s2
	s_wait_dscnt 0x0
	ds_bpermute_b32 v10, v1, v0
	v_dual_max_num_f32 v0, v0, v0 :: v_dual_bitop2_b32 v11, 1, v17 bitop3:0x14
	s_delay_alu instid0(VALU_DEP_1) | instskip(SKIP_1) | instid1(VALU_DEP_1)
	v_cmp_gt_i32_e64 s2, 32, v11
	s_wait_dscnt 0x0
	v_dual_cndmask_b32 v11, v17, v11, s2 :: v_dual_max_num_f32 v10, v10, v10
	s_delay_alu instid0(VALU_DEP_1) | instskip(SKIP_3) | instid1(VALU_DEP_1)
	v_dual_max_num_f32 v0, v0, v10 :: v_dual_lshlrev_b32 v69, 2, v11
	ds_bpermute_b32 v10, v69, v0
	s_wait_dscnt 0x0
	v_max_num_f32_e32 v10, v10, v10
	v_dual_max_num_f32 v0, v0, v10 :: v_dual_mov_b32 v10, 0
	ds_bpermute_b32 v11, v10, v0
	v_lshlrev_b32_e32 v0, 4, v66
	s_delay_alu instid0(VALU_DEP_1) | instskip(NEXT) | instid1(VALU_DEP_1)
	v_min_i32_e32 v0, v0, v12
	v_cmp_lt_i32_e64 s2, v58, v0
	s_and_saveexec_b32 s10, s2
	s_cbranch_execz .LBB259_796
; %bb.793:
	s_wait_kmcnt 0x0
	s_ashr_i32 s7, s6, 31
	v_dual_mov_b32 v10, 0 :: v_dual_mov_b32 v14, v58
	s_lshl_b64 s[16:17], s[6:7], 2
	s_mov_b32 s7, 0
	s_add_nc_u64 s[16:17], s[8:9], s[16:17]
	s_load_b32 s3, s[16:17], 0x0
	s_wait_kmcnt 0x0
	v_lshl_add_u32 v13, v58, 2, s3
.LBB259_794:                            ; =>This Inner Loop Header: Depth=1
	ds_load_b32 v15, v13
	v_add_nc_u32_e32 v14, 0x80, v14
	s_delay_alu instid0(VALU_DEP_1) | instskip(SKIP_3) | instid1(VALU_DEP_1)
	v_cmp_ge_i32_e64 s3, v14, v0
	s_or_b32 s7, s3, s7
	s_wait_dscnt 0x0
	v_sub_f32_e32 v15, v15, v11
	v_mul_f32_e32 v15, 0x3fb8aa3b, v15
	s_delay_alu instid0(VALU_DEP_1)
	v_exp_f32_e32 v15, v15
	ds_store_b32 v13, v15
	v_nop
	v_dual_add_f32 v10, v10, v15 :: v_dual_add_nc_u32 v13, 0x200, v13
	s_and_not1_b32 exec_lo, exec_lo, s7
	s_cbranch_execnz .LBB259_794
; %bb.795:
	s_or_b32 exec_lo, exec_lo, s7
.LBB259_796:
	s_delay_alu instid0(SALU_CYCLE_1)
	s_or_b32 exec_lo, exec_lo, s10
	ds_bpermute_b32 v4, v4, v10
	s_wait_dscnt 0x0
	v_add_f32_e32 v4, v10, v4
	ds_bpermute_b32 v5, v5, v4
	s_wait_dscnt 0x0
	v_add_f32_e32 v4, v4, v5
	;; [unrolled: 3-line block ×5, first 2 shown]
	s_and_saveexec_b32 s3, vcc_lo
; %bb.797:
	ds_store_b32 v7, v4 offset:400
; %bb.798:
	s_or_b32 exec_lo, exec_lo, s3
	s_wait_dscnt 0x0
	s_barrier_signal -1
	s_barrier_wait -1
	s_and_saveexec_b32 s3, s1
; %bb.799:
	ds_load_b32 v4, v9 offset:400
; %bb.800:
	s_or_b32 exec_lo, exec_lo, s3
	s_wait_dscnt 0x0
	ds_bpermute_b32 v1, v1, v4
	s_wait_dscnt 0x0
	v_add_f32_e32 v1, v4, v1
	ds_bpermute_b32 v4, v69, v1
	s_wait_dscnt 0x0
	v_dual_add_f32 v1, v1, v4 :: v_dual_mov_b32 v4, 0
	ds_bpermute_b32 v1, v4, v1
	s_and_saveexec_b32 s1, s2
	s_cbranch_execz .LBB259_813
; %bb.801:
	s_wait_dscnt 0x0
	v_add_f32_e32 v1, 0x358637bd, v1
	s_mov_b32 s3, -1
	s_mov_b32 s2, exec_lo
	s_delay_alu instid0(VALU_DEP_1) | instskip(NEXT) | instid1(VALU_DEP_1)
	v_div_scale_f32 v4, null, v1, v1, 1.0
	v_rcp_f32_e32 v6, v4
	v_nop
	s_delay_alu instid0(TRANS32_DEP_1) | instskip(NEXT) | instid1(VALU_DEP_1)
	v_fma_f32 v5, -v4, v6, 1.0
	v_fmac_f32_e32 v6, v5, v6
	v_div_scale_f32 v7, vcc_lo, 1.0, v1, 1.0
	s_delay_alu instid0(VALU_DEP_1) | instskip(NEXT) | instid1(VALU_DEP_1)
	v_mul_f32_e32 v9, v7, v6
	v_fma_f32 v5, -v4, v9, v7
	s_delay_alu instid0(VALU_DEP_1) | instskip(SKIP_1) | instid1(VALU_DEP_2)
	v_fmac_f32_e32 v9, v5, v6
	v_xad_u32 v5, v58, -1, v0
	v_fma_f32 v4, -v4, v9, v7
	s_delay_alu instid0(VALU_DEP_1) | instskip(NEXT) | instid1(VALU_DEP_1)
	v_div_fmas_f32 v4, v4, v6, v9
	v_div_fixup_f32 v4, v4, v1, 1.0
	v_mov_b32_e32 v1, v58
	v_cmpx_lt_u32_e32 0x7f, v5
	s_cbranch_execz .LBB259_810
; %bb.802:
	s_delay_alu instid0(VALU_DEP_3) | instskip(NEXT) | instid1(VALU_DEP_1)
	v_dual_lshrrev_b32 v1, 7, v5 :: v_dual_mov_b32 v5, v4
	v_dual_mov_b32 v10, 0 :: v_dual_add_nc_u32 v6, -1, v1
	s_delay_alu instid0(VALU_DEP_1) | instskip(SKIP_1) | instid1(VALU_DEP_2)
	v_lshrrev_b32_e32 v7, 1, v6
	v_cmp_lt_u32_e32 vcc_lo, 13, v6
	v_add_nc_u32_e32 v6, 1, v7
	s_and_saveexec_b32 s3, vcc_lo
	s_cbranch_execz .LBB259_806
; %bb.803:
	s_wait_kmcnt 0x0
	s_ashr_i32 s7, s6, 31
	v_and_b32_e32 v7, -8, v6
	s_lshl_b64 s[10:11], s[6:7], 2
	s_delay_alu instid0(SALU_CYCLE_1)
	s_add_nc_u64 s[10:11], s[8:9], s[10:11]
	s_load_b32 s7, s[10:11], 0x0
	s_wait_xcnt 0x0
	s_mov_b32 s10, 0
	s_wait_kmcnt 0x0
	v_lshl_add_u32 v9, v58, 2, s7
	s_mov_b32 s7, 0
.LBB259_804:                            ; =>This Inner Loop Header: Depth=1
	ds_load_2addr_stride64_b32 v[10:11], v9 offset1:2
	ds_load_2addr_stride64_b32 v[14:15], v9 offset0:4 offset1:6
	ds_load_2addr_stride64_b32 v[16:17], v9 offset0:8 offset1:10
	;; [unrolled: 1-line block ×7, first 2 shown]
	s_add_co_i32 s10, s10, 16
	v_add_nc_u32_e32 v7, -8, v7
	s_wait_dscnt 0x7
	v_pk_mul_f32 v[10:11], v[4:5], v[10:11]
	s_wait_dscnt 0x6
	v_pk_mul_f32 v[14:15], v[4:5], v[14:15]
	s_wait_dscnt 0x5
	v_pk_mul_f32 v[16:17], v[4:5], v[16:17]
	s_wait_dscnt 0x4
	v_pk_mul_f32 v[20:21], v[4:5], v[20:21]
	s_wait_dscnt 0x3
	v_pk_mul_f32 v[24:25], v[4:5], v[24:25]
	s_wait_dscnt 0x2
	v_pk_mul_f32 v[32:33], v[4:5], v[32:33]
	s_wait_dscnt 0x1
	v_pk_mul_f32 v[28:29], v[4:5], v[28:29]
	s_wait_dscnt 0x0
	v_pk_mul_f32 v[30:31], v[4:5], v[30:31]
	ds_store_2addr_stride64_b32 v9, v10, v11 offset1:2
	ds_store_2addr_stride64_b32 v9, v14, v15 offset0:4 offset1:6
	ds_store_2addr_stride64_b32 v9, v16, v17 offset0:8 offset1:10
	;; [unrolled: 1-line block ×7, first 2 shown]
	v_mov_b32_e32 v10, s10
	v_cmp_eq_u32_e32 vcc_lo, 0, v7
	v_add_nc_u32_e32 v9, 0x2000, v9
	s_or_b32 s7, vcc_lo, s7
	s_delay_alu instid0(SALU_CYCLE_1)
	s_and_not1_b32 exec_lo, exec_lo, s7
	s_cbranch_execnz .LBB259_804
; %bb.805:
	s_or_b32 exec_lo, exec_lo, s7
.LBB259_806:
	s_delay_alu instid0(SALU_CYCLE_1) | instskip(NEXT) | instid1(VALU_DEP_1)
	s_or_b32 exec_lo, exec_lo, s3
	v_and_b32_e32 v6, 7, v6
	s_mov_b32 s10, 0
	s_mov_b32 s3, exec_lo
	s_delay_alu instid0(VALU_DEP_1)
	v_cmpx_ne_u32_e32 0, v6
	s_cbranch_execz .LBB259_809
; %bb.807:
	s_wait_kmcnt 0x0
	s_ashr_i32 s7, s6, 31
	v_lshlrev_b32_e32 v7, 9, v10
	s_lshl_b64 s[16:17], s[6:7], 2
	v_lshlrev_b32_e32 v9, 2, v58
	s_add_nc_u64 s[16:17], s[8:9], s[16:17]
	s_load_b32 s7, s[16:17], 0x0
	s_wait_kmcnt 0x0
	s_delay_alu instid0(VALU_DEP_1)
	v_add3_u32 v7, v7, v9, s7
.LBB259_808:                            ; =>This Inner Loop Header: Depth=1
	ds_load_2addr_stride64_b32 v[10:11], v7 offset1:2
	v_add_nc_u32_e32 v6, -1, v6
	s_delay_alu instid0(VALU_DEP_1)
	v_cmp_eq_u32_e32 vcc_lo, 0, v6
	s_or_b32 s10, vcc_lo, s10
	s_wait_dscnt 0x0
	v_pk_mul_f32 v[10:11], v[4:5], v[10:11]
	ds_store_2addr_stride64_b32 v7, v10, v11 offset1:2
	v_add_nc_u32_e32 v7, 0x400, v7
	s_and_not1_b32 exec_lo, exec_lo, s10
	s_cbranch_execnz .LBB259_808
.LBB259_809:
	s_or_b32 exec_lo, exec_lo, s3
	v_add_nc_u32_e32 v1, 1, v1
	s_delay_alu instid0(VALU_DEP_1) | instskip(NEXT) | instid1(VALU_DEP_1)
	v_and_b32_e32 v5, 0x3fffffe, v1
	v_cmp_ne_u32_e32 vcc_lo, v1, v5
	v_lshl_add_u32 v1, v5, 7, v58
	s_or_not1_b32 s3, vcc_lo, exec_lo
.LBB259_810:
	s_or_b32 exec_lo, exec_lo, s2
	s_delay_alu instid0(SALU_CYCLE_1)
	s_and_b32 exec_lo, exec_lo, s3
	s_cbranch_execz .LBB259_813
; %bb.811:
	s_wait_kmcnt 0x0
	s_ashr_i32 s7, s6, 31
	s_delay_alu instid0(SALU_CYCLE_1) | instskip(NEXT) | instid1(SALU_CYCLE_1)
	s_lshl_b64 s[2:3], s[6:7], 2
	s_add_nc_u64 s[2:3], s[8:9], s[2:3]
	s_load_b32 s2, s[2:3], 0x0
	s_wait_kmcnt 0x0
	v_lshl_add_u32 v5, v1, 2, s2
	s_mov_b32 s2, 0
.LBB259_812:                            ; =>This Inner Loop Header: Depth=1
	ds_load_b32 v6, v5
	s_wait_dscnt 0x0
	v_dual_mul_f32 v6, v4, v6 :: v_dual_add_nc_u32 v1, 0x80, v1
	s_delay_alu instid0(VALU_DEP_1) | instskip(SKIP_3) | instid1(SALU_CYCLE_1)
	v_cmp_ge_i32_e32 vcc_lo, v1, v0
	ds_store_b32 v5, v6
	v_add_nc_u32_e32 v5, 0x200, v5
	s_or_b32 s2, vcc_lo, s2
	s_and_not1_b32 exec_lo, exec_lo, s2
	s_cbranch_execnz .LBB259_812
.LBB259_813:
	s_or_b32 exec_lo, exec_lo, s1
	s_wait_dscnt 0x0
	s_barrier_signal -1
	s_barrier_wait -1
	s_and_saveexec_b32 s1, s0
	s_delay_alu instid0(SALU_CYCLE_1)
	s_xor_b32 s0, exec_lo, s1
	s_cbranch_execz .LBB259_815
; %bb.814:
                                        ; implicit-def: $vgpr0_vgpr1
	s_wait_kmcnt 0x0
	s_ashr_i32 s7, s6, 31
                                        ; kill: killed $vgpr0_vgpr1
                                        ; implicit-def: $vgpr0_vgpr1
                                        ; kill: killed $vgpr0_vgpr1
                                        ; implicit-def: $vgpr12
                                        ; implicit-def: $vgpr65
                                        ; implicit-def: $vgpr55
                                        ; implicit-def: $vgpr64
                                        ; implicit-def: $vgpr66
                                        ; implicit-def: $vgpr18
                                        ; implicit-def: $vgpr26
                                        ; implicit-def: $vgpr2_vgpr3
                                        ; implicit-def: $vgpr22_vgpr23
                                        ; implicit-def: $vgpr38_vgpr39
                                        ; implicit-def: $vgpr67
                                        ; implicit-def: $vgpr19
                                        ; implicit-def: $vgpr8
                                        ; implicit-def: $vgpr50
                                        ; implicit-def: $vgpr0
	scratch_store_b64 off, v[0:1], s32 offset:224 ; 8-byte Folded Spill
                                        ; implicit-def: $vgpr0
                                        ; kill: killed $vgpr0
.LBB259_815:
	s_wait_xcnt 0x0
	s_or_saveexec_b32 s1, s0
	v_mov_b32_e32 v5, 0
	s_wait_kmcnt 0x0
	v_mov_b64_e32 v[36:37], s[6:7]
	s_delay_alu instid0(VALU_DEP_2)
	v_dual_mov_b32 v4, v5 :: v_dual_mov_b32 v25, v5
	v_dual_mov_b32 v24, v5 :: v_dual_mov_b32 v33, v5
	;; [unrolled: 1-line block ×5, first 2 shown]
	v_mov_b32_e32 v34, v5
	s_xor_b32 exec_lo, exec_lo, s1
	s_cbranch_execz .LBB259_1613
; %bb.816:
	v_dual_mov_b32 v10, v58 :: v_dual_mov_b32 v11, v70
	v_dual_add_nc_u32 v80, -1, v66 :: v_dual_max_i32 v70, v26, v19
	v_dual_mov_b32 v13, v12 :: v_dual_bitop2_b32 v71, 8, v50 bitop3:0x40
	v_mov_b32_e32 v7, 0
	s_delay_alu instid0(VALU_DEP_3) | instskip(SKIP_3) | instid1(VALU_DEP_3)
	v_cvt_f32_u32_e32 v0, v70
	v_dual_mov_b32 v81, v11 :: v_dual_mov_b32 v34, 0
	v_and_b32_e32 v6, 0xf8, v50
	s_ashr_i32 s7, s6, 31
	v_rcp_iflag_f32_e32 v0, v0
	v_dual_mov_b32 v35, 0 :: v_dual_mov_b32 v30, 0
	v_dual_mov_b32 v31, 0 :: v_dual_mov_b32 v20, 0
	v_dual_sub_nc_u32 v5, 0, v70 :: v_dual_mov_b32 v21, 0
	v_mov_b32_e32 v32, 0
	s_delay_alu instid0(TRANS32_DEP_1)
	v_mul_f32_e32 v4, 0x4f7ffffe, v0
	scratch_load_b64 v[0:1], off, s32 offset:224 th:TH_LOAD_LU ; 8-byte Folded Reload
	v_dual_mov_b32 v33, 0 :: v_dual_mov_b32 v24, 0
	s_lshl_b64 s[10:11], s[6:7], 2
	v_cvt_u32_f32_e32 v9, v4
	v_dual_mov_b32 v25, 0 :: v_dual_bitop2_b32 v4, 1, v10 bitop3:0x40
	v_mov_b32_e32 v15, v7
	s_mov_b64 s[2:3], 0xffffffffffffff
	s_delay_alu instid0(VALU_DEP_3) | instskip(NEXT) | instid1(VALU_DEP_3)
	v_mul_lo_u32 v5, v5, v9
	v_dual_lshlrev_b32 v10, 5, v4 :: v_dual_mov_b32 v4, 0
	s_mov_b32 s16, 0
	s_add_nc_u64 s[10:11], s[8:9], s[10:11]
	s_delay_alu instid0(VALU_DEP_1) | instskip(NEXT) | instid1(VALU_DEP_3)
	v_lshl_or_b32 v82, v11, 6, v10
	v_mul_hi_u32 v5, v9, v5
	v_mov_b32_e32 v60, v11
	scratch_load_b64 v[10:11], off, s32 offset:236 th:TH_LOAD_LU ; 8-byte Folded Reload
	v_dual_mov_b32 v5, 0 :: v_dual_add_nc_u32 v14, v9, v5
	s_wait_loadcnt 0x1
	v_add_nc_u64_e32 v[0:1], v[38:39], v[0:1]
	s_delay_alu instid0(VALU_DEP_1)
	v_add_nc_u64_e32 v[16:17], v[0:1], v[6:7]
	scratch_load_b32 v0, off, s32 offset:252 th:TH_LOAD_LU ; 4-byte Folded Reload
	s_wait_loadcnt 0x0
	v_and_b32_e32 v6, 0x7c, v0
	scratch_load_b64 v[0:1], off, s32 offset:244 th:TH_LOAD_LU ; 8-byte Folded Reload
	s_wait_loadcnt 0x0
	v_lshl_add_u64 v[0:1], v[0:1], 2, v[6:7]
	s_delay_alu instid0(VALU_DEP_1)
	v_add_nc_u64_e32 v[10:11], v[10:11], v[0:1]
	s_branch .LBB259_819
.LBB259_817:                            ;   in Loop: Header=BB259_819 Depth=1
	s_or_b32 exec_lo, exec_lo, s0
	v_dual_add_f32 v0, v49, v50 :: v_dual_add_f32 v27, v43, v44
	v_add_f32_e32 v1, v45, v46
	v_dual_add_f32 v28, v41, v42 :: v_dual_add_f32 v29, v115, v116
	s_delay_alu instid0(VALU_DEP_3) | instskip(NEXT) | instid1(VALU_DEP_3)
	v_add_f32_e32 v4, v4, v0
	v_dual_add_f32 v0, v119, v40 :: v_dual_add_f32 v25, v25, v1
	v_dual_add_f32 v1, v117, v118 :: v_dual_add_f32 v24, v24, v27
	s_delay_alu instid0(VALU_DEP_4) | instskip(NEXT) | instid1(VALU_DEP_2)
	v_dual_add_f32 v33, v33, v28 :: v_dual_add_f32 v20, v20, v29
	v_dual_add_f32 v32, v32, v0 :: v_dual_add_f32 v21, v21, v1
	;;#ASMSTART
	v_pk_mul_f16 v1, v99, v19;

	;;#ASMEND
	;;#ASMSTART
	v_pk_mul_f16 v19, v53, v26;

	;;#ASMEND
	;; [unrolled: 4-line block ×4, first 2 shown]
	;;#ASMSTART
	v_pk_add_f16 v1, v1, v19;

	;;#ASMEND
	;;#ASMSTART
	v_pk_add_f16 v1, v1, v9;

	;;#ASMEND
	;; [unrolled: 4-line block ×3, first 2 shown]
	v_and_b32_e32 v19, 0xffff, v1
	v_dual_add_f32 v0, v113, v114 :: v_dual_lshrrev_b32 v26, 16, v1
	;;#ASMSTART
	v_cvt_f32_f16 v19, v19;
	;;#ASMEND
	v_dual_add_f32 v1, v103, v112 :: v_dual_add_f32 v6, v101, v102
	;;#ASMSTART
	v_cvt_f32_f16 v26, v26;
	;;#ASMEND
	s_delay_alu instid0(VALU_DEP_2) | instskip(NEXT) | instid1(VALU_DEP_2)
	v_dual_add_f32 v9, v54, v100 :: v_dual_add_f32 v19, v19, v26
	v_dual_add_f32 v31, v31, v0 :: v_dual_add_f32 v30, v30, v1
	s_delay_alu instid0(VALU_DEP_2) | instskip(NEXT) | instid1(VALU_DEP_3)
	v_dual_add_f32 v35, v35, v6 :: v_dual_add_f32 v34, v34, v9
	v_add_f32_e32 v5, v5, v19
.LBB259_818:                            ;   in Loop: Header=BB259_819 Depth=1
	s_or_b32 exec_lo, exec_lo, s17
	v_dual_add_nc_u32 v81, 4, v81 :: v_dual_add_nc_u32 v8, 64, v8
	v_add_nc_u64_e32 v[10:11], 16, v[10:11]
	v_add_nc_u32_e32 v82, 0x100, v82
	s_delay_alu instid0(VALU_DEP_3) | instskip(SKIP_1) | instid1(SALU_CYCLE_1)
	v_cmp_ge_i32_e32 vcc_lo, v81, v66
	s_or_b32 s16, vcc_lo, s16
	s_and_not1_b32 exec_lo, exec_lo, s16
	s_cbranch_execz .LBB259_1612
.LBB259_819:                            ; =>This Inner Loop Header: Depth=1
	v_mov_b32_e32 v9, v7
	s_delay_alu instid0(VALU_DEP_1) | instskip(NEXT) | instid1(VALU_DEP_1)
	v_mul_u64_e32 v[0:1], v[8:9], v[2:3]
	v_mul_lo_u32 v0, v1, v55
	s_delay_alu instid0(VALU_DEP_1) | instskip(NEXT) | instid1(VALU_DEP_1)
	v_dual_sub_nc_u32 v0, v8, v0 :: v_dual_add_nc_u32 v6, 1, v1
	v_sub_nc_u32_e32 v9, v0, v55
	v_cmp_ge_u32_e32 vcc_lo, v0, v55
	s_delay_alu instid0(VALU_DEP_2) | instskip(NEXT) | instid1(VALU_DEP_1)
	v_dual_cndmask_b32 v1, v1, v6 :: v_dual_cndmask_b32 v0, v0, v9
	v_add_nc_u32_e32 v6, 1, v1
	s_delay_alu instid0(VALU_DEP_2) | instskip(NEXT) | instid1(VALU_DEP_2)
	v_cmp_ge_u32_e32 vcc_lo, v0, v55
	v_cndmask_b32_e32 v0, v1, v6, vcc_lo
	s_delay_alu instid0(VALU_DEP_1) | instskip(NEXT) | instid1(VALU_DEP_1)
	v_xor_b32_e32 v0, v0, v65
	v_sub_nc_u32_e32 v9, v0, v65
	s_delay_alu instid0(VALU_DEP_1) | instskip(NEXT) | instid1(VALU_DEP_1)
	v_add_nc_u32_e32 v19, v9, v64
	v_sub_nc_u32_e32 v0, 0, v19
	v_cmp_gt_i32_e64 s0, v9, v67
	s_delay_alu instid0(VALU_DEP_2) | instskip(NEXT) | instid1(VALU_DEP_1)
	v_max_i32_e32 v6, v19, v0
	v_mul_u64_e32 v[0:1], v[6:7], v[14:15]
	s_delay_alu instid0(VALU_DEP_1) | instskip(NEXT) | instid1(VALU_DEP_1)
	v_mul_lo_u32 v0, v1, v70
	v_dual_sub_nc_u32 v0, v6, v0 :: v_dual_ashrrev_i32 v6, 31, v19
	s_delay_alu instid0(VALU_DEP_1) | instskip(SKIP_1) | instid1(VALU_DEP_2)
	v_sub_nc_u32_e32 v1, v0, v70
	v_cmp_ge_u32_e32 vcc_lo, v0, v70
	v_cndmask_b32_e32 v0, v0, v1, vcc_lo
	s_delay_alu instid0(VALU_DEP_1) | instskip(SKIP_1) | instid1(VALU_DEP_2)
	v_sub_nc_u32_e32 v1, v0, v70
	v_cmp_ge_u32_e32 vcc_lo, v0, v70
	v_cndmask_b32_e32 v0, v0, v1, vcc_lo
	s_delay_alu instid0(VALU_DEP_1) | instskip(NEXT) | instid1(VALU_DEP_1)
	v_xor_b32_e32 v0, v0, v6
	v_sub_nc_u32_e32 v0, v0, v6
	s_delay_alu instid0(VALU_DEP_1)
	v_cmp_eq_u32_e32 vcc_lo, 0, v0
	s_or_b32 s0, vcc_lo, s0
	s_wait_xcnt 0x0
	s_and_saveexec_b32 s17, s0
	s_cbranch_execz .LBB259_818
; %bb.820:                              ;   in Loop: Header=BB259_819 Depth=1
	flat_load_b32 v0, v[10:11]
	s_load_b32 s0, s[10:11], 0x0
	s_wait_kmcnt 0x0
	v_add_nc_u32_e32 v1, s0, v82
	s_mov_b32 s0, exec_lo
	s_wait_loadcnt_dscnt 0x0
	v_mad_nc_i64_i32 v[26:27], v0, v18, v[16:17]
	v_mov_b32_e32 v0, 0
	ds_load_2addr_b64 v[36:39], v1 offset1:1
	ds_load_2addr_b64 v[84:87], v1 offset0:2 offset1:3
	v_mov_b32_e32 v1, 0
	s_wait_dscnt 0x1
	;;#ASMSTART
	v_cvt_f16_f32 v53, v36;

	;;#ASMEND
	;;#ASMSTART
	v_cvt_f16_f32 v51, v37;

	;;#ASMEND
	;; [unrolled: 4-line block ×4, first 2 shown]
	s_wait_dscnt 0x0
	;;#ASMSTART
	v_cvt_f16_f32 v101, v84;

	;;#ASMEND
	;;#ASMSTART
	v_cvt_f16_f32 v54, v85;

	;;#ASMEND
	;; [unrolled: 4-line block ×4, first 2 shown]
	flat_load_b64 v[36:37], v[26:27]
	flat_load_b32 v28, v[22:23]
	s_wait_loadcnt_dscnt 0x101
	v_and_b32_e32 v6, 0xff, v36
	s_wait_xcnt 0x0
	s_delay_alu instid0(VALU_DEP_1)
	v_cmpx_ne_u16_e32 0, v6
	s_cbranch_execz .LBB259_828
; %bb.821:                              ;   in Loop: Header=BB259_819 Depth=1
	v_mov_b32_e32 v1, 0x8000
	s_mov_b32 s18, exec_lo
	v_cmpx_ne_u16_e32 0x80, v6
	s_cbranch_execz .LBB259_827
; %bb.822:                              ;   in Loop: Header=BB259_819 Depth=1
	v_and_b32_e32 v9, 0x7f, v36
	v_mov_b32_e32 v1, 0x7c01
	s_mov_b32 s19, exec_lo
	s_delay_alu instid0(VALU_DEP_2)
	v_cmpx_ne_u32_e32 0x7f, v9
	s_cbranch_execz .LBB259_826
; %bb.823:                              ;   in Loop: Header=BB259_819 Depth=1
	v_dual_lshrrev_b32 v6, 3, v9 :: v_dual_bitop2_b32 v1, 7, v36 bitop3:0x40
	s_mov_b32 s20, exec_lo
	v_cmpx_gt_u32_e32 8, v9
; %bb.824:                              ;   in Loop: Header=BB259_819 Depth=1
	s_delay_alu instid0(VALU_DEP_2) | instskip(NEXT) | instid1(VALU_DEP_1)
	v_clz_i32_u32_e32 v1, v1
	v_min_u32_e32 v1, 32, v1
	s_delay_alu instid0(VALU_DEP_1) | instskip(NEXT) | instid1(VALU_DEP_1)
	v_subrev_nc_u32_e32 v6, 28, v1
	v_lshlrev_b64_e32 v[38:39], v6, v[36:37]
	s_delay_alu instid0(VALU_DEP_1)
	v_dual_sub_nc_u32 v6, 29, v1 :: v_dual_bitop2_b32 v1, 7, v38 bitop3:0x40
; %bb.825:                              ;   in Loop: Header=BB259_819 Depth=1
	s_or_b32 exec_lo, exec_lo, s20
	s_delay_alu instid0(VALU_DEP_1) | instskip(NEXT) | instid1(VALU_DEP_2)
	v_dual_lshlrev_b32 v9, 8, v36 :: v_dual_lshlrev_b32 v1, 7, v1
	v_lshl_add_u32 v6, v6, 10, 0x2000
	s_delay_alu instid0(VALU_DEP_2) | instskip(NEXT) | instid1(VALU_DEP_2)
	v_and_b32_e32 v9, 0x8000, v9
	v_and_b32_e32 v6, 0xfc00, v6
	s_delay_alu instid0(VALU_DEP_1)
	v_or3_b32 v1, v9, v6, v1
.LBB259_826:                            ;   in Loop: Header=BB259_819 Depth=1
	s_or_b32 exec_lo, exec_lo, s19
.LBB259_827:                            ;   in Loop: Header=BB259_819 Depth=1
	s_delay_alu instid0(SALU_CYCLE_1)
	s_or_b32 exec_lo, exec_lo, s18
.LBB259_828:                            ;   in Loop: Header=BB259_819 Depth=1
	s_delay_alu instid0(SALU_CYCLE_1) | instskip(SKIP_2) | instid1(VALU_DEP_1)
	s_or_b32 exec_lo, exec_lo, s0
	v_lshrrev_b16 v6, 8, v36
	s_mov_b32 s0, exec_lo
	v_cmpx_ne_u16_e32 0, v6
	s_cbranch_execz .LBB259_836
; %bb.829:                              ;   in Loop: Header=BB259_819 Depth=1
	v_bfrev_b32_e32 v0, 1
	s_mov_b32 s18, exec_lo
	v_cmpx_ne_u16_e32 0x80, v6
	s_cbranch_execz .LBB259_835
; %bb.830:                              ;   in Loop: Header=BB259_819 Depth=1
	v_and_b32_e32 v9, 0xffff, v6
	v_mov_b32_e32 v0, 0x7c010000
	s_mov_b32 s19, exec_lo
	s_delay_alu instid0(VALU_DEP_2) | instskip(NEXT) | instid1(VALU_DEP_1)
	v_and_b32_e32 v29, 0x7f, v9
	v_cmpx_ne_u32_e32 0x7f, v29
	s_cbranch_execz .LBB259_834
; %bb.831:                              ;   in Loop: Header=BB259_819 Depth=1
	v_and_b32_e32 v0, 7, v9
	v_lshrrev_b32_e32 v19, 3, v29
	s_mov_b32 s20, exec_lo
	v_cmpx_gt_u32_e32 8, v29
; %bb.832:                              ;   in Loop: Header=BB259_819 Depth=1
	s_delay_alu instid0(VALU_DEP_3) | instskip(NEXT) | instid1(VALU_DEP_1)
	v_clz_i32_u32_e32 v0, v0
	v_min_u32_e32 v0, 32, v0
	s_delay_alu instid0(VALU_DEP_1) | instskip(NEXT) | instid1(VALU_DEP_1)
	v_subrev_nc_u32_e32 v19, 28, v0
	v_lshlrev_b64_e32 v[38:39], v19, v[6:7]
	s_delay_alu instid0(VALU_DEP_1)
	v_dual_sub_nc_u32 v19, 29, v0 :: v_dual_bitop2_b32 v0, 7, v38 bitop3:0x40
; %bb.833:                              ;   in Loop: Header=BB259_819 Depth=1
	s_or_b32 exec_lo, exec_lo, s20
	s_delay_alu instid0(VALU_DEP_1) | instskip(NEXT) | instid1(VALU_DEP_2)
	v_dual_lshlrev_b32 v6, 8, v9 :: v_dual_lshlrev_b32 v0, 23, v0
	v_lshl_add_u32 v9, v19, 10, 0x2000
	s_delay_alu instid0(VALU_DEP_1) | instskip(NEXT) | instid1(VALU_DEP_1)
	v_and_or_b32 v6, 0x8000, v6, v9
	v_lshl_or_b32 v0, v6, 16, v0
.LBB259_834:                            ;   in Loop: Header=BB259_819 Depth=1
	s_or_b32 exec_lo, exec_lo, s19
.LBB259_835:                            ;   in Loop: Header=BB259_819 Depth=1
	s_delay_alu instid0(SALU_CYCLE_1)
	s_or_b32 exec_lo, exec_lo, s18
.LBB259_836:                            ;   in Loop: Header=BB259_819 Depth=1
	s_delay_alu instid0(SALU_CYCLE_1) | instskip(SKIP_3) | instid1(VALU_DEP_2)
	s_or_b32 exec_lo, exec_lo, s0
	v_dual_mov_b32 v9, 0 :: v_dual_lshrrev_b32 v6, 16, v36
	v_mov_b32_e32 v19, 0
	s_mov_b32 s0, exec_lo
	v_and_b32_e32 v29, 0xff, v6
	s_delay_alu instid0(VALU_DEP_1)
	v_cmpx_ne_u16_e32 0, v29
	s_cbranch_execz .LBB259_844
; %bb.837:                              ;   in Loop: Header=BB259_819 Depth=1
	v_mov_b32_e32 v19, 0x8000
	s_mov_b32 s18, exec_lo
	v_cmpx_ne_u16_e32 0x80, v29
	s_cbranch_execz .LBB259_843
; %bb.838:                              ;   in Loop: Header=BB259_819 Depth=1
	v_bfe_u32 v38, v36, 16, 7
	v_mov_b32_e32 v19, 0x7c01
	s_mov_b32 s19, exec_lo
	s_delay_alu instid0(VALU_DEP_2)
	v_cmpx_ne_u32_e32 0x7f, v38
	s_cbranch_execz .LBB259_842
; %bb.839:                              ;   in Loop: Header=BB259_819 Depth=1
	v_and_b32_e32 v19, 7, v6
	v_lshrrev_b32_e32 v29, 3, v38
	s_mov_b32 s20, exec_lo
	v_cmpx_gt_u32_e32 8, v38
; %bb.840:                              ;   in Loop: Header=BB259_819 Depth=1
	s_delay_alu instid0(VALU_DEP_3) | instskip(NEXT) | instid1(VALU_DEP_1)
	v_clz_i32_u32_e32 v19, v19
	v_min_u32_e32 v19, 32, v19
	s_delay_alu instid0(VALU_DEP_1) | instskip(NEXT) | instid1(VALU_DEP_1)
	v_subrev_nc_u32_e32 v29, 28, v19
	v_lshlrev_b64_e32 v[38:39], v29, v[6:7]
	s_delay_alu instid0(VALU_DEP_1)
	v_dual_sub_nc_u32 v29, 29, v19 :: v_dual_bitop2_b32 v19, 7, v38 bitop3:0x40
; %bb.841:                              ;   in Loop: Header=BB259_819 Depth=1
	s_or_b32 exec_lo, exec_lo, s20
	s_delay_alu instid0(VALU_DEP_1) | instskip(NEXT) | instid1(VALU_DEP_2)
	v_dual_lshlrev_b32 v6, 8, v6 :: v_dual_lshlrev_b32 v19, 7, v19
	v_lshl_add_u32 v29, v29, 10, 0x2000
	s_delay_alu instid0(VALU_DEP_2) | instskip(NEXT) | instid1(VALU_DEP_2)
	v_and_b32_e32 v6, 0x8000, v6
	v_and_b32_e32 v29, 0xfc00, v29
	s_delay_alu instid0(VALU_DEP_1)
	v_or3_b32 v19, v6, v29, v19
.LBB259_842:                            ;   in Loop: Header=BB259_819 Depth=1
	s_or_b32 exec_lo, exec_lo, s19
.LBB259_843:                            ;   in Loop: Header=BB259_819 Depth=1
	s_delay_alu instid0(SALU_CYCLE_1)
	s_or_b32 exec_lo, exec_lo, s18
.LBB259_844:                            ;   in Loop: Header=BB259_819 Depth=1
	s_delay_alu instid0(SALU_CYCLE_1) | instskip(NEXT) | instid1(SALU_CYCLE_1)
	s_or_b32 exec_lo, exec_lo, s0
	s_mov_b32 s0, exec_lo
	v_cmpx_lt_u32_e32 0xffffff, v36
	s_cbranch_execz .LBB259_852
; %bb.845:                              ;   in Loop: Header=BB259_819 Depth=1
	v_lshrrev_b32_e32 v6, 24, v36
	v_bfrev_b32_e32 v9, 1
	s_mov_b32 s18, exec_lo
	s_delay_alu instid0(VALU_DEP_2)
	v_cmpx_ne_u32_e32 0x80, v6
	s_cbranch_execz .LBB259_851
; %bb.846:                              ;   in Loop: Header=BB259_819 Depth=1
	v_and_b32_e32 v38, 0x7f, v6
	v_mov_b32_e32 v9, 0x7c010000
	s_mov_b32 s19, exec_lo
	s_delay_alu instid0(VALU_DEP_2)
	v_cmpx_ne_u32_e32 0x7f, v38
	s_cbranch_execz .LBB259_850
; %bb.847:                              ;   in Loop: Header=BB259_819 Depth=1
	v_and_b32_e32 v9, 7, v6
	v_lshrrev_b32_e32 v29, 3, v38
	s_mov_b32 s20, exec_lo
	v_cmpx_gt_u32_e32 8, v38
; %bb.848:                              ;   in Loop: Header=BB259_819 Depth=1
	s_delay_alu instid0(VALU_DEP_3) | instskip(NEXT) | instid1(VALU_DEP_1)
	v_clz_i32_u32_e32 v9, v9
	v_min_u32_e32 v9, 32, v9
	s_delay_alu instid0(VALU_DEP_1) | instskip(NEXT) | instid1(VALU_DEP_1)
	v_subrev_nc_u32_e32 v29, 28, v9
	v_lshlrev_b64_e32 v[38:39], v29, v[6:7]
	s_delay_alu instid0(VALU_DEP_1)
	v_dual_sub_nc_u32 v29, 29, v9 :: v_dual_bitop2_b32 v9, 7, v38 bitop3:0x40
; %bb.849:                              ;   in Loop: Header=BB259_819 Depth=1
	s_or_b32 exec_lo, exec_lo, s20
	s_delay_alu instid0(VALU_DEP_1) | instskip(NEXT) | instid1(VALU_DEP_2)
	v_dual_lshlrev_b32 v6, 8, v6 :: v_dual_lshlrev_b32 v9, 23, v9
	v_lshl_add_u32 v29, v29, 10, 0x2000
	s_delay_alu instid0(VALU_DEP_1) | instskip(NEXT) | instid1(VALU_DEP_1)
	v_and_or_b32 v6, 0x8000, v6, v29
	v_lshl_or_b32 v9, v6, 16, v9
.LBB259_850:                            ;   in Loop: Header=BB259_819 Depth=1
	s_or_b32 exec_lo, exec_lo, s19
.LBB259_851:                            ;   in Loop: Header=BB259_819 Depth=1
	s_delay_alu instid0(SALU_CYCLE_1)
	s_or_b32 exec_lo, exec_lo, s18
.LBB259_852:                            ;   in Loop: Header=BB259_819 Depth=1
	s_delay_alu instid0(SALU_CYCLE_1) | instskip(SKIP_4) | instid1(VALU_DEP_3)
	s_or_b32 exec_lo, exec_lo, s0
	v_and_b32_e32 v39, 0xff, v37
	v_dual_mov_b32 v6, v37 :: v_dual_mov_b32 v38, 0
	v_mov_b32_e32 v29, 0
	s_mov_b32 s0, exec_lo
	v_cmpx_ne_u16_e32 0, v39
	s_cbranch_execz .LBB259_860
; %bb.853:                              ;   in Loop: Header=BB259_819 Depth=1
	v_mov_b32_e32 v29, 0x8000
	s_mov_b32 s18, exec_lo
	v_cmpx_ne_u16_e32 0x80, v39
	s_cbranch_execz .LBB259_859
; %bb.854:                              ;   in Loop: Header=BB259_819 Depth=1
	v_and_b32_e32 v48, 0x7f, v37
	v_mov_b32_e32 v29, 0x7c01
	s_mov_b32 s19, exec_lo
	s_delay_alu instid0(VALU_DEP_2)
	v_cmpx_ne_u32_e32 0x7f, v48
	s_cbranch_execz .LBB259_858
; %bb.855:                              ;   in Loop: Header=BB259_819 Depth=1
	v_dual_lshrrev_b32 v39, 3, v48 :: v_dual_bitop2_b32 v29, 7, v37 bitop3:0x40
	s_mov_b32 s20, exec_lo
	v_cmpx_gt_u32_e32 8, v48
; %bb.856:                              ;   in Loop: Header=BB259_819 Depth=1
	s_delay_alu instid0(VALU_DEP_2) | instskip(NEXT) | instid1(VALU_DEP_1)
	v_clz_i32_u32_e32 v29, v29
	v_min_u32_e32 v29, 32, v29
	s_delay_alu instid0(VALU_DEP_1) | instskip(NEXT) | instid1(VALU_DEP_1)
	v_subrev_nc_u32_e32 v39, 28, v29
	v_lshlrev_b64_e32 v[48:49], v39, v[6:7]
	s_delay_alu instid0(VALU_DEP_1)
	v_dual_sub_nc_u32 v39, 29, v29 :: v_dual_bitop2_b32 v29, 7, v48 bitop3:0x40
; %bb.857:                              ;   in Loop: Header=BB259_819 Depth=1
	s_or_b32 exec_lo, exec_lo, s20
	v_lshlrev_b32_e32 v48, 8, v37
	s_delay_alu instid0(VALU_DEP_2) | instskip(NEXT) | instid1(VALU_DEP_3)
	v_lshl_add_u32 v39, v39, 10, 0x2000
	v_lshlrev_b32_e32 v29, 7, v29
	s_delay_alu instid0(VALU_DEP_3) | instskip(NEXT) | instid1(VALU_DEP_3)
	v_and_b32_e32 v48, 0x8000, v48
	v_and_b32_e32 v39, 0xfc00, v39
	s_delay_alu instid0(VALU_DEP_1)
	v_or3_b32 v29, v48, v39, v29
.LBB259_858:                            ;   in Loop: Header=BB259_819 Depth=1
	s_or_b32 exec_lo, exec_lo, s19
.LBB259_859:                            ;   in Loop: Header=BB259_819 Depth=1
	s_delay_alu instid0(SALU_CYCLE_1)
	s_or_b32 exec_lo, exec_lo, s18
.LBB259_860:                            ;   in Loop: Header=BB259_819 Depth=1
	s_delay_alu instid0(SALU_CYCLE_1) | instskip(SKIP_3) | instid1(VALU_DEP_2)
	s_or_b32 exec_lo, exec_lo, s0
	v_lshrrev_b16 v6, 8, v6
	v_mov_b32_e32 v39, 0
	s_mov_b32 s0, exec_lo
	v_cmpx_ne_u16_e32 0, v6
	s_cbranch_execz .LBB259_868
; %bb.861:                              ;   in Loop: Header=BB259_819 Depth=1
	v_bfrev_b32_e32 v39, 1
	s_mov_b32 s18, exec_lo
	v_cmpx_ne_u16_e32 0x80, v6
	s_cbranch_execz .LBB259_867
; %bb.862:                              ;   in Loop: Header=BB259_819 Depth=1
	v_and_b32_e32 v48, 0xffff, v6
	v_mov_b32_e32 v39, 0x7c010000
	s_mov_b32 s19, exec_lo
	s_delay_alu instid0(VALU_DEP_2) | instskip(NEXT) | instid1(VALU_DEP_1)
	v_and_b32_e32 v50, 0x7f, v48
	v_cmpx_ne_u32_e32 0x7f, v50
	s_cbranch_execz .LBB259_866
; %bb.863:                              ;   in Loop: Header=BB259_819 Depth=1
	v_dual_lshrrev_b32 v49, 3, v50 :: v_dual_bitop2_b32 v39, 7, v48 bitop3:0x40
	s_mov_b32 s20, exec_lo
	v_cmpx_gt_u32_e32 8, v50
; %bb.864:                              ;   in Loop: Header=BB259_819 Depth=1
	s_delay_alu instid0(VALU_DEP_2) | instskip(NEXT) | instid1(VALU_DEP_1)
	v_clz_i32_u32_e32 v39, v39
	v_min_u32_e32 v39, 32, v39
	s_delay_alu instid0(VALU_DEP_1) | instskip(NEXT) | instid1(VALU_DEP_1)
	v_subrev_nc_u32_e32 v49, 28, v39
	v_lshlrev_b64_e32 v[84:85], v49, v[6:7]
	s_delay_alu instid0(VALU_DEP_1)
	v_dual_sub_nc_u32 v49, 29, v39 :: v_dual_bitop2_b32 v39, 7, v84 bitop3:0x40
; %bb.865:                              ;   in Loop: Header=BB259_819 Depth=1
	s_or_b32 exec_lo, exec_lo, s20
	s_delay_alu instid0(VALU_DEP_1) | instskip(NEXT) | instid1(VALU_DEP_2)
	v_dual_lshlrev_b32 v6, 8, v48 :: v_dual_lshlrev_b32 v39, 23, v39
	v_lshl_add_u32 v48, v49, 10, 0x2000
	s_delay_alu instid0(VALU_DEP_1) | instskip(NEXT) | instid1(VALU_DEP_1)
	v_and_or_b32 v6, 0x8000, v6, v48
	v_lshl_or_b32 v39, v6, 16, v39
.LBB259_866:                            ;   in Loop: Header=BB259_819 Depth=1
	s_or_b32 exec_lo, exec_lo, s19
.LBB259_867:                            ;   in Loop: Header=BB259_819 Depth=1
	s_delay_alu instid0(SALU_CYCLE_1)
	s_or_b32 exec_lo, exec_lo, s18
.LBB259_868:                            ;   in Loop: Header=BB259_819 Depth=1
	s_delay_alu instid0(SALU_CYCLE_1) | instskip(SKIP_2) | instid1(VALU_DEP_1)
	s_or_b32 exec_lo, exec_lo, s0
	v_lshrrev_b32_e32 v6, 16, v37
	s_mov_b32 s0, exec_lo
	v_and_b32_e32 v48, 0xff, v6
	s_delay_alu instid0(VALU_DEP_1)
	v_cmpx_ne_u16_e32 0, v48
	s_cbranch_execz .LBB259_876
; %bb.869:                              ;   in Loop: Header=BB259_819 Depth=1
	v_mov_b32_e32 v38, 0x8000
	s_mov_b32 s18, exec_lo
	v_cmpx_ne_u16_e32 0x80, v48
	s_cbranch_execz .LBB259_875
; %bb.870:                              ;   in Loop: Header=BB259_819 Depth=1
	v_bfe_u32 v49, v37, 16, 7
	v_mov_b32_e32 v38, 0x7c01
	s_mov_b32 s19, exec_lo
	s_delay_alu instid0(VALU_DEP_2)
	v_cmpx_ne_u32_e32 0x7f, v49
	s_cbranch_execz .LBB259_874
; %bb.871:                              ;   in Loop: Header=BB259_819 Depth=1
	v_dual_lshrrev_b32 v48, 3, v49 :: v_dual_bitop2_b32 v38, 7, v6 bitop3:0x40
	s_mov_b32 s20, exec_lo
	v_cmpx_gt_u32_e32 8, v49
; %bb.872:                              ;   in Loop: Header=BB259_819 Depth=1
	s_delay_alu instid0(VALU_DEP_2) | instskip(NEXT) | instid1(VALU_DEP_1)
	v_clz_i32_u32_e32 v38, v38
	v_min_u32_e32 v38, 32, v38
	s_delay_alu instid0(VALU_DEP_1) | instskip(NEXT) | instid1(VALU_DEP_1)
	v_subrev_nc_u32_e32 v48, 28, v38
	v_lshlrev_b64_e32 v[84:85], v48, v[6:7]
	s_delay_alu instid0(VALU_DEP_1)
	v_dual_sub_nc_u32 v48, 29, v38 :: v_dual_bitop2_b32 v38, 7, v84 bitop3:0x40
; %bb.873:                              ;   in Loop: Header=BB259_819 Depth=1
	s_or_b32 exec_lo, exec_lo, s20
	v_lshlrev_b32_e32 v6, 8, v6
	s_delay_alu instid0(VALU_DEP_2) | instskip(NEXT) | instid1(VALU_DEP_3)
	v_lshl_add_u32 v48, v48, 10, 0x2000
	v_lshlrev_b32_e32 v38, 7, v38
	s_delay_alu instid0(VALU_DEP_3) | instskip(NEXT) | instid1(VALU_DEP_3)
	v_and_b32_e32 v6, 0x8000, v6
	v_and_b32_e32 v48, 0xfc00, v48
	s_delay_alu instid0(VALU_DEP_1)
	v_or3_b32 v38, v6, v48, v38
.LBB259_874:                            ;   in Loop: Header=BB259_819 Depth=1
	s_or_b32 exec_lo, exec_lo, s19
.LBB259_875:                            ;   in Loop: Header=BB259_819 Depth=1
	s_delay_alu instid0(SALU_CYCLE_1)
	s_or_b32 exec_lo, exec_lo, s18
.LBB259_876:                            ;   in Loop: Header=BB259_819 Depth=1
	s_delay_alu instid0(SALU_CYCLE_1)
	s_or_b32 exec_lo, exec_lo, s0
	v_cmp_lt_u64_e32 vcc_lo, s[2:3], v[36:37]
	v_mov_b32_e32 v36, 0
	s_and_saveexec_b32 s0, vcc_lo
	s_cbranch_execz .LBB259_884
; %bb.877:                              ;   in Loop: Header=BB259_819 Depth=1
	v_lshrrev_b32_e32 v6, 24, v37
	v_bfrev_b32_e32 v36, 1
	s_mov_b32 s18, exec_lo
	s_delay_alu instid0(VALU_DEP_2)
	v_cmpx_ne_u32_e32 0x80, v6
	s_cbranch_execz .LBB259_883
; %bb.878:                              ;   in Loop: Header=BB259_819 Depth=1
	v_and_b32_e32 v48, 0x7f, v6
	v_mov_b32_e32 v36, 0x7c010000
	s_mov_b32 s19, exec_lo
	s_delay_alu instid0(VALU_DEP_2)
	v_cmpx_ne_u32_e32 0x7f, v48
	s_cbranch_execz .LBB259_882
; %bb.879:                              ;   in Loop: Header=BB259_819 Depth=1
	v_dual_lshrrev_b32 v37, 3, v48 :: v_dual_bitop2_b32 v36, 7, v6 bitop3:0x40
	s_mov_b32 s20, exec_lo
	v_cmpx_gt_u32_e32 8, v48
; %bb.880:                              ;   in Loop: Header=BB259_819 Depth=1
	s_delay_alu instid0(VALU_DEP_2) | instskip(NEXT) | instid1(VALU_DEP_1)
	v_clz_i32_u32_e32 v36, v36
	v_min_u32_e32 v48, 32, v36
	s_delay_alu instid0(VALU_DEP_1) | instskip(NEXT) | instid1(VALU_DEP_1)
	v_subrev_nc_u32_e32 v36, 28, v48
	v_lshlrev_b64_e32 v[36:37], v36, v[6:7]
	v_sub_nc_u32_e32 v37, 29, v48
	s_delay_alu instid0(VALU_DEP_2)
	v_and_b32_e32 v36, 7, v36
; %bb.881:                              ;   in Loop: Header=BB259_819 Depth=1
	s_or_b32 exec_lo, exec_lo, s20
	s_delay_alu instid0(VALU_DEP_1) | instskip(NEXT) | instid1(VALU_DEP_3)
	v_dual_lshlrev_b32 v6, 8, v6 :: v_dual_lshlrev_b32 v36, 23, v36
	v_lshl_add_u32 v37, v37, 10, 0x2000
	s_delay_alu instid0(VALU_DEP_1) | instskip(NEXT) | instid1(VALU_DEP_1)
	v_and_or_b32 v6, 0x8000, v6, v37
	v_lshl_or_b32 v36, v6, 16, v36
.LBB259_882:                            ;   in Loop: Header=BB259_819 Depth=1
	s_or_b32 exec_lo, exec_lo, s19
.LBB259_883:                            ;   in Loop: Header=BB259_819 Depth=1
	s_delay_alu instid0(SALU_CYCLE_1)
	s_or_b32 exec_lo, exec_lo, s18
.LBB259_884:                            ;   in Loop: Header=BB259_819 Depth=1
	s_delay_alu instid0(SALU_CYCLE_1) | instskip(SKIP_4) | instid1(VALU_DEP_4)
	s_or_b32 exec_lo, exec_lo, s0
	v_dual_lshrrev_b32 v6, 16, v0 :: v_dual_lshrrev_b32 v37, 16, v9
	v_or_b32_e32 v48, v0, v1
	v_or_b32_e32 v9, v9, v19
	v_lshrrev_b32_e32 v19, 16, v39
	v_cvt_f32_f16_e32 v1, v6
	v_cvt_f32_f16_e32 v0, v37
	v_dual_add_nc_u32 v83, v71, v8 :: v_dual_bitop2_b32 v6, v36, v38 bitop3:0x54
	v_lshrrev_b32_e32 v38, 16, v36
	v_cvt_f32_f16_e32 v36, v9
	s_wait_loadcnt_dscnt 0x0
	v_pk_mul_f32 v[0:1], v[28:29], v[0:1] op_sel_hi:[0,1]
	v_cvt_f32_f16_e32 v37, v48
	v_cvt_f32_f16_e32 v48, v6
	;; [unrolled: 1-line block ×3, first 2 shown]
	v_cmp_eq_u32_e32 vcc_lo, v80, v81
	v_cvt_pk_f16_f32 v6, v0, v1
	v_or_b32_e32 v9, v39, v29
	v_cvt_f32_f16_e32 v39, v19
	v_pk_mul_f32 v[36:37], v[28:29], v[36:37] op_sel_hi:[0,1]
	v_or_b32_e32 v97, 1, v83
	v_or_b32_e32 v96, 3, v83
	v_cvt_f32_f16_e32 v49, v9
	v_pk_mul_f32 v[0:1], v[28:29], v[38:39] op_sel_hi:[0,1]
	v_cvt_pk_f16_f32 v9, v36, v37
	v_and_b32_e32 v39, 0xffff0000, v6
	v_or_b32_e32 v87, 4, v83
	v_pk_mul_f32 v[28:29], v[28:29], v[48:49] op_sel_hi:[0,1]
	v_cvt_pk_f16_f32 v0, v0, v1
	v_dual_lshlrev_b32 v48, 16, v6 :: v_dual_lshrrev_b32 v49, 16, v9
	v_and_b32_e32 v50, 0xffff, v9
	s_delay_alu instid0(VALU_DEP_4) | instskip(NEXT) | instid1(VALU_DEP_4)
	v_cvt_pk_f16_f32 v1, v28, v29
	v_and_b32_e32 v9, 0xffff0000, v0
	s_delay_alu instid0(VALU_DEP_4) | instskip(NEXT) | instid1(VALU_DEP_3)
	v_dual_lshlrev_b32 v6, 16, v0 :: v_dual_bitop2_b32 v29, v39, v49 bitop3:0x54
	v_dual_add_nc_u32 v98, 2, v83 :: v_dual_lshrrev_b32 v37, 16, v1
	v_or_b32_e32 v36, v48, v50
	v_and_b32_e32 v38, 0xffff, v1
	v_or_b32_e32 v86, 6, v83
	v_or_b32_e32 v85, 5, v83
	;; [unrolled: 1-line block ×5, first 2 shown]
	s_and_saveexec_b32 s18, vcc_lo
	s_cbranch_execz .LBB259_886
; %bb.885:                              ;   in Loop: Header=BB259_819 Depth=1
	v_cmp_lt_i32_e64 s0, v83, v13
	s_delay_alu instid0(VALU_DEP_1) | instskip(SKIP_1) | instid1(VALU_DEP_1)
	v_cndmask_b32_e64 v0, 0, v49, s0
	v_cmp_lt_i32_e64 s0, v98, v12
	v_cndmask_b32_e64 v1, 0, v50, s0
	v_cmp_lt_i32_e64 s0, v97, v13
	s_delay_alu instid0(VALU_DEP_1) | instskip(SKIP_1) | instid1(VALU_DEP_1)
	v_cndmask_b32_e64 v19, 0, v39, s0
	v_cmp_lt_i32_e64 s0, v96, v12
	v_cndmask_b32_e64 v28, 0, v48, s0
	v_cmp_lt_i32_e64 s0, v87, v13
	s_delay_alu instid0(VALU_DEP_4) | instskip(NEXT) | instid1(VALU_DEP_2)
	v_or_b32_e32 v29, v0, v19
	v_dual_cndmask_b32 v37, 0, v37, s0 :: v_dual_bitop2_b32 v36, v1, v28 bitop3:0x54
	v_cmp_lt_i32_e64 s0, v86, v12
	s_delay_alu instid0(VALU_DEP_1) | instskip(SKIP_1) | instid1(VALU_DEP_1)
	v_cndmask_b32_e64 v38, 0, v38, s0
	v_cmp_lt_i32_e64 s0, v85, v13
	v_cndmask_b32_e64 v9, 0, v9, s0
	v_cmp_lt_i32_e64 s0, v84, v12
	s_delay_alu instid0(VALU_DEP_1) | instskip(NEXT) | instid1(VALU_DEP_1)
	v_dual_cndmask_b32 v6, 0, v6, s0 :: v_dual_bitop2_b32 v19, v37, v9 bitop3:0x54
	v_or_b32_e32 v28, v38, v6
.LBB259_886:                            ;   in Loop: Header=BB259_819 Depth=1
	s_or_b32 exec_lo, exec_lo, s18
	v_and_b32_e32 v0, 0xffff, v53
	v_and_b32_e32 v1, 0xffff, v99
	;; [unrolled: 1-line block ×4, first 2 shown]
	s_mov_b32 s18, exec_lo
	v_lshl_or_b32 v99, v51, 16, v0
	;;#ASMSTART
	v_pk_mul_f16 v0, v99, v29;

	;;#ASMEND
	v_lshl_or_b32 v53, v52, 16, v1
	v_lshl_or_b32 v52, v54, 16, v6
	;; [unrolled: 1-line block ×3, first 2 shown]
	;;#ASMSTART
	v_pk_mul_f16 v1, v53, v36;

	;;#ASMEND
	;;#ASMSTART
	v_pk_mul_f16 v6, v52, v19;

	;;#ASMEND
	;; [unrolled: 4-line block ×3, first 2 shown]
	;;#ASMSTART
	v_pk_add_f16 v0, v0, v1;

	;;#ASMEND
	;;#ASMSTART
	v_pk_add_f16 v0, v0, v6;

	;;#ASMEND
	;; [unrolled: 4-line block ×3, first 2 shown]
	v_and_b32_e32 v1, 0xffff, v0
	v_lshrrev_b32_e32 v0, 16, v0
	;;#ASMSTART
	v_cvt_f32_f16 v54, v1;
	;;#ASMEND
	v_mov_b32_e32 v1, 0
	;;#ASMSTART
	v_cvt_f32_f16 v100, v0;
	;;#ASMEND
	flat_load_b64 v[36:37], v[26:27] offset:256
	flat_load_b32 v28, v[22:23]
	v_mov_b32_e32 v0, 0
	s_wait_loadcnt_dscnt 0x101
	v_and_b32_e32 v6, 0xff, v36
	s_wait_xcnt 0x0
	s_delay_alu instid0(VALU_DEP_1)
	v_cmpx_ne_u16_e32 0, v6
	s_cbranch_execz .LBB259_894
; %bb.887:                              ;   in Loop: Header=BB259_819 Depth=1
	v_mov_b32_e32 v1, 0x8000
	s_mov_b32 s19, exec_lo
	v_cmpx_ne_u16_e32 0x80, v6
	s_cbranch_execz .LBB259_893
; %bb.888:                              ;   in Loop: Header=BB259_819 Depth=1
	v_and_b32_e32 v9, 0x7f, v36
	v_mov_b32_e32 v1, 0x7c01
	s_mov_b32 s20, exec_lo
	s_delay_alu instid0(VALU_DEP_2)
	v_cmpx_ne_u32_e32 0x7f, v9
	s_cbranch_execz .LBB259_892
; %bb.889:                              ;   in Loop: Header=BB259_819 Depth=1
	v_dual_lshrrev_b32 v6, 3, v9 :: v_dual_bitop2_b32 v1, 7, v36 bitop3:0x40
	s_mov_b32 s21, exec_lo
	v_cmpx_gt_u32_e32 8, v9
; %bb.890:                              ;   in Loop: Header=BB259_819 Depth=1
	s_delay_alu instid0(VALU_DEP_2) | instskip(NEXT) | instid1(VALU_DEP_1)
	v_clz_i32_u32_e32 v1, v1
	v_min_u32_e32 v1, 32, v1
	s_delay_alu instid0(VALU_DEP_1) | instskip(NEXT) | instid1(VALU_DEP_1)
	v_subrev_nc_u32_e32 v6, 28, v1
	v_lshlrev_b64_e32 v[38:39], v6, v[36:37]
	s_delay_alu instid0(VALU_DEP_1)
	v_dual_sub_nc_u32 v6, 29, v1 :: v_dual_bitop2_b32 v1, 7, v38 bitop3:0x40
; %bb.891:                              ;   in Loop: Header=BB259_819 Depth=1
	s_or_b32 exec_lo, exec_lo, s21
	s_delay_alu instid0(VALU_DEP_1) | instskip(NEXT) | instid1(VALU_DEP_2)
	v_dual_lshlrev_b32 v9, 8, v36 :: v_dual_lshlrev_b32 v1, 7, v1
	v_lshl_add_u32 v6, v6, 10, 0x2000
	s_delay_alu instid0(VALU_DEP_2) | instskip(NEXT) | instid1(VALU_DEP_2)
	v_and_b32_e32 v9, 0x8000, v9
	v_and_b32_e32 v6, 0xfc00, v6
	s_delay_alu instid0(VALU_DEP_1)
	v_or3_b32 v1, v9, v6, v1
.LBB259_892:                            ;   in Loop: Header=BB259_819 Depth=1
	s_or_b32 exec_lo, exec_lo, s20
.LBB259_893:                            ;   in Loop: Header=BB259_819 Depth=1
	s_delay_alu instid0(SALU_CYCLE_1)
	s_or_b32 exec_lo, exec_lo, s19
.LBB259_894:                            ;   in Loop: Header=BB259_819 Depth=1
	s_delay_alu instid0(SALU_CYCLE_1) | instskip(SKIP_2) | instid1(VALU_DEP_1)
	s_or_b32 exec_lo, exec_lo, s18
	v_lshrrev_b16 v6, 8, v36
	s_mov_b32 s18, exec_lo
	v_cmpx_ne_u16_e32 0, v6
	s_cbranch_execz .LBB259_902
; %bb.895:                              ;   in Loop: Header=BB259_819 Depth=1
	v_bfrev_b32_e32 v0, 1
	s_mov_b32 s19, exec_lo
	v_cmpx_ne_u16_e32 0x80, v6
	s_cbranch_execz .LBB259_901
; %bb.896:                              ;   in Loop: Header=BB259_819 Depth=1
	v_and_b32_e32 v9, 0xffff, v6
	v_mov_b32_e32 v0, 0x7c010000
	s_mov_b32 s20, exec_lo
	s_delay_alu instid0(VALU_DEP_2) | instskip(NEXT) | instid1(VALU_DEP_1)
	v_and_b32_e32 v29, 0x7f, v9
	v_cmpx_ne_u32_e32 0x7f, v29
	s_cbranch_execz .LBB259_900
; %bb.897:                              ;   in Loop: Header=BB259_819 Depth=1
	v_and_b32_e32 v0, 7, v9
	v_lshrrev_b32_e32 v19, 3, v29
	s_mov_b32 s21, exec_lo
	v_cmpx_gt_u32_e32 8, v29
; %bb.898:                              ;   in Loop: Header=BB259_819 Depth=1
	s_delay_alu instid0(VALU_DEP_3) | instskip(NEXT) | instid1(VALU_DEP_1)
	v_clz_i32_u32_e32 v0, v0
	v_min_u32_e32 v0, 32, v0
	s_delay_alu instid0(VALU_DEP_1) | instskip(NEXT) | instid1(VALU_DEP_1)
	v_subrev_nc_u32_e32 v19, 28, v0
	v_lshlrev_b64_e32 v[38:39], v19, v[6:7]
	s_delay_alu instid0(VALU_DEP_1)
	v_dual_sub_nc_u32 v19, 29, v0 :: v_dual_bitop2_b32 v0, 7, v38 bitop3:0x40
; %bb.899:                              ;   in Loop: Header=BB259_819 Depth=1
	s_or_b32 exec_lo, exec_lo, s21
	s_delay_alu instid0(VALU_DEP_1) | instskip(NEXT) | instid1(VALU_DEP_2)
	v_dual_lshlrev_b32 v6, 8, v9 :: v_dual_lshlrev_b32 v0, 23, v0
	v_lshl_add_u32 v9, v19, 10, 0x2000
	s_delay_alu instid0(VALU_DEP_1) | instskip(NEXT) | instid1(VALU_DEP_1)
	v_and_or_b32 v6, 0x8000, v6, v9
	v_lshl_or_b32 v0, v6, 16, v0
.LBB259_900:                            ;   in Loop: Header=BB259_819 Depth=1
	s_or_b32 exec_lo, exec_lo, s20
.LBB259_901:                            ;   in Loop: Header=BB259_819 Depth=1
	s_delay_alu instid0(SALU_CYCLE_1)
	s_or_b32 exec_lo, exec_lo, s19
.LBB259_902:                            ;   in Loop: Header=BB259_819 Depth=1
	s_delay_alu instid0(SALU_CYCLE_1) | instskip(SKIP_3) | instid1(VALU_DEP_2)
	s_or_b32 exec_lo, exec_lo, s18
	v_dual_mov_b32 v9, 0 :: v_dual_lshrrev_b32 v6, 16, v36
	v_mov_b32_e32 v19, 0
	s_mov_b32 s18, exec_lo
	v_and_b32_e32 v29, 0xff, v6
	s_delay_alu instid0(VALU_DEP_1)
	v_cmpx_ne_u16_e32 0, v29
	s_cbranch_execz .LBB259_910
; %bb.903:                              ;   in Loop: Header=BB259_819 Depth=1
	v_mov_b32_e32 v19, 0x8000
	s_mov_b32 s19, exec_lo
	v_cmpx_ne_u16_e32 0x80, v29
	s_cbranch_execz .LBB259_909
; %bb.904:                              ;   in Loop: Header=BB259_819 Depth=1
	v_bfe_u32 v38, v36, 16, 7
	v_mov_b32_e32 v19, 0x7c01
	s_mov_b32 s20, exec_lo
	s_delay_alu instid0(VALU_DEP_2)
	v_cmpx_ne_u32_e32 0x7f, v38
	s_cbranch_execz .LBB259_908
; %bb.905:                              ;   in Loop: Header=BB259_819 Depth=1
	v_and_b32_e32 v19, 7, v6
	v_lshrrev_b32_e32 v29, 3, v38
	s_mov_b32 s21, exec_lo
	v_cmpx_gt_u32_e32 8, v38
; %bb.906:                              ;   in Loop: Header=BB259_819 Depth=1
	s_delay_alu instid0(VALU_DEP_3) | instskip(NEXT) | instid1(VALU_DEP_1)
	v_clz_i32_u32_e32 v19, v19
	v_min_u32_e32 v19, 32, v19
	s_delay_alu instid0(VALU_DEP_1) | instskip(NEXT) | instid1(VALU_DEP_1)
	v_subrev_nc_u32_e32 v29, 28, v19
	v_lshlrev_b64_e32 v[38:39], v29, v[6:7]
	s_delay_alu instid0(VALU_DEP_1)
	v_dual_sub_nc_u32 v29, 29, v19 :: v_dual_bitop2_b32 v19, 7, v38 bitop3:0x40
; %bb.907:                              ;   in Loop: Header=BB259_819 Depth=1
	s_or_b32 exec_lo, exec_lo, s21
	s_delay_alu instid0(VALU_DEP_1) | instskip(NEXT) | instid1(VALU_DEP_2)
	v_dual_lshlrev_b32 v6, 8, v6 :: v_dual_lshlrev_b32 v19, 7, v19
	v_lshl_add_u32 v29, v29, 10, 0x2000
	s_delay_alu instid0(VALU_DEP_2) | instskip(NEXT) | instid1(VALU_DEP_2)
	v_and_b32_e32 v6, 0x8000, v6
	v_and_b32_e32 v29, 0xfc00, v29
	s_delay_alu instid0(VALU_DEP_1)
	v_or3_b32 v19, v6, v29, v19
.LBB259_908:                            ;   in Loop: Header=BB259_819 Depth=1
	s_or_b32 exec_lo, exec_lo, s20
.LBB259_909:                            ;   in Loop: Header=BB259_819 Depth=1
	s_delay_alu instid0(SALU_CYCLE_1)
	s_or_b32 exec_lo, exec_lo, s19
.LBB259_910:                            ;   in Loop: Header=BB259_819 Depth=1
	s_delay_alu instid0(SALU_CYCLE_1) | instskip(NEXT) | instid1(SALU_CYCLE_1)
	s_or_b32 exec_lo, exec_lo, s18
	s_mov_b32 s18, exec_lo
	v_cmpx_lt_u32_e32 0xffffff, v36
	s_cbranch_execz .LBB259_918
; %bb.911:                              ;   in Loop: Header=BB259_819 Depth=1
	v_lshrrev_b32_e32 v6, 24, v36
	v_bfrev_b32_e32 v9, 1
	s_mov_b32 s19, exec_lo
	s_delay_alu instid0(VALU_DEP_2)
	v_cmpx_ne_u32_e32 0x80, v6
	s_cbranch_execz .LBB259_917
; %bb.912:                              ;   in Loop: Header=BB259_819 Depth=1
	v_and_b32_e32 v38, 0x7f, v6
	v_mov_b32_e32 v9, 0x7c010000
	s_mov_b32 s20, exec_lo
	s_delay_alu instid0(VALU_DEP_2)
	v_cmpx_ne_u32_e32 0x7f, v38
	s_cbranch_execz .LBB259_916
; %bb.913:                              ;   in Loop: Header=BB259_819 Depth=1
	v_and_b32_e32 v9, 7, v6
	v_lshrrev_b32_e32 v29, 3, v38
	s_mov_b32 s21, exec_lo
	v_cmpx_gt_u32_e32 8, v38
; %bb.914:                              ;   in Loop: Header=BB259_819 Depth=1
	s_delay_alu instid0(VALU_DEP_3) | instskip(NEXT) | instid1(VALU_DEP_1)
	v_clz_i32_u32_e32 v9, v9
	v_min_u32_e32 v9, 32, v9
	s_delay_alu instid0(VALU_DEP_1) | instskip(NEXT) | instid1(VALU_DEP_1)
	v_subrev_nc_u32_e32 v29, 28, v9
	v_lshlrev_b64_e32 v[38:39], v29, v[6:7]
	s_delay_alu instid0(VALU_DEP_1)
	v_dual_sub_nc_u32 v29, 29, v9 :: v_dual_bitop2_b32 v9, 7, v38 bitop3:0x40
; %bb.915:                              ;   in Loop: Header=BB259_819 Depth=1
	s_or_b32 exec_lo, exec_lo, s21
	s_delay_alu instid0(VALU_DEP_1) | instskip(NEXT) | instid1(VALU_DEP_2)
	v_dual_lshlrev_b32 v6, 8, v6 :: v_dual_lshlrev_b32 v9, 23, v9
	v_lshl_add_u32 v29, v29, 10, 0x2000
	s_delay_alu instid0(VALU_DEP_1) | instskip(NEXT) | instid1(VALU_DEP_1)
	v_and_or_b32 v6, 0x8000, v6, v29
	v_lshl_or_b32 v9, v6, 16, v9
.LBB259_916:                            ;   in Loop: Header=BB259_819 Depth=1
	s_or_b32 exec_lo, exec_lo, s20
.LBB259_917:                            ;   in Loop: Header=BB259_819 Depth=1
	s_delay_alu instid0(SALU_CYCLE_1)
	s_or_b32 exec_lo, exec_lo, s19
.LBB259_918:                            ;   in Loop: Header=BB259_819 Depth=1
	s_delay_alu instid0(SALU_CYCLE_1) | instskip(SKIP_4) | instid1(VALU_DEP_3)
	s_or_b32 exec_lo, exec_lo, s18
	v_and_b32_e32 v39, 0xff, v37
	v_dual_mov_b32 v6, v37 :: v_dual_mov_b32 v38, 0
	v_mov_b32_e32 v29, 0
	s_mov_b32 s18, exec_lo
	v_cmpx_ne_u16_e32 0, v39
	s_cbranch_execz .LBB259_926
; %bb.919:                              ;   in Loop: Header=BB259_819 Depth=1
	v_mov_b32_e32 v29, 0x8000
	s_mov_b32 s19, exec_lo
	v_cmpx_ne_u16_e32 0x80, v39
	s_cbranch_execz .LBB259_925
; %bb.920:                              ;   in Loop: Header=BB259_819 Depth=1
	v_and_b32_e32 v48, 0x7f, v37
	v_mov_b32_e32 v29, 0x7c01
	s_mov_b32 s20, exec_lo
	s_delay_alu instid0(VALU_DEP_2)
	v_cmpx_ne_u32_e32 0x7f, v48
	s_cbranch_execz .LBB259_924
; %bb.921:                              ;   in Loop: Header=BB259_819 Depth=1
	v_dual_lshrrev_b32 v39, 3, v48 :: v_dual_bitop2_b32 v29, 7, v37 bitop3:0x40
	s_mov_b32 s21, exec_lo
	v_cmpx_gt_u32_e32 8, v48
; %bb.922:                              ;   in Loop: Header=BB259_819 Depth=1
	s_delay_alu instid0(VALU_DEP_2) | instskip(NEXT) | instid1(VALU_DEP_1)
	v_clz_i32_u32_e32 v29, v29
	v_min_u32_e32 v29, 32, v29
	s_delay_alu instid0(VALU_DEP_1) | instskip(NEXT) | instid1(VALU_DEP_1)
	v_subrev_nc_u32_e32 v39, 28, v29
	v_lshlrev_b64_e32 v[48:49], v39, v[6:7]
	s_delay_alu instid0(VALU_DEP_1)
	v_dual_sub_nc_u32 v39, 29, v29 :: v_dual_bitop2_b32 v29, 7, v48 bitop3:0x40
; %bb.923:                              ;   in Loop: Header=BB259_819 Depth=1
	s_or_b32 exec_lo, exec_lo, s21
	v_lshlrev_b32_e32 v48, 8, v37
	s_delay_alu instid0(VALU_DEP_2) | instskip(NEXT) | instid1(VALU_DEP_3)
	v_lshl_add_u32 v39, v39, 10, 0x2000
	v_lshlrev_b32_e32 v29, 7, v29
	s_delay_alu instid0(VALU_DEP_3) | instskip(NEXT) | instid1(VALU_DEP_3)
	v_and_b32_e32 v48, 0x8000, v48
	v_and_b32_e32 v39, 0xfc00, v39
	s_delay_alu instid0(VALU_DEP_1)
	v_or3_b32 v29, v48, v39, v29
.LBB259_924:                            ;   in Loop: Header=BB259_819 Depth=1
	s_or_b32 exec_lo, exec_lo, s20
.LBB259_925:                            ;   in Loop: Header=BB259_819 Depth=1
	s_delay_alu instid0(SALU_CYCLE_1)
	s_or_b32 exec_lo, exec_lo, s19
.LBB259_926:                            ;   in Loop: Header=BB259_819 Depth=1
	s_delay_alu instid0(SALU_CYCLE_1) | instskip(SKIP_3) | instid1(VALU_DEP_2)
	s_or_b32 exec_lo, exec_lo, s18
	v_lshrrev_b16 v6, 8, v6
	v_mov_b32_e32 v39, 0
	s_mov_b32 s18, exec_lo
	v_cmpx_ne_u16_e32 0, v6
	s_cbranch_execz .LBB259_934
; %bb.927:                              ;   in Loop: Header=BB259_819 Depth=1
	v_bfrev_b32_e32 v39, 1
	s_mov_b32 s19, exec_lo
	v_cmpx_ne_u16_e32 0x80, v6
	s_cbranch_execz .LBB259_933
; %bb.928:                              ;   in Loop: Header=BB259_819 Depth=1
	v_and_b32_e32 v48, 0xffff, v6
	v_mov_b32_e32 v39, 0x7c010000
	s_mov_b32 s20, exec_lo
	s_delay_alu instid0(VALU_DEP_2) | instskip(NEXT) | instid1(VALU_DEP_1)
	v_and_b32_e32 v50, 0x7f, v48
	v_cmpx_ne_u32_e32 0x7f, v50
	s_cbranch_execz .LBB259_932
; %bb.929:                              ;   in Loop: Header=BB259_819 Depth=1
	v_dual_lshrrev_b32 v49, 3, v50 :: v_dual_bitop2_b32 v39, 7, v48 bitop3:0x40
	s_mov_b32 s21, exec_lo
	v_cmpx_gt_u32_e32 8, v50
; %bb.930:                              ;   in Loop: Header=BB259_819 Depth=1
	s_delay_alu instid0(VALU_DEP_2) | instskip(NEXT) | instid1(VALU_DEP_1)
	v_clz_i32_u32_e32 v39, v39
	v_min_u32_e32 v39, 32, v39
	s_delay_alu instid0(VALU_DEP_1) | instskip(NEXT) | instid1(VALU_DEP_1)
	v_subrev_nc_u32_e32 v49, 28, v39
	v_lshlrev_b64_e32 v[102:103], v49, v[6:7]
	s_delay_alu instid0(VALU_DEP_1)
	v_dual_sub_nc_u32 v49, 29, v39 :: v_dual_bitop2_b32 v39, 7, v102 bitop3:0x40
; %bb.931:                              ;   in Loop: Header=BB259_819 Depth=1
	s_or_b32 exec_lo, exec_lo, s21
	s_delay_alu instid0(VALU_DEP_1) | instskip(NEXT) | instid1(VALU_DEP_2)
	v_dual_lshlrev_b32 v6, 8, v48 :: v_dual_lshlrev_b32 v39, 23, v39
	v_lshl_add_u32 v48, v49, 10, 0x2000
	s_delay_alu instid0(VALU_DEP_1) | instskip(NEXT) | instid1(VALU_DEP_1)
	v_and_or_b32 v6, 0x8000, v6, v48
	v_lshl_or_b32 v39, v6, 16, v39
.LBB259_932:                            ;   in Loop: Header=BB259_819 Depth=1
	s_or_b32 exec_lo, exec_lo, s20
.LBB259_933:                            ;   in Loop: Header=BB259_819 Depth=1
	s_delay_alu instid0(SALU_CYCLE_1)
	s_or_b32 exec_lo, exec_lo, s19
.LBB259_934:                            ;   in Loop: Header=BB259_819 Depth=1
	s_delay_alu instid0(SALU_CYCLE_1) | instskip(SKIP_2) | instid1(VALU_DEP_1)
	s_or_b32 exec_lo, exec_lo, s18
	v_lshrrev_b32_e32 v6, 16, v37
	s_mov_b32 s18, exec_lo
	v_and_b32_e32 v48, 0xff, v6
	s_delay_alu instid0(VALU_DEP_1)
	v_cmpx_ne_u16_e32 0, v48
	s_cbranch_execz .LBB259_942
; %bb.935:                              ;   in Loop: Header=BB259_819 Depth=1
	v_mov_b32_e32 v38, 0x8000
	s_mov_b32 s19, exec_lo
	v_cmpx_ne_u16_e32 0x80, v48
	s_cbranch_execz .LBB259_941
; %bb.936:                              ;   in Loop: Header=BB259_819 Depth=1
	v_bfe_u32 v49, v37, 16, 7
	v_mov_b32_e32 v38, 0x7c01
	s_mov_b32 s20, exec_lo
	s_delay_alu instid0(VALU_DEP_2)
	v_cmpx_ne_u32_e32 0x7f, v49
	s_cbranch_execz .LBB259_940
; %bb.937:                              ;   in Loop: Header=BB259_819 Depth=1
	v_dual_lshrrev_b32 v48, 3, v49 :: v_dual_bitop2_b32 v38, 7, v6 bitop3:0x40
	s_mov_b32 s21, exec_lo
	v_cmpx_gt_u32_e32 8, v49
; %bb.938:                              ;   in Loop: Header=BB259_819 Depth=1
	s_delay_alu instid0(VALU_DEP_2) | instskip(NEXT) | instid1(VALU_DEP_1)
	v_clz_i32_u32_e32 v38, v38
	v_min_u32_e32 v38, 32, v38
	s_delay_alu instid0(VALU_DEP_1) | instskip(NEXT) | instid1(VALU_DEP_1)
	v_subrev_nc_u32_e32 v48, 28, v38
	v_lshlrev_b64_e32 v[102:103], v48, v[6:7]
	v_sub_nc_u32_e32 v48, 29, v38
	s_delay_alu instid0(VALU_DEP_2)
	v_and_b32_e32 v38, 7, v102
; %bb.939:                              ;   in Loop: Header=BB259_819 Depth=1
	s_or_b32 exec_lo, exec_lo, s21
	v_lshlrev_b32_e32 v6, 8, v6
	s_delay_alu instid0(VALU_DEP_3) | instskip(NEXT) | instid1(VALU_DEP_3)
	v_lshl_add_u32 v48, v48, 10, 0x2000
	v_lshlrev_b32_e32 v38, 7, v38
	s_delay_alu instid0(VALU_DEP_3) | instskip(NEXT) | instid1(VALU_DEP_3)
	v_and_b32_e32 v6, 0x8000, v6
	v_and_b32_e32 v48, 0xfc00, v48
	s_delay_alu instid0(VALU_DEP_1)
	v_or3_b32 v38, v6, v48, v38
.LBB259_940:                            ;   in Loop: Header=BB259_819 Depth=1
	s_or_b32 exec_lo, exec_lo, s20
.LBB259_941:                            ;   in Loop: Header=BB259_819 Depth=1
	s_delay_alu instid0(SALU_CYCLE_1)
	s_or_b32 exec_lo, exec_lo, s19
.LBB259_942:                            ;   in Loop: Header=BB259_819 Depth=1
	s_delay_alu instid0(SALU_CYCLE_1)
	s_or_b32 exec_lo, exec_lo, s18
	v_cmp_lt_u64_e64 s0, s[2:3], v[36:37]
	v_mov_b32_e32 v36, 0
	s_and_saveexec_b32 s18, s0
	s_cbranch_execz .LBB259_950
; %bb.943:                              ;   in Loop: Header=BB259_819 Depth=1
	v_lshrrev_b32_e32 v6, 24, v37
	v_bfrev_b32_e32 v36, 1
	s_mov_b32 s19, exec_lo
	s_delay_alu instid0(VALU_DEP_2)
	v_cmpx_ne_u32_e32 0x80, v6
	s_cbranch_execz .LBB259_949
; %bb.944:                              ;   in Loop: Header=BB259_819 Depth=1
	v_and_b32_e32 v48, 0x7f, v6
	v_mov_b32_e32 v36, 0x7c010000
	s_mov_b32 s20, exec_lo
	s_delay_alu instid0(VALU_DEP_2)
	v_cmpx_ne_u32_e32 0x7f, v48
	s_cbranch_execz .LBB259_948
; %bb.945:                              ;   in Loop: Header=BB259_819 Depth=1
	v_dual_lshrrev_b32 v37, 3, v48 :: v_dual_bitop2_b32 v36, 7, v6 bitop3:0x40
	s_mov_b32 s21, exec_lo
	v_cmpx_gt_u32_e32 8, v48
; %bb.946:                              ;   in Loop: Header=BB259_819 Depth=1
	s_delay_alu instid0(VALU_DEP_2) | instskip(NEXT) | instid1(VALU_DEP_1)
	v_clz_i32_u32_e32 v36, v36
	v_min_u32_e32 v48, 32, v36
	s_delay_alu instid0(VALU_DEP_1) | instskip(NEXT) | instid1(VALU_DEP_1)
	v_subrev_nc_u32_e32 v36, 28, v48
	v_lshlrev_b64_e32 v[36:37], v36, v[6:7]
	v_sub_nc_u32_e32 v37, 29, v48
	s_delay_alu instid0(VALU_DEP_2)
	v_and_b32_e32 v36, 7, v36
; %bb.947:                              ;   in Loop: Header=BB259_819 Depth=1
	s_or_b32 exec_lo, exec_lo, s21
	s_delay_alu instid0(VALU_DEP_1) | instskip(NEXT) | instid1(VALU_DEP_3)
	v_dual_lshlrev_b32 v6, 8, v6 :: v_dual_lshlrev_b32 v36, 23, v36
	v_lshl_add_u32 v37, v37, 10, 0x2000
	s_delay_alu instid0(VALU_DEP_1) | instskip(NEXT) | instid1(VALU_DEP_1)
	v_and_or_b32 v6, 0x8000, v6, v37
	v_lshl_or_b32 v36, v6, 16, v36
.LBB259_948:                            ;   in Loop: Header=BB259_819 Depth=1
	s_or_b32 exec_lo, exec_lo, s20
.LBB259_949:                            ;   in Loop: Header=BB259_819 Depth=1
	s_delay_alu instid0(SALU_CYCLE_1)
	s_or_b32 exec_lo, exec_lo, s19
.LBB259_950:                            ;   in Loop: Header=BB259_819 Depth=1
	s_delay_alu instid0(SALU_CYCLE_1) | instskip(SKIP_4) | instid1(VALU_DEP_4)
	s_or_b32 exec_lo, exec_lo, s18
	v_dual_lshrrev_b32 v6, 16, v0 :: v_dual_lshrrev_b32 v37, 16, v9
	v_or_b32_e32 v48, v0, v1
	v_or_b32_e32 v9, v9, v19
	v_lshrrev_b32_e32 v19, 16, v39
	v_cvt_f32_f16_e32 v1, v6
	v_cvt_f32_f16_e32 v0, v37
	v_dual_lshrrev_b32 v38, 16, v36 :: v_dual_bitop2_b32 v6, v36, v38 bitop3:0x54
	v_cvt_f32_f16_e32 v36, v9
	v_cvt_f32_f16_e32 v37, v48
	s_wait_loadcnt_dscnt 0x0
	v_pk_mul_f32 v[0:1], v[28:29], v[0:1] op_sel_hi:[0,1]
	v_cvt_f32_f16_e32 v48, v6
	v_cvt_f32_f16_e32 v38, v38
	v_pk_mul_f32 v[36:37], v[28:29], v[36:37] op_sel_hi:[0,1]
	s_delay_alu instid0(VALU_DEP_4) | instskip(SKIP_2) | instid1(VALU_DEP_2)
	v_cvt_pk_f16_f32 v6, v0, v1
	v_or_b32_e32 v9, v39, v29
	v_cvt_f32_f16_e32 v39, v19
	v_cvt_f32_f16_e32 v49, v9
	s_delay_alu instid0(VALU_DEP_2) | instskip(SKIP_2) | instid1(VALU_DEP_4)
	v_pk_mul_f32 v[0:1], v[28:29], v[38:39] op_sel_hi:[0,1]
	v_cvt_pk_f16_f32 v9, v36, v37
	v_lshlrev_b32_e32 v36, 16, v6
	v_pk_mul_f32 v[38:39], v[28:29], v[48:49] op_sel_hi:[0,1]
	s_delay_alu instid0(VALU_DEP_4)
	v_cvt_pk_f16_f32 v0, v0, v1
	v_and_b32_e32 v29, 0xffff0000, v6
	v_lshrrev_b32_e32 v49, 16, v9
	v_and_b32_e32 v50, 0xffff, v9
	v_cvt_pk_f16_f32 v1, v38, v39
	v_and_b32_e32 v9, 0xffff0000, v0
	s_delay_alu instid0(VALU_DEP_4) | instskip(NEXT) | instid1(VALU_DEP_3)
	v_dual_lshlrev_b32 v6, 16, v0 :: v_dual_bitop2_b32 v39, v29, v49 bitop3:0x54
	v_dual_lshrrev_b32 v19, 16, v1 :: v_dual_bitop2_b32 v48, v36, v50 bitop3:0x54
	v_and_b32_e32 v28, 0xffff, v1
	s_delay_alu instid0(VALU_DEP_2) | instskip(NEXT) | instid1(VALU_DEP_2)
	v_or_b32_e32 v37, v9, v19
	v_or_b32_e32 v38, v6, v28
	s_and_saveexec_b32 s18, vcc_lo
	s_cbranch_execz .LBB259_952
; %bb.951:                              ;   in Loop: Header=BB259_819 Depth=1
	v_cmp_lt_i32_e64 s0, v83, v13
	s_delay_alu instid0(VALU_DEP_1) | instskip(SKIP_1) | instid1(VALU_DEP_1)
	v_cndmask_b32_e64 v0, 0, v49, s0
	v_cmp_lt_i32_e64 s0, v98, v12
	v_cndmask_b32_e64 v1, 0, v50, s0
	v_cmp_lt_i32_e64 s0, v97, v13
	s_delay_alu instid0(VALU_DEP_1) | instskip(SKIP_1) | instid1(VALU_DEP_1)
	v_cndmask_b32_e64 v29, 0, v29, s0
	v_cmp_lt_i32_e64 s0, v96, v12
	v_cndmask_b32_e64 v36, 0, v36, s0
	v_cmp_lt_i32_e64 s0, v87, v13
	s_delay_alu instid0(VALU_DEP_4) | instskip(NEXT) | instid1(VALU_DEP_2)
	v_or_b32_e32 v39, v0, v29
	v_dual_cndmask_b32 v19, 0, v19, s0 :: v_dual_bitop2_b32 v48, v1, v36 bitop3:0x54
	v_cmp_lt_i32_e64 s0, v86, v12
	s_delay_alu instid0(VALU_DEP_1) | instskip(SKIP_1) | instid1(VALU_DEP_1)
	v_cndmask_b32_e64 v28, 0, v28, s0
	v_cmp_lt_i32_e64 s0, v85, v13
	v_cndmask_b32_e64 v9, 0, v9, s0
	v_cmp_lt_i32_e64 s0, v84, v12
	s_delay_alu instid0(VALU_DEP_1) | instskip(NEXT) | instid1(VALU_DEP_1)
	v_dual_cndmask_b32 v6, 0, v6, s0 :: v_dual_bitop2_b32 v37, v19, v9 bitop3:0x54
	v_or_b32_e32 v38, v28, v6
.LBB259_952:                            ;   in Loop: Header=BB259_819 Depth=1
	s_or_b32 exec_lo, exec_lo, s18
	;;#ASMSTART
	v_pk_mul_f16 v0, v99, v39;

	;;#ASMEND
	;;#ASMSTART
	v_pk_mul_f16 v1, v53, v48;

	;;#ASMEND
	;; [unrolled: 4-line block ×4, first 2 shown]
	;;#ASMSTART
	v_pk_add_f16 v0, v0, v1;

	;;#ASMEND
	;;#ASMSTART
	v_pk_add_f16 v0, v0, v6;

	;;#ASMEND
	;; [unrolled: 4-line block ×3, first 2 shown]
	v_and_b32_e32 v1, 0xffff, v0
	v_lshrrev_b32_e32 v0, 16, v0
	;;#ASMSTART
	v_cvt_f32_f16 v101, v1;
	;;#ASMEND
	v_mov_b32_e32 v1, 0
	;;#ASMSTART
	v_cvt_f32_f16 v102, v0;
	;;#ASMEND
	flat_load_b64 v[36:37], v[26:27] offset:512
	flat_load_b32 v28, v[22:23]
	v_mov_b32_e32 v0, 0
	s_mov_b32 s18, exec_lo
	s_wait_loadcnt_dscnt 0x101
	v_and_b32_e32 v6, 0xff, v36
	s_wait_xcnt 0x0
	s_delay_alu instid0(VALU_DEP_1)
	v_cmpx_ne_u16_e32 0, v6
	s_cbranch_execz .LBB259_960
; %bb.953:                              ;   in Loop: Header=BB259_819 Depth=1
	v_mov_b32_e32 v1, 0x8000
	s_mov_b32 s19, exec_lo
	v_cmpx_ne_u16_e32 0x80, v6
	s_cbranch_execz .LBB259_959
; %bb.954:                              ;   in Loop: Header=BB259_819 Depth=1
	v_and_b32_e32 v9, 0x7f, v36
	v_mov_b32_e32 v1, 0x7c01
	s_mov_b32 s20, exec_lo
	s_delay_alu instid0(VALU_DEP_2)
	v_cmpx_ne_u32_e32 0x7f, v9
	s_cbranch_execz .LBB259_958
; %bb.955:                              ;   in Loop: Header=BB259_819 Depth=1
	v_dual_lshrrev_b32 v6, 3, v9 :: v_dual_bitop2_b32 v1, 7, v36 bitop3:0x40
	s_mov_b32 s21, exec_lo
	v_cmpx_gt_u32_e32 8, v9
; %bb.956:                              ;   in Loop: Header=BB259_819 Depth=1
	s_delay_alu instid0(VALU_DEP_2) | instskip(NEXT) | instid1(VALU_DEP_1)
	v_clz_i32_u32_e32 v1, v1
	v_min_u32_e32 v1, 32, v1
	s_delay_alu instid0(VALU_DEP_1) | instskip(NEXT) | instid1(VALU_DEP_1)
	v_subrev_nc_u32_e32 v6, 28, v1
	v_lshlrev_b64_e32 v[38:39], v6, v[36:37]
	s_delay_alu instid0(VALU_DEP_1)
	v_dual_sub_nc_u32 v6, 29, v1 :: v_dual_bitop2_b32 v1, 7, v38 bitop3:0x40
; %bb.957:                              ;   in Loop: Header=BB259_819 Depth=1
	s_or_b32 exec_lo, exec_lo, s21
	s_delay_alu instid0(VALU_DEP_1) | instskip(NEXT) | instid1(VALU_DEP_2)
	v_dual_lshlrev_b32 v9, 8, v36 :: v_dual_lshlrev_b32 v1, 7, v1
	v_lshl_add_u32 v6, v6, 10, 0x2000
	s_delay_alu instid0(VALU_DEP_2) | instskip(NEXT) | instid1(VALU_DEP_2)
	v_and_b32_e32 v9, 0x8000, v9
	v_and_b32_e32 v6, 0xfc00, v6
	s_delay_alu instid0(VALU_DEP_1)
	v_or3_b32 v1, v9, v6, v1
.LBB259_958:                            ;   in Loop: Header=BB259_819 Depth=1
	s_or_b32 exec_lo, exec_lo, s20
.LBB259_959:                            ;   in Loop: Header=BB259_819 Depth=1
	s_delay_alu instid0(SALU_CYCLE_1)
	s_or_b32 exec_lo, exec_lo, s19
.LBB259_960:                            ;   in Loop: Header=BB259_819 Depth=1
	s_delay_alu instid0(SALU_CYCLE_1) | instskip(SKIP_2) | instid1(VALU_DEP_1)
	s_or_b32 exec_lo, exec_lo, s18
	v_lshrrev_b16 v6, 8, v36
	s_mov_b32 s18, exec_lo
	v_cmpx_ne_u16_e32 0, v6
	s_cbranch_execz .LBB259_968
; %bb.961:                              ;   in Loop: Header=BB259_819 Depth=1
	v_bfrev_b32_e32 v0, 1
	s_mov_b32 s19, exec_lo
	v_cmpx_ne_u16_e32 0x80, v6
	s_cbranch_execz .LBB259_967
; %bb.962:                              ;   in Loop: Header=BB259_819 Depth=1
	v_and_b32_e32 v9, 0xffff, v6
	v_mov_b32_e32 v0, 0x7c010000
	s_mov_b32 s20, exec_lo
	s_delay_alu instid0(VALU_DEP_2) | instskip(NEXT) | instid1(VALU_DEP_1)
	v_and_b32_e32 v29, 0x7f, v9
	v_cmpx_ne_u32_e32 0x7f, v29
	s_cbranch_execz .LBB259_966
; %bb.963:                              ;   in Loop: Header=BB259_819 Depth=1
	v_and_b32_e32 v0, 7, v9
	v_lshrrev_b32_e32 v19, 3, v29
	s_mov_b32 s21, exec_lo
	v_cmpx_gt_u32_e32 8, v29
; %bb.964:                              ;   in Loop: Header=BB259_819 Depth=1
	s_delay_alu instid0(VALU_DEP_3) | instskip(NEXT) | instid1(VALU_DEP_1)
	v_clz_i32_u32_e32 v0, v0
	v_min_u32_e32 v0, 32, v0
	s_delay_alu instid0(VALU_DEP_1) | instskip(NEXT) | instid1(VALU_DEP_1)
	v_subrev_nc_u32_e32 v19, 28, v0
	v_lshlrev_b64_e32 v[38:39], v19, v[6:7]
	s_delay_alu instid0(VALU_DEP_1)
	v_dual_sub_nc_u32 v19, 29, v0 :: v_dual_bitop2_b32 v0, 7, v38 bitop3:0x40
; %bb.965:                              ;   in Loop: Header=BB259_819 Depth=1
	s_or_b32 exec_lo, exec_lo, s21
	s_delay_alu instid0(VALU_DEP_1) | instskip(NEXT) | instid1(VALU_DEP_2)
	v_dual_lshlrev_b32 v6, 8, v9 :: v_dual_lshlrev_b32 v0, 23, v0
	v_lshl_add_u32 v9, v19, 10, 0x2000
	s_delay_alu instid0(VALU_DEP_1) | instskip(NEXT) | instid1(VALU_DEP_1)
	v_and_or_b32 v6, 0x8000, v6, v9
	v_lshl_or_b32 v0, v6, 16, v0
.LBB259_966:                            ;   in Loop: Header=BB259_819 Depth=1
	s_or_b32 exec_lo, exec_lo, s20
.LBB259_967:                            ;   in Loop: Header=BB259_819 Depth=1
	s_delay_alu instid0(SALU_CYCLE_1)
	s_or_b32 exec_lo, exec_lo, s19
.LBB259_968:                            ;   in Loop: Header=BB259_819 Depth=1
	s_delay_alu instid0(SALU_CYCLE_1) | instskip(SKIP_3) | instid1(VALU_DEP_2)
	s_or_b32 exec_lo, exec_lo, s18
	v_dual_mov_b32 v9, 0 :: v_dual_lshrrev_b32 v6, 16, v36
	v_mov_b32_e32 v19, 0
	s_mov_b32 s18, exec_lo
	v_and_b32_e32 v29, 0xff, v6
	s_delay_alu instid0(VALU_DEP_1)
	v_cmpx_ne_u16_e32 0, v29
	s_cbranch_execz .LBB259_976
; %bb.969:                              ;   in Loop: Header=BB259_819 Depth=1
	v_mov_b32_e32 v19, 0x8000
	s_mov_b32 s19, exec_lo
	v_cmpx_ne_u16_e32 0x80, v29
	s_cbranch_execz .LBB259_975
; %bb.970:                              ;   in Loop: Header=BB259_819 Depth=1
	v_bfe_u32 v38, v36, 16, 7
	v_mov_b32_e32 v19, 0x7c01
	s_mov_b32 s20, exec_lo
	s_delay_alu instid0(VALU_DEP_2)
	v_cmpx_ne_u32_e32 0x7f, v38
	s_cbranch_execz .LBB259_974
; %bb.971:                              ;   in Loop: Header=BB259_819 Depth=1
	v_and_b32_e32 v19, 7, v6
	v_lshrrev_b32_e32 v29, 3, v38
	s_mov_b32 s21, exec_lo
	v_cmpx_gt_u32_e32 8, v38
; %bb.972:                              ;   in Loop: Header=BB259_819 Depth=1
	s_delay_alu instid0(VALU_DEP_3) | instskip(NEXT) | instid1(VALU_DEP_1)
	v_clz_i32_u32_e32 v19, v19
	v_min_u32_e32 v19, 32, v19
	s_delay_alu instid0(VALU_DEP_1) | instskip(NEXT) | instid1(VALU_DEP_1)
	v_subrev_nc_u32_e32 v29, 28, v19
	v_lshlrev_b64_e32 v[38:39], v29, v[6:7]
	s_delay_alu instid0(VALU_DEP_1)
	v_dual_sub_nc_u32 v29, 29, v19 :: v_dual_bitop2_b32 v19, 7, v38 bitop3:0x40
; %bb.973:                              ;   in Loop: Header=BB259_819 Depth=1
	s_or_b32 exec_lo, exec_lo, s21
	s_delay_alu instid0(VALU_DEP_1) | instskip(NEXT) | instid1(VALU_DEP_2)
	v_dual_lshlrev_b32 v6, 8, v6 :: v_dual_lshlrev_b32 v19, 7, v19
	v_lshl_add_u32 v29, v29, 10, 0x2000
	s_delay_alu instid0(VALU_DEP_2) | instskip(NEXT) | instid1(VALU_DEP_2)
	v_and_b32_e32 v6, 0x8000, v6
	v_and_b32_e32 v29, 0xfc00, v29
	s_delay_alu instid0(VALU_DEP_1)
	v_or3_b32 v19, v6, v29, v19
.LBB259_974:                            ;   in Loop: Header=BB259_819 Depth=1
	s_or_b32 exec_lo, exec_lo, s20
.LBB259_975:                            ;   in Loop: Header=BB259_819 Depth=1
	s_delay_alu instid0(SALU_CYCLE_1)
	s_or_b32 exec_lo, exec_lo, s19
.LBB259_976:                            ;   in Loop: Header=BB259_819 Depth=1
	s_delay_alu instid0(SALU_CYCLE_1) | instskip(NEXT) | instid1(SALU_CYCLE_1)
	s_or_b32 exec_lo, exec_lo, s18
	s_mov_b32 s18, exec_lo
	v_cmpx_lt_u32_e32 0xffffff, v36
	s_cbranch_execz .LBB259_984
; %bb.977:                              ;   in Loop: Header=BB259_819 Depth=1
	v_lshrrev_b32_e32 v6, 24, v36
	v_bfrev_b32_e32 v9, 1
	s_mov_b32 s19, exec_lo
	s_delay_alu instid0(VALU_DEP_2)
	v_cmpx_ne_u32_e32 0x80, v6
	s_cbranch_execz .LBB259_983
; %bb.978:                              ;   in Loop: Header=BB259_819 Depth=1
	v_and_b32_e32 v38, 0x7f, v6
	v_mov_b32_e32 v9, 0x7c010000
	s_mov_b32 s20, exec_lo
	s_delay_alu instid0(VALU_DEP_2)
	v_cmpx_ne_u32_e32 0x7f, v38
	s_cbranch_execz .LBB259_982
; %bb.979:                              ;   in Loop: Header=BB259_819 Depth=1
	v_and_b32_e32 v9, 7, v6
	v_lshrrev_b32_e32 v29, 3, v38
	s_mov_b32 s21, exec_lo
	v_cmpx_gt_u32_e32 8, v38
; %bb.980:                              ;   in Loop: Header=BB259_819 Depth=1
	s_delay_alu instid0(VALU_DEP_3) | instskip(NEXT) | instid1(VALU_DEP_1)
	v_clz_i32_u32_e32 v9, v9
	v_min_u32_e32 v9, 32, v9
	s_delay_alu instid0(VALU_DEP_1) | instskip(NEXT) | instid1(VALU_DEP_1)
	v_subrev_nc_u32_e32 v29, 28, v9
	v_lshlrev_b64_e32 v[38:39], v29, v[6:7]
	s_delay_alu instid0(VALU_DEP_1)
	v_dual_sub_nc_u32 v29, 29, v9 :: v_dual_bitop2_b32 v9, 7, v38 bitop3:0x40
; %bb.981:                              ;   in Loop: Header=BB259_819 Depth=1
	s_or_b32 exec_lo, exec_lo, s21
	s_delay_alu instid0(VALU_DEP_1) | instskip(NEXT) | instid1(VALU_DEP_2)
	v_dual_lshlrev_b32 v6, 8, v6 :: v_dual_lshlrev_b32 v9, 23, v9
	v_lshl_add_u32 v29, v29, 10, 0x2000
	s_delay_alu instid0(VALU_DEP_1) | instskip(NEXT) | instid1(VALU_DEP_1)
	v_and_or_b32 v6, 0x8000, v6, v29
	v_lshl_or_b32 v9, v6, 16, v9
.LBB259_982:                            ;   in Loop: Header=BB259_819 Depth=1
	s_or_b32 exec_lo, exec_lo, s20
.LBB259_983:                            ;   in Loop: Header=BB259_819 Depth=1
	s_delay_alu instid0(SALU_CYCLE_1)
	s_or_b32 exec_lo, exec_lo, s19
.LBB259_984:                            ;   in Loop: Header=BB259_819 Depth=1
	s_delay_alu instid0(SALU_CYCLE_1) | instskip(SKIP_4) | instid1(VALU_DEP_3)
	s_or_b32 exec_lo, exec_lo, s18
	v_and_b32_e32 v39, 0xff, v37
	v_dual_mov_b32 v6, v37 :: v_dual_mov_b32 v38, 0
	v_mov_b32_e32 v29, 0
	s_mov_b32 s18, exec_lo
	v_cmpx_ne_u16_e32 0, v39
	s_cbranch_execz .LBB259_992
; %bb.985:                              ;   in Loop: Header=BB259_819 Depth=1
	v_mov_b32_e32 v29, 0x8000
	s_mov_b32 s19, exec_lo
	v_cmpx_ne_u16_e32 0x80, v39
	s_cbranch_execz .LBB259_991
; %bb.986:                              ;   in Loop: Header=BB259_819 Depth=1
	v_and_b32_e32 v48, 0x7f, v37
	v_mov_b32_e32 v29, 0x7c01
	s_mov_b32 s20, exec_lo
	s_delay_alu instid0(VALU_DEP_2)
	v_cmpx_ne_u32_e32 0x7f, v48
	s_cbranch_execz .LBB259_990
; %bb.987:                              ;   in Loop: Header=BB259_819 Depth=1
	v_dual_lshrrev_b32 v39, 3, v48 :: v_dual_bitop2_b32 v29, 7, v37 bitop3:0x40
	s_mov_b32 s21, exec_lo
	v_cmpx_gt_u32_e32 8, v48
; %bb.988:                              ;   in Loop: Header=BB259_819 Depth=1
	s_delay_alu instid0(VALU_DEP_2) | instskip(NEXT) | instid1(VALU_DEP_1)
	v_clz_i32_u32_e32 v29, v29
	v_min_u32_e32 v29, 32, v29
	s_delay_alu instid0(VALU_DEP_1) | instskip(NEXT) | instid1(VALU_DEP_1)
	v_subrev_nc_u32_e32 v39, 28, v29
	v_lshlrev_b64_e32 v[48:49], v39, v[6:7]
	s_delay_alu instid0(VALU_DEP_1)
	v_dual_sub_nc_u32 v39, 29, v29 :: v_dual_bitop2_b32 v29, 7, v48 bitop3:0x40
; %bb.989:                              ;   in Loop: Header=BB259_819 Depth=1
	s_or_b32 exec_lo, exec_lo, s21
	v_lshlrev_b32_e32 v48, 8, v37
	s_delay_alu instid0(VALU_DEP_2) | instskip(NEXT) | instid1(VALU_DEP_3)
	v_lshl_add_u32 v39, v39, 10, 0x2000
	v_lshlrev_b32_e32 v29, 7, v29
	s_delay_alu instid0(VALU_DEP_3) | instskip(NEXT) | instid1(VALU_DEP_3)
	v_and_b32_e32 v48, 0x8000, v48
	v_and_b32_e32 v39, 0xfc00, v39
	s_delay_alu instid0(VALU_DEP_1)
	v_or3_b32 v29, v48, v39, v29
.LBB259_990:                            ;   in Loop: Header=BB259_819 Depth=1
	s_or_b32 exec_lo, exec_lo, s20
.LBB259_991:                            ;   in Loop: Header=BB259_819 Depth=1
	s_delay_alu instid0(SALU_CYCLE_1)
	s_or_b32 exec_lo, exec_lo, s19
.LBB259_992:                            ;   in Loop: Header=BB259_819 Depth=1
	s_delay_alu instid0(SALU_CYCLE_1) | instskip(SKIP_3) | instid1(VALU_DEP_2)
	s_or_b32 exec_lo, exec_lo, s18
	v_lshrrev_b16 v6, 8, v6
	v_mov_b32_e32 v39, 0
	s_mov_b32 s18, exec_lo
	v_cmpx_ne_u16_e32 0, v6
	s_cbranch_execz .LBB259_1000
; %bb.993:                              ;   in Loop: Header=BB259_819 Depth=1
	v_bfrev_b32_e32 v39, 1
	s_mov_b32 s19, exec_lo
	v_cmpx_ne_u16_e32 0x80, v6
	s_cbranch_execz .LBB259_999
; %bb.994:                              ;   in Loop: Header=BB259_819 Depth=1
	v_and_b32_e32 v48, 0xffff, v6
	v_mov_b32_e32 v39, 0x7c010000
	s_mov_b32 s20, exec_lo
	s_delay_alu instid0(VALU_DEP_2) | instskip(NEXT) | instid1(VALU_DEP_1)
	v_and_b32_e32 v50, 0x7f, v48
	v_cmpx_ne_u32_e32 0x7f, v50
	s_cbranch_execz .LBB259_998
; %bb.995:                              ;   in Loop: Header=BB259_819 Depth=1
	v_dual_lshrrev_b32 v49, 3, v50 :: v_dual_bitop2_b32 v39, 7, v48 bitop3:0x40
	s_mov_b32 s21, exec_lo
	v_cmpx_gt_u32_e32 8, v50
; %bb.996:                              ;   in Loop: Header=BB259_819 Depth=1
	s_delay_alu instid0(VALU_DEP_2) | instskip(NEXT) | instid1(VALU_DEP_1)
	v_clz_i32_u32_e32 v39, v39
	v_min_u32_e32 v39, 32, v39
	s_delay_alu instid0(VALU_DEP_1) | instskip(NEXT) | instid1(VALU_DEP_1)
	v_subrev_nc_u32_e32 v49, 28, v39
	v_lshlrev_b64_e32 v[112:113], v49, v[6:7]
	s_delay_alu instid0(VALU_DEP_1)
	v_dual_sub_nc_u32 v49, 29, v39 :: v_dual_bitop2_b32 v39, 7, v112 bitop3:0x40
; %bb.997:                              ;   in Loop: Header=BB259_819 Depth=1
	s_or_b32 exec_lo, exec_lo, s21
	s_delay_alu instid0(VALU_DEP_1) | instskip(NEXT) | instid1(VALU_DEP_2)
	v_dual_lshlrev_b32 v6, 8, v48 :: v_dual_lshlrev_b32 v39, 23, v39
	v_lshl_add_u32 v48, v49, 10, 0x2000
	s_delay_alu instid0(VALU_DEP_1) | instskip(NEXT) | instid1(VALU_DEP_1)
	v_and_or_b32 v6, 0x8000, v6, v48
	v_lshl_or_b32 v39, v6, 16, v39
.LBB259_998:                            ;   in Loop: Header=BB259_819 Depth=1
	s_or_b32 exec_lo, exec_lo, s20
.LBB259_999:                            ;   in Loop: Header=BB259_819 Depth=1
	s_delay_alu instid0(SALU_CYCLE_1)
	s_or_b32 exec_lo, exec_lo, s19
.LBB259_1000:                           ;   in Loop: Header=BB259_819 Depth=1
	s_delay_alu instid0(SALU_CYCLE_1) | instskip(SKIP_2) | instid1(VALU_DEP_1)
	s_or_b32 exec_lo, exec_lo, s18
	v_lshrrev_b32_e32 v6, 16, v37
	s_mov_b32 s18, exec_lo
	v_and_b32_e32 v48, 0xff, v6
	s_delay_alu instid0(VALU_DEP_1)
	v_cmpx_ne_u16_e32 0, v48
	s_cbranch_execz .LBB259_1008
; %bb.1001:                             ;   in Loop: Header=BB259_819 Depth=1
	v_mov_b32_e32 v38, 0x8000
	s_mov_b32 s19, exec_lo
	v_cmpx_ne_u16_e32 0x80, v48
	s_cbranch_execz .LBB259_1007
; %bb.1002:                             ;   in Loop: Header=BB259_819 Depth=1
	v_bfe_u32 v49, v37, 16, 7
	v_mov_b32_e32 v38, 0x7c01
	s_mov_b32 s20, exec_lo
	s_delay_alu instid0(VALU_DEP_2)
	v_cmpx_ne_u32_e32 0x7f, v49
	s_cbranch_execz .LBB259_1006
; %bb.1003:                             ;   in Loop: Header=BB259_819 Depth=1
	v_dual_lshrrev_b32 v48, 3, v49 :: v_dual_bitop2_b32 v38, 7, v6 bitop3:0x40
	s_mov_b32 s21, exec_lo
	v_cmpx_gt_u32_e32 8, v49
; %bb.1004:                             ;   in Loop: Header=BB259_819 Depth=1
	s_delay_alu instid0(VALU_DEP_2) | instskip(NEXT) | instid1(VALU_DEP_1)
	v_clz_i32_u32_e32 v38, v38
	v_min_u32_e32 v38, 32, v38
	s_delay_alu instid0(VALU_DEP_1) | instskip(NEXT) | instid1(VALU_DEP_1)
	v_subrev_nc_u32_e32 v48, 28, v38
	v_lshlrev_b64_e32 v[112:113], v48, v[6:7]
	s_delay_alu instid0(VALU_DEP_1)
	v_dual_sub_nc_u32 v48, 29, v38 :: v_dual_bitop2_b32 v38, 7, v112 bitop3:0x40
; %bb.1005:                             ;   in Loop: Header=BB259_819 Depth=1
	s_or_b32 exec_lo, exec_lo, s21
	v_lshlrev_b32_e32 v6, 8, v6
	s_delay_alu instid0(VALU_DEP_2) | instskip(NEXT) | instid1(VALU_DEP_3)
	v_lshl_add_u32 v48, v48, 10, 0x2000
	v_lshlrev_b32_e32 v38, 7, v38
	s_delay_alu instid0(VALU_DEP_3) | instskip(NEXT) | instid1(VALU_DEP_3)
	v_and_b32_e32 v6, 0x8000, v6
	v_and_b32_e32 v48, 0xfc00, v48
	s_delay_alu instid0(VALU_DEP_1)
	v_or3_b32 v38, v6, v48, v38
.LBB259_1006:                           ;   in Loop: Header=BB259_819 Depth=1
	s_or_b32 exec_lo, exec_lo, s20
.LBB259_1007:                           ;   in Loop: Header=BB259_819 Depth=1
	s_delay_alu instid0(SALU_CYCLE_1)
	s_or_b32 exec_lo, exec_lo, s19
.LBB259_1008:                           ;   in Loop: Header=BB259_819 Depth=1
	s_delay_alu instid0(SALU_CYCLE_1)
	s_or_b32 exec_lo, exec_lo, s18
	v_cmp_lt_u64_e64 s0, s[2:3], v[36:37]
	v_mov_b32_e32 v36, 0
	s_and_saveexec_b32 s18, s0
	s_cbranch_execz .LBB259_1016
; %bb.1009:                             ;   in Loop: Header=BB259_819 Depth=1
	v_lshrrev_b32_e32 v6, 24, v37
	v_bfrev_b32_e32 v36, 1
	s_mov_b32 s19, exec_lo
	s_delay_alu instid0(VALU_DEP_2)
	v_cmpx_ne_u32_e32 0x80, v6
	s_cbranch_execz .LBB259_1015
; %bb.1010:                             ;   in Loop: Header=BB259_819 Depth=1
	v_and_b32_e32 v48, 0x7f, v6
	v_mov_b32_e32 v36, 0x7c010000
	s_mov_b32 s20, exec_lo
	s_delay_alu instid0(VALU_DEP_2)
	v_cmpx_ne_u32_e32 0x7f, v48
	s_cbranch_execz .LBB259_1014
; %bb.1011:                             ;   in Loop: Header=BB259_819 Depth=1
	v_dual_lshrrev_b32 v37, 3, v48 :: v_dual_bitop2_b32 v36, 7, v6 bitop3:0x40
	s_mov_b32 s21, exec_lo
	v_cmpx_gt_u32_e32 8, v48
; %bb.1012:                             ;   in Loop: Header=BB259_819 Depth=1
	s_delay_alu instid0(VALU_DEP_2) | instskip(NEXT) | instid1(VALU_DEP_1)
	v_clz_i32_u32_e32 v36, v36
	v_min_u32_e32 v48, 32, v36
	s_delay_alu instid0(VALU_DEP_1) | instskip(NEXT) | instid1(VALU_DEP_1)
	v_subrev_nc_u32_e32 v36, 28, v48
	v_lshlrev_b64_e32 v[36:37], v36, v[6:7]
	v_sub_nc_u32_e32 v37, 29, v48
	s_delay_alu instid0(VALU_DEP_2)
	v_and_b32_e32 v36, 7, v36
; %bb.1013:                             ;   in Loop: Header=BB259_819 Depth=1
	s_or_b32 exec_lo, exec_lo, s21
	s_delay_alu instid0(VALU_DEP_1) | instskip(NEXT) | instid1(VALU_DEP_3)
	v_dual_lshlrev_b32 v6, 8, v6 :: v_dual_lshlrev_b32 v36, 23, v36
	v_lshl_add_u32 v37, v37, 10, 0x2000
	s_delay_alu instid0(VALU_DEP_1) | instskip(NEXT) | instid1(VALU_DEP_1)
	v_and_or_b32 v6, 0x8000, v6, v37
	v_lshl_or_b32 v36, v6, 16, v36
.LBB259_1014:                           ;   in Loop: Header=BB259_819 Depth=1
	s_or_b32 exec_lo, exec_lo, s20
.LBB259_1015:                           ;   in Loop: Header=BB259_819 Depth=1
	s_delay_alu instid0(SALU_CYCLE_1)
	s_or_b32 exec_lo, exec_lo, s19
.LBB259_1016:                           ;   in Loop: Header=BB259_819 Depth=1
	s_delay_alu instid0(SALU_CYCLE_1) | instskip(SKIP_4) | instid1(VALU_DEP_4)
	s_or_b32 exec_lo, exec_lo, s18
	v_dual_lshrrev_b32 v6, 16, v0 :: v_dual_lshrrev_b32 v37, 16, v9
	v_or_b32_e32 v48, v0, v1
	v_or_b32_e32 v9, v9, v19
	v_lshrrev_b32_e32 v19, 16, v39
	v_cvt_f32_f16_e32 v1, v6
	v_cvt_f32_f16_e32 v0, v37
	v_dual_lshrrev_b32 v38, 16, v36 :: v_dual_bitop2_b32 v6, v36, v38 bitop3:0x54
	v_cvt_f32_f16_e32 v36, v9
	v_cvt_f32_f16_e32 v37, v48
	s_wait_loadcnt_dscnt 0x0
	v_pk_mul_f32 v[0:1], v[28:29], v[0:1] op_sel_hi:[0,1]
	v_cvt_f32_f16_e32 v48, v6
	v_cvt_f32_f16_e32 v38, v38
	v_pk_mul_f32 v[36:37], v[28:29], v[36:37] op_sel_hi:[0,1]
	s_delay_alu instid0(VALU_DEP_4) | instskip(SKIP_2) | instid1(VALU_DEP_2)
	v_cvt_pk_f16_f32 v6, v0, v1
	v_or_b32_e32 v9, v39, v29
	v_cvt_f32_f16_e32 v39, v19
	v_cvt_f32_f16_e32 v49, v9
	s_delay_alu instid0(VALU_DEP_2) | instskip(SKIP_2) | instid1(VALU_DEP_4)
	v_pk_mul_f32 v[0:1], v[28:29], v[38:39] op_sel_hi:[0,1]
	v_cvt_pk_f16_f32 v9, v36, v37
	v_lshlrev_b32_e32 v36, 16, v6
	v_pk_mul_f32 v[38:39], v[28:29], v[48:49] op_sel_hi:[0,1]
	s_delay_alu instid0(VALU_DEP_4)
	v_cvt_pk_f16_f32 v0, v0, v1
	v_and_b32_e32 v29, 0xffff0000, v6
	v_lshrrev_b32_e32 v49, 16, v9
	v_and_b32_e32 v50, 0xffff, v9
	v_cvt_pk_f16_f32 v1, v38, v39
	v_and_b32_e32 v9, 0xffff0000, v0
	s_delay_alu instid0(VALU_DEP_4) | instskip(NEXT) | instid1(VALU_DEP_3)
	v_dual_lshlrev_b32 v6, 16, v0 :: v_dual_bitop2_b32 v39, v29, v49 bitop3:0x54
	v_dual_lshrrev_b32 v19, 16, v1 :: v_dual_bitop2_b32 v48, v36, v50 bitop3:0x54
	v_and_b32_e32 v28, 0xffff, v1
	s_delay_alu instid0(VALU_DEP_2) | instskip(NEXT) | instid1(VALU_DEP_2)
	v_or_b32_e32 v37, v9, v19
	v_or_b32_e32 v38, v6, v28
	s_and_saveexec_b32 s18, vcc_lo
	s_cbranch_execz .LBB259_1018
; %bb.1017:                             ;   in Loop: Header=BB259_819 Depth=1
	v_cmp_lt_i32_e64 s0, v83, v13
	s_delay_alu instid0(VALU_DEP_1) | instskip(SKIP_1) | instid1(VALU_DEP_1)
	v_cndmask_b32_e64 v0, 0, v49, s0
	v_cmp_lt_i32_e64 s0, v98, v12
	v_cndmask_b32_e64 v1, 0, v50, s0
	v_cmp_lt_i32_e64 s0, v97, v13
	s_delay_alu instid0(VALU_DEP_1) | instskip(SKIP_1) | instid1(VALU_DEP_1)
	v_cndmask_b32_e64 v29, 0, v29, s0
	v_cmp_lt_i32_e64 s0, v96, v12
	v_cndmask_b32_e64 v36, 0, v36, s0
	v_cmp_lt_i32_e64 s0, v87, v13
	s_delay_alu instid0(VALU_DEP_4) | instskip(NEXT) | instid1(VALU_DEP_2)
	v_or_b32_e32 v39, v0, v29
	v_dual_cndmask_b32 v19, 0, v19, s0 :: v_dual_bitop2_b32 v48, v1, v36 bitop3:0x54
	v_cmp_lt_i32_e64 s0, v86, v12
	s_delay_alu instid0(VALU_DEP_1) | instskip(SKIP_1) | instid1(VALU_DEP_1)
	v_cndmask_b32_e64 v28, 0, v28, s0
	v_cmp_lt_i32_e64 s0, v85, v13
	v_cndmask_b32_e64 v9, 0, v9, s0
	v_cmp_lt_i32_e64 s0, v84, v12
	s_delay_alu instid0(VALU_DEP_1) | instskip(NEXT) | instid1(VALU_DEP_1)
	v_dual_cndmask_b32 v6, 0, v6, s0 :: v_dual_bitop2_b32 v37, v19, v9 bitop3:0x54
	v_or_b32_e32 v38, v28, v6
.LBB259_1018:                           ;   in Loop: Header=BB259_819 Depth=1
	s_or_b32 exec_lo, exec_lo, s18
	;;#ASMSTART
	v_pk_mul_f16 v0, v99, v39;

	;;#ASMEND
	;;#ASMSTART
	v_pk_mul_f16 v1, v53, v48;

	;;#ASMEND
	;; [unrolled: 4-line block ×4, first 2 shown]
	;;#ASMSTART
	v_pk_add_f16 v0, v0, v1;

	;;#ASMEND
	;;#ASMSTART
	v_pk_add_f16 v0, v0, v6;

	;;#ASMEND
	;; [unrolled: 4-line block ×3, first 2 shown]
	v_and_b32_e32 v1, 0xffff, v0
	v_lshrrev_b32_e32 v0, 16, v0
	;;#ASMSTART
	v_cvt_f32_f16 v103, v1;
	;;#ASMEND
	v_mov_b32_e32 v1, 0
	;;#ASMSTART
	v_cvt_f32_f16 v112, v0;
	;;#ASMEND
	flat_load_b64 v[36:37], v[26:27] offset:768
	flat_load_b32 v28, v[22:23]
	v_mov_b32_e32 v0, 0
	s_mov_b32 s18, exec_lo
	s_wait_loadcnt_dscnt 0x101
	v_and_b32_e32 v6, 0xff, v36
	s_wait_xcnt 0x0
	s_delay_alu instid0(VALU_DEP_1)
	v_cmpx_ne_u16_e32 0, v6
	s_cbranch_execz .LBB259_1026
; %bb.1019:                             ;   in Loop: Header=BB259_819 Depth=1
	v_mov_b32_e32 v1, 0x8000
	s_mov_b32 s19, exec_lo
	v_cmpx_ne_u16_e32 0x80, v6
	s_cbranch_execz .LBB259_1025
; %bb.1020:                             ;   in Loop: Header=BB259_819 Depth=1
	v_and_b32_e32 v9, 0x7f, v36
	v_mov_b32_e32 v1, 0x7c01
	s_mov_b32 s20, exec_lo
	s_delay_alu instid0(VALU_DEP_2)
	v_cmpx_ne_u32_e32 0x7f, v9
	s_cbranch_execz .LBB259_1024
; %bb.1021:                             ;   in Loop: Header=BB259_819 Depth=1
	v_dual_lshrrev_b32 v6, 3, v9 :: v_dual_bitop2_b32 v1, 7, v36 bitop3:0x40
	s_mov_b32 s21, exec_lo
	v_cmpx_gt_u32_e32 8, v9
; %bb.1022:                             ;   in Loop: Header=BB259_819 Depth=1
	s_delay_alu instid0(VALU_DEP_2) | instskip(NEXT) | instid1(VALU_DEP_1)
	v_clz_i32_u32_e32 v1, v1
	v_min_u32_e32 v1, 32, v1
	s_delay_alu instid0(VALU_DEP_1) | instskip(NEXT) | instid1(VALU_DEP_1)
	v_subrev_nc_u32_e32 v6, 28, v1
	v_lshlrev_b64_e32 v[38:39], v6, v[36:37]
	s_delay_alu instid0(VALU_DEP_1)
	v_dual_sub_nc_u32 v6, 29, v1 :: v_dual_bitop2_b32 v1, 7, v38 bitop3:0x40
; %bb.1023:                             ;   in Loop: Header=BB259_819 Depth=1
	s_or_b32 exec_lo, exec_lo, s21
	s_delay_alu instid0(VALU_DEP_1) | instskip(NEXT) | instid1(VALU_DEP_2)
	v_dual_lshlrev_b32 v9, 8, v36 :: v_dual_lshlrev_b32 v1, 7, v1
	v_lshl_add_u32 v6, v6, 10, 0x2000
	s_delay_alu instid0(VALU_DEP_2) | instskip(NEXT) | instid1(VALU_DEP_2)
	v_and_b32_e32 v9, 0x8000, v9
	v_and_b32_e32 v6, 0xfc00, v6
	s_delay_alu instid0(VALU_DEP_1)
	v_or3_b32 v1, v9, v6, v1
.LBB259_1024:                           ;   in Loop: Header=BB259_819 Depth=1
	s_or_b32 exec_lo, exec_lo, s20
.LBB259_1025:                           ;   in Loop: Header=BB259_819 Depth=1
	s_delay_alu instid0(SALU_CYCLE_1)
	s_or_b32 exec_lo, exec_lo, s19
.LBB259_1026:                           ;   in Loop: Header=BB259_819 Depth=1
	s_delay_alu instid0(SALU_CYCLE_1) | instskip(SKIP_2) | instid1(VALU_DEP_1)
	s_or_b32 exec_lo, exec_lo, s18
	v_lshrrev_b16 v6, 8, v36
	s_mov_b32 s18, exec_lo
	v_cmpx_ne_u16_e32 0, v6
	s_cbranch_execz .LBB259_1034
; %bb.1027:                             ;   in Loop: Header=BB259_819 Depth=1
	v_bfrev_b32_e32 v0, 1
	s_mov_b32 s19, exec_lo
	v_cmpx_ne_u16_e32 0x80, v6
	s_cbranch_execz .LBB259_1033
; %bb.1028:                             ;   in Loop: Header=BB259_819 Depth=1
	v_and_b32_e32 v9, 0xffff, v6
	v_mov_b32_e32 v0, 0x7c010000
	s_mov_b32 s20, exec_lo
	s_delay_alu instid0(VALU_DEP_2) | instskip(NEXT) | instid1(VALU_DEP_1)
	v_and_b32_e32 v29, 0x7f, v9
	v_cmpx_ne_u32_e32 0x7f, v29
	s_cbranch_execz .LBB259_1032
; %bb.1029:                             ;   in Loop: Header=BB259_819 Depth=1
	v_and_b32_e32 v0, 7, v9
	v_lshrrev_b32_e32 v19, 3, v29
	s_mov_b32 s21, exec_lo
	v_cmpx_gt_u32_e32 8, v29
; %bb.1030:                             ;   in Loop: Header=BB259_819 Depth=1
	s_delay_alu instid0(VALU_DEP_3) | instskip(NEXT) | instid1(VALU_DEP_1)
	v_clz_i32_u32_e32 v0, v0
	v_min_u32_e32 v0, 32, v0
	s_delay_alu instid0(VALU_DEP_1) | instskip(NEXT) | instid1(VALU_DEP_1)
	v_subrev_nc_u32_e32 v19, 28, v0
	v_lshlrev_b64_e32 v[38:39], v19, v[6:7]
	s_delay_alu instid0(VALU_DEP_1)
	v_dual_sub_nc_u32 v19, 29, v0 :: v_dual_bitop2_b32 v0, 7, v38 bitop3:0x40
; %bb.1031:                             ;   in Loop: Header=BB259_819 Depth=1
	s_or_b32 exec_lo, exec_lo, s21
	s_delay_alu instid0(VALU_DEP_1) | instskip(NEXT) | instid1(VALU_DEP_2)
	v_dual_lshlrev_b32 v6, 8, v9 :: v_dual_lshlrev_b32 v0, 23, v0
	v_lshl_add_u32 v9, v19, 10, 0x2000
	s_delay_alu instid0(VALU_DEP_1) | instskip(NEXT) | instid1(VALU_DEP_1)
	v_and_or_b32 v6, 0x8000, v6, v9
	v_lshl_or_b32 v0, v6, 16, v0
.LBB259_1032:                           ;   in Loop: Header=BB259_819 Depth=1
	s_or_b32 exec_lo, exec_lo, s20
.LBB259_1033:                           ;   in Loop: Header=BB259_819 Depth=1
	s_delay_alu instid0(SALU_CYCLE_1)
	s_or_b32 exec_lo, exec_lo, s19
.LBB259_1034:                           ;   in Loop: Header=BB259_819 Depth=1
	s_delay_alu instid0(SALU_CYCLE_1) | instskip(SKIP_3) | instid1(VALU_DEP_2)
	s_or_b32 exec_lo, exec_lo, s18
	v_dual_mov_b32 v9, 0 :: v_dual_lshrrev_b32 v6, 16, v36
	v_mov_b32_e32 v19, 0
	s_mov_b32 s18, exec_lo
	v_and_b32_e32 v29, 0xff, v6
	s_delay_alu instid0(VALU_DEP_1)
	v_cmpx_ne_u16_e32 0, v29
	s_cbranch_execz .LBB259_1042
; %bb.1035:                             ;   in Loop: Header=BB259_819 Depth=1
	v_mov_b32_e32 v19, 0x8000
	s_mov_b32 s19, exec_lo
	v_cmpx_ne_u16_e32 0x80, v29
	s_cbranch_execz .LBB259_1041
; %bb.1036:                             ;   in Loop: Header=BB259_819 Depth=1
	v_bfe_u32 v38, v36, 16, 7
	v_mov_b32_e32 v19, 0x7c01
	s_mov_b32 s20, exec_lo
	s_delay_alu instid0(VALU_DEP_2)
	v_cmpx_ne_u32_e32 0x7f, v38
	s_cbranch_execz .LBB259_1040
; %bb.1037:                             ;   in Loop: Header=BB259_819 Depth=1
	v_and_b32_e32 v19, 7, v6
	v_lshrrev_b32_e32 v29, 3, v38
	s_mov_b32 s21, exec_lo
	v_cmpx_gt_u32_e32 8, v38
; %bb.1038:                             ;   in Loop: Header=BB259_819 Depth=1
	s_delay_alu instid0(VALU_DEP_3) | instskip(NEXT) | instid1(VALU_DEP_1)
	v_clz_i32_u32_e32 v19, v19
	v_min_u32_e32 v19, 32, v19
	s_delay_alu instid0(VALU_DEP_1) | instskip(NEXT) | instid1(VALU_DEP_1)
	v_subrev_nc_u32_e32 v29, 28, v19
	v_lshlrev_b64_e32 v[38:39], v29, v[6:7]
	s_delay_alu instid0(VALU_DEP_1)
	v_dual_sub_nc_u32 v29, 29, v19 :: v_dual_bitop2_b32 v19, 7, v38 bitop3:0x40
; %bb.1039:                             ;   in Loop: Header=BB259_819 Depth=1
	s_or_b32 exec_lo, exec_lo, s21
	s_delay_alu instid0(VALU_DEP_1) | instskip(NEXT) | instid1(VALU_DEP_2)
	v_dual_lshlrev_b32 v6, 8, v6 :: v_dual_lshlrev_b32 v19, 7, v19
	v_lshl_add_u32 v29, v29, 10, 0x2000
	s_delay_alu instid0(VALU_DEP_2) | instskip(NEXT) | instid1(VALU_DEP_2)
	v_and_b32_e32 v6, 0x8000, v6
	v_and_b32_e32 v29, 0xfc00, v29
	s_delay_alu instid0(VALU_DEP_1)
	v_or3_b32 v19, v6, v29, v19
.LBB259_1040:                           ;   in Loop: Header=BB259_819 Depth=1
	s_or_b32 exec_lo, exec_lo, s20
.LBB259_1041:                           ;   in Loop: Header=BB259_819 Depth=1
	s_delay_alu instid0(SALU_CYCLE_1)
	s_or_b32 exec_lo, exec_lo, s19
.LBB259_1042:                           ;   in Loop: Header=BB259_819 Depth=1
	s_delay_alu instid0(SALU_CYCLE_1) | instskip(NEXT) | instid1(SALU_CYCLE_1)
	s_or_b32 exec_lo, exec_lo, s18
	s_mov_b32 s18, exec_lo
	v_cmpx_lt_u32_e32 0xffffff, v36
	s_cbranch_execz .LBB259_1050
; %bb.1043:                             ;   in Loop: Header=BB259_819 Depth=1
	v_lshrrev_b32_e32 v6, 24, v36
	v_bfrev_b32_e32 v9, 1
	s_mov_b32 s19, exec_lo
	s_delay_alu instid0(VALU_DEP_2)
	v_cmpx_ne_u32_e32 0x80, v6
	s_cbranch_execz .LBB259_1049
; %bb.1044:                             ;   in Loop: Header=BB259_819 Depth=1
	v_and_b32_e32 v38, 0x7f, v6
	v_mov_b32_e32 v9, 0x7c010000
	s_mov_b32 s20, exec_lo
	s_delay_alu instid0(VALU_DEP_2)
	v_cmpx_ne_u32_e32 0x7f, v38
	s_cbranch_execz .LBB259_1048
; %bb.1045:                             ;   in Loop: Header=BB259_819 Depth=1
	v_and_b32_e32 v9, 7, v6
	v_lshrrev_b32_e32 v29, 3, v38
	s_mov_b32 s21, exec_lo
	v_cmpx_gt_u32_e32 8, v38
; %bb.1046:                             ;   in Loop: Header=BB259_819 Depth=1
	s_delay_alu instid0(VALU_DEP_3) | instskip(NEXT) | instid1(VALU_DEP_1)
	v_clz_i32_u32_e32 v9, v9
	v_min_u32_e32 v9, 32, v9
	s_delay_alu instid0(VALU_DEP_1) | instskip(NEXT) | instid1(VALU_DEP_1)
	v_subrev_nc_u32_e32 v29, 28, v9
	v_lshlrev_b64_e32 v[38:39], v29, v[6:7]
	s_delay_alu instid0(VALU_DEP_1)
	v_dual_sub_nc_u32 v29, 29, v9 :: v_dual_bitop2_b32 v9, 7, v38 bitop3:0x40
; %bb.1047:                             ;   in Loop: Header=BB259_819 Depth=1
	s_or_b32 exec_lo, exec_lo, s21
	s_delay_alu instid0(VALU_DEP_1) | instskip(NEXT) | instid1(VALU_DEP_2)
	v_dual_lshlrev_b32 v6, 8, v6 :: v_dual_lshlrev_b32 v9, 23, v9
	v_lshl_add_u32 v29, v29, 10, 0x2000
	s_delay_alu instid0(VALU_DEP_1) | instskip(NEXT) | instid1(VALU_DEP_1)
	v_and_or_b32 v6, 0x8000, v6, v29
	v_lshl_or_b32 v9, v6, 16, v9
.LBB259_1048:                           ;   in Loop: Header=BB259_819 Depth=1
	s_or_b32 exec_lo, exec_lo, s20
.LBB259_1049:                           ;   in Loop: Header=BB259_819 Depth=1
	s_delay_alu instid0(SALU_CYCLE_1)
	s_or_b32 exec_lo, exec_lo, s19
.LBB259_1050:                           ;   in Loop: Header=BB259_819 Depth=1
	s_delay_alu instid0(SALU_CYCLE_1) | instskip(SKIP_4) | instid1(VALU_DEP_3)
	s_or_b32 exec_lo, exec_lo, s18
	v_and_b32_e32 v39, 0xff, v37
	v_dual_mov_b32 v6, v37 :: v_dual_mov_b32 v38, 0
	v_mov_b32_e32 v29, 0
	s_mov_b32 s18, exec_lo
	v_cmpx_ne_u16_e32 0, v39
	s_cbranch_execz .LBB259_1058
; %bb.1051:                             ;   in Loop: Header=BB259_819 Depth=1
	v_mov_b32_e32 v29, 0x8000
	s_mov_b32 s19, exec_lo
	v_cmpx_ne_u16_e32 0x80, v39
	s_cbranch_execz .LBB259_1057
; %bb.1052:                             ;   in Loop: Header=BB259_819 Depth=1
	v_and_b32_e32 v48, 0x7f, v37
	v_mov_b32_e32 v29, 0x7c01
	s_mov_b32 s20, exec_lo
	s_delay_alu instid0(VALU_DEP_2)
	v_cmpx_ne_u32_e32 0x7f, v48
	s_cbranch_execz .LBB259_1056
; %bb.1053:                             ;   in Loop: Header=BB259_819 Depth=1
	v_dual_lshrrev_b32 v39, 3, v48 :: v_dual_bitop2_b32 v29, 7, v37 bitop3:0x40
	s_mov_b32 s21, exec_lo
	v_cmpx_gt_u32_e32 8, v48
; %bb.1054:                             ;   in Loop: Header=BB259_819 Depth=1
	s_delay_alu instid0(VALU_DEP_2) | instskip(NEXT) | instid1(VALU_DEP_1)
	v_clz_i32_u32_e32 v29, v29
	v_min_u32_e32 v29, 32, v29
	s_delay_alu instid0(VALU_DEP_1) | instskip(NEXT) | instid1(VALU_DEP_1)
	v_subrev_nc_u32_e32 v39, 28, v29
	v_lshlrev_b64_e32 v[48:49], v39, v[6:7]
	s_delay_alu instid0(VALU_DEP_1)
	v_dual_sub_nc_u32 v39, 29, v29 :: v_dual_bitop2_b32 v29, 7, v48 bitop3:0x40
; %bb.1055:                             ;   in Loop: Header=BB259_819 Depth=1
	s_or_b32 exec_lo, exec_lo, s21
	v_lshlrev_b32_e32 v48, 8, v37
	s_delay_alu instid0(VALU_DEP_2) | instskip(NEXT) | instid1(VALU_DEP_3)
	v_lshl_add_u32 v39, v39, 10, 0x2000
	v_lshlrev_b32_e32 v29, 7, v29
	s_delay_alu instid0(VALU_DEP_3) | instskip(NEXT) | instid1(VALU_DEP_3)
	v_and_b32_e32 v48, 0x8000, v48
	v_and_b32_e32 v39, 0xfc00, v39
	s_delay_alu instid0(VALU_DEP_1)
	v_or3_b32 v29, v48, v39, v29
.LBB259_1056:                           ;   in Loop: Header=BB259_819 Depth=1
	s_or_b32 exec_lo, exec_lo, s20
.LBB259_1057:                           ;   in Loop: Header=BB259_819 Depth=1
	s_delay_alu instid0(SALU_CYCLE_1)
	s_or_b32 exec_lo, exec_lo, s19
.LBB259_1058:                           ;   in Loop: Header=BB259_819 Depth=1
	s_delay_alu instid0(SALU_CYCLE_1) | instskip(SKIP_3) | instid1(VALU_DEP_2)
	s_or_b32 exec_lo, exec_lo, s18
	v_lshrrev_b16 v6, 8, v6
	v_mov_b32_e32 v39, 0
	s_mov_b32 s18, exec_lo
	v_cmpx_ne_u16_e32 0, v6
	s_cbranch_execz .LBB259_1066
; %bb.1059:                             ;   in Loop: Header=BB259_819 Depth=1
	v_bfrev_b32_e32 v39, 1
	s_mov_b32 s19, exec_lo
	v_cmpx_ne_u16_e32 0x80, v6
	s_cbranch_execz .LBB259_1065
; %bb.1060:                             ;   in Loop: Header=BB259_819 Depth=1
	v_and_b32_e32 v48, 0xffff, v6
	v_mov_b32_e32 v39, 0x7c010000
	s_mov_b32 s20, exec_lo
	s_delay_alu instid0(VALU_DEP_2) | instskip(NEXT) | instid1(VALU_DEP_1)
	v_and_b32_e32 v50, 0x7f, v48
	v_cmpx_ne_u32_e32 0x7f, v50
	s_cbranch_execz .LBB259_1064
; %bb.1061:                             ;   in Loop: Header=BB259_819 Depth=1
	v_dual_lshrrev_b32 v49, 3, v50 :: v_dual_bitop2_b32 v39, 7, v48 bitop3:0x40
	s_mov_b32 s21, exec_lo
	v_cmpx_gt_u32_e32 8, v50
; %bb.1062:                             ;   in Loop: Header=BB259_819 Depth=1
	s_delay_alu instid0(VALU_DEP_2) | instskip(NEXT) | instid1(VALU_DEP_1)
	v_clz_i32_u32_e32 v39, v39
	v_min_u32_e32 v39, 32, v39
	s_delay_alu instid0(VALU_DEP_1) | instskip(NEXT) | instid1(VALU_DEP_1)
	v_subrev_nc_u32_e32 v49, 28, v39
	v_lshlrev_b64_e32 v[114:115], v49, v[6:7]
	s_delay_alu instid0(VALU_DEP_1)
	v_dual_sub_nc_u32 v49, 29, v39 :: v_dual_bitop2_b32 v39, 7, v114 bitop3:0x40
; %bb.1063:                             ;   in Loop: Header=BB259_819 Depth=1
	s_or_b32 exec_lo, exec_lo, s21
	s_delay_alu instid0(VALU_DEP_1) | instskip(NEXT) | instid1(VALU_DEP_2)
	v_dual_lshlrev_b32 v6, 8, v48 :: v_dual_lshlrev_b32 v39, 23, v39
	v_lshl_add_u32 v48, v49, 10, 0x2000
	s_delay_alu instid0(VALU_DEP_1) | instskip(NEXT) | instid1(VALU_DEP_1)
	v_and_or_b32 v6, 0x8000, v6, v48
	v_lshl_or_b32 v39, v6, 16, v39
.LBB259_1064:                           ;   in Loop: Header=BB259_819 Depth=1
	s_or_b32 exec_lo, exec_lo, s20
.LBB259_1065:                           ;   in Loop: Header=BB259_819 Depth=1
	s_delay_alu instid0(SALU_CYCLE_1)
	s_or_b32 exec_lo, exec_lo, s19
.LBB259_1066:                           ;   in Loop: Header=BB259_819 Depth=1
	s_delay_alu instid0(SALU_CYCLE_1) | instskip(SKIP_2) | instid1(VALU_DEP_1)
	s_or_b32 exec_lo, exec_lo, s18
	v_lshrrev_b32_e32 v6, 16, v37
	s_mov_b32 s18, exec_lo
	v_and_b32_e32 v48, 0xff, v6
	s_delay_alu instid0(VALU_DEP_1)
	v_cmpx_ne_u16_e32 0, v48
	s_cbranch_execz .LBB259_1074
; %bb.1067:                             ;   in Loop: Header=BB259_819 Depth=1
	v_mov_b32_e32 v38, 0x8000
	s_mov_b32 s19, exec_lo
	v_cmpx_ne_u16_e32 0x80, v48
	s_cbranch_execz .LBB259_1073
; %bb.1068:                             ;   in Loop: Header=BB259_819 Depth=1
	v_bfe_u32 v49, v37, 16, 7
	v_mov_b32_e32 v38, 0x7c01
	s_mov_b32 s20, exec_lo
	s_delay_alu instid0(VALU_DEP_2)
	v_cmpx_ne_u32_e32 0x7f, v49
	s_cbranch_execz .LBB259_1072
; %bb.1069:                             ;   in Loop: Header=BB259_819 Depth=1
	v_dual_lshrrev_b32 v48, 3, v49 :: v_dual_bitop2_b32 v38, 7, v6 bitop3:0x40
	s_mov_b32 s21, exec_lo
	v_cmpx_gt_u32_e32 8, v49
; %bb.1070:                             ;   in Loop: Header=BB259_819 Depth=1
	s_delay_alu instid0(VALU_DEP_2) | instskip(NEXT) | instid1(VALU_DEP_1)
	v_clz_i32_u32_e32 v38, v38
	v_min_u32_e32 v38, 32, v38
	s_delay_alu instid0(VALU_DEP_1) | instskip(NEXT) | instid1(VALU_DEP_1)
	v_subrev_nc_u32_e32 v48, 28, v38
	v_lshlrev_b64_e32 v[114:115], v48, v[6:7]
	v_sub_nc_u32_e32 v48, 29, v38
	s_delay_alu instid0(VALU_DEP_2)
	v_and_b32_e32 v38, 7, v114
; %bb.1071:                             ;   in Loop: Header=BB259_819 Depth=1
	s_or_b32 exec_lo, exec_lo, s21
	v_lshlrev_b32_e32 v6, 8, v6
	s_delay_alu instid0(VALU_DEP_3) | instskip(NEXT) | instid1(VALU_DEP_3)
	v_lshl_add_u32 v48, v48, 10, 0x2000
	v_lshlrev_b32_e32 v38, 7, v38
	s_delay_alu instid0(VALU_DEP_3) | instskip(NEXT) | instid1(VALU_DEP_3)
	v_and_b32_e32 v6, 0x8000, v6
	v_and_b32_e32 v48, 0xfc00, v48
	s_delay_alu instid0(VALU_DEP_1)
	v_or3_b32 v38, v6, v48, v38
.LBB259_1072:                           ;   in Loop: Header=BB259_819 Depth=1
	s_or_b32 exec_lo, exec_lo, s20
.LBB259_1073:                           ;   in Loop: Header=BB259_819 Depth=1
	s_delay_alu instid0(SALU_CYCLE_1)
	s_or_b32 exec_lo, exec_lo, s19
.LBB259_1074:                           ;   in Loop: Header=BB259_819 Depth=1
	s_delay_alu instid0(SALU_CYCLE_1)
	s_or_b32 exec_lo, exec_lo, s18
	v_cmp_lt_u64_e64 s0, s[2:3], v[36:37]
	v_mov_b32_e32 v36, 0
	s_and_saveexec_b32 s18, s0
	s_cbranch_execz .LBB259_1082
; %bb.1075:                             ;   in Loop: Header=BB259_819 Depth=1
	v_lshrrev_b32_e32 v6, 24, v37
	v_bfrev_b32_e32 v36, 1
	s_mov_b32 s19, exec_lo
	s_delay_alu instid0(VALU_DEP_2)
	v_cmpx_ne_u32_e32 0x80, v6
	s_cbranch_execz .LBB259_1081
; %bb.1076:                             ;   in Loop: Header=BB259_819 Depth=1
	v_and_b32_e32 v48, 0x7f, v6
	v_mov_b32_e32 v36, 0x7c010000
	s_mov_b32 s20, exec_lo
	s_delay_alu instid0(VALU_DEP_2)
	v_cmpx_ne_u32_e32 0x7f, v48
	s_cbranch_execz .LBB259_1080
; %bb.1077:                             ;   in Loop: Header=BB259_819 Depth=1
	v_dual_lshrrev_b32 v37, 3, v48 :: v_dual_bitop2_b32 v36, 7, v6 bitop3:0x40
	s_mov_b32 s21, exec_lo
	v_cmpx_gt_u32_e32 8, v48
; %bb.1078:                             ;   in Loop: Header=BB259_819 Depth=1
	s_delay_alu instid0(VALU_DEP_2) | instskip(NEXT) | instid1(VALU_DEP_1)
	v_clz_i32_u32_e32 v36, v36
	v_min_u32_e32 v48, 32, v36
	s_delay_alu instid0(VALU_DEP_1) | instskip(NEXT) | instid1(VALU_DEP_1)
	v_subrev_nc_u32_e32 v36, 28, v48
	v_lshlrev_b64_e32 v[36:37], v36, v[6:7]
	v_sub_nc_u32_e32 v37, 29, v48
	s_delay_alu instid0(VALU_DEP_2)
	v_and_b32_e32 v36, 7, v36
; %bb.1079:                             ;   in Loop: Header=BB259_819 Depth=1
	s_or_b32 exec_lo, exec_lo, s21
	s_delay_alu instid0(VALU_DEP_1) | instskip(NEXT) | instid1(VALU_DEP_3)
	v_dual_lshlrev_b32 v6, 8, v6 :: v_dual_lshlrev_b32 v36, 23, v36
	v_lshl_add_u32 v37, v37, 10, 0x2000
	s_delay_alu instid0(VALU_DEP_1) | instskip(NEXT) | instid1(VALU_DEP_1)
	v_and_or_b32 v6, 0x8000, v6, v37
	v_lshl_or_b32 v36, v6, 16, v36
.LBB259_1080:                           ;   in Loop: Header=BB259_819 Depth=1
	s_or_b32 exec_lo, exec_lo, s20
.LBB259_1081:                           ;   in Loop: Header=BB259_819 Depth=1
	s_delay_alu instid0(SALU_CYCLE_1)
	s_or_b32 exec_lo, exec_lo, s19
.LBB259_1082:                           ;   in Loop: Header=BB259_819 Depth=1
	s_delay_alu instid0(SALU_CYCLE_1) | instskip(SKIP_4) | instid1(VALU_DEP_4)
	s_or_b32 exec_lo, exec_lo, s18
	v_dual_lshrrev_b32 v6, 16, v0 :: v_dual_lshrrev_b32 v37, 16, v9
	v_or_b32_e32 v48, v0, v1
	v_or_b32_e32 v9, v9, v19
	v_lshrrev_b32_e32 v19, 16, v39
	v_cvt_f32_f16_e32 v1, v6
	v_cvt_f32_f16_e32 v0, v37
	v_dual_lshrrev_b32 v38, 16, v36 :: v_dual_bitop2_b32 v6, v36, v38 bitop3:0x54
	v_cvt_f32_f16_e32 v36, v9
	v_cvt_f32_f16_e32 v37, v48
	s_wait_loadcnt_dscnt 0x0
	v_pk_mul_f32 v[0:1], v[28:29], v[0:1] op_sel_hi:[0,1]
	v_cvt_f32_f16_e32 v48, v6
	v_cvt_f32_f16_e32 v38, v38
	v_pk_mul_f32 v[36:37], v[28:29], v[36:37] op_sel_hi:[0,1]
	s_delay_alu instid0(VALU_DEP_4) | instskip(SKIP_2) | instid1(VALU_DEP_2)
	v_cvt_pk_f16_f32 v6, v0, v1
	v_or_b32_e32 v9, v39, v29
	v_cvt_f32_f16_e32 v39, v19
	v_cvt_f32_f16_e32 v49, v9
	s_delay_alu instid0(VALU_DEP_2) | instskip(SKIP_2) | instid1(VALU_DEP_4)
	v_pk_mul_f32 v[0:1], v[28:29], v[38:39] op_sel_hi:[0,1]
	v_cvt_pk_f16_f32 v9, v36, v37
	v_lshlrev_b32_e32 v36, 16, v6
	v_pk_mul_f32 v[38:39], v[28:29], v[48:49] op_sel_hi:[0,1]
	s_delay_alu instid0(VALU_DEP_4)
	v_cvt_pk_f16_f32 v0, v0, v1
	v_and_b32_e32 v29, 0xffff0000, v6
	v_lshrrev_b32_e32 v49, 16, v9
	v_and_b32_e32 v50, 0xffff, v9
	v_cvt_pk_f16_f32 v1, v38, v39
	v_and_b32_e32 v9, 0xffff0000, v0
	s_delay_alu instid0(VALU_DEP_4) | instskip(NEXT) | instid1(VALU_DEP_3)
	v_dual_lshlrev_b32 v6, 16, v0 :: v_dual_bitop2_b32 v39, v29, v49 bitop3:0x54
	v_dual_lshrrev_b32 v19, 16, v1 :: v_dual_bitop2_b32 v48, v36, v50 bitop3:0x54
	v_and_b32_e32 v28, 0xffff, v1
	s_delay_alu instid0(VALU_DEP_2) | instskip(NEXT) | instid1(VALU_DEP_2)
	v_or_b32_e32 v37, v9, v19
	v_or_b32_e32 v38, v6, v28
	s_and_saveexec_b32 s18, vcc_lo
	s_cbranch_execz .LBB259_1084
; %bb.1083:                             ;   in Loop: Header=BB259_819 Depth=1
	v_cmp_lt_i32_e64 s0, v83, v13
	s_delay_alu instid0(VALU_DEP_1) | instskip(SKIP_1) | instid1(VALU_DEP_1)
	v_cndmask_b32_e64 v0, 0, v49, s0
	v_cmp_lt_i32_e64 s0, v98, v12
	v_cndmask_b32_e64 v1, 0, v50, s0
	v_cmp_lt_i32_e64 s0, v97, v13
	s_delay_alu instid0(VALU_DEP_1) | instskip(SKIP_1) | instid1(VALU_DEP_1)
	v_cndmask_b32_e64 v29, 0, v29, s0
	v_cmp_lt_i32_e64 s0, v96, v12
	v_cndmask_b32_e64 v36, 0, v36, s0
	v_cmp_lt_i32_e64 s0, v87, v13
	s_delay_alu instid0(VALU_DEP_4) | instskip(NEXT) | instid1(VALU_DEP_2)
	v_or_b32_e32 v39, v0, v29
	v_dual_cndmask_b32 v19, 0, v19, s0 :: v_dual_bitop2_b32 v48, v1, v36 bitop3:0x54
	v_cmp_lt_i32_e64 s0, v86, v12
	s_delay_alu instid0(VALU_DEP_1) | instskip(SKIP_1) | instid1(VALU_DEP_1)
	v_cndmask_b32_e64 v28, 0, v28, s0
	v_cmp_lt_i32_e64 s0, v85, v13
	v_cndmask_b32_e64 v9, 0, v9, s0
	v_cmp_lt_i32_e64 s0, v84, v12
	s_delay_alu instid0(VALU_DEP_1) | instskip(NEXT) | instid1(VALU_DEP_1)
	v_dual_cndmask_b32 v6, 0, v6, s0 :: v_dual_bitop2_b32 v37, v19, v9 bitop3:0x54
	v_or_b32_e32 v38, v28, v6
.LBB259_1084:                           ;   in Loop: Header=BB259_819 Depth=1
	s_or_b32 exec_lo, exec_lo, s18
	;;#ASMSTART
	v_pk_mul_f16 v0, v99, v39;

	;;#ASMEND
	;;#ASMSTART
	v_pk_mul_f16 v1, v53, v48;

	;;#ASMEND
	;; [unrolled: 4-line block ×4, first 2 shown]
	;;#ASMSTART
	v_pk_add_f16 v0, v0, v1;

	;;#ASMEND
	;;#ASMSTART
	v_pk_add_f16 v0, v0, v6;

	;;#ASMEND
	;;#ASMSTART
	v_pk_add_f16 v0, v0, v9;

	;;#ASMEND
	v_and_b32_e32 v1, 0xffff, v0
	v_lshrrev_b32_e32 v0, 16, v0
	;;#ASMSTART
	v_cvt_f32_f16 v113, v1;
	;;#ASMEND
	v_mov_b32_e32 v1, 0
	;;#ASMSTART
	v_cvt_f32_f16 v114, v0;
	;;#ASMEND
	flat_load_b64 v[36:37], v[26:27] offset:1024
	flat_load_b32 v28, v[22:23]
	v_mov_b32_e32 v0, 0
	s_mov_b32 s18, exec_lo
	s_wait_loadcnt_dscnt 0x101
	v_and_b32_e32 v6, 0xff, v36
	s_wait_xcnt 0x0
	s_delay_alu instid0(VALU_DEP_1)
	v_cmpx_ne_u16_e32 0, v6
	s_cbranch_execz .LBB259_1092
; %bb.1085:                             ;   in Loop: Header=BB259_819 Depth=1
	v_mov_b32_e32 v1, 0x8000
	s_mov_b32 s19, exec_lo
	v_cmpx_ne_u16_e32 0x80, v6
	s_cbranch_execz .LBB259_1091
; %bb.1086:                             ;   in Loop: Header=BB259_819 Depth=1
	v_and_b32_e32 v9, 0x7f, v36
	v_mov_b32_e32 v1, 0x7c01
	s_mov_b32 s20, exec_lo
	s_delay_alu instid0(VALU_DEP_2)
	v_cmpx_ne_u32_e32 0x7f, v9
	s_cbranch_execz .LBB259_1090
; %bb.1087:                             ;   in Loop: Header=BB259_819 Depth=1
	v_dual_lshrrev_b32 v6, 3, v9 :: v_dual_bitop2_b32 v1, 7, v36 bitop3:0x40
	s_mov_b32 s21, exec_lo
	v_cmpx_gt_u32_e32 8, v9
; %bb.1088:                             ;   in Loop: Header=BB259_819 Depth=1
	s_delay_alu instid0(VALU_DEP_2) | instskip(NEXT) | instid1(VALU_DEP_1)
	v_clz_i32_u32_e32 v1, v1
	v_min_u32_e32 v1, 32, v1
	s_delay_alu instid0(VALU_DEP_1) | instskip(NEXT) | instid1(VALU_DEP_1)
	v_subrev_nc_u32_e32 v6, 28, v1
	v_lshlrev_b64_e32 v[38:39], v6, v[36:37]
	s_delay_alu instid0(VALU_DEP_1)
	v_dual_sub_nc_u32 v6, 29, v1 :: v_dual_bitop2_b32 v1, 7, v38 bitop3:0x40
; %bb.1089:                             ;   in Loop: Header=BB259_819 Depth=1
	s_or_b32 exec_lo, exec_lo, s21
	s_delay_alu instid0(VALU_DEP_1) | instskip(NEXT) | instid1(VALU_DEP_2)
	v_dual_lshlrev_b32 v9, 8, v36 :: v_dual_lshlrev_b32 v1, 7, v1
	v_lshl_add_u32 v6, v6, 10, 0x2000
	s_delay_alu instid0(VALU_DEP_2) | instskip(NEXT) | instid1(VALU_DEP_2)
	v_and_b32_e32 v9, 0x8000, v9
	v_and_b32_e32 v6, 0xfc00, v6
	s_delay_alu instid0(VALU_DEP_1)
	v_or3_b32 v1, v9, v6, v1
.LBB259_1090:                           ;   in Loop: Header=BB259_819 Depth=1
	s_or_b32 exec_lo, exec_lo, s20
.LBB259_1091:                           ;   in Loop: Header=BB259_819 Depth=1
	s_delay_alu instid0(SALU_CYCLE_1)
	s_or_b32 exec_lo, exec_lo, s19
.LBB259_1092:                           ;   in Loop: Header=BB259_819 Depth=1
	s_delay_alu instid0(SALU_CYCLE_1) | instskip(SKIP_2) | instid1(VALU_DEP_1)
	s_or_b32 exec_lo, exec_lo, s18
	v_lshrrev_b16 v6, 8, v36
	s_mov_b32 s18, exec_lo
	v_cmpx_ne_u16_e32 0, v6
	s_cbranch_execz .LBB259_1100
; %bb.1093:                             ;   in Loop: Header=BB259_819 Depth=1
	v_bfrev_b32_e32 v0, 1
	s_mov_b32 s19, exec_lo
	v_cmpx_ne_u16_e32 0x80, v6
	s_cbranch_execz .LBB259_1099
; %bb.1094:                             ;   in Loop: Header=BB259_819 Depth=1
	v_and_b32_e32 v9, 0xffff, v6
	v_mov_b32_e32 v0, 0x7c010000
	s_mov_b32 s20, exec_lo
	s_delay_alu instid0(VALU_DEP_2) | instskip(NEXT) | instid1(VALU_DEP_1)
	v_and_b32_e32 v29, 0x7f, v9
	v_cmpx_ne_u32_e32 0x7f, v29
	s_cbranch_execz .LBB259_1098
; %bb.1095:                             ;   in Loop: Header=BB259_819 Depth=1
	v_and_b32_e32 v0, 7, v9
	v_lshrrev_b32_e32 v19, 3, v29
	s_mov_b32 s21, exec_lo
	v_cmpx_gt_u32_e32 8, v29
; %bb.1096:                             ;   in Loop: Header=BB259_819 Depth=1
	s_delay_alu instid0(VALU_DEP_3) | instskip(NEXT) | instid1(VALU_DEP_1)
	v_clz_i32_u32_e32 v0, v0
	v_min_u32_e32 v0, 32, v0
	s_delay_alu instid0(VALU_DEP_1) | instskip(NEXT) | instid1(VALU_DEP_1)
	v_subrev_nc_u32_e32 v19, 28, v0
	v_lshlrev_b64_e32 v[38:39], v19, v[6:7]
	s_delay_alu instid0(VALU_DEP_1)
	v_dual_sub_nc_u32 v19, 29, v0 :: v_dual_bitop2_b32 v0, 7, v38 bitop3:0x40
; %bb.1097:                             ;   in Loop: Header=BB259_819 Depth=1
	s_or_b32 exec_lo, exec_lo, s21
	s_delay_alu instid0(VALU_DEP_1) | instskip(NEXT) | instid1(VALU_DEP_2)
	v_dual_lshlrev_b32 v6, 8, v9 :: v_dual_lshlrev_b32 v0, 23, v0
	v_lshl_add_u32 v9, v19, 10, 0x2000
	s_delay_alu instid0(VALU_DEP_1) | instskip(NEXT) | instid1(VALU_DEP_1)
	v_and_or_b32 v6, 0x8000, v6, v9
	v_lshl_or_b32 v0, v6, 16, v0
.LBB259_1098:                           ;   in Loop: Header=BB259_819 Depth=1
	s_or_b32 exec_lo, exec_lo, s20
.LBB259_1099:                           ;   in Loop: Header=BB259_819 Depth=1
	s_delay_alu instid0(SALU_CYCLE_1)
	s_or_b32 exec_lo, exec_lo, s19
.LBB259_1100:                           ;   in Loop: Header=BB259_819 Depth=1
	s_delay_alu instid0(SALU_CYCLE_1) | instskip(SKIP_3) | instid1(VALU_DEP_2)
	s_or_b32 exec_lo, exec_lo, s18
	v_dual_mov_b32 v9, 0 :: v_dual_lshrrev_b32 v6, 16, v36
	v_mov_b32_e32 v19, 0
	s_mov_b32 s18, exec_lo
	v_and_b32_e32 v29, 0xff, v6
	s_delay_alu instid0(VALU_DEP_1)
	v_cmpx_ne_u16_e32 0, v29
	s_cbranch_execz .LBB259_1108
; %bb.1101:                             ;   in Loop: Header=BB259_819 Depth=1
	v_mov_b32_e32 v19, 0x8000
	s_mov_b32 s19, exec_lo
	v_cmpx_ne_u16_e32 0x80, v29
	s_cbranch_execz .LBB259_1107
; %bb.1102:                             ;   in Loop: Header=BB259_819 Depth=1
	v_bfe_u32 v38, v36, 16, 7
	v_mov_b32_e32 v19, 0x7c01
	s_mov_b32 s20, exec_lo
	s_delay_alu instid0(VALU_DEP_2)
	v_cmpx_ne_u32_e32 0x7f, v38
	s_cbranch_execz .LBB259_1106
; %bb.1103:                             ;   in Loop: Header=BB259_819 Depth=1
	v_and_b32_e32 v19, 7, v6
	v_lshrrev_b32_e32 v29, 3, v38
	s_mov_b32 s21, exec_lo
	v_cmpx_gt_u32_e32 8, v38
; %bb.1104:                             ;   in Loop: Header=BB259_819 Depth=1
	s_delay_alu instid0(VALU_DEP_3) | instskip(NEXT) | instid1(VALU_DEP_1)
	v_clz_i32_u32_e32 v19, v19
	v_min_u32_e32 v19, 32, v19
	s_delay_alu instid0(VALU_DEP_1) | instskip(NEXT) | instid1(VALU_DEP_1)
	v_subrev_nc_u32_e32 v29, 28, v19
	v_lshlrev_b64_e32 v[38:39], v29, v[6:7]
	s_delay_alu instid0(VALU_DEP_1)
	v_dual_sub_nc_u32 v29, 29, v19 :: v_dual_bitop2_b32 v19, 7, v38 bitop3:0x40
; %bb.1105:                             ;   in Loop: Header=BB259_819 Depth=1
	s_or_b32 exec_lo, exec_lo, s21
	s_delay_alu instid0(VALU_DEP_1) | instskip(NEXT) | instid1(VALU_DEP_2)
	v_dual_lshlrev_b32 v6, 8, v6 :: v_dual_lshlrev_b32 v19, 7, v19
	v_lshl_add_u32 v29, v29, 10, 0x2000
	s_delay_alu instid0(VALU_DEP_2) | instskip(NEXT) | instid1(VALU_DEP_2)
	v_and_b32_e32 v6, 0x8000, v6
	v_and_b32_e32 v29, 0xfc00, v29
	s_delay_alu instid0(VALU_DEP_1)
	v_or3_b32 v19, v6, v29, v19
.LBB259_1106:                           ;   in Loop: Header=BB259_819 Depth=1
	s_or_b32 exec_lo, exec_lo, s20
.LBB259_1107:                           ;   in Loop: Header=BB259_819 Depth=1
	s_delay_alu instid0(SALU_CYCLE_1)
	s_or_b32 exec_lo, exec_lo, s19
.LBB259_1108:                           ;   in Loop: Header=BB259_819 Depth=1
	s_delay_alu instid0(SALU_CYCLE_1) | instskip(NEXT) | instid1(SALU_CYCLE_1)
	s_or_b32 exec_lo, exec_lo, s18
	s_mov_b32 s18, exec_lo
	v_cmpx_lt_u32_e32 0xffffff, v36
	s_cbranch_execz .LBB259_1116
; %bb.1109:                             ;   in Loop: Header=BB259_819 Depth=1
	v_lshrrev_b32_e32 v6, 24, v36
	v_bfrev_b32_e32 v9, 1
	s_mov_b32 s19, exec_lo
	s_delay_alu instid0(VALU_DEP_2)
	v_cmpx_ne_u32_e32 0x80, v6
	s_cbranch_execz .LBB259_1115
; %bb.1110:                             ;   in Loop: Header=BB259_819 Depth=1
	v_and_b32_e32 v38, 0x7f, v6
	v_mov_b32_e32 v9, 0x7c010000
	s_mov_b32 s20, exec_lo
	s_delay_alu instid0(VALU_DEP_2)
	v_cmpx_ne_u32_e32 0x7f, v38
	s_cbranch_execz .LBB259_1114
; %bb.1111:                             ;   in Loop: Header=BB259_819 Depth=1
	v_and_b32_e32 v9, 7, v6
	v_lshrrev_b32_e32 v29, 3, v38
	s_mov_b32 s21, exec_lo
	v_cmpx_gt_u32_e32 8, v38
; %bb.1112:                             ;   in Loop: Header=BB259_819 Depth=1
	s_delay_alu instid0(VALU_DEP_3) | instskip(NEXT) | instid1(VALU_DEP_1)
	v_clz_i32_u32_e32 v9, v9
	v_min_u32_e32 v9, 32, v9
	s_delay_alu instid0(VALU_DEP_1) | instskip(NEXT) | instid1(VALU_DEP_1)
	v_subrev_nc_u32_e32 v29, 28, v9
	v_lshlrev_b64_e32 v[38:39], v29, v[6:7]
	s_delay_alu instid0(VALU_DEP_1)
	v_dual_sub_nc_u32 v29, 29, v9 :: v_dual_bitop2_b32 v9, 7, v38 bitop3:0x40
; %bb.1113:                             ;   in Loop: Header=BB259_819 Depth=1
	s_or_b32 exec_lo, exec_lo, s21
	s_delay_alu instid0(VALU_DEP_1) | instskip(NEXT) | instid1(VALU_DEP_2)
	v_dual_lshlrev_b32 v6, 8, v6 :: v_dual_lshlrev_b32 v9, 23, v9
	v_lshl_add_u32 v29, v29, 10, 0x2000
	s_delay_alu instid0(VALU_DEP_1) | instskip(NEXT) | instid1(VALU_DEP_1)
	v_and_or_b32 v6, 0x8000, v6, v29
	v_lshl_or_b32 v9, v6, 16, v9
.LBB259_1114:                           ;   in Loop: Header=BB259_819 Depth=1
	s_or_b32 exec_lo, exec_lo, s20
.LBB259_1115:                           ;   in Loop: Header=BB259_819 Depth=1
	s_delay_alu instid0(SALU_CYCLE_1)
	s_or_b32 exec_lo, exec_lo, s19
.LBB259_1116:                           ;   in Loop: Header=BB259_819 Depth=1
	s_delay_alu instid0(SALU_CYCLE_1) | instskip(SKIP_4) | instid1(VALU_DEP_3)
	s_or_b32 exec_lo, exec_lo, s18
	v_and_b32_e32 v39, 0xff, v37
	v_dual_mov_b32 v6, v37 :: v_dual_mov_b32 v38, 0
	v_mov_b32_e32 v29, 0
	s_mov_b32 s18, exec_lo
	v_cmpx_ne_u16_e32 0, v39
	s_cbranch_execz .LBB259_1124
; %bb.1117:                             ;   in Loop: Header=BB259_819 Depth=1
	v_mov_b32_e32 v29, 0x8000
	s_mov_b32 s19, exec_lo
	v_cmpx_ne_u16_e32 0x80, v39
	s_cbranch_execz .LBB259_1123
; %bb.1118:                             ;   in Loop: Header=BB259_819 Depth=1
	v_and_b32_e32 v48, 0x7f, v37
	v_mov_b32_e32 v29, 0x7c01
	s_mov_b32 s20, exec_lo
	s_delay_alu instid0(VALU_DEP_2)
	v_cmpx_ne_u32_e32 0x7f, v48
	s_cbranch_execz .LBB259_1122
; %bb.1119:                             ;   in Loop: Header=BB259_819 Depth=1
	v_dual_lshrrev_b32 v39, 3, v48 :: v_dual_bitop2_b32 v29, 7, v37 bitop3:0x40
	s_mov_b32 s21, exec_lo
	v_cmpx_gt_u32_e32 8, v48
; %bb.1120:                             ;   in Loop: Header=BB259_819 Depth=1
	s_delay_alu instid0(VALU_DEP_2) | instskip(NEXT) | instid1(VALU_DEP_1)
	v_clz_i32_u32_e32 v29, v29
	v_min_u32_e32 v29, 32, v29
	s_delay_alu instid0(VALU_DEP_1) | instskip(NEXT) | instid1(VALU_DEP_1)
	v_subrev_nc_u32_e32 v39, 28, v29
	v_lshlrev_b64_e32 v[48:49], v39, v[6:7]
	s_delay_alu instid0(VALU_DEP_1)
	v_dual_sub_nc_u32 v39, 29, v29 :: v_dual_bitop2_b32 v29, 7, v48 bitop3:0x40
; %bb.1121:                             ;   in Loop: Header=BB259_819 Depth=1
	s_or_b32 exec_lo, exec_lo, s21
	v_lshlrev_b32_e32 v48, 8, v37
	s_delay_alu instid0(VALU_DEP_2) | instskip(NEXT) | instid1(VALU_DEP_3)
	v_lshl_add_u32 v39, v39, 10, 0x2000
	v_lshlrev_b32_e32 v29, 7, v29
	s_delay_alu instid0(VALU_DEP_3) | instskip(NEXT) | instid1(VALU_DEP_3)
	v_and_b32_e32 v48, 0x8000, v48
	v_and_b32_e32 v39, 0xfc00, v39
	s_delay_alu instid0(VALU_DEP_1)
	v_or3_b32 v29, v48, v39, v29
.LBB259_1122:                           ;   in Loop: Header=BB259_819 Depth=1
	s_or_b32 exec_lo, exec_lo, s20
.LBB259_1123:                           ;   in Loop: Header=BB259_819 Depth=1
	s_delay_alu instid0(SALU_CYCLE_1)
	s_or_b32 exec_lo, exec_lo, s19
.LBB259_1124:                           ;   in Loop: Header=BB259_819 Depth=1
	s_delay_alu instid0(SALU_CYCLE_1) | instskip(SKIP_3) | instid1(VALU_DEP_2)
	s_or_b32 exec_lo, exec_lo, s18
	v_lshrrev_b16 v6, 8, v6
	v_mov_b32_e32 v39, 0
	s_mov_b32 s18, exec_lo
	v_cmpx_ne_u16_e32 0, v6
	s_cbranch_execz .LBB259_1132
; %bb.1125:                             ;   in Loop: Header=BB259_819 Depth=1
	v_bfrev_b32_e32 v39, 1
	s_mov_b32 s19, exec_lo
	v_cmpx_ne_u16_e32 0x80, v6
	s_cbranch_execz .LBB259_1131
; %bb.1126:                             ;   in Loop: Header=BB259_819 Depth=1
	v_and_b32_e32 v48, 0xffff, v6
	v_mov_b32_e32 v39, 0x7c010000
	s_mov_b32 s20, exec_lo
	s_delay_alu instid0(VALU_DEP_2) | instskip(NEXT) | instid1(VALU_DEP_1)
	v_and_b32_e32 v50, 0x7f, v48
	v_cmpx_ne_u32_e32 0x7f, v50
	s_cbranch_execz .LBB259_1130
; %bb.1127:                             ;   in Loop: Header=BB259_819 Depth=1
	v_dual_lshrrev_b32 v49, 3, v50 :: v_dual_bitop2_b32 v39, 7, v48 bitop3:0x40
	s_mov_b32 s21, exec_lo
	v_cmpx_gt_u32_e32 8, v50
; %bb.1128:                             ;   in Loop: Header=BB259_819 Depth=1
	s_delay_alu instid0(VALU_DEP_2) | instskip(NEXT) | instid1(VALU_DEP_1)
	v_clz_i32_u32_e32 v39, v39
	v_min_u32_e32 v39, 32, v39
	s_delay_alu instid0(VALU_DEP_1) | instskip(NEXT) | instid1(VALU_DEP_1)
	v_subrev_nc_u32_e32 v49, 28, v39
	v_lshlrev_b64_e32 v[116:117], v49, v[6:7]
	s_delay_alu instid0(VALU_DEP_1)
	v_dual_sub_nc_u32 v49, 29, v39 :: v_dual_bitop2_b32 v39, 7, v116 bitop3:0x40
; %bb.1129:                             ;   in Loop: Header=BB259_819 Depth=1
	s_or_b32 exec_lo, exec_lo, s21
	s_delay_alu instid0(VALU_DEP_1) | instskip(NEXT) | instid1(VALU_DEP_2)
	v_dual_lshlrev_b32 v6, 8, v48 :: v_dual_lshlrev_b32 v39, 23, v39
	v_lshl_add_u32 v48, v49, 10, 0x2000
	s_delay_alu instid0(VALU_DEP_1) | instskip(NEXT) | instid1(VALU_DEP_1)
	v_and_or_b32 v6, 0x8000, v6, v48
	v_lshl_or_b32 v39, v6, 16, v39
.LBB259_1130:                           ;   in Loop: Header=BB259_819 Depth=1
	s_or_b32 exec_lo, exec_lo, s20
.LBB259_1131:                           ;   in Loop: Header=BB259_819 Depth=1
	s_delay_alu instid0(SALU_CYCLE_1)
	s_or_b32 exec_lo, exec_lo, s19
.LBB259_1132:                           ;   in Loop: Header=BB259_819 Depth=1
	s_delay_alu instid0(SALU_CYCLE_1) | instskip(SKIP_2) | instid1(VALU_DEP_1)
	s_or_b32 exec_lo, exec_lo, s18
	v_lshrrev_b32_e32 v6, 16, v37
	s_mov_b32 s18, exec_lo
	v_and_b32_e32 v48, 0xff, v6
	s_delay_alu instid0(VALU_DEP_1)
	v_cmpx_ne_u16_e32 0, v48
	s_cbranch_execz .LBB259_1140
; %bb.1133:                             ;   in Loop: Header=BB259_819 Depth=1
	v_mov_b32_e32 v38, 0x8000
	s_mov_b32 s19, exec_lo
	v_cmpx_ne_u16_e32 0x80, v48
	s_cbranch_execz .LBB259_1139
; %bb.1134:                             ;   in Loop: Header=BB259_819 Depth=1
	v_bfe_u32 v49, v37, 16, 7
	v_mov_b32_e32 v38, 0x7c01
	s_mov_b32 s20, exec_lo
	s_delay_alu instid0(VALU_DEP_2)
	v_cmpx_ne_u32_e32 0x7f, v49
	s_cbranch_execz .LBB259_1138
; %bb.1135:                             ;   in Loop: Header=BB259_819 Depth=1
	v_dual_lshrrev_b32 v48, 3, v49 :: v_dual_bitop2_b32 v38, 7, v6 bitop3:0x40
	s_mov_b32 s21, exec_lo
	v_cmpx_gt_u32_e32 8, v49
; %bb.1136:                             ;   in Loop: Header=BB259_819 Depth=1
	s_delay_alu instid0(VALU_DEP_2) | instskip(NEXT) | instid1(VALU_DEP_1)
	v_clz_i32_u32_e32 v38, v38
	v_min_u32_e32 v38, 32, v38
	s_delay_alu instid0(VALU_DEP_1) | instskip(NEXT) | instid1(VALU_DEP_1)
	v_subrev_nc_u32_e32 v48, 28, v38
	v_lshlrev_b64_e32 v[116:117], v48, v[6:7]
	s_delay_alu instid0(VALU_DEP_1)
	v_dual_sub_nc_u32 v48, 29, v38 :: v_dual_bitop2_b32 v38, 7, v116 bitop3:0x40
; %bb.1137:                             ;   in Loop: Header=BB259_819 Depth=1
	s_or_b32 exec_lo, exec_lo, s21
	v_lshlrev_b32_e32 v6, 8, v6
	s_delay_alu instid0(VALU_DEP_2) | instskip(NEXT) | instid1(VALU_DEP_3)
	v_lshl_add_u32 v48, v48, 10, 0x2000
	v_lshlrev_b32_e32 v38, 7, v38
	s_delay_alu instid0(VALU_DEP_3) | instskip(NEXT) | instid1(VALU_DEP_3)
	v_and_b32_e32 v6, 0x8000, v6
	v_and_b32_e32 v48, 0xfc00, v48
	s_delay_alu instid0(VALU_DEP_1)
	v_or3_b32 v38, v6, v48, v38
.LBB259_1138:                           ;   in Loop: Header=BB259_819 Depth=1
	s_or_b32 exec_lo, exec_lo, s20
.LBB259_1139:                           ;   in Loop: Header=BB259_819 Depth=1
	s_delay_alu instid0(SALU_CYCLE_1)
	s_or_b32 exec_lo, exec_lo, s19
.LBB259_1140:                           ;   in Loop: Header=BB259_819 Depth=1
	s_delay_alu instid0(SALU_CYCLE_1)
	s_or_b32 exec_lo, exec_lo, s18
	v_cmp_lt_u64_e64 s0, s[2:3], v[36:37]
	v_mov_b32_e32 v36, 0
	s_and_saveexec_b32 s18, s0
	s_cbranch_execz .LBB259_1148
; %bb.1141:                             ;   in Loop: Header=BB259_819 Depth=1
	v_lshrrev_b32_e32 v6, 24, v37
	v_bfrev_b32_e32 v36, 1
	s_mov_b32 s19, exec_lo
	s_delay_alu instid0(VALU_DEP_2)
	v_cmpx_ne_u32_e32 0x80, v6
	s_cbranch_execz .LBB259_1147
; %bb.1142:                             ;   in Loop: Header=BB259_819 Depth=1
	v_and_b32_e32 v48, 0x7f, v6
	v_mov_b32_e32 v36, 0x7c010000
	s_mov_b32 s20, exec_lo
	s_delay_alu instid0(VALU_DEP_2)
	v_cmpx_ne_u32_e32 0x7f, v48
	s_cbranch_execz .LBB259_1146
; %bb.1143:                             ;   in Loop: Header=BB259_819 Depth=1
	v_dual_lshrrev_b32 v37, 3, v48 :: v_dual_bitop2_b32 v36, 7, v6 bitop3:0x40
	s_mov_b32 s21, exec_lo
	v_cmpx_gt_u32_e32 8, v48
; %bb.1144:                             ;   in Loop: Header=BB259_819 Depth=1
	s_delay_alu instid0(VALU_DEP_2) | instskip(NEXT) | instid1(VALU_DEP_1)
	v_clz_i32_u32_e32 v36, v36
	v_min_u32_e32 v48, 32, v36
	s_delay_alu instid0(VALU_DEP_1) | instskip(NEXT) | instid1(VALU_DEP_1)
	v_subrev_nc_u32_e32 v36, 28, v48
	v_lshlrev_b64_e32 v[36:37], v36, v[6:7]
	v_sub_nc_u32_e32 v37, 29, v48
	s_delay_alu instid0(VALU_DEP_2)
	v_and_b32_e32 v36, 7, v36
; %bb.1145:                             ;   in Loop: Header=BB259_819 Depth=1
	s_or_b32 exec_lo, exec_lo, s21
	s_delay_alu instid0(VALU_DEP_1) | instskip(NEXT) | instid1(VALU_DEP_3)
	v_dual_lshlrev_b32 v6, 8, v6 :: v_dual_lshlrev_b32 v36, 23, v36
	v_lshl_add_u32 v37, v37, 10, 0x2000
	s_delay_alu instid0(VALU_DEP_1) | instskip(NEXT) | instid1(VALU_DEP_1)
	v_and_or_b32 v6, 0x8000, v6, v37
	v_lshl_or_b32 v36, v6, 16, v36
.LBB259_1146:                           ;   in Loop: Header=BB259_819 Depth=1
	s_or_b32 exec_lo, exec_lo, s20
.LBB259_1147:                           ;   in Loop: Header=BB259_819 Depth=1
	s_delay_alu instid0(SALU_CYCLE_1)
	s_or_b32 exec_lo, exec_lo, s19
.LBB259_1148:                           ;   in Loop: Header=BB259_819 Depth=1
	s_delay_alu instid0(SALU_CYCLE_1) | instskip(SKIP_4) | instid1(VALU_DEP_4)
	s_or_b32 exec_lo, exec_lo, s18
	v_dual_lshrrev_b32 v6, 16, v0 :: v_dual_lshrrev_b32 v37, 16, v9
	v_or_b32_e32 v48, v0, v1
	v_or_b32_e32 v9, v9, v19
	v_lshrrev_b32_e32 v19, 16, v39
	v_cvt_f32_f16_e32 v1, v6
	v_cvt_f32_f16_e32 v0, v37
	v_dual_lshrrev_b32 v38, 16, v36 :: v_dual_bitop2_b32 v6, v36, v38 bitop3:0x54
	v_cvt_f32_f16_e32 v36, v9
	v_cvt_f32_f16_e32 v37, v48
	s_wait_loadcnt_dscnt 0x0
	v_pk_mul_f32 v[0:1], v[28:29], v[0:1] op_sel_hi:[0,1]
	v_cvt_f32_f16_e32 v48, v6
	v_cvt_f32_f16_e32 v38, v38
	v_pk_mul_f32 v[36:37], v[28:29], v[36:37] op_sel_hi:[0,1]
	s_delay_alu instid0(VALU_DEP_4) | instskip(SKIP_2) | instid1(VALU_DEP_2)
	v_cvt_pk_f16_f32 v6, v0, v1
	v_or_b32_e32 v9, v39, v29
	v_cvt_f32_f16_e32 v39, v19
	v_cvt_f32_f16_e32 v49, v9
	s_delay_alu instid0(VALU_DEP_2) | instskip(SKIP_2) | instid1(VALU_DEP_4)
	v_pk_mul_f32 v[0:1], v[28:29], v[38:39] op_sel_hi:[0,1]
	v_cvt_pk_f16_f32 v9, v36, v37
	v_lshlrev_b32_e32 v36, 16, v6
	v_pk_mul_f32 v[38:39], v[28:29], v[48:49] op_sel_hi:[0,1]
	s_delay_alu instid0(VALU_DEP_4)
	v_cvt_pk_f16_f32 v0, v0, v1
	v_and_b32_e32 v29, 0xffff0000, v6
	v_lshrrev_b32_e32 v49, 16, v9
	v_and_b32_e32 v50, 0xffff, v9
	v_cvt_pk_f16_f32 v1, v38, v39
	v_and_b32_e32 v9, 0xffff0000, v0
	s_delay_alu instid0(VALU_DEP_4) | instskip(NEXT) | instid1(VALU_DEP_3)
	v_dual_lshlrev_b32 v6, 16, v0 :: v_dual_bitop2_b32 v39, v29, v49 bitop3:0x54
	v_dual_lshrrev_b32 v19, 16, v1 :: v_dual_bitop2_b32 v48, v36, v50 bitop3:0x54
	v_and_b32_e32 v28, 0xffff, v1
	s_delay_alu instid0(VALU_DEP_2) | instskip(NEXT) | instid1(VALU_DEP_2)
	v_or_b32_e32 v37, v9, v19
	v_or_b32_e32 v38, v6, v28
	s_and_saveexec_b32 s18, vcc_lo
	s_cbranch_execz .LBB259_1150
; %bb.1149:                             ;   in Loop: Header=BB259_819 Depth=1
	v_cmp_lt_i32_e64 s0, v83, v13
	s_delay_alu instid0(VALU_DEP_1) | instskip(SKIP_1) | instid1(VALU_DEP_1)
	v_cndmask_b32_e64 v0, 0, v49, s0
	v_cmp_lt_i32_e64 s0, v98, v12
	v_cndmask_b32_e64 v1, 0, v50, s0
	v_cmp_lt_i32_e64 s0, v97, v13
	s_delay_alu instid0(VALU_DEP_1) | instskip(SKIP_1) | instid1(VALU_DEP_1)
	v_cndmask_b32_e64 v29, 0, v29, s0
	v_cmp_lt_i32_e64 s0, v96, v12
	v_cndmask_b32_e64 v36, 0, v36, s0
	v_cmp_lt_i32_e64 s0, v87, v13
	s_delay_alu instid0(VALU_DEP_4) | instskip(NEXT) | instid1(VALU_DEP_2)
	v_or_b32_e32 v39, v0, v29
	v_dual_cndmask_b32 v19, 0, v19, s0 :: v_dual_bitop2_b32 v48, v1, v36 bitop3:0x54
	v_cmp_lt_i32_e64 s0, v86, v12
	s_delay_alu instid0(VALU_DEP_1) | instskip(SKIP_1) | instid1(VALU_DEP_1)
	v_cndmask_b32_e64 v28, 0, v28, s0
	v_cmp_lt_i32_e64 s0, v85, v13
	v_cndmask_b32_e64 v9, 0, v9, s0
	v_cmp_lt_i32_e64 s0, v84, v12
	s_delay_alu instid0(VALU_DEP_1) | instskip(NEXT) | instid1(VALU_DEP_1)
	v_dual_cndmask_b32 v6, 0, v6, s0 :: v_dual_bitop2_b32 v37, v19, v9 bitop3:0x54
	v_or_b32_e32 v38, v28, v6
.LBB259_1150:                           ;   in Loop: Header=BB259_819 Depth=1
	s_or_b32 exec_lo, exec_lo, s18
	;;#ASMSTART
	v_pk_mul_f16 v0, v99, v39;

	;;#ASMEND
	;;#ASMSTART
	v_pk_mul_f16 v1, v53, v48;

	;;#ASMEND
	;; [unrolled: 4-line block ×4, first 2 shown]
	;;#ASMSTART
	v_pk_add_f16 v0, v0, v1;

	;;#ASMEND
	;;#ASMSTART
	v_pk_add_f16 v0, v0, v6;

	;;#ASMEND
	;; [unrolled: 4-line block ×3, first 2 shown]
	v_and_b32_e32 v1, 0xffff, v0
	v_lshrrev_b32_e32 v0, 16, v0
	;;#ASMSTART
	v_cvt_f32_f16 v115, v1;
	;;#ASMEND
	v_mov_b32_e32 v1, 0
	;;#ASMSTART
	v_cvt_f32_f16 v116, v0;
	;;#ASMEND
	flat_load_b64 v[36:37], v[26:27] offset:1280
	flat_load_b32 v28, v[22:23]
	v_mov_b32_e32 v0, 0
	s_mov_b32 s18, exec_lo
	s_wait_loadcnt_dscnt 0x101
	v_and_b32_e32 v6, 0xff, v36
	s_wait_xcnt 0x0
	s_delay_alu instid0(VALU_DEP_1)
	v_cmpx_ne_u16_e32 0, v6
	s_cbranch_execz .LBB259_1158
; %bb.1151:                             ;   in Loop: Header=BB259_819 Depth=1
	v_mov_b32_e32 v1, 0x8000
	s_mov_b32 s19, exec_lo
	v_cmpx_ne_u16_e32 0x80, v6
	s_cbranch_execz .LBB259_1157
; %bb.1152:                             ;   in Loop: Header=BB259_819 Depth=1
	v_and_b32_e32 v9, 0x7f, v36
	v_mov_b32_e32 v1, 0x7c01
	s_mov_b32 s20, exec_lo
	s_delay_alu instid0(VALU_DEP_2)
	v_cmpx_ne_u32_e32 0x7f, v9
	s_cbranch_execz .LBB259_1156
; %bb.1153:                             ;   in Loop: Header=BB259_819 Depth=1
	v_dual_lshrrev_b32 v6, 3, v9 :: v_dual_bitop2_b32 v1, 7, v36 bitop3:0x40
	s_mov_b32 s21, exec_lo
	v_cmpx_gt_u32_e32 8, v9
; %bb.1154:                             ;   in Loop: Header=BB259_819 Depth=1
	s_delay_alu instid0(VALU_DEP_2) | instskip(NEXT) | instid1(VALU_DEP_1)
	v_clz_i32_u32_e32 v1, v1
	v_min_u32_e32 v1, 32, v1
	s_delay_alu instid0(VALU_DEP_1) | instskip(NEXT) | instid1(VALU_DEP_1)
	v_subrev_nc_u32_e32 v6, 28, v1
	v_lshlrev_b64_e32 v[38:39], v6, v[36:37]
	s_delay_alu instid0(VALU_DEP_1)
	v_dual_sub_nc_u32 v6, 29, v1 :: v_dual_bitop2_b32 v1, 7, v38 bitop3:0x40
; %bb.1155:                             ;   in Loop: Header=BB259_819 Depth=1
	s_or_b32 exec_lo, exec_lo, s21
	s_delay_alu instid0(VALU_DEP_1) | instskip(NEXT) | instid1(VALU_DEP_2)
	v_dual_lshlrev_b32 v9, 8, v36 :: v_dual_lshlrev_b32 v1, 7, v1
	v_lshl_add_u32 v6, v6, 10, 0x2000
	s_delay_alu instid0(VALU_DEP_2) | instskip(NEXT) | instid1(VALU_DEP_2)
	v_and_b32_e32 v9, 0x8000, v9
	v_and_b32_e32 v6, 0xfc00, v6
	s_delay_alu instid0(VALU_DEP_1)
	v_or3_b32 v1, v9, v6, v1
.LBB259_1156:                           ;   in Loop: Header=BB259_819 Depth=1
	s_or_b32 exec_lo, exec_lo, s20
.LBB259_1157:                           ;   in Loop: Header=BB259_819 Depth=1
	s_delay_alu instid0(SALU_CYCLE_1)
	s_or_b32 exec_lo, exec_lo, s19
.LBB259_1158:                           ;   in Loop: Header=BB259_819 Depth=1
	s_delay_alu instid0(SALU_CYCLE_1) | instskip(SKIP_2) | instid1(VALU_DEP_1)
	s_or_b32 exec_lo, exec_lo, s18
	v_lshrrev_b16 v6, 8, v36
	s_mov_b32 s18, exec_lo
	v_cmpx_ne_u16_e32 0, v6
	s_cbranch_execz .LBB259_1166
; %bb.1159:                             ;   in Loop: Header=BB259_819 Depth=1
	v_bfrev_b32_e32 v0, 1
	s_mov_b32 s19, exec_lo
	v_cmpx_ne_u16_e32 0x80, v6
	s_cbranch_execz .LBB259_1165
; %bb.1160:                             ;   in Loop: Header=BB259_819 Depth=1
	v_and_b32_e32 v9, 0xffff, v6
	v_mov_b32_e32 v0, 0x7c010000
	s_mov_b32 s20, exec_lo
	s_delay_alu instid0(VALU_DEP_2) | instskip(NEXT) | instid1(VALU_DEP_1)
	v_and_b32_e32 v29, 0x7f, v9
	v_cmpx_ne_u32_e32 0x7f, v29
	s_cbranch_execz .LBB259_1164
; %bb.1161:                             ;   in Loop: Header=BB259_819 Depth=1
	v_and_b32_e32 v0, 7, v9
	v_lshrrev_b32_e32 v19, 3, v29
	s_mov_b32 s21, exec_lo
	v_cmpx_gt_u32_e32 8, v29
; %bb.1162:                             ;   in Loop: Header=BB259_819 Depth=1
	s_delay_alu instid0(VALU_DEP_3) | instskip(NEXT) | instid1(VALU_DEP_1)
	v_clz_i32_u32_e32 v0, v0
	v_min_u32_e32 v0, 32, v0
	s_delay_alu instid0(VALU_DEP_1) | instskip(NEXT) | instid1(VALU_DEP_1)
	v_subrev_nc_u32_e32 v19, 28, v0
	v_lshlrev_b64_e32 v[38:39], v19, v[6:7]
	s_delay_alu instid0(VALU_DEP_1)
	v_dual_sub_nc_u32 v19, 29, v0 :: v_dual_bitop2_b32 v0, 7, v38 bitop3:0x40
; %bb.1163:                             ;   in Loop: Header=BB259_819 Depth=1
	s_or_b32 exec_lo, exec_lo, s21
	s_delay_alu instid0(VALU_DEP_1) | instskip(NEXT) | instid1(VALU_DEP_2)
	v_dual_lshlrev_b32 v6, 8, v9 :: v_dual_lshlrev_b32 v0, 23, v0
	v_lshl_add_u32 v9, v19, 10, 0x2000
	s_delay_alu instid0(VALU_DEP_1) | instskip(NEXT) | instid1(VALU_DEP_1)
	v_and_or_b32 v6, 0x8000, v6, v9
	v_lshl_or_b32 v0, v6, 16, v0
.LBB259_1164:                           ;   in Loop: Header=BB259_819 Depth=1
	s_or_b32 exec_lo, exec_lo, s20
.LBB259_1165:                           ;   in Loop: Header=BB259_819 Depth=1
	s_delay_alu instid0(SALU_CYCLE_1)
	s_or_b32 exec_lo, exec_lo, s19
.LBB259_1166:                           ;   in Loop: Header=BB259_819 Depth=1
	s_delay_alu instid0(SALU_CYCLE_1) | instskip(SKIP_3) | instid1(VALU_DEP_2)
	s_or_b32 exec_lo, exec_lo, s18
	v_dual_mov_b32 v9, 0 :: v_dual_lshrrev_b32 v6, 16, v36
	v_mov_b32_e32 v19, 0
	s_mov_b32 s18, exec_lo
	v_and_b32_e32 v29, 0xff, v6
	s_delay_alu instid0(VALU_DEP_1)
	v_cmpx_ne_u16_e32 0, v29
	s_cbranch_execz .LBB259_1174
; %bb.1167:                             ;   in Loop: Header=BB259_819 Depth=1
	v_mov_b32_e32 v19, 0x8000
	s_mov_b32 s19, exec_lo
	v_cmpx_ne_u16_e32 0x80, v29
	s_cbranch_execz .LBB259_1173
; %bb.1168:                             ;   in Loop: Header=BB259_819 Depth=1
	v_bfe_u32 v38, v36, 16, 7
	v_mov_b32_e32 v19, 0x7c01
	s_mov_b32 s20, exec_lo
	s_delay_alu instid0(VALU_DEP_2)
	v_cmpx_ne_u32_e32 0x7f, v38
	s_cbranch_execz .LBB259_1172
; %bb.1169:                             ;   in Loop: Header=BB259_819 Depth=1
	v_and_b32_e32 v19, 7, v6
	v_lshrrev_b32_e32 v29, 3, v38
	s_mov_b32 s21, exec_lo
	v_cmpx_gt_u32_e32 8, v38
; %bb.1170:                             ;   in Loop: Header=BB259_819 Depth=1
	s_delay_alu instid0(VALU_DEP_3) | instskip(NEXT) | instid1(VALU_DEP_1)
	v_clz_i32_u32_e32 v19, v19
	v_min_u32_e32 v19, 32, v19
	s_delay_alu instid0(VALU_DEP_1) | instskip(NEXT) | instid1(VALU_DEP_1)
	v_subrev_nc_u32_e32 v29, 28, v19
	v_lshlrev_b64_e32 v[38:39], v29, v[6:7]
	s_delay_alu instid0(VALU_DEP_1)
	v_dual_sub_nc_u32 v29, 29, v19 :: v_dual_bitop2_b32 v19, 7, v38 bitop3:0x40
; %bb.1171:                             ;   in Loop: Header=BB259_819 Depth=1
	s_or_b32 exec_lo, exec_lo, s21
	s_delay_alu instid0(VALU_DEP_1) | instskip(NEXT) | instid1(VALU_DEP_2)
	v_dual_lshlrev_b32 v6, 8, v6 :: v_dual_lshlrev_b32 v19, 7, v19
	v_lshl_add_u32 v29, v29, 10, 0x2000
	s_delay_alu instid0(VALU_DEP_2) | instskip(NEXT) | instid1(VALU_DEP_2)
	v_and_b32_e32 v6, 0x8000, v6
	v_and_b32_e32 v29, 0xfc00, v29
	s_delay_alu instid0(VALU_DEP_1)
	v_or3_b32 v19, v6, v29, v19
.LBB259_1172:                           ;   in Loop: Header=BB259_819 Depth=1
	s_or_b32 exec_lo, exec_lo, s20
.LBB259_1173:                           ;   in Loop: Header=BB259_819 Depth=1
	s_delay_alu instid0(SALU_CYCLE_1)
	s_or_b32 exec_lo, exec_lo, s19
.LBB259_1174:                           ;   in Loop: Header=BB259_819 Depth=1
	s_delay_alu instid0(SALU_CYCLE_1) | instskip(NEXT) | instid1(SALU_CYCLE_1)
	s_or_b32 exec_lo, exec_lo, s18
	s_mov_b32 s18, exec_lo
	v_cmpx_lt_u32_e32 0xffffff, v36
	s_cbranch_execz .LBB259_1182
; %bb.1175:                             ;   in Loop: Header=BB259_819 Depth=1
	v_lshrrev_b32_e32 v6, 24, v36
	v_bfrev_b32_e32 v9, 1
	s_mov_b32 s19, exec_lo
	s_delay_alu instid0(VALU_DEP_2)
	v_cmpx_ne_u32_e32 0x80, v6
	s_cbranch_execz .LBB259_1181
; %bb.1176:                             ;   in Loop: Header=BB259_819 Depth=1
	v_and_b32_e32 v38, 0x7f, v6
	v_mov_b32_e32 v9, 0x7c010000
	s_mov_b32 s20, exec_lo
	s_delay_alu instid0(VALU_DEP_2)
	v_cmpx_ne_u32_e32 0x7f, v38
	s_cbranch_execz .LBB259_1180
; %bb.1177:                             ;   in Loop: Header=BB259_819 Depth=1
	v_and_b32_e32 v9, 7, v6
	v_lshrrev_b32_e32 v29, 3, v38
	s_mov_b32 s21, exec_lo
	v_cmpx_gt_u32_e32 8, v38
; %bb.1178:                             ;   in Loop: Header=BB259_819 Depth=1
	s_delay_alu instid0(VALU_DEP_3) | instskip(NEXT) | instid1(VALU_DEP_1)
	v_clz_i32_u32_e32 v9, v9
	v_min_u32_e32 v9, 32, v9
	s_delay_alu instid0(VALU_DEP_1) | instskip(NEXT) | instid1(VALU_DEP_1)
	v_subrev_nc_u32_e32 v29, 28, v9
	v_lshlrev_b64_e32 v[38:39], v29, v[6:7]
	s_delay_alu instid0(VALU_DEP_1)
	v_dual_sub_nc_u32 v29, 29, v9 :: v_dual_bitop2_b32 v9, 7, v38 bitop3:0x40
; %bb.1179:                             ;   in Loop: Header=BB259_819 Depth=1
	s_or_b32 exec_lo, exec_lo, s21
	s_delay_alu instid0(VALU_DEP_1) | instskip(NEXT) | instid1(VALU_DEP_2)
	v_dual_lshlrev_b32 v6, 8, v6 :: v_dual_lshlrev_b32 v9, 23, v9
	v_lshl_add_u32 v29, v29, 10, 0x2000
	s_delay_alu instid0(VALU_DEP_1) | instskip(NEXT) | instid1(VALU_DEP_1)
	v_and_or_b32 v6, 0x8000, v6, v29
	v_lshl_or_b32 v9, v6, 16, v9
.LBB259_1180:                           ;   in Loop: Header=BB259_819 Depth=1
	s_or_b32 exec_lo, exec_lo, s20
.LBB259_1181:                           ;   in Loop: Header=BB259_819 Depth=1
	s_delay_alu instid0(SALU_CYCLE_1)
	s_or_b32 exec_lo, exec_lo, s19
.LBB259_1182:                           ;   in Loop: Header=BB259_819 Depth=1
	s_delay_alu instid0(SALU_CYCLE_1) | instskip(SKIP_4) | instid1(VALU_DEP_3)
	s_or_b32 exec_lo, exec_lo, s18
	v_and_b32_e32 v39, 0xff, v37
	v_dual_mov_b32 v6, v37 :: v_dual_mov_b32 v38, 0
	v_mov_b32_e32 v29, 0
	s_mov_b32 s18, exec_lo
	v_cmpx_ne_u16_e32 0, v39
	s_cbranch_execz .LBB259_1190
; %bb.1183:                             ;   in Loop: Header=BB259_819 Depth=1
	v_mov_b32_e32 v29, 0x8000
	s_mov_b32 s19, exec_lo
	v_cmpx_ne_u16_e32 0x80, v39
	s_cbranch_execz .LBB259_1189
; %bb.1184:                             ;   in Loop: Header=BB259_819 Depth=1
	v_and_b32_e32 v48, 0x7f, v37
	v_mov_b32_e32 v29, 0x7c01
	s_mov_b32 s20, exec_lo
	s_delay_alu instid0(VALU_DEP_2)
	v_cmpx_ne_u32_e32 0x7f, v48
	s_cbranch_execz .LBB259_1188
; %bb.1185:                             ;   in Loop: Header=BB259_819 Depth=1
	v_dual_lshrrev_b32 v39, 3, v48 :: v_dual_bitop2_b32 v29, 7, v37 bitop3:0x40
	s_mov_b32 s21, exec_lo
	v_cmpx_gt_u32_e32 8, v48
; %bb.1186:                             ;   in Loop: Header=BB259_819 Depth=1
	s_delay_alu instid0(VALU_DEP_2) | instskip(NEXT) | instid1(VALU_DEP_1)
	v_clz_i32_u32_e32 v29, v29
	v_min_u32_e32 v29, 32, v29
	s_delay_alu instid0(VALU_DEP_1) | instskip(NEXT) | instid1(VALU_DEP_1)
	v_subrev_nc_u32_e32 v39, 28, v29
	v_lshlrev_b64_e32 v[48:49], v39, v[6:7]
	s_delay_alu instid0(VALU_DEP_1)
	v_dual_sub_nc_u32 v39, 29, v29 :: v_dual_bitop2_b32 v29, 7, v48 bitop3:0x40
; %bb.1187:                             ;   in Loop: Header=BB259_819 Depth=1
	s_or_b32 exec_lo, exec_lo, s21
	v_lshlrev_b32_e32 v48, 8, v37
	s_delay_alu instid0(VALU_DEP_2) | instskip(NEXT) | instid1(VALU_DEP_3)
	v_lshl_add_u32 v39, v39, 10, 0x2000
	v_lshlrev_b32_e32 v29, 7, v29
	s_delay_alu instid0(VALU_DEP_3) | instskip(NEXT) | instid1(VALU_DEP_3)
	v_and_b32_e32 v48, 0x8000, v48
	v_and_b32_e32 v39, 0xfc00, v39
	s_delay_alu instid0(VALU_DEP_1)
	v_or3_b32 v29, v48, v39, v29
.LBB259_1188:                           ;   in Loop: Header=BB259_819 Depth=1
	s_or_b32 exec_lo, exec_lo, s20
.LBB259_1189:                           ;   in Loop: Header=BB259_819 Depth=1
	s_delay_alu instid0(SALU_CYCLE_1)
	s_or_b32 exec_lo, exec_lo, s19
.LBB259_1190:                           ;   in Loop: Header=BB259_819 Depth=1
	s_delay_alu instid0(SALU_CYCLE_1) | instskip(SKIP_3) | instid1(VALU_DEP_2)
	s_or_b32 exec_lo, exec_lo, s18
	v_lshrrev_b16 v6, 8, v6
	v_mov_b32_e32 v39, 0
	s_mov_b32 s18, exec_lo
	v_cmpx_ne_u16_e32 0, v6
	s_cbranch_execz .LBB259_1198
; %bb.1191:                             ;   in Loop: Header=BB259_819 Depth=1
	v_bfrev_b32_e32 v39, 1
	s_mov_b32 s19, exec_lo
	v_cmpx_ne_u16_e32 0x80, v6
	s_cbranch_execz .LBB259_1197
; %bb.1192:                             ;   in Loop: Header=BB259_819 Depth=1
	v_and_b32_e32 v48, 0xffff, v6
	v_mov_b32_e32 v39, 0x7c010000
	s_mov_b32 s20, exec_lo
	s_delay_alu instid0(VALU_DEP_2) | instskip(NEXT) | instid1(VALU_DEP_1)
	v_and_b32_e32 v50, 0x7f, v48
	v_cmpx_ne_u32_e32 0x7f, v50
	s_cbranch_execz .LBB259_1196
; %bb.1193:                             ;   in Loop: Header=BB259_819 Depth=1
	v_dual_lshrrev_b32 v49, 3, v50 :: v_dual_bitop2_b32 v39, 7, v48 bitop3:0x40
	s_mov_b32 s21, exec_lo
	v_cmpx_gt_u32_e32 8, v50
; %bb.1194:                             ;   in Loop: Header=BB259_819 Depth=1
	s_delay_alu instid0(VALU_DEP_2) | instskip(NEXT) | instid1(VALU_DEP_1)
	v_clz_i32_u32_e32 v39, v39
	v_min_u32_e32 v39, 32, v39
	s_delay_alu instid0(VALU_DEP_1) | instskip(NEXT) | instid1(VALU_DEP_1)
	v_subrev_nc_u32_e32 v49, 28, v39
	v_lshlrev_b64_e32 v[118:119], v49, v[6:7]
	s_delay_alu instid0(VALU_DEP_1)
	v_dual_sub_nc_u32 v49, 29, v39 :: v_dual_bitop2_b32 v39, 7, v118 bitop3:0x40
; %bb.1195:                             ;   in Loop: Header=BB259_819 Depth=1
	s_or_b32 exec_lo, exec_lo, s21
	s_delay_alu instid0(VALU_DEP_1) | instskip(NEXT) | instid1(VALU_DEP_2)
	v_dual_lshlrev_b32 v6, 8, v48 :: v_dual_lshlrev_b32 v39, 23, v39
	v_lshl_add_u32 v48, v49, 10, 0x2000
	s_delay_alu instid0(VALU_DEP_1) | instskip(NEXT) | instid1(VALU_DEP_1)
	v_and_or_b32 v6, 0x8000, v6, v48
	v_lshl_or_b32 v39, v6, 16, v39
.LBB259_1196:                           ;   in Loop: Header=BB259_819 Depth=1
	s_or_b32 exec_lo, exec_lo, s20
.LBB259_1197:                           ;   in Loop: Header=BB259_819 Depth=1
	s_delay_alu instid0(SALU_CYCLE_1)
	s_or_b32 exec_lo, exec_lo, s19
.LBB259_1198:                           ;   in Loop: Header=BB259_819 Depth=1
	s_delay_alu instid0(SALU_CYCLE_1) | instskip(SKIP_2) | instid1(VALU_DEP_1)
	s_or_b32 exec_lo, exec_lo, s18
	v_lshrrev_b32_e32 v6, 16, v37
	s_mov_b32 s18, exec_lo
	v_and_b32_e32 v48, 0xff, v6
	s_delay_alu instid0(VALU_DEP_1)
	v_cmpx_ne_u16_e32 0, v48
	s_cbranch_execz .LBB259_1206
; %bb.1199:                             ;   in Loop: Header=BB259_819 Depth=1
	v_mov_b32_e32 v38, 0x8000
	s_mov_b32 s19, exec_lo
	v_cmpx_ne_u16_e32 0x80, v48
	s_cbranch_execz .LBB259_1205
; %bb.1200:                             ;   in Loop: Header=BB259_819 Depth=1
	v_bfe_u32 v49, v37, 16, 7
	v_mov_b32_e32 v38, 0x7c01
	s_mov_b32 s20, exec_lo
	s_delay_alu instid0(VALU_DEP_2)
	v_cmpx_ne_u32_e32 0x7f, v49
	s_cbranch_execz .LBB259_1204
; %bb.1201:                             ;   in Loop: Header=BB259_819 Depth=1
	v_dual_lshrrev_b32 v48, 3, v49 :: v_dual_bitop2_b32 v38, 7, v6 bitop3:0x40
	s_mov_b32 s21, exec_lo
	v_cmpx_gt_u32_e32 8, v49
; %bb.1202:                             ;   in Loop: Header=BB259_819 Depth=1
	s_delay_alu instid0(VALU_DEP_2) | instskip(NEXT) | instid1(VALU_DEP_1)
	v_clz_i32_u32_e32 v38, v38
	v_min_u32_e32 v38, 32, v38
	s_delay_alu instid0(VALU_DEP_1) | instskip(NEXT) | instid1(VALU_DEP_1)
	v_subrev_nc_u32_e32 v48, 28, v38
	v_lshlrev_b64_e32 v[118:119], v48, v[6:7]
	v_sub_nc_u32_e32 v48, 29, v38
	s_delay_alu instid0(VALU_DEP_2)
	v_and_b32_e32 v38, 7, v118
; %bb.1203:                             ;   in Loop: Header=BB259_819 Depth=1
	s_or_b32 exec_lo, exec_lo, s21
	v_lshlrev_b32_e32 v6, 8, v6
	s_delay_alu instid0(VALU_DEP_3) | instskip(NEXT) | instid1(VALU_DEP_3)
	v_lshl_add_u32 v48, v48, 10, 0x2000
	v_lshlrev_b32_e32 v38, 7, v38
	s_delay_alu instid0(VALU_DEP_3) | instskip(NEXT) | instid1(VALU_DEP_3)
	v_and_b32_e32 v6, 0x8000, v6
	v_and_b32_e32 v48, 0xfc00, v48
	s_delay_alu instid0(VALU_DEP_1)
	v_or3_b32 v38, v6, v48, v38
.LBB259_1204:                           ;   in Loop: Header=BB259_819 Depth=1
	s_or_b32 exec_lo, exec_lo, s20
.LBB259_1205:                           ;   in Loop: Header=BB259_819 Depth=1
	s_delay_alu instid0(SALU_CYCLE_1)
	s_or_b32 exec_lo, exec_lo, s19
.LBB259_1206:                           ;   in Loop: Header=BB259_819 Depth=1
	s_delay_alu instid0(SALU_CYCLE_1)
	s_or_b32 exec_lo, exec_lo, s18
	v_cmp_lt_u64_e64 s0, s[2:3], v[36:37]
	v_mov_b32_e32 v36, 0
	s_and_saveexec_b32 s18, s0
	s_cbranch_execz .LBB259_1214
; %bb.1207:                             ;   in Loop: Header=BB259_819 Depth=1
	v_lshrrev_b32_e32 v6, 24, v37
	v_bfrev_b32_e32 v36, 1
	s_mov_b32 s19, exec_lo
	s_delay_alu instid0(VALU_DEP_2)
	v_cmpx_ne_u32_e32 0x80, v6
	s_cbranch_execz .LBB259_1213
; %bb.1208:                             ;   in Loop: Header=BB259_819 Depth=1
	v_and_b32_e32 v48, 0x7f, v6
	v_mov_b32_e32 v36, 0x7c010000
	s_mov_b32 s20, exec_lo
	s_delay_alu instid0(VALU_DEP_2)
	v_cmpx_ne_u32_e32 0x7f, v48
	s_cbranch_execz .LBB259_1212
; %bb.1209:                             ;   in Loop: Header=BB259_819 Depth=1
	v_dual_lshrrev_b32 v37, 3, v48 :: v_dual_bitop2_b32 v36, 7, v6 bitop3:0x40
	s_mov_b32 s21, exec_lo
	v_cmpx_gt_u32_e32 8, v48
; %bb.1210:                             ;   in Loop: Header=BB259_819 Depth=1
	s_delay_alu instid0(VALU_DEP_2) | instskip(NEXT) | instid1(VALU_DEP_1)
	v_clz_i32_u32_e32 v36, v36
	v_min_u32_e32 v48, 32, v36
	s_delay_alu instid0(VALU_DEP_1) | instskip(NEXT) | instid1(VALU_DEP_1)
	v_subrev_nc_u32_e32 v36, 28, v48
	v_lshlrev_b64_e32 v[36:37], v36, v[6:7]
	v_sub_nc_u32_e32 v37, 29, v48
	s_delay_alu instid0(VALU_DEP_2)
	v_and_b32_e32 v36, 7, v36
; %bb.1211:                             ;   in Loop: Header=BB259_819 Depth=1
	s_or_b32 exec_lo, exec_lo, s21
	s_delay_alu instid0(VALU_DEP_1) | instskip(NEXT) | instid1(VALU_DEP_3)
	v_dual_lshlrev_b32 v6, 8, v6 :: v_dual_lshlrev_b32 v36, 23, v36
	v_lshl_add_u32 v37, v37, 10, 0x2000
	s_delay_alu instid0(VALU_DEP_1) | instskip(NEXT) | instid1(VALU_DEP_1)
	v_and_or_b32 v6, 0x8000, v6, v37
	v_lshl_or_b32 v36, v6, 16, v36
.LBB259_1212:                           ;   in Loop: Header=BB259_819 Depth=1
	s_or_b32 exec_lo, exec_lo, s20
.LBB259_1213:                           ;   in Loop: Header=BB259_819 Depth=1
	s_delay_alu instid0(SALU_CYCLE_1)
	s_or_b32 exec_lo, exec_lo, s19
.LBB259_1214:                           ;   in Loop: Header=BB259_819 Depth=1
	s_delay_alu instid0(SALU_CYCLE_1) | instskip(SKIP_4) | instid1(VALU_DEP_4)
	s_or_b32 exec_lo, exec_lo, s18
	v_dual_lshrrev_b32 v6, 16, v0 :: v_dual_lshrrev_b32 v37, 16, v9
	v_or_b32_e32 v48, v0, v1
	v_or_b32_e32 v9, v9, v19
	v_lshrrev_b32_e32 v19, 16, v39
	v_cvt_f32_f16_e32 v1, v6
	v_cvt_f32_f16_e32 v0, v37
	v_dual_lshrrev_b32 v38, 16, v36 :: v_dual_bitop2_b32 v6, v36, v38 bitop3:0x54
	v_cvt_f32_f16_e32 v36, v9
	v_cvt_f32_f16_e32 v37, v48
	s_wait_loadcnt_dscnt 0x0
	v_pk_mul_f32 v[0:1], v[28:29], v[0:1] op_sel_hi:[0,1]
	v_cvt_f32_f16_e32 v48, v6
	v_cvt_f32_f16_e32 v38, v38
	v_pk_mul_f32 v[36:37], v[28:29], v[36:37] op_sel_hi:[0,1]
	s_delay_alu instid0(VALU_DEP_4) | instskip(SKIP_2) | instid1(VALU_DEP_2)
	v_cvt_pk_f16_f32 v6, v0, v1
	v_or_b32_e32 v9, v39, v29
	v_cvt_f32_f16_e32 v39, v19
	v_cvt_f32_f16_e32 v49, v9
	s_delay_alu instid0(VALU_DEP_2) | instskip(SKIP_2) | instid1(VALU_DEP_4)
	v_pk_mul_f32 v[0:1], v[28:29], v[38:39] op_sel_hi:[0,1]
	v_cvt_pk_f16_f32 v9, v36, v37
	v_lshlrev_b32_e32 v36, 16, v6
	v_pk_mul_f32 v[38:39], v[28:29], v[48:49] op_sel_hi:[0,1]
	s_delay_alu instid0(VALU_DEP_4)
	v_cvt_pk_f16_f32 v0, v0, v1
	v_and_b32_e32 v29, 0xffff0000, v6
	v_lshrrev_b32_e32 v49, 16, v9
	v_and_b32_e32 v50, 0xffff, v9
	v_cvt_pk_f16_f32 v1, v38, v39
	v_and_b32_e32 v9, 0xffff0000, v0
	s_delay_alu instid0(VALU_DEP_4) | instskip(NEXT) | instid1(VALU_DEP_3)
	v_dual_lshlrev_b32 v6, 16, v0 :: v_dual_bitop2_b32 v39, v29, v49 bitop3:0x54
	v_dual_lshrrev_b32 v19, 16, v1 :: v_dual_bitop2_b32 v48, v36, v50 bitop3:0x54
	v_and_b32_e32 v28, 0xffff, v1
	s_delay_alu instid0(VALU_DEP_2) | instskip(NEXT) | instid1(VALU_DEP_2)
	v_or_b32_e32 v37, v9, v19
	v_or_b32_e32 v38, v6, v28
	s_and_saveexec_b32 s18, vcc_lo
	s_cbranch_execz .LBB259_1216
; %bb.1215:                             ;   in Loop: Header=BB259_819 Depth=1
	v_cmp_lt_i32_e64 s0, v83, v13
	s_delay_alu instid0(VALU_DEP_1) | instskip(SKIP_1) | instid1(VALU_DEP_1)
	v_cndmask_b32_e64 v0, 0, v49, s0
	v_cmp_lt_i32_e64 s0, v98, v12
	v_cndmask_b32_e64 v1, 0, v50, s0
	v_cmp_lt_i32_e64 s0, v97, v13
	s_delay_alu instid0(VALU_DEP_1) | instskip(SKIP_1) | instid1(VALU_DEP_1)
	v_cndmask_b32_e64 v29, 0, v29, s0
	v_cmp_lt_i32_e64 s0, v96, v12
	v_cndmask_b32_e64 v36, 0, v36, s0
	v_cmp_lt_i32_e64 s0, v87, v13
	s_delay_alu instid0(VALU_DEP_4) | instskip(NEXT) | instid1(VALU_DEP_2)
	v_or_b32_e32 v39, v0, v29
	v_dual_cndmask_b32 v19, 0, v19, s0 :: v_dual_bitop2_b32 v48, v1, v36 bitop3:0x54
	v_cmp_lt_i32_e64 s0, v86, v12
	s_delay_alu instid0(VALU_DEP_1) | instskip(SKIP_1) | instid1(VALU_DEP_1)
	v_cndmask_b32_e64 v28, 0, v28, s0
	v_cmp_lt_i32_e64 s0, v85, v13
	v_cndmask_b32_e64 v9, 0, v9, s0
	v_cmp_lt_i32_e64 s0, v84, v12
	s_delay_alu instid0(VALU_DEP_1) | instskip(NEXT) | instid1(VALU_DEP_1)
	v_dual_cndmask_b32 v6, 0, v6, s0 :: v_dual_bitop2_b32 v37, v19, v9 bitop3:0x54
	v_or_b32_e32 v38, v28, v6
.LBB259_1216:                           ;   in Loop: Header=BB259_819 Depth=1
	s_or_b32 exec_lo, exec_lo, s18
	;;#ASMSTART
	v_pk_mul_f16 v0, v99, v39;

	;;#ASMEND
	;;#ASMSTART
	v_pk_mul_f16 v1, v53, v48;

	;;#ASMEND
	;; [unrolled: 4-line block ×4, first 2 shown]
	;;#ASMSTART
	v_pk_add_f16 v0, v0, v1;

	;;#ASMEND
	;;#ASMSTART
	v_pk_add_f16 v0, v0, v6;

	;;#ASMEND
	;; [unrolled: 4-line block ×3, first 2 shown]
	v_and_b32_e32 v1, 0xffff, v0
	v_lshrrev_b32_e32 v0, 16, v0
	;;#ASMSTART
	v_cvt_f32_f16 v117, v1;
	;;#ASMEND
	v_mov_b32_e32 v1, 0
	;;#ASMSTART
	v_cvt_f32_f16 v118, v0;
	;;#ASMEND
	flat_load_b64 v[36:37], v[26:27] offset:1536
	flat_load_b32 v28, v[22:23]
	v_mov_b32_e32 v0, 0
	s_mov_b32 s18, exec_lo
	s_wait_loadcnt_dscnt 0x101
	v_and_b32_e32 v6, 0xff, v36
	s_wait_xcnt 0x0
	s_delay_alu instid0(VALU_DEP_1)
	v_cmpx_ne_u16_e32 0, v6
	s_cbranch_execz .LBB259_1224
; %bb.1217:                             ;   in Loop: Header=BB259_819 Depth=1
	v_mov_b32_e32 v1, 0x8000
	s_mov_b32 s19, exec_lo
	v_cmpx_ne_u16_e32 0x80, v6
	s_cbranch_execz .LBB259_1223
; %bb.1218:                             ;   in Loop: Header=BB259_819 Depth=1
	v_and_b32_e32 v9, 0x7f, v36
	v_mov_b32_e32 v1, 0x7c01
	s_mov_b32 s20, exec_lo
	s_delay_alu instid0(VALU_DEP_2)
	v_cmpx_ne_u32_e32 0x7f, v9
	s_cbranch_execz .LBB259_1222
; %bb.1219:                             ;   in Loop: Header=BB259_819 Depth=1
	v_dual_lshrrev_b32 v6, 3, v9 :: v_dual_bitop2_b32 v1, 7, v36 bitop3:0x40
	s_mov_b32 s21, exec_lo
	v_cmpx_gt_u32_e32 8, v9
; %bb.1220:                             ;   in Loop: Header=BB259_819 Depth=1
	s_delay_alu instid0(VALU_DEP_2) | instskip(NEXT) | instid1(VALU_DEP_1)
	v_clz_i32_u32_e32 v1, v1
	v_min_u32_e32 v1, 32, v1
	s_delay_alu instid0(VALU_DEP_1) | instskip(NEXT) | instid1(VALU_DEP_1)
	v_subrev_nc_u32_e32 v6, 28, v1
	v_lshlrev_b64_e32 v[38:39], v6, v[36:37]
	s_delay_alu instid0(VALU_DEP_1)
	v_dual_sub_nc_u32 v6, 29, v1 :: v_dual_bitop2_b32 v1, 7, v38 bitop3:0x40
; %bb.1221:                             ;   in Loop: Header=BB259_819 Depth=1
	s_or_b32 exec_lo, exec_lo, s21
	s_delay_alu instid0(VALU_DEP_1) | instskip(NEXT) | instid1(VALU_DEP_2)
	v_dual_lshlrev_b32 v9, 8, v36 :: v_dual_lshlrev_b32 v1, 7, v1
	v_lshl_add_u32 v6, v6, 10, 0x2000
	s_delay_alu instid0(VALU_DEP_2) | instskip(NEXT) | instid1(VALU_DEP_2)
	v_and_b32_e32 v9, 0x8000, v9
	v_and_b32_e32 v6, 0xfc00, v6
	s_delay_alu instid0(VALU_DEP_1)
	v_or3_b32 v1, v9, v6, v1
.LBB259_1222:                           ;   in Loop: Header=BB259_819 Depth=1
	s_or_b32 exec_lo, exec_lo, s20
.LBB259_1223:                           ;   in Loop: Header=BB259_819 Depth=1
	s_delay_alu instid0(SALU_CYCLE_1)
	s_or_b32 exec_lo, exec_lo, s19
.LBB259_1224:                           ;   in Loop: Header=BB259_819 Depth=1
	s_delay_alu instid0(SALU_CYCLE_1) | instskip(SKIP_2) | instid1(VALU_DEP_1)
	s_or_b32 exec_lo, exec_lo, s18
	v_lshrrev_b16 v6, 8, v36
	s_mov_b32 s18, exec_lo
	v_cmpx_ne_u16_e32 0, v6
	s_cbranch_execz .LBB259_1232
; %bb.1225:                             ;   in Loop: Header=BB259_819 Depth=1
	v_bfrev_b32_e32 v0, 1
	s_mov_b32 s19, exec_lo
	v_cmpx_ne_u16_e32 0x80, v6
	s_cbranch_execz .LBB259_1231
; %bb.1226:                             ;   in Loop: Header=BB259_819 Depth=1
	v_and_b32_e32 v9, 0xffff, v6
	v_mov_b32_e32 v0, 0x7c010000
	s_mov_b32 s20, exec_lo
	s_delay_alu instid0(VALU_DEP_2) | instskip(NEXT) | instid1(VALU_DEP_1)
	v_and_b32_e32 v29, 0x7f, v9
	v_cmpx_ne_u32_e32 0x7f, v29
	s_cbranch_execz .LBB259_1230
; %bb.1227:                             ;   in Loop: Header=BB259_819 Depth=1
	v_and_b32_e32 v0, 7, v9
	v_lshrrev_b32_e32 v19, 3, v29
	s_mov_b32 s21, exec_lo
	v_cmpx_gt_u32_e32 8, v29
; %bb.1228:                             ;   in Loop: Header=BB259_819 Depth=1
	s_delay_alu instid0(VALU_DEP_3) | instskip(NEXT) | instid1(VALU_DEP_1)
	v_clz_i32_u32_e32 v0, v0
	v_min_u32_e32 v0, 32, v0
	s_delay_alu instid0(VALU_DEP_1) | instskip(NEXT) | instid1(VALU_DEP_1)
	v_subrev_nc_u32_e32 v19, 28, v0
	v_lshlrev_b64_e32 v[38:39], v19, v[6:7]
	s_delay_alu instid0(VALU_DEP_1)
	v_dual_sub_nc_u32 v19, 29, v0 :: v_dual_bitop2_b32 v0, 7, v38 bitop3:0x40
; %bb.1229:                             ;   in Loop: Header=BB259_819 Depth=1
	s_or_b32 exec_lo, exec_lo, s21
	s_delay_alu instid0(VALU_DEP_1) | instskip(NEXT) | instid1(VALU_DEP_2)
	v_dual_lshlrev_b32 v6, 8, v9 :: v_dual_lshlrev_b32 v0, 23, v0
	v_lshl_add_u32 v9, v19, 10, 0x2000
	s_delay_alu instid0(VALU_DEP_1) | instskip(NEXT) | instid1(VALU_DEP_1)
	v_and_or_b32 v6, 0x8000, v6, v9
	v_lshl_or_b32 v0, v6, 16, v0
.LBB259_1230:                           ;   in Loop: Header=BB259_819 Depth=1
	s_or_b32 exec_lo, exec_lo, s20
.LBB259_1231:                           ;   in Loop: Header=BB259_819 Depth=1
	s_delay_alu instid0(SALU_CYCLE_1)
	s_or_b32 exec_lo, exec_lo, s19
.LBB259_1232:                           ;   in Loop: Header=BB259_819 Depth=1
	s_delay_alu instid0(SALU_CYCLE_1) | instskip(SKIP_3) | instid1(VALU_DEP_2)
	s_or_b32 exec_lo, exec_lo, s18
	v_dual_mov_b32 v9, 0 :: v_dual_lshrrev_b32 v6, 16, v36
	v_mov_b32_e32 v19, 0
	s_mov_b32 s18, exec_lo
	v_and_b32_e32 v29, 0xff, v6
	s_delay_alu instid0(VALU_DEP_1)
	v_cmpx_ne_u16_e32 0, v29
	s_cbranch_execz .LBB259_1240
; %bb.1233:                             ;   in Loop: Header=BB259_819 Depth=1
	v_mov_b32_e32 v19, 0x8000
	s_mov_b32 s19, exec_lo
	v_cmpx_ne_u16_e32 0x80, v29
	s_cbranch_execz .LBB259_1239
; %bb.1234:                             ;   in Loop: Header=BB259_819 Depth=1
	v_bfe_u32 v38, v36, 16, 7
	v_mov_b32_e32 v19, 0x7c01
	s_mov_b32 s20, exec_lo
	s_delay_alu instid0(VALU_DEP_2)
	v_cmpx_ne_u32_e32 0x7f, v38
	s_cbranch_execz .LBB259_1238
; %bb.1235:                             ;   in Loop: Header=BB259_819 Depth=1
	v_and_b32_e32 v19, 7, v6
	v_lshrrev_b32_e32 v29, 3, v38
	s_mov_b32 s21, exec_lo
	v_cmpx_gt_u32_e32 8, v38
; %bb.1236:                             ;   in Loop: Header=BB259_819 Depth=1
	s_delay_alu instid0(VALU_DEP_3) | instskip(NEXT) | instid1(VALU_DEP_1)
	v_clz_i32_u32_e32 v19, v19
	v_min_u32_e32 v19, 32, v19
	s_delay_alu instid0(VALU_DEP_1) | instskip(NEXT) | instid1(VALU_DEP_1)
	v_subrev_nc_u32_e32 v29, 28, v19
	v_lshlrev_b64_e32 v[38:39], v29, v[6:7]
	s_delay_alu instid0(VALU_DEP_1)
	v_dual_sub_nc_u32 v29, 29, v19 :: v_dual_bitop2_b32 v19, 7, v38 bitop3:0x40
; %bb.1237:                             ;   in Loop: Header=BB259_819 Depth=1
	s_or_b32 exec_lo, exec_lo, s21
	s_delay_alu instid0(VALU_DEP_1) | instskip(NEXT) | instid1(VALU_DEP_2)
	v_dual_lshlrev_b32 v6, 8, v6 :: v_dual_lshlrev_b32 v19, 7, v19
	v_lshl_add_u32 v29, v29, 10, 0x2000
	s_delay_alu instid0(VALU_DEP_2) | instskip(NEXT) | instid1(VALU_DEP_2)
	v_and_b32_e32 v6, 0x8000, v6
	v_and_b32_e32 v29, 0xfc00, v29
	s_delay_alu instid0(VALU_DEP_1)
	v_or3_b32 v19, v6, v29, v19
.LBB259_1238:                           ;   in Loop: Header=BB259_819 Depth=1
	s_or_b32 exec_lo, exec_lo, s20
.LBB259_1239:                           ;   in Loop: Header=BB259_819 Depth=1
	s_delay_alu instid0(SALU_CYCLE_1)
	s_or_b32 exec_lo, exec_lo, s19
.LBB259_1240:                           ;   in Loop: Header=BB259_819 Depth=1
	s_delay_alu instid0(SALU_CYCLE_1) | instskip(NEXT) | instid1(SALU_CYCLE_1)
	s_or_b32 exec_lo, exec_lo, s18
	s_mov_b32 s18, exec_lo
	v_cmpx_lt_u32_e32 0xffffff, v36
	s_cbranch_execz .LBB259_1248
; %bb.1241:                             ;   in Loop: Header=BB259_819 Depth=1
	v_lshrrev_b32_e32 v6, 24, v36
	v_bfrev_b32_e32 v9, 1
	s_mov_b32 s19, exec_lo
	s_delay_alu instid0(VALU_DEP_2)
	v_cmpx_ne_u32_e32 0x80, v6
	s_cbranch_execz .LBB259_1247
; %bb.1242:                             ;   in Loop: Header=BB259_819 Depth=1
	v_and_b32_e32 v38, 0x7f, v6
	v_mov_b32_e32 v9, 0x7c010000
	s_mov_b32 s20, exec_lo
	s_delay_alu instid0(VALU_DEP_2)
	v_cmpx_ne_u32_e32 0x7f, v38
	s_cbranch_execz .LBB259_1246
; %bb.1243:                             ;   in Loop: Header=BB259_819 Depth=1
	v_and_b32_e32 v9, 7, v6
	v_lshrrev_b32_e32 v29, 3, v38
	s_mov_b32 s21, exec_lo
	v_cmpx_gt_u32_e32 8, v38
; %bb.1244:                             ;   in Loop: Header=BB259_819 Depth=1
	s_delay_alu instid0(VALU_DEP_3) | instskip(NEXT) | instid1(VALU_DEP_1)
	v_clz_i32_u32_e32 v9, v9
	v_min_u32_e32 v9, 32, v9
	s_delay_alu instid0(VALU_DEP_1) | instskip(NEXT) | instid1(VALU_DEP_1)
	v_subrev_nc_u32_e32 v29, 28, v9
	v_lshlrev_b64_e32 v[38:39], v29, v[6:7]
	s_delay_alu instid0(VALU_DEP_1)
	v_dual_sub_nc_u32 v29, 29, v9 :: v_dual_bitop2_b32 v9, 7, v38 bitop3:0x40
; %bb.1245:                             ;   in Loop: Header=BB259_819 Depth=1
	s_or_b32 exec_lo, exec_lo, s21
	s_delay_alu instid0(VALU_DEP_1) | instskip(NEXT) | instid1(VALU_DEP_2)
	v_dual_lshlrev_b32 v6, 8, v6 :: v_dual_lshlrev_b32 v9, 23, v9
	v_lshl_add_u32 v29, v29, 10, 0x2000
	s_delay_alu instid0(VALU_DEP_1) | instskip(NEXT) | instid1(VALU_DEP_1)
	v_and_or_b32 v6, 0x8000, v6, v29
	v_lshl_or_b32 v9, v6, 16, v9
.LBB259_1246:                           ;   in Loop: Header=BB259_819 Depth=1
	s_or_b32 exec_lo, exec_lo, s20
.LBB259_1247:                           ;   in Loop: Header=BB259_819 Depth=1
	s_delay_alu instid0(SALU_CYCLE_1)
	s_or_b32 exec_lo, exec_lo, s19
.LBB259_1248:                           ;   in Loop: Header=BB259_819 Depth=1
	s_delay_alu instid0(SALU_CYCLE_1) | instskip(SKIP_4) | instid1(VALU_DEP_3)
	s_or_b32 exec_lo, exec_lo, s18
	v_and_b32_e32 v39, 0xff, v37
	v_dual_mov_b32 v6, v37 :: v_dual_mov_b32 v38, 0
	v_mov_b32_e32 v29, 0
	s_mov_b32 s18, exec_lo
	v_cmpx_ne_u16_e32 0, v39
	s_cbranch_execz .LBB259_1256
; %bb.1249:                             ;   in Loop: Header=BB259_819 Depth=1
	v_mov_b32_e32 v29, 0x8000
	s_mov_b32 s19, exec_lo
	v_cmpx_ne_u16_e32 0x80, v39
	s_cbranch_execz .LBB259_1255
; %bb.1250:                             ;   in Loop: Header=BB259_819 Depth=1
	v_and_b32_e32 v48, 0x7f, v37
	v_mov_b32_e32 v29, 0x7c01
	s_mov_b32 s20, exec_lo
	s_delay_alu instid0(VALU_DEP_2)
	v_cmpx_ne_u32_e32 0x7f, v48
	s_cbranch_execz .LBB259_1254
; %bb.1251:                             ;   in Loop: Header=BB259_819 Depth=1
	v_dual_lshrrev_b32 v39, 3, v48 :: v_dual_bitop2_b32 v29, 7, v37 bitop3:0x40
	s_mov_b32 s21, exec_lo
	v_cmpx_gt_u32_e32 8, v48
; %bb.1252:                             ;   in Loop: Header=BB259_819 Depth=1
	s_delay_alu instid0(VALU_DEP_2) | instskip(NEXT) | instid1(VALU_DEP_1)
	v_clz_i32_u32_e32 v29, v29
	v_min_u32_e32 v29, 32, v29
	s_delay_alu instid0(VALU_DEP_1) | instskip(NEXT) | instid1(VALU_DEP_1)
	v_subrev_nc_u32_e32 v39, 28, v29
	v_lshlrev_b64_e32 v[48:49], v39, v[6:7]
	s_delay_alu instid0(VALU_DEP_1)
	v_dual_sub_nc_u32 v39, 29, v29 :: v_dual_bitop2_b32 v29, 7, v48 bitop3:0x40
; %bb.1253:                             ;   in Loop: Header=BB259_819 Depth=1
	s_or_b32 exec_lo, exec_lo, s21
	v_lshlrev_b32_e32 v48, 8, v37
	s_delay_alu instid0(VALU_DEP_2) | instskip(NEXT) | instid1(VALU_DEP_3)
	v_lshl_add_u32 v39, v39, 10, 0x2000
	v_lshlrev_b32_e32 v29, 7, v29
	s_delay_alu instid0(VALU_DEP_3) | instskip(NEXT) | instid1(VALU_DEP_3)
	v_and_b32_e32 v48, 0x8000, v48
	v_and_b32_e32 v39, 0xfc00, v39
	s_delay_alu instid0(VALU_DEP_1)
	v_or3_b32 v29, v48, v39, v29
.LBB259_1254:                           ;   in Loop: Header=BB259_819 Depth=1
	s_or_b32 exec_lo, exec_lo, s20
.LBB259_1255:                           ;   in Loop: Header=BB259_819 Depth=1
	s_delay_alu instid0(SALU_CYCLE_1)
	s_or_b32 exec_lo, exec_lo, s19
.LBB259_1256:                           ;   in Loop: Header=BB259_819 Depth=1
	s_delay_alu instid0(SALU_CYCLE_1) | instskip(SKIP_3) | instid1(VALU_DEP_2)
	s_or_b32 exec_lo, exec_lo, s18
	v_lshrrev_b16 v6, 8, v6
	v_mov_b32_e32 v39, 0
	s_mov_b32 s18, exec_lo
	v_cmpx_ne_u16_e32 0, v6
	s_cbranch_execz .LBB259_1264
; %bb.1257:                             ;   in Loop: Header=BB259_819 Depth=1
	v_bfrev_b32_e32 v39, 1
	s_mov_b32 s19, exec_lo
	v_cmpx_ne_u16_e32 0x80, v6
	s_cbranch_execz .LBB259_1263
; %bb.1258:                             ;   in Loop: Header=BB259_819 Depth=1
	v_and_b32_e32 v48, 0xffff, v6
	v_mov_b32_e32 v39, 0x7c010000
	s_mov_b32 s20, exec_lo
	s_delay_alu instid0(VALU_DEP_2) | instskip(NEXT) | instid1(VALU_DEP_1)
	v_and_b32_e32 v50, 0x7f, v48
	v_cmpx_ne_u32_e32 0x7f, v50
	s_cbranch_execz .LBB259_1262
; %bb.1259:                             ;   in Loop: Header=BB259_819 Depth=1
	v_dual_lshrrev_b32 v49, 3, v50 :: v_dual_bitop2_b32 v39, 7, v48 bitop3:0x40
	s_mov_b32 s21, exec_lo
	v_cmpx_gt_u32_e32 8, v50
; %bb.1260:                             ;   in Loop: Header=BB259_819 Depth=1
	s_delay_alu instid0(VALU_DEP_2) | instskip(NEXT) | instid1(VALU_DEP_1)
	v_clz_i32_u32_e32 v39, v39
	v_min_u32_e32 v39, 32, v39
	s_delay_alu instid0(VALU_DEP_1) | instskip(NEXT) | instid1(VALU_DEP_1)
	v_subrev_nc_u32_e32 v49, 28, v39
	v_lshlrev_b64_e32 v[40:41], v49, v[6:7]
	s_delay_alu instid0(VALU_DEP_1)
	v_dual_sub_nc_u32 v49, 29, v39 :: v_dual_bitop2_b32 v39, 7, v40 bitop3:0x40
; %bb.1261:                             ;   in Loop: Header=BB259_819 Depth=1
	s_or_b32 exec_lo, exec_lo, s21
	s_delay_alu instid0(VALU_DEP_1) | instskip(NEXT) | instid1(VALU_DEP_2)
	v_dual_lshlrev_b32 v6, 8, v48 :: v_dual_lshlrev_b32 v39, 23, v39
	v_lshl_add_u32 v48, v49, 10, 0x2000
	s_delay_alu instid0(VALU_DEP_1) | instskip(NEXT) | instid1(VALU_DEP_1)
	v_and_or_b32 v6, 0x8000, v6, v48
	v_lshl_or_b32 v39, v6, 16, v39
.LBB259_1262:                           ;   in Loop: Header=BB259_819 Depth=1
	s_or_b32 exec_lo, exec_lo, s20
.LBB259_1263:                           ;   in Loop: Header=BB259_819 Depth=1
	s_delay_alu instid0(SALU_CYCLE_1)
	s_or_b32 exec_lo, exec_lo, s19
.LBB259_1264:                           ;   in Loop: Header=BB259_819 Depth=1
	s_delay_alu instid0(SALU_CYCLE_1) | instskip(SKIP_2) | instid1(VALU_DEP_1)
	s_or_b32 exec_lo, exec_lo, s18
	v_lshrrev_b32_e32 v6, 16, v37
	s_mov_b32 s18, exec_lo
	v_and_b32_e32 v48, 0xff, v6
	s_delay_alu instid0(VALU_DEP_1)
	v_cmpx_ne_u16_e32 0, v48
	s_cbranch_execz .LBB259_1272
; %bb.1265:                             ;   in Loop: Header=BB259_819 Depth=1
	v_mov_b32_e32 v38, 0x8000
	s_mov_b32 s19, exec_lo
	v_cmpx_ne_u16_e32 0x80, v48
	s_cbranch_execz .LBB259_1271
; %bb.1266:                             ;   in Loop: Header=BB259_819 Depth=1
	v_bfe_u32 v49, v37, 16, 7
	v_mov_b32_e32 v38, 0x7c01
	s_mov_b32 s20, exec_lo
	s_delay_alu instid0(VALU_DEP_2)
	v_cmpx_ne_u32_e32 0x7f, v49
	s_cbranch_execz .LBB259_1270
; %bb.1267:                             ;   in Loop: Header=BB259_819 Depth=1
	v_dual_lshrrev_b32 v48, 3, v49 :: v_dual_bitop2_b32 v38, 7, v6 bitop3:0x40
	s_mov_b32 s21, exec_lo
	v_cmpx_gt_u32_e32 8, v49
; %bb.1268:                             ;   in Loop: Header=BB259_819 Depth=1
	s_delay_alu instid0(VALU_DEP_2) | instskip(NEXT) | instid1(VALU_DEP_1)
	v_clz_i32_u32_e32 v38, v38
	v_min_u32_e32 v38, 32, v38
	s_delay_alu instid0(VALU_DEP_1) | instskip(NEXT) | instid1(VALU_DEP_1)
	v_subrev_nc_u32_e32 v48, 28, v38
	v_lshlrev_b64_e32 v[40:41], v48, v[6:7]
	s_delay_alu instid0(VALU_DEP_1)
	v_dual_sub_nc_u32 v48, 29, v38 :: v_dual_bitop2_b32 v38, 7, v40 bitop3:0x40
; %bb.1269:                             ;   in Loop: Header=BB259_819 Depth=1
	s_or_b32 exec_lo, exec_lo, s21
	v_lshlrev_b32_e32 v6, 8, v6
	s_delay_alu instid0(VALU_DEP_2) | instskip(NEXT) | instid1(VALU_DEP_3)
	v_lshl_add_u32 v48, v48, 10, 0x2000
	v_lshlrev_b32_e32 v38, 7, v38
	s_delay_alu instid0(VALU_DEP_3) | instskip(NEXT) | instid1(VALU_DEP_3)
	v_and_b32_e32 v6, 0x8000, v6
	v_and_b32_e32 v48, 0xfc00, v48
	s_delay_alu instid0(VALU_DEP_1)
	v_or3_b32 v38, v6, v48, v38
.LBB259_1270:                           ;   in Loop: Header=BB259_819 Depth=1
	s_or_b32 exec_lo, exec_lo, s20
.LBB259_1271:                           ;   in Loop: Header=BB259_819 Depth=1
	s_delay_alu instid0(SALU_CYCLE_1)
	s_or_b32 exec_lo, exec_lo, s19
.LBB259_1272:                           ;   in Loop: Header=BB259_819 Depth=1
	s_delay_alu instid0(SALU_CYCLE_1)
	s_or_b32 exec_lo, exec_lo, s18
	v_cmp_lt_u64_e64 s0, s[2:3], v[36:37]
	v_mov_b32_e32 v36, 0
	s_and_saveexec_b32 s18, s0
	s_cbranch_execz .LBB259_1280
; %bb.1273:                             ;   in Loop: Header=BB259_819 Depth=1
	v_lshrrev_b32_e32 v6, 24, v37
	v_bfrev_b32_e32 v36, 1
	s_mov_b32 s19, exec_lo
	s_delay_alu instid0(VALU_DEP_2)
	v_cmpx_ne_u32_e32 0x80, v6
	s_cbranch_execz .LBB259_1279
; %bb.1274:                             ;   in Loop: Header=BB259_819 Depth=1
	v_and_b32_e32 v48, 0x7f, v6
	v_mov_b32_e32 v36, 0x7c010000
	s_mov_b32 s20, exec_lo
	s_delay_alu instid0(VALU_DEP_2)
	v_cmpx_ne_u32_e32 0x7f, v48
	s_cbranch_execz .LBB259_1278
; %bb.1275:                             ;   in Loop: Header=BB259_819 Depth=1
	v_dual_lshrrev_b32 v37, 3, v48 :: v_dual_bitop2_b32 v36, 7, v6 bitop3:0x40
	s_mov_b32 s21, exec_lo
	v_cmpx_gt_u32_e32 8, v48
; %bb.1276:                             ;   in Loop: Header=BB259_819 Depth=1
	s_delay_alu instid0(VALU_DEP_2) | instskip(NEXT) | instid1(VALU_DEP_1)
	v_clz_i32_u32_e32 v36, v36
	v_min_u32_e32 v48, 32, v36
	s_delay_alu instid0(VALU_DEP_1) | instskip(NEXT) | instid1(VALU_DEP_1)
	v_subrev_nc_u32_e32 v36, 28, v48
	v_lshlrev_b64_e32 v[36:37], v36, v[6:7]
	v_sub_nc_u32_e32 v37, 29, v48
	s_delay_alu instid0(VALU_DEP_2)
	v_and_b32_e32 v36, 7, v36
; %bb.1277:                             ;   in Loop: Header=BB259_819 Depth=1
	s_or_b32 exec_lo, exec_lo, s21
	s_delay_alu instid0(VALU_DEP_1) | instskip(NEXT) | instid1(VALU_DEP_3)
	v_dual_lshlrev_b32 v6, 8, v6 :: v_dual_lshlrev_b32 v36, 23, v36
	v_lshl_add_u32 v37, v37, 10, 0x2000
	s_delay_alu instid0(VALU_DEP_1) | instskip(NEXT) | instid1(VALU_DEP_1)
	v_and_or_b32 v6, 0x8000, v6, v37
	v_lshl_or_b32 v36, v6, 16, v36
.LBB259_1278:                           ;   in Loop: Header=BB259_819 Depth=1
	s_or_b32 exec_lo, exec_lo, s20
.LBB259_1279:                           ;   in Loop: Header=BB259_819 Depth=1
	s_delay_alu instid0(SALU_CYCLE_1)
	s_or_b32 exec_lo, exec_lo, s19
.LBB259_1280:                           ;   in Loop: Header=BB259_819 Depth=1
	s_delay_alu instid0(SALU_CYCLE_1) | instskip(SKIP_4) | instid1(VALU_DEP_4)
	s_or_b32 exec_lo, exec_lo, s18
	v_dual_lshrrev_b32 v6, 16, v0 :: v_dual_lshrrev_b32 v37, 16, v9
	v_or_b32_e32 v48, v0, v1
	v_or_b32_e32 v9, v9, v19
	v_lshrrev_b32_e32 v19, 16, v39
	v_cvt_f32_f16_e32 v1, v6
	v_cvt_f32_f16_e32 v0, v37
	v_dual_lshrrev_b32 v38, 16, v36 :: v_dual_bitop2_b32 v6, v36, v38 bitop3:0x54
	v_cvt_f32_f16_e32 v36, v9
	v_cvt_f32_f16_e32 v37, v48
	s_wait_loadcnt_dscnt 0x0
	v_pk_mul_f32 v[0:1], v[28:29], v[0:1] op_sel_hi:[0,1]
	v_cvt_f32_f16_e32 v48, v6
	v_cvt_f32_f16_e32 v38, v38
	v_pk_mul_f32 v[36:37], v[28:29], v[36:37] op_sel_hi:[0,1]
	s_delay_alu instid0(VALU_DEP_4) | instskip(SKIP_2) | instid1(VALU_DEP_2)
	v_cvt_pk_f16_f32 v6, v0, v1
	v_or_b32_e32 v9, v39, v29
	v_cvt_f32_f16_e32 v39, v19
	v_cvt_f32_f16_e32 v49, v9
	s_delay_alu instid0(VALU_DEP_2) | instskip(SKIP_2) | instid1(VALU_DEP_4)
	v_pk_mul_f32 v[0:1], v[28:29], v[38:39] op_sel_hi:[0,1]
	v_cvt_pk_f16_f32 v9, v36, v37
	v_lshlrev_b32_e32 v36, 16, v6
	v_pk_mul_f32 v[38:39], v[28:29], v[48:49] op_sel_hi:[0,1]
	s_delay_alu instid0(VALU_DEP_4)
	v_cvt_pk_f16_f32 v0, v0, v1
	v_and_b32_e32 v29, 0xffff0000, v6
	v_lshrrev_b32_e32 v49, 16, v9
	v_and_b32_e32 v50, 0xffff, v9
	v_cvt_pk_f16_f32 v1, v38, v39
	v_and_b32_e32 v9, 0xffff0000, v0
	s_delay_alu instid0(VALU_DEP_4) | instskip(NEXT) | instid1(VALU_DEP_3)
	v_dual_lshlrev_b32 v6, 16, v0 :: v_dual_bitop2_b32 v39, v29, v49 bitop3:0x54
	v_dual_lshrrev_b32 v19, 16, v1 :: v_dual_bitop2_b32 v48, v36, v50 bitop3:0x54
	v_and_b32_e32 v28, 0xffff, v1
	s_delay_alu instid0(VALU_DEP_2) | instskip(NEXT) | instid1(VALU_DEP_2)
	v_or_b32_e32 v37, v9, v19
	v_or_b32_e32 v38, v6, v28
	s_and_saveexec_b32 s18, vcc_lo
	s_cbranch_execz .LBB259_1282
; %bb.1281:                             ;   in Loop: Header=BB259_819 Depth=1
	v_cmp_lt_i32_e64 s0, v83, v13
	s_delay_alu instid0(VALU_DEP_1) | instskip(SKIP_1) | instid1(VALU_DEP_1)
	v_cndmask_b32_e64 v0, 0, v49, s0
	v_cmp_lt_i32_e64 s0, v98, v12
	v_cndmask_b32_e64 v1, 0, v50, s0
	v_cmp_lt_i32_e64 s0, v97, v13
	s_delay_alu instid0(VALU_DEP_1) | instskip(SKIP_1) | instid1(VALU_DEP_1)
	v_cndmask_b32_e64 v29, 0, v29, s0
	v_cmp_lt_i32_e64 s0, v96, v12
	v_cndmask_b32_e64 v36, 0, v36, s0
	v_cmp_lt_i32_e64 s0, v87, v13
	s_delay_alu instid0(VALU_DEP_4) | instskip(NEXT) | instid1(VALU_DEP_2)
	v_or_b32_e32 v39, v0, v29
	v_dual_cndmask_b32 v19, 0, v19, s0 :: v_dual_bitop2_b32 v48, v1, v36 bitop3:0x54
	v_cmp_lt_i32_e64 s0, v86, v12
	s_delay_alu instid0(VALU_DEP_1) | instskip(SKIP_1) | instid1(VALU_DEP_1)
	v_cndmask_b32_e64 v28, 0, v28, s0
	v_cmp_lt_i32_e64 s0, v85, v13
	v_cndmask_b32_e64 v9, 0, v9, s0
	v_cmp_lt_i32_e64 s0, v84, v12
	s_delay_alu instid0(VALU_DEP_1) | instskip(NEXT) | instid1(VALU_DEP_1)
	v_dual_cndmask_b32 v6, 0, v6, s0 :: v_dual_bitop2_b32 v37, v19, v9 bitop3:0x54
	v_or_b32_e32 v38, v28, v6
.LBB259_1282:                           ;   in Loop: Header=BB259_819 Depth=1
	s_or_b32 exec_lo, exec_lo, s18
	;;#ASMSTART
	v_pk_mul_f16 v0, v99, v39;

	;;#ASMEND
	;;#ASMSTART
	v_pk_mul_f16 v1, v53, v48;

	;;#ASMEND
	;;#ASMSTART
	v_pk_mul_f16 v6, v52, v37;

	;;#ASMEND
	;;#ASMSTART
	v_pk_mul_f16 v9, v51, v38;

	;;#ASMEND
	;;#ASMSTART
	v_pk_add_f16 v0, v0, v1;

	;;#ASMEND
	;;#ASMSTART
	v_pk_add_f16 v0, v0, v6;

	;;#ASMEND
	;; [unrolled: 4-line block ×3, first 2 shown]
	v_and_b32_e32 v1, 0xffff, v0
	v_lshrrev_b32_e32 v0, 16, v0
	;;#ASMSTART
	v_cvt_f32_f16 v119, v1;
	;;#ASMEND
	v_mov_b32_e32 v1, 0
	;;#ASMSTART
	v_cvt_f32_f16 v40, v0;
	;;#ASMEND
	flat_load_b64 v[36:37], v[26:27] offset:1792
	flat_load_b32 v28, v[22:23]
	v_mov_b32_e32 v0, 0
	s_mov_b32 s18, exec_lo
	s_wait_loadcnt_dscnt 0x101
	v_and_b32_e32 v6, 0xff, v36
	s_wait_xcnt 0x0
	s_delay_alu instid0(VALU_DEP_1)
	v_cmpx_ne_u16_e32 0, v6
	s_cbranch_execz .LBB259_1290
; %bb.1283:                             ;   in Loop: Header=BB259_819 Depth=1
	v_mov_b32_e32 v1, 0x8000
	s_mov_b32 s19, exec_lo
	v_cmpx_ne_u16_e32 0x80, v6
	s_cbranch_execz .LBB259_1289
; %bb.1284:                             ;   in Loop: Header=BB259_819 Depth=1
	v_and_b32_e32 v9, 0x7f, v36
	v_mov_b32_e32 v1, 0x7c01
	s_mov_b32 s20, exec_lo
	s_delay_alu instid0(VALU_DEP_2)
	v_cmpx_ne_u32_e32 0x7f, v9
	s_cbranch_execz .LBB259_1288
; %bb.1285:                             ;   in Loop: Header=BB259_819 Depth=1
	v_dual_lshrrev_b32 v6, 3, v9 :: v_dual_bitop2_b32 v1, 7, v36 bitop3:0x40
	s_mov_b32 s21, exec_lo
	v_cmpx_gt_u32_e32 8, v9
; %bb.1286:                             ;   in Loop: Header=BB259_819 Depth=1
	s_delay_alu instid0(VALU_DEP_2) | instskip(NEXT) | instid1(VALU_DEP_1)
	v_clz_i32_u32_e32 v1, v1
	v_min_u32_e32 v1, 32, v1
	s_delay_alu instid0(VALU_DEP_1) | instskip(NEXT) | instid1(VALU_DEP_1)
	v_subrev_nc_u32_e32 v6, 28, v1
	v_lshlrev_b64_e32 v[38:39], v6, v[36:37]
	s_delay_alu instid0(VALU_DEP_1)
	v_dual_sub_nc_u32 v6, 29, v1 :: v_dual_bitop2_b32 v1, 7, v38 bitop3:0x40
; %bb.1287:                             ;   in Loop: Header=BB259_819 Depth=1
	s_or_b32 exec_lo, exec_lo, s21
	s_delay_alu instid0(VALU_DEP_1) | instskip(NEXT) | instid1(VALU_DEP_2)
	v_dual_lshlrev_b32 v9, 8, v36 :: v_dual_lshlrev_b32 v1, 7, v1
	v_lshl_add_u32 v6, v6, 10, 0x2000
	s_delay_alu instid0(VALU_DEP_2) | instskip(NEXT) | instid1(VALU_DEP_2)
	v_and_b32_e32 v9, 0x8000, v9
	v_and_b32_e32 v6, 0xfc00, v6
	s_delay_alu instid0(VALU_DEP_1)
	v_or3_b32 v1, v9, v6, v1
.LBB259_1288:                           ;   in Loop: Header=BB259_819 Depth=1
	s_or_b32 exec_lo, exec_lo, s20
.LBB259_1289:                           ;   in Loop: Header=BB259_819 Depth=1
	s_delay_alu instid0(SALU_CYCLE_1)
	s_or_b32 exec_lo, exec_lo, s19
.LBB259_1290:                           ;   in Loop: Header=BB259_819 Depth=1
	s_delay_alu instid0(SALU_CYCLE_1) | instskip(SKIP_2) | instid1(VALU_DEP_1)
	s_or_b32 exec_lo, exec_lo, s18
	v_lshrrev_b16 v6, 8, v36
	s_mov_b32 s18, exec_lo
	v_cmpx_ne_u16_e32 0, v6
	s_cbranch_execz .LBB259_1298
; %bb.1291:                             ;   in Loop: Header=BB259_819 Depth=1
	v_bfrev_b32_e32 v0, 1
	s_mov_b32 s19, exec_lo
	v_cmpx_ne_u16_e32 0x80, v6
	s_cbranch_execz .LBB259_1297
; %bb.1292:                             ;   in Loop: Header=BB259_819 Depth=1
	v_and_b32_e32 v9, 0xffff, v6
	v_mov_b32_e32 v0, 0x7c010000
	s_mov_b32 s20, exec_lo
	s_delay_alu instid0(VALU_DEP_2) | instskip(NEXT) | instid1(VALU_DEP_1)
	v_and_b32_e32 v29, 0x7f, v9
	v_cmpx_ne_u32_e32 0x7f, v29
	s_cbranch_execz .LBB259_1296
; %bb.1293:                             ;   in Loop: Header=BB259_819 Depth=1
	v_and_b32_e32 v0, 7, v9
	v_lshrrev_b32_e32 v19, 3, v29
	s_mov_b32 s21, exec_lo
	v_cmpx_gt_u32_e32 8, v29
; %bb.1294:                             ;   in Loop: Header=BB259_819 Depth=1
	s_delay_alu instid0(VALU_DEP_3) | instskip(NEXT) | instid1(VALU_DEP_1)
	v_clz_i32_u32_e32 v0, v0
	v_min_u32_e32 v0, 32, v0
	s_delay_alu instid0(VALU_DEP_1) | instskip(NEXT) | instid1(VALU_DEP_1)
	v_subrev_nc_u32_e32 v19, 28, v0
	v_lshlrev_b64_e32 v[38:39], v19, v[6:7]
	s_delay_alu instid0(VALU_DEP_1)
	v_dual_sub_nc_u32 v19, 29, v0 :: v_dual_bitop2_b32 v0, 7, v38 bitop3:0x40
; %bb.1295:                             ;   in Loop: Header=BB259_819 Depth=1
	s_or_b32 exec_lo, exec_lo, s21
	s_delay_alu instid0(VALU_DEP_1) | instskip(NEXT) | instid1(VALU_DEP_2)
	v_dual_lshlrev_b32 v6, 8, v9 :: v_dual_lshlrev_b32 v0, 23, v0
	v_lshl_add_u32 v9, v19, 10, 0x2000
	s_delay_alu instid0(VALU_DEP_1) | instskip(NEXT) | instid1(VALU_DEP_1)
	v_and_or_b32 v6, 0x8000, v6, v9
	v_lshl_or_b32 v0, v6, 16, v0
.LBB259_1296:                           ;   in Loop: Header=BB259_819 Depth=1
	s_or_b32 exec_lo, exec_lo, s20
.LBB259_1297:                           ;   in Loop: Header=BB259_819 Depth=1
	s_delay_alu instid0(SALU_CYCLE_1)
	s_or_b32 exec_lo, exec_lo, s19
.LBB259_1298:                           ;   in Loop: Header=BB259_819 Depth=1
	s_delay_alu instid0(SALU_CYCLE_1) | instskip(SKIP_3) | instid1(VALU_DEP_2)
	s_or_b32 exec_lo, exec_lo, s18
	v_dual_mov_b32 v9, 0 :: v_dual_lshrrev_b32 v6, 16, v36
	v_mov_b32_e32 v19, 0
	s_mov_b32 s18, exec_lo
	v_and_b32_e32 v29, 0xff, v6
	s_delay_alu instid0(VALU_DEP_1)
	v_cmpx_ne_u16_e32 0, v29
	s_cbranch_execz .LBB259_1306
; %bb.1299:                             ;   in Loop: Header=BB259_819 Depth=1
	v_mov_b32_e32 v19, 0x8000
	s_mov_b32 s19, exec_lo
	v_cmpx_ne_u16_e32 0x80, v29
	s_cbranch_execz .LBB259_1305
; %bb.1300:                             ;   in Loop: Header=BB259_819 Depth=1
	v_bfe_u32 v38, v36, 16, 7
	v_mov_b32_e32 v19, 0x7c01
	s_mov_b32 s20, exec_lo
	s_delay_alu instid0(VALU_DEP_2)
	v_cmpx_ne_u32_e32 0x7f, v38
	s_cbranch_execz .LBB259_1304
; %bb.1301:                             ;   in Loop: Header=BB259_819 Depth=1
	v_and_b32_e32 v19, 7, v6
	v_lshrrev_b32_e32 v29, 3, v38
	s_mov_b32 s21, exec_lo
	v_cmpx_gt_u32_e32 8, v38
; %bb.1302:                             ;   in Loop: Header=BB259_819 Depth=1
	s_delay_alu instid0(VALU_DEP_3) | instskip(NEXT) | instid1(VALU_DEP_1)
	v_clz_i32_u32_e32 v19, v19
	v_min_u32_e32 v19, 32, v19
	s_delay_alu instid0(VALU_DEP_1) | instskip(NEXT) | instid1(VALU_DEP_1)
	v_subrev_nc_u32_e32 v29, 28, v19
	v_lshlrev_b64_e32 v[38:39], v29, v[6:7]
	s_delay_alu instid0(VALU_DEP_1)
	v_dual_sub_nc_u32 v29, 29, v19 :: v_dual_bitop2_b32 v19, 7, v38 bitop3:0x40
; %bb.1303:                             ;   in Loop: Header=BB259_819 Depth=1
	s_or_b32 exec_lo, exec_lo, s21
	s_delay_alu instid0(VALU_DEP_1) | instskip(NEXT) | instid1(VALU_DEP_2)
	v_dual_lshlrev_b32 v6, 8, v6 :: v_dual_lshlrev_b32 v19, 7, v19
	v_lshl_add_u32 v29, v29, 10, 0x2000
	s_delay_alu instid0(VALU_DEP_2) | instskip(NEXT) | instid1(VALU_DEP_2)
	v_and_b32_e32 v6, 0x8000, v6
	v_and_b32_e32 v29, 0xfc00, v29
	s_delay_alu instid0(VALU_DEP_1)
	v_or3_b32 v19, v6, v29, v19
.LBB259_1304:                           ;   in Loop: Header=BB259_819 Depth=1
	s_or_b32 exec_lo, exec_lo, s20
.LBB259_1305:                           ;   in Loop: Header=BB259_819 Depth=1
	s_delay_alu instid0(SALU_CYCLE_1)
	s_or_b32 exec_lo, exec_lo, s19
.LBB259_1306:                           ;   in Loop: Header=BB259_819 Depth=1
	s_delay_alu instid0(SALU_CYCLE_1) | instskip(NEXT) | instid1(SALU_CYCLE_1)
	s_or_b32 exec_lo, exec_lo, s18
	s_mov_b32 s18, exec_lo
	v_cmpx_lt_u32_e32 0xffffff, v36
	s_cbranch_execz .LBB259_1314
; %bb.1307:                             ;   in Loop: Header=BB259_819 Depth=1
	v_lshrrev_b32_e32 v6, 24, v36
	v_bfrev_b32_e32 v9, 1
	s_mov_b32 s19, exec_lo
	s_delay_alu instid0(VALU_DEP_2)
	v_cmpx_ne_u32_e32 0x80, v6
	s_cbranch_execz .LBB259_1313
; %bb.1308:                             ;   in Loop: Header=BB259_819 Depth=1
	v_and_b32_e32 v38, 0x7f, v6
	v_mov_b32_e32 v9, 0x7c010000
	s_mov_b32 s20, exec_lo
	s_delay_alu instid0(VALU_DEP_2)
	v_cmpx_ne_u32_e32 0x7f, v38
	s_cbranch_execz .LBB259_1312
; %bb.1309:                             ;   in Loop: Header=BB259_819 Depth=1
	v_and_b32_e32 v9, 7, v6
	v_lshrrev_b32_e32 v29, 3, v38
	s_mov_b32 s21, exec_lo
	v_cmpx_gt_u32_e32 8, v38
; %bb.1310:                             ;   in Loop: Header=BB259_819 Depth=1
	s_delay_alu instid0(VALU_DEP_3) | instskip(NEXT) | instid1(VALU_DEP_1)
	v_clz_i32_u32_e32 v9, v9
	v_min_u32_e32 v9, 32, v9
	s_delay_alu instid0(VALU_DEP_1) | instskip(NEXT) | instid1(VALU_DEP_1)
	v_subrev_nc_u32_e32 v29, 28, v9
	v_lshlrev_b64_e32 v[38:39], v29, v[6:7]
	s_delay_alu instid0(VALU_DEP_1)
	v_dual_sub_nc_u32 v29, 29, v9 :: v_dual_bitop2_b32 v9, 7, v38 bitop3:0x40
; %bb.1311:                             ;   in Loop: Header=BB259_819 Depth=1
	s_or_b32 exec_lo, exec_lo, s21
	s_delay_alu instid0(VALU_DEP_1) | instskip(NEXT) | instid1(VALU_DEP_2)
	v_dual_lshlrev_b32 v6, 8, v6 :: v_dual_lshlrev_b32 v9, 23, v9
	v_lshl_add_u32 v29, v29, 10, 0x2000
	s_delay_alu instid0(VALU_DEP_1) | instskip(NEXT) | instid1(VALU_DEP_1)
	v_and_or_b32 v6, 0x8000, v6, v29
	v_lshl_or_b32 v9, v6, 16, v9
.LBB259_1312:                           ;   in Loop: Header=BB259_819 Depth=1
	s_or_b32 exec_lo, exec_lo, s20
.LBB259_1313:                           ;   in Loop: Header=BB259_819 Depth=1
	s_delay_alu instid0(SALU_CYCLE_1)
	s_or_b32 exec_lo, exec_lo, s19
.LBB259_1314:                           ;   in Loop: Header=BB259_819 Depth=1
	s_delay_alu instid0(SALU_CYCLE_1) | instskip(SKIP_4) | instid1(VALU_DEP_3)
	s_or_b32 exec_lo, exec_lo, s18
	v_and_b32_e32 v39, 0xff, v37
	v_dual_mov_b32 v6, v37 :: v_dual_mov_b32 v38, 0
	v_mov_b32_e32 v29, 0
	s_mov_b32 s18, exec_lo
	v_cmpx_ne_u16_e32 0, v39
	s_cbranch_execz .LBB259_1322
; %bb.1315:                             ;   in Loop: Header=BB259_819 Depth=1
	v_mov_b32_e32 v29, 0x8000
	s_mov_b32 s19, exec_lo
	v_cmpx_ne_u16_e32 0x80, v39
	s_cbranch_execz .LBB259_1321
; %bb.1316:                             ;   in Loop: Header=BB259_819 Depth=1
	v_and_b32_e32 v48, 0x7f, v37
	v_mov_b32_e32 v29, 0x7c01
	s_mov_b32 s20, exec_lo
	s_delay_alu instid0(VALU_DEP_2)
	v_cmpx_ne_u32_e32 0x7f, v48
	s_cbranch_execz .LBB259_1320
; %bb.1317:                             ;   in Loop: Header=BB259_819 Depth=1
	v_dual_lshrrev_b32 v39, 3, v48 :: v_dual_bitop2_b32 v29, 7, v37 bitop3:0x40
	s_mov_b32 s21, exec_lo
	v_cmpx_gt_u32_e32 8, v48
; %bb.1318:                             ;   in Loop: Header=BB259_819 Depth=1
	s_delay_alu instid0(VALU_DEP_2) | instskip(NEXT) | instid1(VALU_DEP_1)
	v_clz_i32_u32_e32 v29, v29
	v_min_u32_e32 v29, 32, v29
	s_delay_alu instid0(VALU_DEP_1) | instskip(NEXT) | instid1(VALU_DEP_1)
	v_subrev_nc_u32_e32 v39, 28, v29
	v_lshlrev_b64_e32 v[48:49], v39, v[6:7]
	s_delay_alu instid0(VALU_DEP_1)
	v_dual_sub_nc_u32 v39, 29, v29 :: v_dual_bitop2_b32 v29, 7, v48 bitop3:0x40
; %bb.1319:                             ;   in Loop: Header=BB259_819 Depth=1
	s_or_b32 exec_lo, exec_lo, s21
	v_lshlrev_b32_e32 v48, 8, v37
	s_delay_alu instid0(VALU_DEP_2) | instskip(NEXT) | instid1(VALU_DEP_3)
	v_lshl_add_u32 v39, v39, 10, 0x2000
	v_lshlrev_b32_e32 v29, 7, v29
	s_delay_alu instid0(VALU_DEP_3) | instskip(NEXT) | instid1(VALU_DEP_3)
	v_and_b32_e32 v48, 0x8000, v48
	v_and_b32_e32 v39, 0xfc00, v39
	s_delay_alu instid0(VALU_DEP_1)
	v_or3_b32 v29, v48, v39, v29
.LBB259_1320:                           ;   in Loop: Header=BB259_819 Depth=1
	s_or_b32 exec_lo, exec_lo, s20
.LBB259_1321:                           ;   in Loop: Header=BB259_819 Depth=1
	s_delay_alu instid0(SALU_CYCLE_1)
	s_or_b32 exec_lo, exec_lo, s19
.LBB259_1322:                           ;   in Loop: Header=BB259_819 Depth=1
	s_delay_alu instid0(SALU_CYCLE_1) | instskip(SKIP_3) | instid1(VALU_DEP_2)
	s_or_b32 exec_lo, exec_lo, s18
	v_lshrrev_b16 v6, 8, v6
	v_mov_b32_e32 v39, 0
	s_mov_b32 s18, exec_lo
	v_cmpx_ne_u16_e32 0, v6
	s_cbranch_execz .LBB259_1330
; %bb.1323:                             ;   in Loop: Header=BB259_819 Depth=1
	v_bfrev_b32_e32 v39, 1
	s_mov_b32 s19, exec_lo
	v_cmpx_ne_u16_e32 0x80, v6
	s_cbranch_execz .LBB259_1329
; %bb.1324:                             ;   in Loop: Header=BB259_819 Depth=1
	v_and_b32_e32 v48, 0xffff, v6
	v_mov_b32_e32 v39, 0x7c010000
	s_mov_b32 s20, exec_lo
	s_delay_alu instid0(VALU_DEP_2) | instskip(NEXT) | instid1(VALU_DEP_1)
	v_and_b32_e32 v50, 0x7f, v48
	v_cmpx_ne_u32_e32 0x7f, v50
	s_cbranch_execz .LBB259_1328
; %bb.1325:                             ;   in Loop: Header=BB259_819 Depth=1
	v_dual_lshrrev_b32 v49, 3, v50 :: v_dual_bitop2_b32 v39, 7, v48 bitop3:0x40
	s_mov_b32 s21, exec_lo
	v_cmpx_gt_u32_e32 8, v50
; %bb.1326:                             ;   in Loop: Header=BB259_819 Depth=1
	s_delay_alu instid0(VALU_DEP_2) | instskip(NEXT) | instid1(VALU_DEP_1)
	v_clz_i32_u32_e32 v39, v39
	v_min_u32_e32 v39, 32, v39
	s_delay_alu instid0(VALU_DEP_1) | instskip(NEXT) | instid1(VALU_DEP_1)
	v_subrev_nc_u32_e32 v49, 28, v39
	v_lshlrev_b64_e32 v[42:43], v49, v[6:7]
	s_delay_alu instid0(VALU_DEP_1)
	v_dual_sub_nc_u32 v49, 29, v39 :: v_dual_bitop2_b32 v39, 7, v42 bitop3:0x40
; %bb.1327:                             ;   in Loop: Header=BB259_819 Depth=1
	s_or_b32 exec_lo, exec_lo, s21
	s_delay_alu instid0(VALU_DEP_1) | instskip(NEXT) | instid1(VALU_DEP_2)
	v_dual_lshlrev_b32 v6, 8, v48 :: v_dual_lshlrev_b32 v39, 23, v39
	v_lshl_add_u32 v48, v49, 10, 0x2000
	s_delay_alu instid0(VALU_DEP_1) | instskip(NEXT) | instid1(VALU_DEP_1)
	v_and_or_b32 v6, 0x8000, v6, v48
	v_lshl_or_b32 v39, v6, 16, v39
.LBB259_1328:                           ;   in Loop: Header=BB259_819 Depth=1
	s_or_b32 exec_lo, exec_lo, s20
.LBB259_1329:                           ;   in Loop: Header=BB259_819 Depth=1
	s_delay_alu instid0(SALU_CYCLE_1)
	s_or_b32 exec_lo, exec_lo, s19
.LBB259_1330:                           ;   in Loop: Header=BB259_819 Depth=1
	s_delay_alu instid0(SALU_CYCLE_1) | instskip(SKIP_2) | instid1(VALU_DEP_1)
	s_or_b32 exec_lo, exec_lo, s18
	v_lshrrev_b32_e32 v6, 16, v37
	s_mov_b32 s18, exec_lo
	v_and_b32_e32 v48, 0xff, v6
	s_delay_alu instid0(VALU_DEP_1)
	v_cmpx_ne_u16_e32 0, v48
	s_cbranch_execz .LBB259_1338
; %bb.1331:                             ;   in Loop: Header=BB259_819 Depth=1
	v_mov_b32_e32 v38, 0x8000
	s_mov_b32 s19, exec_lo
	v_cmpx_ne_u16_e32 0x80, v48
	s_cbranch_execz .LBB259_1337
; %bb.1332:                             ;   in Loop: Header=BB259_819 Depth=1
	v_bfe_u32 v49, v37, 16, 7
	v_mov_b32_e32 v38, 0x7c01
	s_mov_b32 s20, exec_lo
	s_delay_alu instid0(VALU_DEP_2)
	v_cmpx_ne_u32_e32 0x7f, v49
	s_cbranch_execz .LBB259_1336
; %bb.1333:                             ;   in Loop: Header=BB259_819 Depth=1
	v_dual_lshrrev_b32 v48, 3, v49 :: v_dual_bitop2_b32 v38, 7, v6 bitop3:0x40
	s_mov_b32 s21, exec_lo
	v_cmpx_gt_u32_e32 8, v49
; %bb.1334:                             ;   in Loop: Header=BB259_819 Depth=1
	s_delay_alu instid0(VALU_DEP_2) | instskip(NEXT) | instid1(VALU_DEP_1)
	v_clz_i32_u32_e32 v38, v38
	v_min_u32_e32 v38, 32, v38
	s_delay_alu instid0(VALU_DEP_1) | instskip(NEXT) | instid1(VALU_DEP_1)
	v_subrev_nc_u32_e32 v48, 28, v38
	v_lshlrev_b64_e32 v[42:43], v48, v[6:7]
	v_sub_nc_u32_e32 v48, 29, v38
	s_delay_alu instid0(VALU_DEP_2)
	v_and_b32_e32 v38, 7, v42
; %bb.1335:                             ;   in Loop: Header=BB259_819 Depth=1
	s_or_b32 exec_lo, exec_lo, s21
	v_lshlrev_b32_e32 v6, 8, v6
	s_delay_alu instid0(VALU_DEP_3) | instskip(NEXT) | instid1(VALU_DEP_3)
	v_lshl_add_u32 v48, v48, 10, 0x2000
	v_lshlrev_b32_e32 v38, 7, v38
	s_delay_alu instid0(VALU_DEP_3) | instskip(NEXT) | instid1(VALU_DEP_3)
	v_and_b32_e32 v6, 0x8000, v6
	v_and_b32_e32 v48, 0xfc00, v48
	s_delay_alu instid0(VALU_DEP_1)
	v_or3_b32 v38, v6, v48, v38
.LBB259_1336:                           ;   in Loop: Header=BB259_819 Depth=1
	s_or_b32 exec_lo, exec_lo, s20
.LBB259_1337:                           ;   in Loop: Header=BB259_819 Depth=1
	s_delay_alu instid0(SALU_CYCLE_1)
	s_or_b32 exec_lo, exec_lo, s19
.LBB259_1338:                           ;   in Loop: Header=BB259_819 Depth=1
	s_delay_alu instid0(SALU_CYCLE_1)
	s_or_b32 exec_lo, exec_lo, s18
	v_cmp_lt_u64_e64 s0, s[2:3], v[36:37]
	v_mov_b32_e32 v36, 0
	s_and_saveexec_b32 s18, s0
	s_cbranch_execz .LBB259_1346
; %bb.1339:                             ;   in Loop: Header=BB259_819 Depth=1
	v_lshrrev_b32_e32 v6, 24, v37
	v_bfrev_b32_e32 v36, 1
	s_mov_b32 s19, exec_lo
	s_delay_alu instid0(VALU_DEP_2)
	v_cmpx_ne_u32_e32 0x80, v6
	s_cbranch_execz .LBB259_1345
; %bb.1340:                             ;   in Loop: Header=BB259_819 Depth=1
	v_and_b32_e32 v48, 0x7f, v6
	v_mov_b32_e32 v36, 0x7c010000
	s_mov_b32 s20, exec_lo
	s_delay_alu instid0(VALU_DEP_2)
	v_cmpx_ne_u32_e32 0x7f, v48
	s_cbranch_execz .LBB259_1344
; %bb.1341:                             ;   in Loop: Header=BB259_819 Depth=1
	v_dual_lshrrev_b32 v37, 3, v48 :: v_dual_bitop2_b32 v36, 7, v6 bitop3:0x40
	s_mov_b32 s21, exec_lo
	v_cmpx_gt_u32_e32 8, v48
; %bb.1342:                             ;   in Loop: Header=BB259_819 Depth=1
	s_delay_alu instid0(VALU_DEP_2) | instskip(NEXT) | instid1(VALU_DEP_1)
	v_clz_i32_u32_e32 v36, v36
	v_min_u32_e32 v48, 32, v36
	s_delay_alu instid0(VALU_DEP_1) | instskip(NEXT) | instid1(VALU_DEP_1)
	v_subrev_nc_u32_e32 v36, 28, v48
	v_lshlrev_b64_e32 v[36:37], v36, v[6:7]
	v_sub_nc_u32_e32 v37, 29, v48
	s_delay_alu instid0(VALU_DEP_2)
	v_and_b32_e32 v36, 7, v36
; %bb.1343:                             ;   in Loop: Header=BB259_819 Depth=1
	s_or_b32 exec_lo, exec_lo, s21
	s_delay_alu instid0(VALU_DEP_1) | instskip(NEXT) | instid1(VALU_DEP_3)
	v_dual_lshlrev_b32 v6, 8, v6 :: v_dual_lshlrev_b32 v36, 23, v36
	v_lshl_add_u32 v37, v37, 10, 0x2000
	s_delay_alu instid0(VALU_DEP_1) | instskip(NEXT) | instid1(VALU_DEP_1)
	v_and_or_b32 v6, 0x8000, v6, v37
	v_lshl_or_b32 v36, v6, 16, v36
.LBB259_1344:                           ;   in Loop: Header=BB259_819 Depth=1
	s_or_b32 exec_lo, exec_lo, s20
.LBB259_1345:                           ;   in Loop: Header=BB259_819 Depth=1
	s_delay_alu instid0(SALU_CYCLE_1)
	s_or_b32 exec_lo, exec_lo, s19
.LBB259_1346:                           ;   in Loop: Header=BB259_819 Depth=1
	s_delay_alu instid0(SALU_CYCLE_1) | instskip(SKIP_4) | instid1(VALU_DEP_4)
	s_or_b32 exec_lo, exec_lo, s18
	v_dual_lshrrev_b32 v6, 16, v0 :: v_dual_lshrrev_b32 v37, 16, v9
	v_or_b32_e32 v48, v0, v1
	v_or_b32_e32 v9, v9, v19
	v_lshrrev_b32_e32 v19, 16, v39
	v_cvt_f32_f16_e32 v1, v6
	v_cvt_f32_f16_e32 v0, v37
	v_dual_lshrrev_b32 v38, 16, v36 :: v_dual_bitop2_b32 v6, v36, v38 bitop3:0x54
	v_cvt_f32_f16_e32 v36, v9
	v_cvt_f32_f16_e32 v37, v48
	s_wait_loadcnt_dscnt 0x0
	v_pk_mul_f32 v[0:1], v[28:29], v[0:1] op_sel_hi:[0,1]
	v_cvt_f32_f16_e32 v48, v6
	v_cvt_f32_f16_e32 v38, v38
	v_pk_mul_f32 v[36:37], v[28:29], v[36:37] op_sel_hi:[0,1]
	s_delay_alu instid0(VALU_DEP_4) | instskip(SKIP_2) | instid1(VALU_DEP_2)
	v_cvt_pk_f16_f32 v6, v0, v1
	v_or_b32_e32 v9, v39, v29
	v_cvt_f32_f16_e32 v39, v19
	v_cvt_f32_f16_e32 v49, v9
	s_delay_alu instid0(VALU_DEP_2) | instskip(SKIP_2) | instid1(VALU_DEP_4)
	v_pk_mul_f32 v[0:1], v[28:29], v[38:39] op_sel_hi:[0,1]
	v_cvt_pk_f16_f32 v9, v36, v37
	v_lshlrev_b32_e32 v36, 16, v6
	v_pk_mul_f32 v[38:39], v[28:29], v[48:49] op_sel_hi:[0,1]
	s_delay_alu instid0(VALU_DEP_4)
	v_cvt_pk_f16_f32 v0, v0, v1
	v_and_b32_e32 v29, 0xffff0000, v6
	v_lshrrev_b32_e32 v49, 16, v9
	v_and_b32_e32 v50, 0xffff, v9
	v_cvt_pk_f16_f32 v1, v38, v39
	v_and_b32_e32 v9, 0xffff0000, v0
	s_delay_alu instid0(VALU_DEP_4) | instskip(NEXT) | instid1(VALU_DEP_3)
	v_dual_lshlrev_b32 v6, 16, v0 :: v_dual_bitop2_b32 v39, v29, v49 bitop3:0x54
	v_dual_lshrrev_b32 v19, 16, v1 :: v_dual_bitop2_b32 v48, v36, v50 bitop3:0x54
	v_and_b32_e32 v28, 0xffff, v1
	s_delay_alu instid0(VALU_DEP_2) | instskip(NEXT) | instid1(VALU_DEP_2)
	v_or_b32_e32 v37, v9, v19
	v_or_b32_e32 v38, v6, v28
	s_and_saveexec_b32 s18, vcc_lo
	s_cbranch_execz .LBB259_1348
; %bb.1347:                             ;   in Loop: Header=BB259_819 Depth=1
	v_cmp_lt_i32_e64 s0, v83, v13
	s_delay_alu instid0(VALU_DEP_1) | instskip(SKIP_1) | instid1(VALU_DEP_1)
	v_cndmask_b32_e64 v0, 0, v49, s0
	v_cmp_lt_i32_e64 s0, v98, v12
	v_cndmask_b32_e64 v1, 0, v50, s0
	v_cmp_lt_i32_e64 s0, v97, v13
	s_delay_alu instid0(VALU_DEP_1) | instskip(SKIP_1) | instid1(VALU_DEP_1)
	v_cndmask_b32_e64 v29, 0, v29, s0
	v_cmp_lt_i32_e64 s0, v96, v12
	v_cndmask_b32_e64 v36, 0, v36, s0
	v_cmp_lt_i32_e64 s0, v87, v13
	s_delay_alu instid0(VALU_DEP_4) | instskip(NEXT) | instid1(VALU_DEP_2)
	v_or_b32_e32 v39, v0, v29
	v_dual_cndmask_b32 v19, 0, v19, s0 :: v_dual_bitop2_b32 v48, v1, v36 bitop3:0x54
	v_cmp_lt_i32_e64 s0, v86, v12
	s_delay_alu instid0(VALU_DEP_1) | instskip(SKIP_1) | instid1(VALU_DEP_1)
	v_cndmask_b32_e64 v28, 0, v28, s0
	v_cmp_lt_i32_e64 s0, v85, v13
	v_cndmask_b32_e64 v9, 0, v9, s0
	v_cmp_lt_i32_e64 s0, v84, v12
	s_delay_alu instid0(VALU_DEP_1) | instskip(NEXT) | instid1(VALU_DEP_1)
	v_dual_cndmask_b32 v6, 0, v6, s0 :: v_dual_bitop2_b32 v37, v19, v9 bitop3:0x54
	v_or_b32_e32 v38, v28, v6
.LBB259_1348:                           ;   in Loop: Header=BB259_819 Depth=1
	s_or_b32 exec_lo, exec_lo, s18
	;;#ASMSTART
	v_pk_mul_f16 v0, v99, v39;

	;;#ASMEND
	;;#ASMSTART
	v_pk_mul_f16 v1, v53, v48;

	;;#ASMEND
	;; [unrolled: 4-line block ×4, first 2 shown]
	;;#ASMSTART
	v_pk_add_f16 v0, v0, v1;

	;;#ASMEND
	;;#ASMSTART
	v_pk_add_f16 v0, v0, v6;

	;;#ASMEND
	;; [unrolled: 4-line block ×3, first 2 shown]
	v_and_b32_e32 v1, 0xffff, v0
	v_lshrrev_b32_e32 v0, 16, v0
	;;#ASMSTART
	v_cvt_f32_f16 v41, v1;
	;;#ASMEND
	v_mov_b32_e32 v1, 0
	;;#ASMSTART
	v_cvt_f32_f16 v42, v0;
	;;#ASMEND
	flat_load_b64 v[36:37], v[26:27] offset:2048
	flat_load_b32 v28, v[22:23]
	v_mov_b32_e32 v0, 0
	s_mov_b32 s18, exec_lo
	s_wait_loadcnt_dscnt 0x101
	v_and_b32_e32 v6, 0xff, v36
	s_wait_xcnt 0x0
	s_delay_alu instid0(VALU_DEP_1)
	v_cmpx_ne_u16_e32 0, v6
	s_cbranch_execz .LBB259_1356
; %bb.1349:                             ;   in Loop: Header=BB259_819 Depth=1
	v_mov_b32_e32 v1, 0x8000
	s_mov_b32 s19, exec_lo
	v_cmpx_ne_u16_e32 0x80, v6
	s_cbranch_execz .LBB259_1355
; %bb.1350:                             ;   in Loop: Header=BB259_819 Depth=1
	v_and_b32_e32 v9, 0x7f, v36
	v_mov_b32_e32 v1, 0x7c01
	s_mov_b32 s20, exec_lo
	s_delay_alu instid0(VALU_DEP_2)
	v_cmpx_ne_u32_e32 0x7f, v9
	s_cbranch_execz .LBB259_1354
; %bb.1351:                             ;   in Loop: Header=BB259_819 Depth=1
	v_dual_lshrrev_b32 v6, 3, v9 :: v_dual_bitop2_b32 v1, 7, v36 bitop3:0x40
	s_mov_b32 s21, exec_lo
	v_cmpx_gt_u32_e32 8, v9
; %bb.1352:                             ;   in Loop: Header=BB259_819 Depth=1
	s_delay_alu instid0(VALU_DEP_2) | instskip(NEXT) | instid1(VALU_DEP_1)
	v_clz_i32_u32_e32 v1, v1
	v_min_u32_e32 v1, 32, v1
	s_delay_alu instid0(VALU_DEP_1) | instskip(NEXT) | instid1(VALU_DEP_1)
	v_subrev_nc_u32_e32 v6, 28, v1
	v_lshlrev_b64_e32 v[38:39], v6, v[36:37]
	s_delay_alu instid0(VALU_DEP_1)
	v_dual_sub_nc_u32 v6, 29, v1 :: v_dual_bitop2_b32 v1, 7, v38 bitop3:0x40
; %bb.1353:                             ;   in Loop: Header=BB259_819 Depth=1
	s_or_b32 exec_lo, exec_lo, s21
	s_delay_alu instid0(VALU_DEP_1) | instskip(NEXT) | instid1(VALU_DEP_2)
	v_dual_lshlrev_b32 v9, 8, v36 :: v_dual_lshlrev_b32 v1, 7, v1
	v_lshl_add_u32 v6, v6, 10, 0x2000
	s_delay_alu instid0(VALU_DEP_2) | instskip(NEXT) | instid1(VALU_DEP_2)
	v_and_b32_e32 v9, 0x8000, v9
	v_and_b32_e32 v6, 0xfc00, v6
	s_delay_alu instid0(VALU_DEP_1)
	v_or3_b32 v1, v9, v6, v1
.LBB259_1354:                           ;   in Loop: Header=BB259_819 Depth=1
	s_or_b32 exec_lo, exec_lo, s20
.LBB259_1355:                           ;   in Loop: Header=BB259_819 Depth=1
	s_delay_alu instid0(SALU_CYCLE_1)
	s_or_b32 exec_lo, exec_lo, s19
.LBB259_1356:                           ;   in Loop: Header=BB259_819 Depth=1
	s_delay_alu instid0(SALU_CYCLE_1) | instskip(SKIP_2) | instid1(VALU_DEP_1)
	s_or_b32 exec_lo, exec_lo, s18
	v_lshrrev_b16 v6, 8, v36
	s_mov_b32 s18, exec_lo
	v_cmpx_ne_u16_e32 0, v6
	s_cbranch_execz .LBB259_1364
; %bb.1357:                             ;   in Loop: Header=BB259_819 Depth=1
	v_bfrev_b32_e32 v0, 1
	s_mov_b32 s19, exec_lo
	v_cmpx_ne_u16_e32 0x80, v6
	s_cbranch_execz .LBB259_1363
; %bb.1358:                             ;   in Loop: Header=BB259_819 Depth=1
	v_and_b32_e32 v9, 0xffff, v6
	v_mov_b32_e32 v0, 0x7c010000
	s_mov_b32 s20, exec_lo
	s_delay_alu instid0(VALU_DEP_2) | instskip(NEXT) | instid1(VALU_DEP_1)
	v_and_b32_e32 v29, 0x7f, v9
	v_cmpx_ne_u32_e32 0x7f, v29
	s_cbranch_execz .LBB259_1362
; %bb.1359:                             ;   in Loop: Header=BB259_819 Depth=1
	v_and_b32_e32 v0, 7, v9
	v_lshrrev_b32_e32 v19, 3, v29
	s_mov_b32 s21, exec_lo
	v_cmpx_gt_u32_e32 8, v29
; %bb.1360:                             ;   in Loop: Header=BB259_819 Depth=1
	s_delay_alu instid0(VALU_DEP_3) | instskip(NEXT) | instid1(VALU_DEP_1)
	v_clz_i32_u32_e32 v0, v0
	v_min_u32_e32 v0, 32, v0
	s_delay_alu instid0(VALU_DEP_1) | instskip(NEXT) | instid1(VALU_DEP_1)
	v_subrev_nc_u32_e32 v19, 28, v0
	v_lshlrev_b64_e32 v[38:39], v19, v[6:7]
	s_delay_alu instid0(VALU_DEP_1)
	v_dual_sub_nc_u32 v19, 29, v0 :: v_dual_bitop2_b32 v0, 7, v38 bitop3:0x40
; %bb.1361:                             ;   in Loop: Header=BB259_819 Depth=1
	s_or_b32 exec_lo, exec_lo, s21
	s_delay_alu instid0(VALU_DEP_1) | instskip(NEXT) | instid1(VALU_DEP_2)
	v_dual_lshlrev_b32 v6, 8, v9 :: v_dual_lshlrev_b32 v0, 23, v0
	v_lshl_add_u32 v9, v19, 10, 0x2000
	s_delay_alu instid0(VALU_DEP_1) | instskip(NEXT) | instid1(VALU_DEP_1)
	v_and_or_b32 v6, 0x8000, v6, v9
	v_lshl_or_b32 v0, v6, 16, v0
.LBB259_1362:                           ;   in Loop: Header=BB259_819 Depth=1
	s_or_b32 exec_lo, exec_lo, s20
.LBB259_1363:                           ;   in Loop: Header=BB259_819 Depth=1
	s_delay_alu instid0(SALU_CYCLE_1)
	s_or_b32 exec_lo, exec_lo, s19
.LBB259_1364:                           ;   in Loop: Header=BB259_819 Depth=1
	s_delay_alu instid0(SALU_CYCLE_1) | instskip(SKIP_3) | instid1(VALU_DEP_2)
	s_or_b32 exec_lo, exec_lo, s18
	v_dual_mov_b32 v9, 0 :: v_dual_lshrrev_b32 v6, 16, v36
	v_mov_b32_e32 v19, 0
	s_mov_b32 s18, exec_lo
	v_and_b32_e32 v29, 0xff, v6
	s_delay_alu instid0(VALU_DEP_1)
	v_cmpx_ne_u16_e32 0, v29
	s_cbranch_execz .LBB259_1372
; %bb.1365:                             ;   in Loop: Header=BB259_819 Depth=1
	v_mov_b32_e32 v19, 0x8000
	s_mov_b32 s19, exec_lo
	v_cmpx_ne_u16_e32 0x80, v29
	s_cbranch_execz .LBB259_1371
; %bb.1366:                             ;   in Loop: Header=BB259_819 Depth=1
	v_bfe_u32 v38, v36, 16, 7
	v_mov_b32_e32 v19, 0x7c01
	s_mov_b32 s20, exec_lo
	s_delay_alu instid0(VALU_DEP_2)
	v_cmpx_ne_u32_e32 0x7f, v38
	s_cbranch_execz .LBB259_1370
; %bb.1367:                             ;   in Loop: Header=BB259_819 Depth=1
	v_and_b32_e32 v19, 7, v6
	v_lshrrev_b32_e32 v29, 3, v38
	s_mov_b32 s21, exec_lo
	v_cmpx_gt_u32_e32 8, v38
; %bb.1368:                             ;   in Loop: Header=BB259_819 Depth=1
	s_delay_alu instid0(VALU_DEP_3) | instskip(NEXT) | instid1(VALU_DEP_1)
	v_clz_i32_u32_e32 v19, v19
	v_min_u32_e32 v19, 32, v19
	s_delay_alu instid0(VALU_DEP_1) | instskip(NEXT) | instid1(VALU_DEP_1)
	v_subrev_nc_u32_e32 v29, 28, v19
	v_lshlrev_b64_e32 v[38:39], v29, v[6:7]
	s_delay_alu instid0(VALU_DEP_1)
	v_dual_sub_nc_u32 v29, 29, v19 :: v_dual_bitop2_b32 v19, 7, v38 bitop3:0x40
; %bb.1369:                             ;   in Loop: Header=BB259_819 Depth=1
	s_or_b32 exec_lo, exec_lo, s21
	s_delay_alu instid0(VALU_DEP_1) | instskip(NEXT) | instid1(VALU_DEP_2)
	v_dual_lshlrev_b32 v6, 8, v6 :: v_dual_lshlrev_b32 v19, 7, v19
	v_lshl_add_u32 v29, v29, 10, 0x2000
	s_delay_alu instid0(VALU_DEP_2) | instskip(NEXT) | instid1(VALU_DEP_2)
	v_and_b32_e32 v6, 0x8000, v6
	v_and_b32_e32 v29, 0xfc00, v29
	s_delay_alu instid0(VALU_DEP_1)
	v_or3_b32 v19, v6, v29, v19
.LBB259_1370:                           ;   in Loop: Header=BB259_819 Depth=1
	s_or_b32 exec_lo, exec_lo, s20
.LBB259_1371:                           ;   in Loop: Header=BB259_819 Depth=1
	s_delay_alu instid0(SALU_CYCLE_1)
	s_or_b32 exec_lo, exec_lo, s19
.LBB259_1372:                           ;   in Loop: Header=BB259_819 Depth=1
	s_delay_alu instid0(SALU_CYCLE_1) | instskip(NEXT) | instid1(SALU_CYCLE_1)
	s_or_b32 exec_lo, exec_lo, s18
	s_mov_b32 s18, exec_lo
	v_cmpx_lt_u32_e32 0xffffff, v36
	s_cbranch_execz .LBB259_1380
; %bb.1373:                             ;   in Loop: Header=BB259_819 Depth=1
	v_lshrrev_b32_e32 v6, 24, v36
	v_bfrev_b32_e32 v9, 1
	s_mov_b32 s19, exec_lo
	s_delay_alu instid0(VALU_DEP_2)
	v_cmpx_ne_u32_e32 0x80, v6
	s_cbranch_execz .LBB259_1379
; %bb.1374:                             ;   in Loop: Header=BB259_819 Depth=1
	v_and_b32_e32 v38, 0x7f, v6
	v_mov_b32_e32 v9, 0x7c010000
	s_mov_b32 s20, exec_lo
	s_delay_alu instid0(VALU_DEP_2)
	v_cmpx_ne_u32_e32 0x7f, v38
	s_cbranch_execz .LBB259_1378
; %bb.1375:                             ;   in Loop: Header=BB259_819 Depth=1
	v_and_b32_e32 v9, 7, v6
	v_lshrrev_b32_e32 v29, 3, v38
	s_mov_b32 s21, exec_lo
	v_cmpx_gt_u32_e32 8, v38
; %bb.1376:                             ;   in Loop: Header=BB259_819 Depth=1
	s_delay_alu instid0(VALU_DEP_3) | instskip(NEXT) | instid1(VALU_DEP_1)
	v_clz_i32_u32_e32 v9, v9
	v_min_u32_e32 v9, 32, v9
	s_delay_alu instid0(VALU_DEP_1) | instskip(NEXT) | instid1(VALU_DEP_1)
	v_subrev_nc_u32_e32 v29, 28, v9
	v_lshlrev_b64_e32 v[38:39], v29, v[6:7]
	s_delay_alu instid0(VALU_DEP_1)
	v_dual_sub_nc_u32 v29, 29, v9 :: v_dual_bitop2_b32 v9, 7, v38 bitop3:0x40
; %bb.1377:                             ;   in Loop: Header=BB259_819 Depth=1
	s_or_b32 exec_lo, exec_lo, s21
	s_delay_alu instid0(VALU_DEP_1) | instskip(NEXT) | instid1(VALU_DEP_2)
	v_dual_lshlrev_b32 v6, 8, v6 :: v_dual_lshlrev_b32 v9, 23, v9
	v_lshl_add_u32 v29, v29, 10, 0x2000
	s_delay_alu instid0(VALU_DEP_1) | instskip(NEXT) | instid1(VALU_DEP_1)
	v_and_or_b32 v6, 0x8000, v6, v29
	v_lshl_or_b32 v9, v6, 16, v9
.LBB259_1378:                           ;   in Loop: Header=BB259_819 Depth=1
	s_or_b32 exec_lo, exec_lo, s20
.LBB259_1379:                           ;   in Loop: Header=BB259_819 Depth=1
	s_delay_alu instid0(SALU_CYCLE_1)
	s_or_b32 exec_lo, exec_lo, s19
.LBB259_1380:                           ;   in Loop: Header=BB259_819 Depth=1
	s_delay_alu instid0(SALU_CYCLE_1) | instskip(SKIP_4) | instid1(VALU_DEP_3)
	s_or_b32 exec_lo, exec_lo, s18
	v_and_b32_e32 v39, 0xff, v37
	v_dual_mov_b32 v6, v37 :: v_dual_mov_b32 v38, 0
	v_mov_b32_e32 v29, 0
	s_mov_b32 s18, exec_lo
	v_cmpx_ne_u16_e32 0, v39
	s_cbranch_execz .LBB259_1388
; %bb.1381:                             ;   in Loop: Header=BB259_819 Depth=1
	v_mov_b32_e32 v29, 0x8000
	s_mov_b32 s19, exec_lo
	v_cmpx_ne_u16_e32 0x80, v39
	s_cbranch_execz .LBB259_1387
; %bb.1382:                             ;   in Loop: Header=BB259_819 Depth=1
	v_and_b32_e32 v48, 0x7f, v37
	v_mov_b32_e32 v29, 0x7c01
	s_mov_b32 s20, exec_lo
	s_delay_alu instid0(VALU_DEP_2)
	v_cmpx_ne_u32_e32 0x7f, v48
	s_cbranch_execz .LBB259_1386
; %bb.1383:                             ;   in Loop: Header=BB259_819 Depth=1
	v_dual_lshrrev_b32 v39, 3, v48 :: v_dual_bitop2_b32 v29, 7, v37 bitop3:0x40
	s_mov_b32 s21, exec_lo
	v_cmpx_gt_u32_e32 8, v48
; %bb.1384:                             ;   in Loop: Header=BB259_819 Depth=1
	s_delay_alu instid0(VALU_DEP_2) | instskip(NEXT) | instid1(VALU_DEP_1)
	v_clz_i32_u32_e32 v29, v29
	v_min_u32_e32 v29, 32, v29
	s_delay_alu instid0(VALU_DEP_1) | instskip(NEXT) | instid1(VALU_DEP_1)
	v_subrev_nc_u32_e32 v39, 28, v29
	v_lshlrev_b64_e32 v[48:49], v39, v[6:7]
	s_delay_alu instid0(VALU_DEP_1)
	v_dual_sub_nc_u32 v39, 29, v29 :: v_dual_bitop2_b32 v29, 7, v48 bitop3:0x40
; %bb.1385:                             ;   in Loop: Header=BB259_819 Depth=1
	s_or_b32 exec_lo, exec_lo, s21
	v_lshlrev_b32_e32 v48, 8, v37
	s_delay_alu instid0(VALU_DEP_2) | instskip(NEXT) | instid1(VALU_DEP_3)
	v_lshl_add_u32 v39, v39, 10, 0x2000
	v_lshlrev_b32_e32 v29, 7, v29
	s_delay_alu instid0(VALU_DEP_3) | instskip(NEXT) | instid1(VALU_DEP_3)
	v_and_b32_e32 v48, 0x8000, v48
	v_and_b32_e32 v39, 0xfc00, v39
	s_delay_alu instid0(VALU_DEP_1)
	v_or3_b32 v29, v48, v39, v29
.LBB259_1386:                           ;   in Loop: Header=BB259_819 Depth=1
	s_or_b32 exec_lo, exec_lo, s20
.LBB259_1387:                           ;   in Loop: Header=BB259_819 Depth=1
	s_delay_alu instid0(SALU_CYCLE_1)
	s_or_b32 exec_lo, exec_lo, s19
.LBB259_1388:                           ;   in Loop: Header=BB259_819 Depth=1
	s_delay_alu instid0(SALU_CYCLE_1) | instskip(SKIP_3) | instid1(VALU_DEP_2)
	s_or_b32 exec_lo, exec_lo, s18
	v_lshrrev_b16 v6, 8, v6
	v_mov_b32_e32 v39, 0
	s_mov_b32 s18, exec_lo
	v_cmpx_ne_u16_e32 0, v6
	s_cbranch_execz .LBB259_1396
; %bb.1389:                             ;   in Loop: Header=BB259_819 Depth=1
	v_bfrev_b32_e32 v39, 1
	s_mov_b32 s19, exec_lo
	v_cmpx_ne_u16_e32 0x80, v6
	s_cbranch_execz .LBB259_1395
; %bb.1390:                             ;   in Loop: Header=BB259_819 Depth=1
	v_and_b32_e32 v48, 0xffff, v6
	v_mov_b32_e32 v39, 0x7c010000
	s_mov_b32 s20, exec_lo
	s_delay_alu instid0(VALU_DEP_2) | instskip(NEXT) | instid1(VALU_DEP_1)
	v_and_b32_e32 v50, 0x7f, v48
	v_cmpx_ne_u32_e32 0x7f, v50
	s_cbranch_execz .LBB259_1394
; %bb.1391:                             ;   in Loop: Header=BB259_819 Depth=1
	v_dual_lshrrev_b32 v49, 3, v50 :: v_dual_bitop2_b32 v39, 7, v48 bitop3:0x40
	s_mov_b32 s21, exec_lo
	v_cmpx_gt_u32_e32 8, v50
; %bb.1392:                             ;   in Loop: Header=BB259_819 Depth=1
	s_delay_alu instid0(VALU_DEP_2) | instskip(NEXT) | instid1(VALU_DEP_1)
	v_clz_i32_u32_e32 v39, v39
	v_min_u32_e32 v39, 32, v39
	s_delay_alu instid0(VALU_DEP_1) | instskip(NEXT) | instid1(VALU_DEP_1)
	v_subrev_nc_u32_e32 v49, 28, v39
	v_lshlrev_b64_e32 v[44:45], v49, v[6:7]
	s_delay_alu instid0(VALU_DEP_1)
	v_dual_sub_nc_u32 v49, 29, v39 :: v_dual_bitop2_b32 v39, 7, v44 bitop3:0x40
; %bb.1393:                             ;   in Loop: Header=BB259_819 Depth=1
	s_or_b32 exec_lo, exec_lo, s21
	s_delay_alu instid0(VALU_DEP_1) | instskip(NEXT) | instid1(VALU_DEP_2)
	v_dual_lshlrev_b32 v6, 8, v48 :: v_dual_lshlrev_b32 v39, 23, v39
	v_lshl_add_u32 v48, v49, 10, 0x2000
	s_delay_alu instid0(VALU_DEP_1) | instskip(NEXT) | instid1(VALU_DEP_1)
	v_and_or_b32 v6, 0x8000, v6, v48
	v_lshl_or_b32 v39, v6, 16, v39
.LBB259_1394:                           ;   in Loop: Header=BB259_819 Depth=1
	s_or_b32 exec_lo, exec_lo, s20
.LBB259_1395:                           ;   in Loop: Header=BB259_819 Depth=1
	s_delay_alu instid0(SALU_CYCLE_1)
	s_or_b32 exec_lo, exec_lo, s19
.LBB259_1396:                           ;   in Loop: Header=BB259_819 Depth=1
	s_delay_alu instid0(SALU_CYCLE_1) | instskip(SKIP_2) | instid1(VALU_DEP_1)
	s_or_b32 exec_lo, exec_lo, s18
	v_lshrrev_b32_e32 v6, 16, v37
	s_mov_b32 s18, exec_lo
	v_and_b32_e32 v48, 0xff, v6
	s_delay_alu instid0(VALU_DEP_1)
	v_cmpx_ne_u16_e32 0, v48
	s_cbranch_execz .LBB259_1404
; %bb.1397:                             ;   in Loop: Header=BB259_819 Depth=1
	v_mov_b32_e32 v38, 0x8000
	s_mov_b32 s19, exec_lo
	v_cmpx_ne_u16_e32 0x80, v48
	s_cbranch_execz .LBB259_1403
; %bb.1398:                             ;   in Loop: Header=BB259_819 Depth=1
	v_bfe_u32 v49, v37, 16, 7
	v_mov_b32_e32 v38, 0x7c01
	s_mov_b32 s20, exec_lo
	s_delay_alu instid0(VALU_DEP_2)
	v_cmpx_ne_u32_e32 0x7f, v49
	s_cbranch_execz .LBB259_1402
; %bb.1399:                             ;   in Loop: Header=BB259_819 Depth=1
	v_dual_lshrrev_b32 v48, 3, v49 :: v_dual_bitop2_b32 v38, 7, v6 bitop3:0x40
	s_mov_b32 s21, exec_lo
	v_cmpx_gt_u32_e32 8, v49
; %bb.1400:                             ;   in Loop: Header=BB259_819 Depth=1
	s_delay_alu instid0(VALU_DEP_2) | instskip(NEXT) | instid1(VALU_DEP_1)
	v_clz_i32_u32_e32 v38, v38
	v_min_u32_e32 v38, 32, v38
	s_delay_alu instid0(VALU_DEP_1) | instskip(NEXT) | instid1(VALU_DEP_1)
	v_subrev_nc_u32_e32 v48, 28, v38
	v_lshlrev_b64_e32 v[44:45], v48, v[6:7]
	s_delay_alu instid0(VALU_DEP_1)
	v_dual_sub_nc_u32 v48, 29, v38 :: v_dual_bitop2_b32 v38, 7, v44 bitop3:0x40
; %bb.1401:                             ;   in Loop: Header=BB259_819 Depth=1
	s_or_b32 exec_lo, exec_lo, s21
	v_lshlrev_b32_e32 v6, 8, v6
	s_delay_alu instid0(VALU_DEP_2) | instskip(NEXT) | instid1(VALU_DEP_3)
	v_lshl_add_u32 v48, v48, 10, 0x2000
	v_lshlrev_b32_e32 v38, 7, v38
	s_delay_alu instid0(VALU_DEP_3) | instskip(NEXT) | instid1(VALU_DEP_3)
	v_and_b32_e32 v6, 0x8000, v6
	v_and_b32_e32 v48, 0xfc00, v48
	s_delay_alu instid0(VALU_DEP_1)
	v_or3_b32 v38, v6, v48, v38
.LBB259_1402:                           ;   in Loop: Header=BB259_819 Depth=1
	s_or_b32 exec_lo, exec_lo, s20
.LBB259_1403:                           ;   in Loop: Header=BB259_819 Depth=1
	s_delay_alu instid0(SALU_CYCLE_1)
	s_or_b32 exec_lo, exec_lo, s19
.LBB259_1404:                           ;   in Loop: Header=BB259_819 Depth=1
	s_delay_alu instid0(SALU_CYCLE_1)
	s_or_b32 exec_lo, exec_lo, s18
	v_cmp_lt_u64_e64 s0, s[2:3], v[36:37]
	v_mov_b32_e32 v36, 0
	s_and_saveexec_b32 s18, s0
	s_cbranch_execz .LBB259_1412
; %bb.1405:                             ;   in Loop: Header=BB259_819 Depth=1
	v_lshrrev_b32_e32 v6, 24, v37
	v_bfrev_b32_e32 v36, 1
	s_mov_b32 s19, exec_lo
	s_delay_alu instid0(VALU_DEP_2)
	v_cmpx_ne_u32_e32 0x80, v6
	s_cbranch_execz .LBB259_1411
; %bb.1406:                             ;   in Loop: Header=BB259_819 Depth=1
	v_and_b32_e32 v48, 0x7f, v6
	v_mov_b32_e32 v36, 0x7c010000
	s_mov_b32 s20, exec_lo
	s_delay_alu instid0(VALU_DEP_2)
	v_cmpx_ne_u32_e32 0x7f, v48
	s_cbranch_execz .LBB259_1410
; %bb.1407:                             ;   in Loop: Header=BB259_819 Depth=1
	v_dual_lshrrev_b32 v37, 3, v48 :: v_dual_bitop2_b32 v36, 7, v6 bitop3:0x40
	s_mov_b32 s21, exec_lo
	v_cmpx_gt_u32_e32 8, v48
; %bb.1408:                             ;   in Loop: Header=BB259_819 Depth=1
	s_delay_alu instid0(VALU_DEP_2) | instskip(NEXT) | instid1(VALU_DEP_1)
	v_clz_i32_u32_e32 v36, v36
	v_min_u32_e32 v48, 32, v36
	s_delay_alu instid0(VALU_DEP_1) | instskip(NEXT) | instid1(VALU_DEP_1)
	v_subrev_nc_u32_e32 v36, 28, v48
	v_lshlrev_b64_e32 v[36:37], v36, v[6:7]
	v_sub_nc_u32_e32 v37, 29, v48
	s_delay_alu instid0(VALU_DEP_2)
	v_and_b32_e32 v36, 7, v36
; %bb.1409:                             ;   in Loop: Header=BB259_819 Depth=1
	s_or_b32 exec_lo, exec_lo, s21
	s_delay_alu instid0(VALU_DEP_1) | instskip(NEXT) | instid1(VALU_DEP_3)
	v_dual_lshlrev_b32 v6, 8, v6 :: v_dual_lshlrev_b32 v36, 23, v36
	v_lshl_add_u32 v37, v37, 10, 0x2000
	s_delay_alu instid0(VALU_DEP_1) | instskip(NEXT) | instid1(VALU_DEP_1)
	v_and_or_b32 v6, 0x8000, v6, v37
	v_lshl_or_b32 v36, v6, 16, v36
.LBB259_1410:                           ;   in Loop: Header=BB259_819 Depth=1
	s_or_b32 exec_lo, exec_lo, s20
.LBB259_1411:                           ;   in Loop: Header=BB259_819 Depth=1
	s_delay_alu instid0(SALU_CYCLE_1)
	s_or_b32 exec_lo, exec_lo, s19
.LBB259_1412:                           ;   in Loop: Header=BB259_819 Depth=1
	s_delay_alu instid0(SALU_CYCLE_1) | instskip(SKIP_4) | instid1(VALU_DEP_4)
	s_or_b32 exec_lo, exec_lo, s18
	v_dual_lshrrev_b32 v6, 16, v0 :: v_dual_lshrrev_b32 v37, 16, v9
	v_or_b32_e32 v48, v0, v1
	v_or_b32_e32 v9, v9, v19
	v_lshrrev_b32_e32 v19, 16, v39
	v_cvt_f32_f16_e32 v1, v6
	v_cvt_f32_f16_e32 v0, v37
	v_dual_lshrrev_b32 v38, 16, v36 :: v_dual_bitop2_b32 v6, v36, v38 bitop3:0x54
	v_cvt_f32_f16_e32 v36, v9
	v_cvt_f32_f16_e32 v37, v48
	s_wait_loadcnt_dscnt 0x0
	v_pk_mul_f32 v[0:1], v[28:29], v[0:1] op_sel_hi:[0,1]
	v_cvt_f32_f16_e32 v48, v6
	v_cvt_f32_f16_e32 v38, v38
	v_pk_mul_f32 v[36:37], v[28:29], v[36:37] op_sel_hi:[0,1]
	s_delay_alu instid0(VALU_DEP_4) | instskip(SKIP_2) | instid1(VALU_DEP_2)
	v_cvt_pk_f16_f32 v6, v0, v1
	v_or_b32_e32 v9, v39, v29
	v_cvt_f32_f16_e32 v39, v19
	v_cvt_f32_f16_e32 v49, v9
	s_delay_alu instid0(VALU_DEP_2) | instskip(SKIP_2) | instid1(VALU_DEP_4)
	v_pk_mul_f32 v[0:1], v[28:29], v[38:39] op_sel_hi:[0,1]
	v_cvt_pk_f16_f32 v9, v36, v37
	v_lshlrev_b32_e32 v36, 16, v6
	v_pk_mul_f32 v[38:39], v[28:29], v[48:49] op_sel_hi:[0,1]
	s_delay_alu instid0(VALU_DEP_4)
	v_cvt_pk_f16_f32 v0, v0, v1
	v_and_b32_e32 v29, 0xffff0000, v6
	v_lshrrev_b32_e32 v49, 16, v9
	v_and_b32_e32 v50, 0xffff, v9
	v_cvt_pk_f16_f32 v1, v38, v39
	v_and_b32_e32 v9, 0xffff0000, v0
	s_delay_alu instid0(VALU_DEP_4) | instskip(NEXT) | instid1(VALU_DEP_3)
	v_dual_lshlrev_b32 v6, 16, v0 :: v_dual_bitop2_b32 v39, v29, v49 bitop3:0x54
	v_dual_lshrrev_b32 v19, 16, v1 :: v_dual_bitop2_b32 v48, v36, v50 bitop3:0x54
	v_and_b32_e32 v28, 0xffff, v1
	s_delay_alu instid0(VALU_DEP_2) | instskip(NEXT) | instid1(VALU_DEP_2)
	v_or_b32_e32 v37, v9, v19
	v_or_b32_e32 v38, v6, v28
	s_and_saveexec_b32 s18, vcc_lo
	s_cbranch_execz .LBB259_1414
; %bb.1413:                             ;   in Loop: Header=BB259_819 Depth=1
	v_cmp_lt_i32_e64 s0, v83, v13
	s_delay_alu instid0(VALU_DEP_1) | instskip(SKIP_1) | instid1(VALU_DEP_1)
	v_cndmask_b32_e64 v0, 0, v49, s0
	v_cmp_lt_i32_e64 s0, v98, v12
	v_cndmask_b32_e64 v1, 0, v50, s0
	v_cmp_lt_i32_e64 s0, v97, v13
	s_delay_alu instid0(VALU_DEP_1) | instskip(SKIP_1) | instid1(VALU_DEP_1)
	v_cndmask_b32_e64 v29, 0, v29, s0
	v_cmp_lt_i32_e64 s0, v96, v12
	v_cndmask_b32_e64 v36, 0, v36, s0
	v_cmp_lt_i32_e64 s0, v87, v13
	s_delay_alu instid0(VALU_DEP_4) | instskip(NEXT) | instid1(VALU_DEP_2)
	v_or_b32_e32 v39, v0, v29
	v_dual_cndmask_b32 v19, 0, v19, s0 :: v_dual_bitop2_b32 v48, v1, v36 bitop3:0x54
	v_cmp_lt_i32_e64 s0, v86, v12
	s_delay_alu instid0(VALU_DEP_1) | instskip(SKIP_1) | instid1(VALU_DEP_1)
	v_cndmask_b32_e64 v28, 0, v28, s0
	v_cmp_lt_i32_e64 s0, v85, v13
	v_cndmask_b32_e64 v9, 0, v9, s0
	v_cmp_lt_i32_e64 s0, v84, v12
	s_delay_alu instid0(VALU_DEP_1) | instskip(NEXT) | instid1(VALU_DEP_1)
	v_dual_cndmask_b32 v6, 0, v6, s0 :: v_dual_bitop2_b32 v37, v19, v9 bitop3:0x54
	v_or_b32_e32 v38, v28, v6
.LBB259_1414:                           ;   in Loop: Header=BB259_819 Depth=1
	s_or_b32 exec_lo, exec_lo, s18
	;;#ASMSTART
	v_pk_mul_f16 v0, v99, v39;

	;;#ASMEND
	;;#ASMSTART
	v_pk_mul_f16 v1, v53, v48;

	;;#ASMEND
	;;#ASMSTART
	v_pk_mul_f16 v6, v52, v37;

	;;#ASMEND
	;;#ASMSTART
	v_pk_mul_f16 v9, v51, v38;

	;;#ASMEND
	;;#ASMSTART
	v_pk_add_f16 v0, v0, v1;

	;;#ASMEND
	;;#ASMSTART
	v_pk_add_f16 v0, v0, v6;

	;;#ASMEND
	;;#ASMSTART
	v_pk_add_f16 v0, v0, v9;

	;;#ASMEND
	v_and_b32_e32 v1, 0xffff, v0
	v_lshrrev_b32_e32 v0, 16, v0
	;;#ASMSTART
	v_cvt_f32_f16 v43, v1;
	;;#ASMEND
	v_mov_b32_e32 v1, 0
	;;#ASMSTART
	v_cvt_f32_f16 v44, v0;
	;;#ASMEND
	flat_load_b64 v[36:37], v[26:27] offset:2304
	flat_load_b32 v28, v[22:23]
	v_mov_b32_e32 v0, 0
	s_mov_b32 s18, exec_lo
	s_wait_loadcnt_dscnt 0x101
	v_and_b32_e32 v6, 0xff, v36
	s_wait_xcnt 0x0
	s_delay_alu instid0(VALU_DEP_1)
	v_cmpx_ne_u16_e32 0, v6
	s_cbranch_execz .LBB259_1422
; %bb.1415:                             ;   in Loop: Header=BB259_819 Depth=1
	v_mov_b32_e32 v1, 0x8000
	s_mov_b32 s19, exec_lo
	v_cmpx_ne_u16_e32 0x80, v6
	s_cbranch_execz .LBB259_1421
; %bb.1416:                             ;   in Loop: Header=BB259_819 Depth=1
	v_and_b32_e32 v9, 0x7f, v36
	v_mov_b32_e32 v1, 0x7c01
	s_mov_b32 s20, exec_lo
	s_delay_alu instid0(VALU_DEP_2)
	v_cmpx_ne_u32_e32 0x7f, v9
	s_cbranch_execz .LBB259_1420
; %bb.1417:                             ;   in Loop: Header=BB259_819 Depth=1
	v_dual_lshrrev_b32 v6, 3, v9 :: v_dual_bitop2_b32 v1, 7, v36 bitop3:0x40
	s_mov_b32 s21, exec_lo
	v_cmpx_gt_u32_e32 8, v9
; %bb.1418:                             ;   in Loop: Header=BB259_819 Depth=1
	s_delay_alu instid0(VALU_DEP_2) | instskip(NEXT) | instid1(VALU_DEP_1)
	v_clz_i32_u32_e32 v1, v1
	v_min_u32_e32 v1, 32, v1
	s_delay_alu instid0(VALU_DEP_1) | instskip(NEXT) | instid1(VALU_DEP_1)
	v_subrev_nc_u32_e32 v6, 28, v1
	v_lshlrev_b64_e32 v[38:39], v6, v[36:37]
	s_delay_alu instid0(VALU_DEP_1)
	v_dual_sub_nc_u32 v6, 29, v1 :: v_dual_bitop2_b32 v1, 7, v38 bitop3:0x40
; %bb.1419:                             ;   in Loop: Header=BB259_819 Depth=1
	s_or_b32 exec_lo, exec_lo, s21
	s_delay_alu instid0(VALU_DEP_1) | instskip(NEXT) | instid1(VALU_DEP_2)
	v_dual_lshlrev_b32 v9, 8, v36 :: v_dual_lshlrev_b32 v1, 7, v1
	v_lshl_add_u32 v6, v6, 10, 0x2000
	s_delay_alu instid0(VALU_DEP_2) | instskip(NEXT) | instid1(VALU_DEP_2)
	v_and_b32_e32 v9, 0x8000, v9
	v_and_b32_e32 v6, 0xfc00, v6
	s_delay_alu instid0(VALU_DEP_1)
	v_or3_b32 v1, v9, v6, v1
.LBB259_1420:                           ;   in Loop: Header=BB259_819 Depth=1
	s_or_b32 exec_lo, exec_lo, s20
.LBB259_1421:                           ;   in Loop: Header=BB259_819 Depth=1
	s_delay_alu instid0(SALU_CYCLE_1)
	s_or_b32 exec_lo, exec_lo, s19
.LBB259_1422:                           ;   in Loop: Header=BB259_819 Depth=1
	s_delay_alu instid0(SALU_CYCLE_1) | instskip(SKIP_2) | instid1(VALU_DEP_1)
	s_or_b32 exec_lo, exec_lo, s18
	v_lshrrev_b16 v6, 8, v36
	s_mov_b32 s18, exec_lo
	v_cmpx_ne_u16_e32 0, v6
	s_cbranch_execz .LBB259_1430
; %bb.1423:                             ;   in Loop: Header=BB259_819 Depth=1
	v_bfrev_b32_e32 v0, 1
	s_mov_b32 s19, exec_lo
	v_cmpx_ne_u16_e32 0x80, v6
	s_cbranch_execz .LBB259_1429
; %bb.1424:                             ;   in Loop: Header=BB259_819 Depth=1
	v_and_b32_e32 v9, 0xffff, v6
	v_mov_b32_e32 v0, 0x7c010000
	s_mov_b32 s20, exec_lo
	s_delay_alu instid0(VALU_DEP_2) | instskip(NEXT) | instid1(VALU_DEP_1)
	v_and_b32_e32 v29, 0x7f, v9
	v_cmpx_ne_u32_e32 0x7f, v29
	s_cbranch_execz .LBB259_1428
; %bb.1425:                             ;   in Loop: Header=BB259_819 Depth=1
	v_and_b32_e32 v0, 7, v9
	v_lshrrev_b32_e32 v19, 3, v29
	s_mov_b32 s21, exec_lo
	v_cmpx_gt_u32_e32 8, v29
; %bb.1426:                             ;   in Loop: Header=BB259_819 Depth=1
	s_delay_alu instid0(VALU_DEP_3) | instskip(NEXT) | instid1(VALU_DEP_1)
	v_clz_i32_u32_e32 v0, v0
	v_min_u32_e32 v0, 32, v0
	s_delay_alu instid0(VALU_DEP_1) | instskip(NEXT) | instid1(VALU_DEP_1)
	v_subrev_nc_u32_e32 v19, 28, v0
	v_lshlrev_b64_e32 v[38:39], v19, v[6:7]
	s_delay_alu instid0(VALU_DEP_1)
	v_dual_sub_nc_u32 v19, 29, v0 :: v_dual_bitop2_b32 v0, 7, v38 bitop3:0x40
; %bb.1427:                             ;   in Loop: Header=BB259_819 Depth=1
	s_or_b32 exec_lo, exec_lo, s21
	s_delay_alu instid0(VALU_DEP_1) | instskip(NEXT) | instid1(VALU_DEP_2)
	v_dual_lshlrev_b32 v6, 8, v9 :: v_dual_lshlrev_b32 v0, 23, v0
	v_lshl_add_u32 v9, v19, 10, 0x2000
	s_delay_alu instid0(VALU_DEP_1) | instskip(NEXT) | instid1(VALU_DEP_1)
	v_and_or_b32 v6, 0x8000, v6, v9
	v_lshl_or_b32 v0, v6, 16, v0
.LBB259_1428:                           ;   in Loop: Header=BB259_819 Depth=1
	s_or_b32 exec_lo, exec_lo, s20
.LBB259_1429:                           ;   in Loop: Header=BB259_819 Depth=1
	s_delay_alu instid0(SALU_CYCLE_1)
	s_or_b32 exec_lo, exec_lo, s19
.LBB259_1430:                           ;   in Loop: Header=BB259_819 Depth=1
	s_delay_alu instid0(SALU_CYCLE_1) | instskip(SKIP_3) | instid1(VALU_DEP_2)
	s_or_b32 exec_lo, exec_lo, s18
	v_dual_mov_b32 v9, 0 :: v_dual_lshrrev_b32 v6, 16, v36
	v_mov_b32_e32 v19, 0
	s_mov_b32 s18, exec_lo
	v_and_b32_e32 v29, 0xff, v6
	s_delay_alu instid0(VALU_DEP_1)
	v_cmpx_ne_u16_e32 0, v29
	s_cbranch_execz .LBB259_1438
; %bb.1431:                             ;   in Loop: Header=BB259_819 Depth=1
	v_mov_b32_e32 v19, 0x8000
	s_mov_b32 s19, exec_lo
	v_cmpx_ne_u16_e32 0x80, v29
	s_cbranch_execz .LBB259_1437
; %bb.1432:                             ;   in Loop: Header=BB259_819 Depth=1
	v_bfe_u32 v38, v36, 16, 7
	v_mov_b32_e32 v19, 0x7c01
	s_mov_b32 s20, exec_lo
	s_delay_alu instid0(VALU_DEP_2)
	v_cmpx_ne_u32_e32 0x7f, v38
	s_cbranch_execz .LBB259_1436
; %bb.1433:                             ;   in Loop: Header=BB259_819 Depth=1
	v_and_b32_e32 v19, 7, v6
	v_lshrrev_b32_e32 v29, 3, v38
	s_mov_b32 s21, exec_lo
	v_cmpx_gt_u32_e32 8, v38
; %bb.1434:                             ;   in Loop: Header=BB259_819 Depth=1
	s_delay_alu instid0(VALU_DEP_3) | instskip(NEXT) | instid1(VALU_DEP_1)
	v_clz_i32_u32_e32 v19, v19
	v_min_u32_e32 v19, 32, v19
	s_delay_alu instid0(VALU_DEP_1) | instskip(NEXT) | instid1(VALU_DEP_1)
	v_subrev_nc_u32_e32 v29, 28, v19
	v_lshlrev_b64_e32 v[38:39], v29, v[6:7]
	s_delay_alu instid0(VALU_DEP_1)
	v_dual_sub_nc_u32 v29, 29, v19 :: v_dual_bitop2_b32 v19, 7, v38 bitop3:0x40
; %bb.1435:                             ;   in Loop: Header=BB259_819 Depth=1
	s_or_b32 exec_lo, exec_lo, s21
	s_delay_alu instid0(VALU_DEP_1) | instskip(NEXT) | instid1(VALU_DEP_2)
	v_dual_lshlrev_b32 v6, 8, v6 :: v_dual_lshlrev_b32 v19, 7, v19
	v_lshl_add_u32 v29, v29, 10, 0x2000
	s_delay_alu instid0(VALU_DEP_2) | instskip(NEXT) | instid1(VALU_DEP_2)
	v_and_b32_e32 v6, 0x8000, v6
	v_and_b32_e32 v29, 0xfc00, v29
	s_delay_alu instid0(VALU_DEP_1)
	v_or3_b32 v19, v6, v29, v19
.LBB259_1436:                           ;   in Loop: Header=BB259_819 Depth=1
	s_or_b32 exec_lo, exec_lo, s20
.LBB259_1437:                           ;   in Loop: Header=BB259_819 Depth=1
	s_delay_alu instid0(SALU_CYCLE_1)
	s_or_b32 exec_lo, exec_lo, s19
.LBB259_1438:                           ;   in Loop: Header=BB259_819 Depth=1
	s_delay_alu instid0(SALU_CYCLE_1) | instskip(NEXT) | instid1(SALU_CYCLE_1)
	s_or_b32 exec_lo, exec_lo, s18
	s_mov_b32 s18, exec_lo
	v_cmpx_lt_u32_e32 0xffffff, v36
	s_cbranch_execz .LBB259_1446
; %bb.1439:                             ;   in Loop: Header=BB259_819 Depth=1
	v_lshrrev_b32_e32 v6, 24, v36
	v_bfrev_b32_e32 v9, 1
	s_mov_b32 s19, exec_lo
	s_delay_alu instid0(VALU_DEP_2)
	v_cmpx_ne_u32_e32 0x80, v6
	s_cbranch_execz .LBB259_1445
; %bb.1440:                             ;   in Loop: Header=BB259_819 Depth=1
	v_and_b32_e32 v38, 0x7f, v6
	v_mov_b32_e32 v9, 0x7c010000
	s_mov_b32 s20, exec_lo
	s_delay_alu instid0(VALU_DEP_2)
	v_cmpx_ne_u32_e32 0x7f, v38
	s_cbranch_execz .LBB259_1444
; %bb.1441:                             ;   in Loop: Header=BB259_819 Depth=1
	v_and_b32_e32 v9, 7, v6
	v_lshrrev_b32_e32 v29, 3, v38
	s_mov_b32 s21, exec_lo
	v_cmpx_gt_u32_e32 8, v38
; %bb.1442:                             ;   in Loop: Header=BB259_819 Depth=1
	s_delay_alu instid0(VALU_DEP_3) | instskip(NEXT) | instid1(VALU_DEP_1)
	v_clz_i32_u32_e32 v9, v9
	v_min_u32_e32 v9, 32, v9
	s_delay_alu instid0(VALU_DEP_1) | instskip(NEXT) | instid1(VALU_DEP_1)
	v_subrev_nc_u32_e32 v29, 28, v9
	v_lshlrev_b64_e32 v[38:39], v29, v[6:7]
	s_delay_alu instid0(VALU_DEP_1)
	v_dual_sub_nc_u32 v29, 29, v9 :: v_dual_bitop2_b32 v9, 7, v38 bitop3:0x40
; %bb.1443:                             ;   in Loop: Header=BB259_819 Depth=1
	s_or_b32 exec_lo, exec_lo, s21
	s_delay_alu instid0(VALU_DEP_1) | instskip(NEXT) | instid1(VALU_DEP_2)
	v_dual_lshlrev_b32 v6, 8, v6 :: v_dual_lshlrev_b32 v9, 23, v9
	v_lshl_add_u32 v29, v29, 10, 0x2000
	s_delay_alu instid0(VALU_DEP_1) | instskip(NEXT) | instid1(VALU_DEP_1)
	v_and_or_b32 v6, 0x8000, v6, v29
	v_lshl_or_b32 v9, v6, 16, v9
.LBB259_1444:                           ;   in Loop: Header=BB259_819 Depth=1
	s_or_b32 exec_lo, exec_lo, s20
.LBB259_1445:                           ;   in Loop: Header=BB259_819 Depth=1
	s_delay_alu instid0(SALU_CYCLE_1)
	s_or_b32 exec_lo, exec_lo, s19
.LBB259_1446:                           ;   in Loop: Header=BB259_819 Depth=1
	s_delay_alu instid0(SALU_CYCLE_1) | instskip(SKIP_4) | instid1(VALU_DEP_3)
	s_or_b32 exec_lo, exec_lo, s18
	v_and_b32_e32 v39, 0xff, v37
	v_dual_mov_b32 v6, v37 :: v_dual_mov_b32 v38, 0
	v_mov_b32_e32 v29, 0
	s_mov_b32 s18, exec_lo
	v_cmpx_ne_u16_e32 0, v39
	s_cbranch_execz .LBB259_1454
; %bb.1447:                             ;   in Loop: Header=BB259_819 Depth=1
	v_mov_b32_e32 v29, 0x8000
	s_mov_b32 s19, exec_lo
	v_cmpx_ne_u16_e32 0x80, v39
	s_cbranch_execz .LBB259_1453
; %bb.1448:                             ;   in Loop: Header=BB259_819 Depth=1
	v_and_b32_e32 v48, 0x7f, v37
	v_mov_b32_e32 v29, 0x7c01
	s_mov_b32 s20, exec_lo
	s_delay_alu instid0(VALU_DEP_2)
	v_cmpx_ne_u32_e32 0x7f, v48
	s_cbranch_execz .LBB259_1452
; %bb.1449:                             ;   in Loop: Header=BB259_819 Depth=1
	v_dual_lshrrev_b32 v39, 3, v48 :: v_dual_bitop2_b32 v29, 7, v37 bitop3:0x40
	s_mov_b32 s21, exec_lo
	v_cmpx_gt_u32_e32 8, v48
; %bb.1450:                             ;   in Loop: Header=BB259_819 Depth=1
	s_delay_alu instid0(VALU_DEP_2) | instskip(NEXT) | instid1(VALU_DEP_1)
	v_clz_i32_u32_e32 v29, v29
	v_min_u32_e32 v29, 32, v29
	s_delay_alu instid0(VALU_DEP_1) | instskip(NEXT) | instid1(VALU_DEP_1)
	v_subrev_nc_u32_e32 v39, 28, v29
	v_lshlrev_b64_e32 v[48:49], v39, v[6:7]
	s_delay_alu instid0(VALU_DEP_1)
	v_dual_sub_nc_u32 v39, 29, v29 :: v_dual_bitop2_b32 v29, 7, v48 bitop3:0x40
; %bb.1451:                             ;   in Loop: Header=BB259_819 Depth=1
	s_or_b32 exec_lo, exec_lo, s21
	v_lshlrev_b32_e32 v48, 8, v37
	s_delay_alu instid0(VALU_DEP_2) | instskip(NEXT) | instid1(VALU_DEP_3)
	v_lshl_add_u32 v39, v39, 10, 0x2000
	v_lshlrev_b32_e32 v29, 7, v29
	s_delay_alu instid0(VALU_DEP_3) | instskip(NEXT) | instid1(VALU_DEP_3)
	v_and_b32_e32 v48, 0x8000, v48
	v_and_b32_e32 v39, 0xfc00, v39
	s_delay_alu instid0(VALU_DEP_1)
	v_or3_b32 v29, v48, v39, v29
.LBB259_1452:                           ;   in Loop: Header=BB259_819 Depth=1
	s_or_b32 exec_lo, exec_lo, s20
.LBB259_1453:                           ;   in Loop: Header=BB259_819 Depth=1
	s_delay_alu instid0(SALU_CYCLE_1)
	s_or_b32 exec_lo, exec_lo, s19
.LBB259_1454:                           ;   in Loop: Header=BB259_819 Depth=1
	s_delay_alu instid0(SALU_CYCLE_1) | instskip(SKIP_3) | instid1(VALU_DEP_2)
	s_or_b32 exec_lo, exec_lo, s18
	v_lshrrev_b16 v6, 8, v6
	v_mov_b32_e32 v39, 0
	s_mov_b32 s18, exec_lo
	v_cmpx_ne_u16_e32 0, v6
	s_cbranch_execz .LBB259_1462
; %bb.1455:                             ;   in Loop: Header=BB259_819 Depth=1
	v_bfrev_b32_e32 v39, 1
	s_mov_b32 s19, exec_lo
	v_cmpx_ne_u16_e32 0x80, v6
	s_cbranch_execz .LBB259_1461
; %bb.1456:                             ;   in Loop: Header=BB259_819 Depth=1
	v_and_b32_e32 v48, 0xffff, v6
	v_mov_b32_e32 v39, 0x7c010000
	s_mov_b32 s20, exec_lo
	s_delay_alu instid0(VALU_DEP_2) | instskip(NEXT) | instid1(VALU_DEP_1)
	v_and_b32_e32 v50, 0x7f, v48
	v_cmpx_ne_u32_e32 0x7f, v50
	s_cbranch_execz .LBB259_1460
; %bb.1457:                             ;   in Loop: Header=BB259_819 Depth=1
	v_dual_lshrrev_b32 v49, 3, v50 :: v_dual_bitop2_b32 v39, 7, v48 bitop3:0x40
	s_mov_b32 s21, exec_lo
	v_cmpx_gt_u32_e32 8, v50
; %bb.1458:                             ;   in Loop: Header=BB259_819 Depth=1
	s_delay_alu instid0(VALU_DEP_2) | instskip(NEXT) | instid1(VALU_DEP_1)
	v_clz_i32_u32_e32 v39, v39
	v_min_u32_e32 v39, 32, v39
	s_delay_alu instid0(VALU_DEP_1) | instskip(NEXT) | instid1(VALU_DEP_1)
	v_subrev_nc_u32_e32 v49, 28, v39
	v_lshlrev_b64_e32 v[46:47], v49, v[6:7]
	s_delay_alu instid0(VALU_DEP_1)
	v_dual_sub_nc_u32 v49, 29, v39 :: v_dual_bitop2_b32 v39, 7, v46 bitop3:0x40
; %bb.1459:                             ;   in Loop: Header=BB259_819 Depth=1
	s_or_b32 exec_lo, exec_lo, s21
	s_delay_alu instid0(VALU_DEP_1) | instskip(NEXT) | instid1(VALU_DEP_2)
	v_dual_lshlrev_b32 v6, 8, v48 :: v_dual_lshlrev_b32 v39, 23, v39
	v_lshl_add_u32 v48, v49, 10, 0x2000
	s_delay_alu instid0(VALU_DEP_1) | instskip(NEXT) | instid1(VALU_DEP_1)
	v_and_or_b32 v6, 0x8000, v6, v48
	v_lshl_or_b32 v39, v6, 16, v39
.LBB259_1460:                           ;   in Loop: Header=BB259_819 Depth=1
	s_or_b32 exec_lo, exec_lo, s20
.LBB259_1461:                           ;   in Loop: Header=BB259_819 Depth=1
	s_delay_alu instid0(SALU_CYCLE_1)
	s_or_b32 exec_lo, exec_lo, s19
.LBB259_1462:                           ;   in Loop: Header=BB259_819 Depth=1
	s_delay_alu instid0(SALU_CYCLE_1) | instskip(SKIP_2) | instid1(VALU_DEP_1)
	s_or_b32 exec_lo, exec_lo, s18
	v_lshrrev_b32_e32 v6, 16, v37
	s_mov_b32 s18, exec_lo
	v_and_b32_e32 v48, 0xff, v6
	s_delay_alu instid0(VALU_DEP_1)
	v_cmpx_ne_u16_e32 0, v48
	s_cbranch_execz .LBB259_1470
; %bb.1463:                             ;   in Loop: Header=BB259_819 Depth=1
	v_mov_b32_e32 v38, 0x8000
	s_mov_b32 s19, exec_lo
	v_cmpx_ne_u16_e32 0x80, v48
	s_cbranch_execz .LBB259_1469
; %bb.1464:                             ;   in Loop: Header=BB259_819 Depth=1
	v_bfe_u32 v49, v37, 16, 7
	v_mov_b32_e32 v38, 0x7c01
	s_mov_b32 s20, exec_lo
	s_delay_alu instid0(VALU_DEP_2)
	v_cmpx_ne_u32_e32 0x7f, v49
	s_cbranch_execz .LBB259_1468
; %bb.1465:                             ;   in Loop: Header=BB259_819 Depth=1
	v_dual_lshrrev_b32 v48, 3, v49 :: v_dual_bitop2_b32 v38, 7, v6 bitop3:0x40
	s_mov_b32 s21, exec_lo
	v_cmpx_gt_u32_e32 8, v49
; %bb.1466:                             ;   in Loop: Header=BB259_819 Depth=1
	s_delay_alu instid0(VALU_DEP_2) | instskip(NEXT) | instid1(VALU_DEP_1)
	v_clz_i32_u32_e32 v38, v38
	v_min_u32_e32 v38, 32, v38
	s_delay_alu instid0(VALU_DEP_1) | instskip(NEXT) | instid1(VALU_DEP_1)
	v_subrev_nc_u32_e32 v48, 28, v38
	v_lshlrev_b64_e32 v[46:47], v48, v[6:7]
	v_sub_nc_u32_e32 v48, 29, v38
	s_delay_alu instid0(VALU_DEP_2)
	v_and_b32_e32 v38, 7, v46
; %bb.1467:                             ;   in Loop: Header=BB259_819 Depth=1
	s_or_b32 exec_lo, exec_lo, s21
	v_lshlrev_b32_e32 v6, 8, v6
	s_delay_alu instid0(VALU_DEP_3) | instskip(NEXT) | instid1(VALU_DEP_3)
	v_lshl_add_u32 v48, v48, 10, 0x2000
	v_lshlrev_b32_e32 v38, 7, v38
	s_delay_alu instid0(VALU_DEP_3) | instskip(NEXT) | instid1(VALU_DEP_3)
	v_and_b32_e32 v6, 0x8000, v6
	v_and_b32_e32 v48, 0xfc00, v48
	s_delay_alu instid0(VALU_DEP_1)
	v_or3_b32 v38, v6, v48, v38
.LBB259_1468:                           ;   in Loop: Header=BB259_819 Depth=1
	s_or_b32 exec_lo, exec_lo, s20
.LBB259_1469:                           ;   in Loop: Header=BB259_819 Depth=1
	s_delay_alu instid0(SALU_CYCLE_1)
	s_or_b32 exec_lo, exec_lo, s19
.LBB259_1470:                           ;   in Loop: Header=BB259_819 Depth=1
	s_delay_alu instid0(SALU_CYCLE_1)
	s_or_b32 exec_lo, exec_lo, s18
	v_cmp_lt_u64_e64 s0, s[2:3], v[36:37]
	v_mov_b32_e32 v36, 0
	s_and_saveexec_b32 s18, s0
	s_cbranch_execz .LBB259_1478
; %bb.1471:                             ;   in Loop: Header=BB259_819 Depth=1
	v_lshrrev_b32_e32 v6, 24, v37
	v_bfrev_b32_e32 v36, 1
	s_mov_b32 s19, exec_lo
	s_delay_alu instid0(VALU_DEP_2)
	v_cmpx_ne_u32_e32 0x80, v6
	s_cbranch_execz .LBB259_1477
; %bb.1472:                             ;   in Loop: Header=BB259_819 Depth=1
	v_and_b32_e32 v48, 0x7f, v6
	v_mov_b32_e32 v36, 0x7c010000
	s_mov_b32 s20, exec_lo
	s_delay_alu instid0(VALU_DEP_2)
	v_cmpx_ne_u32_e32 0x7f, v48
	s_cbranch_execz .LBB259_1476
; %bb.1473:                             ;   in Loop: Header=BB259_819 Depth=1
	v_dual_lshrrev_b32 v37, 3, v48 :: v_dual_bitop2_b32 v36, 7, v6 bitop3:0x40
	s_mov_b32 s21, exec_lo
	v_cmpx_gt_u32_e32 8, v48
; %bb.1474:                             ;   in Loop: Header=BB259_819 Depth=1
	s_delay_alu instid0(VALU_DEP_2) | instskip(NEXT) | instid1(VALU_DEP_1)
	v_clz_i32_u32_e32 v36, v36
	v_min_u32_e32 v48, 32, v36
	s_delay_alu instid0(VALU_DEP_1) | instskip(NEXT) | instid1(VALU_DEP_1)
	v_subrev_nc_u32_e32 v36, 28, v48
	v_lshlrev_b64_e32 v[36:37], v36, v[6:7]
	v_sub_nc_u32_e32 v37, 29, v48
	s_delay_alu instid0(VALU_DEP_2)
	v_and_b32_e32 v36, 7, v36
; %bb.1475:                             ;   in Loop: Header=BB259_819 Depth=1
	s_or_b32 exec_lo, exec_lo, s21
	s_delay_alu instid0(VALU_DEP_1) | instskip(NEXT) | instid1(VALU_DEP_3)
	v_dual_lshlrev_b32 v6, 8, v6 :: v_dual_lshlrev_b32 v36, 23, v36
	v_lshl_add_u32 v37, v37, 10, 0x2000
	s_delay_alu instid0(VALU_DEP_1) | instskip(NEXT) | instid1(VALU_DEP_1)
	v_and_or_b32 v6, 0x8000, v6, v37
	v_lshl_or_b32 v36, v6, 16, v36
.LBB259_1476:                           ;   in Loop: Header=BB259_819 Depth=1
	s_or_b32 exec_lo, exec_lo, s20
.LBB259_1477:                           ;   in Loop: Header=BB259_819 Depth=1
	s_delay_alu instid0(SALU_CYCLE_1)
	s_or_b32 exec_lo, exec_lo, s19
.LBB259_1478:                           ;   in Loop: Header=BB259_819 Depth=1
	s_delay_alu instid0(SALU_CYCLE_1) | instskip(SKIP_4) | instid1(VALU_DEP_4)
	s_or_b32 exec_lo, exec_lo, s18
	v_dual_lshrrev_b32 v6, 16, v0 :: v_dual_lshrrev_b32 v37, 16, v9
	v_or_b32_e32 v48, v0, v1
	v_or_b32_e32 v9, v9, v19
	v_lshrrev_b32_e32 v19, 16, v39
	v_cvt_f32_f16_e32 v1, v6
	v_cvt_f32_f16_e32 v0, v37
	v_dual_lshrrev_b32 v38, 16, v36 :: v_dual_bitop2_b32 v6, v36, v38 bitop3:0x54
	v_cvt_f32_f16_e32 v36, v9
	v_cvt_f32_f16_e32 v37, v48
	s_wait_loadcnt_dscnt 0x0
	v_pk_mul_f32 v[0:1], v[28:29], v[0:1] op_sel_hi:[0,1]
	v_cvt_f32_f16_e32 v48, v6
	v_cvt_f32_f16_e32 v38, v38
	v_pk_mul_f32 v[36:37], v[28:29], v[36:37] op_sel_hi:[0,1]
	s_delay_alu instid0(VALU_DEP_4) | instskip(SKIP_2) | instid1(VALU_DEP_2)
	v_cvt_pk_f16_f32 v6, v0, v1
	v_or_b32_e32 v9, v39, v29
	v_cvt_f32_f16_e32 v39, v19
	v_cvt_f32_f16_e32 v49, v9
	s_delay_alu instid0(VALU_DEP_2) | instskip(SKIP_2) | instid1(VALU_DEP_4)
	v_pk_mul_f32 v[0:1], v[28:29], v[38:39] op_sel_hi:[0,1]
	v_cvt_pk_f16_f32 v9, v36, v37
	v_lshlrev_b32_e32 v36, 16, v6
	v_pk_mul_f32 v[38:39], v[28:29], v[48:49] op_sel_hi:[0,1]
	s_delay_alu instid0(VALU_DEP_4)
	v_cvt_pk_f16_f32 v0, v0, v1
	v_and_b32_e32 v29, 0xffff0000, v6
	v_lshrrev_b32_e32 v49, 16, v9
	v_and_b32_e32 v50, 0xffff, v9
	v_cvt_pk_f16_f32 v1, v38, v39
	v_and_b32_e32 v9, 0xffff0000, v0
	s_delay_alu instid0(VALU_DEP_4) | instskip(NEXT) | instid1(VALU_DEP_3)
	v_dual_lshlrev_b32 v6, 16, v0 :: v_dual_bitop2_b32 v39, v29, v49 bitop3:0x54
	v_dual_lshrrev_b32 v19, 16, v1 :: v_dual_bitop2_b32 v48, v36, v50 bitop3:0x54
	v_and_b32_e32 v28, 0xffff, v1
	s_delay_alu instid0(VALU_DEP_2) | instskip(NEXT) | instid1(VALU_DEP_2)
	v_or_b32_e32 v37, v9, v19
	v_or_b32_e32 v38, v6, v28
	s_and_saveexec_b32 s18, vcc_lo
	s_cbranch_execz .LBB259_1480
; %bb.1479:                             ;   in Loop: Header=BB259_819 Depth=1
	v_cmp_lt_i32_e64 s0, v83, v13
	s_delay_alu instid0(VALU_DEP_1) | instskip(SKIP_1) | instid1(VALU_DEP_1)
	v_cndmask_b32_e64 v0, 0, v49, s0
	v_cmp_lt_i32_e64 s0, v98, v12
	v_cndmask_b32_e64 v1, 0, v50, s0
	v_cmp_lt_i32_e64 s0, v97, v13
	s_delay_alu instid0(VALU_DEP_1) | instskip(SKIP_1) | instid1(VALU_DEP_1)
	v_cndmask_b32_e64 v29, 0, v29, s0
	v_cmp_lt_i32_e64 s0, v96, v12
	v_cndmask_b32_e64 v36, 0, v36, s0
	v_cmp_lt_i32_e64 s0, v87, v13
	s_delay_alu instid0(VALU_DEP_4) | instskip(NEXT) | instid1(VALU_DEP_2)
	v_or_b32_e32 v39, v0, v29
	v_dual_cndmask_b32 v19, 0, v19, s0 :: v_dual_bitop2_b32 v48, v1, v36 bitop3:0x54
	v_cmp_lt_i32_e64 s0, v86, v12
	s_delay_alu instid0(VALU_DEP_1) | instskip(SKIP_1) | instid1(VALU_DEP_1)
	v_cndmask_b32_e64 v28, 0, v28, s0
	v_cmp_lt_i32_e64 s0, v85, v13
	v_cndmask_b32_e64 v9, 0, v9, s0
	v_cmp_lt_i32_e64 s0, v84, v12
	s_delay_alu instid0(VALU_DEP_1) | instskip(NEXT) | instid1(VALU_DEP_1)
	v_dual_cndmask_b32 v6, 0, v6, s0 :: v_dual_bitop2_b32 v37, v19, v9 bitop3:0x54
	v_or_b32_e32 v38, v28, v6
.LBB259_1480:                           ;   in Loop: Header=BB259_819 Depth=1
	s_or_b32 exec_lo, exec_lo, s18
	;;#ASMSTART
	v_pk_mul_f16 v0, v99, v39;

	;;#ASMEND
	;;#ASMSTART
	v_pk_mul_f16 v1, v53, v48;

	;;#ASMEND
	;; [unrolled: 4-line block ×4, first 2 shown]
	;;#ASMSTART
	v_pk_add_f16 v0, v0, v1;

	;;#ASMEND
	;;#ASMSTART
	v_pk_add_f16 v0, v0, v6;

	;;#ASMEND
	;; [unrolled: 4-line block ×3, first 2 shown]
	v_and_b32_e32 v1, 0xffff, v0
	v_lshrrev_b32_e32 v0, 16, v0
	;;#ASMSTART
	v_cvt_f32_f16 v45, v1;
	;;#ASMEND
	v_mov_b32_e32 v1, 0
	;;#ASMSTART
	v_cvt_f32_f16 v46, v0;
	;;#ASMEND
	flat_load_b64 v[36:37], v[26:27] offset:2560
	flat_load_b32 v28, v[22:23]
	v_mov_b32_e32 v0, 0
	s_mov_b32 s18, exec_lo
	s_wait_loadcnt_dscnt 0x101
	v_and_b32_e32 v6, 0xff, v36
	s_wait_xcnt 0x0
	s_delay_alu instid0(VALU_DEP_1)
	v_cmpx_ne_u16_e32 0, v6
	s_cbranch_execz .LBB259_1488
; %bb.1481:                             ;   in Loop: Header=BB259_819 Depth=1
	v_mov_b32_e32 v1, 0x8000
	s_mov_b32 s19, exec_lo
	v_cmpx_ne_u16_e32 0x80, v6
	s_cbranch_execz .LBB259_1487
; %bb.1482:                             ;   in Loop: Header=BB259_819 Depth=1
	v_and_b32_e32 v9, 0x7f, v36
	v_mov_b32_e32 v1, 0x7c01
	s_mov_b32 s20, exec_lo
	s_delay_alu instid0(VALU_DEP_2)
	v_cmpx_ne_u32_e32 0x7f, v9
	s_cbranch_execz .LBB259_1486
; %bb.1483:                             ;   in Loop: Header=BB259_819 Depth=1
	v_dual_lshrrev_b32 v6, 3, v9 :: v_dual_bitop2_b32 v1, 7, v36 bitop3:0x40
	s_mov_b32 s21, exec_lo
	v_cmpx_gt_u32_e32 8, v9
; %bb.1484:                             ;   in Loop: Header=BB259_819 Depth=1
	s_delay_alu instid0(VALU_DEP_2) | instskip(NEXT) | instid1(VALU_DEP_1)
	v_clz_i32_u32_e32 v1, v1
	v_min_u32_e32 v1, 32, v1
	s_delay_alu instid0(VALU_DEP_1) | instskip(NEXT) | instid1(VALU_DEP_1)
	v_subrev_nc_u32_e32 v6, 28, v1
	v_lshlrev_b64_e32 v[38:39], v6, v[36:37]
	s_delay_alu instid0(VALU_DEP_1)
	v_dual_sub_nc_u32 v6, 29, v1 :: v_dual_bitop2_b32 v1, 7, v38 bitop3:0x40
; %bb.1485:                             ;   in Loop: Header=BB259_819 Depth=1
	s_or_b32 exec_lo, exec_lo, s21
	s_delay_alu instid0(VALU_DEP_1) | instskip(NEXT) | instid1(VALU_DEP_2)
	v_dual_lshlrev_b32 v9, 8, v36 :: v_dual_lshlrev_b32 v1, 7, v1
	v_lshl_add_u32 v6, v6, 10, 0x2000
	s_delay_alu instid0(VALU_DEP_2) | instskip(NEXT) | instid1(VALU_DEP_2)
	v_and_b32_e32 v9, 0x8000, v9
	v_and_b32_e32 v6, 0xfc00, v6
	s_delay_alu instid0(VALU_DEP_1)
	v_or3_b32 v1, v9, v6, v1
.LBB259_1486:                           ;   in Loop: Header=BB259_819 Depth=1
	s_or_b32 exec_lo, exec_lo, s20
.LBB259_1487:                           ;   in Loop: Header=BB259_819 Depth=1
	s_delay_alu instid0(SALU_CYCLE_1)
	s_or_b32 exec_lo, exec_lo, s19
.LBB259_1488:                           ;   in Loop: Header=BB259_819 Depth=1
	s_delay_alu instid0(SALU_CYCLE_1) | instskip(SKIP_2) | instid1(VALU_DEP_1)
	s_or_b32 exec_lo, exec_lo, s18
	v_lshrrev_b16 v6, 8, v36
	s_mov_b32 s18, exec_lo
	v_cmpx_ne_u16_e32 0, v6
	s_cbranch_execz .LBB259_1496
; %bb.1489:                             ;   in Loop: Header=BB259_819 Depth=1
	v_bfrev_b32_e32 v0, 1
	s_mov_b32 s19, exec_lo
	v_cmpx_ne_u16_e32 0x80, v6
	s_cbranch_execz .LBB259_1495
; %bb.1490:                             ;   in Loop: Header=BB259_819 Depth=1
	v_and_b32_e32 v9, 0xffff, v6
	v_mov_b32_e32 v0, 0x7c010000
	s_mov_b32 s20, exec_lo
	s_delay_alu instid0(VALU_DEP_2) | instskip(NEXT) | instid1(VALU_DEP_1)
	v_and_b32_e32 v29, 0x7f, v9
	v_cmpx_ne_u32_e32 0x7f, v29
	s_cbranch_execz .LBB259_1494
; %bb.1491:                             ;   in Loop: Header=BB259_819 Depth=1
	v_and_b32_e32 v0, 7, v9
	v_lshrrev_b32_e32 v19, 3, v29
	s_mov_b32 s21, exec_lo
	v_cmpx_gt_u32_e32 8, v29
; %bb.1492:                             ;   in Loop: Header=BB259_819 Depth=1
	s_delay_alu instid0(VALU_DEP_3) | instskip(NEXT) | instid1(VALU_DEP_1)
	v_clz_i32_u32_e32 v0, v0
	v_min_u32_e32 v0, 32, v0
	s_delay_alu instid0(VALU_DEP_1) | instskip(NEXT) | instid1(VALU_DEP_1)
	v_subrev_nc_u32_e32 v19, 28, v0
	v_lshlrev_b64_e32 v[38:39], v19, v[6:7]
	s_delay_alu instid0(VALU_DEP_1)
	v_dual_sub_nc_u32 v19, 29, v0 :: v_dual_bitop2_b32 v0, 7, v38 bitop3:0x40
; %bb.1493:                             ;   in Loop: Header=BB259_819 Depth=1
	s_or_b32 exec_lo, exec_lo, s21
	s_delay_alu instid0(VALU_DEP_1) | instskip(NEXT) | instid1(VALU_DEP_2)
	v_dual_lshlrev_b32 v6, 8, v9 :: v_dual_lshlrev_b32 v0, 23, v0
	v_lshl_add_u32 v9, v19, 10, 0x2000
	s_delay_alu instid0(VALU_DEP_1) | instskip(NEXT) | instid1(VALU_DEP_1)
	v_and_or_b32 v6, 0x8000, v6, v9
	v_lshl_or_b32 v0, v6, 16, v0
.LBB259_1494:                           ;   in Loop: Header=BB259_819 Depth=1
	s_or_b32 exec_lo, exec_lo, s20
.LBB259_1495:                           ;   in Loop: Header=BB259_819 Depth=1
	s_delay_alu instid0(SALU_CYCLE_1)
	s_or_b32 exec_lo, exec_lo, s19
.LBB259_1496:                           ;   in Loop: Header=BB259_819 Depth=1
	s_delay_alu instid0(SALU_CYCLE_1) | instskip(SKIP_3) | instid1(VALU_DEP_2)
	s_or_b32 exec_lo, exec_lo, s18
	v_dual_mov_b32 v9, 0 :: v_dual_lshrrev_b32 v6, 16, v36
	v_mov_b32_e32 v19, 0
	s_mov_b32 s18, exec_lo
	v_and_b32_e32 v29, 0xff, v6
	s_delay_alu instid0(VALU_DEP_1)
	v_cmpx_ne_u16_e32 0, v29
	s_cbranch_execz .LBB259_1504
; %bb.1497:                             ;   in Loop: Header=BB259_819 Depth=1
	v_mov_b32_e32 v19, 0x8000
	s_mov_b32 s19, exec_lo
	v_cmpx_ne_u16_e32 0x80, v29
	s_cbranch_execz .LBB259_1503
; %bb.1498:                             ;   in Loop: Header=BB259_819 Depth=1
	v_bfe_u32 v38, v36, 16, 7
	v_mov_b32_e32 v19, 0x7c01
	s_mov_b32 s20, exec_lo
	s_delay_alu instid0(VALU_DEP_2)
	v_cmpx_ne_u32_e32 0x7f, v38
	s_cbranch_execz .LBB259_1502
; %bb.1499:                             ;   in Loop: Header=BB259_819 Depth=1
	v_and_b32_e32 v19, 7, v6
	v_lshrrev_b32_e32 v29, 3, v38
	s_mov_b32 s21, exec_lo
	v_cmpx_gt_u32_e32 8, v38
; %bb.1500:                             ;   in Loop: Header=BB259_819 Depth=1
	s_delay_alu instid0(VALU_DEP_3) | instskip(NEXT) | instid1(VALU_DEP_1)
	v_clz_i32_u32_e32 v19, v19
	v_min_u32_e32 v19, 32, v19
	s_delay_alu instid0(VALU_DEP_1) | instskip(NEXT) | instid1(VALU_DEP_1)
	v_subrev_nc_u32_e32 v29, 28, v19
	v_lshlrev_b64_e32 v[38:39], v29, v[6:7]
	s_delay_alu instid0(VALU_DEP_1)
	v_dual_sub_nc_u32 v29, 29, v19 :: v_dual_bitop2_b32 v19, 7, v38 bitop3:0x40
; %bb.1501:                             ;   in Loop: Header=BB259_819 Depth=1
	s_or_b32 exec_lo, exec_lo, s21
	s_delay_alu instid0(VALU_DEP_1) | instskip(NEXT) | instid1(VALU_DEP_2)
	v_dual_lshlrev_b32 v6, 8, v6 :: v_dual_lshlrev_b32 v19, 7, v19
	v_lshl_add_u32 v29, v29, 10, 0x2000
	s_delay_alu instid0(VALU_DEP_2) | instskip(NEXT) | instid1(VALU_DEP_2)
	v_and_b32_e32 v6, 0x8000, v6
	v_and_b32_e32 v29, 0xfc00, v29
	s_delay_alu instid0(VALU_DEP_1)
	v_or3_b32 v19, v6, v29, v19
.LBB259_1502:                           ;   in Loop: Header=BB259_819 Depth=1
	s_or_b32 exec_lo, exec_lo, s20
.LBB259_1503:                           ;   in Loop: Header=BB259_819 Depth=1
	s_delay_alu instid0(SALU_CYCLE_1)
	s_or_b32 exec_lo, exec_lo, s19
.LBB259_1504:                           ;   in Loop: Header=BB259_819 Depth=1
	s_delay_alu instid0(SALU_CYCLE_1) | instskip(NEXT) | instid1(SALU_CYCLE_1)
	s_or_b32 exec_lo, exec_lo, s18
	s_mov_b32 s18, exec_lo
	v_cmpx_lt_u32_e32 0xffffff, v36
	s_cbranch_execz .LBB259_1512
; %bb.1505:                             ;   in Loop: Header=BB259_819 Depth=1
	v_lshrrev_b32_e32 v6, 24, v36
	v_bfrev_b32_e32 v9, 1
	s_mov_b32 s19, exec_lo
	s_delay_alu instid0(VALU_DEP_2)
	v_cmpx_ne_u32_e32 0x80, v6
	s_cbranch_execz .LBB259_1511
; %bb.1506:                             ;   in Loop: Header=BB259_819 Depth=1
	v_and_b32_e32 v38, 0x7f, v6
	v_mov_b32_e32 v9, 0x7c010000
	s_mov_b32 s20, exec_lo
	s_delay_alu instid0(VALU_DEP_2)
	v_cmpx_ne_u32_e32 0x7f, v38
	s_cbranch_execz .LBB259_1510
; %bb.1507:                             ;   in Loop: Header=BB259_819 Depth=1
	v_and_b32_e32 v9, 7, v6
	v_lshrrev_b32_e32 v29, 3, v38
	s_mov_b32 s21, exec_lo
	v_cmpx_gt_u32_e32 8, v38
; %bb.1508:                             ;   in Loop: Header=BB259_819 Depth=1
	s_delay_alu instid0(VALU_DEP_3) | instskip(NEXT) | instid1(VALU_DEP_1)
	v_clz_i32_u32_e32 v9, v9
	v_min_u32_e32 v9, 32, v9
	s_delay_alu instid0(VALU_DEP_1) | instskip(NEXT) | instid1(VALU_DEP_1)
	v_subrev_nc_u32_e32 v29, 28, v9
	v_lshlrev_b64_e32 v[38:39], v29, v[6:7]
	s_delay_alu instid0(VALU_DEP_1)
	v_dual_sub_nc_u32 v29, 29, v9 :: v_dual_bitop2_b32 v9, 7, v38 bitop3:0x40
; %bb.1509:                             ;   in Loop: Header=BB259_819 Depth=1
	s_or_b32 exec_lo, exec_lo, s21
	s_delay_alu instid0(VALU_DEP_1) | instskip(NEXT) | instid1(VALU_DEP_2)
	v_dual_lshlrev_b32 v6, 8, v6 :: v_dual_lshlrev_b32 v9, 23, v9
	v_lshl_add_u32 v29, v29, 10, 0x2000
	s_delay_alu instid0(VALU_DEP_1) | instskip(NEXT) | instid1(VALU_DEP_1)
	v_and_or_b32 v6, 0x8000, v6, v29
	v_lshl_or_b32 v9, v6, 16, v9
.LBB259_1510:                           ;   in Loop: Header=BB259_819 Depth=1
	s_or_b32 exec_lo, exec_lo, s20
.LBB259_1511:                           ;   in Loop: Header=BB259_819 Depth=1
	s_delay_alu instid0(SALU_CYCLE_1)
	s_or_b32 exec_lo, exec_lo, s19
.LBB259_1512:                           ;   in Loop: Header=BB259_819 Depth=1
	s_delay_alu instid0(SALU_CYCLE_1) | instskip(SKIP_4) | instid1(VALU_DEP_3)
	s_or_b32 exec_lo, exec_lo, s18
	v_and_b32_e32 v39, 0xff, v37
	v_dual_mov_b32 v6, v37 :: v_dual_mov_b32 v38, 0
	v_mov_b32_e32 v29, 0
	s_mov_b32 s18, exec_lo
	v_cmpx_ne_u16_e32 0, v39
	s_cbranch_execz .LBB259_1520
; %bb.1513:                             ;   in Loop: Header=BB259_819 Depth=1
	v_mov_b32_e32 v29, 0x8000
	s_mov_b32 s19, exec_lo
	v_cmpx_ne_u16_e32 0x80, v39
	s_cbranch_execz .LBB259_1519
; %bb.1514:                             ;   in Loop: Header=BB259_819 Depth=1
	v_and_b32_e32 v48, 0x7f, v37
	v_mov_b32_e32 v29, 0x7c01
	s_mov_b32 s20, exec_lo
	s_delay_alu instid0(VALU_DEP_2)
	v_cmpx_ne_u32_e32 0x7f, v48
	s_cbranch_execz .LBB259_1518
; %bb.1515:                             ;   in Loop: Header=BB259_819 Depth=1
	v_dual_lshrrev_b32 v39, 3, v48 :: v_dual_bitop2_b32 v29, 7, v37 bitop3:0x40
	s_mov_b32 s21, exec_lo
	v_cmpx_gt_u32_e32 8, v48
; %bb.1516:                             ;   in Loop: Header=BB259_819 Depth=1
	s_delay_alu instid0(VALU_DEP_2) | instskip(NEXT) | instid1(VALU_DEP_1)
	v_clz_i32_u32_e32 v29, v29
	v_min_u32_e32 v29, 32, v29
	s_delay_alu instid0(VALU_DEP_1) | instskip(NEXT) | instid1(VALU_DEP_1)
	v_subrev_nc_u32_e32 v39, 28, v29
	v_lshlrev_b64_e32 v[48:49], v39, v[6:7]
	s_delay_alu instid0(VALU_DEP_1)
	v_dual_sub_nc_u32 v39, 29, v29 :: v_dual_bitop2_b32 v29, 7, v48 bitop3:0x40
; %bb.1517:                             ;   in Loop: Header=BB259_819 Depth=1
	s_or_b32 exec_lo, exec_lo, s21
	v_lshlrev_b32_e32 v48, 8, v37
	s_delay_alu instid0(VALU_DEP_2) | instskip(NEXT) | instid1(VALU_DEP_3)
	v_lshl_add_u32 v39, v39, 10, 0x2000
	v_lshlrev_b32_e32 v29, 7, v29
	s_delay_alu instid0(VALU_DEP_3) | instskip(NEXT) | instid1(VALU_DEP_3)
	v_and_b32_e32 v48, 0x8000, v48
	v_and_b32_e32 v39, 0xfc00, v39
	s_delay_alu instid0(VALU_DEP_1)
	v_or3_b32 v29, v48, v39, v29
.LBB259_1518:                           ;   in Loop: Header=BB259_819 Depth=1
	s_or_b32 exec_lo, exec_lo, s20
.LBB259_1519:                           ;   in Loop: Header=BB259_819 Depth=1
	s_delay_alu instid0(SALU_CYCLE_1)
	s_or_b32 exec_lo, exec_lo, s19
.LBB259_1520:                           ;   in Loop: Header=BB259_819 Depth=1
	s_delay_alu instid0(SALU_CYCLE_1) | instskip(SKIP_3) | instid1(VALU_DEP_2)
	s_or_b32 exec_lo, exec_lo, s18
	v_lshrrev_b16 v6, 8, v6
	v_mov_b32_e32 v39, 0
	s_mov_b32 s18, exec_lo
	v_cmpx_ne_u16_e32 0, v6
	s_cbranch_execz .LBB259_1528
; %bb.1521:                             ;   in Loop: Header=BB259_819 Depth=1
	v_bfrev_b32_e32 v39, 1
	s_mov_b32 s19, exec_lo
	v_cmpx_ne_u16_e32 0x80, v6
	s_cbranch_execz .LBB259_1527
; %bb.1522:                             ;   in Loop: Header=BB259_819 Depth=1
	v_and_b32_e32 v48, 0xffff, v6
	v_mov_b32_e32 v39, 0x7c010000
	s_mov_b32 s20, exec_lo
	s_delay_alu instid0(VALU_DEP_2) | instskip(NEXT) | instid1(VALU_DEP_1)
	v_and_b32_e32 v50, 0x7f, v48
	v_cmpx_ne_u32_e32 0x7f, v50
	s_cbranch_execz .LBB259_1526
; %bb.1523:                             ;   in Loop: Header=BB259_819 Depth=1
	v_dual_lshrrev_b32 v49, 3, v50 :: v_dual_bitop2_b32 v39, 7, v48 bitop3:0x40
	s_mov_b32 s21, exec_lo
	v_cmpx_gt_u32_e32 8, v50
; %bb.1524:                             ;   in Loop: Header=BB259_819 Depth=1
	s_delay_alu instid0(VALU_DEP_2) | instskip(NEXT) | instid1(VALU_DEP_1)
	v_clz_i32_u32_e32 v39, v39
	v_min_u32_e32 v39, 32, v39
	s_delay_alu instid0(VALU_DEP_1) | instskip(NEXT) | instid1(VALU_DEP_1)
	v_subrev_nc_u32_e32 v49, 28, v39
	v_lshlrev_b64_e32 v[56:57], v49, v[6:7]
	s_delay_alu instid0(VALU_DEP_1)
	v_dual_sub_nc_u32 v49, 29, v39 :: v_dual_bitop2_b32 v39, 7, v56 bitop3:0x40
; %bb.1525:                             ;   in Loop: Header=BB259_819 Depth=1
	s_or_b32 exec_lo, exec_lo, s21
	s_delay_alu instid0(VALU_DEP_1) | instskip(NEXT) | instid1(VALU_DEP_2)
	v_dual_lshlrev_b32 v6, 8, v48 :: v_dual_lshlrev_b32 v39, 23, v39
	v_lshl_add_u32 v48, v49, 10, 0x2000
	s_delay_alu instid0(VALU_DEP_1) | instskip(NEXT) | instid1(VALU_DEP_1)
	v_and_or_b32 v6, 0x8000, v6, v48
	v_lshl_or_b32 v39, v6, 16, v39
.LBB259_1526:                           ;   in Loop: Header=BB259_819 Depth=1
	s_or_b32 exec_lo, exec_lo, s20
.LBB259_1527:                           ;   in Loop: Header=BB259_819 Depth=1
	s_delay_alu instid0(SALU_CYCLE_1)
	s_or_b32 exec_lo, exec_lo, s19
.LBB259_1528:                           ;   in Loop: Header=BB259_819 Depth=1
	s_delay_alu instid0(SALU_CYCLE_1) | instskip(SKIP_2) | instid1(VALU_DEP_1)
	s_or_b32 exec_lo, exec_lo, s18
	v_lshrrev_b32_e32 v6, 16, v37
	s_mov_b32 s18, exec_lo
	v_and_b32_e32 v48, 0xff, v6
	s_delay_alu instid0(VALU_DEP_1)
	v_cmpx_ne_u16_e32 0, v48
	s_cbranch_execz .LBB259_1536
; %bb.1529:                             ;   in Loop: Header=BB259_819 Depth=1
	v_mov_b32_e32 v38, 0x8000
	s_mov_b32 s19, exec_lo
	v_cmpx_ne_u16_e32 0x80, v48
	s_cbranch_execz .LBB259_1535
; %bb.1530:                             ;   in Loop: Header=BB259_819 Depth=1
	v_bfe_u32 v49, v37, 16, 7
	v_mov_b32_e32 v38, 0x7c01
	s_mov_b32 s20, exec_lo
	s_delay_alu instid0(VALU_DEP_2)
	v_cmpx_ne_u32_e32 0x7f, v49
	s_cbranch_execz .LBB259_1534
; %bb.1531:                             ;   in Loop: Header=BB259_819 Depth=1
	v_dual_lshrrev_b32 v48, 3, v49 :: v_dual_bitop2_b32 v38, 7, v6 bitop3:0x40
	s_mov_b32 s21, exec_lo
	v_cmpx_gt_u32_e32 8, v49
; %bb.1532:                             ;   in Loop: Header=BB259_819 Depth=1
	s_delay_alu instid0(VALU_DEP_2) | instskip(NEXT) | instid1(VALU_DEP_1)
	v_clz_i32_u32_e32 v38, v38
	v_min_u32_e32 v38, 32, v38
	s_delay_alu instid0(VALU_DEP_1) | instskip(NEXT) | instid1(VALU_DEP_1)
	v_subrev_nc_u32_e32 v48, 28, v38
	v_lshlrev_b64_e32 v[56:57], v48, v[6:7]
	s_delay_alu instid0(VALU_DEP_1)
	v_dual_sub_nc_u32 v48, 29, v38 :: v_dual_bitop2_b32 v38, 7, v56 bitop3:0x40
; %bb.1533:                             ;   in Loop: Header=BB259_819 Depth=1
	s_or_b32 exec_lo, exec_lo, s21
	v_lshlrev_b32_e32 v6, 8, v6
	s_delay_alu instid0(VALU_DEP_2) | instskip(NEXT) | instid1(VALU_DEP_3)
	v_lshl_add_u32 v48, v48, 10, 0x2000
	v_lshlrev_b32_e32 v38, 7, v38
	s_delay_alu instid0(VALU_DEP_3) | instskip(NEXT) | instid1(VALU_DEP_3)
	v_and_b32_e32 v6, 0x8000, v6
	v_and_b32_e32 v48, 0xfc00, v48
	s_delay_alu instid0(VALU_DEP_1)
	v_or3_b32 v38, v6, v48, v38
.LBB259_1534:                           ;   in Loop: Header=BB259_819 Depth=1
	s_or_b32 exec_lo, exec_lo, s20
.LBB259_1535:                           ;   in Loop: Header=BB259_819 Depth=1
	s_delay_alu instid0(SALU_CYCLE_1)
	s_or_b32 exec_lo, exec_lo, s19
.LBB259_1536:                           ;   in Loop: Header=BB259_819 Depth=1
	s_delay_alu instid0(SALU_CYCLE_1)
	s_or_b32 exec_lo, exec_lo, s18
	v_cmp_lt_u64_e64 s0, s[2:3], v[36:37]
	v_mov_b32_e32 v36, 0
	s_and_saveexec_b32 s18, s0
	s_cbranch_execz .LBB259_1544
; %bb.1537:                             ;   in Loop: Header=BB259_819 Depth=1
	v_lshrrev_b32_e32 v6, 24, v37
	v_bfrev_b32_e32 v36, 1
	s_mov_b32 s19, exec_lo
	s_delay_alu instid0(VALU_DEP_2)
	v_cmpx_ne_u32_e32 0x80, v6
	s_cbranch_execz .LBB259_1543
; %bb.1538:                             ;   in Loop: Header=BB259_819 Depth=1
	v_and_b32_e32 v48, 0x7f, v6
	v_mov_b32_e32 v36, 0x7c010000
	s_mov_b32 s20, exec_lo
	s_delay_alu instid0(VALU_DEP_2)
	v_cmpx_ne_u32_e32 0x7f, v48
	s_cbranch_execz .LBB259_1542
; %bb.1539:                             ;   in Loop: Header=BB259_819 Depth=1
	v_dual_lshrrev_b32 v37, 3, v48 :: v_dual_bitop2_b32 v36, 7, v6 bitop3:0x40
	s_mov_b32 s21, exec_lo
	v_cmpx_gt_u32_e32 8, v48
; %bb.1540:                             ;   in Loop: Header=BB259_819 Depth=1
	s_delay_alu instid0(VALU_DEP_2) | instskip(NEXT) | instid1(VALU_DEP_1)
	v_clz_i32_u32_e32 v36, v36
	v_min_u32_e32 v48, 32, v36
	s_delay_alu instid0(VALU_DEP_1) | instskip(NEXT) | instid1(VALU_DEP_1)
	v_subrev_nc_u32_e32 v36, 28, v48
	v_lshlrev_b64_e32 v[36:37], v36, v[6:7]
	v_sub_nc_u32_e32 v37, 29, v48
	s_delay_alu instid0(VALU_DEP_2)
	v_and_b32_e32 v36, 7, v36
; %bb.1541:                             ;   in Loop: Header=BB259_819 Depth=1
	s_or_b32 exec_lo, exec_lo, s21
	s_delay_alu instid0(VALU_DEP_1) | instskip(NEXT) | instid1(VALU_DEP_3)
	v_dual_lshlrev_b32 v6, 8, v6 :: v_dual_lshlrev_b32 v36, 23, v36
	v_lshl_add_u32 v37, v37, 10, 0x2000
	s_delay_alu instid0(VALU_DEP_1) | instskip(NEXT) | instid1(VALU_DEP_1)
	v_and_or_b32 v6, 0x8000, v6, v37
	v_lshl_or_b32 v36, v6, 16, v36
.LBB259_1542:                           ;   in Loop: Header=BB259_819 Depth=1
	s_or_b32 exec_lo, exec_lo, s20
.LBB259_1543:                           ;   in Loop: Header=BB259_819 Depth=1
	s_delay_alu instid0(SALU_CYCLE_1)
	s_or_b32 exec_lo, exec_lo, s19
.LBB259_1544:                           ;   in Loop: Header=BB259_819 Depth=1
	s_delay_alu instid0(SALU_CYCLE_1) | instskip(SKIP_4) | instid1(VALU_DEP_4)
	s_or_b32 exec_lo, exec_lo, s18
	v_dual_lshrrev_b32 v6, 16, v0 :: v_dual_lshrrev_b32 v37, 16, v9
	v_or_b32_e32 v48, v0, v1
	v_or_b32_e32 v9, v9, v19
	v_lshrrev_b32_e32 v19, 16, v39
	v_cvt_f32_f16_e32 v1, v6
	v_cvt_f32_f16_e32 v0, v37
	v_dual_lshrrev_b32 v38, 16, v36 :: v_dual_bitop2_b32 v6, v36, v38 bitop3:0x54
	v_cvt_f32_f16_e32 v36, v9
	v_cvt_f32_f16_e32 v37, v48
	s_wait_loadcnt_dscnt 0x0
	v_pk_mul_f32 v[0:1], v[28:29], v[0:1] op_sel_hi:[0,1]
	v_cvt_f32_f16_e32 v48, v6
	v_cvt_f32_f16_e32 v38, v38
	v_pk_mul_f32 v[36:37], v[28:29], v[36:37] op_sel_hi:[0,1]
	s_delay_alu instid0(VALU_DEP_4) | instskip(SKIP_2) | instid1(VALU_DEP_2)
	v_cvt_pk_f16_f32 v6, v0, v1
	v_or_b32_e32 v9, v39, v29
	v_cvt_f32_f16_e32 v39, v19
	v_cvt_f32_f16_e32 v49, v9
	s_delay_alu instid0(VALU_DEP_2) | instskip(SKIP_2) | instid1(VALU_DEP_4)
	v_pk_mul_f32 v[0:1], v[28:29], v[38:39] op_sel_hi:[0,1]
	v_cvt_pk_f16_f32 v9, v36, v37
	v_lshlrev_b32_e32 v36, 16, v6
	v_pk_mul_f32 v[38:39], v[28:29], v[48:49] op_sel_hi:[0,1]
	s_delay_alu instid0(VALU_DEP_4)
	v_cvt_pk_f16_f32 v0, v0, v1
	v_and_b32_e32 v29, 0xffff0000, v6
	v_lshrrev_b32_e32 v49, 16, v9
	v_and_b32_e32 v50, 0xffff, v9
	v_cvt_pk_f16_f32 v1, v38, v39
	v_and_b32_e32 v9, 0xffff0000, v0
	s_delay_alu instid0(VALU_DEP_4) | instskip(NEXT) | instid1(VALU_DEP_3)
	v_dual_lshlrev_b32 v6, 16, v0 :: v_dual_bitop2_b32 v39, v29, v49 bitop3:0x54
	v_dual_lshrrev_b32 v19, 16, v1 :: v_dual_bitop2_b32 v48, v36, v50 bitop3:0x54
	v_and_b32_e32 v28, 0xffff, v1
	s_delay_alu instid0(VALU_DEP_2) | instskip(NEXT) | instid1(VALU_DEP_2)
	v_or_b32_e32 v37, v9, v19
	v_or_b32_e32 v38, v6, v28
	s_and_saveexec_b32 s18, vcc_lo
	s_cbranch_execz .LBB259_1546
; %bb.1545:                             ;   in Loop: Header=BB259_819 Depth=1
	v_cmp_lt_i32_e64 s0, v83, v13
	s_delay_alu instid0(VALU_DEP_1) | instskip(SKIP_1) | instid1(VALU_DEP_1)
	v_cndmask_b32_e64 v0, 0, v49, s0
	v_cmp_lt_i32_e64 s0, v98, v12
	v_cndmask_b32_e64 v1, 0, v50, s0
	v_cmp_lt_i32_e64 s0, v97, v13
	s_delay_alu instid0(VALU_DEP_1) | instskip(SKIP_1) | instid1(VALU_DEP_1)
	v_cndmask_b32_e64 v29, 0, v29, s0
	v_cmp_lt_i32_e64 s0, v96, v12
	v_cndmask_b32_e64 v36, 0, v36, s0
	v_cmp_lt_i32_e64 s0, v87, v13
	s_delay_alu instid0(VALU_DEP_4) | instskip(NEXT) | instid1(VALU_DEP_2)
	v_or_b32_e32 v39, v0, v29
	v_dual_cndmask_b32 v19, 0, v19, s0 :: v_dual_bitop2_b32 v48, v1, v36 bitop3:0x54
	v_cmp_lt_i32_e64 s0, v86, v12
	s_delay_alu instid0(VALU_DEP_1) | instskip(SKIP_1) | instid1(VALU_DEP_1)
	v_cndmask_b32_e64 v28, 0, v28, s0
	v_cmp_lt_i32_e64 s0, v85, v13
	v_cndmask_b32_e64 v9, 0, v9, s0
	v_cmp_lt_i32_e64 s0, v84, v12
	s_delay_alu instid0(VALU_DEP_1) | instskip(NEXT) | instid1(VALU_DEP_1)
	v_dual_cndmask_b32 v6, 0, v6, s0 :: v_dual_bitop2_b32 v37, v19, v9 bitop3:0x54
	v_or_b32_e32 v38, v28, v6
.LBB259_1546:                           ;   in Loop: Header=BB259_819 Depth=1
	s_or_b32 exec_lo, exec_lo, s18
	;;#ASMSTART
	v_pk_mul_f16 v0, v99, v39;

	;;#ASMEND
	;;#ASMSTART
	v_pk_mul_f16 v1, v53, v48;

	;;#ASMEND
	;; [unrolled: 4-line block ×4, first 2 shown]
	;;#ASMSTART
	v_pk_add_f16 v0, v0, v1;

	;;#ASMEND
	;;#ASMSTART
	v_pk_add_f16 v0, v0, v6;

	;;#ASMEND
	;; [unrolled: 4-line block ×3, first 2 shown]
	v_and_b32_e32 v1, 0xffff, v0
	v_lshrrev_b32_e32 v0, 16, v0
	;;#ASMSTART
	v_cvt_f32_f16 v49, v1;
	;;#ASMEND
	v_mov_b32_e32 v1, 0
	;;#ASMSTART
	v_cvt_f32_f16 v50, v0;
	;;#ASMEND
	flat_load_b64 v[28:29], v[26:27] offset:2816
	flat_load_b32 v26, v[22:23]
	v_mov_b32_e32 v0, 0
	s_mov_b32 s18, exec_lo
	s_wait_loadcnt_dscnt 0x101
	v_and_b32_e32 v6, 0xff, v28
	s_wait_xcnt 0x0
	s_delay_alu instid0(VALU_DEP_1)
	v_cmpx_ne_u16_e32 0, v6
	s_cbranch_execz .LBB259_1554
; %bb.1547:                             ;   in Loop: Header=BB259_819 Depth=1
	v_mov_b32_e32 v1, 0x8000
	s_mov_b32 s19, exec_lo
	v_cmpx_ne_u16_e32 0x80, v6
	s_cbranch_execz .LBB259_1553
; %bb.1548:                             ;   in Loop: Header=BB259_819 Depth=1
	v_and_b32_e32 v9, 0x7f, v28
	v_mov_b32_e32 v1, 0x7c01
	s_mov_b32 s20, exec_lo
	s_delay_alu instid0(VALU_DEP_2)
	v_cmpx_ne_u32_e32 0x7f, v9
	s_cbranch_execz .LBB259_1552
; %bb.1549:                             ;   in Loop: Header=BB259_819 Depth=1
	v_dual_lshrrev_b32 v6, 3, v9 :: v_dual_bitop2_b32 v1, 7, v28 bitop3:0x40
	s_mov_b32 s21, exec_lo
	v_cmpx_gt_u32_e32 8, v9
; %bb.1550:                             ;   in Loop: Header=BB259_819 Depth=1
	s_delay_alu instid0(VALU_DEP_2) | instskip(NEXT) | instid1(VALU_DEP_1)
	v_clz_i32_u32_e32 v1, v1
	v_min_u32_e32 v1, 32, v1
	s_delay_alu instid0(VALU_DEP_1) | instskip(NEXT) | instid1(VALU_DEP_1)
	v_subrev_nc_u32_e32 v6, 28, v1
	v_lshlrev_b64_e32 v[36:37], v6, v[28:29]
	s_delay_alu instid0(VALU_DEP_1)
	v_dual_sub_nc_u32 v6, 29, v1 :: v_dual_bitop2_b32 v1, 7, v36 bitop3:0x40
; %bb.1551:                             ;   in Loop: Header=BB259_819 Depth=1
	s_or_b32 exec_lo, exec_lo, s21
	s_delay_alu instid0(VALU_DEP_1) | instskip(NEXT) | instid1(VALU_DEP_2)
	v_dual_lshlrev_b32 v9, 8, v28 :: v_dual_lshlrev_b32 v1, 7, v1
	v_lshl_add_u32 v6, v6, 10, 0x2000
	s_delay_alu instid0(VALU_DEP_2) | instskip(NEXT) | instid1(VALU_DEP_2)
	v_and_b32_e32 v9, 0x8000, v9
	v_and_b32_e32 v6, 0xfc00, v6
	s_delay_alu instid0(VALU_DEP_1)
	v_or3_b32 v1, v9, v6, v1
.LBB259_1552:                           ;   in Loop: Header=BB259_819 Depth=1
	s_or_b32 exec_lo, exec_lo, s20
.LBB259_1553:                           ;   in Loop: Header=BB259_819 Depth=1
	s_delay_alu instid0(SALU_CYCLE_1)
	s_or_b32 exec_lo, exec_lo, s19
.LBB259_1554:                           ;   in Loop: Header=BB259_819 Depth=1
	s_delay_alu instid0(SALU_CYCLE_1) | instskip(SKIP_2) | instid1(VALU_DEP_1)
	s_or_b32 exec_lo, exec_lo, s18
	v_lshrrev_b16 v6, 8, v28
	s_mov_b32 s18, exec_lo
	v_cmpx_ne_u16_e32 0, v6
	s_cbranch_execz .LBB259_1562
; %bb.1555:                             ;   in Loop: Header=BB259_819 Depth=1
	v_bfrev_b32_e32 v0, 1
	s_mov_b32 s19, exec_lo
	v_cmpx_ne_u16_e32 0x80, v6
	s_cbranch_execz .LBB259_1561
; %bb.1556:                             ;   in Loop: Header=BB259_819 Depth=1
	v_and_b32_e32 v9, 0xffff, v6
	v_mov_b32_e32 v0, 0x7c010000
	s_mov_b32 s20, exec_lo
	s_delay_alu instid0(VALU_DEP_2) | instskip(NEXT) | instid1(VALU_DEP_1)
	v_and_b32_e32 v27, 0x7f, v9
	v_cmpx_ne_u32_e32 0x7f, v27
	s_cbranch_execz .LBB259_1560
; %bb.1557:                             ;   in Loop: Header=BB259_819 Depth=1
	v_dual_lshrrev_b32 v19, 3, v27 :: v_dual_bitop2_b32 v0, 7, v9 bitop3:0x40
	s_mov_b32 s21, exec_lo
	v_cmpx_gt_u32_e32 8, v27
; %bb.1558:                             ;   in Loop: Header=BB259_819 Depth=1
	s_delay_alu instid0(VALU_DEP_2) | instskip(NEXT) | instid1(VALU_DEP_1)
	v_clz_i32_u32_e32 v0, v0
	v_min_u32_e32 v0, 32, v0
	s_delay_alu instid0(VALU_DEP_1) | instskip(NEXT) | instid1(VALU_DEP_1)
	v_subrev_nc_u32_e32 v19, 28, v0
	v_lshlrev_b64_e32 v[36:37], v19, v[6:7]
	v_sub_nc_u32_e32 v19, 29, v0
	s_delay_alu instid0(VALU_DEP_2)
	v_and_b32_e32 v0, 7, v36
; %bb.1559:                             ;   in Loop: Header=BB259_819 Depth=1
	s_or_b32 exec_lo, exec_lo, s21
	s_delay_alu instid0(VALU_DEP_1) | instskip(NEXT) | instid1(VALU_DEP_3)
	v_dual_lshlrev_b32 v6, 8, v9 :: v_dual_lshlrev_b32 v0, 23, v0
	v_lshl_add_u32 v9, v19, 10, 0x2000
	s_delay_alu instid0(VALU_DEP_1) | instskip(NEXT) | instid1(VALU_DEP_1)
	v_and_or_b32 v6, 0x8000, v6, v9
	v_lshl_or_b32 v0, v6, 16, v0
.LBB259_1560:                           ;   in Loop: Header=BB259_819 Depth=1
	s_or_b32 exec_lo, exec_lo, s20
.LBB259_1561:                           ;   in Loop: Header=BB259_819 Depth=1
	s_delay_alu instid0(SALU_CYCLE_1)
	s_or_b32 exec_lo, exec_lo, s19
.LBB259_1562:                           ;   in Loop: Header=BB259_819 Depth=1
	s_delay_alu instid0(SALU_CYCLE_1) | instskip(SKIP_3) | instid1(VALU_DEP_2)
	s_or_b32 exec_lo, exec_lo, s18
	v_dual_mov_b32 v9, 0 :: v_dual_lshrrev_b32 v6, 16, v28
	v_mov_b32_e32 v19, 0
	s_mov_b32 s18, exec_lo
	v_and_b32_e32 v27, 0xff, v6
	s_delay_alu instid0(VALU_DEP_1)
	v_cmpx_ne_u16_e32 0, v27
	s_cbranch_execz .LBB259_1570
; %bb.1563:                             ;   in Loop: Header=BB259_819 Depth=1
	v_mov_b32_e32 v19, 0x8000
	s_mov_b32 s19, exec_lo
	v_cmpx_ne_u16_e32 0x80, v27
	s_cbranch_execz .LBB259_1569
; %bb.1564:                             ;   in Loop: Header=BB259_819 Depth=1
	v_bfe_u32 v36, v28, 16, 7
	v_mov_b32_e32 v19, 0x7c01
	s_mov_b32 s20, exec_lo
	s_delay_alu instid0(VALU_DEP_2)
	v_cmpx_ne_u32_e32 0x7f, v36
	s_cbranch_execz .LBB259_1568
; %bb.1565:                             ;   in Loop: Header=BB259_819 Depth=1
	v_dual_lshrrev_b32 v27, 3, v36 :: v_dual_bitop2_b32 v19, 7, v6 bitop3:0x40
	s_mov_b32 s21, exec_lo
	v_cmpx_gt_u32_e32 8, v36
; %bb.1566:                             ;   in Loop: Header=BB259_819 Depth=1
	s_delay_alu instid0(VALU_DEP_2) | instskip(NEXT) | instid1(VALU_DEP_1)
	v_clz_i32_u32_e32 v19, v19
	v_min_u32_e32 v19, 32, v19
	s_delay_alu instid0(VALU_DEP_1) | instskip(NEXT) | instid1(VALU_DEP_1)
	v_subrev_nc_u32_e32 v27, 28, v19
	v_lshlrev_b64_e32 v[36:37], v27, v[6:7]
	s_delay_alu instid0(VALU_DEP_1)
	v_dual_sub_nc_u32 v27, 29, v19 :: v_dual_bitop2_b32 v19, 7, v36 bitop3:0x40
; %bb.1567:                             ;   in Loop: Header=BB259_819 Depth=1
	s_or_b32 exec_lo, exec_lo, s21
	s_delay_alu instid0(VALU_DEP_1) | instskip(NEXT) | instid1(VALU_DEP_2)
	v_dual_lshlrev_b32 v6, 8, v6 :: v_dual_lshlrev_b32 v19, 7, v19
	v_lshl_add_u32 v27, v27, 10, 0x2000
	s_delay_alu instid0(VALU_DEP_2) | instskip(NEXT) | instid1(VALU_DEP_2)
	v_and_b32_e32 v6, 0x8000, v6
	v_and_b32_e32 v27, 0xfc00, v27
	s_delay_alu instid0(VALU_DEP_1)
	v_or3_b32 v19, v6, v27, v19
.LBB259_1568:                           ;   in Loop: Header=BB259_819 Depth=1
	s_or_b32 exec_lo, exec_lo, s20
.LBB259_1569:                           ;   in Loop: Header=BB259_819 Depth=1
	s_delay_alu instid0(SALU_CYCLE_1)
	s_or_b32 exec_lo, exec_lo, s19
.LBB259_1570:                           ;   in Loop: Header=BB259_819 Depth=1
	s_delay_alu instid0(SALU_CYCLE_1) | instskip(NEXT) | instid1(SALU_CYCLE_1)
	s_or_b32 exec_lo, exec_lo, s18
	s_mov_b32 s18, exec_lo
	v_cmpx_lt_u32_e32 0xffffff, v28
	s_cbranch_execz .LBB259_1578
; %bb.1571:                             ;   in Loop: Header=BB259_819 Depth=1
	v_lshrrev_b32_e32 v6, 24, v28
	v_bfrev_b32_e32 v9, 1
	s_mov_b32 s19, exec_lo
	s_delay_alu instid0(VALU_DEP_2)
	v_cmpx_ne_u32_e32 0x80, v6
	s_cbranch_execz .LBB259_1577
; %bb.1572:                             ;   in Loop: Header=BB259_819 Depth=1
	v_and_b32_e32 v36, 0x7f, v6
	v_mov_b32_e32 v9, 0x7c010000
	s_mov_b32 s20, exec_lo
	s_delay_alu instid0(VALU_DEP_2)
	v_cmpx_ne_u32_e32 0x7f, v36
	s_cbranch_execz .LBB259_1576
; %bb.1573:                             ;   in Loop: Header=BB259_819 Depth=1
	v_dual_lshrrev_b32 v27, 3, v36 :: v_dual_bitop2_b32 v9, 7, v6 bitop3:0x40
	s_mov_b32 s21, exec_lo
	v_cmpx_gt_u32_e32 8, v36
; %bb.1574:                             ;   in Loop: Header=BB259_819 Depth=1
	s_delay_alu instid0(VALU_DEP_2) | instskip(NEXT) | instid1(VALU_DEP_1)
	v_clz_i32_u32_e32 v9, v9
	v_min_u32_e32 v9, 32, v9
	s_delay_alu instid0(VALU_DEP_1) | instskip(NEXT) | instid1(VALU_DEP_1)
	v_subrev_nc_u32_e32 v27, 28, v9
	v_lshlrev_b64_e32 v[36:37], v27, v[6:7]
	s_delay_alu instid0(VALU_DEP_1)
	v_dual_sub_nc_u32 v27, 29, v9 :: v_dual_bitop2_b32 v9, 7, v36 bitop3:0x40
; %bb.1575:                             ;   in Loop: Header=BB259_819 Depth=1
	s_or_b32 exec_lo, exec_lo, s21
	s_delay_alu instid0(VALU_DEP_1) | instskip(NEXT) | instid1(VALU_DEP_2)
	v_dual_lshlrev_b32 v6, 8, v6 :: v_dual_lshlrev_b32 v9, 23, v9
	v_lshl_add_u32 v27, v27, 10, 0x2000
	s_delay_alu instid0(VALU_DEP_1) | instskip(NEXT) | instid1(VALU_DEP_1)
	v_and_or_b32 v6, 0x8000, v6, v27
	v_lshl_or_b32 v9, v6, 16, v9
.LBB259_1576:                           ;   in Loop: Header=BB259_819 Depth=1
	s_or_b32 exec_lo, exec_lo, s20
.LBB259_1577:                           ;   in Loop: Header=BB259_819 Depth=1
	s_delay_alu instid0(SALU_CYCLE_1)
	s_or_b32 exec_lo, exec_lo, s19
.LBB259_1578:                           ;   in Loop: Header=BB259_819 Depth=1
	s_delay_alu instid0(SALU_CYCLE_1) | instskip(SKIP_4) | instid1(VALU_DEP_3)
	s_or_b32 exec_lo, exec_lo, s18
	v_and_b32_e32 v37, 0xff, v29
	v_dual_mov_b32 v6, v29 :: v_dual_mov_b32 v36, 0
	v_mov_b32_e32 v27, 0
	s_mov_b32 s18, exec_lo
	v_cmpx_ne_u16_e32 0, v37
	s_cbranch_execz .LBB259_1586
; %bb.1579:                             ;   in Loop: Header=BB259_819 Depth=1
	v_mov_b32_e32 v27, 0x8000
	s_mov_b32 s19, exec_lo
	v_cmpx_ne_u16_e32 0x80, v37
	s_cbranch_execz .LBB259_1585
; %bb.1580:                             ;   in Loop: Header=BB259_819 Depth=1
	v_and_b32_e32 v38, 0x7f, v29
	v_mov_b32_e32 v27, 0x7c01
	s_mov_b32 s20, exec_lo
	s_delay_alu instid0(VALU_DEP_2)
	v_cmpx_ne_u32_e32 0x7f, v38
	s_cbranch_execz .LBB259_1584
; %bb.1581:                             ;   in Loop: Header=BB259_819 Depth=1
	v_dual_lshrrev_b32 v37, 3, v38 :: v_dual_bitop2_b32 v27, 7, v29 bitop3:0x40
	s_mov_b32 s21, exec_lo
	v_cmpx_gt_u32_e32 8, v38
; %bb.1582:                             ;   in Loop: Header=BB259_819 Depth=1
	s_delay_alu instid0(VALU_DEP_2) | instskip(NEXT) | instid1(VALU_DEP_1)
	v_clz_i32_u32_e32 v27, v27
	v_min_u32_e32 v27, 32, v27
	s_delay_alu instid0(VALU_DEP_1) | instskip(NEXT) | instid1(VALU_DEP_1)
	v_subrev_nc_u32_e32 v37, 28, v27
	v_lshlrev_b64_e32 v[38:39], v37, v[6:7]
	s_delay_alu instid0(VALU_DEP_1)
	v_dual_sub_nc_u32 v37, 29, v27 :: v_dual_bitop2_b32 v27, 7, v38 bitop3:0x40
; %bb.1583:                             ;   in Loop: Header=BB259_819 Depth=1
	s_or_b32 exec_lo, exec_lo, s21
	s_delay_alu instid0(VALU_DEP_1) | instskip(NEXT) | instid1(VALU_DEP_2)
	v_dual_lshlrev_b32 v38, 8, v29 :: v_dual_lshlrev_b32 v27, 7, v27
	v_lshl_add_u32 v37, v37, 10, 0x2000
	s_delay_alu instid0(VALU_DEP_2) | instskip(NEXT) | instid1(VALU_DEP_2)
	v_and_b32_e32 v38, 0x8000, v38
	v_and_b32_e32 v37, 0xfc00, v37
	s_delay_alu instid0(VALU_DEP_1)
	v_or3_b32 v27, v38, v37, v27
.LBB259_1584:                           ;   in Loop: Header=BB259_819 Depth=1
	s_or_b32 exec_lo, exec_lo, s20
.LBB259_1585:                           ;   in Loop: Header=BB259_819 Depth=1
	s_delay_alu instid0(SALU_CYCLE_1)
	s_or_b32 exec_lo, exec_lo, s19
.LBB259_1586:                           ;   in Loop: Header=BB259_819 Depth=1
	s_delay_alu instid0(SALU_CYCLE_1) | instskip(SKIP_3) | instid1(VALU_DEP_2)
	s_or_b32 exec_lo, exec_lo, s18
	v_lshrrev_b16 v6, 8, v6
	v_mov_b32_e32 v37, 0
	s_mov_b32 s18, exec_lo
	v_cmpx_ne_u16_e32 0, v6
	s_cbranch_execz .LBB259_1594
; %bb.1587:                             ;   in Loop: Header=BB259_819 Depth=1
	v_bfrev_b32_e32 v37, 1
	s_mov_b32 s19, exec_lo
	v_cmpx_ne_u16_e32 0x80, v6
	s_cbranch_execz .LBB259_1593
; %bb.1588:                             ;   in Loop: Header=BB259_819 Depth=1
	v_and_b32_e32 v38, 0xffff, v6
	v_mov_b32_e32 v37, 0x7c010000
	s_mov_b32 s20, exec_lo
	s_delay_alu instid0(VALU_DEP_2) | instskip(NEXT) | instid1(VALU_DEP_1)
	v_and_b32_e32 v48, 0x7f, v38
	v_cmpx_ne_u32_e32 0x7f, v48
	s_cbranch_execz .LBB259_1592
; %bb.1589:                             ;   in Loop: Header=BB259_819 Depth=1
	v_dual_lshrrev_b32 v39, 3, v48 :: v_dual_bitop2_b32 v37, 7, v38 bitop3:0x40
	s_mov_b32 s21, exec_lo
	v_cmpx_gt_u32_e32 8, v48
; %bb.1590:                             ;   in Loop: Header=BB259_819 Depth=1
	s_delay_alu instid0(VALU_DEP_2) | instskip(NEXT) | instid1(VALU_DEP_1)
	v_clz_i32_u32_e32 v37, v37
	v_min_u32_e32 v37, 32, v37
	s_delay_alu instid0(VALU_DEP_1) | instskip(NEXT) | instid1(VALU_DEP_1)
	v_subrev_nc_u32_e32 v39, 28, v37
	v_lshlrev_b64_e32 v[56:57], v39, v[6:7]
	s_delay_alu instid0(VALU_DEP_1)
	v_dual_sub_nc_u32 v39, 29, v37 :: v_dual_bitop2_b32 v37, 7, v56 bitop3:0x40
; %bb.1591:                             ;   in Loop: Header=BB259_819 Depth=1
	s_or_b32 exec_lo, exec_lo, s21
	s_delay_alu instid0(VALU_DEP_1) | instskip(NEXT) | instid1(VALU_DEP_2)
	v_dual_lshlrev_b32 v6, 8, v38 :: v_dual_lshlrev_b32 v37, 23, v37
	v_lshl_add_u32 v38, v39, 10, 0x2000
	s_delay_alu instid0(VALU_DEP_1) | instskip(NEXT) | instid1(VALU_DEP_1)
	v_and_or_b32 v6, 0x8000, v6, v38
	v_lshl_or_b32 v37, v6, 16, v37
.LBB259_1592:                           ;   in Loop: Header=BB259_819 Depth=1
	s_or_b32 exec_lo, exec_lo, s20
.LBB259_1593:                           ;   in Loop: Header=BB259_819 Depth=1
	s_delay_alu instid0(SALU_CYCLE_1)
	s_or_b32 exec_lo, exec_lo, s19
.LBB259_1594:                           ;   in Loop: Header=BB259_819 Depth=1
	s_delay_alu instid0(SALU_CYCLE_1) | instskip(SKIP_2) | instid1(VALU_DEP_1)
	s_or_b32 exec_lo, exec_lo, s18
	v_lshrrev_b32_e32 v6, 16, v29
	s_mov_b32 s18, exec_lo
	v_and_b32_e32 v38, 0xff, v6
	s_delay_alu instid0(VALU_DEP_1)
	v_cmpx_ne_u16_e32 0, v38
	s_cbranch_execz .LBB259_1602
; %bb.1595:                             ;   in Loop: Header=BB259_819 Depth=1
	v_mov_b32_e32 v36, 0x8000
	s_mov_b32 s19, exec_lo
	v_cmpx_ne_u16_e32 0x80, v38
	s_cbranch_execz .LBB259_1601
; %bb.1596:                             ;   in Loop: Header=BB259_819 Depth=1
	v_bfe_u32 v39, v29, 16, 7
	v_mov_b32_e32 v36, 0x7c01
	s_mov_b32 s20, exec_lo
	s_delay_alu instid0(VALU_DEP_2)
	v_cmpx_ne_u32_e32 0x7f, v39
	s_cbranch_execz .LBB259_1600
; %bb.1597:                             ;   in Loop: Header=BB259_819 Depth=1
	v_dual_lshrrev_b32 v38, 3, v39 :: v_dual_bitop2_b32 v36, 7, v6 bitop3:0x40
	s_mov_b32 s21, exec_lo
	v_cmpx_gt_u32_e32 8, v39
; %bb.1598:                             ;   in Loop: Header=BB259_819 Depth=1
	s_delay_alu instid0(VALU_DEP_2) | instskip(NEXT) | instid1(VALU_DEP_1)
	v_clz_i32_u32_e32 v36, v36
	v_min_u32_e32 v36, 32, v36
	s_delay_alu instid0(VALU_DEP_1) | instskip(NEXT) | instid1(VALU_DEP_1)
	v_subrev_nc_u32_e32 v38, 28, v36
	v_lshlrev_b64_e32 v[56:57], v38, v[6:7]
	v_sub_nc_u32_e32 v38, 29, v36
	s_delay_alu instid0(VALU_DEP_2)
	v_and_b32_e32 v36, 7, v56
; %bb.1599:                             ;   in Loop: Header=BB259_819 Depth=1
	s_or_b32 exec_lo, exec_lo, s21
	s_delay_alu instid0(VALU_DEP_1) | instskip(NEXT) | instid1(VALU_DEP_3)
	v_dual_lshlrev_b32 v6, 8, v6 :: v_dual_lshlrev_b32 v36, 7, v36
	v_lshl_add_u32 v38, v38, 10, 0x2000
	s_delay_alu instid0(VALU_DEP_2) | instskip(NEXT) | instid1(VALU_DEP_2)
	v_and_b32_e32 v6, 0x8000, v6
	v_and_b32_e32 v38, 0xfc00, v38
	s_delay_alu instid0(VALU_DEP_1)
	v_or3_b32 v36, v6, v38, v36
.LBB259_1600:                           ;   in Loop: Header=BB259_819 Depth=1
	s_or_b32 exec_lo, exec_lo, s20
.LBB259_1601:                           ;   in Loop: Header=BB259_819 Depth=1
	s_delay_alu instid0(SALU_CYCLE_1)
	s_or_b32 exec_lo, exec_lo, s19
.LBB259_1602:                           ;   in Loop: Header=BB259_819 Depth=1
	s_delay_alu instid0(SALU_CYCLE_1)
	s_or_b32 exec_lo, exec_lo, s18
	v_cmp_lt_u64_e64 s0, s[2:3], v[28:29]
	v_mov_b32_e32 v28, 0
	s_and_saveexec_b32 s18, s0
	s_cbranch_execz .LBB259_1610
; %bb.1603:                             ;   in Loop: Header=BB259_819 Depth=1
	v_lshrrev_b32_e32 v6, 24, v29
	v_bfrev_b32_e32 v28, 1
	s_mov_b32 s19, exec_lo
	s_delay_alu instid0(VALU_DEP_2)
	v_cmpx_ne_u32_e32 0x80, v6
	s_cbranch_execz .LBB259_1609
; %bb.1604:                             ;   in Loop: Header=BB259_819 Depth=1
	v_and_b32_e32 v38, 0x7f, v6
	v_mov_b32_e32 v28, 0x7c010000
	s_mov_b32 s20, exec_lo
	s_delay_alu instid0(VALU_DEP_2)
	v_cmpx_ne_u32_e32 0x7f, v38
	s_cbranch_execz .LBB259_1608
; %bb.1605:                             ;   in Loop: Header=BB259_819 Depth=1
	v_and_b32_e32 v28, 7, v6
	v_lshrrev_b32_e32 v29, 3, v38
	s_mov_b32 s21, exec_lo
	v_cmpx_gt_u32_e32 8, v38
; %bb.1606:                             ;   in Loop: Header=BB259_819 Depth=1
	s_delay_alu instid0(VALU_DEP_3) | instskip(NEXT) | instid1(VALU_DEP_1)
	v_clz_i32_u32_e32 v28, v28
	v_min_u32_e32 v38, 32, v28
	s_delay_alu instid0(VALU_DEP_1) | instskip(NEXT) | instid1(VALU_DEP_1)
	v_subrev_nc_u32_e32 v28, 28, v38
	v_lshlrev_b64_e32 v[28:29], v28, v[6:7]
	s_delay_alu instid0(VALU_DEP_1)
	v_dual_sub_nc_u32 v29, 29, v38 :: v_dual_bitop2_b32 v28, 7, v28 bitop3:0x40
; %bb.1607:                             ;   in Loop: Header=BB259_819 Depth=1
	s_or_b32 exec_lo, exec_lo, s21
	s_delay_alu instid0(VALU_DEP_1) | instskip(NEXT) | instid1(VALU_DEP_2)
	v_dual_lshlrev_b32 v6, 8, v6 :: v_dual_lshlrev_b32 v28, 23, v28
	v_lshl_add_u32 v29, v29, 10, 0x2000
	s_delay_alu instid0(VALU_DEP_1) | instskip(NEXT) | instid1(VALU_DEP_1)
	v_and_or_b32 v6, 0x8000, v6, v29
	v_lshl_or_b32 v28, v6, 16, v28
.LBB259_1608:                           ;   in Loop: Header=BB259_819 Depth=1
	s_or_b32 exec_lo, exec_lo, s20
.LBB259_1609:                           ;   in Loop: Header=BB259_819 Depth=1
	s_delay_alu instid0(SALU_CYCLE_1)
	s_or_b32 exec_lo, exec_lo, s19
.LBB259_1610:                           ;   in Loop: Header=BB259_819 Depth=1
	s_delay_alu instid0(SALU_CYCLE_1) | instskip(SKIP_3) | instid1(VALU_DEP_3)
	s_or_b32 exec_lo, exec_lo, s18
	v_dual_lshrrev_b32 v6, 16, v0 :: v_dual_lshrrev_b32 v29, 16, v9
	v_or_b32_e32 v38, v0, v1
	v_dual_lshrrev_b32 v19, 16, v37 :: v_dual_bitop2_b32 v9, v9, v19 bitop3:0x54
	v_cvt_f32_f16_e32 v1, v6
	s_delay_alu instid0(VALU_DEP_4)
	v_cvt_f32_f16_e32 v0, v29
	v_or_b32_e32 v6, v28, v36
	v_lshrrev_b32_e32 v36, 16, v28
	v_cvt_f32_f16_e32 v28, v9
	v_cvt_f32_f16_e32 v29, v38
	s_wait_loadcnt_dscnt 0x0
	v_pk_mul_f32 v[0:1], v[26:27], v[0:1] op_sel_hi:[0,1]
	v_cvt_f32_f16_e32 v38, v6
	v_cvt_f32_f16_e32 v36, v36
	v_pk_mul_f32 v[28:29], v[26:27], v[28:29] op_sel_hi:[0,1]
	s_delay_alu instid0(VALU_DEP_4) | instskip(SKIP_2) | instid1(VALU_DEP_2)
	v_cvt_pk_f16_f32 v6, v0, v1
	v_or_b32_e32 v9, v37, v27
	v_cvt_f32_f16_e32 v37, v19
	v_cvt_f32_f16_e32 v39, v9
	s_delay_alu instid0(VALU_DEP_2) | instskip(SKIP_2) | instid1(VALU_DEP_4)
	v_pk_mul_f32 v[0:1], v[26:27], v[36:37] op_sel_hi:[0,1]
	v_cvt_pk_f16_f32 v9, v28, v29
	v_and_b32_e32 v37, 0xffff0000, v6
	v_pk_mul_f32 v[26:27], v[26:27], v[38:39] op_sel_hi:[0,1]
	s_delay_alu instid0(VALU_DEP_4) | instskip(NEXT) | instid1(VALU_DEP_4)
	v_cvt_pk_f16_f32 v0, v0, v1
	v_dual_lshlrev_b32 v38, 16, v6 :: v_dual_lshrrev_b32 v39, 16, v9
	v_and_b32_e32 v48, 0xffff, v9
	s_delay_alu instid0(VALU_DEP_4) | instskip(NEXT) | instid1(VALU_DEP_4)
	v_cvt_pk_f16_f32 v1, v26, v27
	v_and_b32_e32 v27, 0xffff0000, v0
	s_delay_alu instid0(VALU_DEP_4) | instskip(NEXT) | instid1(VALU_DEP_3)
	v_dual_lshlrev_b32 v28, 16, v0 :: v_dual_bitop2_b32 v19, v37, v39 bitop3:0x54
	v_dual_lshrrev_b32 v29, 16, v1 :: v_dual_bitop2_b32 v26, v38, v48 bitop3:0x54
	v_and_b32_e32 v36, 0xffff, v1
	s_delay_alu instid0(VALU_DEP_2) | instskip(NEXT) | instid1(VALU_DEP_2)
	v_or_b32_e32 v9, v27, v29
	v_or_b32_e32 v6, v28, v36
	s_and_saveexec_b32 s0, vcc_lo
	s_cbranch_execz .LBB259_817
; %bb.1611:                             ;   in Loop: Header=BB259_819 Depth=1
	v_cmp_lt_i32_e32 vcc_lo, v83, v13
	v_cndmask_b32_e32 v0, 0, v39, vcc_lo
	v_cmp_lt_i32_e32 vcc_lo, v98, v12
	v_cndmask_b32_e32 v1, 0, v48, vcc_lo
	;; [unrolled: 2-line block ×4, first 2 shown]
	v_cmp_lt_i32_e32 vcc_lo, v87, v13
	s_delay_alu instid0(VALU_DEP_4) | instskip(NEXT) | instid1(VALU_DEP_3)
	v_or_b32_e32 v19, v0, v6
	v_or_b32_e32 v26, v1, v9
	v_cndmask_b32_e32 v29, 0, v29, vcc_lo
	v_cmp_lt_i32_e32 vcc_lo, v86, v12
	v_cndmask_b32_e32 v36, 0, v36, vcc_lo
	v_cmp_lt_i32_e32 vcc_lo, v85, v13
	;; [unrolled: 2-line block ×3, first 2 shown]
	s_delay_alu instid0(VALU_DEP_2) | instskip(NEXT) | instid1(VALU_DEP_1)
	v_dual_cndmask_b32 v28, 0, v28, vcc_lo :: v_dual_bitop2_b32 v9, v29, v27 bitop3:0x54
	v_or_b32_e32 v6, v36, v28
	s_branch .LBB259_817
.LBB259_1612:
	s_or_b32 exec_lo, exec_lo, s16
	v_mov_b64_e32 v[36:37], s[6:7]
	v_mov_b32_e32 v70, v60
.LBB259_1613:
	s_or_b32 exec_lo, exec_lo, s1
	s_delay_alu instid0(VALU_DEP_2)
	v_lshl_add_u64 v[0:1], v[36:37], 2, s[8:9]
	s_wait_storecnt 0x0
	s_barrier_signal -1
	s_barrier_wait -1
	global_load_b32 v0, v[0:1], off
	ds_bpermute_b32 v2, v69, v34
	ds_bpermute_b32 v3, v69, v35
	;; [unrolled: 1-line block ×11, first 2 shown]
	s_wait_xcnt 0x0
	v_and_b32_e32 v1, 0x3c1, v58
	s_mov_b32 s0, exec_lo
	ds_bpermute_b32 v15, v69, v5
	s_wait_dscnt 0xa
	v_pk_add_f32 v[12:13], v[34:35], v[2:3]
	s_wait_dscnt 0x8
	v_pk_add_f32 v[10:11], v[30:31], v[6:7]
	;; [unrolled: 2-line block ×4, first 2 shown]
	v_lshrrev_b32_e32 v16, 1, v68
	s_wait_dscnt 0x2
	v_pk_add_f32 v[2:3], v[24:25], v[18:19]
	v_cmpx_ne_u32_e32 64, v1
	s_xor_b32 s0, exec_lo, s0
	s_delay_alu instid0(SALU_CYCLE_1)
	s_or_saveexec_b32 s0, s0
	s_wait_dscnt 0x0
	v_pk_add_f32 v[4:5], v[4:5], v[14:15]
	s_wait_loadcnt 0x0
	v_lshl_add_u32 v1, v16, 2, v0
	v_mul_u32_u24_e32 v14, 0x300, v70
	s_xor_b32 exec_lo, exec_lo, s0
	s_cbranch_execz .LBB259_1615
; %bb.1614:
	s_delay_alu instid0(VALU_DEP_1) | instskip(NEXT) | instid1(VALU_DEP_1)
	v_add_nc_u32_e32 v15, v1, v14
	v_add_nc_u32_e32 v17, 0xfffffa00, v15
	v_add_nc_u32_e32 v18, 0xfffffa40, v15
	v_add_nc_u32_e32 v19, 0xfffffa80, v15
	v_add_nc_u32_e32 v20, 0xfffffac0, v15
	v_add_nc_u32_e32 v21, 0xfffffb00, v15
	v_add_nc_u32_e32 v22, 0xfffffb40, v15
	v_add_nc_u32_e32 v23, 0xfffffb80, v15
	v_add_nc_u32_e32 v24, 0xfffffbc0, v15
	v_add_nc_u32_e32 v25, 0xfffffc00, v15
	v_add_nc_u32_e32 v26, 0xfffffc40, v15
	v_add_nc_u32_e32 v27, 0xfffffc80, v15
	v_add_nc_u32_e32 v15, 0xfffffcc0, v15
	ds_store_b32 v17, v12
	ds_store_b32 v18, v13
	;; [unrolled: 1-line block ×12, first 2 shown]
.LBB259_1615:
	s_or_b32 exec_lo, exec_lo, s0
	v_lshlrev_b32_e32 v15, 2, v16
	s_mov_b32 s1, exec_lo
	v_cmp_eq_u32_e32 vcc_lo, 0, v59
	s_wait_dscnt 0x0
	s_barrier_signal -1
	v_add3_u32 v0, v0, v14, v15
	s_barrier_wait -1
	v_cmpx_gt_u32_e32 64, v58
	s_cbranch_execz .LBB259_1630
; %bb.1616:
	s_and_saveexec_b32 s0, vcc_lo
	s_cbranch_execnz .LBB259_1650
; %bb.1617:
	s_or_b32 exec_lo, exec_lo, s0
	s_and_saveexec_b32 s0, vcc_lo
	s_cbranch_execnz .LBB259_1651
.LBB259_1618:
	s_or_b32 exec_lo, exec_lo, s0
	s_and_saveexec_b32 s0, vcc_lo
	s_cbranch_execnz .LBB259_1652
.LBB259_1619:
	s_or_b32 exec_lo, exec_lo, s0
	s_and_saveexec_b32 s0, vcc_lo
	s_cbranch_execnz .LBB259_1653
.LBB259_1620:
	s_or_b32 exec_lo, exec_lo, s0
	s_and_saveexec_b32 s0, vcc_lo
	s_cbranch_execnz .LBB259_1654
.LBB259_1621:
	s_or_b32 exec_lo, exec_lo, s0
	s_and_saveexec_b32 s0, vcc_lo
	s_cbranch_execnz .LBB259_1655
.LBB259_1622:
	s_or_b32 exec_lo, exec_lo, s0
	s_and_saveexec_b32 s0, vcc_lo
	s_cbranch_execnz .LBB259_1656
.LBB259_1623:
	s_or_b32 exec_lo, exec_lo, s0
	s_and_saveexec_b32 s0, vcc_lo
	s_cbranch_execnz .LBB259_1657
.LBB259_1624:
	s_or_b32 exec_lo, exec_lo, s0
	s_and_saveexec_b32 s0, vcc_lo
	s_cbranch_execnz .LBB259_1658
.LBB259_1625:
	s_or_b32 exec_lo, exec_lo, s0
	s_and_saveexec_b32 s0, vcc_lo
	s_cbranch_execnz .LBB259_1659
.LBB259_1626:
	s_or_b32 exec_lo, exec_lo, s0
	s_and_saveexec_b32 s0, vcc_lo
	s_cbranch_execnz .LBB259_1660
.LBB259_1627:
	s_or_b32 exec_lo, exec_lo, s0
	s_and_saveexec_b32 s0, vcc_lo
	s_cbranch_execz .LBB259_1629
.LBB259_1628:
	ds_load_b32 v14, v0 offset:704
	s_wait_dscnt 0x0
	v_add_f32_e32 v5, v14, v5
.LBB259_1629:
	s_or_b32 exec_lo, exec_lo, s0
.LBB259_1630:
	s_delay_alu instid0(SALU_CYCLE_1) | instskip(SKIP_4) | instid1(VALU_DEP_1)
	s_or_b32 exec_lo, exec_lo, s1
	v_and_b32_e32 v14, 0x3e1, v58
	s_mov_b32 s1, exec_lo
	s_barrier_signal -1
	s_barrier_wait -1
	v_cmpx_eq_u32_e32 32, v14
	s_cbranch_execz .LBB259_1632
; %bb.1631:
	ds_store_2addr_b32 v1, v12, v13 offset1:16
	ds_store_2addr_b32 v1, v10, v11 offset0:32 offset1:48
	ds_store_2addr_b32 v1, v8, v9 offset0:64 offset1:80
	;; [unrolled: 1-line block ×5, first 2 shown]
.LBB259_1632:
	s_or_b32 exec_lo, exec_lo, s1
	s_delay_alu instid0(SALU_CYCLE_1)
	s_mov_b32 s1, exec_lo
	s_wait_dscnt 0x0
	s_barrier_signal -1
	s_barrier_wait -1
	v_cmpx_gt_u32_e32 32, v58
	s_cbranch_execz .LBB259_1647
; %bb.1633:
	s_and_saveexec_b32 s0, vcc_lo
	s_cbranch_execnz .LBB259_1661
; %bb.1634:
	s_or_b32 exec_lo, exec_lo, s0
	s_and_saveexec_b32 s0, vcc_lo
	s_cbranch_execnz .LBB259_1662
.LBB259_1635:
	s_or_b32 exec_lo, exec_lo, s0
	s_and_saveexec_b32 s0, vcc_lo
	s_cbranch_execnz .LBB259_1663
.LBB259_1636:
	s_or_b32 exec_lo, exec_lo, s0
	s_and_saveexec_b32 s0, vcc_lo
	s_cbranch_execnz .LBB259_1664
.LBB259_1637:
	s_or_b32 exec_lo, exec_lo, s0
	s_and_saveexec_b32 s0, vcc_lo
	s_cbranch_execnz .LBB259_1665
.LBB259_1638:
	s_or_b32 exec_lo, exec_lo, s0
	s_and_saveexec_b32 s0, vcc_lo
	s_cbranch_execnz .LBB259_1666
.LBB259_1639:
	s_or_b32 exec_lo, exec_lo, s0
	s_and_saveexec_b32 s0, vcc_lo
	s_cbranch_execnz .LBB259_1667
.LBB259_1640:
	s_or_b32 exec_lo, exec_lo, s0
	s_and_saveexec_b32 s0, vcc_lo
	s_cbranch_execnz .LBB259_1668
.LBB259_1641:
	s_or_b32 exec_lo, exec_lo, s0
	s_and_saveexec_b32 s0, vcc_lo
	s_cbranch_execnz .LBB259_1669
.LBB259_1642:
	s_or_b32 exec_lo, exec_lo, s0
	s_and_saveexec_b32 s0, vcc_lo
	s_cbranch_execnz .LBB259_1670
.LBB259_1643:
	s_or_b32 exec_lo, exec_lo, s0
	s_and_saveexec_b32 s0, vcc_lo
	s_cbranch_execnz .LBB259_1671
.LBB259_1644:
	s_or_b32 exec_lo, exec_lo, s0
	s_and_saveexec_b32 s0, vcc_lo
	s_cbranch_execz .LBB259_1646
.LBB259_1645:
	ds_load_b32 v0, v0 offset:704
	s_wait_dscnt 0x0
	v_add_f32_e32 v5, v0, v5
.LBB259_1646:
	s_or_b32 exec_lo, exec_lo, s0
.LBB259_1647:
	s_delay_alu instid0(SALU_CYCLE_1)
	s_or_b32 exec_lo, exec_lo, s1
	s_mov_b32 s1, 0
	s_mov_b32 s2, exec_lo
	s_barrier_signal -1
	s_barrier_wait -1
	v_cmpx_eq_u32_e32 0, v14
	s_cbranch_execz .LBB259_1649
; %bb.1648:
	s_clause 0x1
	scratch_load_b64 v[0:1], off, s32 offset:256 th:TH_LOAD_LU
	scratch_load_b32 v14, off, s32 offset:232 th:TH_LOAD_LU
	s_and_b32 s0, 0xffff, s15
	;;#ASMSTART
	v_cvt_f16_f32 v12, v12;

	;;#ASMEND
	s_cmp_lg_u32 s0, 0
	v_mov_b32_e32 v15, 0
	s_cselect_b32 s0, -1, 0
	s_delay_alu instid0(SALU_CYCLE_1)
	s_cmp_lg_u32 s0, 0
	s_add_co_ci_u32 s0, s5, 0
	s_bfe_u32 s8, ttmp6, 0x40014
	s_mul_i32 s5, s0, s13
	s_lshr_b32 s3, ttmp7, 16
	s_mul_i32 s5, s5, s14
	s_add_co_i32 s8, s8, 1
	s_mul_i32 s6, s5, 0xc0
	s_bfe_u32 s9, ttmp6, 0x40008
	s_ashr_i32 s7, s6, 31
	s_mul_i32 s4, s4, s0
	s_mul_i32 s0, s3, s8
	s_ashr_i32 s5, s4, 31
	s_add_co_i32 s9, s9, s0
	s_cmp_eq_u32 s12, 0
	s_cselect_b32 s0, s3, s9
	s_delay_alu instid0(SALU_CYCLE_1) | instskip(SKIP_4) | instid1(VALU_DEP_2)
	s_mulk_i32 s0, 0x180
	s_wait_loadcnt 0x1
	v_lshl_add_u64 v[0:1], s[6:7], 1, v[0:1]
	s_wait_loadcnt 0x0
	v_lshlrev_b32_e32 v14, 1, v14
	v_lshl_add_u64 v[0:1], s[4:5], 1, v[0:1]
	s_delay_alu instid0(VALU_DEP_1) | instskip(NEXT) | instid1(VALU_DEP_1)
	v_add_nc_u64_e32 v[0:1], s[0:1], v[0:1]
	v_add_nc_u64_e32 v[0:1], v[0:1], v[14:15]
	flat_store_b16 v[0:1], v12
	s_wait_xcnt 0x0
	;;#ASMSTART
	v_cvt_f16_f32 v12, v13;

	;;#ASMEND
	flat_store_b16 v[0:1], v12 offset:32
	;;#ASMSTART
	v_cvt_f16_f32 v10, v10;

	;;#ASMEND
	flat_store_b16 v[0:1], v10 offset:64
	s_wait_xcnt 0x0
	;;#ASMSTART
	v_cvt_f16_f32 v10, v11;

	;;#ASMEND
	flat_store_b16 v[0:1], v10 offset:96
	;;#ASMSTART
	v_cvt_f16_f32 v8, v8;

	;;#ASMEND
	flat_store_b16 v[0:1], v8 offset:128
	;; [unrolled: 11-line block ×4, first 2 shown]
	s_wait_xcnt 0x0
	;;#ASMSTART
	v_cvt_f16_f32 v2, v3;

	;;#ASMEND
	flat_store_b16 v[0:1], v2 offset:288
	s_wait_xcnt 0x0
	;;#ASMSTART
	v_cvt_f16_f32 v2, v4;

	;;#ASMEND
	flat_store_b16 v[0:1], v2 offset:320
	;; [unrolled: 6-line block ×3, first 2 shown]
.LBB259_1649:
	s_wait_xcnt 0x0
	s_or_b32 exec_lo, exec_lo, s2
	s_clause 0x2f
	scratch_load_b32 v127, off, s32
	scratch_load_b32 v126, off, s32 offset:4
	scratch_load_b32 v125, off, s32 offset:8
	;; [unrolled: 1-line block ×47, first 2 shown]
	s_wait_loadcnt_dscnt 0x0
	s_set_pc_i64 s[30:31]
.LBB259_1650:
	ds_load_b32 v14, v0
	s_wait_dscnt 0x0
	v_add_f32_e32 v12, v14, v12
	s_or_b32 exec_lo, exec_lo, s0
	s_and_saveexec_b32 s0, vcc_lo
	s_cbranch_execz .LBB259_1618
.LBB259_1651:
	ds_load_b32 v14, v0 offset:64
	s_wait_dscnt 0x0
	v_add_f32_e32 v13, v14, v13
	s_or_b32 exec_lo, exec_lo, s0
	s_and_saveexec_b32 s0, vcc_lo
	s_cbranch_execz .LBB259_1619
.LBB259_1652:
	ds_load_b32 v14, v0 offset:128
	s_wait_dscnt 0x0
	v_add_f32_e32 v10, v14, v10
	s_or_b32 exec_lo, exec_lo, s0
	s_and_saveexec_b32 s0, vcc_lo
	s_cbranch_execz .LBB259_1620
.LBB259_1653:
	ds_load_b32 v14, v0 offset:192
	s_wait_dscnt 0x0
	v_add_f32_e32 v11, v14, v11
	s_or_b32 exec_lo, exec_lo, s0
	s_and_saveexec_b32 s0, vcc_lo
	s_cbranch_execz .LBB259_1621
.LBB259_1654:
	ds_load_b32 v14, v0 offset:256
	s_wait_dscnt 0x0
	v_add_f32_e32 v8, v14, v8
	s_or_b32 exec_lo, exec_lo, s0
	s_and_saveexec_b32 s0, vcc_lo
	s_cbranch_execz .LBB259_1622
.LBB259_1655:
	ds_load_b32 v14, v0 offset:320
	s_wait_dscnt 0x0
	v_add_f32_e32 v9, v14, v9
	s_or_b32 exec_lo, exec_lo, s0
	s_and_saveexec_b32 s0, vcc_lo
	s_cbranch_execz .LBB259_1623
.LBB259_1656:
	ds_load_b32 v14, v0 offset:384
	s_wait_dscnt 0x0
	v_add_f32_e32 v6, v14, v6
	s_or_b32 exec_lo, exec_lo, s0
	s_and_saveexec_b32 s0, vcc_lo
	s_cbranch_execz .LBB259_1624
.LBB259_1657:
	ds_load_b32 v14, v0 offset:448
	s_wait_dscnt 0x0
	v_add_f32_e32 v7, v14, v7
	s_or_b32 exec_lo, exec_lo, s0
	s_and_saveexec_b32 s0, vcc_lo
	s_cbranch_execz .LBB259_1625
.LBB259_1658:
	ds_load_b32 v14, v0 offset:512
	s_wait_dscnt 0x0
	v_add_f32_e32 v2, v14, v2
	s_or_b32 exec_lo, exec_lo, s0
	s_and_saveexec_b32 s0, vcc_lo
	s_cbranch_execz .LBB259_1626
.LBB259_1659:
	ds_load_b32 v14, v0 offset:576
	s_wait_dscnt 0x0
	v_add_f32_e32 v3, v14, v3
	s_or_b32 exec_lo, exec_lo, s0
	s_and_saveexec_b32 s0, vcc_lo
	s_cbranch_execz .LBB259_1627
.LBB259_1660:
	ds_load_b32 v14, v0 offset:640
	s_wait_dscnt 0x0
	v_add_f32_e32 v4, v14, v4
	s_or_b32 exec_lo, exec_lo, s0
	s_and_saveexec_b32 s0, vcc_lo
	s_cbranch_execnz .LBB259_1628
	s_branch .LBB259_1629
.LBB259_1661:
	ds_load_b32 v1, v0
	s_wait_dscnt 0x0
	v_add_f32_e32 v12, v1, v12
	s_or_b32 exec_lo, exec_lo, s0
	s_and_saveexec_b32 s0, vcc_lo
	s_cbranch_execz .LBB259_1635
.LBB259_1662:
	ds_load_b32 v1, v0 offset:64
	s_wait_dscnt 0x0
	v_add_f32_e32 v13, v1, v13
	s_or_b32 exec_lo, exec_lo, s0
	s_and_saveexec_b32 s0, vcc_lo
	s_cbranch_execz .LBB259_1636
.LBB259_1663:
	ds_load_b32 v1, v0 offset:128
	s_wait_dscnt 0x0
	v_add_f32_e32 v10, v1, v10
	s_or_b32 exec_lo, exec_lo, s0
	s_and_saveexec_b32 s0, vcc_lo
	s_cbranch_execz .LBB259_1637
.LBB259_1664:
	ds_load_b32 v1, v0 offset:192
	s_wait_dscnt 0x0
	v_add_f32_e32 v11, v1, v11
	s_or_b32 exec_lo, exec_lo, s0
	s_and_saveexec_b32 s0, vcc_lo
	s_cbranch_execz .LBB259_1638
.LBB259_1665:
	ds_load_b32 v1, v0 offset:256
	s_wait_dscnt 0x0
	v_add_f32_e32 v8, v1, v8
	s_or_b32 exec_lo, exec_lo, s0
	s_and_saveexec_b32 s0, vcc_lo
	s_cbranch_execz .LBB259_1639
.LBB259_1666:
	ds_load_b32 v1, v0 offset:320
	s_wait_dscnt 0x0
	v_add_f32_e32 v9, v1, v9
	s_or_b32 exec_lo, exec_lo, s0
	s_and_saveexec_b32 s0, vcc_lo
	s_cbranch_execz .LBB259_1640
.LBB259_1667:
	ds_load_b32 v1, v0 offset:384
	s_wait_dscnt 0x0
	v_add_f32_e32 v6, v1, v6
	s_or_b32 exec_lo, exec_lo, s0
	s_and_saveexec_b32 s0, vcc_lo
	s_cbranch_execz .LBB259_1641
.LBB259_1668:
	ds_load_b32 v1, v0 offset:448
	s_wait_dscnt 0x0
	v_add_f32_e32 v7, v1, v7
	s_or_b32 exec_lo, exec_lo, s0
	s_and_saveexec_b32 s0, vcc_lo
	s_cbranch_execz .LBB259_1642
.LBB259_1669:
	ds_load_b32 v1, v0 offset:512
	s_wait_dscnt 0x0
	v_add_f32_e32 v2, v1, v2
	s_or_b32 exec_lo, exec_lo, s0
	s_and_saveexec_b32 s0, vcc_lo
	s_cbranch_execz .LBB259_1643
.LBB259_1670:
	ds_load_b32 v1, v0 offset:576
	s_wait_dscnt 0x0
	v_add_f32_e32 v3, v1, v3
	s_or_b32 exec_lo, exec_lo, s0
	s_and_saveexec_b32 s0, vcc_lo
	s_cbranch_execz .LBB259_1644
.LBB259_1671:
	ds_load_b32 v1, v0 offset:640
	s_wait_dscnt 0x0
	v_add_f32_e32 v4, v1, v4
	s_or_b32 exec_lo, exec_lo, s0
	s_and_saveexec_b32 s0, vcc_lo
	s_cbranch_execnz .LBB259_1645
	s_branch .LBB259_1646
.Lfunc_end259:
	.size	_ZN4vllm22paged_attention_kernelIthLi192ELi16ELi128ELNS_18Fp8KVCacheDataTypeE1ELb1ELi0EEEvPfS2_PT_PKS3_PKT0_S9_ifPKiSB_iPKfiiiSD_SD_iiiii, .Lfunc_end259-_ZN4vllm22paged_attention_kernelIthLi192ELi16ELi128ELNS_18Fp8KVCacheDataTypeE1ELb1ELi0EEEvPfS2_PT_PKS3_PKT0_S9_ifPKiSB_iPKfiiiSD_SD_iiiii
                                        ; -- End function
	.set .L_ZN4vllm22paged_attention_kernelIthLi192ELi16ELi128ELNS_18Fp8KVCacheDataTypeE1ELb1ELi0EEEvPfS2_PT_PKS3_PKT0_S9_ifPKiSB_iPKfiiiSD_SD_iiiii.num_vgpr, 128
	.set .L_ZN4vllm22paged_attention_kernelIthLi192ELi16ELi128ELNS_18Fp8KVCacheDataTypeE1ELb1ELi0EEEvPfS2_PT_PKS3_PKT0_S9_ifPKiSB_iPKfiiiSD_SD_iiiii.num_agpr, 0
	.set .L_ZN4vllm22paged_attention_kernelIthLi192ELi16ELi128ELNS_18Fp8KVCacheDataTypeE1ELb1ELi0EEEvPfS2_PT_PKS3_PKT0_S9_ifPKiSB_iPKfiiiSD_SD_iiiii.numbered_sgpr, 33
	.set .L_ZN4vllm22paged_attention_kernelIthLi192ELi16ELi128ELNS_18Fp8KVCacheDataTypeE1ELb1ELi0EEEvPfS2_PT_PKS3_PKT0_S9_ifPKiSB_iPKfiiiSD_SD_iiiii.num_named_barrier, 0
	.set .L_ZN4vllm22paged_attention_kernelIthLi192ELi16ELi128ELNS_18Fp8KVCacheDataTypeE1ELb1ELi0EEEvPfS2_PT_PKS3_PKT0_S9_ifPKiSB_iPKfiiiSD_SD_iiiii.private_seg_size, 304
	.set .L_ZN4vllm22paged_attention_kernelIthLi192ELi16ELi128ELNS_18Fp8KVCacheDataTypeE1ELb1ELi0EEEvPfS2_PT_PKS3_PKT0_S9_ifPKiSB_iPKfiiiSD_SD_iiiii.uses_vcc, 1
	.set .L_ZN4vllm22paged_attention_kernelIthLi192ELi16ELi128ELNS_18Fp8KVCacheDataTypeE1ELb1ELi0EEEvPfS2_PT_PKS3_PKT0_S9_ifPKiSB_iPKfiiiSD_SD_iiiii.uses_flat_scratch, 1
	.set .L_ZN4vllm22paged_attention_kernelIthLi192ELi16ELi128ELNS_18Fp8KVCacheDataTypeE1ELb1ELi0EEEvPfS2_PT_PKS3_PKT0_S9_ifPKiSB_iPKfiiiSD_SD_iiiii.has_dyn_sized_stack, 0
	.set .L_ZN4vllm22paged_attention_kernelIthLi192ELi16ELi128ELNS_18Fp8KVCacheDataTypeE1ELb1ELi0EEEvPfS2_PT_PKS3_PKT0_S9_ifPKiSB_iPKfiiiSD_SD_iiiii.has_recursion, 0
	.set .L_ZN4vllm22paged_attention_kernelIthLi192ELi16ELi128ELNS_18Fp8KVCacheDataTypeE1ELb1ELi0EEEvPfS2_PT_PKS3_PKT0_S9_ifPKiSB_iPKfiiiSD_SD_iiiii.has_indirect_call, 0
	.section	.AMDGPU.csdata,"",@progbits
; Function info:
; codeLenInByte = 65640
; TotalNumSgprs: 35
; NumVgprs: 128
; ScratchSize: 304
; MemoryBound: 0
	.section	.text._ZN4vllm25paged_attention_v1_kernelIthLi192ELi16ELi128ELNS_18Fp8KVCacheDataTypeE1ELb1EEEvPT_PKS2_PKT0_S8_ifPKiSA_iPKfiiiSC_SC_iiiii,"axG",@progbits,_ZN4vllm25paged_attention_v1_kernelIthLi192ELi16ELi128ELNS_18Fp8KVCacheDataTypeE1ELb1EEEvPT_PKS2_PKT0_S8_ifPKiSA_iPKfiiiSC_SC_iiiii,comdat
	.protected	_ZN4vllm25paged_attention_v1_kernelIthLi192ELi16ELi128ELNS_18Fp8KVCacheDataTypeE1ELb1EEEvPT_PKS2_PKT0_S8_ifPKiSA_iPKfiiiSC_SC_iiiii ; -- Begin function _ZN4vllm25paged_attention_v1_kernelIthLi192ELi16ELi128ELNS_18Fp8KVCacheDataTypeE1ELb1EEEvPT_PKS2_PKT0_S8_ifPKiSA_iPKfiiiSC_SC_iiiii
	.globl	_ZN4vllm25paged_attention_v1_kernelIthLi192ELi16ELi128ELNS_18Fp8KVCacheDataTypeE1ELb1EEEvPT_PKS2_PKT0_S8_ifPKiSA_iPKfiiiSC_SC_iiiii
	.p2align	8
	.type	_ZN4vllm25paged_attention_v1_kernelIthLi192ELi16ELi128ELNS_18Fp8KVCacheDataTypeE1ELb1EEEvPT_PKS2_PKT0_S8_ifPKiSA_iPKfiiiSC_SC_iiiii,@function
_ZN4vllm25paged_attention_v1_kernelIthLi192ELi16ELi128ELNS_18Fp8KVCacheDataTypeE1ELb1EEEvPT_PKS2_PKT0_S8_ifPKiSA_iPKfiiiSC_SC_iiiii: ; @_ZN4vllm25paged_attention_v1_kernelIthLi192ELi16ELi128ELNS_18Fp8KVCacheDataTypeE1ELb1EEEvPT_PKS2_PKT0_S8_ifPKiSA_iPKfiiiSC_SC_iiiii
; %bb.0:
	s_clause 0x6
	s_load_b256 s[12:19], s[0:1], 0x0
	s_load_b128 s[4:7], s[0:1], 0x20
	s_load_b96 s[28:30], s[0:1], 0x30
	s_load_b64 s[10:11], s[0:1], 0x40
	s_load_b96 s[36:38], s[0:1], 0x48
	s_load_b256 s[20:27], s[0:1], 0x58
	s_load_b32 s31, s[0:1], 0x78
	v_mov_b32_e32 v31, v0
	s_get_pc_i64 s[2:3]
	s_add_nc_u64 s[2:3], s[2:3], _ZN4vllm22paged_attention_kernelIthLi192ELi16ELi128ELNS_18Fp8KVCacheDataTypeE1ELb1ELi0EEEvPfS2_PT_PKS3_PKT0_S9_ifPKiSB_iPKfiiiSD_SD_iiiii@rel64+4
	s_add_nc_u64 s[8:9], s[0:1], 0x80
	s_mov_b32 s32, 0
	s_wait_kmcnt 0x0
	v_dual_mov_b32 v15, s10 :: v_dual_mov_b32 v16, s11
	v_dual_mov_b32 v0, s12 :: v_dual_mov_b32 v1, s13
	;; [unrolled: 1-line block ×14, first 2 shown]
	v_mov_b32_e32 v28, s31
	s_mov_b32 s15, 41
	s_swap_pc_i64 s[30:31], s[2:3]
	s_endpgm
	.section	.rodata,"a",@progbits
	.p2align	6, 0x0
	.amdhsa_kernel _ZN4vllm25paged_attention_v1_kernelIthLi192ELi16ELi128ELNS_18Fp8KVCacheDataTypeE1ELb1EEEvPT_PKS2_PKT0_S8_ifPKiSA_iPKfiiiSC_SC_iiiii
		.amdhsa_group_segment_fixed_size 416
		.amdhsa_private_segment_fixed_size 304
		.amdhsa_kernarg_size 384
		.amdhsa_user_sgpr_count 2
		.amdhsa_user_sgpr_dispatch_ptr 0
		.amdhsa_user_sgpr_queue_ptr 0
		.amdhsa_user_sgpr_kernarg_segment_ptr 1
		.amdhsa_user_sgpr_dispatch_id 0
		.amdhsa_user_sgpr_kernarg_preload_length 0
		.amdhsa_user_sgpr_kernarg_preload_offset 0
		.amdhsa_user_sgpr_private_segment_size 0
		.amdhsa_wavefront_size32 1
		.amdhsa_uses_dynamic_stack 0
		.amdhsa_enable_private_segment 1
		.amdhsa_system_sgpr_workgroup_id_x 1
		.amdhsa_system_sgpr_workgroup_id_y 1
		.amdhsa_system_sgpr_workgroup_id_z 1
		.amdhsa_system_sgpr_workgroup_info 0
		.amdhsa_system_vgpr_workitem_id 0
		.amdhsa_next_free_vgpr 128
		.amdhsa_next_free_sgpr 39
		.amdhsa_named_barrier_count 0
		.amdhsa_reserve_vcc 1
		.amdhsa_float_round_mode_32 0
		.amdhsa_float_round_mode_16_64 0
		.amdhsa_float_denorm_mode_32 3
		.amdhsa_float_denorm_mode_16_64 3
		.amdhsa_fp16_overflow 0
		.amdhsa_memory_ordered 1
		.amdhsa_forward_progress 1
		.amdhsa_inst_pref_size 2
		.amdhsa_round_robin_scheduling 0
		.amdhsa_exception_fp_ieee_invalid_op 0
		.amdhsa_exception_fp_denorm_src 0
		.amdhsa_exception_fp_ieee_div_zero 0
		.amdhsa_exception_fp_ieee_overflow 0
		.amdhsa_exception_fp_ieee_underflow 0
		.amdhsa_exception_fp_ieee_inexact 0
		.amdhsa_exception_int_div_zero 0
	.end_amdhsa_kernel
	.section	.text._ZN4vllm25paged_attention_v1_kernelIthLi192ELi16ELi128ELNS_18Fp8KVCacheDataTypeE1ELb1EEEvPT_PKS2_PKT0_S8_ifPKiSA_iPKfiiiSC_SC_iiiii,"axG",@progbits,_ZN4vllm25paged_attention_v1_kernelIthLi192ELi16ELi128ELNS_18Fp8KVCacheDataTypeE1ELb1EEEvPT_PKS2_PKT0_S8_ifPKiSA_iPKfiiiSC_SC_iiiii,comdat
.Lfunc_end260:
	.size	_ZN4vllm25paged_attention_v1_kernelIthLi192ELi16ELi128ELNS_18Fp8KVCacheDataTypeE1ELb1EEEvPT_PKS2_PKT0_S8_ifPKiSA_iPKfiiiSC_SC_iiiii, .Lfunc_end260-_ZN4vllm25paged_attention_v1_kernelIthLi192ELi16ELi128ELNS_18Fp8KVCacheDataTypeE1ELb1EEEvPT_PKS2_PKT0_S8_ifPKiSA_iPKfiiiSC_SC_iiiii
                                        ; -- End function
	.set _ZN4vllm25paged_attention_v1_kernelIthLi192ELi16ELi128ELNS_18Fp8KVCacheDataTypeE1ELb1EEEvPT_PKS2_PKT0_S8_ifPKiSA_iPKfiiiSC_SC_iiiii.num_vgpr, max(32, .L_ZN4vllm22paged_attention_kernelIthLi192ELi16ELi128ELNS_18Fp8KVCacheDataTypeE1ELb1ELi0EEEvPfS2_PT_PKS3_PKT0_S9_ifPKiSB_iPKfiiiSD_SD_iiiii.num_vgpr)
	.set _ZN4vllm25paged_attention_v1_kernelIthLi192ELi16ELi128ELNS_18Fp8KVCacheDataTypeE1ELb1EEEvPT_PKS2_PKT0_S8_ifPKiSA_iPKfiiiSC_SC_iiiii.num_agpr, max(0, .L_ZN4vllm22paged_attention_kernelIthLi192ELi16ELi128ELNS_18Fp8KVCacheDataTypeE1ELb1ELi0EEEvPfS2_PT_PKS3_PKT0_S9_ifPKiSB_iPKfiiiSD_SD_iiiii.num_agpr)
	.set _ZN4vllm25paged_attention_v1_kernelIthLi192ELi16ELi128ELNS_18Fp8KVCacheDataTypeE1ELb1EEEvPT_PKS2_PKT0_S8_ifPKiSA_iPKfiiiSC_SC_iiiii.numbered_sgpr, max(39, .L_ZN4vllm22paged_attention_kernelIthLi192ELi16ELi128ELNS_18Fp8KVCacheDataTypeE1ELb1ELi0EEEvPfS2_PT_PKS3_PKT0_S9_ifPKiSB_iPKfiiiSD_SD_iiiii.numbered_sgpr)
	.set _ZN4vllm25paged_attention_v1_kernelIthLi192ELi16ELi128ELNS_18Fp8KVCacheDataTypeE1ELb1EEEvPT_PKS2_PKT0_S8_ifPKiSA_iPKfiiiSC_SC_iiiii.num_named_barrier, max(0, .L_ZN4vllm22paged_attention_kernelIthLi192ELi16ELi128ELNS_18Fp8KVCacheDataTypeE1ELb1ELi0EEEvPfS2_PT_PKS3_PKT0_S9_ifPKiSB_iPKfiiiSD_SD_iiiii.num_named_barrier)
	.set _ZN4vllm25paged_attention_v1_kernelIthLi192ELi16ELi128ELNS_18Fp8KVCacheDataTypeE1ELb1EEEvPT_PKS2_PKT0_S8_ifPKiSA_iPKfiiiSC_SC_iiiii.private_seg_size, 0+max(.L_ZN4vllm22paged_attention_kernelIthLi192ELi16ELi128ELNS_18Fp8KVCacheDataTypeE1ELb1ELi0EEEvPfS2_PT_PKS3_PKT0_S9_ifPKiSB_iPKfiiiSD_SD_iiiii.private_seg_size)
	.set _ZN4vllm25paged_attention_v1_kernelIthLi192ELi16ELi128ELNS_18Fp8KVCacheDataTypeE1ELb1EEEvPT_PKS2_PKT0_S8_ifPKiSA_iPKfiiiSC_SC_iiiii.uses_vcc, or(1, .L_ZN4vllm22paged_attention_kernelIthLi192ELi16ELi128ELNS_18Fp8KVCacheDataTypeE1ELb1ELi0EEEvPfS2_PT_PKS3_PKT0_S9_ifPKiSB_iPKfiiiSD_SD_iiiii.uses_vcc)
	.set _ZN4vllm25paged_attention_v1_kernelIthLi192ELi16ELi128ELNS_18Fp8KVCacheDataTypeE1ELb1EEEvPT_PKS2_PKT0_S8_ifPKiSA_iPKfiiiSC_SC_iiiii.uses_flat_scratch, or(0, .L_ZN4vllm22paged_attention_kernelIthLi192ELi16ELi128ELNS_18Fp8KVCacheDataTypeE1ELb1ELi0EEEvPfS2_PT_PKS3_PKT0_S9_ifPKiSB_iPKfiiiSD_SD_iiiii.uses_flat_scratch)
	.set _ZN4vllm25paged_attention_v1_kernelIthLi192ELi16ELi128ELNS_18Fp8KVCacheDataTypeE1ELb1EEEvPT_PKS2_PKT0_S8_ifPKiSA_iPKfiiiSC_SC_iiiii.has_dyn_sized_stack, or(0, .L_ZN4vllm22paged_attention_kernelIthLi192ELi16ELi128ELNS_18Fp8KVCacheDataTypeE1ELb1ELi0EEEvPfS2_PT_PKS3_PKT0_S9_ifPKiSB_iPKfiiiSD_SD_iiiii.has_dyn_sized_stack)
	.set _ZN4vllm25paged_attention_v1_kernelIthLi192ELi16ELi128ELNS_18Fp8KVCacheDataTypeE1ELb1EEEvPT_PKS2_PKT0_S8_ifPKiSA_iPKfiiiSC_SC_iiiii.has_recursion, or(0, .L_ZN4vllm22paged_attention_kernelIthLi192ELi16ELi128ELNS_18Fp8KVCacheDataTypeE1ELb1ELi0EEEvPfS2_PT_PKS3_PKT0_S9_ifPKiSB_iPKfiiiSD_SD_iiiii.has_recursion)
	.set _ZN4vllm25paged_attention_v1_kernelIthLi192ELi16ELi128ELNS_18Fp8KVCacheDataTypeE1ELb1EEEvPT_PKS2_PKT0_S8_ifPKiSA_iPKfiiiSC_SC_iiiii.has_indirect_call, or(0, .L_ZN4vllm22paged_attention_kernelIthLi192ELi16ELi128ELNS_18Fp8KVCacheDataTypeE1ELb1ELi0EEEvPfS2_PT_PKS3_PKT0_S9_ifPKiSB_iPKfiiiSD_SD_iiiii.has_indirect_call)
	.section	.AMDGPU.csdata,"",@progbits
; Kernel info:
; codeLenInByte = 224
; TotalNumSgprs: 41
; NumVgprs: 128
; ScratchSize: 304
; MemoryBound: 0
; FloatMode: 240
; IeeeMode: 1
; LDSByteSize: 416 bytes/workgroup (compile time only)
; SGPRBlocks: 0
; VGPRBlocks: 7
; NumSGPRsForWavesPerEU: 41
; NumVGPRsForWavesPerEU: 128
; NamedBarCnt: 0
; Occupancy: 8
; WaveLimiterHint : 1
; COMPUTE_PGM_RSRC2:SCRATCH_EN: 1
; COMPUTE_PGM_RSRC2:USER_SGPR: 2
; COMPUTE_PGM_RSRC2:TRAP_HANDLER: 0
; COMPUTE_PGM_RSRC2:TGID_X_EN: 1
; COMPUTE_PGM_RSRC2:TGID_Y_EN: 1
; COMPUTE_PGM_RSRC2:TGID_Z_EN: 1
; COMPUTE_PGM_RSRC2:TIDIG_COMP_CNT: 0
	.text
	.p2align	2                               ; -- Begin function _ZN4vllm22paged_attention_kernelIthLi256ELi16ELi128ELNS_18Fp8KVCacheDataTypeE1ELb1ELi0EEEvPfS2_PT_PKS3_PKT0_S9_ifPKiSB_iPKfiiiSD_SD_iiiii
	.type	_ZN4vllm22paged_attention_kernelIthLi256ELi16ELi128ELNS_18Fp8KVCacheDataTypeE1ELb1ELi0EEEvPfS2_PT_PKS3_PKT0_S9_ifPKiSB_iPKfiiiSD_SD_iiiii,@function
_ZN4vllm22paged_attention_kernelIthLi256ELi16ELi128ELNS_18Fp8KVCacheDataTypeE1ELb1ELi0EEEvPfS2_PT_PKS3_PKT0_S9_ifPKiSB_iPKfiiiSD_SD_iiiii: ; @_ZN4vllm22paged_attention_kernelIthLi256ELi16ELi128ELNS_18Fp8KVCacheDataTypeE1ELb1ELi0EEEvPfS2_PT_PKS3_PKT0_S9_ifPKiSB_iPKfiiiSD_SD_iiiii
; %bb.0:
	s_wait_loadcnt_dscnt 0x0
	s_wait_kmcnt 0x0
	s_clause 0x2f
	scratch_store_b32 off, v40, s32 offset:188
	; meta instruction
	scratch_store_b32 off, v41, s32 offset:184
	; meta instruction
	;; [unrolled: 2-line block ×47, first 2 shown]
	scratch_store_b32 off, v127, s32
	v_mov_b32_e32 v35, 0
	s_clause 0x4
	scratch_store_b64 off, v[22:23], s32 offset:192
	scratch_store_b64 off, v[20:21], s32 offset:428
	;; [unrolled: 1-line block ×4, first 2 shown]
	scratch_store_b32 off, v9, s32 offset:452
	v_dual_mov_b32 v51, v7 :: v_dual_mov_b32 v50, v6
	s_bfe_u32 s0, ttmp6, 0x4000c
	global_load_u16 v6, v35, s[8:9] offset:22
	s_add_co_i32 s0, s0, 1
	s_bfe_u32 s2, ttmp6, 0x40010
	s_and_b32 s1, ttmp6, 15
	s_mul_i32 s0, ttmp9, s0
	s_and_b32 s3, ttmp7, 0xffff
	s_add_co_i32 s2, s2, 1
	s_add_co_i32 s1, s1, s0
	s_mul_i32 s0, s3, s2
	s_bfe_u32 s2, ttmp6, 0x40004
	s_getreg_b32 s14, hwreg(HW_REG_IB_STS2, 6, 4)
	s_add_co_i32 s2, s2, s0
	s_cmp_eq_u32 s14, 0
	s_mov_b32 s10, s15
	s_cselect_b32 s15, s3, s2
	s_mov_b32 s5, 0
	s_cselect_b32 s2, ttmp9, s1
	s_lshl_b32 s4, s15, 2
	s_clause 0x1
	s_load_u16 s0, s[8:9], 0x12
	s_load_b32 s1, s[8:9], 0x0
	v_dual_mov_b32 v33, v16 :: v_dual_mov_b32 v32, v15
	s_wait_kmcnt 0x0
	s_cmp_lg_u32 s0, 0
	s_cselect_b32 s0, -1, 0
	s_delay_alu instid0(SALU_CYCLE_1) | instskip(SKIP_1) | instid1(SALU_CYCLE_1)
	s_cmp_lg_u32 s0, 0
	s_add_co_ci_u32 s16, s1, 0
	s_abs_i32 s0, s16
	s_wait_loadcnt 0x0
	v_readfirstlane_b32 s17, v6
	v_mov_b32_e32 v6, v35
	scratch_store_b64 off, v[0:1], s32 offset:508 ; 8-byte Folded Spill
	s_wait_xcnt 0x0
	v_add_nc_u64_e32 v[0:1], s[4:5], v[12:13]
	s_abs_i32 s4, s2
	scratch_store_b32 off, v6, s32 offset:448 ; 4-byte Folded Spill
	flat_load_b32 v12, v[0:1]
	s_wait_xcnt 0x0
	v_sub_nc_u32_e32 v0, 0, v8
	s_delay_alu instid0(VALU_DEP_1) | instskip(NEXT) | instid1(VALU_DEP_1)
	v_max_i32_e32 v0, v8, v0
	v_cvt_f32_u32_e32 v1, v0
	s_delay_alu instid0(VALU_DEP_1) | instskip(SKIP_1) | instid1(TRANS32_DEP_1)
	v_rcp_iflag_f32_e32 v1, v1
	v_nop
	v_mul_f32_e32 v1, 0x4f7ffffe, v1
	v_sub_nc_u32_e32 v7, 0, v0
	s_delay_alu instid0(VALU_DEP_2) | instskip(NEXT) | instid1(VALU_DEP_1)
	v_cvt_u32_f32_e32 v1, v1
	v_mul_lo_u32 v7, v7, v1
	s_delay_alu instid0(VALU_DEP_1) | instskip(NEXT) | instid1(VALU_DEP_1)
	v_mul_hi_u32 v7, v1, v7
	v_add_nc_u32_e32 v1, v1, v7
	s_delay_alu instid0(VALU_DEP_1) | instskip(NEXT) | instid1(VALU_DEP_1)
	v_mul_hi_u32 v1, s0, v1
	v_mul_lo_u32 v7, v1, v0
	s_delay_alu instid0(VALU_DEP_1) | instskip(SKIP_1) | instid1(VALU_DEP_1)
	v_dual_add_nc_u32 v9, 1, v1 :: v_dual_sub_nc_u32 v7, s0, v7
	s_mov_b32 s0, exec_lo
	v_cmp_ge_u32_e32 vcc_lo, v7, v0
	s_delay_alu instid0(VALU_DEP_2) | instskip(NEXT) | instid1(VALU_DEP_1)
	v_dual_cndmask_b32 v1, v1, v9 :: v_dual_sub_nc_u32 v10, v7, v0
	v_dual_cndmask_b32 v7, v7, v10, vcc_lo :: v_dual_bitop2_b32 v9, s16, v8 bitop3:0x14
	s_delay_alu instid0(VALU_DEP_2) | instskip(NEXT) | instid1(VALU_DEP_2)
	v_add_nc_u32_e32 v10, 1, v1
	v_cmp_ge_u32_e32 vcc_lo, v7, v0
	s_delay_alu instid0(VALU_DEP_2) | instskip(NEXT) | instid1(VALU_DEP_1)
	v_dual_cndmask_b32 v0, v1, v10 :: v_dual_ashrrev_i32 v9, 31, v9
	v_xor_b32_e32 v0, v0, v9
	s_delay_alu instid0(VALU_DEP_1) | instskip(NEXT) | instid1(VALU_DEP_1)
	v_sub_nc_u32_e32 v1, v0, v9
	v_sub_nc_u32_e32 v0, 0, v1
	s_delay_alu instid0(VALU_DEP_1) | instskip(NEXT) | instid1(VALU_DEP_1)
	v_max_i32_e32 v0, v1, v0
	v_cvt_f32_u32_e32 v7, v0
	s_delay_alu instid0(VALU_DEP_1) | instskip(SKIP_1) | instid1(TRANS32_DEP_1)
	v_rcp_iflag_f32_e32 v7, v7
	v_nop
	v_mul_f32_e32 v7, 0x4f7ffffe, v7
	v_sub_nc_u32_e32 v9, 0, v0
	s_delay_alu instid0(VALU_DEP_2) | instskip(NEXT) | instid1(VALU_DEP_1)
	v_cvt_u32_f32_e32 v7, v7
	v_mul_lo_u32 v9, v9, v7
	s_delay_alu instid0(VALU_DEP_1) | instskip(NEXT) | instid1(VALU_DEP_1)
	v_mul_hi_u32 v9, v7, v9
	v_add_nc_u32_e32 v34, v7, v9
	v_cmpx_ne_u64_e32 0, v[32:33]
	s_cbranch_execz .LBB261_2
; %bb.1:
	s_ashr_i32 s3, s2, 31
	s_delay_alu instid0(SALU_CYCLE_1)
	v_lshl_add_u64 v[6:7], s[2:3], 2, v[32:33]
	flat_load_b32 v6, v[6:7]
	s_wait_loadcnt_dscnt 0x0
	scratch_store_b32 off, v6, s32 offset:448 ; 4-byte Folded Spill
.LBB261_2:
	s_wait_xcnt 0x0
	s_or_b32 exec_lo, exec_lo, s0
	v_mul_u64_e32 v[32:33], s[4:5], v[34:35]
	v_and_b32_e32 v7, 0x3ff, v31
	v_bfe_u32 v6, v31, 1, 9
	v_ashrrev_i32_e32 v1, 31, v1
	s_ashr_i32 s1, s2, 31
	s_lshl_b32 s6, s2, 8
	v_cmp_gt_u32_e64 s0, 64, v7
	scratch_store_b32 off, v6, s32 offset:480 ; 4-byte Folded Spill
	s_wait_xcnt 0x0
	v_and_b32_e32 v6, 1, v31
	v_lshlrev_b32_e32 v52, 3, v7
	s_clause 0x1
	scratch_store_b32 off, v7, s32 offset:424
	scratch_store_b32 off, v6, s32 offset:468
	s_wait_xcnt 0x0
	s_and_saveexec_b32 s3, s0
	s_cbranch_execz .LBB261_4
; %bb.3:
	v_mul_lo_u32 v6, v17, s15
	s_ashr_i32 s7, s6, 31
	s_delay_alu instid0(VALU_DEP_1) | instskip(NEXT) | instid1(VALU_DEP_1)
	v_dual_mov_b32 v53, 0 :: v_dual_ashrrev_i32 v7, 31, v6
	v_lshl_add_u64 v[2:3], v[6:7], 1, v[2:3]
	s_delay_alu instid0(VALU_DEP_1) | instskip(NEXT) | instid1(VALU_DEP_1)
	v_lshl_add_u64 v[2:3], s[6:7], 1, v[2:3]
	v_add_nc_u64_e32 v[2:3], v[2:3], v[52:53]
	flat_load_b64 v[2:3], v[2:3]
	s_clause 0x1
	scratch_load_b32 v6, off, s32 offset:480
	scratch_load_b32 v7, off, s32 offset:468
	s_wait_loadcnt 0x1
	v_lshlrev_b32_e32 v6, 3, v6
	s_wait_loadcnt 0x0
	s_delay_alu instid0(VALU_DEP_1)
	v_lshl_add_u32 v6, v7, 8, v6
	s_wait_dscnt 0x0
	ds_store_b64 v6, v[2:3]
.LBB261_4:
	s_wait_xcnt 0x0
	s_or_b32 exec_lo, exec_lo, s3
	v_mul_lo_u32 v3, v33, v0
	v_dual_sub_nc_u32 v2, 0, v27 :: v_dual_bitop2_b32 v10, s1, v1 bitop3:0x14
	s_wait_loadcnt_dscnt 0x0
	v_add_nc_u32_e32 v1, -1, v12
	s_mov_b32 s1, exec_lo
	s_delay_alu instid0(VALU_DEP_2) | instskip(NEXT) | instid1(VALU_DEP_4)
	v_dual_add_nc_u32 v7, 1, v33 :: v_dual_max_i32 v6, v27, v2
	v_dual_mov_b32 v31, 0 :: v_dual_sub_nc_u32 v3, s4, v3
	s_delay_alu instid0(VALU_DEP_2)
	v_cvt_f32_u32_e32 v2, v6
	scratch_store_b32 off, v6, s32 offset:216 ; 4-byte Folded Spill
	s_wait_xcnt 0x0
	v_sub_nc_u32_e32 v6, 0, v6
	v_cmp_ge_u32_e32 vcc_lo, v3, v0
	v_rcp_iflag_f32_e32 v2, v2
	v_dual_sub_nc_u32 v9, v3, v0 :: v_dual_cndmask_b32 v7, v33, v7, vcc_lo
	s_delay_alu instid0(TRANS32_DEP_1) | instid1(VALU_DEP_1)
	v_dual_cndmask_b32 v3, v3, v9 :: v_dual_mul_f32 v2, 0x4f7ffffe, v2
	s_delay_alu instid0(VALU_DEP_2) | instskip(NEXT) | instid1(VALU_DEP_2)
	v_add_nc_u32_e32 v9, 1, v7
	v_cmp_ge_u32_e32 vcc_lo, v3, v0
	s_delay_alu instid0(VALU_DEP_3) | instskip(NEXT) | instid1(VALU_DEP_3)
	v_cvt_u32_f32_e32 v2, v2
	v_cndmask_b32_e32 v0, v7, v9, vcc_lo
	s_delay_alu instid0(VALU_DEP_2) | instskip(NEXT) | instid1(VALU_DEP_2)
	v_mul_lo_u32 v6, v6, v2
	v_dual_sub_nc_u32 v3, 0, v1 :: v_dual_bitop2_b32 v0, v0, v10 bitop3:0x14
	s_delay_alu instid0(VALU_DEP_1) | instskip(NEXT) | instid1(VALU_DEP_2)
	v_dual_mov_b32 v7, v31 :: v_dual_max_i32 v30, v1, v3
	v_sub_nc_u32_e32 v0, v0, v10
	s_delay_alu instid0(VALU_DEP_4) | instskip(NEXT) | instid1(VALU_DEP_1)
	v_mul_hi_u32 v6, v2, v6
	v_add_nc_u32_e32 v6, v2, v6
                                        ; implicit-def: $vgpr2
                                        ; kill: killed $vgpr2
	scratch_store_b64 off, v[6:7], s32 offset:204 ; 8-byte Folded Spill
	s_wait_storecnt 0x0
	s_barrier_signal -1
	s_barrier_wait -1
	s_wait_xcnt 0x0
	v_cmpx_gt_i32_e32 0, v28
	s_xor_b32 s1, exec_lo, s1
	s_cbranch_execz .LBB261_6
; %bb.5:
	v_mad_u32 v2, v24, v8, v0
                                        ; implicit-def: $vgpr24
	s_delay_alu instid0(VALU_DEP_1) | instskip(NEXT) | instid1(VALU_DEP_1)
	v_mul_lo_u32 v2, v2, v28
                                        ; implicit-def: $vgpr28
	v_sub_nc_u32_e32 v2, 1, v2
	scratch_store_b32 off, v2, s32 offset:220 ; 4-byte Folded Spill
.LBB261_6:
	s_wait_xcnt 0x0
	s_or_saveexec_b32 s1, s1
	scratch_load_b64 v[2:3], off, s32 offset:204 ; 8-byte Folded Reload
	v_ashrrev_i32_e32 v1, 31, v1
	s_wait_loadcnt 0x0
	v_mul_u64_e32 v[32:33], v[30:31], v[2:3]
	v_ashrrev_i32_e32 v2, 31, v27
	scratch_store_b32 off, v2, s32 offset:212 ; 4-byte Folded Spill
	s_wait_xcnt 0x0
	s_xor_b32 exec_lo, exec_lo, s1
	s_cbranch_execz .LBB261_8
; %bb.7:
	v_mad_u32 v2, s16, v24, s2
	s_delay_alu instid0(VALU_DEP_1)
	v_mad_u32 v2, v2, v28, 1
	scratch_store_b32 off, v2, s32 offset:220 ; 4-byte Folded Spill
.LBB261_8:
	s_wait_xcnt 0x0
	s_or_b32 exec_lo, exec_lo, s1
	s_clause 0x1
	scratch_load_b32 v11, off, s32 offset:216
	scratch_load_b32 v9, off, s32 offset:212
	v_mul_lo_u32 v14, v14, s15
	v_mul_lo_u32 v16, v0, v19
	s_load_b32 s7, s[8:9], 0x8
	s_mov_b32 s5, exec_lo
	s_wait_xcnt 0x0
	s_get_pc_i64 s[8:9]
	s_add_nc_u64 s[8:9], s[8:9], llvm.amdgcn.dynlds.offset.table@rel64+4
	v_dual_add_nc_u32 v3, 1, v33 :: v_dual_sub_nc_u32 v27, 0, v26
	s_delay_alu instid0(VALU_DEP_2)
	v_dual_ashrrev_i32 v15, 31, v14 :: v_dual_ashrrev_i32 v17, 31, v16
	scratch_store_b64 off, v[16:17], s32 offset:472 ; 8-byte Folded Spill
	s_wait_loadcnt 0x1
	v_mul_lo_u32 v2, v33, v11
	s_wait_loadcnt 0x0
	v_xor_b32_e32 v1, v1, v9
	scratch_load_b32 v9, off, s32 offset:424 ; 4-byte Folded Reload
	v_dual_sub_nc_u32 v2, v30, v2 :: v_dual_add_nc_u32 v6, 15, v12
	s_delay_alu instid0(VALU_DEP_1) | instskip(SKIP_1) | instid1(VALU_DEP_3)
	v_sub_nc_u32_e32 v7, v2, v11
	v_cmp_ge_u32_e32 vcc_lo, v2, v11
	v_dual_cndmask_b32 v3, v33, v3 :: v_dual_ashrrev_i32 v8, 31, v6
	s_delay_alu instid0(VALU_DEP_3) | instskip(NEXT) | instid1(VALU_DEP_2)
	v_cndmask_b32_e32 v2, v2, v7, vcc_lo
	v_add_nc_u32_e32 v7, 1, v3
	s_delay_alu instid0(VALU_DEP_2) | instskip(SKIP_2) | instid1(VALU_DEP_3)
	v_cmp_ge_u32_e32 vcc_lo, v2, v11
	s_wait_loadcnt 0x0
	v_dual_lshrrev_b32 v10, 5, v9 :: v_dual_lshrrev_b32 v8, 28, v8
	v_dual_cndmask_b32 v2, v3, v7 :: v_dual_mov_b32 v7, 0xff7fffff
	s_delay_alu instid0(VALU_DEP_2) | instskip(NEXT) | instid1(VALU_DEP_2)
	v_add_nc_u32_e32 v0, v6, v8
	v_xor_b32_e32 v2, v2, v1
	s_delay_alu instid0(VALU_DEP_2) | instskip(SKIP_1) | instid1(VALU_DEP_2)
	v_dual_lshrrev_b32 v23, 3, v9 :: v_dual_ashrrev_i32 v3, 4, v0
	v_lshlrev_b32_e32 v0, 4, v10
	v_cmp_ge_i32_e64 s1, v10, v3
	scratch_store_b64 off, v[0:1], s32 offset:500 ; 8-byte Folded Spill
	s_wait_xcnt 0x0
	v_sub_nc_u32_e32 v0, v2, v1
	s_delay_alu instid0(VALU_DEP_1)
	v_sub_nc_u32_e32 v0, v0, v25
	s_clause 0x3
	scratch_store_b64 off, v[14:15], s32 offset:492
	scratch_store_b32 off, v10, s32 offset:464
	scratch_store_b32 off, v3, s32 offset:200
	scratch_store_b32 off, v0, s32 offset:224
	s_wait_xcnt 0x0
	v_cmpx_lt_i32_e64 v10, v3
	s_cbranch_execz .LBB261_1044
; %bb.9:
	v_max_i32_e32 v3, v26, v27
	s_clause 0x3
	scratch_store_b64 off, v[52:53], s32 offset:528
	scratch_store_b64 off, v[50:51], s32 offset:520
	scratch_store_b32 off, v26, s32 offset:516
	scratch_store_b32 off, v27, s32 offset:540
	s_ashr_i32 s11, s10, 31
	s_mov_b32 s18, 0
	s_lshl_b64 s[2:3], s[10:11], 2
	v_cvt_f32_u32_e32 v0, v3
	s_add_nc_u64 s[12:13], s[8:9], s[2:3]
	scratch_load_b32 v6, off, s32 offset:468 ; 4-byte Folded Reload
	s_load_b32 s11, s[12:13], 0x0
	v_rcp_iflag_f32_e32 v0, v0
	v_nop
	s_delay_alu instid0(TRANS32_DEP_1)
	v_mul_f32_e32 v2, 0x4f7ffffe, v0
	s_clause 0x1
	scratch_load_b32 v0, off, s32 offset:424
	scratch_store_b32 off, v3, s32 offset:300
	s_wait_xcnt 0x0
	v_sub_nc_u32_e32 v3, 0, v3
	v_cvt_u32_f32_e32 v2, v2
	s_wait_loadcnt 0x1
	v_cmp_eq_u32_e32 vcc_lo, 0, v6
	v_lshlrev_b32_e32 v50, 8, v6
	s_wait_loadcnt 0x0
	v_bfe_u32 v7, v0, 1, 4
	scratch_load_b64 v[0:1], off, s32 offset:472 ; 8-byte Folded Reload
	s_wait_loadcnt 0x0
	v_add_nc_u64_e32 v[0:1], v[4:5], v[0:1]
	v_dual_mov_b32 v5, 0 :: v_dual_lshlrev_b32 v4, 4, v7
	v_mul_lo_u32 v3, v3, v2
	s_delay_alu instid0(VALU_DEP_2) | instskip(NEXT) | instid1(VALU_DEP_3)
	v_mov_b32_e32 v11, v5
	v_add_nc_u64_e32 v[0:1], v[0:1], v[4:5]
	v_dual_lshlrev_b32 v4, 2, v6 :: v_dual_lshlrev_b32 v6, 2, v7
	s_delay_alu instid0(VALU_DEP_1)
	v_add_nc_u64_e32 v[0:1], v[0:1], v[4:5]
	s_clause 0x3
	scratch_store_b64 off, v[0:1], s32 offset:440
	scratch_store_b32 off, v23, s32 offset:536
	scratch_load_b32 v0, off, s32 offset:448
	scratch_load_b32 v53, off, s32 offset:464
	v_mul_hi_u32 v3, v2, v3
	v_and_b32_e32 v4, 0x7c, v23
	s_delay_alu instid0(VALU_DEP_2)
	v_add_nc_u32_e32 v10, v2, v3
	scratch_store_b64 off, v[10:11], s32 offset:304 ; 8-byte Folded Spill
	s_wait_loadcnt 0x1
	v_cmp_neq_f32_e64 s2, 0, v0
	scratch_load_b64 v[0:1], off, s32 offset:492 ; 8-byte Folded Reload
	s_wait_loadcnt 0x1
	v_lshlrev_b32_e32 v30, 4, v53
	s_wait_loadcnt 0x0
	v_lshl_add_u64 v[0:1], v[0:1], 2, v[4:5]
	v_mov_b32_e32 v4, 0xff7fffff
	scratch_store_b32 off, v7, s32 offset:456 ; 4-byte Folded Spill
	s_wait_xcnt 0x0
	v_sub_nc_u32_e32 v7, v7, v12
	v_lshl_or_b32 v108, v53, 6, v6
	scratch_store_b32 off, v4, s32 offset:436 ; 4-byte Folded Spill
	s_wait_xcnt 0x0
	v_add_nc_u32_e32 v4, 1, v7
	s_clause 0x1
	scratch_load_b64 v[6:7], off, s32 offset:484
	scratch_store_b32 off, v4, s32 offset:460
	s_wait_loadcnt 0x0
	v_add_nc_u64_e32 v[26:27], v[6:7], v[0:1]
	s_branch .LBB261_12
.LBB261_10:                             ;   in Loop: Header=BB261_12 Depth=1
	s_wait_xcnt 0x0
	s_or_b32 exec_lo, exec_lo, s19
.LBB261_11:                             ;   in Loop: Header=BB261_12 Depth=1
	s_delay_alu instid0(SALU_CYCLE_1)
	s_or_b32 exec_lo, exec_lo, s4
	scratch_load_b32 v0, off, s32 offset:200 ; 4-byte Folded Reload
	v_dual_add_nc_u32 v53, 4, v53 :: v_dual_add_nc_u32 v30, 64, v30
	v_add_nc_u64_e32 v[26:27], 16, v[26:27]
	v_add_nc_u32_e32 v108, 0x100, v108
	s_wait_loadcnt 0x0
	s_delay_alu instid0(VALU_DEP_3)
	v_cmp_ge_i32_e64 s3, v53, v0
	s_or_b32 s18, s3, s18
	s_wait_xcnt 0x0
	s_and_not1_b32 exec_lo, exec_lo, s18
	s_cbranch_execz .LBB261_1043
.LBB261_12:                             ; =>This Inner Loop Header: Depth=1
	s_wait_dscnt 0x0
	s_clause 0x1
	scratch_load_b64 v[0:1], off, s32 offset:204
	scratch_load_b32 v4, off, s32 offset:216
	v_mov_b32_e32 v31, v5
	scratch_load_b32 v6, off, s32 offset:300 ; 4-byte Folded Reload
	s_wait_loadcnt 0x2
	v_mul_u64_e32 v[0:1], v[30:31], v[0:1]
	s_wait_loadcnt 0x1
	s_delay_alu instid0(VALU_DEP_1) | instskip(NEXT) | instid1(VALU_DEP_1)
	v_mul_lo_u32 v0, v1, v4
	v_dual_sub_nc_u32 v0, v30, v0 :: v_dual_add_nc_u32 v2, 1, v1
	s_delay_alu instid0(VALU_DEP_1) | instskip(SKIP_1) | instid1(VALU_DEP_1)
	v_sub_nc_u32_e32 v3, v0, v4
	v_cmp_ge_u32_e64 s3, v0, v4
	v_dual_cndmask_b32 v1, v1, v2, s3 :: v_dual_cndmask_b32 v0, v0, v3, s3
	s_delay_alu instid0(VALU_DEP_1) | instskip(NEXT) | instid1(VALU_DEP_2)
	v_add_nc_u32_e32 v2, 1, v1
	v_cmp_ge_u32_e64 s3, v0, v4
	s_delay_alu instid0(VALU_DEP_1) | instskip(SKIP_3) | instid1(VALU_DEP_1)
	v_cndmask_b32_e64 v0, v1, v2, s3
	scratch_load_b32 v1, off, s32 offset:212 ; 4-byte Folded Reload
	s_wait_loadcnt 0x0
	v_xor_b32_e32 v0, v0, v1
	v_sub_nc_u32_e32 v2, v0, v1
	scratch_load_b32 v0, off, s32 offset:220 ; 4-byte Folded Reload
	s_wait_loadcnt 0x0
	v_add_nc_u32_e32 v3, v2, v0
	s_delay_alu instid0(VALU_DEP_1) | instskip(NEXT) | instid1(VALU_DEP_1)
	v_sub_nc_u32_e32 v0, 0, v3
	v_max_i32_e32 v4, v3, v0
	scratch_load_b64 v[0:1], off, s32 offset:304 ; 8-byte Folded Reload
	s_wait_loadcnt 0x0
	v_mul_u64_e32 v[0:1], v[4:5], v[0:1]
	s_delay_alu instid0(VALU_DEP_1) | instskip(NEXT) | instid1(VALU_DEP_1)
	v_mul_lo_u32 v0, v1, v6
	v_dual_sub_nc_u32 v0, v4, v0 :: v_dual_ashrrev_i32 v3, 31, v3
	s_delay_alu instid0(VALU_DEP_1) | instskip(SKIP_1) | instid1(VALU_DEP_1)
	v_sub_nc_u32_e32 v1, v0, v6
	v_cmp_ge_u32_e64 s3, v0, v6
	v_cndmask_b32_e64 v0, v0, v1, s3
	s_delay_alu instid0(VALU_DEP_1) | instskip(SKIP_1) | instid1(VALU_DEP_1)
	v_sub_nc_u32_e32 v1, v0, v6
	v_cmp_ge_u32_e64 s3, v0, v6
	v_cndmask_b32_e64 v0, v0, v1, s3
	s_delay_alu instid0(VALU_DEP_1) | instskip(NEXT) | instid1(VALU_DEP_1)
	v_xor_b32_e32 v0, v0, v3
	v_sub_nc_u32_e32 v0, v0, v3
	s_delay_alu instid0(VALU_DEP_1)
	v_cmp_ne_u32_e64 s3, 0, v0
	scratch_load_b32 v0, off, s32 offset:224 ; 4-byte Folded Reload
	s_wait_loadcnt 0x0
	v_cmp_le_i32_e64 s4, v2, v0
	s_and_b32 s3, s3, s4
	s_wait_xcnt 0x0
	s_and_saveexec_b32 s4, s3
	s_delay_alu instid0(SALU_CYCLE_1)
	s_xor_b32 s3, exec_lo, s4
	s_cbranch_execz .LBB261_16
; %bb.13:                               ;   in Loop: Header=BB261_12 Depth=1
	s_and_saveexec_b32 s4, vcc_lo
	s_cbranch_execz .LBB261_15
; %bb.14:                               ;   in Loop: Header=BB261_12 Depth=1
	s_wait_kmcnt 0x0
	v_dual_mov_b32 v1, 0xff7fffff :: v_dual_add_nc_u32 v0, s11, v108
	ds_store_b32 v0, v1
.LBB261_15:                             ;   in Loop: Header=BB261_12 Depth=1
	s_or_b32 exec_lo, exec_lo, s4
.LBB261_16:                             ;   in Loop: Header=BB261_12 Depth=1
	s_and_not1_saveexec_b32 s4, s3
	s_cbranch_execz .LBB261_11
; %bb.17:                               ;   in Loop: Header=BB261_12 Depth=1
	flat_load_b32 v0, v[26:27]
	s_clause 0x1
	scratch_load_b64 v[2:3], off, s32 offset:292
	scratch_load_b64 v[6:7], off, s32 offset:440
	v_dual_mov_b32 v22, 0 :: v_dual_mov_b32 v119, 0
	s_mov_b32 s19, exec_lo
	s_wait_loadcnt_dscnt 0x0
	v_mad_nc_i64_i32 v[36:37], v0, v2, v[6:7]
	flat_load_b32 v38, v[36:37]
	scratch_load_b64 v[0:1], off, s32 offset:428 ; 8-byte Folded Reload
	s_wait_loadcnt 0x0
	flat_load_b32 v31, v[0:1]
	s_wait_dscnt 0x1
	s_wait_xcnt 0x0
	v_and_b32_e32 v0, 0xff, v38
	s_delay_alu instid0(VALU_DEP_1)
	v_cmpx_ne_u16_e32 0, v0
	s_cbranch_execz .LBB261_25
; %bb.18:                               ;   in Loop: Header=BB261_12 Depth=1
	v_mov_b32_e32 v119, 0x8000
	s_mov_b32 s20, exec_lo
	v_cmpx_ne_u16_e32 0x80, v0
	s_cbranch_execz .LBB261_24
; %bb.19:                               ;   in Loop: Header=BB261_12 Depth=1
	v_and_b32_e32 v2, 0x7f, v38
	v_mov_b32_e32 v119, 0x7c01
	s_mov_b32 s21, exec_lo
	s_delay_alu instid0(VALU_DEP_2)
	v_cmpx_ne_u32_e32 0x7f, v2
	s_cbranch_execz .LBB261_23
; %bb.20:                               ;   in Loop: Header=BB261_12 Depth=1
	v_and_b32_e32 v0, 7, v38
	v_lshrrev_b32_e32 v1, 3, v2
	s_mov_b32 s22, exec_lo
	v_cmpx_gt_u32_e32 8, v2
; %bb.21:                               ;   in Loop: Header=BB261_12 Depth=1
	s_delay_alu instid0(VALU_DEP_3) | instskip(NEXT) | instid1(VALU_DEP_1)
	v_clz_i32_u32_e32 v0, v0
	v_min_u32_e32 v2, 32, v0
	s_delay_alu instid0(VALU_DEP_1) | instskip(NEXT) | instid1(VALU_DEP_1)
	v_subrev_nc_u32_e32 v0, 28, v2
	v_lshlrev_b64_e32 v[0:1], v0, v[38:39]
	s_delay_alu instid0(VALU_DEP_1)
	v_dual_sub_nc_u32 v1, 29, v2 :: v_dual_bitop2_b32 v0, 7, v0 bitop3:0x40
; %bb.22:                               ;   in Loop: Header=BB261_12 Depth=1
	s_or_b32 exec_lo, exec_lo, s22
	s_delay_alu instid0(VALU_DEP_1) | instskip(NEXT) | instid1(VALU_DEP_2)
	v_dual_lshlrev_b32 v2, 8, v38 :: v_dual_lshlrev_b32 v0, 7, v0
	v_lshl_add_u32 v1, v1, 10, 0x2000
	s_delay_alu instid0(VALU_DEP_2) | instskip(NEXT) | instid1(VALU_DEP_2)
	v_and_b32_e32 v2, 0x8000, v2
	v_and_b32_e32 v1, 0xfc00, v1
	s_delay_alu instid0(VALU_DEP_1)
	v_or3_b32 v119, v2, v1, v0
.LBB261_23:                             ;   in Loop: Header=BB261_12 Depth=1
	s_or_b32 exec_lo, exec_lo, s21
.LBB261_24:                             ;   in Loop: Header=BB261_12 Depth=1
	s_delay_alu instid0(SALU_CYCLE_1)
	s_or_b32 exec_lo, exec_lo, s20
.LBB261_25:                             ;   in Loop: Header=BB261_12 Depth=1
	s_delay_alu instid0(SALU_CYCLE_1) | instskip(SKIP_2) | instid1(VALU_DEP_1)
	s_or_b32 exec_lo, exec_lo, s19
	v_lshrrev_b16 v4, 8, v38
	s_mov_b32 s19, exec_lo
	v_cmpx_ne_u16_e32 0, v4
	s_cbranch_execz .LBB261_33
; %bb.26:                               ;   in Loop: Header=BB261_12 Depth=1
	v_bfrev_b32_e32 v22, 1
	s_mov_b32 s20, exec_lo
	v_cmpx_ne_u16_e32 0x80, v4
	s_cbranch_execz .LBB261_32
; %bb.27:                               ;   in Loop: Header=BB261_12 Depth=1
	v_and_b32_e32 v0, 0xffff, v4
	v_mov_b32_e32 v22, 0x7c010000
	s_mov_b32 s21, exec_lo
	s_delay_alu instid0(VALU_DEP_2) | instskip(NEXT) | instid1(VALU_DEP_1)
	v_and_b32_e32 v3, 0x7f, v0
	v_cmpx_ne_u32_e32 0x7f, v3
	s_cbranch_execz .LBB261_31
; %bb.28:                               ;   in Loop: Header=BB261_12 Depth=1
	v_dual_lshrrev_b32 v2, 3, v3 :: v_dual_bitop2_b32 v1, 7, v0 bitop3:0x40
	s_mov_b32 s22, exec_lo
	v_cmpx_gt_u32_e32 8, v3
; %bb.29:                               ;   in Loop: Header=BB261_12 Depth=1
	s_delay_alu instid0(VALU_DEP_2) | instskip(NEXT) | instid1(VALU_DEP_1)
	v_clz_i32_u32_e32 v1, v1
	v_min_u32_e32 v1, 32, v1
	s_delay_alu instid0(VALU_DEP_1) | instskip(NEXT) | instid1(VALU_DEP_1)
	v_subrev_nc_u32_e32 v2, 28, v1
	v_lshlrev_b64_e32 v[6:7], v2, v[4:5]
	s_delay_alu instid0(VALU_DEP_1)
	v_dual_sub_nc_u32 v2, 29, v1 :: v_dual_bitop2_b32 v1, 7, v6 bitop3:0x40
; %bb.30:                               ;   in Loop: Header=BB261_12 Depth=1
	s_or_b32 exec_lo, exec_lo, s22
	s_delay_alu instid0(VALU_DEP_1) | instskip(NEXT) | instid1(VALU_DEP_2)
	v_dual_lshlrev_b32 v0, 8, v0 :: v_dual_lshlrev_b32 v1, 23, v1
	v_lshl_add_u32 v2, v2, 10, 0x2000
	s_delay_alu instid0(VALU_DEP_1) | instskip(NEXT) | instid1(VALU_DEP_1)
	v_and_or_b32 v0, 0x8000, v0, v2
	v_lshl_or_b32 v22, v0, 16, v1
.LBB261_31:                             ;   in Loop: Header=BB261_12 Depth=1
	s_or_b32 exec_lo, exec_lo, s21
.LBB261_32:                             ;   in Loop: Header=BB261_12 Depth=1
	s_delay_alu instid0(SALU_CYCLE_1)
	s_or_b32 exec_lo, exec_lo, s20
.LBB261_33:                             ;   in Loop: Header=BB261_12 Depth=1
	s_delay_alu instid0(SALU_CYCLE_1) | instskip(SKIP_3) | instid1(VALU_DEP_2)
	s_or_b32 exec_lo, exec_lo, s19
	v_dual_mov_b32 v111, 0 :: v_dual_lshrrev_b32 v4, 16, v38
	v_mov_b32_e32 v118, 0
	s_mov_b32 s19, exec_lo
	v_and_b32_e32 v0, 0xff, v4
	s_delay_alu instid0(VALU_DEP_1)
	v_cmpx_ne_u16_e32 0, v0
	s_cbranch_execz .LBB261_41
; %bb.34:                               ;   in Loop: Header=BB261_12 Depth=1
	v_mov_b32_e32 v118, 0x8000
	s_mov_b32 s20, exec_lo
	v_cmpx_ne_u16_e32 0x80, v0
	s_cbranch_execz .LBB261_40
; %bb.35:                               ;   in Loop: Header=BB261_12 Depth=1
	v_bfe_u32 v2, v38, 16, 7
	v_mov_b32_e32 v118, 0x7c01
	s_mov_b32 s21, exec_lo
	s_delay_alu instid0(VALU_DEP_2)
	v_cmpx_ne_u32_e32 0x7f, v2
	s_cbranch_execz .LBB261_39
; %bb.36:                               ;   in Loop: Header=BB261_12 Depth=1
	v_dual_lshrrev_b32 v1, 3, v2 :: v_dual_bitop2_b32 v0, 7, v4 bitop3:0x40
	s_mov_b32 s22, exec_lo
	v_cmpx_gt_u32_e32 8, v2
; %bb.37:                               ;   in Loop: Header=BB261_12 Depth=1
	s_delay_alu instid0(VALU_DEP_2) | instskip(NEXT) | instid1(VALU_DEP_1)
	v_clz_i32_u32_e32 v0, v0
	v_min_u32_e32 v2, 32, v0
	s_delay_alu instid0(VALU_DEP_1) | instskip(NEXT) | instid1(VALU_DEP_1)
	v_subrev_nc_u32_e32 v0, 28, v2
	v_lshlrev_b64_e32 v[0:1], v0, v[4:5]
	s_delay_alu instid0(VALU_DEP_1)
	v_dual_sub_nc_u32 v1, 29, v2 :: v_dual_bitop2_b32 v0, 7, v0 bitop3:0x40
; %bb.38:                               ;   in Loop: Header=BB261_12 Depth=1
	s_or_b32 exec_lo, exec_lo, s22
	v_lshlrev_b32_e32 v2, 8, v4
	s_delay_alu instid0(VALU_DEP_2) | instskip(NEXT) | instid1(VALU_DEP_3)
	v_lshl_add_u32 v1, v1, 10, 0x2000
	v_lshlrev_b32_e32 v0, 7, v0
	s_delay_alu instid0(VALU_DEP_3) | instskip(NEXT) | instid1(VALU_DEP_3)
	v_and_b32_e32 v2, 0x8000, v2
	v_and_b32_e32 v1, 0xfc00, v1
	s_delay_alu instid0(VALU_DEP_1)
	v_or3_b32 v118, v2, v1, v0
.LBB261_39:                             ;   in Loop: Header=BB261_12 Depth=1
	s_or_b32 exec_lo, exec_lo, s21
.LBB261_40:                             ;   in Loop: Header=BB261_12 Depth=1
	s_delay_alu instid0(SALU_CYCLE_1)
	s_or_b32 exec_lo, exec_lo, s20
.LBB261_41:                             ;   in Loop: Header=BB261_12 Depth=1
	s_delay_alu instid0(SALU_CYCLE_1) | instskip(NEXT) | instid1(SALU_CYCLE_1)
	s_or_b32 exec_lo, exec_lo, s19
	s_mov_b32 s19, exec_lo
	v_cmpx_lt_u32_e32 0xffffff, v38
	s_cbranch_execz .LBB261_49
; %bb.42:                               ;   in Loop: Header=BB261_12 Depth=1
	v_lshrrev_b32_e32 v4, 24, v38
	v_bfrev_b32_e32 v111, 1
	s_mov_b32 s20, exec_lo
	s_delay_alu instid0(VALU_DEP_2)
	v_cmpx_ne_u32_e32 0x80, v4
	s_cbranch_execz .LBB261_48
; %bb.43:                               ;   in Loop: Header=BB261_12 Depth=1
	v_and_b32_e32 v2, 0x7f, v4
	v_mov_b32_e32 v111, 0x7c010000
	s_mov_b32 s21, exec_lo
	s_delay_alu instid0(VALU_DEP_2)
	v_cmpx_ne_u32_e32 0x7f, v2
	s_cbranch_execz .LBB261_47
; %bb.44:                               ;   in Loop: Header=BB261_12 Depth=1
	v_dual_lshrrev_b32 v1, 3, v2 :: v_dual_bitop2_b32 v0, 7, v4 bitop3:0x40
	s_mov_b32 s22, exec_lo
	v_cmpx_gt_u32_e32 8, v2
; %bb.45:                               ;   in Loop: Header=BB261_12 Depth=1
	s_delay_alu instid0(VALU_DEP_2) | instskip(NEXT) | instid1(VALU_DEP_1)
	v_clz_i32_u32_e32 v0, v0
	v_min_u32_e32 v2, 32, v0
	s_delay_alu instid0(VALU_DEP_1) | instskip(NEXT) | instid1(VALU_DEP_1)
	v_subrev_nc_u32_e32 v0, 28, v2
	v_lshlrev_b64_e32 v[0:1], v0, v[4:5]
	s_delay_alu instid0(VALU_DEP_1)
	v_dual_sub_nc_u32 v1, 29, v2 :: v_dual_bitop2_b32 v0, 7, v0 bitop3:0x40
; %bb.46:                               ;   in Loop: Header=BB261_12 Depth=1
	s_or_b32 exec_lo, exec_lo, s22
	v_lshlrev_b32_e32 v2, 8, v4
	s_delay_alu instid0(VALU_DEP_2) | instskip(NEXT) | instid1(VALU_DEP_3)
	v_lshl_add_u32 v1, v1, 10, 0x2000
	v_lshlrev_b32_e32 v0, 23, v0
	s_delay_alu instid0(VALU_DEP_2) | instskip(NEXT) | instid1(VALU_DEP_1)
	v_and_or_b32 v1, 0x8000, v2, v1
	v_lshl_or_b32 v111, v1, 16, v0
.LBB261_47:                             ;   in Loop: Header=BB261_12 Depth=1
	s_or_b32 exec_lo, exec_lo, s21
.LBB261_48:                             ;   in Loop: Header=BB261_12 Depth=1
	s_delay_alu instid0(SALU_CYCLE_1)
	s_or_b32 exec_lo, exec_lo, s20
.LBB261_49:                             ;   in Loop: Header=BB261_12 Depth=1
	s_delay_alu instid0(SALU_CYCLE_1)
	s_or_b32 exec_lo, exec_lo, s19
	flat_load_b32 v38, v[36:37] offset:8
	v_dual_mov_b32 v34, 0 :: v_dual_mov_b32 v28, 0
	s_mov_b32 s19, exec_lo
	s_wait_loadcnt_dscnt 0x0
	v_and_b32_e32 v0, 0xff, v38
	s_wait_xcnt 0x0
	s_delay_alu instid0(VALU_DEP_1)
	v_cmpx_ne_u16_e32 0, v0
	s_cbranch_execz .LBB261_57
; %bb.50:                               ;   in Loop: Header=BB261_12 Depth=1
	v_mov_b32_e32 v28, 0x8000
	s_mov_b32 s20, exec_lo
	v_cmpx_ne_u16_e32 0x80, v0
	s_cbranch_execz .LBB261_56
; %bb.51:                               ;   in Loop: Header=BB261_12 Depth=1
	v_and_b32_e32 v2, 0x7f, v38
	v_mov_b32_e32 v28, 0x7c01
	s_mov_b32 s21, exec_lo
	s_delay_alu instid0(VALU_DEP_2)
	v_cmpx_ne_u32_e32 0x7f, v2
	s_cbranch_execz .LBB261_55
; %bb.52:                               ;   in Loop: Header=BB261_12 Depth=1
	v_and_b32_e32 v0, 7, v38
	v_lshrrev_b32_e32 v1, 3, v2
	s_mov_b32 s22, exec_lo
	v_cmpx_gt_u32_e32 8, v2
; %bb.53:                               ;   in Loop: Header=BB261_12 Depth=1
	s_delay_alu instid0(VALU_DEP_3) | instskip(NEXT) | instid1(VALU_DEP_1)
	v_clz_i32_u32_e32 v0, v0
	v_min_u32_e32 v2, 32, v0
	s_delay_alu instid0(VALU_DEP_1) | instskip(NEXT) | instid1(VALU_DEP_1)
	v_subrev_nc_u32_e32 v0, 28, v2
	v_lshlrev_b64_e32 v[0:1], v0, v[38:39]
	s_delay_alu instid0(VALU_DEP_1)
	v_dual_sub_nc_u32 v1, 29, v2 :: v_dual_bitop2_b32 v0, 7, v0 bitop3:0x40
; %bb.54:                               ;   in Loop: Header=BB261_12 Depth=1
	s_or_b32 exec_lo, exec_lo, s22
	s_delay_alu instid0(VALU_DEP_1) | instskip(NEXT) | instid1(VALU_DEP_2)
	v_dual_lshlrev_b32 v2, 8, v38 :: v_dual_lshlrev_b32 v0, 7, v0
	v_lshl_add_u32 v1, v1, 10, 0x2000
	s_delay_alu instid0(VALU_DEP_2) | instskip(NEXT) | instid1(VALU_DEP_2)
	v_and_b32_e32 v2, 0x8000, v2
	v_and_b32_e32 v1, 0xfc00, v1
	s_delay_alu instid0(VALU_DEP_1)
	v_or3_b32 v28, v2, v1, v0
.LBB261_55:                             ;   in Loop: Header=BB261_12 Depth=1
	s_or_b32 exec_lo, exec_lo, s21
.LBB261_56:                             ;   in Loop: Header=BB261_12 Depth=1
	s_delay_alu instid0(SALU_CYCLE_1)
	s_or_b32 exec_lo, exec_lo, s20
.LBB261_57:                             ;   in Loop: Header=BB261_12 Depth=1
	s_delay_alu instid0(SALU_CYCLE_1) | instskip(SKIP_2) | instid1(VALU_DEP_1)
	s_or_b32 exec_lo, exec_lo, s19
	v_lshrrev_b16 v4, 8, v38
	s_mov_b32 s19, exec_lo
	v_cmpx_ne_u16_e32 0, v4
	s_cbranch_execz .LBB261_65
; %bb.58:                               ;   in Loop: Header=BB261_12 Depth=1
	v_bfrev_b32_e32 v34, 1
	s_mov_b32 s20, exec_lo
	v_cmpx_ne_u16_e32 0x80, v4
	s_cbranch_execz .LBB261_64
; %bb.59:                               ;   in Loop: Header=BB261_12 Depth=1
	v_and_b32_e32 v0, 0xffff, v4
	v_mov_b32_e32 v34, 0x7c010000
	s_mov_b32 s21, exec_lo
	s_delay_alu instid0(VALU_DEP_2) | instskip(NEXT) | instid1(VALU_DEP_1)
	v_and_b32_e32 v3, 0x7f, v0
	v_cmpx_ne_u32_e32 0x7f, v3
	s_cbranch_execz .LBB261_63
; %bb.60:                               ;   in Loop: Header=BB261_12 Depth=1
	v_dual_lshrrev_b32 v2, 3, v3 :: v_dual_bitop2_b32 v1, 7, v0 bitop3:0x40
	s_mov_b32 s22, exec_lo
	v_cmpx_gt_u32_e32 8, v3
; %bb.61:                               ;   in Loop: Header=BB261_12 Depth=1
	s_delay_alu instid0(VALU_DEP_2) | instskip(NEXT) | instid1(VALU_DEP_1)
	v_clz_i32_u32_e32 v1, v1
	v_min_u32_e32 v1, 32, v1
	s_delay_alu instid0(VALU_DEP_1) | instskip(NEXT) | instid1(VALU_DEP_1)
	v_subrev_nc_u32_e32 v2, 28, v1
	v_lshlrev_b64_e32 v[6:7], v2, v[4:5]
	s_delay_alu instid0(VALU_DEP_1)
	v_dual_sub_nc_u32 v2, 29, v1 :: v_dual_bitop2_b32 v1, 7, v6 bitop3:0x40
; %bb.62:                               ;   in Loop: Header=BB261_12 Depth=1
	s_or_b32 exec_lo, exec_lo, s22
	s_delay_alu instid0(VALU_DEP_1) | instskip(NEXT) | instid1(VALU_DEP_2)
	v_dual_lshlrev_b32 v0, 8, v0 :: v_dual_lshlrev_b32 v1, 23, v1
	v_lshl_add_u32 v2, v2, 10, 0x2000
	s_delay_alu instid0(VALU_DEP_1) | instskip(NEXT) | instid1(VALU_DEP_1)
	v_and_or_b32 v0, 0x8000, v0, v2
	v_lshl_or_b32 v34, v0, 16, v1
.LBB261_63:                             ;   in Loop: Header=BB261_12 Depth=1
	s_or_b32 exec_lo, exec_lo, s21
.LBB261_64:                             ;   in Loop: Header=BB261_12 Depth=1
	s_delay_alu instid0(SALU_CYCLE_1)
	s_or_b32 exec_lo, exec_lo, s20
.LBB261_65:                             ;   in Loop: Header=BB261_12 Depth=1
	s_delay_alu instid0(SALU_CYCLE_1) | instskip(SKIP_3) | instid1(VALU_DEP_2)
	s_or_b32 exec_lo, exec_lo, s19
	v_dual_mov_b32 v39, 0 :: v_dual_lshrrev_b32 v4, 16, v38
	v_mov_b32_e32 v110, 0
	s_mov_b32 s19, exec_lo
	v_and_b32_e32 v0, 0xff, v4
	s_delay_alu instid0(VALU_DEP_1)
	v_cmpx_ne_u16_e32 0, v0
	s_cbranch_execz .LBB261_73
; %bb.66:                               ;   in Loop: Header=BB261_12 Depth=1
	v_mov_b32_e32 v110, 0x8000
	s_mov_b32 s20, exec_lo
	v_cmpx_ne_u16_e32 0x80, v0
	s_cbranch_execz .LBB261_72
; %bb.67:                               ;   in Loop: Header=BB261_12 Depth=1
	v_bfe_u32 v2, v38, 16, 7
	v_mov_b32_e32 v110, 0x7c01
	s_mov_b32 s21, exec_lo
	s_delay_alu instid0(VALU_DEP_2)
	v_cmpx_ne_u32_e32 0x7f, v2
	s_cbranch_execz .LBB261_71
; %bb.68:                               ;   in Loop: Header=BB261_12 Depth=1
	v_dual_lshrrev_b32 v1, 3, v2 :: v_dual_bitop2_b32 v0, 7, v4 bitop3:0x40
	s_mov_b32 s22, exec_lo
	v_cmpx_gt_u32_e32 8, v2
; %bb.69:                               ;   in Loop: Header=BB261_12 Depth=1
	s_delay_alu instid0(VALU_DEP_2) | instskip(NEXT) | instid1(VALU_DEP_1)
	v_clz_i32_u32_e32 v0, v0
	v_min_u32_e32 v2, 32, v0
	s_delay_alu instid0(VALU_DEP_1) | instskip(NEXT) | instid1(VALU_DEP_1)
	v_subrev_nc_u32_e32 v0, 28, v2
	v_lshlrev_b64_e32 v[0:1], v0, v[4:5]
	s_delay_alu instid0(VALU_DEP_1)
	v_dual_sub_nc_u32 v1, 29, v2 :: v_dual_bitop2_b32 v0, 7, v0 bitop3:0x40
; %bb.70:                               ;   in Loop: Header=BB261_12 Depth=1
	s_or_b32 exec_lo, exec_lo, s22
	v_lshlrev_b32_e32 v2, 8, v4
	s_delay_alu instid0(VALU_DEP_2) | instskip(NEXT) | instid1(VALU_DEP_3)
	v_lshl_add_u32 v1, v1, 10, 0x2000
	v_lshlrev_b32_e32 v0, 7, v0
	s_delay_alu instid0(VALU_DEP_3) | instskip(NEXT) | instid1(VALU_DEP_3)
	v_and_b32_e32 v2, 0x8000, v2
	v_and_b32_e32 v1, 0xfc00, v1
	s_delay_alu instid0(VALU_DEP_1)
	v_or3_b32 v110, v2, v1, v0
.LBB261_71:                             ;   in Loop: Header=BB261_12 Depth=1
	s_or_b32 exec_lo, exec_lo, s21
.LBB261_72:                             ;   in Loop: Header=BB261_12 Depth=1
	s_delay_alu instid0(SALU_CYCLE_1)
	s_or_b32 exec_lo, exec_lo, s20
.LBB261_73:                             ;   in Loop: Header=BB261_12 Depth=1
	s_delay_alu instid0(SALU_CYCLE_1) | instskip(NEXT) | instid1(SALU_CYCLE_1)
	s_or_b32 exec_lo, exec_lo, s19
	s_mov_b32 s19, exec_lo
	v_cmpx_lt_u32_e32 0xffffff, v38
	s_cbranch_execz .LBB261_81
; %bb.74:                               ;   in Loop: Header=BB261_12 Depth=1
	v_lshrrev_b32_e32 v4, 24, v38
	v_bfrev_b32_e32 v39, 1
	s_mov_b32 s20, exec_lo
	s_delay_alu instid0(VALU_DEP_2)
	v_cmpx_ne_u32_e32 0x80, v4
	s_cbranch_execz .LBB261_80
; %bb.75:                               ;   in Loop: Header=BB261_12 Depth=1
	v_and_b32_e32 v2, 0x7f, v4
	v_mov_b32_e32 v39, 0x7c010000
	s_mov_b32 s21, exec_lo
	s_delay_alu instid0(VALU_DEP_2)
	v_cmpx_ne_u32_e32 0x7f, v2
	s_cbranch_execz .LBB261_79
; %bb.76:                               ;   in Loop: Header=BB261_12 Depth=1
	v_dual_lshrrev_b32 v1, 3, v2 :: v_dual_bitop2_b32 v0, 7, v4 bitop3:0x40
	s_mov_b32 s22, exec_lo
	v_cmpx_gt_u32_e32 8, v2
; %bb.77:                               ;   in Loop: Header=BB261_12 Depth=1
	s_delay_alu instid0(VALU_DEP_2) | instskip(NEXT) | instid1(VALU_DEP_1)
	v_clz_i32_u32_e32 v0, v0
	v_min_u32_e32 v2, 32, v0
	s_delay_alu instid0(VALU_DEP_1) | instskip(NEXT) | instid1(VALU_DEP_1)
	v_subrev_nc_u32_e32 v0, 28, v2
	v_lshlrev_b64_e32 v[0:1], v0, v[4:5]
	s_delay_alu instid0(VALU_DEP_1)
	v_dual_sub_nc_u32 v1, 29, v2 :: v_dual_bitop2_b32 v0, 7, v0 bitop3:0x40
; %bb.78:                               ;   in Loop: Header=BB261_12 Depth=1
	s_or_b32 exec_lo, exec_lo, s22
	v_lshlrev_b32_e32 v2, 8, v4
	s_delay_alu instid0(VALU_DEP_2) | instskip(NEXT) | instid1(VALU_DEP_3)
	v_lshl_add_u32 v1, v1, 10, 0x2000
	v_lshlrev_b32_e32 v0, 23, v0
	s_delay_alu instid0(VALU_DEP_2) | instskip(NEXT) | instid1(VALU_DEP_1)
	v_and_or_b32 v1, 0x8000, v2, v1
	v_lshl_or_b32 v39, v1, 16, v0
.LBB261_79:                             ;   in Loop: Header=BB261_12 Depth=1
	s_or_b32 exec_lo, exec_lo, s21
.LBB261_80:                             ;   in Loop: Header=BB261_12 Depth=1
	s_delay_alu instid0(SALU_CYCLE_1)
	s_or_b32 exec_lo, exec_lo, s20
.LBB261_81:                             ;   in Loop: Header=BB261_12 Depth=1
	s_delay_alu instid0(SALU_CYCLE_1)
	s_or_b32 exec_lo, exec_lo, s19
	flat_load_b32 v38, v[36:37] offset:256
	v_dual_mov_b32 v41, 0 :: v_dual_mov_b32 v43, 0
	s_mov_b32 s19, exec_lo
	s_wait_loadcnt_dscnt 0x0
	v_and_b32_e32 v0, 0xff, v38
	s_wait_xcnt 0x0
	s_delay_alu instid0(VALU_DEP_1)
	v_cmpx_ne_u16_e32 0, v0
	s_cbranch_execz .LBB261_89
; %bb.82:                               ;   in Loop: Header=BB261_12 Depth=1
	v_mov_b32_e32 v43, 0x8000
	s_mov_b32 s20, exec_lo
	v_cmpx_ne_u16_e32 0x80, v0
	s_cbranch_execz .LBB261_88
; %bb.83:                               ;   in Loop: Header=BB261_12 Depth=1
	v_and_b32_e32 v2, 0x7f, v38
	v_mov_b32_e32 v43, 0x7c01
	s_mov_b32 s21, exec_lo
	s_delay_alu instid0(VALU_DEP_2)
	v_cmpx_ne_u32_e32 0x7f, v2
	s_cbranch_execz .LBB261_87
; %bb.84:                               ;   in Loop: Header=BB261_12 Depth=1
	v_and_b32_e32 v0, 7, v38
	v_lshrrev_b32_e32 v1, 3, v2
	s_mov_b32 s22, exec_lo
	v_cmpx_gt_u32_e32 8, v2
; %bb.85:                               ;   in Loop: Header=BB261_12 Depth=1
	s_delay_alu instid0(VALU_DEP_3) | instskip(NEXT) | instid1(VALU_DEP_1)
	v_clz_i32_u32_e32 v0, v0
	v_min_u32_e32 v2, 32, v0
	s_delay_alu instid0(VALU_DEP_1) | instskip(NEXT) | instid1(VALU_DEP_1)
	v_subrev_nc_u32_e32 v0, 28, v2
	v_lshlrev_b64_e32 v[0:1], v0, v[38:39]
	s_delay_alu instid0(VALU_DEP_1)
	v_dual_sub_nc_u32 v1, 29, v2 :: v_dual_bitop2_b32 v0, 7, v0 bitop3:0x40
; %bb.86:                               ;   in Loop: Header=BB261_12 Depth=1
	s_or_b32 exec_lo, exec_lo, s22
	s_delay_alu instid0(VALU_DEP_1) | instskip(NEXT) | instid1(VALU_DEP_2)
	v_dual_lshlrev_b32 v2, 8, v38 :: v_dual_lshlrev_b32 v0, 7, v0
	v_lshl_add_u32 v1, v1, 10, 0x2000
	s_delay_alu instid0(VALU_DEP_2) | instskip(NEXT) | instid1(VALU_DEP_2)
	v_and_b32_e32 v2, 0x8000, v2
	v_and_b32_e32 v1, 0xfc00, v1
	s_delay_alu instid0(VALU_DEP_1)
	v_or3_b32 v43, v2, v1, v0
.LBB261_87:                             ;   in Loop: Header=BB261_12 Depth=1
	s_or_b32 exec_lo, exec_lo, s21
.LBB261_88:                             ;   in Loop: Header=BB261_12 Depth=1
	s_delay_alu instid0(SALU_CYCLE_1)
	s_or_b32 exec_lo, exec_lo, s20
.LBB261_89:                             ;   in Loop: Header=BB261_12 Depth=1
	s_delay_alu instid0(SALU_CYCLE_1) | instskip(SKIP_2) | instid1(VALU_DEP_1)
	s_or_b32 exec_lo, exec_lo, s19
	v_lshrrev_b16 v4, 8, v38
	s_mov_b32 s19, exec_lo
	v_cmpx_ne_u16_e32 0, v4
	s_cbranch_execz .LBB261_97
; %bb.90:                               ;   in Loop: Header=BB261_12 Depth=1
	v_bfrev_b32_e32 v41, 1
	s_mov_b32 s20, exec_lo
	v_cmpx_ne_u16_e32 0x80, v4
	s_cbranch_execz .LBB261_96
; %bb.91:                               ;   in Loop: Header=BB261_12 Depth=1
	v_and_b32_e32 v0, 0xffff, v4
	v_mov_b32_e32 v41, 0x7c010000
	s_mov_b32 s21, exec_lo
	s_delay_alu instid0(VALU_DEP_2) | instskip(NEXT) | instid1(VALU_DEP_1)
	v_and_b32_e32 v3, 0x7f, v0
	v_cmpx_ne_u32_e32 0x7f, v3
	s_cbranch_execz .LBB261_95
; %bb.92:                               ;   in Loop: Header=BB261_12 Depth=1
	v_dual_lshrrev_b32 v2, 3, v3 :: v_dual_bitop2_b32 v1, 7, v0 bitop3:0x40
	s_mov_b32 s22, exec_lo
	v_cmpx_gt_u32_e32 8, v3
; %bb.93:                               ;   in Loop: Header=BB261_12 Depth=1
	s_delay_alu instid0(VALU_DEP_2) | instskip(NEXT) | instid1(VALU_DEP_1)
	v_clz_i32_u32_e32 v1, v1
	v_min_u32_e32 v1, 32, v1
	s_delay_alu instid0(VALU_DEP_1) | instskip(NEXT) | instid1(VALU_DEP_1)
	v_subrev_nc_u32_e32 v2, 28, v1
	v_lshlrev_b64_e32 v[6:7], v2, v[4:5]
	s_delay_alu instid0(VALU_DEP_1)
	v_dual_sub_nc_u32 v2, 29, v1 :: v_dual_bitop2_b32 v1, 7, v6 bitop3:0x40
; %bb.94:                               ;   in Loop: Header=BB261_12 Depth=1
	s_or_b32 exec_lo, exec_lo, s22
	s_delay_alu instid0(VALU_DEP_1) | instskip(NEXT) | instid1(VALU_DEP_2)
	v_dual_lshlrev_b32 v0, 8, v0 :: v_dual_lshlrev_b32 v1, 23, v1
	v_lshl_add_u32 v2, v2, 10, 0x2000
	s_delay_alu instid0(VALU_DEP_1) | instskip(NEXT) | instid1(VALU_DEP_1)
	v_and_or_b32 v0, 0x8000, v0, v2
	v_lshl_or_b32 v41, v0, 16, v1
.LBB261_95:                             ;   in Loop: Header=BB261_12 Depth=1
	s_or_b32 exec_lo, exec_lo, s21
.LBB261_96:                             ;   in Loop: Header=BB261_12 Depth=1
	s_delay_alu instid0(SALU_CYCLE_1)
	s_or_b32 exec_lo, exec_lo, s20
.LBB261_97:                             ;   in Loop: Header=BB261_12 Depth=1
	s_delay_alu instid0(SALU_CYCLE_1) | instskip(SKIP_3) | instid1(VALU_DEP_2)
	s_or_b32 exec_lo, exec_lo, s19
	v_dual_lshrrev_b32 v4, 16, v38 :: v_dual_mov_b32 v44, 0
	v_mov_b32_e32 v46, 0
	s_mov_b32 s19, exec_lo
	v_and_b32_e32 v0, 0xff, v4
	s_delay_alu instid0(VALU_DEP_1)
	v_cmpx_ne_u16_e32 0, v0
	s_cbranch_execz .LBB261_105
; %bb.98:                               ;   in Loop: Header=BB261_12 Depth=1
	v_mov_b32_e32 v46, 0x8000
	s_mov_b32 s20, exec_lo
	v_cmpx_ne_u16_e32 0x80, v0
	s_cbranch_execz .LBB261_104
; %bb.99:                               ;   in Loop: Header=BB261_12 Depth=1
	v_bfe_u32 v2, v38, 16, 7
	v_mov_b32_e32 v46, 0x7c01
	s_mov_b32 s21, exec_lo
	s_delay_alu instid0(VALU_DEP_2)
	v_cmpx_ne_u32_e32 0x7f, v2
	s_cbranch_execz .LBB261_103
; %bb.100:                              ;   in Loop: Header=BB261_12 Depth=1
	v_dual_lshrrev_b32 v1, 3, v2 :: v_dual_bitop2_b32 v0, 7, v4 bitop3:0x40
	s_mov_b32 s22, exec_lo
	v_cmpx_gt_u32_e32 8, v2
; %bb.101:                              ;   in Loop: Header=BB261_12 Depth=1
	s_delay_alu instid0(VALU_DEP_2) | instskip(NEXT) | instid1(VALU_DEP_1)
	v_clz_i32_u32_e32 v0, v0
	v_min_u32_e32 v2, 32, v0
	s_delay_alu instid0(VALU_DEP_1) | instskip(NEXT) | instid1(VALU_DEP_1)
	v_subrev_nc_u32_e32 v0, 28, v2
	v_lshlrev_b64_e32 v[0:1], v0, v[4:5]
	s_delay_alu instid0(VALU_DEP_1)
	v_dual_sub_nc_u32 v1, 29, v2 :: v_dual_bitop2_b32 v0, 7, v0 bitop3:0x40
; %bb.102:                              ;   in Loop: Header=BB261_12 Depth=1
	s_or_b32 exec_lo, exec_lo, s22
	v_lshlrev_b32_e32 v2, 8, v4
	s_delay_alu instid0(VALU_DEP_2) | instskip(NEXT) | instid1(VALU_DEP_3)
	v_lshl_add_u32 v1, v1, 10, 0x2000
	v_lshlrev_b32_e32 v0, 7, v0
	s_delay_alu instid0(VALU_DEP_3) | instskip(NEXT) | instid1(VALU_DEP_3)
	v_and_b32_e32 v2, 0x8000, v2
	v_and_b32_e32 v1, 0xfc00, v1
	s_delay_alu instid0(VALU_DEP_1)
	v_or3_b32 v46, v2, v1, v0
.LBB261_103:                            ;   in Loop: Header=BB261_12 Depth=1
	s_or_b32 exec_lo, exec_lo, s21
.LBB261_104:                            ;   in Loop: Header=BB261_12 Depth=1
	s_delay_alu instid0(SALU_CYCLE_1)
	s_or_b32 exec_lo, exec_lo, s20
.LBB261_105:                            ;   in Loop: Header=BB261_12 Depth=1
	s_delay_alu instid0(SALU_CYCLE_1) | instskip(NEXT) | instid1(SALU_CYCLE_1)
	s_or_b32 exec_lo, exec_lo, s19
	s_mov_b32 s19, exec_lo
	v_cmpx_lt_u32_e32 0xffffff, v38
	s_cbranch_execz .LBB261_113
; %bb.106:                              ;   in Loop: Header=BB261_12 Depth=1
	v_lshrrev_b32_e32 v4, 24, v38
	v_bfrev_b32_e32 v44, 1
	s_mov_b32 s20, exec_lo
	s_delay_alu instid0(VALU_DEP_2)
	v_cmpx_ne_u32_e32 0x80, v4
	s_cbranch_execz .LBB261_112
; %bb.107:                              ;   in Loop: Header=BB261_12 Depth=1
	v_and_b32_e32 v2, 0x7f, v4
	v_mov_b32_e32 v44, 0x7c010000
	s_mov_b32 s21, exec_lo
	s_delay_alu instid0(VALU_DEP_2)
	v_cmpx_ne_u32_e32 0x7f, v2
	s_cbranch_execz .LBB261_111
; %bb.108:                              ;   in Loop: Header=BB261_12 Depth=1
	v_dual_lshrrev_b32 v1, 3, v2 :: v_dual_bitop2_b32 v0, 7, v4 bitop3:0x40
	s_mov_b32 s22, exec_lo
	v_cmpx_gt_u32_e32 8, v2
; %bb.109:                              ;   in Loop: Header=BB261_12 Depth=1
	s_delay_alu instid0(VALU_DEP_2) | instskip(NEXT) | instid1(VALU_DEP_1)
	v_clz_i32_u32_e32 v0, v0
	v_min_u32_e32 v2, 32, v0
	s_delay_alu instid0(VALU_DEP_1) | instskip(NEXT) | instid1(VALU_DEP_1)
	v_subrev_nc_u32_e32 v0, 28, v2
	v_lshlrev_b64_e32 v[0:1], v0, v[4:5]
	s_delay_alu instid0(VALU_DEP_1)
	v_dual_sub_nc_u32 v1, 29, v2 :: v_dual_bitop2_b32 v0, 7, v0 bitop3:0x40
; %bb.110:                              ;   in Loop: Header=BB261_12 Depth=1
	s_or_b32 exec_lo, exec_lo, s22
	v_lshlrev_b32_e32 v2, 8, v4
	s_delay_alu instid0(VALU_DEP_2) | instskip(NEXT) | instid1(VALU_DEP_3)
	v_lshl_add_u32 v1, v1, 10, 0x2000
	v_lshlrev_b32_e32 v0, 23, v0
	s_delay_alu instid0(VALU_DEP_2) | instskip(NEXT) | instid1(VALU_DEP_1)
	v_and_or_b32 v1, 0x8000, v2, v1
	v_lshl_or_b32 v44, v1, 16, v0
.LBB261_111:                            ;   in Loop: Header=BB261_12 Depth=1
	s_or_b32 exec_lo, exec_lo, s21
.LBB261_112:                            ;   in Loop: Header=BB261_12 Depth=1
	s_delay_alu instid0(SALU_CYCLE_1)
	s_or_b32 exec_lo, exec_lo, s20
.LBB261_113:                            ;   in Loop: Header=BB261_12 Depth=1
	s_delay_alu instid0(SALU_CYCLE_1)
	s_or_b32 exec_lo, exec_lo, s19
	flat_load_b32 v38, v[36:37] offset:264
	v_dual_mov_b32 v47, 0 :: v_dual_mov_b32 v124, 0
	s_mov_b32 s19, exec_lo
	s_wait_loadcnt_dscnt 0x0
	v_and_b32_e32 v0, 0xff, v38
	s_wait_xcnt 0x0
	s_delay_alu instid0(VALU_DEP_1)
	v_cmpx_ne_u16_e32 0, v0
	s_cbranch_execz .LBB261_121
; %bb.114:                              ;   in Loop: Header=BB261_12 Depth=1
	v_mov_b32_e32 v124, 0x8000
	s_mov_b32 s20, exec_lo
	v_cmpx_ne_u16_e32 0x80, v0
	s_cbranch_execz .LBB261_120
; %bb.115:                              ;   in Loop: Header=BB261_12 Depth=1
	v_and_b32_e32 v2, 0x7f, v38
	v_mov_b32_e32 v124, 0x7c01
	s_mov_b32 s21, exec_lo
	s_delay_alu instid0(VALU_DEP_2)
	v_cmpx_ne_u32_e32 0x7f, v2
	s_cbranch_execz .LBB261_119
; %bb.116:                              ;   in Loop: Header=BB261_12 Depth=1
	v_and_b32_e32 v0, 7, v38
	v_lshrrev_b32_e32 v1, 3, v2
	s_mov_b32 s22, exec_lo
	v_cmpx_gt_u32_e32 8, v2
; %bb.117:                              ;   in Loop: Header=BB261_12 Depth=1
	s_delay_alu instid0(VALU_DEP_3) | instskip(NEXT) | instid1(VALU_DEP_1)
	v_clz_i32_u32_e32 v0, v0
	v_min_u32_e32 v2, 32, v0
	s_delay_alu instid0(VALU_DEP_1) | instskip(NEXT) | instid1(VALU_DEP_1)
	v_subrev_nc_u32_e32 v0, 28, v2
	v_lshlrev_b64_e32 v[0:1], v0, v[38:39]
	s_delay_alu instid0(VALU_DEP_1)
	v_dual_sub_nc_u32 v1, 29, v2 :: v_dual_bitop2_b32 v0, 7, v0 bitop3:0x40
; %bb.118:                              ;   in Loop: Header=BB261_12 Depth=1
	s_or_b32 exec_lo, exec_lo, s22
	s_delay_alu instid0(VALU_DEP_1) | instskip(NEXT) | instid1(VALU_DEP_2)
	v_dual_lshlrev_b32 v2, 8, v38 :: v_dual_lshlrev_b32 v0, 7, v0
	v_lshl_add_u32 v1, v1, 10, 0x2000
	s_delay_alu instid0(VALU_DEP_2) | instskip(NEXT) | instid1(VALU_DEP_2)
	v_and_b32_e32 v2, 0x8000, v2
	v_and_b32_e32 v1, 0xfc00, v1
	s_delay_alu instid0(VALU_DEP_1)
	v_or3_b32 v124, v2, v1, v0
.LBB261_119:                            ;   in Loop: Header=BB261_12 Depth=1
	s_or_b32 exec_lo, exec_lo, s21
.LBB261_120:                            ;   in Loop: Header=BB261_12 Depth=1
	s_delay_alu instid0(SALU_CYCLE_1)
	s_or_b32 exec_lo, exec_lo, s20
.LBB261_121:                            ;   in Loop: Header=BB261_12 Depth=1
	s_delay_alu instid0(SALU_CYCLE_1) | instskip(SKIP_2) | instid1(VALU_DEP_1)
	s_or_b32 exec_lo, exec_lo, s19
	v_lshrrev_b16 v4, 8, v38
	s_mov_b32 s19, exec_lo
	v_cmpx_ne_u16_e32 0, v4
	s_cbranch_execz .LBB261_129
; %bb.122:                              ;   in Loop: Header=BB261_12 Depth=1
	v_bfrev_b32_e32 v47, 1
	s_mov_b32 s20, exec_lo
	v_cmpx_ne_u16_e32 0x80, v4
	s_cbranch_execz .LBB261_128
; %bb.123:                              ;   in Loop: Header=BB261_12 Depth=1
	v_and_b32_e32 v0, 0xffff, v4
	v_mov_b32_e32 v47, 0x7c010000
	s_mov_b32 s21, exec_lo
	s_delay_alu instid0(VALU_DEP_2) | instskip(NEXT) | instid1(VALU_DEP_1)
	v_and_b32_e32 v3, 0x7f, v0
	v_cmpx_ne_u32_e32 0x7f, v3
	s_cbranch_execz .LBB261_127
; %bb.124:                              ;   in Loop: Header=BB261_12 Depth=1
	v_dual_lshrrev_b32 v2, 3, v3 :: v_dual_bitop2_b32 v1, 7, v0 bitop3:0x40
	s_mov_b32 s22, exec_lo
	v_cmpx_gt_u32_e32 8, v3
; %bb.125:                              ;   in Loop: Header=BB261_12 Depth=1
	s_delay_alu instid0(VALU_DEP_2) | instskip(NEXT) | instid1(VALU_DEP_1)
	v_clz_i32_u32_e32 v1, v1
	v_min_u32_e32 v1, 32, v1
	s_delay_alu instid0(VALU_DEP_1) | instskip(NEXT) | instid1(VALU_DEP_1)
	v_subrev_nc_u32_e32 v2, 28, v1
	v_lshlrev_b64_e32 v[6:7], v2, v[4:5]
	s_delay_alu instid0(VALU_DEP_1)
	v_dual_sub_nc_u32 v2, 29, v1 :: v_dual_bitop2_b32 v1, 7, v6 bitop3:0x40
; %bb.126:                              ;   in Loop: Header=BB261_12 Depth=1
	s_or_b32 exec_lo, exec_lo, s22
	s_delay_alu instid0(VALU_DEP_1) | instskip(NEXT) | instid1(VALU_DEP_2)
	v_dual_lshlrev_b32 v0, 8, v0 :: v_dual_lshlrev_b32 v1, 23, v1
	v_lshl_add_u32 v2, v2, 10, 0x2000
	s_delay_alu instid0(VALU_DEP_1) | instskip(NEXT) | instid1(VALU_DEP_1)
	v_and_or_b32 v0, 0x8000, v0, v2
	v_lshl_or_b32 v47, v0, 16, v1
.LBB261_127:                            ;   in Loop: Header=BB261_12 Depth=1
	s_or_b32 exec_lo, exec_lo, s21
.LBB261_128:                            ;   in Loop: Header=BB261_12 Depth=1
	s_delay_alu instid0(SALU_CYCLE_1)
	s_or_b32 exec_lo, exec_lo, s20
.LBB261_129:                            ;   in Loop: Header=BB261_12 Depth=1
	s_delay_alu instid0(SALU_CYCLE_1) | instskip(SKIP_3) | instid1(VALU_DEP_2)
	s_or_b32 exec_lo, exec_lo, s19
	v_dual_lshrrev_b32 v4, 16, v38 :: v_dual_mov_b32 v56, 0
	v_mov_b32_e32 v58, 0
	s_mov_b32 s19, exec_lo
	v_and_b32_e32 v0, 0xff, v4
	s_delay_alu instid0(VALU_DEP_1)
	v_cmpx_ne_u16_e32 0, v0
	s_cbranch_execz .LBB261_137
; %bb.130:                              ;   in Loop: Header=BB261_12 Depth=1
	v_mov_b32_e32 v58, 0x8000
	s_mov_b32 s20, exec_lo
	v_cmpx_ne_u16_e32 0x80, v0
	s_cbranch_execz .LBB261_136
; %bb.131:                              ;   in Loop: Header=BB261_12 Depth=1
	v_bfe_u32 v2, v38, 16, 7
	v_mov_b32_e32 v58, 0x7c01
	s_mov_b32 s21, exec_lo
	s_delay_alu instid0(VALU_DEP_2)
	v_cmpx_ne_u32_e32 0x7f, v2
	s_cbranch_execz .LBB261_135
; %bb.132:                              ;   in Loop: Header=BB261_12 Depth=1
	v_dual_lshrrev_b32 v1, 3, v2 :: v_dual_bitop2_b32 v0, 7, v4 bitop3:0x40
	s_mov_b32 s22, exec_lo
	v_cmpx_gt_u32_e32 8, v2
; %bb.133:                              ;   in Loop: Header=BB261_12 Depth=1
	s_delay_alu instid0(VALU_DEP_2) | instskip(NEXT) | instid1(VALU_DEP_1)
	v_clz_i32_u32_e32 v0, v0
	v_min_u32_e32 v2, 32, v0
	s_delay_alu instid0(VALU_DEP_1) | instskip(NEXT) | instid1(VALU_DEP_1)
	v_subrev_nc_u32_e32 v0, 28, v2
	v_lshlrev_b64_e32 v[0:1], v0, v[4:5]
	s_delay_alu instid0(VALU_DEP_1)
	v_dual_sub_nc_u32 v1, 29, v2 :: v_dual_bitop2_b32 v0, 7, v0 bitop3:0x40
; %bb.134:                              ;   in Loop: Header=BB261_12 Depth=1
	s_or_b32 exec_lo, exec_lo, s22
	v_lshlrev_b32_e32 v2, 8, v4
	s_delay_alu instid0(VALU_DEP_2) | instskip(NEXT) | instid1(VALU_DEP_3)
	v_lshl_add_u32 v1, v1, 10, 0x2000
	v_lshlrev_b32_e32 v0, 7, v0
	s_delay_alu instid0(VALU_DEP_3) | instskip(NEXT) | instid1(VALU_DEP_3)
	v_and_b32_e32 v2, 0x8000, v2
	v_and_b32_e32 v1, 0xfc00, v1
	s_delay_alu instid0(VALU_DEP_1)
	v_or3_b32 v58, v2, v1, v0
.LBB261_135:                            ;   in Loop: Header=BB261_12 Depth=1
	s_or_b32 exec_lo, exec_lo, s21
.LBB261_136:                            ;   in Loop: Header=BB261_12 Depth=1
	s_delay_alu instid0(SALU_CYCLE_1)
	s_or_b32 exec_lo, exec_lo, s20
.LBB261_137:                            ;   in Loop: Header=BB261_12 Depth=1
	s_delay_alu instid0(SALU_CYCLE_1) | instskip(NEXT) | instid1(SALU_CYCLE_1)
	s_or_b32 exec_lo, exec_lo, s19
	s_mov_b32 s19, exec_lo
	v_cmpx_lt_u32_e32 0xffffff, v38
	s_cbranch_execz .LBB261_145
; %bb.138:                              ;   in Loop: Header=BB261_12 Depth=1
	v_lshrrev_b32_e32 v4, 24, v38
	v_bfrev_b32_e32 v56, 1
	s_mov_b32 s20, exec_lo
	s_delay_alu instid0(VALU_DEP_2)
	v_cmpx_ne_u32_e32 0x80, v4
	s_cbranch_execz .LBB261_144
; %bb.139:                              ;   in Loop: Header=BB261_12 Depth=1
	v_and_b32_e32 v2, 0x7f, v4
	v_mov_b32_e32 v56, 0x7c010000
	s_mov_b32 s21, exec_lo
	s_delay_alu instid0(VALU_DEP_2)
	v_cmpx_ne_u32_e32 0x7f, v2
	s_cbranch_execz .LBB261_143
; %bb.140:                              ;   in Loop: Header=BB261_12 Depth=1
	v_dual_lshrrev_b32 v1, 3, v2 :: v_dual_bitop2_b32 v0, 7, v4 bitop3:0x40
	s_mov_b32 s22, exec_lo
	v_cmpx_gt_u32_e32 8, v2
; %bb.141:                              ;   in Loop: Header=BB261_12 Depth=1
	s_delay_alu instid0(VALU_DEP_2) | instskip(NEXT) | instid1(VALU_DEP_1)
	v_clz_i32_u32_e32 v0, v0
	v_min_u32_e32 v2, 32, v0
	s_delay_alu instid0(VALU_DEP_1) | instskip(NEXT) | instid1(VALU_DEP_1)
	v_subrev_nc_u32_e32 v0, 28, v2
	v_lshlrev_b64_e32 v[0:1], v0, v[4:5]
	s_delay_alu instid0(VALU_DEP_1)
	v_dual_sub_nc_u32 v1, 29, v2 :: v_dual_bitop2_b32 v0, 7, v0 bitop3:0x40
; %bb.142:                              ;   in Loop: Header=BB261_12 Depth=1
	s_or_b32 exec_lo, exec_lo, s22
	v_lshlrev_b32_e32 v2, 8, v4
	s_delay_alu instid0(VALU_DEP_2) | instskip(NEXT) | instid1(VALU_DEP_3)
	v_lshl_add_u32 v1, v1, 10, 0x2000
	v_lshlrev_b32_e32 v0, 23, v0
	s_delay_alu instid0(VALU_DEP_2) | instskip(NEXT) | instid1(VALU_DEP_1)
	v_and_or_b32 v1, 0x8000, v2, v1
	v_lshl_or_b32 v56, v1, 16, v0
.LBB261_143:                            ;   in Loop: Header=BB261_12 Depth=1
	s_or_b32 exec_lo, exec_lo, s21
.LBB261_144:                            ;   in Loop: Header=BB261_12 Depth=1
	s_delay_alu instid0(SALU_CYCLE_1)
	s_or_b32 exec_lo, exec_lo, s20
.LBB261_145:                            ;   in Loop: Header=BB261_12 Depth=1
	s_delay_alu instid0(SALU_CYCLE_1)
	s_or_b32 exec_lo, exec_lo, s19
	flat_load_b32 v38, v[36:37] offset:512
	v_dual_mov_b32 v74, 0 :: v_dual_mov_b32 v63, 0
	s_mov_b32 s19, exec_lo
	s_wait_loadcnt_dscnt 0x0
	v_and_b32_e32 v0, 0xff, v38
	s_wait_xcnt 0x0
	s_delay_alu instid0(VALU_DEP_1)
	v_cmpx_ne_u16_e32 0, v0
	s_cbranch_execz .LBB261_153
; %bb.146:                              ;   in Loop: Header=BB261_12 Depth=1
	v_mov_b32_e32 v63, 0x8000
	s_mov_b32 s20, exec_lo
	v_cmpx_ne_u16_e32 0x80, v0
	s_cbranch_execz .LBB261_152
; %bb.147:                              ;   in Loop: Header=BB261_12 Depth=1
	v_and_b32_e32 v2, 0x7f, v38
	v_mov_b32_e32 v63, 0x7c01
	s_mov_b32 s21, exec_lo
	s_delay_alu instid0(VALU_DEP_2)
	v_cmpx_ne_u32_e32 0x7f, v2
	s_cbranch_execz .LBB261_151
; %bb.148:                              ;   in Loop: Header=BB261_12 Depth=1
	v_and_b32_e32 v0, 7, v38
	v_lshrrev_b32_e32 v1, 3, v2
	s_mov_b32 s22, exec_lo
	v_cmpx_gt_u32_e32 8, v2
; %bb.149:                              ;   in Loop: Header=BB261_12 Depth=1
	s_delay_alu instid0(VALU_DEP_3) | instskip(NEXT) | instid1(VALU_DEP_1)
	v_clz_i32_u32_e32 v0, v0
	v_min_u32_e32 v2, 32, v0
	s_delay_alu instid0(VALU_DEP_1) | instskip(NEXT) | instid1(VALU_DEP_1)
	v_subrev_nc_u32_e32 v0, 28, v2
	v_lshlrev_b64_e32 v[0:1], v0, v[38:39]
	s_delay_alu instid0(VALU_DEP_1)
	v_dual_sub_nc_u32 v1, 29, v2 :: v_dual_bitop2_b32 v0, 7, v0 bitop3:0x40
; %bb.150:                              ;   in Loop: Header=BB261_12 Depth=1
	s_or_b32 exec_lo, exec_lo, s22
	s_delay_alu instid0(VALU_DEP_1) | instskip(NEXT) | instid1(VALU_DEP_2)
	v_dual_lshlrev_b32 v2, 8, v38 :: v_dual_lshlrev_b32 v0, 7, v0
	v_lshl_add_u32 v1, v1, 10, 0x2000
	s_delay_alu instid0(VALU_DEP_2) | instskip(NEXT) | instid1(VALU_DEP_2)
	v_and_b32_e32 v2, 0x8000, v2
	v_and_b32_e32 v1, 0xfc00, v1
	s_delay_alu instid0(VALU_DEP_1)
	v_or3_b32 v63, v2, v1, v0
.LBB261_151:                            ;   in Loop: Header=BB261_12 Depth=1
	s_or_b32 exec_lo, exec_lo, s21
.LBB261_152:                            ;   in Loop: Header=BB261_12 Depth=1
	s_delay_alu instid0(SALU_CYCLE_1)
	s_or_b32 exec_lo, exec_lo, s20
.LBB261_153:                            ;   in Loop: Header=BB261_12 Depth=1
	s_delay_alu instid0(SALU_CYCLE_1) | instskip(SKIP_2) | instid1(VALU_DEP_1)
	s_or_b32 exec_lo, exec_lo, s19
	v_lshrrev_b16 v4, 8, v38
	s_mov_b32 s19, exec_lo
	v_cmpx_ne_u16_e32 0, v4
	s_cbranch_execz .LBB261_161
; %bb.154:                              ;   in Loop: Header=BB261_12 Depth=1
	v_bfrev_b32_e32 v74, 1
	s_mov_b32 s20, exec_lo
	v_cmpx_ne_u16_e32 0x80, v4
	s_cbranch_execz .LBB261_160
; %bb.155:                              ;   in Loop: Header=BB261_12 Depth=1
	v_and_b32_e32 v0, 0xffff, v4
	v_mov_b32_e32 v74, 0x7c010000
	s_mov_b32 s21, exec_lo
	s_delay_alu instid0(VALU_DEP_2) | instskip(NEXT) | instid1(VALU_DEP_1)
	v_and_b32_e32 v3, 0x7f, v0
	v_cmpx_ne_u32_e32 0x7f, v3
	s_cbranch_execz .LBB261_159
; %bb.156:                              ;   in Loop: Header=BB261_12 Depth=1
	v_dual_lshrrev_b32 v2, 3, v3 :: v_dual_bitop2_b32 v1, 7, v0 bitop3:0x40
	s_mov_b32 s22, exec_lo
	v_cmpx_gt_u32_e32 8, v3
; %bb.157:                              ;   in Loop: Header=BB261_12 Depth=1
	s_delay_alu instid0(VALU_DEP_2) | instskip(NEXT) | instid1(VALU_DEP_1)
	v_clz_i32_u32_e32 v1, v1
	v_min_u32_e32 v1, 32, v1
	s_delay_alu instid0(VALU_DEP_1) | instskip(NEXT) | instid1(VALU_DEP_1)
	v_subrev_nc_u32_e32 v2, 28, v1
	v_lshlrev_b64_e32 v[6:7], v2, v[4:5]
	s_delay_alu instid0(VALU_DEP_1)
	v_dual_sub_nc_u32 v2, 29, v1 :: v_dual_bitop2_b32 v1, 7, v6 bitop3:0x40
; %bb.158:                              ;   in Loop: Header=BB261_12 Depth=1
	s_or_b32 exec_lo, exec_lo, s22
	s_delay_alu instid0(VALU_DEP_1) | instskip(NEXT) | instid1(VALU_DEP_2)
	v_dual_lshlrev_b32 v0, 8, v0 :: v_dual_lshlrev_b32 v1, 23, v1
	v_lshl_add_u32 v2, v2, 10, 0x2000
	s_delay_alu instid0(VALU_DEP_1) | instskip(NEXT) | instid1(VALU_DEP_1)
	v_and_or_b32 v0, 0x8000, v0, v2
	v_lshl_or_b32 v74, v0, 16, v1
.LBB261_159:                            ;   in Loop: Header=BB261_12 Depth=1
	s_or_b32 exec_lo, exec_lo, s21
.LBB261_160:                            ;   in Loop: Header=BB261_12 Depth=1
	s_delay_alu instid0(SALU_CYCLE_1)
	s_or_b32 exec_lo, exec_lo, s20
.LBB261_161:                            ;   in Loop: Header=BB261_12 Depth=1
	s_delay_alu instid0(SALU_CYCLE_1) | instskip(SKIP_3) | instid1(VALU_DEP_2)
	s_or_b32 exec_lo, exec_lo, s19
	v_dual_mov_b32 v73, 0 :: v_dual_lshrrev_b32 v4, 16, v38
	v_mov_b32_e32 v61, 0
	s_mov_b32 s19, exec_lo
	v_and_b32_e32 v0, 0xff, v4
	s_delay_alu instid0(VALU_DEP_1)
	v_cmpx_ne_u16_e32 0, v0
	s_cbranch_execz .LBB261_169
; %bb.162:                              ;   in Loop: Header=BB261_12 Depth=1
	v_mov_b32_e32 v61, 0x8000
	s_mov_b32 s20, exec_lo
	v_cmpx_ne_u16_e32 0x80, v0
	s_cbranch_execz .LBB261_168
; %bb.163:                              ;   in Loop: Header=BB261_12 Depth=1
	v_bfe_u32 v2, v38, 16, 7
	v_mov_b32_e32 v61, 0x7c01
	s_mov_b32 s21, exec_lo
	s_delay_alu instid0(VALU_DEP_2)
	v_cmpx_ne_u32_e32 0x7f, v2
	s_cbranch_execz .LBB261_167
; %bb.164:                              ;   in Loop: Header=BB261_12 Depth=1
	v_dual_lshrrev_b32 v1, 3, v2 :: v_dual_bitop2_b32 v0, 7, v4 bitop3:0x40
	s_mov_b32 s22, exec_lo
	v_cmpx_gt_u32_e32 8, v2
; %bb.165:                              ;   in Loop: Header=BB261_12 Depth=1
	s_delay_alu instid0(VALU_DEP_2) | instskip(NEXT) | instid1(VALU_DEP_1)
	v_clz_i32_u32_e32 v0, v0
	v_min_u32_e32 v2, 32, v0
	s_delay_alu instid0(VALU_DEP_1) | instskip(NEXT) | instid1(VALU_DEP_1)
	v_subrev_nc_u32_e32 v0, 28, v2
	v_lshlrev_b64_e32 v[0:1], v0, v[4:5]
	s_delay_alu instid0(VALU_DEP_1)
	v_dual_sub_nc_u32 v1, 29, v2 :: v_dual_bitop2_b32 v0, 7, v0 bitop3:0x40
; %bb.166:                              ;   in Loop: Header=BB261_12 Depth=1
	s_or_b32 exec_lo, exec_lo, s22
	v_lshlrev_b32_e32 v2, 8, v4
	s_delay_alu instid0(VALU_DEP_2) | instskip(NEXT) | instid1(VALU_DEP_3)
	v_lshl_add_u32 v1, v1, 10, 0x2000
	v_lshlrev_b32_e32 v0, 7, v0
	s_delay_alu instid0(VALU_DEP_3) | instskip(NEXT) | instid1(VALU_DEP_3)
	v_and_b32_e32 v2, 0x8000, v2
	v_and_b32_e32 v1, 0xfc00, v1
	s_delay_alu instid0(VALU_DEP_1)
	v_or3_b32 v61, v2, v1, v0
.LBB261_167:                            ;   in Loop: Header=BB261_12 Depth=1
	s_or_b32 exec_lo, exec_lo, s21
.LBB261_168:                            ;   in Loop: Header=BB261_12 Depth=1
	s_delay_alu instid0(SALU_CYCLE_1)
	s_or_b32 exec_lo, exec_lo, s20
.LBB261_169:                            ;   in Loop: Header=BB261_12 Depth=1
	s_delay_alu instid0(SALU_CYCLE_1) | instskip(NEXT) | instid1(SALU_CYCLE_1)
	s_or_b32 exec_lo, exec_lo, s19
	s_mov_b32 s19, exec_lo
	v_cmpx_lt_u32_e32 0xffffff, v38
	s_cbranch_execz .LBB261_177
; %bb.170:                              ;   in Loop: Header=BB261_12 Depth=1
	v_lshrrev_b32_e32 v4, 24, v38
	v_bfrev_b32_e32 v73, 1
	s_mov_b32 s20, exec_lo
	s_delay_alu instid0(VALU_DEP_2)
	v_cmpx_ne_u32_e32 0x80, v4
	s_cbranch_execz .LBB261_176
; %bb.171:                              ;   in Loop: Header=BB261_12 Depth=1
	v_and_b32_e32 v2, 0x7f, v4
	v_mov_b32_e32 v73, 0x7c010000
	s_mov_b32 s21, exec_lo
	s_delay_alu instid0(VALU_DEP_2)
	v_cmpx_ne_u32_e32 0x7f, v2
	s_cbranch_execz .LBB261_175
; %bb.172:                              ;   in Loop: Header=BB261_12 Depth=1
	v_dual_lshrrev_b32 v1, 3, v2 :: v_dual_bitop2_b32 v0, 7, v4 bitop3:0x40
	s_mov_b32 s22, exec_lo
	v_cmpx_gt_u32_e32 8, v2
; %bb.173:                              ;   in Loop: Header=BB261_12 Depth=1
	s_delay_alu instid0(VALU_DEP_2) | instskip(NEXT) | instid1(VALU_DEP_1)
	v_clz_i32_u32_e32 v0, v0
	v_min_u32_e32 v2, 32, v0
	s_delay_alu instid0(VALU_DEP_1) | instskip(NEXT) | instid1(VALU_DEP_1)
	v_subrev_nc_u32_e32 v0, 28, v2
	v_lshlrev_b64_e32 v[0:1], v0, v[4:5]
	s_delay_alu instid0(VALU_DEP_1)
	v_dual_sub_nc_u32 v1, 29, v2 :: v_dual_bitop2_b32 v0, 7, v0 bitop3:0x40
; %bb.174:                              ;   in Loop: Header=BB261_12 Depth=1
	s_or_b32 exec_lo, exec_lo, s22
	v_lshlrev_b32_e32 v2, 8, v4
	s_delay_alu instid0(VALU_DEP_2) | instskip(NEXT) | instid1(VALU_DEP_3)
	v_lshl_add_u32 v1, v1, 10, 0x2000
	v_lshlrev_b32_e32 v0, 23, v0
	s_delay_alu instid0(VALU_DEP_2) | instskip(NEXT) | instid1(VALU_DEP_1)
	v_and_or_b32 v1, 0x8000, v2, v1
	v_lshl_or_b32 v73, v1, 16, v0
.LBB261_175:                            ;   in Loop: Header=BB261_12 Depth=1
	s_or_b32 exec_lo, exec_lo, s21
.LBB261_176:                            ;   in Loop: Header=BB261_12 Depth=1
	s_delay_alu instid0(SALU_CYCLE_1)
	s_or_b32 exec_lo, exec_lo, s20
.LBB261_177:                            ;   in Loop: Header=BB261_12 Depth=1
	s_delay_alu instid0(SALU_CYCLE_1)
	s_or_b32 exec_lo, exec_lo, s19
	flat_load_b32 v38, v[36:37] offset:520
	v_dual_mov_b32 v42, 0 :: v_dual_mov_b32 v1, 0
	s_mov_b32 s19, exec_lo
	scratch_store_b32 off, v1, s32 offset:232 ; 4-byte Folded Spill
	s_wait_loadcnt_dscnt 0x0
	v_and_b32_e32 v0, 0xff, v38
	s_wait_xcnt 0x0
	s_delay_alu instid0(VALU_DEP_1)
	v_cmpx_ne_u16_e32 0, v0
	s_cbranch_execz .LBB261_185
; %bb.178:                              ;   in Loop: Header=BB261_12 Depth=1
	v_cmp_ne_u16_e64 s3, 0x80, v0
	v_mov_b32_e32 v0, 0x8000
	s_and_saveexec_b32 s20, s3
	s_cbranch_execz .LBB261_184
; %bb.179:                              ;   in Loop: Header=BB261_12 Depth=1
	v_and_b32_e32 v2, 0x7f, v38
	v_mov_b32_e32 v0, 0x7c01
	s_mov_b32 s21, exec_lo
	s_delay_alu instid0(VALU_DEP_2)
	v_cmpx_ne_u32_e32 0x7f, v2
	s_cbranch_execz .LBB261_183
; %bb.180:                              ;   in Loop: Header=BB261_12 Depth=1
	v_and_b32_e32 v0, 7, v38
	v_lshrrev_b32_e32 v1, 3, v2
	s_mov_b32 s22, exec_lo
	v_cmpx_gt_u32_e32 8, v2
; %bb.181:                              ;   in Loop: Header=BB261_12 Depth=1
	s_delay_alu instid0(VALU_DEP_3) | instskip(NEXT) | instid1(VALU_DEP_1)
	v_clz_i32_u32_e32 v0, v0
	v_min_u32_e32 v2, 32, v0
	s_delay_alu instid0(VALU_DEP_1) | instskip(NEXT) | instid1(VALU_DEP_1)
	v_subrev_nc_u32_e32 v0, 28, v2
	v_lshlrev_b64_e32 v[0:1], v0, v[38:39]
	s_delay_alu instid0(VALU_DEP_1)
	v_dual_sub_nc_u32 v1, 29, v2 :: v_dual_bitop2_b32 v0, 7, v0 bitop3:0x40
; %bb.182:                              ;   in Loop: Header=BB261_12 Depth=1
	s_or_b32 exec_lo, exec_lo, s22
	s_delay_alu instid0(VALU_DEP_1) | instskip(NEXT) | instid1(VALU_DEP_2)
	v_dual_lshlrev_b32 v2, 8, v38 :: v_dual_lshlrev_b32 v0, 7, v0
	v_lshl_add_u32 v1, v1, 10, 0x2000
	s_delay_alu instid0(VALU_DEP_2) | instskip(NEXT) | instid1(VALU_DEP_2)
	v_and_b32_e32 v2, 0x8000, v2
	v_and_b32_e32 v1, 0xfc00, v1
	s_delay_alu instid0(VALU_DEP_1)
	v_or3_b32 v0, v2, v1, v0
.LBB261_183:                            ;   in Loop: Header=BB261_12 Depth=1
	s_or_b32 exec_lo, exec_lo, s21
.LBB261_184:                            ;   in Loop: Header=BB261_12 Depth=1
	s_delay_alu instid0(SALU_CYCLE_1)
	s_or_b32 exec_lo, exec_lo, s20
	scratch_store_b32 off, v0, s32 offset:232 ; 4-byte Folded Spill
.LBB261_185:                            ;   in Loop: Header=BB261_12 Depth=1
	s_wait_xcnt 0x0
	s_or_b32 exec_lo, exec_lo, s19
	v_lshrrev_b16 v4, 8, v38
	s_mov_b32 s19, exec_lo
	s_delay_alu instid0(VALU_DEP_1)
	v_cmpx_ne_u16_e32 0, v4
	s_cbranch_execz .LBB261_193
; %bb.186:                              ;   in Loop: Header=BB261_12 Depth=1
	v_bfrev_b32_e32 v42, 1
	s_mov_b32 s20, exec_lo
	v_cmpx_ne_u16_e32 0x80, v4
	s_cbranch_execz .LBB261_192
; %bb.187:                              ;   in Loop: Header=BB261_12 Depth=1
	v_and_b32_e32 v0, 0xffff, v4
	v_mov_b32_e32 v42, 0x7c010000
	s_mov_b32 s21, exec_lo
	s_delay_alu instid0(VALU_DEP_2) | instskip(NEXT) | instid1(VALU_DEP_1)
	v_and_b32_e32 v3, 0x7f, v0
	v_cmpx_ne_u32_e32 0x7f, v3
	s_cbranch_execz .LBB261_191
; %bb.188:                              ;   in Loop: Header=BB261_12 Depth=1
	v_dual_lshrrev_b32 v2, 3, v3 :: v_dual_bitop2_b32 v1, 7, v0 bitop3:0x40
	s_mov_b32 s22, exec_lo
	v_cmpx_gt_u32_e32 8, v3
; %bb.189:                              ;   in Loop: Header=BB261_12 Depth=1
	s_delay_alu instid0(VALU_DEP_2) | instskip(NEXT) | instid1(VALU_DEP_1)
	v_clz_i32_u32_e32 v1, v1
	v_min_u32_e32 v1, 32, v1
	s_delay_alu instid0(VALU_DEP_1) | instskip(NEXT) | instid1(VALU_DEP_1)
	v_subrev_nc_u32_e32 v2, 28, v1
	v_lshlrev_b64_e32 v[6:7], v2, v[4:5]
	s_delay_alu instid0(VALU_DEP_1)
	v_dual_sub_nc_u32 v2, 29, v1 :: v_dual_bitop2_b32 v1, 7, v6 bitop3:0x40
; %bb.190:                              ;   in Loop: Header=BB261_12 Depth=1
	s_or_b32 exec_lo, exec_lo, s22
	s_delay_alu instid0(VALU_DEP_1) | instskip(NEXT) | instid1(VALU_DEP_2)
	v_dual_lshlrev_b32 v0, 8, v0 :: v_dual_lshlrev_b32 v1, 23, v1
	v_lshl_add_u32 v2, v2, 10, 0x2000
	s_delay_alu instid0(VALU_DEP_1) | instskip(NEXT) | instid1(VALU_DEP_1)
	v_and_or_b32 v0, 0x8000, v0, v2
	v_lshl_or_b32 v42, v0, 16, v1
.LBB261_191:                            ;   in Loop: Header=BB261_12 Depth=1
	s_or_b32 exec_lo, exec_lo, s21
.LBB261_192:                            ;   in Loop: Header=BB261_12 Depth=1
	s_delay_alu instid0(SALU_CYCLE_1)
	s_or_b32 exec_lo, exec_lo, s20
.LBB261_193:                            ;   in Loop: Header=BB261_12 Depth=1
	s_delay_alu instid0(SALU_CYCLE_1) | instskip(SKIP_2) | instid1(VALU_DEP_1)
	s_or_b32 exec_lo, exec_lo, s19
	v_dual_mov_b32 v1, 0 :: v_dual_lshrrev_b32 v4, 16, v38
	s_mov_b32 s19, exec_lo
	v_and_b32_e32 v0, 0xff, v4
	scratch_store_b32 off, v1, s32 offset:228 ; 4-byte Folded Spill
	s_wait_xcnt 0x0
	v_mov_b32_e32 v1, 0
	scratch_store_b32 off, v1, s32 offset:236 ; 4-byte Folded Spill
	s_wait_xcnt 0x0
	v_cmpx_ne_u16_e32 0, v0
	s_cbranch_execz .LBB261_201
; %bb.194:                              ;   in Loop: Header=BB261_12 Depth=1
	v_cmp_ne_u16_e64 s3, 0x80, v0
	v_mov_b32_e32 v0, 0x8000
	s_and_saveexec_b32 s20, s3
	s_cbranch_execz .LBB261_200
; %bb.195:                              ;   in Loop: Header=BB261_12 Depth=1
	v_bfe_u32 v2, v38, 16, 7
	v_mov_b32_e32 v0, 0x7c01
	s_mov_b32 s21, exec_lo
	s_delay_alu instid0(VALU_DEP_2)
	v_cmpx_ne_u32_e32 0x7f, v2
	s_cbranch_execz .LBB261_199
; %bb.196:                              ;   in Loop: Header=BB261_12 Depth=1
	v_dual_lshrrev_b32 v1, 3, v2 :: v_dual_bitop2_b32 v0, 7, v4 bitop3:0x40
	s_mov_b32 s22, exec_lo
	v_cmpx_gt_u32_e32 8, v2
; %bb.197:                              ;   in Loop: Header=BB261_12 Depth=1
	s_delay_alu instid0(VALU_DEP_2) | instskip(NEXT) | instid1(VALU_DEP_1)
	v_clz_i32_u32_e32 v0, v0
	v_min_u32_e32 v2, 32, v0
	s_delay_alu instid0(VALU_DEP_1) | instskip(NEXT) | instid1(VALU_DEP_1)
	v_subrev_nc_u32_e32 v0, 28, v2
	v_lshlrev_b64_e32 v[0:1], v0, v[4:5]
	s_delay_alu instid0(VALU_DEP_1)
	v_dual_sub_nc_u32 v1, 29, v2 :: v_dual_bitop2_b32 v0, 7, v0 bitop3:0x40
; %bb.198:                              ;   in Loop: Header=BB261_12 Depth=1
	s_or_b32 exec_lo, exec_lo, s22
	v_lshlrev_b32_e32 v2, 8, v4
	s_delay_alu instid0(VALU_DEP_2) | instskip(NEXT) | instid1(VALU_DEP_3)
	v_lshl_add_u32 v1, v1, 10, 0x2000
	v_lshlrev_b32_e32 v0, 7, v0
	s_delay_alu instid0(VALU_DEP_3) | instskip(NEXT) | instid1(VALU_DEP_3)
	v_and_b32_e32 v2, 0x8000, v2
	v_and_b32_e32 v1, 0xfc00, v1
	s_delay_alu instid0(VALU_DEP_1)
	v_or3_b32 v0, v2, v1, v0
.LBB261_199:                            ;   in Loop: Header=BB261_12 Depth=1
	s_or_b32 exec_lo, exec_lo, s21
.LBB261_200:                            ;   in Loop: Header=BB261_12 Depth=1
	s_delay_alu instid0(SALU_CYCLE_1)
	s_or_b32 exec_lo, exec_lo, s20
	scratch_store_b32 off, v0, s32 offset:236 ; 4-byte Folded Spill
.LBB261_201:                            ;   in Loop: Header=BB261_12 Depth=1
	s_wait_xcnt 0x0
	s_or_b32 exec_lo, exec_lo, s19
	s_delay_alu instid0(SALU_CYCLE_1)
	s_mov_b32 s19, exec_lo
	v_cmpx_lt_u32_e32 0xffffff, v38
	s_cbranch_execz .LBB261_209
; %bb.202:                              ;   in Loop: Header=BB261_12 Depth=1
	v_lshrrev_b32_e32 v4, 24, v38
	v_bfrev_b32_e32 v0, 1
	s_mov_b32 s20, exec_lo
	scratch_store_b32 off, v0, s32 offset:228 ; 4-byte Folded Spill
	s_wait_xcnt 0x0
	v_cmpx_ne_u32_e32 0x80, v4
	s_cbranch_execz .LBB261_208
; %bb.203:                              ;   in Loop: Header=BB261_12 Depth=1
	v_and_b32_e32 v2, 0x7f, v4
	v_mov_b32_e32 v0, 0x7c010000
	s_mov_b32 s21, exec_lo
	scratch_store_b32 off, v0, s32 offset:228 ; 4-byte Folded Spill
	s_wait_xcnt 0x0
	v_cmpx_ne_u32_e32 0x7f, v2
	s_cbranch_execz .LBB261_207
; %bb.204:                              ;   in Loop: Header=BB261_12 Depth=1
	v_dual_lshrrev_b32 v1, 3, v2 :: v_dual_bitop2_b32 v0, 7, v4 bitop3:0x40
	s_mov_b32 s22, exec_lo
	v_cmpx_gt_u32_e32 8, v2
; %bb.205:                              ;   in Loop: Header=BB261_12 Depth=1
	s_delay_alu instid0(VALU_DEP_2) | instskip(NEXT) | instid1(VALU_DEP_1)
	v_clz_i32_u32_e32 v0, v0
	v_min_u32_e32 v2, 32, v0
	s_delay_alu instid0(VALU_DEP_1) | instskip(NEXT) | instid1(VALU_DEP_1)
	v_subrev_nc_u32_e32 v0, 28, v2
	v_lshlrev_b64_e32 v[0:1], v0, v[4:5]
	s_delay_alu instid0(VALU_DEP_1)
	v_dual_sub_nc_u32 v1, 29, v2 :: v_dual_bitop2_b32 v0, 7, v0 bitop3:0x40
; %bb.206:                              ;   in Loop: Header=BB261_12 Depth=1
	s_or_b32 exec_lo, exec_lo, s22
	v_lshlrev_b32_e32 v2, 8, v4
	s_delay_alu instid0(VALU_DEP_2) | instskip(NEXT) | instid1(VALU_DEP_3)
	v_lshl_add_u32 v1, v1, 10, 0x2000
	v_lshlrev_b32_e32 v0, 23, v0
	s_delay_alu instid0(VALU_DEP_2) | instskip(NEXT) | instid1(VALU_DEP_1)
	v_and_or_b32 v1, 0x8000, v2, v1
	v_lshl_or_b32 v0, v1, 16, v0
	scratch_store_b32 off, v0, s32 offset:228 ; 4-byte Folded Spill
.LBB261_207:                            ;   in Loop: Header=BB261_12 Depth=1
	s_wait_xcnt 0x0
	s_or_b32 exec_lo, exec_lo, s21
.LBB261_208:                            ;   in Loop: Header=BB261_12 Depth=1
	s_delay_alu instid0(SALU_CYCLE_1)
	s_or_b32 exec_lo, exec_lo, s20
.LBB261_209:                            ;   in Loop: Header=BB261_12 Depth=1
	s_delay_alu instid0(SALU_CYCLE_1)
	s_or_b32 exec_lo, exec_lo, s19
	flat_load_b32 v38, v[36:37] offset:768
	v_dual_mov_b32 v113, 0 :: v_dual_mov_b32 v1, 0
	s_mov_b32 s19, exec_lo
	scratch_store_b32 off, v1, s32 offset:240 ; 4-byte Folded Spill
	s_wait_loadcnt_dscnt 0x0
	v_and_b32_e32 v0, 0xff, v38
	s_wait_xcnt 0x0
	s_delay_alu instid0(VALU_DEP_1)
	v_cmpx_ne_u16_e32 0, v0
	s_cbranch_execz .LBB261_217
; %bb.210:                              ;   in Loop: Header=BB261_12 Depth=1
	v_cmp_ne_u16_e64 s3, 0x80, v0
	v_mov_b32_e32 v0, 0x8000
	s_and_saveexec_b32 s20, s3
	s_cbranch_execz .LBB261_216
; %bb.211:                              ;   in Loop: Header=BB261_12 Depth=1
	v_and_b32_e32 v2, 0x7f, v38
	v_mov_b32_e32 v0, 0x7c01
	s_mov_b32 s21, exec_lo
	s_delay_alu instid0(VALU_DEP_2)
	v_cmpx_ne_u32_e32 0x7f, v2
	s_cbranch_execz .LBB261_215
; %bb.212:                              ;   in Loop: Header=BB261_12 Depth=1
	v_and_b32_e32 v0, 7, v38
	v_lshrrev_b32_e32 v1, 3, v2
	s_mov_b32 s22, exec_lo
	v_cmpx_gt_u32_e32 8, v2
; %bb.213:                              ;   in Loop: Header=BB261_12 Depth=1
	s_delay_alu instid0(VALU_DEP_3) | instskip(NEXT) | instid1(VALU_DEP_1)
	v_clz_i32_u32_e32 v0, v0
	v_min_u32_e32 v2, 32, v0
	s_delay_alu instid0(VALU_DEP_1) | instskip(NEXT) | instid1(VALU_DEP_1)
	v_subrev_nc_u32_e32 v0, 28, v2
	v_lshlrev_b64_e32 v[0:1], v0, v[38:39]
	s_delay_alu instid0(VALU_DEP_1)
	v_dual_sub_nc_u32 v1, 29, v2 :: v_dual_bitop2_b32 v0, 7, v0 bitop3:0x40
; %bb.214:                              ;   in Loop: Header=BB261_12 Depth=1
	s_or_b32 exec_lo, exec_lo, s22
	s_delay_alu instid0(VALU_DEP_1) | instskip(NEXT) | instid1(VALU_DEP_2)
	v_dual_lshlrev_b32 v2, 8, v38 :: v_dual_lshlrev_b32 v0, 7, v0
	v_lshl_add_u32 v1, v1, 10, 0x2000
	s_delay_alu instid0(VALU_DEP_2) | instskip(NEXT) | instid1(VALU_DEP_2)
	v_and_b32_e32 v2, 0x8000, v2
	v_and_b32_e32 v1, 0xfc00, v1
	s_delay_alu instid0(VALU_DEP_1)
	v_or3_b32 v0, v2, v1, v0
.LBB261_215:                            ;   in Loop: Header=BB261_12 Depth=1
	s_or_b32 exec_lo, exec_lo, s21
.LBB261_216:                            ;   in Loop: Header=BB261_12 Depth=1
	s_delay_alu instid0(SALU_CYCLE_1)
	s_or_b32 exec_lo, exec_lo, s20
	scratch_store_b32 off, v0, s32 offset:240 ; 4-byte Folded Spill
.LBB261_217:                            ;   in Loop: Header=BB261_12 Depth=1
	s_wait_xcnt 0x0
	s_or_b32 exec_lo, exec_lo, s19
	v_lshrrev_b16 v4, 8, v38
	s_mov_b32 s19, exec_lo
	s_delay_alu instid0(VALU_DEP_1)
	v_cmpx_ne_u16_e32 0, v4
	s_cbranch_execz .LBB261_225
; %bb.218:                              ;   in Loop: Header=BB261_12 Depth=1
	v_bfrev_b32_e32 v113, 1
	s_mov_b32 s20, exec_lo
	v_cmpx_ne_u16_e32 0x80, v4
	s_cbranch_execz .LBB261_224
; %bb.219:                              ;   in Loop: Header=BB261_12 Depth=1
	v_and_b32_e32 v0, 0xffff, v4
	v_mov_b32_e32 v113, 0x7c010000
	s_mov_b32 s21, exec_lo
	s_delay_alu instid0(VALU_DEP_2) | instskip(NEXT) | instid1(VALU_DEP_1)
	v_and_b32_e32 v3, 0x7f, v0
	v_cmpx_ne_u32_e32 0x7f, v3
	s_cbranch_execz .LBB261_223
; %bb.220:                              ;   in Loop: Header=BB261_12 Depth=1
	v_dual_lshrrev_b32 v2, 3, v3 :: v_dual_bitop2_b32 v1, 7, v0 bitop3:0x40
	s_mov_b32 s22, exec_lo
	v_cmpx_gt_u32_e32 8, v3
; %bb.221:                              ;   in Loop: Header=BB261_12 Depth=1
	s_delay_alu instid0(VALU_DEP_2) | instskip(NEXT) | instid1(VALU_DEP_1)
	v_clz_i32_u32_e32 v1, v1
	v_min_u32_e32 v1, 32, v1
	s_delay_alu instid0(VALU_DEP_1) | instskip(NEXT) | instid1(VALU_DEP_1)
	v_subrev_nc_u32_e32 v2, 28, v1
	v_lshlrev_b64_e32 v[6:7], v2, v[4:5]
	s_delay_alu instid0(VALU_DEP_1)
	v_dual_sub_nc_u32 v2, 29, v1 :: v_dual_bitop2_b32 v1, 7, v6 bitop3:0x40
; %bb.222:                              ;   in Loop: Header=BB261_12 Depth=1
	s_or_b32 exec_lo, exec_lo, s22
	s_delay_alu instid0(VALU_DEP_1) | instskip(NEXT) | instid1(VALU_DEP_2)
	v_dual_lshlrev_b32 v0, 8, v0 :: v_dual_lshlrev_b32 v1, 23, v1
	v_lshl_add_u32 v2, v2, 10, 0x2000
	s_delay_alu instid0(VALU_DEP_1) | instskip(NEXT) | instid1(VALU_DEP_1)
	v_and_or_b32 v0, 0x8000, v0, v2
	v_lshl_or_b32 v113, v0, 16, v1
.LBB261_223:                            ;   in Loop: Header=BB261_12 Depth=1
	s_or_b32 exec_lo, exec_lo, s21
.LBB261_224:                            ;   in Loop: Header=BB261_12 Depth=1
	s_delay_alu instid0(SALU_CYCLE_1)
	s_or_b32 exec_lo, exec_lo, s20
.LBB261_225:                            ;   in Loop: Header=BB261_12 Depth=1
	s_delay_alu instid0(SALU_CYCLE_1) | instskip(SKIP_3) | instid1(VALU_DEP_2)
	s_or_b32 exec_lo, exec_lo, s19
	v_dual_mov_b32 v99, 0 :: v_dual_lshrrev_b32 v4, 16, v38
	v_mov_b32_e32 v1, 0
	s_mov_b32 s19, exec_lo
	v_and_b32_e32 v0, 0xff, v4
	scratch_store_b32 off, v1, s32 offset:244 ; 4-byte Folded Spill
	s_wait_xcnt 0x0
	v_cmpx_ne_u16_e32 0, v0
	s_cbranch_execz .LBB261_233
; %bb.226:                              ;   in Loop: Header=BB261_12 Depth=1
	v_cmp_ne_u16_e64 s3, 0x80, v0
	v_mov_b32_e32 v0, 0x8000
	s_and_saveexec_b32 s20, s3
	s_cbranch_execz .LBB261_232
; %bb.227:                              ;   in Loop: Header=BB261_12 Depth=1
	v_bfe_u32 v2, v38, 16, 7
	v_mov_b32_e32 v0, 0x7c01
	s_mov_b32 s21, exec_lo
	s_delay_alu instid0(VALU_DEP_2)
	v_cmpx_ne_u32_e32 0x7f, v2
	s_cbranch_execz .LBB261_231
; %bb.228:                              ;   in Loop: Header=BB261_12 Depth=1
	v_dual_lshrrev_b32 v1, 3, v2 :: v_dual_bitop2_b32 v0, 7, v4 bitop3:0x40
	s_mov_b32 s22, exec_lo
	v_cmpx_gt_u32_e32 8, v2
; %bb.229:                              ;   in Loop: Header=BB261_12 Depth=1
	s_delay_alu instid0(VALU_DEP_2) | instskip(NEXT) | instid1(VALU_DEP_1)
	v_clz_i32_u32_e32 v0, v0
	v_min_u32_e32 v2, 32, v0
	s_delay_alu instid0(VALU_DEP_1) | instskip(NEXT) | instid1(VALU_DEP_1)
	v_subrev_nc_u32_e32 v0, 28, v2
	v_lshlrev_b64_e32 v[0:1], v0, v[4:5]
	s_delay_alu instid0(VALU_DEP_1)
	v_dual_sub_nc_u32 v1, 29, v2 :: v_dual_bitop2_b32 v0, 7, v0 bitop3:0x40
; %bb.230:                              ;   in Loop: Header=BB261_12 Depth=1
	s_or_b32 exec_lo, exec_lo, s22
	v_lshlrev_b32_e32 v2, 8, v4
	s_delay_alu instid0(VALU_DEP_2) | instskip(NEXT) | instid1(VALU_DEP_3)
	v_lshl_add_u32 v1, v1, 10, 0x2000
	v_lshlrev_b32_e32 v0, 7, v0
	s_delay_alu instid0(VALU_DEP_3) | instskip(NEXT) | instid1(VALU_DEP_3)
	v_and_b32_e32 v2, 0x8000, v2
	v_and_b32_e32 v1, 0xfc00, v1
	s_delay_alu instid0(VALU_DEP_1)
	v_or3_b32 v0, v2, v1, v0
.LBB261_231:                            ;   in Loop: Header=BB261_12 Depth=1
	s_or_b32 exec_lo, exec_lo, s21
.LBB261_232:                            ;   in Loop: Header=BB261_12 Depth=1
	s_delay_alu instid0(SALU_CYCLE_1)
	s_or_b32 exec_lo, exec_lo, s20
	scratch_store_b32 off, v0, s32 offset:244 ; 4-byte Folded Spill
.LBB261_233:                            ;   in Loop: Header=BB261_12 Depth=1
	s_wait_xcnt 0x0
	s_or_b32 exec_lo, exec_lo, s19
	s_delay_alu instid0(SALU_CYCLE_1)
	s_mov_b32 s19, exec_lo
	v_cmpx_lt_u32_e32 0xffffff, v38
	s_cbranch_execz .LBB261_241
; %bb.234:                              ;   in Loop: Header=BB261_12 Depth=1
	v_lshrrev_b32_e32 v4, 24, v38
	v_bfrev_b32_e32 v99, 1
	s_mov_b32 s20, exec_lo
	s_delay_alu instid0(VALU_DEP_2)
	v_cmpx_ne_u32_e32 0x80, v4
	s_cbranch_execz .LBB261_240
; %bb.235:                              ;   in Loop: Header=BB261_12 Depth=1
	v_and_b32_e32 v2, 0x7f, v4
	v_mov_b32_e32 v99, 0x7c010000
	s_mov_b32 s21, exec_lo
	s_delay_alu instid0(VALU_DEP_2)
	v_cmpx_ne_u32_e32 0x7f, v2
	s_cbranch_execz .LBB261_239
; %bb.236:                              ;   in Loop: Header=BB261_12 Depth=1
	v_dual_lshrrev_b32 v1, 3, v2 :: v_dual_bitop2_b32 v0, 7, v4 bitop3:0x40
	s_mov_b32 s22, exec_lo
	v_cmpx_gt_u32_e32 8, v2
; %bb.237:                              ;   in Loop: Header=BB261_12 Depth=1
	s_delay_alu instid0(VALU_DEP_2) | instskip(NEXT) | instid1(VALU_DEP_1)
	v_clz_i32_u32_e32 v0, v0
	v_min_u32_e32 v2, 32, v0
	s_delay_alu instid0(VALU_DEP_1) | instskip(NEXT) | instid1(VALU_DEP_1)
	v_subrev_nc_u32_e32 v0, 28, v2
	v_lshlrev_b64_e32 v[0:1], v0, v[4:5]
	s_delay_alu instid0(VALU_DEP_1)
	v_dual_sub_nc_u32 v1, 29, v2 :: v_dual_bitop2_b32 v0, 7, v0 bitop3:0x40
; %bb.238:                              ;   in Loop: Header=BB261_12 Depth=1
	s_or_b32 exec_lo, exec_lo, s22
	v_lshlrev_b32_e32 v2, 8, v4
	s_delay_alu instid0(VALU_DEP_2) | instskip(NEXT) | instid1(VALU_DEP_3)
	v_lshl_add_u32 v1, v1, 10, 0x2000
	v_lshlrev_b32_e32 v0, 23, v0
	s_delay_alu instid0(VALU_DEP_2) | instskip(NEXT) | instid1(VALU_DEP_1)
	v_and_or_b32 v1, 0x8000, v2, v1
	v_lshl_or_b32 v99, v1, 16, v0
.LBB261_239:                            ;   in Loop: Header=BB261_12 Depth=1
	s_or_b32 exec_lo, exec_lo, s21
.LBB261_240:                            ;   in Loop: Header=BB261_12 Depth=1
	s_delay_alu instid0(SALU_CYCLE_1)
	s_or_b32 exec_lo, exec_lo, s20
.LBB261_241:                            ;   in Loop: Header=BB261_12 Depth=1
	s_delay_alu instid0(SALU_CYCLE_1)
	s_or_b32 exec_lo, exec_lo, s19
	flat_load_b32 v38, v[36:37] offset:776
	v_dual_mov_b32 v101, 0 :: v_dual_mov_b32 v1, 0
	s_mov_b32 s19, exec_lo
	scratch_store_b32 off, v1, s32 offset:248 ; 4-byte Folded Spill
	s_wait_loadcnt_dscnt 0x0
	v_and_b32_e32 v0, 0xff, v38
	s_wait_xcnt 0x0
	s_delay_alu instid0(VALU_DEP_1)
	v_cmpx_ne_u16_e32 0, v0
	s_cbranch_execz .LBB261_249
; %bb.242:                              ;   in Loop: Header=BB261_12 Depth=1
	v_cmp_ne_u16_e64 s3, 0x80, v0
	v_mov_b32_e32 v0, 0x8000
	s_and_saveexec_b32 s20, s3
	s_cbranch_execz .LBB261_248
; %bb.243:                              ;   in Loop: Header=BB261_12 Depth=1
	v_and_b32_e32 v2, 0x7f, v38
	v_mov_b32_e32 v0, 0x7c01
	s_mov_b32 s21, exec_lo
	s_delay_alu instid0(VALU_DEP_2)
	v_cmpx_ne_u32_e32 0x7f, v2
	s_cbranch_execz .LBB261_247
; %bb.244:                              ;   in Loop: Header=BB261_12 Depth=1
	v_and_b32_e32 v0, 7, v38
	v_lshrrev_b32_e32 v1, 3, v2
	s_mov_b32 s22, exec_lo
	v_cmpx_gt_u32_e32 8, v2
; %bb.245:                              ;   in Loop: Header=BB261_12 Depth=1
	s_delay_alu instid0(VALU_DEP_3) | instskip(NEXT) | instid1(VALU_DEP_1)
	v_clz_i32_u32_e32 v0, v0
	v_min_u32_e32 v2, 32, v0
	s_delay_alu instid0(VALU_DEP_1) | instskip(NEXT) | instid1(VALU_DEP_1)
	v_subrev_nc_u32_e32 v0, 28, v2
	v_lshlrev_b64_e32 v[0:1], v0, v[38:39]
	s_delay_alu instid0(VALU_DEP_1)
	v_dual_sub_nc_u32 v1, 29, v2 :: v_dual_bitop2_b32 v0, 7, v0 bitop3:0x40
; %bb.246:                              ;   in Loop: Header=BB261_12 Depth=1
	s_or_b32 exec_lo, exec_lo, s22
	s_delay_alu instid0(VALU_DEP_1) | instskip(NEXT) | instid1(VALU_DEP_2)
	v_dual_lshlrev_b32 v2, 8, v38 :: v_dual_lshlrev_b32 v0, 7, v0
	v_lshl_add_u32 v1, v1, 10, 0x2000
	s_delay_alu instid0(VALU_DEP_2) | instskip(NEXT) | instid1(VALU_DEP_2)
	v_and_b32_e32 v2, 0x8000, v2
	v_and_b32_e32 v1, 0xfc00, v1
	s_delay_alu instid0(VALU_DEP_1)
	v_or3_b32 v0, v2, v1, v0
.LBB261_247:                            ;   in Loop: Header=BB261_12 Depth=1
	s_or_b32 exec_lo, exec_lo, s21
.LBB261_248:                            ;   in Loop: Header=BB261_12 Depth=1
	s_delay_alu instid0(SALU_CYCLE_1)
	s_or_b32 exec_lo, exec_lo, s20
	scratch_store_b32 off, v0, s32 offset:248 ; 4-byte Folded Spill
.LBB261_249:                            ;   in Loop: Header=BB261_12 Depth=1
	s_wait_xcnt 0x0
	s_or_b32 exec_lo, exec_lo, s19
	v_lshrrev_b16 v4, 8, v38
	s_mov_b32 s19, exec_lo
	s_delay_alu instid0(VALU_DEP_1)
	v_cmpx_ne_u16_e32 0, v4
	s_cbranch_execz .LBB261_257
; %bb.250:                              ;   in Loop: Header=BB261_12 Depth=1
	v_bfrev_b32_e32 v101, 1
	s_mov_b32 s20, exec_lo
	v_cmpx_ne_u16_e32 0x80, v4
	s_cbranch_execz .LBB261_256
; %bb.251:                              ;   in Loop: Header=BB261_12 Depth=1
	v_and_b32_e32 v0, 0xffff, v4
	v_mov_b32_e32 v101, 0x7c010000
	s_mov_b32 s21, exec_lo
	s_delay_alu instid0(VALU_DEP_2) | instskip(NEXT) | instid1(VALU_DEP_1)
	v_and_b32_e32 v3, 0x7f, v0
	v_cmpx_ne_u32_e32 0x7f, v3
	s_cbranch_execz .LBB261_255
; %bb.252:                              ;   in Loop: Header=BB261_12 Depth=1
	v_dual_lshrrev_b32 v2, 3, v3 :: v_dual_bitop2_b32 v1, 7, v0 bitop3:0x40
	s_mov_b32 s22, exec_lo
	v_cmpx_gt_u32_e32 8, v3
; %bb.253:                              ;   in Loop: Header=BB261_12 Depth=1
	s_delay_alu instid0(VALU_DEP_2) | instskip(NEXT) | instid1(VALU_DEP_1)
	v_clz_i32_u32_e32 v1, v1
	v_min_u32_e32 v1, 32, v1
	s_delay_alu instid0(VALU_DEP_1) | instskip(NEXT) | instid1(VALU_DEP_1)
	v_subrev_nc_u32_e32 v2, 28, v1
	v_lshlrev_b64_e32 v[6:7], v2, v[4:5]
	s_delay_alu instid0(VALU_DEP_1)
	v_dual_sub_nc_u32 v2, 29, v1 :: v_dual_bitop2_b32 v1, 7, v6 bitop3:0x40
; %bb.254:                              ;   in Loop: Header=BB261_12 Depth=1
	s_or_b32 exec_lo, exec_lo, s22
	s_delay_alu instid0(VALU_DEP_1) | instskip(NEXT) | instid1(VALU_DEP_2)
	v_dual_lshlrev_b32 v0, 8, v0 :: v_dual_lshlrev_b32 v1, 23, v1
	v_lshl_add_u32 v2, v2, 10, 0x2000
	s_delay_alu instid0(VALU_DEP_1) | instskip(NEXT) | instid1(VALU_DEP_1)
	v_and_or_b32 v0, 0x8000, v0, v2
	v_lshl_or_b32 v101, v0, 16, v1
.LBB261_255:                            ;   in Loop: Header=BB261_12 Depth=1
	s_or_b32 exec_lo, exec_lo, s21
.LBB261_256:                            ;   in Loop: Header=BB261_12 Depth=1
	s_delay_alu instid0(SALU_CYCLE_1)
	s_or_b32 exec_lo, exec_lo, s20
.LBB261_257:                            ;   in Loop: Header=BB261_12 Depth=1
	s_delay_alu instid0(SALU_CYCLE_1) | instskip(SKIP_3) | instid1(VALU_DEP_2)
	s_or_b32 exec_lo, exec_lo, s19
	v_dual_mov_b32 v103, 0 :: v_dual_lshrrev_b32 v4, 16, v38
	v_mov_b32_e32 v1, 0
	s_mov_b32 s19, exec_lo
	v_and_b32_e32 v0, 0xff, v4
	scratch_store_b32 off, v1, s32 offset:252 ; 4-byte Folded Spill
	s_wait_xcnt 0x0
	v_cmpx_ne_u16_e32 0, v0
	s_cbranch_execz .LBB261_265
; %bb.258:                              ;   in Loop: Header=BB261_12 Depth=1
	v_cmp_ne_u16_e64 s3, 0x80, v0
	v_mov_b32_e32 v0, 0x8000
	s_and_saveexec_b32 s20, s3
	s_cbranch_execz .LBB261_264
; %bb.259:                              ;   in Loop: Header=BB261_12 Depth=1
	v_bfe_u32 v2, v38, 16, 7
	v_mov_b32_e32 v0, 0x7c01
	s_mov_b32 s21, exec_lo
	s_delay_alu instid0(VALU_DEP_2)
	v_cmpx_ne_u32_e32 0x7f, v2
	s_cbranch_execz .LBB261_263
; %bb.260:                              ;   in Loop: Header=BB261_12 Depth=1
	v_dual_lshrrev_b32 v1, 3, v2 :: v_dual_bitop2_b32 v0, 7, v4 bitop3:0x40
	s_mov_b32 s22, exec_lo
	v_cmpx_gt_u32_e32 8, v2
; %bb.261:                              ;   in Loop: Header=BB261_12 Depth=1
	s_delay_alu instid0(VALU_DEP_2) | instskip(NEXT) | instid1(VALU_DEP_1)
	v_clz_i32_u32_e32 v0, v0
	v_min_u32_e32 v2, 32, v0
	s_delay_alu instid0(VALU_DEP_1) | instskip(NEXT) | instid1(VALU_DEP_1)
	v_subrev_nc_u32_e32 v0, 28, v2
	v_lshlrev_b64_e32 v[0:1], v0, v[4:5]
	s_delay_alu instid0(VALU_DEP_1)
	v_dual_sub_nc_u32 v1, 29, v2 :: v_dual_bitop2_b32 v0, 7, v0 bitop3:0x40
; %bb.262:                              ;   in Loop: Header=BB261_12 Depth=1
	s_or_b32 exec_lo, exec_lo, s22
	v_lshlrev_b32_e32 v2, 8, v4
	s_delay_alu instid0(VALU_DEP_2) | instskip(NEXT) | instid1(VALU_DEP_3)
	v_lshl_add_u32 v1, v1, 10, 0x2000
	v_lshlrev_b32_e32 v0, 7, v0
	s_delay_alu instid0(VALU_DEP_3) | instskip(NEXT) | instid1(VALU_DEP_3)
	v_and_b32_e32 v2, 0x8000, v2
	v_and_b32_e32 v1, 0xfc00, v1
	s_delay_alu instid0(VALU_DEP_1)
	v_or3_b32 v0, v2, v1, v0
.LBB261_263:                            ;   in Loop: Header=BB261_12 Depth=1
	s_or_b32 exec_lo, exec_lo, s21
.LBB261_264:                            ;   in Loop: Header=BB261_12 Depth=1
	s_delay_alu instid0(SALU_CYCLE_1)
	s_or_b32 exec_lo, exec_lo, s20
	scratch_store_b32 off, v0, s32 offset:252 ; 4-byte Folded Spill
.LBB261_265:                            ;   in Loop: Header=BB261_12 Depth=1
	s_wait_xcnt 0x0
	s_or_b32 exec_lo, exec_lo, s19
	s_delay_alu instid0(SALU_CYCLE_1)
	s_mov_b32 s19, exec_lo
	v_cmpx_lt_u32_e32 0xffffff, v38
	s_cbranch_execz .LBB261_273
; %bb.266:                              ;   in Loop: Header=BB261_12 Depth=1
	v_lshrrev_b32_e32 v4, 24, v38
	v_bfrev_b32_e32 v103, 1
	s_mov_b32 s20, exec_lo
	s_delay_alu instid0(VALU_DEP_2)
	v_cmpx_ne_u32_e32 0x80, v4
	s_cbranch_execz .LBB261_272
; %bb.267:                              ;   in Loop: Header=BB261_12 Depth=1
	v_and_b32_e32 v2, 0x7f, v4
	v_mov_b32_e32 v103, 0x7c010000
	s_mov_b32 s21, exec_lo
	s_delay_alu instid0(VALU_DEP_2)
	v_cmpx_ne_u32_e32 0x7f, v2
	s_cbranch_execz .LBB261_271
; %bb.268:                              ;   in Loop: Header=BB261_12 Depth=1
	v_dual_lshrrev_b32 v1, 3, v2 :: v_dual_bitop2_b32 v0, 7, v4 bitop3:0x40
	s_mov_b32 s22, exec_lo
	v_cmpx_gt_u32_e32 8, v2
; %bb.269:                              ;   in Loop: Header=BB261_12 Depth=1
	s_delay_alu instid0(VALU_DEP_2) | instskip(NEXT) | instid1(VALU_DEP_1)
	v_clz_i32_u32_e32 v0, v0
	v_min_u32_e32 v2, 32, v0
	s_delay_alu instid0(VALU_DEP_1) | instskip(NEXT) | instid1(VALU_DEP_1)
	v_subrev_nc_u32_e32 v0, 28, v2
	v_lshlrev_b64_e32 v[0:1], v0, v[4:5]
	s_delay_alu instid0(VALU_DEP_1)
	v_dual_sub_nc_u32 v1, 29, v2 :: v_dual_bitop2_b32 v0, 7, v0 bitop3:0x40
; %bb.270:                              ;   in Loop: Header=BB261_12 Depth=1
	s_or_b32 exec_lo, exec_lo, s22
	v_lshlrev_b32_e32 v2, 8, v4
	s_delay_alu instid0(VALU_DEP_2) | instskip(NEXT) | instid1(VALU_DEP_3)
	v_lshl_add_u32 v1, v1, 10, 0x2000
	v_lshlrev_b32_e32 v0, 23, v0
	s_delay_alu instid0(VALU_DEP_2) | instskip(NEXT) | instid1(VALU_DEP_1)
	v_and_or_b32 v1, 0x8000, v2, v1
	v_lshl_or_b32 v103, v1, 16, v0
.LBB261_271:                            ;   in Loop: Header=BB261_12 Depth=1
	s_or_b32 exec_lo, exec_lo, s21
.LBB261_272:                            ;   in Loop: Header=BB261_12 Depth=1
	s_delay_alu instid0(SALU_CYCLE_1)
	s_or_b32 exec_lo, exec_lo, s20
.LBB261_273:                            ;   in Loop: Header=BB261_12 Depth=1
	s_delay_alu instid0(SALU_CYCLE_1)
	s_or_b32 exec_lo, exec_lo, s19
	flat_load_b32 v38, v[36:37] offset:1024
	v_dual_mov_b32 v97, 0 :: v_dual_mov_b32 v1, 0
	s_mov_b32 s19, exec_lo
	scratch_store_b32 off, v1, s32 offset:256 ; 4-byte Folded Spill
	s_wait_loadcnt_dscnt 0x0
	v_and_b32_e32 v0, 0xff, v38
	s_wait_xcnt 0x0
	s_delay_alu instid0(VALU_DEP_1)
	v_cmpx_ne_u16_e32 0, v0
	s_cbranch_execz .LBB261_281
; %bb.274:                              ;   in Loop: Header=BB261_12 Depth=1
	v_cmp_ne_u16_e64 s3, 0x80, v0
	v_mov_b32_e32 v0, 0x8000
	s_and_saveexec_b32 s20, s3
	s_cbranch_execz .LBB261_280
; %bb.275:                              ;   in Loop: Header=BB261_12 Depth=1
	v_and_b32_e32 v2, 0x7f, v38
	v_mov_b32_e32 v0, 0x7c01
	s_mov_b32 s21, exec_lo
	s_delay_alu instid0(VALU_DEP_2)
	v_cmpx_ne_u32_e32 0x7f, v2
	s_cbranch_execz .LBB261_279
; %bb.276:                              ;   in Loop: Header=BB261_12 Depth=1
	v_and_b32_e32 v0, 7, v38
	v_lshrrev_b32_e32 v1, 3, v2
	s_mov_b32 s22, exec_lo
	v_cmpx_gt_u32_e32 8, v2
; %bb.277:                              ;   in Loop: Header=BB261_12 Depth=1
	s_delay_alu instid0(VALU_DEP_3) | instskip(NEXT) | instid1(VALU_DEP_1)
	v_clz_i32_u32_e32 v0, v0
	v_min_u32_e32 v2, 32, v0
	s_delay_alu instid0(VALU_DEP_1) | instskip(NEXT) | instid1(VALU_DEP_1)
	v_subrev_nc_u32_e32 v0, 28, v2
	v_lshlrev_b64_e32 v[0:1], v0, v[38:39]
	s_delay_alu instid0(VALU_DEP_1)
	v_dual_sub_nc_u32 v1, 29, v2 :: v_dual_bitop2_b32 v0, 7, v0 bitop3:0x40
; %bb.278:                              ;   in Loop: Header=BB261_12 Depth=1
	s_or_b32 exec_lo, exec_lo, s22
	s_delay_alu instid0(VALU_DEP_1) | instskip(NEXT) | instid1(VALU_DEP_2)
	v_dual_lshlrev_b32 v2, 8, v38 :: v_dual_lshlrev_b32 v0, 7, v0
	v_lshl_add_u32 v1, v1, 10, 0x2000
	s_delay_alu instid0(VALU_DEP_2) | instskip(NEXT) | instid1(VALU_DEP_2)
	v_and_b32_e32 v2, 0x8000, v2
	v_and_b32_e32 v1, 0xfc00, v1
	s_delay_alu instid0(VALU_DEP_1)
	v_or3_b32 v0, v2, v1, v0
.LBB261_279:                            ;   in Loop: Header=BB261_12 Depth=1
	s_or_b32 exec_lo, exec_lo, s21
.LBB261_280:                            ;   in Loop: Header=BB261_12 Depth=1
	s_delay_alu instid0(SALU_CYCLE_1)
	s_or_b32 exec_lo, exec_lo, s20
	scratch_store_b32 off, v0, s32 offset:256 ; 4-byte Folded Spill
.LBB261_281:                            ;   in Loop: Header=BB261_12 Depth=1
	s_wait_xcnt 0x0
	s_or_b32 exec_lo, exec_lo, s19
	v_lshrrev_b16 v4, 8, v38
	s_mov_b32 s19, exec_lo
	s_delay_alu instid0(VALU_DEP_1)
	v_cmpx_ne_u16_e32 0, v4
	s_cbranch_execz .LBB261_289
; %bb.282:                              ;   in Loop: Header=BB261_12 Depth=1
	v_bfrev_b32_e32 v97, 1
	s_mov_b32 s20, exec_lo
	v_cmpx_ne_u16_e32 0x80, v4
	s_cbranch_execz .LBB261_288
; %bb.283:                              ;   in Loop: Header=BB261_12 Depth=1
	v_and_b32_e32 v0, 0xffff, v4
	v_mov_b32_e32 v97, 0x7c010000
	s_mov_b32 s21, exec_lo
	s_delay_alu instid0(VALU_DEP_2) | instskip(NEXT) | instid1(VALU_DEP_1)
	v_and_b32_e32 v3, 0x7f, v0
	v_cmpx_ne_u32_e32 0x7f, v3
	s_cbranch_execz .LBB261_287
; %bb.284:                              ;   in Loop: Header=BB261_12 Depth=1
	v_dual_lshrrev_b32 v2, 3, v3 :: v_dual_bitop2_b32 v1, 7, v0 bitop3:0x40
	s_mov_b32 s22, exec_lo
	v_cmpx_gt_u32_e32 8, v3
; %bb.285:                              ;   in Loop: Header=BB261_12 Depth=1
	s_delay_alu instid0(VALU_DEP_2) | instskip(NEXT) | instid1(VALU_DEP_1)
	v_clz_i32_u32_e32 v1, v1
	v_min_u32_e32 v1, 32, v1
	s_delay_alu instid0(VALU_DEP_1) | instskip(NEXT) | instid1(VALU_DEP_1)
	v_subrev_nc_u32_e32 v2, 28, v1
	v_lshlrev_b64_e32 v[6:7], v2, v[4:5]
	s_delay_alu instid0(VALU_DEP_1)
	v_dual_sub_nc_u32 v2, 29, v1 :: v_dual_bitop2_b32 v1, 7, v6 bitop3:0x40
; %bb.286:                              ;   in Loop: Header=BB261_12 Depth=1
	s_or_b32 exec_lo, exec_lo, s22
	s_delay_alu instid0(VALU_DEP_1) | instskip(NEXT) | instid1(VALU_DEP_2)
	v_dual_lshlrev_b32 v0, 8, v0 :: v_dual_lshlrev_b32 v1, 23, v1
	v_lshl_add_u32 v2, v2, 10, 0x2000
	s_delay_alu instid0(VALU_DEP_1) | instskip(NEXT) | instid1(VALU_DEP_1)
	v_and_or_b32 v0, 0x8000, v0, v2
	v_lshl_or_b32 v97, v0, 16, v1
.LBB261_287:                            ;   in Loop: Header=BB261_12 Depth=1
	s_or_b32 exec_lo, exec_lo, s21
.LBB261_288:                            ;   in Loop: Header=BB261_12 Depth=1
	s_delay_alu instid0(SALU_CYCLE_1)
	s_or_b32 exec_lo, exec_lo, s20
.LBB261_289:                            ;   in Loop: Header=BB261_12 Depth=1
	s_delay_alu instid0(SALU_CYCLE_1) | instskip(SKIP_3) | instid1(VALU_DEP_2)
	s_or_b32 exec_lo, exec_lo, s19
	v_dual_mov_b32 v51, 0 :: v_dual_lshrrev_b32 v4, 16, v38
	v_mov_b32_e32 v1, 0
	s_mov_b32 s19, exec_lo
	v_and_b32_e32 v0, 0xff, v4
	scratch_store_b32 off, v1, s32 offset:260 ; 4-byte Folded Spill
	s_wait_xcnt 0x0
	v_cmpx_ne_u16_e32 0, v0
	s_cbranch_execz .LBB261_297
; %bb.290:                              ;   in Loop: Header=BB261_12 Depth=1
	v_cmp_ne_u16_e64 s3, 0x80, v0
	v_mov_b32_e32 v0, 0x8000
	s_and_saveexec_b32 s20, s3
	s_cbranch_execz .LBB261_296
; %bb.291:                              ;   in Loop: Header=BB261_12 Depth=1
	v_bfe_u32 v2, v38, 16, 7
	v_mov_b32_e32 v0, 0x7c01
	s_mov_b32 s21, exec_lo
	s_delay_alu instid0(VALU_DEP_2)
	v_cmpx_ne_u32_e32 0x7f, v2
	s_cbranch_execz .LBB261_295
; %bb.292:                              ;   in Loop: Header=BB261_12 Depth=1
	v_dual_lshrrev_b32 v1, 3, v2 :: v_dual_bitop2_b32 v0, 7, v4 bitop3:0x40
	s_mov_b32 s22, exec_lo
	v_cmpx_gt_u32_e32 8, v2
; %bb.293:                              ;   in Loop: Header=BB261_12 Depth=1
	s_delay_alu instid0(VALU_DEP_2) | instskip(NEXT) | instid1(VALU_DEP_1)
	v_clz_i32_u32_e32 v0, v0
	v_min_u32_e32 v2, 32, v0
	s_delay_alu instid0(VALU_DEP_1) | instskip(NEXT) | instid1(VALU_DEP_1)
	v_subrev_nc_u32_e32 v0, 28, v2
	v_lshlrev_b64_e32 v[0:1], v0, v[4:5]
	s_delay_alu instid0(VALU_DEP_1)
	v_dual_sub_nc_u32 v1, 29, v2 :: v_dual_bitop2_b32 v0, 7, v0 bitop3:0x40
; %bb.294:                              ;   in Loop: Header=BB261_12 Depth=1
	s_or_b32 exec_lo, exec_lo, s22
	v_lshlrev_b32_e32 v2, 8, v4
	s_delay_alu instid0(VALU_DEP_2) | instskip(NEXT) | instid1(VALU_DEP_3)
	v_lshl_add_u32 v1, v1, 10, 0x2000
	v_lshlrev_b32_e32 v0, 7, v0
	s_delay_alu instid0(VALU_DEP_3) | instskip(NEXT) | instid1(VALU_DEP_3)
	v_and_b32_e32 v2, 0x8000, v2
	v_and_b32_e32 v1, 0xfc00, v1
	s_delay_alu instid0(VALU_DEP_1)
	v_or3_b32 v0, v2, v1, v0
.LBB261_295:                            ;   in Loop: Header=BB261_12 Depth=1
	s_or_b32 exec_lo, exec_lo, s21
.LBB261_296:                            ;   in Loop: Header=BB261_12 Depth=1
	s_delay_alu instid0(SALU_CYCLE_1)
	s_or_b32 exec_lo, exec_lo, s20
	scratch_store_b32 off, v0, s32 offset:260 ; 4-byte Folded Spill
.LBB261_297:                            ;   in Loop: Header=BB261_12 Depth=1
	s_wait_xcnt 0x0
	s_or_b32 exec_lo, exec_lo, s19
	s_delay_alu instid0(SALU_CYCLE_1)
	s_mov_b32 s19, exec_lo
	v_cmpx_lt_u32_e32 0xffffff, v38
	s_cbranch_execz .LBB261_305
; %bb.298:                              ;   in Loop: Header=BB261_12 Depth=1
	v_lshrrev_b32_e32 v4, 24, v38
	v_bfrev_b32_e32 v51, 1
	s_mov_b32 s20, exec_lo
	s_delay_alu instid0(VALU_DEP_2)
	v_cmpx_ne_u32_e32 0x80, v4
	s_cbranch_execz .LBB261_304
; %bb.299:                              ;   in Loop: Header=BB261_12 Depth=1
	v_and_b32_e32 v2, 0x7f, v4
	v_mov_b32_e32 v51, 0x7c010000
	s_mov_b32 s21, exec_lo
	s_delay_alu instid0(VALU_DEP_2)
	v_cmpx_ne_u32_e32 0x7f, v2
	s_cbranch_execz .LBB261_303
; %bb.300:                              ;   in Loop: Header=BB261_12 Depth=1
	v_dual_lshrrev_b32 v1, 3, v2 :: v_dual_bitop2_b32 v0, 7, v4 bitop3:0x40
	s_mov_b32 s22, exec_lo
	v_cmpx_gt_u32_e32 8, v2
; %bb.301:                              ;   in Loop: Header=BB261_12 Depth=1
	s_delay_alu instid0(VALU_DEP_2) | instskip(NEXT) | instid1(VALU_DEP_1)
	v_clz_i32_u32_e32 v0, v0
	v_min_u32_e32 v2, 32, v0
	s_delay_alu instid0(VALU_DEP_1) | instskip(NEXT) | instid1(VALU_DEP_1)
	v_subrev_nc_u32_e32 v0, 28, v2
	v_lshlrev_b64_e32 v[0:1], v0, v[4:5]
	s_delay_alu instid0(VALU_DEP_1)
	v_dual_sub_nc_u32 v1, 29, v2 :: v_dual_bitop2_b32 v0, 7, v0 bitop3:0x40
; %bb.302:                              ;   in Loop: Header=BB261_12 Depth=1
	s_or_b32 exec_lo, exec_lo, s22
	v_lshlrev_b32_e32 v2, 8, v4
	s_delay_alu instid0(VALU_DEP_2) | instskip(NEXT) | instid1(VALU_DEP_3)
	v_lshl_add_u32 v1, v1, 10, 0x2000
	v_lshlrev_b32_e32 v0, 23, v0
	s_delay_alu instid0(VALU_DEP_2) | instskip(NEXT) | instid1(VALU_DEP_1)
	v_and_or_b32 v1, 0x8000, v2, v1
	v_lshl_or_b32 v51, v1, 16, v0
.LBB261_303:                            ;   in Loop: Header=BB261_12 Depth=1
	s_or_b32 exec_lo, exec_lo, s21
.LBB261_304:                            ;   in Loop: Header=BB261_12 Depth=1
	s_delay_alu instid0(SALU_CYCLE_1)
	s_or_b32 exec_lo, exec_lo, s20
.LBB261_305:                            ;   in Loop: Header=BB261_12 Depth=1
	s_delay_alu instid0(SALU_CYCLE_1)
	s_or_b32 exec_lo, exec_lo, s19
	flat_load_b32 v38, v[36:37] offset:1032
	v_dual_mov_b32 v125, 0 :: v_dual_mov_b32 v1, 0
	s_mov_b32 s19, exec_lo
	scratch_store_b32 off, v1, s32 offset:264 ; 4-byte Folded Spill
	s_wait_loadcnt_dscnt 0x0
	v_and_b32_e32 v0, 0xff, v38
	s_wait_xcnt 0x0
	s_delay_alu instid0(VALU_DEP_1)
	v_cmpx_ne_u16_e32 0, v0
	s_cbranch_execz .LBB261_313
; %bb.306:                              ;   in Loop: Header=BB261_12 Depth=1
	v_cmp_ne_u16_e64 s3, 0x80, v0
	v_mov_b32_e32 v0, 0x8000
	s_and_saveexec_b32 s20, s3
	s_cbranch_execz .LBB261_312
; %bb.307:                              ;   in Loop: Header=BB261_12 Depth=1
	v_and_b32_e32 v2, 0x7f, v38
	v_mov_b32_e32 v0, 0x7c01
	s_mov_b32 s21, exec_lo
	s_delay_alu instid0(VALU_DEP_2)
	v_cmpx_ne_u32_e32 0x7f, v2
	s_cbranch_execz .LBB261_311
; %bb.308:                              ;   in Loop: Header=BB261_12 Depth=1
	v_and_b32_e32 v0, 7, v38
	v_lshrrev_b32_e32 v1, 3, v2
	s_mov_b32 s22, exec_lo
	v_cmpx_gt_u32_e32 8, v2
; %bb.309:                              ;   in Loop: Header=BB261_12 Depth=1
	s_delay_alu instid0(VALU_DEP_3) | instskip(NEXT) | instid1(VALU_DEP_1)
	v_clz_i32_u32_e32 v0, v0
	v_min_u32_e32 v2, 32, v0
	s_delay_alu instid0(VALU_DEP_1) | instskip(NEXT) | instid1(VALU_DEP_1)
	v_subrev_nc_u32_e32 v0, 28, v2
	v_lshlrev_b64_e32 v[0:1], v0, v[38:39]
	s_delay_alu instid0(VALU_DEP_1)
	v_dual_sub_nc_u32 v1, 29, v2 :: v_dual_bitop2_b32 v0, 7, v0 bitop3:0x40
; %bb.310:                              ;   in Loop: Header=BB261_12 Depth=1
	s_or_b32 exec_lo, exec_lo, s22
	s_delay_alu instid0(VALU_DEP_1) | instskip(NEXT) | instid1(VALU_DEP_2)
	v_dual_lshlrev_b32 v2, 8, v38 :: v_dual_lshlrev_b32 v0, 7, v0
	v_lshl_add_u32 v1, v1, 10, 0x2000
	s_delay_alu instid0(VALU_DEP_2) | instskip(NEXT) | instid1(VALU_DEP_2)
	v_and_b32_e32 v2, 0x8000, v2
	v_and_b32_e32 v1, 0xfc00, v1
	s_delay_alu instid0(VALU_DEP_1)
	v_or3_b32 v0, v2, v1, v0
.LBB261_311:                            ;   in Loop: Header=BB261_12 Depth=1
	s_or_b32 exec_lo, exec_lo, s21
.LBB261_312:                            ;   in Loop: Header=BB261_12 Depth=1
	s_delay_alu instid0(SALU_CYCLE_1)
	s_or_b32 exec_lo, exec_lo, s20
	scratch_store_b32 off, v0, s32 offset:264 ; 4-byte Folded Spill
.LBB261_313:                            ;   in Loop: Header=BB261_12 Depth=1
	s_wait_xcnt 0x0
	s_or_b32 exec_lo, exec_lo, s19
	v_lshrrev_b16 v4, 8, v38
	s_mov_b32 s19, exec_lo
	s_delay_alu instid0(VALU_DEP_1)
	v_cmpx_ne_u16_e32 0, v4
	s_cbranch_execz .LBB261_321
; %bb.314:                              ;   in Loop: Header=BB261_12 Depth=1
	v_bfrev_b32_e32 v125, 1
	s_mov_b32 s20, exec_lo
	v_cmpx_ne_u16_e32 0x80, v4
	s_cbranch_execz .LBB261_320
; %bb.315:                              ;   in Loop: Header=BB261_12 Depth=1
	v_and_b32_e32 v0, 0xffff, v4
	v_mov_b32_e32 v125, 0x7c010000
	s_mov_b32 s21, exec_lo
	s_delay_alu instid0(VALU_DEP_2) | instskip(NEXT) | instid1(VALU_DEP_1)
	v_and_b32_e32 v3, 0x7f, v0
	v_cmpx_ne_u32_e32 0x7f, v3
	s_cbranch_execz .LBB261_319
; %bb.316:                              ;   in Loop: Header=BB261_12 Depth=1
	v_dual_lshrrev_b32 v2, 3, v3 :: v_dual_bitop2_b32 v1, 7, v0 bitop3:0x40
	s_mov_b32 s22, exec_lo
	v_cmpx_gt_u32_e32 8, v3
; %bb.317:                              ;   in Loop: Header=BB261_12 Depth=1
	s_delay_alu instid0(VALU_DEP_2) | instskip(NEXT) | instid1(VALU_DEP_1)
	v_clz_i32_u32_e32 v1, v1
	v_min_u32_e32 v1, 32, v1
	s_delay_alu instid0(VALU_DEP_1) | instskip(NEXT) | instid1(VALU_DEP_1)
	v_subrev_nc_u32_e32 v2, 28, v1
	v_lshlrev_b64_e32 v[6:7], v2, v[4:5]
	s_delay_alu instid0(VALU_DEP_1)
	v_dual_sub_nc_u32 v2, 29, v1 :: v_dual_bitop2_b32 v1, 7, v6 bitop3:0x40
; %bb.318:                              ;   in Loop: Header=BB261_12 Depth=1
	s_or_b32 exec_lo, exec_lo, s22
	s_delay_alu instid0(VALU_DEP_1) | instskip(NEXT) | instid1(VALU_DEP_2)
	v_dual_lshlrev_b32 v0, 8, v0 :: v_dual_lshlrev_b32 v1, 23, v1
	v_lshl_add_u32 v2, v2, 10, 0x2000
	s_delay_alu instid0(VALU_DEP_1) | instskip(NEXT) | instid1(VALU_DEP_1)
	v_and_or_b32 v0, 0x8000, v0, v2
	v_lshl_or_b32 v125, v0, 16, v1
.LBB261_319:                            ;   in Loop: Header=BB261_12 Depth=1
	s_or_b32 exec_lo, exec_lo, s21
.LBB261_320:                            ;   in Loop: Header=BB261_12 Depth=1
	s_delay_alu instid0(SALU_CYCLE_1)
	s_or_b32 exec_lo, exec_lo, s20
.LBB261_321:                            ;   in Loop: Header=BB261_12 Depth=1
	s_delay_alu instid0(SALU_CYCLE_1) | instskip(SKIP_3) | instid1(VALU_DEP_2)
	s_or_b32 exec_lo, exec_lo, s19
	v_dual_mov_b32 v87, 0 :: v_dual_lshrrev_b32 v4, 16, v38
	v_mov_b32_e32 v1, 0
	s_mov_b32 s19, exec_lo
	v_and_b32_e32 v0, 0xff, v4
	scratch_store_b32 off, v1, s32 offset:268 ; 4-byte Folded Spill
	s_wait_xcnt 0x0
	v_cmpx_ne_u16_e32 0, v0
	s_cbranch_execz .LBB261_329
; %bb.322:                              ;   in Loop: Header=BB261_12 Depth=1
	v_cmp_ne_u16_e64 s3, 0x80, v0
	v_mov_b32_e32 v0, 0x8000
	s_and_saveexec_b32 s20, s3
	s_cbranch_execz .LBB261_328
; %bb.323:                              ;   in Loop: Header=BB261_12 Depth=1
	v_bfe_u32 v2, v38, 16, 7
	v_mov_b32_e32 v0, 0x7c01
	s_mov_b32 s21, exec_lo
	s_delay_alu instid0(VALU_DEP_2)
	v_cmpx_ne_u32_e32 0x7f, v2
	s_cbranch_execz .LBB261_327
; %bb.324:                              ;   in Loop: Header=BB261_12 Depth=1
	v_dual_lshrrev_b32 v1, 3, v2 :: v_dual_bitop2_b32 v0, 7, v4 bitop3:0x40
	s_mov_b32 s22, exec_lo
	v_cmpx_gt_u32_e32 8, v2
; %bb.325:                              ;   in Loop: Header=BB261_12 Depth=1
	s_delay_alu instid0(VALU_DEP_2) | instskip(NEXT) | instid1(VALU_DEP_1)
	v_clz_i32_u32_e32 v0, v0
	v_min_u32_e32 v2, 32, v0
	s_delay_alu instid0(VALU_DEP_1) | instskip(NEXT) | instid1(VALU_DEP_1)
	v_subrev_nc_u32_e32 v0, 28, v2
	v_lshlrev_b64_e32 v[0:1], v0, v[4:5]
	s_delay_alu instid0(VALU_DEP_1)
	v_dual_sub_nc_u32 v1, 29, v2 :: v_dual_bitop2_b32 v0, 7, v0 bitop3:0x40
; %bb.326:                              ;   in Loop: Header=BB261_12 Depth=1
	s_or_b32 exec_lo, exec_lo, s22
	v_lshlrev_b32_e32 v2, 8, v4
	s_delay_alu instid0(VALU_DEP_2) | instskip(NEXT) | instid1(VALU_DEP_3)
	v_lshl_add_u32 v1, v1, 10, 0x2000
	v_lshlrev_b32_e32 v0, 7, v0
	s_delay_alu instid0(VALU_DEP_3) | instskip(NEXT) | instid1(VALU_DEP_3)
	v_and_b32_e32 v2, 0x8000, v2
	v_and_b32_e32 v1, 0xfc00, v1
	s_delay_alu instid0(VALU_DEP_1)
	v_or3_b32 v0, v2, v1, v0
.LBB261_327:                            ;   in Loop: Header=BB261_12 Depth=1
	s_or_b32 exec_lo, exec_lo, s21
.LBB261_328:                            ;   in Loop: Header=BB261_12 Depth=1
	s_delay_alu instid0(SALU_CYCLE_1)
	s_or_b32 exec_lo, exec_lo, s20
	scratch_store_b32 off, v0, s32 offset:268 ; 4-byte Folded Spill
.LBB261_329:                            ;   in Loop: Header=BB261_12 Depth=1
	s_wait_xcnt 0x0
	s_or_b32 exec_lo, exec_lo, s19
	s_delay_alu instid0(SALU_CYCLE_1)
	s_mov_b32 s19, exec_lo
	v_cmpx_lt_u32_e32 0xffffff, v38
	s_cbranch_execz .LBB261_337
; %bb.330:                              ;   in Loop: Header=BB261_12 Depth=1
	v_lshrrev_b32_e32 v4, 24, v38
	v_bfrev_b32_e32 v87, 1
	s_mov_b32 s20, exec_lo
	s_delay_alu instid0(VALU_DEP_2)
	v_cmpx_ne_u32_e32 0x80, v4
	s_cbranch_execz .LBB261_336
; %bb.331:                              ;   in Loop: Header=BB261_12 Depth=1
	v_and_b32_e32 v2, 0x7f, v4
	v_mov_b32_e32 v87, 0x7c010000
	s_mov_b32 s21, exec_lo
	s_delay_alu instid0(VALU_DEP_2)
	v_cmpx_ne_u32_e32 0x7f, v2
	s_cbranch_execz .LBB261_335
; %bb.332:                              ;   in Loop: Header=BB261_12 Depth=1
	v_dual_lshrrev_b32 v1, 3, v2 :: v_dual_bitop2_b32 v0, 7, v4 bitop3:0x40
	s_mov_b32 s22, exec_lo
	v_cmpx_gt_u32_e32 8, v2
; %bb.333:                              ;   in Loop: Header=BB261_12 Depth=1
	s_delay_alu instid0(VALU_DEP_2) | instskip(NEXT) | instid1(VALU_DEP_1)
	v_clz_i32_u32_e32 v0, v0
	v_min_u32_e32 v2, 32, v0
	s_delay_alu instid0(VALU_DEP_1) | instskip(NEXT) | instid1(VALU_DEP_1)
	v_subrev_nc_u32_e32 v0, 28, v2
	v_lshlrev_b64_e32 v[0:1], v0, v[4:5]
	s_delay_alu instid0(VALU_DEP_1)
	v_dual_sub_nc_u32 v1, 29, v2 :: v_dual_bitop2_b32 v0, 7, v0 bitop3:0x40
; %bb.334:                              ;   in Loop: Header=BB261_12 Depth=1
	s_or_b32 exec_lo, exec_lo, s22
	v_lshlrev_b32_e32 v2, 8, v4
	s_delay_alu instid0(VALU_DEP_2) | instskip(NEXT) | instid1(VALU_DEP_3)
	v_lshl_add_u32 v1, v1, 10, 0x2000
	v_lshlrev_b32_e32 v0, 23, v0
	s_delay_alu instid0(VALU_DEP_2) | instskip(NEXT) | instid1(VALU_DEP_1)
	v_and_or_b32 v1, 0x8000, v2, v1
	v_lshl_or_b32 v87, v1, 16, v0
.LBB261_335:                            ;   in Loop: Header=BB261_12 Depth=1
	s_or_b32 exec_lo, exec_lo, s21
.LBB261_336:                            ;   in Loop: Header=BB261_12 Depth=1
	s_delay_alu instid0(SALU_CYCLE_1)
	s_or_b32 exec_lo, exec_lo, s20
.LBB261_337:                            ;   in Loop: Header=BB261_12 Depth=1
	s_delay_alu instid0(SALU_CYCLE_1)
	s_or_b32 exec_lo, exec_lo, s19
	flat_load_b32 v38, v[36:37] offset:1280
	v_dual_mov_b32 v59, 0 :: v_dual_mov_b32 v1, 0
	s_mov_b32 s19, exec_lo
	scratch_store_b32 off, v1, s32 offset:272 ; 4-byte Folded Spill
	s_wait_loadcnt_dscnt 0x0
	v_and_b32_e32 v0, 0xff, v38
	s_wait_xcnt 0x0
	s_delay_alu instid0(VALU_DEP_1)
	v_cmpx_ne_u16_e32 0, v0
	s_cbranch_execz .LBB261_345
; %bb.338:                              ;   in Loop: Header=BB261_12 Depth=1
	v_cmp_ne_u16_e64 s3, 0x80, v0
	v_mov_b32_e32 v0, 0x8000
	s_and_saveexec_b32 s20, s3
	s_cbranch_execz .LBB261_344
; %bb.339:                              ;   in Loop: Header=BB261_12 Depth=1
	v_and_b32_e32 v2, 0x7f, v38
	v_mov_b32_e32 v0, 0x7c01
	s_mov_b32 s21, exec_lo
	s_delay_alu instid0(VALU_DEP_2)
	v_cmpx_ne_u32_e32 0x7f, v2
	s_cbranch_execz .LBB261_343
; %bb.340:                              ;   in Loop: Header=BB261_12 Depth=1
	v_and_b32_e32 v0, 7, v38
	v_lshrrev_b32_e32 v1, 3, v2
	s_mov_b32 s22, exec_lo
	v_cmpx_gt_u32_e32 8, v2
; %bb.341:                              ;   in Loop: Header=BB261_12 Depth=1
	s_delay_alu instid0(VALU_DEP_3) | instskip(NEXT) | instid1(VALU_DEP_1)
	v_clz_i32_u32_e32 v0, v0
	v_min_u32_e32 v2, 32, v0
	s_delay_alu instid0(VALU_DEP_1) | instskip(NEXT) | instid1(VALU_DEP_1)
	v_subrev_nc_u32_e32 v0, 28, v2
	v_lshlrev_b64_e32 v[0:1], v0, v[38:39]
	s_delay_alu instid0(VALU_DEP_1)
	v_dual_sub_nc_u32 v1, 29, v2 :: v_dual_bitop2_b32 v0, 7, v0 bitop3:0x40
; %bb.342:                              ;   in Loop: Header=BB261_12 Depth=1
	s_or_b32 exec_lo, exec_lo, s22
	s_delay_alu instid0(VALU_DEP_1) | instskip(NEXT) | instid1(VALU_DEP_2)
	v_dual_lshlrev_b32 v2, 8, v38 :: v_dual_lshlrev_b32 v0, 7, v0
	v_lshl_add_u32 v1, v1, 10, 0x2000
	s_delay_alu instid0(VALU_DEP_2) | instskip(NEXT) | instid1(VALU_DEP_2)
	v_and_b32_e32 v2, 0x8000, v2
	v_and_b32_e32 v1, 0xfc00, v1
	s_delay_alu instid0(VALU_DEP_1)
	v_or3_b32 v0, v2, v1, v0
.LBB261_343:                            ;   in Loop: Header=BB261_12 Depth=1
	s_or_b32 exec_lo, exec_lo, s21
.LBB261_344:                            ;   in Loop: Header=BB261_12 Depth=1
	s_delay_alu instid0(SALU_CYCLE_1)
	s_or_b32 exec_lo, exec_lo, s20
	scratch_store_b32 off, v0, s32 offset:272 ; 4-byte Folded Spill
.LBB261_345:                            ;   in Loop: Header=BB261_12 Depth=1
	s_wait_xcnt 0x0
	s_or_b32 exec_lo, exec_lo, s19
	v_lshrrev_b16 v4, 8, v38
	s_mov_b32 s19, exec_lo
	s_delay_alu instid0(VALU_DEP_1)
	v_cmpx_ne_u16_e32 0, v4
	s_cbranch_execz .LBB261_353
; %bb.346:                              ;   in Loop: Header=BB261_12 Depth=1
	v_bfrev_b32_e32 v59, 1
	s_mov_b32 s20, exec_lo
	v_cmpx_ne_u16_e32 0x80, v4
	s_cbranch_execz .LBB261_352
; %bb.347:                              ;   in Loop: Header=BB261_12 Depth=1
	v_and_b32_e32 v0, 0xffff, v4
	v_mov_b32_e32 v59, 0x7c010000
	s_mov_b32 s21, exec_lo
	s_delay_alu instid0(VALU_DEP_2) | instskip(NEXT) | instid1(VALU_DEP_1)
	v_and_b32_e32 v3, 0x7f, v0
	v_cmpx_ne_u32_e32 0x7f, v3
	s_cbranch_execz .LBB261_351
; %bb.348:                              ;   in Loop: Header=BB261_12 Depth=1
	v_dual_lshrrev_b32 v2, 3, v3 :: v_dual_bitop2_b32 v1, 7, v0 bitop3:0x40
	s_mov_b32 s22, exec_lo
	v_cmpx_gt_u32_e32 8, v3
; %bb.349:                              ;   in Loop: Header=BB261_12 Depth=1
	s_delay_alu instid0(VALU_DEP_2) | instskip(NEXT) | instid1(VALU_DEP_1)
	v_clz_i32_u32_e32 v1, v1
	v_min_u32_e32 v1, 32, v1
	s_delay_alu instid0(VALU_DEP_1) | instskip(NEXT) | instid1(VALU_DEP_1)
	v_subrev_nc_u32_e32 v2, 28, v1
	v_lshlrev_b64_e32 v[6:7], v2, v[4:5]
	s_delay_alu instid0(VALU_DEP_1)
	v_dual_sub_nc_u32 v2, 29, v1 :: v_dual_bitop2_b32 v1, 7, v6 bitop3:0x40
; %bb.350:                              ;   in Loop: Header=BB261_12 Depth=1
	s_or_b32 exec_lo, exec_lo, s22
	s_delay_alu instid0(VALU_DEP_1) | instskip(NEXT) | instid1(VALU_DEP_2)
	v_dual_lshlrev_b32 v0, 8, v0 :: v_dual_lshlrev_b32 v1, 23, v1
	v_lshl_add_u32 v2, v2, 10, 0x2000
	s_delay_alu instid0(VALU_DEP_1) | instskip(NEXT) | instid1(VALU_DEP_1)
	v_and_or_b32 v0, 0x8000, v0, v2
	v_lshl_or_b32 v59, v0, 16, v1
.LBB261_351:                            ;   in Loop: Header=BB261_12 Depth=1
	s_or_b32 exec_lo, exec_lo, s21
.LBB261_352:                            ;   in Loop: Header=BB261_12 Depth=1
	s_delay_alu instid0(SALU_CYCLE_1)
	s_or_b32 exec_lo, exec_lo, s20
.LBB261_353:                            ;   in Loop: Header=BB261_12 Depth=1
	s_delay_alu instid0(SALU_CYCLE_1) | instskip(SKIP_3) | instid1(VALU_DEP_2)
	s_or_b32 exec_lo, exec_lo, s19
	v_dual_lshrrev_b32 v4, 16, v38 :: v_dual_mov_b32 v62, 0
	v_mov_b32_e32 v1, 0
	s_mov_b32 s19, exec_lo
	v_and_b32_e32 v0, 0xff, v4
	scratch_store_b32 off, v1, s32 offset:276 ; 4-byte Folded Spill
	s_wait_xcnt 0x0
	v_cmpx_ne_u16_e32 0, v0
	s_cbranch_execz .LBB261_361
; %bb.354:                              ;   in Loop: Header=BB261_12 Depth=1
	v_cmp_ne_u16_e64 s3, 0x80, v0
	v_mov_b32_e32 v0, 0x8000
	s_and_saveexec_b32 s20, s3
	s_cbranch_execz .LBB261_360
; %bb.355:                              ;   in Loop: Header=BB261_12 Depth=1
	v_bfe_u32 v2, v38, 16, 7
	v_mov_b32_e32 v0, 0x7c01
	s_mov_b32 s21, exec_lo
	s_delay_alu instid0(VALU_DEP_2)
	v_cmpx_ne_u32_e32 0x7f, v2
	s_cbranch_execz .LBB261_359
; %bb.356:                              ;   in Loop: Header=BB261_12 Depth=1
	v_dual_lshrrev_b32 v1, 3, v2 :: v_dual_bitop2_b32 v0, 7, v4 bitop3:0x40
	s_mov_b32 s22, exec_lo
	v_cmpx_gt_u32_e32 8, v2
; %bb.357:                              ;   in Loop: Header=BB261_12 Depth=1
	s_delay_alu instid0(VALU_DEP_2) | instskip(NEXT) | instid1(VALU_DEP_1)
	v_clz_i32_u32_e32 v0, v0
	v_min_u32_e32 v2, 32, v0
	s_delay_alu instid0(VALU_DEP_1) | instskip(NEXT) | instid1(VALU_DEP_1)
	v_subrev_nc_u32_e32 v0, 28, v2
	v_lshlrev_b64_e32 v[0:1], v0, v[4:5]
	s_delay_alu instid0(VALU_DEP_1)
	v_dual_sub_nc_u32 v1, 29, v2 :: v_dual_bitop2_b32 v0, 7, v0 bitop3:0x40
; %bb.358:                              ;   in Loop: Header=BB261_12 Depth=1
	s_or_b32 exec_lo, exec_lo, s22
	v_lshlrev_b32_e32 v2, 8, v4
	s_delay_alu instid0(VALU_DEP_2) | instskip(NEXT) | instid1(VALU_DEP_3)
	v_lshl_add_u32 v1, v1, 10, 0x2000
	v_lshlrev_b32_e32 v0, 7, v0
	s_delay_alu instid0(VALU_DEP_3) | instskip(NEXT) | instid1(VALU_DEP_3)
	v_and_b32_e32 v2, 0x8000, v2
	v_and_b32_e32 v1, 0xfc00, v1
	s_delay_alu instid0(VALU_DEP_1)
	v_or3_b32 v0, v2, v1, v0
.LBB261_359:                            ;   in Loop: Header=BB261_12 Depth=1
	s_or_b32 exec_lo, exec_lo, s21
.LBB261_360:                            ;   in Loop: Header=BB261_12 Depth=1
	s_delay_alu instid0(SALU_CYCLE_1)
	s_or_b32 exec_lo, exec_lo, s20
	scratch_store_b32 off, v0, s32 offset:276 ; 4-byte Folded Spill
.LBB261_361:                            ;   in Loop: Header=BB261_12 Depth=1
	s_wait_xcnt 0x0
	s_or_b32 exec_lo, exec_lo, s19
	s_delay_alu instid0(SALU_CYCLE_1)
	s_mov_b32 s19, exec_lo
	v_cmpx_lt_u32_e32 0xffffff, v38
	s_cbranch_execz .LBB261_369
; %bb.362:                              ;   in Loop: Header=BB261_12 Depth=1
	v_lshrrev_b32_e32 v4, 24, v38
	v_bfrev_b32_e32 v62, 1
	s_mov_b32 s20, exec_lo
	s_delay_alu instid0(VALU_DEP_2)
	v_cmpx_ne_u32_e32 0x80, v4
	s_cbranch_execz .LBB261_368
; %bb.363:                              ;   in Loop: Header=BB261_12 Depth=1
	v_and_b32_e32 v2, 0x7f, v4
	v_mov_b32_e32 v62, 0x7c010000
	s_mov_b32 s21, exec_lo
	s_delay_alu instid0(VALU_DEP_2)
	v_cmpx_ne_u32_e32 0x7f, v2
	s_cbranch_execz .LBB261_367
; %bb.364:                              ;   in Loop: Header=BB261_12 Depth=1
	v_dual_lshrrev_b32 v1, 3, v2 :: v_dual_bitop2_b32 v0, 7, v4 bitop3:0x40
	s_mov_b32 s22, exec_lo
	v_cmpx_gt_u32_e32 8, v2
; %bb.365:                              ;   in Loop: Header=BB261_12 Depth=1
	s_delay_alu instid0(VALU_DEP_2) | instskip(NEXT) | instid1(VALU_DEP_1)
	v_clz_i32_u32_e32 v0, v0
	v_min_u32_e32 v2, 32, v0
	s_delay_alu instid0(VALU_DEP_1) | instskip(NEXT) | instid1(VALU_DEP_1)
	v_subrev_nc_u32_e32 v0, 28, v2
	v_lshlrev_b64_e32 v[0:1], v0, v[4:5]
	s_delay_alu instid0(VALU_DEP_1)
	v_dual_sub_nc_u32 v1, 29, v2 :: v_dual_bitop2_b32 v0, 7, v0 bitop3:0x40
; %bb.366:                              ;   in Loop: Header=BB261_12 Depth=1
	s_or_b32 exec_lo, exec_lo, s22
	v_lshlrev_b32_e32 v2, 8, v4
	s_delay_alu instid0(VALU_DEP_2) | instskip(NEXT) | instid1(VALU_DEP_3)
	v_lshl_add_u32 v1, v1, 10, 0x2000
	v_lshlrev_b32_e32 v0, 23, v0
	s_delay_alu instid0(VALU_DEP_2) | instskip(NEXT) | instid1(VALU_DEP_1)
	v_and_or_b32 v1, 0x8000, v2, v1
	v_lshl_or_b32 v62, v1, 16, v0
.LBB261_367:                            ;   in Loop: Header=BB261_12 Depth=1
	s_or_b32 exec_lo, exec_lo, s21
.LBB261_368:                            ;   in Loop: Header=BB261_12 Depth=1
	s_delay_alu instid0(SALU_CYCLE_1)
	s_or_b32 exec_lo, exec_lo, s20
.LBB261_369:                            ;   in Loop: Header=BB261_12 Depth=1
	s_delay_alu instid0(SALU_CYCLE_1)
	s_or_b32 exec_lo, exec_lo, s19
	flat_load_b32 v38, v[36:37] offset:1288
	v_dual_mov_b32 v60, 0 :: v_dual_mov_b32 v1, 0
	s_mov_b32 s19, exec_lo
	scratch_store_b32 off, v1, s32 offset:280 ; 4-byte Folded Spill
	s_wait_loadcnt_dscnt 0x0
	v_and_b32_e32 v0, 0xff, v38
	s_wait_xcnt 0x0
	s_delay_alu instid0(VALU_DEP_1)
	v_cmpx_ne_u16_e32 0, v0
	s_cbranch_execz .LBB261_377
; %bb.370:                              ;   in Loop: Header=BB261_12 Depth=1
	v_cmp_ne_u16_e64 s3, 0x80, v0
	v_mov_b32_e32 v0, 0x8000
	s_and_saveexec_b32 s20, s3
	s_cbranch_execz .LBB261_376
; %bb.371:                              ;   in Loop: Header=BB261_12 Depth=1
	v_and_b32_e32 v2, 0x7f, v38
	v_mov_b32_e32 v0, 0x7c01
	s_mov_b32 s21, exec_lo
	s_delay_alu instid0(VALU_DEP_2)
	v_cmpx_ne_u32_e32 0x7f, v2
	s_cbranch_execz .LBB261_375
; %bb.372:                              ;   in Loop: Header=BB261_12 Depth=1
	v_and_b32_e32 v0, 7, v38
	v_lshrrev_b32_e32 v1, 3, v2
	s_mov_b32 s22, exec_lo
	v_cmpx_gt_u32_e32 8, v2
; %bb.373:                              ;   in Loop: Header=BB261_12 Depth=1
	s_delay_alu instid0(VALU_DEP_3) | instskip(NEXT) | instid1(VALU_DEP_1)
	v_clz_i32_u32_e32 v0, v0
	v_min_u32_e32 v2, 32, v0
	s_delay_alu instid0(VALU_DEP_1) | instskip(NEXT) | instid1(VALU_DEP_1)
	v_subrev_nc_u32_e32 v0, 28, v2
	v_lshlrev_b64_e32 v[0:1], v0, v[38:39]
	s_delay_alu instid0(VALU_DEP_1)
	v_dual_sub_nc_u32 v1, 29, v2 :: v_dual_bitop2_b32 v0, 7, v0 bitop3:0x40
; %bb.374:                              ;   in Loop: Header=BB261_12 Depth=1
	s_or_b32 exec_lo, exec_lo, s22
	s_delay_alu instid0(VALU_DEP_1) | instskip(NEXT) | instid1(VALU_DEP_2)
	v_dual_lshlrev_b32 v2, 8, v38 :: v_dual_lshlrev_b32 v0, 7, v0
	v_lshl_add_u32 v1, v1, 10, 0x2000
	s_delay_alu instid0(VALU_DEP_2) | instskip(NEXT) | instid1(VALU_DEP_2)
	v_and_b32_e32 v2, 0x8000, v2
	v_and_b32_e32 v1, 0xfc00, v1
	s_delay_alu instid0(VALU_DEP_1)
	v_or3_b32 v0, v2, v1, v0
.LBB261_375:                            ;   in Loop: Header=BB261_12 Depth=1
	s_or_b32 exec_lo, exec_lo, s21
.LBB261_376:                            ;   in Loop: Header=BB261_12 Depth=1
	s_delay_alu instid0(SALU_CYCLE_1)
	s_or_b32 exec_lo, exec_lo, s20
	scratch_store_b32 off, v0, s32 offset:280 ; 4-byte Folded Spill
.LBB261_377:                            ;   in Loop: Header=BB261_12 Depth=1
	s_wait_xcnt 0x0
	s_or_b32 exec_lo, exec_lo, s19
	v_lshrrev_b16 v4, 8, v38
	s_mov_b32 s19, exec_lo
	s_delay_alu instid0(VALU_DEP_1)
	v_cmpx_ne_u16_e32 0, v4
	s_cbranch_execz .LBB261_385
; %bb.378:                              ;   in Loop: Header=BB261_12 Depth=1
	v_bfrev_b32_e32 v60, 1
	s_mov_b32 s20, exec_lo
	v_cmpx_ne_u16_e32 0x80, v4
	s_cbranch_execz .LBB261_384
; %bb.379:                              ;   in Loop: Header=BB261_12 Depth=1
	v_and_b32_e32 v0, 0xffff, v4
	v_mov_b32_e32 v60, 0x7c010000
	s_mov_b32 s21, exec_lo
	s_delay_alu instid0(VALU_DEP_2) | instskip(NEXT) | instid1(VALU_DEP_1)
	v_and_b32_e32 v3, 0x7f, v0
	v_cmpx_ne_u32_e32 0x7f, v3
	s_cbranch_execz .LBB261_383
; %bb.380:                              ;   in Loop: Header=BB261_12 Depth=1
	v_dual_lshrrev_b32 v2, 3, v3 :: v_dual_bitop2_b32 v1, 7, v0 bitop3:0x40
	s_mov_b32 s22, exec_lo
	v_cmpx_gt_u32_e32 8, v3
; %bb.381:                              ;   in Loop: Header=BB261_12 Depth=1
	s_delay_alu instid0(VALU_DEP_2) | instskip(NEXT) | instid1(VALU_DEP_1)
	v_clz_i32_u32_e32 v1, v1
	v_min_u32_e32 v1, 32, v1
	s_delay_alu instid0(VALU_DEP_1) | instskip(NEXT) | instid1(VALU_DEP_1)
	v_subrev_nc_u32_e32 v2, 28, v1
	v_lshlrev_b64_e32 v[6:7], v2, v[4:5]
	s_delay_alu instid0(VALU_DEP_1)
	v_dual_sub_nc_u32 v2, 29, v1 :: v_dual_bitop2_b32 v1, 7, v6 bitop3:0x40
; %bb.382:                              ;   in Loop: Header=BB261_12 Depth=1
	s_or_b32 exec_lo, exec_lo, s22
	s_delay_alu instid0(VALU_DEP_1) | instskip(NEXT) | instid1(VALU_DEP_2)
	v_dual_lshlrev_b32 v0, 8, v0 :: v_dual_lshlrev_b32 v1, 23, v1
	v_lshl_add_u32 v2, v2, 10, 0x2000
	s_delay_alu instid0(VALU_DEP_1) | instskip(NEXT) | instid1(VALU_DEP_1)
	v_and_or_b32 v0, 0x8000, v0, v2
	v_lshl_or_b32 v60, v0, 16, v1
.LBB261_383:                            ;   in Loop: Header=BB261_12 Depth=1
	s_or_b32 exec_lo, exec_lo, s21
.LBB261_384:                            ;   in Loop: Header=BB261_12 Depth=1
	s_delay_alu instid0(SALU_CYCLE_1)
	s_or_b32 exec_lo, exec_lo, s20
.LBB261_385:                            ;   in Loop: Header=BB261_12 Depth=1
	s_delay_alu instid0(SALU_CYCLE_1) | instskip(SKIP_3) | instid1(VALU_DEP_2)
	s_or_b32 exec_lo, exec_lo, s19
	v_dual_mov_b32 v77, 0 :: v_dual_lshrrev_b32 v4, 16, v38
	v_mov_b32_e32 v1, 0
	s_mov_b32 s19, exec_lo
	v_and_b32_e32 v0, 0xff, v4
	scratch_store_b32 off, v1, s32 offset:284 ; 4-byte Folded Spill
	s_wait_xcnt 0x0
	v_cmpx_ne_u16_e32 0, v0
	s_cbranch_execz .LBB261_393
; %bb.386:                              ;   in Loop: Header=BB261_12 Depth=1
	v_cmp_ne_u16_e64 s3, 0x80, v0
	v_mov_b32_e32 v0, 0x8000
	s_and_saveexec_b32 s20, s3
	s_cbranch_execz .LBB261_392
; %bb.387:                              ;   in Loop: Header=BB261_12 Depth=1
	v_bfe_u32 v2, v38, 16, 7
	v_mov_b32_e32 v0, 0x7c01
	s_mov_b32 s21, exec_lo
	s_delay_alu instid0(VALU_DEP_2)
	v_cmpx_ne_u32_e32 0x7f, v2
	s_cbranch_execz .LBB261_391
; %bb.388:                              ;   in Loop: Header=BB261_12 Depth=1
	v_dual_lshrrev_b32 v1, 3, v2 :: v_dual_bitop2_b32 v0, 7, v4 bitop3:0x40
	s_mov_b32 s22, exec_lo
	v_cmpx_gt_u32_e32 8, v2
; %bb.389:                              ;   in Loop: Header=BB261_12 Depth=1
	s_delay_alu instid0(VALU_DEP_2) | instskip(NEXT) | instid1(VALU_DEP_1)
	v_clz_i32_u32_e32 v0, v0
	v_min_u32_e32 v2, 32, v0
	s_delay_alu instid0(VALU_DEP_1) | instskip(NEXT) | instid1(VALU_DEP_1)
	v_subrev_nc_u32_e32 v0, 28, v2
	v_lshlrev_b64_e32 v[0:1], v0, v[4:5]
	s_delay_alu instid0(VALU_DEP_1)
	v_dual_sub_nc_u32 v1, 29, v2 :: v_dual_bitop2_b32 v0, 7, v0 bitop3:0x40
; %bb.390:                              ;   in Loop: Header=BB261_12 Depth=1
	s_or_b32 exec_lo, exec_lo, s22
	v_lshlrev_b32_e32 v2, 8, v4
	s_delay_alu instid0(VALU_DEP_2) | instskip(NEXT) | instid1(VALU_DEP_3)
	v_lshl_add_u32 v1, v1, 10, 0x2000
	v_lshlrev_b32_e32 v0, 7, v0
	s_delay_alu instid0(VALU_DEP_3) | instskip(NEXT) | instid1(VALU_DEP_3)
	v_and_b32_e32 v2, 0x8000, v2
	v_and_b32_e32 v1, 0xfc00, v1
	s_delay_alu instid0(VALU_DEP_1)
	v_or3_b32 v0, v2, v1, v0
.LBB261_391:                            ;   in Loop: Header=BB261_12 Depth=1
	s_or_b32 exec_lo, exec_lo, s21
.LBB261_392:                            ;   in Loop: Header=BB261_12 Depth=1
	s_delay_alu instid0(SALU_CYCLE_1)
	s_or_b32 exec_lo, exec_lo, s20
	scratch_store_b32 off, v0, s32 offset:284 ; 4-byte Folded Spill
.LBB261_393:                            ;   in Loop: Header=BB261_12 Depth=1
	s_wait_xcnt 0x0
	s_or_b32 exec_lo, exec_lo, s19
	s_delay_alu instid0(SALU_CYCLE_1)
	s_mov_b32 s19, exec_lo
	v_cmpx_lt_u32_e32 0xffffff, v38
	s_cbranch_execz .LBB261_401
; %bb.394:                              ;   in Loop: Header=BB261_12 Depth=1
	v_lshrrev_b32_e32 v4, 24, v38
	v_bfrev_b32_e32 v77, 1
	s_mov_b32 s20, exec_lo
	s_delay_alu instid0(VALU_DEP_2)
	v_cmpx_ne_u32_e32 0x80, v4
	s_cbranch_execz .LBB261_400
; %bb.395:                              ;   in Loop: Header=BB261_12 Depth=1
	v_and_b32_e32 v2, 0x7f, v4
	v_mov_b32_e32 v77, 0x7c010000
	s_mov_b32 s21, exec_lo
	s_delay_alu instid0(VALU_DEP_2)
	v_cmpx_ne_u32_e32 0x7f, v2
	s_cbranch_execz .LBB261_399
; %bb.396:                              ;   in Loop: Header=BB261_12 Depth=1
	v_dual_lshrrev_b32 v1, 3, v2 :: v_dual_bitop2_b32 v0, 7, v4 bitop3:0x40
	s_mov_b32 s22, exec_lo
	v_cmpx_gt_u32_e32 8, v2
; %bb.397:                              ;   in Loop: Header=BB261_12 Depth=1
	s_delay_alu instid0(VALU_DEP_2) | instskip(NEXT) | instid1(VALU_DEP_1)
	v_clz_i32_u32_e32 v0, v0
	v_min_u32_e32 v2, 32, v0
	s_delay_alu instid0(VALU_DEP_1) | instskip(NEXT) | instid1(VALU_DEP_1)
	v_subrev_nc_u32_e32 v0, 28, v2
	v_lshlrev_b64_e32 v[0:1], v0, v[4:5]
	s_delay_alu instid0(VALU_DEP_1)
	v_dual_sub_nc_u32 v1, 29, v2 :: v_dual_bitop2_b32 v0, 7, v0 bitop3:0x40
; %bb.398:                              ;   in Loop: Header=BB261_12 Depth=1
	s_or_b32 exec_lo, exec_lo, s22
	v_lshlrev_b32_e32 v2, 8, v4
	s_delay_alu instid0(VALU_DEP_2) | instskip(NEXT) | instid1(VALU_DEP_3)
	v_lshl_add_u32 v1, v1, 10, 0x2000
	v_lshlrev_b32_e32 v0, 23, v0
	s_delay_alu instid0(VALU_DEP_2) | instskip(NEXT) | instid1(VALU_DEP_1)
	v_and_or_b32 v1, 0x8000, v2, v1
	v_lshl_or_b32 v77, v1, 16, v0
.LBB261_399:                            ;   in Loop: Header=BB261_12 Depth=1
	s_or_b32 exec_lo, exec_lo, s21
.LBB261_400:                            ;   in Loop: Header=BB261_12 Depth=1
	s_delay_alu instid0(SALU_CYCLE_1)
	s_or_b32 exec_lo, exec_lo, s20
.LBB261_401:                            ;   in Loop: Header=BB261_12 Depth=1
	s_delay_alu instid0(SALU_CYCLE_1)
	s_or_b32 exec_lo, exec_lo, s19
	flat_load_b32 v38, v[36:37] offset:1536
	v_dual_mov_b32 v91, 0 :: v_dual_mov_b32 v1, 0
	s_mov_b32 s19, exec_lo
	scratch_store_b32 off, v1, s32 offset:288 ; 4-byte Folded Spill
	s_wait_loadcnt_dscnt 0x0
	v_and_b32_e32 v0, 0xff, v38
	s_wait_xcnt 0x0
	s_delay_alu instid0(VALU_DEP_1)
	v_cmpx_ne_u16_e32 0, v0
	s_cbranch_execz .LBB261_409
; %bb.402:                              ;   in Loop: Header=BB261_12 Depth=1
	v_cmp_ne_u16_e64 s3, 0x80, v0
	v_mov_b32_e32 v0, 0x8000
	s_and_saveexec_b32 s20, s3
	s_cbranch_execz .LBB261_408
; %bb.403:                              ;   in Loop: Header=BB261_12 Depth=1
	v_and_b32_e32 v2, 0x7f, v38
	v_mov_b32_e32 v0, 0x7c01
	s_mov_b32 s21, exec_lo
	s_delay_alu instid0(VALU_DEP_2)
	v_cmpx_ne_u32_e32 0x7f, v2
	s_cbranch_execz .LBB261_407
; %bb.404:                              ;   in Loop: Header=BB261_12 Depth=1
	v_and_b32_e32 v0, 7, v38
	v_lshrrev_b32_e32 v1, 3, v2
	s_mov_b32 s22, exec_lo
	v_cmpx_gt_u32_e32 8, v2
; %bb.405:                              ;   in Loop: Header=BB261_12 Depth=1
	s_delay_alu instid0(VALU_DEP_3) | instskip(NEXT) | instid1(VALU_DEP_1)
	v_clz_i32_u32_e32 v0, v0
	v_min_u32_e32 v2, 32, v0
	s_delay_alu instid0(VALU_DEP_1) | instskip(NEXT) | instid1(VALU_DEP_1)
	v_subrev_nc_u32_e32 v0, 28, v2
	v_lshlrev_b64_e32 v[0:1], v0, v[38:39]
	s_delay_alu instid0(VALU_DEP_1)
	v_dual_sub_nc_u32 v1, 29, v2 :: v_dual_bitop2_b32 v0, 7, v0 bitop3:0x40
; %bb.406:                              ;   in Loop: Header=BB261_12 Depth=1
	s_or_b32 exec_lo, exec_lo, s22
	s_delay_alu instid0(VALU_DEP_1) | instskip(NEXT) | instid1(VALU_DEP_2)
	v_dual_lshlrev_b32 v2, 8, v38 :: v_dual_lshlrev_b32 v0, 7, v0
	v_lshl_add_u32 v1, v1, 10, 0x2000
	s_delay_alu instid0(VALU_DEP_2) | instskip(NEXT) | instid1(VALU_DEP_2)
	v_and_b32_e32 v2, 0x8000, v2
	v_and_b32_e32 v1, 0xfc00, v1
	s_delay_alu instid0(VALU_DEP_1)
	v_or3_b32 v0, v2, v1, v0
.LBB261_407:                            ;   in Loop: Header=BB261_12 Depth=1
	s_or_b32 exec_lo, exec_lo, s21
.LBB261_408:                            ;   in Loop: Header=BB261_12 Depth=1
	s_delay_alu instid0(SALU_CYCLE_1)
	s_or_b32 exec_lo, exec_lo, s20
	scratch_store_b32 off, v0, s32 offset:288 ; 4-byte Folded Spill
.LBB261_409:                            ;   in Loop: Header=BB261_12 Depth=1
	s_wait_xcnt 0x0
	s_or_b32 exec_lo, exec_lo, s19
	v_lshrrev_b16 v4, 8, v38
	s_mov_b32 s19, exec_lo
	s_delay_alu instid0(VALU_DEP_1)
	v_cmpx_ne_u16_e32 0, v4
	s_cbranch_execz .LBB261_417
; %bb.410:                              ;   in Loop: Header=BB261_12 Depth=1
	v_bfrev_b32_e32 v91, 1
	s_mov_b32 s20, exec_lo
	v_cmpx_ne_u16_e32 0x80, v4
	s_cbranch_execz .LBB261_416
; %bb.411:                              ;   in Loop: Header=BB261_12 Depth=1
	v_and_b32_e32 v0, 0xffff, v4
	v_mov_b32_e32 v91, 0x7c010000
	s_mov_b32 s21, exec_lo
	s_delay_alu instid0(VALU_DEP_2) | instskip(NEXT) | instid1(VALU_DEP_1)
	v_and_b32_e32 v3, 0x7f, v0
	v_cmpx_ne_u32_e32 0x7f, v3
	s_cbranch_execz .LBB261_415
; %bb.412:                              ;   in Loop: Header=BB261_12 Depth=1
	v_dual_lshrrev_b32 v2, 3, v3 :: v_dual_bitop2_b32 v1, 7, v0 bitop3:0x40
	s_mov_b32 s22, exec_lo
	v_cmpx_gt_u32_e32 8, v3
; %bb.413:                              ;   in Loop: Header=BB261_12 Depth=1
	s_delay_alu instid0(VALU_DEP_2) | instskip(NEXT) | instid1(VALU_DEP_1)
	v_clz_i32_u32_e32 v1, v1
	v_min_u32_e32 v1, 32, v1
	s_delay_alu instid0(VALU_DEP_1) | instskip(NEXT) | instid1(VALU_DEP_1)
	v_subrev_nc_u32_e32 v2, 28, v1
	v_lshlrev_b64_e32 v[6:7], v2, v[4:5]
	s_delay_alu instid0(VALU_DEP_1)
	v_dual_sub_nc_u32 v2, 29, v1 :: v_dual_bitop2_b32 v1, 7, v6 bitop3:0x40
; %bb.414:                              ;   in Loop: Header=BB261_12 Depth=1
	s_or_b32 exec_lo, exec_lo, s22
	s_delay_alu instid0(VALU_DEP_1) | instskip(NEXT) | instid1(VALU_DEP_2)
	v_dual_lshlrev_b32 v0, 8, v0 :: v_dual_lshlrev_b32 v1, 23, v1
	v_lshl_add_u32 v2, v2, 10, 0x2000
	s_delay_alu instid0(VALU_DEP_1) | instskip(NEXT) | instid1(VALU_DEP_1)
	v_and_or_b32 v0, 0x8000, v0, v2
	v_lshl_or_b32 v91, v0, 16, v1
.LBB261_415:                            ;   in Loop: Header=BB261_12 Depth=1
	s_or_b32 exec_lo, exec_lo, s21
.LBB261_416:                            ;   in Loop: Header=BB261_12 Depth=1
	s_delay_alu instid0(SALU_CYCLE_1)
	s_or_b32 exec_lo, exec_lo, s20
.LBB261_417:                            ;   in Loop: Header=BB261_12 Depth=1
	s_delay_alu instid0(SALU_CYCLE_1) | instskip(SKIP_3) | instid1(VALU_DEP_2)
	s_or_b32 exec_lo, exec_lo, s19
	v_dual_lshrrev_b32 v4, 16, v38 :: v_dual_mov_b32 v104, 0
	v_mov_b32_e32 v105, 0
	s_mov_b32 s19, exec_lo
	v_and_b32_e32 v0, 0xff, v4
	s_delay_alu instid0(VALU_DEP_1)
	v_cmpx_ne_u16_e32 0, v0
	s_cbranch_execz .LBB261_425
; %bb.418:                              ;   in Loop: Header=BB261_12 Depth=1
	v_mov_b32_e32 v105, 0x8000
	s_mov_b32 s20, exec_lo
	v_cmpx_ne_u16_e32 0x80, v0
	s_cbranch_execz .LBB261_424
; %bb.419:                              ;   in Loop: Header=BB261_12 Depth=1
	v_bfe_u32 v2, v38, 16, 7
	v_mov_b32_e32 v105, 0x7c01
	s_mov_b32 s21, exec_lo
	s_delay_alu instid0(VALU_DEP_2)
	v_cmpx_ne_u32_e32 0x7f, v2
	s_cbranch_execz .LBB261_423
; %bb.420:                              ;   in Loop: Header=BB261_12 Depth=1
	v_dual_lshrrev_b32 v1, 3, v2 :: v_dual_bitop2_b32 v0, 7, v4 bitop3:0x40
	s_mov_b32 s22, exec_lo
	v_cmpx_gt_u32_e32 8, v2
; %bb.421:                              ;   in Loop: Header=BB261_12 Depth=1
	s_delay_alu instid0(VALU_DEP_2) | instskip(NEXT) | instid1(VALU_DEP_1)
	v_clz_i32_u32_e32 v0, v0
	v_min_u32_e32 v2, 32, v0
	s_delay_alu instid0(VALU_DEP_1) | instskip(NEXT) | instid1(VALU_DEP_1)
	v_subrev_nc_u32_e32 v0, 28, v2
	v_lshlrev_b64_e32 v[0:1], v0, v[4:5]
	s_delay_alu instid0(VALU_DEP_1)
	v_dual_sub_nc_u32 v1, 29, v2 :: v_dual_bitop2_b32 v0, 7, v0 bitop3:0x40
; %bb.422:                              ;   in Loop: Header=BB261_12 Depth=1
	s_or_b32 exec_lo, exec_lo, s22
	v_lshlrev_b32_e32 v2, 8, v4
	s_delay_alu instid0(VALU_DEP_2) | instskip(NEXT) | instid1(VALU_DEP_3)
	v_lshl_add_u32 v1, v1, 10, 0x2000
	v_lshlrev_b32_e32 v0, 7, v0
	s_delay_alu instid0(VALU_DEP_3) | instskip(NEXT) | instid1(VALU_DEP_3)
	v_and_b32_e32 v2, 0x8000, v2
	v_and_b32_e32 v1, 0xfc00, v1
	s_delay_alu instid0(VALU_DEP_1)
	v_or3_b32 v105, v2, v1, v0
.LBB261_423:                            ;   in Loop: Header=BB261_12 Depth=1
	s_or_b32 exec_lo, exec_lo, s21
.LBB261_424:                            ;   in Loop: Header=BB261_12 Depth=1
	s_delay_alu instid0(SALU_CYCLE_1)
	s_or_b32 exec_lo, exec_lo, s20
.LBB261_425:                            ;   in Loop: Header=BB261_12 Depth=1
	s_delay_alu instid0(SALU_CYCLE_1) | instskip(NEXT) | instid1(SALU_CYCLE_1)
	s_or_b32 exec_lo, exec_lo, s19
	s_mov_b32 s19, exec_lo
	v_cmpx_lt_u32_e32 0xffffff, v38
	s_cbranch_execz .LBB261_433
; %bb.426:                              ;   in Loop: Header=BB261_12 Depth=1
	v_lshrrev_b32_e32 v4, 24, v38
	v_bfrev_b32_e32 v104, 1
	s_mov_b32 s20, exec_lo
	s_delay_alu instid0(VALU_DEP_2)
	v_cmpx_ne_u32_e32 0x80, v4
	s_cbranch_execz .LBB261_432
; %bb.427:                              ;   in Loop: Header=BB261_12 Depth=1
	v_and_b32_e32 v2, 0x7f, v4
	v_mov_b32_e32 v104, 0x7c010000
	s_mov_b32 s21, exec_lo
	s_delay_alu instid0(VALU_DEP_2)
	v_cmpx_ne_u32_e32 0x7f, v2
	s_cbranch_execz .LBB261_431
; %bb.428:                              ;   in Loop: Header=BB261_12 Depth=1
	v_dual_lshrrev_b32 v1, 3, v2 :: v_dual_bitop2_b32 v0, 7, v4 bitop3:0x40
	s_mov_b32 s22, exec_lo
	v_cmpx_gt_u32_e32 8, v2
; %bb.429:                              ;   in Loop: Header=BB261_12 Depth=1
	s_delay_alu instid0(VALU_DEP_2) | instskip(NEXT) | instid1(VALU_DEP_1)
	v_clz_i32_u32_e32 v0, v0
	v_min_u32_e32 v2, 32, v0
	s_delay_alu instid0(VALU_DEP_1) | instskip(NEXT) | instid1(VALU_DEP_1)
	v_subrev_nc_u32_e32 v0, 28, v2
	v_lshlrev_b64_e32 v[0:1], v0, v[4:5]
	s_delay_alu instid0(VALU_DEP_1)
	v_dual_sub_nc_u32 v1, 29, v2 :: v_dual_bitop2_b32 v0, 7, v0 bitop3:0x40
; %bb.430:                              ;   in Loop: Header=BB261_12 Depth=1
	s_or_b32 exec_lo, exec_lo, s22
	v_lshlrev_b32_e32 v2, 8, v4
	s_delay_alu instid0(VALU_DEP_2) | instskip(NEXT) | instid1(VALU_DEP_3)
	v_lshl_add_u32 v1, v1, 10, 0x2000
	v_lshlrev_b32_e32 v0, 23, v0
	s_delay_alu instid0(VALU_DEP_2) | instskip(NEXT) | instid1(VALU_DEP_1)
	v_and_or_b32 v1, 0x8000, v2, v1
	v_lshl_or_b32 v104, v1, 16, v0
.LBB261_431:                            ;   in Loop: Header=BB261_12 Depth=1
	s_or_b32 exec_lo, exec_lo, s21
.LBB261_432:                            ;   in Loop: Header=BB261_12 Depth=1
	s_delay_alu instid0(SALU_CYCLE_1)
	s_or_b32 exec_lo, exec_lo, s20
.LBB261_433:                            ;   in Loop: Header=BB261_12 Depth=1
	s_delay_alu instid0(SALU_CYCLE_1)
	s_or_b32 exec_lo, exec_lo, s19
	flat_load_b32 v38, v[36:37] offset:1544
	v_dual_mov_b32 v70, 0 :: v_dual_mov_b32 v76, 0
	s_mov_b32 s19, exec_lo
	s_wait_loadcnt_dscnt 0x0
	v_and_b32_e32 v0, 0xff, v38
	s_wait_xcnt 0x0
	s_delay_alu instid0(VALU_DEP_1)
	v_cmpx_ne_u16_e32 0, v0
	s_cbranch_execz .LBB261_441
; %bb.434:                              ;   in Loop: Header=BB261_12 Depth=1
	v_mov_b32_e32 v76, 0x8000
	s_mov_b32 s20, exec_lo
	v_cmpx_ne_u16_e32 0x80, v0
	s_cbranch_execz .LBB261_440
; %bb.435:                              ;   in Loop: Header=BB261_12 Depth=1
	v_and_b32_e32 v2, 0x7f, v38
	v_mov_b32_e32 v76, 0x7c01
	s_mov_b32 s21, exec_lo
	s_delay_alu instid0(VALU_DEP_2)
	v_cmpx_ne_u32_e32 0x7f, v2
	s_cbranch_execz .LBB261_439
; %bb.436:                              ;   in Loop: Header=BB261_12 Depth=1
	v_and_b32_e32 v0, 7, v38
	v_lshrrev_b32_e32 v1, 3, v2
	s_mov_b32 s22, exec_lo
	v_cmpx_gt_u32_e32 8, v2
; %bb.437:                              ;   in Loop: Header=BB261_12 Depth=1
	s_delay_alu instid0(VALU_DEP_3) | instskip(NEXT) | instid1(VALU_DEP_1)
	v_clz_i32_u32_e32 v0, v0
	v_min_u32_e32 v2, 32, v0
	s_delay_alu instid0(VALU_DEP_1) | instskip(NEXT) | instid1(VALU_DEP_1)
	v_subrev_nc_u32_e32 v0, 28, v2
	v_lshlrev_b64_e32 v[0:1], v0, v[38:39]
	s_delay_alu instid0(VALU_DEP_1)
	v_dual_sub_nc_u32 v1, 29, v2 :: v_dual_bitop2_b32 v0, 7, v0 bitop3:0x40
; %bb.438:                              ;   in Loop: Header=BB261_12 Depth=1
	s_or_b32 exec_lo, exec_lo, s22
	s_delay_alu instid0(VALU_DEP_1) | instskip(NEXT) | instid1(VALU_DEP_2)
	v_dual_lshlrev_b32 v2, 8, v38 :: v_dual_lshlrev_b32 v0, 7, v0
	v_lshl_add_u32 v1, v1, 10, 0x2000
	s_delay_alu instid0(VALU_DEP_2) | instskip(NEXT) | instid1(VALU_DEP_2)
	v_and_b32_e32 v2, 0x8000, v2
	v_and_b32_e32 v1, 0xfc00, v1
	s_delay_alu instid0(VALU_DEP_1)
	v_or3_b32 v76, v2, v1, v0
.LBB261_439:                            ;   in Loop: Header=BB261_12 Depth=1
	s_or_b32 exec_lo, exec_lo, s21
.LBB261_440:                            ;   in Loop: Header=BB261_12 Depth=1
	s_delay_alu instid0(SALU_CYCLE_1)
	s_or_b32 exec_lo, exec_lo, s20
.LBB261_441:                            ;   in Loop: Header=BB261_12 Depth=1
	s_delay_alu instid0(SALU_CYCLE_1) | instskip(SKIP_2) | instid1(VALU_DEP_1)
	s_or_b32 exec_lo, exec_lo, s19
	v_lshrrev_b16 v4, 8, v38
	s_mov_b32 s19, exec_lo
	v_cmpx_ne_u16_e32 0, v4
	s_cbranch_execz .LBB261_449
; %bb.442:                              ;   in Loop: Header=BB261_12 Depth=1
	v_bfrev_b32_e32 v70, 1
	s_mov_b32 s20, exec_lo
	v_cmpx_ne_u16_e32 0x80, v4
	s_cbranch_execz .LBB261_448
; %bb.443:                              ;   in Loop: Header=BB261_12 Depth=1
	v_and_b32_e32 v0, 0xffff, v4
	v_mov_b32_e32 v70, 0x7c010000
	s_mov_b32 s21, exec_lo
	s_delay_alu instid0(VALU_DEP_2) | instskip(NEXT) | instid1(VALU_DEP_1)
	v_and_b32_e32 v3, 0x7f, v0
	v_cmpx_ne_u32_e32 0x7f, v3
	s_cbranch_execz .LBB261_447
; %bb.444:                              ;   in Loop: Header=BB261_12 Depth=1
	v_dual_lshrrev_b32 v2, 3, v3 :: v_dual_bitop2_b32 v1, 7, v0 bitop3:0x40
	s_mov_b32 s22, exec_lo
	v_cmpx_gt_u32_e32 8, v3
; %bb.445:                              ;   in Loop: Header=BB261_12 Depth=1
	s_delay_alu instid0(VALU_DEP_2) | instskip(NEXT) | instid1(VALU_DEP_1)
	v_clz_i32_u32_e32 v1, v1
	v_min_u32_e32 v1, 32, v1
	s_delay_alu instid0(VALU_DEP_1) | instskip(NEXT) | instid1(VALU_DEP_1)
	v_subrev_nc_u32_e32 v2, 28, v1
	v_lshlrev_b64_e32 v[6:7], v2, v[4:5]
	s_delay_alu instid0(VALU_DEP_1)
	v_dual_sub_nc_u32 v2, 29, v1 :: v_dual_bitop2_b32 v1, 7, v6 bitop3:0x40
; %bb.446:                              ;   in Loop: Header=BB261_12 Depth=1
	s_or_b32 exec_lo, exec_lo, s22
	s_delay_alu instid0(VALU_DEP_1) | instskip(NEXT) | instid1(VALU_DEP_2)
	v_dual_lshlrev_b32 v0, 8, v0 :: v_dual_lshlrev_b32 v1, 23, v1
	v_lshl_add_u32 v2, v2, 10, 0x2000
	s_delay_alu instid0(VALU_DEP_1) | instskip(NEXT) | instid1(VALU_DEP_1)
	v_and_or_b32 v0, 0x8000, v0, v2
	v_lshl_or_b32 v70, v0, 16, v1
.LBB261_447:                            ;   in Loop: Header=BB261_12 Depth=1
	s_or_b32 exec_lo, exec_lo, s21
.LBB261_448:                            ;   in Loop: Header=BB261_12 Depth=1
	s_delay_alu instid0(SALU_CYCLE_1)
	s_or_b32 exec_lo, exec_lo, s20
.LBB261_449:                            ;   in Loop: Header=BB261_12 Depth=1
	s_delay_alu instid0(SALU_CYCLE_1) | instskip(SKIP_3) | instid1(VALU_DEP_2)
	s_or_b32 exec_lo, exec_lo, s19
	v_dual_mov_b32 v121, 0 :: v_dual_lshrrev_b32 v4, 16, v38
	v_mov_b32_e32 v122, 0
	s_mov_b32 s19, exec_lo
	v_and_b32_e32 v0, 0xff, v4
	s_delay_alu instid0(VALU_DEP_1)
	v_cmpx_ne_u16_e32 0, v0
	s_cbranch_execz .LBB261_457
; %bb.450:                              ;   in Loop: Header=BB261_12 Depth=1
	v_mov_b32_e32 v122, 0x8000
	s_mov_b32 s20, exec_lo
	v_cmpx_ne_u16_e32 0x80, v0
	s_cbranch_execz .LBB261_456
; %bb.451:                              ;   in Loop: Header=BB261_12 Depth=1
	v_bfe_u32 v2, v38, 16, 7
	v_mov_b32_e32 v122, 0x7c01
	s_mov_b32 s21, exec_lo
	s_delay_alu instid0(VALU_DEP_2)
	v_cmpx_ne_u32_e32 0x7f, v2
	s_cbranch_execz .LBB261_455
; %bb.452:                              ;   in Loop: Header=BB261_12 Depth=1
	v_dual_lshrrev_b32 v1, 3, v2 :: v_dual_bitop2_b32 v0, 7, v4 bitop3:0x40
	s_mov_b32 s22, exec_lo
	v_cmpx_gt_u32_e32 8, v2
; %bb.453:                              ;   in Loop: Header=BB261_12 Depth=1
	s_delay_alu instid0(VALU_DEP_2) | instskip(NEXT) | instid1(VALU_DEP_1)
	v_clz_i32_u32_e32 v0, v0
	v_min_u32_e32 v2, 32, v0
	s_delay_alu instid0(VALU_DEP_1) | instskip(NEXT) | instid1(VALU_DEP_1)
	v_subrev_nc_u32_e32 v0, 28, v2
	v_lshlrev_b64_e32 v[0:1], v0, v[4:5]
	s_delay_alu instid0(VALU_DEP_1)
	v_dual_sub_nc_u32 v1, 29, v2 :: v_dual_bitop2_b32 v0, 7, v0 bitop3:0x40
; %bb.454:                              ;   in Loop: Header=BB261_12 Depth=1
	s_or_b32 exec_lo, exec_lo, s22
	v_lshlrev_b32_e32 v2, 8, v4
	s_delay_alu instid0(VALU_DEP_2) | instskip(NEXT) | instid1(VALU_DEP_3)
	v_lshl_add_u32 v1, v1, 10, 0x2000
	v_lshlrev_b32_e32 v0, 7, v0
	s_delay_alu instid0(VALU_DEP_3) | instskip(NEXT) | instid1(VALU_DEP_3)
	v_and_b32_e32 v2, 0x8000, v2
	v_and_b32_e32 v1, 0xfc00, v1
	s_delay_alu instid0(VALU_DEP_1)
	v_or3_b32 v122, v2, v1, v0
.LBB261_455:                            ;   in Loop: Header=BB261_12 Depth=1
	s_or_b32 exec_lo, exec_lo, s21
.LBB261_456:                            ;   in Loop: Header=BB261_12 Depth=1
	s_delay_alu instid0(SALU_CYCLE_1)
	s_or_b32 exec_lo, exec_lo, s20
.LBB261_457:                            ;   in Loop: Header=BB261_12 Depth=1
	s_delay_alu instid0(SALU_CYCLE_1) | instskip(NEXT) | instid1(SALU_CYCLE_1)
	s_or_b32 exec_lo, exec_lo, s19
	s_mov_b32 s19, exec_lo
	v_cmpx_lt_u32_e32 0xffffff, v38
	s_cbranch_execz .LBB261_465
; %bb.458:                              ;   in Loop: Header=BB261_12 Depth=1
	v_lshrrev_b32_e32 v4, 24, v38
	v_bfrev_b32_e32 v121, 1
	s_mov_b32 s20, exec_lo
	s_delay_alu instid0(VALU_DEP_2)
	v_cmpx_ne_u32_e32 0x80, v4
	s_cbranch_execz .LBB261_464
; %bb.459:                              ;   in Loop: Header=BB261_12 Depth=1
	v_and_b32_e32 v2, 0x7f, v4
	v_mov_b32_e32 v121, 0x7c010000
	s_mov_b32 s21, exec_lo
	s_delay_alu instid0(VALU_DEP_2)
	v_cmpx_ne_u32_e32 0x7f, v2
	s_cbranch_execz .LBB261_463
; %bb.460:                              ;   in Loop: Header=BB261_12 Depth=1
	v_dual_lshrrev_b32 v1, 3, v2 :: v_dual_bitop2_b32 v0, 7, v4 bitop3:0x40
	s_mov_b32 s22, exec_lo
	v_cmpx_gt_u32_e32 8, v2
; %bb.461:                              ;   in Loop: Header=BB261_12 Depth=1
	s_delay_alu instid0(VALU_DEP_2) | instskip(NEXT) | instid1(VALU_DEP_1)
	v_clz_i32_u32_e32 v0, v0
	v_min_u32_e32 v2, 32, v0
	s_delay_alu instid0(VALU_DEP_1) | instskip(NEXT) | instid1(VALU_DEP_1)
	v_subrev_nc_u32_e32 v0, 28, v2
	v_lshlrev_b64_e32 v[0:1], v0, v[4:5]
	s_delay_alu instid0(VALU_DEP_1)
	v_dual_sub_nc_u32 v1, 29, v2 :: v_dual_bitop2_b32 v0, 7, v0 bitop3:0x40
; %bb.462:                              ;   in Loop: Header=BB261_12 Depth=1
	s_or_b32 exec_lo, exec_lo, s22
	v_lshlrev_b32_e32 v2, 8, v4
	s_delay_alu instid0(VALU_DEP_2) | instskip(NEXT) | instid1(VALU_DEP_3)
	v_lshl_add_u32 v1, v1, 10, 0x2000
	v_lshlrev_b32_e32 v0, 23, v0
	s_delay_alu instid0(VALU_DEP_2) | instskip(NEXT) | instid1(VALU_DEP_1)
	v_and_or_b32 v1, 0x8000, v2, v1
	v_lshl_or_b32 v121, v1, 16, v0
.LBB261_463:                            ;   in Loop: Header=BB261_12 Depth=1
	s_or_b32 exec_lo, exec_lo, s21
.LBB261_464:                            ;   in Loop: Header=BB261_12 Depth=1
	s_delay_alu instid0(SALU_CYCLE_1)
	s_or_b32 exec_lo, exec_lo, s20
.LBB261_465:                            ;   in Loop: Header=BB261_12 Depth=1
	s_delay_alu instid0(SALU_CYCLE_1)
	s_or_b32 exec_lo, exec_lo, s19
	flat_load_b32 v38, v[36:37] offset:1792
	v_dual_mov_b32 v8, 0 :: v_dual_mov_b32 v45, 0
	s_mov_b32 s19, exec_lo
	s_wait_loadcnt_dscnt 0x0
	v_and_b32_e32 v0, 0xff, v38
	s_wait_xcnt 0x0
	s_delay_alu instid0(VALU_DEP_1)
	v_cmpx_ne_u16_e32 0, v0
	s_cbranch_execz .LBB261_473
; %bb.466:                              ;   in Loop: Header=BB261_12 Depth=1
	v_mov_b32_e32 v45, 0x8000
	s_mov_b32 s20, exec_lo
	v_cmpx_ne_u16_e32 0x80, v0
	s_cbranch_execz .LBB261_472
; %bb.467:                              ;   in Loop: Header=BB261_12 Depth=1
	v_and_b32_e32 v2, 0x7f, v38
	v_mov_b32_e32 v45, 0x7c01
	s_mov_b32 s21, exec_lo
	s_delay_alu instid0(VALU_DEP_2)
	v_cmpx_ne_u32_e32 0x7f, v2
	s_cbranch_execz .LBB261_471
; %bb.468:                              ;   in Loop: Header=BB261_12 Depth=1
	v_and_b32_e32 v0, 7, v38
	v_lshrrev_b32_e32 v1, 3, v2
	s_mov_b32 s22, exec_lo
	v_cmpx_gt_u32_e32 8, v2
; %bb.469:                              ;   in Loop: Header=BB261_12 Depth=1
	s_delay_alu instid0(VALU_DEP_3) | instskip(NEXT) | instid1(VALU_DEP_1)
	v_clz_i32_u32_e32 v0, v0
	v_min_u32_e32 v2, 32, v0
	s_delay_alu instid0(VALU_DEP_1) | instskip(NEXT) | instid1(VALU_DEP_1)
	v_subrev_nc_u32_e32 v0, 28, v2
	v_lshlrev_b64_e32 v[0:1], v0, v[38:39]
	s_delay_alu instid0(VALU_DEP_1)
	v_dual_sub_nc_u32 v1, 29, v2 :: v_dual_bitop2_b32 v0, 7, v0 bitop3:0x40
; %bb.470:                              ;   in Loop: Header=BB261_12 Depth=1
	s_or_b32 exec_lo, exec_lo, s22
	s_delay_alu instid0(VALU_DEP_1) | instskip(NEXT) | instid1(VALU_DEP_2)
	v_dual_lshlrev_b32 v2, 8, v38 :: v_dual_lshlrev_b32 v0, 7, v0
	v_lshl_add_u32 v1, v1, 10, 0x2000
	s_delay_alu instid0(VALU_DEP_2) | instskip(NEXT) | instid1(VALU_DEP_2)
	v_and_b32_e32 v2, 0x8000, v2
	v_and_b32_e32 v1, 0xfc00, v1
	s_delay_alu instid0(VALU_DEP_1)
	v_or3_b32 v45, v2, v1, v0
.LBB261_471:                            ;   in Loop: Header=BB261_12 Depth=1
	s_or_b32 exec_lo, exec_lo, s21
.LBB261_472:                            ;   in Loop: Header=BB261_12 Depth=1
	s_delay_alu instid0(SALU_CYCLE_1)
	s_or_b32 exec_lo, exec_lo, s20
.LBB261_473:                            ;   in Loop: Header=BB261_12 Depth=1
	s_delay_alu instid0(SALU_CYCLE_1) | instskip(SKIP_2) | instid1(VALU_DEP_1)
	s_or_b32 exec_lo, exec_lo, s19
	v_lshrrev_b16 v4, 8, v38
	s_mov_b32 s19, exec_lo
	v_cmpx_ne_u16_e32 0, v4
	s_cbranch_execz .LBB261_481
; %bb.474:                              ;   in Loop: Header=BB261_12 Depth=1
	v_bfrev_b32_e32 v8, 1
	s_mov_b32 s20, exec_lo
	v_cmpx_ne_u16_e32 0x80, v4
	s_cbranch_execz .LBB261_480
; %bb.475:                              ;   in Loop: Header=BB261_12 Depth=1
	v_and_b32_e32 v0, 0xffff, v4
	v_mov_b32_e32 v8, 0x7c010000
	s_mov_b32 s21, exec_lo
	s_delay_alu instid0(VALU_DEP_2) | instskip(NEXT) | instid1(VALU_DEP_1)
	v_and_b32_e32 v3, 0x7f, v0
	v_cmpx_ne_u32_e32 0x7f, v3
	s_cbranch_execz .LBB261_479
; %bb.476:                              ;   in Loop: Header=BB261_12 Depth=1
	v_dual_lshrrev_b32 v2, 3, v3 :: v_dual_bitop2_b32 v1, 7, v0 bitop3:0x40
	s_mov_b32 s22, exec_lo
	v_cmpx_gt_u32_e32 8, v3
; %bb.477:                              ;   in Loop: Header=BB261_12 Depth=1
	s_delay_alu instid0(VALU_DEP_2) | instskip(NEXT) | instid1(VALU_DEP_1)
	v_clz_i32_u32_e32 v1, v1
	v_min_u32_e32 v1, 32, v1
	s_delay_alu instid0(VALU_DEP_1) | instskip(NEXT) | instid1(VALU_DEP_1)
	v_subrev_nc_u32_e32 v2, 28, v1
	v_lshlrev_b64_e32 v[6:7], v2, v[4:5]
	s_delay_alu instid0(VALU_DEP_1)
	v_dual_sub_nc_u32 v2, 29, v1 :: v_dual_bitop2_b32 v1, 7, v6 bitop3:0x40
; %bb.478:                              ;   in Loop: Header=BB261_12 Depth=1
	s_or_b32 exec_lo, exec_lo, s22
	s_delay_alu instid0(VALU_DEP_1) | instskip(NEXT) | instid1(VALU_DEP_2)
	v_dual_lshlrev_b32 v0, 8, v0 :: v_dual_lshlrev_b32 v1, 23, v1
	v_lshl_add_u32 v2, v2, 10, 0x2000
	s_delay_alu instid0(VALU_DEP_1) | instskip(NEXT) | instid1(VALU_DEP_1)
	v_and_or_b32 v0, 0x8000, v0, v2
	v_lshl_or_b32 v8, v0, 16, v1
.LBB261_479:                            ;   in Loop: Header=BB261_12 Depth=1
	s_or_b32 exec_lo, exec_lo, s21
.LBB261_480:                            ;   in Loop: Header=BB261_12 Depth=1
	s_delay_alu instid0(SALU_CYCLE_1)
	s_or_b32 exec_lo, exec_lo, s20
.LBB261_481:                            ;   in Loop: Header=BB261_12 Depth=1
	s_delay_alu instid0(SALU_CYCLE_1) | instskip(SKIP_3) | instid1(VALU_DEP_2)
	s_or_b32 exec_lo, exec_lo, s19
	v_dual_mov_b32 v1, 0 :: v_dual_lshrrev_b32 v4, 16, v38
	v_mov_b32_e32 v0, 0
	s_mov_b32 s19, exec_lo
	v_and_b32_e32 v2, 0xff, v4
	s_delay_alu instid0(VALU_DEP_1)
	v_cmpx_ne_u16_e32 0, v2
	s_cbranch_execz .LBB261_489
; %bb.482:                              ;   in Loop: Header=BB261_12 Depth=1
	v_mov_b32_e32 v0, 0x8000
	s_mov_b32 s20, exec_lo
	v_cmpx_ne_u16_e32 0x80, v2
	s_cbranch_execz .LBB261_488
; %bb.483:                              ;   in Loop: Header=BB261_12 Depth=1
	v_bfe_u32 v3, v38, 16, 7
	v_mov_b32_e32 v0, 0x7c01
	s_mov_b32 s21, exec_lo
	s_delay_alu instid0(VALU_DEP_2)
	v_cmpx_ne_u32_e32 0x7f, v3
	s_cbranch_execz .LBB261_487
; %bb.484:                              ;   in Loop: Header=BB261_12 Depth=1
	v_dual_lshrrev_b32 v2, 3, v3 :: v_dual_bitop2_b32 v0, 7, v4 bitop3:0x40
	s_mov_b32 s22, exec_lo
	v_cmpx_gt_u32_e32 8, v3
; %bb.485:                              ;   in Loop: Header=BB261_12 Depth=1
	s_delay_alu instid0(VALU_DEP_2) | instskip(NEXT) | instid1(VALU_DEP_1)
	v_clz_i32_u32_e32 v0, v0
	v_min_u32_e32 v0, 32, v0
	s_delay_alu instid0(VALU_DEP_1) | instskip(NEXT) | instid1(VALU_DEP_1)
	v_subrev_nc_u32_e32 v2, 28, v0
	v_lshlrev_b64_e32 v[6:7], v2, v[4:5]
	s_delay_alu instid0(VALU_DEP_1)
	v_dual_sub_nc_u32 v2, 29, v0 :: v_dual_bitop2_b32 v0, 7, v6 bitop3:0x40
; %bb.486:                              ;   in Loop: Header=BB261_12 Depth=1
	s_or_b32 exec_lo, exec_lo, s22
	v_lshlrev_b32_e32 v3, 8, v4
	s_delay_alu instid0(VALU_DEP_2) | instskip(NEXT) | instid1(VALU_DEP_3)
	v_lshl_add_u32 v2, v2, 10, 0x2000
	v_lshlrev_b32_e32 v0, 7, v0
	s_delay_alu instid0(VALU_DEP_3) | instskip(NEXT) | instid1(VALU_DEP_3)
	v_and_b32_e32 v3, 0x8000, v3
	v_and_b32_e32 v2, 0xfc00, v2
	s_delay_alu instid0(VALU_DEP_1)
	v_or3_b32 v0, v3, v2, v0
.LBB261_487:                            ;   in Loop: Header=BB261_12 Depth=1
	s_or_b32 exec_lo, exec_lo, s21
.LBB261_488:                            ;   in Loop: Header=BB261_12 Depth=1
	s_delay_alu instid0(SALU_CYCLE_1)
	s_or_b32 exec_lo, exec_lo, s20
.LBB261_489:                            ;   in Loop: Header=BB261_12 Depth=1
	s_delay_alu instid0(SALU_CYCLE_1) | instskip(NEXT) | instid1(SALU_CYCLE_1)
	s_or_b32 exec_lo, exec_lo, s19
	s_mov_b32 s19, exec_lo
	v_cmpx_lt_u32_e32 0xffffff, v38
	s_cbranch_execz .LBB261_497
; %bb.490:                              ;   in Loop: Header=BB261_12 Depth=1
	v_lshrrev_b32_e32 v4, 24, v38
	v_bfrev_b32_e32 v1, 1
	s_mov_b32 s20, exec_lo
	s_delay_alu instid0(VALU_DEP_2)
	v_cmpx_ne_u32_e32 0x80, v4
	s_cbranch_execz .LBB261_496
; %bb.491:                              ;   in Loop: Header=BB261_12 Depth=1
	v_and_b32_e32 v3, 0x7f, v4
	v_mov_b32_e32 v1, 0x7c010000
	s_mov_b32 s21, exec_lo
	s_delay_alu instid0(VALU_DEP_2)
	v_cmpx_ne_u32_e32 0x7f, v3
	s_cbranch_execz .LBB261_495
; %bb.492:                              ;   in Loop: Header=BB261_12 Depth=1
	v_dual_lshrrev_b32 v2, 3, v3 :: v_dual_bitop2_b32 v1, 7, v4 bitop3:0x40
	s_mov_b32 s22, exec_lo
	v_cmpx_gt_u32_e32 8, v3
; %bb.493:                              ;   in Loop: Header=BB261_12 Depth=1
	s_delay_alu instid0(VALU_DEP_2) | instskip(NEXT) | instid1(VALU_DEP_1)
	v_clz_i32_u32_e32 v1, v1
	v_min_u32_e32 v1, 32, v1
	s_delay_alu instid0(VALU_DEP_1) | instskip(NEXT) | instid1(VALU_DEP_1)
	v_subrev_nc_u32_e32 v2, 28, v1
	v_lshlrev_b64_e32 v[6:7], v2, v[4:5]
	s_delay_alu instid0(VALU_DEP_1)
	v_dual_sub_nc_u32 v2, 29, v1 :: v_dual_bitop2_b32 v1, 7, v6 bitop3:0x40
; %bb.494:                              ;   in Loop: Header=BB261_12 Depth=1
	s_or_b32 exec_lo, exec_lo, s22
	s_delay_alu instid0(VALU_DEP_1) | instskip(NEXT) | instid1(VALU_DEP_2)
	v_dual_lshlrev_b32 v3, 8, v4 :: v_dual_lshlrev_b32 v1, 23, v1
	v_lshl_add_u32 v2, v2, 10, 0x2000
	s_delay_alu instid0(VALU_DEP_1) | instskip(NEXT) | instid1(VALU_DEP_1)
	v_and_or_b32 v2, 0x8000, v3, v2
	v_lshl_or_b32 v1, v2, 16, v1
.LBB261_495:                            ;   in Loop: Header=BB261_12 Depth=1
	s_or_b32 exec_lo, exec_lo, s21
.LBB261_496:                            ;   in Loop: Header=BB261_12 Depth=1
	s_delay_alu instid0(SALU_CYCLE_1)
	s_or_b32 exec_lo, exec_lo, s20
.LBB261_497:                            ;   in Loop: Header=BB261_12 Depth=1
	s_delay_alu instid0(SALU_CYCLE_1)
	s_or_b32 exec_lo, exec_lo, s19
	flat_load_b32 v38, v[36:37] offset:1800
	v_dual_mov_b32 v49, 0 :: v_dual_mov_b32 v78, 0
	s_mov_b32 s19, exec_lo
	s_wait_loadcnt_dscnt 0x0
	v_and_b32_e32 v2, 0xff, v38
	s_wait_xcnt 0x0
	s_delay_alu instid0(VALU_DEP_1)
	v_cmpx_ne_u16_e32 0, v2
	s_cbranch_execz .LBB261_505
; %bb.498:                              ;   in Loop: Header=BB261_12 Depth=1
	v_mov_b32_e32 v78, 0x8000
	s_mov_b32 s20, exec_lo
	v_cmpx_ne_u16_e32 0x80, v2
	s_cbranch_execz .LBB261_504
; %bb.499:                              ;   in Loop: Header=BB261_12 Depth=1
	v_and_b32_e32 v4, 0x7f, v38
	v_mov_b32_e32 v78, 0x7c01
	s_mov_b32 s21, exec_lo
	s_delay_alu instid0(VALU_DEP_2)
	v_cmpx_ne_u32_e32 0x7f, v4
	s_cbranch_execz .LBB261_503
; %bb.500:                              ;   in Loop: Header=BB261_12 Depth=1
	v_dual_lshrrev_b32 v3, 3, v4 :: v_dual_bitop2_b32 v2, 7, v38 bitop3:0x40
	s_mov_b32 s22, exec_lo
	v_cmpx_gt_u32_e32 8, v4
; %bb.501:                              ;   in Loop: Header=BB261_12 Depth=1
	s_delay_alu instid0(VALU_DEP_2) | instskip(NEXT) | instid1(VALU_DEP_1)
	v_clz_i32_u32_e32 v2, v2
	v_min_u32_e32 v4, 32, v2
	s_delay_alu instid0(VALU_DEP_1) | instskip(NEXT) | instid1(VALU_DEP_1)
	v_subrev_nc_u32_e32 v2, 28, v4
	v_lshlrev_b64_e32 v[2:3], v2, v[38:39]
	s_delay_alu instid0(VALU_DEP_1)
	v_dual_sub_nc_u32 v3, 29, v4 :: v_dual_bitop2_b32 v2, 7, v2 bitop3:0x40
; %bb.502:                              ;   in Loop: Header=BB261_12 Depth=1
	s_or_b32 exec_lo, exec_lo, s22
	v_lshlrev_b32_e32 v4, 8, v38
	s_delay_alu instid0(VALU_DEP_2) | instskip(NEXT) | instid1(VALU_DEP_3)
	v_lshl_add_u32 v3, v3, 10, 0x2000
	v_lshlrev_b32_e32 v2, 7, v2
	s_delay_alu instid0(VALU_DEP_3) | instskip(NEXT) | instid1(VALU_DEP_3)
	v_and_b32_e32 v4, 0x8000, v4
	v_and_b32_e32 v3, 0xfc00, v3
	s_delay_alu instid0(VALU_DEP_1)
	v_or3_b32 v78, v4, v3, v2
.LBB261_503:                            ;   in Loop: Header=BB261_12 Depth=1
	s_or_b32 exec_lo, exec_lo, s21
.LBB261_504:                            ;   in Loop: Header=BB261_12 Depth=1
	s_delay_alu instid0(SALU_CYCLE_1)
	s_or_b32 exec_lo, exec_lo, s20
.LBB261_505:                            ;   in Loop: Header=BB261_12 Depth=1
	s_delay_alu instid0(SALU_CYCLE_1) | instskip(SKIP_2) | instid1(VALU_DEP_1)
	s_or_b32 exec_lo, exec_lo, s19
	v_lshrrev_b16 v4, 8, v38
	s_mov_b32 s19, exec_lo
	v_cmpx_ne_u16_e32 0, v4
	s_cbranch_execz .LBB261_513
; %bb.506:                              ;   in Loop: Header=BB261_12 Depth=1
	v_bfrev_b32_e32 v49, 1
	s_mov_b32 s20, exec_lo
	v_cmpx_ne_u16_e32 0x80, v4
	s_cbranch_execz .LBB261_512
; %bb.507:                              ;   in Loop: Header=BB261_12 Depth=1
	v_and_b32_e32 v2, 0xffff, v4
	v_mov_b32_e32 v49, 0x7c010000
	s_mov_b32 s21, exec_lo
	s_delay_alu instid0(VALU_DEP_2) | instskip(NEXT) | instid1(VALU_DEP_1)
	v_and_b32_e32 v7, 0x7f, v2
	v_cmpx_ne_u32_e32 0x7f, v7
	s_cbranch_execz .LBB261_511
; %bb.508:                              ;   in Loop: Header=BB261_12 Depth=1
	v_dual_lshrrev_b32 v6, 3, v7 :: v_dual_bitop2_b32 v3, 7, v2 bitop3:0x40
	s_mov_b32 s22, exec_lo
	v_cmpx_gt_u32_e32 8, v7
; %bb.509:                              ;   in Loop: Header=BB261_12 Depth=1
	s_delay_alu instid0(VALU_DEP_2) | instskip(NEXT) | instid1(VALU_DEP_1)
	v_clz_i32_u32_e32 v3, v3
	v_min_u32_e32 v3, 32, v3
	s_delay_alu instid0(VALU_DEP_1) | instskip(NEXT) | instid1(VALU_DEP_1)
	v_subrev_nc_u32_e32 v6, 28, v3
	v_lshlrev_b64_e32 v[10:11], v6, v[4:5]
	s_delay_alu instid0(VALU_DEP_1)
	v_dual_sub_nc_u32 v6, 29, v3 :: v_dual_bitop2_b32 v3, 7, v10 bitop3:0x40
; %bb.510:                              ;   in Loop: Header=BB261_12 Depth=1
	s_or_b32 exec_lo, exec_lo, s22
	s_delay_alu instid0(VALU_DEP_1) | instskip(NEXT) | instid1(VALU_DEP_2)
	v_dual_lshlrev_b32 v2, 8, v2 :: v_dual_lshlrev_b32 v3, 23, v3
	v_lshl_add_u32 v4, v6, 10, 0x2000
	s_delay_alu instid0(VALU_DEP_1) | instskip(NEXT) | instid1(VALU_DEP_1)
	v_and_or_b32 v2, 0x8000, v2, v4
	v_lshl_or_b32 v49, v2, 16, v3
.LBB261_511:                            ;   in Loop: Header=BB261_12 Depth=1
	s_or_b32 exec_lo, exec_lo, s21
.LBB261_512:                            ;   in Loop: Header=BB261_12 Depth=1
	s_delay_alu instid0(SALU_CYCLE_1)
	s_or_b32 exec_lo, exec_lo, s20
.LBB261_513:                            ;   in Loop: Header=BB261_12 Depth=1
	s_delay_alu instid0(SALU_CYCLE_1) | instskip(SKIP_3) | instid1(VALU_DEP_2)
	s_or_b32 exec_lo, exec_lo, s19
	v_dual_mov_b32 v11, 0 :: v_dual_lshrrev_b32 v4, 16, v38
	v_mov_b32_e32 v92, 0
	s_mov_b32 s19, exec_lo
	v_and_b32_e32 v2, 0xff, v4
	s_delay_alu instid0(VALU_DEP_1)
	v_cmpx_ne_u16_e32 0, v2
	s_cbranch_execz .LBB261_521
; %bb.514:                              ;   in Loop: Header=BB261_12 Depth=1
	v_mov_b32_e32 v92, 0x8000
	s_mov_b32 s20, exec_lo
	v_cmpx_ne_u16_e32 0x80, v2
	s_cbranch_execz .LBB261_520
; %bb.515:                              ;   in Loop: Header=BB261_12 Depth=1
	v_bfe_u32 v6, v38, 16, 7
	v_mov_b32_e32 v92, 0x7c01
	s_mov_b32 s21, exec_lo
	s_delay_alu instid0(VALU_DEP_2)
	v_cmpx_ne_u32_e32 0x7f, v6
	s_cbranch_execz .LBB261_519
; %bb.516:                              ;   in Loop: Header=BB261_12 Depth=1
	v_dual_lshrrev_b32 v3, 3, v6 :: v_dual_bitop2_b32 v2, 7, v4 bitop3:0x40
	s_mov_b32 s22, exec_lo
	v_cmpx_gt_u32_e32 8, v6
; %bb.517:                              ;   in Loop: Header=BB261_12 Depth=1
	s_delay_alu instid0(VALU_DEP_2) | instskip(NEXT) | instid1(VALU_DEP_1)
	v_clz_i32_u32_e32 v2, v2
	v_min_u32_e32 v6, 32, v2
	s_delay_alu instid0(VALU_DEP_1) | instskip(NEXT) | instid1(VALU_DEP_1)
	v_subrev_nc_u32_e32 v2, 28, v6
	v_lshlrev_b64_e32 v[2:3], v2, v[4:5]
	v_sub_nc_u32_e32 v3, 29, v6
	s_delay_alu instid0(VALU_DEP_2)
	v_and_b32_e32 v2, 7, v2
; %bb.518:                              ;   in Loop: Header=BB261_12 Depth=1
	s_or_b32 exec_lo, exec_lo, s22
	s_delay_alu instid0(VALU_DEP_1) | instskip(NEXT) | instid1(VALU_DEP_3)
	v_dual_lshlrev_b32 v4, 8, v4 :: v_dual_lshlrev_b32 v2, 7, v2
	v_lshl_add_u32 v3, v3, 10, 0x2000
	s_delay_alu instid0(VALU_DEP_2) | instskip(NEXT) | instid1(VALU_DEP_2)
	v_and_b32_e32 v4, 0x8000, v4
	v_and_b32_e32 v3, 0xfc00, v3
	s_delay_alu instid0(VALU_DEP_1)
	v_or3_b32 v92, v4, v3, v2
.LBB261_519:                            ;   in Loop: Header=BB261_12 Depth=1
	s_or_b32 exec_lo, exec_lo, s21
.LBB261_520:                            ;   in Loop: Header=BB261_12 Depth=1
	s_delay_alu instid0(SALU_CYCLE_1)
	s_or_b32 exec_lo, exec_lo, s20
.LBB261_521:                            ;   in Loop: Header=BB261_12 Depth=1
	s_delay_alu instid0(SALU_CYCLE_1) | instskip(NEXT) | instid1(SALU_CYCLE_1)
	s_or_b32 exec_lo, exec_lo, s19
	s_mov_b32 s19, exec_lo
	v_cmpx_lt_u32_e32 0xffffff, v38
	s_cbranch_execz .LBB261_529
; %bb.522:                              ;   in Loop: Header=BB261_12 Depth=1
	v_lshrrev_b32_e32 v4, 24, v38
	v_bfrev_b32_e32 v11, 1
	s_mov_b32 s20, exec_lo
	s_delay_alu instid0(VALU_DEP_2)
	v_cmpx_ne_u32_e32 0x80, v4
	s_cbranch_execz .LBB261_528
; %bb.523:                              ;   in Loop: Header=BB261_12 Depth=1
	v_and_b32_e32 v6, 0x7f, v4
	v_mov_b32_e32 v11, 0x7c010000
	s_mov_b32 s21, exec_lo
	s_delay_alu instid0(VALU_DEP_2)
	v_cmpx_ne_u32_e32 0x7f, v6
	s_cbranch_execz .LBB261_527
; %bb.524:                              ;   in Loop: Header=BB261_12 Depth=1
	v_dual_lshrrev_b32 v3, 3, v6 :: v_dual_bitop2_b32 v2, 7, v4 bitop3:0x40
	s_mov_b32 s22, exec_lo
	v_cmpx_gt_u32_e32 8, v6
; %bb.525:                              ;   in Loop: Header=BB261_12 Depth=1
	s_delay_alu instid0(VALU_DEP_2) | instskip(NEXT) | instid1(VALU_DEP_1)
	v_clz_i32_u32_e32 v2, v2
	v_min_u32_e32 v6, 32, v2
	s_delay_alu instid0(VALU_DEP_1) | instskip(NEXT) | instid1(VALU_DEP_1)
	v_subrev_nc_u32_e32 v2, 28, v6
	v_lshlrev_b64_e32 v[2:3], v2, v[4:5]
	v_sub_nc_u32_e32 v3, 29, v6
	s_delay_alu instid0(VALU_DEP_2)
	v_and_b32_e32 v2, 7, v2
; %bb.526:                              ;   in Loop: Header=BB261_12 Depth=1
	s_or_b32 exec_lo, exec_lo, s22
	s_delay_alu instid0(VALU_DEP_1) | instskip(NEXT) | instid1(VALU_DEP_3)
	v_dual_lshlrev_b32 v4, 8, v4 :: v_dual_lshlrev_b32 v2, 23, v2
	v_lshl_add_u32 v3, v3, 10, 0x2000
	s_delay_alu instid0(VALU_DEP_1) | instskip(NEXT) | instid1(VALU_DEP_1)
	v_and_or_b32 v3, 0x8000, v4, v3
	v_lshl_or_b32 v11, v3, 16, v2
.LBB261_527:                            ;   in Loop: Header=BB261_12 Depth=1
	s_or_b32 exec_lo, exec_lo, s21
.LBB261_528:                            ;   in Loop: Header=BB261_12 Depth=1
	s_delay_alu instid0(SALU_CYCLE_1)
	s_or_b32 exec_lo, exec_lo, s20
.LBB261_529:                            ;   in Loop: Header=BB261_12 Depth=1
	s_delay_alu instid0(SALU_CYCLE_1)
	s_or_b32 exec_lo, exec_lo, s19
	flat_load_b32 v38, v[36:37] offset:2048
	v_dual_mov_b32 v52, 0 :: v_dual_mov_b32 v72, 0
	s_mov_b32 s19, exec_lo
	s_wait_loadcnt_dscnt 0x0
	v_and_b32_e32 v2, 0xff, v38
	s_wait_xcnt 0x0
	s_delay_alu instid0(VALU_DEP_1)
	v_cmpx_ne_u16_e32 0, v2
	s_cbranch_execz .LBB261_537
; %bb.530:                              ;   in Loop: Header=BB261_12 Depth=1
	v_mov_b32_e32 v72, 0x8000
	s_mov_b32 s20, exec_lo
	v_cmpx_ne_u16_e32 0x80, v2
	s_cbranch_execz .LBB261_536
; %bb.531:                              ;   in Loop: Header=BB261_12 Depth=1
	v_and_b32_e32 v4, 0x7f, v38
	v_mov_b32_e32 v72, 0x7c01
	s_mov_b32 s21, exec_lo
	s_delay_alu instid0(VALU_DEP_2)
	v_cmpx_ne_u32_e32 0x7f, v4
	s_cbranch_execz .LBB261_535
; %bb.532:                              ;   in Loop: Header=BB261_12 Depth=1
	v_dual_lshrrev_b32 v3, 3, v4 :: v_dual_bitop2_b32 v2, 7, v38 bitop3:0x40
	s_mov_b32 s22, exec_lo
	v_cmpx_gt_u32_e32 8, v4
; %bb.533:                              ;   in Loop: Header=BB261_12 Depth=1
	s_delay_alu instid0(VALU_DEP_2) | instskip(NEXT) | instid1(VALU_DEP_1)
	v_clz_i32_u32_e32 v2, v2
	v_min_u32_e32 v4, 32, v2
	s_delay_alu instid0(VALU_DEP_1) | instskip(NEXT) | instid1(VALU_DEP_1)
	v_subrev_nc_u32_e32 v2, 28, v4
	v_lshlrev_b64_e32 v[2:3], v2, v[38:39]
	s_delay_alu instid0(VALU_DEP_1)
	v_dual_sub_nc_u32 v3, 29, v4 :: v_dual_bitop2_b32 v2, 7, v2 bitop3:0x40
; %bb.534:                              ;   in Loop: Header=BB261_12 Depth=1
	s_or_b32 exec_lo, exec_lo, s22
	v_lshlrev_b32_e32 v4, 8, v38
	s_delay_alu instid0(VALU_DEP_2) | instskip(NEXT) | instid1(VALU_DEP_3)
	v_lshl_add_u32 v3, v3, 10, 0x2000
	v_lshlrev_b32_e32 v2, 7, v2
	s_delay_alu instid0(VALU_DEP_3) | instskip(NEXT) | instid1(VALU_DEP_3)
	v_and_b32_e32 v4, 0x8000, v4
	v_and_b32_e32 v3, 0xfc00, v3
	s_delay_alu instid0(VALU_DEP_1)
	v_or3_b32 v72, v4, v3, v2
.LBB261_535:                            ;   in Loop: Header=BB261_12 Depth=1
	s_or_b32 exec_lo, exec_lo, s21
.LBB261_536:                            ;   in Loop: Header=BB261_12 Depth=1
	s_delay_alu instid0(SALU_CYCLE_1)
	s_or_b32 exec_lo, exec_lo, s20
.LBB261_537:                            ;   in Loop: Header=BB261_12 Depth=1
	s_delay_alu instid0(SALU_CYCLE_1) | instskip(SKIP_2) | instid1(VALU_DEP_1)
	s_or_b32 exec_lo, exec_lo, s19
	v_lshrrev_b16 v4, 8, v38
	s_mov_b32 s19, exec_lo
	v_cmpx_ne_u16_e32 0, v4
	s_cbranch_execz .LBB261_545
; %bb.538:                              ;   in Loop: Header=BB261_12 Depth=1
	v_bfrev_b32_e32 v52, 1
	s_mov_b32 s20, exec_lo
	v_cmpx_ne_u16_e32 0x80, v4
	s_cbranch_execz .LBB261_544
; %bb.539:                              ;   in Loop: Header=BB261_12 Depth=1
	v_and_b32_e32 v2, 0xffff, v4
	v_mov_b32_e32 v52, 0x7c010000
	s_mov_b32 s21, exec_lo
	s_delay_alu instid0(VALU_DEP_2) | instskip(NEXT) | instid1(VALU_DEP_1)
	v_and_b32_e32 v7, 0x7f, v2
	v_cmpx_ne_u32_e32 0x7f, v7
	s_cbranch_execz .LBB261_543
; %bb.540:                              ;   in Loop: Header=BB261_12 Depth=1
	v_dual_lshrrev_b32 v6, 3, v7 :: v_dual_bitop2_b32 v3, 7, v2 bitop3:0x40
	s_mov_b32 s22, exec_lo
	v_cmpx_gt_u32_e32 8, v7
; %bb.541:                              ;   in Loop: Header=BB261_12 Depth=1
	s_delay_alu instid0(VALU_DEP_2) | instskip(NEXT) | instid1(VALU_DEP_1)
	v_clz_i32_u32_e32 v3, v3
	v_min_u32_e32 v3, 32, v3
	s_delay_alu instid0(VALU_DEP_1) | instskip(NEXT) | instid1(VALU_DEP_1)
	v_subrev_nc_u32_e32 v6, 28, v3
	v_lshlrev_b64_e32 v[14:15], v6, v[4:5]
	s_delay_alu instid0(VALU_DEP_1)
	v_dual_sub_nc_u32 v6, 29, v3 :: v_dual_bitop2_b32 v3, 7, v14 bitop3:0x40
; %bb.542:                              ;   in Loop: Header=BB261_12 Depth=1
	s_or_b32 exec_lo, exec_lo, s22
	s_delay_alu instid0(VALU_DEP_1) | instskip(NEXT) | instid1(VALU_DEP_2)
	v_dual_lshlrev_b32 v2, 8, v2 :: v_dual_lshlrev_b32 v3, 23, v3
	v_lshl_add_u32 v4, v6, 10, 0x2000
	s_delay_alu instid0(VALU_DEP_1) | instskip(NEXT) | instid1(VALU_DEP_1)
	v_and_or_b32 v2, 0x8000, v2, v4
	v_lshl_or_b32 v52, v2, 16, v3
.LBB261_543:                            ;   in Loop: Header=BB261_12 Depth=1
	s_or_b32 exec_lo, exec_lo, s21
.LBB261_544:                            ;   in Loop: Header=BB261_12 Depth=1
	s_delay_alu instid0(SALU_CYCLE_1)
	s_or_b32 exec_lo, exec_lo, s20
.LBB261_545:                            ;   in Loop: Header=BB261_12 Depth=1
	s_delay_alu instid0(SALU_CYCLE_1) | instskip(SKIP_3) | instid1(VALU_DEP_2)
	s_or_b32 exec_lo, exec_lo, s19
	v_dual_mov_b32 v25, 0 :: v_dual_lshrrev_b32 v4, 16, v38
	v_mov_b32_e32 v17, 0
	s_mov_b32 s19, exec_lo
	v_and_b32_e32 v2, 0xff, v4
	s_delay_alu instid0(VALU_DEP_1)
	v_cmpx_ne_u16_e32 0, v2
	s_cbranch_execz .LBB261_553
; %bb.546:                              ;   in Loop: Header=BB261_12 Depth=1
	v_mov_b32_e32 v17, 0x8000
	s_mov_b32 s20, exec_lo
	v_cmpx_ne_u16_e32 0x80, v2
	s_cbranch_execz .LBB261_552
; %bb.547:                              ;   in Loop: Header=BB261_12 Depth=1
	v_bfe_u32 v6, v38, 16, 7
	v_mov_b32_e32 v17, 0x7c01
	s_mov_b32 s21, exec_lo
	s_delay_alu instid0(VALU_DEP_2)
	v_cmpx_ne_u32_e32 0x7f, v6
	s_cbranch_execz .LBB261_551
; %bb.548:                              ;   in Loop: Header=BB261_12 Depth=1
	v_dual_lshrrev_b32 v3, 3, v6 :: v_dual_bitop2_b32 v2, 7, v4 bitop3:0x40
	s_mov_b32 s22, exec_lo
	v_cmpx_gt_u32_e32 8, v6
; %bb.549:                              ;   in Loop: Header=BB261_12 Depth=1
	s_delay_alu instid0(VALU_DEP_2) | instskip(NEXT) | instid1(VALU_DEP_1)
	v_clz_i32_u32_e32 v2, v2
	v_min_u32_e32 v6, 32, v2
	s_delay_alu instid0(VALU_DEP_1) | instskip(NEXT) | instid1(VALU_DEP_1)
	v_subrev_nc_u32_e32 v2, 28, v6
	v_lshlrev_b64_e32 v[2:3], v2, v[4:5]
	v_sub_nc_u32_e32 v3, 29, v6
	s_delay_alu instid0(VALU_DEP_2)
	v_and_b32_e32 v2, 7, v2
; %bb.550:                              ;   in Loop: Header=BB261_12 Depth=1
	s_or_b32 exec_lo, exec_lo, s22
	s_delay_alu instid0(VALU_DEP_1) | instskip(NEXT) | instid1(VALU_DEP_3)
	v_dual_lshlrev_b32 v4, 8, v4 :: v_dual_lshlrev_b32 v2, 7, v2
	v_lshl_add_u32 v3, v3, 10, 0x2000
	s_delay_alu instid0(VALU_DEP_2) | instskip(NEXT) | instid1(VALU_DEP_2)
	v_and_b32_e32 v4, 0x8000, v4
	v_and_b32_e32 v3, 0xfc00, v3
	s_delay_alu instid0(VALU_DEP_1)
	v_or3_b32 v17, v4, v3, v2
.LBB261_551:                            ;   in Loop: Header=BB261_12 Depth=1
	s_or_b32 exec_lo, exec_lo, s21
.LBB261_552:                            ;   in Loop: Header=BB261_12 Depth=1
	s_delay_alu instid0(SALU_CYCLE_1)
	s_or_b32 exec_lo, exec_lo, s20
.LBB261_553:                            ;   in Loop: Header=BB261_12 Depth=1
	s_delay_alu instid0(SALU_CYCLE_1) | instskip(NEXT) | instid1(SALU_CYCLE_1)
	s_or_b32 exec_lo, exec_lo, s19
	s_mov_b32 s19, exec_lo
	v_cmpx_lt_u32_e32 0xffffff, v38
	s_cbranch_execz .LBB261_561
; %bb.554:                              ;   in Loop: Header=BB261_12 Depth=1
	v_lshrrev_b32_e32 v4, 24, v38
	v_bfrev_b32_e32 v25, 1
	s_mov_b32 s20, exec_lo
	s_delay_alu instid0(VALU_DEP_2)
	v_cmpx_ne_u32_e32 0x80, v4
	s_cbranch_execz .LBB261_560
; %bb.555:                              ;   in Loop: Header=BB261_12 Depth=1
	v_and_b32_e32 v6, 0x7f, v4
	v_mov_b32_e32 v25, 0x7c010000
	s_mov_b32 s21, exec_lo
	s_delay_alu instid0(VALU_DEP_2)
	v_cmpx_ne_u32_e32 0x7f, v6
	s_cbranch_execz .LBB261_559
; %bb.556:                              ;   in Loop: Header=BB261_12 Depth=1
	v_dual_lshrrev_b32 v3, 3, v6 :: v_dual_bitop2_b32 v2, 7, v4 bitop3:0x40
	s_mov_b32 s22, exec_lo
	v_cmpx_gt_u32_e32 8, v6
; %bb.557:                              ;   in Loop: Header=BB261_12 Depth=1
	s_delay_alu instid0(VALU_DEP_2) | instskip(NEXT) | instid1(VALU_DEP_1)
	v_clz_i32_u32_e32 v2, v2
	v_min_u32_e32 v6, 32, v2
	s_delay_alu instid0(VALU_DEP_1) | instskip(NEXT) | instid1(VALU_DEP_1)
	v_subrev_nc_u32_e32 v2, 28, v6
	v_lshlrev_b64_e32 v[2:3], v2, v[4:5]
	v_sub_nc_u32_e32 v3, 29, v6
	s_delay_alu instid0(VALU_DEP_2)
	v_and_b32_e32 v2, 7, v2
; %bb.558:                              ;   in Loop: Header=BB261_12 Depth=1
	s_or_b32 exec_lo, exec_lo, s22
	s_delay_alu instid0(VALU_DEP_1) | instskip(NEXT) | instid1(VALU_DEP_3)
	v_dual_lshlrev_b32 v4, 8, v4 :: v_dual_lshlrev_b32 v2, 23, v2
	v_lshl_add_u32 v3, v3, 10, 0x2000
	s_delay_alu instid0(VALU_DEP_1) | instskip(NEXT) | instid1(VALU_DEP_1)
	v_and_or_b32 v3, 0x8000, v4, v3
	v_lshl_or_b32 v25, v3, 16, v2
.LBB261_559:                            ;   in Loop: Header=BB261_12 Depth=1
	s_or_b32 exec_lo, exec_lo, s21
.LBB261_560:                            ;   in Loop: Header=BB261_12 Depth=1
	s_delay_alu instid0(SALU_CYCLE_1)
	s_or_b32 exec_lo, exec_lo, s20
.LBB261_561:                            ;   in Loop: Header=BB261_12 Depth=1
	s_delay_alu instid0(SALU_CYCLE_1)
	s_or_b32 exec_lo, exec_lo, s19
	flat_load_b32 v38, v[36:37] offset:2056
	v_dual_mov_b32 v32, 0 :: v_dual_mov_b32 v57, 0
	s_mov_b32 s19, exec_lo
	s_wait_loadcnt_dscnt 0x0
	v_and_b32_e32 v2, 0xff, v38
	s_wait_xcnt 0x0
	s_delay_alu instid0(VALU_DEP_1)
	v_cmpx_ne_u16_e32 0, v2
	s_cbranch_execz .LBB261_569
; %bb.562:                              ;   in Loop: Header=BB261_12 Depth=1
	v_mov_b32_e32 v57, 0x8000
	s_mov_b32 s20, exec_lo
	v_cmpx_ne_u16_e32 0x80, v2
	s_cbranch_execz .LBB261_568
; %bb.563:                              ;   in Loop: Header=BB261_12 Depth=1
	v_and_b32_e32 v4, 0x7f, v38
	v_mov_b32_e32 v57, 0x7c01
	s_mov_b32 s21, exec_lo
	s_delay_alu instid0(VALU_DEP_2)
	v_cmpx_ne_u32_e32 0x7f, v4
	s_cbranch_execz .LBB261_567
; %bb.564:                              ;   in Loop: Header=BB261_12 Depth=1
	v_dual_lshrrev_b32 v3, 3, v4 :: v_dual_bitop2_b32 v2, 7, v38 bitop3:0x40
	s_mov_b32 s22, exec_lo
	v_cmpx_gt_u32_e32 8, v4
; %bb.565:                              ;   in Loop: Header=BB261_12 Depth=1
	s_delay_alu instid0(VALU_DEP_2) | instskip(NEXT) | instid1(VALU_DEP_1)
	v_clz_i32_u32_e32 v2, v2
	v_min_u32_e32 v4, 32, v2
	s_delay_alu instid0(VALU_DEP_1) | instskip(NEXT) | instid1(VALU_DEP_1)
	v_subrev_nc_u32_e32 v2, 28, v4
	v_lshlrev_b64_e32 v[2:3], v2, v[38:39]
	s_delay_alu instid0(VALU_DEP_1)
	v_dual_sub_nc_u32 v3, 29, v4 :: v_dual_bitop2_b32 v2, 7, v2 bitop3:0x40
; %bb.566:                              ;   in Loop: Header=BB261_12 Depth=1
	s_or_b32 exec_lo, exec_lo, s22
	v_lshlrev_b32_e32 v4, 8, v38
	s_delay_alu instid0(VALU_DEP_2) | instskip(NEXT) | instid1(VALU_DEP_3)
	v_lshl_add_u32 v3, v3, 10, 0x2000
	v_lshlrev_b32_e32 v2, 7, v2
	s_delay_alu instid0(VALU_DEP_3) | instskip(NEXT) | instid1(VALU_DEP_3)
	v_and_b32_e32 v4, 0x8000, v4
	v_and_b32_e32 v3, 0xfc00, v3
	s_delay_alu instid0(VALU_DEP_1)
	v_or3_b32 v57, v4, v3, v2
.LBB261_567:                            ;   in Loop: Header=BB261_12 Depth=1
	s_or_b32 exec_lo, exec_lo, s21
.LBB261_568:                            ;   in Loop: Header=BB261_12 Depth=1
	s_delay_alu instid0(SALU_CYCLE_1)
	s_or_b32 exec_lo, exec_lo, s20
.LBB261_569:                            ;   in Loop: Header=BB261_12 Depth=1
	s_delay_alu instid0(SALU_CYCLE_1) | instskip(SKIP_2) | instid1(VALU_DEP_1)
	s_or_b32 exec_lo, exec_lo, s19
	v_lshrrev_b16 v4, 8, v38
	s_mov_b32 s19, exec_lo
	v_cmpx_ne_u16_e32 0, v4
	s_cbranch_execz .LBB261_577
; %bb.570:                              ;   in Loop: Header=BB261_12 Depth=1
	v_bfrev_b32_e32 v32, 1
	s_mov_b32 s20, exec_lo
	v_cmpx_ne_u16_e32 0x80, v4
	s_cbranch_execz .LBB261_576
; %bb.571:                              ;   in Loop: Header=BB261_12 Depth=1
	v_and_b32_e32 v2, 0xffff, v4
	v_mov_b32_e32 v32, 0x7c010000
	s_mov_b32 s21, exec_lo
	s_delay_alu instid0(VALU_DEP_2) | instskip(NEXT) | instid1(VALU_DEP_1)
	v_and_b32_e32 v7, 0x7f, v2
	v_cmpx_ne_u32_e32 0x7f, v7
	s_cbranch_execz .LBB261_575
; %bb.572:                              ;   in Loop: Header=BB261_12 Depth=1
	v_dual_lshrrev_b32 v6, 3, v7 :: v_dual_bitop2_b32 v3, 7, v2 bitop3:0x40
	s_mov_b32 s22, exec_lo
	v_cmpx_gt_u32_e32 8, v7
; %bb.573:                              ;   in Loop: Header=BB261_12 Depth=1
	s_delay_alu instid0(VALU_DEP_2) | instskip(NEXT) | instid1(VALU_DEP_1)
	v_clz_i32_u32_e32 v3, v3
	v_min_u32_e32 v3, 32, v3
	s_delay_alu instid0(VALU_DEP_1) | instskip(NEXT) | instid1(VALU_DEP_1)
	v_subrev_nc_u32_e32 v6, 28, v3
	v_lshlrev_b64_e32 v[14:15], v6, v[4:5]
	s_delay_alu instid0(VALU_DEP_1)
	v_dual_sub_nc_u32 v6, 29, v3 :: v_dual_bitop2_b32 v3, 7, v14 bitop3:0x40
; %bb.574:                              ;   in Loop: Header=BB261_12 Depth=1
	s_or_b32 exec_lo, exec_lo, s22
	s_delay_alu instid0(VALU_DEP_1) | instskip(NEXT) | instid1(VALU_DEP_2)
	v_dual_lshlrev_b32 v2, 8, v2 :: v_dual_lshlrev_b32 v3, 23, v3
	v_lshl_add_u32 v4, v6, 10, 0x2000
	s_delay_alu instid0(VALU_DEP_1) | instskip(NEXT) | instid1(VALU_DEP_1)
	v_and_or_b32 v2, 0x8000, v2, v4
	v_lshl_or_b32 v32, v2, 16, v3
.LBB261_575:                            ;   in Loop: Header=BB261_12 Depth=1
	s_or_b32 exec_lo, exec_lo, s21
.LBB261_576:                            ;   in Loop: Header=BB261_12 Depth=1
	s_delay_alu instid0(SALU_CYCLE_1)
	s_or_b32 exec_lo, exec_lo, s20
.LBB261_577:                            ;   in Loop: Header=BB261_12 Depth=1
	s_delay_alu instid0(SALU_CYCLE_1) | instskip(SKIP_3) | instid1(VALU_DEP_2)
	s_or_b32 exec_lo, exec_lo, s19
	v_dual_mov_b32 v3, 0 :: v_dual_lshrrev_b32 v4, 16, v38
	v_mov_b32_e32 v33, 0
	s_mov_b32 s19, exec_lo
	v_and_b32_e32 v2, 0xff, v4
	s_delay_alu instid0(VALU_DEP_1)
	v_cmpx_ne_u16_e32 0, v2
	s_cbranch_execz .LBB261_585
; %bb.578:                              ;   in Loop: Header=BB261_12 Depth=1
	v_mov_b32_e32 v33, 0x8000
	s_mov_b32 s20, exec_lo
	v_cmpx_ne_u16_e32 0x80, v2
	s_cbranch_execz .LBB261_584
; %bb.579:                              ;   in Loop: Header=BB261_12 Depth=1
	v_bfe_u32 v7, v38, 16, 7
	v_mov_b32_e32 v33, 0x7c01
	s_mov_b32 s21, exec_lo
	s_delay_alu instid0(VALU_DEP_2)
	v_cmpx_ne_u32_e32 0x7f, v7
	s_cbranch_execz .LBB261_583
; %bb.580:                              ;   in Loop: Header=BB261_12 Depth=1
	v_dual_lshrrev_b32 v6, 3, v7 :: v_dual_bitop2_b32 v2, 7, v4 bitop3:0x40
	s_mov_b32 s22, exec_lo
	v_cmpx_gt_u32_e32 8, v7
; %bb.581:                              ;   in Loop: Header=BB261_12 Depth=1
	s_delay_alu instid0(VALU_DEP_2) | instskip(NEXT) | instid1(VALU_DEP_1)
	v_clz_i32_u32_e32 v2, v2
	v_min_u32_e32 v2, 32, v2
	s_delay_alu instid0(VALU_DEP_1) | instskip(NEXT) | instid1(VALU_DEP_1)
	v_subrev_nc_u32_e32 v6, 28, v2
	v_lshlrev_b64_e32 v[14:15], v6, v[4:5]
	v_sub_nc_u32_e32 v6, 29, v2
	s_delay_alu instid0(VALU_DEP_2)
	v_and_b32_e32 v2, 7, v14
; %bb.582:                              ;   in Loop: Header=BB261_12 Depth=1
	s_or_b32 exec_lo, exec_lo, s22
	s_delay_alu instid0(VALU_DEP_1) | instskip(NEXT) | instid1(VALU_DEP_3)
	v_dual_lshlrev_b32 v4, 8, v4 :: v_dual_lshlrev_b32 v2, 7, v2
	v_lshl_add_u32 v6, v6, 10, 0x2000
	s_delay_alu instid0(VALU_DEP_2) | instskip(NEXT) | instid1(VALU_DEP_2)
	v_and_b32_e32 v4, 0x8000, v4
	v_and_b32_e32 v6, 0xfc00, v6
	s_delay_alu instid0(VALU_DEP_1)
	v_or3_b32 v33, v4, v6, v2
.LBB261_583:                            ;   in Loop: Header=BB261_12 Depth=1
	s_or_b32 exec_lo, exec_lo, s21
.LBB261_584:                            ;   in Loop: Header=BB261_12 Depth=1
	s_delay_alu instid0(SALU_CYCLE_1)
	s_or_b32 exec_lo, exec_lo, s20
.LBB261_585:                            ;   in Loop: Header=BB261_12 Depth=1
	s_delay_alu instid0(SALU_CYCLE_1) | instskip(NEXT) | instid1(SALU_CYCLE_1)
	s_or_b32 exec_lo, exec_lo, s19
	s_mov_b32 s19, exec_lo
	v_cmpx_lt_u32_e32 0xffffff, v38
	s_cbranch_execz .LBB261_593
; %bb.586:                              ;   in Loop: Header=BB261_12 Depth=1
	v_lshrrev_b32_e32 v4, 24, v38
	v_bfrev_b32_e32 v3, 1
	s_mov_b32 s20, exec_lo
	s_delay_alu instid0(VALU_DEP_2)
	v_cmpx_ne_u32_e32 0x80, v4
	s_cbranch_execz .LBB261_592
; %bb.587:                              ;   in Loop: Header=BB261_12 Depth=1
	v_and_b32_e32 v6, 0x7f, v4
	v_mov_b32_e32 v3, 0x7c010000
	s_mov_b32 s21, exec_lo
	s_delay_alu instid0(VALU_DEP_2)
	v_cmpx_ne_u32_e32 0x7f, v6
	s_cbranch_execz .LBB261_591
; %bb.588:                              ;   in Loop: Header=BB261_12 Depth=1
	v_dual_lshrrev_b32 v3, 3, v6 :: v_dual_bitop2_b32 v2, 7, v4 bitop3:0x40
	s_mov_b32 s22, exec_lo
	v_cmpx_gt_u32_e32 8, v6
; %bb.589:                              ;   in Loop: Header=BB261_12 Depth=1
	s_delay_alu instid0(VALU_DEP_2) | instskip(NEXT) | instid1(VALU_DEP_1)
	v_clz_i32_u32_e32 v2, v2
	v_min_u32_e32 v6, 32, v2
	s_delay_alu instid0(VALU_DEP_1) | instskip(NEXT) | instid1(VALU_DEP_1)
	v_subrev_nc_u32_e32 v2, 28, v6
	v_lshlrev_b64_e32 v[2:3], v2, v[4:5]
	v_sub_nc_u32_e32 v3, 29, v6
	s_delay_alu instid0(VALU_DEP_2)
	v_and_b32_e32 v2, 7, v2
; %bb.590:                              ;   in Loop: Header=BB261_12 Depth=1
	s_or_b32 exec_lo, exec_lo, s22
	s_delay_alu instid0(VALU_DEP_1) | instskip(NEXT) | instid1(VALU_DEP_3)
	v_dual_lshlrev_b32 v4, 8, v4 :: v_dual_lshlrev_b32 v2, 23, v2
	v_lshl_add_u32 v3, v3, 10, 0x2000
	s_delay_alu instid0(VALU_DEP_1) | instskip(NEXT) | instid1(VALU_DEP_1)
	v_and_or_b32 v3, 0x8000, v4, v3
	v_lshl_or_b32 v3, v3, 16, v2
.LBB261_591:                            ;   in Loop: Header=BB261_12 Depth=1
	s_or_b32 exec_lo, exec_lo, s21
.LBB261_592:                            ;   in Loop: Header=BB261_12 Depth=1
	s_delay_alu instid0(SALU_CYCLE_1)
	s_or_b32 exec_lo, exec_lo, s20
.LBB261_593:                            ;   in Loop: Header=BB261_12 Depth=1
	s_delay_alu instid0(SALU_CYCLE_1)
	s_or_b32 exec_lo, exec_lo, s19
	flat_load_b32 v38, v[36:37] offset:2304
	v_dual_mov_b32 v80, 0 :: v_dual_mov_b32 v35, 0
	s_mov_b32 s19, exec_lo
	s_wait_loadcnt_dscnt 0x0
	v_and_b32_e32 v2, 0xff, v38
	s_wait_xcnt 0x0
	s_delay_alu instid0(VALU_DEP_1)
	v_cmpx_ne_u16_e32 0, v2
	s_cbranch_execz .LBB261_601
; %bb.594:                              ;   in Loop: Header=BB261_12 Depth=1
	v_mov_b32_e32 v35, 0x8000
	s_mov_b32 s20, exec_lo
	v_cmpx_ne_u16_e32 0x80, v2
	s_cbranch_execz .LBB261_600
; %bb.595:                              ;   in Loop: Header=BB261_12 Depth=1
	v_and_b32_e32 v6, 0x7f, v38
	v_mov_b32_e32 v35, 0x7c01
	s_mov_b32 s21, exec_lo
	s_delay_alu instid0(VALU_DEP_2)
	v_cmpx_ne_u32_e32 0x7f, v6
	s_cbranch_execz .LBB261_599
; %bb.596:                              ;   in Loop: Header=BB261_12 Depth=1
	v_and_b32_e32 v2, 7, v38
	v_lshrrev_b32_e32 v4, 3, v6
	s_mov_b32 s22, exec_lo
	v_cmpx_gt_u32_e32 8, v6
; %bb.597:                              ;   in Loop: Header=BB261_12 Depth=1
	s_delay_alu instid0(VALU_DEP_3) | instskip(NEXT) | instid1(VALU_DEP_1)
	v_clz_i32_u32_e32 v2, v2
	v_min_u32_e32 v2, 32, v2
	s_delay_alu instid0(VALU_DEP_1) | instskip(NEXT) | instid1(VALU_DEP_1)
	v_subrev_nc_u32_e32 v4, 28, v2
	v_lshlrev_b64_e32 v[6:7], v4, v[38:39]
	v_sub_nc_u32_e32 v4, 29, v2
	s_delay_alu instid0(VALU_DEP_2)
	v_and_b32_e32 v2, 7, v6
; %bb.598:                              ;   in Loop: Header=BB261_12 Depth=1
	s_or_b32 exec_lo, exec_lo, s22
	v_lshlrev_b32_e32 v6, 8, v38
	s_delay_alu instid0(VALU_DEP_3) | instskip(NEXT) | instid1(VALU_DEP_3)
	v_lshl_add_u32 v4, v4, 10, 0x2000
	v_lshlrev_b32_e32 v2, 7, v2
	s_delay_alu instid0(VALU_DEP_3) | instskip(NEXT) | instid1(VALU_DEP_3)
	v_and_b32_e32 v6, 0x8000, v6
	v_and_b32_e32 v4, 0xfc00, v4
	s_delay_alu instid0(VALU_DEP_1)
	v_or3_b32 v35, v6, v4, v2
.LBB261_599:                            ;   in Loop: Header=BB261_12 Depth=1
	s_or_b32 exec_lo, exec_lo, s21
.LBB261_600:                            ;   in Loop: Header=BB261_12 Depth=1
	s_delay_alu instid0(SALU_CYCLE_1)
	s_or_b32 exec_lo, exec_lo, s20
.LBB261_601:                            ;   in Loop: Header=BB261_12 Depth=1
	s_delay_alu instid0(SALU_CYCLE_1) | instskip(SKIP_2) | instid1(VALU_DEP_1)
	s_or_b32 exec_lo, exec_lo, s19
	v_lshrrev_b16 v4, 8, v38
	s_mov_b32 s19, exec_lo
	v_cmpx_ne_u16_e32 0, v4
	s_cbranch_execz .LBB261_609
; %bb.602:                              ;   in Loop: Header=BB261_12 Depth=1
	v_bfrev_b32_e32 v80, 1
	s_mov_b32 s20, exec_lo
	v_cmpx_ne_u16_e32 0x80, v4
	s_cbranch_execz .LBB261_608
; %bb.603:                              ;   in Loop: Header=BB261_12 Depth=1
	v_and_b32_e32 v2, 0xffff, v4
	v_mov_b32_e32 v80, 0x7c010000
	s_mov_b32 s21, exec_lo
	s_delay_alu instid0(VALU_DEP_2) | instskip(NEXT) | instid1(VALU_DEP_1)
	v_and_b32_e32 v9, 0x7f, v2
	v_cmpx_ne_u32_e32 0x7f, v9
	s_cbranch_execz .LBB261_607
; %bb.604:                              ;   in Loop: Header=BB261_12 Depth=1
	v_dual_lshrrev_b32 v7, 3, v9 :: v_dual_bitop2_b32 v6, 7, v2 bitop3:0x40
	s_mov_b32 s22, exec_lo
	v_cmpx_gt_u32_e32 8, v9
; %bb.605:                              ;   in Loop: Header=BB261_12 Depth=1
	s_delay_alu instid0(VALU_DEP_2) | instskip(NEXT) | instid1(VALU_DEP_1)
	v_clz_i32_u32_e32 v6, v6
	v_min_u32_e32 v9, 32, v6
	s_delay_alu instid0(VALU_DEP_1) | instskip(NEXT) | instid1(VALU_DEP_1)
	v_subrev_nc_u32_e32 v6, 28, v9
	v_lshlrev_b64_e32 v[6:7], v6, v[4:5]
	s_delay_alu instid0(VALU_DEP_1)
	v_dual_sub_nc_u32 v7, 29, v9 :: v_dual_bitop2_b32 v6, 7, v6 bitop3:0x40
; %bb.606:                              ;   in Loop: Header=BB261_12 Depth=1
	s_or_b32 exec_lo, exec_lo, s22
	v_lshlrev_b32_e32 v2, 8, v2
	s_delay_alu instid0(VALU_DEP_2) | instskip(NEXT) | instid1(VALU_DEP_1)
	v_lshl_add_u32 v4, v7, 10, 0x2000
	v_and_or_b32 v2, 0x8000, v2, v4
	v_lshlrev_b32_e32 v4, 23, v6
	s_delay_alu instid0(VALU_DEP_1)
	v_lshl_or_b32 v80, v2, 16, v4
.LBB261_607:                            ;   in Loop: Header=BB261_12 Depth=1
	s_or_b32 exec_lo, exec_lo, s21
.LBB261_608:                            ;   in Loop: Header=BB261_12 Depth=1
	s_delay_alu instid0(SALU_CYCLE_1)
	s_or_b32 exec_lo, exec_lo, s20
.LBB261_609:                            ;   in Loop: Header=BB261_12 Depth=1
	s_delay_alu instid0(SALU_CYCLE_1) | instskip(SKIP_3) | instid1(VALU_DEP_2)
	s_or_b32 exec_lo, exec_lo, s19
	v_dual_mov_b32 v79, 0 :: v_dual_lshrrev_b32 v4, 16, v38
	v_mov_b32_e32 v88, 0
	s_mov_b32 s19, exec_lo
	v_and_b32_e32 v2, 0xff, v4
	s_delay_alu instid0(VALU_DEP_1)
	v_cmpx_ne_u16_e32 0, v2
	s_cbranch_execz .LBB261_617
; %bb.610:                              ;   in Loop: Header=BB261_12 Depth=1
	v_mov_b32_e32 v88, 0x8000
	s_mov_b32 s20, exec_lo
	v_cmpx_ne_u16_e32 0x80, v2
	s_cbranch_execz .LBB261_616
; %bb.611:                              ;   in Loop: Header=BB261_12 Depth=1
	v_bfe_u32 v7, v38, 16, 7
	v_mov_b32_e32 v88, 0x7c01
	s_mov_b32 s21, exec_lo
	s_delay_alu instid0(VALU_DEP_2)
	v_cmpx_ne_u32_e32 0x7f, v7
	s_cbranch_execz .LBB261_615
; %bb.612:                              ;   in Loop: Header=BB261_12 Depth=1
	v_dual_lshrrev_b32 v6, 3, v7 :: v_dual_bitop2_b32 v2, 7, v4 bitop3:0x40
	s_mov_b32 s22, exec_lo
	v_cmpx_gt_u32_e32 8, v7
; %bb.613:                              ;   in Loop: Header=BB261_12 Depth=1
	s_delay_alu instid0(VALU_DEP_2) | instskip(NEXT) | instid1(VALU_DEP_1)
	v_clz_i32_u32_e32 v2, v2
	v_min_u32_e32 v2, 32, v2
	s_delay_alu instid0(VALU_DEP_1) | instskip(NEXT) | instid1(VALU_DEP_1)
	v_subrev_nc_u32_e32 v6, 28, v2
	v_lshlrev_b64_e32 v[14:15], v6, v[4:5]
	v_sub_nc_u32_e32 v6, 29, v2
	s_delay_alu instid0(VALU_DEP_2)
	v_and_b32_e32 v2, 7, v14
; %bb.614:                              ;   in Loop: Header=BB261_12 Depth=1
	s_or_b32 exec_lo, exec_lo, s22
	s_delay_alu instid0(VALU_DEP_1) | instskip(NEXT) | instid1(VALU_DEP_3)
	v_dual_lshlrev_b32 v4, 8, v4 :: v_dual_lshlrev_b32 v2, 7, v2
	v_lshl_add_u32 v6, v6, 10, 0x2000
	s_delay_alu instid0(VALU_DEP_2) | instskip(NEXT) | instid1(VALU_DEP_2)
	v_and_b32_e32 v4, 0x8000, v4
	v_and_b32_e32 v6, 0xfc00, v6
	s_delay_alu instid0(VALU_DEP_1)
	v_or3_b32 v88, v4, v6, v2
.LBB261_615:                            ;   in Loop: Header=BB261_12 Depth=1
	s_or_b32 exec_lo, exec_lo, s21
.LBB261_616:                            ;   in Loop: Header=BB261_12 Depth=1
	s_delay_alu instid0(SALU_CYCLE_1)
	s_or_b32 exec_lo, exec_lo, s20
.LBB261_617:                            ;   in Loop: Header=BB261_12 Depth=1
	s_delay_alu instid0(SALU_CYCLE_1) | instskip(NEXT) | instid1(SALU_CYCLE_1)
	s_or_b32 exec_lo, exec_lo, s19
	s_mov_b32 s19, exec_lo
	v_cmpx_lt_u32_e32 0xffffff, v38
	s_cbranch_execz .LBB261_625
; %bb.618:                              ;   in Loop: Header=BB261_12 Depth=1
	v_lshrrev_b32_e32 v4, 24, v38
	v_bfrev_b32_e32 v79, 1
	s_mov_b32 s20, exec_lo
	s_delay_alu instid0(VALU_DEP_2)
	v_cmpx_ne_u32_e32 0x80, v4
	s_cbranch_execz .LBB261_624
; %bb.619:                              ;   in Loop: Header=BB261_12 Depth=1
	v_and_b32_e32 v7, 0x7f, v4
	v_mov_b32_e32 v79, 0x7c010000
	s_mov_b32 s21, exec_lo
	s_delay_alu instid0(VALU_DEP_2)
	v_cmpx_ne_u32_e32 0x7f, v7
	s_cbranch_execz .LBB261_623
; %bb.620:                              ;   in Loop: Header=BB261_12 Depth=1
	v_dual_lshrrev_b32 v6, 3, v7 :: v_dual_bitop2_b32 v2, 7, v4 bitop3:0x40
	s_mov_b32 s22, exec_lo
	v_cmpx_gt_u32_e32 8, v7
; %bb.621:                              ;   in Loop: Header=BB261_12 Depth=1
	s_delay_alu instid0(VALU_DEP_2) | instskip(NEXT) | instid1(VALU_DEP_1)
	v_clz_i32_u32_e32 v2, v2
	v_min_u32_e32 v2, 32, v2
	s_delay_alu instid0(VALU_DEP_1) | instskip(NEXT) | instid1(VALU_DEP_1)
	v_subrev_nc_u32_e32 v6, 28, v2
	v_lshlrev_b64_e32 v[14:15], v6, v[4:5]
	v_sub_nc_u32_e32 v6, 29, v2
	s_delay_alu instid0(VALU_DEP_2)
	v_and_b32_e32 v2, 7, v14
; %bb.622:                              ;   in Loop: Header=BB261_12 Depth=1
	s_or_b32 exec_lo, exec_lo, s22
	s_delay_alu instid0(VALU_DEP_1) | instskip(NEXT) | instid1(VALU_DEP_3)
	v_dual_lshlrev_b32 v4, 8, v4 :: v_dual_lshlrev_b32 v2, 23, v2
	v_lshl_add_u32 v6, v6, 10, 0x2000
	s_delay_alu instid0(VALU_DEP_1) | instskip(NEXT) | instid1(VALU_DEP_1)
	v_and_or_b32 v4, 0x8000, v4, v6
	v_lshl_or_b32 v79, v4, 16, v2
.LBB261_623:                            ;   in Loop: Header=BB261_12 Depth=1
	s_or_b32 exec_lo, exec_lo, s21
.LBB261_624:                            ;   in Loop: Header=BB261_12 Depth=1
	s_delay_alu instid0(SALU_CYCLE_1)
	s_or_b32 exec_lo, exec_lo, s20
.LBB261_625:                            ;   in Loop: Header=BB261_12 Depth=1
	s_delay_alu instid0(SALU_CYCLE_1)
	s_or_b32 exec_lo, exec_lo, s19
	flat_load_b32 v38, v[36:37] offset:2312
	v_dual_mov_b32 v98, 0 :: v_dual_mov_b32 v100, 0
	s_mov_b32 s19, exec_lo
	s_wait_loadcnt_dscnt 0x0
	v_and_b32_e32 v2, 0xff, v38
	s_wait_xcnt 0x0
	s_delay_alu instid0(VALU_DEP_1)
	v_cmpx_ne_u16_e32 0, v2
	s_cbranch_execz .LBB261_633
; %bb.626:                              ;   in Loop: Header=BB261_12 Depth=1
	v_mov_b32_e32 v100, 0x8000
	s_mov_b32 s20, exec_lo
	v_cmpx_ne_u16_e32 0x80, v2
	s_cbranch_execz .LBB261_632
; %bb.627:                              ;   in Loop: Header=BB261_12 Depth=1
	v_and_b32_e32 v6, 0x7f, v38
	v_mov_b32_e32 v100, 0x7c01
	s_mov_b32 s21, exec_lo
	s_delay_alu instid0(VALU_DEP_2)
	v_cmpx_ne_u32_e32 0x7f, v6
	s_cbranch_execz .LBB261_631
; %bb.628:                              ;   in Loop: Header=BB261_12 Depth=1
	v_and_b32_e32 v2, 7, v38
	v_lshrrev_b32_e32 v4, 3, v6
	s_mov_b32 s22, exec_lo
	v_cmpx_gt_u32_e32 8, v6
; %bb.629:                              ;   in Loop: Header=BB261_12 Depth=1
	s_delay_alu instid0(VALU_DEP_3) | instskip(NEXT) | instid1(VALU_DEP_1)
	v_clz_i32_u32_e32 v2, v2
	v_min_u32_e32 v2, 32, v2
	s_delay_alu instid0(VALU_DEP_1) | instskip(NEXT) | instid1(VALU_DEP_1)
	v_subrev_nc_u32_e32 v4, 28, v2
	v_lshlrev_b64_e32 v[6:7], v4, v[38:39]
	v_sub_nc_u32_e32 v4, 29, v2
	s_delay_alu instid0(VALU_DEP_2)
	v_and_b32_e32 v2, 7, v6
; %bb.630:                              ;   in Loop: Header=BB261_12 Depth=1
	s_or_b32 exec_lo, exec_lo, s22
	v_lshlrev_b32_e32 v6, 8, v38
	s_delay_alu instid0(VALU_DEP_3) | instskip(NEXT) | instid1(VALU_DEP_3)
	v_lshl_add_u32 v4, v4, 10, 0x2000
	v_lshlrev_b32_e32 v2, 7, v2
	s_delay_alu instid0(VALU_DEP_3) | instskip(NEXT) | instid1(VALU_DEP_3)
	v_and_b32_e32 v6, 0x8000, v6
	v_and_b32_e32 v4, 0xfc00, v4
	s_delay_alu instid0(VALU_DEP_1)
	v_or3_b32 v100, v6, v4, v2
.LBB261_631:                            ;   in Loop: Header=BB261_12 Depth=1
	s_or_b32 exec_lo, exec_lo, s21
.LBB261_632:                            ;   in Loop: Header=BB261_12 Depth=1
	s_delay_alu instid0(SALU_CYCLE_1)
	s_or_b32 exec_lo, exec_lo, s20
.LBB261_633:                            ;   in Loop: Header=BB261_12 Depth=1
	s_delay_alu instid0(SALU_CYCLE_1) | instskip(SKIP_2) | instid1(VALU_DEP_1)
	s_or_b32 exec_lo, exec_lo, s19
	v_lshrrev_b16 v4, 8, v38
	s_mov_b32 s19, exec_lo
	v_cmpx_ne_u16_e32 0, v4
	s_cbranch_execz .LBB261_641
; %bb.634:                              ;   in Loop: Header=BB261_12 Depth=1
	v_bfrev_b32_e32 v98, 1
	s_mov_b32 s20, exec_lo
	v_cmpx_ne_u16_e32 0x80, v4
	s_cbranch_execz .LBB261_640
; %bb.635:                              ;   in Loop: Header=BB261_12 Depth=1
	v_and_b32_e32 v2, 0xffff, v4
	v_mov_b32_e32 v98, 0x7c010000
	s_mov_b32 s21, exec_lo
	s_delay_alu instid0(VALU_DEP_2) | instskip(NEXT) | instid1(VALU_DEP_1)
	v_and_b32_e32 v9, 0x7f, v2
	v_cmpx_ne_u32_e32 0x7f, v9
	s_cbranch_execz .LBB261_639
; %bb.636:                              ;   in Loop: Header=BB261_12 Depth=1
	v_dual_lshrrev_b32 v7, 3, v9 :: v_dual_bitop2_b32 v6, 7, v2 bitop3:0x40
	s_mov_b32 s22, exec_lo
	v_cmpx_gt_u32_e32 8, v9
; %bb.637:                              ;   in Loop: Header=BB261_12 Depth=1
	s_delay_alu instid0(VALU_DEP_2) | instskip(NEXT) | instid1(VALU_DEP_1)
	v_clz_i32_u32_e32 v6, v6
	v_min_u32_e32 v9, 32, v6
	s_delay_alu instid0(VALU_DEP_1) | instskip(NEXT) | instid1(VALU_DEP_1)
	v_subrev_nc_u32_e32 v6, 28, v9
	v_lshlrev_b64_e32 v[6:7], v6, v[4:5]
	s_delay_alu instid0(VALU_DEP_1)
	v_dual_sub_nc_u32 v7, 29, v9 :: v_dual_bitop2_b32 v6, 7, v6 bitop3:0x40
; %bb.638:                              ;   in Loop: Header=BB261_12 Depth=1
	s_or_b32 exec_lo, exec_lo, s22
	v_lshlrev_b32_e32 v2, 8, v2
	s_delay_alu instid0(VALU_DEP_2) | instskip(NEXT) | instid1(VALU_DEP_1)
	v_lshl_add_u32 v4, v7, 10, 0x2000
	v_and_or_b32 v2, 0x8000, v2, v4
	v_lshlrev_b32_e32 v4, 23, v6
	s_delay_alu instid0(VALU_DEP_1)
	v_lshl_or_b32 v98, v2, 16, v4
.LBB261_639:                            ;   in Loop: Header=BB261_12 Depth=1
	s_or_b32 exec_lo, exec_lo, s21
.LBB261_640:                            ;   in Loop: Header=BB261_12 Depth=1
	s_delay_alu instid0(SALU_CYCLE_1)
	s_or_b32 exec_lo, exec_lo, s20
.LBB261_641:                            ;   in Loop: Header=BB261_12 Depth=1
	s_delay_alu instid0(SALU_CYCLE_1) | instskip(SKIP_3) | instid1(VALU_DEP_2)
	s_or_b32 exec_lo, exec_lo, s19
	v_dual_lshrrev_b32 v4, 16, v38 :: v_dual_mov_b32 v102, 0
	v_mov_b32_e32 v90, 0
	s_mov_b32 s19, exec_lo
	v_and_b32_e32 v2, 0xff, v4
	s_delay_alu instid0(VALU_DEP_1)
	v_cmpx_ne_u16_e32 0, v2
	s_cbranch_execz .LBB261_649
; %bb.642:                              ;   in Loop: Header=BB261_12 Depth=1
	v_mov_b32_e32 v90, 0x8000
	s_mov_b32 s20, exec_lo
	v_cmpx_ne_u16_e32 0x80, v2
	s_cbranch_execz .LBB261_648
; %bb.643:                              ;   in Loop: Header=BB261_12 Depth=1
	v_bfe_u32 v7, v38, 16, 7
	v_mov_b32_e32 v90, 0x7c01
	s_mov_b32 s21, exec_lo
	s_delay_alu instid0(VALU_DEP_2)
	v_cmpx_ne_u32_e32 0x7f, v7
	s_cbranch_execz .LBB261_647
; %bb.644:                              ;   in Loop: Header=BB261_12 Depth=1
	v_dual_lshrrev_b32 v6, 3, v7 :: v_dual_bitop2_b32 v2, 7, v4 bitop3:0x40
	s_mov_b32 s22, exec_lo
	v_cmpx_gt_u32_e32 8, v7
; %bb.645:                              ;   in Loop: Header=BB261_12 Depth=1
	s_delay_alu instid0(VALU_DEP_2) | instskip(NEXT) | instid1(VALU_DEP_1)
	v_clz_i32_u32_e32 v2, v2
	v_min_u32_e32 v2, 32, v2
	s_delay_alu instid0(VALU_DEP_1) | instskip(NEXT) | instid1(VALU_DEP_1)
	v_subrev_nc_u32_e32 v6, 28, v2
	v_lshlrev_b64_e32 v[14:15], v6, v[4:5]
	v_sub_nc_u32_e32 v6, 29, v2
	s_delay_alu instid0(VALU_DEP_2)
	v_and_b32_e32 v2, 7, v14
; %bb.646:                              ;   in Loop: Header=BB261_12 Depth=1
	s_or_b32 exec_lo, exec_lo, s22
	s_delay_alu instid0(VALU_DEP_1) | instskip(NEXT) | instid1(VALU_DEP_3)
	v_dual_lshlrev_b32 v4, 8, v4 :: v_dual_lshlrev_b32 v2, 7, v2
	v_lshl_add_u32 v6, v6, 10, 0x2000
	s_delay_alu instid0(VALU_DEP_2) | instskip(NEXT) | instid1(VALU_DEP_2)
	v_and_b32_e32 v4, 0x8000, v4
	v_and_b32_e32 v6, 0xfc00, v6
	s_delay_alu instid0(VALU_DEP_1)
	v_or3_b32 v90, v4, v6, v2
.LBB261_647:                            ;   in Loop: Header=BB261_12 Depth=1
	s_or_b32 exec_lo, exec_lo, s21
.LBB261_648:                            ;   in Loop: Header=BB261_12 Depth=1
	s_delay_alu instid0(SALU_CYCLE_1)
	s_or_b32 exec_lo, exec_lo, s20
.LBB261_649:                            ;   in Loop: Header=BB261_12 Depth=1
	s_delay_alu instid0(SALU_CYCLE_1) | instskip(NEXT) | instid1(SALU_CYCLE_1)
	s_or_b32 exec_lo, exec_lo, s19
	s_mov_b32 s19, exec_lo
	v_cmpx_lt_u32_e32 0xffffff, v38
	s_cbranch_execz .LBB261_657
; %bb.650:                              ;   in Loop: Header=BB261_12 Depth=1
	v_lshrrev_b32_e32 v4, 24, v38
	v_bfrev_b32_e32 v102, 1
	s_mov_b32 s20, exec_lo
	s_delay_alu instid0(VALU_DEP_2)
	v_cmpx_ne_u32_e32 0x80, v4
	s_cbranch_execz .LBB261_656
; %bb.651:                              ;   in Loop: Header=BB261_12 Depth=1
	v_and_b32_e32 v7, 0x7f, v4
	v_mov_b32_e32 v102, 0x7c010000
	s_mov_b32 s21, exec_lo
	s_delay_alu instid0(VALU_DEP_2)
	v_cmpx_ne_u32_e32 0x7f, v7
	s_cbranch_execz .LBB261_655
; %bb.652:                              ;   in Loop: Header=BB261_12 Depth=1
	v_dual_lshrrev_b32 v6, 3, v7 :: v_dual_bitop2_b32 v2, 7, v4 bitop3:0x40
	s_mov_b32 s22, exec_lo
	v_cmpx_gt_u32_e32 8, v7
; %bb.653:                              ;   in Loop: Header=BB261_12 Depth=1
	s_delay_alu instid0(VALU_DEP_2) | instskip(NEXT) | instid1(VALU_DEP_1)
	v_clz_i32_u32_e32 v2, v2
	v_min_u32_e32 v2, 32, v2
	s_delay_alu instid0(VALU_DEP_1) | instskip(NEXT) | instid1(VALU_DEP_1)
	v_subrev_nc_u32_e32 v6, 28, v2
	v_lshlrev_b64_e32 v[14:15], v6, v[4:5]
	v_sub_nc_u32_e32 v6, 29, v2
	s_delay_alu instid0(VALU_DEP_2)
	v_and_b32_e32 v2, 7, v14
; %bb.654:                              ;   in Loop: Header=BB261_12 Depth=1
	s_or_b32 exec_lo, exec_lo, s22
	s_delay_alu instid0(VALU_DEP_1) | instskip(NEXT) | instid1(VALU_DEP_3)
	v_dual_lshlrev_b32 v4, 8, v4 :: v_dual_lshlrev_b32 v2, 23, v2
	v_lshl_add_u32 v6, v6, 10, 0x2000
	s_delay_alu instid0(VALU_DEP_1) | instskip(NEXT) | instid1(VALU_DEP_1)
	v_and_or_b32 v4, 0x8000, v4, v6
	v_lshl_or_b32 v102, v4, 16, v2
.LBB261_655:                            ;   in Loop: Header=BB261_12 Depth=1
	s_or_b32 exec_lo, exec_lo, s21
.LBB261_656:                            ;   in Loop: Header=BB261_12 Depth=1
	s_delay_alu instid0(SALU_CYCLE_1)
	s_or_b32 exec_lo, exec_lo, s20
.LBB261_657:                            ;   in Loop: Header=BB261_12 Depth=1
	s_delay_alu instid0(SALU_CYCLE_1)
	s_or_b32 exec_lo, exec_lo, s19
	flat_load_b32 v38, v[36:37] offset:2560
	v_dual_mov_b32 v82, 0 :: v_dual_mov_b32 v84, 0
	s_mov_b32 s19, exec_lo
	s_wait_loadcnt_dscnt 0x0
	v_and_b32_e32 v2, 0xff, v38
	s_wait_xcnt 0x0
	s_delay_alu instid0(VALU_DEP_1)
	v_cmpx_ne_u16_e32 0, v2
	s_cbranch_execz .LBB261_665
; %bb.658:                              ;   in Loop: Header=BB261_12 Depth=1
	v_mov_b32_e32 v84, 0x8000
	s_mov_b32 s20, exec_lo
	v_cmpx_ne_u16_e32 0x80, v2
	s_cbranch_execz .LBB261_664
; %bb.659:                              ;   in Loop: Header=BB261_12 Depth=1
	v_and_b32_e32 v6, 0x7f, v38
	v_mov_b32_e32 v84, 0x7c01
	s_mov_b32 s21, exec_lo
	s_delay_alu instid0(VALU_DEP_2)
	v_cmpx_ne_u32_e32 0x7f, v6
	s_cbranch_execz .LBB261_663
; %bb.660:                              ;   in Loop: Header=BB261_12 Depth=1
	v_and_b32_e32 v2, 7, v38
	v_lshrrev_b32_e32 v4, 3, v6
	s_mov_b32 s22, exec_lo
	v_cmpx_gt_u32_e32 8, v6
; %bb.661:                              ;   in Loop: Header=BB261_12 Depth=1
	s_delay_alu instid0(VALU_DEP_3) | instskip(NEXT) | instid1(VALU_DEP_1)
	v_clz_i32_u32_e32 v2, v2
	v_min_u32_e32 v2, 32, v2
	s_delay_alu instid0(VALU_DEP_1) | instskip(NEXT) | instid1(VALU_DEP_1)
	v_subrev_nc_u32_e32 v4, 28, v2
	v_lshlrev_b64_e32 v[6:7], v4, v[38:39]
	v_sub_nc_u32_e32 v4, 29, v2
	s_delay_alu instid0(VALU_DEP_2)
	v_and_b32_e32 v2, 7, v6
; %bb.662:                              ;   in Loop: Header=BB261_12 Depth=1
	s_or_b32 exec_lo, exec_lo, s22
	v_lshlrev_b32_e32 v6, 8, v38
	s_delay_alu instid0(VALU_DEP_3) | instskip(NEXT) | instid1(VALU_DEP_3)
	v_lshl_add_u32 v4, v4, 10, 0x2000
	v_lshlrev_b32_e32 v2, 7, v2
	s_delay_alu instid0(VALU_DEP_3) | instskip(NEXT) | instid1(VALU_DEP_3)
	v_and_b32_e32 v6, 0x8000, v6
	v_and_b32_e32 v4, 0xfc00, v4
	s_delay_alu instid0(VALU_DEP_1)
	v_or3_b32 v84, v6, v4, v2
.LBB261_663:                            ;   in Loop: Header=BB261_12 Depth=1
	s_or_b32 exec_lo, exec_lo, s21
.LBB261_664:                            ;   in Loop: Header=BB261_12 Depth=1
	s_delay_alu instid0(SALU_CYCLE_1)
	s_or_b32 exec_lo, exec_lo, s20
.LBB261_665:                            ;   in Loop: Header=BB261_12 Depth=1
	s_delay_alu instid0(SALU_CYCLE_1) | instskip(SKIP_2) | instid1(VALU_DEP_1)
	s_or_b32 exec_lo, exec_lo, s19
	v_lshrrev_b16 v4, 8, v38
	s_mov_b32 s19, exec_lo
	v_cmpx_ne_u16_e32 0, v4
	s_cbranch_execz .LBB261_673
; %bb.666:                              ;   in Loop: Header=BB261_12 Depth=1
	v_bfrev_b32_e32 v82, 1
	s_mov_b32 s20, exec_lo
	v_cmpx_ne_u16_e32 0x80, v4
	s_cbranch_execz .LBB261_672
; %bb.667:                              ;   in Loop: Header=BB261_12 Depth=1
	v_and_b32_e32 v2, 0xffff, v4
	v_mov_b32_e32 v82, 0x7c010000
	s_mov_b32 s21, exec_lo
	s_delay_alu instid0(VALU_DEP_2) | instskip(NEXT) | instid1(VALU_DEP_1)
	v_and_b32_e32 v9, 0x7f, v2
	v_cmpx_ne_u32_e32 0x7f, v9
	s_cbranch_execz .LBB261_671
; %bb.668:                              ;   in Loop: Header=BB261_12 Depth=1
	v_dual_lshrrev_b32 v7, 3, v9 :: v_dual_bitop2_b32 v6, 7, v2 bitop3:0x40
	s_mov_b32 s22, exec_lo
	v_cmpx_gt_u32_e32 8, v9
; %bb.669:                              ;   in Loop: Header=BB261_12 Depth=1
	s_delay_alu instid0(VALU_DEP_2) | instskip(NEXT) | instid1(VALU_DEP_1)
	v_clz_i32_u32_e32 v6, v6
	v_min_u32_e32 v9, 32, v6
	s_delay_alu instid0(VALU_DEP_1) | instskip(NEXT) | instid1(VALU_DEP_1)
	v_subrev_nc_u32_e32 v6, 28, v9
	v_lshlrev_b64_e32 v[6:7], v6, v[4:5]
	s_delay_alu instid0(VALU_DEP_1)
	v_dual_sub_nc_u32 v7, 29, v9 :: v_dual_bitop2_b32 v6, 7, v6 bitop3:0x40
; %bb.670:                              ;   in Loop: Header=BB261_12 Depth=1
	s_or_b32 exec_lo, exec_lo, s22
	v_lshlrev_b32_e32 v2, 8, v2
	s_delay_alu instid0(VALU_DEP_2) | instskip(NEXT) | instid1(VALU_DEP_1)
	v_lshl_add_u32 v4, v7, 10, 0x2000
	v_and_or_b32 v2, 0x8000, v2, v4
	v_lshlrev_b32_e32 v4, 23, v6
	s_delay_alu instid0(VALU_DEP_1)
	v_lshl_or_b32 v82, v2, 16, v4
.LBB261_671:                            ;   in Loop: Header=BB261_12 Depth=1
	s_or_b32 exec_lo, exec_lo, s21
.LBB261_672:                            ;   in Loop: Header=BB261_12 Depth=1
	s_delay_alu instid0(SALU_CYCLE_1)
	s_or_b32 exec_lo, exec_lo, s20
.LBB261_673:                            ;   in Loop: Header=BB261_12 Depth=1
	s_delay_alu instid0(SALU_CYCLE_1) | instskip(SKIP_3) | instid1(VALU_DEP_2)
	s_or_b32 exec_lo, exec_lo, s19
	v_dual_mov_b32 v89, 0 :: v_dual_lshrrev_b32 v4, 16, v38
	v_mov_b32_e32 v93, 0
	s_mov_b32 s19, exec_lo
	v_and_b32_e32 v2, 0xff, v4
	s_delay_alu instid0(VALU_DEP_1)
	v_cmpx_ne_u16_e32 0, v2
	s_cbranch_execz .LBB261_681
; %bb.674:                              ;   in Loop: Header=BB261_12 Depth=1
	v_mov_b32_e32 v93, 0x8000
	s_mov_b32 s20, exec_lo
	v_cmpx_ne_u16_e32 0x80, v2
	s_cbranch_execz .LBB261_680
; %bb.675:                              ;   in Loop: Header=BB261_12 Depth=1
	v_bfe_u32 v7, v38, 16, 7
	v_mov_b32_e32 v93, 0x7c01
	s_mov_b32 s21, exec_lo
	s_delay_alu instid0(VALU_DEP_2)
	v_cmpx_ne_u32_e32 0x7f, v7
	s_cbranch_execz .LBB261_679
; %bb.676:                              ;   in Loop: Header=BB261_12 Depth=1
	v_dual_lshrrev_b32 v6, 3, v7 :: v_dual_bitop2_b32 v2, 7, v4 bitop3:0x40
	s_mov_b32 s22, exec_lo
	v_cmpx_gt_u32_e32 8, v7
; %bb.677:                              ;   in Loop: Header=BB261_12 Depth=1
	s_delay_alu instid0(VALU_DEP_2) | instskip(NEXT) | instid1(VALU_DEP_1)
	v_clz_i32_u32_e32 v2, v2
	v_min_u32_e32 v2, 32, v2
	s_delay_alu instid0(VALU_DEP_1) | instskip(NEXT) | instid1(VALU_DEP_1)
	v_subrev_nc_u32_e32 v6, 28, v2
	v_lshlrev_b64_e32 v[14:15], v6, v[4:5]
	v_sub_nc_u32_e32 v6, 29, v2
	s_delay_alu instid0(VALU_DEP_2)
	v_and_b32_e32 v2, 7, v14
; %bb.678:                              ;   in Loop: Header=BB261_12 Depth=1
	s_or_b32 exec_lo, exec_lo, s22
	s_delay_alu instid0(VALU_DEP_1) | instskip(NEXT) | instid1(VALU_DEP_3)
	v_dual_lshlrev_b32 v4, 8, v4 :: v_dual_lshlrev_b32 v2, 7, v2
	v_lshl_add_u32 v6, v6, 10, 0x2000
	s_delay_alu instid0(VALU_DEP_2) | instskip(NEXT) | instid1(VALU_DEP_2)
	v_and_b32_e32 v4, 0x8000, v4
	v_and_b32_e32 v6, 0xfc00, v6
	s_delay_alu instid0(VALU_DEP_1)
	v_or3_b32 v93, v4, v6, v2
.LBB261_679:                            ;   in Loop: Header=BB261_12 Depth=1
	s_or_b32 exec_lo, exec_lo, s21
.LBB261_680:                            ;   in Loop: Header=BB261_12 Depth=1
	s_delay_alu instid0(SALU_CYCLE_1)
	s_or_b32 exec_lo, exec_lo, s20
.LBB261_681:                            ;   in Loop: Header=BB261_12 Depth=1
	s_delay_alu instid0(SALU_CYCLE_1) | instskip(NEXT) | instid1(SALU_CYCLE_1)
	s_or_b32 exec_lo, exec_lo, s19
	s_mov_b32 s19, exec_lo
	v_cmpx_lt_u32_e32 0xffffff, v38
	s_cbranch_execz .LBB261_689
; %bb.682:                              ;   in Loop: Header=BB261_12 Depth=1
	v_lshrrev_b32_e32 v4, 24, v38
	v_bfrev_b32_e32 v89, 1
	s_mov_b32 s20, exec_lo
	s_delay_alu instid0(VALU_DEP_2)
	v_cmpx_ne_u32_e32 0x80, v4
	s_cbranch_execz .LBB261_688
; %bb.683:                              ;   in Loop: Header=BB261_12 Depth=1
	v_and_b32_e32 v7, 0x7f, v4
	v_mov_b32_e32 v89, 0x7c010000
	s_mov_b32 s21, exec_lo
	s_delay_alu instid0(VALU_DEP_2)
	v_cmpx_ne_u32_e32 0x7f, v7
	s_cbranch_execz .LBB261_687
; %bb.684:                              ;   in Loop: Header=BB261_12 Depth=1
	v_dual_lshrrev_b32 v6, 3, v7 :: v_dual_bitop2_b32 v2, 7, v4 bitop3:0x40
	s_mov_b32 s22, exec_lo
	v_cmpx_gt_u32_e32 8, v7
; %bb.685:                              ;   in Loop: Header=BB261_12 Depth=1
	s_delay_alu instid0(VALU_DEP_2) | instskip(NEXT) | instid1(VALU_DEP_1)
	v_clz_i32_u32_e32 v2, v2
	v_min_u32_e32 v2, 32, v2
	s_delay_alu instid0(VALU_DEP_1) | instskip(NEXT) | instid1(VALU_DEP_1)
	v_subrev_nc_u32_e32 v6, 28, v2
	v_lshlrev_b64_e32 v[14:15], v6, v[4:5]
	v_sub_nc_u32_e32 v6, 29, v2
	s_delay_alu instid0(VALU_DEP_2)
	v_and_b32_e32 v2, 7, v14
; %bb.686:                              ;   in Loop: Header=BB261_12 Depth=1
	s_or_b32 exec_lo, exec_lo, s22
	s_delay_alu instid0(VALU_DEP_1) | instskip(NEXT) | instid1(VALU_DEP_3)
	v_dual_lshlrev_b32 v4, 8, v4 :: v_dual_lshlrev_b32 v2, 23, v2
	v_lshl_add_u32 v6, v6, 10, 0x2000
	s_delay_alu instid0(VALU_DEP_1) | instskip(NEXT) | instid1(VALU_DEP_1)
	v_and_or_b32 v4, 0x8000, v4, v6
	v_lshl_or_b32 v89, v4, 16, v2
.LBB261_687:                            ;   in Loop: Header=BB261_12 Depth=1
	s_or_b32 exec_lo, exec_lo, s21
.LBB261_688:                            ;   in Loop: Header=BB261_12 Depth=1
	s_delay_alu instid0(SALU_CYCLE_1)
	s_or_b32 exec_lo, exec_lo, s20
.LBB261_689:                            ;   in Loop: Header=BB261_12 Depth=1
	s_delay_alu instid0(SALU_CYCLE_1)
	s_or_b32 exec_lo, exec_lo, s19
	flat_load_b32 v38, v[36:37] offset:2568
	v_dual_mov_b32 v2, 0 :: v_dual_mov_b32 v68, 0
	s_mov_b32 s19, exec_lo
	s_wait_loadcnt_dscnt 0x0
	v_and_b32_e32 v4, 0xff, v38
	s_wait_xcnt 0x0
	s_delay_alu instid0(VALU_DEP_1)
	v_cmpx_ne_u16_e32 0, v4
	s_cbranch_execz .LBB261_697
; %bb.690:                              ;   in Loop: Header=BB261_12 Depth=1
	v_mov_b32_e32 v68, 0x8000
	s_mov_b32 s20, exec_lo
	v_cmpx_ne_u16_e32 0x80, v4
	s_cbranch_execz .LBB261_696
; %bb.691:                              ;   in Loop: Header=BB261_12 Depth=1
	v_and_b32_e32 v7, 0x7f, v38
	v_mov_b32_e32 v68, 0x7c01
	s_mov_b32 s21, exec_lo
	s_delay_alu instid0(VALU_DEP_2)
	v_cmpx_ne_u32_e32 0x7f, v7
	s_cbranch_execz .LBB261_695
; %bb.692:                              ;   in Loop: Header=BB261_12 Depth=1
	v_dual_lshrrev_b32 v6, 3, v7 :: v_dual_bitop2_b32 v4, 7, v38 bitop3:0x40
	s_mov_b32 s22, exec_lo
	v_cmpx_gt_u32_e32 8, v7
; %bb.693:                              ;   in Loop: Header=BB261_12 Depth=1
	s_delay_alu instid0(VALU_DEP_2) | instskip(NEXT) | instid1(VALU_DEP_1)
	v_clz_i32_u32_e32 v4, v4
	v_min_u32_e32 v4, 32, v4
	s_delay_alu instid0(VALU_DEP_1) | instskip(NEXT) | instid1(VALU_DEP_1)
	v_subrev_nc_u32_e32 v6, 28, v4
	v_lshlrev_b64_e32 v[14:15], v6, v[38:39]
	s_delay_alu instid0(VALU_DEP_1)
	v_dual_sub_nc_u32 v6, 29, v4 :: v_dual_bitop2_b32 v4, 7, v14 bitop3:0x40
; %bb.694:                              ;   in Loop: Header=BB261_12 Depth=1
	s_or_b32 exec_lo, exec_lo, s22
	s_delay_alu instid0(VALU_DEP_1) | instskip(NEXT) | instid1(VALU_DEP_2)
	v_dual_lshlrev_b32 v7, 8, v38 :: v_dual_lshlrev_b32 v4, 7, v4
	v_lshl_add_u32 v6, v6, 10, 0x2000
	s_delay_alu instid0(VALU_DEP_2) | instskip(NEXT) | instid1(VALU_DEP_2)
	v_and_b32_e32 v7, 0x8000, v7
	v_and_b32_e32 v6, 0xfc00, v6
	s_delay_alu instid0(VALU_DEP_1)
	v_or3_b32 v68, v7, v6, v4
.LBB261_695:                            ;   in Loop: Header=BB261_12 Depth=1
	s_or_b32 exec_lo, exec_lo, s21
.LBB261_696:                            ;   in Loop: Header=BB261_12 Depth=1
	s_delay_alu instid0(SALU_CYCLE_1)
	s_or_b32 exec_lo, exec_lo, s20
.LBB261_697:                            ;   in Loop: Header=BB261_12 Depth=1
	s_delay_alu instid0(SALU_CYCLE_1) | instskip(SKIP_2) | instid1(VALU_DEP_1)
	s_or_b32 exec_lo, exec_lo, s19
	v_lshrrev_b16 v4, 8, v38
	s_mov_b32 s19, exec_lo
	v_cmpx_ne_u16_e32 0, v4
	s_cbranch_execz .LBB261_705
; %bb.698:                              ;   in Loop: Header=BB261_12 Depth=1
	v_bfrev_b32_e32 v2, 1
	s_mov_b32 s20, exec_lo
	v_cmpx_ne_u16_e32 0x80, v4
	s_cbranch_execz .LBB261_704
; %bb.699:                              ;   in Loop: Header=BB261_12 Depth=1
	v_and_b32_e32 v6, 0xffff, v4
	v_mov_b32_e32 v2, 0x7c010000
	s_mov_b32 s21, exec_lo
	s_delay_alu instid0(VALU_DEP_2) | instskip(NEXT) | instid1(VALU_DEP_1)
	v_and_b32_e32 v9, 0x7f, v6
	v_cmpx_ne_u32_e32 0x7f, v9
	s_cbranch_execz .LBB261_703
; %bb.700:                              ;   in Loop: Header=BB261_12 Depth=1
	v_dual_lshrrev_b32 v7, 3, v9 :: v_dual_bitop2_b32 v2, 7, v6 bitop3:0x40
	s_mov_b32 s22, exec_lo
	v_cmpx_gt_u32_e32 8, v9
; %bb.701:                              ;   in Loop: Header=BB261_12 Depth=1
	s_delay_alu instid0(VALU_DEP_2) | instskip(NEXT) | instid1(VALU_DEP_1)
	v_clz_i32_u32_e32 v2, v2
	v_min_u32_e32 v2, 32, v2
	s_delay_alu instid0(VALU_DEP_1) | instskip(NEXT) | instid1(VALU_DEP_1)
	v_subrev_nc_u32_e32 v7, 28, v2
	v_lshlrev_b64_e32 v[14:15], v7, v[4:5]
	v_sub_nc_u32_e32 v7, 29, v2
	s_delay_alu instid0(VALU_DEP_2)
	v_and_b32_e32 v2, 7, v14
; %bb.702:                              ;   in Loop: Header=BB261_12 Depth=1
	s_or_b32 exec_lo, exec_lo, s22
	v_lshlrev_b32_e32 v4, 8, v6
	s_delay_alu instid0(VALU_DEP_3) | instskip(NEXT) | instid1(VALU_DEP_3)
	v_lshl_add_u32 v6, v7, 10, 0x2000
	v_lshlrev_b32_e32 v2, 23, v2
	s_delay_alu instid0(VALU_DEP_2) | instskip(NEXT) | instid1(VALU_DEP_1)
	v_and_or_b32 v4, 0x8000, v4, v6
	v_lshl_or_b32 v2, v4, 16, v2
.LBB261_703:                            ;   in Loop: Header=BB261_12 Depth=1
	s_or_b32 exec_lo, exec_lo, s21
.LBB261_704:                            ;   in Loop: Header=BB261_12 Depth=1
	s_delay_alu instid0(SALU_CYCLE_1)
	s_or_b32 exec_lo, exec_lo, s20
.LBB261_705:                            ;   in Loop: Header=BB261_12 Depth=1
	s_delay_alu instid0(SALU_CYCLE_1) | instskip(SKIP_3) | instid1(VALU_DEP_2)
	s_or_b32 exec_lo, exec_lo, s19
	v_dual_lshrrev_b32 v4, 16, v38 :: v_dual_mov_b32 v86, 0
	v_mov_b32_e32 v71, 0
	s_mov_b32 s19, exec_lo
	v_and_b32_e32 v6, 0xff, v4
	s_delay_alu instid0(VALU_DEP_1)
	v_cmpx_ne_u16_e32 0, v6
	s_cbranch_execz .LBB261_713
; %bb.706:                              ;   in Loop: Header=BB261_12 Depth=1
	v_mov_b32_e32 v71, 0x8000
	s_mov_b32 s20, exec_lo
	v_cmpx_ne_u16_e32 0x80, v6
	s_cbranch_execz .LBB261_712
; %bb.707:                              ;   in Loop: Header=BB261_12 Depth=1
	v_bfe_u32 v9, v38, 16, 7
	v_mov_b32_e32 v71, 0x7c01
	s_mov_b32 s21, exec_lo
	s_delay_alu instid0(VALU_DEP_2)
	v_cmpx_ne_u32_e32 0x7f, v9
	s_cbranch_execz .LBB261_711
; %bb.708:                              ;   in Loop: Header=BB261_12 Depth=1
	v_dual_lshrrev_b32 v7, 3, v9 :: v_dual_bitop2_b32 v6, 7, v4 bitop3:0x40
	s_mov_b32 s22, exec_lo
	v_cmpx_gt_u32_e32 8, v9
; %bb.709:                              ;   in Loop: Header=BB261_12 Depth=1
	s_delay_alu instid0(VALU_DEP_2) | instskip(NEXT) | instid1(VALU_DEP_1)
	v_clz_i32_u32_e32 v6, v6
	v_min_u32_e32 v9, 32, v6
	s_delay_alu instid0(VALU_DEP_1) | instskip(NEXT) | instid1(VALU_DEP_1)
	v_subrev_nc_u32_e32 v6, 28, v9
	v_lshlrev_b64_e32 v[6:7], v6, v[4:5]
	s_delay_alu instid0(VALU_DEP_1)
	v_dual_sub_nc_u32 v7, 29, v9 :: v_dual_bitop2_b32 v6, 7, v6 bitop3:0x40
; %bb.710:                              ;   in Loop: Header=BB261_12 Depth=1
	s_or_b32 exec_lo, exec_lo, s22
	s_delay_alu instid0(VALU_DEP_1) | instskip(NEXT) | instid1(VALU_DEP_2)
	v_dual_lshlrev_b32 v4, 8, v4 :: v_dual_lshlrev_b32 v6, 7, v6
	v_lshl_add_u32 v7, v7, 10, 0x2000
	s_delay_alu instid0(VALU_DEP_2) | instskip(NEXT) | instid1(VALU_DEP_2)
	v_and_b32_e32 v4, 0x8000, v4
	v_and_b32_e32 v7, 0xfc00, v7
	s_delay_alu instid0(VALU_DEP_1)
	v_or3_b32 v71, v4, v7, v6
.LBB261_711:                            ;   in Loop: Header=BB261_12 Depth=1
	s_or_b32 exec_lo, exec_lo, s21
.LBB261_712:                            ;   in Loop: Header=BB261_12 Depth=1
	s_delay_alu instid0(SALU_CYCLE_1)
	s_or_b32 exec_lo, exec_lo, s20
.LBB261_713:                            ;   in Loop: Header=BB261_12 Depth=1
	s_delay_alu instid0(SALU_CYCLE_1) | instskip(NEXT) | instid1(SALU_CYCLE_1)
	s_or_b32 exec_lo, exec_lo, s19
	s_mov_b32 s19, exec_lo
	v_cmpx_lt_u32_e32 0xffffff, v38
	s_cbranch_execz .LBB261_721
; %bb.714:                              ;   in Loop: Header=BB261_12 Depth=1
	v_lshrrev_b32_e32 v4, 24, v38
	v_bfrev_b32_e32 v86, 1
	s_mov_b32 s20, exec_lo
	s_delay_alu instid0(VALU_DEP_2)
	v_cmpx_ne_u32_e32 0x80, v4
	s_cbranch_execz .LBB261_720
; %bb.715:                              ;   in Loop: Header=BB261_12 Depth=1
	v_and_b32_e32 v9, 0x7f, v4
	v_mov_b32_e32 v86, 0x7c010000
	s_mov_b32 s21, exec_lo
	s_delay_alu instid0(VALU_DEP_2)
	v_cmpx_ne_u32_e32 0x7f, v9
	s_cbranch_execz .LBB261_719
; %bb.716:                              ;   in Loop: Header=BB261_12 Depth=1
	v_dual_lshrrev_b32 v7, 3, v9 :: v_dual_bitop2_b32 v6, 7, v4 bitop3:0x40
	s_mov_b32 s22, exec_lo
	v_cmpx_gt_u32_e32 8, v9
; %bb.717:                              ;   in Loop: Header=BB261_12 Depth=1
	s_delay_alu instid0(VALU_DEP_2) | instskip(NEXT) | instid1(VALU_DEP_1)
	v_clz_i32_u32_e32 v6, v6
	v_min_u32_e32 v9, 32, v6
	s_delay_alu instid0(VALU_DEP_1) | instskip(NEXT) | instid1(VALU_DEP_1)
	v_subrev_nc_u32_e32 v6, 28, v9
	v_lshlrev_b64_e32 v[6:7], v6, v[4:5]
	s_delay_alu instid0(VALU_DEP_1)
	v_dual_sub_nc_u32 v7, 29, v9 :: v_dual_bitop2_b32 v6, 7, v6 bitop3:0x40
; %bb.718:                              ;   in Loop: Header=BB261_12 Depth=1
	s_or_b32 exec_lo, exec_lo, s22
	s_delay_alu instid0(VALU_DEP_1) | instskip(NEXT) | instid1(VALU_DEP_2)
	v_dual_lshlrev_b32 v4, 8, v4 :: v_dual_lshlrev_b32 v6, 23, v6
	v_lshl_add_u32 v7, v7, 10, 0x2000
	s_delay_alu instid0(VALU_DEP_1) | instskip(NEXT) | instid1(VALU_DEP_1)
	v_and_or_b32 v4, 0x8000, v4, v7
	v_lshl_or_b32 v86, v4, 16, v6
.LBB261_719:                            ;   in Loop: Header=BB261_12 Depth=1
	s_or_b32 exec_lo, exec_lo, s21
.LBB261_720:                            ;   in Loop: Header=BB261_12 Depth=1
	s_delay_alu instid0(SALU_CYCLE_1)
	s_or_b32 exec_lo, exec_lo, s20
.LBB261_721:                            ;   in Loop: Header=BB261_12 Depth=1
	s_delay_alu instid0(SALU_CYCLE_1)
	s_or_b32 exec_lo, exec_lo, s19
	flat_load_b32 v38, v[36:37] offset:2816
	v_dual_mov_b32 v18, 0 :: v_dual_mov_b32 v20, 0
	s_mov_b32 s19, exec_lo
	s_wait_loadcnt_dscnt 0x0
	v_and_b32_e32 v4, 0xff, v38
	s_wait_xcnt 0x0
	s_delay_alu instid0(VALU_DEP_1)
	v_cmpx_ne_u16_e32 0, v4
	s_cbranch_execz .LBB261_729
; %bb.722:                              ;   in Loop: Header=BB261_12 Depth=1
	v_mov_b32_e32 v20, 0x8000
	s_mov_b32 s20, exec_lo
	v_cmpx_ne_u16_e32 0x80, v4
	s_cbranch_execz .LBB261_728
; %bb.723:                              ;   in Loop: Header=BB261_12 Depth=1
	v_and_b32_e32 v7, 0x7f, v38
	v_mov_b32_e32 v20, 0x7c01
	s_mov_b32 s21, exec_lo
	s_delay_alu instid0(VALU_DEP_2)
	v_cmpx_ne_u32_e32 0x7f, v7
	s_cbranch_execz .LBB261_727
; %bb.724:                              ;   in Loop: Header=BB261_12 Depth=1
	v_dual_lshrrev_b32 v6, 3, v7 :: v_dual_bitop2_b32 v4, 7, v38 bitop3:0x40
	s_mov_b32 s22, exec_lo
	v_cmpx_gt_u32_e32 8, v7
; %bb.725:                              ;   in Loop: Header=BB261_12 Depth=1
	s_delay_alu instid0(VALU_DEP_2) | instskip(NEXT) | instid1(VALU_DEP_1)
	v_clz_i32_u32_e32 v4, v4
	v_min_u32_e32 v4, 32, v4
	s_delay_alu instid0(VALU_DEP_1) | instskip(NEXT) | instid1(VALU_DEP_1)
	v_subrev_nc_u32_e32 v6, 28, v4
	v_lshlrev_b64_e32 v[14:15], v6, v[38:39]
	s_delay_alu instid0(VALU_DEP_1)
	v_dual_sub_nc_u32 v6, 29, v4 :: v_dual_bitop2_b32 v4, 7, v14 bitop3:0x40
; %bb.726:                              ;   in Loop: Header=BB261_12 Depth=1
	s_or_b32 exec_lo, exec_lo, s22
	s_delay_alu instid0(VALU_DEP_1) | instskip(NEXT) | instid1(VALU_DEP_2)
	v_dual_lshlrev_b32 v7, 8, v38 :: v_dual_lshlrev_b32 v4, 7, v4
	v_lshl_add_u32 v6, v6, 10, 0x2000
	s_delay_alu instid0(VALU_DEP_2) | instskip(NEXT) | instid1(VALU_DEP_2)
	v_and_b32_e32 v7, 0x8000, v7
	v_and_b32_e32 v6, 0xfc00, v6
	s_delay_alu instid0(VALU_DEP_1)
	v_or3_b32 v20, v7, v6, v4
.LBB261_727:                            ;   in Loop: Header=BB261_12 Depth=1
	s_or_b32 exec_lo, exec_lo, s21
.LBB261_728:                            ;   in Loop: Header=BB261_12 Depth=1
	s_delay_alu instid0(SALU_CYCLE_1)
	s_or_b32 exec_lo, exec_lo, s20
.LBB261_729:                            ;   in Loop: Header=BB261_12 Depth=1
	s_delay_alu instid0(SALU_CYCLE_1) | instskip(SKIP_2) | instid1(VALU_DEP_1)
	s_or_b32 exec_lo, exec_lo, s19
	v_lshrrev_b16 v4, 8, v38
	s_mov_b32 s19, exec_lo
	v_cmpx_ne_u16_e32 0, v4
	s_cbranch_execz .LBB261_737
; %bb.730:                              ;   in Loop: Header=BB261_12 Depth=1
	v_bfrev_b32_e32 v18, 1
	s_mov_b32 s20, exec_lo
	v_cmpx_ne_u16_e32 0x80, v4
	s_cbranch_execz .LBB261_736
; %bb.731:                              ;   in Loop: Header=BB261_12 Depth=1
	v_and_b32_e32 v6, 0xffff, v4
	v_mov_b32_e32 v18, 0x7c010000
	s_mov_b32 s21, exec_lo
	s_delay_alu instid0(VALU_DEP_2) | instskip(NEXT) | instid1(VALU_DEP_1)
	v_and_b32_e32 v10, 0x7f, v6
	v_cmpx_ne_u32_e32 0x7f, v10
	s_cbranch_execz .LBB261_735
; %bb.732:                              ;   in Loop: Header=BB261_12 Depth=1
	v_and_b32_e32 v7, 7, v6
	v_lshrrev_b32_e32 v9, 3, v10
	s_mov_b32 s22, exec_lo
	v_cmpx_gt_u32_e32 8, v10
; %bb.733:                              ;   in Loop: Header=BB261_12 Depth=1
	s_delay_alu instid0(VALU_DEP_3) | instskip(NEXT) | instid1(VALU_DEP_1)
	v_clz_i32_u32_e32 v7, v7
	v_min_u32_e32 v7, 32, v7
	s_delay_alu instid0(VALU_DEP_1) | instskip(NEXT) | instid1(VALU_DEP_1)
	v_subrev_nc_u32_e32 v9, 28, v7
	v_lshlrev_b64_e32 v[14:15], v9, v[4:5]
	s_delay_alu instid0(VALU_DEP_1)
	v_dual_sub_nc_u32 v9, 29, v7 :: v_dual_bitop2_b32 v7, 7, v14 bitop3:0x40
; %bb.734:                              ;   in Loop: Header=BB261_12 Depth=1
	s_or_b32 exec_lo, exec_lo, s22
	v_lshlrev_b32_e32 v4, 8, v6
	s_delay_alu instid0(VALU_DEP_2) | instskip(NEXT) | instid1(VALU_DEP_1)
	v_lshl_add_u32 v6, v9, 10, 0x2000
	v_and_or_b32 v4, 0x8000, v4, v6
	v_lshlrev_b32_e32 v6, 23, v7
	s_delay_alu instid0(VALU_DEP_1)
	v_lshl_or_b32 v18, v4, 16, v6
.LBB261_735:                            ;   in Loop: Header=BB261_12 Depth=1
	s_or_b32 exec_lo, exec_lo, s21
.LBB261_736:                            ;   in Loop: Header=BB261_12 Depth=1
	s_delay_alu instid0(SALU_CYCLE_1)
	s_or_b32 exec_lo, exec_lo, s20
.LBB261_737:                            ;   in Loop: Header=BB261_12 Depth=1
	s_delay_alu instid0(SALU_CYCLE_1) | instskip(SKIP_3) | instid1(VALU_DEP_2)
	s_or_b32 exec_lo, exec_lo, s19
	v_dual_mov_b32 v69, 0 :: v_dual_lshrrev_b32 v4, 16, v38
	v_mov_b32_e32 v21, 0
	s_mov_b32 s19, exec_lo
	v_and_b32_e32 v6, 0xff, v4
	s_delay_alu instid0(VALU_DEP_1)
	v_cmpx_ne_u16_e32 0, v6
	s_cbranch_execz .LBB261_745
; %bb.738:                              ;   in Loop: Header=BB261_12 Depth=1
	v_mov_b32_e32 v21, 0x8000
	s_mov_b32 s20, exec_lo
	v_cmpx_ne_u16_e32 0x80, v6
	s_cbranch_execz .LBB261_744
; %bb.739:                              ;   in Loop: Header=BB261_12 Depth=1
	v_bfe_u32 v9, v38, 16, 7
	v_mov_b32_e32 v21, 0x7c01
	s_mov_b32 s21, exec_lo
	s_delay_alu instid0(VALU_DEP_2)
	v_cmpx_ne_u32_e32 0x7f, v9
	s_cbranch_execz .LBB261_743
; %bb.740:                              ;   in Loop: Header=BB261_12 Depth=1
	v_dual_lshrrev_b32 v7, 3, v9 :: v_dual_bitop2_b32 v6, 7, v4 bitop3:0x40
	s_mov_b32 s22, exec_lo
	v_cmpx_gt_u32_e32 8, v9
; %bb.741:                              ;   in Loop: Header=BB261_12 Depth=1
	s_delay_alu instid0(VALU_DEP_2) | instskip(NEXT) | instid1(VALU_DEP_1)
	v_clz_i32_u32_e32 v6, v6
	v_min_u32_e32 v9, 32, v6
	s_delay_alu instid0(VALU_DEP_1) | instskip(NEXT) | instid1(VALU_DEP_1)
	v_subrev_nc_u32_e32 v6, 28, v9
	v_lshlrev_b64_e32 v[6:7], v6, v[4:5]
	s_delay_alu instid0(VALU_DEP_1)
	v_dual_sub_nc_u32 v7, 29, v9 :: v_dual_bitop2_b32 v6, 7, v6 bitop3:0x40
; %bb.742:                              ;   in Loop: Header=BB261_12 Depth=1
	s_or_b32 exec_lo, exec_lo, s22
	s_delay_alu instid0(VALU_DEP_1) | instskip(NEXT) | instid1(VALU_DEP_2)
	v_dual_lshlrev_b32 v4, 8, v4 :: v_dual_lshlrev_b32 v6, 7, v6
	v_lshl_add_u32 v7, v7, 10, 0x2000
	s_delay_alu instid0(VALU_DEP_2) | instskip(NEXT) | instid1(VALU_DEP_2)
	v_and_b32_e32 v4, 0x8000, v4
	v_and_b32_e32 v7, 0xfc00, v7
	s_delay_alu instid0(VALU_DEP_1)
	v_or3_b32 v21, v4, v7, v6
.LBB261_743:                            ;   in Loop: Header=BB261_12 Depth=1
	s_or_b32 exec_lo, exec_lo, s21
.LBB261_744:                            ;   in Loop: Header=BB261_12 Depth=1
	s_delay_alu instid0(SALU_CYCLE_1)
	s_or_b32 exec_lo, exec_lo, s20
.LBB261_745:                            ;   in Loop: Header=BB261_12 Depth=1
	s_delay_alu instid0(SALU_CYCLE_1) | instskip(NEXT) | instid1(SALU_CYCLE_1)
	s_or_b32 exec_lo, exec_lo, s19
	s_mov_b32 s19, exec_lo
	v_cmpx_lt_u32_e32 0xffffff, v38
	s_cbranch_execz .LBB261_753
; %bb.746:                              ;   in Loop: Header=BB261_12 Depth=1
	v_lshrrev_b32_e32 v4, 24, v38
	v_bfrev_b32_e32 v69, 1
	s_mov_b32 s20, exec_lo
	s_delay_alu instid0(VALU_DEP_2)
	v_cmpx_ne_u32_e32 0x80, v4
	s_cbranch_execz .LBB261_752
; %bb.747:                              ;   in Loop: Header=BB261_12 Depth=1
	v_and_b32_e32 v9, 0x7f, v4
	v_mov_b32_e32 v69, 0x7c010000
	s_mov_b32 s21, exec_lo
	s_delay_alu instid0(VALU_DEP_2)
	v_cmpx_ne_u32_e32 0x7f, v9
	s_cbranch_execz .LBB261_751
; %bb.748:                              ;   in Loop: Header=BB261_12 Depth=1
	v_dual_lshrrev_b32 v7, 3, v9 :: v_dual_bitop2_b32 v6, 7, v4 bitop3:0x40
	s_mov_b32 s22, exec_lo
	v_cmpx_gt_u32_e32 8, v9
; %bb.749:                              ;   in Loop: Header=BB261_12 Depth=1
	s_delay_alu instid0(VALU_DEP_2) | instskip(NEXT) | instid1(VALU_DEP_1)
	v_clz_i32_u32_e32 v6, v6
	v_min_u32_e32 v9, 32, v6
	s_delay_alu instid0(VALU_DEP_1) | instskip(NEXT) | instid1(VALU_DEP_1)
	v_subrev_nc_u32_e32 v6, 28, v9
	v_lshlrev_b64_e32 v[6:7], v6, v[4:5]
	s_delay_alu instid0(VALU_DEP_1)
	v_dual_sub_nc_u32 v7, 29, v9 :: v_dual_bitop2_b32 v6, 7, v6 bitop3:0x40
; %bb.750:                              ;   in Loop: Header=BB261_12 Depth=1
	s_or_b32 exec_lo, exec_lo, s22
	s_delay_alu instid0(VALU_DEP_1) | instskip(NEXT) | instid1(VALU_DEP_2)
	v_dual_lshlrev_b32 v4, 8, v4 :: v_dual_lshlrev_b32 v6, 23, v6
	v_lshl_add_u32 v7, v7, 10, 0x2000
	s_delay_alu instid0(VALU_DEP_1) | instskip(NEXT) | instid1(VALU_DEP_1)
	v_and_or_b32 v4, 0x8000, v4, v7
	v_lshl_or_b32 v69, v4, 16, v6
.LBB261_751:                            ;   in Loop: Header=BB261_12 Depth=1
	s_or_b32 exec_lo, exec_lo, s21
.LBB261_752:                            ;   in Loop: Header=BB261_12 Depth=1
	s_delay_alu instid0(SALU_CYCLE_1)
	s_or_b32 exec_lo, exec_lo, s20
.LBB261_753:                            ;   in Loop: Header=BB261_12 Depth=1
	s_delay_alu instid0(SALU_CYCLE_1)
	s_or_b32 exec_lo, exec_lo, s19
	flat_load_b32 v38, v[36:37] offset:2824
	v_dual_mov_b32 v7, 0 :: v_dual_mov_b32 v9, 0
	s_mov_b32 s19, exec_lo
	s_wait_loadcnt_dscnt 0x0
	v_and_b32_e32 v4, 0xff, v38
	s_wait_xcnt 0x0
	s_delay_alu instid0(VALU_DEP_1)
	v_cmpx_ne_u16_e32 0, v4
	s_cbranch_execz .LBB261_761
; %bb.754:                              ;   in Loop: Header=BB261_12 Depth=1
	v_mov_b32_e32 v9, 0x8000
	s_mov_b32 s20, exec_lo
	v_cmpx_ne_u16_e32 0x80, v4
	s_cbranch_execz .LBB261_760
; %bb.755:                              ;   in Loop: Header=BB261_12 Depth=1
	v_and_b32_e32 v10, 0x7f, v38
	v_mov_b32_e32 v9, 0x7c01
	s_mov_b32 s21, exec_lo
	s_delay_alu instid0(VALU_DEP_2)
	v_cmpx_ne_u32_e32 0x7f, v10
	s_cbranch_execz .LBB261_759
; %bb.756:                              ;   in Loop: Header=BB261_12 Depth=1
	v_and_b32_e32 v4, 7, v38
	v_lshrrev_b32_e32 v6, 3, v10
	s_mov_b32 s22, exec_lo
	v_cmpx_gt_u32_e32 8, v10
; %bb.757:                              ;   in Loop: Header=BB261_12 Depth=1
	s_delay_alu instid0(VALU_DEP_3) | instskip(NEXT) | instid1(VALU_DEP_1)
	v_clz_i32_u32_e32 v4, v4
	v_min_u32_e32 v4, 32, v4
	s_delay_alu instid0(VALU_DEP_1) | instskip(NEXT) | instid1(VALU_DEP_1)
	v_subrev_nc_u32_e32 v6, 28, v4
	v_lshlrev_b64_e32 v[14:15], v6, v[38:39]
	s_delay_alu instid0(VALU_DEP_1)
	v_dual_sub_nc_u32 v6, 29, v4 :: v_dual_bitop2_b32 v4, 7, v14 bitop3:0x40
; %bb.758:                              ;   in Loop: Header=BB261_12 Depth=1
	s_or_b32 exec_lo, exec_lo, s22
	s_delay_alu instid0(VALU_DEP_1) | instskip(NEXT) | instid1(VALU_DEP_2)
	v_dual_lshlrev_b32 v9, 8, v38 :: v_dual_lshlrev_b32 v4, 7, v4
	v_lshl_add_u32 v6, v6, 10, 0x2000
	s_delay_alu instid0(VALU_DEP_2) | instskip(NEXT) | instid1(VALU_DEP_2)
	v_and_b32_e32 v9, 0x8000, v9
	v_and_b32_e32 v6, 0xfc00, v6
	s_delay_alu instid0(VALU_DEP_1)
	v_or3_b32 v9, v9, v6, v4
.LBB261_759:                            ;   in Loop: Header=BB261_12 Depth=1
	s_or_b32 exec_lo, exec_lo, s21
.LBB261_760:                            ;   in Loop: Header=BB261_12 Depth=1
	s_delay_alu instid0(SALU_CYCLE_1)
	s_or_b32 exec_lo, exec_lo, s20
.LBB261_761:                            ;   in Loop: Header=BB261_12 Depth=1
	s_delay_alu instid0(SALU_CYCLE_1) | instskip(SKIP_2) | instid1(VALU_DEP_1)
	s_or_b32 exec_lo, exec_lo, s19
	v_lshrrev_b16 v4, 8, v38
	s_mov_b32 s19, exec_lo
	v_cmpx_ne_u16_e32 0, v4
	s_cbranch_execz .LBB261_769
; %bb.762:                              ;   in Loop: Header=BB261_12 Depth=1
	v_bfrev_b32_e32 v7, 1
	s_mov_b32 s20, exec_lo
	v_cmpx_ne_u16_e32 0x80, v4
	s_cbranch_execz .LBB261_768
; %bb.763:                              ;   in Loop: Header=BB261_12 Depth=1
	v_and_b32_e32 v6, 0xffff, v4
	v_mov_b32_e32 v7, 0x7c010000
	s_mov_b32 s21, exec_lo
	s_delay_alu instid0(VALU_DEP_2) | instskip(NEXT) | instid1(VALU_DEP_1)
	v_and_b32_e32 v13, 0x7f, v6
	v_cmpx_ne_u32_e32 0x7f, v13
	s_cbranch_execz .LBB261_767
; %bb.764:                              ;   in Loop: Header=BB261_12 Depth=1
	v_dual_lshrrev_b32 v10, 3, v13 :: v_dual_bitop2_b32 v7, 7, v6 bitop3:0x40
	s_mov_b32 s22, exec_lo
	v_cmpx_gt_u32_e32 8, v13
; %bb.765:                              ;   in Loop: Header=BB261_12 Depth=1
	s_delay_alu instid0(VALU_DEP_2) | instskip(NEXT) | instid1(VALU_DEP_1)
	v_clz_i32_u32_e32 v7, v7
	v_min_u32_e32 v7, 32, v7
	s_delay_alu instid0(VALU_DEP_1) | instskip(NEXT) | instid1(VALU_DEP_1)
	v_subrev_nc_u32_e32 v10, 28, v7
	v_lshlrev_b64_e32 v[14:15], v10, v[4:5]
	s_delay_alu instid0(VALU_DEP_1)
	v_dual_sub_nc_u32 v10, 29, v7 :: v_dual_bitop2_b32 v7, 7, v14 bitop3:0x40
; %bb.766:                              ;   in Loop: Header=BB261_12 Depth=1
	s_or_b32 exec_lo, exec_lo, s22
	v_lshlrev_b32_e32 v4, 8, v6
	s_delay_alu instid0(VALU_DEP_2) | instskip(NEXT) | instid1(VALU_DEP_1)
	v_lshl_add_u32 v6, v10, 10, 0x2000
	v_and_or_b32 v4, 0x8000, v4, v6
	v_lshlrev_b32_e32 v6, 23, v7
	s_delay_alu instid0(VALU_DEP_1)
	v_lshl_or_b32 v7, v4, 16, v6
.LBB261_767:                            ;   in Loop: Header=BB261_12 Depth=1
	s_or_b32 exec_lo, exec_lo, s21
.LBB261_768:                            ;   in Loop: Header=BB261_12 Depth=1
	s_delay_alu instid0(SALU_CYCLE_1)
	s_or_b32 exec_lo, exec_lo, s20
.LBB261_769:                            ;   in Loop: Header=BB261_12 Depth=1
	s_delay_alu instid0(SALU_CYCLE_1) | instskip(SKIP_3) | instid1(VALU_DEP_2)
	s_or_b32 exec_lo, exec_lo, s19
	v_dual_lshrrev_b32 v4, 16, v38 :: v_dual_mov_b32 v48, 0
	v_mov_b32_e32 v96, 0
	s_mov_b32 s19, exec_lo
	v_and_b32_e32 v6, 0xff, v4
	s_delay_alu instid0(VALU_DEP_1)
	v_cmpx_ne_u16_e32 0, v6
	s_cbranch_execz .LBB261_777
; %bb.770:                              ;   in Loop: Header=BB261_12 Depth=1
	v_mov_b32_e32 v96, 0x8000
	s_mov_b32 s20, exec_lo
	v_cmpx_ne_u16_e32 0x80, v6
	s_cbranch_execz .LBB261_776
; %bb.771:                              ;   in Loop: Header=BB261_12 Depth=1
	v_bfe_u32 v13, v38, 16, 7
	v_mov_b32_e32 v96, 0x7c01
	s_mov_b32 s21, exec_lo
	s_delay_alu instid0(VALU_DEP_2)
	v_cmpx_ne_u32_e32 0x7f, v13
	s_cbranch_execz .LBB261_775
; %bb.772:                              ;   in Loop: Header=BB261_12 Depth=1
	v_dual_lshrrev_b32 v10, 3, v13 :: v_dual_bitop2_b32 v6, 7, v4 bitop3:0x40
	s_mov_b32 s22, exec_lo
	v_cmpx_gt_u32_e32 8, v13
; %bb.773:                              ;   in Loop: Header=BB261_12 Depth=1
	s_delay_alu instid0(VALU_DEP_2) | instskip(NEXT) | instid1(VALU_DEP_1)
	v_clz_i32_u32_e32 v6, v6
	v_min_u32_e32 v6, 32, v6
	s_delay_alu instid0(VALU_DEP_1) | instskip(NEXT) | instid1(VALU_DEP_1)
	v_subrev_nc_u32_e32 v10, 28, v6
	v_lshlrev_b64_e32 v[14:15], v10, v[4:5]
	v_sub_nc_u32_e32 v10, 29, v6
	s_delay_alu instid0(VALU_DEP_2)
	v_and_b32_e32 v6, 7, v14
; %bb.774:                              ;   in Loop: Header=BB261_12 Depth=1
	s_or_b32 exec_lo, exec_lo, s22
	s_delay_alu instid0(VALU_DEP_1) | instskip(NEXT) | instid1(VALU_DEP_3)
	v_dual_lshlrev_b32 v4, 8, v4 :: v_dual_lshlrev_b32 v6, 7, v6
	v_lshl_add_u32 v10, v10, 10, 0x2000
	s_delay_alu instid0(VALU_DEP_2) | instskip(NEXT) | instid1(VALU_DEP_2)
	v_and_b32_e32 v4, 0x8000, v4
	v_and_b32_e32 v10, 0xfc00, v10
	s_delay_alu instid0(VALU_DEP_1)
	v_or3_b32 v96, v4, v10, v6
.LBB261_775:                            ;   in Loop: Header=BB261_12 Depth=1
	s_or_b32 exec_lo, exec_lo, s21
.LBB261_776:                            ;   in Loop: Header=BB261_12 Depth=1
	s_delay_alu instid0(SALU_CYCLE_1)
	s_or_b32 exec_lo, exec_lo, s20
.LBB261_777:                            ;   in Loop: Header=BB261_12 Depth=1
	s_delay_alu instid0(SALU_CYCLE_1) | instskip(NEXT) | instid1(SALU_CYCLE_1)
	s_or_b32 exec_lo, exec_lo, s19
	s_mov_b32 s19, exec_lo
	v_cmpx_lt_u32_e32 0xffffff, v38
	s_cbranch_execz .LBB261_785
; %bb.778:                              ;   in Loop: Header=BB261_12 Depth=1
	v_lshrrev_b32_e32 v4, 24, v38
	v_bfrev_b32_e32 v48, 1
	s_mov_b32 s20, exec_lo
	s_delay_alu instid0(VALU_DEP_2)
	v_cmpx_ne_u32_e32 0x80, v4
	s_cbranch_execz .LBB261_784
; %bb.779:                              ;   in Loop: Header=BB261_12 Depth=1
	v_and_b32_e32 v13, 0x7f, v4
	v_mov_b32_e32 v48, 0x7c010000
	s_mov_b32 s21, exec_lo
	s_delay_alu instid0(VALU_DEP_2)
	v_cmpx_ne_u32_e32 0x7f, v13
	s_cbranch_execz .LBB261_783
; %bb.780:                              ;   in Loop: Header=BB261_12 Depth=1
	v_dual_lshrrev_b32 v10, 3, v13 :: v_dual_bitop2_b32 v6, 7, v4 bitop3:0x40
	s_mov_b32 s22, exec_lo
	v_cmpx_gt_u32_e32 8, v13
; %bb.781:                              ;   in Loop: Header=BB261_12 Depth=1
	s_delay_alu instid0(VALU_DEP_2) | instskip(NEXT) | instid1(VALU_DEP_1)
	v_clz_i32_u32_e32 v6, v6
	v_min_u32_e32 v6, 32, v6
	s_delay_alu instid0(VALU_DEP_1) | instskip(NEXT) | instid1(VALU_DEP_1)
	v_subrev_nc_u32_e32 v10, 28, v6
	v_lshlrev_b64_e32 v[14:15], v10, v[4:5]
	v_sub_nc_u32_e32 v10, 29, v6
	s_delay_alu instid0(VALU_DEP_2)
	v_and_b32_e32 v6, 7, v14
; %bb.782:                              ;   in Loop: Header=BB261_12 Depth=1
	s_or_b32 exec_lo, exec_lo, s22
	s_delay_alu instid0(VALU_DEP_1) | instskip(NEXT) | instid1(VALU_DEP_3)
	v_dual_lshlrev_b32 v4, 8, v4 :: v_dual_lshlrev_b32 v6, 23, v6
	v_lshl_add_u32 v10, v10, 10, 0x2000
	s_delay_alu instid0(VALU_DEP_1) | instskip(NEXT) | instid1(VALU_DEP_1)
	v_and_or_b32 v4, 0x8000, v4, v10
	v_lshl_or_b32 v48, v4, 16, v6
.LBB261_783:                            ;   in Loop: Header=BB261_12 Depth=1
	s_or_b32 exec_lo, exec_lo, s21
.LBB261_784:                            ;   in Loop: Header=BB261_12 Depth=1
	s_delay_alu instid0(SALU_CYCLE_1)
	s_or_b32 exec_lo, exec_lo, s20
.LBB261_785:                            ;   in Loop: Header=BB261_12 Depth=1
	s_delay_alu instid0(SALU_CYCLE_1)
	s_or_b32 exec_lo, exec_lo, s19
	flat_load_b32 v38, v[36:37] offset:3072
	v_dual_mov_b32 v6, 0 :: v_dual_mov_b32 v10, 0
	s_mov_b32 s19, exec_lo
	s_wait_loadcnt_dscnt 0x0
	v_and_b32_e32 v4, 0xff, v38
	s_wait_xcnt 0x0
	s_delay_alu instid0(VALU_DEP_1)
	v_cmpx_ne_u16_e32 0, v4
	s_cbranch_execz .LBB261_793
; %bb.786:                              ;   in Loop: Header=BB261_12 Depth=1
	v_mov_b32_e32 v10, 0x8000
	s_mov_b32 s20, exec_lo
	v_cmpx_ne_u16_e32 0x80, v4
	s_cbranch_execz .LBB261_792
; %bb.787:                              ;   in Loop: Header=BB261_12 Depth=1
	v_and_b32_e32 v13, 0x7f, v38
	v_mov_b32_e32 v10, 0x7c01
	s_mov_b32 s21, exec_lo
	s_delay_alu instid0(VALU_DEP_2)
	v_cmpx_ne_u32_e32 0x7f, v13
	s_cbranch_execz .LBB261_791
; %bb.788:                              ;   in Loop: Header=BB261_12 Depth=1
	v_dual_lshrrev_b32 v10, 3, v13 :: v_dual_bitop2_b32 v4, 7, v38 bitop3:0x40
	s_mov_b32 s22, exec_lo
	v_cmpx_gt_u32_e32 8, v13
; %bb.789:                              ;   in Loop: Header=BB261_12 Depth=1
	s_delay_alu instid0(VALU_DEP_2) | instskip(NEXT) | instid1(VALU_DEP_1)
	v_clz_i32_u32_e32 v4, v4
	v_min_u32_e32 v4, 32, v4
	s_delay_alu instid0(VALU_DEP_1) | instskip(NEXT) | instid1(VALU_DEP_1)
	v_subrev_nc_u32_e32 v10, 28, v4
	v_lshlrev_b64_e32 v[14:15], v10, v[38:39]
	s_delay_alu instid0(VALU_DEP_1)
	v_dual_sub_nc_u32 v10, 29, v4 :: v_dual_bitop2_b32 v4, 7, v14 bitop3:0x40
; %bb.790:                              ;   in Loop: Header=BB261_12 Depth=1
	s_or_b32 exec_lo, exec_lo, s22
	s_delay_alu instid0(VALU_DEP_1) | instskip(NEXT) | instid1(VALU_DEP_2)
	v_dual_lshlrev_b32 v13, 8, v38 :: v_dual_lshlrev_b32 v4, 7, v4
	v_lshl_add_u32 v10, v10, 10, 0x2000
	s_delay_alu instid0(VALU_DEP_2) | instskip(NEXT) | instid1(VALU_DEP_2)
	v_and_b32_e32 v13, 0x8000, v13
	v_and_b32_e32 v10, 0xfc00, v10
	s_delay_alu instid0(VALU_DEP_1)
	v_or3_b32 v10, v13, v10, v4
.LBB261_791:                            ;   in Loop: Header=BB261_12 Depth=1
	s_or_b32 exec_lo, exec_lo, s21
.LBB261_792:                            ;   in Loop: Header=BB261_12 Depth=1
	s_delay_alu instid0(SALU_CYCLE_1)
	s_or_b32 exec_lo, exec_lo, s20
.LBB261_793:                            ;   in Loop: Header=BB261_12 Depth=1
	s_delay_alu instid0(SALU_CYCLE_1) | instskip(SKIP_2) | instid1(VALU_DEP_1)
	s_or_b32 exec_lo, exec_lo, s19
	v_lshrrev_b16 v4, 8, v38
	s_mov_b32 s19, exec_lo
	v_cmpx_ne_u16_e32 0, v4
	s_cbranch_execz .LBB261_801
; %bb.794:                              ;   in Loop: Header=BB261_12 Depth=1
	v_bfrev_b32_e32 v6, 1
	s_mov_b32 s20, exec_lo
	v_cmpx_ne_u16_e32 0x80, v4
	s_cbranch_execz .LBB261_800
; %bb.795:                              ;   in Loop: Header=BB261_12 Depth=1
	v_and_b32_e32 v13, 0xffff, v4
	v_mov_b32_e32 v6, 0x7c010000
	s_mov_b32 s21, exec_lo
	s_delay_alu instid0(VALU_DEP_2) | instskip(NEXT) | instid1(VALU_DEP_1)
	v_and_b32_e32 v15, 0x7f, v13
	v_cmpx_ne_u32_e32 0x7f, v15
	s_cbranch_execz .LBB261_799
; %bb.796:                              ;   in Loop: Header=BB261_12 Depth=1
	v_dual_lshrrev_b32 v14, 3, v15 :: v_dual_bitop2_b32 v6, 7, v13 bitop3:0x40
	s_mov_b32 s22, exec_lo
	v_cmpx_gt_u32_e32 8, v15
; %bb.797:                              ;   in Loop: Header=BB261_12 Depth=1
	s_delay_alu instid0(VALU_DEP_2) | instskip(NEXT) | instid1(VALU_DEP_1)
	v_clz_i32_u32_e32 v6, v6
	v_min_u32_e32 v6, 32, v6
	s_delay_alu instid0(VALU_DEP_1) | instskip(NEXT) | instid1(VALU_DEP_1)
	v_subrev_nc_u32_e32 v14, 28, v6
	v_lshlrev_b64_e32 v[54:55], v14, v[4:5]
	v_sub_nc_u32_e32 v14, 29, v6
	s_delay_alu instid0(VALU_DEP_2)
	v_and_b32_e32 v6, 7, v54
; %bb.798:                              ;   in Loop: Header=BB261_12 Depth=1
	s_or_b32 exec_lo, exec_lo, s22
	s_delay_alu instid0(VALU_DEP_1) | instskip(NEXT) | instid1(VALU_DEP_3)
	v_dual_lshlrev_b32 v4, 8, v13 :: v_dual_lshlrev_b32 v6, 23, v6
	v_lshl_add_u32 v13, v14, 10, 0x2000
	s_delay_alu instid0(VALU_DEP_1) | instskip(NEXT) | instid1(VALU_DEP_1)
	v_and_or_b32 v4, 0x8000, v4, v13
	v_lshl_or_b32 v6, v4, 16, v6
.LBB261_799:                            ;   in Loop: Header=BB261_12 Depth=1
	s_or_b32 exec_lo, exec_lo, s21
.LBB261_800:                            ;   in Loop: Header=BB261_12 Depth=1
	s_delay_alu instid0(SALU_CYCLE_1)
	s_or_b32 exec_lo, exec_lo, s20
.LBB261_801:                            ;   in Loop: Header=BB261_12 Depth=1
	s_delay_alu instid0(SALU_CYCLE_1) | instskip(SKIP_3) | instid1(VALU_DEP_2)
	s_or_b32 exec_lo, exec_lo, s19
	v_dual_mov_b32 v15, 0 :: v_dual_lshrrev_b32 v4, 16, v38
	v_mov_b32_e32 v24, 0
	s_mov_b32 s19, exec_lo
	v_and_b32_e32 v13, 0xff, v4
	s_delay_alu instid0(VALU_DEP_1)
	v_cmpx_ne_u16_e32 0, v13
	s_cbranch_execz .LBB261_809
; %bb.802:                              ;   in Loop: Header=BB261_12 Depth=1
	v_mov_b32_e32 v24, 0x8000
	s_mov_b32 s20, exec_lo
	v_cmpx_ne_u16_e32 0x80, v13
	s_cbranch_execz .LBB261_808
; %bb.803:                              ;   in Loop: Header=BB261_12 Depth=1
	v_bfe_u32 v16, v38, 16, 7
	v_mov_b32_e32 v24, 0x7c01
	s_mov_b32 s21, exec_lo
	s_delay_alu instid0(VALU_DEP_2)
	v_cmpx_ne_u32_e32 0x7f, v16
	s_cbranch_execz .LBB261_807
; %bb.804:                              ;   in Loop: Header=BB261_12 Depth=1
	v_and_b32_e32 v13, 7, v4
	v_lshrrev_b32_e32 v14, 3, v16
	s_mov_b32 s22, exec_lo
	v_cmpx_gt_u32_e32 8, v16
; %bb.805:                              ;   in Loop: Header=BB261_12 Depth=1
	s_delay_alu instid0(VALU_DEP_3) | instskip(NEXT) | instid1(VALU_DEP_1)
	v_clz_i32_u32_e32 v13, v13
	v_min_u32_e32 v13, 32, v13
	s_delay_alu instid0(VALU_DEP_1) | instskip(NEXT) | instid1(VALU_DEP_1)
	v_subrev_nc_u32_e32 v14, 28, v13
	v_lshlrev_b64_e32 v[54:55], v14, v[4:5]
	s_delay_alu instid0(VALU_DEP_1)
	v_dual_sub_nc_u32 v14, 29, v13 :: v_dual_bitop2_b32 v13, 7, v54 bitop3:0x40
; %bb.806:                              ;   in Loop: Header=BB261_12 Depth=1
	s_or_b32 exec_lo, exec_lo, s22
	s_delay_alu instid0(VALU_DEP_1) | instskip(NEXT) | instid1(VALU_DEP_2)
	v_dual_lshlrev_b32 v4, 8, v4 :: v_dual_lshlrev_b32 v13, 7, v13
	v_lshl_add_u32 v14, v14, 10, 0x2000
	s_delay_alu instid0(VALU_DEP_2) | instskip(NEXT) | instid1(VALU_DEP_2)
	v_and_b32_e32 v4, 0x8000, v4
	v_and_b32_e32 v14, 0xfc00, v14
	s_delay_alu instid0(VALU_DEP_1)
	v_or3_b32 v24, v4, v14, v13
.LBB261_807:                            ;   in Loop: Header=BB261_12 Depth=1
	s_or_b32 exec_lo, exec_lo, s21
.LBB261_808:                            ;   in Loop: Header=BB261_12 Depth=1
	s_delay_alu instid0(SALU_CYCLE_1)
	s_or_b32 exec_lo, exec_lo, s20
.LBB261_809:                            ;   in Loop: Header=BB261_12 Depth=1
	s_delay_alu instid0(SALU_CYCLE_1) | instskip(NEXT) | instid1(SALU_CYCLE_1)
	s_or_b32 exec_lo, exec_lo, s19
	s_mov_b32 s19, exec_lo
	v_cmpx_lt_u32_e32 0xffffff, v38
	s_cbranch_execz .LBB261_817
; %bb.810:                              ;   in Loop: Header=BB261_12 Depth=1
	v_lshrrev_b32_e32 v4, 24, v38
	v_bfrev_b32_e32 v15, 1
	s_mov_b32 s20, exec_lo
	s_delay_alu instid0(VALU_DEP_2)
	v_cmpx_ne_u32_e32 0x80, v4
	s_cbranch_execz .LBB261_816
; %bb.811:                              ;   in Loop: Header=BB261_12 Depth=1
	v_and_b32_e32 v16, 0x7f, v4
	v_mov_b32_e32 v15, 0x7c010000
	s_mov_b32 s21, exec_lo
	s_delay_alu instid0(VALU_DEP_2)
	v_cmpx_ne_u32_e32 0x7f, v16
	s_cbranch_execz .LBB261_815
; %bb.812:                              ;   in Loop: Header=BB261_12 Depth=1
	v_and_b32_e32 v13, 7, v4
	v_lshrrev_b32_e32 v14, 3, v16
	s_mov_b32 s22, exec_lo
	v_cmpx_gt_u32_e32 8, v16
; %bb.813:                              ;   in Loop: Header=BB261_12 Depth=1
	s_delay_alu instid0(VALU_DEP_3) | instskip(NEXT) | instid1(VALU_DEP_1)
	v_clz_i32_u32_e32 v13, v13
	v_min_u32_e32 v13, 32, v13
	s_delay_alu instid0(VALU_DEP_1) | instskip(NEXT) | instid1(VALU_DEP_1)
	v_subrev_nc_u32_e32 v14, 28, v13
	v_lshlrev_b64_e32 v[54:55], v14, v[4:5]
	s_delay_alu instid0(VALU_DEP_1)
	v_dual_sub_nc_u32 v14, 29, v13 :: v_dual_bitop2_b32 v13, 7, v54 bitop3:0x40
; %bb.814:                              ;   in Loop: Header=BB261_12 Depth=1
	s_or_b32 exec_lo, exec_lo, s22
	s_delay_alu instid0(VALU_DEP_1) | instskip(NEXT) | instid1(VALU_DEP_2)
	v_dual_lshlrev_b32 v4, 8, v4 :: v_dual_lshlrev_b32 v13, 23, v13
	v_lshl_add_u32 v14, v14, 10, 0x2000
	s_delay_alu instid0(VALU_DEP_1) | instskip(NEXT) | instid1(VALU_DEP_1)
	v_and_or_b32 v4, 0x8000, v4, v14
	v_lshl_or_b32 v15, v4, 16, v13
.LBB261_815:                            ;   in Loop: Header=BB261_12 Depth=1
	s_or_b32 exec_lo, exec_lo, s21
.LBB261_816:                            ;   in Loop: Header=BB261_12 Depth=1
	s_delay_alu instid0(SALU_CYCLE_1)
	s_or_b32 exec_lo, exec_lo, s20
.LBB261_817:                            ;   in Loop: Header=BB261_12 Depth=1
	s_delay_alu instid0(SALU_CYCLE_1)
	s_or_b32 exec_lo, exec_lo, s19
	flat_load_b32 v38, v[36:37] offset:3080
	v_dual_mov_b32 v14, 0 :: v_dual_mov_b32 v16, 0
	s_mov_b32 s19, exec_lo
	s_wait_loadcnt_dscnt 0x0
	v_and_b32_e32 v4, 0xff, v38
	s_wait_xcnt 0x0
	s_delay_alu instid0(VALU_DEP_1)
	v_cmpx_ne_u16_e32 0, v4
	s_cbranch_execz .LBB261_825
; %bb.818:                              ;   in Loop: Header=BB261_12 Depth=1
	v_mov_b32_e32 v16, 0x8000
	s_mov_b32 s20, exec_lo
	v_cmpx_ne_u16_e32 0x80, v4
	s_cbranch_execz .LBB261_824
; %bb.819:                              ;   in Loop: Header=BB261_12 Depth=1
	v_and_b32_e32 v19, 0x7f, v38
	v_mov_b32_e32 v16, 0x7c01
	s_mov_b32 s21, exec_lo
	s_delay_alu instid0(VALU_DEP_2)
	v_cmpx_ne_u32_e32 0x7f, v19
	s_cbranch_execz .LBB261_823
; %bb.820:                              ;   in Loop: Header=BB261_12 Depth=1
	v_dual_lshrrev_b32 v13, 3, v19 :: v_dual_bitop2_b32 v4, 7, v38 bitop3:0x40
	s_mov_b32 s22, exec_lo
	v_cmpx_gt_u32_e32 8, v19
; %bb.821:                              ;   in Loop: Header=BB261_12 Depth=1
	s_delay_alu instid0(VALU_DEP_2) | instskip(NEXT) | instid1(VALU_DEP_1)
	v_clz_i32_u32_e32 v4, v4
	v_min_u32_e32 v4, 32, v4
	s_delay_alu instid0(VALU_DEP_1) | instskip(NEXT) | instid1(VALU_DEP_1)
	v_subrev_nc_u32_e32 v13, 28, v4
	v_lshlrev_b64_e32 v[54:55], v13, v[38:39]
	s_delay_alu instid0(VALU_DEP_1)
	v_dual_sub_nc_u32 v13, 29, v4 :: v_dual_bitop2_b32 v4, 7, v54 bitop3:0x40
; %bb.822:                              ;   in Loop: Header=BB261_12 Depth=1
	s_or_b32 exec_lo, exec_lo, s22
	s_delay_alu instid0(VALU_DEP_1) | instskip(NEXT) | instid1(VALU_DEP_2)
	v_dual_lshlrev_b32 v16, 8, v38 :: v_dual_lshlrev_b32 v4, 7, v4
	v_lshl_add_u32 v13, v13, 10, 0x2000
	s_delay_alu instid0(VALU_DEP_2) | instskip(NEXT) | instid1(VALU_DEP_2)
	v_and_b32_e32 v16, 0x8000, v16
	v_and_b32_e32 v13, 0xfc00, v13
	s_delay_alu instid0(VALU_DEP_1)
	v_or3_b32 v16, v16, v13, v4
.LBB261_823:                            ;   in Loop: Header=BB261_12 Depth=1
	s_or_b32 exec_lo, exec_lo, s21
.LBB261_824:                            ;   in Loop: Header=BB261_12 Depth=1
	s_delay_alu instid0(SALU_CYCLE_1)
	s_or_b32 exec_lo, exec_lo, s20
.LBB261_825:                            ;   in Loop: Header=BB261_12 Depth=1
	s_delay_alu instid0(SALU_CYCLE_1) | instskip(SKIP_2) | instid1(VALU_DEP_1)
	s_or_b32 exec_lo, exec_lo, s19
	v_lshrrev_b16 v4, 8, v38
	s_mov_b32 s19, exec_lo
	v_cmpx_ne_u16_e32 0, v4
	s_cbranch_execz .LBB261_833
; %bb.826:                              ;   in Loop: Header=BB261_12 Depth=1
	v_bfrev_b32_e32 v14, 1
	s_mov_b32 s20, exec_lo
	v_cmpx_ne_u16_e32 0x80, v4
	s_cbranch_execz .LBB261_832
; %bb.827:                              ;   in Loop: Header=BB261_12 Depth=1
	v_and_b32_e32 v13, 0xffff, v4
	v_mov_b32_e32 v14, 0x7c010000
	s_mov_b32 s21, exec_lo
	s_delay_alu instid0(VALU_DEP_2) | instskip(NEXT) | instid1(VALU_DEP_1)
	v_and_b32_e32 v29, 0x7f, v13
	v_cmpx_ne_u32_e32 0x7f, v29
	s_cbranch_execz .LBB261_831
; %bb.828:                              ;   in Loop: Header=BB261_12 Depth=1
	v_and_b32_e32 v14, 7, v13
	v_lshrrev_b32_e32 v19, 3, v29
	s_mov_b32 s22, exec_lo
	v_cmpx_gt_u32_e32 8, v29
; %bb.829:                              ;   in Loop: Header=BB261_12 Depth=1
	s_delay_alu instid0(VALU_DEP_3) | instskip(NEXT) | instid1(VALU_DEP_1)
	v_clz_i32_u32_e32 v14, v14
	v_min_u32_e32 v14, 32, v14
	s_delay_alu instid0(VALU_DEP_1) | instskip(NEXT) | instid1(VALU_DEP_1)
	v_subrev_nc_u32_e32 v19, 28, v14
	v_lshlrev_b64_e32 v[54:55], v19, v[4:5]
	v_sub_nc_u32_e32 v19, 29, v14
	s_delay_alu instid0(VALU_DEP_2)
	v_and_b32_e32 v14, 7, v54
; %bb.830:                              ;   in Loop: Header=BB261_12 Depth=1
	s_or_b32 exec_lo, exec_lo, s22
	v_lshlrev_b32_e32 v4, 8, v13
	s_delay_alu instid0(VALU_DEP_3) | instskip(NEXT) | instid1(VALU_DEP_1)
	v_lshl_add_u32 v13, v19, 10, 0x2000
	v_and_or_b32 v4, 0x8000, v4, v13
	v_lshlrev_b32_e32 v13, 23, v14
	s_delay_alu instid0(VALU_DEP_1)
	v_lshl_or_b32 v14, v4, 16, v13
.LBB261_831:                            ;   in Loop: Header=BB261_12 Depth=1
	s_or_b32 exec_lo, exec_lo, s21
.LBB261_832:                            ;   in Loop: Header=BB261_12 Depth=1
	s_delay_alu instid0(SALU_CYCLE_1)
	s_or_b32 exec_lo, exec_lo, s20
.LBB261_833:                            ;   in Loop: Header=BB261_12 Depth=1
	s_delay_alu instid0(SALU_CYCLE_1) | instskip(SKIP_3) | instid1(VALU_DEP_2)
	s_or_b32 exec_lo, exec_lo, s19
	v_dual_mov_b32 v29, 0 :: v_dual_lshrrev_b32 v4, 16, v38
	v_mov_b32_e32 v64, 0
	s_mov_b32 s19, exec_lo
	v_and_b32_e32 v13, 0xff, v4
	s_delay_alu instid0(VALU_DEP_1)
	v_cmpx_ne_u16_e32 0, v13
	s_cbranch_execz .LBB261_841
; %bb.834:                              ;   in Loop: Header=BB261_12 Depth=1
	v_mov_b32_e32 v64, 0x8000
	s_mov_b32 s20, exec_lo
	v_cmpx_ne_u16_e32 0x80, v13
	s_cbranch_execz .LBB261_840
; %bb.835:                              ;   in Loop: Header=BB261_12 Depth=1
	v_bfe_u32 v54, v38, 16, 7
	v_mov_b32_e32 v64, 0x7c01
	s_mov_b32 s21, exec_lo
	s_delay_alu instid0(VALU_DEP_2)
	v_cmpx_ne_u32_e32 0x7f, v54
	s_cbranch_execz .LBB261_839
; %bb.836:                              ;   in Loop: Header=BB261_12 Depth=1
	v_dual_lshrrev_b32 v19, 3, v54 :: v_dual_bitop2_b32 v13, 7, v4 bitop3:0x40
	s_mov_b32 s22, exec_lo
	v_cmpx_gt_u32_e32 8, v54
; %bb.837:                              ;   in Loop: Header=BB261_12 Depth=1
	s_delay_alu instid0(VALU_DEP_2) | instskip(NEXT) | instid1(VALU_DEP_1)
	v_clz_i32_u32_e32 v13, v13
	v_min_u32_e32 v13, 32, v13
	s_delay_alu instid0(VALU_DEP_1) | instskip(NEXT) | instid1(VALU_DEP_1)
	v_subrev_nc_u32_e32 v19, 28, v13
	v_lshlrev_b64_e32 v[54:55], v19, v[4:5]
	s_delay_alu instid0(VALU_DEP_1)
	v_dual_sub_nc_u32 v19, 29, v13 :: v_dual_bitop2_b32 v13, 7, v54 bitop3:0x40
; %bb.838:                              ;   in Loop: Header=BB261_12 Depth=1
	s_or_b32 exec_lo, exec_lo, s22
	s_delay_alu instid0(VALU_DEP_1) | instskip(NEXT) | instid1(VALU_DEP_2)
	v_dual_lshlrev_b32 v4, 8, v4 :: v_dual_lshlrev_b32 v13, 7, v13
	v_lshl_add_u32 v19, v19, 10, 0x2000
	s_delay_alu instid0(VALU_DEP_2) | instskip(NEXT) | instid1(VALU_DEP_2)
	v_and_b32_e32 v4, 0x8000, v4
	v_and_b32_e32 v19, 0xfc00, v19
	s_delay_alu instid0(VALU_DEP_1)
	v_or3_b32 v64, v4, v19, v13
.LBB261_839:                            ;   in Loop: Header=BB261_12 Depth=1
	s_or_b32 exec_lo, exec_lo, s21
.LBB261_840:                            ;   in Loop: Header=BB261_12 Depth=1
	s_delay_alu instid0(SALU_CYCLE_1)
	s_or_b32 exec_lo, exec_lo, s20
.LBB261_841:                            ;   in Loop: Header=BB261_12 Depth=1
	s_delay_alu instid0(SALU_CYCLE_1) | instskip(NEXT) | instid1(SALU_CYCLE_1)
	s_or_b32 exec_lo, exec_lo, s19
	s_mov_b32 s19, exec_lo
	v_cmpx_lt_u32_e32 0xffffff, v38
	s_cbranch_execz .LBB261_849
; %bb.842:                              ;   in Loop: Header=BB261_12 Depth=1
	v_lshrrev_b32_e32 v4, 24, v38
	v_bfrev_b32_e32 v29, 1
	s_mov_b32 s20, exec_lo
	s_delay_alu instid0(VALU_DEP_2)
	v_cmpx_ne_u32_e32 0x80, v4
	s_cbranch_execz .LBB261_848
; %bb.843:                              ;   in Loop: Header=BB261_12 Depth=1
	v_and_b32_e32 v38, 0x7f, v4
	v_mov_b32_e32 v29, 0x7c010000
	s_mov_b32 s21, exec_lo
	s_delay_alu instid0(VALU_DEP_2)
	v_cmpx_ne_u32_e32 0x7f, v38
	s_cbranch_execz .LBB261_847
; %bb.844:                              ;   in Loop: Header=BB261_12 Depth=1
	v_dual_lshrrev_b32 v19, 3, v38 :: v_dual_bitop2_b32 v13, 7, v4 bitop3:0x40
	s_mov_b32 s22, exec_lo
	v_cmpx_gt_u32_e32 8, v38
; %bb.845:                              ;   in Loop: Header=BB261_12 Depth=1
	s_delay_alu instid0(VALU_DEP_2) | instskip(NEXT) | instid1(VALU_DEP_1)
	v_clz_i32_u32_e32 v13, v13
	v_min_u32_e32 v13, 32, v13
	s_delay_alu instid0(VALU_DEP_1) | instskip(NEXT) | instid1(VALU_DEP_1)
	v_subrev_nc_u32_e32 v19, 28, v13
	v_lshlrev_b64_e32 v[54:55], v19, v[4:5]
	s_delay_alu instid0(VALU_DEP_1)
	v_dual_sub_nc_u32 v19, 29, v13 :: v_dual_bitop2_b32 v13, 7, v54 bitop3:0x40
; %bb.846:                              ;   in Loop: Header=BB261_12 Depth=1
	s_or_b32 exec_lo, exec_lo, s22
	s_delay_alu instid0(VALU_DEP_1) | instskip(NEXT) | instid1(VALU_DEP_2)
	v_dual_lshlrev_b32 v4, 8, v4 :: v_dual_lshlrev_b32 v13, 23, v13
	v_lshl_add_u32 v19, v19, 10, 0x2000
	s_delay_alu instid0(VALU_DEP_1) | instskip(NEXT) | instid1(VALU_DEP_1)
	v_and_or_b32 v4, 0x8000, v4, v19
	v_lshl_or_b32 v29, v4, 16, v13
.LBB261_847:                            ;   in Loop: Header=BB261_12 Depth=1
	s_or_b32 exec_lo, exec_lo, s21
.LBB261_848:                            ;   in Loop: Header=BB261_12 Depth=1
	s_delay_alu instid0(SALU_CYCLE_1)
	s_or_b32 exec_lo, exec_lo, s20
.LBB261_849:                            ;   in Loop: Header=BB261_12 Depth=1
	s_delay_alu instid0(SALU_CYCLE_1)
	s_or_b32 exec_lo, exec_lo, s19
	flat_load_b32 v38, v[36:37] offset:3328
	v_dual_mov_b32 v13, 0 :: v_dual_mov_b32 v19, 0
	s_mov_b32 s19, exec_lo
	s_wait_loadcnt_dscnt 0x0
	v_and_b32_e32 v4, 0xff, v38
	s_wait_xcnt 0x0
	s_delay_alu instid0(VALU_DEP_1)
	v_cmpx_ne_u16_e32 0, v4
	s_cbranch_execz .LBB261_857
; %bb.850:                              ;   in Loop: Header=BB261_12 Depth=1
	v_mov_b32_e32 v19, 0x8000
	s_mov_b32 s20, exec_lo
	v_cmpx_ne_u16_e32 0x80, v4
	s_cbranch_execz .LBB261_856
; %bb.851:                              ;   in Loop: Header=BB261_12 Depth=1
	v_and_b32_e32 v54, 0x7f, v38
	v_mov_b32_e32 v19, 0x7c01
	s_mov_b32 s21, exec_lo
	s_delay_alu instid0(VALU_DEP_2)
	v_cmpx_ne_u32_e32 0x7f, v54
	s_cbranch_execz .LBB261_855
; %bb.852:                              ;   in Loop: Header=BB261_12 Depth=1
	v_and_b32_e32 v4, 7, v38
	v_lshrrev_b32_e32 v19, 3, v54
	s_mov_b32 s22, exec_lo
	v_cmpx_gt_u32_e32 8, v54
; %bb.853:                              ;   in Loop: Header=BB261_12 Depth=1
	s_delay_alu instid0(VALU_DEP_3) | instskip(NEXT) | instid1(VALU_DEP_1)
	v_clz_i32_u32_e32 v4, v4
	v_min_u32_e32 v4, 32, v4
	s_delay_alu instid0(VALU_DEP_1) | instskip(NEXT) | instid1(VALU_DEP_1)
	v_subrev_nc_u32_e32 v19, 28, v4
	v_lshlrev_b64_e32 v[54:55], v19, v[38:39]
	s_delay_alu instid0(VALU_DEP_1)
	v_dual_sub_nc_u32 v19, 29, v4 :: v_dual_bitop2_b32 v4, 7, v54 bitop3:0x40
; %bb.854:                              ;   in Loop: Header=BB261_12 Depth=1
	s_or_b32 exec_lo, exec_lo, s22
	s_delay_alu instid0(VALU_DEP_1) | instskip(NEXT) | instid1(VALU_DEP_2)
	v_dual_lshlrev_b32 v54, 8, v38 :: v_dual_lshlrev_b32 v4, 7, v4
	v_lshl_add_u32 v19, v19, 10, 0x2000
	s_delay_alu instid0(VALU_DEP_2) | instskip(NEXT) | instid1(VALU_DEP_2)
	v_and_b32_e32 v54, 0x8000, v54
	v_and_b32_e32 v19, 0xfc00, v19
	s_delay_alu instid0(VALU_DEP_1)
	v_or3_b32 v19, v54, v19, v4
.LBB261_855:                            ;   in Loop: Header=BB261_12 Depth=1
	s_or_b32 exec_lo, exec_lo, s21
.LBB261_856:                            ;   in Loop: Header=BB261_12 Depth=1
	s_delay_alu instid0(SALU_CYCLE_1)
	s_or_b32 exec_lo, exec_lo, s20
.LBB261_857:                            ;   in Loop: Header=BB261_12 Depth=1
	s_delay_alu instid0(SALU_CYCLE_1) | instskip(SKIP_2) | instid1(VALU_DEP_1)
	s_or_b32 exec_lo, exec_lo, s19
	v_lshrrev_b16 v4, 8, v38
	s_mov_b32 s19, exec_lo
	v_cmpx_ne_u16_e32 0, v4
	s_cbranch_execz .LBB261_865
; %bb.858:                              ;   in Loop: Header=BB261_12 Depth=1
	v_bfrev_b32_e32 v13, 1
	s_mov_b32 s20, exec_lo
	v_cmpx_ne_u16_e32 0x80, v4
	s_cbranch_execz .LBB261_864
; %bb.859:                              ;   in Loop: Header=BB261_12 Depth=1
	v_and_b32_e32 v54, 0xffff, v4
	v_mov_b32_e32 v13, 0x7c010000
	s_mov_b32 s21, exec_lo
	s_delay_alu instid0(VALU_DEP_2) | instskip(NEXT) | instid1(VALU_DEP_1)
	v_and_b32_e32 v65, 0x7f, v54
	v_cmpx_ne_u32_e32 0x7f, v65
	s_cbranch_execz .LBB261_863
; %bb.860:                              ;   in Loop: Header=BB261_12 Depth=1
	v_dual_lshrrev_b32 v55, 3, v65 :: v_dual_bitop2_b32 v13, 7, v54 bitop3:0x40
	s_mov_b32 s22, exec_lo
	v_cmpx_gt_u32_e32 8, v65
; %bb.861:                              ;   in Loop: Header=BB261_12 Depth=1
	s_delay_alu instid0(VALU_DEP_2) | instskip(NEXT) | instid1(VALU_DEP_1)
	v_clz_i32_u32_e32 v13, v13
	v_min_u32_e32 v13, 32, v13
	s_delay_alu instid0(VALU_DEP_1) | instskip(NEXT) | instid1(VALU_DEP_1)
	v_subrev_nc_u32_e32 v55, 28, v13
	v_lshlrev_b64_e32 v[66:67], v55, v[4:5]
	s_delay_alu instid0(VALU_DEP_1)
	v_dual_sub_nc_u32 v55, 29, v13 :: v_dual_bitop2_b32 v13, 7, v66 bitop3:0x40
; %bb.862:                              ;   in Loop: Header=BB261_12 Depth=1
	s_or_b32 exec_lo, exec_lo, s22
	s_delay_alu instid0(VALU_DEP_1) | instskip(NEXT) | instid1(VALU_DEP_2)
	v_dual_lshlrev_b32 v4, 8, v54 :: v_dual_lshlrev_b32 v13, 23, v13
	v_lshl_add_u32 v54, v55, 10, 0x2000
	s_delay_alu instid0(VALU_DEP_1) | instskip(NEXT) | instid1(VALU_DEP_1)
	v_and_or_b32 v4, 0x8000, v4, v54
	v_lshl_or_b32 v13, v4, 16, v13
.LBB261_863:                            ;   in Loop: Header=BB261_12 Depth=1
	s_or_b32 exec_lo, exec_lo, s21
.LBB261_864:                            ;   in Loop: Header=BB261_12 Depth=1
	s_delay_alu instid0(SALU_CYCLE_1)
	s_or_b32 exec_lo, exec_lo, s20
.LBB261_865:                            ;   in Loop: Header=BB261_12 Depth=1
	s_delay_alu instid0(SALU_CYCLE_1) | instskip(SKIP_3) | instid1(VALU_DEP_2)
	s_or_b32 exec_lo, exec_lo, s19
	v_dual_mov_b32 v65, 0 :: v_dual_lshrrev_b32 v4, 16, v38
	v_mov_b32_e32 v55, 0
	s_mov_b32 s19, exec_lo
	v_and_b32_e32 v54, 0xff, v4
	s_delay_alu instid0(VALU_DEP_1)
	v_cmpx_ne_u16_e32 0, v54
	s_cbranch_execz .LBB261_873
; %bb.866:                              ;   in Loop: Header=BB261_12 Depth=1
	v_mov_b32_e32 v55, 0x8000
	s_mov_b32 s20, exec_lo
	v_cmpx_ne_u16_e32 0x80, v54
	s_cbranch_execz .LBB261_872
; %bb.867:                              ;   in Loop: Header=BB261_12 Depth=1
	v_bfe_u32 v66, v38, 16, 7
	v_mov_b32_e32 v55, 0x7c01
	s_mov_b32 s21, exec_lo
	s_delay_alu instid0(VALU_DEP_2)
	v_cmpx_ne_u32_e32 0x7f, v66
	s_cbranch_execz .LBB261_871
; %bb.868:                              ;   in Loop: Header=BB261_12 Depth=1
	v_dual_lshrrev_b32 v55, 3, v66 :: v_dual_bitop2_b32 v54, 7, v4 bitop3:0x40
	s_mov_b32 s22, exec_lo
	v_cmpx_gt_u32_e32 8, v66
; %bb.869:                              ;   in Loop: Header=BB261_12 Depth=1
	s_delay_alu instid0(VALU_DEP_2) | instskip(NEXT) | instid1(VALU_DEP_1)
	v_clz_i32_u32_e32 v54, v54
	v_min_u32_e32 v66, 32, v54
	s_delay_alu instid0(VALU_DEP_1) | instskip(NEXT) | instid1(VALU_DEP_1)
	v_subrev_nc_u32_e32 v54, 28, v66
	v_lshlrev_b64_e32 v[54:55], v54, v[4:5]
	v_sub_nc_u32_e32 v55, 29, v66
	s_delay_alu instid0(VALU_DEP_2)
	v_and_b32_e32 v54, 7, v54
; %bb.870:                              ;   in Loop: Header=BB261_12 Depth=1
	s_or_b32 exec_lo, exec_lo, s22
	s_delay_alu instid0(VALU_DEP_1) | instskip(NEXT) | instid1(VALU_DEP_3)
	v_dual_lshlrev_b32 v4, 8, v4 :: v_dual_lshlrev_b32 v54, 7, v54
	v_lshl_add_u32 v55, v55, 10, 0x2000
	s_delay_alu instid0(VALU_DEP_2) | instskip(NEXT) | instid1(VALU_DEP_2)
	v_and_b32_e32 v4, 0x8000, v4
	v_and_b32_e32 v55, 0xfc00, v55
	s_delay_alu instid0(VALU_DEP_1)
	v_or3_b32 v55, v4, v55, v54
.LBB261_871:                            ;   in Loop: Header=BB261_12 Depth=1
	s_or_b32 exec_lo, exec_lo, s21
.LBB261_872:                            ;   in Loop: Header=BB261_12 Depth=1
	s_delay_alu instid0(SALU_CYCLE_1)
	s_or_b32 exec_lo, exec_lo, s20
.LBB261_873:                            ;   in Loop: Header=BB261_12 Depth=1
	s_delay_alu instid0(SALU_CYCLE_1) | instskip(NEXT) | instid1(SALU_CYCLE_1)
	s_or_b32 exec_lo, exec_lo, s19
	s_mov_b32 s19, exec_lo
	v_cmpx_lt_u32_e32 0xffffff, v38
	s_cbranch_execz .LBB261_881
; %bb.874:                              ;   in Loop: Header=BB261_12 Depth=1
	v_lshrrev_b32_e32 v4, 24, v38
	v_bfrev_b32_e32 v65, 1
	s_mov_b32 s20, exec_lo
	s_delay_alu instid0(VALU_DEP_2)
	v_cmpx_ne_u32_e32 0x80, v4
	s_cbranch_execz .LBB261_880
; %bb.875:                              ;   in Loop: Header=BB261_12 Depth=1
	v_and_b32_e32 v66, 0x7f, v4
	v_mov_b32_e32 v65, 0x7c010000
	s_mov_b32 s21, exec_lo
	s_delay_alu instid0(VALU_DEP_2)
	v_cmpx_ne_u32_e32 0x7f, v66
	s_cbranch_execz .LBB261_879
; %bb.876:                              ;   in Loop: Header=BB261_12 Depth=1
	v_dual_lshrrev_b32 v54, 3, v66 :: v_dual_bitop2_b32 v38, 7, v4 bitop3:0x40
	s_mov_b32 s22, exec_lo
	v_cmpx_gt_u32_e32 8, v66
; %bb.877:                              ;   in Loop: Header=BB261_12 Depth=1
	s_delay_alu instid0(VALU_DEP_2) | instskip(NEXT) | instid1(VALU_DEP_1)
	v_clz_i32_u32_e32 v38, v38
	v_min_u32_e32 v38, 32, v38
	s_delay_alu instid0(VALU_DEP_1) | instskip(NEXT) | instid1(VALU_DEP_1)
	v_subrev_nc_u32_e32 v54, 28, v38
	v_lshlrev_b64_e32 v[66:67], v54, v[4:5]
	v_sub_nc_u32_e32 v54, 29, v38
	s_delay_alu instid0(VALU_DEP_2)
	v_and_b32_e32 v38, 7, v66
; %bb.878:                              ;   in Loop: Header=BB261_12 Depth=1
	s_or_b32 exec_lo, exec_lo, s22
	s_delay_alu instid0(VALU_DEP_1) | instskip(NEXT) | instid1(VALU_DEP_3)
	v_dual_lshlrev_b32 v4, 8, v4 :: v_dual_lshlrev_b32 v38, 23, v38
	v_lshl_add_u32 v54, v54, 10, 0x2000
	s_delay_alu instid0(VALU_DEP_1) | instskip(NEXT) | instid1(VALU_DEP_1)
	v_and_or_b32 v4, 0x8000, v4, v54
	v_lshl_or_b32 v65, v4, 16, v38
.LBB261_879:                            ;   in Loop: Header=BB261_12 Depth=1
	s_or_b32 exec_lo, exec_lo, s21
.LBB261_880:                            ;   in Loop: Header=BB261_12 Depth=1
	s_delay_alu instid0(SALU_CYCLE_1)
	s_or_b32 exec_lo, exec_lo, s20
.LBB261_881:                            ;   in Loop: Header=BB261_12 Depth=1
	s_delay_alu instid0(SALU_CYCLE_1)
	s_or_b32 exec_lo, exec_lo, s19
	flat_load_b32 v38, v[36:37] offset:3336
	v_dual_mov_b32 v66, 0 :: v_dual_mov_b32 v112, 0
	s_mov_b32 s19, exec_lo
	s_wait_loadcnt_dscnt 0x0
	v_and_b32_e32 v4, 0xff, v38
	s_wait_xcnt 0x0
	s_delay_alu instid0(VALU_DEP_1)
	v_cmpx_ne_u16_e32 0, v4
	s_cbranch_execz .LBB261_889
; %bb.882:                              ;   in Loop: Header=BB261_12 Depth=1
	v_mov_b32_e32 v112, 0x8000
	s_mov_b32 s20, exec_lo
	v_cmpx_ne_u16_e32 0x80, v4
	s_cbranch_execz .LBB261_888
; %bb.883:                              ;   in Loop: Header=BB261_12 Depth=1
	v_and_b32_e32 v67, 0x7f, v38
	v_mov_b32_e32 v112, 0x7c01
	s_mov_b32 s21, exec_lo
	s_delay_alu instid0(VALU_DEP_2)
	v_cmpx_ne_u32_e32 0x7f, v67
	s_cbranch_execz .LBB261_887
; %bb.884:                              ;   in Loop: Header=BB261_12 Depth=1
	v_dual_lshrrev_b32 v54, 3, v67 :: v_dual_bitop2_b32 v4, 7, v38 bitop3:0x40
	s_mov_b32 s22, exec_lo
	v_cmpx_gt_u32_e32 8, v67
; %bb.885:                              ;   in Loop: Header=BB261_12 Depth=1
	s_delay_alu instid0(VALU_DEP_2) | instskip(NEXT) | instid1(VALU_DEP_1)
	v_clz_i32_u32_e32 v4, v4
	v_min_u32_e32 v4, 32, v4
	s_delay_alu instid0(VALU_DEP_1) | instskip(NEXT) | instid1(VALU_DEP_1)
	v_subrev_nc_u32_e32 v54, 28, v4
	v_lshlrev_b64_e32 v[94:95], v54, v[38:39]
	s_delay_alu instid0(VALU_DEP_1)
	v_dual_sub_nc_u32 v54, 29, v4 :: v_dual_bitop2_b32 v4, 7, v94 bitop3:0x40
; %bb.886:                              ;   in Loop: Header=BB261_12 Depth=1
	s_or_b32 exec_lo, exec_lo, s22
	s_delay_alu instid0(VALU_DEP_1) | instskip(NEXT) | instid1(VALU_DEP_2)
	v_dual_lshlrev_b32 v67, 8, v38 :: v_dual_lshlrev_b32 v4, 7, v4
	v_lshl_add_u32 v54, v54, 10, 0x2000
	s_delay_alu instid0(VALU_DEP_2) | instskip(NEXT) | instid1(VALU_DEP_2)
	v_and_b32_e32 v67, 0x8000, v67
	v_and_b32_e32 v54, 0xfc00, v54
	s_delay_alu instid0(VALU_DEP_1)
	v_or3_b32 v112, v67, v54, v4
.LBB261_887:                            ;   in Loop: Header=BB261_12 Depth=1
	s_or_b32 exec_lo, exec_lo, s21
.LBB261_888:                            ;   in Loop: Header=BB261_12 Depth=1
	s_delay_alu instid0(SALU_CYCLE_1)
	s_or_b32 exec_lo, exec_lo, s20
.LBB261_889:                            ;   in Loop: Header=BB261_12 Depth=1
	s_delay_alu instid0(SALU_CYCLE_1) | instskip(SKIP_2) | instid1(VALU_DEP_1)
	s_or_b32 exec_lo, exec_lo, s19
	v_lshrrev_b16 v4, 8, v38
	s_mov_b32 s19, exec_lo
	v_cmpx_ne_u16_e32 0, v4
	s_cbranch_execz .LBB261_897
; %bb.890:                              ;   in Loop: Header=BB261_12 Depth=1
	v_bfrev_b32_e32 v66, 1
	s_mov_b32 s20, exec_lo
	v_cmpx_ne_u16_e32 0x80, v4
	s_cbranch_execz .LBB261_896
; %bb.891:                              ;   in Loop: Header=BB261_12 Depth=1
	v_and_b32_e32 v54, 0xffff, v4
	v_mov_b32_e32 v66, 0x7c010000
	s_mov_b32 s21, exec_lo
	s_delay_alu instid0(VALU_DEP_2) | instskip(NEXT) | instid1(VALU_DEP_1)
	v_and_b32_e32 v83, 0x7f, v54
	v_cmpx_ne_u32_e32 0x7f, v83
	s_cbranch_execz .LBB261_895
; %bb.892:                              ;   in Loop: Header=BB261_12 Depth=1
	v_dual_lshrrev_b32 v67, 3, v83 :: v_dual_bitop2_b32 v66, 7, v54 bitop3:0x40
	s_mov_b32 s22, exec_lo
	v_cmpx_gt_u32_e32 8, v83
; %bb.893:                              ;   in Loop: Header=BB261_12 Depth=1
	s_delay_alu instid0(VALU_DEP_2) | instskip(NEXT) | instid1(VALU_DEP_1)
	v_clz_i32_u32_e32 v66, v66
	v_min_u32_e32 v83, 32, v66
	s_delay_alu instid0(VALU_DEP_1) | instskip(NEXT) | instid1(VALU_DEP_1)
	v_subrev_nc_u32_e32 v66, 28, v83
	v_lshlrev_b64_e32 v[66:67], v66, v[4:5]
	s_delay_alu instid0(VALU_DEP_1)
	v_dual_sub_nc_u32 v67, 29, v83 :: v_dual_bitop2_b32 v66, 7, v66 bitop3:0x40
; %bb.894:                              ;   in Loop: Header=BB261_12 Depth=1
	s_or_b32 exec_lo, exec_lo, s22
	v_lshlrev_b32_e32 v4, 8, v54
	s_delay_alu instid0(VALU_DEP_2) | instskip(NEXT) | instid1(VALU_DEP_1)
	v_lshl_add_u32 v54, v67, 10, 0x2000
	v_and_or_b32 v4, 0x8000, v4, v54
	v_lshlrev_b32_e32 v54, 23, v66
	s_delay_alu instid0(VALU_DEP_1)
	v_lshl_or_b32 v66, v4, 16, v54
.LBB261_895:                            ;   in Loop: Header=BB261_12 Depth=1
	s_or_b32 exec_lo, exec_lo, s21
.LBB261_896:                            ;   in Loop: Header=BB261_12 Depth=1
	s_delay_alu instid0(SALU_CYCLE_1)
	s_or_b32 exec_lo, exec_lo, s20
.LBB261_897:                            ;   in Loop: Header=BB261_12 Depth=1
	s_delay_alu instid0(SALU_CYCLE_1) | instskip(SKIP_3) | instid1(VALU_DEP_2)
	s_or_b32 exec_lo, exec_lo, s19
	v_dual_lshrrev_b32 v4, 16, v38 :: v_dual_mov_b32 v94, 0
	v_mov_b32_e32 v127, 0
	s_mov_b32 s19, exec_lo
	v_and_b32_e32 v54, 0xff, v4
	s_delay_alu instid0(VALU_DEP_1)
	v_cmpx_ne_u16_e32 0, v54
	s_cbranch_execz .LBB261_905
; %bb.898:                              ;   in Loop: Header=BB261_12 Depth=1
	v_mov_b32_e32 v127, 0x8000
	s_mov_b32 s20, exec_lo
	v_cmpx_ne_u16_e32 0x80, v54
	s_cbranch_execz .LBB261_904
; %bb.899:                              ;   in Loop: Header=BB261_12 Depth=1
	v_bfe_u32 v83, v38, 16, 7
	v_mov_b32_e32 v127, 0x7c01
	s_mov_b32 s21, exec_lo
	s_delay_alu instid0(VALU_DEP_2)
	v_cmpx_ne_u32_e32 0x7f, v83
	s_cbranch_execz .LBB261_903
; %bb.900:                              ;   in Loop: Header=BB261_12 Depth=1
	v_dual_lshrrev_b32 v67, 3, v83 :: v_dual_bitop2_b32 v54, 7, v4 bitop3:0x40
	s_mov_b32 s22, exec_lo
	v_cmpx_gt_u32_e32 8, v83
; %bb.901:                              ;   in Loop: Header=BB261_12 Depth=1
	s_delay_alu instid0(VALU_DEP_2) | instskip(NEXT) | instid1(VALU_DEP_1)
	v_clz_i32_u32_e32 v54, v54
	v_min_u32_e32 v54, 32, v54
	s_delay_alu instid0(VALU_DEP_1) | instskip(NEXT) | instid1(VALU_DEP_1)
	v_subrev_nc_u32_e32 v67, 28, v54
	v_lshlrev_b64_e32 v[106:107], v67, v[4:5]
	v_sub_nc_u32_e32 v67, 29, v54
	s_delay_alu instid0(VALU_DEP_2)
	v_and_b32_e32 v54, 7, v106
; %bb.902:                              ;   in Loop: Header=BB261_12 Depth=1
	s_or_b32 exec_lo, exec_lo, s22
	s_delay_alu instid0(VALU_DEP_1) | instskip(NEXT) | instid1(VALU_DEP_3)
	v_dual_lshlrev_b32 v4, 8, v4 :: v_dual_lshlrev_b32 v54, 7, v54
	v_lshl_add_u32 v67, v67, 10, 0x2000
	s_delay_alu instid0(VALU_DEP_2) | instskip(NEXT) | instid1(VALU_DEP_2)
	v_and_b32_e32 v4, 0x8000, v4
	v_and_b32_e32 v67, 0xfc00, v67
	s_delay_alu instid0(VALU_DEP_1)
	v_or3_b32 v127, v4, v67, v54
.LBB261_903:                            ;   in Loop: Header=BB261_12 Depth=1
	s_or_b32 exec_lo, exec_lo, s21
.LBB261_904:                            ;   in Loop: Header=BB261_12 Depth=1
	s_delay_alu instid0(SALU_CYCLE_1)
	s_or_b32 exec_lo, exec_lo, s20
.LBB261_905:                            ;   in Loop: Header=BB261_12 Depth=1
	s_delay_alu instid0(SALU_CYCLE_1) | instskip(NEXT) | instid1(SALU_CYCLE_1)
	s_or_b32 exec_lo, exec_lo, s19
	s_mov_b32 s19, exec_lo
	v_cmpx_lt_u32_e32 0xffffff, v38
	s_cbranch_execz .LBB261_913
; %bb.906:                              ;   in Loop: Header=BB261_12 Depth=1
	v_lshrrev_b32_e32 v4, 24, v38
	v_bfrev_b32_e32 v94, 1
	s_mov_b32 s20, exec_lo
	s_delay_alu instid0(VALU_DEP_2)
	v_cmpx_ne_u32_e32 0x80, v4
	s_cbranch_execz .LBB261_912
; %bb.907:                              ;   in Loop: Header=BB261_12 Depth=1
	v_and_b32_e32 v67, 0x7f, v4
	v_mov_b32_e32 v94, 0x7c010000
	s_mov_b32 s21, exec_lo
	s_delay_alu instid0(VALU_DEP_2)
	v_cmpx_ne_u32_e32 0x7f, v67
	s_cbranch_execz .LBB261_911
; %bb.908:                              ;   in Loop: Header=BB261_12 Depth=1
	v_dual_lshrrev_b32 v54, 3, v67 :: v_dual_bitop2_b32 v38, 7, v4 bitop3:0x40
	s_mov_b32 s22, exec_lo
	v_cmpx_gt_u32_e32 8, v67
; %bb.909:                              ;   in Loop: Header=BB261_12 Depth=1
	s_delay_alu instid0(VALU_DEP_2) | instskip(NEXT) | instid1(VALU_DEP_1)
	v_clz_i32_u32_e32 v38, v38
	v_min_u32_e32 v38, 32, v38
	s_delay_alu instid0(VALU_DEP_1) | instskip(NEXT) | instid1(VALU_DEP_1)
	v_subrev_nc_u32_e32 v54, 28, v38
	v_lshlrev_b64_e32 v[94:95], v54, v[4:5]
	v_sub_nc_u32_e32 v54, 29, v38
	s_delay_alu instid0(VALU_DEP_2)
	v_and_b32_e32 v38, 7, v94
; %bb.910:                              ;   in Loop: Header=BB261_12 Depth=1
	s_or_b32 exec_lo, exec_lo, s22
	s_delay_alu instid0(VALU_DEP_1) | instskip(NEXT) | instid1(VALU_DEP_3)
	v_dual_lshlrev_b32 v4, 8, v4 :: v_dual_lshlrev_b32 v38, 23, v38
	v_lshl_add_u32 v54, v54, 10, 0x2000
	s_delay_alu instid0(VALU_DEP_1) | instskip(NEXT) | instid1(VALU_DEP_1)
	v_and_or_b32 v4, 0x8000, v4, v54
	v_lshl_or_b32 v94, v4, 16, v38
.LBB261_911:                            ;   in Loop: Header=BB261_12 Depth=1
	s_or_b32 exec_lo, exec_lo, s21
.LBB261_912:                            ;   in Loop: Header=BB261_12 Depth=1
	s_delay_alu instid0(SALU_CYCLE_1)
	s_or_b32 exec_lo, exec_lo, s20
.LBB261_913:                            ;   in Loop: Header=BB261_12 Depth=1
	s_delay_alu instid0(SALU_CYCLE_1)
	s_or_b32 exec_lo, exec_lo, s19
	flat_load_b32 v38, v[36:37] offset:3584
	v_dual_mov_b32 v54, 0 :: v_dual_mov_b32 v107, 0
	s_mov_b32 s19, exec_lo
	s_wait_loadcnt_dscnt 0x0
	v_and_b32_e32 v4, 0xff, v38
	s_wait_xcnt 0x0
	s_delay_alu instid0(VALU_DEP_1)
	v_cmpx_ne_u16_e32 0, v4
	s_cbranch_execz .LBB261_921
; %bb.914:                              ;   in Loop: Header=BB261_12 Depth=1
	v_mov_b32_e32 v107, 0x8000
	s_mov_b32 s20, exec_lo
	v_cmpx_ne_u16_e32 0x80, v4
	s_cbranch_execz .LBB261_920
; %bb.915:                              ;   in Loop: Header=BB261_12 Depth=1
	v_and_b32_e32 v83, 0x7f, v38
	v_mov_b32_e32 v107, 0x7c01
	s_mov_b32 s21, exec_lo
	s_delay_alu instid0(VALU_DEP_2)
	v_cmpx_ne_u32_e32 0x7f, v83
	s_cbranch_execz .LBB261_919
; %bb.916:                              ;   in Loop: Header=BB261_12 Depth=1
	v_dual_lshrrev_b32 v67, 3, v83 :: v_dual_bitop2_b32 v4, 7, v38 bitop3:0x40
	s_mov_b32 s22, exec_lo
	v_cmpx_gt_u32_e32 8, v83
; %bb.917:                              ;   in Loop: Header=BB261_12 Depth=1
	s_delay_alu instid0(VALU_DEP_2) | instskip(NEXT) | instid1(VALU_DEP_1)
	v_clz_i32_u32_e32 v4, v4
	v_min_u32_e32 v4, 32, v4
	s_delay_alu instid0(VALU_DEP_1) | instskip(NEXT) | instid1(VALU_DEP_1)
	v_subrev_nc_u32_e32 v67, 28, v4
	v_lshlrev_b64_e32 v[106:107], v67, v[38:39]
	s_delay_alu instid0(VALU_DEP_1)
	v_dual_sub_nc_u32 v67, 29, v4 :: v_dual_bitop2_b32 v4, 7, v106 bitop3:0x40
; %bb.918:                              ;   in Loop: Header=BB261_12 Depth=1
	s_or_b32 exec_lo, exec_lo, s22
	s_delay_alu instid0(VALU_DEP_1) | instskip(NEXT) | instid1(VALU_DEP_2)
	v_dual_lshlrev_b32 v83, 8, v38 :: v_dual_lshlrev_b32 v4, 7, v4
	v_lshl_add_u32 v67, v67, 10, 0x2000
	s_delay_alu instid0(VALU_DEP_2) | instskip(NEXT) | instid1(VALU_DEP_2)
	v_and_b32_e32 v83, 0x8000, v83
	v_and_b32_e32 v67, 0xfc00, v67
	s_delay_alu instid0(VALU_DEP_1)
	v_or3_b32 v107, v83, v67, v4
.LBB261_919:                            ;   in Loop: Header=BB261_12 Depth=1
	s_or_b32 exec_lo, exec_lo, s21
.LBB261_920:                            ;   in Loop: Header=BB261_12 Depth=1
	s_delay_alu instid0(SALU_CYCLE_1)
	s_or_b32 exec_lo, exec_lo, s20
.LBB261_921:                            ;   in Loop: Header=BB261_12 Depth=1
	s_delay_alu instid0(SALU_CYCLE_1) | instskip(SKIP_2) | instid1(VALU_DEP_1)
	s_or_b32 exec_lo, exec_lo, s19
	v_lshrrev_b16 v4, 8, v38
	s_mov_b32 s19, exec_lo
	v_cmpx_ne_u16_e32 0, v4
	s_cbranch_execz .LBB261_929
; %bb.922:                              ;   in Loop: Header=BB261_12 Depth=1
	v_bfrev_b32_e32 v54, 1
	s_mov_b32 s20, exec_lo
	v_cmpx_ne_u16_e32 0x80, v4
	s_cbranch_execz .LBB261_928
; %bb.923:                              ;   in Loop: Header=BB261_12 Depth=1
	v_and_b32_e32 v67, 0xffff, v4
	v_mov_b32_e32 v54, 0x7c010000
	s_mov_b32 s21, exec_lo
	s_delay_alu instid0(VALU_DEP_2) | instskip(NEXT) | instid1(VALU_DEP_1)
	v_and_b32_e32 v85, 0x7f, v67
	v_cmpx_ne_u32_e32 0x7f, v85
	s_cbranch_execz .LBB261_927
; %bb.924:                              ;   in Loop: Header=BB261_12 Depth=1
	v_dual_lshrrev_b32 v83, 3, v85 :: v_dual_bitop2_b32 v54, 7, v67 bitop3:0x40
	s_mov_b32 s22, exec_lo
	v_cmpx_gt_u32_e32 8, v85
; %bb.925:                              ;   in Loop: Header=BB261_12 Depth=1
	s_delay_alu instid0(VALU_DEP_2) | instskip(NEXT) | instid1(VALU_DEP_1)
	v_clz_i32_u32_e32 v54, v54
	v_min_u32_e32 v54, 32, v54
	s_delay_alu instid0(VALU_DEP_1) | instskip(NEXT) | instid1(VALU_DEP_1)
	v_subrev_nc_u32_e32 v83, 28, v54
	v_lshlrev_b64_e32 v[114:115], v83, v[4:5]
	v_sub_nc_u32_e32 v83, 29, v54
	s_delay_alu instid0(VALU_DEP_2)
	v_and_b32_e32 v54, 7, v114
; %bb.926:                              ;   in Loop: Header=BB261_12 Depth=1
	s_or_b32 exec_lo, exec_lo, s22
	s_delay_alu instid0(VALU_DEP_1) | instskip(NEXT) | instid1(VALU_DEP_3)
	v_dual_lshlrev_b32 v4, 8, v67 :: v_dual_lshlrev_b32 v54, 23, v54
	v_lshl_add_u32 v67, v83, 10, 0x2000
	s_delay_alu instid0(VALU_DEP_1) | instskip(NEXT) | instid1(VALU_DEP_1)
	v_and_or_b32 v4, 0x8000, v4, v67
	v_lshl_or_b32 v54, v4, 16, v54
.LBB261_927:                            ;   in Loop: Header=BB261_12 Depth=1
	s_or_b32 exec_lo, exec_lo, s21
.LBB261_928:                            ;   in Loop: Header=BB261_12 Depth=1
	s_delay_alu instid0(SALU_CYCLE_1)
	s_or_b32 exec_lo, exec_lo, s20
.LBB261_929:                            ;   in Loop: Header=BB261_12 Depth=1
	s_delay_alu instid0(SALU_CYCLE_1) | instskip(SKIP_3) | instid1(VALU_DEP_2)
	s_or_b32 exec_lo, exec_lo, s19
	v_dual_mov_b32 v67, 0 :: v_dual_lshrrev_b32 v4, 16, v38
	v_mov_b32_e32 v123, 0
	s_mov_b32 s19, exec_lo
	v_and_b32_e32 v83, 0xff, v4
	s_delay_alu instid0(VALU_DEP_1)
	v_cmpx_ne_u16_e32 0, v83
	s_cbranch_execz .LBB261_937
; %bb.930:                              ;   in Loop: Header=BB261_12 Depth=1
	v_mov_b32_e32 v123, 0x8000
	s_mov_b32 s20, exec_lo
	v_cmpx_ne_u16_e32 0x80, v83
	s_cbranch_execz .LBB261_936
; %bb.931:                              ;   in Loop: Header=BB261_12 Depth=1
	v_bfe_u32 v114, v38, 16, 7
	v_mov_b32_e32 v123, 0x7c01
	s_mov_b32 s21, exec_lo
	s_delay_alu instid0(VALU_DEP_2)
	v_cmpx_ne_u32_e32 0x7f, v114
	s_cbranch_execz .LBB261_935
; %bb.932:                              ;   in Loop: Header=BB261_12 Depth=1
	v_dual_lshrrev_b32 v85, 3, v114 :: v_dual_bitop2_b32 v83, 7, v4 bitop3:0x40
	s_mov_b32 s22, exec_lo
	v_cmpx_gt_u32_e32 8, v114
; %bb.933:                              ;   in Loop: Header=BB261_12 Depth=1
	s_delay_alu instid0(VALU_DEP_2) | instskip(NEXT) | instid1(VALU_DEP_1)
	v_clz_i32_u32_e32 v83, v83
	v_min_u32_e32 v83, 32, v83
	s_delay_alu instid0(VALU_DEP_1) | instskip(NEXT) | instid1(VALU_DEP_1)
	v_subrev_nc_u32_e32 v85, 28, v83
	v_lshlrev_b64_e32 v[114:115], v85, v[4:5]
	s_delay_alu instid0(VALU_DEP_1)
	v_dual_sub_nc_u32 v85, 29, v83 :: v_dual_bitop2_b32 v83, 7, v114 bitop3:0x40
; %bb.934:                              ;   in Loop: Header=BB261_12 Depth=1
	s_or_b32 exec_lo, exec_lo, s22
	s_delay_alu instid0(VALU_DEP_1) | instskip(NEXT) | instid1(VALU_DEP_2)
	v_dual_lshlrev_b32 v4, 8, v4 :: v_dual_lshlrev_b32 v83, 7, v83
	v_lshl_add_u32 v85, v85, 10, 0x2000
	s_delay_alu instid0(VALU_DEP_2) | instskip(NEXT) | instid1(VALU_DEP_2)
	v_and_b32_e32 v4, 0x8000, v4
	v_and_b32_e32 v85, 0xfc00, v85
	s_delay_alu instid0(VALU_DEP_1)
	v_or3_b32 v123, v4, v85, v83
.LBB261_935:                            ;   in Loop: Header=BB261_12 Depth=1
	s_or_b32 exec_lo, exec_lo, s21
.LBB261_936:                            ;   in Loop: Header=BB261_12 Depth=1
	s_delay_alu instid0(SALU_CYCLE_1)
	s_or_b32 exec_lo, exec_lo, s20
.LBB261_937:                            ;   in Loop: Header=BB261_12 Depth=1
	s_delay_alu instid0(SALU_CYCLE_1) | instskip(NEXT) | instid1(SALU_CYCLE_1)
	s_or_b32 exec_lo, exec_lo, s19
	s_mov_b32 s19, exec_lo
	v_cmpx_lt_u32_e32 0xffffff, v38
	s_cbranch_execz .LBB261_945
; %bb.938:                              ;   in Loop: Header=BB261_12 Depth=1
	v_lshrrev_b32_e32 v4, 24, v38
	v_bfrev_b32_e32 v67, 1
	s_mov_b32 s20, exec_lo
	s_delay_alu instid0(VALU_DEP_2)
	v_cmpx_ne_u32_e32 0x80, v4
	s_cbranch_execz .LBB261_944
; %bb.939:                              ;   in Loop: Header=BB261_12 Depth=1
	v_and_b32_e32 v83, 0x7f, v4
	v_mov_b32_e32 v67, 0x7c010000
	s_mov_b32 s21, exec_lo
	s_delay_alu instid0(VALU_DEP_2)
	v_cmpx_ne_u32_e32 0x7f, v83
	s_cbranch_execz .LBB261_943
; %bb.940:                              ;   in Loop: Header=BB261_12 Depth=1
	v_dual_lshrrev_b32 v67, 3, v83 :: v_dual_bitop2_b32 v38, 7, v4 bitop3:0x40
	s_mov_b32 s22, exec_lo
	v_cmpx_gt_u32_e32 8, v83
; %bb.941:                              ;   in Loop: Header=BB261_12 Depth=1
	s_delay_alu instid0(VALU_DEP_2) | instskip(NEXT) | instid1(VALU_DEP_1)
	v_clz_i32_u32_e32 v38, v38
	v_min_u32_e32 v38, 32, v38
	s_delay_alu instid0(VALU_DEP_1) | instskip(NEXT) | instid1(VALU_DEP_1)
	v_subrev_nc_u32_e32 v67, 28, v38
	v_lshlrev_b64_e32 v[114:115], v67, v[4:5]
	v_sub_nc_u32_e32 v67, 29, v38
	s_delay_alu instid0(VALU_DEP_2)
	v_and_b32_e32 v38, 7, v114
; %bb.942:                              ;   in Loop: Header=BB261_12 Depth=1
	s_or_b32 exec_lo, exec_lo, s22
	s_delay_alu instid0(VALU_DEP_1) | instskip(NEXT) | instid1(VALU_DEP_3)
	v_dual_lshlrev_b32 v4, 8, v4 :: v_dual_lshlrev_b32 v38, 23, v38
	v_lshl_add_u32 v67, v67, 10, 0x2000
	s_delay_alu instid0(VALU_DEP_1) | instskip(NEXT) | instid1(VALU_DEP_1)
	v_and_or_b32 v4, 0x8000, v4, v67
	v_lshl_or_b32 v67, v4, 16, v38
.LBB261_943:                            ;   in Loop: Header=BB261_12 Depth=1
	s_or_b32 exec_lo, exec_lo, s21
.LBB261_944:                            ;   in Loop: Header=BB261_12 Depth=1
	s_delay_alu instid0(SALU_CYCLE_1)
	s_or_b32 exec_lo, exec_lo, s20
.LBB261_945:                            ;   in Loop: Header=BB261_12 Depth=1
	s_delay_alu instid0(SALU_CYCLE_1)
	s_or_b32 exec_lo, exec_lo, s19
	flat_load_b32 v38, v[36:37] offset:3592
	v_dual_mov_b32 v109, 0 :: v_dual_mov_b32 v120, 0
	s_mov_b32 s19, exec_lo
	s_wait_loadcnt_dscnt 0x0
	v_and_b32_e32 v4, 0xff, v38
	s_wait_xcnt 0x0
	s_delay_alu instid0(VALU_DEP_1)
	v_cmpx_ne_u16_e32 0, v4
	s_cbranch_execz .LBB261_953
; %bb.946:                              ;   in Loop: Header=BB261_12 Depth=1
	v_mov_b32_e32 v120, 0x8000
	s_mov_b32 s20, exec_lo
	v_cmpx_ne_u16_e32 0x80, v4
	s_cbranch_execz .LBB261_952
; %bb.947:                              ;   in Loop: Header=BB261_12 Depth=1
	v_and_b32_e32 v85, 0x7f, v38
	v_mov_b32_e32 v120, 0x7c01
	s_mov_b32 s21, exec_lo
	s_delay_alu instid0(VALU_DEP_2)
	v_cmpx_ne_u32_e32 0x7f, v85
	s_cbranch_execz .LBB261_951
; %bb.948:                              ;   in Loop: Header=BB261_12 Depth=1
	v_dual_lshrrev_b32 v83, 3, v85 :: v_dual_bitop2_b32 v4, 7, v38 bitop3:0x40
	s_mov_b32 s22, exec_lo
	v_cmpx_gt_u32_e32 8, v85
; %bb.949:                              ;   in Loop: Header=BB261_12 Depth=1
	s_delay_alu instid0(VALU_DEP_2) | instskip(NEXT) | instid1(VALU_DEP_1)
	v_clz_i32_u32_e32 v4, v4
	v_min_u32_e32 v4, 32, v4
	s_delay_alu instid0(VALU_DEP_1) | instskip(NEXT) | instid1(VALU_DEP_1)
	v_subrev_nc_u32_e32 v83, 28, v4
	v_lshlrev_b64_e32 v[114:115], v83, v[38:39]
	s_delay_alu instid0(VALU_DEP_1)
	v_dual_sub_nc_u32 v83, 29, v4 :: v_dual_bitop2_b32 v4, 7, v114 bitop3:0x40
; %bb.950:                              ;   in Loop: Header=BB261_12 Depth=1
	s_or_b32 exec_lo, exec_lo, s22
	s_delay_alu instid0(VALU_DEP_1) | instskip(NEXT) | instid1(VALU_DEP_2)
	v_dual_lshlrev_b32 v85, 8, v38 :: v_dual_lshlrev_b32 v4, 7, v4
	v_lshl_add_u32 v83, v83, 10, 0x2000
	s_delay_alu instid0(VALU_DEP_2) | instskip(NEXT) | instid1(VALU_DEP_2)
	v_and_b32_e32 v85, 0x8000, v85
	v_and_b32_e32 v83, 0xfc00, v83
	s_delay_alu instid0(VALU_DEP_1)
	v_or3_b32 v120, v85, v83, v4
.LBB261_951:                            ;   in Loop: Header=BB261_12 Depth=1
	s_or_b32 exec_lo, exec_lo, s21
.LBB261_952:                            ;   in Loop: Header=BB261_12 Depth=1
	s_delay_alu instid0(SALU_CYCLE_1)
	s_or_b32 exec_lo, exec_lo, s20
.LBB261_953:                            ;   in Loop: Header=BB261_12 Depth=1
	s_delay_alu instid0(SALU_CYCLE_1) | instskip(SKIP_2) | instid1(VALU_DEP_1)
	s_or_b32 exec_lo, exec_lo, s19
	v_lshrrev_b16 v4, 8, v38
	s_mov_b32 s19, exec_lo
	v_cmpx_ne_u16_e32 0, v4
	s_cbranch_execz .LBB261_961
; %bb.954:                              ;   in Loop: Header=BB261_12 Depth=1
	v_bfrev_b32_e32 v109, 1
	s_mov_b32 s20, exec_lo
	v_cmpx_ne_u16_e32 0x80, v4
	s_cbranch_execz .LBB261_960
; %bb.955:                              ;   in Loop: Header=BB261_12 Depth=1
	v_and_b32_e32 v83, 0xffff, v4
	v_mov_b32_e32 v109, 0x7c010000
	s_mov_b32 s21, exec_lo
	s_delay_alu instid0(VALU_DEP_2) | instskip(NEXT) | instid1(VALU_DEP_1)
	v_and_b32_e32 v116, 0x7f, v83
	v_cmpx_ne_u32_e32 0x7f, v116
	s_cbranch_execz .LBB261_959
; %bb.956:                              ;   in Loop: Header=BB261_12 Depth=1
	v_dual_lshrrev_b32 v114, 3, v116 :: v_dual_bitop2_b32 v85, 7, v83 bitop3:0x40
	s_mov_b32 s22, exec_lo
	v_cmpx_gt_u32_e32 8, v116
; %bb.957:                              ;   in Loop: Header=BB261_12 Depth=1
	s_delay_alu instid0(VALU_DEP_2) | instskip(NEXT) | instid1(VALU_DEP_1)
	v_clz_i32_u32_e32 v85, v85
	v_min_u32_e32 v85, 32, v85
	s_delay_alu instid0(VALU_DEP_1) | instskip(NEXT) | instid1(VALU_DEP_1)
	v_subrev_nc_u32_e32 v114, 28, v85
	v_lshlrev_b64_e32 v[116:117], v114, v[4:5]
	s_delay_alu instid0(VALU_DEP_1)
	v_dual_sub_nc_u32 v114, 29, v85 :: v_dual_bitop2_b32 v85, 7, v116 bitop3:0x40
; %bb.958:                              ;   in Loop: Header=BB261_12 Depth=1
	s_or_b32 exec_lo, exec_lo, s22
	v_lshlrev_b32_e32 v4, 8, v83
	s_delay_alu instid0(VALU_DEP_2) | instskip(NEXT) | instid1(VALU_DEP_1)
	v_lshl_add_u32 v83, v114, 10, 0x2000
	v_and_or_b32 v4, 0x8000, v4, v83
	v_lshlrev_b32_e32 v83, 23, v85
	s_delay_alu instid0(VALU_DEP_1)
	v_lshl_or_b32 v109, v4, 16, v83
.LBB261_959:                            ;   in Loop: Header=BB261_12 Depth=1
	s_or_b32 exec_lo, exec_lo, s21
.LBB261_960:                            ;   in Loop: Header=BB261_12 Depth=1
	s_delay_alu instid0(SALU_CYCLE_1)
	s_or_b32 exec_lo, exec_lo, s20
.LBB261_961:                            ;   in Loop: Header=BB261_12 Depth=1
	s_delay_alu instid0(SALU_CYCLE_1) | instskip(SKIP_3) | instid1(VALU_DEP_2)
	s_or_b32 exec_lo, exec_lo, s19
	v_dual_lshrrev_b32 v4, 16, v38 :: v_dual_mov_b32 v106, 0
	v_mov_b32_e32 v126, 0
	s_mov_b32 s19, exec_lo
	v_and_b32_e32 v83, 0xff, v4
	s_delay_alu instid0(VALU_DEP_1)
	v_cmpx_ne_u16_e32 0, v83
	s_cbranch_execz .LBB261_969
; %bb.962:                              ;   in Loop: Header=BB261_12 Depth=1
	v_mov_b32_e32 v126, 0x8000
	s_mov_b32 s20, exec_lo
	v_cmpx_ne_u16_e32 0x80, v83
	s_cbranch_execz .LBB261_968
; %bb.963:                              ;   in Loop: Header=BB261_12 Depth=1
	v_bfe_u32 v114, v38, 16, 7
	v_mov_b32_e32 v126, 0x7c01
	s_mov_b32 s21, exec_lo
	s_delay_alu instid0(VALU_DEP_2)
	v_cmpx_ne_u32_e32 0x7f, v114
	s_cbranch_execz .LBB261_967
; %bb.964:                              ;   in Loop: Header=BB261_12 Depth=1
	v_dual_lshrrev_b32 v85, 3, v114 :: v_dual_bitop2_b32 v83, 7, v4 bitop3:0x40
	s_mov_b32 s22, exec_lo
	v_cmpx_gt_u32_e32 8, v114
; %bb.965:                              ;   in Loop: Header=BB261_12 Depth=1
	s_delay_alu instid0(VALU_DEP_2) | instskip(NEXT) | instid1(VALU_DEP_1)
	v_clz_i32_u32_e32 v83, v83
	v_min_u32_e32 v83, 32, v83
	s_delay_alu instid0(VALU_DEP_1) | instskip(NEXT) | instid1(VALU_DEP_1)
	v_subrev_nc_u32_e32 v85, 28, v83
	v_lshlrev_b64_e32 v[114:115], v85, v[4:5]
	s_delay_alu instid0(VALU_DEP_1)
	v_dual_sub_nc_u32 v85, 29, v83 :: v_dual_bitop2_b32 v83, 7, v114 bitop3:0x40
; %bb.966:                              ;   in Loop: Header=BB261_12 Depth=1
	s_or_b32 exec_lo, exec_lo, s22
	s_delay_alu instid0(VALU_DEP_1) | instskip(NEXT) | instid1(VALU_DEP_2)
	v_dual_lshlrev_b32 v4, 8, v4 :: v_dual_lshlrev_b32 v83, 7, v83
	v_lshl_add_u32 v85, v85, 10, 0x2000
	s_delay_alu instid0(VALU_DEP_2) | instskip(NEXT) | instid1(VALU_DEP_2)
	v_and_b32_e32 v4, 0x8000, v4
	v_and_b32_e32 v85, 0xfc00, v85
	s_delay_alu instid0(VALU_DEP_1)
	v_or3_b32 v126, v4, v85, v83
.LBB261_967:                            ;   in Loop: Header=BB261_12 Depth=1
	s_or_b32 exec_lo, exec_lo, s21
.LBB261_968:                            ;   in Loop: Header=BB261_12 Depth=1
	s_delay_alu instid0(SALU_CYCLE_1)
	s_or_b32 exec_lo, exec_lo, s20
.LBB261_969:                            ;   in Loop: Header=BB261_12 Depth=1
	s_delay_alu instid0(SALU_CYCLE_1) | instskip(NEXT) | instid1(SALU_CYCLE_1)
	s_or_b32 exec_lo, exec_lo, s19
	s_mov_b32 s19, exec_lo
	v_cmpx_lt_u32_e32 0xffffff, v38
	s_cbranch_execz .LBB261_977
; %bb.970:                              ;   in Loop: Header=BB261_12 Depth=1
	v_lshrrev_b32_e32 v4, 24, v38
	v_bfrev_b32_e32 v106, 1
	s_mov_b32 s20, exec_lo
	s_delay_alu instid0(VALU_DEP_2)
	v_cmpx_ne_u32_e32 0x80, v4
	s_cbranch_execz .LBB261_976
; %bb.971:                              ;   in Loop: Header=BB261_12 Depth=1
	v_and_b32_e32 v85, 0x7f, v4
	v_mov_b32_e32 v106, 0x7c010000
	s_mov_b32 s21, exec_lo
	s_delay_alu instid0(VALU_DEP_2)
	v_cmpx_ne_u32_e32 0x7f, v85
	s_cbranch_execz .LBB261_975
; %bb.972:                              ;   in Loop: Header=BB261_12 Depth=1
	v_dual_lshrrev_b32 v83, 3, v85 :: v_dual_bitop2_b32 v38, 7, v4 bitop3:0x40
	s_mov_b32 s22, exec_lo
	v_cmpx_gt_u32_e32 8, v85
; %bb.973:                              ;   in Loop: Header=BB261_12 Depth=1
	s_delay_alu instid0(VALU_DEP_2) | instskip(NEXT) | instid1(VALU_DEP_1)
	v_clz_i32_u32_e32 v38, v38
	v_min_u32_e32 v38, 32, v38
	s_delay_alu instid0(VALU_DEP_1) | instskip(NEXT) | instid1(VALU_DEP_1)
	v_subrev_nc_u32_e32 v83, 28, v38
	v_lshlrev_b64_e32 v[114:115], v83, v[4:5]
	v_sub_nc_u32_e32 v83, 29, v38
	s_delay_alu instid0(VALU_DEP_2)
	v_and_b32_e32 v38, 7, v114
; %bb.974:                              ;   in Loop: Header=BB261_12 Depth=1
	s_or_b32 exec_lo, exec_lo, s22
	s_delay_alu instid0(VALU_DEP_1) | instskip(NEXT) | instid1(VALU_DEP_3)
	v_dual_lshlrev_b32 v4, 8, v4 :: v_dual_lshlrev_b32 v38, 23, v38
	v_lshl_add_u32 v83, v83, 10, 0x2000
	s_delay_alu instid0(VALU_DEP_1) | instskip(NEXT) | instid1(VALU_DEP_1)
	v_and_or_b32 v4, 0x8000, v4, v83
	v_lshl_or_b32 v106, v4, 16, v38
.LBB261_975:                            ;   in Loop: Header=BB261_12 Depth=1
	s_or_b32 exec_lo, exec_lo, s21
.LBB261_976:                            ;   in Loop: Header=BB261_12 Depth=1
	s_delay_alu instid0(SALU_CYCLE_1)
	s_or_b32 exec_lo, exec_lo, s20
.LBB261_977:                            ;   in Loop: Header=BB261_12 Depth=1
	s_delay_alu instid0(SALU_CYCLE_1)
	s_or_b32 exec_lo, exec_lo, s19
	flat_load_b32 v38, v[36:37] offset:3840
	v_dual_mov_b32 v95, 0 :: v_dual_mov_b32 v114, 0
	s_mov_b32 s19, exec_lo
	s_wait_loadcnt_dscnt 0x0
	v_and_b32_e32 v4, 0xff, v38
	s_wait_xcnt 0x0
	s_delay_alu instid0(VALU_DEP_1)
	v_cmpx_ne_u16_e32 0, v4
	s_cbranch_execz .LBB261_985
; %bb.978:                              ;   in Loop: Header=BB261_12 Depth=1
	v_mov_b32_e32 v114, 0x8000
	s_mov_b32 s20, exec_lo
	v_cmpx_ne_u16_e32 0x80, v4
	s_cbranch_execz .LBB261_984
; %bb.979:                              ;   in Loop: Header=BB261_12 Depth=1
	v_and_b32_e32 v85, 0x7f, v38
	v_mov_b32_e32 v114, 0x7c01
	s_mov_b32 s21, exec_lo
	s_delay_alu instid0(VALU_DEP_2)
	v_cmpx_ne_u32_e32 0x7f, v85
	s_cbranch_execz .LBB261_983
; %bb.980:                              ;   in Loop: Header=BB261_12 Depth=1
	v_dual_lshrrev_b32 v83, 3, v85 :: v_dual_bitop2_b32 v4, 7, v38 bitop3:0x40
	s_mov_b32 s22, exec_lo
	v_cmpx_gt_u32_e32 8, v85
; %bb.981:                              ;   in Loop: Header=BB261_12 Depth=1
	s_delay_alu instid0(VALU_DEP_2) | instskip(NEXT) | instid1(VALU_DEP_1)
	v_clz_i32_u32_e32 v4, v4
	v_min_u32_e32 v4, 32, v4
	s_delay_alu instid0(VALU_DEP_1) | instskip(NEXT) | instid1(VALU_DEP_1)
	v_subrev_nc_u32_e32 v83, 28, v4
	v_lshlrev_b64_e32 v[114:115], v83, v[38:39]
	s_delay_alu instid0(VALU_DEP_1)
	v_dual_sub_nc_u32 v83, 29, v4 :: v_dual_bitop2_b32 v4, 7, v114 bitop3:0x40
; %bb.982:                              ;   in Loop: Header=BB261_12 Depth=1
	s_or_b32 exec_lo, exec_lo, s22
	s_delay_alu instid0(VALU_DEP_1) | instskip(NEXT) | instid1(VALU_DEP_2)
	v_dual_lshlrev_b32 v85, 8, v38 :: v_dual_lshlrev_b32 v4, 7, v4
	v_lshl_add_u32 v83, v83, 10, 0x2000
	s_delay_alu instid0(VALU_DEP_2) | instskip(NEXT) | instid1(VALU_DEP_2)
	v_and_b32_e32 v85, 0x8000, v85
	v_and_b32_e32 v83, 0xfc00, v83
	s_delay_alu instid0(VALU_DEP_1)
	v_or3_b32 v114, v85, v83, v4
.LBB261_983:                            ;   in Loop: Header=BB261_12 Depth=1
	s_or_b32 exec_lo, exec_lo, s21
.LBB261_984:                            ;   in Loop: Header=BB261_12 Depth=1
	s_delay_alu instid0(SALU_CYCLE_1)
	s_or_b32 exec_lo, exec_lo, s20
.LBB261_985:                            ;   in Loop: Header=BB261_12 Depth=1
	s_delay_alu instid0(SALU_CYCLE_1) | instskip(SKIP_1) | instid1(VALU_DEP_1)
	s_or_b32 exec_lo, exec_lo, s19
	v_lshrrev_b16 v4, 8, v38
	v_cmp_ne_u16_e64 s3, 0, v4
	s_mov_b32 s19, exec_lo
	v_dual_mov_b32 v81, v118 :: v_dual_mov_b32 v23, v119
	s_and_b32 s3, s19, s3
	s_delay_alu instid0(SALU_CYCLE_1)
	s_mov_b32 exec_lo, s3
	s_cbranch_execz .LBB261_993
; %bb.986:                              ;   in Loop: Header=BB261_12 Depth=1
	v_bfrev_b32_e32 v95, 1
	s_mov_b32 s20, exec_lo
	v_cmpx_ne_u16_e32 0x80, v4
	s_cbranch_execz .LBB261_992
; %bb.987:                              ;   in Loop: Header=BB261_12 Depth=1
	v_and_b32_e32 v83, 0xffff, v4
	v_mov_b32_e32 v95, 0x7c010000
	s_mov_b32 s21, exec_lo
	s_delay_alu instid0(VALU_DEP_2) | instskip(NEXT) | instid1(VALU_DEP_1)
	v_and_b32_e32 v118, 0x7f, v83
	v_cmpx_ne_u32_e32 0x7f, v118
	s_cbranch_execz .LBB261_991
; %bb.988:                              ;   in Loop: Header=BB261_12 Depth=1
	v_dual_lshrrev_b32 v116, 3, v118 :: v_dual_bitop2_b32 v85, 7, v83 bitop3:0x40
	s_mov_b32 s22, exec_lo
	v_cmpx_gt_u32_e32 8, v118
; %bb.989:                              ;   in Loop: Header=BB261_12 Depth=1
	s_delay_alu instid0(VALU_DEP_2) | instskip(NEXT) | instid1(VALU_DEP_1)
	v_clz_i32_u32_e32 v85, v85
	v_min_u32_e32 v85, 32, v85
	s_delay_alu instid0(VALU_DEP_1) | instskip(NEXT) | instid1(VALU_DEP_1)
	v_subrev_nc_u32_e32 v115, 28, v85
	v_lshlrev_b64_e32 v[118:119], v115, v[4:5]
	s_delay_alu instid0(VALU_DEP_1)
	v_dual_sub_nc_u32 v116, 29, v85 :: v_dual_bitop2_b32 v85, 7, v118 bitop3:0x40
; %bb.990:                              ;   in Loop: Header=BB261_12 Depth=1
	s_or_b32 exec_lo, exec_lo, s22
	v_lshlrev_b32_e32 v4, 8, v83
	s_delay_alu instid0(VALU_DEP_2) | instskip(NEXT) | instid1(VALU_DEP_1)
	v_lshl_add_u32 v83, v116, 10, 0x2000
	v_and_or_b32 v4, 0x8000, v4, v83
	v_lshlrev_b32_e32 v83, 23, v85
	s_delay_alu instid0(VALU_DEP_1)
	v_lshl_or_b32 v95, v4, 16, v83
.LBB261_991:                            ;   in Loop: Header=BB261_12 Depth=1
	s_or_b32 exec_lo, exec_lo, s21
.LBB261_992:                            ;   in Loop: Header=BB261_12 Depth=1
	s_delay_alu instid0(SALU_CYCLE_1)
	s_or_b32 exec_lo, exec_lo, s20
.LBB261_993:                            ;   in Loop: Header=BB261_12 Depth=1
	s_delay_alu instid0(SALU_CYCLE_1) | instskip(SKIP_3) | instid1(VALU_DEP_2)
	s_or_b32 exec_lo, exec_lo, s19
	v_dual_lshrrev_b32 v4, 16, v38 :: v_dual_mov_b32 v116, 0
	v_mov_b32_e32 v118, 0
	s_mov_b32 s19, exec_lo
	v_and_b32_e32 v83, 0xff, v4
	s_delay_alu instid0(VALU_DEP_1)
	v_cmpx_ne_u16_e32 0, v83
	s_cbranch_execz .LBB261_1001
; %bb.994:                              ;   in Loop: Header=BB261_12 Depth=1
	v_mov_b32_e32 v118, 0x8000
	s_mov_b32 s20, exec_lo
	v_cmpx_ne_u16_e32 0x80, v83
	s_cbranch_execz .LBB261_1000
; %bb.995:                              ;   in Loop: Header=BB261_12 Depth=1
	v_bfe_u32 v40, v38, 16, 7
	v_mov_b32_e32 v118, 0x7c01
	s_mov_b32 s21, exec_lo
	s_delay_alu instid0(VALU_DEP_2)
	v_cmpx_ne_u32_e32 0x7f, v40
	s_cbranch_execz .LBB261_999
; %bb.996:                              ;   in Loop: Header=BB261_12 Depth=1
	v_and_b32_e32 v83, 7, v4
	v_lshrrev_b32_e32 v85, 3, v40
	s_mov_b32 s22, exec_lo
	v_cmpx_gt_u32_e32 8, v40
; %bb.997:                              ;   in Loop: Header=BB261_12 Depth=1
	s_delay_alu instid0(VALU_DEP_3) | instskip(NEXT) | instid1(VALU_DEP_1)
	v_clz_i32_u32_e32 v83, v83
	v_min_u32_e32 v83, 32, v83
	s_delay_alu instid0(VALU_DEP_1) | instskip(NEXT) | instid1(VALU_DEP_1)
	v_subrev_nc_u32_e32 v85, 28, v83
	v_lshlrev_b64_e32 v[118:119], v85, v[4:5]
	s_delay_alu instid0(VALU_DEP_1)
	v_dual_sub_nc_u32 v85, 29, v83 :: v_dual_bitop2_b32 v83, 7, v118 bitop3:0x40
; %bb.998:                              ;   in Loop: Header=BB261_12 Depth=1
	s_or_b32 exec_lo, exec_lo, s22
	s_delay_alu instid0(VALU_DEP_1) | instskip(NEXT) | instid1(VALU_DEP_2)
	v_dual_lshlrev_b32 v4, 8, v4 :: v_dual_lshlrev_b32 v83, 7, v83
	v_lshl_add_u32 v85, v85, 10, 0x2000
	s_delay_alu instid0(VALU_DEP_2) | instskip(NEXT) | instid1(VALU_DEP_2)
	v_and_b32_e32 v4, 0x8000, v4
	v_and_b32_e32 v85, 0xfc00, v85
	s_delay_alu instid0(VALU_DEP_1)
	v_or3_b32 v118, v4, v85, v83
.LBB261_999:                            ;   in Loop: Header=BB261_12 Depth=1
	s_or_b32 exec_lo, exec_lo, s21
.LBB261_1000:                           ;   in Loop: Header=BB261_12 Depth=1
	s_delay_alu instid0(SALU_CYCLE_1)
	s_or_b32 exec_lo, exec_lo, s20
.LBB261_1001:                           ;   in Loop: Header=BB261_12 Depth=1
	s_delay_alu instid0(SALU_CYCLE_1) | instskip(NEXT) | instid1(SALU_CYCLE_1)
	s_or_b32 exec_lo, exec_lo, s19
	s_mov_b32 s19, exec_lo
	v_cmpx_lt_u32_e32 0xffffff, v38
	s_cbranch_execz .LBB261_1009
; %bb.1002:                             ;   in Loop: Header=BB261_12 Depth=1
	v_lshrrev_b32_e32 v4, 24, v38
	v_bfrev_b32_e32 v116, 1
	s_mov_b32 s20, exec_lo
	s_delay_alu instid0(VALU_DEP_2)
	v_cmpx_ne_u32_e32 0x80, v4
	s_cbranch_execz .LBB261_1008
; %bb.1003:                             ;   in Loop: Header=BB261_12 Depth=1
	v_and_b32_e32 v85, 0x7f, v4
	v_mov_b32_e32 v116, 0x7c010000
	s_mov_b32 s21, exec_lo
	s_delay_alu instid0(VALU_DEP_2)
	v_cmpx_ne_u32_e32 0x7f, v85
	s_cbranch_execz .LBB261_1007
; %bb.1004:                             ;   in Loop: Header=BB261_12 Depth=1
	v_dual_lshrrev_b32 v83, 3, v85 :: v_dual_bitop2_b32 v38, 7, v4 bitop3:0x40
	s_mov_b32 s22, exec_lo
	v_cmpx_gt_u32_e32 8, v85
; %bb.1005:                             ;   in Loop: Header=BB261_12 Depth=1
	s_delay_alu instid0(VALU_DEP_2) | instskip(NEXT) | instid1(VALU_DEP_1)
	v_clz_i32_u32_e32 v38, v38
	v_min_u32_e32 v38, 32, v38
	s_delay_alu instid0(VALU_DEP_1) | instskip(NEXT) | instid1(VALU_DEP_1)
	v_subrev_nc_u32_e32 v83, 28, v38
	v_lshlrev_b64_e32 v[116:117], v83, v[4:5]
	s_delay_alu instid0(VALU_DEP_1)
	v_dual_sub_nc_u32 v83, 29, v38 :: v_dual_bitop2_b32 v38, 7, v116 bitop3:0x40
; %bb.1006:                             ;   in Loop: Header=BB261_12 Depth=1
	s_or_b32 exec_lo, exec_lo, s22
	s_delay_alu instid0(VALU_DEP_1) | instskip(NEXT) | instid1(VALU_DEP_2)
	v_dual_lshlrev_b32 v4, 8, v4 :: v_dual_lshlrev_b32 v38, 23, v38
	v_lshl_add_u32 v83, v83, 10, 0x2000
	s_delay_alu instid0(VALU_DEP_1) | instskip(NEXT) | instid1(VALU_DEP_1)
	v_and_or_b32 v4, 0x8000, v4, v83
	v_lshl_or_b32 v116, v4, 16, v38
.LBB261_1007:                           ;   in Loop: Header=BB261_12 Depth=1
	s_or_b32 exec_lo, exec_lo, s21
.LBB261_1008:                           ;   in Loop: Header=BB261_12 Depth=1
	s_delay_alu instid0(SALU_CYCLE_1)
	s_or_b32 exec_lo, exec_lo, s20
.LBB261_1009:                           ;   in Loop: Header=BB261_12 Depth=1
	s_delay_alu instid0(SALU_CYCLE_1)
	s_or_b32 exec_lo, exec_lo, s19
	flat_load_b32 v36, v[36:37] offset:3848
	s_wait_xcnt 0x0
	v_dual_mov_b32 v38, 0 :: v_dual_mov_b32 v37, 0
	s_mov_b32 s19, exec_lo
	s_wait_loadcnt_dscnt 0x0
	v_and_b32_e32 v4, 0xff, v36
	s_delay_alu instid0(VALU_DEP_1)
	v_cmpx_ne_u16_e32 0, v4
	s_cbranch_execz .LBB261_1017
; %bb.1010:                             ;   in Loop: Header=BB261_12 Depth=1
	v_mov_b32_e32 v37, 0x8000
	s_mov_b32 s20, exec_lo
	v_cmpx_ne_u16_e32 0x80, v4
	s_cbranch_execz .LBB261_1016
; %bb.1011:                             ;   in Loop: Header=BB261_12 Depth=1
	v_and_b32_e32 v83, 0x7f, v36
	v_mov_b32_e32 v37, 0x7c01
	s_mov_b32 s21, exec_lo
	s_delay_alu instid0(VALU_DEP_2)
	v_cmpx_ne_u32_e32 0x7f, v83
	s_cbranch_execz .LBB261_1015
; %bb.1012:                             ;   in Loop: Header=BB261_12 Depth=1
	v_dual_lshrrev_b32 v37, 3, v83 :: v_dual_bitop2_b32 v4, 7, v36 bitop3:0x40
	s_mov_b32 s22, exec_lo
	v_cmpx_gt_u32_e32 8, v83
	s_cbranch_execz .LBB261_1014
; %bb.1013:                             ;   in Loop: Header=BB261_12 Depth=1
	s_delay_alu instid0(VALU_DEP_2) | instskip(SKIP_1) | instid1(VALU_DEP_2)
	v_clz_i32_u32_e32 v4, v4
	v_dual_mov_b32 v83, v111 :: v_dual_mov_b32 v85, v110
	v_min_u32_e32 v4, 32, v4
	s_delay_alu instid0(VALU_DEP_1) | instskip(NEXT) | instid1(VALU_DEP_1)
	v_subrev_nc_u32_e32 v37, 28, v4
	v_lshlrev_b64_e32 v[110:111], v37, v[36:37]
	s_delay_alu instid0(VALU_DEP_4) | instskip(NEXT) | instid1(VALU_DEP_2)
	v_dual_mov_b32 v111, v83 :: v_dual_sub_nc_u32 v37, 29, v4
	v_dual_mov_b32 v110, v85 :: v_dual_bitop2_b32 v4, 7, v110 bitop3:0x40
.LBB261_1014:                           ;   in Loop: Header=BB261_12 Depth=1
	s_or_b32 exec_lo, exec_lo, s22
	v_lshlrev_b32_e32 v83, 8, v36
	s_delay_alu instid0(VALU_DEP_3) | instskip(NEXT) | instid1(VALU_DEP_3)
	v_lshl_add_u32 v37, v37, 10, 0x2000
	v_lshlrev_b32_e32 v4, 7, v4
	s_delay_alu instid0(VALU_DEP_3) | instskip(NEXT) | instid1(VALU_DEP_3)
	v_and_b32_e32 v83, 0x8000, v83
	v_and_b32_e32 v37, 0xfc00, v37
	s_delay_alu instid0(VALU_DEP_1)
	v_or3_b32 v37, v83, v37, v4
.LBB261_1015:                           ;   in Loop: Header=BB261_12 Depth=1
	s_or_b32 exec_lo, exec_lo, s21
.LBB261_1016:                           ;   in Loop: Header=BB261_12 Depth=1
	s_delay_alu instid0(SALU_CYCLE_1)
	s_or_b32 exec_lo, exec_lo, s20
.LBB261_1017:                           ;   in Loop: Header=BB261_12 Depth=1
	s_delay_alu instid0(SALU_CYCLE_1) | instskip(SKIP_2) | instid1(VALU_DEP_1)
	s_or_b32 exec_lo, exec_lo, s19
	v_lshrrev_b16 v4, 8, v36
	s_mov_b32 s19, exec_lo
	v_cmpx_ne_u16_e32 0, v4
	s_cbranch_execz .LBB261_1025
; %bb.1018:                             ;   in Loop: Header=BB261_12 Depth=1
	v_bfrev_b32_e32 v38, 1
	s_mov_b32 s20, exec_lo
	v_cmpx_ne_u16_e32 0x80, v4
	s_cbranch_execz .LBB261_1024
; %bb.1019:                             ;   in Loop: Header=BB261_12 Depth=1
	v_and_b32_e32 v83, 0xffff, v4
	v_mov_b32_e32 v38, 0x7c010000
	s_mov_b32 s21, exec_lo
	s_delay_alu instid0(VALU_DEP_2) | instskip(NEXT) | instid1(VALU_DEP_1)
	v_and_b32_e32 v40, 0x7f, v83
	v_cmpx_ne_u32_e32 0x7f, v40
	s_cbranch_execz .LBB261_1023
; %bb.1020:                             ;   in Loop: Header=BB261_12 Depth=1
	v_dual_lshrrev_b32 v85, 3, v40 :: v_dual_bitop2_b32 v38, 7, v83 bitop3:0x40
	s_mov_b32 s22, exec_lo
	v_cmpx_gt_u32_e32 8, v40
	s_cbranch_execz .LBB261_1022
; %bb.1021:                             ;   in Loop: Header=BB261_12 Depth=1
	s_delay_alu instid0(VALU_DEP_2) | instskip(SKIP_1) | instid1(VALU_DEP_2)
	v_clz_i32_u32_e32 v38, v38
	v_dual_mov_b32 v115, v111 :: v_dual_mov_b32 v117, v110
	v_min_u32_e32 v38, 32, v38
	s_delay_alu instid0(VALU_DEP_1) | instskip(NEXT) | instid1(VALU_DEP_1)
	v_subrev_nc_u32_e32 v85, 28, v38
	v_lshlrev_b64_e32 v[110:111], v85, v[4:5]
	s_delay_alu instid0(VALU_DEP_4) | instskip(NEXT) | instid1(VALU_DEP_2)
	v_dual_mov_b32 v111, v115 :: v_dual_sub_nc_u32 v85, 29, v38
	v_dual_mov_b32 v110, v117 :: v_dual_bitop2_b32 v38, 7, v110 bitop3:0x40
.LBB261_1022:                           ;   in Loop: Header=BB261_12 Depth=1
	s_or_b32 exec_lo, exec_lo, s22
	s_delay_alu instid0(VALU_DEP_1) | instskip(NEXT) | instid1(VALU_DEP_3)
	v_dual_lshlrev_b32 v4, 8, v83 :: v_dual_lshlrev_b32 v38, 23, v38
	v_lshl_add_u32 v83, v85, 10, 0x2000
	s_delay_alu instid0(VALU_DEP_1) | instskip(NEXT) | instid1(VALU_DEP_1)
	v_and_or_b32 v4, 0x8000, v4, v83
	v_lshl_or_b32 v38, v4, 16, v38
.LBB261_1023:                           ;   in Loop: Header=BB261_12 Depth=1
	s_or_b32 exec_lo, exec_lo, s21
.LBB261_1024:                           ;   in Loop: Header=BB261_12 Depth=1
	s_delay_alu instid0(SALU_CYCLE_1)
	s_or_b32 exec_lo, exec_lo, s20
.LBB261_1025:                           ;   in Loop: Header=BB261_12 Depth=1
	s_delay_alu instid0(SALU_CYCLE_1) | instskip(SKIP_3) | instid1(VALU_DEP_2)
	s_or_b32 exec_lo, exec_lo, s19
	v_dual_mov_b32 v83, 0 :: v_dual_lshrrev_b32 v4, 16, v36
	v_mov_b32_e32 v85, 0
	s_mov_b32 s19, exec_lo
	v_and_b32_e32 v40, 0xff, v4
	s_delay_alu instid0(VALU_DEP_1)
	v_cmpx_ne_u16_e32 0, v40
	s_cbranch_execz .LBB261_1033
; %bb.1026:                             ;   in Loop: Header=BB261_12 Depth=1
	v_mov_b32_e32 v85, 0x8000
	s_mov_b32 s20, exec_lo
	v_cmpx_ne_u16_e32 0x80, v40
	s_cbranch_execz .LBB261_1032
; %bb.1027:                             ;   in Loop: Header=BB261_12 Depth=1
	v_mov_b32_e32 v75, v42
	v_bfe_u32 v42, v36, 16, 7
	v_mov_b32_e32 v85, 0x7c01
	s_mov_b32 s21, exec_lo
	s_delay_alu instid0(VALU_DEP_2)
	v_cmpx_ne_u32_e32 0x7f, v42
	s_cbranch_execz .LBB261_1031
; %bb.1028:                             ;   in Loop: Header=BB261_12 Depth=1
	v_dual_lshrrev_b32 v40, 3, v42 :: v_dual_bitop2_b32 v85, 7, v4 bitop3:0x40
	s_mov_b32 s22, exec_lo
	v_cmpx_gt_u32_e32 8, v42
	s_cbranch_execz .LBB261_1030
; %bb.1029:                             ;   in Loop: Header=BB261_12 Depth=1
	s_delay_alu instid0(VALU_DEP_2) | instskip(SKIP_1) | instid1(VALU_DEP_2)
	v_clz_i32_u32_e32 v85, v85
	v_dual_mov_b32 v117, v111 :: v_dual_mov_b32 v119, v110
	v_min_u32_e32 v85, 32, v85
	s_delay_alu instid0(VALU_DEP_1) | instskip(SKIP_1) | instid1(VALU_DEP_2)
	v_subrev_nc_u32_e32 v115, 28, v85
	v_sub_nc_u32_e32 v40, 29, v85
	v_lshlrev_b64_e32 v[110:111], v115, v[4:5]
	s_delay_alu instid0(VALU_DEP_1)
	v_dual_mov_b32 v111, v117 :: v_dual_bitop2_b32 v85, 7, v110 bitop3:0x40
	v_mov_b32_e32 v110, v119
.LBB261_1030:                           ;   in Loop: Header=BB261_12 Depth=1
	s_or_b32 exec_lo, exec_lo, s22
	s_delay_alu instid0(VALU_DEP_2) | instskip(SKIP_1) | instid1(VALU_DEP_2)
	v_dual_lshlrev_b32 v4, 8, v4 :: v_dual_lshlrev_b32 v85, 7, v85
	v_lshl_add_u32 v115, v40, 10, 0x2000
	v_and_b32_e32 v4, 0x8000, v4
	s_delay_alu instid0(VALU_DEP_2) | instskip(NEXT) | instid1(VALU_DEP_1)
	v_and_b32_e32 v115, 0xfc00, v115
	v_or3_b32 v85, v4, v115, v85
.LBB261_1031:                           ;   in Loop: Header=BB261_12 Depth=1
	s_or_b32 exec_lo, exec_lo, s21
	v_mov_b32_e32 v42, v75
.LBB261_1032:                           ;   in Loop: Header=BB261_12 Depth=1
	s_or_b32 exec_lo, exec_lo, s20
.LBB261_1033:                           ;   in Loop: Header=BB261_12 Depth=1
	s_delay_alu instid0(SALU_CYCLE_1)
	s_or_b32 exec_lo, exec_lo, s19
	v_mov_b32_e32 v117, v74
	s_mov_b32 s19, exec_lo
	v_cmpx_lt_u32_e32 0xffffff, v36
	s_cbranch_execz .LBB261_1041
; %bb.1034:                             ;   in Loop: Header=BB261_12 Depth=1
	v_lshrrev_b32_e32 v4, 24, v36
	v_bfrev_b32_e32 v83, 1
	s_mov_b32 s20, exec_lo
	s_delay_alu instid0(VALU_DEP_2)
	v_cmpx_ne_u32_e32 0x80, v4
	s_cbranch_execz .LBB261_1040
; %bb.1035:                             ;   in Loop: Header=BB261_12 Depth=1
	v_and_b32_e32 v40, 0x7f, v4
	v_mov_b32_e32 v83, 0x7c010000
	s_mov_b32 s21, exec_lo
	s_delay_alu instid0(VALU_DEP_2)
	v_cmpx_ne_u32_e32 0x7f, v40
	s_cbranch_execz .LBB261_1039
; %bb.1036:                             ;   in Loop: Header=BB261_12 Depth=1
	v_and_b32_e32 v36, 7, v4
	v_lshrrev_b32_e32 v83, 3, v40
	s_mov_b32 s22, exec_lo
	v_cmpx_gt_u32_e32 8, v40
; %bb.1037:                             ;   in Loop: Header=BB261_12 Depth=1
	s_delay_alu instid0(VALU_DEP_3) | instskip(NEXT) | instid1(VALU_DEP_1)
	v_clz_i32_u32_e32 v36, v36
	v_min_u32_e32 v36, 32, v36
	s_delay_alu instid0(VALU_DEP_1) | instskip(NEXT) | instid1(VALU_DEP_1)
	v_subrev_nc_u32_e32 v83, 28, v36
	v_lshlrev_b64_e32 v[74:75], v83, v[4:5]
	s_delay_alu instid0(VALU_DEP_1)
	v_dual_sub_nc_u32 v83, 29, v36 :: v_dual_bitop2_b32 v36, 7, v74 bitop3:0x40
; %bb.1038:                             ;   in Loop: Header=BB261_12 Depth=1
	s_or_b32 exec_lo, exec_lo, s22
	v_lshlrev_b32_e32 v4, 8, v4
	s_delay_alu instid0(VALU_DEP_2) | instskip(NEXT) | instid1(VALU_DEP_3)
	v_lshl_add_u32 v83, v83, 10, 0x2000
	v_lshlrev_b32_e32 v36, 23, v36
	s_delay_alu instid0(VALU_DEP_2) | instskip(NEXT) | instid1(VALU_DEP_1)
	v_and_or_b32 v4, 0x8000, v4, v83
	v_lshl_or_b32 v83, v4, 16, v36
.LBB261_1039:                           ;   in Loop: Header=BB261_12 Depth=1
	s_or_b32 exec_lo, exec_lo, s21
.LBB261_1040:                           ;   in Loop: Header=BB261_12 Depth=1
	s_delay_alu instid0(SALU_CYCLE_1)
	s_or_b32 exec_lo, exec_lo, s20
.LBB261_1041:                           ;   in Loop: Header=BB261_12 Depth=1
	s_delay_alu instid0(SALU_CYCLE_1)
	s_or_b32 exec_lo, exec_lo, s19
	v_or_b32_e32 v4, v95, v114
	v_fma_mixlo_f16 v36, v31, v95, 0 op_sel:[0,1,0] op_sel_hi:[0,1,0]
	v_or_b32_e32 v0, v1, v0
	v_fma_mixlo_f16 v75, v31, v77, 0 op_sel:[0,1,0] op_sel_hi:[0,1,0]
	v_fma_mixlo_f16 v119, v31, v99, 0 op_sel:[0,1,0] op_sel_hi:[0,1,0]
	v_fma_mixlo_f16 v4, v31, v4, 0 op_sel_hi:[0,1,0]
	v_fma_mixlo_f16 v95, v31, v47, 0 op_sel:[0,1,0] op_sel_hi:[0,1,0]
	scratch_store_b32 off, v4, s32 offset:324 ; 4-byte Folded Spill
	s_wait_xcnt 0x0
	v_or_b32_e32 v4, v116, v118
	s_delay_alu instid0(VALU_DEP_1)
	v_fma_mixlo_f16 v4, v31, v4, 0 op_sel_hi:[0,1,0]
	scratch_store_b32 off, v4, s32 offset:316 ; 4-byte Folded Spill
	s_wait_xcnt 0x0
	v_fma_mixlo_f16 v4, v31, v116, 0 op_sel:[0,1,0] op_sel_hi:[0,1,0]
	scratch_store_b32 off, v36, s32 offset:320 ; 4-byte Folded Spill
	s_wait_xcnt 0x0
	v_fma_mixlo_f16 v36, v31, v109, 0 op_sel:[0,1,0] op_sel_hi:[0,1,0]
	scratch_store_b32 off, v4, s32 offset:312 ; 4-byte Folded Spill
	s_wait_xcnt 0x0
	v_or_b32_e32 v4, v109, v120
	v_fma_mixlo_f16 v120, v31, v7, 0 op_sel:[0,1,0] op_sel_hi:[0,1,0]
	s_delay_alu instid0(VALU_DEP_2) | instskip(SKIP_4) | instid1(VALU_DEP_2)
	v_fma_mixlo_f16 v4, v31, v4, 0 op_sel_hi:[0,1,0]
	scratch_store_b32 off, v4, s32 offset:340 ; 4-byte Folded Spill
	s_wait_xcnt 0x0
	v_or_b32_e32 v4, v106, v126
	v_fma_mixlo_f16 v126, v31, v22, 0 op_sel:[0,1,0] op_sel_hi:[0,1,0]
	v_fma_mixlo_f16 v4, v31, v4, 0 op_sel_hi:[0,1,0]
	scratch_store_b32 off, v4, s32 offset:332 ; 4-byte Folded Spill
	s_wait_xcnt 0x0
	v_fma_mixlo_f16 v4, v31, v106, 0 op_sel:[0,1,0] op_sel_hi:[0,1,0]
	scratch_store_b32 off, v36, s32 offset:336 ; 4-byte Folded Spill
	s_wait_xcnt 0x0
	v_fma_mixlo_f16 v36, v31, v54, 0 op_sel:[0,1,0] op_sel_hi:[0,1,0]
	scratch_store_b32 off, v4, s32 offset:328 ; 4-byte Folded Spill
	s_wait_xcnt 0x0
	v_or_b32_e32 v4, v54, v107
	s_delay_alu instid0(VALU_DEP_1) | instskip(SKIP_3) | instid1(VALU_DEP_1)
	v_fma_mixlo_f16 v4, v31, v4, 0 op_sel_hi:[0,1,0]
	scratch_store_b32 off, v4, s32 offset:356 ; 4-byte Folded Spill
	s_wait_xcnt 0x0
	v_or_b32_e32 v4, v67, v123
	v_fma_mixlo_f16 v4, v31, v4, 0 op_sel_hi:[0,1,0]
	scratch_store_b32 off, v4, s32 offset:348 ; 4-byte Folded Spill
	s_wait_xcnt 0x0
	v_fma_mixlo_f16 v4, v31, v67, 0 op_sel:[0,1,0] op_sel_hi:[0,1,0]
	scratch_store_b32 off, v36, s32 offset:352 ; 4-byte Folded Spill
	s_wait_xcnt 0x0
	v_fma_mixlo_f16 v36, v31, v66, 0 op_sel:[0,1,0] op_sel_hi:[0,1,0]
	scratch_store_b32 off, v4, s32 offset:344 ; 4-byte Folded Spill
	s_wait_xcnt 0x0
	v_or_b32_e32 v4, v66, v112
	v_fma_mixlo_f16 v66, v31, v69, 0 op_sel:[0,1,0] op_sel_hi:[0,1,0]
	v_fma_mixlo_f16 v112, v31, v70, 0 op_sel:[0,1,0] op_sel_hi:[0,1,0]
	s_delay_alu instid0(VALU_DEP_3) | instskip(SKIP_4) | instid1(VALU_DEP_2)
	v_fma_mixlo_f16 v4, v31, v4, 0 op_sel_hi:[0,1,0]
	scratch_store_b32 off, v4, s32 offset:372 ; 4-byte Folded Spill
	s_wait_xcnt 0x0
	v_or_b32_e32 v4, v94, v127
	v_fma_mixlo_f16 v127, v31, v48, 0 op_sel:[0,1,0] op_sel_hi:[0,1,0]
	v_fma_mixlo_f16 v4, v31, v4, 0 op_sel_hi:[0,1,0]
	scratch_store_b32 off, v4, s32 offset:364 ; 4-byte Folded Spill
	s_wait_xcnt 0x0
	v_fma_mixlo_f16 v4, v31, v94, 0 op_sel:[0,1,0] op_sel_hi:[0,1,0]
	s_clause 0x1
	scratch_store_b32 off, v36, s32 offset:368
	scratch_store_b32 off, v4, s32 offset:360
	s_wait_xcnt 0x0
	v_or_b32_e32 v4, v13, v19
	v_fma_mixlo_f16 v13, v31, v13, 0 op_sel:[0,1,0] op_sel_hi:[0,1,0]
	v_fma_mixlo_f16 v19, v31, v11, 0 op_sel:[0,1,0] op_sel_hi:[0,1,0]
	s_delay_alu instid0(VALU_DEP_3) | instskip(SKIP_3) | instid1(VALU_DEP_1)
	v_fma_mixlo_f16 v4, v31, v4, 0 op_sel_hi:[0,1,0]
	scratch_store_b32 off, v4, s32 offset:388 ; 4-byte Folded Spill
	s_wait_xcnt 0x0
	v_or_b32_e32 v4, v65, v55
	v_fma_mixlo_f16 v4, v31, v4, 0 op_sel_hi:[0,1,0]
	scratch_store_b32 off, v4, s32 offset:380 ; 4-byte Folded Spill
	s_wait_xcnt 0x0
	v_fma_mixlo_f16 v4, v31, v65, 0 op_sel:[0,1,0] op_sel_hi:[0,1,0]
	scratch_store_b32 off, v13, s32 offset:384 ; 4-byte Folded Spill
	s_wait_xcnt 0x0
	v_fma_mixlo_f16 v13, v31, v14, 0 op_sel:[0,1,0] op_sel_hi:[0,1,0]
	scratch_store_b32 off, v4, s32 offset:376 ; 4-byte Folded Spill
	s_wait_xcnt 0x0
	v_or_b32_e32 v4, v14, v16
	v_fma_mixlo_f16 v14, v31, v0, 0 op_sel_hi:[0,1,0]
	v_or_b32_e32 v0, v70, v76
	v_fma_mixlo_f16 v70, v31, v97, 0 op_sel:[0,1,0] op_sel_hi:[0,1,0]
	s_delay_alu instid0(VALU_DEP_4) | instskip(NEXT) | instid1(VALU_DEP_3)
	v_fma_mixlo_f16 v4, v31, v4, 0 op_sel_hi:[0,1,0]
	v_fma_mixlo_f16 v94, v31, v0, 0 op_sel_hi:[0,1,0]
	v_or_b32_e32 v0, v121, v122
	scratch_store_b32 off, v4, s32 offset:404 ; 4-byte Folded Spill
	s_wait_xcnt 0x0
	v_or_b32_e32 v4, v29, v64
	v_fma_mixlo_f16 v64, v31, v18, 0 op_sel:[0,1,0] op_sel_hi:[0,1,0]
	s_delay_alu instid0(VALU_DEP_2)
	v_fma_mixlo_f16 v4, v31, v4, 0 op_sel_hi:[0,1,0]
	scratch_store_b32 off, v4, s32 offset:396 ; 4-byte Folded Spill
	s_wait_xcnt 0x0
	v_fma_mixlo_f16 v4, v31, v29, 0 op_sel:[0,1,0] op_sel_hi:[0,1,0]
	scratch_store_b32 off, v13, s32 offset:400 ; 4-byte Folded Spill
	s_wait_xcnt 0x0
	v_fma_mixlo_f16 v13, v31, v8, 0 op_sel:[0,1,0] op_sel_hi:[0,1,0]
	v_fma_mixlo_f16 v29, v31, v79, 0 op_sel:[0,1,0] op_sel_hi:[0,1,0]
	scratch_store_b32 off, v4, s32 offset:392 ; 4-byte Folded Spill
	s_wait_xcnt 0x0
	v_or_b32_e32 v4, v6, v10
	v_fma_mixlo_f16 v10, v31, v0, 0 op_sel_hi:[0,1,0]
	scratch_load_b32 v0, off, s32 offset:288 th:TH_LOAD_LU ; 4-byte Folded Reload
	v_fma_mixlo_f16 v6, v31, v6, 0 op_sel:[0,1,0] op_sel_hi:[0,1,0]
	v_fma_mixlo_f16 v4, v31, v4, 0 op_sel_hi:[0,1,0]
	scratch_store_b32 off, v4, s32 offset:420 ; 4-byte Folded Spill
	s_wait_xcnt 0x0
	v_or_b32_e32 v4, v15, v24
	s_delay_alu instid0(VALU_DEP_1)
	v_fma_mixlo_f16 v4, v31, v4, 0 op_sel_hi:[0,1,0]
	scratch_store_b32 off, v4, s32 offset:412 ; 4-byte Folded Spill
	s_wait_xcnt 0x0
	v_fma_mixlo_f16 v4, v31, v15, 0 op_sel:[0,1,0] op_sel_hi:[0,1,0]
	scratch_store_b32 off, v6, s32 offset:416 ; 4-byte Folded Spill
	s_wait_xcnt 0x0
	v_fma_mixlo_f16 v6, v31, v51, 0 op_sel:[0,1,0] op_sel_hi:[0,1,0]
	v_fma_mixlo_f16 v15, v31, v1, 0 op_sel:[0,1,0] op_sel_hi:[0,1,0]
	scratch_store_b32 off, v4, s32 offset:408 ; 4-byte Folded Spill
	s_wait_xcnt 0x0
	v_or_b32_e32 v4, v7, v9
	v_fma_mixlo_f16 v9, v31, v62, 0 op_sel:[0,1,0] op_sel_hi:[0,1,0]
	v_fma_mixlo_f16 v7, v31, v125, 0 op_sel:[0,1,0] op_sel_hi:[0,1,0]
	s_delay_alu instid0(VALU_DEP_3) | instskip(SKIP_2) | instid1(VALU_DEP_2)
	v_fma_mixlo_f16 v107, v31, v4, 0 op_sel_hi:[0,1,0]
	v_or_b32_e32 v4, v48, v96
	v_fma_mixlo_f16 v48, v31, v2, 0 op_sel:[0,1,0] op_sel_hi:[0,1,0]
	v_fma_mixlo_f16 v123, v31, v4, 0 op_sel_hi:[0,1,0]
	v_or_b32_e32 v4, v18, v20
	s_delay_alu instid0(VALU_DEP_1) | instskip(SKIP_1) | instid1(VALU_DEP_1)
	v_fma_mixlo_f16 v55, v31, v4, 0 op_sel_hi:[0,1,0]
	v_or_b32_e32 v4, v69, v21
	v_fma_mixlo_f16 v65, v31, v4, 0 op_sel_hi:[0,1,0]
	v_or_b32_e32 v4, v2, v68
	v_or_b32_e32 v2, v86, v71
	v_fma_mixlo_f16 v68, v31, v86, 0 op_sel:[0,1,0] op_sel_hi:[0,1,0]
	v_fma_mixlo_f16 v86, v31, v82, 0 op_sel:[0,1,0] op_sel_hi:[0,1,0]
	s_delay_alu instid0(VALU_DEP_4) | instskip(NEXT) | instid1(VALU_DEP_4)
	v_fma_mixlo_f16 v69, v31, v4, 0 op_sel_hi:[0,1,0]
	v_fma_mixlo_f16 v71, v31, v2, 0 op_sel_hi:[0,1,0]
	v_or_b32_e32 v2, v82, v84
	v_fma_mixlo_f16 v82, v31, v89, 0 op_sel:[0,1,0] op_sel_hi:[0,1,0]
	v_fma_mixlo_f16 v4, v31, v103, 0 op_sel:[0,1,0] op_sel_hi:[0,1,0]
	s_delay_alu instid0(VALU_DEP_3) | instskip(SKIP_2) | instid1(VALU_DEP_2)
	v_fma_mixlo_f16 v96, v31, v2, 0 op_sel_hi:[0,1,0]
	v_or_b32_e32 v2, v89, v93
	v_fma_mixlo_f16 v93, v31, v49, 0 op_sel:[0,1,0] op_sel_hi:[0,1,0]
	v_fma_mixlo_f16 v84, v31, v2, 0 op_sel_hi:[0,1,0]
	v_or_b32_e32 v2, v98, v100
	v_fma_mixlo_f16 v100, v31, v98, 0 op_sel:[0,1,0] op_sel_hi:[0,1,0]
	v_fma_mixlo_f16 v98, v31, v102, 0 op_sel:[0,1,0] op_sel_hi:[0,1,0]
	s_delay_alu instid0(VALU_DEP_3) | instskip(SKIP_1) | instid1(VALU_DEP_1)
	v_fma_mixlo_f16 v89, v31, v2, 0 op_sel_hi:[0,1,0]
	v_or_b32_e32 v2, v102, v90
	v_fma_mixlo_f16 v36, v31, v2, 0 op_sel_hi:[0,1,0]
	v_or_b32_e32 v2, v80, v35
	v_fma_mixlo_f16 v80, v31, v80, 0 op_sel:[0,1,0] op_sel_hi:[0,1,0]
	s_delay_alu instid0(VALU_DEP_2) | instskip(SKIP_2) | instid1(VALU_DEP_2)
	v_fma_mixlo_f16 v102, v31, v2, 0 op_sel_hi:[0,1,0]
	v_or_b32_e32 v2, v79, v88
	v_fma_mixlo_f16 v79, v31, v32, 0 op_sel:[0,1,0] op_sel_hi:[0,1,0]
	v_fma_mixlo_f16 v88, v31, v2, 0 op_sel_hi:[0,1,0]
	v_or_b32_e32 v2, v32, v57
	v_fma_mixlo_f16 v32, v31, v3, 0 op_sel:[0,1,0] op_sel_hi:[0,1,0]
	v_fma_mixlo_f16 v57, v31, v101, 0 op_sel:[0,1,0] op_sel_hi:[0,1,0]
	s_delay_alu instid0(VALU_DEP_3) | instskip(SKIP_2) | instid1(VALU_DEP_2)
	v_fma_mixlo_f16 v90, v31, v2, 0 op_sel_hi:[0,1,0]
	v_or_b32_e32 v2, v3, v33
	v_fma_mixlo_f16 v3, v31, v42, 0 op_sel:[0,1,0] op_sel_hi:[0,1,0]
	v_fma_mixlo_f16 v24, v31, v2, 0 op_sel_hi:[0,1,0]
	v_or_b32_e32 v2, v52, v72
	v_fma_mixlo_f16 v52, v31, v52, 0 op_sel:[0,1,0] op_sel_hi:[0,1,0]
	s_delay_alu instid0(VALU_DEP_2) | instskip(SKIP_2) | instid1(VALU_DEP_2)
	v_fma_mixlo_f16 v20, v31, v2, 0 op_sel_hi:[0,1,0]
	v_or_b32_e32 v2, v25, v17
	v_fma_mixlo_f16 v25, v31, v25, 0 op_sel:[0,1,0] op_sel_hi:[0,1,0]
	v_fma_mixlo_f16 v21, v31, v2, 0 op_sel_hi:[0,1,0]
	v_or_b32_e32 v2, v49, v78
	v_fma_mixlo_f16 v49, v31, v39, 0 op_sel:[0,1,0] op_sel_hi:[0,1,0]
	s_delay_alu instid0(VALU_DEP_2) | instskip(SKIP_3) | instid1(VALU_DEP_3)
	v_fma_mixlo_f16 v16, v31, v2, 0 op_sel_hi:[0,1,0]
	v_or_b32_e32 v2, v11, v92
	v_fma_mixlo_f16 v11, v31, v121, 0 op_sel:[0,1,0] op_sel_hi:[0,1,0]
	v_fma_mixlo_f16 v121, v31, v91, 0 op_sel:[0,1,0] op_sel_hi:[0,1,0]
	v_fma_mixlo_f16 v18, v31, v2, 0 op_sel_hi:[0,1,0]
	v_or_b32_e32 v2, v8, v45
	v_fma_mixlo_f16 v45, v31, v113, 0 op_sel:[0,1,0] op_sel_hi:[0,1,0]
	s_delay_alu instid0(VALU_DEP_2) | instskip(NEXT) | instid1(VALU_DEP_1)
	v_fma_mixlo_f16 v17, v31, v2, 0 op_sel_hi:[0,1,0]
	v_and_b32_e32 v17, 0xffff, v17
	s_wait_loadcnt 0x0
	v_or_b32_e32 v0, v91, v0
	v_fma_mixlo_f16 v91, v31, v104, 0 op_sel:[0,1,0] op_sel_hi:[0,1,0]
	s_delay_alu instid0(VALU_DEP_2) | instskip(SKIP_2) | instid1(VALU_DEP_2)
	v_fma_mixlo_f16 v122, v31, v0, 0 op_sel_hi:[0,1,0]
	v_or_b32_e32 v0, v104, v105
	v_fma_mixlo_f16 v104, v31, v60, 0 op_sel:[0,1,0] op_sel_hi:[0,1,0]
	v_fma_mixlo_f16 v92, v31, v0, 0 op_sel_hi:[0,1,0]
	scratch_load_b32 v0, off, s32 offset:280 th:TH_LOAD_LU ; 4-byte Folded Reload
	s_wait_loadcnt 0x0
	v_or_b32_e32 v0, v60, v0
	s_delay_alu instid0(VALU_DEP_1) | instskip(SKIP_4) | instid1(VALU_DEP_2)
	v_fma_mixlo_f16 v105, v31, v0, 0 op_sel_hi:[0,1,0]
	scratch_load_b32 v0, off, s32 offset:284 th:TH_LOAD_LU ; 4-byte Folded Reload
	s_wait_loadcnt 0x0
	v_or_b32_e32 v0, v77, v0
	v_fma_mixlo_f16 v77, v31, v59, 0 op_sel:[0,1,0] op_sel_hi:[0,1,0]
	v_fma_mixlo_f16 v76, v31, v0, 0 op_sel_hi:[0,1,0]
	scratch_load_b32 v0, off, s32 offset:272 th:TH_LOAD_LU ; 4-byte Folded Reload
	s_wait_loadcnt 0x0
	v_or_b32_e32 v0, v59, v0
	v_fma_mixlo_f16 v59, v31, v87, 0 op_sel:[0,1,0] op_sel_hi:[0,1,0]
	s_delay_alu instid0(VALU_DEP_2) | instskip(SKIP_3) | instid1(VALU_DEP_1)
	v_fma_mixlo_f16 v78, v31, v0, 0 op_sel_hi:[0,1,0]
	scratch_load_b32 v0, off, s32 offset:276 th:TH_LOAD_LU ; 4-byte Folded Reload
	s_wait_loadcnt 0x0
	v_or_b32_e32 v0, v62, v0
	v_fma_mixlo_f16 v72, v31, v0, 0 op_sel_hi:[0,1,0]
	scratch_load_b32 v0, off, s32 offset:264 th:TH_LOAD_LU ; 4-byte Folded Reload
	s_wait_loadcnt 0x0
	v_or_b32_e32 v0, v125, v0
	s_delay_alu instid0(VALU_DEP_1) | instskip(SKIP_4) | instid1(VALU_DEP_2)
	v_fma_mixlo_f16 v74, v31, v0, 0 op_sel_hi:[0,1,0]
	scratch_load_b32 v0, off, s32 offset:268 th:TH_LOAD_LU ; 4-byte Folded Reload
	s_wait_loadcnt 0x0
	v_or_b32_e32 v0, v87, v0
	v_fma_mixlo_f16 v87, v31, v41, 0 op_sel:[0,1,0] op_sel_hi:[0,1,0]
	v_fma_mixlo_f16 v60, v31, v0, 0 op_sel_hi:[0,1,0]
	scratch_load_b32 v0, off, s32 offset:256 th:TH_LOAD_LU ; 4-byte Folded Reload
	s_wait_loadcnt 0x0
	v_or_b32_e32 v0, v97, v0
	v_fma_mixlo_f16 v97, v31, v44, 0 op_sel:[0,1,0] op_sel_hi:[0,1,0]
	s_delay_alu instid0(VALU_DEP_2) | instskip(SKIP_3) | instid1(VALU_DEP_1)
	v_fma_mixlo_f16 v62, v31, v0, 0 op_sel_hi:[0,1,0]
	scratch_load_b32 v0, off, s32 offset:260 th:TH_LOAD_LU ; 4-byte Folded Reload
	s_wait_loadcnt 0x0
	v_or_b32_e32 v0, v51, v0
	v_fma_mixlo_f16 v125, v31, v0, 0 op_sel_hi:[0,1,0]
	scratch_load_b32 v0, off, s32 offset:248 th:TH_LOAD_LU ; 4-byte Folded Reload
	s_wait_loadcnt 0x0
	v_or_b32_e32 v0, v101, v0
	s_delay_alu instid0(VALU_DEP_1) | instskip(SKIP_4) | instid1(VALU_DEP_2)
	v_fma_mixlo_f16 v33, v31, v0, 0 op_sel_hi:[0,1,0]
	scratch_load_b32 v0, off, s32 offset:252 th:TH_LOAD_LU ; 4-byte Folded Reload
	s_wait_loadcnt 0x0
	v_or_b32_e32 v0, v103, v0
	v_fma_mixlo_f16 v103, v31, v73, 0 op_sel:[0,1,0] op_sel_hi:[0,1,0]
	v_fma_mixlo_f16 v8, v31, v0, 0 op_sel_hi:[0,1,0]
	scratch_load_b32 v0, off, s32 offset:240 th:TH_LOAD_LU ; 4-byte Folded Reload
	s_wait_loadcnt 0x0
	v_or_b32_e32 v0, v113, v0
	s_delay_alu instid0(VALU_DEP_1) | instskip(SKIP_4) | instid1(VALU_DEP_2)
	v_fma_mixlo_f16 v51, v31, v0, 0 op_sel_hi:[0,1,0]
	scratch_load_b32 v0, off, s32 offset:244 th:TH_LOAD_LU ; 4-byte Folded Reload
	s_wait_loadcnt 0x0
	v_or_b32_e32 v0, v99, v0
	v_fma_mixlo_f16 v99, v31, v56, 0 op_sel:[0,1,0] op_sel_hi:[0,1,0]
	v_fma_mixlo_f16 v40, v31, v0, 0 op_sel_hi:[0,1,0]
	scratch_load_b32 v0, off, s32 offset:232 th:TH_LOAD_LU ; 4-byte Folded Reload
	s_wait_loadcnt 0x0
	v_or_b32_e32 v0, v42, v0
	s_delay_alu instid0(VALU_DEP_1)
	v_fma_mixlo_f16 v42, v31, v0, 0 op_sel_hi:[0,1,0]
	s_clause 0x1
	scratch_load_b32 v1, off, s32 offset:228 th:TH_LOAD_LU
	scratch_load_b32 v0, off, s32 offset:236 th:TH_LOAD_LU
	s_wait_loadcnt 0x1
	v_fma_mixlo_f16 v115, v31, v1, 0 op_sel:[0,1,0] op_sel_hi:[0,1,0]
	s_wait_loadcnt 0x0
	v_or_b32_e32 v0, v1, v0
	v_or_b32_e32 v1, v34, v28
	s_delay_alu instid0(VALU_DEP_2) | instskip(SKIP_2) | instid1(VALU_DEP_4)
	v_fma_mixlo_f16 v116, v31, v0, 0 op_sel_hi:[0,1,0]
	v_or_b32_e32 v0, v117, v63
	v_fma_mixlo_f16 v117, v31, v117, 0 op_sel:[0,1,0] op_sel_hi:[0,1,0]
	v_fma_mixlo_f16 v1, v31, v1, 0 op_sel_hi:[0,1,0]
	s_delay_alu instid0(VALU_DEP_3) | instskip(SKIP_1) | instid1(VALU_DEP_3)
	v_fma_mixlo_f16 v118, v31, v0, 0 op_sel_hi:[0,1,0]
	v_or_b32_e32 v0, v73, v61
	v_and_b32_e32 v1, 0xffff, v1
	s_delay_alu instid0(VALU_DEP_2) | instskip(SKIP_1) | instid1(VALU_DEP_1)
	v_fma_mixlo_f16 v114, v31, v0, 0 op_sel_hi:[0,1,0]
	v_or_b32_e32 v0, v47, v124
	v_fma_mixlo_f16 v54, v31, v0, 0 op_sel_hi:[0,1,0]
	v_or_b32_e32 v0, v56, v58
	s_delay_alu instid0(VALU_DEP_1) | instskip(SKIP_1) | instid1(VALU_DEP_1)
	v_fma_mixlo_f16 v113, v31, v0, 0 op_sel_hi:[0,1,0]
	v_or_b32_e32 v0, v41, v43
	v_fma_mixlo_f16 v2, v31, v0, 0 op_sel_hi:[0,1,0]
	v_or_b32_e32 v0, v44, v46
	s_delay_alu instid0(VALU_DEP_2) | instskip(NEXT) | instid1(VALU_DEP_2)
	v_and_b32_e32 v2, 0xffff, v2
	v_fma_mixlo_f16 v101, v31, v0, 0 op_sel_hi:[0,1,0]
	v_fma_mixlo_f16 v0, v31, v34, 0 op_sel:[0,1,0] op_sel_hi:[0,1,0]
	v_or_b32_e32 v34, v39, v110
	v_fma_mixlo_f16 v39, v31, v38, 0 op_sel:[0,1,0] op_sel_hi:[0,1,0]
	s_delay_alu instid0(VALU_DEP_3) | instskip(NEXT) | instid1(VALU_DEP_3)
	v_and_b32_e32 v0, 0xffff, v0
	v_fma_mixlo_f16 v67, v31, v34, 0 op_sel_hi:[0,1,0]
	v_dual_mov_b32 v23, v111 :: v_dual_bitop2_b32 v34, v22, v23 bitop3:0x54
	v_fma_mixlo_f16 v22, v31, v83, 0 op_sel:[0,1,0] op_sel_hi:[0,1,0]
	s_delay_alu instid0(VALU_DEP_2) | instskip(SKIP_1) | instid1(VALU_DEP_4)
	v_fma_mixlo_f16 v106, v31, v34, 0 op_sel_hi:[0,1,0]
	v_or_b32_e32 v34, v111, v81
	v_fma_mixlo_f16 v109, v31, v23, 0 op_sel:[0,1,0] op_sel_hi:[0,1,0]
	s_delay_alu instid0(VALU_DEP_2) | instskip(SKIP_1) | instid1(VALU_DEP_1)
	v_fma_mixlo_f16 v111, v31, v34, 0 op_sel_hi:[0,1,0]
	v_or_b32_e32 v34, v38, v37
	v_fma_mixlo_f16 v38, v31, v34, 0 op_sel_hi:[0,1,0]
	v_or_b32_e32 v34, v83, v85
	s_delay_alu instid0(VALU_DEP_1)
	v_fma_mixlo_f16 v28, v31, v34, 0 op_sel_hi:[0,1,0]
	ds_load_b64 v[34:35], v50
	s_wait_dscnt 0x0
	v_lshrrev_b32_e32 v31, 16, v34
	v_and_b32_e32 v34, 0xffff, v34
	;;#ASMSTART
	v_cvt_f32_f16 v37, v34;
	;;#ASMEND
	v_and_b32_e32 v34, 0xffff, v106
	;;#ASMSTART
	v_cvt_f32_f16 v31, v31;
	;;#ASMEND
	;;#ASMSTART
	v_cvt_f32_f16 v83, v34;
	;;#ASMEND
	v_and_b32_e32 v34, 0xffff, v126
	;;#ASMSTART
	v_cvt_f32_f16 v85, v34;
	;;#ASMEND
	v_lshrrev_b32_e32 v34, 16, v35
	v_and_b32_e32 v35, 0xffff, v35
	;;#ASMSTART
	v_cvt_f32_f16 v106, v35;
	;;#ASMEND
	;;#ASMSTART
	v_cvt_f32_f16 v126, v34;
	;;#ASMEND
	v_and_b32_e32 v34, 0xffff, v111
	;;#ASMSTART
	v_cvt_f32_f16 v111, v34;
	;;#ASMEND
	v_and_b32_e32 v34, 0xffff, v109
	;;#ASMSTART
	v_cvt_f32_f16 v109, v34;
	;;#ASMEND
	ds_load_b64 v[34:35], v50 offset:8
	s_wait_dscnt 0x0
	v_and_b32_e32 v23, 0xffff, v34
	v_lshrrev_b32_e32 v81, 16, v34
	;;#ASMSTART
	v_cvt_f32_f16 v23, v23;
	;;#ASMEND
	;;#ASMSTART
	v_cvt_f32_f16 v34, v81;
	;;#ASMEND
	;; [unrolled: 3-line block ×4, first 2 shown]
	v_mul_f32_e32 v0, v23, v1
	v_dual_mul_f32 v1, v34, v81 :: v_dual_lshrrev_b32 v23, 16, v35
	v_and_b32_e32 v34, 0xffff, v67
	s_delay_alu instid0(VALU_DEP_2)
	v_dual_fmac_f32 v0, v37, v83 :: v_dual_fmac_f32 v1, v31, v85
	v_and_b32_e32 v31, 0xffff, v35
	v_and_b32_e32 v35, 0xffff, v49
	;;#ASMSTART
	v_cvt_f32_f16 v31, v31;
	;;#ASMEND
	;;#ASMSTART
	v_cvt_f32_f16 v23, v23;
	;;#ASMEND
	;; [unrolled: 3-line block ×4, first 2 shown]
	v_mul_f32_e32 v31, v31, v34
	v_mul_f32_e32 v49, v23, v35
	ds_load_b64 v[34:35], v50 offset:16
	v_and_b32_e32 v37, 0xffff, v87
	v_fmac_f32_e32 v31, v106, v111
	s_wait_dscnt 0x0
	v_dual_fmac_f32 v49, v126, v109 :: v_dual_lshrrev_b32 v23, 16, v34
	v_and_b32_e32 v34, 0xffff, v34
	;;#ASMSTART
	v_cvt_f32_f16 v34, v34;
	;;#ASMEND
	;;#ASMSTART
	v_cvt_f32_f16 v23, v23;
	;;#ASMEND
	;; [unrolled: 3-line block ×4, first 2 shown]
	v_dual_fmac_f32 v0, v34, v2 :: v_dual_fmac_f32 v1, v23, v37
	v_lshrrev_b32_e32 v2, 16, v35
	v_and_b32_e32 v23, 0xffff, v35
	v_and_b32_e32 v34, 0xffff, v101
	v_and_b32_e32 v35, 0xffff, v97
	;;#ASMSTART
	v_cvt_f32_f16 v23, v23;
	;;#ASMEND
	;;#ASMSTART
	v_cvt_f32_f16 v2, v2;
	;;#ASMEND
	;;#ASMSTART
	v_cvt_f32_f16 v34, v34;
	;;#ASMEND
	;;#ASMSTART
	v_cvt_f32_f16 v35, v35;
	;;#ASMEND
	v_dual_fmac_f32 v31, v23, v34 :: v_dual_fmac_f32 v49, v2, v35
	ds_load_b64 v[34:35], v50 offset:24
	v_and_b32_e32 v37, 0xffff, v95
	s_wait_dscnt 0x0
	v_lshrrev_b32_e32 v2, 16, v34
	v_and_b32_e32 v23, 0xffff, v34
	v_and_b32_e32 v34, 0xffff, v54
	;;#ASMSTART
	v_cvt_f32_f16 v23, v23;
	;;#ASMEND
	;;#ASMSTART
	v_cvt_f32_f16 v2, v2;
	;;#ASMEND
	;; [unrolled: 3-line block ×4, first 2 shown]
	v_dual_fmac_f32 v0, v23, v34 :: v_dual_fmac_f32 v1, v2, v37
	v_lshrrev_b32_e32 v2, 16, v35
	v_and_b32_e32 v23, 0xffff, v35
	v_and_b32_e32 v34, 0xffff, v113
	;; [unrolled: 1-line block ×3, first 2 shown]
	;;#ASMSTART
	v_cvt_f32_f16 v23, v23;
	;;#ASMEND
	;;#ASMSTART
	v_cvt_f32_f16 v2, v2;
	;;#ASMEND
	;; [unrolled: 3-line block ×4, first 2 shown]
	v_dual_fmac_f32 v31, v23, v34 :: v_dual_fmac_f32 v49, v2, v35
	ds_load_b64 v[34:35], v50 offset:32
	v_and_b32_e32 v37, 0xffff, v117
	s_wait_dscnt 0x0
	v_lshrrev_b32_e32 v2, 16, v34
	v_and_b32_e32 v23, 0xffff, v34
	v_and_b32_e32 v34, 0xffff, v118
	;;#ASMSTART
	v_cvt_f32_f16 v23, v23;
	;;#ASMEND
	;;#ASMSTART
	v_cvt_f32_f16 v2, v2;
	;;#ASMEND
	;; [unrolled: 3-line block ×4, first 2 shown]
	v_dual_fmac_f32 v0, v23, v34 :: v_dual_fmac_f32 v1, v2, v37
	v_lshrrev_b32_e32 v2, 16, v35
	v_and_b32_e32 v23, 0xffff, v35
	v_and_b32_e32 v34, 0xffff, v114
	;; [unrolled: 1-line block ×3, first 2 shown]
	;;#ASMSTART
	v_cvt_f32_f16 v23, v23;
	;;#ASMEND
	;;#ASMSTART
	v_cvt_f32_f16 v2, v2;
	;;#ASMEND
	;; [unrolled: 3-line block ×4, first 2 shown]
	v_dual_fmac_f32 v31, v23, v34 :: v_dual_fmac_f32 v49, v2, v35
	ds_load_b64 v[34:35], v50 offset:40
	v_and_b32_e32 v37, 0xffff, v3
	v_and_b32_e32 v3, 0xffff, v16
	s_wait_dscnt 0x0
	v_lshrrev_b32_e32 v2, 16, v34
	v_and_b32_e32 v23, 0xffff, v34
	v_and_b32_e32 v34, 0xffff, v42
	;;#ASMSTART
	v_cvt_f32_f16 v23, v23;
	;;#ASMEND
	;;#ASMSTART
	v_cvt_f32_f16 v2, v2;
	;;#ASMEND
	;;#ASMSTART
	v_cvt_f32_f16 v34, v34;
	;;#ASMEND
	;;#ASMSTART
	v_cvt_f32_f16 v37, v37;
	;;#ASMEND
	v_dual_fmac_f32 v0, v23, v34 :: v_dual_fmac_f32 v1, v2, v37
	v_lshrrev_b32_e32 v2, 16, v35
	v_and_b32_e32 v23, 0xffff, v35
	v_and_b32_e32 v34, 0xffff, v116
	v_and_b32_e32 v35, 0xffff, v115
	;;#ASMSTART
	v_cvt_f32_f16 v23, v23;
	;;#ASMEND
	;;#ASMSTART
	v_cvt_f32_f16 v2, v2;
	;;#ASMEND
	;;#ASMSTART
	v_cvt_f32_f16 v34, v34;
	;;#ASMEND
	;;#ASMSTART
	v_cvt_f32_f16 v35, v35;
	;;#ASMEND
	v_dual_fmac_f32 v31, v23, v34 :: v_dual_fmac_f32 v49, v2, v35
	ds_load_b64 v[34:35], v50 offset:48
	v_and_b32_e32 v37, 0xffff, v45
	s_wait_dscnt 0x0
	v_lshrrev_b32_e32 v2, 16, v34
	v_and_b32_e32 v23, 0xffff, v34
	v_and_b32_e32 v34, 0xffff, v51
	;;#ASMSTART
	v_cvt_f32_f16 v23, v23;
	;;#ASMEND
	;;#ASMSTART
	v_cvt_f32_f16 v2, v2;
	;;#ASMEND
	;;#ASMSTART
	v_cvt_f32_f16 v34, v34;
	;;#ASMEND
	;;#ASMSTART
	v_cvt_f32_f16 v37, v37;
	;;#ASMEND
	v_dual_fmac_f32 v0, v23, v34 :: v_dual_fmac_f32 v1, v2, v37
	v_lshrrev_b32_e32 v2, 16, v35
	v_and_b32_e32 v23, 0xffff, v35
	v_and_b32_e32 v34, 0xffff, v40
	v_and_b32_e32 v35, 0xffff, v119
	;;#ASMSTART
	v_cvt_f32_f16 v23, v23;
	;;#ASMEND
	;;#ASMSTART
	v_cvt_f32_f16 v2, v2;
	;;#ASMEND
	;;#ASMSTART
	v_cvt_f32_f16 v34, v34;
	;;#ASMEND
	;;#ASMSTART
	v_cvt_f32_f16 v35, v35;
	;;#ASMEND
	v_dual_fmac_f32 v31, v23, v34 :: v_dual_fmac_f32 v49, v2, v35
	ds_load_b64 v[34:35], v50 offset:56
	;; [unrolled: 36-line block ×3, first 2 shown]
	v_and_b32_e32 v37, 0xffff, v70
	v_and_b32_e32 v4, 0xffff, v29
	s_wait_dscnt 0x0
	v_lshrrev_b32_e32 v2, 16, v34
	v_and_b32_e32 v23, 0xffff, v34
	v_and_b32_e32 v34, 0xffff, v62
	;;#ASMSTART
	v_cvt_f32_f16 v23, v23;
	;;#ASMEND
	;;#ASMSTART
	v_cvt_f32_f16 v2, v2;
	;;#ASMEND
	;; [unrolled: 3-line block ×4, first 2 shown]
	v_dual_fmac_f32 v0, v23, v34 :: v_dual_fmac_f32 v1, v2, v37
	v_lshrrev_b32_e32 v2, 16, v35
	v_and_b32_e32 v23, 0xffff, v35
	v_and_b32_e32 v34, 0xffff, v125
	;; [unrolled: 1-line block ×3, first 2 shown]
	;;#ASMSTART
	v_cvt_f32_f16 v23, v23;
	;;#ASMEND
	;;#ASMSTART
	v_cvt_f32_f16 v2, v2;
	;;#ASMEND
	;; [unrolled: 3-line block ×4, first 2 shown]
	v_dual_fmac_f32 v31, v23, v34 :: v_dual_fmac_f32 v49, v2, v35
	ds_load_b64 v[34:35], v50 offset:72
	v_and_b32_e32 v37, 0xffff, v7
	v_and_b32_e32 v6, 0xffff, v98
	;; [unrolled: 1-line block ×3, first 2 shown]
	s_wait_dscnt 0x0
	v_and_b32_e32 v23, 0xffff, v34
	;;#ASMSTART
	v_cvt_f32_f16 v23, v23;
	;;#ASMEND
	v_lshrrev_b32_e32 v2, 16, v34
	v_and_b32_e32 v34, 0xffff, v74
	;;#ASMSTART
	v_cvt_f32_f16 v2, v2;
	;;#ASMEND
	;;#ASMSTART
	v_cvt_f32_f16 v34, v34;
	;;#ASMEND
	s_delay_alu instid0(VALU_DEP_1)
	v_fmac_f32_e32 v0, v23, v34
	v_and_b32_e32 v23, 0xffff, v35
	;;#ASMSTART
	v_cvt_f32_f16 v37, v37;
	;;#ASMEND
	;;#ASMSTART
	v_cvt_f32_f16 v23, v23;
	;;#ASMEND
	v_dual_fmac_f32 v1, v2, v37 :: v_dual_lshrrev_b32 v2, 16, v35
	v_and_b32_e32 v34, 0xffff, v60
	v_and_b32_e32 v35, 0xffff, v59
	;;#ASMSTART
	v_cvt_f32_f16 v2, v2;
	;;#ASMEND
	;;#ASMSTART
	v_cvt_f32_f16 v34, v34;
	;;#ASMEND
	;; [unrolled: 3-line block ×3, first 2 shown]
	s_delay_alu instid0(VALU_DEP_1)
	v_dual_fmac_f32 v31, v23, v34 :: v_dual_fmac_f32 v49, v2, v35
	ds_load_b64 v[34:35], v50 offset:80
	v_and_b32_e32 v37, 0xffff, v77
	s_wait_dscnt 0x0
	v_and_b32_e32 v23, 0xffff, v34
	;;#ASMSTART
	v_cvt_f32_f16 v23, v23;
	;;#ASMEND
	v_lshrrev_b32_e32 v2, 16, v34
	v_and_b32_e32 v34, 0xffff, v78
	;;#ASMSTART
	v_cvt_f32_f16 v2, v2;
	;;#ASMEND
	;;#ASMSTART
	v_cvt_f32_f16 v34, v34;
	;;#ASMEND
	s_delay_alu instid0(VALU_DEP_1)
	v_fmac_f32_e32 v0, v23, v34
	v_and_b32_e32 v23, 0xffff, v35
	;;#ASMSTART
	v_cvt_f32_f16 v37, v37;
	;;#ASMEND
	;;#ASMSTART
	v_cvt_f32_f16 v23, v23;
	;;#ASMEND
	v_dual_fmac_f32 v1, v2, v37 :: v_dual_lshrrev_b32 v2, 16, v35
	v_and_b32_e32 v34, 0xffff, v72
	v_and_b32_e32 v35, 0xffff, v9
	;;#ASMSTART
	v_cvt_f32_f16 v2, v2;
	;;#ASMEND
	;;#ASMSTART
	v_cvt_f32_f16 v34, v34;
	;;#ASMEND
	;; [unrolled: 3-line block ×3, first 2 shown]
	s_delay_alu instid0(VALU_DEP_1)
	v_dual_fmac_f32 v31, v23, v34 :: v_dual_fmac_f32 v49, v2, v35
	ds_load_b64 v[34:35], v50 offset:88
	v_and_b32_e32 v37, 0xffff, v104
	v_and_b32_e32 v9, 0xffff, v19
	s_wait_dscnt 0x0
	v_and_b32_e32 v23, 0xffff, v34
	v_lshrrev_b32_e32 v2, 16, v34
	;;#ASMSTART
	v_cvt_f32_f16 v23, v23;
	;;#ASMEND
	v_and_b32_e32 v34, 0xffff, v105
	;;#ASMSTART
	v_cvt_f32_f16 v2, v2;
	;;#ASMEND
	;;#ASMSTART
	v_cvt_f32_f16 v34, v34;
	;;#ASMEND
	;;#ASMSTART
	v_cvt_f32_f16 v37, v37;
	;;#ASMEND
	s_delay_alu instid0(VALU_DEP_1)
	v_dual_fmac_f32 v0, v23, v34 :: v_dual_fmac_f32 v1, v2, v37
	v_and_b32_e32 v23, 0xffff, v35
	;;#ASMSTART
	v_cvt_f32_f16 v23, v23;
	;;#ASMEND
	v_lshrrev_b32_e32 v2, 16, v35
	v_and_b32_e32 v34, 0xffff, v76
	v_and_b32_e32 v35, 0xffff, v75
	;;#ASMSTART
	v_cvt_f32_f16 v2, v2;
	;;#ASMEND
	;;#ASMSTART
	v_cvt_f32_f16 v34, v34;
	;;#ASMEND
	;;#ASMSTART
	v_cvt_f32_f16 v35, v35;
	;;#ASMEND
	s_delay_alu instid0(VALU_DEP_1)
	v_dual_fmac_f32 v31, v23, v34 :: v_dual_fmac_f32 v49, v2, v35
	ds_load_b64 v[34:35], v50 offset:96
	v_and_b32_e32 v37, 0xffff, v121
	s_wait_dscnt 0x0
	v_and_b32_e32 v23, 0xffff, v34
	v_lshrrev_b32_e32 v2, 16, v34
	;;#ASMSTART
	v_cvt_f32_f16 v23, v23;
	;;#ASMEND
	v_and_b32_e32 v34, 0xffff, v122
	;;#ASMSTART
	v_cvt_f32_f16 v2, v2;
	;;#ASMEND
	;;#ASMSTART
	v_cvt_f32_f16 v34, v34;
	;;#ASMEND
	;;#ASMSTART
	v_cvt_f32_f16 v37, v37;
	;;#ASMEND
	s_delay_alu instid0(VALU_DEP_1)
	v_dual_fmac_f32 v0, v23, v34 :: v_dual_fmac_f32 v1, v2, v37
	v_and_b32_e32 v23, 0xffff, v35
	;;#ASMSTART
	v_cvt_f32_f16 v23, v23;
	;;#ASMEND
	v_lshrrev_b32_e32 v2, 16, v35
	v_and_b32_e32 v34, 0xffff, v92
	v_and_b32_e32 v35, 0xffff, v91
	;;#ASMSTART
	v_cvt_f32_f16 v2, v2;
	;;#ASMEND
	;;#ASMSTART
	v_cvt_f32_f16 v34, v34;
	;;#ASMEND
	;;#ASMSTART
	v_cvt_f32_f16 v35, v35;
	;;#ASMEND
	s_delay_alu instid0(VALU_DEP_1)
	v_dual_fmac_f32 v31, v23, v34 :: v_dual_fmac_f32 v49, v2, v35
	ds_load_b64 v[34:35], v50 offset:104
	;; [unrolled: 38-line block ×3, first 2 shown]
	v_and_b32_e32 v11, 0xffff, v13
	s_wait_dscnt 0x0
	v_lshrrev_b32_e32 v2, 16, v34
	v_and_b32_e32 v23, 0xffff, v34
	;;#ASMSTART
	v_cvt_f32_f16 v23, v23;
	;;#ASMEND
	;;#ASMSTART
	v_cvt_f32_f16 v2, v2;
	;;#ASMEND
	;; [unrolled: 3-line block ×4, first 2 shown]
	v_dual_fmac_f32 v0, v23, v17 :: v_dual_fmac_f32 v1, v2, v11
	v_lshrrev_b32_e32 v2, 16, v35
	v_and_b32_e32 v11, 0xffff, v35
	v_and_b32_e32 v17, 0xffff, v14
	;; [unrolled: 1-line block ×3, first 2 shown]
	;;#ASMSTART
	v_cvt_f32_f16 v11, v11;
	;;#ASMEND
	;;#ASMSTART
	v_cvt_f32_f16 v2, v2;
	;;#ASMEND
	;; [unrolled: 3-line block ×4, first 2 shown]
	ds_load_b64 v[34:35], v50 offset:120
	v_dual_fmac_f32 v31, v11, v17 :: v_dual_fmac_f32 v49, v2, v23
	v_and_b32_e32 v17, 0xffff, v93
	s_wait_dscnt 0x0
	v_lshrrev_b32_e32 v2, 16, v34
	v_and_b32_e32 v11, 0xffff, v34
	;;#ASMSTART
	v_cvt_f32_f16 v11, v11;
	;;#ASMEND
	;;#ASMSTART
	v_cvt_f32_f16 v2, v2;
	;;#ASMEND
	;; [unrolled: 3-line block ×4, first 2 shown]
	v_dual_fmac_f32 v0, v11, v3 :: v_dual_fmac_f32 v1, v2, v17
	v_lshrrev_b32_e32 v2, 16, v35
	v_and_b32_e32 v3, 0xffff, v35
	;;#ASMSTART
	v_cvt_f32_f16 v3, v3;
	;;#ASMEND
	;;#ASMSTART
	v_cvt_f32_f16 v2, v2;
	;;#ASMEND
	v_and_b32_e32 v11, 0xffff, v18
	;;#ASMSTART
	v_cvt_f32_f16 v11, v11;
	;;#ASMEND
	;;#ASMSTART
	v_cvt_f32_f16 v9, v9;
	;;#ASMEND
	s_delay_alu instid0(VALU_DEP_1)
	v_dual_fmac_f32 v31, v3, v11 :: v_dual_fmac_f32 v49, v2, v9
	ds_load_b64 v[2:3], v50 offset:128
	v_and_b32_e32 v11, 0xffff, v20
	v_and_b32_e32 v17, 0xffff, v52
	s_wait_dscnt 0x0
	v_lshrrev_b32_e32 v9, 16, v2
	v_and_b32_e32 v2, 0xffff, v2
	;;#ASMSTART
	v_cvt_f32_f16 v2, v2;
	;;#ASMEND
	;;#ASMSTART
	v_cvt_f32_f16 v9, v9;
	;;#ASMEND
	;; [unrolled: 3-line block ×4, first 2 shown]
	v_dual_fmac_f32 v0, v2, v11 :: v_dual_fmac_f32 v1, v9, v17
	v_lshrrev_b32_e32 v2, 16, v3
	v_and_b32_e32 v3, 0xffff, v3
	;;#ASMSTART
	v_cvt_f32_f16 v3, v3;
	;;#ASMEND
	;;#ASMSTART
	v_cvt_f32_f16 v2, v2;
	;;#ASMEND
	v_and_b32_e32 v9, 0xffff, v21
	v_and_b32_e32 v11, 0xffff, v25
	;;#ASMSTART
	v_cvt_f32_f16 v9, v9;
	;;#ASMEND
	;;#ASMSTART
	v_cvt_f32_f16 v11, v11;
	;;#ASMEND
	s_delay_alu instid0(VALU_DEP_1)
	v_dual_fmac_f32 v31, v3, v9 :: v_dual_fmac_f32 v49, v2, v11
	ds_load_b64 v[2:3], v50 offset:136
	v_and_b32_e32 v11, 0xffff, v90
	v_and_b32_e32 v17, 0xffff, v79
	s_wait_dscnt 0x0
	v_lshrrev_b32_e32 v9, 16, v2
	v_and_b32_e32 v2, 0xffff, v2
	;;#ASMSTART
	v_cvt_f32_f16 v2, v2;
	;;#ASMEND
	;;#ASMSTART
	v_cvt_f32_f16 v9, v9;
	;;#ASMEND
	;; [unrolled: 3-line block ×3, first 2 shown]
	s_delay_alu instid0(VALU_DEP_1)
	v_fmac_f32_e32 v0, v2, v11
	v_lshrrev_b32_e32 v2, 16, v3
	v_and_b32_e32 v3, 0xffff, v3
	;;#ASMSTART
	v_cvt_f32_f16 v17, v17;
	;;#ASMEND
	v_fmac_f32_e32 v1, v9, v17
	;;#ASMSTART
	v_cvt_f32_f16 v3, v3;
	;;#ASMEND
	;;#ASMSTART
	v_cvt_f32_f16 v2, v2;
	;;#ASMEND
	v_and_b32_e32 v9, 0xffff, v24
	v_and_b32_e32 v11, 0xffff, v32
	;;#ASMSTART
	v_cvt_f32_f16 v9, v9;
	;;#ASMEND
	;;#ASMSTART
	v_cvt_f32_f16 v11, v11;
	;;#ASMEND
	s_delay_alu instid0(VALU_DEP_1)
	v_dual_fmac_f32 v31, v3, v9 :: v_dual_fmac_f32 v49, v2, v11
	ds_load_b64 v[2:3], v50 offset:144
	v_and_b32_e32 v11, 0xffff, v102
	v_and_b32_e32 v17, 0xffff, v80
	s_wait_dscnt 0x0
	v_lshrrev_b32_e32 v9, 16, v2
	v_and_b32_e32 v2, 0xffff, v2
	;;#ASMSTART
	v_cvt_f32_f16 v2, v2;
	;;#ASMEND
	;;#ASMSTART
	v_cvt_f32_f16 v9, v9;
	;;#ASMEND
	;; [unrolled: 3-line block ×4, first 2 shown]
	v_dual_fmac_f32 v0, v2, v11 :: v_dual_fmac_f32 v1, v9, v17
	v_lshrrev_b32_e32 v2, 16, v3
	v_and_b32_e32 v3, 0xffff, v3
	;;#ASMSTART
	v_cvt_f32_f16 v3, v3;
	;;#ASMEND
	;;#ASMSTART
	v_cvt_f32_f16 v2, v2;
	;;#ASMEND
	v_and_b32_e32 v9, 0xffff, v88
	;;#ASMSTART
	v_cvt_f32_f16 v9, v9;
	;;#ASMEND
	;;#ASMSTART
	v_cvt_f32_f16 v4, v4;
	;;#ASMEND
	s_delay_alu instid0(VALU_DEP_1)
	v_dual_fmac_f32 v31, v3, v9 :: v_dual_fmac_f32 v49, v2, v4
	ds_load_b64 v[2:3], v50 offset:152
	v_and_b32_e32 v9, 0xffff, v89
	v_and_b32_e32 v11, 0xffff, v100
	s_wait_dscnt 0x0
	v_lshrrev_b32_e32 v4, 16, v2
	v_and_b32_e32 v2, 0xffff, v2
	;;#ASMSTART
	v_cvt_f32_f16 v2, v2;
	;;#ASMEND
	;;#ASMSTART
	v_cvt_f32_f16 v4, v4;
	;;#ASMEND
	;; [unrolled: 3-line block ×4, first 2 shown]
	v_dual_fmac_f32 v0, v2, v9 :: v_dual_fmac_f32 v1, v4, v11
	v_lshrrev_b32_e32 v2, 16, v3
	v_and_b32_e32 v3, 0xffff, v3
	;;#ASMSTART
	v_cvt_f32_f16 v3, v3;
	;;#ASMEND
	;;#ASMSTART
	v_cvt_f32_f16 v2, v2;
	;;#ASMEND
	v_and_b32_e32 v4, 0xffff, v36
	;;#ASMSTART
	v_cvt_f32_f16 v4, v4;
	;;#ASMEND
	;;#ASMSTART
	v_cvt_f32_f16 v6, v6;
	;;#ASMEND
	s_delay_alu instid0(VALU_DEP_1)
	v_dual_fmac_f32 v31, v3, v4 :: v_dual_fmac_f32 v49, v2, v6
	ds_load_b64 v[2:3], v50 offset:160
	v_and_b32_e32 v6, 0xffff, v96
	v_and_b32_e32 v9, 0xffff, v86
	s_wait_dscnt 0x0
	v_lshrrev_b32_e32 v4, 16, v2
	v_and_b32_e32 v2, 0xffff, v2
	;;#ASMSTART
	v_cvt_f32_f16 v2, v2;
	;;#ASMEND
	;;#ASMSTART
	v_cvt_f32_f16 v4, v4;
	;;#ASMEND
	;; [unrolled: 3-line block ×3, first 2 shown]
	s_delay_alu instid0(VALU_DEP_1)
	v_dual_fmac_f32 v0, v2, v6 :: v_dual_lshrrev_b32 v2, 16, v3
	v_and_b32_e32 v3, 0xffff, v3
	;;#ASMSTART
	v_cvt_f32_f16 v9, v9;
	;;#ASMEND
	;;#ASMSTART
	v_cvt_f32_f16 v3, v3;
	;;#ASMEND
	v_fmac_f32_e32 v1, v4, v9
	;;#ASMSTART
	v_cvt_f32_f16 v2, v2;
	;;#ASMEND
	v_and_b32_e32 v4, 0xffff, v84
	v_and_b32_e32 v6, 0xffff, v82
	;;#ASMSTART
	v_cvt_f32_f16 v4, v4;
	;;#ASMEND
	;;#ASMSTART
	v_cvt_f32_f16 v6, v6;
	;;#ASMEND
	s_delay_alu instid0(VALU_DEP_1)
	v_dual_fmac_f32 v31, v3, v4 :: v_dual_fmac_f32 v49, v2, v6
	ds_load_b64 v[2:3], v50 offset:168
	v_and_b32_e32 v6, 0xffff, v69
	s_wait_dscnt 0x0
	v_lshrrev_b32_e32 v4, 16, v2
	v_and_b32_e32 v2, 0xffff, v2
	;;#ASMSTART
	v_cvt_f32_f16 v2, v2;
	;;#ASMEND
	;;#ASMSTART
	v_cvt_f32_f16 v4, v4;
	;;#ASMEND
	;; [unrolled: 3-line block ×3, first 2 shown]
	s_delay_alu instid0(VALU_DEP_1)
	v_dual_fmac_f32 v0, v2, v6 :: v_dual_lshrrev_b32 v2, 16, v3
	v_and_b32_e32 v3, 0xffff, v3
	;;#ASMSTART
	v_cvt_f32_f16 v7, v7;
	;;#ASMEND
	;;#ASMSTART
	v_cvt_f32_f16 v3, v3;
	;;#ASMEND
	v_fmac_f32_e32 v1, v4, v7
	;;#ASMSTART
	v_cvt_f32_f16 v2, v2;
	;;#ASMEND
	v_and_b32_e32 v4, 0xffff, v71
	v_and_b32_e32 v6, 0xffff, v68
	;;#ASMSTART
	v_cvt_f32_f16 v4, v4;
	;;#ASMEND
	;;#ASMSTART
	v_cvt_f32_f16 v6, v6;
	;;#ASMEND
	s_delay_alu instid0(VALU_DEP_1)
	v_dual_fmac_f32 v31, v3, v4 :: v_dual_fmac_f32 v49, v2, v6
	ds_load_b64 v[2:3], v50 offset:176
	v_and_b32_e32 v6, 0xffff, v55
	v_and_b32_e32 v7, 0xffff, v64
	s_wait_dscnt 0x0
	v_lshrrev_b32_e32 v4, 16, v2
	v_and_b32_e32 v2, 0xffff, v2
	;;#ASMSTART
	v_cvt_f32_f16 v2, v2;
	;;#ASMEND
	;;#ASMSTART
	v_cvt_f32_f16 v4, v4;
	;;#ASMEND
	;; [unrolled: 3-line block ×3, first 2 shown]
	s_delay_alu instid0(VALU_DEP_1)
	v_dual_fmac_f32 v0, v2, v6 :: v_dual_lshrrev_b32 v2, 16, v3
	v_and_b32_e32 v3, 0xffff, v3
	;;#ASMSTART
	v_cvt_f32_f16 v7, v7;
	;;#ASMEND
	;;#ASMSTART
	v_cvt_f32_f16 v3, v3;
	;;#ASMEND
	v_fmac_f32_e32 v1, v4, v7
	;;#ASMSTART
	v_cvt_f32_f16 v2, v2;
	;;#ASMEND
	v_and_b32_e32 v4, 0xffff, v65
	v_and_b32_e32 v6, 0xffff, v66
	;;#ASMSTART
	v_cvt_f32_f16 v4, v4;
	;;#ASMEND
	;;#ASMSTART
	v_cvt_f32_f16 v6, v6;
	;;#ASMEND
	s_delay_alu instid0(VALU_DEP_1)
	v_dual_fmac_f32 v31, v3, v4 :: v_dual_fmac_f32 v49, v2, v6
	ds_load_b64 v[2:3], v50 offset:184
	v_and_b32_e32 v6, 0xffff, v107
	v_and_b32_e32 v7, 0xffff, v120
	s_wait_dscnt 0x0
	v_lshrrev_b32_e32 v4, 16, v2
	v_and_b32_e32 v2, 0xffff, v2
	;;#ASMSTART
	v_cvt_f32_f16 v2, v2;
	;;#ASMEND
	;;#ASMSTART
	v_cvt_f32_f16 v4, v4;
	;;#ASMEND
	;; [unrolled: 3-line block ×3, first 2 shown]
	s_delay_alu instid0(VALU_DEP_1)
	v_dual_fmac_f32 v0, v2, v6 :: v_dual_lshrrev_b32 v2, 16, v3
	v_and_b32_e32 v3, 0xffff, v3
	;;#ASMSTART
	v_cvt_f32_f16 v7, v7;
	;;#ASMEND
	;;#ASMSTART
	v_cvt_f32_f16 v3, v3;
	;;#ASMEND
	v_fmac_f32_e32 v1, v4, v7
	;;#ASMSTART
	v_cvt_f32_f16 v2, v2;
	;;#ASMEND
	v_and_b32_e32 v4, 0xffff, v123
	v_and_b32_e32 v6, 0xffff, v127
	;;#ASMSTART
	v_cvt_f32_f16 v4, v4;
	;;#ASMEND
	;;#ASMSTART
	v_cvt_f32_f16 v6, v6;
	;;#ASMEND
	s_delay_alu instid0(VALU_DEP_1)
	v_dual_fmac_f32 v31, v3, v4 :: v_dual_fmac_f32 v49, v2, v6
	ds_load_b64 v[2:3], v50 offset:192
	s_wait_dscnt 0x0
	v_lshrrev_b32_e32 v4, 16, v2
	v_and_b32_e32 v2, 0xffff, v2
	;;#ASMSTART
	v_cvt_f32_f16 v2, v2;
	;;#ASMEND
	;;#ASMSTART
	v_cvt_f32_f16 v4, v4;
	;;#ASMEND
	scratch_load_b32 v6, off, s32 offset:420 th:TH_LOAD_LU ; 4-byte Folded Reload
	s_wait_loadcnt 0x0
	v_and_b32_e32 v6, 0xffff, v6
	;;#ASMSTART
	v_cvt_f32_f16 v6, v6;
	;;#ASMEND
	scratch_load_b32 v7, off, s32 offset:416 th:TH_LOAD_LU ; 4-byte Folded Reload
	v_dual_fmac_f32 v0, v2, v6 :: v_dual_lshrrev_b32 v2, 16, v3
	v_and_b32_e32 v3, 0xffff, v3
	s_wait_loadcnt 0x0
	v_and_b32_e32 v7, 0xffff, v7
	;;#ASMSTART
	v_cvt_f32_f16 v7, v7;
	;;#ASMEND
	;;#ASMSTART
	v_cvt_f32_f16 v3, v3;
	;;#ASMEND
	s_delay_alu instid0(VALU_DEP_1)
	v_fmac_f32_e32 v1, v4, v7
	;;#ASMSTART
	v_cvt_f32_f16 v2, v2;
	;;#ASMEND
	scratch_load_b32 v4, off, s32 offset:412 th:TH_LOAD_LU ; 4-byte Folded Reload
	s_wait_loadcnt 0x0
	v_and_b32_e32 v4, 0xffff, v4
	;;#ASMSTART
	v_cvt_f32_f16 v4, v4;
	;;#ASMEND
	scratch_load_b32 v6, off, s32 offset:408 th:TH_LOAD_LU ; 4-byte Folded Reload
	v_fmac_f32_e32 v31, v3, v4
	s_wait_loadcnt 0x0
	v_and_b32_e32 v6, 0xffff, v6
	;;#ASMSTART
	v_cvt_f32_f16 v6, v6;
	;;#ASMEND
	s_delay_alu instid0(VALU_DEP_1)
	v_fmac_f32_e32 v49, v2, v6
	ds_load_b64 v[2:3], v50 offset:200
	s_wait_dscnt 0x0
	v_lshrrev_b32_e32 v4, 16, v2
	v_and_b32_e32 v2, 0xffff, v2
	;;#ASMSTART
	v_cvt_f32_f16 v2, v2;
	;;#ASMEND
	;;#ASMSTART
	v_cvt_f32_f16 v4, v4;
	;;#ASMEND
	scratch_load_b32 v6, off, s32 offset:404 th:TH_LOAD_LU ; 4-byte Folded Reload
	s_wait_loadcnt 0x0
	v_and_b32_e32 v6, 0xffff, v6
	;;#ASMSTART
	v_cvt_f32_f16 v6, v6;
	;;#ASMEND
	scratch_load_b32 v7, off, s32 offset:400 th:TH_LOAD_LU ; 4-byte Folded Reload
	v_dual_fmac_f32 v0, v2, v6 :: v_dual_lshrrev_b32 v2, 16, v3
	v_and_b32_e32 v3, 0xffff, v3
	s_wait_loadcnt 0x0
	v_and_b32_e32 v7, 0xffff, v7
	;;#ASMSTART
	v_cvt_f32_f16 v7, v7;
	;;#ASMEND
	;;#ASMSTART
	v_cvt_f32_f16 v3, v3;
	;;#ASMEND
	s_delay_alu instid0(VALU_DEP_1)
	v_fmac_f32_e32 v1, v4, v7
	;;#ASMSTART
	v_cvt_f32_f16 v2, v2;
	;;#ASMEND
	scratch_load_b32 v4, off, s32 offset:396 th:TH_LOAD_LU ; 4-byte Folded Reload
	s_wait_loadcnt 0x0
	v_and_b32_e32 v4, 0xffff, v4
	;;#ASMSTART
	v_cvt_f32_f16 v4, v4;
	;;#ASMEND
	scratch_load_b32 v6, off, s32 offset:392 th:TH_LOAD_LU ; 4-byte Folded Reload
	v_fmac_f32_e32 v31, v3, v4
	s_wait_loadcnt 0x0
	v_and_b32_e32 v6, 0xffff, v6
	;;#ASMSTART
	v_cvt_f32_f16 v6, v6;
	;;#ASMEND
	s_delay_alu instid0(VALU_DEP_1)
	v_fmac_f32_e32 v49, v2, v6
	;; [unrolled: 47-line block ×3, first 2 shown]
	ds_load_b64 v[2:3], v50 offset:216
	s_wait_dscnt 0x0
	v_lshrrev_b32_e32 v4, 16, v2
	v_and_b32_e32 v2, 0xffff, v2
	;;#ASMSTART
	v_cvt_f32_f16 v2, v2;
	;;#ASMEND
	;;#ASMSTART
	v_cvt_f32_f16 v4, v4;
	;;#ASMEND
	scratch_load_b32 v6, off, s32 offset:372 th:TH_LOAD_LU ; 4-byte Folded Reload
	s_wait_loadcnt 0x0
	v_and_b32_e32 v6, 0xffff, v6
	;;#ASMSTART
	v_cvt_f32_f16 v6, v6;
	;;#ASMEND
	scratch_load_b32 v7, off, s32 offset:368 th:TH_LOAD_LU ; 4-byte Folded Reload
	v_dual_fmac_f32 v0, v2, v6 :: v_dual_lshrrev_b32 v2, 16, v3
	v_and_b32_e32 v3, 0xffff, v3
	s_wait_loadcnt 0x0
	v_and_b32_e32 v7, 0xffff, v7
	;;#ASMSTART
	v_cvt_f32_f16 v7, v7;
	;;#ASMEND
	;;#ASMSTART
	v_cvt_f32_f16 v3, v3;
	;;#ASMEND
	s_delay_alu instid0(VALU_DEP_1)
	v_fmac_f32_e32 v1, v4, v7
	;;#ASMSTART
	v_cvt_f32_f16 v2, v2;
	;;#ASMEND
	scratch_load_b32 v4, off, s32 offset:364 th:TH_LOAD_LU ; 4-byte Folded Reload
	s_wait_loadcnt 0x0
	v_and_b32_e32 v4, 0xffff, v4
	;;#ASMSTART
	v_cvt_f32_f16 v4, v4;
	;;#ASMEND
	scratch_load_b32 v6, off, s32 offset:360 th:TH_LOAD_LU ; 4-byte Folded Reload
	v_fmac_f32_e32 v31, v3, v4
	s_wait_loadcnt 0x0
	v_and_b32_e32 v6, 0xffff, v6
	;;#ASMSTART
	v_cvt_f32_f16 v6, v6;
	;;#ASMEND
	ds_load_b64 v[36:37], v50 offset:224
	s_wait_dscnt 0x0
	v_dual_fmac_f32 v49, v2, v6 :: v_dual_lshrrev_b32 v2, 16, v36
	v_and_b32_e32 v3, 0xffff, v36
	;;#ASMSTART
	v_cvt_f32_f16 v3, v3;
	;;#ASMEND
	;;#ASMSTART
	v_cvt_f32_f16 v2, v2;
	;;#ASMEND
	scratch_load_b32 v4, off, s32 offset:356 th:TH_LOAD_LU ; 4-byte Folded Reload
	s_wait_loadcnt 0x0
	v_and_b32_e32 v4, 0xffff, v4
	;;#ASMSTART
	v_cvt_f32_f16 v4, v4;
	;;#ASMEND
	scratch_load_b32 v6, off, s32 offset:352 th:TH_LOAD_LU ; 4-byte Folded Reload
	s_wait_loadcnt 0x0
	v_and_b32_e32 v6, 0xffff, v6
	;;#ASMSTART
	v_cvt_f32_f16 v6, v6;
	;;#ASMEND
	s_delay_alu instid0(VALU_DEP_1)
	v_dual_fmac_f32 v0, v3, v4 :: v_dual_fmac_f32 v1, v2, v6
	v_and_b32_e32 v3, 0xffff, v37
	;;#ASMSTART
	v_cvt_f32_f16 v3, v3;
	;;#ASMEND
	v_lshrrev_b32_e32 v2, 16, v37
	;;#ASMSTART
	v_cvt_f32_f16 v2, v2;
	;;#ASMEND
	scratch_load_b32 v4, off, s32 offset:348 th:TH_LOAD_LU ; 4-byte Folded Reload
	s_wait_loadcnt 0x0
	v_and_b32_e32 v4, 0xffff, v4
	;;#ASMSTART
	v_cvt_f32_f16 v4, v4;
	;;#ASMEND
	scratch_load_b32 v6, off, s32 offset:344 th:TH_LOAD_LU ; 4-byte Folded Reload
	v_fmac_f32_e32 v31, v3, v4
	s_wait_loadcnt 0x0
	v_and_b32_e32 v6, 0xffff, v6
	;;#ASMSTART
	v_cvt_f32_f16 v6, v6;
	;;#ASMEND
	ds_load_b64 v[36:37], v50 offset:232
	s_wait_dscnt 0x0
	v_dual_fmac_f32 v49, v2, v6 :: v_dual_lshrrev_b32 v2, 16, v36
	v_and_b32_e32 v3, 0xffff, v36
	;;#ASMSTART
	v_cvt_f32_f16 v3, v3;
	;;#ASMEND
	;;#ASMSTART
	v_cvt_f32_f16 v2, v2;
	;;#ASMEND
	scratch_load_b32 v4, off, s32 offset:340 th:TH_LOAD_LU ; 4-byte Folded Reload
	s_wait_loadcnt 0x0
	v_and_b32_e32 v4, 0xffff, v4
	;;#ASMSTART
	v_cvt_f32_f16 v4, v4;
	;;#ASMEND
	scratch_load_b32 v6, off, s32 offset:336 th:TH_LOAD_LU ; 4-byte Folded Reload
	s_wait_loadcnt 0x0
	v_and_b32_e32 v6, 0xffff, v6
	;;#ASMSTART
	v_cvt_f32_f16 v6, v6;
	;;#ASMEND
	s_delay_alu instid0(VALU_DEP_1)
	v_dual_fmac_f32 v0, v3, v4 :: v_dual_fmac_f32 v1, v2, v6
	v_and_b32_e32 v3, 0xffff, v37
	;;#ASMSTART
	v_cvt_f32_f16 v3, v3;
	;;#ASMEND
	v_lshrrev_b32_e32 v2, 16, v37
	;; [unrolled: 45-line block ×3, first 2 shown]
	;;#ASMSTART
	v_cvt_f32_f16 v2, v2;
	;;#ASMEND
	scratch_load_b32 v4, off, s32 offset:316 th:TH_LOAD_LU ; 4-byte Folded Reload
	s_wait_loadcnt 0x0
	v_and_b32_e32 v4, 0xffff, v4
	;;#ASMSTART
	v_cvt_f32_f16 v4, v4;
	;;#ASMEND
	scratch_load_b32 v6, off, s32 offset:312 th:TH_LOAD_LU ; 4-byte Folded Reload
	v_fmac_f32_e32 v31, v3, v4
	v_and_b32_e32 v4, 0xffff, v38
	s_wait_loadcnt 0x0
	v_and_b32_e32 v6, 0xffff, v6
	;;#ASMSTART
	v_cvt_f32_f16 v6, v6;
	;;#ASMEND
	ds_load_b64 v[36:37], v50 offset:248
	v_fmac_f32_e32 v49, v2, v6
	v_and_b32_e32 v6, 0xffff, v39
	s_wait_dscnt 0x0
	v_lshrrev_b32_e32 v2, 16, v36
	v_and_b32_e32 v3, 0xffff, v36
	;;#ASMSTART
	v_cvt_f32_f16 v3, v3;
	;;#ASMEND
	;;#ASMSTART
	v_cvt_f32_f16 v2, v2;
	;;#ASMEND
	;;#ASMSTART
	v_cvt_f32_f16 v4, v4;
	;;#ASMEND
	;;#ASMSTART
	v_cvt_f32_f16 v6, v6;
	;;#ASMEND
	v_dual_fmac_f32 v0, v3, v4 :: v_dual_fmac_f32 v1, v2, v6
	v_and_b32_e32 v3, 0xffff, v37
	;;#ASMSTART
	v_cvt_f32_f16 v3, v3;
	;;#ASMEND
	v_lshrrev_b32_e32 v2, 16, v37
	;;#ASMSTART
	v_cvt_f32_f16 v2, v2;
	;;#ASMEND
	v_and_b32_e32 v4, 0xffff, v28
	v_and_b32_e32 v6, 0xffff, v22
	;;#ASMSTART
	v_cvt_f32_f16 v4, v4;
	;;#ASMEND
	;;#ASMSTART
	v_cvt_f32_f16 v6, v6;
	;;#ASMEND
	s_delay_alu instid0(VALU_DEP_1) | instskip(SKIP_2) | instid1(VALU_DEP_1)
	v_dual_fmac_f32 v31, v3, v4 :: v_dual_fmac_f32 v49, v2, v6
	v_add_f32_e32 v0, v0, v1
	v_mbcnt_lo_u32_b32 v2, -1, 0
	v_dual_add_f32 v0, v0, v31 :: v_dual_bitop2_b32 v1, 1, v2 bitop3:0x14
	s_delay_alu instid0(VALU_DEP_1) | instskip(NEXT) | instid1(VALU_DEP_1)
	v_cmp_gt_i32_e64 s3, 32, v1
	v_dual_add_f32 v0, v49, v0 :: v_dual_cndmask_b32 v1, v2, v1, s3
	s_delay_alu instid0(VALU_DEP_1)
	v_lshlrev_b32_e32 v1, 2, v1
	ds_bpermute_b32 v1, v1, v0
	s_wait_xcnt 0x0
	s_and_saveexec_b32 s19, vcc_lo
	s_cbranch_execz .LBB261_10
; %bb.1042:                             ;   in Loop: Header=BB261_12 Depth=1
	s_clause 0x1
	scratch_load_b32 v2, off, s32 offset:460
	scratch_load_b32 v3, off, s32 offset:448
	s_load_b32 s20, s[12:13], 0x0
	s_wait_loadcnt_dscnt 0x100
	v_dual_add_f32 v0, v0, v1 :: v_dual_add_nc_u32 v2, v2, v30
	s_delay_alu instid0(VALU_DEP_1) | instskip(SKIP_1) | instid1(VALU_DEP_1)
	v_cvt_f32_i32_e32 v2, v2
	s_wait_loadcnt 0x0
	v_mul_f32_e32 v2, v3, v2
	scratch_load_b32 v3, off, s32 offset:452 ; 4-byte Folded Reload
	v_cndmask_b32_e64 v1, 0, v2, s2
	scratch_load_b32 v2, off, s32 offset:456 ; 4-byte Folded Reload
	s_wait_loadcnt 0x1
	v_fmac_f32_e32 v1, v3, v0
	scratch_load_b32 v3, off, s32 offset:436 ; 4-byte Folded Reload
	s_wait_loadcnt 0x0
	v_dual_max_num_f32 v0, v3, v3 :: v_dual_add_nc_u32 v2, v2, v30
	s_delay_alu instid0(VALU_DEP_1) | instskip(NEXT) | instid1(VALU_DEP_2)
	v_max_num_f32_e32 v0, v0, v1
	v_cmp_lt_i32_e64 s3, v2, v12
	s_wait_kmcnt 0x0
	s_delay_alu instid0(VALU_DEP_1) | instskip(NEXT) | instid1(VALU_DEP_3)
	v_dual_add_nc_u32 v2, s20, v108 :: v_dual_cndmask_b32 v1, 0, v1, s3
	v_cndmask_b32_e64 v3, v3, v0, s3
	ds_store_b32 v2, v1
	scratch_store_b32 off, v3, s32 offset:436 ; 4-byte Folded Spill
	s_branch .LBB261_10
.LBB261_1043:
	s_or_b32 exec_lo, exec_lo, s18
	s_clause 0x5
	scratch_load_b32 v26, off, s32 offset:516
	scratch_load_b64 v[50:51], off, s32 offset:520
	scratch_load_b64 v[52:53], off, s32 offset:528
	scratch_load_b32 v23, off, s32 offset:536
	scratch_load_b32 v27, off, s32 offset:540
	;; [unrolled: 1-line block ×3, first 2 shown]
.LBB261_1044:
	s_wait_xcnt 0x0
	s_or_b32 exec_lo, exec_lo, s5
	v_mbcnt_lo_u32_b32 v6, -1, 0
	s_wait_loadcnt 0x0
	s_delay_alu instid0(VALU_DEP_1) | instskip(SKIP_2) | instid1(VALU_DEP_2)
	v_dual_max_num_f32 v2, v7, v7 :: v_dual_bitop2_b32 v0, 16, v6 bitop3:0x14
	s_wait_dscnt 0x0
	v_xor_b32_e32 v1, 8, v6
	v_cmp_gt_i32_e32 vcc_lo, 32, v0
	v_cndmask_b32_e32 v0, v6, v0, vcc_lo
	s_delay_alu instid0(VALU_DEP_3) | instskip(NEXT) | instid1(VALU_DEP_2)
	v_cmp_gt_i32_e32 vcc_lo, 32, v1
	v_dual_lshlrev_b32 v3, 2, v0 :: v_dual_cndmask_b32 v1, v6, v1, vcc_lo
	ds_bpermute_b32 v0, v3, v7
	s_wait_dscnt 0x0
	v_dual_lshlrev_b32 v4, 2, v1 :: v_dual_max_num_f32 v0, v0, v0
	s_delay_alu instid0(VALU_DEP_1) | instskip(SKIP_4) | instid1(VALU_DEP_1)
	v_dual_max_num_f32 v0, v2, v0 :: v_dual_bitop2_b32 v2, 4, v6 bitop3:0x14
	ds_bpermute_b32 v1, v4, v0
	v_cmp_gt_i32_e32 vcc_lo, 32, v2
	s_wait_dscnt 0x0
	v_dual_cndmask_b32 v2, v6, v2 :: v_dual_max_num_f32 v1, v1, v1
	v_dual_max_num_f32 v0, v0, v1 :: v_dual_lshlrev_b32 v5, 2, v2
	ds_bpermute_b32 v1, v5, v0
	s_wait_dscnt 0x0
	v_dual_max_num_f32 v1, v1, v1 :: v_dual_bitop2_b32 v2, 2, v6 bitop3:0x14
	s_delay_alu instid0(VALU_DEP_1) | instskip(NEXT) | instid1(VALU_DEP_2)
	v_cmp_gt_i32_e32 vcc_lo, 32, v2
	v_dual_max_num_f32 v0, v0, v1 :: v_dual_cndmask_b32 v2, v6, v2, vcc_lo
	scratch_load_b32 v6, off, s32 offset:424 ; 4-byte Folded Reload
	v_lshlrev_b32_e32 v2, 2, v2
	ds_bpermute_b32 v1, v2, v0
	s_wait_loadcnt 0x0
	v_and_b32_e32 v80, 31, v6
	scratch_load_b32 v6, off, s32 offset:464 ; 4-byte Folded Reload
	s_wait_loadcnt 0x0
	v_lshlrev_b32_e32 v6, 2, v6
	v_cmp_eq_u32_e32 vcc_lo, 0, v80
	s_wait_xcnt 0x0
	s_and_saveexec_b32 s2, vcc_lo
	s_cbranch_execz .LBB261_1046
; %bb.1045:
	s_wait_dscnt 0x0
	v_dual_max_num_f32 v1, v1, v1 :: v_dual_max_num_f32 v0, v0, v0
	s_delay_alu instid0(VALU_DEP_1)
	v_max_num_f32_e32 v0, v0, v1
	ds_store_b32 v6, v0 offset:512
.LBB261_1046:
	s_or_b32 exec_lo, exec_lo, s2
	v_cmp_gt_u32_e64 s2, 4, v80
	v_dual_mov_b32 v0, 0xff7fffff :: v_dual_lshlrev_b32 v7, 2, v80
	s_wait_storecnt_dscnt 0x0
	s_barrier_signal -1
	s_barrier_wait -1
	s_and_saveexec_b32 s3, s2
; %bb.1047:
	ds_load_b32 v0, v7 offset:512
; %bb.1048:
	s_or_b32 exec_lo, exec_lo, s3
	s_wait_dscnt 0x0
	ds_bpermute_b32 v1, v2, v0
	v_mbcnt_lo_u32_b32 v11, -1, 0
	s_delay_alu instid0(VALU_DEP_1) | instskip(NEXT) | instid1(VALU_DEP_1)
	v_dual_max_num_f32 v10, v0, v0 :: v_dual_bitop2_b32 v9, 1, v11 bitop3:0x14
	v_cmp_gt_i32_e64 s3, 32, v9
	s_delay_alu instid0(VALU_DEP_1) | instskip(SKIP_3) | instid1(VALU_DEP_1)
	v_cndmask_b32_e64 v0, v11, v9, s3
	scratch_load_b32 v11, off, s32 offset:424 ; 4-byte Folded Reload
	s_wait_dscnt 0x0
	v_dual_max_num_f32 v1, v1, v1 :: v_dual_lshlrev_b32 v0, 2, v0
	v_max_num_f32_e32 v1, v10, v1
	ds_bpermute_b32 v9, v0, v1
	s_wait_dscnt 0x0
	v_max_num_f32_e32 v9, v9, v9
	s_delay_alu instid0(VALU_DEP_1) | instskip(SKIP_4) | instid1(VALU_DEP_1)
	v_dual_max_num_f32 v1, v1, v9 :: v_dual_mov_b32 v9, 0
	ds_bpermute_b32 v10, v9, v1
	scratch_load_b32 v1, off, s32 offset:200 ; 4-byte Folded Reload
	s_wait_loadcnt 0x0
	v_lshlrev_b32_e32 v1, 4, v1
	v_min_i32_e32 v1, v1, v12
	s_delay_alu instid0(VALU_DEP_1)
	v_cmp_lt_i32_e64 s3, v11, v1
	s_and_saveexec_b32 s5, s3
	s_cbranch_execz .LBB261_1052
; %bb.1049:
	scratch_load_b32 v13, off, s32 offset:424 ; 4-byte Folded Reload
	s_wait_kmcnt 0x0
	s_ashr_i32 s11, s10, 31
	v_mov_b32_e32 v9, 0
	s_lshl_b64 s[12:13], s[10:11], 2
	s_mov_b32 s11, 0
	s_add_nc_u64 s[12:13], s[8:9], s[12:13]
	s_load_b32 s4, s[12:13], 0x0
	s_wait_loadcnt 0x0
	s_wait_kmcnt 0x0
	v_lshl_add_u32 v11, v13, 2, s4
.LBB261_1050:                           ; =>This Inner Loop Header: Depth=1
	ds_load_b32 v14, v11
	v_add_nc_u32_e32 v13, 0x80, v13
	s_delay_alu instid0(VALU_DEP_1) | instskip(SKIP_3) | instid1(VALU_DEP_1)
	v_cmp_ge_i32_e64 s4, v13, v1
	s_or_b32 s11, s4, s11
	s_wait_dscnt 0x0
	v_sub_f32_e32 v14, v14, v10
	v_mul_f32_e32 v14, 0x3fb8aa3b, v14
	s_delay_alu instid0(VALU_DEP_1)
	v_exp_f32_e32 v14, v14
	ds_store_b32 v11, v14
	v_nop
	v_add_f32_e32 v9, v9, v14
	v_add_nc_u32_e32 v11, 0x200, v11
	s_and_not1_b32 exec_lo, exec_lo, s11
	s_cbranch_execnz .LBB261_1050
; %bb.1051:
	s_or_b32 exec_lo, exec_lo, s11
.LBB261_1052:
	s_delay_alu instid0(SALU_CYCLE_1)
	s_or_b32 exec_lo, exec_lo, s5
	ds_bpermute_b32 v3, v3, v9
	s_wait_dscnt 0x0
	v_add_f32_e32 v3, v9, v3
	ds_bpermute_b32 v4, v4, v3
	s_wait_dscnt 0x0
	v_add_f32_e32 v3, v3, v4
	;; [unrolled: 3-line block ×5, first 2 shown]
	s_and_saveexec_b32 s4, vcc_lo
; %bb.1053:
	ds_store_b32 v6, v3 offset:528
; %bb.1054:
	s_or_b32 exec_lo, exec_lo, s4
	s_wait_dscnt 0x0
	s_barrier_signal -1
	s_barrier_wait -1
	s_and_saveexec_b32 s4, s2
; %bb.1055:
	ds_load_b32 v3, v7 offset:528
; %bb.1056:
	s_or_b32 exec_lo, exec_lo, s4
	s_wait_dscnt 0x0
	ds_bpermute_b32 v2, v2, v3
	s_wait_dscnt 0x0
	v_add_f32_e32 v2, v3, v2
	ds_bpermute_b32 v3, v0, v2
	s_wait_dscnt 0x0
	v_dual_add_f32 v2, v2, v3 :: v_dual_mov_b32 v3, 0
	ds_bpermute_b32 v2, v3, v2
	s_and_saveexec_b32 s2, s3
	s_cbranch_execz .LBB261_1069
; %bb.1057:
	s_wait_dscnt 0x0
	v_add_f32_e32 v2, 0x358637bd, v2
	s_mov_b32 s4, -1
	s_mov_b32 s3, exec_lo
	s_delay_alu instid0(VALU_DEP_1) | instskip(SKIP_1) | instid1(VALU_DEP_2)
	v_div_scale_f32 v3, null, v2, v2, 1.0
	v_div_scale_f32 v6, vcc_lo, 1.0, v2, 1.0
	v_rcp_f32_e32 v4, v3
	v_nop
	s_delay_alu instid0(TRANS32_DEP_1) | instskip(NEXT) | instid1(VALU_DEP_1)
	v_fma_f32 v5, -v3, v4, 1.0
	v_fmac_f32_e32 v4, v5, v4
	s_delay_alu instid0(VALU_DEP_1) | instskip(NEXT) | instid1(VALU_DEP_1)
	v_mul_f32_e32 v5, v6, v4
	v_fma_f32 v7, -v3, v5, v6
	s_delay_alu instid0(VALU_DEP_1) | instskip(SKIP_2) | instid1(VALU_DEP_1)
	v_fmac_f32_e32 v5, v7, v4
	scratch_load_b32 v7, off, s32 offset:424 ; 4-byte Folded Reload
	v_fma_f32 v6, -v3, v5, v6
	v_div_fmas_f32 v4, v6, v4, v5
	s_delay_alu instid0(VALU_DEP_1) | instskip(SKIP_3) | instid1(VALU_DEP_2)
	v_div_fixup_f32 v4, v4, v2, 1.0
	s_wait_loadcnt 0x0
	v_xad_u32 v3, v7, -1, v1
	v_mov_b32_e32 v2, v7
	v_cmpx_lt_u32_e32 0x7f, v3
	s_cbranch_execz .LBB261_1066
; %bb.1058:
	v_dual_mov_b32 v5, v4 :: v_dual_lshrrev_b32 v2, 7, v3
	s_delay_alu instid0(VALU_DEP_1) | instskip(NEXT) | instid1(VALU_DEP_1)
	v_dual_mov_b32 v9, 0 :: v_dual_add_nc_u32 v3, -1, v2
	v_lshrrev_b32_e32 v6, 1, v3
	v_cmp_lt_u32_e32 vcc_lo, 13, v3
	s_delay_alu instid0(VALU_DEP_2)
	v_add_nc_u32_e32 v3, 1, v6
	s_and_saveexec_b32 s4, vcc_lo
	s_cbranch_execz .LBB261_1062
; %bb.1059:
	scratch_load_b32 v7, off, s32 offset:424 ; 4-byte Folded Reload
	s_wait_kmcnt 0x0
	s_ashr_i32 s11, s10, 31
	v_and_b32_e32 v6, -8, v3
	s_lshl_b64 s[12:13], s[10:11], 2
	s_mov_b32 s11, 0
	s_add_nc_u64 s[12:13], s[8:9], s[12:13]
	s_load_b32 s5, s[12:13], 0x0
	s_wait_loadcnt 0x0
	s_wait_kmcnt 0x0
	v_lshl_add_u32 v7, v7, 2, s5
	s_mov_b32 s5, 0
.LBB261_1060:                           ; =>This Inner Loop Header: Depth=1
	ds_load_2addr_stride64_b32 v[10:11], v7 offset1:2
	ds_load_2addr_stride64_b32 v[14:15], v7 offset0:4 offset1:6
	ds_load_2addr_stride64_b32 v[16:17], v7 offset0:8 offset1:10
	;; [unrolled: 1-line block ×7, first 2 shown]
	s_add_co_i32 s11, s11, 16
	s_delay_alu instid0(SALU_CYCLE_1) | instskip(NEXT) | instid1(VALU_DEP_1)
	v_dual_mov_b32 v9, s11 :: v_dual_add_nc_u32 v6, -8, v6
	v_cmp_eq_u32_e32 vcc_lo, 0, v6
	s_or_b32 s5, vcc_lo, s5
	s_wait_dscnt 0x7
	v_pk_mul_f32 v[10:11], v[4:5], v[10:11]
	s_wait_dscnt 0x6
	v_pk_mul_f32 v[14:15], v[4:5], v[14:15]
	;; [unrolled: 2-line block ×8, first 2 shown]
	ds_store_2addr_stride64_b32 v7, v10, v11 offset1:2
	ds_store_2addr_stride64_b32 v7, v14, v15 offset0:4 offset1:6
	ds_store_2addr_stride64_b32 v7, v16, v17 offset0:8 offset1:10
	;; [unrolled: 1-line block ×7, first 2 shown]
	v_add_nc_u32_e32 v7, 0x2000, v7
	s_and_not1_b32 exec_lo, exec_lo, s5
	s_cbranch_execnz .LBB261_1060
; %bb.1061:
	s_or_b32 exec_lo, exec_lo, s5
.LBB261_1062:
	s_delay_alu instid0(SALU_CYCLE_1) | instskip(NEXT) | instid1(VALU_DEP_1)
	s_or_b32 exec_lo, exec_lo, s4
	v_and_b32_e32 v3, 7, v3
	s_mov_b32 s5, 0
	s_mov_b32 s4, exec_lo
	s_delay_alu instid0(VALU_DEP_1)
	v_cmpx_ne_u32_e32 0, v3
	s_cbranch_execz .LBB261_1065
; %bb.1063:
	scratch_load_b32 v7, off, s32 offset:424 ; 4-byte Folded Reload
	s_wait_kmcnt 0x0
	s_ashr_i32 s11, s10, 31
	v_lshlrev_b32_e32 v6, 9, v9
	s_lshl_b64 s[12:13], s[10:11], 2
	s_delay_alu instid0(SALU_CYCLE_1) | instskip(SKIP_4) | instid1(VALU_DEP_1)
	s_add_nc_u64 s[12:13], s[8:9], s[12:13]
	s_load_b32 s11, s[12:13], 0x0
	s_wait_loadcnt 0x0
	v_lshlrev_b32_e32 v7, 2, v7
	s_wait_kmcnt 0x0
	v_add3_u32 v6, v6, v7, s11
.LBB261_1064:                           ; =>This Inner Loop Header: Depth=1
	ds_load_2addr_stride64_b32 v[10:11], v6 offset1:2
	v_add_nc_u32_e32 v3, -1, v3
	s_delay_alu instid0(VALU_DEP_1)
	v_cmp_eq_u32_e32 vcc_lo, 0, v3
	s_or_b32 s5, vcc_lo, s5
	s_wait_dscnt 0x0
	v_pk_mul_f32 v[10:11], v[4:5], v[10:11]
	ds_store_2addr_stride64_b32 v6, v10, v11 offset1:2
	v_add_nc_u32_e32 v6, 0x400, v6
	s_and_not1_b32 exec_lo, exec_lo, s5
	s_cbranch_execnz .LBB261_1064
.LBB261_1065:
	s_or_b32 exec_lo, exec_lo, s4
	v_add_nc_u32_e32 v2, 1, v2
	s_delay_alu instid0(VALU_DEP_1) | instskip(NEXT) | instid1(VALU_DEP_1)
	v_and_b32_e32 v3, 0x3fffffe, v2
	v_cmp_ne_u32_e32 vcc_lo, v2, v3
	scratch_load_b32 v2, off, s32 offset:424 ; 4-byte Folded Reload
	s_or_not1_b32 s4, vcc_lo, exec_lo
	s_wait_loadcnt 0x0
	v_lshl_add_u32 v2, v3, 7, v2
.LBB261_1066:
	s_or_b32 exec_lo, exec_lo, s3
	s_delay_alu instid0(SALU_CYCLE_1)
	s_and_b32 exec_lo, exec_lo, s4
	s_cbranch_execz .LBB261_1069
; %bb.1067:
	s_wait_kmcnt 0x0
	s_ashr_i32 s11, s10, 31
	s_delay_alu instid0(SALU_CYCLE_1) | instskip(NEXT) | instid1(SALU_CYCLE_1)
	s_lshl_b64 s[4:5], s[10:11], 2
	s_add_nc_u64 s[4:5], s[8:9], s[4:5]
	s_load_b32 s3, s[4:5], 0x0
	s_wait_kmcnt 0x0
	v_lshl_add_u32 v3, v2, 2, s3
	s_mov_b32 s3, 0
.LBB261_1068:                           ; =>This Inner Loop Header: Depth=1
	ds_load_b32 v5, v3
	s_wait_dscnt 0x0
	v_dual_mul_f32 v5, v4, v5 :: v_dual_add_nc_u32 v2, 0x80, v2
	s_delay_alu instid0(VALU_DEP_1) | instskip(SKIP_3) | instid1(SALU_CYCLE_1)
	v_cmp_ge_i32_e32 vcc_lo, v2, v1
	ds_store_b32 v3, v5
	v_add_nc_u32_e32 v3, 0x200, v3
	s_or_b32 s3, vcc_lo, s3
	s_and_not1_b32 exec_lo, exec_lo, s3
	s_cbranch_execnz .LBB261_1068
.LBB261_1069:
	s_or_b32 exec_lo, exec_lo, s2
	s_wait_dscnt 0x0
	s_barrier_signal -1
	s_barrier_wait -1
	s_and_saveexec_b32 s2, s1
	s_delay_alu instid0(SALU_CYCLE_1)
	s_xor_b32 s1, exec_lo, s2
	s_cbranch_execz .LBB261_1071
; %bb.1070:
                                        ; implicit-def: $vgpr1
                                        ; kill: killed $vgpr1
	s_wait_kmcnt 0x0
	s_ashr_i32 s11, s10, 31
                                        ; implicit-def: $vgpr1
                                        ; kill: killed $vgpr1
                                        ; implicit-def: $vgpr2
                                        ; implicit-def: $vgpr12
                                        ; implicit-def: $vgpr23
                                        ; implicit-def: $vgpr52
                                        ; implicit-def: $vgpr1
                                        ; kill: killed $vgpr1
                                        ; implicit-def: $vgpr1
                                        ; kill: killed $vgpr1
	s_clause 0x2
	scratch_store_b64 off, v[2:3], s32 offset:292
	; meta instruction
	; meta instruction
	;; [unrolled: 1-line block ×13, first 2 shown]
	scratch_store_b64 off, v[2:3], s32 offset:472
	; meta instruction
	; meta instruction
	scratch_store_b64 off, v[2:3], s32 offset:500
.LBB261_1071:
	s_wait_xcnt 0x0
	s_or_saveexec_b32 s12, s1
	v_mov_b32_e32 v5, 0
	s_wait_kmcnt 0x0
	v_mov_b64_e32 v[48:49], s[10:11]
	s_delay_alu instid0(VALU_DEP_2)
	v_dual_mov_b32 v4, v5 :: v_dual_mov_b32 v25, v5
	v_dual_mov_b32 v24, v5 :: v_dual_mov_b32 v33, v5
	;; [unrolled: 1-line block ×7, first 2 shown]
	v_mov_b32_e32 v36, v5
	s_xor_b32 exec_lo, exec_lo, s12
	s_cbranch_execz .LBB261_2133
; %bb.1072:
	s_clause 0x2
	scratch_load_b32 v4, off, s32 offset:200
	scratch_load_b32 v10, off, s32 offset:464
	scratch_load_b64 v[2:3], off, s32 offset:472 th:TH_LOAD_LU
	v_max_i32_e32 v82, v26, v27
	v_dual_mov_b32 v7, 0 :: v_dual_bitop2_b32 v83, 8, v52 bitop3:0x40
	v_and_b32_e32 v6, 0xf8, v52
	s_ashr_i32 s11, s10, 31
	v_dual_mov_b32 v37, 0 :: v_dual_mov_b32 v38, 0
	v_dual_mov_b32 v39, 0 :: v_dual_mov_b32 v34, 0
	;; [unrolled: 1-line block ×6, first 2 shown]
	s_lshl_b64 s[4:5], s[10:11], 2
	s_mov_b64 s[2:3], 0xffffffffffffff
	s_mov_b32 s13, 0
	s_add_nc_u64 s[4:5], s[8:9], s[4:5]
	v_dual_mov_b32 v36, 0 :: v_dual_mov_b32 v25, 0
	s_wait_loadcnt 0x2
	v_dual_mov_b32 v15, v7 :: v_dual_add_nc_u32 v84, -1, v4
	scratch_load_b32 v4, off, s32 offset:424 ; 4-byte Folded Reload
	s_wait_loadcnt 0x1
	v_add_nc_u64_e32 v[2:3], v[50:51], v[2:3]
	v_dual_mov_b32 v13, v12 :: v_dual_sub_nc_u32 v5, 0, v82
	v_mov_b32_e32 v85, v10
	v_cvt_f32_u32_e32 v1, v82
	s_delay_alu instid0(VALU_DEP_4) | instskip(SKIP_3) | instid1(TRANS32_DEP_1)
	v_add_nc_u64_e32 v[16:17], v[2:3], v[6:7]
	scratch_load_b64 v[2:3], off, s32 offset:492 th:TH_LOAD_LU ; 8-byte Folded Reload
	v_rcp_iflag_f32_e32 v1, v1
	v_and_b32_e32 v6, 0x7c, v23
	v_mul_f32_e32 v1, 0x4f7ffffe, v1
	s_delay_alu instid0(VALU_DEP_1) | instskip(NEXT) | instid1(VALU_DEP_1)
	v_cvt_u32_f32_e32 v1, v1
	v_mul_lo_u32 v5, v5, v1
	s_delay_alu instid0(VALU_DEP_1) | instskip(NEXT) | instid1(VALU_DEP_1)
	v_mul_hi_u32 v5, v1, v5
	v_dual_mov_b32 v5, 0 :: v_dual_add_nc_u32 v14, v1, v5
	s_wait_loadcnt 0x1
	v_and_b32_e32 v4, 1, v4
	s_delay_alu instid0(VALU_DEP_1) | instskip(NEXT) | instid1(VALU_DEP_1)
	v_dual_mov_b32 v4, 0 :: v_dual_lshlrev_b32 v9, 5, v4
	v_lshl_or_b32 v86, v10, 6, v9
	s_clause 0x1
	scratch_load_b64 v[8:9], off, s32 offset:500
	scratch_load_b64 v[10:11], off, s32 offset:484 th:TH_LOAD_LU
	s_wait_loadcnt 0x2
	v_lshl_add_u64 v[2:3], v[2:3], 2, v[6:7]
	s_wait_loadcnt 0x0
	s_delay_alu instid0(VALU_DEP_1)
	v_add_nc_u64_e32 v[10:11], v[10:11], v[2:3]
	s_branch .LBB261_1075
.LBB261_1073:                           ;   in Loop: Header=BB261_1075 Depth=1
	s_or_b32 exec_lo, exec_lo, s1
	v_dual_add_f32 v1, v53, v54 :: v_dual_add_f32 v2, v60, v61
	v_add_f32_e32 v27, v46, v47
	v_dual_add_f32 v3, v58, v59 :: v_dual_add_f32 v18, v56, v57
	s_delay_alu instid0(VALU_DEP_3) | instskip(NEXT) | instid1(VALU_DEP_4)
	v_add_f32_e32 v4, v4, v1
	v_dual_add_f32 v1, v44, v45 :: v_dual_add_f32 v25, v25, v2
	s_delay_alu instid0(VALU_DEP_4) | instskip(NEXT) | instid1(VALU_DEP_4)
	v_add_f32_e32 v32, v32, v27
	v_dual_add_f32 v24, v24, v3 :: v_dual_add_f32 v33, v33, v18
	s_delay_alu instid0(VALU_DEP_3) | instskip(SKIP_2) | instid1(VALU_DEP_2)
	v_dual_add_f32 v21, v21, v1 :: v_dual_add_f32 v1, v42, v43
	v_dual_add_f32 v2, v40, v41 :: v_dual_add_f32 v3, v118, v119
	v_dual_add_f32 v18, v116, v117 :: v_dual_add_f32 v27, v114, v115
	v_dual_add_f32 v20, v20, v1 :: v_dual_add_f32 v31, v31, v2
	s_delay_alu instid0(VALU_DEP_3)
	v_add_f32_e32 v30, v30, v3
	;;#ASMSTART
	v_pk_mul_f16 v2, v67, v19;

	;;#ASMEND
	;;#ASMSTART
	v_pk_mul_f16 v3, v65, v26;

	;;#ASMEND
	;; [unrolled: 4-line block ×4, first 2 shown]
	;;#ASMSTART
	v_pk_add_f16 v2, v2, v3;

	;;#ASMEND
	;;#ASMSTART
	v_pk_add_f16 v2, v2, v9;

	;;#ASMEND
	;; [unrolled: 4-line block ×3, first 2 shown]
	v_and_b32_e32 v9, 0xffff, v2
	v_dual_add_f32 v35, v35, v18 :: v_dual_add_f32 v34, v34, v27
	v_dual_add_f32 v1, v112, v113 :: v_dual_lshrrev_b32 v18, 16, v2
	;;#ASMSTART
	v_cvt_f32_f16 v9, v9;
	;;#ASMEND
	v_dual_add_f32 v2, v71, v103 :: v_dual_add_f32 v3, v69, v70
	;;#ASMSTART
	v_cvt_f32_f16 v18, v18;
	;;#ASMEND
	s_delay_alu instid0(VALU_DEP_2) | instskip(NEXT) | instid1(VALU_DEP_2)
	v_dual_add_f32 v6, v66, v68 :: v_dual_add_f32 v9, v9, v18
	v_dual_add_f32 v39, v39, v1 :: v_dual_add_f32 v38, v38, v2
	s_delay_alu instid0(VALU_DEP_2) | instskip(NEXT) | instid1(VALU_DEP_3)
	v_dual_add_f32 v37, v37, v3 :: v_dual_add_f32 v36, v36, v6
	v_add_f32_e32 v5, v5, v9
.LBB261_1074:                           ;   in Loop: Header=BB261_1075 Depth=1
	s_or_b32 exec_lo, exec_lo, s18
	scratch_load_b32 v1, off, s32 offset:200 ; 4-byte Folded Reload
	v_dual_add_nc_u32 v85, 4, v85 :: v_dual_add_nc_u32 v8, 64, v8
	v_add_nc_u64_e32 v[10:11], 16, v[10:11]
	v_add_nc_u32_e32 v86, 0x100, v86
	s_wait_loadcnt 0x0
	s_delay_alu instid0(VALU_DEP_3)
	v_cmp_ge_i32_e32 vcc_lo, v85, v1
	s_or_b32 s13, vcc_lo, s13
	s_wait_xcnt 0x0
	s_and_not1_b32 exec_lo, exec_lo, s13
	s_cbranch_execz .LBB261_2132
.LBB261_1075:                           ; =>This Inner Loop Header: Depth=1
	scratch_load_b64 v[2:3], off, s32 offset:204 ; 8-byte Folded Reload
	v_mov_b32_e32 v9, v7
	s_wait_loadcnt 0x0
	s_delay_alu instid0(VALU_DEP_1) | instskip(SKIP_3) | instid1(VALU_DEP_1)
	v_mul_u64_e32 v[2:3], v[8:9], v[2:3]
	scratch_load_b32 v9, off, s32 offset:216 ; 4-byte Folded Reload
	s_wait_loadcnt 0x0
	v_mul_lo_u32 v1, v3, v9
	v_dual_sub_nc_u32 v1, v8, v1 :: v_dual_add_nc_u32 v2, 1, v3
	s_delay_alu instid0(VALU_DEP_1) | instskip(SKIP_1) | instid1(VALU_DEP_3)
	v_sub_nc_u32_e32 v6, v1, v9
	v_cmp_ge_u32_e32 vcc_lo, v1, v9
	v_cndmask_b32_e32 v2, v3, v2, vcc_lo
	s_delay_alu instid0(VALU_DEP_3) | instskip(NEXT) | instid1(VALU_DEP_2)
	v_cndmask_b32_e32 v1, v1, v6, vcc_lo
	v_add_nc_u32_e32 v3, 1, v2
	s_delay_alu instid0(VALU_DEP_2) | instskip(NEXT) | instid1(VALU_DEP_2)
	v_cmp_ge_u32_e32 vcc_lo, v1, v9
	v_cndmask_b32_e32 v1, v2, v3, vcc_lo
	scratch_load_b32 v2, off, s32 offset:212 ; 4-byte Folded Reload
	s_wait_loadcnt 0x0
	v_xor_b32_e32 v1, v1, v2
	s_delay_alu instid0(VALU_DEP_1) | instskip(SKIP_3) | instid1(VALU_DEP_1)
	v_sub_nc_u32_e32 v1, v1, v2
	scratch_load_b32 v2, off, s32 offset:220 ; 4-byte Folded Reload
	s_wait_loadcnt 0x0
	v_add_nc_u32_e32 v9, v1, v2
	v_sub_nc_u32_e32 v2, 0, v9
	s_delay_alu instid0(VALU_DEP_1) | instskip(NEXT) | instid1(VALU_DEP_1)
	v_max_i32_e32 v6, v9, v2
	v_mul_u64_e32 v[2:3], v[6:7], v[14:15]
	s_delay_alu instid0(VALU_DEP_1) | instskip(NEXT) | instid1(VALU_DEP_1)
	v_mul_lo_u32 v2, v3, v82
	v_sub_nc_u32_e32 v2, v6, v2
	s_delay_alu instid0(VALU_DEP_1) | instskip(SKIP_1) | instid1(VALU_DEP_2)
	v_sub_nc_u32_e32 v3, v2, v82
	v_cmp_ge_u32_e32 vcc_lo, v2, v82
	v_dual_cndmask_b32 v2, v2, v3, vcc_lo :: v_dual_ashrrev_i32 v6, 31, v9
	s_delay_alu instid0(VALU_DEP_1) | instskip(SKIP_1) | instid1(VALU_DEP_2)
	v_sub_nc_u32_e32 v3, v2, v82
	v_cmp_ge_u32_e32 vcc_lo, v2, v82
	v_cndmask_b32_e32 v2, v2, v3, vcc_lo
	s_delay_alu instid0(VALU_DEP_1) | instskip(NEXT) | instid1(VALU_DEP_1)
	v_xor_b32_e32 v2, v2, v6
	v_sub_nc_u32_e32 v2, v2, v6
	s_delay_alu instid0(VALU_DEP_1)
	v_cmp_eq_u32_e32 vcc_lo, 0, v2
	scratch_load_b32 v2, off, s32 offset:224 ; 4-byte Folded Reload
	s_wait_loadcnt 0x0
	v_cmp_gt_i32_e64 s1, v1, v2
	s_or_b32 s1, vcc_lo, s1
	s_wait_xcnt 0x0
	s_and_saveexec_b32 s18, s1
	s_cbranch_execz .LBB261_1074
; %bb.1076:                             ;   in Loop: Header=BB261_1075 Depth=1
	s_load_b32 s1, s[4:5], 0x0
	flat_load_b32 v1, v[10:11]
	s_wait_kmcnt 0x0
	v_add_nc_u32_e32 v2, s1, v86
	s_mov_b32 s1, exec_lo
	ds_load_2addr_b64 v[48:51], v2 offset1:1
	ds_load_2addr_b64 v[96:99], v2 offset0:2 offset1:3
	scratch_load_b64 v[2:3], off, s32 offset:292 ; 8-byte Folded Reload
	s_wait_dscnt 0x1
	;;#ASMSTART
	v_cvt_f16_f32 v65, v48;

	;;#ASMEND
	;;#ASMSTART
	v_cvt_f16_f32 v55, v49;

	;;#ASMEND
	;; [unrolled: 4-line block ×4, first 2 shown]
	s_wait_dscnt 0x0
	;;#ASMSTART
	v_cvt_f16_f32 v69, v96;

	;;#ASMEND
	;;#ASMSTART
	v_cvt_f16_f32 v66, v97;

	;;#ASMEND
	;;#ASMSTART
	v_cvt_f16_f32 v70, v98;

	;;#ASMEND
	;;#ASMSTART
	v_cvt_f16_f32 v68, v99;

	;;#ASMEND
	s_wait_loadcnt 0x0
	v_mad_nc_i64_i32 v[26:27], v1, v2, v[16:17]
	v_mov_b32_e32 v1, 0
	flat_load_b64 v[48:49], v[26:27]
	scratch_load_b64 v[2:3], off, s32 offset:192 ; 8-byte Folded Reload
	s_wait_loadcnt 0x0
	flat_load_b32 v28, v[2:3]
	s_wait_dscnt 0x1
	s_wait_xcnt 0x0
	v_and_b32_e32 v3, 0xff, v48
	v_mov_b32_e32 v2, 0
	s_delay_alu instid0(VALU_DEP_2)
	v_cmpx_ne_u16_e32 0, v3
	s_cbranch_execz .LBB261_1084
; %bb.1077:                             ;   in Loop: Header=BB261_1075 Depth=1
	v_mov_b32_e32 v2, 0x8000
	s_mov_b32 s19, exec_lo
	v_cmpx_ne_u16_e32 0x80, v3
	s_cbranch_execz .LBB261_1083
; %bb.1078:                             ;   in Loop: Header=BB261_1075 Depth=1
	v_and_b32_e32 v6, 0x7f, v48
	v_mov_b32_e32 v2, 0x7c01
	s_mov_b32 s20, exec_lo
	s_delay_alu instid0(VALU_DEP_2)
	v_cmpx_ne_u32_e32 0x7f, v6
	s_cbranch_execz .LBB261_1082
; %bb.1079:                             ;   in Loop: Header=BB261_1075 Depth=1
	v_dual_lshrrev_b32 v3, 3, v6 :: v_dual_bitop2_b32 v2, 7, v48 bitop3:0x40
	s_mov_b32 s21, exec_lo
	v_cmpx_gt_u32_e32 8, v6
; %bb.1080:                             ;   in Loop: Header=BB261_1075 Depth=1
	s_delay_alu instid0(VALU_DEP_2) | instskip(NEXT) | instid1(VALU_DEP_1)
	v_clz_i32_u32_e32 v2, v2
	v_min_u32_e32 v6, 32, v2
	s_delay_alu instid0(VALU_DEP_1) | instskip(NEXT) | instid1(VALU_DEP_1)
	v_subrev_nc_u32_e32 v2, 28, v6
	v_lshlrev_b64_e32 v[2:3], v2, v[48:49]
	v_sub_nc_u32_e32 v3, 29, v6
	s_delay_alu instid0(VALU_DEP_2)
	v_and_b32_e32 v2, 7, v2
; %bb.1081:                             ;   in Loop: Header=BB261_1075 Depth=1
	s_or_b32 exec_lo, exec_lo, s21
	s_delay_alu instid0(VALU_DEP_1) | instskip(NEXT) | instid1(VALU_DEP_3)
	v_dual_lshlrev_b32 v6, 8, v48 :: v_dual_lshlrev_b32 v2, 7, v2
	v_lshl_add_u32 v3, v3, 10, 0x2000
	s_delay_alu instid0(VALU_DEP_2) | instskip(NEXT) | instid1(VALU_DEP_2)
	v_and_b32_e32 v6, 0x8000, v6
	v_and_b32_e32 v3, 0xfc00, v3
	s_delay_alu instid0(VALU_DEP_1)
	v_or3_b32 v2, v6, v3, v2
.LBB261_1082:                           ;   in Loop: Header=BB261_1075 Depth=1
	s_or_b32 exec_lo, exec_lo, s20
.LBB261_1083:                           ;   in Loop: Header=BB261_1075 Depth=1
	s_delay_alu instid0(SALU_CYCLE_1)
	s_or_b32 exec_lo, exec_lo, s19
.LBB261_1084:                           ;   in Loop: Header=BB261_1075 Depth=1
	s_delay_alu instid0(SALU_CYCLE_1) | instskip(SKIP_2) | instid1(VALU_DEP_1)
	s_or_b32 exec_lo, exec_lo, s1
	v_lshrrev_b16 v6, 8, v48
	s_mov_b32 s1, exec_lo
	v_cmpx_ne_u16_e32 0, v6
	s_cbranch_execz .LBB261_1092
; %bb.1085:                             ;   in Loop: Header=BB261_1075 Depth=1
	v_bfrev_b32_e32 v1, 1
	s_mov_b32 s19, exec_lo
	v_cmpx_ne_u16_e32 0x80, v6
	s_cbranch_execz .LBB261_1091
; %bb.1086:                             ;   in Loop: Header=BB261_1075 Depth=1
	v_and_b32_e32 v3, 0xffff, v6
	v_mov_b32_e32 v1, 0x7c010000
	s_mov_b32 s20, exec_lo
	s_delay_alu instid0(VALU_DEP_2) | instskip(NEXT) | instid1(VALU_DEP_1)
	v_and_b32_e32 v18, 0x7f, v3
	v_cmpx_ne_u32_e32 0x7f, v18
	s_cbranch_execz .LBB261_1090
; %bb.1087:                             ;   in Loop: Header=BB261_1075 Depth=1
	v_dual_lshrrev_b32 v9, 3, v18 :: v_dual_bitop2_b32 v1, 7, v3 bitop3:0x40
	s_mov_b32 s21, exec_lo
	v_cmpx_gt_u32_e32 8, v18
; %bb.1088:                             ;   in Loop: Header=BB261_1075 Depth=1
	s_delay_alu instid0(VALU_DEP_2) | instskip(NEXT) | instid1(VALU_DEP_1)
	v_clz_i32_u32_e32 v1, v1
	v_min_u32_e32 v1, 32, v1
	s_delay_alu instid0(VALU_DEP_1) | instskip(NEXT) | instid1(VALU_DEP_1)
	v_subrev_nc_u32_e32 v9, 28, v1
	v_lshlrev_b64_e32 v[18:19], v9, v[6:7]
	s_delay_alu instid0(VALU_DEP_1)
	v_dual_sub_nc_u32 v9, 29, v1 :: v_dual_bitop2_b32 v1, 7, v18 bitop3:0x40
; %bb.1089:                             ;   in Loop: Header=BB261_1075 Depth=1
	s_or_b32 exec_lo, exec_lo, s21
	s_delay_alu instid0(VALU_DEP_1) | instskip(NEXT) | instid1(VALU_DEP_2)
	v_dual_lshlrev_b32 v3, 8, v3 :: v_dual_lshlrev_b32 v1, 23, v1
	v_lshl_add_u32 v6, v9, 10, 0x2000
	s_delay_alu instid0(VALU_DEP_1) | instskip(NEXT) | instid1(VALU_DEP_1)
	v_and_or_b32 v3, 0x8000, v3, v6
	v_lshl_or_b32 v1, v3, 16, v1
.LBB261_1090:                           ;   in Loop: Header=BB261_1075 Depth=1
	s_or_b32 exec_lo, exec_lo, s20
.LBB261_1091:                           ;   in Loop: Header=BB261_1075 Depth=1
	s_delay_alu instid0(SALU_CYCLE_1)
	s_or_b32 exec_lo, exec_lo, s19
.LBB261_1092:                           ;   in Loop: Header=BB261_1075 Depth=1
	s_delay_alu instid0(SALU_CYCLE_1) | instskip(SKIP_3) | instid1(VALU_DEP_2)
	s_or_b32 exec_lo, exec_lo, s1
	v_dual_mov_b32 v3, 0 :: v_dual_lshrrev_b32 v6, 16, v48
	v_mov_b32_e32 v9, 0
	s_mov_b32 s1, exec_lo
	v_and_b32_e32 v18, 0xff, v6
	s_delay_alu instid0(VALU_DEP_1)
	v_cmpx_ne_u16_e32 0, v18
	s_cbranch_execz .LBB261_1100
; %bb.1093:                             ;   in Loop: Header=BB261_1075 Depth=1
	v_mov_b32_e32 v9, 0x8000
	s_mov_b32 s19, exec_lo
	v_cmpx_ne_u16_e32 0x80, v18
	s_cbranch_execz .LBB261_1099
; %bb.1094:                             ;   in Loop: Header=BB261_1075 Depth=1
	v_bfe_u32 v19, v48, 16, 7
	v_mov_b32_e32 v9, 0x7c01
	s_mov_b32 s20, exec_lo
	s_delay_alu instid0(VALU_DEP_2)
	v_cmpx_ne_u32_e32 0x7f, v19
	s_cbranch_execz .LBB261_1098
; %bb.1095:                             ;   in Loop: Header=BB261_1075 Depth=1
	v_dual_lshrrev_b32 v18, 3, v19 :: v_dual_bitop2_b32 v9, 7, v6 bitop3:0x40
	s_mov_b32 s21, exec_lo
	v_cmpx_gt_u32_e32 8, v19
; %bb.1096:                             ;   in Loop: Header=BB261_1075 Depth=1
	s_delay_alu instid0(VALU_DEP_2) | instskip(NEXT) | instid1(VALU_DEP_1)
	v_clz_i32_u32_e32 v9, v9
	v_min_u32_e32 v9, 32, v9
	s_delay_alu instid0(VALU_DEP_1) | instskip(NEXT) | instid1(VALU_DEP_1)
	v_subrev_nc_u32_e32 v18, 28, v9
	v_lshlrev_b64_e32 v[50:51], v18, v[6:7]
	s_delay_alu instid0(VALU_DEP_1)
	v_dual_sub_nc_u32 v18, 29, v9 :: v_dual_bitop2_b32 v9, 7, v50 bitop3:0x40
; %bb.1097:                             ;   in Loop: Header=BB261_1075 Depth=1
	s_or_b32 exec_lo, exec_lo, s21
	s_delay_alu instid0(VALU_DEP_1) | instskip(NEXT) | instid1(VALU_DEP_2)
	v_dual_lshlrev_b32 v6, 8, v6 :: v_dual_lshlrev_b32 v9, 7, v9
	v_lshl_add_u32 v18, v18, 10, 0x2000
	s_delay_alu instid0(VALU_DEP_2) | instskip(NEXT) | instid1(VALU_DEP_2)
	v_and_b32_e32 v6, 0x8000, v6
	v_and_b32_e32 v18, 0xfc00, v18
	s_delay_alu instid0(VALU_DEP_1)
	v_or3_b32 v9, v6, v18, v9
.LBB261_1098:                           ;   in Loop: Header=BB261_1075 Depth=1
	s_or_b32 exec_lo, exec_lo, s20
.LBB261_1099:                           ;   in Loop: Header=BB261_1075 Depth=1
	s_delay_alu instid0(SALU_CYCLE_1)
	s_or_b32 exec_lo, exec_lo, s19
.LBB261_1100:                           ;   in Loop: Header=BB261_1075 Depth=1
	s_delay_alu instid0(SALU_CYCLE_1) | instskip(NEXT) | instid1(SALU_CYCLE_1)
	s_or_b32 exec_lo, exec_lo, s1
	s_mov_b32 s1, exec_lo
	v_cmpx_lt_u32_e32 0xffffff, v48
	s_cbranch_execz .LBB261_1108
; %bb.1101:                             ;   in Loop: Header=BB261_1075 Depth=1
	v_lshrrev_b32_e32 v6, 24, v48
	v_bfrev_b32_e32 v3, 1
	s_mov_b32 s19, exec_lo
	s_delay_alu instid0(VALU_DEP_2)
	v_cmpx_ne_u32_e32 0x80, v6
	s_cbranch_execz .LBB261_1107
; %bb.1102:                             ;   in Loop: Header=BB261_1075 Depth=1
	v_and_b32_e32 v19, 0x7f, v6
	v_mov_b32_e32 v3, 0x7c010000
	s_mov_b32 s20, exec_lo
	s_delay_alu instid0(VALU_DEP_2)
	v_cmpx_ne_u32_e32 0x7f, v19
	s_cbranch_execz .LBB261_1106
; %bb.1103:                             ;   in Loop: Header=BB261_1075 Depth=1
	v_dual_lshrrev_b32 v18, 3, v19 :: v_dual_bitop2_b32 v3, 7, v6 bitop3:0x40
	s_mov_b32 s21, exec_lo
	v_cmpx_gt_u32_e32 8, v19
; %bb.1104:                             ;   in Loop: Header=BB261_1075 Depth=1
	s_delay_alu instid0(VALU_DEP_2) | instskip(NEXT) | instid1(VALU_DEP_1)
	v_clz_i32_u32_e32 v3, v3
	v_min_u32_e32 v3, 32, v3
	s_delay_alu instid0(VALU_DEP_1) | instskip(NEXT) | instid1(VALU_DEP_1)
	v_subrev_nc_u32_e32 v18, 28, v3
	v_lshlrev_b64_e32 v[50:51], v18, v[6:7]
	s_delay_alu instid0(VALU_DEP_1)
	v_dual_sub_nc_u32 v18, 29, v3 :: v_dual_bitop2_b32 v3, 7, v50 bitop3:0x40
; %bb.1105:                             ;   in Loop: Header=BB261_1075 Depth=1
	s_or_b32 exec_lo, exec_lo, s21
	s_delay_alu instid0(VALU_DEP_1) | instskip(NEXT) | instid1(VALU_DEP_2)
	v_dual_lshlrev_b32 v6, 8, v6 :: v_dual_lshlrev_b32 v3, 23, v3
	v_lshl_add_u32 v18, v18, 10, 0x2000
	s_delay_alu instid0(VALU_DEP_1) | instskip(NEXT) | instid1(VALU_DEP_1)
	v_and_or_b32 v6, 0x8000, v6, v18
	v_lshl_or_b32 v3, v6, 16, v3
.LBB261_1106:                           ;   in Loop: Header=BB261_1075 Depth=1
	s_or_b32 exec_lo, exec_lo, s20
.LBB261_1107:                           ;   in Loop: Header=BB261_1075 Depth=1
	s_delay_alu instid0(SALU_CYCLE_1)
	s_or_b32 exec_lo, exec_lo, s19
.LBB261_1108:                           ;   in Loop: Header=BB261_1075 Depth=1
	s_delay_alu instid0(SALU_CYCLE_1) | instskip(SKIP_4) | instid1(VALU_DEP_3)
	s_or_b32 exec_lo, exec_lo, s1
	v_and_b32_e32 v29, 0xff, v49
	v_dual_mov_b32 v6, v49 :: v_dual_mov_b32 v19, 0
	v_mov_b32_e32 v18, 0
	s_mov_b32 s1, exec_lo
	v_cmpx_ne_u16_e32 0, v29
	s_cbranch_execz .LBB261_1116
; %bb.1109:                             ;   in Loop: Header=BB261_1075 Depth=1
	v_mov_b32_e32 v18, 0x8000
	s_mov_b32 s19, exec_lo
	v_cmpx_ne_u16_e32 0x80, v29
	s_cbranch_execz .LBB261_1115
; %bb.1110:                             ;   in Loop: Header=BB261_1075 Depth=1
	v_and_b32_e32 v50, 0x7f, v49
	v_mov_b32_e32 v18, 0x7c01
	s_mov_b32 s20, exec_lo
	s_delay_alu instid0(VALU_DEP_2)
	v_cmpx_ne_u32_e32 0x7f, v50
	s_cbranch_execz .LBB261_1114
; %bb.1111:                             ;   in Loop: Header=BB261_1075 Depth=1
	v_dual_lshrrev_b32 v29, 3, v50 :: v_dual_bitop2_b32 v18, 7, v49 bitop3:0x40
	s_mov_b32 s21, exec_lo
	v_cmpx_gt_u32_e32 8, v50
; %bb.1112:                             ;   in Loop: Header=BB261_1075 Depth=1
	s_delay_alu instid0(VALU_DEP_2) | instskip(NEXT) | instid1(VALU_DEP_1)
	v_clz_i32_u32_e32 v18, v18
	v_min_u32_e32 v18, 32, v18
	s_delay_alu instid0(VALU_DEP_1) | instskip(NEXT) | instid1(VALU_DEP_1)
	v_subrev_nc_u32_e32 v29, 28, v18
	v_lshlrev_b64_e32 v[50:51], v29, v[6:7]
	v_sub_nc_u32_e32 v29, 29, v18
	s_delay_alu instid0(VALU_DEP_2)
	v_and_b32_e32 v18, 7, v50
; %bb.1113:                             ;   in Loop: Header=BB261_1075 Depth=1
	s_or_b32 exec_lo, exec_lo, s21
	s_delay_alu instid0(VALU_DEP_1) | instskip(NEXT) | instid1(VALU_DEP_3)
	v_dual_lshlrev_b32 v50, 8, v49 :: v_dual_lshlrev_b32 v18, 7, v18
	v_lshl_add_u32 v29, v29, 10, 0x2000
	s_delay_alu instid0(VALU_DEP_2) | instskip(NEXT) | instid1(VALU_DEP_2)
	v_and_b32_e32 v50, 0x8000, v50
	v_and_b32_e32 v29, 0xfc00, v29
	s_delay_alu instid0(VALU_DEP_1)
	v_or3_b32 v18, v50, v29, v18
.LBB261_1114:                           ;   in Loop: Header=BB261_1075 Depth=1
	s_or_b32 exec_lo, exec_lo, s20
.LBB261_1115:                           ;   in Loop: Header=BB261_1075 Depth=1
	s_delay_alu instid0(SALU_CYCLE_1)
	s_or_b32 exec_lo, exec_lo, s19
.LBB261_1116:                           ;   in Loop: Header=BB261_1075 Depth=1
	s_delay_alu instid0(SALU_CYCLE_1) | instskip(SKIP_3) | instid1(VALU_DEP_2)
	s_or_b32 exec_lo, exec_lo, s1
	v_lshrrev_b16 v6, 8, v6
	v_mov_b32_e32 v29, 0
	s_mov_b32 s1, exec_lo
	v_cmpx_ne_u16_e32 0, v6
	s_cbranch_execz .LBB261_1124
; %bb.1117:                             ;   in Loop: Header=BB261_1075 Depth=1
	v_bfrev_b32_e32 v29, 1
	s_mov_b32 s19, exec_lo
	v_cmpx_ne_u16_e32 0x80, v6
	s_cbranch_execz .LBB261_1123
; %bb.1118:                             ;   in Loop: Header=BB261_1075 Depth=1
	v_and_b32_e32 v50, 0xffff, v6
	v_mov_b32_e32 v29, 0x7c010000
	s_mov_b32 s20, exec_lo
	s_delay_alu instid0(VALU_DEP_2) | instskip(NEXT) | instid1(VALU_DEP_1)
	v_and_b32_e32 v52, 0x7f, v50
	v_cmpx_ne_u32_e32 0x7f, v52
	s_cbranch_execz .LBB261_1122
; %bb.1119:                             ;   in Loop: Header=BB261_1075 Depth=1
	v_dual_lshrrev_b32 v51, 3, v52 :: v_dual_bitop2_b32 v29, 7, v50 bitop3:0x40
	s_mov_b32 s21, exec_lo
	v_cmpx_gt_u32_e32 8, v52
; %bb.1120:                             ;   in Loop: Header=BB261_1075 Depth=1
	s_delay_alu instid0(VALU_DEP_2) | instskip(NEXT) | instid1(VALU_DEP_1)
	v_clz_i32_u32_e32 v29, v29
	v_min_u32_e32 v29, 32, v29
	s_delay_alu instid0(VALU_DEP_1) | instskip(NEXT) | instid1(VALU_DEP_1)
	v_subrev_nc_u32_e32 v51, 28, v29
	v_lshlrev_b64_e32 v[52:53], v51, v[6:7]
	s_delay_alu instid0(VALU_DEP_1)
	v_dual_sub_nc_u32 v51, 29, v29 :: v_dual_bitop2_b32 v29, 7, v52 bitop3:0x40
; %bb.1121:                             ;   in Loop: Header=BB261_1075 Depth=1
	s_or_b32 exec_lo, exec_lo, s21
	s_delay_alu instid0(VALU_DEP_1) | instskip(NEXT) | instid1(VALU_DEP_2)
	v_dual_lshlrev_b32 v6, 8, v50 :: v_dual_lshlrev_b32 v29, 23, v29
	v_lshl_add_u32 v50, v51, 10, 0x2000
	s_delay_alu instid0(VALU_DEP_1) | instskip(NEXT) | instid1(VALU_DEP_1)
	v_and_or_b32 v6, 0x8000, v6, v50
	v_lshl_or_b32 v29, v6, 16, v29
.LBB261_1122:                           ;   in Loop: Header=BB261_1075 Depth=1
	s_or_b32 exec_lo, exec_lo, s20
.LBB261_1123:                           ;   in Loop: Header=BB261_1075 Depth=1
	s_delay_alu instid0(SALU_CYCLE_1)
	s_or_b32 exec_lo, exec_lo, s19
.LBB261_1124:                           ;   in Loop: Header=BB261_1075 Depth=1
	s_delay_alu instid0(SALU_CYCLE_1) | instskip(SKIP_2) | instid1(VALU_DEP_1)
	s_or_b32 exec_lo, exec_lo, s1
	v_lshrrev_b32_e32 v6, 16, v49
	s_mov_b32 s1, exec_lo
	v_and_b32_e32 v50, 0xff, v6
	s_delay_alu instid0(VALU_DEP_1)
	v_cmpx_ne_u16_e32 0, v50
	s_cbranch_execz .LBB261_1132
; %bb.1125:                             ;   in Loop: Header=BB261_1075 Depth=1
	v_mov_b32_e32 v19, 0x8000
	s_mov_b32 s19, exec_lo
	v_cmpx_ne_u16_e32 0x80, v50
	s_cbranch_execz .LBB261_1131
; %bb.1126:                             ;   in Loop: Header=BB261_1075 Depth=1
	v_bfe_u32 v51, v49, 16, 7
	v_mov_b32_e32 v19, 0x7c01
	s_mov_b32 s20, exec_lo
	s_delay_alu instid0(VALU_DEP_2)
	v_cmpx_ne_u32_e32 0x7f, v51
	s_cbranch_execz .LBB261_1130
; %bb.1127:                             ;   in Loop: Header=BB261_1075 Depth=1
	v_dual_lshrrev_b32 v50, 3, v51 :: v_dual_bitop2_b32 v19, 7, v6 bitop3:0x40
	s_mov_b32 s21, exec_lo
	v_cmpx_gt_u32_e32 8, v51
; %bb.1128:                             ;   in Loop: Header=BB261_1075 Depth=1
	s_delay_alu instid0(VALU_DEP_2) | instskip(NEXT) | instid1(VALU_DEP_1)
	v_clz_i32_u32_e32 v19, v19
	v_min_u32_e32 v19, 32, v19
	s_delay_alu instid0(VALU_DEP_1) | instskip(NEXT) | instid1(VALU_DEP_1)
	v_subrev_nc_u32_e32 v50, 28, v19
	v_lshlrev_b64_e32 v[52:53], v50, v[6:7]
	s_delay_alu instid0(VALU_DEP_1)
	v_dual_sub_nc_u32 v50, 29, v19 :: v_dual_bitop2_b32 v19, 7, v52 bitop3:0x40
; %bb.1129:                             ;   in Loop: Header=BB261_1075 Depth=1
	s_or_b32 exec_lo, exec_lo, s21
	s_delay_alu instid0(VALU_DEP_1) | instskip(NEXT) | instid1(VALU_DEP_2)
	v_dual_lshlrev_b32 v6, 8, v6 :: v_dual_lshlrev_b32 v19, 7, v19
	v_lshl_add_u32 v50, v50, 10, 0x2000
	s_delay_alu instid0(VALU_DEP_2) | instskip(NEXT) | instid1(VALU_DEP_2)
	v_and_b32_e32 v6, 0x8000, v6
	v_and_b32_e32 v50, 0xfc00, v50
	s_delay_alu instid0(VALU_DEP_1)
	v_or3_b32 v19, v6, v50, v19
.LBB261_1130:                           ;   in Loop: Header=BB261_1075 Depth=1
	s_or_b32 exec_lo, exec_lo, s20
.LBB261_1131:                           ;   in Loop: Header=BB261_1075 Depth=1
	s_delay_alu instid0(SALU_CYCLE_1)
	s_or_b32 exec_lo, exec_lo, s19
.LBB261_1132:                           ;   in Loop: Header=BB261_1075 Depth=1
	s_delay_alu instid0(SALU_CYCLE_1)
	s_or_b32 exec_lo, exec_lo, s1
	v_cmp_lt_u64_e32 vcc_lo, s[2:3], v[48:49]
	v_mov_b32_e32 v48, 0
	s_and_saveexec_b32 s1, vcc_lo
	s_cbranch_execz .LBB261_1140
; %bb.1133:                             ;   in Loop: Header=BB261_1075 Depth=1
	v_lshrrev_b32_e32 v6, 24, v49
	v_bfrev_b32_e32 v48, 1
	s_mov_b32 s19, exec_lo
	s_delay_alu instid0(VALU_DEP_2)
	v_cmpx_ne_u32_e32 0x80, v6
	s_cbranch_execz .LBB261_1139
; %bb.1134:                             ;   in Loop: Header=BB261_1075 Depth=1
	v_and_b32_e32 v50, 0x7f, v6
	v_mov_b32_e32 v48, 0x7c010000
	s_mov_b32 s20, exec_lo
	s_delay_alu instid0(VALU_DEP_2)
	v_cmpx_ne_u32_e32 0x7f, v50
	s_cbranch_execz .LBB261_1138
; %bb.1135:                             ;   in Loop: Header=BB261_1075 Depth=1
	v_and_b32_e32 v48, 7, v6
	v_lshrrev_b32_e32 v49, 3, v50
	s_mov_b32 s21, exec_lo
	v_cmpx_gt_u32_e32 8, v50
; %bb.1136:                             ;   in Loop: Header=BB261_1075 Depth=1
	s_delay_alu instid0(VALU_DEP_3) | instskip(NEXT) | instid1(VALU_DEP_1)
	v_clz_i32_u32_e32 v48, v48
	v_min_u32_e32 v50, 32, v48
	s_delay_alu instid0(VALU_DEP_1) | instskip(NEXT) | instid1(VALU_DEP_1)
	v_subrev_nc_u32_e32 v48, 28, v50
	v_lshlrev_b64_e32 v[48:49], v48, v[6:7]
	s_delay_alu instid0(VALU_DEP_1)
	v_dual_sub_nc_u32 v49, 29, v50 :: v_dual_bitop2_b32 v48, 7, v48 bitop3:0x40
; %bb.1137:                             ;   in Loop: Header=BB261_1075 Depth=1
	s_or_b32 exec_lo, exec_lo, s21
	s_delay_alu instid0(VALU_DEP_1) | instskip(NEXT) | instid1(VALU_DEP_2)
	v_dual_lshlrev_b32 v6, 8, v6 :: v_dual_lshlrev_b32 v48, 23, v48
	v_lshl_add_u32 v49, v49, 10, 0x2000
	s_delay_alu instid0(VALU_DEP_1) | instskip(NEXT) | instid1(VALU_DEP_1)
	v_and_or_b32 v6, 0x8000, v6, v49
	v_lshl_or_b32 v48, v6, 16, v48
.LBB261_1138:                           ;   in Loop: Header=BB261_1075 Depth=1
	s_or_b32 exec_lo, exec_lo, s20
.LBB261_1139:                           ;   in Loop: Header=BB261_1075 Depth=1
	s_delay_alu instid0(SALU_CYCLE_1)
	s_or_b32 exec_lo, exec_lo, s19
.LBB261_1140:                           ;   in Loop: Header=BB261_1075 Depth=1
	s_delay_alu instid0(SALU_CYCLE_1) | instskip(SKIP_3) | instid1(VALU_DEP_3)
	s_or_b32 exec_lo, exec_lo, s1
	v_dual_lshrrev_b32 v6, 16, v1 :: v_dual_lshrrev_b32 v49, 16, v3
	v_or_b32_e32 v1, v1, v2
	v_dual_lshrrev_b32 v50, 16, v48 :: v_dual_bitop2_b32 v9, v3, v9 bitop3:0x54
	v_cvt_f32_f16_e32 v3, v6
	s_delay_alu instid0(VALU_DEP_4)
	v_cvt_f32_f16_e32 v2, v49
	v_dual_add_nc_u32 v87, v83, v8 :: v_dual_bitop2_b32 v6, v48, v19 bitop3:0x54
	v_lshrrev_b32_e32 v19, 16, v29
	v_cvt_f32_f16_e32 v48, v9
	s_wait_loadcnt_dscnt 0x0
	v_pk_mul_f32 v[2:3], v[28:29], v[2:3] op_sel_hi:[0,1]
	v_cvt_f32_f16_e32 v49, v1
	v_cmp_eq_u32_e32 vcc_lo, v84, v85
	v_cvt_f32_f16_e32 v19, v19
	v_or_b32_e32 v101, 1, v87
	v_cvt_pk_f16_f32 v1, v2, v3
	v_or_b32_e32 v9, v29, v18
	v_cvt_f32_f16_e32 v18, v50
	v_cvt_f32_f16_e32 v50, v6
	v_pk_mul_f32 v[48:49], v[28:29], v[48:49] op_sel_hi:[0,1]
	v_lshlrev_b32_e32 v52, 16, v1
	v_cvt_f32_f16_e32 v51, v9
	v_pk_mul_f32 v[2:3], v[28:29], v[18:19] op_sel_hi:[0,1]
	v_or_b32_e32 v100, 3, v87
	v_cvt_pk_f16_f32 v6, v48, v49
	v_add_nc_u32_e32 v102, 2, v87
	v_pk_mul_f32 v[18:19], v[28:29], v[50:51] op_sel_hi:[0,1]
	v_and_b32_e32 v51, 0xffff0000, v1
	v_cvt_pk_f16_f32 v2, v2, v3
	v_and_b32_e32 v54, 0xffff, v6
	v_or_b32_e32 v99, 4, v87
	v_cvt_pk_f16_f32 v1, v18, v19
	v_lshrrev_b32_e32 v53, 16, v6
	v_and_b32_e32 v9, 0xffff0000, v2
	v_or_b32_e32 v48, v52, v54
	s_delay_alu instid0(VALU_DEP_4) | instskip(NEXT) | instid1(VALU_DEP_4)
	v_dual_lshrrev_b32 v49, 16, v1 :: v_dual_bitop2_b32 v98, 6, v87 bitop3:0x54
	v_dual_lshlrev_b32 v6, 16, v2 :: v_dual_bitop2_b32 v29, v51, v53 bitop3:0x54
	v_and_b32_e32 v50, 0xffff, v1
	v_or_b32_e32 v97, 5, v87
	s_delay_alu instid0(VALU_DEP_4) | instskip(SKIP_1) | instid1(VALU_DEP_4)
	v_or_b32_e32 v19, v9, v49
	v_or_b32_e32 v96, 7, v87
	;; [unrolled: 1-line block ×3, first 2 shown]
	s_and_saveexec_b32 s19, vcc_lo
	s_cbranch_execz .LBB261_1142
; %bb.1141:                             ;   in Loop: Header=BB261_1075 Depth=1
	v_cmp_lt_i32_e64 s1, v87, v13
	s_delay_alu instid0(VALU_DEP_1) | instskip(SKIP_1) | instid1(VALU_DEP_1)
	v_cndmask_b32_e64 v1, 0, v53, s1
	v_cmp_lt_i32_e64 s1, v102, v12
	v_cndmask_b32_e64 v2, 0, v54, s1
	v_cmp_lt_i32_e64 s1, v101, v13
	s_delay_alu instid0(VALU_DEP_1) | instskip(SKIP_1) | instid1(VALU_DEP_1)
	v_cndmask_b32_e64 v3, 0, v51, s1
	v_cmp_lt_i32_e64 s1, v100, v12
	v_cndmask_b32_e64 v18, 0, v52, s1
	v_cmp_lt_i32_e64 s1, v99, v13
	s_delay_alu instid0(VALU_DEP_4) | instskip(NEXT) | instid1(VALU_DEP_2)
	v_or_b32_e32 v29, v1, v3
	v_dual_cndmask_b32 v19, 0, v49, s1 :: v_dual_bitop2_b32 v48, v2, v18 bitop3:0x54
	v_cmp_lt_i32_e64 s1, v98, v12
	s_delay_alu instid0(VALU_DEP_1) | instskip(SKIP_1) | instid1(VALU_DEP_1)
	v_cndmask_b32_e64 v28, 0, v50, s1
	v_cmp_lt_i32_e64 s1, v97, v13
	v_cndmask_b32_e64 v9, 0, v9, s1
	v_cmp_lt_i32_e64 s1, v96, v12
	s_delay_alu instid0(VALU_DEP_1) | instskip(NEXT) | instid1(VALU_DEP_1)
	v_dual_cndmask_b32 v6, 0, v6, s1 :: v_dual_bitop2_b32 v19, v19, v9 bitop3:0x54
	v_or_b32_e32 v28, v28, v6
.LBB261_1142:                           ;   in Loop: Header=BB261_1075 Depth=1
	s_or_b32 exec_lo, exec_lo, s19
	v_and_b32_e32 v1, 0xffff, v65
	v_and_b32_e32 v2, 0xffff, v67
	;; [unrolled: 1-line block ×4, first 2 shown]
	s_mov_b32 s19, exec_lo
	v_lshl_or_b32 v67, v55, 16, v1
	;;#ASMSTART
	v_pk_mul_f16 v1, v67, v29;

	;;#ASMEND
	v_lshl_or_b32 v65, v64, 16, v2
	v_lshl_or_b32 v64, v66, 16, v3
	;; [unrolled: 1-line block ×3, first 2 shown]
	;;#ASMSTART
	v_pk_mul_f16 v2, v65, v48;

	;;#ASMEND
	;;#ASMSTART
	v_pk_mul_f16 v3, v64, v19;

	;;#ASMEND
	;;#ASMSTART
	v_pk_mul_f16 v6, v55, v28;

	;;#ASMEND
	;;#ASMSTART
	v_pk_add_f16 v1, v1, v2;

	;;#ASMEND
	;;#ASMSTART
	v_pk_add_f16 v1, v1, v3;

	;;#ASMEND
	;;#ASMSTART
	v_pk_add_f16 v1, v1, v6;

	;;#ASMEND
	v_and_b32_e32 v2, 0xffff, v1
	v_lshrrev_b32_e32 v1, 16, v1
	;;#ASMSTART
	v_cvt_f32_f16 v66, v2;
	;;#ASMEND
	;;#ASMSTART
	v_cvt_f32_f16 v68, v1;
	;;#ASMEND
	flat_load_b64 v[48:49], v[26:27] offset:256
	scratch_load_b64 v[2:3], off, s32 offset:192 ; 8-byte Folded Reload
	v_mov_b32_e32 v1, 0
	s_wait_loadcnt 0x0
	flat_load_b32 v28, v[2:3]
	s_wait_dscnt 0x1
	s_wait_xcnt 0x0
	v_and_b32_e32 v3, 0xff, v48
	v_mov_b32_e32 v2, 0
	s_delay_alu instid0(VALU_DEP_2)
	v_cmpx_ne_u16_e32 0, v3
	s_cbranch_execz .LBB261_1150
; %bb.1143:                             ;   in Loop: Header=BB261_1075 Depth=1
	v_mov_b32_e32 v2, 0x8000
	s_mov_b32 s20, exec_lo
	v_cmpx_ne_u16_e32 0x80, v3
	s_cbranch_execz .LBB261_1149
; %bb.1144:                             ;   in Loop: Header=BB261_1075 Depth=1
	v_and_b32_e32 v6, 0x7f, v48
	v_mov_b32_e32 v2, 0x7c01
	s_mov_b32 s21, exec_lo
	s_delay_alu instid0(VALU_DEP_2)
	v_cmpx_ne_u32_e32 0x7f, v6
	s_cbranch_execz .LBB261_1148
; %bb.1145:                             ;   in Loop: Header=BB261_1075 Depth=1
	v_dual_lshrrev_b32 v3, 3, v6 :: v_dual_bitop2_b32 v2, 7, v48 bitop3:0x40
	s_mov_b32 s22, exec_lo
	v_cmpx_gt_u32_e32 8, v6
; %bb.1146:                             ;   in Loop: Header=BB261_1075 Depth=1
	s_delay_alu instid0(VALU_DEP_2) | instskip(NEXT) | instid1(VALU_DEP_1)
	v_clz_i32_u32_e32 v2, v2
	v_min_u32_e32 v6, 32, v2
	s_delay_alu instid0(VALU_DEP_1) | instskip(NEXT) | instid1(VALU_DEP_1)
	v_subrev_nc_u32_e32 v2, 28, v6
	v_lshlrev_b64_e32 v[2:3], v2, v[48:49]
	v_sub_nc_u32_e32 v3, 29, v6
	s_delay_alu instid0(VALU_DEP_2)
	v_and_b32_e32 v2, 7, v2
; %bb.1147:                             ;   in Loop: Header=BB261_1075 Depth=1
	s_or_b32 exec_lo, exec_lo, s22
	s_delay_alu instid0(VALU_DEP_1) | instskip(NEXT) | instid1(VALU_DEP_3)
	v_dual_lshlrev_b32 v6, 8, v48 :: v_dual_lshlrev_b32 v2, 7, v2
	v_lshl_add_u32 v3, v3, 10, 0x2000
	s_delay_alu instid0(VALU_DEP_2) | instskip(NEXT) | instid1(VALU_DEP_2)
	v_and_b32_e32 v6, 0x8000, v6
	v_and_b32_e32 v3, 0xfc00, v3
	s_delay_alu instid0(VALU_DEP_1)
	v_or3_b32 v2, v6, v3, v2
.LBB261_1148:                           ;   in Loop: Header=BB261_1075 Depth=1
	s_or_b32 exec_lo, exec_lo, s21
.LBB261_1149:                           ;   in Loop: Header=BB261_1075 Depth=1
	s_delay_alu instid0(SALU_CYCLE_1)
	s_or_b32 exec_lo, exec_lo, s20
.LBB261_1150:                           ;   in Loop: Header=BB261_1075 Depth=1
	s_delay_alu instid0(SALU_CYCLE_1) | instskip(SKIP_2) | instid1(VALU_DEP_1)
	s_or_b32 exec_lo, exec_lo, s19
	v_lshrrev_b16 v6, 8, v48
	s_mov_b32 s19, exec_lo
	v_cmpx_ne_u16_e32 0, v6
	s_cbranch_execz .LBB261_1158
; %bb.1151:                             ;   in Loop: Header=BB261_1075 Depth=1
	v_bfrev_b32_e32 v1, 1
	s_mov_b32 s20, exec_lo
	v_cmpx_ne_u16_e32 0x80, v6
	s_cbranch_execz .LBB261_1157
; %bb.1152:                             ;   in Loop: Header=BB261_1075 Depth=1
	v_and_b32_e32 v3, 0xffff, v6
	v_mov_b32_e32 v1, 0x7c010000
	s_mov_b32 s21, exec_lo
	s_delay_alu instid0(VALU_DEP_2) | instskip(NEXT) | instid1(VALU_DEP_1)
	v_and_b32_e32 v18, 0x7f, v3
	v_cmpx_ne_u32_e32 0x7f, v18
	s_cbranch_execz .LBB261_1156
; %bb.1153:                             ;   in Loop: Header=BB261_1075 Depth=1
	v_dual_lshrrev_b32 v9, 3, v18 :: v_dual_bitop2_b32 v1, 7, v3 bitop3:0x40
	s_mov_b32 s22, exec_lo
	v_cmpx_gt_u32_e32 8, v18
; %bb.1154:                             ;   in Loop: Header=BB261_1075 Depth=1
	s_delay_alu instid0(VALU_DEP_2) | instskip(NEXT) | instid1(VALU_DEP_1)
	v_clz_i32_u32_e32 v1, v1
	v_min_u32_e32 v1, 32, v1
	s_delay_alu instid0(VALU_DEP_1) | instskip(NEXT) | instid1(VALU_DEP_1)
	v_subrev_nc_u32_e32 v9, 28, v1
	v_lshlrev_b64_e32 v[18:19], v9, v[6:7]
	s_delay_alu instid0(VALU_DEP_1)
	v_dual_sub_nc_u32 v9, 29, v1 :: v_dual_bitop2_b32 v1, 7, v18 bitop3:0x40
; %bb.1155:                             ;   in Loop: Header=BB261_1075 Depth=1
	s_or_b32 exec_lo, exec_lo, s22
	s_delay_alu instid0(VALU_DEP_1) | instskip(NEXT) | instid1(VALU_DEP_2)
	v_dual_lshlrev_b32 v3, 8, v3 :: v_dual_lshlrev_b32 v1, 23, v1
	v_lshl_add_u32 v6, v9, 10, 0x2000
	s_delay_alu instid0(VALU_DEP_1) | instskip(NEXT) | instid1(VALU_DEP_1)
	v_and_or_b32 v3, 0x8000, v3, v6
	v_lshl_or_b32 v1, v3, 16, v1
.LBB261_1156:                           ;   in Loop: Header=BB261_1075 Depth=1
	s_or_b32 exec_lo, exec_lo, s21
.LBB261_1157:                           ;   in Loop: Header=BB261_1075 Depth=1
	s_delay_alu instid0(SALU_CYCLE_1)
	s_or_b32 exec_lo, exec_lo, s20
.LBB261_1158:                           ;   in Loop: Header=BB261_1075 Depth=1
	s_delay_alu instid0(SALU_CYCLE_1) | instskip(SKIP_3) | instid1(VALU_DEP_2)
	s_or_b32 exec_lo, exec_lo, s19
	v_dual_mov_b32 v3, 0 :: v_dual_lshrrev_b32 v6, 16, v48
	v_mov_b32_e32 v9, 0
	s_mov_b32 s19, exec_lo
	v_and_b32_e32 v18, 0xff, v6
	s_delay_alu instid0(VALU_DEP_1)
	v_cmpx_ne_u16_e32 0, v18
	s_cbranch_execz .LBB261_1166
; %bb.1159:                             ;   in Loop: Header=BB261_1075 Depth=1
	v_mov_b32_e32 v9, 0x8000
	s_mov_b32 s20, exec_lo
	v_cmpx_ne_u16_e32 0x80, v18
	s_cbranch_execz .LBB261_1165
; %bb.1160:                             ;   in Loop: Header=BB261_1075 Depth=1
	v_bfe_u32 v19, v48, 16, 7
	v_mov_b32_e32 v9, 0x7c01
	s_mov_b32 s21, exec_lo
	s_delay_alu instid0(VALU_DEP_2)
	v_cmpx_ne_u32_e32 0x7f, v19
	s_cbranch_execz .LBB261_1164
; %bb.1161:                             ;   in Loop: Header=BB261_1075 Depth=1
	v_dual_lshrrev_b32 v18, 3, v19 :: v_dual_bitop2_b32 v9, 7, v6 bitop3:0x40
	s_mov_b32 s22, exec_lo
	v_cmpx_gt_u32_e32 8, v19
; %bb.1162:                             ;   in Loop: Header=BB261_1075 Depth=1
	s_delay_alu instid0(VALU_DEP_2) | instskip(NEXT) | instid1(VALU_DEP_1)
	v_clz_i32_u32_e32 v9, v9
	v_min_u32_e32 v9, 32, v9
	s_delay_alu instid0(VALU_DEP_1) | instskip(NEXT) | instid1(VALU_DEP_1)
	v_subrev_nc_u32_e32 v18, 28, v9
	v_lshlrev_b64_e32 v[50:51], v18, v[6:7]
	s_delay_alu instid0(VALU_DEP_1)
	v_dual_sub_nc_u32 v18, 29, v9 :: v_dual_bitop2_b32 v9, 7, v50 bitop3:0x40
; %bb.1163:                             ;   in Loop: Header=BB261_1075 Depth=1
	s_or_b32 exec_lo, exec_lo, s22
	s_delay_alu instid0(VALU_DEP_1) | instskip(NEXT) | instid1(VALU_DEP_2)
	v_dual_lshlrev_b32 v6, 8, v6 :: v_dual_lshlrev_b32 v9, 7, v9
	v_lshl_add_u32 v18, v18, 10, 0x2000
	s_delay_alu instid0(VALU_DEP_2) | instskip(NEXT) | instid1(VALU_DEP_2)
	v_and_b32_e32 v6, 0x8000, v6
	v_and_b32_e32 v18, 0xfc00, v18
	s_delay_alu instid0(VALU_DEP_1)
	v_or3_b32 v9, v6, v18, v9
.LBB261_1164:                           ;   in Loop: Header=BB261_1075 Depth=1
	s_or_b32 exec_lo, exec_lo, s21
.LBB261_1165:                           ;   in Loop: Header=BB261_1075 Depth=1
	s_delay_alu instid0(SALU_CYCLE_1)
	s_or_b32 exec_lo, exec_lo, s20
.LBB261_1166:                           ;   in Loop: Header=BB261_1075 Depth=1
	s_delay_alu instid0(SALU_CYCLE_1) | instskip(NEXT) | instid1(SALU_CYCLE_1)
	s_or_b32 exec_lo, exec_lo, s19
	s_mov_b32 s19, exec_lo
	v_cmpx_lt_u32_e32 0xffffff, v48
	s_cbranch_execz .LBB261_1174
; %bb.1167:                             ;   in Loop: Header=BB261_1075 Depth=1
	v_lshrrev_b32_e32 v6, 24, v48
	v_bfrev_b32_e32 v3, 1
	s_mov_b32 s20, exec_lo
	s_delay_alu instid0(VALU_DEP_2)
	v_cmpx_ne_u32_e32 0x80, v6
	s_cbranch_execz .LBB261_1173
; %bb.1168:                             ;   in Loop: Header=BB261_1075 Depth=1
	v_and_b32_e32 v19, 0x7f, v6
	v_mov_b32_e32 v3, 0x7c010000
	s_mov_b32 s21, exec_lo
	s_delay_alu instid0(VALU_DEP_2)
	v_cmpx_ne_u32_e32 0x7f, v19
	s_cbranch_execz .LBB261_1172
; %bb.1169:                             ;   in Loop: Header=BB261_1075 Depth=1
	v_dual_lshrrev_b32 v18, 3, v19 :: v_dual_bitop2_b32 v3, 7, v6 bitop3:0x40
	s_mov_b32 s22, exec_lo
	v_cmpx_gt_u32_e32 8, v19
; %bb.1170:                             ;   in Loop: Header=BB261_1075 Depth=1
	s_delay_alu instid0(VALU_DEP_2) | instskip(NEXT) | instid1(VALU_DEP_1)
	v_clz_i32_u32_e32 v3, v3
	v_min_u32_e32 v3, 32, v3
	s_delay_alu instid0(VALU_DEP_1) | instskip(NEXT) | instid1(VALU_DEP_1)
	v_subrev_nc_u32_e32 v18, 28, v3
	v_lshlrev_b64_e32 v[50:51], v18, v[6:7]
	s_delay_alu instid0(VALU_DEP_1)
	v_dual_sub_nc_u32 v18, 29, v3 :: v_dual_bitop2_b32 v3, 7, v50 bitop3:0x40
; %bb.1171:                             ;   in Loop: Header=BB261_1075 Depth=1
	s_or_b32 exec_lo, exec_lo, s22
	s_delay_alu instid0(VALU_DEP_1) | instskip(NEXT) | instid1(VALU_DEP_2)
	v_dual_lshlrev_b32 v6, 8, v6 :: v_dual_lshlrev_b32 v3, 23, v3
	v_lshl_add_u32 v18, v18, 10, 0x2000
	s_delay_alu instid0(VALU_DEP_1) | instskip(NEXT) | instid1(VALU_DEP_1)
	v_and_or_b32 v6, 0x8000, v6, v18
	v_lshl_or_b32 v3, v6, 16, v3
.LBB261_1172:                           ;   in Loop: Header=BB261_1075 Depth=1
	s_or_b32 exec_lo, exec_lo, s21
.LBB261_1173:                           ;   in Loop: Header=BB261_1075 Depth=1
	s_delay_alu instid0(SALU_CYCLE_1)
	s_or_b32 exec_lo, exec_lo, s20
.LBB261_1174:                           ;   in Loop: Header=BB261_1075 Depth=1
	s_delay_alu instid0(SALU_CYCLE_1) | instskip(SKIP_4) | instid1(VALU_DEP_3)
	s_or_b32 exec_lo, exec_lo, s19
	v_and_b32_e32 v29, 0xff, v49
	v_dual_mov_b32 v6, v49 :: v_dual_mov_b32 v19, 0
	v_mov_b32_e32 v18, 0
	s_mov_b32 s19, exec_lo
	v_cmpx_ne_u16_e32 0, v29
	s_cbranch_execz .LBB261_1182
; %bb.1175:                             ;   in Loop: Header=BB261_1075 Depth=1
	v_mov_b32_e32 v18, 0x8000
	s_mov_b32 s20, exec_lo
	v_cmpx_ne_u16_e32 0x80, v29
	s_cbranch_execz .LBB261_1181
; %bb.1176:                             ;   in Loop: Header=BB261_1075 Depth=1
	v_and_b32_e32 v50, 0x7f, v49
	v_mov_b32_e32 v18, 0x7c01
	s_mov_b32 s21, exec_lo
	s_delay_alu instid0(VALU_DEP_2)
	v_cmpx_ne_u32_e32 0x7f, v50
	s_cbranch_execz .LBB261_1180
; %bb.1177:                             ;   in Loop: Header=BB261_1075 Depth=1
	v_dual_lshrrev_b32 v29, 3, v50 :: v_dual_bitop2_b32 v18, 7, v49 bitop3:0x40
	s_mov_b32 s22, exec_lo
	v_cmpx_gt_u32_e32 8, v50
; %bb.1178:                             ;   in Loop: Header=BB261_1075 Depth=1
	s_delay_alu instid0(VALU_DEP_2) | instskip(NEXT) | instid1(VALU_DEP_1)
	v_clz_i32_u32_e32 v18, v18
	v_min_u32_e32 v18, 32, v18
	s_delay_alu instid0(VALU_DEP_1) | instskip(NEXT) | instid1(VALU_DEP_1)
	v_subrev_nc_u32_e32 v29, 28, v18
	v_lshlrev_b64_e32 v[50:51], v29, v[6:7]
	v_sub_nc_u32_e32 v29, 29, v18
	s_delay_alu instid0(VALU_DEP_2)
	v_and_b32_e32 v18, 7, v50
; %bb.1179:                             ;   in Loop: Header=BB261_1075 Depth=1
	s_or_b32 exec_lo, exec_lo, s22
	s_delay_alu instid0(VALU_DEP_1) | instskip(NEXT) | instid1(VALU_DEP_3)
	v_dual_lshlrev_b32 v50, 8, v49 :: v_dual_lshlrev_b32 v18, 7, v18
	v_lshl_add_u32 v29, v29, 10, 0x2000
	s_delay_alu instid0(VALU_DEP_2) | instskip(NEXT) | instid1(VALU_DEP_2)
	v_and_b32_e32 v50, 0x8000, v50
	v_and_b32_e32 v29, 0xfc00, v29
	s_delay_alu instid0(VALU_DEP_1)
	v_or3_b32 v18, v50, v29, v18
.LBB261_1180:                           ;   in Loop: Header=BB261_1075 Depth=1
	s_or_b32 exec_lo, exec_lo, s21
.LBB261_1181:                           ;   in Loop: Header=BB261_1075 Depth=1
	s_delay_alu instid0(SALU_CYCLE_1)
	s_or_b32 exec_lo, exec_lo, s20
.LBB261_1182:                           ;   in Loop: Header=BB261_1075 Depth=1
	s_delay_alu instid0(SALU_CYCLE_1) | instskip(SKIP_3) | instid1(VALU_DEP_2)
	s_or_b32 exec_lo, exec_lo, s19
	v_lshrrev_b16 v6, 8, v6
	v_mov_b32_e32 v29, 0
	s_mov_b32 s19, exec_lo
	v_cmpx_ne_u16_e32 0, v6
	s_cbranch_execz .LBB261_1190
; %bb.1183:                             ;   in Loop: Header=BB261_1075 Depth=1
	v_bfrev_b32_e32 v29, 1
	s_mov_b32 s20, exec_lo
	v_cmpx_ne_u16_e32 0x80, v6
	s_cbranch_execz .LBB261_1189
; %bb.1184:                             ;   in Loop: Header=BB261_1075 Depth=1
	v_and_b32_e32 v50, 0xffff, v6
	v_mov_b32_e32 v29, 0x7c010000
	s_mov_b32 s21, exec_lo
	s_delay_alu instid0(VALU_DEP_2) | instskip(NEXT) | instid1(VALU_DEP_1)
	v_and_b32_e32 v52, 0x7f, v50
	v_cmpx_ne_u32_e32 0x7f, v52
	s_cbranch_execz .LBB261_1188
; %bb.1185:                             ;   in Loop: Header=BB261_1075 Depth=1
	v_dual_lshrrev_b32 v51, 3, v52 :: v_dual_bitop2_b32 v29, 7, v50 bitop3:0x40
	s_mov_b32 s22, exec_lo
	v_cmpx_gt_u32_e32 8, v52
; %bb.1186:                             ;   in Loop: Header=BB261_1075 Depth=1
	s_delay_alu instid0(VALU_DEP_2) | instskip(NEXT) | instid1(VALU_DEP_1)
	v_clz_i32_u32_e32 v29, v29
	v_min_u32_e32 v29, 32, v29
	s_delay_alu instid0(VALU_DEP_1) | instskip(NEXT) | instid1(VALU_DEP_1)
	v_subrev_nc_u32_e32 v51, 28, v29
	v_lshlrev_b64_e32 v[52:53], v51, v[6:7]
	s_delay_alu instid0(VALU_DEP_1)
	v_dual_sub_nc_u32 v51, 29, v29 :: v_dual_bitop2_b32 v29, 7, v52 bitop3:0x40
; %bb.1187:                             ;   in Loop: Header=BB261_1075 Depth=1
	s_or_b32 exec_lo, exec_lo, s22
	s_delay_alu instid0(VALU_DEP_1) | instskip(NEXT) | instid1(VALU_DEP_2)
	v_dual_lshlrev_b32 v6, 8, v50 :: v_dual_lshlrev_b32 v29, 23, v29
	v_lshl_add_u32 v50, v51, 10, 0x2000
	s_delay_alu instid0(VALU_DEP_1) | instskip(NEXT) | instid1(VALU_DEP_1)
	v_and_or_b32 v6, 0x8000, v6, v50
	v_lshl_or_b32 v29, v6, 16, v29
.LBB261_1188:                           ;   in Loop: Header=BB261_1075 Depth=1
	s_or_b32 exec_lo, exec_lo, s21
.LBB261_1189:                           ;   in Loop: Header=BB261_1075 Depth=1
	s_delay_alu instid0(SALU_CYCLE_1)
	s_or_b32 exec_lo, exec_lo, s20
.LBB261_1190:                           ;   in Loop: Header=BB261_1075 Depth=1
	s_delay_alu instid0(SALU_CYCLE_1) | instskip(SKIP_2) | instid1(VALU_DEP_1)
	s_or_b32 exec_lo, exec_lo, s19
	v_lshrrev_b32_e32 v6, 16, v49
	s_mov_b32 s19, exec_lo
	v_and_b32_e32 v50, 0xff, v6
	s_delay_alu instid0(VALU_DEP_1)
	v_cmpx_ne_u16_e32 0, v50
	s_cbranch_execz .LBB261_1198
; %bb.1191:                             ;   in Loop: Header=BB261_1075 Depth=1
	v_mov_b32_e32 v19, 0x8000
	s_mov_b32 s20, exec_lo
	v_cmpx_ne_u16_e32 0x80, v50
	s_cbranch_execz .LBB261_1197
; %bb.1192:                             ;   in Loop: Header=BB261_1075 Depth=1
	v_bfe_u32 v51, v49, 16, 7
	v_mov_b32_e32 v19, 0x7c01
	s_mov_b32 s21, exec_lo
	s_delay_alu instid0(VALU_DEP_2)
	v_cmpx_ne_u32_e32 0x7f, v51
	s_cbranch_execz .LBB261_1196
; %bb.1193:                             ;   in Loop: Header=BB261_1075 Depth=1
	v_dual_lshrrev_b32 v50, 3, v51 :: v_dual_bitop2_b32 v19, 7, v6 bitop3:0x40
	s_mov_b32 s22, exec_lo
	v_cmpx_gt_u32_e32 8, v51
; %bb.1194:                             ;   in Loop: Header=BB261_1075 Depth=1
	s_delay_alu instid0(VALU_DEP_2) | instskip(NEXT) | instid1(VALU_DEP_1)
	v_clz_i32_u32_e32 v19, v19
	v_min_u32_e32 v19, 32, v19
	s_delay_alu instid0(VALU_DEP_1) | instskip(NEXT) | instid1(VALU_DEP_1)
	v_subrev_nc_u32_e32 v50, 28, v19
	v_lshlrev_b64_e32 v[52:53], v50, v[6:7]
	s_delay_alu instid0(VALU_DEP_1)
	v_dual_sub_nc_u32 v50, 29, v19 :: v_dual_bitop2_b32 v19, 7, v52 bitop3:0x40
; %bb.1195:                             ;   in Loop: Header=BB261_1075 Depth=1
	s_or_b32 exec_lo, exec_lo, s22
	s_delay_alu instid0(VALU_DEP_1) | instskip(NEXT) | instid1(VALU_DEP_2)
	v_dual_lshlrev_b32 v6, 8, v6 :: v_dual_lshlrev_b32 v19, 7, v19
	v_lshl_add_u32 v50, v50, 10, 0x2000
	s_delay_alu instid0(VALU_DEP_2) | instskip(NEXT) | instid1(VALU_DEP_2)
	v_and_b32_e32 v6, 0x8000, v6
	v_and_b32_e32 v50, 0xfc00, v50
	s_delay_alu instid0(VALU_DEP_1)
	v_or3_b32 v19, v6, v50, v19
.LBB261_1196:                           ;   in Loop: Header=BB261_1075 Depth=1
	s_or_b32 exec_lo, exec_lo, s21
.LBB261_1197:                           ;   in Loop: Header=BB261_1075 Depth=1
	s_delay_alu instid0(SALU_CYCLE_1)
	s_or_b32 exec_lo, exec_lo, s20
.LBB261_1198:                           ;   in Loop: Header=BB261_1075 Depth=1
	s_delay_alu instid0(SALU_CYCLE_1)
	s_or_b32 exec_lo, exec_lo, s19
	v_cmp_lt_u64_e64 s1, s[2:3], v[48:49]
	v_mov_b32_e32 v48, 0
	s_and_saveexec_b32 s19, s1
	s_cbranch_execz .LBB261_1206
; %bb.1199:                             ;   in Loop: Header=BB261_1075 Depth=1
	v_lshrrev_b32_e32 v6, 24, v49
	v_bfrev_b32_e32 v48, 1
	s_mov_b32 s20, exec_lo
	s_delay_alu instid0(VALU_DEP_2)
	v_cmpx_ne_u32_e32 0x80, v6
	s_cbranch_execz .LBB261_1205
; %bb.1200:                             ;   in Loop: Header=BB261_1075 Depth=1
	v_and_b32_e32 v50, 0x7f, v6
	v_mov_b32_e32 v48, 0x7c010000
	s_mov_b32 s21, exec_lo
	s_delay_alu instid0(VALU_DEP_2)
	v_cmpx_ne_u32_e32 0x7f, v50
	s_cbranch_execz .LBB261_1204
; %bb.1201:                             ;   in Loop: Header=BB261_1075 Depth=1
	v_and_b32_e32 v48, 7, v6
	v_lshrrev_b32_e32 v49, 3, v50
	s_mov_b32 s22, exec_lo
	v_cmpx_gt_u32_e32 8, v50
; %bb.1202:                             ;   in Loop: Header=BB261_1075 Depth=1
	s_delay_alu instid0(VALU_DEP_3) | instskip(NEXT) | instid1(VALU_DEP_1)
	v_clz_i32_u32_e32 v48, v48
	v_min_u32_e32 v50, 32, v48
	s_delay_alu instid0(VALU_DEP_1) | instskip(NEXT) | instid1(VALU_DEP_1)
	v_subrev_nc_u32_e32 v48, 28, v50
	v_lshlrev_b64_e32 v[48:49], v48, v[6:7]
	s_delay_alu instid0(VALU_DEP_1)
	v_dual_sub_nc_u32 v49, 29, v50 :: v_dual_bitop2_b32 v48, 7, v48 bitop3:0x40
; %bb.1203:                             ;   in Loop: Header=BB261_1075 Depth=1
	s_or_b32 exec_lo, exec_lo, s22
	s_delay_alu instid0(VALU_DEP_1) | instskip(NEXT) | instid1(VALU_DEP_2)
	v_dual_lshlrev_b32 v6, 8, v6 :: v_dual_lshlrev_b32 v48, 23, v48
	v_lshl_add_u32 v49, v49, 10, 0x2000
	s_delay_alu instid0(VALU_DEP_1) | instskip(NEXT) | instid1(VALU_DEP_1)
	v_and_or_b32 v6, 0x8000, v6, v49
	v_lshl_or_b32 v48, v6, 16, v48
.LBB261_1204:                           ;   in Loop: Header=BB261_1075 Depth=1
	s_or_b32 exec_lo, exec_lo, s21
.LBB261_1205:                           ;   in Loop: Header=BB261_1075 Depth=1
	s_delay_alu instid0(SALU_CYCLE_1)
	s_or_b32 exec_lo, exec_lo, s20
.LBB261_1206:                           ;   in Loop: Header=BB261_1075 Depth=1
	s_delay_alu instid0(SALU_CYCLE_1) | instskip(SKIP_3) | instid1(VALU_DEP_3)
	s_or_b32 exec_lo, exec_lo, s19
	v_dual_lshrrev_b32 v6, 16, v1 :: v_dual_lshrrev_b32 v49, 16, v3
	v_dual_lshrrev_b32 v50, 16, v48 :: v_dual_bitop2_b32 v9, v3, v9 bitop3:0x54
	v_or_b32_e32 v1, v1, v2
	v_cvt_f32_f16_e32 v3, v6
	s_delay_alu instid0(VALU_DEP_4)
	v_cvt_f32_f16_e32 v2, v49
	v_dual_lshrrev_b32 v19, 16, v29 :: v_dual_bitop2_b32 v6, v48, v19 bitop3:0x54
	v_cvt_f32_f16_e32 v48, v9
	v_or_b32_e32 v9, v29, v18
	s_wait_loadcnt_dscnt 0x0
	v_pk_mul_f32 v[2:3], v[28:29], v[2:3] op_sel_hi:[0,1]
	v_cvt_f32_f16_e32 v49, v1
	v_cvt_f32_f16_e32 v19, v19
	;; [unrolled: 1-line block ×5, first 2 shown]
	v_pk_mul_f32 v[48:49], v[28:29], v[48:49] op_sel_hi:[0,1]
	v_cvt_pk_f16_f32 v1, v2, v3
	v_pk_mul_f32 v[2:3], v[28:29], v[18:19] op_sel_hi:[0,1]
	s_delay_alu instid0(VALU_DEP_4) | instskip(NEXT) | instid1(VALU_DEP_4)
	v_pk_mul_f32 v[18:19], v[28:29], v[50:51] op_sel_hi:[0,1]
	v_cvt_pk_f16_f32 v6, v48, v49
	s_delay_alu instid0(VALU_DEP_4) | instskip(NEXT) | instid1(VALU_DEP_4)
	v_and_b32_e32 v29, 0xffff0000, v1
	v_cvt_pk_f16_f32 v2, v2, v3
	v_lshlrev_b32_e32 v48, 16, v1
	v_cvt_pk_f16_f32 v1, v18, v19
	v_and_b32_e32 v54, 0xffff, v6
	s_delay_alu instid0(VALU_DEP_4) | instskip(NEXT) | instid1(VALU_DEP_3)
	v_and_b32_e32 v9, 0xffff0000, v2
	v_dual_lshrrev_b32 v19, 16, v1 :: v_dual_lshrrev_b32 v53, 16, v6
	v_and_b32_e32 v28, 0xffff, v1
	s_delay_alu instid0(VALU_DEP_4) | instskip(NEXT) | instid1(VALU_DEP_3)
	v_or_b32_e32 v52, v48, v54
	v_dual_lshlrev_b32 v6, 16, v2 :: v_dual_bitop2_b32 v49, v9, v19 bitop3:0x54
	s_delay_alu instid0(VALU_DEP_4) | instskip(NEXT) | instid1(VALU_DEP_2)
	v_or_b32_e32 v51, v29, v53
	v_or_b32_e32 v50, v6, v28
	s_and_saveexec_b32 s19, vcc_lo
	s_cbranch_execz .LBB261_1208
; %bb.1207:                             ;   in Loop: Header=BB261_1075 Depth=1
	v_cmp_lt_i32_e64 s1, v87, v13
	s_delay_alu instid0(VALU_DEP_1) | instskip(SKIP_1) | instid1(VALU_DEP_1)
	v_cndmask_b32_e64 v1, 0, v53, s1
	v_cmp_lt_i32_e64 s1, v102, v12
	v_cndmask_b32_e64 v2, 0, v54, s1
	v_cmp_lt_i32_e64 s1, v101, v13
	s_delay_alu instid0(VALU_DEP_1) | instskip(SKIP_1) | instid1(VALU_DEP_1)
	v_cndmask_b32_e64 v3, 0, v29, s1
	v_cmp_lt_i32_e64 s1, v100, v12
	v_cndmask_b32_e64 v18, 0, v48, s1
	v_cmp_lt_i32_e64 s1, v99, v13
	s_delay_alu instid0(VALU_DEP_4) | instskip(NEXT) | instid1(VALU_DEP_2)
	v_or_b32_e32 v51, v1, v3
	v_dual_cndmask_b32 v19, 0, v19, s1 :: v_dual_bitop2_b32 v52, v2, v18 bitop3:0x54
	v_cmp_lt_i32_e64 s1, v98, v12
	s_delay_alu instid0(VALU_DEP_1) | instskip(SKIP_1) | instid1(VALU_DEP_1)
	v_cndmask_b32_e64 v28, 0, v28, s1
	v_cmp_lt_i32_e64 s1, v97, v13
	v_cndmask_b32_e64 v9, 0, v9, s1
	v_cmp_lt_i32_e64 s1, v96, v12
	s_delay_alu instid0(VALU_DEP_1) | instskip(NEXT) | instid1(VALU_DEP_1)
	v_dual_cndmask_b32 v6, 0, v6, s1 :: v_dual_bitop2_b32 v49, v19, v9 bitop3:0x54
	v_or_b32_e32 v50, v28, v6
.LBB261_1208:                           ;   in Loop: Header=BB261_1075 Depth=1
	s_or_b32 exec_lo, exec_lo, s19
	;;#ASMSTART
	v_pk_mul_f16 v1, v67, v51;

	;;#ASMEND
	;;#ASMSTART
	v_pk_mul_f16 v2, v65, v52;

	;;#ASMEND
	;; [unrolled: 4-line block ×4, first 2 shown]
	;;#ASMSTART
	v_pk_add_f16 v1, v1, v2;

	;;#ASMEND
	;;#ASMSTART
	v_pk_add_f16 v1, v1, v3;

	;;#ASMEND
	;; [unrolled: 4-line block ×3, first 2 shown]
	v_and_b32_e32 v2, 0xffff, v1
	v_lshrrev_b32_e32 v1, 16, v1
	;;#ASMSTART
	v_cvt_f32_f16 v69, v2;
	;;#ASMEND
	;;#ASMSTART
	v_cvt_f32_f16 v70, v1;
	;;#ASMEND
	flat_load_b64 v[48:49], v[26:27] offset:512
	scratch_load_b64 v[2:3], off, s32 offset:192 ; 8-byte Folded Reload
	v_mov_b32_e32 v1, 0
	s_mov_b32 s19, exec_lo
	s_wait_loadcnt 0x0
	flat_load_b32 v28, v[2:3]
	s_wait_dscnt 0x1
	s_wait_xcnt 0x0
	v_and_b32_e32 v3, 0xff, v48
	v_mov_b32_e32 v2, 0
	s_delay_alu instid0(VALU_DEP_2)
	v_cmpx_ne_u16_e32 0, v3
	s_cbranch_execz .LBB261_1216
; %bb.1209:                             ;   in Loop: Header=BB261_1075 Depth=1
	v_mov_b32_e32 v2, 0x8000
	s_mov_b32 s20, exec_lo
	v_cmpx_ne_u16_e32 0x80, v3
	s_cbranch_execz .LBB261_1215
; %bb.1210:                             ;   in Loop: Header=BB261_1075 Depth=1
	v_and_b32_e32 v6, 0x7f, v48
	v_mov_b32_e32 v2, 0x7c01
	s_mov_b32 s21, exec_lo
	s_delay_alu instid0(VALU_DEP_2)
	v_cmpx_ne_u32_e32 0x7f, v6
	s_cbranch_execz .LBB261_1214
; %bb.1211:                             ;   in Loop: Header=BB261_1075 Depth=1
	v_dual_lshrrev_b32 v3, 3, v6 :: v_dual_bitop2_b32 v2, 7, v48 bitop3:0x40
	s_mov_b32 s22, exec_lo
	v_cmpx_gt_u32_e32 8, v6
; %bb.1212:                             ;   in Loop: Header=BB261_1075 Depth=1
	s_delay_alu instid0(VALU_DEP_2) | instskip(NEXT) | instid1(VALU_DEP_1)
	v_clz_i32_u32_e32 v2, v2
	v_min_u32_e32 v6, 32, v2
	s_delay_alu instid0(VALU_DEP_1) | instskip(NEXT) | instid1(VALU_DEP_1)
	v_subrev_nc_u32_e32 v2, 28, v6
	v_lshlrev_b64_e32 v[2:3], v2, v[48:49]
	v_sub_nc_u32_e32 v3, 29, v6
	s_delay_alu instid0(VALU_DEP_2)
	v_and_b32_e32 v2, 7, v2
; %bb.1213:                             ;   in Loop: Header=BB261_1075 Depth=1
	s_or_b32 exec_lo, exec_lo, s22
	s_delay_alu instid0(VALU_DEP_1) | instskip(NEXT) | instid1(VALU_DEP_3)
	v_dual_lshlrev_b32 v6, 8, v48 :: v_dual_lshlrev_b32 v2, 7, v2
	v_lshl_add_u32 v3, v3, 10, 0x2000
	s_delay_alu instid0(VALU_DEP_2) | instskip(NEXT) | instid1(VALU_DEP_2)
	v_and_b32_e32 v6, 0x8000, v6
	v_and_b32_e32 v3, 0xfc00, v3
	s_delay_alu instid0(VALU_DEP_1)
	v_or3_b32 v2, v6, v3, v2
.LBB261_1214:                           ;   in Loop: Header=BB261_1075 Depth=1
	s_or_b32 exec_lo, exec_lo, s21
.LBB261_1215:                           ;   in Loop: Header=BB261_1075 Depth=1
	s_delay_alu instid0(SALU_CYCLE_1)
	s_or_b32 exec_lo, exec_lo, s20
.LBB261_1216:                           ;   in Loop: Header=BB261_1075 Depth=1
	s_delay_alu instid0(SALU_CYCLE_1) | instskip(SKIP_2) | instid1(VALU_DEP_1)
	s_or_b32 exec_lo, exec_lo, s19
	v_lshrrev_b16 v6, 8, v48
	s_mov_b32 s19, exec_lo
	v_cmpx_ne_u16_e32 0, v6
	s_cbranch_execz .LBB261_1224
; %bb.1217:                             ;   in Loop: Header=BB261_1075 Depth=1
	v_bfrev_b32_e32 v1, 1
	s_mov_b32 s20, exec_lo
	v_cmpx_ne_u16_e32 0x80, v6
	s_cbranch_execz .LBB261_1223
; %bb.1218:                             ;   in Loop: Header=BB261_1075 Depth=1
	v_and_b32_e32 v3, 0xffff, v6
	v_mov_b32_e32 v1, 0x7c010000
	s_mov_b32 s21, exec_lo
	s_delay_alu instid0(VALU_DEP_2) | instskip(NEXT) | instid1(VALU_DEP_1)
	v_and_b32_e32 v18, 0x7f, v3
	v_cmpx_ne_u32_e32 0x7f, v18
	s_cbranch_execz .LBB261_1222
; %bb.1219:                             ;   in Loop: Header=BB261_1075 Depth=1
	v_dual_lshrrev_b32 v9, 3, v18 :: v_dual_bitop2_b32 v1, 7, v3 bitop3:0x40
	s_mov_b32 s22, exec_lo
	v_cmpx_gt_u32_e32 8, v18
; %bb.1220:                             ;   in Loop: Header=BB261_1075 Depth=1
	s_delay_alu instid0(VALU_DEP_2) | instskip(NEXT) | instid1(VALU_DEP_1)
	v_clz_i32_u32_e32 v1, v1
	v_min_u32_e32 v1, 32, v1
	s_delay_alu instid0(VALU_DEP_1) | instskip(NEXT) | instid1(VALU_DEP_1)
	v_subrev_nc_u32_e32 v9, 28, v1
	v_lshlrev_b64_e32 v[18:19], v9, v[6:7]
	s_delay_alu instid0(VALU_DEP_1)
	v_dual_sub_nc_u32 v9, 29, v1 :: v_dual_bitop2_b32 v1, 7, v18 bitop3:0x40
; %bb.1221:                             ;   in Loop: Header=BB261_1075 Depth=1
	s_or_b32 exec_lo, exec_lo, s22
	s_delay_alu instid0(VALU_DEP_1) | instskip(NEXT) | instid1(VALU_DEP_2)
	v_dual_lshlrev_b32 v3, 8, v3 :: v_dual_lshlrev_b32 v1, 23, v1
	v_lshl_add_u32 v6, v9, 10, 0x2000
	s_delay_alu instid0(VALU_DEP_1) | instskip(NEXT) | instid1(VALU_DEP_1)
	v_and_or_b32 v3, 0x8000, v3, v6
	v_lshl_or_b32 v1, v3, 16, v1
.LBB261_1222:                           ;   in Loop: Header=BB261_1075 Depth=1
	s_or_b32 exec_lo, exec_lo, s21
.LBB261_1223:                           ;   in Loop: Header=BB261_1075 Depth=1
	s_delay_alu instid0(SALU_CYCLE_1)
	s_or_b32 exec_lo, exec_lo, s20
.LBB261_1224:                           ;   in Loop: Header=BB261_1075 Depth=1
	s_delay_alu instid0(SALU_CYCLE_1) | instskip(SKIP_3) | instid1(VALU_DEP_2)
	s_or_b32 exec_lo, exec_lo, s19
	v_dual_mov_b32 v3, 0 :: v_dual_lshrrev_b32 v6, 16, v48
	v_mov_b32_e32 v9, 0
	s_mov_b32 s19, exec_lo
	v_and_b32_e32 v18, 0xff, v6
	s_delay_alu instid0(VALU_DEP_1)
	v_cmpx_ne_u16_e32 0, v18
	s_cbranch_execz .LBB261_1232
; %bb.1225:                             ;   in Loop: Header=BB261_1075 Depth=1
	v_mov_b32_e32 v9, 0x8000
	s_mov_b32 s20, exec_lo
	v_cmpx_ne_u16_e32 0x80, v18
	s_cbranch_execz .LBB261_1231
; %bb.1226:                             ;   in Loop: Header=BB261_1075 Depth=1
	v_bfe_u32 v19, v48, 16, 7
	v_mov_b32_e32 v9, 0x7c01
	s_mov_b32 s21, exec_lo
	s_delay_alu instid0(VALU_DEP_2)
	v_cmpx_ne_u32_e32 0x7f, v19
	s_cbranch_execz .LBB261_1230
; %bb.1227:                             ;   in Loop: Header=BB261_1075 Depth=1
	v_dual_lshrrev_b32 v18, 3, v19 :: v_dual_bitop2_b32 v9, 7, v6 bitop3:0x40
	s_mov_b32 s22, exec_lo
	v_cmpx_gt_u32_e32 8, v19
; %bb.1228:                             ;   in Loop: Header=BB261_1075 Depth=1
	s_delay_alu instid0(VALU_DEP_2) | instskip(NEXT) | instid1(VALU_DEP_1)
	v_clz_i32_u32_e32 v9, v9
	v_min_u32_e32 v9, 32, v9
	s_delay_alu instid0(VALU_DEP_1) | instskip(NEXT) | instid1(VALU_DEP_1)
	v_subrev_nc_u32_e32 v18, 28, v9
	v_lshlrev_b64_e32 v[50:51], v18, v[6:7]
	s_delay_alu instid0(VALU_DEP_1)
	v_dual_sub_nc_u32 v18, 29, v9 :: v_dual_bitop2_b32 v9, 7, v50 bitop3:0x40
; %bb.1229:                             ;   in Loop: Header=BB261_1075 Depth=1
	s_or_b32 exec_lo, exec_lo, s22
	s_delay_alu instid0(VALU_DEP_1) | instskip(NEXT) | instid1(VALU_DEP_2)
	v_dual_lshlrev_b32 v6, 8, v6 :: v_dual_lshlrev_b32 v9, 7, v9
	v_lshl_add_u32 v18, v18, 10, 0x2000
	s_delay_alu instid0(VALU_DEP_2) | instskip(NEXT) | instid1(VALU_DEP_2)
	v_and_b32_e32 v6, 0x8000, v6
	v_and_b32_e32 v18, 0xfc00, v18
	s_delay_alu instid0(VALU_DEP_1)
	v_or3_b32 v9, v6, v18, v9
.LBB261_1230:                           ;   in Loop: Header=BB261_1075 Depth=1
	s_or_b32 exec_lo, exec_lo, s21
.LBB261_1231:                           ;   in Loop: Header=BB261_1075 Depth=1
	s_delay_alu instid0(SALU_CYCLE_1)
	s_or_b32 exec_lo, exec_lo, s20
.LBB261_1232:                           ;   in Loop: Header=BB261_1075 Depth=1
	s_delay_alu instid0(SALU_CYCLE_1) | instskip(NEXT) | instid1(SALU_CYCLE_1)
	s_or_b32 exec_lo, exec_lo, s19
	s_mov_b32 s19, exec_lo
	v_cmpx_lt_u32_e32 0xffffff, v48
	s_cbranch_execz .LBB261_1240
; %bb.1233:                             ;   in Loop: Header=BB261_1075 Depth=1
	v_lshrrev_b32_e32 v6, 24, v48
	v_bfrev_b32_e32 v3, 1
	s_mov_b32 s20, exec_lo
	s_delay_alu instid0(VALU_DEP_2)
	v_cmpx_ne_u32_e32 0x80, v6
	s_cbranch_execz .LBB261_1239
; %bb.1234:                             ;   in Loop: Header=BB261_1075 Depth=1
	v_and_b32_e32 v19, 0x7f, v6
	v_mov_b32_e32 v3, 0x7c010000
	s_mov_b32 s21, exec_lo
	s_delay_alu instid0(VALU_DEP_2)
	v_cmpx_ne_u32_e32 0x7f, v19
	s_cbranch_execz .LBB261_1238
; %bb.1235:                             ;   in Loop: Header=BB261_1075 Depth=1
	v_dual_lshrrev_b32 v18, 3, v19 :: v_dual_bitop2_b32 v3, 7, v6 bitop3:0x40
	s_mov_b32 s22, exec_lo
	v_cmpx_gt_u32_e32 8, v19
; %bb.1236:                             ;   in Loop: Header=BB261_1075 Depth=1
	s_delay_alu instid0(VALU_DEP_2) | instskip(NEXT) | instid1(VALU_DEP_1)
	v_clz_i32_u32_e32 v3, v3
	v_min_u32_e32 v3, 32, v3
	s_delay_alu instid0(VALU_DEP_1) | instskip(NEXT) | instid1(VALU_DEP_1)
	v_subrev_nc_u32_e32 v18, 28, v3
	v_lshlrev_b64_e32 v[50:51], v18, v[6:7]
	s_delay_alu instid0(VALU_DEP_1)
	v_dual_sub_nc_u32 v18, 29, v3 :: v_dual_bitop2_b32 v3, 7, v50 bitop3:0x40
; %bb.1237:                             ;   in Loop: Header=BB261_1075 Depth=1
	s_or_b32 exec_lo, exec_lo, s22
	s_delay_alu instid0(VALU_DEP_1) | instskip(NEXT) | instid1(VALU_DEP_2)
	v_dual_lshlrev_b32 v6, 8, v6 :: v_dual_lshlrev_b32 v3, 23, v3
	v_lshl_add_u32 v18, v18, 10, 0x2000
	s_delay_alu instid0(VALU_DEP_1) | instskip(NEXT) | instid1(VALU_DEP_1)
	v_and_or_b32 v6, 0x8000, v6, v18
	v_lshl_or_b32 v3, v6, 16, v3
.LBB261_1238:                           ;   in Loop: Header=BB261_1075 Depth=1
	s_or_b32 exec_lo, exec_lo, s21
.LBB261_1239:                           ;   in Loop: Header=BB261_1075 Depth=1
	s_delay_alu instid0(SALU_CYCLE_1)
	s_or_b32 exec_lo, exec_lo, s20
.LBB261_1240:                           ;   in Loop: Header=BB261_1075 Depth=1
	s_delay_alu instid0(SALU_CYCLE_1) | instskip(SKIP_4) | instid1(VALU_DEP_3)
	s_or_b32 exec_lo, exec_lo, s19
	v_and_b32_e32 v29, 0xff, v49
	v_dual_mov_b32 v6, v49 :: v_dual_mov_b32 v19, 0
	v_mov_b32_e32 v18, 0
	s_mov_b32 s19, exec_lo
	v_cmpx_ne_u16_e32 0, v29
	s_cbranch_execz .LBB261_1248
; %bb.1241:                             ;   in Loop: Header=BB261_1075 Depth=1
	v_mov_b32_e32 v18, 0x8000
	s_mov_b32 s20, exec_lo
	v_cmpx_ne_u16_e32 0x80, v29
	s_cbranch_execz .LBB261_1247
; %bb.1242:                             ;   in Loop: Header=BB261_1075 Depth=1
	v_and_b32_e32 v50, 0x7f, v49
	v_mov_b32_e32 v18, 0x7c01
	s_mov_b32 s21, exec_lo
	s_delay_alu instid0(VALU_DEP_2)
	v_cmpx_ne_u32_e32 0x7f, v50
	s_cbranch_execz .LBB261_1246
; %bb.1243:                             ;   in Loop: Header=BB261_1075 Depth=1
	v_dual_lshrrev_b32 v29, 3, v50 :: v_dual_bitop2_b32 v18, 7, v49 bitop3:0x40
	s_mov_b32 s22, exec_lo
	v_cmpx_gt_u32_e32 8, v50
; %bb.1244:                             ;   in Loop: Header=BB261_1075 Depth=1
	s_delay_alu instid0(VALU_DEP_2) | instskip(NEXT) | instid1(VALU_DEP_1)
	v_clz_i32_u32_e32 v18, v18
	v_min_u32_e32 v18, 32, v18
	s_delay_alu instid0(VALU_DEP_1) | instskip(NEXT) | instid1(VALU_DEP_1)
	v_subrev_nc_u32_e32 v29, 28, v18
	v_lshlrev_b64_e32 v[50:51], v29, v[6:7]
	v_sub_nc_u32_e32 v29, 29, v18
	s_delay_alu instid0(VALU_DEP_2)
	v_and_b32_e32 v18, 7, v50
; %bb.1245:                             ;   in Loop: Header=BB261_1075 Depth=1
	s_or_b32 exec_lo, exec_lo, s22
	s_delay_alu instid0(VALU_DEP_1) | instskip(NEXT) | instid1(VALU_DEP_3)
	v_dual_lshlrev_b32 v50, 8, v49 :: v_dual_lshlrev_b32 v18, 7, v18
	v_lshl_add_u32 v29, v29, 10, 0x2000
	s_delay_alu instid0(VALU_DEP_2) | instskip(NEXT) | instid1(VALU_DEP_2)
	v_and_b32_e32 v50, 0x8000, v50
	v_and_b32_e32 v29, 0xfc00, v29
	s_delay_alu instid0(VALU_DEP_1)
	v_or3_b32 v18, v50, v29, v18
.LBB261_1246:                           ;   in Loop: Header=BB261_1075 Depth=1
	s_or_b32 exec_lo, exec_lo, s21
.LBB261_1247:                           ;   in Loop: Header=BB261_1075 Depth=1
	s_delay_alu instid0(SALU_CYCLE_1)
	s_or_b32 exec_lo, exec_lo, s20
.LBB261_1248:                           ;   in Loop: Header=BB261_1075 Depth=1
	s_delay_alu instid0(SALU_CYCLE_1) | instskip(SKIP_3) | instid1(VALU_DEP_2)
	s_or_b32 exec_lo, exec_lo, s19
	v_lshrrev_b16 v6, 8, v6
	v_mov_b32_e32 v29, 0
	s_mov_b32 s19, exec_lo
	v_cmpx_ne_u16_e32 0, v6
	s_cbranch_execz .LBB261_1256
; %bb.1249:                             ;   in Loop: Header=BB261_1075 Depth=1
	v_bfrev_b32_e32 v29, 1
	s_mov_b32 s20, exec_lo
	v_cmpx_ne_u16_e32 0x80, v6
	s_cbranch_execz .LBB261_1255
; %bb.1250:                             ;   in Loop: Header=BB261_1075 Depth=1
	v_and_b32_e32 v50, 0xffff, v6
	v_mov_b32_e32 v29, 0x7c010000
	s_mov_b32 s21, exec_lo
	s_delay_alu instid0(VALU_DEP_2) | instskip(NEXT) | instid1(VALU_DEP_1)
	v_and_b32_e32 v52, 0x7f, v50
	v_cmpx_ne_u32_e32 0x7f, v52
	s_cbranch_execz .LBB261_1254
; %bb.1251:                             ;   in Loop: Header=BB261_1075 Depth=1
	v_dual_lshrrev_b32 v51, 3, v52 :: v_dual_bitop2_b32 v29, 7, v50 bitop3:0x40
	s_mov_b32 s22, exec_lo
	v_cmpx_gt_u32_e32 8, v52
; %bb.1252:                             ;   in Loop: Header=BB261_1075 Depth=1
	s_delay_alu instid0(VALU_DEP_2) | instskip(NEXT) | instid1(VALU_DEP_1)
	v_clz_i32_u32_e32 v29, v29
	v_min_u32_e32 v29, 32, v29
	s_delay_alu instid0(VALU_DEP_1) | instskip(NEXT) | instid1(VALU_DEP_1)
	v_subrev_nc_u32_e32 v51, 28, v29
	v_lshlrev_b64_e32 v[52:53], v51, v[6:7]
	s_delay_alu instid0(VALU_DEP_1)
	v_dual_sub_nc_u32 v51, 29, v29 :: v_dual_bitop2_b32 v29, 7, v52 bitop3:0x40
; %bb.1253:                             ;   in Loop: Header=BB261_1075 Depth=1
	s_or_b32 exec_lo, exec_lo, s22
	s_delay_alu instid0(VALU_DEP_1) | instskip(NEXT) | instid1(VALU_DEP_2)
	v_dual_lshlrev_b32 v6, 8, v50 :: v_dual_lshlrev_b32 v29, 23, v29
	v_lshl_add_u32 v50, v51, 10, 0x2000
	s_delay_alu instid0(VALU_DEP_1) | instskip(NEXT) | instid1(VALU_DEP_1)
	v_and_or_b32 v6, 0x8000, v6, v50
	v_lshl_or_b32 v29, v6, 16, v29
.LBB261_1254:                           ;   in Loop: Header=BB261_1075 Depth=1
	s_or_b32 exec_lo, exec_lo, s21
.LBB261_1255:                           ;   in Loop: Header=BB261_1075 Depth=1
	s_delay_alu instid0(SALU_CYCLE_1)
	s_or_b32 exec_lo, exec_lo, s20
.LBB261_1256:                           ;   in Loop: Header=BB261_1075 Depth=1
	s_delay_alu instid0(SALU_CYCLE_1) | instskip(SKIP_2) | instid1(VALU_DEP_1)
	s_or_b32 exec_lo, exec_lo, s19
	v_lshrrev_b32_e32 v6, 16, v49
	s_mov_b32 s19, exec_lo
	v_and_b32_e32 v50, 0xff, v6
	s_delay_alu instid0(VALU_DEP_1)
	v_cmpx_ne_u16_e32 0, v50
	s_cbranch_execz .LBB261_1264
; %bb.1257:                             ;   in Loop: Header=BB261_1075 Depth=1
	v_mov_b32_e32 v19, 0x8000
	s_mov_b32 s20, exec_lo
	v_cmpx_ne_u16_e32 0x80, v50
	s_cbranch_execz .LBB261_1263
; %bb.1258:                             ;   in Loop: Header=BB261_1075 Depth=1
	v_bfe_u32 v51, v49, 16, 7
	v_mov_b32_e32 v19, 0x7c01
	s_mov_b32 s21, exec_lo
	s_delay_alu instid0(VALU_DEP_2)
	v_cmpx_ne_u32_e32 0x7f, v51
	s_cbranch_execz .LBB261_1262
; %bb.1259:                             ;   in Loop: Header=BB261_1075 Depth=1
	v_dual_lshrrev_b32 v50, 3, v51 :: v_dual_bitop2_b32 v19, 7, v6 bitop3:0x40
	s_mov_b32 s22, exec_lo
	v_cmpx_gt_u32_e32 8, v51
; %bb.1260:                             ;   in Loop: Header=BB261_1075 Depth=1
	s_delay_alu instid0(VALU_DEP_2) | instskip(NEXT) | instid1(VALU_DEP_1)
	v_clz_i32_u32_e32 v19, v19
	v_min_u32_e32 v19, 32, v19
	s_delay_alu instid0(VALU_DEP_1) | instskip(NEXT) | instid1(VALU_DEP_1)
	v_subrev_nc_u32_e32 v50, 28, v19
	v_lshlrev_b64_e32 v[52:53], v50, v[6:7]
	s_delay_alu instid0(VALU_DEP_1)
	v_dual_sub_nc_u32 v50, 29, v19 :: v_dual_bitop2_b32 v19, 7, v52 bitop3:0x40
; %bb.1261:                             ;   in Loop: Header=BB261_1075 Depth=1
	s_or_b32 exec_lo, exec_lo, s22
	s_delay_alu instid0(VALU_DEP_1) | instskip(NEXT) | instid1(VALU_DEP_2)
	v_dual_lshlrev_b32 v6, 8, v6 :: v_dual_lshlrev_b32 v19, 7, v19
	v_lshl_add_u32 v50, v50, 10, 0x2000
	s_delay_alu instid0(VALU_DEP_2) | instskip(NEXT) | instid1(VALU_DEP_2)
	v_and_b32_e32 v6, 0x8000, v6
	v_and_b32_e32 v50, 0xfc00, v50
	s_delay_alu instid0(VALU_DEP_1)
	v_or3_b32 v19, v6, v50, v19
.LBB261_1262:                           ;   in Loop: Header=BB261_1075 Depth=1
	s_or_b32 exec_lo, exec_lo, s21
.LBB261_1263:                           ;   in Loop: Header=BB261_1075 Depth=1
	s_delay_alu instid0(SALU_CYCLE_1)
	s_or_b32 exec_lo, exec_lo, s20
.LBB261_1264:                           ;   in Loop: Header=BB261_1075 Depth=1
	s_delay_alu instid0(SALU_CYCLE_1)
	s_or_b32 exec_lo, exec_lo, s19
	v_cmp_lt_u64_e64 s1, s[2:3], v[48:49]
	v_mov_b32_e32 v48, 0
	s_and_saveexec_b32 s19, s1
	s_cbranch_execz .LBB261_1272
; %bb.1265:                             ;   in Loop: Header=BB261_1075 Depth=1
	v_lshrrev_b32_e32 v6, 24, v49
	v_bfrev_b32_e32 v48, 1
	s_mov_b32 s20, exec_lo
	s_delay_alu instid0(VALU_DEP_2)
	v_cmpx_ne_u32_e32 0x80, v6
	s_cbranch_execz .LBB261_1271
; %bb.1266:                             ;   in Loop: Header=BB261_1075 Depth=1
	v_and_b32_e32 v50, 0x7f, v6
	v_mov_b32_e32 v48, 0x7c010000
	s_mov_b32 s21, exec_lo
	s_delay_alu instid0(VALU_DEP_2)
	v_cmpx_ne_u32_e32 0x7f, v50
	s_cbranch_execz .LBB261_1270
; %bb.1267:                             ;   in Loop: Header=BB261_1075 Depth=1
	v_and_b32_e32 v48, 7, v6
	v_lshrrev_b32_e32 v49, 3, v50
	s_mov_b32 s22, exec_lo
	v_cmpx_gt_u32_e32 8, v50
; %bb.1268:                             ;   in Loop: Header=BB261_1075 Depth=1
	s_delay_alu instid0(VALU_DEP_3) | instskip(NEXT) | instid1(VALU_DEP_1)
	v_clz_i32_u32_e32 v48, v48
	v_min_u32_e32 v50, 32, v48
	s_delay_alu instid0(VALU_DEP_1) | instskip(NEXT) | instid1(VALU_DEP_1)
	v_subrev_nc_u32_e32 v48, 28, v50
	v_lshlrev_b64_e32 v[48:49], v48, v[6:7]
	s_delay_alu instid0(VALU_DEP_1)
	v_dual_sub_nc_u32 v49, 29, v50 :: v_dual_bitop2_b32 v48, 7, v48 bitop3:0x40
; %bb.1269:                             ;   in Loop: Header=BB261_1075 Depth=1
	s_or_b32 exec_lo, exec_lo, s22
	s_delay_alu instid0(VALU_DEP_1) | instskip(NEXT) | instid1(VALU_DEP_2)
	v_dual_lshlrev_b32 v6, 8, v6 :: v_dual_lshlrev_b32 v48, 23, v48
	v_lshl_add_u32 v49, v49, 10, 0x2000
	s_delay_alu instid0(VALU_DEP_1) | instskip(NEXT) | instid1(VALU_DEP_1)
	v_and_or_b32 v6, 0x8000, v6, v49
	v_lshl_or_b32 v48, v6, 16, v48
.LBB261_1270:                           ;   in Loop: Header=BB261_1075 Depth=1
	s_or_b32 exec_lo, exec_lo, s21
.LBB261_1271:                           ;   in Loop: Header=BB261_1075 Depth=1
	s_delay_alu instid0(SALU_CYCLE_1)
	s_or_b32 exec_lo, exec_lo, s20
.LBB261_1272:                           ;   in Loop: Header=BB261_1075 Depth=1
	s_delay_alu instid0(SALU_CYCLE_1) | instskip(SKIP_3) | instid1(VALU_DEP_3)
	s_or_b32 exec_lo, exec_lo, s19
	v_dual_lshrrev_b32 v6, 16, v1 :: v_dual_lshrrev_b32 v49, 16, v3
	v_dual_lshrrev_b32 v50, 16, v48 :: v_dual_bitop2_b32 v9, v3, v9 bitop3:0x54
	v_or_b32_e32 v1, v1, v2
	v_cvt_f32_f16_e32 v3, v6
	s_delay_alu instid0(VALU_DEP_4)
	v_cvt_f32_f16_e32 v2, v49
	v_dual_lshrrev_b32 v19, 16, v29 :: v_dual_bitop2_b32 v6, v48, v19 bitop3:0x54
	v_cvt_f32_f16_e32 v48, v9
	v_or_b32_e32 v9, v29, v18
	s_wait_loadcnt_dscnt 0x0
	v_pk_mul_f32 v[2:3], v[28:29], v[2:3] op_sel_hi:[0,1]
	v_cvt_f32_f16_e32 v49, v1
	v_cvt_f32_f16_e32 v19, v19
	;; [unrolled: 1-line block ×5, first 2 shown]
	v_pk_mul_f32 v[48:49], v[28:29], v[48:49] op_sel_hi:[0,1]
	v_cvt_pk_f16_f32 v1, v2, v3
	v_pk_mul_f32 v[2:3], v[28:29], v[18:19] op_sel_hi:[0,1]
	s_delay_alu instid0(VALU_DEP_4) | instskip(NEXT) | instid1(VALU_DEP_4)
	v_pk_mul_f32 v[18:19], v[28:29], v[50:51] op_sel_hi:[0,1]
	v_cvt_pk_f16_f32 v6, v48, v49
	s_delay_alu instid0(VALU_DEP_4) | instskip(NEXT) | instid1(VALU_DEP_4)
	v_and_b32_e32 v29, 0xffff0000, v1
	v_cvt_pk_f16_f32 v2, v2, v3
	v_lshlrev_b32_e32 v48, 16, v1
	v_cvt_pk_f16_f32 v1, v18, v19
	v_and_b32_e32 v54, 0xffff, v6
	s_delay_alu instid0(VALU_DEP_4) | instskip(NEXT) | instid1(VALU_DEP_3)
	v_and_b32_e32 v9, 0xffff0000, v2
	v_dual_lshrrev_b32 v19, 16, v1 :: v_dual_lshrrev_b32 v53, 16, v6
	v_and_b32_e32 v28, 0xffff, v1
	s_delay_alu instid0(VALU_DEP_4) | instskip(NEXT) | instid1(VALU_DEP_3)
	v_or_b32_e32 v52, v48, v54
	v_dual_lshlrev_b32 v6, 16, v2 :: v_dual_bitop2_b32 v49, v9, v19 bitop3:0x54
	s_delay_alu instid0(VALU_DEP_4) | instskip(NEXT) | instid1(VALU_DEP_2)
	v_or_b32_e32 v51, v29, v53
	v_or_b32_e32 v50, v6, v28
	s_and_saveexec_b32 s19, vcc_lo
	s_cbranch_execz .LBB261_1274
; %bb.1273:                             ;   in Loop: Header=BB261_1075 Depth=1
	v_cmp_lt_i32_e64 s1, v87, v13
	s_delay_alu instid0(VALU_DEP_1) | instskip(SKIP_1) | instid1(VALU_DEP_1)
	v_cndmask_b32_e64 v1, 0, v53, s1
	v_cmp_lt_i32_e64 s1, v102, v12
	v_cndmask_b32_e64 v2, 0, v54, s1
	v_cmp_lt_i32_e64 s1, v101, v13
	s_delay_alu instid0(VALU_DEP_1) | instskip(SKIP_1) | instid1(VALU_DEP_1)
	v_cndmask_b32_e64 v3, 0, v29, s1
	v_cmp_lt_i32_e64 s1, v100, v12
	v_cndmask_b32_e64 v18, 0, v48, s1
	v_cmp_lt_i32_e64 s1, v99, v13
	s_delay_alu instid0(VALU_DEP_4) | instskip(NEXT) | instid1(VALU_DEP_2)
	v_or_b32_e32 v51, v1, v3
	v_dual_cndmask_b32 v19, 0, v19, s1 :: v_dual_bitop2_b32 v52, v2, v18 bitop3:0x54
	v_cmp_lt_i32_e64 s1, v98, v12
	s_delay_alu instid0(VALU_DEP_1) | instskip(SKIP_1) | instid1(VALU_DEP_1)
	v_cndmask_b32_e64 v28, 0, v28, s1
	v_cmp_lt_i32_e64 s1, v97, v13
	v_cndmask_b32_e64 v9, 0, v9, s1
	v_cmp_lt_i32_e64 s1, v96, v12
	s_delay_alu instid0(VALU_DEP_1) | instskip(NEXT) | instid1(VALU_DEP_1)
	v_dual_cndmask_b32 v6, 0, v6, s1 :: v_dual_bitop2_b32 v49, v19, v9 bitop3:0x54
	v_or_b32_e32 v50, v28, v6
.LBB261_1274:                           ;   in Loop: Header=BB261_1075 Depth=1
	s_or_b32 exec_lo, exec_lo, s19
	;;#ASMSTART
	v_pk_mul_f16 v1, v67, v51;

	;;#ASMEND
	;;#ASMSTART
	v_pk_mul_f16 v2, v65, v52;

	;;#ASMEND
	;; [unrolled: 4-line block ×4, first 2 shown]
	;;#ASMSTART
	v_pk_add_f16 v1, v1, v2;

	;;#ASMEND
	;;#ASMSTART
	v_pk_add_f16 v1, v1, v3;

	;;#ASMEND
	;; [unrolled: 4-line block ×3, first 2 shown]
	v_and_b32_e32 v2, 0xffff, v1
	v_lshrrev_b32_e32 v1, 16, v1
	;;#ASMSTART
	v_cvt_f32_f16 v71, v2;
	;;#ASMEND
	;;#ASMSTART
	v_cvt_f32_f16 v103, v1;
	;;#ASMEND
	flat_load_b64 v[48:49], v[26:27] offset:768
	scratch_load_b64 v[2:3], off, s32 offset:192 ; 8-byte Folded Reload
	v_mov_b32_e32 v1, 0
	s_mov_b32 s19, exec_lo
	s_wait_loadcnt 0x0
	flat_load_b32 v28, v[2:3]
	s_wait_dscnt 0x1
	s_wait_xcnt 0x0
	v_and_b32_e32 v3, 0xff, v48
	v_mov_b32_e32 v2, 0
	s_delay_alu instid0(VALU_DEP_2)
	v_cmpx_ne_u16_e32 0, v3
	s_cbranch_execz .LBB261_1282
; %bb.1275:                             ;   in Loop: Header=BB261_1075 Depth=1
	v_mov_b32_e32 v2, 0x8000
	s_mov_b32 s20, exec_lo
	v_cmpx_ne_u16_e32 0x80, v3
	s_cbranch_execz .LBB261_1281
; %bb.1276:                             ;   in Loop: Header=BB261_1075 Depth=1
	v_and_b32_e32 v6, 0x7f, v48
	v_mov_b32_e32 v2, 0x7c01
	s_mov_b32 s21, exec_lo
	s_delay_alu instid0(VALU_DEP_2)
	v_cmpx_ne_u32_e32 0x7f, v6
	s_cbranch_execz .LBB261_1280
; %bb.1277:                             ;   in Loop: Header=BB261_1075 Depth=1
	v_dual_lshrrev_b32 v3, 3, v6 :: v_dual_bitop2_b32 v2, 7, v48 bitop3:0x40
	s_mov_b32 s22, exec_lo
	v_cmpx_gt_u32_e32 8, v6
; %bb.1278:                             ;   in Loop: Header=BB261_1075 Depth=1
	s_delay_alu instid0(VALU_DEP_2) | instskip(NEXT) | instid1(VALU_DEP_1)
	v_clz_i32_u32_e32 v2, v2
	v_min_u32_e32 v6, 32, v2
	s_delay_alu instid0(VALU_DEP_1) | instskip(NEXT) | instid1(VALU_DEP_1)
	v_subrev_nc_u32_e32 v2, 28, v6
	v_lshlrev_b64_e32 v[2:3], v2, v[48:49]
	v_sub_nc_u32_e32 v3, 29, v6
	s_delay_alu instid0(VALU_DEP_2)
	v_and_b32_e32 v2, 7, v2
; %bb.1279:                             ;   in Loop: Header=BB261_1075 Depth=1
	s_or_b32 exec_lo, exec_lo, s22
	s_delay_alu instid0(VALU_DEP_1) | instskip(NEXT) | instid1(VALU_DEP_3)
	v_dual_lshlrev_b32 v6, 8, v48 :: v_dual_lshlrev_b32 v2, 7, v2
	v_lshl_add_u32 v3, v3, 10, 0x2000
	s_delay_alu instid0(VALU_DEP_2) | instskip(NEXT) | instid1(VALU_DEP_2)
	v_and_b32_e32 v6, 0x8000, v6
	v_and_b32_e32 v3, 0xfc00, v3
	s_delay_alu instid0(VALU_DEP_1)
	v_or3_b32 v2, v6, v3, v2
.LBB261_1280:                           ;   in Loop: Header=BB261_1075 Depth=1
	s_or_b32 exec_lo, exec_lo, s21
.LBB261_1281:                           ;   in Loop: Header=BB261_1075 Depth=1
	s_delay_alu instid0(SALU_CYCLE_1)
	s_or_b32 exec_lo, exec_lo, s20
.LBB261_1282:                           ;   in Loop: Header=BB261_1075 Depth=1
	s_delay_alu instid0(SALU_CYCLE_1) | instskip(SKIP_2) | instid1(VALU_DEP_1)
	s_or_b32 exec_lo, exec_lo, s19
	v_lshrrev_b16 v6, 8, v48
	s_mov_b32 s19, exec_lo
	v_cmpx_ne_u16_e32 0, v6
	s_cbranch_execz .LBB261_1290
; %bb.1283:                             ;   in Loop: Header=BB261_1075 Depth=1
	v_bfrev_b32_e32 v1, 1
	s_mov_b32 s20, exec_lo
	v_cmpx_ne_u16_e32 0x80, v6
	s_cbranch_execz .LBB261_1289
; %bb.1284:                             ;   in Loop: Header=BB261_1075 Depth=1
	v_and_b32_e32 v3, 0xffff, v6
	v_mov_b32_e32 v1, 0x7c010000
	s_mov_b32 s21, exec_lo
	s_delay_alu instid0(VALU_DEP_2) | instskip(NEXT) | instid1(VALU_DEP_1)
	v_and_b32_e32 v18, 0x7f, v3
	v_cmpx_ne_u32_e32 0x7f, v18
	s_cbranch_execz .LBB261_1288
; %bb.1285:                             ;   in Loop: Header=BB261_1075 Depth=1
	v_dual_lshrrev_b32 v9, 3, v18 :: v_dual_bitop2_b32 v1, 7, v3 bitop3:0x40
	s_mov_b32 s22, exec_lo
	v_cmpx_gt_u32_e32 8, v18
; %bb.1286:                             ;   in Loop: Header=BB261_1075 Depth=1
	s_delay_alu instid0(VALU_DEP_2) | instskip(NEXT) | instid1(VALU_DEP_1)
	v_clz_i32_u32_e32 v1, v1
	v_min_u32_e32 v1, 32, v1
	s_delay_alu instid0(VALU_DEP_1) | instskip(NEXT) | instid1(VALU_DEP_1)
	v_subrev_nc_u32_e32 v9, 28, v1
	v_lshlrev_b64_e32 v[18:19], v9, v[6:7]
	s_delay_alu instid0(VALU_DEP_1)
	v_dual_sub_nc_u32 v9, 29, v1 :: v_dual_bitop2_b32 v1, 7, v18 bitop3:0x40
; %bb.1287:                             ;   in Loop: Header=BB261_1075 Depth=1
	s_or_b32 exec_lo, exec_lo, s22
	s_delay_alu instid0(VALU_DEP_1) | instskip(NEXT) | instid1(VALU_DEP_2)
	v_dual_lshlrev_b32 v3, 8, v3 :: v_dual_lshlrev_b32 v1, 23, v1
	v_lshl_add_u32 v6, v9, 10, 0x2000
	s_delay_alu instid0(VALU_DEP_1) | instskip(NEXT) | instid1(VALU_DEP_1)
	v_and_or_b32 v3, 0x8000, v3, v6
	v_lshl_or_b32 v1, v3, 16, v1
.LBB261_1288:                           ;   in Loop: Header=BB261_1075 Depth=1
	s_or_b32 exec_lo, exec_lo, s21
.LBB261_1289:                           ;   in Loop: Header=BB261_1075 Depth=1
	s_delay_alu instid0(SALU_CYCLE_1)
	s_or_b32 exec_lo, exec_lo, s20
.LBB261_1290:                           ;   in Loop: Header=BB261_1075 Depth=1
	s_delay_alu instid0(SALU_CYCLE_1) | instskip(SKIP_3) | instid1(VALU_DEP_2)
	s_or_b32 exec_lo, exec_lo, s19
	v_dual_mov_b32 v3, 0 :: v_dual_lshrrev_b32 v6, 16, v48
	v_mov_b32_e32 v9, 0
	s_mov_b32 s19, exec_lo
	v_and_b32_e32 v18, 0xff, v6
	s_delay_alu instid0(VALU_DEP_1)
	v_cmpx_ne_u16_e32 0, v18
	s_cbranch_execz .LBB261_1298
; %bb.1291:                             ;   in Loop: Header=BB261_1075 Depth=1
	v_mov_b32_e32 v9, 0x8000
	s_mov_b32 s20, exec_lo
	v_cmpx_ne_u16_e32 0x80, v18
	s_cbranch_execz .LBB261_1297
; %bb.1292:                             ;   in Loop: Header=BB261_1075 Depth=1
	v_bfe_u32 v19, v48, 16, 7
	v_mov_b32_e32 v9, 0x7c01
	s_mov_b32 s21, exec_lo
	s_delay_alu instid0(VALU_DEP_2)
	v_cmpx_ne_u32_e32 0x7f, v19
	s_cbranch_execz .LBB261_1296
; %bb.1293:                             ;   in Loop: Header=BB261_1075 Depth=1
	v_dual_lshrrev_b32 v18, 3, v19 :: v_dual_bitop2_b32 v9, 7, v6 bitop3:0x40
	s_mov_b32 s22, exec_lo
	v_cmpx_gt_u32_e32 8, v19
; %bb.1294:                             ;   in Loop: Header=BB261_1075 Depth=1
	s_delay_alu instid0(VALU_DEP_2) | instskip(NEXT) | instid1(VALU_DEP_1)
	v_clz_i32_u32_e32 v9, v9
	v_min_u32_e32 v9, 32, v9
	s_delay_alu instid0(VALU_DEP_1) | instskip(NEXT) | instid1(VALU_DEP_1)
	v_subrev_nc_u32_e32 v18, 28, v9
	v_lshlrev_b64_e32 v[50:51], v18, v[6:7]
	s_delay_alu instid0(VALU_DEP_1)
	v_dual_sub_nc_u32 v18, 29, v9 :: v_dual_bitop2_b32 v9, 7, v50 bitop3:0x40
; %bb.1295:                             ;   in Loop: Header=BB261_1075 Depth=1
	s_or_b32 exec_lo, exec_lo, s22
	s_delay_alu instid0(VALU_DEP_1) | instskip(NEXT) | instid1(VALU_DEP_2)
	v_dual_lshlrev_b32 v6, 8, v6 :: v_dual_lshlrev_b32 v9, 7, v9
	v_lshl_add_u32 v18, v18, 10, 0x2000
	s_delay_alu instid0(VALU_DEP_2) | instskip(NEXT) | instid1(VALU_DEP_2)
	v_and_b32_e32 v6, 0x8000, v6
	v_and_b32_e32 v18, 0xfc00, v18
	s_delay_alu instid0(VALU_DEP_1)
	v_or3_b32 v9, v6, v18, v9
.LBB261_1296:                           ;   in Loop: Header=BB261_1075 Depth=1
	s_or_b32 exec_lo, exec_lo, s21
.LBB261_1297:                           ;   in Loop: Header=BB261_1075 Depth=1
	s_delay_alu instid0(SALU_CYCLE_1)
	s_or_b32 exec_lo, exec_lo, s20
.LBB261_1298:                           ;   in Loop: Header=BB261_1075 Depth=1
	s_delay_alu instid0(SALU_CYCLE_1) | instskip(NEXT) | instid1(SALU_CYCLE_1)
	s_or_b32 exec_lo, exec_lo, s19
	s_mov_b32 s19, exec_lo
	v_cmpx_lt_u32_e32 0xffffff, v48
	s_cbranch_execz .LBB261_1306
; %bb.1299:                             ;   in Loop: Header=BB261_1075 Depth=1
	v_lshrrev_b32_e32 v6, 24, v48
	v_bfrev_b32_e32 v3, 1
	s_mov_b32 s20, exec_lo
	s_delay_alu instid0(VALU_DEP_2)
	v_cmpx_ne_u32_e32 0x80, v6
	s_cbranch_execz .LBB261_1305
; %bb.1300:                             ;   in Loop: Header=BB261_1075 Depth=1
	v_and_b32_e32 v19, 0x7f, v6
	v_mov_b32_e32 v3, 0x7c010000
	s_mov_b32 s21, exec_lo
	s_delay_alu instid0(VALU_DEP_2)
	v_cmpx_ne_u32_e32 0x7f, v19
	s_cbranch_execz .LBB261_1304
; %bb.1301:                             ;   in Loop: Header=BB261_1075 Depth=1
	v_dual_lshrrev_b32 v18, 3, v19 :: v_dual_bitop2_b32 v3, 7, v6 bitop3:0x40
	s_mov_b32 s22, exec_lo
	v_cmpx_gt_u32_e32 8, v19
; %bb.1302:                             ;   in Loop: Header=BB261_1075 Depth=1
	s_delay_alu instid0(VALU_DEP_2) | instskip(NEXT) | instid1(VALU_DEP_1)
	v_clz_i32_u32_e32 v3, v3
	v_min_u32_e32 v3, 32, v3
	s_delay_alu instid0(VALU_DEP_1) | instskip(NEXT) | instid1(VALU_DEP_1)
	v_subrev_nc_u32_e32 v18, 28, v3
	v_lshlrev_b64_e32 v[50:51], v18, v[6:7]
	s_delay_alu instid0(VALU_DEP_1)
	v_dual_sub_nc_u32 v18, 29, v3 :: v_dual_bitop2_b32 v3, 7, v50 bitop3:0x40
; %bb.1303:                             ;   in Loop: Header=BB261_1075 Depth=1
	s_or_b32 exec_lo, exec_lo, s22
	s_delay_alu instid0(VALU_DEP_1) | instskip(NEXT) | instid1(VALU_DEP_2)
	v_dual_lshlrev_b32 v6, 8, v6 :: v_dual_lshlrev_b32 v3, 23, v3
	v_lshl_add_u32 v18, v18, 10, 0x2000
	s_delay_alu instid0(VALU_DEP_1) | instskip(NEXT) | instid1(VALU_DEP_1)
	v_and_or_b32 v6, 0x8000, v6, v18
	v_lshl_or_b32 v3, v6, 16, v3
.LBB261_1304:                           ;   in Loop: Header=BB261_1075 Depth=1
	s_or_b32 exec_lo, exec_lo, s21
.LBB261_1305:                           ;   in Loop: Header=BB261_1075 Depth=1
	s_delay_alu instid0(SALU_CYCLE_1)
	s_or_b32 exec_lo, exec_lo, s20
.LBB261_1306:                           ;   in Loop: Header=BB261_1075 Depth=1
	s_delay_alu instid0(SALU_CYCLE_1) | instskip(SKIP_4) | instid1(VALU_DEP_3)
	s_or_b32 exec_lo, exec_lo, s19
	v_and_b32_e32 v29, 0xff, v49
	v_dual_mov_b32 v6, v49 :: v_dual_mov_b32 v19, 0
	v_mov_b32_e32 v18, 0
	s_mov_b32 s19, exec_lo
	v_cmpx_ne_u16_e32 0, v29
	s_cbranch_execz .LBB261_1314
; %bb.1307:                             ;   in Loop: Header=BB261_1075 Depth=1
	v_mov_b32_e32 v18, 0x8000
	s_mov_b32 s20, exec_lo
	v_cmpx_ne_u16_e32 0x80, v29
	s_cbranch_execz .LBB261_1313
; %bb.1308:                             ;   in Loop: Header=BB261_1075 Depth=1
	v_and_b32_e32 v50, 0x7f, v49
	v_mov_b32_e32 v18, 0x7c01
	s_mov_b32 s21, exec_lo
	s_delay_alu instid0(VALU_DEP_2)
	v_cmpx_ne_u32_e32 0x7f, v50
	s_cbranch_execz .LBB261_1312
; %bb.1309:                             ;   in Loop: Header=BB261_1075 Depth=1
	v_dual_lshrrev_b32 v29, 3, v50 :: v_dual_bitop2_b32 v18, 7, v49 bitop3:0x40
	s_mov_b32 s22, exec_lo
	v_cmpx_gt_u32_e32 8, v50
; %bb.1310:                             ;   in Loop: Header=BB261_1075 Depth=1
	s_delay_alu instid0(VALU_DEP_2) | instskip(NEXT) | instid1(VALU_DEP_1)
	v_clz_i32_u32_e32 v18, v18
	v_min_u32_e32 v18, 32, v18
	s_delay_alu instid0(VALU_DEP_1) | instskip(NEXT) | instid1(VALU_DEP_1)
	v_subrev_nc_u32_e32 v29, 28, v18
	v_lshlrev_b64_e32 v[50:51], v29, v[6:7]
	v_sub_nc_u32_e32 v29, 29, v18
	s_delay_alu instid0(VALU_DEP_2)
	v_and_b32_e32 v18, 7, v50
; %bb.1311:                             ;   in Loop: Header=BB261_1075 Depth=1
	s_or_b32 exec_lo, exec_lo, s22
	s_delay_alu instid0(VALU_DEP_1) | instskip(NEXT) | instid1(VALU_DEP_3)
	v_dual_lshlrev_b32 v50, 8, v49 :: v_dual_lshlrev_b32 v18, 7, v18
	v_lshl_add_u32 v29, v29, 10, 0x2000
	s_delay_alu instid0(VALU_DEP_2) | instskip(NEXT) | instid1(VALU_DEP_2)
	v_and_b32_e32 v50, 0x8000, v50
	v_and_b32_e32 v29, 0xfc00, v29
	s_delay_alu instid0(VALU_DEP_1)
	v_or3_b32 v18, v50, v29, v18
.LBB261_1312:                           ;   in Loop: Header=BB261_1075 Depth=1
	s_or_b32 exec_lo, exec_lo, s21
.LBB261_1313:                           ;   in Loop: Header=BB261_1075 Depth=1
	s_delay_alu instid0(SALU_CYCLE_1)
	s_or_b32 exec_lo, exec_lo, s20
.LBB261_1314:                           ;   in Loop: Header=BB261_1075 Depth=1
	s_delay_alu instid0(SALU_CYCLE_1) | instskip(SKIP_3) | instid1(VALU_DEP_2)
	s_or_b32 exec_lo, exec_lo, s19
	v_lshrrev_b16 v6, 8, v6
	v_mov_b32_e32 v29, 0
	s_mov_b32 s19, exec_lo
	v_cmpx_ne_u16_e32 0, v6
	s_cbranch_execz .LBB261_1322
; %bb.1315:                             ;   in Loop: Header=BB261_1075 Depth=1
	v_bfrev_b32_e32 v29, 1
	s_mov_b32 s20, exec_lo
	v_cmpx_ne_u16_e32 0x80, v6
	s_cbranch_execz .LBB261_1321
; %bb.1316:                             ;   in Loop: Header=BB261_1075 Depth=1
	v_and_b32_e32 v50, 0xffff, v6
	v_mov_b32_e32 v29, 0x7c010000
	s_mov_b32 s21, exec_lo
	s_delay_alu instid0(VALU_DEP_2) | instskip(NEXT) | instid1(VALU_DEP_1)
	v_and_b32_e32 v52, 0x7f, v50
	v_cmpx_ne_u32_e32 0x7f, v52
	s_cbranch_execz .LBB261_1320
; %bb.1317:                             ;   in Loop: Header=BB261_1075 Depth=1
	v_dual_lshrrev_b32 v51, 3, v52 :: v_dual_bitop2_b32 v29, 7, v50 bitop3:0x40
	s_mov_b32 s22, exec_lo
	v_cmpx_gt_u32_e32 8, v52
; %bb.1318:                             ;   in Loop: Header=BB261_1075 Depth=1
	s_delay_alu instid0(VALU_DEP_2) | instskip(NEXT) | instid1(VALU_DEP_1)
	v_clz_i32_u32_e32 v29, v29
	v_min_u32_e32 v29, 32, v29
	s_delay_alu instid0(VALU_DEP_1) | instskip(NEXT) | instid1(VALU_DEP_1)
	v_subrev_nc_u32_e32 v51, 28, v29
	v_lshlrev_b64_e32 v[52:53], v51, v[6:7]
	s_delay_alu instid0(VALU_DEP_1)
	v_dual_sub_nc_u32 v51, 29, v29 :: v_dual_bitop2_b32 v29, 7, v52 bitop3:0x40
; %bb.1319:                             ;   in Loop: Header=BB261_1075 Depth=1
	s_or_b32 exec_lo, exec_lo, s22
	s_delay_alu instid0(VALU_DEP_1) | instskip(NEXT) | instid1(VALU_DEP_2)
	v_dual_lshlrev_b32 v6, 8, v50 :: v_dual_lshlrev_b32 v29, 23, v29
	v_lshl_add_u32 v50, v51, 10, 0x2000
	s_delay_alu instid0(VALU_DEP_1) | instskip(NEXT) | instid1(VALU_DEP_1)
	v_and_or_b32 v6, 0x8000, v6, v50
	v_lshl_or_b32 v29, v6, 16, v29
.LBB261_1320:                           ;   in Loop: Header=BB261_1075 Depth=1
	s_or_b32 exec_lo, exec_lo, s21
.LBB261_1321:                           ;   in Loop: Header=BB261_1075 Depth=1
	s_delay_alu instid0(SALU_CYCLE_1)
	s_or_b32 exec_lo, exec_lo, s20
.LBB261_1322:                           ;   in Loop: Header=BB261_1075 Depth=1
	s_delay_alu instid0(SALU_CYCLE_1) | instskip(SKIP_2) | instid1(VALU_DEP_1)
	s_or_b32 exec_lo, exec_lo, s19
	v_lshrrev_b32_e32 v6, 16, v49
	s_mov_b32 s19, exec_lo
	v_and_b32_e32 v50, 0xff, v6
	s_delay_alu instid0(VALU_DEP_1)
	v_cmpx_ne_u16_e32 0, v50
	s_cbranch_execz .LBB261_1330
; %bb.1323:                             ;   in Loop: Header=BB261_1075 Depth=1
	v_mov_b32_e32 v19, 0x8000
	s_mov_b32 s20, exec_lo
	v_cmpx_ne_u16_e32 0x80, v50
	s_cbranch_execz .LBB261_1329
; %bb.1324:                             ;   in Loop: Header=BB261_1075 Depth=1
	v_bfe_u32 v51, v49, 16, 7
	v_mov_b32_e32 v19, 0x7c01
	s_mov_b32 s21, exec_lo
	s_delay_alu instid0(VALU_DEP_2)
	v_cmpx_ne_u32_e32 0x7f, v51
	s_cbranch_execz .LBB261_1328
; %bb.1325:                             ;   in Loop: Header=BB261_1075 Depth=1
	v_dual_lshrrev_b32 v50, 3, v51 :: v_dual_bitop2_b32 v19, 7, v6 bitop3:0x40
	s_mov_b32 s22, exec_lo
	v_cmpx_gt_u32_e32 8, v51
; %bb.1326:                             ;   in Loop: Header=BB261_1075 Depth=1
	s_delay_alu instid0(VALU_DEP_2) | instskip(NEXT) | instid1(VALU_DEP_1)
	v_clz_i32_u32_e32 v19, v19
	v_min_u32_e32 v19, 32, v19
	s_delay_alu instid0(VALU_DEP_1) | instskip(NEXT) | instid1(VALU_DEP_1)
	v_subrev_nc_u32_e32 v50, 28, v19
	v_lshlrev_b64_e32 v[52:53], v50, v[6:7]
	s_delay_alu instid0(VALU_DEP_1)
	v_dual_sub_nc_u32 v50, 29, v19 :: v_dual_bitop2_b32 v19, 7, v52 bitop3:0x40
; %bb.1327:                             ;   in Loop: Header=BB261_1075 Depth=1
	s_or_b32 exec_lo, exec_lo, s22
	s_delay_alu instid0(VALU_DEP_1) | instskip(NEXT) | instid1(VALU_DEP_2)
	v_dual_lshlrev_b32 v6, 8, v6 :: v_dual_lshlrev_b32 v19, 7, v19
	v_lshl_add_u32 v50, v50, 10, 0x2000
	s_delay_alu instid0(VALU_DEP_2) | instskip(NEXT) | instid1(VALU_DEP_2)
	v_and_b32_e32 v6, 0x8000, v6
	v_and_b32_e32 v50, 0xfc00, v50
	s_delay_alu instid0(VALU_DEP_1)
	v_or3_b32 v19, v6, v50, v19
.LBB261_1328:                           ;   in Loop: Header=BB261_1075 Depth=1
	s_or_b32 exec_lo, exec_lo, s21
.LBB261_1329:                           ;   in Loop: Header=BB261_1075 Depth=1
	s_delay_alu instid0(SALU_CYCLE_1)
	s_or_b32 exec_lo, exec_lo, s20
.LBB261_1330:                           ;   in Loop: Header=BB261_1075 Depth=1
	s_delay_alu instid0(SALU_CYCLE_1)
	s_or_b32 exec_lo, exec_lo, s19
	v_cmp_lt_u64_e64 s1, s[2:3], v[48:49]
	v_mov_b32_e32 v48, 0
	s_and_saveexec_b32 s19, s1
	s_cbranch_execz .LBB261_1338
; %bb.1331:                             ;   in Loop: Header=BB261_1075 Depth=1
	v_lshrrev_b32_e32 v6, 24, v49
	v_bfrev_b32_e32 v48, 1
	s_mov_b32 s20, exec_lo
	s_delay_alu instid0(VALU_DEP_2)
	v_cmpx_ne_u32_e32 0x80, v6
	s_cbranch_execz .LBB261_1337
; %bb.1332:                             ;   in Loop: Header=BB261_1075 Depth=1
	v_and_b32_e32 v50, 0x7f, v6
	v_mov_b32_e32 v48, 0x7c010000
	s_mov_b32 s21, exec_lo
	s_delay_alu instid0(VALU_DEP_2)
	v_cmpx_ne_u32_e32 0x7f, v50
	s_cbranch_execz .LBB261_1336
; %bb.1333:                             ;   in Loop: Header=BB261_1075 Depth=1
	v_and_b32_e32 v48, 7, v6
	v_lshrrev_b32_e32 v49, 3, v50
	s_mov_b32 s22, exec_lo
	v_cmpx_gt_u32_e32 8, v50
; %bb.1334:                             ;   in Loop: Header=BB261_1075 Depth=1
	s_delay_alu instid0(VALU_DEP_3) | instskip(NEXT) | instid1(VALU_DEP_1)
	v_clz_i32_u32_e32 v48, v48
	v_min_u32_e32 v50, 32, v48
	s_delay_alu instid0(VALU_DEP_1) | instskip(NEXT) | instid1(VALU_DEP_1)
	v_subrev_nc_u32_e32 v48, 28, v50
	v_lshlrev_b64_e32 v[48:49], v48, v[6:7]
	s_delay_alu instid0(VALU_DEP_1)
	v_dual_sub_nc_u32 v49, 29, v50 :: v_dual_bitop2_b32 v48, 7, v48 bitop3:0x40
; %bb.1335:                             ;   in Loop: Header=BB261_1075 Depth=1
	s_or_b32 exec_lo, exec_lo, s22
	s_delay_alu instid0(VALU_DEP_1) | instskip(NEXT) | instid1(VALU_DEP_2)
	v_dual_lshlrev_b32 v6, 8, v6 :: v_dual_lshlrev_b32 v48, 23, v48
	v_lshl_add_u32 v49, v49, 10, 0x2000
	s_delay_alu instid0(VALU_DEP_1) | instskip(NEXT) | instid1(VALU_DEP_1)
	v_and_or_b32 v6, 0x8000, v6, v49
	v_lshl_or_b32 v48, v6, 16, v48
.LBB261_1336:                           ;   in Loop: Header=BB261_1075 Depth=1
	s_or_b32 exec_lo, exec_lo, s21
.LBB261_1337:                           ;   in Loop: Header=BB261_1075 Depth=1
	s_delay_alu instid0(SALU_CYCLE_1)
	s_or_b32 exec_lo, exec_lo, s20
.LBB261_1338:                           ;   in Loop: Header=BB261_1075 Depth=1
	s_delay_alu instid0(SALU_CYCLE_1) | instskip(SKIP_3) | instid1(VALU_DEP_3)
	s_or_b32 exec_lo, exec_lo, s19
	v_dual_lshrrev_b32 v6, 16, v1 :: v_dual_lshrrev_b32 v49, 16, v3
	v_dual_lshrrev_b32 v50, 16, v48 :: v_dual_bitop2_b32 v9, v3, v9 bitop3:0x54
	v_or_b32_e32 v1, v1, v2
	v_cvt_f32_f16_e32 v3, v6
	s_delay_alu instid0(VALU_DEP_4)
	v_cvt_f32_f16_e32 v2, v49
	v_dual_lshrrev_b32 v19, 16, v29 :: v_dual_bitop2_b32 v6, v48, v19 bitop3:0x54
	v_cvt_f32_f16_e32 v48, v9
	v_or_b32_e32 v9, v29, v18
	s_wait_loadcnt_dscnt 0x0
	v_pk_mul_f32 v[2:3], v[28:29], v[2:3] op_sel_hi:[0,1]
	v_cvt_f32_f16_e32 v49, v1
	v_cvt_f32_f16_e32 v19, v19
	;; [unrolled: 1-line block ×5, first 2 shown]
	v_pk_mul_f32 v[48:49], v[28:29], v[48:49] op_sel_hi:[0,1]
	v_cvt_pk_f16_f32 v1, v2, v3
	v_pk_mul_f32 v[2:3], v[28:29], v[18:19] op_sel_hi:[0,1]
	s_delay_alu instid0(VALU_DEP_4) | instskip(NEXT) | instid1(VALU_DEP_4)
	v_pk_mul_f32 v[18:19], v[28:29], v[50:51] op_sel_hi:[0,1]
	v_cvt_pk_f16_f32 v6, v48, v49
	s_delay_alu instid0(VALU_DEP_4) | instskip(NEXT) | instid1(VALU_DEP_4)
	v_and_b32_e32 v29, 0xffff0000, v1
	v_cvt_pk_f16_f32 v2, v2, v3
	v_lshlrev_b32_e32 v48, 16, v1
	v_cvt_pk_f16_f32 v1, v18, v19
	v_and_b32_e32 v54, 0xffff, v6
	s_delay_alu instid0(VALU_DEP_4) | instskip(NEXT) | instid1(VALU_DEP_3)
	v_and_b32_e32 v9, 0xffff0000, v2
	v_dual_lshrrev_b32 v19, 16, v1 :: v_dual_lshrrev_b32 v53, 16, v6
	v_and_b32_e32 v28, 0xffff, v1
	s_delay_alu instid0(VALU_DEP_4) | instskip(NEXT) | instid1(VALU_DEP_3)
	v_or_b32_e32 v52, v48, v54
	v_dual_lshlrev_b32 v6, 16, v2 :: v_dual_bitop2_b32 v49, v9, v19 bitop3:0x54
	s_delay_alu instid0(VALU_DEP_4) | instskip(NEXT) | instid1(VALU_DEP_2)
	v_or_b32_e32 v51, v29, v53
	v_or_b32_e32 v50, v6, v28
	s_and_saveexec_b32 s19, vcc_lo
	s_cbranch_execz .LBB261_1340
; %bb.1339:                             ;   in Loop: Header=BB261_1075 Depth=1
	v_cmp_lt_i32_e64 s1, v87, v13
	s_delay_alu instid0(VALU_DEP_1) | instskip(SKIP_1) | instid1(VALU_DEP_1)
	v_cndmask_b32_e64 v1, 0, v53, s1
	v_cmp_lt_i32_e64 s1, v102, v12
	v_cndmask_b32_e64 v2, 0, v54, s1
	v_cmp_lt_i32_e64 s1, v101, v13
	s_delay_alu instid0(VALU_DEP_1) | instskip(SKIP_1) | instid1(VALU_DEP_1)
	v_cndmask_b32_e64 v3, 0, v29, s1
	v_cmp_lt_i32_e64 s1, v100, v12
	v_cndmask_b32_e64 v18, 0, v48, s1
	v_cmp_lt_i32_e64 s1, v99, v13
	s_delay_alu instid0(VALU_DEP_4) | instskip(NEXT) | instid1(VALU_DEP_2)
	v_or_b32_e32 v51, v1, v3
	v_dual_cndmask_b32 v19, 0, v19, s1 :: v_dual_bitop2_b32 v52, v2, v18 bitop3:0x54
	v_cmp_lt_i32_e64 s1, v98, v12
	s_delay_alu instid0(VALU_DEP_1) | instskip(SKIP_1) | instid1(VALU_DEP_1)
	v_cndmask_b32_e64 v28, 0, v28, s1
	v_cmp_lt_i32_e64 s1, v97, v13
	v_cndmask_b32_e64 v9, 0, v9, s1
	v_cmp_lt_i32_e64 s1, v96, v12
	s_delay_alu instid0(VALU_DEP_1) | instskip(NEXT) | instid1(VALU_DEP_1)
	v_dual_cndmask_b32 v6, 0, v6, s1 :: v_dual_bitop2_b32 v49, v19, v9 bitop3:0x54
	v_or_b32_e32 v50, v28, v6
.LBB261_1340:                           ;   in Loop: Header=BB261_1075 Depth=1
	s_or_b32 exec_lo, exec_lo, s19
	;;#ASMSTART
	v_pk_mul_f16 v1, v67, v51;

	;;#ASMEND
	;;#ASMSTART
	v_pk_mul_f16 v2, v65, v52;

	;;#ASMEND
	;; [unrolled: 4-line block ×4, first 2 shown]
	;;#ASMSTART
	v_pk_add_f16 v1, v1, v2;

	;;#ASMEND
	;;#ASMSTART
	v_pk_add_f16 v1, v1, v3;

	;;#ASMEND
	;; [unrolled: 4-line block ×3, first 2 shown]
	v_and_b32_e32 v2, 0xffff, v1
	v_lshrrev_b32_e32 v1, 16, v1
	;;#ASMSTART
	v_cvt_f32_f16 v112, v2;
	;;#ASMEND
	;;#ASMSTART
	v_cvt_f32_f16 v113, v1;
	;;#ASMEND
	flat_load_b64 v[48:49], v[26:27] offset:1024
	scratch_load_b64 v[2:3], off, s32 offset:192 ; 8-byte Folded Reload
	v_mov_b32_e32 v1, 0
	s_mov_b32 s19, exec_lo
	s_wait_loadcnt 0x0
	flat_load_b32 v28, v[2:3]
	s_wait_dscnt 0x1
	s_wait_xcnt 0x0
	v_and_b32_e32 v3, 0xff, v48
	v_mov_b32_e32 v2, 0
	s_delay_alu instid0(VALU_DEP_2)
	v_cmpx_ne_u16_e32 0, v3
	s_cbranch_execz .LBB261_1348
; %bb.1341:                             ;   in Loop: Header=BB261_1075 Depth=1
	v_mov_b32_e32 v2, 0x8000
	s_mov_b32 s20, exec_lo
	v_cmpx_ne_u16_e32 0x80, v3
	s_cbranch_execz .LBB261_1347
; %bb.1342:                             ;   in Loop: Header=BB261_1075 Depth=1
	v_and_b32_e32 v6, 0x7f, v48
	v_mov_b32_e32 v2, 0x7c01
	s_mov_b32 s21, exec_lo
	s_delay_alu instid0(VALU_DEP_2)
	v_cmpx_ne_u32_e32 0x7f, v6
	s_cbranch_execz .LBB261_1346
; %bb.1343:                             ;   in Loop: Header=BB261_1075 Depth=1
	v_dual_lshrrev_b32 v3, 3, v6 :: v_dual_bitop2_b32 v2, 7, v48 bitop3:0x40
	s_mov_b32 s22, exec_lo
	v_cmpx_gt_u32_e32 8, v6
; %bb.1344:                             ;   in Loop: Header=BB261_1075 Depth=1
	s_delay_alu instid0(VALU_DEP_2) | instskip(NEXT) | instid1(VALU_DEP_1)
	v_clz_i32_u32_e32 v2, v2
	v_min_u32_e32 v6, 32, v2
	s_delay_alu instid0(VALU_DEP_1) | instskip(NEXT) | instid1(VALU_DEP_1)
	v_subrev_nc_u32_e32 v2, 28, v6
	v_lshlrev_b64_e32 v[2:3], v2, v[48:49]
	v_sub_nc_u32_e32 v3, 29, v6
	s_delay_alu instid0(VALU_DEP_2)
	v_and_b32_e32 v2, 7, v2
; %bb.1345:                             ;   in Loop: Header=BB261_1075 Depth=1
	s_or_b32 exec_lo, exec_lo, s22
	s_delay_alu instid0(VALU_DEP_1) | instskip(NEXT) | instid1(VALU_DEP_3)
	v_dual_lshlrev_b32 v6, 8, v48 :: v_dual_lshlrev_b32 v2, 7, v2
	v_lshl_add_u32 v3, v3, 10, 0x2000
	s_delay_alu instid0(VALU_DEP_2) | instskip(NEXT) | instid1(VALU_DEP_2)
	v_and_b32_e32 v6, 0x8000, v6
	v_and_b32_e32 v3, 0xfc00, v3
	s_delay_alu instid0(VALU_DEP_1)
	v_or3_b32 v2, v6, v3, v2
.LBB261_1346:                           ;   in Loop: Header=BB261_1075 Depth=1
	s_or_b32 exec_lo, exec_lo, s21
.LBB261_1347:                           ;   in Loop: Header=BB261_1075 Depth=1
	s_delay_alu instid0(SALU_CYCLE_1)
	s_or_b32 exec_lo, exec_lo, s20
.LBB261_1348:                           ;   in Loop: Header=BB261_1075 Depth=1
	s_delay_alu instid0(SALU_CYCLE_1) | instskip(SKIP_2) | instid1(VALU_DEP_1)
	s_or_b32 exec_lo, exec_lo, s19
	v_lshrrev_b16 v6, 8, v48
	s_mov_b32 s19, exec_lo
	v_cmpx_ne_u16_e32 0, v6
	s_cbranch_execz .LBB261_1356
; %bb.1349:                             ;   in Loop: Header=BB261_1075 Depth=1
	v_bfrev_b32_e32 v1, 1
	s_mov_b32 s20, exec_lo
	v_cmpx_ne_u16_e32 0x80, v6
	s_cbranch_execz .LBB261_1355
; %bb.1350:                             ;   in Loop: Header=BB261_1075 Depth=1
	v_and_b32_e32 v3, 0xffff, v6
	v_mov_b32_e32 v1, 0x7c010000
	s_mov_b32 s21, exec_lo
	s_delay_alu instid0(VALU_DEP_2) | instskip(NEXT) | instid1(VALU_DEP_1)
	v_and_b32_e32 v18, 0x7f, v3
	v_cmpx_ne_u32_e32 0x7f, v18
	s_cbranch_execz .LBB261_1354
; %bb.1351:                             ;   in Loop: Header=BB261_1075 Depth=1
	v_dual_lshrrev_b32 v9, 3, v18 :: v_dual_bitop2_b32 v1, 7, v3 bitop3:0x40
	s_mov_b32 s22, exec_lo
	v_cmpx_gt_u32_e32 8, v18
; %bb.1352:                             ;   in Loop: Header=BB261_1075 Depth=1
	s_delay_alu instid0(VALU_DEP_2) | instskip(NEXT) | instid1(VALU_DEP_1)
	v_clz_i32_u32_e32 v1, v1
	v_min_u32_e32 v1, 32, v1
	s_delay_alu instid0(VALU_DEP_1) | instskip(NEXT) | instid1(VALU_DEP_1)
	v_subrev_nc_u32_e32 v9, 28, v1
	v_lshlrev_b64_e32 v[18:19], v9, v[6:7]
	s_delay_alu instid0(VALU_DEP_1)
	v_dual_sub_nc_u32 v9, 29, v1 :: v_dual_bitop2_b32 v1, 7, v18 bitop3:0x40
; %bb.1353:                             ;   in Loop: Header=BB261_1075 Depth=1
	s_or_b32 exec_lo, exec_lo, s22
	s_delay_alu instid0(VALU_DEP_1) | instskip(NEXT) | instid1(VALU_DEP_2)
	v_dual_lshlrev_b32 v3, 8, v3 :: v_dual_lshlrev_b32 v1, 23, v1
	v_lshl_add_u32 v6, v9, 10, 0x2000
	s_delay_alu instid0(VALU_DEP_1) | instskip(NEXT) | instid1(VALU_DEP_1)
	v_and_or_b32 v3, 0x8000, v3, v6
	v_lshl_or_b32 v1, v3, 16, v1
.LBB261_1354:                           ;   in Loop: Header=BB261_1075 Depth=1
	s_or_b32 exec_lo, exec_lo, s21
.LBB261_1355:                           ;   in Loop: Header=BB261_1075 Depth=1
	s_delay_alu instid0(SALU_CYCLE_1)
	s_or_b32 exec_lo, exec_lo, s20
.LBB261_1356:                           ;   in Loop: Header=BB261_1075 Depth=1
	s_delay_alu instid0(SALU_CYCLE_1) | instskip(SKIP_3) | instid1(VALU_DEP_2)
	s_or_b32 exec_lo, exec_lo, s19
	v_dual_mov_b32 v3, 0 :: v_dual_lshrrev_b32 v6, 16, v48
	v_mov_b32_e32 v9, 0
	s_mov_b32 s19, exec_lo
	v_and_b32_e32 v18, 0xff, v6
	s_delay_alu instid0(VALU_DEP_1)
	v_cmpx_ne_u16_e32 0, v18
	s_cbranch_execz .LBB261_1364
; %bb.1357:                             ;   in Loop: Header=BB261_1075 Depth=1
	v_mov_b32_e32 v9, 0x8000
	s_mov_b32 s20, exec_lo
	v_cmpx_ne_u16_e32 0x80, v18
	s_cbranch_execz .LBB261_1363
; %bb.1358:                             ;   in Loop: Header=BB261_1075 Depth=1
	v_bfe_u32 v19, v48, 16, 7
	v_mov_b32_e32 v9, 0x7c01
	s_mov_b32 s21, exec_lo
	s_delay_alu instid0(VALU_DEP_2)
	v_cmpx_ne_u32_e32 0x7f, v19
	s_cbranch_execz .LBB261_1362
; %bb.1359:                             ;   in Loop: Header=BB261_1075 Depth=1
	v_dual_lshrrev_b32 v18, 3, v19 :: v_dual_bitop2_b32 v9, 7, v6 bitop3:0x40
	s_mov_b32 s22, exec_lo
	v_cmpx_gt_u32_e32 8, v19
; %bb.1360:                             ;   in Loop: Header=BB261_1075 Depth=1
	s_delay_alu instid0(VALU_DEP_2) | instskip(NEXT) | instid1(VALU_DEP_1)
	v_clz_i32_u32_e32 v9, v9
	v_min_u32_e32 v9, 32, v9
	s_delay_alu instid0(VALU_DEP_1) | instskip(NEXT) | instid1(VALU_DEP_1)
	v_subrev_nc_u32_e32 v18, 28, v9
	v_lshlrev_b64_e32 v[50:51], v18, v[6:7]
	s_delay_alu instid0(VALU_DEP_1)
	v_dual_sub_nc_u32 v18, 29, v9 :: v_dual_bitop2_b32 v9, 7, v50 bitop3:0x40
; %bb.1361:                             ;   in Loop: Header=BB261_1075 Depth=1
	s_or_b32 exec_lo, exec_lo, s22
	s_delay_alu instid0(VALU_DEP_1) | instskip(NEXT) | instid1(VALU_DEP_2)
	v_dual_lshlrev_b32 v6, 8, v6 :: v_dual_lshlrev_b32 v9, 7, v9
	v_lshl_add_u32 v18, v18, 10, 0x2000
	s_delay_alu instid0(VALU_DEP_2) | instskip(NEXT) | instid1(VALU_DEP_2)
	v_and_b32_e32 v6, 0x8000, v6
	v_and_b32_e32 v18, 0xfc00, v18
	s_delay_alu instid0(VALU_DEP_1)
	v_or3_b32 v9, v6, v18, v9
.LBB261_1362:                           ;   in Loop: Header=BB261_1075 Depth=1
	s_or_b32 exec_lo, exec_lo, s21
.LBB261_1363:                           ;   in Loop: Header=BB261_1075 Depth=1
	s_delay_alu instid0(SALU_CYCLE_1)
	s_or_b32 exec_lo, exec_lo, s20
.LBB261_1364:                           ;   in Loop: Header=BB261_1075 Depth=1
	s_delay_alu instid0(SALU_CYCLE_1) | instskip(NEXT) | instid1(SALU_CYCLE_1)
	s_or_b32 exec_lo, exec_lo, s19
	s_mov_b32 s19, exec_lo
	v_cmpx_lt_u32_e32 0xffffff, v48
	s_cbranch_execz .LBB261_1372
; %bb.1365:                             ;   in Loop: Header=BB261_1075 Depth=1
	v_lshrrev_b32_e32 v6, 24, v48
	v_bfrev_b32_e32 v3, 1
	s_mov_b32 s20, exec_lo
	s_delay_alu instid0(VALU_DEP_2)
	v_cmpx_ne_u32_e32 0x80, v6
	s_cbranch_execz .LBB261_1371
; %bb.1366:                             ;   in Loop: Header=BB261_1075 Depth=1
	v_and_b32_e32 v19, 0x7f, v6
	v_mov_b32_e32 v3, 0x7c010000
	s_mov_b32 s21, exec_lo
	s_delay_alu instid0(VALU_DEP_2)
	v_cmpx_ne_u32_e32 0x7f, v19
	s_cbranch_execz .LBB261_1370
; %bb.1367:                             ;   in Loop: Header=BB261_1075 Depth=1
	v_dual_lshrrev_b32 v18, 3, v19 :: v_dual_bitop2_b32 v3, 7, v6 bitop3:0x40
	s_mov_b32 s22, exec_lo
	v_cmpx_gt_u32_e32 8, v19
; %bb.1368:                             ;   in Loop: Header=BB261_1075 Depth=1
	s_delay_alu instid0(VALU_DEP_2) | instskip(NEXT) | instid1(VALU_DEP_1)
	v_clz_i32_u32_e32 v3, v3
	v_min_u32_e32 v3, 32, v3
	s_delay_alu instid0(VALU_DEP_1) | instskip(NEXT) | instid1(VALU_DEP_1)
	v_subrev_nc_u32_e32 v18, 28, v3
	v_lshlrev_b64_e32 v[50:51], v18, v[6:7]
	s_delay_alu instid0(VALU_DEP_1)
	v_dual_sub_nc_u32 v18, 29, v3 :: v_dual_bitop2_b32 v3, 7, v50 bitop3:0x40
; %bb.1369:                             ;   in Loop: Header=BB261_1075 Depth=1
	s_or_b32 exec_lo, exec_lo, s22
	s_delay_alu instid0(VALU_DEP_1) | instskip(NEXT) | instid1(VALU_DEP_2)
	v_dual_lshlrev_b32 v6, 8, v6 :: v_dual_lshlrev_b32 v3, 23, v3
	v_lshl_add_u32 v18, v18, 10, 0x2000
	s_delay_alu instid0(VALU_DEP_1) | instskip(NEXT) | instid1(VALU_DEP_1)
	v_and_or_b32 v6, 0x8000, v6, v18
	v_lshl_or_b32 v3, v6, 16, v3
.LBB261_1370:                           ;   in Loop: Header=BB261_1075 Depth=1
	s_or_b32 exec_lo, exec_lo, s21
.LBB261_1371:                           ;   in Loop: Header=BB261_1075 Depth=1
	s_delay_alu instid0(SALU_CYCLE_1)
	s_or_b32 exec_lo, exec_lo, s20
.LBB261_1372:                           ;   in Loop: Header=BB261_1075 Depth=1
	s_delay_alu instid0(SALU_CYCLE_1) | instskip(SKIP_4) | instid1(VALU_DEP_3)
	s_or_b32 exec_lo, exec_lo, s19
	v_and_b32_e32 v29, 0xff, v49
	v_dual_mov_b32 v6, v49 :: v_dual_mov_b32 v19, 0
	v_mov_b32_e32 v18, 0
	s_mov_b32 s19, exec_lo
	v_cmpx_ne_u16_e32 0, v29
	s_cbranch_execz .LBB261_1380
; %bb.1373:                             ;   in Loop: Header=BB261_1075 Depth=1
	v_mov_b32_e32 v18, 0x8000
	s_mov_b32 s20, exec_lo
	v_cmpx_ne_u16_e32 0x80, v29
	s_cbranch_execz .LBB261_1379
; %bb.1374:                             ;   in Loop: Header=BB261_1075 Depth=1
	v_and_b32_e32 v50, 0x7f, v49
	v_mov_b32_e32 v18, 0x7c01
	s_mov_b32 s21, exec_lo
	s_delay_alu instid0(VALU_DEP_2)
	v_cmpx_ne_u32_e32 0x7f, v50
	s_cbranch_execz .LBB261_1378
; %bb.1375:                             ;   in Loop: Header=BB261_1075 Depth=1
	v_dual_lshrrev_b32 v29, 3, v50 :: v_dual_bitop2_b32 v18, 7, v49 bitop3:0x40
	s_mov_b32 s22, exec_lo
	v_cmpx_gt_u32_e32 8, v50
; %bb.1376:                             ;   in Loop: Header=BB261_1075 Depth=1
	s_delay_alu instid0(VALU_DEP_2) | instskip(NEXT) | instid1(VALU_DEP_1)
	v_clz_i32_u32_e32 v18, v18
	v_min_u32_e32 v18, 32, v18
	s_delay_alu instid0(VALU_DEP_1) | instskip(NEXT) | instid1(VALU_DEP_1)
	v_subrev_nc_u32_e32 v29, 28, v18
	v_lshlrev_b64_e32 v[50:51], v29, v[6:7]
	v_sub_nc_u32_e32 v29, 29, v18
	s_delay_alu instid0(VALU_DEP_2)
	v_and_b32_e32 v18, 7, v50
; %bb.1377:                             ;   in Loop: Header=BB261_1075 Depth=1
	s_or_b32 exec_lo, exec_lo, s22
	s_delay_alu instid0(VALU_DEP_1) | instskip(NEXT) | instid1(VALU_DEP_3)
	v_dual_lshlrev_b32 v50, 8, v49 :: v_dual_lshlrev_b32 v18, 7, v18
	v_lshl_add_u32 v29, v29, 10, 0x2000
	s_delay_alu instid0(VALU_DEP_2) | instskip(NEXT) | instid1(VALU_DEP_2)
	v_and_b32_e32 v50, 0x8000, v50
	v_and_b32_e32 v29, 0xfc00, v29
	s_delay_alu instid0(VALU_DEP_1)
	v_or3_b32 v18, v50, v29, v18
.LBB261_1378:                           ;   in Loop: Header=BB261_1075 Depth=1
	s_or_b32 exec_lo, exec_lo, s21
.LBB261_1379:                           ;   in Loop: Header=BB261_1075 Depth=1
	s_delay_alu instid0(SALU_CYCLE_1)
	s_or_b32 exec_lo, exec_lo, s20
.LBB261_1380:                           ;   in Loop: Header=BB261_1075 Depth=1
	s_delay_alu instid0(SALU_CYCLE_1) | instskip(SKIP_3) | instid1(VALU_DEP_2)
	s_or_b32 exec_lo, exec_lo, s19
	v_lshrrev_b16 v6, 8, v6
	v_mov_b32_e32 v29, 0
	s_mov_b32 s19, exec_lo
	v_cmpx_ne_u16_e32 0, v6
	s_cbranch_execz .LBB261_1388
; %bb.1381:                             ;   in Loop: Header=BB261_1075 Depth=1
	v_bfrev_b32_e32 v29, 1
	s_mov_b32 s20, exec_lo
	v_cmpx_ne_u16_e32 0x80, v6
	s_cbranch_execz .LBB261_1387
; %bb.1382:                             ;   in Loop: Header=BB261_1075 Depth=1
	v_and_b32_e32 v50, 0xffff, v6
	v_mov_b32_e32 v29, 0x7c010000
	s_mov_b32 s21, exec_lo
	s_delay_alu instid0(VALU_DEP_2) | instskip(NEXT) | instid1(VALU_DEP_1)
	v_and_b32_e32 v52, 0x7f, v50
	v_cmpx_ne_u32_e32 0x7f, v52
	s_cbranch_execz .LBB261_1386
; %bb.1383:                             ;   in Loop: Header=BB261_1075 Depth=1
	v_dual_lshrrev_b32 v51, 3, v52 :: v_dual_bitop2_b32 v29, 7, v50 bitop3:0x40
	s_mov_b32 s22, exec_lo
	v_cmpx_gt_u32_e32 8, v52
; %bb.1384:                             ;   in Loop: Header=BB261_1075 Depth=1
	s_delay_alu instid0(VALU_DEP_2) | instskip(NEXT) | instid1(VALU_DEP_1)
	v_clz_i32_u32_e32 v29, v29
	v_min_u32_e32 v29, 32, v29
	s_delay_alu instid0(VALU_DEP_1) | instskip(NEXT) | instid1(VALU_DEP_1)
	v_subrev_nc_u32_e32 v51, 28, v29
	v_lshlrev_b64_e32 v[52:53], v51, v[6:7]
	s_delay_alu instid0(VALU_DEP_1)
	v_dual_sub_nc_u32 v51, 29, v29 :: v_dual_bitop2_b32 v29, 7, v52 bitop3:0x40
; %bb.1385:                             ;   in Loop: Header=BB261_1075 Depth=1
	s_or_b32 exec_lo, exec_lo, s22
	s_delay_alu instid0(VALU_DEP_1) | instskip(NEXT) | instid1(VALU_DEP_2)
	v_dual_lshlrev_b32 v6, 8, v50 :: v_dual_lshlrev_b32 v29, 23, v29
	v_lshl_add_u32 v50, v51, 10, 0x2000
	s_delay_alu instid0(VALU_DEP_1) | instskip(NEXT) | instid1(VALU_DEP_1)
	v_and_or_b32 v6, 0x8000, v6, v50
	v_lshl_or_b32 v29, v6, 16, v29
.LBB261_1386:                           ;   in Loop: Header=BB261_1075 Depth=1
	s_or_b32 exec_lo, exec_lo, s21
.LBB261_1387:                           ;   in Loop: Header=BB261_1075 Depth=1
	s_delay_alu instid0(SALU_CYCLE_1)
	s_or_b32 exec_lo, exec_lo, s20
.LBB261_1388:                           ;   in Loop: Header=BB261_1075 Depth=1
	s_delay_alu instid0(SALU_CYCLE_1) | instskip(SKIP_2) | instid1(VALU_DEP_1)
	s_or_b32 exec_lo, exec_lo, s19
	v_lshrrev_b32_e32 v6, 16, v49
	s_mov_b32 s19, exec_lo
	v_and_b32_e32 v50, 0xff, v6
	s_delay_alu instid0(VALU_DEP_1)
	v_cmpx_ne_u16_e32 0, v50
	s_cbranch_execz .LBB261_1396
; %bb.1389:                             ;   in Loop: Header=BB261_1075 Depth=1
	v_mov_b32_e32 v19, 0x8000
	s_mov_b32 s20, exec_lo
	v_cmpx_ne_u16_e32 0x80, v50
	s_cbranch_execz .LBB261_1395
; %bb.1390:                             ;   in Loop: Header=BB261_1075 Depth=1
	v_bfe_u32 v51, v49, 16, 7
	v_mov_b32_e32 v19, 0x7c01
	s_mov_b32 s21, exec_lo
	s_delay_alu instid0(VALU_DEP_2)
	v_cmpx_ne_u32_e32 0x7f, v51
	s_cbranch_execz .LBB261_1394
; %bb.1391:                             ;   in Loop: Header=BB261_1075 Depth=1
	v_dual_lshrrev_b32 v50, 3, v51 :: v_dual_bitop2_b32 v19, 7, v6 bitop3:0x40
	s_mov_b32 s22, exec_lo
	v_cmpx_gt_u32_e32 8, v51
; %bb.1392:                             ;   in Loop: Header=BB261_1075 Depth=1
	s_delay_alu instid0(VALU_DEP_2) | instskip(NEXT) | instid1(VALU_DEP_1)
	v_clz_i32_u32_e32 v19, v19
	v_min_u32_e32 v19, 32, v19
	s_delay_alu instid0(VALU_DEP_1) | instskip(NEXT) | instid1(VALU_DEP_1)
	v_subrev_nc_u32_e32 v50, 28, v19
	v_lshlrev_b64_e32 v[52:53], v50, v[6:7]
	s_delay_alu instid0(VALU_DEP_1)
	v_dual_sub_nc_u32 v50, 29, v19 :: v_dual_bitop2_b32 v19, 7, v52 bitop3:0x40
; %bb.1393:                             ;   in Loop: Header=BB261_1075 Depth=1
	s_or_b32 exec_lo, exec_lo, s22
	s_delay_alu instid0(VALU_DEP_1) | instskip(NEXT) | instid1(VALU_DEP_2)
	v_dual_lshlrev_b32 v6, 8, v6 :: v_dual_lshlrev_b32 v19, 7, v19
	v_lshl_add_u32 v50, v50, 10, 0x2000
	s_delay_alu instid0(VALU_DEP_2) | instskip(NEXT) | instid1(VALU_DEP_2)
	v_and_b32_e32 v6, 0x8000, v6
	v_and_b32_e32 v50, 0xfc00, v50
	s_delay_alu instid0(VALU_DEP_1)
	v_or3_b32 v19, v6, v50, v19
.LBB261_1394:                           ;   in Loop: Header=BB261_1075 Depth=1
	s_or_b32 exec_lo, exec_lo, s21
.LBB261_1395:                           ;   in Loop: Header=BB261_1075 Depth=1
	s_delay_alu instid0(SALU_CYCLE_1)
	s_or_b32 exec_lo, exec_lo, s20
.LBB261_1396:                           ;   in Loop: Header=BB261_1075 Depth=1
	s_delay_alu instid0(SALU_CYCLE_1)
	s_or_b32 exec_lo, exec_lo, s19
	v_cmp_lt_u64_e64 s1, s[2:3], v[48:49]
	v_mov_b32_e32 v48, 0
	s_and_saveexec_b32 s19, s1
	s_cbranch_execz .LBB261_1404
; %bb.1397:                             ;   in Loop: Header=BB261_1075 Depth=1
	v_lshrrev_b32_e32 v6, 24, v49
	v_bfrev_b32_e32 v48, 1
	s_mov_b32 s20, exec_lo
	s_delay_alu instid0(VALU_DEP_2)
	v_cmpx_ne_u32_e32 0x80, v6
	s_cbranch_execz .LBB261_1403
; %bb.1398:                             ;   in Loop: Header=BB261_1075 Depth=1
	v_and_b32_e32 v50, 0x7f, v6
	v_mov_b32_e32 v48, 0x7c010000
	s_mov_b32 s21, exec_lo
	s_delay_alu instid0(VALU_DEP_2)
	v_cmpx_ne_u32_e32 0x7f, v50
	s_cbranch_execz .LBB261_1402
; %bb.1399:                             ;   in Loop: Header=BB261_1075 Depth=1
	v_and_b32_e32 v48, 7, v6
	v_lshrrev_b32_e32 v49, 3, v50
	s_mov_b32 s22, exec_lo
	v_cmpx_gt_u32_e32 8, v50
; %bb.1400:                             ;   in Loop: Header=BB261_1075 Depth=1
	s_delay_alu instid0(VALU_DEP_3) | instskip(NEXT) | instid1(VALU_DEP_1)
	v_clz_i32_u32_e32 v48, v48
	v_min_u32_e32 v50, 32, v48
	s_delay_alu instid0(VALU_DEP_1) | instskip(NEXT) | instid1(VALU_DEP_1)
	v_subrev_nc_u32_e32 v48, 28, v50
	v_lshlrev_b64_e32 v[48:49], v48, v[6:7]
	s_delay_alu instid0(VALU_DEP_1)
	v_dual_sub_nc_u32 v49, 29, v50 :: v_dual_bitop2_b32 v48, 7, v48 bitop3:0x40
; %bb.1401:                             ;   in Loop: Header=BB261_1075 Depth=1
	s_or_b32 exec_lo, exec_lo, s22
	s_delay_alu instid0(VALU_DEP_1) | instskip(NEXT) | instid1(VALU_DEP_2)
	v_dual_lshlrev_b32 v6, 8, v6 :: v_dual_lshlrev_b32 v48, 23, v48
	v_lshl_add_u32 v49, v49, 10, 0x2000
	s_delay_alu instid0(VALU_DEP_1) | instskip(NEXT) | instid1(VALU_DEP_1)
	v_and_or_b32 v6, 0x8000, v6, v49
	v_lshl_or_b32 v48, v6, 16, v48
.LBB261_1402:                           ;   in Loop: Header=BB261_1075 Depth=1
	s_or_b32 exec_lo, exec_lo, s21
.LBB261_1403:                           ;   in Loop: Header=BB261_1075 Depth=1
	s_delay_alu instid0(SALU_CYCLE_1)
	s_or_b32 exec_lo, exec_lo, s20
.LBB261_1404:                           ;   in Loop: Header=BB261_1075 Depth=1
	s_delay_alu instid0(SALU_CYCLE_1) | instskip(SKIP_3) | instid1(VALU_DEP_3)
	s_or_b32 exec_lo, exec_lo, s19
	v_dual_lshrrev_b32 v6, 16, v1 :: v_dual_lshrrev_b32 v49, 16, v3
	v_dual_lshrrev_b32 v50, 16, v48 :: v_dual_bitop2_b32 v9, v3, v9 bitop3:0x54
	v_or_b32_e32 v1, v1, v2
	v_cvt_f32_f16_e32 v3, v6
	s_delay_alu instid0(VALU_DEP_4)
	v_cvt_f32_f16_e32 v2, v49
	v_dual_lshrrev_b32 v19, 16, v29 :: v_dual_bitop2_b32 v6, v48, v19 bitop3:0x54
	v_cvt_f32_f16_e32 v48, v9
	v_or_b32_e32 v9, v29, v18
	s_wait_loadcnt_dscnt 0x0
	v_pk_mul_f32 v[2:3], v[28:29], v[2:3] op_sel_hi:[0,1]
	v_cvt_f32_f16_e32 v49, v1
	v_cvt_f32_f16_e32 v19, v19
	;; [unrolled: 1-line block ×5, first 2 shown]
	v_pk_mul_f32 v[48:49], v[28:29], v[48:49] op_sel_hi:[0,1]
	v_cvt_pk_f16_f32 v1, v2, v3
	v_pk_mul_f32 v[2:3], v[28:29], v[18:19] op_sel_hi:[0,1]
	s_delay_alu instid0(VALU_DEP_4) | instskip(NEXT) | instid1(VALU_DEP_4)
	v_pk_mul_f32 v[18:19], v[28:29], v[50:51] op_sel_hi:[0,1]
	v_cvt_pk_f16_f32 v6, v48, v49
	s_delay_alu instid0(VALU_DEP_4) | instskip(NEXT) | instid1(VALU_DEP_4)
	v_and_b32_e32 v29, 0xffff0000, v1
	v_cvt_pk_f16_f32 v2, v2, v3
	v_lshlrev_b32_e32 v48, 16, v1
	v_cvt_pk_f16_f32 v1, v18, v19
	v_and_b32_e32 v54, 0xffff, v6
	s_delay_alu instid0(VALU_DEP_4) | instskip(NEXT) | instid1(VALU_DEP_3)
	v_and_b32_e32 v9, 0xffff0000, v2
	v_dual_lshrrev_b32 v19, 16, v1 :: v_dual_lshrrev_b32 v53, 16, v6
	v_and_b32_e32 v28, 0xffff, v1
	s_delay_alu instid0(VALU_DEP_4) | instskip(NEXT) | instid1(VALU_DEP_3)
	v_or_b32_e32 v52, v48, v54
	v_dual_lshlrev_b32 v6, 16, v2 :: v_dual_bitop2_b32 v49, v9, v19 bitop3:0x54
	s_delay_alu instid0(VALU_DEP_4) | instskip(NEXT) | instid1(VALU_DEP_2)
	v_or_b32_e32 v51, v29, v53
	v_or_b32_e32 v50, v6, v28
	s_and_saveexec_b32 s19, vcc_lo
	s_cbranch_execz .LBB261_1406
; %bb.1405:                             ;   in Loop: Header=BB261_1075 Depth=1
	v_cmp_lt_i32_e64 s1, v87, v13
	s_delay_alu instid0(VALU_DEP_1) | instskip(SKIP_1) | instid1(VALU_DEP_1)
	v_cndmask_b32_e64 v1, 0, v53, s1
	v_cmp_lt_i32_e64 s1, v102, v12
	v_cndmask_b32_e64 v2, 0, v54, s1
	v_cmp_lt_i32_e64 s1, v101, v13
	s_delay_alu instid0(VALU_DEP_1) | instskip(SKIP_1) | instid1(VALU_DEP_1)
	v_cndmask_b32_e64 v3, 0, v29, s1
	v_cmp_lt_i32_e64 s1, v100, v12
	v_cndmask_b32_e64 v18, 0, v48, s1
	v_cmp_lt_i32_e64 s1, v99, v13
	s_delay_alu instid0(VALU_DEP_4) | instskip(NEXT) | instid1(VALU_DEP_2)
	v_or_b32_e32 v51, v1, v3
	v_dual_cndmask_b32 v19, 0, v19, s1 :: v_dual_bitop2_b32 v52, v2, v18 bitop3:0x54
	v_cmp_lt_i32_e64 s1, v98, v12
	s_delay_alu instid0(VALU_DEP_1) | instskip(SKIP_1) | instid1(VALU_DEP_1)
	v_cndmask_b32_e64 v28, 0, v28, s1
	v_cmp_lt_i32_e64 s1, v97, v13
	v_cndmask_b32_e64 v9, 0, v9, s1
	v_cmp_lt_i32_e64 s1, v96, v12
	s_delay_alu instid0(VALU_DEP_1) | instskip(NEXT) | instid1(VALU_DEP_1)
	v_dual_cndmask_b32 v6, 0, v6, s1 :: v_dual_bitop2_b32 v49, v19, v9 bitop3:0x54
	v_or_b32_e32 v50, v28, v6
.LBB261_1406:                           ;   in Loop: Header=BB261_1075 Depth=1
	s_or_b32 exec_lo, exec_lo, s19
	;;#ASMSTART
	v_pk_mul_f16 v1, v67, v51;

	;;#ASMEND
	;;#ASMSTART
	v_pk_mul_f16 v2, v65, v52;

	;;#ASMEND
	;; [unrolled: 4-line block ×4, first 2 shown]
	;;#ASMSTART
	v_pk_add_f16 v1, v1, v2;

	;;#ASMEND
	;;#ASMSTART
	v_pk_add_f16 v1, v1, v3;

	;;#ASMEND
	;; [unrolled: 4-line block ×3, first 2 shown]
	v_and_b32_e32 v2, 0xffff, v1
	v_lshrrev_b32_e32 v1, 16, v1
	;;#ASMSTART
	v_cvt_f32_f16 v114, v2;
	;;#ASMEND
	;;#ASMSTART
	v_cvt_f32_f16 v115, v1;
	;;#ASMEND
	flat_load_b64 v[48:49], v[26:27] offset:1280
	scratch_load_b64 v[2:3], off, s32 offset:192 ; 8-byte Folded Reload
	v_mov_b32_e32 v1, 0
	s_mov_b32 s19, exec_lo
	s_wait_loadcnt 0x0
	flat_load_b32 v28, v[2:3]
	s_wait_dscnt 0x1
	s_wait_xcnt 0x0
	v_and_b32_e32 v3, 0xff, v48
	v_mov_b32_e32 v2, 0
	s_delay_alu instid0(VALU_DEP_2)
	v_cmpx_ne_u16_e32 0, v3
	s_cbranch_execz .LBB261_1414
; %bb.1407:                             ;   in Loop: Header=BB261_1075 Depth=1
	v_mov_b32_e32 v2, 0x8000
	s_mov_b32 s20, exec_lo
	v_cmpx_ne_u16_e32 0x80, v3
	s_cbranch_execz .LBB261_1413
; %bb.1408:                             ;   in Loop: Header=BB261_1075 Depth=1
	v_and_b32_e32 v6, 0x7f, v48
	v_mov_b32_e32 v2, 0x7c01
	s_mov_b32 s21, exec_lo
	s_delay_alu instid0(VALU_DEP_2)
	v_cmpx_ne_u32_e32 0x7f, v6
	s_cbranch_execz .LBB261_1412
; %bb.1409:                             ;   in Loop: Header=BB261_1075 Depth=1
	v_dual_lshrrev_b32 v3, 3, v6 :: v_dual_bitop2_b32 v2, 7, v48 bitop3:0x40
	s_mov_b32 s22, exec_lo
	v_cmpx_gt_u32_e32 8, v6
; %bb.1410:                             ;   in Loop: Header=BB261_1075 Depth=1
	s_delay_alu instid0(VALU_DEP_2) | instskip(NEXT) | instid1(VALU_DEP_1)
	v_clz_i32_u32_e32 v2, v2
	v_min_u32_e32 v6, 32, v2
	s_delay_alu instid0(VALU_DEP_1) | instskip(NEXT) | instid1(VALU_DEP_1)
	v_subrev_nc_u32_e32 v2, 28, v6
	v_lshlrev_b64_e32 v[2:3], v2, v[48:49]
	v_sub_nc_u32_e32 v3, 29, v6
	s_delay_alu instid0(VALU_DEP_2)
	v_and_b32_e32 v2, 7, v2
; %bb.1411:                             ;   in Loop: Header=BB261_1075 Depth=1
	s_or_b32 exec_lo, exec_lo, s22
	s_delay_alu instid0(VALU_DEP_1) | instskip(NEXT) | instid1(VALU_DEP_3)
	v_dual_lshlrev_b32 v6, 8, v48 :: v_dual_lshlrev_b32 v2, 7, v2
	v_lshl_add_u32 v3, v3, 10, 0x2000
	s_delay_alu instid0(VALU_DEP_2) | instskip(NEXT) | instid1(VALU_DEP_2)
	v_and_b32_e32 v6, 0x8000, v6
	v_and_b32_e32 v3, 0xfc00, v3
	s_delay_alu instid0(VALU_DEP_1)
	v_or3_b32 v2, v6, v3, v2
.LBB261_1412:                           ;   in Loop: Header=BB261_1075 Depth=1
	s_or_b32 exec_lo, exec_lo, s21
.LBB261_1413:                           ;   in Loop: Header=BB261_1075 Depth=1
	s_delay_alu instid0(SALU_CYCLE_1)
	s_or_b32 exec_lo, exec_lo, s20
.LBB261_1414:                           ;   in Loop: Header=BB261_1075 Depth=1
	s_delay_alu instid0(SALU_CYCLE_1) | instskip(SKIP_2) | instid1(VALU_DEP_1)
	s_or_b32 exec_lo, exec_lo, s19
	v_lshrrev_b16 v6, 8, v48
	s_mov_b32 s19, exec_lo
	v_cmpx_ne_u16_e32 0, v6
	s_cbranch_execz .LBB261_1422
; %bb.1415:                             ;   in Loop: Header=BB261_1075 Depth=1
	v_bfrev_b32_e32 v1, 1
	s_mov_b32 s20, exec_lo
	v_cmpx_ne_u16_e32 0x80, v6
	s_cbranch_execz .LBB261_1421
; %bb.1416:                             ;   in Loop: Header=BB261_1075 Depth=1
	v_and_b32_e32 v3, 0xffff, v6
	v_mov_b32_e32 v1, 0x7c010000
	s_mov_b32 s21, exec_lo
	s_delay_alu instid0(VALU_DEP_2) | instskip(NEXT) | instid1(VALU_DEP_1)
	v_and_b32_e32 v18, 0x7f, v3
	v_cmpx_ne_u32_e32 0x7f, v18
	s_cbranch_execz .LBB261_1420
; %bb.1417:                             ;   in Loop: Header=BB261_1075 Depth=1
	v_dual_lshrrev_b32 v9, 3, v18 :: v_dual_bitop2_b32 v1, 7, v3 bitop3:0x40
	s_mov_b32 s22, exec_lo
	v_cmpx_gt_u32_e32 8, v18
; %bb.1418:                             ;   in Loop: Header=BB261_1075 Depth=1
	s_delay_alu instid0(VALU_DEP_2) | instskip(NEXT) | instid1(VALU_DEP_1)
	v_clz_i32_u32_e32 v1, v1
	v_min_u32_e32 v1, 32, v1
	s_delay_alu instid0(VALU_DEP_1) | instskip(NEXT) | instid1(VALU_DEP_1)
	v_subrev_nc_u32_e32 v9, 28, v1
	v_lshlrev_b64_e32 v[18:19], v9, v[6:7]
	s_delay_alu instid0(VALU_DEP_1)
	v_dual_sub_nc_u32 v9, 29, v1 :: v_dual_bitop2_b32 v1, 7, v18 bitop3:0x40
; %bb.1419:                             ;   in Loop: Header=BB261_1075 Depth=1
	s_or_b32 exec_lo, exec_lo, s22
	s_delay_alu instid0(VALU_DEP_1) | instskip(NEXT) | instid1(VALU_DEP_2)
	v_dual_lshlrev_b32 v3, 8, v3 :: v_dual_lshlrev_b32 v1, 23, v1
	v_lshl_add_u32 v6, v9, 10, 0x2000
	s_delay_alu instid0(VALU_DEP_1) | instskip(NEXT) | instid1(VALU_DEP_1)
	v_and_or_b32 v3, 0x8000, v3, v6
	v_lshl_or_b32 v1, v3, 16, v1
.LBB261_1420:                           ;   in Loop: Header=BB261_1075 Depth=1
	s_or_b32 exec_lo, exec_lo, s21
.LBB261_1421:                           ;   in Loop: Header=BB261_1075 Depth=1
	s_delay_alu instid0(SALU_CYCLE_1)
	s_or_b32 exec_lo, exec_lo, s20
.LBB261_1422:                           ;   in Loop: Header=BB261_1075 Depth=1
	s_delay_alu instid0(SALU_CYCLE_1) | instskip(SKIP_3) | instid1(VALU_DEP_2)
	s_or_b32 exec_lo, exec_lo, s19
	v_dual_mov_b32 v3, 0 :: v_dual_lshrrev_b32 v6, 16, v48
	v_mov_b32_e32 v9, 0
	s_mov_b32 s19, exec_lo
	v_and_b32_e32 v18, 0xff, v6
	s_delay_alu instid0(VALU_DEP_1)
	v_cmpx_ne_u16_e32 0, v18
	s_cbranch_execz .LBB261_1430
; %bb.1423:                             ;   in Loop: Header=BB261_1075 Depth=1
	v_mov_b32_e32 v9, 0x8000
	s_mov_b32 s20, exec_lo
	v_cmpx_ne_u16_e32 0x80, v18
	s_cbranch_execz .LBB261_1429
; %bb.1424:                             ;   in Loop: Header=BB261_1075 Depth=1
	v_bfe_u32 v19, v48, 16, 7
	v_mov_b32_e32 v9, 0x7c01
	s_mov_b32 s21, exec_lo
	s_delay_alu instid0(VALU_DEP_2)
	v_cmpx_ne_u32_e32 0x7f, v19
	s_cbranch_execz .LBB261_1428
; %bb.1425:                             ;   in Loop: Header=BB261_1075 Depth=1
	v_dual_lshrrev_b32 v18, 3, v19 :: v_dual_bitop2_b32 v9, 7, v6 bitop3:0x40
	s_mov_b32 s22, exec_lo
	v_cmpx_gt_u32_e32 8, v19
; %bb.1426:                             ;   in Loop: Header=BB261_1075 Depth=1
	s_delay_alu instid0(VALU_DEP_2) | instskip(NEXT) | instid1(VALU_DEP_1)
	v_clz_i32_u32_e32 v9, v9
	v_min_u32_e32 v9, 32, v9
	s_delay_alu instid0(VALU_DEP_1) | instskip(NEXT) | instid1(VALU_DEP_1)
	v_subrev_nc_u32_e32 v18, 28, v9
	v_lshlrev_b64_e32 v[50:51], v18, v[6:7]
	s_delay_alu instid0(VALU_DEP_1)
	v_dual_sub_nc_u32 v18, 29, v9 :: v_dual_bitop2_b32 v9, 7, v50 bitop3:0x40
; %bb.1427:                             ;   in Loop: Header=BB261_1075 Depth=1
	s_or_b32 exec_lo, exec_lo, s22
	s_delay_alu instid0(VALU_DEP_1) | instskip(NEXT) | instid1(VALU_DEP_2)
	v_dual_lshlrev_b32 v6, 8, v6 :: v_dual_lshlrev_b32 v9, 7, v9
	v_lshl_add_u32 v18, v18, 10, 0x2000
	s_delay_alu instid0(VALU_DEP_2) | instskip(NEXT) | instid1(VALU_DEP_2)
	v_and_b32_e32 v6, 0x8000, v6
	v_and_b32_e32 v18, 0xfc00, v18
	s_delay_alu instid0(VALU_DEP_1)
	v_or3_b32 v9, v6, v18, v9
.LBB261_1428:                           ;   in Loop: Header=BB261_1075 Depth=1
	s_or_b32 exec_lo, exec_lo, s21
.LBB261_1429:                           ;   in Loop: Header=BB261_1075 Depth=1
	s_delay_alu instid0(SALU_CYCLE_1)
	s_or_b32 exec_lo, exec_lo, s20
.LBB261_1430:                           ;   in Loop: Header=BB261_1075 Depth=1
	s_delay_alu instid0(SALU_CYCLE_1) | instskip(NEXT) | instid1(SALU_CYCLE_1)
	s_or_b32 exec_lo, exec_lo, s19
	s_mov_b32 s19, exec_lo
	v_cmpx_lt_u32_e32 0xffffff, v48
	s_cbranch_execz .LBB261_1438
; %bb.1431:                             ;   in Loop: Header=BB261_1075 Depth=1
	v_lshrrev_b32_e32 v6, 24, v48
	v_bfrev_b32_e32 v3, 1
	s_mov_b32 s20, exec_lo
	s_delay_alu instid0(VALU_DEP_2)
	v_cmpx_ne_u32_e32 0x80, v6
	s_cbranch_execz .LBB261_1437
; %bb.1432:                             ;   in Loop: Header=BB261_1075 Depth=1
	v_and_b32_e32 v19, 0x7f, v6
	v_mov_b32_e32 v3, 0x7c010000
	s_mov_b32 s21, exec_lo
	s_delay_alu instid0(VALU_DEP_2)
	v_cmpx_ne_u32_e32 0x7f, v19
	s_cbranch_execz .LBB261_1436
; %bb.1433:                             ;   in Loop: Header=BB261_1075 Depth=1
	v_dual_lshrrev_b32 v18, 3, v19 :: v_dual_bitop2_b32 v3, 7, v6 bitop3:0x40
	s_mov_b32 s22, exec_lo
	v_cmpx_gt_u32_e32 8, v19
; %bb.1434:                             ;   in Loop: Header=BB261_1075 Depth=1
	s_delay_alu instid0(VALU_DEP_2) | instskip(NEXT) | instid1(VALU_DEP_1)
	v_clz_i32_u32_e32 v3, v3
	v_min_u32_e32 v3, 32, v3
	s_delay_alu instid0(VALU_DEP_1) | instskip(NEXT) | instid1(VALU_DEP_1)
	v_subrev_nc_u32_e32 v18, 28, v3
	v_lshlrev_b64_e32 v[50:51], v18, v[6:7]
	s_delay_alu instid0(VALU_DEP_1)
	v_dual_sub_nc_u32 v18, 29, v3 :: v_dual_bitop2_b32 v3, 7, v50 bitop3:0x40
; %bb.1435:                             ;   in Loop: Header=BB261_1075 Depth=1
	s_or_b32 exec_lo, exec_lo, s22
	s_delay_alu instid0(VALU_DEP_1) | instskip(NEXT) | instid1(VALU_DEP_2)
	v_dual_lshlrev_b32 v6, 8, v6 :: v_dual_lshlrev_b32 v3, 23, v3
	v_lshl_add_u32 v18, v18, 10, 0x2000
	s_delay_alu instid0(VALU_DEP_1) | instskip(NEXT) | instid1(VALU_DEP_1)
	v_and_or_b32 v6, 0x8000, v6, v18
	v_lshl_or_b32 v3, v6, 16, v3
.LBB261_1436:                           ;   in Loop: Header=BB261_1075 Depth=1
	s_or_b32 exec_lo, exec_lo, s21
.LBB261_1437:                           ;   in Loop: Header=BB261_1075 Depth=1
	s_delay_alu instid0(SALU_CYCLE_1)
	s_or_b32 exec_lo, exec_lo, s20
.LBB261_1438:                           ;   in Loop: Header=BB261_1075 Depth=1
	s_delay_alu instid0(SALU_CYCLE_1) | instskip(SKIP_4) | instid1(VALU_DEP_3)
	s_or_b32 exec_lo, exec_lo, s19
	v_and_b32_e32 v29, 0xff, v49
	v_dual_mov_b32 v6, v49 :: v_dual_mov_b32 v19, 0
	v_mov_b32_e32 v18, 0
	s_mov_b32 s19, exec_lo
	v_cmpx_ne_u16_e32 0, v29
	s_cbranch_execz .LBB261_1446
; %bb.1439:                             ;   in Loop: Header=BB261_1075 Depth=1
	v_mov_b32_e32 v18, 0x8000
	s_mov_b32 s20, exec_lo
	v_cmpx_ne_u16_e32 0x80, v29
	s_cbranch_execz .LBB261_1445
; %bb.1440:                             ;   in Loop: Header=BB261_1075 Depth=1
	v_and_b32_e32 v50, 0x7f, v49
	v_mov_b32_e32 v18, 0x7c01
	s_mov_b32 s21, exec_lo
	s_delay_alu instid0(VALU_DEP_2)
	v_cmpx_ne_u32_e32 0x7f, v50
	s_cbranch_execz .LBB261_1444
; %bb.1441:                             ;   in Loop: Header=BB261_1075 Depth=1
	v_dual_lshrrev_b32 v29, 3, v50 :: v_dual_bitop2_b32 v18, 7, v49 bitop3:0x40
	s_mov_b32 s22, exec_lo
	v_cmpx_gt_u32_e32 8, v50
; %bb.1442:                             ;   in Loop: Header=BB261_1075 Depth=1
	s_delay_alu instid0(VALU_DEP_2) | instskip(NEXT) | instid1(VALU_DEP_1)
	v_clz_i32_u32_e32 v18, v18
	v_min_u32_e32 v18, 32, v18
	s_delay_alu instid0(VALU_DEP_1) | instskip(NEXT) | instid1(VALU_DEP_1)
	v_subrev_nc_u32_e32 v29, 28, v18
	v_lshlrev_b64_e32 v[50:51], v29, v[6:7]
	v_sub_nc_u32_e32 v29, 29, v18
	s_delay_alu instid0(VALU_DEP_2)
	v_and_b32_e32 v18, 7, v50
; %bb.1443:                             ;   in Loop: Header=BB261_1075 Depth=1
	s_or_b32 exec_lo, exec_lo, s22
	s_delay_alu instid0(VALU_DEP_1) | instskip(NEXT) | instid1(VALU_DEP_3)
	v_dual_lshlrev_b32 v50, 8, v49 :: v_dual_lshlrev_b32 v18, 7, v18
	v_lshl_add_u32 v29, v29, 10, 0x2000
	s_delay_alu instid0(VALU_DEP_2) | instskip(NEXT) | instid1(VALU_DEP_2)
	v_and_b32_e32 v50, 0x8000, v50
	v_and_b32_e32 v29, 0xfc00, v29
	s_delay_alu instid0(VALU_DEP_1)
	v_or3_b32 v18, v50, v29, v18
.LBB261_1444:                           ;   in Loop: Header=BB261_1075 Depth=1
	s_or_b32 exec_lo, exec_lo, s21
.LBB261_1445:                           ;   in Loop: Header=BB261_1075 Depth=1
	s_delay_alu instid0(SALU_CYCLE_1)
	s_or_b32 exec_lo, exec_lo, s20
.LBB261_1446:                           ;   in Loop: Header=BB261_1075 Depth=1
	s_delay_alu instid0(SALU_CYCLE_1) | instskip(SKIP_3) | instid1(VALU_DEP_2)
	s_or_b32 exec_lo, exec_lo, s19
	v_lshrrev_b16 v6, 8, v6
	v_mov_b32_e32 v29, 0
	s_mov_b32 s19, exec_lo
	v_cmpx_ne_u16_e32 0, v6
	s_cbranch_execz .LBB261_1454
; %bb.1447:                             ;   in Loop: Header=BB261_1075 Depth=1
	v_bfrev_b32_e32 v29, 1
	s_mov_b32 s20, exec_lo
	v_cmpx_ne_u16_e32 0x80, v6
	s_cbranch_execz .LBB261_1453
; %bb.1448:                             ;   in Loop: Header=BB261_1075 Depth=1
	v_and_b32_e32 v50, 0xffff, v6
	v_mov_b32_e32 v29, 0x7c010000
	s_mov_b32 s21, exec_lo
	s_delay_alu instid0(VALU_DEP_2) | instskip(NEXT) | instid1(VALU_DEP_1)
	v_and_b32_e32 v52, 0x7f, v50
	v_cmpx_ne_u32_e32 0x7f, v52
	s_cbranch_execz .LBB261_1452
; %bb.1449:                             ;   in Loop: Header=BB261_1075 Depth=1
	v_dual_lshrrev_b32 v51, 3, v52 :: v_dual_bitop2_b32 v29, 7, v50 bitop3:0x40
	s_mov_b32 s22, exec_lo
	v_cmpx_gt_u32_e32 8, v52
; %bb.1450:                             ;   in Loop: Header=BB261_1075 Depth=1
	s_delay_alu instid0(VALU_DEP_2) | instskip(NEXT) | instid1(VALU_DEP_1)
	v_clz_i32_u32_e32 v29, v29
	v_min_u32_e32 v29, 32, v29
	s_delay_alu instid0(VALU_DEP_1) | instskip(NEXT) | instid1(VALU_DEP_1)
	v_subrev_nc_u32_e32 v51, 28, v29
	v_lshlrev_b64_e32 v[52:53], v51, v[6:7]
	s_delay_alu instid0(VALU_DEP_1)
	v_dual_sub_nc_u32 v51, 29, v29 :: v_dual_bitop2_b32 v29, 7, v52 bitop3:0x40
; %bb.1451:                             ;   in Loop: Header=BB261_1075 Depth=1
	s_or_b32 exec_lo, exec_lo, s22
	s_delay_alu instid0(VALU_DEP_1) | instskip(NEXT) | instid1(VALU_DEP_2)
	v_dual_lshlrev_b32 v6, 8, v50 :: v_dual_lshlrev_b32 v29, 23, v29
	v_lshl_add_u32 v50, v51, 10, 0x2000
	s_delay_alu instid0(VALU_DEP_1) | instskip(NEXT) | instid1(VALU_DEP_1)
	v_and_or_b32 v6, 0x8000, v6, v50
	v_lshl_or_b32 v29, v6, 16, v29
.LBB261_1452:                           ;   in Loop: Header=BB261_1075 Depth=1
	s_or_b32 exec_lo, exec_lo, s21
.LBB261_1453:                           ;   in Loop: Header=BB261_1075 Depth=1
	s_delay_alu instid0(SALU_CYCLE_1)
	s_or_b32 exec_lo, exec_lo, s20
.LBB261_1454:                           ;   in Loop: Header=BB261_1075 Depth=1
	s_delay_alu instid0(SALU_CYCLE_1) | instskip(SKIP_2) | instid1(VALU_DEP_1)
	s_or_b32 exec_lo, exec_lo, s19
	v_lshrrev_b32_e32 v6, 16, v49
	s_mov_b32 s19, exec_lo
	v_and_b32_e32 v50, 0xff, v6
	s_delay_alu instid0(VALU_DEP_1)
	v_cmpx_ne_u16_e32 0, v50
	s_cbranch_execz .LBB261_1462
; %bb.1455:                             ;   in Loop: Header=BB261_1075 Depth=1
	v_mov_b32_e32 v19, 0x8000
	s_mov_b32 s20, exec_lo
	v_cmpx_ne_u16_e32 0x80, v50
	s_cbranch_execz .LBB261_1461
; %bb.1456:                             ;   in Loop: Header=BB261_1075 Depth=1
	v_bfe_u32 v51, v49, 16, 7
	v_mov_b32_e32 v19, 0x7c01
	s_mov_b32 s21, exec_lo
	s_delay_alu instid0(VALU_DEP_2)
	v_cmpx_ne_u32_e32 0x7f, v51
	s_cbranch_execz .LBB261_1460
; %bb.1457:                             ;   in Loop: Header=BB261_1075 Depth=1
	v_dual_lshrrev_b32 v50, 3, v51 :: v_dual_bitop2_b32 v19, 7, v6 bitop3:0x40
	s_mov_b32 s22, exec_lo
	v_cmpx_gt_u32_e32 8, v51
; %bb.1458:                             ;   in Loop: Header=BB261_1075 Depth=1
	s_delay_alu instid0(VALU_DEP_2) | instskip(NEXT) | instid1(VALU_DEP_1)
	v_clz_i32_u32_e32 v19, v19
	v_min_u32_e32 v19, 32, v19
	s_delay_alu instid0(VALU_DEP_1) | instskip(NEXT) | instid1(VALU_DEP_1)
	v_subrev_nc_u32_e32 v50, 28, v19
	v_lshlrev_b64_e32 v[52:53], v50, v[6:7]
	s_delay_alu instid0(VALU_DEP_1)
	v_dual_sub_nc_u32 v50, 29, v19 :: v_dual_bitop2_b32 v19, 7, v52 bitop3:0x40
; %bb.1459:                             ;   in Loop: Header=BB261_1075 Depth=1
	s_or_b32 exec_lo, exec_lo, s22
	s_delay_alu instid0(VALU_DEP_1) | instskip(NEXT) | instid1(VALU_DEP_2)
	v_dual_lshlrev_b32 v6, 8, v6 :: v_dual_lshlrev_b32 v19, 7, v19
	v_lshl_add_u32 v50, v50, 10, 0x2000
	s_delay_alu instid0(VALU_DEP_2) | instskip(NEXT) | instid1(VALU_DEP_2)
	v_and_b32_e32 v6, 0x8000, v6
	v_and_b32_e32 v50, 0xfc00, v50
	s_delay_alu instid0(VALU_DEP_1)
	v_or3_b32 v19, v6, v50, v19
.LBB261_1460:                           ;   in Loop: Header=BB261_1075 Depth=1
	s_or_b32 exec_lo, exec_lo, s21
.LBB261_1461:                           ;   in Loop: Header=BB261_1075 Depth=1
	s_delay_alu instid0(SALU_CYCLE_1)
	s_or_b32 exec_lo, exec_lo, s20
.LBB261_1462:                           ;   in Loop: Header=BB261_1075 Depth=1
	s_delay_alu instid0(SALU_CYCLE_1)
	s_or_b32 exec_lo, exec_lo, s19
	v_cmp_lt_u64_e64 s1, s[2:3], v[48:49]
	v_mov_b32_e32 v48, 0
	s_and_saveexec_b32 s19, s1
	s_cbranch_execz .LBB261_1470
; %bb.1463:                             ;   in Loop: Header=BB261_1075 Depth=1
	v_lshrrev_b32_e32 v6, 24, v49
	v_bfrev_b32_e32 v48, 1
	s_mov_b32 s20, exec_lo
	s_delay_alu instid0(VALU_DEP_2)
	v_cmpx_ne_u32_e32 0x80, v6
	s_cbranch_execz .LBB261_1469
; %bb.1464:                             ;   in Loop: Header=BB261_1075 Depth=1
	v_and_b32_e32 v50, 0x7f, v6
	v_mov_b32_e32 v48, 0x7c010000
	s_mov_b32 s21, exec_lo
	s_delay_alu instid0(VALU_DEP_2)
	v_cmpx_ne_u32_e32 0x7f, v50
	s_cbranch_execz .LBB261_1468
; %bb.1465:                             ;   in Loop: Header=BB261_1075 Depth=1
	v_and_b32_e32 v48, 7, v6
	v_lshrrev_b32_e32 v49, 3, v50
	s_mov_b32 s22, exec_lo
	v_cmpx_gt_u32_e32 8, v50
; %bb.1466:                             ;   in Loop: Header=BB261_1075 Depth=1
	s_delay_alu instid0(VALU_DEP_3) | instskip(NEXT) | instid1(VALU_DEP_1)
	v_clz_i32_u32_e32 v48, v48
	v_min_u32_e32 v50, 32, v48
	s_delay_alu instid0(VALU_DEP_1) | instskip(NEXT) | instid1(VALU_DEP_1)
	v_subrev_nc_u32_e32 v48, 28, v50
	v_lshlrev_b64_e32 v[48:49], v48, v[6:7]
	s_delay_alu instid0(VALU_DEP_1)
	v_dual_sub_nc_u32 v49, 29, v50 :: v_dual_bitop2_b32 v48, 7, v48 bitop3:0x40
; %bb.1467:                             ;   in Loop: Header=BB261_1075 Depth=1
	s_or_b32 exec_lo, exec_lo, s22
	s_delay_alu instid0(VALU_DEP_1) | instskip(NEXT) | instid1(VALU_DEP_2)
	v_dual_lshlrev_b32 v6, 8, v6 :: v_dual_lshlrev_b32 v48, 23, v48
	v_lshl_add_u32 v49, v49, 10, 0x2000
	s_delay_alu instid0(VALU_DEP_1) | instskip(NEXT) | instid1(VALU_DEP_1)
	v_and_or_b32 v6, 0x8000, v6, v49
	v_lshl_or_b32 v48, v6, 16, v48
.LBB261_1468:                           ;   in Loop: Header=BB261_1075 Depth=1
	s_or_b32 exec_lo, exec_lo, s21
.LBB261_1469:                           ;   in Loop: Header=BB261_1075 Depth=1
	s_delay_alu instid0(SALU_CYCLE_1)
	s_or_b32 exec_lo, exec_lo, s20
.LBB261_1470:                           ;   in Loop: Header=BB261_1075 Depth=1
	s_delay_alu instid0(SALU_CYCLE_1) | instskip(SKIP_3) | instid1(VALU_DEP_3)
	s_or_b32 exec_lo, exec_lo, s19
	v_dual_lshrrev_b32 v6, 16, v1 :: v_dual_lshrrev_b32 v49, 16, v3
	v_dual_lshrrev_b32 v50, 16, v48 :: v_dual_bitop2_b32 v9, v3, v9 bitop3:0x54
	v_or_b32_e32 v1, v1, v2
	v_cvt_f32_f16_e32 v3, v6
	s_delay_alu instid0(VALU_DEP_4)
	v_cvt_f32_f16_e32 v2, v49
	v_dual_lshrrev_b32 v19, 16, v29 :: v_dual_bitop2_b32 v6, v48, v19 bitop3:0x54
	v_cvt_f32_f16_e32 v48, v9
	v_or_b32_e32 v9, v29, v18
	s_wait_loadcnt_dscnt 0x0
	v_pk_mul_f32 v[2:3], v[28:29], v[2:3] op_sel_hi:[0,1]
	v_cvt_f32_f16_e32 v49, v1
	v_cvt_f32_f16_e32 v19, v19
	;; [unrolled: 1-line block ×5, first 2 shown]
	v_pk_mul_f32 v[48:49], v[28:29], v[48:49] op_sel_hi:[0,1]
	v_cvt_pk_f16_f32 v1, v2, v3
	v_pk_mul_f32 v[2:3], v[28:29], v[18:19] op_sel_hi:[0,1]
	s_delay_alu instid0(VALU_DEP_4) | instskip(NEXT) | instid1(VALU_DEP_4)
	v_pk_mul_f32 v[18:19], v[28:29], v[50:51] op_sel_hi:[0,1]
	v_cvt_pk_f16_f32 v6, v48, v49
	s_delay_alu instid0(VALU_DEP_4) | instskip(NEXT) | instid1(VALU_DEP_4)
	v_and_b32_e32 v29, 0xffff0000, v1
	v_cvt_pk_f16_f32 v2, v2, v3
	v_lshlrev_b32_e32 v48, 16, v1
	v_cvt_pk_f16_f32 v1, v18, v19
	v_and_b32_e32 v54, 0xffff, v6
	s_delay_alu instid0(VALU_DEP_4) | instskip(NEXT) | instid1(VALU_DEP_3)
	v_and_b32_e32 v9, 0xffff0000, v2
	v_dual_lshrrev_b32 v19, 16, v1 :: v_dual_lshrrev_b32 v53, 16, v6
	v_and_b32_e32 v28, 0xffff, v1
	s_delay_alu instid0(VALU_DEP_4) | instskip(NEXT) | instid1(VALU_DEP_3)
	v_or_b32_e32 v52, v48, v54
	v_dual_lshlrev_b32 v6, 16, v2 :: v_dual_bitop2_b32 v49, v9, v19 bitop3:0x54
	s_delay_alu instid0(VALU_DEP_4) | instskip(NEXT) | instid1(VALU_DEP_2)
	v_or_b32_e32 v51, v29, v53
	v_or_b32_e32 v50, v6, v28
	s_and_saveexec_b32 s19, vcc_lo
	s_cbranch_execz .LBB261_1472
; %bb.1471:                             ;   in Loop: Header=BB261_1075 Depth=1
	v_cmp_lt_i32_e64 s1, v87, v13
	s_delay_alu instid0(VALU_DEP_1) | instskip(SKIP_1) | instid1(VALU_DEP_1)
	v_cndmask_b32_e64 v1, 0, v53, s1
	v_cmp_lt_i32_e64 s1, v102, v12
	v_cndmask_b32_e64 v2, 0, v54, s1
	v_cmp_lt_i32_e64 s1, v101, v13
	s_delay_alu instid0(VALU_DEP_1) | instskip(SKIP_1) | instid1(VALU_DEP_1)
	v_cndmask_b32_e64 v3, 0, v29, s1
	v_cmp_lt_i32_e64 s1, v100, v12
	v_cndmask_b32_e64 v18, 0, v48, s1
	v_cmp_lt_i32_e64 s1, v99, v13
	s_delay_alu instid0(VALU_DEP_4) | instskip(NEXT) | instid1(VALU_DEP_2)
	v_or_b32_e32 v51, v1, v3
	v_dual_cndmask_b32 v19, 0, v19, s1 :: v_dual_bitop2_b32 v52, v2, v18 bitop3:0x54
	v_cmp_lt_i32_e64 s1, v98, v12
	s_delay_alu instid0(VALU_DEP_1) | instskip(SKIP_1) | instid1(VALU_DEP_1)
	v_cndmask_b32_e64 v28, 0, v28, s1
	v_cmp_lt_i32_e64 s1, v97, v13
	v_cndmask_b32_e64 v9, 0, v9, s1
	v_cmp_lt_i32_e64 s1, v96, v12
	s_delay_alu instid0(VALU_DEP_1) | instskip(NEXT) | instid1(VALU_DEP_1)
	v_dual_cndmask_b32 v6, 0, v6, s1 :: v_dual_bitop2_b32 v49, v19, v9 bitop3:0x54
	v_or_b32_e32 v50, v28, v6
.LBB261_1472:                           ;   in Loop: Header=BB261_1075 Depth=1
	s_or_b32 exec_lo, exec_lo, s19
	;;#ASMSTART
	v_pk_mul_f16 v1, v67, v51;

	;;#ASMEND
	;;#ASMSTART
	v_pk_mul_f16 v2, v65, v52;

	;;#ASMEND
	;; [unrolled: 4-line block ×4, first 2 shown]
	;;#ASMSTART
	v_pk_add_f16 v1, v1, v2;

	;;#ASMEND
	;;#ASMSTART
	v_pk_add_f16 v1, v1, v3;

	;;#ASMEND
	;; [unrolled: 4-line block ×3, first 2 shown]
	v_and_b32_e32 v2, 0xffff, v1
	v_lshrrev_b32_e32 v1, 16, v1
	;;#ASMSTART
	v_cvt_f32_f16 v116, v2;
	;;#ASMEND
	;;#ASMSTART
	v_cvt_f32_f16 v117, v1;
	;;#ASMEND
	flat_load_b64 v[48:49], v[26:27] offset:1536
	scratch_load_b64 v[2:3], off, s32 offset:192 ; 8-byte Folded Reload
	v_mov_b32_e32 v1, 0
	s_mov_b32 s19, exec_lo
	s_wait_loadcnt 0x0
	flat_load_b32 v28, v[2:3]
	s_wait_dscnt 0x1
	s_wait_xcnt 0x0
	v_and_b32_e32 v3, 0xff, v48
	v_mov_b32_e32 v2, 0
	s_delay_alu instid0(VALU_DEP_2)
	v_cmpx_ne_u16_e32 0, v3
	s_cbranch_execz .LBB261_1480
; %bb.1473:                             ;   in Loop: Header=BB261_1075 Depth=1
	v_mov_b32_e32 v2, 0x8000
	s_mov_b32 s20, exec_lo
	v_cmpx_ne_u16_e32 0x80, v3
	s_cbranch_execz .LBB261_1479
; %bb.1474:                             ;   in Loop: Header=BB261_1075 Depth=1
	v_and_b32_e32 v6, 0x7f, v48
	v_mov_b32_e32 v2, 0x7c01
	s_mov_b32 s21, exec_lo
	s_delay_alu instid0(VALU_DEP_2)
	v_cmpx_ne_u32_e32 0x7f, v6
	s_cbranch_execz .LBB261_1478
; %bb.1475:                             ;   in Loop: Header=BB261_1075 Depth=1
	v_dual_lshrrev_b32 v3, 3, v6 :: v_dual_bitop2_b32 v2, 7, v48 bitop3:0x40
	s_mov_b32 s22, exec_lo
	v_cmpx_gt_u32_e32 8, v6
; %bb.1476:                             ;   in Loop: Header=BB261_1075 Depth=1
	s_delay_alu instid0(VALU_DEP_2) | instskip(NEXT) | instid1(VALU_DEP_1)
	v_clz_i32_u32_e32 v2, v2
	v_min_u32_e32 v6, 32, v2
	s_delay_alu instid0(VALU_DEP_1) | instskip(NEXT) | instid1(VALU_DEP_1)
	v_subrev_nc_u32_e32 v2, 28, v6
	v_lshlrev_b64_e32 v[2:3], v2, v[48:49]
	v_sub_nc_u32_e32 v3, 29, v6
	s_delay_alu instid0(VALU_DEP_2)
	v_and_b32_e32 v2, 7, v2
; %bb.1477:                             ;   in Loop: Header=BB261_1075 Depth=1
	s_or_b32 exec_lo, exec_lo, s22
	s_delay_alu instid0(VALU_DEP_1) | instskip(NEXT) | instid1(VALU_DEP_3)
	v_dual_lshlrev_b32 v6, 8, v48 :: v_dual_lshlrev_b32 v2, 7, v2
	v_lshl_add_u32 v3, v3, 10, 0x2000
	s_delay_alu instid0(VALU_DEP_2) | instskip(NEXT) | instid1(VALU_DEP_2)
	v_and_b32_e32 v6, 0x8000, v6
	v_and_b32_e32 v3, 0xfc00, v3
	s_delay_alu instid0(VALU_DEP_1)
	v_or3_b32 v2, v6, v3, v2
.LBB261_1478:                           ;   in Loop: Header=BB261_1075 Depth=1
	s_or_b32 exec_lo, exec_lo, s21
.LBB261_1479:                           ;   in Loop: Header=BB261_1075 Depth=1
	s_delay_alu instid0(SALU_CYCLE_1)
	s_or_b32 exec_lo, exec_lo, s20
.LBB261_1480:                           ;   in Loop: Header=BB261_1075 Depth=1
	s_delay_alu instid0(SALU_CYCLE_1) | instskip(SKIP_2) | instid1(VALU_DEP_1)
	s_or_b32 exec_lo, exec_lo, s19
	v_lshrrev_b16 v6, 8, v48
	s_mov_b32 s19, exec_lo
	v_cmpx_ne_u16_e32 0, v6
	s_cbranch_execz .LBB261_1488
; %bb.1481:                             ;   in Loop: Header=BB261_1075 Depth=1
	v_bfrev_b32_e32 v1, 1
	s_mov_b32 s20, exec_lo
	v_cmpx_ne_u16_e32 0x80, v6
	s_cbranch_execz .LBB261_1487
; %bb.1482:                             ;   in Loop: Header=BB261_1075 Depth=1
	v_and_b32_e32 v3, 0xffff, v6
	v_mov_b32_e32 v1, 0x7c010000
	s_mov_b32 s21, exec_lo
	s_delay_alu instid0(VALU_DEP_2) | instskip(NEXT) | instid1(VALU_DEP_1)
	v_and_b32_e32 v18, 0x7f, v3
	v_cmpx_ne_u32_e32 0x7f, v18
	s_cbranch_execz .LBB261_1486
; %bb.1483:                             ;   in Loop: Header=BB261_1075 Depth=1
	v_dual_lshrrev_b32 v9, 3, v18 :: v_dual_bitop2_b32 v1, 7, v3 bitop3:0x40
	s_mov_b32 s22, exec_lo
	v_cmpx_gt_u32_e32 8, v18
; %bb.1484:                             ;   in Loop: Header=BB261_1075 Depth=1
	s_delay_alu instid0(VALU_DEP_2) | instskip(NEXT) | instid1(VALU_DEP_1)
	v_clz_i32_u32_e32 v1, v1
	v_min_u32_e32 v1, 32, v1
	s_delay_alu instid0(VALU_DEP_1) | instskip(NEXT) | instid1(VALU_DEP_1)
	v_subrev_nc_u32_e32 v9, 28, v1
	v_lshlrev_b64_e32 v[18:19], v9, v[6:7]
	s_delay_alu instid0(VALU_DEP_1)
	v_dual_sub_nc_u32 v9, 29, v1 :: v_dual_bitop2_b32 v1, 7, v18 bitop3:0x40
; %bb.1485:                             ;   in Loop: Header=BB261_1075 Depth=1
	s_or_b32 exec_lo, exec_lo, s22
	s_delay_alu instid0(VALU_DEP_1) | instskip(NEXT) | instid1(VALU_DEP_2)
	v_dual_lshlrev_b32 v3, 8, v3 :: v_dual_lshlrev_b32 v1, 23, v1
	v_lshl_add_u32 v6, v9, 10, 0x2000
	s_delay_alu instid0(VALU_DEP_1) | instskip(NEXT) | instid1(VALU_DEP_1)
	v_and_or_b32 v3, 0x8000, v3, v6
	v_lshl_or_b32 v1, v3, 16, v1
.LBB261_1486:                           ;   in Loop: Header=BB261_1075 Depth=1
	s_or_b32 exec_lo, exec_lo, s21
.LBB261_1487:                           ;   in Loop: Header=BB261_1075 Depth=1
	s_delay_alu instid0(SALU_CYCLE_1)
	s_or_b32 exec_lo, exec_lo, s20
.LBB261_1488:                           ;   in Loop: Header=BB261_1075 Depth=1
	s_delay_alu instid0(SALU_CYCLE_1) | instskip(SKIP_3) | instid1(VALU_DEP_2)
	s_or_b32 exec_lo, exec_lo, s19
	v_dual_mov_b32 v3, 0 :: v_dual_lshrrev_b32 v6, 16, v48
	v_mov_b32_e32 v9, 0
	s_mov_b32 s19, exec_lo
	v_and_b32_e32 v18, 0xff, v6
	s_delay_alu instid0(VALU_DEP_1)
	v_cmpx_ne_u16_e32 0, v18
	s_cbranch_execz .LBB261_1496
; %bb.1489:                             ;   in Loop: Header=BB261_1075 Depth=1
	v_mov_b32_e32 v9, 0x8000
	s_mov_b32 s20, exec_lo
	v_cmpx_ne_u16_e32 0x80, v18
	s_cbranch_execz .LBB261_1495
; %bb.1490:                             ;   in Loop: Header=BB261_1075 Depth=1
	v_bfe_u32 v19, v48, 16, 7
	v_mov_b32_e32 v9, 0x7c01
	s_mov_b32 s21, exec_lo
	s_delay_alu instid0(VALU_DEP_2)
	v_cmpx_ne_u32_e32 0x7f, v19
	s_cbranch_execz .LBB261_1494
; %bb.1491:                             ;   in Loop: Header=BB261_1075 Depth=1
	v_dual_lshrrev_b32 v18, 3, v19 :: v_dual_bitop2_b32 v9, 7, v6 bitop3:0x40
	s_mov_b32 s22, exec_lo
	v_cmpx_gt_u32_e32 8, v19
; %bb.1492:                             ;   in Loop: Header=BB261_1075 Depth=1
	s_delay_alu instid0(VALU_DEP_2) | instskip(NEXT) | instid1(VALU_DEP_1)
	v_clz_i32_u32_e32 v9, v9
	v_min_u32_e32 v9, 32, v9
	s_delay_alu instid0(VALU_DEP_1) | instskip(NEXT) | instid1(VALU_DEP_1)
	v_subrev_nc_u32_e32 v18, 28, v9
	v_lshlrev_b64_e32 v[50:51], v18, v[6:7]
	s_delay_alu instid0(VALU_DEP_1)
	v_dual_sub_nc_u32 v18, 29, v9 :: v_dual_bitop2_b32 v9, 7, v50 bitop3:0x40
; %bb.1493:                             ;   in Loop: Header=BB261_1075 Depth=1
	s_or_b32 exec_lo, exec_lo, s22
	s_delay_alu instid0(VALU_DEP_1) | instskip(NEXT) | instid1(VALU_DEP_2)
	v_dual_lshlrev_b32 v6, 8, v6 :: v_dual_lshlrev_b32 v9, 7, v9
	v_lshl_add_u32 v18, v18, 10, 0x2000
	s_delay_alu instid0(VALU_DEP_2) | instskip(NEXT) | instid1(VALU_DEP_2)
	v_and_b32_e32 v6, 0x8000, v6
	v_and_b32_e32 v18, 0xfc00, v18
	s_delay_alu instid0(VALU_DEP_1)
	v_or3_b32 v9, v6, v18, v9
.LBB261_1494:                           ;   in Loop: Header=BB261_1075 Depth=1
	s_or_b32 exec_lo, exec_lo, s21
.LBB261_1495:                           ;   in Loop: Header=BB261_1075 Depth=1
	s_delay_alu instid0(SALU_CYCLE_1)
	s_or_b32 exec_lo, exec_lo, s20
.LBB261_1496:                           ;   in Loop: Header=BB261_1075 Depth=1
	s_delay_alu instid0(SALU_CYCLE_1) | instskip(NEXT) | instid1(SALU_CYCLE_1)
	s_or_b32 exec_lo, exec_lo, s19
	s_mov_b32 s19, exec_lo
	v_cmpx_lt_u32_e32 0xffffff, v48
	s_cbranch_execz .LBB261_1504
; %bb.1497:                             ;   in Loop: Header=BB261_1075 Depth=1
	v_lshrrev_b32_e32 v6, 24, v48
	v_bfrev_b32_e32 v3, 1
	s_mov_b32 s20, exec_lo
	s_delay_alu instid0(VALU_DEP_2)
	v_cmpx_ne_u32_e32 0x80, v6
	s_cbranch_execz .LBB261_1503
; %bb.1498:                             ;   in Loop: Header=BB261_1075 Depth=1
	v_and_b32_e32 v19, 0x7f, v6
	v_mov_b32_e32 v3, 0x7c010000
	s_mov_b32 s21, exec_lo
	s_delay_alu instid0(VALU_DEP_2)
	v_cmpx_ne_u32_e32 0x7f, v19
	s_cbranch_execz .LBB261_1502
; %bb.1499:                             ;   in Loop: Header=BB261_1075 Depth=1
	v_dual_lshrrev_b32 v18, 3, v19 :: v_dual_bitop2_b32 v3, 7, v6 bitop3:0x40
	s_mov_b32 s22, exec_lo
	v_cmpx_gt_u32_e32 8, v19
; %bb.1500:                             ;   in Loop: Header=BB261_1075 Depth=1
	s_delay_alu instid0(VALU_DEP_2) | instskip(NEXT) | instid1(VALU_DEP_1)
	v_clz_i32_u32_e32 v3, v3
	v_min_u32_e32 v3, 32, v3
	s_delay_alu instid0(VALU_DEP_1) | instskip(NEXT) | instid1(VALU_DEP_1)
	v_subrev_nc_u32_e32 v18, 28, v3
	v_lshlrev_b64_e32 v[50:51], v18, v[6:7]
	s_delay_alu instid0(VALU_DEP_1)
	v_dual_sub_nc_u32 v18, 29, v3 :: v_dual_bitop2_b32 v3, 7, v50 bitop3:0x40
; %bb.1501:                             ;   in Loop: Header=BB261_1075 Depth=1
	s_or_b32 exec_lo, exec_lo, s22
	s_delay_alu instid0(VALU_DEP_1) | instskip(NEXT) | instid1(VALU_DEP_2)
	v_dual_lshlrev_b32 v6, 8, v6 :: v_dual_lshlrev_b32 v3, 23, v3
	v_lshl_add_u32 v18, v18, 10, 0x2000
	s_delay_alu instid0(VALU_DEP_1) | instskip(NEXT) | instid1(VALU_DEP_1)
	v_and_or_b32 v6, 0x8000, v6, v18
	v_lshl_or_b32 v3, v6, 16, v3
.LBB261_1502:                           ;   in Loop: Header=BB261_1075 Depth=1
	s_or_b32 exec_lo, exec_lo, s21
.LBB261_1503:                           ;   in Loop: Header=BB261_1075 Depth=1
	s_delay_alu instid0(SALU_CYCLE_1)
	s_or_b32 exec_lo, exec_lo, s20
.LBB261_1504:                           ;   in Loop: Header=BB261_1075 Depth=1
	s_delay_alu instid0(SALU_CYCLE_1) | instskip(SKIP_4) | instid1(VALU_DEP_3)
	s_or_b32 exec_lo, exec_lo, s19
	v_and_b32_e32 v29, 0xff, v49
	v_dual_mov_b32 v6, v49 :: v_dual_mov_b32 v19, 0
	v_mov_b32_e32 v18, 0
	s_mov_b32 s19, exec_lo
	v_cmpx_ne_u16_e32 0, v29
	s_cbranch_execz .LBB261_1512
; %bb.1505:                             ;   in Loop: Header=BB261_1075 Depth=1
	v_mov_b32_e32 v18, 0x8000
	s_mov_b32 s20, exec_lo
	v_cmpx_ne_u16_e32 0x80, v29
	s_cbranch_execz .LBB261_1511
; %bb.1506:                             ;   in Loop: Header=BB261_1075 Depth=1
	v_and_b32_e32 v50, 0x7f, v49
	v_mov_b32_e32 v18, 0x7c01
	s_mov_b32 s21, exec_lo
	s_delay_alu instid0(VALU_DEP_2)
	v_cmpx_ne_u32_e32 0x7f, v50
	s_cbranch_execz .LBB261_1510
; %bb.1507:                             ;   in Loop: Header=BB261_1075 Depth=1
	v_dual_lshrrev_b32 v29, 3, v50 :: v_dual_bitop2_b32 v18, 7, v49 bitop3:0x40
	s_mov_b32 s22, exec_lo
	v_cmpx_gt_u32_e32 8, v50
; %bb.1508:                             ;   in Loop: Header=BB261_1075 Depth=1
	s_delay_alu instid0(VALU_DEP_2) | instskip(NEXT) | instid1(VALU_DEP_1)
	v_clz_i32_u32_e32 v18, v18
	v_min_u32_e32 v18, 32, v18
	s_delay_alu instid0(VALU_DEP_1) | instskip(NEXT) | instid1(VALU_DEP_1)
	v_subrev_nc_u32_e32 v29, 28, v18
	v_lshlrev_b64_e32 v[50:51], v29, v[6:7]
	v_sub_nc_u32_e32 v29, 29, v18
	s_delay_alu instid0(VALU_DEP_2)
	v_and_b32_e32 v18, 7, v50
; %bb.1509:                             ;   in Loop: Header=BB261_1075 Depth=1
	s_or_b32 exec_lo, exec_lo, s22
	s_delay_alu instid0(VALU_DEP_1) | instskip(NEXT) | instid1(VALU_DEP_3)
	v_dual_lshlrev_b32 v50, 8, v49 :: v_dual_lshlrev_b32 v18, 7, v18
	v_lshl_add_u32 v29, v29, 10, 0x2000
	s_delay_alu instid0(VALU_DEP_2) | instskip(NEXT) | instid1(VALU_DEP_2)
	v_and_b32_e32 v50, 0x8000, v50
	v_and_b32_e32 v29, 0xfc00, v29
	s_delay_alu instid0(VALU_DEP_1)
	v_or3_b32 v18, v50, v29, v18
.LBB261_1510:                           ;   in Loop: Header=BB261_1075 Depth=1
	s_or_b32 exec_lo, exec_lo, s21
.LBB261_1511:                           ;   in Loop: Header=BB261_1075 Depth=1
	s_delay_alu instid0(SALU_CYCLE_1)
	s_or_b32 exec_lo, exec_lo, s20
.LBB261_1512:                           ;   in Loop: Header=BB261_1075 Depth=1
	s_delay_alu instid0(SALU_CYCLE_1) | instskip(SKIP_3) | instid1(VALU_DEP_2)
	s_or_b32 exec_lo, exec_lo, s19
	v_lshrrev_b16 v6, 8, v6
	v_mov_b32_e32 v29, 0
	s_mov_b32 s19, exec_lo
	v_cmpx_ne_u16_e32 0, v6
	s_cbranch_execz .LBB261_1520
; %bb.1513:                             ;   in Loop: Header=BB261_1075 Depth=1
	v_bfrev_b32_e32 v29, 1
	s_mov_b32 s20, exec_lo
	v_cmpx_ne_u16_e32 0x80, v6
	s_cbranch_execz .LBB261_1519
; %bb.1514:                             ;   in Loop: Header=BB261_1075 Depth=1
	v_and_b32_e32 v50, 0xffff, v6
	v_mov_b32_e32 v29, 0x7c010000
	s_mov_b32 s21, exec_lo
	s_delay_alu instid0(VALU_DEP_2) | instskip(NEXT) | instid1(VALU_DEP_1)
	v_and_b32_e32 v52, 0x7f, v50
	v_cmpx_ne_u32_e32 0x7f, v52
	s_cbranch_execz .LBB261_1518
; %bb.1515:                             ;   in Loop: Header=BB261_1075 Depth=1
	v_dual_lshrrev_b32 v51, 3, v52 :: v_dual_bitop2_b32 v29, 7, v50 bitop3:0x40
	s_mov_b32 s22, exec_lo
	v_cmpx_gt_u32_e32 8, v52
; %bb.1516:                             ;   in Loop: Header=BB261_1075 Depth=1
	s_delay_alu instid0(VALU_DEP_2) | instskip(NEXT) | instid1(VALU_DEP_1)
	v_clz_i32_u32_e32 v29, v29
	v_min_u32_e32 v29, 32, v29
	s_delay_alu instid0(VALU_DEP_1) | instskip(NEXT) | instid1(VALU_DEP_1)
	v_subrev_nc_u32_e32 v51, 28, v29
	v_lshlrev_b64_e32 v[52:53], v51, v[6:7]
	s_delay_alu instid0(VALU_DEP_1)
	v_dual_sub_nc_u32 v51, 29, v29 :: v_dual_bitop2_b32 v29, 7, v52 bitop3:0x40
; %bb.1517:                             ;   in Loop: Header=BB261_1075 Depth=1
	s_or_b32 exec_lo, exec_lo, s22
	s_delay_alu instid0(VALU_DEP_1) | instskip(NEXT) | instid1(VALU_DEP_2)
	v_dual_lshlrev_b32 v6, 8, v50 :: v_dual_lshlrev_b32 v29, 23, v29
	v_lshl_add_u32 v50, v51, 10, 0x2000
	s_delay_alu instid0(VALU_DEP_1) | instskip(NEXT) | instid1(VALU_DEP_1)
	v_and_or_b32 v6, 0x8000, v6, v50
	v_lshl_or_b32 v29, v6, 16, v29
.LBB261_1518:                           ;   in Loop: Header=BB261_1075 Depth=1
	s_or_b32 exec_lo, exec_lo, s21
.LBB261_1519:                           ;   in Loop: Header=BB261_1075 Depth=1
	s_delay_alu instid0(SALU_CYCLE_1)
	s_or_b32 exec_lo, exec_lo, s20
.LBB261_1520:                           ;   in Loop: Header=BB261_1075 Depth=1
	s_delay_alu instid0(SALU_CYCLE_1) | instskip(SKIP_2) | instid1(VALU_DEP_1)
	s_or_b32 exec_lo, exec_lo, s19
	v_lshrrev_b32_e32 v6, 16, v49
	s_mov_b32 s19, exec_lo
	v_and_b32_e32 v50, 0xff, v6
	s_delay_alu instid0(VALU_DEP_1)
	v_cmpx_ne_u16_e32 0, v50
	s_cbranch_execz .LBB261_1528
; %bb.1521:                             ;   in Loop: Header=BB261_1075 Depth=1
	v_mov_b32_e32 v19, 0x8000
	s_mov_b32 s20, exec_lo
	v_cmpx_ne_u16_e32 0x80, v50
	s_cbranch_execz .LBB261_1527
; %bb.1522:                             ;   in Loop: Header=BB261_1075 Depth=1
	v_bfe_u32 v51, v49, 16, 7
	v_mov_b32_e32 v19, 0x7c01
	s_mov_b32 s21, exec_lo
	s_delay_alu instid0(VALU_DEP_2)
	v_cmpx_ne_u32_e32 0x7f, v51
	s_cbranch_execz .LBB261_1526
; %bb.1523:                             ;   in Loop: Header=BB261_1075 Depth=1
	v_dual_lshrrev_b32 v50, 3, v51 :: v_dual_bitop2_b32 v19, 7, v6 bitop3:0x40
	s_mov_b32 s22, exec_lo
	v_cmpx_gt_u32_e32 8, v51
; %bb.1524:                             ;   in Loop: Header=BB261_1075 Depth=1
	s_delay_alu instid0(VALU_DEP_2) | instskip(NEXT) | instid1(VALU_DEP_1)
	v_clz_i32_u32_e32 v19, v19
	v_min_u32_e32 v19, 32, v19
	s_delay_alu instid0(VALU_DEP_1) | instskip(NEXT) | instid1(VALU_DEP_1)
	v_subrev_nc_u32_e32 v50, 28, v19
	v_lshlrev_b64_e32 v[52:53], v50, v[6:7]
	s_delay_alu instid0(VALU_DEP_1)
	v_dual_sub_nc_u32 v50, 29, v19 :: v_dual_bitop2_b32 v19, 7, v52 bitop3:0x40
; %bb.1525:                             ;   in Loop: Header=BB261_1075 Depth=1
	s_or_b32 exec_lo, exec_lo, s22
	s_delay_alu instid0(VALU_DEP_1) | instskip(NEXT) | instid1(VALU_DEP_2)
	v_dual_lshlrev_b32 v6, 8, v6 :: v_dual_lshlrev_b32 v19, 7, v19
	v_lshl_add_u32 v50, v50, 10, 0x2000
	s_delay_alu instid0(VALU_DEP_2) | instskip(NEXT) | instid1(VALU_DEP_2)
	v_and_b32_e32 v6, 0x8000, v6
	v_and_b32_e32 v50, 0xfc00, v50
	s_delay_alu instid0(VALU_DEP_1)
	v_or3_b32 v19, v6, v50, v19
.LBB261_1526:                           ;   in Loop: Header=BB261_1075 Depth=1
	s_or_b32 exec_lo, exec_lo, s21
.LBB261_1527:                           ;   in Loop: Header=BB261_1075 Depth=1
	s_delay_alu instid0(SALU_CYCLE_1)
	s_or_b32 exec_lo, exec_lo, s20
.LBB261_1528:                           ;   in Loop: Header=BB261_1075 Depth=1
	s_delay_alu instid0(SALU_CYCLE_1)
	s_or_b32 exec_lo, exec_lo, s19
	v_cmp_lt_u64_e64 s1, s[2:3], v[48:49]
	v_mov_b32_e32 v48, 0
	s_and_saveexec_b32 s19, s1
	s_cbranch_execz .LBB261_1536
; %bb.1529:                             ;   in Loop: Header=BB261_1075 Depth=1
	v_lshrrev_b32_e32 v6, 24, v49
	v_bfrev_b32_e32 v48, 1
	s_mov_b32 s20, exec_lo
	s_delay_alu instid0(VALU_DEP_2)
	v_cmpx_ne_u32_e32 0x80, v6
	s_cbranch_execz .LBB261_1535
; %bb.1530:                             ;   in Loop: Header=BB261_1075 Depth=1
	v_and_b32_e32 v50, 0x7f, v6
	v_mov_b32_e32 v48, 0x7c010000
	s_mov_b32 s21, exec_lo
	s_delay_alu instid0(VALU_DEP_2)
	v_cmpx_ne_u32_e32 0x7f, v50
	s_cbranch_execz .LBB261_1534
; %bb.1531:                             ;   in Loop: Header=BB261_1075 Depth=1
	v_and_b32_e32 v48, 7, v6
	v_lshrrev_b32_e32 v49, 3, v50
	s_mov_b32 s22, exec_lo
	v_cmpx_gt_u32_e32 8, v50
; %bb.1532:                             ;   in Loop: Header=BB261_1075 Depth=1
	s_delay_alu instid0(VALU_DEP_3) | instskip(NEXT) | instid1(VALU_DEP_1)
	v_clz_i32_u32_e32 v48, v48
	v_min_u32_e32 v50, 32, v48
	s_delay_alu instid0(VALU_DEP_1) | instskip(NEXT) | instid1(VALU_DEP_1)
	v_subrev_nc_u32_e32 v48, 28, v50
	v_lshlrev_b64_e32 v[48:49], v48, v[6:7]
	s_delay_alu instid0(VALU_DEP_1)
	v_dual_sub_nc_u32 v49, 29, v50 :: v_dual_bitop2_b32 v48, 7, v48 bitop3:0x40
; %bb.1533:                             ;   in Loop: Header=BB261_1075 Depth=1
	s_or_b32 exec_lo, exec_lo, s22
	s_delay_alu instid0(VALU_DEP_1) | instskip(NEXT) | instid1(VALU_DEP_2)
	v_dual_lshlrev_b32 v6, 8, v6 :: v_dual_lshlrev_b32 v48, 23, v48
	v_lshl_add_u32 v49, v49, 10, 0x2000
	s_delay_alu instid0(VALU_DEP_1) | instskip(NEXT) | instid1(VALU_DEP_1)
	v_and_or_b32 v6, 0x8000, v6, v49
	v_lshl_or_b32 v48, v6, 16, v48
.LBB261_1534:                           ;   in Loop: Header=BB261_1075 Depth=1
	s_or_b32 exec_lo, exec_lo, s21
.LBB261_1535:                           ;   in Loop: Header=BB261_1075 Depth=1
	s_delay_alu instid0(SALU_CYCLE_1)
	s_or_b32 exec_lo, exec_lo, s20
.LBB261_1536:                           ;   in Loop: Header=BB261_1075 Depth=1
	s_delay_alu instid0(SALU_CYCLE_1) | instskip(SKIP_3) | instid1(VALU_DEP_3)
	s_or_b32 exec_lo, exec_lo, s19
	v_dual_lshrrev_b32 v6, 16, v1 :: v_dual_lshrrev_b32 v49, 16, v3
	v_dual_lshrrev_b32 v50, 16, v48 :: v_dual_bitop2_b32 v9, v3, v9 bitop3:0x54
	v_or_b32_e32 v1, v1, v2
	v_cvt_f32_f16_e32 v3, v6
	s_delay_alu instid0(VALU_DEP_4)
	v_cvt_f32_f16_e32 v2, v49
	v_dual_lshrrev_b32 v19, 16, v29 :: v_dual_bitop2_b32 v6, v48, v19 bitop3:0x54
	v_cvt_f32_f16_e32 v48, v9
	v_or_b32_e32 v9, v29, v18
	s_wait_loadcnt_dscnt 0x0
	v_pk_mul_f32 v[2:3], v[28:29], v[2:3] op_sel_hi:[0,1]
	v_cvt_f32_f16_e32 v49, v1
	v_cvt_f32_f16_e32 v19, v19
	;; [unrolled: 1-line block ×5, first 2 shown]
	v_pk_mul_f32 v[48:49], v[28:29], v[48:49] op_sel_hi:[0,1]
	v_cvt_pk_f16_f32 v1, v2, v3
	v_pk_mul_f32 v[2:3], v[28:29], v[18:19] op_sel_hi:[0,1]
	s_delay_alu instid0(VALU_DEP_4) | instskip(NEXT) | instid1(VALU_DEP_4)
	v_pk_mul_f32 v[18:19], v[28:29], v[50:51] op_sel_hi:[0,1]
	v_cvt_pk_f16_f32 v6, v48, v49
	s_delay_alu instid0(VALU_DEP_4) | instskip(NEXT) | instid1(VALU_DEP_4)
	v_and_b32_e32 v29, 0xffff0000, v1
	v_cvt_pk_f16_f32 v2, v2, v3
	v_lshlrev_b32_e32 v48, 16, v1
	v_cvt_pk_f16_f32 v1, v18, v19
	v_and_b32_e32 v54, 0xffff, v6
	s_delay_alu instid0(VALU_DEP_4) | instskip(NEXT) | instid1(VALU_DEP_3)
	v_and_b32_e32 v9, 0xffff0000, v2
	v_dual_lshrrev_b32 v19, 16, v1 :: v_dual_lshrrev_b32 v53, 16, v6
	v_and_b32_e32 v28, 0xffff, v1
	s_delay_alu instid0(VALU_DEP_4) | instskip(NEXT) | instid1(VALU_DEP_3)
	v_or_b32_e32 v52, v48, v54
	v_dual_lshlrev_b32 v6, 16, v2 :: v_dual_bitop2_b32 v49, v9, v19 bitop3:0x54
	s_delay_alu instid0(VALU_DEP_4) | instskip(NEXT) | instid1(VALU_DEP_2)
	v_or_b32_e32 v51, v29, v53
	v_or_b32_e32 v50, v6, v28
	s_and_saveexec_b32 s19, vcc_lo
	s_cbranch_execz .LBB261_1538
; %bb.1537:                             ;   in Loop: Header=BB261_1075 Depth=1
	v_cmp_lt_i32_e64 s1, v87, v13
	s_delay_alu instid0(VALU_DEP_1) | instskip(SKIP_1) | instid1(VALU_DEP_1)
	v_cndmask_b32_e64 v1, 0, v53, s1
	v_cmp_lt_i32_e64 s1, v102, v12
	v_cndmask_b32_e64 v2, 0, v54, s1
	v_cmp_lt_i32_e64 s1, v101, v13
	s_delay_alu instid0(VALU_DEP_1) | instskip(SKIP_1) | instid1(VALU_DEP_1)
	v_cndmask_b32_e64 v3, 0, v29, s1
	v_cmp_lt_i32_e64 s1, v100, v12
	v_cndmask_b32_e64 v18, 0, v48, s1
	v_cmp_lt_i32_e64 s1, v99, v13
	s_delay_alu instid0(VALU_DEP_4) | instskip(NEXT) | instid1(VALU_DEP_2)
	v_or_b32_e32 v51, v1, v3
	v_dual_cndmask_b32 v19, 0, v19, s1 :: v_dual_bitop2_b32 v52, v2, v18 bitop3:0x54
	v_cmp_lt_i32_e64 s1, v98, v12
	s_delay_alu instid0(VALU_DEP_1) | instskip(SKIP_1) | instid1(VALU_DEP_1)
	v_cndmask_b32_e64 v28, 0, v28, s1
	v_cmp_lt_i32_e64 s1, v97, v13
	v_cndmask_b32_e64 v9, 0, v9, s1
	v_cmp_lt_i32_e64 s1, v96, v12
	s_delay_alu instid0(VALU_DEP_1) | instskip(NEXT) | instid1(VALU_DEP_1)
	v_dual_cndmask_b32 v6, 0, v6, s1 :: v_dual_bitop2_b32 v49, v19, v9 bitop3:0x54
	v_or_b32_e32 v50, v28, v6
.LBB261_1538:                           ;   in Loop: Header=BB261_1075 Depth=1
	s_or_b32 exec_lo, exec_lo, s19
	;;#ASMSTART
	v_pk_mul_f16 v1, v67, v51;

	;;#ASMEND
	;;#ASMSTART
	v_pk_mul_f16 v2, v65, v52;

	;;#ASMEND
	;; [unrolled: 4-line block ×4, first 2 shown]
	;;#ASMSTART
	v_pk_add_f16 v1, v1, v2;

	;;#ASMEND
	;;#ASMSTART
	v_pk_add_f16 v1, v1, v3;

	;;#ASMEND
	;;#ASMSTART
	v_pk_add_f16 v1, v1, v6;

	;;#ASMEND
	v_and_b32_e32 v2, 0xffff, v1
	v_lshrrev_b32_e32 v1, 16, v1
	;;#ASMSTART
	v_cvt_f32_f16 v118, v2;
	;;#ASMEND
	;;#ASMSTART
	v_cvt_f32_f16 v119, v1;
	;;#ASMEND
	flat_load_b64 v[48:49], v[26:27] offset:1792
	scratch_load_b64 v[2:3], off, s32 offset:192 ; 8-byte Folded Reload
	v_mov_b32_e32 v1, 0
	s_mov_b32 s19, exec_lo
	s_wait_loadcnt 0x0
	flat_load_b32 v28, v[2:3]
	s_wait_dscnt 0x1
	s_wait_xcnt 0x0
	v_and_b32_e32 v3, 0xff, v48
	v_mov_b32_e32 v2, 0
	s_delay_alu instid0(VALU_DEP_2)
	v_cmpx_ne_u16_e32 0, v3
	s_cbranch_execz .LBB261_1546
; %bb.1539:                             ;   in Loop: Header=BB261_1075 Depth=1
	v_mov_b32_e32 v2, 0x8000
	s_mov_b32 s20, exec_lo
	v_cmpx_ne_u16_e32 0x80, v3
	s_cbranch_execz .LBB261_1545
; %bb.1540:                             ;   in Loop: Header=BB261_1075 Depth=1
	v_and_b32_e32 v6, 0x7f, v48
	v_mov_b32_e32 v2, 0x7c01
	s_mov_b32 s21, exec_lo
	s_delay_alu instid0(VALU_DEP_2)
	v_cmpx_ne_u32_e32 0x7f, v6
	s_cbranch_execz .LBB261_1544
; %bb.1541:                             ;   in Loop: Header=BB261_1075 Depth=1
	v_dual_lshrrev_b32 v3, 3, v6 :: v_dual_bitop2_b32 v2, 7, v48 bitop3:0x40
	s_mov_b32 s22, exec_lo
	v_cmpx_gt_u32_e32 8, v6
; %bb.1542:                             ;   in Loop: Header=BB261_1075 Depth=1
	s_delay_alu instid0(VALU_DEP_2) | instskip(NEXT) | instid1(VALU_DEP_1)
	v_clz_i32_u32_e32 v2, v2
	v_min_u32_e32 v6, 32, v2
	s_delay_alu instid0(VALU_DEP_1) | instskip(NEXT) | instid1(VALU_DEP_1)
	v_subrev_nc_u32_e32 v2, 28, v6
	v_lshlrev_b64_e32 v[2:3], v2, v[48:49]
	v_sub_nc_u32_e32 v3, 29, v6
	s_delay_alu instid0(VALU_DEP_2)
	v_and_b32_e32 v2, 7, v2
; %bb.1543:                             ;   in Loop: Header=BB261_1075 Depth=1
	s_or_b32 exec_lo, exec_lo, s22
	s_delay_alu instid0(VALU_DEP_1) | instskip(NEXT) | instid1(VALU_DEP_3)
	v_dual_lshlrev_b32 v6, 8, v48 :: v_dual_lshlrev_b32 v2, 7, v2
	v_lshl_add_u32 v3, v3, 10, 0x2000
	s_delay_alu instid0(VALU_DEP_2) | instskip(NEXT) | instid1(VALU_DEP_2)
	v_and_b32_e32 v6, 0x8000, v6
	v_and_b32_e32 v3, 0xfc00, v3
	s_delay_alu instid0(VALU_DEP_1)
	v_or3_b32 v2, v6, v3, v2
.LBB261_1544:                           ;   in Loop: Header=BB261_1075 Depth=1
	s_or_b32 exec_lo, exec_lo, s21
.LBB261_1545:                           ;   in Loop: Header=BB261_1075 Depth=1
	s_delay_alu instid0(SALU_CYCLE_1)
	s_or_b32 exec_lo, exec_lo, s20
.LBB261_1546:                           ;   in Loop: Header=BB261_1075 Depth=1
	s_delay_alu instid0(SALU_CYCLE_1) | instskip(SKIP_2) | instid1(VALU_DEP_1)
	s_or_b32 exec_lo, exec_lo, s19
	v_lshrrev_b16 v6, 8, v48
	s_mov_b32 s19, exec_lo
	v_cmpx_ne_u16_e32 0, v6
	s_cbranch_execz .LBB261_1554
; %bb.1547:                             ;   in Loop: Header=BB261_1075 Depth=1
	v_bfrev_b32_e32 v1, 1
	s_mov_b32 s20, exec_lo
	v_cmpx_ne_u16_e32 0x80, v6
	s_cbranch_execz .LBB261_1553
; %bb.1548:                             ;   in Loop: Header=BB261_1075 Depth=1
	v_and_b32_e32 v3, 0xffff, v6
	v_mov_b32_e32 v1, 0x7c010000
	s_mov_b32 s21, exec_lo
	s_delay_alu instid0(VALU_DEP_2) | instskip(NEXT) | instid1(VALU_DEP_1)
	v_and_b32_e32 v18, 0x7f, v3
	v_cmpx_ne_u32_e32 0x7f, v18
	s_cbranch_execz .LBB261_1552
; %bb.1549:                             ;   in Loop: Header=BB261_1075 Depth=1
	v_dual_lshrrev_b32 v9, 3, v18 :: v_dual_bitop2_b32 v1, 7, v3 bitop3:0x40
	s_mov_b32 s22, exec_lo
	v_cmpx_gt_u32_e32 8, v18
; %bb.1550:                             ;   in Loop: Header=BB261_1075 Depth=1
	s_delay_alu instid0(VALU_DEP_2) | instskip(NEXT) | instid1(VALU_DEP_1)
	v_clz_i32_u32_e32 v1, v1
	v_min_u32_e32 v1, 32, v1
	s_delay_alu instid0(VALU_DEP_1) | instskip(NEXT) | instid1(VALU_DEP_1)
	v_subrev_nc_u32_e32 v9, 28, v1
	v_lshlrev_b64_e32 v[18:19], v9, v[6:7]
	s_delay_alu instid0(VALU_DEP_1)
	v_dual_sub_nc_u32 v9, 29, v1 :: v_dual_bitop2_b32 v1, 7, v18 bitop3:0x40
; %bb.1551:                             ;   in Loop: Header=BB261_1075 Depth=1
	s_or_b32 exec_lo, exec_lo, s22
	s_delay_alu instid0(VALU_DEP_1) | instskip(NEXT) | instid1(VALU_DEP_2)
	v_dual_lshlrev_b32 v3, 8, v3 :: v_dual_lshlrev_b32 v1, 23, v1
	v_lshl_add_u32 v6, v9, 10, 0x2000
	s_delay_alu instid0(VALU_DEP_1) | instskip(NEXT) | instid1(VALU_DEP_1)
	v_and_or_b32 v3, 0x8000, v3, v6
	v_lshl_or_b32 v1, v3, 16, v1
.LBB261_1552:                           ;   in Loop: Header=BB261_1075 Depth=1
	s_or_b32 exec_lo, exec_lo, s21
.LBB261_1553:                           ;   in Loop: Header=BB261_1075 Depth=1
	s_delay_alu instid0(SALU_CYCLE_1)
	s_or_b32 exec_lo, exec_lo, s20
.LBB261_1554:                           ;   in Loop: Header=BB261_1075 Depth=1
	s_delay_alu instid0(SALU_CYCLE_1) | instskip(SKIP_3) | instid1(VALU_DEP_2)
	s_or_b32 exec_lo, exec_lo, s19
	v_dual_mov_b32 v3, 0 :: v_dual_lshrrev_b32 v6, 16, v48
	v_mov_b32_e32 v9, 0
	s_mov_b32 s19, exec_lo
	v_and_b32_e32 v18, 0xff, v6
	s_delay_alu instid0(VALU_DEP_1)
	v_cmpx_ne_u16_e32 0, v18
	s_cbranch_execz .LBB261_1562
; %bb.1555:                             ;   in Loop: Header=BB261_1075 Depth=1
	v_mov_b32_e32 v9, 0x8000
	s_mov_b32 s20, exec_lo
	v_cmpx_ne_u16_e32 0x80, v18
	s_cbranch_execz .LBB261_1561
; %bb.1556:                             ;   in Loop: Header=BB261_1075 Depth=1
	v_bfe_u32 v19, v48, 16, 7
	v_mov_b32_e32 v9, 0x7c01
	s_mov_b32 s21, exec_lo
	s_delay_alu instid0(VALU_DEP_2)
	v_cmpx_ne_u32_e32 0x7f, v19
	s_cbranch_execz .LBB261_1560
; %bb.1557:                             ;   in Loop: Header=BB261_1075 Depth=1
	v_dual_lshrrev_b32 v18, 3, v19 :: v_dual_bitop2_b32 v9, 7, v6 bitop3:0x40
	s_mov_b32 s22, exec_lo
	v_cmpx_gt_u32_e32 8, v19
; %bb.1558:                             ;   in Loop: Header=BB261_1075 Depth=1
	s_delay_alu instid0(VALU_DEP_2) | instskip(NEXT) | instid1(VALU_DEP_1)
	v_clz_i32_u32_e32 v9, v9
	v_min_u32_e32 v9, 32, v9
	s_delay_alu instid0(VALU_DEP_1) | instskip(NEXT) | instid1(VALU_DEP_1)
	v_subrev_nc_u32_e32 v18, 28, v9
	v_lshlrev_b64_e32 v[50:51], v18, v[6:7]
	s_delay_alu instid0(VALU_DEP_1)
	v_dual_sub_nc_u32 v18, 29, v9 :: v_dual_bitop2_b32 v9, 7, v50 bitop3:0x40
; %bb.1559:                             ;   in Loop: Header=BB261_1075 Depth=1
	s_or_b32 exec_lo, exec_lo, s22
	s_delay_alu instid0(VALU_DEP_1) | instskip(NEXT) | instid1(VALU_DEP_2)
	v_dual_lshlrev_b32 v6, 8, v6 :: v_dual_lshlrev_b32 v9, 7, v9
	v_lshl_add_u32 v18, v18, 10, 0x2000
	s_delay_alu instid0(VALU_DEP_2) | instskip(NEXT) | instid1(VALU_DEP_2)
	v_and_b32_e32 v6, 0x8000, v6
	v_and_b32_e32 v18, 0xfc00, v18
	s_delay_alu instid0(VALU_DEP_1)
	v_or3_b32 v9, v6, v18, v9
.LBB261_1560:                           ;   in Loop: Header=BB261_1075 Depth=1
	s_or_b32 exec_lo, exec_lo, s21
.LBB261_1561:                           ;   in Loop: Header=BB261_1075 Depth=1
	s_delay_alu instid0(SALU_CYCLE_1)
	s_or_b32 exec_lo, exec_lo, s20
.LBB261_1562:                           ;   in Loop: Header=BB261_1075 Depth=1
	s_delay_alu instid0(SALU_CYCLE_1) | instskip(NEXT) | instid1(SALU_CYCLE_1)
	s_or_b32 exec_lo, exec_lo, s19
	s_mov_b32 s19, exec_lo
	v_cmpx_lt_u32_e32 0xffffff, v48
	s_cbranch_execz .LBB261_1570
; %bb.1563:                             ;   in Loop: Header=BB261_1075 Depth=1
	v_lshrrev_b32_e32 v6, 24, v48
	v_bfrev_b32_e32 v3, 1
	s_mov_b32 s20, exec_lo
	s_delay_alu instid0(VALU_DEP_2)
	v_cmpx_ne_u32_e32 0x80, v6
	s_cbranch_execz .LBB261_1569
; %bb.1564:                             ;   in Loop: Header=BB261_1075 Depth=1
	v_and_b32_e32 v19, 0x7f, v6
	v_mov_b32_e32 v3, 0x7c010000
	s_mov_b32 s21, exec_lo
	s_delay_alu instid0(VALU_DEP_2)
	v_cmpx_ne_u32_e32 0x7f, v19
	s_cbranch_execz .LBB261_1568
; %bb.1565:                             ;   in Loop: Header=BB261_1075 Depth=1
	v_dual_lshrrev_b32 v18, 3, v19 :: v_dual_bitop2_b32 v3, 7, v6 bitop3:0x40
	s_mov_b32 s22, exec_lo
	v_cmpx_gt_u32_e32 8, v19
; %bb.1566:                             ;   in Loop: Header=BB261_1075 Depth=1
	s_delay_alu instid0(VALU_DEP_2) | instskip(NEXT) | instid1(VALU_DEP_1)
	v_clz_i32_u32_e32 v3, v3
	v_min_u32_e32 v3, 32, v3
	s_delay_alu instid0(VALU_DEP_1) | instskip(NEXT) | instid1(VALU_DEP_1)
	v_subrev_nc_u32_e32 v18, 28, v3
	v_lshlrev_b64_e32 v[50:51], v18, v[6:7]
	s_delay_alu instid0(VALU_DEP_1)
	v_dual_sub_nc_u32 v18, 29, v3 :: v_dual_bitop2_b32 v3, 7, v50 bitop3:0x40
; %bb.1567:                             ;   in Loop: Header=BB261_1075 Depth=1
	s_or_b32 exec_lo, exec_lo, s22
	s_delay_alu instid0(VALU_DEP_1) | instskip(NEXT) | instid1(VALU_DEP_2)
	v_dual_lshlrev_b32 v6, 8, v6 :: v_dual_lshlrev_b32 v3, 23, v3
	v_lshl_add_u32 v18, v18, 10, 0x2000
	s_delay_alu instid0(VALU_DEP_1) | instskip(NEXT) | instid1(VALU_DEP_1)
	v_and_or_b32 v6, 0x8000, v6, v18
	v_lshl_or_b32 v3, v6, 16, v3
.LBB261_1568:                           ;   in Loop: Header=BB261_1075 Depth=1
	s_or_b32 exec_lo, exec_lo, s21
.LBB261_1569:                           ;   in Loop: Header=BB261_1075 Depth=1
	s_delay_alu instid0(SALU_CYCLE_1)
	s_or_b32 exec_lo, exec_lo, s20
.LBB261_1570:                           ;   in Loop: Header=BB261_1075 Depth=1
	s_delay_alu instid0(SALU_CYCLE_1) | instskip(SKIP_4) | instid1(VALU_DEP_3)
	s_or_b32 exec_lo, exec_lo, s19
	v_and_b32_e32 v29, 0xff, v49
	v_dual_mov_b32 v6, v49 :: v_dual_mov_b32 v19, 0
	v_mov_b32_e32 v18, 0
	s_mov_b32 s19, exec_lo
	v_cmpx_ne_u16_e32 0, v29
	s_cbranch_execz .LBB261_1578
; %bb.1571:                             ;   in Loop: Header=BB261_1075 Depth=1
	v_mov_b32_e32 v18, 0x8000
	s_mov_b32 s20, exec_lo
	v_cmpx_ne_u16_e32 0x80, v29
	s_cbranch_execz .LBB261_1577
; %bb.1572:                             ;   in Loop: Header=BB261_1075 Depth=1
	v_and_b32_e32 v50, 0x7f, v49
	v_mov_b32_e32 v18, 0x7c01
	s_mov_b32 s21, exec_lo
	s_delay_alu instid0(VALU_DEP_2)
	v_cmpx_ne_u32_e32 0x7f, v50
	s_cbranch_execz .LBB261_1576
; %bb.1573:                             ;   in Loop: Header=BB261_1075 Depth=1
	v_dual_lshrrev_b32 v29, 3, v50 :: v_dual_bitop2_b32 v18, 7, v49 bitop3:0x40
	s_mov_b32 s22, exec_lo
	v_cmpx_gt_u32_e32 8, v50
; %bb.1574:                             ;   in Loop: Header=BB261_1075 Depth=1
	s_delay_alu instid0(VALU_DEP_2) | instskip(NEXT) | instid1(VALU_DEP_1)
	v_clz_i32_u32_e32 v18, v18
	v_min_u32_e32 v18, 32, v18
	s_delay_alu instid0(VALU_DEP_1) | instskip(NEXT) | instid1(VALU_DEP_1)
	v_subrev_nc_u32_e32 v29, 28, v18
	v_lshlrev_b64_e32 v[50:51], v29, v[6:7]
	v_sub_nc_u32_e32 v29, 29, v18
	s_delay_alu instid0(VALU_DEP_2)
	v_and_b32_e32 v18, 7, v50
; %bb.1575:                             ;   in Loop: Header=BB261_1075 Depth=1
	s_or_b32 exec_lo, exec_lo, s22
	s_delay_alu instid0(VALU_DEP_1) | instskip(NEXT) | instid1(VALU_DEP_3)
	v_dual_lshlrev_b32 v50, 8, v49 :: v_dual_lshlrev_b32 v18, 7, v18
	v_lshl_add_u32 v29, v29, 10, 0x2000
	s_delay_alu instid0(VALU_DEP_2) | instskip(NEXT) | instid1(VALU_DEP_2)
	v_and_b32_e32 v50, 0x8000, v50
	v_and_b32_e32 v29, 0xfc00, v29
	s_delay_alu instid0(VALU_DEP_1)
	v_or3_b32 v18, v50, v29, v18
.LBB261_1576:                           ;   in Loop: Header=BB261_1075 Depth=1
	s_or_b32 exec_lo, exec_lo, s21
.LBB261_1577:                           ;   in Loop: Header=BB261_1075 Depth=1
	s_delay_alu instid0(SALU_CYCLE_1)
	s_or_b32 exec_lo, exec_lo, s20
.LBB261_1578:                           ;   in Loop: Header=BB261_1075 Depth=1
	s_delay_alu instid0(SALU_CYCLE_1) | instskip(SKIP_3) | instid1(VALU_DEP_2)
	s_or_b32 exec_lo, exec_lo, s19
	v_lshrrev_b16 v6, 8, v6
	v_mov_b32_e32 v29, 0
	s_mov_b32 s19, exec_lo
	v_cmpx_ne_u16_e32 0, v6
	s_cbranch_execz .LBB261_1586
; %bb.1579:                             ;   in Loop: Header=BB261_1075 Depth=1
	v_bfrev_b32_e32 v29, 1
	s_mov_b32 s20, exec_lo
	v_cmpx_ne_u16_e32 0x80, v6
	s_cbranch_execz .LBB261_1585
; %bb.1580:                             ;   in Loop: Header=BB261_1075 Depth=1
	v_and_b32_e32 v50, 0xffff, v6
	v_mov_b32_e32 v29, 0x7c010000
	s_mov_b32 s21, exec_lo
	s_delay_alu instid0(VALU_DEP_2) | instskip(NEXT) | instid1(VALU_DEP_1)
	v_and_b32_e32 v52, 0x7f, v50
	v_cmpx_ne_u32_e32 0x7f, v52
	s_cbranch_execz .LBB261_1584
; %bb.1581:                             ;   in Loop: Header=BB261_1075 Depth=1
	v_dual_lshrrev_b32 v51, 3, v52 :: v_dual_bitop2_b32 v29, 7, v50 bitop3:0x40
	s_mov_b32 s22, exec_lo
	v_cmpx_gt_u32_e32 8, v52
; %bb.1582:                             ;   in Loop: Header=BB261_1075 Depth=1
	s_delay_alu instid0(VALU_DEP_2) | instskip(NEXT) | instid1(VALU_DEP_1)
	v_clz_i32_u32_e32 v29, v29
	v_min_u32_e32 v29, 32, v29
	s_delay_alu instid0(VALU_DEP_1) | instskip(NEXT) | instid1(VALU_DEP_1)
	v_subrev_nc_u32_e32 v51, 28, v29
	v_lshlrev_b64_e32 v[52:53], v51, v[6:7]
	s_delay_alu instid0(VALU_DEP_1)
	v_dual_sub_nc_u32 v51, 29, v29 :: v_dual_bitop2_b32 v29, 7, v52 bitop3:0x40
; %bb.1583:                             ;   in Loop: Header=BB261_1075 Depth=1
	s_or_b32 exec_lo, exec_lo, s22
	s_delay_alu instid0(VALU_DEP_1) | instskip(NEXT) | instid1(VALU_DEP_2)
	v_dual_lshlrev_b32 v6, 8, v50 :: v_dual_lshlrev_b32 v29, 23, v29
	v_lshl_add_u32 v50, v51, 10, 0x2000
	s_delay_alu instid0(VALU_DEP_1) | instskip(NEXT) | instid1(VALU_DEP_1)
	v_and_or_b32 v6, 0x8000, v6, v50
	v_lshl_or_b32 v29, v6, 16, v29
.LBB261_1584:                           ;   in Loop: Header=BB261_1075 Depth=1
	s_or_b32 exec_lo, exec_lo, s21
.LBB261_1585:                           ;   in Loop: Header=BB261_1075 Depth=1
	s_delay_alu instid0(SALU_CYCLE_1)
	s_or_b32 exec_lo, exec_lo, s20
.LBB261_1586:                           ;   in Loop: Header=BB261_1075 Depth=1
	s_delay_alu instid0(SALU_CYCLE_1) | instskip(SKIP_2) | instid1(VALU_DEP_1)
	s_or_b32 exec_lo, exec_lo, s19
	v_lshrrev_b32_e32 v6, 16, v49
	s_mov_b32 s19, exec_lo
	v_and_b32_e32 v50, 0xff, v6
	s_delay_alu instid0(VALU_DEP_1)
	v_cmpx_ne_u16_e32 0, v50
	s_cbranch_execz .LBB261_1594
; %bb.1587:                             ;   in Loop: Header=BB261_1075 Depth=1
	v_mov_b32_e32 v19, 0x8000
	s_mov_b32 s20, exec_lo
	v_cmpx_ne_u16_e32 0x80, v50
	s_cbranch_execz .LBB261_1593
; %bb.1588:                             ;   in Loop: Header=BB261_1075 Depth=1
	v_bfe_u32 v51, v49, 16, 7
	v_mov_b32_e32 v19, 0x7c01
	s_mov_b32 s21, exec_lo
	s_delay_alu instid0(VALU_DEP_2)
	v_cmpx_ne_u32_e32 0x7f, v51
	s_cbranch_execz .LBB261_1592
; %bb.1589:                             ;   in Loop: Header=BB261_1075 Depth=1
	v_dual_lshrrev_b32 v50, 3, v51 :: v_dual_bitop2_b32 v19, 7, v6 bitop3:0x40
	s_mov_b32 s22, exec_lo
	v_cmpx_gt_u32_e32 8, v51
; %bb.1590:                             ;   in Loop: Header=BB261_1075 Depth=1
	s_delay_alu instid0(VALU_DEP_2) | instskip(NEXT) | instid1(VALU_DEP_1)
	v_clz_i32_u32_e32 v19, v19
	v_min_u32_e32 v19, 32, v19
	s_delay_alu instid0(VALU_DEP_1) | instskip(NEXT) | instid1(VALU_DEP_1)
	v_subrev_nc_u32_e32 v50, 28, v19
	v_lshlrev_b64_e32 v[52:53], v50, v[6:7]
	s_delay_alu instid0(VALU_DEP_1)
	v_dual_sub_nc_u32 v50, 29, v19 :: v_dual_bitop2_b32 v19, 7, v52 bitop3:0x40
; %bb.1591:                             ;   in Loop: Header=BB261_1075 Depth=1
	s_or_b32 exec_lo, exec_lo, s22
	s_delay_alu instid0(VALU_DEP_1) | instskip(NEXT) | instid1(VALU_DEP_2)
	v_dual_lshlrev_b32 v6, 8, v6 :: v_dual_lshlrev_b32 v19, 7, v19
	v_lshl_add_u32 v50, v50, 10, 0x2000
	s_delay_alu instid0(VALU_DEP_2) | instskip(NEXT) | instid1(VALU_DEP_2)
	v_and_b32_e32 v6, 0x8000, v6
	v_and_b32_e32 v50, 0xfc00, v50
	s_delay_alu instid0(VALU_DEP_1)
	v_or3_b32 v19, v6, v50, v19
.LBB261_1592:                           ;   in Loop: Header=BB261_1075 Depth=1
	s_or_b32 exec_lo, exec_lo, s21
.LBB261_1593:                           ;   in Loop: Header=BB261_1075 Depth=1
	s_delay_alu instid0(SALU_CYCLE_1)
	s_or_b32 exec_lo, exec_lo, s20
.LBB261_1594:                           ;   in Loop: Header=BB261_1075 Depth=1
	s_delay_alu instid0(SALU_CYCLE_1)
	s_or_b32 exec_lo, exec_lo, s19
	v_cmp_lt_u64_e64 s1, s[2:3], v[48:49]
	v_mov_b32_e32 v48, 0
	s_and_saveexec_b32 s19, s1
	s_cbranch_execz .LBB261_1602
; %bb.1595:                             ;   in Loop: Header=BB261_1075 Depth=1
	v_lshrrev_b32_e32 v6, 24, v49
	v_bfrev_b32_e32 v48, 1
	s_mov_b32 s20, exec_lo
	s_delay_alu instid0(VALU_DEP_2)
	v_cmpx_ne_u32_e32 0x80, v6
	s_cbranch_execz .LBB261_1601
; %bb.1596:                             ;   in Loop: Header=BB261_1075 Depth=1
	v_and_b32_e32 v50, 0x7f, v6
	v_mov_b32_e32 v48, 0x7c010000
	s_mov_b32 s21, exec_lo
	s_delay_alu instid0(VALU_DEP_2)
	v_cmpx_ne_u32_e32 0x7f, v50
	s_cbranch_execz .LBB261_1600
; %bb.1597:                             ;   in Loop: Header=BB261_1075 Depth=1
	v_and_b32_e32 v48, 7, v6
	v_lshrrev_b32_e32 v49, 3, v50
	s_mov_b32 s22, exec_lo
	v_cmpx_gt_u32_e32 8, v50
; %bb.1598:                             ;   in Loop: Header=BB261_1075 Depth=1
	s_delay_alu instid0(VALU_DEP_3) | instskip(NEXT) | instid1(VALU_DEP_1)
	v_clz_i32_u32_e32 v48, v48
	v_min_u32_e32 v50, 32, v48
	s_delay_alu instid0(VALU_DEP_1) | instskip(NEXT) | instid1(VALU_DEP_1)
	v_subrev_nc_u32_e32 v48, 28, v50
	v_lshlrev_b64_e32 v[48:49], v48, v[6:7]
	s_delay_alu instid0(VALU_DEP_1)
	v_dual_sub_nc_u32 v49, 29, v50 :: v_dual_bitop2_b32 v48, 7, v48 bitop3:0x40
; %bb.1599:                             ;   in Loop: Header=BB261_1075 Depth=1
	s_or_b32 exec_lo, exec_lo, s22
	s_delay_alu instid0(VALU_DEP_1) | instskip(NEXT) | instid1(VALU_DEP_2)
	v_dual_lshlrev_b32 v6, 8, v6 :: v_dual_lshlrev_b32 v48, 23, v48
	v_lshl_add_u32 v49, v49, 10, 0x2000
	s_delay_alu instid0(VALU_DEP_1) | instskip(NEXT) | instid1(VALU_DEP_1)
	v_and_or_b32 v6, 0x8000, v6, v49
	v_lshl_or_b32 v48, v6, 16, v48
.LBB261_1600:                           ;   in Loop: Header=BB261_1075 Depth=1
	s_or_b32 exec_lo, exec_lo, s21
.LBB261_1601:                           ;   in Loop: Header=BB261_1075 Depth=1
	s_delay_alu instid0(SALU_CYCLE_1)
	s_or_b32 exec_lo, exec_lo, s20
.LBB261_1602:                           ;   in Loop: Header=BB261_1075 Depth=1
	s_delay_alu instid0(SALU_CYCLE_1) | instskip(SKIP_3) | instid1(VALU_DEP_3)
	s_or_b32 exec_lo, exec_lo, s19
	v_dual_lshrrev_b32 v6, 16, v1 :: v_dual_lshrrev_b32 v49, 16, v3
	v_dual_lshrrev_b32 v50, 16, v48 :: v_dual_bitop2_b32 v9, v3, v9 bitop3:0x54
	v_or_b32_e32 v1, v1, v2
	v_cvt_f32_f16_e32 v3, v6
	s_delay_alu instid0(VALU_DEP_4)
	v_cvt_f32_f16_e32 v2, v49
	v_dual_lshrrev_b32 v19, 16, v29 :: v_dual_bitop2_b32 v6, v48, v19 bitop3:0x54
	v_cvt_f32_f16_e32 v48, v9
	v_or_b32_e32 v9, v29, v18
	s_wait_loadcnt_dscnt 0x0
	v_pk_mul_f32 v[2:3], v[28:29], v[2:3] op_sel_hi:[0,1]
	v_cvt_f32_f16_e32 v49, v1
	v_cvt_f32_f16_e32 v19, v19
	v_cvt_f32_f16_e32 v18, v50
	v_cvt_f32_f16_e32 v50, v6
	v_cvt_f32_f16_e32 v51, v9
	v_pk_mul_f32 v[48:49], v[28:29], v[48:49] op_sel_hi:[0,1]
	v_cvt_pk_f16_f32 v1, v2, v3
	v_pk_mul_f32 v[2:3], v[28:29], v[18:19] op_sel_hi:[0,1]
	s_delay_alu instid0(VALU_DEP_4) | instskip(NEXT) | instid1(VALU_DEP_4)
	v_pk_mul_f32 v[18:19], v[28:29], v[50:51] op_sel_hi:[0,1]
	v_cvt_pk_f16_f32 v6, v48, v49
	s_delay_alu instid0(VALU_DEP_4) | instskip(NEXT) | instid1(VALU_DEP_4)
	v_and_b32_e32 v29, 0xffff0000, v1
	v_cvt_pk_f16_f32 v2, v2, v3
	v_lshlrev_b32_e32 v48, 16, v1
	v_cvt_pk_f16_f32 v1, v18, v19
	v_and_b32_e32 v54, 0xffff, v6
	s_delay_alu instid0(VALU_DEP_4) | instskip(NEXT) | instid1(VALU_DEP_3)
	v_and_b32_e32 v9, 0xffff0000, v2
	v_dual_lshrrev_b32 v19, 16, v1 :: v_dual_lshrrev_b32 v53, 16, v6
	v_and_b32_e32 v28, 0xffff, v1
	s_delay_alu instid0(VALU_DEP_4) | instskip(NEXT) | instid1(VALU_DEP_3)
	v_or_b32_e32 v52, v48, v54
	v_dual_lshlrev_b32 v6, 16, v2 :: v_dual_bitop2_b32 v49, v9, v19 bitop3:0x54
	s_delay_alu instid0(VALU_DEP_4) | instskip(NEXT) | instid1(VALU_DEP_2)
	v_or_b32_e32 v51, v29, v53
	v_or_b32_e32 v50, v6, v28
	s_and_saveexec_b32 s19, vcc_lo
	s_cbranch_execz .LBB261_1604
; %bb.1603:                             ;   in Loop: Header=BB261_1075 Depth=1
	v_cmp_lt_i32_e64 s1, v87, v13
	s_delay_alu instid0(VALU_DEP_1) | instskip(SKIP_1) | instid1(VALU_DEP_1)
	v_cndmask_b32_e64 v1, 0, v53, s1
	v_cmp_lt_i32_e64 s1, v102, v12
	v_cndmask_b32_e64 v2, 0, v54, s1
	v_cmp_lt_i32_e64 s1, v101, v13
	s_delay_alu instid0(VALU_DEP_1) | instskip(SKIP_1) | instid1(VALU_DEP_1)
	v_cndmask_b32_e64 v3, 0, v29, s1
	v_cmp_lt_i32_e64 s1, v100, v12
	v_cndmask_b32_e64 v18, 0, v48, s1
	v_cmp_lt_i32_e64 s1, v99, v13
	s_delay_alu instid0(VALU_DEP_4) | instskip(NEXT) | instid1(VALU_DEP_2)
	v_or_b32_e32 v51, v1, v3
	v_dual_cndmask_b32 v19, 0, v19, s1 :: v_dual_bitop2_b32 v52, v2, v18 bitop3:0x54
	v_cmp_lt_i32_e64 s1, v98, v12
	s_delay_alu instid0(VALU_DEP_1) | instskip(SKIP_1) | instid1(VALU_DEP_1)
	v_cndmask_b32_e64 v28, 0, v28, s1
	v_cmp_lt_i32_e64 s1, v97, v13
	v_cndmask_b32_e64 v9, 0, v9, s1
	v_cmp_lt_i32_e64 s1, v96, v12
	s_delay_alu instid0(VALU_DEP_1) | instskip(NEXT) | instid1(VALU_DEP_1)
	v_dual_cndmask_b32 v6, 0, v6, s1 :: v_dual_bitop2_b32 v49, v19, v9 bitop3:0x54
	v_or_b32_e32 v50, v28, v6
.LBB261_1604:                           ;   in Loop: Header=BB261_1075 Depth=1
	s_or_b32 exec_lo, exec_lo, s19
	;;#ASMSTART
	v_pk_mul_f16 v1, v67, v51;

	;;#ASMEND
	;;#ASMSTART
	v_pk_mul_f16 v2, v65, v52;

	;;#ASMEND
	;; [unrolled: 4-line block ×4, first 2 shown]
	;;#ASMSTART
	v_pk_add_f16 v1, v1, v2;

	;;#ASMEND
	;;#ASMSTART
	v_pk_add_f16 v1, v1, v3;

	;;#ASMEND
	;; [unrolled: 4-line block ×3, first 2 shown]
	v_and_b32_e32 v2, 0xffff, v1
	v_lshrrev_b32_e32 v1, 16, v1
	;;#ASMSTART
	v_cvt_f32_f16 v40, v2;
	;;#ASMEND
	;;#ASMSTART
	v_cvt_f32_f16 v41, v1;
	;;#ASMEND
	flat_load_b64 v[48:49], v[26:27] offset:2048
	scratch_load_b64 v[2:3], off, s32 offset:192 ; 8-byte Folded Reload
	v_mov_b32_e32 v1, 0
	s_mov_b32 s19, exec_lo
	s_wait_loadcnt 0x0
	flat_load_b32 v28, v[2:3]
	s_wait_dscnt 0x1
	s_wait_xcnt 0x0
	v_and_b32_e32 v3, 0xff, v48
	v_mov_b32_e32 v2, 0
	s_delay_alu instid0(VALU_DEP_2)
	v_cmpx_ne_u16_e32 0, v3
	s_cbranch_execz .LBB261_1612
; %bb.1605:                             ;   in Loop: Header=BB261_1075 Depth=1
	v_mov_b32_e32 v2, 0x8000
	s_mov_b32 s20, exec_lo
	v_cmpx_ne_u16_e32 0x80, v3
	s_cbranch_execz .LBB261_1611
; %bb.1606:                             ;   in Loop: Header=BB261_1075 Depth=1
	v_and_b32_e32 v6, 0x7f, v48
	v_mov_b32_e32 v2, 0x7c01
	s_mov_b32 s21, exec_lo
	s_delay_alu instid0(VALU_DEP_2)
	v_cmpx_ne_u32_e32 0x7f, v6
	s_cbranch_execz .LBB261_1610
; %bb.1607:                             ;   in Loop: Header=BB261_1075 Depth=1
	v_dual_lshrrev_b32 v3, 3, v6 :: v_dual_bitop2_b32 v2, 7, v48 bitop3:0x40
	s_mov_b32 s22, exec_lo
	v_cmpx_gt_u32_e32 8, v6
; %bb.1608:                             ;   in Loop: Header=BB261_1075 Depth=1
	s_delay_alu instid0(VALU_DEP_2) | instskip(NEXT) | instid1(VALU_DEP_1)
	v_clz_i32_u32_e32 v2, v2
	v_min_u32_e32 v6, 32, v2
	s_delay_alu instid0(VALU_DEP_1) | instskip(NEXT) | instid1(VALU_DEP_1)
	v_subrev_nc_u32_e32 v2, 28, v6
	v_lshlrev_b64_e32 v[2:3], v2, v[48:49]
	v_sub_nc_u32_e32 v3, 29, v6
	s_delay_alu instid0(VALU_DEP_2)
	v_and_b32_e32 v2, 7, v2
; %bb.1609:                             ;   in Loop: Header=BB261_1075 Depth=1
	s_or_b32 exec_lo, exec_lo, s22
	s_delay_alu instid0(VALU_DEP_1) | instskip(NEXT) | instid1(VALU_DEP_3)
	v_dual_lshlrev_b32 v6, 8, v48 :: v_dual_lshlrev_b32 v2, 7, v2
	v_lshl_add_u32 v3, v3, 10, 0x2000
	s_delay_alu instid0(VALU_DEP_2) | instskip(NEXT) | instid1(VALU_DEP_2)
	v_and_b32_e32 v6, 0x8000, v6
	v_and_b32_e32 v3, 0xfc00, v3
	s_delay_alu instid0(VALU_DEP_1)
	v_or3_b32 v2, v6, v3, v2
.LBB261_1610:                           ;   in Loop: Header=BB261_1075 Depth=1
	s_or_b32 exec_lo, exec_lo, s21
.LBB261_1611:                           ;   in Loop: Header=BB261_1075 Depth=1
	s_delay_alu instid0(SALU_CYCLE_1)
	s_or_b32 exec_lo, exec_lo, s20
.LBB261_1612:                           ;   in Loop: Header=BB261_1075 Depth=1
	s_delay_alu instid0(SALU_CYCLE_1) | instskip(SKIP_2) | instid1(VALU_DEP_1)
	s_or_b32 exec_lo, exec_lo, s19
	v_lshrrev_b16 v6, 8, v48
	s_mov_b32 s19, exec_lo
	v_cmpx_ne_u16_e32 0, v6
	s_cbranch_execz .LBB261_1620
; %bb.1613:                             ;   in Loop: Header=BB261_1075 Depth=1
	v_bfrev_b32_e32 v1, 1
	s_mov_b32 s20, exec_lo
	v_cmpx_ne_u16_e32 0x80, v6
	s_cbranch_execz .LBB261_1619
; %bb.1614:                             ;   in Loop: Header=BB261_1075 Depth=1
	v_and_b32_e32 v3, 0xffff, v6
	v_mov_b32_e32 v1, 0x7c010000
	s_mov_b32 s21, exec_lo
	s_delay_alu instid0(VALU_DEP_2) | instskip(NEXT) | instid1(VALU_DEP_1)
	v_and_b32_e32 v18, 0x7f, v3
	v_cmpx_ne_u32_e32 0x7f, v18
	s_cbranch_execz .LBB261_1618
; %bb.1615:                             ;   in Loop: Header=BB261_1075 Depth=1
	v_dual_lshrrev_b32 v9, 3, v18 :: v_dual_bitop2_b32 v1, 7, v3 bitop3:0x40
	s_mov_b32 s22, exec_lo
	v_cmpx_gt_u32_e32 8, v18
; %bb.1616:                             ;   in Loop: Header=BB261_1075 Depth=1
	s_delay_alu instid0(VALU_DEP_2) | instskip(NEXT) | instid1(VALU_DEP_1)
	v_clz_i32_u32_e32 v1, v1
	v_min_u32_e32 v1, 32, v1
	s_delay_alu instid0(VALU_DEP_1) | instskip(NEXT) | instid1(VALU_DEP_1)
	v_subrev_nc_u32_e32 v9, 28, v1
	v_lshlrev_b64_e32 v[18:19], v9, v[6:7]
	s_delay_alu instid0(VALU_DEP_1)
	v_dual_sub_nc_u32 v9, 29, v1 :: v_dual_bitop2_b32 v1, 7, v18 bitop3:0x40
; %bb.1617:                             ;   in Loop: Header=BB261_1075 Depth=1
	s_or_b32 exec_lo, exec_lo, s22
	s_delay_alu instid0(VALU_DEP_1) | instskip(NEXT) | instid1(VALU_DEP_2)
	v_dual_lshlrev_b32 v3, 8, v3 :: v_dual_lshlrev_b32 v1, 23, v1
	v_lshl_add_u32 v6, v9, 10, 0x2000
	s_delay_alu instid0(VALU_DEP_1) | instskip(NEXT) | instid1(VALU_DEP_1)
	v_and_or_b32 v3, 0x8000, v3, v6
	v_lshl_or_b32 v1, v3, 16, v1
.LBB261_1618:                           ;   in Loop: Header=BB261_1075 Depth=1
	s_or_b32 exec_lo, exec_lo, s21
.LBB261_1619:                           ;   in Loop: Header=BB261_1075 Depth=1
	s_delay_alu instid0(SALU_CYCLE_1)
	s_or_b32 exec_lo, exec_lo, s20
.LBB261_1620:                           ;   in Loop: Header=BB261_1075 Depth=1
	s_delay_alu instid0(SALU_CYCLE_1) | instskip(SKIP_3) | instid1(VALU_DEP_2)
	s_or_b32 exec_lo, exec_lo, s19
	v_dual_mov_b32 v3, 0 :: v_dual_lshrrev_b32 v6, 16, v48
	v_mov_b32_e32 v9, 0
	s_mov_b32 s19, exec_lo
	v_and_b32_e32 v18, 0xff, v6
	s_delay_alu instid0(VALU_DEP_1)
	v_cmpx_ne_u16_e32 0, v18
	s_cbranch_execz .LBB261_1628
; %bb.1621:                             ;   in Loop: Header=BB261_1075 Depth=1
	v_mov_b32_e32 v9, 0x8000
	s_mov_b32 s20, exec_lo
	v_cmpx_ne_u16_e32 0x80, v18
	s_cbranch_execz .LBB261_1627
; %bb.1622:                             ;   in Loop: Header=BB261_1075 Depth=1
	v_bfe_u32 v19, v48, 16, 7
	v_mov_b32_e32 v9, 0x7c01
	s_mov_b32 s21, exec_lo
	s_delay_alu instid0(VALU_DEP_2)
	v_cmpx_ne_u32_e32 0x7f, v19
	s_cbranch_execz .LBB261_1626
; %bb.1623:                             ;   in Loop: Header=BB261_1075 Depth=1
	v_dual_lshrrev_b32 v18, 3, v19 :: v_dual_bitop2_b32 v9, 7, v6 bitop3:0x40
	s_mov_b32 s22, exec_lo
	v_cmpx_gt_u32_e32 8, v19
; %bb.1624:                             ;   in Loop: Header=BB261_1075 Depth=1
	s_delay_alu instid0(VALU_DEP_2) | instskip(NEXT) | instid1(VALU_DEP_1)
	v_clz_i32_u32_e32 v9, v9
	v_min_u32_e32 v9, 32, v9
	s_delay_alu instid0(VALU_DEP_1) | instskip(NEXT) | instid1(VALU_DEP_1)
	v_subrev_nc_u32_e32 v18, 28, v9
	v_lshlrev_b64_e32 v[50:51], v18, v[6:7]
	s_delay_alu instid0(VALU_DEP_1)
	v_dual_sub_nc_u32 v18, 29, v9 :: v_dual_bitop2_b32 v9, 7, v50 bitop3:0x40
; %bb.1625:                             ;   in Loop: Header=BB261_1075 Depth=1
	s_or_b32 exec_lo, exec_lo, s22
	s_delay_alu instid0(VALU_DEP_1) | instskip(NEXT) | instid1(VALU_DEP_2)
	v_dual_lshlrev_b32 v6, 8, v6 :: v_dual_lshlrev_b32 v9, 7, v9
	v_lshl_add_u32 v18, v18, 10, 0x2000
	s_delay_alu instid0(VALU_DEP_2) | instskip(NEXT) | instid1(VALU_DEP_2)
	v_and_b32_e32 v6, 0x8000, v6
	v_and_b32_e32 v18, 0xfc00, v18
	s_delay_alu instid0(VALU_DEP_1)
	v_or3_b32 v9, v6, v18, v9
.LBB261_1626:                           ;   in Loop: Header=BB261_1075 Depth=1
	s_or_b32 exec_lo, exec_lo, s21
.LBB261_1627:                           ;   in Loop: Header=BB261_1075 Depth=1
	s_delay_alu instid0(SALU_CYCLE_1)
	s_or_b32 exec_lo, exec_lo, s20
.LBB261_1628:                           ;   in Loop: Header=BB261_1075 Depth=1
	s_delay_alu instid0(SALU_CYCLE_1) | instskip(NEXT) | instid1(SALU_CYCLE_1)
	s_or_b32 exec_lo, exec_lo, s19
	s_mov_b32 s19, exec_lo
	v_cmpx_lt_u32_e32 0xffffff, v48
	s_cbranch_execz .LBB261_1636
; %bb.1629:                             ;   in Loop: Header=BB261_1075 Depth=1
	v_lshrrev_b32_e32 v6, 24, v48
	v_bfrev_b32_e32 v3, 1
	s_mov_b32 s20, exec_lo
	s_delay_alu instid0(VALU_DEP_2)
	v_cmpx_ne_u32_e32 0x80, v6
	s_cbranch_execz .LBB261_1635
; %bb.1630:                             ;   in Loop: Header=BB261_1075 Depth=1
	v_and_b32_e32 v19, 0x7f, v6
	v_mov_b32_e32 v3, 0x7c010000
	s_mov_b32 s21, exec_lo
	s_delay_alu instid0(VALU_DEP_2)
	v_cmpx_ne_u32_e32 0x7f, v19
	s_cbranch_execz .LBB261_1634
; %bb.1631:                             ;   in Loop: Header=BB261_1075 Depth=1
	v_dual_lshrrev_b32 v18, 3, v19 :: v_dual_bitop2_b32 v3, 7, v6 bitop3:0x40
	s_mov_b32 s22, exec_lo
	v_cmpx_gt_u32_e32 8, v19
; %bb.1632:                             ;   in Loop: Header=BB261_1075 Depth=1
	s_delay_alu instid0(VALU_DEP_2) | instskip(NEXT) | instid1(VALU_DEP_1)
	v_clz_i32_u32_e32 v3, v3
	v_min_u32_e32 v3, 32, v3
	s_delay_alu instid0(VALU_DEP_1) | instskip(NEXT) | instid1(VALU_DEP_1)
	v_subrev_nc_u32_e32 v18, 28, v3
	v_lshlrev_b64_e32 v[50:51], v18, v[6:7]
	s_delay_alu instid0(VALU_DEP_1)
	v_dual_sub_nc_u32 v18, 29, v3 :: v_dual_bitop2_b32 v3, 7, v50 bitop3:0x40
; %bb.1633:                             ;   in Loop: Header=BB261_1075 Depth=1
	s_or_b32 exec_lo, exec_lo, s22
	s_delay_alu instid0(VALU_DEP_1) | instskip(NEXT) | instid1(VALU_DEP_2)
	v_dual_lshlrev_b32 v6, 8, v6 :: v_dual_lshlrev_b32 v3, 23, v3
	v_lshl_add_u32 v18, v18, 10, 0x2000
	s_delay_alu instid0(VALU_DEP_1) | instskip(NEXT) | instid1(VALU_DEP_1)
	v_and_or_b32 v6, 0x8000, v6, v18
	v_lshl_or_b32 v3, v6, 16, v3
.LBB261_1634:                           ;   in Loop: Header=BB261_1075 Depth=1
	s_or_b32 exec_lo, exec_lo, s21
.LBB261_1635:                           ;   in Loop: Header=BB261_1075 Depth=1
	s_delay_alu instid0(SALU_CYCLE_1)
	s_or_b32 exec_lo, exec_lo, s20
.LBB261_1636:                           ;   in Loop: Header=BB261_1075 Depth=1
	s_delay_alu instid0(SALU_CYCLE_1) | instskip(SKIP_4) | instid1(VALU_DEP_3)
	s_or_b32 exec_lo, exec_lo, s19
	v_and_b32_e32 v29, 0xff, v49
	v_dual_mov_b32 v6, v49 :: v_dual_mov_b32 v19, 0
	v_mov_b32_e32 v18, 0
	s_mov_b32 s19, exec_lo
	v_cmpx_ne_u16_e32 0, v29
	s_cbranch_execz .LBB261_1644
; %bb.1637:                             ;   in Loop: Header=BB261_1075 Depth=1
	v_mov_b32_e32 v18, 0x8000
	s_mov_b32 s20, exec_lo
	v_cmpx_ne_u16_e32 0x80, v29
	s_cbranch_execz .LBB261_1643
; %bb.1638:                             ;   in Loop: Header=BB261_1075 Depth=1
	v_and_b32_e32 v50, 0x7f, v49
	v_mov_b32_e32 v18, 0x7c01
	s_mov_b32 s21, exec_lo
	s_delay_alu instid0(VALU_DEP_2)
	v_cmpx_ne_u32_e32 0x7f, v50
	s_cbranch_execz .LBB261_1642
; %bb.1639:                             ;   in Loop: Header=BB261_1075 Depth=1
	v_dual_lshrrev_b32 v29, 3, v50 :: v_dual_bitop2_b32 v18, 7, v49 bitop3:0x40
	s_mov_b32 s22, exec_lo
	v_cmpx_gt_u32_e32 8, v50
; %bb.1640:                             ;   in Loop: Header=BB261_1075 Depth=1
	s_delay_alu instid0(VALU_DEP_2) | instskip(NEXT) | instid1(VALU_DEP_1)
	v_clz_i32_u32_e32 v18, v18
	v_min_u32_e32 v18, 32, v18
	s_delay_alu instid0(VALU_DEP_1) | instskip(NEXT) | instid1(VALU_DEP_1)
	v_subrev_nc_u32_e32 v29, 28, v18
	v_lshlrev_b64_e32 v[50:51], v29, v[6:7]
	v_sub_nc_u32_e32 v29, 29, v18
	s_delay_alu instid0(VALU_DEP_2)
	v_and_b32_e32 v18, 7, v50
; %bb.1641:                             ;   in Loop: Header=BB261_1075 Depth=1
	s_or_b32 exec_lo, exec_lo, s22
	s_delay_alu instid0(VALU_DEP_1) | instskip(NEXT) | instid1(VALU_DEP_3)
	v_dual_lshlrev_b32 v50, 8, v49 :: v_dual_lshlrev_b32 v18, 7, v18
	v_lshl_add_u32 v29, v29, 10, 0x2000
	s_delay_alu instid0(VALU_DEP_2) | instskip(NEXT) | instid1(VALU_DEP_2)
	v_and_b32_e32 v50, 0x8000, v50
	v_and_b32_e32 v29, 0xfc00, v29
	s_delay_alu instid0(VALU_DEP_1)
	v_or3_b32 v18, v50, v29, v18
.LBB261_1642:                           ;   in Loop: Header=BB261_1075 Depth=1
	s_or_b32 exec_lo, exec_lo, s21
.LBB261_1643:                           ;   in Loop: Header=BB261_1075 Depth=1
	s_delay_alu instid0(SALU_CYCLE_1)
	s_or_b32 exec_lo, exec_lo, s20
.LBB261_1644:                           ;   in Loop: Header=BB261_1075 Depth=1
	s_delay_alu instid0(SALU_CYCLE_1) | instskip(SKIP_3) | instid1(VALU_DEP_2)
	s_or_b32 exec_lo, exec_lo, s19
	v_lshrrev_b16 v6, 8, v6
	v_mov_b32_e32 v29, 0
	s_mov_b32 s19, exec_lo
	v_cmpx_ne_u16_e32 0, v6
	s_cbranch_execz .LBB261_1652
; %bb.1645:                             ;   in Loop: Header=BB261_1075 Depth=1
	v_bfrev_b32_e32 v29, 1
	s_mov_b32 s20, exec_lo
	v_cmpx_ne_u16_e32 0x80, v6
	s_cbranch_execz .LBB261_1651
; %bb.1646:                             ;   in Loop: Header=BB261_1075 Depth=1
	v_and_b32_e32 v50, 0xffff, v6
	v_mov_b32_e32 v29, 0x7c010000
	s_mov_b32 s21, exec_lo
	s_delay_alu instid0(VALU_DEP_2) | instskip(NEXT) | instid1(VALU_DEP_1)
	v_and_b32_e32 v52, 0x7f, v50
	v_cmpx_ne_u32_e32 0x7f, v52
	s_cbranch_execz .LBB261_1650
; %bb.1647:                             ;   in Loop: Header=BB261_1075 Depth=1
	v_dual_lshrrev_b32 v51, 3, v52 :: v_dual_bitop2_b32 v29, 7, v50 bitop3:0x40
	s_mov_b32 s22, exec_lo
	v_cmpx_gt_u32_e32 8, v52
; %bb.1648:                             ;   in Loop: Header=BB261_1075 Depth=1
	s_delay_alu instid0(VALU_DEP_2) | instskip(NEXT) | instid1(VALU_DEP_1)
	v_clz_i32_u32_e32 v29, v29
	v_min_u32_e32 v29, 32, v29
	s_delay_alu instid0(VALU_DEP_1) | instskip(NEXT) | instid1(VALU_DEP_1)
	v_subrev_nc_u32_e32 v51, 28, v29
	v_lshlrev_b64_e32 v[52:53], v51, v[6:7]
	s_delay_alu instid0(VALU_DEP_1)
	v_dual_sub_nc_u32 v51, 29, v29 :: v_dual_bitop2_b32 v29, 7, v52 bitop3:0x40
; %bb.1649:                             ;   in Loop: Header=BB261_1075 Depth=1
	s_or_b32 exec_lo, exec_lo, s22
	s_delay_alu instid0(VALU_DEP_1) | instskip(NEXT) | instid1(VALU_DEP_2)
	v_dual_lshlrev_b32 v6, 8, v50 :: v_dual_lshlrev_b32 v29, 23, v29
	v_lshl_add_u32 v50, v51, 10, 0x2000
	s_delay_alu instid0(VALU_DEP_1) | instskip(NEXT) | instid1(VALU_DEP_1)
	v_and_or_b32 v6, 0x8000, v6, v50
	v_lshl_or_b32 v29, v6, 16, v29
.LBB261_1650:                           ;   in Loop: Header=BB261_1075 Depth=1
	s_or_b32 exec_lo, exec_lo, s21
.LBB261_1651:                           ;   in Loop: Header=BB261_1075 Depth=1
	s_delay_alu instid0(SALU_CYCLE_1)
	s_or_b32 exec_lo, exec_lo, s20
.LBB261_1652:                           ;   in Loop: Header=BB261_1075 Depth=1
	s_delay_alu instid0(SALU_CYCLE_1) | instskip(SKIP_2) | instid1(VALU_DEP_1)
	s_or_b32 exec_lo, exec_lo, s19
	v_lshrrev_b32_e32 v6, 16, v49
	s_mov_b32 s19, exec_lo
	v_and_b32_e32 v50, 0xff, v6
	s_delay_alu instid0(VALU_DEP_1)
	v_cmpx_ne_u16_e32 0, v50
	s_cbranch_execz .LBB261_1660
; %bb.1653:                             ;   in Loop: Header=BB261_1075 Depth=1
	v_mov_b32_e32 v19, 0x8000
	s_mov_b32 s20, exec_lo
	v_cmpx_ne_u16_e32 0x80, v50
	s_cbranch_execz .LBB261_1659
; %bb.1654:                             ;   in Loop: Header=BB261_1075 Depth=1
	v_bfe_u32 v51, v49, 16, 7
	v_mov_b32_e32 v19, 0x7c01
	s_mov_b32 s21, exec_lo
	s_delay_alu instid0(VALU_DEP_2)
	v_cmpx_ne_u32_e32 0x7f, v51
	s_cbranch_execz .LBB261_1658
; %bb.1655:                             ;   in Loop: Header=BB261_1075 Depth=1
	v_dual_lshrrev_b32 v50, 3, v51 :: v_dual_bitop2_b32 v19, 7, v6 bitop3:0x40
	s_mov_b32 s22, exec_lo
	v_cmpx_gt_u32_e32 8, v51
; %bb.1656:                             ;   in Loop: Header=BB261_1075 Depth=1
	s_delay_alu instid0(VALU_DEP_2) | instskip(NEXT) | instid1(VALU_DEP_1)
	v_clz_i32_u32_e32 v19, v19
	v_min_u32_e32 v19, 32, v19
	s_delay_alu instid0(VALU_DEP_1) | instskip(NEXT) | instid1(VALU_DEP_1)
	v_subrev_nc_u32_e32 v50, 28, v19
	v_lshlrev_b64_e32 v[52:53], v50, v[6:7]
	s_delay_alu instid0(VALU_DEP_1)
	v_dual_sub_nc_u32 v50, 29, v19 :: v_dual_bitop2_b32 v19, 7, v52 bitop3:0x40
; %bb.1657:                             ;   in Loop: Header=BB261_1075 Depth=1
	s_or_b32 exec_lo, exec_lo, s22
	s_delay_alu instid0(VALU_DEP_1) | instskip(NEXT) | instid1(VALU_DEP_2)
	v_dual_lshlrev_b32 v6, 8, v6 :: v_dual_lshlrev_b32 v19, 7, v19
	v_lshl_add_u32 v50, v50, 10, 0x2000
	s_delay_alu instid0(VALU_DEP_2) | instskip(NEXT) | instid1(VALU_DEP_2)
	v_and_b32_e32 v6, 0x8000, v6
	v_and_b32_e32 v50, 0xfc00, v50
	s_delay_alu instid0(VALU_DEP_1)
	v_or3_b32 v19, v6, v50, v19
.LBB261_1658:                           ;   in Loop: Header=BB261_1075 Depth=1
	s_or_b32 exec_lo, exec_lo, s21
.LBB261_1659:                           ;   in Loop: Header=BB261_1075 Depth=1
	s_delay_alu instid0(SALU_CYCLE_1)
	s_or_b32 exec_lo, exec_lo, s20
.LBB261_1660:                           ;   in Loop: Header=BB261_1075 Depth=1
	s_delay_alu instid0(SALU_CYCLE_1)
	s_or_b32 exec_lo, exec_lo, s19
	v_cmp_lt_u64_e64 s1, s[2:3], v[48:49]
	v_mov_b32_e32 v48, 0
	s_and_saveexec_b32 s19, s1
	s_cbranch_execz .LBB261_1668
; %bb.1661:                             ;   in Loop: Header=BB261_1075 Depth=1
	v_lshrrev_b32_e32 v6, 24, v49
	v_bfrev_b32_e32 v48, 1
	s_mov_b32 s20, exec_lo
	s_delay_alu instid0(VALU_DEP_2)
	v_cmpx_ne_u32_e32 0x80, v6
	s_cbranch_execz .LBB261_1667
; %bb.1662:                             ;   in Loop: Header=BB261_1075 Depth=1
	v_and_b32_e32 v50, 0x7f, v6
	v_mov_b32_e32 v48, 0x7c010000
	s_mov_b32 s21, exec_lo
	s_delay_alu instid0(VALU_DEP_2)
	v_cmpx_ne_u32_e32 0x7f, v50
	s_cbranch_execz .LBB261_1666
; %bb.1663:                             ;   in Loop: Header=BB261_1075 Depth=1
	v_and_b32_e32 v48, 7, v6
	v_lshrrev_b32_e32 v49, 3, v50
	s_mov_b32 s22, exec_lo
	v_cmpx_gt_u32_e32 8, v50
; %bb.1664:                             ;   in Loop: Header=BB261_1075 Depth=1
	s_delay_alu instid0(VALU_DEP_3) | instskip(NEXT) | instid1(VALU_DEP_1)
	v_clz_i32_u32_e32 v48, v48
	v_min_u32_e32 v50, 32, v48
	s_delay_alu instid0(VALU_DEP_1) | instskip(NEXT) | instid1(VALU_DEP_1)
	v_subrev_nc_u32_e32 v48, 28, v50
	v_lshlrev_b64_e32 v[48:49], v48, v[6:7]
	s_delay_alu instid0(VALU_DEP_1)
	v_dual_sub_nc_u32 v49, 29, v50 :: v_dual_bitop2_b32 v48, 7, v48 bitop3:0x40
; %bb.1665:                             ;   in Loop: Header=BB261_1075 Depth=1
	s_or_b32 exec_lo, exec_lo, s22
	s_delay_alu instid0(VALU_DEP_1) | instskip(NEXT) | instid1(VALU_DEP_2)
	v_dual_lshlrev_b32 v6, 8, v6 :: v_dual_lshlrev_b32 v48, 23, v48
	v_lshl_add_u32 v49, v49, 10, 0x2000
	s_delay_alu instid0(VALU_DEP_1) | instskip(NEXT) | instid1(VALU_DEP_1)
	v_and_or_b32 v6, 0x8000, v6, v49
	v_lshl_or_b32 v48, v6, 16, v48
.LBB261_1666:                           ;   in Loop: Header=BB261_1075 Depth=1
	s_or_b32 exec_lo, exec_lo, s21
.LBB261_1667:                           ;   in Loop: Header=BB261_1075 Depth=1
	s_delay_alu instid0(SALU_CYCLE_1)
	s_or_b32 exec_lo, exec_lo, s20
.LBB261_1668:                           ;   in Loop: Header=BB261_1075 Depth=1
	s_delay_alu instid0(SALU_CYCLE_1) | instskip(SKIP_3) | instid1(VALU_DEP_3)
	s_or_b32 exec_lo, exec_lo, s19
	v_dual_lshrrev_b32 v6, 16, v1 :: v_dual_lshrrev_b32 v49, 16, v3
	v_dual_lshrrev_b32 v50, 16, v48 :: v_dual_bitop2_b32 v9, v3, v9 bitop3:0x54
	v_or_b32_e32 v1, v1, v2
	v_cvt_f32_f16_e32 v3, v6
	s_delay_alu instid0(VALU_DEP_4)
	v_cvt_f32_f16_e32 v2, v49
	v_dual_lshrrev_b32 v19, 16, v29 :: v_dual_bitop2_b32 v6, v48, v19 bitop3:0x54
	v_cvt_f32_f16_e32 v48, v9
	v_or_b32_e32 v9, v29, v18
	s_wait_loadcnt_dscnt 0x0
	v_pk_mul_f32 v[2:3], v[28:29], v[2:3] op_sel_hi:[0,1]
	v_cvt_f32_f16_e32 v49, v1
	v_cvt_f32_f16_e32 v19, v19
	;; [unrolled: 1-line block ×5, first 2 shown]
	v_pk_mul_f32 v[48:49], v[28:29], v[48:49] op_sel_hi:[0,1]
	v_cvt_pk_f16_f32 v1, v2, v3
	v_pk_mul_f32 v[2:3], v[28:29], v[18:19] op_sel_hi:[0,1]
	s_delay_alu instid0(VALU_DEP_4) | instskip(NEXT) | instid1(VALU_DEP_4)
	v_pk_mul_f32 v[18:19], v[28:29], v[50:51] op_sel_hi:[0,1]
	v_cvt_pk_f16_f32 v6, v48, v49
	s_delay_alu instid0(VALU_DEP_4) | instskip(NEXT) | instid1(VALU_DEP_4)
	v_and_b32_e32 v29, 0xffff0000, v1
	v_cvt_pk_f16_f32 v2, v2, v3
	v_lshlrev_b32_e32 v48, 16, v1
	v_cvt_pk_f16_f32 v1, v18, v19
	v_and_b32_e32 v54, 0xffff, v6
	s_delay_alu instid0(VALU_DEP_4) | instskip(NEXT) | instid1(VALU_DEP_3)
	v_and_b32_e32 v9, 0xffff0000, v2
	v_dual_lshrrev_b32 v19, 16, v1 :: v_dual_lshrrev_b32 v53, 16, v6
	v_and_b32_e32 v28, 0xffff, v1
	s_delay_alu instid0(VALU_DEP_4) | instskip(NEXT) | instid1(VALU_DEP_3)
	v_or_b32_e32 v52, v48, v54
	v_dual_lshlrev_b32 v6, 16, v2 :: v_dual_bitop2_b32 v49, v9, v19 bitop3:0x54
	s_delay_alu instid0(VALU_DEP_4) | instskip(NEXT) | instid1(VALU_DEP_2)
	v_or_b32_e32 v51, v29, v53
	v_or_b32_e32 v50, v6, v28
	s_and_saveexec_b32 s19, vcc_lo
	s_cbranch_execz .LBB261_1670
; %bb.1669:                             ;   in Loop: Header=BB261_1075 Depth=1
	v_cmp_lt_i32_e64 s1, v87, v13
	s_delay_alu instid0(VALU_DEP_1) | instskip(SKIP_1) | instid1(VALU_DEP_1)
	v_cndmask_b32_e64 v1, 0, v53, s1
	v_cmp_lt_i32_e64 s1, v102, v12
	v_cndmask_b32_e64 v2, 0, v54, s1
	v_cmp_lt_i32_e64 s1, v101, v13
	s_delay_alu instid0(VALU_DEP_1) | instskip(SKIP_1) | instid1(VALU_DEP_1)
	v_cndmask_b32_e64 v3, 0, v29, s1
	v_cmp_lt_i32_e64 s1, v100, v12
	v_cndmask_b32_e64 v18, 0, v48, s1
	v_cmp_lt_i32_e64 s1, v99, v13
	s_delay_alu instid0(VALU_DEP_4) | instskip(NEXT) | instid1(VALU_DEP_2)
	v_or_b32_e32 v51, v1, v3
	v_dual_cndmask_b32 v19, 0, v19, s1 :: v_dual_bitop2_b32 v52, v2, v18 bitop3:0x54
	v_cmp_lt_i32_e64 s1, v98, v12
	s_delay_alu instid0(VALU_DEP_1) | instskip(SKIP_1) | instid1(VALU_DEP_1)
	v_cndmask_b32_e64 v28, 0, v28, s1
	v_cmp_lt_i32_e64 s1, v97, v13
	v_cndmask_b32_e64 v9, 0, v9, s1
	v_cmp_lt_i32_e64 s1, v96, v12
	s_delay_alu instid0(VALU_DEP_1) | instskip(NEXT) | instid1(VALU_DEP_1)
	v_dual_cndmask_b32 v6, 0, v6, s1 :: v_dual_bitop2_b32 v49, v19, v9 bitop3:0x54
	v_or_b32_e32 v50, v28, v6
.LBB261_1670:                           ;   in Loop: Header=BB261_1075 Depth=1
	s_or_b32 exec_lo, exec_lo, s19
	;;#ASMSTART
	v_pk_mul_f16 v1, v67, v51;

	;;#ASMEND
	;;#ASMSTART
	v_pk_mul_f16 v2, v65, v52;

	;;#ASMEND
	;; [unrolled: 4-line block ×4, first 2 shown]
	;;#ASMSTART
	v_pk_add_f16 v1, v1, v2;

	;;#ASMEND
	;;#ASMSTART
	v_pk_add_f16 v1, v1, v3;

	;;#ASMEND
	;; [unrolled: 4-line block ×3, first 2 shown]
	v_and_b32_e32 v2, 0xffff, v1
	v_lshrrev_b32_e32 v1, 16, v1
	;;#ASMSTART
	v_cvt_f32_f16 v42, v2;
	;;#ASMEND
	;;#ASMSTART
	v_cvt_f32_f16 v43, v1;
	;;#ASMEND
	flat_load_b64 v[48:49], v[26:27] offset:2304
	scratch_load_b64 v[2:3], off, s32 offset:192 ; 8-byte Folded Reload
	v_mov_b32_e32 v1, 0
	s_mov_b32 s19, exec_lo
	s_wait_loadcnt 0x0
	flat_load_b32 v28, v[2:3]
	s_wait_dscnt 0x1
	s_wait_xcnt 0x0
	v_and_b32_e32 v3, 0xff, v48
	v_mov_b32_e32 v2, 0
	s_delay_alu instid0(VALU_DEP_2)
	v_cmpx_ne_u16_e32 0, v3
	s_cbranch_execz .LBB261_1678
; %bb.1671:                             ;   in Loop: Header=BB261_1075 Depth=1
	v_mov_b32_e32 v2, 0x8000
	s_mov_b32 s20, exec_lo
	v_cmpx_ne_u16_e32 0x80, v3
	s_cbranch_execz .LBB261_1677
; %bb.1672:                             ;   in Loop: Header=BB261_1075 Depth=1
	v_and_b32_e32 v6, 0x7f, v48
	v_mov_b32_e32 v2, 0x7c01
	s_mov_b32 s21, exec_lo
	s_delay_alu instid0(VALU_DEP_2)
	v_cmpx_ne_u32_e32 0x7f, v6
	s_cbranch_execz .LBB261_1676
; %bb.1673:                             ;   in Loop: Header=BB261_1075 Depth=1
	v_dual_lshrrev_b32 v3, 3, v6 :: v_dual_bitop2_b32 v2, 7, v48 bitop3:0x40
	s_mov_b32 s22, exec_lo
	v_cmpx_gt_u32_e32 8, v6
; %bb.1674:                             ;   in Loop: Header=BB261_1075 Depth=1
	s_delay_alu instid0(VALU_DEP_2) | instskip(NEXT) | instid1(VALU_DEP_1)
	v_clz_i32_u32_e32 v2, v2
	v_min_u32_e32 v6, 32, v2
	s_delay_alu instid0(VALU_DEP_1) | instskip(NEXT) | instid1(VALU_DEP_1)
	v_subrev_nc_u32_e32 v2, 28, v6
	v_lshlrev_b64_e32 v[2:3], v2, v[48:49]
	v_sub_nc_u32_e32 v3, 29, v6
	s_delay_alu instid0(VALU_DEP_2)
	v_and_b32_e32 v2, 7, v2
; %bb.1675:                             ;   in Loop: Header=BB261_1075 Depth=1
	s_or_b32 exec_lo, exec_lo, s22
	s_delay_alu instid0(VALU_DEP_1) | instskip(NEXT) | instid1(VALU_DEP_3)
	v_dual_lshlrev_b32 v6, 8, v48 :: v_dual_lshlrev_b32 v2, 7, v2
	v_lshl_add_u32 v3, v3, 10, 0x2000
	s_delay_alu instid0(VALU_DEP_2) | instskip(NEXT) | instid1(VALU_DEP_2)
	v_and_b32_e32 v6, 0x8000, v6
	v_and_b32_e32 v3, 0xfc00, v3
	s_delay_alu instid0(VALU_DEP_1)
	v_or3_b32 v2, v6, v3, v2
.LBB261_1676:                           ;   in Loop: Header=BB261_1075 Depth=1
	s_or_b32 exec_lo, exec_lo, s21
.LBB261_1677:                           ;   in Loop: Header=BB261_1075 Depth=1
	s_delay_alu instid0(SALU_CYCLE_1)
	s_or_b32 exec_lo, exec_lo, s20
.LBB261_1678:                           ;   in Loop: Header=BB261_1075 Depth=1
	s_delay_alu instid0(SALU_CYCLE_1) | instskip(SKIP_2) | instid1(VALU_DEP_1)
	s_or_b32 exec_lo, exec_lo, s19
	v_lshrrev_b16 v6, 8, v48
	s_mov_b32 s19, exec_lo
	v_cmpx_ne_u16_e32 0, v6
	s_cbranch_execz .LBB261_1686
; %bb.1679:                             ;   in Loop: Header=BB261_1075 Depth=1
	v_bfrev_b32_e32 v1, 1
	s_mov_b32 s20, exec_lo
	v_cmpx_ne_u16_e32 0x80, v6
	s_cbranch_execz .LBB261_1685
; %bb.1680:                             ;   in Loop: Header=BB261_1075 Depth=1
	v_and_b32_e32 v3, 0xffff, v6
	v_mov_b32_e32 v1, 0x7c010000
	s_mov_b32 s21, exec_lo
	s_delay_alu instid0(VALU_DEP_2) | instskip(NEXT) | instid1(VALU_DEP_1)
	v_and_b32_e32 v18, 0x7f, v3
	v_cmpx_ne_u32_e32 0x7f, v18
	s_cbranch_execz .LBB261_1684
; %bb.1681:                             ;   in Loop: Header=BB261_1075 Depth=1
	v_dual_lshrrev_b32 v9, 3, v18 :: v_dual_bitop2_b32 v1, 7, v3 bitop3:0x40
	s_mov_b32 s22, exec_lo
	v_cmpx_gt_u32_e32 8, v18
; %bb.1682:                             ;   in Loop: Header=BB261_1075 Depth=1
	s_delay_alu instid0(VALU_DEP_2) | instskip(NEXT) | instid1(VALU_DEP_1)
	v_clz_i32_u32_e32 v1, v1
	v_min_u32_e32 v1, 32, v1
	s_delay_alu instid0(VALU_DEP_1) | instskip(NEXT) | instid1(VALU_DEP_1)
	v_subrev_nc_u32_e32 v9, 28, v1
	v_lshlrev_b64_e32 v[18:19], v9, v[6:7]
	s_delay_alu instid0(VALU_DEP_1)
	v_dual_sub_nc_u32 v9, 29, v1 :: v_dual_bitop2_b32 v1, 7, v18 bitop3:0x40
; %bb.1683:                             ;   in Loop: Header=BB261_1075 Depth=1
	s_or_b32 exec_lo, exec_lo, s22
	s_delay_alu instid0(VALU_DEP_1) | instskip(NEXT) | instid1(VALU_DEP_2)
	v_dual_lshlrev_b32 v3, 8, v3 :: v_dual_lshlrev_b32 v1, 23, v1
	v_lshl_add_u32 v6, v9, 10, 0x2000
	s_delay_alu instid0(VALU_DEP_1) | instskip(NEXT) | instid1(VALU_DEP_1)
	v_and_or_b32 v3, 0x8000, v3, v6
	v_lshl_or_b32 v1, v3, 16, v1
.LBB261_1684:                           ;   in Loop: Header=BB261_1075 Depth=1
	s_or_b32 exec_lo, exec_lo, s21
.LBB261_1685:                           ;   in Loop: Header=BB261_1075 Depth=1
	s_delay_alu instid0(SALU_CYCLE_1)
	s_or_b32 exec_lo, exec_lo, s20
.LBB261_1686:                           ;   in Loop: Header=BB261_1075 Depth=1
	s_delay_alu instid0(SALU_CYCLE_1) | instskip(SKIP_3) | instid1(VALU_DEP_2)
	s_or_b32 exec_lo, exec_lo, s19
	v_dual_mov_b32 v3, 0 :: v_dual_lshrrev_b32 v6, 16, v48
	v_mov_b32_e32 v9, 0
	s_mov_b32 s19, exec_lo
	v_and_b32_e32 v18, 0xff, v6
	s_delay_alu instid0(VALU_DEP_1)
	v_cmpx_ne_u16_e32 0, v18
	s_cbranch_execz .LBB261_1694
; %bb.1687:                             ;   in Loop: Header=BB261_1075 Depth=1
	v_mov_b32_e32 v9, 0x8000
	s_mov_b32 s20, exec_lo
	v_cmpx_ne_u16_e32 0x80, v18
	s_cbranch_execz .LBB261_1693
; %bb.1688:                             ;   in Loop: Header=BB261_1075 Depth=1
	v_bfe_u32 v19, v48, 16, 7
	v_mov_b32_e32 v9, 0x7c01
	s_mov_b32 s21, exec_lo
	s_delay_alu instid0(VALU_DEP_2)
	v_cmpx_ne_u32_e32 0x7f, v19
	s_cbranch_execz .LBB261_1692
; %bb.1689:                             ;   in Loop: Header=BB261_1075 Depth=1
	v_dual_lshrrev_b32 v18, 3, v19 :: v_dual_bitop2_b32 v9, 7, v6 bitop3:0x40
	s_mov_b32 s22, exec_lo
	v_cmpx_gt_u32_e32 8, v19
; %bb.1690:                             ;   in Loop: Header=BB261_1075 Depth=1
	s_delay_alu instid0(VALU_DEP_2) | instskip(NEXT) | instid1(VALU_DEP_1)
	v_clz_i32_u32_e32 v9, v9
	v_min_u32_e32 v9, 32, v9
	s_delay_alu instid0(VALU_DEP_1) | instskip(NEXT) | instid1(VALU_DEP_1)
	v_subrev_nc_u32_e32 v18, 28, v9
	v_lshlrev_b64_e32 v[50:51], v18, v[6:7]
	s_delay_alu instid0(VALU_DEP_1)
	v_dual_sub_nc_u32 v18, 29, v9 :: v_dual_bitop2_b32 v9, 7, v50 bitop3:0x40
; %bb.1691:                             ;   in Loop: Header=BB261_1075 Depth=1
	s_or_b32 exec_lo, exec_lo, s22
	s_delay_alu instid0(VALU_DEP_1) | instskip(NEXT) | instid1(VALU_DEP_2)
	v_dual_lshlrev_b32 v6, 8, v6 :: v_dual_lshlrev_b32 v9, 7, v9
	v_lshl_add_u32 v18, v18, 10, 0x2000
	s_delay_alu instid0(VALU_DEP_2) | instskip(NEXT) | instid1(VALU_DEP_2)
	v_and_b32_e32 v6, 0x8000, v6
	v_and_b32_e32 v18, 0xfc00, v18
	s_delay_alu instid0(VALU_DEP_1)
	v_or3_b32 v9, v6, v18, v9
.LBB261_1692:                           ;   in Loop: Header=BB261_1075 Depth=1
	s_or_b32 exec_lo, exec_lo, s21
.LBB261_1693:                           ;   in Loop: Header=BB261_1075 Depth=1
	s_delay_alu instid0(SALU_CYCLE_1)
	s_or_b32 exec_lo, exec_lo, s20
.LBB261_1694:                           ;   in Loop: Header=BB261_1075 Depth=1
	s_delay_alu instid0(SALU_CYCLE_1) | instskip(NEXT) | instid1(SALU_CYCLE_1)
	s_or_b32 exec_lo, exec_lo, s19
	s_mov_b32 s19, exec_lo
	v_cmpx_lt_u32_e32 0xffffff, v48
	s_cbranch_execz .LBB261_1702
; %bb.1695:                             ;   in Loop: Header=BB261_1075 Depth=1
	v_lshrrev_b32_e32 v6, 24, v48
	v_bfrev_b32_e32 v3, 1
	s_mov_b32 s20, exec_lo
	s_delay_alu instid0(VALU_DEP_2)
	v_cmpx_ne_u32_e32 0x80, v6
	s_cbranch_execz .LBB261_1701
; %bb.1696:                             ;   in Loop: Header=BB261_1075 Depth=1
	v_and_b32_e32 v19, 0x7f, v6
	v_mov_b32_e32 v3, 0x7c010000
	s_mov_b32 s21, exec_lo
	s_delay_alu instid0(VALU_DEP_2)
	v_cmpx_ne_u32_e32 0x7f, v19
	s_cbranch_execz .LBB261_1700
; %bb.1697:                             ;   in Loop: Header=BB261_1075 Depth=1
	v_dual_lshrrev_b32 v18, 3, v19 :: v_dual_bitop2_b32 v3, 7, v6 bitop3:0x40
	s_mov_b32 s22, exec_lo
	v_cmpx_gt_u32_e32 8, v19
; %bb.1698:                             ;   in Loop: Header=BB261_1075 Depth=1
	s_delay_alu instid0(VALU_DEP_2) | instskip(NEXT) | instid1(VALU_DEP_1)
	v_clz_i32_u32_e32 v3, v3
	v_min_u32_e32 v3, 32, v3
	s_delay_alu instid0(VALU_DEP_1) | instskip(NEXT) | instid1(VALU_DEP_1)
	v_subrev_nc_u32_e32 v18, 28, v3
	v_lshlrev_b64_e32 v[50:51], v18, v[6:7]
	s_delay_alu instid0(VALU_DEP_1)
	v_dual_sub_nc_u32 v18, 29, v3 :: v_dual_bitop2_b32 v3, 7, v50 bitop3:0x40
; %bb.1699:                             ;   in Loop: Header=BB261_1075 Depth=1
	s_or_b32 exec_lo, exec_lo, s22
	s_delay_alu instid0(VALU_DEP_1) | instskip(NEXT) | instid1(VALU_DEP_2)
	v_dual_lshlrev_b32 v6, 8, v6 :: v_dual_lshlrev_b32 v3, 23, v3
	v_lshl_add_u32 v18, v18, 10, 0x2000
	s_delay_alu instid0(VALU_DEP_1) | instskip(NEXT) | instid1(VALU_DEP_1)
	v_and_or_b32 v6, 0x8000, v6, v18
	v_lshl_or_b32 v3, v6, 16, v3
.LBB261_1700:                           ;   in Loop: Header=BB261_1075 Depth=1
	s_or_b32 exec_lo, exec_lo, s21
.LBB261_1701:                           ;   in Loop: Header=BB261_1075 Depth=1
	s_delay_alu instid0(SALU_CYCLE_1)
	s_or_b32 exec_lo, exec_lo, s20
.LBB261_1702:                           ;   in Loop: Header=BB261_1075 Depth=1
	s_delay_alu instid0(SALU_CYCLE_1) | instskip(SKIP_4) | instid1(VALU_DEP_3)
	s_or_b32 exec_lo, exec_lo, s19
	v_and_b32_e32 v29, 0xff, v49
	v_dual_mov_b32 v6, v49 :: v_dual_mov_b32 v19, 0
	v_mov_b32_e32 v18, 0
	s_mov_b32 s19, exec_lo
	v_cmpx_ne_u16_e32 0, v29
	s_cbranch_execz .LBB261_1710
; %bb.1703:                             ;   in Loop: Header=BB261_1075 Depth=1
	v_mov_b32_e32 v18, 0x8000
	s_mov_b32 s20, exec_lo
	v_cmpx_ne_u16_e32 0x80, v29
	s_cbranch_execz .LBB261_1709
; %bb.1704:                             ;   in Loop: Header=BB261_1075 Depth=1
	v_and_b32_e32 v50, 0x7f, v49
	v_mov_b32_e32 v18, 0x7c01
	s_mov_b32 s21, exec_lo
	s_delay_alu instid0(VALU_DEP_2)
	v_cmpx_ne_u32_e32 0x7f, v50
	s_cbranch_execz .LBB261_1708
; %bb.1705:                             ;   in Loop: Header=BB261_1075 Depth=1
	v_dual_lshrrev_b32 v29, 3, v50 :: v_dual_bitop2_b32 v18, 7, v49 bitop3:0x40
	s_mov_b32 s22, exec_lo
	v_cmpx_gt_u32_e32 8, v50
; %bb.1706:                             ;   in Loop: Header=BB261_1075 Depth=1
	s_delay_alu instid0(VALU_DEP_2) | instskip(NEXT) | instid1(VALU_DEP_1)
	v_clz_i32_u32_e32 v18, v18
	v_min_u32_e32 v18, 32, v18
	s_delay_alu instid0(VALU_DEP_1) | instskip(NEXT) | instid1(VALU_DEP_1)
	v_subrev_nc_u32_e32 v29, 28, v18
	v_lshlrev_b64_e32 v[50:51], v29, v[6:7]
	v_sub_nc_u32_e32 v29, 29, v18
	s_delay_alu instid0(VALU_DEP_2)
	v_and_b32_e32 v18, 7, v50
; %bb.1707:                             ;   in Loop: Header=BB261_1075 Depth=1
	s_or_b32 exec_lo, exec_lo, s22
	s_delay_alu instid0(VALU_DEP_1) | instskip(NEXT) | instid1(VALU_DEP_3)
	v_dual_lshlrev_b32 v50, 8, v49 :: v_dual_lshlrev_b32 v18, 7, v18
	v_lshl_add_u32 v29, v29, 10, 0x2000
	s_delay_alu instid0(VALU_DEP_2) | instskip(NEXT) | instid1(VALU_DEP_2)
	v_and_b32_e32 v50, 0x8000, v50
	v_and_b32_e32 v29, 0xfc00, v29
	s_delay_alu instid0(VALU_DEP_1)
	v_or3_b32 v18, v50, v29, v18
.LBB261_1708:                           ;   in Loop: Header=BB261_1075 Depth=1
	s_or_b32 exec_lo, exec_lo, s21
.LBB261_1709:                           ;   in Loop: Header=BB261_1075 Depth=1
	s_delay_alu instid0(SALU_CYCLE_1)
	s_or_b32 exec_lo, exec_lo, s20
.LBB261_1710:                           ;   in Loop: Header=BB261_1075 Depth=1
	s_delay_alu instid0(SALU_CYCLE_1) | instskip(SKIP_3) | instid1(VALU_DEP_2)
	s_or_b32 exec_lo, exec_lo, s19
	v_lshrrev_b16 v6, 8, v6
	v_mov_b32_e32 v29, 0
	s_mov_b32 s19, exec_lo
	v_cmpx_ne_u16_e32 0, v6
	s_cbranch_execz .LBB261_1718
; %bb.1711:                             ;   in Loop: Header=BB261_1075 Depth=1
	v_bfrev_b32_e32 v29, 1
	s_mov_b32 s20, exec_lo
	v_cmpx_ne_u16_e32 0x80, v6
	s_cbranch_execz .LBB261_1717
; %bb.1712:                             ;   in Loop: Header=BB261_1075 Depth=1
	v_and_b32_e32 v50, 0xffff, v6
	v_mov_b32_e32 v29, 0x7c010000
	s_mov_b32 s21, exec_lo
	s_delay_alu instid0(VALU_DEP_2) | instskip(NEXT) | instid1(VALU_DEP_1)
	v_and_b32_e32 v52, 0x7f, v50
	v_cmpx_ne_u32_e32 0x7f, v52
	s_cbranch_execz .LBB261_1716
; %bb.1713:                             ;   in Loop: Header=BB261_1075 Depth=1
	v_dual_lshrrev_b32 v51, 3, v52 :: v_dual_bitop2_b32 v29, 7, v50 bitop3:0x40
	s_mov_b32 s22, exec_lo
	v_cmpx_gt_u32_e32 8, v52
; %bb.1714:                             ;   in Loop: Header=BB261_1075 Depth=1
	s_delay_alu instid0(VALU_DEP_2) | instskip(NEXT) | instid1(VALU_DEP_1)
	v_clz_i32_u32_e32 v29, v29
	v_min_u32_e32 v29, 32, v29
	s_delay_alu instid0(VALU_DEP_1) | instskip(NEXT) | instid1(VALU_DEP_1)
	v_subrev_nc_u32_e32 v51, 28, v29
	v_lshlrev_b64_e32 v[52:53], v51, v[6:7]
	s_delay_alu instid0(VALU_DEP_1)
	v_dual_sub_nc_u32 v51, 29, v29 :: v_dual_bitop2_b32 v29, 7, v52 bitop3:0x40
; %bb.1715:                             ;   in Loop: Header=BB261_1075 Depth=1
	s_or_b32 exec_lo, exec_lo, s22
	s_delay_alu instid0(VALU_DEP_1) | instskip(NEXT) | instid1(VALU_DEP_2)
	v_dual_lshlrev_b32 v6, 8, v50 :: v_dual_lshlrev_b32 v29, 23, v29
	v_lshl_add_u32 v50, v51, 10, 0x2000
	s_delay_alu instid0(VALU_DEP_1) | instskip(NEXT) | instid1(VALU_DEP_1)
	v_and_or_b32 v6, 0x8000, v6, v50
	v_lshl_or_b32 v29, v6, 16, v29
.LBB261_1716:                           ;   in Loop: Header=BB261_1075 Depth=1
	s_or_b32 exec_lo, exec_lo, s21
.LBB261_1717:                           ;   in Loop: Header=BB261_1075 Depth=1
	s_delay_alu instid0(SALU_CYCLE_1)
	s_or_b32 exec_lo, exec_lo, s20
.LBB261_1718:                           ;   in Loop: Header=BB261_1075 Depth=1
	s_delay_alu instid0(SALU_CYCLE_1) | instskip(SKIP_2) | instid1(VALU_DEP_1)
	s_or_b32 exec_lo, exec_lo, s19
	v_lshrrev_b32_e32 v6, 16, v49
	s_mov_b32 s19, exec_lo
	v_and_b32_e32 v50, 0xff, v6
	s_delay_alu instid0(VALU_DEP_1)
	v_cmpx_ne_u16_e32 0, v50
	s_cbranch_execz .LBB261_1726
; %bb.1719:                             ;   in Loop: Header=BB261_1075 Depth=1
	v_mov_b32_e32 v19, 0x8000
	s_mov_b32 s20, exec_lo
	v_cmpx_ne_u16_e32 0x80, v50
	s_cbranch_execz .LBB261_1725
; %bb.1720:                             ;   in Loop: Header=BB261_1075 Depth=1
	v_bfe_u32 v51, v49, 16, 7
	v_mov_b32_e32 v19, 0x7c01
	s_mov_b32 s21, exec_lo
	s_delay_alu instid0(VALU_DEP_2)
	v_cmpx_ne_u32_e32 0x7f, v51
	s_cbranch_execz .LBB261_1724
; %bb.1721:                             ;   in Loop: Header=BB261_1075 Depth=1
	v_dual_lshrrev_b32 v50, 3, v51 :: v_dual_bitop2_b32 v19, 7, v6 bitop3:0x40
	s_mov_b32 s22, exec_lo
	v_cmpx_gt_u32_e32 8, v51
; %bb.1722:                             ;   in Loop: Header=BB261_1075 Depth=1
	s_delay_alu instid0(VALU_DEP_2) | instskip(NEXT) | instid1(VALU_DEP_1)
	v_clz_i32_u32_e32 v19, v19
	v_min_u32_e32 v19, 32, v19
	s_delay_alu instid0(VALU_DEP_1) | instskip(NEXT) | instid1(VALU_DEP_1)
	v_subrev_nc_u32_e32 v50, 28, v19
	v_lshlrev_b64_e32 v[52:53], v50, v[6:7]
	s_delay_alu instid0(VALU_DEP_1)
	v_dual_sub_nc_u32 v50, 29, v19 :: v_dual_bitop2_b32 v19, 7, v52 bitop3:0x40
; %bb.1723:                             ;   in Loop: Header=BB261_1075 Depth=1
	s_or_b32 exec_lo, exec_lo, s22
	s_delay_alu instid0(VALU_DEP_1) | instskip(NEXT) | instid1(VALU_DEP_2)
	v_dual_lshlrev_b32 v6, 8, v6 :: v_dual_lshlrev_b32 v19, 7, v19
	v_lshl_add_u32 v50, v50, 10, 0x2000
	s_delay_alu instid0(VALU_DEP_2) | instskip(NEXT) | instid1(VALU_DEP_2)
	v_and_b32_e32 v6, 0x8000, v6
	v_and_b32_e32 v50, 0xfc00, v50
	s_delay_alu instid0(VALU_DEP_1)
	v_or3_b32 v19, v6, v50, v19
.LBB261_1724:                           ;   in Loop: Header=BB261_1075 Depth=1
	s_or_b32 exec_lo, exec_lo, s21
.LBB261_1725:                           ;   in Loop: Header=BB261_1075 Depth=1
	s_delay_alu instid0(SALU_CYCLE_1)
	s_or_b32 exec_lo, exec_lo, s20
.LBB261_1726:                           ;   in Loop: Header=BB261_1075 Depth=1
	s_delay_alu instid0(SALU_CYCLE_1)
	s_or_b32 exec_lo, exec_lo, s19
	v_cmp_lt_u64_e64 s1, s[2:3], v[48:49]
	v_mov_b32_e32 v48, 0
	s_and_saveexec_b32 s19, s1
	s_cbranch_execz .LBB261_1734
; %bb.1727:                             ;   in Loop: Header=BB261_1075 Depth=1
	v_lshrrev_b32_e32 v6, 24, v49
	v_bfrev_b32_e32 v48, 1
	s_mov_b32 s20, exec_lo
	s_delay_alu instid0(VALU_DEP_2)
	v_cmpx_ne_u32_e32 0x80, v6
	s_cbranch_execz .LBB261_1733
; %bb.1728:                             ;   in Loop: Header=BB261_1075 Depth=1
	v_and_b32_e32 v50, 0x7f, v6
	v_mov_b32_e32 v48, 0x7c010000
	s_mov_b32 s21, exec_lo
	s_delay_alu instid0(VALU_DEP_2)
	v_cmpx_ne_u32_e32 0x7f, v50
	s_cbranch_execz .LBB261_1732
; %bb.1729:                             ;   in Loop: Header=BB261_1075 Depth=1
	v_and_b32_e32 v48, 7, v6
	v_lshrrev_b32_e32 v49, 3, v50
	s_mov_b32 s22, exec_lo
	v_cmpx_gt_u32_e32 8, v50
; %bb.1730:                             ;   in Loop: Header=BB261_1075 Depth=1
	s_delay_alu instid0(VALU_DEP_3) | instskip(NEXT) | instid1(VALU_DEP_1)
	v_clz_i32_u32_e32 v48, v48
	v_min_u32_e32 v50, 32, v48
	s_delay_alu instid0(VALU_DEP_1) | instskip(NEXT) | instid1(VALU_DEP_1)
	v_subrev_nc_u32_e32 v48, 28, v50
	v_lshlrev_b64_e32 v[48:49], v48, v[6:7]
	s_delay_alu instid0(VALU_DEP_1)
	v_dual_sub_nc_u32 v49, 29, v50 :: v_dual_bitop2_b32 v48, 7, v48 bitop3:0x40
; %bb.1731:                             ;   in Loop: Header=BB261_1075 Depth=1
	s_or_b32 exec_lo, exec_lo, s22
	s_delay_alu instid0(VALU_DEP_1) | instskip(NEXT) | instid1(VALU_DEP_2)
	v_dual_lshlrev_b32 v6, 8, v6 :: v_dual_lshlrev_b32 v48, 23, v48
	v_lshl_add_u32 v49, v49, 10, 0x2000
	s_delay_alu instid0(VALU_DEP_1) | instskip(NEXT) | instid1(VALU_DEP_1)
	v_and_or_b32 v6, 0x8000, v6, v49
	v_lshl_or_b32 v48, v6, 16, v48
.LBB261_1732:                           ;   in Loop: Header=BB261_1075 Depth=1
	s_or_b32 exec_lo, exec_lo, s21
.LBB261_1733:                           ;   in Loop: Header=BB261_1075 Depth=1
	s_delay_alu instid0(SALU_CYCLE_1)
	s_or_b32 exec_lo, exec_lo, s20
.LBB261_1734:                           ;   in Loop: Header=BB261_1075 Depth=1
	s_delay_alu instid0(SALU_CYCLE_1) | instskip(SKIP_3) | instid1(VALU_DEP_3)
	s_or_b32 exec_lo, exec_lo, s19
	v_dual_lshrrev_b32 v6, 16, v1 :: v_dual_lshrrev_b32 v49, 16, v3
	v_dual_lshrrev_b32 v50, 16, v48 :: v_dual_bitop2_b32 v9, v3, v9 bitop3:0x54
	v_or_b32_e32 v1, v1, v2
	v_cvt_f32_f16_e32 v3, v6
	s_delay_alu instid0(VALU_DEP_4)
	v_cvt_f32_f16_e32 v2, v49
	v_dual_lshrrev_b32 v19, 16, v29 :: v_dual_bitop2_b32 v6, v48, v19 bitop3:0x54
	v_cvt_f32_f16_e32 v48, v9
	v_or_b32_e32 v9, v29, v18
	s_wait_loadcnt_dscnt 0x0
	v_pk_mul_f32 v[2:3], v[28:29], v[2:3] op_sel_hi:[0,1]
	v_cvt_f32_f16_e32 v49, v1
	v_cvt_f32_f16_e32 v19, v19
	;; [unrolled: 1-line block ×5, first 2 shown]
	v_pk_mul_f32 v[48:49], v[28:29], v[48:49] op_sel_hi:[0,1]
	v_cvt_pk_f16_f32 v1, v2, v3
	v_pk_mul_f32 v[2:3], v[28:29], v[18:19] op_sel_hi:[0,1]
	s_delay_alu instid0(VALU_DEP_4) | instskip(NEXT) | instid1(VALU_DEP_4)
	v_pk_mul_f32 v[18:19], v[28:29], v[50:51] op_sel_hi:[0,1]
	v_cvt_pk_f16_f32 v6, v48, v49
	s_delay_alu instid0(VALU_DEP_4) | instskip(NEXT) | instid1(VALU_DEP_4)
	v_and_b32_e32 v29, 0xffff0000, v1
	v_cvt_pk_f16_f32 v2, v2, v3
	v_lshlrev_b32_e32 v48, 16, v1
	v_cvt_pk_f16_f32 v1, v18, v19
	v_and_b32_e32 v54, 0xffff, v6
	s_delay_alu instid0(VALU_DEP_4) | instskip(NEXT) | instid1(VALU_DEP_3)
	v_and_b32_e32 v9, 0xffff0000, v2
	v_dual_lshrrev_b32 v19, 16, v1 :: v_dual_lshrrev_b32 v53, 16, v6
	v_and_b32_e32 v28, 0xffff, v1
	s_delay_alu instid0(VALU_DEP_4) | instskip(NEXT) | instid1(VALU_DEP_3)
	v_or_b32_e32 v52, v48, v54
	v_dual_lshlrev_b32 v6, 16, v2 :: v_dual_bitop2_b32 v49, v9, v19 bitop3:0x54
	s_delay_alu instid0(VALU_DEP_4) | instskip(NEXT) | instid1(VALU_DEP_2)
	v_or_b32_e32 v51, v29, v53
	v_or_b32_e32 v50, v6, v28
	s_and_saveexec_b32 s19, vcc_lo
	s_cbranch_execz .LBB261_1736
; %bb.1735:                             ;   in Loop: Header=BB261_1075 Depth=1
	v_cmp_lt_i32_e64 s1, v87, v13
	s_delay_alu instid0(VALU_DEP_1) | instskip(SKIP_1) | instid1(VALU_DEP_1)
	v_cndmask_b32_e64 v1, 0, v53, s1
	v_cmp_lt_i32_e64 s1, v102, v12
	v_cndmask_b32_e64 v2, 0, v54, s1
	v_cmp_lt_i32_e64 s1, v101, v13
	s_delay_alu instid0(VALU_DEP_1) | instskip(SKIP_1) | instid1(VALU_DEP_1)
	v_cndmask_b32_e64 v3, 0, v29, s1
	v_cmp_lt_i32_e64 s1, v100, v12
	v_cndmask_b32_e64 v18, 0, v48, s1
	v_cmp_lt_i32_e64 s1, v99, v13
	s_delay_alu instid0(VALU_DEP_4) | instskip(NEXT) | instid1(VALU_DEP_2)
	v_or_b32_e32 v51, v1, v3
	v_dual_cndmask_b32 v19, 0, v19, s1 :: v_dual_bitop2_b32 v52, v2, v18 bitop3:0x54
	v_cmp_lt_i32_e64 s1, v98, v12
	s_delay_alu instid0(VALU_DEP_1) | instskip(SKIP_1) | instid1(VALU_DEP_1)
	v_cndmask_b32_e64 v28, 0, v28, s1
	v_cmp_lt_i32_e64 s1, v97, v13
	v_cndmask_b32_e64 v9, 0, v9, s1
	v_cmp_lt_i32_e64 s1, v96, v12
	s_delay_alu instid0(VALU_DEP_1) | instskip(NEXT) | instid1(VALU_DEP_1)
	v_dual_cndmask_b32 v6, 0, v6, s1 :: v_dual_bitop2_b32 v49, v19, v9 bitop3:0x54
	v_or_b32_e32 v50, v28, v6
.LBB261_1736:                           ;   in Loop: Header=BB261_1075 Depth=1
	s_or_b32 exec_lo, exec_lo, s19
	;;#ASMSTART
	v_pk_mul_f16 v1, v67, v51;

	;;#ASMEND
	;;#ASMSTART
	v_pk_mul_f16 v2, v65, v52;

	;;#ASMEND
	;; [unrolled: 4-line block ×4, first 2 shown]
	;;#ASMSTART
	v_pk_add_f16 v1, v1, v2;

	;;#ASMEND
	;;#ASMSTART
	v_pk_add_f16 v1, v1, v3;

	;;#ASMEND
	;; [unrolled: 4-line block ×3, first 2 shown]
	v_and_b32_e32 v2, 0xffff, v1
	v_lshrrev_b32_e32 v1, 16, v1
	;;#ASMSTART
	v_cvt_f32_f16 v44, v2;
	;;#ASMEND
	;;#ASMSTART
	v_cvt_f32_f16 v45, v1;
	;;#ASMEND
	flat_load_b64 v[48:49], v[26:27] offset:2560
	scratch_load_b64 v[2:3], off, s32 offset:192 ; 8-byte Folded Reload
	v_mov_b32_e32 v1, 0
	s_mov_b32 s19, exec_lo
	s_wait_loadcnt 0x0
	flat_load_b32 v28, v[2:3]
	s_wait_dscnt 0x1
	s_wait_xcnt 0x0
	v_and_b32_e32 v3, 0xff, v48
	v_mov_b32_e32 v2, 0
	s_delay_alu instid0(VALU_DEP_2)
	v_cmpx_ne_u16_e32 0, v3
	s_cbranch_execz .LBB261_1744
; %bb.1737:                             ;   in Loop: Header=BB261_1075 Depth=1
	v_mov_b32_e32 v2, 0x8000
	s_mov_b32 s20, exec_lo
	v_cmpx_ne_u16_e32 0x80, v3
	s_cbranch_execz .LBB261_1743
; %bb.1738:                             ;   in Loop: Header=BB261_1075 Depth=1
	v_and_b32_e32 v6, 0x7f, v48
	v_mov_b32_e32 v2, 0x7c01
	s_mov_b32 s21, exec_lo
	s_delay_alu instid0(VALU_DEP_2)
	v_cmpx_ne_u32_e32 0x7f, v6
	s_cbranch_execz .LBB261_1742
; %bb.1739:                             ;   in Loop: Header=BB261_1075 Depth=1
	v_dual_lshrrev_b32 v3, 3, v6 :: v_dual_bitop2_b32 v2, 7, v48 bitop3:0x40
	s_mov_b32 s22, exec_lo
	v_cmpx_gt_u32_e32 8, v6
; %bb.1740:                             ;   in Loop: Header=BB261_1075 Depth=1
	s_delay_alu instid0(VALU_DEP_2) | instskip(NEXT) | instid1(VALU_DEP_1)
	v_clz_i32_u32_e32 v2, v2
	v_min_u32_e32 v6, 32, v2
	s_delay_alu instid0(VALU_DEP_1) | instskip(NEXT) | instid1(VALU_DEP_1)
	v_subrev_nc_u32_e32 v2, 28, v6
	v_lshlrev_b64_e32 v[2:3], v2, v[48:49]
	v_sub_nc_u32_e32 v3, 29, v6
	s_delay_alu instid0(VALU_DEP_2)
	v_and_b32_e32 v2, 7, v2
; %bb.1741:                             ;   in Loop: Header=BB261_1075 Depth=1
	s_or_b32 exec_lo, exec_lo, s22
	s_delay_alu instid0(VALU_DEP_1) | instskip(NEXT) | instid1(VALU_DEP_3)
	v_dual_lshlrev_b32 v6, 8, v48 :: v_dual_lshlrev_b32 v2, 7, v2
	v_lshl_add_u32 v3, v3, 10, 0x2000
	s_delay_alu instid0(VALU_DEP_2) | instskip(NEXT) | instid1(VALU_DEP_2)
	v_and_b32_e32 v6, 0x8000, v6
	v_and_b32_e32 v3, 0xfc00, v3
	s_delay_alu instid0(VALU_DEP_1)
	v_or3_b32 v2, v6, v3, v2
.LBB261_1742:                           ;   in Loop: Header=BB261_1075 Depth=1
	s_or_b32 exec_lo, exec_lo, s21
.LBB261_1743:                           ;   in Loop: Header=BB261_1075 Depth=1
	s_delay_alu instid0(SALU_CYCLE_1)
	s_or_b32 exec_lo, exec_lo, s20
.LBB261_1744:                           ;   in Loop: Header=BB261_1075 Depth=1
	s_delay_alu instid0(SALU_CYCLE_1) | instskip(SKIP_2) | instid1(VALU_DEP_1)
	s_or_b32 exec_lo, exec_lo, s19
	v_lshrrev_b16 v6, 8, v48
	s_mov_b32 s19, exec_lo
	v_cmpx_ne_u16_e32 0, v6
	s_cbranch_execz .LBB261_1752
; %bb.1745:                             ;   in Loop: Header=BB261_1075 Depth=1
	v_bfrev_b32_e32 v1, 1
	s_mov_b32 s20, exec_lo
	v_cmpx_ne_u16_e32 0x80, v6
	s_cbranch_execz .LBB261_1751
; %bb.1746:                             ;   in Loop: Header=BB261_1075 Depth=1
	v_and_b32_e32 v3, 0xffff, v6
	v_mov_b32_e32 v1, 0x7c010000
	s_mov_b32 s21, exec_lo
	s_delay_alu instid0(VALU_DEP_2) | instskip(NEXT) | instid1(VALU_DEP_1)
	v_and_b32_e32 v18, 0x7f, v3
	v_cmpx_ne_u32_e32 0x7f, v18
	s_cbranch_execz .LBB261_1750
; %bb.1747:                             ;   in Loop: Header=BB261_1075 Depth=1
	v_dual_lshrrev_b32 v9, 3, v18 :: v_dual_bitop2_b32 v1, 7, v3 bitop3:0x40
	s_mov_b32 s22, exec_lo
	v_cmpx_gt_u32_e32 8, v18
; %bb.1748:                             ;   in Loop: Header=BB261_1075 Depth=1
	s_delay_alu instid0(VALU_DEP_2) | instskip(NEXT) | instid1(VALU_DEP_1)
	v_clz_i32_u32_e32 v1, v1
	v_min_u32_e32 v1, 32, v1
	s_delay_alu instid0(VALU_DEP_1) | instskip(NEXT) | instid1(VALU_DEP_1)
	v_subrev_nc_u32_e32 v9, 28, v1
	v_lshlrev_b64_e32 v[18:19], v9, v[6:7]
	s_delay_alu instid0(VALU_DEP_1)
	v_dual_sub_nc_u32 v9, 29, v1 :: v_dual_bitop2_b32 v1, 7, v18 bitop3:0x40
; %bb.1749:                             ;   in Loop: Header=BB261_1075 Depth=1
	s_or_b32 exec_lo, exec_lo, s22
	s_delay_alu instid0(VALU_DEP_1) | instskip(NEXT) | instid1(VALU_DEP_2)
	v_dual_lshlrev_b32 v3, 8, v3 :: v_dual_lshlrev_b32 v1, 23, v1
	v_lshl_add_u32 v6, v9, 10, 0x2000
	s_delay_alu instid0(VALU_DEP_1) | instskip(NEXT) | instid1(VALU_DEP_1)
	v_and_or_b32 v3, 0x8000, v3, v6
	v_lshl_or_b32 v1, v3, 16, v1
.LBB261_1750:                           ;   in Loop: Header=BB261_1075 Depth=1
	s_or_b32 exec_lo, exec_lo, s21
.LBB261_1751:                           ;   in Loop: Header=BB261_1075 Depth=1
	s_delay_alu instid0(SALU_CYCLE_1)
	s_or_b32 exec_lo, exec_lo, s20
.LBB261_1752:                           ;   in Loop: Header=BB261_1075 Depth=1
	s_delay_alu instid0(SALU_CYCLE_1) | instskip(SKIP_3) | instid1(VALU_DEP_2)
	s_or_b32 exec_lo, exec_lo, s19
	v_dual_mov_b32 v3, 0 :: v_dual_lshrrev_b32 v6, 16, v48
	v_mov_b32_e32 v9, 0
	s_mov_b32 s19, exec_lo
	v_and_b32_e32 v18, 0xff, v6
	s_delay_alu instid0(VALU_DEP_1)
	v_cmpx_ne_u16_e32 0, v18
	s_cbranch_execz .LBB261_1760
; %bb.1753:                             ;   in Loop: Header=BB261_1075 Depth=1
	v_mov_b32_e32 v9, 0x8000
	s_mov_b32 s20, exec_lo
	v_cmpx_ne_u16_e32 0x80, v18
	s_cbranch_execz .LBB261_1759
; %bb.1754:                             ;   in Loop: Header=BB261_1075 Depth=1
	v_bfe_u32 v19, v48, 16, 7
	v_mov_b32_e32 v9, 0x7c01
	s_mov_b32 s21, exec_lo
	s_delay_alu instid0(VALU_DEP_2)
	v_cmpx_ne_u32_e32 0x7f, v19
	s_cbranch_execz .LBB261_1758
; %bb.1755:                             ;   in Loop: Header=BB261_1075 Depth=1
	v_dual_lshrrev_b32 v18, 3, v19 :: v_dual_bitop2_b32 v9, 7, v6 bitop3:0x40
	s_mov_b32 s22, exec_lo
	v_cmpx_gt_u32_e32 8, v19
; %bb.1756:                             ;   in Loop: Header=BB261_1075 Depth=1
	s_delay_alu instid0(VALU_DEP_2) | instskip(NEXT) | instid1(VALU_DEP_1)
	v_clz_i32_u32_e32 v9, v9
	v_min_u32_e32 v9, 32, v9
	s_delay_alu instid0(VALU_DEP_1) | instskip(NEXT) | instid1(VALU_DEP_1)
	v_subrev_nc_u32_e32 v18, 28, v9
	v_lshlrev_b64_e32 v[50:51], v18, v[6:7]
	s_delay_alu instid0(VALU_DEP_1)
	v_dual_sub_nc_u32 v18, 29, v9 :: v_dual_bitop2_b32 v9, 7, v50 bitop3:0x40
; %bb.1757:                             ;   in Loop: Header=BB261_1075 Depth=1
	s_or_b32 exec_lo, exec_lo, s22
	s_delay_alu instid0(VALU_DEP_1) | instskip(NEXT) | instid1(VALU_DEP_2)
	v_dual_lshlrev_b32 v6, 8, v6 :: v_dual_lshlrev_b32 v9, 7, v9
	v_lshl_add_u32 v18, v18, 10, 0x2000
	s_delay_alu instid0(VALU_DEP_2) | instskip(NEXT) | instid1(VALU_DEP_2)
	v_and_b32_e32 v6, 0x8000, v6
	v_and_b32_e32 v18, 0xfc00, v18
	s_delay_alu instid0(VALU_DEP_1)
	v_or3_b32 v9, v6, v18, v9
.LBB261_1758:                           ;   in Loop: Header=BB261_1075 Depth=1
	s_or_b32 exec_lo, exec_lo, s21
.LBB261_1759:                           ;   in Loop: Header=BB261_1075 Depth=1
	s_delay_alu instid0(SALU_CYCLE_1)
	s_or_b32 exec_lo, exec_lo, s20
.LBB261_1760:                           ;   in Loop: Header=BB261_1075 Depth=1
	s_delay_alu instid0(SALU_CYCLE_1) | instskip(NEXT) | instid1(SALU_CYCLE_1)
	s_or_b32 exec_lo, exec_lo, s19
	s_mov_b32 s19, exec_lo
	v_cmpx_lt_u32_e32 0xffffff, v48
	s_cbranch_execz .LBB261_1768
; %bb.1761:                             ;   in Loop: Header=BB261_1075 Depth=1
	v_lshrrev_b32_e32 v6, 24, v48
	v_bfrev_b32_e32 v3, 1
	s_mov_b32 s20, exec_lo
	s_delay_alu instid0(VALU_DEP_2)
	v_cmpx_ne_u32_e32 0x80, v6
	s_cbranch_execz .LBB261_1767
; %bb.1762:                             ;   in Loop: Header=BB261_1075 Depth=1
	v_and_b32_e32 v19, 0x7f, v6
	v_mov_b32_e32 v3, 0x7c010000
	s_mov_b32 s21, exec_lo
	s_delay_alu instid0(VALU_DEP_2)
	v_cmpx_ne_u32_e32 0x7f, v19
	s_cbranch_execz .LBB261_1766
; %bb.1763:                             ;   in Loop: Header=BB261_1075 Depth=1
	v_dual_lshrrev_b32 v18, 3, v19 :: v_dual_bitop2_b32 v3, 7, v6 bitop3:0x40
	s_mov_b32 s22, exec_lo
	v_cmpx_gt_u32_e32 8, v19
; %bb.1764:                             ;   in Loop: Header=BB261_1075 Depth=1
	s_delay_alu instid0(VALU_DEP_2) | instskip(NEXT) | instid1(VALU_DEP_1)
	v_clz_i32_u32_e32 v3, v3
	v_min_u32_e32 v3, 32, v3
	s_delay_alu instid0(VALU_DEP_1) | instskip(NEXT) | instid1(VALU_DEP_1)
	v_subrev_nc_u32_e32 v18, 28, v3
	v_lshlrev_b64_e32 v[50:51], v18, v[6:7]
	s_delay_alu instid0(VALU_DEP_1)
	v_dual_sub_nc_u32 v18, 29, v3 :: v_dual_bitop2_b32 v3, 7, v50 bitop3:0x40
; %bb.1765:                             ;   in Loop: Header=BB261_1075 Depth=1
	s_or_b32 exec_lo, exec_lo, s22
	s_delay_alu instid0(VALU_DEP_1) | instskip(NEXT) | instid1(VALU_DEP_2)
	v_dual_lshlrev_b32 v6, 8, v6 :: v_dual_lshlrev_b32 v3, 23, v3
	v_lshl_add_u32 v18, v18, 10, 0x2000
	s_delay_alu instid0(VALU_DEP_1) | instskip(NEXT) | instid1(VALU_DEP_1)
	v_and_or_b32 v6, 0x8000, v6, v18
	v_lshl_or_b32 v3, v6, 16, v3
.LBB261_1766:                           ;   in Loop: Header=BB261_1075 Depth=1
	s_or_b32 exec_lo, exec_lo, s21
.LBB261_1767:                           ;   in Loop: Header=BB261_1075 Depth=1
	s_delay_alu instid0(SALU_CYCLE_1)
	s_or_b32 exec_lo, exec_lo, s20
.LBB261_1768:                           ;   in Loop: Header=BB261_1075 Depth=1
	s_delay_alu instid0(SALU_CYCLE_1) | instskip(SKIP_4) | instid1(VALU_DEP_3)
	s_or_b32 exec_lo, exec_lo, s19
	v_and_b32_e32 v29, 0xff, v49
	v_dual_mov_b32 v6, v49 :: v_dual_mov_b32 v19, 0
	v_mov_b32_e32 v18, 0
	s_mov_b32 s19, exec_lo
	v_cmpx_ne_u16_e32 0, v29
	s_cbranch_execz .LBB261_1776
; %bb.1769:                             ;   in Loop: Header=BB261_1075 Depth=1
	v_mov_b32_e32 v18, 0x8000
	s_mov_b32 s20, exec_lo
	v_cmpx_ne_u16_e32 0x80, v29
	s_cbranch_execz .LBB261_1775
; %bb.1770:                             ;   in Loop: Header=BB261_1075 Depth=1
	v_and_b32_e32 v50, 0x7f, v49
	v_mov_b32_e32 v18, 0x7c01
	s_mov_b32 s21, exec_lo
	s_delay_alu instid0(VALU_DEP_2)
	v_cmpx_ne_u32_e32 0x7f, v50
	s_cbranch_execz .LBB261_1774
; %bb.1771:                             ;   in Loop: Header=BB261_1075 Depth=1
	v_dual_lshrrev_b32 v29, 3, v50 :: v_dual_bitop2_b32 v18, 7, v49 bitop3:0x40
	s_mov_b32 s22, exec_lo
	v_cmpx_gt_u32_e32 8, v50
; %bb.1772:                             ;   in Loop: Header=BB261_1075 Depth=1
	s_delay_alu instid0(VALU_DEP_2) | instskip(NEXT) | instid1(VALU_DEP_1)
	v_clz_i32_u32_e32 v18, v18
	v_min_u32_e32 v18, 32, v18
	s_delay_alu instid0(VALU_DEP_1) | instskip(NEXT) | instid1(VALU_DEP_1)
	v_subrev_nc_u32_e32 v29, 28, v18
	v_lshlrev_b64_e32 v[50:51], v29, v[6:7]
	v_sub_nc_u32_e32 v29, 29, v18
	s_delay_alu instid0(VALU_DEP_2)
	v_and_b32_e32 v18, 7, v50
; %bb.1773:                             ;   in Loop: Header=BB261_1075 Depth=1
	s_or_b32 exec_lo, exec_lo, s22
	s_delay_alu instid0(VALU_DEP_1) | instskip(NEXT) | instid1(VALU_DEP_3)
	v_dual_lshlrev_b32 v50, 8, v49 :: v_dual_lshlrev_b32 v18, 7, v18
	v_lshl_add_u32 v29, v29, 10, 0x2000
	s_delay_alu instid0(VALU_DEP_2) | instskip(NEXT) | instid1(VALU_DEP_2)
	v_and_b32_e32 v50, 0x8000, v50
	v_and_b32_e32 v29, 0xfc00, v29
	s_delay_alu instid0(VALU_DEP_1)
	v_or3_b32 v18, v50, v29, v18
.LBB261_1774:                           ;   in Loop: Header=BB261_1075 Depth=1
	s_or_b32 exec_lo, exec_lo, s21
.LBB261_1775:                           ;   in Loop: Header=BB261_1075 Depth=1
	s_delay_alu instid0(SALU_CYCLE_1)
	s_or_b32 exec_lo, exec_lo, s20
.LBB261_1776:                           ;   in Loop: Header=BB261_1075 Depth=1
	s_delay_alu instid0(SALU_CYCLE_1) | instskip(SKIP_3) | instid1(VALU_DEP_2)
	s_or_b32 exec_lo, exec_lo, s19
	v_lshrrev_b16 v6, 8, v6
	v_mov_b32_e32 v29, 0
	s_mov_b32 s19, exec_lo
	v_cmpx_ne_u16_e32 0, v6
	s_cbranch_execz .LBB261_1784
; %bb.1777:                             ;   in Loop: Header=BB261_1075 Depth=1
	v_bfrev_b32_e32 v29, 1
	s_mov_b32 s20, exec_lo
	v_cmpx_ne_u16_e32 0x80, v6
	s_cbranch_execz .LBB261_1783
; %bb.1778:                             ;   in Loop: Header=BB261_1075 Depth=1
	v_and_b32_e32 v50, 0xffff, v6
	v_mov_b32_e32 v29, 0x7c010000
	s_mov_b32 s21, exec_lo
	s_delay_alu instid0(VALU_DEP_2) | instskip(NEXT) | instid1(VALU_DEP_1)
	v_and_b32_e32 v52, 0x7f, v50
	v_cmpx_ne_u32_e32 0x7f, v52
	s_cbranch_execz .LBB261_1782
; %bb.1779:                             ;   in Loop: Header=BB261_1075 Depth=1
	v_dual_lshrrev_b32 v51, 3, v52 :: v_dual_bitop2_b32 v29, 7, v50 bitop3:0x40
	s_mov_b32 s22, exec_lo
	v_cmpx_gt_u32_e32 8, v52
; %bb.1780:                             ;   in Loop: Header=BB261_1075 Depth=1
	s_delay_alu instid0(VALU_DEP_2) | instskip(NEXT) | instid1(VALU_DEP_1)
	v_clz_i32_u32_e32 v29, v29
	v_min_u32_e32 v29, 32, v29
	s_delay_alu instid0(VALU_DEP_1) | instskip(NEXT) | instid1(VALU_DEP_1)
	v_subrev_nc_u32_e32 v51, 28, v29
	v_lshlrev_b64_e32 v[52:53], v51, v[6:7]
	s_delay_alu instid0(VALU_DEP_1)
	v_dual_sub_nc_u32 v51, 29, v29 :: v_dual_bitop2_b32 v29, 7, v52 bitop3:0x40
; %bb.1781:                             ;   in Loop: Header=BB261_1075 Depth=1
	s_or_b32 exec_lo, exec_lo, s22
	s_delay_alu instid0(VALU_DEP_1) | instskip(NEXT) | instid1(VALU_DEP_2)
	v_dual_lshlrev_b32 v6, 8, v50 :: v_dual_lshlrev_b32 v29, 23, v29
	v_lshl_add_u32 v50, v51, 10, 0x2000
	s_delay_alu instid0(VALU_DEP_1) | instskip(NEXT) | instid1(VALU_DEP_1)
	v_and_or_b32 v6, 0x8000, v6, v50
	v_lshl_or_b32 v29, v6, 16, v29
.LBB261_1782:                           ;   in Loop: Header=BB261_1075 Depth=1
	s_or_b32 exec_lo, exec_lo, s21
.LBB261_1783:                           ;   in Loop: Header=BB261_1075 Depth=1
	s_delay_alu instid0(SALU_CYCLE_1)
	s_or_b32 exec_lo, exec_lo, s20
.LBB261_1784:                           ;   in Loop: Header=BB261_1075 Depth=1
	s_delay_alu instid0(SALU_CYCLE_1) | instskip(SKIP_2) | instid1(VALU_DEP_1)
	s_or_b32 exec_lo, exec_lo, s19
	v_lshrrev_b32_e32 v6, 16, v49
	s_mov_b32 s19, exec_lo
	v_and_b32_e32 v50, 0xff, v6
	s_delay_alu instid0(VALU_DEP_1)
	v_cmpx_ne_u16_e32 0, v50
	s_cbranch_execz .LBB261_1792
; %bb.1785:                             ;   in Loop: Header=BB261_1075 Depth=1
	v_mov_b32_e32 v19, 0x8000
	s_mov_b32 s20, exec_lo
	v_cmpx_ne_u16_e32 0x80, v50
	s_cbranch_execz .LBB261_1791
; %bb.1786:                             ;   in Loop: Header=BB261_1075 Depth=1
	v_bfe_u32 v51, v49, 16, 7
	v_mov_b32_e32 v19, 0x7c01
	s_mov_b32 s21, exec_lo
	s_delay_alu instid0(VALU_DEP_2)
	v_cmpx_ne_u32_e32 0x7f, v51
	s_cbranch_execz .LBB261_1790
; %bb.1787:                             ;   in Loop: Header=BB261_1075 Depth=1
	v_dual_lshrrev_b32 v50, 3, v51 :: v_dual_bitop2_b32 v19, 7, v6 bitop3:0x40
	s_mov_b32 s22, exec_lo
	v_cmpx_gt_u32_e32 8, v51
; %bb.1788:                             ;   in Loop: Header=BB261_1075 Depth=1
	s_delay_alu instid0(VALU_DEP_2) | instskip(NEXT) | instid1(VALU_DEP_1)
	v_clz_i32_u32_e32 v19, v19
	v_min_u32_e32 v19, 32, v19
	s_delay_alu instid0(VALU_DEP_1) | instskip(NEXT) | instid1(VALU_DEP_1)
	v_subrev_nc_u32_e32 v50, 28, v19
	v_lshlrev_b64_e32 v[52:53], v50, v[6:7]
	s_delay_alu instid0(VALU_DEP_1)
	v_dual_sub_nc_u32 v50, 29, v19 :: v_dual_bitop2_b32 v19, 7, v52 bitop3:0x40
; %bb.1789:                             ;   in Loop: Header=BB261_1075 Depth=1
	s_or_b32 exec_lo, exec_lo, s22
	s_delay_alu instid0(VALU_DEP_1) | instskip(NEXT) | instid1(VALU_DEP_2)
	v_dual_lshlrev_b32 v6, 8, v6 :: v_dual_lshlrev_b32 v19, 7, v19
	v_lshl_add_u32 v50, v50, 10, 0x2000
	s_delay_alu instid0(VALU_DEP_2) | instskip(NEXT) | instid1(VALU_DEP_2)
	v_and_b32_e32 v6, 0x8000, v6
	v_and_b32_e32 v50, 0xfc00, v50
	s_delay_alu instid0(VALU_DEP_1)
	v_or3_b32 v19, v6, v50, v19
.LBB261_1790:                           ;   in Loop: Header=BB261_1075 Depth=1
	s_or_b32 exec_lo, exec_lo, s21
.LBB261_1791:                           ;   in Loop: Header=BB261_1075 Depth=1
	s_delay_alu instid0(SALU_CYCLE_1)
	s_or_b32 exec_lo, exec_lo, s20
.LBB261_1792:                           ;   in Loop: Header=BB261_1075 Depth=1
	s_delay_alu instid0(SALU_CYCLE_1)
	s_or_b32 exec_lo, exec_lo, s19
	v_cmp_lt_u64_e64 s1, s[2:3], v[48:49]
	v_mov_b32_e32 v48, 0
	s_and_saveexec_b32 s19, s1
	s_cbranch_execz .LBB261_1800
; %bb.1793:                             ;   in Loop: Header=BB261_1075 Depth=1
	v_lshrrev_b32_e32 v6, 24, v49
	v_bfrev_b32_e32 v48, 1
	s_mov_b32 s20, exec_lo
	s_delay_alu instid0(VALU_DEP_2)
	v_cmpx_ne_u32_e32 0x80, v6
	s_cbranch_execz .LBB261_1799
; %bb.1794:                             ;   in Loop: Header=BB261_1075 Depth=1
	v_and_b32_e32 v50, 0x7f, v6
	v_mov_b32_e32 v48, 0x7c010000
	s_mov_b32 s21, exec_lo
	s_delay_alu instid0(VALU_DEP_2)
	v_cmpx_ne_u32_e32 0x7f, v50
	s_cbranch_execz .LBB261_1798
; %bb.1795:                             ;   in Loop: Header=BB261_1075 Depth=1
	v_and_b32_e32 v48, 7, v6
	v_lshrrev_b32_e32 v49, 3, v50
	s_mov_b32 s22, exec_lo
	v_cmpx_gt_u32_e32 8, v50
; %bb.1796:                             ;   in Loop: Header=BB261_1075 Depth=1
	s_delay_alu instid0(VALU_DEP_3) | instskip(NEXT) | instid1(VALU_DEP_1)
	v_clz_i32_u32_e32 v48, v48
	v_min_u32_e32 v50, 32, v48
	s_delay_alu instid0(VALU_DEP_1) | instskip(NEXT) | instid1(VALU_DEP_1)
	v_subrev_nc_u32_e32 v48, 28, v50
	v_lshlrev_b64_e32 v[48:49], v48, v[6:7]
	s_delay_alu instid0(VALU_DEP_1)
	v_dual_sub_nc_u32 v49, 29, v50 :: v_dual_bitop2_b32 v48, 7, v48 bitop3:0x40
; %bb.1797:                             ;   in Loop: Header=BB261_1075 Depth=1
	s_or_b32 exec_lo, exec_lo, s22
	s_delay_alu instid0(VALU_DEP_1) | instskip(NEXT) | instid1(VALU_DEP_2)
	v_dual_lshlrev_b32 v6, 8, v6 :: v_dual_lshlrev_b32 v48, 23, v48
	v_lshl_add_u32 v49, v49, 10, 0x2000
	s_delay_alu instid0(VALU_DEP_1) | instskip(NEXT) | instid1(VALU_DEP_1)
	v_and_or_b32 v6, 0x8000, v6, v49
	v_lshl_or_b32 v48, v6, 16, v48
.LBB261_1798:                           ;   in Loop: Header=BB261_1075 Depth=1
	s_or_b32 exec_lo, exec_lo, s21
.LBB261_1799:                           ;   in Loop: Header=BB261_1075 Depth=1
	s_delay_alu instid0(SALU_CYCLE_1)
	s_or_b32 exec_lo, exec_lo, s20
.LBB261_1800:                           ;   in Loop: Header=BB261_1075 Depth=1
	s_delay_alu instid0(SALU_CYCLE_1) | instskip(SKIP_3) | instid1(VALU_DEP_3)
	s_or_b32 exec_lo, exec_lo, s19
	v_dual_lshrrev_b32 v6, 16, v1 :: v_dual_lshrrev_b32 v49, 16, v3
	v_dual_lshrrev_b32 v50, 16, v48 :: v_dual_bitop2_b32 v9, v3, v9 bitop3:0x54
	v_or_b32_e32 v1, v1, v2
	v_cvt_f32_f16_e32 v3, v6
	s_delay_alu instid0(VALU_DEP_4)
	v_cvt_f32_f16_e32 v2, v49
	v_dual_lshrrev_b32 v19, 16, v29 :: v_dual_bitop2_b32 v6, v48, v19 bitop3:0x54
	v_cvt_f32_f16_e32 v48, v9
	v_or_b32_e32 v9, v29, v18
	s_wait_loadcnt_dscnt 0x0
	v_pk_mul_f32 v[2:3], v[28:29], v[2:3] op_sel_hi:[0,1]
	v_cvt_f32_f16_e32 v49, v1
	v_cvt_f32_f16_e32 v19, v19
	v_cvt_f32_f16_e32 v18, v50
	v_cvt_f32_f16_e32 v50, v6
	v_cvt_f32_f16_e32 v51, v9
	v_pk_mul_f32 v[48:49], v[28:29], v[48:49] op_sel_hi:[0,1]
	v_cvt_pk_f16_f32 v1, v2, v3
	v_pk_mul_f32 v[2:3], v[28:29], v[18:19] op_sel_hi:[0,1]
	s_delay_alu instid0(VALU_DEP_4) | instskip(NEXT) | instid1(VALU_DEP_4)
	v_pk_mul_f32 v[18:19], v[28:29], v[50:51] op_sel_hi:[0,1]
	v_cvt_pk_f16_f32 v6, v48, v49
	s_delay_alu instid0(VALU_DEP_4) | instskip(NEXT) | instid1(VALU_DEP_4)
	v_and_b32_e32 v29, 0xffff0000, v1
	v_cvt_pk_f16_f32 v2, v2, v3
	v_lshlrev_b32_e32 v48, 16, v1
	v_cvt_pk_f16_f32 v1, v18, v19
	v_and_b32_e32 v54, 0xffff, v6
	s_delay_alu instid0(VALU_DEP_4) | instskip(NEXT) | instid1(VALU_DEP_3)
	v_and_b32_e32 v9, 0xffff0000, v2
	v_dual_lshrrev_b32 v19, 16, v1 :: v_dual_lshrrev_b32 v53, 16, v6
	v_and_b32_e32 v28, 0xffff, v1
	s_delay_alu instid0(VALU_DEP_4) | instskip(NEXT) | instid1(VALU_DEP_3)
	v_or_b32_e32 v52, v48, v54
	v_dual_lshlrev_b32 v6, 16, v2 :: v_dual_bitop2_b32 v49, v9, v19 bitop3:0x54
	s_delay_alu instid0(VALU_DEP_4) | instskip(NEXT) | instid1(VALU_DEP_2)
	v_or_b32_e32 v51, v29, v53
	v_or_b32_e32 v50, v6, v28
	s_and_saveexec_b32 s19, vcc_lo
	s_cbranch_execz .LBB261_1802
; %bb.1801:                             ;   in Loop: Header=BB261_1075 Depth=1
	v_cmp_lt_i32_e64 s1, v87, v13
	s_delay_alu instid0(VALU_DEP_1) | instskip(SKIP_1) | instid1(VALU_DEP_1)
	v_cndmask_b32_e64 v1, 0, v53, s1
	v_cmp_lt_i32_e64 s1, v102, v12
	v_cndmask_b32_e64 v2, 0, v54, s1
	v_cmp_lt_i32_e64 s1, v101, v13
	s_delay_alu instid0(VALU_DEP_1) | instskip(SKIP_1) | instid1(VALU_DEP_1)
	v_cndmask_b32_e64 v3, 0, v29, s1
	v_cmp_lt_i32_e64 s1, v100, v12
	v_cndmask_b32_e64 v18, 0, v48, s1
	v_cmp_lt_i32_e64 s1, v99, v13
	s_delay_alu instid0(VALU_DEP_4) | instskip(NEXT) | instid1(VALU_DEP_2)
	v_or_b32_e32 v51, v1, v3
	v_dual_cndmask_b32 v19, 0, v19, s1 :: v_dual_bitop2_b32 v52, v2, v18 bitop3:0x54
	v_cmp_lt_i32_e64 s1, v98, v12
	s_delay_alu instid0(VALU_DEP_1) | instskip(SKIP_1) | instid1(VALU_DEP_1)
	v_cndmask_b32_e64 v28, 0, v28, s1
	v_cmp_lt_i32_e64 s1, v97, v13
	v_cndmask_b32_e64 v9, 0, v9, s1
	v_cmp_lt_i32_e64 s1, v96, v12
	s_delay_alu instid0(VALU_DEP_1) | instskip(NEXT) | instid1(VALU_DEP_1)
	v_dual_cndmask_b32 v6, 0, v6, s1 :: v_dual_bitop2_b32 v49, v19, v9 bitop3:0x54
	v_or_b32_e32 v50, v28, v6
.LBB261_1802:                           ;   in Loop: Header=BB261_1075 Depth=1
	s_or_b32 exec_lo, exec_lo, s19
	;;#ASMSTART
	v_pk_mul_f16 v1, v67, v51;

	;;#ASMEND
	;;#ASMSTART
	v_pk_mul_f16 v2, v65, v52;

	;;#ASMEND
	;; [unrolled: 4-line block ×4, first 2 shown]
	;;#ASMSTART
	v_pk_add_f16 v1, v1, v2;

	;;#ASMEND
	;;#ASMSTART
	v_pk_add_f16 v1, v1, v3;

	;;#ASMEND
	;; [unrolled: 4-line block ×3, first 2 shown]
	v_and_b32_e32 v2, 0xffff, v1
	v_lshrrev_b32_e32 v1, 16, v1
	;;#ASMSTART
	v_cvt_f32_f16 v46, v2;
	;;#ASMEND
	;;#ASMSTART
	v_cvt_f32_f16 v47, v1;
	;;#ASMEND
	flat_load_b64 v[48:49], v[26:27] offset:2816
	scratch_load_b64 v[2:3], off, s32 offset:192 ; 8-byte Folded Reload
	v_mov_b32_e32 v1, 0
	s_mov_b32 s19, exec_lo
	s_wait_loadcnt 0x0
	flat_load_b32 v28, v[2:3]
	s_wait_dscnt 0x1
	s_wait_xcnt 0x0
	v_and_b32_e32 v3, 0xff, v48
	v_mov_b32_e32 v2, 0
	s_delay_alu instid0(VALU_DEP_2)
	v_cmpx_ne_u16_e32 0, v3
	s_cbranch_execz .LBB261_1810
; %bb.1803:                             ;   in Loop: Header=BB261_1075 Depth=1
	v_mov_b32_e32 v2, 0x8000
	s_mov_b32 s20, exec_lo
	v_cmpx_ne_u16_e32 0x80, v3
	s_cbranch_execz .LBB261_1809
; %bb.1804:                             ;   in Loop: Header=BB261_1075 Depth=1
	v_and_b32_e32 v6, 0x7f, v48
	v_mov_b32_e32 v2, 0x7c01
	s_mov_b32 s21, exec_lo
	s_delay_alu instid0(VALU_DEP_2)
	v_cmpx_ne_u32_e32 0x7f, v6
	s_cbranch_execz .LBB261_1808
; %bb.1805:                             ;   in Loop: Header=BB261_1075 Depth=1
	v_dual_lshrrev_b32 v3, 3, v6 :: v_dual_bitop2_b32 v2, 7, v48 bitop3:0x40
	s_mov_b32 s22, exec_lo
	v_cmpx_gt_u32_e32 8, v6
; %bb.1806:                             ;   in Loop: Header=BB261_1075 Depth=1
	s_delay_alu instid0(VALU_DEP_2) | instskip(NEXT) | instid1(VALU_DEP_1)
	v_clz_i32_u32_e32 v2, v2
	v_min_u32_e32 v6, 32, v2
	s_delay_alu instid0(VALU_DEP_1) | instskip(NEXT) | instid1(VALU_DEP_1)
	v_subrev_nc_u32_e32 v2, 28, v6
	v_lshlrev_b64_e32 v[2:3], v2, v[48:49]
	v_sub_nc_u32_e32 v3, 29, v6
	s_delay_alu instid0(VALU_DEP_2)
	v_and_b32_e32 v2, 7, v2
; %bb.1807:                             ;   in Loop: Header=BB261_1075 Depth=1
	s_or_b32 exec_lo, exec_lo, s22
	s_delay_alu instid0(VALU_DEP_1) | instskip(NEXT) | instid1(VALU_DEP_3)
	v_dual_lshlrev_b32 v6, 8, v48 :: v_dual_lshlrev_b32 v2, 7, v2
	v_lshl_add_u32 v3, v3, 10, 0x2000
	s_delay_alu instid0(VALU_DEP_2) | instskip(NEXT) | instid1(VALU_DEP_2)
	v_and_b32_e32 v6, 0x8000, v6
	v_and_b32_e32 v3, 0xfc00, v3
	s_delay_alu instid0(VALU_DEP_1)
	v_or3_b32 v2, v6, v3, v2
.LBB261_1808:                           ;   in Loop: Header=BB261_1075 Depth=1
	s_or_b32 exec_lo, exec_lo, s21
.LBB261_1809:                           ;   in Loop: Header=BB261_1075 Depth=1
	s_delay_alu instid0(SALU_CYCLE_1)
	s_or_b32 exec_lo, exec_lo, s20
.LBB261_1810:                           ;   in Loop: Header=BB261_1075 Depth=1
	s_delay_alu instid0(SALU_CYCLE_1) | instskip(SKIP_2) | instid1(VALU_DEP_1)
	s_or_b32 exec_lo, exec_lo, s19
	v_lshrrev_b16 v6, 8, v48
	s_mov_b32 s19, exec_lo
	v_cmpx_ne_u16_e32 0, v6
	s_cbranch_execz .LBB261_1818
; %bb.1811:                             ;   in Loop: Header=BB261_1075 Depth=1
	v_bfrev_b32_e32 v1, 1
	s_mov_b32 s20, exec_lo
	v_cmpx_ne_u16_e32 0x80, v6
	s_cbranch_execz .LBB261_1817
; %bb.1812:                             ;   in Loop: Header=BB261_1075 Depth=1
	v_and_b32_e32 v3, 0xffff, v6
	v_mov_b32_e32 v1, 0x7c010000
	s_mov_b32 s21, exec_lo
	s_delay_alu instid0(VALU_DEP_2) | instskip(NEXT) | instid1(VALU_DEP_1)
	v_and_b32_e32 v18, 0x7f, v3
	v_cmpx_ne_u32_e32 0x7f, v18
	s_cbranch_execz .LBB261_1816
; %bb.1813:                             ;   in Loop: Header=BB261_1075 Depth=1
	v_dual_lshrrev_b32 v9, 3, v18 :: v_dual_bitop2_b32 v1, 7, v3 bitop3:0x40
	s_mov_b32 s22, exec_lo
	v_cmpx_gt_u32_e32 8, v18
; %bb.1814:                             ;   in Loop: Header=BB261_1075 Depth=1
	s_delay_alu instid0(VALU_DEP_2) | instskip(NEXT) | instid1(VALU_DEP_1)
	v_clz_i32_u32_e32 v1, v1
	v_min_u32_e32 v1, 32, v1
	s_delay_alu instid0(VALU_DEP_1) | instskip(NEXT) | instid1(VALU_DEP_1)
	v_subrev_nc_u32_e32 v9, 28, v1
	v_lshlrev_b64_e32 v[18:19], v9, v[6:7]
	s_delay_alu instid0(VALU_DEP_1)
	v_dual_sub_nc_u32 v9, 29, v1 :: v_dual_bitop2_b32 v1, 7, v18 bitop3:0x40
; %bb.1815:                             ;   in Loop: Header=BB261_1075 Depth=1
	s_or_b32 exec_lo, exec_lo, s22
	s_delay_alu instid0(VALU_DEP_1) | instskip(NEXT) | instid1(VALU_DEP_2)
	v_dual_lshlrev_b32 v3, 8, v3 :: v_dual_lshlrev_b32 v1, 23, v1
	v_lshl_add_u32 v6, v9, 10, 0x2000
	s_delay_alu instid0(VALU_DEP_1) | instskip(NEXT) | instid1(VALU_DEP_1)
	v_and_or_b32 v3, 0x8000, v3, v6
	v_lshl_or_b32 v1, v3, 16, v1
.LBB261_1816:                           ;   in Loop: Header=BB261_1075 Depth=1
	s_or_b32 exec_lo, exec_lo, s21
.LBB261_1817:                           ;   in Loop: Header=BB261_1075 Depth=1
	s_delay_alu instid0(SALU_CYCLE_1)
	s_or_b32 exec_lo, exec_lo, s20
.LBB261_1818:                           ;   in Loop: Header=BB261_1075 Depth=1
	s_delay_alu instid0(SALU_CYCLE_1) | instskip(SKIP_3) | instid1(VALU_DEP_2)
	s_or_b32 exec_lo, exec_lo, s19
	v_dual_mov_b32 v3, 0 :: v_dual_lshrrev_b32 v6, 16, v48
	v_mov_b32_e32 v9, 0
	s_mov_b32 s19, exec_lo
	v_and_b32_e32 v18, 0xff, v6
	s_delay_alu instid0(VALU_DEP_1)
	v_cmpx_ne_u16_e32 0, v18
	s_cbranch_execz .LBB261_1826
; %bb.1819:                             ;   in Loop: Header=BB261_1075 Depth=1
	v_mov_b32_e32 v9, 0x8000
	s_mov_b32 s20, exec_lo
	v_cmpx_ne_u16_e32 0x80, v18
	s_cbranch_execz .LBB261_1825
; %bb.1820:                             ;   in Loop: Header=BB261_1075 Depth=1
	v_bfe_u32 v19, v48, 16, 7
	v_mov_b32_e32 v9, 0x7c01
	s_mov_b32 s21, exec_lo
	s_delay_alu instid0(VALU_DEP_2)
	v_cmpx_ne_u32_e32 0x7f, v19
	s_cbranch_execz .LBB261_1824
; %bb.1821:                             ;   in Loop: Header=BB261_1075 Depth=1
	v_dual_lshrrev_b32 v18, 3, v19 :: v_dual_bitop2_b32 v9, 7, v6 bitop3:0x40
	s_mov_b32 s22, exec_lo
	v_cmpx_gt_u32_e32 8, v19
; %bb.1822:                             ;   in Loop: Header=BB261_1075 Depth=1
	s_delay_alu instid0(VALU_DEP_2) | instskip(NEXT) | instid1(VALU_DEP_1)
	v_clz_i32_u32_e32 v9, v9
	v_min_u32_e32 v9, 32, v9
	s_delay_alu instid0(VALU_DEP_1) | instskip(NEXT) | instid1(VALU_DEP_1)
	v_subrev_nc_u32_e32 v18, 28, v9
	v_lshlrev_b64_e32 v[50:51], v18, v[6:7]
	s_delay_alu instid0(VALU_DEP_1)
	v_dual_sub_nc_u32 v18, 29, v9 :: v_dual_bitop2_b32 v9, 7, v50 bitop3:0x40
; %bb.1823:                             ;   in Loop: Header=BB261_1075 Depth=1
	s_or_b32 exec_lo, exec_lo, s22
	s_delay_alu instid0(VALU_DEP_1) | instskip(NEXT) | instid1(VALU_DEP_2)
	v_dual_lshlrev_b32 v6, 8, v6 :: v_dual_lshlrev_b32 v9, 7, v9
	v_lshl_add_u32 v18, v18, 10, 0x2000
	s_delay_alu instid0(VALU_DEP_2) | instskip(NEXT) | instid1(VALU_DEP_2)
	v_and_b32_e32 v6, 0x8000, v6
	v_and_b32_e32 v18, 0xfc00, v18
	s_delay_alu instid0(VALU_DEP_1)
	v_or3_b32 v9, v6, v18, v9
.LBB261_1824:                           ;   in Loop: Header=BB261_1075 Depth=1
	s_or_b32 exec_lo, exec_lo, s21
.LBB261_1825:                           ;   in Loop: Header=BB261_1075 Depth=1
	s_delay_alu instid0(SALU_CYCLE_1)
	s_or_b32 exec_lo, exec_lo, s20
.LBB261_1826:                           ;   in Loop: Header=BB261_1075 Depth=1
	s_delay_alu instid0(SALU_CYCLE_1) | instskip(NEXT) | instid1(SALU_CYCLE_1)
	s_or_b32 exec_lo, exec_lo, s19
	s_mov_b32 s19, exec_lo
	v_cmpx_lt_u32_e32 0xffffff, v48
	s_cbranch_execz .LBB261_1834
; %bb.1827:                             ;   in Loop: Header=BB261_1075 Depth=1
	v_lshrrev_b32_e32 v6, 24, v48
	v_bfrev_b32_e32 v3, 1
	s_mov_b32 s20, exec_lo
	s_delay_alu instid0(VALU_DEP_2)
	v_cmpx_ne_u32_e32 0x80, v6
	s_cbranch_execz .LBB261_1833
; %bb.1828:                             ;   in Loop: Header=BB261_1075 Depth=1
	v_and_b32_e32 v19, 0x7f, v6
	v_mov_b32_e32 v3, 0x7c010000
	s_mov_b32 s21, exec_lo
	s_delay_alu instid0(VALU_DEP_2)
	v_cmpx_ne_u32_e32 0x7f, v19
	s_cbranch_execz .LBB261_1832
; %bb.1829:                             ;   in Loop: Header=BB261_1075 Depth=1
	v_dual_lshrrev_b32 v18, 3, v19 :: v_dual_bitop2_b32 v3, 7, v6 bitop3:0x40
	s_mov_b32 s22, exec_lo
	v_cmpx_gt_u32_e32 8, v19
; %bb.1830:                             ;   in Loop: Header=BB261_1075 Depth=1
	s_delay_alu instid0(VALU_DEP_2) | instskip(NEXT) | instid1(VALU_DEP_1)
	v_clz_i32_u32_e32 v3, v3
	v_min_u32_e32 v3, 32, v3
	s_delay_alu instid0(VALU_DEP_1) | instskip(NEXT) | instid1(VALU_DEP_1)
	v_subrev_nc_u32_e32 v18, 28, v3
	v_lshlrev_b64_e32 v[50:51], v18, v[6:7]
	s_delay_alu instid0(VALU_DEP_1)
	v_dual_sub_nc_u32 v18, 29, v3 :: v_dual_bitop2_b32 v3, 7, v50 bitop3:0x40
; %bb.1831:                             ;   in Loop: Header=BB261_1075 Depth=1
	s_or_b32 exec_lo, exec_lo, s22
	s_delay_alu instid0(VALU_DEP_1) | instskip(NEXT) | instid1(VALU_DEP_2)
	v_dual_lshlrev_b32 v6, 8, v6 :: v_dual_lshlrev_b32 v3, 23, v3
	v_lshl_add_u32 v18, v18, 10, 0x2000
	s_delay_alu instid0(VALU_DEP_1) | instskip(NEXT) | instid1(VALU_DEP_1)
	v_and_or_b32 v6, 0x8000, v6, v18
	v_lshl_or_b32 v3, v6, 16, v3
.LBB261_1832:                           ;   in Loop: Header=BB261_1075 Depth=1
	s_or_b32 exec_lo, exec_lo, s21
.LBB261_1833:                           ;   in Loop: Header=BB261_1075 Depth=1
	s_delay_alu instid0(SALU_CYCLE_1)
	s_or_b32 exec_lo, exec_lo, s20
.LBB261_1834:                           ;   in Loop: Header=BB261_1075 Depth=1
	s_delay_alu instid0(SALU_CYCLE_1) | instskip(SKIP_4) | instid1(VALU_DEP_3)
	s_or_b32 exec_lo, exec_lo, s19
	v_and_b32_e32 v29, 0xff, v49
	v_dual_mov_b32 v6, v49 :: v_dual_mov_b32 v19, 0
	v_mov_b32_e32 v18, 0
	s_mov_b32 s19, exec_lo
	v_cmpx_ne_u16_e32 0, v29
	s_cbranch_execz .LBB261_1842
; %bb.1835:                             ;   in Loop: Header=BB261_1075 Depth=1
	v_mov_b32_e32 v18, 0x8000
	s_mov_b32 s20, exec_lo
	v_cmpx_ne_u16_e32 0x80, v29
	s_cbranch_execz .LBB261_1841
; %bb.1836:                             ;   in Loop: Header=BB261_1075 Depth=1
	v_and_b32_e32 v50, 0x7f, v49
	v_mov_b32_e32 v18, 0x7c01
	s_mov_b32 s21, exec_lo
	s_delay_alu instid0(VALU_DEP_2)
	v_cmpx_ne_u32_e32 0x7f, v50
	s_cbranch_execz .LBB261_1840
; %bb.1837:                             ;   in Loop: Header=BB261_1075 Depth=1
	v_dual_lshrrev_b32 v29, 3, v50 :: v_dual_bitop2_b32 v18, 7, v49 bitop3:0x40
	s_mov_b32 s22, exec_lo
	v_cmpx_gt_u32_e32 8, v50
; %bb.1838:                             ;   in Loop: Header=BB261_1075 Depth=1
	s_delay_alu instid0(VALU_DEP_2) | instskip(NEXT) | instid1(VALU_DEP_1)
	v_clz_i32_u32_e32 v18, v18
	v_min_u32_e32 v18, 32, v18
	s_delay_alu instid0(VALU_DEP_1) | instskip(NEXT) | instid1(VALU_DEP_1)
	v_subrev_nc_u32_e32 v29, 28, v18
	v_lshlrev_b64_e32 v[50:51], v29, v[6:7]
	v_sub_nc_u32_e32 v29, 29, v18
	s_delay_alu instid0(VALU_DEP_2)
	v_and_b32_e32 v18, 7, v50
; %bb.1839:                             ;   in Loop: Header=BB261_1075 Depth=1
	s_or_b32 exec_lo, exec_lo, s22
	s_delay_alu instid0(VALU_DEP_1) | instskip(NEXT) | instid1(VALU_DEP_3)
	v_dual_lshlrev_b32 v50, 8, v49 :: v_dual_lshlrev_b32 v18, 7, v18
	v_lshl_add_u32 v29, v29, 10, 0x2000
	s_delay_alu instid0(VALU_DEP_2) | instskip(NEXT) | instid1(VALU_DEP_2)
	v_and_b32_e32 v50, 0x8000, v50
	v_and_b32_e32 v29, 0xfc00, v29
	s_delay_alu instid0(VALU_DEP_1)
	v_or3_b32 v18, v50, v29, v18
.LBB261_1840:                           ;   in Loop: Header=BB261_1075 Depth=1
	s_or_b32 exec_lo, exec_lo, s21
.LBB261_1841:                           ;   in Loop: Header=BB261_1075 Depth=1
	s_delay_alu instid0(SALU_CYCLE_1)
	s_or_b32 exec_lo, exec_lo, s20
.LBB261_1842:                           ;   in Loop: Header=BB261_1075 Depth=1
	s_delay_alu instid0(SALU_CYCLE_1) | instskip(SKIP_3) | instid1(VALU_DEP_2)
	s_or_b32 exec_lo, exec_lo, s19
	v_lshrrev_b16 v6, 8, v6
	v_mov_b32_e32 v29, 0
	s_mov_b32 s19, exec_lo
	v_cmpx_ne_u16_e32 0, v6
	s_cbranch_execz .LBB261_1850
; %bb.1843:                             ;   in Loop: Header=BB261_1075 Depth=1
	v_bfrev_b32_e32 v29, 1
	s_mov_b32 s20, exec_lo
	v_cmpx_ne_u16_e32 0x80, v6
	s_cbranch_execz .LBB261_1849
; %bb.1844:                             ;   in Loop: Header=BB261_1075 Depth=1
	v_and_b32_e32 v50, 0xffff, v6
	v_mov_b32_e32 v29, 0x7c010000
	s_mov_b32 s21, exec_lo
	s_delay_alu instid0(VALU_DEP_2) | instskip(NEXT) | instid1(VALU_DEP_1)
	v_and_b32_e32 v52, 0x7f, v50
	v_cmpx_ne_u32_e32 0x7f, v52
	s_cbranch_execz .LBB261_1848
; %bb.1845:                             ;   in Loop: Header=BB261_1075 Depth=1
	v_dual_lshrrev_b32 v51, 3, v52 :: v_dual_bitop2_b32 v29, 7, v50 bitop3:0x40
	s_mov_b32 s22, exec_lo
	v_cmpx_gt_u32_e32 8, v52
; %bb.1846:                             ;   in Loop: Header=BB261_1075 Depth=1
	s_delay_alu instid0(VALU_DEP_2) | instskip(NEXT) | instid1(VALU_DEP_1)
	v_clz_i32_u32_e32 v29, v29
	v_min_u32_e32 v29, 32, v29
	s_delay_alu instid0(VALU_DEP_1) | instskip(NEXT) | instid1(VALU_DEP_1)
	v_subrev_nc_u32_e32 v51, 28, v29
	v_lshlrev_b64_e32 v[52:53], v51, v[6:7]
	s_delay_alu instid0(VALU_DEP_1)
	v_dual_sub_nc_u32 v51, 29, v29 :: v_dual_bitop2_b32 v29, 7, v52 bitop3:0x40
; %bb.1847:                             ;   in Loop: Header=BB261_1075 Depth=1
	s_or_b32 exec_lo, exec_lo, s22
	s_delay_alu instid0(VALU_DEP_1) | instskip(NEXT) | instid1(VALU_DEP_2)
	v_dual_lshlrev_b32 v6, 8, v50 :: v_dual_lshlrev_b32 v29, 23, v29
	v_lshl_add_u32 v50, v51, 10, 0x2000
	s_delay_alu instid0(VALU_DEP_1) | instskip(NEXT) | instid1(VALU_DEP_1)
	v_and_or_b32 v6, 0x8000, v6, v50
	v_lshl_or_b32 v29, v6, 16, v29
.LBB261_1848:                           ;   in Loop: Header=BB261_1075 Depth=1
	s_or_b32 exec_lo, exec_lo, s21
.LBB261_1849:                           ;   in Loop: Header=BB261_1075 Depth=1
	s_delay_alu instid0(SALU_CYCLE_1)
	s_or_b32 exec_lo, exec_lo, s20
.LBB261_1850:                           ;   in Loop: Header=BB261_1075 Depth=1
	s_delay_alu instid0(SALU_CYCLE_1) | instskip(SKIP_2) | instid1(VALU_DEP_1)
	s_or_b32 exec_lo, exec_lo, s19
	v_lshrrev_b32_e32 v6, 16, v49
	s_mov_b32 s19, exec_lo
	v_and_b32_e32 v50, 0xff, v6
	s_delay_alu instid0(VALU_DEP_1)
	v_cmpx_ne_u16_e32 0, v50
	s_cbranch_execz .LBB261_1858
; %bb.1851:                             ;   in Loop: Header=BB261_1075 Depth=1
	v_mov_b32_e32 v19, 0x8000
	s_mov_b32 s20, exec_lo
	v_cmpx_ne_u16_e32 0x80, v50
	s_cbranch_execz .LBB261_1857
; %bb.1852:                             ;   in Loop: Header=BB261_1075 Depth=1
	v_bfe_u32 v51, v49, 16, 7
	v_mov_b32_e32 v19, 0x7c01
	s_mov_b32 s21, exec_lo
	s_delay_alu instid0(VALU_DEP_2)
	v_cmpx_ne_u32_e32 0x7f, v51
	s_cbranch_execz .LBB261_1856
; %bb.1853:                             ;   in Loop: Header=BB261_1075 Depth=1
	v_dual_lshrrev_b32 v50, 3, v51 :: v_dual_bitop2_b32 v19, 7, v6 bitop3:0x40
	s_mov_b32 s22, exec_lo
	v_cmpx_gt_u32_e32 8, v51
; %bb.1854:                             ;   in Loop: Header=BB261_1075 Depth=1
	s_delay_alu instid0(VALU_DEP_2) | instskip(NEXT) | instid1(VALU_DEP_1)
	v_clz_i32_u32_e32 v19, v19
	v_min_u32_e32 v19, 32, v19
	s_delay_alu instid0(VALU_DEP_1) | instskip(NEXT) | instid1(VALU_DEP_1)
	v_subrev_nc_u32_e32 v50, 28, v19
	v_lshlrev_b64_e32 v[52:53], v50, v[6:7]
	s_delay_alu instid0(VALU_DEP_1)
	v_dual_sub_nc_u32 v50, 29, v19 :: v_dual_bitop2_b32 v19, 7, v52 bitop3:0x40
; %bb.1855:                             ;   in Loop: Header=BB261_1075 Depth=1
	s_or_b32 exec_lo, exec_lo, s22
	s_delay_alu instid0(VALU_DEP_1) | instskip(NEXT) | instid1(VALU_DEP_2)
	v_dual_lshlrev_b32 v6, 8, v6 :: v_dual_lshlrev_b32 v19, 7, v19
	v_lshl_add_u32 v50, v50, 10, 0x2000
	s_delay_alu instid0(VALU_DEP_2) | instskip(NEXT) | instid1(VALU_DEP_2)
	v_and_b32_e32 v6, 0x8000, v6
	v_and_b32_e32 v50, 0xfc00, v50
	s_delay_alu instid0(VALU_DEP_1)
	v_or3_b32 v19, v6, v50, v19
.LBB261_1856:                           ;   in Loop: Header=BB261_1075 Depth=1
	s_or_b32 exec_lo, exec_lo, s21
.LBB261_1857:                           ;   in Loop: Header=BB261_1075 Depth=1
	s_delay_alu instid0(SALU_CYCLE_1)
	s_or_b32 exec_lo, exec_lo, s20
.LBB261_1858:                           ;   in Loop: Header=BB261_1075 Depth=1
	s_delay_alu instid0(SALU_CYCLE_1)
	s_or_b32 exec_lo, exec_lo, s19
	v_cmp_lt_u64_e64 s1, s[2:3], v[48:49]
	v_mov_b32_e32 v48, 0
	s_and_saveexec_b32 s19, s1
	s_cbranch_execz .LBB261_1866
; %bb.1859:                             ;   in Loop: Header=BB261_1075 Depth=1
	v_lshrrev_b32_e32 v6, 24, v49
	v_bfrev_b32_e32 v48, 1
	s_mov_b32 s20, exec_lo
	s_delay_alu instid0(VALU_DEP_2)
	v_cmpx_ne_u32_e32 0x80, v6
	s_cbranch_execz .LBB261_1865
; %bb.1860:                             ;   in Loop: Header=BB261_1075 Depth=1
	v_and_b32_e32 v50, 0x7f, v6
	v_mov_b32_e32 v48, 0x7c010000
	s_mov_b32 s21, exec_lo
	s_delay_alu instid0(VALU_DEP_2)
	v_cmpx_ne_u32_e32 0x7f, v50
	s_cbranch_execz .LBB261_1864
; %bb.1861:                             ;   in Loop: Header=BB261_1075 Depth=1
	v_and_b32_e32 v48, 7, v6
	v_lshrrev_b32_e32 v49, 3, v50
	s_mov_b32 s22, exec_lo
	v_cmpx_gt_u32_e32 8, v50
; %bb.1862:                             ;   in Loop: Header=BB261_1075 Depth=1
	s_delay_alu instid0(VALU_DEP_3) | instskip(NEXT) | instid1(VALU_DEP_1)
	v_clz_i32_u32_e32 v48, v48
	v_min_u32_e32 v50, 32, v48
	s_delay_alu instid0(VALU_DEP_1) | instskip(NEXT) | instid1(VALU_DEP_1)
	v_subrev_nc_u32_e32 v48, 28, v50
	v_lshlrev_b64_e32 v[48:49], v48, v[6:7]
	s_delay_alu instid0(VALU_DEP_1)
	v_dual_sub_nc_u32 v49, 29, v50 :: v_dual_bitop2_b32 v48, 7, v48 bitop3:0x40
; %bb.1863:                             ;   in Loop: Header=BB261_1075 Depth=1
	s_or_b32 exec_lo, exec_lo, s22
	s_delay_alu instid0(VALU_DEP_1) | instskip(NEXT) | instid1(VALU_DEP_2)
	v_dual_lshlrev_b32 v6, 8, v6 :: v_dual_lshlrev_b32 v48, 23, v48
	v_lshl_add_u32 v49, v49, 10, 0x2000
	s_delay_alu instid0(VALU_DEP_1) | instskip(NEXT) | instid1(VALU_DEP_1)
	v_and_or_b32 v6, 0x8000, v6, v49
	v_lshl_or_b32 v48, v6, 16, v48
.LBB261_1864:                           ;   in Loop: Header=BB261_1075 Depth=1
	s_or_b32 exec_lo, exec_lo, s21
.LBB261_1865:                           ;   in Loop: Header=BB261_1075 Depth=1
	s_delay_alu instid0(SALU_CYCLE_1)
	s_or_b32 exec_lo, exec_lo, s20
.LBB261_1866:                           ;   in Loop: Header=BB261_1075 Depth=1
	s_delay_alu instid0(SALU_CYCLE_1) | instskip(SKIP_3) | instid1(VALU_DEP_3)
	s_or_b32 exec_lo, exec_lo, s19
	v_dual_lshrrev_b32 v6, 16, v1 :: v_dual_lshrrev_b32 v49, 16, v3
	v_dual_lshrrev_b32 v50, 16, v48 :: v_dual_bitop2_b32 v9, v3, v9 bitop3:0x54
	v_or_b32_e32 v1, v1, v2
	v_cvt_f32_f16_e32 v3, v6
	s_delay_alu instid0(VALU_DEP_4)
	v_cvt_f32_f16_e32 v2, v49
	v_dual_lshrrev_b32 v19, 16, v29 :: v_dual_bitop2_b32 v6, v48, v19 bitop3:0x54
	v_cvt_f32_f16_e32 v48, v9
	v_or_b32_e32 v9, v29, v18
	s_wait_loadcnt_dscnt 0x0
	v_pk_mul_f32 v[2:3], v[28:29], v[2:3] op_sel_hi:[0,1]
	v_cvt_f32_f16_e32 v49, v1
	v_cvt_f32_f16_e32 v19, v19
	;; [unrolled: 1-line block ×5, first 2 shown]
	v_pk_mul_f32 v[48:49], v[28:29], v[48:49] op_sel_hi:[0,1]
	v_cvt_pk_f16_f32 v1, v2, v3
	v_pk_mul_f32 v[2:3], v[28:29], v[18:19] op_sel_hi:[0,1]
	s_delay_alu instid0(VALU_DEP_4) | instskip(NEXT) | instid1(VALU_DEP_4)
	v_pk_mul_f32 v[18:19], v[28:29], v[50:51] op_sel_hi:[0,1]
	v_cvt_pk_f16_f32 v6, v48, v49
	s_delay_alu instid0(VALU_DEP_4) | instskip(NEXT) | instid1(VALU_DEP_4)
	v_and_b32_e32 v29, 0xffff0000, v1
	v_cvt_pk_f16_f32 v2, v2, v3
	v_lshlrev_b32_e32 v48, 16, v1
	v_cvt_pk_f16_f32 v1, v18, v19
	v_and_b32_e32 v54, 0xffff, v6
	s_delay_alu instid0(VALU_DEP_4) | instskip(NEXT) | instid1(VALU_DEP_3)
	v_and_b32_e32 v9, 0xffff0000, v2
	v_dual_lshrrev_b32 v19, 16, v1 :: v_dual_lshrrev_b32 v53, 16, v6
	v_and_b32_e32 v28, 0xffff, v1
	s_delay_alu instid0(VALU_DEP_4) | instskip(NEXT) | instid1(VALU_DEP_3)
	v_or_b32_e32 v52, v48, v54
	v_dual_lshlrev_b32 v6, 16, v2 :: v_dual_bitop2_b32 v49, v9, v19 bitop3:0x54
	s_delay_alu instid0(VALU_DEP_4) | instskip(NEXT) | instid1(VALU_DEP_2)
	v_or_b32_e32 v51, v29, v53
	v_or_b32_e32 v50, v6, v28
	s_and_saveexec_b32 s19, vcc_lo
	s_cbranch_execz .LBB261_1868
; %bb.1867:                             ;   in Loop: Header=BB261_1075 Depth=1
	v_cmp_lt_i32_e64 s1, v87, v13
	s_delay_alu instid0(VALU_DEP_1) | instskip(SKIP_1) | instid1(VALU_DEP_1)
	v_cndmask_b32_e64 v1, 0, v53, s1
	v_cmp_lt_i32_e64 s1, v102, v12
	v_cndmask_b32_e64 v2, 0, v54, s1
	v_cmp_lt_i32_e64 s1, v101, v13
	s_delay_alu instid0(VALU_DEP_1) | instskip(SKIP_1) | instid1(VALU_DEP_1)
	v_cndmask_b32_e64 v3, 0, v29, s1
	v_cmp_lt_i32_e64 s1, v100, v12
	v_cndmask_b32_e64 v18, 0, v48, s1
	v_cmp_lt_i32_e64 s1, v99, v13
	s_delay_alu instid0(VALU_DEP_4) | instskip(NEXT) | instid1(VALU_DEP_2)
	v_or_b32_e32 v51, v1, v3
	v_dual_cndmask_b32 v19, 0, v19, s1 :: v_dual_bitop2_b32 v52, v2, v18 bitop3:0x54
	v_cmp_lt_i32_e64 s1, v98, v12
	s_delay_alu instid0(VALU_DEP_1) | instskip(SKIP_1) | instid1(VALU_DEP_1)
	v_cndmask_b32_e64 v28, 0, v28, s1
	v_cmp_lt_i32_e64 s1, v97, v13
	v_cndmask_b32_e64 v9, 0, v9, s1
	v_cmp_lt_i32_e64 s1, v96, v12
	s_delay_alu instid0(VALU_DEP_1) | instskip(NEXT) | instid1(VALU_DEP_1)
	v_dual_cndmask_b32 v6, 0, v6, s1 :: v_dual_bitop2_b32 v49, v19, v9 bitop3:0x54
	v_or_b32_e32 v50, v28, v6
.LBB261_1868:                           ;   in Loop: Header=BB261_1075 Depth=1
	s_or_b32 exec_lo, exec_lo, s19
	;;#ASMSTART
	v_pk_mul_f16 v1, v67, v51;

	;;#ASMEND
	;;#ASMSTART
	v_pk_mul_f16 v2, v65, v52;

	;;#ASMEND
	;; [unrolled: 4-line block ×4, first 2 shown]
	;;#ASMSTART
	v_pk_add_f16 v1, v1, v2;

	;;#ASMEND
	;;#ASMSTART
	v_pk_add_f16 v1, v1, v3;

	;;#ASMEND
	;; [unrolled: 4-line block ×3, first 2 shown]
	v_and_b32_e32 v2, 0xffff, v1
	v_lshrrev_b32_e32 v1, 16, v1
	;;#ASMSTART
	v_cvt_f32_f16 v56, v2;
	;;#ASMEND
	;;#ASMSTART
	v_cvt_f32_f16 v57, v1;
	;;#ASMEND
	flat_load_b64 v[48:49], v[26:27] offset:3072
	scratch_load_b64 v[2:3], off, s32 offset:192 ; 8-byte Folded Reload
	v_mov_b32_e32 v1, 0
	s_mov_b32 s19, exec_lo
	s_wait_loadcnt 0x0
	flat_load_b32 v28, v[2:3]
	s_wait_dscnt 0x1
	s_wait_xcnt 0x0
	v_and_b32_e32 v3, 0xff, v48
	v_mov_b32_e32 v2, 0
	s_delay_alu instid0(VALU_DEP_2)
	v_cmpx_ne_u16_e32 0, v3
	s_cbranch_execz .LBB261_1876
; %bb.1869:                             ;   in Loop: Header=BB261_1075 Depth=1
	v_mov_b32_e32 v2, 0x8000
	s_mov_b32 s20, exec_lo
	v_cmpx_ne_u16_e32 0x80, v3
	s_cbranch_execz .LBB261_1875
; %bb.1870:                             ;   in Loop: Header=BB261_1075 Depth=1
	v_and_b32_e32 v6, 0x7f, v48
	v_mov_b32_e32 v2, 0x7c01
	s_mov_b32 s21, exec_lo
	s_delay_alu instid0(VALU_DEP_2)
	v_cmpx_ne_u32_e32 0x7f, v6
	s_cbranch_execz .LBB261_1874
; %bb.1871:                             ;   in Loop: Header=BB261_1075 Depth=1
	v_dual_lshrrev_b32 v3, 3, v6 :: v_dual_bitop2_b32 v2, 7, v48 bitop3:0x40
	s_mov_b32 s22, exec_lo
	v_cmpx_gt_u32_e32 8, v6
; %bb.1872:                             ;   in Loop: Header=BB261_1075 Depth=1
	s_delay_alu instid0(VALU_DEP_2) | instskip(NEXT) | instid1(VALU_DEP_1)
	v_clz_i32_u32_e32 v2, v2
	v_min_u32_e32 v6, 32, v2
	s_delay_alu instid0(VALU_DEP_1) | instskip(NEXT) | instid1(VALU_DEP_1)
	v_subrev_nc_u32_e32 v2, 28, v6
	v_lshlrev_b64_e32 v[2:3], v2, v[48:49]
	v_sub_nc_u32_e32 v3, 29, v6
	s_delay_alu instid0(VALU_DEP_2)
	v_and_b32_e32 v2, 7, v2
; %bb.1873:                             ;   in Loop: Header=BB261_1075 Depth=1
	s_or_b32 exec_lo, exec_lo, s22
	s_delay_alu instid0(VALU_DEP_1) | instskip(NEXT) | instid1(VALU_DEP_3)
	v_dual_lshlrev_b32 v6, 8, v48 :: v_dual_lshlrev_b32 v2, 7, v2
	v_lshl_add_u32 v3, v3, 10, 0x2000
	s_delay_alu instid0(VALU_DEP_2) | instskip(NEXT) | instid1(VALU_DEP_2)
	v_and_b32_e32 v6, 0x8000, v6
	v_and_b32_e32 v3, 0xfc00, v3
	s_delay_alu instid0(VALU_DEP_1)
	v_or3_b32 v2, v6, v3, v2
.LBB261_1874:                           ;   in Loop: Header=BB261_1075 Depth=1
	s_or_b32 exec_lo, exec_lo, s21
.LBB261_1875:                           ;   in Loop: Header=BB261_1075 Depth=1
	s_delay_alu instid0(SALU_CYCLE_1)
	s_or_b32 exec_lo, exec_lo, s20
.LBB261_1876:                           ;   in Loop: Header=BB261_1075 Depth=1
	s_delay_alu instid0(SALU_CYCLE_1) | instskip(SKIP_2) | instid1(VALU_DEP_1)
	s_or_b32 exec_lo, exec_lo, s19
	v_lshrrev_b16 v6, 8, v48
	s_mov_b32 s19, exec_lo
	v_cmpx_ne_u16_e32 0, v6
	s_cbranch_execz .LBB261_1884
; %bb.1877:                             ;   in Loop: Header=BB261_1075 Depth=1
	v_bfrev_b32_e32 v1, 1
	s_mov_b32 s20, exec_lo
	v_cmpx_ne_u16_e32 0x80, v6
	s_cbranch_execz .LBB261_1883
; %bb.1878:                             ;   in Loop: Header=BB261_1075 Depth=1
	v_and_b32_e32 v3, 0xffff, v6
	v_mov_b32_e32 v1, 0x7c010000
	s_mov_b32 s21, exec_lo
	s_delay_alu instid0(VALU_DEP_2) | instskip(NEXT) | instid1(VALU_DEP_1)
	v_and_b32_e32 v18, 0x7f, v3
	v_cmpx_ne_u32_e32 0x7f, v18
	s_cbranch_execz .LBB261_1882
; %bb.1879:                             ;   in Loop: Header=BB261_1075 Depth=1
	v_dual_lshrrev_b32 v9, 3, v18 :: v_dual_bitop2_b32 v1, 7, v3 bitop3:0x40
	s_mov_b32 s22, exec_lo
	v_cmpx_gt_u32_e32 8, v18
; %bb.1880:                             ;   in Loop: Header=BB261_1075 Depth=1
	s_delay_alu instid0(VALU_DEP_2) | instskip(NEXT) | instid1(VALU_DEP_1)
	v_clz_i32_u32_e32 v1, v1
	v_min_u32_e32 v1, 32, v1
	s_delay_alu instid0(VALU_DEP_1) | instskip(NEXT) | instid1(VALU_DEP_1)
	v_subrev_nc_u32_e32 v9, 28, v1
	v_lshlrev_b64_e32 v[18:19], v9, v[6:7]
	s_delay_alu instid0(VALU_DEP_1)
	v_dual_sub_nc_u32 v9, 29, v1 :: v_dual_bitop2_b32 v1, 7, v18 bitop3:0x40
; %bb.1881:                             ;   in Loop: Header=BB261_1075 Depth=1
	s_or_b32 exec_lo, exec_lo, s22
	s_delay_alu instid0(VALU_DEP_1) | instskip(NEXT) | instid1(VALU_DEP_2)
	v_dual_lshlrev_b32 v3, 8, v3 :: v_dual_lshlrev_b32 v1, 23, v1
	v_lshl_add_u32 v6, v9, 10, 0x2000
	s_delay_alu instid0(VALU_DEP_1) | instskip(NEXT) | instid1(VALU_DEP_1)
	v_and_or_b32 v3, 0x8000, v3, v6
	v_lshl_or_b32 v1, v3, 16, v1
.LBB261_1882:                           ;   in Loop: Header=BB261_1075 Depth=1
	s_or_b32 exec_lo, exec_lo, s21
.LBB261_1883:                           ;   in Loop: Header=BB261_1075 Depth=1
	s_delay_alu instid0(SALU_CYCLE_1)
	s_or_b32 exec_lo, exec_lo, s20
.LBB261_1884:                           ;   in Loop: Header=BB261_1075 Depth=1
	s_delay_alu instid0(SALU_CYCLE_1) | instskip(SKIP_3) | instid1(VALU_DEP_2)
	s_or_b32 exec_lo, exec_lo, s19
	v_dual_mov_b32 v3, 0 :: v_dual_lshrrev_b32 v6, 16, v48
	v_mov_b32_e32 v9, 0
	s_mov_b32 s19, exec_lo
	v_and_b32_e32 v18, 0xff, v6
	s_delay_alu instid0(VALU_DEP_1)
	v_cmpx_ne_u16_e32 0, v18
	s_cbranch_execz .LBB261_1892
; %bb.1885:                             ;   in Loop: Header=BB261_1075 Depth=1
	v_mov_b32_e32 v9, 0x8000
	s_mov_b32 s20, exec_lo
	v_cmpx_ne_u16_e32 0x80, v18
	s_cbranch_execz .LBB261_1891
; %bb.1886:                             ;   in Loop: Header=BB261_1075 Depth=1
	v_bfe_u32 v19, v48, 16, 7
	v_mov_b32_e32 v9, 0x7c01
	s_mov_b32 s21, exec_lo
	s_delay_alu instid0(VALU_DEP_2)
	v_cmpx_ne_u32_e32 0x7f, v19
	s_cbranch_execz .LBB261_1890
; %bb.1887:                             ;   in Loop: Header=BB261_1075 Depth=1
	v_dual_lshrrev_b32 v18, 3, v19 :: v_dual_bitop2_b32 v9, 7, v6 bitop3:0x40
	s_mov_b32 s22, exec_lo
	v_cmpx_gt_u32_e32 8, v19
; %bb.1888:                             ;   in Loop: Header=BB261_1075 Depth=1
	s_delay_alu instid0(VALU_DEP_2) | instskip(NEXT) | instid1(VALU_DEP_1)
	v_clz_i32_u32_e32 v9, v9
	v_min_u32_e32 v9, 32, v9
	s_delay_alu instid0(VALU_DEP_1) | instskip(NEXT) | instid1(VALU_DEP_1)
	v_subrev_nc_u32_e32 v18, 28, v9
	v_lshlrev_b64_e32 v[50:51], v18, v[6:7]
	s_delay_alu instid0(VALU_DEP_1)
	v_dual_sub_nc_u32 v18, 29, v9 :: v_dual_bitop2_b32 v9, 7, v50 bitop3:0x40
; %bb.1889:                             ;   in Loop: Header=BB261_1075 Depth=1
	s_or_b32 exec_lo, exec_lo, s22
	s_delay_alu instid0(VALU_DEP_1) | instskip(NEXT) | instid1(VALU_DEP_2)
	v_dual_lshlrev_b32 v6, 8, v6 :: v_dual_lshlrev_b32 v9, 7, v9
	v_lshl_add_u32 v18, v18, 10, 0x2000
	s_delay_alu instid0(VALU_DEP_2) | instskip(NEXT) | instid1(VALU_DEP_2)
	v_and_b32_e32 v6, 0x8000, v6
	v_and_b32_e32 v18, 0xfc00, v18
	s_delay_alu instid0(VALU_DEP_1)
	v_or3_b32 v9, v6, v18, v9
.LBB261_1890:                           ;   in Loop: Header=BB261_1075 Depth=1
	s_or_b32 exec_lo, exec_lo, s21
.LBB261_1891:                           ;   in Loop: Header=BB261_1075 Depth=1
	s_delay_alu instid0(SALU_CYCLE_1)
	s_or_b32 exec_lo, exec_lo, s20
.LBB261_1892:                           ;   in Loop: Header=BB261_1075 Depth=1
	s_delay_alu instid0(SALU_CYCLE_1) | instskip(NEXT) | instid1(SALU_CYCLE_1)
	s_or_b32 exec_lo, exec_lo, s19
	s_mov_b32 s19, exec_lo
	v_cmpx_lt_u32_e32 0xffffff, v48
	s_cbranch_execz .LBB261_1900
; %bb.1893:                             ;   in Loop: Header=BB261_1075 Depth=1
	v_lshrrev_b32_e32 v6, 24, v48
	v_bfrev_b32_e32 v3, 1
	s_mov_b32 s20, exec_lo
	s_delay_alu instid0(VALU_DEP_2)
	v_cmpx_ne_u32_e32 0x80, v6
	s_cbranch_execz .LBB261_1899
; %bb.1894:                             ;   in Loop: Header=BB261_1075 Depth=1
	v_and_b32_e32 v19, 0x7f, v6
	v_mov_b32_e32 v3, 0x7c010000
	s_mov_b32 s21, exec_lo
	s_delay_alu instid0(VALU_DEP_2)
	v_cmpx_ne_u32_e32 0x7f, v19
	s_cbranch_execz .LBB261_1898
; %bb.1895:                             ;   in Loop: Header=BB261_1075 Depth=1
	v_dual_lshrrev_b32 v18, 3, v19 :: v_dual_bitop2_b32 v3, 7, v6 bitop3:0x40
	s_mov_b32 s22, exec_lo
	v_cmpx_gt_u32_e32 8, v19
; %bb.1896:                             ;   in Loop: Header=BB261_1075 Depth=1
	s_delay_alu instid0(VALU_DEP_2) | instskip(NEXT) | instid1(VALU_DEP_1)
	v_clz_i32_u32_e32 v3, v3
	v_min_u32_e32 v3, 32, v3
	s_delay_alu instid0(VALU_DEP_1) | instskip(NEXT) | instid1(VALU_DEP_1)
	v_subrev_nc_u32_e32 v18, 28, v3
	v_lshlrev_b64_e32 v[50:51], v18, v[6:7]
	s_delay_alu instid0(VALU_DEP_1)
	v_dual_sub_nc_u32 v18, 29, v3 :: v_dual_bitop2_b32 v3, 7, v50 bitop3:0x40
; %bb.1897:                             ;   in Loop: Header=BB261_1075 Depth=1
	s_or_b32 exec_lo, exec_lo, s22
	s_delay_alu instid0(VALU_DEP_1) | instskip(NEXT) | instid1(VALU_DEP_2)
	v_dual_lshlrev_b32 v6, 8, v6 :: v_dual_lshlrev_b32 v3, 23, v3
	v_lshl_add_u32 v18, v18, 10, 0x2000
	s_delay_alu instid0(VALU_DEP_1) | instskip(NEXT) | instid1(VALU_DEP_1)
	v_and_or_b32 v6, 0x8000, v6, v18
	v_lshl_or_b32 v3, v6, 16, v3
.LBB261_1898:                           ;   in Loop: Header=BB261_1075 Depth=1
	s_or_b32 exec_lo, exec_lo, s21
.LBB261_1899:                           ;   in Loop: Header=BB261_1075 Depth=1
	s_delay_alu instid0(SALU_CYCLE_1)
	s_or_b32 exec_lo, exec_lo, s20
.LBB261_1900:                           ;   in Loop: Header=BB261_1075 Depth=1
	s_delay_alu instid0(SALU_CYCLE_1) | instskip(SKIP_4) | instid1(VALU_DEP_3)
	s_or_b32 exec_lo, exec_lo, s19
	v_and_b32_e32 v29, 0xff, v49
	v_dual_mov_b32 v6, v49 :: v_dual_mov_b32 v19, 0
	v_mov_b32_e32 v18, 0
	s_mov_b32 s19, exec_lo
	v_cmpx_ne_u16_e32 0, v29
	s_cbranch_execz .LBB261_1908
; %bb.1901:                             ;   in Loop: Header=BB261_1075 Depth=1
	v_mov_b32_e32 v18, 0x8000
	s_mov_b32 s20, exec_lo
	v_cmpx_ne_u16_e32 0x80, v29
	s_cbranch_execz .LBB261_1907
; %bb.1902:                             ;   in Loop: Header=BB261_1075 Depth=1
	v_and_b32_e32 v50, 0x7f, v49
	v_mov_b32_e32 v18, 0x7c01
	s_mov_b32 s21, exec_lo
	s_delay_alu instid0(VALU_DEP_2)
	v_cmpx_ne_u32_e32 0x7f, v50
	s_cbranch_execz .LBB261_1906
; %bb.1903:                             ;   in Loop: Header=BB261_1075 Depth=1
	v_dual_lshrrev_b32 v29, 3, v50 :: v_dual_bitop2_b32 v18, 7, v49 bitop3:0x40
	s_mov_b32 s22, exec_lo
	v_cmpx_gt_u32_e32 8, v50
; %bb.1904:                             ;   in Loop: Header=BB261_1075 Depth=1
	s_delay_alu instid0(VALU_DEP_2) | instskip(NEXT) | instid1(VALU_DEP_1)
	v_clz_i32_u32_e32 v18, v18
	v_min_u32_e32 v18, 32, v18
	s_delay_alu instid0(VALU_DEP_1) | instskip(NEXT) | instid1(VALU_DEP_1)
	v_subrev_nc_u32_e32 v29, 28, v18
	v_lshlrev_b64_e32 v[50:51], v29, v[6:7]
	v_sub_nc_u32_e32 v29, 29, v18
	s_delay_alu instid0(VALU_DEP_2)
	v_and_b32_e32 v18, 7, v50
; %bb.1905:                             ;   in Loop: Header=BB261_1075 Depth=1
	s_or_b32 exec_lo, exec_lo, s22
	s_delay_alu instid0(VALU_DEP_1) | instskip(NEXT) | instid1(VALU_DEP_3)
	v_dual_lshlrev_b32 v50, 8, v49 :: v_dual_lshlrev_b32 v18, 7, v18
	v_lshl_add_u32 v29, v29, 10, 0x2000
	s_delay_alu instid0(VALU_DEP_2) | instskip(NEXT) | instid1(VALU_DEP_2)
	v_and_b32_e32 v50, 0x8000, v50
	v_and_b32_e32 v29, 0xfc00, v29
	s_delay_alu instid0(VALU_DEP_1)
	v_or3_b32 v18, v50, v29, v18
.LBB261_1906:                           ;   in Loop: Header=BB261_1075 Depth=1
	s_or_b32 exec_lo, exec_lo, s21
.LBB261_1907:                           ;   in Loop: Header=BB261_1075 Depth=1
	s_delay_alu instid0(SALU_CYCLE_1)
	s_or_b32 exec_lo, exec_lo, s20
.LBB261_1908:                           ;   in Loop: Header=BB261_1075 Depth=1
	s_delay_alu instid0(SALU_CYCLE_1) | instskip(SKIP_3) | instid1(VALU_DEP_2)
	s_or_b32 exec_lo, exec_lo, s19
	v_lshrrev_b16 v6, 8, v6
	v_mov_b32_e32 v29, 0
	s_mov_b32 s19, exec_lo
	v_cmpx_ne_u16_e32 0, v6
	s_cbranch_execz .LBB261_1916
; %bb.1909:                             ;   in Loop: Header=BB261_1075 Depth=1
	v_bfrev_b32_e32 v29, 1
	s_mov_b32 s20, exec_lo
	v_cmpx_ne_u16_e32 0x80, v6
	s_cbranch_execz .LBB261_1915
; %bb.1910:                             ;   in Loop: Header=BB261_1075 Depth=1
	v_and_b32_e32 v50, 0xffff, v6
	v_mov_b32_e32 v29, 0x7c010000
	s_mov_b32 s21, exec_lo
	s_delay_alu instid0(VALU_DEP_2) | instskip(NEXT) | instid1(VALU_DEP_1)
	v_and_b32_e32 v52, 0x7f, v50
	v_cmpx_ne_u32_e32 0x7f, v52
	s_cbranch_execz .LBB261_1914
; %bb.1911:                             ;   in Loop: Header=BB261_1075 Depth=1
	v_dual_lshrrev_b32 v51, 3, v52 :: v_dual_bitop2_b32 v29, 7, v50 bitop3:0x40
	s_mov_b32 s22, exec_lo
	v_cmpx_gt_u32_e32 8, v52
; %bb.1912:                             ;   in Loop: Header=BB261_1075 Depth=1
	s_delay_alu instid0(VALU_DEP_2) | instskip(NEXT) | instid1(VALU_DEP_1)
	v_clz_i32_u32_e32 v29, v29
	v_min_u32_e32 v29, 32, v29
	s_delay_alu instid0(VALU_DEP_1) | instskip(NEXT) | instid1(VALU_DEP_1)
	v_subrev_nc_u32_e32 v51, 28, v29
	v_lshlrev_b64_e32 v[52:53], v51, v[6:7]
	s_delay_alu instid0(VALU_DEP_1)
	v_dual_sub_nc_u32 v51, 29, v29 :: v_dual_bitop2_b32 v29, 7, v52 bitop3:0x40
; %bb.1913:                             ;   in Loop: Header=BB261_1075 Depth=1
	s_or_b32 exec_lo, exec_lo, s22
	s_delay_alu instid0(VALU_DEP_1) | instskip(NEXT) | instid1(VALU_DEP_2)
	v_dual_lshlrev_b32 v6, 8, v50 :: v_dual_lshlrev_b32 v29, 23, v29
	v_lshl_add_u32 v50, v51, 10, 0x2000
	s_delay_alu instid0(VALU_DEP_1) | instskip(NEXT) | instid1(VALU_DEP_1)
	v_and_or_b32 v6, 0x8000, v6, v50
	v_lshl_or_b32 v29, v6, 16, v29
.LBB261_1914:                           ;   in Loop: Header=BB261_1075 Depth=1
	s_or_b32 exec_lo, exec_lo, s21
.LBB261_1915:                           ;   in Loop: Header=BB261_1075 Depth=1
	s_delay_alu instid0(SALU_CYCLE_1)
	s_or_b32 exec_lo, exec_lo, s20
.LBB261_1916:                           ;   in Loop: Header=BB261_1075 Depth=1
	s_delay_alu instid0(SALU_CYCLE_1) | instskip(SKIP_2) | instid1(VALU_DEP_1)
	s_or_b32 exec_lo, exec_lo, s19
	v_lshrrev_b32_e32 v6, 16, v49
	s_mov_b32 s19, exec_lo
	v_and_b32_e32 v50, 0xff, v6
	s_delay_alu instid0(VALU_DEP_1)
	v_cmpx_ne_u16_e32 0, v50
	s_cbranch_execz .LBB261_1924
; %bb.1917:                             ;   in Loop: Header=BB261_1075 Depth=1
	v_mov_b32_e32 v19, 0x8000
	s_mov_b32 s20, exec_lo
	v_cmpx_ne_u16_e32 0x80, v50
	s_cbranch_execz .LBB261_1923
; %bb.1918:                             ;   in Loop: Header=BB261_1075 Depth=1
	v_bfe_u32 v51, v49, 16, 7
	v_mov_b32_e32 v19, 0x7c01
	s_mov_b32 s21, exec_lo
	s_delay_alu instid0(VALU_DEP_2)
	v_cmpx_ne_u32_e32 0x7f, v51
	s_cbranch_execz .LBB261_1922
; %bb.1919:                             ;   in Loop: Header=BB261_1075 Depth=1
	v_dual_lshrrev_b32 v50, 3, v51 :: v_dual_bitop2_b32 v19, 7, v6 bitop3:0x40
	s_mov_b32 s22, exec_lo
	v_cmpx_gt_u32_e32 8, v51
; %bb.1920:                             ;   in Loop: Header=BB261_1075 Depth=1
	s_delay_alu instid0(VALU_DEP_2) | instskip(NEXT) | instid1(VALU_DEP_1)
	v_clz_i32_u32_e32 v19, v19
	v_min_u32_e32 v19, 32, v19
	s_delay_alu instid0(VALU_DEP_1) | instskip(NEXT) | instid1(VALU_DEP_1)
	v_subrev_nc_u32_e32 v50, 28, v19
	v_lshlrev_b64_e32 v[52:53], v50, v[6:7]
	s_delay_alu instid0(VALU_DEP_1)
	v_dual_sub_nc_u32 v50, 29, v19 :: v_dual_bitop2_b32 v19, 7, v52 bitop3:0x40
; %bb.1921:                             ;   in Loop: Header=BB261_1075 Depth=1
	s_or_b32 exec_lo, exec_lo, s22
	s_delay_alu instid0(VALU_DEP_1) | instskip(NEXT) | instid1(VALU_DEP_2)
	v_dual_lshlrev_b32 v6, 8, v6 :: v_dual_lshlrev_b32 v19, 7, v19
	v_lshl_add_u32 v50, v50, 10, 0x2000
	s_delay_alu instid0(VALU_DEP_2) | instskip(NEXT) | instid1(VALU_DEP_2)
	v_and_b32_e32 v6, 0x8000, v6
	v_and_b32_e32 v50, 0xfc00, v50
	s_delay_alu instid0(VALU_DEP_1)
	v_or3_b32 v19, v6, v50, v19
.LBB261_1922:                           ;   in Loop: Header=BB261_1075 Depth=1
	s_or_b32 exec_lo, exec_lo, s21
.LBB261_1923:                           ;   in Loop: Header=BB261_1075 Depth=1
	s_delay_alu instid0(SALU_CYCLE_1)
	s_or_b32 exec_lo, exec_lo, s20
.LBB261_1924:                           ;   in Loop: Header=BB261_1075 Depth=1
	s_delay_alu instid0(SALU_CYCLE_1)
	s_or_b32 exec_lo, exec_lo, s19
	v_cmp_lt_u64_e64 s1, s[2:3], v[48:49]
	v_mov_b32_e32 v48, 0
	s_and_saveexec_b32 s19, s1
	s_cbranch_execz .LBB261_1932
; %bb.1925:                             ;   in Loop: Header=BB261_1075 Depth=1
	v_lshrrev_b32_e32 v6, 24, v49
	v_bfrev_b32_e32 v48, 1
	s_mov_b32 s20, exec_lo
	s_delay_alu instid0(VALU_DEP_2)
	v_cmpx_ne_u32_e32 0x80, v6
	s_cbranch_execz .LBB261_1931
; %bb.1926:                             ;   in Loop: Header=BB261_1075 Depth=1
	v_and_b32_e32 v50, 0x7f, v6
	v_mov_b32_e32 v48, 0x7c010000
	s_mov_b32 s21, exec_lo
	s_delay_alu instid0(VALU_DEP_2)
	v_cmpx_ne_u32_e32 0x7f, v50
	s_cbranch_execz .LBB261_1930
; %bb.1927:                             ;   in Loop: Header=BB261_1075 Depth=1
	v_and_b32_e32 v48, 7, v6
	v_lshrrev_b32_e32 v49, 3, v50
	s_mov_b32 s22, exec_lo
	v_cmpx_gt_u32_e32 8, v50
; %bb.1928:                             ;   in Loop: Header=BB261_1075 Depth=1
	s_delay_alu instid0(VALU_DEP_3) | instskip(NEXT) | instid1(VALU_DEP_1)
	v_clz_i32_u32_e32 v48, v48
	v_min_u32_e32 v50, 32, v48
	s_delay_alu instid0(VALU_DEP_1) | instskip(NEXT) | instid1(VALU_DEP_1)
	v_subrev_nc_u32_e32 v48, 28, v50
	v_lshlrev_b64_e32 v[48:49], v48, v[6:7]
	s_delay_alu instid0(VALU_DEP_1)
	v_dual_sub_nc_u32 v49, 29, v50 :: v_dual_bitop2_b32 v48, 7, v48 bitop3:0x40
; %bb.1929:                             ;   in Loop: Header=BB261_1075 Depth=1
	s_or_b32 exec_lo, exec_lo, s22
	s_delay_alu instid0(VALU_DEP_1) | instskip(NEXT) | instid1(VALU_DEP_2)
	v_dual_lshlrev_b32 v6, 8, v6 :: v_dual_lshlrev_b32 v48, 23, v48
	v_lshl_add_u32 v49, v49, 10, 0x2000
	s_delay_alu instid0(VALU_DEP_1) | instskip(NEXT) | instid1(VALU_DEP_1)
	v_and_or_b32 v6, 0x8000, v6, v49
	v_lshl_or_b32 v48, v6, 16, v48
.LBB261_1930:                           ;   in Loop: Header=BB261_1075 Depth=1
	s_or_b32 exec_lo, exec_lo, s21
.LBB261_1931:                           ;   in Loop: Header=BB261_1075 Depth=1
	s_delay_alu instid0(SALU_CYCLE_1)
	s_or_b32 exec_lo, exec_lo, s20
.LBB261_1932:                           ;   in Loop: Header=BB261_1075 Depth=1
	s_delay_alu instid0(SALU_CYCLE_1) | instskip(SKIP_3) | instid1(VALU_DEP_3)
	s_or_b32 exec_lo, exec_lo, s19
	v_dual_lshrrev_b32 v6, 16, v1 :: v_dual_lshrrev_b32 v49, 16, v3
	v_dual_lshrrev_b32 v50, 16, v48 :: v_dual_bitop2_b32 v9, v3, v9 bitop3:0x54
	v_or_b32_e32 v1, v1, v2
	v_cvt_f32_f16_e32 v3, v6
	s_delay_alu instid0(VALU_DEP_4)
	v_cvt_f32_f16_e32 v2, v49
	v_dual_lshrrev_b32 v19, 16, v29 :: v_dual_bitop2_b32 v6, v48, v19 bitop3:0x54
	v_cvt_f32_f16_e32 v48, v9
	v_or_b32_e32 v9, v29, v18
	s_wait_loadcnt_dscnt 0x0
	v_pk_mul_f32 v[2:3], v[28:29], v[2:3] op_sel_hi:[0,1]
	v_cvt_f32_f16_e32 v49, v1
	v_cvt_f32_f16_e32 v19, v19
	;; [unrolled: 1-line block ×5, first 2 shown]
	v_pk_mul_f32 v[48:49], v[28:29], v[48:49] op_sel_hi:[0,1]
	v_cvt_pk_f16_f32 v1, v2, v3
	v_pk_mul_f32 v[2:3], v[28:29], v[18:19] op_sel_hi:[0,1]
	s_delay_alu instid0(VALU_DEP_4) | instskip(NEXT) | instid1(VALU_DEP_4)
	v_pk_mul_f32 v[18:19], v[28:29], v[50:51] op_sel_hi:[0,1]
	v_cvt_pk_f16_f32 v6, v48, v49
	s_delay_alu instid0(VALU_DEP_4) | instskip(NEXT) | instid1(VALU_DEP_4)
	v_and_b32_e32 v29, 0xffff0000, v1
	v_cvt_pk_f16_f32 v2, v2, v3
	v_lshlrev_b32_e32 v48, 16, v1
	v_cvt_pk_f16_f32 v1, v18, v19
	v_and_b32_e32 v54, 0xffff, v6
	s_delay_alu instid0(VALU_DEP_4) | instskip(NEXT) | instid1(VALU_DEP_3)
	v_and_b32_e32 v9, 0xffff0000, v2
	v_dual_lshrrev_b32 v19, 16, v1 :: v_dual_lshrrev_b32 v53, 16, v6
	v_and_b32_e32 v28, 0xffff, v1
	s_delay_alu instid0(VALU_DEP_4) | instskip(NEXT) | instid1(VALU_DEP_3)
	v_or_b32_e32 v52, v48, v54
	v_dual_lshlrev_b32 v6, 16, v2 :: v_dual_bitop2_b32 v49, v9, v19 bitop3:0x54
	s_delay_alu instid0(VALU_DEP_4) | instskip(NEXT) | instid1(VALU_DEP_2)
	v_or_b32_e32 v51, v29, v53
	v_or_b32_e32 v50, v6, v28
	s_and_saveexec_b32 s19, vcc_lo
	s_cbranch_execz .LBB261_1934
; %bb.1933:                             ;   in Loop: Header=BB261_1075 Depth=1
	v_cmp_lt_i32_e64 s1, v87, v13
	s_delay_alu instid0(VALU_DEP_1) | instskip(SKIP_1) | instid1(VALU_DEP_1)
	v_cndmask_b32_e64 v1, 0, v53, s1
	v_cmp_lt_i32_e64 s1, v102, v12
	v_cndmask_b32_e64 v2, 0, v54, s1
	v_cmp_lt_i32_e64 s1, v101, v13
	s_delay_alu instid0(VALU_DEP_1) | instskip(SKIP_1) | instid1(VALU_DEP_1)
	v_cndmask_b32_e64 v3, 0, v29, s1
	v_cmp_lt_i32_e64 s1, v100, v12
	v_cndmask_b32_e64 v18, 0, v48, s1
	v_cmp_lt_i32_e64 s1, v99, v13
	s_delay_alu instid0(VALU_DEP_4) | instskip(NEXT) | instid1(VALU_DEP_2)
	v_or_b32_e32 v51, v1, v3
	v_dual_cndmask_b32 v19, 0, v19, s1 :: v_dual_bitop2_b32 v52, v2, v18 bitop3:0x54
	v_cmp_lt_i32_e64 s1, v98, v12
	s_delay_alu instid0(VALU_DEP_1) | instskip(SKIP_1) | instid1(VALU_DEP_1)
	v_cndmask_b32_e64 v28, 0, v28, s1
	v_cmp_lt_i32_e64 s1, v97, v13
	v_cndmask_b32_e64 v9, 0, v9, s1
	v_cmp_lt_i32_e64 s1, v96, v12
	s_delay_alu instid0(VALU_DEP_1) | instskip(NEXT) | instid1(VALU_DEP_1)
	v_dual_cndmask_b32 v6, 0, v6, s1 :: v_dual_bitop2_b32 v49, v19, v9 bitop3:0x54
	v_or_b32_e32 v50, v28, v6
.LBB261_1934:                           ;   in Loop: Header=BB261_1075 Depth=1
	s_or_b32 exec_lo, exec_lo, s19
	;;#ASMSTART
	v_pk_mul_f16 v1, v67, v51;

	;;#ASMEND
	;;#ASMSTART
	v_pk_mul_f16 v2, v65, v52;

	;;#ASMEND
	;; [unrolled: 4-line block ×4, first 2 shown]
	;;#ASMSTART
	v_pk_add_f16 v1, v1, v2;

	;;#ASMEND
	;;#ASMSTART
	v_pk_add_f16 v1, v1, v3;

	;;#ASMEND
	;; [unrolled: 4-line block ×3, first 2 shown]
	v_and_b32_e32 v2, 0xffff, v1
	v_lshrrev_b32_e32 v1, 16, v1
	;;#ASMSTART
	v_cvt_f32_f16 v58, v2;
	;;#ASMEND
	;;#ASMSTART
	v_cvt_f32_f16 v59, v1;
	;;#ASMEND
	flat_load_b64 v[48:49], v[26:27] offset:3328
	scratch_load_b64 v[2:3], off, s32 offset:192 ; 8-byte Folded Reload
	v_mov_b32_e32 v1, 0
	s_mov_b32 s19, exec_lo
	s_wait_loadcnt 0x0
	flat_load_b32 v28, v[2:3]
	s_wait_dscnt 0x1
	s_wait_xcnt 0x0
	v_and_b32_e32 v3, 0xff, v48
	v_mov_b32_e32 v2, 0
	s_delay_alu instid0(VALU_DEP_2)
	v_cmpx_ne_u16_e32 0, v3
	s_cbranch_execz .LBB261_1942
; %bb.1935:                             ;   in Loop: Header=BB261_1075 Depth=1
	v_mov_b32_e32 v2, 0x8000
	s_mov_b32 s20, exec_lo
	v_cmpx_ne_u16_e32 0x80, v3
	s_cbranch_execz .LBB261_1941
; %bb.1936:                             ;   in Loop: Header=BB261_1075 Depth=1
	v_and_b32_e32 v6, 0x7f, v48
	v_mov_b32_e32 v2, 0x7c01
	s_mov_b32 s21, exec_lo
	s_delay_alu instid0(VALU_DEP_2)
	v_cmpx_ne_u32_e32 0x7f, v6
	s_cbranch_execz .LBB261_1940
; %bb.1937:                             ;   in Loop: Header=BB261_1075 Depth=1
	v_dual_lshrrev_b32 v3, 3, v6 :: v_dual_bitop2_b32 v2, 7, v48 bitop3:0x40
	s_mov_b32 s22, exec_lo
	v_cmpx_gt_u32_e32 8, v6
; %bb.1938:                             ;   in Loop: Header=BB261_1075 Depth=1
	s_delay_alu instid0(VALU_DEP_2) | instskip(NEXT) | instid1(VALU_DEP_1)
	v_clz_i32_u32_e32 v2, v2
	v_min_u32_e32 v6, 32, v2
	s_delay_alu instid0(VALU_DEP_1) | instskip(NEXT) | instid1(VALU_DEP_1)
	v_subrev_nc_u32_e32 v2, 28, v6
	v_lshlrev_b64_e32 v[2:3], v2, v[48:49]
	v_sub_nc_u32_e32 v3, 29, v6
	s_delay_alu instid0(VALU_DEP_2)
	v_and_b32_e32 v2, 7, v2
; %bb.1939:                             ;   in Loop: Header=BB261_1075 Depth=1
	s_or_b32 exec_lo, exec_lo, s22
	s_delay_alu instid0(VALU_DEP_1) | instskip(NEXT) | instid1(VALU_DEP_3)
	v_dual_lshlrev_b32 v6, 8, v48 :: v_dual_lshlrev_b32 v2, 7, v2
	v_lshl_add_u32 v3, v3, 10, 0x2000
	s_delay_alu instid0(VALU_DEP_2) | instskip(NEXT) | instid1(VALU_DEP_2)
	v_and_b32_e32 v6, 0x8000, v6
	v_and_b32_e32 v3, 0xfc00, v3
	s_delay_alu instid0(VALU_DEP_1)
	v_or3_b32 v2, v6, v3, v2
.LBB261_1940:                           ;   in Loop: Header=BB261_1075 Depth=1
	s_or_b32 exec_lo, exec_lo, s21
.LBB261_1941:                           ;   in Loop: Header=BB261_1075 Depth=1
	s_delay_alu instid0(SALU_CYCLE_1)
	s_or_b32 exec_lo, exec_lo, s20
.LBB261_1942:                           ;   in Loop: Header=BB261_1075 Depth=1
	s_delay_alu instid0(SALU_CYCLE_1) | instskip(SKIP_2) | instid1(VALU_DEP_1)
	s_or_b32 exec_lo, exec_lo, s19
	v_lshrrev_b16 v6, 8, v48
	s_mov_b32 s19, exec_lo
	v_cmpx_ne_u16_e32 0, v6
	s_cbranch_execz .LBB261_1950
; %bb.1943:                             ;   in Loop: Header=BB261_1075 Depth=1
	v_bfrev_b32_e32 v1, 1
	s_mov_b32 s20, exec_lo
	v_cmpx_ne_u16_e32 0x80, v6
	s_cbranch_execz .LBB261_1949
; %bb.1944:                             ;   in Loop: Header=BB261_1075 Depth=1
	v_and_b32_e32 v3, 0xffff, v6
	v_mov_b32_e32 v1, 0x7c010000
	s_mov_b32 s21, exec_lo
	s_delay_alu instid0(VALU_DEP_2) | instskip(NEXT) | instid1(VALU_DEP_1)
	v_and_b32_e32 v18, 0x7f, v3
	v_cmpx_ne_u32_e32 0x7f, v18
	s_cbranch_execz .LBB261_1948
; %bb.1945:                             ;   in Loop: Header=BB261_1075 Depth=1
	v_dual_lshrrev_b32 v9, 3, v18 :: v_dual_bitop2_b32 v1, 7, v3 bitop3:0x40
	s_mov_b32 s22, exec_lo
	v_cmpx_gt_u32_e32 8, v18
; %bb.1946:                             ;   in Loop: Header=BB261_1075 Depth=1
	s_delay_alu instid0(VALU_DEP_2) | instskip(NEXT) | instid1(VALU_DEP_1)
	v_clz_i32_u32_e32 v1, v1
	v_min_u32_e32 v1, 32, v1
	s_delay_alu instid0(VALU_DEP_1) | instskip(NEXT) | instid1(VALU_DEP_1)
	v_subrev_nc_u32_e32 v9, 28, v1
	v_lshlrev_b64_e32 v[18:19], v9, v[6:7]
	s_delay_alu instid0(VALU_DEP_1)
	v_dual_sub_nc_u32 v9, 29, v1 :: v_dual_bitop2_b32 v1, 7, v18 bitop3:0x40
; %bb.1947:                             ;   in Loop: Header=BB261_1075 Depth=1
	s_or_b32 exec_lo, exec_lo, s22
	s_delay_alu instid0(VALU_DEP_1) | instskip(NEXT) | instid1(VALU_DEP_2)
	v_dual_lshlrev_b32 v3, 8, v3 :: v_dual_lshlrev_b32 v1, 23, v1
	v_lshl_add_u32 v6, v9, 10, 0x2000
	s_delay_alu instid0(VALU_DEP_1) | instskip(NEXT) | instid1(VALU_DEP_1)
	v_and_or_b32 v3, 0x8000, v3, v6
	v_lshl_or_b32 v1, v3, 16, v1
.LBB261_1948:                           ;   in Loop: Header=BB261_1075 Depth=1
	s_or_b32 exec_lo, exec_lo, s21
.LBB261_1949:                           ;   in Loop: Header=BB261_1075 Depth=1
	s_delay_alu instid0(SALU_CYCLE_1)
	s_or_b32 exec_lo, exec_lo, s20
.LBB261_1950:                           ;   in Loop: Header=BB261_1075 Depth=1
	s_delay_alu instid0(SALU_CYCLE_1) | instskip(SKIP_3) | instid1(VALU_DEP_2)
	s_or_b32 exec_lo, exec_lo, s19
	v_dual_mov_b32 v3, 0 :: v_dual_lshrrev_b32 v6, 16, v48
	v_mov_b32_e32 v9, 0
	s_mov_b32 s19, exec_lo
	v_and_b32_e32 v18, 0xff, v6
	s_delay_alu instid0(VALU_DEP_1)
	v_cmpx_ne_u16_e32 0, v18
	s_cbranch_execz .LBB261_1958
; %bb.1951:                             ;   in Loop: Header=BB261_1075 Depth=1
	v_mov_b32_e32 v9, 0x8000
	s_mov_b32 s20, exec_lo
	v_cmpx_ne_u16_e32 0x80, v18
	s_cbranch_execz .LBB261_1957
; %bb.1952:                             ;   in Loop: Header=BB261_1075 Depth=1
	v_bfe_u32 v19, v48, 16, 7
	v_mov_b32_e32 v9, 0x7c01
	s_mov_b32 s21, exec_lo
	s_delay_alu instid0(VALU_DEP_2)
	v_cmpx_ne_u32_e32 0x7f, v19
	s_cbranch_execz .LBB261_1956
; %bb.1953:                             ;   in Loop: Header=BB261_1075 Depth=1
	v_dual_lshrrev_b32 v18, 3, v19 :: v_dual_bitop2_b32 v9, 7, v6 bitop3:0x40
	s_mov_b32 s22, exec_lo
	v_cmpx_gt_u32_e32 8, v19
; %bb.1954:                             ;   in Loop: Header=BB261_1075 Depth=1
	s_delay_alu instid0(VALU_DEP_2) | instskip(NEXT) | instid1(VALU_DEP_1)
	v_clz_i32_u32_e32 v9, v9
	v_min_u32_e32 v9, 32, v9
	s_delay_alu instid0(VALU_DEP_1) | instskip(NEXT) | instid1(VALU_DEP_1)
	v_subrev_nc_u32_e32 v18, 28, v9
	v_lshlrev_b64_e32 v[50:51], v18, v[6:7]
	s_delay_alu instid0(VALU_DEP_1)
	v_dual_sub_nc_u32 v18, 29, v9 :: v_dual_bitop2_b32 v9, 7, v50 bitop3:0x40
; %bb.1955:                             ;   in Loop: Header=BB261_1075 Depth=1
	s_or_b32 exec_lo, exec_lo, s22
	s_delay_alu instid0(VALU_DEP_1) | instskip(NEXT) | instid1(VALU_DEP_2)
	v_dual_lshlrev_b32 v6, 8, v6 :: v_dual_lshlrev_b32 v9, 7, v9
	v_lshl_add_u32 v18, v18, 10, 0x2000
	s_delay_alu instid0(VALU_DEP_2) | instskip(NEXT) | instid1(VALU_DEP_2)
	v_and_b32_e32 v6, 0x8000, v6
	v_and_b32_e32 v18, 0xfc00, v18
	s_delay_alu instid0(VALU_DEP_1)
	v_or3_b32 v9, v6, v18, v9
.LBB261_1956:                           ;   in Loop: Header=BB261_1075 Depth=1
	s_or_b32 exec_lo, exec_lo, s21
.LBB261_1957:                           ;   in Loop: Header=BB261_1075 Depth=1
	s_delay_alu instid0(SALU_CYCLE_1)
	s_or_b32 exec_lo, exec_lo, s20
.LBB261_1958:                           ;   in Loop: Header=BB261_1075 Depth=1
	s_delay_alu instid0(SALU_CYCLE_1) | instskip(NEXT) | instid1(SALU_CYCLE_1)
	s_or_b32 exec_lo, exec_lo, s19
	s_mov_b32 s19, exec_lo
	v_cmpx_lt_u32_e32 0xffffff, v48
	s_cbranch_execz .LBB261_1966
; %bb.1959:                             ;   in Loop: Header=BB261_1075 Depth=1
	v_lshrrev_b32_e32 v6, 24, v48
	v_bfrev_b32_e32 v3, 1
	s_mov_b32 s20, exec_lo
	s_delay_alu instid0(VALU_DEP_2)
	v_cmpx_ne_u32_e32 0x80, v6
	s_cbranch_execz .LBB261_1965
; %bb.1960:                             ;   in Loop: Header=BB261_1075 Depth=1
	v_and_b32_e32 v19, 0x7f, v6
	v_mov_b32_e32 v3, 0x7c010000
	s_mov_b32 s21, exec_lo
	s_delay_alu instid0(VALU_DEP_2)
	v_cmpx_ne_u32_e32 0x7f, v19
	s_cbranch_execz .LBB261_1964
; %bb.1961:                             ;   in Loop: Header=BB261_1075 Depth=1
	v_dual_lshrrev_b32 v18, 3, v19 :: v_dual_bitop2_b32 v3, 7, v6 bitop3:0x40
	s_mov_b32 s22, exec_lo
	v_cmpx_gt_u32_e32 8, v19
; %bb.1962:                             ;   in Loop: Header=BB261_1075 Depth=1
	s_delay_alu instid0(VALU_DEP_2) | instskip(NEXT) | instid1(VALU_DEP_1)
	v_clz_i32_u32_e32 v3, v3
	v_min_u32_e32 v3, 32, v3
	s_delay_alu instid0(VALU_DEP_1) | instskip(NEXT) | instid1(VALU_DEP_1)
	v_subrev_nc_u32_e32 v18, 28, v3
	v_lshlrev_b64_e32 v[50:51], v18, v[6:7]
	s_delay_alu instid0(VALU_DEP_1)
	v_dual_sub_nc_u32 v18, 29, v3 :: v_dual_bitop2_b32 v3, 7, v50 bitop3:0x40
; %bb.1963:                             ;   in Loop: Header=BB261_1075 Depth=1
	s_or_b32 exec_lo, exec_lo, s22
	s_delay_alu instid0(VALU_DEP_1) | instskip(NEXT) | instid1(VALU_DEP_2)
	v_dual_lshlrev_b32 v6, 8, v6 :: v_dual_lshlrev_b32 v3, 23, v3
	v_lshl_add_u32 v18, v18, 10, 0x2000
	s_delay_alu instid0(VALU_DEP_1) | instskip(NEXT) | instid1(VALU_DEP_1)
	v_and_or_b32 v6, 0x8000, v6, v18
	v_lshl_or_b32 v3, v6, 16, v3
.LBB261_1964:                           ;   in Loop: Header=BB261_1075 Depth=1
	s_or_b32 exec_lo, exec_lo, s21
.LBB261_1965:                           ;   in Loop: Header=BB261_1075 Depth=1
	s_delay_alu instid0(SALU_CYCLE_1)
	s_or_b32 exec_lo, exec_lo, s20
.LBB261_1966:                           ;   in Loop: Header=BB261_1075 Depth=1
	s_delay_alu instid0(SALU_CYCLE_1) | instskip(SKIP_4) | instid1(VALU_DEP_3)
	s_or_b32 exec_lo, exec_lo, s19
	v_and_b32_e32 v29, 0xff, v49
	v_dual_mov_b32 v6, v49 :: v_dual_mov_b32 v19, 0
	v_mov_b32_e32 v18, 0
	s_mov_b32 s19, exec_lo
	v_cmpx_ne_u16_e32 0, v29
	s_cbranch_execz .LBB261_1974
; %bb.1967:                             ;   in Loop: Header=BB261_1075 Depth=1
	v_mov_b32_e32 v18, 0x8000
	s_mov_b32 s20, exec_lo
	v_cmpx_ne_u16_e32 0x80, v29
	s_cbranch_execz .LBB261_1973
; %bb.1968:                             ;   in Loop: Header=BB261_1075 Depth=1
	v_and_b32_e32 v50, 0x7f, v49
	v_mov_b32_e32 v18, 0x7c01
	s_mov_b32 s21, exec_lo
	s_delay_alu instid0(VALU_DEP_2)
	v_cmpx_ne_u32_e32 0x7f, v50
	s_cbranch_execz .LBB261_1972
; %bb.1969:                             ;   in Loop: Header=BB261_1075 Depth=1
	v_dual_lshrrev_b32 v29, 3, v50 :: v_dual_bitop2_b32 v18, 7, v49 bitop3:0x40
	s_mov_b32 s22, exec_lo
	v_cmpx_gt_u32_e32 8, v50
; %bb.1970:                             ;   in Loop: Header=BB261_1075 Depth=1
	s_delay_alu instid0(VALU_DEP_2) | instskip(NEXT) | instid1(VALU_DEP_1)
	v_clz_i32_u32_e32 v18, v18
	v_min_u32_e32 v18, 32, v18
	s_delay_alu instid0(VALU_DEP_1) | instskip(NEXT) | instid1(VALU_DEP_1)
	v_subrev_nc_u32_e32 v29, 28, v18
	v_lshlrev_b64_e32 v[50:51], v29, v[6:7]
	v_sub_nc_u32_e32 v29, 29, v18
	s_delay_alu instid0(VALU_DEP_2)
	v_and_b32_e32 v18, 7, v50
; %bb.1971:                             ;   in Loop: Header=BB261_1075 Depth=1
	s_or_b32 exec_lo, exec_lo, s22
	s_delay_alu instid0(VALU_DEP_1) | instskip(NEXT) | instid1(VALU_DEP_3)
	v_dual_lshlrev_b32 v50, 8, v49 :: v_dual_lshlrev_b32 v18, 7, v18
	v_lshl_add_u32 v29, v29, 10, 0x2000
	s_delay_alu instid0(VALU_DEP_2) | instskip(NEXT) | instid1(VALU_DEP_2)
	v_and_b32_e32 v50, 0x8000, v50
	v_and_b32_e32 v29, 0xfc00, v29
	s_delay_alu instid0(VALU_DEP_1)
	v_or3_b32 v18, v50, v29, v18
.LBB261_1972:                           ;   in Loop: Header=BB261_1075 Depth=1
	s_or_b32 exec_lo, exec_lo, s21
.LBB261_1973:                           ;   in Loop: Header=BB261_1075 Depth=1
	s_delay_alu instid0(SALU_CYCLE_1)
	s_or_b32 exec_lo, exec_lo, s20
.LBB261_1974:                           ;   in Loop: Header=BB261_1075 Depth=1
	s_delay_alu instid0(SALU_CYCLE_1) | instskip(SKIP_3) | instid1(VALU_DEP_2)
	s_or_b32 exec_lo, exec_lo, s19
	v_lshrrev_b16 v6, 8, v6
	v_mov_b32_e32 v29, 0
	s_mov_b32 s19, exec_lo
	v_cmpx_ne_u16_e32 0, v6
	s_cbranch_execz .LBB261_1982
; %bb.1975:                             ;   in Loop: Header=BB261_1075 Depth=1
	v_bfrev_b32_e32 v29, 1
	s_mov_b32 s20, exec_lo
	v_cmpx_ne_u16_e32 0x80, v6
	s_cbranch_execz .LBB261_1981
; %bb.1976:                             ;   in Loop: Header=BB261_1075 Depth=1
	v_and_b32_e32 v50, 0xffff, v6
	v_mov_b32_e32 v29, 0x7c010000
	s_mov_b32 s21, exec_lo
	s_delay_alu instid0(VALU_DEP_2) | instskip(NEXT) | instid1(VALU_DEP_1)
	v_and_b32_e32 v52, 0x7f, v50
	v_cmpx_ne_u32_e32 0x7f, v52
	s_cbranch_execz .LBB261_1980
; %bb.1977:                             ;   in Loop: Header=BB261_1075 Depth=1
	v_dual_lshrrev_b32 v51, 3, v52 :: v_dual_bitop2_b32 v29, 7, v50 bitop3:0x40
	s_mov_b32 s22, exec_lo
	v_cmpx_gt_u32_e32 8, v52
; %bb.1978:                             ;   in Loop: Header=BB261_1075 Depth=1
	s_delay_alu instid0(VALU_DEP_2) | instskip(NEXT) | instid1(VALU_DEP_1)
	v_clz_i32_u32_e32 v29, v29
	v_min_u32_e32 v29, 32, v29
	s_delay_alu instid0(VALU_DEP_1) | instskip(NEXT) | instid1(VALU_DEP_1)
	v_subrev_nc_u32_e32 v51, 28, v29
	v_lshlrev_b64_e32 v[52:53], v51, v[6:7]
	s_delay_alu instid0(VALU_DEP_1)
	v_dual_sub_nc_u32 v51, 29, v29 :: v_dual_bitop2_b32 v29, 7, v52 bitop3:0x40
; %bb.1979:                             ;   in Loop: Header=BB261_1075 Depth=1
	s_or_b32 exec_lo, exec_lo, s22
	s_delay_alu instid0(VALU_DEP_1) | instskip(NEXT) | instid1(VALU_DEP_2)
	v_dual_lshlrev_b32 v6, 8, v50 :: v_dual_lshlrev_b32 v29, 23, v29
	v_lshl_add_u32 v50, v51, 10, 0x2000
	s_delay_alu instid0(VALU_DEP_1) | instskip(NEXT) | instid1(VALU_DEP_1)
	v_and_or_b32 v6, 0x8000, v6, v50
	v_lshl_or_b32 v29, v6, 16, v29
.LBB261_1980:                           ;   in Loop: Header=BB261_1075 Depth=1
	s_or_b32 exec_lo, exec_lo, s21
.LBB261_1981:                           ;   in Loop: Header=BB261_1075 Depth=1
	s_delay_alu instid0(SALU_CYCLE_1)
	s_or_b32 exec_lo, exec_lo, s20
.LBB261_1982:                           ;   in Loop: Header=BB261_1075 Depth=1
	s_delay_alu instid0(SALU_CYCLE_1) | instskip(SKIP_2) | instid1(VALU_DEP_1)
	s_or_b32 exec_lo, exec_lo, s19
	v_lshrrev_b32_e32 v6, 16, v49
	s_mov_b32 s19, exec_lo
	v_and_b32_e32 v50, 0xff, v6
	s_delay_alu instid0(VALU_DEP_1)
	v_cmpx_ne_u16_e32 0, v50
	s_cbranch_execz .LBB261_1990
; %bb.1983:                             ;   in Loop: Header=BB261_1075 Depth=1
	v_mov_b32_e32 v19, 0x8000
	s_mov_b32 s20, exec_lo
	v_cmpx_ne_u16_e32 0x80, v50
	s_cbranch_execz .LBB261_1989
; %bb.1984:                             ;   in Loop: Header=BB261_1075 Depth=1
	v_bfe_u32 v51, v49, 16, 7
	v_mov_b32_e32 v19, 0x7c01
	s_mov_b32 s21, exec_lo
	s_delay_alu instid0(VALU_DEP_2)
	v_cmpx_ne_u32_e32 0x7f, v51
	s_cbranch_execz .LBB261_1988
; %bb.1985:                             ;   in Loop: Header=BB261_1075 Depth=1
	v_dual_lshrrev_b32 v50, 3, v51 :: v_dual_bitop2_b32 v19, 7, v6 bitop3:0x40
	s_mov_b32 s22, exec_lo
	v_cmpx_gt_u32_e32 8, v51
; %bb.1986:                             ;   in Loop: Header=BB261_1075 Depth=1
	s_delay_alu instid0(VALU_DEP_2) | instskip(NEXT) | instid1(VALU_DEP_1)
	v_clz_i32_u32_e32 v19, v19
	v_min_u32_e32 v19, 32, v19
	s_delay_alu instid0(VALU_DEP_1) | instskip(NEXT) | instid1(VALU_DEP_1)
	v_subrev_nc_u32_e32 v50, 28, v19
	v_lshlrev_b64_e32 v[52:53], v50, v[6:7]
	s_delay_alu instid0(VALU_DEP_1)
	v_dual_sub_nc_u32 v50, 29, v19 :: v_dual_bitop2_b32 v19, 7, v52 bitop3:0x40
; %bb.1987:                             ;   in Loop: Header=BB261_1075 Depth=1
	s_or_b32 exec_lo, exec_lo, s22
	s_delay_alu instid0(VALU_DEP_1) | instskip(NEXT) | instid1(VALU_DEP_2)
	v_dual_lshlrev_b32 v6, 8, v6 :: v_dual_lshlrev_b32 v19, 7, v19
	v_lshl_add_u32 v50, v50, 10, 0x2000
	s_delay_alu instid0(VALU_DEP_2) | instskip(NEXT) | instid1(VALU_DEP_2)
	v_and_b32_e32 v6, 0x8000, v6
	v_and_b32_e32 v50, 0xfc00, v50
	s_delay_alu instid0(VALU_DEP_1)
	v_or3_b32 v19, v6, v50, v19
.LBB261_1988:                           ;   in Loop: Header=BB261_1075 Depth=1
	s_or_b32 exec_lo, exec_lo, s21
.LBB261_1989:                           ;   in Loop: Header=BB261_1075 Depth=1
	s_delay_alu instid0(SALU_CYCLE_1)
	s_or_b32 exec_lo, exec_lo, s20
.LBB261_1990:                           ;   in Loop: Header=BB261_1075 Depth=1
	s_delay_alu instid0(SALU_CYCLE_1)
	s_or_b32 exec_lo, exec_lo, s19
	v_cmp_lt_u64_e64 s1, s[2:3], v[48:49]
	v_mov_b32_e32 v48, 0
	s_and_saveexec_b32 s19, s1
	s_cbranch_execz .LBB261_1998
; %bb.1991:                             ;   in Loop: Header=BB261_1075 Depth=1
	v_lshrrev_b32_e32 v6, 24, v49
	v_bfrev_b32_e32 v48, 1
	s_mov_b32 s20, exec_lo
	s_delay_alu instid0(VALU_DEP_2)
	v_cmpx_ne_u32_e32 0x80, v6
	s_cbranch_execz .LBB261_1997
; %bb.1992:                             ;   in Loop: Header=BB261_1075 Depth=1
	v_and_b32_e32 v50, 0x7f, v6
	v_mov_b32_e32 v48, 0x7c010000
	s_mov_b32 s21, exec_lo
	s_delay_alu instid0(VALU_DEP_2)
	v_cmpx_ne_u32_e32 0x7f, v50
	s_cbranch_execz .LBB261_1996
; %bb.1993:                             ;   in Loop: Header=BB261_1075 Depth=1
	v_and_b32_e32 v48, 7, v6
	v_lshrrev_b32_e32 v49, 3, v50
	s_mov_b32 s22, exec_lo
	v_cmpx_gt_u32_e32 8, v50
; %bb.1994:                             ;   in Loop: Header=BB261_1075 Depth=1
	s_delay_alu instid0(VALU_DEP_3) | instskip(NEXT) | instid1(VALU_DEP_1)
	v_clz_i32_u32_e32 v48, v48
	v_min_u32_e32 v50, 32, v48
	s_delay_alu instid0(VALU_DEP_1) | instskip(NEXT) | instid1(VALU_DEP_1)
	v_subrev_nc_u32_e32 v48, 28, v50
	v_lshlrev_b64_e32 v[48:49], v48, v[6:7]
	s_delay_alu instid0(VALU_DEP_1)
	v_dual_sub_nc_u32 v49, 29, v50 :: v_dual_bitop2_b32 v48, 7, v48 bitop3:0x40
; %bb.1995:                             ;   in Loop: Header=BB261_1075 Depth=1
	s_or_b32 exec_lo, exec_lo, s22
	s_delay_alu instid0(VALU_DEP_1) | instskip(NEXT) | instid1(VALU_DEP_2)
	v_dual_lshlrev_b32 v6, 8, v6 :: v_dual_lshlrev_b32 v48, 23, v48
	v_lshl_add_u32 v49, v49, 10, 0x2000
	s_delay_alu instid0(VALU_DEP_1) | instskip(NEXT) | instid1(VALU_DEP_1)
	v_and_or_b32 v6, 0x8000, v6, v49
	v_lshl_or_b32 v48, v6, 16, v48
.LBB261_1996:                           ;   in Loop: Header=BB261_1075 Depth=1
	s_or_b32 exec_lo, exec_lo, s21
.LBB261_1997:                           ;   in Loop: Header=BB261_1075 Depth=1
	s_delay_alu instid0(SALU_CYCLE_1)
	s_or_b32 exec_lo, exec_lo, s20
.LBB261_1998:                           ;   in Loop: Header=BB261_1075 Depth=1
	s_delay_alu instid0(SALU_CYCLE_1) | instskip(SKIP_3) | instid1(VALU_DEP_3)
	s_or_b32 exec_lo, exec_lo, s19
	v_dual_lshrrev_b32 v6, 16, v1 :: v_dual_lshrrev_b32 v49, 16, v3
	v_dual_lshrrev_b32 v50, 16, v48 :: v_dual_bitop2_b32 v9, v3, v9 bitop3:0x54
	v_or_b32_e32 v1, v1, v2
	v_cvt_f32_f16_e32 v3, v6
	s_delay_alu instid0(VALU_DEP_4)
	v_cvt_f32_f16_e32 v2, v49
	v_dual_lshrrev_b32 v19, 16, v29 :: v_dual_bitop2_b32 v6, v48, v19 bitop3:0x54
	v_cvt_f32_f16_e32 v48, v9
	v_or_b32_e32 v9, v29, v18
	s_wait_loadcnt_dscnt 0x0
	v_pk_mul_f32 v[2:3], v[28:29], v[2:3] op_sel_hi:[0,1]
	v_cvt_f32_f16_e32 v49, v1
	v_cvt_f32_f16_e32 v19, v19
	;; [unrolled: 1-line block ×5, first 2 shown]
	v_pk_mul_f32 v[48:49], v[28:29], v[48:49] op_sel_hi:[0,1]
	v_cvt_pk_f16_f32 v1, v2, v3
	v_pk_mul_f32 v[2:3], v[28:29], v[18:19] op_sel_hi:[0,1]
	s_delay_alu instid0(VALU_DEP_4) | instskip(NEXT) | instid1(VALU_DEP_4)
	v_pk_mul_f32 v[18:19], v[28:29], v[50:51] op_sel_hi:[0,1]
	v_cvt_pk_f16_f32 v6, v48, v49
	s_delay_alu instid0(VALU_DEP_4) | instskip(NEXT) | instid1(VALU_DEP_4)
	v_and_b32_e32 v29, 0xffff0000, v1
	v_cvt_pk_f16_f32 v2, v2, v3
	v_lshlrev_b32_e32 v48, 16, v1
	v_cvt_pk_f16_f32 v1, v18, v19
	v_and_b32_e32 v54, 0xffff, v6
	s_delay_alu instid0(VALU_DEP_4) | instskip(NEXT) | instid1(VALU_DEP_3)
	v_and_b32_e32 v9, 0xffff0000, v2
	v_dual_lshrrev_b32 v19, 16, v1 :: v_dual_lshrrev_b32 v53, 16, v6
	v_and_b32_e32 v28, 0xffff, v1
	s_delay_alu instid0(VALU_DEP_4) | instskip(NEXT) | instid1(VALU_DEP_3)
	v_or_b32_e32 v52, v48, v54
	v_dual_lshlrev_b32 v6, 16, v2 :: v_dual_bitop2_b32 v49, v9, v19 bitop3:0x54
	s_delay_alu instid0(VALU_DEP_4) | instskip(NEXT) | instid1(VALU_DEP_2)
	v_or_b32_e32 v51, v29, v53
	v_or_b32_e32 v50, v6, v28
	s_and_saveexec_b32 s19, vcc_lo
	s_cbranch_execz .LBB261_2000
; %bb.1999:                             ;   in Loop: Header=BB261_1075 Depth=1
	v_cmp_lt_i32_e64 s1, v87, v13
	s_delay_alu instid0(VALU_DEP_1) | instskip(SKIP_1) | instid1(VALU_DEP_1)
	v_cndmask_b32_e64 v1, 0, v53, s1
	v_cmp_lt_i32_e64 s1, v102, v12
	v_cndmask_b32_e64 v2, 0, v54, s1
	v_cmp_lt_i32_e64 s1, v101, v13
	s_delay_alu instid0(VALU_DEP_1) | instskip(SKIP_1) | instid1(VALU_DEP_1)
	v_cndmask_b32_e64 v3, 0, v29, s1
	v_cmp_lt_i32_e64 s1, v100, v12
	v_cndmask_b32_e64 v18, 0, v48, s1
	v_cmp_lt_i32_e64 s1, v99, v13
	s_delay_alu instid0(VALU_DEP_4) | instskip(NEXT) | instid1(VALU_DEP_2)
	v_or_b32_e32 v51, v1, v3
	v_dual_cndmask_b32 v19, 0, v19, s1 :: v_dual_bitop2_b32 v52, v2, v18 bitop3:0x54
	v_cmp_lt_i32_e64 s1, v98, v12
	s_delay_alu instid0(VALU_DEP_1) | instskip(SKIP_1) | instid1(VALU_DEP_1)
	v_cndmask_b32_e64 v28, 0, v28, s1
	v_cmp_lt_i32_e64 s1, v97, v13
	v_cndmask_b32_e64 v9, 0, v9, s1
	v_cmp_lt_i32_e64 s1, v96, v12
	s_delay_alu instid0(VALU_DEP_1) | instskip(NEXT) | instid1(VALU_DEP_1)
	v_dual_cndmask_b32 v6, 0, v6, s1 :: v_dual_bitop2_b32 v49, v19, v9 bitop3:0x54
	v_or_b32_e32 v50, v28, v6
.LBB261_2000:                           ;   in Loop: Header=BB261_1075 Depth=1
	s_or_b32 exec_lo, exec_lo, s19
	;;#ASMSTART
	v_pk_mul_f16 v1, v67, v51;

	;;#ASMEND
	;;#ASMSTART
	v_pk_mul_f16 v2, v65, v52;

	;;#ASMEND
	;; [unrolled: 4-line block ×4, first 2 shown]
	;;#ASMSTART
	v_pk_add_f16 v1, v1, v2;

	;;#ASMEND
	;;#ASMSTART
	v_pk_add_f16 v1, v1, v3;

	;;#ASMEND
	;; [unrolled: 4-line block ×3, first 2 shown]
	v_and_b32_e32 v2, 0xffff, v1
	v_lshrrev_b32_e32 v1, 16, v1
	;;#ASMSTART
	v_cvt_f32_f16 v60, v2;
	;;#ASMEND
	;;#ASMSTART
	v_cvt_f32_f16 v61, v1;
	;;#ASMEND
	flat_load_b64 v[48:49], v[26:27] offset:3584
	scratch_load_b64 v[2:3], off, s32 offset:192 ; 8-byte Folded Reload
	v_mov_b32_e32 v1, 0
	s_mov_b32 s19, exec_lo
	s_wait_loadcnt 0x0
	flat_load_b32 v28, v[2:3]
	s_wait_dscnt 0x1
	s_wait_xcnt 0x0
	v_and_b32_e32 v3, 0xff, v48
	v_mov_b32_e32 v2, 0
	s_delay_alu instid0(VALU_DEP_2)
	v_cmpx_ne_u16_e32 0, v3
	s_cbranch_execz .LBB261_2008
; %bb.2001:                             ;   in Loop: Header=BB261_1075 Depth=1
	v_mov_b32_e32 v2, 0x8000
	s_mov_b32 s20, exec_lo
	v_cmpx_ne_u16_e32 0x80, v3
	s_cbranch_execz .LBB261_2007
; %bb.2002:                             ;   in Loop: Header=BB261_1075 Depth=1
	v_and_b32_e32 v6, 0x7f, v48
	v_mov_b32_e32 v2, 0x7c01
	s_mov_b32 s21, exec_lo
	s_delay_alu instid0(VALU_DEP_2)
	v_cmpx_ne_u32_e32 0x7f, v6
	s_cbranch_execz .LBB261_2006
; %bb.2003:                             ;   in Loop: Header=BB261_1075 Depth=1
	v_dual_lshrrev_b32 v3, 3, v6 :: v_dual_bitop2_b32 v2, 7, v48 bitop3:0x40
	s_mov_b32 s22, exec_lo
	v_cmpx_gt_u32_e32 8, v6
; %bb.2004:                             ;   in Loop: Header=BB261_1075 Depth=1
	s_delay_alu instid0(VALU_DEP_2) | instskip(NEXT) | instid1(VALU_DEP_1)
	v_clz_i32_u32_e32 v2, v2
	v_min_u32_e32 v6, 32, v2
	s_delay_alu instid0(VALU_DEP_1) | instskip(NEXT) | instid1(VALU_DEP_1)
	v_subrev_nc_u32_e32 v2, 28, v6
	v_lshlrev_b64_e32 v[2:3], v2, v[48:49]
	v_sub_nc_u32_e32 v3, 29, v6
	s_delay_alu instid0(VALU_DEP_2)
	v_and_b32_e32 v2, 7, v2
; %bb.2005:                             ;   in Loop: Header=BB261_1075 Depth=1
	s_or_b32 exec_lo, exec_lo, s22
	s_delay_alu instid0(VALU_DEP_1) | instskip(NEXT) | instid1(VALU_DEP_3)
	v_dual_lshlrev_b32 v6, 8, v48 :: v_dual_lshlrev_b32 v2, 7, v2
	v_lshl_add_u32 v3, v3, 10, 0x2000
	s_delay_alu instid0(VALU_DEP_2) | instskip(NEXT) | instid1(VALU_DEP_2)
	v_and_b32_e32 v6, 0x8000, v6
	v_and_b32_e32 v3, 0xfc00, v3
	s_delay_alu instid0(VALU_DEP_1)
	v_or3_b32 v2, v6, v3, v2
.LBB261_2006:                           ;   in Loop: Header=BB261_1075 Depth=1
	s_or_b32 exec_lo, exec_lo, s21
.LBB261_2007:                           ;   in Loop: Header=BB261_1075 Depth=1
	s_delay_alu instid0(SALU_CYCLE_1)
	s_or_b32 exec_lo, exec_lo, s20
.LBB261_2008:                           ;   in Loop: Header=BB261_1075 Depth=1
	s_delay_alu instid0(SALU_CYCLE_1) | instskip(SKIP_2) | instid1(VALU_DEP_1)
	s_or_b32 exec_lo, exec_lo, s19
	v_lshrrev_b16 v6, 8, v48
	s_mov_b32 s19, exec_lo
	v_cmpx_ne_u16_e32 0, v6
	s_cbranch_execz .LBB261_2016
; %bb.2009:                             ;   in Loop: Header=BB261_1075 Depth=1
	v_bfrev_b32_e32 v1, 1
	s_mov_b32 s20, exec_lo
	v_cmpx_ne_u16_e32 0x80, v6
	s_cbranch_execz .LBB261_2015
; %bb.2010:                             ;   in Loop: Header=BB261_1075 Depth=1
	v_and_b32_e32 v3, 0xffff, v6
	v_mov_b32_e32 v1, 0x7c010000
	s_mov_b32 s21, exec_lo
	s_delay_alu instid0(VALU_DEP_2) | instskip(NEXT) | instid1(VALU_DEP_1)
	v_and_b32_e32 v18, 0x7f, v3
	v_cmpx_ne_u32_e32 0x7f, v18
	s_cbranch_execz .LBB261_2014
; %bb.2011:                             ;   in Loop: Header=BB261_1075 Depth=1
	v_dual_lshrrev_b32 v9, 3, v18 :: v_dual_bitop2_b32 v1, 7, v3 bitop3:0x40
	s_mov_b32 s22, exec_lo
	v_cmpx_gt_u32_e32 8, v18
; %bb.2012:                             ;   in Loop: Header=BB261_1075 Depth=1
	s_delay_alu instid0(VALU_DEP_2) | instskip(NEXT) | instid1(VALU_DEP_1)
	v_clz_i32_u32_e32 v1, v1
	v_min_u32_e32 v1, 32, v1
	s_delay_alu instid0(VALU_DEP_1) | instskip(NEXT) | instid1(VALU_DEP_1)
	v_subrev_nc_u32_e32 v9, 28, v1
	v_lshlrev_b64_e32 v[18:19], v9, v[6:7]
	s_delay_alu instid0(VALU_DEP_1)
	v_dual_sub_nc_u32 v9, 29, v1 :: v_dual_bitop2_b32 v1, 7, v18 bitop3:0x40
; %bb.2013:                             ;   in Loop: Header=BB261_1075 Depth=1
	s_or_b32 exec_lo, exec_lo, s22
	s_delay_alu instid0(VALU_DEP_1) | instskip(NEXT) | instid1(VALU_DEP_2)
	v_dual_lshlrev_b32 v3, 8, v3 :: v_dual_lshlrev_b32 v1, 23, v1
	v_lshl_add_u32 v6, v9, 10, 0x2000
	s_delay_alu instid0(VALU_DEP_1) | instskip(NEXT) | instid1(VALU_DEP_1)
	v_and_or_b32 v3, 0x8000, v3, v6
	v_lshl_or_b32 v1, v3, 16, v1
.LBB261_2014:                           ;   in Loop: Header=BB261_1075 Depth=1
	s_or_b32 exec_lo, exec_lo, s21
.LBB261_2015:                           ;   in Loop: Header=BB261_1075 Depth=1
	s_delay_alu instid0(SALU_CYCLE_1)
	s_or_b32 exec_lo, exec_lo, s20
.LBB261_2016:                           ;   in Loop: Header=BB261_1075 Depth=1
	s_delay_alu instid0(SALU_CYCLE_1) | instskip(SKIP_3) | instid1(VALU_DEP_2)
	s_or_b32 exec_lo, exec_lo, s19
	v_dual_mov_b32 v3, 0 :: v_dual_lshrrev_b32 v6, 16, v48
	v_mov_b32_e32 v9, 0
	s_mov_b32 s19, exec_lo
	v_and_b32_e32 v18, 0xff, v6
	s_delay_alu instid0(VALU_DEP_1)
	v_cmpx_ne_u16_e32 0, v18
	s_cbranch_execz .LBB261_2024
; %bb.2017:                             ;   in Loop: Header=BB261_1075 Depth=1
	v_mov_b32_e32 v9, 0x8000
	s_mov_b32 s20, exec_lo
	v_cmpx_ne_u16_e32 0x80, v18
	s_cbranch_execz .LBB261_2023
; %bb.2018:                             ;   in Loop: Header=BB261_1075 Depth=1
	v_bfe_u32 v19, v48, 16, 7
	v_mov_b32_e32 v9, 0x7c01
	s_mov_b32 s21, exec_lo
	s_delay_alu instid0(VALU_DEP_2)
	v_cmpx_ne_u32_e32 0x7f, v19
	s_cbranch_execz .LBB261_2022
; %bb.2019:                             ;   in Loop: Header=BB261_1075 Depth=1
	v_dual_lshrrev_b32 v18, 3, v19 :: v_dual_bitop2_b32 v9, 7, v6 bitop3:0x40
	s_mov_b32 s22, exec_lo
	v_cmpx_gt_u32_e32 8, v19
; %bb.2020:                             ;   in Loop: Header=BB261_1075 Depth=1
	s_delay_alu instid0(VALU_DEP_2) | instskip(NEXT) | instid1(VALU_DEP_1)
	v_clz_i32_u32_e32 v9, v9
	v_min_u32_e32 v9, 32, v9
	s_delay_alu instid0(VALU_DEP_1) | instskip(NEXT) | instid1(VALU_DEP_1)
	v_subrev_nc_u32_e32 v18, 28, v9
	v_lshlrev_b64_e32 v[50:51], v18, v[6:7]
	s_delay_alu instid0(VALU_DEP_1)
	v_dual_sub_nc_u32 v18, 29, v9 :: v_dual_bitop2_b32 v9, 7, v50 bitop3:0x40
; %bb.2021:                             ;   in Loop: Header=BB261_1075 Depth=1
	s_or_b32 exec_lo, exec_lo, s22
	s_delay_alu instid0(VALU_DEP_1) | instskip(NEXT) | instid1(VALU_DEP_2)
	v_dual_lshlrev_b32 v6, 8, v6 :: v_dual_lshlrev_b32 v9, 7, v9
	v_lshl_add_u32 v18, v18, 10, 0x2000
	s_delay_alu instid0(VALU_DEP_2) | instskip(NEXT) | instid1(VALU_DEP_2)
	v_and_b32_e32 v6, 0x8000, v6
	v_and_b32_e32 v18, 0xfc00, v18
	s_delay_alu instid0(VALU_DEP_1)
	v_or3_b32 v9, v6, v18, v9
.LBB261_2022:                           ;   in Loop: Header=BB261_1075 Depth=1
	s_or_b32 exec_lo, exec_lo, s21
.LBB261_2023:                           ;   in Loop: Header=BB261_1075 Depth=1
	s_delay_alu instid0(SALU_CYCLE_1)
	s_or_b32 exec_lo, exec_lo, s20
.LBB261_2024:                           ;   in Loop: Header=BB261_1075 Depth=1
	s_delay_alu instid0(SALU_CYCLE_1) | instskip(NEXT) | instid1(SALU_CYCLE_1)
	s_or_b32 exec_lo, exec_lo, s19
	s_mov_b32 s19, exec_lo
	v_cmpx_lt_u32_e32 0xffffff, v48
	s_cbranch_execz .LBB261_2032
; %bb.2025:                             ;   in Loop: Header=BB261_1075 Depth=1
	v_lshrrev_b32_e32 v6, 24, v48
	v_bfrev_b32_e32 v3, 1
	s_mov_b32 s20, exec_lo
	s_delay_alu instid0(VALU_DEP_2)
	v_cmpx_ne_u32_e32 0x80, v6
	s_cbranch_execz .LBB261_2031
; %bb.2026:                             ;   in Loop: Header=BB261_1075 Depth=1
	v_and_b32_e32 v19, 0x7f, v6
	v_mov_b32_e32 v3, 0x7c010000
	s_mov_b32 s21, exec_lo
	s_delay_alu instid0(VALU_DEP_2)
	v_cmpx_ne_u32_e32 0x7f, v19
	s_cbranch_execz .LBB261_2030
; %bb.2027:                             ;   in Loop: Header=BB261_1075 Depth=1
	v_dual_lshrrev_b32 v18, 3, v19 :: v_dual_bitop2_b32 v3, 7, v6 bitop3:0x40
	s_mov_b32 s22, exec_lo
	v_cmpx_gt_u32_e32 8, v19
; %bb.2028:                             ;   in Loop: Header=BB261_1075 Depth=1
	s_delay_alu instid0(VALU_DEP_2) | instskip(NEXT) | instid1(VALU_DEP_1)
	v_clz_i32_u32_e32 v3, v3
	v_min_u32_e32 v3, 32, v3
	s_delay_alu instid0(VALU_DEP_1) | instskip(NEXT) | instid1(VALU_DEP_1)
	v_subrev_nc_u32_e32 v18, 28, v3
	v_lshlrev_b64_e32 v[50:51], v18, v[6:7]
	s_delay_alu instid0(VALU_DEP_1)
	v_dual_sub_nc_u32 v18, 29, v3 :: v_dual_bitop2_b32 v3, 7, v50 bitop3:0x40
; %bb.2029:                             ;   in Loop: Header=BB261_1075 Depth=1
	s_or_b32 exec_lo, exec_lo, s22
	s_delay_alu instid0(VALU_DEP_1) | instskip(NEXT) | instid1(VALU_DEP_2)
	v_dual_lshlrev_b32 v6, 8, v6 :: v_dual_lshlrev_b32 v3, 23, v3
	v_lshl_add_u32 v18, v18, 10, 0x2000
	s_delay_alu instid0(VALU_DEP_1) | instskip(NEXT) | instid1(VALU_DEP_1)
	v_and_or_b32 v6, 0x8000, v6, v18
	v_lshl_or_b32 v3, v6, 16, v3
.LBB261_2030:                           ;   in Loop: Header=BB261_1075 Depth=1
	s_or_b32 exec_lo, exec_lo, s21
.LBB261_2031:                           ;   in Loop: Header=BB261_1075 Depth=1
	s_delay_alu instid0(SALU_CYCLE_1)
	s_or_b32 exec_lo, exec_lo, s20
.LBB261_2032:                           ;   in Loop: Header=BB261_1075 Depth=1
	s_delay_alu instid0(SALU_CYCLE_1) | instskip(SKIP_4) | instid1(VALU_DEP_3)
	s_or_b32 exec_lo, exec_lo, s19
	v_and_b32_e32 v29, 0xff, v49
	v_dual_mov_b32 v6, v49 :: v_dual_mov_b32 v19, 0
	v_mov_b32_e32 v18, 0
	s_mov_b32 s19, exec_lo
	v_cmpx_ne_u16_e32 0, v29
	s_cbranch_execz .LBB261_2040
; %bb.2033:                             ;   in Loop: Header=BB261_1075 Depth=1
	v_mov_b32_e32 v18, 0x8000
	s_mov_b32 s20, exec_lo
	v_cmpx_ne_u16_e32 0x80, v29
	s_cbranch_execz .LBB261_2039
; %bb.2034:                             ;   in Loop: Header=BB261_1075 Depth=1
	v_and_b32_e32 v50, 0x7f, v49
	v_mov_b32_e32 v18, 0x7c01
	s_mov_b32 s21, exec_lo
	s_delay_alu instid0(VALU_DEP_2)
	v_cmpx_ne_u32_e32 0x7f, v50
	s_cbranch_execz .LBB261_2038
; %bb.2035:                             ;   in Loop: Header=BB261_1075 Depth=1
	v_dual_lshrrev_b32 v29, 3, v50 :: v_dual_bitop2_b32 v18, 7, v49 bitop3:0x40
	s_mov_b32 s22, exec_lo
	v_cmpx_gt_u32_e32 8, v50
; %bb.2036:                             ;   in Loop: Header=BB261_1075 Depth=1
	s_delay_alu instid0(VALU_DEP_2) | instskip(NEXT) | instid1(VALU_DEP_1)
	v_clz_i32_u32_e32 v18, v18
	v_min_u32_e32 v18, 32, v18
	s_delay_alu instid0(VALU_DEP_1) | instskip(NEXT) | instid1(VALU_DEP_1)
	v_subrev_nc_u32_e32 v29, 28, v18
	v_lshlrev_b64_e32 v[50:51], v29, v[6:7]
	v_sub_nc_u32_e32 v29, 29, v18
	s_delay_alu instid0(VALU_DEP_2)
	v_and_b32_e32 v18, 7, v50
; %bb.2037:                             ;   in Loop: Header=BB261_1075 Depth=1
	s_or_b32 exec_lo, exec_lo, s22
	s_delay_alu instid0(VALU_DEP_1) | instskip(NEXT) | instid1(VALU_DEP_3)
	v_dual_lshlrev_b32 v50, 8, v49 :: v_dual_lshlrev_b32 v18, 7, v18
	v_lshl_add_u32 v29, v29, 10, 0x2000
	s_delay_alu instid0(VALU_DEP_2) | instskip(NEXT) | instid1(VALU_DEP_2)
	v_and_b32_e32 v50, 0x8000, v50
	v_and_b32_e32 v29, 0xfc00, v29
	s_delay_alu instid0(VALU_DEP_1)
	v_or3_b32 v18, v50, v29, v18
.LBB261_2038:                           ;   in Loop: Header=BB261_1075 Depth=1
	s_or_b32 exec_lo, exec_lo, s21
.LBB261_2039:                           ;   in Loop: Header=BB261_1075 Depth=1
	s_delay_alu instid0(SALU_CYCLE_1)
	s_or_b32 exec_lo, exec_lo, s20
.LBB261_2040:                           ;   in Loop: Header=BB261_1075 Depth=1
	s_delay_alu instid0(SALU_CYCLE_1) | instskip(SKIP_3) | instid1(VALU_DEP_2)
	s_or_b32 exec_lo, exec_lo, s19
	v_lshrrev_b16 v6, 8, v6
	v_mov_b32_e32 v29, 0
	s_mov_b32 s19, exec_lo
	v_cmpx_ne_u16_e32 0, v6
	s_cbranch_execz .LBB261_2048
; %bb.2041:                             ;   in Loop: Header=BB261_1075 Depth=1
	v_bfrev_b32_e32 v29, 1
	s_mov_b32 s20, exec_lo
	v_cmpx_ne_u16_e32 0x80, v6
	s_cbranch_execz .LBB261_2047
; %bb.2042:                             ;   in Loop: Header=BB261_1075 Depth=1
	v_and_b32_e32 v50, 0xffff, v6
	v_mov_b32_e32 v29, 0x7c010000
	s_mov_b32 s21, exec_lo
	s_delay_alu instid0(VALU_DEP_2) | instskip(NEXT) | instid1(VALU_DEP_1)
	v_and_b32_e32 v52, 0x7f, v50
	v_cmpx_ne_u32_e32 0x7f, v52
	s_cbranch_execz .LBB261_2046
; %bb.2043:                             ;   in Loop: Header=BB261_1075 Depth=1
	v_dual_lshrrev_b32 v51, 3, v52 :: v_dual_bitop2_b32 v29, 7, v50 bitop3:0x40
	s_mov_b32 s22, exec_lo
	v_cmpx_gt_u32_e32 8, v52
; %bb.2044:                             ;   in Loop: Header=BB261_1075 Depth=1
	s_delay_alu instid0(VALU_DEP_2) | instskip(NEXT) | instid1(VALU_DEP_1)
	v_clz_i32_u32_e32 v29, v29
	v_min_u32_e32 v29, 32, v29
	s_delay_alu instid0(VALU_DEP_1) | instskip(NEXT) | instid1(VALU_DEP_1)
	v_subrev_nc_u32_e32 v51, 28, v29
	v_lshlrev_b64_e32 v[52:53], v51, v[6:7]
	s_delay_alu instid0(VALU_DEP_1)
	v_dual_sub_nc_u32 v51, 29, v29 :: v_dual_bitop2_b32 v29, 7, v52 bitop3:0x40
; %bb.2045:                             ;   in Loop: Header=BB261_1075 Depth=1
	s_or_b32 exec_lo, exec_lo, s22
	s_delay_alu instid0(VALU_DEP_1) | instskip(NEXT) | instid1(VALU_DEP_2)
	v_dual_lshlrev_b32 v6, 8, v50 :: v_dual_lshlrev_b32 v29, 23, v29
	v_lshl_add_u32 v50, v51, 10, 0x2000
	s_delay_alu instid0(VALU_DEP_1) | instskip(NEXT) | instid1(VALU_DEP_1)
	v_and_or_b32 v6, 0x8000, v6, v50
	v_lshl_or_b32 v29, v6, 16, v29
.LBB261_2046:                           ;   in Loop: Header=BB261_1075 Depth=1
	s_or_b32 exec_lo, exec_lo, s21
.LBB261_2047:                           ;   in Loop: Header=BB261_1075 Depth=1
	s_delay_alu instid0(SALU_CYCLE_1)
	s_or_b32 exec_lo, exec_lo, s20
.LBB261_2048:                           ;   in Loop: Header=BB261_1075 Depth=1
	s_delay_alu instid0(SALU_CYCLE_1) | instskip(SKIP_2) | instid1(VALU_DEP_1)
	s_or_b32 exec_lo, exec_lo, s19
	v_lshrrev_b32_e32 v6, 16, v49
	s_mov_b32 s19, exec_lo
	v_and_b32_e32 v50, 0xff, v6
	s_delay_alu instid0(VALU_DEP_1)
	v_cmpx_ne_u16_e32 0, v50
	s_cbranch_execz .LBB261_2056
; %bb.2049:                             ;   in Loop: Header=BB261_1075 Depth=1
	v_mov_b32_e32 v19, 0x8000
	s_mov_b32 s20, exec_lo
	v_cmpx_ne_u16_e32 0x80, v50
	s_cbranch_execz .LBB261_2055
; %bb.2050:                             ;   in Loop: Header=BB261_1075 Depth=1
	v_bfe_u32 v51, v49, 16, 7
	v_mov_b32_e32 v19, 0x7c01
	s_mov_b32 s21, exec_lo
	s_delay_alu instid0(VALU_DEP_2)
	v_cmpx_ne_u32_e32 0x7f, v51
	s_cbranch_execz .LBB261_2054
; %bb.2051:                             ;   in Loop: Header=BB261_1075 Depth=1
	v_dual_lshrrev_b32 v50, 3, v51 :: v_dual_bitop2_b32 v19, 7, v6 bitop3:0x40
	s_mov_b32 s22, exec_lo
	v_cmpx_gt_u32_e32 8, v51
; %bb.2052:                             ;   in Loop: Header=BB261_1075 Depth=1
	s_delay_alu instid0(VALU_DEP_2) | instskip(NEXT) | instid1(VALU_DEP_1)
	v_clz_i32_u32_e32 v19, v19
	v_min_u32_e32 v19, 32, v19
	s_delay_alu instid0(VALU_DEP_1) | instskip(NEXT) | instid1(VALU_DEP_1)
	v_subrev_nc_u32_e32 v50, 28, v19
	v_lshlrev_b64_e32 v[52:53], v50, v[6:7]
	s_delay_alu instid0(VALU_DEP_1)
	v_dual_sub_nc_u32 v50, 29, v19 :: v_dual_bitop2_b32 v19, 7, v52 bitop3:0x40
; %bb.2053:                             ;   in Loop: Header=BB261_1075 Depth=1
	s_or_b32 exec_lo, exec_lo, s22
	s_delay_alu instid0(VALU_DEP_1) | instskip(NEXT) | instid1(VALU_DEP_2)
	v_dual_lshlrev_b32 v6, 8, v6 :: v_dual_lshlrev_b32 v19, 7, v19
	v_lshl_add_u32 v50, v50, 10, 0x2000
	s_delay_alu instid0(VALU_DEP_2) | instskip(NEXT) | instid1(VALU_DEP_2)
	v_and_b32_e32 v6, 0x8000, v6
	v_and_b32_e32 v50, 0xfc00, v50
	s_delay_alu instid0(VALU_DEP_1)
	v_or3_b32 v19, v6, v50, v19
.LBB261_2054:                           ;   in Loop: Header=BB261_1075 Depth=1
	s_or_b32 exec_lo, exec_lo, s21
.LBB261_2055:                           ;   in Loop: Header=BB261_1075 Depth=1
	s_delay_alu instid0(SALU_CYCLE_1)
	s_or_b32 exec_lo, exec_lo, s20
.LBB261_2056:                           ;   in Loop: Header=BB261_1075 Depth=1
	s_delay_alu instid0(SALU_CYCLE_1)
	s_or_b32 exec_lo, exec_lo, s19
	v_cmp_lt_u64_e64 s1, s[2:3], v[48:49]
	v_mov_b32_e32 v48, 0
	s_and_saveexec_b32 s19, s1
	s_cbranch_execz .LBB261_2064
; %bb.2057:                             ;   in Loop: Header=BB261_1075 Depth=1
	v_lshrrev_b32_e32 v6, 24, v49
	v_bfrev_b32_e32 v48, 1
	s_mov_b32 s20, exec_lo
	s_delay_alu instid0(VALU_DEP_2)
	v_cmpx_ne_u32_e32 0x80, v6
	s_cbranch_execz .LBB261_2063
; %bb.2058:                             ;   in Loop: Header=BB261_1075 Depth=1
	v_and_b32_e32 v50, 0x7f, v6
	v_mov_b32_e32 v48, 0x7c010000
	s_mov_b32 s21, exec_lo
	s_delay_alu instid0(VALU_DEP_2)
	v_cmpx_ne_u32_e32 0x7f, v50
	s_cbranch_execz .LBB261_2062
; %bb.2059:                             ;   in Loop: Header=BB261_1075 Depth=1
	v_and_b32_e32 v48, 7, v6
	v_lshrrev_b32_e32 v49, 3, v50
	s_mov_b32 s22, exec_lo
	v_cmpx_gt_u32_e32 8, v50
; %bb.2060:                             ;   in Loop: Header=BB261_1075 Depth=1
	s_delay_alu instid0(VALU_DEP_3) | instskip(NEXT) | instid1(VALU_DEP_1)
	v_clz_i32_u32_e32 v48, v48
	v_min_u32_e32 v50, 32, v48
	s_delay_alu instid0(VALU_DEP_1) | instskip(NEXT) | instid1(VALU_DEP_1)
	v_subrev_nc_u32_e32 v48, 28, v50
	v_lshlrev_b64_e32 v[48:49], v48, v[6:7]
	s_delay_alu instid0(VALU_DEP_1)
	v_dual_sub_nc_u32 v49, 29, v50 :: v_dual_bitop2_b32 v48, 7, v48 bitop3:0x40
; %bb.2061:                             ;   in Loop: Header=BB261_1075 Depth=1
	s_or_b32 exec_lo, exec_lo, s22
	s_delay_alu instid0(VALU_DEP_1) | instskip(NEXT) | instid1(VALU_DEP_2)
	v_dual_lshlrev_b32 v6, 8, v6 :: v_dual_lshlrev_b32 v48, 23, v48
	v_lshl_add_u32 v49, v49, 10, 0x2000
	s_delay_alu instid0(VALU_DEP_1) | instskip(NEXT) | instid1(VALU_DEP_1)
	v_and_or_b32 v6, 0x8000, v6, v49
	v_lshl_or_b32 v48, v6, 16, v48
.LBB261_2062:                           ;   in Loop: Header=BB261_1075 Depth=1
	s_or_b32 exec_lo, exec_lo, s21
.LBB261_2063:                           ;   in Loop: Header=BB261_1075 Depth=1
	s_delay_alu instid0(SALU_CYCLE_1)
	s_or_b32 exec_lo, exec_lo, s20
.LBB261_2064:                           ;   in Loop: Header=BB261_1075 Depth=1
	s_delay_alu instid0(SALU_CYCLE_1) | instskip(SKIP_3) | instid1(VALU_DEP_3)
	s_or_b32 exec_lo, exec_lo, s19
	v_dual_lshrrev_b32 v6, 16, v1 :: v_dual_lshrrev_b32 v49, 16, v3
	v_dual_lshrrev_b32 v50, 16, v48 :: v_dual_bitop2_b32 v9, v3, v9 bitop3:0x54
	v_or_b32_e32 v1, v1, v2
	v_cvt_f32_f16_e32 v3, v6
	s_delay_alu instid0(VALU_DEP_4)
	v_cvt_f32_f16_e32 v2, v49
	v_dual_lshrrev_b32 v19, 16, v29 :: v_dual_bitop2_b32 v6, v48, v19 bitop3:0x54
	v_cvt_f32_f16_e32 v48, v9
	v_or_b32_e32 v9, v29, v18
	s_wait_loadcnt_dscnt 0x0
	v_pk_mul_f32 v[2:3], v[28:29], v[2:3] op_sel_hi:[0,1]
	v_cvt_f32_f16_e32 v49, v1
	v_cvt_f32_f16_e32 v19, v19
	;; [unrolled: 1-line block ×5, first 2 shown]
	v_pk_mul_f32 v[48:49], v[28:29], v[48:49] op_sel_hi:[0,1]
	v_cvt_pk_f16_f32 v1, v2, v3
	v_pk_mul_f32 v[2:3], v[28:29], v[18:19] op_sel_hi:[0,1]
	s_delay_alu instid0(VALU_DEP_4) | instskip(NEXT) | instid1(VALU_DEP_4)
	v_pk_mul_f32 v[18:19], v[28:29], v[50:51] op_sel_hi:[0,1]
	v_cvt_pk_f16_f32 v6, v48, v49
	s_delay_alu instid0(VALU_DEP_4) | instskip(NEXT) | instid1(VALU_DEP_4)
	v_and_b32_e32 v29, 0xffff0000, v1
	v_cvt_pk_f16_f32 v2, v2, v3
	v_lshlrev_b32_e32 v48, 16, v1
	v_cvt_pk_f16_f32 v1, v18, v19
	v_and_b32_e32 v54, 0xffff, v6
	s_delay_alu instid0(VALU_DEP_4) | instskip(NEXT) | instid1(VALU_DEP_3)
	v_and_b32_e32 v9, 0xffff0000, v2
	v_dual_lshrrev_b32 v19, 16, v1 :: v_dual_lshrrev_b32 v53, 16, v6
	v_and_b32_e32 v28, 0xffff, v1
	s_delay_alu instid0(VALU_DEP_4) | instskip(NEXT) | instid1(VALU_DEP_3)
	v_or_b32_e32 v52, v48, v54
	v_dual_lshlrev_b32 v6, 16, v2 :: v_dual_bitop2_b32 v49, v9, v19 bitop3:0x54
	s_delay_alu instid0(VALU_DEP_4) | instskip(NEXT) | instid1(VALU_DEP_2)
	v_or_b32_e32 v51, v29, v53
	v_or_b32_e32 v50, v6, v28
	s_and_saveexec_b32 s19, vcc_lo
	s_cbranch_execz .LBB261_2066
; %bb.2065:                             ;   in Loop: Header=BB261_1075 Depth=1
	v_cmp_lt_i32_e64 s1, v87, v13
	s_delay_alu instid0(VALU_DEP_1) | instskip(SKIP_1) | instid1(VALU_DEP_1)
	v_cndmask_b32_e64 v1, 0, v53, s1
	v_cmp_lt_i32_e64 s1, v102, v12
	v_cndmask_b32_e64 v2, 0, v54, s1
	v_cmp_lt_i32_e64 s1, v101, v13
	s_delay_alu instid0(VALU_DEP_1) | instskip(SKIP_1) | instid1(VALU_DEP_1)
	v_cndmask_b32_e64 v3, 0, v29, s1
	v_cmp_lt_i32_e64 s1, v100, v12
	v_cndmask_b32_e64 v18, 0, v48, s1
	v_cmp_lt_i32_e64 s1, v99, v13
	s_delay_alu instid0(VALU_DEP_4) | instskip(NEXT) | instid1(VALU_DEP_2)
	v_or_b32_e32 v51, v1, v3
	v_dual_cndmask_b32 v19, 0, v19, s1 :: v_dual_bitop2_b32 v52, v2, v18 bitop3:0x54
	v_cmp_lt_i32_e64 s1, v98, v12
	s_delay_alu instid0(VALU_DEP_1) | instskip(SKIP_1) | instid1(VALU_DEP_1)
	v_cndmask_b32_e64 v28, 0, v28, s1
	v_cmp_lt_i32_e64 s1, v97, v13
	v_cndmask_b32_e64 v9, 0, v9, s1
	v_cmp_lt_i32_e64 s1, v96, v12
	s_delay_alu instid0(VALU_DEP_1) | instskip(NEXT) | instid1(VALU_DEP_1)
	v_dual_cndmask_b32 v6, 0, v6, s1 :: v_dual_bitop2_b32 v49, v19, v9 bitop3:0x54
	v_or_b32_e32 v50, v28, v6
.LBB261_2066:                           ;   in Loop: Header=BB261_1075 Depth=1
	s_or_b32 exec_lo, exec_lo, s19
	;;#ASMSTART
	v_pk_mul_f16 v1, v67, v51;

	;;#ASMEND
	;;#ASMSTART
	v_pk_mul_f16 v2, v65, v52;

	;;#ASMEND
	;; [unrolled: 4-line block ×4, first 2 shown]
	;;#ASMSTART
	v_pk_add_f16 v1, v1, v2;

	;;#ASMEND
	;;#ASMSTART
	v_pk_add_f16 v1, v1, v3;

	;;#ASMEND
	;; [unrolled: 4-line block ×3, first 2 shown]
	v_and_b32_e32 v2, 0xffff, v1
	v_lshrrev_b32_e32 v1, 16, v1
	;;#ASMSTART
	v_cvt_f32_f16 v53, v2;
	;;#ASMEND
	;;#ASMSTART
	v_cvt_f32_f16 v54, v1;
	;;#ASMEND
	flat_load_b64 v[28:29], v[26:27] offset:3840
	scratch_load_b64 v[2:3], off, s32 offset:192 ; 8-byte Folded Reload
	v_mov_b32_e32 v1, 0
	s_mov_b32 s19, exec_lo
	s_wait_loadcnt 0x0
	flat_load_b32 v26, v[2:3]
	s_wait_dscnt 0x1
	s_wait_xcnt 0x0
	v_and_b32_e32 v3, 0xff, v28
	v_mov_b32_e32 v2, 0
	s_delay_alu instid0(VALU_DEP_2)
	v_cmpx_ne_u16_e32 0, v3
	s_cbranch_execz .LBB261_2074
; %bb.2067:                             ;   in Loop: Header=BB261_1075 Depth=1
	v_mov_b32_e32 v2, 0x8000
	s_mov_b32 s20, exec_lo
	v_cmpx_ne_u16_e32 0x80, v3
	s_cbranch_execz .LBB261_2073
; %bb.2068:                             ;   in Loop: Header=BB261_1075 Depth=1
	v_and_b32_e32 v6, 0x7f, v28
	v_mov_b32_e32 v2, 0x7c01
	s_mov_b32 s21, exec_lo
	s_delay_alu instid0(VALU_DEP_2)
	v_cmpx_ne_u32_e32 0x7f, v6
	s_cbranch_execz .LBB261_2072
; %bb.2069:                             ;   in Loop: Header=BB261_1075 Depth=1
	v_dual_lshrrev_b32 v3, 3, v6 :: v_dual_bitop2_b32 v2, 7, v28 bitop3:0x40
	s_mov_b32 s22, exec_lo
	v_cmpx_gt_u32_e32 8, v6
; %bb.2070:                             ;   in Loop: Header=BB261_1075 Depth=1
	s_delay_alu instid0(VALU_DEP_2) | instskip(NEXT) | instid1(VALU_DEP_1)
	v_clz_i32_u32_e32 v2, v2
	v_min_u32_e32 v6, 32, v2
	s_delay_alu instid0(VALU_DEP_1) | instskip(NEXT) | instid1(VALU_DEP_1)
	v_subrev_nc_u32_e32 v2, 28, v6
	v_lshlrev_b64_e32 v[2:3], v2, v[28:29]
	v_sub_nc_u32_e32 v3, 29, v6
	s_delay_alu instid0(VALU_DEP_2)
	v_and_b32_e32 v2, 7, v2
; %bb.2071:                             ;   in Loop: Header=BB261_1075 Depth=1
	s_or_b32 exec_lo, exec_lo, s22
	s_delay_alu instid0(VALU_DEP_1) | instskip(NEXT) | instid1(VALU_DEP_3)
	v_dual_lshlrev_b32 v6, 8, v28 :: v_dual_lshlrev_b32 v2, 7, v2
	v_lshl_add_u32 v3, v3, 10, 0x2000
	s_delay_alu instid0(VALU_DEP_2) | instskip(NEXT) | instid1(VALU_DEP_2)
	v_and_b32_e32 v6, 0x8000, v6
	v_and_b32_e32 v3, 0xfc00, v3
	s_delay_alu instid0(VALU_DEP_1)
	v_or3_b32 v2, v6, v3, v2
.LBB261_2072:                           ;   in Loop: Header=BB261_1075 Depth=1
	s_or_b32 exec_lo, exec_lo, s21
.LBB261_2073:                           ;   in Loop: Header=BB261_1075 Depth=1
	s_delay_alu instid0(SALU_CYCLE_1)
	s_or_b32 exec_lo, exec_lo, s20
.LBB261_2074:                           ;   in Loop: Header=BB261_1075 Depth=1
	s_delay_alu instid0(SALU_CYCLE_1) | instskip(SKIP_2) | instid1(VALU_DEP_1)
	s_or_b32 exec_lo, exec_lo, s19
	v_lshrrev_b16 v6, 8, v28
	s_mov_b32 s19, exec_lo
	v_cmpx_ne_u16_e32 0, v6
	s_cbranch_execz .LBB261_2082
; %bb.2075:                             ;   in Loop: Header=BB261_1075 Depth=1
	v_bfrev_b32_e32 v1, 1
	s_mov_b32 s20, exec_lo
	v_cmpx_ne_u16_e32 0x80, v6
	s_cbranch_execz .LBB261_2081
; %bb.2076:                             ;   in Loop: Header=BB261_1075 Depth=1
	v_and_b32_e32 v3, 0xffff, v6
	v_mov_b32_e32 v1, 0x7c010000
	s_mov_b32 s21, exec_lo
	s_delay_alu instid0(VALU_DEP_2) | instskip(NEXT) | instid1(VALU_DEP_1)
	v_and_b32_e32 v18, 0x7f, v3
	v_cmpx_ne_u32_e32 0x7f, v18
	s_cbranch_execz .LBB261_2080
; %bb.2077:                             ;   in Loop: Header=BB261_1075 Depth=1
	v_dual_lshrrev_b32 v9, 3, v18 :: v_dual_bitop2_b32 v1, 7, v3 bitop3:0x40
	s_mov_b32 s22, exec_lo
	v_cmpx_gt_u32_e32 8, v18
; %bb.2078:                             ;   in Loop: Header=BB261_1075 Depth=1
	s_delay_alu instid0(VALU_DEP_2) | instskip(NEXT) | instid1(VALU_DEP_1)
	v_clz_i32_u32_e32 v1, v1
	v_min_u32_e32 v1, 32, v1
	s_delay_alu instid0(VALU_DEP_1) | instskip(NEXT) | instid1(VALU_DEP_1)
	v_subrev_nc_u32_e32 v9, 28, v1
	v_lshlrev_b64_e32 v[18:19], v9, v[6:7]
	s_delay_alu instid0(VALU_DEP_1)
	v_dual_sub_nc_u32 v9, 29, v1 :: v_dual_bitop2_b32 v1, 7, v18 bitop3:0x40
; %bb.2079:                             ;   in Loop: Header=BB261_1075 Depth=1
	s_or_b32 exec_lo, exec_lo, s22
	s_delay_alu instid0(VALU_DEP_1) | instskip(NEXT) | instid1(VALU_DEP_2)
	v_dual_lshlrev_b32 v3, 8, v3 :: v_dual_lshlrev_b32 v1, 23, v1
	v_lshl_add_u32 v6, v9, 10, 0x2000
	s_delay_alu instid0(VALU_DEP_1) | instskip(NEXT) | instid1(VALU_DEP_1)
	v_and_or_b32 v3, 0x8000, v3, v6
	v_lshl_or_b32 v1, v3, 16, v1
.LBB261_2080:                           ;   in Loop: Header=BB261_1075 Depth=1
	s_or_b32 exec_lo, exec_lo, s21
.LBB261_2081:                           ;   in Loop: Header=BB261_1075 Depth=1
	s_delay_alu instid0(SALU_CYCLE_1)
	s_or_b32 exec_lo, exec_lo, s20
.LBB261_2082:                           ;   in Loop: Header=BB261_1075 Depth=1
	s_delay_alu instid0(SALU_CYCLE_1) | instskip(SKIP_3) | instid1(VALU_DEP_2)
	s_or_b32 exec_lo, exec_lo, s19
	v_dual_mov_b32 v3, 0 :: v_dual_lshrrev_b32 v6, 16, v28
	v_mov_b32_e32 v9, 0
	s_mov_b32 s19, exec_lo
	v_and_b32_e32 v18, 0xff, v6
	s_delay_alu instid0(VALU_DEP_1)
	v_cmpx_ne_u16_e32 0, v18
	s_cbranch_execz .LBB261_2090
; %bb.2083:                             ;   in Loop: Header=BB261_1075 Depth=1
	v_mov_b32_e32 v9, 0x8000
	s_mov_b32 s20, exec_lo
	v_cmpx_ne_u16_e32 0x80, v18
	s_cbranch_execz .LBB261_2089
; %bb.2084:                             ;   in Loop: Header=BB261_1075 Depth=1
	v_bfe_u32 v19, v28, 16, 7
	v_mov_b32_e32 v9, 0x7c01
	s_mov_b32 s21, exec_lo
	s_delay_alu instid0(VALU_DEP_2)
	v_cmpx_ne_u32_e32 0x7f, v19
	s_cbranch_execz .LBB261_2088
; %bb.2085:                             ;   in Loop: Header=BB261_1075 Depth=1
	v_dual_lshrrev_b32 v18, 3, v19 :: v_dual_bitop2_b32 v9, 7, v6 bitop3:0x40
	s_mov_b32 s22, exec_lo
	v_cmpx_gt_u32_e32 8, v19
; %bb.2086:                             ;   in Loop: Header=BB261_1075 Depth=1
	s_delay_alu instid0(VALU_DEP_2) | instskip(NEXT) | instid1(VALU_DEP_1)
	v_clz_i32_u32_e32 v9, v9
	v_min_u32_e32 v9, 32, v9
	s_delay_alu instid0(VALU_DEP_1) | instskip(NEXT) | instid1(VALU_DEP_1)
	v_subrev_nc_u32_e32 v18, 28, v9
	v_lshlrev_b64_e32 v[48:49], v18, v[6:7]
	s_delay_alu instid0(VALU_DEP_1)
	v_dual_sub_nc_u32 v18, 29, v9 :: v_dual_bitop2_b32 v9, 7, v48 bitop3:0x40
; %bb.2087:                             ;   in Loop: Header=BB261_1075 Depth=1
	s_or_b32 exec_lo, exec_lo, s22
	s_delay_alu instid0(VALU_DEP_1) | instskip(NEXT) | instid1(VALU_DEP_2)
	v_dual_lshlrev_b32 v6, 8, v6 :: v_dual_lshlrev_b32 v9, 7, v9
	v_lshl_add_u32 v18, v18, 10, 0x2000
	s_delay_alu instid0(VALU_DEP_2) | instskip(NEXT) | instid1(VALU_DEP_2)
	v_and_b32_e32 v6, 0x8000, v6
	v_and_b32_e32 v18, 0xfc00, v18
	s_delay_alu instid0(VALU_DEP_1)
	v_or3_b32 v9, v6, v18, v9
.LBB261_2088:                           ;   in Loop: Header=BB261_1075 Depth=1
	s_or_b32 exec_lo, exec_lo, s21
.LBB261_2089:                           ;   in Loop: Header=BB261_1075 Depth=1
	s_delay_alu instid0(SALU_CYCLE_1)
	s_or_b32 exec_lo, exec_lo, s20
.LBB261_2090:                           ;   in Loop: Header=BB261_1075 Depth=1
	s_delay_alu instid0(SALU_CYCLE_1) | instskip(NEXT) | instid1(SALU_CYCLE_1)
	s_or_b32 exec_lo, exec_lo, s19
	s_mov_b32 s19, exec_lo
	v_cmpx_lt_u32_e32 0xffffff, v28
	s_cbranch_execz .LBB261_2098
; %bb.2091:                             ;   in Loop: Header=BB261_1075 Depth=1
	v_lshrrev_b32_e32 v6, 24, v28
	v_bfrev_b32_e32 v3, 1
	s_mov_b32 s20, exec_lo
	s_delay_alu instid0(VALU_DEP_2)
	v_cmpx_ne_u32_e32 0x80, v6
	s_cbranch_execz .LBB261_2097
; %bb.2092:                             ;   in Loop: Header=BB261_1075 Depth=1
	v_and_b32_e32 v19, 0x7f, v6
	v_mov_b32_e32 v3, 0x7c010000
	s_mov_b32 s21, exec_lo
	s_delay_alu instid0(VALU_DEP_2)
	v_cmpx_ne_u32_e32 0x7f, v19
	s_cbranch_execz .LBB261_2096
; %bb.2093:                             ;   in Loop: Header=BB261_1075 Depth=1
	v_dual_lshrrev_b32 v18, 3, v19 :: v_dual_bitop2_b32 v3, 7, v6 bitop3:0x40
	s_mov_b32 s22, exec_lo
	v_cmpx_gt_u32_e32 8, v19
; %bb.2094:                             ;   in Loop: Header=BB261_1075 Depth=1
	s_delay_alu instid0(VALU_DEP_2) | instskip(NEXT) | instid1(VALU_DEP_1)
	v_clz_i32_u32_e32 v3, v3
	v_min_u32_e32 v3, 32, v3
	s_delay_alu instid0(VALU_DEP_1) | instskip(NEXT) | instid1(VALU_DEP_1)
	v_subrev_nc_u32_e32 v18, 28, v3
	v_lshlrev_b64_e32 v[48:49], v18, v[6:7]
	s_delay_alu instid0(VALU_DEP_1)
	v_dual_sub_nc_u32 v18, 29, v3 :: v_dual_bitop2_b32 v3, 7, v48 bitop3:0x40
; %bb.2095:                             ;   in Loop: Header=BB261_1075 Depth=1
	s_or_b32 exec_lo, exec_lo, s22
	s_delay_alu instid0(VALU_DEP_1) | instskip(NEXT) | instid1(VALU_DEP_2)
	v_dual_lshlrev_b32 v6, 8, v6 :: v_dual_lshlrev_b32 v3, 23, v3
	v_lshl_add_u32 v18, v18, 10, 0x2000
	s_delay_alu instid0(VALU_DEP_1) | instskip(NEXT) | instid1(VALU_DEP_1)
	v_and_or_b32 v6, 0x8000, v6, v18
	v_lshl_or_b32 v3, v6, 16, v3
.LBB261_2096:                           ;   in Loop: Header=BB261_1075 Depth=1
	s_or_b32 exec_lo, exec_lo, s21
.LBB261_2097:                           ;   in Loop: Header=BB261_1075 Depth=1
	s_delay_alu instid0(SALU_CYCLE_1)
	s_or_b32 exec_lo, exec_lo, s20
.LBB261_2098:                           ;   in Loop: Header=BB261_1075 Depth=1
	s_delay_alu instid0(SALU_CYCLE_1) | instskip(SKIP_4) | instid1(VALU_DEP_3)
	s_or_b32 exec_lo, exec_lo, s19
	v_and_b32_e32 v27, 0xff, v29
	v_dual_mov_b32 v6, v29 :: v_dual_mov_b32 v19, 0
	v_mov_b32_e32 v18, 0
	s_mov_b32 s19, exec_lo
	v_cmpx_ne_u16_e32 0, v27
	s_cbranch_execz .LBB261_2106
; %bb.2099:                             ;   in Loop: Header=BB261_1075 Depth=1
	v_mov_b32_e32 v18, 0x8000
	s_mov_b32 s20, exec_lo
	v_cmpx_ne_u16_e32 0x80, v27
	s_cbranch_execz .LBB261_2105
; %bb.2100:                             ;   in Loop: Header=BB261_1075 Depth=1
	v_and_b32_e32 v48, 0x7f, v29
	v_mov_b32_e32 v18, 0x7c01
	s_mov_b32 s21, exec_lo
	s_delay_alu instid0(VALU_DEP_2)
	v_cmpx_ne_u32_e32 0x7f, v48
	s_cbranch_execz .LBB261_2104
; %bb.2101:                             ;   in Loop: Header=BB261_1075 Depth=1
	v_dual_lshrrev_b32 v27, 3, v48 :: v_dual_bitop2_b32 v18, 7, v29 bitop3:0x40
	s_mov_b32 s22, exec_lo
	v_cmpx_gt_u32_e32 8, v48
; %bb.2102:                             ;   in Loop: Header=BB261_1075 Depth=1
	s_delay_alu instid0(VALU_DEP_2) | instskip(NEXT) | instid1(VALU_DEP_1)
	v_clz_i32_u32_e32 v18, v18
	v_min_u32_e32 v18, 32, v18
	s_delay_alu instid0(VALU_DEP_1) | instskip(NEXT) | instid1(VALU_DEP_1)
	v_subrev_nc_u32_e32 v27, 28, v18
	v_lshlrev_b64_e32 v[48:49], v27, v[6:7]
	s_delay_alu instid0(VALU_DEP_1)
	v_dual_sub_nc_u32 v27, 29, v18 :: v_dual_bitop2_b32 v18, 7, v48 bitop3:0x40
; %bb.2103:                             ;   in Loop: Header=BB261_1075 Depth=1
	s_or_b32 exec_lo, exec_lo, s22
	s_delay_alu instid0(VALU_DEP_1) | instskip(NEXT) | instid1(VALU_DEP_2)
	v_dual_lshlrev_b32 v48, 8, v29 :: v_dual_lshlrev_b32 v18, 7, v18
	v_lshl_add_u32 v27, v27, 10, 0x2000
	s_delay_alu instid0(VALU_DEP_2) | instskip(NEXT) | instid1(VALU_DEP_2)
	v_and_b32_e32 v48, 0x8000, v48
	v_and_b32_e32 v27, 0xfc00, v27
	s_delay_alu instid0(VALU_DEP_1)
	v_or3_b32 v18, v48, v27, v18
.LBB261_2104:                           ;   in Loop: Header=BB261_1075 Depth=1
	s_or_b32 exec_lo, exec_lo, s21
.LBB261_2105:                           ;   in Loop: Header=BB261_1075 Depth=1
	s_delay_alu instid0(SALU_CYCLE_1)
	s_or_b32 exec_lo, exec_lo, s20
.LBB261_2106:                           ;   in Loop: Header=BB261_1075 Depth=1
	s_delay_alu instid0(SALU_CYCLE_1) | instskip(SKIP_3) | instid1(VALU_DEP_2)
	s_or_b32 exec_lo, exec_lo, s19
	v_lshrrev_b16 v6, 8, v6
	v_mov_b32_e32 v27, 0
	s_mov_b32 s19, exec_lo
	v_cmpx_ne_u16_e32 0, v6
	s_cbranch_execz .LBB261_2114
; %bb.2107:                             ;   in Loop: Header=BB261_1075 Depth=1
	v_bfrev_b32_e32 v27, 1
	s_mov_b32 s20, exec_lo
	v_cmpx_ne_u16_e32 0x80, v6
	s_cbranch_execz .LBB261_2113
; %bb.2108:                             ;   in Loop: Header=BB261_1075 Depth=1
	v_and_b32_e32 v48, 0xffff, v6
	v_mov_b32_e32 v27, 0x7c010000
	s_mov_b32 s21, exec_lo
	s_delay_alu instid0(VALU_DEP_2) | instskip(NEXT) | instid1(VALU_DEP_1)
	v_and_b32_e32 v50, 0x7f, v48
	v_cmpx_ne_u32_e32 0x7f, v50
	s_cbranch_execz .LBB261_2112
; %bb.2109:                             ;   in Loop: Header=BB261_1075 Depth=1
	v_dual_lshrrev_b32 v49, 3, v50 :: v_dual_bitop2_b32 v27, 7, v48 bitop3:0x40
	s_mov_b32 s22, exec_lo
	v_cmpx_gt_u32_e32 8, v50
; %bb.2110:                             ;   in Loop: Header=BB261_1075 Depth=1
	s_delay_alu instid0(VALU_DEP_2) | instskip(NEXT) | instid1(VALU_DEP_1)
	v_clz_i32_u32_e32 v27, v27
	v_min_u32_e32 v27, 32, v27
	s_delay_alu instid0(VALU_DEP_1) | instskip(NEXT) | instid1(VALU_DEP_1)
	v_subrev_nc_u32_e32 v49, 28, v27
	v_lshlrev_b64_e32 v[50:51], v49, v[6:7]
	s_delay_alu instid0(VALU_DEP_1)
	v_dual_sub_nc_u32 v49, 29, v27 :: v_dual_bitop2_b32 v27, 7, v50 bitop3:0x40
; %bb.2111:                             ;   in Loop: Header=BB261_1075 Depth=1
	s_or_b32 exec_lo, exec_lo, s22
	s_delay_alu instid0(VALU_DEP_1) | instskip(NEXT) | instid1(VALU_DEP_2)
	v_dual_lshlrev_b32 v6, 8, v48 :: v_dual_lshlrev_b32 v27, 23, v27
	v_lshl_add_u32 v48, v49, 10, 0x2000
	s_delay_alu instid0(VALU_DEP_1) | instskip(NEXT) | instid1(VALU_DEP_1)
	v_and_or_b32 v6, 0x8000, v6, v48
	v_lshl_or_b32 v27, v6, 16, v27
.LBB261_2112:                           ;   in Loop: Header=BB261_1075 Depth=1
	s_or_b32 exec_lo, exec_lo, s21
.LBB261_2113:                           ;   in Loop: Header=BB261_1075 Depth=1
	s_delay_alu instid0(SALU_CYCLE_1)
	s_or_b32 exec_lo, exec_lo, s20
.LBB261_2114:                           ;   in Loop: Header=BB261_1075 Depth=1
	s_delay_alu instid0(SALU_CYCLE_1) | instskip(SKIP_2) | instid1(VALU_DEP_1)
	s_or_b32 exec_lo, exec_lo, s19
	v_lshrrev_b32_e32 v6, 16, v29
	s_mov_b32 s19, exec_lo
	v_and_b32_e32 v48, 0xff, v6
	s_delay_alu instid0(VALU_DEP_1)
	v_cmpx_ne_u16_e32 0, v48
	s_cbranch_execz .LBB261_2122
; %bb.2115:                             ;   in Loop: Header=BB261_1075 Depth=1
	v_mov_b32_e32 v19, 0x8000
	s_mov_b32 s20, exec_lo
	v_cmpx_ne_u16_e32 0x80, v48
	s_cbranch_execz .LBB261_2121
; %bb.2116:                             ;   in Loop: Header=BB261_1075 Depth=1
	v_bfe_u32 v49, v29, 16, 7
	v_mov_b32_e32 v19, 0x7c01
	s_mov_b32 s21, exec_lo
	s_delay_alu instid0(VALU_DEP_2)
	v_cmpx_ne_u32_e32 0x7f, v49
	s_cbranch_execz .LBB261_2120
; %bb.2117:                             ;   in Loop: Header=BB261_1075 Depth=1
	v_dual_lshrrev_b32 v48, 3, v49 :: v_dual_bitop2_b32 v19, 7, v6 bitop3:0x40
	s_mov_b32 s22, exec_lo
	v_cmpx_gt_u32_e32 8, v49
; %bb.2118:                             ;   in Loop: Header=BB261_1075 Depth=1
	s_delay_alu instid0(VALU_DEP_2) | instskip(NEXT) | instid1(VALU_DEP_1)
	v_clz_i32_u32_e32 v19, v19
	v_min_u32_e32 v19, 32, v19
	s_delay_alu instid0(VALU_DEP_1) | instskip(NEXT) | instid1(VALU_DEP_1)
	v_subrev_nc_u32_e32 v48, 28, v19
	v_lshlrev_b64_e32 v[50:51], v48, v[6:7]
	s_delay_alu instid0(VALU_DEP_1)
	v_dual_sub_nc_u32 v48, 29, v19 :: v_dual_bitop2_b32 v19, 7, v50 bitop3:0x40
; %bb.2119:                             ;   in Loop: Header=BB261_1075 Depth=1
	s_or_b32 exec_lo, exec_lo, s22
	s_delay_alu instid0(VALU_DEP_1) | instskip(NEXT) | instid1(VALU_DEP_2)
	v_dual_lshlrev_b32 v6, 8, v6 :: v_dual_lshlrev_b32 v19, 7, v19
	v_lshl_add_u32 v48, v48, 10, 0x2000
	s_delay_alu instid0(VALU_DEP_2) | instskip(NEXT) | instid1(VALU_DEP_2)
	v_and_b32_e32 v6, 0x8000, v6
	v_and_b32_e32 v48, 0xfc00, v48
	s_delay_alu instid0(VALU_DEP_1)
	v_or3_b32 v19, v6, v48, v19
.LBB261_2120:                           ;   in Loop: Header=BB261_1075 Depth=1
	s_or_b32 exec_lo, exec_lo, s21
.LBB261_2121:                           ;   in Loop: Header=BB261_1075 Depth=1
	s_delay_alu instid0(SALU_CYCLE_1)
	s_or_b32 exec_lo, exec_lo, s20
.LBB261_2122:                           ;   in Loop: Header=BB261_1075 Depth=1
	s_delay_alu instid0(SALU_CYCLE_1)
	s_or_b32 exec_lo, exec_lo, s19
	v_cmp_lt_u64_e64 s1, s[2:3], v[28:29]
	v_mov_b32_e32 v28, 0
	s_and_saveexec_b32 s19, s1
	s_cbranch_execz .LBB261_2130
; %bb.2123:                             ;   in Loop: Header=BB261_1075 Depth=1
	v_lshrrev_b32_e32 v6, 24, v29
	v_bfrev_b32_e32 v28, 1
	s_mov_b32 s20, exec_lo
	s_delay_alu instid0(VALU_DEP_2)
	v_cmpx_ne_u32_e32 0x80, v6
	s_cbranch_execz .LBB261_2129
; %bb.2124:                             ;   in Loop: Header=BB261_1075 Depth=1
	v_and_b32_e32 v48, 0x7f, v6
	v_mov_b32_e32 v28, 0x7c010000
	s_mov_b32 s21, exec_lo
	s_delay_alu instid0(VALU_DEP_2)
	v_cmpx_ne_u32_e32 0x7f, v48
	s_cbranch_execz .LBB261_2128
; %bb.2125:                             ;   in Loop: Header=BB261_1075 Depth=1
	v_dual_lshrrev_b32 v29, 3, v48 :: v_dual_bitop2_b32 v28, 7, v6 bitop3:0x40
	s_mov_b32 s22, exec_lo
	v_cmpx_gt_u32_e32 8, v48
; %bb.2126:                             ;   in Loop: Header=BB261_1075 Depth=1
	s_delay_alu instid0(VALU_DEP_2) | instskip(NEXT) | instid1(VALU_DEP_1)
	v_clz_i32_u32_e32 v28, v28
	v_min_u32_e32 v48, 32, v28
	s_delay_alu instid0(VALU_DEP_1) | instskip(NEXT) | instid1(VALU_DEP_1)
	v_subrev_nc_u32_e32 v28, 28, v48
	v_lshlrev_b64_e32 v[28:29], v28, v[6:7]
	v_sub_nc_u32_e32 v29, 29, v48
	s_delay_alu instid0(VALU_DEP_2)
	v_and_b32_e32 v28, 7, v28
; %bb.2127:                             ;   in Loop: Header=BB261_1075 Depth=1
	s_or_b32 exec_lo, exec_lo, s22
	s_delay_alu instid0(VALU_DEP_1) | instskip(NEXT) | instid1(VALU_DEP_3)
	v_dual_lshlrev_b32 v6, 8, v6 :: v_dual_lshlrev_b32 v28, 23, v28
	v_lshl_add_u32 v29, v29, 10, 0x2000
	s_delay_alu instid0(VALU_DEP_1) | instskip(NEXT) | instid1(VALU_DEP_1)
	v_and_or_b32 v6, 0x8000, v6, v29
	v_lshl_or_b32 v28, v6, 16, v28
.LBB261_2128:                           ;   in Loop: Header=BB261_1075 Depth=1
	s_or_b32 exec_lo, exec_lo, s21
.LBB261_2129:                           ;   in Loop: Header=BB261_1075 Depth=1
	s_delay_alu instid0(SALU_CYCLE_1)
	s_or_b32 exec_lo, exec_lo, s20
.LBB261_2130:                           ;   in Loop: Header=BB261_1075 Depth=1
	s_delay_alu instid0(SALU_CYCLE_1) | instskip(SKIP_3) | instid1(VALU_DEP_3)
	s_or_b32 exec_lo, exec_lo, s19
	v_dual_lshrrev_b32 v6, 16, v1 :: v_dual_lshrrev_b32 v29, 16, v3
	v_or_b32_e32 v1, v1, v2
	v_dual_lshrrev_b32 v48, 16, v28 :: v_dual_bitop2_b32 v9, v3, v9 bitop3:0x54
	v_cvt_f32_f16_e32 v3, v6
	s_delay_alu instid0(VALU_DEP_4)
	v_cvt_f32_f16_e32 v2, v29
	v_or_b32_e32 v6, v28, v19
	v_lshrrev_b32_e32 v19, 16, v27
	v_cvt_f32_f16_e32 v28, v9
	v_or_b32_e32 v9, v27, v18
	s_wait_loadcnt_dscnt 0x0
	v_pk_mul_f32 v[2:3], v[26:27], v[2:3] op_sel_hi:[0,1]
	v_cvt_f32_f16_e32 v29, v1
	v_cvt_f32_f16_e32 v19, v19
	;; [unrolled: 1-line block ×4, first 2 shown]
	v_cvt_pk_f16_f32 v1, v2, v3
	v_pk_mul_f32 v[28:29], v[26:27], v[28:29] op_sel_hi:[0,1]
	s_delay_alu instid0(VALU_DEP_4) | instskip(NEXT) | instid1(VALU_DEP_3)
	v_pk_mul_f32 v[2:3], v[26:27], v[18:19] op_sel_hi:[0,1]
	v_lshlrev_b32_e32 v50, 16, v1
	v_cvt_f32_f16_e32 v48, v6
	s_delay_alu instid0(VALU_DEP_4) | instskip(NEXT) | instid1(VALU_DEP_4)
	v_cvt_pk_f16_f32 v6, v28, v29
	v_cvt_pk_f16_f32 v2, v2, v3
	s_delay_alu instid0(VALU_DEP_3) | instskip(SKIP_1) | instid1(VALU_DEP_4)
	v_pk_mul_f32 v[18:19], v[26:27], v[48:49] op_sel_hi:[0,1]
	v_and_b32_e32 v49, 0xffff0000, v1
	v_and_b32_e32 v52, 0xffff, v6
	v_lshrrev_b32_e32 v51, 16, v6
	v_and_b32_e32 v27, 0xffff0000, v2
	v_cvt_pk_f16_f32 v1, v18, v19
	s_delay_alu instid0(VALU_DEP_4) | instskip(NEXT) | instid1(VALU_DEP_2)
	v_dual_lshlrev_b32 v28, 16, v2 :: v_dual_bitop2_b32 v26, v50, v52 bitop3:0x54
	v_dual_lshrrev_b32 v29, 16, v1 :: v_dual_bitop2_b32 v19, v49, v51 bitop3:0x54
	v_and_b32_e32 v48, 0xffff, v1
	s_delay_alu instid0(VALU_DEP_2) | instskip(NEXT) | instid1(VALU_DEP_2)
	v_or_b32_e32 v9, v27, v29
	v_or_b32_e32 v6, v28, v48
	s_and_saveexec_b32 s1, vcc_lo
	s_cbranch_execz .LBB261_1073
; %bb.2131:                             ;   in Loop: Header=BB261_1075 Depth=1
	v_cmp_lt_i32_e32 vcc_lo, v87, v13
	v_cndmask_b32_e32 v1, 0, v51, vcc_lo
	v_cmp_lt_i32_e32 vcc_lo, v102, v12
	v_cndmask_b32_e32 v2, 0, v52, vcc_lo
	;; [unrolled: 2-line block ×4, first 2 shown]
	v_cmp_lt_i32_e32 vcc_lo, v99, v13
	s_delay_alu instid0(VALU_DEP_4) | instskip(NEXT) | instid1(VALU_DEP_3)
	v_or_b32_e32 v19, v1, v3
	v_dual_cndmask_b32 v9, 0, v29, vcc_lo :: v_dual_bitop2_b32 v26, v2, v6 bitop3:0x54
	v_cmp_lt_i32_e32 vcc_lo, v98, v12
	v_cndmask_b32_e32 v18, 0, v48, vcc_lo
	v_cmp_lt_i32_e32 vcc_lo, v97, v13
	v_cndmask_b32_e32 v27, 0, v27, vcc_lo
	v_cmp_lt_i32_e32 vcc_lo, v96, v12
	s_delay_alu instid0(VALU_DEP_2) | instskip(NEXT) | instid1(VALU_DEP_1)
	v_dual_cndmask_b32 v28, 0, v28, vcc_lo :: v_dual_bitop2_b32 v9, v9, v27 bitop3:0x54
	v_or_b32_e32 v6, v18, v28
	s_branch .LBB261_1073
.LBB261_2132:
	s_or_b32 exec_lo, exec_lo, s13
	v_mov_b64_e32 v[48:49], s[10:11]
.LBB261_2133:
	s_or_b32 exec_lo, exec_lo, s12
	s_delay_alu instid0(VALU_DEP_1)
	v_lshl_add_u64 v[2:3], v[48:49], 2, s[8:9]
	s_wait_storecnt 0x0
	s_barrier_signal -1
	s_barrier_wait -1
	global_load_b32 v22, v[2:3], off
	s_wait_xcnt 0x0
	ds_bpermute_b32 v2, v0, v36
	ds_bpermute_b32 v3, v0, v37
	;; [unrolled: 1-line block ×16, first 2 shown]
	scratch_load_b32 v0, off, s32 offset:424 ; 4-byte Folded Reload
	s_mov_b32 s1, exec_lo
	s_wait_dscnt 0xe
	v_pk_add_f32 v[16:17], v[36:37], v[2:3]
	s_wait_dscnt 0xc
	v_pk_add_f32 v[14:15], v[38:39], v[6:7]
	;; [unrolled: 2-line block ×7, first 2 shown]
	s_wait_loadcnt 0x0
	v_and_b32_e32 v1, 0x3c1, v0
	v_lshrrev_b32_e32 v0, 1, v80
	s_delay_alu instid0(VALU_DEP_2) | instskip(SKIP_1) | instid1(SALU_CYCLE_1)
	v_cmpx_ne_u32_e32 64, v1
	s_xor_b32 s1, exec_lo, s1
	s_or_saveexec_b32 s1, s1
	s_wait_dscnt 0x0
	v_pk_add_f32 v[4:5], v[4:5], v[18:19]
	scratch_load_b32 v18, off, s32 offset:464 th:TH_LOAD_LU ; 4-byte Folded Reload
	v_lshl_add_u32 v1, v0, 2, v22
	s_wait_loadcnt 0x0
	v_lshlrev_b32_e32 v18, 10, v18
	s_xor_b32 exec_lo, exec_lo, s1
	s_cbranch_execz .LBB261_2135
; %bb.2134:
	s_delay_alu instid0(VALU_DEP_1) | instskip(NEXT) | instid1(VALU_DEP_1)
	v_add_nc_u32_e32 v19, v1, v18
	v_add_nc_u32_e32 v20, 0xfffff800, v19
	;; [unrolled: 1-line block ×9, first 2 shown]
	ds_store_b32 v20, v16
	ds_store_b32 v21, v17
	;; [unrolled: 1-line block ×8, first 2 shown]
	v_add_nc_u32_e32 v20, 0xfffffa00, v19
	v_add_nc_u32_e32 v21, 0xfffffa40, v19
	;; [unrolled: 1-line block ×8, first 2 shown]
	ds_store_b32 v20, v8
	ds_store_b32 v21, v9
	;; [unrolled: 1-line block ×8, first 2 shown]
.LBB261_2135:
	s_or_b32 exec_lo, exec_lo, s1
	scratch_load_b32 v19, off, s32 offset:468 th:TH_LOAD_LU ; 4-byte Folded Reload
	v_lshlrev_b32_e32 v0, 2, v0
	s_wait_loadcnt_dscnt 0x0
	s_barrier_signal -1
	s_barrier_wait -1
	s_delay_alu instid0(VALU_DEP_1)
	v_add3_u32 v0, v22, v18, v0
	v_cmp_eq_u32_e32 vcc_lo, 0, v19
	s_and_saveexec_b32 s1, s0
	s_cbranch_execz .LBB261_2154
; %bb.2136:
	s_and_saveexec_b32 s0, vcc_lo
	s_cbranch_execnz .LBB261_2178
; %bb.2137:
	s_or_b32 exec_lo, exec_lo, s0
	s_and_saveexec_b32 s0, vcc_lo
	s_cbranch_execnz .LBB261_2179
.LBB261_2138:
	s_or_b32 exec_lo, exec_lo, s0
	s_and_saveexec_b32 s0, vcc_lo
	s_cbranch_execnz .LBB261_2180
.LBB261_2139:
	s_or_b32 exec_lo, exec_lo, s0
	s_and_saveexec_b32 s0, vcc_lo
	s_cbranch_execnz .LBB261_2181
.LBB261_2140:
	s_or_b32 exec_lo, exec_lo, s0
	s_and_saveexec_b32 s0, vcc_lo
	s_cbranch_execnz .LBB261_2182
.LBB261_2141:
	s_or_b32 exec_lo, exec_lo, s0
	s_and_saveexec_b32 s0, vcc_lo
	s_cbranch_execnz .LBB261_2183
.LBB261_2142:
	s_or_b32 exec_lo, exec_lo, s0
	s_and_saveexec_b32 s0, vcc_lo
	s_cbranch_execnz .LBB261_2184
.LBB261_2143:
	s_or_b32 exec_lo, exec_lo, s0
	s_and_saveexec_b32 s0, vcc_lo
	s_cbranch_execnz .LBB261_2185
.LBB261_2144:
	s_or_b32 exec_lo, exec_lo, s0
	s_and_saveexec_b32 s0, vcc_lo
	s_cbranch_execnz .LBB261_2186
.LBB261_2145:
	s_or_b32 exec_lo, exec_lo, s0
	s_and_saveexec_b32 s0, vcc_lo
	s_cbranch_execnz .LBB261_2187
.LBB261_2146:
	s_or_b32 exec_lo, exec_lo, s0
	s_and_saveexec_b32 s0, vcc_lo
	s_cbranch_execnz .LBB261_2188
.LBB261_2147:
	s_or_b32 exec_lo, exec_lo, s0
	s_and_saveexec_b32 s0, vcc_lo
	s_cbranch_execnz .LBB261_2189
.LBB261_2148:
	s_or_b32 exec_lo, exec_lo, s0
	s_and_saveexec_b32 s0, vcc_lo
	s_cbranch_execnz .LBB261_2190
.LBB261_2149:
	s_or_b32 exec_lo, exec_lo, s0
	s_and_saveexec_b32 s0, vcc_lo
	s_cbranch_execnz .LBB261_2191
.LBB261_2150:
	s_or_b32 exec_lo, exec_lo, s0
	s_and_saveexec_b32 s0, vcc_lo
	s_cbranch_execnz .LBB261_2192
.LBB261_2151:
	s_or_b32 exec_lo, exec_lo, s0
	s_and_saveexec_b32 s0, vcc_lo
	s_cbranch_execz .LBB261_2153
.LBB261_2152:
	ds_load_b32 v18, v0 offset:960
	s_wait_dscnt 0x0
	v_add_f32_e32 v5, v18, v5
.LBB261_2153:
	s_or_b32 exec_lo, exec_lo, s0
.LBB261_2154:
	s_delay_alu instid0(SALU_CYCLE_1)
	s_or_b32 exec_lo, exec_lo, s1
	scratch_load_b32 v18, off, s32 offset:424 ; 4-byte Folded Reload
	s_mov_b32 s1, exec_lo
	s_wait_loadcnt 0x0
	s_barrier_signal -1
	s_barrier_wait -1
	v_and_b32_e32 v18, 0x3e1, v18
	s_wait_xcnt 0x0
	s_delay_alu instid0(VALU_DEP_1)
	v_cmpx_eq_u32_e32 32, v18
	s_cbranch_execz .LBB261_2156
; %bb.2155:
	ds_store_2addr_b32 v1, v16, v17 offset1:16
	ds_store_2addr_b32 v1, v14, v15 offset0:32 offset1:48
	ds_store_2addr_b32 v1, v12, v13 offset0:64 offset1:80
	;; [unrolled: 1-line block ×7, first 2 shown]
.LBB261_2156:
	s_or_b32 exec_lo, exec_lo, s1
	scratch_load_b32 v1, off, s32 offset:424 th:TH_LOAD_LU ; 4-byte Folded Reload
	s_mov_b32 s1, exec_lo
	s_wait_loadcnt_dscnt 0x0
	s_barrier_signal -1
	s_barrier_wait -1
	v_cmpx_gt_u32_e32 32, v1
	s_cbranch_execz .LBB261_2175
; %bb.2157:
	s_and_saveexec_b32 s0, vcc_lo
	s_cbranch_execnz .LBB261_2193
; %bb.2158:
	s_or_b32 exec_lo, exec_lo, s0
	s_and_saveexec_b32 s0, vcc_lo
	s_cbranch_execnz .LBB261_2194
.LBB261_2159:
	s_or_b32 exec_lo, exec_lo, s0
	s_and_saveexec_b32 s0, vcc_lo
	s_cbranch_execnz .LBB261_2195
.LBB261_2160:
	s_or_b32 exec_lo, exec_lo, s0
	s_and_saveexec_b32 s0, vcc_lo
	s_cbranch_execnz .LBB261_2196
.LBB261_2161:
	s_or_b32 exec_lo, exec_lo, s0
	s_and_saveexec_b32 s0, vcc_lo
	s_cbranch_execnz .LBB261_2197
.LBB261_2162:
	s_or_b32 exec_lo, exec_lo, s0
	s_and_saveexec_b32 s0, vcc_lo
	s_cbranch_execnz .LBB261_2198
.LBB261_2163:
	s_or_b32 exec_lo, exec_lo, s0
	s_and_saveexec_b32 s0, vcc_lo
	s_cbranch_execnz .LBB261_2199
.LBB261_2164:
	s_or_b32 exec_lo, exec_lo, s0
	s_and_saveexec_b32 s0, vcc_lo
	s_cbranch_execnz .LBB261_2200
.LBB261_2165:
	s_or_b32 exec_lo, exec_lo, s0
	s_and_saveexec_b32 s0, vcc_lo
	s_cbranch_execnz .LBB261_2201
.LBB261_2166:
	s_or_b32 exec_lo, exec_lo, s0
	s_and_saveexec_b32 s0, vcc_lo
	s_cbranch_execnz .LBB261_2202
.LBB261_2167:
	s_or_b32 exec_lo, exec_lo, s0
	s_and_saveexec_b32 s0, vcc_lo
	s_cbranch_execnz .LBB261_2203
.LBB261_2168:
	s_or_b32 exec_lo, exec_lo, s0
	s_and_saveexec_b32 s0, vcc_lo
	s_cbranch_execnz .LBB261_2204
.LBB261_2169:
	s_or_b32 exec_lo, exec_lo, s0
	s_and_saveexec_b32 s0, vcc_lo
	s_cbranch_execnz .LBB261_2205
.LBB261_2170:
	s_or_b32 exec_lo, exec_lo, s0
	s_and_saveexec_b32 s0, vcc_lo
	s_cbranch_execnz .LBB261_2206
.LBB261_2171:
	s_or_b32 exec_lo, exec_lo, s0
	s_and_saveexec_b32 s0, vcc_lo
	s_cbranch_execnz .LBB261_2207
.LBB261_2172:
	s_or_b32 exec_lo, exec_lo, s0
	s_and_saveexec_b32 s0, vcc_lo
	s_cbranch_execz .LBB261_2174
.LBB261_2173:
	ds_load_b32 v0, v0 offset:960
	s_wait_dscnt 0x0
	v_add_f32_e32 v5, v0, v5
.LBB261_2174:
	s_or_b32 exec_lo, exec_lo, s0
.LBB261_2175:
	s_delay_alu instid0(SALU_CYCLE_1)
	s_or_b32 exec_lo, exec_lo, s1
	s_mov_b32 s1, 0
	s_mov_b32 s2, exec_lo
	s_barrier_signal -1
	s_barrier_wait -1
	v_cmpx_eq_u32_e32 0, v18
	s_cbranch_execz .LBB261_2177
; %bb.2176:
	s_clause 0x1
	scratch_load_b64 v[0:1], off, s32 offset:508 th:TH_LOAD_LU
	scratch_load_b32 v18, off, s32 offset:480 th:TH_LOAD_LU
	s_and_b32 s0, 0xffff, s17
	;;#ASMSTART
	v_cvt_f16_f32 v16, v16;

	;;#ASMEND
	s_cmp_lg_u32 s0, 0
	v_mov_b32_e32 v19, 0
	s_cselect_b32 s0, -1, 0
	s_delay_alu instid0(SALU_CYCLE_1)
	s_cmp_lg_u32 s0, 0
	s_add_co_ci_u32 s0, s7, 0
	s_bfe_u32 s7, ttmp6, 0x40014
	s_mul_i32 s4, s15, s0
	s_lshr_b32 s3, ttmp7, 16
	s_mul_i32 s4, s4, s16
	s_add_co_i32 s7, s7, 1
	s_lshl_b32 s4, s4, 8
	s_bfe_u32 s8, ttmp6, 0x40008
	s_ashr_i32 s5, s4, 31
	s_mul_i32 s6, s6, s0
	s_mul_i32 s0, s3, s7
	s_ashr_i32 s7, s6, 31
	s_add_co_i32 s8, s8, s0
	s_cmp_eq_u32 s14, 0
	s_cselect_b32 s0, s3, s8
	s_delay_alu instid0(SALU_CYCLE_1) | instskip(SKIP_4) | instid1(VALU_DEP_2)
	s_lshl_b32 s0, s0, 9
	s_wait_loadcnt 0x1
	v_lshl_add_u64 v[0:1], s[4:5], 1, v[0:1]
	s_wait_loadcnt 0x0
	v_lshlrev_b32_e32 v18, 1, v18
	v_lshl_add_u64 v[0:1], s[6:7], 1, v[0:1]
	s_delay_alu instid0(VALU_DEP_1) | instskip(NEXT) | instid1(VALU_DEP_1)
	v_add_nc_u64_e32 v[0:1], s[0:1], v[0:1]
	v_add_nc_u64_e32 v[0:1], v[0:1], v[18:19]
	flat_store_b16 v[0:1], v16
	s_wait_xcnt 0x0
	;;#ASMSTART
	v_cvt_f16_f32 v16, v17;

	;;#ASMEND
	flat_store_b16 v[0:1], v16 offset:32
	;;#ASMSTART
	v_cvt_f16_f32 v14, v14;

	;;#ASMEND
	flat_store_b16 v[0:1], v14 offset:64
	s_wait_xcnt 0x0
	;;#ASMSTART
	v_cvt_f16_f32 v14, v15;

	;;#ASMEND
	flat_store_b16 v[0:1], v14 offset:96
	;;#ASMSTART
	v_cvt_f16_f32 v12, v12;

	;;#ASMEND
	flat_store_b16 v[0:1], v12 offset:128
	;; [unrolled: 11-line block ×6, first 2 shown]
	s_wait_xcnt 0x0
	;;#ASMSTART
	v_cvt_f16_f32 v2, v3;

	;;#ASMEND
	flat_store_b16 v[0:1], v2 offset:416
	s_wait_xcnt 0x0
	;;#ASMSTART
	v_cvt_f16_f32 v2, v4;

	;;#ASMEND
	flat_store_b16 v[0:1], v2 offset:448
	;; [unrolled: 6-line block ×3, first 2 shown]
.LBB261_2177:
	s_wait_xcnt 0x0
	s_or_b32 exec_lo, exec_lo, s2
	s_clause 0x2f
	scratch_load_b32 v127, off, s32
	scratch_load_b32 v126, off, s32 offset:4
	scratch_load_b32 v125, off, s32 offset:8
	;; [unrolled: 1-line block ×47, first 2 shown]
	s_wait_loadcnt_dscnt 0x0
	s_set_pc_i64 s[30:31]
.LBB261_2178:
	ds_load_b32 v18, v0
	s_wait_dscnt 0x0
	v_add_f32_e32 v16, v18, v16
	s_or_b32 exec_lo, exec_lo, s0
	s_and_saveexec_b32 s0, vcc_lo
	s_cbranch_execz .LBB261_2138
.LBB261_2179:
	ds_load_b32 v18, v0 offset:64
	s_wait_dscnt 0x0
	v_add_f32_e32 v17, v18, v17
	s_or_b32 exec_lo, exec_lo, s0
	s_and_saveexec_b32 s0, vcc_lo
	s_cbranch_execz .LBB261_2139
.LBB261_2180:
	ds_load_b32 v18, v0 offset:128
	s_wait_dscnt 0x0
	v_add_f32_e32 v14, v18, v14
	s_or_b32 exec_lo, exec_lo, s0
	s_and_saveexec_b32 s0, vcc_lo
	s_cbranch_execz .LBB261_2140
.LBB261_2181:
	ds_load_b32 v18, v0 offset:192
	s_wait_dscnt 0x0
	v_add_f32_e32 v15, v18, v15
	s_or_b32 exec_lo, exec_lo, s0
	s_and_saveexec_b32 s0, vcc_lo
	s_cbranch_execz .LBB261_2141
.LBB261_2182:
	ds_load_b32 v18, v0 offset:256
	s_wait_dscnt 0x0
	v_add_f32_e32 v12, v18, v12
	s_or_b32 exec_lo, exec_lo, s0
	s_and_saveexec_b32 s0, vcc_lo
	s_cbranch_execz .LBB261_2142
.LBB261_2183:
	ds_load_b32 v18, v0 offset:320
	s_wait_dscnt 0x0
	v_add_f32_e32 v13, v18, v13
	s_or_b32 exec_lo, exec_lo, s0
	s_and_saveexec_b32 s0, vcc_lo
	s_cbranch_execz .LBB261_2143
.LBB261_2184:
	ds_load_b32 v18, v0 offset:384
	s_wait_dscnt 0x0
	v_add_f32_e32 v10, v18, v10
	s_or_b32 exec_lo, exec_lo, s0
	s_and_saveexec_b32 s0, vcc_lo
	s_cbranch_execz .LBB261_2144
.LBB261_2185:
	ds_load_b32 v18, v0 offset:448
	s_wait_dscnt 0x0
	v_add_f32_e32 v11, v18, v11
	s_or_b32 exec_lo, exec_lo, s0
	s_and_saveexec_b32 s0, vcc_lo
	s_cbranch_execz .LBB261_2145
.LBB261_2186:
	ds_load_b32 v18, v0 offset:512
	s_wait_dscnt 0x0
	v_add_f32_e32 v8, v18, v8
	s_or_b32 exec_lo, exec_lo, s0
	s_and_saveexec_b32 s0, vcc_lo
	s_cbranch_execz .LBB261_2146
.LBB261_2187:
	ds_load_b32 v18, v0 offset:576
	s_wait_dscnt 0x0
	v_add_f32_e32 v9, v18, v9
	s_or_b32 exec_lo, exec_lo, s0
	s_and_saveexec_b32 s0, vcc_lo
	s_cbranch_execz .LBB261_2147
.LBB261_2188:
	ds_load_b32 v18, v0 offset:640
	s_wait_dscnt 0x0
	v_add_f32_e32 v6, v18, v6
	s_or_b32 exec_lo, exec_lo, s0
	s_and_saveexec_b32 s0, vcc_lo
	s_cbranch_execz .LBB261_2148
.LBB261_2189:
	ds_load_b32 v18, v0 offset:704
	s_wait_dscnt 0x0
	v_add_f32_e32 v7, v18, v7
	s_or_b32 exec_lo, exec_lo, s0
	s_and_saveexec_b32 s0, vcc_lo
	s_cbranch_execz .LBB261_2149
.LBB261_2190:
	ds_load_b32 v18, v0 offset:768
	s_wait_dscnt 0x0
	v_add_f32_e32 v2, v18, v2
	s_or_b32 exec_lo, exec_lo, s0
	s_and_saveexec_b32 s0, vcc_lo
	s_cbranch_execz .LBB261_2150
.LBB261_2191:
	ds_load_b32 v18, v0 offset:832
	s_wait_dscnt 0x0
	v_add_f32_e32 v3, v18, v3
	s_or_b32 exec_lo, exec_lo, s0
	s_and_saveexec_b32 s0, vcc_lo
	s_cbranch_execz .LBB261_2151
.LBB261_2192:
	ds_load_b32 v18, v0 offset:896
	s_wait_dscnt 0x0
	v_add_f32_e32 v4, v18, v4
	s_or_b32 exec_lo, exec_lo, s0
	s_and_saveexec_b32 s0, vcc_lo
	s_cbranch_execnz .LBB261_2152
	s_branch .LBB261_2153
.LBB261_2193:
	ds_load_b32 v1, v0
	s_wait_dscnt 0x0
	v_add_f32_e32 v16, v1, v16
	s_or_b32 exec_lo, exec_lo, s0
	s_and_saveexec_b32 s0, vcc_lo
	s_cbranch_execz .LBB261_2159
.LBB261_2194:
	ds_load_b32 v1, v0 offset:64
	s_wait_dscnt 0x0
	v_add_f32_e32 v17, v1, v17
	s_or_b32 exec_lo, exec_lo, s0
	s_and_saveexec_b32 s0, vcc_lo
	s_cbranch_execz .LBB261_2160
.LBB261_2195:
	ds_load_b32 v1, v0 offset:128
	s_wait_dscnt 0x0
	v_add_f32_e32 v14, v1, v14
	s_or_b32 exec_lo, exec_lo, s0
	s_and_saveexec_b32 s0, vcc_lo
	s_cbranch_execz .LBB261_2161
.LBB261_2196:
	ds_load_b32 v1, v0 offset:192
	s_wait_dscnt 0x0
	v_add_f32_e32 v15, v1, v15
	s_or_b32 exec_lo, exec_lo, s0
	s_and_saveexec_b32 s0, vcc_lo
	s_cbranch_execz .LBB261_2162
.LBB261_2197:
	ds_load_b32 v1, v0 offset:256
	s_wait_dscnt 0x0
	v_add_f32_e32 v12, v1, v12
	s_or_b32 exec_lo, exec_lo, s0
	s_and_saveexec_b32 s0, vcc_lo
	s_cbranch_execz .LBB261_2163
.LBB261_2198:
	ds_load_b32 v1, v0 offset:320
	s_wait_dscnt 0x0
	v_add_f32_e32 v13, v1, v13
	s_or_b32 exec_lo, exec_lo, s0
	s_and_saveexec_b32 s0, vcc_lo
	s_cbranch_execz .LBB261_2164
.LBB261_2199:
	ds_load_b32 v1, v0 offset:384
	s_wait_dscnt 0x0
	v_add_f32_e32 v10, v1, v10
	s_or_b32 exec_lo, exec_lo, s0
	s_and_saveexec_b32 s0, vcc_lo
	s_cbranch_execz .LBB261_2165
.LBB261_2200:
	ds_load_b32 v1, v0 offset:448
	s_wait_dscnt 0x0
	v_add_f32_e32 v11, v1, v11
	s_or_b32 exec_lo, exec_lo, s0
	s_and_saveexec_b32 s0, vcc_lo
	s_cbranch_execz .LBB261_2166
.LBB261_2201:
	ds_load_b32 v1, v0 offset:512
	s_wait_dscnt 0x0
	v_add_f32_e32 v8, v1, v8
	s_or_b32 exec_lo, exec_lo, s0
	s_and_saveexec_b32 s0, vcc_lo
	s_cbranch_execz .LBB261_2167
.LBB261_2202:
	ds_load_b32 v1, v0 offset:576
	s_wait_dscnt 0x0
	v_add_f32_e32 v9, v1, v9
	s_or_b32 exec_lo, exec_lo, s0
	s_and_saveexec_b32 s0, vcc_lo
	s_cbranch_execz .LBB261_2168
.LBB261_2203:
	ds_load_b32 v1, v0 offset:640
	s_wait_dscnt 0x0
	v_add_f32_e32 v6, v1, v6
	s_or_b32 exec_lo, exec_lo, s0
	s_and_saveexec_b32 s0, vcc_lo
	s_cbranch_execz .LBB261_2169
.LBB261_2204:
	ds_load_b32 v1, v0 offset:704
	s_wait_dscnt 0x0
	v_add_f32_e32 v7, v1, v7
	s_or_b32 exec_lo, exec_lo, s0
	s_and_saveexec_b32 s0, vcc_lo
	s_cbranch_execz .LBB261_2170
.LBB261_2205:
	ds_load_b32 v1, v0 offset:768
	s_wait_dscnt 0x0
	v_add_f32_e32 v2, v1, v2
	s_or_b32 exec_lo, exec_lo, s0
	s_and_saveexec_b32 s0, vcc_lo
	s_cbranch_execz .LBB261_2171
.LBB261_2206:
	ds_load_b32 v1, v0 offset:832
	s_wait_dscnt 0x0
	v_add_f32_e32 v3, v1, v3
	s_or_b32 exec_lo, exec_lo, s0
	s_and_saveexec_b32 s0, vcc_lo
	s_cbranch_execz .LBB261_2172
.LBB261_2207:
	ds_load_b32 v1, v0 offset:896
	s_wait_dscnt 0x0
	v_add_f32_e32 v4, v1, v4
	s_or_b32 exec_lo, exec_lo, s0
	s_and_saveexec_b32 s0, vcc_lo
	s_cbranch_execnz .LBB261_2173
	s_branch .LBB261_2174
.Lfunc_end261:
	.size	_ZN4vllm22paged_attention_kernelIthLi256ELi16ELi128ELNS_18Fp8KVCacheDataTypeE1ELb1ELi0EEEvPfS2_PT_PKS3_PKT0_S9_ifPKiSB_iPKfiiiSD_SD_iiiii, .Lfunc_end261-_ZN4vllm22paged_attention_kernelIthLi256ELi16ELi128ELNS_18Fp8KVCacheDataTypeE1ELb1ELi0EEEvPfS2_PT_PKS3_PKT0_S9_ifPKiSB_iPKfiiiSD_SD_iiiii
                                        ; -- End function
	.set .L_ZN4vllm22paged_attention_kernelIthLi256ELi16ELi128ELNS_18Fp8KVCacheDataTypeE1ELb1ELi0EEEvPfS2_PT_PKS3_PKT0_S9_ifPKiSB_iPKfiiiSD_SD_iiiii.num_vgpr, 128
	.set .L_ZN4vllm22paged_attention_kernelIthLi256ELi16ELi128ELNS_18Fp8KVCacheDataTypeE1ELb1ELi0EEEvPfS2_PT_PKS3_PKT0_S9_ifPKiSB_iPKfiiiSD_SD_iiiii.num_agpr, 0
	.set .L_ZN4vllm22paged_attention_kernelIthLi256ELi16ELi128ELNS_18Fp8KVCacheDataTypeE1ELb1ELi0EEEvPfS2_PT_PKS3_PKT0_S9_ifPKiSB_iPKfiiiSD_SD_iiiii.numbered_sgpr, 33
	.set .L_ZN4vllm22paged_attention_kernelIthLi256ELi16ELi128ELNS_18Fp8KVCacheDataTypeE1ELb1ELi0EEEvPfS2_PT_PKS3_PKT0_S9_ifPKiSB_iPKfiiiSD_SD_iiiii.num_named_barrier, 0
	.set .L_ZN4vllm22paged_attention_kernelIthLi256ELi16ELi128ELNS_18Fp8KVCacheDataTypeE1ELb1ELi0EEEvPfS2_PT_PKS3_PKT0_S9_ifPKiSB_iPKfiiiSD_SD_iiiii.private_seg_size, 548
	.set .L_ZN4vllm22paged_attention_kernelIthLi256ELi16ELi128ELNS_18Fp8KVCacheDataTypeE1ELb1ELi0EEEvPfS2_PT_PKS3_PKT0_S9_ifPKiSB_iPKfiiiSD_SD_iiiii.uses_vcc, 1
	.set .L_ZN4vllm22paged_attention_kernelIthLi256ELi16ELi128ELNS_18Fp8KVCacheDataTypeE1ELb1ELi0EEEvPfS2_PT_PKS3_PKT0_S9_ifPKiSB_iPKfiiiSD_SD_iiiii.uses_flat_scratch, 1
	.set .L_ZN4vllm22paged_attention_kernelIthLi256ELi16ELi128ELNS_18Fp8KVCacheDataTypeE1ELb1ELi0EEEvPfS2_PT_PKS3_PKT0_S9_ifPKiSB_iPKfiiiSD_SD_iiiii.has_dyn_sized_stack, 0
	.set .L_ZN4vllm22paged_attention_kernelIthLi256ELi16ELi128ELNS_18Fp8KVCacheDataTypeE1ELb1ELi0EEEvPfS2_PT_PKS3_PKT0_S9_ifPKiSB_iPKfiiiSD_SD_iiiii.has_recursion, 0
	.set .L_ZN4vllm22paged_attention_kernelIthLi256ELi16ELi128ELNS_18Fp8KVCacheDataTypeE1ELb1ELi0EEEvPfS2_PT_PKS3_PKT0_S9_ifPKiSB_iPKfiiiSD_SD_iiiii.has_indirect_call, 0
	.section	.AMDGPU.csdata,"",@progbits
; Function info:
; codeLenInByte = 88692
; TotalNumSgprs: 35
; NumVgprs: 128
; ScratchSize: 548
; MemoryBound: 0
	.section	.text._ZN4vllm25paged_attention_v1_kernelIthLi256ELi16ELi128ELNS_18Fp8KVCacheDataTypeE1ELb1EEEvPT_PKS2_PKT0_S8_ifPKiSA_iPKfiiiSC_SC_iiiii,"axG",@progbits,_ZN4vllm25paged_attention_v1_kernelIthLi256ELi16ELi128ELNS_18Fp8KVCacheDataTypeE1ELb1EEEvPT_PKS2_PKT0_S8_ifPKiSA_iPKfiiiSC_SC_iiiii,comdat
	.protected	_ZN4vllm25paged_attention_v1_kernelIthLi256ELi16ELi128ELNS_18Fp8KVCacheDataTypeE1ELb1EEEvPT_PKS2_PKT0_S8_ifPKiSA_iPKfiiiSC_SC_iiiii ; -- Begin function _ZN4vllm25paged_attention_v1_kernelIthLi256ELi16ELi128ELNS_18Fp8KVCacheDataTypeE1ELb1EEEvPT_PKS2_PKT0_S8_ifPKiSA_iPKfiiiSC_SC_iiiii
	.globl	_ZN4vllm25paged_attention_v1_kernelIthLi256ELi16ELi128ELNS_18Fp8KVCacheDataTypeE1ELb1EEEvPT_PKS2_PKT0_S8_ifPKiSA_iPKfiiiSC_SC_iiiii
	.p2align	8
	.type	_ZN4vllm25paged_attention_v1_kernelIthLi256ELi16ELi128ELNS_18Fp8KVCacheDataTypeE1ELb1EEEvPT_PKS2_PKT0_S8_ifPKiSA_iPKfiiiSC_SC_iiiii,@function
_ZN4vllm25paged_attention_v1_kernelIthLi256ELi16ELi128ELNS_18Fp8KVCacheDataTypeE1ELb1EEEvPT_PKS2_PKT0_S8_ifPKiSA_iPKfiiiSC_SC_iiiii: ; @_ZN4vllm25paged_attention_v1_kernelIthLi256ELi16ELi128ELNS_18Fp8KVCacheDataTypeE1ELb1EEEvPT_PKS2_PKT0_S8_ifPKiSA_iPKfiiiSC_SC_iiiii
; %bb.0:
	s_clause 0x6
	s_load_b256 s[12:19], s[0:1], 0x0
	s_load_b128 s[4:7], s[0:1], 0x20
	s_load_b96 s[28:30], s[0:1], 0x30
	s_load_b64 s[10:11], s[0:1], 0x40
	s_load_b96 s[36:38], s[0:1], 0x48
	s_load_b256 s[20:27], s[0:1], 0x58
	s_load_b32 s31, s[0:1], 0x78
	v_mov_b32_e32 v31, v0
	s_get_pc_i64 s[2:3]
	s_add_nc_u64 s[2:3], s[2:3], _ZN4vllm22paged_attention_kernelIthLi256ELi16ELi128ELNS_18Fp8KVCacheDataTypeE1ELb1ELi0EEEvPfS2_PT_PKS3_PKT0_S9_ifPKiSB_iPKfiiiSD_SD_iiiii@rel64+4
	s_add_nc_u64 s[8:9], s[0:1], 0x80
	s_mov_b32 s32, 0
	s_wait_kmcnt 0x0
	v_dual_mov_b32 v15, s10 :: v_dual_mov_b32 v16, s11
	v_dual_mov_b32 v0, s12 :: v_dual_mov_b32 v1, s13
	;; [unrolled: 1-line block ×14, first 2 shown]
	v_mov_b32_e32 v28, s31
	s_mov_b32 s15, 45
	s_swap_pc_i64 s[30:31], s[2:3]
	s_endpgm
	.section	.rodata,"a",@progbits
	.p2align	6, 0x0
	.amdhsa_kernel _ZN4vllm25paged_attention_v1_kernelIthLi256ELi16ELi128ELNS_18Fp8KVCacheDataTypeE1ELb1EEEvPT_PKS2_PKT0_S8_ifPKiSA_iPKfiiiSC_SC_iiiii
		.amdhsa_group_segment_fixed_size 544
		.amdhsa_private_segment_fixed_size 548
		.amdhsa_kernarg_size 384
		.amdhsa_user_sgpr_count 2
		.amdhsa_user_sgpr_dispatch_ptr 0
		.amdhsa_user_sgpr_queue_ptr 0
		.amdhsa_user_sgpr_kernarg_segment_ptr 1
		.amdhsa_user_sgpr_dispatch_id 0
		.amdhsa_user_sgpr_kernarg_preload_length 0
		.amdhsa_user_sgpr_kernarg_preload_offset 0
		.amdhsa_user_sgpr_private_segment_size 0
		.amdhsa_wavefront_size32 1
		.amdhsa_uses_dynamic_stack 0
		.amdhsa_enable_private_segment 1
		.amdhsa_system_sgpr_workgroup_id_x 1
		.amdhsa_system_sgpr_workgroup_id_y 1
		.amdhsa_system_sgpr_workgroup_id_z 1
		.amdhsa_system_sgpr_workgroup_info 0
		.amdhsa_system_vgpr_workitem_id 0
		.amdhsa_next_free_vgpr 128
		.amdhsa_next_free_sgpr 39
		.amdhsa_named_barrier_count 0
		.amdhsa_reserve_vcc 1
		.amdhsa_float_round_mode_32 0
		.amdhsa_float_round_mode_16_64 0
		.amdhsa_float_denorm_mode_32 3
		.amdhsa_float_denorm_mode_16_64 3
		.amdhsa_fp16_overflow 0
		.amdhsa_memory_ordered 1
		.amdhsa_forward_progress 1
		.amdhsa_inst_pref_size 2
		.amdhsa_round_robin_scheduling 0
		.amdhsa_exception_fp_ieee_invalid_op 0
		.amdhsa_exception_fp_denorm_src 0
		.amdhsa_exception_fp_ieee_div_zero 0
		.amdhsa_exception_fp_ieee_overflow 0
		.amdhsa_exception_fp_ieee_underflow 0
		.amdhsa_exception_fp_ieee_inexact 0
		.amdhsa_exception_int_div_zero 0
	.end_amdhsa_kernel
	.section	.text._ZN4vllm25paged_attention_v1_kernelIthLi256ELi16ELi128ELNS_18Fp8KVCacheDataTypeE1ELb1EEEvPT_PKS2_PKT0_S8_ifPKiSA_iPKfiiiSC_SC_iiiii,"axG",@progbits,_ZN4vllm25paged_attention_v1_kernelIthLi256ELi16ELi128ELNS_18Fp8KVCacheDataTypeE1ELb1EEEvPT_PKS2_PKT0_S8_ifPKiSA_iPKfiiiSC_SC_iiiii,comdat
.Lfunc_end262:
	.size	_ZN4vllm25paged_attention_v1_kernelIthLi256ELi16ELi128ELNS_18Fp8KVCacheDataTypeE1ELb1EEEvPT_PKS2_PKT0_S8_ifPKiSA_iPKfiiiSC_SC_iiiii, .Lfunc_end262-_ZN4vllm25paged_attention_v1_kernelIthLi256ELi16ELi128ELNS_18Fp8KVCacheDataTypeE1ELb1EEEvPT_PKS2_PKT0_S8_ifPKiSA_iPKfiiiSC_SC_iiiii
                                        ; -- End function
	.set _ZN4vllm25paged_attention_v1_kernelIthLi256ELi16ELi128ELNS_18Fp8KVCacheDataTypeE1ELb1EEEvPT_PKS2_PKT0_S8_ifPKiSA_iPKfiiiSC_SC_iiiii.num_vgpr, max(32, .L_ZN4vllm22paged_attention_kernelIthLi256ELi16ELi128ELNS_18Fp8KVCacheDataTypeE1ELb1ELi0EEEvPfS2_PT_PKS3_PKT0_S9_ifPKiSB_iPKfiiiSD_SD_iiiii.num_vgpr)
	.set _ZN4vllm25paged_attention_v1_kernelIthLi256ELi16ELi128ELNS_18Fp8KVCacheDataTypeE1ELb1EEEvPT_PKS2_PKT0_S8_ifPKiSA_iPKfiiiSC_SC_iiiii.num_agpr, max(0, .L_ZN4vllm22paged_attention_kernelIthLi256ELi16ELi128ELNS_18Fp8KVCacheDataTypeE1ELb1ELi0EEEvPfS2_PT_PKS3_PKT0_S9_ifPKiSB_iPKfiiiSD_SD_iiiii.num_agpr)
	.set _ZN4vllm25paged_attention_v1_kernelIthLi256ELi16ELi128ELNS_18Fp8KVCacheDataTypeE1ELb1EEEvPT_PKS2_PKT0_S8_ifPKiSA_iPKfiiiSC_SC_iiiii.numbered_sgpr, max(39, .L_ZN4vllm22paged_attention_kernelIthLi256ELi16ELi128ELNS_18Fp8KVCacheDataTypeE1ELb1ELi0EEEvPfS2_PT_PKS3_PKT0_S9_ifPKiSB_iPKfiiiSD_SD_iiiii.numbered_sgpr)
	.set _ZN4vllm25paged_attention_v1_kernelIthLi256ELi16ELi128ELNS_18Fp8KVCacheDataTypeE1ELb1EEEvPT_PKS2_PKT0_S8_ifPKiSA_iPKfiiiSC_SC_iiiii.num_named_barrier, max(0, .L_ZN4vllm22paged_attention_kernelIthLi256ELi16ELi128ELNS_18Fp8KVCacheDataTypeE1ELb1ELi0EEEvPfS2_PT_PKS3_PKT0_S9_ifPKiSB_iPKfiiiSD_SD_iiiii.num_named_barrier)
	.set _ZN4vllm25paged_attention_v1_kernelIthLi256ELi16ELi128ELNS_18Fp8KVCacheDataTypeE1ELb1EEEvPT_PKS2_PKT0_S8_ifPKiSA_iPKfiiiSC_SC_iiiii.private_seg_size, 0+max(.L_ZN4vllm22paged_attention_kernelIthLi256ELi16ELi128ELNS_18Fp8KVCacheDataTypeE1ELb1ELi0EEEvPfS2_PT_PKS3_PKT0_S9_ifPKiSB_iPKfiiiSD_SD_iiiii.private_seg_size)
	.set _ZN4vllm25paged_attention_v1_kernelIthLi256ELi16ELi128ELNS_18Fp8KVCacheDataTypeE1ELb1EEEvPT_PKS2_PKT0_S8_ifPKiSA_iPKfiiiSC_SC_iiiii.uses_vcc, or(1, .L_ZN4vllm22paged_attention_kernelIthLi256ELi16ELi128ELNS_18Fp8KVCacheDataTypeE1ELb1ELi0EEEvPfS2_PT_PKS3_PKT0_S9_ifPKiSB_iPKfiiiSD_SD_iiiii.uses_vcc)
	.set _ZN4vllm25paged_attention_v1_kernelIthLi256ELi16ELi128ELNS_18Fp8KVCacheDataTypeE1ELb1EEEvPT_PKS2_PKT0_S8_ifPKiSA_iPKfiiiSC_SC_iiiii.uses_flat_scratch, or(0, .L_ZN4vllm22paged_attention_kernelIthLi256ELi16ELi128ELNS_18Fp8KVCacheDataTypeE1ELb1ELi0EEEvPfS2_PT_PKS3_PKT0_S9_ifPKiSB_iPKfiiiSD_SD_iiiii.uses_flat_scratch)
	.set _ZN4vllm25paged_attention_v1_kernelIthLi256ELi16ELi128ELNS_18Fp8KVCacheDataTypeE1ELb1EEEvPT_PKS2_PKT0_S8_ifPKiSA_iPKfiiiSC_SC_iiiii.has_dyn_sized_stack, or(0, .L_ZN4vllm22paged_attention_kernelIthLi256ELi16ELi128ELNS_18Fp8KVCacheDataTypeE1ELb1ELi0EEEvPfS2_PT_PKS3_PKT0_S9_ifPKiSB_iPKfiiiSD_SD_iiiii.has_dyn_sized_stack)
	.set _ZN4vllm25paged_attention_v1_kernelIthLi256ELi16ELi128ELNS_18Fp8KVCacheDataTypeE1ELb1EEEvPT_PKS2_PKT0_S8_ifPKiSA_iPKfiiiSC_SC_iiiii.has_recursion, or(0, .L_ZN4vllm22paged_attention_kernelIthLi256ELi16ELi128ELNS_18Fp8KVCacheDataTypeE1ELb1ELi0EEEvPfS2_PT_PKS3_PKT0_S9_ifPKiSB_iPKfiiiSD_SD_iiiii.has_recursion)
	.set _ZN4vllm25paged_attention_v1_kernelIthLi256ELi16ELi128ELNS_18Fp8KVCacheDataTypeE1ELb1EEEvPT_PKS2_PKT0_S8_ifPKiSA_iPKfiiiSC_SC_iiiii.has_indirect_call, or(0, .L_ZN4vllm22paged_attention_kernelIthLi256ELi16ELi128ELNS_18Fp8KVCacheDataTypeE1ELb1ELi0EEEvPfS2_PT_PKS3_PKT0_S9_ifPKiSB_iPKfiiiSD_SD_iiiii.has_indirect_call)
	.section	.AMDGPU.csdata,"",@progbits
; Kernel info:
; codeLenInByte = 224
; TotalNumSgprs: 41
; NumVgprs: 128
; ScratchSize: 548
; MemoryBound: 0
; FloatMode: 240
; IeeeMode: 1
; LDSByteSize: 544 bytes/workgroup (compile time only)
; SGPRBlocks: 0
; VGPRBlocks: 7
; NumSGPRsForWavesPerEU: 41
; NumVGPRsForWavesPerEU: 128
; NamedBarCnt: 0
; Occupancy: 8
; WaveLimiterHint : 1
; COMPUTE_PGM_RSRC2:SCRATCH_EN: 1
; COMPUTE_PGM_RSRC2:USER_SGPR: 2
; COMPUTE_PGM_RSRC2:TRAP_HANDLER: 0
; COMPUTE_PGM_RSRC2:TGID_X_EN: 1
; COMPUTE_PGM_RSRC2:TGID_Y_EN: 1
; COMPUTE_PGM_RSRC2:TGID_Z_EN: 1
; COMPUTE_PGM_RSRC2:TIDIG_COMP_CNT: 0
	.section	.text._ZN4vllm25paged_attention_v1_kernelIthLi32ELi16ELi128ELNS_18Fp8KVCacheDataTypeE1ELb0EEEvPT_PKS2_PKT0_S8_ifPKiSA_iPKfiiiSC_SC_iiiii,"axG",@progbits,_ZN4vllm25paged_attention_v1_kernelIthLi32ELi16ELi128ELNS_18Fp8KVCacheDataTypeE1ELb0EEEvPT_PKS2_PKT0_S8_ifPKiSA_iPKfiiiSC_SC_iiiii,comdat
	.protected	_ZN4vllm25paged_attention_v1_kernelIthLi32ELi16ELi128ELNS_18Fp8KVCacheDataTypeE1ELb0EEEvPT_PKS2_PKT0_S8_ifPKiSA_iPKfiiiSC_SC_iiiii ; -- Begin function _ZN4vllm25paged_attention_v1_kernelIthLi32ELi16ELi128ELNS_18Fp8KVCacheDataTypeE1ELb0EEEvPT_PKS2_PKT0_S8_ifPKiSA_iPKfiiiSC_SC_iiiii
	.globl	_ZN4vllm25paged_attention_v1_kernelIthLi32ELi16ELi128ELNS_18Fp8KVCacheDataTypeE1ELb0EEEvPT_PKS2_PKT0_S8_ifPKiSA_iPKfiiiSC_SC_iiiii
	.p2align	8
	.type	_ZN4vllm25paged_attention_v1_kernelIthLi32ELi16ELi128ELNS_18Fp8KVCacheDataTypeE1ELb0EEEvPT_PKS2_PKT0_S8_ifPKiSA_iPKfiiiSC_SC_iiiii,@function
_ZN4vllm25paged_attention_v1_kernelIthLi32ELi16ELi128ELNS_18Fp8KVCacheDataTypeE1ELb0EEEvPT_PKS2_PKT0_S8_ifPKiSA_iPKfiiiSC_SC_iiiii: ; @_ZN4vllm25paged_attention_v1_kernelIthLi32ELi16ELi128ELNS_18Fp8KVCacheDataTypeE1ELb0EEEvPT_PKS2_PKT0_S8_ifPKiSA_iPKfiiiSC_SC_iiiii
; %bb.0:
	s_load_b64 s[6:7], s[0:1], 0x20
	s_bfe_u32 s3, ttmp6, 0x4000c
	s_bfe_u32 s5, ttmp6, 0x40010
	s_and_b32 s4, ttmp7, 0xffff
	s_add_co_i32 s3, s3, 1
	s_add_co_i32 s5, s5, 1
	s_and_b32 s2, ttmp6, 15
	s_bfe_u32 s8, ttmp6, 0x40004
	s_mul_i32 s3, ttmp9, s3
	s_mul_i32 s5, s4, s5
	s_getreg_b32 s20, hwreg(HW_REG_IB_STS2, 6, 4)
	s_add_co_i32 s2, s2, s3
	s_add_co_i32 s8, s8, s5
	s_cmp_eq_u32 s20, 0
	s_clause 0x1
	s_load_b32 s21, s[0:1], 0x80
	s_load_b64 s[10:11], s[0:1], 0x30
	s_cselect_b32 s22, s4, s8
	s_cselect_b32 s8, ttmp9, s2
	s_wait_kmcnt 0x0
	s_abs_i32 s2, s6
	s_delay_alu instid0(SALU_CYCLE_1) | instskip(SKIP_1) | instid1(SALU_CYCLE_2)
	s_cvt_f32_u32 s3, s2
	s_sub_co_i32 s4, 0, s2
	v_rcp_iflag_f32_e32 v1, s3
	s_abs_i32 s5, s21
	v_nop
	s_delay_alu instid0(TRANS32_DEP_1) | instskip(SKIP_1) | instid1(SALU_CYCLE_3)
	v_readfirstlane_b32 s3, v1
	s_mul_f32 s3, s3, 0x4f7ffffe
	s_cvt_u32_f32 s3, s3
	s_delay_alu instid0(SALU_CYCLE_3) | instskip(NEXT) | instid1(SALU_CYCLE_1)
	s_mul_i32 s4, s4, s3
	s_mul_hi_u32 s4, s3, s4
	s_delay_alu instid0(SALU_CYCLE_1) | instskip(SKIP_4) | instid1(SALU_CYCLE_1)
	s_add_co_i32 s3, s3, s4
	s_xor_b32 s4, s21, s6
	s_mul_hi_u32 s3, s5, s3
	s_ashr_i32 s4, s4, 31
	s_mul_i32 s6, s3, s2
	s_sub_co_i32 s5, s5, s6
	s_add_co_i32 s6, s3, 1
	s_sub_co_i32 s9, s5, s2
	s_cmp_ge_u32 s5, s2
	s_cselect_b32 s3, s6, s3
	s_cselect_b32 s5, s9, s5
	s_add_co_i32 s6, s3, 1
	s_cmp_ge_u32 s5, s2
	s_cselect_b32 s2, s6, s3
	s_mov_b32 s3, 0
	s_xor_b32 s2, s2, s4
	s_mov_b32 s13, s3
	s_sub_co_i32 s15, s2, s4
	s_load_b64 s[4:5], s[0:1], 0x40
	s_abs_i32 s14, s15
	s_mov_b32 s25, s3
	s_cvt_f32_u32 s2, s14
	s_delay_alu instid0(SALU_CYCLE_3) | instskip(SKIP_1) | instid1(TRANS32_DEP_1)
	v_rcp_iflag_f32_e32 v1, s2
	v_nop
	v_readfirstlane_b32 s2, v1
	s_mul_f32 s2, s2, 0x4f7ffffe
	s_delay_alu instid0(SALU_CYCLE_3) | instskip(SKIP_1) | instid1(SALU_CYCLE_2)
	s_cvt_u32_f32 s6, s2
	s_sub_co_i32 s2, 0, s14
	s_mul_i32 s2, s2, s6
	s_delay_alu instid0(SALU_CYCLE_1)
	s_mul_hi_u32 s9, s6, s2
	s_abs_i32 s2, s8
	s_add_co_i32 s12, s6, s9
	s_wait_kmcnt 0x0
	s_cmp_eq_u64 s[4:5], 0
	s_cbranch_scc1 .LBB263_2
; %bb.1:
	s_ashr_i32 s9, s8, 31
	s_delay_alu instid0(SALU_CYCLE_1) | instskip(NEXT) | instid1(SALU_CYCLE_1)
	s_lshl_b64 s[16:17], s[8:9], 2
	s_add_nc_u64 s[4:5], s[4:5], s[16:17]
	s_load_b32 s25, s[4:5], 0x0
.LBB263_2:
	s_load_b32 s23, s[10:11], s22 offset:0x0 scale_offset
	s_wait_xcnt 0x0
	s_load_b96 s[4:6], s[0:1], 0x48
	v_dual_lshrrev_b32 v22, 1, v0 :: v_dual_bitop2_b32 v23, 1, v0 bitop3:0x40
	s_ashr_i32 s9, s8, 31
	s_ashr_i32 s15, s15, 31
	s_mul_u64 s[10:11], s[2:3], s[12:13]
	s_lshl_b32 s12, s8, 5
	s_mov_b32 s3, exec_lo
	v_cmpx_gt_u32_e32 8, v0
	s_cbranch_execz .LBB263_4
; %bb.3:
	s_load_b64 s[16:17], s[0:1], 0x8
	s_wait_kmcnt 0x0
	s_mul_i32 s18, s4, s22
	s_ashr_i32 s13, s12, 31
	s_ashr_i32 s19, s18, 31
	v_lshlrev_b32_e32 v1, 3, v22
	s_lshl_b64 s[18:19], s[18:19], 1
	s_delay_alu instid0(VALU_DEP_1) | instskip(SKIP_2) | instid1(SALU_CYCLE_1)
	v_lshl_add_u32 v1, v23, 5, v1
	s_add_nc_u64 s[16:17], s[16:17], s[18:19]
	s_lshl_b64 s[18:19], s[12:13], 1
	s_add_nc_u64 s[16:17], s[16:17], s[18:19]
	global_load_b64 v[2:3], v0, s[16:17] scale_offset
	s_wait_loadcnt 0x0
	ds_store_b64 v1, v[2:3]
.LBB263_4:
	s_or_b32 exec_lo, exec_lo, s3
	s_wait_kmcnt 0x0
	s_add_co_i32 s3, s23, 15
	s_load_b32 s4, s[0:1], 0x38
	s_ashr_i32 s8, s3, 31
	s_mul_i32 s10, s11, s14
	s_lshr_b32 s8, s8, 28
	s_sub_co_i32 s2, s2, s10
	s_add_co_i32 s3, s3, s8
	s_xor_b32 s9, s9, s15
	s_ashr_i32 s24, s3, 4
	s_add_co_i32 s3, s11, 1
	s_sub_co_i32 s8, s2, s14
	s_cmp_ge_u32 s2, s14
	v_lshrrev_b32_e32 v24, 5, v0
	s_cselect_b32 s3, s3, s11
	s_cselect_b32 s2, s8, s2
	s_add_co_i32 s8, s3, 1
	s_cmp_ge_u32 s2, s14
	v_mbcnt_lo_u32_b32 v11, -1, 0
	s_cselect_b32 s2, s8, s3
	s_wait_dscnt 0x0
	s_xor_b32 s2, s2, s9
	s_wait_kmcnt 0x0
	s_mul_i32 s14, s4, s22
	s_sub_co_i32 s3, s2, s9
	v_cmp_gt_i32_e64 s2, s24, v24
	s_ashr_i32 s15, s14, 31
	s_mov_b32 s4, exec_lo
	s_barrier_signal -1
	s_barrier_wait -1
                                        ; implicit-def: $vgpr3
                                        ; implicit-def: $vgpr12
	v_cmpx_le_i32_e64 s24, v24
	s_xor_b32 s4, exec_lo, s4
; %bb.5:
	v_dual_mov_b32 v3, 0 :: v_dual_mov_b32 v12, 32
	v_mbcnt_lo_u32_b32 v11, -1, 0
; %bb.6:
	s_or_saveexec_b32 s26, s4
	s_clause 0x2
	s_load_b32 s13, s[0:1], 0x88
	s_load_b64 s[16:17], s[0:1], 0x28
	s_load_b128 s[8:11], s[0:1], 0x58
	v_mov_b32_e32 v13, 0xff7fffff
	v_lshrrev_b32_e32 v1, 3, v0
	s_mul_i32 s18, s3, s6
	s_xor_b32 exec_lo, exec_lo, s26
	s_cbranch_execz .LBB263_140
; %bb.7:
	s_load_b64 s[28:29], s[0:1], 0x10
	v_bfe_u32 v6, v0, 1, 4
	v_mov_b32_e32 v3, 0
	s_ashr_i32 s19, s18, 31
	s_cmp_neq_f32 s25, 0
	v_dual_mov_b32 v13, 0xff7fffff :: v_dual_lshlrev_b32 v14, 5, v23
	v_dual_lshlrev_b32 v2, 4, v6 :: v_dual_lshlrev_b32 v7, 2, v6
	s_cselect_b32 s3, -1, 0
	v_lshl_or_b32 v15, v24, 4, v6
	v_mov_b32_e32 v12, 32
	s_mov_b32 s6, 0
	s_sub_co_i32 s27, 1, s23
	v_cmp_eq_u32_e32 vcc_lo, 0, v23
	v_mov_b32_e32 v17, v24
	s_wait_kmcnt 0x0
	s_add_nc_u64 s[28:29], s[28:29], s[18:19]
	s_mov_b32 s19, s5
	v_add_nc_u64_e32 v[4:5], s[28:29], v[2:3]
	v_lshlrev_b32_e32 v2, 2, v23
	v_lshl_or_b32 v7, v24, 6, v7
	s_lshl_b64 s[28:29], s[14:15], 2
	s_delay_alu instid0(SALU_CYCLE_1) | instskip(NEXT) | instid1(VALU_DEP_1)
	s_add_nc_u64 s[28:29], s[16:17], s[28:29]
	v_add_nc_u32_e32 v16, 0x60, v7
	s_delay_alu instid0(VALU_DEP_4) | instskip(SKIP_1) | instid1(VALU_DEP_1)
	v_add_nc_u64_e32 v[4:5], v[4:5], v[2:3]
	v_and_b32_e32 v2, 0x7c, v1
	v_add_nc_u64_e32 v[6:7], s[28:29], v[2:3]
	s_branch .LBB263_9
.LBB263_8:                              ;   in Loop: Header=BB263_9 Depth=1
	s_or_b32 exec_lo, exec_lo, s28
	v_dual_add_nc_u32 v17, 4, v17 :: v_dual_add_nc_u32 v15, 64, v15
	v_add_nc_u64_e32 v[6:7], 16, v[6:7]
	v_add_nc_u32_e32 v16, 0x100, v16
	s_delay_alu instid0(VALU_DEP_3) | instskip(SKIP_1) | instid1(SALU_CYCLE_1)
	v_cmp_le_i32_e64 s4, s24, v17
	s_or_b32 s6, s4, s6
	s_and_not1_b32 exec_lo, exec_lo, s6
	s_cbranch_execz .LBB263_139
.LBB263_9:                              ; =>This Inner Loop Header: Depth=1
	global_load_b32 v2, v[6:7], off
	v_dual_mov_b32 v19, 0 :: v_dual_mov_b32 v20, 0
	s_mov_b32 s28, exec_lo
	global_load_b32 v18, v19, s[8:9]
	s_wait_loadcnt_dscnt 0x100
	v_mad_nc_i64_i32 v[8:9], v2, s19, v[4:5]
	global_load_b32 v10, v[8:9], off
	s_wait_loadcnt 0x0
	v_and_b32_e32 v2, 0xff, v10
	s_wait_xcnt 0x0
	s_delay_alu instid0(VALU_DEP_1)
	v_cmpx_ne_u16_e32 0, v2
	s_cbranch_execz .LBB263_17
; %bb.10:                               ;   in Loop: Header=BB263_9 Depth=1
	v_mov_b32_e32 v20, 0x8000
	s_mov_b32 s29, exec_lo
	v_cmpx_ne_u16_e32 0x80, v2
	s_cbranch_execz .LBB263_16
; %bb.11:                               ;   in Loop: Header=BB263_9 Depth=1
	v_and_b32_e32 v21, 0x7f, v10
	v_mov_b32_e32 v20, 0x7c01
	s_mov_b32 s30, exec_lo
	s_delay_alu instid0(VALU_DEP_2)
	v_cmpx_ne_u32_e32 0x7f, v21
	s_cbranch_execz .LBB263_15
; %bb.12:                               ;   in Loop: Header=BB263_9 Depth=1
	v_dual_lshrrev_b32 v20, 3, v21 :: v_dual_bitop2_b32 v2, 7, v10 bitop3:0x40
	s_mov_b32 s31, exec_lo
	v_cmpx_gt_u32_e32 8, v21
; %bb.13:                               ;   in Loop: Header=BB263_9 Depth=1
	s_delay_alu instid0(VALU_DEP_2) | instskip(NEXT) | instid1(VALU_DEP_1)
	v_clz_i32_u32_e32 v2, v2
	v_min_u32_e32 v2, 32, v2
	s_delay_alu instid0(VALU_DEP_1) | instskip(NEXT) | instid1(VALU_DEP_1)
	v_subrev_nc_u32_e32 v20, 28, v2
	v_lshlrev_b64_e32 v[26:27], v20, v[10:11]
	v_sub_nc_u32_e32 v20, 29, v2
	s_delay_alu instid0(VALU_DEP_2)
	v_and_b32_e32 v2, 7, v26
; %bb.14:                               ;   in Loop: Header=BB263_9 Depth=1
	s_or_b32 exec_lo, exec_lo, s31
	v_lshlrev_b32_e32 v21, 8, v10
	s_delay_alu instid0(VALU_DEP_3) | instskip(NEXT) | instid1(VALU_DEP_3)
	v_lshl_add_u32 v20, v20, 10, 0x2000
	v_lshlrev_b32_e32 v2, 7, v2
	s_delay_alu instid0(VALU_DEP_3) | instskip(NEXT) | instid1(VALU_DEP_3)
	v_and_b32_e32 v21, 0x8000, v21
	v_and_b32_e32 v20, 0xfc00, v20
	s_delay_alu instid0(VALU_DEP_1)
	v_or3_b32 v20, v21, v20, v2
.LBB263_15:                             ;   in Loop: Header=BB263_9 Depth=1
	s_or_b32 exec_lo, exec_lo, s30
.LBB263_16:                             ;   in Loop: Header=BB263_9 Depth=1
	s_delay_alu instid0(SALU_CYCLE_1)
	s_or_b32 exec_lo, exec_lo, s29
.LBB263_17:                             ;   in Loop: Header=BB263_9 Depth=1
	s_delay_alu instid0(SALU_CYCLE_1) | instskip(SKIP_2) | instid1(VALU_DEP_1)
	s_or_b32 exec_lo, exec_lo, s28
	v_lshrrev_b16 v2, 8, v10
	s_mov_b32 s28, exec_lo
	v_cmpx_ne_u16_e32 0, v2
	s_cbranch_execz .LBB263_25
; %bb.18:                               ;   in Loop: Header=BB263_9 Depth=1
	v_bfrev_b32_e32 v19, 1
	s_mov_b32 s29, exec_lo
	v_cmpx_ne_u16_e32 0x80, v2
	s_cbranch_execz .LBB263_24
; %bb.19:                               ;   in Loop: Header=BB263_9 Depth=1
	v_and_b32_e32 v21, 0xffff, v2
	v_mov_b32_e32 v19, 0x7c010000
	s_mov_b32 s30, exec_lo
	s_delay_alu instid0(VALU_DEP_2) | instskip(NEXT) | instid1(VALU_DEP_1)
	v_and_b32_e32 v26, 0x7f, v21
	v_cmpx_ne_u32_e32 0x7f, v26
	s_cbranch_execz .LBB263_23
; %bb.20:                               ;   in Loop: Header=BB263_9 Depth=1
	v_dual_lshrrev_b32 v25, 3, v26 :: v_dual_bitop2_b32 v19, 7, v21 bitop3:0x40
	s_mov_b32 s31, exec_lo
	v_cmpx_gt_u32_e32 8, v26
; %bb.21:                               ;   in Loop: Header=BB263_9 Depth=1
	s_delay_alu instid0(VALU_DEP_2) | instskip(NEXT) | instid1(VALU_DEP_1)
	v_clz_i32_u32_e32 v19, v19
	v_min_u32_e32 v19, 32, v19
	s_delay_alu instid0(VALU_DEP_1) | instskip(NEXT) | instid1(VALU_DEP_1)
	v_subrev_nc_u32_e32 v25, 28, v19
	v_lshlrev_b64_e32 v[26:27], v25, v[2:3]
	s_delay_alu instid0(VALU_DEP_1)
	v_dual_sub_nc_u32 v25, 29, v19 :: v_dual_bitop2_b32 v19, 7, v26 bitop3:0x40
; %bb.22:                               ;   in Loop: Header=BB263_9 Depth=1
	s_or_b32 exec_lo, exec_lo, s31
	s_delay_alu instid0(VALU_DEP_1) | instskip(NEXT) | instid1(VALU_DEP_2)
	v_dual_lshlrev_b32 v2, 8, v21 :: v_dual_lshlrev_b32 v19, 23, v19
	v_lshl_add_u32 v21, v25, 10, 0x2000
	s_delay_alu instid0(VALU_DEP_1) | instskip(NEXT) | instid1(VALU_DEP_1)
	v_and_or_b32 v2, 0x8000, v2, v21
	v_lshl_or_b32 v19, v2, 16, v19
.LBB263_23:                             ;   in Loop: Header=BB263_9 Depth=1
	s_or_b32 exec_lo, exec_lo, s30
.LBB263_24:                             ;   in Loop: Header=BB263_9 Depth=1
	s_delay_alu instid0(SALU_CYCLE_1)
	s_or_b32 exec_lo, exec_lo, s29
.LBB263_25:                             ;   in Loop: Header=BB263_9 Depth=1
	s_delay_alu instid0(SALU_CYCLE_1) | instskip(SKIP_3) | instid1(VALU_DEP_2)
	s_or_b32 exec_lo, exec_lo, s28
	v_dual_mov_b32 v21, 0 :: v_dual_lshrrev_b32 v2, 16, v10
	v_mov_b32_e32 v25, 0
	s_mov_b32 s28, exec_lo
	v_and_b32_e32 v26, 0xff, v2
	s_delay_alu instid0(VALU_DEP_1)
	v_cmpx_ne_u16_e32 0, v26
	s_cbranch_execz .LBB263_33
; %bb.26:                               ;   in Loop: Header=BB263_9 Depth=1
	v_mov_b32_e32 v25, 0x8000
	s_mov_b32 s29, exec_lo
	v_cmpx_ne_u16_e32 0x80, v26
	s_cbranch_execz .LBB263_32
; %bb.27:                               ;   in Loop: Header=BB263_9 Depth=1
	v_bfe_u32 v27, v10, 16, 7
	v_mov_b32_e32 v25, 0x7c01
	s_mov_b32 s30, exec_lo
	s_delay_alu instid0(VALU_DEP_2)
	v_cmpx_ne_u32_e32 0x7f, v27
	s_cbranch_execz .LBB263_31
; %bb.28:                               ;   in Loop: Header=BB263_9 Depth=1
	v_dual_lshrrev_b32 v26, 3, v27 :: v_dual_bitop2_b32 v25, 7, v2 bitop3:0x40
	s_mov_b32 s31, exec_lo
	v_cmpx_gt_u32_e32 8, v27
; %bb.29:                               ;   in Loop: Header=BB263_9 Depth=1
	s_delay_alu instid0(VALU_DEP_2) | instskip(NEXT) | instid1(VALU_DEP_1)
	v_clz_i32_u32_e32 v25, v25
	v_min_u32_e32 v25, 32, v25
	s_delay_alu instid0(VALU_DEP_1) | instskip(NEXT) | instid1(VALU_DEP_1)
	v_subrev_nc_u32_e32 v26, 28, v25
	v_lshlrev_b64_e32 v[28:29], v26, v[2:3]
	s_delay_alu instid0(VALU_DEP_1)
	v_dual_sub_nc_u32 v26, 29, v25 :: v_dual_bitop2_b32 v25, 7, v28 bitop3:0x40
; %bb.30:                               ;   in Loop: Header=BB263_9 Depth=1
	s_or_b32 exec_lo, exec_lo, s31
	s_delay_alu instid0(VALU_DEP_1) | instskip(NEXT) | instid1(VALU_DEP_2)
	v_dual_lshlrev_b32 v2, 8, v2 :: v_dual_lshlrev_b32 v25, 7, v25
	v_lshl_add_u32 v26, v26, 10, 0x2000
	s_delay_alu instid0(VALU_DEP_2) | instskip(NEXT) | instid1(VALU_DEP_2)
	v_and_b32_e32 v2, 0x8000, v2
	v_and_b32_e32 v26, 0xfc00, v26
	s_delay_alu instid0(VALU_DEP_1)
	v_or3_b32 v25, v2, v26, v25
.LBB263_31:                             ;   in Loop: Header=BB263_9 Depth=1
	s_or_b32 exec_lo, exec_lo, s30
.LBB263_32:                             ;   in Loop: Header=BB263_9 Depth=1
	s_delay_alu instid0(SALU_CYCLE_1)
	s_or_b32 exec_lo, exec_lo, s29
.LBB263_33:                             ;   in Loop: Header=BB263_9 Depth=1
	s_delay_alu instid0(SALU_CYCLE_1) | instskip(NEXT) | instid1(SALU_CYCLE_1)
	s_or_b32 exec_lo, exec_lo, s28
	s_mov_b32 s28, exec_lo
	v_cmpx_lt_u32_e32 0xffffff, v10
	s_cbranch_execz .LBB263_41
; %bb.34:                               ;   in Loop: Header=BB263_9 Depth=1
	v_lshrrev_b32_e32 v2, 24, v10
	v_bfrev_b32_e32 v21, 1
	s_mov_b32 s29, exec_lo
	s_delay_alu instid0(VALU_DEP_2)
	v_cmpx_ne_u32_e32 0x80, v2
	s_cbranch_execz .LBB263_40
; %bb.35:                               ;   in Loop: Header=BB263_9 Depth=1
	v_and_b32_e32 v26, 0x7f, v2
	v_mov_b32_e32 v21, 0x7c010000
	s_mov_b32 s30, exec_lo
	s_delay_alu instid0(VALU_DEP_2)
	v_cmpx_ne_u32_e32 0x7f, v26
	s_cbranch_execz .LBB263_39
; %bb.36:                               ;   in Loop: Header=BB263_9 Depth=1
	v_and_b32_e32 v10, 7, v2
	v_lshrrev_b32_e32 v21, 3, v26
	s_mov_b32 s31, exec_lo
	v_cmpx_gt_u32_e32 8, v26
; %bb.37:                               ;   in Loop: Header=BB263_9 Depth=1
	s_delay_alu instid0(VALU_DEP_3) | instskip(NEXT) | instid1(VALU_DEP_1)
	v_clz_i32_u32_e32 v10, v10
	v_min_u32_e32 v10, 32, v10
	s_delay_alu instid0(VALU_DEP_1) | instskip(NEXT) | instid1(VALU_DEP_1)
	v_subrev_nc_u32_e32 v21, 28, v10
	v_lshlrev_b64_e32 v[26:27], v21, v[2:3]
	v_sub_nc_u32_e32 v21, 29, v10
	s_delay_alu instid0(VALU_DEP_2)
	v_and_b32_e32 v10, 7, v26
; %bb.38:                               ;   in Loop: Header=BB263_9 Depth=1
	s_or_b32 exec_lo, exec_lo, s31
	v_lshlrev_b32_e32 v2, 8, v2
	s_delay_alu instid0(VALU_DEP_3) | instskip(NEXT) | instid1(VALU_DEP_3)
	v_lshl_add_u32 v21, v21, 10, 0x2000
	v_lshlrev_b32_e32 v10, 23, v10
	s_delay_alu instid0(VALU_DEP_2) | instskip(NEXT) | instid1(VALU_DEP_1)
	v_and_or_b32 v2, 0x8000, v2, v21
	v_lshl_or_b32 v21, v2, 16, v10
.LBB263_39:                             ;   in Loop: Header=BB263_9 Depth=1
	s_or_b32 exec_lo, exec_lo, s30
.LBB263_40:                             ;   in Loop: Header=BB263_9 Depth=1
	s_delay_alu instid0(SALU_CYCLE_1)
	s_or_b32 exec_lo, exec_lo, s29
.LBB263_41:                             ;   in Loop: Header=BB263_9 Depth=1
	s_delay_alu instid0(SALU_CYCLE_1)
	s_or_b32 exec_lo, exec_lo, s28
	global_load_b32 v10, v[8:9], off offset:8
	v_dual_mov_b32 v26, 0 :: v_dual_mov_b32 v27, 0
	s_mov_b32 s28, exec_lo
	s_wait_loadcnt 0x0
	v_and_b32_e32 v2, 0xff, v10
	s_delay_alu instid0(VALU_DEP_1)
	v_cmpx_ne_u16_e32 0, v2
	s_cbranch_execz .LBB263_49
; %bb.42:                               ;   in Loop: Header=BB263_9 Depth=1
	v_mov_b32_e32 v27, 0x8000
	s_mov_b32 s29, exec_lo
	v_cmpx_ne_u16_e32 0x80, v2
	s_cbranch_execz .LBB263_48
; %bb.43:                               ;   in Loop: Header=BB263_9 Depth=1
	v_and_b32_e32 v28, 0x7f, v10
	v_mov_b32_e32 v27, 0x7c01
	s_mov_b32 s30, exec_lo
	s_delay_alu instid0(VALU_DEP_2)
	v_cmpx_ne_u32_e32 0x7f, v28
	s_cbranch_execz .LBB263_47
; %bb.44:                               ;   in Loop: Header=BB263_9 Depth=1
	v_dual_lshrrev_b32 v27, 3, v28 :: v_dual_bitop2_b32 v2, 7, v10 bitop3:0x40
	s_mov_b32 s31, exec_lo
	v_cmpx_gt_u32_e32 8, v28
; %bb.45:                               ;   in Loop: Header=BB263_9 Depth=1
	s_delay_alu instid0(VALU_DEP_2) | instskip(NEXT) | instid1(VALU_DEP_1)
	v_clz_i32_u32_e32 v2, v2
	v_min_u32_e32 v2, 32, v2
	s_delay_alu instid0(VALU_DEP_1) | instskip(NEXT) | instid1(VALU_DEP_1)
	v_subrev_nc_u32_e32 v27, 28, v2
	v_lshlrev_b64_e32 v[28:29], v27, v[10:11]
	s_delay_alu instid0(VALU_DEP_1)
	v_dual_sub_nc_u32 v27, 29, v2 :: v_dual_bitop2_b32 v2, 7, v28 bitop3:0x40
; %bb.46:                               ;   in Loop: Header=BB263_9 Depth=1
	s_or_b32 exec_lo, exec_lo, s31
	v_lshlrev_b32_e32 v28, 8, v10
	s_delay_alu instid0(VALU_DEP_2) | instskip(NEXT) | instid1(VALU_DEP_3)
	v_lshl_add_u32 v27, v27, 10, 0x2000
	v_lshlrev_b32_e32 v2, 7, v2
	s_delay_alu instid0(VALU_DEP_3) | instskip(NEXT) | instid1(VALU_DEP_3)
	v_and_b32_e32 v28, 0x8000, v28
	v_and_b32_e32 v27, 0xfc00, v27
	s_delay_alu instid0(VALU_DEP_1)
	v_or3_b32 v27, v28, v27, v2
.LBB263_47:                             ;   in Loop: Header=BB263_9 Depth=1
	s_or_b32 exec_lo, exec_lo, s30
.LBB263_48:                             ;   in Loop: Header=BB263_9 Depth=1
	s_delay_alu instid0(SALU_CYCLE_1)
	s_or_b32 exec_lo, exec_lo, s29
.LBB263_49:                             ;   in Loop: Header=BB263_9 Depth=1
	s_delay_alu instid0(SALU_CYCLE_1) | instskip(SKIP_2) | instid1(VALU_DEP_1)
	s_or_b32 exec_lo, exec_lo, s28
	v_lshrrev_b16 v2, 8, v10
	s_mov_b32 s28, exec_lo
	v_cmpx_ne_u16_e32 0, v2
	s_cbranch_execz .LBB263_57
; %bb.50:                               ;   in Loop: Header=BB263_9 Depth=1
	v_bfrev_b32_e32 v26, 1
	s_mov_b32 s29, exec_lo
	v_cmpx_ne_u16_e32 0x80, v2
	s_cbranch_execz .LBB263_56
; %bb.51:                               ;   in Loop: Header=BB263_9 Depth=1
	v_and_b32_e32 v28, 0xffff, v2
	v_mov_b32_e32 v26, 0x7c010000
	s_mov_b32 s30, exec_lo
	s_delay_alu instid0(VALU_DEP_2) | instskip(NEXT) | instid1(VALU_DEP_1)
	v_and_b32_e32 v30, 0x7f, v28
	v_cmpx_ne_u32_e32 0x7f, v30
	s_cbranch_execz .LBB263_55
; %bb.52:                               ;   in Loop: Header=BB263_9 Depth=1
	v_dual_lshrrev_b32 v29, 3, v30 :: v_dual_bitop2_b32 v26, 7, v28 bitop3:0x40
	s_mov_b32 s31, exec_lo
	v_cmpx_gt_u32_e32 8, v30
; %bb.53:                               ;   in Loop: Header=BB263_9 Depth=1
	s_delay_alu instid0(VALU_DEP_2) | instskip(NEXT) | instid1(VALU_DEP_1)
	v_clz_i32_u32_e32 v26, v26
	v_min_u32_e32 v26, 32, v26
	s_delay_alu instid0(VALU_DEP_1) | instskip(NEXT) | instid1(VALU_DEP_1)
	v_subrev_nc_u32_e32 v29, 28, v26
	v_lshlrev_b64_e32 v[30:31], v29, v[2:3]
	v_sub_nc_u32_e32 v29, 29, v26
	s_delay_alu instid0(VALU_DEP_2)
	v_and_b32_e32 v26, 7, v30
; %bb.54:                               ;   in Loop: Header=BB263_9 Depth=1
	s_or_b32 exec_lo, exec_lo, s31
	s_delay_alu instid0(VALU_DEP_1) | instskip(NEXT) | instid1(VALU_DEP_3)
	v_dual_lshlrev_b32 v2, 8, v28 :: v_dual_lshlrev_b32 v26, 23, v26
	v_lshl_add_u32 v28, v29, 10, 0x2000
	s_delay_alu instid0(VALU_DEP_1) | instskip(NEXT) | instid1(VALU_DEP_1)
	v_and_or_b32 v2, 0x8000, v2, v28
	v_lshl_or_b32 v26, v2, 16, v26
.LBB263_55:                             ;   in Loop: Header=BB263_9 Depth=1
	s_or_b32 exec_lo, exec_lo, s30
.LBB263_56:                             ;   in Loop: Header=BB263_9 Depth=1
	s_delay_alu instid0(SALU_CYCLE_1)
	s_or_b32 exec_lo, exec_lo, s29
.LBB263_57:                             ;   in Loop: Header=BB263_9 Depth=1
	s_delay_alu instid0(SALU_CYCLE_1) | instskip(SKIP_3) | instid1(VALU_DEP_2)
	s_or_b32 exec_lo, exec_lo, s28
	v_dual_lshrrev_b32 v2, 16, v10 :: v_dual_mov_b32 v28, 0
	v_mov_b32_e32 v29, 0
	s_mov_b32 s28, exec_lo
	v_and_b32_e32 v30, 0xff, v2
	s_delay_alu instid0(VALU_DEP_1)
	v_cmpx_ne_u16_e32 0, v30
	s_cbranch_execz .LBB263_65
; %bb.58:                               ;   in Loop: Header=BB263_9 Depth=1
	v_mov_b32_e32 v29, 0x8000
	s_mov_b32 s29, exec_lo
	v_cmpx_ne_u16_e32 0x80, v30
	s_cbranch_execz .LBB263_64
; %bb.59:                               ;   in Loop: Header=BB263_9 Depth=1
	v_bfe_u32 v31, v10, 16, 7
	v_mov_b32_e32 v29, 0x7c01
	s_mov_b32 s30, exec_lo
	s_delay_alu instid0(VALU_DEP_2)
	v_cmpx_ne_u32_e32 0x7f, v31
	s_cbranch_execz .LBB263_63
; %bb.60:                               ;   in Loop: Header=BB263_9 Depth=1
	v_dual_lshrrev_b32 v30, 3, v31 :: v_dual_bitop2_b32 v29, 7, v2 bitop3:0x40
	s_mov_b32 s31, exec_lo
	v_cmpx_gt_u32_e32 8, v31
; %bb.61:                               ;   in Loop: Header=BB263_9 Depth=1
	s_delay_alu instid0(VALU_DEP_2) | instskip(NEXT) | instid1(VALU_DEP_1)
	v_clz_i32_u32_e32 v29, v29
	v_min_u32_e32 v29, 32, v29
	s_delay_alu instid0(VALU_DEP_1) | instskip(NEXT) | instid1(VALU_DEP_1)
	v_subrev_nc_u32_e32 v30, 28, v29
	v_lshlrev_b64_e32 v[32:33], v30, v[2:3]
	s_delay_alu instid0(VALU_DEP_1)
	v_dual_sub_nc_u32 v30, 29, v29 :: v_dual_bitop2_b32 v29, 7, v32 bitop3:0x40
; %bb.62:                               ;   in Loop: Header=BB263_9 Depth=1
	s_or_b32 exec_lo, exec_lo, s31
	s_delay_alu instid0(VALU_DEP_1) | instskip(NEXT) | instid1(VALU_DEP_2)
	v_dual_lshlrev_b32 v2, 8, v2 :: v_dual_lshlrev_b32 v29, 7, v29
	v_lshl_add_u32 v30, v30, 10, 0x2000
	s_delay_alu instid0(VALU_DEP_2) | instskip(NEXT) | instid1(VALU_DEP_2)
	v_and_b32_e32 v2, 0x8000, v2
	v_and_b32_e32 v30, 0xfc00, v30
	s_delay_alu instid0(VALU_DEP_1)
	v_or3_b32 v29, v2, v30, v29
.LBB263_63:                             ;   in Loop: Header=BB263_9 Depth=1
	s_or_b32 exec_lo, exec_lo, s30
.LBB263_64:                             ;   in Loop: Header=BB263_9 Depth=1
	s_delay_alu instid0(SALU_CYCLE_1)
	s_or_b32 exec_lo, exec_lo, s29
.LBB263_65:                             ;   in Loop: Header=BB263_9 Depth=1
	s_delay_alu instid0(SALU_CYCLE_1) | instskip(NEXT) | instid1(SALU_CYCLE_1)
	s_or_b32 exec_lo, exec_lo, s28
	s_mov_b32 s28, exec_lo
	v_cmpx_lt_u32_e32 0xffffff, v10
	s_cbranch_execz .LBB263_73
; %bb.66:                               ;   in Loop: Header=BB263_9 Depth=1
	v_lshrrev_b32_e32 v2, 24, v10
	v_bfrev_b32_e32 v28, 1
	s_mov_b32 s29, exec_lo
	s_delay_alu instid0(VALU_DEP_2)
	v_cmpx_ne_u32_e32 0x80, v2
	s_cbranch_execz .LBB263_72
; %bb.67:                               ;   in Loop: Header=BB263_9 Depth=1
	v_and_b32_e32 v30, 0x7f, v2
	v_mov_b32_e32 v28, 0x7c010000
	s_mov_b32 s30, exec_lo
	s_delay_alu instid0(VALU_DEP_2)
	v_cmpx_ne_u32_e32 0x7f, v30
	s_cbranch_execz .LBB263_71
; %bb.68:                               ;   in Loop: Header=BB263_9 Depth=1
	v_and_b32_e32 v10, 7, v2
	v_lshrrev_b32_e32 v28, 3, v30
	s_mov_b32 s31, exec_lo
	v_cmpx_gt_u32_e32 8, v30
; %bb.69:                               ;   in Loop: Header=BB263_9 Depth=1
	s_delay_alu instid0(VALU_DEP_3) | instskip(NEXT) | instid1(VALU_DEP_1)
	v_clz_i32_u32_e32 v10, v10
	v_min_u32_e32 v10, 32, v10
	s_delay_alu instid0(VALU_DEP_1) | instskip(NEXT) | instid1(VALU_DEP_1)
	v_subrev_nc_u32_e32 v28, 28, v10
	v_lshlrev_b64_e32 v[30:31], v28, v[2:3]
	v_sub_nc_u32_e32 v28, 29, v10
	s_delay_alu instid0(VALU_DEP_2)
	v_and_b32_e32 v10, 7, v30
; %bb.70:                               ;   in Loop: Header=BB263_9 Depth=1
	s_or_b32 exec_lo, exec_lo, s31
	v_lshlrev_b32_e32 v2, 8, v2
	s_delay_alu instid0(VALU_DEP_3) | instskip(NEXT) | instid1(VALU_DEP_3)
	v_lshl_add_u32 v28, v28, 10, 0x2000
	v_lshlrev_b32_e32 v10, 23, v10
	s_delay_alu instid0(VALU_DEP_2) | instskip(NEXT) | instid1(VALU_DEP_1)
	v_and_or_b32 v2, 0x8000, v2, v28
	v_lshl_or_b32 v28, v2, 16, v10
.LBB263_71:                             ;   in Loop: Header=BB263_9 Depth=1
	s_or_b32 exec_lo, exec_lo, s30
.LBB263_72:                             ;   in Loop: Header=BB263_9 Depth=1
	s_delay_alu instid0(SALU_CYCLE_1)
	s_or_b32 exec_lo, exec_lo, s29
.LBB263_73:                             ;   in Loop: Header=BB263_9 Depth=1
	s_delay_alu instid0(SALU_CYCLE_1)
	s_or_b32 exec_lo, exec_lo, s28
	global_load_b32 v10, v[8:9], off offset:256
	v_dual_mov_b32 v30, 0 :: v_dual_mov_b32 v31, 0
	s_mov_b32 s28, exec_lo
	s_wait_loadcnt 0x0
	v_and_b32_e32 v2, 0xff, v10
	s_delay_alu instid0(VALU_DEP_1)
	v_cmpx_ne_u16_e32 0, v2
	s_cbranch_execz .LBB263_81
; %bb.74:                               ;   in Loop: Header=BB263_9 Depth=1
	v_mov_b32_e32 v31, 0x8000
	s_mov_b32 s29, exec_lo
	v_cmpx_ne_u16_e32 0x80, v2
	s_cbranch_execz .LBB263_80
; %bb.75:                               ;   in Loop: Header=BB263_9 Depth=1
	v_and_b32_e32 v32, 0x7f, v10
	v_mov_b32_e32 v31, 0x7c01
	s_mov_b32 s30, exec_lo
	s_delay_alu instid0(VALU_DEP_2)
	v_cmpx_ne_u32_e32 0x7f, v32
	s_cbranch_execz .LBB263_79
; %bb.76:                               ;   in Loop: Header=BB263_9 Depth=1
	v_dual_lshrrev_b32 v31, 3, v32 :: v_dual_bitop2_b32 v2, 7, v10 bitop3:0x40
	s_mov_b32 s31, exec_lo
	v_cmpx_gt_u32_e32 8, v32
; %bb.77:                               ;   in Loop: Header=BB263_9 Depth=1
	s_delay_alu instid0(VALU_DEP_2) | instskip(NEXT) | instid1(VALU_DEP_1)
	v_clz_i32_u32_e32 v2, v2
	v_min_u32_e32 v2, 32, v2
	s_delay_alu instid0(VALU_DEP_1) | instskip(NEXT) | instid1(VALU_DEP_1)
	v_subrev_nc_u32_e32 v31, 28, v2
	v_lshlrev_b64_e32 v[32:33], v31, v[10:11]
	s_delay_alu instid0(VALU_DEP_1)
	v_dual_sub_nc_u32 v31, 29, v2 :: v_dual_bitop2_b32 v2, 7, v32 bitop3:0x40
; %bb.78:                               ;   in Loop: Header=BB263_9 Depth=1
	s_or_b32 exec_lo, exec_lo, s31
	v_lshlrev_b32_e32 v32, 8, v10
	s_delay_alu instid0(VALU_DEP_2) | instskip(NEXT) | instid1(VALU_DEP_3)
	v_lshl_add_u32 v31, v31, 10, 0x2000
	v_lshlrev_b32_e32 v2, 7, v2
	s_delay_alu instid0(VALU_DEP_3) | instskip(NEXT) | instid1(VALU_DEP_3)
	v_and_b32_e32 v32, 0x8000, v32
	v_and_b32_e32 v31, 0xfc00, v31
	s_delay_alu instid0(VALU_DEP_1)
	v_or3_b32 v31, v32, v31, v2
.LBB263_79:                             ;   in Loop: Header=BB263_9 Depth=1
	s_or_b32 exec_lo, exec_lo, s30
.LBB263_80:                             ;   in Loop: Header=BB263_9 Depth=1
	s_delay_alu instid0(SALU_CYCLE_1)
	s_or_b32 exec_lo, exec_lo, s29
.LBB263_81:                             ;   in Loop: Header=BB263_9 Depth=1
	s_delay_alu instid0(SALU_CYCLE_1) | instskip(SKIP_2) | instid1(VALU_DEP_1)
	s_or_b32 exec_lo, exec_lo, s28
	v_lshrrev_b16 v2, 8, v10
	s_mov_b32 s28, exec_lo
	v_cmpx_ne_u16_e32 0, v2
	s_cbranch_execz .LBB263_89
; %bb.82:                               ;   in Loop: Header=BB263_9 Depth=1
	v_bfrev_b32_e32 v30, 1
	s_mov_b32 s29, exec_lo
	v_cmpx_ne_u16_e32 0x80, v2
	s_cbranch_execz .LBB263_88
; %bb.83:                               ;   in Loop: Header=BB263_9 Depth=1
	v_and_b32_e32 v32, 0xffff, v2
	v_mov_b32_e32 v30, 0x7c010000
	s_mov_b32 s30, exec_lo
	s_delay_alu instid0(VALU_DEP_2) | instskip(NEXT) | instid1(VALU_DEP_1)
	v_and_b32_e32 v34, 0x7f, v32
	v_cmpx_ne_u32_e32 0x7f, v34
	s_cbranch_execz .LBB263_87
; %bb.84:                               ;   in Loop: Header=BB263_9 Depth=1
	v_dual_lshrrev_b32 v33, 3, v34 :: v_dual_bitop2_b32 v30, 7, v32 bitop3:0x40
	s_mov_b32 s31, exec_lo
	v_cmpx_gt_u32_e32 8, v34
; %bb.85:                               ;   in Loop: Header=BB263_9 Depth=1
	s_delay_alu instid0(VALU_DEP_2) | instskip(NEXT) | instid1(VALU_DEP_1)
	v_clz_i32_u32_e32 v30, v30
	v_min_u32_e32 v30, 32, v30
	s_delay_alu instid0(VALU_DEP_1) | instskip(NEXT) | instid1(VALU_DEP_1)
	v_subrev_nc_u32_e32 v33, 28, v30
	v_lshlrev_b64_e32 v[34:35], v33, v[2:3]
	v_sub_nc_u32_e32 v33, 29, v30
	s_delay_alu instid0(VALU_DEP_2)
	v_and_b32_e32 v30, 7, v34
; %bb.86:                               ;   in Loop: Header=BB263_9 Depth=1
	s_or_b32 exec_lo, exec_lo, s31
	s_delay_alu instid0(VALU_DEP_1) | instskip(NEXT) | instid1(VALU_DEP_3)
	v_dual_lshlrev_b32 v2, 8, v32 :: v_dual_lshlrev_b32 v30, 23, v30
	v_lshl_add_u32 v32, v33, 10, 0x2000
	s_delay_alu instid0(VALU_DEP_1) | instskip(NEXT) | instid1(VALU_DEP_1)
	v_and_or_b32 v2, 0x8000, v2, v32
	v_lshl_or_b32 v30, v2, 16, v30
.LBB263_87:                             ;   in Loop: Header=BB263_9 Depth=1
	s_or_b32 exec_lo, exec_lo, s30
.LBB263_88:                             ;   in Loop: Header=BB263_9 Depth=1
	s_delay_alu instid0(SALU_CYCLE_1)
	s_or_b32 exec_lo, exec_lo, s29
.LBB263_89:                             ;   in Loop: Header=BB263_9 Depth=1
	s_delay_alu instid0(SALU_CYCLE_1) | instskip(SKIP_3) | instid1(VALU_DEP_2)
	s_or_b32 exec_lo, exec_lo, s28
	v_dual_lshrrev_b32 v2, 16, v10 :: v_dual_mov_b32 v32, 0
	v_mov_b32_e32 v33, 0
	s_mov_b32 s28, exec_lo
	v_and_b32_e32 v34, 0xff, v2
	s_delay_alu instid0(VALU_DEP_1)
	v_cmpx_ne_u16_e32 0, v34
	s_cbranch_execz .LBB263_97
; %bb.90:                               ;   in Loop: Header=BB263_9 Depth=1
	v_mov_b32_e32 v33, 0x8000
	s_mov_b32 s29, exec_lo
	v_cmpx_ne_u16_e32 0x80, v34
	s_cbranch_execz .LBB263_96
; %bb.91:                               ;   in Loop: Header=BB263_9 Depth=1
	v_bfe_u32 v35, v10, 16, 7
	v_mov_b32_e32 v33, 0x7c01
	s_mov_b32 s30, exec_lo
	s_delay_alu instid0(VALU_DEP_2)
	v_cmpx_ne_u32_e32 0x7f, v35
	s_cbranch_execz .LBB263_95
; %bb.92:                               ;   in Loop: Header=BB263_9 Depth=1
	v_dual_lshrrev_b32 v34, 3, v35 :: v_dual_bitop2_b32 v33, 7, v2 bitop3:0x40
	s_mov_b32 s31, exec_lo
	v_cmpx_gt_u32_e32 8, v35
; %bb.93:                               ;   in Loop: Header=BB263_9 Depth=1
	s_delay_alu instid0(VALU_DEP_2) | instskip(NEXT) | instid1(VALU_DEP_1)
	v_clz_i32_u32_e32 v33, v33
	v_min_u32_e32 v33, 32, v33
	s_delay_alu instid0(VALU_DEP_1) | instskip(NEXT) | instid1(VALU_DEP_1)
	v_subrev_nc_u32_e32 v34, 28, v33
	v_lshlrev_b64_e32 v[36:37], v34, v[2:3]
	s_delay_alu instid0(VALU_DEP_1)
	v_dual_sub_nc_u32 v34, 29, v33 :: v_dual_bitop2_b32 v33, 7, v36 bitop3:0x40
; %bb.94:                               ;   in Loop: Header=BB263_9 Depth=1
	s_or_b32 exec_lo, exec_lo, s31
	s_delay_alu instid0(VALU_DEP_1) | instskip(NEXT) | instid1(VALU_DEP_2)
	v_dual_lshlrev_b32 v2, 8, v2 :: v_dual_lshlrev_b32 v33, 7, v33
	v_lshl_add_u32 v34, v34, 10, 0x2000
	s_delay_alu instid0(VALU_DEP_2) | instskip(NEXT) | instid1(VALU_DEP_2)
	v_and_b32_e32 v2, 0x8000, v2
	v_and_b32_e32 v34, 0xfc00, v34
	s_delay_alu instid0(VALU_DEP_1)
	v_or3_b32 v33, v2, v34, v33
.LBB263_95:                             ;   in Loop: Header=BB263_9 Depth=1
	s_or_b32 exec_lo, exec_lo, s30
.LBB263_96:                             ;   in Loop: Header=BB263_9 Depth=1
	s_delay_alu instid0(SALU_CYCLE_1)
	s_or_b32 exec_lo, exec_lo, s29
.LBB263_97:                             ;   in Loop: Header=BB263_9 Depth=1
	s_delay_alu instid0(SALU_CYCLE_1) | instskip(NEXT) | instid1(SALU_CYCLE_1)
	s_or_b32 exec_lo, exec_lo, s28
	s_mov_b32 s28, exec_lo
	v_cmpx_lt_u32_e32 0xffffff, v10
	s_cbranch_execz .LBB263_105
; %bb.98:                               ;   in Loop: Header=BB263_9 Depth=1
	v_lshrrev_b32_e32 v2, 24, v10
	v_bfrev_b32_e32 v32, 1
	s_mov_b32 s29, exec_lo
	s_delay_alu instid0(VALU_DEP_2)
	v_cmpx_ne_u32_e32 0x80, v2
	s_cbranch_execz .LBB263_104
; %bb.99:                               ;   in Loop: Header=BB263_9 Depth=1
	v_and_b32_e32 v34, 0x7f, v2
	v_mov_b32_e32 v32, 0x7c010000
	s_mov_b32 s30, exec_lo
	s_delay_alu instid0(VALU_DEP_2)
	v_cmpx_ne_u32_e32 0x7f, v34
	s_cbranch_execz .LBB263_103
; %bb.100:                              ;   in Loop: Header=BB263_9 Depth=1
	v_and_b32_e32 v10, 7, v2
	v_lshrrev_b32_e32 v32, 3, v34
	s_mov_b32 s31, exec_lo
	v_cmpx_gt_u32_e32 8, v34
; %bb.101:                              ;   in Loop: Header=BB263_9 Depth=1
	s_delay_alu instid0(VALU_DEP_3) | instskip(NEXT) | instid1(VALU_DEP_1)
	v_clz_i32_u32_e32 v10, v10
	v_min_u32_e32 v10, 32, v10
	s_delay_alu instid0(VALU_DEP_1) | instskip(NEXT) | instid1(VALU_DEP_1)
	v_subrev_nc_u32_e32 v32, 28, v10
	v_lshlrev_b64_e32 v[34:35], v32, v[2:3]
	v_sub_nc_u32_e32 v32, 29, v10
	s_delay_alu instid0(VALU_DEP_2)
	v_and_b32_e32 v10, 7, v34
; %bb.102:                              ;   in Loop: Header=BB263_9 Depth=1
	s_or_b32 exec_lo, exec_lo, s31
	v_lshlrev_b32_e32 v2, 8, v2
	s_delay_alu instid0(VALU_DEP_3) | instskip(NEXT) | instid1(VALU_DEP_3)
	v_lshl_add_u32 v32, v32, 10, 0x2000
	v_lshlrev_b32_e32 v10, 23, v10
	s_delay_alu instid0(VALU_DEP_2) | instskip(NEXT) | instid1(VALU_DEP_1)
	v_and_or_b32 v2, 0x8000, v2, v32
	v_lshl_or_b32 v32, v2, 16, v10
.LBB263_103:                            ;   in Loop: Header=BB263_9 Depth=1
	s_or_b32 exec_lo, exec_lo, s30
.LBB263_104:                            ;   in Loop: Header=BB263_9 Depth=1
	s_delay_alu instid0(SALU_CYCLE_1)
	s_or_b32 exec_lo, exec_lo, s29
.LBB263_105:                            ;   in Loop: Header=BB263_9 Depth=1
	s_delay_alu instid0(SALU_CYCLE_1)
	s_or_b32 exec_lo, exec_lo, s28
	global_load_b32 v8, v[8:9], off offset:264
	s_wait_xcnt 0x0
	v_dual_mov_b32 v9, 0 :: v_dual_mov_b32 v10, 0
	s_mov_b32 s28, exec_lo
	s_wait_loadcnt 0x0
	v_and_b32_e32 v2, 0xff, v8
	s_delay_alu instid0(VALU_DEP_1)
	v_cmpx_ne_u16_e32 0, v2
	s_cbranch_execz .LBB263_113
; %bb.106:                              ;   in Loop: Header=BB263_9 Depth=1
	v_mov_b32_e32 v10, 0x8000
	s_mov_b32 s29, exec_lo
	v_cmpx_ne_u16_e32 0x80, v2
	s_cbranch_execz .LBB263_112
; %bb.107:                              ;   in Loop: Header=BB263_9 Depth=1
	v_and_b32_e32 v34, 0x7f, v8
	v_mov_b32_e32 v10, 0x7c01
	s_mov_b32 s30, exec_lo
	s_delay_alu instid0(VALU_DEP_2)
	v_cmpx_ne_u32_e32 0x7f, v34
	s_cbranch_execz .LBB263_111
; %bb.108:                              ;   in Loop: Header=BB263_9 Depth=1
	v_dual_lshrrev_b32 v10, 3, v34 :: v_dual_bitop2_b32 v2, 7, v8 bitop3:0x40
	s_mov_b32 s31, exec_lo
	v_cmpx_gt_u32_e32 8, v34
; %bb.109:                              ;   in Loop: Header=BB263_9 Depth=1
	s_delay_alu instid0(VALU_DEP_2) | instskip(NEXT) | instid1(VALU_DEP_1)
	v_clz_i32_u32_e32 v2, v2
	v_min_u32_e32 v2, 32, v2
	s_delay_alu instid0(VALU_DEP_1) | instskip(NEXT) | instid1(VALU_DEP_1)
	v_subrev_nc_u32_e32 v10, 28, v2
	v_lshlrev_b64_e32 v[34:35], v10, v[8:9]
	v_sub_nc_u32_e32 v10, 29, v2
	s_delay_alu instid0(VALU_DEP_2)
	v_and_b32_e32 v2, 7, v34
; %bb.110:                              ;   in Loop: Header=BB263_9 Depth=1
	s_or_b32 exec_lo, exec_lo, s31
	s_delay_alu instid0(VALU_DEP_1) | instskip(NEXT) | instid1(VALU_DEP_3)
	v_dual_lshlrev_b32 v34, 8, v8 :: v_dual_lshlrev_b32 v2, 7, v2
	v_lshl_add_u32 v10, v10, 10, 0x2000
	s_delay_alu instid0(VALU_DEP_2) | instskip(NEXT) | instid1(VALU_DEP_2)
	v_and_b32_e32 v34, 0x8000, v34
	v_and_b32_e32 v10, 0xfc00, v10
	s_delay_alu instid0(VALU_DEP_1)
	v_or3_b32 v10, v34, v10, v2
.LBB263_111:                            ;   in Loop: Header=BB263_9 Depth=1
	s_or_b32 exec_lo, exec_lo, s30
.LBB263_112:                            ;   in Loop: Header=BB263_9 Depth=1
	s_delay_alu instid0(SALU_CYCLE_1)
	s_or_b32 exec_lo, exec_lo, s29
.LBB263_113:                            ;   in Loop: Header=BB263_9 Depth=1
	s_delay_alu instid0(SALU_CYCLE_1) | instskip(SKIP_2) | instid1(VALU_DEP_1)
	s_or_b32 exec_lo, exec_lo, s28
	v_lshrrev_b16 v2, 8, v8
	s_mov_b32 s28, exec_lo
	v_cmpx_ne_u16_e32 0, v2
	s_cbranch_execz .LBB263_121
; %bb.114:                              ;   in Loop: Header=BB263_9 Depth=1
	v_bfrev_b32_e32 v9, 1
	s_mov_b32 s29, exec_lo
	v_cmpx_ne_u16_e32 0x80, v2
	s_cbranch_execz .LBB263_120
; %bb.115:                              ;   in Loop: Header=BB263_9 Depth=1
	v_and_b32_e32 v34, 0xffff, v2
	v_mov_b32_e32 v9, 0x7c010000
	s_mov_b32 s30, exec_lo
	s_delay_alu instid0(VALU_DEP_2) | instskip(NEXT) | instid1(VALU_DEP_1)
	v_and_b32_e32 v36, 0x7f, v34
	v_cmpx_ne_u32_e32 0x7f, v36
	s_cbranch_execz .LBB263_119
; %bb.116:                              ;   in Loop: Header=BB263_9 Depth=1
	v_dual_lshrrev_b32 v35, 3, v36 :: v_dual_bitop2_b32 v9, 7, v34 bitop3:0x40
	s_mov_b32 s31, exec_lo
	v_cmpx_gt_u32_e32 8, v36
; %bb.117:                              ;   in Loop: Header=BB263_9 Depth=1
	s_delay_alu instid0(VALU_DEP_2) | instskip(NEXT) | instid1(VALU_DEP_1)
	v_clz_i32_u32_e32 v9, v9
	v_min_u32_e32 v9, 32, v9
	s_delay_alu instid0(VALU_DEP_1) | instskip(NEXT) | instid1(VALU_DEP_1)
	v_subrev_nc_u32_e32 v35, 28, v9
	v_lshlrev_b64_e32 v[36:37], v35, v[2:3]
	s_delay_alu instid0(VALU_DEP_1)
	v_dual_sub_nc_u32 v35, 29, v9 :: v_dual_bitop2_b32 v9, 7, v36 bitop3:0x40
; %bb.118:                              ;   in Loop: Header=BB263_9 Depth=1
	s_or_b32 exec_lo, exec_lo, s31
	s_delay_alu instid0(VALU_DEP_1) | instskip(NEXT) | instid1(VALU_DEP_2)
	v_dual_lshlrev_b32 v2, 8, v34 :: v_dual_lshlrev_b32 v9, 23, v9
	v_lshl_add_u32 v34, v35, 10, 0x2000
	s_delay_alu instid0(VALU_DEP_1) | instskip(NEXT) | instid1(VALU_DEP_1)
	v_and_or_b32 v2, 0x8000, v2, v34
	v_lshl_or_b32 v9, v2, 16, v9
.LBB263_119:                            ;   in Loop: Header=BB263_9 Depth=1
	s_or_b32 exec_lo, exec_lo, s30
.LBB263_120:                            ;   in Loop: Header=BB263_9 Depth=1
	s_delay_alu instid0(SALU_CYCLE_1)
	s_or_b32 exec_lo, exec_lo, s29
.LBB263_121:                            ;   in Loop: Header=BB263_9 Depth=1
	s_delay_alu instid0(SALU_CYCLE_1) | instskip(SKIP_3) | instid1(VALU_DEP_2)
	s_or_b32 exec_lo, exec_lo, s28
	v_dual_lshrrev_b32 v2, 16, v8 :: v_dual_mov_b32 v34, 0
	v_mov_b32_e32 v35, 0
	s_mov_b32 s28, exec_lo
	v_and_b32_e32 v36, 0xff, v2
	s_delay_alu instid0(VALU_DEP_1)
	v_cmpx_ne_u16_e32 0, v36
	s_cbranch_execz .LBB263_129
; %bb.122:                              ;   in Loop: Header=BB263_9 Depth=1
	v_mov_b32_e32 v35, 0x8000
	s_mov_b32 s29, exec_lo
	v_cmpx_ne_u16_e32 0x80, v36
	s_cbranch_execz .LBB263_128
; %bb.123:                              ;   in Loop: Header=BB263_9 Depth=1
	v_bfe_u32 v37, v8, 16, 7
	v_mov_b32_e32 v35, 0x7c01
	s_mov_b32 s30, exec_lo
	s_delay_alu instid0(VALU_DEP_2)
	v_cmpx_ne_u32_e32 0x7f, v37
	s_cbranch_execz .LBB263_127
; %bb.124:                              ;   in Loop: Header=BB263_9 Depth=1
	v_dual_lshrrev_b32 v36, 3, v37 :: v_dual_bitop2_b32 v35, 7, v2 bitop3:0x40
	s_mov_b32 s31, exec_lo
	v_cmpx_gt_u32_e32 8, v37
; %bb.125:                              ;   in Loop: Header=BB263_9 Depth=1
	s_delay_alu instid0(VALU_DEP_2) | instskip(NEXT) | instid1(VALU_DEP_1)
	v_clz_i32_u32_e32 v35, v35
	v_min_u32_e32 v35, 32, v35
	s_delay_alu instid0(VALU_DEP_1) | instskip(NEXT) | instid1(VALU_DEP_1)
	v_subrev_nc_u32_e32 v36, 28, v35
	v_lshlrev_b64_e32 v[38:39], v36, v[2:3]
	s_delay_alu instid0(VALU_DEP_1)
	v_dual_sub_nc_u32 v36, 29, v35 :: v_dual_bitop2_b32 v35, 7, v38 bitop3:0x40
; %bb.126:                              ;   in Loop: Header=BB263_9 Depth=1
	s_or_b32 exec_lo, exec_lo, s31
	s_delay_alu instid0(VALU_DEP_1) | instskip(NEXT) | instid1(VALU_DEP_2)
	v_dual_lshlrev_b32 v2, 8, v2 :: v_dual_lshlrev_b32 v35, 7, v35
	v_lshl_add_u32 v36, v36, 10, 0x2000
	s_delay_alu instid0(VALU_DEP_2) | instskip(NEXT) | instid1(VALU_DEP_2)
	v_and_b32_e32 v2, 0x8000, v2
	v_and_b32_e32 v36, 0xfc00, v36
	s_delay_alu instid0(VALU_DEP_1)
	v_or3_b32 v35, v2, v36, v35
.LBB263_127:                            ;   in Loop: Header=BB263_9 Depth=1
	s_or_b32 exec_lo, exec_lo, s30
.LBB263_128:                            ;   in Loop: Header=BB263_9 Depth=1
	s_delay_alu instid0(SALU_CYCLE_1)
	s_or_b32 exec_lo, exec_lo, s29
.LBB263_129:                            ;   in Loop: Header=BB263_9 Depth=1
	s_delay_alu instid0(SALU_CYCLE_1) | instskip(NEXT) | instid1(SALU_CYCLE_1)
	s_or_b32 exec_lo, exec_lo, s28
	s_mov_b32 s28, exec_lo
	v_cmpx_lt_u32_e32 0xffffff, v8
	s_cbranch_execz .LBB263_137
; %bb.130:                              ;   in Loop: Header=BB263_9 Depth=1
	v_lshrrev_b32_e32 v2, 24, v8
	v_bfrev_b32_e32 v34, 1
	s_mov_b32 s29, exec_lo
	s_delay_alu instid0(VALU_DEP_2)
	v_cmpx_ne_u32_e32 0x80, v2
	s_cbranch_execz .LBB263_136
; %bb.131:                              ;   in Loop: Header=BB263_9 Depth=1
	v_and_b32_e32 v36, 0x7f, v2
	v_mov_b32_e32 v34, 0x7c010000
	s_mov_b32 s30, exec_lo
	s_delay_alu instid0(VALU_DEP_2)
	v_cmpx_ne_u32_e32 0x7f, v36
	s_cbranch_execz .LBB263_135
; %bb.132:                              ;   in Loop: Header=BB263_9 Depth=1
	v_dual_lshrrev_b32 v34, 3, v36 :: v_dual_bitop2_b32 v8, 7, v2 bitop3:0x40
	s_mov_b32 s31, exec_lo
	v_cmpx_gt_u32_e32 8, v36
; %bb.133:                              ;   in Loop: Header=BB263_9 Depth=1
	s_delay_alu instid0(VALU_DEP_2) | instskip(NEXT) | instid1(VALU_DEP_1)
	v_clz_i32_u32_e32 v8, v8
	v_min_u32_e32 v8, 32, v8
	s_delay_alu instid0(VALU_DEP_1) | instskip(NEXT) | instid1(VALU_DEP_1)
	v_subrev_nc_u32_e32 v34, 28, v8
	v_lshlrev_b64_e32 v[36:37], v34, v[2:3]
	v_sub_nc_u32_e32 v34, 29, v8
	s_delay_alu instid0(VALU_DEP_2)
	v_and_b32_e32 v8, 7, v36
; %bb.134:                              ;   in Loop: Header=BB263_9 Depth=1
	s_or_b32 exec_lo, exec_lo, s31
	s_delay_alu instid0(VALU_DEP_1) | instskip(NEXT) | instid1(VALU_DEP_3)
	v_dual_lshlrev_b32 v2, 8, v2 :: v_dual_lshlrev_b32 v8, 23, v8
	v_lshl_add_u32 v34, v34, 10, 0x2000
	s_delay_alu instid0(VALU_DEP_1) | instskip(NEXT) | instid1(VALU_DEP_1)
	v_and_or_b32 v2, 0x8000, v2, v34
	v_lshl_or_b32 v34, v2, 16, v8
.LBB263_135:                            ;   in Loop: Header=BB263_9 Depth=1
	s_or_b32 exec_lo, exec_lo, s30
.LBB263_136:                            ;   in Loop: Header=BB263_9 Depth=1
	s_delay_alu instid0(SALU_CYCLE_1)
	s_or_b32 exec_lo, exec_lo, s29
.LBB263_137:                            ;   in Loop: Header=BB263_9 Depth=1
	s_delay_alu instid0(SALU_CYCLE_1)
	s_or_b32 exec_lo, exec_lo, s28
	ds_load_b64 v[36:37], v14
	v_or_b32_e32 v2, v19, v20
	v_or_b32_e32 v8, v21, v25
	v_fma_mixlo_f16 v20, v18, v21, 0 op_sel:[0,1,0] op_sel_hi:[0,1,0]
	v_fma_mixlo_f16 v19, v18, v19, 0 op_sel:[0,1,0] op_sel_hi:[0,1,0]
	s_delay_alu instid0(VALU_DEP_2) | instskip(NEXT) | instid1(VALU_DEP_2)
	v_and_b32_e32 v20, 0xffff, v20
	v_and_b32_e32 v19, 0xffff, v19
	s_wait_dscnt 0x0
	v_and_b32_e32 v21, 0xffff, v36
	v_lshrrev_b32_e32 v25, 16, v36
	v_fma_mixlo_f16 v8, v18, v8, 0 op_sel_hi:[0,1,0]
	v_lshrrev_b32_e32 v36, 16, v37
	v_fma_mixlo_f16 v2, v18, v2, 0 op_sel_hi:[0,1,0]
	v_and_b32_e32 v37, 0xffff, v37
	;;#ASMSTART
	v_cvt_f32_f16 v38, v21;
	;;#ASMEND
	v_and_b32_e32 v8, 0xffff, v8
	;;#ASMSTART
	v_cvt_f32_f16 v39, v25;
	;;#ASMEND
	;; [unrolled: 4-line block ×3, first 2 shown]
	;;#ASMSTART
	v_cvt_f32_f16 v41, v19;
	;;#ASMEND
	;;#ASMSTART
	v_cvt_f32_f16 v37, v37;
	;;#ASMEND
	;; [unrolled: 3-line block ×5, first 2 shown]
	ds_load_b64 v[20:21], v14 offset:8
	v_or_b32_e32 v2, v26, v27
	v_or_b32_e32 v8, v28, v29
	v_fma_mixlo_f16 v19, v18, v26, 0 op_sel:[0,1,0] op_sel_hi:[0,1,0]
	v_fma_mixlo_f16 v25, v18, v28, 0 op_sel:[0,1,0] op_sel_hi:[0,1,0]
	s_delay_alu instid0(VALU_DEP_3) | instskip(NEXT) | instid1(VALU_DEP_3)
	v_fma_mixlo_f16 v8, v18, v8, 0 op_sel_hi:[0,1,0]
	v_and_b32_e32 v19, 0xffff, v19
	s_delay_alu instid0(VALU_DEP_3) | instskip(NEXT) | instid1(VALU_DEP_3)
	v_and_b32_e32 v25, 0xffff, v25
	v_and_b32_e32 v8, 0xffff, v8
	s_wait_dscnt 0x0
	v_and_b32_e32 v26, 0xffff, v20
	v_lshrrev_b32_e32 v20, 16, v20
	v_fma_mixlo_f16 v2, v18, v2, 0 op_sel_hi:[0,1,0]
	v_lshrrev_b32_e32 v27, 16, v21
	v_and_b32_e32 v21, 0xffff, v21
	;;#ASMSTART
	v_cvt_f32_f16 v28, v26;
	;;#ASMEND
	;;#ASMSTART
	v_cvt_f32_f16 v29, v20;
	;;#ASMEND
	v_and_b32_e32 v2, 0xffff, v2
	;;#ASMSTART
	v_cvt_f32_f16 v44, v2;
	;;#ASMEND
	;;#ASMSTART
	v_cvt_f32_f16 v45, v19;
	;;#ASMEND
	;; [unrolled: 3-line block ×3, first 2 shown]
	v_or_b32_e32 v2, v30, v31
	;;#ASMSTART
	v_cvt_f32_f16 v47, v27;
	;;#ASMEND
	;;#ASMSTART
	v_cvt_f32_f16 v48, v8;
	;;#ASMEND
	;; [unrolled: 3-line block ×3, first 2 shown]
	ds_load_b64 v[20:21], v14 offset:16
	v_or_b32_e32 v19, v32, v33
	v_fma_mixlo_f16 v2, v18, v2, 0 op_sel_hi:[0,1,0]
	v_fma_mixlo_f16 v8, v18, v30, 0 op_sel:[0,1,0] op_sel_hi:[0,1,0]
	v_fma_mixlo_f16 v25, v18, v32, 0 op_sel:[0,1,0] op_sel_hi:[0,1,0]
	v_or_b32_e32 v10, v9, v10
	v_fma_mixlo_f16 v26, v18, v9, 0 op_sel:[0,1,0] op_sel_hi:[0,1,0]
	v_fma_mixlo_f16 v9, v18, v19, 0 op_sel_hi:[0,1,0]
	v_and_b32_e32 v2, 0xffff, v2
	v_and_b32_e32 v8, 0xffff, v8
	v_and_b32_e32 v19, 0xffff, v25
	v_or_b32_e32 v27, v34, v35
	v_and_b32_e32 v9, 0xffff, v9
	v_and_b32_e32 v26, 0xffff, v26
	s_wait_dscnt 0x0
	v_and_b32_e32 v25, 0xffff, v20
	v_lshrrev_b32_e32 v30, 16, v21
	v_and_b32_e32 v21, 0xffff, v21
	v_lshrrev_b32_e32 v20, 16, v20
	;;#ASMSTART
	v_cvt_f32_f16 v25, v25;
	;;#ASMEND
	;;#ASMSTART
	v_cvt_f32_f16 v31, v20;
	;;#ASMEND
	;; [unrolled: 3-line block ×8, first 2 shown]
	ds_load_b64 v[8:9], v14 offset:24
	v_fma_mixlo_f16 v2, v18, v34, 0 op_sel:[0,1,0] op_sel_hi:[0,1,0]
	v_fma_mixlo_f16 v10, v18, v10, 0 op_sel_hi:[0,1,0]
	v_fma_mixlo_f16 v18, v18, v27, 0 op_sel_hi:[0,1,0]
	v_mul_f32_e32 v20, v46, v48
	s_delay_alu instid0(VALU_DEP_4) | instskip(SKIP_2) | instid1(VALU_DEP_4)
	v_and_b32_e32 v27, 0xffff, v2
	v_dual_mul_f32 v2, v28, v44 :: v_dual_mul_f32 v19, v29, v45
	v_and_b32_e32 v28, 0xffff, v10
	v_dual_mul_f32 v10, v47, v49 :: v_dual_fmac_f32 v20, v37, v42
	s_delay_alu instid0(VALU_DEP_3) | instskip(SKIP_1) | instid1(VALU_DEP_3)
	v_dual_fmac_f32 v2, v38, v40 :: v_dual_fmac_f32 v19, v39, v41
	v_and_b32_e32 v18, 0xffff, v18
	v_fmac_f32_e32 v10, v36, v43
	s_delay_alu instid0(VALU_DEP_4) | instskip(NEXT) | instid1(VALU_DEP_4)
	v_fmac_f32_e32 v20, v21, v35
	v_dual_fmac_f32 v2, v25, v32 :: v_dual_fmac_f32 v19, v31, v33
	s_wait_dscnt 0x0
	v_and_b32_e32 v21, 0xffff, v8
	v_dual_lshrrev_b32 v8, 16, v8 :: v_dual_fmac_f32 v10, v30, v50
	v_lshrrev_b32_e32 v25, 16, v9
	v_and_b32_e32 v9, 0xffff, v9
	;;#ASMSTART
	v_cvt_f32_f16 v21, v21;
	;;#ASMEND
	;;#ASMSTART
	v_cvt_f32_f16 v8, v8;
	;;#ASMEND
	;;#ASMSTART
	v_cvt_f32_f16 v28, v28;
	;;#ASMEND
	;;#ASMSTART
	v_cvt_f32_f16 v26, v26;
	;;#ASMEND
	v_dual_fmac_f32 v2, v21, v28 :: v_dual_fmac_f32 v19, v8, v26
	;;#ASMSTART
	v_cvt_f32_f16 v8, v9;
	;;#ASMEND
	;;#ASMSTART
	v_cvt_f32_f16 v9, v25;
	;;#ASMEND
	;;#ASMSTART
	v_cvt_f32_f16 v18, v18;
	;;#ASMEND
	s_delay_alu instid0(VALU_DEP_1) | instskip(SKIP_2) | instid1(VALU_DEP_2)
	v_dual_fmac_f32 v20, v8, v18 :: v_dual_add_f32 v2, v2, v19
	;;#ASMSTART
	v_cvt_f32_f16 v18, v27;
	;;#ASMEND
	v_dual_fmac_f32 v10, v9, v18 :: v_dual_bitop2_b32 v8, 1, v11 bitop3:0x14
	v_add_f32_e32 v2, v2, v20
	s_delay_alu instid0(VALU_DEP_2) | instskip(NEXT) | instid1(VALU_DEP_1)
	v_cmp_gt_i32_e64 s4, 32, v8
	v_dual_add_f32 v2, v10, v2 :: v_dual_cndmask_b32 v8, v11, v8, s4
	s_delay_alu instid0(VALU_DEP_1)
	v_lshlrev_b32_e32 v8, 2, v8
	ds_bpermute_b32 v8, v8, v2
	s_and_saveexec_b32 s28, vcc_lo
	s_cbranch_execz .LBB263_8
; %bb.138:                              ;   in Loop: Header=BB263_9 Depth=1
	s_wait_dscnt 0x0
	v_dual_add_f32 v2, v2, v8 :: v_dual_add_nc_u32 v9, s27, v15
	v_cmp_gt_i32_e64 s4, s23, v15
	s_delay_alu instid0(VALU_DEP_2) | instskip(NEXT) | instid1(VALU_DEP_1)
	v_cvt_f32_i32_e32 v9, v9
	v_mul_f32_e32 v9, s25, v9
	s_delay_alu instid0(VALU_DEP_1) | instskip(NEXT) | instid1(VALU_DEP_1)
	v_cndmask_b32_e64 v8, 0, v9, s3
	v_dual_fmac_f32 v8, s7, v2 :: v_dual_max_num_f32 v9, v13, v13
	s_delay_alu instid0(VALU_DEP_1) | instskip(NEXT) | instid1(VALU_DEP_1)
	v_dual_max_num_f32 v2, v9, v8 :: v_dual_cndmask_b32 v8, 0, v8, s4
	v_cndmask_b32_e64 v13, v13, v2, s4
	ds_store_b32 v16, v8
	s_branch .LBB263_8
.LBB263_139:
	s_or_b32 exec_lo, exec_lo, s6
.LBB263_140:
	s_delay_alu instid0(SALU_CYCLE_1)
	s_or_b32 exec_lo, exec_lo, s26
	v_dual_max_num_f32 v6, v13, v13 :: v_dual_bitop2_b32 v2, 16, v11 bitop3:0x14
	s_load_b64 s[6:7], s[0:1], 0x0
	s_wait_kmcnt 0x0
	s_load_b64 s[8:9], s[0:1], 0x18
	v_xor_b32_e32 v5, 8, v11
	v_xor_b32_e32 v7, 4, v11
	v_cmp_lt_i32_e32 vcc_lo, v2, v12
	v_dual_cndmask_b32 v2, v11, v2, vcc_lo :: v_dual_bitop2_b32 v25, 31, v0 bitop3:0x40
	s_delay_alu instid0(VALU_DEP_4) | instskip(NEXT) | instid1(VALU_DEP_2)
	v_cmp_lt_i32_e32 vcc_lo, v5, v12
	v_dual_cndmask_b32 v5, v11, v5 :: v_dual_lshlrev_b32 v4, 2, v2
	v_cmp_lt_i32_e32 vcc_lo, v7, v12
	ds_bpermute_b32 v2, v4, v13
	s_wait_dscnt 0x0
	v_dual_max_num_f32 v2, v2, v2 :: v_dual_lshlrev_b32 v5, 2, v5
	s_delay_alu instid0(VALU_DEP_1) | instskip(SKIP_3) | instid1(VALU_DEP_1)
	v_max_num_f32_e32 v2, v6, v2
	ds_bpermute_b32 v6, v5, v2
	s_wait_dscnt 0x0
	v_dual_cndmask_b32 v7, v11, v7 :: v_dual_max_num_f32 v8, v6, v6
	v_dual_lshlrev_b32 v6, 2, v7 :: v_dual_max_num_f32 v2, v2, v8
	v_xor_b32_e32 v8, 2, v11
	ds_bpermute_b32 v7, v6, v2
	v_cmp_lt_i32_e32 vcc_lo, v8, v12
	s_wait_dscnt 0x0
	v_max_num_f32_e32 v7, v7, v7
	v_cndmask_b32_e32 v9, v11, v8, vcc_lo
	v_cmp_eq_u32_e32 vcc_lo, 0, v25
	s_delay_alu instid0(VALU_DEP_2)
	v_dual_max_num_f32 v8, v2, v7 :: v_dual_lshlrev_b32 v2, 2, v9
	v_lshlrev_b32_e32 v7, 2, v24
	ds_bpermute_b32 v9, v2, v8
	s_wait_xcnt 0x0
	s_and_saveexec_b32 s0, vcc_lo
	s_cbranch_execz .LBB263_142
; %bb.141:
	s_wait_dscnt 0x0
	v_dual_max_num_f32 v9, v9, v9 :: v_dual_max_num_f32 v8, v8, v8
	s_delay_alu instid0(VALU_DEP_1)
	v_max_num_f32_e32 v8, v8, v9
	ds_store_b32 v7, v8 offset:64
.LBB263_142:
	s_or_b32 exec_lo, exec_lo, s0
	v_cmp_gt_u32_e64 s0, 4, v25
	s_wait_dscnt 0x0
	v_dual_mov_b32 v9, 0xff7fffff :: v_dual_lshlrev_b32 v8, 2, v25
	s_barrier_signal -1
	s_barrier_wait -1
	s_and_saveexec_b32 s1, s0
; %bb.143:
	ds_load_b32 v9, v8 offset:64
; %bb.144:
	s_or_b32 exec_lo, exec_lo, s1
	s_wait_dscnt 0x0
	ds_bpermute_b32 v10, v2, v9
	v_dual_max_num_f32 v9, v9, v9 :: v_dual_bitop2_b32 v13, 1, v11 bitop3:0x14
	v_lshlrev_b32_e32 v3, 2, v3
	s_delay_alu instid0(VALU_DEP_2) | instskip(NEXT) | instid1(VALU_DEP_1)
	v_cmp_lt_i32_e64 s1, v13, v12
	v_cndmask_b32_e64 v12, v11, v13, s1
	s_lshl_b32 s1, s24, 4
	s_delay_alu instid0(SALU_CYCLE_1) | instskip(NEXT) | instid1(SALU_CYCLE_1)
	s_min_i32 s4, s1, s23
	v_cmp_gt_i32_e64 s1, s4, v0
	s_wait_dscnt 0x0
	v_dual_max_num_f32 v10, v10, v10 :: v_dual_lshlrev_b32 v26, 2, v12
	s_delay_alu instid0(VALU_DEP_1) | instskip(SKIP_3) | instid1(VALU_DEP_1)
	v_max_num_f32_e32 v9, v9, v10
	ds_bpermute_b32 v10, v26, v9
	s_wait_dscnt 0x0
	v_max_num_f32_e32 v10, v10, v10
	v_max_num_f32_e32 v9, v9, v10
	ds_bpermute_b32 v9, v3, v9
	v_mov_b32_e32 v3, 0
	s_and_saveexec_b32 s19, s1
	s_cbranch_execz .LBB263_148
; %bb.145:
	v_lshl_add_u32 v10, v0, 2, 0x60
	v_dual_mov_b32 v3, 0 :: v_dual_mov_b32 v12, v0
	s_mov_b32 s25, 0
.LBB263_146:                            ; =>This Inner Loop Header: Depth=1
	ds_load_b32 v13, v10
	v_add_nc_u32_e32 v12, 0x80, v12
	s_delay_alu instid0(VALU_DEP_1) | instskip(SKIP_3) | instid1(VALU_DEP_1)
	v_cmp_le_i32_e64 s3, s4, v12
	s_or_b32 s25, s3, s25
	s_wait_dscnt 0x0
	v_sub_f32_e32 v13, v13, v9
	v_mul_f32_e32 v13, 0x3fb8aa3b, v13
	s_delay_alu instid0(VALU_DEP_1)
	v_exp_f32_e32 v13, v13
	ds_store_b32 v10, v13
	v_nop
	v_dual_add_f32 v3, v3, v13 :: v_dual_add_nc_u32 v10, 0x200, v10
	s_and_not1_b32 exec_lo, exec_lo, s25
	s_cbranch_execnz .LBB263_146
; %bb.147:
	s_or_b32 exec_lo, exec_lo, s25
.LBB263_148:
	s_delay_alu instid0(SALU_CYCLE_1)
	s_or_b32 exec_lo, exec_lo, s19
	ds_bpermute_b32 v4, v4, v3
	s_wait_dscnt 0x0
	v_add_f32_e32 v3, v3, v4
	ds_bpermute_b32 v4, v5, v3
	s_wait_dscnt 0x0
	v_add_f32_e32 v3, v3, v4
	;; [unrolled: 3-line block ×5, first 2 shown]
	s_and_saveexec_b32 s3, vcc_lo
; %bb.149:
	ds_store_b32 v7, v3 offset:80
; %bb.150:
	s_or_b32 exec_lo, exec_lo, s3
	s_wait_dscnt 0x0
	s_barrier_signal -1
	s_barrier_wait -1
	s_and_saveexec_b32 s3, s0
; %bb.151:
	ds_load_b32 v3, v8 offset:80
; %bb.152:
	s_or_b32 exec_lo, exec_lo, s3
	s_wait_dscnt 0x0
	ds_bpermute_b32 v2, v2, v3
	s_wait_dscnt 0x0
	v_dual_lshlrev_b32 v4, 2, v11 :: v_dual_add_f32 v2, v3, v2
	ds_bpermute_b32 v3, v26, v2
	s_wait_dscnt 0x0
	v_add_f32_e32 v2, v2, v3
	v_and_b32_e32 v3, 0xffffff80, v4
	ds_bpermute_b32 v2, v3, v2
	s_and_saveexec_b32 s0, s1
	s_cbranch_execz .LBB263_165
; %bb.153:
	s_wait_dscnt 0x0
	v_add_f32_e32 v2, 0x358637bd, v2
	s_mov_b32 s3, -1
	s_mov_b32 s1, exec_lo
	s_delay_alu instid0(VALU_DEP_1) | instskip(NEXT) | instid1(VALU_DEP_1)
	v_div_scale_f32 v3, null, v2, v2, 1.0
	v_rcp_f32_e32 v5, v3
	v_nop
	s_delay_alu instid0(TRANS32_DEP_1) | instskip(NEXT) | instid1(VALU_DEP_1)
	v_fma_f32 v4, -v3, v5, 1.0
	v_fmac_f32_e32 v5, v4, v5
	v_div_scale_f32 v6, vcc_lo, 1.0, v2, 1.0
	s_delay_alu instid0(VALU_DEP_1) | instskip(NEXT) | instid1(VALU_DEP_1)
	v_mul_f32_e32 v7, v6, v5
	v_fma_f32 v4, -v3, v7, v6
	s_delay_alu instid0(VALU_DEP_1) | instskip(SKIP_1) | instid1(VALU_DEP_2)
	v_fmac_f32_e32 v7, v4, v5
	v_xad_u32 v4, v0, -1, s4
	v_fma_f32 v3, -v3, v7, v6
	s_delay_alu instid0(VALU_DEP_1) | instskip(NEXT) | instid1(VALU_DEP_1)
	v_div_fmas_f32 v3, v3, v5, v7
	v_div_fixup_f32 v2, v3, v2, 1.0
	v_mov_b32_e32 v3, v0
	v_cmpx_lt_u32_e32 0x7f, v4
	s_cbranch_execz .LBB263_162
; %bb.154:
	s_delay_alu instid0(VALU_DEP_3) | instskip(NEXT) | instid1(VALU_DEP_1)
	v_dual_mov_b32 v3, v2 :: v_dual_lshrrev_b32 v4, 7, v4
	v_dual_mov_b32 v8, 0 :: v_dual_add_nc_u32 v5, -1, v4
	s_delay_alu instid0(VALU_DEP_1) | instskip(SKIP_1) | instid1(VALU_DEP_2)
	v_lshrrev_b32_e32 v6, 1, v5
	v_cmp_lt_u32_e32 vcc_lo, 13, v5
	v_add_nc_u32_e32 v5, 1, v6
	s_and_saveexec_b32 s3, vcc_lo
	s_cbranch_execz .LBB263_158
; %bb.155:
	s_delay_alu instid0(VALU_DEP_1)
	v_and_b32_e32 v6, -8, v5
	v_lshl_add_u32 v7, v0, 2, 0x60
	s_mov_b32 s19, 0
	s_mov_b32 s25, 0
.LBB263_156:                            ; =>This Inner Loop Header: Depth=1
	ds_load_2addr_stride64_b32 v[8:9], v7 offset1:2
	ds_load_2addr_stride64_b32 v[10:11], v7 offset0:4 offset1:6
	ds_load_2addr_stride64_b32 v[12:13], v7 offset0:8 offset1:10
	;; [unrolled: 1-line block ×7, first 2 shown]
	s_add_co_i32 s25, s25, 16
	v_add_nc_u32_e32 v6, -8, v6
	s_wait_dscnt 0x7
	v_pk_mul_f32 v[8:9], v[2:3], v[8:9]
	s_wait_dscnt 0x6
	v_pk_mul_f32 v[10:11], v[2:3], v[10:11]
	;; [unrolled: 2-line block ×8, first 2 shown]
	ds_store_2addr_stride64_b32 v7, v8, v9 offset1:2
	ds_store_2addr_stride64_b32 v7, v10, v11 offset0:4 offset1:6
	ds_store_2addr_stride64_b32 v7, v12, v13 offset0:8 offset1:10
	;; [unrolled: 1-line block ×7, first 2 shown]
	v_mov_b32_e32 v8, s25
	v_cmp_eq_u32_e32 vcc_lo, 0, v6
	v_add_nc_u32_e32 v7, 0x2000, v7
	s_or_b32 s19, vcc_lo, s19
	s_delay_alu instid0(SALU_CYCLE_1)
	s_and_not1_b32 exec_lo, exec_lo, s19
	s_cbranch_execnz .LBB263_156
; %bb.157:
	s_or_b32 exec_lo, exec_lo, s19
.LBB263_158:
	s_delay_alu instid0(SALU_CYCLE_1) | instskip(NEXT) | instid1(VALU_DEP_1)
	s_or_b32 exec_lo, exec_lo, s3
	v_and_b32_e32 v5, 7, v5
	s_mov_b32 s19, 0
	s_mov_b32 s3, exec_lo
	s_delay_alu instid0(VALU_DEP_1)
	v_cmpx_ne_u32_e32 0, v5
	s_cbranch_execz .LBB263_161
; %bb.159:
	v_lshlrev_b32_e32 v6, 9, v8
	v_lshlrev_b32_e32 v7, 2, v0
	s_delay_alu instid0(VALU_DEP_1)
	v_add3_u32 v6, v6, v7, 0x60
.LBB263_160:                            ; =>This Inner Loop Header: Depth=1
	ds_load_2addr_stride64_b32 v[8:9], v6 offset1:2
	v_add_nc_u32_e32 v5, -1, v5
	s_delay_alu instid0(VALU_DEP_1)
	v_cmp_eq_u32_e32 vcc_lo, 0, v5
	s_or_b32 s19, vcc_lo, s19
	s_wait_dscnt 0x0
	v_pk_mul_f32 v[8:9], v[2:3], v[8:9]
	ds_store_2addr_stride64_b32 v6, v8, v9 offset1:2
	v_add_nc_u32_e32 v6, 0x400, v6
	s_and_not1_b32 exec_lo, exec_lo, s19
	s_cbranch_execnz .LBB263_160
.LBB263_161:
	s_or_b32 exec_lo, exec_lo, s3
	v_add_nc_u32_e32 v3, 1, v4
	s_delay_alu instid0(VALU_DEP_1) | instskip(NEXT) | instid1(VALU_DEP_1)
	v_and_b32_e32 v4, 0x3fffffe, v3
	v_cmp_ne_u32_e32 vcc_lo, v3, v4
	v_lshl_add_u32 v3, v4, 7, v0
	s_or_not1_b32 s3, vcc_lo, exec_lo
.LBB263_162:
	s_or_b32 exec_lo, exec_lo, s1
	s_delay_alu instid0(SALU_CYCLE_1)
	s_and_b32 exec_lo, exec_lo, s3
	s_cbranch_execz .LBB263_165
; %bb.163:
	v_lshl_add_u32 v4, v3, 2, 0x60
	s_mov_b32 s1, 0
.LBB263_164:                            ; =>This Inner Loop Header: Depth=1
	ds_load_b32 v5, v4
	v_add_nc_u32_e32 v3, 0x80, v3
	s_delay_alu instid0(VALU_DEP_1)
	v_cmp_le_i32_e32 vcc_lo, s4, v3
	s_or_b32 s1, vcc_lo, s1
	s_wait_dscnt 0x0
	v_mul_f32_e32 v5, v2, v5
	ds_store_b32 v4, v5
	v_add_nc_u32_e32 v4, 0x200, v4
	s_and_not1_b32 exec_lo, exec_lo, s1
	s_cbranch_execnz .LBB263_164
.LBB263_165:
	s_or_b32 exec_lo, exec_lo, s0
	s_wait_dscnt 0x0
	v_dual_mov_b32 v3, 0 :: v_dual_mov_b32 v2, 0
	s_barrier_signal -1
	s_barrier_wait -1
	s_and_saveexec_b32 s1, s2
	s_cbranch_execz .LBB263_301
; %bb.166:
	v_dual_mov_b32 v5, 0 :: v_dual_lshlrev_b32 v2, 3, v0
	s_ashr_i32 s19, s18, 31
	v_lshlrev_b32_e32 v3, 5, v23
	s_wait_kmcnt 0x0
	s_add_nc_u64 s[8:9], s[8:9], s[18:19]
	v_and_b32_e32 v4, 0xf8, v2
	s_lshl_b64 s[2:3], s[14:15], 2
	v_and_b32_e32 v2, 8, v2
	v_lshl_or_b32 v3, v24, 6, v3
	s_add_nc_u64 s[2:3], s[16:17], s[2:3]
	v_add_nc_u64_e32 v[6:7], s[8:9], v[4:5]
	v_and_b32_e32 v4, 0x7c, v1
	v_lshl_or_b32 v27, v24, 4, v2
	v_dual_mov_b32 v29, v24 :: v_dual_add_nc_u32 v28, 0x60, v3
	v_dual_mov_b32 v2, 0 :: v_dual_mov_b32 v3, 0
	s_delay_alu instid0(VALU_DEP_4)
	v_add_nc_u64_e32 v[8:9], s[2:3], v[4:5]
	s_mov_b32 s4, s5
	s_mov_b64 s[2:3], 0xffffffffffffff
	s_add_co_i32 s5, s24, -1
	s_mov_b32 s9, s23
	s_mov_b32 s8, 0
	s_branch .LBB263_168
.LBB263_167:                            ;   in Loop: Header=BB263_168 Depth=1
	s_or_b32 exec_lo, exec_lo, s0
	;;#ASMSTART
	v_pk_mul_f16 v1, v40, v17;

	;;#ASMEND
	;;#ASMSTART
	v_pk_mul_f16 v4, v39, v16;

	;;#ASMEND
	;; [unrolled: 4-line block ×4, first 2 shown]
	;;#ASMSTART
	v_pk_add_f16 v1, v1, v4;

	;;#ASMEND
	;;#ASMSTART
	v_pk_add_f16 v1, v1, v10;

	;;#ASMEND
	;; [unrolled: 4-line block ×3, first 2 shown]
	v_and_b32_e32 v4, 0xffff, v1
	v_dual_add_f32 v1, v41, v42 :: v_dual_lshrrev_b32 v10, 16, v1
	;;#ASMSTART
	v_cvt_f32_f16 v4, v4;
	;;#ASMEND
	;;#ASMSTART
	v_cvt_f32_f16 v10, v10;
	;;#ASMEND
	s_delay_alu instid0(VALU_DEP_1) | instskip(SKIP_2) | instid1(VALU_DEP_3)
	v_dual_add_f32 v4, v4, v10 :: v_dual_add_nc_u32 v29, 4, v29
	v_add_nc_u64_e32 v[8:9], 16, v[8:9]
	v_dual_add_f32 v2, v2, v1 :: v_dual_add_nc_u32 v27, 64, v27
	v_add_f32_e32 v3, v3, v4
	s_delay_alu instid0(VALU_DEP_4) | instskip(SKIP_2) | instid1(SALU_CYCLE_1)
	v_cmp_le_i32_e32 vcc_lo, s24, v29
	v_add_nc_u32_e32 v28, 0x100, v28
	s_or_b32 s8, vcc_lo, s8
	s_and_not1_b32 exec_lo, exec_lo, s8
	s_cbranch_execz .LBB263_300
.LBB263_168:                            ; =>This Inner Loop Header: Depth=1
	global_load_b32 v1, v[8:9], off
	ds_load_2addr_b64 v[12:15], v28 offset1:1
	ds_load_2addr_b64 v[16:19], v28 offset0:2 offset1:3
	s_mov_b32 s0, exec_lo
	s_wait_dscnt 0x1
	;;#ASMSTART
	v_cvt_f16_f32 v39, v12;

	;;#ASMEND
	;;#ASMSTART
	v_cvt_f16_f32 v37, v13;

	;;#ASMEND
	;; [unrolled: 4-line block ×4, first 2 shown]
	s_wait_dscnt 0x0
	;;#ASMSTART
	v_cvt_f16_f32 v43, v16;

	;;#ASMEND
	;;#ASMSTART
	v_cvt_f16_f32 v41, v17;

	;;#ASMEND
	;; [unrolled: 4-line block ×4, first 2 shown]
	s_wait_loadcnt 0x0
	v_mad_nc_i64_i32 v[10:11], v1, s4, v[6:7]
	v_mov_b32_e32 v1, 0
	global_load_b64 v[14:15], v[10:11], off
	global_load_b32 v12, v5, s[10:11]
	s_wait_loadcnt 0x1
	v_and_b32_e32 v4, 0xff, v14
	s_wait_xcnt 0x0
	s_delay_alu instid0(VALU_DEP_1)
	v_cmpx_ne_u16_e32 0, v4
	s_cbranch_execz .LBB263_176
; %bb.169:                              ;   in Loop: Header=BB263_168 Depth=1
	v_mov_b32_e32 v1, 0x8000
	s_mov_b32 s14, exec_lo
	v_cmpx_ne_u16_e32 0x80, v4
	s_cbranch_execz .LBB263_175
; %bb.170:                              ;   in Loop: Header=BB263_168 Depth=1
	v_and_b32_e32 v13, 0x7f, v14
	v_mov_b32_e32 v1, 0x7c01
	s_mov_b32 s15, exec_lo
	s_delay_alu instid0(VALU_DEP_2)
	v_cmpx_ne_u32_e32 0x7f, v13
	s_cbranch_execz .LBB263_174
; %bb.171:                              ;   in Loop: Header=BB263_168 Depth=1
	v_dual_lshrrev_b32 v4, 3, v13 :: v_dual_bitop2_b32 v1, 7, v14 bitop3:0x40
	s_mov_b32 s16, exec_lo
	v_cmpx_gt_u32_e32 8, v13
; %bb.172:                              ;   in Loop: Header=BB263_168 Depth=1
	s_delay_alu instid0(VALU_DEP_2) | instskip(NEXT) | instid1(VALU_DEP_1)
	v_clz_i32_u32_e32 v1, v1
	v_min_u32_e32 v1, 32, v1
	s_delay_alu instid0(VALU_DEP_1) | instskip(NEXT) | instid1(VALU_DEP_1)
	v_subrev_nc_u32_e32 v4, 28, v1
	v_lshlrev_b64_e32 v[16:17], v4, v[14:15]
	s_delay_alu instid0(VALU_DEP_1)
	v_dual_sub_nc_u32 v4, 29, v1 :: v_dual_bitop2_b32 v1, 7, v16 bitop3:0x40
; %bb.173:                              ;   in Loop: Header=BB263_168 Depth=1
	s_or_b32 exec_lo, exec_lo, s16
	s_delay_alu instid0(VALU_DEP_1) | instskip(NEXT) | instid1(VALU_DEP_2)
	v_dual_lshlrev_b32 v13, 8, v14 :: v_dual_lshlrev_b32 v1, 7, v1
	v_lshl_add_u32 v4, v4, 10, 0x2000
	s_delay_alu instid0(VALU_DEP_2) | instskip(NEXT) | instid1(VALU_DEP_2)
	v_and_b32_e32 v13, 0x8000, v13
	v_and_b32_e32 v4, 0xfc00, v4
	s_delay_alu instid0(VALU_DEP_1)
	v_or3_b32 v1, v13, v4, v1
.LBB263_174:                            ;   in Loop: Header=BB263_168 Depth=1
	s_or_b32 exec_lo, exec_lo, s15
.LBB263_175:                            ;   in Loop: Header=BB263_168 Depth=1
	s_delay_alu instid0(SALU_CYCLE_1)
	s_or_b32 exec_lo, exec_lo, s14
.LBB263_176:                            ;   in Loop: Header=BB263_168 Depth=1
	s_delay_alu instid0(SALU_CYCLE_1) | instskip(SKIP_3) | instid1(VALU_DEP_2)
	s_or_b32 exec_lo, exec_lo, s0
	v_lshrrev_b16 v4, 8, v14
	v_dual_mov_b32 v13, 0 :: v_dual_mov_b32 v16, 0
	s_mov_b32 s0, exec_lo
	v_cmpx_ne_u16_e32 0, v4
	s_cbranch_execz .LBB263_184
; %bb.177:                              ;   in Loop: Header=BB263_168 Depth=1
	v_bfrev_b32_e32 v16, 1
	s_mov_b32 s14, exec_lo
	v_cmpx_ne_u16_e32 0x80, v4
	s_cbranch_execz .LBB263_183
; %bb.178:                              ;   in Loop: Header=BB263_168 Depth=1
	v_and_b32_e32 v17, 0xffff, v4
	v_mov_b32_e32 v16, 0x7c010000
	s_mov_b32 s15, exec_lo
	s_delay_alu instid0(VALU_DEP_2) | instskip(NEXT) | instid1(VALU_DEP_1)
	v_and_b32_e32 v19, 0x7f, v17
	v_cmpx_ne_u32_e32 0x7f, v19
	s_cbranch_execz .LBB263_182
; %bb.179:                              ;   in Loop: Header=BB263_168 Depth=1
	v_dual_lshrrev_b32 v18, 3, v19 :: v_dual_bitop2_b32 v16, 7, v17 bitop3:0x40
	s_mov_b32 s16, exec_lo
	v_cmpx_gt_u32_e32 8, v19
; %bb.180:                              ;   in Loop: Header=BB263_168 Depth=1
	s_delay_alu instid0(VALU_DEP_2) | instskip(NEXT) | instid1(VALU_DEP_1)
	v_clz_i32_u32_e32 v16, v16
	v_min_u32_e32 v16, 32, v16
	s_delay_alu instid0(VALU_DEP_1) | instskip(NEXT) | instid1(VALU_DEP_1)
	v_subrev_nc_u32_e32 v18, 28, v16
	v_lshlrev_b64_e32 v[20:21], v18, v[4:5]
	v_sub_nc_u32_e32 v18, 29, v16
	s_delay_alu instid0(VALU_DEP_2)
	v_and_b32_e32 v16, 7, v20
; %bb.181:                              ;   in Loop: Header=BB263_168 Depth=1
	s_or_b32 exec_lo, exec_lo, s16
	s_delay_alu instid0(VALU_DEP_1) | instskip(NEXT) | instid1(VALU_DEP_3)
	v_dual_lshlrev_b32 v4, 8, v17 :: v_dual_lshlrev_b32 v16, 23, v16
	v_lshl_add_u32 v17, v18, 10, 0x2000
	s_delay_alu instid0(VALU_DEP_1) | instskip(NEXT) | instid1(VALU_DEP_1)
	v_and_or_b32 v4, 0x8000, v4, v17
	v_lshl_or_b32 v16, v4, 16, v16
.LBB263_182:                            ;   in Loop: Header=BB263_168 Depth=1
	s_or_b32 exec_lo, exec_lo, s15
.LBB263_183:                            ;   in Loop: Header=BB263_168 Depth=1
	s_delay_alu instid0(SALU_CYCLE_1)
	s_or_b32 exec_lo, exec_lo, s14
.LBB263_184:                            ;   in Loop: Header=BB263_168 Depth=1
	s_delay_alu instid0(SALU_CYCLE_1) | instskip(SKIP_2) | instid1(VALU_DEP_1)
	s_or_b32 exec_lo, exec_lo, s0
	v_lshrrev_b32_e32 v4, 16, v14
	s_mov_b32 s0, exec_lo
	v_and_b32_e32 v17, 0xff, v4
	s_delay_alu instid0(VALU_DEP_1)
	v_cmpx_ne_u16_e32 0, v17
	s_cbranch_execz .LBB263_192
; %bb.185:                              ;   in Loop: Header=BB263_168 Depth=1
	v_mov_b32_e32 v13, 0x8000
	s_mov_b32 s14, exec_lo
	v_cmpx_ne_u16_e32 0x80, v17
	s_cbranch_execz .LBB263_191
; %bb.186:                              ;   in Loop: Header=BB263_168 Depth=1
	v_bfe_u32 v18, v14, 16, 7
	v_mov_b32_e32 v13, 0x7c01
	s_mov_b32 s15, exec_lo
	s_delay_alu instid0(VALU_DEP_2)
	v_cmpx_ne_u32_e32 0x7f, v18
	s_cbranch_execz .LBB263_190
; %bb.187:                              ;   in Loop: Header=BB263_168 Depth=1
	v_dual_lshrrev_b32 v17, 3, v18 :: v_dual_bitop2_b32 v13, 7, v4 bitop3:0x40
	s_mov_b32 s16, exec_lo
	v_cmpx_gt_u32_e32 8, v18
; %bb.188:                              ;   in Loop: Header=BB263_168 Depth=1
	s_delay_alu instid0(VALU_DEP_2) | instskip(NEXT) | instid1(VALU_DEP_1)
	v_clz_i32_u32_e32 v13, v13
	v_min_u32_e32 v13, 32, v13
	s_delay_alu instid0(VALU_DEP_1) | instskip(NEXT) | instid1(VALU_DEP_1)
	v_subrev_nc_u32_e32 v17, 28, v13
	v_lshlrev_b64_e32 v[18:19], v17, v[4:5]
	s_delay_alu instid0(VALU_DEP_1)
	v_dual_sub_nc_u32 v17, 29, v13 :: v_dual_bitop2_b32 v13, 7, v18 bitop3:0x40
; %bb.189:                              ;   in Loop: Header=BB263_168 Depth=1
	s_or_b32 exec_lo, exec_lo, s16
	s_delay_alu instid0(VALU_DEP_1) | instskip(NEXT) | instid1(VALU_DEP_2)
	v_dual_lshlrev_b32 v4, 8, v4 :: v_dual_lshlrev_b32 v13, 7, v13
	v_lshl_add_u32 v17, v17, 10, 0x2000
	s_delay_alu instid0(VALU_DEP_2) | instskip(NEXT) | instid1(VALU_DEP_2)
	v_and_b32_e32 v4, 0x8000, v4
	v_and_b32_e32 v17, 0xfc00, v17
	s_delay_alu instid0(VALU_DEP_1)
	v_or3_b32 v13, v4, v17, v13
.LBB263_190:                            ;   in Loop: Header=BB263_168 Depth=1
	s_or_b32 exec_lo, exec_lo, s15
.LBB263_191:                            ;   in Loop: Header=BB263_168 Depth=1
	s_delay_alu instid0(SALU_CYCLE_1)
	s_or_b32 exec_lo, exec_lo, s14
.LBB263_192:                            ;   in Loop: Header=BB263_168 Depth=1
	s_delay_alu instid0(SALU_CYCLE_1)
	s_or_b32 exec_lo, exec_lo, s0
	v_dual_mov_b32 v17, 0 :: v_dual_mov_b32 v18, 0
	s_mov_b32 s0, exec_lo
	v_cmpx_lt_u32_e32 0xffffff, v14
	s_cbranch_execz .LBB263_200
; %bb.193:                              ;   in Loop: Header=BB263_168 Depth=1
	v_lshrrev_b32_e32 v4, 24, v14
	v_bfrev_b32_e32 v18, 1
	s_mov_b32 s14, exec_lo
	s_delay_alu instid0(VALU_DEP_2)
	v_cmpx_ne_u32_e32 0x80, v4
	s_cbranch_execz .LBB263_199
; %bb.194:                              ;   in Loop: Header=BB263_168 Depth=1
	v_and_b32_e32 v20, 0x7f, v4
	v_mov_b32_e32 v18, 0x7c010000
	s_mov_b32 s15, exec_lo
	s_delay_alu instid0(VALU_DEP_2)
	v_cmpx_ne_u32_e32 0x7f, v20
	s_cbranch_execz .LBB263_198
; %bb.195:                              ;   in Loop: Header=BB263_168 Depth=1
	v_and_b32_e32 v18, 7, v4
	v_lshrrev_b32_e32 v19, 3, v20
	s_mov_b32 s16, exec_lo
	v_cmpx_gt_u32_e32 8, v20
; %bb.196:                              ;   in Loop: Header=BB263_168 Depth=1
	s_delay_alu instid0(VALU_DEP_3) | instskip(NEXT) | instid1(VALU_DEP_1)
	v_clz_i32_u32_e32 v18, v18
	v_min_u32_e32 v20, 32, v18
	s_delay_alu instid0(VALU_DEP_1) | instskip(NEXT) | instid1(VALU_DEP_1)
	v_subrev_nc_u32_e32 v18, 28, v20
	v_lshlrev_b64_e32 v[18:19], v18, v[4:5]
	s_delay_alu instid0(VALU_DEP_1)
	v_dual_sub_nc_u32 v19, 29, v20 :: v_dual_bitop2_b32 v18, 7, v18 bitop3:0x40
; %bb.197:                              ;   in Loop: Header=BB263_168 Depth=1
	s_or_b32 exec_lo, exec_lo, s16
	s_delay_alu instid0(VALU_DEP_1) | instskip(NEXT) | instid1(VALU_DEP_2)
	v_dual_lshlrev_b32 v4, 8, v4 :: v_dual_lshlrev_b32 v18, 23, v18
	v_lshl_add_u32 v19, v19, 10, 0x2000
	s_delay_alu instid0(VALU_DEP_1) | instskip(NEXT) | instid1(VALU_DEP_1)
	v_and_or_b32 v4, 0x8000, v4, v19
	v_lshl_or_b32 v18, v4, 16, v18
.LBB263_198:                            ;   in Loop: Header=BB263_168 Depth=1
	s_or_b32 exec_lo, exec_lo, s15
.LBB263_199:                            ;   in Loop: Header=BB263_168 Depth=1
	s_delay_alu instid0(SALU_CYCLE_1)
	s_or_b32 exec_lo, exec_lo, s14
.LBB263_200:                            ;   in Loop: Header=BB263_168 Depth=1
	s_delay_alu instid0(SALU_CYCLE_1) | instskip(SKIP_3) | instid1(VALU_DEP_2)
	s_or_b32 exec_lo, exec_lo, s0
	v_and_b32_e32 v19, 0xff, v15
	v_mov_b32_e32 v4, v15
	s_mov_b32 s0, exec_lo
	v_cmpx_ne_u16_e32 0, v19
	s_cbranch_execz .LBB263_208
; %bb.201:                              ;   in Loop: Header=BB263_168 Depth=1
	v_mov_b32_e32 v17, 0x8000
	s_mov_b32 s14, exec_lo
	v_cmpx_ne_u16_e32 0x80, v19
	s_cbranch_execz .LBB263_207
; %bb.202:                              ;   in Loop: Header=BB263_168 Depth=1
	v_and_b32_e32 v20, 0x7f, v15
	v_mov_b32_e32 v17, 0x7c01
	s_mov_b32 s15, exec_lo
	s_delay_alu instid0(VALU_DEP_2)
	v_cmpx_ne_u32_e32 0x7f, v20
	s_cbranch_execz .LBB263_206
; %bb.203:                              ;   in Loop: Header=BB263_168 Depth=1
	v_dual_lshrrev_b32 v19, 3, v20 :: v_dual_bitop2_b32 v17, 7, v15 bitop3:0x40
	s_mov_b32 s16, exec_lo
	v_cmpx_gt_u32_e32 8, v20
; %bb.204:                              ;   in Loop: Header=BB263_168 Depth=1
	s_delay_alu instid0(VALU_DEP_2) | instskip(NEXT) | instid1(VALU_DEP_1)
	v_clz_i32_u32_e32 v17, v17
	v_min_u32_e32 v17, 32, v17
	s_delay_alu instid0(VALU_DEP_1) | instskip(NEXT) | instid1(VALU_DEP_1)
	v_subrev_nc_u32_e32 v19, 28, v17
	v_lshlrev_b64_e32 v[20:21], v19, v[4:5]
	s_delay_alu instid0(VALU_DEP_1)
	v_dual_sub_nc_u32 v19, 29, v17 :: v_dual_bitop2_b32 v17, 7, v20 bitop3:0x40
; %bb.205:                              ;   in Loop: Header=BB263_168 Depth=1
	s_or_b32 exec_lo, exec_lo, s16
	s_delay_alu instid0(VALU_DEP_1) | instskip(NEXT) | instid1(VALU_DEP_2)
	v_dual_lshlrev_b32 v20, 8, v15 :: v_dual_lshlrev_b32 v17, 7, v17
	v_lshl_add_u32 v19, v19, 10, 0x2000
	s_delay_alu instid0(VALU_DEP_2) | instskip(NEXT) | instid1(VALU_DEP_2)
	v_and_b32_e32 v20, 0x8000, v20
	v_and_b32_e32 v19, 0xfc00, v19
	s_delay_alu instid0(VALU_DEP_1)
	v_or3_b32 v17, v20, v19, v17
.LBB263_206:                            ;   in Loop: Header=BB263_168 Depth=1
	s_or_b32 exec_lo, exec_lo, s15
.LBB263_207:                            ;   in Loop: Header=BB263_168 Depth=1
	s_delay_alu instid0(SALU_CYCLE_1)
	s_or_b32 exec_lo, exec_lo, s14
.LBB263_208:                            ;   in Loop: Header=BB263_168 Depth=1
	s_delay_alu instid0(SALU_CYCLE_1) | instskip(SKIP_3) | instid1(VALU_DEP_2)
	s_or_b32 exec_lo, exec_lo, s0
	v_lshrrev_b16 v4, 8, v4
	v_dual_mov_b32 v20, 0 :: v_dual_mov_b32 v19, 0
	s_mov_b32 s0, exec_lo
	v_cmpx_ne_u16_e32 0, v4
	s_cbranch_execz .LBB263_216
; %bb.209:                              ;   in Loop: Header=BB263_168 Depth=1
	v_bfrev_b32_e32 v19, 1
	s_mov_b32 s14, exec_lo
	v_cmpx_ne_u16_e32 0x80, v4
	s_cbranch_execz .LBB263_215
; %bb.210:                              ;   in Loop: Header=BB263_168 Depth=1
	v_and_b32_e32 v21, 0xffff, v4
	v_mov_b32_e32 v19, 0x7c010000
	s_mov_b32 s15, exec_lo
	s_delay_alu instid0(VALU_DEP_2) | instskip(NEXT) | instid1(VALU_DEP_1)
	v_and_b32_e32 v31, 0x7f, v21
	v_cmpx_ne_u32_e32 0x7f, v31
	s_cbranch_execz .LBB263_214
; %bb.211:                              ;   in Loop: Header=BB263_168 Depth=1
	v_dual_lshrrev_b32 v30, 3, v31 :: v_dual_bitop2_b32 v19, 7, v21 bitop3:0x40
	s_mov_b32 s16, exec_lo
	v_cmpx_gt_u32_e32 8, v31
; %bb.212:                              ;   in Loop: Header=BB263_168 Depth=1
	s_delay_alu instid0(VALU_DEP_2) | instskip(NEXT) | instid1(VALU_DEP_1)
	v_clz_i32_u32_e32 v19, v19
	v_min_u32_e32 v19, 32, v19
	s_delay_alu instid0(VALU_DEP_1) | instskip(NEXT) | instid1(VALU_DEP_1)
	v_subrev_nc_u32_e32 v30, 28, v19
	v_lshlrev_b64_e32 v[32:33], v30, v[4:5]
	s_delay_alu instid0(VALU_DEP_1)
	v_dual_sub_nc_u32 v30, 29, v19 :: v_dual_bitop2_b32 v19, 7, v32 bitop3:0x40
; %bb.213:                              ;   in Loop: Header=BB263_168 Depth=1
	s_or_b32 exec_lo, exec_lo, s16
	s_delay_alu instid0(VALU_DEP_1) | instskip(NEXT) | instid1(VALU_DEP_2)
	v_dual_lshlrev_b32 v4, 8, v21 :: v_dual_lshlrev_b32 v19, 23, v19
	v_lshl_add_u32 v21, v30, 10, 0x2000
	s_delay_alu instid0(VALU_DEP_1) | instskip(NEXT) | instid1(VALU_DEP_1)
	v_and_or_b32 v4, 0x8000, v4, v21
	v_lshl_or_b32 v19, v4, 16, v19
.LBB263_214:                            ;   in Loop: Header=BB263_168 Depth=1
	s_or_b32 exec_lo, exec_lo, s15
.LBB263_215:                            ;   in Loop: Header=BB263_168 Depth=1
	s_delay_alu instid0(SALU_CYCLE_1)
	s_or_b32 exec_lo, exec_lo, s14
.LBB263_216:                            ;   in Loop: Header=BB263_168 Depth=1
	s_delay_alu instid0(SALU_CYCLE_1) | instskip(SKIP_2) | instid1(VALU_DEP_1)
	s_or_b32 exec_lo, exec_lo, s0
	v_lshrrev_b32_e32 v4, 16, v15
	s_mov_b32 s0, exec_lo
	v_and_b32_e32 v21, 0xff, v4
	s_delay_alu instid0(VALU_DEP_1)
	v_cmpx_ne_u16_e32 0, v21
	s_cbranch_execz .LBB263_224
; %bb.217:                              ;   in Loop: Header=BB263_168 Depth=1
	v_mov_b32_e32 v20, 0x8000
	s_mov_b32 s14, exec_lo
	v_cmpx_ne_u16_e32 0x80, v21
	s_cbranch_execz .LBB263_223
; %bb.218:                              ;   in Loop: Header=BB263_168 Depth=1
	v_bfe_u32 v30, v15, 16, 7
	v_mov_b32_e32 v20, 0x7c01
	s_mov_b32 s15, exec_lo
	s_delay_alu instid0(VALU_DEP_2)
	v_cmpx_ne_u32_e32 0x7f, v30
	s_cbranch_execz .LBB263_222
; %bb.219:                              ;   in Loop: Header=BB263_168 Depth=1
	v_dual_lshrrev_b32 v21, 3, v30 :: v_dual_bitop2_b32 v20, 7, v4 bitop3:0x40
	s_mov_b32 s16, exec_lo
	v_cmpx_gt_u32_e32 8, v30
; %bb.220:                              ;   in Loop: Header=BB263_168 Depth=1
	s_delay_alu instid0(VALU_DEP_2) | instskip(NEXT) | instid1(VALU_DEP_1)
	v_clz_i32_u32_e32 v20, v20
	v_min_u32_e32 v30, 32, v20
	s_delay_alu instid0(VALU_DEP_1) | instskip(NEXT) | instid1(VALU_DEP_1)
	v_subrev_nc_u32_e32 v20, 28, v30
	v_lshlrev_b64_e32 v[20:21], v20, v[4:5]
	s_delay_alu instid0(VALU_DEP_1)
	v_dual_sub_nc_u32 v21, 29, v30 :: v_dual_bitop2_b32 v20, 7, v20 bitop3:0x40
; %bb.221:                              ;   in Loop: Header=BB263_168 Depth=1
	s_or_b32 exec_lo, exec_lo, s16
	v_lshlrev_b32_e32 v4, 8, v4
	s_delay_alu instid0(VALU_DEP_2) | instskip(NEXT) | instid1(VALU_DEP_3)
	v_lshl_add_u32 v21, v21, 10, 0x2000
	v_lshlrev_b32_e32 v20, 7, v20
	s_delay_alu instid0(VALU_DEP_3) | instskip(NEXT) | instid1(VALU_DEP_3)
	v_and_b32_e32 v4, 0x8000, v4
	v_and_b32_e32 v21, 0xfc00, v21
	s_delay_alu instid0(VALU_DEP_1)
	v_or3_b32 v20, v4, v21, v20
.LBB263_222:                            ;   in Loop: Header=BB263_168 Depth=1
	s_or_b32 exec_lo, exec_lo, s15
.LBB263_223:                            ;   in Loop: Header=BB263_168 Depth=1
	s_delay_alu instid0(SALU_CYCLE_1)
	s_or_b32 exec_lo, exec_lo, s14
.LBB263_224:                            ;   in Loop: Header=BB263_168 Depth=1
	s_delay_alu instid0(SALU_CYCLE_1)
	s_or_b32 exec_lo, exec_lo, s0
	v_cmp_lt_u64_e32 vcc_lo, s[2:3], v[14:15]
	v_mov_b32_e32 v14, 0
	s_and_saveexec_b32 s0, vcc_lo
	s_cbranch_execz .LBB263_232
; %bb.225:                              ;   in Loop: Header=BB263_168 Depth=1
	v_lshrrev_b32_e32 v4, 24, v15
	v_bfrev_b32_e32 v14, 1
	s_mov_b32 s14, exec_lo
	s_delay_alu instid0(VALU_DEP_2)
	v_cmpx_ne_u32_e32 0x80, v4
	s_cbranch_execz .LBB263_231
; %bb.226:                              ;   in Loop: Header=BB263_168 Depth=1
	v_and_b32_e32 v21, 0x7f, v4
	v_mov_b32_e32 v14, 0x7c010000
	s_mov_b32 s15, exec_lo
	s_delay_alu instid0(VALU_DEP_2)
	v_cmpx_ne_u32_e32 0x7f, v21
	s_cbranch_execz .LBB263_230
; %bb.227:                              ;   in Loop: Header=BB263_168 Depth=1
	v_dual_lshrrev_b32 v15, 3, v21 :: v_dual_bitop2_b32 v14, 7, v4 bitop3:0x40
	s_mov_b32 s16, exec_lo
	v_cmpx_gt_u32_e32 8, v21
; %bb.228:                              ;   in Loop: Header=BB263_168 Depth=1
	s_delay_alu instid0(VALU_DEP_2) | instskip(NEXT) | instid1(VALU_DEP_1)
	v_clz_i32_u32_e32 v14, v14
	v_min_u32_e32 v21, 32, v14
	s_delay_alu instid0(VALU_DEP_1) | instskip(NEXT) | instid1(VALU_DEP_1)
	v_subrev_nc_u32_e32 v14, 28, v21
	v_lshlrev_b64_e32 v[14:15], v14, v[4:5]
	s_delay_alu instid0(VALU_DEP_1)
	v_dual_sub_nc_u32 v15, 29, v21 :: v_dual_bitop2_b32 v14, 7, v14 bitop3:0x40
; %bb.229:                              ;   in Loop: Header=BB263_168 Depth=1
	s_or_b32 exec_lo, exec_lo, s16
	s_delay_alu instid0(VALU_DEP_1) | instskip(NEXT) | instid1(VALU_DEP_2)
	v_dual_lshlrev_b32 v4, 8, v4 :: v_dual_lshlrev_b32 v14, 23, v14
	v_lshl_add_u32 v15, v15, 10, 0x2000
	s_delay_alu instid0(VALU_DEP_1) | instskip(NEXT) | instid1(VALU_DEP_1)
	v_and_or_b32 v4, 0x8000, v4, v15
	v_lshl_or_b32 v14, v4, 16, v14
.LBB263_230:                            ;   in Loop: Header=BB263_168 Depth=1
	s_or_b32 exec_lo, exec_lo, s15
.LBB263_231:                            ;   in Loop: Header=BB263_168 Depth=1
	s_delay_alu instid0(SALU_CYCLE_1)
	s_or_b32 exec_lo, exec_lo, s14
.LBB263_232:                            ;   in Loop: Header=BB263_168 Depth=1
	s_delay_alu instid0(SALU_CYCLE_1) | instskip(SKIP_3) | instid1(VALU_DEP_3)
	s_or_b32 exec_lo, exec_lo, s0
	v_dual_lshrrev_b32 v4, 16, v16 :: v_dual_lshrrev_b32 v15, 16, v18
	v_dual_lshrrev_b32 v16, 16, v19 :: v_dual_bitop2_b32 v1, v16, v1 bitop3:0x54
	v_dual_lshrrev_b32 v18, 16, v14 :: v_dual_bitop2_b32 v13, v18, v13 bitop3:0x54
	v_cvt_f32_f16_e32 v31, v4
	s_delay_alu instid0(VALU_DEP_4) | instskip(SKIP_1) | instid1(VALU_DEP_4)
	v_cvt_f32_f16_e32 v30, v15
	v_or_b32_e32 v4, v14, v20
	v_cvt_f32_f16_e32 v14, v13
	v_cvt_f32_f16_e32 v15, v1
	v_cmp_eq_u32_e32 vcc_lo, s5, v29
	s_wait_loadcnt 0x0
	v_pk_mul_f32 v[20:21], v[12:13], v[30:31] op_sel_hi:[0,1]
	v_or_b32_e32 v13, v19, v17
	v_cvt_f32_f16_e32 v17, v16
	v_cvt_f32_f16_e32 v16, v18
	;; [unrolled: 1-line block ×3, first 2 shown]
	v_cvt_pk_f16_f32 v1, v20, v21
	v_pk_mul_f32 v[14:15], v[12:13], v[14:15] op_sel_hi:[0,1]
	v_or_b32_e32 v35, 1, v27
	v_or_b32_e32 v34, 3, v27
	v_or_b32_e32 v33, 4, v27
	v_or_b32_e32 v32, 6, v27
	v_cvt_pk_f16_f32 v4, v14, v15
	v_or_b32_e32 v31, 5, v27
	v_dual_add_nc_u32 v36, 2, v27 :: v_dual_bitop2_b32 v30, 7, v27 bitop3:0x54
	s_delay_alu instid0(VALU_DEP_3) | instskip(SKIP_3) | instid1(VALU_DEP_3)
	v_lshrrev_b32_e32 v21, 16, v4
	v_cvt_f32_f16_e32 v19, v13
	v_pk_mul_f32 v[16:17], v[12:13], v[16:17] op_sel_hi:[0,1]
	v_and_b32_e32 v20, 0xffff, v4
	v_pk_mul_f32 v[12:13], v[12:13], v[18:19] op_sel_hi:[0,1]
	s_delay_alu instid0(VALU_DEP_3) | instskip(SKIP_2) | instid1(VALU_DEP_4)
	v_cvt_pk_f16_f32 v14, v16, v17
	v_and_b32_e32 v19, 0xffff0000, v1
	v_lshlrev_b32_e32 v18, 16, v1
	v_cvt_pk_f16_f32 v12, v12, v13
	s_delay_alu instid0(VALU_DEP_4) | instskip(NEXT) | instid1(VALU_DEP_4)
	v_and_b32_e32 v1, 0xffff0000, v14
	v_dual_lshlrev_b32 v4, 16, v14 :: v_dual_bitop2_b32 v15, v19, v21 bitop3:0x54
	s_delay_alu instid0(VALU_DEP_4) | instskip(NEXT) | instid1(VALU_DEP_4)
	v_or_b32_e32 v14, v18, v20
	v_lshrrev_b32_e32 v17, 16, v12
	v_and_b32_e32 v16, 0xffff, v12
	s_delay_alu instid0(VALU_DEP_2) | instskip(NEXT) | instid1(VALU_DEP_2)
	v_or_b32_e32 v13, v1, v17
	v_or_b32_e32 v12, v4, v16
	s_and_saveexec_b32 s14, vcc_lo
	s_cbranch_execz .LBB263_234
; %bb.233:                              ;   in Loop: Header=BB263_168 Depth=1
	v_cmp_gt_i32_e64 s0, s9, v27
	s_delay_alu instid0(VALU_DEP_1) | instskip(SKIP_1) | instid1(VALU_DEP_1)
	v_cndmask_b32_e64 v12, 0, v21, s0
	v_cmp_gt_i32_e64 s0, s23, v36
	v_cndmask_b32_e64 v13, 0, v20, s0
	v_cmp_gt_i32_e64 s0, s9, v35
	s_delay_alu instid0(VALU_DEP_1) | instskip(SKIP_1) | instid1(VALU_DEP_1)
	v_cndmask_b32_e64 v14, 0, v19, s0
	v_cmp_gt_i32_e64 s0, s23, v34
	v_cndmask_b32_e64 v18, 0, v18, s0
	v_cmp_gt_i32_e64 s0, s9, v33
	s_delay_alu instid0(VALU_DEP_4) | instskip(NEXT) | instid1(VALU_DEP_3)
	v_or_b32_e32 v15, v14, v12
	v_or_b32_e32 v14, v18, v13
	s_delay_alu instid0(VALU_DEP_3) | instskip(SKIP_1) | instid1(VALU_DEP_1)
	v_cndmask_b32_e64 v17, 0, v17, s0
	v_cmp_gt_i32_e64 s0, s23, v32
	v_cndmask_b32_e64 v16, 0, v16, s0
	v_cmp_gt_i32_e64 s0, s9, v31
	s_delay_alu instid0(VALU_DEP_1) | instskip(SKIP_1) | instid1(VALU_DEP_1)
	v_cndmask_b32_e64 v1, 0, v1, s0
	v_cmp_gt_i32_e64 s0, s23, v30
	v_dual_cndmask_b32 v4, 0, v4, s0 :: v_dual_bitop2_b32 v13, v1, v17 bitop3:0x54
	s_delay_alu instid0(VALU_DEP_1)
	v_or_b32_e32 v12, v4, v16
.LBB263_234:                            ;   in Loop: Header=BB263_168 Depth=1
	s_or_b32 exec_lo, exec_lo, s14
	v_and_b32_e32 v1, 0xffff, v39
	v_and_b32_e32 v4, 0xffff, v40
	;; [unrolled: 1-line block ×4, first 2 shown]
	s_mov_b32 s14, exec_lo
	v_lshl_or_b32 v40, v37, 16, v1
	;;#ASMSTART
	v_pk_mul_f16 v1, v40, v15;

	;;#ASMEND
	v_lshl_or_b32 v39, v38, 16, v4
	v_lshl_or_b32 v38, v41, 16, v16
	;; [unrolled: 1-line block ×3, first 2 shown]
	;;#ASMSTART
	v_pk_mul_f16 v4, v39, v14;

	;;#ASMEND
	;;#ASMSTART
	v_pk_mul_f16 v13, v38, v13;

	;;#ASMEND
	;; [unrolled: 4-line block ×3, first 2 shown]
	;;#ASMSTART
	v_pk_add_f16 v1, v1, v4;

	;;#ASMEND
	;;#ASMSTART
	v_pk_add_f16 v1, v1, v13;

	;;#ASMEND
	;; [unrolled: 4-line block ×3, first 2 shown]
	v_and_b32_e32 v4, 0xffff, v1
	v_lshrrev_b32_e32 v1, 16, v1
	;;#ASMSTART
	v_cvt_f32_f16 v41, v4;
	;;#ASMEND
	;;#ASMSTART
	v_cvt_f32_f16 v42, v1;
	;;#ASMEND
	global_load_b64 v[12:13], v[10:11], off offset:256
	s_wait_xcnt 0x0
	v_dual_mov_b32 v1, 0 :: v_dual_mov_b32 v11, 0
	global_load_b32 v10, v1, s[10:11]
	s_wait_loadcnt 0x1
	v_and_b32_e32 v4, 0xff, v12
	s_wait_xcnt 0x0
	s_delay_alu instid0(VALU_DEP_1)
	v_cmpx_ne_u16_e32 0, v4
	s_cbranch_execz .LBB263_242
; %bb.235:                              ;   in Loop: Header=BB263_168 Depth=1
	v_mov_b32_e32 v11, 0x8000
	s_mov_b32 s15, exec_lo
	v_cmpx_ne_u16_e32 0x80, v4
	s_cbranch_execz .LBB263_241
; %bb.236:                              ;   in Loop: Header=BB263_168 Depth=1
	v_and_b32_e32 v14, 0x7f, v12
	v_mov_b32_e32 v11, 0x7c01
	s_mov_b32 s16, exec_lo
	s_delay_alu instid0(VALU_DEP_2)
	v_cmpx_ne_u32_e32 0x7f, v14
	s_cbranch_execz .LBB263_240
; %bb.237:                              ;   in Loop: Header=BB263_168 Depth=1
	v_dual_lshrrev_b32 v11, 3, v14 :: v_dual_bitop2_b32 v4, 7, v12 bitop3:0x40
	s_mov_b32 s17, exec_lo
	v_cmpx_gt_u32_e32 8, v14
; %bb.238:                              ;   in Loop: Header=BB263_168 Depth=1
	s_delay_alu instid0(VALU_DEP_2) | instskip(NEXT) | instid1(VALU_DEP_1)
	v_clz_i32_u32_e32 v4, v4
	v_min_u32_e32 v4, 32, v4
	s_delay_alu instid0(VALU_DEP_1) | instskip(NEXT) | instid1(VALU_DEP_1)
	v_subrev_nc_u32_e32 v11, 28, v4
	v_lshlrev_b64_e32 v[14:15], v11, v[12:13]
	s_delay_alu instid0(VALU_DEP_1)
	v_dual_sub_nc_u32 v11, 29, v4 :: v_dual_bitop2_b32 v4, 7, v14 bitop3:0x40
; %bb.239:                              ;   in Loop: Header=BB263_168 Depth=1
	s_or_b32 exec_lo, exec_lo, s17
	v_lshlrev_b32_e32 v14, 8, v12
	s_delay_alu instid0(VALU_DEP_2) | instskip(NEXT) | instid1(VALU_DEP_3)
	v_lshl_add_u32 v11, v11, 10, 0x2000
	v_lshlrev_b32_e32 v4, 7, v4
	s_delay_alu instid0(VALU_DEP_3) | instskip(NEXT) | instid1(VALU_DEP_3)
	v_and_b32_e32 v14, 0x8000, v14
	v_and_b32_e32 v11, 0xfc00, v11
	s_delay_alu instid0(VALU_DEP_1)
	v_or3_b32 v11, v14, v11, v4
.LBB263_240:                            ;   in Loop: Header=BB263_168 Depth=1
	s_or_b32 exec_lo, exec_lo, s16
.LBB263_241:                            ;   in Loop: Header=BB263_168 Depth=1
	s_delay_alu instid0(SALU_CYCLE_1)
	s_or_b32 exec_lo, exec_lo, s15
.LBB263_242:                            ;   in Loop: Header=BB263_168 Depth=1
	s_delay_alu instid0(SALU_CYCLE_1) | instskip(SKIP_2) | instid1(VALU_DEP_1)
	s_or_b32 exec_lo, exec_lo, s14
	v_lshrrev_b16 v4, 8, v12
	s_mov_b32 s14, exec_lo
	v_cmpx_ne_u16_e32 0, v4
	s_cbranch_execz .LBB263_250
; %bb.243:                              ;   in Loop: Header=BB263_168 Depth=1
	v_bfrev_b32_e32 v1, 1
	s_mov_b32 s15, exec_lo
	v_cmpx_ne_u16_e32 0x80, v4
	s_cbranch_execz .LBB263_249
; %bb.244:                              ;   in Loop: Header=BB263_168 Depth=1
	v_and_b32_e32 v14, 0xffff, v4
	v_mov_b32_e32 v1, 0x7c010000
	s_mov_b32 s16, exec_lo
	s_delay_alu instid0(VALU_DEP_2) | instskip(NEXT) | instid1(VALU_DEP_1)
	v_and_b32_e32 v16, 0x7f, v14
	v_cmpx_ne_u32_e32 0x7f, v16
	s_cbranch_execz .LBB263_248
; %bb.245:                              ;   in Loop: Header=BB263_168 Depth=1
	v_dual_lshrrev_b32 v15, 3, v16 :: v_dual_bitop2_b32 v1, 7, v14 bitop3:0x40
	s_mov_b32 s17, exec_lo
	v_cmpx_gt_u32_e32 8, v16
; %bb.246:                              ;   in Loop: Header=BB263_168 Depth=1
	s_delay_alu instid0(VALU_DEP_2) | instskip(NEXT) | instid1(VALU_DEP_1)
	v_clz_i32_u32_e32 v1, v1
	v_min_u32_e32 v1, 32, v1
	s_delay_alu instid0(VALU_DEP_1) | instskip(NEXT) | instid1(VALU_DEP_1)
	v_subrev_nc_u32_e32 v15, 28, v1
	v_lshlrev_b64_e32 v[16:17], v15, v[4:5]
	s_delay_alu instid0(VALU_DEP_1)
	v_dual_sub_nc_u32 v15, 29, v1 :: v_dual_bitop2_b32 v1, 7, v16 bitop3:0x40
; %bb.247:                              ;   in Loop: Header=BB263_168 Depth=1
	s_or_b32 exec_lo, exec_lo, s17
	s_delay_alu instid0(VALU_DEP_1) | instskip(NEXT) | instid1(VALU_DEP_2)
	v_dual_lshlrev_b32 v4, 8, v14 :: v_dual_lshlrev_b32 v1, 23, v1
	v_lshl_add_u32 v14, v15, 10, 0x2000
	s_delay_alu instid0(VALU_DEP_1) | instskip(NEXT) | instid1(VALU_DEP_1)
	v_and_or_b32 v4, 0x8000, v4, v14
	v_lshl_or_b32 v1, v4, 16, v1
.LBB263_248:                            ;   in Loop: Header=BB263_168 Depth=1
	s_or_b32 exec_lo, exec_lo, s16
.LBB263_249:                            ;   in Loop: Header=BB263_168 Depth=1
	s_delay_alu instid0(SALU_CYCLE_1)
	s_or_b32 exec_lo, exec_lo, s15
.LBB263_250:                            ;   in Loop: Header=BB263_168 Depth=1
	s_delay_alu instid0(SALU_CYCLE_1) | instskip(SKIP_3) | instid1(VALU_DEP_2)
	s_or_b32 exec_lo, exec_lo, s14
	v_dual_lshrrev_b32 v4, 16, v12 :: v_dual_mov_b32 v14, 0
	v_mov_b32_e32 v15, 0
	s_mov_b32 s14, exec_lo
	v_and_b32_e32 v16, 0xff, v4
	s_delay_alu instid0(VALU_DEP_1)
	v_cmpx_ne_u16_e32 0, v16
	s_cbranch_execz .LBB263_258
; %bb.251:                              ;   in Loop: Header=BB263_168 Depth=1
	v_mov_b32_e32 v15, 0x8000
	s_mov_b32 s15, exec_lo
	v_cmpx_ne_u16_e32 0x80, v16
	s_cbranch_execz .LBB263_257
; %bb.252:                              ;   in Loop: Header=BB263_168 Depth=1
	v_bfe_u32 v17, v12, 16, 7
	v_mov_b32_e32 v15, 0x7c01
	s_mov_b32 s16, exec_lo
	s_delay_alu instid0(VALU_DEP_2)
	v_cmpx_ne_u32_e32 0x7f, v17
	s_cbranch_execz .LBB263_256
; %bb.253:                              ;   in Loop: Header=BB263_168 Depth=1
	v_dual_lshrrev_b32 v16, 3, v17 :: v_dual_bitop2_b32 v15, 7, v4 bitop3:0x40
	s_mov_b32 s17, exec_lo
	v_cmpx_gt_u32_e32 8, v17
; %bb.254:                              ;   in Loop: Header=BB263_168 Depth=1
	s_delay_alu instid0(VALU_DEP_2) | instskip(NEXT) | instid1(VALU_DEP_1)
	v_clz_i32_u32_e32 v15, v15
	v_min_u32_e32 v15, 32, v15
	s_delay_alu instid0(VALU_DEP_1) | instskip(NEXT) | instid1(VALU_DEP_1)
	v_subrev_nc_u32_e32 v16, 28, v15
	v_lshlrev_b64_e32 v[18:19], v16, v[4:5]
	s_delay_alu instid0(VALU_DEP_1)
	v_dual_sub_nc_u32 v16, 29, v15 :: v_dual_bitop2_b32 v15, 7, v18 bitop3:0x40
; %bb.255:                              ;   in Loop: Header=BB263_168 Depth=1
	s_or_b32 exec_lo, exec_lo, s17
	s_delay_alu instid0(VALU_DEP_1) | instskip(NEXT) | instid1(VALU_DEP_2)
	v_dual_lshlrev_b32 v4, 8, v4 :: v_dual_lshlrev_b32 v15, 7, v15
	v_lshl_add_u32 v16, v16, 10, 0x2000
	s_delay_alu instid0(VALU_DEP_2) | instskip(NEXT) | instid1(VALU_DEP_2)
	v_and_b32_e32 v4, 0x8000, v4
	v_and_b32_e32 v16, 0xfc00, v16
	s_delay_alu instid0(VALU_DEP_1)
	v_or3_b32 v15, v4, v16, v15
.LBB263_256:                            ;   in Loop: Header=BB263_168 Depth=1
	s_or_b32 exec_lo, exec_lo, s16
.LBB263_257:                            ;   in Loop: Header=BB263_168 Depth=1
	s_delay_alu instid0(SALU_CYCLE_1)
	s_or_b32 exec_lo, exec_lo, s15
.LBB263_258:                            ;   in Loop: Header=BB263_168 Depth=1
	s_delay_alu instid0(SALU_CYCLE_1) | instskip(NEXT) | instid1(SALU_CYCLE_1)
	s_or_b32 exec_lo, exec_lo, s14
	s_mov_b32 s14, exec_lo
	v_cmpx_lt_u32_e32 0xffffff, v12
	s_cbranch_execz .LBB263_266
; %bb.259:                              ;   in Loop: Header=BB263_168 Depth=1
	v_lshrrev_b32_e32 v4, 24, v12
	v_bfrev_b32_e32 v14, 1
	s_mov_b32 s15, exec_lo
	s_delay_alu instid0(VALU_DEP_2)
	v_cmpx_ne_u32_e32 0x80, v4
	s_cbranch_execz .LBB263_265
; %bb.260:                              ;   in Loop: Header=BB263_168 Depth=1
	v_and_b32_e32 v17, 0x7f, v4
	v_mov_b32_e32 v14, 0x7c010000
	s_mov_b32 s16, exec_lo
	s_delay_alu instid0(VALU_DEP_2)
	v_cmpx_ne_u32_e32 0x7f, v17
	s_cbranch_execz .LBB263_264
; %bb.261:                              ;   in Loop: Header=BB263_168 Depth=1
	v_dual_lshrrev_b32 v16, 3, v17 :: v_dual_bitop2_b32 v14, 7, v4 bitop3:0x40
	s_mov_b32 s17, exec_lo
	v_cmpx_gt_u32_e32 8, v17
; %bb.262:                              ;   in Loop: Header=BB263_168 Depth=1
	s_delay_alu instid0(VALU_DEP_2) | instskip(NEXT) | instid1(VALU_DEP_1)
	v_clz_i32_u32_e32 v14, v14
	v_min_u32_e32 v14, 32, v14
	s_delay_alu instid0(VALU_DEP_1) | instskip(NEXT) | instid1(VALU_DEP_1)
	v_subrev_nc_u32_e32 v16, 28, v14
	v_lshlrev_b64_e32 v[18:19], v16, v[4:5]
	v_sub_nc_u32_e32 v16, 29, v14
	s_delay_alu instid0(VALU_DEP_2)
	v_and_b32_e32 v14, 7, v18
; %bb.263:                              ;   in Loop: Header=BB263_168 Depth=1
	s_or_b32 exec_lo, exec_lo, s17
	s_delay_alu instid0(VALU_DEP_1) | instskip(NEXT) | instid1(VALU_DEP_3)
	v_dual_lshlrev_b32 v4, 8, v4 :: v_dual_lshlrev_b32 v14, 23, v14
	v_lshl_add_u32 v16, v16, 10, 0x2000
	s_delay_alu instid0(VALU_DEP_1) | instskip(NEXT) | instid1(VALU_DEP_1)
	v_and_or_b32 v4, 0x8000, v4, v16
	v_lshl_or_b32 v14, v4, 16, v14
.LBB263_264:                            ;   in Loop: Header=BB263_168 Depth=1
	s_or_b32 exec_lo, exec_lo, s16
.LBB263_265:                            ;   in Loop: Header=BB263_168 Depth=1
	s_delay_alu instid0(SALU_CYCLE_1)
	s_or_b32 exec_lo, exec_lo, s15
.LBB263_266:                            ;   in Loop: Header=BB263_168 Depth=1
	s_delay_alu instid0(SALU_CYCLE_1) | instskip(SKIP_4) | instid1(VALU_DEP_3)
	s_or_b32 exec_lo, exec_lo, s14
	v_and_b32_e32 v18, 0xff, v13
	v_dual_mov_b32 v4, v13 :: v_dual_mov_b32 v17, 0
	v_mov_b32_e32 v16, 0
	s_mov_b32 s14, exec_lo
	v_cmpx_ne_u16_e32 0, v18
	s_cbranch_execz .LBB263_274
; %bb.267:                              ;   in Loop: Header=BB263_168 Depth=1
	v_mov_b32_e32 v16, 0x8000
	s_mov_b32 s15, exec_lo
	v_cmpx_ne_u16_e32 0x80, v18
	s_cbranch_execz .LBB263_273
; %bb.268:                              ;   in Loop: Header=BB263_168 Depth=1
	v_and_b32_e32 v19, 0x7f, v13
	v_mov_b32_e32 v16, 0x7c01
	s_mov_b32 s16, exec_lo
	s_delay_alu instid0(VALU_DEP_2)
	v_cmpx_ne_u32_e32 0x7f, v19
	s_cbranch_execz .LBB263_272
; %bb.269:                              ;   in Loop: Header=BB263_168 Depth=1
	v_dual_lshrrev_b32 v18, 3, v19 :: v_dual_bitop2_b32 v16, 7, v13 bitop3:0x40
	s_mov_b32 s17, exec_lo
	v_cmpx_gt_u32_e32 8, v19
; %bb.270:                              ;   in Loop: Header=BB263_168 Depth=1
	s_delay_alu instid0(VALU_DEP_2) | instskip(NEXT) | instid1(VALU_DEP_1)
	v_clz_i32_u32_e32 v16, v16
	v_min_u32_e32 v16, 32, v16
	s_delay_alu instid0(VALU_DEP_1) | instskip(NEXT) | instid1(VALU_DEP_1)
	v_subrev_nc_u32_e32 v18, 28, v16
	v_lshlrev_b64_e32 v[20:21], v18, v[4:5]
	v_sub_nc_u32_e32 v18, 29, v16
	s_delay_alu instid0(VALU_DEP_2)
	v_and_b32_e32 v16, 7, v20
; %bb.271:                              ;   in Loop: Header=BB263_168 Depth=1
	s_or_b32 exec_lo, exec_lo, s17
	s_delay_alu instid0(VALU_DEP_1) | instskip(NEXT) | instid1(VALU_DEP_3)
	v_dual_lshlrev_b32 v19, 8, v13 :: v_dual_lshlrev_b32 v16, 7, v16
	v_lshl_add_u32 v18, v18, 10, 0x2000
	s_delay_alu instid0(VALU_DEP_2) | instskip(NEXT) | instid1(VALU_DEP_2)
	v_and_b32_e32 v19, 0x8000, v19
	v_and_b32_e32 v18, 0xfc00, v18
	s_delay_alu instid0(VALU_DEP_1)
	v_or3_b32 v16, v19, v18, v16
.LBB263_272:                            ;   in Loop: Header=BB263_168 Depth=1
	s_or_b32 exec_lo, exec_lo, s16
.LBB263_273:                            ;   in Loop: Header=BB263_168 Depth=1
	s_delay_alu instid0(SALU_CYCLE_1)
	s_or_b32 exec_lo, exec_lo, s15
.LBB263_274:                            ;   in Loop: Header=BB263_168 Depth=1
	s_delay_alu instid0(SALU_CYCLE_1) | instskip(SKIP_3) | instid1(VALU_DEP_2)
	s_or_b32 exec_lo, exec_lo, s14
	v_lshrrev_b16 v4, 8, v4
	v_mov_b32_e32 v18, 0
	s_mov_b32 s14, exec_lo
	v_cmpx_ne_u16_e32 0, v4
	s_cbranch_execz .LBB263_282
; %bb.275:                              ;   in Loop: Header=BB263_168 Depth=1
	v_bfrev_b32_e32 v18, 1
	s_mov_b32 s15, exec_lo
	v_cmpx_ne_u16_e32 0x80, v4
	s_cbranch_execz .LBB263_281
; %bb.276:                              ;   in Loop: Header=BB263_168 Depth=1
	v_and_b32_e32 v19, 0xffff, v4
	v_mov_b32_e32 v18, 0x7c010000
	s_mov_b32 s16, exec_lo
	s_delay_alu instid0(VALU_DEP_2) | instskip(NEXT) | instid1(VALU_DEP_1)
	v_and_b32_e32 v21, 0x7f, v19
	v_cmpx_ne_u32_e32 0x7f, v21
	s_cbranch_execz .LBB263_280
; %bb.277:                              ;   in Loop: Header=BB263_168 Depth=1
	v_dual_lshrrev_b32 v20, 3, v21 :: v_dual_bitop2_b32 v18, 7, v19 bitop3:0x40
	s_mov_b32 s17, exec_lo
	v_cmpx_gt_u32_e32 8, v21
; %bb.278:                              ;   in Loop: Header=BB263_168 Depth=1
	s_delay_alu instid0(VALU_DEP_2) | instskip(NEXT) | instid1(VALU_DEP_1)
	v_clz_i32_u32_e32 v18, v18
	v_min_u32_e32 v18, 32, v18
	s_delay_alu instid0(VALU_DEP_1) | instskip(NEXT) | instid1(VALU_DEP_1)
	v_subrev_nc_u32_e32 v20, 28, v18
	v_lshlrev_b64_e32 v[44:45], v20, v[4:5]
	s_delay_alu instid0(VALU_DEP_1)
	v_dual_sub_nc_u32 v20, 29, v18 :: v_dual_bitop2_b32 v18, 7, v44 bitop3:0x40
; %bb.279:                              ;   in Loop: Header=BB263_168 Depth=1
	s_or_b32 exec_lo, exec_lo, s17
	s_delay_alu instid0(VALU_DEP_1) | instskip(NEXT) | instid1(VALU_DEP_2)
	v_dual_lshlrev_b32 v4, 8, v19 :: v_dual_lshlrev_b32 v18, 23, v18
	v_lshl_add_u32 v19, v20, 10, 0x2000
	s_delay_alu instid0(VALU_DEP_1) | instskip(NEXT) | instid1(VALU_DEP_1)
	v_and_or_b32 v4, 0x8000, v4, v19
	v_lshl_or_b32 v18, v4, 16, v18
.LBB263_280:                            ;   in Loop: Header=BB263_168 Depth=1
	s_or_b32 exec_lo, exec_lo, s16
.LBB263_281:                            ;   in Loop: Header=BB263_168 Depth=1
	s_delay_alu instid0(SALU_CYCLE_1)
	s_or_b32 exec_lo, exec_lo, s15
.LBB263_282:                            ;   in Loop: Header=BB263_168 Depth=1
	s_delay_alu instid0(SALU_CYCLE_1) | instskip(SKIP_2) | instid1(VALU_DEP_1)
	s_or_b32 exec_lo, exec_lo, s14
	v_lshrrev_b32_e32 v4, 16, v13
	s_mov_b32 s14, exec_lo
	v_and_b32_e32 v19, 0xff, v4
	s_delay_alu instid0(VALU_DEP_1)
	v_cmpx_ne_u16_e32 0, v19
	s_cbranch_execz .LBB263_290
; %bb.283:                              ;   in Loop: Header=BB263_168 Depth=1
	v_mov_b32_e32 v17, 0x8000
	s_mov_b32 s15, exec_lo
	v_cmpx_ne_u16_e32 0x80, v19
	s_cbranch_execz .LBB263_289
; %bb.284:                              ;   in Loop: Header=BB263_168 Depth=1
	v_bfe_u32 v20, v13, 16, 7
	v_mov_b32_e32 v17, 0x7c01
	s_mov_b32 s16, exec_lo
	s_delay_alu instid0(VALU_DEP_2)
	v_cmpx_ne_u32_e32 0x7f, v20
	s_cbranch_execz .LBB263_288
; %bb.285:                              ;   in Loop: Header=BB263_168 Depth=1
	v_and_b32_e32 v17, 7, v4
	v_lshrrev_b32_e32 v19, 3, v20
	s_mov_b32 s17, exec_lo
	v_cmpx_gt_u32_e32 8, v20
; %bb.286:                              ;   in Loop: Header=BB263_168 Depth=1
	s_delay_alu instid0(VALU_DEP_3) | instskip(NEXT) | instid1(VALU_DEP_1)
	v_clz_i32_u32_e32 v17, v17
	v_min_u32_e32 v17, 32, v17
	s_delay_alu instid0(VALU_DEP_1) | instskip(NEXT) | instid1(VALU_DEP_1)
	v_subrev_nc_u32_e32 v19, 28, v17
	v_lshlrev_b64_e32 v[20:21], v19, v[4:5]
	s_delay_alu instid0(VALU_DEP_1)
	v_dual_sub_nc_u32 v19, 29, v17 :: v_dual_bitop2_b32 v17, 7, v20 bitop3:0x40
; %bb.287:                              ;   in Loop: Header=BB263_168 Depth=1
	s_or_b32 exec_lo, exec_lo, s17
	s_delay_alu instid0(VALU_DEP_1) | instskip(NEXT) | instid1(VALU_DEP_2)
	v_dual_lshlrev_b32 v4, 8, v4 :: v_dual_lshlrev_b32 v17, 7, v17
	v_lshl_add_u32 v19, v19, 10, 0x2000
	s_delay_alu instid0(VALU_DEP_2) | instskip(NEXT) | instid1(VALU_DEP_2)
	v_and_b32_e32 v4, 0x8000, v4
	v_and_b32_e32 v19, 0xfc00, v19
	s_delay_alu instid0(VALU_DEP_1)
	v_or3_b32 v17, v4, v19, v17
.LBB263_288:                            ;   in Loop: Header=BB263_168 Depth=1
	s_or_b32 exec_lo, exec_lo, s16
.LBB263_289:                            ;   in Loop: Header=BB263_168 Depth=1
	s_delay_alu instid0(SALU_CYCLE_1)
	s_or_b32 exec_lo, exec_lo, s15
.LBB263_290:                            ;   in Loop: Header=BB263_168 Depth=1
	s_delay_alu instid0(SALU_CYCLE_1)
	s_or_b32 exec_lo, exec_lo, s14
	v_cmp_lt_u64_e64 s0, s[2:3], v[12:13]
	v_mov_b32_e32 v12, 0
	s_and_saveexec_b32 s14, s0
	s_cbranch_execz .LBB263_298
; %bb.291:                              ;   in Loop: Header=BB263_168 Depth=1
	v_lshrrev_b32_e32 v4, 24, v13
	v_bfrev_b32_e32 v12, 1
	s_mov_b32 s15, exec_lo
	s_delay_alu instid0(VALU_DEP_2)
	v_cmpx_ne_u32_e32 0x80, v4
	s_cbranch_execz .LBB263_297
; %bb.292:                              ;   in Loop: Header=BB263_168 Depth=1
	v_and_b32_e32 v19, 0x7f, v4
	v_mov_b32_e32 v12, 0x7c010000
	s_mov_b32 s16, exec_lo
	s_delay_alu instid0(VALU_DEP_2)
	v_cmpx_ne_u32_e32 0x7f, v19
	s_cbranch_execz .LBB263_296
; %bb.293:                              ;   in Loop: Header=BB263_168 Depth=1
	v_dual_lshrrev_b32 v13, 3, v19 :: v_dual_bitop2_b32 v12, 7, v4 bitop3:0x40
	s_mov_b32 s17, exec_lo
	v_cmpx_gt_u32_e32 8, v19
; %bb.294:                              ;   in Loop: Header=BB263_168 Depth=1
	s_delay_alu instid0(VALU_DEP_2) | instskip(NEXT) | instid1(VALU_DEP_1)
	v_clz_i32_u32_e32 v12, v12
	v_min_u32_e32 v19, 32, v12
	s_delay_alu instid0(VALU_DEP_1) | instskip(NEXT) | instid1(VALU_DEP_1)
	v_subrev_nc_u32_e32 v12, 28, v19
	v_lshlrev_b64_e32 v[12:13], v12, v[4:5]
	s_delay_alu instid0(VALU_DEP_1)
	v_dual_sub_nc_u32 v13, 29, v19 :: v_dual_bitop2_b32 v12, 7, v12 bitop3:0x40
; %bb.295:                              ;   in Loop: Header=BB263_168 Depth=1
	s_or_b32 exec_lo, exec_lo, s17
	v_lshlrev_b32_e32 v4, 8, v4
	s_delay_alu instid0(VALU_DEP_2) | instskip(NEXT) | instid1(VALU_DEP_3)
	v_lshl_add_u32 v13, v13, 10, 0x2000
	v_lshlrev_b32_e32 v12, 23, v12
	s_delay_alu instid0(VALU_DEP_2) | instskip(NEXT) | instid1(VALU_DEP_1)
	v_and_or_b32 v4, 0x8000, v4, v13
	v_lshl_or_b32 v12, v4, 16, v12
.LBB263_296:                            ;   in Loop: Header=BB263_168 Depth=1
	s_or_b32 exec_lo, exec_lo, s16
.LBB263_297:                            ;   in Loop: Header=BB263_168 Depth=1
	s_delay_alu instid0(SALU_CYCLE_1)
	s_or_b32 exec_lo, exec_lo, s15
.LBB263_298:                            ;   in Loop: Header=BB263_168 Depth=1
	s_delay_alu instid0(SALU_CYCLE_1) | instskip(SKIP_3) | instid1(VALU_DEP_3)
	s_or_b32 exec_lo, exec_lo, s14
	v_dual_lshrrev_b32 v4, 16, v1 :: v_dual_lshrrev_b32 v13, 16, v14
	v_or_b32_e32 v1, v1, v11
	v_dual_lshrrev_b32 v19, 16, v12 :: v_dual_bitop2_b32 v11, v14, v15 bitop3:0x54
	v_cvt_f32_f16_e32 v15, v4
	s_delay_alu instid0(VALU_DEP_4) | instskip(SKIP_1) | instid1(VALU_DEP_4)
	v_cvt_f32_f16_e32 v14, v13
	v_dual_lshrrev_b32 v17, 16, v18 :: v_dual_bitop2_b32 v4, v12, v17 bitop3:0x54
	v_cvt_f32_f16_e32 v12, v11
	v_cvt_f32_f16_e32 v13, v1
	s_wait_loadcnt 0x0
	v_pk_mul_f32 v[14:15], v[10:11], v[14:15] op_sel_hi:[0,1]
	v_cvt_f32_f16_e32 v17, v17
	s_delay_alu instid0(VALU_DEP_2) | instskip(SKIP_3) | instid1(VALU_DEP_3)
	v_cvt_pk_f16_f32 v1, v14, v15
	v_or_b32_e32 v11, v18, v16
	v_cvt_f32_f16_e32 v16, v19
	v_cvt_f32_f16_e32 v18, v4
	v_pk_mul_f32 v[12:13], v[10:11], v[12:13] op_sel_hi:[0,1]
	s_delay_alu instid0(VALU_DEP_1) | instskip(SKIP_4) | instid1(VALU_DEP_3)
	v_cvt_pk_f16_f32 v4, v12, v13
	v_lshlrev_b32_e32 v12, 16, v1
	v_cvt_f32_f16_e32 v19, v11
	v_pk_mul_f32 v[14:15], v[10:11], v[16:17] op_sel_hi:[0,1]
	v_and_b32_e32 v13, 0xffff0000, v1
	v_pk_mul_f32 v[10:11], v[10:11], v[18:19] op_sel_hi:[0,1]
	s_delay_alu instid0(VALU_DEP_3) | instskip(SKIP_2) | instid1(VALU_DEP_4)
	v_cvt_pk_f16_f32 v14, v14, v15
	v_lshrrev_b32_e32 v19, 16, v4
	v_and_b32_e32 v18, 0xffff, v4
	v_cvt_pk_f16_f32 v10, v10, v11
	s_delay_alu instid0(VALU_DEP_4) | instskip(NEXT) | instid1(VALU_DEP_4)
	v_and_b32_e32 v1, 0xffff0000, v14
	v_dual_lshlrev_b32 v4, 16, v14 :: v_dual_bitop2_b32 v17, v13, v19 bitop3:0x54
	s_delay_alu instid0(VALU_DEP_4) | instskip(NEXT) | instid1(VALU_DEP_4)
	v_or_b32_e32 v16, v12, v18
	v_lshrrev_b32_e32 v11, 16, v10
	v_and_b32_e32 v10, 0xffff, v10
	s_delay_alu instid0(VALU_DEP_2) | instskip(NEXT) | instid1(VALU_DEP_2)
	v_or_b32_e32 v15, v1, v11
	v_or_b32_e32 v14, v4, v10
	s_and_saveexec_b32 s0, vcc_lo
	s_cbranch_execz .LBB263_167
; %bb.299:                              ;   in Loop: Header=BB263_168 Depth=1
	v_cmp_gt_i32_e32 vcc_lo, s9, v27
	v_cndmask_b32_e32 v14, 0, v19, vcc_lo
	v_cmp_gt_i32_e32 vcc_lo, s23, v36
	v_cndmask_b32_e32 v15, 0, v18, vcc_lo
	;; [unrolled: 2-line block ×4, first 2 shown]
	v_cmp_gt_i32_e32 vcc_lo, s9, v33
	s_delay_alu instid0(VALU_DEP_4) | instskip(NEXT) | instid1(VALU_DEP_3)
	v_or_b32_e32 v17, v13, v14
	v_or_b32_e32 v16, v12, v15
	v_cndmask_b32_e32 v11, 0, v11, vcc_lo
	v_cmp_gt_i32_e32 vcc_lo, s23, v32
	v_cndmask_b32_e32 v10, 0, v10, vcc_lo
	v_cmp_gt_i32_e32 vcc_lo, s9, v31
	;; [unrolled: 2-line block ×3, first 2 shown]
	s_delay_alu instid0(VALU_DEP_2) | instskip(NEXT) | instid1(VALU_DEP_1)
	v_dual_cndmask_b32 v4, 0, v4, vcc_lo :: v_dual_bitop2_b32 v15, v1, v11 bitop3:0x54
	v_or_b32_e32 v14, v4, v10
	s_branch .LBB263_167
.LBB263_300:
	s_or_b32 exec_lo, exec_lo, s8
.LBB263_301:
	s_delay_alu instid0(SALU_CYCLE_1)
	s_or_b32 exec_lo, exec_lo, s1
	ds_bpermute_b32 v6, v26, v2
	ds_bpermute_b32 v7, v26, v3
	v_lshrrev_b32_e32 v1, 1, v25
	v_and_b32_e32 v5, 0x3c1, v0
	s_mov_b32 s0, exec_lo
	s_wait_dscnt 0x0
	s_barrier_signal -1
	v_lshl_add_u32 v4, v1, 2, 0x60
	s_barrier_wait -1
	v_pk_add_f32 v[2:3], v[2:3], v[6:7]
	v_cmpx_eq_u32_e32 64, v5
	s_cbranch_execz .LBB263_303
; %bb.302:
	v_lshl_add_u32 v5, v24, 7, v4
	s_delay_alu instid0(VALU_DEP_1)
	v_add_nc_u32_e32 v6, 0xffffff00, v5
	v_add_nc_u32_e32 v5, 0xffffff40, v5
	ds_store_b32 v6, v2
	ds_store_b32 v5, v3
.LBB263_303:
	s_or_b32 exec_lo, exec_lo, s0
	v_and_b32_e32 v5, 0x3e0, v0
	v_lshlrev_b32_e32 v1, 2, v1
	s_mov_b32 s1, exec_lo
	v_cmp_eq_u32_e32 vcc_lo, 0, v23
	s_wait_dscnt 0x0
	v_lshlrev_b32_e32 v5, 2, v5
	s_barrier_signal -1
	s_barrier_wait -1
	s_delay_alu instid0(VALU_DEP_1)
	v_add3_u32 v1, 0x60, v5, v1
	v_cmpx_gt_u32_e32 64, v0
	s_cbranch_execz .LBB263_309
; %bb.304:
	s_and_saveexec_b32 s0, vcc_lo
	s_cbranch_execz .LBB263_306
; %bb.305:
	ds_load_b32 v5, v1
	s_wait_dscnt 0x0
	v_add_f32_e32 v2, v2, v5
.LBB263_306:
	s_or_b32 exec_lo, exec_lo, s0
	s_and_saveexec_b32 s0, vcc_lo
	s_cbranch_execz .LBB263_308
; %bb.307:
	ds_load_b32 v5, v1 offset:64
	s_wait_dscnt 0x0
	v_add_f32_e32 v3, v3, v5
.LBB263_308:
	s_or_b32 exec_lo, exec_lo, s0
.LBB263_309:
	s_delay_alu instid0(SALU_CYCLE_1) | instskip(SKIP_4) | instid1(VALU_DEP_1)
	s_or_b32 exec_lo, exec_lo, s1
	v_and_b32_e32 v5, 0x3e1, v0
	s_mov_b32 s1, exec_lo
	s_barrier_signal -1
	s_barrier_wait -1
	v_cmpx_eq_u32_e32 32, v5
; %bb.310:
	ds_store_2addr_b32 v4, v2, v3 offset1:16
; %bb.311:
	s_or_b32 exec_lo, exec_lo, s1
	s_delay_alu instid0(SALU_CYCLE_1)
	s_mov_b32 s1, exec_lo
	s_wait_dscnt 0x0
	s_barrier_signal -1
	s_barrier_wait -1
	v_cmpx_gt_u32_e32 32, v0
	s_cbranch_execz .LBB263_317
; %bb.312:
	s_and_saveexec_b32 s0, vcc_lo
	s_cbranch_execz .LBB263_314
; %bb.313:
	ds_load_b32 v0, v1
	s_wait_dscnt 0x0
	v_add_f32_e32 v2, v2, v0
.LBB263_314:
	s_or_b32 exec_lo, exec_lo, s0
	s_and_saveexec_b32 s0, vcc_lo
	s_cbranch_execz .LBB263_316
; %bb.315:
	ds_load_b32 v0, v1 offset:64
	s_wait_dscnt 0x0
	v_add_f32_e32 v3, v3, v0
.LBB263_316:
	s_or_b32 exec_lo, exec_lo, s0
.LBB263_317:
	s_delay_alu instid0(SALU_CYCLE_1)
	s_or_b32 exec_lo, exec_lo, s1
	s_mov_b32 s1, 0
	s_barrier_signal -1
	s_barrier_wait -1
	s_mov_b32 s0, exec_lo
	v_cmpx_eq_u32_e32 0, v5
	s_cbranch_execz .LBB263_319
; %bb.318:
	s_mul_i32 s0, s22, s13
	s_mul_i32 s2, s13, s12
	;; [unrolled: 1-line block ×3, first 2 shown]
	s_wait_kmcnt 0x0
	s_lshr_b32 s8, ttmp7, 16
	s_lshl_b32 s4, s0, 5
	s_bfe_u32 s0, ttmp6, 0x40014
	s_ashr_i32 s5, s4, 31
	s_add_co_i32 s0, s0, 1
	s_ashr_i32 s3, s2, 31
	s_mul_i32 s0, s8, s0
	s_bfe_u32 s9, ttmp6, 0x40008
	s_lshl_b64 s[4:5], s[4:5], 1
	s_lshl_b64 s[2:3], s[2:3], 1
	s_add_co_i32 s9, s9, s0
	s_cmp_eq_u32 s20, 0
	s_add_nc_u64 s[4:5], s[6:7], s[4:5]
	s_cselect_b32 s0, s8, s9
	s_add_nc_u64 s[2:3], s[4:5], s[2:3]
	s_lshl_b32 s0, s0, 6
	;;#ASMSTART
	v_cvt_f16_f32 v0, v2;

	;;#ASMEND
	s_add_nc_u64 s[0:1], s[2:3], s[0:1]
	global_store_b16 v22, v0, s[0:1] scale_offset
	s_wait_xcnt 0x0
	;;#ASMSTART
	v_cvt_f16_f32 v0, v3;

	;;#ASMEND
	global_store_b16 v22, v0, s[0:1] offset:32 scale_offset
.LBB263_319:
	s_endpgm
	.section	.rodata,"a",@progbits
	.p2align	6, 0x0
	.amdhsa_kernel _ZN4vllm25paged_attention_v1_kernelIthLi32ELi16ELi128ELNS_18Fp8KVCacheDataTypeE1ELb0EEEvPT_PKS2_PKT0_S8_ifPKiSA_iPKfiiiSC_SC_iiiii
		.amdhsa_group_segment_fixed_size 96
		.amdhsa_private_segment_fixed_size 0
		.amdhsa_kernarg_size 384
		.amdhsa_user_sgpr_count 2
		.amdhsa_user_sgpr_dispatch_ptr 0
		.amdhsa_user_sgpr_queue_ptr 0
		.amdhsa_user_sgpr_kernarg_segment_ptr 1
		.amdhsa_user_sgpr_dispatch_id 0
		.amdhsa_user_sgpr_kernarg_preload_length 0
		.amdhsa_user_sgpr_kernarg_preload_offset 0
		.amdhsa_user_sgpr_private_segment_size 0
		.amdhsa_wavefront_size32 1
		.amdhsa_uses_dynamic_stack 0
		.amdhsa_enable_private_segment 0
		.amdhsa_system_sgpr_workgroup_id_x 1
		.amdhsa_system_sgpr_workgroup_id_y 1
		.amdhsa_system_sgpr_workgroup_id_z 1
		.amdhsa_system_sgpr_workgroup_info 0
		.amdhsa_system_vgpr_workitem_id 0
		.amdhsa_next_free_vgpr 51
		.amdhsa_next_free_sgpr 32
		.amdhsa_named_barrier_count 0
		.amdhsa_reserve_vcc 1
		.amdhsa_float_round_mode_32 0
		.amdhsa_float_round_mode_16_64 0
		.amdhsa_float_denorm_mode_32 3
		.amdhsa_float_denorm_mode_16_64 3
		.amdhsa_fp16_overflow 0
		.amdhsa_memory_ordered 1
		.amdhsa_forward_progress 1
		.amdhsa_inst_pref_size 96
		.amdhsa_round_robin_scheduling 0
		.amdhsa_exception_fp_ieee_invalid_op 0
		.amdhsa_exception_fp_denorm_src 0
		.amdhsa_exception_fp_ieee_div_zero 0
		.amdhsa_exception_fp_ieee_overflow 0
		.amdhsa_exception_fp_ieee_underflow 0
		.amdhsa_exception_fp_ieee_inexact 0
		.amdhsa_exception_int_div_zero 0
	.end_amdhsa_kernel
	.section	.text._ZN4vllm25paged_attention_v1_kernelIthLi32ELi16ELi128ELNS_18Fp8KVCacheDataTypeE1ELb0EEEvPT_PKS2_PKT0_S8_ifPKiSA_iPKfiiiSC_SC_iiiii,"axG",@progbits,_ZN4vllm25paged_attention_v1_kernelIthLi32ELi16ELi128ELNS_18Fp8KVCacheDataTypeE1ELb0EEEvPT_PKS2_PKT0_S8_ifPKiSA_iPKfiiiSC_SC_iiiii,comdat
.Lfunc_end263:
	.size	_ZN4vllm25paged_attention_v1_kernelIthLi32ELi16ELi128ELNS_18Fp8KVCacheDataTypeE1ELb0EEEvPT_PKS2_PKT0_S8_ifPKiSA_iPKfiiiSC_SC_iiiii, .Lfunc_end263-_ZN4vllm25paged_attention_v1_kernelIthLi32ELi16ELi128ELNS_18Fp8KVCacheDataTypeE1ELb0EEEvPT_PKS2_PKT0_S8_ifPKiSA_iPKfiiiSC_SC_iiiii
                                        ; -- End function
	.set _ZN4vllm25paged_attention_v1_kernelIthLi32ELi16ELi128ELNS_18Fp8KVCacheDataTypeE1ELb0EEEvPT_PKS2_PKT0_S8_ifPKiSA_iPKfiiiSC_SC_iiiii.num_vgpr, 51
	.set _ZN4vllm25paged_attention_v1_kernelIthLi32ELi16ELi128ELNS_18Fp8KVCacheDataTypeE1ELb0EEEvPT_PKS2_PKT0_S8_ifPKiSA_iPKfiiiSC_SC_iiiii.num_agpr, 0
	.set _ZN4vllm25paged_attention_v1_kernelIthLi32ELi16ELi128ELNS_18Fp8KVCacheDataTypeE1ELb0EEEvPT_PKS2_PKT0_S8_ifPKiSA_iPKfiiiSC_SC_iiiii.numbered_sgpr, 32
	.set _ZN4vllm25paged_attention_v1_kernelIthLi32ELi16ELi128ELNS_18Fp8KVCacheDataTypeE1ELb0EEEvPT_PKS2_PKT0_S8_ifPKiSA_iPKfiiiSC_SC_iiiii.num_named_barrier, 0
	.set _ZN4vllm25paged_attention_v1_kernelIthLi32ELi16ELi128ELNS_18Fp8KVCacheDataTypeE1ELb0EEEvPT_PKS2_PKT0_S8_ifPKiSA_iPKfiiiSC_SC_iiiii.private_seg_size, 0
	.set _ZN4vllm25paged_attention_v1_kernelIthLi32ELi16ELi128ELNS_18Fp8KVCacheDataTypeE1ELb0EEEvPT_PKS2_PKT0_S8_ifPKiSA_iPKfiiiSC_SC_iiiii.uses_vcc, 1
	.set _ZN4vllm25paged_attention_v1_kernelIthLi32ELi16ELi128ELNS_18Fp8KVCacheDataTypeE1ELb0EEEvPT_PKS2_PKT0_S8_ifPKiSA_iPKfiiiSC_SC_iiiii.uses_flat_scratch, 0
	.set _ZN4vllm25paged_attention_v1_kernelIthLi32ELi16ELi128ELNS_18Fp8KVCacheDataTypeE1ELb0EEEvPT_PKS2_PKT0_S8_ifPKiSA_iPKfiiiSC_SC_iiiii.has_dyn_sized_stack, 0
	.set _ZN4vllm25paged_attention_v1_kernelIthLi32ELi16ELi128ELNS_18Fp8KVCacheDataTypeE1ELb0EEEvPT_PKS2_PKT0_S8_ifPKiSA_iPKfiiiSC_SC_iiiii.has_recursion, 0
	.set _ZN4vllm25paged_attention_v1_kernelIthLi32ELi16ELi128ELNS_18Fp8KVCacheDataTypeE1ELb0EEEvPT_PKS2_PKT0_S8_ifPKiSA_iPKfiiiSC_SC_iiiii.has_indirect_call, 0
	.section	.AMDGPU.csdata,"",@progbits
; Kernel info:
; codeLenInByte = 12164
; TotalNumSgprs: 34
; NumVgprs: 51
; ScratchSize: 0
; MemoryBound: 0
; FloatMode: 240
; IeeeMode: 1
; LDSByteSize: 96 bytes/workgroup (compile time only)
; SGPRBlocks: 0
; VGPRBlocks: 3
; NumSGPRsForWavesPerEU: 34
; NumVGPRsForWavesPerEU: 51
; NamedBarCnt: 0
; Occupancy: 16
; WaveLimiterHint : 1
; COMPUTE_PGM_RSRC2:SCRATCH_EN: 0
; COMPUTE_PGM_RSRC2:USER_SGPR: 2
; COMPUTE_PGM_RSRC2:TRAP_HANDLER: 0
; COMPUTE_PGM_RSRC2:TGID_X_EN: 1
; COMPUTE_PGM_RSRC2:TGID_Y_EN: 1
; COMPUTE_PGM_RSRC2:TGID_Z_EN: 1
; COMPUTE_PGM_RSRC2:TIDIG_COMP_CNT: 0
	.section	.text._ZN4vllm25paged_attention_v1_kernelIthLi64ELi16ELi128ELNS_18Fp8KVCacheDataTypeE1ELb0EEEvPT_PKS2_PKT0_S8_ifPKiSA_iPKfiiiSC_SC_iiiii,"axG",@progbits,_ZN4vllm25paged_attention_v1_kernelIthLi64ELi16ELi128ELNS_18Fp8KVCacheDataTypeE1ELb0EEEvPT_PKS2_PKT0_S8_ifPKiSA_iPKfiiiSC_SC_iiiii,comdat
	.protected	_ZN4vllm25paged_attention_v1_kernelIthLi64ELi16ELi128ELNS_18Fp8KVCacheDataTypeE1ELb0EEEvPT_PKS2_PKT0_S8_ifPKiSA_iPKfiiiSC_SC_iiiii ; -- Begin function _ZN4vllm25paged_attention_v1_kernelIthLi64ELi16ELi128ELNS_18Fp8KVCacheDataTypeE1ELb0EEEvPT_PKS2_PKT0_S8_ifPKiSA_iPKfiiiSC_SC_iiiii
	.globl	_ZN4vllm25paged_attention_v1_kernelIthLi64ELi16ELi128ELNS_18Fp8KVCacheDataTypeE1ELb0EEEvPT_PKS2_PKT0_S8_ifPKiSA_iPKfiiiSC_SC_iiiii
	.p2align	8
	.type	_ZN4vllm25paged_attention_v1_kernelIthLi64ELi16ELi128ELNS_18Fp8KVCacheDataTypeE1ELb0EEEvPT_PKS2_PKT0_S8_ifPKiSA_iPKfiiiSC_SC_iiiii,@function
_ZN4vllm25paged_attention_v1_kernelIthLi64ELi16ELi128ELNS_18Fp8KVCacheDataTypeE1ELb0EEEvPT_PKS2_PKT0_S8_ifPKiSA_iPKfiiiSC_SC_iiiii: ; @_ZN4vllm25paged_attention_v1_kernelIthLi64ELi16ELi128ELNS_18Fp8KVCacheDataTypeE1ELb0EEEvPT_PKS2_PKT0_S8_ifPKiSA_iPKfiiiSC_SC_iiiii
; %bb.0:
	s_load_b64 s[6:7], s[0:1], 0x20
	s_bfe_u32 s3, ttmp6, 0x4000c
	s_bfe_u32 s5, ttmp6, 0x40010
	s_and_b32 s4, ttmp7, 0xffff
	s_add_co_i32 s3, s3, 1
	s_add_co_i32 s5, s5, 1
	s_and_b32 s2, ttmp6, 15
	s_bfe_u32 s8, ttmp6, 0x40004
	s_mul_i32 s3, ttmp9, s3
	s_mul_i32 s5, s4, s5
	s_getreg_b32 s20, hwreg(HW_REG_IB_STS2, 6, 4)
	s_add_co_i32 s2, s2, s3
	s_add_co_i32 s8, s8, s5
	s_cmp_eq_u32 s20, 0
	s_clause 0x1
	s_load_b32 s21, s[0:1], 0x80
	s_load_b64 s[10:11], s[0:1], 0x30
	s_cselect_b32 s22, s4, s8
	s_cselect_b32 s8, ttmp9, s2
	s_wait_kmcnt 0x0
	s_abs_i32 s2, s6
	s_delay_alu instid0(SALU_CYCLE_1) | instskip(SKIP_1) | instid1(SALU_CYCLE_2)
	s_cvt_f32_u32 s3, s2
	s_sub_co_i32 s4, 0, s2
	v_rcp_iflag_f32_e32 v1, s3
	s_abs_i32 s5, s21
	v_nop
	s_delay_alu instid0(TRANS32_DEP_1) | instskip(SKIP_1) | instid1(SALU_CYCLE_3)
	v_readfirstlane_b32 s3, v1
	s_mul_f32 s3, s3, 0x4f7ffffe
	s_cvt_u32_f32 s3, s3
	s_delay_alu instid0(SALU_CYCLE_3) | instskip(NEXT) | instid1(SALU_CYCLE_1)
	s_mul_i32 s4, s4, s3
	s_mul_hi_u32 s4, s3, s4
	s_delay_alu instid0(SALU_CYCLE_1) | instskip(SKIP_4) | instid1(SALU_CYCLE_1)
	s_add_co_i32 s3, s3, s4
	s_xor_b32 s4, s21, s6
	s_mul_hi_u32 s3, s5, s3
	s_ashr_i32 s4, s4, 31
	s_mul_i32 s6, s3, s2
	s_sub_co_i32 s5, s5, s6
	s_add_co_i32 s6, s3, 1
	s_sub_co_i32 s9, s5, s2
	s_cmp_ge_u32 s5, s2
	s_cselect_b32 s3, s6, s3
	s_cselect_b32 s5, s9, s5
	s_add_co_i32 s6, s3, 1
	s_cmp_ge_u32 s5, s2
	s_cselect_b32 s2, s6, s3
	s_mov_b32 s3, 0
	s_xor_b32 s2, s2, s4
	s_mov_b32 s13, s3
	s_sub_co_i32 s15, s2, s4
	s_load_b64 s[4:5], s[0:1], 0x40
	s_abs_i32 s14, s15
	s_mov_b32 s25, s3
	s_cvt_f32_u32 s2, s14
	s_delay_alu instid0(SALU_CYCLE_3) | instskip(SKIP_1) | instid1(TRANS32_DEP_1)
	v_rcp_iflag_f32_e32 v1, s2
	v_nop
	v_readfirstlane_b32 s2, v1
	s_mul_f32 s2, s2, 0x4f7ffffe
	s_delay_alu instid0(SALU_CYCLE_3) | instskip(SKIP_1) | instid1(SALU_CYCLE_2)
	s_cvt_u32_f32 s6, s2
	s_sub_co_i32 s2, 0, s14
	s_mul_i32 s2, s2, s6
	s_delay_alu instid0(SALU_CYCLE_1)
	s_mul_hi_u32 s9, s6, s2
	s_abs_i32 s2, s8
	s_add_co_i32 s12, s6, s9
	s_wait_kmcnt 0x0
	s_cmp_eq_u64 s[4:5], 0
	s_cbranch_scc1 .LBB264_2
; %bb.1:
	s_ashr_i32 s9, s8, 31
	s_delay_alu instid0(SALU_CYCLE_1) | instskip(NEXT) | instid1(SALU_CYCLE_1)
	s_lshl_b64 s[16:17], s[8:9], 2
	s_add_nc_u64 s[4:5], s[4:5], s[16:17]
	s_load_b32 s25, s[4:5], 0x0
.LBB264_2:
	s_load_b32 s23, s[10:11], s22 offset:0x0 scale_offset
	s_wait_xcnt 0x0
	s_load_b96 s[4:6], s[0:1], 0x48
	v_dual_lshrrev_b32 v24, 1, v0 :: v_dual_bitop2_b32 v25, 1, v0 bitop3:0x40
	s_ashr_i32 s9, s8, 31
	s_ashr_i32 s15, s15, 31
	s_mul_u64 s[10:11], s[2:3], s[12:13]
	s_lshl_b32 s12, s8, 6
	s_mov_b32 s3, exec_lo
	v_cmpx_gt_u32_e32 16, v0
	s_cbranch_execz .LBB264_4
; %bb.3:
	s_load_b64 s[16:17], s[0:1], 0x8
	s_wait_kmcnt 0x0
	s_mul_i32 s18, s4, s22
	s_ashr_i32 s13, s12, 31
	s_ashr_i32 s19, s18, 31
	v_lshlrev_b32_e32 v1, 3, v24
	s_lshl_b64 s[18:19], s[18:19], 1
	s_delay_alu instid0(VALU_DEP_1) | instskip(SKIP_2) | instid1(SALU_CYCLE_1)
	v_lshl_add_u32 v1, v25, 6, v1
	s_add_nc_u64 s[16:17], s[16:17], s[18:19]
	s_lshl_b64 s[18:19], s[12:13], 1
	s_add_nc_u64 s[16:17], s[16:17], s[18:19]
	global_load_b64 v[2:3], v0, s[16:17] scale_offset
	s_wait_loadcnt 0x0
	ds_store_b64 v1, v[2:3]
.LBB264_4:
	s_or_b32 exec_lo, exec_lo, s3
	s_wait_kmcnt 0x0
	s_add_co_i32 s3, s23, 15
	s_load_b32 s4, s[0:1], 0x38
	s_ashr_i32 s8, s3, 31
	s_mul_i32 s10, s11, s14
	s_lshr_b32 s8, s8, 28
	s_sub_co_i32 s2, s2, s10
	s_add_co_i32 s3, s3, s8
	s_xor_b32 s9, s9, s15
	s_ashr_i32 s24, s3, 4
	s_add_co_i32 s3, s11, 1
	s_sub_co_i32 s8, s2, s14
	s_cmp_ge_u32 s2, s14
	v_lshrrev_b32_e32 v26, 5, v0
	s_cselect_b32 s3, s3, s11
	s_cselect_b32 s2, s8, s2
	s_add_co_i32 s8, s3, 1
	s_cmp_ge_u32 s2, s14
	v_mbcnt_lo_u32_b32 v11, -1, 0
	s_cselect_b32 s2, s8, s3
	s_wait_dscnt 0x0
	s_xor_b32 s2, s2, s9
	s_wait_kmcnt 0x0
	s_mul_i32 s14, s4, s22
	s_sub_co_i32 s3, s2, s9
	v_cmp_gt_i32_e64 s2, s24, v26
	s_ashr_i32 s15, s14, 31
	s_mov_b32 s4, exec_lo
	s_barrier_signal -1
	s_barrier_wait -1
                                        ; implicit-def: $vgpr3
                                        ; implicit-def: $vgpr12
	v_cmpx_le_i32_e64 s24, v26
	s_xor_b32 s4, exec_lo, s4
; %bb.5:
	v_dual_mov_b32 v3, 0 :: v_dual_mov_b32 v12, 32
	v_mbcnt_lo_u32_b32 v11, -1, 0
; %bb.6:
	s_or_saveexec_b32 s26, s4
	s_clause 0x2
	s_load_b32 s13, s[0:1], 0x88
	s_load_b64 s[16:17], s[0:1], 0x28
	s_load_b128 s[8:11], s[0:1], 0x58
	v_mov_b32_e32 v13, 0xff7fffff
	v_lshrrev_b32_e32 v1, 3, v0
	s_mul_i32 s18, s3, s6
	s_xor_b32 exec_lo, exec_lo, s26
	s_cbranch_execz .LBB264_268
; %bb.7:
	s_load_b64 s[28:29], s[0:1], 0x10
	v_bfe_u32 v6, v0, 1, 4
	v_mov_b32_e32 v3, 0
	s_ashr_i32 s19, s18, 31
	s_cmp_neq_f32 s25, 0
	v_dual_mov_b32 v13, 0xff7fffff :: v_dual_lshlrev_b32 v14, 6, v25
	v_dual_lshlrev_b32 v2, 4, v6 :: v_dual_lshlrev_b32 v7, 2, v6
	s_cselect_b32 s3, -1, 0
	v_lshl_or_b32 v15, v26, 4, v6
	v_mov_b32_e32 v12, 32
	s_mov_b32 s6, 0
	s_sub_co_i32 s27, 1, s23
	v_cmp_eq_u32_e32 vcc_lo, 0, v25
	v_mov_b32_e32 v17, v26
	s_wait_kmcnt 0x0
	s_add_nc_u64 s[28:29], s[28:29], s[18:19]
	s_mov_b32 s19, s5
	v_add_nc_u64_e32 v[4:5], s[28:29], v[2:3]
	v_lshlrev_b32_e32 v2, 2, v25
	v_lshl_or_b32 v7, v26, 6, v7
	s_lshl_b64 s[28:29], s[14:15], 2
	s_delay_alu instid0(SALU_CYCLE_1) | instskip(NEXT) | instid1(VALU_DEP_1)
	s_add_nc_u64 s[28:29], s[16:17], s[28:29]
	v_add_nc_u32_e32 v16, 0xa0, v7
	s_delay_alu instid0(VALU_DEP_4) | instskip(SKIP_1) | instid1(VALU_DEP_1)
	v_add_nc_u64_e32 v[4:5], v[4:5], v[2:3]
	v_and_b32_e32 v2, 0x7c, v1
	v_add_nc_u64_e32 v[6:7], s[28:29], v[2:3]
	s_branch .LBB264_9
.LBB264_8:                              ;   in Loop: Header=BB264_9 Depth=1
	s_or_b32 exec_lo, exec_lo, s28
	v_dual_add_nc_u32 v17, 4, v17 :: v_dual_add_nc_u32 v15, 64, v15
	v_add_nc_u64_e32 v[6:7], 16, v[6:7]
	v_add_nc_u32_e32 v16, 0x100, v16
	s_delay_alu instid0(VALU_DEP_3) | instskip(SKIP_1) | instid1(SALU_CYCLE_1)
	v_cmp_le_i32_e64 s4, s24, v17
	s_or_b32 s6, s4, s6
	s_and_not1_b32 exec_lo, exec_lo, s6
	s_cbranch_execz .LBB264_267
.LBB264_9:                              ; =>This Inner Loop Header: Depth=1
	global_load_b32 v2, v[6:7], off
	v_dual_mov_b32 v19, 0 :: v_dual_mov_b32 v20, 0
	s_mov_b32 s28, exec_lo
	global_load_b32 v18, v19, s[8:9]
	s_wait_loadcnt_dscnt 0x100
	v_mad_nc_i64_i32 v[8:9], v2, s19, v[4:5]
	global_load_b32 v10, v[8:9], off
	s_wait_loadcnt 0x0
	v_and_b32_e32 v2, 0xff, v10
	s_wait_xcnt 0x0
	s_delay_alu instid0(VALU_DEP_1)
	v_cmpx_ne_u16_e32 0, v2
	s_cbranch_execz .LBB264_17
; %bb.10:                               ;   in Loop: Header=BB264_9 Depth=1
	v_mov_b32_e32 v20, 0x8000
	s_mov_b32 s29, exec_lo
	v_cmpx_ne_u16_e32 0x80, v2
	s_cbranch_execz .LBB264_16
; %bb.11:                               ;   in Loop: Header=BB264_9 Depth=1
	v_and_b32_e32 v21, 0x7f, v10
	v_mov_b32_e32 v20, 0x7c01
	s_mov_b32 s30, exec_lo
	s_delay_alu instid0(VALU_DEP_2)
	v_cmpx_ne_u32_e32 0x7f, v21
	s_cbranch_execz .LBB264_15
; %bb.12:                               ;   in Loop: Header=BB264_9 Depth=1
	v_dual_lshrrev_b32 v20, 3, v21 :: v_dual_bitop2_b32 v2, 7, v10 bitop3:0x40
	s_mov_b32 s31, exec_lo
	v_cmpx_gt_u32_e32 8, v21
; %bb.13:                               ;   in Loop: Header=BB264_9 Depth=1
	s_delay_alu instid0(VALU_DEP_2) | instskip(NEXT) | instid1(VALU_DEP_1)
	v_clz_i32_u32_e32 v2, v2
	v_min_u32_e32 v2, 32, v2
	s_delay_alu instid0(VALU_DEP_1) | instskip(NEXT) | instid1(VALU_DEP_1)
	v_subrev_nc_u32_e32 v20, 28, v2
	v_lshlrev_b64_e32 v[22:23], v20, v[10:11]
	v_sub_nc_u32_e32 v20, 29, v2
	s_delay_alu instid0(VALU_DEP_2)
	v_and_b32_e32 v2, 7, v22
; %bb.14:                               ;   in Loop: Header=BB264_9 Depth=1
	s_or_b32 exec_lo, exec_lo, s31
	v_lshlrev_b32_e32 v21, 8, v10
	s_delay_alu instid0(VALU_DEP_3) | instskip(NEXT) | instid1(VALU_DEP_3)
	v_lshl_add_u32 v20, v20, 10, 0x2000
	v_lshlrev_b32_e32 v2, 7, v2
	s_delay_alu instid0(VALU_DEP_3) | instskip(NEXT) | instid1(VALU_DEP_3)
	v_and_b32_e32 v21, 0x8000, v21
	v_and_b32_e32 v20, 0xfc00, v20
	s_delay_alu instid0(VALU_DEP_1)
	v_or3_b32 v20, v21, v20, v2
.LBB264_15:                             ;   in Loop: Header=BB264_9 Depth=1
	s_or_b32 exec_lo, exec_lo, s30
.LBB264_16:                             ;   in Loop: Header=BB264_9 Depth=1
	s_delay_alu instid0(SALU_CYCLE_1)
	s_or_b32 exec_lo, exec_lo, s29
.LBB264_17:                             ;   in Loop: Header=BB264_9 Depth=1
	s_delay_alu instid0(SALU_CYCLE_1) | instskip(SKIP_2) | instid1(VALU_DEP_1)
	s_or_b32 exec_lo, exec_lo, s28
	v_lshrrev_b16 v2, 8, v10
	s_mov_b32 s28, exec_lo
	v_cmpx_ne_u16_e32 0, v2
	s_cbranch_execz .LBB264_25
; %bb.18:                               ;   in Loop: Header=BB264_9 Depth=1
	v_bfrev_b32_e32 v19, 1
	s_mov_b32 s29, exec_lo
	v_cmpx_ne_u16_e32 0x80, v2
	s_cbranch_execz .LBB264_24
; %bb.19:                               ;   in Loop: Header=BB264_9 Depth=1
	v_and_b32_e32 v21, 0xffff, v2
	v_mov_b32_e32 v19, 0x7c010000
	s_mov_b32 s30, exec_lo
	s_delay_alu instid0(VALU_DEP_2) | instskip(NEXT) | instid1(VALU_DEP_1)
	v_and_b32_e32 v23, 0x7f, v21
	v_cmpx_ne_u32_e32 0x7f, v23
	s_cbranch_execz .LBB264_23
; %bb.20:                               ;   in Loop: Header=BB264_9 Depth=1
	v_dual_lshrrev_b32 v22, 3, v23 :: v_dual_bitop2_b32 v19, 7, v21 bitop3:0x40
	s_mov_b32 s31, exec_lo
	v_cmpx_gt_u32_e32 8, v23
; %bb.21:                               ;   in Loop: Header=BB264_9 Depth=1
	s_delay_alu instid0(VALU_DEP_2) | instskip(NEXT) | instid1(VALU_DEP_1)
	v_clz_i32_u32_e32 v19, v19
	v_min_u32_e32 v19, 32, v19
	s_delay_alu instid0(VALU_DEP_1) | instskip(NEXT) | instid1(VALU_DEP_1)
	v_subrev_nc_u32_e32 v22, 28, v19
	v_lshlrev_b64_e32 v[28:29], v22, v[2:3]
	s_delay_alu instid0(VALU_DEP_1)
	v_dual_sub_nc_u32 v22, 29, v19 :: v_dual_bitop2_b32 v19, 7, v28 bitop3:0x40
; %bb.22:                               ;   in Loop: Header=BB264_9 Depth=1
	s_or_b32 exec_lo, exec_lo, s31
	s_delay_alu instid0(VALU_DEP_1) | instskip(NEXT) | instid1(VALU_DEP_2)
	v_dual_lshlrev_b32 v2, 8, v21 :: v_dual_lshlrev_b32 v19, 23, v19
	v_lshl_add_u32 v21, v22, 10, 0x2000
	s_delay_alu instid0(VALU_DEP_1) | instskip(NEXT) | instid1(VALU_DEP_1)
	v_and_or_b32 v2, 0x8000, v2, v21
	v_lshl_or_b32 v19, v2, 16, v19
.LBB264_23:                             ;   in Loop: Header=BB264_9 Depth=1
	s_or_b32 exec_lo, exec_lo, s30
.LBB264_24:                             ;   in Loop: Header=BB264_9 Depth=1
	s_delay_alu instid0(SALU_CYCLE_1)
	s_or_b32 exec_lo, exec_lo, s29
.LBB264_25:                             ;   in Loop: Header=BB264_9 Depth=1
	s_delay_alu instid0(SALU_CYCLE_1) | instskip(SKIP_3) | instid1(VALU_DEP_2)
	s_or_b32 exec_lo, exec_lo, s28
	v_dual_mov_b32 v21, 0 :: v_dual_lshrrev_b32 v2, 16, v10
	v_mov_b32_e32 v22, 0
	s_mov_b32 s28, exec_lo
	v_and_b32_e32 v23, 0xff, v2
	s_delay_alu instid0(VALU_DEP_1)
	v_cmpx_ne_u16_e32 0, v23
	s_cbranch_execz .LBB264_33
; %bb.26:                               ;   in Loop: Header=BB264_9 Depth=1
	v_mov_b32_e32 v22, 0x8000
	s_mov_b32 s29, exec_lo
	v_cmpx_ne_u16_e32 0x80, v23
	s_cbranch_execz .LBB264_32
; %bb.27:                               ;   in Loop: Header=BB264_9 Depth=1
	v_bfe_u32 v27, v10, 16, 7
	v_mov_b32_e32 v22, 0x7c01
	s_mov_b32 s30, exec_lo
	s_delay_alu instid0(VALU_DEP_2)
	v_cmpx_ne_u32_e32 0x7f, v27
	s_cbranch_execz .LBB264_31
; %bb.28:                               ;   in Loop: Header=BB264_9 Depth=1
	v_dual_lshrrev_b32 v23, 3, v27 :: v_dual_bitop2_b32 v22, 7, v2 bitop3:0x40
	s_mov_b32 s31, exec_lo
	v_cmpx_gt_u32_e32 8, v27
; %bb.29:                               ;   in Loop: Header=BB264_9 Depth=1
	s_delay_alu instid0(VALU_DEP_2) | instskip(NEXT) | instid1(VALU_DEP_1)
	v_clz_i32_u32_e32 v22, v22
	v_min_u32_e32 v27, 32, v22
	s_delay_alu instid0(VALU_DEP_1) | instskip(NEXT) | instid1(VALU_DEP_1)
	v_subrev_nc_u32_e32 v22, 28, v27
	v_lshlrev_b64_e32 v[22:23], v22, v[2:3]
	s_delay_alu instid0(VALU_DEP_1)
	v_dual_sub_nc_u32 v23, 29, v27 :: v_dual_bitop2_b32 v22, 7, v22 bitop3:0x40
; %bb.30:                               ;   in Loop: Header=BB264_9 Depth=1
	s_or_b32 exec_lo, exec_lo, s31
	v_lshlrev_b32_e32 v2, 8, v2
	s_delay_alu instid0(VALU_DEP_2) | instskip(NEXT) | instid1(VALU_DEP_3)
	v_lshl_add_u32 v23, v23, 10, 0x2000
	v_lshlrev_b32_e32 v22, 7, v22
	s_delay_alu instid0(VALU_DEP_3) | instskip(NEXT) | instid1(VALU_DEP_3)
	v_and_b32_e32 v2, 0x8000, v2
	v_and_b32_e32 v23, 0xfc00, v23
	s_delay_alu instid0(VALU_DEP_1)
	v_or3_b32 v22, v2, v23, v22
.LBB264_31:                             ;   in Loop: Header=BB264_9 Depth=1
	s_or_b32 exec_lo, exec_lo, s30
.LBB264_32:                             ;   in Loop: Header=BB264_9 Depth=1
	s_delay_alu instid0(SALU_CYCLE_1)
	s_or_b32 exec_lo, exec_lo, s29
.LBB264_33:                             ;   in Loop: Header=BB264_9 Depth=1
	s_delay_alu instid0(SALU_CYCLE_1) | instskip(NEXT) | instid1(SALU_CYCLE_1)
	s_or_b32 exec_lo, exec_lo, s28
	s_mov_b32 s28, exec_lo
	v_cmpx_lt_u32_e32 0xffffff, v10
	s_cbranch_execz .LBB264_41
; %bb.34:                               ;   in Loop: Header=BB264_9 Depth=1
	v_lshrrev_b32_e32 v2, 24, v10
	v_bfrev_b32_e32 v21, 1
	s_mov_b32 s29, exec_lo
	s_delay_alu instid0(VALU_DEP_2)
	v_cmpx_ne_u32_e32 0x80, v2
	s_cbranch_execz .LBB264_40
; %bb.35:                               ;   in Loop: Header=BB264_9 Depth=1
	v_and_b32_e32 v23, 0x7f, v2
	v_mov_b32_e32 v21, 0x7c010000
	s_mov_b32 s30, exec_lo
	s_delay_alu instid0(VALU_DEP_2)
	v_cmpx_ne_u32_e32 0x7f, v23
	s_cbranch_execz .LBB264_39
; %bb.36:                               ;   in Loop: Header=BB264_9 Depth=1
	v_dual_lshrrev_b32 v21, 3, v23 :: v_dual_bitop2_b32 v10, 7, v2 bitop3:0x40
	s_mov_b32 s31, exec_lo
	v_cmpx_gt_u32_e32 8, v23
; %bb.37:                               ;   in Loop: Header=BB264_9 Depth=1
	s_delay_alu instid0(VALU_DEP_2) | instskip(NEXT) | instid1(VALU_DEP_1)
	v_clz_i32_u32_e32 v10, v10
	v_min_u32_e32 v10, 32, v10
	s_delay_alu instid0(VALU_DEP_1) | instskip(NEXT) | instid1(VALU_DEP_1)
	v_subrev_nc_u32_e32 v21, 28, v10
	v_lshlrev_b64_e32 v[28:29], v21, v[2:3]
	s_delay_alu instid0(VALU_DEP_1)
	v_dual_sub_nc_u32 v21, 29, v10 :: v_dual_bitop2_b32 v10, 7, v28 bitop3:0x40
; %bb.38:                               ;   in Loop: Header=BB264_9 Depth=1
	s_or_b32 exec_lo, exec_lo, s31
	v_lshlrev_b32_e32 v2, 8, v2
	s_delay_alu instid0(VALU_DEP_2) | instskip(NEXT) | instid1(VALU_DEP_3)
	v_lshl_add_u32 v21, v21, 10, 0x2000
	v_lshlrev_b32_e32 v10, 23, v10
	s_delay_alu instid0(VALU_DEP_2) | instskip(NEXT) | instid1(VALU_DEP_1)
	v_and_or_b32 v2, 0x8000, v2, v21
	v_lshl_or_b32 v21, v2, 16, v10
.LBB264_39:                             ;   in Loop: Header=BB264_9 Depth=1
	s_or_b32 exec_lo, exec_lo, s30
.LBB264_40:                             ;   in Loop: Header=BB264_9 Depth=1
	s_delay_alu instid0(SALU_CYCLE_1)
	s_or_b32 exec_lo, exec_lo, s29
.LBB264_41:                             ;   in Loop: Header=BB264_9 Depth=1
	s_delay_alu instid0(SALU_CYCLE_1)
	s_or_b32 exec_lo, exec_lo, s28
	global_load_b32 v10, v[8:9], off offset:8
	v_dual_mov_b32 v23, 0 :: v_dual_mov_b32 v27, 0
	s_mov_b32 s28, exec_lo
	s_wait_loadcnt 0x0
	v_and_b32_e32 v2, 0xff, v10
	s_delay_alu instid0(VALU_DEP_1)
	v_cmpx_ne_u16_e32 0, v2
	s_cbranch_execz .LBB264_49
; %bb.42:                               ;   in Loop: Header=BB264_9 Depth=1
	v_mov_b32_e32 v27, 0x8000
	s_mov_b32 s29, exec_lo
	v_cmpx_ne_u16_e32 0x80, v2
	s_cbranch_execz .LBB264_48
; %bb.43:                               ;   in Loop: Header=BB264_9 Depth=1
	v_and_b32_e32 v28, 0x7f, v10
	v_mov_b32_e32 v27, 0x7c01
	s_mov_b32 s30, exec_lo
	s_delay_alu instid0(VALU_DEP_2)
	v_cmpx_ne_u32_e32 0x7f, v28
	s_cbranch_execz .LBB264_47
; %bb.44:                               ;   in Loop: Header=BB264_9 Depth=1
	v_dual_lshrrev_b32 v27, 3, v28 :: v_dual_bitop2_b32 v2, 7, v10 bitop3:0x40
	s_mov_b32 s31, exec_lo
	v_cmpx_gt_u32_e32 8, v28
; %bb.45:                               ;   in Loop: Header=BB264_9 Depth=1
	s_delay_alu instid0(VALU_DEP_2) | instskip(NEXT) | instid1(VALU_DEP_1)
	v_clz_i32_u32_e32 v2, v2
	v_min_u32_e32 v2, 32, v2
	s_delay_alu instid0(VALU_DEP_1) | instskip(NEXT) | instid1(VALU_DEP_1)
	v_subrev_nc_u32_e32 v27, 28, v2
	v_lshlrev_b64_e32 v[28:29], v27, v[10:11]
	s_delay_alu instid0(VALU_DEP_1)
	v_dual_sub_nc_u32 v27, 29, v2 :: v_dual_bitop2_b32 v2, 7, v28 bitop3:0x40
; %bb.46:                               ;   in Loop: Header=BB264_9 Depth=1
	s_or_b32 exec_lo, exec_lo, s31
	v_lshlrev_b32_e32 v28, 8, v10
	s_delay_alu instid0(VALU_DEP_2) | instskip(NEXT) | instid1(VALU_DEP_3)
	v_lshl_add_u32 v27, v27, 10, 0x2000
	v_lshlrev_b32_e32 v2, 7, v2
	s_delay_alu instid0(VALU_DEP_3) | instskip(NEXT) | instid1(VALU_DEP_3)
	v_and_b32_e32 v28, 0x8000, v28
	v_and_b32_e32 v27, 0xfc00, v27
	s_delay_alu instid0(VALU_DEP_1)
	v_or3_b32 v27, v28, v27, v2
.LBB264_47:                             ;   in Loop: Header=BB264_9 Depth=1
	s_or_b32 exec_lo, exec_lo, s30
.LBB264_48:                             ;   in Loop: Header=BB264_9 Depth=1
	s_delay_alu instid0(SALU_CYCLE_1)
	s_or_b32 exec_lo, exec_lo, s29
.LBB264_49:                             ;   in Loop: Header=BB264_9 Depth=1
	s_delay_alu instid0(SALU_CYCLE_1) | instskip(SKIP_2) | instid1(VALU_DEP_1)
	s_or_b32 exec_lo, exec_lo, s28
	v_lshrrev_b16 v2, 8, v10
	s_mov_b32 s28, exec_lo
	v_cmpx_ne_u16_e32 0, v2
	s_cbranch_execz .LBB264_57
; %bb.50:                               ;   in Loop: Header=BB264_9 Depth=1
	v_bfrev_b32_e32 v23, 1
	s_mov_b32 s29, exec_lo
	v_cmpx_ne_u16_e32 0x80, v2
	s_cbranch_execz .LBB264_56
; %bb.51:                               ;   in Loop: Header=BB264_9 Depth=1
	v_and_b32_e32 v28, 0xffff, v2
	v_mov_b32_e32 v23, 0x7c010000
	s_mov_b32 s30, exec_lo
	s_delay_alu instid0(VALU_DEP_2) | instskip(NEXT) | instid1(VALU_DEP_1)
	v_and_b32_e32 v30, 0x7f, v28
	v_cmpx_ne_u32_e32 0x7f, v30
	s_cbranch_execz .LBB264_55
; %bb.52:                               ;   in Loop: Header=BB264_9 Depth=1
	v_dual_lshrrev_b32 v29, 3, v30 :: v_dual_bitop2_b32 v23, 7, v28 bitop3:0x40
	s_mov_b32 s31, exec_lo
	v_cmpx_gt_u32_e32 8, v30
; %bb.53:                               ;   in Loop: Header=BB264_9 Depth=1
	s_delay_alu instid0(VALU_DEP_2) | instskip(NEXT) | instid1(VALU_DEP_1)
	v_clz_i32_u32_e32 v23, v23
	v_min_u32_e32 v23, 32, v23
	s_delay_alu instid0(VALU_DEP_1) | instskip(NEXT) | instid1(VALU_DEP_1)
	v_subrev_nc_u32_e32 v29, 28, v23
	v_lshlrev_b64_e32 v[30:31], v29, v[2:3]
	s_delay_alu instid0(VALU_DEP_1)
	v_dual_sub_nc_u32 v29, 29, v23 :: v_dual_bitop2_b32 v23, 7, v30 bitop3:0x40
; %bb.54:                               ;   in Loop: Header=BB264_9 Depth=1
	s_or_b32 exec_lo, exec_lo, s31
	s_delay_alu instid0(VALU_DEP_1) | instskip(NEXT) | instid1(VALU_DEP_2)
	v_dual_lshlrev_b32 v2, 8, v28 :: v_dual_lshlrev_b32 v23, 23, v23
	v_lshl_add_u32 v28, v29, 10, 0x2000
	s_delay_alu instid0(VALU_DEP_1) | instskip(NEXT) | instid1(VALU_DEP_1)
	v_and_or_b32 v2, 0x8000, v2, v28
	v_lshl_or_b32 v23, v2, 16, v23
.LBB264_55:                             ;   in Loop: Header=BB264_9 Depth=1
	s_or_b32 exec_lo, exec_lo, s30
.LBB264_56:                             ;   in Loop: Header=BB264_9 Depth=1
	s_delay_alu instid0(SALU_CYCLE_1)
	s_or_b32 exec_lo, exec_lo, s29
.LBB264_57:                             ;   in Loop: Header=BB264_9 Depth=1
	s_delay_alu instid0(SALU_CYCLE_1) | instskip(SKIP_3) | instid1(VALU_DEP_2)
	s_or_b32 exec_lo, exec_lo, s28
	v_dual_lshrrev_b32 v2, 16, v10 :: v_dual_mov_b32 v28, 0
	v_mov_b32_e32 v29, 0
	s_mov_b32 s28, exec_lo
	v_and_b32_e32 v30, 0xff, v2
	s_delay_alu instid0(VALU_DEP_1)
	v_cmpx_ne_u16_e32 0, v30
	s_cbranch_execz .LBB264_65
; %bb.58:                               ;   in Loop: Header=BB264_9 Depth=1
	v_mov_b32_e32 v29, 0x8000
	s_mov_b32 s29, exec_lo
	v_cmpx_ne_u16_e32 0x80, v30
	s_cbranch_execz .LBB264_64
; %bb.59:                               ;   in Loop: Header=BB264_9 Depth=1
	v_bfe_u32 v31, v10, 16, 7
	v_mov_b32_e32 v29, 0x7c01
	s_mov_b32 s30, exec_lo
	s_delay_alu instid0(VALU_DEP_2)
	v_cmpx_ne_u32_e32 0x7f, v31
	s_cbranch_execz .LBB264_63
; %bb.60:                               ;   in Loop: Header=BB264_9 Depth=1
	v_dual_lshrrev_b32 v30, 3, v31 :: v_dual_bitop2_b32 v29, 7, v2 bitop3:0x40
	s_mov_b32 s31, exec_lo
	v_cmpx_gt_u32_e32 8, v31
; %bb.61:                               ;   in Loop: Header=BB264_9 Depth=1
	s_delay_alu instid0(VALU_DEP_2) | instskip(NEXT) | instid1(VALU_DEP_1)
	v_clz_i32_u32_e32 v29, v29
	v_min_u32_e32 v29, 32, v29
	s_delay_alu instid0(VALU_DEP_1) | instskip(NEXT) | instid1(VALU_DEP_1)
	v_subrev_nc_u32_e32 v30, 28, v29
	v_lshlrev_b64_e32 v[32:33], v30, v[2:3]
	s_delay_alu instid0(VALU_DEP_1)
	v_dual_sub_nc_u32 v30, 29, v29 :: v_dual_bitop2_b32 v29, 7, v32 bitop3:0x40
; %bb.62:                               ;   in Loop: Header=BB264_9 Depth=1
	s_or_b32 exec_lo, exec_lo, s31
	s_delay_alu instid0(VALU_DEP_1) | instskip(NEXT) | instid1(VALU_DEP_2)
	v_dual_lshlrev_b32 v2, 8, v2 :: v_dual_lshlrev_b32 v29, 7, v29
	v_lshl_add_u32 v30, v30, 10, 0x2000
	s_delay_alu instid0(VALU_DEP_2) | instskip(NEXT) | instid1(VALU_DEP_2)
	v_and_b32_e32 v2, 0x8000, v2
	v_and_b32_e32 v30, 0xfc00, v30
	s_delay_alu instid0(VALU_DEP_1)
	v_or3_b32 v29, v2, v30, v29
.LBB264_63:                             ;   in Loop: Header=BB264_9 Depth=1
	s_or_b32 exec_lo, exec_lo, s30
.LBB264_64:                             ;   in Loop: Header=BB264_9 Depth=1
	s_delay_alu instid0(SALU_CYCLE_1)
	s_or_b32 exec_lo, exec_lo, s29
.LBB264_65:                             ;   in Loop: Header=BB264_9 Depth=1
	s_delay_alu instid0(SALU_CYCLE_1) | instskip(NEXT) | instid1(SALU_CYCLE_1)
	s_or_b32 exec_lo, exec_lo, s28
	s_mov_b32 s28, exec_lo
	v_cmpx_lt_u32_e32 0xffffff, v10
	s_cbranch_execz .LBB264_73
; %bb.66:                               ;   in Loop: Header=BB264_9 Depth=1
	v_lshrrev_b32_e32 v2, 24, v10
	v_bfrev_b32_e32 v28, 1
	s_mov_b32 s29, exec_lo
	s_delay_alu instid0(VALU_DEP_2)
	v_cmpx_ne_u32_e32 0x80, v2
	s_cbranch_execz .LBB264_72
; %bb.67:                               ;   in Loop: Header=BB264_9 Depth=1
	v_and_b32_e32 v30, 0x7f, v2
	v_mov_b32_e32 v28, 0x7c010000
	s_mov_b32 s30, exec_lo
	s_delay_alu instid0(VALU_DEP_2)
	v_cmpx_ne_u32_e32 0x7f, v30
	s_cbranch_execz .LBB264_71
; %bb.68:                               ;   in Loop: Header=BB264_9 Depth=1
	v_and_b32_e32 v10, 7, v2
	v_lshrrev_b32_e32 v28, 3, v30
	s_mov_b32 s31, exec_lo
	v_cmpx_gt_u32_e32 8, v30
; %bb.69:                               ;   in Loop: Header=BB264_9 Depth=1
	s_delay_alu instid0(VALU_DEP_3) | instskip(NEXT) | instid1(VALU_DEP_1)
	v_clz_i32_u32_e32 v10, v10
	v_min_u32_e32 v10, 32, v10
	s_delay_alu instid0(VALU_DEP_1) | instskip(NEXT) | instid1(VALU_DEP_1)
	v_subrev_nc_u32_e32 v28, 28, v10
	v_lshlrev_b64_e32 v[30:31], v28, v[2:3]
	v_sub_nc_u32_e32 v28, 29, v10
	s_delay_alu instid0(VALU_DEP_2)
	v_and_b32_e32 v10, 7, v30
; %bb.70:                               ;   in Loop: Header=BB264_9 Depth=1
	s_or_b32 exec_lo, exec_lo, s31
	v_lshlrev_b32_e32 v2, 8, v2
	s_delay_alu instid0(VALU_DEP_3) | instskip(NEXT) | instid1(VALU_DEP_3)
	v_lshl_add_u32 v28, v28, 10, 0x2000
	v_lshlrev_b32_e32 v10, 23, v10
	s_delay_alu instid0(VALU_DEP_2) | instskip(NEXT) | instid1(VALU_DEP_1)
	v_and_or_b32 v2, 0x8000, v2, v28
	v_lshl_or_b32 v28, v2, 16, v10
.LBB264_71:                             ;   in Loop: Header=BB264_9 Depth=1
	s_or_b32 exec_lo, exec_lo, s30
.LBB264_72:                             ;   in Loop: Header=BB264_9 Depth=1
	s_delay_alu instid0(SALU_CYCLE_1)
	s_or_b32 exec_lo, exec_lo, s29
.LBB264_73:                             ;   in Loop: Header=BB264_9 Depth=1
	s_delay_alu instid0(SALU_CYCLE_1)
	s_or_b32 exec_lo, exec_lo, s28
	global_load_b32 v10, v[8:9], off offset:256
	v_dual_mov_b32 v30, 0 :: v_dual_mov_b32 v31, 0
	s_mov_b32 s28, exec_lo
	s_wait_loadcnt 0x0
	v_and_b32_e32 v2, 0xff, v10
	s_delay_alu instid0(VALU_DEP_1)
	v_cmpx_ne_u16_e32 0, v2
	s_cbranch_execz .LBB264_81
; %bb.74:                               ;   in Loop: Header=BB264_9 Depth=1
	v_mov_b32_e32 v31, 0x8000
	s_mov_b32 s29, exec_lo
	v_cmpx_ne_u16_e32 0x80, v2
	s_cbranch_execz .LBB264_80
; %bb.75:                               ;   in Loop: Header=BB264_9 Depth=1
	v_and_b32_e32 v32, 0x7f, v10
	v_mov_b32_e32 v31, 0x7c01
	s_mov_b32 s30, exec_lo
	s_delay_alu instid0(VALU_DEP_2)
	v_cmpx_ne_u32_e32 0x7f, v32
	s_cbranch_execz .LBB264_79
; %bb.76:                               ;   in Loop: Header=BB264_9 Depth=1
	v_dual_lshrrev_b32 v31, 3, v32 :: v_dual_bitop2_b32 v2, 7, v10 bitop3:0x40
	s_mov_b32 s31, exec_lo
	v_cmpx_gt_u32_e32 8, v32
; %bb.77:                               ;   in Loop: Header=BB264_9 Depth=1
	s_delay_alu instid0(VALU_DEP_2) | instskip(NEXT) | instid1(VALU_DEP_1)
	v_clz_i32_u32_e32 v2, v2
	v_min_u32_e32 v2, 32, v2
	s_delay_alu instid0(VALU_DEP_1) | instskip(NEXT) | instid1(VALU_DEP_1)
	v_subrev_nc_u32_e32 v31, 28, v2
	v_lshlrev_b64_e32 v[32:33], v31, v[10:11]
	s_delay_alu instid0(VALU_DEP_1)
	v_dual_sub_nc_u32 v31, 29, v2 :: v_dual_bitop2_b32 v2, 7, v32 bitop3:0x40
; %bb.78:                               ;   in Loop: Header=BB264_9 Depth=1
	s_or_b32 exec_lo, exec_lo, s31
	v_lshlrev_b32_e32 v32, 8, v10
	s_delay_alu instid0(VALU_DEP_2) | instskip(NEXT) | instid1(VALU_DEP_3)
	v_lshl_add_u32 v31, v31, 10, 0x2000
	v_lshlrev_b32_e32 v2, 7, v2
	s_delay_alu instid0(VALU_DEP_3) | instskip(NEXT) | instid1(VALU_DEP_3)
	v_and_b32_e32 v32, 0x8000, v32
	v_and_b32_e32 v31, 0xfc00, v31
	s_delay_alu instid0(VALU_DEP_1)
	v_or3_b32 v31, v32, v31, v2
.LBB264_79:                             ;   in Loop: Header=BB264_9 Depth=1
	s_or_b32 exec_lo, exec_lo, s30
.LBB264_80:                             ;   in Loop: Header=BB264_9 Depth=1
	s_delay_alu instid0(SALU_CYCLE_1)
	s_or_b32 exec_lo, exec_lo, s29
.LBB264_81:                             ;   in Loop: Header=BB264_9 Depth=1
	s_delay_alu instid0(SALU_CYCLE_1) | instskip(SKIP_2) | instid1(VALU_DEP_1)
	s_or_b32 exec_lo, exec_lo, s28
	v_lshrrev_b16 v2, 8, v10
	s_mov_b32 s28, exec_lo
	v_cmpx_ne_u16_e32 0, v2
	s_cbranch_execz .LBB264_89
; %bb.82:                               ;   in Loop: Header=BB264_9 Depth=1
	v_bfrev_b32_e32 v30, 1
	s_mov_b32 s29, exec_lo
	v_cmpx_ne_u16_e32 0x80, v2
	s_cbranch_execz .LBB264_88
; %bb.83:                               ;   in Loop: Header=BB264_9 Depth=1
	v_and_b32_e32 v32, 0xffff, v2
	v_mov_b32_e32 v30, 0x7c010000
	s_mov_b32 s30, exec_lo
	s_delay_alu instid0(VALU_DEP_2) | instskip(NEXT) | instid1(VALU_DEP_1)
	v_and_b32_e32 v34, 0x7f, v32
	v_cmpx_ne_u32_e32 0x7f, v34
	s_cbranch_execz .LBB264_87
; %bb.84:                               ;   in Loop: Header=BB264_9 Depth=1
	v_dual_lshrrev_b32 v33, 3, v34 :: v_dual_bitop2_b32 v30, 7, v32 bitop3:0x40
	s_mov_b32 s31, exec_lo
	v_cmpx_gt_u32_e32 8, v34
; %bb.85:                               ;   in Loop: Header=BB264_9 Depth=1
	s_delay_alu instid0(VALU_DEP_2) | instskip(NEXT) | instid1(VALU_DEP_1)
	v_clz_i32_u32_e32 v30, v30
	v_min_u32_e32 v30, 32, v30
	s_delay_alu instid0(VALU_DEP_1) | instskip(NEXT) | instid1(VALU_DEP_1)
	v_subrev_nc_u32_e32 v33, 28, v30
	v_lshlrev_b64_e32 v[34:35], v33, v[2:3]
	v_sub_nc_u32_e32 v33, 29, v30
	s_delay_alu instid0(VALU_DEP_2)
	v_and_b32_e32 v30, 7, v34
; %bb.86:                               ;   in Loop: Header=BB264_9 Depth=1
	s_or_b32 exec_lo, exec_lo, s31
	s_delay_alu instid0(VALU_DEP_1) | instskip(NEXT) | instid1(VALU_DEP_3)
	v_dual_lshlrev_b32 v2, 8, v32 :: v_dual_lshlrev_b32 v30, 23, v30
	v_lshl_add_u32 v32, v33, 10, 0x2000
	s_delay_alu instid0(VALU_DEP_1) | instskip(NEXT) | instid1(VALU_DEP_1)
	v_and_or_b32 v2, 0x8000, v2, v32
	v_lshl_or_b32 v30, v2, 16, v30
.LBB264_87:                             ;   in Loop: Header=BB264_9 Depth=1
	s_or_b32 exec_lo, exec_lo, s30
.LBB264_88:                             ;   in Loop: Header=BB264_9 Depth=1
	s_delay_alu instid0(SALU_CYCLE_1)
	s_or_b32 exec_lo, exec_lo, s29
.LBB264_89:                             ;   in Loop: Header=BB264_9 Depth=1
	s_delay_alu instid0(SALU_CYCLE_1) | instskip(SKIP_3) | instid1(VALU_DEP_2)
	s_or_b32 exec_lo, exec_lo, s28
	v_dual_lshrrev_b32 v2, 16, v10 :: v_dual_mov_b32 v32, 0
	v_mov_b32_e32 v33, 0
	s_mov_b32 s28, exec_lo
	v_and_b32_e32 v34, 0xff, v2
	s_delay_alu instid0(VALU_DEP_1)
	v_cmpx_ne_u16_e32 0, v34
	s_cbranch_execz .LBB264_97
; %bb.90:                               ;   in Loop: Header=BB264_9 Depth=1
	v_mov_b32_e32 v33, 0x8000
	s_mov_b32 s29, exec_lo
	v_cmpx_ne_u16_e32 0x80, v34
	s_cbranch_execz .LBB264_96
; %bb.91:                               ;   in Loop: Header=BB264_9 Depth=1
	v_bfe_u32 v35, v10, 16, 7
	v_mov_b32_e32 v33, 0x7c01
	s_mov_b32 s30, exec_lo
	s_delay_alu instid0(VALU_DEP_2)
	v_cmpx_ne_u32_e32 0x7f, v35
	s_cbranch_execz .LBB264_95
; %bb.92:                               ;   in Loop: Header=BB264_9 Depth=1
	v_dual_lshrrev_b32 v34, 3, v35 :: v_dual_bitop2_b32 v33, 7, v2 bitop3:0x40
	s_mov_b32 s31, exec_lo
	v_cmpx_gt_u32_e32 8, v35
; %bb.93:                               ;   in Loop: Header=BB264_9 Depth=1
	s_delay_alu instid0(VALU_DEP_2) | instskip(NEXT) | instid1(VALU_DEP_1)
	v_clz_i32_u32_e32 v33, v33
	v_min_u32_e32 v33, 32, v33
	s_delay_alu instid0(VALU_DEP_1) | instskip(NEXT) | instid1(VALU_DEP_1)
	v_subrev_nc_u32_e32 v34, 28, v33
	v_lshlrev_b64_e32 v[36:37], v34, v[2:3]
	s_delay_alu instid0(VALU_DEP_1)
	v_dual_sub_nc_u32 v34, 29, v33 :: v_dual_bitop2_b32 v33, 7, v36 bitop3:0x40
; %bb.94:                               ;   in Loop: Header=BB264_9 Depth=1
	s_or_b32 exec_lo, exec_lo, s31
	s_delay_alu instid0(VALU_DEP_1) | instskip(NEXT) | instid1(VALU_DEP_2)
	v_dual_lshlrev_b32 v2, 8, v2 :: v_dual_lshlrev_b32 v33, 7, v33
	v_lshl_add_u32 v34, v34, 10, 0x2000
	s_delay_alu instid0(VALU_DEP_2) | instskip(NEXT) | instid1(VALU_DEP_2)
	v_and_b32_e32 v2, 0x8000, v2
	v_and_b32_e32 v34, 0xfc00, v34
	s_delay_alu instid0(VALU_DEP_1)
	v_or3_b32 v33, v2, v34, v33
.LBB264_95:                             ;   in Loop: Header=BB264_9 Depth=1
	s_or_b32 exec_lo, exec_lo, s30
.LBB264_96:                             ;   in Loop: Header=BB264_9 Depth=1
	s_delay_alu instid0(SALU_CYCLE_1)
	s_or_b32 exec_lo, exec_lo, s29
.LBB264_97:                             ;   in Loop: Header=BB264_9 Depth=1
	s_delay_alu instid0(SALU_CYCLE_1) | instskip(NEXT) | instid1(SALU_CYCLE_1)
	s_or_b32 exec_lo, exec_lo, s28
	s_mov_b32 s28, exec_lo
	v_cmpx_lt_u32_e32 0xffffff, v10
	s_cbranch_execz .LBB264_105
; %bb.98:                               ;   in Loop: Header=BB264_9 Depth=1
	v_lshrrev_b32_e32 v2, 24, v10
	v_bfrev_b32_e32 v32, 1
	s_mov_b32 s29, exec_lo
	s_delay_alu instid0(VALU_DEP_2)
	v_cmpx_ne_u32_e32 0x80, v2
	s_cbranch_execz .LBB264_104
; %bb.99:                               ;   in Loop: Header=BB264_9 Depth=1
	v_and_b32_e32 v34, 0x7f, v2
	v_mov_b32_e32 v32, 0x7c010000
	s_mov_b32 s30, exec_lo
	s_delay_alu instid0(VALU_DEP_2)
	v_cmpx_ne_u32_e32 0x7f, v34
	s_cbranch_execz .LBB264_103
; %bb.100:                              ;   in Loop: Header=BB264_9 Depth=1
	v_and_b32_e32 v10, 7, v2
	v_lshrrev_b32_e32 v32, 3, v34
	s_mov_b32 s31, exec_lo
	v_cmpx_gt_u32_e32 8, v34
; %bb.101:                              ;   in Loop: Header=BB264_9 Depth=1
	s_delay_alu instid0(VALU_DEP_3) | instskip(NEXT) | instid1(VALU_DEP_1)
	v_clz_i32_u32_e32 v10, v10
	v_min_u32_e32 v10, 32, v10
	s_delay_alu instid0(VALU_DEP_1) | instskip(NEXT) | instid1(VALU_DEP_1)
	v_subrev_nc_u32_e32 v32, 28, v10
	v_lshlrev_b64_e32 v[34:35], v32, v[2:3]
	v_sub_nc_u32_e32 v32, 29, v10
	s_delay_alu instid0(VALU_DEP_2)
	v_and_b32_e32 v10, 7, v34
; %bb.102:                              ;   in Loop: Header=BB264_9 Depth=1
	s_or_b32 exec_lo, exec_lo, s31
	v_lshlrev_b32_e32 v2, 8, v2
	s_delay_alu instid0(VALU_DEP_3) | instskip(NEXT) | instid1(VALU_DEP_3)
	v_lshl_add_u32 v32, v32, 10, 0x2000
	v_lshlrev_b32_e32 v10, 23, v10
	s_delay_alu instid0(VALU_DEP_2) | instskip(NEXT) | instid1(VALU_DEP_1)
	v_and_or_b32 v2, 0x8000, v2, v32
	v_lshl_or_b32 v32, v2, 16, v10
.LBB264_103:                            ;   in Loop: Header=BB264_9 Depth=1
	s_or_b32 exec_lo, exec_lo, s30
.LBB264_104:                            ;   in Loop: Header=BB264_9 Depth=1
	s_delay_alu instid0(SALU_CYCLE_1)
	s_or_b32 exec_lo, exec_lo, s29
.LBB264_105:                            ;   in Loop: Header=BB264_9 Depth=1
	s_delay_alu instid0(SALU_CYCLE_1)
	s_or_b32 exec_lo, exec_lo, s28
	global_load_b32 v10, v[8:9], off offset:264
	v_dual_mov_b32 v34, 0 :: v_dual_mov_b32 v35, 0
	s_mov_b32 s28, exec_lo
	s_wait_loadcnt 0x0
	v_and_b32_e32 v2, 0xff, v10
	s_delay_alu instid0(VALU_DEP_1)
	v_cmpx_ne_u16_e32 0, v2
	s_cbranch_execz .LBB264_113
; %bb.106:                              ;   in Loop: Header=BB264_9 Depth=1
	v_mov_b32_e32 v35, 0x8000
	s_mov_b32 s29, exec_lo
	v_cmpx_ne_u16_e32 0x80, v2
	s_cbranch_execz .LBB264_112
; %bb.107:                              ;   in Loop: Header=BB264_9 Depth=1
	v_and_b32_e32 v36, 0x7f, v10
	v_mov_b32_e32 v35, 0x7c01
	s_mov_b32 s30, exec_lo
	s_delay_alu instid0(VALU_DEP_2)
	v_cmpx_ne_u32_e32 0x7f, v36
	s_cbranch_execz .LBB264_111
; %bb.108:                              ;   in Loop: Header=BB264_9 Depth=1
	v_dual_lshrrev_b32 v35, 3, v36 :: v_dual_bitop2_b32 v2, 7, v10 bitop3:0x40
	s_mov_b32 s31, exec_lo
	v_cmpx_gt_u32_e32 8, v36
; %bb.109:                              ;   in Loop: Header=BB264_9 Depth=1
	s_delay_alu instid0(VALU_DEP_2) | instskip(NEXT) | instid1(VALU_DEP_1)
	v_clz_i32_u32_e32 v2, v2
	v_min_u32_e32 v2, 32, v2
	s_delay_alu instid0(VALU_DEP_1) | instskip(NEXT) | instid1(VALU_DEP_1)
	v_subrev_nc_u32_e32 v35, 28, v2
	v_lshlrev_b64_e32 v[36:37], v35, v[10:11]
	s_delay_alu instid0(VALU_DEP_1)
	v_dual_sub_nc_u32 v35, 29, v2 :: v_dual_bitop2_b32 v2, 7, v36 bitop3:0x40
; %bb.110:                              ;   in Loop: Header=BB264_9 Depth=1
	s_or_b32 exec_lo, exec_lo, s31
	v_lshlrev_b32_e32 v36, 8, v10
	s_delay_alu instid0(VALU_DEP_2) | instskip(NEXT) | instid1(VALU_DEP_3)
	v_lshl_add_u32 v35, v35, 10, 0x2000
	v_lshlrev_b32_e32 v2, 7, v2
	s_delay_alu instid0(VALU_DEP_3) | instskip(NEXT) | instid1(VALU_DEP_3)
	v_and_b32_e32 v36, 0x8000, v36
	v_and_b32_e32 v35, 0xfc00, v35
	s_delay_alu instid0(VALU_DEP_1)
	v_or3_b32 v35, v36, v35, v2
.LBB264_111:                            ;   in Loop: Header=BB264_9 Depth=1
	s_or_b32 exec_lo, exec_lo, s30
.LBB264_112:                            ;   in Loop: Header=BB264_9 Depth=1
	s_delay_alu instid0(SALU_CYCLE_1)
	s_or_b32 exec_lo, exec_lo, s29
.LBB264_113:                            ;   in Loop: Header=BB264_9 Depth=1
	s_delay_alu instid0(SALU_CYCLE_1) | instskip(SKIP_2) | instid1(VALU_DEP_1)
	s_or_b32 exec_lo, exec_lo, s28
	v_lshrrev_b16 v2, 8, v10
	s_mov_b32 s28, exec_lo
	v_cmpx_ne_u16_e32 0, v2
	s_cbranch_execz .LBB264_121
; %bb.114:                              ;   in Loop: Header=BB264_9 Depth=1
	v_bfrev_b32_e32 v34, 1
	s_mov_b32 s29, exec_lo
	v_cmpx_ne_u16_e32 0x80, v2
	s_cbranch_execz .LBB264_120
; %bb.115:                              ;   in Loop: Header=BB264_9 Depth=1
	v_and_b32_e32 v36, 0xffff, v2
	v_mov_b32_e32 v34, 0x7c010000
	s_mov_b32 s30, exec_lo
	s_delay_alu instid0(VALU_DEP_2) | instskip(NEXT) | instid1(VALU_DEP_1)
	v_and_b32_e32 v38, 0x7f, v36
	v_cmpx_ne_u32_e32 0x7f, v38
	s_cbranch_execz .LBB264_119
; %bb.116:                              ;   in Loop: Header=BB264_9 Depth=1
	v_dual_lshrrev_b32 v37, 3, v38 :: v_dual_bitop2_b32 v34, 7, v36 bitop3:0x40
	s_mov_b32 s31, exec_lo
	v_cmpx_gt_u32_e32 8, v38
; %bb.117:                              ;   in Loop: Header=BB264_9 Depth=1
	s_delay_alu instid0(VALU_DEP_2) | instskip(NEXT) | instid1(VALU_DEP_1)
	v_clz_i32_u32_e32 v34, v34
	v_min_u32_e32 v34, 32, v34
	s_delay_alu instid0(VALU_DEP_1) | instskip(NEXT) | instid1(VALU_DEP_1)
	v_subrev_nc_u32_e32 v37, 28, v34
	v_lshlrev_b64_e32 v[38:39], v37, v[2:3]
	v_sub_nc_u32_e32 v37, 29, v34
	s_delay_alu instid0(VALU_DEP_2)
	v_and_b32_e32 v34, 7, v38
; %bb.118:                              ;   in Loop: Header=BB264_9 Depth=1
	s_or_b32 exec_lo, exec_lo, s31
	s_delay_alu instid0(VALU_DEP_1) | instskip(NEXT) | instid1(VALU_DEP_3)
	v_dual_lshlrev_b32 v2, 8, v36 :: v_dual_lshlrev_b32 v34, 23, v34
	v_lshl_add_u32 v36, v37, 10, 0x2000
	s_delay_alu instid0(VALU_DEP_1) | instskip(NEXT) | instid1(VALU_DEP_1)
	v_and_or_b32 v2, 0x8000, v2, v36
	v_lshl_or_b32 v34, v2, 16, v34
.LBB264_119:                            ;   in Loop: Header=BB264_9 Depth=1
	s_or_b32 exec_lo, exec_lo, s30
.LBB264_120:                            ;   in Loop: Header=BB264_9 Depth=1
	s_delay_alu instid0(SALU_CYCLE_1)
	s_or_b32 exec_lo, exec_lo, s29
.LBB264_121:                            ;   in Loop: Header=BB264_9 Depth=1
	s_delay_alu instid0(SALU_CYCLE_1) | instskip(SKIP_3) | instid1(VALU_DEP_2)
	s_or_b32 exec_lo, exec_lo, s28
	v_dual_lshrrev_b32 v2, 16, v10 :: v_dual_mov_b32 v36, 0
	v_mov_b32_e32 v37, 0
	s_mov_b32 s28, exec_lo
	v_and_b32_e32 v38, 0xff, v2
	s_delay_alu instid0(VALU_DEP_1)
	v_cmpx_ne_u16_e32 0, v38
	s_cbranch_execz .LBB264_129
; %bb.122:                              ;   in Loop: Header=BB264_9 Depth=1
	v_mov_b32_e32 v37, 0x8000
	s_mov_b32 s29, exec_lo
	v_cmpx_ne_u16_e32 0x80, v38
	s_cbranch_execz .LBB264_128
; %bb.123:                              ;   in Loop: Header=BB264_9 Depth=1
	v_bfe_u32 v39, v10, 16, 7
	v_mov_b32_e32 v37, 0x7c01
	s_mov_b32 s30, exec_lo
	s_delay_alu instid0(VALU_DEP_2)
	v_cmpx_ne_u32_e32 0x7f, v39
	s_cbranch_execz .LBB264_127
; %bb.124:                              ;   in Loop: Header=BB264_9 Depth=1
	v_dual_lshrrev_b32 v38, 3, v39 :: v_dual_bitop2_b32 v37, 7, v2 bitop3:0x40
	s_mov_b32 s31, exec_lo
	v_cmpx_gt_u32_e32 8, v39
; %bb.125:                              ;   in Loop: Header=BB264_9 Depth=1
	s_delay_alu instid0(VALU_DEP_2) | instskip(NEXT) | instid1(VALU_DEP_1)
	v_clz_i32_u32_e32 v37, v37
	v_min_u32_e32 v37, 32, v37
	s_delay_alu instid0(VALU_DEP_1) | instskip(NEXT) | instid1(VALU_DEP_1)
	v_subrev_nc_u32_e32 v38, 28, v37
	v_lshlrev_b64_e32 v[40:41], v38, v[2:3]
	s_delay_alu instid0(VALU_DEP_1)
	v_dual_sub_nc_u32 v38, 29, v37 :: v_dual_bitop2_b32 v37, 7, v40 bitop3:0x40
; %bb.126:                              ;   in Loop: Header=BB264_9 Depth=1
	s_or_b32 exec_lo, exec_lo, s31
	s_delay_alu instid0(VALU_DEP_1) | instskip(NEXT) | instid1(VALU_DEP_2)
	v_dual_lshlrev_b32 v2, 8, v2 :: v_dual_lshlrev_b32 v37, 7, v37
	v_lshl_add_u32 v38, v38, 10, 0x2000
	s_delay_alu instid0(VALU_DEP_2) | instskip(NEXT) | instid1(VALU_DEP_2)
	v_and_b32_e32 v2, 0x8000, v2
	v_and_b32_e32 v38, 0xfc00, v38
	s_delay_alu instid0(VALU_DEP_1)
	v_or3_b32 v37, v2, v38, v37
.LBB264_127:                            ;   in Loop: Header=BB264_9 Depth=1
	s_or_b32 exec_lo, exec_lo, s30
.LBB264_128:                            ;   in Loop: Header=BB264_9 Depth=1
	s_delay_alu instid0(SALU_CYCLE_1)
	s_or_b32 exec_lo, exec_lo, s29
.LBB264_129:                            ;   in Loop: Header=BB264_9 Depth=1
	s_delay_alu instid0(SALU_CYCLE_1) | instskip(NEXT) | instid1(SALU_CYCLE_1)
	s_or_b32 exec_lo, exec_lo, s28
	s_mov_b32 s28, exec_lo
	v_cmpx_lt_u32_e32 0xffffff, v10
	s_cbranch_execz .LBB264_137
; %bb.130:                              ;   in Loop: Header=BB264_9 Depth=1
	v_lshrrev_b32_e32 v2, 24, v10
	v_bfrev_b32_e32 v36, 1
	s_mov_b32 s29, exec_lo
	s_delay_alu instid0(VALU_DEP_2)
	v_cmpx_ne_u32_e32 0x80, v2
	s_cbranch_execz .LBB264_136
; %bb.131:                              ;   in Loop: Header=BB264_9 Depth=1
	v_and_b32_e32 v38, 0x7f, v2
	v_mov_b32_e32 v36, 0x7c010000
	s_mov_b32 s30, exec_lo
	s_delay_alu instid0(VALU_DEP_2)
	v_cmpx_ne_u32_e32 0x7f, v38
	s_cbranch_execz .LBB264_135
; %bb.132:                              ;   in Loop: Header=BB264_9 Depth=1
	v_and_b32_e32 v10, 7, v2
	v_lshrrev_b32_e32 v36, 3, v38
	s_mov_b32 s31, exec_lo
	v_cmpx_gt_u32_e32 8, v38
; %bb.133:                              ;   in Loop: Header=BB264_9 Depth=1
	s_delay_alu instid0(VALU_DEP_3) | instskip(NEXT) | instid1(VALU_DEP_1)
	v_clz_i32_u32_e32 v10, v10
	v_min_u32_e32 v10, 32, v10
	s_delay_alu instid0(VALU_DEP_1) | instskip(NEXT) | instid1(VALU_DEP_1)
	v_subrev_nc_u32_e32 v36, 28, v10
	v_lshlrev_b64_e32 v[38:39], v36, v[2:3]
	v_sub_nc_u32_e32 v36, 29, v10
	s_delay_alu instid0(VALU_DEP_2)
	v_and_b32_e32 v10, 7, v38
; %bb.134:                              ;   in Loop: Header=BB264_9 Depth=1
	s_or_b32 exec_lo, exec_lo, s31
	v_lshlrev_b32_e32 v2, 8, v2
	s_delay_alu instid0(VALU_DEP_3) | instskip(NEXT) | instid1(VALU_DEP_3)
	v_lshl_add_u32 v36, v36, 10, 0x2000
	v_lshlrev_b32_e32 v10, 23, v10
	s_delay_alu instid0(VALU_DEP_2) | instskip(NEXT) | instid1(VALU_DEP_1)
	v_and_or_b32 v2, 0x8000, v2, v36
	v_lshl_or_b32 v36, v2, 16, v10
.LBB264_135:                            ;   in Loop: Header=BB264_9 Depth=1
	s_or_b32 exec_lo, exec_lo, s30
.LBB264_136:                            ;   in Loop: Header=BB264_9 Depth=1
	s_delay_alu instid0(SALU_CYCLE_1)
	s_or_b32 exec_lo, exec_lo, s29
.LBB264_137:                            ;   in Loop: Header=BB264_9 Depth=1
	s_delay_alu instid0(SALU_CYCLE_1)
	s_or_b32 exec_lo, exec_lo, s28
	global_load_b32 v10, v[8:9], off offset:512
	v_dual_mov_b32 v38, 0 :: v_dual_mov_b32 v39, 0
	s_mov_b32 s28, exec_lo
	s_wait_loadcnt 0x0
	v_and_b32_e32 v2, 0xff, v10
	s_delay_alu instid0(VALU_DEP_1)
	v_cmpx_ne_u16_e32 0, v2
	s_cbranch_execz .LBB264_145
; %bb.138:                              ;   in Loop: Header=BB264_9 Depth=1
	v_mov_b32_e32 v39, 0x8000
	s_mov_b32 s29, exec_lo
	v_cmpx_ne_u16_e32 0x80, v2
	s_cbranch_execz .LBB264_144
; %bb.139:                              ;   in Loop: Header=BB264_9 Depth=1
	v_and_b32_e32 v40, 0x7f, v10
	v_mov_b32_e32 v39, 0x7c01
	s_mov_b32 s30, exec_lo
	s_delay_alu instid0(VALU_DEP_2)
	v_cmpx_ne_u32_e32 0x7f, v40
	s_cbranch_execz .LBB264_143
; %bb.140:                              ;   in Loop: Header=BB264_9 Depth=1
	v_dual_lshrrev_b32 v39, 3, v40 :: v_dual_bitop2_b32 v2, 7, v10 bitop3:0x40
	s_mov_b32 s31, exec_lo
	v_cmpx_gt_u32_e32 8, v40
; %bb.141:                              ;   in Loop: Header=BB264_9 Depth=1
	s_delay_alu instid0(VALU_DEP_2) | instskip(NEXT) | instid1(VALU_DEP_1)
	v_clz_i32_u32_e32 v2, v2
	v_min_u32_e32 v2, 32, v2
	s_delay_alu instid0(VALU_DEP_1) | instskip(NEXT) | instid1(VALU_DEP_1)
	v_subrev_nc_u32_e32 v39, 28, v2
	v_lshlrev_b64_e32 v[40:41], v39, v[10:11]
	s_delay_alu instid0(VALU_DEP_1)
	v_dual_sub_nc_u32 v39, 29, v2 :: v_dual_bitop2_b32 v2, 7, v40 bitop3:0x40
; %bb.142:                              ;   in Loop: Header=BB264_9 Depth=1
	s_or_b32 exec_lo, exec_lo, s31
	v_lshlrev_b32_e32 v40, 8, v10
	s_delay_alu instid0(VALU_DEP_2) | instskip(NEXT) | instid1(VALU_DEP_3)
	v_lshl_add_u32 v39, v39, 10, 0x2000
	v_lshlrev_b32_e32 v2, 7, v2
	s_delay_alu instid0(VALU_DEP_3) | instskip(NEXT) | instid1(VALU_DEP_3)
	v_and_b32_e32 v40, 0x8000, v40
	v_and_b32_e32 v39, 0xfc00, v39
	s_delay_alu instid0(VALU_DEP_1)
	v_or3_b32 v39, v40, v39, v2
.LBB264_143:                            ;   in Loop: Header=BB264_9 Depth=1
	s_or_b32 exec_lo, exec_lo, s30
.LBB264_144:                            ;   in Loop: Header=BB264_9 Depth=1
	s_delay_alu instid0(SALU_CYCLE_1)
	s_or_b32 exec_lo, exec_lo, s29
.LBB264_145:                            ;   in Loop: Header=BB264_9 Depth=1
	s_delay_alu instid0(SALU_CYCLE_1) | instskip(SKIP_2) | instid1(VALU_DEP_1)
	s_or_b32 exec_lo, exec_lo, s28
	v_lshrrev_b16 v2, 8, v10
	s_mov_b32 s28, exec_lo
	v_cmpx_ne_u16_e32 0, v2
	s_cbranch_execz .LBB264_153
; %bb.146:                              ;   in Loop: Header=BB264_9 Depth=1
	v_bfrev_b32_e32 v38, 1
	s_mov_b32 s29, exec_lo
	v_cmpx_ne_u16_e32 0x80, v2
	s_cbranch_execz .LBB264_152
; %bb.147:                              ;   in Loop: Header=BB264_9 Depth=1
	v_and_b32_e32 v40, 0xffff, v2
	v_mov_b32_e32 v38, 0x7c010000
	s_mov_b32 s30, exec_lo
	s_delay_alu instid0(VALU_DEP_2) | instskip(NEXT) | instid1(VALU_DEP_1)
	v_and_b32_e32 v42, 0x7f, v40
	v_cmpx_ne_u32_e32 0x7f, v42
	s_cbranch_execz .LBB264_151
; %bb.148:                              ;   in Loop: Header=BB264_9 Depth=1
	v_dual_lshrrev_b32 v41, 3, v42 :: v_dual_bitop2_b32 v38, 7, v40 bitop3:0x40
	s_mov_b32 s31, exec_lo
	v_cmpx_gt_u32_e32 8, v42
; %bb.149:                              ;   in Loop: Header=BB264_9 Depth=1
	s_delay_alu instid0(VALU_DEP_2) | instskip(NEXT) | instid1(VALU_DEP_1)
	v_clz_i32_u32_e32 v38, v38
	v_min_u32_e32 v38, 32, v38
	s_delay_alu instid0(VALU_DEP_1) | instskip(NEXT) | instid1(VALU_DEP_1)
	v_subrev_nc_u32_e32 v41, 28, v38
	v_lshlrev_b64_e32 v[42:43], v41, v[2:3]
	v_sub_nc_u32_e32 v41, 29, v38
	s_delay_alu instid0(VALU_DEP_2)
	v_and_b32_e32 v38, 7, v42
; %bb.150:                              ;   in Loop: Header=BB264_9 Depth=1
	s_or_b32 exec_lo, exec_lo, s31
	s_delay_alu instid0(VALU_DEP_1) | instskip(NEXT) | instid1(VALU_DEP_3)
	v_dual_lshlrev_b32 v2, 8, v40 :: v_dual_lshlrev_b32 v38, 23, v38
	v_lshl_add_u32 v40, v41, 10, 0x2000
	s_delay_alu instid0(VALU_DEP_1) | instskip(NEXT) | instid1(VALU_DEP_1)
	v_and_or_b32 v2, 0x8000, v2, v40
	v_lshl_or_b32 v38, v2, 16, v38
.LBB264_151:                            ;   in Loop: Header=BB264_9 Depth=1
	s_or_b32 exec_lo, exec_lo, s30
.LBB264_152:                            ;   in Loop: Header=BB264_9 Depth=1
	s_delay_alu instid0(SALU_CYCLE_1)
	s_or_b32 exec_lo, exec_lo, s29
.LBB264_153:                            ;   in Loop: Header=BB264_9 Depth=1
	s_delay_alu instid0(SALU_CYCLE_1) | instskip(SKIP_3) | instid1(VALU_DEP_2)
	s_or_b32 exec_lo, exec_lo, s28
	v_dual_lshrrev_b32 v2, 16, v10 :: v_dual_mov_b32 v42, 0
	v_mov_b32_e32 v43, 0
	s_mov_b32 s28, exec_lo
	v_and_b32_e32 v40, 0xff, v2
	s_delay_alu instid0(VALU_DEP_1)
	v_cmpx_ne_u16_e32 0, v40
	s_cbranch_execz .LBB264_161
; %bb.154:                              ;   in Loop: Header=BB264_9 Depth=1
	v_mov_b32_e32 v43, 0x8000
	s_mov_b32 s29, exec_lo
	v_cmpx_ne_u16_e32 0x80, v40
	s_cbranch_execz .LBB264_160
; %bb.155:                              ;   in Loop: Header=BB264_9 Depth=1
	v_bfe_u32 v44, v10, 16, 7
	v_mov_b32_e32 v43, 0x7c01
	s_mov_b32 s30, exec_lo
	s_delay_alu instid0(VALU_DEP_2)
	v_cmpx_ne_u32_e32 0x7f, v44
	s_cbranch_execz .LBB264_159
; %bb.156:                              ;   in Loop: Header=BB264_9 Depth=1
	v_dual_lshrrev_b32 v41, 3, v44 :: v_dual_bitop2_b32 v40, 7, v2 bitop3:0x40
	s_mov_b32 s31, exec_lo
	v_cmpx_gt_u32_e32 8, v44
; %bb.157:                              ;   in Loop: Header=BB264_9 Depth=1
	s_delay_alu instid0(VALU_DEP_2) | instskip(NEXT) | instid1(VALU_DEP_1)
	v_clz_i32_u32_e32 v40, v40
	v_min_u32_e32 v43, 32, v40
	s_delay_alu instid0(VALU_DEP_1) | instskip(NEXT) | instid1(VALU_DEP_1)
	v_subrev_nc_u32_e32 v40, 28, v43
	v_lshlrev_b64_e32 v[40:41], v40, v[2:3]
	s_delay_alu instid0(VALU_DEP_1)
	v_dual_sub_nc_u32 v41, 29, v43 :: v_dual_bitop2_b32 v40, 7, v40 bitop3:0x40
; %bb.158:                              ;   in Loop: Header=BB264_9 Depth=1
	s_or_b32 exec_lo, exec_lo, s31
	s_delay_alu instid0(VALU_DEP_1) | instskip(NEXT) | instid1(VALU_DEP_2)
	v_dual_lshlrev_b32 v2, 8, v2 :: v_dual_lshlrev_b32 v40, 7, v40
	v_lshl_add_u32 v41, v41, 10, 0x2000
	s_delay_alu instid0(VALU_DEP_2) | instskip(NEXT) | instid1(VALU_DEP_2)
	v_and_b32_e32 v2, 0x8000, v2
	v_and_b32_e32 v41, 0xfc00, v41
	s_delay_alu instid0(VALU_DEP_1)
	v_or3_b32 v43, v2, v41, v40
.LBB264_159:                            ;   in Loop: Header=BB264_9 Depth=1
	s_or_b32 exec_lo, exec_lo, s30
.LBB264_160:                            ;   in Loop: Header=BB264_9 Depth=1
	s_delay_alu instid0(SALU_CYCLE_1)
	s_or_b32 exec_lo, exec_lo, s29
.LBB264_161:                            ;   in Loop: Header=BB264_9 Depth=1
	s_delay_alu instid0(SALU_CYCLE_1) | instskip(NEXT) | instid1(SALU_CYCLE_1)
	s_or_b32 exec_lo, exec_lo, s28
	s_mov_b32 s28, exec_lo
	v_cmpx_lt_u32_e32 0xffffff, v10
	s_cbranch_execz .LBB264_169
; %bb.162:                              ;   in Loop: Header=BB264_9 Depth=1
	v_lshrrev_b32_e32 v2, 24, v10
	v_bfrev_b32_e32 v42, 1
	s_mov_b32 s29, exec_lo
	s_delay_alu instid0(VALU_DEP_2)
	v_cmpx_ne_u32_e32 0x80, v2
	s_cbranch_execz .LBB264_168
; %bb.163:                              ;   in Loop: Header=BB264_9 Depth=1
	v_and_b32_e32 v41, 0x7f, v2
	v_mov_b32_e32 v42, 0x7c010000
	s_mov_b32 s30, exec_lo
	s_delay_alu instid0(VALU_DEP_2)
	v_cmpx_ne_u32_e32 0x7f, v41
	s_cbranch_execz .LBB264_167
; %bb.164:                              ;   in Loop: Header=BB264_9 Depth=1
	v_dual_lshrrev_b32 v40, 3, v41 :: v_dual_bitop2_b32 v10, 7, v2 bitop3:0x40
	s_mov_b32 s31, exec_lo
	v_cmpx_gt_u32_e32 8, v41
; %bb.165:                              ;   in Loop: Header=BB264_9 Depth=1
	s_delay_alu instid0(VALU_DEP_2) | instskip(NEXT) | instid1(VALU_DEP_1)
	v_clz_i32_u32_e32 v10, v10
	v_min_u32_e32 v10, 32, v10
	s_delay_alu instid0(VALU_DEP_1) | instskip(NEXT) | instid1(VALU_DEP_1)
	v_subrev_nc_u32_e32 v40, 28, v10
	v_lshlrev_b64_e32 v[44:45], v40, v[2:3]
	s_delay_alu instid0(VALU_DEP_1)
	v_dual_sub_nc_u32 v40, 29, v10 :: v_dual_bitop2_b32 v10, 7, v44 bitop3:0x40
; %bb.166:                              ;   in Loop: Header=BB264_9 Depth=1
	s_or_b32 exec_lo, exec_lo, s31
	v_lshlrev_b32_e32 v2, 8, v2
	s_delay_alu instid0(VALU_DEP_2) | instskip(NEXT) | instid1(VALU_DEP_3)
	v_lshl_add_u32 v40, v40, 10, 0x2000
	v_lshlrev_b32_e32 v10, 23, v10
	s_delay_alu instid0(VALU_DEP_2) | instskip(NEXT) | instid1(VALU_DEP_1)
	v_and_or_b32 v2, 0x8000, v2, v40
	v_lshl_or_b32 v42, v2, 16, v10
.LBB264_167:                            ;   in Loop: Header=BB264_9 Depth=1
	s_or_b32 exec_lo, exec_lo, s30
.LBB264_168:                            ;   in Loop: Header=BB264_9 Depth=1
	s_delay_alu instid0(SALU_CYCLE_1)
	s_or_b32 exec_lo, exec_lo, s29
.LBB264_169:                            ;   in Loop: Header=BB264_9 Depth=1
	s_delay_alu instid0(SALU_CYCLE_1)
	s_or_b32 exec_lo, exec_lo, s28
	global_load_b32 v10, v[8:9], off offset:520
	v_dual_mov_b32 v40, 0 :: v_dual_mov_b32 v41, 0
	s_mov_b32 s28, exec_lo
	s_wait_loadcnt 0x0
	v_and_b32_e32 v2, 0xff, v10
	s_delay_alu instid0(VALU_DEP_1)
	v_cmpx_ne_u16_e32 0, v2
	s_cbranch_execz .LBB264_177
; %bb.170:                              ;   in Loop: Header=BB264_9 Depth=1
	v_mov_b32_e32 v41, 0x8000
	s_mov_b32 s29, exec_lo
	v_cmpx_ne_u16_e32 0x80, v2
	s_cbranch_execz .LBB264_176
; %bb.171:                              ;   in Loop: Header=BB264_9 Depth=1
	v_and_b32_e32 v44, 0x7f, v10
	v_mov_b32_e32 v41, 0x7c01
	s_mov_b32 s30, exec_lo
	s_delay_alu instid0(VALU_DEP_2)
	v_cmpx_ne_u32_e32 0x7f, v44
	s_cbranch_execz .LBB264_175
; %bb.172:                              ;   in Loop: Header=BB264_9 Depth=1
	v_dual_lshrrev_b32 v41, 3, v44 :: v_dual_bitop2_b32 v2, 7, v10 bitop3:0x40
	s_mov_b32 s31, exec_lo
	v_cmpx_gt_u32_e32 8, v44
; %bb.173:                              ;   in Loop: Header=BB264_9 Depth=1
	s_delay_alu instid0(VALU_DEP_2) | instskip(NEXT) | instid1(VALU_DEP_1)
	v_clz_i32_u32_e32 v2, v2
	v_min_u32_e32 v2, 32, v2
	s_delay_alu instid0(VALU_DEP_1) | instskip(NEXT) | instid1(VALU_DEP_1)
	v_subrev_nc_u32_e32 v41, 28, v2
	v_lshlrev_b64_e32 v[44:45], v41, v[10:11]
	s_delay_alu instid0(VALU_DEP_1)
	v_dual_sub_nc_u32 v41, 29, v2 :: v_dual_bitop2_b32 v2, 7, v44 bitop3:0x40
; %bb.174:                              ;   in Loop: Header=BB264_9 Depth=1
	s_or_b32 exec_lo, exec_lo, s31
	v_lshlrev_b32_e32 v44, 8, v10
	s_delay_alu instid0(VALU_DEP_2) | instskip(NEXT) | instid1(VALU_DEP_3)
	v_lshl_add_u32 v41, v41, 10, 0x2000
	v_lshlrev_b32_e32 v2, 7, v2
	s_delay_alu instid0(VALU_DEP_3) | instskip(NEXT) | instid1(VALU_DEP_3)
	v_and_b32_e32 v44, 0x8000, v44
	v_and_b32_e32 v41, 0xfc00, v41
	s_delay_alu instid0(VALU_DEP_1)
	v_or3_b32 v41, v44, v41, v2
.LBB264_175:                            ;   in Loop: Header=BB264_9 Depth=1
	s_or_b32 exec_lo, exec_lo, s30
.LBB264_176:                            ;   in Loop: Header=BB264_9 Depth=1
	s_delay_alu instid0(SALU_CYCLE_1)
	s_or_b32 exec_lo, exec_lo, s29
.LBB264_177:                            ;   in Loop: Header=BB264_9 Depth=1
	s_delay_alu instid0(SALU_CYCLE_1) | instskip(SKIP_2) | instid1(VALU_DEP_1)
	s_or_b32 exec_lo, exec_lo, s28
	v_lshrrev_b16 v2, 8, v10
	s_mov_b32 s28, exec_lo
	v_cmpx_ne_u16_e32 0, v2
	s_cbranch_execz .LBB264_185
; %bb.178:                              ;   in Loop: Header=BB264_9 Depth=1
	v_bfrev_b32_e32 v40, 1
	s_mov_b32 s29, exec_lo
	v_cmpx_ne_u16_e32 0x80, v2
	s_cbranch_execz .LBB264_184
; %bb.179:                              ;   in Loop: Header=BB264_9 Depth=1
	v_and_b32_e32 v44, 0xffff, v2
	v_mov_b32_e32 v40, 0x7c010000
	s_mov_b32 s30, exec_lo
	s_delay_alu instid0(VALU_DEP_2) | instskip(NEXT) | instid1(VALU_DEP_1)
	v_and_b32_e32 v46, 0x7f, v44
	v_cmpx_ne_u32_e32 0x7f, v46
	s_cbranch_execz .LBB264_183
; %bb.180:                              ;   in Loop: Header=BB264_9 Depth=1
	v_dual_lshrrev_b32 v45, 3, v46 :: v_dual_bitop2_b32 v40, 7, v44 bitop3:0x40
	s_mov_b32 s31, exec_lo
	v_cmpx_gt_u32_e32 8, v46
; %bb.181:                              ;   in Loop: Header=BB264_9 Depth=1
	s_delay_alu instid0(VALU_DEP_2) | instskip(NEXT) | instid1(VALU_DEP_1)
	v_clz_i32_u32_e32 v40, v40
	v_min_u32_e32 v40, 32, v40
	s_delay_alu instid0(VALU_DEP_1) | instskip(NEXT) | instid1(VALU_DEP_1)
	v_subrev_nc_u32_e32 v45, 28, v40
	v_lshlrev_b64_e32 v[46:47], v45, v[2:3]
	s_delay_alu instid0(VALU_DEP_1)
	v_dual_sub_nc_u32 v45, 29, v40 :: v_dual_bitop2_b32 v40, 7, v46 bitop3:0x40
; %bb.182:                              ;   in Loop: Header=BB264_9 Depth=1
	s_or_b32 exec_lo, exec_lo, s31
	v_lshlrev_b32_e32 v2, 8, v44
	s_delay_alu instid0(VALU_DEP_2) | instskip(NEXT) | instid1(VALU_DEP_3)
	v_lshl_add_u32 v44, v45, 10, 0x2000
	v_lshlrev_b32_e32 v40, 23, v40
	s_delay_alu instid0(VALU_DEP_2) | instskip(NEXT) | instid1(VALU_DEP_1)
	v_and_or_b32 v2, 0x8000, v2, v44
	v_lshl_or_b32 v40, v2, 16, v40
.LBB264_183:                            ;   in Loop: Header=BB264_9 Depth=1
	s_or_b32 exec_lo, exec_lo, s30
.LBB264_184:                            ;   in Loop: Header=BB264_9 Depth=1
	s_delay_alu instid0(SALU_CYCLE_1)
	s_or_b32 exec_lo, exec_lo, s29
.LBB264_185:                            ;   in Loop: Header=BB264_9 Depth=1
	s_delay_alu instid0(SALU_CYCLE_1) | instskip(SKIP_3) | instid1(VALU_DEP_2)
	s_or_b32 exec_lo, exec_lo, s28
	v_dual_lshrrev_b32 v2, 16, v10 :: v_dual_mov_b32 v44, 0
	v_mov_b32_e32 v45, 0
	s_mov_b32 s28, exec_lo
	v_and_b32_e32 v46, 0xff, v2
	s_delay_alu instid0(VALU_DEP_1)
	v_cmpx_ne_u16_e32 0, v46
	s_cbranch_execz .LBB264_193
; %bb.186:                              ;   in Loop: Header=BB264_9 Depth=1
	v_mov_b32_e32 v45, 0x8000
	s_mov_b32 s29, exec_lo
	v_cmpx_ne_u16_e32 0x80, v46
	s_cbranch_execz .LBB264_192
; %bb.187:                              ;   in Loop: Header=BB264_9 Depth=1
	v_bfe_u32 v47, v10, 16, 7
	v_mov_b32_e32 v45, 0x7c01
	s_mov_b32 s30, exec_lo
	s_delay_alu instid0(VALU_DEP_2)
	v_cmpx_ne_u32_e32 0x7f, v47
	s_cbranch_execz .LBB264_191
; %bb.188:                              ;   in Loop: Header=BB264_9 Depth=1
	v_dual_lshrrev_b32 v46, 3, v47 :: v_dual_bitop2_b32 v45, 7, v2 bitop3:0x40
	s_mov_b32 s31, exec_lo
	v_cmpx_gt_u32_e32 8, v47
; %bb.189:                              ;   in Loop: Header=BB264_9 Depth=1
	s_delay_alu instid0(VALU_DEP_2) | instskip(NEXT) | instid1(VALU_DEP_1)
	v_clz_i32_u32_e32 v45, v45
	v_min_u32_e32 v45, 32, v45
	s_delay_alu instid0(VALU_DEP_1) | instskip(NEXT) | instid1(VALU_DEP_1)
	v_subrev_nc_u32_e32 v46, 28, v45
	v_lshlrev_b64_e32 v[48:49], v46, v[2:3]
	s_delay_alu instid0(VALU_DEP_1)
	v_dual_sub_nc_u32 v46, 29, v45 :: v_dual_bitop2_b32 v45, 7, v48 bitop3:0x40
; %bb.190:                              ;   in Loop: Header=BB264_9 Depth=1
	s_or_b32 exec_lo, exec_lo, s31
	s_delay_alu instid0(VALU_DEP_1) | instskip(NEXT) | instid1(VALU_DEP_2)
	v_dual_lshlrev_b32 v2, 8, v2 :: v_dual_lshlrev_b32 v45, 7, v45
	v_lshl_add_u32 v46, v46, 10, 0x2000
	s_delay_alu instid0(VALU_DEP_2) | instskip(NEXT) | instid1(VALU_DEP_2)
	v_and_b32_e32 v2, 0x8000, v2
	v_and_b32_e32 v46, 0xfc00, v46
	s_delay_alu instid0(VALU_DEP_1)
	v_or3_b32 v45, v2, v46, v45
.LBB264_191:                            ;   in Loop: Header=BB264_9 Depth=1
	s_or_b32 exec_lo, exec_lo, s30
.LBB264_192:                            ;   in Loop: Header=BB264_9 Depth=1
	s_delay_alu instid0(SALU_CYCLE_1)
	s_or_b32 exec_lo, exec_lo, s29
.LBB264_193:                            ;   in Loop: Header=BB264_9 Depth=1
	s_delay_alu instid0(SALU_CYCLE_1) | instskip(NEXT) | instid1(SALU_CYCLE_1)
	s_or_b32 exec_lo, exec_lo, s28
	s_mov_b32 s28, exec_lo
	v_cmpx_lt_u32_e32 0xffffff, v10
	s_cbranch_execz .LBB264_201
; %bb.194:                              ;   in Loop: Header=BB264_9 Depth=1
	v_lshrrev_b32_e32 v2, 24, v10
	v_bfrev_b32_e32 v44, 1
	s_mov_b32 s29, exec_lo
	s_delay_alu instid0(VALU_DEP_2)
	v_cmpx_ne_u32_e32 0x80, v2
	s_cbranch_execz .LBB264_200
; %bb.195:                              ;   in Loop: Header=BB264_9 Depth=1
	v_and_b32_e32 v46, 0x7f, v2
	v_mov_b32_e32 v44, 0x7c010000
	s_mov_b32 s30, exec_lo
	s_delay_alu instid0(VALU_DEP_2)
	v_cmpx_ne_u32_e32 0x7f, v46
	s_cbranch_execz .LBB264_199
; %bb.196:                              ;   in Loop: Header=BB264_9 Depth=1
	v_and_b32_e32 v10, 7, v2
	v_lshrrev_b32_e32 v44, 3, v46
	s_mov_b32 s31, exec_lo
	v_cmpx_gt_u32_e32 8, v46
; %bb.197:                              ;   in Loop: Header=BB264_9 Depth=1
	s_delay_alu instid0(VALU_DEP_3) | instskip(NEXT) | instid1(VALU_DEP_1)
	v_clz_i32_u32_e32 v10, v10
	v_min_u32_e32 v10, 32, v10
	s_delay_alu instid0(VALU_DEP_1) | instskip(NEXT) | instid1(VALU_DEP_1)
	v_subrev_nc_u32_e32 v44, 28, v10
	v_lshlrev_b64_e32 v[46:47], v44, v[2:3]
	v_sub_nc_u32_e32 v44, 29, v10
	s_delay_alu instid0(VALU_DEP_2)
	v_and_b32_e32 v10, 7, v46
; %bb.198:                              ;   in Loop: Header=BB264_9 Depth=1
	s_or_b32 exec_lo, exec_lo, s31
	v_lshlrev_b32_e32 v2, 8, v2
	s_delay_alu instid0(VALU_DEP_3) | instskip(NEXT) | instid1(VALU_DEP_3)
	v_lshl_add_u32 v44, v44, 10, 0x2000
	v_lshlrev_b32_e32 v10, 23, v10
	s_delay_alu instid0(VALU_DEP_2) | instskip(NEXT) | instid1(VALU_DEP_1)
	v_and_or_b32 v2, 0x8000, v2, v44
	v_lshl_or_b32 v44, v2, 16, v10
.LBB264_199:                            ;   in Loop: Header=BB264_9 Depth=1
	s_or_b32 exec_lo, exec_lo, s30
.LBB264_200:                            ;   in Loop: Header=BB264_9 Depth=1
	s_delay_alu instid0(SALU_CYCLE_1)
	s_or_b32 exec_lo, exec_lo, s29
.LBB264_201:                            ;   in Loop: Header=BB264_9 Depth=1
	s_delay_alu instid0(SALU_CYCLE_1)
	s_or_b32 exec_lo, exec_lo, s28
	global_load_b32 v10, v[8:9], off offset:768
	v_dual_mov_b32 v46, 0 :: v_dual_mov_b32 v47, 0
	s_mov_b32 s28, exec_lo
	s_wait_loadcnt 0x0
	v_and_b32_e32 v2, 0xff, v10
	s_delay_alu instid0(VALU_DEP_1)
	v_cmpx_ne_u16_e32 0, v2
	s_cbranch_execz .LBB264_209
; %bb.202:                              ;   in Loop: Header=BB264_9 Depth=1
	v_mov_b32_e32 v47, 0x8000
	s_mov_b32 s29, exec_lo
	v_cmpx_ne_u16_e32 0x80, v2
	s_cbranch_execz .LBB264_208
; %bb.203:                              ;   in Loop: Header=BB264_9 Depth=1
	v_and_b32_e32 v48, 0x7f, v10
	v_mov_b32_e32 v47, 0x7c01
	s_mov_b32 s30, exec_lo
	s_delay_alu instid0(VALU_DEP_2)
	v_cmpx_ne_u32_e32 0x7f, v48
	s_cbranch_execz .LBB264_207
; %bb.204:                              ;   in Loop: Header=BB264_9 Depth=1
	v_dual_lshrrev_b32 v47, 3, v48 :: v_dual_bitop2_b32 v2, 7, v10 bitop3:0x40
	s_mov_b32 s31, exec_lo
	v_cmpx_gt_u32_e32 8, v48
; %bb.205:                              ;   in Loop: Header=BB264_9 Depth=1
	s_delay_alu instid0(VALU_DEP_2) | instskip(NEXT) | instid1(VALU_DEP_1)
	v_clz_i32_u32_e32 v2, v2
	v_min_u32_e32 v2, 32, v2
	s_delay_alu instid0(VALU_DEP_1) | instskip(NEXT) | instid1(VALU_DEP_1)
	v_subrev_nc_u32_e32 v47, 28, v2
	v_lshlrev_b64_e32 v[48:49], v47, v[10:11]
	s_delay_alu instid0(VALU_DEP_1)
	v_dual_sub_nc_u32 v47, 29, v2 :: v_dual_bitop2_b32 v2, 7, v48 bitop3:0x40
; %bb.206:                              ;   in Loop: Header=BB264_9 Depth=1
	s_or_b32 exec_lo, exec_lo, s31
	v_lshlrev_b32_e32 v48, 8, v10
	s_delay_alu instid0(VALU_DEP_2) | instskip(NEXT) | instid1(VALU_DEP_3)
	v_lshl_add_u32 v47, v47, 10, 0x2000
	v_lshlrev_b32_e32 v2, 7, v2
	s_delay_alu instid0(VALU_DEP_3) | instskip(NEXT) | instid1(VALU_DEP_3)
	v_and_b32_e32 v48, 0x8000, v48
	v_and_b32_e32 v47, 0xfc00, v47
	s_delay_alu instid0(VALU_DEP_1)
	v_or3_b32 v47, v48, v47, v2
.LBB264_207:                            ;   in Loop: Header=BB264_9 Depth=1
	s_or_b32 exec_lo, exec_lo, s30
.LBB264_208:                            ;   in Loop: Header=BB264_9 Depth=1
	s_delay_alu instid0(SALU_CYCLE_1)
	s_or_b32 exec_lo, exec_lo, s29
.LBB264_209:                            ;   in Loop: Header=BB264_9 Depth=1
	s_delay_alu instid0(SALU_CYCLE_1) | instskip(SKIP_2) | instid1(VALU_DEP_1)
	s_or_b32 exec_lo, exec_lo, s28
	v_lshrrev_b16 v2, 8, v10
	s_mov_b32 s28, exec_lo
	v_cmpx_ne_u16_e32 0, v2
	s_cbranch_execz .LBB264_217
; %bb.210:                              ;   in Loop: Header=BB264_9 Depth=1
	v_bfrev_b32_e32 v46, 1
	s_mov_b32 s29, exec_lo
	v_cmpx_ne_u16_e32 0x80, v2
	s_cbranch_execz .LBB264_216
; %bb.211:                              ;   in Loop: Header=BB264_9 Depth=1
	v_and_b32_e32 v48, 0xffff, v2
	v_mov_b32_e32 v46, 0x7c010000
	s_mov_b32 s30, exec_lo
	s_delay_alu instid0(VALU_DEP_2) | instskip(NEXT) | instid1(VALU_DEP_1)
	v_and_b32_e32 v50, 0x7f, v48
	v_cmpx_ne_u32_e32 0x7f, v50
	s_cbranch_execz .LBB264_215
; %bb.212:                              ;   in Loop: Header=BB264_9 Depth=1
	v_dual_lshrrev_b32 v49, 3, v50 :: v_dual_bitop2_b32 v46, 7, v48 bitop3:0x40
	s_mov_b32 s31, exec_lo
	v_cmpx_gt_u32_e32 8, v50
; %bb.213:                              ;   in Loop: Header=BB264_9 Depth=1
	s_delay_alu instid0(VALU_DEP_2) | instskip(NEXT) | instid1(VALU_DEP_1)
	v_clz_i32_u32_e32 v46, v46
	v_min_u32_e32 v46, 32, v46
	s_delay_alu instid0(VALU_DEP_1) | instskip(NEXT) | instid1(VALU_DEP_1)
	v_subrev_nc_u32_e32 v49, 28, v46
	v_lshlrev_b64_e32 v[50:51], v49, v[2:3]
	v_sub_nc_u32_e32 v49, 29, v46
	s_delay_alu instid0(VALU_DEP_2)
	v_and_b32_e32 v46, 7, v50
; %bb.214:                              ;   in Loop: Header=BB264_9 Depth=1
	s_or_b32 exec_lo, exec_lo, s31
	s_delay_alu instid0(VALU_DEP_1) | instskip(NEXT) | instid1(VALU_DEP_3)
	v_dual_lshlrev_b32 v2, 8, v48 :: v_dual_lshlrev_b32 v46, 23, v46
	v_lshl_add_u32 v48, v49, 10, 0x2000
	s_delay_alu instid0(VALU_DEP_1) | instskip(NEXT) | instid1(VALU_DEP_1)
	v_and_or_b32 v2, 0x8000, v2, v48
	v_lshl_or_b32 v46, v2, 16, v46
.LBB264_215:                            ;   in Loop: Header=BB264_9 Depth=1
	s_or_b32 exec_lo, exec_lo, s30
.LBB264_216:                            ;   in Loop: Header=BB264_9 Depth=1
	s_delay_alu instid0(SALU_CYCLE_1)
	s_or_b32 exec_lo, exec_lo, s29
.LBB264_217:                            ;   in Loop: Header=BB264_9 Depth=1
	s_delay_alu instid0(SALU_CYCLE_1) | instskip(SKIP_3) | instid1(VALU_DEP_2)
	s_or_b32 exec_lo, exec_lo, s28
	v_dual_lshrrev_b32 v2, 16, v10 :: v_dual_mov_b32 v48, 0
	v_mov_b32_e32 v49, 0
	s_mov_b32 s28, exec_lo
	v_and_b32_e32 v50, 0xff, v2
	s_delay_alu instid0(VALU_DEP_1)
	v_cmpx_ne_u16_e32 0, v50
	s_cbranch_execz .LBB264_225
; %bb.218:                              ;   in Loop: Header=BB264_9 Depth=1
	v_mov_b32_e32 v49, 0x8000
	s_mov_b32 s29, exec_lo
	v_cmpx_ne_u16_e32 0x80, v50
	s_cbranch_execz .LBB264_224
; %bb.219:                              ;   in Loop: Header=BB264_9 Depth=1
	v_bfe_u32 v51, v10, 16, 7
	v_mov_b32_e32 v49, 0x7c01
	s_mov_b32 s30, exec_lo
	s_delay_alu instid0(VALU_DEP_2)
	v_cmpx_ne_u32_e32 0x7f, v51
	s_cbranch_execz .LBB264_223
; %bb.220:                              ;   in Loop: Header=BB264_9 Depth=1
	v_dual_lshrrev_b32 v50, 3, v51 :: v_dual_bitop2_b32 v49, 7, v2 bitop3:0x40
	s_mov_b32 s31, exec_lo
	v_cmpx_gt_u32_e32 8, v51
; %bb.221:                              ;   in Loop: Header=BB264_9 Depth=1
	s_delay_alu instid0(VALU_DEP_2) | instskip(NEXT) | instid1(VALU_DEP_1)
	v_clz_i32_u32_e32 v49, v49
	v_min_u32_e32 v49, 32, v49
	s_delay_alu instid0(VALU_DEP_1) | instskip(NEXT) | instid1(VALU_DEP_1)
	v_subrev_nc_u32_e32 v50, 28, v49
	v_lshlrev_b64_e32 v[52:53], v50, v[2:3]
	s_delay_alu instid0(VALU_DEP_1)
	v_dual_sub_nc_u32 v50, 29, v49 :: v_dual_bitop2_b32 v49, 7, v52 bitop3:0x40
; %bb.222:                              ;   in Loop: Header=BB264_9 Depth=1
	s_or_b32 exec_lo, exec_lo, s31
	s_delay_alu instid0(VALU_DEP_1) | instskip(NEXT) | instid1(VALU_DEP_2)
	v_dual_lshlrev_b32 v2, 8, v2 :: v_dual_lshlrev_b32 v49, 7, v49
	v_lshl_add_u32 v50, v50, 10, 0x2000
	s_delay_alu instid0(VALU_DEP_2) | instskip(NEXT) | instid1(VALU_DEP_2)
	v_and_b32_e32 v2, 0x8000, v2
	v_and_b32_e32 v50, 0xfc00, v50
	s_delay_alu instid0(VALU_DEP_1)
	v_or3_b32 v49, v2, v50, v49
.LBB264_223:                            ;   in Loop: Header=BB264_9 Depth=1
	s_or_b32 exec_lo, exec_lo, s30
.LBB264_224:                            ;   in Loop: Header=BB264_9 Depth=1
	s_delay_alu instid0(SALU_CYCLE_1)
	s_or_b32 exec_lo, exec_lo, s29
.LBB264_225:                            ;   in Loop: Header=BB264_9 Depth=1
	s_delay_alu instid0(SALU_CYCLE_1) | instskip(NEXT) | instid1(SALU_CYCLE_1)
	s_or_b32 exec_lo, exec_lo, s28
	s_mov_b32 s28, exec_lo
	v_cmpx_lt_u32_e32 0xffffff, v10
	s_cbranch_execz .LBB264_233
; %bb.226:                              ;   in Loop: Header=BB264_9 Depth=1
	v_lshrrev_b32_e32 v2, 24, v10
	v_bfrev_b32_e32 v48, 1
	s_mov_b32 s29, exec_lo
	s_delay_alu instid0(VALU_DEP_2)
	v_cmpx_ne_u32_e32 0x80, v2
	s_cbranch_execz .LBB264_232
; %bb.227:                              ;   in Loop: Header=BB264_9 Depth=1
	v_and_b32_e32 v50, 0x7f, v2
	v_mov_b32_e32 v48, 0x7c010000
	s_mov_b32 s30, exec_lo
	s_delay_alu instid0(VALU_DEP_2)
	v_cmpx_ne_u32_e32 0x7f, v50
	s_cbranch_execz .LBB264_231
; %bb.228:                              ;   in Loop: Header=BB264_9 Depth=1
	v_and_b32_e32 v10, 7, v2
	v_lshrrev_b32_e32 v48, 3, v50
	s_mov_b32 s31, exec_lo
	v_cmpx_gt_u32_e32 8, v50
; %bb.229:                              ;   in Loop: Header=BB264_9 Depth=1
	s_delay_alu instid0(VALU_DEP_3) | instskip(NEXT) | instid1(VALU_DEP_1)
	v_clz_i32_u32_e32 v10, v10
	v_min_u32_e32 v10, 32, v10
	s_delay_alu instid0(VALU_DEP_1) | instskip(NEXT) | instid1(VALU_DEP_1)
	v_subrev_nc_u32_e32 v48, 28, v10
	v_lshlrev_b64_e32 v[50:51], v48, v[2:3]
	v_sub_nc_u32_e32 v48, 29, v10
	s_delay_alu instid0(VALU_DEP_2)
	v_and_b32_e32 v10, 7, v50
; %bb.230:                              ;   in Loop: Header=BB264_9 Depth=1
	s_or_b32 exec_lo, exec_lo, s31
	v_lshlrev_b32_e32 v2, 8, v2
	s_delay_alu instid0(VALU_DEP_3) | instskip(NEXT) | instid1(VALU_DEP_3)
	v_lshl_add_u32 v48, v48, 10, 0x2000
	v_lshlrev_b32_e32 v10, 23, v10
	s_delay_alu instid0(VALU_DEP_2) | instskip(NEXT) | instid1(VALU_DEP_1)
	v_and_or_b32 v2, 0x8000, v2, v48
	v_lshl_or_b32 v48, v2, 16, v10
.LBB264_231:                            ;   in Loop: Header=BB264_9 Depth=1
	s_or_b32 exec_lo, exec_lo, s30
.LBB264_232:                            ;   in Loop: Header=BB264_9 Depth=1
	s_delay_alu instid0(SALU_CYCLE_1)
	s_or_b32 exec_lo, exec_lo, s29
.LBB264_233:                            ;   in Loop: Header=BB264_9 Depth=1
	s_delay_alu instid0(SALU_CYCLE_1)
	s_or_b32 exec_lo, exec_lo, s28
	global_load_b32 v8, v[8:9], off offset:776
	v_dual_mov_b32 v10, 0 :: v_dual_mov_b32 v50, 0
	s_mov_b32 s28, exec_lo
	s_wait_loadcnt 0x0
	v_and_b32_e32 v2, 0xff, v8
	s_delay_alu instid0(VALU_DEP_1)
	v_cmpx_ne_u16_e32 0, v2
	s_cbranch_execz .LBB264_241
; %bb.234:                              ;   in Loop: Header=BB264_9 Depth=1
	v_mov_b32_e32 v50, 0x8000
	s_mov_b32 s29, exec_lo
	v_cmpx_ne_u16_e32 0x80, v2
	s_cbranch_execz .LBB264_240
; %bb.235:                              ;   in Loop: Header=BB264_9 Depth=1
	v_and_b32_e32 v51, 0x7f, v8
	v_mov_b32_e32 v50, 0x7c01
	s_mov_b32 s30, exec_lo
	s_delay_alu instid0(VALU_DEP_2)
	v_cmpx_ne_u32_e32 0x7f, v51
	s_cbranch_execz .LBB264_239
; %bb.236:                              ;   in Loop: Header=BB264_9 Depth=1
	v_dual_lshrrev_b32 v9, 3, v51 :: v_dual_bitop2_b32 v2, 7, v8 bitop3:0x40
	s_mov_b32 s31, exec_lo
	v_cmpx_gt_u32_e32 8, v51
; %bb.237:                              ;   in Loop: Header=BB264_9 Depth=1
	s_delay_alu instid0(VALU_DEP_2) | instskip(NEXT) | instid1(VALU_DEP_1)
	v_clz_i32_u32_e32 v2, v2
	v_min_u32_e32 v2, 32, v2
	s_delay_alu instid0(VALU_DEP_1) | instskip(NEXT) | instid1(VALU_DEP_1)
	v_subrev_nc_u32_e32 v9, 28, v2
	v_lshlrev_b64_e32 v[50:51], v9, v[8:9]
	v_sub_nc_u32_e32 v9, 29, v2
	s_delay_alu instid0(VALU_DEP_2)
	v_and_b32_e32 v2, 7, v50
; %bb.238:                              ;   in Loop: Header=BB264_9 Depth=1
	s_or_b32 exec_lo, exec_lo, s31
	s_delay_alu instid0(VALU_DEP_1) | instskip(NEXT) | instid1(VALU_DEP_3)
	v_dual_lshlrev_b32 v50, 8, v8 :: v_dual_lshlrev_b32 v2, 7, v2
	v_lshl_add_u32 v9, v9, 10, 0x2000
	s_delay_alu instid0(VALU_DEP_2) | instskip(NEXT) | instid1(VALU_DEP_2)
	v_and_b32_e32 v50, 0x8000, v50
	v_and_b32_e32 v9, 0xfc00, v9
	s_delay_alu instid0(VALU_DEP_1)
	v_or3_b32 v50, v50, v9, v2
.LBB264_239:                            ;   in Loop: Header=BB264_9 Depth=1
	s_or_b32 exec_lo, exec_lo, s30
.LBB264_240:                            ;   in Loop: Header=BB264_9 Depth=1
	s_delay_alu instid0(SALU_CYCLE_1)
	s_or_b32 exec_lo, exec_lo, s29
.LBB264_241:                            ;   in Loop: Header=BB264_9 Depth=1
	s_delay_alu instid0(SALU_CYCLE_1) | instskip(SKIP_2) | instid1(VALU_DEP_1)
	s_or_b32 exec_lo, exec_lo, s28
	v_lshrrev_b16 v2, 8, v8
	s_mov_b32 s28, exec_lo
	v_cmpx_ne_u16_e32 0, v2
	s_cbranch_execz .LBB264_249
; %bb.242:                              ;   in Loop: Header=BB264_9 Depth=1
	v_bfrev_b32_e32 v10, 1
	s_mov_b32 s29, exec_lo
	v_cmpx_ne_u16_e32 0x80, v2
	s_cbranch_execz .LBB264_248
; %bb.243:                              ;   in Loop: Header=BB264_9 Depth=1
	v_and_b32_e32 v9, 0xffff, v2
	v_mov_b32_e32 v10, 0x7c010000
	s_mov_b32 s30, exec_lo
	s_delay_alu instid0(VALU_DEP_2) | instskip(NEXT) | instid1(VALU_DEP_1)
	v_and_b32_e32 v52, 0x7f, v9
	v_cmpx_ne_u32_e32 0x7f, v52
	s_cbranch_execz .LBB264_247
; %bb.244:                              ;   in Loop: Header=BB264_9 Depth=1
	v_dual_lshrrev_b32 v51, 3, v52 :: v_dual_bitop2_b32 v10, 7, v9 bitop3:0x40
	s_mov_b32 s31, exec_lo
	v_cmpx_gt_u32_e32 8, v52
; %bb.245:                              ;   in Loop: Header=BB264_9 Depth=1
	s_delay_alu instid0(VALU_DEP_2) | instskip(NEXT) | instid1(VALU_DEP_1)
	v_clz_i32_u32_e32 v10, v10
	v_min_u32_e32 v10, 32, v10
	s_delay_alu instid0(VALU_DEP_1) | instskip(NEXT) | instid1(VALU_DEP_1)
	v_subrev_nc_u32_e32 v51, 28, v10
	v_lshlrev_b64_e32 v[52:53], v51, v[2:3]
	s_delay_alu instid0(VALU_DEP_1)
	v_dual_sub_nc_u32 v51, 29, v10 :: v_dual_bitop2_b32 v10, 7, v52 bitop3:0x40
; %bb.246:                              ;   in Loop: Header=BB264_9 Depth=1
	s_or_b32 exec_lo, exec_lo, s31
	v_lshlrev_b32_e32 v2, 8, v9
	s_delay_alu instid0(VALU_DEP_2) | instskip(NEXT) | instid1(VALU_DEP_1)
	v_lshl_add_u32 v9, v51, 10, 0x2000
	v_and_or_b32 v2, 0x8000, v2, v9
	v_lshlrev_b32_e32 v9, 23, v10
	s_delay_alu instid0(VALU_DEP_1)
	v_lshl_or_b32 v10, v2, 16, v9
.LBB264_247:                            ;   in Loop: Header=BB264_9 Depth=1
	s_or_b32 exec_lo, exec_lo, s30
.LBB264_248:                            ;   in Loop: Header=BB264_9 Depth=1
	s_delay_alu instid0(SALU_CYCLE_1)
	s_or_b32 exec_lo, exec_lo, s29
.LBB264_249:                            ;   in Loop: Header=BB264_9 Depth=1
	s_delay_alu instid0(SALU_CYCLE_1) | instskip(SKIP_3) | instid1(VALU_DEP_2)
	s_or_b32 exec_lo, exec_lo, s28
	v_dual_mov_b32 v51, 0 :: v_dual_lshrrev_b32 v2, 16, v8
	v_mov_b32_e32 v52, 0
	s_mov_b32 s28, exec_lo
	v_and_b32_e32 v9, 0xff, v2
	s_delay_alu instid0(VALU_DEP_1)
	v_cmpx_ne_u16_e32 0, v9
	s_cbranch_execz .LBB264_257
; %bb.250:                              ;   in Loop: Header=BB264_9 Depth=1
	v_mov_b32_e32 v52, 0x8000
	s_mov_b32 s29, exec_lo
	v_cmpx_ne_u16_e32 0x80, v9
	s_cbranch_execz .LBB264_256
; %bb.251:                              ;   in Loop: Header=BB264_9 Depth=1
	v_bfe_u32 v53, v8, 16, 7
	v_mov_b32_e32 v52, 0x7c01
	s_mov_b32 s30, exec_lo
	s_delay_alu instid0(VALU_DEP_2)
	v_cmpx_ne_u32_e32 0x7f, v53
	s_cbranch_execz .LBB264_255
; %bb.252:                              ;   in Loop: Header=BB264_9 Depth=1
	v_dual_lshrrev_b32 v52, 3, v53 :: v_dual_bitop2_b32 v9, 7, v2 bitop3:0x40
	s_mov_b32 s31, exec_lo
	v_cmpx_gt_u32_e32 8, v53
; %bb.253:                              ;   in Loop: Header=BB264_9 Depth=1
	s_delay_alu instid0(VALU_DEP_2) | instskip(NEXT) | instid1(VALU_DEP_1)
	v_clz_i32_u32_e32 v9, v9
	v_min_u32_e32 v9, 32, v9
	s_delay_alu instid0(VALU_DEP_1) | instskip(NEXT) | instid1(VALU_DEP_1)
	v_subrev_nc_u32_e32 v52, 28, v9
	v_lshlrev_b64_e32 v[54:55], v52, v[2:3]
	s_delay_alu instid0(VALU_DEP_1)
	v_dual_sub_nc_u32 v52, 29, v9 :: v_dual_bitop2_b32 v9, 7, v54 bitop3:0x40
; %bb.254:                              ;   in Loop: Header=BB264_9 Depth=1
	s_or_b32 exec_lo, exec_lo, s31
	s_delay_alu instid0(VALU_DEP_1) | instskip(NEXT) | instid1(VALU_DEP_2)
	v_dual_lshlrev_b32 v2, 8, v2 :: v_dual_lshlrev_b32 v9, 7, v9
	v_lshl_add_u32 v52, v52, 10, 0x2000
	s_delay_alu instid0(VALU_DEP_2) | instskip(NEXT) | instid1(VALU_DEP_2)
	v_and_b32_e32 v2, 0x8000, v2
	v_and_b32_e32 v52, 0xfc00, v52
	s_delay_alu instid0(VALU_DEP_1)
	v_or3_b32 v52, v2, v52, v9
.LBB264_255:                            ;   in Loop: Header=BB264_9 Depth=1
	s_or_b32 exec_lo, exec_lo, s30
.LBB264_256:                            ;   in Loop: Header=BB264_9 Depth=1
	s_delay_alu instid0(SALU_CYCLE_1)
	s_or_b32 exec_lo, exec_lo, s29
.LBB264_257:                            ;   in Loop: Header=BB264_9 Depth=1
	s_delay_alu instid0(SALU_CYCLE_1) | instskip(NEXT) | instid1(SALU_CYCLE_1)
	s_or_b32 exec_lo, exec_lo, s28
	s_mov_b32 s28, exec_lo
	v_cmpx_lt_u32_e32 0xffffff, v8
	s_cbranch_execz .LBB264_265
; %bb.258:                              ;   in Loop: Header=BB264_9 Depth=1
	v_lshrrev_b32_e32 v2, 24, v8
	v_bfrev_b32_e32 v51, 1
	s_mov_b32 s29, exec_lo
	s_delay_alu instid0(VALU_DEP_2)
	v_cmpx_ne_u32_e32 0x80, v2
	s_cbranch_execz .LBB264_264
; %bb.259:                              ;   in Loop: Header=BB264_9 Depth=1
	v_and_b32_e32 v53, 0x7f, v2
	v_mov_b32_e32 v51, 0x7c010000
	s_mov_b32 s30, exec_lo
	s_delay_alu instid0(VALU_DEP_2)
	v_cmpx_ne_u32_e32 0x7f, v53
	s_cbranch_execz .LBB264_263
; %bb.260:                              ;   in Loop: Header=BB264_9 Depth=1
	v_dual_lshrrev_b32 v9, 3, v53 :: v_dual_bitop2_b32 v8, 7, v2 bitop3:0x40
	s_mov_b32 s31, exec_lo
	v_cmpx_gt_u32_e32 8, v53
; %bb.261:                              ;   in Loop: Header=BB264_9 Depth=1
	s_delay_alu instid0(VALU_DEP_2) | instskip(NEXT) | instid1(VALU_DEP_1)
	v_clz_i32_u32_e32 v8, v8
	v_min_u32_e32 v51, 32, v8
	s_delay_alu instid0(VALU_DEP_1) | instskip(NEXT) | instid1(VALU_DEP_1)
	v_subrev_nc_u32_e32 v8, 28, v51
	v_lshlrev_b64_e32 v[8:9], v8, v[2:3]
	s_delay_alu instid0(VALU_DEP_1)
	v_dual_sub_nc_u32 v9, 29, v51 :: v_dual_bitop2_b32 v8, 7, v8 bitop3:0x40
; %bb.262:                              ;   in Loop: Header=BB264_9 Depth=1
	s_or_b32 exec_lo, exec_lo, s31
	s_delay_alu instid0(VALU_DEP_1) | instskip(NEXT) | instid1(VALU_DEP_2)
	v_dual_lshlrev_b32 v2, 8, v2 :: v_dual_lshlrev_b32 v8, 23, v8
	v_lshl_add_u32 v9, v9, 10, 0x2000
	s_delay_alu instid0(VALU_DEP_1) | instskip(NEXT) | instid1(VALU_DEP_1)
	v_and_or_b32 v2, 0x8000, v2, v9
	v_lshl_or_b32 v51, v2, 16, v8
.LBB264_263:                            ;   in Loop: Header=BB264_9 Depth=1
	s_or_b32 exec_lo, exec_lo, s30
.LBB264_264:                            ;   in Loop: Header=BB264_9 Depth=1
	s_delay_alu instid0(SALU_CYCLE_1)
	s_or_b32 exec_lo, exec_lo, s29
.LBB264_265:                            ;   in Loop: Header=BB264_9 Depth=1
	s_delay_alu instid0(SALU_CYCLE_1)
	s_or_b32 exec_lo, exec_lo, s28
	ds_load_b64 v[8:9], v14
	v_or_b32_e32 v2, v19, v20
	v_or_b32_e32 v20, v21, v22
	v_fma_mixlo_f16 v21, v18, v21, 0 op_sel:[0,1,0] op_sel_hi:[0,1,0]
	v_fma_mixlo_f16 v19, v18, v19, 0 op_sel:[0,1,0] op_sel_hi:[0,1,0]
	v_or_b32_e32 v29, v28, v29
	v_fma_mixlo_f16 v28, v18, v28, 0 op_sel:[0,1,0] op_sel_hi:[0,1,0]
	v_or_b32_e32 v33, v32, v33
	v_and_b32_e32 v55, 0xffff, v21
	v_and_b32_e32 v22, 0xffff, v19
	v_fma_mixlo_f16 v29, v18, v29, 0 op_sel_hi:[0,1,0]
	v_and_b32_e32 v59, 0xffff, v28
	v_fma_mixlo_f16 v32, v18, v32, 0 op_sel:[0,1,0] op_sel_hi:[0,1,0]
	v_fma_mixlo_f16 v33, v18, v33, 0 op_sel_hi:[0,1,0]
	v_or_b32_e32 v37, v36, v37
	v_and_b32_e32 v58, 0xffff, v29
	v_fma_mixlo_f16 v36, v18, v36, 0 op_sel:[0,1,0] op_sel_hi:[0,1,0]
	v_and_b32_e32 v61, 0xffff, v32
	v_and_b32_e32 v64, 0xffff, v33
	v_fma_mixlo_f16 v37, v18, v37, 0 op_sel_hi:[0,1,0]
	s_wait_dscnt 0x0
	v_lshrrev_b32_e32 v53, 16, v9
	v_fma_mixlo_f16 v2, v18, v2, 0 op_sel_hi:[0,1,0]
	v_and_b32_e32 v9, 0xffff, v9
	v_and_b32_e32 v67, 0xffff, v36
	;; [unrolled: 1-line block ×3, first 2 shown]
	v_or_b32_e32 v31, v30, v31
	v_and_b32_e32 v21, 0xffff, v2
	v_and_b32_e32 v2, 0xffff, v8
	v_lshrrev_b32_e32 v8, 16, v8
	v_fma_mixlo_f16 v20, v18, v20, 0 op_sel_hi:[0,1,0]
	;;#ASMSTART
	v_cvt_f32_f16 v2, v2;
	;;#ASMEND
	;;#ASMSTART
	v_cvt_f32_f16 v19, v8;
	;;#ASMEND
	v_fma_mixlo_f16 v30, v18, v30, 0 op_sel:[0,1,0] op_sel_hi:[0,1,0]
	v_fma_mixlo_f16 v31, v18, v31, 0 op_sel_hi:[0,1,0]
	v_and_b32_e32 v54, 0xffff, v20
	;;#ASMSTART
	v_cvt_f32_f16 v20, v21;
	;;#ASMEND
	;;#ASMSTART
	v_cvt_f32_f16 v21, v22;
	;;#ASMEND
	;; [unrolled: 3-line block ×6, first 2 shown]
	ds_load_b64 v[8:9], v14 offset:8
	v_or_b32_e32 v27, v23, v27
	v_fma_mixlo_f16 v23, v18, v23, 0 op_sel:[0,1,0] op_sel_hi:[0,1,0]
	v_and_b32_e32 v60, 0xffff, v30
	v_and_b32_e32 v31, 0xffff, v31
	v_or_b32_e32 v35, v34, v35
	v_fma_mixlo_f16 v34, v18, v34, 0 op_sel:[0,1,0] op_sel_hi:[0,1,0]
	v_and_b32_e32 v56, 0xffff, v23
	v_or_b32_e32 v39, v38, v39
	v_fma_mixlo_f16 v38, v18, v38, 0 op_sel:[0,1,0] op_sel_hi:[0,1,0]
	v_fma_mixlo_f16 v35, v18, v35, 0 op_sel_hi:[0,1,0]
	s_delay_alu instid0(VALU_DEP_3) | instskip(NEXT) | instid1(VALU_DEP_3)
	v_fma_mixlo_f16 v39, v18, v39, 0 op_sel_hi:[0,1,0]
	v_and_b32_e32 v38, 0xffff, v38
	s_delay_alu instid0(VALU_DEP_3) | instskip(NEXT) | instid1(VALU_DEP_3)
	v_and_b32_e32 v36, 0xffff, v35
	v_and_b32_e32 v39, 0xffff, v39
	s_wait_dscnt 0x0
	v_and_b32_e32 v23, 0xffff, v8
	v_lshrrev_b32_e32 v8, 16, v8
	v_fma_mixlo_f16 v27, v18, v27, 0 op_sel_hi:[0,1,0]
	v_lshrrev_b32_e32 v57, 16, v9
	v_and_b32_e32 v9, 0xffff, v9
	;;#ASMSTART
	v_cvt_f32_f16 v23, v23;
	;;#ASMEND
	s_delay_alu instid0(VALU_DEP_3)
	v_and_b32_e32 v28, 0xffff, v27
	;;#ASMSTART
	v_cvt_f32_f16 v27, v8;
	;;#ASMEND
	;;#ASMSTART
	v_cvt_f32_f16 v28, v28;
	;;#ASMEND
	;; [unrolled: 3-line block ×7, first 2 shown]
	ds_load_b64 v[8:9], v14 offset:16
	v_dual_mul_f32 v23, v23, v28 :: v_dual_mul_f32 v28, v56, v58
	v_dual_mul_f32 v27, v27, v29 :: v_dual_mul_f32 v29, v57, v59
	s_delay_alu instid0(VALU_DEP_2) | instskip(NEXT) | instid1(VALU_DEP_2)
	v_fmac_f32_e32 v23, v2, v20
	v_dual_fmac_f32 v28, v22, v54 :: v_dual_fmac_f32 v27, v19, v21
	s_delay_alu instid0(VALU_DEP_3)
	v_fmac_f32_e32 v29, v53, v55
	s_wait_dscnt 0x0
	v_and_b32_e32 v30, 0xffff, v8
	v_dual_lshrrev_b32 v8, 16, v8 :: v_dual_lshrrev_b32 v33, 16, v9
	v_and_b32_e32 v9, 0xffff, v9
	;;#ASMSTART
	v_cvt_f32_f16 v62, v30;
	;;#ASMEND
	;;#ASMSTART
	v_cvt_f32_f16 v30, v8;
	;;#ASMEND
	;;#ASMSTART
	v_cvt_f32_f16 v63, v31;
	;;#ASMEND
	;;#ASMSTART
	v_cvt_f32_f16 v31, v60;
	;;#ASMEND
	;;#ASMSTART
	v_cvt_f32_f16 v32, v9;
	;;#ASMEND
	;;#ASMSTART
	v_cvt_f32_f16 v33, v33;
	;;#ASMEND
	;;#ASMSTART
	v_cvt_f32_f16 v60, v64;
	;;#ASMEND
	;;#ASMSTART
	v_cvt_f32_f16 v61, v61;
	;;#ASMEND
	ds_load_b64 v[8:9], v14 offset:24
	v_and_b32_e32 v64, 0xffff, v34
	v_dual_fmac_f32 v28, v32, v60 :: v_dual_fmac_f32 v29, v33, v61
	v_fmac_f32_e32 v27, v30, v31
	v_fmac_f32_e32 v23, v62, v63
	s_wait_dscnt 0x0
	v_and_b32_e32 v34, 0xffff, v8
	v_dual_lshrrev_b32 v8, 16, v8 :: v_dual_lshrrev_b32 v68, 16, v9
	v_and_b32_e32 v9, 0xffff, v9
	;;#ASMSTART
	v_cvt_f32_f16 v35, v34;
	;;#ASMEND
	;;#ASMSTART
	v_cvt_f32_f16 v34, v8;
	;;#ASMEND
	;; [unrolled: 3-line block ×8, first 2 shown]
	ds_load_b64 v[8:9], v14 offset:32
	v_or_b32_e32 v43, v42, v43
	v_fma_mixlo_f16 v42, v18, v42, 0 op_sel:[0,1,0] op_sel_hi:[0,1,0]
	v_dual_fmac_f32 v27, v34, v36 :: v_dual_fmac_f32 v29, v64, v67
	v_dual_fmac_f32 v23, v35, v65 :: v_dual_fmac_f32 v28, v37, v66
	s_delay_alu instid0(VALU_DEP_3)
	v_and_b32_e32 v42, 0xffff, v42
	s_wait_dscnt 0x0
	v_lshrrev_b32_e32 v69, 16, v9
	v_fma_mixlo_f16 v43, v18, v43, 0 op_sel_hi:[0,1,0]
	v_and_b32_e32 v68, 0xffff, v8
	v_lshrrev_b32_e32 v8, 16, v8
	v_and_b32_e32 v9, 0xffff, v9
	;;#ASMSTART
	v_cvt_f32_f16 v68, v68;
	;;#ASMEND
	v_and_b32_e32 v43, 0xffff, v43
	;;#ASMSTART
	v_cvt_f32_f16 v70, v8;
	;;#ASMEND
	;;#ASMSTART
	v_cvt_f32_f16 v71, v39;
	;;#ASMEND
	;;#ASMSTART
	v_cvt_f32_f16 v72, v38;
	;;#ASMEND
	;;#ASMSTART
	v_cvt_f32_f16 v73, v9;
	;;#ASMEND
	;;#ASMSTART
	v_cvt_f32_f16 v69, v69;
	;;#ASMEND
	;;#ASMSTART
	v_cvt_f32_f16 v74, v43;
	;;#ASMEND
	;;#ASMSTART
	v_cvt_f32_f16 v75, v42;
	;;#ASMEND
	ds_load_b64 v[8:9], v14 offset:40
	v_or_b32_e32 v38, v40, v41
	v_or_b32_e32 v39, v44, v45
	v_fma_mixlo_f16 v40, v18, v40, 0 op_sel:[0,1,0] op_sel_hi:[0,1,0]
	v_fma_mixlo_f16 v41, v18, v44, 0 op_sel:[0,1,0] op_sel_hi:[0,1,0]
	v_or_b32_e32 v42, v46, v47
	v_fma_mixlo_f16 v43, v18, v46, 0 op_sel:[0,1,0] op_sel_hi:[0,1,0]
	v_fma_mixlo_f16 v39, v18, v39, 0 op_sel_hi:[0,1,0]
	v_or_b32_e32 v44, v48, v49
	v_fma_mixlo_f16 v45, v18, v48, 0 op_sel:[0,1,0] op_sel_hi:[0,1,0]
	v_and_b32_e32 v40, 0xffff, v40
	v_and_b32_e32 v41, 0xffff, v41
	;; [unrolled: 1-line block ×4, first 2 shown]
	v_dual_fmac_f32 v27, v70, v72 :: v_dual_fmac_f32 v29, v69, v75
	v_dual_fmac_f32 v23, v68, v71 :: v_dual_fmac_f32 v28, v73, v74
	s_wait_dscnt 0x0
	v_and_b32_e32 v46, 0xffff, v8
	v_lshrrev_b32_e32 v8, 16, v8
	v_fma_mixlo_f16 v38, v18, v38, 0 op_sel_hi:[0,1,0]
	v_lshrrev_b32_e32 v47, 16, v9
	v_and_b32_e32 v9, 0xffff, v9
	;;#ASMSTART
	v_cvt_f32_f16 v46, v46;
	;;#ASMEND
	;;#ASMSTART
	v_cvt_f32_f16 v48, v8;
	;;#ASMEND
	v_and_b32_e32 v38, 0xffff, v38
	;;#ASMSTART
	v_cvt_f32_f16 v49, v38;
	;;#ASMEND
	;;#ASMSTART
	v_cvt_f32_f16 v76, v40;
	;;#ASMEND
	;; [unrolled: 3-line block ×6, first 2 shown]
	ds_load_b64 v[8:9], v14 offset:48
	v_or_b32_e32 v38, v10, v50
	v_or_b32_e32 v39, v51, v52
	v_fma_mixlo_f16 v41, v18, v42, 0 op_sel_hi:[0,1,0]
	v_fma_mixlo_f16 v42, v18, v44, 0 op_sel_hi:[0,1,0]
	v_and_b32_e32 v44, 0xffff, v45
	v_dual_fmac_f32 v27, v48, v76 :: v_dual_fmac_f32 v29, v47, v79
	s_delay_alu instid0(VALU_DEP_4) | instskip(NEXT) | instid1(VALU_DEP_4)
	v_and_b32_e32 v41, 0xffff, v41
	v_and_b32_e32 v42, 0xffff, v42
	v_dual_fmac_f32 v23, v46, v49 :: v_dual_fmac_f32 v28, v77, v78
	v_fma_mixlo_f16 v10, v18, v10, 0 op_sel:[0,1,0] op_sel_hi:[0,1,0]
	v_fma_mixlo_f16 v38, v18, v38, 0 op_sel_hi:[0,1,0]
	v_fma_mixlo_f16 v40, v18, v51, 0 op_sel:[0,1,0] op_sel_hi:[0,1,0]
	s_delay_alu instid0(VALU_DEP_3)
	v_and_b32_e32 v10, 0xffff, v10
	s_wait_dscnt 0x0
	v_lshrrev_b32_e32 v19, 16, v9
	v_and_b32_e32 v2, 0xffff, v8
	v_lshrrev_b32_e32 v8, 16, v8
	v_and_b32_e32 v9, 0xffff, v9
	;;#ASMSTART
	v_cvt_f32_f16 v20, v2;
	;;#ASMEND
	;;#ASMSTART
	v_cvt_f32_f16 v21, v8;
	;;#ASMEND
	;; [unrolled: 3-line block ×8, first 2 shown]
	ds_load_b64 v[8:9], v14 offset:56
	v_fma_mixlo_f16 v2, v18, v39, 0 op_sel_hi:[0,1,0]
	v_dual_fmac_f32 v27, v21, v41 :: v_dual_fmac_f32 v28, v43, v42
	v_dual_fmac_f32 v23, v20, v22 :: v_dual_fmac_f32 v29, v19, v44
	v_and_b32_e32 v18, 0xffff, v38
	s_delay_alu instid0(VALU_DEP_4)
	v_and_b32_e32 v2, 0xffff, v2
	s_wait_dscnt 0x0
	v_and_b32_e32 v20, 0xffff, v8
	v_lshrrev_b32_e32 v8, 16, v8
	;;#ASMSTART
	v_cvt_f32_f16 v19, v20;
	;;#ASMEND
	;;#ASMSTART
	v_cvt_f32_f16 v8, v8;
	;;#ASMEND
	;;#ASMSTART
	v_cvt_f32_f16 v18, v18;
	;;#ASMEND
	;;#ASMSTART
	v_cvt_f32_f16 v10, v10;
	;;#ASMEND
	v_and_b32_e32 v20, 0xffff, v9
	v_dual_lshrrev_b32 v9, 16, v9 :: v_dual_fmac_f32 v27, v8, v10
	;;#ASMSTART
	v_cvt_f32_f16 v8, v20;
	;;#ASMEND
	v_and_b32_e32 v10, 0xffff, v40
	v_fmac_f32_e32 v23, v19, v18
	;;#ASMSTART
	v_cvt_f32_f16 v9, v9;
	;;#ASMEND
	;;#ASMSTART
	v_cvt_f32_f16 v2, v2;
	;;#ASMEND
	;; [unrolled: 3-line block ×3, first 2 shown]
	v_fmac_f32_e32 v29, v9, v10
	v_dual_fmac_f32 v28, v8, v2 :: v_dual_bitop2_b32 v8, 1, v11 bitop3:0x14
	v_add_f32_e32 v2, v23, v27
	s_delay_alu instid0(VALU_DEP_2) | instskip(NEXT) | instid1(VALU_DEP_2)
	v_cmp_gt_i32_e64 s4, 32, v8
	v_add_f32_e32 v2, v2, v28
	s_delay_alu instid0(VALU_DEP_1) | instskip(NEXT) | instid1(VALU_DEP_1)
	v_dual_cndmask_b32 v8, v11, v8, s4 :: v_dual_add_f32 v2, v29, v2
	v_lshlrev_b32_e32 v8, 2, v8
	ds_bpermute_b32 v8, v8, v2
	s_and_saveexec_b32 s28, vcc_lo
	s_cbranch_execz .LBB264_8
; %bb.266:                              ;   in Loop: Header=BB264_9 Depth=1
	s_wait_dscnt 0x0
	v_dual_add_f32 v2, v2, v8 :: v_dual_add_nc_u32 v9, s27, v15
	v_cmp_gt_i32_e64 s4, s23, v15
	s_delay_alu instid0(VALU_DEP_2) | instskip(NEXT) | instid1(VALU_DEP_1)
	v_cvt_f32_i32_e32 v9, v9
	v_mul_f32_e32 v9, s25, v9
	s_delay_alu instid0(VALU_DEP_1) | instskip(NEXT) | instid1(VALU_DEP_1)
	v_cndmask_b32_e64 v8, 0, v9, s3
	v_dual_fmac_f32 v8, s7, v2 :: v_dual_max_num_f32 v9, v13, v13
	s_delay_alu instid0(VALU_DEP_1) | instskip(NEXT) | instid1(VALU_DEP_1)
	v_dual_max_num_f32 v2, v9, v8 :: v_dual_cndmask_b32 v8, 0, v8, s4
	v_cndmask_b32_e64 v13, v13, v2, s4
	ds_store_b32 v16, v8
	s_branch .LBB264_8
.LBB264_267:
	s_or_b32 exec_lo, exec_lo, s6
.LBB264_268:
	s_delay_alu instid0(SALU_CYCLE_1)
	s_or_b32 exec_lo, exec_lo, s26
	v_dual_max_num_f32 v6, v13, v13 :: v_dual_bitop2_b32 v2, 16, v11 bitop3:0x14
	s_load_b64 s[6:7], s[0:1], 0x0
	s_wait_kmcnt 0x0
	s_load_b64 s[8:9], s[0:1], 0x18
	v_xor_b32_e32 v5, 8, v11
	v_xor_b32_e32 v7, 4, v11
	v_cmp_lt_i32_e32 vcc_lo, v2, v12
	v_dual_cndmask_b32 v2, v11, v2, vcc_lo :: v_dual_bitop2_b32 v27, 31, v0 bitop3:0x40
	s_delay_alu instid0(VALU_DEP_4) | instskip(NEXT) | instid1(VALU_DEP_2)
	v_cmp_lt_i32_e32 vcc_lo, v5, v12
	v_dual_cndmask_b32 v5, v11, v5 :: v_dual_lshlrev_b32 v4, 2, v2
	v_cmp_lt_i32_e32 vcc_lo, v7, v12
	ds_bpermute_b32 v2, v4, v13
	s_wait_dscnt 0x0
	v_dual_max_num_f32 v2, v2, v2 :: v_dual_lshlrev_b32 v5, 2, v5
	s_delay_alu instid0(VALU_DEP_1) | instskip(SKIP_3) | instid1(VALU_DEP_1)
	v_max_num_f32_e32 v2, v6, v2
	ds_bpermute_b32 v6, v5, v2
	s_wait_dscnt 0x0
	v_dual_cndmask_b32 v7, v11, v7 :: v_dual_max_num_f32 v8, v6, v6
	v_dual_lshlrev_b32 v6, 2, v7 :: v_dual_max_num_f32 v2, v2, v8
	v_xor_b32_e32 v8, 2, v11
	ds_bpermute_b32 v7, v6, v2
	v_cmp_lt_i32_e32 vcc_lo, v8, v12
	s_wait_dscnt 0x0
	v_max_num_f32_e32 v7, v7, v7
	v_cndmask_b32_e32 v9, v11, v8, vcc_lo
	v_cmp_eq_u32_e32 vcc_lo, 0, v27
	s_delay_alu instid0(VALU_DEP_2)
	v_dual_max_num_f32 v8, v2, v7 :: v_dual_lshlrev_b32 v2, 2, v9
	v_lshlrev_b32_e32 v7, 2, v26
	ds_bpermute_b32 v9, v2, v8
	s_wait_xcnt 0x0
	s_and_saveexec_b32 s0, vcc_lo
	s_cbranch_execz .LBB264_270
; %bb.269:
	s_wait_dscnt 0x0
	v_dual_max_num_f32 v9, v9, v9 :: v_dual_max_num_f32 v8, v8, v8
	s_delay_alu instid0(VALU_DEP_1)
	v_max_num_f32_e32 v8, v8, v9
	ds_store_b32 v7, v8 offset:128
.LBB264_270:
	s_or_b32 exec_lo, exec_lo, s0
	v_cmp_gt_u32_e64 s0, 4, v27
	s_wait_dscnt 0x0
	v_dual_mov_b32 v9, 0xff7fffff :: v_dual_lshlrev_b32 v8, 2, v27
	s_barrier_signal -1
	s_barrier_wait -1
	s_and_saveexec_b32 s1, s0
; %bb.271:
	ds_load_b32 v9, v8 offset:128
; %bb.272:
	s_or_b32 exec_lo, exec_lo, s1
	s_wait_dscnt 0x0
	ds_bpermute_b32 v10, v2, v9
	v_dual_max_num_f32 v9, v9, v9 :: v_dual_bitop2_b32 v13, 1, v11 bitop3:0x14
	v_lshlrev_b32_e32 v3, 2, v3
	s_delay_alu instid0(VALU_DEP_2) | instskip(NEXT) | instid1(VALU_DEP_1)
	v_cmp_lt_i32_e64 s1, v13, v12
	v_cndmask_b32_e64 v12, v11, v13, s1
	s_lshl_b32 s1, s24, 4
	s_delay_alu instid0(SALU_CYCLE_1) | instskip(NEXT) | instid1(SALU_CYCLE_1)
	s_min_i32 s4, s1, s23
	v_cmp_gt_i32_e64 s1, s4, v0
	s_wait_dscnt 0x0
	v_dual_max_num_f32 v10, v10, v10 :: v_dual_lshlrev_b32 v28, 2, v12
	s_delay_alu instid0(VALU_DEP_1) | instskip(SKIP_3) | instid1(VALU_DEP_1)
	v_max_num_f32_e32 v9, v9, v10
	ds_bpermute_b32 v10, v28, v9
	s_wait_dscnt 0x0
	v_max_num_f32_e32 v10, v10, v10
	v_max_num_f32_e32 v9, v9, v10
	ds_bpermute_b32 v9, v3, v9
	v_mov_b32_e32 v3, 0
	s_and_saveexec_b32 s19, s1
	s_cbranch_execz .LBB264_276
; %bb.273:
	v_lshl_add_u32 v10, v0, 2, 0xa0
	v_dual_mov_b32 v3, 0 :: v_dual_mov_b32 v12, v0
	s_mov_b32 s25, 0
.LBB264_274:                            ; =>This Inner Loop Header: Depth=1
	ds_load_b32 v13, v10
	v_add_nc_u32_e32 v12, 0x80, v12
	s_delay_alu instid0(VALU_DEP_1) | instskip(SKIP_3) | instid1(VALU_DEP_1)
	v_cmp_le_i32_e64 s3, s4, v12
	s_or_b32 s25, s3, s25
	s_wait_dscnt 0x0
	v_sub_f32_e32 v13, v13, v9
	v_mul_f32_e32 v13, 0x3fb8aa3b, v13
	s_delay_alu instid0(VALU_DEP_1)
	v_exp_f32_e32 v13, v13
	ds_store_b32 v10, v13
	v_nop
	v_dual_add_f32 v3, v3, v13 :: v_dual_add_nc_u32 v10, 0x200, v10
	s_and_not1_b32 exec_lo, exec_lo, s25
	s_cbranch_execnz .LBB264_274
; %bb.275:
	s_or_b32 exec_lo, exec_lo, s25
.LBB264_276:
	s_delay_alu instid0(SALU_CYCLE_1)
	s_or_b32 exec_lo, exec_lo, s19
	ds_bpermute_b32 v4, v4, v3
	s_wait_dscnt 0x0
	v_add_f32_e32 v3, v3, v4
	ds_bpermute_b32 v4, v5, v3
	s_wait_dscnt 0x0
	v_add_f32_e32 v3, v3, v4
	;; [unrolled: 3-line block ×5, first 2 shown]
	s_and_saveexec_b32 s3, vcc_lo
; %bb.277:
	ds_store_b32 v7, v3 offset:144
; %bb.278:
	s_or_b32 exec_lo, exec_lo, s3
	s_wait_dscnt 0x0
	s_barrier_signal -1
	s_barrier_wait -1
	s_and_saveexec_b32 s3, s0
; %bb.279:
	ds_load_b32 v3, v8 offset:144
; %bb.280:
	s_or_b32 exec_lo, exec_lo, s3
	s_wait_dscnt 0x0
	ds_bpermute_b32 v2, v2, v3
	s_wait_dscnt 0x0
	v_dual_lshlrev_b32 v4, 2, v11 :: v_dual_add_f32 v2, v3, v2
	ds_bpermute_b32 v3, v28, v2
	s_wait_dscnt 0x0
	v_add_f32_e32 v2, v2, v3
	v_and_b32_e32 v3, 0xffffff80, v4
	ds_bpermute_b32 v2, v3, v2
	s_and_saveexec_b32 s0, s1
	s_cbranch_execz .LBB264_293
; %bb.281:
	s_wait_dscnt 0x0
	v_add_f32_e32 v2, 0x358637bd, v2
	s_mov_b32 s3, -1
	s_mov_b32 s1, exec_lo
	s_delay_alu instid0(VALU_DEP_1) | instskip(NEXT) | instid1(VALU_DEP_1)
	v_div_scale_f32 v3, null, v2, v2, 1.0
	v_rcp_f32_e32 v5, v3
	v_nop
	s_delay_alu instid0(TRANS32_DEP_1) | instskip(NEXT) | instid1(VALU_DEP_1)
	v_fma_f32 v4, -v3, v5, 1.0
	v_fmac_f32_e32 v5, v4, v5
	v_div_scale_f32 v6, vcc_lo, 1.0, v2, 1.0
	s_delay_alu instid0(VALU_DEP_1) | instskip(NEXT) | instid1(VALU_DEP_1)
	v_mul_f32_e32 v7, v6, v5
	v_fma_f32 v4, -v3, v7, v6
	s_delay_alu instid0(VALU_DEP_1) | instskip(SKIP_1) | instid1(VALU_DEP_2)
	v_fmac_f32_e32 v7, v4, v5
	v_xad_u32 v4, v0, -1, s4
	v_fma_f32 v3, -v3, v7, v6
	s_delay_alu instid0(VALU_DEP_1) | instskip(NEXT) | instid1(VALU_DEP_1)
	v_div_fmas_f32 v3, v3, v5, v7
	v_div_fixup_f32 v2, v3, v2, 1.0
	v_mov_b32_e32 v3, v0
	v_cmpx_lt_u32_e32 0x7f, v4
	s_cbranch_execz .LBB264_290
; %bb.282:
	s_delay_alu instid0(VALU_DEP_3) | instskip(NEXT) | instid1(VALU_DEP_1)
	v_dual_mov_b32 v3, v2 :: v_dual_lshrrev_b32 v4, 7, v4
	v_dual_mov_b32 v8, 0 :: v_dual_add_nc_u32 v5, -1, v4
	s_delay_alu instid0(VALU_DEP_1) | instskip(SKIP_1) | instid1(VALU_DEP_2)
	v_lshrrev_b32_e32 v6, 1, v5
	v_cmp_lt_u32_e32 vcc_lo, 13, v5
	v_add_nc_u32_e32 v5, 1, v6
	s_and_saveexec_b32 s3, vcc_lo
	s_cbranch_execz .LBB264_286
; %bb.283:
	s_delay_alu instid0(VALU_DEP_1)
	v_and_b32_e32 v6, -8, v5
	v_lshl_add_u32 v7, v0, 2, 0xa0
	s_mov_b32 s19, 0
	s_mov_b32 s25, 0
.LBB264_284:                            ; =>This Inner Loop Header: Depth=1
	ds_load_2addr_stride64_b32 v[8:9], v7 offset1:2
	ds_load_2addr_stride64_b32 v[10:11], v7 offset0:4 offset1:6
	ds_load_2addr_stride64_b32 v[12:13], v7 offset0:8 offset1:10
	;; [unrolled: 1-line block ×7, first 2 shown]
	s_add_co_i32 s25, s25, 16
	v_add_nc_u32_e32 v6, -8, v6
	s_wait_dscnt 0x7
	v_pk_mul_f32 v[8:9], v[2:3], v[8:9]
	s_wait_dscnt 0x6
	v_pk_mul_f32 v[10:11], v[2:3], v[10:11]
	;; [unrolled: 2-line block ×8, first 2 shown]
	ds_store_2addr_stride64_b32 v7, v8, v9 offset1:2
	ds_store_2addr_stride64_b32 v7, v10, v11 offset0:4 offset1:6
	ds_store_2addr_stride64_b32 v7, v12, v13 offset0:8 offset1:10
	;; [unrolled: 1-line block ×7, first 2 shown]
	v_mov_b32_e32 v8, s25
	v_cmp_eq_u32_e32 vcc_lo, 0, v6
	v_add_nc_u32_e32 v7, 0x2000, v7
	s_or_b32 s19, vcc_lo, s19
	s_delay_alu instid0(SALU_CYCLE_1)
	s_and_not1_b32 exec_lo, exec_lo, s19
	s_cbranch_execnz .LBB264_284
; %bb.285:
	s_or_b32 exec_lo, exec_lo, s19
.LBB264_286:
	s_delay_alu instid0(SALU_CYCLE_1) | instskip(NEXT) | instid1(VALU_DEP_1)
	s_or_b32 exec_lo, exec_lo, s3
	v_and_b32_e32 v5, 7, v5
	s_mov_b32 s19, 0
	s_mov_b32 s3, exec_lo
	s_delay_alu instid0(VALU_DEP_1)
	v_cmpx_ne_u32_e32 0, v5
	s_cbranch_execz .LBB264_289
; %bb.287:
	v_lshlrev_b32_e32 v6, 9, v8
	v_lshlrev_b32_e32 v7, 2, v0
	s_delay_alu instid0(VALU_DEP_1)
	v_add3_u32 v6, v6, v7, 0xa0
.LBB264_288:                            ; =>This Inner Loop Header: Depth=1
	ds_load_2addr_stride64_b32 v[8:9], v6 offset1:2
	v_add_nc_u32_e32 v5, -1, v5
	s_delay_alu instid0(VALU_DEP_1)
	v_cmp_eq_u32_e32 vcc_lo, 0, v5
	s_or_b32 s19, vcc_lo, s19
	s_wait_dscnt 0x0
	v_pk_mul_f32 v[8:9], v[2:3], v[8:9]
	ds_store_2addr_stride64_b32 v6, v8, v9 offset1:2
	v_add_nc_u32_e32 v6, 0x400, v6
	s_and_not1_b32 exec_lo, exec_lo, s19
	s_cbranch_execnz .LBB264_288
.LBB264_289:
	s_or_b32 exec_lo, exec_lo, s3
	v_add_nc_u32_e32 v3, 1, v4
	s_delay_alu instid0(VALU_DEP_1) | instskip(NEXT) | instid1(VALU_DEP_1)
	v_and_b32_e32 v4, 0x3fffffe, v3
	v_cmp_ne_u32_e32 vcc_lo, v3, v4
	v_lshl_add_u32 v3, v4, 7, v0
	s_or_not1_b32 s3, vcc_lo, exec_lo
.LBB264_290:
	s_or_b32 exec_lo, exec_lo, s1
	s_delay_alu instid0(SALU_CYCLE_1)
	s_and_b32 exec_lo, exec_lo, s3
	s_cbranch_execz .LBB264_293
; %bb.291:
	v_lshl_add_u32 v4, v3, 2, 0xa0
	s_mov_b32 s1, 0
.LBB264_292:                            ; =>This Inner Loop Header: Depth=1
	ds_load_b32 v5, v4
	v_add_nc_u32_e32 v3, 0x80, v3
	s_delay_alu instid0(VALU_DEP_1)
	v_cmp_le_i32_e32 vcc_lo, s4, v3
	s_or_b32 s1, vcc_lo, s1
	s_wait_dscnt 0x0
	v_mul_f32_e32 v5, v2, v5
	ds_store_b32 v4, v5
	v_add_nc_u32_e32 v4, 0x200, v4
	s_and_not1_b32 exec_lo, exec_lo, s1
	s_cbranch_execnz .LBB264_292
.LBB264_293:
	s_or_b32 exec_lo, exec_lo, s0
	v_mov_b32_e32 v3, 0
	s_wait_dscnt 0x0
	s_barrier_signal -1
	s_barrier_wait -1
	s_delay_alu instid0(VALU_DEP_1)
	v_dual_mov_b32 v2, v3 :: v_dual_mov_b32 v5, v3
	v_mov_b32_e32 v4, v3
	s_and_saveexec_b32 s1, s2
	s_cbranch_execz .LBB264_561
; %bb.294:
	v_dual_mov_b32 v7, 0 :: v_dual_lshlrev_b32 v2, 3, v0
	s_ashr_i32 s19, s18, 31
	v_lshlrev_b32_e32 v3, 5, v25
	s_wait_kmcnt 0x0
	s_add_nc_u64 s[8:9], s[8:9], s[18:19]
	v_and_b32_e32 v6, 0xf8, v2
	s_lshl_b64 s[2:3], s[14:15], 2
	v_and_b32_e32 v2, 8, v2
	v_lshl_or_b32 v3, v26, 6, v3
	s_add_nc_u64 s[2:3], s[16:17], s[2:3]
	v_add_nc_u64_e32 v[8:9], s[8:9], v[6:7]
	v_and_b32_e32 v6, 0x7c, v1
	v_lshl_or_b32 v29, v26, 4, v2
	v_dual_mov_b32 v3, 0 :: v_dual_add_nc_u32 v30, 0xa0, v3
	v_dual_mov_b32 v2, 0 :: v_dual_mov_b32 v5, 0
	s_delay_alu instid0(VALU_DEP_4)
	v_add_nc_u64_e32 v[10:11], s[2:3], v[6:7]
	v_dual_mov_b32 v4, 0 :: v_dual_mov_b32 v31, v26
	s_mov_b32 s4, s5
	s_mov_b64 s[2:3], 0xffffffffffffff
	s_add_co_i32 s5, s24, -1
	s_mov_b32 s9, s23
	s_mov_b32 s8, 0
	s_branch .LBB264_296
.LBB264_295:                            ;   in Loop: Header=BB264_296 Depth=1
	s_or_b32 exec_lo, exec_lo, s0
	;;#ASMSTART
	v_pk_mul_f16 v1, v44, v15;

	;;#ASMEND
	;;#ASMSTART
	v_pk_mul_f16 v6, v43, v14;

	;;#ASMEND
	;; [unrolled: 4-line block ×4, first 2 shown]
	;;#ASMSTART
	v_pk_add_f16 v1, v1, v6;

	;;#ASMEND
	;;#ASMSTART
	v_pk_add_f16 v1, v1, v13;

	;;#ASMEND
	;; [unrolled: 4-line block ×3, first 2 shown]
	v_and_b32_e32 v13, 0xffff, v1
	v_dual_add_f32 v1, v39, v40 :: v_dual_lshrrev_b32 v14, 16, v1
	;;#ASMSTART
	v_cvt_f32_f16 v13, v13;
	;;#ASMEND
	;;#ASMSTART
	v_cvt_f32_f16 v14, v14;
	;;#ASMEND
	s_delay_alu instid0(VALU_DEP_1) | instskip(SKIP_3) | instid1(VALU_DEP_4)
	v_dual_add_f32 v13, v13, v14 :: v_dual_add_nc_u32 v31, 4, v31
	v_dual_add_f32 v6, v47, v48 :: v_dual_add_f32 v12, v45, v46
	v_add_nc_u64_e32 v[10:11], 16, v[10:11]
	v_add_f32_e32 v2, v2, v1
	v_cmp_le_i32_e32 vcc_lo, s24, v31
	s_delay_alu instid0(VALU_DEP_4) | instskip(SKIP_4) | instid1(SALU_CYCLE_1)
	v_dual_add_f32 v5, v5, v6 :: v_dual_add_f32 v4, v4, v12
	v_add_f32_e32 v3, v3, v13
	v_add_nc_u32_e32 v29, 64, v29
	v_add_nc_u32_e32 v30, 0x100, v30
	s_or_b32 s8, vcc_lo, s8
	s_and_not1_b32 exec_lo, exec_lo, s8
	s_cbranch_execz .LBB264_560
.LBB264_296:                            ; =>This Inner Loop Header: Depth=1
	global_load_b32 v1, v[10:11], off
	ds_load_2addr_b64 v[14:17], v30 offset1:1
	ds_load_2addr_b64 v[18:21], v30 offset0:2 offset1:3
	s_mov_b32 s0, exec_lo
	s_wait_dscnt 0x1
	;;#ASMSTART
	v_cvt_f16_f32 v42, v14;

	;;#ASMEND
	;;#ASMSTART
	v_cvt_f16_f32 v39, v15;

	;;#ASMEND
	;; [unrolled: 4-line block ×4, first 2 shown]
	s_wait_dscnt 0x0
	;;#ASMSTART
	v_cvt_f16_f32 v44, v18;

	;;#ASMEND
	;;#ASMSTART
	v_cvt_f16_f32 v41, v19;

	;;#ASMEND
	;; [unrolled: 4-line block ×4, first 2 shown]
	s_wait_loadcnt 0x0
	v_mad_nc_i64_i32 v[12:13], v1, s4, v[8:9]
	v_mov_b32_e32 v1, 0
	global_load_b64 v[16:17], v[12:13], off
	global_load_b32 v14, v7, s[10:11]
	s_wait_loadcnt 0x1
	v_and_b32_e32 v6, 0xff, v16
	s_wait_xcnt 0x0
	s_delay_alu instid0(VALU_DEP_1)
	v_cmpx_ne_u16_e32 0, v6
	s_cbranch_execz .LBB264_304
; %bb.297:                              ;   in Loop: Header=BB264_296 Depth=1
	v_mov_b32_e32 v1, 0x8000
	s_mov_b32 s14, exec_lo
	v_cmpx_ne_u16_e32 0x80, v6
	s_cbranch_execz .LBB264_303
; %bb.298:                              ;   in Loop: Header=BB264_296 Depth=1
	v_and_b32_e32 v15, 0x7f, v16
	v_mov_b32_e32 v1, 0x7c01
	s_mov_b32 s15, exec_lo
	s_delay_alu instid0(VALU_DEP_2)
	v_cmpx_ne_u32_e32 0x7f, v15
	s_cbranch_execz .LBB264_302
; %bb.299:                              ;   in Loop: Header=BB264_296 Depth=1
	v_dual_lshrrev_b32 v6, 3, v15 :: v_dual_bitop2_b32 v1, 7, v16 bitop3:0x40
	s_mov_b32 s16, exec_lo
	v_cmpx_gt_u32_e32 8, v15
; %bb.300:                              ;   in Loop: Header=BB264_296 Depth=1
	s_delay_alu instid0(VALU_DEP_2) | instskip(NEXT) | instid1(VALU_DEP_1)
	v_clz_i32_u32_e32 v1, v1
	v_min_u32_e32 v1, 32, v1
	s_delay_alu instid0(VALU_DEP_1) | instskip(NEXT) | instid1(VALU_DEP_1)
	v_subrev_nc_u32_e32 v6, 28, v1
	v_lshlrev_b64_e32 v[18:19], v6, v[16:17]
	s_delay_alu instid0(VALU_DEP_1)
	v_dual_sub_nc_u32 v6, 29, v1 :: v_dual_bitop2_b32 v1, 7, v18 bitop3:0x40
; %bb.301:                              ;   in Loop: Header=BB264_296 Depth=1
	s_or_b32 exec_lo, exec_lo, s16
	s_delay_alu instid0(VALU_DEP_1) | instskip(NEXT) | instid1(VALU_DEP_2)
	v_dual_lshlrev_b32 v15, 8, v16 :: v_dual_lshlrev_b32 v1, 7, v1
	v_lshl_add_u32 v6, v6, 10, 0x2000
	s_delay_alu instid0(VALU_DEP_2) | instskip(NEXT) | instid1(VALU_DEP_2)
	v_and_b32_e32 v15, 0x8000, v15
	v_and_b32_e32 v6, 0xfc00, v6
	s_delay_alu instid0(VALU_DEP_1)
	v_or3_b32 v1, v15, v6, v1
.LBB264_302:                            ;   in Loop: Header=BB264_296 Depth=1
	s_or_b32 exec_lo, exec_lo, s15
.LBB264_303:                            ;   in Loop: Header=BB264_296 Depth=1
	s_delay_alu instid0(SALU_CYCLE_1)
	s_or_b32 exec_lo, exec_lo, s14
.LBB264_304:                            ;   in Loop: Header=BB264_296 Depth=1
	s_delay_alu instid0(SALU_CYCLE_1) | instskip(SKIP_3) | instid1(VALU_DEP_2)
	s_or_b32 exec_lo, exec_lo, s0
	v_lshrrev_b16 v6, 8, v16
	v_dual_mov_b32 v15, 0 :: v_dual_mov_b32 v18, 0
	s_mov_b32 s0, exec_lo
	v_cmpx_ne_u16_e32 0, v6
	s_cbranch_execz .LBB264_312
; %bb.305:                              ;   in Loop: Header=BB264_296 Depth=1
	v_bfrev_b32_e32 v18, 1
	s_mov_b32 s14, exec_lo
	v_cmpx_ne_u16_e32 0x80, v6
	s_cbranch_execz .LBB264_311
; %bb.306:                              ;   in Loop: Header=BB264_296 Depth=1
	v_and_b32_e32 v19, 0xffff, v6
	v_mov_b32_e32 v18, 0x7c010000
	s_mov_b32 s15, exec_lo
	s_delay_alu instid0(VALU_DEP_2) | instskip(NEXT) | instid1(VALU_DEP_1)
	v_and_b32_e32 v21, 0x7f, v19
	v_cmpx_ne_u32_e32 0x7f, v21
	s_cbranch_execz .LBB264_310
; %bb.307:                              ;   in Loop: Header=BB264_296 Depth=1
	v_dual_lshrrev_b32 v20, 3, v21 :: v_dual_bitop2_b32 v18, 7, v19 bitop3:0x40
	s_mov_b32 s16, exec_lo
	v_cmpx_gt_u32_e32 8, v21
; %bb.308:                              ;   in Loop: Header=BB264_296 Depth=1
	s_delay_alu instid0(VALU_DEP_2) | instskip(NEXT) | instid1(VALU_DEP_1)
	v_clz_i32_u32_e32 v18, v18
	v_min_u32_e32 v18, 32, v18
	s_delay_alu instid0(VALU_DEP_1) | instskip(NEXT) | instid1(VALU_DEP_1)
	v_subrev_nc_u32_e32 v20, 28, v18
	v_lshlrev_b64_e32 v[22:23], v20, v[6:7]
	v_sub_nc_u32_e32 v20, 29, v18
	s_delay_alu instid0(VALU_DEP_2)
	v_and_b32_e32 v18, 7, v22
; %bb.309:                              ;   in Loop: Header=BB264_296 Depth=1
	s_or_b32 exec_lo, exec_lo, s16
	s_delay_alu instid0(VALU_DEP_1) | instskip(NEXT) | instid1(VALU_DEP_3)
	v_dual_lshlrev_b32 v6, 8, v19 :: v_dual_lshlrev_b32 v18, 23, v18
	v_lshl_add_u32 v19, v20, 10, 0x2000
	s_delay_alu instid0(VALU_DEP_1) | instskip(NEXT) | instid1(VALU_DEP_1)
	v_and_or_b32 v6, 0x8000, v6, v19
	v_lshl_or_b32 v18, v6, 16, v18
.LBB264_310:                            ;   in Loop: Header=BB264_296 Depth=1
	s_or_b32 exec_lo, exec_lo, s15
.LBB264_311:                            ;   in Loop: Header=BB264_296 Depth=1
	s_delay_alu instid0(SALU_CYCLE_1)
	s_or_b32 exec_lo, exec_lo, s14
.LBB264_312:                            ;   in Loop: Header=BB264_296 Depth=1
	s_delay_alu instid0(SALU_CYCLE_1) | instskip(SKIP_2) | instid1(VALU_DEP_1)
	s_or_b32 exec_lo, exec_lo, s0
	v_lshrrev_b32_e32 v6, 16, v16
	s_mov_b32 s0, exec_lo
	v_and_b32_e32 v19, 0xff, v6
	s_delay_alu instid0(VALU_DEP_1)
	v_cmpx_ne_u16_e32 0, v19
	s_cbranch_execz .LBB264_320
; %bb.313:                              ;   in Loop: Header=BB264_296 Depth=1
	v_mov_b32_e32 v15, 0x8000
	s_mov_b32 s14, exec_lo
	v_cmpx_ne_u16_e32 0x80, v19
	s_cbranch_execz .LBB264_319
; %bb.314:                              ;   in Loop: Header=BB264_296 Depth=1
	v_bfe_u32 v20, v16, 16, 7
	v_mov_b32_e32 v15, 0x7c01
	s_mov_b32 s15, exec_lo
	s_delay_alu instid0(VALU_DEP_2)
	v_cmpx_ne_u32_e32 0x7f, v20
	s_cbranch_execz .LBB264_318
; %bb.315:                              ;   in Loop: Header=BB264_296 Depth=1
	v_dual_lshrrev_b32 v19, 3, v20 :: v_dual_bitop2_b32 v15, 7, v6 bitop3:0x40
	s_mov_b32 s16, exec_lo
	v_cmpx_gt_u32_e32 8, v20
; %bb.316:                              ;   in Loop: Header=BB264_296 Depth=1
	s_delay_alu instid0(VALU_DEP_2) | instskip(NEXT) | instid1(VALU_DEP_1)
	v_clz_i32_u32_e32 v15, v15
	v_min_u32_e32 v15, 32, v15
	s_delay_alu instid0(VALU_DEP_1) | instskip(NEXT) | instid1(VALU_DEP_1)
	v_subrev_nc_u32_e32 v19, 28, v15
	v_lshlrev_b64_e32 v[20:21], v19, v[6:7]
	s_delay_alu instid0(VALU_DEP_1)
	v_dual_sub_nc_u32 v19, 29, v15 :: v_dual_bitop2_b32 v15, 7, v20 bitop3:0x40
; %bb.317:                              ;   in Loop: Header=BB264_296 Depth=1
	s_or_b32 exec_lo, exec_lo, s16
	s_delay_alu instid0(VALU_DEP_1) | instskip(NEXT) | instid1(VALU_DEP_2)
	v_dual_lshlrev_b32 v6, 8, v6 :: v_dual_lshlrev_b32 v15, 7, v15
	v_lshl_add_u32 v19, v19, 10, 0x2000
	s_delay_alu instid0(VALU_DEP_2) | instskip(NEXT) | instid1(VALU_DEP_2)
	v_and_b32_e32 v6, 0x8000, v6
	v_and_b32_e32 v19, 0xfc00, v19
	s_delay_alu instid0(VALU_DEP_1)
	v_or3_b32 v15, v6, v19, v15
.LBB264_318:                            ;   in Loop: Header=BB264_296 Depth=1
	s_or_b32 exec_lo, exec_lo, s15
.LBB264_319:                            ;   in Loop: Header=BB264_296 Depth=1
	s_delay_alu instid0(SALU_CYCLE_1)
	s_or_b32 exec_lo, exec_lo, s14
.LBB264_320:                            ;   in Loop: Header=BB264_296 Depth=1
	s_delay_alu instid0(SALU_CYCLE_1)
	s_or_b32 exec_lo, exec_lo, s0
	v_dual_mov_b32 v19, 0 :: v_dual_mov_b32 v20, 0
	s_mov_b32 s0, exec_lo
	v_cmpx_lt_u32_e32 0xffffff, v16
	s_cbranch_execz .LBB264_328
; %bb.321:                              ;   in Loop: Header=BB264_296 Depth=1
	v_lshrrev_b32_e32 v6, 24, v16
	v_bfrev_b32_e32 v20, 1
	s_mov_b32 s14, exec_lo
	s_delay_alu instid0(VALU_DEP_2)
	v_cmpx_ne_u32_e32 0x80, v6
	s_cbranch_execz .LBB264_327
; %bb.322:                              ;   in Loop: Header=BB264_296 Depth=1
	v_and_b32_e32 v22, 0x7f, v6
	v_mov_b32_e32 v20, 0x7c010000
	s_mov_b32 s15, exec_lo
	s_delay_alu instid0(VALU_DEP_2)
	v_cmpx_ne_u32_e32 0x7f, v22
	s_cbranch_execz .LBB264_326
; %bb.323:                              ;   in Loop: Header=BB264_296 Depth=1
	v_and_b32_e32 v20, 7, v6
	v_lshrrev_b32_e32 v21, 3, v22
	s_mov_b32 s16, exec_lo
	v_cmpx_gt_u32_e32 8, v22
; %bb.324:                              ;   in Loop: Header=BB264_296 Depth=1
	s_delay_alu instid0(VALU_DEP_3) | instskip(NEXT) | instid1(VALU_DEP_1)
	v_clz_i32_u32_e32 v20, v20
	v_min_u32_e32 v22, 32, v20
	s_delay_alu instid0(VALU_DEP_1) | instskip(NEXT) | instid1(VALU_DEP_1)
	v_subrev_nc_u32_e32 v20, 28, v22
	v_lshlrev_b64_e32 v[20:21], v20, v[6:7]
	s_delay_alu instid0(VALU_DEP_1)
	v_dual_sub_nc_u32 v21, 29, v22 :: v_dual_bitop2_b32 v20, 7, v20 bitop3:0x40
; %bb.325:                              ;   in Loop: Header=BB264_296 Depth=1
	s_or_b32 exec_lo, exec_lo, s16
	s_delay_alu instid0(VALU_DEP_1) | instskip(NEXT) | instid1(VALU_DEP_2)
	v_dual_lshlrev_b32 v6, 8, v6 :: v_dual_lshlrev_b32 v20, 23, v20
	v_lshl_add_u32 v21, v21, 10, 0x2000
	s_delay_alu instid0(VALU_DEP_1) | instskip(NEXT) | instid1(VALU_DEP_1)
	v_and_or_b32 v6, 0x8000, v6, v21
	v_lshl_or_b32 v20, v6, 16, v20
.LBB264_326:                            ;   in Loop: Header=BB264_296 Depth=1
	s_or_b32 exec_lo, exec_lo, s15
.LBB264_327:                            ;   in Loop: Header=BB264_296 Depth=1
	s_delay_alu instid0(SALU_CYCLE_1)
	s_or_b32 exec_lo, exec_lo, s14
.LBB264_328:                            ;   in Loop: Header=BB264_296 Depth=1
	s_delay_alu instid0(SALU_CYCLE_1) | instskip(SKIP_3) | instid1(VALU_DEP_2)
	s_or_b32 exec_lo, exec_lo, s0
	v_and_b32_e32 v21, 0xff, v17
	v_mov_b32_e32 v6, v17
	s_mov_b32 s0, exec_lo
	v_cmpx_ne_u16_e32 0, v21
	s_cbranch_execz .LBB264_336
; %bb.329:                              ;   in Loop: Header=BB264_296 Depth=1
	v_mov_b32_e32 v19, 0x8000
	s_mov_b32 s14, exec_lo
	v_cmpx_ne_u16_e32 0x80, v21
	s_cbranch_execz .LBB264_335
; %bb.330:                              ;   in Loop: Header=BB264_296 Depth=1
	v_and_b32_e32 v22, 0x7f, v17
	v_mov_b32_e32 v19, 0x7c01
	s_mov_b32 s15, exec_lo
	s_delay_alu instid0(VALU_DEP_2)
	v_cmpx_ne_u32_e32 0x7f, v22
	s_cbranch_execz .LBB264_334
; %bb.331:                              ;   in Loop: Header=BB264_296 Depth=1
	v_dual_lshrrev_b32 v21, 3, v22 :: v_dual_bitop2_b32 v19, 7, v17 bitop3:0x40
	s_mov_b32 s16, exec_lo
	v_cmpx_gt_u32_e32 8, v22
; %bb.332:                              ;   in Loop: Header=BB264_296 Depth=1
	s_delay_alu instid0(VALU_DEP_2) | instskip(NEXT) | instid1(VALU_DEP_1)
	v_clz_i32_u32_e32 v19, v19
	v_min_u32_e32 v19, 32, v19
	s_delay_alu instid0(VALU_DEP_1) | instskip(NEXT) | instid1(VALU_DEP_1)
	v_subrev_nc_u32_e32 v21, 28, v19
	v_lshlrev_b64_e32 v[22:23], v21, v[6:7]
	s_delay_alu instid0(VALU_DEP_1)
	v_dual_sub_nc_u32 v21, 29, v19 :: v_dual_bitop2_b32 v19, 7, v22 bitop3:0x40
; %bb.333:                              ;   in Loop: Header=BB264_296 Depth=1
	s_or_b32 exec_lo, exec_lo, s16
	s_delay_alu instid0(VALU_DEP_1) | instskip(NEXT) | instid1(VALU_DEP_2)
	v_dual_lshlrev_b32 v22, 8, v17 :: v_dual_lshlrev_b32 v19, 7, v19
	v_lshl_add_u32 v21, v21, 10, 0x2000
	s_delay_alu instid0(VALU_DEP_2) | instskip(NEXT) | instid1(VALU_DEP_2)
	v_and_b32_e32 v22, 0x8000, v22
	v_and_b32_e32 v21, 0xfc00, v21
	s_delay_alu instid0(VALU_DEP_1)
	v_or3_b32 v19, v22, v21, v19
.LBB264_334:                            ;   in Loop: Header=BB264_296 Depth=1
	s_or_b32 exec_lo, exec_lo, s15
.LBB264_335:                            ;   in Loop: Header=BB264_296 Depth=1
	s_delay_alu instid0(SALU_CYCLE_1)
	s_or_b32 exec_lo, exec_lo, s14
.LBB264_336:                            ;   in Loop: Header=BB264_296 Depth=1
	s_delay_alu instid0(SALU_CYCLE_1) | instskip(SKIP_3) | instid1(VALU_DEP_2)
	s_or_b32 exec_lo, exec_lo, s0
	v_lshrrev_b16 v6, 8, v6
	v_dual_mov_b32 v22, 0 :: v_dual_mov_b32 v21, 0
	s_mov_b32 s0, exec_lo
	v_cmpx_ne_u16_e32 0, v6
	s_cbranch_execz .LBB264_344
; %bb.337:                              ;   in Loop: Header=BB264_296 Depth=1
	v_bfrev_b32_e32 v21, 1
	s_mov_b32 s14, exec_lo
	v_cmpx_ne_u16_e32 0x80, v6
	s_cbranch_execz .LBB264_343
; %bb.338:                              ;   in Loop: Header=BB264_296 Depth=1
	v_and_b32_e32 v23, 0xffff, v6
	v_mov_b32_e32 v21, 0x7c010000
	s_mov_b32 s15, exec_lo
	s_delay_alu instid0(VALU_DEP_2) | instskip(NEXT) | instid1(VALU_DEP_1)
	v_and_b32_e32 v33, 0x7f, v23
	v_cmpx_ne_u32_e32 0x7f, v33
	s_cbranch_execz .LBB264_342
; %bb.339:                              ;   in Loop: Header=BB264_296 Depth=1
	v_dual_lshrrev_b32 v32, 3, v33 :: v_dual_bitop2_b32 v21, 7, v23 bitop3:0x40
	s_mov_b32 s16, exec_lo
	v_cmpx_gt_u32_e32 8, v33
; %bb.340:                              ;   in Loop: Header=BB264_296 Depth=1
	s_delay_alu instid0(VALU_DEP_2) | instskip(NEXT) | instid1(VALU_DEP_1)
	v_clz_i32_u32_e32 v21, v21
	v_min_u32_e32 v21, 32, v21
	s_delay_alu instid0(VALU_DEP_1) | instskip(NEXT) | instid1(VALU_DEP_1)
	v_subrev_nc_u32_e32 v32, 28, v21
	v_lshlrev_b64_e32 v[34:35], v32, v[6:7]
	s_delay_alu instid0(VALU_DEP_1)
	v_dual_sub_nc_u32 v32, 29, v21 :: v_dual_bitop2_b32 v21, 7, v34 bitop3:0x40
; %bb.341:                              ;   in Loop: Header=BB264_296 Depth=1
	s_or_b32 exec_lo, exec_lo, s16
	s_delay_alu instid0(VALU_DEP_1) | instskip(NEXT) | instid1(VALU_DEP_2)
	v_dual_lshlrev_b32 v6, 8, v23 :: v_dual_lshlrev_b32 v21, 23, v21
	v_lshl_add_u32 v23, v32, 10, 0x2000
	s_delay_alu instid0(VALU_DEP_1) | instskip(NEXT) | instid1(VALU_DEP_1)
	v_and_or_b32 v6, 0x8000, v6, v23
	v_lshl_or_b32 v21, v6, 16, v21
.LBB264_342:                            ;   in Loop: Header=BB264_296 Depth=1
	s_or_b32 exec_lo, exec_lo, s15
.LBB264_343:                            ;   in Loop: Header=BB264_296 Depth=1
	s_delay_alu instid0(SALU_CYCLE_1)
	s_or_b32 exec_lo, exec_lo, s14
.LBB264_344:                            ;   in Loop: Header=BB264_296 Depth=1
	s_delay_alu instid0(SALU_CYCLE_1) | instskip(SKIP_2) | instid1(VALU_DEP_1)
	s_or_b32 exec_lo, exec_lo, s0
	v_lshrrev_b32_e32 v6, 16, v17
	s_mov_b32 s0, exec_lo
	v_and_b32_e32 v23, 0xff, v6
	s_delay_alu instid0(VALU_DEP_1)
	v_cmpx_ne_u16_e32 0, v23
	s_cbranch_execz .LBB264_352
; %bb.345:                              ;   in Loop: Header=BB264_296 Depth=1
	v_mov_b32_e32 v22, 0x8000
	s_mov_b32 s14, exec_lo
	v_cmpx_ne_u16_e32 0x80, v23
	s_cbranch_execz .LBB264_351
; %bb.346:                              ;   in Loop: Header=BB264_296 Depth=1
	v_bfe_u32 v32, v17, 16, 7
	v_mov_b32_e32 v22, 0x7c01
	s_mov_b32 s15, exec_lo
	s_delay_alu instid0(VALU_DEP_2)
	v_cmpx_ne_u32_e32 0x7f, v32
	s_cbranch_execz .LBB264_350
; %bb.347:                              ;   in Loop: Header=BB264_296 Depth=1
	v_dual_lshrrev_b32 v23, 3, v32 :: v_dual_bitop2_b32 v22, 7, v6 bitop3:0x40
	s_mov_b32 s16, exec_lo
	v_cmpx_gt_u32_e32 8, v32
; %bb.348:                              ;   in Loop: Header=BB264_296 Depth=1
	s_delay_alu instid0(VALU_DEP_2) | instskip(NEXT) | instid1(VALU_DEP_1)
	v_clz_i32_u32_e32 v22, v22
	v_min_u32_e32 v32, 32, v22
	s_delay_alu instid0(VALU_DEP_1) | instskip(NEXT) | instid1(VALU_DEP_1)
	v_subrev_nc_u32_e32 v22, 28, v32
	v_lshlrev_b64_e32 v[22:23], v22, v[6:7]
	s_delay_alu instid0(VALU_DEP_1)
	v_dual_sub_nc_u32 v23, 29, v32 :: v_dual_bitop2_b32 v22, 7, v22 bitop3:0x40
; %bb.349:                              ;   in Loop: Header=BB264_296 Depth=1
	s_or_b32 exec_lo, exec_lo, s16
	v_lshlrev_b32_e32 v6, 8, v6
	s_delay_alu instid0(VALU_DEP_2) | instskip(NEXT) | instid1(VALU_DEP_3)
	v_lshl_add_u32 v23, v23, 10, 0x2000
	v_lshlrev_b32_e32 v22, 7, v22
	s_delay_alu instid0(VALU_DEP_3) | instskip(NEXT) | instid1(VALU_DEP_3)
	v_and_b32_e32 v6, 0x8000, v6
	v_and_b32_e32 v23, 0xfc00, v23
	s_delay_alu instid0(VALU_DEP_1)
	v_or3_b32 v22, v6, v23, v22
.LBB264_350:                            ;   in Loop: Header=BB264_296 Depth=1
	s_or_b32 exec_lo, exec_lo, s15
.LBB264_351:                            ;   in Loop: Header=BB264_296 Depth=1
	s_delay_alu instid0(SALU_CYCLE_1)
	s_or_b32 exec_lo, exec_lo, s14
.LBB264_352:                            ;   in Loop: Header=BB264_296 Depth=1
	s_delay_alu instid0(SALU_CYCLE_1)
	s_or_b32 exec_lo, exec_lo, s0
	v_cmp_lt_u64_e32 vcc_lo, s[2:3], v[16:17]
	v_mov_b32_e32 v16, 0
	s_and_saveexec_b32 s0, vcc_lo
	s_cbranch_execz .LBB264_360
; %bb.353:                              ;   in Loop: Header=BB264_296 Depth=1
	v_lshrrev_b32_e32 v6, 24, v17
	v_bfrev_b32_e32 v16, 1
	s_mov_b32 s14, exec_lo
	s_delay_alu instid0(VALU_DEP_2)
	v_cmpx_ne_u32_e32 0x80, v6
	s_cbranch_execz .LBB264_359
; %bb.354:                              ;   in Loop: Header=BB264_296 Depth=1
	v_and_b32_e32 v23, 0x7f, v6
	v_mov_b32_e32 v16, 0x7c010000
	s_mov_b32 s15, exec_lo
	s_delay_alu instid0(VALU_DEP_2)
	v_cmpx_ne_u32_e32 0x7f, v23
	s_cbranch_execz .LBB264_358
; %bb.355:                              ;   in Loop: Header=BB264_296 Depth=1
	v_dual_lshrrev_b32 v17, 3, v23 :: v_dual_bitop2_b32 v16, 7, v6 bitop3:0x40
	s_mov_b32 s16, exec_lo
	v_cmpx_gt_u32_e32 8, v23
; %bb.356:                              ;   in Loop: Header=BB264_296 Depth=1
	s_delay_alu instid0(VALU_DEP_2) | instskip(NEXT) | instid1(VALU_DEP_1)
	v_clz_i32_u32_e32 v16, v16
	v_min_u32_e32 v23, 32, v16
	s_delay_alu instid0(VALU_DEP_1) | instskip(NEXT) | instid1(VALU_DEP_1)
	v_subrev_nc_u32_e32 v16, 28, v23
	v_lshlrev_b64_e32 v[16:17], v16, v[6:7]
	s_delay_alu instid0(VALU_DEP_1)
	v_dual_sub_nc_u32 v17, 29, v23 :: v_dual_bitop2_b32 v16, 7, v16 bitop3:0x40
; %bb.357:                              ;   in Loop: Header=BB264_296 Depth=1
	s_or_b32 exec_lo, exec_lo, s16
	s_delay_alu instid0(VALU_DEP_1) | instskip(NEXT) | instid1(VALU_DEP_2)
	v_dual_lshlrev_b32 v6, 8, v6 :: v_dual_lshlrev_b32 v16, 23, v16
	v_lshl_add_u32 v17, v17, 10, 0x2000
	s_delay_alu instid0(VALU_DEP_1) | instskip(NEXT) | instid1(VALU_DEP_1)
	v_and_or_b32 v6, 0x8000, v6, v17
	v_lshl_or_b32 v16, v6, 16, v16
.LBB264_358:                            ;   in Loop: Header=BB264_296 Depth=1
	s_or_b32 exec_lo, exec_lo, s15
.LBB264_359:                            ;   in Loop: Header=BB264_296 Depth=1
	s_delay_alu instid0(SALU_CYCLE_1)
	s_or_b32 exec_lo, exec_lo, s14
.LBB264_360:                            ;   in Loop: Header=BB264_296 Depth=1
	s_delay_alu instid0(SALU_CYCLE_1) | instskip(SKIP_3) | instid1(VALU_DEP_3)
	s_or_b32 exec_lo, exec_lo, s0
	v_dual_lshrrev_b32 v6, 16, v18 :: v_dual_lshrrev_b32 v17, 16, v20
	v_or_b32_e32 v1, v18, v1
	v_dual_lshrrev_b32 v18, 16, v21 :: v_dual_bitop2_b32 v15, v20, v15 bitop3:0x54
	v_cvt_f32_f16_e32 v33, v6
	s_delay_alu instid0(VALU_DEP_4) | instskip(SKIP_1) | instid1(VALU_DEP_4)
	v_cvt_f32_f16_e32 v32, v17
	v_dual_lshrrev_b32 v20, 16, v16 :: v_dual_bitop2_b32 v6, v16, v22 bitop3:0x54
	v_cvt_f32_f16_e32 v16, v15
	v_cvt_f32_f16_e32 v17, v1
	s_wait_loadcnt 0x0
	v_pk_mul_f32 v[22:23], v[14:15], v[32:33] op_sel_hi:[0,1]
	v_or_b32_e32 v15, v21, v19
	v_cvt_f32_f16_e32 v19, v18
	v_cvt_f32_f16_e32 v18, v20
	;; [unrolled: 1-line block ×3, first 2 shown]
	v_cvt_pk_f16_f32 v1, v22, v23
	v_pk_mul_f32 v[16:17], v[14:15], v[16:17] op_sel_hi:[0,1]
	v_cmp_eq_u32_e32 vcc_lo, s5, v31
	v_or_b32_e32 v37, 1, v29
	v_or_b32_e32 v36, 3, v29
	;; [unrolled: 1-line block ×3, first 2 shown]
	v_cvt_pk_f16_f32 v6, v16, v17
	v_or_b32_e32 v34, 6, v29
	v_or_b32_e32 v33, 5, v29
	v_dual_add_nc_u32 v38, 2, v29 :: v_dual_bitop2_b32 v32, 7, v29 bitop3:0x54
	s_delay_alu instid0(VALU_DEP_4) | instskip(SKIP_3) | instid1(VALU_DEP_3)
	v_lshrrev_b32_e32 v23, 16, v6
	v_cvt_f32_f16_e32 v21, v15
	v_pk_mul_f32 v[18:19], v[14:15], v[18:19] op_sel_hi:[0,1]
	v_and_b32_e32 v22, 0xffff, v6
	v_pk_mul_f32 v[14:15], v[14:15], v[20:21] op_sel_hi:[0,1]
	s_delay_alu instid0(VALU_DEP_3) | instskip(SKIP_2) | instid1(VALU_DEP_4)
	v_cvt_pk_f16_f32 v16, v18, v19
	v_and_b32_e32 v21, 0xffff0000, v1
	v_lshlrev_b32_e32 v20, 16, v1
	v_cvt_pk_f16_f32 v14, v14, v15
	s_delay_alu instid0(VALU_DEP_4) | instskip(NEXT) | instid1(VALU_DEP_4)
	v_and_b32_e32 v1, 0xffff0000, v16
	v_dual_lshlrev_b32 v6, 16, v16 :: v_dual_bitop2_b32 v17, v21, v23 bitop3:0x54
	s_delay_alu instid0(VALU_DEP_4) | instskip(NEXT) | instid1(VALU_DEP_4)
	v_or_b32_e32 v16, v20, v22
	v_lshrrev_b32_e32 v19, 16, v14
	v_and_b32_e32 v18, 0xffff, v14
	s_delay_alu instid0(VALU_DEP_2) | instskip(NEXT) | instid1(VALU_DEP_2)
	v_or_b32_e32 v15, v1, v19
	v_or_b32_e32 v14, v6, v18
	s_and_saveexec_b32 s14, vcc_lo
	s_cbranch_execz .LBB264_362
; %bb.361:                              ;   in Loop: Header=BB264_296 Depth=1
	v_cmp_gt_i32_e64 s0, s9, v29
	s_delay_alu instid0(VALU_DEP_1) | instskip(SKIP_1) | instid1(VALU_DEP_1)
	v_cndmask_b32_e64 v14, 0, v23, s0
	v_cmp_gt_i32_e64 s0, s23, v38
	v_cndmask_b32_e64 v15, 0, v22, s0
	v_cmp_gt_i32_e64 s0, s9, v37
	s_delay_alu instid0(VALU_DEP_1) | instskip(SKIP_1) | instid1(VALU_DEP_1)
	v_cndmask_b32_e64 v16, 0, v21, s0
	v_cmp_gt_i32_e64 s0, s23, v36
	v_cndmask_b32_e64 v20, 0, v20, s0
	v_cmp_gt_i32_e64 s0, s9, v35
	s_delay_alu instid0(VALU_DEP_4) | instskip(NEXT) | instid1(VALU_DEP_3)
	v_or_b32_e32 v17, v16, v14
	v_or_b32_e32 v16, v20, v15
	s_delay_alu instid0(VALU_DEP_3) | instskip(SKIP_1) | instid1(VALU_DEP_1)
	v_cndmask_b32_e64 v19, 0, v19, s0
	v_cmp_gt_i32_e64 s0, s23, v34
	v_cndmask_b32_e64 v18, 0, v18, s0
	v_cmp_gt_i32_e64 s0, s9, v33
	s_delay_alu instid0(VALU_DEP_1) | instskip(SKIP_1) | instid1(VALU_DEP_1)
	v_cndmask_b32_e64 v1, 0, v1, s0
	v_cmp_gt_i32_e64 s0, s23, v32
	v_dual_cndmask_b32 v6, 0, v6, s0 :: v_dual_bitop2_b32 v15, v1, v19 bitop3:0x54
	s_delay_alu instid0(VALU_DEP_1)
	v_or_b32_e32 v14, v6, v18
.LBB264_362:                            ;   in Loop: Header=BB264_296 Depth=1
	s_or_b32 exec_lo, exec_lo, s14
	v_and_b32_e32 v1, 0xffff, v42
	v_and_b32_e32 v6, 0xffff, v43
	;; [unrolled: 1-line block ×4, first 2 shown]
	s_mov_b32 s14, exec_lo
	v_lshl_or_b32 v44, v39, 16, v1
	;;#ASMSTART
	v_pk_mul_f16 v1, v44, v17;

	;;#ASMEND
	v_lshl_or_b32 v43, v40, 16, v6
	v_lshl_or_b32 v42, v41, 16, v18
	;; [unrolled: 1-line block ×3, first 2 shown]
	;;#ASMSTART
	v_pk_mul_f16 v6, v43, v16;

	;;#ASMEND
	;;#ASMSTART
	v_pk_mul_f16 v15, v42, v15;

	;;#ASMEND
	;; [unrolled: 4-line block ×3, first 2 shown]
	;;#ASMSTART
	v_pk_add_f16 v1, v1, v6;

	;;#ASMEND
	;;#ASMSTART
	v_pk_add_f16 v1, v1, v15;

	;;#ASMEND
	;; [unrolled: 4-line block ×3, first 2 shown]
	v_and_b32_e32 v6, 0xffff, v1
	v_dual_lshrrev_b32 v1, 16, v1 :: v_dual_mov_b32 v15, 0
	;;#ASMSTART
	v_cvt_f32_f16 v45, v6;
	;;#ASMEND
	;;#ASMSTART
	v_cvt_f32_f16 v46, v1;
	;;#ASMEND
	global_load_b64 v[16:17], v[12:13], off offset:256
	v_mov_b32_e32 v1, 0
	global_load_b32 v14, v1, s[10:11]
	s_wait_loadcnt 0x1
	v_and_b32_e32 v6, 0xff, v16
	s_wait_xcnt 0x0
	s_delay_alu instid0(VALU_DEP_1)
	v_cmpx_ne_u16_e32 0, v6
	s_cbranch_execz .LBB264_370
; %bb.363:                              ;   in Loop: Header=BB264_296 Depth=1
	v_mov_b32_e32 v15, 0x8000
	s_mov_b32 s15, exec_lo
	v_cmpx_ne_u16_e32 0x80, v6
	s_cbranch_execz .LBB264_369
; %bb.364:                              ;   in Loop: Header=BB264_296 Depth=1
	v_and_b32_e32 v18, 0x7f, v16
	v_mov_b32_e32 v15, 0x7c01
	s_mov_b32 s16, exec_lo
	s_delay_alu instid0(VALU_DEP_2)
	v_cmpx_ne_u32_e32 0x7f, v18
	s_cbranch_execz .LBB264_368
; %bb.365:                              ;   in Loop: Header=BB264_296 Depth=1
	v_dual_lshrrev_b32 v15, 3, v18 :: v_dual_bitop2_b32 v6, 7, v16 bitop3:0x40
	s_mov_b32 s17, exec_lo
	v_cmpx_gt_u32_e32 8, v18
; %bb.366:                              ;   in Loop: Header=BB264_296 Depth=1
	s_delay_alu instid0(VALU_DEP_2) | instskip(NEXT) | instid1(VALU_DEP_1)
	v_clz_i32_u32_e32 v6, v6
	v_min_u32_e32 v6, 32, v6
	s_delay_alu instid0(VALU_DEP_1) | instskip(NEXT) | instid1(VALU_DEP_1)
	v_subrev_nc_u32_e32 v15, 28, v6
	v_lshlrev_b64_e32 v[18:19], v15, v[16:17]
	v_sub_nc_u32_e32 v15, 29, v6
	s_delay_alu instid0(VALU_DEP_2)
	v_and_b32_e32 v6, 7, v18
; %bb.367:                              ;   in Loop: Header=BB264_296 Depth=1
	s_or_b32 exec_lo, exec_lo, s17
	s_delay_alu instid0(VALU_DEP_1) | instskip(NEXT) | instid1(VALU_DEP_3)
	v_dual_lshlrev_b32 v18, 8, v16 :: v_dual_lshlrev_b32 v6, 7, v6
	v_lshl_add_u32 v15, v15, 10, 0x2000
	s_delay_alu instid0(VALU_DEP_2) | instskip(NEXT) | instid1(VALU_DEP_2)
	v_and_b32_e32 v18, 0x8000, v18
	v_and_b32_e32 v15, 0xfc00, v15
	s_delay_alu instid0(VALU_DEP_1)
	v_or3_b32 v15, v18, v15, v6
.LBB264_368:                            ;   in Loop: Header=BB264_296 Depth=1
	s_or_b32 exec_lo, exec_lo, s16
.LBB264_369:                            ;   in Loop: Header=BB264_296 Depth=1
	s_delay_alu instid0(SALU_CYCLE_1)
	s_or_b32 exec_lo, exec_lo, s15
.LBB264_370:                            ;   in Loop: Header=BB264_296 Depth=1
	s_delay_alu instid0(SALU_CYCLE_1) | instskip(SKIP_2) | instid1(VALU_DEP_1)
	s_or_b32 exec_lo, exec_lo, s14
	v_lshrrev_b16 v6, 8, v16
	s_mov_b32 s14, exec_lo
	v_cmpx_ne_u16_e32 0, v6
	s_cbranch_execz .LBB264_378
; %bb.371:                              ;   in Loop: Header=BB264_296 Depth=1
	v_bfrev_b32_e32 v1, 1
	s_mov_b32 s15, exec_lo
	v_cmpx_ne_u16_e32 0x80, v6
	s_cbranch_execz .LBB264_377
; %bb.372:                              ;   in Loop: Header=BB264_296 Depth=1
	v_and_b32_e32 v18, 0xffff, v6
	v_mov_b32_e32 v1, 0x7c010000
	s_mov_b32 s16, exec_lo
	s_delay_alu instid0(VALU_DEP_2) | instskip(NEXT) | instid1(VALU_DEP_1)
	v_and_b32_e32 v20, 0x7f, v18
	v_cmpx_ne_u32_e32 0x7f, v20
	s_cbranch_execz .LBB264_376
; %bb.373:                              ;   in Loop: Header=BB264_296 Depth=1
	v_dual_lshrrev_b32 v19, 3, v20 :: v_dual_bitop2_b32 v1, 7, v18 bitop3:0x40
	s_mov_b32 s17, exec_lo
	v_cmpx_gt_u32_e32 8, v20
; %bb.374:                              ;   in Loop: Header=BB264_296 Depth=1
	s_delay_alu instid0(VALU_DEP_2) | instskip(NEXT) | instid1(VALU_DEP_1)
	v_clz_i32_u32_e32 v1, v1
	v_min_u32_e32 v1, 32, v1
	s_delay_alu instid0(VALU_DEP_1) | instskip(NEXT) | instid1(VALU_DEP_1)
	v_subrev_nc_u32_e32 v19, 28, v1
	v_lshlrev_b64_e32 v[20:21], v19, v[6:7]
	s_delay_alu instid0(VALU_DEP_1)
	v_dual_sub_nc_u32 v19, 29, v1 :: v_dual_bitop2_b32 v1, 7, v20 bitop3:0x40
; %bb.375:                              ;   in Loop: Header=BB264_296 Depth=1
	s_or_b32 exec_lo, exec_lo, s17
	s_delay_alu instid0(VALU_DEP_1) | instskip(NEXT) | instid1(VALU_DEP_2)
	v_dual_lshlrev_b32 v6, 8, v18 :: v_dual_lshlrev_b32 v1, 23, v1
	v_lshl_add_u32 v18, v19, 10, 0x2000
	s_delay_alu instid0(VALU_DEP_1) | instskip(NEXT) | instid1(VALU_DEP_1)
	v_and_or_b32 v6, 0x8000, v6, v18
	v_lshl_or_b32 v1, v6, 16, v1
.LBB264_376:                            ;   in Loop: Header=BB264_296 Depth=1
	s_or_b32 exec_lo, exec_lo, s16
.LBB264_377:                            ;   in Loop: Header=BB264_296 Depth=1
	s_delay_alu instid0(SALU_CYCLE_1)
	s_or_b32 exec_lo, exec_lo, s15
.LBB264_378:                            ;   in Loop: Header=BB264_296 Depth=1
	s_delay_alu instid0(SALU_CYCLE_1) | instskip(SKIP_3) | instid1(VALU_DEP_2)
	s_or_b32 exec_lo, exec_lo, s14
	v_dual_lshrrev_b32 v6, 16, v16 :: v_dual_mov_b32 v18, 0
	v_mov_b32_e32 v19, 0
	s_mov_b32 s14, exec_lo
	v_and_b32_e32 v20, 0xff, v6
	s_delay_alu instid0(VALU_DEP_1)
	v_cmpx_ne_u16_e32 0, v20
	s_cbranch_execz .LBB264_386
; %bb.379:                              ;   in Loop: Header=BB264_296 Depth=1
	v_mov_b32_e32 v19, 0x8000
	s_mov_b32 s15, exec_lo
	v_cmpx_ne_u16_e32 0x80, v20
	s_cbranch_execz .LBB264_385
; %bb.380:                              ;   in Loop: Header=BB264_296 Depth=1
	v_bfe_u32 v21, v16, 16, 7
	v_mov_b32_e32 v19, 0x7c01
	s_mov_b32 s16, exec_lo
	s_delay_alu instid0(VALU_DEP_2)
	v_cmpx_ne_u32_e32 0x7f, v21
	s_cbranch_execz .LBB264_384
; %bb.381:                              ;   in Loop: Header=BB264_296 Depth=1
	v_dual_lshrrev_b32 v20, 3, v21 :: v_dual_bitop2_b32 v19, 7, v6 bitop3:0x40
	s_mov_b32 s17, exec_lo
	v_cmpx_gt_u32_e32 8, v21
; %bb.382:                              ;   in Loop: Header=BB264_296 Depth=1
	s_delay_alu instid0(VALU_DEP_2) | instskip(NEXT) | instid1(VALU_DEP_1)
	v_clz_i32_u32_e32 v19, v19
	v_min_u32_e32 v19, 32, v19
	s_delay_alu instid0(VALU_DEP_1) | instskip(NEXT) | instid1(VALU_DEP_1)
	v_subrev_nc_u32_e32 v20, 28, v19
	v_lshlrev_b64_e32 v[22:23], v20, v[6:7]
	s_delay_alu instid0(VALU_DEP_1)
	v_dual_sub_nc_u32 v20, 29, v19 :: v_dual_bitop2_b32 v19, 7, v22 bitop3:0x40
; %bb.383:                              ;   in Loop: Header=BB264_296 Depth=1
	s_or_b32 exec_lo, exec_lo, s17
	s_delay_alu instid0(VALU_DEP_1) | instskip(NEXT) | instid1(VALU_DEP_2)
	v_dual_lshlrev_b32 v6, 8, v6 :: v_dual_lshlrev_b32 v19, 7, v19
	v_lshl_add_u32 v20, v20, 10, 0x2000
	s_delay_alu instid0(VALU_DEP_2) | instskip(NEXT) | instid1(VALU_DEP_2)
	v_and_b32_e32 v6, 0x8000, v6
	v_and_b32_e32 v20, 0xfc00, v20
	s_delay_alu instid0(VALU_DEP_1)
	v_or3_b32 v19, v6, v20, v19
.LBB264_384:                            ;   in Loop: Header=BB264_296 Depth=1
	s_or_b32 exec_lo, exec_lo, s16
.LBB264_385:                            ;   in Loop: Header=BB264_296 Depth=1
	s_delay_alu instid0(SALU_CYCLE_1)
	s_or_b32 exec_lo, exec_lo, s15
.LBB264_386:                            ;   in Loop: Header=BB264_296 Depth=1
	s_delay_alu instid0(SALU_CYCLE_1) | instskip(NEXT) | instid1(SALU_CYCLE_1)
	s_or_b32 exec_lo, exec_lo, s14
	s_mov_b32 s14, exec_lo
	v_cmpx_lt_u32_e32 0xffffff, v16
	s_cbranch_execz .LBB264_394
; %bb.387:                              ;   in Loop: Header=BB264_296 Depth=1
	v_lshrrev_b32_e32 v6, 24, v16
	v_bfrev_b32_e32 v18, 1
	s_mov_b32 s15, exec_lo
	s_delay_alu instid0(VALU_DEP_2)
	v_cmpx_ne_u32_e32 0x80, v6
	s_cbranch_execz .LBB264_393
; %bb.388:                              ;   in Loop: Header=BB264_296 Depth=1
	v_and_b32_e32 v21, 0x7f, v6
	v_mov_b32_e32 v18, 0x7c010000
	s_mov_b32 s16, exec_lo
	s_delay_alu instid0(VALU_DEP_2)
	v_cmpx_ne_u32_e32 0x7f, v21
	s_cbranch_execz .LBB264_392
; %bb.389:                              ;   in Loop: Header=BB264_296 Depth=1
	v_dual_lshrrev_b32 v20, 3, v21 :: v_dual_bitop2_b32 v18, 7, v6 bitop3:0x40
	s_mov_b32 s17, exec_lo
	v_cmpx_gt_u32_e32 8, v21
; %bb.390:                              ;   in Loop: Header=BB264_296 Depth=1
	s_delay_alu instid0(VALU_DEP_2) | instskip(NEXT) | instid1(VALU_DEP_1)
	v_clz_i32_u32_e32 v18, v18
	v_min_u32_e32 v18, 32, v18
	s_delay_alu instid0(VALU_DEP_1) | instskip(NEXT) | instid1(VALU_DEP_1)
	v_subrev_nc_u32_e32 v20, 28, v18
	v_lshlrev_b64_e32 v[22:23], v20, v[6:7]
	v_sub_nc_u32_e32 v20, 29, v18
	s_delay_alu instid0(VALU_DEP_2)
	v_and_b32_e32 v18, 7, v22
; %bb.391:                              ;   in Loop: Header=BB264_296 Depth=1
	s_or_b32 exec_lo, exec_lo, s17
	v_lshlrev_b32_e32 v6, 8, v6
	s_delay_alu instid0(VALU_DEP_3) | instskip(NEXT) | instid1(VALU_DEP_3)
	v_lshl_add_u32 v20, v20, 10, 0x2000
	v_lshlrev_b32_e32 v18, 23, v18
	s_delay_alu instid0(VALU_DEP_2) | instskip(NEXT) | instid1(VALU_DEP_1)
	v_and_or_b32 v6, 0x8000, v6, v20
	v_lshl_or_b32 v18, v6, 16, v18
.LBB264_392:                            ;   in Loop: Header=BB264_296 Depth=1
	s_or_b32 exec_lo, exec_lo, s16
.LBB264_393:                            ;   in Loop: Header=BB264_296 Depth=1
	s_delay_alu instid0(SALU_CYCLE_1)
	s_or_b32 exec_lo, exec_lo, s15
.LBB264_394:                            ;   in Loop: Header=BB264_296 Depth=1
	s_delay_alu instid0(SALU_CYCLE_1) | instskip(SKIP_4) | instid1(VALU_DEP_3)
	s_or_b32 exec_lo, exec_lo, s14
	v_and_b32_e32 v22, 0xff, v17
	v_dual_mov_b32 v6, v17 :: v_dual_mov_b32 v21, 0
	v_mov_b32_e32 v20, 0
	s_mov_b32 s14, exec_lo
	v_cmpx_ne_u16_e32 0, v22
	s_cbranch_execz .LBB264_402
; %bb.395:                              ;   in Loop: Header=BB264_296 Depth=1
	v_mov_b32_e32 v20, 0x8000
	s_mov_b32 s15, exec_lo
	v_cmpx_ne_u16_e32 0x80, v22
	s_cbranch_execz .LBB264_401
; %bb.396:                              ;   in Loop: Header=BB264_296 Depth=1
	v_and_b32_e32 v23, 0x7f, v17
	v_mov_b32_e32 v20, 0x7c01
	s_mov_b32 s16, exec_lo
	s_delay_alu instid0(VALU_DEP_2)
	v_cmpx_ne_u32_e32 0x7f, v23
	s_cbranch_execz .LBB264_400
; %bb.397:                              ;   in Loop: Header=BB264_296 Depth=1
	v_dual_lshrrev_b32 v22, 3, v23 :: v_dual_bitop2_b32 v20, 7, v17 bitop3:0x40
	s_mov_b32 s17, exec_lo
	v_cmpx_gt_u32_e32 8, v23
; %bb.398:                              ;   in Loop: Header=BB264_296 Depth=1
	s_delay_alu instid0(VALU_DEP_2) | instskip(NEXT) | instid1(VALU_DEP_1)
	v_clz_i32_u32_e32 v20, v20
	v_min_u32_e32 v20, 32, v20
	s_delay_alu instid0(VALU_DEP_1) | instskip(NEXT) | instid1(VALU_DEP_1)
	v_subrev_nc_u32_e32 v22, 28, v20
	v_lshlrev_b64_e32 v[48:49], v22, v[6:7]
	v_sub_nc_u32_e32 v22, 29, v20
	s_delay_alu instid0(VALU_DEP_2)
	v_and_b32_e32 v20, 7, v48
; %bb.399:                              ;   in Loop: Header=BB264_296 Depth=1
	s_or_b32 exec_lo, exec_lo, s17
	s_delay_alu instid0(VALU_DEP_1) | instskip(NEXT) | instid1(VALU_DEP_3)
	v_dual_lshlrev_b32 v23, 8, v17 :: v_dual_lshlrev_b32 v20, 7, v20
	v_lshl_add_u32 v22, v22, 10, 0x2000
	s_delay_alu instid0(VALU_DEP_2) | instskip(NEXT) | instid1(VALU_DEP_2)
	v_and_b32_e32 v23, 0x8000, v23
	v_and_b32_e32 v22, 0xfc00, v22
	s_delay_alu instid0(VALU_DEP_1)
	v_or3_b32 v20, v23, v22, v20
.LBB264_400:                            ;   in Loop: Header=BB264_296 Depth=1
	s_or_b32 exec_lo, exec_lo, s16
.LBB264_401:                            ;   in Loop: Header=BB264_296 Depth=1
	s_delay_alu instid0(SALU_CYCLE_1)
	s_or_b32 exec_lo, exec_lo, s15
.LBB264_402:                            ;   in Loop: Header=BB264_296 Depth=1
	s_delay_alu instid0(SALU_CYCLE_1) | instskip(SKIP_3) | instid1(VALU_DEP_2)
	s_or_b32 exec_lo, exec_lo, s14
	v_lshrrev_b16 v6, 8, v6
	v_mov_b32_e32 v22, 0
	s_mov_b32 s14, exec_lo
	v_cmpx_ne_u16_e32 0, v6
	s_cbranch_execz .LBB264_410
; %bb.403:                              ;   in Loop: Header=BB264_296 Depth=1
	v_bfrev_b32_e32 v22, 1
	s_mov_b32 s15, exec_lo
	v_cmpx_ne_u16_e32 0x80, v6
	s_cbranch_execz .LBB264_409
; %bb.404:                              ;   in Loop: Header=BB264_296 Depth=1
	v_and_b32_e32 v23, 0xffff, v6
	v_mov_b32_e32 v22, 0x7c010000
	s_mov_b32 s16, exec_lo
	s_delay_alu instid0(VALU_DEP_2) | instskip(NEXT) | instid1(VALU_DEP_1)
	v_and_b32_e32 v40, 0x7f, v23
	v_cmpx_ne_u32_e32 0x7f, v40
	s_cbranch_execz .LBB264_408
; %bb.405:                              ;   in Loop: Header=BB264_296 Depth=1
	v_dual_lshrrev_b32 v39, 3, v40 :: v_dual_bitop2_b32 v22, 7, v23 bitop3:0x40
	s_mov_b32 s17, exec_lo
	v_cmpx_gt_u32_e32 8, v40
; %bb.406:                              ;   in Loop: Header=BB264_296 Depth=1
	s_delay_alu instid0(VALU_DEP_2) | instskip(NEXT) | instid1(VALU_DEP_1)
	v_clz_i32_u32_e32 v22, v22
	v_min_u32_e32 v22, 32, v22
	s_delay_alu instid0(VALU_DEP_1) | instskip(NEXT) | instid1(VALU_DEP_1)
	v_subrev_nc_u32_e32 v39, 28, v22
	v_lshlrev_b64_e32 v[48:49], v39, v[6:7]
	s_delay_alu instid0(VALU_DEP_1)
	v_dual_sub_nc_u32 v39, 29, v22 :: v_dual_bitop2_b32 v22, 7, v48 bitop3:0x40
; %bb.407:                              ;   in Loop: Header=BB264_296 Depth=1
	s_or_b32 exec_lo, exec_lo, s17
	s_delay_alu instid0(VALU_DEP_1) | instskip(NEXT) | instid1(VALU_DEP_2)
	v_dual_lshlrev_b32 v6, 8, v23 :: v_dual_lshlrev_b32 v22, 23, v22
	v_lshl_add_u32 v23, v39, 10, 0x2000
	s_delay_alu instid0(VALU_DEP_1) | instskip(NEXT) | instid1(VALU_DEP_1)
	v_and_or_b32 v6, 0x8000, v6, v23
	v_lshl_or_b32 v22, v6, 16, v22
.LBB264_408:                            ;   in Loop: Header=BB264_296 Depth=1
	s_or_b32 exec_lo, exec_lo, s16
.LBB264_409:                            ;   in Loop: Header=BB264_296 Depth=1
	s_delay_alu instid0(SALU_CYCLE_1)
	s_or_b32 exec_lo, exec_lo, s15
.LBB264_410:                            ;   in Loop: Header=BB264_296 Depth=1
	s_delay_alu instid0(SALU_CYCLE_1) | instskip(SKIP_2) | instid1(VALU_DEP_1)
	s_or_b32 exec_lo, exec_lo, s14
	v_lshrrev_b32_e32 v6, 16, v17
	s_mov_b32 s14, exec_lo
	v_and_b32_e32 v23, 0xff, v6
	s_delay_alu instid0(VALU_DEP_1)
	v_cmpx_ne_u16_e32 0, v23
	s_cbranch_execz .LBB264_418
; %bb.411:                              ;   in Loop: Header=BB264_296 Depth=1
	v_mov_b32_e32 v21, 0x8000
	s_mov_b32 s15, exec_lo
	v_cmpx_ne_u16_e32 0x80, v23
	s_cbranch_execz .LBB264_417
; %bb.412:                              ;   in Loop: Header=BB264_296 Depth=1
	v_bfe_u32 v39, v17, 16, 7
	v_mov_b32_e32 v21, 0x7c01
	s_mov_b32 s16, exec_lo
	s_delay_alu instid0(VALU_DEP_2)
	v_cmpx_ne_u32_e32 0x7f, v39
	s_cbranch_execz .LBB264_416
; %bb.413:                              ;   in Loop: Header=BB264_296 Depth=1
	v_dual_lshrrev_b32 v23, 3, v39 :: v_dual_bitop2_b32 v21, 7, v6 bitop3:0x40
	s_mov_b32 s17, exec_lo
	v_cmpx_gt_u32_e32 8, v39
; %bb.414:                              ;   in Loop: Header=BB264_296 Depth=1
	s_delay_alu instid0(VALU_DEP_2) | instskip(NEXT) | instid1(VALU_DEP_1)
	v_clz_i32_u32_e32 v21, v21
	v_min_u32_e32 v21, 32, v21
	s_delay_alu instid0(VALU_DEP_1) | instskip(NEXT) | instid1(VALU_DEP_1)
	v_subrev_nc_u32_e32 v23, 28, v21
	v_lshlrev_b64_e32 v[48:49], v23, v[6:7]
	s_delay_alu instid0(VALU_DEP_1)
	v_dual_sub_nc_u32 v23, 29, v21 :: v_dual_bitop2_b32 v21, 7, v48 bitop3:0x40
; %bb.415:                              ;   in Loop: Header=BB264_296 Depth=1
	s_or_b32 exec_lo, exec_lo, s17
	s_delay_alu instid0(VALU_DEP_1) | instskip(NEXT) | instid1(VALU_DEP_2)
	v_dual_lshlrev_b32 v6, 8, v6 :: v_dual_lshlrev_b32 v21, 7, v21
	v_lshl_add_u32 v23, v23, 10, 0x2000
	s_delay_alu instid0(VALU_DEP_2) | instskip(NEXT) | instid1(VALU_DEP_2)
	v_and_b32_e32 v6, 0x8000, v6
	v_and_b32_e32 v23, 0xfc00, v23
	s_delay_alu instid0(VALU_DEP_1)
	v_or3_b32 v21, v6, v23, v21
.LBB264_416:                            ;   in Loop: Header=BB264_296 Depth=1
	s_or_b32 exec_lo, exec_lo, s16
.LBB264_417:                            ;   in Loop: Header=BB264_296 Depth=1
	s_delay_alu instid0(SALU_CYCLE_1)
	s_or_b32 exec_lo, exec_lo, s15
.LBB264_418:                            ;   in Loop: Header=BB264_296 Depth=1
	s_delay_alu instid0(SALU_CYCLE_1)
	s_or_b32 exec_lo, exec_lo, s14
	v_cmp_lt_u64_e64 s0, s[2:3], v[16:17]
	v_mov_b32_e32 v16, 0
	s_and_saveexec_b32 s14, s0
	s_cbranch_execz .LBB264_426
; %bb.419:                              ;   in Loop: Header=BB264_296 Depth=1
	v_lshrrev_b32_e32 v6, 24, v17
	v_bfrev_b32_e32 v16, 1
	s_mov_b32 s15, exec_lo
	s_delay_alu instid0(VALU_DEP_2)
	v_cmpx_ne_u32_e32 0x80, v6
	s_cbranch_execz .LBB264_425
; %bb.420:                              ;   in Loop: Header=BB264_296 Depth=1
	v_and_b32_e32 v23, 0x7f, v6
	v_mov_b32_e32 v16, 0x7c010000
	s_mov_b32 s16, exec_lo
	s_delay_alu instid0(VALU_DEP_2)
	v_cmpx_ne_u32_e32 0x7f, v23
	s_cbranch_execz .LBB264_424
; %bb.421:                              ;   in Loop: Header=BB264_296 Depth=1
	v_dual_lshrrev_b32 v17, 3, v23 :: v_dual_bitop2_b32 v16, 7, v6 bitop3:0x40
	s_mov_b32 s17, exec_lo
	v_cmpx_gt_u32_e32 8, v23
; %bb.422:                              ;   in Loop: Header=BB264_296 Depth=1
	s_delay_alu instid0(VALU_DEP_2) | instskip(NEXT) | instid1(VALU_DEP_1)
	v_clz_i32_u32_e32 v16, v16
	v_min_u32_e32 v23, 32, v16
	s_delay_alu instid0(VALU_DEP_1) | instskip(NEXT) | instid1(VALU_DEP_1)
	v_subrev_nc_u32_e32 v16, 28, v23
	v_lshlrev_b64_e32 v[16:17], v16, v[6:7]
	s_delay_alu instid0(VALU_DEP_1)
	v_dual_sub_nc_u32 v17, 29, v23 :: v_dual_bitop2_b32 v16, 7, v16 bitop3:0x40
; %bb.423:                              ;   in Loop: Header=BB264_296 Depth=1
	s_or_b32 exec_lo, exec_lo, s17
	s_delay_alu instid0(VALU_DEP_1) | instskip(NEXT) | instid1(VALU_DEP_2)
	v_dual_lshlrev_b32 v6, 8, v6 :: v_dual_lshlrev_b32 v16, 23, v16
	v_lshl_add_u32 v17, v17, 10, 0x2000
	s_delay_alu instid0(VALU_DEP_1) | instskip(NEXT) | instid1(VALU_DEP_1)
	v_and_or_b32 v6, 0x8000, v6, v17
	v_lshl_or_b32 v16, v6, 16, v16
.LBB264_424:                            ;   in Loop: Header=BB264_296 Depth=1
	s_or_b32 exec_lo, exec_lo, s16
.LBB264_425:                            ;   in Loop: Header=BB264_296 Depth=1
	s_delay_alu instid0(SALU_CYCLE_1)
	s_or_b32 exec_lo, exec_lo, s15
.LBB264_426:                            ;   in Loop: Header=BB264_296 Depth=1
	s_delay_alu instid0(SALU_CYCLE_1) | instskip(SKIP_3) | instid1(VALU_DEP_3)
	s_or_b32 exec_lo, exec_lo, s14
	v_dual_lshrrev_b32 v6, 16, v1 :: v_dual_lshrrev_b32 v17, 16, v18
	v_or_b32_e32 v1, v1, v15
	v_dual_lshrrev_b32 v23, 16, v16 :: v_dual_bitop2_b32 v15, v18, v19 bitop3:0x54
	v_cvt_f32_f16_e32 v19, v6
	s_delay_alu instid0(VALU_DEP_4) | instskip(SKIP_1) | instid1(VALU_DEP_4)
	v_cvt_f32_f16_e32 v18, v17
	v_dual_lshrrev_b32 v21, 16, v22 :: v_dual_bitop2_b32 v6, v16, v21 bitop3:0x54
	v_cvt_f32_f16_e32 v16, v15
	v_cvt_f32_f16_e32 v17, v1
	s_wait_loadcnt 0x0
	v_pk_mul_f32 v[18:19], v[14:15], v[18:19] op_sel_hi:[0,1]
	v_cvt_f32_f16_e32 v21, v21
	s_delay_alu instid0(VALU_DEP_2) | instskip(SKIP_3) | instid1(VALU_DEP_3)
	v_cvt_pk_f16_f32 v1, v18, v19
	v_or_b32_e32 v15, v22, v20
	v_cvt_f32_f16_e32 v20, v23
	v_cvt_f32_f16_e32 v22, v6
	v_pk_mul_f32 v[16:17], v[14:15], v[16:17] op_sel_hi:[0,1]
	s_delay_alu instid0(VALU_DEP_1) | instskip(SKIP_4) | instid1(VALU_DEP_3)
	v_cvt_pk_f16_f32 v6, v16, v17
	v_lshlrev_b32_e32 v16, 16, v1
	v_cvt_f32_f16_e32 v23, v15
	v_pk_mul_f32 v[18:19], v[14:15], v[20:21] op_sel_hi:[0,1]
	v_and_b32_e32 v17, 0xffff0000, v1
	v_pk_mul_f32 v[14:15], v[14:15], v[22:23] op_sel_hi:[0,1]
	s_delay_alu instid0(VALU_DEP_3) | instskip(SKIP_1) | instid1(VALU_DEP_3)
	v_cvt_pk_f16_f32 v18, v18, v19
	v_and_b32_e32 v22, 0xffff, v6
	v_cvt_pk_f16_f32 v14, v14, v15
	s_delay_alu instid0(VALU_DEP_3) | instskip(NEXT) | instid1(VALU_DEP_3)
	v_and_b32_e32 v1, 0xffff0000, v18
	v_or_b32_e32 v20, v16, v22
	s_delay_alu instid0(VALU_DEP_3) | instskip(SKIP_2) | instid1(VALU_DEP_3)
	v_lshrrev_b32_e32 v15, 16, v14
	v_lshrrev_b32_e32 v23, 16, v6
	v_and_b32_e32 v14, 0xffff, v14
	v_dual_lshlrev_b32 v6, 16, v18 :: v_dual_bitop2_b32 v19, v1, v15 bitop3:0x54
	s_delay_alu instid0(VALU_DEP_3) | instskip(NEXT) | instid1(VALU_DEP_2)
	v_or_b32_e32 v21, v17, v23
	v_or_b32_e32 v18, v6, v14
	s_and_saveexec_b32 s14, vcc_lo
	s_cbranch_execz .LBB264_428
; %bb.427:                              ;   in Loop: Header=BB264_296 Depth=1
	v_cmp_gt_i32_e64 s0, s9, v29
	s_delay_alu instid0(VALU_DEP_1) | instskip(SKIP_1) | instid1(VALU_DEP_1)
	v_cndmask_b32_e64 v18, 0, v23, s0
	v_cmp_gt_i32_e64 s0, s23, v38
	v_cndmask_b32_e64 v19, 0, v22, s0
	v_cmp_gt_i32_e64 s0, s9, v37
	s_delay_alu instid0(VALU_DEP_1) | instskip(SKIP_1) | instid1(VALU_DEP_1)
	v_cndmask_b32_e64 v17, 0, v17, s0
	v_cmp_gt_i32_e64 s0, s23, v36
	v_cndmask_b32_e64 v16, 0, v16, s0
	v_cmp_gt_i32_e64 s0, s9, v35
	s_delay_alu instid0(VALU_DEP_4) | instskip(NEXT) | instid1(VALU_DEP_3)
	v_or_b32_e32 v21, v17, v18
	v_or_b32_e32 v20, v16, v19
	s_delay_alu instid0(VALU_DEP_3) | instskip(SKIP_1) | instid1(VALU_DEP_1)
	v_cndmask_b32_e64 v15, 0, v15, s0
	v_cmp_gt_i32_e64 s0, s23, v34
	v_cndmask_b32_e64 v14, 0, v14, s0
	v_cmp_gt_i32_e64 s0, s9, v33
	s_delay_alu instid0(VALU_DEP_1) | instskip(SKIP_1) | instid1(VALU_DEP_1)
	v_cndmask_b32_e64 v1, 0, v1, s0
	v_cmp_gt_i32_e64 s0, s23, v32
	v_dual_cndmask_b32 v6, 0, v6, s0 :: v_dual_bitop2_b32 v19, v1, v15 bitop3:0x54
	s_delay_alu instid0(VALU_DEP_1)
	v_or_b32_e32 v18, v6, v14
.LBB264_428:                            ;   in Loop: Header=BB264_296 Depth=1
	s_or_b32 exec_lo, exec_lo, s14
	;;#ASMSTART
	v_pk_mul_f16 v1, v44, v21;

	;;#ASMEND
	;;#ASMSTART
	v_pk_mul_f16 v6, v43, v20;

	;;#ASMEND
	;; [unrolled: 4-line block ×4, first 2 shown]
	;;#ASMSTART
	v_pk_add_f16 v1, v1, v6;

	;;#ASMEND
	;;#ASMSTART
	v_pk_add_f16 v1, v1, v14;

	;;#ASMEND
	;; [unrolled: 4-line block ×3, first 2 shown]
	v_and_b32_e32 v6, 0xffff, v1
	v_dual_lshrrev_b32 v1, 16, v1 :: v_dual_mov_b32 v15, 0
	;;#ASMSTART
	v_cvt_f32_f16 v47, v6;
	;;#ASMEND
	;;#ASMSTART
	v_cvt_f32_f16 v48, v1;
	;;#ASMEND
	global_load_b64 v[16:17], v[12:13], off offset:512
	v_mov_b32_e32 v1, 0
	s_mov_b32 s14, exec_lo
	global_load_b32 v14, v1, s[10:11]
	s_wait_loadcnt 0x1
	v_and_b32_e32 v6, 0xff, v16
	s_wait_xcnt 0x0
	s_delay_alu instid0(VALU_DEP_1)
	v_cmpx_ne_u16_e32 0, v6
	s_cbranch_execz .LBB264_436
; %bb.429:                              ;   in Loop: Header=BB264_296 Depth=1
	v_mov_b32_e32 v15, 0x8000
	s_mov_b32 s15, exec_lo
	v_cmpx_ne_u16_e32 0x80, v6
	s_cbranch_execz .LBB264_435
; %bb.430:                              ;   in Loop: Header=BB264_296 Depth=1
	v_and_b32_e32 v18, 0x7f, v16
	v_mov_b32_e32 v15, 0x7c01
	s_mov_b32 s16, exec_lo
	s_delay_alu instid0(VALU_DEP_2)
	v_cmpx_ne_u32_e32 0x7f, v18
	s_cbranch_execz .LBB264_434
; %bb.431:                              ;   in Loop: Header=BB264_296 Depth=1
	v_dual_lshrrev_b32 v15, 3, v18 :: v_dual_bitop2_b32 v6, 7, v16 bitop3:0x40
	s_mov_b32 s17, exec_lo
	v_cmpx_gt_u32_e32 8, v18
; %bb.432:                              ;   in Loop: Header=BB264_296 Depth=1
	s_delay_alu instid0(VALU_DEP_2) | instskip(NEXT) | instid1(VALU_DEP_1)
	v_clz_i32_u32_e32 v6, v6
	v_min_u32_e32 v6, 32, v6
	s_delay_alu instid0(VALU_DEP_1) | instskip(NEXT) | instid1(VALU_DEP_1)
	v_subrev_nc_u32_e32 v15, 28, v6
	v_lshlrev_b64_e32 v[18:19], v15, v[16:17]
	v_sub_nc_u32_e32 v15, 29, v6
	s_delay_alu instid0(VALU_DEP_2)
	v_and_b32_e32 v6, 7, v18
; %bb.433:                              ;   in Loop: Header=BB264_296 Depth=1
	s_or_b32 exec_lo, exec_lo, s17
	s_delay_alu instid0(VALU_DEP_1) | instskip(NEXT) | instid1(VALU_DEP_3)
	v_dual_lshlrev_b32 v18, 8, v16 :: v_dual_lshlrev_b32 v6, 7, v6
	v_lshl_add_u32 v15, v15, 10, 0x2000
	s_delay_alu instid0(VALU_DEP_2) | instskip(NEXT) | instid1(VALU_DEP_2)
	v_and_b32_e32 v18, 0x8000, v18
	v_and_b32_e32 v15, 0xfc00, v15
	s_delay_alu instid0(VALU_DEP_1)
	v_or3_b32 v15, v18, v15, v6
.LBB264_434:                            ;   in Loop: Header=BB264_296 Depth=1
	s_or_b32 exec_lo, exec_lo, s16
.LBB264_435:                            ;   in Loop: Header=BB264_296 Depth=1
	s_delay_alu instid0(SALU_CYCLE_1)
	s_or_b32 exec_lo, exec_lo, s15
.LBB264_436:                            ;   in Loop: Header=BB264_296 Depth=1
	s_delay_alu instid0(SALU_CYCLE_1) | instskip(SKIP_2) | instid1(VALU_DEP_1)
	s_or_b32 exec_lo, exec_lo, s14
	v_lshrrev_b16 v6, 8, v16
	s_mov_b32 s14, exec_lo
	v_cmpx_ne_u16_e32 0, v6
	s_cbranch_execz .LBB264_444
; %bb.437:                              ;   in Loop: Header=BB264_296 Depth=1
	v_bfrev_b32_e32 v1, 1
	s_mov_b32 s15, exec_lo
	v_cmpx_ne_u16_e32 0x80, v6
	s_cbranch_execz .LBB264_443
; %bb.438:                              ;   in Loop: Header=BB264_296 Depth=1
	v_and_b32_e32 v18, 0xffff, v6
	v_mov_b32_e32 v1, 0x7c010000
	s_mov_b32 s16, exec_lo
	s_delay_alu instid0(VALU_DEP_2) | instskip(NEXT) | instid1(VALU_DEP_1)
	v_and_b32_e32 v20, 0x7f, v18
	v_cmpx_ne_u32_e32 0x7f, v20
	s_cbranch_execz .LBB264_442
; %bb.439:                              ;   in Loop: Header=BB264_296 Depth=1
	v_dual_lshrrev_b32 v19, 3, v20 :: v_dual_bitop2_b32 v1, 7, v18 bitop3:0x40
	s_mov_b32 s17, exec_lo
	v_cmpx_gt_u32_e32 8, v20
; %bb.440:                              ;   in Loop: Header=BB264_296 Depth=1
	s_delay_alu instid0(VALU_DEP_2) | instskip(NEXT) | instid1(VALU_DEP_1)
	v_clz_i32_u32_e32 v1, v1
	v_min_u32_e32 v1, 32, v1
	s_delay_alu instid0(VALU_DEP_1) | instskip(NEXT) | instid1(VALU_DEP_1)
	v_subrev_nc_u32_e32 v19, 28, v1
	v_lshlrev_b64_e32 v[20:21], v19, v[6:7]
	s_delay_alu instid0(VALU_DEP_1)
	v_dual_sub_nc_u32 v19, 29, v1 :: v_dual_bitop2_b32 v1, 7, v20 bitop3:0x40
; %bb.441:                              ;   in Loop: Header=BB264_296 Depth=1
	s_or_b32 exec_lo, exec_lo, s17
	s_delay_alu instid0(VALU_DEP_1) | instskip(NEXT) | instid1(VALU_DEP_2)
	v_dual_lshlrev_b32 v6, 8, v18 :: v_dual_lshlrev_b32 v1, 23, v1
	v_lshl_add_u32 v18, v19, 10, 0x2000
	s_delay_alu instid0(VALU_DEP_1) | instskip(NEXT) | instid1(VALU_DEP_1)
	v_and_or_b32 v6, 0x8000, v6, v18
	v_lshl_or_b32 v1, v6, 16, v1
.LBB264_442:                            ;   in Loop: Header=BB264_296 Depth=1
	s_or_b32 exec_lo, exec_lo, s16
.LBB264_443:                            ;   in Loop: Header=BB264_296 Depth=1
	s_delay_alu instid0(SALU_CYCLE_1)
	s_or_b32 exec_lo, exec_lo, s15
.LBB264_444:                            ;   in Loop: Header=BB264_296 Depth=1
	s_delay_alu instid0(SALU_CYCLE_1) | instskip(SKIP_3) | instid1(VALU_DEP_2)
	s_or_b32 exec_lo, exec_lo, s14
	v_dual_lshrrev_b32 v6, 16, v16 :: v_dual_mov_b32 v18, 0
	v_mov_b32_e32 v19, 0
	s_mov_b32 s14, exec_lo
	v_and_b32_e32 v20, 0xff, v6
	s_delay_alu instid0(VALU_DEP_1)
	v_cmpx_ne_u16_e32 0, v20
	s_cbranch_execz .LBB264_452
; %bb.445:                              ;   in Loop: Header=BB264_296 Depth=1
	v_mov_b32_e32 v19, 0x8000
	s_mov_b32 s15, exec_lo
	v_cmpx_ne_u16_e32 0x80, v20
	s_cbranch_execz .LBB264_451
; %bb.446:                              ;   in Loop: Header=BB264_296 Depth=1
	v_bfe_u32 v21, v16, 16, 7
	v_mov_b32_e32 v19, 0x7c01
	s_mov_b32 s16, exec_lo
	s_delay_alu instid0(VALU_DEP_2)
	v_cmpx_ne_u32_e32 0x7f, v21
	s_cbranch_execz .LBB264_450
; %bb.447:                              ;   in Loop: Header=BB264_296 Depth=1
	v_dual_lshrrev_b32 v20, 3, v21 :: v_dual_bitop2_b32 v19, 7, v6 bitop3:0x40
	s_mov_b32 s17, exec_lo
	v_cmpx_gt_u32_e32 8, v21
; %bb.448:                              ;   in Loop: Header=BB264_296 Depth=1
	s_delay_alu instid0(VALU_DEP_2) | instskip(NEXT) | instid1(VALU_DEP_1)
	v_clz_i32_u32_e32 v19, v19
	v_min_u32_e32 v19, 32, v19
	s_delay_alu instid0(VALU_DEP_1) | instskip(NEXT) | instid1(VALU_DEP_1)
	v_subrev_nc_u32_e32 v20, 28, v19
	v_lshlrev_b64_e32 v[22:23], v20, v[6:7]
	s_delay_alu instid0(VALU_DEP_1)
	v_dual_sub_nc_u32 v20, 29, v19 :: v_dual_bitop2_b32 v19, 7, v22 bitop3:0x40
; %bb.449:                              ;   in Loop: Header=BB264_296 Depth=1
	s_or_b32 exec_lo, exec_lo, s17
	s_delay_alu instid0(VALU_DEP_1) | instskip(NEXT) | instid1(VALU_DEP_2)
	v_dual_lshlrev_b32 v6, 8, v6 :: v_dual_lshlrev_b32 v19, 7, v19
	v_lshl_add_u32 v20, v20, 10, 0x2000
	s_delay_alu instid0(VALU_DEP_2) | instskip(NEXT) | instid1(VALU_DEP_2)
	v_and_b32_e32 v6, 0x8000, v6
	v_and_b32_e32 v20, 0xfc00, v20
	s_delay_alu instid0(VALU_DEP_1)
	v_or3_b32 v19, v6, v20, v19
.LBB264_450:                            ;   in Loop: Header=BB264_296 Depth=1
	s_or_b32 exec_lo, exec_lo, s16
.LBB264_451:                            ;   in Loop: Header=BB264_296 Depth=1
	s_delay_alu instid0(SALU_CYCLE_1)
	s_or_b32 exec_lo, exec_lo, s15
.LBB264_452:                            ;   in Loop: Header=BB264_296 Depth=1
	s_delay_alu instid0(SALU_CYCLE_1) | instskip(NEXT) | instid1(SALU_CYCLE_1)
	s_or_b32 exec_lo, exec_lo, s14
	s_mov_b32 s14, exec_lo
	v_cmpx_lt_u32_e32 0xffffff, v16
	s_cbranch_execz .LBB264_460
; %bb.453:                              ;   in Loop: Header=BB264_296 Depth=1
	v_lshrrev_b32_e32 v6, 24, v16
	v_bfrev_b32_e32 v18, 1
	s_mov_b32 s15, exec_lo
	s_delay_alu instid0(VALU_DEP_2)
	v_cmpx_ne_u32_e32 0x80, v6
	s_cbranch_execz .LBB264_459
; %bb.454:                              ;   in Loop: Header=BB264_296 Depth=1
	v_and_b32_e32 v21, 0x7f, v6
	v_mov_b32_e32 v18, 0x7c010000
	s_mov_b32 s16, exec_lo
	s_delay_alu instid0(VALU_DEP_2)
	v_cmpx_ne_u32_e32 0x7f, v21
	s_cbranch_execz .LBB264_458
; %bb.455:                              ;   in Loop: Header=BB264_296 Depth=1
	v_dual_lshrrev_b32 v20, 3, v21 :: v_dual_bitop2_b32 v18, 7, v6 bitop3:0x40
	s_mov_b32 s17, exec_lo
	v_cmpx_gt_u32_e32 8, v21
; %bb.456:                              ;   in Loop: Header=BB264_296 Depth=1
	s_delay_alu instid0(VALU_DEP_2) | instskip(NEXT) | instid1(VALU_DEP_1)
	v_clz_i32_u32_e32 v18, v18
	v_min_u32_e32 v18, 32, v18
	s_delay_alu instid0(VALU_DEP_1) | instskip(NEXT) | instid1(VALU_DEP_1)
	v_subrev_nc_u32_e32 v20, 28, v18
	v_lshlrev_b64_e32 v[22:23], v20, v[6:7]
	v_sub_nc_u32_e32 v20, 29, v18
	s_delay_alu instid0(VALU_DEP_2)
	v_and_b32_e32 v18, 7, v22
; %bb.457:                              ;   in Loop: Header=BB264_296 Depth=1
	s_or_b32 exec_lo, exec_lo, s17
	v_lshlrev_b32_e32 v6, 8, v6
	s_delay_alu instid0(VALU_DEP_3) | instskip(NEXT) | instid1(VALU_DEP_3)
	v_lshl_add_u32 v20, v20, 10, 0x2000
	v_lshlrev_b32_e32 v18, 23, v18
	s_delay_alu instid0(VALU_DEP_2) | instskip(NEXT) | instid1(VALU_DEP_1)
	v_and_or_b32 v6, 0x8000, v6, v20
	v_lshl_or_b32 v18, v6, 16, v18
.LBB264_458:                            ;   in Loop: Header=BB264_296 Depth=1
	s_or_b32 exec_lo, exec_lo, s16
.LBB264_459:                            ;   in Loop: Header=BB264_296 Depth=1
	s_delay_alu instid0(SALU_CYCLE_1)
	s_or_b32 exec_lo, exec_lo, s15
.LBB264_460:                            ;   in Loop: Header=BB264_296 Depth=1
	s_delay_alu instid0(SALU_CYCLE_1) | instskip(SKIP_4) | instid1(VALU_DEP_3)
	s_or_b32 exec_lo, exec_lo, s14
	v_and_b32_e32 v22, 0xff, v17
	v_dual_mov_b32 v6, v17 :: v_dual_mov_b32 v21, 0
	v_mov_b32_e32 v20, 0
	s_mov_b32 s14, exec_lo
	v_cmpx_ne_u16_e32 0, v22
	s_cbranch_execz .LBB264_468
; %bb.461:                              ;   in Loop: Header=BB264_296 Depth=1
	v_mov_b32_e32 v20, 0x8000
	s_mov_b32 s15, exec_lo
	v_cmpx_ne_u16_e32 0x80, v22
	s_cbranch_execz .LBB264_467
; %bb.462:                              ;   in Loop: Header=BB264_296 Depth=1
	v_and_b32_e32 v23, 0x7f, v17
	v_mov_b32_e32 v20, 0x7c01
	s_mov_b32 s16, exec_lo
	s_delay_alu instid0(VALU_DEP_2)
	v_cmpx_ne_u32_e32 0x7f, v23
	s_cbranch_execz .LBB264_466
; %bb.463:                              ;   in Loop: Header=BB264_296 Depth=1
	v_dual_lshrrev_b32 v22, 3, v23 :: v_dual_bitop2_b32 v20, 7, v17 bitop3:0x40
	s_mov_b32 s17, exec_lo
	v_cmpx_gt_u32_e32 8, v23
; %bb.464:                              ;   in Loop: Header=BB264_296 Depth=1
	s_delay_alu instid0(VALU_DEP_2) | instskip(NEXT) | instid1(VALU_DEP_1)
	v_clz_i32_u32_e32 v20, v20
	v_min_u32_e32 v20, 32, v20
	s_delay_alu instid0(VALU_DEP_1) | instskip(NEXT) | instid1(VALU_DEP_1)
	v_subrev_nc_u32_e32 v22, 28, v20
	v_lshlrev_b64_e32 v[50:51], v22, v[6:7]
	s_delay_alu instid0(VALU_DEP_1)
	v_dual_sub_nc_u32 v22, 29, v20 :: v_dual_bitop2_b32 v20, 7, v50 bitop3:0x40
; %bb.465:                              ;   in Loop: Header=BB264_296 Depth=1
	s_or_b32 exec_lo, exec_lo, s17
	s_delay_alu instid0(VALU_DEP_1) | instskip(NEXT) | instid1(VALU_DEP_2)
	v_dual_lshlrev_b32 v23, 8, v17 :: v_dual_lshlrev_b32 v20, 7, v20
	v_lshl_add_u32 v22, v22, 10, 0x2000
	s_delay_alu instid0(VALU_DEP_2) | instskip(NEXT) | instid1(VALU_DEP_2)
	v_and_b32_e32 v23, 0x8000, v23
	v_and_b32_e32 v22, 0xfc00, v22
	s_delay_alu instid0(VALU_DEP_1)
	v_or3_b32 v20, v23, v22, v20
.LBB264_466:                            ;   in Loop: Header=BB264_296 Depth=1
	s_or_b32 exec_lo, exec_lo, s16
.LBB264_467:                            ;   in Loop: Header=BB264_296 Depth=1
	s_delay_alu instid0(SALU_CYCLE_1)
	s_or_b32 exec_lo, exec_lo, s15
.LBB264_468:                            ;   in Loop: Header=BB264_296 Depth=1
	s_delay_alu instid0(SALU_CYCLE_1) | instskip(SKIP_3) | instid1(VALU_DEP_2)
	s_or_b32 exec_lo, exec_lo, s14
	v_lshrrev_b16 v6, 8, v6
	v_mov_b32_e32 v22, 0
	s_mov_b32 s14, exec_lo
	v_cmpx_ne_u16_e32 0, v6
	s_cbranch_execz .LBB264_476
; %bb.469:                              ;   in Loop: Header=BB264_296 Depth=1
	v_bfrev_b32_e32 v22, 1
	s_mov_b32 s15, exec_lo
	v_cmpx_ne_u16_e32 0x80, v6
	s_cbranch_execz .LBB264_475
; %bb.470:                              ;   in Loop: Header=BB264_296 Depth=1
	v_and_b32_e32 v23, 0xffff, v6
	v_mov_b32_e32 v22, 0x7c010000
	s_mov_b32 s16, exec_lo
	s_delay_alu instid0(VALU_DEP_2) | instskip(NEXT) | instid1(VALU_DEP_1)
	v_and_b32_e32 v40, 0x7f, v23
	v_cmpx_ne_u32_e32 0x7f, v40
	s_cbranch_execz .LBB264_474
; %bb.471:                              ;   in Loop: Header=BB264_296 Depth=1
	v_dual_lshrrev_b32 v39, 3, v40 :: v_dual_bitop2_b32 v22, 7, v23 bitop3:0x40
	s_mov_b32 s17, exec_lo
	v_cmpx_gt_u32_e32 8, v40
; %bb.472:                              ;   in Loop: Header=BB264_296 Depth=1
	s_delay_alu instid0(VALU_DEP_2) | instskip(NEXT) | instid1(VALU_DEP_1)
	v_clz_i32_u32_e32 v22, v22
	v_min_u32_e32 v22, 32, v22
	s_delay_alu instid0(VALU_DEP_1) | instskip(NEXT) | instid1(VALU_DEP_1)
	v_subrev_nc_u32_e32 v39, 28, v22
	v_lshlrev_b64_e32 v[50:51], v39, v[6:7]
	v_sub_nc_u32_e32 v39, 29, v22
	s_delay_alu instid0(VALU_DEP_2)
	v_and_b32_e32 v22, 7, v50
; %bb.473:                              ;   in Loop: Header=BB264_296 Depth=1
	s_or_b32 exec_lo, exec_lo, s17
	s_delay_alu instid0(VALU_DEP_1) | instskip(NEXT) | instid1(VALU_DEP_3)
	v_dual_lshlrev_b32 v6, 8, v23 :: v_dual_lshlrev_b32 v22, 23, v22
	v_lshl_add_u32 v23, v39, 10, 0x2000
	s_delay_alu instid0(VALU_DEP_1) | instskip(NEXT) | instid1(VALU_DEP_1)
	v_and_or_b32 v6, 0x8000, v6, v23
	v_lshl_or_b32 v22, v6, 16, v22
.LBB264_474:                            ;   in Loop: Header=BB264_296 Depth=1
	s_or_b32 exec_lo, exec_lo, s16
.LBB264_475:                            ;   in Loop: Header=BB264_296 Depth=1
	s_delay_alu instid0(SALU_CYCLE_1)
	s_or_b32 exec_lo, exec_lo, s15
.LBB264_476:                            ;   in Loop: Header=BB264_296 Depth=1
	s_delay_alu instid0(SALU_CYCLE_1) | instskip(SKIP_2) | instid1(VALU_DEP_1)
	s_or_b32 exec_lo, exec_lo, s14
	v_lshrrev_b32_e32 v6, 16, v17
	s_mov_b32 s14, exec_lo
	v_and_b32_e32 v23, 0xff, v6
	s_delay_alu instid0(VALU_DEP_1)
	v_cmpx_ne_u16_e32 0, v23
	s_cbranch_execz .LBB264_484
; %bb.477:                              ;   in Loop: Header=BB264_296 Depth=1
	v_mov_b32_e32 v21, 0x8000
	s_mov_b32 s15, exec_lo
	v_cmpx_ne_u16_e32 0x80, v23
	s_cbranch_execz .LBB264_483
; %bb.478:                              ;   in Loop: Header=BB264_296 Depth=1
	v_bfe_u32 v39, v17, 16, 7
	v_mov_b32_e32 v21, 0x7c01
	s_mov_b32 s16, exec_lo
	s_delay_alu instid0(VALU_DEP_2)
	v_cmpx_ne_u32_e32 0x7f, v39
	s_cbranch_execz .LBB264_482
; %bb.479:                              ;   in Loop: Header=BB264_296 Depth=1
	v_dual_lshrrev_b32 v23, 3, v39 :: v_dual_bitop2_b32 v21, 7, v6 bitop3:0x40
	s_mov_b32 s17, exec_lo
	v_cmpx_gt_u32_e32 8, v39
; %bb.480:                              ;   in Loop: Header=BB264_296 Depth=1
	s_delay_alu instid0(VALU_DEP_2) | instskip(NEXT) | instid1(VALU_DEP_1)
	v_clz_i32_u32_e32 v21, v21
	v_min_u32_e32 v21, 32, v21
	s_delay_alu instid0(VALU_DEP_1) | instskip(NEXT) | instid1(VALU_DEP_1)
	v_subrev_nc_u32_e32 v23, 28, v21
	v_lshlrev_b64_e32 v[50:51], v23, v[6:7]
	s_delay_alu instid0(VALU_DEP_1)
	v_dual_sub_nc_u32 v23, 29, v21 :: v_dual_bitop2_b32 v21, 7, v50 bitop3:0x40
; %bb.481:                              ;   in Loop: Header=BB264_296 Depth=1
	s_or_b32 exec_lo, exec_lo, s17
	s_delay_alu instid0(VALU_DEP_1) | instskip(NEXT) | instid1(VALU_DEP_2)
	v_dual_lshlrev_b32 v6, 8, v6 :: v_dual_lshlrev_b32 v21, 7, v21
	v_lshl_add_u32 v23, v23, 10, 0x2000
	s_delay_alu instid0(VALU_DEP_2) | instskip(NEXT) | instid1(VALU_DEP_2)
	v_and_b32_e32 v6, 0x8000, v6
	v_and_b32_e32 v23, 0xfc00, v23
	s_delay_alu instid0(VALU_DEP_1)
	v_or3_b32 v21, v6, v23, v21
.LBB264_482:                            ;   in Loop: Header=BB264_296 Depth=1
	s_or_b32 exec_lo, exec_lo, s16
.LBB264_483:                            ;   in Loop: Header=BB264_296 Depth=1
	s_delay_alu instid0(SALU_CYCLE_1)
	s_or_b32 exec_lo, exec_lo, s15
.LBB264_484:                            ;   in Loop: Header=BB264_296 Depth=1
	s_delay_alu instid0(SALU_CYCLE_1)
	s_or_b32 exec_lo, exec_lo, s14
	v_cmp_lt_u64_e64 s0, s[2:3], v[16:17]
	v_mov_b32_e32 v16, 0
	s_and_saveexec_b32 s14, s0
	s_cbranch_execz .LBB264_492
; %bb.485:                              ;   in Loop: Header=BB264_296 Depth=1
	v_lshrrev_b32_e32 v6, 24, v17
	v_bfrev_b32_e32 v16, 1
	s_mov_b32 s15, exec_lo
	s_delay_alu instid0(VALU_DEP_2)
	v_cmpx_ne_u32_e32 0x80, v6
	s_cbranch_execz .LBB264_491
; %bb.486:                              ;   in Loop: Header=BB264_296 Depth=1
	v_and_b32_e32 v23, 0x7f, v6
	v_mov_b32_e32 v16, 0x7c010000
	s_mov_b32 s16, exec_lo
	s_delay_alu instid0(VALU_DEP_2)
	v_cmpx_ne_u32_e32 0x7f, v23
	s_cbranch_execz .LBB264_490
; %bb.487:                              ;   in Loop: Header=BB264_296 Depth=1
	v_dual_lshrrev_b32 v17, 3, v23 :: v_dual_bitop2_b32 v16, 7, v6 bitop3:0x40
	s_mov_b32 s17, exec_lo
	v_cmpx_gt_u32_e32 8, v23
; %bb.488:                              ;   in Loop: Header=BB264_296 Depth=1
	s_delay_alu instid0(VALU_DEP_2) | instskip(NEXT) | instid1(VALU_DEP_1)
	v_clz_i32_u32_e32 v16, v16
	v_min_u32_e32 v23, 32, v16
	s_delay_alu instid0(VALU_DEP_1) | instskip(NEXT) | instid1(VALU_DEP_1)
	v_subrev_nc_u32_e32 v16, 28, v23
	v_lshlrev_b64_e32 v[16:17], v16, v[6:7]
	s_delay_alu instid0(VALU_DEP_1)
	v_dual_sub_nc_u32 v17, 29, v23 :: v_dual_bitop2_b32 v16, 7, v16 bitop3:0x40
; %bb.489:                              ;   in Loop: Header=BB264_296 Depth=1
	s_or_b32 exec_lo, exec_lo, s17
	s_delay_alu instid0(VALU_DEP_1) | instskip(NEXT) | instid1(VALU_DEP_2)
	v_dual_lshlrev_b32 v6, 8, v6 :: v_dual_lshlrev_b32 v16, 23, v16
	v_lshl_add_u32 v17, v17, 10, 0x2000
	s_delay_alu instid0(VALU_DEP_1) | instskip(NEXT) | instid1(VALU_DEP_1)
	v_and_or_b32 v6, 0x8000, v6, v17
	v_lshl_or_b32 v16, v6, 16, v16
.LBB264_490:                            ;   in Loop: Header=BB264_296 Depth=1
	s_or_b32 exec_lo, exec_lo, s16
.LBB264_491:                            ;   in Loop: Header=BB264_296 Depth=1
	s_delay_alu instid0(SALU_CYCLE_1)
	s_or_b32 exec_lo, exec_lo, s15
.LBB264_492:                            ;   in Loop: Header=BB264_296 Depth=1
	s_delay_alu instid0(SALU_CYCLE_1) | instskip(SKIP_3) | instid1(VALU_DEP_3)
	s_or_b32 exec_lo, exec_lo, s14
	v_dual_lshrrev_b32 v6, 16, v1 :: v_dual_lshrrev_b32 v17, 16, v18
	v_or_b32_e32 v1, v1, v15
	v_dual_lshrrev_b32 v23, 16, v16 :: v_dual_bitop2_b32 v15, v18, v19 bitop3:0x54
	v_cvt_f32_f16_e32 v19, v6
	s_delay_alu instid0(VALU_DEP_4) | instskip(SKIP_1) | instid1(VALU_DEP_4)
	v_cvt_f32_f16_e32 v18, v17
	v_dual_lshrrev_b32 v21, 16, v22 :: v_dual_bitop2_b32 v6, v16, v21 bitop3:0x54
	v_cvt_f32_f16_e32 v16, v15
	v_cvt_f32_f16_e32 v17, v1
	s_wait_loadcnt 0x0
	v_pk_mul_f32 v[18:19], v[14:15], v[18:19] op_sel_hi:[0,1]
	v_cvt_f32_f16_e32 v21, v21
	s_delay_alu instid0(VALU_DEP_2) | instskip(SKIP_3) | instid1(VALU_DEP_3)
	v_cvt_pk_f16_f32 v1, v18, v19
	v_or_b32_e32 v15, v22, v20
	v_cvt_f32_f16_e32 v20, v23
	v_cvt_f32_f16_e32 v22, v6
	v_pk_mul_f32 v[16:17], v[14:15], v[16:17] op_sel_hi:[0,1]
	s_delay_alu instid0(VALU_DEP_1) | instskip(SKIP_4) | instid1(VALU_DEP_3)
	v_cvt_pk_f16_f32 v6, v16, v17
	v_lshlrev_b32_e32 v16, 16, v1
	v_cvt_f32_f16_e32 v23, v15
	v_pk_mul_f32 v[18:19], v[14:15], v[20:21] op_sel_hi:[0,1]
	v_and_b32_e32 v17, 0xffff0000, v1
	v_pk_mul_f32 v[14:15], v[14:15], v[22:23] op_sel_hi:[0,1]
	s_delay_alu instid0(VALU_DEP_3) | instskip(SKIP_1) | instid1(VALU_DEP_3)
	v_cvt_pk_f16_f32 v18, v18, v19
	v_and_b32_e32 v22, 0xffff, v6
	v_cvt_pk_f16_f32 v14, v14, v15
	s_delay_alu instid0(VALU_DEP_3) | instskip(NEXT) | instid1(VALU_DEP_3)
	v_and_b32_e32 v1, 0xffff0000, v18
	v_or_b32_e32 v20, v16, v22
	s_delay_alu instid0(VALU_DEP_3) | instskip(SKIP_2) | instid1(VALU_DEP_3)
	v_lshrrev_b32_e32 v15, 16, v14
	v_lshrrev_b32_e32 v23, 16, v6
	v_and_b32_e32 v14, 0xffff, v14
	v_dual_lshlrev_b32 v6, 16, v18 :: v_dual_bitop2_b32 v19, v1, v15 bitop3:0x54
	s_delay_alu instid0(VALU_DEP_3) | instskip(NEXT) | instid1(VALU_DEP_2)
	v_or_b32_e32 v21, v17, v23
	v_or_b32_e32 v18, v6, v14
	s_and_saveexec_b32 s14, vcc_lo
	s_cbranch_execz .LBB264_494
; %bb.493:                              ;   in Loop: Header=BB264_296 Depth=1
	v_cmp_gt_i32_e64 s0, s9, v29
	s_delay_alu instid0(VALU_DEP_1) | instskip(SKIP_1) | instid1(VALU_DEP_1)
	v_cndmask_b32_e64 v18, 0, v23, s0
	v_cmp_gt_i32_e64 s0, s23, v38
	v_cndmask_b32_e64 v19, 0, v22, s0
	v_cmp_gt_i32_e64 s0, s9, v37
	s_delay_alu instid0(VALU_DEP_1) | instskip(SKIP_1) | instid1(VALU_DEP_1)
	v_cndmask_b32_e64 v17, 0, v17, s0
	v_cmp_gt_i32_e64 s0, s23, v36
	v_cndmask_b32_e64 v16, 0, v16, s0
	v_cmp_gt_i32_e64 s0, s9, v35
	s_delay_alu instid0(VALU_DEP_4) | instskip(NEXT) | instid1(VALU_DEP_3)
	v_or_b32_e32 v21, v17, v18
	v_or_b32_e32 v20, v16, v19
	s_delay_alu instid0(VALU_DEP_3) | instskip(SKIP_1) | instid1(VALU_DEP_1)
	v_cndmask_b32_e64 v15, 0, v15, s0
	v_cmp_gt_i32_e64 s0, s23, v34
	v_cndmask_b32_e64 v14, 0, v14, s0
	v_cmp_gt_i32_e64 s0, s9, v33
	s_delay_alu instid0(VALU_DEP_1) | instskip(SKIP_1) | instid1(VALU_DEP_1)
	v_cndmask_b32_e64 v1, 0, v1, s0
	v_cmp_gt_i32_e64 s0, s23, v32
	v_dual_cndmask_b32 v6, 0, v6, s0 :: v_dual_bitop2_b32 v19, v1, v15 bitop3:0x54
	s_delay_alu instid0(VALU_DEP_1)
	v_or_b32_e32 v18, v6, v14
.LBB264_494:                            ;   in Loop: Header=BB264_296 Depth=1
	s_or_b32 exec_lo, exec_lo, s14
	;;#ASMSTART
	v_pk_mul_f16 v1, v44, v21;

	;;#ASMEND
	;;#ASMSTART
	v_pk_mul_f16 v6, v43, v20;

	;;#ASMEND
	;; [unrolled: 4-line block ×4, first 2 shown]
	;;#ASMSTART
	v_pk_add_f16 v1, v1, v6;

	;;#ASMEND
	;;#ASMSTART
	v_pk_add_f16 v1, v1, v14;

	;;#ASMEND
	;; [unrolled: 4-line block ×3, first 2 shown]
	v_and_b32_e32 v6, 0xffff, v1
	v_lshrrev_b32_e32 v1, 16, v1
	;;#ASMSTART
	v_cvt_f32_f16 v39, v6;
	;;#ASMEND
	;;#ASMSTART
	v_cvt_f32_f16 v40, v1;
	;;#ASMEND
	global_load_b64 v[14:15], v[12:13], off offset:768
	s_wait_xcnt 0x0
	v_dual_mov_b32 v1, 0 :: v_dual_mov_b32 v13, 0
	s_mov_b32 s14, exec_lo
	global_load_b32 v12, v1, s[10:11]
	s_wait_loadcnt 0x1
	v_and_b32_e32 v6, 0xff, v14
	s_wait_xcnt 0x0
	s_delay_alu instid0(VALU_DEP_1)
	v_cmpx_ne_u16_e32 0, v6
	s_cbranch_execz .LBB264_502
; %bb.495:                              ;   in Loop: Header=BB264_296 Depth=1
	v_mov_b32_e32 v13, 0x8000
	s_mov_b32 s15, exec_lo
	v_cmpx_ne_u16_e32 0x80, v6
	s_cbranch_execz .LBB264_501
; %bb.496:                              ;   in Loop: Header=BB264_296 Depth=1
	v_and_b32_e32 v16, 0x7f, v14
	v_mov_b32_e32 v13, 0x7c01
	s_mov_b32 s16, exec_lo
	s_delay_alu instid0(VALU_DEP_2)
	v_cmpx_ne_u32_e32 0x7f, v16
	s_cbranch_execz .LBB264_500
; %bb.497:                              ;   in Loop: Header=BB264_296 Depth=1
	v_dual_lshrrev_b32 v13, 3, v16 :: v_dual_bitop2_b32 v6, 7, v14 bitop3:0x40
	s_mov_b32 s17, exec_lo
	v_cmpx_gt_u32_e32 8, v16
; %bb.498:                              ;   in Loop: Header=BB264_296 Depth=1
	s_delay_alu instid0(VALU_DEP_2) | instskip(NEXT) | instid1(VALU_DEP_1)
	v_clz_i32_u32_e32 v6, v6
	v_min_u32_e32 v6, 32, v6
	s_delay_alu instid0(VALU_DEP_1) | instskip(NEXT) | instid1(VALU_DEP_1)
	v_subrev_nc_u32_e32 v13, 28, v6
	v_lshlrev_b64_e32 v[16:17], v13, v[14:15]
	s_delay_alu instid0(VALU_DEP_1)
	v_dual_sub_nc_u32 v13, 29, v6 :: v_dual_bitop2_b32 v6, 7, v16 bitop3:0x40
; %bb.499:                              ;   in Loop: Header=BB264_296 Depth=1
	s_or_b32 exec_lo, exec_lo, s17
	v_lshlrev_b32_e32 v16, 8, v14
	s_delay_alu instid0(VALU_DEP_2) | instskip(NEXT) | instid1(VALU_DEP_3)
	v_lshl_add_u32 v13, v13, 10, 0x2000
	v_lshlrev_b32_e32 v6, 7, v6
	s_delay_alu instid0(VALU_DEP_3) | instskip(NEXT) | instid1(VALU_DEP_3)
	v_and_b32_e32 v16, 0x8000, v16
	v_and_b32_e32 v13, 0xfc00, v13
	s_delay_alu instid0(VALU_DEP_1)
	v_or3_b32 v13, v16, v13, v6
.LBB264_500:                            ;   in Loop: Header=BB264_296 Depth=1
	s_or_b32 exec_lo, exec_lo, s16
.LBB264_501:                            ;   in Loop: Header=BB264_296 Depth=1
	s_delay_alu instid0(SALU_CYCLE_1)
	s_or_b32 exec_lo, exec_lo, s15
.LBB264_502:                            ;   in Loop: Header=BB264_296 Depth=1
	s_delay_alu instid0(SALU_CYCLE_1) | instskip(SKIP_2) | instid1(VALU_DEP_1)
	s_or_b32 exec_lo, exec_lo, s14
	v_lshrrev_b16 v6, 8, v14
	s_mov_b32 s14, exec_lo
	v_cmpx_ne_u16_e32 0, v6
	s_cbranch_execz .LBB264_510
; %bb.503:                              ;   in Loop: Header=BB264_296 Depth=1
	v_bfrev_b32_e32 v1, 1
	s_mov_b32 s15, exec_lo
	v_cmpx_ne_u16_e32 0x80, v6
	s_cbranch_execz .LBB264_509
; %bb.504:                              ;   in Loop: Header=BB264_296 Depth=1
	v_and_b32_e32 v16, 0xffff, v6
	v_mov_b32_e32 v1, 0x7c010000
	s_mov_b32 s16, exec_lo
	s_delay_alu instid0(VALU_DEP_2) | instskip(NEXT) | instid1(VALU_DEP_1)
	v_and_b32_e32 v18, 0x7f, v16
	v_cmpx_ne_u32_e32 0x7f, v18
	s_cbranch_execz .LBB264_508
; %bb.505:                              ;   in Loop: Header=BB264_296 Depth=1
	v_dual_lshrrev_b32 v17, 3, v18 :: v_dual_bitop2_b32 v1, 7, v16 bitop3:0x40
	s_mov_b32 s17, exec_lo
	v_cmpx_gt_u32_e32 8, v18
; %bb.506:                              ;   in Loop: Header=BB264_296 Depth=1
	s_delay_alu instid0(VALU_DEP_2) | instskip(NEXT) | instid1(VALU_DEP_1)
	v_clz_i32_u32_e32 v1, v1
	v_min_u32_e32 v1, 32, v1
	s_delay_alu instid0(VALU_DEP_1) | instskip(NEXT) | instid1(VALU_DEP_1)
	v_subrev_nc_u32_e32 v17, 28, v1
	v_lshlrev_b64_e32 v[18:19], v17, v[6:7]
	s_delay_alu instid0(VALU_DEP_1)
	v_dual_sub_nc_u32 v17, 29, v1 :: v_dual_bitop2_b32 v1, 7, v18 bitop3:0x40
; %bb.507:                              ;   in Loop: Header=BB264_296 Depth=1
	s_or_b32 exec_lo, exec_lo, s17
	s_delay_alu instid0(VALU_DEP_1) | instskip(NEXT) | instid1(VALU_DEP_2)
	v_dual_lshlrev_b32 v6, 8, v16 :: v_dual_lshlrev_b32 v1, 23, v1
	v_lshl_add_u32 v16, v17, 10, 0x2000
	s_delay_alu instid0(VALU_DEP_1) | instskip(NEXT) | instid1(VALU_DEP_1)
	v_and_or_b32 v6, 0x8000, v6, v16
	v_lshl_or_b32 v1, v6, 16, v1
.LBB264_508:                            ;   in Loop: Header=BB264_296 Depth=1
	s_or_b32 exec_lo, exec_lo, s16
.LBB264_509:                            ;   in Loop: Header=BB264_296 Depth=1
	s_delay_alu instid0(SALU_CYCLE_1)
	s_or_b32 exec_lo, exec_lo, s15
.LBB264_510:                            ;   in Loop: Header=BB264_296 Depth=1
	s_delay_alu instid0(SALU_CYCLE_1) | instskip(SKIP_3) | instid1(VALU_DEP_2)
	s_or_b32 exec_lo, exec_lo, s14
	v_dual_lshrrev_b32 v6, 16, v14 :: v_dual_mov_b32 v16, 0
	v_mov_b32_e32 v17, 0
	s_mov_b32 s14, exec_lo
	v_and_b32_e32 v18, 0xff, v6
	s_delay_alu instid0(VALU_DEP_1)
	v_cmpx_ne_u16_e32 0, v18
	s_cbranch_execz .LBB264_518
; %bb.511:                              ;   in Loop: Header=BB264_296 Depth=1
	v_mov_b32_e32 v17, 0x8000
	s_mov_b32 s15, exec_lo
	v_cmpx_ne_u16_e32 0x80, v18
	s_cbranch_execz .LBB264_517
; %bb.512:                              ;   in Loop: Header=BB264_296 Depth=1
	v_bfe_u32 v19, v14, 16, 7
	v_mov_b32_e32 v17, 0x7c01
	s_mov_b32 s16, exec_lo
	s_delay_alu instid0(VALU_DEP_2)
	v_cmpx_ne_u32_e32 0x7f, v19
	s_cbranch_execz .LBB264_516
; %bb.513:                              ;   in Loop: Header=BB264_296 Depth=1
	v_dual_lshrrev_b32 v18, 3, v19 :: v_dual_bitop2_b32 v17, 7, v6 bitop3:0x40
	s_mov_b32 s17, exec_lo
	v_cmpx_gt_u32_e32 8, v19
; %bb.514:                              ;   in Loop: Header=BB264_296 Depth=1
	s_delay_alu instid0(VALU_DEP_2) | instskip(NEXT) | instid1(VALU_DEP_1)
	v_clz_i32_u32_e32 v17, v17
	v_min_u32_e32 v17, 32, v17
	s_delay_alu instid0(VALU_DEP_1) | instskip(NEXT) | instid1(VALU_DEP_1)
	v_subrev_nc_u32_e32 v18, 28, v17
	v_lshlrev_b64_e32 v[20:21], v18, v[6:7]
	s_delay_alu instid0(VALU_DEP_1)
	v_dual_sub_nc_u32 v18, 29, v17 :: v_dual_bitop2_b32 v17, 7, v20 bitop3:0x40
; %bb.515:                              ;   in Loop: Header=BB264_296 Depth=1
	s_or_b32 exec_lo, exec_lo, s17
	s_delay_alu instid0(VALU_DEP_1) | instskip(NEXT) | instid1(VALU_DEP_2)
	v_dual_lshlrev_b32 v6, 8, v6 :: v_dual_lshlrev_b32 v17, 7, v17
	v_lshl_add_u32 v18, v18, 10, 0x2000
	s_delay_alu instid0(VALU_DEP_2) | instskip(NEXT) | instid1(VALU_DEP_2)
	v_and_b32_e32 v6, 0x8000, v6
	v_and_b32_e32 v18, 0xfc00, v18
	s_delay_alu instid0(VALU_DEP_1)
	v_or3_b32 v17, v6, v18, v17
.LBB264_516:                            ;   in Loop: Header=BB264_296 Depth=1
	s_or_b32 exec_lo, exec_lo, s16
.LBB264_517:                            ;   in Loop: Header=BB264_296 Depth=1
	s_delay_alu instid0(SALU_CYCLE_1)
	s_or_b32 exec_lo, exec_lo, s15
.LBB264_518:                            ;   in Loop: Header=BB264_296 Depth=1
	s_delay_alu instid0(SALU_CYCLE_1) | instskip(NEXT) | instid1(SALU_CYCLE_1)
	s_or_b32 exec_lo, exec_lo, s14
	s_mov_b32 s14, exec_lo
	v_cmpx_lt_u32_e32 0xffffff, v14
	s_cbranch_execz .LBB264_526
; %bb.519:                              ;   in Loop: Header=BB264_296 Depth=1
	v_lshrrev_b32_e32 v6, 24, v14
	v_bfrev_b32_e32 v16, 1
	s_mov_b32 s15, exec_lo
	s_delay_alu instid0(VALU_DEP_2)
	v_cmpx_ne_u32_e32 0x80, v6
	s_cbranch_execz .LBB264_525
; %bb.520:                              ;   in Loop: Header=BB264_296 Depth=1
	v_and_b32_e32 v19, 0x7f, v6
	v_mov_b32_e32 v16, 0x7c010000
	s_mov_b32 s16, exec_lo
	s_delay_alu instid0(VALU_DEP_2)
	v_cmpx_ne_u32_e32 0x7f, v19
	s_cbranch_execz .LBB264_524
; %bb.521:                              ;   in Loop: Header=BB264_296 Depth=1
	v_dual_lshrrev_b32 v18, 3, v19 :: v_dual_bitop2_b32 v16, 7, v6 bitop3:0x40
	s_mov_b32 s17, exec_lo
	v_cmpx_gt_u32_e32 8, v19
; %bb.522:                              ;   in Loop: Header=BB264_296 Depth=1
	s_delay_alu instid0(VALU_DEP_2) | instskip(NEXT) | instid1(VALU_DEP_1)
	v_clz_i32_u32_e32 v16, v16
	v_min_u32_e32 v16, 32, v16
	s_delay_alu instid0(VALU_DEP_1) | instskip(NEXT) | instid1(VALU_DEP_1)
	v_subrev_nc_u32_e32 v18, 28, v16
	v_lshlrev_b64_e32 v[20:21], v18, v[6:7]
	v_sub_nc_u32_e32 v18, 29, v16
	s_delay_alu instid0(VALU_DEP_2)
	v_and_b32_e32 v16, 7, v20
; %bb.523:                              ;   in Loop: Header=BB264_296 Depth=1
	s_or_b32 exec_lo, exec_lo, s17
	s_delay_alu instid0(VALU_DEP_1) | instskip(NEXT) | instid1(VALU_DEP_3)
	v_dual_lshlrev_b32 v6, 8, v6 :: v_dual_lshlrev_b32 v16, 23, v16
	v_lshl_add_u32 v18, v18, 10, 0x2000
	s_delay_alu instid0(VALU_DEP_1) | instskip(NEXT) | instid1(VALU_DEP_1)
	v_and_or_b32 v6, 0x8000, v6, v18
	v_lshl_or_b32 v16, v6, 16, v16
.LBB264_524:                            ;   in Loop: Header=BB264_296 Depth=1
	s_or_b32 exec_lo, exec_lo, s16
.LBB264_525:                            ;   in Loop: Header=BB264_296 Depth=1
	s_delay_alu instid0(SALU_CYCLE_1)
	s_or_b32 exec_lo, exec_lo, s15
.LBB264_526:                            ;   in Loop: Header=BB264_296 Depth=1
	s_delay_alu instid0(SALU_CYCLE_1) | instskip(SKIP_4) | instid1(VALU_DEP_3)
	s_or_b32 exec_lo, exec_lo, s14
	v_and_b32_e32 v20, 0xff, v15
	v_dual_mov_b32 v6, v15 :: v_dual_mov_b32 v19, 0
	v_mov_b32_e32 v18, 0
	s_mov_b32 s14, exec_lo
	v_cmpx_ne_u16_e32 0, v20
	s_cbranch_execz .LBB264_534
; %bb.527:                              ;   in Loop: Header=BB264_296 Depth=1
	v_mov_b32_e32 v18, 0x8000
	s_mov_b32 s15, exec_lo
	v_cmpx_ne_u16_e32 0x80, v20
	s_cbranch_execz .LBB264_533
; %bb.528:                              ;   in Loop: Header=BB264_296 Depth=1
	v_and_b32_e32 v21, 0x7f, v15
	v_mov_b32_e32 v18, 0x7c01
	s_mov_b32 s16, exec_lo
	s_delay_alu instid0(VALU_DEP_2)
	v_cmpx_ne_u32_e32 0x7f, v21
	s_cbranch_execz .LBB264_532
; %bb.529:                              ;   in Loop: Header=BB264_296 Depth=1
	v_dual_lshrrev_b32 v20, 3, v21 :: v_dual_bitop2_b32 v18, 7, v15 bitop3:0x40
	s_mov_b32 s17, exec_lo
	v_cmpx_gt_u32_e32 8, v21
; %bb.530:                              ;   in Loop: Header=BB264_296 Depth=1
	s_delay_alu instid0(VALU_DEP_2) | instskip(NEXT) | instid1(VALU_DEP_1)
	v_clz_i32_u32_e32 v18, v18
	v_min_u32_e32 v18, 32, v18
	s_delay_alu instid0(VALU_DEP_1) | instskip(NEXT) | instid1(VALU_DEP_1)
	v_subrev_nc_u32_e32 v20, 28, v18
	v_lshlrev_b64_e32 v[22:23], v20, v[6:7]
	v_sub_nc_u32_e32 v20, 29, v18
	s_delay_alu instid0(VALU_DEP_2)
	v_and_b32_e32 v18, 7, v22
; %bb.531:                              ;   in Loop: Header=BB264_296 Depth=1
	s_or_b32 exec_lo, exec_lo, s17
	s_delay_alu instid0(VALU_DEP_1) | instskip(NEXT) | instid1(VALU_DEP_3)
	v_dual_lshlrev_b32 v21, 8, v15 :: v_dual_lshlrev_b32 v18, 7, v18
	v_lshl_add_u32 v20, v20, 10, 0x2000
	s_delay_alu instid0(VALU_DEP_2) | instskip(NEXT) | instid1(VALU_DEP_2)
	v_and_b32_e32 v21, 0x8000, v21
	v_and_b32_e32 v20, 0xfc00, v20
	s_delay_alu instid0(VALU_DEP_1)
	v_or3_b32 v18, v21, v20, v18
.LBB264_532:                            ;   in Loop: Header=BB264_296 Depth=1
	s_or_b32 exec_lo, exec_lo, s16
.LBB264_533:                            ;   in Loop: Header=BB264_296 Depth=1
	s_delay_alu instid0(SALU_CYCLE_1)
	s_or_b32 exec_lo, exec_lo, s15
.LBB264_534:                            ;   in Loop: Header=BB264_296 Depth=1
	s_delay_alu instid0(SALU_CYCLE_1) | instskip(SKIP_3) | instid1(VALU_DEP_2)
	s_or_b32 exec_lo, exec_lo, s14
	v_lshrrev_b16 v6, 8, v6
	v_mov_b32_e32 v20, 0
	s_mov_b32 s14, exec_lo
	v_cmpx_ne_u16_e32 0, v6
	s_cbranch_execz .LBB264_542
; %bb.535:                              ;   in Loop: Header=BB264_296 Depth=1
	v_bfrev_b32_e32 v20, 1
	s_mov_b32 s15, exec_lo
	v_cmpx_ne_u16_e32 0x80, v6
	s_cbranch_execz .LBB264_541
; %bb.536:                              ;   in Loop: Header=BB264_296 Depth=1
	v_and_b32_e32 v21, 0xffff, v6
	v_mov_b32_e32 v20, 0x7c010000
	s_mov_b32 s16, exec_lo
	s_delay_alu instid0(VALU_DEP_2) | instskip(NEXT) | instid1(VALU_DEP_1)
	v_and_b32_e32 v23, 0x7f, v21
	v_cmpx_ne_u32_e32 0x7f, v23
	s_cbranch_execz .LBB264_540
; %bb.537:                              ;   in Loop: Header=BB264_296 Depth=1
	v_dual_lshrrev_b32 v22, 3, v23 :: v_dual_bitop2_b32 v20, 7, v21 bitop3:0x40
	s_mov_b32 s17, exec_lo
	v_cmpx_gt_u32_e32 8, v23
; %bb.538:                              ;   in Loop: Header=BB264_296 Depth=1
	s_delay_alu instid0(VALU_DEP_2) | instskip(NEXT) | instid1(VALU_DEP_1)
	v_clz_i32_u32_e32 v20, v20
	v_min_u32_e32 v20, 32, v20
	s_delay_alu instid0(VALU_DEP_1) | instskip(NEXT) | instid1(VALU_DEP_1)
	v_subrev_nc_u32_e32 v22, 28, v20
	v_lshlrev_b64_e32 v[50:51], v22, v[6:7]
	s_delay_alu instid0(VALU_DEP_1)
	v_dual_sub_nc_u32 v22, 29, v20 :: v_dual_bitop2_b32 v20, 7, v50 bitop3:0x40
; %bb.539:                              ;   in Loop: Header=BB264_296 Depth=1
	s_or_b32 exec_lo, exec_lo, s17
	s_delay_alu instid0(VALU_DEP_1) | instskip(NEXT) | instid1(VALU_DEP_2)
	v_dual_lshlrev_b32 v6, 8, v21 :: v_dual_lshlrev_b32 v20, 23, v20
	v_lshl_add_u32 v21, v22, 10, 0x2000
	s_delay_alu instid0(VALU_DEP_1) | instskip(NEXT) | instid1(VALU_DEP_1)
	v_and_or_b32 v6, 0x8000, v6, v21
	v_lshl_or_b32 v20, v6, 16, v20
.LBB264_540:                            ;   in Loop: Header=BB264_296 Depth=1
	s_or_b32 exec_lo, exec_lo, s16
.LBB264_541:                            ;   in Loop: Header=BB264_296 Depth=1
	s_delay_alu instid0(SALU_CYCLE_1)
	s_or_b32 exec_lo, exec_lo, s15
.LBB264_542:                            ;   in Loop: Header=BB264_296 Depth=1
	s_delay_alu instid0(SALU_CYCLE_1) | instskip(SKIP_2) | instid1(VALU_DEP_1)
	s_or_b32 exec_lo, exec_lo, s14
	v_lshrrev_b32_e32 v6, 16, v15
	s_mov_b32 s14, exec_lo
	v_and_b32_e32 v21, 0xff, v6
	s_delay_alu instid0(VALU_DEP_1)
	v_cmpx_ne_u16_e32 0, v21
	s_cbranch_execz .LBB264_550
; %bb.543:                              ;   in Loop: Header=BB264_296 Depth=1
	v_mov_b32_e32 v19, 0x8000
	s_mov_b32 s15, exec_lo
	v_cmpx_ne_u16_e32 0x80, v21
	s_cbranch_execz .LBB264_549
; %bb.544:                              ;   in Loop: Header=BB264_296 Depth=1
	v_bfe_u32 v22, v15, 16, 7
	v_mov_b32_e32 v19, 0x7c01
	s_mov_b32 s16, exec_lo
	s_delay_alu instid0(VALU_DEP_2)
	v_cmpx_ne_u32_e32 0x7f, v22
	s_cbranch_execz .LBB264_548
; %bb.545:                              ;   in Loop: Header=BB264_296 Depth=1
	v_and_b32_e32 v19, 7, v6
	v_lshrrev_b32_e32 v21, 3, v22
	s_mov_b32 s17, exec_lo
	v_cmpx_gt_u32_e32 8, v22
; %bb.546:                              ;   in Loop: Header=BB264_296 Depth=1
	s_delay_alu instid0(VALU_DEP_3) | instskip(NEXT) | instid1(VALU_DEP_1)
	v_clz_i32_u32_e32 v19, v19
	v_min_u32_e32 v19, 32, v19
	s_delay_alu instid0(VALU_DEP_1) | instskip(NEXT) | instid1(VALU_DEP_1)
	v_subrev_nc_u32_e32 v21, 28, v19
	v_lshlrev_b64_e32 v[22:23], v21, v[6:7]
	s_delay_alu instid0(VALU_DEP_1)
	v_dual_sub_nc_u32 v21, 29, v19 :: v_dual_bitop2_b32 v19, 7, v22 bitop3:0x40
; %bb.547:                              ;   in Loop: Header=BB264_296 Depth=1
	s_or_b32 exec_lo, exec_lo, s17
	s_delay_alu instid0(VALU_DEP_1) | instskip(NEXT) | instid1(VALU_DEP_2)
	v_dual_lshlrev_b32 v6, 8, v6 :: v_dual_lshlrev_b32 v19, 7, v19
	v_lshl_add_u32 v21, v21, 10, 0x2000
	s_delay_alu instid0(VALU_DEP_2) | instskip(NEXT) | instid1(VALU_DEP_2)
	v_and_b32_e32 v6, 0x8000, v6
	v_and_b32_e32 v21, 0xfc00, v21
	s_delay_alu instid0(VALU_DEP_1)
	v_or3_b32 v19, v6, v21, v19
.LBB264_548:                            ;   in Loop: Header=BB264_296 Depth=1
	s_or_b32 exec_lo, exec_lo, s16
.LBB264_549:                            ;   in Loop: Header=BB264_296 Depth=1
	s_delay_alu instid0(SALU_CYCLE_1)
	s_or_b32 exec_lo, exec_lo, s15
.LBB264_550:                            ;   in Loop: Header=BB264_296 Depth=1
	s_delay_alu instid0(SALU_CYCLE_1)
	s_or_b32 exec_lo, exec_lo, s14
	v_cmp_lt_u64_e64 s0, s[2:3], v[14:15]
	v_mov_b32_e32 v14, 0
	s_and_saveexec_b32 s14, s0
	s_cbranch_execz .LBB264_558
; %bb.551:                              ;   in Loop: Header=BB264_296 Depth=1
	v_lshrrev_b32_e32 v6, 24, v15
	v_bfrev_b32_e32 v14, 1
	s_mov_b32 s15, exec_lo
	s_delay_alu instid0(VALU_DEP_2)
	v_cmpx_ne_u32_e32 0x80, v6
	s_cbranch_execz .LBB264_557
; %bb.552:                              ;   in Loop: Header=BB264_296 Depth=1
	v_and_b32_e32 v21, 0x7f, v6
	v_mov_b32_e32 v14, 0x7c010000
	s_mov_b32 s16, exec_lo
	s_delay_alu instid0(VALU_DEP_2)
	v_cmpx_ne_u32_e32 0x7f, v21
	s_cbranch_execz .LBB264_556
; %bb.553:                              ;   in Loop: Header=BB264_296 Depth=1
	v_dual_lshrrev_b32 v15, 3, v21 :: v_dual_bitop2_b32 v14, 7, v6 bitop3:0x40
	s_mov_b32 s17, exec_lo
	v_cmpx_gt_u32_e32 8, v21
; %bb.554:                              ;   in Loop: Header=BB264_296 Depth=1
	s_delay_alu instid0(VALU_DEP_2) | instskip(NEXT) | instid1(VALU_DEP_1)
	v_clz_i32_u32_e32 v14, v14
	v_min_u32_e32 v21, 32, v14
	s_delay_alu instid0(VALU_DEP_1) | instskip(NEXT) | instid1(VALU_DEP_1)
	v_subrev_nc_u32_e32 v14, 28, v21
	v_lshlrev_b64_e32 v[14:15], v14, v[6:7]
	s_delay_alu instid0(VALU_DEP_1)
	v_dual_sub_nc_u32 v15, 29, v21 :: v_dual_bitop2_b32 v14, 7, v14 bitop3:0x40
; %bb.555:                              ;   in Loop: Header=BB264_296 Depth=1
	s_or_b32 exec_lo, exec_lo, s17
	v_lshlrev_b32_e32 v6, 8, v6
	s_delay_alu instid0(VALU_DEP_2) | instskip(NEXT) | instid1(VALU_DEP_3)
	v_lshl_add_u32 v15, v15, 10, 0x2000
	v_lshlrev_b32_e32 v14, 23, v14
	s_delay_alu instid0(VALU_DEP_2) | instskip(NEXT) | instid1(VALU_DEP_1)
	v_and_or_b32 v6, 0x8000, v6, v15
	v_lshl_or_b32 v14, v6, 16, v14
.LBB264_556:                            ;   in Loop: Header=BB264_296 Depth=1
	s_or_b32 exec_lo, exec_lo, s16
.LBB264_557:                            ;   in Loop: Header=BB264_296 Depth=1
	s_delay_alu instid0(SALU_CYCLE_1)
	s_or_b32 exec_lo, exec_lo, s15
.LBB264_558:                            ;   in Loop: Header=BB264_296 Depth=1
	s_delay_alu instid0(SALU_CYCLE_1) | instskip(SKIP_3) | instid1(VALU_DEP_3)
	s_or_b32 exec_lo, exec_lo, s14
	v_dual_lshrrev_b32 v6, 16, v1 :: v_dual_lshrrev_b32 v15, 16, v16
	v_or_b32_e32 v1, v1, v13
	v_dual_lshrrev_b32 v21, 16, v14 :: v_dual_bitop2_b32 v13, v16, v17 bitop3:0x54
	v_cvt_f32_f16_e32 v17, v6
	s_delay_alu instid0(VALU_DEP_4) | instskip(SKIP_1) | instid1(VALU_DEP_4)
	v_cvt_f32_f16_e32 v16, v15
	v_dual_lshrrev_b32 v19, 16, v20 :: v_dual_bitop2_b32 v6, v14, v19 bitop3:0x54
	v_cvt_f32_f16_e32 v14, v13
	v_cvt_f32_f16_e32 v15, v1
	s_wait_loadcnt 0x0
	v_pk_mul_f32 v[16:17], v[12:13], v[16:17] op_sel_hi:[0,1]
	v_or_b32_e32 v13, v20, v18
	v_cvt_f32_f16_e32 v19, v19
	v_cvt_f32_f16_e32 v18, v21
	s_delay_alu instid0(VALU_DEP_4) | instskip(NEXT) | instid1(VALU_DEP_4)
	v_cvt_pk_f16_f32 v1, v16, v17
	v_cvt_f32_f16_e32 v21, v13
	v_pk_mul_f32 v[14:15], v[12:13], v[14:15] op_sel_hi:[0,1]
	s_delay_alu instid0(VALU_DEP_4) | instskip(NEXT) | instid1(VALU_DEP_4)
	v_pk_mul_f32 v[16:17], v[12:13], v[18:19] op_sel_hi:[0,1]
	v_lshlrev_b32_e32 v18, 16, v1
	v_cvt_f32_f16_e32 v20, v6
	s_delay_alu instid0(VALU_DEP_4) | instskip(NEXT) | instid1(VALU_DEP_4)
	v_cvt_pk_f16_f32 v6, v14, v15
	v_cvt_pk_f16_f32 v14, v16, v17
	v_and_b32_e32 v19, 0xffff0000, v1
	s_delay_alu instid0(VALU_DEP_4) | instskip(NEXT) | instid1(VALU_DEP_4)
	v_pk_mul_f32 v[12:13], v[12:13], v[20:21] op_sel_hi:[0,1]
	v_and_b32_e32 v20, 0xffff, v6
	v_lshrrev_b32_e32 v21, 16, v6
	v_and_b32_e32 v1, 0xffff0000, v14
	v_lshlrev_b32_e32 v6, 16, v14
	v_cvt_pk_f16_f32 v12, v12, v13
	v_or_b32_e32 v14, v18, v20
	s_delay_alu instid0(VALU_DEP_2) | instskip(SKIP_1) | instid1(VALU_DEP_2)
	v_dual_lshrrev_b32 v17, 16, v12 :: v_dual_bitop2_b32 v15, v19, v21 bitop3:0x54
	v_and_b32_e32 v16, 0xffff, v12
	v_or_b32_e32 v13, v1, v17
	s_delay_alu instid0(VALU_DEP_2)
	v_or_b32_e32 v12, v6, v16
	s_and_saveexec_b32 s0, vcc_lo
	s_cbranch_execz .LBB264_295
; %bb.559:                              ;   in Loop: Header=BB264_296 Depth=1
	v_cmp_gt_i32_e32 vcc_lo, s9, v29
	v_cndmask_b32_e32 v12, 0, v21, vcc_lo
	v_cmp_gt_i32_e32 vcc_lo, s23, v38
	v_cndmask_b32_e32 v13, 0, v20, vcc_lo
	;; [unrolled: 2-line block ×4, first 2 shown]
	v_cmp_gt_i32_e32 vcc_lo, s9, v35
	s_delay_alu instid0(VALU_DEP_4) | instskip(NEXT) | instid1(VALU_DEP_3)
	v_or_b32_e32 v15, v14, v12
	v_or_b32_e32 v14, v18, v13
	v_cndmask_b32_e32 v17, 0, v17, vcc_lo
	v_cmp_gt_i32_e32 vcc_lo, s23, v34
	v_cndmask_b32_e32 v16, 0, v16, vcc_lo
	v_cmp_gt_i32_e32 vcc_lo, s9, v33
	v_cndmask_b32_e32 v1, 0, v1, vcc_lo
	v_cmp_gt_i32_e32 vcc_lo, s23, v32
	s_delay_alu instid0(VALU_DEP_2) | instskip(NEXT) | instid1(VALU_DEP_1)
	v_dual_cndmask_b32 v6, 0, v6, vcc_lo :: v_dual_bitop2_b32 v13, v1, v17 bitop3:0x54
	v_or_b32_e32 v12, v6, v16
	s_branch .LBB264_295
.LBB264_560:
	s_or_b32 exec_lo, exec_lo, s8
.LBB264_561:
	s_delay_alu instid0(SALU_CYCLE_1)
	s_or_b32 exec_lo, exec_lo, s1
	ds_bpermute_b32 v8, v28, v4
	ds_bpermute_b32 v9, v28, v5
	;; [unrolled: 1-line block ×4, first 2 shown]
	v_and_b32_e32 v10, 0x3c1, v0
	v_lshrrev_b32_e32 v1, 1, v27
	s_mov_b32 s0, exec_lo
	s_wait_dscnt 0x0
	s_barrier_signal -1
	s_barrier_wait -1
	v_pk_add_f32 v[4:5], v[4:5], v[8:9]
	v_cmpx_ne_u32_e32 64, v10
	s_xor_b32 s0, exec_lo, s0
	s_delay_alu instid0(SALU_CYCLE_1)
	s_or_saveexec_b32 s0, s0
	v_pk_add_f32 v[2:3], v[2:3], v[6:7]
	v_lshl_add_u32 v6, v1, 2, 0xa0
	v_lshlrev_b32_e32 v7, 8, v26
	s_xor_b32 exec_lo, exec_lo, s0
	s_cbranch_execz .LBB264_563
; %bb.562:
	s_delay_alu instid0(VALU_DEP_1) | instskip(NEXT) | instid1(VALU_DEP_1)
	v_add_nc_u32_e32 v8, v6, v7
	v_add_nc_u32_e32 v9, 0xfffffe00, v8
	;; [unrolled: 1-line block ×5, first 2 shown]
	ds_store_b32 v9, v4
	ds_store_b32 v10, v5
	;; [unrolled: 1-line block ×4, first 2 shown]
.LBB264_563:
	s_or_b32 exec_lo, exec_lo, s0
	v_lshlrev_b32_e32 v1, 2, v1
	s_mov_b32 s1, exec_lo
	v_cmp_eq_u32_e32 vcc_lo, 0, v25
	s_wait_dscnt 0x0
	s_barrier_signal -1
	v_add3_u32 v1, 0xa0, v7, v1
	s_barrier_wait -1
	v_cmpx_gt_u32_e32 64, v0
	s_cbranch_execz .LBB264_570
; %bb.564:
	s_and_saveexec_b32 s0, vcc_lo
	s_cbranch_execnz .LBB264_582
; %bb.565:
	s_or_b32 exec_lo, exec_lo, s0
	s_and_saveexec_b32 s0, vcc_lo
	s_cbranch_execnz .LBB264_583
.LBB264_566:
	s_or_b32 exec_lo, exec_lo, s0
	s_and_saveexec_b32 s0, vcc_lo
	s_cbranch_execnz .LBB264_584
.LBB264_567:
	s_or_b32 exec_lo, exec_lo, s0
	s_and_saveexec_b32 s0, vcc_lo
	s_cbranch_execz .LBB264_569
.LBB264_568:
	ds_load_b32 v7, v1 offset:192
	s_wait_dscnt 0x0
	v_add_f32_e32 v3, v3, v7
.LBB264_569:
	s_or_b32 exec_lo, exec_lo, s0
.LBB264_570:
	s_delay_alu instid0(SALU_CYCLE_1) | instskip(SKIP_4) | instid1(VALU_DEP_1)
	s_or_b32 exec_lo, exec_lo, s1
	v_and_b32_e32 v7, 0x3e1, v0
	s_mov_b32 s1, exec_lo
	s_barrier_signal -1
	s_barrier_wait -1
	v_cmpx_eq_u32_e32 32, v7
	s_cbranch_execz .LBB264_572
; %bb.571:
	ds_store_2addr_b32 v6, v4, v5 offset1:16
	ds_store_2addr_b32 v6, v2, v3 offset0:32 offset1:48
.LBB264_572:
	s_or_b32 exec_lo, exec_lo, s1
	s_delay_alu instid0(SALU_CYCLE_1)
	s_mov_b32 s1, exec_lo
	s_wait_dscnt 0x0
	s_barrier_signal -1
	s_barrier_wait -1
	v_cmpx_gt_u32_e32 32, v0
	s_cbranch_execz .LBB264_579
; %bb.573:
	s_and_saveexec_b32 s0, vcc_lo
	s_cbranch_execnz .LBB264_585
; %bb.574:
	s_or_b32 exec_lo, exec_lo, s0
	s_and_saveexec_b32 s0, vcc_lo
	s_cbranch_execnz .LBB264_586
.LBB264_575:
	s_or_b32 exec_lo, exec_lo, s0
	s_and_saveexec_b32 s0, vcc_lo
	s_cbranch_execnz .LBB264_587
.LBB264_576:
	s_or_b32 exec_lo, exec_lo, s0
	s_and_saveexec_b32 s0, vcc_lo
	s_cbranch_execz .LBB264_578
.LBB264_577:
	ds_load_b32 v0, v1 offset:192
	s_wait_dscnt 0x0
	v_add_f32_e32 v3, v3, v0
.LBB264_578:
	s_or_b32 exec_lo, exec_lo, s0
.LBB264_579:
	s_delay_alu instid0(SALU_CYCLE_1)
	s_or_b32 exec_lo, exec_lo, s1
	s_mov_b32 s1, 0
	s_barrier_signal -1
	s_barrier_wait -1
	s_mov_b32 s0, exec_lo
	v_cmpx_eq_u32_e32 0, v7
	s_cbranch_execz .LBB264_581
; %bb.580:
	s_mul_i32 s0, s22, s13
	s_mul_i32 s2, s13, s12
	;; [unrolled: 1-line block ×3, first 2 shown]
	s_wait_kmcnt 0x0
	s_lshr_b32 s8, ttmp7, 16
	s_lshl_b32 s4, s0, 6
	s_bfe_u32 s0, ttmp6, 0x40014
	s_ashr_i32 s5, s4, 31
	s_add_co_i32 s0, s0, 1
	s_ashr_i32 s3, s2, 31
	s_mul_i32 s0, s8, s0
	s_bfe_u32 s9, ttmp6, 0x40008
	s_lshl_b64 s[4:5], s[4:5], 1
	s_lshl_b64 s[2:3], s[2:3], 1
	s_add_co_i32 s9, s9, s0
	s_cmp_eq_u32 s20, 0
	s_add_nc_u64 s[4:5], s[6:7], s[4:5]
	s_cselect_b32 s0, s8, s9
	s_add_nc_u64 s[2:3], s[4:5], s[2:3]
	s_lshl_b32 s0, s0, 7
	;;#ASMSTART
	v_cvt_f16_f32 v0, v4;

	;;#ASMEND
	s_add_nc_u64 s[0:1], s[2:3], s[0:1]
	global_store_b16 v24, v0, s[0:1] scale_offset
	s_wait_xcnt 0x0
	;;#ASMSTART
	v_cvt_f16_f32 v0, v5;

	;;#ASMEND
	global_store_b16 v24, v0, s[0:1] offset:32 scale_offset
	s_wait_xcnt 0x0
	;;#ASMSTART
	v_cvt_f16_f32 v0, v2;

	;;#ASMEND
	global_store_b16 v24, v0, s[0:1] offset:64 scale_offset
	;; [unrolled: 6-line block ×3, first 2 shown]
.LBB264_581:
	s_sendmsg sendmsg(MSG_DEALLOC_VGPRS)
	s_endpgm
.LBB264_582:
	ds_load_b32 v7, v1
	s_wait_dscnt 0x0
	v_add_f32_e32 v4, v4, v7
	s_or_b32 exec_lo, exec_lo, s0
	s_and_saveexec_b32 s0, vcc_lo
	s_cbranch_execz .LBB264_566
.LBB264_583:
	ds_load_b32 v7, v1 offset:64
	s_wait_dscnt 0x0
	v_add_f32_e32 v5, v5, v7
	s_or_b32 exec_lo, exec_lo, s0
	s_and_saveexec_b32 s0, vcc_lo
	s_cbranch_execz .LBB264_567
.LBB264_584:
	ds_load_b32 v7, v1 offset:128
	s_wait_dscnt 0x0
	v_add_f32_e32 v2, v2, v7
	s_or_b32 exec_lo, exec_lo, s0
	s_and_saveexec_b32 s0, vcc_lo
	s_cbranch_execnz .LBB264_568
	s_branch .LBB264_569
.LBB264_585:
	ds_load_b32 v0, v1
	s_wait_dscnt 0x0
	v_add_f32_e32 v4, v4, v0
	s_or_b32 exec_lo, exec_lo, s0
	s_and_saveexec_b32 s0, vcc_lo
	s_cbranch_execz .LBB264_575
.LBB264_586:
	ds_load_b32 v0, v1 offset:64
	s_wait_dscnt 0x0
	v_add_f32_e32 v5, v5, v0
	s_or_b32 exec_lo, exec_lo, s0
	s_and_saveexec_b32 s0, vcc_lo
	s_cbranch_execz .LBB264_576
.LBB264_587:
	ds_load_b32 v0, v1 offset:128
	s_wait_dscnt 0x0
	v_add_f32_e32 v2, v2, v0
	s_or_b32 exec_lo, exec_lo, s0
	s_and_saveexec_b32 s0, vcc_lo
	s_cbranch_execnz .LBB264_577
	s_branch .LBB264_578
	.section	.rodata,"a",@progbits
	.p2align	6, 0x0
	.amdhsa_kernel _ZN4vllm25paged_attention_v1_kernelIthLi64ELi16ELi128ELNS_18Fp8KVCacheDataTypeE1ELb0EEEvPT_PKS2_PKT0_S8_ifPKiSA_iPKfiiiSC_SC_iiiii
		.amdhsa_group_segment_fixed_size 160
		.amdhsa_private_segment_fixed_size 0
		.amdhsa_kernarg_size 384
		.amdhsa_user_sgpr_count 2
		.amdhsa_user_sgpr_dispatch_ptr 0
		.amdhsa_user_sgpr_queue_ptr 0
		.amdhsa_user_sgpr_kernarg_segment_ptr 1
		.amdhsa_user_sgpr_dispatch_id 0
		.amdhsa_user_sgpr_kernarg_preload_length 0
		.amdhsa_user_sgpr_kernarg_preload_offset 0
		.amdhsa_user_sgpr_private_segment_size 0
		.amdhsa_wavefront_size32 1
		.amdhsa_uses_dynamic_stack 0
		.amdhsa_enable_private_segment 0
		.amdhsa_system_sgpr_workgroup_id_x 1
		.amdhsa_system_sgpr_workgroup_id_y 1
		.amdhsa_system_sgpr_workgroup_id_z 1
		.amdhsa_system_sgpr_workgroup_info 0
		.amdhsa_system_vgpr_workitem_id 0
		.amdhsa_next_free_vgpr 80
		.amdhsa_next_free_sgpr 32
		.amdhsa_named_barrier_count 0
		.amdhsa_reserve_vcc 1
		.amdhsa_float_round_mode_32 0
		.amdhsa_float_round_mode_16_64 0
		.amdhsa_float_denorm_mode_32 3
		.amdhsa_float_denorm_mode_16_64 3
		.amdhsa_fp16_overflow 0
		.amdhsa_memory_ordered 1
		.amdhsa_forward_progress 1
		.amdhsa_inst_pref_size 167
		.amdhsa_round_robin_scheduling 0
		.amdhsa_exception_fp_ieee_invalid_op 0
		.amdhsa_exception_fp_denorm_src 0
		.amdhsa_exception_fp_ieee_div_zero 0
		.amdhsa_exception_fp_ieee_overflow 0
		.amdhsa_exception_fp_ieee_underflow 0
		.amdhsa_exception_fp_ieee_inexact 0
		.amdhsa_exception_int_div_zero 0
	.end_amdhsa_kernel
	.section	.text._ZN4vllm25paged_attention_v1_kernelIthLi64ELi16ELi128ELNS_18Fp8KVCacheDataTypeE1ELb0EEEvPT_PKS2_PKT0_S8_ifPKiSA_iPKfiiiSC_SC_iiiii,"axG",@progbits,_ZN4vllm25paged_attention_v1_kernelIthLi64ELi16ELi128ELNS_18Fp8KVCacheDataTypeE1ELb0EEEvPT_PKS2_PKT0_S8_ifPKiSA_iPKfiiiSC_SC_iiiii,comdat
.Lfunc_end264:
	.size	_ZN4vllm25paged_attention_v1_kernelIthLi64ELi16ELi128ELNS_18Fp8KVCacheDataTypeE1ELb0EEEvPT_PKS2_PKT0_S8_ifPKiSA_iPKfiiiSC_SC_iiiii, .Lfunc_end264-_ZN4vllm25paged_attention_v1_kernelIthLi64ELi16ELi128ELNS_18Fp8KVCacheDataTypeE1ELb0EEEvPT_PKS2_PKT0_S8_ifPKiSA_iPKfiiiSC_SC_iiiii
                                        ; -- End function
	.set _ZN4vllm25paged_attention_v1_kernelIthLi64ELi16ELi128ELNS_18Fp8KVCacheDataTypeE1ELb0EEEvPT_PKS2_PKT0_S8_ifPKiSA_iPKfiiiSC_SC_iiiii.num_vgpr, 80
	.set _ZN4vllm25paged_attention_v1_kernelIthLi64ELi16ELi128ELNS_18Fp8KVCacheDataTypeE1ELb0EEEvPT_PKS2_PKT0_S8_ifPKiSA_iPKfiiiSC_SC_iiiii.num_agpr, 0
	.set _ZN4vllm25paged_attention_v1_kernelIthLi64ELi16ELi128ELNS_18Fp8KVCacheDataTypeE1ELb0EEEvPT_PKS2_PKT0_S8_ifPKiSA_iPKfiiiSC_SC_iiiii.numbered_sgpr, 32
	.set _ZN4vllm25paged_attention_v1_kernelIthLi64ELi16ELi128ELNS_18Fp8KVCacheDataTypeE1ELb0EEEvPT_PKS2_PKT0_S8_ifPKiSA_iPKfiiiSC_SC_iiiii.num_named_barrier, 0
	.set _ZN4vllm25paged_attention_v1_kernelIthLi64ELi16ELi128ELNS_18Fp8KVCacheDataTypeE1ELb0EEEvPT_PKS2_PKT0_S8_ifPKiSA_iPKfiiiSC_SC_iiiii.private_seg_size, 0
	.set _ZN4vllm25paged_attention_v1_kernelIthLi64ELi16ELi128ELNS_18Fp8KVCacheDataTypeE1ELb0EEEvPT_PKS2_PKT0_S8_ifPKiSA_iPKfiiiSC_SC_iiiii.uses_vcc, 1
	.set _ZN4vllm25paged_attention_v1_kernelIthLi64ELi16ELi128ELNS_18Fp8KVCacheDataTypeE1ELb0EEEvPT_PKS2_PKT0_S8_ifPKiSA_iPKfiiiSC_SC_iiiii.uses_flat_scratch, 0
	.set _ZN4vllm25paged_attention_v1_kernelIthLi64ELi16ELi128ELNS_18Fp8KVCacheDataTypeE1ELb0EEEvPT_PKS2_PKT0_S8_ifPKiSA_iPKfiiiSC_SC_iiiii.has_dyn_sized_stack, 0
	.set _ZN4vllm25paged_attention_v1_kernelIthLi64ELi16ELi128ELNS_18Fp8KVCacheDataTypeE1ELb0EEEvPT_PKS2_PKT0_S8_ifPKiSA_iPKfiiiSC_SC_iiiii.has_recursion, 0
	.set _ZN4vllm25paged_attention_v1_kernelIthLi64ELi16ELi128ELNS_18Fp8KVCacheDataTypeE1ELb0EEEvPT_PKS2_PKT0_S8_ifPKiSA_iPKfiiiSC_SC_iiiii.has_indirect_call, 0
	.section	.AMDGPU.csdata,"",@progbits
; Kernel info:
; codeLenInByte = 21252
; TotalNumSgprs: 34
; NumVgprs: 80
; ScratchSize: 0
; MemoryBound: 0
; FloatMode: 240
; IeeeMode: 1
; LDSByteSize: 160 bytes/workgroup (compile time only)
; SGPRBlocks: 0
; VGPRBlocks: 4
; NumSGPRsForWavesPerEU: 34
; NumVGPRsForWavesPerEU: 80
; NamedBarCnt: 0
; Occupancy: 12
; WaveLimiterHint : 1
; COMPUTE_PGM_RSRC2:SCRATCH_EN: 0
; COMPUTE_PGM_RSRC2:USER_SGPR: 2
; COMPUTE_PGM_RSRC2:TRAP_HANDLER: 0
; COMPUTE_PGM_RSRC2:TGID_X_EN: 1
; COMPUTE_PGM_RSRC2:TGID_Y_EN: 1
; COMPUTE_PGM_RSRC2:TGID_Z_EN: 1
; COMPUTE_PGM_RSRC2:TIDIG_COMP_CNT: 0
	.section	.text._ZN4vllm25paged_attention_v1_kernelIthLi80ELi16ELi128ELNS_18Fp8KVCacheDataTypeE1ELb0EEEvPT_PKS2_PKT0_S8_ifPKiSA_iPKfiiiSC_SC_iiiii,"axG",@progbits,_ZN4vllm25paged_attention_v1_kernelIthLi80ELi16ELi128ELNS_18Fp8KVCacheDataTypeE1ELb0EEEvPT_PKS2_PKT0_S8_ifPKiSA_iPKfiiiSC_SC_iiiii,comdat
	.protected	_ZN4vllm25paged_attention_v1_kernelIthLi80ELi16ELi128ELNS_18Fp8KVCacheDataTypeE1ELb0EEEvPT_PKS2_PKT0_S8_ifPKiSA_iPKfiiiSC_SC_iiiii ; -- Begin function _ZN4vllm25paged_attention_v1_kernelIthLi80ELi16ELi128ELNS_18Fp8KVCacheDataTypeE1ELb0EEEvPT_PKS2_PKT0_S8_ifPKiSA_iPKfiiiSC_SC_iiiii
	.globl	_ZN4vllm25paged_attention_v1_kernelIthLi80ELi16ELi128ELNS_18Fp8KVCacheDataTypeE1ELb0EEEvPT_PKS2_PKT0_S8_ifPKiSA_iPKfiiiSC_SC_iiiii
	.p2align	8
	.type	_ZN4vllm25paged_attention_v1_kernelIthLi80ELi16ELi128ELNS_18Fp8KVCacheDataTypeE1ELb0EEEvPT_PKS2_PKT0_S8_ifPKiSA_iPKfiiiSC_SC_iiiii,@function
_ZN4vllm25paged_attention_v1_kernelIthLi80ELi16ELi128ELNS_18Fp8KVCacheDataTypeE1ELb0EEEvPT_PKS2_PKT0_S8_ifPKiSA_iPKfiiiSC_SC_iiiii: ; @_ZN4vllm25paged_attention_v1_kernelIthLi80ELi16ELi128ELNS_18Fp8KVCacheDataTypeE1ELb0EEEvPT_PKS2_PKT0_S8_ifPKiSA_iPKfiiiSC_SC_iiiii
; %bb.0:
	s_load_b64 s[6:7], s[0:1], 0x20
	s_bfe_u32 s3, ttmp6, 0x4000c
	s_bfe_u32 s5, ttmp6, 0x40010
	s_and_b32 s4, ttmp7, 0xffff
	s_add_co_i32 s3, s3, 1
	s_add_co_i32 s5, s5, 1
	s_and_b32 s2, ttmp6, 15
	s_bfe_u32 s8, ttmp6, 0x40004
	s_mul_i32 s3, ttmp9, s3
	s_mul_i32 s5, s4, s5
	s_getreg_b32 s20, hwreg(HW_REG_IB_STS2, 6, 4)
	s_add_co_i32 s2, s2, s3
	s_add_co_i32 s8, s8, s5
	s_cmp_eq_u32 s20, 0
	s_clause 0x1
	s_load_b32 s21, s[0:1], 0x80
	s_load_b64 s[10:11], s[0:1], 0x30
	s_cselect_b32 s22, s4, s8
	s_cselect_b32 s8, ttmp9, s2
	s_wait_kmcnt 0x0
	s_abs_i32 s2, s6
	s_delay_alu instid0(SALU_CYCLE_1) | instskip(SKIP_1) | instid1(SALU_CYCLE_2)
	s_cvt_f32_u32 s3, s2
	s_sub_co_i32 s4, 0, s2
	v_rcp_iflag_f32_e32 v1, s3
	s_abs_i32 s5, s21
	v_nop
	s_delay_alu instid0(TRANS32_DEP_1) | instskip(SKIP_1) | instid1(SALU_CYCLE_3)
	v_readfirstlane_b32 s3, v1
	s_mul_f32 s3, s3, 0x4f7ffffe
	s_cvt_u32_f32 s3, s3
	s_delay_alu instid0(SALU_CYCLE_3) | instskip(NEXT) | instid1(SALU_CYCLE_1)
	s_mul_i32 s4, s4, s3
	s_mul_hi_u32 s4, s3, s4
	s_delay_alu instid0(SALU_CYCLE_1) | instskip(SKIP_4) | instid1(SALU_CYCLE_1)
	s_add_co_i32 s3, s3, s4
	s_xor_b32 s4, s21, s6
	s_mul_hi_u32 s3, s5, s3
	s_ashr_i32 s4, s4, 31
	s_mul_i32 s6, s3, s2
	s_sub_co_i32 s5, s5, s6
	s_add_co_i32 s6, s3, 1
	s_sub_co_i32 s9, s5, s2
	s_cmp_ge_u32 s5, s2
	s_cselect_b32 s3, s6, s3
	s_cselect_b32 s5, s9, s5
	s_add_co_i32 s6, s3, 1
	s_cmp_ge_u32 s5, s2
	s_cselect_b32 s2, s6, s3
	s_mov_b32 s3, 0
	s_xor_b32 s2, s2, s4
	s_mov_b32 s13, s3
	s_sub_co_i32 s15, s2, s4
	s_load_b64 s[4:5], s[0:1], 0x40
	s_abs_i32 s14, s15
	s_mov_b32 s25, s3
	s_cvt_f32_u32 s2, s14
	s_delay_alu instid0(SALU_CYCLE_3) | instskip(SKIP_1) | instid1(TRANS32_DEP_1)
	v_rcp_iflag_f32_e32 v1, s2
	v_nop
	v_readfirstlane_b32 s2, v1
	s_mul_f32 s2, s2, 0x4f7ffffe
	s_delay_alu instid0(SALU_CYCLE_3) | instskip(SKIP_1) | instid1(SALU_CYCLE_2)
	s_cvt_u32_f32 s6, s2
	s_sub_co_i32 s2, 0, s14
	s_mul_i32 s2, s2, s6
	s_delay_alu instid0(SALU_CYCLE_1)
	s_mul_hi_u32 s9, s6, s2
	s_abs_i32 s2, s8
	s_add_co_i32 s12, s6, s9
	s_wait_kmcnt 0x0
	s_cmp_eq_u64 s[4:5], 0
	s_cbranch_scc1 .LBB265_2
; %bb.1:
	s_ashr_i32 s9, s8, 31
	s_delay_alu instid0(SALU_CYCLE_1) | instskip(NEXT) | instid1(SALU_CYCLE_1)
	s_lshl_b64 s[16:17], s[8:9], 2
	s_add_nc_u64 s[4:5], s[4:5], s[16:17]
	s_load_b32 s25, s[4:5], 0x0
.LBB265_2:
	s_load_b32 s23, s[10:11], s22 offset:0x0 scale_offset
	s_wait_xcnt 0x0
	s_load_b96 s[4:6], s[0:1], 0x48
	v_dual_lshrrev_b32 v24, 1, v0 :: v_dual_bitop2_b32 v25, 1, v0 bitop3:0x40
	s_ashr_i32 s9, s8, 31
	s_ashr_i32 s15, s15, 31
	s_mul_u64 s[10:11], s[2:3], s[12:13]
	s_mul_i32 s12, s8, 0x50
	s_mov_b32 s3, exec_lo
	v_cmpx_gt_u32_e32 20, v0
	s_cbranch_execz .LBB265_4
; %bb.3:
	s_load_b64 s[16:17], s[0:1], 0x8
	s_wait_kmcnt 0x0
	s_mul_i32 s18, s4, s22
	s_ashr_i32 s13, s12, 31
	s_ashr_i32 s19, s18, 31
	v_lshlrev_b32_e32 v1, 3, v24
	s_lshl_b64 s[18:19], s[18:19], 1
	s_delay_alu instid0(VALU_DEP_1) | instskip(SKIP_2) | instid1(SALU_CYCLE_1)
	v_mad_u32_u24 v1, 0x50, v25, v1
	s_add_nc_u64 s[16:17], s[16:17], s[18:19]
	s_lshl_b64 s[18:19], s[12:13], 1
	s_add_nc_u64 s[16:17], s[16:17], s[18:19]
	global_load_b64 v[2:3], v0, s[16:17] scale_offset
	s_wait_loadcnt 0x0
	ds_store_b64 v1, v[2:3]
.LBB265_4:
	s_or_b32 exec_lo, exec_lo, s3
	s_wait_kmcnt 0x0
	s_add_co_i32 s3, s23, 15
	s_load_b32 s4, s[0:1], 0x38
	s_ashr_i32 s8, s3, 31
	s_mul_i32 s10, s11, s14
	s_lshr_b32 s8, s8, 28
	s_sub_co_i32 s2, s2, s10
	s_add_co_i32 s3, s3, s8
	s_xor_b32 s9, s9, s15
	s_ashr_i32 s24, s3, 4
	s_add_co_i32 s3, s11, 1
	s_sub_co_i32 s8, s2, s14
	s_cmp_ge_u32 s2, s14
	v_lshrrev_b32_e32 v26, 5, v0
	s_cselect_b32 s3, s3, s11
	s_cselect_b32 s2, s8, s2
	s_add_co_i32 s8, s3, 1
	s_cmp_ge_u32 s2, s14
	v_mbcnt_lo_u32_b32 v11, -1, 0
	s_cselect_b32 s2, s8, s3
	s_wait_dscnt 0x0
	s_xor_b32 s2, s2, s9
	s_wait_kmcnt 0x0
	s_mul_i32 s14, s4, s22
	s_sub_co_i32 s3, s2, s9
	v_cmp_gt_i32_e64 s2, s24, v26
	s_ashr_i32 s15, s14, 31
	s_mov_b32 s4, exec_lo
	s_barrier_signal -1
	s_barrier_wait -1
                                        ; implicit-def: $vgpr3
                                        ; implicit-def: $vgpr12
	v_cmpx_le_i32_e64 s24, v26
	s_xor_b32 s4, exec_lo, s4
; %bb.5:
	v_dual_mov_b32 v3, 0 :: v_dual_mov_b32 v12, 32
	v_mbcnt_lo_u32_b32 v11, -1, 0
; %bb.6:
	s_or_saveexec_b32 s26, s4
	s_clause 0x2
	s_load_b32 s13, s[0:1], 0x88
	s_load_b64 s[16:17], s[0:1], 0x28
	s_load_b128 s[8:11], s[0:1], 0x58
	v_mov_b32_e32 v13, 0xff7fffff
	v_lshrrev_b32_e32 v1, 3, v0
	s_mul_i32 s18, s3, s6
	s_xor_b32 exec_lo, exec_lo, s26
	s_cbranch_execz .LBB265_332
; %bb.7:
	s_load_b64 s[28:29], s[0:1], 0x10
	v_bfe_u32 v6, v0, 1, 4
	v_mov_b32_e32 v3, 0
	s_ashr_i32 s19, s18, 31
	s_cmp_neq_f32 s25, 0
	v_mul_u32_u24_e32 v14, 0x50, v25
	v_dual_lshlrev_b32 v2, 4, v6 :: v_dual_lshlrev_b32 v7, 2, v6
	s_cselect_b32 s3, -1, 0
	v_lshl_or_b32 v15, v26, 4, v6
	v_dual_mov_b32 v13, 0xff7fffff :: v_dual_mov_b32 v12, 32
	s_mov_b32 s6, 0
	s_sub_co_i32 s27, 1, s23
	v_cmp_eq_u32_e32 vcc_lo, 0, v25
	v_mov_b32_e32 v17, v26
	s_wait_kmcnt 0x0
	s_add_nc_u64 s[28:29], s[28:29], s[18:19]
	s_mov_b32 s19, s5
	v_add_nc_u64_e32 v[4:5], s[28:29], v[2:3]
	v_lshlrev_b32_e32 v2, 2, v25
	v_lshl_or_b32 v7, v26, 6, v7
	s_lshl_b64 s[28:29], s[14:15], 2
	s_delay_alu instid0(SALU_CYCLE_1) | instskip(NEXT) | instid1(VALU_DEP_1)
	s_add_nc_u64 s[28:29], s[16:17], s[28:29]
	v_add_nc_u32_e32 v16, 0xc0, v7
	s_delay_alu instid0(VALU_DEP_4) | instskip(SKIP_1) | instid1(VALU_DEP_1)
	v_add_nc_u64_e32 v[4:5], v[4:5], v[2:3]
	v_and_b32_e32 v2, 0x7c, v1
	v_add_nc_u64_e32 v[6:7], s[28:29], v[2:3]
	s_branch .LBB265_9
.LBB265_8:                              ;   in Loop: Header=BB265_9 Depth=1
	s_or_b32 exec_lo, exec_lo, s28
	v_dual_add_nc_u32 v17, 4, v17 :: v_dual_add_nc_u32 v15, 64, v15
	v_add_nc_u64_e32 v[6:7], 16, v[6:7]
	v_add_nc_u32_e32 v16, 0x100, v16
	s_delay_alu instid0(VALU_DEP_3) | instskip(SKIP_1) | instid1(SALU_CYCLE_1)
	v_cmp_le_i32_e64 s4, s24, v17
	s_or_b32 s6, s4, s6
	s_and_not1_b32 exec_lo, exec_lo, s6
	s_cbranch_execz .LBB265_331
.LBB265_9:                              ; =>This Inner Loop Header: Depth=1
	global_load_b32 v2, v[6:7], off
	v_dual_mov_b32 v19, 0 :: v_dual_mov_b32 v20, 0
	s_mov_b32 s28, exec_lo
	global_load_b32 v18, v19, s[8:9]
	s_wait_loadcnt_dscnt 0x100
	v_mad_nc_i64_i32 v[8:9], v2, s19, v[4:5]
	global_load_b32 v10, v[8:9], off
	s_wait_loadcnt 0x0
	v_and_b32_e32 v2, 0xff, v10
	s_wait_xcnt 0x0
	s_delay_alu instid0(VALU_DEP_1)
	v_cmpx_ne_u16_e32 0, v2
	s_cbranch_execz .LBB265_17
; %bb.10:                               ;   in Loop: Header=BB265_9 Depth=1
	v_mov_b32_e32 v20, 0x8000
	s_mov_b32 s29, exec_lo
	v_cmpx_ne_u16_e32 0x80, v2
	s_cbranch_execz .LBB265_16
; %bb.11:                               ;   in Loop: Header=BB265_9 Depth=1
	v_and_b32_e32 v21, 0x7f, v10
	v_mov_b32_e32 v20, 0x7c01
	s_mov_b32 s30, exec_lo
	s_delay_alu instid0(VALU_DEP_2)
	v_cmpx_ne_u32_e32 0x7f, v21
	s_cbranch_execz .LBB265_15
; %bb.12:                               ;   in Loop: Header=BB265_9 Depth=1
	v_dual_lshrrev_b32 v20, 3, v21 :: v_dual_bitop2_b32 v2, 7, v10 bitop3:0x40
	s_mov_b32 s31, exec_lo
	v_cmpx_gt_u32_e32 8, v21
; %bb.13:                               ;   in Loop: Header=BB265_9 Depth=1
	s_delay_alu instid0(VALU_DEP_2) | instskip(NEXT) | instid1(VALU_DEP_1)
	v_clz_i32_u32_e32 v2, v2
	v_min_u32_e32 v2, 32, v2
	s_delay_alu instid0(VALU_DEP_1) | instskip(NEXT) | instid1(VALU_DEP_1)
	v_subrev_nc_u32_e32 v20, 28, v2
	v_lshlrev_b64_e32 v[22:23], v20, v[10:11]
	v_sub_nc_u32_e32 v20, 29, v2
	s_delay_alu instid0(VALU_DEP_2)
	v_and_b32_e32 v2, 7, v22
; %bb.14:                               ;   in Loop: Header=BB265_9 Depth=1
	s_or_b32 exec_lo, exec_lo, s31
	v_lshlrev_b32_e32 v21, 8, v10
	s_delay_alu instid0(VALU_DEP_3) | instskip(NEXT) | instid1(VALU_DEP_3)
	v_lshl_add_u32 v20, v20, 10, 0x2000
	v_lshlrev_b32_e32 v2, 7, v2
	s_delay_alu instid0(VALU_DEP_3) | instskip(NEXT) | instid1(VALU_DEP_3)
	v_and_b32_e32 v21, 0x8000, v21
	v_and_b32_e32 v20, 0xfc00, v20
	s_delay_alu instid0(VALU_DEP_1)
	v_or3_b32 v20, v21, v20, v2
.LBB265_15:                             ;   in Loop: Header=BB265_9 Depth=1
	s_or_b32 exec_lo, exec_lo, s30
.LBB265_16:                             ;   in Loop: Header=BB265_9 Depth=1
	s_delay_alu instid0(SALU_CYCLE_1)
	s_or_b32 exec_lo, exec_lo, s29
.LBB265_17:                             ;   in Loop: Header=BB265_9 Depth=1
	s_delay_alu instid0(SALU_CYCLE_1) | instskip(SKIP_2) | instid1(VALU_DEP_1)
	s_or_b32 exec_lo, exec_lo, s28
	v_lshrrev_b16 v2, 8, v10
	s_mov_b32 s28, exec_lo
	v_cmpx_ne_u16_e32 0, v2
	s_cbranch_execz .LBB265_25
; %bb.18:                               ;   in Loop: Header=BB265_9 Depth=1
	v_bfrev_b32_e32 v19, 1
	s_mov_b32 s29, exec_lo
	v_cmpx_ne_u16_e32 0x80, v2
	s_cbranch_execz .LBB265_24
; %bb.19:                               ;   in Loop: Header=BB265_9 Depth=1
	v_and_b32_e32 v21, 0xffff, v2
	v_mov_b32_e32 v19, 0x7c010000
	s_mov_b32 s30, exec_lo
	s_delay_alu instid0(VALU_DEP_2) | instskip(NEXT) | instid1(VALU_DEP_1)
	v_and_b32_e32 v23, 0x7f, v21
	v_cmpx_ne_u32_e32 0x7f, v23
	s_cbranch_execz .LBB265_23
; %bb.20:                               ;   in Loop: Header=BB265_9 Depth=1
	v_dual_lshrrev_b32 v22, 3, v23 :: v_dual_bitop2_b32 v19, 7, v21 bitop3:0x40
	s_mov_b32 s31, exec_lo
	v_cmpx_gt_u32_e32 8, v23
; %bb.21:                               ;   in Loop: Header=BB265_9 Depth=1
	s_delay_alu instid0(VALU_DEP_2) | instskip(NEXT) | instid1(VALU_DEP_1)
	v_clz_i32_u32_e32 v19, v19
	v_min_u32_e32 v19, 32, v19
	s_delay_alu instid0(VALU_DEP_1) | instskip(NEXT) | instid1(VALU_DEP_1)
	v_subrev_nc_u32_e32 v22, 28, v19
	v_lshlrev_b64_e32 v[28:29], v22, v[2:3]
	s_delay_alu instid0(VALU_DEP_1)
	v_dual_sub_nc_u32 v22, 29, v19 :: v_dual_bitop2_b32 v19, 7, v28 bitop3:0x40
; %bb.22:                               ;   in Loop: Header=BB265_9 Depth=1
	s_or_b32 exec_lo, exec_lo, s31
	s_delay_alu instid0(VALU_DEP_1) | instskip(NEXT) | instid1(VALU_DEP_2)
	v_dual_lshlrev_b32 v2, 8, v21 :: v_dual_lshlrev_b32 v19, 23, v19
	v_lshl_add_u32 v21, v22, 10, 0x2000
	s_delay_alu instid0(VALU_DEP_1) | instskip(NEXT) | instid1(VALU_DEP_1)
	v_and_or_b32 v2, 0x8000, v2, v21
	v_lshl_or_b32 v19, v2, 16, v19
.LBB265_23:                             ;   in Loop: Header=BB265_9 Depth=1
	s_or_b32 exec_lo, exec_lo, s30
.LBB265_24:                             ;   in Loop: Header=BB265_9 Depth=1
	s_delay_alu instid0(SALU_CYCLE_1)
	s_or_b32 exec_lo, exec_lo, s29
.LBB265_25:                             ;   in Loop: Header=BB265_9 Depth=1
	s_delay_alu instid0(SALU_CYCLE_1) | instskip(SKIP_3) | instid1(VALU_DEP_2)
	s_or_b32 exec_lo, exec_lo, s28
	v_dual_mov_b32 v21, 0 :: v_dual_lshrrev_b32 v2, 16, v10
	v_mov_b32_e32 v22, 0
	s_mov_b32 s28, exec_lo
	v_and_b32_e32 v23, 0xff, v2
	s_delay_alu instid0(VALU_DEP_1)
	v_cmpx_ne_u16_e32 0, v23
	s_cbranch_execz .LBB265_33
; %bb.26:                               ;   in Loop: Header=BB265_9 Depth=1
	v_mov_b32_e32 v22, 0x8000
	s_mov_b32 s29, exec_lo
	v_cmpx_ne_u16_e32 0x80, v23
	s_cbranch_execz .LBB265_32
; %bb.27:                               ;   in Loop: Header=BB265_9 Depth=1
	v_bfe_u32 v27, v10, 16, 7
	v_mov_b32_e32 v22, 0x7c01
	s_mov_b32 s30, exec_lo
	s_delay_alu instid0(VALU_DEP_2)
	v_cmpx_ne_u32_e32 0x7f, v27
	s_cbranch_execz .LBB265_31
; %bb.28:                               ;   in Loop: Header=BB265_9 Depth=1
	v_dual_lshrrev_b32 v23, 3, v27 :: v_dual_bitop2_b32 v22, 7, v2 bitop3:0x40
	s_mov_b32 s31, exec_lo
	v_cmpx_gt_u32_e32 8, v27
; %bb.29:                               ;   in Loop: Header=BB265_9 Depth=1
	s_delay_alu instid0(VALU_DEP_2) | instskip(NEXT) | instid1(VALU_DEP_1)
	v_clz_i32_u32_e32 v22, v22
	v_min_u32_e32 v27, 32, v22
	s_delay_alu instid0(VALU_DEP_1) | instskip(NEXT) | instid1(VALU_DEP_1)
	v_subrev_nc_u32_e32 v22, 28, v27
	v_lshlrev_b64_e32 v[22:23], v22, v[2:3]
	s_delay_alu instid0(VALU_DEP_1)
	v_dual_sub_nc_u32 v23, 29, v27 :: v_dual_bitop2_b32 v22, 7, v22 bitop3:0x40
; %bb.30:                               ;   in Loop: Header=BB265_9 Depth=1
	s_or_b32 exec_lo, exec_lo, s31
	v_lshlrev_b32_e32 v2, 8, v2
	s_delay_alu instid0(VALU_DEP_2) | instskip(NEXT) | instid1(VALU_DEP_3)
	v_lshl_add_u32 v23, v23, 10, 0x2000
	v_lshlrev_b32_e32 v22, 7, v22
	s_delay_alu instid0(VALU_DEP_3) | instskip(NEXT) | instid1(VALU_DEP_3)
	v_and_b32_e32 v2, 0x8000, v2
	v_and_b32_e32 v23, 0xfc00, v23
	s_delay_alu instid0(VALU_DEP_1)
	v_or3_b32 v22, v2, v23, v22
.LBB265_31:                             ;   in Loop: Header=BB265_9 Depth=1
	s_or_b32 exec_lo, exec_lo, s30
.LBB265_32:                             ;   in Loop: Header=BB265_9 Depth=1
	s_delay_alu instid0(SALU_CYCLE_1)
	s_or_b32 exec_lo, exec_lo, s29
.LBB265_33:                             ;   in Loop: Header=BB265_9 Depth=1
	s_delay_alu instid0(SALU_CYCLE_1) | instskip(NEXT) | instid1(SALU_CYCLE_1)
	s_or_b32 exec_lo, exec_lo, s28
	s_mov_b32 s28, exec_lo
	v_cmpx_lt_u32_e32 0xffffff, v10
	s_cbranch_execz .LBB265_41
; %bb.34:                               ;   in Loop: Header=BB265_9 Depth=1
	v_lshrrev_b32_e32 v2, 24, v10
	v_bfrev_b32_e32 v21, 1
	s_mov_b32 s29, exec_lo
	s_delay_alu instid0(VALU_DEP_2)
	v_cmpx_ne_u32_e32 0x80, v2
	s_cbranch_execz .LBB265_40
; %bb.35:                               ;   in Loop: Header=BB265_9 Depth=1
	v_and_b32_e32 v23, 0x7f, v2
	v_mov_b32_e32 v21, 0x7c010000
	s_mov_b32 s30, exec_lo
	s_delay_alu instid0(VALU_DEP_2)
	v_cmpx_ne_u32_e32 0x7f, v23
	s_cbranch_execz .LBB265_39
; %bb.36:                               ;   in Loop: Header=BB265_9 Depth=1
	v_dual_lshrrev_b32 v21, 3, v23 :: v_dual_bitop2_b32 v10, 7, v2 bitop3:0x40
	s_mov_b32 s31, exec_lo
	v_cmpx_gt_u32_e32 8, v23
; %bb.37:                               ;   in Loop: Header=BB265_9 Depth=1
	s_delay_alu instid0(VALU_DEP_2) | instskip(NEXT) | instid1(VALU_DEP_1)
	v_clz_i32_u32_e32 v10, v10
	v_min_u32_e32 v10, 32, v10
	s_delay_alu instid0(VALU_DEP_1) | instskip(NEXT) | instid1(VALU_DEP_1)
	v_subrev_nc_u32_e32 v21, 28, v10
	v_lshlrev_b64_e32 v[28:29], v21, v[2:3]
	s_delay_alu instid0(VALU_DEP_1)
	v_dual_sub_nc_u32 v21, 29, v10 :: v_dual_bitop2_b32 v10, 7, v28 bitop3:0x40
; %bb.38:                               ;   in Loop: Header=BB265_9 Depth=1
	s_or_b32 exec_lo, exec_lo, s31
	v_lshlrev_b32_e32 v2, 8, v2
	s_delay_alu instid0(VALU_DEP_2) | instskip(NEXT) | instid1(VALU_DEP_3)
	v_lshl_add_u32 v21, v21, 10, 0x2000
	v_lshlrev_b32_e32 v10, 23, v10
	s_delay_alu instid0(VALU_DEP_2) | instskip(NEXT) | instid1(VALU_DEP_1)
	v_and_or_b32 v2, 0x8000, v2, v21
	v_lshl_or_b32 v21, v2, 16, v10
.LBB265_39:                             ;   in Loop: Header=BB265_9 Depth=1
	s_or_b32 exec_lo, exec_lo, s30
.LBB265_40:                             ;   in Loop: Header=BB265_9 Depth=1
	s_delay_alu instid0(SALU_CYCLE_1)
	s_or_b32 exec_lo, exec_lo, s29
.LBB265_41:                             ;   in Loop: Header=BB265_9 Depth=1
	s_delay_alu instid0(SALU_CYCLE_1)
	s_or_b32 exec_lo, exec_lo, s28
	global_load_b32 v10, v[8:9], off offset:8
	v_dual_mov_b32 v23, 0 :: v_dual_mov_b32 v27, 0
	s_mov_b32 s28, exec_lo
	s_wait_loadcnt 0x0
	v_and_b32_e32 v2, 0xff, v10
	s_delay_alu instid0(VALU_DEP_1)
	v_cmpx_ne_u16_e32 0, v2
	s_cbranch_execz .LBB265_49
; %bb.42:                               ;   in Loop: Header=BB265_9 Depth=1
	v_mov_b32_e32 v27, 0x8000
	s_mov_b32 s29, exec_lo
	v_cmpx_ne_u16_e32 0x80, v2
	s_cbranch_execz .LBB265_48
; %bb.43:                               ;   in Loop: Header=BB265_9 Depth=1
	v_and_b32_e32 v28, 0x7f, v10
	v_mov_b32_e32 v27, 0x7c01
	s_mov_b32 s30, exec_lo
	s_delay_alu instid0(VALU_DEP_2)
	v_cmpx_ne_u32_e32 0x7f, v28
	s_cbranch_execz .LBB265_47
; %bb.44:                               ;   in Loop: Header=BB265_9 Depth=1
	v_dual_lshrrev_b32 v27, 3, v28 :: v_dual_bitop2_b32 v2, 7, v10 bitop3:0x40
	s_mov_b32 s31, exec_lo
	v_cmpx_gt_u32_e32 8, v28
; %bb.45:                               ;   in Loop: Header=BB265_9 Depth=1
	s_delay_alu instid0(VALU_DEP_2) | instskip(NEXT) | instid1(VALU_DEP_1)
	v_clz_i32_u32_e32 v2, v2
	v_min_u32_e32 v2, 32, v2
	s_delay_alu instid0(VALU_DEP_1) | instskip(NEXT) | instid1(VALU_DEP_1)
	v_subrev_nc_u32_e32 v27, 28, v2
	v_lshlrev_b64_e32 v[28:29], v27, v[10:11]
	s_delay_alu instid0(VALU_DEP_1)
	v_dual_sub_nc_u32 v27, 29, v2 :: v_dual_bitop2_b32 v2, 7, v28 bitop3:0x40
; %bb.46:                               ;   in Loop: Header=BB265_9 Depth=1
	s_or_b32 exec_lo, exec_lo, s31
	v_lshlrev_b32_e32 v28, 8, v10
	s_delay_alu instid0(VALU_DEP_2) | instskip(NEXT) | instid1(VALU_DEP_3)
	v_lshl_add_u32 v27, v27, 10, 0x2000
	v_lshlrev_b32_e32 v2, 7, v2
	s_delay_alu instid0(VALU_DEP_3) | instskip(NEXT) | instid1(VALU_DEP_3)
	v_and_b32_e32 v28, 0x8000, v28
	v_and_b32_e32 v27, 0xfc00, v27
	s_delay_alu instid0(VALU_DEP_1)
	v_or3_b32 v27, v28, v27, v2
.LBB265_47:                             ;   in Loop: Header=BB265_9 Depth=1
	s_or_b32 exec_lo, exec_lo, s30
.LBB265_48:                             ;   in Loop: Header=BB265_9 Depth=1
	s_delay_alu instid0(SALU_CYCLE_1)
	s_or_b32 exec_lo, exec_lo, s29
.LBB265_49:                             ;   in Loop: Header=BB265_9 Depth=1
	s_delay_alu instid0(SALU_CYCLE_1) | instskip(SKIP_2) | instid1(VALU_DEP_1)
	s_or_b32 exec_lo, exec_lo, s28
	v_lshrrev_b16 v2, 8, v10
	s_mov_b32 s28, exec_lo
	v_cmpx_ne_u16_e32 0, v2
	s_cbranch_execz .LBB265_57
; %bb.50:                               ;   in Loop: Header=BB265_9 Depth=1
	v_bfrev_b32_e32 v23, 1
	s_mov_b32 s29, exec_lo
	v_cmpx_ne_u16_e32 0x80, v2
	s_cbranch_execz .LBB265_56
; %bb.51:                               ;   in Loop: Header=BB265_9 Depth=1
	v_and_b32_e32 v28, 0xffff, v2
	v_mov_b32_e32 v23, 0x7c010000
	s_mov_b32 s30, exec_lo
	s_delay_alu instid0(VALU_DEP_2) | instskip(NEXT) | instid1(VALU_DEP_1)
	v_and_b32_e32 v30, 0x7f, v28
	v_cmpx_ne_u32_e32 0x7f, v30
	s_cbranch_execz .LBB265_55
; %bb.52:                               ;   in Loop: Header=BB265_9 Depth=1
	v_dual_lshrrev_b32 v29, 3, v30 :: v_dual_bitop2_b32 v23, 7, v28 bitop3:0x40
	s_mov_b32 s31, exec_lo
	v_cmpx_gt_u32_e32 8, v30
; %bb.53:                               ;   in Loop: Header=BB265_9 Depth=1
	s_delay_alu instid0(VALU_DEP_2) | instskip(NEXT) | instid1(VALU_DEP_1)
	v_clz_i32_u32_e32 v23, v23
	v_min_u32_e32 v23, 32, v23
	s_delay_alu instid0(VALU_DEP_1) | instskip(NEXT) | instid1(VALU_DEP_1)
	v_subrev_nc_u32_e32 v29, 28, v23
	v_lshlrev_b64_e32 v[30:31], v29, v[2:3]
	s_delay_alu instid0(VALU_DEP_1)
	v_dual_sub_nc_u32 v29, 29, v23 :: v_dual_bitop2_b32 v23, 7, v30 bitop3:0x40
; %bb.54:                               ;   in Loop: Header=BB265_9 Depth=1
	s_or_b32 exec_lo, exec_lo, s31
	s_delay_alu instid0(VALU_DEP_1) | instskip(NEXT) | instid1(VALU_DEP_2)
	v_dual_lshlrev_b32 v2, 8, v28 :: v_dual_lshlrev_b32 v23, 23, v23
	v_lshl_add_u32 v28, v29, 10, 0x2000
	s_delay_alu instid0(VALU_DEP_1) | instskip(NEXT) | instid1(VALU_DEP_1)
	v_and_or_b32 v2, 0x8000, v2, v28
	v_lshl_or_b32 v23, v2, 16, v23
.LBB265_55:                             ;   in Loop: Header=BB265_9 Depth=1
	s_or_b32 exec_lo, exec_lo, s30
.LBB265_56:                             ;   in Loop: Header=BB265_9 Depth=1
	s_delay_alu instid0(SALU_CYCLE_1)
	s_or_b32 exec_lo, exec_lo, s29
.LBB265_57:                             ;   in Loop: Header=BB265_9 Depth=1
	s_delay_alu instid0(SALU_CYCLE_1) | instskip(SKIP_3) | instid1(VALU_DEP_2)
	s_or_b32 exec_lo, exec_lo, s28
	v_dual_lshrrev_b32 v2, 16, v10 :: v_dual_mov_b32 v28, 0
	v_mov_b32_e32 v29, 0
	s_mov_b32 s28, exec_lo
	v_and_b32_e32 v30, 0xff, v2
	s_delay_alu instid0(VALU_DEP_1)
	v_cmpx_ne_u16_e32 0, v30
	s_cbranch_execz .LBB265_65
; %bb.58:                               ;   in Loop: Header=BB265_9 Depth=1
	v_mov_b32_e32 v29, 0x8000
	s_mov_b32 s29, exec_lo
	v_cmpx_ne_u16_e32 0x80, v30
	s_cbranch_execz .LBB265_64
; %bb.59:                               ;   in Loop: Header=BB265_9 Depth=1
	v_bfe_u32 v31, v10, 16, 7
	v_mov_b32_e32 v29, 0x7c01
	s_mov_b32 s30, exec_lo
	s_delay_alu instid0(VALU_DEP_2)
	v_cmpx_ne_u32_e32 0x7f, v31
	s_cbranch_execz .LBB265_63
; %bb.60:                               ;   in Loop: Header=BB265_9 Depth=1
	v_dual_lshrrev_b32 v30, 3, v31 :: v_dual_bitop2_b32 v29, 7, v2 bitop3:0x40
	s_mov_b32 s31, exec_lo
	v_cmpx_gt_u32_e32 8, v31
; %bb.61:                               ;   in Loop: Header=BB265_9 Depth=1
	s_delay_alu instid0(VALU_DEP_2) | instskip(NEXT) | instid1(VALU_DEP_1)
	v_clz_i32_u32_e32 v29, v29
	v_min_u32_e32 v29, 32, v29
	s_delay_alu instid0(VALU_DEP_1) | instskip(NEXT) | instid1(VALU_DEP_1)
	v_subrev_nc_u32_e32 v30, 28, v29
	v_lshlrev_b64_e32 v[32:33], v30, v[2:3]
	s_delay_alu instid0(VALU_DEP_1)
	v_dual_sub_nc_u32 v30, 29, v29 :: v_dual_bitop2_b32 v29, 7, v32 bitop3:0x40
; %bb.62:                               ;   in Loop: Header=BB265_9 Depth=1
	s_or_b32 exec_lo, exec_lo, s31
	s_delay_alu instid0(VALU_DEP_1) | instskip(NEXT) | instid1(VALU_DEP_2)
	v_dual_lshlrev_b32 v2, 8, v2 :: v_dual_lshlrev_b32 v29, 7, v29
	v_lshl_add_u32 v30, v30, 10, 0x2000
	s_delay_alu instid0(VALU_DEP_2) | instskip(NEXT) | instid1(VALU_DEP_2)
	v_and_b32_e32 v2, 0x8000, v2
	v_and_b32_e32 v30, 0xfc00, v30
	s_delay_alu instid0(VALU_DEP_1)
	v_or3_b32 v29, v2, v30, v29
.LBB265_63:                             ;   in Loop: Header=BB265_9 Depth=1
	s_or_b32 exec_lo, exec_lo, s30
.LBB265_64:                             ;   in Loop: Header=BB265_9 Depth=1
	s_delay_alu instid0(SALU_CYCLE_1)
	s_or_b32 exec_lo, exec_lo, s29
.LBB265_65:                             ;   in Loop: Header=BB265_9 Depth=1
	s_delay_alu instid0(SALU_CYCLE_1) | instskip(NEXT) | instid1(SALU_CYCLE_1)
	s_or_b32 exec_lo, exec_lo, s28
	s_mov_b32 s28, exec_lo
	v_cmpx_lt_u32_e32 0xffffff, v10
	s_cbranch_execz .LBB265_73
; %bb.66:                               ;   in Loop: Header=BB265_9 Depth=1
	v_lshrrev_b32_e32 v2, 24, v10
	v_bfrev_b32_e32 v28, 1
	s_mov_b32 s29, exec_lo
	s_delay_alu instid0(VALU_DEP_2)
	v_cmpx_ne_u32_e32 0x80, v2
	s_cbranch_execz .LBB265_72
; %bb.67:                               ;   in Loop: Header=BB265_9 Depth=1
	v_and_b32_e32 v30, 0x7f, v2
	v_mov_b32_e32 v28, 0x7c010000
	s_mov_b32 s30, exec_lo
	s_delay_alu instid0(VALU_DEP_2)
	v_cmpx_ne_u32_e32 0x7f, v30
	s_cbranch_execz .LBB265_71
; %bb.68:                               ;   in Loop: Header=BB265_9 Depth=1
	v_and_b32_e32 v10, 7, v2
	v_lshrrev_b32_e32 v28, 3, v30
	s_mov_b32 s31, exec_lo
	v_cmpx_gt_u32_e32 8, v30
; %bb.69:                               ;   in Loop: Header=BB265_9 Depth=1
	s_delay_alu instid0(VALU_DEP_3) | instskip(NEXT) | instid1(VALU_DEP_1)
	v_clz_i32_u32_e32 v10, v10
	v_min_u32_e32 v10, 32, v10
	s_delay_alu instid0(VALU_DEP_1) | instskip(NEXT) | instid1(VALU_DEP_1)
	v_subrev_nc_u32_e32 v28, 28, v10
	v_lshlrev_b64_e32 v[30:31], v28, v[2:3]
	v_sub_nc_u32_e32 v28, 29, v10
	s_delay_alu instid0(VALU_DEP_2)
	v_and_b32_e32 v10, 7, v30
; %bb.70:                               ;   in Loop: Header=BB265_9 Depth=1
	s_or_b32 exec_lo, exec_lo, s31
	v_lshlrev_b32_e32 v2, 8, v2
	s_delay_alu instid0(VALU_DEP_3) | instskip(NEXT) | instid1(VALU_DEP_3)
	v_lshl_add_u32 v28, v28, 10, 0x2000
	v_lshlrev_b32_e32 v10, 23, v10
	s_delay_alu instid0(VALU_DEP_2) | instskip(NEXT) | instid1(VALU_DEP_1)
	v_and_or_b32 v2, 0x8000, v2, v28
	v_lshl_or_b32 v28, v2, 16, v10
.LBB265_71:                             ;   in Loop: Header=BB265_9 Depth=1
	s_or_b32 exec_lo, exec_lo, s30
.LBB265_72:                             ;   in Loop: Header=BB265_9 Depth=1
	s_delay_alu instid0(SALU_CYCLE_1)
	s_or_b32 exec_lo, exec_lo, s29
.LBB265_73:                             ;   in Loop: Header=BB265_9 Depth=1
	s_delay_alu instid0(SALU_CYCLE_1)
	s_or_b32 exec_lo, exec_lo, s28
	global_load_b32 v10, v[8:9], off offset:256
	v_dual_mov_b32 v30, 0 :: v_dual_mov_b32 v31, 0
	s_mov_b32 s28, exec_lo
	s_wait_loadcnt 0x0
	v_and_b32_e32 v2, 0xff, v10
	s_delay_alu instid0(VALU_DEP_1)
	v_cmpx_ne_u16_e32 0, v2
	s_cbranch_execz .LBB265_81
; %bb.74:                               ;   in Loop: Header=BB265_9 Depth=1
	v_mov_b32_e32 v31, 0x8000
	s_mov_b32 s29, exec_lo
	v_cmpx_ne_u16_e32 0x80, v2
	s_cbranch_execz .LBB265_80
; %bb.75:                               ;   in Loop: Header=BB265_9 Depth=1
	v_and_b32_e32 v32, 0x7f, v10
	v_mov_b32_e32 v31, 0x7c01
	s_mov_b32 s30, exec_lo
	s_delay_alu instid0(VALU_DEP_2)
	v_cmpx_ne_u32_e32 0x7f, v32
	s_cbranch_execz .LBB265_79
; %bb.76:                               ;   in Loop: Header=BB265_9 Depth=1
	v_dual_lshrrev_b32 v31, 3, v32 :: v_dual_bitop2_b32 v2, 7, v10 bitop3:0x40
	s_mov_b32 s31, exec_lo
	v_cmpx_gt_u32_e32 8, v32
; %bb.77:                               ;   in Loop: Header=BB265_9 Depth=1
	s_delay_alu instid0(VALU_DEP_2) | instskip(NEXT) | instid1(VALU_DEP_1)
	v_clz_i32_u32_e32 v2, v2
	v_min_u32_e32 v2, 32, v2
	s_delay_alu instid0(VALU_DEP_1) | instskip(NEXT) | instid1(VALU_DEP_1)
	v_subrev_nc_u32_e32 v31, 28, v2
	v_lshlrev_b64_e32 v[32:33], v31, v[10:11]
	s_delay_alu instid0(VALU_DEP_1)
	v_dual_sub_nc_u32 v31, 29, v2 :: v_dual_bitop2_b32 v2, 7, v32 bitop3:0x40
; %bb.78:                               ;   in Loop: Header=BB265_9 Depth=1
	s_or_b32 exec_lo, exec_lo, s31
	v_lshlrev_b32_e32 v32, 8, v10
	s_delay_alu instid0(VALU_DEP_2) | instskip(NEXT) | instid1(VALU_DEP_3)
	v_lshl_add_u32 v31, v31, 10, 0x2000
	v_lshlrev_b32_e32 v2, 7, v2
	s_delay_alu instid0(VALU_DEP_3) | instskip(NEXT) | instid1(VALU_DEP_3)
	v_and_b32_e32 v32, 0x8000, v32
	v_and_b32_e32 v31, 0xfc00, v31
	s_delay_alu instid0(VALU_DEP_1)
	v_or3_b32 v31, v32, v31, v2
.LBB265_79:                             ;   in Loop: Header=BB265_9 Depth=1
	s_or_b32 exec_lo, exec_lo, s30
.LBB265_80:                             ;   in Loop: Header=BB265_9 Depth=1
	s_delay_alu instid0(SALU_CYCLE_1)
	s_or_b32 exec_lo, exec_lo, s29
.LBB265_81:                             ;   in Loop: Header=BB265_9 Depth=1
	s_delay_alu instid0(SALU_CYCLE_1) | instskip(SKIP_2) | instid1(VALU_DEP_1)
	s_or_b32 exec_lo, exec_lo, s28
	v_lshrrev_b16 v2, 8, v10
	s_mov_b32 s28, exec_lo
	v_cmpx_ne_u16_e32 0, v2
	s_cbranch_execz .LBB265_89
; %bb.82:                               ;   in Loop: Header=BB265_9 Depth=1
	v_bfrev_b32_e32 v30, 1
	s_mov_b32 s29, exec_lo
	v_cmpx_ne_u16_e32 0x80, v2
	s_cbranch_execz .LBB265_88
; %bb.83:                               ;   in Loop: Header=BB265_9 Depth=1
	v_and_b32_e32 v32, 0xffff, v2
	v_mov_b32_e32 v30, 0x7c010000
	s_mov_b32 s30, exec_lo
	s_delay_alu instid0(VALU_DEP_2) | instskip(NEXT) | instid1(VALU_DEP_1)
	v_and_b32_e32 v34, 0x7f, v32
	v_cmpx_ne_u32_e32 0x7f, v34
	s_cbranch_execz .LBB265_87
; %bb.84:                               ;   in Loop: Header=BB265_9 Depth=1
	v_dual_lshrrev_b32 v33, 3, v34 :: v_dual_bitop2_b32 v30, 7, v32 bitop3:0x40
	s_mov_b32 s31, exec_lo
	v_cmpx_gt_u32_e32 8, v34
; %bb.85:                               ;   in Loop: Header=BB265_9 Depth=1
	s_delay_alu instid0(VALU_DEP_2) | instskip(NEXT) | instid1(VALU_DEP_1)
	v_clz_i32_u32_e32 v30, v30
	v_min_u32_e32 v30, 32, v30
	s_delay_alu instid0(VALU_DEP_1) | instskip(NEXT) | instid1(VALU_DEP_1)
	v_subrev_nc_u32_e32 v33, 28, v30
	v_lshlrev_b64_e32 v[34:35], v33, v[2:3]
	v_sub_nc_u32_e32 v33, 29, v30
	s_delay_alu instid0(VALU_DEP_2)
	v_and_b32_e32 v30, 7, v34
; %bb.86:                               ;   in Loop: Header=BB265_9 Depth=1
	s_or_b32 exec_lo, exec_lo, s31
	s_delay_alu instid0(VALU_DEP_1) | instskip(NEXT) | instid1(VALU_DEP_3)
	v_dual_lshlrev_b32 v2, 8, v32 :: v_dual_lshlrev_b32 v30, 23, v30
	v_lshl_add_u32 v32, v33, 10, 0x2000
	s_delay_alu instid0(VALU_DEP_1) | instskip(NEXT) | instid1(VALU_DEP_1)
	v_and_or_b32 v2, 0x8000, v2, v32
	v_lshl_or_b32 v30, v2, 16, v30
.LBB265_87:                             ;   in Loop: Header=BB265_9 Depth=1
	s_or_b32 exec_lo, exec_lo, s30
.LBB265_88:                             ;   in Loop: Header=BB265_9 Depth=1
	s_delay_alu instid0(SALU_CYCLE_1)
	s_or_b32 exec_lo, exec_lo, s29
.LBB265_89:                             ;   in Loop: Header=BB265_9 Depth=1
	s_delay_alu instid0(SALU_CYCLE_1) | instskip(SKIP_3) | instid1(VALU_DEP_2)
	s_or_b32 exec_lo, exec_lo, s28
	v_dual_lshrrev_b32 v2, 16, v10 :: v_dual_mov_b32 v34, 0
	v_mov_b32_e32 v35, 0
	s_mov_b32 s28, exec_lo
	v_and_b32_e32 v32, 0xff, v2
	s_delay_alu instid0(VALU_DEP_1)
	v_cmpx_ne_u16_e32 0, v32
	s_cbranch_execz .LBB265_97
; %bb.90:                               ;   in Loop: Header=BB265_9 Depth=1
	v_mov_b32_e32 v35, 0x8000
	s_mov_b32 s29, exec_lo
	v_cmpx_ne_u16_e32 0x80, v32
	s_cbranch_execz .LBB265_96
; %bb.91:                               ;   in Loop: Header=BB265_9 Depth=1
	v_bfe_u32 v36, v10, 16, 7
	v_mov_b32_e32 v35, 0x7c01
	s_mov_b32 s30, exec_lo
	s_delay_alu instid0(VALU_DEP_2)
	v_cmpx_ne_u32_e32 0x7f, v36
	s_cbranch_execz .LBB265_95
; %bb.92:                               ;   in Loop: Header=BB265_9 Depth=1
	v_dual_lshrrev_b32 v33, 3, v36 :: v_dual_bitop2_b32 v32, 7, v2 bitop3:0x40
	s_mov_b32 s31, exec_lo
	v_cmpx_gt_u32_e32 8, v36
; %bb.93:                               ;   in Loop: Header=BB265_9 Depth=1
	s_delay_alu instid0(VALU_DEP_2) | instskip(NEXT) | instid1(VALU_DEP_1)
	v_clz_i32_u32_e32 v32, v32
	v_min_u32_e32 v35, 32, v32
	s_delay_alu instid0(VALU_DEP_1) | instskip(NEXT) | instid1(VALU_DEP_1)
	v_subrev_nc_u32_e32 v32, 28, v35
	v_lshlrev_b64_e32 v[32:33], v32, v[2:3]
	s_delay_alu instid0(VALU_DEP_1)
	v_dual_sub_nc_u32 v33, 29, v35 :: v_dual_bitop2_b32 v32, 7, v32 bitop3:0x40
; %bb.94:                               ;   in Loop: Header=BB265_9 Depth=1
	s_or_b32 exec_lo, exec_lo, s31
	s_delay_alu instid0(VALU_DEP_1) | instskip(NEXT) | instid1(VALU_DEP_2)
	v_dual_lshlrev_b32 v2, 8, v2 :: v_dual_lshlrev_b32 v32, 7, v32
	v_lshl_add_u32 v33, v33, 10, 0x2000
	s_delay_alu instid0(VALU_DEP_2) | instskip(NEXT) | instid1(VALU_DEP_2)
	v_and_b32_e32 v2, 0x8000, v2
	v_and_b32_e32 v33, 0xfc00, v33
	s_delay_alu instid0(VALU_DEP_1)
	v_or3_b32 v35, v2, v33, v32
.LBB265_95:                             ;   in Loop: Header=BB265_9 Depth=1
	s_or_b32 exec_lo, exec_lo, s30
.LBB265_96:                             ;   in Loop: Header=BB265_9 Depth=1
	s_delay_alu instid0(SALU_CYCLE_1)
	s_or_b32 exec_lo, exec_lo, s29
.LBB265_97:                             ;   in Loop: Header=BB265_9 Depth=1
	s_delay_alu instid0(SALU_CYCLE_1) | instskip(NEXT) | instid1(SALU_CYCLE_1)
	s_or_b32 exec_lo, exec_lo, s28
	s_mov_b32 s28, exec_lo
	v_cmpx_lt_u32_e32 0xffffff, v10
	s_cbranch_execz .LBB265_105
; %bb.98:                               ;   in Loop: Header=BB265_9 Depth=1
	v_lshrrev_b32_e32 v2, 24, v10
	v_bfrev_b32_e32 v34, 1
	s_mov_b32 s29, exec_lo
	s_delay_alu instid0(VALU_DEP_2)
	v_cmpx_ne_u32_e32 0x80, v2
	s_cbranch_execz .LBB265_104
; %bb.99:                               ;   in Loop: Header=BB265_9 Depth=1
	v_and_b32_e32 v33, 0x7f, v2
	v_mov_b32_e32 v34, 0x7c010000
	s_mov_b32 s30, exec_lo
	s_delay_alu instid0(VALU_DEP_2)
	v_cmpx_ne_u32_e32 0x7f, v33
	s_cbranch_execz .LBB265_103
; %bb.100:                              ;   in Loop: Header=BB265_9 Depth=1
	v_dual_lshrrev_b32 v32, 3, v33 :: v_dual_bitop2_b32 v10, 7, v2 bitop3:0x40
	s_mov_b32 s31, exec_lo
	v_cmpx_gt_u32_e32 8, v33
; %bb.101:                              ;   in Loop: Header=BB265_9 Depth=1
	s_delay_alu instid0(VALU_DEP_2) | instskip(NEXT) | instid1(VALU_DEP_1)
	v_clz_i32_u32_e32 v10, v10
	v_min_u32_e32 v10, 32, v10
	s_delay_alu instid0(VALU_DEP_1) | instskip(NEXT) | instid1(VALU_DEP_1)
	v_subrev_nc_u32_e32 v32, 28, v10
	v_lshlrev_b64_e32 v[36:37], v32, v[2:3]
	s_delay_alu instid0(VALU_DEP_1)
	v_dual_sub_nc_u32 v32, 29, v10 :: v_dual_bitop2_b32 v10, 7, v36 bitop3:0x40
; %bb.102:                              ;   in Loop: Header=BB265_9 Depth=1
	s_or_b32 exec_lo, exec_lo, s31
	v_lshlrev_b32_e32 v2, 8, v2
	s_delay_alu instid0(VALU_DEP_2) | instskip(NEXT) | instid1(VALU_DEP_3)
	v_lshl_add_u32 v32, v32, 10, 0x2000
	v_lshlrev_b32_e32 v10, 23, v10
	s_delay_alu instid0(VALU_DEP_2) | instskip(NEXT) | instid1(VALU_DEP_1)
	v_and_or_b32 v2, 0x8000, v2, v32
	v_lshl_or_b32 v34, v2, 16, v10
.LBB265_103:                            ;   in Loop: Header=BB265_9 Depth=1
	s_or_b32 exec_lo, exec_lo, s30
.LBB265_104:                            ;   in Loop: Header=BB265_9 Depth=1
	s_delay_alu instid0(SALU_CYCLE_1)
	s_or_b32 exec_lo, exec_lo, s29
.LBB265_105:                            ;   in Loop: Header=BB265_9 Depth=1
	s_delay_alu instid0(SALU_CYCLE_1)
	s_or_b32 exec_lo, exec_lo, s28
	global_load_b32 v10, v[8:9], off offset:264
	v_dual_mov_b32 v32, 0 :: v_dual_mov_b32 v33, 0
	s_mov_b32 s28, exec_lo
	s_wait_loadcnt 0x0
	v_and_b32_e32 v2, 0xff, v10
	s_delay_alu instid0(VALU_DEP_1)
	v_cmpx_ne_u16_e32 0, v2
	s_cbranch_execz .LBB265_113
; %bb.106:                              ;   in Loop: Header=BB265_9 Depth=1
	v_mov_b32_e32 v33, 0x8000
	s_mov_b32 s29, exec_lo
	v_cmpx_ne_u16_e32 0x80, v2
	s_cbranch_execz .LBB265_112
; %bb.107:                              ;   in Loop: Header=BB265_9 Depth=1
	v_and_b32_e32 v36, 0x7f, v10
	v_mov_b32_e32 v33, 0x7c01
	s_mov_b32 s30, exec_lo
	s_delay_alu instid0(VALU_DEP_2)
	v_cmpx_ne_u32_e32 0x7f, v36
	s_cbranch_execz .LBB265_111
; %bb.108:                              ;   in Loop: Header=BB265_9 Depth=1
	v_dual_lshrrev_b32 v33, 3, v36 :: v_dual_bitop2_b32 v2, 7, v10 bitop3:0x40
	s_mov_b32 s31, exec_lo
	v_cmpx_gt_u32_e32 8, v36
; %bb.109:                              ;   in Loop: Header=BB265_9 Depth=1
	s_delay_alu instid0(VALU_DEP_2) | instskip(NEXT) | instid1(VALU_DEP_1)
	v_clz_i32_u32_e32 v2, v2
	v_min_u32_e32 v2, 32, v2
	s_delay_alu instid0(VALU_DEP_1) | instskip(NEXT) | instid1(VALU_DEP_1)
	v_subrev_nc_u32_e32 v33, 28, v2
	v_lshlrev_b64_e32 v[36:37], v33, v[10:11]
	s_delay_alu instid0(VALU_DEP_1)
	v_dual_sub_nc_u32 v33, 29, v2 :: v_dual_bitop2_b32 v2, 7, v36 bitop3:0x40
; %bb.110:                              ;   in Loop: Header=BB265_9 Depth=1
	s_or_b32 exec_lo, exec_lo, s31
	v_lshlrev_b32_e32 v36, 8, v10
	s_delay_alu instid0(VALU_DEP_2) | instskip(NEXT) | instid1(VALU_DEP_3)
	v_lshl_add_u32 v33, v33, 10, 0x2000
	v_lshlrev_b32_e32 v2, 7, v2
	s_delay_alu instid0(VALU_DEP_3) | instskip(NEXT) | instid1(VALU_DEP_3)
	v_and_b32_e32 v36, 0x8000, v36
	v_and_b32_e32 v33, 0xfc00, v33
	s_delay_alu instid0(VALU_DEP_1)
	v_or3_b32 v33, v36, v33, v2
.LBB265_111:                            ;   in Loop: Header=BB265_9 Depth=1
	s_or_b32 exec_lo, exec_lo, s30
.LBB265_112:                            ;   in Loop: Header=BB265_9 Depth=1
	s_delay_alu instid0(SALU_CYCLE_1)
	s_or_b32 exec_lo, exec_lo, s29
.LBB265_113:                            ;   in Loop: Header=BB265_9 Depth=1
	s_delay_alu instid0(SALU_CYCLE_1) | instskip(SKIP_2) | instid1(VALU_DEP_1)
	s_or_b32 exec_lo, exec_lo, s28
	v_lshrrev_b16 v2, 8, v10
	s_mov_b32 s28, exec_lo
	v_cmpx_ne_u16_e32 0, v2
	s_cbranch_execz .LBB265_121
; %bb.114:                              ;   in Loop: Header=BB265_9 Depth=1
	v_bfrev_b32_e32 v32, 1
	s_mov_b32 s29, exec_lo
	v_cmpx_ne_u16_e32 0x80, v2
	s_cbranch_execz .LBB265_120
; %bb.115:                              ;   in Loop: Header=BB265_9 Depth=1
	v_and_b32_e32 v36, 0xffff, v2
	v_mov_b32_e32 v32, 0x7c010000
	s_mov_b32 s30, exec_lo
	s_delay_alu instid0(VALU_DEP_2) | instskip(NEXT) | instid1(VALU_DEP_1)
	v_and_b32_e32 v38, 0x7f, v36
	v_cmpx_ne_u32_e32 0x7f, v38
	s_cbranch_execz .LBB265_119
; %bb.116:                              ;   in Loop: Header=BB265_9 Depth=1
	v_dual_lshrrev_b32 v37, 3, v38 :: v_dual_bitop2_b32 v32, 7, v36 bitop3:0x40
	s_mov_b32 s31, exec_lo
	v_cmpx_gt_u32_e32 8, v38
; %bb.117:                              ;   in Loop: Header=BB265_9 Depth=1
	s_delay_alu instid0(VALU_DEP_2) | instskip(NEXT) | instid1(VALU_DEP_1)
	v_clz_i32_u32_e32 v32, v32
	v_min_u32_e32 v32, 32, v32
	s_delay_alu instid0(VALU_DEP_1) | instskip(NEXT) | instid1(VALU_DEP_1)
	v_subrev_nc_u32_e32 v37, 28, v32
	v_lshlrev_b64_e32 v[38:39], v37, v[2:3]
	s_delay_alu instid0(VALU_DEP_1)
	v_dual_sub_nc_u32 v37, 29, v32 :: v_dual_bitop2_b32 v32, 7, v38 bitop3:0x40
; %bb.118:                              ;   in Loop: Header=BB265_9 Depth=1
	s_or_b32 exec_lo, exec_lo, s31
	v_lshlrev_b32_e32 v2, 8, v36
	s_delay_alu instid0(VALU_DEP_2) | instskip(NEXT) | instid1(VALU_DEP_3)
	v_lshl_add_u32 v36, v37, 10, 0x2000
	v_lshlrev_b32_e32 v32, 23, v32
	s_delay_alu instid0(VALU_DEP_2) | instskip(NEXT) | instid1(VALU_DEP_1)
	v_and_or_b32 v2, 0x8000, v2, v36
	v_lshl_or_b32 v32, v2, 16, v32
.LBB265_119:                            ;   in Loop: Header=BB265_9 Depth=1
	s_or_b32 exec_lo, exec_lo, s30
.LBB265_120:                            ;   in Loop: Header=BB265_9 Depth=1
	s_delay_alu instid0(SALU_CYCLE_1)
	s_or_b32 exec_lo, exec_lo, s29
.LBB265_121:                            ;   in Loop: Header=BB265_9 Depth=1
	s_delay_alu instid0(SALU_CYCLE_1) | instskip(SKIP_3) | instid1(VALU_DEP_2)
	s_or_b32 exec_lo, exec_lo, s28
	v_dual_lshrrev_b32 v2, 16, v10 :: v_dual_mov_b32 v36, 0
	v_mov_b32_e32 v37, 0
	s_mov_b32 s28, exec_lo
	v_and_b32_e32 v38, 0xff, v2
	s_delay_alu instid0(VALU_DEP_1)
	v_cmpx_ne_u16_e32 0, v38
	s_cbranch_execz .LBB265_129
; %bb.122:                              ;   in Loop: Header=BB265_9 Depth=1
	v_mov_b32_e32 v37, 0x8000
	s_mov_b32 s29, exec_lo
	v_cmpx_ne_u16_e32 0x80, v38
	s_cbranch_execz .LBB265_128
; %bb.123:                              ;   in Loop: Header=BB265_9 Depth=1
	v_bfe_u32 v39, v10, 16, 7
	v_mov_b32_e32 v37, 0x7c01
	s_mov_b32 s30, exec_lo
	s_delay_alu instid0(VALU_DEP_2)
	v_cmpx_ne_u32_e32 0x7f, v39
	s_cbranch_execz .LBB265_127
; %bb.124:                              ;   in Loop: Header=BB265_9 Depth=1
	v_dual_lshrrev_b32 v38, 3, v39 :: v_dual_bitop2_b32 v37, 7, v2 bitop3:0x40
	s_mov_b32 s31, exec_lo
	v_cmpx_gt_u32_e32 8, v39
; %bb.125:                              ;   in Loop: Header=BB265_9 Depth=1
	s_delay_alu instid0(VALU_DEP_2) | instskip(NEXT) | instid1(VALU_DEP_1)
	v_clz_i32_u32_e32 v37, v37
	v_min_u32_e32 v37, 32, v37
	s_delay_alu instid0(VALU_DEP_1) | instskip(NEXT) | instid1(VALU_DEP_1)
	v_subrev_nc_u32_e32 v38, 28, v37
	v_lshlrev_b64_e32 v[40:41], v38, v[2:3]
	s_delay_alu instid0(VALU_DEP_1)
	v_dual_sub_nc_u32 v38, 29, v37 :: v_dual_bitop2_b32 v37, 7, v40 bitop3:0x40
; %bb.126:                              ;   in Loop: Header=BB265_9 Depth=1
	s_or_b32 exec_lo, exec_lo, s31
	s_delay_alu instid0(VALU_DEP_1) | instskip(NEXT) | instid1(VALU_DEP_2)
	v_dual_lshlrev_b32 v2, 8, v2 :: v_dual_lshlrev_b32 v37, 7, v37
	v_lshl_add_u32 v38, v38, 10, 0x2000
	s_delay_alu instid0(VALU_DEP_2) | instskip(NEXT) | instid1(VALU_DEP_2)
	v_and_b32_e32 v2, 0x8000, v2
	v_and_b32_e32 v38, 0xfc00, v38
	s_delay_alu instid0(VALU_DEP_1)
	v_or3_b32 v37, v2, v38, v37
.LBB265_127:                            ;   in Loop: Header=BB265_9 Depth=1
	s_or_b32 exec_lo, exec_lo, s30
.LBB265_128:                            ;   in Loop: Header=BB265_9 Depth=1
	s_delay_alu instid0(SALU_CYCLE_1)
	s_or_b32 exec_lo, exec_lo, s29
.LBB265_129:                            ;   in Loop: Header=BB265_9 Depth=1
	s_delay_alu instid0(SALU_CYCLE_1) | instskip(NEXT) | instid1(SALU_CYCLE_1)
	s_or_b32 exec_lo, exec_lo, s28
	s_mov_b32 s28, exec_lo
	v_cmpx_lt_u32_e32 0xffffff, v10
	s_cbranch_execz .LBB265_137
; %bb.130:                              ;   in Loop: Header=BB265_9 Depth=1
	v_lshrrev_b32_e32 v2, 24, v10
	v_bfrev_b32_e32 v36, 1
	s_mov_b32 s29, exec_lo
	s_delay_alu instid0(VALU_DEP_2)
	v_cmpx_ne_u32_e32 0x80, v2
	s_cbranch_execz .LBB265_136
; %bb.131:                              ;   in Loop: Header=BB265_9 Depth=1
	v_and_b32_e32 v38, 0x7f, v2
	v_mov_b32_e32 v36, 0x7c010000
	s_mov_b32 s30, exec_lo
	s_delay_alu instid0(VALU_DEP_2)
	v_cmpx_ne_u32_e32 0x7f, v38
	s_cbranch_execz .LBB265_135
; %bb.132:                              ;   in Loop: Header=BB265_9 Depth=1
	v_and_b32_e32 v10, 7, v2
	v_lshrrev_b32_e32 v36, 3, v38
	s_mov_b32 s31, exec_lo
	v_cmpx_gt_u32_e32 8, v38
; %bb.133:                              ;   in Loop: Header=BB265_9 Depth=1
	s_delay_alu instid0(VALU_DEP_3) | instskip(NEXT) | instid1(VALU_DEP_1)
	v_clz_i32_u32_e32 v10, v10
	v_min_u32_e32 v10, 32, v10
	s_delay_alu instid0(VALU_DEP_1) | instskip(NEXT) | instid1(VALU_DEP_1)
	v_subrev_nc_u32_e32 v36, 28, v10
	v_lshlrev_b64_e32 v[38:39], v36, v[2:3]
	v_sub_nc_u32_e32 v36, 29, v10
	s_delay_alu instid0(VALU_DEP_2)
	v_and_b32_e32 v10, 7, v38
; %bb.134:                              ;   in Loop: Header=BB265_9 Depth=1
	s_or_b32 exec_lo, exec_lo, s31
	v_lshlrev_b32_e32 v2, 8, v2
	s_delay_alu instid0(VALU_DEP_3) | instskip(NEXT) | instid1(VALU_DEP_3)
	v_lshl_add_u32 v36, v36, 10, 0x2000
	v_lshlrev_b32_e32 v10, 23, v10
	s_delay_alu instid0(VALU_DEP_2) | instskip(NEXT) | instid1(VALU_DEP_1)
	v_and_or_b32 v2, 0x8000, v2, v36
	v_lshl_or_b32 v36, v2, 16, v10
.LBB265_135:                            ;   in Loop: Header=BB265_9 Depth=1
	s_or_b32 exec_lo, exec_lo, s30
.LBB265_136:                            ;   in Loop: Header=BB265_9 Depth=1
	s_delay_alu instid0(SALU_CYCLE_1)
	s_or_b32 exec_lo, exec_lo, s29
.LBB265_137:                            ;   in Loop: Header=BB265_9 Depth=1
	s_delay_alu instid0(SALU_CYCLE_1)
	s_or_b32 exec_lo, exec_lo, s28
	global_load_b32 v10, v[8:9], off offset:512
	v_dual_mov_b32 v38, 0 :: v_dual_mov_b32 v39, 0
	s_mov_b32 s28, exec_lo
	s_wait_loadcnt 0x0
	v_and_b32_e32 v2, 0xff, v10
	s_delay_alu instid0(VALU_DEP_1)
	v_cmpx_ne_u16_e32 0, v2
	s_cbranch_execz .LBB265_145
; %bb.138:                              ;   in Loop: Header=BB265_9 Depth=1
	v_mov_b32_e32 v39, 0x8000
	s_mov_b32 s29, exec_lo
	v_cmpx_ne_u16_e32 0x80, v2
	s_cbranch_execz .LBB265_144
; %bb.139:                              ;   in Loop: Header=BB265_9 Depth=1
	v_and_b32_e32 v40, 0x7f, v10
	v_mov_b32_e32 v39, 0x7c01
	s_mov_b32 s30, exec_lo
	s_delay_alu instid0(VALU_DEP_2)
	v_cmpx_ne_u32_e32 0x7f, v40
	s_cbranch_execz .LBB265_143
; %bb.140:                              ;   in Loop: Header=BB265_9 Depth=1
	v_dual_lshrrev_b32 v39, 3, v40 :: v_dual_bitop2_b32 v2, 7, v10 bitop3:0x40
	s_mov_b32 s31, exec_lo
	v_cmpx_gt_u32_e32 8, v40
; %bb.141:                              ;   in Loop: Header=BB265_9 Depth=1
	s_delay_alu instid0(VALU_DEP_2) | instskip(NEXT) | instid1(VALU_DEP_1)
	v_clz_i32_u32_e32 v2, v2
	v_min_u32_e32 v2, 32, v2
	s_delay_alu instid0(VALU_DEP_1) | instskip(NEXT) | instid1(VALU_DEP_1)
	v_subrev_nc_u32_e32 v39, 28, v2
	v_lshlrev_b64_e32 v[40:41], v39, v[10:11]
	s_delay_alu instid0(VALU_DEP_1)
	v_dual_sub_nc_u32 v39, 29, v2 :: v_dual_bitop2_b32 v2, 7, v40 bitop3:0x40
; %bb.142:                              ;   in Loop: Header=BB265_9 Depth=1
	s_or_b32 exec_lo, exec_lo, s31
	v_lshlrev_b32_e32 v40, 8, v10
	s_delay_alu instid0(VALU_DEP_2) | instskip(NEXT) | instid1(VALU_DEP_3)
	v_lshl_add_u32 v39, v39, 10, 0x2000
	v_lshlrev_b32_e32 v2, 7, v2
	s_delay_alu instid0(VALU_DEP_3) | instskip(NEXT) | instid1(VALU_DEP_3)
	v_and_b32_e32 v40, 0x8000, v40
	v_and_b32_e32 v39, 0xfc00, v39
	s_delay_alu instid0(VALU_DEP_1)
	v_or3_b32 v39, v40, v39, v2
.LBB265_143:                            ;   in Loop: Header=BB265_9 Depth=1
	s_or_b32 exec_lo, exec_lo, s30
.LBB265_144:                            ;   in Loop: Header=BB265_9 Depth=1
	s_delay_alu instid0(SALU_CYCLE_1)
	s_or_b32 exec_lo, exec_lo, s29
.LBB265_145:                            ;   in Loop: Header=BB265_9 Depth=1
	s_delay_alu instid0(SALU_CYCLE_1) | instskip(SKIP_2) | instid1(VALU_DEP_1)
	s_or_b32 exec_lo, exec_lo, s28
	v_lshrrev_b16 v2, 8, v10
	s_mov_b32 s28, exec_lo
	v_cmpx_ne_u16_e32 0, v2
	s_cbranch_execz .LBB265_153
; %bb.146:                              ;   in Loop: Header=BB265_9 Depth=1
	v_bfrev_b32_e32 v38, 1
	s_mov_b32 s29, exec_lo
	v_cmpx_ne_u16_e32 0x80, v2
	s_cbranch_execz .LBB265_152
; %bb.147:                              ;   in Loop: Header=BB265_9 Depth=1
	v_and_b32_e32 v40, 0xffff, v2
	v_mov_b32_e32 v38, 0x7c010000
	s_mov_b32 s30, exec_lo
	s_delay_alu instid0(VALU_DEP_2) | instskip(NEXT) | instid1(VALU_DEP_1)
	v_and_b32_e32 v42, 0x7f, v40
	v_cmpx_ne_u32_e32 0x7f, v42
	s_cbranch_execz .LBB265_151
; %bb.148:                              ;   in Loop: Header=BB265_9 Depth=1
	v_dual_lshrrev_b32 v41, 3, v42 :: v_dual_bitop2_b32 v38, 7, v40 bitop3:0x40
	s_mov_b32 s31, exec_lo
	v_cmpx_gt_u32_e32 8, v42
; %bb.149:                              ;   in Loop: Header=BB265_9 Depth=1
	s_delay_alu instid0(VALU_DEP_2) | instskip(NEXT) | instid1(VALU_DEP_1)
	v_clz_i32_u32_e32 v38, v38
	v_min_u32_e32 v38, 32, v38
	s_delay_alu instid0(VALU_DEP_1) | instskip(NEXT) | instid1(VALU_DEP_1)
	v_subrev_nc_u32_e32 v41, 28, v38
	v_lshlrev_b64_e32 v[42:43], v41, v[2:3]
	v_sub_nc_u32_e32 v41, 29, v38
	s_delay_alu instid0(VALU_DEP_2)
	v_and_b32_e32 v38, 7, v42
; %bb.150:                              ;   in Loop: Header=BB265_9 Depth=1
	s_or_b32 exec_lo, exec_lo, s31
	s_delay_alu instid0(VALU_DEP_1) | instskip(NEXT) | instid1(VALU_DEP_3)
	v_dual_lshlrev_b32 v2, 8, v40 :: v_dual_lshlrev_b32 v38, 23, v38
	v_lshl_add_u32 v40, v41, 10, 0x2000
	s_delay_alu instid0(VALU_DEP_1) | instskip(NEXT) | instid1(VALU_DEP_1)
	v_and_or_b32 v2, 0x8000, v2, v40
	v_lshl_or_b32 v38, v2, 16, v38
.LBB265_151:                            ;   in Loop: Header=BB265_9 Depth=1
	s_or_b32 exec_lo, exec_lo, s30
.LBB265_152:                            ;   in Loop: Header=BB265_9 Depth=1
	s_delay_alu instid0(SALU_CYCLE_1)
	s_or_b32 exec_lo, exec_lo, s29
.LBB265_153:                            ;   in Loop: Header=BB265_9 Depth=1
	s_delay_alu instid0(SALU_CYCLE_1) | instskip(SKIP_3) | instid1(VALU_DEP_2)
	s_or_b32 exec_lo, exec_lo, s28
	v_dual_lshrrev_b32 v2, 16, v10 :: v_dual_mov_b32 v40, 0
	v_mov_b32_e32 v41, 0
	s_mov_b32 s28, exec_lo
	v_and_b32_e32 v42, 0xff, v2
	s_delay_alu instid0(VALU_DEP_1)
	v_cmpx_ne_u16_e32 0, v42
	s_cbranch_execz .LBB265_161
; %bb.154:                              ;   in Loop: Header=BB265_9 Depth=1
	v_mov_b32_e32 v41, 0x8000
	s_mov_b32 s29, exec_lo
	v_cmpx_ne_u16_e32 0x80, v42
	s_cbranch_execz .LBB265_160
; %bb.155:                              ;   in Loop: Header=BB265_9 Depth=1
	v_bfe_u32 v43, v10, 16, 7
	v_mov_b32_e32 v41, 0x7c01
	s_mov_b32 s30, exec_lo
	s_delay_alu instid0(VALU_DEP_2)
	v_cmpx_ne_u32_e32 0x7f, v43
	s_cbranch_execz .LBB265_159
; %bb.156:                              ;   in Loop: Header=BB265_9 Depth=1
	v_dual_lshrrev_b32 v42, 3, v43 :: v_dual_bitop2_b32 v41, 7, v2 bitop3:0x40
	s_mov_b32 s31, exec_lo
	v_cmpx_gt_u32_e32 8, v43
; %bb.157:                              ;   in Loop: Header=BB265_9 Depth=1
	s_delay_alu instid0(VALU_DEP_2) | instskip(NEXT) | instid1(VALU_DEP_1)
	v_clz_i32_u32_e32 v41, v41
	v_min_u32_e32 v41, 32, v41
	s_delay_alu instid0(VALU_DEP_1) | instskip(NEXT) | instid1(VALU_DEP_1)
	v_subrev_nc_u32_e32 v42, 28, v41
	v_lshlrev_b64_e32 v[44:45], v42, v[2:3]
	s_delay_alu instid0(VALU_DEP_1)
	v_dual_sub_nc_u32 v42, 29, v41 :: v_dual_bitop2_b32 v41, 7, v44 bitop3:0x40
; %bb.158:                              ;   in Loop: Header=BB265_9 Depth=1
	s_or_b32 exec_lo, exec_lo, s31
	s_delay_alu instid0(VALU_DEP_1) | instskip(NEXT) | instid1(VALU_DEP_2)
	v_dual_lshlrev_b32 v2, 8, v2 :: v_dual_lshlrev_b32 v41, 7, v41
	v_lshl_add_u32 v42, v42, 10, 0x2000
	s_delay_alu instid0(VALU_DEP_2) | instskip(NEXT) | instid1(VALU_DEP_2)
	v_and_b32_e32 v2, 0x8000, v2
	v_and_b32_e32 v42, 0xfc00, v42
	s_delay_alu instid0(VALU_DEP_1)
	v_or3_b32 v41, v2, v42, v41
.LBB265_159:                            ;   in Loop: Header=BB265_9 Depth=1
	s_or_b32 exec_lo, exec_lo, s30
.LBB265_160:                            ;   in Loop: Header=BB265_9 Depth=1
	s_delay_alu instid0(SALU_CYCLE_1)
	s_or_b32 exec_lo, exec_lo, s29
.LBB265_161:                            ;   in Loop: Header=BB265_9 Depth=1
	s_delay_alu instid0(SALU_CYCLE_1) | instskip(NEXT) | instid1(SALU_CYCLE_1)
	s_or_b32 exec_lo, exec_lo, s28
	s_mov_b32 s28, exec_lo
	v_cmpx_lt_u32_e32 0xffffff, v10
	s_cbranch_execz .LBB265_169
; %bb.162:                              ;   in Loop: Header=BB265_9 Depth=1
	v_lshrrev_b32_e32 v2, 24, v10
	v_bfrev_b32_e32 v40, 1
	s_mov_b32 s29, exec_lo
	s_delay_alu instid0(VALU_DEP_2)
	v_cmpx_ne_u32_e32 0x80, v2
	s_cbranch_execz .LBB265_168
; %bb.163:                              ;   in Loop: Header=BB265_9 Depth=1
	v_and_b32_e32 v42, 0x7f, v2
	v_mov_b32_e32 v40, 0x7c010000
	s_mov_b32 s30, exec_lo
	s_delay_alu instid0(VALU_DEP_2)
	v_cmpx_ne_u32_e32 0x7f, v42
	s_cbranch_execz .LBB265_167
; %bb.164:                              ;   in Loop: Header=BB265_9 Depth=1
	v_and_b32_e32 v10, 7, v2
	v_lshrrev_b32_e32 v40, 3, v42
	s_mov_b32 s31, exec_lo
	v_cmpx_gt_u32_e32 8, v42
; %bb.165:                              ;   in Loop: Header=BB265_9 Depth=1
	s_delay_alu instid0(VALU_DEP_3) | instskip(NEXT) | instid1(VALU_DEP_1)
	v_clz_i32_u32_e32 v10, v10
	v_min_u32_e32 v10, 32, v10
	s_delay_alu instid0(VALU_DEP_1) | instskip(NEXT) | instid1(VALU_DEP_1)
	v_subrev_nc_u32_e32 v40, 28, v10
	v_lshlrev_b64_e32 v[42:43], v40, v[2:3]
	v_sub_nc_u32_e32 v40, 29, v10
	s_delay_alu instid0(VALU_DEP_2)
	v_and_b32_e32 v10, 7, v42
; %bb.166:                              ;   in Loop: Header=BB265_9 Depth=1
	s_or_b32 exec_lo, exec_lo, s31
	v_lshlrev_b32_e32 v2, 8, v2
	s_delay_alu instid0(VALU_DEP_3) | instskip(NEXT) | instid1(VALU_DEP_3)
	v_lshl_add_u32 v40, v40, 10, 0x2000
	v_lshlrev_b32_e32 v10, 23, v10
	s_delay_alu instid0(VALU_DEP_2) | instskip(NEXT) | instid1(VALU_DEP_1)
	v_and_or_b32 v2, 0x8000, v2, v40
	v_lshl_or_b32 v40, v2, 16, v10
.LBB265_167:                            ;   in Loop: Header=BB265_9 Depth=1
	s_or_b32 exec_lo, exec_lo, s30
.LBB265_168:                            ;   in Loop: Header=BB265_9 Depth=1
	s_delay_alu instid0(SALU_CYCLE_1)
	s_or_b32 exec_lo, exec_lo, s29
.LBB265_169:                            ;   in Loop: Header=BB265_9 Depth=1
	s_delay_alu instid0(SALU_CYCLE_1)
	s_or_b32 exec_lo, exec_lo, s28
	global_load_b32 v10, v[8:9], off offset:520
	v_dual_mov_b32 v42, 0 :: v_dual_mov_b32 v43, 0
	s_mov_b32 s28, exec_lo
	s_wait_loadcnt 0x0
	v_and_b32_e32 v2, 0xff, v10
	s_delay_alu instid0(VALU_DEP_1)
	v_cmpx_ne_u16_e32 0, v2
	s_cbranch_execz .LBB265_177
; %bb.170:                              ;   in Loop: Header=BB265_9 Depth=1
	v_mov_b32_e32 v43, 0x8000
	s_mov_b32 s29, exec_lo
	v_cmpx_ne_u16_e32 0x80, v2
	s_cbranch_execz .LBB265_176
; %bb.171:                              ;   in Loop: Header=BB265_9 Depth=1
	v_and_b32_e32 v44, 0x7f, v10
	v_mov_b32_e32 v43, 0x7c01
	s_mov_b32 s30, exec_lo
	s_delay_alu instid0(VALU_DEP_2)
	v_cmpx_ne_u32_e32 0x7f, v44
	s_cbranch_execz .LBB265_175
; %bb.172:                              ;   in Loop: Header=BB265_9 Depth=1
	v_dual_lshrrev_b32 v43, 3, v44 :: v_dual_bitop2_b32 v2, 7, v10 bitop3:0x40
	s_mov_b32 s31, exec_lo
	v_cmpx_gt_u32_e32 8, v44
; %bb.173:                              ;   in Loop: Header=BB265_9 Depth=1
	s_delay_alu instid0(VALU_DEP_2) | instskip(NEXT) | instid1(VALU_DEP_1)
	v_clz_i32_u32_e32 v2, v2
	v_min_u32_e32 v2, 32, v2
	s_delay_alu instid0(VALU_DEP_1) | instskip(NEXT) | instid1(VALU_DEP_1)
	v_subrev_nc_u32_e32 v43, 28, v2
	v_lshlrev_b64_e32 v[44:45], v43, v[10:11]
	s_delay_alu instid0(VALU_DEP_1)
	v_dual_sub_nc_u32 v43, 29, v2 :: v_dual_bitop2_b32 v2, 7, v44 bitop3:0x40
; %bb.174:                              ;   in Loop: Header=BB265_9 Depth=1
	s_or_b32 exec_lo, exec_lo, s31
	v_lshlrev_b32_e32 v44, 8, v10
	s_delay_alu instid0(VALU_DEP_2) | instskip(NEXT) | instid1(VALU_DEP_3)
	v_lshl_add_u32 v43, v43, 10, 0x2000
	v_lshlrev_b32_e32 v2, 7, v2
	s_delay_alu instid0(VALU_DEP_3) | instskip(NEXT) | instid1(VALU_DEP_3)
	v_and_b32_e32 v44, 0x8000, v44
	v_and_b32_e32 v43, 0xfc00, v43
	s_delay_alu instid0(VALU_DEP_1)
	v_or3_b32 v43, v44, v43, v2
.LBB265_175:                            ;   in Loop: Header=BB265_9 Depth=1
	s_or_b32 exec_lo, exec_lo, s30
.LBB265_176:                            ;   in Loop: Header=BB265_9 Depth=1
	s_delay_alu instid0(SALU_CYCLE_1)
	s_or_b32 exec_lo, exec_lo, s29
.LBB265_177:                            ;   in Loop: Header=BB265_9 Depth=1
	s_delay_alu instid0(SALU_CYCLE_1) | instskip(SKIP_2) | instid1(VALU_DEP_1)
	s_or_b32 exec_lo, exec_lo, s28
	v_lshrrev_b16 v2, 8, v10
	s_mov_b32 s28, exec_lo
	v_cmpx_ne_u16_e32 0, v2
	s_cbranch_execz .LBB265_185
; %bb.178:                              ;   in Loop: Header=BB265_9 Depth=1
	v_bfrev_b32_e32 v42, 1
	s_mov_b32 s29, exec_lo
	v_cmpx_ne_u16_e32 0x80, v2
	s_cbranch_execz .LBB265_184
; %bb.179:                              ;   in Loop: Header=BB265_9 Depth=1
	v_and_b32_e32 v44, 0xffff, v2
	v_mov_b32_e32 v42, 0x7c010000
	s_mov_b32 s30, exec_lo
	s_delay_alu instid0(VALU_DEP_2) | instskip(NEXT) | instid1(VALU_DEP_1)
	v_and_b32_e32 v46, 0x7f, v44
	v_cmpx_ne_u32_e32 0x7f, v46
	s_cbranch_execz .LBB265_183
; %bb.180:                              ;   in Loop: Header=BB265_9 Depth=1
	v_dual_lshrrev_b32 v45, 3, v46 :: v_dual_bitop2_b32 v42, 7, v44 bitop3:0x40
	s_mov_b32 s31, exec_lo
	v_cmpx_gt_u32_e32 8, v46
; %bb.181:                              ;   in Loop: Header=BB265_9 Depth=1
	s_delay_alu instid0(VALU_DEP_2) | instskip(NEXT) | instid1(VALU_DEP_1)
	v_clz_i32_u32_e32 v42, v42
	v_min_u32_e32 v42, 32, v42
	s_delay_alu instid0(VALU_DEP_1) | instskip(NEXT) | instid1(VALU_DEP_1)
	v_subrev_nc_u32_e32 v45, 28, v42
	v_lshlrev_b64_e32 v[46:47], v45, v[2:3]
	v_sub_nc_u32_e32 v45, 29, v42
	s_delay_alu instid0(VALU_DEP_2)
	v_and_b32_e32 v42, 7, v46
; %bb.182:                              ;   in Loop: Header=BB265_9 Depth=1
	s_or_b32 exec_lo, exec_lo, s31
	s_delay_alu instid0(VALU_DEP_1) | instskip(NEXT) | instid1(VALU_DEP_3)
	v_dual_lshlrev_b32 v2, 8, v44 :: v_dual_lshlrev_b32 v42, 23, v42
	v_lshl_add_u32 v44, v45, 10, 0x2000
	s_delay_alu instid0(VALU_DEP_1) | instskip(NEXT) | instid1(VALU_DEP_1)
	v_and_or_b32 v2, 0x8000, v2, v44
	v_lshl_or_b32 v42, v2, 16, v42
.LBB265_183:                            ;   in Loop: Header=BB265_9 Depth=1
	s_or_b32 exec_lo, exec_lo, s30
.LBB265_184:                            ;   in Loop: Header=BB265_9 Depth=1
	s_delay_alu instid0(SALU_CYCLE_1)
	s_or_b32 exec_lo, exec_lo, s29
.LBB265_185:                            ;   in Loop: Header=BB265_9 Depth=1
	s_delay_alu instid0(SALU_CYCLE_1) | instskip(SKIP_3) | instid1(VALU_DEP_2)
	s_or_b32 exec_lo, exec_lo, s28
	v_dual_lshrrev_b32 v2, 16, v10 :: v_dual_mov_b32 v44, 0
	v_mov_b32_e32 v45, 0
	s_mov_b32 s28, exec_lo
	v_and_b32_e32 v46, 0xff, v2
	s_delay_alu instid0(VALU_DEP_1)
	v_cmpx_ne_u16_e32 0, v46
	s_cbranch_execz .LBB265_193
; %bb.186:                              ;   in Loop: Header=BB265_9 Depth=1
	v_mov_b32_e32 v45, 0x8000
	s_mov_b32 s29, exec_lo
	v_cmpx_ne_u16_e32 0x80, v46
	s_cbranch_execz .LBB265_192
; %bb.187:                              ;   in Loop: Header=BB265_9 Depth=1
	v_bfe_u32 v47, v10, 16, 7
	v_mov_b32_e32 v45, 0x7c01
	s_mov_b32 s30, exec_lo
	s_delay_alu instid0(VALU_DEP_2)
	v_cmpx_ne_u32_e32 0x7f, v47
	s_cbranch_execz .LBB265_191
; %bb.188:                              ;   in Loop: Header=BB265_9 Depth=1
	v_dual_lshrrev_b32 v46, 3, v47 :: v_dual_bitop2_b32 v45, 7, v2 bitop3:0x40
	s_mov_b32 s31, exec_lo
	v_cmpx_gt_u32_e32 8, v47
; %bb.189:                              ;   in Loop: Header=BB265_9 Depth=1
	s_delay_alu instid0(VALU_DEP_2) | instskip(NEXT) | instid1(VALU_DEP_1)
	v_clz_i32_u32_e32 v45, v45
	v_min_u32_e32 v45, 32, v45
	s_delay_alu instid0(VALU_DEP_1) | instskip(NEXT) | instid1(VALU_DEP_1)
	v_subrev_nc_u32_e32 v46, 28, v45
	v_lshlrev_b64_e32 v[48:49], v46, v[2:3]
	s_delay_alu instid0(VALU_DEP_1)
	v_dual_sub_nc_u32 v46, 29, v45 :: v_dual_bitop2_b32 v45, 7, v48 bitop3:0x40
; %bb.190:                              ;   in Loop: Header=BB265_9 Depth=1
	s_or_b32 exec_lo, exec_lo, s31
	s_delay_alu instid0(VALU_DEP_1) | instskip(NEXT) | instid1(VALU_DEP_2)
	v_dual_lshlrev_b32 v2, 8, v2 :: v_dual_lshlrev_b32 v45, 7, v45
	v_lshl_add_u32 v46, v46, 10, 0x2000
	s_delay_alu instid0(VALU_DEP_2) | instskip(NEXT) | instid1(VALU_DEP_2)
	v_and_b32_e32 v2, 0x8000, v2
	v_and_b32_e32 v46, 0xfc00, v46
	s_delay_alu instid0(VALU_DEP_1)
	v_or3_b32 v45, v2, v46, v45
.LBB265_191:                            ;   in Loop: Header=BB265_9 Depth=1
	s_or_b32 exec_lo, exec_lo, s30
.LBB265_192:                            ;   in Loop: Header=BB265_9 Depth=1
	s_delay_alu instid0(SALU_CYCLE_1)
	s_or_b32 exec_lo, exec_lo, s29
.LBB265_193:                            ;   in Loop: Header=BB265_9 Depth=1
	s_delay_alu instid0(SALU_CYCLE_1) | instskip(NEXT) | instid1(SALU_CYCLE_1)
	s_or_b32 exec_lo, exec_lo, s28
	s_mov_b32 s28, exec_lo
	v_cmpx_lt_u32_e32 0xffffff, v10
	s_cbranch_execz .LBB265_201
; %bb.194:                              ;   in Loop: Header=BB265_9 Depth=1
	v_lshrrev_b32_e32 v2, 24, v10
	v_bfrev_b32_e32 v44, 1
	s_mov_b32 s29, exec_lo
	s_delay_alu instid0(VALU_DEP_2)
	v_cmpx_ne_u32_e32 0x80, v2
	s_cbranch_execz .LBB265_200
; %bb.195:                              ;   in Loop: Header=BB265_9 Depth=1
	v_and_b32_e32 v46, 0x7f, v2
	v_mov_b32_e32 v44, 0x7c010000
	s_mov_b32 s30, exec_lo
	s_delay_alu instid0(VALU_DEP_2)
	v_cmpx_ne_u32_e32 0x7f, v46
	s_cbranch_execz .LBB265_199
; %bb.196:                              ;   in Loop: Header=BB265_9 Depth=1
	v_and_b32_e32 v10, 7, v2
	v_lshrrev_b32_e32 v44, 3, v46
	s_mov_b32 s31, exec_lo
	v_cmpx_gt_u32_e32 8, v46
; %bb.197:                              ;   in Loop: Header=BB265_9 Depth=1
	s_delay_alu instid0(VALU_DEP_3) | instskip(NEXT) | instid1(VALU_DEP_1)
	v_clz_i32_u32_e32 v10, v10
	v_min_u32_e32 v10, 32, v10
	s_delay_alu instid0(VALU_DEP_1) | instskip(NEXT) | instid1(VALU_DEP_1)
	v_subrev_nc_u32_e32 v44, 28, v10
	v_lshlrev_b64_e32 v[46:47], v44, v[2:3]
	v_sub_nc_u32_e32 v44, 29, v10
	s_delay_alu instid0(VALU_DEP_2)
	v_and_b32_e32 v10, 7, v46
; %bb.198:                              ;   in Loop: Header=BB265_9 Depth=1
	s_or_b32 exec_lo, exec_lo, s31
	v_lshlrev_b32_e32 v2, 8, v2
	s_delay_alu instid0(VALU_DEP_3) | instskip(NEXT) | instid1(VALU_DEP_3)
	v_lshl_add_u32 v44, v44, 10, 0x2000
	v_lshlrev_b32_e32 v10, 23, v10
	s_delay_alu instid0(VALU_DEP_2) | instskip(NEXT) | instid1(VALU_DEP_1)
	v_and_or_b32 v2, 0x8000, v2, v44
	v_lshl_or_b32 v44, v2, 16, v10
.LBB265_199:                            ;   in Loop: Header=BB265_9 Depth=1
	s_or_b32 exec_lo, exec_lo, s30
.LBB265_200:                            ;   in Loop: Header=BB265_9 Depth=1
	s_delay_alu instid0(SALU_CYCLE_1)
	s_or_b32 exec_lo, exec_lo, s29
.LBB265_201:                            ;   in Loop: Header=BB265_9 Depth=1
	s_delay_alu instid0(SALU_CYCLE_1)
	s_or_b32 exec_lo, exec_lo, s28
	global_load_b32 v10, v[8:9], off offset:768
	v_dual_mov_b32 v46, 0 :: v_dual_mov_b32 v47, 0
	s_mov_b32 s28, exec_lo
	s_wait_loadcnt 0x0
	v_and_b32_e32 v2, 0xff, v10
	s_delay_alu instid0(VALU_DEP_1)
	v_cmpx_ne_u16_e32 0, v2
	s_cbranch_execz .LBB265_209
; %bb.202:                              ;   in Loop: Header=BB265_9 Depth=1
	v_mov_b32_e32 v47, 0x8000
	s_mov_b32 s29, exec_lo
	v_cmpx_ne_u16_e32 0x80, v2
	s_cbranch_execz .LBB265_208
; %bb.203:                              ;   in Loop: Header=BB265_9 Depth=1
	v_and_b32_e32 v48, 0x7f, v10
	v_mov_b32_e32 v47, 0x7c01
	s_mov_b32 s30, exec_lo
	s_delay_alu instid0(VALU_DEP_2)
	v_cmpx_ne_u32_e32 0x7f, v48
	s_cbranch_execz .LBB265_207
; %bb.204:                              ;   in Loop: Header=BB265_9 Depth=1
	v_dual_lshrrev_b32 v47, 3, v48 :: v_dual_bitop2_b32 v2, 7, v10 bitop3:0x40
	s_mov_b32 s31, exec_lo
	v_cmpx_gt_u32_e32 8, v48
; %bb.205:                              ;   in Loop: Header=BB265_9 Depth=1
	s_delay_alu instid0(VALU_DEP_2) | instskip(NEXT) | instid1(VALU_DEP_1)
	v_clz_i32_u32_e32 v2, v2
	v_min_u32_e32 v2, 32, v2
	s_delay_alu instid0(VALU_DEP_1) | instskip(NEXT) | instid1(VALU_DEP_1)
	v_subrev_nc_u32_e32 v47, 28, v2
	v_lshlrev_b64_e32 v[48:49], v47, v[10:11]
	s_delay_alu instid0(VALU_DEP_1)
	v_dual_sub_nc_u32 v47, 29, v2 :: v_dual_bitop2_b32 v2, 7, v48 bitop3:0x40
; %bb.206:                              ;   in Loop: Header=BB265_9 Depth=1
	s_or_b32 exec_lo, exec_lo, s31
	v_lshlrev_b32_e32 v48, 8, v10
	s_delay_alu instid0(VALU_DEP_2) | instskip(NEXT) | instid1(VALU_DEP_3)
	v_lshl_add_u32 v47, v47, 10, 0x2000
	v_lshlrev_b32_e32 v2, 7, v2
	s_delay_alu instid0(VALU_DEP_3) | instskip(NEXT) | instid1(VALU_DEP_3)
	v_and_b32_e32 v48, 0x8000, v48
	v_and_b32_e32 v47, 0xfc00, v47
	s_delay_alu instid0(VALU_DEP_1)
	v_or3_b32 v47, v48, v47, v2
.LBB265_207:                            ;   in Loop: Header=BB265_9 Depth=1
	s_or_b32 exec_lo, exec_lo, s30
.LBB265_208:                            ;   in Loop: Header=BB265_9 Depth=1
	s_delay_alu instid0(SALU_CYCLE_1)
	s_or_b32 exec_lo, exec_lo, s29
.LBB265_209:                            ;   in Loop: Header=BB265_9 Depth=1
	s_delay_alu instid0(SALU_CYCLE_1) | instskip(SKIP_2) | instid1(VALU_DEP_1)
	s_or_b32 exec_lo, exec_lo, s28
	v_lshrrev_b16 v2, 8, v10
	s_mov_b32 s28, exec_lo
	v_cmpx_ne_u16_e32 0, v2
	s_cbranch_execz .LBB265_217
; %bb.210:                              ;   in Loop: Header=BB265_9 Depth=1
	v_bfrev_b32_e32 v46, 1
	s_mov_b32 s29, exec_lo
	v_cmpx_ne_u16_e32 0x80, v2
	s_cbranch_execz .LBB265_216
; %bb.211:                              ;   in Loop: Header=BB265_9 Depth=1
	v_and_b32_e32 v48, 0xffff, v2
	v_mov_b32_e32 v46, 0x7c010000
	s_mov_b32 s30, exec_lo
	s_delay_alu instid0(VALU_DEP_2) | instskip(NEXT) | instid1(VALU_DEP_1)
	v_and_b32_e32 v50, 0x7f, v48
	v_cmpx_ne_u32_e32 0x7f, v50
	s_cbranch_execz .LBB265_215
; %bb.212:                              ;   in Loop: Header=BB265_9 Depth=1
	v_dual_lshrrev_b32 v49, 3, v50 :: v_dual_bitop2_b32 v46, 7, v48 bitop3:0x40
	s_mov_b32 s31, exec_lo
	v_cmpx_gt_u32_e32 8, v50
; %bb.213:                              ;   in Loop: Header=BB265_9 Depth=1
	s_delay_alu instid0(VALU_DEP_2) | instskip(NEXT) | instid1(VALU_DEP_1)
	v_clz_i32_u32_e32 v46, v46
	v_min_u32_e32 v46, 32, v46
	s_delay_alu instid0(VALU_DEP_1) | instskip(NEXT) | instid1(VALU_DEP_1)
	v_subrev_nc_u32_e32 v49, 28, v46
	v_lshlrev_b64_e32 v[50:51], v49, v[2:3]
	v_sub_nc_u32_e32 v49, 29, v46
	s_delay_alu instid0(VALU_DEP_2)
	v_and_b32_e32 v46, 7, v50
; %bb.214:                              ;   in Loop: Header=BB265_9 Depth=1
	s_or_b32 exec_lo, exec_lo, s31
	s_delay_alu instid0(VALU_DEP_1) | instskip(NEXT) | instid1(VALU_DEP_3)
	v_dual_lshlrev_b32 v2, 8, v48 :: v_dual_lshlrev_b32 v46, 23, v46
	v_lshl_add_u32 v48, v49, 10, 0x2000
	s_delay_alu instid0(VALU_DEP_1) | instskip(NEXT) | instid1(VALU_DEP_1)
	v_and_or_b32 v2, 0x8000, v2, v48
	v_lshl_or_b32 v46, v2, 16, v46
.LBB265_215:                            ;   in Loop: Header=BB265_9 Depth=1
	s_or_b32 exec_lo, exec_lo, s30
.LBB265_216:                            ;   in Loop: Header=BB265_9 Depth=1
	s_delay_alu instid0(SALU_CYCLE_1)
	s_or_b32 exec_lo, exec_lo, s29
.LBB265_217:                            ;   in Loop: Header=BB265_9 Depth=1
	s_delay_alu instid0(SALU_CYCLE_1) | instskip(SKIP_3) | instid1(VALU_DEP_2)
	s_or_b32 exec_lo, exec_lo, s28
	v_dual_lshrrev_b32 v2, 16, v10 :: v_dual_mov_b32 v48, 0
	v_mov_b32_e32 v49, 0
	s_mov_b32 s28, exec_lo
	v_and_b32_e32 v50, 0xff, v2
	s_delay_alu instid0(VALU_DEP_1)
	v_cmpx_ne_u16_e32 0, v50
	s_cbranch_execz .LBB265_225
; %bb.218:                              ;   in Loop: Header=BB265_9 Depth=1
	v_mov_b32_e32 v49, 0x8000
	s_mov_b32 s29, exec_lo
	v_cmpx_ne_u16_e32 0x80, v50
	s_cbranch_execz .LBB265_224
; %bb.219:                              ;   in Loop: Header=BB265_9 Depth=1
	v_bfe_u32 v51, v10, 16, 7
	v_mov_b32_e32 v49, 0x7c01
	s_mov_b32 s30, exec_lo
	s_delay_alu instid0(VALU_DEP_2)
	v_cmpx_ne_u32_e32 0x7f, v51
	s_cbranch_execz .LBB265_223
; %bb.220:                              ;   in Loop: Header=BB265_9 Depth=1
	v_dual_lshrrev_b32 v50, 3, v51 :: v_dual_bitop2_b32 v49, 7, v2 bitop3:0x40
	s_mov_b32 s31, exec_lo
	v_cmpx_gt_u32_e32 8, v51
; %bb.221:                              ;   in Loop: Header=BB265_9 Depth=1
	s_delay_alu instid0(VALU_DEP_2) | instskip(NEXT) | instid1(VALU_DEP_1)
	v_clz_i32_u32_e32 v49, v49
	v_min_u32_e32 v49, 32, v49
	s_delay_alu instid0(VALU_DEP_1) | instskip(NEXT) | instid1(VALU_DEP_1)
	v_subrev_nc_u32_e32 v50, 28, v49
	v_lshlrev_b64_e32 v[52:53], v50, v[2:3]
	s_delay_alu instid0(VALU_DEP_1)
	v_dual_sub_nc_u32 v50, 29, v49 :: v_dual_bitop2_b32 v49, 7, v52 bitop3:0x40
; %bb.222:                              ;   in Loop: Header=BB265_9 Depth=1
	s_or_b32 exec_lo, exec_lo, s31
	s_delay_alu instid0(VALU_DEP_1) | instskip(NEXT) | instid1(VALU_DEP_2)
	v_dual_lshlrev_b32 v2, 8, v2 :: v_dual_lshlrev_b32 v49, 7, v49
	v_lshl_add_u32 v50, v50, 10, 0x2000
	s_delay_alu instid0(VALU_DEP_2) | instskip(NEXT) | instid1(VALU_DEP_2)
	v_and_b32_e32 v2, 0x8000, v2
	v_and_b32_e32 v50, 0xfc00, v50
	s_delay_alu instid0(VALU_DEP_1)
	v_or3_b32 v49, v2, v50, v49
.LBB265_223:                            ;   in Loop: Header=BB265_9 Depth=1
	s_or_b32 exec_lo, exec_lo, s30
.LBB265_224:                            ;   in Loop: Header=BB265_9 Depth=1
	s_delay_alu instid0(SALU_CYCLE_1)
	s_or_b32 exec_lo, exec_lo, s29
.LBB265_225:                            ;   in Loop: Header=BB265_9 Depth=1
	s_delay_alu instid0(SALU_CYCLE_1) | instskip(NEXT) | instid1(SALU_CYCLE_1)
	s_or_b32 exec_lo, exec_lo, s28
	s_mov_b32 s28, exec_lo
	v_cmpx_lt_u32_e32 0xffffff, v10
	s_cbranch_execz .LBB265_233
; %bb.226:                              ;   in Loop: Header=BB265_9 Depth=1
	v_lshrrev_b32_e32 v2, 24, v10
	v_bfrev_b32_e32 v48, 1
	s_mov_b32 s29, exec_lo
	s_delay_alu instid0(VALU_DEP_2)
	v_cmpx_ne_u32_e32 0x80, v2
	s_cbranch_execz .LBB265_232
; %bb.227:                              ;   in Loop: Header=BB265_9 Depth=1
	v_and_b32_e32 v50, 0x7f, v2
	v_mov_b32_e32 v48, 0x7c010000
	s_mov_b32 s30, exec_lo
	s_delay_alu instid0(VALU_DEP_2)
	v_cmpx_ne_u32_e32 0x7f, v50
	s_cbranch_execz .LBB265_231
; %bb.228:                              ;   in Loop: Header=BB265_9 Depth=1
	v_and_b32_e32 v10, 7, v2
	v_lshrrev_b32_e32 v48, 3, v50
	s_mov_b32 s31, exec_lo
	v_cmpx_gt_u32_e32 8, v50
; %bb.229:                              ;   in Loop: Header=BB265_9 Depth=1
	s_delay_alu instid0(VALU_DEP_3) | instskip(NEXT) | instid1(VALU_DEP_1)
	v_clz_i32_u32_e32 v10, v10
	v_min_u32_e32 v10, 32, v10
	s_delay_alu instid0(VALU_DEP_1) | instskip(NEXT) | instid1(VALU_DEP_1)
	v_subrev_nc_u32_e32 v48, 28, v10
	v_lshlrev_b64_e32 v[50:51], v48, v[2:3]
	v_sub_nc_u32_e32 v48, 29, v10
	s_delay_alu instid0(VALU_DEP_2)
	v_and_b32_e32 v10, 7, v50
; %bb.230:                              ;   in Loop: Header=BB265_9 Depth=1
	s_or_b32 exec_lo, exec_lo, s31
	v_lshlrev_b32_e32 v2, 8, v2
	s_delay_alu instid0(VALU_DEP_3) | instskip(NEXT) | instid1(VALU_DEP_3)
	v_lshl_add_u32 v48, v48, 10, 0x2000
	v_lshlrev_b32_e32 v10, 23, v10
	s_delay_alu instid0(VALU_DEP_2) | instskip(NEXT) | instid1(VALU_DEP_1)
	v_and_or_b32 v2, 0x8000, v2, v48
	v_lshl_or_b32 v48, v2, 16, v10
.LBB265_231:                            ;   in Loop: Header=BB265_9 Depth=1
	s_or_b32 exec_lo, exec_lo, s30
.LBB265_232:                            ;   in Loop: Header=BB265_9 Depth=1
	s_delay_alu instid0(SALU_CYCLE_1)
	s_or_b32 exec_lo, exec_lo, s29
.LBB265_233:                            ;   in Loop: Header=BB265_9 Depth=1
	s_delay_alu instid0(SALU_CYCLE_1)
	s_or_b32 exec_lo, exec_lo, s28
	global_load_b32 v10, v[8:9], off offset:776
	v_dual_mov_b32 v50, 0 :: v_dual_mov_b32 v51, 0
	s_mov_b32 s28, exec_lo
	s_wait_loadcnt 0x0
	v_and_b32_e32 v2, 0xff, v10
	s_delay_alu instid0(VALU_DEP_1)
	v_cmpx_ne_u16_e32 0, v2
	s_cbranch_execz .LBB265_241
; %bb.234:                              ;   in Loop: Header=BB265_9 Depth=1
	v_mov_b32_e32 v51, 0x8000
	s_mov_b32 s29, exec_lo
	v_cmpx_ne_u16_e32 0x80, v2
	s_cbranch_execz .LBB265_240
; %bb.235:                              ;   in Loop: Header=BB265_9 Depth=1
	v_and_b32_e32 v52, 0x7f, v10
	v_mov_b32_e32 v51, 0x7c01
	s_mov_b32 s30, exec_lo
	s_delay_alu instid0(VALU_DEP_2)
	v_cmpx_ne_u32_e32 0x7f, v52
	s_cbranch_execz .LBB265_239
; %bb.236:                              ;   in Loop: Header=BB265_9 Depth=1
	v_dual_lshrrev_b32 v51, 3, v52 :: v_dual_bitop2_b32 v2, 7, v10 bitop3:0x40
	s_mov_b32 s31, exec_lo
	v_cmpx_gt_u32_e32 8, v52
; %bb.237:                              ;   in Loop: Header=BB265_9 Depth=1
	s_delay_alu instid0(VALU_DEP_2) | instskip(NEXT) | instid1(VALU_DEP_1)
	v_clz_i32_u32_e32 v2, v2
	v_min_u32_e32 v2, 32, v2
	s_delay_alu instid0(VALU_DEP_1) | instskip(NEXT) | instid1(VALU_DEP_1)
	v_subrev_nc_u32_e32 v51, 28, v2
	v_lshlrev_b64_e32 v[52:53], v51, v[10:11]
	s_delay_alu instid0(VALU_DEP_1)
	v_dual_sub_nc_u32 v51, 29, v2 :: v_dual_bitop2_b32 v2, 7, v52 bitop3:0x40
; %bb.238:                              ;   in Loop: Header=BB265_9 Depth=1
	s_or_b32 exec_lo, exec_lo, s31
	v_lshlrev_b32_e32 v52, 8, v10
	s_delay_alu instid0(VALU_DEP_2) | instskip(NEXT) | instid1(VALU_DEP_3)
	v_lshl_add_u32 v51, v51, 10, 0x2000
	v_lshlrev_b32_e32 v2, 7, v2
	s_delay_alu instid0(VALU_DEP_3) | instskip(NEXT) | instid1(VALU_DEP_3)
	v_and_b32_e32 v52, 0x8000, v52
	v_and_b32_e32 v51, 0xfc00, v51
	s_delay_alu instid0(VALU_DEP_1)
	v_or3_b32 v51, v52, v51, v2
.LBB265_239:                            ;   in Loop: Header=BB265_9 Depth=1
	s_or_b32 exec_lo, exec_lo, s30
.LBB265_240:                            ;   in Loop: Header=BB265_9 Depth=1
	s_delay_alu instid0(SALU_CYCLE_1)
	s_or_b32 exec_lo, exec_lo, s29
.LBB265_241:                            ;   in Loop: Header=BB265_9 Depth=1
	s_delay_alu instid0(SALU_CYCLE_1) | instskip(SKIP_2) | instid1(VALU_DEP_1)
	s_or_b32 exec_lo, exec_lo, s28
	v_lshrrev_b16 v2, 8, v10
	s_mov_b32 s28, exec_lo
	v_cmpx_ne_u16_e32 0, v2
	s_cbranch_execz .LBB265_249
; %bb.242:                              ;   in Loop: Header=BB265_9 Depth=1
	v_bfrev_b32_e32 v50, 1
	s_mov_b32 s29, exec_lo
	v_cmpx_ne_u16_e32 0x80, v2
	s_cbranch_execz .LBB265_248
; %bb.243:                              ;   in Loop: Header=BB265_9 Depth=1
	v_and_b32_e32 v52, 0xffff, v2
	v_mov_b32_e32 v50, 0x7c010000
	s_mov_b32 s30, exec_lo
	s_delay_alu instid0(VALU_DEP_2) | instskip(NEXT) | instid1(VALU_DEP_1)
	v_and_b32_e32 v54, 0x7f, v52
	v_cmpx_ne_u32_e32 0x7f, v54
	s_cbranch_execz .LBB265_247
; %bb.244:                              ;   in Loop: Header=BB265_9 Depth=1
	v_dual_lshrrev_b32 v53, 3, v54 :: v_dual_bitop2_b32 v50, 7, v52 bitop3:0x40
	s_mov_b32 s31, exec_lo
	v_cmpx_gt_u32_e32 8, v54
; %bb.245:                              ;   in Loop: Header=BB265_9 Depth=1
	s_delay_alu instid0(VALU_DEP_2) | instskip(NEXT) | instid1(VALU_DEP_1)
	v_clz_i32_u32_e32 v50, v50
	v_min_u32_e32 v50, 32, v50
	s_delay_alu instid0(VALU_DEP_1) | instskip(NEXT) | instid1(VALU_DEP_1)
	v_subrev_nc_u32_e32 v53, 28, v50
	v_lshlrev_b64_e32 v[54:55], v53, v[2:3]
	v_sub_nc_u32_e32 v53, 29, v50
	s_delay_alu instid0(VALU_DEP_2)
	v_and_b32_e32 v50, 7, v54
; %bb.246:                              ;   in Loop: Header=BB265_9 Depth=1
	s_or_b32 exec_lo, exec_lo, s31
	s_delay_alu instid0(VALU_DEP_1) | instskip(NEXT) | instid1(VALU_DEP_3)
	v_dual_lshlrev_b32 v2, 8, v52 :: v_dual_lshlrev_b32 v50, 23, v50
	v_lshl_add_u32 v52, v53, 10, 0x2000
	s_delay_alu instid0(VALU_DEP_1) | instskip(NEXT) | instid1(VALU_DEP_1)
	v_and_or_b32 v2, 0x8000, v2, v52
	v_lshl_or_b32 v50, v2, 16, v50
.LBB265_247:                            ;   in Loop: Header=BB265_9 Depth=1
	s_or_b32 exec_lo, exec_lo, s30
.LBB265_248:                            ;   in Loop: Header=BB265_9 Depth=1
	s_delay_alu instid0(SALU_CYCLE_1)
	s_or_b32 exec_lo, exec_lo, s29
.LBB265_249:                            ;   in Loop: Header=BB265_9 Depth=1
	s_delay_alu instid0(SALU_CYCLE_1) | instskip(SKIP_3) | instid1(VALU_DEP_2)
	s_or_b32 exec_lo, exec_lo, s28
	v_dual_lshrrev_b32 v2, 16, v10 :: v_dual_mov_b32 v52, 0
	v_mov_b32_e32 v53, 0
	s_mov_b32 s28, exec_lo
	v_and_b32_e32 v54, 0xff, v2
	s_delay_alu instid0(VALU_DEP_1)
	v_cmpx_ne_u16_e32 0, v54
	s_cbranch_execz .LBB265_257
; %bb.250:                              ;   in Loop: Header=BB265_9 Depth=1
	v_mov_b32_e32 v53, 0x8000
	s_mov_b32 s29, exec_lo
	v_cmpx_ne_u16_e32 0x80, v54
	s_cbranch_execz .LBB265_256
; %bb.251:                              ;   in Loop: Header=BB265_9 Depth=1
	v_bfe_u32 v55, v10, 16, 7
	v_mov_b32_e32 v53, 0x7c01
	s_mov_b32 s30, exec_lo
	s_delay_alu instid0(VALU_DEP_2)
	v_cmpx_ne_u32_e32 0x7f, v55
	s_cbranch_execz .LBB265_255
; %bb.252:                              ;   in Loop: Header=BB265_9 Depth=1
	v_dual_lshrrev_b32 v54, 3, v55 :: v_dual_bitop2_b32 v53, 7, v2 bitop3:0x40
	s_mov_b32 s31, exec_lo
	v_cmpx_gt_u32_e32 8, v55
; %bb.253:                              ;   in Loop: Header=BB265_9 Depth=1
	s_delay_alu instid0(VALU_DEP_2) | instskip(NEXT) | instid1(VALU_DEP_1)
	v_clz_i32_u32_e32 v53, v53
	v_min_u32_e32 v53, 32, v53
	s_delay_alu instid0(VALU_DEP_1) | instskip(NEXT) | instid1(VALU_DEP_1)
	v_subrev_nc_u32_e32 v54, 28, v53
	v_lshlrev_b64_e32 v[56:57], v54, v[2:3]
	s_delay_alu instid0(VALU_DEP_1)
	v_dual_sub_nc_u32 v54, 29, v53 :: v_dual_bitop2_b32 v53, 7, v56 bitop3:0x40
; %bb.254:                              ;   in Loop: Header=BB265_9 Depth=1
	s_or_b32 exec_lo, exec_lo, s31
	s_delay_alu instid0(VALU_DEP_1) | instskip(NEXT) | instid1(VALU_DEP_2)
	v_dual_lshlrev_b32 v2, 8, v2 :: v_dual_lshlrev_b32 v53, 7, v53
	v_lshl_add_u32 v54, v54, 10, 0x2000
	s_delay_alu instid0(VALU_DEP_2) | instskip(NEXT) | instid1(VALU_DEP_2)
	v_and_b32_e32 v2, 0x8000, v2
	v_and_b32_e32 v54, 0xfc00, v54
	s_delay_alu instid0(VALU_DEP_1)
	v_or3_b32 v53, v2, v54, v53
.LBB265_255:                            ;   in Loop: Header=BB265_9 Depth=1
	s_or_b32 exec_lo, exec_lo, s30
.LBB265_256:                            ;   in Loop: Header=BB265_9 Depth=1
	s_delay_alu instid0(SALU_CYCLE_1)
	s_or_b32 exec_lo, exec_lo, s29
.LBB265_257:                            ;   in Loop: Header=BB265_9 Depth=1
	s_delay_alu instid0(SALU_CYCLE_1) | instskip(NEXT) | instid1(SALU_CYCLE_1)
	s_or_b32 exec_lo, exec_lo, s28
	s_mov_b32 s28, exec_lo
	v_cmpx_lt_u32_e32 0xffffff, v10
	s_cbranch_execz .LBB265_265
; %bb.258:                              ;   in Loop: Header=BB265_9 Depth=1
	v_lshrrev_b32_e32 v2, 24, v10
	v_bfrev_b32_e32 v52, 1
	s_mov_b32 s29, exec_lo
	s_delay_alu instid0(VALU_DEP_2)
	v_cmpx_ne_u32_e32 0x80, v2
	s_cbranch_execz .LBB265_264
; %bb.259:                              ;   in Loop: Header=BB265_9 Depth=1
	v_and_b32_e32 v54, 0x7f, v2
	v_mov_b32_e32 v52, 0x7c010000
	s_mov_b32 s30, exec_lo
	s_delay_alu instid0(VALU_DEP_2)
	v_cmpx_ne_u32_e32 0x7f, v54
	s_cbranch_execz .LBB265_263
; %bb.260:                              ;   in Loop: Header=BB265_9 Depth=1
	v_and_b32_e32 v10, 7, v2
	v_lshrrev_b32_e32 v52, 3, v54
	s_mov_b32 s31, exec_lo
	v_cmpx_gt_u32_e32 8, v54
; %bb.261:                              ;   in Loop: Header=BB265_9 Depth=1
	s_delay_alu instid0(VALU_DEP_3) | instskip(NEXT) | instid1(VALU_DEP_1)
	v_clz_i32_u32_e32 v10, v10
	v_min_u32_e32 v10, 32, v10
	s_delay_alu instid0(VALU_DEP_1) | instskip(NEXT) | instid1(VALU_DEP_1)
	v_subrev_nc_u32_e32 v52, 28, v10
	v_lshlrev_b64_e32 v[54:55], v52, v[2:3]
	v_sub_nc_u32_e32 v52, 29, v10
	s_delay_alu instid0(VALU_DEP_2)
	v_and_b32_e32 v10, 7, v54
; %bb.262:                              ;   in Loop: Header=BB265_9 Depth=1
	s_or_b32 exec_lo, exec_lo, s31
	v_lshlrev_b32_e32 v2, 8, v2
	s_delay_alu instid0(VALU_DEP_3) | instskip(NEXT) | instid1(VALU_DEP_3)
	v_lshl_add_u32 v52, v52, 10, 0x2000
	v_lshlrev_b32_e32 v10, 23, v10
	s_delay_alu instid0(VALU_DEP_2) | instskip(NEXT) | instid1(VALU_DEP_1)
	v_and_or_b32 v2, 0x8000, v2, v52
	v_lshl_or_b32 v52, v2, 16, v10
.LBB265_263:                            ;   in Loop: Header=BB265_9 Depth=1
	s_or_b32 exec_lo, exec_lo, s30
.LBB265_264:                            ;   in Loop: Header=BB265_9 Depth=1
	s_delay_alu instid0(SALU_CYCLE_1)
	s_or_b32 exec_lo, exec_lo, s29
.LBB265_265:                            ;   in Loop: Header=BB265_9 Depth=1
	s_delay_alu instid0(SALU_CYCLE_1)
	s_or_b32 exec_lo, exec_lo, s28
	global_load_b32 v10, v[8:9], off offset:1024
	v_dual_mov_b32 v54, 0 :: v_dual_mov_b32 v55, 0
	s_mov_b32 s28, exec_lo
	s_wait_loadcnt 0x0
	v_and_b32_e32 v2, 0xff, v10
	s_delay_alu instid0(VALU_DEP_1)
	v_cmpx_ne_u16_e32 0, v2
	s_cbranch_execz .LBB265_273
; %bb.266:                              ;   in Loop: Header=BB265_9 Depth=1
	v_mov_b32_e32 v55, 0x8000
	s_mov_b32 s29, exec_lo
	v_cmpx_ne_u16_e32 0x80, v2
	s_cbranch_execz .LBB265_272
; %bb.267:                              ;   in Loop: Header=BB265_9 Depth=1
	v_and_b32_e32 v56, 0x7f, v10
	v_mov_b32_e32 v55, 0x7c01
	s_mov_b32 s30, exec_lo
	s_delay_alu instid0(VALU_DEP_2)
	v_cmpx_ne_u32_e32 0x7f, v56
	s_cbranch_execz .LBB265_271
; %bb.268:                              ;   in Loop: Header=BB265_9 Depth=1
	v_dual_lshrrev_b32 v55, 3, v56 :: v_dual_bitop2_b32 v2, 7, v10 bitop3:0x40
	s_mov_b32 s31, exec_lo
	v_cmpx_gt_u32_e32 8, v56
; %bb.269:                              ;   in Loop: Header=BB265_9 Depth=1
	s_delay_alu instid0(VALU_DEP_2) | instskip(NEXT) | instid1(VALU_DEP_1)
	v_clz_i32_u32_e32 v2, v2
	v_min_u32_e32 v2, 32, v2
	s_delay_alu instid0(VALU_DEP_1) | instskip(NEXT) | instid1(VALU_DEP_1)
	v_subrev_nc_u32_e32 v55, 28, v2
	v_lshlrev_b64_e32 v[56:57], v55, v[10:11]
	s_delay_alu instid0(VALU_DEP_1)
	v_dual_sub_nc_u32 v55, 29, v2 :: v_dual_bitop2_b32 v2, 7, v56 bitop3:0x40
; %bb.270:                              ;   in Loop: Header=BB265_9 Depth=1
	s_or_b32 exec_lo, exec_lo, s31
	v_lshlrev_b32_e32 v56, 8, v10
	s_delay_alu instid0(VALU_DEP_2) | instskip(NEXT) | instid1(VALU_DEP_3)
	v_lshl_add_u32 v55, v55, 10, 0x2000
	v_lshlrev_b32_e32 v2, 7, v2
	s_delay_alu instid0(VALU_DEP_3) | instskip(NEXT) | instid1(VALU_DEP_3)
	v_and_b32_e32 v56, 0x8000, v56
	v_and_b32_e32 v55, 0xfc00, v55
	s_delay_alu instid0(VALU_DEP_1)
	v_or3_b32 v55, v56, v55, v2
.LBB265_271:                            ;   in Loop: Header=BB265_9 Depth=1
	s_or_b32 exec_lo, exec_lo, s30
.LBB265_272:                            ;   in Loop: Header=BB265_9 Depth=1
	s_delay_alu instid0(SALU_CYCLE_1)
	s_or_b32 exec_lo, exec_lo, s29
.LBB265_273:                            ;   in Loop: Header=BB265_9 Depth=1
	s_delay_alu instid0(SALU_CYCLE_1) | instskip(SKIP_2) | instid1(VALU_DEP_1)
	s_or_b32 exec_lo, exec_lo, s28
	v_lshrrev_b16 v2, 8, v10
	s_mov_b32 s28, exec_lo
	v_cmpx_ne_u16_e32 0, v2
	s_cbranch_execz .LBB265_281
; %bb.274:                              ;   in Loop: Header=BB265_9 Depth=1
	v_bfrev_b32_e32 v54, 1
	s_mov_b32 s29, exec_lo
	v_cmpx_ne_u16_e32 0x80, v2
	s_cbranch_execz .LBB265_280
; %bb.275:                              ;   in Loop: Header=BB265_9 Depth=1
	v_and_b32_e32 v56, 0xffff, v2
	v_mov_b32_e32 v54, 0x7c010000
	s_mov_b32 s30, exec_lo
	s_delay_alu instid0(VALU_DEP_2) | instskip(NEXT) | instid1(VALU_DEP_1)
	v_and_b32_e32 v58, 0x7f, v56
	v_cmpx_ne_u32_e32 0x7f, v58
	s_cbranch_execz .LBB265_279
; %bb.276:                              ;   in Loop: Header=BB265_9 Depth=1
	v_dual_lshrrev_b32 v57, 3, v58 :: v_dual_bitop2_b32 v54, 7, v56 bitop3:0x40
	s_mov_b32 s31, exec_lo
	v_cmpx_gt_u32_e32 8, v58
; %bb.277:                              ;   in Loop: Header=BB265_9 Depth=1
	s_delay_alu instid0(VALU_DEP_2) | instskip(NEXT) | instid1(VALU_DEP_1)
	v_clz_i32_u32_e32 v54, v54
	v_min_u32_e32 v54, 32, v54
	s_delay_alu instid0(VALU_DEP_1) | instskip(NEXT) | instid1(VALU_DEP_1)
	v_subrev_nc_u32_e32 v57, 28, v54
	v_lshlrev_b64_e32 v[58:59], v57, v[2:3]
	v_sub_nc_u32_e32 v57, 29, v54
	s_delay_alu instid0(VALU_DEP_2)
	v_and_b32_e32 v54, 7, v58
; %bb.278:                              ;   in Loop: Header=BB265_9 Depth=1
	s_or_b32 exec_lo, exec_lo, s31
	s_delay_alu instid0(VALU_DEP_1) | instskip(NEXT) | instid1(VALU_DEP_3)
	v_dual_lshlrev_b32 v2, 8, v56 :: v_dual_lshlrev_b32 v54, 23, v54
	v_lshl_add_u32 v56, v57, 10, 0x2000
	s_delay_alu instid0(VALU_DEP_1) | instskip(NEXT) | instid1(VALU_DEP_1)
	v_and_or_b32 v2, 0x8000, v2, v56
	v_lshl_or_b32 v54, v2, 16, v54
.LBB265_279:                            ;   in Loop: Header=BB265_9 Depth=1
	s_or_b32 exec_lo, exec_lo, s30
.LBB265_280:                            ;   in Loop: Header=BB265_9 Depth=1
	s_delay_alu instid0(SALU_CYCLE_1)
	s_or_b32 exec_lo, exec_lo, s29
.LBB265_281:                            ;   in Loop: Header=BB265_9 Depth=1
	s_delay_alu instid0(SALU_CYCLE_1) | instskip(SKIP_3) | instid1(VALU_DEP_2)
	s_or_b32 exec_lo, exec_lo, s28
	v_dual_lshrrev_b32 v2, 16, v10 :: v_dual_mov_b32 v56, 0
	v_mov_b32_e32 v57, 0
	s_mov_b32 s28, exec_lo
	v_and_b32_e32 v58, 0xff, v2
	s_delay_alu instid0(VALU_DEP_1)
	v_cmpx_ne_u16_e32 0, v58
	s_cbranch_execz .LBB265_289
; %bb.282:                              ;   in Loop: Header=BB265_9 Depth=1
	v_mov_b32_e32 v57, 0x8000
	s_mov_b32 s29, exec_lo
	v_cmpx_ne_u16_e32 0x80, v58
	s_cbranch_execz .LBB265_288
; %bb.283:                              ;   in Loop: Header=BB265_9 Depth=1
	v_bfe_u32 v59, v10, 16, 7
	v_mov_b32_e32 v57, 0x7c01
	s_mov_b32 s30, exec_lo
	s_delay_alu instid0(VALU_DEP_2)
	v_cmpx_ne_u32_e32 0x7f, v59
	s_cbranch_execz .LBB265_287
; %bb.284:                              ;   in Loop: Header=BB265_9 Depth=1
	v_dual_lshrrev_b32 v58, 3, v59 :: v_dual_bitop2_b32 v57, 7, v2 bitop3:0x40
	s_mov_b32 s31, exec_lo
	v_cmpx_gt_u32_e32 8, v59
; %bb.285:                              ;   in Loop: Header=BB265_9 Depth=1
	s_delay_alu instid0(VALU_DEP_2) | instskip(NEXT) | instid1(VALU_DEP_1)
	v_clz_i32_u32_e32 v57, v57
	v_min_u32_e32 v57, 32, v57
	s_delay_alu instid0(VALU_DEP_1) | instskip(NEXT) | instid1(VALU_DEP_1)
	v_subrev_nc_u32_e32 v58, 28, v57
	v_lshlrev_b64_e32 v[60:61], v58, v[2:3]
	s_delay_alu instid0(VALU_DEP_1)
	v_dual_sub_nc_u32 v58, 29, v57 :: v_dual_bitop2_b32 v57, 7, v60 bitop3:0x40
; %bb.286:                              ;   in Loop: Header=BB265_9 Depth=1
	s_or_b32 exec_lo, exec_lo, s31
	s_delay_alu instid0(VALU_DEP_1) | instskip(NEXT) | instid1(VALU_DEP_2)
	v_dual_lshlrev_b32 v2, 8, v2 :: v_dual_lshlrev_b32 v57, 7, v57
	v_lshl_add_u32 v58, v58, 10, 0x2000
	s_delay_alu instid0(VALU_DEP_2) | instskip(NEXT) | instid1(VALU_DEP_2)
	v_and_b32_e32 v2, 0x8000, v2
	v_and_b32_e32 v58, 0xfc00, v58
	s_delay_alu instid0(VALU_DEP_1)
	v_or3_b32 v57, v2, v58, v57
.LBB265_287:                            ;   in Loop: Header=BB265_9 Depth=1
	s_or_b32 exec_lo, exec_lo, s30
.LBB265_288:                            ;   in Loop: Header=BB265_9 Depth=1
	s_delay_alu instid0(SALU_CYCLE_1)
	s_or_b32 exec_lo, exec_lo, s29
.LBB265_289:                            ;   in Loop: Header=BB265_9 Depth=1
	s_delay_alu instid0(SALU_CYCLE_1) | instskip(NEXT) | instid1(SALU_CYCLE_1)
	s_or_b32 exec_lo, exec_lo, s28
	s_mov_b32 s28, exec_lo
	v_cmpx_lt_u32_e32 0xffffff, v10
	s_cbranch_execz .LBB265_297
; %bb.290:                              ;   in Loop: Header=BB265_9 Depth=1
	v_lshrrev_b32_e32 v2, 24, v10
	v_bfrev_b32_e32 v56, 1
	s_mov_b32 s29, exec_lo
	s_delay_alu instid0(VALU_DEP_2)
	v_cmpx_ne_u32_e32 0x80, v2
	s_cbranch_execz .LBB265_296
; %bb.291:                              ;   in Loop: Header=BB265_9 Depth=1
	v_and_b32_e32 v58, 0x7f, v2
	v_mov_b32_e32 v56, 0x7c010000
	s_mov_b32 s30, exec_lo
	s_delay_alu instid0(VALU_DEP_2)
	v_cmpx_ne_u32_e32 0x7f, v58
	s_cbranch_execz .LBB265_295
; %bb.292:                              ;   in Loop: Header=BB265_9 Depth=1
	v_and_b32_e32 v10, 7, v2
	v_lshrrev_b32_e32 v56, 3, v58
	s_mov_b32 s31, exec_lo
	v_cmpx_gt_u32_e32 8, v58
; %bb.293:                              ;   in Loop: Header=BB265_9 Depth=1
	s_delay_alu instid0(VALU_DEP_3) | instskip(NEXT) | instid1(VALU_DEP_1)
	v_clz_i32_u32_e32 v10, v10
	v_min_u32_e32 v10, 32, v10
	s_delay_alu instid0(VALU_DEP_1) | instskip(NEXT) | instid1(VALU_DEP_1)
	v_subrev_nc_u32_e32 v56, 28, v10
	v_lshlrev_b64_e32 v[58:59], v56, v[2:3]
	v_sub_nc_u32_e32 v56, 29, v10
	s_delay_alu instid0(VALU_DEP_2)
	v_and_b32_e32 v10, 7, v58
; %bb.294:                              ;   in Loop: Header=BB265_9 Depth=1
	s_or_b32 exec_lo, exec_lo, s31
	v_lshlrev_b32_e32 v2, 8, v2
	s_delay_alu instid0(VALU_DEP_3) | instskip(NEXT) | instid1(VALU_DEP_3)
	v_lshl_add_u32 v56, v56, 10, 0x2000
	v_lshlrev_b32_e32 v10, 23, v10
	s_delay_alu instid0(VALU_DEP_2) | instskip(NEXT) | instid1(VALU_DEP_1)
	v_and_or_b32 v2, 0x8000, v2, v56
	v_lshl_or_b32 v56, v2, 16, v10
.LBB265_295:                            ;   in Loop: Header=BB265_9 Depth=1
	s_or_b32 exec_lo, exec_lo, s30
.LBB265_296:                            ;   in Loop: Header=BB265_9 Depth=1
	s_delay_alu instid0(SALU_CYCLE_1)
	s_or_b32 exec_lo, exec_lo, s29
.LBB265_297:                            ;   in Loop: Header=BB265_9 Depth=1
	s_delay_alu instid0(SALU_CYCLE_1)
	s_or_b32 exec_lo, exec_lo, s28
	global_load_b32 v8, v[8:9], off offset:1032
	v_dual_mov_b32 v10, 0 :: v_dual_mov_b32 v58, 0
	s_mov_b32 s28, exec_lo
	s_wait_loadcnt 0x0
	v_and_b32_e32 v2, 0xff, v8
	s_delay_alu instid0(VALU_DEP_1)
	v_cmpx_ne_u16_e32 0, v2
	s_cbranch_execz .LBB265_305
; %bb.298:                              ;   in Loop: Header=BB265_9 Depth=1
	v_mov_b32_e32 v58, 0x8000
	s_mov_b32 s29, exec_lo
	v_cmpx_ne_u16_e32 0x80, v2
	s_cbranch_execz .LBB265_304
; %bb.299:                              ;   in Loop: Header=BB265_9 Depth=1
	v_and_b32_e32 v59, 0x7f, v8
	v_mov_b32_e32 v58, 0x7c01
	s_mov_b32 s30, exec_lo
	s_delay_alu instid0(VALU_DEP_2)
	v_cmpx_ne_u32_e32 0x7f, v59
	s_cbranch_execz .LBB265_303
; %bb.300:                              ;   in Loop: Header=BB265_9 Depth=1
	v_dual_lshrrev_b32 v9, 3, v59 :: v_dual_bitop2_b32 v2, 7, v8 bitop3:0x40
	s_mov_b32 s31, exec_lo
	v_cmpx_gt_u32_e32 8, v59
; %bb.301:                              ;   in Loop: Header=BB265_9 Depth=1
	s_delay_alu instid0(VALU_DEP_2) | instskip(NEXT) | instid1(VALU_DEP_1)
	v_clz_i32_u32_e32 v2, v2
	v_min_u32_e32 v2, 32, v2
	s_delay_alu instid0(VALU_DEP_1) | instskip(NEXT) | instid1(VALU_DEP_1)
	v_subrev_nc_u32_e32 v9, 28, v2
	v_lshlrev_b64_e32 v[58:59], v9, v[8:9]
	v_sub_nc_u32_e32 v9, 29, v2
	s_delay_alu instid0(VALU_DEP_2)
	v_and_b32_e32 v2, 7, v58
; %bb.302:                              ;   in Loop: Header=BB265_9 Depth=1
	s_or_b32 exec_lo, exec_lo, s31
	s_delay_alu instid0(VALU_DEP_1) | instskip(NEXT) | instid1(VALU_DEP_3)
	v_dual_lshlrev_b32 v58, 8, v8 :: v_dual_lshlrev_b32 v2, 7, v2
	v_lshl_add_u32 v9, v9, 10, 0x2000
	s_delay_alu instid0(VALU_DEP_2) | instskip(NEXT) | instid1(VALU_DEP_2)
	v_and_b32_e32 v58, 0x8000, v58
	v_and_b32_e32 v9, 0xfc00, v9
	s_delay_alu instid0(VALU_DEP_1)
	v_or3_b32 v58, v58, v9, v2
.LBB265_303:                            ;   in Loop: Header=BB265_9 Depth=1
	s_or_b32 exec_lo, exec_lo, s30
.LBB265_304:                            ;   in Loop: Header=BB265_9 Depth=1
	s_delay_alu instid0(SALU_CYCLE_1)
	s_or_b32 exec_lo, exec_lo, s29
.LBB265_305:                            ;   in Loop: Header=BB265_9 Depth=1
	s_delay_alu instid0(SALU_CYCLE_1) | instskip(SKIP_2) | instid1(VALU_DEP_1)
	s_or_b32 exec_lo, exec_lo, s28
	v_lshrrev_b16 v2, 8, v8
	s_mov_b32 s28, exec_lo
	v_cmpx_ne_u16_e32 0, v2
	s_cbranch_execz .LBB265_313
; %bb.306:                              ;   in Loop: Header=BB265_9 Depth=1
	v_bfrev_b32_e32 v10, 1
	s_mov_b32 s29, exec_lo
	v_cmpx_ne_u16_e32 0x80, v2
	s_cbranch_execz .LBB265_312
; %bb.307:                              ;   in Loop: Header=BB265_9 Depth=1
	v_and_b32_e32 v9, 0xffff, v2
	v_mov_b32_e32 v10, 0x7c010000
	s_mov_b32 s30, exec_lo
	s_delay_alu instid0(VALU_DEP_2) | instskip(NEXT) | instid1(VALU_DEP_1)
	v_and_b32_e32 v60, 0x7f, v9
	v_cmpx_ne_u32_e32 0x7f, v60
	s_cbranch_execz .LBB265_311
; %bb.308:                              ;   in Loop: Header=BB265_9 Depth=1
	v_dual_lshrrev_b32 v59, 3, v60 :: v_dual_bitop2_b32 v10, 7, v9 bitop3:0x40
	s_mov_b32 s31, exec_lo
	v_cmpx_gt_u32_e32 8, v60
; %bb.309:                              ;   in Loop: Header=BB265_9 Depth=1
	s_delay_alu instid0(VALU_DEP_2) | instskip(NEXT) | instid1(VALU_DEP_1)
	v_clz_i32_u32_e32 v10, v10
	v_min_u32_e32 v10, 32, v10
	s_delay_alu instid0(VALU_DEP_1) | instskip(NEXT) | instid1(VALU_DEP_1)
	v_subrev_nc_u32_e32 v59, 28, v10
	v_lshlrev_b64_e32 v[60:61], v59, v[2:3]
	s_delay_alu instid0(VALU_DEP_1)
	v_dual_sub_nc_u32 v59, 29, v10 :: v_dual_bitop2_b32 v10, 7, v60 bitop3:0x40
; %bb.310:                              ;   in Loop: Header=BB265_9 Depth=1
	s_or_b32 exec_lo, exec_lo, s31
	v_lshlrev_b32_e32 v2, 8, v9
	s_delay_alu instid0(VALU_DEP_2) | instskip(NEXT) | instid1(VALU_DEP_1)
	v_lshl_add_u32 v9, v59, 10, 0x2000
	v_and_or_b32 v2, 0x8000, v2, v9
	v_lshlrev_b32_e32 v9, 23, v10
	s_delay_alu instid0(VALU_DEP_1)
	v_lshl_or_b32 v10, v2, 16, v9
.LBB265_311:                            ;   in Loop: Header=BB265_9 Depth=1
	s_or_b32 exec_lo, exec_lo, s30
.LBB265_312:                            ;   in Loop: Header=BB265_9 Depth=1
	s_delay_alu instid0(SALU_CYCLE_1)
	s_or_b32 exec_lo, exec_lo, s29
.LBB265_313:                            ;   in Loop: Header=BB265_9 Depth=1
	s_delay_alu instid0(SALU_CYCLE_1) | instskip(SKIP_3) | instid1(VALU_DEP_2)
	s_or_b32 exec_lo, exec_lo, s28
	v_dual_mov_b32 v59, 0 :: v_dual_lshrrev_b32 v2, 16, v8
	v_mov_b32_e32 v60, 0
	s_mov_b32 s28, exec_lo
	v_and_b32_e32 v9, 0xff, v2
	s_delay_alu instid0(VALU_DEP_1)
	v_cmpx_ne_u16_e32 0, v9
	s_cbranch_execz .LBB265_321
; %bb.314:                              ;   in Loop: Header=BB265_9 Depth=1
	v_mov_b32_e32 v60, 0x8000
	s_mov_b32 s29, exec_lo
	v_cmpx_ne_u16_e32 0x80, v9
	s_cbranch_execz .LBB265_320
; %bb.315:                              ;   in Loop: Header=BB265_9 Depth=1
	v_bfe_u32 v61, v8, 16, 7
	v_mov_b32_e32 v60, 0x7c01
	s_mov_b32 s30, exec_lo
	s_delay_alu instid0(VALU_DEP_2)
	v_cmpx_ne_u32_e32 0x7f, v61
	s_cbranch_execz .LBB265_319
; %bb.316:                              ;   in Loop: Header=BB265_9 Depth=1
	v_dual_lshrrev_b32 v60, 3, v61 :: v_dual_bitop2_b32 v9, 7, v2 bitop3:0x40
	s_mov_b32 s31, exec_lo
	v_cmpx_gt_u32_e32 8, v61
; %bb.317:                              ;   in Loop: Header=BB265_9 Depth=1
	s_delay_alu instid0(VALU_DEP_2) | instskip(NEXT) | instid1(VALU_DEP_1)
	v_clz_i32_u32_e32 v9, v9
	v_min_u32_e32 v9, 32, v9
	s_delay_alu instid0(VALU_DEP_1) | instskip(NEXT) | instid1(VALU_DEP_1)
	v_subrev_nc_u32_e32 v60, 28, v9
	v_lshlrev_b64_e32 v[62:63], v60, v[2:3]
	s_delay_alu instid0(VALU_DEP_1)
	v_dual_sub_nc_u32 v60, 29, v9 :: v_dual_bitop2_b32 v9, 7, v62 bitop3:0x40
; %bb.318:                              ;   in Loop: Header=BB265_9 Depth=1
	s_or_b32 exec_lo, exec_lo, s31
	s_delay_alu instid0(VALU_DEP_1) | instskip(NEXT) | instid1(VALU_DEP_2)
	v_dual_lshlrev_b32 v2, 8, v2 :: v_dual_lshlrev_b32 v9, 7, v9
	v_lshl_add_u32 v60, v60, 10, 0x2000
	s_delay_alu instid0(VALU_DEP_2) | instskip(NEXT) | instid1(VALU_DEP_2)
	v_and_b32_e32 v2, 0x8000, v2
	v_and_b32_e32 v60, 0xfc00, v60
	s_delay_alu instid0(VALU_DEP_1)
	v_or3_b32 v60, v2, v60, v9
.LBB265_319:                            ;   in Loop: Header=BB265_9 Depth=1
	s_or_b32 exec_lo, exec_lo, s30
.LBB265_320:                            ;   in Loop: Header=BB265_9 Depth=1
	s_delay_alu instid0(SALU_CYCLE_1)
	s_or_b32 exec_lo, exec_lo, s29
.LBB265_321:                            ;   in Loop: Header=BB265_9 Depth=1
	s_delay_alu instid0(SALU_CYCLE_1) | instskip(NEXT) | instid1(SALU_CYCLE_1)
	s_or_b32 exec_lo, exec_lo, s28
	s_mov_b32 s28, exec_lo
	v_cmpx_lt_u32_e32 0xffffff, v8
	s_cbranch_execz .LBB265_329
; %bb.322:                              ;   in Loop: Header=BB265_9 Depth=1
	v_lshrrev_b32_e32 v2, 24, v8
	v_bfrev_b32_e32 v59, 1
	s_mov_b32 s29, exec_lo
	s_delay_alu instid0(VALU_DEP_2)
	v_cmpx_ne_u32_e32 0x80, v2
	s_cbranch_execz .LBB265_328
; %bb.323:                              ;   in Loop: Header=BB265_9 Depth=1
	v_and_b32_e32 v61, 0x7f, v2
	v_mov_b32_e32 v59, 0x7c010000
	s_mov_b32 s30, exec_lo
	s_delay_alu instid0(VALU_DEP_2)
	v_cmpx_ne_u32_e32 0x7f, v61
	s_cbranch_execz .LBB265_327
; %bb.324:                              ;   in Loop: Header=BB265_9 Depth=1
	v_dual_lshrrev_b32 v9, 3, v61 :: v_dual_bitop2_b32 v8, 7, v2 bitop3:0x40
	s_mov_b32 s31, exec_lo
	v_cmpx_gt_u32_e32 8, v61
; %bb.325:                              ;   in Loop: Header=BB265_9 Depth=1
	s_delay_alu instid0(VALU_DEP_2) | instskip(NEXT) | instid1(VALU_DEP_1)
	v_clz_i32_u32_e32 v8, v8
	v_min_u32_e32 v59, 32, v8
	s_delay_alu instid0(VALU_DEP_1) | instskip(NEXT) | instid1(VALU_DEP_1)
	v_subrev_nc_u32_e32 v8, 28, v59
	v_lshlrev_b64_e32 v[8:9], v8, v[2:3]
	s_delay_alu instid0(VALU_DEP_1)
	v_dual_sub_nc_u32 v9, 29, v59 :: v_dual_bitop2_b32 v8, 7, v8 bitop3:0x40
; %bb.326:                              ;   in Loop: Header=BB265_9 Depth=1
	s_or_b32 exec_lo, exec_lo, s31
	s_delay_alu instid0(VALU_DEP_1) | instskip(NEXT) | instid1(VALU_DEP_2)
	v_dual_lshlrev_b32 v2, 8, v2 :: v_dual_lshlrev_b32 v8, 23, v8
	v_lshl_add_u32 v9, v9, 10, 0x2000
	s_delay_alu instid0(VALU_DEP_1) | instskip(NEXT) | instid1(VALU_DEP_1)
	v_and_or_b32 v2, 0x8000, v2, v9
	v_lshl_or_b32 v59, v2, 16, v8
.LBB265_327:                            ;   in Loop: Header=BB265_9 Depth=1
	s_or_b32 exec_lo, exec_lo, s30
.LBB265_328:                            ;   in Loop: Header=BB265_9 Depth=1
	s_delay_alu instid0(SALU_CYCLE_1)
	s_or_b32 exec_lo, exec_lo, s29
.LBB265_329:                            ;   in Loop: Header=BB265_9 Depth=1
	s_delay_alu instid0(SALU_CYCLE_1)
	s_or_b32 exec_lo, exec_lo, s28
	ds_load_b64 v[8:9], v14
	v_or_b32_e32 v2, v19, v20
	v_or_b32_e32 v20, v21, v22
	v_fma_mixlo_f16 v21, v18, v21, 0 op_sel:[0,1,0] op_sel_hi:[0,1,0]
	v_fma_mixlo_f16 v19, v18, v19, 0 op_sel:[0,1,0] op_sel_hi:[0,1,0]
	v_or_b32_e32 v29, v28, v29
	v_fma_mixlo_f16 v28, v18, v28, 0 op_sel:[0,1,0] op_sel_hi:[0,1,0]
	v_or_b32_e32 v45, v44, v45
	v_and_b32_e32 v63, 0xffff, v21
	v_and_b32_e32 v61, 0xffff, v19
	v_fma_mixlo_f16 v29, v18, v29, 0 op_sel_hi:[0,1,0]
	v_and_b32_e32 v68, 0xffff, v28
	v_fma_mixlo_f16 v44, v18, v44, 0 op_sel:[0,1,0] op_sel_hi:[0,1,0]
	v_fma_mixlo_f16 v45, v18, v45, 0 op_sel_hi:[0,1,0]
	v_or_b32_e32 v31, v30, v31
	v_and_b32_e32 v29, 0xffff, v29
	v_fma_mixlo_f16 v30, v18, v30, 0 op_sel:[0,1,0] op_sel_hi:[0,1,0]
	v_and_b32_e32 v44, 0xffff, v44
	v_and_b32_e32 v45, 0xffff, v45
	v_fma_mixlo_f16 v31, v18, v31, 0 op_sel_hi:[0,1,0]
	s_wait_dscnt 0x0
	v_lshrrev_b32_e32 v64, 16, v9
	v_fma_mixlo_f16 v2, v18, v2, 0 op_sel_hi:[0,1,0]
	v_and_b32_e32 v9, 0xffff, v9
	v_and_b32_e32 v30, 0xffff, v30
	;; [unrolled: 1-line block ×3, first 2 shown]
	s_delay_alu instid0(VALU_DEP_4)
	v_and_b32_e32 v21, 0xffff, v2
	v_and_b32_e32 v2, 0xffff, v8
	v_lshrrev_b32_e32 v8, 16, v8
	v_fma_mixlo_f16 v20, v18, v20, 0 op_sel_hi:[0,1,0]
	;;#ASMSTART
	v_cvt_f32_f16 v2, v2;
	;;#ASMEND
	;;#ASMSTART
	v_cvt_f32_f16 v19, v8;
	;;#ASMEND
	;; [unrolled: 3-line block ×4, first 2 shown]
	v_and_b32_e32 v62, 0xffff, v20
	;;#ASMSTART
	v_cvt_f32_f16 v20, v9;
	;;#ASMEND
	;;#ASMSTART
	v_cvt_f32_f16 v21, v64;
	;;#ASMEND
	;; [unrolled: 3-line block ×4, first 2 shown]
	ds_load_b64 v[8:9], v14 offset:8
	v_or_b32_e32 v27, v23, v27
	v_fma_mixlo_f16 v23, v18, v23, 0 op_sel:[0,1,0] op_sel_hi:[0,1,0]
	s_delay_alu instid0(VALU_DEP_1)
	v_and_b32_e32 v23, 0xffff, v23
	s_wait_dscnt 0x0
	v_and_b32_e32 v28, 0xffff, v8
	v_lshrrev_b32_e32 v8, 16, v8
	v_fma_mixlo_f16 v27, v18, v27, 0 op_sel_hi:[0,1,0]
	v_lshrrev_b32_e32 v69, 16, v9
	v_and_b32_e32 v9, 0xffff, v9
	;;#ASMSTART
	v_cvt_f32_f16 v65, v28;
	;;#ASMEND
	;;#ASMSTART
	v_cvt_f32_f16 v64, v8;
	;;#ASMEND
	v_and_b32_e32 v27, 0xffff, v27
	;;#ASMSTART
	v_cvt_f32_f16 v67, v27;
	;;#ASMEND
	;;#ASMSTART
	v_cvt_f32_f16 v66, v23;
	;;#ASMEND
	;; [unrolled: 3-line block ×6, first 2 shown]
	ds_load_b64 v[8:9], v14 offset:16
	v_or_b32_e32 v35, v34, v35
	v_fma_mixlo_f16 v34, v18, v34, 0 op_sel:[0,1,0] op_sel_hi:[0,1,0]
	v_mul_f32_e32 v23, v23, v28
	s_delay_alu instid0(VALU_DEP_2) | instskip(SKIP_1) | instid1(VALU_DEP_2)
	v_and_b32_e32 v69, 0xffff, v34
	s_wait_dscnt 0x0
	v_dual_fmac_f32 v23, v20, v62 :: v_dual_lshrrev_b32 v71, 16, v9
	v_fma_mixlo_f16 v35, v18, v35, 0 op_sel_hi:[0,1,0]
	v_and_b32_e32 v34, 0xffff, v8
	v_lshrrev_b32_e32 v68, 16, v8
	v_and_b32_e32 v72, 0xffff, v9
	;;#ASMSTART
	v_cvt_f32_f16 v8, v34;
	;;#ASMEND
	v_and_b32_e32 v70, 0xffff, v35
	;;#ASMSTART
	v_cvt_f32_f16 v9, v68;
	;;#ASMEND
	;;#ASMSTART
	v_cvt_f32_f16 v34, v31;
	;;#ASMEND
	;; [unrolled: 3-line block ×7, first 2 shown]
	ds_load_b64 v[70:71], v14 offset:24
	v_or_b32_e32 v37, v36, v37
	v_or_b32_e32 v33, v32, v33
	v_fma_mixlo_f16 v32, v18, v32, 0 op_sel:[0,1,0] op_sel_hi:[0,1,0]
	v_fma_mixlo_f16 v36, v18, v36, 0 op_sel:[0,1,0] op_sel_hi:[0,1,0]
	s_delay_alu instid0(VALU_DEP_4) | instskip(NEXT) | instid1(VALU_DEP_3)
	v_fma_mixlo_f16 v37, v18, v37, 0 op_sel_hi:[0,1,0]
	v_and_b32_e32 v72, 0xffff, v32
	s_delay_alu instid0(VALU_DEP_3) | instskip(NEXT) | instid1(VALU_DEP_3)
	v_and_b32_e32 v73, 0xffff, v36
	v_and_b32_e32 v74, 0xffff, v37
	s_wait_dscnt 0x0
	v_lshrrev_b32_e32 v37, 16, v71
	v_fma_mixlo_f16 v33, v18, v33, 0 op_sel_hi:[0,1,0]
	v_and_b32_e32 v32, 0xffff, v70
	v_and_b32_e32 v75, 0xffff, v71
	;;#ASMSTART
	v_cvt_f32_f16 v32, v32;
	;;#ASMEND
	s_delay_alu instid0(VALU_DEP_3)
	v_and_b32_e32 v36, 0xffff, v33
	v_lshrrev_b32_e32 v33, 16, v70
	;;#ASMSTART
	v_cvt_f32_f16 v33, v33;
	;;#ASMEND
	;;#ASMSTART
	v_cvt_f32_f16 v70, v36;
	;;#ASMEND
	;; [unrolled: 3-line block ×7, first 2 shown]
	ds_load_b64 v[74:75], v14 offset:32
	v_or_b32_e32 v39, v38, v39
	v_or_b32_e32 v41, v40, v41
	v_fma_mixlo_f16 v40, v18, v40, 0 op_sel:[0,1,0] op_sel_hi:[0,1,0]
	v_fma_mixlo_f16 v38, v18, v38, 0 op_sel:[0,1,0] op_sel_hi:[0,1,0]
	s_delay_alu instid0(VALU_DEP_2) | instskip(NEXT) | instid1(VALU_DEP_2)
	v_and_b32_e32 v76, 0xffff, v40
	v_and_b32_e32 v38, 0xffff, v38
	s_wait_dscnt 0x0
	v_and_b32_e32 v40, 0xffff, v74
	v_lshrrev_b32_e32 v74, 16, v74
	v_fma_mixlo_f16 v39, v18, v39, 0 op_sel_hi:[0,1,0]
	v_lshrrev_b32_e32 v78, 16, v75
	v_fma_mixlo_f16 v41, v18, v41, 0 op_sel_hi:[0,1,0]
	v_and_b32_e32 v75, 0xffff, v75
	;;#ASMSTART
	v_cvt_f32_f16 v40, v40;
	;;#ASMEND
	v_and_b32_e32 v39, 0xffff, v39
	s_delay_alu instid0(VALU_DEP_3)
	v_and_b32_e32 v77, 0xffff, v41
	;;#ASMSTART
	v_cvt_f32_f16 v41, v74;
	;;#ASMEND
	;;#ASMSTART
	v_cvt_f32_f16 v79, v39;
	;;#ASMEND
	;;#ASMSTART
	v_cvt_f32_f16 v80, v38;
	;;#ASMEND
	;;#ASMSTART
	v_cvt_f32_f16 v74, v75;
	;;#ASMEND
	;;#ASMSTART
	v_cvt_f32_f16 v38, v78;
	;;#ASMEND
	;;#ASMSTART
	v_cvt_f32_f16 v75, v77;
	;;#ASMEND
	;;#ASMSTART
	v_cvt_f32_f16 v39, v76;
	;;#ASMEND
	ds_load_b64 v[76:77], v14 offset:40
	v_or_b32_e32 v43, v42, v43
	v_fma_mixlo_f16 v42, v18, v42, 0 op_sel:[0,1,0] op_sel_hi:[0,1,0]
	s_delay_alu instid0(VALU_DEP_1)
	v_and_b32_e32 v42, 0xffff, v42
	s_wait_dscnt 0x0
	v_and_b32_e32 v78, 0xffff, v76
	v_lshrrev_b32_e32 v76, 16, v76
	v_fma_mixlo_f16 v43, v18, v43, 0 op_sel_hi:[0,1,0]
	v_lshrrev_b32_e32 v81, 16, v77
	v_and_b32_e32 v77, 0xffff, v77
	;;#ASMSTART
	v_cvt_f32_f16 v78, v78;
	;;#ASMEND
	;;#ASMSTART
	v_cvt_f32_f16 v76, v76;
	;;#ASMEND
	v_and_b32_e32 v43, 0xffff, v43
	;;#ASMSTART
	v_cvt_f32_f16 v82, v43;
	;;#ASMEND
	;;#ASMSTART
	v_cvt_f32_f16 v83, v42;
	;;#ASMEND
	;; [unrolled: 3-line block ×6, first 2 shown]
	ds_load_b64 v[42:43], v14 offset:48
	v_or_b32_e32 v44, v46, v47
	v_or_b32_e32 v45, v48, v49
	v_fma_mixlo_f16 v46, v18, v46, 0 op_sel:[0,1,0] op_sel_hi:[0,1,0]
	v_fma_mixlo_f16 v47, v18, v48, 0 op_sel:[0,1,0] op_sel_hi:[0,1,0]
	v_or_b32_e32 v49, v52, v53
	v_fma_mixlo_f16 v44, v18, v44, 0 op_sel_hi:[0,1,0]
	v_or_b32_e32 v48, v50, v51
	v_and_b32_e32 v46, 0xffff, v46
	v_and_b32_e32 v47, 0xffff, v47
	s_delay_alu instid0(VALU_DEP_4)
	v_and_b32_e32 v44, 0xffff, v44
	s_wait_dscnt 0x0
	v_lshrrev_b32_e32 v53, 16, v43
	v_fma_mixlo_f16 v45, v18, v45, 0 op_sel_hi:[0,1,0]
	v_and_b32_e32 v51, 0xffff, v42
	v_lshrrev_b32_e32 v42, 16, v42
	v_and_b32_e32 v43, 0xffff, v43
	;;#ASMSTART
	v_cvt_f32_f16 v86, v51;
	;;#ASMEND
	v_and_b32_e32 v45, 0xffff, v45
	;;#ASMSTART
	v_cvt_f32_f16 v87, v42;
	;;#ASMEND
	;;#ASMSTART
	v_cvt_f32_f16 v88, v44;
	;;#ASMEND
	;; [unrolled: 3-line block ×7, first 2 shown]
	ds_load_b64 v[42:43], v14 offset:56
	v_fma_mixlo_f16 v44, v18, v50, 0 op_sel:[0,1,0] op_sel_hi:[0,1,0]
	v_fma_mixlo_f16 v45, v18, v52, 0 op_sel:[0,1,0] op_sel_hi:[0,1,0]
	;; [unrolled: 1-line block ×3, first 2 shown]
	v_or_b32_e32 v50, v56, v57
	v_or_b32_e32 v46, v54, v55
	v_or_b32_e32 v51, v10, v58
	v_fma_mixlo_f16 v52, v18, v56, 0 op_sel:[0,1,0] op_sel_hi:[0,1,0]
	v_and_b32_e32 v55, 0xffff, v45
	v_and_b32_e32 v54, 0xffff, v44
	v_fma_mixlo_f16 v44, v18, v46, 0 op_sel_hi:[0,1,0]
	v_fma_mixlo_f16 v46, v18, v51, 0 op_sel_hi:[0,1,0]
	v_fma_mixlo_f16 v10, v18, v10, 0 op_sel:[0,1,0] op_sel_hi:[0,1,0]
	s_delay_alu instid0(VALU_DEP_1)
	v_and_b32_e32 v10, 0xffff, v10
	s_wait_dscnt 0x0
	v_and_b32_e32 v56, 0xffff, v42
	v_lshrrev_b32_e32 v42, 16, v42
	v_fma_mixlo_f16 v48, v18, v48, 0 op_sel_hi:[0,1,0]
	v_lshrrev_b32_e32 v57, 16, v43
	v_fma_mixlo_f16 v45, v18, v50, 0 op_sel_hi:[0,1,0]
	v_and_b32_e32 v50, 0xffff, v47
	v_mul_f32_e32 v47, v65, v67
	v_fma_mixlo_f16 v49, v18, v49, 0 op_sel_hi:[0,1,0]
	v_and_b32_e32 v51, 0xffff, v48
	v_and_b32_e32 v43, 0xffff, v43
	v_mul_f32_e32 v48, v64, v66
	;;#ASMSTART
	v_cvt_f32_f16 v56, v56;
	;;#ASMEND
	v_and_b32_e32 v49, 0xffff, v49
	;;#ASMSTART
	v_cvt_f32_f16 v58, v42;
	;;#ASMEND
	;;#ASMSTART
	v_cvt_f32_f16 v51, v51;
	;;#ASMEND
	;; [unrolled: 3-line block ×7, first 2 shown]
	ds_load_b64 v[42:43], v14 offset:64
	v_dual_mul_f32 v27, v27, v29 :: v_dual_fmac_f32 v47, v2, v22
	v_fmac_f32_e32 v48, v19, v61
	v_and_b32_e32 v2, 0xffff, v52
	s_delay_alu instid0(VALU_DEP_3) | instskip(NEXT) | instid1(VALU_DEP_3)
	v_fmac_f32_e32 v27, v21, v63
	v_dual_fmac_f32 v47, v8, v34 :: v_dual_fmac_f32 v48, v9, v35
	v_and_b32_e32 v8, 0xffff, v44
	v_and_b32_e32 v9, 0xffff, v45
	v_fmac_f32_e32 v23, v30, v68
	s_delay_alu instid0(VALU_DEP_4) | instskip(NEXT) | instid1(VALU_DEP_1)
	v_dual_fmac_f32 v47, v32, v70 :: v_dual_fmac_f32 v48, v33, v71
	v_fmac_f32_e32 v48, v41, v80
	s_wait_dscnt 0x0
	v_and_b32_e32 v19, 0xffff, v42
	v_dual_lshrrev_b32 v20, 16, v42 :: v_dual_lshrrev_b32 v21, 16, v43
	v_and_b32_e32 v22, 0xffff, v43
	v_fmac_f32_e32 v27, v31, v69
	v_fmac_f32_e32 v47, v40, v79
	;;#ASMSTART
	v_cvt_f32_f16 v19, v19;
	;;#ASMEND
	;;#ASMSTART
	v_cvt_f32_f16 v20, v20;
	;;#ASMEND
	;; [unrolled: 3-line block ×8, first 2 shown]
	ds_load_b64 v[8:9], v14 offset:72
	v_dual_fmac_f32 v47, v78, v82 :: v_dual_bitop2_b32 v2, v59, v60 bitop3:0x54
	v_dual_fmac_f32 v27, v37, v73 :: v_dual_fmac_f32 v48, v76, v83
	v_fmac_f32_e32 v23, v36, v72
	s_delay_alu instid0(VALU_DEP_3) | instskip(NEXT) | instid1(VALU_DEP_4)
	v_fma_mixlo_f16 v2, v18, v2, 0 op_sel_hi:[0,1,0]
	v_fmac_f32_e32 v47, v86, v88
	s_delay_alu instid0(VALU_DEP_4) | instskip(SKIP_1) | instid1(VALU_DEP_4)
	v_dual_fmac_f32 v27, v38, v39 :: v_dual_fmac_f32 v48, v87, v89
	v_fma_mixlo_f16 v18, v18, v59, 0 op_sel:[0,1,0] op_sel_hi:[0,1,0]
	v_and_b32_e32 v2, 0xffff, v2
	s_delay_alu instid0(VALU_DEP_3) | instskip(SKIP_1) | instid1(VALU_DEP_2)
	v_dual_fmac_f32 v47, v56, v51 :: v_dual_fmac_f32 v48, v58, v54
	v_fmac_f32_e32 v23, v74, v75
	v_dual_fmac_f32 v47, v19, v28 :: v_dual_fmac_f32 v48, v20, v29
	s_wait_dscnt 0x0
	v_and_b32_e32 v19, 0xffff, v8
	v_dual_fmac_f32 v27, v81, v85 :: v_dual_lshrrev_b32 v8, 16, v8
	v_and_b32_e32 v20, 0xffff, v46
	;;#ASMSTART
	v_cvt_f32_f16 v19, v19;
	;;#ASMEND
	;;#ASMSTART
	v_cvt_f32_f16 v8, v8;
	;;#ASMEND
	;;#ASMSTART
	v_cvt_f32_f16 v20, v20;
	;;#ASMEND
	v_fmac_f32_e32 v27, v53, v92
	;;#ASMSTART
	v_cvt_f32_f16 v10, v10;
	;;#ASMEND
	v_dual_fmac_f32 v23, v77, v84 :: v_dual_fmac_f32 v48, v8, v10
	v_fmac_f32_e32 v47, v19, v20
	s_delay_alu instid0(VALU_DEP_3) | instskip(SKIP_1) | instid1(VALU_DEP_4)
	v_fmac_f32_e32 v27, v57, v55
	v_and_b32_e32 v10, 0xffff, v18
	v_fmac_f32_e32 v23, v90, v91
	s_delay_alu instid0(VALU_DEP_3)
	v_fmac_f32_e32 v27, v21, v31
	v_and_b32_e32 v21, 0xffff, v9
	v_lshrrev_b32_e32 v9, 16, v9
	;;#ASMSTART
	v_cvt_f32_f16 v8, v21;
	;;#ASMEND
	;;#ASMSTART
	v_cvt_f32_f16 v9, v9;
	;;#ASMEND
	;; [unrolled: 3-line block ×4, first 2 shown]
	v_fmac_f32_e32 v27, v9, v10
	v_fmac_f32_e32 v23, v64, v49
	s_delay_alu instid0(VALU_DEP_1) | instskip(NEXT) | instid1(VALU_DEP_1)
	v_fmac_f32_e32 v23, v22, v30
	v_dual_fmac_f32 v23, v8, v2 :: v_dual_bitop2_b32 v8, 1, v11 bitop3:0x14
	v_add_f32_e32 v2, v47, v48
	s_delay_alu instid0(VALU_DEP_2) | instskip(NEXT) | instid1(VALU_DEP_1)
	v_cmp_gt_i32_e64 s4, 32, v8
	v_dual_add_f32 v2, v2, v23 :: v_dual_cndmask_b32 v8, v11, v8, s4
	s_delay_alu instid0(VALU_DEP_1)
	v_dual_add_f32 v2, v27, v2 :: v_dual_lshlrev_b32 v8, 2, v8
	ds_bpermute_b32 v8, v8, v2
	s_and_saveexec_b32 s28, vcc_lo
	s_cbranch_execz .LBB265_8
; %bb.330:                              ;   in Loop: Header=BB265_9 Depth=1
	s_wait_dscnt 0x0
	v_dual_add_f32 v2, v2, v8 :: v_dual_add_nc_u32 v9, s27, v15
	v_cmp_gt_i32_e64 s4, s23, v15
	s_delay_alu instid0(VALU_DEP_2) | instskip(NEXT) | instid1(VALU_DEP_1)
	v_cvt_f32_i32_e32 v9, v9
	v_mul_f32_e32 v9, s25, v9
	s_delay_alu instid0(VALU_DEP_1) | instskip(NEXT) | instid1(VALU_DEP_1)
	v_cndmask_b32_e64 v8, 0, v9, s3
	v_dual_fmac_f32 v8, s7, v2 :: v_dual_max_num_f32 v9, v13, v13
	s_delay_alu instid0(VALU_DEP_1) | instskip(NEXT) | instid1(VALU_DEP_1)
	v_dual_max_num_f32 v2, v9, v8 :: v_dual_cndmask_b32 v8, 0, v8, s4
	v_cndmask_b32_e64 v13, v13, v2, s4
	ds_store_b32 v16, v8
	s_branch .LBB265_8
.LBB265_331:
	s_or_b32 exec_lo, exec_lo, s6
.LBB265_332:
	s_delay_alu instid0(SALU_CYCLE_1)
	s_or_b32 exec_lo, exec_lo, s26
	v_dual_max_num_f32 v6, v13, v13 :: v_dual_bitop2_b32 v2, 16, v11 bitop3:0x14
	s_load_b64 s[6:7], s[0:1], 0x0
	s_wait_kmcnt 0x0
	s_load_b64 s[8:9], s[0:1], 0x18
	v_xor_b32_e32 v5, 8, v11
	v_xor_b32_e32 v7, 4, v11
	v_cmp_lt_i32_e32 vcc_lo, v2, v12
	v_dual_cndmask_b32 v2, v11, v2, vcc_lo :: v_dual_bitop2_b32 v27, 31, v0 bitop3:0x40
	s_delay_alu instid0(VALU_DEP_4) | instskip(NEXT) | instid1(VALU_DEP_2)
	v_cmp_lt_i32_e32 vcc_lo, v5, v12
	v_dual_cndmask_b32 v5, v11, v5 :: v_dual_lshlrev_b32 v4, 2, v2
	v_cmp_lt_i32_e32 vcc_lo, v7, v12
	ds_bpermute_b32 v2, v4, v13
	s_wait_dscnt 0x0
	v_dual_max_num_f32 v2, v2, v2 :: v_dual_lshlrev_b32 v5, 2, v5
	s_delay_alu instid0(VALU_DEP_1) | instskip(SKIP_3) | instid1(VALU_DEP_1)
	v_max_num_f32_e32 v2, v6, v2
	ds_bpermute_b32 v6, v5, v2
	s_wait_dscnt 0x0
	v_dual_cndmask_b32 v7, v11, v7 :: v_dual_max_num_f32 v8, v6, v6
	v_dual_lshlrev_b32 v6, 2, v7 :: v_dual_max_num_f32 v2, v2, v8
	v_xor_b32_e32 v8, 2, v11
	ds_bpermute_b32 v7, v6, v2
	v_cmp_lt_i32_e32 vcc_lo, v8, v12
	s_wait_dscnt 0x0
	v_max_num_f32_e32 v7, v7, v7
	v_cndmask_b32_e32 v9, v11, v8, vcc_lo
	v_cmp_eq_u32_e32 vcc_lo, 0, v27
	s_delay_alu instid0(VALU_DEP_2)
	v_dual_max_num_f32 v8, v2, v7 :: v_dual_lshlrev_b32 v2, 2, v9
	v_lshlrev_b32_e32 v7, 2, v26
	ds_bpermute_b32 v9, v2, v8
	s_wait_xcnt 0x0
	s_and_saveexec_b32 s0, vcc_lo
	s_cbranch_execz .LBB265_334
; %bb.333:
	s_wait_dscnt 0x0
	v_dual_max_num_f32 v9, v9, v9 :: v_dual_max_num_f32 v8, v8, v8
	s_delay_alu instid0(VALU_DEP_1)
	v_max_num_f32_e32 v8, v8, v9
	ds_store_b32 v7, v8 offset:160
.LBB265_334:
	s_or_b32 exec_lo, exec_lo, s0
	v_cmp_gt_u32_e64 s0, 4, v27
	s_wait_dscnt 0x0
	v_dual_mov_b32 v9, 0xff7fffff :: v_dual_lshlrev_b32 v8, 2, v27
	s_barrier_signal -1
	s_barrier_wait -1
	s_and_saveexec_b32 s1, s0
; %bb.335:
	ds_load_b32 v9, v8 offset:160
; %bb.336:
	s_or_b32 exec_lo, exec_lo, s1
	s_wait_dscnt 0x0
	ds_bpermute_b32 v10, v2, v9
	v_dual_max_num_f32 v9, v9, v9 :: v_dual_bitop2_b32 v13, 1, v11 bitop3:0x14
	v_lshlrev_b32_e32 v3, 2, v3
	s_delay_alu instid0(VALU_DEP_2) | instskip(NEXT) | instid1(VALU_DEP_1)
	v_cmp_lt_i32_e64 s1, v13, v12
	v_cndmask_b32_e64 v12, v11, v13, s1
	s_lshl_b32 s1, s24, 4
	s_delay_alu instid0(SALU_CYCLE_1) | instskip(NEXT) | instid1(SALU_CYCLE_1)
	s_min_i32 s4, s1, s23
	v_cmp_gt_i32_e64 s1, s4, v0
	s_wait_dscnt 0x0
	v_dual_max_num_f32 v10, v10, v10 :: v_dual_lshlrev_b32 v28, 2, v12
	s_delay_alu instid0(VALU_DEP_1) | instskip(SKIP_3) | instid1(VALU_DEP_1)
	v_max_num_f32_e32 v9, v9, v10
	ds_bpermute_b32 v10, v28, v9
	s_wait_dscnt 0x0
	v_max_num_f32_e32 v10, v10, v10
	v_max_num_f32_e32 v9, v9, v10
	ds_bpermute_b32 v9, v3, v9
	v_mov_b32_e32 v3, 0
	s_and_saveexec_b32 s19, s1
	s_cbranch_execz .LBB265_340
; %bb.337:
	v_lshl_add_u32 v10, v0, 2, 0xc0
	v_dual_mov_b32 v3, 0 :: v_dual_mov_b32 v12, v0
	s_mov_b32 s25, 0
.LBB265_338:                            ; =>This Inner Loop Header: Depth=1
	ds_load_b32 v13, v10
	v_add_nc_u32_e32 v12, 0x80, v12
	s_delay_alu instid0(VALU_DEP_1) | instskip(SKIP_3) | instid1(VALU_DEP_1)
	v_cmp_le_i32_e64 s3, s4, v12
	s_or_b32 s25, s3, s25
	s_wait_dscnt 0x0
	v_sub_f32_e32 v13, v13, v9
	v_mul_f32_e32 v13, 0x3fb8aa3b, v13
	s_delay_alu instid0(VALU_DEP_1)
	v_exp_f32_e32 v13, v13
	ds_store_b32 v10, v13
	v_nop
	v_dual_add_f32 v3, v3, v13 :: v_dual_add_nc_u32 v10, 0x200, v10
	s_and_not1_b32 exec_lo, exec_lo, s25
	s_cbranch_execnz .LBB265_338
; %bb.339:
	s_or_b32 exec_lo, exec_lo, s25
.LBB265_340:
	s_delay_alu instid0(SALU_CYCLE_1)
	s_or_b32 exec_lo, exec_lo, s19
	ds_bpermute_b32 v4, v4, v3
	s_wait_dscnt 0x0
	v_add_f32_e32 v3, v3, v4
	ds_bpermute_b32 v4, v5, v3
	s_wait_dscnt 0x0
	v_add_f32_e32 v3, v3, v4
	;; [unrolled: 3-line block ×5, first 2 shown]
	s_and_saveexec_b32 s3, vcc_lo
; %bb.341:
	ds_store_b32 v7, v3 offset:176
; %bb.342:
	s_or_b32 exec_lo, exec_lo, s3
	s_wait_dscnt 0x0
	s_barrier_signal -1
	s_barrier_wait -1
	s_and_saveexec_b32 s3, s0
; %bb.343:
	ds_load_b32 v3, v8 offset:176
; %bb.344:
	s_or_b32 exec_lo, exec_lo, s3
	s_wait_dscnt 0x0
	ds_bpermute_b32 v2, v2, v3
	s_wait_dscnt 0x0
	v_dual_lshlrev_b32 v4, 2, v11 :: v_dual_add_f32 v2, v3, v2
	ds_bpermute_b32 v3, v28, v2
	s_wait_dscnt 0x0
	v_add_f32_e32 v2, v2, v3
	v_and_b32_e32 v3, 0xffffff80, v4
	ds_bpermute_b32 v2, v3, v2
	s_and_saveexec_b32 s0, s1
	s_cbranch_execz .LBB265_357
; %bb.345:
	s_wait_dscnt 0x0
	v_add_f32_e32 v2, 0x358637bd, v2
	s_mov_b32 s3, -1
	s_mov_b32 s1, exec_lo
	s_delay_alu instid0(VALU_DEP_1) | instskip(NEXT) | instid1(VALU_DEP_1)
	v_div_scale_f32 v3, null, v2, v2, 1.0
	v_rcp_f32_e32 v5, v3
	v_nop
	s_delay_alu instid0(TRANS32_DEP_1) | instskip(NEXT) | instid1(VALU_DEP_1)
	v_fma_f32 v4, -v3, v5, 1.0
	v_fmac_f32_e32 v5, v4, v5
	v_div_scale_f32 v6, vcc_lo, 1.0, v2, 1.0
	s_delay_alu instid0(VALU_DEP_1) | instskip(NEXT) | instid1(VALU_DEP_1)
	v_mul_f32_e32 v7, v6, v5
	v_fma_f32 v4, -v3, v7, v6
	s_delay_alu instid0(VALU_DEP_1) | instskip(SKIP_1) | instid1(VALU_DEP_2)
	v_fmac_f32_e32 v7, v4, v5
	v_xad_u32 v4, v0, -1, s4
	v_fma_f32 v3, -v3, v7, v6
	s_delay_alu instid0(VALU_DEP_1) | instskip(NEXT) | instid1(VALU_DEP_1)
	v_div_fmas_f32 v3, v3, v5, v7
	v_div_fixup_f32 v2, v3, v2, 1.0
	v_mov_b32_e32 v3, v0
	v_cmpx_lt_u32_e32 0x7f, v4
	s_cbranch_execz .LBB265_354
; %bb.346:
	s_delay_alu instid0(VALU_DEP_3) | instskip(NEXT) | instid1(VALU_DEP_1)
	v_dual_mov_b32 v3, v2 :: v_dual_lshrrev_b32 v4, 7, v4
	v_dual_mov_b32 v8, 0 :: v_dual_add_nc_u32 v5, -1, v4
	s_delay_alu instid0(VALU_DEP_1) | instskip(SKIP_1) | instid1(VALU_DEP_2)
	v_lshrrev_b32_e32 v6, 1, v5
	v_cmp_lt_u32_e32 vcc_lo, 13, v5
	v_add_nc_u32_e32 v5, 1, v6
	s_and_saveexec_b32 s3, vcc_lo
	s_cbranch_execz .LBB265_350
; %bb.347:
	s_delay_alu instid0(VALU_DEP_1)
	v_and_b32_e32 v6, -8, v5
	v_lshl_add_u32 v7, v0, 2, 0xc0
	s_mov_b32 s19, 0
	s_mov_b32 s25, 0
.LBB265_348:                            ; =>This Inner Loop Header: Depth=1
	ds_load_2addr_stride64_b32 v[8:9], v7 offset1:2
	ds_load_2addr_stride64_b32 v[10:11], v7 offset0:4 offset1:6
	ds_load_2addr_stride64_b32 v[12:13], v7 offset0:8 offset1:10
	;; [unrolled: 1-line block ×7, first 2 shown]
	s_add_co_i32 s25, s25, 16
	v_add_nc_u32_e32 v6, -8, v6
	s_wait_dscnt 0x7
	v_pk_mul_f32 v[8:9], v[2:3], v[8:9]
	s_wait_dscnt 0x6
	v_pk_mul_f32 v[10:11], v[2:3], v[10:11]
	;; [unrolled: 2-line block ×8, first 2 shown]
	ds_store_2addr_stride64_b32 v7, v8, v9 offset1:2
	ds_store_2addr_stride64_b32 v7, v10, v11 offset0:4 offset1:6
	ds_store_2addr_stride64_b32 v7, v12, v13 offset0:8 offset1:10
	;; [unrolled: 1-line block ×7, first 2 shown]
	v_mov_b32_e32 v8, s25
	v_cmp_eq_u32_e32 vcc_lo, 0, v6
	v_add_nc_u32_e32 v7, 0x2000, v7
	s_or_b32 s19, vcc_lo, s19
	s_delay_alu instid0(SALU_CYCLE_1)
	s_and_not1_b32 exec_lo, exec_lo, s19
	s_cbranch_execnz .LBB265_348
; %bb.349:
	s_or_b32 exec_lo, exec_lo, s19
.LBB265_350:
	s_delay_alu instid0(SALU_CYCLE_1) | instskip(NEXT) | instid1(VALU_DEP_1)
	s_or_b32 exec_lo, exec_lo, s3
	v_and_b32_e32 v5, 7, v5
	s_mov_b32 s19, 0
	s_mov_b32 s3, exec_lo
	s_delay_alu instid0(VALU_DEP_1)
	v_cmpx_ne_u32_e32 0, v5
	s_cbranch_execz .LBB265_353
; %bb.351:
	v_lshlrev_b32_e32 v6, 9, v8
	v_lshlrev_b32_e32 v7, 2, v0
	s_delay_alu instid0(VALU_DEP_1)
	v_add3_u32 v6, v6, v7, 0xc0
.LBB265_352:                            ; =>This Inner Loop Header: Depth=1
	ds_load_2addr_stride64_b32 v[8:9], v6 offset1:2
	v_add_nc_u32_e32 v5, -1, v5
	s_delay_alu instid0(VALU_DEP_1)
	v_cmp_eq_u32_e32 vcc_lo, 0, v5
	s_or_b32 s19, vcc_lo, s19
	s_wait_dscnt 0x0
	v_pk_mul_f32 v[8:9], v[2:3], v[8:9]
	ds_store_2addr_stride64_b32 v6, v8, v9 offset1:2
	v_add_nc_u32_e32 v6, 0x400, v6
	s_and_not1_b32 exec_lo, exec_lo, s19
	s_cbranch_execnz .LBB265_352
.LBB265_353:
	s_or_b32 exec_lo, exec_lo, s3
	v_add_nc_u32_e32 v3, 1, v4
	s_delay_alu instid0(VALU_DEP_1) | instskip(NEXT) | instid1(VALU_DEP_1)
	v_and_b32_e32 v4, 0x3fffffe, v3
	v_cmp_ne_u32_e32 vcc_lo, v3, v4
	v_lshl_add_u32 v3, v4, 7, v0
	s_or_not1_b32 s3, vcc_lo, exec_lo
.LBB265_354:
	s_or_b32 exec_lo, exec_lo, s1
	s_delay_alu instid0(SALU_CYCLE_1)
	s_and_b32 exec_lo, exec_lo, s3
	s_cbranch_execz .LBB265_357
; %bb.355:
	v_lshl_add_u32 v4, v3, 2, 0xc0
	s_mov_b32 s1, 0
.LBB265_356:                            ; =>This Inner Loop Header: Depth=1
	ds_load_b32 v5, v4
	v_add_nc_u32_e32 v3, 0x80, v3
	s_delay_alu instid0(VALU_DEP_1)
	v_cmp_le_i32_e32 vcc_lo, s4, v3
	s_or_b32 s1, vcc_lo, s1
	s_wait_dscnt 0x0
	v_mul_f32_e32 v5, v2, v5
	ds_store_b32 v4, v5
	v_add_nc_u32_e32 v4, 0x200, v4
	s_and_not1_b32 exec_lo, exec_lo, s1
	s_cbranch_execnz .LBB265_356
.LBB265_357:
	s_or_b32 exec_lo, exec_lo, s0
	s_wait_dscnt 0x0
	v_dual_mov_b32 v3, 0 :: v_dual_mov_b32 v2, 0
	v_dual_mov_b32 v5, 0 :: v_dual_mov_b32 v4, 0
	v_mov_b32_e32 v29, 0
	s_barrier_signal -1
	s_barrier_wait -1
	s_and_saveexec_b32 s1, s2
	s_cbranch_execz .LBB265_691
; %bb.358:
	v_dual_mov_b32 v7, 0 :: v_dual_lshlrev_b32 v2, 3, v0
	s_ashr_i32 s19, s18, 31
	v_lshlrev_b32_e32 v3, 5, v25
	s_wait_kmcnt 0x0
	s_add_nc_u64 s[8:9], s[8:9], s[18:19]
	v_and_b32_e32 v6, 0xf8, v2
	s_lshl_b64 s[2:3], s[14:15], 2
	v_and_b32_e32 v2, 8, v2
	v_lshl_or_b32 v3, v26, 6, v3
	s_add_nc_u64 s[2:3], s[16:17], s[2:3]
	v_add_nc_u64_e32 v[8:9], s[8:9], v[6:7]
	v_and_b32_e32 v6, 0x7c, v1
	v_lshl_or_b32 v30, v26, 4, v2
	v_dual_mov_b32 v2, 0 :: v_dual_add_nc_u32 v31, 0xc0, v3
	v_dual_mov_b32 v29, 0 :: v_dual_mov_b32 v3, 0
	s_delay_alu instid0(VALU_DEP_4)
	v_add_nc_u64_e32 v[10:11], s[2:3], v[6:7]
	v_dual_mov_b32 v5, 0 :: v_dual_mov_b32 v4, 0
	v_mov_b32_e32 v32, v26
	s_mov_b32 s4, s5
	s_mov_b64 s[2:3], 0xffffffffffffff
	s_add_co_i32 s5, s24, -1
	s_mov_b32 s9, s23
	s_mov_b32 s8, 0
	s_branch .LBB265_360
.LBB265_359:                            ;   in Loop: Header=BB265_360 Depth=1
	s_or_b32 exec_lo, exec_lo, s0
	v_add_f32_e32 v1, v40, v41
	;;#ASMSTART
	v_pk_mul_f16 v6, v45, v15;

	;;#ASMEND
	;;#ASMSTART
	v_pk_mul_f16 v14, v44, v14;

	;;#ASMEND
	;; [unrolled: 4-line block ×4, first 2 shown]
	v_add_f32_e32 v3, v3, v1
	;;#ASMSTART
	v_pk_add_f16 v1, v6, v14;

	;;#ASMEND
	;;#ASMSTART
	v_pk_add_f16 v1, v1, v13;

	;;#ASMEND
	;; [unrolled: 4-line block ×3, first 2 shown]
	v_and_b32_e32 v13, 0xffff, v1
	v_lshrrev_b32_e32 v14, 16, v1
	;;#ASMSTART
	v_cvt_f32_f16 v13, v13;
	;;#ASMEND
	;;#ASMSTART
	v_cvt_f32_f16 v14, v14;
	;;#ASMEND
	s_delay_alu instid0(VALU_DEP_1) | instskip(SKIP_3) | instid1(VALU_DEP_4)
	v_dual_add_f32 v13, v13, v14 :: v_dual_add_nc_u32 v32, 4, v32
	v_dual_add_f32 v1, v50, v51 :: v_dual_add_f32 v6, v48, v49
	v_add_f32_e32 v12, v46, v47
	v_add_nc_u64_e32 v[10:11], 16, v[10:11]
	v_cmp_le_i32_e32 vcc_lo, s24, v32
	s_delay_alu instid0(VALU_DEP_4) | instskip(NEXT) | instid1(VALU_DEP_4)
	v_dual_add_f32 v2, v2, v1 :: v_dual_add_f32 v5, v5, v6
	v_dual_add_f32 v4, v4, v12 :: v_dual_add_f32 v29, v29, v13
	v_add_nc_u32_e32 v30, 64, v30
	v_add_nc_u32_e32 v31, 0x100, v31
	s_or_b32 s8, vcc_lo, s8
	s_delay_alu instid0(SALU_CYCLE_1)
	s_and_not1_b32 exec_lo, exec_lo, s8
	s_cbranch_execz .LBB265_690
.LBB265_360:                            ; =>This Inner Loop Header: Depth=1
	global_load_b32 v1, v[10:11], off
	ds_load_2addr_b64 v[14:17], v31 offset1:1
	ds_load_2addr_b64 v[18:21], v31 offset0:2 offset1:3
	s_mov_b32 s0, exec_lo
	s_wait_dscnt 0x1
	;;#ASMSTART
	v_cvt_f16_f32 v43, v14;

	;;#ASMEND
	;;#ASMSTART
	v_cvt_f16_f32 v40, v15;

	;;#ASMEND
	;;#ASMSTART
	v_cvt_f16_f32 v44, v16;

	;;#ASMEND
	;;#ASMSTART
	v_cvt_f16_f32 v41, v17;

	;;#ASMEND
	s_wait_dscnt 0x0
	;;#ASMSTART
	v_cvt_f16_f32 v45, v18;

	;;#ASMEND
	;;#ASMSTART
	v_cvt_f16_f32 v42, v19;

	;;#ASMEND
	;; [unrolled: 4-line block ×4, first 2 shown]
	s_wait_loadcnt 0x0
	v_mad_nc_i64_i32 v[12:13], v1, s4, v[8:9]
	v_mov_b32_e32 v1, 0
	global_load_b64 v[16:17], v[12:13], off
	global_load_b32 v14, v7, s[10:11]
	s_wait_loadcnt 0x1
	v_and_b32_e32 v6, 0xff, v16
	s_wait_xcnt 0x0
	s_delay_alu instid0(VALU_DEP_1)
	v_cmpx_ne_u16_e32 0, v6
	s_cbranch_execz .LBB265_368
; %bb.361:                              ;   in Loop: Header=BB265_360 Depth=1
	v_mov_b32_e32 v1, 0x8000
	s_mov_b32 s14, exec_lo
	v_cmpx_ne_u16_e32 0x80, v6
	s_cbranch_execz .LBB265_367
; %bb.362:                              ;   in Loop: Header=BB265_360 Depth=1
	v_and_b32_e32 v15, 0x7f, v16
	v_mov_b32_e32 v1, 0x7c01
	s_mov_b32 s15, exec_lo
	s_delay_alu instid0(VALU_DEP_2)
	v_cmpx_ne_u32_e32 0x7f, v15
	s_cbranch_execz .LBB265_366
; %bb.363:                              ;   in Loop: Header=BB265_360 Depth=1
	v_dual_lshrrev_b32 v6, 3, v15 :: v_dual_bitop2_b32 v1, 7, v16 bitop3:0x40
	s_mov_b32 s16, exec_lo
	v_cmpx_gt_u32_e32 8, v15
; %bb.364:                              ;   in Loop: Header=BB265_360 Depth=1
	s_delay_alu instid0(VALU_DEP_2) | instskip(NEXT) | instid1(VALU_DEP_1)
	v_clz_i32_u32_e32 v1, v1
	v_min_u32_e32 v1, 32, v1
	s_delay_alu instid0(VALU_DEP_1) | instskip(NEXT) | instid1(VALU_DEP_1)
	v_subrev_nc_u32_e32 v6, 28, v1
	v_lshlrev_b64_e32 v[18:19], v6, v[16:17]
	s_delay_alu instid0(VALU_DEP_1)
	v_dual_sub_nc_u32 v6, 29, v1 :: v_dual_bitop2_b32 v1, 7, v18 bitop3:0x40
; %bb.365:                              ;   in Loop: Header=BB265_360 Depth=1
	s_or_b32 exec_lo, exec_lo, s16
	s_delay_alu instid0(VALU_DEP_1) | instskip(NEXT) | instid1(VALU_DEP_2)
	v_dual_lshlrev_b32 v15, 8, v16 :: v_dual_lshlrev_b32 v1, 7, v1
	v_lshl_add_u32 v6, v6, 10, 0x2000
	s_delay_alu instid0(VALU_DEP_2) | instskip(NEXT) | instid1(VALU_DEP_2)
	v_and_b32_e32 v15, 0x8000, v15
	v_and_b32_e32 v6, 0xfc00, v6
	s_delay_alu instid0(VALU_DEP_1)
	v_or3_b32 v1, v15, v6, v1
.LBB265_366:                            ;   in Loop: Header=BB265_360 Depth=1
	s_or_b32 exec_lo, exec_lo, s15
.LBB265_367:                            ;   in Loop: Header=BB265_360 Depth=1
	s_delay_alu instid0(SALU_CYCLE_1)
	s_or_b32 exec_lo, exec_lo, s14
.LBB265_368:                            ;   in Loop: Header=BB265_360 Depth=1
	s_delay_alu instid0(SALU_CYCLE_1) | instskip(SKIP_3) | instid1(VALU_DEP_2)
	s_or_b32 exec_lo, exec_lo, s0
	v_lshrrev_b16 v6, 8, v16
	v_dual_mov_b32 v15, 0 :: v_dual_mov_b32 v18, 0
	s_mov_b32 s0, exec_lo
	v_cmpx_ne_u16_e32 0, v6
	s_cbranch_execz .LBB265_376
; %bb.369:                              ;   in Loop: Header=BB265_360 Depth=1
	v_bfrev_b32_e32 v18, 1
	s_mov_b32 s14, exec_lo
	v_cmpx_ne_u16_e32 0x80, v6
	s_cbranch_execz .LBB265_375
; %bb.370:                              ;   in Loop: Header=BB265_360 Depth=1
	v_and_b32_e32 v19, 0xffff, v6
	v_mov_b32_e32 v18, 0x7c010000
	s_mov_b32 s15, exec_lo
	s_delay_alu instid0(VALU_DEP_2) | instskip(NEXT) | instid1(VALU_DEP_1)
	v_and_b32_e32 v21, 0x7f, v19
	v_cmpx_ne_u32_e32 0x7f, v21
	s_cbranch_execz .LBB265_374
; %bb.371:                              ;   in Loop: Header=BB265_360 Depth=1
	v_dual_lshrrev_b32 v20, 3, v21 :: v_dual_bitop2_b32 v18, 7, v19 bitop3:0x40
	s_mov_b32 s16, exec_lo
	v_cmpx_gt_u32_e32 8, v21
; %bb.372:                              ;   in Loop: Header=BB265_360 Depth=1
	s_delay_alu instid0(VALU_DEP_2) | instskip(NEXT) | instid1(VALU_DEP_1)
	v_clz_i32_u32_e32 v18, v18
	v_min_u32_e32 v18, 32, v18
	s_delay_alu instid0(VALU_DEP_1) | instskip(NEXT) | instid1(VALU_DEP_1)
	v_subrev_nc_u32_e32 v20, 28, v18
	v_lshlrev_b64_e32 v[22:23], v20, v[6:7]
	v_sub_nc_u32_e32 v20, 29, v18
	s_delay_alu instid0(VALU_DEP_2)
	v_and_b32_e32 v18, 7, v22
; %bb.373:                              ;   in Loop: Header=BB265_360 Depth=1
	s_or_b32 exec_lo, exec_lo, s16
	s_delay_alu instid0(VALU_DEP_1) | instskip(NEXT) | instid1(VALU_DEP_3)
	v_dual_lshlrev_b32 v6, 8, v19 :: v_dual_lshlrev_b32 v18, 23, v18
	v_lshl_add_u32 v19, v20, 10, 0x2000
	s_delay_alu instid0(VALU_DEP_1) | instskip(NEXT) | instid1(VALU_DEP_1)
	v_and_or_b32 v6, 0x8000, v6, v19
	v_lshl_or_b32 v18, v6, 16, v18
.LBB265_374:                            ;   in Loop: Header=BB265_360 Depth=1
	s_or_b32 exec_lo, exec_lo, s15
.LBB265_375:                            ;   in Loop: Header=BB265_360 Depth=1
	s_delay_alu instid0(SALU_CYCLE_1)
	s_or_b32 exec_lo, exec_lo, s14
.LBB265_376:                            ;   in Loop: Header=BB265_360 Depth=1
	s_delay_alu instid0(SALU_CYCLE_1) | instskip(SKIP_2) | instid1(VALU_DEP_1)
	s_or_b32 exec_lo, exec_lo, s0
	v_lshrrev_b32_e32 v6, 16, v16
	s_mov_b32 s0, exec_lo
	v_and_b32_e32 v19, 0xff, v6
	s_delay_alu instid0(VALU_DEP_1)
	v_cmpx_ne_u16_e32 0, v19
	s_cbranch_execz .LBB265_384
; %bb.377:                              ;   in Loop: Header=BB265_360 Depth=1
	v_mov_b32_e32 v15, 0x8000
	s_mov_b32 s14, exec_lo
	v_cmpx_ne_u16_e32 0x80, v19
	s_cbranch_execz .LBB265_383
; %bb.378:                              ;   in Loop: Header=BB265_360 Depth=1
	v_bfe_u32 v20, v16, 16, 7
	v_mov_b32_e32 v15, 0x7c01
	s_mov_b32 s15, exec_lo
	s_delay_alu instid0(VALU_DEP_2)
	v_cmpx_ne_u32_e32 0x7f, v20
	s_cbranch_execz .LBB265_382
; %bb.379:                              ;   in Loop: Header=BB265_360 Depth=1
	v_dual_lshrrev_b32 v19, 3, v20 :: v_dual_bitop2_b32 v15, 7, v6 bitop3:0x40
	s_mov_b32 s16, exec_lo
	v_cmpx_gt_u32_e32 8, v20
; %bb.380:                              ;   in Loop: Header=BB265_360 Depth=1
	s_delay_alu instid0(VALU_DEP_2) | instskip(NEXT) | instid1(VALU_DEP_1)
	v_clz_i32_u32_e32 v15, v15
	v_min_u32_e32 v15, 32, v15
	s_delay_alu instid0(VALU_DEP_1) | instskip(NEXT) | instid1(VALU_DEP_1)
	v_subrev_nc_u32_e32 v19, 28, v15
	v_lshlrev_b64_e32 v[20:21], v19, v[6:7]
	s_delay_alu instid0(VALU_DEP_1)
	v_dual_sub_nc_u32 v19, 29, v15 :: v_dual_bitop2_b32 v15, 7, v20 bitop3:0x40
; %bb.381:                              ;   in Loop: Header=BB265_360 Depth=1
	s_or_b32 exec_lo, exec_lo, s16
	s_delay_alu instid0(VALU_DEP_1) | instskip(NEXT) | instid1(VALU_DEP_2)
	v_dual_lshlrev_b32 v6, 8, v6 :: v_dual_lshlrev_b32 v15, 7, v15
	v_lshl_add_u32 v19, v19, 10, 0x2000
	s_delay_alu instid0(VALU_DEP_2) | instskip(NEXT) | instid1(VALU_DEP_2)
	v_and_b32_e32 v6, 0x8000, v6
	v_and_b32_e32 v19, 0xfc00, v19
	s_delay_alu instid0(VALU_DEP_1)
	v_or3_b32 v15, v6, v19, v15
.LBB265_382:                            ;   in Loop: Header=BB265_360 Depth=1
	s_or_b32 exec_lo, exec_lo, s15
.LBB265_383:                            ;   in Loop: Header=BB265_360 Depth=1
	s_delay_alu instid0(SALU_CYCLE_1)
	s_or_b32 exec_lo, exec_lo, s14
.LBB265_384:                            ;   in Loop: Header=BB265_360 Depth=1
	s_delay_alu instid0(SALU_CYCLE_1)
	s_or_b32 exec_lo, exec_lo, s0
	v_dual_mov_b32 v19, 0 :: v_dual_mov_b32 v20, 0
	s_mov_b32 s0, exec_lo
	v_cmpx_lt_u32_e32 0xffffff, v16
	s_cbranch_execz .LBB265_392
; %bb.385:                              ;   in Loop: Header=BB265_360 Depth=1
	v_lshrrev_b32_e32 v6, 24, v16
	v_bfrev_b32_e32 v20, 1
	s_mov_b32 s14, exec_lo
	s_delay_alu instid0(VALU_DEP_2)
	v_cmpx_ne_u32_e32 0x80, v6
	s_cbranch_execz .LBB265_391
; %bb.386:                              ;   in Loop: Header=BB265_360 Depth=1
	v_and_b32_e32 v22, 0x7f, v6
	v_mov_b32_e32 v20, 0x7c010000
	s_mov_b32 s15, exec_lo
	s_delay_alu instid0(VALU_DEP_2)
	v_cmpx_ne_u32_e32 0x7f, v22
	s_cbranch_execz .LBB265_390
; %bb.387:                              ;   in Loop: Header=BB265_360 Depth=1
	v_and_b32_e32 v20, 7, v6
	v_lshrrev_b32_e32 v21, 3, v22
	s_mov_b32 s16, exec_lo
	v_cmpx_gt_u32_e32 8, v22
; %bb.388:                              ;   in Loop: Header=BB265_360 Depth=1
	s_delay_alu instid0(VALU_DEP_3) | instskip(NEXT) | instid1(VALU_DEP_1)
	v_clz_i32_u32_e32 v20, v20
	v_min_u32_e32 v22, 32, v20
	s_delay_alu instid0(VALU_DEP_1) | instskip(NEXT) | instid1(VALU_DEP_1)
	v_subrev_nc_u32_e32 v20, 28, v22
	v_lshlrev_b64_e32 v[20:21], v20, v[6:7]
	s_delay_alu instid0(VALU_DEP_1)
	v_dual_sub_nc_u32 v21, 29, v22 :: v_dual_bitop2_b32 v20, 7, v20 bitop3:0x40
; %bb.389:                              ;   in Loop: Header=BB265_360 Depth=1
	s_or_b32 exec_lo, exec_lo, s16
	s_delay_alu instid0(VALU_DEP_1) | instskip(NEXT) | instid1(VALU_DEP_2)
	v_dual_lshlrev_b32 v6, 8, v6 :: v_dual_lshlrev_b32 v20, 23, v20
	v_lshl_add_u32 v21, v21, 10, 0x2000
	s_delay_alu instid0(VALU_DEP_1) | instskip(NEXT) | instid1(VALU_DEP_1)
	v_and_or_b32 v6, 0x8000, v6, v21
	v_lshl_or_b32 v20, v6, 16, v20
.LBB265_390:                            ;   in Loop: Header=BB265_360 Depth=1
	s_or_b32 exec_lo, exec_lo, s15
.LBB265_391:                            ;   in Loop: Header=BB265_360 Depth=1
	s_delay_alu instid0(SALU_CYCLE_1)
	s_or_b32 exec_lo, exec_lo, s14
.LBB265_392:                            ;   in Loop: Header=BB265_360 Depth=1
	s_delay_alu instid0(SALU_CYCLE_1) | instskip(SKIP_3) | instid1(VALU_DEP_2)
	s_or_b32 exec_lo, exec_lo, s0
	v_and_b32_e32 v21, 0xff, v17
	v_mov_b32_e32 v6, v17
	s_mov_b32 s0, exec_lo
	v_cmpx_ne_u16_e32 0, v21
	s_cbranch_execz .LBB265_400
; %bb.393:                              ;   in Loop: Header=BB265_360 Depth=1
	v_mov_b32_e32 v19, 0x8000
	s_mov_b32 s14, exec_lo
	v_cmpx_ne_u16_e32 0x80, v21
	s_cbranch_execz .LBB265_399
; %bb.394:                              ;   in Loop: Header=BB265_360 Depth=1
	v_and_b32_e32 v22, 0x7f, v17
	v_mov_b32_e32 v19, 0x7c01
	s_mov_b32 s15, exec_lo
	s_delay_alu instid0(VALU_DEP_2)
	v_cmpx_ne_u32_e32 0x7f, v22
	s_cbranch_execz .LBB265_398
; %bb.395:                              ;   in Loop: Header=BB265_360 Depth=1
	v_dual_lshrrev_b32 v21, 3, v22 :: v_dual_bitop2_b32 v19, 7, v17 bitop3:0x40
	s_mov_b32 s16, exec_lo
	v_cmpx_gt_u32_e32 8, v22
; %bb.396:                              ;   in Loop: Header=BB265_360 Depth=1
	s_delay_alu instid0(VALU_DEP_2) | instskip(NEXT) | instid1(VALU_DEP_1)
	v_clz_i32_u32_e32 v19, v19
	v_min_u32_e32 v19, 32, v19
	s_delay_alu instid0(VALU_DEP_1) | instskip(NEXT) | instid1(VALU_DEP_1)
	v_subrev_nc_u32_e32 v21, 28, v19
	v_lshlrev_b64_e32 v[22:23], v21, v[6:7]
	s_delay_alu instid0(VALU_DEP_1)
	v_dual_sub_nc_u32 v21, 29, v19 :: v_dual_bitop2_b32 v19, 7, v22 bitop3:0x40
; %bb.397:                              ;   in Loop: Header=BB265_360 Depth=1
	s_or_b32 exec_lo, exec_lo, s16
	s_delay_alu instid0(VALU_DEP_1) | instskip(NEXT) | instid1(VALU_DEP_2)
	v_dual_lshlrev_b32 v22, 8, v17 :: v_dual_lshlrev_b32 v19, 7, v19
	v_lshl_add_u32 v21, v21, 10, 0x2000
	s_delay_alu instid0(VALU_DEP_2) | instskip(NEXT) | instid1(VALU_DEP_2)
	v_and_b32_e32 v22, 0x8000, v22
	v_and_b32_e32 v21, 0xfc00, v21
	s_delay_alu instid0(VALU_DEP_1)
	v_or3_b32 v19, v22, v21, v19
.LBB265_398:                            ;   in Loop: Header=BB265_360 Depth=1
	s_or_b32 exec_lo, exec_lo, s15
.LBB265_399:                            ;   in Loop: Header=BB265_360 Depth=1
	s_delay_alu instid0(SALU_CYCLE_1)
	s_or_b32 exec_lo, exec_lo, s14
.LBB265_400:                            ;   in Loop: Header=BB265_360 Depth=1
	s_delay_alu instid0(SALU_CYCLE_1) | instskip(SKIP_3) | instid1(VALU_DEP_2)
	s_or_b32 exec_lo, exec_lo, s0
	v_lshrrev_b16 v6, 8, v6
	v_dual_mov_b32 v22, 0 :: v_dual_mov_b32 v21, 0
	s_mov_b32 s0, exec_lo
	v_cmpx_ne_u16_e32 0, v6
	s_cbranch_execz .LBB265_408
; %bb.401:                              ;   in Loop: Header=BB265_360 Depth=1
	v_bfrev_b32_e32 v21, 1
	s_mov_b32 s14, exec_lo
	v_cmpx_ne_u16_e32 0x80, v6
	s_cbranch_execz .LBB265_407
; %bb.402:                              ;   in Loop: Header=BB265_360 Depth=1
	v_and_b32_e32 v23, 0xffff, v6
	v_mov_b32_e32 v21, 0x7c010000
	s_mov_b32 s15, exec_lo
	s_delay_alu instid0(VALU_DEP_2) | instskip(NEXT) | instid1(VALU_DEP_1)
	v_and_b32_e32 v34, 0x7f, v23
	v_cmpx_ne_u32_e32 0x7f, v34
	s_cbranch_execz .LBB265_406
; %bb.403:                              ;   in Loop: Header=BB265_360 Depth=1
	v_dual_lshrrev_b32 v33, 3, v34 :: v_dual_bitop2_b32 v21, 7, v23 bitop3:0x40
	s_mov_b32 s16, exec_lo
	v_cmpx_gt_u32_e32 8, v34
; %bb.404:                              ;   in Loop: Header=BB265_360 Depth=1
	s_delay_alu instid0(VALU_DEP_2) | instskip(NEXT) | instid1(VALU_DEP_1)
	v_clz_i32_u32_e32 v21, v21
	v_min_u32_e32 v21, 32, v21
	s_delay_alu instid0(VALU_DEP_1) | instskip(NEXT) | instid1(VALU_DEP_1)
	v_subrev_nc_u32_e32 v33, 28, v21
	v_lshlrev_b64_e32 v[34:35], v33, v[6:7]
	s_delay_alu instid0(VALU_DEP_1)
	v_dual_sub_nc_u32 v33, 29, v21 :: v_dual_bitop2_b32 v21, 7, v34 bitop3:0x40
; %bb.405:                              ;   in Loop: Header=BB265_360 Depth=1
	s_or_b32 exec_lo, exec_lo, s16
	s_delay_alu instid0(VALU_DEP_1) | instskip(NEXT) | instid1(VALU_DEP_2)
	v_dual_lshlrev_b32 v6, 8, v23 :: v_dual_lshlrev_b32 v21, 23, v21
	v_lshl_add_u32 v23, v33, 10, 0x2000
	s_delay_alu instid0(VALU_DEP_1) | instskip(NEXT) | instid1(VALU_DEP_1)
	v_and_or_b32 v6, 0x8000, v6, v23
	v_lshl_or_b32 v21, v6, 16, v21
.LBB265_406:                            ;   in Loop: Header=BB265_360 Depth=1
	s_or_b32 exec_lo, exec_lo, s15
.LBB265_407:                            ;   in Loop: Header=BB265_360 Depth=1
	s_delay_alu instid0(SALU_CYCLE_1)
	s_or_b32 exec_lo, exec_lo, s14
.LBB265_408:                            ;   in Loop: Header=BB265_360 Depth=1
	s_delay_alu instid0(SALU_CYCLE_1) | instskip(SKIP_2) | instid1(VALU_DEP_1)
	s_or_b32 exec_lo, exec_lo, s0
	v_lshrrev_b32_e32 v6, 16, v17
	s_mov_b32 s0, exec_lo
	v_and_b32_e32 v23, 0xff, v6
	s_delay_alu instid0(VALU_DEP_1)
	v_cmpx_ne_u16_e32 0, v23
	s_cbranch_execz .LBB265_416
; %bb.409:                              ;   in Loop: Header=BB265_360 Depth=1
	v_mov_b32_e32 v22, 0x8000
	s_mov_b32 s14, exec_lo
	v_cmpx_ne_u16_e32 0x80, v23
	s_cbranch_execz .LBB265_415
; %bb.410:                              ;   in Loop: Header=BB265_360 Depth=1
	v_bfe_u32 v33, v17, 16, 7
	v_mov_b32_e32 v22, 0x7c01
	s_mov_b32 s15, exec_lo
	s_delay_alu instid0(VALU_DEP_2)
	v_cmpx_ne_u32_e32 0x7f, v33
	s_cbranch_execz .LBB265_414
; %bb.411:                              ;   in Loop: Header=BB265_360 Depth=1
	v_dual_lshrrev_b32 v23, 3, v33 :: v_dual_bitop2_b32 v22, 7, v6 bitop3:0x40
	s_mov_b32 s16, exec_lo
	v_cmpx_gt_u32_e32 8, v33
; %bb.412:                              ;   in Loop: Header=BB265_360 Depth=1
	s_delay_alu instid0(VALU_DEP_2) | instskip(NEXT) | instid1(VALU_DEP_1)
	v_clz_i32_u32_e32 v22, v22
	v_min_u32_e32 v33, 32, v22
	s_delay_alu instid0(VALU_DEP_1) | instskip(NEXT) | instid1(VALU_DEP_1)
	v_subrev_nc_u32_e32 v22, 28, v33
	v_lshlrev_b64_e32 v[22:23], v22, v[6:7]
	s_delay_alu instid0(VALU_DEP_1)
	v_dual_sub_nc_u32 v23, 29, v33 :: v_dual_bitop2_b32 v22, 7, v22 bitop3:0x40
; %bb.413:                              ;   in Loop: Header=BB265_360 Depth=1
	s_or_b32 exec_lo, exec_lo, s16
	v_lshlrev_b32_e32 v6, 8, v6
	s_delay_alu instid0(VALU_DEP_2) | instskip(NEXT) | instid1(VALU_DEP_3)
	v_lshl_add_u32 v23, v23, 10, 0x2000
	v_lshlrev_b32_e32 v22, 7, v22
	s_delay_alu instid0(VALU_DEP_3) | instskip(NEXT) | instid1(VALU_DEP_3)
	v_and_b32_e32 v6, 0x8000, v6
	v_and_b32_e32 v23, 0xfc00, v23
	s_delay_alu instid0(VALU_DEP_1)
	v_or3_b32 v22, v6, v23, v22
.LBB265_414:                            ;   in Loop: Header=BB265_360 Depth=1
	s_or_b32 exec_lo, exec_lo, s15
.LBB265_415:                            ;   in Loop: Header=BB265_360 Depth=1
	s_delay_alu instid0(SALU_CYCLE_1)
	s_or_b32 exec_lo, exec_lo, s14
.LBB265_416:                            ;   in Loop: Header=BB265_360 Depth=1
	s_delay_alu instid0(SALU_CYCLE_1)
	s_or_b32 exec_lo, exec_lo, s0
	v_cmp_lt_u64_e32 vcc_lo, s[2:3], v[16:17]
	v_mov_b32_e32 v16, 0
	s_and_saveexec_b32 s0, vcc_lo
	s_cbranch_execz .LBB265_424
; %bb.417:                              ;   in Loop: Header=BB265_360 Depth=1
	v_lshrrev_b32_e32 v6, 24, v17
	v_bfrev_b32_e32 v16, 1
	s_mov_b32 s14, exec_lo
	s_delay_alu instid0(VALU_DEP_2)
	v_cmpx_ne_u32_e32 0x80, v6
	s_cbranch_execz .LBB265_423
; %bb.418:                              ;   in Loop: Header=BB265_360 Depth=1
	v_and_b32_e32 v23, 0x7f, v6
	v_mov_b32_e32 v16, 0x7c010000
	s_mov_b32 s15, exec_lo
	s_delay_alu instid0(VALU_DEP_2)
	v_cmpx_ne_u32_e32 0x7f, v23
	s_cbranch_execz .LBB265_422
; %bb.419:                              ;   in Loop: Header=BB265_360 Depth=1
	v_dual_lshrrev_b32 v17, 3, v23 :: v_dual_bitop2_b32 v16, 7, v6 bitop3:0x40
	s_mov_b32 s16, exec_lo
	v_cmpx_gt_u32_e32 8, v23
; %bb.420:                              ;   in Loop: Header=BB265_360 Depth=1
	s_delay_alu instid0(VALU_DEP_2) | instskip(NEXT) | instid1(VALU_DEP_1)
	v_clz_i32_u32_e32 v16, v16
	v_min_u32_e32 v23, 32, v16
	s_delay_alu instid0(VALU_DEP_1) | instskip(NEXT) | instid1(VALU_DEP_1)
	v_subrev_nc_u32_e32 v16, 28, v23
	v_lshlrev_b64_e32 v[16:17], v16, v[6:7]
	s_delay_alu instid0(VALU_DEP_1)
	v_dual_sub_nc_u32 v17, 29, v23 :: v_dual_bitop2_b32 v16, 7, v16 bitop3:0x40
; %bb.421:                              ;   in Loop: Header=BB265_360 Depth=1
	s_or_b32 exec_lo, exec_lo, s16
	s_delay_alu instid0(VALU_DEP_1) | instskip(NEXT) | instid1(VALU_DEP_2)
	v_dual_lshlrev_b32 v6, 8, v6 :: v_dual_lshlrev_b32 v16, 23, v16
	v_lshl_add_u32 v17, v17, 10, 0x2000
	s_delay_alu instid0(VALU_DEP_1) | instskip(NEXT) | instid1(VALU_DEP_1)
	v_and_or_b32 v6, 0x8000, v6, v17
	v_lshl_or_b32 v16, v6, 16, v16
.LBB265_422:                            ;   in Loop: Header=BB265_360 Depth=1
	s_or_b32 exec_lo, exec_lo, s15
.LBB265_423:                            ;   in Loop: Header=BB265_360 Depth=1
	s_delay_alu instid0(SALU_CYCLE_1)
	s_or_b32 exec_lo, exec_lo, s14
.LBB265_424:                            ;   in Loop: Header=BB265_360 Depth=1
	s_delay_alu instid0(SALU_CYCLE_1) | instskip(SKIP_3) | instid1(VALU_DEP_3)
	s_or_b32 exec_lo, exec_lo, s0
	v_dual_lshrrev_b32 v6, 16, v18 :: v_dual_lshrrev_b32 v17, 16, v20
	v_or_b32_e32 v1, v18, v1
	v_dual_lshrrev_b32 v18, 16, v21 :: v_dual_bitop2_b32 v15, v20, v15 bitop3:0x54
	v_cvt_f32_f16_e32 v35, v6
	s_delay_alu instid0(VALU_DEP_4) | instskip(SKIP_1) | instid1(VALU_DEP_4)
	v_cvt_f32_f16_e32 v34, v17
	v_dual_lshrrev_b32 v20, 16, v16 :: v_dual_bitop2_b32 v6, v16, v22 bitop3:0x54
	v_cvt_f32_f16_e32 v16, v15
	v_cvt_f32_f16_e32 v17, v1
	s_wait_loadcnt 0x0
	v_pk_mul_f32 v[22:23], v[14:15], v[34:35] op_sel_hi:[0,1]
	v_or_b32_e32 v15, v21, v19
	v_cvt_f32_f16_e32 v19, v18
	v_cvt_f32_f16_e32 v18, v20
	v_cvt_f32_f16_e32 v20, v6
	v_cvt_pk_f16_f32 v1, v22, v23
	v_pk_mul_f32 v[16:17], v[14:15], v[16:17] op_sel_hi:[0,1]
	v_cmp_eq_u32_e32 vcc_lo, s5, v32
	v_or_b32_e32 v38, 1, v30
	v_or_b32_e32 v37, 3, v30
	;; [unrolled: 1-line block ×3, first 2 shown]
	v_cvt_pk_f16_f32 v6, v16, v17
	v_or_b32_e32 v35, 6, v30
	v_or_b32_e32 v34, 5, v30
	v_dual_add_nc_u32 v39, 2, v30 :: v_dual_bitop2_b32 v33, 7, v30 bitop3:0x54
	s_delay_alu instid0(VALU_DEP_4) | instskip(SKIP_3) | instid1(VALU_DEP_3)
	v_lshrrev_b32_e32 v23, 16, v6
	v_cvt_f32_f16_e32 v21, v15
	v_pk_mul_f32 v[18:19], v[14:15], v[18:19] op_sel_hi:[0,1]
	v_and_b32_e32 v22, 0xffff, v6
	v_pk_mul_f32 v[14:15], v[14:15], v[20:21] op_sel_hi:[0,1]
	s_delay_alu instid0(VALU_DEP_3) | instskip(SKIP_2) | instid1(VALU_DEP_4)
	v_cvt_pk_f16_f32 v16, v18, v19
	v_and_b32_e32 v21, 0xffff0000, v1
	v_lshlrev_b32_e32 v20, 16, v1
	v_cvt_pk_f16_f32 v14, v14, v15
	s_delay_alu instid0(VALU_DEP_4) | instskip(NEXT) | instid1(VALU_DEP_4)
	v_and_b32_e32 v1, 0xffff0000, v16
	v_dual_lshlrev_b32 v6, 16, v16 :: v_dual_bitop2_b32 v17, v21, v23 bitop3:0x54
	s_delay_alu instid0(VALU_DEP_4) | instskip(NEXT) | instid1(VALU_DEP_4)
	v_or_b32_e32 v16, v20, v22
	v_lshrrev_b32_e32 v19, 16, v14
	v_and_b32_e32 v18, 0xffff, v14
	s_delay_alu instid0(VALU_DEP_2) | instskip(NEXT) | instid1(VALU_DEP_2)
	v_or_b32_e32 v15, v1, v19
	v_or_b32_e32 v14, v6, v18
	s_and_saveexec_b32 s14, vcc_lo
	s_cbranch_execz .LBB265_426
; %bb.425:                              ;   in Loop: Header=BB265_360 Depth=1
	v_cmp_gt_i32_e64 s0, s9, v30
	s_delay_alu instid0(VALU_DEP_1) | instskip(SKIP_1) | instid1(VALU_DEP_1)
	v_cndmask_b32_e64 v14, 0, v23, s0
	v_cmp_gt_i32_e64 s0, s23, v39
	v_cndmask_b32_e64 v15, 0, v22, s0
	v_cmp_gt_i32_e64 s0, s9, v38
	s_delay_alu instid0(VALU_DEP_1) | instskip(SKIP_1) | instid1(VALU_DEP_1)
	v_cndmask_b32_e64 v16, 0, v21, s0
	v_cmp_gt_i32_e64 s0, s23, v37
	v_cndmask_b32_e64 v20, 0, v20, s0
	v_cmp_gt_i32_e64 s0, s9, v36
	s_delay_alu instid0(VALU_DEP_4) | instskip(NEXT) | instid1(VALU_DEP_3)
	v_or_b32_e32 v17, v16, v14
	v_or_b32_e32 v16, v20, v15
	s_delay_alu instid0(VALU_DEP_3) | instskip(SKIP_1) | instid1(VALU_DEP_1)
	v_cndmask_b32_e64 v19, 0, v19, s0
	v_cmp_gt_i32_e64 s0, s23, v35
	v_cndmask_b32_e64 v18, 0, v18, s0
	v_cmp_gt_i32_e64 s0, s9, v34
	s_delay_alu instid0(VALU_DEP_1) | instskip(SKIP_1) | instid1(VALU_DEP_1)
	v_cndmask_b32_e64 v1, 0, v1, s0
	v_cmp_gt_i32_e64 s0, s23, v33
	v_dual_cndmask_b32 v6, 0, v6, s0 :: v_dual_bitop2_b32 v15, v1, v19 bitop3:0x54
	s_delay_alu instid0(VALU_DEP_1)
	v_or_b32_e32 v14, v6, v18
.LBB265_426:                            ;   in Loop: Header=BB265_360 Depth=1
	s_or_b32 exec_lo, exec_lo, s14
	v_and_b32_e32 v1, 0xffff, v43
	v_and_b32_e32 v6, 0xffff, v44
	v_and_b32_e32 v18, 0xffff, v45
	v_and_b32_e32 v19, 0xffff, v47
	s_mov_b32 s14, exec_lo
	v_lshl_or_b32 v45, v40, 16, v1
	;;#ASMSTART
	v_pk_mul_f16 v1, v45, v17;

	;;#ASMEND
	v_lshl_or_b32 v44, v41, 16, v6
	v_lshl_or_b32 v43, v42, 16, v18
	;; [unrolled: 1-line block ×3, first 2 shown]
	;;#ASMSTART
	v_pk_mul_f16 v6, v44, v16;

	;;#ASMEND
	;;#ASMSTART
	v_pk_mul_f16 v15, v43, v15;

	;;#ASMEND
	;; [unrolled: 4-line block ×3, first 2 shown]
	;;#ASMSTART
	v_pk_add_f16 v1, v1, v6;

	;;#ASMEND
	;;#ASMSTART
	v_pk_add_f16 v1, v1, v15;

	;;#ASMEND
	;;#ASMSTART
	v_pk_add_f16 v1, v1, v14;

	;;#ASMEND
	v_and_b32_e32 v6, 0xffff, v1
	v_dual_lshrrev_b32 v1, 16, v1 :: v_dual_mov_b32 v15, 0
	;;#ASMSTART
	v_cvt_f32_f16 v46, v6;
	;;#ASMEND
	;;#ASMSTART
	v_cvt_f32_f16 v47, v1;
	;;#ASMEND
	global_load_b64 v[16:17], v[12:13], off offset:256
	v_mov_b32_e32 v1, 0
	global_load_b32 v14, v1, s[10:11]
	s_wait_loadcnt 0x1
	v_and_b32_e32 v6, 0xff, v16
	s_wait_xcnt 0x0
	s_delay_alu instid0(VALU_DEP_1)
	v_cmpx_ne_u16_e32 0, v6
	s_cbranch_execz .LBB265_434
; %bb.427:                              ;   in Loop: Header=BB265_360 Depth=1
	v_mov_b32_e32 v15, 0x8000
	s_mov_b32 s15, exec_lo
	v_cmpx_ne_u16_e32 0x80, v6
	s_cbranch_execz .LBB265_433
; %bb.428:                              ;   in Loop: Header=BB265_360 Depth=1
	v_and_b32_e32 v18, 0x7f, v16
	v_mov_b32_e32 v15, 0x7c01
	s_mov_b32 s16, exec_lo
	s_delay_alu instid0(VALU_DEP_2)
	v_cmpx_ne_u32_e32 0x7f, v18
	s_cbranch_execz .LBB265_432
; %bb.429:                              ;   in Loop: Header=BB265_360 Depth=1
	v_dual_lshrrev_b32 v15, 3, v18 :: v_dual_bitop2_b32 v6, 7, v16 bitop3:0x40
	s_mov_b32 s17, exec_lo
	v_cmpx_gt_u32_e32 8, v18
; %bb.430:                              ;   in Loop: Header=BB265_360 Depth=1
	s_delay_alu instid0(VALU_DEP_2) | instskip(NEXT) | instid1(VALU_DEP_1)
	v_clz_i32_u32_e32 v6, v6
	v_min_u32_e32 v6, 32, v6
	s_delay_alu instid0(VALU_DEP_1) | instskip(NEXT) | instid1(VALU_DEP_1)
	v_subrev_nc_u32_e32 v15, 28, v6
	v_lshlrev_b64_e32 v[18:19], v15, v[16:17]
	v_sub_nc_u32_e32 v15, 29, v6
	s_delay_alu instid0(VALU_DEP_2)
	v_and_b32_e32 v6, 7, v18
; %bb.431:                              ;   in Loop: Header=BB265_360 Depth=1
	s_or_b32 exec_lo, exec_lo, s17
	s_delay_alu instid0(VALU_DEP_1) | instskip(NEXT) | instid1(VALU_DEP_3)
	v_dual_lshlrev_b32 v18, 8, v16 :: v_dual_lshlrev_b32 v6, 7, v6
	v_lshl_add_u32 v15, v15, 10, 0x2000
	s_delay_alu instid0(VALU_DEP_2) | instskip(NEXT) | instid1(VALU_DEP_2)
	v_and_b32_e32 v18, 0x8000, v18
	v_and_b32_e32 v15, 0xfc00, v15
	s_delay_alu instid0(VALU_DEP_1)
	v_or3_b32 v15, v18, v15, v6
.LBB265_432:                            ;   in Loop: Header=BB265_360 Depth=1
	s_or_b32 exec_lo, exec_lo, s16
.LBB265_433:                            ;   in Loop: Header=BB265_360 Depth=1
	s_delay_alu instid0(SALU_CYCLE_1)
	s_or_b32 exec_lo, exec_lo, s15
.LBB265_434:                            ;   in Loop: Header=BB265_360 Depth=1
	s_delay_alu instid0(SALU_CYCLE_1) | instskip(SKIP_2) | instid1(VALU_DEP_1)
	s_or_b32 exec_lo, exec_lo, s14
	v_lshrrev_b16 v6, 8, v16
	s_mov_b32 s14, exec_lo
	v_cmpx_ne_u16_e32 0, v6
	s_cbranch_execz .LBB265_442
; %bb.435:                              ;   in Loop: Header=BB265_360 Depth=1
	v_bfrev_b32_e32 v1, 1
	s_mov_b32 s15, exec_lo
	v_cmpx_ne_u16_e32 0x80, v6
	s_cbranch_execz .LBB265_441
; %bb.436:                              ;   in Loop: Header=BB265_360 Depth=1
	v_and_b32_e32 v18, 0xffff, v6
	v_mov_b32_e32 v1, 0x7c010000
	s_mov_b32 s16, exec_lo
	s_delay_alu instid0(VALU_DEP_2) | instskip(NEXT) | instid1(VALU_DEP_1)
	v_and_b32_e32 v20, 0x7f, v18
	v_cmpx_ne_u32_e32 0x7f, v20
	s_cbranch_execz .LBB265_440
; %bb.437:                              ;   in Loop: Header=BB265_360 Depth=1
	v_dual_lshrrev_b32 v19, 3, v20 :: v_dual_bitop2_b32 v1, 7, v18 bitop3:0x40
	s_mov_b32 s17, exec_lo
	v_cmpx_gt_u32_e32 8, v20
; %bb.438:                              ;   in Loop: Header=BB265_360 Depth=1
	s_delay_alu instid0(VALU_DEP_2) | instskip(NEXT) | instid1(VALU_DEP_1)
	v_clz_i32_u32_e32 v1, v1
	v_min_u32_e32 v1, 32, v1
	s_delay_alu instid0(VALU_DEP_1) | instskip(NEXT) | instid1(VALU_DEP_1)
	v_subrev_nc_u32_e32 v19, 28, v1
	v_lshlrev_b64_e32 v[20:21], v19, v[6:7]
	s_delay_alu instid0(VALU_DEP_1)
	v_dual_sub_nc_u32 v19, 29, v1 :: v_dual_bitop2_b32 v1, 7, v20 bitop3:0x40
; %bb.439:                              ;   in Loop: Header=BB265_360 Depth=1
	s_or_b32 exec_lo, exec_lo, s17
	s_delay_alu instid0(VALU_DEP_1) | instskip(NEXT) | instid1(VALU_DEP_2)
	v_dual_lshlrev_b32 v6, 8, v18 :: v_dual_lshlrev_b32 v1, 23, v1
	v_lshl_add_u32 v18, v19, 10, 0x2000
	s_delay_alu instid0(VALU_DEP_1) | instskip(NEXT) | instid1(VALU_DEP_1)
	v_and_or_b32 v6, 0x8000, v6, v18
	v_lshl_or_b32 v1, v6, 16, v1
.LBB265_440:                            ;   in Loop: Header=BB265_360 Depth=1
	s_or_b32 exec_lo, exec_lo, s16
.LBB265_441:                            ;   in Loop: Header=BB265_360 Depth=1
	s_delay_alu instid0(SALU_CYCLE_1)
	s_or_b32 exec_lo, exec_lo, s15
.LBB265_442:                            ;   in Loop: Header=BB265_360 Depth=1
	s_delay_alu instid0(SALU_CYCLE_1) | instskip(SKIP_3) | instid1(VALU_DEP_2)
	s_or_b32 exec_lo, exec_lo, s14
	v_dual_lshrrev_b32 v6, 16, v16 :: v_dual_mov_b32 v18, 0
	v_mov_b32_e32 v19, 0
	s_mov_b32 s14, exec_lo
	v_and_b32_e32 v20, 0xff, v6
	s_delay_alu instid0(VALU_DEP_1)
	v_cmpx_ne_u16_e32 0, v20
	s_cbranch_execz .LBB265_450
; %bb.443:                              ;   in Loop: Header=BB265_360 Depth=1
	v_mov_b32_e32 v19, 0x8000
	s_mov_b32 s15, exec_lo
	v_cmpx_ne_u16_e32 0x80, v20
	s_cbranch_execz .LBB265_449
; %bb.444:                              ;   in Loop: Header=BB265_360 Depth=1
	v_bfe_u32 v21, v16, 16, 7
	v_mov_b32_e32 v19, 0x7c01
	s_mov_b32 s16, exec_lo
	s_delay_alu instid0(VALU_DEP_2)
	v_cmpx_ne_u32_e32 0x7f, v21
	s_cbranch_execz .LBB265_448
; %bb.445:                              ;   in Loop: Header=BB265_360 Depth=1
	v_dual_lshrrev_b32 v20, 3, v21 :: v_dual_bitop2_b32 v19, 7, v6 bitop3:0x40
	s_mov_b32 s17, exec_lo
	v_cmpx_gt_u32_e32 8, v21
; %bb.446:                              ;   in Loop: Header=BB265_360 Depth=1
	s_delay_alu instid0(VALU_DEP_2) | instskip(NEXT) | instid1(VALU_DEP_1)
	v_clz_i32_u32_e32 v19, v19
	v_min_u32_e32 v19, 32, v19
	s_delay_alu instid0(VALU_DEP_1) | instskip(NEXT) | instid1(VALU_DEP_1)
	v_subrev_nc_u32_e32 v20, 28, v19
	v_lshlrev_b64_e32 v[22:23], v20, v[6:7]
	s_delay_alu instid0(VALU_DEP_1)
	v_dual_sub_nc_u32 v20, 29, v19 :: v_dual_bitop2_b32 v19, 7, v22 bitop3:0x40
; %bb.447:                              ;   in Loop: Header=BB265_360 Depth=1
	s_or_b32 exec_lo, exec_lo, s17
	s_delay_alu instid0(VALU_DEP_1) | instskip(NEXT) | instid1(VALU_DEP_2)
	v_dual_lshlrev_b32 v6, 8, v6 :: v_dual_lshlrev_b32 v19, 7, v19
	v_lshl_add_u32 v20, v20, 10, 0x2000
	s_delay_alu instid0(VALU_DEP_2) | instskip(NEXT) | instid1(VALU_DEP_2)
	v_and_b32_e32 v6, 0x8000, v6
	v_and_b32_e32 v20, 0xfc00, v20
	s_delay_alu instid0(VALU_DEP_1)
	v_or3_b32 v19, v6, v20, v19
.LBB265_448:                            ;   in Loop: Header=BB265_360 Depth=1
	s_or_b32 exec_lo, exec_lo, s16
.LBB265_449:                            ;   in Loop: Header=BB265_360 Depth=1
	s_delay_alu instid0(SALU_CYCLE_1)
	s_or_b32 exec_lo, exec_lo, s15
.LBB265_450:                            ;   in Loop: Header=BB265_360 Depth=1
	s_delay_alu instid0(SALU_CYCLE_1) | instskip(NEXT) | instid1(SALU_CYCLE_1)
	s_or_b32 exec_lo, exec_lo, s14
	s_mov_b32 s14, exec_lo
	v_cmpx_lt_u32_e32 0xffffff, v16
	s_cbranch_execz .LBB265_458
; %bb.451:                              ;   in Loop: Header=BB265_360 Depth=1
	v_lshrrev_b32_e32 v6, 24, v16
	v_bfrev_b32_e32 v18, 1
	s_mov_b32 s15, exec_lo
	s_delay_alu instid0(VALU_DEP_2)
	v_cmpx_ne_u32_e32 0x80, v6
	s_cbranch_execz .LBB265_457
; %bb.452:                              ;   in Loop: Header=BB265_360 Depth=1
	v_and_b32_e32 v21, 0x7f, v6
	v_mov_b32_e32 v18, 0x7c010000
	s_mov_b32 s16, exec_lo
	s_delay_alu instid0(VALU_DEP_2)
	v_cmpx_ne_u32_e32 0x7f, v21
	s_cbranch_execz .LBB265_456
; %bb.453:                              ;   in Loop: Header=BB265_360 Depth=1
	v_dual_lshrrev_b32 v20, 3, v21 :: v_dual_bitop2_b32 v18, 7, v6 bitop3:0x40
	s_mov_b32 s17, exec_lo
	v_cmpx_gt_u32_e32 8, v21
; %bb.454:                              ;   in Loop: Header=BB265_360 Depth=1
	s_delay_alu instid0(VALU_DEP_2) | instskip(NEXT) | instid1(VALU_DEP_1)
	v_clz_i32_u32_e32 v18, v18
	v_min_u32_e32 v18, 32, v18
	s_delay_alu instid0(VALU_DEP_1) | instskip(NEXT) | instid1(VALU_DEP_1)
	v_subrev_nc_u32_e32 v20, 28, v18
	v_lshlrev_b64_e32 v[22:23], v20, v[6:7]
	v_sub_nc_u32_e32 v20, 29, v18
	s_delay_alu instid0(VALU_DEP_2)
	v_and_b32_e32 v18, 7, v22
; %bb.455:                              ;   in Loop: Header=BB265_360 Depth=1
	s_or_b32 exec_lo, exec_lo, s17
	v_lshlrev_b32_e32 v6, 8, v6
	s_delay_alu instid0(VALU_DEP_3) | instskip(NEXT) | instid1(VALU_DEP_3)
	v_lshl_add_u32 v20, v20, 10, 0x2000
	v_lshlrev_b32_e32 v18, 23, v18
	s_delay_alu instid0(VALU_DEP_2) | instskip(NEXT) | instid1(VALU_DEP_1)
	v_and_or_b32 v6, 0x8000, v6, v20
	v_lshl_or_b32 v18, v6, 16, v18
.LBB265_456:                            ;   in Loop: Header=BB265_360 Depth=1
	s_or_b32 exec_lo, exec_lo, s16
.LBB265_457:                            ;   in Loop: Header=BB265_360 Depth=1
	s_delay_alu instid0(SALU_CYCLE_1)
	s_or_b32 exec_lo, exec_lo, s15
.LBB265_458:                            ;   in Loop: Header=BB265_360 Depth=1
	s_delay_alu instid0(SALU_CYCLE_1) | instskip(SKIP_4) | instid1(VALU_DEP_3)
	s_or_b32 exec_lo, exec_lo, s14
	v_and_b32_e32 v22, 0xff, v17
	v_dual_mov_b32 v6, v17 :: v_dual_mov_b32 v21, 0
	v_mov_b32_e32 v20, 0
	s_mov_b32 s14, exec_lo
	v_cmpx_ne_u16_e32 0, v22
	s_cbranch_execz .LBB265_466
; %bb.459:                              ;   in Loop: Header=BB265_360 Depth=1
	v_mov_b32_e32 v20, 0x8000
	s_mov_b32 s15, exec_lo
	v_cmpx_ne_u16_e32 0x80, v22
	s_cbranch_execz .LBB265_465
; %bb.460:                              ;   in Loop: Header=BB265_360 Depth=1
	v_and_b32_e32 v23, 0x7f, v17
	v_mov_b32_e32 v20, 0x7c01
	s_mov_b32 s16, exec_lo
	s_delay_alu instid0(VALU_DEP_2)
	v_cmpx_ne_u32_e32 0x7f, v23
	s_cbranch_execz .LBB265_464
; %bb.461:                              ;   in Loop: Header=BB265_360 Depth=1
	v_dual_lshrrev_b32 v22, 3, v23 :: v_dual_bitop2_b32 v20, 7, v17 bitop3:0x40
	s_mov_b32 s17, exec_lo
	v_cmpx_gt_u32_e32 8, v23
; %bb.462:                              ;   in Loop: Header=BB265_360 Depth=1
	s_delay_alu instid0(VALU_DEP_2) | instskip(NEXT) | instid1(VALU_DEP_1)
	v_clz_i32_u32_e32 v20, v20
	v_min_u32_e32 v20, 32, v20
	s_delay_alu instid0(VALU_DEP_1) | instskip(NEXT) | instid1(VALU_DEP_1)
	v_subrev_nc_u32_e32 v22, 28, v20
	v_lshlrev_b64_e32 v[40:41], v22, v[6:7]
	v_sub_nc_u32_e32 v22, 29, v20
	s_delay_alu instid0(VALU_DEP_2)
	v_and_b32_e32 v20, 7, v40
; %bb.463:                              ;   in Loop: Header=BB265_360 Depth=1
	s_or_b32 exec_lo, exec_lo, s17
	s_delay_alu instid0(VALU_DEP_1) | instskip(NEXT) | instid1(VALU_DEP_3)
	v_dual_lshlrev_b32 v23, 8, v17 :: v_dual_lshlrev_b32 v20, 7, v20
	v_lshl_add_u32 v22, v22, 10, 0x2000
	s_delay_alu instid0(VALU_DEP_2) | instskip(NEXT) | instid1(VALU_DEP_2)
	v_and_b32_e32 v23, 0x8000, v23
	v_and_b32_e32 v22, 0xfc00, v22
	s_delay_alu instid0(VALU_DEP_1)
	v_or3_b32 v20, v23, v22, v20
.LBB265_464:                            ;   in Loop: Header=BB265_360 Depth=1
	s_or_b32 exec_lo, exec_lo, s16
.LBB265_465:                            ;   in Loop: Header=BB265_360 Depth=1
	s_delay_alu instid0(SALU_CYCLE_1)
	s_or_b32 exec_lo, exec_lo, s15
.LBB265_466:                            ;   in Loop: Header=BB265_360 Depth=1
	s_delay_alu instid0(SALU_CYCLE_1) | instskip(SKIP_3) | instid1(VALU_DEP_2)
	s_or_b32 exec_lo, exec_lo, s14
	v_lshrrev_b16 v6, 8, v6
	v_mov_b32_e32 v22, 0
	s_mov_b32 s14, exec_lo
	v_cmpx_ne_u16_e32 0, v6
	s_cbranch_execz .LBB265_474
; %bb.467:                              ;   in Loop: Header=BB265_360 Depth=1
	v_bfrev_b32_e32 v22, 1
	s_mov_b32 s15, exec_lo
	v_cmpx_ne_u16_e32 0x80, v6
	s_cbranch_execz .LBB265_473
; %bb.468:                              ;   in Loop: Header=BB265_360 Depth=1
	v_and_b32_e32 v23, 0xffff, v6
	v_mov_b32_e32 v22, 0x7c010000
	s_mov_b32 s16, exec_lo
	s_delay_alu instid0(VALU_DEP_2) | instskip(NEXT) | instid1(VALU_DEP_1)
	v_and_b32_e32 v41, 0x7f, v23
	v_cmpx_ne_u32_e32 0x7f, v41
	s_cbranch_execz .LBB265_472
; %bb.469:                              ;   in Loop: Header=BB265_360 Depth=1
	v_dual_lshrrev_b32 v40, 3, v41 :: v_dual_bitop2_b32 v22, 7, v23 bitop3:0x40
	s_mov_b32 s17, exec_lo
	v_cmpx_gt_u32_e32 8, v41
; %bb.470:                              ;   in Loop: Header=BB265_360 Depth=1
	s_delay_alu instid0(VALU_DEP_2) | instskip(NEXT) | instid1(VALU_DEP_1)
	v_clz_i32_u32_e32 v22, v22
	v_min_u32_e32 v22, 32, v22
	s_delay_alu instid0(VALU_DEP_1) | instskip(NEXT) | instid1(VALU_DEP_1)
	v_subrev_nc_u32_e32 v40, 28, v22
	v_lshlrev_b64_e32 v[48:49], v40, v[6:7]
	s_delay_alu instid0(VALU_DEP_1)
	v_dual_sub_nc_u32 v40, 29, v22 :: v_dual_bitop2_b32 v22, 7, v48 bitop3:0x40
; %bb.471:                              ;   in Loop: Header=BB265_360 Depth=1
	s_or_b32 exec_lo, exec_lo, s17
	s_delay_alu instid0(VALU_DEP_1) | instskip(NEXT) | instid1(VALU_DEP_2)
	v_dual_lshlrev_b32 v6, 8, v23 :: v_dual_lshlrev_b32 v22, 23, v22
	v_lshl_add_u32 v23, v40, 10, 0x2000
	s_delay_alu instid0(VALU_DEP_1) | instskip(NEXT) | instid1(VALU_DEP_1)
	v_and_or_b32 v6, 0x8000, v6, v23
	v_lshl_or_b32 v22, v6, 16, v22
.LBB265_472:                            ;   in Loop: Header=BB265_360 Depth=1
	s_or_b32 exec_lo, exec_lo, s16
.LBB265_473:                            ;   in Loop: Header=BB265_360 Depth=1
	s_delay_alu instid0(SALU_CYCLE_1)
	s_or_b32 exec_lo, exec_lo, s15
.LBB265_474:                            ;   in Loop: Header=BB265_360 Depth=1
	s_delay_alu instid0(SALU_CYCLE_1) | instskip(SKIP_2) | instid1(VALU_DEP_1)
	s_or_b32 exec_lo, exec_lo, s14
	v_lshrrev_b32_e32 v6, 16, v17
	s_mov_b32 s14, exec_lo
	v_and_b32_e32 v23, 0xff, v6
	s_delay_alu instid0(VALU_DEP_1)
	v_cmpx_ne_u16_e32 0, v23
	s_cbranch_execz .LBB265_482
; %bb.475:                              ;   in Loop: Header=BB265_360 Depth=1
	v_mov_b32_e32 v21, 0x8000
	s_mov_b32 s15, exec_lo
	v_cmpx_ne_u16_e32 0x80, v23
	s_cbranch_execz .LBB265_481
; %bb.476:                              ;   in Loop: Header=BB265_360 Depth=1
	v_bfe_u32 v40, v17, 16, 7
	v_mov_b32_e32 v21, 0x7c01
	s_mov_b32 s16, exec_lo
	s_delay_alu instid0(VALU_DEP_2)
	v_cmpx_ne_u32_e32 0x7f, v40
	s_cbranch_execz .LBB265_480
; %bb.477:                              ;   in Loop: Header=BB265_360 Depth=1
	v_dual_lshrrev_b32 v23, 3, v40 :: v_dual_bitop2_b32 v21, 7, v6 bitop3:0x40
	s_mov_b32 s17, exec_lo
	v_cmpx_gt_u32_e32 8, v40
; %bb.478:                              ;   in Loop: Header=BB265_360 Depth=1
	s_delay_alu instid0(VALU_DEP_2) | instskip(NEXT) | instid1(VALU_DEP_1)
	v_clz_i32_u32_e32 v21, v21
	v_min_u32_e32 v21, 32, v21
	s_delay_alu instid0(VALU_DEP_1) | instskip(NEXT) | instid1(VALU_DEP_1)
	v_subrev_nc_u32_e32 v23, 28, v21
	v_lshlrev_b64_e32 v[40:41], v23, v[6:7]
	s_delay_alu instid0(VALU_DEP_1)
	v_dual_sub_nc_u32 v23, 29, v21 :: v_dual_bitop2_b32 v21, 7, v40 bitop3:0x40
; %bb.479:                              ;   in Loop: Header=BB265_360 Depth=1
	s_or_b32 exec_lo, exec_lo, s17
	s_delay_alu instid0(VALU_DEP_1) | instskip(NEXT) | instid1(VALU_DEP_2)
	v_dual_lshlrev_b32 v6, 8, v6 :: v_dual_lshlrev_b32 v21, 7, v21
	v_lshl_add_u32 v23, v23, 10, 0x2000
	s_delay_alu instid0(VALU_DEP_2) | instskip(NEXT) | instid1(VALU_DEP_2)
	v_and_b32_e32 v6, 0x8000, v6
	v_and_b32_e32 v23, 0xfc00, v23
	s_delay_alu instid0(VALU_DEP_1)
	v_or3_b32 v21, v6, v23, v21
.LBB265_480:                            ;   in Loop: Header=BB265_360 Depth=1
	s_or_b32 exec_lo, exec_lo, s16
.LBB265_481:                            ;   in Loop: Header=BB265_360 Depth=1
	s_delay_alu instid0(SALU_CYCLE_1)
	s_or_b32 exec_lo, exec_lo, s15
.LBB265_482:                            ;   in Loop: Header=BB265_360 Depth=1
	s_delay_alu instid0(SALU_CYCLE_1)
	s_or_b32 exec_lo, exec_lo, s14
	v_cmp_lt_u64_e64 s0, s[2:3], v[16:17]
	v_mov_b32_e32 v16, 0
	s_and_saveexec_b32 s14, s0
	s_cbranch_execz .LBB265_490
; %bb.483:                              ;   in Loop: Header=BB265_360 Depth=1
	v_lshrrev_b32_e32 v6, 24, v17
	v_bfrev_b32_e32 v16, 1
	s_mov_b32 s15, exec_lo
	s_delay_alu instid0(VALU_DEP_2)
	v_cmpx_ne_u32_e32 0x80, v6
	s_cbranch_execz .LBB265_489
; %bb.484:                              ;   in Loop: Header=BB265_360 Depth=1
	v_and_b32_e32 v23, 0x7f, v6
	v_mov_b32_e32 v16, 0x7c010000
	s_mov_b32 s16, exec_lo
	s_delay_alu instid0(VALU_DEP_2)
	v_cmpx_ne_u32_e32 0x7f, v23
	s_cbranch_execz .LBB265_488
; %bb.485:                              ;   in Loop: Header=BB265_360 Depth=1
	v_dual_lshrrev_b32 v17, 3, v23 :: v_dual_bitop2_b32 v16, 7, v6 bitop3:0x40
	s_mov_b32 s17, exec_lo
	v_cmpx_gt_u32_e32 8, v23
; %bb.486:                              ;   in Loop: Header=BB265_360 Depth=1
	s_delay_alu instid0(VALU_DEP_2) | instskip(NEXT) | instid1(VALU_DEP_1)
	v_clz_i32_u32_e32 v16, v16
	v_min_u32_e32 v23, 32, v16
	s_delay_alu instid0(VALU_DEP_1) | instskip(NEXT) | instid1(VALU_DEP_1)
	v_subrev_nc_u32_e32 v16, 28, v23
	v_lshlrev_b64_e32 v[16:17], v16, v[6:7]
	s_delay_alu instid0(VALU_DEP_1)
	v_dual_sub_nc_u32 v17, 29, v23 :: v_dual_bitop2_b32 v16, 7, v16 bitop3:0x40
; %bb.487:                              ;   in Loop: Header=BB265_360 Depth=1
	s_or_b32 exec_lo, exec_lo, s17
	s_delay_alu instid0(VALU_DEP_1) | instskip(NEXT) | instid1(VALU_DEP_2)
	v_dual_lshlrev_b32 v6, 8, v6 :: v_dual_lshlrev_b32 v16, 23, v16
	v_lshl_add_u32 v17, v17, 10, 0x2000
	s_delay_alu instid0(VALU_DEP_1) | instskip(NEXT) | instid1(VALU_DEP_1)
	v_and_or_b32 v6, 0x8000, v6, v17
	v_lshl_or_b32 v16, v6, 16, v16
.LBB265_488:                            ;   in Loop: Header=BB265_360 Depth=1
	s_or_b32 exec_lo, exec_lo, s16
.LBB265_489:                            ;   in Loop: Header=BB265_360 Depth=1
	s_delay_alu instid0(SALU_CYCLE_1)
	s_or_b32 exec_lo, exec_lo, s15
.LBB265_490:                            ;   in Loop: Header=BB265_360 Depth=1
	s_delay_alu instid0(SALU_CYCLE_1) | instskip(SKIP_3) | instid1(VALU_DEP_3)
	s_or_b32 exec_lo, exec_lo, s14
	v_dual_lshrrev_b32 v6, 16, v1 :: v_dual_lshrrev_b32 v17, 16, v18
	v_or_b32_e32 v1, v1, v15
	v_dual_lshrrev_b32 v23, 16, v16 :: v_dual_bitop2_b32 v15, v18, v19 bitop3:0x54
	v_cvt_f32_f16_e32 v19, v6
	s_delay_alu instid0(VALU_DEP_4) | instskip(SKIP_1) | instid1(VALU_DEP_4)
	v_cvt_f32_f16_e32 v18, v17
	v_dual_lshrrev_b32 v21, 16, v22 :: v_dual_bitop2_b32 v6, v16, v21 bitop3:0x54
	v_cvt_f32_f16_e32 v16, v15
	v_cvt_f32_f16_e32 v17, v1
	s_wait_loadcnt 0x0
	v_pk_mul_f32 v[18:19], v[14:15], v[18:19] op_sel_hi:[0,1]
	v_cvt_f32_f16_e32 v21, v21
	s_delay_alu instid0(VALU_DEP_2) | instskip(SKIP_3) | instid1(VALU_DEP_3)
	v_cvt_pk_f16_f32 v1, v18, v19
	v_or_b32_e32 v15, v22, v20
	v_cvt_f32_f16_e32 v20, v23
	v_cvt_f32_f16_e32 v22, v6
	v_pk_mul_f32 v[16:17], v[14:15], v[16:17] op_sel_hi:[0,1]
	s_delay_alu instid0(VALU_DEP_1) | instskip(SKIP_4) | instid1(VALU_DEP_3)
	v_cvt_pk_f16_f32 v6, v16, v17
	v_lshlrev_b32_e32 v16, 16, v1
	v_cvt_f32_f16_e32 v23, v15
	v_pk_mul_f32 v[18:19], v[14:15], v[20:21] op_sel_hi:[0,1]
	v_and_b32_e32 v17, 0xffff0000, v1
	v_pk_mul_f32 v[14:15], v[14:15], v[22:23] op_sel_hi:[0,1]
	s_delay_alu instid0(VALU_DEP_3) | instskip(SKIP_1) | instid1(VALU_DEP_3)
	v_cvt_pk_f16_f32 v18, v18, v19
	v_and_b32_e32 v22, 0xffff, v6
	v_cvt_pk_f16_f32 v14, v14, v15
	s_delay_alu instid0(VALU_DEP_3) | instskip(NEXT) | instid1(VALU_DEP_3)
	v_and_b32_e32 v1, 0xffff0000, v18
	v_or_b32_e32 v20, v16, v22
	s_delay_alu instid0(VALU_DEP_3) | instskip(SKIP_2) | instid1(VALU_DEP_3)
	v_lshrrev_b32_e32 v15, 16, v14
	v_lshrrev_b32_e32 v23, 16, v6
	v_and_b32_e32 v14, 0xffff, v14
	v_dual_lshlrev_b32 v6, 16, v18 :: v_dual_bitop2_b32 v19, v1, v15 bitop3:0x54
	s_delay_alu instid0(VALU_DEP_3) | instskip(NEXT) | instid1(VALU_DEP_2)
	v_or_b32_e32 v21, v17, v23
	v_or_b32_e32 v18, v6, v14
	s_and_saveexec_b32 s14, vcc_lo
	s_cbranch_execz .LBB265_492
; %bb.491:                              ;   in Loop: Header=BB265_360 Depth=1
	v_cmp_gt_i32_e64 s0, s9, v30
	s_delay_alu instid0(VALU_DEP_1) | instskip(SKIP_1) | instid1(VALU_DEP_1)
	v_cndmask_b32_e64 v18, 0, v23, s0
	v_cmp_gt_i32_e64 s0, s23, v39
	v_cndmask_b32_e64 v19, 0, v22, s0
	v_cmp_gt_i32_e64 s0, s9, v38
	s_delay_alu instid0(VALU_DEP_1) | instskip(SKIP_1) | instid1(VALU_DEP_1)
	v_cndmask_b32_e64 v17, 0, v17, s0
	v_cmp_gt_i32_e64 s0, s23, v37
	v_cndmask_b32_e64 v16, 0, v16, s0
	v_cmp_gt_i32_e64 s0, s9, v36
	s_delay_alu instid0(VALU_DEP_4) | instskip(NEXT) | instid1(VALU_DEP_3)
	v_or_b32_e32 v21, v17, v18
	v_or_b32_e32 v20, v16, v19
	s_delay_alu instid0(VALU_DEP_3) | instskip(SKIP_1) | instid1(VALU_DEP_1)
	v_cndmask_b32_e64 v15, 0, v15, s0
	v_cmp_gt_i32_e64 s0, s23, v35
	v_cndmask_b32_e64 v14, 0, v14, s0
	v_cmp_gt_i32_e64 s0, s9, v34
	s_delay_alu instid0(VALU_DEP_1) | instskip(SKIP_1) | instid1(VALU_DEP_1)
	v_cndmask_b32_e64 v1, 0, v1, s0
	v_cmp_gt_i32_e64 s0, s23, v33
	v_dual_cndmask_b32 v6, 0, v6, s0 :: v_dual_bitop2_b32 v19, v1, v15 bitop3:0x54
	s_delay_alu instid0(VALU_DEP_1)
	v_or_b32_e32 v18, v6, v14
.LBB265_492:                            ;   in Loop: Header=BB265_360 Depth=1
	s_or_b32 exec_lo, exec_lo, s14
	;;#ASMSTART
	v_pk_mul_f16 v1, v45, v21;

	;;#ASMEND
	;;#ASMSTART
	v_pk_mul_f16 v6, v44, v20;

	;;#ASMEND
	;; [unrolled: 4-line block ×4, first 2 shown]
	;;#ASMSTART
	v_pk_add_f16 v1, v1, v6;

	;;#ASMEND
	;;#ASMSTART
	v_pk_add_f16 v1, v1, v14;

	;;#ASMEND
	;; [unrolled: 4-line block ×3, first 2 shown]
	v_and_b32_e32 v6, 0xffff, v1
	v_dual_lshrrev_b32 v1, 16, v1 :: v_dual_mov_b32 v15, 0
	;;#ASMSTART
	v_cvt_f32_f16 v48, v6;
	;;#ASMEND
	;;#ASMSTART
	v_cvt_f32_f16 v49, v1;
	;;#ASMEND
	global_load_b64 v[16:17], v[12:13], off offset:512
	v_mov_b32_e32 v1, 0
	s_mov_b32 s14, exec_lo
	global_load_b32 v14, v1, s[10:11]
	s_wait_loadcnt 0x1
	v_and_b32_e32 v6, 0xff, v16
	s_wait_xcnt 0x0
	s_delay_alu instid0(VALU_DEP_1)
	v_cmpx_ne_u16_e32 0, v6
	s_cbranch_execz .LBB265_500
; %bb.493:                              ;   in Loop: Header=BB265_360 Depth=1
	v_mov_b32_e32 v15, 0x8000
	s_mov_b32 s15, exec_lo
	v_cmpx_ne_u16_e32 0x80, v6
	s_cbranch_execz .LBB265_499
; %bb.494:                              ;   in Loop: Header=BB265_360 Depth=1
	v_and_b32_e32 v18, 0x7f, v16
	v_mov_b32_e32 v15, 0x7c01
	s_mov_b32 s16, exec_lo
	s_delay_alu instid0(VALU_DEP_2)
	v_cmpx_ne_u32_e32 0x7f, v18
	s_cbranch_execz .LBB265_498
; %bb.495:                              ;   in Loop: Header=BB265_360 Depth=1
	v_dual_lshrrev_b32 v15, 3, v18 :: v_dual_bitop2_b32 v6, 7, v16 bitop3:0x40
	s_mov_b32 s17, exec_lo
	v_cmpx_gt_u32_e32 8, v18
; %bb.496:                              ;   in Loop: Header=BB265_360 Depth=1
	s_delay_alu instid0(VALU_DEP_2) | instskip(NEXT) | instid1(VALU_DEP_1)
	v_clz_i32_u32_e32 v6, v6
	v_min_u32_e32 v6, 32, v6
	s_delay_alu instid0(VALU_DEP_1) | instskip(NEXT) | instid1(VALU_DEP_1)
	v_subrev_nc_u32_e32 v15, 28, v6
	v_lshlrev_b64_e32 v[18:19], v15, v[16:17]
	v_sub_nc_u32_e32 v15, 29, v6
	s_delay_alu instid0(VALU_DEP_2)
	v_and_b32_e32 v6, 7, v18
; %bb.497:                              ;   in Loop: Header=BB265_360 Depth=1
	s_or_b32 exec_lo, exec_lo, s17
	s_delay_alu instid0(VALU_DEP_1) | instskip(NEXT) | instid1(VALU_DEP_3)
	v_dual_lshlrev_b32 v18, 8, v16 :: v_dual_lshlrev_b32 v6, 7, v6
	v_lshl_add_u32 v15, v15, 10, 0x2000
	s_delay_alu instid0(VALU_DEP_2) | instskip(NEXT) | instid1(VALU_DEP_2)
	v_and_b32_e32 v18, 0x8000, v18
	v_and_b32_e32 v15, 0xfc00, v15
	s_delay_alu instid0(VALU_DEP_1)
	v_or3_b32 v15, v18, v15, v6
.LBB265_498:                            ;   in Loop: Header=BB265_360 Depth=1
	s_or_b32 exec_lo, exec_lo, s16
.LBB265_499:                            ;   in Loop: Header=BB265_360 Depth=1
	s_delay_alu instid0(SALU_CYCLE_1)
	s_or_b32 exec_lo, exec_lo, s15
.LBB265_500:                            ;   in Loop: Header=BB265_360 Depth=1
	s_delay_alu instid0(SALU_CYCLE_1) | instskip(SKIP_2) | instid1(VALU_DEP_1)
	s_or_b32 exec_lo, exec_lo, s14
	v_lshrrev_b16 v6, 8, v16
	s_mov_b32 s14, exec_lo
	v_cmpx_ne_u16_e32 0, v6
	s_cbranch_execz .LBB265_508
; %bb.501:                              ;   in Loop: Header=BB265_360 Depth=1
	v_bfrev_b32_e32 v1, 1
	s_mov_b32 s15, exec_lo
	v_cmpx_ne_u16_e32 0x80, v6
	s_cbranch_execz .LBB265_507
; %bb.502:                              ;   in Loop: Header=BB265_360 Depth=1
	v_and_b32_e32 v18, 0xffff, v6
	v_mov_b32_e32 v1, 0x7c010000
	s_mov_b32 s16, exec_lo
	s_delay_alu instid0(VALU_DEP_2) | instskip(NEXT) | instid1(VALU_DEP_1)
	v_and_b32_e32 v20, 0x7f, v18
	v_cmpx_ne_u32_e32 0x7f, v20
	s_cbranch_execz .LBB265_506
; %bb.503:                              ;   in Loop: Header=BB265_360 Depth=1
	v_dual_lshrrev_b32 v19, 3, v20 :: v_dual_bitop2_b32 v1, 7, v18 bitop3:0x40
	s_mov_b32 s17, exec_lo
	v_cmpx_gt_u32_e32 8, v20
; %bb.504:                              ;   in Loop: Header=BB265_360 Depth=1
	s_delay_alu instid0(VALU_DEP_2) | instskip(NEXT) | instid1(VALU_DEP_1)
	v_clz_i32_u32_e32 v1, v1
	v_min_u32_e32 v1, 32, v1
	s_delay_alu instid0(VALU_DEP_1) | instskip(NEXT) | instid1(VALU_DEP_1)
	v_subrev_nc_u32_e32 v19, 28, v1
	v_lshlrev_b64_e32 v[20:21], v19, v[6:7]
	s_delay_alu instid0(VALU_DEP_1)
	v_dual_sub_nc_u32 v19, 29, v1 :: v_dual_bitop2_b32 v1, 7, v20 bitop3:0x40
; %bb.505:                              ;   in Loop: Header=BB265_360 Depth=1
	s_or_b32 exec_lo, exec_lo, s17
	s_delay_alu instid0(VALU_DEP_1) | instskip(NEXT) | instid1(VALU_DEP_2)
	v_dual_lshlrev_b32 v6, 8, v18 :: v_dual_lshlrev_b32 v1, 23, v1
	v_lshl_add_u32 v18, v19, 10, 0x2000
	s_delay_alu instid0(VALU_DEP_1) | instskip(NEXT) | instid1(VALU_DEP_1)
	v_and_or_b32 v6, 0x8000, v6, v18
	v_lshl_or_b32 v1, v6, 16, v1
.LBB265_506:                            ;   in Loop: Header=BB265_360 Depth=1
	s_or_b32 exec_lo, exec_lo, s16
.LBB265_507:                            ;   in Loop: Header=BB265_360 Depth=1
	s_delay_alu instid0(SALU_CYCLE_1)
	s_or_b32 exec_lo, exec_lo, s15
.LBB265_508:                            ;   in Loop: Header=BB265_360 Depth=1
	s_delay_alu instid0(SALU_CYCLE_1) | instskip(SKIP_3) | instid1(VALU_DEP_2)
	s_or_b32 exec_lo, exec_lo, s14
	v_dual_lshrrev_b32 v6, 16, v16 :: v_dual_mov_b32 v18, 0
	v_mov_b32_e32 v19, 0
	s_mov_b32 s14, exec_lo
	v_and_b32_e32 v20, 0xff, v6
	s_delay_alu instid0(VALU_DEP_1)
	v_cmpx_ne_u16_e32 0, v20
	s_cbranch_execz .LBB265_516
; %bb.509:                              ;   in Loop: Header=BB265_360 Depth=1
	v_mov_b32_e32 v19, 0x8000
	s_mov_b32 s15, exec_lo
	v_cmpx_ne_u16_e32 0x80, v20
	s_cbranch_execz .LBB265_515
; %bb.510:                              ;   in Loop: Header=BB265_360 Depth=1
	v_bfe_u32 v21, v16, 16, 7
	v_mov_b32_e32 v19, 0x7c01
	s_mov_b32 s16, exec_lo
	s_delay_alu instid0(VALU_DEP_2)
	v_cmpx_ne_u32_e32 0x7f, v21
	s_cbranch_execz .LBB265_514
; %bb.511:                              ;   in Loop: Header=BB265_360 Depth=1
	v_dual_lshrrev_b32 v20, 3, v21 :: v_dual_bitop2_b32 v19, 7, v6 bitop3:0x40
	s_mov_b32 s17, exec_lo
	v_cmpx_gt_u32_e32 8, v21
; %bb.512:                              ;   in Loop: Header=BB265_360 Depth=1
	s_delay_alu instid0(VALU_DEP_2) | instskip(NEXT) | instid1(VALU_DEP_1)
	v_clz_i32_u32_e32 v19, v19
	v_min_u32_e32 v19, 32, v19
	s_delay_alu instid0(VALU_DEP_1) | instskip(NEXT) | instid1(VALU_DEP_1)
	v_subrev_nc_u32_e32 v20, 28, v19
	v_lshlrev_b64_e32 v[22:23], v20, v[6:7]
	s_delay_alu instid0(VALU_DEP_1)
	v_dual_sub_nc_u32 v20, 29, v19 :: v_dual_bitop2_b32 v19, 7, v22 bitop3:0x40
; %bb.513:                              ;   in Loop: Header=BB265_360 Depth=1
	s_or_b32 exec_lo, exec_lo, s17
	s_delay_alu instid0(VALU_DEP_1) | instskip(NEXT) | instid1(VALU_DEP_2)
	v_dual_lshlrev_b32 v6, 8, v6 :: v_dual_lshlrev_b32 v19, 7, v19
	v_lshl_add_u32 v20, v20, 10, 0x2000
	s_delay_alu instid0(VALU_DEP_2) | instskip(NEXT) | instid1(VALU_DEP_2)
	v_and_b32_e32 v6, 0x8000, v6
	v_and_b32_e32 v20, 0xfc00, v20
	s_delay_alu instid0(VALU_DEP_1)
	v_or3_b32 v19, v6, v20, v19
.LBB265_514:                            ;   in Loop: Header=BB265_360 Depth=1
	s_or_b32 exec_lo, exec_lo, s16
.LBB265_515:                            ;   in Loop: Header=BB265_360 Depth=1
	s_delay_alu instid0(SALU_CYCLE_1)
	s_or_b32 exec_lo, exec_lo, s15
.LBB265_516:                            ;   in Loop: Header=BB265_360 Depth=1
	s_delay_alu instid0(SALU_CYCLE_1) | instskip(NEXT) | instid1(SALU_CYCLE_1)
	s_or_b32 exec_lo, exec_lo, s14
	s_mov_b32 s14, exec_lo
	v_cmpx_lt_u32_e32 0xffffff, v16
	s_cbranch_execz .LBB265_524
; %bb.517:                              ;   in Loop: Header=BB265_360 Depth=1
	v_lshrrev_b32_e32 v6, 24, v16
	v_bfrev_b32_e32 v18, 1
	s_mov_b32 s15, exec_lo
	s_delay_alu instid0(VALU_DEP_2)
	v_cmpx_ne_u32_e32 0x80, v6
	s_cbranch_execz .LBB265_523
; %bb.518:                              ;   in Loop: Header=BB265_360 Depth=1
	v_and_b32_e32 v21, 0x7f, v6
	v_mov_b32_e32 v18, 0x7c010000
	s_mov_b32 s16, exec_lo
	s_delay_alu instid0(VALU_DEP_2)
	v_cmpx_ne_u32_e32 0x7f, v21
	s_cbranch_execz .LBB265_522
; %bb.519:                              ;   in Loop: Header=BB265_360 Depth=1
	v_dual_lshrrev_b32 v20, 3, v21 :: v_dual_bitop2_b32 v18, 7, v6 bitop3:0x40
	s_mov_b32 s17, exec_lo
	v_cmpx_gt_u32_e32 8, v21
; %bb.520:                              ;   in Loop: Header=BB265_360 Depth=1
	s_delay_alu instid0(VALU_DEP_2) | instskip(NEXT) | instid1(VALU_DEP_1)
	v_clz_i32_u32_e32 v18, v18
	v_min_u32_e32 v18, 32, v18
	s_delay_alu instid0(VALU_DEP_1) | instskip(NEXT) | instid1(VALU_DEP_1)
	v_subrev_nc_u32_e32 v20, 28, v18
	v_lshlrev_b64_e32 v[22:23], v20, v[6:7]
	v_sub_nc_u32_e32 v20, 29, v18
	s_delay_alu instid0(VALU_DEP_2)
	v_and_b32_e32 v18, 7, v22
; %bb.521:                              ;   in Loop: Header=BB265_360 Depth=1
	s_or_b32 exec_lo, exec_lo, s17
	v_lshlrev_b32_e32 v6, 8, v6
	s_delay_alu instid0(VALU_DEP_3) | instskip(NEXT) | instid1(VALU_DEP_3)
	v_lshl_add_u32 v20, v20, 10, 0x2000
	v_lshlrev_b32_e32 v18, 23, v18
	s_delay_alu instid0(VALU_DEP_2) | instskip(NEXT) | instid1(VALU_DEP_1)
	v_and_or_b32 v6, 0x8000, v6, v20
	v_lshl_or_b32 v18, v6, 16, v18
.LBB265_522:                            ;   in Loop: Header=BB265_360 Depth=1
	s_or_b32 exec_lo, exec_lo, s16
.LBB265_523:                            ;   in Loop: Header=BB265_360 Depth=1
	s_delay_alu instid0(SALU_CYCLE_1)
	s_or_b32 exec_lo, exec_lo, s15
.LBB265_524:                            ;   in Loop: Header=BB265_360 Depth=1
	s_delay_alu instid0(SALU_CYCLE_1) | instskip(SKIP_4) | instid1(VALU_DEP_3)
	s_or_b32 exec_lo, exec_lo, s14
	v_and_b32_e32 v22, 0xff, v17
	v_dual_mov_b32 v6, v17 :: v_dual_mov_b32 v21, 0
	v_mov_b32_e32 v20, 0
	s_mov_b32 s14, exec_lo
	v_cmpx_ne_u16_e32 0, v22
	s_cbranch_execz .LBB265_532
; %bb.525:                              ;   in Loop: Header=BB265_360 Depth=1
	v_mov_b32_e32 v20, 0x8000
	s_mov_b32 s15, exec_lo
	v_cmpx_ne_u16_e32 0x80, v22
	s_cbranch_execz .LBB265_531
; %bb.526:                              ;   in Loop: Header=BB265_360 Depth=1
	v_and_b32_e32 v23, 0x7f, v17
	v_mov_b32_e32 v20, 0x7c01
	s_mov_b32 s16, exec_lo
	s_delay_alu instid0(VALU_DEP_2)
	v_cmpx_ne_u32_e32 0x7f, v23
	s_cbranch_execz .LBB265_530
; %bb.527:                              ;   in Loop: Header=BB265_360 Depth=1
	v_dual_lshrrev_b32 v22, 3, v23 :: v_dual_bitop2_b32 v20, 7, v17 bitop3:0x40
	s_mov_b32 s17, exec_lo
	v_cmpx_gt_u32_e32 8, v23
; %bb.528:                              ;   in Loop: Header=BB265_360 Depth=1
	s_delay_alu instid0(VALU_DEP_2) | instskip(NEXT) | instid1(VALU_DEP_1)
	v_clz_i32_u32_e32 v20, v20
	v_min_u32_e32 v20, 32, v20
	s_delay_alu instid0(VALU_DEP_1) | instskip(NEXT) | instid1(VALU_DEP_1)
	v_subrev_nc_u32_e32 v22, 28, v20
	v_lshlrev_b64_e32 v[40:41], v22, v[6:7]
	v_sub_nc_u32_e32 v22, 29, v20
	s_delay_alu instid0(VALU_DEP_2)
	v_and_b32_e32 v20, 7, v40
; %bb.529:                              ;   in Loop: Header=BB265_360 Depth=1
	s_or_b32 exec_lo, exec_lo, s17
	s_delay_alu instid0(VALU_DEP_1) | instskip(NEXT) | instid1(VALU_DEP_3)
	v_dual_lshlrev_b32 v23, 8, v17 :: v_dual_lshlrev_b32 v20, 7, v20
	v_lshl_add_u32 v22, v22, 10, 0x2000
	s_delay_alu instid0(VALU_DEP_2) | instskip(NEXT) | instid1(VALU_DEP_2)
	v_and_b32_e32 v23, 0x8000, v23
	v_and_b32_e32 v22, 0xfc00, v22
	s_delay_alu instid0(VALU_DEP_1)
	v_or3_b32 v20, v23, v22, v20
.LBB265_530:                            ;   in Loop: Header=BB265_360 Depth=1
	s_or_b32 exec_lo, exec_lo, s16
.LBB265_531:                            ;   in Loop: Header=BB265_360 Depth=1
	s_delay_alu instid0(SALU_CYCLE_1)
	s_or_b32 exec_lo, exec_lo, s15
.LBB265_532:                            ;   in Loop: Header=BB265_360 Depth=1
	s_delay_alu instid0(SALU_CYCLE_1) | instskip(SKIP_3) | instid1(VALU_DEP_2)
	s_or_b32 exec_lo, exec_lo, s14
	v_lshrrev_b16 v6, 8, v6
	v_mov_b32_e32 v22, 0
	s_mov_b32 s14, exec_lo
	v_cmpx_ne_u16_e32 0, v6
	s_cbranch_execz .LBB265_540
; %bb.533:                              ;   in Loop: Header=BB265_360 Depth=1
	v_bfrev_b32_e32 v22, 1
	s_mov_b32 s15, exec_lo
	v_cmpx_ne_u16_e32 0x80, v6
	s_cbranch_execz .LBB265_539
; %bb.534:                              ;   in Loop: Header=BB265_360 Depth=1
	v_and_b32_e32 v23, 0xffff, v6
	v_mov_b32_e32 v22, 0x7c010000
	s_mov_b32 s16, exec_lo
	s_delay_alu instid0(VALU_DEP_2) | instskip(NEXT) | instid1(VALU_DEP_1)
	v_and_b32_e32 v41, 0x7f, v23
	v_cmpx_ne_u32_e32 0x7f, v41
	s_cbranch_execz .LBB265_538
; %bb.535:                              ;   in Loop: Header=BB265_360 Depth=1
	v_dual_lshrrev_b32 v40, 3, v41 :: v_dual_bitop2_b32 v22, 7, v23 bitop3:0x40
	s_mov_b32 s17, exec_lo
	v_cmpx_gt_u32_e32 8, v41
; %bb.536:                              ;   in Loop: Header=BB265_360 Depth=1
	s_delay_alu instid0(VALU_DEP_2) | instskip(NEXT) | instid1(VALU_DEP_1)
	v_clz_i32_u32_e32 v22, v22
	v_min_u32_e32 v22, 32, v22
	s_delay_alu instid0(VALU_DEP_1) | instskip(NEXT) | instid1(VALU_DEP_1)
	v_subrev_nc_u32_e32 v40, 28, v22
	v_lshlrev_b64_e32 v[50:51], v40, v[6:7]
	v_sub_nc_u32_e32 v40, 29, v22
	s_delay_alu instid0(VALU_DEP_2)
	v_and_b32_e32 v22, 7, v50
; %bb.537:                              ;   in Loop: Header=BB265_360 Depth=1
	s_or_b32 exec_lo, exec_lo, s17
	s_delay_alu instid0(VALU_DEP_1) | instskip(NEXT) | instid1(VALU_DEP_3)
	v_dual_lshlrev_b32 v6, 8, v23 :: v_dual_lshlrev_b32 v22, 23, v22
	v_lshl_add_u32 v23, v40, 10, 0x2000
	s_delay_alu instid0(VALU_DEP_1) | instskip(NEXT) | instid1(VALU_DEP_1)
	v_and_or_b32 v6, 0x8000, v6, v23
	v_lshl_or_b32 v22, v6, 16, v22
.LBB265_538:                            ;   in Loop: Header=BB265_360 Depth=1
	s_or_b32 exec_lo, exec_lo, s16
.LBB265_539:                            ;   in Loop: Header=BB265_360 Depth=1
	s_delay_alu instid0(SALU_CYCLE_1)
	s_or_b32 exec_lo, exec_lo, s15
.LBB265_540:                            ;   in Loop: Header=BB265_360 Depth=1
	s_delay_alu instid0(SALU_CYCLE_1) | instskip(SKIP_2) | instid1(VALU_DEP_1)
	s_or_b32 exec_lo, exec_lo, s14
	v_lshrrev_b32_e32 v6, 16, v17
	s_mov_b32 s14, exec_lo
	v_and_b32_e32 v23, 0xff, v6
	s_delay_alu instid0(VALU_DEP_1)
	v_cmpx_ne_u16_e32 0, v23
	s_cbranch_execz .LBB265_548
; %bb.541:                              ;   in Loop: Header=BB265_360 Depth=1
	v_mov_b32_e32 v21, 0x8000
	s_mov_b32 s15, exec_lo
	v_cmpx_ne_u16_e32 0x80, v23
	s_cbranch_execz .LBB265_547
; %bb.542:                              ;   in Loop: Header=BB265_360 Depth=1
	v_bfe_u32 v40, v17, 16, 7
	v_mov_b32_e32 v21, 0x7c01
	s_mov_b32 s16, exec_lo
	s_delay_alu instid0(VALU_DEP_2)
	v_cmpx_ne_u32_e32 0x7f, v40
	s_cbranch_execz .LBB265_546
; %bb.543:                              ;   in Loop: Header=BB265_360 Depth=1
	v_dual_lshrrev_b32 v23, 3, v40 :: v_dual_bitop2_b32 v21, 7, v6 bitop3:0x40
	s_mov_b32 s17, exec_lo
	v_cmpx_gt_u32_e32 8, v40
; %bb.544:                              ;   in Loop: Header=BB265_360 Depth=1
	s_delay_alu instid0(VALU_DEP_2) | instskip(NEXT) | instid1(VALU_DEP_1)
	v_clz_i32_u32_e32 v21, v21
	v_min_u32_e32 v21, 32, v21
	s_delay_alu instid0(VALU_DEP_1) | instskip(NEXT) | instid1(VALU_DEP_1)
	v_subrev_nc_u32_e32 v23, 28, v21
	v_lshlrev_b64_e32 v[40:41], v23, v[6:7]
	s_delay_alu instid0(VALU_DEP_1)
	v_dual_sub_nc_u32 v23, 29, v21 :: v_dual_bitop2_b32 v21, 7, v40 bitop3:0x40
; %bb.545:                              ;   in Loop: Header=BB265_360 Depth=1
	s_or_b32 exec_lo, exec_lo, s17
	s_delay_alu instid0(VALU_DEP_1) | instskip(NEXT) | instid1(VALU_DEP_2)
	v_dual_lshlrev_b32 v6, 8, v6 :: v_dual_lshlrev_b32 v21, 7, v21
	v_lshl_add_u32 v23, v23, 10, 0x2000
	s_delay_alu instid0(VALU_DEP_2) | instskip(NEXT) | instid1(VALU_DEP_2)
	v_and_b32_e32 v6, 0x8000, v6
	v_and_b32_e32 v23, 0xfc00, v23
	s_delay_alu instid0(VALU_DEP_1)
	v_or3_b32 v21, v6, v23, v21
.LBB265_546:                            ;   in Loop: Header=BB265_360 Depth=1
	s_or_b32 exec_lo, exec_lo, s16
.LBB265_547:                            ;   in Loop: Header=BB265_360 Depth=1
	s_delay_alu instid0(SALU_CYCLE_1)
	s_or_b32 exec_lo, exec_lo, s15
.LBB265_548:                            ;   in Loop: Header=BB265_360 Depth=1
	s_delay_alu instid0(SALU_CYCLE_1)
	s_or_b32 exec_lo, exec_lo, s14
	v_cmp_lt_u64_e64 s0, s[2:3], v[16:17]
	v_mov_b32_e32 v16, 0
	s_and_saveexec_b32 s14, s0
	s_cbranch_execz .LBB265_556
; %bb.549:                              ;   in Loop: Header=BB265_360 Depth=1
	v_lshrrev_b32_e32 v6, 24, v17
	v_bfrev_b32_e32 v16, 1
	s_mov_b32 s15, exec_lo
	s_delay_alu instid0(VALU_DEP_2)
	v_cmpx_ne_u32_e32 0x80, v6
	s_cbranch_execz .LBB265_555
; %bb.550:                              ;   in Loop: Header=BB265_360 Depth=1
	v_and_b32_e32 v23, 0x7f, v6
	v_mov_b32_e32 v16, 0x7c010000
	s_mov_b32 s16, exec_lo
	s_delay_alu instid0(VALU_DEP_2)
	v_cmpx_ne_u32_e32 0x7f, v23
	s_cbranch_execz .LBB265_554
; %bb.551:                              ;   in Loop: Header=BB265_360 Depth=1
	v_dual_lshrrev_b32 v17, 3, v23 :: v_dual_bitop2_b32 v16, 7, v6 bitop3:0x40
	s_mov_b32 s17, exec_lo
	v_cmpx_gt_u32_e32 8, v23
; %bb.552:                              ;   in Loop: Header=BB265_360 Depth=1
	s_delay_alu instid0(VALU_DEP_2) | instskip(NEXT) | instid1(VALU_DEP_1)
	v_clz_i32_u32_e32 v16, v16
	v_min_u32_e32 v23, 32, v16
	s_delay_alu instid0(VALU_DEP_1) | instskip(NEXT) | instid1(VALU_DEP_1)
	v_subrev_nc_u32_e32 v16, 28, v23
	v_lshlrev_b64_e32 v[16:17], v16, v[6:7]
	s_delay_alu instid0(VALU_DEP_1)
	v_dual_sub_nc_u32 v17, 29, v23 :: v_dual_bitop2_b32 v16, 7, v16 bitop3:0x40
; %bb.553:                              ;   in Loop: Header=BB265_360 Depth=1
	s_or_b32 exec_lo, exec_lo, s17
	s_delay_alu instid0(VALU_DEP_1) | instskip(NEXT) | instid1(VALU_DEP_2)
	v_dual_lshlrev_b32 v6, 8, v6 :: v_dual_lshlrev_b32 v16, 23, v16
	v_lshl_add_u32 v17, v17, 10, 0x2000
	s_delay_alu instid0(VALU_DEP_1) | instskip(NEXT) | instid1(VALU_DEP_1)
	v_and_or_b32 v6, 0x8000, v6, v17
	v_lshl_or_b32 v16, v6, 16, v16
.LBB265_554:                            ;   in Loop: Header=BB265_360 Depth=1
	s_or_b32 exec_lo, exec_lo, s16
.LBB265_555:                            ;   in Loop: Header=BB265_360 Depth=1
	s_delay_alu instid0(SALU_CYCLE_1)
	s_or_b32 exec_lo, exec_lo, s15
.LBB265_556:                            ;   in Loop: Header=BB265_360 Depth=1
	s_delay_alu instid0(SALU_CYCLE_1) | instskip(SKIP_3) | instid1(VALU_DEP_3)
	s_or_b32 exec_lo, exec_lo, s14
	v_dual_lshrrev_b32 v6, 16, v1 :: v_dual_lshrrev_b32 v17, 16, v18
	v_or_b32_e32 v1, v1, v15
	v_dual_lshrrev_b32 v23, 16, v16 :: v_dual_bitop2_b32 v15, v18, v19 bitop3:0x54
	v_cvt_f32_f16_e32 v19, v6
	s_delay_alu instid0(VALU_DEP_4) | instskip(SKIP_1) | instid1(VALU_DEP_4)
	v_cvt_f32_f16_e32 v18, v17
	v_dual_lshrrev_b32 v21, 16, v22 :: v_dual_bitop2_b32 v6, v16, v21 bitop3:0x54
	v_cvt_f32_f16_e32 v16, v15
	v_cvt_f32_f16_e32 v17, v1
	s_wait_loadcnt 0x0
	v_pk_mul_f32 v[18:19], v[14:15], v[18:19] op_sel_hi:[0,1]
	v_cvt_f32_f16_e32 v21, v21
	s_delay_alu instid0(VALU_DEP_2) | instskip(SKIP_3) | instid1(VALU_DEP_3)
	v_cvt_pk_f16_f32 v1, v18, v19
	v_or_b32_e32 v15, v22, v20
	v_cvt_f32_f16_e32 v20, v23
	v_cvt_f32_f16_e32 v22, v6
	v_pk_mul_f32 v[16:17], v[14:15], v[16:17] op_sel_hi:[0,1]
	s_delay_alu instid0(VALU_DEP_1) | instskip(SKIP_4) | instid1(VALU_DEP_3)
	v_cvt_pk_f16_f32 v6, v16, v17
	v_lshlrev_b32_e32 v16, 16, v1
	v_cvt_f32_f16_e32 v23, v15
	v_pk_mul_f32 v[18:19], v[14:15], v[20:21] op_sel_hi:[0,1]
	v_and_b32_e32 v17, 0xffff0000, v1
	v_pk_mul_f32 v[14:15], v[14:15], v[22:23] op_sel_hi:[0,1]
	s_delay_alu instid0(VALU_DEP_3) | instskip(SKIP_1) | instid1(VALU_DEP_3)
	v_cvt_pk_f16_f32 v18, v18, v19
	v_and_b32_e32 v22, 0xffff, v6
	v_cvt_pk_f16_f32 v14, v14, v15
	s_delay_alu instid0(VALU_DEP_3) | instskip(NEXT) | instid1(VALU_DEP_3)
	v_and_b32_e32 v1, 0xffff0000, v18
	v_or_b32_e32 v20, v16, v22
	s_delay_alu instid0(VALU_DEP_3) | instskip(SKIP_2) | instid1(VALU_DEP_3)
	v_lshrrev_b32_e32 v15, 16, v14
	v_lshrrev_b32_e32 v23, 16, v6
	v_and_b32_e32 v14, 0xffff, v14
	v_dual_lshlrev_b32 v6, 16, v18 :: v_dual_bitop2_b32 v19, v1, v15 bitop3:0x54
	s_delay_alu instid0(VALU_DEP_3) | instskip(NEXT) | instid1(VALU_DEP_2)
	v_or_b32_e32 v21, v17, v23
	v_or_b32_e32 v18, v6, v14
	s_and_saveexec_b32 s14, vcc_lo
	s_cbranch_execz .LBB265_558
; %bb.557:                              ;   in Loop: Header=BB265_360 Depth=1
	v_cmp_gt_i32_e64 s0, s9, v30
	s_delay_alu instid0(VALU_DEP_1) | instskip(SKIP_1) | instid1(VALU_DEP_1)
	v_cndmask_b32_e64 v18, 0, v23, s0
	v_cmp_gt_i32_e64 s0, s23, v39
	v_cndmask_b32_e64 v19, 0, v22, s0
	v_cmp_gt_i32_e64 s0, s9, v38
	s_delay_alu instid0(VALU_DEP_1) | instskip(SKIP_1) | instid1(VALU_DEP_1)
	v_cndmask_b32_e64 v17, 0, v17, s0
	v_cmp_gt_i32_e64 s0, s23, v37
	v_cndmask_b32_e64 v16, 0, v16, s0
	v_cmp_gt_i32_e64 s0, s9, v36
	s_delay_alu instid0(VALU_DEP_4) | instskip(NEXT) | instid1(VALU_DEP_3)
	v_or_b32_e32 v21, v17, v18
	v_or_b32_e32 v20, v16, v19
	s_delay_alu instid0(VALU_DEP_3) | instskip(SKIP_1) | instid1(VALU_DEP_1)
	v_cndmask_b32_e64 v15, 0, v15, s0
	v_cmp_gt_i32_e64 s0, s23, v35
	v_cndmask_b32_e64 v14, 0, v14, s0
	v_cmp_gt_i32_e64 s0, s9, v34
	s_delay_alu instid0(VALU_DEP_1) | instskip(SKIP_1) | instid1(VALU_DEP_1)
	v_cndmask_b32_e64 v1, 0, v1, s0
	v_cmp_gt_i32_e64 s0, s23, v33
	v_dual_cndmask_b32 v6, 0, v6, s0 :: v_dual_bitop2_b32 v19, v1, v15 bitop3:0x54
	s_delay_alu instid0(VALU_DEP_1)
	v_or_b32_e32 v18, v6, v14
.LBB265_558:                            ;   in Loop: Header=BB265_360 Depth=1
	s_or_b32 exec_lo, exec_lo, s14
	;;#ASMSTART
	v_pk_mul_f16 v1, v45, v21;

	;;#ASMEND
	;;#ASMSTART
	v_pk_mul_f16 v6, v44, v20;

	;;#ASMEND
	;; [unrolled: 4-line block ×4, first 2 shown]
	;;#ASMSTART
	v_pk_add_f16 v1, v1, v6;

	;;#ASMEND
	;;#ASMSTART
	v_pk_add_f16 v1, v1, v14;

	;;#ASMEND
	;; [unrolled: 4-line block ×3, first 2 shown]
	v_and_b32_e32 v6, 0xffff, v1
	v_dual_lshrrev_b32 v1, 16, v1 :: v_dual_mov_b32 v15, 0
	;;#ASMSTART
	v_cvt_f32_f16 v50, v6;
	;;#ASMEND
	;;#ASMSTART
	v_cvt_f32_f16 v51, v1;
	;;#ASMEND
	global_load_b64 v[16:17], v[12:13], off offset:768
	v_mov_b32_e32 v1, 0
	s_mov_b32 s14, exec_lo
	global_load_b32 v14, v1, s[10:11]
	s_wait_loadcnt 0x1
	v_and_b32_e32 v6, 0xff, v16
	s_wait_xcnt 0x0
	s_delay_alu instid0(VALU_DEP_1)
	v_cmpx_ne_u16_e32 0, v6
	s_cbranch_execz .LBB265_566
; %bb.559:                              ;   in Loop: Header=BB265_360 Depth=1
	v_mov_b32_e32 v15, 0x8000
	s_mov_b32 s15, exec_lo
	v_cmpx_ne_u16_e32 0x80, v6
	s_cbranch_execz .LBB265_565
; %bb.560:                              ;   in Loop: Header=BB265_360 Depth=1
	v_and_b32_e32 v18, 0x7f, v16
	v_mov_b32_e32 v15, 0x7c01
	s_mov_b32 s16, exec_lo
	s_delay_alu instid0(VALU_DEP_2)
	v_cmpx_ne_u32_e32 0x7f, v18
	s_cbranch_execz .LBB265_564
; %bb.561:                              ;   in Loop: Header=BB265_360 Depth=1
	v_dual_lshrrev_b32 v15, 3, v18 :: v_dual_bitop2_b32 v6, 7, v16 bitop3:0x40
	s_mov_b32 s17, exec_lo
	v_cmpx_gt_u32_e32 8, v18
; %bb.562:                              ;   in Loop: Header=BB265_360 Depth=1
	s_delay_alu instid0(VALU_DEP_2) | instskip(NEXT) | instid1(VALU_DEP_1)
	v_clz_i32_u32_e32 v6, v6
	v_min_u32_e32 v6, 32, v6
	s_delay_alu instid0(VALU_DEP_1) | instskip(NEXT) | instid1(VALU_DEP_1)
	v_subrev_nc_u32_e32 v15, 28, v6
	v_lshlrev_b64_e32 v[18:19], v15, v[16:17]
	v_sub_nc_u32_e32 v15, 29, v6
	s_delay_alu instid0(VALU_DEP_2)
	v_and_b32_e32 v6, 7, v18
; %bb.563:                              ;   in Loop: Header=BB265_360 Depth=1
	s_or_b32 exec_lo, exec_lo, s17
	s_delay_alu instid0(VALU_DEP_1) | instskip(NEXT) | instid1(VALU_DEP_3)
	v_dual_lshlrev_b32 v18, 8, v16 :: v_dual_lshlrev_b32 v6, 7, v6
	v_lshl_add_u32 v15, v15, 10, 0x2000
	s_delay_alu instid0(VALU_DEP_2) | instskip(NEXT) | instid1(VALU_DEP_2)
	v_and_b32_e32 v18, 0x8000, v18
	v_and_b32_e32 v15, 0xfc00, v15
	s_delay_alu instid0(VALU_DEP_1)
	v_or3_b32 v15, v18, v15, v6
.LBB265_564:                            ;   in Loop: Header=BB265_360 Depth=1
	s_or_b32 exec_lo, exec_lo, s16
.LBB265_565:                            ;   in Loop: Header=BB265_360 Depth=1
	s_delay_alu instid0(SALU_CYCLE_1)
	s_or_b32 exec_lo, exec_lo, s15
.LBB265_566:                            ;   in Loop: Header=BB265_360 Depth=1
	s_delay_alu instid0(SALU_CYCLE_1) | instskip(SKIP_2) | instid1(VALU_DEP_1)
	s_or_b32 exec_lo, exec_lo, s14
	v_lshrrev_b16 v6, 8, v16
	s_mov_b32 s14, exec_lo
	v_cmpx_ne_u16_e32 0, v6
	s_cbranch_execz .LBB265_574
; %bb.567:                              ;   in Loop: Header=BB265_360 Depth=1
	v_bfrev_b32_e32 v1, 1
	s_mov_b32 s15, exec_lo
	v_cmpx_ne_u16_e32 0x80, v6
	s_cbranch_execz .LBB265_573
; %bb.568:                              ;   in Loop: Header=BB265_360 Depth=1
	v_and_b32_e32 v18, 0xffff, v6
	v_mov_b32_e32 v1, 0x7c010000
	s_mov_b32 s16, exec_lo
	s_delay_alu instid0(VALU_DEP_2) | instskip(NEXT) | instid1(VALU_DEP_1)
	v_and_b32_e32 v20, 0x7f, v18
	v_cmpx_ne_u32_e32 0x7f, v20
	s_cbranch_execz .LBB265_572
; %bb.569:                              ;   in Loop: Header=BB265_360 Depth=1
	v_dual_lshrrev_b32 v19, 3, v20 :: v_dual_bitop2_b32 v1, 7, v18 bitop3:0x40
	s_mov_b32 s17, exec_lo
	v_cmpx_gt_u32_e32 8, v20
; %bb.570:                              ;   in Loop: Header=BB265_360 Depth=1
	s_delay_alu instid0(VALU_DEP_2) | instskip(NEXT) | instid1(VALU_DEP_1)
	v_clz_i32_u32_e32 v1, v1
	v_min_u32_e32 v1, 32, v1
	s_delay_alu instid0(VALU_DEP_1) | instskip(NEXT) | instid1(VALU_DEP_1)
	v_subrev_nc_u32_e32 v19, 28, v1
	v_lshlrev_b64_e32 v[20:21], v19, v[6:7]
	s_delay_alu instid0(VALU_DEP_1)
	v_dual_sub_nc_u32 v19, 29, v1 :: v_dual_bitop2_b32 v1, 7, v20 bitop3:0x40
; %bb.571:                              ;   in Loop: Header=BB265_360 Depth=1
	s_or_b32 exec_lo, exec_lo, s17
	s_delay_alu instid0(VALU_DEP_1) | instskip(NEXT) | instid1(VALU_DEP_2)
	v_dual_lshlrev_b32 v6, 8, v18 :: v_dual_lshlrev_b32 v1, 23, v1
	v_lshl_add_u32 v18, v19, 10, 0x2000
	s_delay_alu instid0(VALU_DEP_1) | instskip(NEXT) | instid1(VALU_DEP_1)
	v_and_or_b32 v6, 0x8000, v6, v18
	v_lshl_or_b32 v1, v6, 16, v1
.LBB265_572:                            ;   in Loop: Header=BB265_360 Depth=1
	s_or_b32 exec_lo, exec_lo, s16
.LBB265_573:                            ;   in Loop: Header=BB265_360 Depth=1
	s_delay_alu instid0(SALU_CYCLE_1)
	s_or_b32 exec_lo, exec_lo, s15
.LBB265_574:                            ;   in Loop: Header=BB265_360 Depth=1
	s_delay_alu instid0(SALU_CYCLE_1) | instskip(SKIP_3) | instid1(VALU_DEP_2)
	s_or_b32 exec_lo, exec_lo, s14
	v_dual_lshrrev_b32 v6, 16, v16 :: v_dual_mov_b32 v18, 0
	v_mov_b32_e32 v19, 0
	s_mov_b32 s14, exec_lo
	v_and_b32_e32 v20, 0xff, v6
	s_delay_alu instid0(VALU_DEP_1)
	v_cmpx_ne_u16_e32 0, v20
	s_cbranch_execz .LBB265_582
; %bb.575:                              ;   in Loop: Header=BB265_360 Depth=1
	v_mov_b32_e32 v19, 0x8000
	s_mov_b32 s15, exec_lo
	v_cmpx_ne_u16_e32 0x80, v20
	s_cbranch_execz .LBB265_581
; %bb.576:                              ;   in Loop: Header=BB265_360 Depth=1
	v_bfe_u32 v21, v16, 16, 7
	v_mov_b32_e32 v19, 0x7c01
	s_mov_b32 s16, exec_lo
	s_delay_alu instid0(VALU_DEP_2)
	v_cmpx_ne_u32_e32 0x7f, v21
	s_cbranch_execz .LBB265_580
; %bb.577:                              ;   in Loop: Header=BB265_360 Depth=1
	v_dual_lshrrev_b32 v20, 3, v21 :: v_dual_bitop2_b32 v19, 7, v6 bitop3:0x40
	s_mov_b32 s17, exec_lo
	v_cmpx_gt_u32_e32 8, v21
; %bb.578:                              ;   in Loop: Header=BB265_360 Depth=1
	s_delay_alu instid0(VALU_DEP_2) | instskip(NEXT) | instid1(VALU_DEP_1)
	v_clz_i32_u32_e32 v19, v19
	v_min_u32_e32 v19, 32, v19
	s_delay_alu instid0(VALU_DEP_1) | instskip(NEXT) | instid1(VALU_DEP_1)
	v_subrev_nc_u32_e32 v20, 28, v19
	v_lshlrev_b64_e32 v[22:23], v20, v[6:7]
	s_delay_alu instid0(VALU_DEP_1)
	v_dual_sub_nc_u32 v20, 29, v19 :: v_dual_bitop2_b32 v19, 7, v22 bitop3:0x40
; %bb.579:                              ;   in Loop: Header=BB265_360 Depth=1
	s_or_b32 exec_lo, exec_lo, s17
	s_delay_alu instid0(VALU_DEP_1) | instskip(NEXT) | instid1(VALU_DEP_2)
	v_dual_lshlrev_b32 v6, 8, v6 :: v_dual_lshlrev_b32 v19, 7, v19
	v_lshl_add_u32 v20, v20, 10, 0x2000
	s_delay_alu instid0(VALU_DEP_2) | instskip(NEXT) | instid1(VALU_DEP_2)
	v_and_b32_e32 v6, 0x8000, v6
	v_and_b32_e32 v20, 0xfc00, v20
	s_delay_alu instid0(VALU_DEP_1)
	v_or3_b32 v19, v6, v20, v19
.LBB265_580:                            ;   in Loop: Header=BB265_360 Depth=1
	s_or_b32 exec_lo, exec_lo, s16
.LBB265_581:                            ;   in Loop: Header=BB265_360 Depth=1
	s_delay_alu instid0(SALU_CYCLE_1)
	s_or_b32 exec_lo, exec_lo, s15
.LBB265_582:                            ;   in Loop: Header=BB265_360 Depth=1
	s_delay_alu instid0(SALU_CYCLE_1) | instskip(NEXT) | instid1(SALU_CYCLE_1)
	s_or_b32 exec_lo, exec_lo, s14
	s_mov_b32 s14, exec_lo
	v_cmpx_lt_u32_e32 0xffffff, v16
	s_cbranch_execz .LBB265_590
; %bb.583:                              ;   in Loop: Header=BB265_360 Depth=1
	v_lshrrev_b32_e32 v6, 24, v16
	v_bfrev_b32_e32 v18, 1
	s_mov_b32 s15, exec_lo
	s_delay_alu instid0(VALU_DEP_2)
	v_cmpx_ne_u32_e32 0x80, v6
	s_cbranch_execz .LBB265_589
; %bb.584:                              ;   in Loop: Header=BB265_360 Depth=1
	v_and_b32_e32 v21, 0x7f, v6
	v_mov_b32_e32 v18, 0x7c010000
	s_mov_b32 s16, exec_lo
	s_delay_alu instid0(VALU_DEP_2)
	v_cmpx_ne_u32_e32 0x7f, v21
	s_cbranch_execz .LBB265_588
; %bb.585:                              ;   in Loop: Header=BB265_360 Depth=1
	v_dual_lshrrev_b32 v20, 3, v21 :: v_dual_bitop2_b32 v18, 7, v6 bitop3:0x40
	s_mov_b32 s17, exec_lo
	v_cmpx_gt_u32_e32 8, v21
; %bb.586:                              ;   in Loop: Header=BB265_360 Depth=1
	s_delay_alu instid0(VALU_DEP_2) | instskip(NEXT) | instid1(VALU_DEP_1)
	v_clz_i32_u32_e32 v18, v18
	v_min_u32_e32 v18, 32, v18
	s_delay_alu instid0(VALU_DEP_1) | instskip(NEXT) | instid1(VALU_DEP_1)
	v_subrev_nc_u32_e32 v20, 28, v18
	v_lshlrev_b64_e32 v[22:23], v20, v[6:7]
	v_sub_nc_u32_e32 v20, 29, v18
	s_delay_alu instid0(VALU_DEP_2)
	v_and_b32_e32 v18, 7, v22
; %bb.587:                              ;   in Loop: Header=BB265_360 Depth=1
	s_or_b32 exec_lo, exec_lo, s17
	v_lshlrev_b32_e32 v6, 8, v6
	s_delay_alu instid0(VALU_DEP_3) | instskip(NEXT) | instid1(VALU_DEP_3)
	v_lshl_add_u32 v20, v20, 10, 0x2000
	v_lshlrev_b32_e32 v18, 23, v18
	s_delay_alu instid0(VALU_DEP_2) | instskip(NEXT) | instid1(VALU_DEP_1)
	v_and_or_b32 v6, 0x8000, v6, v20
	v_lshl_or_b32 v18, v6, 16, v18
.LBB265_588:                            ;   in Loop: Header=BB265_360 Depth=1
	s_or_b32 exec_lo, exec_lo, s16
.LBB265_589:                            ;   in Loop: Header=BB265_360 Depth=1
	s_delay_alu instid0(SALU_CYCLE_1)
	s_or_b32 exec_lo, exec_lo, s15
.LBB265_590:                            ;   in Loop: Header=BB265_360 Depth=1
	s_delay_alu instid0(SALU_CYCLE_1) | instskip(SKIP_4) | instid1(VALU_DEP_3)
	s_or_b32 exec_lo, exec_lo, s14
	v_and_b32_e32 v22, 0xff, v17
	v_dual_mov_b32 v6, v17 :: v_dual_mov_b32 v21, 0
	v_mov_b32_e32 v20, 0
	s_mov_b32 s14, exec_lo
	v_cmpx_ne_u16_e32 0, v22
	s_cbranch_execz .LBB265_598
; %bb.591:                              ;   in Loop: Header=BB265_360 Depth=1
	v_mov_b32_e32 v20, 0x8000
	s_mov_b32 s15, exec_lo
	v_cmpx_ne_u16_e32 0x80, v22
	s_cbranch_execz .LBB265_597
; %bb.592:                              ;   in Loop: Header=BB265_360 Depth=1
	v_and_b32_e32 v23, 0x7f, v17
	v_mov_b32_e32 v20, 0x7c01
	s_mov_b32 s16, exec_lo
	s_delay_alu instid0(VALU_DEP_2)
	v_cmpx_ne_u32_e32 0x7f, v23
	s_cbranch_execz .LBB265_596
; %bb.593:                              ;   in Loop: Header=BB265_360 Depth=1
	v_dual_lshrrev_b32 v22, 3, v23 :: v_dual_bitop2_b32 v20, 7, v17 bitop3:0x40
	s_mov_b32 s17, exec_lo
	v_cmpx_gt_u32_e32 8, v23
; %bb.594:                              ;   in Loop: Header=BB265_360 Depth=1
	s_delay_alu instid0(VALU_DEP_2) | instskip(NEXT) | instid1(VALU_DEP_1)
	v_clz_i32_u32_e32 v20, v20
	v_min_u32_e32 v20, 32, v20
	s_delay_alu instid0(VALU_DEP_1) | instskip(NEXT) | instid1(VALU_DEP_1)
	v_subrev_nc_u32_e32 v22, 28, v20
	v_lshlrev_b64_e32 v[40:41], v22, v[6:7]
	v_sub_nc_u32_e32 v22, 29, v20
	s_delay_alu instid0(VALU_DEP_2)
	v_and_b32_e32 v20, 7, v40
; %bb.595:                              ;   in Loop: Header=BB265_360 Depth=1
	s_or_b32 exec_lo, exec_lo, s17
	s_delay_alu instid0(VALU_DEP_1) | instskip(NEXT) | instid1(VALU_DEP_3)
	v_dual_lshlrev_b32 v23, 8, v17 :: v_dual_lshlrev_b32 v20, 7, v20
	v_lshl_add_u32 v22, v22, 10, 0x2000
	s_delay_alu instid0(VALU_DEP_2) | instskip(NEXT) | instid1(VALU_DEP_2)
	v_and_b32_e32 v23, 0x8000, v23
	v_and_b32_e32 v22, 0xfc00, v22
	s_delay_alu instid0(VALU_DEP_1)
	v_or3_b32 v20, v23, v22, v20
.LBB265_596:                            ;   in Loop: Header=BB265_360 Depth=1
	s_or_b32 exec_lo, exec_lo, s16
.LBB265_597:                            ;   in Loop: Header=BB265_360 Depth=1
	s_delay_alu instid0(SALU_CYCLE_1)
	s_or_b32 exec_lo, exec_lo, s15
.LBB265_598:                            ;   in Loop: Header=BB265_360 Depth=1
	s_delay_alu instid0(SALU_CYCLE_1) | instskip(SKIP_3) | instid1(VALU_DEP_2)
	s_or_b32 exec_lo, exec_lo, s14
	v_lshrrev_b16 v6, 8, v6
	v_mov_b32_e32 v22, 0
	s_mov_b32 s14, exec_lo
	v_cmpx_ne_u16_e32 0, v6
	s_cbranch_execz .LBB265_606
; %bb.599:                              ;   in Loop: Header=BB265_360 Depth=1
	v_bfrev_b32_e32 v22, 1
	s_mov_b32 s15, exec_lo
	v_cmpx_ne_u16_e32 0x80, v6
	s_cbranch_execz .LBB265_605
; %bb.600:                              ;   in Loop: Header=BB265_360 Depth=1
	v_and_b32_e32 v23, 0xffff, v6
	v_mov_b32_e32 v22, 0x7c010000
	s_mov_b32 s16, exec_lo
	s_delay_alu instid0(VALU_DEP_2) | instskip(NEXT) | instid1(VALU_DEP_1)
	v_and_b32_e32 v41, 0x7f, v23
	v_cmpx_ne_u32_e32 0x7f, v41
	s_cbranch_execz .LBB265_604
; %bb.601:                              ;   in Loop: Header=BB265_360 Depth=1
	v_dual_lshrrev_b32 v40, 3, v41 :: v_dual_bitop2_b32 v22, 7, v23 bitop3:0x40
	s_mov_b32 s17, exec_lo
	v_cmpx_gt_u32_e32 8, v41
; %bb.602:                              ;   in Loop: Header=BB265_360 Depth=1
	s_delay_alu instid0(VALU_DEP_2) | instskip(NEXT) | instid1(VALU_DEP_1)
	v_clz_i32_u32_e32 v22, v22
	v_min_u32_e32 v22, 32, v22
	s_delay_alu instid0(VALU_DEP_1) | instskip(NEXT) | instid1(VALU_DEP_1)
	v_subrev_nc_u32_e32 v40, 28, v22
	v_lshlrev_b64_e32 v[52:53], v40, v[6:7]
	s_delay_alu instid0(VALU_DEP_1)
	v_dual_sub_nc_u32 v40, 29, v22 :: v_dual_bitop2_b32 v22, 7, v52 bitop3:0x40
; %bb.603:                              ;   in Loop: Header=BB265_360 Depth=1
	s_or_b32 exec_lo, exec_lo, s17
	s_delay_alu instid0(VALU_DEP_1) | instskip(NEXT) | instid1(VALU_DEP_2)
	v_dual_lshlrev_b32 v6, 8, v23 :: v_dual_lshlrev_b32 v22, 23, v22
	v_lshl_add_u32 v23, v40, 10, 0x2000
	s_delay_alu instid0(VALU_DEP_1) | instskip(NEXT) | instid1(VALU_DEP_1)
	v_and_or_b32 v6, 0x8000, v6, v23
	v_lshl_or_b32 v22, v6, 16, v22
.LBB265_604:                            ;   in Loop: Header=BB265_360 Depth=1
	s_or_b32 exec_lo, exec_lo, s16
.LBB265_605:                            ;   in Loop: Header=BB265_360 Depth=1
	s_delay_alu instid0(SALU_CYCLE_1)
	s_or_b32 exec_lo, exec_lo, s15
.LBB265_606:                            ;   in Loop: Header=BB265_360 Depth=1
	s_delay_alu instid0(SALU_CYCLE_1) | instskip(SKIP_2) | instid1(VALU_DEP_1)
	s_or_b32 exec_lo, exec_lo, s14
	v_lshrrev_b32_e32 v6, 16, v17
	s_mov_b32 s14, exec_lo
	v_and_b32_e32 v23, 0xff, v6
	s_delay_alu instid0(VALU_DEP_1)
	v_cmpx_ne_u16_e32 0, v23
	s_cbranch_execz .LBB265_614
; %bb.607:                              ;   in Loop: Header=BB265_360 Depth=1
	v_mov_b32_e32 v21, 0x8000
	s_mov_b32 s15, exec_lo
	v_cmpx_ne_u16_e32 0x80, v23
	s_cbranch_execz .LBB265_613
; %bb.608:                              ;   in Loop: Header=BB265_360 Depth=1
	v_bfe_u32 v40, v17, 16, 7
	v_mov_b32_e32 v21, 0x7c01
	s_mov_b32 s16, exec_lo
	s_delay_alu instid0(VALU_DEP_2)
	v_cmpx_ne_u32_e32 0x7f, v40
	s_cbranch_execz .LBB265_612
; %bb.609:                              ;   in Loop: Header=BB265_360 Depth=1
	v_dual_lshrrev_b32 v23, 3, v40 :: v_dual_bitop2_b32 v21, 7, v6 bitop3:0x40
	s_mov_b32 s17, exec_lo
	v_cmpx_gt_u32_e32 8, v40
; %bb.610:                              ;   in Loop: Header=BB265_360 Depth=1
	s_delay_alu instid0(VALU_DEP_2) | instskip(NEXT) | instid1(VALU_DEP_1)
	v_clz_i32_u32_e32 v21, v21
	v_min_u32_e32 v21, 32, v21
	s_delay_alu instid0(VALU_DEP_1) | instskip(NEXT) | instid1(VALU_DEP_1)
	v_subrev_nc_u32_e32 v23, 28, v21
	v_lshlrev_b64_e32 v[40:41], v23, v[6:7]
	s_delay_alu instid0(VALU_DEP_1)
	v_dual_sub_nc_u32 v23, 29, v21 :: v_dual_bitop2_b32 v21, 7, v40 bitop3:0x40
; %bb.611:                              ;   in Loop: Header=BB265_360 Depth=1
	s_or_b32 exec_lo, exec_lo, s17
	s_delay_alu instid0(VALU_DEP_1) | instskip(NEXT) | instid1(VALU_DEP_2)
	v_dual_lshlrev_b32 v6, 8, v6 :: v_dual_lshlrev_b32 v21, 7, v21
	v_lshl_add_u32 v23, v23, 10, 0x2000
	s_delay_alu instid0(VALU_DEP_2) | instskip(NEXT) | instid1(VALU_DEP_2)
	v_and_b32_e32 v6, 0x8000, v6
	v_and_b32_e32 v23, 0xfc00, v23
	s_delay_alu instid0(VALU_DEP_1)
	v_or3_b32 v21, v6, v23, v21
.LBB265_612:                            ;   in Loop: Header=BB265_360 Depth=1
	s_or_b32 exec_lo, exec_lo, s16
.LBB265_613:                            ;   in Loop: Header=BB265_360 Depth=1
	s_delay_alu instid0(SALU_CYCLE_1)
	s_or_b32 exec_lo, exec_lo, s15
.LBB265_614:                            ;   in Loop: Header=BB265_360 Depth=1
	s_delay_alu instid0(SALU_CYCLE_1)
	s_or_b32 exec_lo, exec_lo, s14
	v_cmp_lt_u64_e64 s0, s[2:3], v[16:17]
	v_mov_b32_e32 v16, 0
	s_and_saveexec_b32 s14, s0
	s_cbranch_execz .LBB265_622
; %bb.615:                              ;   in Loop: Header=BB265_360 Depth=1
	v_lshrrev_b32_e32 v6, 24, v17
	v_bfrev_b32_e32 v16, 1
	s_mov_b32 s15, exec_lo
	s_delay_alu instid0(VALU_DEP_2)
	v_cmpx_ne_u32_e32 0x80, v6
	s_cbranch_execz .LBB265_621
; %bb.616:                              ;   in Loop: Header=BB265_360 Depth=1
	v_and_b32_e32 v23, 0x7f, v6
	v_mov_b32_e32 v16, 0x7c010000
	s_mov_b32 s16, exec_lo
	s_delay_alu instid0(VALU_DEP_2)
	v_cmpx_ne_u32_e32 0x7f, v23
	s_cbranch_execz .LBB265_620
; %bb.617:                              ;   in Loop: Header=BB265_360 Depth=1
	v_dual_lshrrev_b32 v17, 3, v23 :: v_dual_bitop2_b32 v16, 7, v6 bitop3:0x40
	s_mov_b32 s17, exec_lo
	v_cmpx_gt_u32_e32 8, v23
; %bb.618:                              ;   in Loop: Header=BB265_360 Depth=1
	s_delay_alu instid0(VALU_DEP_2) | instskip(NEXT) | instid1(VALU_DEP_1)
	v_clz_i32_u32_e32 v16, v16
	v_min_u32_e32 v23, 32, v16
	s_delay_alu instid0(VALU_DEP_1) | instskip(NEXT) | instid1(VALU_DEP_1)
	v_subrev_nc_u32_e32 v16, 28, v23
	v_lshlrev_b64_e32 v[16:17], v16, v[6:7]
	s_delay_alu instid0(VALU_DEP_1)
	v_dual_sub_nc_u32 v17, 29, v23 :: v_dual_bitop2_b32 v16, 7, v16 bitop3:0x40
; %bb.619:                              ;   in Loop: Header=BB265_360 Depth=1
	s_or_b32 exec_lo, exec_lo, s17
	s_delay_alu instid0(VALU_DEP_1) | instskip(NEXT) | instid1(VALU_DEP_2)
	v_dual_lshlrev_b32 v6, 8, v6 :: v_dual_lshlrev_b32 v16, 23, v16
	v_lshl_add_u32 v17, v17, 10, 0x2000
	s_delay_alu instid0(VALU_DEP_1) | instskip(NEXT) | instid1(VALU_DEP_1)
	v_and_or_b32 v6, 0x8000, v6, v17
	v_lshl_or_b32 v16, v6, 16, v16
.LBB265_620:                            ;   in Loop: Header=BB265_360 Depth=1
	s_or_b32 exec_lo, exec_lo, s16
.LBB265_621:                            ;   in Loop: Header=BB265_360 Depth=1
	s_delay_alu instid0(SALU_CYCLE_1)
	s_or_b32 exec_lo, exec_lo, s15
.LBB265_622:                            ;   in Loop: Header=BB265_360 Depth=1
	s_delay_alu instid0(SALU_CYCLE_1) | instskip(SKIP_3) | instid1(VALU_DEP_3)
	s_or_b32 exec_lo, exec_lo, s14
	v_dual_lshrrev_b32 v6, 16, v1 :: v_dual_lshrrev_b32 v17, 16, v18
	v_or_b32_e32 v1, v1, v15
	v_dual_lshrrev_b32 v23, 16, v16 :: v_dual_bitop2_b32 v15, v18, v19 bitop3:0x54
	v_cvt_f32_f16_e32 v19, v6
	s_delay_alu instid0(VALU_DEP_4) | instskip(SKIP_1) | instid1(VALU_DEP_4)
	v_cvt_f32_f16_e32 v18, v17
	v_dual_lshrrev_b32 v21, 16, v22 :: v_dual_bitop2_b32 v6, v16, v21 bitop3:0x54
	v_cvt_f32_f16_e32 v16, v15
	v_cvt_f32_f16_e32 v17, v1
	s_wait_loadcnt 0x0
	v_pk_mul_f32 v[18:19], v[14:15], v[18:19] op_sel_hi:[0,1]
	v_cvt_f32_f16_e32 v21, v21
	s_delay_alu instid0(VALU_DEP_2) | instskip(SKIP_3) | instid1(VALU_DEP_3)
	v_cvt_pk_f16_f32 v1, v18, v19
	v_or_b32_e32 v15, v22, v20
	v_cvt_f32_f16_e32 v20, v23
	v_cvt_f32_f16_e32 v22, v6
	v_pk_mul_f32 v[16:17], v[14:15], v[16:17] op_sel_hi:[0,1]
	s_delay_alu instid0(VALU_DEP_1) | instskip(SKIP_4) | instid1(VALU_DEP_3)
	v_cvt_pk_f16_f32 v6, v16, v17
	v_lshlrev_b32_e32 v16, 16, v1
	v_cvt_f32_f16_e32 v23, v15
	v_pk_mul_f32 v[18:19], v[14:15], v[20:21] op_sel_hi:[0,1]
	v_and_b32_e32 v17, 0xffff0000, v1
	v_pk_mul_f32 v[14:15], v[14:15], v[22:23] op_sel_hi:[0,1]
	s_delay_alu instid0(VALU_DEP_3) | instskip(SKIP_1) | instid1(VALU_DEP_3)
	v_cvt_pk_f16_f32 v18, v18, v19
	v_and_b32_e32 v22, 0xffff, v6
	v_cvt_pk_f16_f32 v14, v14, v15
	s_delay_alu instid0(VALU_DEP_3) | instskip(NEXT) | instid1(VALU_DEP_3)
	v_and_b32_e32 v1, 0xffff0000, v18
	v_or_b32_e32 v20, v16, v22
	s_delay_alu instid0(VALU_DEP_3) | instskip(SKIP_2) | instid1(VALU_DEP_3)
	v_lshrrev_b32_e32 v15, 16, v14
	v_lshrrev_b32_e32 v23, 16, v6
	v_and_b32_e32 v14, 0xffff, v14
	v_dual_lshlrev_b32 v6, 16, v18 :: v_dual_bitop2_b32 v19, v1, v15 bitop3:0x54
	s_delay_alu instid0(VALU_DEP_3) | instskip(NEXT) | instid1(VALU_DEP_2)
	v_or_b32_e32 v21, v17, v23
	v_or_b32_e32 v18, v6, v14
	s_and_saveexec_b32 s14, vcc_lo
	s_cbranch_execz .LBB265_624
; %bb.623:                              ;   in Loop: Header=BB265_360 Depth=1
	v_cmp_gt_i32_e64 s0, s9, v30
	s_delay_alu instid0(VALU_DEP_1) | instskip(SKIP_1) | instid1(VALU_DEP_1)
	v_cndmask_b32_e64 v18, 0, v23, s0
	v_cmp_gt_i32_e64 s0, s23, v39
	v_cndmask_b32_e64 v19, 0, v22, s0
	v_cmp_gt_i32_e64 s0, s9, v38
	s_delay_alu instid0(VALU_DEP_1) | instskip(SKIP_1) | instid1(VALU_DEP_1)
	v_cndmask_b32_e64 v17, 0, v17, s0
	v_cmp_gt_i32_e64 s0, s23, v37
	v_cndmask_b32_e64 v16, 0, v16, s0
	v_cmp_gt_i32_e64 s0, s9, v36
	s_delay_alu instid0(VALU_DEP_4) | instskip(NEXT) | instid1(VALU_DEP_3)
	v_or_b32_e32 v21, v17, v18
	v_or_b32_e32 v20, v16, v19
	s_delay_alu instid0(VALU_DEP_3) | instskip(SKIP_1) | instid1(VALU_DEP_1)
	v_cndmask_b32_e64 v15, 0, v15, s0
	v_cmp_gt_i32_e64 s0, s23, v35
	v_cndmask_b32_e64 v14, 0, v14, s0
	v_cmp_gt_i32_e64 s0, s9, v34
	s_delay_alu instid0(VALU_DEP_1) | instskip(SKIP_1) | instid1(VALU_DEP_1)
	v_cndmask_b32_e64 v1, 0, v1, s0
	v_cmp_gt_i32_e64 s0, s23, v33
	v_dual_cndmask_b32 v6, 0, v6, s0 :: v_dual_bitop2_b32 v19, v1, v15 bitop3:0x54
	s_delay_alu instid0(VALU_DEP_1)
	v_or_b32_e32 v18, v6, v14
.LBB265_624:                            ;   in Loop: Header=BB265_360 Depth=1
	s_or_b32 exec_lo, exec_lo, s14
	;;#ASMSTART
	v_pk_mul_f16 v1, v45, v21;

	;;#ASMEND
	;;#ASMSTART
	v_pk_mul_f16 v6, v44, v20;

	;;#ASMEND
	;;#ASMSTART
	v_pk_mul_f16 v14, v43, v19;

	;;#ASMEND
	;;#ASMSTART
	v_pk_mul_f16 v15, v42, v18;

	;;#ASMEND
	;;#ASMSTART
	v_pk_add_f16 v1, v1, v6;

	;;#ASMEND
	;;#ASMSTART
	v_pk_add_f16 v1, v1, v14;

	;;#ASMEND
	;; [unrolled: 4-line block ×3, first 2 shown]
	v_and_b32_e32 v6, 0xffff, v1
	v_lshrrev_b32_e32 v1, 16, v1
	;;#ASMSTART
	v_cvt_f32_f16 v40, v6;
	;;#ASMEND
	;;#ASMSTART
	v_cvt_f32_f16 v41, v1;
	;;#ASMEND
	global_load_b64 v[14:15], v[12:13], off offset:1024
	s_wait_xcnt 0x0
	v_dual_mov_b32 v1, 0 :: v_dual_mov_b32 v13, 0
	s_mov_b32 s14, exec_lo
	global_load_b32 v12, v1, s[10:11]
	s_wait_loadcnt 0x1
	v_and_b32_e32 v6, 0xff, v14
	s_wait_xcnt 0x0
	s_delay_alu instid0(VALU_DEP_1)
	v_cmpx_ne_u16_e32 0, v6
	s_cbranch_execz .LBB265_632
; %bb.625:                              ;   in Loop: Header=BB265_360 Depth=1
	v_mov_b32_e32 v13, 0x8000
	s_mov_b32 s15, exec_lo
	v_cmpx_ne_u16_e32 0x80, v6
	s_cbranch_execz .LBB265_631
; %bb.626:                              ;   in Loop: Header=BB265_360 Depth=1
	v_and_b32_e32 v16, 0x7f, v14
	v_mov_b32_e32 v13, 0x7c01
	s_mov_b32 s16, exec_lo
	s_delay_alu instid0(VALU_DEP_2)
	v_cmpx_ne_u32_e32 0x7f, v16
	s_cbranch_execz .LBB265_630
; %bb.627:                              ;   in Loop: Header=BB265_360 Depth=1
	v_dual_lshrrev_b32 v13, 3, v16 :: v_dual_bitop2_b32 v6, 7, v14 bitop3:0x40
	s_mov_b32 s17, exec_lo
	v_cmpx_gt_u32_e32 8, v16
; %bb.628:                              ;   in Loop: Header=BB265_360 Depth=1
	s_delay_alu instid0(VALU_DEP_2) | instskip(NEXT) | instid1(VALU_DEP_1)
	v_clz_i32_u32_e32 v6, v6
	v_min_u32_e32 v6, 32, v6
	s_delay_alu instid0(VALU_DEP_1) | instskip(NEXT) | instid1(VALU_DEP_1)
	v_subrev_nc_u32_e32 v13, 28, v6
	v_lshlrev_b64_e32 v[16:17], v13, v[14:15]
	s_delay_alu instid0(VALU_DEP_1)
	v_dual_sub_nc_u32 v13, 29, v6 :: v_dual_bitop2_b32 v6, 7, v16 bitop3:0x40
; %bb.629:                              ;   in Loop: Header=BB265_360 Depth=1
	s_or_b32 exec_lo, exec_lo, s17
	v_lshlrev_b32_e32 v16, 8, v14
	s_delay_alu instid0(VALU_DEP_2) | instskip(NEXT) | instid1(VALU_DEP_3)
	v_lshl_add_u32 v13, v13, 10, 0x2000
	v_lshlrev_b32_e32 v6, 7, v6
	s_delay_alu instid0(VALU_DEP_3) | instskip(NEXT) | instid1(VALU_DEP_3)
	v_and_b32_e32 v16, 0x8000, v16
	v_and_b32_e32 v13, 0xfc00, v13
	s_delay_alu instid0(VALU_DEP_1)
	v_or3_b32 v13, v16, v13, v6
.LBB265_630:                            ;   in Loop: Header=BB265_360 Depth=1
	s_or_b32 exec_lo, exec_lo, s16
.LBB265_631:                            ;   in Loop: Header=BB265_360 Depth=1
	s_delay_alu instid0(SALU_CYCLE_1)
	s_or_b32 exec_lo, exec_lo, s15
.LBB265_632:                            ;   in Loop: Header=BB265_360 Depth=1
	s_delay_alu instid0(SALU_CYCLE_1) | instskip(SKIP_2) | instid1(VALU_DEP_1)
	s_or_b32 exec_lo, exec_lo, s14
	v_lshrrev_b16 v6, 8, v14
	s_mov_b32 s14, exec_lo
	v_cmpx_ne_u16_e32 0, v6
	s_cbranch_execz .LBB265_640
; %bb.633:                              ;   in Loop: Header=BB265_360 Depth=1
	v_bfrev_b32_e32 v1, 1
	s_mov_b32 s15, exec_lo
	v_cmpx_ne_u16_e32 0x80, v6
	s_cbranch_execz .LBB265_639
; %bb.634:                              ;   in Loop: Header=BB265_360 Depth=1
	v_and_b32_e32 v16, 0xffff, v6
	v_mov_b32_e32 v1, 0x7c010000
	s_mov_b32 s16, exec_lo
	s_delay_alu instid0(VALU_DEP_2) | instskip(NEXT) | instid1(VALU_DEP_1)
	v_and_b32_e32 v18, 0x7f, v16
	v_cmpx_ne_u32_e32 0x7f, v18
	s_cbranch_execz .LBB265_638
; %bb.635:                              ;   in Loop: Header=BB265_360 Depth=1
	v_dual_lshrrev_b32 v17, 3, v18 :: v_dual_bitop2_b32 v1, 7, v16 bitop3:0x40
	s_mov_b32 s17, exec_lo
	v_cmpx_gt_u32_e32 8, v18
; %bb.636:                              ;   in Loop: Header=BB265_360 Depth=1
	s_delay_alu instid0(VALU_DEP_2) | instskip(NEXT) | instid1(VALU_DEP_1)
	v_clz_i32_u32_e32 v1, v1
	v_min_u32_e32 v1, 32, v1
	s_delay_alu instid0(VALU_DEP_1) | instskip(NEXT) | instid1(VALU_DEP_1)
	v_subrev_nc_u32_e32 v17, 28, v1
	v_lshlrev_b64_e32 v[18:19], v17, v[6:7]
	s_delay_alu instid0(VALU_DEP_1)
	v_dual_sub_nc_u32 v17, 29, v1 :: v_dual_bitop2_b32 v1, 7, v18 bitop3:0x40
; %bb.637:                              ;   in Loop: Header=BB265_360 Depth=1
	s_or_b32 exec_lo, exec_lo, s17
	s_delay_alu instid0(VALU_DEP_1) | instskip(NEXT) | instid1(VALU_DEP_2)
	v_dual_lshlrev_b32 v6, 8, v16 :: v_dual_lshlrev_b32 v1, 23, v1
	v_lshl_add_u32 v16, v17, 10, 0x2000
	s_delay_alu instid0(VALU_DEP_1) | instskip(NEXT) | instid1(VALU_DEP_1)
	v_and_or_b32 v6, 0x8000, v6, v16
	v_lshl_or_b32 v1, v6, 16, v1
.LBB265_638:                            ;   in Loop: Header=BB265_360 Depth=1
	s_or_b32 exec_lo, exec_lo, s16
.LBB265_639:                            ;   in Loop: Header=BB265_360 Depth=1
	s_delay_alu instid0(SALU_CYCLE_1)
	s_or_b32 exec_lo, exec_lo, s15
.LBB265_640:                            ;   in Loop: Header=BB265_360 Depth=1
	s_delay_alu instid0(SALU_CYCLE_1) | instskip(SKIP_3) | instid1(VALU_DEP_2)
	s_or_b32 exec_lo, exec_lo, s14
	v_dual_lshrrev_b32 v6, 16, v14 :: v_dual_mov_b32 v16, 0
	v_mov_b32_e32 v17, 0
	s_mov_b32 s14, exec_lo
	v_and_b32_e32 v18, 0xff, v6
	s_delay_alu instid0(VALU_DEP_1)
	v_cmpx_ne_u16_e32 0, v18
	s_cbranch_execz .LBB265_648
; %bb.641:                              ;   in Loop: Header=BB265_360 Depth=1
	v_mov_b32_e32 v17, 0x8000
	s_mov_b32 s15, exec_lo
	v_cmpx_ne_u16_e32 0x80, v18
	s_cbranch_execz .LBB265_647
; %bb.642:                              ;   in Loop: Header=BB265_360 Depth=1
	v_bfe_u32 v19, v14, 16, 7
	v_mov_b32_e32 v17, 0x7c01
	s_mov_b32 s16, exec_lo
	s_delay_alu instid0(VALU_DEP_2)
	v_cmpx_ne_u32_e32 0x7f, v19
	s_cbranch_execz .LBB265_646
; %bb.643:                              ;   in Loop: Header=BB265_360 Depth=1
	v_dual_lshrrev_b32 v18, 3, v19 :: v_dual_bitop2_b32 v17, 7, v6 bitop3:0x40
	s_mov_b32 s17, exec_lo
	v_cmpx_gt_u32_e32 8, v19
; %bb.644:                              ;   in Loop: Header=BB265_360 Depth=1
	s_delay_alu instid0(VALU_DEP_2) | instskip(NEXT) | instid1(VALU_DEP_1)
	v_clz_i32_u32_e32 v17, v17
	v_min_u32_e32 v17, 32, v17
	s_delay_alu instid0(VALU_DEP_1) | instskip(NEXT) | instid1(VALU_DEP_1)
	v_subrev_nc_u32_e32 v18, 28, v17
	v_lshlrev_b64_e32 v[20:21], v18, v[6:7]
	s_delay_alu instid0(VALU_DEP_1)
	v_dual_sub_nc_u32 v18, 29, v17 :: v_dual_bitop2_b32 v17, 7, v20 bitop3:0x40
; %bb.645:                              ;   in Loop: Header=BB265_360 Depth=1
	s_or_b32 exec_lo, exec_lo, s17
	s_delay_alu instid0(VALU_DEP_1) | instskip(NEXT) | instid1(VALU_DEP_2)
	v_dual_lshlrev_b32 v6, 8, v6 :: v_dual_lshlrev_b32 v17, 7, v17
	v_lshl_add_u32 v18, v18, 10, 0x2000
	s_delay_alu instid0(VALU_DEP_2) | instskip(NEXT) | instid1(VALU_DEP_2)
	v_and_b32_e32 v6, 0x8000, v6
	v_and_b32_e32 v18, 0xfc00, v18
	s_delay_alu instid0(VALU_DEP_1)
	v_or3_b32 v17, v6, v18, v17
.LBB265_646:                            ;   in Loop: Header=BB265_360 Depth=1
	s_or_b32 exec_lo, exec_lo, s16
.LBB265_647:                            ;   in Loop: Header=BB265_360 Depth=1
	s_delay_alu instid0(SALU_CYCLE_1)
	s_or_b32 exec_lo, exec_lo, s15
.LBB265_648:                            ;   in Loop: Header=BB265_360 Depth=1
	s_delay_alu instid0(SALU_CYCLE_1) | instskip(NEXT) | instid1(SALU_CYCLE_1)
	s_or_b32 exec_lo, exec_lo, s14
	s_mov_b32 s14, exec_lo
	v_cmpx_lt_u32_e32 0xffffff, v14
	s_cbranch_execz .LBB265_656
; %bb.649:                              ;   in Loop: Header=BB265_360 Depth=1
	v_lshrrev_b32_e32 v6, 24, v14
	v_bfrev_b32_e32 v16, 1
	s_mov_b32 s15, exec_lo
	s_delay_alu instid0(VALU_DEP_2)
	v_cmpx_ne_u32_e32 0x80, v6
	s_cbranch_execz .LBB265_655
; %bb.650:                              ;   in Loop: Header=BB265_360 Depth=1
	v_and_b32_e32 v19, 0x7f, v6
	v_mov_b32_e32 v16, 0x7c010000
	s_mov_b32 s16, exec_lo
	s_delay_alu instid0(VALU_DEP_2)
	v_cmpx_ne_u32_e32 0x7f, v19
	s_cbranch_execz .LBB265_654
; %bb.651:                              ;   in Loop: Header=BB265_360 Depth=1
	v_dual_lshrrev_b32 v18, 3, v19 :: v_dual_bitop2_b32 v16, 7, v6 bitop3:0x40
	s_mov_b32 s17, exec_lo
	v_cmpx_gt_u32_e32 8, v19
; %bb.652:                              ;   in Loop: Header=BB265_360 Depth=1
	s_delay_alu instid0(VALU_DEP_2) | instskip(NEXT) | instid1(VALU_DEP_1)
	v_clz_i32_u32_e32 v16, v16
	v_min_u32_e32 v16, 32, v16
	s_delay_alu instid0(VALU_DEP_1) | instskip(NEXT) | instid1(VALU_DEP_1)
	v_subrev_nc_u32_e32 v18, 28, v16
	v_lshlrev_b64_e32 v[20:21], v18, v[6:7]
	v_sub_nc_u32_e32 v18, 29, v16
	s_delay_alu instid0(VALU_DEP_2)
	v_and_b32_e32 v16, 7, v20
; %bb.653:                              ;   in Loop: Header=BB265_360 Depth=1
	s_or_b32 exec_lo, exec_lo, s17
	s_delay_alu instid0(VALU_DEP_1) | instskip(NEXT) | instid1(VALU_DEP_3)
	v_dual_lshlrev_b32 v6, 8, v6 :: v_dual_lshlrev_b32 v16, 23, v16
	v_lshl_add_u32 v18, v18, 10, 0x2000
	s_delay_alu instid0(VALU_DEP_1) | instskip(NEXT) | instid1(VALU_DEP_1)
	v_and_or_b32 v6, 0x8000, v6, v18
	v_lshl_or_b32 v16, v6, 16, v16
.LBB265_654:                            ;   in Loop: Header=BB265_360 Depth=1
	s_or_b32 exec_lo, exec_lo, s16
.LBB265_655:                            ;   in Loop: Header=BB265_360 Depth=1
	s_delay_alu instid0(SALU_CYCLE_1)
	s_or_b32 exec_lo, exec_lo, s15
.LBB265_656:                            ;   in Loop: Header=BB265_360 Depth=1
	s_delay_alu instid0(SALU_CYCLE_1) | instskip(SKIP_4) | instid1(VALU_DEP_3)
	s_or_b32 exec_lo, exec_lo, s14
	v_and_b32_e32 v20, 0xff, v15
	v_dual_mov_b32 v6, v15 :: v_dual_mov_b32 v19, 0
	v_mov_b32_e32 v18, 0
	s_mov_b32 s14, exec_lo
	v_cmpx_ne_u16_e32 0, v20
	s_cbranch_execz .LBB265_664
; %bb.657:                              ;   in Loop: Header=BB265_360 Depth=1
	v_mov_b32_e32 v18, 0x8000
	s_mov_b32 s15, exec_lo
	v_cmpx_ne_u16_e32 0x80, v20
	s_cbranch_execz .LBB265_663
; %bb.658:                              ;   in Loop: Header=BB265_360 Depth=1
	v_and_b32_e32 v21, 0x7f, v15
	v_mov_b32_e32 v18, 0x7c01
	s_mov_b32 s16, exec_lo
	s_delay_alu instid0(VALU_DEP_2)
	v_cmpx_ne_u32_e32 0x7f, v21
	s_cbranch_execz .LBB265_662
; %bb.659:                              ;   in Loop: Header=BB265_360 Depth=1
	v_dual_lshrrev_b32 v20, 3, v21 :: v_dual_bitop2_b32 v18, 7, v15 bitop3:0x40
	s_mov_b32 s17, exec_lo
	v_cmpx_gt_u32_e32 8, v21
; %bb.660:                              ;   in Loop: Header=BB265_360 Depth=1
	s_delay_alu instid0(VALU_DEP_2) | instskip(NEXT) | instid1(VALU_DEP_1)
	v_clz_i32_u32_e32 v18, v18
	v_min_u32_e32 v18, 32, v18
	s_delay_alu instid0(VALU_DEP_1) | instskip(NEXT) | instid1(VALU_DEP_1)
	v_subrev_nc_u32_e32 v20, 28, v18
	v_lshlrev_b64_e32 v[22:23], v20, v[6:7]
	v_sub_nc_u32_e32 v20, 29, v18
	s_delay_alu instid0(VALU_DEP_2)
	v_and_b32_e32 v18, 7, v22
; %bb.661:                              ;   in Loop: Header=BB265_360 Depth=1
	s_or_b32 exec_lo, exec_lo, s17
	s_delay_alu instid0(VALU_DEP_1) | instskip(NEXT) | instid1(VALU_DEP_3)
	v_dual_lshlrev_b32 v21, 8, v15 :: v_dual_lshlrev_b32 v18, 7, v18
	v_lshl_add_u32 v20, v20, 10, 0x2000
	s_delay_alu instid0(VALU_DEP_2) | instskip(NEXT) | instid1(VALU_DEP_2)
	v_and_b32_e32 v21, 0x8000, v21
	v_and_b32_e32 v20, 0xfc00, v20
	s_delay_alu instid0(VALU_DEP_1)
	v_or3_b32 v18, v21, v20, v18
.LBB265_662:                            ;   in Loop: Header=BB265_360 Depth=1
	s_or_b32 exec_lo, exec_lo, s16
.LBB265_663:                            ;   in Loop: Header=BB265_360 Depth=1
	s_delay_alu instid0(SALU_CYCLE_1)
	s_or_b32 exec_lo, exec_lo, s15
.LBB265_664:                            ;   in Loop: Header=BB265_360 Depth=1
	s_delay_alu instid0(SALU_CYCLE_1) | instskip(SKIP_3) | instid1(VALU_DEP_2)
	s_or_b32 exec_lo, exec_lo, s14
	v_lshrrev_b16 v6, 8, v6
	v_mov_b32_e32 v20, 0
	s_mov_b32 s14, exec_lo
	v_cmpx_ne_u16_e32 0, v6
	s_cbranch_execz .LBB265_672
; %bb.665:                              ;   in Loop: Header=BB265_360 Depth=1
	v_bfrev_b32_e32 v20, 1
	s_mov_b32 s15, exec_lo
	v_cmpx_ne_u16_e32 0x80, v6
	s_cbranch_execz .LBB265_671
; %bb.666:                              ;   in Loop: Header=BB265_360 Depth=1
	v_and_b32_e32 v21, 0xffff, v6
	v_mov_b32_e32 v20, 0x7c010000
	s_mov_b32 s16, exec_lo
	s_delay_alu instid0(VALU_DEP_2) | instskip(NEXT) | instid1(VALU_DEP_1)
	v_and_b32_e32 v23, 0x7f, v21
	v_cmpx_ne_u32_e32 0x7f, v23
	s_cbranch_execz .LBB265_670
; %bb.667:                              ;   in Loop: Header=BB265_360 Depth=1
	v_dual_lshrrev_b32 v22, 3, v23 :: v_dual_bitop2_b32 v20, 7, v21 bitop3:0x40
	s_mov_b32 s17, exec_lo
	v_cmpx_gt_u32_e32 8, v23
; %bb.668:                              ;   in Loop: Header=BB265_360 Depth=1
	s_delay_alu instid0(VALU_DEP_2) | instskip(NEXT) | instid1(VALU_DEP_1)
	v_clz_i32_u32_e32 v20, v20
	v_min_u32_e32 v20, 32, v20
	s_delay_alu instid0(VALU_DEP_1) | instskip(NEXT) | instid1(VALU_DEP_1)
	v_subrev_nc_u32_e32 v22, 28, v20
	v_lshlrev_b64_e32 v[52:53], v22, v[6:7]
	v_sub_nc_u32_e32 v22, 29, v20
	s_delay_alu instid0(VALU_DEP_2)
	v_and_b32_e32 v20, 7, v52
; %bb.669:                              ;   in Loop: Header=BB265_360 Depth=1
	s_or_b32 exec_lo, exec_lo, s17
	s_delay_alu instid0(VALU_DEP_1) | instskip(NEXT) | instid1(VALU_DEP_3)
	v_dual_lshlrev_b32 v6, 8, v21 :: v_dual_lshlrev_b32 v20, 23, v20
	v_lshl_add_u32 v21, v22, 10, 0x2000
	s_delay_alu instid0(VALU_DEP_1) | instskip(NEXT) | instid1(VALU_DEP_1)
	v_and_or_b32 v6, 0x8000, v6, v21
	v_lshl_or_b32 v20, v6, 16, v20
.LBB265_670:                            ;   in Loop: Header=BB265_360 Depth=1
	s_or_b32 exec_lo, exec_lo, s16
.LBB265_671:                            ;   in Loop: Header=BB265_360 Depth=1
	s_delay_alu instid0(SALU_CYCLE_1)
	s_or_b32 exec_lo, exec_lo, s15
.LBB265_672:                            ;   in Loop: Header=BB265_360 Depth=1
	s_delay_alu instid0(SALU_CYCLE_1) | instskip(SKIP_2) | instid1(VALU_DEP_1)
	s_or_b32 exec_lo, exec_lo, s14
	v_lshrrev_b32_e32 v6, 16, v15
	s_mov_b32 s14, exec_lo
	v_and_b32_e32 v21, 0xff, v6
	s_delay_alu instid0(VALU_DEP_1)
	v_cmpx_ne_u16_e32 0, v21
	s_cbranch_execz .LBB265_680
; %bb.673:                              ;   in Loop: Header=BB265_360 Depth=1
	v_mov_b32_e32 v19, 0x8000
	s_mov_b32 s15, exec_lo
	v_cmpx_ne_u16_e32 0x80, v21
	s_cbranch_execz .LBB265_679
; %bb.674:                              ;   in Loop: Header=BB265_360 Depth=1
	v_bfe_u32 v22, v15, 16, 7
	v_mov_b32_e32 v19, 0x7c01
	s_mov_b32 s16, exec_lo
	s_delay_alu instid0(VALU_DEP_2)
	v_cmpx_ne_u32_e32 0x7f, v22
	s_cbranch_execz .LBB265_678
; %bb.675:                              ;   in Loop: Header=BB265_360 Depth=1
	v_and_b32_e32 v19, 7, v6
	v_lshrrev_b32_e32 v21, 3, v22
	s_mov_b32 s17, exec_lo
	v_cmpx_gt_u32_e32 8, v22
; %bb.676:                              ;   in Loop: Header=BB265_360 Depth=1
	s_delay_alu instid0(VALU_DEP_3) | instskip(NEXT) | instid1(VALU_DEP_1)
	v_clz_i32_u32_e32 v19, v19
	v_min_u32_e32 v19, 32, v19
	s_delay_alu instid0(VALU_DEP_1) | instskip(NEXT) | instid1(VALU_DEP_1)
	v_subrev_nc_u32_e32 v21, 28, v19
	v_lshlrev_b64_e32 v[22:23], v21, v[6:7]
	s_delay_alu instid0(VALU_DEP_1)
	v_dual_sub_nc_u32 v21, 29, v19 :: v_dual_bitop2_b32 v19, 7, v22 bitop3:0x40
; %bb.677:                              ;   in Loop: Header=BB265_360 Depth=1
	s_or_b32 exec_lo, exec_lo, s17
	s_delay_alu instid0(VALU_DEP_1) | instskip(NEXT) | instid1(VALU_DEP_2)
	v_dual_lshlrev_b32 v6, 8, v6 :: v_dual_lshlrev_b32 v19, 7, v19
	v_lshl_add_u32 v21, v21, 10, 0x2000
	s_delay_alu instid0(VALU_DEP_2) | instskip(NEXT) | instid1(VALU_DEP_2)
	v_and_b32_e32 v6, 0x8000, v6
	v_and_b32_e32 v21, 0xfc00, v21
	s_delay_alu instid0(VALU_DEP_1)
	v_or3_b32 v19, v6, v21, v19
.LBB265_678:                            ;   in Loop: Header=BB265_360 Depth=1
	s_or_b32 exec_lo, exec_lo, s16
.LBB265_679:                            ;   in Loop: Header=BB265_360 Depth=1
	s_delay_alu instid0(SALU_CYCLE_1)
	s_or_b32 exec_lo, exec_lo, s15
.LBB265_680:                            ;   in Loop: Header=BB265_360 Depth=1
	s_delay_alu instid0(SALU_CYCLE_1)
	s_or_b32 exec_lo, exec_lo, s14
	v_cmp_lt_u64_e64 s0, s[2:3], v[14:15]
	v_mov_b32_e32 v14, 0
	s_and_saveexec_b32 s14, s0
	s_cbranch_execz .LBB265_688
; %bb.681:                              ;   in Loop: Header=BB265_360 Depth=1
	v_lshrrev_b32_e32 v6, 24, v15
	v_bfrev_b32_e32 v14, 1
	s_mov_b32 s15, exec_lo
	s_delay_alu instid0(VALU_DEP_2)
	v_cmpx_ne_u32_e32 0x80, v6
	s_cbranch_execz .LBB265_687
; %bb.682:                              ;   in Loop: Header=BB265_360 Depth=1
	v_and_b32_e32 v21, 0x7f, v6
	v_mov_b32_e32 v14, 0x7c010000
	s_mov_b32 s16, exec_lo
	s_delay_alu instid0(VALU_DEP_2)
	v_cmpx_ne_u32_e32 0x7f, v21
	s_cbranch_execz .LBB265_686
; %bb.683:                              ;   in Loop: Header=BB265_360 Depth=1
	v_dual_lshrrev_b32 v15, 3, v21 :: v_dual_bitop2_b32 v14, 7, v6 bitop3:0x40
	s_mov_b32 s17, exec_lo
	v_cmpx_gt_u32_e32 8, v21
; %bb.684:                              ;   in Loop: Header=BB265_360 Depth=1
	s_delay_alu instid0(VALU_DEP_2) | instskip(NEXT) | instid1(VALU_DEP_1)
	v_clz_i32_u32_e32 v14, v14
	v_min_u32_e32 v21, 32, v14
	s_delay_alu instid0(VALU_DEP_1) | instskip(NEXT) | instid1(VALU_DEP_1)
	v_subrev_nc_u32_e32 v14, 28, v21
	v_lshlrev_b64_e32 v[14:15], v14, v[6:7]
	s_delay_alu instid0(VALU_DEP_1)
	v_dual_sub_nc_u32 v15, 29, v21 :: v_dual_bitop2_b32 v14, 7, v14 bitop3:0x40
; %bb.685:                              ;   in Loop: Header=BB265_360 Depth=1
	s_or_b32 exec_lo, exec_lo, s17
	v_lshlrev_b32_e32 v6, 8, v6
	s_delay_alu instid0(VALU_DEP_2) | instskip(NEXT) | instid1(VALU_DEP_3)
	v_lshl_add_u32 v15, v15, 10, 0x2000
	v_lshlrev_b32_e32 v14, 23, v14
	s_delay_alu instid0(VALU_DEP_2) | instskip(NEXT) | instid1(VALU_DEP_1)
	v_and_or_b32 v6, 0x8000, v6, v15
	v_lshl_or_b32 v14, v6, 16, v14
.LBB265_686:                            ;   in Loop: Header=BB265_360 Depth=1
	s_or_b32 exec_lo, exec_lo, s16
.LBB265_687:                            ;   in Loop: Header=BB265_360 Depth=1
	s_delay_alu instid0(SALU_CYCLE_1)
	s_or_b32 exec_lo, exec_lo, s15
.LBB265_688:                            ;   in Loop: Header=BB265_360 Depth=1
	s_delay_alu instid0(SALU_CYCLE_1) | instskip(SKIP_3) | instid1(VALU_DEP_3)
	s_or_b32 exec_lo, exec_lo, s14
	v_dual_lshrrev_b32 v6, 16, v1 :: v_dual_lshrrev_b32 v15, 16, v16
	v_or_b32_e32 v1, v1, v13
	v_dual_lshrrev_b32 v21, 16, v14 :: v_dual_bitop2_b32 v13, v16, v17 bitop3:0x54
	v_cvt_f32_f16_e32 v17, v6
	s_delay_alu instid0(VALU_DEP_4) | instskip(SKIP_1) | instid1(VALU_DEP_4)
	v_cvt_f32_f16_e32 v16, v15
	v_dual_lshrrev_b32 v19, 16, v20 :: v_dual_bitop2_b32 v6, v14, v19 bitop3:0x54
	v_cvt_f32_f16_e32 v14, v13
	v_cvt_f32_f16_e32 v15, v1
	s_wait_loadcnt 0x0
	v_pk_mul_f32 v[16:17], v[12:13], v[16:17] op_sel_hi:[0,1]
	v_or_b32_e32 v13, v20, v18
	v_cvt_f32_f16_e32 v19, v19
	v_cvt_f32_f16_e32 v18, v21
	s_delay_alu instid0(VALU_DEP_4) | instskip(NEXT) | instid1(VALU_DEP_4)
	v_cvt_pk_f16_f32 v1, v16, v17
	v_cvt_f32_f16_e32 v21, v13
	v_pk_mul_f32 v[14:15], v[12:13], v[14:15] op_sel_hi:[0,1]
	s_delay_alu instid0(VALU_DEP_4) | instskip(NEXT) | instid1(VALU_DEP_4)
	v_pk_mul_f32 v[16:17], v[12:13], v[18:19] op_sel_hi:[0,1]
	v_lshlrev_b32_e32 v18, 16, v1
	v_cvt_f32_f16_e32 v20, v6
	s_delay_alu instid0(VALU_DEP_4) | instskip(NEXT) | instid1(VALU_DEP_4)
	v_cvt_pk_f16_f32 v6, v14, v15
	v_cvt_pk_f16_f32 v14, v16, v17
	v_and_b32_e32 v19, 0xffff0000, v1
	s_delay_alu instid0(VALU_DEP_4) | instskip(NEXT) | instid1(VALU_DEP_4)
	v_pk_mul_f32 v[12:13], v[12:13], v[20:21] op_sel_hi:[0,1]
	v_and_b32_e32 v20, 0xffff, v6
	v_lshrrev_b32_e32 v21, 16, v6
	v_and_b32_e32 v1, 0xffff0000, v14
	v_lshlrev_b32_e32 v6, 16, v14
	v_cvt_pk_f16_f32 v12, v12, v13
	v_or_b32_e32 v14, v18, v20
	s_delay_alu instid0(VALU_DEP_2) | instskip(SKIP_1) | instid1(VALU_DEP_2)
	v_dual_lshrrev_b32 v17, 16, v12 :: v_dual_bitop2_b32 v15, v19, v21 bitop3:0x54
	v_and_b32_e32 v16, 0xffff, v12
	v_or_b32_e32 v13, v1, v17
	s_delay_alu instid0(VALU_DEP_2)
	v_or_b32_e32 v12, v6, v16
	s_and_saveexec_b32 s0, vcc_lo
	s_cbranch_execz .LBB265_359
; %bb.689:                              ;   in Loop: Header=BB265_360 Depth=1
	v_cmp_gt_i32_e32 vcc_lo, s9, v30
	v_cndmask_b32_e32 v12, 0, v21, vcc_lo
	v_cmp_gt_i32_e32 vcc_lo, s23, v39
	v_cndmask_b32_e32 v13, 0, v20, vcc_lo
	;; [unrolled: 2-line block ×4, first 2 shown]
	v_cmp_gt_i32_e32 vcc_lo, s9, v36
	s_delay_alu instid0(VALU_DEP_4) | instskip(NEXT) | instid1(VALU_DEP_3)
	v_or_b32_e32 v15, v14, v12
	v_or_b32_e32 v14, v18, v13
	v_cndmask_b32_e32 v17, 0, v17, vcc_lo
	v_cmp_gt_i32_e32 vcc_lo, s23, v35
	v_cndmask_b32_e32 v16, 0, v16, vcc_lo
	v_cmp_gt_i32_e32 vcc_lo, s9, v34
	;; [unrolled: 2-line block ×3, first 2 shown]
	s_delay_alu instid0(VALU_DEP_2) | instskip(NEXT) | instid1(VALU_DEP_1)
	v_dual_cndmask_b32 v6, 0, v6, vcc_lo :: v_dual_bitop2_b32 v13, v1, v17 bitop3:0x54
	v_or_b32_e32 v12, v6, v16
	s_branch .LBB265_359
.LBB265_690:
	s_or_b32 exec_lo, exec_lo, s8
.LBB265_691:
	s_delay_alu instid0(SALU_CYCLE_1)
	s_or_b32 exec_lo, exec_lo, s1
	ds_bpermute_b32 v8, v28, v4
	ds_bpermute_b32 v9, v28, v5
	;; [unrolled: 1-line block ×5, first 2 shown]
	v_and_b32_e32 v7, 0x3c1, v0
	v_lshrrev_b32_e32 v1, 1, v27
	s_mov_b32 s0, exec_lo
	s_wait_dscnt 0x0
	s_barrier_signal -1
	s_barrier_wait -1
	v_pk_add_f32 v[4:5], v[4:5], v[8:9]
	v_pk_add_f32 v[2:3], v[2:3], v[10:11]
	v_cmpx_ne_u32_e32 64, v7
	s_xor_b32 s0, exec_lo, s0
	s_delay_alu instid0(SALU_CYCLE_1)
	s_or_saveexec_b32 s0, s0
	v_add_f32_e32 v8, v29, v6
	v_lshl_add_u32 v6, v1, 2, 0xc0
	v_mul_u32_u24_e32 v7, 0x140, v26
	s_xor_b32 exec_lo, exec_lo, s0
	s_cbranch_execz .LBB265_693
; %bb.692:
	s_delay_alu instid0(VALU_DEP_1) | instskip(NEXT) | instid1(VALU_DEP_1)
	v_add_nc_u32_e32 v9, v6, v7
	v_add_nc_u32_e32 v10, 0xfffffd80, v9
	;; [unrolled: 1-line block ×6, first 2 shown]
	ds_store_b32 v10, v4
	ds_store_b32 v11, v5
	;; [unrolled: 1-line block ×5, first 2 shown]
.LBB265_693:
	s_or_b32 exec_lo, exec_lo, s0
	v_lshlrev_b32_e32 v1, 2, v1
	s_mov_b32 s1, exec_lo
	v_cmp_eq_u32_e32 vcc_lo, 0, v25
	s_wait_dscnt 0x0
	s_barrier_signal -1
	v_add3_u32 v1, 0xc0, v7, v1
	s_barrier_wait -1
	v_cmpx_gt_u32_e32 64, v0
	s_cbranch_execz .LBB265_701
; %bb.694:
	s_and_saveexec_b32 s0, vcc_lo
	s_cbranch_execnz .LBB265_714
; %bb.695:
	s_or_b32 exec_lo, exec_lo, s0
	s_and_saveexec_b32 s0, vcc_lo
	s_cbranch_execnz .LBB265_715
.LBB265_696:
	s_or_b32 exec_lo, exec_lo, s0
	s_and_saveexec_b32 s0, vcc_lo
	s_cbranch_execnz .LBB265_716
.LBB265_697:
	s_or_b32 exec_lo, exec_lo, s0
	s_and_saveexec_b32 s0, vcc_lo
	s_cbranch_execnz .LBB265_717
.LBB265_698:
	s_or_b32 exec_lo, exec_lo, s0
	s_and_saveexec_b32 s0, vcc_lo
	s_cbranch_execz .LBB265_700
.LBB265_699:
	ds_load_b32 v7, v1 offset:256
	s_wait_dscnt 0x0
	v_add_f32_e32 v8, v8, v7
.LBB265_700:
	s_or_b32 exec_lo, exec_lo, s0
.LBB265_701:
	s_delay_alu instid0(SALU_CYCLE_1) | instskip(SKIP_4) | instid1(VALU_DEP_1)
	s_or_b32 exec_lo, exec_lo, s1
	v_and_b32_e32 v7, 0x3e1, v0
	s_mov_b32 s1, exec_lo
	s_barrier_signal -1
	s_barrier_wait -1
	v_cmpx_eq_u32_e32 32, v7
	s_cbranch_execz .LBB265_703
; %bb.702:
	ds_store_2addr_b32 v6, v4, v5 offset1:16
	ds_store_2addr_b32 v6, v2, v3 offset0:32 offset1:48
	ds_store_b32 v6, v8 offset:256
.LBB265_703:
	s_or_b32 exec_lo, exec_lo, s1
	s_delay_alu instid0(SALU_CYCLE_1)
	s_mov_b32 s1, exec_lo
	s_wait_dscnt 0x0
	s_barrier_signal -1
	s_barrier_wait -1
	v_cmpx_gt_u32_e32 32, v0
	s_cbranch_execz .LBB265_711
; %bb.704:
	s_and_saveexec_b32 s0, vcc_lo
	s_cbranch_execnz .LBB265_718
; %bb.705:
	s_or_b32 exec_lo, exec_lo, s0
	s_and_saveexec_b32 s0, vcc_lo
	s_cbranch_execnz .LBB265_719
.LBB265_706:
	s_or_b32 exec_lo, exec_lo, s0
	s_and_saveexec_b32 s0, vcc_lo
	s_cbranch_execnz .LBB265_720
.LBB265_707:
	s_or_b32 exec_lo, exec_lo, s0
	s_and_saveexec_b32 s0, vcc_lo
	s_cbranch_execnz .LBB265_721
.LBB265_708:
	s_or_b32 exec_lo, exec_lo, s0
	s_and_saveexec_b32 s0, vcc_lo
	s_cbranch_execz .LBB265_710
.LBB265_709:
	ds_load_b32 v0, v1 offset:256
	s_wait_dscnt 0x0
	v_add_f32_e32 v8, v8, v0
.LBB265_710:
	s_or_b32 exec_lo, exec_lo, s0
.LBB265_711:
	s_delay_alu instid0(SALU_CYCLE_1)
	s_or_b32 exec_lo, exec_lo, s1
	s_mov_b32 s1, 0
	s_barrier_signal -1
	s_barrier_wait -1
	s_mov_b32 s0, exec_lo
	v_cmpx_eq_u32_e32 0, v7
	s_cbranch_execz .LBB265_713
; %bb.712:
	s_mul_i32 s0, s22, s13
	s_mul_i32 s2, s13, s12
	;; [unrolled: 1-line block ×3, first 2 shown]
	s_wait_kmcnt 0x0
	s_lshr_b32 s8, ttmp7, 16
	s_mul_i32 s4, s0, 0x50
	s_bfe_u32 s0, ttmp6, 0x40014
	s_ashr_i32 s5, s4, 31
	s_add_co_i32 s0, s0, 1
	s_ashr_i32 s3, s2, 31
	s_mul_i32 s0, s8, s0
	s_bfe_u32 s9, ttmp6, 0x40008
	s_lshl_b64 s[4:5], s[4:5], 1
	s_lshl_b64 s[2:3], s[2:3], 1
	s_add_co_i32 s9, s9, s0
	s_cmp_eq_u32 s20, 0
	s_add_nc_u64 s[4:5], s[6:7], s[4:5]
	s_cselect_b32 s0, s8, s9
	s_add_nc_u64 s[2:3], s[4:5], s[2:3]
	s_mulk_i32 s0, 0xa0
	;;#ASMSTART
	v_cvt_f16_f32 v0, v4;

	;;#ASMEND
	s_add_nc_u64 s[0:1], s[2:3], s[0:1]
	global_store_b16 v24, v0, s[0:1] scale_offset
	s_wait_xcnt 0x0
	;;#ASMSTART
	v_cvt_f16_f32 v0, v5;

	;;#ASMEND
	global_store_b16 v24, v0, s[0:1] offset:32 scale_offset
	s_wait_xcnt 0x0
	;;#ASMSTART
	v_cvt_f16_f32 v0, v2;

	;;#ASMEND
	global_store_b16 v24, v0, s[0:1] offset:64 scale_offset
	;; [unrolled: 6-line block ×4, first 2 shown]
.LBB265_713:
	s_sendmsg sendmsg(MSG_DEALLOC_VGPRS)
	s_endpgm
.LBB265_714:
	ds_load_b32 v7, v1
	s_wait_dscnt 0x0
	v_add_f32_e32 v4, v4, v7
	s_or_b32 exec_lo, exec_lo, s0
	s_and_saveexec_b32 s0, vcc_lo
	s_cbranch_execz .LBB265_696
.LBB265_715:
	ds_load_b32 v7, v1 offset:64
	s_wait_dscnt 0x0
	v_add_f32_e32 v5, v5, v7
	s_or_b32 exec_lo, exec_lo, s0
	s_and_saveexec_b32 s0, vcc_lo
	s_cbranch_execz .LBB265_697
.LBB265_716:
	ds_load_b32 v7, v1 offset:128
	s_wait_dscnt 0x0
	v_add_f32_e32 v2, v2, v7
	s_or_b32 exec_lo, exec_lo, s0
	s_and_saveexec_b32 s0, vcc_lo
	s_cbranch_execz .LBB265_698
.LBB265_717:
	ds_load_b32 v7, v1 offset:192
	s_wait_dscnt 0x0
	v_add_f32_e32 v3, v3, v7
	s_or_b32 exec_lo, exec_lo, s0
	s_and_saveexec_b32 s0, vcc_lo
	s_cbranch_execnz .LBB265_699
	s_branch .LBB265_700
.LBB265_718:
	ds_load_b32 v0, v1
	s_wait_dscnt 0x0
	v_add_f32_e32 v4, v4, v0
	s_or_b32 exec_lo, exec_lo, s0
	s_and_saveexec_b32 s0, vcc_lo
	s_cbranch_execz .LBB265_706
.LBB265_719:
	ds_load_b32 v0, v1 offset:64
	s_wait_dscnt 0x0
	v_add_f32_e32 v5, v5, v0
	s_or_b32 exec_lo, exec_lo, s0
	s_and_saveexec_b32 s0, vcc_lo
	s_cbranch_execz .LBB265_707
.LBB265_720:
	ds_load_b32 v0, v1 offset:128
	s_wait_dscnt 0x0
	v_add_f32_e32 v2, v2, v0
	s_or_b32 exec_lo, exec_lo, s0
	s_and_saveexec_b32 s0, vcc_lo
	s_cbranch_execz .LBB265_708
.LBB265_721:
	ds_load_b32 v0, v1 offset:192
	s_wait_dscnt 0x0
	v_add_f32_e32 v3, v3, v0
	s_or_b32 exec_lo, exec_lo, s0
	s_and_saveexec_b32 s0, vcc_lo
	s_cbranch_execnz .LBB265_709
	s_branch .LBB265_710
	.section	.rodata,"a",@progbits
	.p2align	6, 0x0
	.amdhsa_kernel _ZN4vllm25paged_attention_v1_kernelIthLi80ELi16ELi128ELNS_18Fp8KVCacheDataTypeE1ELb0EEEvPT_PKS2_PKT0_S8_ifPKiSA_iPKfiiiSC_SC_iiiii
		.amdhsa_group_segment_fixed_size 192
		.amdhsa_private_segment_fixed_size 0
		.amdhsa_kernarg_size 384
		.amdhsa_user_sgpr_count 2
		.amdhsa_user_sgpr_dispatch_ptr 0
		.amdhsa_user_sgpr_queue_ptr 0
		.amdhsa_user_sgpr_kernarg_segment_ptr 1
		.amdhsa_user_sgpr_dispatch_id 0
		.amdhsa_user_sgpr_kernarg_preload_length 0
		.amdhsa_user_sgpr_kernarg_preload_offset 0
		.amdhsa_user_sgpr_private_segment_size 0
		.amdhsa_wavefront_size32 1
		.amdhsa_uses_dynamic_stack 0
		.amdhsa_enable_private_segment 0
		.amdhsa_system_sgpr_workgroup_id_x 1
		.amdhsa_system_sgpr_workgroup_id_y 1
		.amdhsa_system_sgpr_workgroup_id_z 1
		.amdhsa_system_sgpr_workgroup_info 0
		.amdhsa_system_vgpr_workitem_id 0
		.amdhsa_next_free_vgpr 93
		.amdhsa_next_free_sgpr 32
		.amdhsa_named_barrier_count 0
		.amdhsa_reserve_vcc 1
		.amdhsa_float_round_mode_32 0
		.amdhsa_float_round_mode_16_64 0
		.amdhsa_float_denorm_mode_32 3
		.amdhsa_float_denorm_mode_16_64 3
		.amdhsa_fp16_overflow 0
		.amdhsa_memory_ordered 1
		.amdhsa_forward_progress 1
		.amdhsa_inst_pref_size 202
		.amdhsa_round_robin_scheduling 0
		.amdhsa_exception_fp_ieee_invalid_op 0
		.amdhsa_exception_fp_denorm_src 0
		.amdhsa_exception_fp_ieee_div_zero 0
		.amdhsa_exception_fp_ieee_overflow 0
		.amdhsa_exception_fp_ieee_underflow 0
		.amdhsa_exception_fp_ieee_inexact 0
		.amdhsa_exception_int_div_zero 0
	.end_amdhsa_kernel
	.section	.text._ZN4vllm25paged_attention_v1_kernelIthLi80ELi16ELi128ELNS_18Fp8KVCacheDataTypeE1ELb0EEEvPT_PKS2_PKT0_S8_ifPKiSA_iPKfiiiSC_SC_iiiii,"axG",@progbits,_ZN4vllm25paged_attention_v1_kernelIthLi80ELi16ELi128ELNS_18Fp8KVCacheDataTypeE1ELb0EEEvPT_PKS2_PKT0_S8_ifPKiSA_iPKfiiiSC_SC_iiiii,comdat
.Lfunc_end265:
	.size	_ZN4vllm25paged_attention_v1_kernelIthLi80ELi16ELi128ELNS_18Fp8KVCacheDataTypeE1ELb0EEEvPT_PKS2_PKT0_S8_ifPKiSA_iPKfiiiSC_SC_iiiii, .Lfunc_end265-_ZN4vllm25paged_attention_v1_kernelIthLi80ELi16ELi128ELNS_18Fp8KVCacheDataTypeE1ELb0EEEvPT_PKS2_PKT0_S8_ifPKiSA_iPKfiiiSC_SC_iiiii
                                        ; -- End function
	.set _ZN4vllm25paged_attention_v1_kernelIthLi80ELi16ELi128ELNS_18Fp8KVCacheDataTypeE1ELb0EEEvPT_PKS2_PKT0_S8_ifPKiSA_iPKfiiiSC_SC_iiiii.num_vgpr, 93
	.set _ZN4vllm25paged_attention_v1_kernelIthLi80ELi16ELi128ELNS_18Fp8KVCacheDataTypeE1ELb0EEEvPT_PKS2_PKT0_S8_ifPKiSA_iPKfiiiSC_SC_iiiii.num_agpr, 0
	.set _ZN4vllm25paged_attention_v1_kernelIthLi80ELi16ELi128ELNS_18Fp8KVCacheDataTypeE1ELb0EEEvPT_PKS2_PKT0_S8_ifPKiSA_iPKfiiiSC_SC_iiiii.numbered_sgpr, 32
	.set _ZN4vllm25paged_attention_v1_kernelIthLi80ELi16ELi128ELNS_18Fp8KVCacheDataTypeE1ELb0EEEvPT_PKS2_PKT0_S8_ifPKiSA_iPKfiiiSC_SC_iiiii.num_named_barrier, 0
	.set _ZN4vllm25paged_attention_v1_kernelIthLi80ELi16ELi128ELNS_18Fp8KVCacheDataTypeE1ELb0EEEvPT_PKS2_PKT0_S8_ifPKiSA_iPKfiiiSC_SC_iiiii.private_seg_size, 0
	.set _ZN4vllm25paged_attention_v1_kernelIthLi80ELi16ELi128ELNS_18Fp8KVCacheDataTypeE1ELb0EEEvPT_PKS2_PKT0_S8_ifPKiSA_iPKfiiiSC_SC_iiiii.uses_vcc, 1
	.set _ZN4vllm25paged_attention_v1_kernelIthLi80ELi16ELi128ELNS_18Fp8KVCacheDataTypeE1ELb0EEEvPT_PKS2_PKT0_S8_ifPKiSA_iPKfiiiSC_SC_iiiii.uses_flat_scratch, 0
	.set _ZN4vllm25paged_attention_v1_kernelIthLi80ELi16ELi128ELNS_18Fp8KVCacheDataTypeE1ELb0EEEvPT_PKS2_PKT0_S8_ifPKiSA_iPKfiiiSC_SC_iiiii.has_dyn_sized_stack, 0
	.set _ZN4vllm25paged_attention_v1_kernelIthLi80ELi16ELi128ELNS_18Fp8KVCacheDataTypeE1ELb0EEEvPT_PKS2_PKT0_S8_ifPKiSA_iPKfiiiSC_SC_iiiii.has_recursion, 0
	.set _ZN4vllm25paged_attention_v1_kernelIthLi80ELi16ELi128ELNS_18Fp8KVCacheDataTypeE1ELb0EEEvPT_PKS2_PKT0_S8_ifPKiSA_iPKfiiiSC_SC_iiiii.has_indirect_call, 0
	.section	.AMDGPU.csdata,"",@progbits
; Kernel info:
; codeLenInByte = 25788
; TotalNumSgprs: 34
; NumVgprs: 93
; ScratchSize: 0
; MemoryBound: 0
; FloatMode: 240
; IeeeMode: 1
; LDSByteSize: 192 bytes/workgroup (compile time only)
; SGPRBlocks: 0
; VGPRBlocks: 5
; NumSGPRsForWavesPerEU: 34
; NumVGPRsForWavesPerEU: 93
; NamedBarCnt: 0
; Occupancy: 10
; WaveLimiterHint : 1
; COMPUTE_PGM_RSRC2:SCRATCH_EN: 0
; COMPUTE_PGM_RSRC2:USER_SGPR: 2
; COMPUTE_PGM_RSRC2:TRAP_HANDLER: 0
; COMPUTE_PGM_RSRC2:TGID_X_EN: 1
; COMPUTE_PGM_RSRC2:TGID_Y_EN: 1
; COMPUTE_PGM_RSRC2:TGID_Z_EN: 1
; COMPUTE_PGM_RSRC2:TIDIG_COMP_CNT: 0
	.section	.text._ZN4vllm25paged_attention_v1_kernelIthLi96ELi16ELi128ELNS_18Fp8KVCacheDataTypeE1ELb0EEEvPT_PKS2_PKT0_S8_ifPKiSA_iPKfiiiSC_SC_iiiii,"axG",@progbits,_ZN4vllm25paged_attention_v1_kernelIthLi96ELi16ELi128ELNS_18Fp8KVCacheDataTypeE1ELb0EEEvPT_PKS2_PKT0_S8_ifPKiSA_iPKfiiiSC_SC_iiiii,comdat
	.protected	_ZN4vllm25paged_attention_v1_kernelIthLi96ELi16ELi128ELNS_18Fp8KVCacheDataTypeE1ELb0EEEvPT_PKS2_PKT0_S8_ifPKiSA_iPKfiiiSC_SC_iiiii ; -- Begin function _ZN4vllm25paged_attention_v1_kernelIthLi96ELi16ELi128ELNS_18Fp8KVCacheDataTypeE1ELb0EEEvPT_PKS2_PKT0_S8_ifPKiSA_iPKfiiiSC_SC_iiiii
	.globl	_ZN4vllm25paged_attention_v1_kernelIthLi96ELi16ELi128ELNS_18Fp8KVCacheDataTypeE1ELb0EEEvPT_PKS2_PKT0_S8_ifPKiSA_iPKfiiiSC_SC_iiiii
	.p2align	8
	.type	_ZN4vllm25paged_attention_v1_kernelIthLi96ELi16ELi128ELNS_18Fp8KVCacheDataTypeE1ELb0EEEvPT_PKS2_PKT0_S8_ifPKiSA_iPKfiiiSC_SC_iiiii,@function
_ZN4vllm25paged_attention_v1_kernelIthLi96ELi16ELi128ELNS_18Fp8KVCacheDataTypeE1ELb0EEEvPT_PKS2_PKT0_S8_ifPKiSA_iPKfiiiSC_SC_iiiii: ; @_ZN4vllm25paged_attention_v1_kernelIthLi96ELi16ELi128ELNS_18Fp8KVCacheDataTypeE1ELb0EEEvPT_PKS2_PKT0_S8_ifPKiSA_iPKfiiiSC_SC_iiiii
; %bb.0:
	s_load_b64 s[6:7], s[0:1], 0x20
	s_bfe_u32 s3, ttmp6, 0x4000c
	s_bfe_u32 s5, ttmp6, 0x40010
	s_and_b32 s4, ttmp7, 0xffff
	s_add_co_i32 s3, s3, 1
	s_add_co_i32 s5, s5, 1
	s_and_b32 s2, ttmp6, 15
	s_bfe_u32 s8, ttmp6, 0x40004
	s_mul_i32 s3, ttmp9, s3
	s_mul_i32 s5, s4, s5
	s_getreg_b32 s20, hwreg(HW_REG_IB_STS2, 6, 4)
	s_add_co_i32 s2, s2, s3
	s_add_co_i32 s8, s8, s5
	s_cmp_eq_u32 s20, 0
	s_clause 0x1
	s_load_b32 s21, s[0:1], 0x80
	s_load_b64 s[10:11], s[0:1], 0x30
	s_cselect_b32 s22, s4, s8
	s_cselect_b32 s8, ttmp9, s2
	s_wait_kmcnt 0x0
	s_abs_i32 s2, s6
	s_delay_alu instid0(SALU_CYCLE_1) | instskip(SKIP_1) | instid1(SALU_CYCLE_2)
	s_cvt_f32_u32 s3, s2
	s_sub_co_i32 s4, 0, s2
	v_rcp_iflag_f32_e32 v1, s3
	s_abs_i32 s5, s21
	v_nop
	s_delay_alu instid0(TRANS32_DEP_1) | instskip(SKIP_1) | instid1(SALU_CYCLE_3)
	v_readfirstlane_b32 s3, v1
	s_mul_f32 s3, s3, 0x4f7ffffe
	s_cvt_u32_f32 s3, s3
	s_delay_alu instid0(SALU_CYCLE_3) | instskip(NEXT) | instid1(SALU_CYCLE_1)
	s_mul_i32 s4, s4, s3
	s_mul_hi_u32 s4, s3, s4
	s_delay_alu instid0(SALU_CYCLE_1) | instskip(SKIP_4) | instid1(SALU_CYCLE_1)
	s_add_co_i32 s3, s3, s4
	s_xor_b32 s4, s21, s6
	s_mul_hi_u32 s3, s5, s3
	s_ashr_i32 s4, s4, 31
	s_mul_i32 s6, s3, s2
	s_sub_co_i32 s5, s5, s6
	s_add_co_i32 s6, s3, 1
	s_sub_co_i32 s9, s5, s2
	s_cmp_ge_u32 s5, s2
	s_cselect_b32 s3, s6, s3
	s_cselect_b32 s5, s9, s5
	s_add_co_i32 s6, s3, 1
	s_cmp_ge_u32 s5, s2
	s_cselect_b32 s2, s6, s3
	s_mov_b32 s3, 0
	s_xor_b32 s2, s2, s4
	s_mov_b32 s13, s3
	s_sub_co_i32 s15, s2, s4
	s_load_b64 s[4:5], s[0:1], 0x40
	s_abs_i32 s14, s15
	s_mov_b32 s25, s3
	s_cvt_f32_u32 s2, s14
	s_delay_alu instid0(SALU_CYCLE_3) | instskip(SKIP_1) | instid1(TRANS32_DEP_1)
	v_rcp_iflag_f32_e32 v1, s2
	v_nop
	v_readfirstlane_b32 s2, v1
	s_mul_f32 s2, s2, 0x4f7ffffe
	s_delay_alu instid0(SALU_CYCLE_3) | instskip(SKIP_1) | instid1(SALU_CYCLE_2)
	s_cvt_u32_f32 s6, s2
	s_sub_co_i32 s2, 0, s14
	s_mul_i32 s2, s2, s6
	s_delay_alu instid0(SALU_CYCLE_1)
	s_mul_hi_u32 s9, s6, s2
	s_abs_i32 s2, s8
	s_add_co_i32 s12, s6, s9
	s_wait_kmcnt 0x0
	s_cmp_eq_u64 s[4:5], 0
	s_cbranch_scc1 .LBB266_2
; %bb.1:
	s_ashr_i32 s9, s8, 31
	s_delay_alu instid0(SALU_CYCLE_1) | instskip(NEXT) | instid1(SALU_CYCLE_1)
	s_lshl_b64 s[16:17], s[8:9], 2
	s_add_nc_u64 s[4:5], s[4:5], s[16:17]
	s_load_b32 s25, s[4:5], 0x0
.LBB266_2:
	s_load_b32 s23, s[10:11], s22 offset:0x0 scale_offset
	s_wait_xcnt 0x0
	s_load_b96 s[4:6], s[0:1], 0x48
	v_dual_lshrrev_b32 v26, 1, v0 :: v_dual_bitop2_b32 v27, 1, v0 bitop3:0x40
	s_ashr_i32 s9, s8, 31
	s_ashr_i32 s15, s15, 31
	s_mul_u64 s[10:11], s[2:3], s[12:13]
	s_mul_i32 s12, s8, 0x60
	s_mov_b32 s3, exec_lo
	v_cmpx_gt_u32_e32 24, v0
	s_cbranch_execz .LBB266_4
; %bb.3:
	s_load_b64 s[16:17], s[0:1], 0x8
	s_wait_kmcnt 0x0
	s_mul_i32 s18, s4, s22
	s_ashr_i32 s13, s12, 31
	s_ashr_i32 s19, s18, 31
	v_lshlrev_b32_e32 v1, 3, v26
	s_lshl_b64 s[18:19], s[18:19], 1
	s_delay_alu instid0(VALU_DEP_1) | instskip(SKIP_2) | instid1(SALU_CYCLE_1)
	v_mad_u32_u24 v1, 0x60, v27, v1
	s_add_nc_u64 s[16:17], s[16:17], s[18:19]
	s_lshl_b64 s[18:19], s[12:13], 1
	s_add_nc_u64 s[16:17], s[16:17], s[18:19]
	global_load_b64 v[2:3], v0, s[16:17] scale_offset
	s_wait_loadcnt 0x0
	ds_store_b64 v1, v[2:3]
.LBB266_4:
	s_or_b32 exec_lo, exec_lo, s3
	s_wait_kmcnt 0x0
	s_add_co_i32 s3, s23, 15
	s_load_b32 s4, s[0:1], 0x38
	s_ashr_i32 s8, s3, 31
	s_mul_i32 s10, s11, s14
	s_lshr_b32 s8, s8, 28
	s_sub_co_i32 s2, s2, s10
	s_add_co_i32 s3, s3, s8
	s_xor_b32 s9, s9, s15
	s_ashr_i32 s24, s3, 4
	s_add_co_i32 s3, s11, 1
	s_sub_co_i32 s8, s2, s14
	s_cmp_ge_u32 s2, s14
	v_lshrrev_b32_e32 v28, 5, v0
	s_cselect_b32 s3, s3, s11
	s_cselect_b32 s2, s8, s2
	s_add_co_i32 s8, s3, 1
	s_cmp_ge_u32 s2, s14
	v_mbcnt_lo_u32_b32 v11, -1, 0
	s_cselect_b32 s2, s8, s3
	s_wait_dscnt 0x0
	s_xor_b32 s2, s2, s9
	s_wait_kmcnt 0x0
	s_mul_i32 s14, s4, s22
	s_sub_co_i32 s3, s2, s9
	v_cmp_gt_i32_e64 s2, s24, v28
	s_ashr_i32 s15, s14, 31
	s_mov_b32 s4, exec_lo
	s_barrier_signal -1
	s_barrier_wait -1
                                        ; implicit-def: $vgpr3
                                        ; implicit-def: $vgpr12
	v_cmpx_le_i32_e64 s24, v28
	s_xor_b32 s4, exec_lo, s4
; %bb.5:
	v_dual_mov_b32 v3, 0 :: v_dual_mov_b32 v12, 32
	v_mbcnt_lo_u32_b32 v11, -1, 0
; %bb.6:
	s_or_saveexec_b32 s26, s4
	s_clause 0x2
	s_load_b32 s13, s[0:1], 0x88
	s_load_b64 s[16:17], s[0:1], 0x28
	s_load_b128 s[8:11], s[0:1], 0x58
	v_mov_b32_e32 v13, 0xff7fffff
	v_lshrrev_b32_e32 v1, 3, v0
	s_mul_i32 s18, s3, s6
	s_xor_b32 exec_lo, exec_lo, s26
	s_cbranch_execz .LBB266_396
; %bb.7:
	s_load_b64 s[28:29], s[0:1], 0x10
	v_bfe_u32 v6, v0, 1, 4
	v_mov_b32_e32 v3, 0
	s_ashr_i32 s19, s18, 31
	s_cmp_neq_f32 s25, 0
	v_mul_u32_u24_e32 v14, 0x60, v27
	v_dual_lshlrev_b32 v2, 4, v6 :: v_dual_lshlrev_b32 v7, 2, v6
	s_cselect_b32 s3, -1, 0
	v_lshl_or_b32 v15, v28, 4, v6
	v_dual_mov_b32 v13, 0xff7fffff :: v_dual_mov_b32 v12, 32
	s_mov_b32 s6, 0
	s_sub_co_i32 s27, 1, s23
	v_cmp_eq_u32_e32 vcc_lo, 0, v27
	v_mov_b32_e32 v17, v28
	s_wait_kmcnt 0x0
	s_add_nc_u64 s[28:29], s[28:29], s[18:19]
	s_mov_b32 s19, s5
	v_add_nc_u64_e32 v[4:5], s[28:29], v[2:3]
	v_lshlrev_b32_e32 v2, 2, v27
	v_lshl_or_b32 v7, v28, 6, v7
	s_lshl_b64 s[28:29], s[14:15], 2
	s_delay_alu instid0(SALU_CYCLE_1) | instskip(NEXT) | instid1(VALU_DEP_1)
	s_add_nc_u64 s[28:29], s[16:17], s[28:29]
	v_add_nc_u32_e32 v16, 0xe0, v7
	s_delay_alu instid0(VALU_DEP_4) | instskip(SKIP_1) | instid1(VALU_DEP_1)
	v_add_nc_u64_e32 v[4:5], v[4:5], v[2:3]
	v_and_b32_e32 v2, 0x7c, v1
	v_add_nc_u64_e32 v[6:7], s[28:29], v[2:3]
	s_branch .LBB266_9
.LBB266_8:                              ;   in Loop: Header=BB266_9 Depth=1
	s_or_b32 exec_lo, exec_lo, s28
	v_dual_add_nc_u32 v17, 4, v17 :: v_dual_add_nc_u32 v15, 64, v15
	v_add_nc_u64_e32 v[6:7], 16, v[6:7]
	v_add_nc_u32_e32 v16, 0x100, v16
	s_delay_alu instid0(VALU_DEP_3) | instskip(SKIP_1) | instid1(SALU_CYCLE_1)
	v_cmp_le_i32_e64 s4, s24, v17
	s_or_b32 s6, s4, s6
	s_and_not1_b32 exec_lo, exec_lo, s6
	s_cbranch_execz .LBB266_395
.LBB266_9:                              ; =>This Inner Loop Header: Depth=1
	global_load_b32 v2, v[6:7], off
	v_dual_mov_b32 v19, 0 :: v_dual_mov_b32 v20, 0
	s_mov_b32 s28, exec_lo
	global_load_b32 v18, v19, s[8:9]
	s_wait_loadcnt_dscnt 0x100
	v_mad_nc_i64_i32 v[8:9], v2, s19, v[4:5]
	global_load_b32 v10, v[8:9], off
	s_wait_loadcnt 0x0
	v_and_b32_e32 v2, 0xff, v10
	s_wait_xcnt 0x0
	s_delay_alu instid0(VALU_DEP_1)
	v_cmpx_ne_u16_e32 0, v2
	s_cbranch_execz .LBB266_17
; %bb.10:                               ;   in Loop: Header=BB266_9 Depth=1
	v_mov_b32_e32 v20, 0x8000
	s_mov_b32 s29, exec_lo
	v_cmpx_ne_u16_e32 0x80, v2
	s_cbranch_execz .LBB266_16
; %bb.11:                               ;   in Loop: Header=BB266_9 Depth=1
	v_and_b32_e32 v21, 0x7f, v10
	v_mov_b32_e32 v20, 0x7c01
	s_mov_b32 s30, exec_lo
	s_delay_alu instid0(VALU_DEP_2)
	v_cmpx_ne_u32_e32 0x7f, v21
	s_cbranch_execz .LBB266_15
; %bb.12:                               ;   in Loop: Header=BB266_9 Depth=1
	v_dual_lshrrev_b32 v20, 3, v21 :: v_dual_bitop2_b32 v2, 7, v10 bitop3:0x40
	s_mov_b32 s31, exec_lo
	v_cmpx_gt_u32_e32 8, v21
; %bb.13:                               ;   in Loop: Header=BB266_9 Depth=1
	s_delay_alu instid0(VALU_DEP_2) | instskip(NEXT) | instid1(VALU_DEP_1)
	v_clz_i32_u32_e32 v2, v2
	v_min_u32_e32 v2, 32, v2
	s_delay_alu instid0(VALU_DEP_1) | instskip(NEXT) | instid1(VALU_DEP_1)
	v_subrev_nc_u32_e32 v20, 28, v2
	v_lshlrev_b64_e32 v[22:23], v20, v[10:11]
	v_sub_nc_u32_e32 v20, 29, v2
	s_delay_alu instid0(VALU_DEP_2)
	v_and_b32_e32 v2, 7, v22
; %bb.14:                               ;   in Loop: Header=BB266_9 Depth=1
	s_or_b32 exec_lo, exec_lo, s31
	v_lshlrev_b32_e32 v21, 8, v10
	s_delay_alu instid0(VALU_DEP_3) | instskip(NEXT) | instid1(VALU_DEP_3)
	v_lshl_add_u32 v20, v20, 10, 0x2000
	v_lshlrev_b32_e32 v2, 7, v2
	s_delay_alu instid0(VALU_DEP_3) | instskip(NEXT) | instid1(VALU_DEP_3)
	v_and_b32_e32 v21, 0x8000, v21
	v_and_b32_e32 v20, 0xfc00, v20
	s_delay_alu instid0(VALU_DEP_1)
	v_or3_b32 v20, v21, v20, v2
.LBB266_15:                             ;   in Loop: Header=BB266_9 Depth=1
	s_or_b32 exec_lo, exec_lo, s30
.LBB266_16:                             ;   in Loop: Header=BB266_9 Depth=1
	s_delay_alu instid0(SALU_CYCLE_1)
	s_or_b32 exec_lo, exec_lo, s29
.LBB266_17:                             ;   in Loop: Header=BB266_9 Depth=1
	s_delay_alu instid0(SALU_CYCLE_1) | instskip(SKIP_2) | instid1(VALU_DEP_1)
	s_or_b32 exec_lo, exec_lo, s28
	v_lshrrev_b16 v2, 8, v10
	s_mov_b32 s28, exec_lo
	v_cmpx_ne_u16_e32 0, v2
	s_cbranch_execz .LBB266_25
; %bb.18:                               ;   in Loop: Header=BB266_9 Depth=1
	v_bfrev_b32_e32 v19, 1
	s_mov_b32 s29, exec_lo
	v_cmpx_ne_u16_e32 0x80, v2
	s_cbranch_execz .LBB266_24
; %bb.19:                               ;   in Loop: Header=BB266_9 Depth=1
	v_and_b32_e32 v21, 0xffff, v2
	v_mov_b32_e32 v19, 0x7c010000
	s_mov_b32 s30, exec_lo
	s_delay_alu instid0(VALU_DEP_2) | instskip(NEXT) | instid1(VALU_DEP_1)
	v_and_b32_e32 v23, 0x7f, v21
	v_cmpx_ne_u32_e32 0x7f, v23
	s_cbranch_execz .LBB266_23
; %bb.20:                               ;   in Loop: Header=BB266_9 Depth=1
	v_dual_lshrrev_b32 v22, 3, v23 :: v_dual_bitop2_b32 v19, 7, v21 bitop3:0x40
	s_mov_b32 s31, exec_lo
	v_cmpx_gt_u32_e32 8, v23
; %bb.21:                               ;   in Loop: Header=BB266_9 Depth=1
	s_delay_alu instid0(VALU_DEP_2) | instskip(NEXT) | instid1(VALU_DEP_1)
	v_clz_i32_u32_e32 v19, v19
	v_min_u32_e32 v19, 32, v19
	s_delay_alu instid0(VALU_DEP_1) | instskip(NEXT) | instid1(VALU_DEP_1)
	v_subrev_nc_u32_e32 v22, 28, v19
	v_lshlrev_b64_e32 v[24:25], v22, v[2:3]
	s_delay_alu instid0(VALU_DEP_1)
	v_dual_sub_nc_u32 v22, 29, v19 :: v_dual_bitop2_b32 v19, 7, v24 bitop3:0x40
; %bb.22:                               ;   in Loop: Header=BB266_9 Depth=1
	s_or_b32 exec_lo, exec_lo, s31
	s_delay_alu instid0(VALU_DEP_1) | instskip(NEXT) | instid1(VALU_DEP_2)
	v_dual_lshlrev_b32 v2, 8, v21 :: v_dual_lshlrev_b32 v19, 23, v19
	v_lshl_add_u32 v21, v22, 10, 0x2000
	s_delay_alu instid0(VALU_DEP_1) | instskip(NEXT) | instid1(VALU_DEP_1)
	v_and_or_b32 v2, 0x8000, v2, v21
	v_lshl_or_b32 v19, v2, 16, v19
.LBB266_23:                             ;   in Loop: Header=BB266_9 Depth=1
	s_or_b32 exec_lo, exec_lo, s30
.LBB266_24:                             ;   in Loop: Header=BB266_9 Depth=1
	s_delay_alu instid0(SALU_CYCLE_1)
	s_or_b32 exec_lo, exec_lo, s29
.LBB266_25:                             ;   in Loop: Header=BB266_9 Depth=1
	s_delay_alu instid0(SALU_CYCLE_1) | instskip(SKIP_3) | instid1(VALU_DEP_2)
	s_or_b32 exec_lo, exec_lo, s28
	v_dual_mov_b32 v21, 0 :: v_dual_lshrrev_b32 v2, 16, v10
	v_mov_b32_e32 v22, 0
	s_mov_b32 s28, exec_lo
	v_and_b32_e32 v23, 0xff, v2
	s_delay_alu instid0(VALU_DEP_1)
	v_cmpx_ne_u16_e32 0, v23
	s_cbranch_execz .LBB266_33
; %bb.26:                               ;   in Loop: Header=BB266_9 Depth=1
	v_mov_b32_e32 v22, 0x8000
	s_mov_b32 s29, exec_lo
	v_cmpx_ne_u16_e32 0x80, v23
	s_cbranch_execz .LBB266_32
; %bb.27:                               ;   in Loop: Header=BB266_9 Depth=1
	v_bfe_u32 v24, v10, 16, 7
	v_mov_b32_e32 v22, 0x7c01
	s_mov_b32 s30, exec_lo
	s_delay_alu instid0(VALU_DEP_2)
	v_cmpx_ne_u32_e32 0x7f, v24
	s_cbranch_execz .LBB266_31
; %bb.28:                               ;   in Loop: Header=BB266_9 Depth=1
	v_dual_lshrrev_b32 v23, 3, v24 :: v_dual_bitop2_b32 v22, 7, v2 bitop3:0x40
	s_mov_b32 s31, exec_lo
	v_cmpx_gt_u32_e32 8, v24
; %bb.29:                               ;   in Loop: Header=BB266_9 Depth=1
	s_delay_alu instid0(VALU_DEP_2) | instskip(NEXT) | instid1(VALU_DEP_1)
	v_clz_i32_u32_e32 v22, v22
	v_min_u32_e32 v24, 32, v22
	s_delay_alu instid0(VALU_DEP_1) | instskip(NEXT) | instid1(VALU_DEP_1)
	v_subrev_nc_u32_e32 v22, 28, v24
	v_lshlrev_b64_e32 v[22:23], v22, v[2:3]
	s_delay_alu instid0(VALU_DEP_1)
	v_dual_sub_nc_u32 v23, 29, v24 :: v_dual_bitop2_b32 v22, 7, v22 bitop3:0x40
; %bb.30:                               ;   in Loop: Header=BB266_9 Depth=1
	s_or_b32 exec_lo, exec_lo, s31
	v_lshlrev_b32_e32 v2, 8, v2
	s_delay_alu instid0(VALU_DEP_2) | instskip(NEXT) | instid1(VALU_DEP_3)
	v_lshl_add_u32 v23, v23, 10, 0x2000
	v_lshlrev_b32_e32 v22, 7, v22
	s_delay_alu instid0(VALU_DEP_3) | instskip(NEXT) | instid1(VALU_DEP_3)
	v_and_b32_e32 v2, 0x8000, v2
	v_and_b32_e32 v23, 0xfc00, v23
	s_delay_alu instid0(VALU_DEP_1)
	v_or3_b32 v22, v2, v23, v22
.LBB266_31:                             ;   in Loop: Header=BB266_9 Depth=1
	s_or_b32 exec_lo, exec_lo, s30
.LBB266_32:                             ;   in Loop: Header=BB266_9 Depth=1
	s_delay_alu instid0(SALU_CYCLE_1)
	s_or_b32 exec_lo, exec_lo, s29
.LBB266_33:                             ;   in Loop: Header=BB266_9 Depth=1
	s_delay_alu instid0(SALU_CYCLE_1) | instskip(NEXT) | instid1(SALU_CYCLE_1)
	s_or_b32 exec_lo, exec_lo, s28
	s_mov_b32 s28, exec_lo
	v_cmpx_lt_u32_e32 0xffffff, v10
	s_cbranch_execz .LBB266_41
; %bb.34:                               ;   in Loop: Header=BB266_9 Depth=1
	v_lshrrev_b32_e32 v2, 24, v10
	v_bfrev_b32_e32 v21, 1
	s_mov_b32 s29, exec_lo
	s_delay_alu instid0(VALU_DEP_2)
	v_cmpx_ne_u32_e32 0x80, v2
	s_cbranch_execz .LBB266_40
; %bb.35:                               ;   in Loop: Header=BB266_9 Depth=1
	v_and_b32_e32 v23, 0x7f, v2
	v_mov_b32_e32 v21, 0x7c010000
	s_mov_b32 s30, exec_lo
	s_delay_alu instid0(VALU_DEP_2)
	v_cmpx_ne_u32_e32 0x7f, v23
	s_cbranch_execz .LBB266_39
; %bb.36:                               ;   in Loop: Header=BB266_9 Depth=1
	v_dual_lshrrev_b32 v21, 3, v23 :: v_dual_bitop2_b32 v10, 7, v2 bitop3:0x40
	s_mov_b32 s31, exec_lo
	v_cmpx_gt_u32_e32 8, v23
; %bb.37:                               ;   in Loop: Header=BB266_9 Depth=1
	s_delay_alu instid0(VALU_DEP_2) | instskip(NEXT) | instid1(VALU_DEP_1)
	v_clz_i32_u32_e32 v10, v10
	v_min_u32_e32 v10, 32, v10
	s_delay_alu instid0(VALU_DEP_1) | instskip(NEXT) | instid1(VALU_DEP_1)
	v_subrev_nc_u32_e32 v21, 28, v10
	v_lshlrev_b64_e32 v[24:25], v21, v[2:3]
	s_delay_alu instid0(VALU_DEP_1)
	v_dual_sub_nc_u32 v21, 29, v10 :: v_dual_bitop2_b32 v10, 7, v24 bitop3:0x40
; %bb.38:                               ;   in Loop: Header=BB266_9 Depth=1
	s_or_b32 exec_lo, exec_lo, s31
	v_lshlrev_b32_e32 v2, 8, v2
	s_delay_alu instid0(VALU_DEP_2) | instskip(NEXT) | instid1(VALU_DEP_3)
	v_lshl_add_u32 v21, v21, 10, 0x2000
	v_lshlrev_b32_e32 v10, 23, v10
	s_delay_alu instid0(VALU_DEP_2) | instskip(NEXT) | instid1(VALU_DEP_1)
	v_and_or_b32 v2, 0x8000, v2, v21
	v_lshl_or_b32 v21, v2, 16, v10
.LBB266_39:                             ;   in Loop: Header=BB266_9 Depth=1
	s_or_b32 exec_lo, exec_lo, s30
.LBB266_40:                             ;   in Loop: Header=BB266_9 Depth=1
	s_delay_alu instid0(SALU_CYCLE_1)
	s_or_b32 exec_lo, exec_lo, s29
.LBB266_41:                             ;   in Loop: Header=BB266_9 Depth=1
	s_delay_alu instid0(SALU_CYCLE_1)
	s_or_b32 exec_lo, exec_lo, s28
	global_load_b32 v10, v[8:9], off offset:8
	v_dual_mov_b32 v23, 0 :: v_dual_mov_b32 v24, 0
	s_mov_b32 s28, exec_lo
	s_wait_loadcnt 0x0
	v_and_b32_e32 v2, 0xff, v10
	s_delay_alu instid0(VALU_DEP_1)
	v_cmpx_ne_u16_e32 0, v2
	s_cbranch_execz .LBB266_49
; %bb.42:                               ;   in Loop: Header=BB266_9 Depth=1
	v_mov_b32_e32 v24, 0x8000
	s_mov_b32 s29, exec_lo
	v_cmpx_ne_u16_e32 0x80, v2
	s_cbranch_execz .LBB266_48
; %bb.43:                               ;   in Loop: Header=BB266_9 Depth=1
	v_and_b32_e32 v25, 0x7f, v10
	v_mov_b32_e32 v24, 0x7c01
	s_mov_b32 s30, exec_lo
	s_delay_alu instid0(VALU_DEP_2)
	v_cmpx_ne_u32_e32 0x7f, v25
	s_cbranch_execz .LBB266_47
; %bb.44:                               ;   in Loop: Header=BB266_9 Depth=1
	v_dual_lshrrev_b32 v24, 3, v25 :: v_dual_bitop2_b32 v2, 7, v10 bitop3:0x40
	s_mov_b32 s31, exec_lo
	v_cmpx_gt_u32_e32 8, v25
; %bb.45:                               ;   in Loop: Header=BB266_9 Depth=1
	s_delay_alu instid0(VALU_DEP_2) | instskip(NEXT) | instid1(VALU_DEP_1)
	v_clz_i32_u32_e32 v2, v2
	v_min_u32_e32 v2, 32, v2
	s_delay_alu instid0(VALU_DEP_1) | instskip(NEXT) | instid1(VALU_DEP_1)
	v_subrev_nc_u32_e32 v24, 28, v2
	v_lshlrev_b64_e32 v[30:31], v24, v[10:11]
	v_sub_nc_u32_e32 v24, 29, v2
	s_delay_alu instid0(VALU_DEP_2)
	v_and_b32_e32 v2, 7, v30
; %bb.46:                               ;   in Loop: Header=BB266_9 Depth=1
	s_or_b32 exec_lo, exec_lo, s31
	v_lshlrev_b32_e32 v25, 8, v10
	s_delay_alu instid0(VALU_DEP_3) | instskip(NEXT) | instid1(VALU_DEP_3)
	v_lshl_add_u32 v24, v24, 10, 0x2000
	v_lshlrev_b32_e32 v2, 7, v2
	s_delay_alu instid0(VALU_DEP_3) | instskip(NEXT) | instid1(VALU_DEP_3)
	v_and_b32_e32 v25, 0x8000, v25
	v_and_b32_e32 v24, 0xfc00, v24
	s_delay_alu instid0(VALU_DEP_1)
	v_or3_b32 v24, v25, v24, v2
.LBB266_47:                             ;   in Loop: Header=BB266_9 Depth=1
	s_or_b32 exec_lo, exec_lo, s30
.LBB266_48:                             ;   in Loop: Header=BB266_9 Depth=1
	s_delay_alu instid0(SALU_CYCLE_1)
	s_or_b32 exec_lo, exec_lo, s29
.LBB266_49:                             ;   in Loop: Header=BB266_9 Depth=1
	s_delay_alu instid0(SALU_CYCLE_1) | instskip(SKIP_2) | instid1(VALU_DEP_1)
	s_or_b32 exec_lo, exec_lo, s28
	v_lshrrev_b16 v2, 8, v10
	s_mov_b32 s28, exec_lo
	v_cmpx_ne_u16_e32 0, v2
	s_cbranch_execz .LBB266_57
; %bb.50:                               ;   in Loop: Header=BB266_9 Depth=1
	v_bfrev_b32_e32 v23, 1
	s_mov_b32 s29, exec_lo
	v_cmpx_ne_u16_e32 0x80, v2
	s_cbranch_execz .LBB266_56
; %bb.51:                               ;   in Loop: Header=BB266_9 Depth=1
	v_and_b32_e32 v25, 0xffff, v2
	v_mov_b32_e32 v23, 0x7c010000
	s_mov_b32 s30, exec_lo
	s_delay_alu instid0(VALU_DEP_2) | instskip(NEXT) | instid1(VALU_DEP_1)
	v_and_b32_e32 v30, 0x7f, v25
	v_cmpx_ne_u32_e32 0x7f, v30
	s_cbranch_execz .LBB266_55
; %bb.52:                               ;   in Loop: Header=BB266_9 Depth=1
	v_dual_lshrrev_b32 v29, 3, v30 :: v_dual_bitop2_b32 v23, 7, v25 bitop3:0x40
	s_mov_b32 s31, exec_lo
	v_cmpx_gt_u32_e32 8, v30
; %bb.53:                               ;   in Loop: Header=BB266_9 Depth=1
	s_delay_alu instid0(VALU_DEP_2) | instskip(NEXT) | instid1(VALU_DEP_1)
	v_clz_i32_u32_e32 v23, v23
	v_min_u32_e32 v23, 32, v23
	s_delay_alu instid0(VALU_DEP_1) | instskip(NEXT) | instid1(VALU_DEP_1)
	v_subrev_nc_u32_e32 v29, 28, v23
	v_lshlrev_b64_e32 v[30:31], v29, v[2:3]
	s_delay_alu instid0(VALU_DEP_1)
	v_dual_sub_nc_u32 v29, 29, v23 :: v_dual_bitop2_b32 v23, 7, v30 bitop3:0x40
; %bb.54:                               ;   in Loop: Header=BB266_9 Depth=1
	s_or_b32 exec_lo, exec_lo, s31
	s_delay_alu instid0(VALU_DEP_1) | instskip(NEXT) | instid1(VALU_DEP_2)
	v_dual_lshlrev_b32 v2, 8, v25 :: v_dual_lshlrev_b32 v23, 23, v23
	v_lshl_add_u32 v25, v29, 10, 0x2000
	s_delay_alu instid0(VALU_DEP_1) | instskip(NEXT) | instid1(VALU_DEP_1)
	v_and_or_b32 v2, 0x8000, v2, v25
	v_lshl_or_b32 v23, v2, 16, v23
.LBB266_55:                             ;   in Loop: Header=BB266_9 Depth=1
	s_or_b32 exec_lo, exec_lo, s30
.LBB266_56:                             ;   in Loop: Header=BB266_9 Depth=1
	s_delay_alu instid0(SALU_CYCLE_1)
	s_or_b32 exec_lo, exec_lo, s29
.LBB266_57:                             ;   in Loop: Header=BB266_9 Depth=1
	s_delay_alu instid0(SALU_CYCLE_1) | instskip(SKIP_3) | instid1(VALU_DEP_2)
	s_or_b32 exec_lo, exec_lo, s28
	v_dual_mov_b32 v25, 0 :: v_dual_lshrrev_b32 v2, 16, v10
	v_mov_b32_e32 v29, 0
	s_mov_b32 s28, exec_lo
	v_and_b32_e32 v30, 0xff, v2
	s_delay_alu instid0(VALU_DEP_1)
	v_cmpx_ne_u16_e32 0, v30
	s_cbranch_execz .LBB266_65
; %bb.58:                               ;   in Loop: Header=BB266_9 Depth=1
	v_mov_b32_e32 v29, 0x8000
	s_mov_b32 s29, exec_lo
	v_cmpx_ne_u16_e32 0x80, v30
	s_cbranch_execz .LBB266_64
; %bb.59:                               ;   in Loop: Header=BB266_9 Depth=1
	v_bfe_u32 v31, v10, 16, 7
	v_mov_b32_e32 v29, 0x7c01
	s_mov_b32 s30, exec_lo
	s_delay_alu instid0(VALU_DEP_2)
	v_cmpx_ne_u32_e32 0x7f, v31
	s_cbranch_execz .LBB266_63
; %bb.60:                               ;   in Loop: Header=BB266_9 Depth=1
	v_dual_lshrrev_b32 v30, 3, v31 :: v_dual_bitop2_b32 v29, 7, v2 bitop3:0x40
	s_mov_b32 s31, exec_lo
	v_cmpx_gt_u32_e32 8, v31
; %bb.61:                               ;   in Loop: Header=BB266_9 Depth=1
	s_delay_alu instid0(VALU_DEP_2) | instskip(NEXT) | instid1(VALU_DEP_1)
	v_clz_i32_u32_e32 v29, v29
	v_min_u32_e32 v29, 32, v29
	s_delay_alu instid0(VALU_DEP_1) | instskip(NEXT) | instid1(VALU_DEP_1)
	v_subrev_nc_u32_e32 v30, 28, v29
	v_lshlrev_b64_e32 v[32:33], v30, v[2:3]
	s_delay_alu instid0(VALU_DEP_1)
	v_dual_sub_nc_u32 v30, 29, v29 :: v_dual_bitop2_b32 v29, 7, v32 bitop3:0x40
; %bb.62:                               ;   in Loop: Header=BB266_9 Depth=1
	s_or_b32 exec_lo, exec_lo, s31
	s_delay_alu instid0(VALU_DEP_1) | instskip(NEXT) | instid1(VALU_DEP_2)
	v_dual_lshlrev_b32 v2, 8, v2 :: v_dual_lshlrev_b32 v29, 7, v29
	v_lshl_add_u32 v30, v30, 10, 0x2000
	s_delay_alu instid0(VALU_DEP_2) | instskip(NEXT) | instid1(VALU_DEP_2)
	v_and_b32_e32 v2, 0x8000, v2
	v_and_b32_e32 v30, 0xfc00, v30
	s_delay_alu instid0(VALU_DEP_1)
	v_or3_b32 v29, v2, v30, v29
.LBB266_63:                             ;   in Loop: Header=BB266_9 Depth=1
	s_or_b32 exec_lo, exec_lo, s30
.LBB266_64:                             ;   in Loop: Header=BB266_9 Depth=1
	s_delay_alu instid0(SALU_CYCLE_1)
	s_or_b32 exec_lo, exec_lo, s29
.LBB266_65:                             ;   in Loop: Header=BB266_9 Depth=1
	s_delay_alu instid0(SALU_CYCLE_1) | instskip(NEXT) | instid1(SALU_CYCLE_1)
	s_or_b32 exec_lo, exec_lo, s28
	s_mov_b32 s28, exec_lo
	v_cmpx_lt_u32_e32 0xffffff, v10
	s_cbranch_execz .LBB266_73
; %bb.66:                               ;   in Loop: Header=BB266_9 Depth=1
	v_lshrrev_b32_e32 v2, 24, v10
	v_bfrev_b32_e32 v25, 1
	s_mov_b32 s29, exec_lo
	s_delay_alu instid0(VALU_DEP_2)
	v_cmpx_ne_u32_e32 0x80, v2
	s_cbranch_execz .LBB266_72
; %bb.67:                               ;   in Loop: Header=BB266_9 Depth=1
	v_and_b32_e32 v30, 0x7f, v2
	v_mov_b32_e32 v25, 0x7c010000
	s_mov_b32 s30, exec_lo
	s_delay_alu instid0(VALU_DEP_2)
	v_cmpx_ne_u32_e32 0x7f, v30
	s_cbranch_execz .LBB266_71
; %bb.68:                               ;   in Loop: Header=BB266_9 Depth=1
	v_and_b32_e32 v10, 7, v2
	v_lshrrev_b32_e32 v25, 3, v30
	s_mov_b32 s31, exec_lo
	v_cmpx_gt_u32_e32 8, v30
; %bb.69:                               ;   in Loop: Header=BB266_9 Depth=1
	s_delay_alu instid0(VALU_DEP_3) | instskip(NEXT) | instid1(VALU_DEP_1)
	v_clz_i32_u32_e32 v10, v10
	v_min_u32_e32 v10, 32, v10
	s_delay_alu instid0(VALU_DEP_1) | instskip(NEXT) | instid1(VALU_DEP_1)
	v_subrev_nc_u32_e32 v25, 28, v10
	v_lshlrev_b64_e32 v[30:31], v25, v[2:3]
	v_sub_nc_u32_e32 v25, 29, v10
	s_delay_alu instid0(VALU_DEP_2)
	v_and_b32_e32 v10, 7, v30
; %bb.70:                               ;   in Loop: Header=BB266_9 Depth=1
	s_or_b32 exec_lo, exec_lo, s31
	v_lshlrev_b32_e32 v2, 8, v2
	s_delay_alu instid0(VALU_DEP_3) | instskip(NEXT) | instid1(VALU_DEP_3)
	v_lshl_add_u32 v25, v25, 10, 0x2000
	v_lshlrev_b32_e32 v10, 23, v10
	s_delay_alu instid0(VALU_DEP_2) | instskip(NEXT) | instid1(VALU_DEP_1)
	v_and_or_b32 v2, 0x8000, v2, v25
	v_lshl_or_b32 v25, v2, 16, v10
.LBB266_71:                             ;   in Loop: Header=BB266_9 Depth=1
	s_or_b32 exec_lo, exec_lo, s30
.LBB266_72:                             ;   in Loop: Header=BB266_9 Depth=1
	s_delay_alu instid0(SALU_CYCLE_1)
	s_or_b32 exec_lo, exec_lo, s29
.LBB266_73:                             ;   in Loop: Header=BB266_9 Depth=1
	s_delay_alu instid0(SALU_CYCLE_1)
	s_or_b32 exec_lo, exec_lo, s28
	global_load_b32 v10, v[8:9], off offset:256
	v_dual_mov_b32 v30, 0 :: v_dual_mov_b32 v31, 0
	s_mov_b32 s28, exec_lo
	s_wait_loadcnt 0x0
	v_and_b32_e32 v2, 0xff, v10
	s_delay_alu instid0(VALU_DEP_1)
	v_cmpx_ne_u16_e32 0, v2
	s_cbranch_execz .LBB266_81
; %bb.74:                               ;   in Loop: Header=BB266_9 Depth=1
	v_mov_b32_e32 v31, 0x8000
	s_mov_b32 s29, exec_lo
	v_cmpx_ne_u16_e32 0x80, v2
	s_cbranch_execz .LBB266_80
; %bb.75:                               ;   in Loop: Header=BB266_9 Depth=1
	v_and_b32_e32 v32, 0x7f, v10
	v_mov_b32_e32 v31, 0x7c01
	s_mov_b32 s30, exec_lo
	s_delay_alu instid0(VALU_DEP_2)
	v_cmpx_ne_u32_e32 0x7f, v32
	s_cbranch_execz .LBB266_79
; %bb.76:                               ;   in Loop: Header=BB266_9 Depth=1
	v_dual_lshrrev_b32 v31, 3, v32 :: v_dual_bitop2_b32 v2, 7, v10 bitop3:0x40
	s_mov_b32 s31, exec_lo
	v_cmpx_gt_u32_e32 8, v32
; %bb.77:                               ;   in Loop: Header=BB266_9 Depth=1
	s_delay_alu instid0(VALU_DEP_2) | instskip(NEXT) | instid1(VALU_DEP_1)
	v_clz_i32_u32_e32 v2, v2
	v_min_u32_e32 v2, 32, v2
	s_delay_alu instid0(VALU_DEP_1) | instskip(NEXT) | instid1(VALU_DEP_1)
	v_subrev_nc_u32_e32 v31, 28, v2
	v_lshlrev_b64_e32 v[32:33], v31, v[10:11]
	s_delay_alu instid0(VALU_DEP_1)
	v_dual_sub_nc_u32 v31, 29, v2 :: v_dual_bitop2_b32 v2, 7, v32 bitop3:0x40
; %bb.78:                               ;   in Loop: Header=BB266_9 Depth=1
	s_or_b32 exec_lo, exec_lo, s31
	v_lshlrev_b32_e32 v32, 8, v10
	s_delay_alu instid0(VALU_DEP_2) | instskip(NEXT) | instid1(VALU_DEP_3)
	v_lshl_add_u32 v31, v31, 10, 0x2000
	v_lshlrev_b32_e32 v2, 7, v2
	s_delay_alu instid0(VALU_DEP_3) | instskip(NEXT) | instid1(VALU_DEP_3)
	v_and_b32_e32 v32, 0x8000, v32
	v_and_b32_e32 v31, 0xfc00, v31
	s_delay_alu instid0(VALU_DEP_1)
	v_or3_b32 v31, v32, v31, v2
.LBB266_79:                             ;   in Loop: Header=BB266_9 Depth=1
	s_or_b32 exec_lo, exec_lo, s30
.LBB266_80:                             ;   in Loop: Header=BB266_9 Depth=1
	s_delay_alu instid0(SALU_CYCLE_1)
	s_or_b32 exec_lo, exec_lo, s29
.LBB266_81:                             ;   in Loop: Header=BB266_9 Depth=1
	s_delay_alu instid0(SALU_CYCLE_1) | instskip(SKIP_2) | instid1(VALU_DEP_1)
	s_or_b32 exec_lo, exec_lo, s28
	v_lshrrev_b16 v2, 8, v10
	s_mov_b32 s28, exec_lo
	v_cmpx_ne_u16_e32 0, v2
	s_cbranch_execz .LBB266_89
; %bb.82:                               ;   in Loop: Header=BB266_9 Depth=1
	v_bfrev_b32_e32 v30, 1
	s_mov_b32 s29, exec_lo
	v_cmpx_ne_u16_e32 0x80, v2
	s_cbranch_execz .LBB266_88
; %bb.83:                               ;   in Loop: Header=BB266_9 Depth=1
	v_and_b32_e32 v32, 0xffff, v2
	v_mov_b32_e32 v30, 0x7c010000
	s_mov_b32 s30, exec_lo
	s_delay_alu instid0(VALU_DEP_2) | instskip(NEXT) | instid1(VALU_DEP_1)
	v_and_b32_e32 v34, 0x7f, v32
	v_cmpx_ne_u32_e32 0x7f, v34
	s_cbranch_execz .LBB266_87
; %bb.84:                               ;   in Loop: Header=BB266_9 Depth=1
	v_dual_lshrrev_b32 v33, 3, v34 :: v_dual_bitop2_b32 v30, 7, v32 bitop3:0x40
	s_mov_b32 s31, exec_lo
	v_cmpx_gt_u32_e32 8, v34
; %bb.85:                               ;   in Loop: Header=BB266_9 Depth=1
	s_delay_alu instid0(VALU_DEP_2) | instskip(NEXT) | instid1(VALU_DEP_1)
	v_clz_i32_u32_e32 v30, v30
	v_min_u32_e32 v30, 32, v30
	s_delay_alu instid0(VALU_DEP_1) | instskip(NEXT) | instid1(VALU_DEP_1)
	v_subrev_nc_u32_e32 v33, 28, v30
	v_lshlrev_b64_e32 v[34:35], v33, v[2:3]
	v_sub_nc_u32_e32 v33, 29, v30
	s_delay_alu instid0(VALU_DEP_2)
	v_and_b32_e32 v30, 7, v34
; %bb.86:                               ;   in Loop: Header=BB266_9 Depth=1
	s_or_b32 exec_lo, exec_lo, s31
	s_delay_alu instid0(VALU_DEP_1) | instskip(NEXT) | instid1(VALU_DEP_3)
	v_dual_lshlrev_b32 v2, 8, v32 :: v_dual_lshlrev_b32 v30, 23, v30
	v_lshl_add_u32 v32, v33, 10, 0x2000
	s_delay_alu instid0(VALU_DEP_1) | instskip(NEXT) | instid1(VALU_DEP_1)
	v_and_or_b32 v2, 0x8000, v2, v32
	v_lshl_or_b32 v30, v2, 16, v30
.LBB266_87:                             ;   in Loop: Header=BB266_9 Depth=1
	s_or_b32 exec_lo, exec_lo, s30
.LBB266_88:                             ;   in Loop: Header=BB266_9 Depth=1
	s_delay_alu instid0(SALU_CYCLE_1)
	s_or_b32 exec_lo, exec_lo, s29
.LBB266_89:                             ;   in Loop: Header=BB266_9 Depth=1
	s_delay_alu instid0(SALU_CYCLE_1) | instskip(SKIP_3) | instid1(VALU_DEP_2)
	s_or_b32 exec_lo, exec_lo, s28
	v_dual_lshrrev_b32 v2, 16, v10 :: v_dual_mov_b32 v32, 0
	v_mov_b32_e32 v33, 0
	s_mov_b32 s28, exec_lo
	v_and_b32_e32 v34, 0xff, v2
	s_delay_alu instid0(VALU_DEP_1)
	v_cmpx_ne_u16_e32 0, v34
	s_cbranch_execz .LBB266_97
; %bb.90:                               ;   in Loop: Header=BB266_9 Depth=1
	v_mov_b32_e32 v33, 0x8000
	s_mov_b32 s29, exec_lo
	v_cmpx_ne_u16_e32 0x80, v34
	s_cbranch_execz .LBB266_96
; %bb.91:                               ;   in Loop: Header=BB266_9 Depth=1
	v_bfe_u32 v35, v10, 16, 7
	v_mov_b32_e32 v33, 0x7c01
	s_mov_b32 s30, exec_lo
	s_delay_alu instid0(VALU_DEP_2)
	v_cmpx_ne_u32_e32 0x7f, v35
	s_cbranch_execz .LBB266_95
; %bb.92:                               ;   in Loop: Header=BB266_9 Depth=1
	v_dual_lshrrev_b32 v34, 3, v35 :: v_dual_bitop2_b32 v33, 7, v2 bitop3:0x40
	s_mov_b32 s31, exec_lo
	v_cmpx_gt_u32_e32 8, v35
; %bb.93:                               ;   in Loop: Header=BB266_9 Depth=1
	s_delay_alu instid0(VALU_DEP_2) | instskip(NEXT) | instid1(VALU_DEP_1)
	v_clz_i32_u32_e32 v33, v33
	v_min_u32_e32 v33, 32, v33
	s_delay_alu instid0(VALU_DEP_1) | instskip(NEXT) | instid1(VALU_DEP_1)
	v_subrev_nc_u32_e32 v34, 28, v33
	v_lshlrev_b64_e32 v[36:37], v34, v[2:3]
	s_delay_alu instid0(VALU_DEP_1)
	v_dual_sub_nc_u32 v34, 29, v33 :: v_dual_bitop2_b32 v33, 7, v36 bitop3:0x40
; %bb.94:                               ;   in Loop: Header=BB266_9 Depth=1
	s_or_b32 exec_lo, exec_lo, s31
	s_delay_alu instid0(VALU_DEP_1) | instskip(NEXT) | instid1(VALU_DEP_2)
	v_dual_lshlrev_b32 v2, 8, v2 :: v_dual_lshlrev_b32 v33, 7, v33
	v_lshl_add_u32 v34, v34, 10, 0x2000
	s_delay_alu instid0(VALU_DEP_2) | instskip(NEXT) | instid1(VALU_DEP_2)
	v_and_b32_e32 v2, 0x8000, v2
	v_and_b32_e32 v34, 0xfc00, v34
	s_delay_alu instid0(VALU_DEP_1)
	v_or3_b32 v33, v2, v34, v33
.LBB266_95:                             ;   in Loop: Header=BB266_9 Depth=1
	s_or_b32 exec_lo, exec_lo, s30
.LBB266_96:                             ;   in Loop: Header=BB266_9 Depth=1
	s_delay_alu instid0(SALU_CYCLE_1)
	s_or_b32 exec_lo, exec_lo, s29
.LBB266_97:                             ;   in Loop: Header=BB266_9 Depth=1
	s_delay_alu instid0(SALU_CYCLE_1) | instskip(NEXT) | instid1(SALU_CYCLE_1)
	s_or_b32 exec_lo, exec_lo, s28
	s_mov_b32 s28, exec_lo
	v_cmpx_lt_u32_e32 0xffffff, v10
	s_cbranch_execz .LBB266_105
; %bb.98:                               ;   in Loop: Header=BB266_9 Depth=1
	v_lshrrev_b32_e32 v2, 24, v10
	v_bfrev_b32_e32 v32, 1
	s_mov_b32 s29, exec_lo
	s_delay_alu instid0(VALU_DEP_2)
	v_cmpx_ne_u32_e32 0x80, v2
	s_cbranch_execz .LBB266_104
; %bb.99:                               ;   in Loop: Header=BB266_9 Depth=1
	v_and_b32_e32 v34, 0x7f, v2
	v_mov_b32_e32 v32, 0x7c010000
	s_mov_b32 s30, exec_lo
	s_delay_alu instid0(VALU_DEP_2)
	v_cmpx_ne_u32_e32 0x7f, v34
	s_cbranch_execz .LBB266_103
; %bb.100:                              ;   in Loop: Header=BB266_9 Depth=1
	v_and_b32_e32 v10, 7, v2
	v_lshrrev_b32_e32 v32, 3, v34
	s_mov_b32 s31, exec_lo
	v_cmpx_gt_u32_e32 8, v34
; %bb.101:                              ;   in Loop: Header=BB266_9 Depth=1
	s_delay_alu instid0(VALU_DEP_3) | instskip(NEXT) | instid1(VALU_DEP_1)
	v_clz_i32_u32_e32 v10, v10
	v_min_u32_e32 v10, 32, v10
	s_delay_alu instid0(VALU_DEP_1) | instskip(NEXT) | instid1(VALU_DEP_1)
	v_subrev_nc_u32_e32 v32, 28, v10
	v_lshlrev_b64_e32 v[34:35], v32, v[2:3]
	v_sub_nc_u32_e32 v32, 29, v10
	s_delay_alu instid0(VALU_DEP_2)
	v_and_b32_e32 v10, 7, v34
; %bb.102:                              ;   in Loop: Header=BB266_9 Depth=1
	s_or_b32 exec_lo, exec_lo, s31
	v_lshlrev_b32_e32 v2, 8, v2
	s_delay_alu instid0(VALU_DEP_3) | instskip(NEXT) | instid1(VALU_DEP_3)
	v_lshl_add_u32 v32, v32, 10, 0x2000
	v_lshlrev_b32_e32 v10, 23, v10
	s_delay_alu instid0(VALU_DEP_2) | instskip(NEXT) | instid1(VALU_DEP_1)
	v_and_or_b32 v2, 0x8000, v2, v32
	v_lshl_or_b32 v32, v2, 16, v10
.LBB266_103:                            ;   in Loop: Header=BB266_9 Depth=1
	s_or_b32 exec_lo, exec_lo, s30
.LBB266_104:                            ;   in Loop: Header=BB266_9 Depth=1
	s_delay_alu instid0(SALU_CYCLE_1)
	s_or_b32 exec_lo, exec_lo, s29
.LBB266_105:                            ;   in Loop: Header=BB266_9 Depth=1
	s_delay_alu instid0(SALU_CYCLE_1)
	s_or_b32 exec_lo, exec_lo, s28
	global_load_b32 v10, v[8:9], off offset:264
	v_dual_mov_b32 v34, 0 :: v_dual_mov_b32 v35, 0
	s_mov_b32 s28, exec_lo
	s_wait_loadcnt 0x0
	v_and_b32_e32 v2, 0xff, v10
	s_delay_alu instid0(VALU_DEP_1)
	v_cmpx_ne_u16_e32 0, v2
	s_cbranch_execz .LBB266_113
; %bb.106:                              ;   in Loop: Header=BB266_9 Depth=1
	v_mov_b32_e32 v35, 0x8000
	s_mov_b32 s29, exec_lo
	v_cmpx_ne_u16_e32 0x80, v2
	s_cbranch_execz .LBB266_112
; %bb.107:                              ;   in Loop: Header=BB266_9 Depth=1
	v_and_b32_e32 v36, 0x7f, v10
	v_mov_b32_e32 v35, 0x7c01
	s_mov_b32 s30, exec_lo
	s_delay_alu instid0(VALU_DEP_2)
	v_cmpx_ne_u32_e32 0x7f, v36
	s_cbranch_execz .LBB266_111
; %bb.108:                              ;   in Loop: Header=BB266_9 Depth=1
	v_dual_lshrrev_b32 v35, 3, v36 :: v_dual_bitop2_b32 v2, 7, v10 bitop3:0x40
	s_mov_b32 s31, exec_lo
	v_cmpx_gt_u32_e32 8, v36
; %bb.109:                              ;   in Loop: Header=BB266_9 Depth=1
	s_delay_alu instid0(VALU_DEP_2) | instskip(NEXT) | instid1(VALU_DEP_1)
	v_clz_i32_u32_e32 v2, v2
	v_min_u32_e32 v2, 32, v2
	s_delay_alu instid0(VALU_DEP_1) | instskip(NEXT) | instid1(VALU_DEP_1)
	v_subrev_nc_u32_e32 v35, 28, v2
	v_lshlrev_b64_e32 v[36:37], v35, v[10:11]
	s_delay_alu instid0(VALU_DEP_1)
	v_dual_sub_nc_u32 v35, 29, v2 :: v_dual_bitop2_b32 v2, 7, v36 bitop3:0x40
; %bb.110:                              ;   in Loop: Header=BB266_9 Depth=1
	s_or_b32 exec_lo, exec_lo, s31
	v_lshlrev_b32_e32 v36, 8, v10
	s_delay_alu instid0(VALU_DEP_2) | instskip(NEXT) | instid1(VALU_DEP_3)
	v_lshl_add_u32 v35, v35, 10, 0x2000
	v_lshlrev_b32_e32 v2, 7, v2
	s_delay_alu instid0(VALU_DEP_3) | instskip(NEXT) | instid1(VALU_DEP_3)
	v_and_b32_e32 v36, 0x8000, v36
	v_and_b32_e32 v35, 0xfc00, v35
	s_delay_alu instid0(VALU_DEP_1)
	v_or3_b32 v35, v36, v35, v2
.LBB266_111:                            ;   in Loop: Header=BB266_9 Depth=1
	s_or_b32 exec_lo, exec_lo, s30
.LBB266_112:                            ;   in Loop: Header=BB266_9 Depth=1
	s_delay_alu instid0(SALU_CYCLE_1)
	s_or_b32 exec_lo, exec_lo, s29
.LBB266_113:                            ;   in Loop: Header=BB266_9 Depth=1
	s_delay_alu instid0(SALU_CYCLE_1) | instskip(SKIP_2) | instid1(VALU_DEP_1)
	s_or_b32 exec_lo, exec_lo, s28
	v_lshrrev_b16 v2, 8, v10
	s_mov_b32 s28, exec_lo
	v_cmpx_ne_u16_e32 0, v2
	s_cbranch_execz .LBB266_121
; %bb.114:                              ;   in Loop: Header=BB266_9 Depth=1
	v_bfrev_b32_e32 v34, 1
	s_mov_b32 s29, exec_lo
	v_cmpx_ne_u16_e32 0x80, v2
	s_cbranch_execz .LBB266_120
; %bb.115:                              ;   in Loop: Header=BB266_9 Depth=1
	v_and_b32_e32 v36, 0xffff, v2
	v_mov_b32_e32 v34, 0x7c010000
	s_mov_b32 s30, exec_lo
	s_delay_alu instid0(VALU_DEP_2) | instskip(NEXT) | instid1(VALU_DEP_1)
	v_and_b32_e32 v38, 0x7f, v36
	v_cmpx_ne_u32_e32 0x7f, v38
	s_cbranch_execz .LBB266_119
; %bb.116:                              ;   in Loop: Header=BB266_9 Depth=1
	v_dual_lshrrev_b32 v37, 3, v38 :: v_dual_bitop2_b32 v34, 7, v36 bitop3:0x40
	s_mov_b32 s31, exec_lo
	v_cmpx_gt_u32_e32 8, v38
; %bb.117:                              ;   in Loop: Header=BB266_9 Depth=1
	s_delay_alu instid0(VALU_DEP_2) | instskip(NEXT) | instid1(VALU_DEP_1)
	v_clz_i32_u32_e32 v34, v34
	v_min_u32_e32 v34, 32, v34
	s_delay_alu instid0(VALU_DEP_1) | instskip(NEXT) | instid1(VALU_DEP_1)
	v_subrev_nc_u32_e32 v37, 28, v34
	v_lshlrev_b64_e32 v[38:39], v37, v[2:3]
	v_sub_nc_u32_e32 v37, 29, v34
	s_delay_alu instid0(VALU_DEP_2)
	v_and_b32_e32 v34, 7, v38
; %bb.118:                              ;   in Loop: Header=BB266_9 Depth=1
	s_or_b32 exec_lo, exec_lo, s31
	s_delay_alu instid0(VALU_DEP_1) | instskip(NEXT) | instid1(VALU_DEP_3)
	v_dual_lshlrev_b32 v2, 8, v36 :: v_dual_lshlrev_b32 v34, 23, v34
	v_lshl_add_u32 v36, v37, 10, 0x2000
	s_delay_alu instid0(VALU_DEP_1) | instskip(NEXT) | instid1(VALU_DEP_1)
	v_and_or_b32 v2, 0x8000, v2, v36
	v_lshl_or_b32 v34, v2, 16, v34
.LBB266_119:                            ;   in Loop: Header=BB266_9 Depth=1
	s_or_b32 exec_lo, exec_lo, s30
.LBB266_120:                            ;   in Loop: Header=BB266_9 Depth=1
	s_delay_alu instid0(SALU_CYCLE_1)
	s_or_b32 exec_lo, exec_lo, s29
.LBB266_121:                            ;   in Loop: Header=BB266_9 Depth=1
	s_delay_alu instid0(SALU_CYCLE_1) | instskip(SKIP_3) | instid1(VALU_DEP_2)
	s_or_b32 exec_lo, exec_lo, s28
	v_dual_lshrrev_b32 v2, 16, v10 :: v_dual_mov_b32 v36, 0
	v_mov_b32_e32 v37, 0
	s_mov_b32 s28, exec_lo
	v_and_b32_e32 v38, 0xff, v2
	s_delay_alu instid0(VALU_DEP_1)
	v_cmpx_ne_u16_e32 0, v38
	s_cbranch_execz .LBB266_129
; %bb.122:                              ;   in Loop: Header=BB266_9 Depth=1
	v_mov_b32_e32 v37, 0x8000
	s_mov_b32 s29, exec_lo
	v_cmpx_ne_u16_e32 0x80, v38
	s_cbranch_execz .LBB266_128
; %bb.123:                              ;   in Loop: Header=BB266_9 Depth=1
	v_bfe_u32 v39, v10, 16, 7
	v_mov_b32_e32 v37, 0x7c01
	s_mov_b32 s30, exec_lo
	s_delay_alu instid0(VALU_DEP_2)
	v_cmpx_ne_u32_e32 0x7f, v39
	s_cbranch_execz .LBB266_127
; %bb.124:                              ;   in Loop: Header=BB266_9 Depth=1
	v_dual_lshrrev_b32 v38, 3, v39 :: v_dual_bitop2_b32 v37, 7, v2 bitop3:0x40
	s_mov_b32 s31, exec_lo
	v_cmpx_gt_u32_e32 8, v39
; %bb.125:                              ;   in Loop: Header=BB266_9 Depth=1
	s_delay_alu instid0(VALU_DEP_2) | instskip(NEXT) | instid1(VALU_DEP_1)
	v_clz_i32_u32_e32 v37, v37
	v_min_u32_e32 v37, 32, v37
	s_delay_alu instid0(VALU_DEP_1) | instskip(NEXT) | instid1(VALU_DEP_1)
	v_subrev_nc_u32_e32 v38, 28, v37
	v_lshlrev_b64_e32 v[40:41], v38, v[2:3]
	s_delay_alu instid0(VALU_DEP_1)
	v_dual_sub_nc_u32 v38, 29, v37 :: v_dual_bitop2_b32 v37, 7, v40 bitop3:0x40
; %bb.126:                              ;   in Loop: Header=BB266_9 Depth=1
	s_or_b32 exec_lo, exec_lo, s31
	s_delay_alu instid0(VALU_DEP_1) | instskip(NEXT) | instid1(VALU_DEP_2)
	v_dual_lshlrev_b32 v2, 8, v2 :: v_dual_lshlrev_b32 v37, 7, v37
	v_lshl_add_u32 v38, v38, 10, 0x2000
	s_delay_alu instid0(VALU_DEP_2) | instskip(NEXT) | instid1(VALU_DEP_2)
	v_and_b32_e32 v2, 0x8000, v2
	v_and_b32_e32 v38, 0xfc00, v38
	s_delay_alu instid0(VALU_DEP_1)
	v_or3_b32 v37, v2, v38, v37
.LBB266_127:                            ;   in Loop: Header=BB266_9 Depth=1
	s_or_b32 exec_lo, exec_lo, s30
.LBB266_128:                            ;   in Loop: Header=BB266_9 Depth=1
	s_delay_alu instid0(SALU_CYCLE_1)
	s_or_b32 exec_lo, exec_lo, s29
.LBB266_129:                            ;   in Loop: Header=BB266_9 Depth=1
	s_delay_alu instid0(SALU_CYCLE_1) | instskip(NEXT) | instid1(SALU_CYCLE_1)
	s_or_b32 exec_lo, exec_lo, s28
	s_mov_b32 s28, exec_lo
	v_cmpx_lt_u32_e32 0xffffff, v10
	s_cbranch_execz .LBB266_137
; %bb.130:                              ;   in Loop: Header=BB266_9 Depth=1
	v_lshrrev_b32_e32 v2, 24, v10
	v_bfrev_b32_e32 v36, 1
	s_mov_b32 s29, exec_lo
	s_delay_alu instid0(VALU_DEP_2)
	v_cmpx_ne_u32_e32 0x80, v2
	s_cbranch_execz .LBB266_136
; %bb.131:                              ;   in Loop: Header=BB266_9 Depth=1
	v_and_b32_e32 v38, 0x7f, v2
	v_mov_b32_e32 v36, 0x7c010000
	s_mov_b32 s30, exec_lo
	s_delay_alu instid0(VALU_DEP_2)
	v_cmpx_ne_u32_e32 0x7f, v38
	s_cbranch_execz .LBB266_135
; %bb.132:                              ;   in Loop: Header=BB266_9 Depth=1
	v_and_b32_e32 v10, 7, v2
	v_lshrrev_b32_e32 v36, 3, v38
	s_mov_b32 s31, exec_lo
	v_cmpx_gt_u32_e32 8, v38
; %bb.133:                              ;   in Loop: Header=BB266_9 Depth=1
	s_delay_alu instid0(VALU_DEP_3) | instskip(NEXT) | instid1(VALU_DEP_1)
	v_clz_i32_u32_e32 v10, v10
	v_min_u32_e32 v10, 32, v10
	s_delay_alu instid0(VALU_DEP_1) | instskip(NEXT) | instid1(VALU_DEP_1)
	v_subrev_nc_u32_e32 v36, 28, v10
	v_lshlrev_b64_e32 v[38:39], v36, v[2:3]
	v_sub_nc_u32_e32 v36, 29, v10
	s_delay_alu instid0(VALU_DEP_2)
	v_and_b32_e32 v10, 7, v38
; %bb.134:                              ;   in Loop: Header=BB266_9 Depth=1
	s_or_b32 exec_lo, exec_lo, s31
	v_lshlrev_b32_e32 v2, 8, v2
	s_delay_alu instid0(VALU_DEP_3) | instskip(NEXT) | instid1(VALU_DEP_3)
	v_lshl_add_u32 v36, v36, 10, 0x2000
	v_lshlrev_b32_e32 v10, 23, v10
	s_delay_alu instid0(VALU_DEP_2) | instskip(NEXT) | instid1(VALU_DEP_1)
	v_and_or_b32 v2, 0x8000, v2, v36
	v_lshl_or_b32 v36, v2, 16, v10
.LBB266_135:                            ;   in Loop: Header=BB266_9 Depth=1
	s_or_b32 exec_lo, exec_lo, s30
.LBB266_136:                            ;   in Loop: Header=BB266_9 Depth=1
	s_delay_alu instid0(SALU_CYCLE_1)
	s_or_b32 exec_lo, exec_lo, s29
.LBB266_137:                            ;   in Loop: Header=BB266_9 Depth=1
	s_delay_alu instid0(SALU_CYCLE_1)
	s_or_b32 exec_lo, exec_lo, s28
	global_load_b32 v10, v[8:9], off offset:512
	v_dual_mov_b32 v38, 0 :: v_dual_mov_b32 v39, 0
	s_mov_b32 s28, exec_lo
	s_wait_loadcnt 0x0
	v_and_b32_e32 v2, 0xff, v10
	s_delay_alu instid0(VALU_DEP_1)
	v_cmpx_ne_u16_e32 0, v2
	s_cbranch_execz .LBB266_145
; %bb.138:                              ;   in Loop: Header=BB266_9 Depth=1
	v_mov_b32_e32 v39, 0x8000
	s_mov_b32 s29, exec_lo
	v_cmpx_ne_u16_e32 0x80, v2
	s_cbranch_execz .LBB266_144
; %bb.139:                              ;   in Loop: Header=BB266_9 Depth=1
	v_and_b32_e32 v40, 0x7f, v10
	v_mov_b32_e32 v39, 0x7c01
	s_mov_b32 s30, exec_lo
	s_delay_alu instid0(VALU_DEP_2)
	v_cmpx_ne_u32_e32 0x7f, v40
	s_cbranch_execz .LBB266_143
; %bb.140:                              ;   in Loop: Header=BB266_9 Depth=1
	v_dual_lshrrev_b32 v39, 3, v40 :: v_dual_bitop2_b32 v2, 7, v10 bitop3:0x40
	s_mov_b32 s31, exec_lo
	v_cmpx_gt_u32_e32 8, v40
; %bb.141:                              ;   in Loop: Header=BB266_9 Depth=1
	s_delay_alu instid0(VALU_DEP_2) | instskip(NEXT) | instid1(VALU_DEP_1)
	v_clz_i32_u32_e32 v2, v2
	v_min_u32_e32 v2, 32, v2
	s_delay_alu instid0(VALU_DEP_1) | instskip(NEXT) | instid1(VALU_DEP_1)
	v_subrev_nc_u32_e32 v39, 28, v2
	v_lshlrev_b64_e32 v[40:41], v39, v[10:11]
	s_delay_alu instid0(VALU_DEP_1)
	v_dual_sub_nc_u32 v39, 29, v2 :: v_dual_bitop2_b32 v2, 7, v40 bitop3:0x40
; %bb.142:                              ;   in Loop: Header=BB266_9 Depth=1
	s_or_b32 exec_lo, exec_lo, s31
	v_lshlrev_b32_e32 v40, 8, v10
	s_delay_alu instid0(VALU_DEP_2) | instskip(NEXT) | instid1(VALU_DEP_3)
	v_lshl_add_u32 v39, v39, 10, 0x2000
	v_lshlrev_b32_e32 v2, 7, v2
	s_delay_alu instid0(VALU_DEP_3) | instskip(NEXT) | instid1(VALU_DEP_3)
	v_and_b32_e32 v40, 0x8000, v40
	v_and_b32_e32 v39, 0xfc00, v39
	s_delay_alu instid0(VALU_DEP_1)
	v_or3_b32 v39, v40, v39, v2
.LBB266_143:                            ;   in Loop: Header=BB266_9 Depth=1
	s_or_b32 exec_lo, exec_lo, s30
.LBB266_144:                            ;   in Loop: Header=BB266_9 Depth=1
	s_delay_alu instid0(SALU_CYCLE_1)
	s_or_b32 exec_lo, exec_lo, s29
.LBB266_145:                            ;   in Loop: Header=BB266_9 Depth=1
	s_delay_alu instid0(SALU_CYCLE_1) | instskip(SKIP_2) | instid1(VALU_DEP_1)
	s_or_b32 exec_lo, exec_lo, s28
	v_lshrrev_b16 v2, 8, v10
	s_mov_b32 s28, exec_lo
	v_cmpx_ne_u16_e32 0, v2
	s_cbranch_execz .LBB266_153
; %bb.146:                              ;   in Loop: Header=BB266_9 Depth=1
	v_bfrev_b32_e32 v38, 1
	s_mov_b32 s29, exec_lo
	v_cmpx_ne_u16_e32 0x80, v2
	s_cbranch_execz .LBB266_152
; %bb.147:                              ;   in Loop: Header=BB266_9 Depth=1
	v_and_b32_e32 v40, 0xffff, v2
	v_mov_b32_e32 v38, 0x7c010000
	s_mov_b32 s30, exec_lo
	s_delay_alu instid0(VALU_DEP_2) | instskip(NEXT) | instid1(VALU_DEP_1)
	v_and_b32_e32 v42, 0x7f, v40
	v_cmpx_ne_u32_e32 0x7f, v42
	s_cbranch_execz .LBB266_151
; %bb.148:                              ;   in Loop: Header=BB266_9 Depth=1
	v_dual_lshrrev_b32 v41, 3, v42 :: v_dual_bitop2_b32 v38, 7, v40 bitop3:0x40
	s_mov_b32 s31, exec_lo
	v_cmpx_gt_u32_e32 8, v42
; %bb.149:                              ;   in Loop: Header=BB266_9 Depth=1
	s_delay_alu instid0(VALU_DEP_2) | instskip(NEXT) | instid1(VALU_DEP_1)
	v_clz_i32_u32_e32 v38, v38
	v_min_u32_e32 v38, 32, v38
	s_delay_alu instid0(VALU_DEP_1) | instskip(NEXT) | instid1(VALU_DEP_1)
	v_subrev_nc_u32_e32 v41, 28, v38
	v_lshlrev_b64_e32 v[42:43], v41, v[2:3]
	v_sub_nc_u32_e32 v41, 29, v38
	s_delay_alu instid0(VALU_DEP_2)
	v_and_b32_e32 v38, 7, v42
; %bb.150:                              ;   in Loop: Header=BB266_9 Depth=1
	s_or_b32 exec_lo, exec_lo, s31
	s_delay_alu instid0(VALU_DEP_1) | instskip(NEXT) | instid1(VALU_DEP_3)
	v_dual_lshlrev_b32 v2, 8, v40 :: v_dual_lshlrev_b32 v38, 23, v38
	v_lshl_add_u32 v40, v41, 10, 0x2000
	s_delay_alu instid0(VALU_DEP_1) | instskip(NEXT) | instid1(VALU_DEP_1)
	v_and_or_b32 v2, 0x8000, v2, v40
	v_lshl_or_b32 v38, v2, 16, v38
.LBB266_151:                            ;   in Loop: Header=BB266_9 Depth=1
	s_or_b32 exec_lo, exec_lo, s30
.LBB266_152:                            ;   in Loop: Header=BB266_9 Depth=1
	s_delay_alu instid0(SALU_CYCLE_1)
	s_or_b32 exec_lo, exec_lo, s29
.LBB266_153:                            ;   in Loop: Header=BB266_9 Depth=1
	s_delay_alu instid0(SALU_CYCLE_1) | instskip(SKIP_3) | instid1(VALU_DEP_2)
	s_or_b32 exec_lo, exec_lo, s28
	v_dual_lshrrev_b32 v2, 16, v10 :: v_dual_mov_b32 v42, 0
	v_mov_b32_e32 v43, 0
	s_mov_b32 s28, exec_lo
	v_and_b32_e32 v40, 0xff, v2
	s_delay_alu instid0(VALU_DEP_1)
	v_cmpx_ne_u16_e32 0, v40
	s_cbranch_execz .LBB266_161
; %bb.154:                              ;   in Loop: Header=BB266_9 Depth=1
	v_mov_b32_e32 v43, 0x8000
	s_mov_b32 s29, exec_lo
	v_cmpx_ne_u16_e32 0x80, v40
	s_cbranch_execz .LBB266_160
; %bb.155:                              ;   in Loop: Header=BB266_9 Depth=1
	v_bfe_u32 v44, v10, 16, 7
	v_mov_b32_e32 v43, 0x7c01
	s_mov_b32 s30, exec_lo
	s_delay_alu instid0(VALU_DEP_2)
	v_cmpx_ne_u32_e32 0x7f, v44
	s_cbranch_execz .LBB266_159
; %bb.156:                              ;   in Loop: Header=BB266_9 Depth=1
	v_dual_lshrrev_b32 v41, 3, v44 :: v_dual_bitop2_b32 v40, 7, v2 bitop3:0x40
	s_mov_b32 s31, exec_lo
	v_cmpx_gt_u32_e32 8, v44
; %bb.157:                              ;   in Loop: Header=BB266_9 Depth=1
	s_delay_alu instid0(VALU_DEP_2) | instskip(NEXT) | instid1(VALU_DEP_1)
	v_clz_i32_u32_e32 v40, v40
	v_min_u32_e32 v43, 32, v40
	s_delay_alu instid0(VALU_DEP_1) | instskip(NEXT) | instid1(VALU_DEP_1)
	v_subrev_nc_u32_e32 v40, 28, v43
	v_lshlrev_b64_e32 v[40:41], v40, v[2:3]
	s_delay_alu instid0(VALU_DEP_1)
	v_dual_sub_nc_u32 v41, 29, v43 :: v_dual_bitop2_b32 v40, 7, v40 bitop3:0x40
; %bb.158:                              ;   in Loop: Header=BB266_9 Depth=1
	s_or_b32 exec_lo, exec_lo, s31
	s_delay_alu instid0(VALU_DEP_1) | instskip(NEXT) | instid1(VALU_DEP_2)
	v_dual_lshlrev_b32 v2, 8, v2 :: v_dual_lshlrev_b32 v40, 7, v40
	v_lshl_add_u32 v41, v41, 10, 0x2000
	s_delay_alu instid0(VALU_DEP_2) | instskip(NEXT) | instid1(VALU_DEP_2)
	v_and_b32_e32 v2, 0x8000, v2
	v_and_b32_e32 v41, 0xfc00, v41
	s_delay_alu instid0(VALU_DEP_1)
	v_or3_b32 v43, v2, v41, v40
.LBB266_159:                            ;   in Loop: Header=BB266_9 Depth=1
	s_or_b32 exec_lo, exec_lo, s30
.LBB266_160:                            ;   in Loop: Header=BB266_9 Depth=1
	s_delay_alu instid0(SALU_CYCLE_1)
	s_or_b32 exec_lo, exec_lo, s29
.LBB266_161:                            ;   in Loop: Header=BB266_9 Depth=1
	s_delay_alu instid0(SALU_CYCLE_1) | instskip(NEXT) | instid1(SALU_CYCLE_1)
	s_or_b32 exec_lo, exec_lo, s28
	s_mov_b32 s28, exec_lo
	v_cmpx_lt_u32_e32 0xffffff, v10
	s_cbranch_execz .LBB266_169
; %bb.162:                              ;   in Loop: Header=BB266_9 Depth=1
	v_lshrrev_b32_e32 v2, 24, v10
	v_bfrev_b32_e32 v42, 1
	s_mov_b32 s29, exec_lo
	s_delay_alu instid0(VALU_DEP_2)
	v_cmpx_ne_u32_e32 0x80, v2
	s_cbranch_execz .LBB266_168
; %bb.163:                              ;   in Loop: Header=BB266_9 Depth=1
	v_and_b32_e32 v41, 0x7f, v2
	v_mov_b32_e32 v42, 0x7c010000
	s_mov_b32 s30, exec_lo
	s_delay_alu instid0(VALU_DEP_2)
	v_cmpx_ne_u32_e32 0x7f, v41
	s_cbranch_execz .LBB266_167
; %bb.164:                              ;   in Loop: Header=BB266_9 Depth=1
	v_dual_lshrrev_b32 v40, 3, v41 :: v_dual_bitop2_b32 v10, 7, v2 bitop3:0x40
	s_mov_b32 s31, exec_lo
	v_cmpx_gt_u32_e32 8, v41
; %bb.165:                              ;   in Loop: Header=BB266_9 Depth=1
	s_delay_alu instid0(VALU_DEP_2) | instskip(NEXT) | instid1(VALU_DEP_1)
	v_clz_i32_u32_e32 v10, v10
	v_min_u32_e32 v10, 32, v10
	s_delay_alu instid0(VALU_DEP_1) | instskip(NEXT) | instid1(VALU_DEP_1)
	v_subrev_nc_u32_e32 v40, 28, v10
	v_lshlrev_b64_e32 v[44:45], v40, v[2:3]
	s_delay_alu instid0(VALU_DEP_1)
	v_dual_sub_nc_u32 v40, 29, v10 :: v_dual_bitop2_b32 v10, 7, v44 bitop3:0x40
; %bb.166:                              ;   in Loop: Header=BB266_9 Depth=1
	s_or_b32 exec_lo, exec_lo, s31
	v_lshlrev_b32_e32 v2, 8, v2
	s_delay_alu instid0(VALU_DEP_2) | instskip(NEXT) | instid1(VALU_DEP_3)
	v_lshl_add_u32 v40, v40, 10, 0x2000
	v_lshlrev_b32_e32 v10, 23, v10
	s_delay_alu instid0(VALU_DEP_2) | instskip(NEXT) | instid1(VALU_DEP_1)
	v_and_or_b32 v2, 0x8000, v2, v40
	v_lshl_or_b32 v42, v2, 16, v10
.LBB266_167:                            ;   in Loop: Header=BB266_9 Depth=1
	s_or_b32 exec_lo, exec_lo, s30
.LBB266_168:                            ;   in Loop: Header=BB266_9 Depth=1
	s_delay_alu instid0(SALU_CYCLE_1)
	s_or_b32 exec_lo, exec_lo, s29
.LBB266_169:                            ;   in Loop: Header=BB266_9 Depth=1
	s_delay_alu instid0(SALU_CYCLE_1)
	s_or_b32 exec_lo, exec_lo, s28
	global_load_b32 v10, v[8:9], off offset:520
	v_dual_mov_b32 v40, 0 :: v_dual_mov_b32 v41, 0
	s_mov_b32 s28, exec_lo
	s_wait_loadcnt 0x0
	v_and_b32_e32 v2, 0xff, v10
	s_delay_alu instid0(VALU_DEP_1)
	v_cmpx_ne_u16_e32 0, v2
	s_cbranch_execz .LBB266_177
; %bb.170:                              ;   in Loop: Header=BB266_9 Depth=1
	v_mov_b32_e32 v41, 0x8000
	s_mov_b32 s29, exec_lo
	v_cmpx_ne_u16_e32 0x80, v2
	s_cbranch_execz .LBB266_176
; %bb.171:                              ;   in Loop: Header=BB266_9 Depth=1
	v_and_b32_e32 v44, 0x7f, v10
	v_mov_b32_e32 v41, 0x7c01
	s_mov_b32 s30, exec_lo
	s_delay_alu instid0(VALU_DEP_2)
	v_cmpx_ne_u32_e32 0x7f, v44
	s_cbranch_execz .LBB266_175
; %bb.172:                              ;   in Loop: Header=BB266_9 Depth=1
	v_dual_lshrrev_b32 v41, 3, v44 :: v_dual_bitop2_b32 v2, 7, v10 bitop3:0x40
	s_mov_b32 s31, exec_lo
	v_cmpx_gt_u32_e32 8, v44
; %bb.173:                              ;   in Loop: Header=BB266_9 Depth=1
	s_delay_alu instid0(VALU_DEP_2) | instskip(NEXT) | instid1(VALU_DEP_1)
	v_clz_i32_u32_e32 v2, v2
	v_min_u32_e32 v2, 32, v2
	s_delay_alu instid0(VALU_DEP_1) | instskip(NEXT) | instid1(VALU_DEP_1)
	v_subrev_nc_u32_e32 v41, 28, v2
	v_lshlrev_b64_e32 v[44:45], v41, v[10:11]
	s_delay_alu instid0(VALU_DEP_1)
	v_dual_sub_nc_u32 v41, 29, v2 :: v_dual_bitop2_b32 v2, 7, v44 bitop3:0x40
; %bb.174:                              ;   in Loop: Header=BB266_9 Depth=1
	s_or_b32 exec_lo, exec_lo, s31
	v_lshlrev_b32_e32 v44, 8, v10
	s_delay_alu instid0(VALU_DEP_2) | instskip(NEXT) | instid1(VALU_DEP_3)
	v_lshl_add_u32 v41, v41, 10, 0x2000
	v_lshlrev_b32_e32 v2, 7, v2
	s_delay_alu instid0(VALU_DEP_3) | instskip(NEXT) | instid1(VALU_DEP_3)
	v_and_b32_e32 v44, 0x8000, v44
	v_and_b32_e32 v41, 0xfc00, v41
	s_delay_alu instid0(VALU_DEP_1)
	v_or3_b32 v41, v44, v41, v2
.LBB266_175:                            ;   in Loop: Header=BB266_9 Depth=1
	s_or_b32 exec_lo, exec_lo, s30
.LBB266_176:                            ;   in Loop: Header=BB266_9 Depth=1
	s_delay_alu instid0(SALU_CYCLE_1)
	s_or_b32 exec_lo, exec_lo, s29
.LBB266_177:                            ;   in Loop: Header=BB266_9 Depth=1
	s_delay_alu instid0(SALU_CYCLE_1) | instskip(SKIP_2) | instid1(VALU_DEP_1)
	s_or_b32 exec_lo, exec_lo, s28
	v_lshrrev_b16 v2, 8, v10
	s_mov_b32 s28, exec_lo
	v_cmpx_ne_u16_e32 0, v2
	s_cbranch_execz .LBB266_185
; %bb.178:                              ;   in Loop: Header=BB266_9 Depth=1
	v_bfrev_b32_e32 v40, 1
	s_mov_b32 s29, exec_lo
	v_cmpx_ne_u16_e32 0x80, v2
	s_cbranch_execz .LBB266_184
; %bb.179:                              ;   in Loop: Header=BB266_9 Depth=1
	v_and_b32_e32 v44, 0xffff, v2
	v_mov_b32_e32 v40, 0x7c010000
	s_mov_b32 s30, exec_lo
	s_delay_alu instid0(VALU_DEP_2) | instskip(NEXT) | instid1(VALU_DEP_1)
	v_and_b32_e32 v46, 0x7f, v44
	v_cmpx_ne_u32_e32 0x7f, v46
	s_cbranch_execz .LBB266_183
; %bb.180:                              ;   in Loop: Header=BB266_9 Depth=1
	v_dual_lshrrev_b32 v45, 3, v46 :: v_dual_bitop2_b32 v40, 7, v44 bitop3:0x40
	s_mov_b32 s31, exec_lo
	v_cmpx_gt_u32_e32 8, v46
; %bb.181:                              ;   in Loop: Header=BB266_9 Depth=1
	s_delay_alu instid0(VALU_DEP_2) | instskip(NEXT) | instid1(VALU_DEP_1)
	v_clz_i32_u32_e32 v40, v40
	v_min_u32_e32 v40, 32, v40
	s_delay_alu instid0(VALU_DEP_1) | instskip(NEXT) | instid1(VALU_DEP_1)
	v_subrev_nc_u32_e32 v45, 28, v40
	v_lshlrev_b64_e32 v[46:47], v45, v[2:3]
	s_delay_alu instid0(VALU_DEP_1)
	v_dual_sub_nc_u32 v45, 29, v40 :: v_dual_bitop2_b32 v40, 7, v46 bitop3:0x40
; %bb.182:                              ;   in Loop: Header=BB266_9 Depth=1
	s_or_b32 exec_lo, exec_lo, s31
	v_lshlrev_b32_e32 v2, 8, v44
	s_delay_alu instid0(VALU_DEP_2) | instskip(NEXT) | instid1(VALU_DEP_3)
	v_lshl_add_u32 v44, v45, 10, 0x2000
	v_lshlrev_b32_e32 v40, 23, v40
	s_delay_alu instid0(VALU_DEP_2) | instskip(NEXT) | instid1(VALU_DEP_1)
	v_and_or_b32 v2, 0x8000, v2, v44
	v_lshl_or_b32 v40, v2, 16, v40
.LBB266_183:                            ;   in Loop: Header=BB266_9 Depth=1
	s_or_b32 exec_lo, exec_lo, s30
.LBB266_184:                            ;   in Loop: Header=BB266_9 Depth=1
	s_delay_alu instid0(SALU_CYCLE_1)
	s_or_b32 exec_lo, exec_lo, s29
.LBB266_185:                            ;   in Loop: Header=BB266_9 Depth=1
	s_delay_alu instid0(SALU_CYCLE_1) | instskip(SKIP_3) | instid1(VALU_DEP_2)
	s_or_b32 exec_lo, exec_lo, s28
	v_dual_lshrrev_b32 v2, 16, v10 :: v_dual_mov_b32 v44, 0
	v_mov_b32_e32 v45, 0
	s_mov_b32 s28, exec_lo
	v_and_b32_e32 v46, 0xff, v2
	s_delay_alu instid0(VALU_DEP_1)
	v_cmpx_ne_u16_e32 0, v46
	s_cbranch_execz .LBB266_193
; %bb.186:                              ;   in Loop: Header=BB266_9 Depth=1
	v_mov_b32_e32 v45, 0x8000
	s_mov_b32 s29, exec_lo
	v_cmpx_ne_u16_e32 0x80, v46
	s_cbranch_execz .LBB266_192
; %bb.187:                              ;   in Loop: Header=BB266_9 Depth=1
	v_bfe_u32 v47, v10, 16, 7
	v_mov_b32_e32 v45, 0x7c01
	s_mov_b32 s30, exec_lo
	s_delay_alu instid0(VALU_DEP_2)
	v_cmpx_ne_u32_e32 0x7f, v47
	s_cbranch_execz .LBB266_191
; %bb.188:                              ;   in Loop: Header=BB266_9 Depth=1
	v_dual_lshrrev_b32 v46, 3, v47 :: v_dual_bitop2_b32 v45, 7, v2 bitop3:0x40
	s_mov_b32 s31, exec_lo
	v_cmpx_gt_u32_e32 8, v47
; %bb.189:                              ;   in Loop: Header=BB266_9 Depth=1
	s_delay_alu instid0(VALU_DEP_2) | instskip(NEXT) | instid1(VALU_DEP_1)
	v_clz_i32_u32_e32 v45, v45
	v_min_u32_e32 v45, 32, v45
	s_delay_alu instid0(VALU_DEP_1) | instskip(NEXT) | instid1(VALU_DEP_1)
	v_subrev_nc_u32_e32 v46, 28, v45
	v_lshlrev_b64_e32 v[48:49], v46, v[2:3]
	s_delay_alu instid0(VALU_DEP_1)
	v_dual_sub_nc_u32 v46, 29, v45 :: v_dual_bitop2_b32 v45, 7, v48 bitop3:0x40
; %bb.190:                              ;   in Loop: Header=BB266_9 Depth=1
	s_or_b32 exec_lo, exec_lo, s31
	s_delay_alu instid0(VALU_DEP_1) | instskip(NEXT) | instid1(VALU_DEP_2)
	v_dual_lshlrev_b32 v2, 8, v2 :: v_dual_lshlrev_b32 v45, 7, v45
	v_lshl_add_u32 v46, v46, 10, 0x2000
	s_delay_alu instid0(VALU_DEP_2) | instskip(NEXT) | instid1(VALU_DEP_2)
	v_and_b32_e32 v2, 0x8000, v2
	v_and_b32_e32 v46, 0xfc00, v46
	s_delay_alu instid0(VALU_DEP_1)
	v_or3_b32 v45, v2, v46, v45
.LBB266_191:                            ;   in Loop: Header=BB266_9 Depth=1
	s_or_b32 exec_lo, exec_lo, s30
.LBB266_192:                            ;   in Loop: Header=BB266_9 Depth=1
	s_delay_alu instid0(SALU_CYCLE_1)
	s_or_b32 exec_lo, exec_lo, s29
.LBB266_193:                            ;   in Loop: Header=BB266_9 Depth=1
	s_delay_alu instid0(SALU_CYCLE_1) | instskip(NEXT) | instid1(SALU_CYCLE_1)
	s_or_b32 exec_lo, exec_lo, s28
	s_mov_b32 s28, exec_lo
	v_cmpx_lt_u32_e32 0xffffff, v10
	s_cbranch_execz .LBB266_201
; %bb.194:                              ;   in Loop: Header=BB266_9 Depth=1
	v_lshrrev_b32_e32 v2, 24, v10
	v_bfrev_b32_e32 v44, 1
	s_mov_b32 s29, exec_lo
	s_delay_alu instid0(VALU_DEP_2)
	v_cmpx_ne_u32_e32 0x80, v2
	s_cbranch_execz .LBB266_200
; %bb.195:                              ;   in Loop: Header=BB266_9 Depth=1
	v_and_b32_e32 v46, 0x7f, v2
	v_mov_b32_e32 v44, 0x7c010000
	s_mov_b32 s30, exec_lo
	s_delay_alu instid0(VALU_DEP_2)
	v_cmpx_ne_u32_e32 0x7f, v46
	s_cbranch_execz .LBB266_199
; %bb.196:                              ;   in Loop: Header=BB266_9 Depth=1
	v_and_b32_e32 v10, 7, v2
	v_lshrrev_b32_e32 v44, 3, v46
	s_mov_b32 s31, exec_lo
	v_cmpx_gt_u32_e32 8, v46
; %bb.197:                              ;   in Loop: Header=BB266_9 Depth=1
	s_delay_alu instid0(VALU_DEP_3) | instskip(NEXT) | instid1(VALU_DEP_1)
	v_clz_i32_u32_e32 v10, v10
	v_min_u32_e32 v10, 32, v10
	s_delay_alu instid0(VALU_DEP_1) | instskip(NEXT) | instid1(VALU_DEP_1)
	v_subrev_nc_u32_e32 v44, 28, v10
	v_lshlrev_b64_e32 v[46:47], v44, v[2:3]
	v_sub_nc_u32_e32 v44, 29, v10
	s_delay_alu instid0(VALU_DEP_2)
	v_and_b32_e32 v10, 7, v46
; %bb.198:                              ;   in Loop: Header=BB266_9 Depth=1
	s_or_b32 exec_lo, exec_lo, s31
	v_lshlrev_b32_e32 v2, 8, v2
	s_delay_alu instid0(VALU_DEP_3) | instskip(NEXT) | instid1(VALU_DEP_3)
	v_lshl_add_u32 v44, v44, 10, 0x2000
	v_lshlrev_b32_e32 v10, 23, v10
	s_delay_alu instid0(VALU_DEP_2) | instskip(NEXT) | instid1(VALU_DEP_1)
	v_and_or_b32 v2, 0x8000, v2, v44
	v_lshl_or_b32 v44, v2, 16, v10
.LBB266_199:                            ;   in Loop: Header=BB266_9 Depth=1
	s_or_b32 exec_lo, exec_lo, s30
.LBB266_200:                            ;   in Loop: Header=BB266_9 Depth=1
	s_delay_alu instid0(SALU_CYCLE_1)
	s_or_b32 exec_lo, exec_lo, s29
.LBB266_201:                            ;   in Loop: Header=BB266_9 Depth=1
	s_delay_alu instid0(SALU_CYCLE_1)
	s_or_b32 exec_lo, exec_lo, s28
	global_load_b32 v10, v[8:9], off offset:768
	v_dual_mov_b32 v46, 0 :: v_dual_mov_b32 v47, 0
	s_mov_b32 s28, exec_lo
	s_wait_loadcnt 0x0
	v_and_b32_e32 v2, 0xff, v10
	s_delay_alu instid0(VALU_DEP_1)
	v_cmpx_ne_u16_e32 0, v2
	s_cbranch_execz .LBB266_209
; %bb.202:                              ;   in Loop: Header=BB266_9 Depth=1
	v_mov_b32_e32 v47, 0x8000
	s_mov_b32 s29, exec_lo
	v_cmpx_ne_u16_e32 0x80, v2
	s_cbranch_execz .LBB266_208
; %bb.203:                              ;   in Loop: Header=BB266_9 Depth=1
	v_and_b32_e32 v48, 0x7f, v10
	v_mov_b32_e32 v47, 0x7c01
	s_mov_b32 s30, exec_lo
	s_delay_alu instid0(VALU_DEP_2)
	v_cmpx_ne_u32_e32 0x7f, v48
	s_cbranch_execz .LBB266_207
; %bb.204:                              ;   in Loop: Header=BB266_9 Depth=1
	v_dual_lshrrev_b32 v47, 3, v48 :: v_dual_bitop2_b32 v2, 7, v10 bitop3:0x40
	s_mov_b32 s31, exec_lo
	v_cmpx_gt_u32_e32 8, v48
; %bb.205:                              ;   in Loop: Header=BB266_9 Depth=1
	s_delay_alu instid0(VALU_DEP_2) | instskip(NEXT) | instid1(VALU_DEP_1)
	v_clz_i32_u32_e32 v2, v2
	v_min_u32_e32 v2, 32, v2
	s_delay_alu instid0(VALU_DEP_1) | instskip(NEXT) | instid1(VALU_DEP_1)
	v_subrev_nc_u32_e32 v47, 28, v2
	v_lshlrev_b64_e32 v[48:49], v47, v[10:11]
	s_delay_alu instid0(VALU_DEP_1)
	v_dual_sub_nc_u32 v47, 29, v2 :: v_dual_bitop2_b32 v2, 7, v48 bitop3:0x40
; %bb.206:                              ;   in Loop: Header=BB266_9 Depth=1
	s_or_b32 exec_lo, exec_lo, s31
	v_lshlrev_b32_e32 v48, 8, v10
	s_delay_alu instid0(VALU_DEP_2) | instskip(NEXT) | instid1(VALU_DEP_3)
	v_lshl_add_u32 v47, v47, 10, 0x2000
	v_lshlrev_b32_e32 v2, 7, v2
	s_delay_alu instid0(VALU_DEP_3) | instskip(NEXT) | instid1(VALU_DEP_3)
	v_and_b32_e32 v48, 0x8000, v48
	v_and_b32_e32 v47, 0xfc00, v47
	s_delay_alu instid0(VALU_DEP_1)
	v_or3_b32 v47, v48, v47, v2
.LBB266_207:                            ;   in Loop: Header=BB266_9 Depth=1
	s_or_b32 exec_lo, exec_lo, s30
.LBB266_208:                            ;   in Loop: Header=BB266_9 Depth=1
	s_delay_alu instid0(SALU_CYCLE_1)
	s_or_b32 exec_lo, exec_lo, s29
.LBB266_209:                            ;   in Loop: Header=BB266_9 Depth=1
	s_delay_alu instid0(SALU_CYCLE_1) | instskip(SKIP_2) | instid1(VALU_DEP_1)
	s_or_b32 exec_lo, exec_lo, s28
	v_lshrrev_b16 v2, 8, v10
	s_mov_b32 s28, exec_lo
	v_cmpx_ne_u16_e32 0, v2
	s_cbranch_execz .LBB266_217
; %bb.210:                              ;   in Loop: Header=BB266_9 Depth=1
	v_bfrev_b32_e32 v46, 1
	s_mov_b32 s29, exec_lo
	v_cmpx_ne_u16_e32 0x80, v2
	s_cbranch_execz .LBB266_216
; %bb.211:                              ;   in Loop: Header=BB266_9 Depth=1
	v_and_b32_e32 v48, 0xffff, v2
	v_mov_b32_e32 v46, 0x7c010000
	s_mov_b32 s30, exec_lo
	s_delay_alu instid0(VALU_DEP_2) | instskip(NEXT) | instid1(VALU_DEP_1)
	v_and_b32_e32 v50, 0x7f, v48
	v_cmpx_ne_u32_e32 0x7f, v50
	s_cbranch_execz .LBB266_215
; %bb.212:                              ;   in Loop: Header=BB266_9 Depth=1
	v_dual_lshrrev_b32 v49, 3, v50 :: v_dual_bitop2_b32 v46, 7, v48 bitop3:0x40
	s_mov_b32 s31, exec_lo
	v_cmpx_gt_u32_e32 8, v50
; %bb.213:                              ;   in Loop: Header=BB266_9 Depth=1
	s_delay_alu instid0(VALU_DEP_2) | instskip(NEXT) | instid1(VALU_DEP_1)
	v_clz_i32_u32_e32 v46, v46
	v_min_u32_e32 v46, 32, v46
	s_delay_alu instid0(VALU_DEP_1) | instskip(NEXT) | instid1(VALU_DEP_1)
	v_subrev_nc_u32_e32 v49, 28, v46
	v_lshlrev_b64_e32 v[50:51], v49, v[2:3]
	v_sub_nc_u32_e32 v49, 29, v46
	s_delay_alu instid0(VALU_DEP_2)
	v_and_b32_e32 v46, 7, v50
; %bb.214:                              ;   in Loop: Header=BB266_9 Depth=1
	s_or_b32 exec_lo, exec_lo, s31
	s_delay_alu instid0(VALU_DEP_1) | instskip(NEXT) | instid1(VALU_DEP_3)
	v_dual_lshlrev_b32 v2, 8, v48 :: v_dual_lshlrev_b32 v46, 23, v46
	v_lshl_add_u32 v48, v49, 10, 0x2000
	s_delay_alu instid0(VALU_DEP_1) | instskip(NEXT) | instid1(VALU_DEP_1)
	v_and_or_b32 v2, 0x8000, v2, v48
	v_lshl_or_b32 v46, v2, 16, v46
.LBB266_215:                            ;   in Loop: Header=BB266_9 Depth=1
	s_or_b32 exec_lo, exec_lo, s30
.LBB266_216:                            ;   in Loop: Header=BB266_9 Depth=1
	s_delay_alu instid0(SALU_CYCLE_1)
	s_or_b32 exec_lo, exec_lo, s29
.LBB266_217:                            ;   in Loop: Header=BB266_9 Depth=1
	s_delay_alu instid0(SALU_CYCLE_1) | instskip(SKIP_3) | instid1(VALU_DEP_2)
	s_or_b32 exec_lo, exec_lo, s28
	v_dual_lshrrev_b32 v2, 16, v10 :: v_dual_mov_b32 v48, 0
	v_mov_b32_e32 v49, 0
	s_mov_b32 s28, exec_lo
	v_and_b32_e32 v50, 0xff, v2
	s_delay_alu instid0(VALU_DEP_1)
	v_cmpx_ne_u16_e32 0, v50
	s_cbranch_execz .LBB266_225
; %bb.218:                              ;   in Loop: Header=BB266_9 Depth=1
	v_mov_b32_e32 v49, 0x8000
	s_mov_b32 s29, exec_lo
	v_cmpx_ne_u16_e32 0x80, v50
	s_cbranch_execz .LBB266_224
; %bb.219:                              ;   in Loop: Header=BB266_9 Depth=1
	v_bfe_u32 v51, v10, 16, 7
	v_mov_b32_e32 v49, 0x7c01
	s_mov_b32 s30, exec_lo
	s_delay_alu instid0(VALU_DEP_2)
	v_cmpx_ne_u32_e32 0x7f, v51
	s_cbranch_execz .LBB266_223
; %bb.220:                              ;   in Loop: Header=BB266_9 Depth=1
	v_dual_lshrrev_b32 v50, 3, v51 :: v_dual_bitop2_b32 v49, 7, v2 bitop3:0x40
	s_mov_b32 s31, exec_lo
	v_cmpx_gt_u32_e32 8, v51
; %bb.221:                              ;   in Loop: Header=BB266_9 Depth=1
	s_delay_alu instid0(VALU_DEP_2) | instskip(NEXT) | instid1(VALU_DEP_1)
	v_clz_i32_u32_e32 v49, v49
	v_min_u32_e32 v49, 32, v49
	s_delay_alu instid0(VALU_DEP_1) | instskip(NEXT) | instid1(VALU_DEP_1)
	v_subrev_nc_u32_e32 v50, 28, v49
	v_lshlrev_b64_e32 v[52:53], v50, v[2:3]
	s_delay_alu instid0(VALU_DEP_1)
	v_dual_sub_nc_u32 v50, 29, v49 :: v_dual_bitop2_b32 v49, 7, v52 bitop3:0x40
; %bb.222:                              ;   in Loop: Header=BB266_9 Depth=1
	s_or_b32 exec_lo, exec_lo, s31
	s_delay_alu instid0(VALU_DEP_1) | instskip(NEXT) | instid1(VALU_DEP_2)
	v_dual_lshlrev_b32 v2, 8, v2 :: v_dual_lshlrev_b32 v49, 7, v49
	v_lshl_add_u32 v50, v50, 10, 0x2000
	s_delay_alu instid0(VALU_DEP_2) | instskip(NEXT) | instid1(VALU_DEP_2)
	v_and_b32_e32 v2, 0x8000, v2
	v_and_b32_e32 v50, 0xfc00, v50
	s_delay_alu instid0(VALU_DEP_1)
	v_or3_b32 v49, v2, v50, v49
.LBB266_223:                            ;   in Loop: Header=BB266_9 Depth=1
	s_or_b32 exec_lo, exec_lo, s30
.LBB266_224:                            ;   in Loop: Header=BB266_9 Depth=1
	s_delay_alu instid0(SALU_CYCLE_1)
	s_or_b32 exec_lo, exec_lo, s29
.LBB266_225:                            ;   in Loop: Header=BB266_9 Depth=1
	s_delay_alu instid0(SALU_CYCLE_1) | instskip(NEXT) | instid1(SALU_CYCLE_1)
	s_or_b32 exec_lo, exec_lo, s28
	s_mov_b32 s28, exec_lo
	v_cmpx_lt_u32_e32 0xffffff, v10
	s_cbranch_execz .LBB266_233
; %bb.226:                              ;   in Loop: Header=BB266_9 Depth=1
	v_lshrrev_b32_e32 v2, 24, v10
	v_bfrev_b32_e32 v48, 1
	s_mov_b32 s29, exec_lo
	s_delay_alu instid0(VALU_DEP_2)
	v_cmpx_ne_u32_e32 0x80, v2
	s_cbranch_execz .LBB266_232
; %bb.227:                              ;   in Loop: Header=BB266_9 Depth=1
	v_and_b32_e32 v50, 0x7f, v2
	v_mov_b32_e32 v48, 0x7c010000
	s_mov_b32 s30, exec_lo
	s_delay_alu instid0(VALU_DEP_2)
	v_cmpx_ne_u32_e32 0x7f, v50
	s_cbranch_execz .LBB266_231
; %bb.228:                              ;   in Loop: Header=BB266_9 Depth=1
	v_and_b32_e32 v10, 7, v2
	v_lshrrev_b32_e32 v48, 3, v50
	s_mov_b32 s31, exec_lo
	v_cmpx_gt_u32_e32 8, v50
; %bb.229:                              ;   in Loop: Header=BB266_9 Depth=1
	s_delay_alu instid0(VALU_DEP_3) | instskip(NEXT) | instid1(VALU_DEP_1)
	v_clz_i32_u32_e32 v10, v10
	v_min_u32_e32 v10, 32, v10
	s_delay_alu instid0(VALU_DEP_1) | instskip(NEXT) | instid1(VALU_DEP_1)
	v_subrev_nc_u32_e32 v48, 28, v10
	v_lshlrev_b64_e32 v[50:51], v48, v[2:3]
	v_sub_nc_u32_e32 v48, 29, v10
	s_delay_alu instid0(VALU_DEP_2)
	v_and_b32_e32 v10, 7, v50
; %bb.230:                              ;   in Loop: Header=BB266_9 Depth=1
	s_or_b32 exec_lo, exec_lo, s31
	v_lshlrev_b32_e32 v2, 8, v2
	s_delay_alu instid0(VALU_DEP_3) | instskip(NEXT) | instid1(VALU_DEP_3)
	v_lshl_add_u32 v48, v48, 10, 0x2000
	v_lshlrev_b32_e32 v10, 23, v10
	s_delay_alu instid0(VALU_DEP_2) | instskip(NEXT) | instid1(VALU_DEP_1)
	v_and_or_b32 v2, 0x8000, v2, v48
	v_lshl_or_b32 v48, v2, 16, v10
.LBB266_231:                            ;   in Loop: Header=BB266_9 Depth=1
	s_or_b32 exec_lo, exec_lo, s30
.LBB266_232:                            ;   in Loop: Header=BB266_9 Depth=1
	s_delay_alu instid0(SALU_CYCLE_1)
	s_or_b32 exec_lo, exec_lo, s29
.LBB266_233:                            ;   in Loop: Header=BB266_9 Depth=1
	s_delay_alu instid0(SALU_CYCLE_1)
	s_or_b32 exec_lo, exec_lo, s28
	global_load_b32 v10, v[8:9], off offset:776
	v_dual_mov_b32 v50, 0 :: v_dual_mov_b32 v51, 0
	s_mov_b32 s28, exec_lo
	s_wait_loadcnt 0x0
	v_and_b32_e32 v2, 0xff, v10
	s_delay_alu instid0(VALU_DEP_1)
	v_cmpx_ne_u16_e32 0, v2
	s_cbranch_execz .LBB266_241
; %bb.234:                              ;   in Loop: Header=BB266_9 Depth=1
	v_mov_b32_e32 v51, 0x8000
	s_mov_b32 s29, exec_lo
	v_cmpx_ne_u16_e32 0x80, v2
	s_cbranch_execz .LBB266_240
; %bb.235:                              ;   in Loop: Header=BB266_9 Depth=1
	v_and_b32_e32 v52, 0x7f, v10
	v_mov_b32_e32 v51, 0x7c01
	s_mov_b32 s30, exec_lo
	s_delay_alu instid0(VALU_DEP_2)
	v_cmpx_ne_u32_e32 0x7f, v52
	s_cbranch_execz .LBB266_239
; %bb.236:                              ;   in Loop: Header=BB266_9 Depth=1
	v_dual_lshrrev_b32 v51, 3, v52 :: v_dual_bitop2_b32 v2, 7, v10 bitop3:0x40
	s_mov_b32 s31, exec_lo
	v_cmpx_gt_u32_e32 8, v52
; %bb.237:                              ;   in Loop: Header=BB266_9 Depth=1
	s_delay_alu instid0(VALU_DEP_2) | instskip(NEXT) | instid1(VALU_DEP_1)
	v_clz_i32_u32_e32 v2, v2
	v_min_u32_e32 v2, 32, v2
	s_delay_alu instid0(VALU_DEP_1) | instskip(NEXT) | instid1(VALU_DEP_1)
	v_subrev_nc_u32_e32 v51, 28, v2
	v_lshlrev_b64_e32 v[52:53], v51, v[10:11]
	s_delay_alu instid0(VALU_DEP_1)
	v_dual_sub_nc_u32 v51, 29, v2 :: v_dual_bitop2_b32 v2, 7, v52 bitop3:0x40
; %bb.238:                              ;   in Loop: Header=BB266_9 Depth=1
	s_or_b32 exec_lo, exec_lo, s31
	v_lshlrev_b32_e32 v52, 8, v10
	s_delay_alu instid0(VALU_DEP_2) | instskip(NEXT) | instid1(VALU_DEP_3)
	v_lshl_add_u32 v51, v51, 10, 0x2000
	v_lshlrev_b32_e32 v2, 7, v2
	s_delay_alu instid0(VALU_DEP_3) | instskip(NEXT) | instid1(VALU_DEP_3)
	v_and_b32_e32 v52, 0x8000, v52
	v_and_b32_e32 v51, 0xfc00, v51
	s_delay_alu instid0(VALU_DEP_1)
	v_or3_b32 v51, v52, v51, v2
.LBB266_239:                            ;   in Loop: Header=BB266_9 Depth=1
	s_or_b32 exec_lo, exec_lo, s30
.LBB266_240:                            ;   in Loop: Header=BB266_9 Depth=1
	s_delay_alu instid0(SALU_CYCLE_1)
	s_or_b32 exec_lo, exec_lo, s29
.LBB266_241:                            ;   in Loop: Header=BB266_9 Depth=1
	s_delay_alu instid0(SALU_CYCLE_1) | instskip(SKIP_2) | instid1(VALU_DEP_1)
	s_or_b32 exec_lo, exec_lo, s28
	v_lshrrev_b16 v2, 8, v10
	s_mov_b32 s28, exec_lo
	v_cmpx_ne_u16_e32 0, v2
	s_cbranch_execz .LBB266_249
; %bb.242:                              ;   in Loop: Header=BB266_9 Depth=1
	v_bfrev_b32_e32 v50, 1
	s_mov_b32 s29, exec_lo
	v_cmpx_ne_u16_e32 0x80, v2
	s_cbranch_execz .LBB266_248
; %bb.243:                              ;   in Loop: Header=BB266_9 Depth=1
	v_and_b32_e32 v52, 0xffff, v2
	v_mov_b32_e32 v50, 0x7c010000
	s_mov_b32 s30, exec_lo
	s_delay_alu instid0(VALU_DEP_2) | instskip(NEXT) | instid1(VALU_DEP_1)
	v_and_b32_e32 v54, 0x7f, v52
	v_cmpx_ne_u32_e32 0x7f, v54
	s_cbranch_execz .LBB266_247
; %bb.244:                              ;   in Loop: Header=BB266_9 Depth=1
	v_dual_lshrrev_b32 v53, 3, v54 :: v_dual_bitop2_b32 v50, 7, v52 bitop3:0x40
	s_mov_b32 s31, exec_lo
	v_cmpx_gt_u32_e32 8, v54
; %bb.245:                              ;   in Loop: Header=BB266_9 Depth=1
	s_delay_alu instid0(VALU_DEP_2) | instskip(NEXT) | instid1(VALU_DEP_1)
	v_clz_i32_u32_e32 v50, v50
	v_min_u32_e32 v50, 32, v50
	s_delay_alu instid0(VALU_DEP_1) | instskip(NEXT) | instid1(VALU_DEP_1)
	v_subrev_nc_u32_e32 v53, 28, v50
	v_lshlrev_b64_e32 v[54:55], v53, v[2:3]
	v_sub_nc_u32_e32 v53, 29, v50
	s_delay_alu instid0(VALU_DEP_2)
	v_and_b32_e32 v50, 7, v54
; %bb.246:                              ;   in Loop: Header=BB266_9 Depth=1
	s_or_b32 exec_lo, exec_lo, s31
	s_delay_alu instid0(VALU_DEP_1) | instskip(NEXT) | instid1(VALU_DEP_3)
	v_dual_lshlrev_b32 v2, 8, v52 :: v_dual_lshlrev_b32 v50, 23, v50
	v_lshl_add_u32 v52, v53, 10, 0x2000
	s_delay_alu instid0(VALU_DEP_1) | instskip(NEXT) | instid1(VALU_DEP_1)
	v_and_or_b32 v2, 0x8000, v2, v52
	v_lshl_or_b32 v50, v2, 16, v50
.LBB266_247:                            ;   in Loop: Header=BB266_9 Depth=1
	s_or_b32 exec_lo, exec_lo, s30
.LBB266_248:                            ;   in Loop: Header=BB266_9 Depth=1
	s_delay_alu instid0(SALU_CYCLE_1)
	s_or_b32 exec_lo, exec_lo, s29
.LBB266_249:                            ;   in Loop: Header=BB266_9 Depth=1
	s_delay_alu instid0(SALU_CYCLE_1) | instskip(SKIP_3) | instid1(VALU_DEP_2)
	s_or_b32 exec_lo, exec_lo, s28
	v_dual_lshrrev_b32 v2, 16, v10 :: v_dual_mov_b32 v52, 0
	v_mov_b32_e32 v53, 0
	s_mov_b32 s28, exec_lo
	v_and_b32_e32 v54, 0xff, v2
	s_delay_alu instid0(VALU_DEP_1)
	v_cmpx_ne_u16_e32 0, v54
	s_cbranch_execz .LBB266_257
; %bb.250:                              ;   in Loop: Header=BB266_9 Depth=1
	v_mov_b32_e32 v53, 0x8000
	s_mov_b32 s29, exec_lo
	v_cmpx_ne_u16_e32 0x80, v54
	s_cbranch_execz .LBB266_256
; %bb.251:                              ;   in Loop: Header=BB266_9 Depth=1
	v_bfe_u32 v55, v10, 16, 7
	v_mov_b32_e32 v53, 0x7c01
	s_mov_b32 s30, exec_lo
	s_delay_alu instid0(VALU_DEP_2)
	v_cmpx_ne_u32_e32 0x7f, v55
	s_cbranch_execz .LBB266_255
; %bb.252:                              ;   in Loop: Header=BB266_9 Depth=1
	v_dual_lshrrev_b32 v54, 3, v55 :: v_dual_bitop2_b32 v53, 7, v2 bitop3:0x40
	s_mov_b32 s31, exec_lo
	v_cmpx_gt_u32_e32 8, v55
; %bb.253:                              ;   in Loop: Header=BB266_9 Depth=1
	s_delay_alu instid0(VALU_DEP_2) | instskip(NEXT) | instid1(VALU_DEP_1)
	v_clz_i32_u32_e32 v53, v53
	v_min_u32_e32 v53, 32, v53
	s_delay_alu instid0(VALU_DEP_1) | instskip(NEXT) | instid1(VALU_DEP_1)
	v_subrev_nc_u32_e32 v54, 28, v53
	v_lshlrev_b64_e32 v[56:57], v54, v[2:3]
	s_delay_alu instid0(VALU_DEP_1)
	v_dual_sub_nc_u32 v54, 29, v53 :: v_dual_bitop2_b32 v53, 7, v56 bitop3:0x40
; %bb.254:                              ;   in Loop: Header=BB266_9 Depth=1
	s_or_b32 exec_lo, exec_lo, s31
	s_delay_alu instid0(VALU_DEP_1) | instskip(NEXT) | instid1(VALU_DEP_2)
	v_dual_lshlrev_b32 v2, 8, v2 :: v_dual_lshlrev_b32 v53, 7, v53
	v_lshl_add_u32 v54, v54, 10, 0x2000
	s_delay_alu instid0(VALU_DEP_2) | instskip(NEXT) | instid1(VALU_DEP_2)
	v_and_b32_e32 v2, 0x8000, v2
	v_and_b32_e32 v54, 0xfc00, v54
	s_delay_alu instid0(VALU_DEP_1)
	v_or3_b32 v53, v2, v54, v53
.LBB266_255:                            ;   in Loop: Header=BB266_9 Depth=1
	s_or_b32 exec_lo, exec_lo, s30
.LBB266_256:                            ;   in Loop: Header=BB266_9 Depth=1
	s_delay_alu instid0(SALU_CYCLE_1)
	s_or_b32 exec_lo, exec_lo, s29
.LBB266_257:                            ;   in Loop: Header=BB266_9 Depth=1
	s_delay_alu instid0(SALU_CYCLE_1) | instskip(NEXT) | instid1(SALU_CYCLE_1)
	s_or_b32 exec_lo, exec_lo, s28
	s_mov_b32 s28, exec_lo
	v_cmpx_lt_u32_e32 0xffffff, v10
	s_cbranch_execz .LBB266_265
; %bb.258:                              ;   in Loop: Header=BB266_9 Depth=1
	v_lshrrev_b32_e32 v2, 24, v10
	v_bfrev_b32_e32 v52, 1
	s_mov_b32 s29, exec_lo
	s_delay_alu instid0(VALU_DEP_2)
	v_cmpx_ne_u32_e32 0x80, v2
	s_cbranch_execz .LBB266_264
; %bb.259:                              ;   in Loop: Header=BB266_9 Depth=1
	v_and_b32_e32 v54, 0x7f, v2
	v_mov_b32_e32 v52, 0x7c010000
	s_mov_b32 s30, exec_lo
	s_delay_alu instid0(VALU_DEP_2)
	v_cmpx_ne_u32_e32 0x7f, v54
	s_cbranch_execz .LBB266_263
; %bb.260:                              ;   in Loop: Header=BB266_9 Depth=1
	v_and_b32_e32 v10, 7, v2
	v_lshrrev_b32_e32 v52, 3, v54
	s_mov_b32 s31, exec_lo
	v_cmpx_gt_u32_e32 8, v54
; %bb.261:                              ;   in Loop: Header=BB266_9 Depth=1
	s_delay_alu instid0(VALU_DEP_3) | instskip(NEXT) | instid1(VALU_DEP_1)
	v_clz_i32_u32_e32 v10, v10
	v_min_u32_e32 v10, 32, v10
	s_delay_alu instid0(VALU_DEP_1) | instskip(NEXT) | instid1(VALU_DEP_1)
	v_subrev_nc_u32_e32 v52, 28, v10
	v_lshlrev_b64_e32 v[54:55], v52, v[2:3]
	v_sub_nc_u32_e32 v52, 29, v10
	s_delay_alu instid0(VALU_DEP_2)
	v_and_b32_e32 v10, 7, v54
; %bb.262:                              ;   in Loop: Header=BB266_9 Depth=1
	s_or_b32 exec_lo, exec_lo, s31
	v_lshlrev_b32_e32 v2, 8, v2
	s_delay_alu instid0(VALU_DEP_3) | instskip(NEXT) | instid1(VALU_DEP_3)
	v_lshl_add_u32 v52, v52, 10, 0x2000
	v_lshlrev_b32_e32 v10, 23, v10
	s_delay_alu instid0(VALU_DEP_2) | instskip(NEXT) | instid1(VALU_DEP_1)
	v_and_or_b32 v2, 0x8000, v2, v52
	v_lshl_or_b32 v52, v2, 16, v10
.LBB266_263:                            ;   in Loop: Header=BB266_9 Depth=1
	s_or_b32 exec_lo, exec_lo, s30
.LBB266_264:                            ;   in Loop: Header=BB266_9 Depth=1
	s_delay_alu instid0(SALU_CYCLE_1)
	s_or_b32 exec_lo, exec_lo, s29
.LBB266_265:                            ;   in Loop: Header=BB266_9 Depth=1
	s_delay_alu instid0(SALU_CYCLE_1)
	s_or_b32 exec_lo, exec_lo, s28
	global_load_b32 v10, v[8:9], off offset:1024
	v_dual_mov_b32 v54, 0 :: v_dual_mov_b32 v55, 0
	s_mov_b32 s28, exec_lo
	s_wait_loadcnt 0x0
	v_and_b32_e32 v2, 0xff, v10
	s_delay_alu instid0(VALU_DEP_1)
	v_cmpx_ne_u16_e32 0, v2
	s_cbranch_execz .LBB266_273
; %bb.266:                              ;   in Loop: Header=BB266_9 Depth=1
	v_mov_b32_e32 v55, 0x8000
	s_mov_b32 s29, exec_lo
	v_cmpx_ne_u16_e32 0x80, v2
	s_cbranch_execz .LBB266_272
; %bb.267:                              ;   in Loop: Header=BB266_9 Depth=1
	v_and_b32_e32 v56, 0x7f, v10
	v_mov_b32_e32 v55, 0x7c01
	s_mov_b32 s30, exec_lo
	s_delay_alu instid0(VALU_DEP_2)
	v_cmpx_ne_u32_e32 0x7f, v56
	s_cbranch_execz .LBB266_271
; %bb.268:                              ;   in Loop: Header=BB266_9 Depth=1
	v_dual_lshrrev_b32 v55, 3, v56 :: v_dual_bitop2_b32 v2, 7, v10 bitop3:0x40
	s_mov_b32 s31, exec_lo
	v_cmpx_gt_u32_e32 8, v56
; %bb.269:                              ;   in Loop: Header=BB266_9 Depth=1
	s_delay_alu instid0(VALU_DEP_2) | instskip(NEXT) | instid1(VALU_DEP_1)
	v_clz_i32_u32_e32 v2, v2
	v_min_u32_e32 v2, 32, v2
	s_delay_alu instid0(VALU_DEP_1) | instskip(NEXT) | instid1(VALU_DEP_1)
	v_subrev_nc_u32_e32 v55, 28, v2
	v_lshlrev_b64_e32 v[56:57], v55, v[10:11]
	s_delay_alu instid0(VALU_DEP_1)
	v_dual_sub_nc_u32 v55, 29, v2 :: v_dual_bitop2_b32 v2, 7, v56 bitop3:0x40
; %bb.270:                              ;   in Loop: Header=BB266_9 Depth=1
	s_or_b32 exec_lo, exec_lo, s31
	v_lshlrev_b32_e32 v56, 8, v10
	s_delay_alu instid0(VALU_DEP_2) | instskip(NEXT) | instid1(VALU_DEP_3)
	v_lshl_add_u32 v55, v55, 10, 0x2000
	v_lshlrev_b32_e32 v2, 7, v2
	s_delay_alu instid0(VALU_DEP_3) | instskip(NEXT) | instid1(VALU_DEP_3)
	v_and_b32_e32 v56, 0x8000, v56
	v_and_b32_e32 v55, 0xfc00, v55
	s_delay_alu instid0(VALU_DEP_1)
	v_or3_b32 v55, v56, v55, v2
.LBB266_271:                            ;   in Loop: Header=BB266_9 Depth=1
	s_or_b32 exec_lo, exec_lo, s30
.LBB266_272:                            ;   in Loop: Header=BB266_9 Depth=1
	s_delay_alu instid0(SALU_CYCLE_1)
	s_or_b32 exec_lo, exec_lo, s29
.LBB266_273:                            ;   in Loop: Header=BB266_9 Depth=1
	s_delay_alu instid0(SALU_CYCLE_1) | instskip(SKIP_2) | instid1(VALU_DEP_1)
	s_or_b32 exec_lo, exec_lo, s28
	v_lshrrev_b16 v2, 8, v10
	s_mov_b32 s28, exec_lo
	v_cmpx_ne_u16_e32 0, v2
	s_cbranch_execz .LBB266_281
; %bb.274:                              ;   in Loop: Header=BB266_9 Depth=1
	v_bfrev_b32_e32 v54, 1
	s_mov_b32 s29, exec_lo
	v_cmpx_ne_u16_e32 0x80, v2
	s_cbranch_execz .LBB266_280
; %bb.275:                              ;   in Loop: Header=BB266_9 Depth=1
	v_and_b32_e32 v56, 0xffff, v2
	v_mov_b32_e32 v54, 0x7c010000
	s_mov_b32 s30, exec_lo
	s_delay_alu instid0(VALU_DEP_2) | instskip(NEXT) | instid1(VALU_DEP_1)
	v_and_b32_e32 v58, 0x7f, v56
	v_cmpx_ne_u32_e32 0x7f, v58
	s_cbranch_execz .LBB266_279
; %bb.276:                              ;   in Loop: Header=BB266_9 Depth=1
	v_dual_lshrrev_b32 v57, 3, v58 :: v_dual_bitop2_b32 v54, 7, v56 bitop3:0x40
	s_mov_b32 s31, exec_lo
	v_cmpx_gt_u32_e32 8, v58
; %bb.277:                              ;   in Loop: Header=BB266_9 Depth=1
	s_delay_alu instid0(VALU_DEP_2) | instskip(NEXT) | instid1(VALU_DEP_1)
	v_clz_i32_u32_e32 v54, v54
	v_min_u32_e32 v54, 32, v54
	s_delay_alu instid0(VALU_DEP_1) | instskip(NEXT) | instid1(VALU_DEP_1)
	v_subrev_nc_u32_e32 v57, 28, v54
	v_lshlrev_b64_e32 v[58:59], v57, v[2:3]
	v_sub_nc_u32_e32 v57, 29, v54
	s_delay_alu instid0(VALU_DEP_2)
	v_and_b32_e32 v54, 7, v58
; %bb.278:                              ;   in Loop: Header=BB266_9 Depth=1
	s_or_b32 exec_lo, exec_lo, s31
	s_delay_alu instid0(VALU_DEP_1) | instskip(NEXT) | instid1(VALU_DEP_3)
	v_dual_lshlrev_b32 v2, 8, v56 :: v_dual_lshlrev_b32 v54, 23, v54
	v_lshl_add_u32 v56, v57, 10, 0x2000
	s_delay_alu instid0(VALU_DEP_1) | instskip(NEXT) | instid1(VALU_DEP_1)
	v_and_or_b32 v2, 0x8000, v2, v56
	v_lshl_or_b32 v54, v2, 16, v54
.LBB266_279:                            ;   in Loop: Header=BB266_9 Depth=1
	s_or_b32 exec_lo, exec_lo, s30
.LBB266_280:                            ;   in Loop: Header=BB266_9 Depth=1
	s_delay_alu instid0(SALU_CYCLE_1)
	s_or_b32 exec_lo, exec_lo, s29
.LBB266_281:                            ;   in Loop: Header=BB266_9 Depth=1
	s_delay_alu instid0(SALU_CYCLE_1) | instskip(SKIP_3) | instid1(VALU_DEP_2)
	s_or_b32 exec_lo, exec_lo, s28
	v_dual_lshrrev_b32 v2, 16, v10 :: v_dual_mov_b32 v56, 0
	v_mov_b32_e32 v57, 0
	s_mov_b32 s28, exec_lo
	v_and_b32_e32 v58, 0xff, v2
	s_delay_alu instid0(VALU_DEP_1)
	v_cmpx_ne_u16_e32 0, v58
	s_cbranch_execz .LBB266_289
; %bb.282:                              ;   in Loop: Header=BB266_9 Depth=1
	v_mov_b32_e32 v57, 0x8000
	s_mov_b32 s29, exec_lo
	v_cmpx_ne_u16_e32 0x80, v58
	s_cbranch_execz .LBB266_288
; %bb.283:                              ;   in Loop: Header=BB266_9 Depth=1
	v_bfe_u32 v59, v10, 16, 7
	v_mov_b32_e32 v57, 0x7c01
	s_mov_b32 s30, exec_lo
	s_delay_alu instid0(VALU_DEP_2)
	v_cmpx_ne_u32_e32 0x7f, v59
	s_cbranch_execz .LBB266_287
; %bb.284:                              ;   in Loop: Header=BB266_9 Depth=1
	v_dual_lshrrev_b32 v58, 3, v59 :: v_dual_bitop2_b32 v57, 7, v2 bitop3:0x40
	s_mov_b32 s31, exec_lo
	v_cmpx_gt_u32_e32 8, v59
; %bb.285:                              ;   in Loop: Header=BB266_9 Depth=1
	s_delay_alu instid0(VALU_DEP_2) | instskip(NEXT) | instid1(VALU_DEP_1)
	v_clz_i32_u32_e32 v57, v57
	v_min_u32_e32 v57, 32, v57
	s_delay_alu instid0(VALU_DEP_1) | instskip(NEXT) | instid1(VALU_DEP_1)
	v_subrev_nc_u32_e32 v58, 28, v57
	v_lshlrev_b64_e32 v[60:61], v58, v[2:3]
	s_delay_alu instid0(VALU_DEP_1)
	v_dual_sub_nc_u32 v58, 29, v57 :: v_dual_bitop2_b32 v57, 7, v60 bitop3:0x40
; %bb.286:                              ;   in Loop: Header=BB266_9 Depth=1
	s_or_b32 exec_lo, exec_lo, s31
	s_delay_alu instid0(VALU_DEP_1) | instskip(NEXT) | instid1(VALU_DEP_2)
	v_dual_lshlrev_b32 v2, 8, v2 :: v_dual_lshlrev_b32 v57, 7, v57
	v_lshl_add_u32 v58, v58, 10, 0x2000
	s_delay_alu instid0(VALU_DEP_2) | instskip(NEXT) | instid1(VALU_DEP_2)
	v_and_b32_e32 v2, 0x8000, v2
	v_and_b32_e32 v58, 0xfc00, v58
	s_delay_alu instid0(VALU_DEP_1)
	v_or3_b32 v57, v2, v58, v57
.LBB266_287:                            ;   in Loop: Header=BB266_9 Depth=1
	s_or_b32 exec_lo, exec_lo, s30
.LBB266_288:                            ;   in Loop: Header=BB266_9 Depth=1
	s_delay_alu instid0(SALU_CYCLE_1)
	s_or_b32 exec_lo, exec_lo, s29
.LBB266_289:                            ;   in Loop: Header=BB266_9 Depth=1
	s_delay_alu instid0(SALU_CYCLE_1) | instskip(NEXT) | instid1(SALU_CYCLE_1)
	s_or_b32 exec_lo, exec_lo, s28
	s_mov_b32 s28, exec_lo
	v_cmpx_lt_u32_e32 0xffffff, v10
	s_cbranch_execz .LBB266_297
; %bb.290:                              ;   in Loop: Header=BB266_9 Depth=1
	v_lshrrev_b32_e32 v2, 24, v10
	v_bfrev_b32_e32 v56, 1
	s_mov_b32 s29, exec_lo
	s_delay_alu instid0(VALU_DEP_2)
	v_cmpx_ne_u32_e32 0x80, v2
	s_cbranch_execz .LBB266_296
; %bb.291:                              ;   in Loop: Header=BB266_9 Depth=1
	v_and_b32_e32 v58, 0x7f, v2
	v_mov_b32_e32 v56, 0x7c010000
	s_mov_b32 s30, exec_lo
	s_delay_alu instid0(VALU_DEP_2)
	v_cmpx_ne_u32_e32 0x7f, v58
	s_cbranch_execz .LBB266_295
; %bb.292:                              ;   in Loop: Header=BB266_9 Depth=1
	v_and_b32_e32 v10, 7, v2
	v_lshrrev_b32_e32 v56, 3, v58
	s_mov_b32 s31, exec_lo
	v_cmpx_gt_u32_e32 8, v58
; %bb.293:                              ;   in Loop: Header=BB266_9 Depth=1
	s_delay_alu instid0(VALU_DEP_3) | instskip(NEXT) | instid1(VALU_DEP_1)
	v_clz_i32_u32_e32 v10, v10
	v_min_u32_e32 v10, 32, v10
	s_delay_alu instid0(VALU_DEP_1) | instskip(NEXT) | instid1(VALU_DEP_1)
	v_subrev_nc_u32_e32 v56, 28, v10
	v_lshlrev_b64_e32 v[58:59], v56, v[2:3]
	v_sub_nc_u32_e32 v56, 29, v10
	s_delay_alu instid0(VALU_DEP_2)
	v_and_b32_e32 v10, 7, v58
; %bb.294:                              ;   in Loop: Header=BB266_9 Depth=1
	s_or_b32 exec_lo, exec_lo, s31
	v_lshlrev_b32_e32 v2, 8, v2
	s_delay_alu instid0(VALU_DEP_3) | instskip(NEXT) | instid1(VALU_DEP_3)
	v_lshl_add_u32 v56, v56, 10, 0x2000
	v_lshlrev_b32_e32 v10, 23, v10
	s_delay_alu instid0(VALU_DEP_2) | instskip(NEXT) | instid1(VALU_DEP_1)
	v_and_or_b32 v2, 0x8000, v2, v56
	v_lshl_or_b32 v56, v2, 16, v10
.LBB266_295:                            ;   in Loop: Header=BB266_9 Depth=1
	s_or_b32 exec_lo, exec_lo, s30
.LBB266_296:                            ;   in Loop: Header=BB266_9 Depth=1
	s_delay_alu instid0(SALU_CYCLE_1)
	s_or_b32 exec_lo, exec_lo, s29
.LBB266_297:                            ;   in Loop: Header=BB266_9 Depth=1
	s_delay_alu instid0(SALU_CYCLE_1)
	s_or_b32 exec_lo, exec_lo, s28
	global_load_b32 v10, v[8:9], off offset:1032
	v_dual_mov_b32 v58, 0 :: v_dual_mov_b32 v59, 0
	s_mov_b32 s28, exec_lo
	s_wait_loadcnt 0x0
	v_and_b32_e32 v2, 0xff, v10
	s_delay_alu instid0(VALU_DEP_1)
	v_cmpx_ne_u16_e32 0, v2
	s_cbranch_execz .LBB266_305
; %bb.298:                              ;   in Loop: Header=BB266_9 Depth=1
	v_mov_b32_e32 v59, 0x8000
	s_mov_b32 s29, exec_lo
	v_cmpx_ne_u16_e32 0x80, v2
	s_cbranch_execz .LBB266_304
; %bb.299:                              ;   in Loop: Header=BB266_9 Depth=1
	v_and_b32_e32 v60, 0x7f, v10
	v_mov_b32_e32 v59, 0x7c01
	s_mov_b32 s30, exec_lo
	s_delay_alu instid0(VALU_DEP_2)
	v_cmpx_ne_u32_e32 0x7f, v60
	s_cbranch_execz .LBB266_303
; %bb.300:                              ;   in Loop: Header=BB266_9 Depth=1
	v_dual_lshrrev_b32 v59, 3, v60 :: v_dual_bitop2_b32 v2, 7, v10 bitop3:0x40
	s_mov_b32 s31, exec_lo
	v_cmpx_gt_u32_e32 8, v60
; %bb.301:                              ;   in Loop: Header=BB266_9 Depth=1
	s_delay_alu instid0(VALU_DEP_2) | instskip(NEXT) | instid1(VALU_DEP_1)
	v_clz_i32_u32_e32 v2, v2
	v_min_u32_e32 v2, 32, v2
	s_delay_alu instid0(VALU_DEP_1) | instskip(NEXT) | instid1(VALU_DEP_1)
	v_subrev_nc_u32_e32 v59, 28, v2
	v_lshlrev_b64_e32 v[60:61], v59, v[10:11]
	s_delay_alu instid0(VALU_DEP_1)
	v_dual_sub_nc_u32 v59, 29, v2 :: v_dual_bitop2_b32 v2, 7, v60 bitop3:0x40
; %bb.302:                              ;   in Loop: Header=BB266_9 Depth=1
	s_or_b32 exec_lo, exec_lo, s31
	v_lshlrev_b32_e32 v60, 8, v10
	s_delay_alu instid0(VALU_DEP_2) | instskip(NEXT) | instid1(VALU_DEP_3)
	v_lshl_add_u32 v59, v59, 10, 0x2000
	v_lshlrev_b32_e32 v2, 7, v2
	s_delay_alu instid0(VALU_DEP_3) | instskip(NEXT) | instid1(VALU_DEP_3)
	v_and_b32_e32 v60, 0x8000, v60
	v_and_b32_e32 v59, 0xfc00, v59
	s_delay_alu instid0(VALU_DEP_1)
	v_or3_b32 v59, v60, v59, v2
.LBB266_303:                            ;   in Loop: Header=BB266_9 Depth=1
	s_or_b32 exec_lo, exec_lo, s30
.LBB266_304:                            ;   in Loop: Header=BB266_9 Depth=1
	s_delay_alu instid0(SALU_CYCLE_1)
	s_or_b32 exec_lo, exec_lo, s29
.LBB266_305:                            ;   in Loop: Header=BB266_9 Depth=1
	s_delay_alu instid0(SALU_CYCLE_1) | instskip(SKIP_2) | instid1(VALU_DEP_1)
	s_or_b32 exec_lo, exec_lo, s28
	v_lshrrev_b16 v2, 8, v10
	s_mov_b32 s28, exec_lo
	v_cmpx_ne_u16_e32 0, v2
	s_cbranch_execz .LBB266_313
; %bb.306:                              ;   in Loop: Header=BB266_9 Depth=1
	v_bfrev_b32_e32 v58, 1
	s_mov_b32 s29, exec_lo
	v_cmpx_ne_u16_e32 0x80, v2
	s_cbranch_execz .LBB266_312
; %bb.307:                              ;   in Loop: Header=BB266_9 Depth=1
	v_and_b32_e32 v60, 0xffff, v2
	v_mov_b32_e32 v58, 0x7c010000
	s_mov_b32 s30, exec_lo
	s_delay_alu instid0(VALU_DEP_2) | instskip(NEXT) | instid1(VALU_DEP_1)
	v_and_b32_e32 v62, 0x7f, v60
	v_cmpx_ne_u32_e32 0x7f, v62
	s_cbranch_execz .LBB266_311
; %bb.308:                              ;   in Loop: Header=BB266_9 Depth=1
	v_dual_lshrrev_b32 v61, 3, v62 :: v_dual_bitop2_b32 v58, 7, v60 bitop3:0x40
	s_mov_b32 s31, exec_lo
	v_cmpx_gt_u32_e32 8, v62
; %bb.309:                              ;   in Loop: Header=BB266_9 Depth=1
	s_delay_alu instid0(VALU_DEP_2) | instskip(NEXT) | instid1(VALU_DEP_1)
	v_clz_i32_u32_e32 v58, v58
	v_min_u32_e32 v58, 32, v58
	s_delay_alu instid0(VALU_DEP_1) | instskip(NEXT) | instid1(VALU_DEP_1)
	v_subrev_nc_u32_e32 v61, 28, v58
	v_lshlrev_b64_e32 v[62:63], v61, v[2:3]
	v_sub_nc_u32_e32 v61, 29, v58
	s_delay_alu instid0(VALU_DEP_2)
	v_and_b32_e32 v58, 7, v62
; %bb.310:                              ;   in Loop: Header=BB266_9 Depth=1
	s_or_b32 exec_lo, exec_lo, s31
	s_delay_alu instid0(VALU_DEP_1) | instskip(NEXT) | instid1(VALU_DEP_3)
	v_dual_lshlrev_b32 v2, 8, v60 :: v_dual_lshlrev_b32 v58, 23, v58
	v_lshl_add_u32 v60, v61, 10, 0x2000
	s_delay_alu instid0(VALU_DEP_1) | instskip(NEXT) | instid1(VALU_DEP_1)
	v_and_or_b32 v2, 0x8000, v2, v60
	v_lshl_or_b32 v58, v2, 16, v58
.LBB266_311:                            ;   in Loop: Header=BB266_9 Depth=1
	s_or_b32 exec_lo, exec_lo, s30
.LBB266_312:                            ;   in Loop: Header=BB266_9 Depth=1
	s_delay_alu instid0(SALU_CYCLE_1)
	s_or_b32 exec_lo, exec_lo, s29
.LBB266_313:                            ;   in Loop: Header=BB266_9 Depth=1
	s_delay_alu instid0(SALU_CYCLE_1) | instskip(SKIP_3) | instid1(VALU_DEP_2)
	s_or_b32 exec_lo, exec_lo, s28
	v_dual_lshrrev_b32 v2, 16, v10 :: v_dual_mov_b32 v60, 0
	v_mov_b32_e32 v61, 0
	s_mov_b32 s28, exec_lo
	v_and_b32_e32 v62, 0xff, v2
	s_delay_alu instid0(VALU_DEP_1)
	v_cmpx_ne_u16_e32 0, v62
	s_cbranch_execz .LBB266_321
; %bb.314:                              ;   in Loop: Header=BB266_9 Depth=1
	v_mov_b32_e32 v61, 0x8000
	s_mov_b32 s29, exec_lo
	v_cmpx_ne_u16_e32 0x80, v62
	s_cbranch_execz .LBB266_320
; %bb.315:                              ;   in Loop: Header=BB266_9 Depth=1
	v_bfe_u32 v63, v10, 16, 7
	v_mov_b32_e32 v61, 0x7c01
	s_mov_b32 s30, exec_lo
	s_delay_alu instid0(VALU_DEP_2)
	v_cmpx_ne_u32_e32 0x7f, v63
	s_cbranch_execz .LBB266_319
; %bb.316:                              ;   in Loop: Header=BB266_9 Depth=1
	v_dual_lshrrev_b32 v62, 3, v63 :: v_dual_bitop2_b32 v61, 7, v2 bitop3:0x40
	s_mov_b32 s31, exec_lo
	v_cmpx_gt_u32_e32 8, v63
; %bb.317:                              ;   in Loop: Header=BB266_9 Depth=1
	s_delay_alu instid0(VALU_DEP_2) | instskip(NEXT) | instid1(VALU_DEP_1)
	v_clz_i32_u32_e32 v61, v61
	v_min_u32_e32 v61, 32, v61
	s_delay_alu instid0(VALU_DEP_1) | instskip(NEXT) | instid1(VALU_DEP_1)
	v_subrev_nc_u32_e32 v62, 28, v61
	v_lshlrev_b64_e32 v[64:65], v62, v[2:3]
	s_delay_alu instid0(VALU_DEP_1)
	v_dual_sub_nc_u32 v62, 29, v61 :: v_dual_bitop2_b32 v61, 7, v64 bitop3:0x40
; %bb.318:                              ;   in Loop: Header=BB266_9 Depth=1
	s_or_b32 exec_lo, exec_lo, s31
	s_delay_alu instid0(VALU_DEP_1) | instskip(NEXT) | instid1(VALU_DEP_2)
	v_dual_lshlrev_b32 v2, 8, v2 :: v_dual_lshlrev_b32 v61, 7, v61
	v_lshl_add_u32 v62, v62, 10, 0x2000
	s_delay_alu instid0(VALU_DEP_2) | instskip(NEXT) | instid1(VALU_DEP_2)
	v_and_b32_e32 v2, 0x8000, v2
	v_and_b32_e32 v62, 0xfc00, v62
	s_delay_alu instid0(VALU_DEP_1)
	v_or3_b32 v61, v2, v62, v61
.LBB266_319:                            ;   in Loop: Header=BB266_9 Depth=1
	s_or_b32 exec_lo, exec_lo, s30
.LBB266_320:                            ;   in Loop: Header=BB266_9 Depth=1
	s_delay_alu instid0(SALU_CYCLE_1)
	s_or_b32 exec_lo, exec_lo, s29
.LBB266_321:                            ;   in Loop: Header=BB266_9 Depth=1
	s_delay_alu instid0(SALU_CYCLE_1) | instskip(NEXT) | instid1(SALU_CYCLE_1)
	s_or_b32 exec_lo, exec_lo, s28
	s_mov_b32 s28, exec_lo
	v_cmpx_lt_u32_e32 0xffffff, v10
	s_cbranch_execz .LBB266_329
; %bb.322:                              ;   in Loop: Header=BB266_9 Depth=1
	v_lshrrev_b32_e32 v2, 24, v10
	v_bfrev_b32_e32 v60, 1
	s_mov_b32 s29, exec_lo
	s_delay_alu instid0(VALU_DEP_2)
	v_cmpx_ne_u32_e32 0x80, v2
	s_cbranch_execz .LBB266_328
; %bb.323:                              ;   in Loop: Header=BB266_9 Depth=1
	v_and_b32_e32 v62, 0x7f, v2
	v_mov_b32_e32 v60, 0x7c010000
	s_mov_b32 s30, exec_lo
	s_delay_alu instid0(VALU_DEP_2)
	v_cmpx_ne_u32_e32 0x7f, v62
	s_cbranch_execz .LBB266_327
; %bb.324:                              ;   in Loop: Header=BB266_9 Depth=1
	v_and_b32_e32 v10, 7, v2
	v_lshrrev_b32_e32 v60, 3, v62
	s_mov_b32 s31, exec_lo
	v_cmpx_gt_u32_e32 8, v62
; %bb.325:                              ;   in Loop: Header=BB266_9 Depth=1
	s_delay_alu instid0(VALU_DEP_3) | instskip(NEXT) | instid1(VALU_DEP_1)
	v_clz_i32_u32_e32 v10, v10
	v_min_u32_e32 v10, 32, v10
	s_delay_alu instid0(VALU_DEP_1) | instskip(NEXT) | instid1(VALU_DEP_1)
	v_subrev_nc_u32_e32 v60, 28, v10
	v_lshlrev_b64_e32 v[62:63], v60, v[2:3]
	v_sub_nc_u32_e32 v60, 29, v10
	s_delay_alu instid0(VALU_DEP_2)
	v_and_b32_e32 v10, 7, v62
; %bb.326:                              ;   in Loop: Header=BB266_9 Depth=1
	s_or_b32 exec_lo, exec_lo, s31
	v_lshlrev_b32_e32 v2, 8, v2
	s_delay_alu instid0(VALU_DEP_3) | instskip(NEXT) | instid1(VALU_DEP_3)
	v_lshl_add_u32 v60, v60, 10, 0x2000
	v_lshlrev_b32_e32 v10, 23, v10
	s_delay_alu instid0(VALU_DEP_2) | instskip(NEXT) | instid1(VALU_DEP_1)
	v_and_or_b32 v2, 0x8000, v2, v60
	v_lshl_or_b32 v60, v2, 16, v10
.LBB266_327:                            ;   in Loop: Header=BB266_9 Depth=1
	s_or_b32 exec_lo, exec_lo, s30
.LBB266_328:                            ;   in Loop: Header=BB266_9 Depth=1
	s_delay_alu instid0(SALU_CYCLE_1)
	s_or_b32 exec_lo, exec_lo, s29
.LBB266_329:                            ;   in Loop: Header=BB266_9 Depth=1
	s_delay_alu instid0(SALU_CYCLE_1)
	s_or_b32 exec_lo, exec_lo, s28
	global_load_b32 v10, v[8:9], off offset:1280
	v_dual_mov_b32 v62, 0 :: v_dual_mov_b32 v63, 0
	s_mov_b32 s28, exec_lo
	s_wait_loadcnt 0x0
	v_and_b32_e32 v2, 0xff, v10
	s_delay_alu instid0(VALU_DEP_1)
	v_cmpx_ne_u16_e32 0, v2
	s_cbranch_execz .LBB266_337
; %bb.330:                              ;   in Loop: Header=BB266_9 Depth=1
	v_mov_b32_e32 v63, 0x8000
	s_mov_b32 s29, exec_lo
	v_cmpx_ne_u16_e32 0x80, v2
	s_cbranch_execz .LBB266_336
; %bb.331:                              ;   in Loop: Header=BB266_9 Depth=1
	v_and_b32_e32 v64, 0x7f, v10
	v_mov_b32_e32 v63, 0x7c01
	s_mov_b32 s30, exec_lo
	s_delay_alu instid0(VALU_DEP_2)
	v_cmpx_ne_u32_e32 0x7f, v64
	s_cbranch_execz .LBB266_335
; %bb.332:                              ;   in Loop: Header=BB266_9 Depth=1
	v_dual_lshrrev_b32 v63, 3, v64 :: v_dual_bitop2_b32 v2, 7, v10 bitop3:0x40
	s_mov_b32 s31, exec_lo
	v_cmpx_gt_u32_e32 8, v64
; %bb.333:                              ;   in Loop: Header=BB266_9 Depth=1
	s_delay_alu instid0(VALU_DEP_2) | instskip(NEXT) | instid1(VALU_DEP_1)
	v_clz_i32_u32_e32 v2, v2
	v_min_u32_e32 v2, 32, v2
	s_delay_alu instid0(VALU_DEP_1) | instskip(NEXT) | instid1(VALU_DEP_1)
	v_subrev_nc_u32_e32 v63, 28, v2
	v_lshlrev_b64_e32 v[64:65], v63, v[10:11]
	s_delay_alu instid0(VALU_DEP_1)
	v_dual_sub_nc_u32 v63, 29, v2 :: v_dual_bitop2_b32 v2, 7, v64 bitop3:0x40
; %bb.334:                              ;   in Loop: Header=BB266_9 Depth=1
	s_or_b32 exec_lo, exec_lo, s31
	v_lshlrev_b32_e32 v64, 8, v10
	s_delay_alu instid0(VALU_DEP_2) | instskip(NEXT) | instid1(VALU_DEP_3)
	v_lshl_add_u32 v63, v63, 10, 0x2000
	v_lshlrev_b32_e32 v2, 7, v2
	s_delay_alu instid0(VALU_DEP_3) | instskip(NEXT) | instid1(VALU_DEP_3)
	v_and_b32_e32 v64, 0x8000, v64
	v_and_b32_e32 v63, 0xfc00, v63
	s_delay_alu instid0(VALU_DEP_1)
	v_or3_b32 v63, v64, v63, v2
.LBB266_335:                            ;   in Loop: Header=BB266_9 Depth=1
	s_or_b32 exec_lo, exec_lo, s30
.LBB266_336:                            ;   in Loop: Header=BB266_9 Depth=1
	s_delay_alu instid0(SALU_CYCLE_1)
	s_or_b32 exec_lo, exec_lo, s29
.LBB266_337:                            ;   in Loop: Header=BB266_9 Depth=1
	s_delay_alu instid0(SALU_CYCLE_1) | instskip(SKIP_2) | instid1(VALU_DEP_1)
	s_or_b32 exec_lo, exec_lo, s28
	v_lshrrev_b16 v2, 8, v10
	s_mov_b32 s28, exec_lo
	v_cmpx_ne_u16_e32 0, v2
	s_cbranch_execz .LBB266_345
; %bb.338:                              ;   in Loop: Header=BB266_9 Depth=1
	v_bfrev_b32_e32 v62, 1
	s_mov_b32 s29, exec_lo
	v_cmpx_ne_u16_e32 0x80, v2
	s_cbranch_execz .LBB266_344
; %bb.339:                              ;   in Loop: Header=BB266_9 Depth=1
	v_and_b32_e32 v64, 0xffff, v2
	v_mov_b32_e32 v62, 0x7c010000
	s_mov_b32 s30, exec_lo
	s_delay_alu instid0(VALU_DEP_2) | instskip(NEXT) | instid1(VALU_DEP_1)
	v_and_b32_e32 v66, 0x7f, v64
	v_cmpx_ne_u32_e32 0x7f, v66
	s_cbranch_execz .LBB266_343
; %bb.340:                              ;   in Loop: Header=BB266_9 Depth=1
	v_dual_lshrrev_b32 v65, 3, v66 :: v_dual_bitop2_b32 v62, 7, v64 bitop3:0x40
	s_mov_b32 s31, exec_lo
	v_cmpx_gt_u32_e32 8, v66
; %bb.341:                              ;   in Loop: Header=BB266_9 Depth=1
	s_delay_alu instid0(VALU_DEP_2) | instskip(NEXT) | instid1(VALU_DEP_1)
	v_clz_i32_u32_e32 v62, v62
	v_min_u32_e32 v62, 32, v62
	s_delay_alu instid0(VALU_DEP_1) | instskip(NEXT) | instid1(VALU_DEP_1)
	v_subrev_nc_u32_e32 v65, 28, v62
	v_lshlrev_b64_e32 v[66:67], v65, v[2:3]
	v_sub_nc_u32_e32 v65, 29, v62
	s_delay_alu instid0(VALU_DEP_2)
	v_and_b32_e32 v62, 7, v66
; %bb.342:                              ;   in Loop: Header=BB266_9 Depth=1
	s_or_b32 exec_lo, exec_lo, s31
	s_delay_alu instid0(VALU_DEP_1) | instskip(NEXT) | instid1(VALU_DEP_3)
	v_dual_lshlrev_b32 v2, 8, v64 :: v_dual_lshlrev_b32 v62, 23, v62
	v_lshl_add_u32 v64, v65, 10, 0x2000
	s_delay_alu instid0(VALU_DEP_1) | instskip(NEXT) | instid1(VALU_DEP_1)
	v_and_or_b32 v2, 0x8000, v2, v64
	v_lshl_or_b32 v62, v2, 16, v62
.LBB266_343:                            ;   in Loop: Header=BB266_9 Depth=1
	s_or_b32 exec_lo, exec_lo, s30
.LBB266_344:                            ;   in Loop: Header=BB266_9 Depth=1
	s_delay_alu instid0(SALU_CYCLE_1)
	s_or_b32 exec_lo, exec_lo, s29
.LBB266_345:                            ;   in Loop: Header=BB266_9 Depth=1
	s_delay_alu instid0(SALU_CYCLE_1) | instskip(SKIP_3) | instid1(VALU_DEP_2)
	s_or_b32 exec_lo, exec_lo, s28
	v_dual_lshrrev_b32 v2, 16, v10 :: v_dual_mov_b32 v64, 0
	v_mov_b32_e32 v65, 0
	s_mov_b32 s28, exec_lo
	v_and_b32_e32 v66, 0xff, v2
	s_delay_alu instid0(VALU_DEP_1)
	v_cmpx_ne_u16_e32 0, v66
	s_cbranch_execz .LBB266_353
; %bb.346:                              ;   in Loop: Header=BB266_9 Depth=1
	v_mov_b32_e32 v65, 0x8000
	s_mov_b32 s29, exec_lo
	v_cmpx_ne_u16_e32 0x80, v66
	s_cbranch_execz .LBB266_352
; %bb.347:                              ;   in Loop: Header=BB266_9 Depth=1
	v_bfe_u32 v67, v10, 16, 7
	v_mov_b32_e32 v65, 0x7c01
	s_mov_b32 s30, exec_lo
	s_delay_alu instid0(VALU_DEP_2)
	v_cmpx_ne_u32_e32 0x7f, v67
	s_cbranch_execz .LBB266_351
; %bb.348:                              ;   in Loop: Header=BB266_9 Depth=1
	v_dual_lshrrev_b32 v66, 3, v67 :: v_dual_bitop2_b32 v65, 7, v2 bitop3:0x40
	s_mov_b32 s31, exec_lo
	v_cmpx_gt_u32_e32 8, v67
; %bb.349:                              ;   in Loop: Header=BB266_9 Depth=1
	s_delay_alu instid0(VALU_DEP_2) | instskip(NEXT) | instid1(VALU_DEP_1)
	v_clz_i32_u32_e32 v65, v65
	v_min_u32_e32 v65, 32, v65
	s_delay_alu instid0(VALU_DEP_1) | instskip(NEXT) | instid1(VALU_DEP_1)
	v_subrev_nc_u32_e32 v66, 28, v65
	v_lshlrev_b64_e32 v[68:69], v66, v[2:3]
	s_delay_alu instid0(VALU_DEP_1)
	v_dual_sub_nc_u32 v66, 29, v65 :: v_dual_bitop2_b32 v65, 7, v68 bitop3:0x40
; %bb.350:                              ;   in Loop: Header=BB266_9 Depth=1
	s_or_b32 exec_lo, exec_lo, s31
	s_delay_alu instid0(VALU_DEP_1) | instskip(NEXT) | instid1(VALU_DEP_2)
	v_dual_lshlrev_b32 v2, 8, v2 :: v_dual_lshlrev_b32 v65, 7, v65
	v_lshl_add_u32 v66, v66, 10, 0x2000
	s_delay_alu instid0(VALU_DEP_2) | instskip(NEXT) | instid1(VALU_DEP_2)
	v_and_b32_e32 v2, 0x8000, v2
	v_and_b32_e32 v66, 0xfc00, v66
	s_delay_alu instid0(VALU_DEP_1)
	v_or3_b32 v65, v2, v66, v65
.LBB266_351:                            ;   in Loop: Header=BB266_9 Depth=1
	s_or_b32 exec_lo, exec_lo, s30
.LBB266_352:                            ;   in Loop: Header=BB266_9 Depth=1
	s_delay_alu instid0(SALU_CYCLE_1)
	s_or_b32 exec_lo, exec_lo, s29
.LBB266_353:                            ;   in Loop: Header=BB266_9 Depth=1
	s_delay_alu instid0(SALU_CYCLE_1) | instskip(NEXT) | instid1(SALU_CYCLE_1)
	s_or_b32 exec_lo, exec_lo, s28
	s_mov_b32 s28, exec_lo
	v_cmpx_lt_u32_e32 0xffffff, v10
	s_cbranch_execz .LBB266_361
; %bb.354:                              ;   in Loop: Header=BB266_9 Depth=1
	v_lshrrev_b32_e32 v2, 24, v10
	v_bfrev_b32_e32 v64, 1
	s_mov_b32 s29, exec_lo
	s_delay_alu instid0(VALU_DEP_2)
	v_cmpx_ne_u32_e32 0x80, v2
	s_cbranch_execz .LBB266_360
; %bb.355:                              ;   in Loop: Header=BB266_9 Depth=1
	v_and_b32_e32 v66, 0x7f, v2
	v_mov_b32_e32 v64, 0x7c010000
	s_mov_b32 s30, exec_lo
	s_delay_alu instid0(VALU_DEP_2)
	v_cmpx_ne_u32_e32 0x7f, v66
	s_cbranch_execz .LBB266_359
; %bb.356:                              ;   in Loop: Header=BB266_9 Depth=1
	v_and_b32_e32 v10, 7, v2
	v_lshrrev_b32_e32 v64, 3, v66
	s_mov_b32 s31, exec_lo
	v_cmpx_gt_u32_e32 8, v66
; %bb.357:                              ;   in Loop: Header=BB266_9 Depth=1
	s_delay_alu instid0(VALU_DEP_3) | instskip(NEXT) | instid1(VALU_DEP_1)
	v_clz_i32_u32_e32 v10, v10
	v_min_u32_e32 v10, 32, v10
	s_delay_alu instid0(VALU_DEP_1) | instskip(NEXT) | instid1(VALU_DEP_1)
	v_subrev_nc_u32_e32 v64, 28, v10
	v_lshlrev_b64_e32 v[66:67], v64, v[2:3]
	v_sub_nc_u32_e32 v64, 29, v10
	s_delay_alu instid0(VALU_DEP_2)
	v_and_b32_e32 v10, 7, v66
; %bb.358:                              ;   in Loop: Header=BB266_9 Depth=1
	s_or_b32 exec_lo, exec_lo, s31
	v_lshlrev_b32_e32 v2, 8, v2
	s_delay_alu instid0(VALU_DEP_3) | instskip(NEXT) | instid1(VALU_DEP_3)
	v_lshl_add_u32 v64, v64, 10, 0x2000
	v_lshlrev_b32_e32 v10, 23, v10
	s_delay_alu instid0(VALU_DEP_2) | instskip(NEXT) | instid1(VALU_DEP_1)
	v_and_or_b32 v2, 0x8000, v2, v64
	v_lshl_or_b32 v64, v2, 16, v10
.LBB266_359:                            ;   in Loop: Header=BB266_9 Depth=1
	s_or_b32 exec_lo, exec_lo, s30
.LBB266_360:                            ;   in Loop: Header=BB266_9 Depth=1
	s_delay_alu instid0(SALU_CYCLE_1)
	s_or_b32 exec_lo, exec_lo, s29
.LBB266_361:                            ;   in Loop: Header=BB266_9 Depth=1
	s_delay_alu instid0(SALU_CYCLE_1)
	s_or_b32 exec_lo, exec_lo, s28
	global_load_b32 v8, v[8:9], off offset:1288
	v_dual_mov_b32 v10, 0 :: v_dual_mov_b32 v66, 0
	s_mov_b32 s28, exec_lo
	s_wait_loadcnt 0x0
	v_and_b32_e32 v2, 0xff, v8
	s_delay_alu instid0(VALU_DEP_1)
	v_cmpx_ne_u16_e32 0, v2
	s_cbranch_execz .LBB266_369
; %bb.362:                              ;   in Loop: Header=BB266_9 Depth=1
	v_mov_b32_e32 v66, 0x8000
	s_mov_b32 s29, exec_lo
	v_cmpx_ne_u16_e32 0x80, v2
	s_cbranch_execz .LBB266_368
; %bb.363:                              ;   in Loop: Header=BB266_9 Depth=1
	v_and_b32_e32 v67, 0x7f, v8
	v_mov_b32_e32 v66, 0x7c01
	s_mov_b32 s30, exec_lo
	s_delay_alu instid0(VALU_DEP_2)
	v_cmpx_ne_u32_e32 0x7f, v67
	s_cbranch_execz .LBB266_367
; %bb.364:                              ;   in Loop: Header=BB266_9 Depth=1
	v_dual_lshrrev_b32 v9, 3, v67 :: v_dual_bitop2_b32 v2, 7, v8 bitop3:0x40
	s_mov_b32 s31, exec_lo
	v_cmpx_gt_u32_e32 8, v67
; %bb.365:                              ;   in Loop: Header=BB266_9 Depth=1
	s_delay_alu instid0(VALU_DEP_2) | instskip(NEXT) | instid1(VALU_DEP_1)
	v_clz_i32_u32_e32 v2, v2
	v_min_u32_e32 v2, 32, v2
	s_delay_alu instid0(VALU_DEP_1) | instskip(NEXT) | instid1(VALU_DEP_1)
	v_subrev_nc_u32_e32 v9, 28, v2
	v_lshlrev_b64_e32 v[66:67], v9, v[8:9]
	v_sub_nc_u32_e32 v9, 29, v2
	s_delay_alu instid0(VALU_DEP_2)
	v_and_b32_e32 v2, 7, v66
; %bb.366:                              ;   in Loop: Header=BB266_9 Depth=1
	s_or_b32 exec_lo, exec_lo, s31
	s_delay_alu instid0(VALU_DEP_1) | instskip(NEXT) | instid1(VALU_DEP_3)
	v_dual_lshlrev_b32 v66, 8, v8 :: v_dual_lshlrev_b32 v2, 7, v2
	v_lshl_add_u32 v9, v9, 10, 0x2000
	s_delay_alu instid0(VALU_DEP_2) | instskip(NEXT) | instid1(VALU_DEP_2)
	v_and_b32_e32 v66, 0x8000, v66
	v_and_b32_e32 v9, 0xfc00, v9
	s_delay_alu instid0(VALU_DEP_1)
	v_or3_b32 v66, v66, v9, v2
.LBB266_367:                            ;   in Loop: Header=BB266_9 Depth=1
	s_or_b32 exec_lo, exec_lo, s30
.LBB266_368:                            ;   in Loop: Header=BB266_9 Depth=1
	s_delay_alu instid0(SALU_CYCLE_1)
	s_or_b32 exec_lo, exec_lo, s29
.LBB266_369:                            ;   in Loop: Header=BB266_9 Depth=1
	s_delay_alu instid0(SALU_CYCLE_1) | instskip(SKIP_2) | instid1(VALU_DEP_1)
	s_or_b32 exec_lo, exec_lo, s28
	v_lshrrev_b16 v2, 8, v8
	s_mov_b32 s28, exec_lo
	v_cmpx_ne_u16_e32 0, v2
	s_cbranch_execz .LBB266_377
; %bb.370:                              ;   in Loop: Header=BB266_9 Depth=1
	v_bfrev_b32_e32 v10, 1
	s_mov_b32 s29, exec_lo
	v_cmpx_ne_u16_e32 0x80, v2
	s_cbranch_execz .LBB266_376
; %bb.371:                              ;   in Loop: Header=BB266_9 Depth=1
	v_and_b32_e32 v9, 0xffff, v2
	v_mov_b32_e32 v10, 0x7c010000
	s_mov_b32 s30, exec_lo
	s_delay_alu instid0(VALU_DEP_2) | instskip(NEXT) | instid1(VALU_DEP_1)
	v_and_b32_e32 v68, 0x7f, v9
	v_cmpx_ne_u32_e32 0x7f, v68
	s_cbranch_execz .LBB266_375
; %bb.372:                              ;   in Loop: Header=BB266_9 Depth=1
	v_dual_lshrrev_b32 v67, 3, v68 :: v_dual_bitop2_b32 v10, 7, v9 bitop3:0x40
	s_mov_b32 s31, exec_lo
	v_cmpx_gt_u32_e32 8, v68
; %bb.373:                              ;   in Loop: Header=BB266_9 Depth=1
	s_delay_alu instid0(VALU_DEP_2) | instskip(NEXT) | instid1(VALU_DEP_1)
	v_clz_i32_u32_e32 v10, v10
	v_min_u32_e32 v10, 32, v10
	s_delay_alu instid0(VALU_DEP_1) | instskip(NEXT) | instid1(VALU_DEP_1)
	v_subrev_nc_u32_e32 v67, 28, v10
	v_lshlrev_b64_e32 v[68:69], v67, v[2:3]
	s_delay_alu instid0(VALU_DEP_1)
	v_dual_sub_nc_u32 v67, 29, v10 :: v_dual_bitop2_b32 v10, 7, v68 bitop3:0x40
; %bb.374:                              ;   in Loop: Header=BB266_9 Depth=1
	s_or_b32 exec_lo, exec_lo, s31
	v_lshlrev_b32_e32 v2, 8, v9
	s_delay_alu instid0(VALU_DEP_2) | instskip(NEXT) | instid1(VALU_DEP_1)
	v_lshl_add_u32 v9, v67, 10, 0x2000
	v_and_or_b32 v2, 0x8000, v2, v9
	v_lshlrev_b32_e32 v9, 23, v10
	s_delay_alu instid0(VALU_DEP_1)
	v_lshl_or_b32 v10, v2, 16, v9
.LBB266_375:                            ;   in Loop: Header=BB266_9 Depth=1
	s_or_b32 exec_lo, exec_lo, s30
.LBB266_376:                            ;   in Loop: Header=BB266_9 Depth=1
	s_delay_alu instid0(SALU_CYCLE_1)
	s_or_b32 exec_lo, exec_lo, s29
.LBB266_377:                            ;   in Loop: Header=BB266_9 Depth=1
	s_delay_alu instid0(SALU_CYCLE_1) | instskip(SKIP_3) | instid1(VALU_DEP_2)
	s_or_b32 exec_lo, exec_lo, s28
	v_dual_mov_b32 v67, 0 :: v_dual_lshrrev_b32 v2, 16, v8
	v_mov_b32_e32 v68, 0
	s_mov_b32 s28, exec_lo
	v_and_b32_e32 v9, 0xff, v2
	s_delay_alu instid0(VALU_DEP_1)
	v_cmpx_ne_u16_e32 0, v9
	s_cbranch_execz .LBB266_385
; %bb.378:                              ;   in Loop: Header=BB266_9 Depth=1
	v_mov_b32_e32 v68, 0x8000
	s_mov_b32 s29, exec_lo
	v_cmpx_ne_u16_e32 0x80, v9
	s_cbranch_execz .LBB266_384
; %bb.379:                              ;   in Loop: Header=BB266_9 Depth=1
	v_bfe_u32 v69, v8, 16, 7
	v_mov_b32_e32 v68, 0x7c01
	s_mov_b32 s30, exec_lo
	s_delay_alu instid0(VALU_DEP_2)
	v_cmpx_ne_u32_e32 0x7f, v69
	s_cbranch_execz .LBB266_383
; %bb.380:                              ;   in Loop: Header=BB266_9 Depth=1
	v_dual_lshrrev_b32 v68, 3, v69 :: v_dual_bitop2_b32 v9, 7, v2 bitop3:0x40
	s_mov_b32 s31, exec_lo
	v_cmpx_gt_u32_e32 8, v69
; %bb.381:                              ;   in Loop: Header=BB266_9 Depth=1
	s_delay_alu instid0(VALU_DEP_2) | instskip(NEXT) | instid1(VALU_DEP_1)
	v_clz_i32_u32_e32 v9, v9
	v_min_u32_e32 v9, 32, v9
	s_delay_alu instid0(VALU_DEP_1) | instskip(NEXT) | instid1(VALU_DEP_1)
	v_subrev_nc_u32_e32 v68, 28, v9
	v_lshlrev_b64_e32 v[70:71], v68, v[2:3]
	s_delay_alu instid0(VALU_DEP_1)
	v_dual_sub_nc_u32 v68, 29, v9 :: v_dual_bitop2_b32 v9, 7, v70 bitop3:0x40
; %bb.382:                              ;   in Loop: Header=BB266_9 Depth=1
	s_or_b32 exec_lo, exec_lo, s31
	s_delay_alu instid0(VALU_DEP_1) | instskip(NEXT) | instid1(VALU_DEP_2)
	v_dual_lshlrev_b32 v2, 8, v2 :: v_dual_lshlrev_b32 v9, 7, v9
	v_lshl_add_u32 v68, v68, 10, 0x2000
	s_delay_alu instid0(VALU_DEP_2) | instskip(NEXT) | instid1(VALU_DEP_2)
	v_and_b32_e32 v2, 0x8000, v2
	v_and_b32_e32 v68, 0xfc00, v68
	s_delay_alu instid0(VALU_DEP_1)
	v_or3_b32 v68, v2, v68, v9
.LBB266_383:                            ;   in Loop: Header=BB266_9 Depth=1
	s_or_b32 exec_lo, exec_lo, s30
.LBB266_384:                            ;   in Loop: Header=BB266_9 Depth=1
	s_delay_alu instid0(SALU_CYCLE_1)
	s_or_b32 exec_lo, exec_lo, s29
.LBB266_385:                            ;   in Loop: Header=BB266_9 Depth=1
	s_delay_alu instid0(SALU_CYCLE_1) | instskip(NEXT) | instid1(SALU_CYCLE_1)
	s_or_b32 exec_lo, exec_lo, s28
	s_mov_b32 s28, exec_lo
	v_cmpx_lt_u32_e32 0xffffff, v8
	s_cbranch_execz .LBB266_393
; %bb.386:                              ;   in Loop: Header=BB266_9 Depth=1
	v_lshrrev_b32_e32 v2, 24, v8
	v_bfrev_b32_e32 v67, 1
	s_mov_b32 s29, exec_lo
	s_delay_alu instid0(VALU_DEP_2)
	v_cmpx_ne_u32_e32 0x80, v2
	s_cbranch_execz .LBB266_392
; %bb.387:                              ;   in Loop: Header=BB266_9 Depth=1
	v_and_b32_e32 v69, 0x7f, v2
	v_mov_b32_e32 v67, 0x7c010000
	s_mov_b32 s30, exec_lo
	s_delay_alu instid0(VALU_DEP_2)
	v_cmpx_ne_u32_e32 0x7f, v69
	s_cbranch_execz .LBB266_391
; %bb.388:                              ;   in Loop: Header=BB266_9 Depth=1
	v_dual_lshrrev_b32 v9, 3, v69 :: v_dual_bitop2_b32 v8, 7, v2 bitop3:0x40
	s_mov_b32 s31, exec_lo
	v_cmpx_gt_u32_e32 8, v69
; %bb.389:                              ;   in Loop: Header=BB266_9 Depth=1
	s_delay_alu instid0(VALU_DEP_2) | instskip(NEXT) | instid1(VALU_DEP_1)
	v_clz_i32_u32_e32 v8, v8
	v_min_u32_e32 v67, 32, v8
	s_delay_alu instid0(VALU_DEP_1) | instskip(NEXT) | instid1(VALU_DEP_1)
	v_subrev_nc_u32_e32 v8, 28, v67
	v_lshlrev_b64_e32 v[8:9], v8, v[2:3]
	s_delay_alu instid0(VALU_DEP_1)
	v_dual_sub_nc_u32 v9, 29, v67 :: v_dual_bitop2_b32 v8, 7, v8 bitop3:0x40
; %bb.390:                              ;   in Loop: Header=BB266_9 Depth=1
	s_or_b32 exec_lo, exec_lo, s31
	s_delay_alu instid0(VALU_DEP_1) | instskip(NEXT) | instid1(VALU_DEP_2)
	v_dual_lshlrev_b32 v2, 8, v2 :: v_dual_lshlrev_b32 v8, 23, v8
	v_lshl_add_u32 v9, v9, 10, 0x2000
	s_delay_alu instid0(VALU_DEP_1) | instskip(NEXT) | instid1(VALU_DEP_1)
	v_and_or_b32 v2, 0x8000, v2, v9
	v_lshl_or_b32 v67, v2, 16, v8
.LBB266_391:                            ;   in Loop: Header=BB266_9 Depth=1
	s_or_b32 exec_lo, exec_lo, s30
.LBB266_392:                            ;   in Loop: Header=BB266_9 Depth=1
	s_delay_alu instid0(SALU_CYCLE_1)
	s_or_b32 exec_lo, exec_lo, s29
.LBB266_393:                            ;   in Loop: Header=BB266_9 Depth=1
	s_delay_alu instid0(SALU_CYCLE_1)
	s_or_b32 exec_lo, exec_lo, s28
	ds_load_b64 v[8:9], v14
	v_or_b32_e32 v2, v19, v20
	v_or_b32_e32 v20, v21, v22
	v_fma_mixlo_f16 v21, v18, v21, 0 op_sel:[0,1,0] op_sel_hi:[0,1,0]
	v_fma_mixlo_f16 v19, v18, v19, 0 op_sel:[0,1,0] op_sel_hi:[0,1,0]
	v_or_b32_e32 v33, v32, v33
	v_fma_mixlo_f16 v32, v18, v32, 0 op_sel:[0,1,0] op_sel_hi:[0,1,0]
	v_or_b32_e32 v37, v36, v37
	v_and_b32_e32 v71, 0xffff, v21
	v_and_b32_e32 v22, 0xffff, v19
	v_fma_mixlo_f16 v33, v18, v33, 0 op_sel_hi:[0,1,0]
	v_and_b32_e32 v80, 0xffff, v32
	v_fma_mixlo_f16 v36, v18, v36, 0 op_sel:[0,1,0] op_sel_hi:[0,1,0]
	v_fma_mixlo_f16 v37, v18, v37, 0 op_sel_hi:[0,1,0]
	v_or_b32_e32 v53, v52, v53
	v_and_b32_e32 v33, 0xffff, v33
	v_fma_mixlo_f16 v52, v18, v52, 0 op_sel:[0,1,0] op_sel_hi:[0,1,0]
	v_and_b32_e32 v83, 0xffff, v36
	v_and_b32_e32 v82, 0xffff, v37
	v_fma_mixlo_f16 v53, v18, v53, 0 op_sel_hi:[0,1,0]
	s_wait_dscnt 0x0
	v_lshrrev_b32_e32 v72, 16, v9
	v_fma_mixlo_f16 v2, v18, v2, 0 op_sel_hi:[0,1,0]
	v_and_b32_e32 v9, 0xffff, v9
	v_and_b32_e32 v52, 0xffff, v52
	;; [unrolled: 1-line block ×3, first 2 shown]
	v_or_b32_e32 v35, v34, v35
	v_and_b32_e32 v21, 0xffff, v2
	v_and_b32_e32 v2, 0xffff, v8
	v_lshrrev_b32_e32 v8, 16, v8
	v_fma_mixlo_f16 v20, v18, v20, 0 op_sel_hi:[0,1,0]
	;;#ASMSTART
	v_cvt_f32_f16 v19, v2;
	;;#ASMEND
	;;#ASMSTART
	v_cvt_f32_f16 v2, v8;
	;;#ASMEND
	;; [unrolled: 3-line block ×3, first 2 shown]
	v_fma_mixlo_f16 v34, v18, v34, 0 op_sel:[0,1,0] op_sel_hi:[0,1,0]
	v_and_b32_e32 v70, 0xffff, v20
	;;#ASMSTART
	v_cvt_f32_f16 v20, v22;
	;;#ASMEND
	;;#ASMSTART
	v_cvt_f32_f16 v21, v9;
	;;#ASMEND
	;; [unrolled: 3-line block ×5, first 2 shown]
	ds_load_b64 v[8:9], v14 offset:8
	v_or_b32_e32 v24, v23, v24
	v_or_b32_e32 v29, v25, v29
	v_fma_mixlo_f16 v23, v18, v23, 0 op_sel:[0,1,0] op_sel_hi:[0,1,0]
	v_fma_mixlo_f16 v25, v18, v25, 0 op_sel:[0,1,0] op_sel_hi:[0,1,0]
	v_fma_mixlo_f16 v35, v18, v35, 0 op_sel_hi:[0,1,0]
	v_or_b32_e32 v39, v38, v39
	v_fma_mixlo_f16 v38, v18, v38, 0 op_sel:[0,1,0] op_sel_hi:[0,1,0]
	v_and_b32_e32 v72, 0xffff, v23
	v_and_b32_e32 v75, 0xffff, v25
	;; [unrolled: 1-line block ×3, first 2 shown]
	v_fma_mixlo_f16 v39, v18, v39, 0 op_sel_hi:[0,1,0]
	v_and_b32_e32 v38, 0xffff, v38
	s_delay_alu instid0(VALU_DEP_2)
	v_and_b32_e32 v39, 0xffff, v39
	s_wait_dscnt 0x0
	v_and_b32_e32 v23, 0xffff, v8
	v_lshrrev_b32_e32 v8, 16, v8
	v_fma_mixlo_f16 v29, v18, v29, 0 op_sel_hi:[0,1,0]
	v_lshrrev_b32_e32 v76, 16, v9
	v_fma_mixlo_f16 v24, v18, v24, 0 op_sel_hi:[0,1,0]
	v_and_b32_e32 v9, 0xffff, v9
	s_delay_alu instid0(VALU_DEP_4) | instskip(NEXT) | instid1(VALU_DEP_3)
	v_and_b32_e32 v74, 0xffff, v29
	v_and_b32_e32 v25, 0xffff, v24
	;;#ASMSTART
	v_cvt_f32_f16 v24, v23;
	;;#ASMEND
	;;#ASMSTART
	v_cvt_f32_f16 v23, v8;
	;;#ASMEND
	;; [unrolled: 3-line block ×8, first 2 shown]
	ds_load_b64 v[8:9], v14 offset:16
	v_or_b32_e32 v31, v30, v31
	v_fma_mixlo_f16 v30, v18, v30, 0 op_sel:[0,1,0] op_sel_hi:[0,1,0]
	v_dual_mul_f32 v23, v23, v25 :: v_dual_mul_f32 v25, v29, v74
	v_mul_f32_e32 v24, v24, v73
	v_mul_f32_e32 v29, v72, v75
	s_delay_alu instid0(VALU_DEP_4) | instskip(NEXT) | instid1(VALU_DEP_4)
	v_and_b32_e32 v30, 0xffff, v30
	v_fmac_f32_e32 v25, v21, v70
	s_delay_alu instid0(VALU_DEP_3)
	v_fmac_f32_e32 v29, v22, v71
	v_fmac_f32_e32 v23, v2, v20
	s_wait_dscnt 0x0
	v_and_b32_e32 v32, 0xffff, v8
	v_lshrrev_b32_e32 v8, 16, v8
	v_fma_mixlo_f16 v31, v18, v31, 0 op_sel_hi:[0,1,0]
	v_lshrrev_b32_e32 v81, 16, v9
	v_and_b32_e32 v9, 0xffff, v9
	;;#ASMSTART
	v_cvt_f32_f16 v77, v32;
	;;#ASMEND
	;;#ASMSTART
	v_cvt_f32_f16 v76, v8;
	;;#ASMEND
	v_and_b32_e32 v31, 0xffff, v31
	;;#ASMSTART
	v_cvt_f32_f16 v79, v31;
	;;#ASMEND
	;;#ASMSTART
	v_cvt_f32_f16 v78, v30;
	;;#ASMEND
	;; [unrolled: 3-line block ×6, first 2 shown]
	ds_load_b64 v[8:9], v14 offset:24
	v_and_b32_e32 v81, 0xffff, v34
	v_dual_fmac_f32 v23, v76, v78 :: v_dual_fmac_f32 v25, v30, v32
	s_wait_dscnt 0x0
	v_and_b32_e32 v34, 0xffff, v8
	v_dual_lshrrev_b32 v8, 16, v8 :: v_dual_lshrrev_b32 v37, 16, v9
	v_and_b32_e32 v9, 0xffff, v9
	;;#ASMSTART
	v_cvt_f32_f16 v34, v34;
	;;#ASMEND
	;;#ASMSTART
	v_cvt_f32_f16 v35, v8;
	;;#ASMEND
	;; [unrolled: 3-line block ×8, first 2 shown]
	ds_load_b64 v[8:9], v14 offset:32
	v_or_b32_e32 v43, v42, v43
	v_fma_mixlo_f16 v42, v18, v42, 0 op_sel:[0,1,0] op_sel_hi:[0,1,0]
	v_dual_fmac_f32 v23, v35, v81 :: v_dual_fmac_f32 v25, v36, v82
	s_delay_alu instid0(VALU_DEP_2)
	v_and_b32_e32 v86, 0xffff, v42
	s_wait_dscnt 0x0
	v_lshrrev_b32_e32 v88, 16, v9
	v_fma_mixlo_f16 v43, v18, v43, 0 op_sel_hi:[0,1,0]
	v_and_b32_e32 v42, 0xffff, v8
	v_lshrrev_b32_e32 v8, 16, v8
	v_and_b32_e32 v9, 0xffff, v9
	;;#ASMSTART
	v_cvt_f32_f16 v42, v42;
	;;#ASMEND
	v_and_b32_e32 v87, 0xffff, v43
	;;#ASMSTART
	v_cvt_f32_f16 v43, v8;
	;;#ASMEND
	;;#ASMSTART
	v_cvt_f32_f16 v84, v39;
	;;#ASMEND
	;; [unrolled: 3-line block ×7, first 2 shown]
	ds_load_b64 v[86:87], v14 offset:40
	v_or_b32_e32 v45, v44, v45
	v_or_b32_e32 v41, v40, v41
	v_fma_mixlo_f16 v40, v18, v40, 0 op_sel:[0,1,0] op_sel_hi:[0,1,0]
	v_fma_mixlo_f16 v44, v18, v44, 0 op_sel:[0,1,0] op_sel_hi:[0,1,0]
	v_dual_fmac_f32 v23, v43, v85 :: v_dual_fmac_f32 v25, v8, v38
	v_fma_mixlo_f16 v45, v18, v45, 0 op_sel_hi:[0,1,0]
	s_delay_alu instid0(VALU_DEP_4) | instskip(NEXT) | instid1(VALU_DEP_4)
	v_and_b32_e32 v88, 0xffff, v40
	v_and_b32_e32 v89, 0xffff, v44
	s_delay_alu instid0(VALU_DEP_3)
	v_and_b32_e32 v90, 0xffff, v45
	s_wait_dscnt 0x0
	v_lshrrev_b32_e32 v45, 16, v87
	v_fma_mixlo_f16 v41, v18, v41, 0 op_sel_hi:[0,1,0]
	v_and_b32_e32 v40, 0xffff, v86
	v_and_b32_e32 v91, 0xffff, v87
	;;#ASMSTART
	v_cvt_f32_f16 v40, v40;
	;;#ASMEND
	s_delay_alu instid0(VALU_DEP_3)
	v_and_b32_e32 v44, 0xffff, v41
	v_lshrrev_b32_e32 v41, 16, v86
	;;#ASMSTART
	v_cvt_f32_f16 v41, v41;
	;;#ASMEND
	;;#ASMSTART
	v_cvt_f32_f16 v86, v44;
	;;#ASMEND
	;; [unrolled: 3-line block ×7, first 2 shown]
	ds_load_b64 v[90:91], v14 offset:48
	v_or_b32_e32 v47, v46, v47
	v_or_b32_e32 v49, v48, v49
	v_fma_mixlo_f16 v46, v18, v46, 0 op_sel:[0,1,0] op_sel_hi:[0,1,0]
	v_fma_mixlo_f16 v48, v18, v48, 0 op_sel:[0,1,0] op_sel_hi:[0,1,0]
	v_dual_fmac_f32 v23, v41, v87 :: v_dual_fmac_f32 v25, v44, v88
	s_delay_alu instid0(VALU_DEP_3) | instskip(NEXT) | instid1(VALU_DEP_3)
	v_and_b32_e32 v46, 0xffff, v46
	v_and_b32_e32 v48, 0xffff, v48
	s_wait_dscnt 0x0
	v_and_b32_e32 v92, 0xffff, v90
	v_lshrrev_b32_e32 v90, 16, v90
	v_fma_mixlo_f16 v47, v18, v47, 0 op_sel_hi:[0,1,0]
	v_lshrrev_b32_e32 v93, 16, v91
	v_fma_mixlo_f16 v49, v18, v49, 0 op_sel_hi:[0,1,0]
	v_and_b32_e32 v91, 0xffff, v91
	;;#ASMSTART
	v_cvt_f32_f16 v92, v92;
	;;#ASMEND
	v_and_b32_e32 v47, 0xffff, v47
	;;#ASMSTART
	v_cvt_f32_f16 v90, v90;
	;;#ASMEND
	;; [unrolled: 4-line block ×3, first 2 shown]
	;;#ASMSTART
	v_cvt_f32_f16 v95, v46;
	;;#ASMEND
	;;#ASMSTART
	v_cvt_f32_f16 v91, v91;
	;;#ASMEND
	;;#ASMSTART
	v_cvt_f32_f16 v46, v93;
	;;#ASMEND
	;;#ASMSTART
	v_cvt_f32_f16 v93, v49;
	;;#ASMEND
	;;#ASMSTART
	v_cvt_f32_f16 v47, v48;
	;;#ASMEND
	ds_load_b64 v[48:49], v14 offset:56
	v_or_b32_e32 v51, v50, v51
	v_fma_mixlo_f16 v50, v18, v50, 0 op_sel:[0,1,0] op_sel_hi:[0,1,0]
	s_delay_alu instid0(VALU_DEP_1)
	v_and_b32_e32 v50, 0xffff, v50
	s_wait_dscnt 0x0
	v_and_b32_e32 v96, 0xffff, v48
	v_lshrrev_b32_e32 v48, 16, v48
	v_fma_mixlo_f16 v51, v18, v51, 0 op_sel_hi:[0,1,0]
	v_lshrrev_b32_e32 v97, 16, v49
	v_and_b32_e32 v49, 0xffff, v49
	;;#ASMSTART
	v_cvt_f32_f16 v96, v96;
	;;#ASMEND
	;;#ASMSTART
	v_cvt_f32_f16 v98, v48;
	;;#ASMEND
	v_and_b32_e32 v51, 0xffff, v51
	;;#ASMSTART
	v_cvt_f32_f16 v99, v51;
	;;#ASMEND
	;;#ASMSTART
	v_cvt_f32_f16 v100, v50;
	;;#ASMEND
	;; [unrolled: 3-line block ×3, first 2 shown]
	v_or_b32_e32 v50, v54, v55
	;;#ASMSTART
	v_cvt_f32_f16 v97, v97;
	;;#ASMEND
	;;#ASMSTART
	v_cvt_f32_f16 v102, v53;
	;;#ASMEND
	;; [unrolled: 3-line block ×3, first 2 shown]
	ds_load_b64 v[48:49], v14 offset:64
	v_or_b32_e32 v51, v56, v57
	v_fma_mixlo_f16 v52, v18, v54, 0 op_sel:[0,1,0] op_sel_hi:[0,1,0]
	v_fma_mixlo_f16 v53, v18, v56, 0 op_sel:[0,1,0] op_sel_hi:[0,1,0]
	v_fma_mixlo_f16 v50, v18, v50, 0 op_sel_hi:[0,1,0]
	v_or_b32_e32 v54, v62, v63
	v_fma_mixlo_f16 v51, v18, v51, 0 op_sel_hi:[0,1,0]
	v_fma_mixlo_f16 v55, v18, v62, 0 op_sel:[0,1,0] op_sel_hi:[0,1,0]
	v_or_b32_e32 v56, v58, v59
	v_or_b32_e32 v57, v60, v61
	;; [unrolled: 1-line block ×4, first 2 shown]
	v_and_b32_e32 v52, 0xffff, v52
	v_and_b32_e32 v53, 0xffff, v53
	;; [unrolled: 1-line block ×4, first 2 shown]
	v_fma_mixlo_f16 v58, v18, v58, 0 op_sel:[0,1,0] op_sel_hi:[0,1,0]
	v_fma_mixlo_f16 v60, v18, v60, 0 op_sel:[0,1,0] op_sel_hi:[0,1,0]
	;; [unrolled: 1-line block ×3, first 2 shown]
	s_wait_dscnt 0x0
	v_and_b32_e32 v62, 0xffff, v48
	v_dual_lshrrev_b32 v48, 16, v48 :: v_dual_lshrrev_b32 v63, 16, v49
	v_and_b32_e32 v49, 0xffff, v49
	;;#ASMSTART
	v_cvt_f32_f16 v62, v62;
	;;#ASMEND
	;;#ASMSTART
	v_cvt_f32_f16 v65, v48;
	;;#ASMEND
	;; [unrolled: 3-line block ×8, first 2 shown]
	ds_load_b64 v[48:49], v14 offset:72
	v_fma_mixlo_f16 v51, v18, v56, 0 op_sel_hi:[0,1,0]
	v_fmac_f32_e32 v24, v19, v69
	v_fma_mixlo_f16 v52, v18, v57, 0 op_sel_hi:[0,1,0]
	v_and_b32_e32 v56, 0xffff, v58
	v_and_b32_e32 v57, 0xffff, v60
	;; [unrolled: 1-line block ×3, first 2 shown]
	v_fma_mixlo_f16 v53, v18, v54, 0 op_sel_hi:[0,1,0]
	v_and_b32_e32 v19, 0xffff, v52
	v_fma_mixlo_f16 v50, v18, v64, 0 op_sel:[0,1,0] op_sel_hi:[0,1,0]
	v_fma_mixlo_f16 v54, v18, v59, 0 op_sel_hi:[0,1,0]
	v_and_b32_e32 v10, 0xffff, v10
	v_and_b32_e32 v8, 0xffff, v53
	s_wait_dscnt 0x0
	v_dual_lshrrev_b32 v20, 16, v48 :: v_dual_fmac_f32 v24, v77, v79
	v_lshrrev_b32_e32 v21, 16, v49
	v_and_b32_e32 v22, 0xffff, v49
	v_and_b32_e32 v2, 0xffff, v48
	;;#ASMSTART
	v_cvt_f32_f16 v48, v2;
	;;#ASMEND
	;;#ASMSTART
	v_cvt_f32_f16 v49, v20;
	;;#ASMEND
	;;#ASMSTART
	v_cvt_f32_f16 v51, v51;
	;;#ASMEND
	;;#ASMSTART
	v_cvt_f32_f16 v52, v56;
	;;#ASMEND
	;;#ASMSTART
	v_cvt_f32_f16 v22, v22;
	;;#ASMEND
	;;#ASMSTART
	v_cvt_f32_f16 v56, v21;
	;;#ASMEND
	;;#ASMSTART
	v_cvt_f32_f16 v58, v19;
	;;#ASMEND
	;;#ASMSTART
	v_cvt_f32_f16 v57, v57;
	;;#ASMEND
	ds_load_b64 v[20:21], v14 offset:80
	v_dual_fmac_f32 v29, v31, v33 :: v_dual_fmac_f32 v24, v34, v80
	v_fmac_f32_e32 v23, v90, v95
	v_and_b32_e32 v19, 0xffff, v55
	v_fma_mixlo_f16 v2, v18, v61, 0 op_sel_hi:[0,1,0]
	s_delay_alu instid0(VALU_DEP_4) | instskip(NEXT) | instid1(VALU_DEP_2)
	v_dual_fmac_f32 v29, v37, v83 :: v_dual_fmac_f32 v24, v42, v84
	v_and_b32_e32 v2, 0xffff, v2
	s_delay_alu instid0(VALU_DEP_2) | instskip(NEXT) | instid1(VALU_DEP_1)
	v_dual_fmac_f32 v29, v9, v39 :: v_dual_fmac_f32 v24, v40, v86
	v_dual_fmac_f32 v29, v45, v89 :: v_dual_fmac_f32 v24, v92, v94
	v_fmac_f32_e32 v25, v91, v93
	s_wait_dscnt 0x0
	v_and_b32_e32 v9, 0xffff, v20
	v_dual_lshrrev_b32 v20, 16, v20 :: v_dual_lshrrev_b32 v30, 16, v21
	v_fmac_f32_e32 v29, v46, v47
	v_and_b32_e32 v21, 0xffff, v21
	;;#ASMSTART
	v_cvt_f32_f16 v31, v9;
	;;#ASMEND
	;;#ASMSTART
	v_cvt_f32_f16 v20, v20;
	;;#ASMEND
	;; [unrolled: 3-line block ×3, first 2 shown]
	v_and_b32_e32 v8, 0xffff, v54
	v_and_b32_e32 v9, 0xffff, v50
	;;#ASMSTART
	v_cvt_f32_f16 v33, v19;
	;;#ASMEND
	;;#ASMSTART
	v_cvt_f32_f16 v21, v21;
	;;#ASMEND
	;; [unrolled: 3-line block ×5, first 2 shown]
	ds_load_b64 v[8:9], v14 offset:88
	v_dual_fmac_f32 v24, v96, v99 :: v_dual_fmac_f32 v23, v98, v100
	v_dual_fmac_f32 v25, v101, v102 :: v_dual_bitop2_b32 v19, v67, v68 bitop3:0x54
	s_delay_alu instid0(VALU_DEP_2) | instskip(NEXT) | instid1(VALU_DEP_3)
	v_dual_fmac_f32 v29, v97, v103 :: v_dual_fmac_f32 v24, v62, v66
	v_fmac_f32_e32 v23, v65, v104
	s_delay_alu instid0(VALU_DEP_3) | instskip(NEXT) | instid1(VALU_DEP_4)
	v_fmac_f32_e32 v25, v105, v106
	v_fma_mixlo_f16 v19, v18, v19, 0 op_sel_hi:[0,1,0]
	s_delay_alu instid0(VALU_DEP_4) | instskip(NEXT) | instid1(VALU_DEP_4)
	v_fmac_f32_e32 v29, v63, v107
	v_dual_fmac_f32 v24, v48, v51 :: v_dual_fmac_f32 v23, v49, v52
	s_delay_alu instid0(VALU_DEP_4) | instskip(SKIP_1) | instid1(VALU_DEP_3)
	v_fmac_f32_e32 v25, v22, v58
	v_fma_mixlo_f16 v18, v18, v67, 0 op_sel:[0,1,0] op_sel_hi:[0,1,0]
	v_dual_fmac_f32 v29, v56, v57 :: v_dual_fmac_f32 v24, v31, v32
	s_delay_alu instid0(VALU_DEP_3)
	v_dual_fmac_f32 v23, v20, v33 :: v_dual_fmac_f32 v25, v21, v34
	v_and_b32_e32 v19, 0xffff, v19
	s_wait_dscnt 0x0
	v_and_b32_e32 v20, 0xffff, v8
	v_dual_fmac_f32 v29, v30, v35 :: v_dual_lshrrev_b32 v8, 16, v8
	;;#ASMSTART
	v_cvt_f32_f16 v20, v20;
	;;#ASMEND
	;;#ASMSTART
	v_cvt_f32_f16 v8, v8;
	;;#ASMEND
	;; [unrolled: 3-line block ×3, first 2 shown]
	v_and_b32_e32 v21, 0xffff, v9
	v_lshrrev_b32_e32 v9, 16, v9
	;;#ASMSTART
	v_cvt_f32_f16 v10, v10;
	;;#ASMEND
	v_fmac_f32_e32 v24, v20, v2
	v_fmac_f32_e32 v23, v8, v10
	;;#ASMSTART
	v_cvt_f32_f16 v2, v21;
	;;#ASMEND
	;;#ASMSTART
	v_cvt_f32_f16 v9, v9;
	;;#ASMEND
	;; [unrolled: 3-line block ×3, first 2 shown]
	v_dual_fmac_f32 v25, v2, v8 :: v_dual_bitop2_b32 v8, 1, v11 bitop3:0x14
	v_and_b32_e32 v10, 0xffff, v18
	;;#ASMSTART
	v_cvt_f32_f16 v10, v10;
	;;#ASMEND
	s_delay_alu instid0(VALU_DEP_1) | instskip(NEXT) | instid1(VALU_DEP_3)
	v_dual_add_f32 v2, v24, v23 :: v_dual_fmac_f32 v29, v9, v10
	v_cmp_gt_i32_e64 s4, 32, v8
	s_delay_alu instid0(VALU_DEP_1) | instskip(NEXT) | instid1(VALU_DEP_1)
	v_dual_add_f32 v2, v2, v25 :: v_dual_cndmask_b32 v8, v11, v8, s4
	v_dual_add_f32 v2, v29, v2 :: v_dual_lshlrev_b32 v8, 2, v8
	ds_bpermute_b32 v8, v8, v2
	s_and_saveexec_b32 s28, vcc_lo
	s_cbranch_execz .LBB266_8
; %bb.394:                              ;   in Loop: Header=BB266_9 Depth=1
	s_wait_dscnt 0x0
	v_dual_add_f32 v2, v2, v8 :: v_dual_add_nc_u32 v9, s27, v15
	v_cmp_gt_i32_e64 s4, s23, v15
	s_delay_alu instid0(VALU_DEP_2) | instskip(NEXT) | instid1(VALU_DEP_1)
	v_cvt_f32_i32_e32 v9, v9
	v_mul_f32_e32 v9, s25, v9
	s_delay_alu instid0(VALU_DEP_1) | instskip(NEXT) | instid1(VALU_DEP_1)
	v_cndmask_b32_e64 v8, 0, v9, s3
	v_dual_fmac_f32 v8, s7, v2 :: v_dual_max_num_f32 v9, v13, v13
	s_delay_alu instid0(VALU_DEP_1) | instskip(NEXT) | instid1(VALU_DEP_1)
	v_dual_max_num_f32 v2, v9, v8 :: v_dual_cndmask_b32 v8, 0, v8, s4
	v_cndmask_b32_e64 v13, v13, v2, s4
	ds_store_b32 v16, v8
	s_branch .LBB266_8
.LBB266_395:
	s_or_b32 exec_lo, exec_lo, s6
.LBB266_396:
	s_delay_alu instid0(SALU_CYCLE_1)
	s_or_b32 exec_lo, exec_lo, s26
	v_dual_max_num_f32 v6, v13, v13 :: v_dual_bitop2_b32 v2, 16, v11 bitop3:0x14
	s_load_b64 s[6:7], s[0:1], 0x0
	s_wait_kmcnt 0x0
	s_load_b64 s[8:9], s[0:1], 0x18
	v_xor_b32_e32 v5, 8, v11
	v_xor_b32_e32 v7, 4, v11
	v_cmp_lt_i32_e32 vcc_lo, v2, v12
	v_dual_cndmask_b32 v2, v11, v2, vcc_lo :: v_dual_bitop2_b32 v29, 31, v0 bitop3:0x40
	s_delay_alu instid0(VALU_DEP_4) | instskip(NEXT) | instid1(VALU_DEP_2)
	v_cmp_lt_i32_e32 vcc_lo, v5, v12
	v_dual_cndmask_b32 v5, v11, v5 :: v_dual_lshlrev_b32 v4, 2, v2
	v_cmp_lt_i32_e32 vcc_lo, v7, v12
	ds_bpermute_b32 v2, v4, v13
	s_wait_dscnt 0x0
	v_dual_max_num_f32 v2, v2, v2 :: v_dual_lshlrev_b32 v5, 2, v5
	s_delay_alu instid0(VALU_DEP_1) | instskip(SKIP_3) | instid1(VALU_DEP_1)
	v_max_num_f32_e32 v2, v6, v2
	ds_bpermute_b32 v6, v5, v2
	s_wait_dscnt 0x0
	v_dual_cndmask_b32 v7, v11, v7 :: v_dual_max_num_f32 v8, v6, v6
	v_dual_lshlrev_b32 v6, 2, v7 :: v_dual_max_num_f32 v2, v2, v8
	v_xor_b32_e32 v8, 2, v11
	ds_bpermute_b32 v7, v6, v2
	v_cmp_lt_i32_e32 vcc_lo, v8, v12
	s_wait_dscnt 0x0
	v_max_num_f32_e32 v7, v7, v7
	v_cndmask_b32_e32 v9, v11, v8, vcc_lo
	v_cmp_eq_u32_e32 vcc_lo, 0, v29
	s_delay_alu instid0(VALU_DEP_2)
	v_dual_max_num_f32 v8, v2, v7 :: v_dual_lshlrev_b32 v2, 2, v9
	v_lshlrev_b32_e32 v7, 2, v28
	ds_bpermute_b32 v9, v2, v8
	s_wait_xcnt 0x0
	s_and_saveexec_b32 s0, vcc_lo
	s_cbranch_execz .LBB266_398
; %bb.397:
	s_wait_dscnt 0x0
	v_dual_max_num_f32 v9, v9, v9 :: v_dual_max_num_f32 v8, v8, v8
	s_delay_alu instid0(VALU_DEP_1)
	v_max_num_f32_e32 v8, v8, v9
	ds_store_b32 v7, v8 offset:192
.LBB266_398:
	s_or_b32 exec_lo, exec_lo, s0
	v_cmp_gt_u32_e64 s0, 4, v29
	s_wait_dscnt 0x0
	v_dual_mov_b32 v9, 0xff7fffff :: v_dual_lshlrev_b32 v8, 2, v29
	s_barrier_signal -1
	s_barrier_wait -1
	s_and_saveexec_b32 s1, s0
; %bb.399:
	ds_load_b32 v9, v8 offset:192
; %bb.400:
	s_or_b32 exec_lo, exec_lo, s1
	s_wait_dscnt 0x0
	ds_bpermute_b32 v10, v2, v9
	v_dual_max_num_f32 v9, v9, v9 :: v_dual_bitop2_b32 v13, 1, v11 bitop3:0x14
	v_lshlrev_b32_e32 v3, 2, v3
	s_delay_alu instid0(VALU_DEP_2) | instskip(NEXT) | instid1(VALU_DEP_1)
	v_cmp_lt_i32_e64 s1, v13, v12
	v_cndmask_b32_e64 v12, v11, v13, s1
	s_lshl_b32 s1, s24, 4
	s_delay_alu instid0(SALU_CYCLE_1) | instskip(NEXT) | instid1(SALU_CYCLE_1)
	s_min_i32 s4, s1, s23
	v_cmp_gt_i32_e64 s1, s4, v0
	s_wait_dscnt 0x0
	v_dual_max_num_f32 v10, v10, v10 :: v_dual_lshlrev_b32 v30, 2, v12
	s_delay_alu instid0(VALU_DEP_1) | instskip(SKIP_3) | instid1(VALU_DEP_1)
	v_max_num_f32_e32 v9, v9, v10
	ds_bpermute_b32 v10, v30, v9
	s_wait_dscnt 0x0
	v_max_num_f32_e32 v10, v10, v10
	v_max_num_f32_e32 v9, v9, v10
	ds_bpermute_b32 v9, v3, v9
	v_mov_b32_e32 v3, 0
	s_and_saveexec_b32 s19, s1
	s_cbranch_execz .LBB266_404
; %bb.401:
	v_lshl_add_u32 v10, v0, 2, 0xe0
	v_dual_mov_b32 v3, 0 :: v_dual_mov_b32 v12, v0
	s_mov_b32 s25, 0
.LBB266_402:                            ; =>This Inner Loop Header: Depth=1
	ds_load_b32 v13, v10
	v_add_nc_u32_e32 v12, 0x80, v12
	s_delay_alu instid0(VALU_DEP_1) | instskip(SKIP_3) | instid1(VALU_DEP_1)
	v_cmp_le_i32_e64 s3, s4, v12
	s_or_b32 s25, s3, s25
	s_wait_dscnt 0x0
	v_sub_f32_e32 v13, v13, v9
	v_mul_f32_e32 v13, 0x3fb8aa3b, v13
	s_delay_alu instid0(VALU_DEP_1)
	v_exp_f32_e32 v13, v13
	ds_store_b32 v10, v13
	v_nop
	v_dual_add_f32 v3, v3, v13 :: v_dual_add_nc_u32 v10, 0x200, v10
	s_and_not1_b32 exec_lo, exec_lo, s25
	s_cbranch_execnz .LBB266_402
; %bb.403:
	s_or_b32 exec_lo, exec_lo, s25
.LBB266_404:
	s_delay_alu instid0(SALU_CYCLE_1)
	s_or_b32 exec_lo, exec_lo, s19
	ds_bpermute_b32 v4, v4, v3
	s_wait_dscnt 0x0
	v_add_f32_e32 v3, v3, v4
	ds_bpermute_b32 v4, v5, v3
	s_wait_dscnt 0x0
	v_add_f32_e32 v3, v3, v4
	;; [unrolled: 3-line block ×5, first 2 shown]
	s_and_saveexec_b32 s3, vcc_lo
; %bb.405:
	ds_store_b32 v7, v3 offset:208
; %bb.406:
	s_or_b32 exec_lo, exec_lo, s3
	s_wait_dscnt 0x0
	s_barrier_signal -1
	s_barrier_wait -1
	s_and_saveexec_b32 s3, s0
; %bb.407:
	ds_load_b32 v3, v8 offset:208
; %bb.408:
	s_or_b32 exec_lo, exec_lo, s3
	s_wait_dscnt 0x0
	ds_bpermute_b32 v2, v2, v3
	s_wait_dscnt 0x0
	v_dual_lshlrev_b32 v4, 2, v11 :: v_dual_add_f32 v2, v3, v2
	ds_bpermute_b32 v3, v30, v2
	s_wait_dscnt 0x0
	v_add_f32_e32 v2, v2, v3
	v_and_b32_e32 v3, 0xffffff80, v4
	ds_bpermute_b32 v2, v3, v2
	s_and_saveexec_b32 s0, s1
	s_cbranch_execz .LBB266_421
; %bb.409:
	s_wait_dscnt 0x0
	v_add_f32_e32 v2, 0x358637bd, v2
	s_mov_b32 s3, -1
	s_mov_b32 s1, exec_lo
	s_delay_alu instid0(VALU_DEP_1) | instskip(NEXT) | instid1(VALU_DEP_1)
	v_div_scale_f32 v3, null, v2, v2, 1.0
	v_rcp_f32_e32 v5, v3
	v_nop
	s_delay_alu instid0(TRANS32_DEP_1) | instskip(NEXT) | instid1(VALU_DEP_1)
	v_fma_f32 v4, -v3, v5, 1.0
	v_fmac_f32_e32 v5, v4, v5
	v_div_scale_f32 v6, vcc_lo, 1.0, v2, 1.0
	s_delay_alu instid0(VALU_DEP_1) | instskip(NEXT) | instid1(VALU_DEP_1)
	v_mul_f32_e32 v7, v6, v5
	v_fma_f32 v4, -v3, v7, v6
	s_delay_alu instid0(VALU_DEP_1) | instskip(SKIP_1) | instid1(VALU_DEP_2)
	v_fmac_f32_e32 v7, v4, v5
	v_xad_u32 v4, v0, -1, s4
	v_fma_f32 v3, -v3, v7, v6
	s_delay_alu instid0(VALU_DEP_1) | instskip(NEXT) | instid1(VALU_DEP_1)
	v_div_fmas_f32 v3, v3, v5, v7
	v_div_fixup_f32 v2, v3, v2, 1.0
	v_mov_b32_e32 v3, v0
	v_cmpx_lt_u32_e32 0x7f, v4
	s_cbranch_execz .LBB266_418
; %bb.410:
	s_delay_alu instid0(VALU_DEP_3) | instskip(NEXT) | instid1(VALU_DEP_1)
	v_dual_mov_b32 v3, v2 :: v_dual_lshrrev_b32 v4, 7, v4
	v_dual_mov_b32 v8, 0 :: v_dual_add_nc_u32 v5, -1, v4
	s_delay_alu instid0(VALU_DEP_1) | instskip(SKIP_1) | instid1(VALU_DEP_2)
	v_lshrrev_b32_e32 v6, 1, v5
	v_cmp_lt_u32_e32 vcc_lo, 13, v5
	v_add_nc_u32_e32 v5, 1, v6
	s_and_saveexec_b32 s3, vcc_lo
	s_cbranch_execz .LBB266_414
; %bb.411:
	s_delay_alu instid0(VALU_DEP_1)
	v_and_b32_e32 v6, -8, v5
	v_lshl_add_u32 v7, v0, 2, 0xe0
	s_mov_b32 s19, 0
	s_mov_b32 s25, 0
.LBB266_412:                            ; =>This Inner Loop Header: Depth=1
	ds_load_2addr_stride64_b32 v[8:9], v7 offset1:2
	ds_load_2addr_stride64_b32 v[10:11], v7 offset0:4 offset1:6
	ds_load_2addr_stride64_b32 v[12:13], v7 offset0:8 offset1:10
	;; [unrolled: 1-line block ×7, first 2 shown]
	s_add_co_i32 s25, s25, 16
	v_add_nc_u32_e32 v6, -8, v6
	s_wait_dscnt 0x7
	v_pk_mul_f32 v[8:9], v[2:3], v[8:9]
	s_wait_dscnt 0x6
	v_pk_mul_f32 v[10:11], v[2:3], v[10:11]
	;; [unrolled: 2-line block ×8, first 2 shown]
	ds_store_2addr_stride64_b32 v7, v8, v9 offset1:2
	ds_store_2addr_stride64_b32 v7, v10, v11 offset0:4 offset1:6
	ds_store_2addr_stride64_b32 v7, v12, v13 offset0:8 offset1:10
	;; [unrolled: 1-line block ×7, first 2 shown]
	v_mov_b32_e32 v8, s25
	v_cmp_eq_u32_e32 vcc_lo, 0, v6
	v_add_nc_u32_e32 v7, 0x2000, v7
	s_or_b32 s19, vcc_lo, s19
	s_delay_alu instid0(SALU_CYCLE_1)
	s_and_not1_b32 exec_lo, exec_lo, s19
	s_cbranch_execnz .LBB266_412
; %bb.413:
	s_or_b32 exec_lo, exec_lo, s19
.LBB266_414:
	s_delay_alu instid0(SALU_CYCLE_1) | instskip(NEXT) | instid1(VALU_DEP_1)
	s_or_b32 exec_lo, exec_lo, s3
	v_and_b32_e32 v5, 7, v5
	s_mov_b32 s19, 0
	s_mov_b32 s3, exec_lo
	s_delay_alu instid0(VALU_DEP_1)
	v_cmpx_ne_u32_e32 0, v5
	s_cbranch_execz .LBB266_417
; %bb.415:
	v_lshlrev_b32_e32 v6, 9, v8
	v_lshlrev_b32_e32 v7, 2, v0
	s_delay_alu instid0(VALU_DEP_1)
	v_add3_u32 v6, v6, v7, 0xe0
.LBB266_416:                            ; =>This Inner Loop Header: Depth=1
	ds_load_2addr_stride64_b32 v[8:9], v6 offset1:2
	v_add_nc_u32_e32 v5, -1, v5
	s_delay_alu instid0(VALU_DEP_1)
	v_cmp_eq_u32_e32 vcc_lo, 0, v5
	s_or_b32 s19, vcc_lo, s19
	s_wait_dscnt 0x0
	v_pk_mul_f32 v[8:9], v[2:3], v[8:9]
	ds_store_2addr_stride64_b32 v6, v8, v9 offset1:2
	v_add_nc_u32_e32 v6, 0x400, v6
	s_and_not1_b32 exec_lo, exec_lo, s19
	s_cbranch_execnz .LBB266_416
.LBB266_417:
	s_or_b32 exec_lo, exec_lo, s3
	v_add_nc_u32_e32 v3, 1, v4
	s_delay_alu instid0(VALU_DEP_1) | instskip(NEXT) | instid1(VALU_DEP_1)
	v_and_b32_e32 v4, 0x3fffffe, v3
	v_cmp_ne_u32_e32 vcc_lo, v3, v4
	v_lshl_add_u32 v3, v4, 7, v0
	s_or_not1_b32 s3, vcc_lo, exec_lo
.LBB266_418:
	s_or_b32 exec_lo, exec_lo, s1
	s_delay_alu instid0(SALU_CYCLE_1)
	s_and_b32 exec_lo, exec_lo, s3
	s_cbranch_execz .LBB266_421
; %bb.419:
	v_lshl_add_u32 v4, v3, 2, 0xe0
	s_mov_b32 s1, 0
.LBB266_420:                            ; =>This Inner Loop Header: Depth=1
	ds_load_b32 v5, v4
	v_add_nc_u32_e32 v3, 0x80, v3
	s_delay_alu instid0(VALU_DEP_1)
	v_cmp_le_i32_e32 vcc_lo, s4, v3
	s_or_b32 s1, vcc_lo, s1
	s_wait_dscnt 0x0
	v_mul_f32_e32 v5, v2, v5
	ds_store_b32 v4, v5
	v_add_nc_u32_e32 v4, 0x200, v4
	s_and_not1_b32 exec_lo, exec_lo, s1
	s_cbranch_execnz .LBB266_420
.LBB266_421:
	s_or_b32 exec_lo, exec_lo, s0
	v_mov_b32_e32 v3, 0
	s_wait_dscnt 0x0
	s_barrier_signal -1
	s_barrier_wait -1
	s_delay_alu instid0(VALU_DEP_1)
	v_dual_mov_b32 v2, v3 :: v_dual_mov_b32 v5, v3
	v_dual_mov_b32 v4, v3 :: v_dual_mov_b32 v7, v3
	v_mov_b32_e32 v6, v3
	s_and_saveexec_b32 s1, s2
	s_cbranch_execz .LBB266_821
; %bb.422:
	v_dual_mov_b32 v9, 0 :: v_dual_lshlrev_b32 v2, 3, v0
	s_ashr_i32 s19, s18, 31
	v_lshlrev_b32_e32 v3, 5, v27
	s_wait_kmcnt 0x0
	s_add_nc_u64 s[8:9], s[8:9], s[18:19]
	v_and_b32_e32 v8, 0xf8, v2
	s_lshl_b64 s[2:3], s[14:15], 2
	v_and_b32_e32 v2, 8, v2
	v_lshl_or_b32 v3, v28, 6, v3
	s_add_nc_u64 s[2:3], s[16:17], s[2:3]
	v_add_nc_u64_e32 v[10:11], s[8:9], v[8:9]
	v_and_b32_e32 v8, 0x7c, v1
	v_lshl_or_b32 v31, v28, 4, v2
	v_dual_mov_b32 v3, 0 :: v_dual_add_nc_u32 v32, 0xe0, v3
	v_dual_mov_b32 v2, 0 :: v_dual_mov_b32 v5, 0
	s_delay_alu instid0(VALU_DEP_4)
	v_add_nc_u64_e32 v[12:13], s[2:3], v[8:9]
	v_dual_mov_b32 v4, 0 :: v_dual_mov_b32 v7, 0
	v_dual_mov_b32 v6, 0 :: v_dual_mov_b32 v33, v28
	s_mov_b32 s4, s5
	s_mov_b64 s[2:3], 0xffffffffffffff
	s_add_co_i32 s5, s24, -1
	s_mov_b32 s9, s23
	s_mov_b32 s8, 0
	s_branch .LBB266_424
.LBB266_423:                            ;   in Loop: Header=BB266_424 Depth=1
	s_or_b32 exec_lo, exec_lo, s0
	v_add_f32_e32 v1, v41, v42
	v_add_f32_e32 v8, v53, v54
	;;#ASMSTART
	v_pk_mul_f16 v17, v46, v17;

	;;#ASMEND
	;;#ASMSTART
	v_pk_mul_f16 v16, v45, v16;

	;;#ASMEND
	v_add_nc_u64_e32 v[12:13], 16, v[12:13]
	v_add_f32_e32 v2, v2, v1
	;;#ASMSTART
	v_pk_mul_f16 v1, v44, v15;

	;;#ASMEND
	v_add_f32_e32 v5, v5, v8
	;;#ASMSTART
	v_pk_mul_f16 v8, v43, v14;

	;;#ASMEND
	;;#ASMSTART
	v_pk_add_f16 v14, v17, v16;

	;;#ASMEND
	;;#ASMSTART
	v_pk_add_f16 v1, v14, v1;
	;; [unrolled: 4-line block ×3, first 2 shown]

	;;#ASMEND
	v_and_b32_e32 v15, 0xffff, v1
	v_lshrrev_b32_e32 v16, 16, v1
	;;#ASMSTART
	v_cvt_f32_f16 v15, v15;
	;;#ASMEND
	;;#ASMSTART
	v_cvt_f32_f16 v16, v16;
	;;#ASMEND
	s_delay_alu instid0(VALU_DEP_1) | instskip(SKIP_2) | instid1(VALU_DEP_3)
	v_dual_add_f32 v15, v15, v16 :: v_dual_add_nc_u32 v33, 4, v33
	v_dual_add_f32 v1, v51, v52 :: v_dual_add_f32 v8, v49, v50
	v_add_f32_e32 v14, v47, v48
	v_add_f32_e32 v3, v3, v15
	s_delay_alu instid0(VALU_DEP_4) | instskip(NEXT) | instid1(VALU_DEP_4)
	v_cmp_le_i32_e32 vcc_lo, s24, v33
	v_dual_add_f32 v4, v4, v1 :: v_dual_add_f32 v7, v7, v8
	s_delay_alu instid0(VALU_DEP_4) | instskip(SKIP_2) | instid1(SALU_CYCLE_1)
	v_dual_add_f32 v6, v6, v14 :: v_dual_add_nc_u32 v31, 64, v31
	v_add_nc_u32_e32 v32, 0x100, v32
	s_or_b32 s8, vcc_lo, s8
	s_and_not1_b32 exec_lo, exec_lo, s8
	s_cbranch_execz .LBB266_820
.LBB266_424:                            ; =>This Inner Loop Header: Depth=1
	global_load_b32 v1, v[12:13], off
	ds_load_2addr_b64 v[16:19], v32 offset1:1
	ds_load_2addr_b64 v[20:23], v32 offset0:2 offset1:3
	s_mov_b32 s0, exec_lo
	s_wait_dscnt 0x1
	;;#ASMSTART
	v_cvt_f16_f32 v44, v16;

	;;#ASMEND
	;;#ASMSTART
	v_cvt_f16_f32 v41, v17;

	;;#ASMEND
	;; [unrolled: 4-line block ×4, first 2 shown]
	s_wait_dscnt 0x0
	;;#ASMSTART
	v_cvt_f16_f32 v46, v20;

	;;#ASMEND
	;;#ASMSTART
	v_cvt_f16_f32 v43, v21;

	;;#ASMEND
	;; [unrolled: 4-line block ×4, first 2 shown]
	s_wait_loadcnt 0x0
	v_mad_nc_i64_i32 v[14:15], v1, s4, v[10:11]
	v_mov_b32_e32 v1, 0
	global_load_b64 v[18:19], v[14:15], off
	global_load_b32 v16, v9, s[10:11]
	s_wait_loadcnt 0x1
	v_and_b32_e32 v8, 0xff, v18
	s_wait_xcnt 0x0
	s_delay_alu instid0(VALU_DEP_1)
	v_cmpx_ne_u16_e32 0, v8
	s_cbranch_execz .LBB266_432
; %bb.425:                              ;   in Loop: Header=BB266_424 Depth=1
	v_mov_b32_e32 v1, 0x8000
	s_mov_b32 s14, exec_lo
	v_cmpx_ne_u16_e32 0x80, v8
	s_cbranch_execz .LBB266_431
; %bb.426:                              ;   in Loop: Header=BB266_424 Depth=1
	v_and_b32_e32 v17, 0x7f, v18
	v_mov_b32_e32 v1, 0x7c01
	s_mov_b32 s15, exec_lo
	s_delay_alu instid0(VALU_DEP_2)
	v_cmpx_ne_u32_e32 0x7f, v17
	s_cbranch_execz .LBB266_430
; %bb.427:                              ;   in Loop: Header=BB266_424 Depth=1
	v_dual_lshrrev_b32 v8, 3, v17 :: v_dual_bitop2_b32 v1, 7, v18 bitop3:0x40
	s_mov_b32 s16, exec_lo
	v_cmpx_gt_u32_e32 8, v17
; %bb.428:                              ;   in Loop: Header=BB266_424 Depth=1
	s_delay_alu instid0(VALU_DEP_2) | instskip(NEXT) | instid1(VALU_DEP_1)
	v_clz_i32_u32_e32 v1, v1
	v_min_u32_e32 v1, 32, v1
	s_delay_alu instid0(VALU_DEP_1) | instskip(NEXT) | instid1(VALU_DEP_1)
	v_subrev_nc_u32_e32 v8, 28, v1
	v_lshlrev_b64_e32 v[20:21], v8, v[18:19]
	s_delay_alu instid0(VALU_DEP_1)
	v_dual_sub_nc_u32 v8, 29, v1 :: v_dual_bitop2_b32 v1, 7, v20 bitop3:0x40
; %bb.429:                              ;   in Loop: Header=BB266_424 Depth=1
	s_or_b32 exec_lo, exec_lo, s16
	s_delay_alu instid0(VALU_DEP_1) | instskip(NEXT) | instid1(VALU_DEP_2)
	v_dual_lshlrev_b32 v17, 8, v18 :: v_dual_lshlrev_b32 v1, 7, v1
	v_lshl_add_u32 v8, v8, 10, 0x2000
	s_delay_alu instid0(VALU_DEP_2) | instskip(NEXT) | instid1(VALU_DEP_2)
	v_and_b32_e32 v17, 0x8000, v17
	v_and_b32_e32 v8, 0xfc00, v8
	s_delay_alu instid0(VALU_DEP_1)
	v_or3_b32 v1, v17, v8, v1
.LBB266_430:                            ;   in Loop: Header=BB266_424 Depth=1
	s_or_b32 exec_lo, exec_lo, s15
.LBB266_431:                            ;   in Loop: Header=BB266_424 Depth=1
	s_delay_alu instid0(SALU_CYCLE_1)
	s_or_b32 exec_lo, exec_lo, s14
.LBB266_432:                            ;   in Loop: Header=BB266_424 Depth=1
	s_delay_alu instid0(SALU_CYCLE_1) | instskip(SKIP_3) | instid1(VALU_DEP_2)
	s_or_b32 exec_lo, exec_lo, s0
	v_lshrrev_b16 v8, 8, v18
	v_dual_mov_b32 v17, 0 :: v_dual_mov_b32 v20, 0
	s_mov_b32 s0, exec_lo
	v_cmpx_ne_u16_e32 0, v8
	s_cbranch_execz .LBB266_440
; %bb.433:                              ;   in Loop: Header=BB266_424 Depth=1
	v_bfrev_b32_e32 v20, 1
	s_mov_b32 s14, exec_lo
	v_cmpx_ne_u16_e32 0x80, v8
	s_cbranch_execz .LBB266_439
; %bb.434:                              ;   in Loop: Header=BB266_424 Depth=1
	v_and_b32_e32 v21, 0xffff, v8
	v_mov_b32_e32 v20, 0x7c010000
	s_mov_b32 s15, exec_lo
	s_delay_alu instid0(VALU_DEP_2) | instskip(NEXT) | instid1(VALU_DEP_1)
	v_and_b32_e32 v23, 0x7f, v21
	v_cmpx_ne_u32_e32 0x7f, v23
	s_cbranch_execz .LBB266_438
; %bb.435:                              ;   in Loop: Header=BB266_424 Depth=1
	v_dual_lshrrev_b32 v22, 3, v23 :: v_dual_bitop2_b32 v20, 7, v21 bitop3:0x40
	s_mov_b32 s16, exec_lo
	v_cmpx_gt_u32_e32 8, v23
; %bb.436:                              ;   in Loop: Header=BB266_424 Depth=1
	s_delay_alu instid0(VALU_DEP_2) | instskip(NEXT) | instid1(VALU_DEP_1)
	v_clz_i32_u32_e32 v20, v20
	v_min_u32_e32 v20, 32, v20
	s_delay_alu instid0(VALU_DEP_1) | instskip(NEXT) | instid1(VALU_DEP_1)
	v_subrev_nc_u32_e32 v22, 28, v20
	v_lshlrev_b64_e32 v[24:25], v22, v[8:9]
	v_sub_nc_u32_e32 v22, 29, v20
	s_delay_alu instid0(VALU_DEP_2)
	v_and_b32_e32 v20, 7, v24
; %bb.437:                              ;   in Loop: Header=BB266_424 Depth=1
	s_or_b32 exec_lo, exec_lo, s16
	s_delay_alu instid0(VALU_DEP_1) | instskip(NEXT) | instid1(VALU_DEP_3)
	v_dual_lshlrev_b32 v8, 8, v21 :: v_dual_lshlrev_b32 v20, 23, v20
	v_lshl_add_u32 v21, v22, 10, 0x2000
	s_delay_alu instid0(VALU_DEP_1) | instskip(NEXT) | instid1(VALU_DEP_1)
	v_and_or_b32 v8, 0x8000, v8, v21
	v_lshl_or_b32 v20, v8, 16, v20
.LBB266_438:                            ;   in Loop: Header=BB266_424 Depth=1
	s_or_b32 exec_lo, exec_lo, s15
.LBB266_439:                            ;   in Loop: Header=BB266_424 Depth=1
	s_delay_alu instid0(SALU_CYCLE_1)
	s_or_b32 exec_lo, exec_lo, s14
.LBB266_440:                            ;   in Loop: Header=BB266_424 Depth=1
	s_delay_alu instid0(SALU_CYCLE_1) | instskip(SKIP_2) | instid1(VALU_DEP_1)
	s_or_b32 exec_lo, exec_lo, s0
	v_lshrrev_b32_e32 v8, 16, v18
	s_mov_b32 s0, exec_lo
	v_and_b32_e32 v21, 0xff, v8
	s_delay_alu instid0(VALU_DEP_1)
	v_cmpx_ne_u16_e32 0, v21
	s_cbranch_execz .LBB266_448
; %bb.441:                              ;   in Loop: Header=BB266_424 Depth=1
	v_mov_b32_e32 v17, 0x8000
	s_mov_b32 s14, exec_lo
	v_cmpx_ne_u16_e32 0x80, v21
	s_cbranch_execz .LBB266_447
; %bb.442:                              ;   in Loop: Header=BB266_424 Depth=1
	v_bfe_u32 v22, v18, 16, 7
	v_mov_b32_e32 v17, 0x7c01
	s_mov_b32 s15, exec_lo
	s_delay_alu instid0(VALU_DEP_2)
	v_cmpx_ne_u32_e32 0x7f, v22
	s_cbranch_execz .LBB266_446
; %bb.443:                              ;   in Loop: Header=BB266_424 Depth=1
	v_dual_lshrrev_b32 v21, 3, v22 :: v_dual_bitop2_b32 v17, 7, v8 bitop3:0x40
	s_mov_b32 s16, exec_lo
	v_cmpx_gt_u32_e32 8, v22
; %bb.444:                              ;   in Loop: Header=BB266_424 Depth=1
	s_delay_alu instid0(VALU_DEP_2) | instskip(NEXT) | instid1(VALU_DEP_1)
	v_clz_i32_u32_e32 v17, v17
	v_min_u32_e32 v17, 32, v17
	s_delay_alu instid0(VALU_DEP_1) | instskip(NEXT) | instid1(VALU_DEP_1)
	v_subrev_nc_u32_e32 v21, 28, v17
	v_lshlrev_b64_e32 v[22:23], v21, v[8:9]
	s_delay_alu instid0(VALU_DEP_1)
	v_dual_sub_nc_u32 v21, 29, v17 :: v_dual_bitop2_b32 v17, 7, v22 bitop3:0x40
; %bb.445:                              ;   in Loop: Header=BB266_424 Depth=1
	s_or_b32 exec_lo, exec_lo, s16
	s_delay_alu instid0(VALU_DEP_1) | instskip(NEXT) | instid1(VALU_DEP_2)
	v_dual_lshlrev_b32 v8, 8, v8 :: v_dual_lshlrev_b32 v17, 7, v17
	v_lshl_add_u32 v21, v21, 10, 0x2000
	s_delay_alu instid0(VALU_DEP_2) | instskip(NEXT) | instid1(VALU_DEP_2)
	v_and_b32_e32 v8, 0x8000, v8
	v_and_b32_e32 v21, 0xfc00, v21
	s_delay_alu instid0(VALU_DEP_1)
	v_or3_b32 v17, v8, v21, v17
.LBB266_446:                            ;   in Loop: Header=BB266_424 Depth=1
	s_or_b32 exec_lo, exec_lo, s15
.LBB266_447:                            ;   in Loop: Header=BB266_424 Depth=1
	s_delay_alu instid0(SALU_CYCLE_1)
	s_or_b32 exec_lo, exec_lo, s14
.LBB266_448:                            ;   in Loop: Header=BB266_424 Depth=1
	s_delay_alu instid0(SALU_CYCLE_1)
	s_or_b32 exec_lo, exec_lo, s0
	v_dual_mov_b32 v21, 0 :: v_dual_mov_b32 v22, 0
	s_mov_b32 s0, exec_lo
	v_cmpx_lt_u32_e32 0xffffff, v18
	s_cbranch_execz .LBB266_456
; %bb.449:                              ;   in Loop: Header=BB266_424 Depth=1
	v_lshrrev_b32_e32 v8, 24, v18
	v_bfrev_b32_e32 v22, 1
	s_mov_b32 s14, exec_lo
	s_delay_alu instid0(VALU_DEP_2)
	v_cmpx_ne_u32_e32 0x80, v8
	s_cbranch_execz .LBB266_455
; %bb.450:                              ;   in Loop: Header=BB266_424 Depth=1
	v_and_b32_e32 v24, 0x7f, v8
	v_mov_b32_e32 v22, 0x7c010000
	s_mov_b32 s15, exec_lo
	s_delay_alu instid0(VALU_DEP_2)
	v_cmpx_ne_u32_e32 0x7f, v24
	s_cbranch_execz .LBB266_454
; %bb.451:                              ;   in Loop: Header=BB266_424 Depth=1
	v_and_b32_e32 v22, 7, v8
	v_lshrrev_b32_e32 v23, 3, v24
	s_mov_b32 s16, exec_lo
	v_cmpx_gt_u32_e32 8, v24
; %bb.452:                              ;   in Loop: Header=BB266_424 Depth=1
	s_delay_alu instid0(VALU_DEP_3) | instskip(NEXT) | instid1(VALU_DEP_1)
	v_clz_i32_u32_e32 v22, v22
	v_min_u32_e32 v24, 32, v22
	s_delay_alu instid0(VALU_DEP_1) | instskip(NEXT) | instid1(VALU_DEP_1)
	v_subrev_nc_u32_e32 v22, 28, v24
	v_lshlrev_b64_e32 v[22:23], v22, v[8:9]
	s_delay_alu instid0(VALU_DEP_1)
	v_dual_sub_nc_u32 v23, 29, v24 :: v_dual_bitop2_b32 v22, 7, v22 bitop3:0x40
; %bb.453:                              ;   in Loop: Header=BB266_424 Depth=1
	s_or_b32 exec_lo, exec_lo, s16
	s_delay_alu instid0(VALU_DEP_1) | instskip(NEXT) | instid1(VALU_DEP_2)
	v_dual_lshlrev_b32 v8, 8, v8 :: v_dual_lshlrev_b32 v22, 23, v22
	v_lshl_add_u32 v23, v23, 10, 0x2000
	s_delay_alu instid0(VALU_DEP_1) | instskip(NEXT) | instid1(VALU_DEP_1)
	v_and_or_b32 v8, 0x8000, v8, v23
	v_lshl_or_b32 v22, v8, 16, v22
.LBB266_454:                            ;   in Loop: Header=BB266_424 Depth=1
	s_or_b32 exec_lo, exec_lo, s15
.LBB266_455:                            ;   in Loop: Header=BB266_424 Depth=1
	s_delay_alu instid0(SALU_CYCLE_1)
	s_or_b32 exec_lo, exec_lo, s14
.LBB266_456:                            ;   in Loop: Header=BB266_424 Depth=1
	s_delay_alu instid0(SALU_CYCLE_1) | instskip(SKIP_3) | instid1(VALU_DEP_2)
	s_or_b32 exec_lo, exec_lo, s0
	v_and_b32_e32 v23, 0xff, v19
	v_mov_b32_e32 v8, v19
	s_mov_b32 s0, exec_lo
	v_cmpx_ne_u16_e32 0, v23
	s_cbranch_execz .LBB266_464
; %bb.457:                              ;   in Loop: Header=BB266_424 Depth=1
	v_mov_b32_e32 v21, 0x8000
	s_mov_b32 s14, exec_lo
	v_cmpx_ne_u16_e32 0x80, v23
	s_cbranch_execz .LBB266_463
; %bb.458:                              ;   in Loop: Header=BB266_424 Depth=1
	v_and_b32_e32 v24, 0x7f, v19
	v_mov_b32_e32 v21, 0x7c01
	s_mov_b32 s15, exec_lo
	s_delay_alu instid0(VALU_DEP_2)
	v_cmpx_ne_u32_e32 0x7f, v24
	s_cbranch_execz .LBB266_462
; %bb.459:                              ;   in Loop: Header=BB266_424 Depth=1
	v_dual_lshrrev_b32 v23, 3, v24 :: v_dual_bitop2_b32 v21, 7, v19 bitop3:0x40
	s_mov_b32 s16, exec_lo
	v_cmpx_gt_u32_e32 8, v24
; %bb.460:                              ;   in Loop: Header=BB266_424 Depth=1
	s_delay_alu instid0(VALU_DEP_2) | instskip(NEXT) | instid1(VALU_DEP_1)
	v_clz_i32_u32_e32 v21, v21
	v_min_u32_e32 v21, 32, v21
	s_delay_alu instid0(VALU_DEP_1) | instskip(NEXT) | instid1(VALU_DEP_1)
	v_subrev_nc_u32_e32 v23, 28, v21
	v_lshlrev_b64_e32 v[24:25], v23, v[8:9]
	s_delay_alu instid0(VALU_DEP_1)
	v_dual_sub_nc_u32 v23, 29, v21 :: v_dual_bitop2_b32 v21, 7, v24 bitop3:0x40
; %bb.461:                              ;   in Loop: Header=BB266_424 Depth=1
	s_or_b32 exec_lo, exec_lo, s16
	s_delay_alu instid0(VALU_DEP_1) | instskip(NEXT) | instid1(VALU_DEP_2)
	v_dual_lshlrev_b32 v24, 8, v19 :: v_dual_lshlrev_b32 v21, 7, v21
	v_lshl_add_u32 v23, v23, 10, 0x2000
	s_delay_alu instid0(VALU_DEP_2) | instskip(NEXT) | instid1(VALU_DEP_2)
	v_and_b32_e32 v24, 0x8000, v24
	v_and_b32_e32 v23, 0xfc00, v23
	s_delay_alu instid0(VALU_DEP_1)
	v_or3_b32 v21, v24, v23, v21
.LBB266_462:                            ;   in Loop: Header=BB266_424 Depth=1
	s_or_b32 exec_lo, exec_lo, s15
.LBB266_463:                            ;   in Loop: Header=BB266_424 Depth=1
	s_delay_alu instid0(SALU_CYCLE_1)
	s_or_b32 exec_lo, exec_lo, s14
.LBB266_464:                            ;   in Loop: Header=BB266_424 Depth=1
	s_delay_alu instid0(SALU_CYCLE_1) | instskip(SKIP_3) | instid1(VALU_DEP_2)
	s_or_b32 exec_lo, exec_lo, s0
	v_lshrrev_b16 v8, 8, v8
	v_dual_mov_b32 v24, 0 :: v_dual_mov_b32 v23, 0
	s_mov_b32 s0, exec_lo
	v_cmpx_ne_u16_e32 0, v8
	s_cbranch_execz .LBB266_472
; %bb.465:                              ;   in Loop: Header=BB266_424 Depth=1
	v_bfrev_b32_e32 v23, 1
	s_mov_b32 s14, exec_lo
	v_cmpx_ne_u16_e32 0x80, v8
	s_cbranch_execz .LBB266_471
; %bb.466:                              ;   in Loop: Header=BB266_424 Depth=1
	v_and_b32_e32 v25, 0xffff, v8
	v_mov_b32_e32 v23, 0x7c010000
	s_mov_b32 s15, exec_lo
	s_delay_alu instid0(VALU_DEP_2) | instskip(NEXT) | instid1(VALU_DEP_1)
	v_and_b32_e32 v35, 0x7f, v25
	v_cmpx_ne_u32_e32 0x7f, v35
	s_cbranch_execz .LBB266_470
; %bb.467:                              ;   in Loop: Header=BB266_424 Depth=1
	v_dual_lshrrev_b32 v34, 3, v35 :: v_dual_bitop2_b32 v23, 7, v25 bitop3:0x40
	s_mov_b32 s16, exec_lo
	v_cmpx_gt_u32_e32 8, v35
; %bb.468:                              ;   in Loop: Header=BB266_424 Depth=1
	s_delay_alu instid0(VALU_DEP_2) | instskip(NEXT) | instid1(VALU_DEP_1)
	v_clz_i32_u32_e32 v23, v23
	v_min_u32_e32 v23, 32, v23
	s_delay_alu instid0(VALU_DEP_1) | instskip(NEXT) | instid1(VALU_DEP_1)
	v_subrev_nc_u32_e32 v34, 28, v23
	v_lshlrev_b64_e32 v[36:37], v34, v[8:9]
	s_delay_alu instid0(VALU_DEP_1)
	v_dual_sub_nc_u32 v34, 29, v23 :: v_dual_bitop2_b32 v23, 7, v36 bitop3:0x40
; %bb.469:                              ;   in Loop: Header=BB266_424 Depth=1
	s_or_b32 exec_lo, exec_lo, s16
	s_delay_alu instid0(VALU_DEP_1) | instskip(NEXT) | instid1(VALU_DEP_2)
	v_dual_lshlrev_b32 v8, 8, v25 :: v_dual_lshlrev_b32 v23, 23, v23
	v_lshl_add_u32 v25, v34, 10, 0x2000
	s_delay_alu instid0(VALU_DEP_1) | instskip(NEXT) | instid1(VALU_DEP_1)
	v_and_or_b32 v8, 0x8000, v8, v25
	v_lshl_or_b32 v23, v8, 16, v23
.LBB266_470:                            ;   in Loop: Header=BB266_424 Depth=1
	s_or_b32 exec_lo, exec_lo, s15
.LBB266_471:                            ;   in Loop: Header=BB266_424 Depth=1
	s_delay_alu instid0(SALU_CYCLE_1)
	s_or_b32 exec_lo, exec_lo, s14
.LBB266_472:                            ;   in Loop: Header=BB266_424 Depth=1
	s_delay_alu instid0(SALU_CYCLE_1) | instskip(SKIP_2) | instid1(VALU_DEP_1)
	s_or_b32 exec_lo, exec_lo, s0
	v_lshrrev_b32_e32 v8, 16, v19
	s_mov_b32 s0, exec_lo
	v_and_b32_e32 v25, 0xff, v8
	s_delay_alu instid0(VALU_DEP_1)
	v_cmpx_ne_u16_e32 0, v25
	s_cbranch_execz .LBB266_480
; %bb.473:                              ;   in Loop: Header=BB266_424 Depth=1
	v_mov_b32_e32 v24, 0x8000
	s_mov_b32 s14, exec_lo
	v_cmpx_ne_u16_e32 0x80, v25
	s_cbranch_execz .LBB266_479
; %bb.474:                              ;   in Loop: Header=BB266_424 Depth=1
	v_bfe_u32 v34, v19, 16, 7
	v_mov_b32_e32 v24, 0x7c01
	s_mov_b32 s15, exec_lo
	s_delay_alu instid0(VALU_DEP_2)
	v_cmpx_ne_u32_e32 0x7f, v34
	s_cbranch_execz .LBB266_478
; %bb.475:                              ;   in Loop: Header=BB266_424 Depth=1
	v_dual_lshrrev_b32 v25, 3, v34 :: v_dual_bitop2_b32 v24, 7, v8 bitop3:0x40
	s_mov_b32 s16, exec_lo
	v_cmpx_gt_u32_e32 8, v34
; %bb.476:                              ;   in Loop: Header=BB266_424 Depth=1
	s_delay_alu instid0(VALU_DEP_2) | instskip(NEXT) | instid1(VALU_DEP_1)
	v_clz_i32_u32_e32 v24, v24
	v_min_u32_e32 v34, 32, v24
	s_delay_alu instid0(VALU_DEP_1) | instskip(NEXT) | instid1(VALU_DEP_1)
	v_subrev_nc_u32_e32 v24, 28, v34
	v_lshlrev_b64_e32 v[24:25], v24, v[8:9]
	s_delay_alu instid0(VALU_DEP_1)
	v_dual_sub_nc_u32 v25, 29, v34 :: v_dual_bitop2_b32 v24, 7, v24 bitop3:0x40
; %bb.477:                              ;   in Loop: Header=BB266_424 Depth=1
	s_or_b32 exec_lo, exec_lo, s16
	v_lshlrev_b32_e32 v8, 8, v8
	s_delay_alu instid0(VALU_DEP_2) | instskip(NEXT) | instid1(VALU_DEP_3)
	v_lshl_add_u32 v25, v25, 10, 0x2000
	v_lshlrev_b32_e32 v24, 7, v24
	s_delay_alu instid0(VALU_DEP_3) | instskip(NEXT) | instid1(VALU_DEP_3)
	v_and_b32_e32 v8, 0x8000, v8
	v_and_b32_e32 v25, 0xfc00, v25
	s_delay_alu instid0(VALU_DEP_1)
	v_or3_b32 v24, v8, v25, v24
.LBB266_478:                            ;   in Loop: Header=BB266_424 Depth=1
	s_or_b32 exec_lo, exec_lo, s15
.LBB266_479:                            ;   in Loop: Header=BB266_424 Depth=1
	s_delay_alu instid0(SALU_CYCLE_1)
	s_or_b32 exec_lo, exec_lo, s14
.LBB266_480:                            ;   in Loop: Header=BB266_424 Depth=1
	s_delay_alu instid0(SALU_CYCLE_1)
	s_or_b32 exec_lo, exec_lo, s0
	v_cmp_lt_u64_e32 vcc_lo, s[2:3], v[18:19]
	v_mov_b32_e32 v18, 0
	s_and_saveexec_b32 s0, vcc_lo
	s_cbranch_execz .LBB266_488
; %bb.481:                              ;   in Loop: Header=BB266_424 Depth=1
	v_lshrrev_b32_e32 v8, 24, v19
	v_bfrev_b32_e32 v18, 1
	s_mov_b32 s14, exec_lo
	s_delay_alu instid0(VALU_DEP_2)
	v_cmpx_ne_u32_e32 0x80, v8
	s_cbranch_execz .LBB266_487
; %bb.482:                              ;   in Loop: Header=BB266_424 Depth=1
	v_and_b32_e32 v25, 0x7f, v8
	v_mov_b32_e32 v18, 0x7c010000
	s_mov_b32 s15, exec_lo
	s_delay_alu instid0(VALU_DEP_2)
	v_cmpx_ne_u32_e32 0x7f, v25
	s_cbranch_execz .LBB266_486
; %bb.483:                              ;   in Loop: Header=BB266_424 Depth=1
	v_dual_lshrrev_b32 v19, 3, v25 :: v_dual_bitop2_b32 v18, 7, v8 bitop3:0x40
	s_mov_b32 s16, exec_lo
	v_cmpx_gt_u32_e32 8, v25
; %bb.484:                              ;   in Loop: Header=BB266_424 Depth=1
	s_delay_alu instid0(VALU_DEP_2) | instskip(NEXT) | instid1(VALU_DEP_1)
	v_clz_i32_u32_e32 v18, v18
	v_min_u32_e32 v25, 32, v18
	s_delay_alu instid0(VALU_DEP_1) | instskip(NEXT) | instid1(VALU_DEP_1)
	v_subrev_nc_u32_e32 v18, 28, v25
	v_lshlrev_b64_e32 v[18:19], v18, v[8:9]
	s_delay_alu instid0(VALU_DEP_1)
	v_dual_sub_nc_u32 v19, 29, v25 :: v_dual_bitop2_b32 v18, 7, v18 bitop3:0x40
; %bb.485:                              ;   in Loop: Header=BB266_424 Depth=1
	s_or_b32 exec_lo, exec_lo, s16
	s_delay_alu instid0(VALU_DEP_1) | instskip(NEXT) | instid1(VALU_DEP_2)
	v_dual_lshlrev_b32 v8, 8, v8 :: v_dual_lshlrev_b32 v18, 23, v18
	v_lshl_add_u32 v19, v19, 10, 0x2000
	s_delay_alu instid0(VALU_DEP_1) | instskip(NEXT) | instid1(VALU_DEP_1)
	v_and_or_b32 v8, 0x8000, v8, v19
	v_lshl_or_b32 v18, v8, 16, v18
.LBB266_486:                            ;   in Loop: Header=BB266_424 Depth=1
	s_or_b32 exec_lo, exec_lo, s15
.LBB266_487:                            ;   in Loop: Header=BB266_424 Depth=1
	s_delay_alu instid0(SALU_CYCLE_1)
	s_or_b32 exec_lo, exec_lo, s14
.LBB266_488:                            ;   in Loop: Header=BB266_424 Depth=1
	s_delay_alu instid0(SALU_CYCLE_1) | instskip(SKIP_3) | instid1(VALU_DEP_3)
	s_or_b32 exec_lo, exec_lo, s0
	v_dual_lshrrev_b32 v8, 16, v20 :: v_dual_lshrrev_b32 v19, 16, v22
	v_dual_lshrrev_b32 v20, 16, v23 :: v_dual_bitop2_b32 v1, v20, v1 bitop3:0x54
	v_dual_lshrrev_b32 v22, 16, v18 :: v_dual_bitop2_b32 v17, v22, v17 bitop3:0x54
	v_cvt_f32_f16_e32 v35, v8
	s_delay_alu instid0(VALU_DEP_4) | instskip(SKIP_1) | instid1(VALU_DEP_4)
	v_cvt_f32_f16_e32 v34, v19
	v_or_b32_e32 v8, v18, v24
	v_cvt_f32_f16_e32 v18, v17
	v_cvt_f32_f16_e32 v19, v1
	v_cmp_eq_u32_e32 vcc_lo, s5, v33
	s_wait_loadcnt 0x0
	v_pk_mul_f32 v[24:25], v[16:17], v[34:35] op_sel_hi:[0,1]
	v_or_b32_e32 v17, v23, v21
	v_cvt_f32_f16_e32 v21, v20
	v_cvt_f32_f16_e32 v20, v22
	;; [unrolled: 1-line block ×3, first 2 shown]
	v_cvt_pk_f16_f32 v1, v24, v25
	v_pk_mul_f32 v[18:19], v[16:17], v[18:19] op_sel_hi:[0,1]
	v_or_b32_e32 v39, 1, v31
	v_or_b32_e32 v38, 3, v31
	;; [unrolled: 1-line block ×4, first 2 shown]
	v_cvt_pk_f16_f32 v8, v18, v19
	v_or_b32_e32 v35, 5, v31
	v_dual_add_nc_u32 v40, 2, v31 :: v_dual_bitop2_b32 v34, 7, v31 bitop3:0x54
	s_delay_alu instid0(VALU_DEP_3) | instskip(SKIP_3) | instid1(VALU_DEP_3)
	v_lshrrev_b32_e32 v25, 16, v8
	v_cvt_f32_f16_e32 v23, v17
	v_pk_mul_f32 v[20:21], v[16:17], v[20:21] op_sel_hi:[0,1]
	v_and_b32_e32 v24, 0xffff, v8
	v_pk_mul_f32 v[16:17], v[16:17], v[22:23] op_sel_hi:[0,1]
	s_delay_alu instid0(VALU_DEP_3) | instskip(SKIP_2) | instid1(VALU_DEP_4)
	v_cvt_pk_f16_f32 v18, v20, v21
	v_and_b32_e32 v23, 0xffff0000, v1
	v_lshlrev_b32_e32 v22, 16, v1
	v_cvt_pk_f16_f32 v16, v16, v17
	s_delay_alu instid0(VALU_DEP_4) | instskip(NEXT) | instid1(VALU_DEP_4)
	v_and_b32_e32 v1, 0xffff0000, v18
	v_dual_lshlrev_b32 v8, 16, v18 :: v_dual_bitop2_b32 v19, v23, v25 bitop3:0x54
	s_delay_alu instid0(VALU_DEP_4) | instskip(NEXT) | instid1(VALU_DEP_4)
	v_or_b32_e32 v18, v22, v24
	v_lshrrev_b32_e32 v21, 16, v16
	v_and_b32_e32 v20, 0xffff, v16
	s_delay_alu instid0(VALU_DEP_2) | instskip(NEXT) | instid1(VALU_DEP_2)
	v_or_b32_e32 v17, v1, v21
	v_or_b32_e32 v16, v8, v20
	s_and_saveexec_b32 s14, vcc_lo
	s_cbranch_execz .LBB266_490
; %bb.489:                              ;   in Loop: Header=BB266_424 Depth=1
	v_cmp_gt_i32_e64 s0, s9, v31
	s_delay_alu instid0(VALU_DEP_1) | instskip(SKIP_1) | instid1(VALU_DEP_1)
	v_cndmask_b32_e64 v16, 0, v25, s0
	v_cmp_gt_i32_e64 s0, s23, v40
	v_cndmask_b32_e64 v17, 0, v24, s0
	v_cmp_gt_i32_e64 s0, s9, v39
	s_delay_alu instid0(VALU_DEP_1) | instskip(SKIP_1) | instid1(VALU_DEP_1)
	v_cndmask_b32_e64 v18, 0, v23, s0
	v_cmp_gt_i32_e64 s0, s23, v38
	v_cndmask_b32_e64 v22, 0, v22, s0
	v_cmp_gt_i32_e64 s0, s9, v37
	s_delay_alu instid0(VALU_DEP_4) | instskip(NEXT) | instid1(VALU_DEP_3)
	v_or_b32_e32 v19, v18, v16
	v_or_b32_e32 v18, v22, v17
	s_delay_alu instid0(VALU_DEP_3) | instskip(SKIP_1) | instid1(VALU_DEP_1)
	v_cndmask_b32_e64 v21, 0, v21, s0
	v_cmp_gt_i32_e64 s0, s23, v36
	v_cndmask_b32_e64 v20, 0, v20, s0
	v_cmp_gt_i32_e64 s0, s9, v35
	s_delay_alu instid0(VALU_DEP_1) | instskip(SKIP_1) | instid1(VALU_DEP_1)
	v_cndmask_b32_e64 v1, 0, v1, s0
	v_cmp_gt_i32_e64 s0, s23, v34
	v_dual_cndmask_b32 v8, 0, v8, s0 :: v_dual_bitop2_b32 v17, v1, v21 bitop3:0x54
	s_delay_alu instid0(VALU_DEP_1)
	v_or_b32_e32 v16, v8, v20
.LBB266_490:                            ;   in Loop: Header=BB266_424 Depth=1
	s_or_b32 exec_lo, exec_lo, s14
	v_and_b32_e32 v1, 0xffff, v44
	v_and_b32_e32 v8, 0xffff, v45
	;; [unrolled: 1-line block ×4, first 2 shown]
	s_mov_b32 s14, exec_lo
	v_lshl_or_b32 v46, v41, 16, v1
	;;#ASMSTART
	v_pk_mul_f16 v1, v46, v19;

	;;#ASMEND
	v_lshl_or_b32 v45, v42, 16, v8
	v_lshl_or_b32 v44, v43, 16, v20
	;; [unrolled: 1-line block ×3, first 2 shown]
	;;#ASMSTART
	v_pk_mul_f16 v8, v45, v18;

	;;#ASMEND
	;;#ASMSTART
	v_pk_mul_f16 v17, v44, v17;

	;;#ASMEND
	;;#ASMSTART
	v_pk_mul_f16 v16, v43, v16;

	;;#ASMEND
	;;#ASMSTART
	v_pk_add_f16 v1, v1, v8;

	;;#ASMEND
	;;#ASMSTART
	v_pk_add_f16 v1, v1, v17;

	;;#ASMEND
	;; [unrolled: 4-line block ×3, first 2 shown]
	v_and_b32_e32 v8, 0xffff, v1
	v_dual_lshrrev_b32 v1, 16, v1 :: v_dual_mov_b32 v17, 0
	;;#ASMSTART
	v_cvt_f32_f16 v47, v8;
	;;#ASMEND
	;;#ASMSTART
	v_cvt_f32_f16 v48, v1;
	;;#ASMEND
	global_load_b64 v[18:19], v[14:15], off offset:256
	v_mov_b32_e32 v1, 0
	global_load_b32 v16, v1, s[10:11]
	s_wait_loadcnt 0x1
	v_and_b32_e32 v8, 0xff, v18
	s_wait_xcnt 0x0
	s_delay_alu instid0(VALU_DEP_1)
	v_cmpx_ne_u16_e32 0, v8
	s_cbranch_execz .LBB266_498
; %bb.491:                              ;   in Loop: Header=BB266_424 Depth=1
	v_mov_b32_e32 v17, 0x8000
	s_mov_b32 s15, exec_lo
	v_cmpx_ne_u16_e32 0x80, v8
	s_cbranch_execz .LBB266_497
; %bb.492:                              ;   in Loop: Header=BB266_424 Depth=1
	v_and_b32_e32 v20, 0x7f, v18
	v_mov_b32_e32 v17, 0x7c01
	s_mov_b32 s16, exec_lo
	s_delay_alu instid0(VALU_DEP_2)
	v_cmpx_ne_u32_e32 0x7f, v20
	s_cbranch_execz .LBB266_496
; %bb.493:                              ;   in Loop: Header=BB266_424 Depth=1
	v_dual_lshrrev_b32 v17, 3, v20 :: v_dual_bitop2_b32 v8, 7, v18 bitop3:0x40
	s_mov_b32 s17, exec_lo
	v_cmpx_gt_u32_e32 8, v20
; %bb.494:                              ;   in Loop: Header=BB266_424 Depth=1
	s_delay_alu instid0(VALU_DEP_2) | instskip(NEXT) | instid1(VALU_DEP_1)
	v_clz_i32_u32_e32 v8, v8
	v_min_u32_e32 v8, 32, v8
	s_delay_alu instid0(VALU_DEP_1) | instskip(NEXT) | instid1(VALU_DEP_1)
	v_subrev_nc_u32_e32 v17, 28, v8
	v_lshlrev_b64_e32 v[20:21], v17, v[18:19]
	v_sub_nc_u32_e32 v17, 29, v8
	s_delay_alu instid0(VALU_DEP_2)
	v_and_b32_e32 v8, 7, v20
; %bb.495:                              ;   in Loop: Header=BB266_424 Depth=1
	s_or_b32 exec_lo, exec_lo, s17
	s_delay_alu instid0(VALU_DEP_1) | instskip(NEXT) | instid1(VALU_DEP_3)
	v_dual_lshlrev_b32 v20, 8, v18 :: v_dual_lshlrev_b32 v8, 7, v8
	v_lshl_add_u32 v17, v17, 10, 0x2000
	s_delay_alu instid0(VALU_DEP_2) | instskip(NEXT) | instid1(VALU_DEP_2)
	v_and_b32_e32 v20, 0x8000, v20
	v_and_b32_e32 v17, 0xfc00, v17
	s_delay_alu instid0(VALU_DEP_1)
	v_or3_b32 v17, v20, v17, v8
.LBB266_496:                            ;   in Loop: Header=BB266_424 Depth=1
	s_or_b32 exec_lo, exec_lo, s16
.LBB266_497:                            ;   in Loop: Header=BB266_424 Depth=1
	s_delay_alu instid0(SALU_CYCLE_1)
	s_or_b32 exec_lo, exec_lo, s15
.LBB266_498:                            ;   in Loop: Header=BB266_424 Depth=1
	s_delay_alu instid0(SALU_CYCLE_1) | instskip(SKIP_2) | instid1(VALU_DEP_1)
	s_or_b32 exec_lo, exec_lo, s14
	v_lshrrev_b16 v8, 8, v18
	s_mov_b32 s14, exec_lo
	v_cmpx_ne_u16_e32 0, v8
	s_cbranch_execz .LBB266_506
; %bb.499:                              ;   in Loop: Header=BB266_424 Depth=1
	v_bfrev_b32_e32 v1, 1
	s_mov_b32 s15, exec_lo
	v_cmpx_ne_u16_e32 0x80, v8
	s_cbranch_execz .LBB266_505
; %bb.500:                              ;   in Loop: Header=BB266_424 Depth=1
	v_and_b32_e32 v20, 0xffff, v8
	v_mov_b32_e32 v1, 0x7c010000
	s_mov_b32 s16, exec_lo
	s_delay_alu instid0(VALU_DEP_2) | instskip(NEXT) | instid1(VALU_DEP_1)
	v_and_b32_e32 v22, 0x7f, v20
	v_cmpx_ne_u32_e32 0x7f, v22
	s_cbranch_execz .LBB266_504
; %bb.501:                              ;   in Loop: Header=BB266_424 Depth=1
	v_dual_lshrrev_b32 v21, 3, v22 :: v_dual_bitop2_b32 v1, 7, v20 bitop3:0x40
	s_mov_b32 s17, exec_lo
	v_cmpx_gt_u32_e32 8, v22
; %bb.502:                              ;   in Loop: Header=BB266_424 Depth=1
	s_delay_alu instid0(VALU_DEP_2) | instskip(NEXT) | instid1(VALU_DEP_1)
	v_clz_i32_u32_e32 v1, v1
	v_min_u32_e32 v1, 32, v1
	s_delay_alu instid0(VALU_DEP_1) | instskip(NEXT) | instid1(VALU_DEP_1)
	v_subrev_nc_u32_e32 v21, 28, v1
	v_lshlrev_b64_e32 v[22:23], v21, v[8:9]
	s_delay_alu instid0(VALU_DEP_1)
	v_dual_sub_nc_u32 v21, 29, v1 :: v_dual_bitop2_b32 v1, 7, v22 bitop3:0x40
; %bb.503:                              ;   in Loop: Header=BB266_424 Depth=1
	s_or_b32 exec_lo, exec_lo, s17
	s_delay_alu instid0(VALU_DEP_1) | instskip(NEXT) | instid1(VALU_DEP_2)
	v_dual_lshlrev_b32 v8, 8, v20 :: v_dual_lshlrev_b32 v1, 23, v1
	v_lshl_add_u32 v20, v21, 10, 0x2000
	s_delay_alu instid0(VALU_DEP_1) | instskip(NEXT) | instid1(VALU_DEP_1)
	v_and_or_b32 v8, 0x8000, v8, v20
	v_lshl_or_b32 v1, v8, 16, v1
.LBB266_504:                            ;   in Loop: Header=BB266_424 Depth=1
	s_or_b32 exec_lo, exec_lo, s16
.LBB266_505:                            ;   in Loop: Header=BB266_424 Depth=1
	s_delay_alu instid0(SALU_CYCLE_1)
	s_or_b32 exec_lo, exec_lo, s15
.LBB266_506:                            ;   in Loop: Header=BB266_424 Depth=1
	s_delay_alu instid0(SALU_CYCLE_1) | instskip(SKIP_3) | instid1(VALU_DEP_2)
	s_or_b32 exec_lo, exec_lo, s14
	v_dual_lshrrev_b32 v8, 16, v18 :: v_dual_mov_b32 v20, 0
	v_mov_b32_e32 v21, 0
	s_mov_b32 s14, exec_lo
	v_and_b32_e32 v22, 0xff, v8
	s_delay_alu instid0(VALU_DEP_1)
	v_cmpx_ne_u16_e32 0, v22
	s_cbranch_execz .LBB266_514
; %bb.507:                              ;   in Loop: Header=BB266_424 Depth=1
	v_mov_b32_e32 v21, 0x8000
	s_mov_b32 s15, exec_lo
	v_cmpx_ne_u16_e32 0x80, v22
	s_cbranch_execz .LBB266_513
; %bb.508:                              ;   in Loop: Header=BB266_424 Depth=1
	v_bfe_u32 v23, v18, 16, 7
	v_mov_b32_e32 v21, 0x7c01
	s_mov_b32 s16, exec_lo
	s_delay_alu instid0(VALU_DEP_2)
	v_cmpx_ne_u32_e32 0x7f, v23
	s_cbranch_execz .LBB266_512
; %bb.509:                              ;   in Loop: Header=BB266_424 Depth=1
	v_dual_lshrrev_b32 v22, 3, v23 :: v_dual_bitop2_b32 v21, 7, v8 bitop3:0x40
	s_mov_b32 s17, exec_lo
	v_cmpx_gt_u32_e32 8, v23
; %bb.510:                              ;   in Loop: Header=BB266_424 Depth=1
	s_delay_alu instid0(VALU_DEP_2) | instskip(NEXT) | instid1(VALU_DEP_1)
	v_clz_i32_u32_e32 v21, v21
	v_min_u32_e32 v21, 32, v21
	s_delay_alu instid0(VALU_DEP_1) | instskip(NEXT) | instid1(VALU_DEP_1)
	v_subrev_nc_u32_e32 v22, 28, v21
	v_lshlrev_b64_e32 v[24:25], v22, v[8:9]
	s_delay_alu instid0(VALU_DEP_1)
	v_dual_sub_nc_u32 v22, 29, v21 :: v_dual_bitop2_b32 v21, 7, v24 bitop3:0x40
; %bb.511:                              ;   in Loop: Header=BB266_424 Depth=1
	s_or_b32 exec_lo, exec_lo, s17
	s_delay_alu instid0(VALU_DEP_1) | instskip(NEXT) | instid1(VALU_DEP_2)
	v_dual_lshlrev_b32 v8, 8, v8 :: v_dual_lshlrev_b32 v21, 7, v21
	v_lshl_add_u32 v22, v22, 10, 0x2000
	s_delay_alu instid0(VALU_DEP_2) | instskip(NEXT) | instid1(VALU_DEP_2)
	v_and_b32_e32 v8, 0x8000, v8
	v_and_b32_e32 v22, 0xfc00, v22
	s_delay_alu instid0(VALU_DEP_1)
	v_or3_b32 v21, v8, v22, v21
.LBB266_512:                            ;   in Loop: Header=BB266_424 Depth=1
	s_or_b32 exec_lo, exec_lo, s16
.LBB266_513:                            ;   in Loop: Header=BB266_424 Depth=1
	s_delay_alu instid0(SALU_CYCLE_1)
	s_or_b32 exec_lo, exec_lo, s15
.LBB266_514:                            ;   in Loop: Header=BB266_424 Depth=1
	s_delay_alu instid0(SALU_CYCLE_1) | instskip(NEXT) | instid1(SALU_CYCLE_1)
	s_or_b32 exec_lo, exec_lo, s14
	s_mov_b32 s14, exec_lo
	v_cmpx_lt_u32_e32 0xffffff, v18
	s_cbranch_execz .LBB266_522
; %bb.515:                              ;   in Loop: Header=BB266_424 Depth=1
	v_lshrrev_b32_e32 v8, 24, v18
	v_bfrev_b32_e32 v20, 1
	s_mov_b32 s15, exec_lo
	s_delay_alu instid0(VALU_DEP_2)
	v_cmpx_ne_u32_e32 0x80, v8
	s_cbranch_execz .LBB266_521
; %bb.516:                              ;   in Loop: Header=BB266_424 Depth=1
	v_and_b32_e32 v23, 0x7f, v8
	v_mov_b32_e32 v20, 0x7c010000
	s_mov_b32 s16, exec_lo
	s_delay_alu instid0(VALU_DEP_2)
	v_cmpx_ne_u32_e32 0x7f, v23
	s_cbranch_execz .LBB266_520
; %bb.517:                              ;   in Loop: Header=BB266_424 Depth=1
	v_dual_lshrrev_b32 v22, 3, v23 :: v_dual_bitop2_b32 v20, 7, v8 bitop3:0x40
	s_mov_b32 s17, exec_lo
	v_cmpx_gt_u32_e32 8, v23
; %bb.518:                              ;   in Loop: Header=BB266_424 Depth=1
	s_delay_alu instid0(VALU_DEP_2) | instskip(NEXT) | instid1(VALU_DEP_1)
	v_clz_i32_u32_e32 v20, v20
	v_min_u32_e32 v20, 32, v20
	s_delay_alu instid0(VALU_DEP_1) | instskip(NEXT) | instid1(VALU_DEP_1)
	v_subrev_nc_u32_e32 v22, 28, v20
	v_lshlrev_b64_e32 v[24:25], v22, v[8:9]
	v_sub_nc_u32_e32 v22, 29, v20
	s_delay_alu instid0(VALU_DEP_2)
	v_and_b32_e32 v20, 7, v24
; %bb.519:                              ;   in Loop: Header=BB266_424 Depth=1
	s_or_b32 exec_lo, exec_lo, s17
	v_lshlrev_b32_e32 v8, 8, v8
	s_delay_alu instid0(VALU_DEP_3) | instskip(NEXT) | instid1(VALU_DEP_3)
	v_lshl_add_u32 v22, v22, 10, 0x2000
	v_lshlrev_b32_e32 v20, 23, v20
	s_delay_alu instid0(VALU_DEP_2) | instskip(NEXT) | instid1(VALU_DEP_1)
	v_and_or_b32 v8, 0x8000, v8, v22
	v_lshl_or_b32 v20, v8, 16, v20
.LBB266_520:                            ;   in Loop: Header=BB266_424 Depth=1
	s_or_b32 exec_lo, exec_lo, s16
.LBB266_521:                            ;   in Loop: Header=BB266_424 Depth=1
	s_delay_alu instid0(SALU_CYCLE_1)
	s_or_b32 exec_lo, exec_lo, s15
.LBB266_522:                            ;   in Loop: Header=BB266_424 Depth=1
	s_delay_alu instid0(SALU_CYCLE_1) | instskip(SKIP_4) | instid1(VALU_DEP_3)
	s_or_b32 exec_lo, exec_lo, s14
	v_and_b32_e32 v24, 0xff, v19
	v_dual_mov_b32 v8, v19 :: v_dual_mov_b32 v23, 0
	v_mov_b32_e32 v22, 0
	s_mov_b32 s14, exec_lo
	v_cmpx_ne_u16_e32 0, v24
	s_cbranch_execz .LBB266_530
; %bb.523:                              ;   in Loop: Header=BB266_424 Depth=1
	v_mov_b32_e32 v22, 0x8000
	s_mov_b32 s15, exec_lo
	v_cmpx_ne_u16_e32 0x80, v24
	s_cbranch_execz .LBB266_529
; %bb.524:                              ;   in Loop: Header=BB266_424 Depth=1
	v_and_b32_e32 v25, 0x7f, v19
	v_mov_b32_e32 v22, 0x7c01
	s_mov_b32 s16, exec_lo
	s_delay_alu instid0(VALU_DEP_2)
	v_cmpx_ne_u32_e32 0x7f, v25
	s_cbranch_execz .LBB266_528
; %bb.525:                              ;   in Loop: Header=BB266_424 Depth=1
	v_dual_lshrrev_b32 v24, 3, v25 :: v_dual_bitop2_b32 v22, 7, v19 bitop3:0x40
	s_mov_b32 s17, exec_lo
	v_cmpx_gt_u32_e32 8, v25
; %bb.526:                              ;   in Loop: Header=BB266_424 Depth=1
	s_delay_alu instid0(VALU_DEP_2) | instskip(NEXT) | instid1(VALU_DEP_1)
	v_clz_i32_u32_e32 v22, v22
	v_min_u32_e32 v22, 32, v22
	s_delay_alu instid0(VALU_DEP_1) | instskip(NEXT) | instid1(VALU_DEP_1)
	v_subrev_nc_u32_e32 v24, 28, v22
	v_lshlrev_b64_e32 v[50:51], v24, v[8:9]
	v_sub_nc_u32_e32 v24, 29, v22
	s_delay_alu instid0(VALU_DEP_2)
	v_and_b32_e32 v22, 7, v50
; %bb.527:                              ;   in Loop: Header=BB266_424 Depth=1
	s_or_b32 exec_lo, exec_lo, s17
	s_delay_alu instid0(VALU_DEP_1) | instskip(NEXT) | instid1(VALU_DEP_3)
	v_dual_lshlrev_b32 v25, 8, v19 :: v_dual_lshlrev_b32 v22, 7, v22
	v_lshl_add_u32 v24, v24, 10, 0x2000
	s_delay_alu instid0(VALU_DEP_2) | instskip(NEXT) | instid1(VALU_DEP_2)
	v_and_b32_e32 v25, 0x8000, v25
	v_and_b32_e32 v24, 0xfc00, v24
	s_delay_alu instid0(VALU_DEP_1)
	v_or3_b32 v22, v25, v24, v22
.LBB266_528:                            ;   in Loop: Header=BB266_424 Depth=1
	s_or_b32 exec_lo, exec_lo, s16
.LBB266_529:                            ;   in Loop: Header=BB266_424 Depth=1
	s_delay_alu instid0(SALU_CYCLE_1)
	s_or_b32 exec_lo, exec_lo, s15
.LBB266_530:                            ;   in Loop: Header=BB266_424 Depth=1
	s_delay_alu instid0(SALU_CYCLE_1) | instskip(SKIP_3) | instid1(VALU_DEP_2)
	s_or_b32 exec_lo, exec_lo, s14
	v_lshrrev_b16 v8, 8, v8
	v_mov_b32_e32 v24, 0
	s_mov_b32 s14, exec_lo
	v_cmpx_ne_u16_e32 0, v8
	s_cbranch_execz .LBB266_538
; %bb.531:                              ;   in Loop: Header=BB266_424 Depth=1
	v_bfrev_b32_e32 v24, 1
	s_mov_b32 s15, exec_lo
	v_cmpx_ne_u16_e32 0x80, v8
	s_cbranch_execz .LBB266_537
; %bb.532:                              ;   in Loop: Header=BB266_424 Depth=1
	v_and_b32_e32 v25, 0xffff, v8
	v_mov_b32_e32 v24, 0x7c010000
	s_mov_b32 s16, exec_lo
	s_delay_alu instid0(VALU_DEP_2) | instskip(NEXT) | instid1(VALU_DEP_1)
	v_and_b32_e32 v42, 0x7f, v25
	v_cmpx_ne_u32_e32 0x7f, v42
	s_cbranch_execz .LBB266_536
; %bb.533:                              ;   in Loop: Header=BB266_424 Depth=1
	v_dual_lshrrev_b32 v41, 3, v42 :: v_dual_bitop2_b32 v24, 7, v25 bitop3:0x40
	s_mov_b32 s17, exec_lo
	v_cmpx_gt_u32_e32 8, v42
; %bb.534:                              ;   in Loop: Header=BB266_424 Depth=1
	s_delay_alu instid0(VALU_DEP_2) | instskip(NEXT) | instid1(VALU_DEP_1)
	v_clz_i32_u32_e32 v24, v24
	v_min_u32_e32 v24, 32, v24
	s_delay_alu instid0(VALU_DEP_1) | instskip(NEXT) | instid1(VALU_DEP_1)
	v_subrev_nc_u32_e32 v41, 28, v24
	v_lshlrev_b64_e32 v[50:51], v41, v[8:9]
	s_delay_alu instid0(VALU_DEP_1)
	v_dual_sub_nc_u32 v41, 29, v24 :: v_dual_bitop2_b32 v24, 7, v50 bitop3:0x40
; %bb.535:                              ;   in Loop: Header=BB266_424 Depth=1
	s_or_b32 exec_lo, exec_lo, s17
	s_delay_alu instid0(VALU_DEP_1) | instskip(NEXT) | instid1(VALU_DEP_2)
	v_dual_lshlrev_b32 v8, 8, v25 :: v_dual_lshlrev_b32 v24, 23, v24
	v_lshl_add_u32 v25, v41, 10, 0x2000
	s_delay_alu instid0(VALU_DEP_1) | instskip(NEXT) | instid1(VALU_DEP_1)
	v_and_or_b32 v8, 0x8000, v8, v25
	v_lshl_or_b32 v24, v8, 16, v24
.LBB266_536:                            ;   in Loop: Header=BB266_424 Depth=1
	s_or_b32 exec_lo, exec_lo, s16
.LBB266_537:                            ;   in Loop: Header=BB266_424 Depth=1
	s_delay_alu instid0(SALU_CYCLE_1)
	s_or_b32 exec_lo, exec_lo, s15
.LBB266_538:                            ;   in Loop: Header=BB266_424 Depth=1
	s_delay_alu instid0(SALU_CYCLE_1) | instskip(SKIP_2) | instid1(VALU_DEP_1)
	s_or_b32 exec_lo, exec_lo, s14
	v_lshrrev_b32_e32 v8, 16, v19
	s_mov_b32 s14, exec_lo
	v_and_b32_e32 v25, 0xff, v8
	s_delay_alu instid0(VALU_DEP_1)
	v_cmpx_ne_u16_e32 0, v25
	s_cbranch_execz .LBB266_546
; %bb.539:                              ;   in Loop: Header=BB266_424 Depth=1
	v_mov_b32_e32 v23, 0x8000
	s_mov_b32 s15, exec_lo
	v_cmpx_ne_u16_e32 0x80, v25
	s_cbranch_execz .LBB266_545
; %bb.540:                              ;   in Loop: Header=BB266_424 Depth=1
	v_bfe_u32 v41, v19, 16, 7
	v_mov_b32_e32 v23, 0x7c01
	s_mov_b32 s16, exec_lo
	s_delay_alu instid0(VALU_DEP_2)
	v_cmpx_ne_u32_e32 0x7f, v41
	s_cbranch_execz .LBB266_544
; %bb.541:                              ;   in Loop: Header=BB266_424 Depth=1
	v_dual_lshrrev_b32 v25, 3, v41 :: v_dual_bitop2_b32 v23, 7, v8 bitop3:0x40
	s_mov_b32 s17, exec_lo
	v_cmpx_gt_u32_e32 8, v41
; %bb.542:                              ;   in Loop: Header=BB266_424 Depth=1
	s_delay_alu instid0(VALU_DEP_2) | instskip(NEXT) | instid1(VALU_DEP_1)
	v_clz_i32_u32_e32 v23, v23
	v_min_u32_e32 v23, 32, v23
	s_delay_alu instid0(VALU_DEP_1) | instskip(NEXT) | instid1(VALU_DEP_1)
	v_subrev_nc_u32_e32 v25, 28, v23
	v_lshlrev_b64_e32 v[50:51], v25, v[8:9]
	s_delay_alu instid0(VALU_DEP_1)
	v_dual_sub_nc_u32 v25, 29, v23 :: v_dual_bitop2_b32 v23, 7, v50 bitop3:0x40
; %bb.543:                              ;   in Loop: Header=BB266_424 Depth=1
	s_or_b32 exec_lo, exec_lo, s17
	s_delay_alu instid0(VALU_DEP_1) | instskip(NEXT) | instid1(VALU_DEP_2)
	v_dual_lshlrev_b32 v8, 8, v8 :: v_dual_lshlrev_b32 v23, 7, v23
	v_lshl_add_u32 v25, v25, 10, 0x2000
	s_delay_alu instid0(VALU_DEP_2) | instskip(NEXT) | instid1(VALU_DEP_2)
	v_and_b32_e32 v8, 0x8000, v8
	v_and_b32_e32 v25, 0xfc00, v25
	s_delay_alu instid0(VALU_DEP_1)
	v_or3_b32 v23, v8, v25, v23
.LBB266_544:                            ;   in Loop: Header=BB266_424 Depth=1
	s_or_b32 exec_lo, exec_lo, s16
.LBB266_545:                            ;   in Loop: Header=BB266_424 Depth=1
	s_delay_alu instid0(SALU_CYCLE_1)
	s_or_b32 exec_lo, exec_lo, s15
.LBB266_546:                            ;   in Loop: Header=BB266_424 Depth=1
	s_delay_alu instid0(SALU_CYCLE_1)
	s_or_b32 exec_lo, exec_lo, s14
	v_cmp_lt_u64_e64 s0, s[2:3], v[18:19]
	v_mov_b32_e32 v18, 0
	s_and_saveexec_b32 s14, s0
	s_cbranch_execz .LBB266_554
; %bb.547:                              ;   in Loop: Header=BB266_424 Depth=1
	v_lshrrev_b32_e32 v8, 24, v19
	v_bfrev_b32_e32 v18, 1
	s_mov_b32 s15, exec_lo
	s_delay_alu instid0(VALU_DEP_2)
	v_cmpx_ne_u32_e32 0x80, v8
	s_cbranch_execz .LBB266_553
; %bb.548:                              ;   in Loop: Header=BB266_424 Depth=1
	v_and_b32_e32 v25, 0x7f, v8
	v_mov_b32_e32 v18, 0x7c010000
	s_mov_b32 s16, exec_lo
	s_delay_alu instid0(VALU_DEP_2)
	v_cmpx_ne_u32_e32 0x7f, v25
	s_cbranch_execz .LBB266_552
; %bb.549:                              ;   in Loop: Header=BB266_424 Depth=1
	v_dual_lshrrev_b32 v19, 3, v25 :: v_dual_bitop2_b32 v18, 7, v8 bitop3:0x40
	s_mov_b32 s17, exec_lo
	v_cmpx_gt_u32_e32 8, v25
; %bb.550:                              ;   in Loop: Header=BB266_424 Depth=1
	s_delay_alu instid0(VALU_DEP_2) | instskip(NEXT) | instid1(VALU_DEP_1)
	v_clz_i32_u32_e32 v18, v18
	v_min_u32_e32 v25, 32, v18
	s_delay_alu instid0(VALU_DEP_1) | instskip(NEXT) | instid1(VALU_DEP_1)
	v_subrev_nc_u32_e32 v18, 28, v25
	v_lshlrev_b64_e32 v[18:19], v18, v[8:9]
	s_delay_alu instid0(VALU_DEP_1)
	v_dual_sub_nc_u32 v19, 29, v25 :: v_dual_bitop2_b32 v18, 7, v18 bitop3:0x40
; %bb.551:                              ;   in Loop: Header=BB266_424 Depth=1
	s_or_b32 exec_lo, exec_lo, s17
	s_delay_alu instid0(VALU_DEP_1) | instskip(NEXT) | instid1(VALU_DEP_2)
	v_dual_lshlrev_b32 v8, 8, v8 :: v_dual_lshlrev_b32 v18, 23, v18
	v_lshl_add_u32 v19, v19, 10, 0x2000
	s_delay_alu instid0(VALU_DEP_1) | instskip(NEXT) | instid1(VALU_DEP_1)
	v_and_or_b32 v8, 0x8000, v8, v19
	v_lshl_or_b32 v18, v8, 16, v18
.LBB266_552:                            ;   in Loop: Header=BB266_424 Depth=1
	s_or_b32 exec_lo, exec_lo, s16
.LBB266_553:                            ;   in Loop: Header=BB266_424 Depth=1
	s_delay_alu instid0(SALU_CYCLE_1)
	s_or_b32 exec_lo, exec_lo, s15
.LBB266_554:                            ;   in Loop: Header=BB266_424 Depth=1
	s_delay_alu instid0(SALU_CYCLE_1) | instskip(SKIP_3) | instid1(VALU_DEP_3)
	s_or_b32 exec_lo, exec_lo, s14
	v_dual_lshrrev_b32 v8, 16, v1 :: v_dual_lshrrev_b32 v19, 16, v20
	v_or_b32_e32 v1, v1, v17
	v_dual_lshrrev_b32 v25, 16, v18 :: v_dual_bitop2_b32 v17, v20, v21 bitop3:0x54
	v_cvt_f32_f16_e32 v21, v8
	s_delay_alu instid0(VALU_DEP_4) | instskip(SKIP_1) | instid1(VALU_DEP_4)
	v_cvt_f32_f16_e32 v20, v19
	v_dual_lshrrev_b32 v23, 16, v24 :: v_dual_bitop2_b32 v8, v18, v23 bitop3:0x54
	v_cvt_f32_f16_e32 v18, v17
	v_cvt_f32_f16_e32 v19, v1
	s_wait_loadcnt 0x0
	v_pk_mul_f32 v[20:21], v[16:17], v[20:21] op_sel_hi:[0,1]
	v_or_b32_e32 v17, v24, v22
	v_cvt_f32_f16_e32 v23, v23
	v_cvt_f32_f16_e32 v22, v25
	;; [unrolled: 1-line block ×3, first 2 shown]
	v_cvt_pk_f16_f32 v1, v20, v21
	v_cvt_f32_f16_e32 v25, v17
	v_pk_mul_f32 v[18:19], v[16:17], v[18:19] op_sel_hi:[0,1]
	v_pk_mul_f32 v[20:21], v[16:17], v[22:23] op_sel_hi:[0,1]
	s_delay_alu instid0(VALU_DEP_3) | instskip(NEXT) | instid1(VALU_DEP_3)
	v_pk_mul_f32 v[16:17], v[16:17], v[24:25] op_sel_hi:[0,1]
	v_cvt_pk_f16_f32 v8, v18, v19
	v_and_b32_e32 v19, 0xffff0000, v1
	s_delay_alu instid0(VALU_DEP_4)
	v_cvt_pk_f16_f32 v20, v20, v21
	v_lshlrev_b32_e32 v18, 16, v1
	v_cvt_pk_f16_f32 v16, v16, v17
	v_lshrrev_b32_e32 v25, 16, v8
	v_and_b32_e32 v24, 0xffff, v8
	v_and_b32_e32 v1, 0xffff0000, v20
	s_delay_alu instid0(VALU_DEP_3) | instskip(SKIP_3) | instid1(VALU_DEP_2)
	v_dual_lshlrev_b32 v8, 16, v20 :: v_dual_bitop2_b32 v23, v19, v25 bitop3:0x54
	v_lshrrev_b32_e32 v17, 16, v16
	v_and_b32_e32 v16, 0xffff, v16
	v_or_b32_e32 v22, v18, v24
	v_or_b32_e32 v20, v8, v16
	s_delay_alu instid0(VALU_DEP_4)
	v_or_b32_e32 v21, v1, v17
	s_and_saveexec_b32 s14, vcc_lo
	s_cbranch_execz .LBB266_556
; %bb.555:                              ;   in Loop: Header=BB266_424 Depth=1
	v_cmp_gt_i32_e64 s0, s9, v31
	s_delay_alu instid0(VALU_DEP_1) | instskip(SKIP_1) | instid1(VALU_DEP_1)
	v_cndmask_b32_e64 v20, 0, v25, s0
	v_cmp_gt_i32_e64 s0, s23, v40
	v_cndmask_b32_e64 v21, 0, v24, s0
	v_cmp_gt_i32_e64 s0, s9, v39
	s_delay_alu instid0(VALU_DEP_1) | instskip(SKIP_1) | instid1(VALU_DEP_1)
	v_cndmask_b32_e64 v19, 0, v19, s0
	v_cmp_gt_i32_e64 s0, s23, v38
	v_cndmask_b32_e64 v18, 0, v18, s0
	v_cmp_gt_i32_e64 s0, s9, v37
	s_delay_alu instid0(VALU_DEP_4) | instskip(NEXT) | instid1(VALU_DEP_3)
	v_or_b32_e32 v23, v19, v20
	v_or_b32_e32 v22, v18, v21
	s_delay_alu instid0(VALU_DEP_3) | instskip(SKIP_1) | instid1(VALU_DEP_1)
	v_cndmask_b32_e64 v17, 0, v17, s0
	v_cmp_gt_i32_e64 s0, s23, v36
	v_cndmask_b32_e64 v16, 0, v16, s0
	v_cmp_gt_i32_e64 s0, s9, v35
	s_delay_alu instid0(VALU_DEP_1) | instskip(SKIP_1) | instid1(VALU_DEP_1)
	v_cndmask_b32_e64 v1, 0, v1, s0
	v_cmp_gt_i32_e64 s0, s23, v34
	v_dual_cndmask_b32 v8, 0, v8, s0 :: v_dual_bitop2_b32 v21, v1, v17 bitop3:0x54
	s_delay_alu instid0(VALU_DEP_1)
	v_or_b32_e32 v20, v8, v16
.LBB266_556:                            ;   in Loop: Header=BB266_424 Depth=1
	s_or_b32 exec_lo, exec_lo, s14
	;;#ASMSTART
	v_pk_mul_f16 v1, v46, v23;

	;;#ASMEND
	;;#ASMSTART
	v_pk_mul_f16 v8, v45, v22;

	;;#ASMEND
	;; [unrolled: 4-line block ×4, first 2 shown]
	;;#ASMSTART
	v_pk_add_f16 v1, v1, v8;

	;;#ASMEND
	;;#ASMSTART
	v_pk_add_f16 v1, v1, v16;

	;;#ASMEND
	;; [unrolled: 4-line block ×3, first 2 shown]
	v_and_b32_e32 v8, 0xffff, v1
	v_dual_lshrrev_b32 v1, 16, v1 :: v_dual_mov_b32 v17, 0
	;;#ASMSTART
	v_cvt_f32_f16 v49, v8;
	;;#ASMEND
	;;#ASMSTART
	v_cvt_f32_f16 v50, v1;
	;;#ASMEND
	global_load_b64 v[18:19], v[14:15], off offset:512
	v_mov_b32_e32 v1, 0
	s_mov_b32 s14, exec_lo
	global_load_b32 v16, v1, s[10:11]
	s_wait_loadcnt 0x1
	v_and_b32_e32 v8, 0xff, v18
	s_wait_xcnt 0x0
	s_delay_alu instid0(VALU_DEP_1)
	v_cmpx_ne_u16_e32 0, v8
	s_cbranch_execz .LBB266_564
; %bb.557:                              ;   in Loop: Header=BB266_424 Depth=1
	v_mov_b32_e32 v17, 0x8000
	s_mov_b32 s15, exec_lo
	v_cmpx_ne_u16_e32 0x80, v8
	s_cbranch_execz .LBB266_563
; %bb.558:                              ;   in Loop: Header=BB266_424 Depth=1
	v_and_b32_e32 v20, 0x7f, v18
	v_mov_b32_e32 v17, 0x7c01
	s_mov_b32 s16, exec_lo
	s_delay_alu instid0(VALU_DEP_2)
	v_cmpx_ne_u32_e32 0x7f, v20
	s_cbranch_execz .LBB266_562
; %bb.559:                              ;   in Loop: Header=BB266_424 Depth=1
	v_dual_lshrrev_b32 v17, 3, v20 :: v_dual_bitop2_b32 v8, 7, v18 bitop3:0x40
	s_mov_b32 s17, exec_lo
	v_cmpx_gt_u32_e32 8, v20
; %bb.560:                              ;   in Loop: Header=BB266_424 Depth=1
	s_delay_alu instid0(VALU_DEP_2) | instskip(NEXT) | instid1(VALU_DEP_1)
	v_clz_i32_u32_e32 v8, v8
	v_min_u32_e32 v8, 32, v8
	s_delay_alu instid0(VALU_DEP_1) | instskip(NEXT) | instid1(VALU_DEP_1)
	v_subrev_nc_u32_e32 v17, 28, v8
	v_lshlrev_b64_e32 v[20:21], v17, v[18:19]
	v_sub_nc_u32_e32 v17, 29, v8
	s_delay_alu instid0(VALU_DEP_2)
	v_and_b32_e32 v8, 7, v20
; %bb.561:                              ;   in Loop: Header=BB266_424 Depth=1
	s_or_b32 exec_lo, exec_lo, s17
	s_delay_alu instid0(VALU_DEP_1) | instskip(NEXT) | instid1(VALU_DEP_3)
	v_dual_lshlrev_b32 v20, 8, v18 :: v_dual_lshlrev_b32 v8, 7, v8
	v_lshl_add_u32 v17, v17, 10, 0x2000
	s_delay_alu instid0(VALU_DEP_2) | instskip(NEXT) | instid1(VALU_DEP_2)
	v_and_b32_e32 v20, 0x8000, v20
	v_and_b32_e32 v17, 0xfc00, v17
	s_delay_alu instid0(VALU_DEP_1)
	v_or3_b32 v17, v20, v17, v8
.LBB266_562:                            ;   in Loop: Header=BB266_424 Depth=1
	s_or_b32 exec_lo, exec_lo, s16
.LBB266_563:                            ;   in Loop: Header=BB266_424 Depth=1
	s_delay_alu instid0(SALU_CYCLE_1)
	s_or_b32 exec_lo, exec_lo, s15
.LBB266_564:                            ;   in Loop: Header=BB266_424 Depth=1
	s_delay_alu instid0(SALU_CYCLE_1) | instskip(SKIP_2) | instid1(VALU_DEP_1)
	s_or_b32 exec_lo, exec_lo, s14
	v_lshrrev_b16 v8, 8, v18
	s_mov_b32 s14, exec_lo
	v_cmpx_ne_u16_e32 0, v8
	s_cbranch_execz .LBB266_572
; %bb.565:                              ;   in Loop: Header=BB266_424 Depth=1
	v_bfrev_b32_e32 v1, 1
	s_mov_b32 s15, exec_lo
	v_cmpx_ne_u16_e32 0x80, v8
	s_cbranch_execz .LBB266_571
; %bb.566:                              ;   in Loop: Header=BB266_424 Depth=1
	v_and_b32_e32 v20, 0xffff, v8
	v_mov_b32_e32 v1, 0x7c010000
	s_mov_b32 s16, exec_lo
	s_delay_alu instid0(VALU_DEP_2) | instskip(NEXT) | instid1(VALU_DEP_1)
	v_and_b32_e32 v22, 0x7f, v20
	v_cmpx_ne_u32_e32 0x7f, v22
	s_cbranch_execz .LBB266_570
; %bb.567:                              ;   in Loop: Header=BB266_424 Depth=1
	v_dual_lshrrev_b32 v21, 3, v22 :: v_dual_bitop2_b32 v1, 7, v20 bitop3:0x40
	s_mov_b32 s17, exec_lo
	v_cmpx_gt_u32_e32 8, v22
; %bb.568:                              ;   in Loop: Header=BB266_424 Depth=1
	s_delay_alu instid0(VALU_DEP_2) | instskip(NEXT) | instid1(VALU_DEP_1)
	v_clz_i32_u32_e32 v1, v1
	v_min_u32_e32 v1, 32, v1
	s_delay_alu instid0(VALU_DEP_1) | instskip(NEXT) | instid1(VALU_DEP_1)
	v_subrev_nc_u32_e32 v21, 28, v1
	v_lshlrev_b64_e32 v[22:23], v21, v[8:9]
	s_delay_alu instid0(VALU_DEP_1)
	v_dual_sub_nc_u32 v21, 29, v1 :: v_dual_bitop2_b32 v1, 7, v22 bitop3:0x40
; %bb.569:                              ;   in Loop: Header=BB266_424 Depth=1
	s_or_b32 exec_lo, exec_lo, s17
	s_delay_alu instid0(VALU_DEP_1) | instskip(NEXT) | instid1(VALU_DEP_2)
	v_dual_lshlrev_b32 v8, 8, v20 :: v_dual_lshlrev_b32 v1, 23, v1
	v_lshl_add_u32 v20, v21, 10, 0x2000
	s_delay_alu instid0(VALU_DEP_1) | instskip(NEXT) | instid1(VALU_DEP_1)
	v_and_or_b32 v8, 0x8000, v8, v20
	v_lshl_or_b32 v1, v8, 16, v1
.LBB266_570:                            ;   in Loop: Header=BB266_424 Depth=1
	s_or_b32 exec_lo, exec_lo, s16
.LBB266_571:                            ;   in Loop: Header=BB266_424 Depth=1
	s_delay_alu instid0(SALU_CYCLE_1)
	s_or_b32 exec_lo, exec_lo, s15
.LBB266_572:                            ;   in Loop: Header=BB266_424 Depth=1
	s_delay_alu instid0(SALU_CYCLE_1) | instskip(SKIP_3) | instid1(VALU_DEP_2)
	s_or_b32 exec_lo, exec_lo, s14
	v_dual_lshrrev_b32 v8, 16, v18 :: v_dual_mov_b32 v20, 0
	v_mov_b32_e32 v21, 0
	s_mov_b32 s14, exec_lo
	v_and_b32_e32 v22, 0xff, v8
	s_delay_alu instid0(VALU_DEP_1)
	v_cmpx_ne_u16_e32 0, v22
	s_cbranch_execz .LBB266_580
; %bb.573:                              ;   in Loop: Header=BB266_424 Depth=1
	v_mov_b32_e32 v21, 0x8000
	s_mov_b32 s15, exec_lo
	v_cmpx_ne_u16_e32 0x80, v22
	s_cbranch_execz .LBB266_579
; %bb.574:                              ;   in Loop: Header=BB266_424 Depth=1
	v_bfe_u32 v23, v18, 16, 7
	v_mov_b32_e32 v21, 0x7c01
	s_mov_b32 s16, exec_lo
	s_delay_alu instid0(VALU_DEP_2)
	v_cmpx_ne_u32_e32 0x7f, v23
	s_cbranch_execz .LBB266_578
; %bb.575:                              ;   in Loop: Header=BB266_424 Depth=1
	v_dual_lshrrev_b32 v22, 3, v23 :: v_dual_bitop2_b32 v21, 7, v8 bitop3:0x40
	s_mov_b32 s17, exec_lo
	v_cmpx_gt_u32_e32 8, v23
; %bb.576:                              ;   in Loop: Header=BB266_424 Depth=1
	s_delay_alu instid0(VALU_DEP_2) | instskip(NEXT) | instid1(VALU_DEP_1)
	v_clz_i32_u32_e32 v21, v21
	v_min_u32_e32 v21, 32, v21
	s_delay_alu instid0(VALU_DEP_1) | instskip(NEXT) | instid1(VALU_DEP_1)
	v_subrev_nc_u32_e32 v22, 28, v21
	v_lshlrev_b64_e32 v[24:25], v22, v[8:9]
	s_delay_alu instid0(VALU_DEP_1)
	v_dual_sub_nc_u32 v22, 29, v21 :: v_dual_bitop2_b32 v21, 7, v24 bitop3:0x40
; %bb.577:                              ;   in Loop: Header=BB266_424 Depth=1
	s_or_b32 exec_lo, exec_lo, s17
	s_delay_alu instid0(VALU_DEP_1) | instskip(NEXT) | instid1(VALU_DEP_2)
	v_dual_lshlrev_b32 v8, 8, v8 :: v_dual_lshlrev_b32 v21, 7, v21
	v_lshl_add_u32 v22, v22, 10, 0x2000
	s_delay_alu instid0(VALU_DEP_2) | instskip(NEXT) | instid1(VALU_DEP_2)
	v_and_b32_e32 v8, 0x8000, v8
	v_and_b32_e32 v22, 0xfc00, v22
	s_delay_alu instid0(VALU_DEP_1)
	v_or3_b32 v21, v8, v22, v21
.LBB266_578:                            ;   in Loop: Header=BB266_424 Depth=1
	s_or_b32 exec_lo, exec_lo, s16
.LBB266_579:                            ;   in Loop: Header=BB266_424 Depth=1
	s_delay_alu instid0(SALU_CYCLE_1)
	s_or_b32 exec_lo, exec_lo, s15
.LBB266_580:                            ;   in Loop: Header=BB266_424 Depth=1
	s_delay_alu instid0(SALU_CYCLE_1) | instskip(NEXT) | instid1(SALU_CYCLE_1)
	s_or_b32 exec_lo, exec_lo, s14
	s_mov_b32 s14, exec_lo
	v_cmpx_lt_u32_e32 0xffffff, v18
	s_cbranch_execz .LBB266_588
; %bb.581:                              ;   in Loop: Header=BB266_424 Depth=1
	v_lshrrev_b32_e32 v8, 24, v18
	v_bfrev_b32_e32 v20, 1
	s_mov_b32 s15, exec_lo
	s_delay_alu instid0(VALU_DEP_2)
	v_cmpx_ne_u32_e32 0x80, v8
	s_cbranch_execz .LBB266_587
; %bb.582:                              ;   in Loop: Header=BB266_424 Depth=1
	v_and_b32_e32 v23, 0x7f, v8
	v_mov_b32_e32 v20, 0x7c010000
	s_mov_b32 s16, exec_lo
	s_delay_alu instid0(VALU_DEP_2)
	v_cmpx_ne_u32_e32 0x7f, v23
	s_cbranch_execz .LBB266_586
; %bb.583:                              ;   in Loop: Header=BB266_424 Depth=1
	v_dual_lshrrev_b32 v22, 3, v23 :: v_dual_bitop2_b32 v20, 7, v8 bitop3:0x40
	s_mov_b32 s17, exec_lo
	v_cmpx_gt_u32_e32 8, v23
; %bb.584:                              ;   in Loop: Header=BB266_424 Depth=1
	s_delay_alu instid0(VALU_DEP_2) | instskip(NEXT) | instid1(VALU_DEP_1)
	v_clz_i32_u32_e32 v20, v20
	v_min_u32_e32 v20, 32, v20
	s_delay_alu instid0(VALU_DEP_1) | instskip(NEXT) | instid1(VALU_DEP_1)
	v_subrev_nc_u32_e32 v22, 28, v20
	v_lshlrev_b64_e32 v[24:25], v22, v[8:9]
	v_sub_nc_u32_e32 v22, 29, v20
	s_delay_alu instid0(VALU_DEP_2)
	v_and_b32_e32 v20, 7, v24
; %bb.585:                              ;   in Loop: Header=BB266_424 Depth=1
	s_or_b32 exec_lo, exec_lo, s17
	v_lshlrev_b32_e32 v8, 8, v8
	s_delay_alu instid0(VALU_DEP_3) | instskip(NEXT) | instid1(VALU_DEP_3)
	v_lshl_add_u32 v22, v22, 10, 0x2000
	v_lshlrev_b32_e32 v20, 23, v20
	s_delay_alu instid0(VALU_DEP_2) | instskip(NEXT) | instid1(VALU_DEP_1)
	v_and_or_b32 v8, 0x8000, v8, v22
	v_lshl_or_b32 v20, v8, 16, v20
.LBB266_586:                            ;   in Loop: Header=BB266_424 Depth=1
	s_or_b32 exec_lo, exec_lo, s16
.LBB266_587:                            ;   in Loop: Header=BB266_424 Depth=1
	s_delay_alu instid0(SALU_CYCLE_1)
	s_or_b32 exec_lo, exec_lo, s15
.LBB266_588:                            ;   in Loop: Header=BB266_424 Depth=1
	s_delay_alu instid0(SALU_CYCLE_1) | instskip(SKIP_4) | instid1(VALU_DEP_3)
	s_or_b32 exec_lo, exec_lo, s14
	v_and_b32_e32 v24, 0xff, v19
	v_dual_mov_b32 v8, v19 :: v_dual_mov_b32 v23, 0
	v_mov_b32_e32 v22, 0
	s_mov_b32 s14, exec_lo
	v_cmpx_ne_u16_e32 0, v24
	s_cbranch_execz .LBB266_596
; %bb.589:                              ;   in Loop: Header=BB266_424 Depth=1
	v_mov_b32_e32 v22, 0x8000
	s_mov_b32 s15, exec_lo
	v_cmpx_ne_u16_e32 0x80, v24
	s_cbranch_execz .LBB266_595
; %bb.590:                              ;   in Loop: Header=BB266_424 Depth=1
	v_and_b32_e32 v25, 0x7f, v19
	v_mov_b32_e32 v22, 0x7c01
	s_mov_b32 s16, exec_lo
	s_delay_alu instid0(VALU_DEP_2)
	v_cmpx_ne_u32_e32 0x7f, v25
	s_cbranch_execz .LBB266_594
; %bb.591:                              ;   in Loop: Header=BB266_424 Depth=1
	v_dual_lshrrev_b32 v24, 3, v25 :: v_dual_bitop2_b32 v22, 7, v19 bitop3:0x40
	s_mov_b32 s17, exec_lo
	v_cmpx_gt_u32_e32 8, v25
; %bb.592:                              ;   in Loop: Header=BB266_424 Depth=1
	s_delay_alu instid0(VALU_DEP_2) | instskip(NEXT) | instid1(VALU_DEP_1)
	v_clz_i32_u32_e32 v22, v22
	v_min_u32_e32 v22, 32, v22
	s_delay_alu instid0(VALU_DEP_1) | instskip(NEXT) | instid1(VALU_DEP_1)
	v_subrev_nc_u32_e32 v24, 28, v22
	v_lshlrev_b64_e32 v[52:53], v24, v[8:9]
	s_delay_alu instid0(VALU_DEP_1)
	v_dual_sub_nc_u32 v24, 29, v22 :: v_dual_bitop2_b32 v22, 7, v52 bitop3:0x40
; %bb.593:                              ;   in Loop: Header=BB266_424 Depth=1
	s_or_b32 exec_lo, exec_lo, s17
	s_delay_alu instid0(VALU_DEP_1) | instskip(NEXT) | instid1(VALU_DEP_2)
	v_dual_lshlrev_b32 v25, 8, v19 :: v_dual_lshlrev_b32 v22, 7, v22
	v_lshl_add_u32 v24, v24, 10, 0x2000
	s_delay_alu instid0(VALU_DEP_2) | instskip(NEXT) | instid1(VALU_DEP_2)
	v_and_b32_e32 v25, 0x8000, v25
	v_and_b32_e32 v24, 0xfc00, v24
	s_delay_alu instid0(VALU_DEP_1)
	v_or3_b32 v22, v25, v24, v22
.LBB266_594:                            ;   in Loop: Header=BB266_424 Depth=1
	s_or_b32 exec_lo, exec_lo, s16
.LBB266_595:                            ;   in Loop: Header=BB266_424 Depth=1
	s_delay_alu instid0(SALU_CYCLE_1)
	s_or_b32 exec_lo, exec_lo, s15
.LBB266_596:                            ;   in Loop: Header=BB266_424 Depth=1
	s_delay_alu instid0(SALU_CYCLE_1) | instskip(SKIP_3) | instid1(VALU_DEP_2)
	s_or_b32 exec_lo, exec_lo, s14
	v_lshrrev_b16 v8, 8, v8
	v_mov_b32_e32 v24, 0
	s_mov_b32 s14, exec_lo
	v_cmpx_ne_u16_e32 0, v8
	s_cbranch_execz .LBB266_604
; %bb.597:                              ;   in Loop: Header=BB266_424 Depth=1
	v_bfrev_b32_e32 v24, 1
	s_mov_b32 s15, exec_lo
	v_cmpx_ne_u16_e32 0x80, v8
	s_cbranch_execz .LBB266_603
; %bb.598:                              ;   in Loop: Header=BB266_424 Depth=1
	v_and_b32_e32 v25, 0xffff, v8
	v_mov_b32_e32 v24, 0x7c010000
	s_mov_b32 s16, exec_lo
	s_delay_alu instid0(VALU_DEP_2) | instskip(NEXT) | instid1(VALU_DEP_1)
	v_and_b32_e32 v42, 0x7f, v25
	v_cmpx_ne_u32_e32 0x7f, v42
	s_cbranch_execz .LBB266_602
; %bb.599:                              ;   in Loop: Header=BB266_424 Depth=1
	v_dual_lshrrev_b32 v41, 3, v42 :: v_dual_bitop2_b32 v24, 7, v25 bitop3:0x40
	s_mov_b32 s17, exec_lo
	v_cmpx_gt_u32_e32 8, v42
; %bb.600:                              ;   in Loop: Header=BB266_424 Depth=1
	s_delay_alu instid0(VALU_DEP_2) | instskip(NEXT) | instid1(VALU_DEP_1)
	v_clz_i32_u32_e32 v24, v24
	v_min_u32_e32 v24, 32, v24
	s_delay_alu instid0(VALU_DEP_1) | instskip(NEXT) | instid1(VALU_DEP_1)
	v_subrev_nc_u32_e32 v41, 28, v24
	v_lshlrev_b64_e32 v[52:53], v41, v[8:9]
	v_sub_nc_u32_e32 v41, 29, v24
	s_delay_alu instid0(VALU_DEP_2)
	v_and_b32_e32 v24, 7, v52
; %bb.601:                              ;   in Loop: Header=BB266_424 Depth=1
	s_or_b32 exec_lo, exec_lo, s17
	s_delay_alu instid0(VALU_DEP_1) | instskip(NEXT) | instid1(VALU_DEP_3)
	v_dual_lshlrev_b32 v8, 8, v25 :: v_dual_lshlrev_b32 v24, 23, v24
	v_lshl_add_u32 v25, v41, 10, 0x2000
	s_delay_alu instid0(VALU_DEP_1) | instskip(NEXT) | instid1(VALU_DEP_1)
	v_and_or_b32 v8, 0x8000, v8, v25
	v_lshl_or_b32 v24, v8, 16, v24
.LBB266_602:                            ;   in Loop: Header=BB266_424 Depth=1
	s_or_b32 exec_lo, exec_lo, s16
.LBB266_603:                            ;   in Loop: Header=BB266_424 Depth=1
	s_delay_alu instid0(SALU_CYCLE_1)
	s_or_b32 exec_lo, exec_lo, s15
.LBB266_604:                            ;   in Loop: Header=BB266_424 Depth=1
	s_delay_alu instid0(SALU_CYCLE_1) | instskip(SKIP_2) | instid1(VALU_DEP_1)
	s_or_b32 exec_lo, exec_lo, s14
	v_lshrrev_b32_e32 v8, 16, v19
	s_mov_b32 s14, exec_lo
	v_and_b32_e32 v25, 0xff, v8
	s_delay_alu instid0(VALU_DEP_1)
	v_cmpx_ne_u16_e32 0, v25
	s_cbranch_execz .LBB266_612
; %bb.605:                              ;   in Loop: Header=BB266_424 Depth=1
	v_mov_b32_e32 v23, 0x8000
	s_mov_b32 s15, exec_lo
	v_cmpx_ne_u16_e32 0x80, v25
	s_cbranch_execz .LBB266_611
; %bb.606:                              ;   in Loop: Header=BB266_424 Depth=1
	v_bfe_u32 v41, v19, 16, 7
	v_mov_b32_e32 v23, 0x7c01
	s_mov_b32 s16, exec_lo
	s_delay_alu instid0(VALU_DEP_2)
	v_cmpx_ne_u32_e32 0x7f, v41
	s_cbranch_execz .LBB266_610
; %bb.607:                              ;   in Loop: Header=BB266_424 Depth=1
	v_dual_lshrrev_b32 v25, 3, v41 :: v_dual_bitop2_b32 v23, 7, v8 bitop3:0x40
	s_mov_b32 s17, exec_lo
	v_cmpx_gt_u32_e32 8, v41
; %bb.608:                              ;   in Loop: Header=BB266_424 Depth=1
	s_delay_alu instid0(VALU_DEP_2) | instskip(NEXT) | instid1(VALU_DEP_1)
	v_clz_i32_u32_e32 v23, v23
	v_min_u32_e32 v23, 32, v23
	s_delay_alu instid0(VALU_DEP_1) | instskip(NEXT) | instid1(VALU_DEP_1)
	v_subrev_nc_u32_e32 v25, 28, v23
	v_lshlrev_b64_e32 v[52:53], v25, v[8:9]
	s_delay_alu instid0(VALU_DEP_1)
	v_dual_sub_nc_u32 v25, 29, v23 :: v_dual_bitop2_b32 v23, 7, v52 bitop3:0x40
; %bb.609:                              ;   in Loop: Header=BB266_424 Depth=1
	s_or_b32 exec_lo, exec_lo, s17
	s_delay_alu instid0(VALU_DEP_1) | instskip(NEXT) | instid1(VALU_DEP_2)
	v_dual_lshlrev_b32 v8, 8, v8 :: v_dual_lshlrev_b32 v23, 7, v23
	v_lshl_add_u32 v25, v25, 10, 0x2000
	s_delay_alu instid0(VALU_DEP_2) | instskip(NEXT) | instid1(VALU_DEP_2)
	v_and_b32_e32 v8, 0x8000, v8
	v_and_b32_e32 v25, 0xfc00, v25
	s_delay_alu instid0(VALU_DEP_1)
	v_or3_b32 v23, v8, v25, v23
.LBB266_610:                            ;   in Loop: Header=BB266_424 Depth=1
	s_or_b32 exec_lo, exec_lo, s16
.LBB266_611:                            ;   in Loop: Header=BB266_424 Depth=1
	s_delay_alu instid0(SALU_CYCLE_1)
	s_or_b32 exec_lo, exec_lo, s15
.LBB266_612:                            ;   in Loop: Header=BB266_424 Depth=1
	s_delay_alu instid0(SALU_CYCLE_1)
	s_or_b32 exec_lo, exec_lo, s14
	v_cmp_lt_u64_e64 s0, s[2:3], v[18:19]
	v_mov_b32_e32 v18, 0
	s_and_saveexec_b32 s14, s0
	s_cbranch_execz .LBB266_620
; %bb.613:                              ;   in Loop: Header=BB266_424 Depth=1
	v_lshrrev_b32_e32 v8, 24, v19
	v_bfrev_b32_e32 v18, 1
	s_mov_b32 s15, exec_lo
	s_delay_alu instid0(VALU_DEP_2)
	v_cmpx_ne_u32_e32 0x80, v8
	s_cbranch_execz .LBB266_619
; %bb.614:                              ;   in Loop: Header=BB266_424 Depth=1
	v_and_b32_e32 v25, 0x7f, v8
	v_mov_b32_e32 v18, 0x7c010000
	s_mov_b32 s16, exec_lo
	s_delay_alu instid0(VALU_DEP_2)
	v_cmpx_ne_u32_e32 0x7f, v25
	s_cbranch_execz .LBB266_618
; %bb.615:                              ;   in Loop: Header=BB266_424 Depth=1
	v_dual_lshrrev_b32 v19, 3, v25 :: v_dual_bitop2_b32 v18, 7, v8 bitop3:0x40
	s_mov_b32 s17, exec_lo
	v_cmpx_gt_u32_e32 8, v25
; %bb.616:                              ;   in Loop: Header=BB266_424 Depth=1
	s_delay_alu instid0(VALU_DEP_2) | instskip(NEXT) | instid1(VALU_DEP_1)
	v_clz_i32_u32_e32 v18, v18
	v_min_u32_e32 v25, 32, v18
	s_delay_alu instid0(VALU_DEP_1) | instskip(NEXT) | instid1(VALU_DEP_1)
	v_subrev_nc_u32_e32 v18, 28, v25
	v_lshlrev_b64_e32 v[18:19], v18, v[8:9]
	s_delay_alu instid0(VALU_DEP_1)
	v_dual_sub_nc_u32 v19, 29, v25 :: v_dual_bitop2_b32 v18, 7, v18 bitop3:0x40
; %bb.617:                              ;   in Loop: Header=BB266_424 Depth=1
	s_or_b32 exec_lo, exec_lo, s17
	s_delay_alu instid0(VALU_DEP_1) | instskip(NEXT) | instid1(VALU_DEP_2)
	v_dual_lshlrev_b32 v8, 8, v8 :: v_dual_lshlrev_b32 v18, 23, v18
	v_lshl_add_u32 v19, v19, 10, 0x2000
	s_delay_alu instid0(VALU_DEP_1) | instskip(NEXT) | instid1(VALU_DEP_1)
	v_and_or_b32 v8, 0x8000, v8, v19
	v_lshl_or_b32 v18, v8, 16, v18
.LBB266_618:                            ;   in Loop: Header=BB266_424 Depth=1
	s_or_b32 exec_lo, exec_lo, s16
.LBB266_619:                            ;   in Loop: Header=BB266_424 Depth=1
	s_delay_alu instid0(SALU_CYCLE_1)
	s_or_b32 exec_lo, exec_lo, s15
.LBB266_620:                            ;   in Loop: Header=BB266_424 Depth=1
	s_delay_alu instid0(SALU_CYCLE_1) | instskip(SKIP_3) | instid1(VALU_DEP_3)
	s_or_b32 exec_lo, exec_lo, s14
	v_dual_lshrrev_b32 v8, 16, v1 :: v_dual_lshrrev_b32 v19, 16, v20
	v_or_b32_e32 v1, v1, v17
	v_dual_lshrrev_b32 v25, 16, v18 :: v_dual_bitop2_b32 v17, v20, v21 bitop3:0x54
	v_cvt_f32_f16_e32 v21, v8
	s_delay_alu instid0(VALU_DEP_4) | instskip(SKIP_1) | instid1(VALU_DEP_4)
	v_cvt_f32_f16_e32 v20, v19
	v_dual_lshrrev_b32 v23, 16, v24 :: v_dual_bitop2_b32 v8, v18, v23 bitop3:0x54
	v_cvt_f32_f16_e32 v18, v17
	v_cvt_f32_f16_e32 v19, v1
	s_wait_loadcnt 0x0
	v_pk_mul_f32 v[20:21], v[16:17], v[20:21] op_sel_hi:[0,1]
	v_or_b32_e32 v17, v24, v22
	v_cvt_f32_f16_e32 v23, v23
	v_cvt_f32_f16_e32 v22, v25
	;; [unrolled: 1-line block ×3, first 2 shown]
	v_cvt_pk_f16_f32 v1, v20, v21
	v_cvt_f32_f16_e32 v25, v17
	v_pk_mul_f32 v[18:19], v[16:17], v[18:19] op_sel_hi:[0,1]
	v_pk_mul_f32 v[20:21], v[16:17], v[22:23] op_sel_hi:[0,1]
	s_delay_alu instid0(VALU_DEP_3) | instskip(NEXT) | instid1(VALU_DEP_3)
	v_pk_mul_f32 v[16:17], v[16:17], v[24:25] op_sel_hi:[0,1]
	v_cvt_pk_f16_f32 v8, v18, v19
	v_and_b32_e32 v19, 0xffff0000, v1
	s_delay_alu instid0(VALU_DEP_4)
	v_cvt_pk_f16_f32 v20, v20, v21
	v_lshlrev_b32_e32 v18, 16, v1
	v_cvt_pk_f16_f32 v16, v16, v17
	v_lshrrev_b32_e32 v25, 16, v8
	v_and_b32_e32 v24, 0xffff, v8
	v_and_b32_e32 v1, 0xffff0000, v20
	s_delay_alu instid0(VALU_DEP_3) | instskip(SKIP_3) | instid1(VALU_DEP_2)
	v_dual_lshlrev_b32 v8, 16, v20 :: v_dual_bitop2_b32 v23, v19, v25 bitop3:0x54
	v_lshrrev_b32_e32 v17, 16, v16
	v_and_b32_e32 v16, 0xffff, v16
	v_or_b32_e32 v22, v18, v24
	v_or_b32_e32 v20, v8, v16
	s_delay_alu instid0(VALU_DEP_4)
	v_or_b32_e32 v21, v1, v17
	s_and_saveexec_b32 s14, vcc_lo
	s_cbranch_execz .LBB266_622
; %bb.621:                              ;   in Loop: Header=BB266_424 Depth=1
	v_cmp_gt_i32_e64 s0, s9, v31
	s_delay_alu instid0(VALU_DEP_1) | instskip(SKIP_1) | instid1(VALU_DEP_1)
	v_cndmask_b32_e64 v20, 0, v25, s0
	v_cmp_gt_i32_e64 s0, s23, v40
	v_cndmask_b32_e64 v21, 0, v24, s0
	v_cmp_gt_i32_e64 s0, s9, v39
	s_delay_alu instid0(VALU_DEP_1) | instskip(SKIP_1) | instid1(VALU_DEP_1)
	v_cndmask_b32_e64 v19, 0, v19, s0
	v_cmp_gt_i32_e64 s0, s23, v38
	v_cndmask_b32_e64 v18, 0, v18, s0
	v_cmp_gt_i32_e64 s0, s9, v37
	s_delay_alu instid0(VALU_DEP_4) | instskip(NEXT) | instid1(VALU_DEP_3)
	v_or_b32_e32 v23, v19, v20
	v_or_b32_e32 v22, v18, v21
	s_delay_alu instid0(VALU_DEP_3) | instskip(SKIP_1) | instid1(VALU_DEP_1)
	v_cndmask_b32_e64 v17, 0, v17, s0
	v_cmp_gt_i32_e64 s0, s23, v36
	v_cndmask_b32_e64 v16, 0, v16, s0
	v_cmp_gt_i32_e64 s0, s9, v35
	s_delay_alu instid0(VALU_DEP_1) | instskip(SKIP_1) | instid1(VALU_DEP_1)
	v_cndmask_b32_e64 v1, 0, v1, s0
	v_cmp_gt_i32_e64 s0, s23, v34
	v_dual_cndmask_b32 v8, 0, v8, s0 :: v_dual_bitop2_b32 v21, v1, v17 bitop3:0x54
	s_delay_alu instid0(VALU_DEP_1)
	v_or_b32_e32 v20, v8, v16
.LBB266_622:                            ;   in Loop: Header=BB266_424 Depth=1
	s_or_b32 exec_lo, exec_lo, s14
	;;#ASMSTART
	v_pk_mul_f16 v1, v46, v23;

	;;#ASMEND
	;;#ASMSTART
	v_pk_mul_f16 v8, v45, v22;

	;;#ASMEND
	;; [unrolled: 4-line block ×4, first 2 shown]
	;;#ASMSTART
	v_pk_add_f16 v1, v1, v8;

	;;#ASMEND
	;;#ASMSTART
	v_pk_add_f16 v1, v1, v16;

	;;#ASMEND
	;; [unrolled: 4-line block ×3, first 2 shown]
	v_and_b32_e32 v8, 0xffff, v1
	v_dual_lshrrev_b32 v1, 16, v1 :: v_dual_mov_b32 v17, 0
	;;#ASMSTART
	v_cvt_f32_f16 v51, v8;
	;;#ASMEND
	;;#ASMSTART
	v_cvt_f32_f16 v52, v1;
	;;#ASMEND
	global_load_b64 v[18:19], v[14:15], off offset:768
	v_mov_b32_e32 v1, 0
	s_mov_b32 s14, exec_lo
	global_load_b32 v16, v1, s[10:11]
	s_wait_loadcnt 0x1
	v_and_b32_e32 v8, 0xff, v18
	s_wait_xcnt 0x0
	s_delay_alu instid0(VALU_DEP_1)
	v_cmpx_ne_u16_e32 0, v8
	s_cbranch_execz .LBB266_630
; %bb.623:                              ;   in Loop: Header=BB266_424 Depth=1
	v_mov_b32_e32 v17, 0x8000
	s_mov_b32 s15, exec_lo
	v_cmpx_ne_u16_e32 0x80, v8
	s_cbranch_execz .LBB266_629
; %bb.624:                              ;   in Loop: Header=BB266_424 Depth=1
	v_and_b32_e32 v20, 0x7f, v18
	v_mov_b32_e32 v17, 0x7c01
	s_mov_b32 s16, exec_lo
	s_delay_alu instid0(VALU_DEP_2)
	v_cmpx_ne_u32_e32 0x7f, v20
	s_cbranch_execz .LBB266_628
; %bb.625:                              ;   in Loop: Header=BB266_424 Depth=1
	v_dual_lshrrev_b32 v17, 3, v20 :: v_dual_bitop2_b32 v8, 7, v18 bitop3:0x40
	s_mov_b32 s17, exec_lo
	v_cmpx_gt_u32_e32 8, v20
; %bb.626:                              ;   in Loop: Header=BB266_424 Depth=1
	s_delay_alu instid0(VALU_DEP_2) | instskip(NEXT) | instid1(VALU_DEP_1)
	v_clz_i32_u32_e32 v8, v8
	v_min_u32_e32 v8, 32, v8
	s_delay_alu instid0(VALU_DEP_1) | instskip(NEXT) | instid1(VALU_DEP_1)
	v_subrev_nc_u32_e32 v17, 28, v8
	v_lshlrev_b64_e32 v[20:21], v17, v[18:19]
	v_sub_nc_u32_e32 v17, 29, v8
	s_delay_alu instid0(VALU_DEP_2)
	v_and_b32_e32 v8, 7, v20
; %bb.627:                              ;   in Loop: Header=BB266_424 Depth=1
	s_or_b32 exec_lo, exec_lo, s17
	s_delay_alu instid0(VALU_DEP_1) | instskip(NEXT) | instid1(VALU_DEP_3)
	v_dual_lshlrev_b32 v20, 8, v18 :: v_dual_lshlrev_b32 v8, 7, v8
	v_lshl_add_u32 v17, v17, 10, 0x2000
	s_delay_alu instid0(VALU_DEP_2) | instskip(NEXT) | instid1(VALU_DEP_2)
	v_and_b32_e32 v20, 0x8000, v20
	v_and_b32_e32 v17, 0xfc00, v17
	s_delay_alu instid0(VALU_DEP_1)
	v_or3_b32 v17, v20, v17, v8
.LBB266_628:                            ;   in Loop: Header=BB266_424 Depth=1
	s_or_b32 exec_lo, exec_lo, s16
.LBB266_629:                            ;   in Loop: Header=BB266_424 Depth=1
	s_delay_alu instid0(SALU_CYCLE_1)
	s_or_b32 exec_lo, exec_lo, s15
.LBB266_630:                            ;   in Loop: Header=BB266_424 Depth=1
	s_delay_alu instid0(SALU_CYCLE_1) | instskip(SKIP_2) | instid1(VALU_DEP_1)
	s_or_b32 exec_lo, exec_lo, s14
	v_lshrrev_b16 v8, 8, v18
	s_mov_b32 s14, exec_lo
	v_cmpx_ne_u16_e32 0, v8
	s_cbranch_execz .LBB266_638
; %bb.631:                              ;   in Loop: Header=BB266_424 Depth=1
	v_bfrev_b32_e32 v1, 1
	s_mov_b32 s15, exec_lo
	v_cmpx_ne_u16_e32 0x80, v8
	s_cbranch_execz .LBB266_637
; %bb.632:                              ;   in Loop: Header=BB266_424 Depth=1
	v_and_b32_e32 v20, 0xffff, v8
	v_mov_b32_e32 v1, 0x7c010000
	s_mov_b32 s16, exec_lo
	s_delay_alu instid0(VALU_DEP_2) | instskip(NEXT) | instid1(VALU_DEP_1)
	v_and_b32_e32 v22, 0x7f, v20
	v_cmpx_ne_u32_e32 0x7f, v22
	s_cbranch_execz .LBB266_636
; %bb.633:                              ;   in Loop: Header=BB266_424 Depth=1
	v_dual_lshrrev_b32 v21, 3, v22 :: v_dual_bitop2_b32 v1, 7, v20 bitop3:0x40
	s_mov_b32 s17, exec_lo
	v_cmpx_gt_u32_e32 8, v22
; %bb.634:                              ;   in Loop: Header=BB266_424 Depth=1
	s_delay_alu instid0(VALU_DEP_2) | instskip(NEXT) | instid1(VALU_DEP_1)
	v_clz_i32_u32_e32 v1, v1
	v_min_u32_e32 v1, 32, v1
	s_delay_alu instid0(VALU_DEP_1) | instskip(NEXT) | instid1(VALU_DEP_1)
	v_subrev_nc_u32_e32 v21, 28, v1
	v_lshlrev_b64_e32 v[22:23], v21, v[8:9]
	s_delay_alu instid0(VALU_DEP_1)
	v_dual_sub_nc_u32 v21, 29, v1 :: v_dual_bitop2_b32 v1, 7, v22 bitop3:0x40
; %bb.635:                              ;   in Loop: Header=BB266_424 Depth=1
	s_or_b32 exec_lo, exec_lo, s17
	s_delay_alu instid0(VALU_DEP_1) | instskip(NEXT) | instid1(VALU_DEP_2)
	v_dual_lshlrev_b32 v8, 8, v20 :: v_dual_lshlrev_b32 v1, 23, v1
	v_lshl_add_u32 v20, v21, 10, 0x2000
	s_delay_alu instid0(VALU_DEP_1) | instskip(NEXT) | instid1(VALU_DEP_1)
	v_and_or_b32 v8, 0x8000, v8, v20
	v_lshl_or_b32 v1, v8, 16, v1
.LBB266_636:                            ;   in Loop: Header=BB266_424 Depth=1
	s_or_b32 exec_lo, exec_lo, s16
.LBB266_637:                            ;   in Loop: Header=BB266_424 Depth=1
	s_delay_alu instid0(SALU_CYCLE_1)
	s_or_b32 exec_lo, exec_lo, s15
.LBB266_638:                            ;   in Loop: Header=BB266_424 Depth=1
	s_delay_alu instid0(SALU_CYCLE_1) | instskip(SKIP_3) | instid1(VALU_DEP_2)
	s_or_b32 exec_lo, exec_lo, s14
	v_dual_lshrrev_b32 v8, 16, v18 :: v_dual_mov_b32 v20, 0
	v_mov_b32_e32 v21, 0
	s_mov_b32 s14, exec_lo
	v_and_b32_e32 v22, 0xff, v8
	s_delay_alu instid0(VALU_DEP_1)
	v_cmpx_ne_u16_e32 0, v22
	s_cbranch_execz .LBB266_646
; %bb.639:                              ;   in Loop: Header=BB266_424 Depth=1
	v_mov_b32_e32 v21, 0x8000
	s_mov_b32 s15, exec_lo
	v_cmpx_ne_u16_e32 0x80, v22
	s_cbranch_execz .LBB266_645
; %bb.640:                              ;   in Loop: Header=BB266_424 Depth=1
	v_bfe_u32 v23, v18, 16, 7
	v_mov_b32_e32 v21, 0x7c01
	s_mov_b32 s16, exec_lo
	s_delay_alu instid0(VALU_DEP_2)
	v_cmpx_ne_u32_e32 0x7f, v23
	s_cbranch_execz .LBB266_644
; %bb.641:                              ;   in Loop: Header=BB266_424 Depth=1
	v_dual_lshrrev_b32 v22, 3, v23 :: v_dual_bitop2_b32 v21, 7, v8 bitop3:0x40
	s_mov_b32 s17, exec_lo
	v_cmpx_gt_u32_e32 8, v23
; %bb.642:                              ;   in Loop: Header=BB266_424 Depth=1
	s_delay_alu instid0(VALU_DEP_2) | instskip(NEXT) | instid1(VALU_DEP_1)
	v_clz_i32_u32_e32 v21, v21
	v_min_u32_e32 v21, 32, v21
	s_delay_alu instid0(VALU_DEP_1) | instskip(NEXT) | instid1(VALU_DEP_1)
	v_subrev_nc_u32_e32 v22, 28, v21
	v_lshlrev_b64_e32 v[24:25], v22, v[8:9]
	s_delay_alu instid0(VALU_DEP_1)
	v_dual_sub_nc_u32 v22, 29, v21 :: v_dual_bitop2_b32 v21, 7, v24 bitop3:0x40
; %bb.643:                              ;   in Loop: Header=BB266_424 Depth=1
	s_or_b32 exec_lo, exec_lo, s17
	s_delay_alu instid0(VALU_DEP_1) | instskip(NEXT) | instid1(VALU_DEP_2)
	v_dual_lshlrev_b32 v8, 8, v8 :: v_dual_lshlrev_b32 v21, 7, v21
	v_lshl_add_u32 v22, v22, 10, 0x2000
	s_delay_alu instid0(VALU_DEP_2) | instskip(NEXT) | instid1(VALU_DEP_2)
	v_and_b32_e32 v8, 0x8000, v8
	v_and_b32_e32 v22, 0xfc00, v22
	s_delay_alu instid0(VALU_DEP_1)
	v_or3_b32 v21, v8, v22, v21
.LBB266_644:                            ;   in Loop: Header=BB266_424 Depth=1
	s_or_b32 exec_lo, exec_lo, s16
.LBB266_645:                            ;   in Loop: Header=BB266_424 Depth=1
	s_delay_alu instid0(SALU_CYCLE_1)
	s_or_b32 exec_lo, exec_lo, s15
.LBB266_646:                            ;   in Loop: Header=BB266_424 Depth=1
	s_delay_alu instid0(SALU_CYCLE_1) | instskip(NEXT) | instid1(SALU_CYCLE_1)
	s_or_b32 exec_lo, exec_lo, s14
	s_mov_b32 s14, exec_lo
	v_cmpx_lt_u32_e32 0xffffff, v18
	s_cbranch_execz .LBB266_654
; %bb.647:                              ;   in Loop: Header=BB266_424 Depth=1
	v_lshrrev_b32_e32 v8, 24, v18
	v_bfrev_b32_e32 v20, 1
	s_mov_b32 s15, exec_lo
	s_delay_alu instid0(VALU_DEP_2)
	v_cmpx_ne_u32_e32 0x80, v8
	s_cbranch_execz .LBB266_653
; %bb.648:                              ;   in Loop: Header=BB266_424 Depth=1
	v_and_b32_e32 v23, 0x7f, v8
	v_mov_b32_e32 v20, 0x7c010000
	s_mov_b32 s16, exec_lo
	s_delay_alu instid0(VALU_DEP_2)
	v_cmpx_ne_u32_e32 0x7f, v23
	s_cbranch_execz .LBB266_652
; %bb.649:                              ;   in Loop: Header=BB266_424 Depth=1
	v_dual_lshrrev_b32 v22, 3, v23 :: v_dual_bitop2_b32 v20, 7, v8 bitop3:0x40
	s_mov_b32 s17, exec_lo
	v_cmpx_gt_u32_e32 8, v23
; %bb.650:                              ;   in Loop: Header=BB266_424 Depth=1
	s_delay_alu instid0(VALU_DEP_2) | instskip(NEXT) | instid1(VALU_DEP_1)
	v_clz_i32_u32_e32 v20, v20
	v_min_u32_e32 v20, 32, v20
	s_delay_alu instid0(VALU_DEP_1) | instskip(NEXT) | instid1(VALU_DEP_1)
	v_subrev_nc_u32_e32 v22, 28, v20
	v_lshlrev_b64_e32 v[24:25], v22, v[8:9]
	v_sub_nc_u32_e32 v22, 29, v20
	s_delay_alu instid0(VALU_DEP_2)
	v_and_b32_e32 v20, 7, v24
; %bb.651:                              ;   in Loop: Header=BB266_424 Depth=1
	s_or_b32 exec_lo, exec_lo, s17
	v_lshlrev_b32_e32 v8, 8, v8
	s_delay_alu instid0(VALU_DEP_3) | instskip(NEXT) | instid1(VALU_DEP_3)
	v_lshl_add_u32 v22, v22, 10, 0x2000
	v_lshlrev_b32_e32 v20, 23, v20
	s_delay_alu instid0(VALU_DEP_2) | instskip(NEXT) | instid1(VALU_DEP_1)
	v_and_or_b32 v8, 0x8000, v8, v22
	v_lshl_or_b32 v20, v8, 16, v20
.LBB266_652:                            ;   in Loop: Header=BB266_424 Depth=1
	s_or_b32 exec_lo, exec_lo, s16
.LBB266_653:                            ;   in Loop: Header=BB266_424 Depth=1
	s_delay_alu instid0(SALU_CYCLE_1)
	s_or_b32 exec_lo, exec_lo, s15
.LBB266_654:                            ;   in Loop: Header=BB266_424 Depth=1
	s_delay_alu instid0(SALU_CYCLE_1) | instskip(SKIP_4) | instid1(VALU_DEP_3)
	s_or_b32 exec_lo, exec_lo, s14
	v_and_b32_e32 v24, 0xff, v19
	v_dual_mov_b32 v8, v19 :: v_dual_mov_b32 v23, 0
	v_mov_b32_e32 v22, 0
	s_mov_b32 s14, exec_lo
	v_cmpx_ne_u16_e32 0, v24
	s_cbranch_execz .LBB266_662
; %bb.655:                              ;   in Loop: Header=BB266_424 Depth=1
	v_mov_b32_e32 v22, 0x8000
	s_mov_b32 s15, exec_lo
	v_cmpx_ne_u16_e32 0x80, v24
	s_cbranch_execz .LBB266_661
; %bb.656:                              ;   in Loop: Header=BB266_424 Depth=1
	v_and_b32_e32 v25, 0x7f, v19
	v_mov_b32_e32 v22, 0x7c01
	s_mov_b32 s16, exec_lo
	s_delay_alu instid0(VALU_DEP_2)
	v_cmpx_ne_u32_e32 0x7f, v25
	s_cbranch_execz .LBB266_660
; %bb.657:                              ;   in Loop: Header=BB266_424 Depth=1
	v_dual_lshrrev_b32 v24, 3, v25 :: v_dual_bitop2_b32 v22, 7, v19 bitop3:0x40
	s_mov_b32 s17, exec_lo
	v_cmpx_gt_u32_e32 8, v25
; %bb.658:                              ;   in Loop: Header=BB266_424 Depth=1
	s_delay_alu instid0(VALU_DEP_2) | instskip(NEXT) | instid1(VALU_DEP_1)
	v_clz_i32_u32_e32 v22, v22
	v_min_u32_e32 v22, 32, v22
	s_delay_alu instid0(VALU_DEP_1) | instskip(NEXT) | instid1(VALU_DEP_1)
	v_subrev_nc_u32_e32 v24, 28, v22
	v_lshlrev_b64_e32 v[54:55], v24, v[8:9]
	v_sub_nc_u32_e32 v24, 29, v22
	s_delay_alu instid0(VALU_DEP_2)
	v_and_b32_e32 v22, 7, v54
; %bb.659:                              ;   in Loop: Header=BB266_424 Depth=1
	s_or_b32 exec_lo, exec_lo, s17
	s_delay_alu instid0(VALU_DEP_1) | instskip(NEXT) | instid1(VALU_DEP_3)
	v_dual_lshlrev_b32 v25, 8, v19 :: v_dual_lshlrev_b32 v22, 7, v22
	v_lshl_add_u32 v24, v24, 10, 0x2000
	s_delay_alu instid0(VALU_DEP_2) | instskip(NEXT) | instid1(VALU_DEP_2)
	v_and_b32_e32 v25, 0x8000, v25
	v_and_b32_e32 v24, 0xfc00, v24
	s_delay_alu instid0(VALU_DEP_1)
	v_or3_b32 v22, v25, v24, v22
.LBB266_660:                            ;   in Loop: Header=BB266_424 Depth=1
	s_or_b32 exec_lo, exec_lo, s16
.LBB266_661:                            ;   in Loop: Header=BB266_424 Depth=1
	s_delay_alu instid0(SALU_CYCLE_1)
	s_or_b32 exec_lo, exec_lo, s15
.LBB266_662:                            ;   in Loop: Header=BB266_424 Depth=1
	s_delay_alu instid0(SALU_CYCLE_1) | instskip(SKIP_3) | instid1(VALU_DEP_2)
	s_or_b32 exec_lo, exec_lo, s14
	v_lshrrev_b16 v8, 8, v8
	v_mov_b32_e32 v24, 0
	s_mov_b32 s14, exec_lo
	v_cmpx_ne_u16_e32 0, v8
	s_cbranch_execz .LBB266_670
; %bb.663:                              ;   in Loop: Header=BB266_424 Depth=1
	v_bfrev_b32_e32 v24, 1
	s_mov_b32 s15, exec_lo
	v_cmpx_ne_u16_e32 0x80, v8
	s_cbranch_execz .LBB266_669
; %bb.664:                              ;   in Loop: Header=BB266_424 Depth=1
	v_and_b32_e32 v25, 0xffff, v8
	v_mov_b32_e32 v24, 0x7c010000
	s_mov_b32 s16, exec_lo
	s_delay_alu instid0(VALU_DEP_2) | instskip(NEXT) | instid1(VALU_DEP_1)
	v_and_b32_e32 v42, 0x7f, v25
	v_cmpx_ne_u32_e32 0x7f, v42
	s_cbranch_execz .LBB266_668
; %bb.665:                              ;   in Loop: Header=BB266_424 Depth=1
	v_dual_lshrrev_b32 v41, 3, v42 :: v_dual_bitop2_b32 v24, 7, v25 bitop3:0x40
	s_mov_b32 s17, exec_lo
	v_cmpx_gt_u32_e32 8, v42
; %bb.666:                              ;   in Loop: Header=BB266_424 Depth=1
	s_delay_alu instid0(VALU_DEP_2) | instskip(NEXT) | instid1(VALU_DEP_1)
	v_clz_i32_u32_e32 v24, v24
	v_min_u32_e32 v24, 32, v24
	s_delay_alu instid0(VALU_DEP_1) | instskip(NEXT) | instid1(VALU_DEP_1)
	v_subrev_nc_u32_e32 v41, 28, v24
	v_lshlrev_b64_e32 v[54:55], v41, v[8:9]
	s_delay_alu instid0(VALU_DEP_1)
	v_dual_sub_nc_u32 v41, 29, v24 :: v_dual_bitop2_b32 v24, 7, v54 bitop3:0x40
; %bb.667:                              ;   in Loop: Header=BB266_424 Depth=1
	s_or_b32 exec_lo, exec_lo, s17
	s_delay_alu instid0(VALU_DEP_1) | instskip(NEXT) | instid1(VALU_DEP_2)
	v_dual_lshlrev_b32 v8, 8, v25 :: v_dual_lshlrev_b32 v24, 23, v24
	v_lshl_add_u32 v25, v41, 10, 0x2000
	s_delay_alu instid0(VALU_DEP_1) | instskip(NEXT) | instid1(VALU_DEP_1)
	v_and_or_b32 v8, 0x8000, v8, v25
	v_lshl_or_b32 v24, v8, 16, v24
.LBB266_668:                            ;   in Loop: Header=BB266_424 Depth=1
	s_or_b32 exec_lo, exec_lo, s16
.LBB266_669:                            ;   in Loop: Header=BB266_424 Depth=1
	s_delay_alu instid0(SALU_CYCLE_1)
	s_or_b32 exec_lo, exec_lo, s15
.LBB266_670:                            ;   in Loop: Header=BB266_424 Depth=1
	s_delay_alu instid0(SALU_CYCLE_1) | instskip(SKIP_2) | instid1(VALU_DEP_1)
	s_or_b32 exec_lo, exec_lo, s14
	v_lshrrev_b32_e32 v8, 16, v19
	s_mov_b32 s14, exec_lo
	v_and_b32_e32 v25, 0xff, v8
	s_delay_alu instid0(VALU_DEP_1)
	v_cmpx_ne_u16_e32 0, v25
	s_cbranch_execz .LBB266_678
; %bb.671:                              ;   in Loop: Header=BB266_424 Depth=1
	v_mov_b32_e32 v23, 0x8000
	s_mov_b32 s15, exec_lo
	v_cmpx_ne_u16_e32 0x80, v25
	s_cbranch_execz .LBB266_677
; %bb.672:                              ;   in Loop: Header=BB266_424 Depth=1
	v_bfe_u32 v41, v19, 16, 7
	v_mov_b32_e32 v23, 0x7c01
	s_mov_b32 s16, exec_lo
	s_delay_alu instid0(VALU_DEP_2)
	v_cmpx_ne_u32_e32 0x7f, v41
	s_cbranch_execz .LBB266_676
; %bb.673:                              ;   in Loop: Header=BB266_424 Depth=1
	v_dual_lshrrev_b32 v25, 3, v41 :: v_dual_bitop2_b32 v23, 7, v8 bitop3:0x40
	s_mov_b32 s17, exec_lo
	v_cmpx_gt_u32_e32 8, v41
; %bb.674:                              ;   in Loop: Header=BB266_424 Depth=1
	s_delay_alu instid0(VALU_DEP_2) | instskip(NEXT) | instid1(VALU_DEP_1)
	v_clz_i32_u32_e32 v23, v23
	v_min_u32_e32 v23, 32, v23
	s_delay_alu instid0(VALU_DEP_1) | instskip(NEXT) | instid1(VALU_DEP_1)
	v_subrev_nc_u32_e32 v25, 28, v23
	v_lshlrev_b64_e32 v[54:55], v25, v[8:9]
	s_delay_alu instid0(VALU_DEP_1)
	v_dual_sub_nc_u32 v25, 29, v23 :: v_dual_bitop2_b32 v23, 7, v54 bitop3:0x40
; %bb.675:                              ;   in Loop: Header=BB266_424 Depth=1
	s_or_b32 exec_lo, exec_lo, s17
	s_delay_alu instid0(VALU_DEP_1) | instskip(NEXT) | instid1(VALU_DEP_2)
	v_dual_lshlrev_b32 v8, 8, v8 :: v_dual_lshlrev_b32 v23, 7, v23
	v_lshl_add_u32 v25, v25, 10, 0x2000
	s_delay_alu instid0(VALU_DEP_2) | instskip(NEXT) | instid1(VALU_DEP_2)
	v_and_b32_e32 v8, 0x8000, v8
	v_and_b32_e32 v25, 0xfc00, v25
	s_delay_alu instid0(VALU_DEP_1)
	v_or3_b32 v23, v8, v25, v23
.LBB266_676:                            ;   in Loop: Header=BB266_424 Depth=1
	s_or_b32 exec_lo, exec_lo, s16
.LBB266_677:                            ;   in Loop: Header=BB266_424 Depth=1
	s_delay_alu instid0(SALU_CYCLE_1)
	s_or_b32 exec_lo, exec_lo, s15
.LBB266_678:                            ;   in Loop: Header=BB266_424 Depth=1
	s_delay_alu instid0(SALU_CYCLE_1)
	s_or_b32 exec_lo, exec_lo, s14
	v_cmp_lt_u64_e64 s0, s[2:3], v[18:19]
	v_mov_b32_e32 v18, 0
	s_and_saveexec_b32 s14, s0
	s_cbranch_execz .LBB266_686
; %bb.679:                              ;   in Loop: Header=BB266_424 Depth=1
	v_lshrrev_b32_e32 v8, 24, v19
	v_bfrev_b32_e32 v18, 1
	s_mov_b32 s15, exec_lo
	s_delay_alu instid0(VALU_DEP_2)
	v_cmpx_ne_u32_e32 0x80, v8
	s_cbranch_execz .LBB266_685
; %bb.680:                              ;   in Loop: Header=BB266_424 Depth=1
	v_and_b32_e32 v25, 0x7f, v8
	v_mov_b32_e32 v18, 0x7c010000
	s_mov_b32 s16, exec_lo
	s_delay_alu instid0(VALU_DEP_2)
	v_cmpx_ne_u32_e32 0x7f, v25
	s_cbranch_execz .LBB266_684
; %bb.681:                              ;   in Loop: Header=BB266_424 Depth=1
	v_dual_lshrrev_b32 v19, 3, v25 :: v_dual_bitop2_b32 v18, 7, v8 bitop3:0x40
	s_mov_b32 s17, exec_lo
	v_cmpx_gt_u32_e32 8, v25
; %bb.682:                              ;   in Loop: Header=BB266_424 Depth=1
	s_delay_alu instid0(VALU_DEP_2) | instskip(NEXT) | instid1(VALU_DEP_1)
	v_clz_i32_u32_e32 v18, v18
	v_min_u32_e32 v25, 32, v18
	s_delay_alu instid0(VALU_DEP_1) | instskip(NEXT) | instid1(VALU_DEP_1)
	v_subrev_nc_u32_e32 v18, 28, v25
	v_lshlrev_b64_e32 v[18:19], v18, v[8:9]
	s_delay_alu instid0(VALU_DEP_1)
	v_dual_sub_nc_u32 v19, 29, v25 :: v_dual_bitop2_b32 v18, 7, v18 bitop3:0x40
; %bb.683:                              ;   in Loop: Header=BB266_424 Depth=1
	s_or_b32 exec_lo, exec_lo, s17
	s_delay_alu instid0(VALU_DEP_1) | instskip(NEXT) | instid1(VALU_DEP_2)
	v_dual_lshlrev_b32 v8, 8, v8 :: v_dual_lshlrev_b32 v18, 23, v18
	v_lshl_add_u32 v19, v19, 10, 0x2000
	s_delay_alu instid0(VALU_DEP_1) | instskip(NEXT) | instid1(VALU_DEP_1)
	v_and_or_b32 v8, 0x8000, v8, v19
	v_lshl_or_b32 v18, v8, 16, v18
.LBB266_684:                            ;   in Loop: Header=BB266_424 Depth=1
	s_or_b32 exec_lo, exec_lo, s16
.LBB266_685:                            ;   in Loop: Header=BB266_424 Depth=1
	s_delay_alu instid0(SALU_CYCLE_1)
	s_or_b32 exec_lo, exec_lo, s15
.LBB266_686:                            ;   in Loop: Header=BB266_424 Depth=1
	s_delay_alu instid0(SALU_CYCLE_1) | instskip(SKIP_3) | instid1(VALU_DEP_3)
	s_or_b32 exec_lo, exec_lo, s14
	v_dual_lshrrev_b32 v8, 16, v1 :: v_dual_lshrrev_b32 v19, 16, v20
	v_or_b32_e32 v1, v1, v17
	v_dual_lshrrev_b32 v25, 16, v18 :: v_dual_bitop2_b32 v17, v20, v21 bitop3:0x54
	v_cvt_f32_f16_e32 v21, v8
	s_delay_alu instid0(VALU_DEP_4) | instskip(SKIP_1) | instid1(VALU_DEP_4)
	v_cvt_f32_f16_e32 v20, v19
	v_dual_lshrrev_b32 v23, 16, v24 :: v_dual_bitop2_b32 v8, v18, v23 bitop3:0x54
	v_cvt_f32_f16_e32 v18, v17
	v_cvt_f32_f16_e32 v19, v1
	s_wait_loadcnt 0x0
	v_pk_mul_f32 v[20:21], v[16:17], v[20:21] op_sel_hi:[0,1]
	v_or_b32_e32 v17, v24, v22
	v_cvt_f32_f16_e32 v23, v23
	v_cvt_f32_f16_e32 v22, v25
	;; [unrolled: 1-line block ×3, first 2 shown]
	v_cvt_pk_f16_f32 v1, v20, v21
	v_cvt_f32_f16_e32 v25, v17
	v_pk_mul_f32 v[18:19], v[16:17], v[18:19] op_sel_hi:[0,1]
	v_pk_mul_f32 v[20:21], v[16:17], v[22:23] op_sel_hi:[0,1]
	s_delay_alu instid0(VALU_DEP_3) | instskip(NEXT) | instid1(VALU_DEP_3)
	v_pk_mul_f32 v[16:17], v[16:17], v[24:25] op_sel_hi:[0,1]
	v_cvt_pk_f16_f32 v8, v18, v19
	v_and_b32_e32 v19, 0xffff0000, v1
	s_delay_alu instid0(VALU_DEP_4)
	v_cvt_pk_f16_f32 v20, v20, v21
	v_lshlrev_b32_e32 v18, 16, v1
	v_cvt_pk_f16_f32 v16, v16, v17
	v_lshrrev_b32_e32 v25, 16, v8
	v_and_b32_e32 v24, 0xffff, v8
	v_and_b32_e32 v1, 0xffff0000, v20
	s_delay_alu instid0(VALU_DEP_3) | instskip(SKIP_3) | instid1(VALU_DEP_2)
	v_dual_lshlrev_b32 v8, 16, v20 :: v_dual_bitop2_b32 v23, v19, v25 bitop3:0x54
	v_lshrrev_b32_e32 v17, 16, v16
	v_and_b32_e32 v16, 0xffff, v16
	v_or_b32_e32 v22, v18, v24
	v_or_b32_e32 v20, v8, v16
	s_delay_alu instid0(VALU_DEP_4)
	v_or_b32_e32 v21, v1, v17
	s_and_saveexec_b32 s14, vcc_lo
	s_cbranch_execz .LBB266_688
; %bb.687:                              ;   in Loop: Header=BB266_424 Depth=1
	v_cmp_gt_i32_e64 s0, s9, v31
	s_delay_alu instid0(VALU_DEP_1) | instskip(SKIP_1) | instid1(VALU_DEP_1)
	v_cndmask_b32_e64 v20, 0, v25, s0
	v_cmp_gt_i32_e64 s0, s23, v40
	v_cndmask_b32_e64 v21, 0, v24, s0
	v_cmp_gt_i32_e64 s0, s9, v39
	s_delay_alu instid0(VALU_DEP_1) | instskip(SKIP_1) | instid1(VALU_DEP_1)
	v_cndmask_b32_e64 v19, 0, v19, s0
	v_cmp_gt_i32_e64 s0, s23, v38
	v_cndmask_b32_e64 v18, 0, v18, s0
	v_cmp_gt_i32_e64 s0, s9, v37
	s_delay_alu instid0(VALU_DEP_4) | instskip(NEXT) | instid1(VALU_DEP_3)
	v_or_b32_e32 v23, v19, v20
	v_or_b32_e32 v22, v18, v21
	s_delay_alu instid0(VALU_DEP_3) | instskip(SKIP_1) | instid1(VALU_DEP_1)
	v_cndmask_b32_e64 v17, 0, v17, s0
	v_cmp_gt_i32_e64 s0, s23, v36
	v_cndmask_b32_e64 v16, 0, v16, s0
	v_cmp_gt_i32_e64 s0, s9, v35
	s_delay_alu instid0(VALU_DEP_1) | instskip(SKIP_1) | instid1(VALU_DEP_1)
	v_cndmask_b32_e64 v1, 0, v1, s0
	v_cmp_gt_i32_e64 s0, s23, v34
	v_dual_cndmask_b32 v8, 0, v8, s0 :: v_dual_bitop2_b32 v21, v1, v17 bitop3:0x54
	s_delay_alu instid0(VALU_DEP_1)
	v_or_b32_e32 v20, v8, v16
.LBB266_688:                            ;   in Loop: Header=BB266_424 Depth=1
	s_or_b32 exec_lo, exec_lo, s14
	;;#ASMSTART
	v_pk_mul_f16 v1, v46, v23;

	;;#ASMEND
	;;#ASMSTART
	v_pk_mul_f16 v8, v45, v22;

	;;#ASMEND
	;; [unrolled: 4-line block ×4, first 2 shown]
	;;#ASMSTART
	v_pk_add_f16 v1, v1, v8;

	;;#ASMEND
	;;#ASMSTART
	v_pk_add_f16 v1, v1, v16;

	;;#ASMEND
	;; [unrolled: 4-line block ×3, first 2 shown]
	v_and_b32_e32 v8, 0xffff, v1
	v_dual_lshrrev_b32 v1, 16, v1 :: v_dual_mov_b32 v17, 0
	;;#ASMSTART
	v_cvt_f32_f16 v53, v8;
	;;#ASMEND
	;;#ASMSTART
	v_cvt_f32_f16 v54, v1;
	;;#ASMEND
	global_load_b64 v[18:19], v[14:15], off offset:1024
	v_mov_b32_e32 v1, 0
	s_mov_b32 s14, exec_lo
	global_load_b32 v16, v1, s[10:11]
	s_wait_loadcnt 0x1
	v_and_b32_e32 v8, 0xff, v18
	s_wait_xcnt 0x0
	s_delay_alu instid0(VALU_DEP_1)
	v_cmpx_ne_u16_e32 0, v8
	s_cbranch_execz .LBB266_696
; %bb.689:                              ;   in Loop: Header=BB266_424 Depth=1
	v_mov_b32_e32 v17, 0x8000
	s_mov_b32 s15, exec_lo
	v_cmpx_ne_u16_e32 0x80, v8
	s_cbranch_execz .LBB266_695
; %bb.690:                              ;   in Loop: Header=BB266_424 Depth=1
	v_and_b32_e32 v20, 0x7f, v18
	v_mov_b32_e32 v17, 0x7c01
	s_mov_b32 s16, exec_lo
	s_delay_alu instid0(VALU_DEP_2)
	v_cmpx_ne_u32_e32 0x7f, v20
	s_cbranch_execz .LBB266_694
; %bb.691:                              ;   in Loop: Header=BB266_424 Depth=1
	v_dual_lshrrev_b32 v17, 3, v20 :: v_dual_bitop2_b32 v8, 7, v18 bitop3:0x40
	s_mov_b32 s17, exec_lo
	v_cmpx_gt_u32_e32 8, v20
; %bb.692:                              ;   in Loop: Header=BB266_424 Depth=1
	s_delay_alu instid0(VALU_DEP_2) | instskip(NEXT) | instid1(VALU_DEP_1)
	v_clz_i32_u32_e32 v8, v8
	v_min_u32_e32 v8, 32, v8
	s_delay_alu instid0(VALU_DEP_1) | instskip(NEXT) | instid1(VALU_DEP_1)
	v_subrev_nc_u32_e32 v17, 28, v8
	v_lshlrev_b64_e32 v[20:21], v17, v[18:19]
	v_sub_nc_u32_e32 v17, 29, v8
	s_delay_alu instid0(VALU_DEP_2)
	v_and_b32_e32 v8, 7, v20
; %bb.693:                              ;   in Loop: Header=BB266_424 Depth=1
	s_or_b32 exec_lo, exec_lo, s17
	s_delay_alu instid0(VALU_DEP_1) | instskip(NEXT) | instid1(VALU_DEP_3)
	v_dual_lshlrev_b32 v20, 8, v18 :: v_dual_lshlrev_b32 v8, 7, v8
	v_lshl_add_u32 v17, v17, 10, 0x2000
	s_delay_alu instid0(VALU_DEP_2) | instskip(NEXT) | instid1(VALU_DEP_2)
	v_and_b32_e32 v20, 0x8000, v20
	v_and_b32_e32 v17, 0xfc00, v17
	s_delay_alu instid0(VALU_DEP_1)
	v_or3_b32 v17, v20, v17, v8
.LBB266_694:                            ;   in Loop: Header=BB266_424 Depth=1
	s_or_b32 exec_lo, exec_lo, s16
.LBB266_695:                            ;   in Loop: Header=BB266_424 Depth=1
	s_delay_alu instid0(SALU_CYCLE_1)
	s_or_b32 exec_lo, exec_lo, s15
.LBB266_696:                            ;   in Loop: Header=BB266_424 Depth=1
	s_delay_alu instid0(SALU_CYCLE_1) | instskip(SKIP_2) | instid1(VALU_DEP_1)
	s_or_b32 exec_lo, exec_lo, s14
	v_lshrrev_b16 v8, 8, v18
	s_mov_b32 s14, exec_lo
	v_cmpx_ne_u16_e32 0, v8
	s_cbranch_execz .LBB266_704
; %bb.697:                              ;   in Loop: Header=BB266_424 Depth=1
	v_bfrev_b32_e32 v1, 1
	s_mov_b32 s15, exec_lo
	v_cmpx_ne_u16_e32 0x80, v8
	s_cbranch_execz .LBB266_703
; %bb.698:                              ;   in Loop: Header=BB266_424 Depth=1
	v_and_b32_e32 v20, 0xffff, v8
	v_mov_b32_e32 v1, 0x7c010000
	s_mov_b32 s16, exec_lo
	s_delay_alu instid0(VALU_DEP_2) | instskip(NEXT) | instid1(VALU_DEP_1)
	v_and_b32_e32 v22, 0x7f, v20
	v_cmpx_ne_u32_e32 0x7f, v22
	s_cbranch_execz .LBB266_702
; %bb.699:                              ;   in Loop: Header=BB266_424 Depth=1
	v_dual_lshrrev_b32 v21, 3, v22 :: v_dual_bitop2_b32 v1, 7, v20 bitop3:0x40
	s_mov_b32 s17, exec_lo
	v_cmpx_gt_u32_e32 8, v22
; %bb.700:                              ;   in Loop: Header=BB266_424 Depth=1
	s_delay_alu instid0(VALU_DEP_2) | instskip(NEXT) | instid1(VALU_DEP_1)
	v_clz_i32_u32_e32 v1, v1
	v_min_u32_e32 v1, 32, v1
	s_delay_alu instid0(VALU_DEP_1) | instskip(NEXT) | instid1(VALU_DEP_1)
	v_subrev_nc_u32_e32 v21, 28, v1
	v_lshlrev_b64_e32 v[22:23], v21, v[8:9]
	s_delay_alu instid0(VALU_DEP_1)
	v_dual_sub_nc_u32 v21, 29, v1 :: v_dual_bitop2_b32 v1, 7, v22 bitop3:0x40
; %bb.701:                              ;   in Loop: Header=BB266_424 Depth=1
	s_or_b32 exec_lo, exec_lo, s17
	s_delay_alu instid0(VALU_DEP_1) | instskip(NEXT) | instid1(VALU_DEP_2)
	v_dual_lshlrev_b32 v8, 8, v20 :: v_dual_lshlrev_b32 v1, 23, v1
	v_lshl_add_u32 v20, v21, 10, 0x2000
	s_delay_alu instid0(VALU_DEP_1) | instskip(NEXT) | instid1(VALU_DEP_1)
	v_and_or_b32 v8, 0x8000, v8, v20
	v_lshl_or_b32 v1, v8, 16, v1
.LBB266_702:                            ;   in Loop: Header=BB266_424 Depth=1
	s_or_b32 exec_lo, exec_lo, s16
.LBB266_703:                            ;   in Loop: Header=BB266_424 Depth=1
	s_delay_alu instid0(SALU_CYCLE_1)
	s_or_b32 exec_lo, exec_lo, s15
.LBB266_704:                            ;   in Loop: Header=BB266_424 Depth=1
	s_delay_alu instid0(SALU_CYCLE_1) | instskip(SKIP_3) | instid1(VALU_DEP_2)
	s_or_b32 exec_lo, exec_lo, s14
	v_dual_lshrrev_b32 v8, 16, v18 :: v_dual_mov_b32 v20, 0
	v_mov_b32_e32 v21, 0
	s_mov_b32 s14, exec_lo
	v_and_b32_e32 v22, 0xff, v8
	s_delay_alu instid0(VALU_DEP_1)
	v_cmpx_ne_u16_e32 0, v22
	s_cbranch_execz .LBB266_712
; %bb.705:                              ;   in Loop: Header=BB266_424 Depth=1
	v_mov_b32_e32 v21, 0x8000
	s_mov_b32 s15, exec_lo
	v_cmpx_ne_u16_e32 0x80, v22
	s_cbranch_execz .LBB266_711
; %bb.706:                              ;   in Loop: Header=BB266_424 Depth=1
	v_bfe_u32 v23, v18, 16, 7
	v_mov_b32_e32 v21, 0x7c01
	s_mov_b32 s16, exec_lo
	s_delay_alu instid0(VALU_DEP_2)
	v_cmpx_ne_u32_e32 0x7f, v23
	s_cbranch_execz .LBB266_710
; %bb.707:                              ;   in Loop: Header=BB266_424 Depth=1
	v_dual_lshrrev_b32 v22, 3, v23 :: v_dual_bitop2_b32 v21, 7, v8 bitop3:0x40
	s_mov_b32 s17, exec_lo
	v_cmpx_gt_u32_e32 8, v23
; %bb.708:                              ;   in Loop: Header=BB266_424 Depth=1
	s_delay_alu instid0(VALU_DEP_2) | instskip(NEXT) | instid1(VALU_DEP_1)
	v_clz_i32_u32_e32 v21, v21
	v_min_u32_e32 v21, 32, v21
	s_delay_alu instid0(VALU_DEP_1) | instskip(NEXT) | instid1(VALU_DEP_1)
	v_subrev_nc_u32_e32 v22, 28, v21
	v_lshlrev_b64_e32 v[24:25], v22, v[8:9]
	s_delay_alu instid0(VALU_DEP_1)
	v_dual_sub_nc_u32 v22, 29, v21 :: v_dual_bitop2_b32 v21, 7, v24 bitop3:0x40
; %bb.709:                              ;   in Loop: Header=BB266_424 Depth=1
	s_or_b32 exec_lo, exec_lo, s17
	s_delay_alu instid0(VALU_DEP_1) | instskip(NEXT) | instid1(VALU_DEP_2)
	v_dual_lshlrev_b32 v8, 8, v8 :: v_dual_lshlrev_b32 v21, 7, v21
	v_lshl_add_u32 v22, v22, 10, 0x2000
	s_delay_alu instid0(VALU_DEP_2) | instskip(NEXT) | instid1(VALU_DEP_2)
	v_and_b32_e32 v8, 0x8000, v8
	v_and_b32_e32 v22, 0xfc00, v22
	s_delay_alu instid0(VALU_DEP_1)
	v_or3_b32 v21, v8, v22, v21
.LBB266_710:                            ;   in Loop: Header=BB266_424 Depth=1
	s_or_b32 exec_lo, exec_lo, s16
.LBB266_711:                            ;   in Loop: Header=BB266_424 Depth=1
	s_delay_alu instid0(SALU_CYCLE_1)
	s_or_b32 exec_lo, exec_lo, s15
.LBB266_712:                            ;   in Loop: Header=BB266_424 Depth=1
	s_delay_alu instid0(SALU_CYCLE_1) | instskip(NEXT) | instid1(SALU_CYCLE_1)
	s_or_b32 exec_lo, exec_lo, s14
	s_mov_b32 s14, exec_lo
	v_cmpx_lt_u32_e32 0xffffff, v18
	s_cbranch_execz .LBB266_720
; %bb.713:                              ;   in Loop: Header=BB266_424 Depth=1
	v_lshrrev_b32_e32 v8, 24, v18
	v_bfrev_b32_e32 v20, 1
	s_mov_b32 s15, exec_lo
	s_delay_alu instid0(VALU_DEP_2)
	v_cmpx_ne_u32_e32 0x80, v8
	s_cbranch_execz .LBB266_719
; %bb.714:                              ;   in Loop: Header=BB266_424 Depth=1
	v_and_b32_e32 v23, 0x7f, v8
	v_mov_b32_e32 v20, 0x7c010000
	s_mov_b32 s16, exec_lo
	s_delay_alu instid0(VALU_DEP_2)
	v_cmpx_ne_u32_e32 0x7f, v23
	s_cbranch_execz .LBB266_718
; %bb.715:                              ;   in Loop: Header=BB266_424 Depth=1
	v_dual_lshrrev_b32 v22, 3, v23 :: v_dual_bitop2_b32 v20, 7, v8 bitop3:0x40
	s_mov_b32 s17, exec_lo
	v_cmpx_gt_u32_e32 8, v23
; %bb.716:                              ;   in Loop: Header=BB266_424 Depth=1
	s_delay_alu instid0(VALU_DEP_2) | instskip(NEXT) | instid1(VALU_DEP_1)
	v_clz_i32_u32_e32 v20, v20
	v_min_u32_e32 v20, 32, v20
	s_delay_alu instid0(VALU_DEP_1) | instskip(NEXT) | instid1(VALU_DEP_1)
	v_subrev_nc_u32_e32 v22, 28, v20
	v_lshlrev_b64_e32 v[24:25], v22, v[8:9]
	v_sub_nc_u32_e32 v22, 29, v20
	s_delay_alu instid0(VALU_DEP_2)
	v_and_b32_e32 v20, 7, v24
; %bb.717:                              ;   in Loop: Header=BB266_424 Depth=1
	s_or_b32 exec_lo, exec_lo, s17
	v_lshlrev_b32_e32 v8, 8, v8
	s_delay_alu instid0(VALU_DEP_3) | instskip(NEXT) | instid1(VALU_DEP_3)
	v_lshl_add_u32 v22, v22, 10, 0x2000
	v_lshlrev_b32_e32 v20, 23, v20
	s_delay_alu instid0(VALU_DEP_2) | instskip(NEXT) | instid1(VALU_DEP_1)
	v_and_or_b32 v8, 0x8000, v8, v22
	v_lshl_or_b32 v20, v8, 16, v20
.LBB266_718:                            ;   in Loop: Header=BB266_424 Depth=1
	s_or_b32 exec_lo, exec_lo, s16
.LBB266_719:                            ;   in Loop: Header=BB266_424 Depth=1
	s_delay_alu instid0(SALU_CYCLE_1)
	s_or_b32 exec_lo, exec_lo, s15
.LBB266_720:                            ;   in Loop: Header=BB266_424 Depth=1
	s_delay_alu instid0(SALU_CYCLE_1) | instskip(SKIP_4) | instid1(VALU_DEP_3)
	s_or_b32 exec_lo, exec_lo, s14
	v_and_b32_e32 v24, 0xff, v19
	v_dual_mov_b32 v8, v19 :: v_dual_mov_b32 v23, 0
	v_mov_b32_e32 v22, 0
	s_mov_b32 s14, exec_lo
	v_cmpx_ne_u16_e32 0, v24
	s_cbranch_execz .LBB266_728
; %bb.721:                              ;   in Loop: Header=BB266_424 Depth=1
	v_mov_b32_e32 v22, 0x8000
	s_mov_b32 s15, exec_lo
	v_cmpx_ne_u16_e32 0x80, v24
	s_cbranch_execz .LBB266_727
; %bb.722:                              ;   in Loop: Header=BB266_424 Depth=1
	v_and_b32_e32 v25, 0x7f, v19
	v_mov_b32_e32 v22, 0x7c01
	s_mov_b32 s16, exec_lo
	s_delay_alu instid0(VALU_DEP_2)
	v_cmpx_ne_u32_e32 0x7f, v25
	s_cbranch_execz .LBB266_726
; %bb.723:                              ;   in Loop: Header=BB266_424 Depth=1
	v_dual_lshrrev_b32 v24, 3, v25 :: v_dual_bitop2_b32 v22, 7, v19 bitop3:0x40
	s_mov_b32 s17, exec_lo
	v_cmpx_gt_u32_e32 8, v25
; %bb.724:                              ;   in Loop: Header=BB266_424 Depth=1
	s_delay_alu instid0(VALU_DEP_2) | instskip(NEXT) | instid1(VALU_DEP_1)
	v_clz_i32_u32_e32 v22, v22
	v_min_u32_e32 v22, 32, v22
	s_delay_alu instid0(VALU_DEP_1) | instskip(NEXT) | instid1(VALU_DEP_1)
	v_subrev_nc_u32_e32 v24, 28, v22
	v_lshlrev_b64_e32 v[56:57], v24, v[8:9]
	s_delay_alu instid0(VALU_DEP_1)
	v_dual_sub_nc_u32 v24, 29, v22 :: v_dual_bitop2_b32 v22, 7, v56 bitop3:0x40
; %bb.725:                              ;   in Loop: Header=BB266_424 Depth=1
	s_or_b32 exec_lo, exec_lo, s17
	s_delay_alu instid0(VALU_DEP_1) | instskip(NEXT) | instid1(VALU_DEP_2)
	v_dual_lshlrev_b32 v25, 8, v19 :: v_dual_lshlrev_b32 v22, 7, v22
	v_lshl_add_u32 v24, v24, 10, 0x2000
	s_delay_alu instid0(VALU_DEP_2) | instskip(NEXT) | instid1(VALU_DEP_2)
	v_and_b32_e32 v25, 0x8000, v25
	v_and_b32_e32 v24, 0xfc00, v24
	s_delay_alu instid0(VALU_DEP_1)
	v_or3_b32 v22, v25, v24, v22
.LBB266_726:                            ;   in Loop: Header=BB266_424 Depth=1
	s_or_b32 exec_lo, exec_lo, s16
.LBB266_727:                            ;   in Loop: Header=BB266_424 Depth=1
	s_delay_alu instid0(SALU_CYCLE_1)
	s_or_b32 exec_lo, exec_lo, s15
.LBB266_728:                            ;   in Loop: Header=BB266_424 Depth=1
	s_delay_alu instid0(SALU_CYCLE_1) | instskip(SKIP_3) | instid1(VALU_DEP_2)
	s_or_b32 exec_lo, exec_lo, s14
	v_lshrrev_b16 v8, 8, v8
	v_mov_b32_e32 v24, 0
	s_mov_b32 s14, exec_lo
	v_cmpx_ne_u16_e32 0, v8
	s_cbranch_execz .LBB266_736
; %bb.729:                              ;   in Loop: Header=BB266_424 Depth=1
	v_bfrev_b32_e32 v24, 1
	s_mov_b32 s15, exec_lo
	v_cmpx_ne_u16_e32 0x80, v8
	s_cbranch_execz .LBB266_735
; %bb.730:                              ;   in Loop: Header=BB266_424 Depth=1
	v_and_b32_e32 v25, 0xffff, v8
	v_mov_b32_e32 v24, 0x7c010000
	s_mov_b32 s16, exec_lo
	s_delay_alu instid0(VALU_DEP_2) | instskip(NEXT) | instid1(VALU_DEP_1)
	v_and_b32_e32 v42, 0x7f, v25
	v_cmpx_ne_u32_e32 0x7f, v42
	s_cbranch_execz .LBB266_734
; %bb.731:                              ;   in Loop: Header=BB266_424 Depth=1
	v_dual_lshrrev_b32 v41, 3, v42 :: v_dual_bitop2_b32 v24, 7, v25 bitop3:0x40
	s_mov_b32 s17, exec_lo
	v_cmpx_gt_u32_e32 8, v42
; %bb.732:                              ;   in Loop: Header=BB266_424 Depth=1
	s_delay_alu instid0(VALU_DEP_2) | instskip(NEXT) | instid1(VALU_DEP_1)
	v_clz_i32_u32_e32 v24, v24
	v_min_u32_e32 v24, 32, v24
	s_delay_alu instid0(VALU_DEP_1) | instskip(NEXT) | instid1(VALU_DEP_1)
	v_subrev_nc_u32_e32 v41, 28, v24
	v_lshlrev_b64_e32 v[56:57], v41, v[8:9]
	v_sub_nc_u32_e32 v41, 29, v24
	s_delay_alu instid0(VALU_DEP_2)
	v_and_b32_e32 v24, 7, v56
; %bb.733:                              ;   in Loop: Header=BB266_424 Depth=1
	s_or_b32 exec_lo, exec_lo, s17
	s_delay_alu instid0(VALU_DEP_1) | instskip(NEXT) | instid1(VALU_DEP_3)
	v_dual_lshlrev_b32 v8, 8, v25 :: v_dual_lshlrev_b32 v24, 23, v24
	v_lshl_add_u32 v25, v41, 10, 0x2000
	s_delay_alu instid0(VALU_DEP_1) | instskip(NEXT) | instid1(VALU_DEP_1)
	v_and_or_b32 v8, 0x8000, v8, v25
	v_lshl_or_b32 v24, v8, 16, v24
.LBB266_734:                            ;   in Loop: Header=BB266_424 Depth=1
	s_or_b32 exec_lo, exec_lo, s16
.LBB266_735:                            ;   in Loop: Header=BB266_424 Depth=1
	s_delay_alu instid0(SALU_CYCLE_1)
	s_or_b32 exec_lo, exec_lo, s15
.LBB266_736:                            ;   in Loop: Header=BB266_424 Depth=1
	s_delay_alu instid0(SALU_CYCLE_1) | instskip(SKIP_2) | instid1(VALU_DEP_1)
	s_or_b32 exec_lo, exec_lo, s14
	v_lshrrev_b32_e32 v8, 16, v19
	s_mov_b32 s14, exec_lo
	v_and_b32_e32 v25, 0xff, v8
	s_delay_alu instid0(VALU_DEP_1)
	v_cmpx_ne_u16_e32 0, v25
	s_cbranch_execz .LBB266_744
; %bb.737:                              ;   in Loop: Header=BB266_424 Depth=1
	v_mov_b32_e32 v23, 0x8000
	s_mov_b32 s15, exec_lo
	v_cmpx_ne_u16_e32 0x80, v25
	s_cbranch_execz .LBB266_743
; %bb.738:                              ;   in Loop: Header=BB266_424 Depth=1
	v_bfe_u32 v41, v19, 16, 7
	v_mov_b32_e32 v23, 0x7c01
	s_mov_b32 s16, exec_lo
	s_delay_alu instid0(VALU_DEP_2)
	v_cmpx_ne_u32_e32 0x7f, v41
	s_cbranch_execz .LBB266_742
; %bb.739:                              ;   in Loop: Header=BB266_424 Depth=1
	v_dual_lshrrev_b32 v25, 3, v41 :: v_dual_bitop2_b32 v23, 7, v8 bitop3:0x40
	s_mov_b32 s17, exec_lo
	v_cmpx_gt_u32_e32 8, v41
; %bb.740:                              ;   in Loop: Header=BB266_424 Depth=1
	s_delay_alu instid0(VALU_DEP_2) | instskip(NEXT) | instid1(VALU_DEP_1)
	v_clz_i32_u32_e32 v23, v23
	v_min_u32_e32 v23, 32, v23
	s_delay_alu instid0(VALU_DEP_1) | instskip(NEXT) | instid1(VALU_DEP_1)
	v_subrev_nc_u32_e32 v25, 28, v23
	v_lshlrev_b64_e32 v[56:57], v25, v[8:9]
	s_delay_alu instid0(VALU_DEP_1)
	v_dual_sub_nc_u32 v25, 29, v23 :: v_dual_bitop2_b32 v23, 7, v56 bitop3:0x40
; %bb.741:                              ;   in Loop: Header=BB266_424 Depth=1
	s_or_b32 exec_lo, exec_lo, s17
	s_delay_alu instid0(VALU_DEP_1) | instskip(NEXT) | instid1(VALU_DEP_2)
	v_dual_lshlrev_b32 v8, 8, v8 :: v_dual_lshlrev_b32 v23, 7, v23
	v_lshl_add_u32 v25, v25, 10, 0x2000
	s_delay_alu instid0(VALU_DEP_2) | instskip(NEXT) | instid1(VALU_DEP_2)
	v_and_b32_e32 v8, 0x8000, v8
	v_and_b32_e32 v25, 0xfc00, v25
	s_delay_alu instid0(VALU_DEP_1)
	v_or3_b32 v23, v8, v25, v23
.LBB266_742:                            ;   in Loop: Header=BB266_424 Depth=1
	s_or_b32 exec_lo, exec_lo, s16
.LBB266_743:                            ;   in Loop: Header=BB266_424 Depth=1
	s_delay_alu instid0(SALU_CYCLE_1)
	s_or_b32 exec_lo, exec_lo, s15
.LBB266_744:                            ;   in Loop: Header=BB266_424 Depth=1
	s_delay_alu instid0(SALU_CYCLE_1)
	s_or_b32 exec_lo, exec_lo, s14
	v_cmp_lt_u64_e64 s0, s[2:3], v[18:19]
	v_mov_b32_e32 v18, 0
	s_and_saveexec_b32 s14, s0
	s_cbranch_execz .LBB266_752
; %bb.745:                              ;   in Loop: Header=BB266_424 Depth=1
	v_lshrrev_b32_e32 v8, 24, v19
	v_bfrev_b32_e32 v18, 1
	s_mov_b32 s15, exec_lo
	s_delay_alu instid0(VALU_DEP_2)
	v_cmpx_ne_u32_e32 0x80, v8
	s_cbranch_execz .LBB266_751
; %bb.746:                              ;   in Loop: Header=BB266_424 Depth=1
	v_and_b32_e32 v25, 0x7f, v8
	v_mov_b32_e32 v18, 0x7c010000
	s_mov_b32 s16, exec_lo
	s_delay_alu instid0(VALU_DEP_2)
	v_cmpx_ne_u32_e32 0x7f, v25
	s_cbranch_execz .LBB266_750
; %bb.747:                              ;   in Loop: Header=BB266_424 Depth=1
	v_dual_lshrrev_b32 v19, 3, v25 :: v_dual_bitop2_b32 v18, 7, v8 bitop3:0x40
	s_mov_b32 s17, exec_lo
	v_cmpx_gt_u32_e32 8, v25
; %bb.748:                              ;   in Loop: Header=BB266_424 Depth=1
	s_delay_alu instid0(VALU_DEP_2) | instskip(NEXT) | instid1(VALU_DEP_1)
	v_clz_i32_u32_e32 v18, v18
	v_min_u32_e32 v25, 32, v18
	s_delay_alu instid0(VALU_DEP_1) | instskip(NEXT) | instid1(VALU_DEP_1)
	v_subrev_nc_u32_e32 v18, 28, v25
	v_lshlrev_b64_e32 v[18:19], v18, v[8:9]
	s_delay_alu instid0(VALU_DEP_1)
	v_dual_sub_nc_u32 v19, 29, v25 :: v_dual_bitop2_b32 v18, 7, v18 bitop3:0x40
; %bb.749:                              ;   in Loop: Header=BB266_424 Depth=1
	s_or_b32 exec_lo, exec_lo, s17
	s_delay_alu instid0(VALU_DEP_1) | instskip(NEXT) | instid1(VALU_DEP_2)
	v_dual_lshlrev_b32 v8, 8, v8 :: v_dual_lshlrev_b32 v18, 23, v18
	v_lshl_add_u32 v19, v19, 10, 0x2000
	s_delay_alu instid0(VALU_DEP_1) | instskip(NEXT) | instid1(VALU_DEP_1)
	v_and_or_b32 v8, 0x8000, v8, v19
	v_lshl_or_b32 v18, v8, 16, v18
.LBB266_750:                            ;   in Loop: Header=BB266_424 Depth=1
	s_or_b32 exec_lo, exec_lo, s16
.LBB266_751:                            ;   in Loop: Header=BB266_424 Depth=1
	s_delay_alu instid0(SALU_CYCLE_1)
	s_or_b32 exec_lo, exec_lo, s15
.LBB266_752:                            ;   in Loop: Header=BB266_424 Depth=1
	s_delay_alu instid0(SALU_CYCLE_1) | instskip(SKIP_3) | instid1(VALU_DEP_3)
	s_or_b32 exec_lo, exec_lo, s14
	v_dual_lshrrev_b32 v8, 16, v1 :: v_dual_lshrrev_b32 v19, 16, v20
	v_or_b32_e32 v1, v1, v17
	v_dual_lshrrev_b32 v25, 16, v18 :: v_dual_bitop2_b32 v17, v20, v21 bitop3:0x54
	v_cvt_f32_f16_e32 v21, v8
	s_delay_alu instid0(VALU_DEP_4) | instskip(SKIP_1) | instid1(VALU_DEP_4)
	v_cvt_f32_f16_e32 v20, v19
	v_dual_lshrrev_b32 v23, 16, v24 :: v_dual_bitop2_b32 v8, v18, v23 bitop3:0x54
	v_cvt_f32_f16_e32 v18, v17
	v_cvt_f32_f16_e32 v19, v1
	s_wait_loadcnt 0x0
	v_pk_mul_f32 v[20:21], v[16:17], v[20:21] op_sel_hi:[0,1]
	v_or_b32_e32 v17, v24, v22
	v_cvt_f32_f16_e32 v23, v23
	v_cvt_f32_f16_e32 v22, v25
	;; [unrolled: 1-line block ×3, first 2 shown]
	v_cvt_pk_f16_f32 v1, v20, v21
	v_cvt_f32_f16_e32 v25, v17
	v_pk_mul_f32 v[18:19], v[16:17], v[18:19] op_sel_hi:[0,1]
	v_pk_mul_f32 v[20:21], v[16:17], v[22:23] op_sel_hi:[0,1]
	s_delay_alu instid0(VALU_DEP_3) | instskip(NEXT) | instid1(VALU_DEP_3)
	v_pk_mul_f32 v[16:17], v[16:17], v[24:25] op_sel_hi:[0,1]
	v_cvt_pk_f16_f32 v8, v18, v19
	v_and_b32_e32 v19, 0xffff0000, v1
	s_delay_alu instid0(VALU_DEP_4)
	v_cvt_pk_f16_f32 v20, v20, v21
	v_lshlrev_b32_e32 v18, 16, v1
	v_cvt_pk_f16_f32 v16, v16, v17
	v_lshrrev_b32_e32 v25, 16, v8
	v_and_b32_e32 v24, 0xffff, v8
	v_and_b32_e32 v1, 0xffff0000, v20
	s_delay_alu instid0(VALU_DEP_3) | instskip(SKIP_3) | instid1(VALU_DEP_2)
	v_dual_lshlrev_b32 v8, 16, v20 :: v_dual_bitop2_b32 v23, v19, v25 bitop3:0x54
	v_lshrrev_b32_e32 v17, 16, v16
	v_and_b32_e32 v16, 0xffff, v16
	v_or_b32_e32 v22, v18, v24
	v_or_b32_e32 v20, v8, v16
	s_delay_alu instid0(VALU_DEP_4)
	v_or_b32_e32 v21, v1, v17
	s_and_saveexec_b32 s14, vcc_lo
	s_cbranch_execz .LBB266_754
; %bb.753:                              ;   in Loop: Header=BB266_424 Depth=1
	v_cmp_gt_i32_e64 s0, s9, v31
	s_delay_alu instid0(VALU_DEP_1) | instskip(SKIP_1) | instid1(VALU_DEP_1)
	v_cndmask_b32_e64 v20, 0, v25, s0
	v_cmp_gt_i32_e64 s0, s23, v40
	v_cndmask_b32_e64 v21, 0, v24, s0
	v_cmp_gt_i32_e64 s0, s9, v39
	s_delay_alu instid0(VALU_DEP_1) | instskip(SKIP_1) | instid1(VALU_DEP_1)
	v_cndmask_b32_e64 v19, 0, v19, s0
	v_cmp_gt_i32_e64 s0, s23, v38
	v_cndmask_b32_e64 v18, 0, v18, s0
	v_cmp_gt_i32_e64 s0, s9, v37
	s_delay_alu instid0(VALU_DEP_4) | instskip(NEXT) | instid1(VALU_DEP_3)
	v_or_b32_e32 v23, v19, v20
	v_or_b32_e32 v22, v18, v21
	s_delay_alu instid0(VALU_DEP_3) | instskip(SKIP_1) | instid1(VALU_DEP_1)
	v_cndmask_b32_e64 v17, 0, v17, s0
	v_cmp_gt_i32_e64 s0, s23, v36
	v_cndmask_b32_e64 v16, 0, v16, s0
	v_cmp_gt_i32_e64 s0, s9, v35
	s_delay_alu instid0(VALU_DEP_1) | instskip(SKIP_1) | instid1(VALU_DEP_1)
	v_cndmask_b32_e64 v1, 0, v1, s0
	v_cmp_gt_i32_e64 s0, s23, v34
	v_dual_cndmask_b32 v8, 0, v8, s0 :: v_dual_bitop2_b32 v21, v1, v17 bitop3:0x54
	s_delay_alu instid0(VALU_DEP_1)
	v_or_b32_e32 v20, v8, v16
.LBB266_754:                            ;   in Loop: Header=BB266_424 Depth=1
	s_or_b32 exec_lo, exec_lo, s14
	;;#ASMSTART
	v_pk_mul_f16 v1, v46, v23;

	;;#ASMEND
	;;#ASMSTART
	v_pk_mul_f16 v8, v45, v22;

	;;#ASMEND
	;; [unrolled: 4-line block ×4, first 2 shown]
	;;#ASMSTART
	v_pk_add_f16 v1, v1, v8;

	;;#ASMEND
	;;#ASMSTART
	v_pk_add_f16 v1, v1, v16;

	;;#ASMEND
	;; [unrolled: 4-line block ×3, first 2 shown]
	v_and_b32_e32 v8, 0xffff, v1
	v_lshrrev_b32_e32 v1, 16, v1
	;;#ASMSTART
	v_cvt_f32_f16 v41, v8;
	;;#ASMEND
	;;#ASMSTART
	v_cvt_f32_f16 v42, v1;
	;;#ASMEND
	global_load_b64 v[16:17], v[14:15], off offset:1280
	s_wait_xcnt 0x0
	v_dual_mov_b32 v1, 0 :: v_dual_mov_b32 v15, 0
	s_mov_b32 s14, exec_lo
	global_load_b32 v14, v1, s[10:11]
	s_wait_loadcnt 0x1
	v_and_b32_e32 v8, 0xff, v16
	s_wait_xcnt 0x0
	s_delay_alu instid0(VALU_DEP_1)
	v_cmpx_ne_u16_e32 0, v8
	s_cbranch_execz .LBB266_762
; %bb.755:                              ;   in Loop: Header=BB266_424 Depth=1
	v_mov_b32_e32 v15, 0x8000
	s_mov_b32 s15, exec_lo
	v_cmpx_ne_u16_e32 0x80, v8
	s_cbranch_execz .LBB266_761
; %bb.756:                              ;   in Loop: Header=BB266_424 Depth=1
	v_and_b32_e32 v18, 0x7f, v16
	v_mov_b32_e32 v15, 0x7c01
	s_mov_b32 s16, exec_lo
	s_delay_alu instid0(VALU_DEP_2)
	v_cmpx_ne_u32_e32 0x7f, v18
	s_cbranch_execz .LBB266_760
; %bb.757:                              ;   in Loop: Header=BB266_424 Depth=1
	v_dual_lshrrev_b32 v15, 3, v18 :: v_dual_bitop2_b32 v8, 7, v16 bitop3:0x40
	s_mov_b32 s17, exec_lo
	v_cmpx_gt_u32_e32 8, v18
; %bb.758:                              ;   in Loop: Header=BB266_424 Depth=1
	s_delay_alu instid0(VALU_DEP_2) | instskip(NEXT) | instid1(VALU_DEP_1)
	v_clz_i32_u32_e32 v8, v8
	v_min_u32_e32 v8, 32, v8
	s_delay_alu instid0(VALU_DEP_1) | instskip(NEXT) | instid1(VALU_DEP_1)
	v_subrev_nc_u32_e32 v15, 28, v8
	v_lshlrev_b64_e32 v[18:19], v15, v[16:17]
	s_delay_alu instid0(VALU_DEP_1)
	v_dual_sub_nc_u32 v15, 29, v8 :: v_dual_bitop2_b32 v8, 7, v18 bitop3:0x40
; %bb.759:                              ;   in Loop: Header=BB266_424 Depth=1
	s_or_b32 exec_lo, exec_lo, s17
	v_lshlrev_b32_e32 v18, 8, v16
	s_delay_alu instid0(VALU_DEP_2) | instskip(NEXT) | instid1(VALU_DEP_3)
	v_lshl_add_u32 v15, v15, 10, 0x2000
	v_lshlrev_b32_e32 v8, 7, v8
	s_delay_alu instid0(VALU_DEP_3) | instskip(NEXT) | instid1(VALU_DEP_3)
	v_and_b32_e32 v18, 0x8000, v18
	v_and_b32_e32 v15, 0xfc00, v15
	s_delay_alu instid0(VALU_DEP_1)
	v_or3_b32 v15, v18, v15, v8
.LBB266_760:                            ;   in Loop: Header=BB266_424 Depth=1
	s_or_b32 exec_lo, exec_lo, s16
.LBB266_761:                            ;   in Loop: Header=BB266_424 Depth=1
	s_delay_alu instid0(SALU_CYCLE_1)
	s_or_b32 exec_lo, exec_lo, s15
.LBB266_762:                            ;   in Loop: Header=BB266_424 Depth=1
	s_delay_alu instid0(SALU_CYCLE_1) | instskip(SKIP_2) | instid1(VALU_DEP_1)
	s_or_b32 exec_lo, exec_lo, s14
	v_lshrrev_b16 v8, 8, v16
	s_mov_b32 s14, exec_lo
	v_cmpx_ne_u16_e32 0, v8
	s_cbranch_execz .LBB266_770
; %bb.763:                              ;   in Loop: Header=BB266_424 Depth=1
	v_bfrev_b32_e32 v1, 1
	s_mov_b32 s15, exec_lo
	v_cmpx_ne_u16_e32 0x80, v8
	s_cbranch_execz .LBB266_769
; %bb.764:                              ;   in Loop: Header=BB266_424 Depth=1
	v_and_b32_e32 v18, 0xffff, v8
	v_mov_b32_e32 v1, 0x7c010000
	s_mov_b32 s16, exec_lo
	s_delay_alu instid0(VALU_DEP_2) | instskip(NEXT) | instid1(VALU_DEP_1)
	v_and_b32_e32 v20, 0x7f, v18
	v_cmpx_ne_u32_e32 0x7f, v20
	s_cbranch_execz .LBB266_768
; %bb.765:                              ;   in Loop: Header=BB266_424 Depth=1
	v_dual_lshrrev_b32 v19, 3, v20 :: v_dual_bitop2_b32 v1, 7, v18 bitop3:0x40
	s_mov_b32 s17, exec_lo
	v_cmpx_gt_u32_e32 8, v20
; %bb.766:                              ;   in Loop: Header=BB266_424 Depth=1
	s_delay_alu instid0(VALU_DEP_2) | instskip(NEXT) | instid1(VALU_DEP_1)
	v_clz_i32_u32_e32 v1, v1
	v_min_u32_e32 v1, 32, v1
	s_delay_alu instid0(VALU_DEP_1) | instskip(NEXT) | instid1(VALU_DEP_1)
	v_subrev_nc_u32_e32 v19, 28, v1
	v_lshlrev_b64_e32 v[20:21], v19, v[8:9]
	s_delay_alu instid0(VALU_DEP_1)
	v_dual_sub_nc_u32 v19, 29, v1 :: v_dual_bitop2_b32 v1, 7, v20 bitop3:0x40
; %bb.767:                              ;   in Loop: Header=BB266_424 Depth=1
	s_or_b32 exec_lo, exec_lo, s17
	s_delay_alu instid0(VALU_DEP_1) | instskip(NEXT) | instid1(VALU_DEP_2)
	v_dual_lshlrev_b32 v8, 8, v18 :: v_dual_lshlrev_b32 v1, 23, v1
	v_lshl_add_u32 v18, v19, 10, 0x2000
	s_delay_alu instid0(VALU_DEP_1) | instskip(NEXT) | instid1(VALU_DEP_1)
	v_and_or_b32 v8, 0x8000, v8, v18
	v_lshl_or_b32 v1, v8, 16, v1
.LBB266_768:                            ;   in Loop: Header=BB266_424 Depth=1
	s_or_b32 exec_lo, exec_lo, s16
.LBB266_769:                            ;   in Loop: Header=BB266_424 Depth=1
	s_delay_alu instid0(SALU_CYCLE_1)
	s_or_b32 exec_lo, exec_lo, s15
.LBB266_770:                            ;   in Loop: Header=BB266_424 Depth=1
	s_delay_alu instid0(SALU_CYCLE_1) | instskip(SKIP_3) | instid1(VALU_DEP_2)
	s_or_b32 exec_lo, exec_lo, s14
	v_dual_lshrrev_b32 v8, 16, v16 :: v_dual_mov_b32 v18, 0
	v_mov_b32_e32 v19, 0
	s_mov_b32 s14, exec_lo
	v_and_b32_e32 v20, 0xff, v8
	s_delay_alu instid0(VALU_DEP_1)
	v_cmpx_ne_u16_e32 0, v20
	s_cbranch_execz .LBB266_778
; %bb.771:                              ;   in Loop: Header=BB266_424 Depth=1
	v_mov_b32_e32 v19, 0x8000
	s_mov_b32 s15, exec_lo
	v_cmpx_ne_u16_e32 0x80, v20
	s_cbranch_execz .LBB266_777
; %bb.772:                              ;   in Loop: Header=BB266_424 Depth=1
	v_bfe_u32 v21, v16, 16, 7
	v_mov_b32_e32 v19, 0x7c01
	s_mov_b32 s16, exec_lo
	s_delay_alu instid0(VALU_DEP_2)
	v_cmpx_ne_u32_e32 0x7f, v21
	s_cbranch_execz .LBB266_776
; %bb.773:                              ;   in Loop: Header=BB266_424 Depth=1
	v_dual_lshrrev_b32 v20, 3, v21 :: v_dual_bitop2_b32 v19, 7, v8 bitop3:0x40
	s_mov_b32 s17, exec_lo
	v_cmpx_gt_u32_e32 8, v21
; %bb.774:                              ;   in Loop: Header=BB266_424 Depth=1
	s_delay_alu instid0(VALU_DEP_2) | instskip(NEXT) | instid1(VALU_DEP_1)
	v_clz_i32_u32_e32 v19, v19
	v_min_u32_e32 v19, 32, v19
	s_delay_alu instid0(VALU_DEP_1) | instskip(NEXT) | instid1(VALU_DEP_1)
	v_subrev_nc_u32_e32 v20, 28, v19
	v_lshlrev_b64_e32 v[22:23], v20, v[8:9]
	s_delay_alu instid0(VALU_DEP_1)
	v_dual_sub_nc_u32 v20, 29, v19 :: v_dual_bitop2_b32 v19, 7, v22 bitop3:0x40
; %bb.775:                              ;   in Loop: Header=BB266_424 Depth=1
	s_or_b32 exec_lo, exec_lo, s17
	s_delay_alu instid0(VALU_DEP_1) | instskip(NEXT) | instid1(VALU_DEP_2)
	v_dual_lshlrev_b32 v8, 8, v8 :: v_dual_lshlrev_b32 v19, 7, v19
	v_lshl_add_u32 v20, v20, 10, 0x2000
	s_delay_alu instid0(VALU_DEP_2) | instskip(NEXT) | instid1(VALU_DEP_2)
	v_and_b32_e32 v8, 0x8000, v8
	v_and_b32_e32 v20, 0xfc00, v20
	s_delay_alu instid0(VALU_DEP_1)
	v_or3_b32 v19, v8, v20, v19
.LBB266_776:                            ;   in Loop: Header=BB266_424 Depth=1
	s_or_b32 exec_lo, exec_lo, s16
.LBB266_777:                            ;   in Loop: Header=BB266_424 Depth=1
	s_delay_alu instid0(SALU_CYCLE_1)
	s_or_b32 exec_lo, exec_lo, s15
.LBB266_778:                            ;   in Loop: Header=BB266_424 Depth=1
	s_delay_alu instid0(SALU_CYCLE_1) | instskip(NEXT) | instid1(SALU_CYCLE_1)
	s_or_b32 exec_lo, exec_lo, s14
	s_mov_b32 s14, exec_lo
	v_cmpx_lt_u32_e32 0xffffff, v16
	s_cbranch_execz .LBB266_786
; %bb.779:                              ;   in Loop: Header=BB266_424 Depth=1
	v_lshrrev_b32_e32 v8, 24, v16
	v_bfrev_b32_e32 v18, 1
	s_mov_b32 s15, exec_lo
	s_delay_alu instid0(VALU_DEP_2)
	v_cmpx_ne_u32_e32 0x80, v8
	s_cbranch_execz .LBB266_785
; %bb.780:                              ;   in Loop: Header=BB266_424 Depth=1
	v_and_b32_e32 v21, 0x7f, v8
	v_mov_b32_e32 v18, 0x7c010000
	s_mov_b32 s16, exec_lo
	s_delay_alu instid0(VALU_DEP_2)
	v_cmpx_ne_u32_e32 0x7f, v21
	s_cbranch_execz .LBB266_784
; %bb.781:                              ;   in Loop: Header=BB266_424 Depth=1
	v_dual_lshrrev_b32 v20, 3, v21 :: v_dual_bitop2_b32 v18, 7, v8 bitop3:0x40
	s_mov_b32 s17, exec_lo
	v_cmpx_gt_u32_e32 8, v21
; %bb.782:                              ;   in Loop: Header=BB266_424 Depth=1
	s_delay_alu instid0(VALU_DEP_2) | instskip(NEXT) | instid1(VALU_DEP_1)
	v_clz_i32_u32_e32 v18, v18
	v_min_u32_e32 v18, 32, v18
	s_delay_alu instid0(VALU_DEP_1) | instskip(NEXT) | instid1(VALU_DEP_1)
	v_subrev_nc_u32_e32 v20, 28, v18
	v_lshlrev_b64_e32 v[22:23], v20, v[8:9]
	v_sub_nc_u32_e32 v20, 29, v18
	s_delay_alu instid0(VALU_DEP_2)
	v_and_b32_e32 v18, 7, v22
; %bb.783:                              ;   in Loop: Header=BB266_424 Depth=1
	s_or_b32 exec_lo, exec_lo, s17
	s_delay_alu instid0(VALU_DEP_1) | instskip(NEXT) | instid1(VALU_DEP_3)
	v_dual_lshlrev_b32 v8, 8, v8 :: v_dual_lshlrev_b32 v18, 23, v18
	v_lshl_add_u32 v20, v20, 10, 0x2000
	s_delay_alu instid0(VALU_DEP_1) | instskip(NEXT) | instid1(VALU_DEP_1)
	v_and_or_b32 v8, 0x8000, v8, v20
	v_lshl_or_b32 v18, v8, 16, v18
.LBB266_784:                            ;   in Loop: Header=BB266_424 Depth=1
	s_or_b32 exec_lo, exec_lo, s16
.LBB266_785:                            ;   in Loop: Header=BB266_424 Depth=1
	s_delay_alu instid0(SALU_CYCLE_1)
	s_or_b32 exec_lo, exec_lo, s15
.LBB266_786:                            ;   in Loop: Header=BB266_424 Depth=1
	s_delay_alu instid0(SALU_CYCLE_1) | instskip(SKIP_4) | instid1(VALU_DEP_3)
	s_or_b32 exec_lo, exec_lo, s14
	v_and_b32_e32 v22, 0xff, v17
	v_dual_mov_b32 v8, v17 :: v_dual_mov_b32 v21, 0
	v_mov_b32_e32 v20, 0
	s_mov_b32 s14, exec_lo
	v_cmpx_ne_u16_e32 0, v22
	s_cbranch_execz .LBB266_794
; %bb.787:                              ;   in Loop: Header=BB266_424 Depth=1
	v_mov_b32_e32 v20, 0x8000
	s_mov_b32 s15, exec_lo
	v_cmpx_ne_u16_e32 0x80, v22
	s_cbranch_execz .LBB266_793
; %bb.788:                              ;   in Loop: Header=BB266_424 Depth=1
	v_and_b32_e32 v23, 0x7f, v17
	v_mov_b32_e32 v20, 0x7c01
	s_mov_b32 s16, exec_lo
	s_delay_alu instid0(VALU_DEP_2)
	v_cmpx_ne_u32_e32 0x7f, v23
	s_cbranch_execz .LBB266_792
; %bb.789:                              ;   in Loop: Header=BB266_424 Depth=1
	v_dual_lshrrev_b32 v22, 3, v23 :: v_dual_bitop2_b32 v20, 7, v17 bitop3:0x40
	s_mov_b32 s17, exec_lo
	v_cmpx_gt_u32_e32 8, v23
; %bb.790:                              ;   in Loop: Header=BB266_424 Depth=1
	s_delay_alu instid0(VALU_DEP_2) | instskip(NEXT) | instid1(VALU_DEP_1)
	v_clz_i32_u32_e32 v20, v20
	v_min_u32_e32 v20, 32, v20
	s_delay_alu instid0(VALU_DEP_1) | instskip(NEXT) | instid1(VALU_DEP_1)
	v_subrev_nc_u32_e32 v22, 28, v20
	v_lshlrev_b64_e32 v[24:25], v22, v[8:9]
	v_sub_nc_u32_e32 v22, 29, v20
	s_delay_alu instid0(VALU_DEP_2)
	v_and_b32_e32 v20, 7, v24
; %bb.791:                              ;   in Loop: Header=BB266_424 Depth=1
	s_or_b32 exec_lo, exec_lo, s17
	s_delay_alu instid0(VALU_DEP_1) | instskip(NEXT) | instid1(VALU_DEP_3)
	v_dual_lshlrev_b32 v23, 8, v17 :: v_dual_lshlrev_b32 v20, 7, v20
	v_lshl_add_u32 v22, v22, 10, 0x2000
	s_delay_alu instid0(VALU_DEP_2) | instskip(NEXT) | instid1(VALU_DEP_2)
	v_and_b32_e32 v23, 0x8000, v23
	v_and_b32_e32 v22, 0xfc00, v22
	s_delay_alu instid0(VALU_DEP_1)
	v_or3_b32 v20, v23, v22, v20
.LBB266_792:                            ;   in Loop: Header=BB266_424 Depth=1
	s_or_b32 exec_lo, exec_lo, s16
.LBB266_793:                            ;   in Loop: Header=BB266_424 Depth=1
	s_delay_alu instid0(SALU_CYCLE_1)
	s_or_b32 exec_lo, exec_lo, s15
.LBB266_794:                            ;   in Loop: Header=BB266_424 Depth=1
	s_delay_alu instid0(SALU_CYCLE_1) | instskip(SKIP_3) | instid1(VALU_DEP_2)
	s_or_b32 exec_lo, exec_lo, s14
	v_lshrrev_b16 v8, 8, v8
	v_mov_b32_e32 v22, 0
	s_mov_b32 s14, exec_lo
	v_cmpx_ne_u16_e32 0, v8
	s_cbranch_execz .LBB266_802
; %bb.795:                              ;   in Loop: Header=BB266_424 Depth=1
	v_bfrev_b32_e32 v22, 1
	s_mov_b32 s15, exec_lo
	v_cmpx_ne_u16_e32 0x80, v8
	s_cbranch_execz .LBB266_801
; %bb.796:                              ;   in Loop: Header=BB266_424 Depth=1
	v_and_b32_e32 v23, 0xffff, v8
	v_mov_b32_e32 v22, 0x7c010000
	s_mov_b32 s16, exec_lo
	s_delay_alu instid0(VALU_DEP_2) | instskip(NEXT) | instid1(VALU_DEP_1)
	v_and_b32_e32 v25, 0x7f, v23
	v_cmpx_ne_u32_e32 0x7f, v25
	s_cbranch_execz .LBB266_800
; %bb.797:                              ;   in Loop: Header=BB266_424 Depth=1
	v_dual_lshrrev_b32 v24, 3, v25 :: v_dual_bitop2_b32 v22, 7, v23 bitop3:0x40
	s_mov_b32 s17, exec_lo
	v_cmpx_gt_u32_e32 8, v25
; %bb.798:                              ;   in Loop: Header=BB266_424 Depth=1
	s_delay_alu instid0(VALU_DEP_2) | instskip(NEXT) | instid1(VALU_DEP_1)
	v_clz_i32_u32_e32 v22, v22
	v_min_u32_e32 v22, 32, v22
	s_delay_alu instid0(VALU_DEP_1) | instskip(NEXT) | instid1(VALU_DEP_1)
	v_subrev_nc_u32_e32 v24, 28, v22
	v_lshlrev_b64_e32 v[56:57], v24, v[8:9]
	s_delay_alu instid0(VALU_DEP_1)
	v_dual_sub_nc_u32 v24, 29, v22 :: v_dual_bitop2_b32 v22, 7, v56 bitop3:0x40
; %bb.799:                              ;   in Loop: Header=BB266_424 Depth=1
	s_or_b32 exec_lo, exec_lo, s17
	s_delay_alu instid0(VALU_DEP_1) | instskip(NEXT) | instid1(VALU_DEP_2)
	v_dual_lshlrev_b32 v8, 8, v23 :: v_dual_lshlrev_b32 v22, 23, v22
	v_lshl_add_u32 v23, v24, 10, 0x2000
	s_delay_alu instid0(VALU_DEP_1) | instskip(NEXT) | instid1(VALU_DEP_1)
	v_and_or_b32 v8, 0x8000, v8, v23
	v_lshl_or_b32 v22, v8, 16, v22
.LBB266_800:                            ;   in Loop: Header=BB266_424 Depth=1
	s_or_b32 exec_lo, exec_lo, s16
.LBB266_801:                            ;   in Loop: Header=BB266_424 Depth=1
	s_delay_alu instid0(SALU_CYCLE_1)
	s_or_b32 exec_lo, exec_lo, s15
.LBB266_802:                            ;   in Loop: Header=BB266_424 Depth=1
	s_delay_alu instid0(SALU_CYCLE_1) | instskip(SKIP_2) | instid1(VALU_DEP_1)
	s_or_b32 exec_lo, exec_lo, s14
	v_lshrrev_b32_e32 v8, 16, v17
	s_mov_b32 s14, exec_lo
	v_and_b32_e32 v23, 0xff, v8
	s_delay_alu instid0(VALU_DEP_1)
	v_cmpx_ne_u16_e32 0, v23
	s_cbranch_execz .LBB266_810
; %bb.803:                              ;   in Loop: Header=BB266_424 Depth=1
	v_mov_b32_e32 v21, 0x8000
	s_mov_b32 s15, exec_lo
	v_cmpx_ne_u16_e32 0x80, v23
	s_cbranch_execz .LBB266_809
; %bb.804:                              ;   in Loop: Header=BB266_424 Depth=1
	v_bfe_u32 v24, v17, 16, 7
	v_mov_b32_e32 v21, 0x7c01
	s_mov_b32 s16, exec_lo
	s_delay_alu instid0(VALU_DEP_2)
	v_cmpx_ne_u32_e32 0x7f, v24
	s_cbranch_execz .LBB266_808
; %bb.805:                              ;   in Loop: Header=BB266_424 Depth=1
	v_and_b32_e32 v21, 7, v8
	v_lshrrev_b32_e32 v23, 3, v24
	s_mov_b32 s17, exec_lo
	v_cmpx_gt_u32_e32 8, v24
; %bb.806:                              ;   in Loop: Header=BB266_424 Depth=1
	s_delay_alu instid0(VALU_DEP_3) | instskip(NEXT) | instid1(VALU_DEP_1)
	v_clz_i32_u32_e32 v21, v21
	v_min_u32_e32 v21, 32, v21
	s_delay_alu instid0(VALU_DEP_1) | instskip(NEXT) | instid1(VALU_DEP_1)
	v_subrev_nc_u32_e32 v23, 28, v21
	v_lshlrev_b64_e32 v[24:25], v23, v[8:9]
	s_delay_alu instid0(VALU_DEP_1)
	v_dual_sub_nc_u32 v23, 29, v21 :: v_dual_bitop2_b32 v21, 7, v24 bitop3:0x40
; %bb.807:                              ;   in Loop: Header=BB266_424 Depth=1
	s_or_b32 exec_lo, exec_lo, s17
	s_delay_alu instid0(VALU_DEP_1) | instskip(NEXT) | instid1(VALU_DEP_2)
	v_dual_lshlrev_b32 v8, 8, v8 :: v_dual_lshlrev_b32 v21, 7, v21
	v_lshl_add_u32 v23, v23, 10, 0x2000
	s_delay_alu instid0(VALU_DEP_2) | instskip(NEXT) | instid1(VALU_DEP_2)
	v_and_b32_e32 v8, 0x8000, v8
	v_and_b32_e32 v23, 0xfc00, v23
	s_delay_alu instid0(VALU_DEP_1)
	v_or3_b32 v21, v8, v23, v21
.LBB266_808:                            ;   in Loop: Header=BB266_424 Depth=1
	s_or_b32 exec_lo, exec_lo, s16
.LBB266_809:                            ;   in Loop: Header=BB266_424 Depth=1
	s_delay_alu instid0(SALU_CYCLE_1)
	s_or_b32 exec_lo, exec_lo, s15
.LBB266_810:                            ;   in Loop: Header=BB266_424 Depth=1
	s_delay_alu instid0(SALU_CYCLE_1)
	s_or_b32 exec_lo, exec_lo, s14
	v_cmp_lt_u64_e64 s0, s[2:3], v[16:17]
	v_mov_b32_e32 v16, 0
	s_and_saveexec_b32 s14, s0
	s_cbranch_execz .LBB266_818
; %bb.811:                              ;   in Loop: Header=BB266_424 Depth=1
	v_lshrrev_b32_e32 v8, 24, v17
	v_bfrev_b32_e32 v16, 1
	s_mov_b32 s15, exec_lo
	s_delay_alu instid0(VALU_DEP_2)
	v_cmpx_ne_u32_e32 0x80, v8
	s_cbranch_execz .LBB266_817
; %bb.812:                              ;   in Loop: Header=BB266_424 Depth=1
	v_and_b32_e32 v23, 0x7f, v8
	v_mov_b32_e32 v16, 0x7c010000
	s_mov_b32 s16, exec_lo
	s_delay_alu instid0(VALU_DEP_2)
	v_cmpx_ne_u32_e32 0x7f, v23
	s_cbranch_execz .LBB266_816
; %bb.813:                              ;   in Loop: Header=BB266_424 Depth=1
	v_dual_lshrrev_b32 v17, 3, v23 :: v_dual_bitop2_b32 v16, 7, v8 bitop3:0x40
	s_mov_b32 s17, exec_lo
	v_cmpx_gt_u32_e32 8, v23
; %bb.814:                              ;   in Loop: Header=BB266_424 Depth=1
	s_delay_alu instid0(VALU_DEP_2) | instskip(NEXT) | instid1(VALU_DEP_1)
	v_clz_i32_u32_e32 v16, v16
	v_min_u32_e32 v23, 32, v16
	s_delay_alu instid0(VALU_DEP_1) | instskip(NEXT) | instid1(VALU_DEP_1)
	v_subrev_nc_u32_e32 v16, 28, v23
	v_lshlrev_b64_e32 v[16:17], v16, v[8:9]
	s_delay_alu instid0(VALU_DEP_1)
	v_dual_sub_nc_u32 v17, 29, v23 :: v_dual_bitop2_b32 v16, 7, v16 bitop3:0x40
; %bb.815:                              ;   in Loop: Header=BB266_424 Depth=1
	s_or_b32 exec_lo, exec_lo, s17
	v_lshlrev_b32_e32 v8, 8, v8
	s_delay_alu instid0(VALU_DEP_2) | instskip(NEXT) | instid1(VALU_DEP_3)
	v_lshl_add_u32 v17, v17, 10, 0x2000
	v_lshlrev_b32_e32 v16, 23, v16
	s_delay_alu instid0(VALU_DEP_2) | instskip(NEXT) | instid1(VALU_DEP_1)
	v_and_or_b32 v8, 0x8000, v8, v17
	v_lshl_or_b32 v16, v8, 16, v16
.LBB266_816:                            ;   in Loop: Header=BB266_424 Depth=1
	s_or_b32 exec_lo, exec_lo, s16
.LBB266_817:                            ;   in Loop: Header=BB266_424 Depth=1
	s_delay_alu instid0(SALU_CYCLE_1)
	s_or_b32 exec_lo, exec_lo, s15
.LBB266_818:                            ;   in Loop: Header=BB266_424 Depth=1
	s_delay_alu instid0(SALU_CYCLE_1) | instskip(SKIP_3) | instid1(VALU_DEP_3)
	s_or_b32 exec_lo, exec_lo, s14
	v_dual_lshrrev_b32 v8, 16, v1 :: v_dual_lshrrev_b32 v17, 16, v18
	v_or_b32_e32 v1, v1, v15
	v_dual_lshrrev_b32 v23, 16, v16 :: v_dual_bitop2_b32 v15, v18, v19 bitop3:0x54
	v_cvt_f32_f16_e32 v19, v8
	s_delay_alu instid0(VALU_DEP_4) | instskip(SKIP_1) | instid1(VALU_DEP_4)
	v_cvt_f32_f16_e32 v18, v17
	v_dual_lshrrev_b32 v21, 16, v22 :: v_dual_bitop2_b32 v8, v16, v21 bitop3:0x54
	v_cvt_f32_f16_e32 v16, v15
	v_cvt_f32_f16_e32 v17, v1
	s_wait_loadcnt 0x0
	v_pk_mul_f32 v[18:19], v[14:15], v[18:19] op_sel_hi:[0,1]
	v_cvt_f32_f16_e32 v21, v21
	s_delay_alu instid0(VALU_DEP_2) | instskip(SKIP_3) | instid1(VALU_DEP_2)
	v_cvt_pk_f16_f32 v1, v18, v19
	v_or_b32_e32 v15, v22, v20
	v_cvt_f32_f16_e32 v20, v23
	v_cvt_f32_f16_e32 v22, v8
	v_pk_mul_f32 v[18:19], v[14:15], v[20:21] op_sel_hi:[0,1]
	v_lshlrev_b32_e32 v20, 16, v1
	v_cvt_f32_f16_e32 v23, v15
	v_pk_mul_f32 v[16:17], v[14:15], v[16:17] op_sel_hi:[0,1]
	v_and_b32_e32 v21, 0xffff0000, v1
	s_delay_alu instid0(VALU_DEP_3) | instskip(NEXT) | instid1(VALU_DEP_3)
	v_pk_mul_f32 v[14:15], v[14:15], v[22:23] op_sel_hi:[0,1]
	v_cvt_pk_f16_f32 v8, v16, v17
	v_cvt_pk_f16_f32 v16, v18, v19
	s_delay_alu instid0(VALU_DEP_3) | instskip(NEXT) | instid1(VALU_DEP_3)
	v_cvt_pk_f16_f32 v14, v14, v15
	v_and_b32_e32 v22, 0xffff, v8
	v_lshrrev_b32_e32 v23, 16, v8
	s_delay_alu instid0(VALU_DEP_4) | instskip(NEXT) | instid1(VALU_DEP_4)
	v_and_b32_e32 v1, 0xffff0000, v16
	v_dual_lshlrev_b32 v8, 16, v16 :: v_dual_lshrrev_b32 v19, 16, v14
	v_and_b32_e32 v18, 0xffff, v14
	v_or_b32_e32 v16, v20, v22
	v_or_b32_e32 v17, v21, v23
	s_delay_alu instid0(VALU_DEP_4) | instskip(NEXT) | instid1(VALU_DEP_4)
	v_or_b32_e32 v15, v1, v19
	v_or_b32_e32 v14, v8, v18
	s_and_saveexec_b32 s0, vcc_lo
	s_cbranch_execz .LBB266_423
; %bb.819:                              ;   in Loop: Header=BB266_424 Depth=1
	v_cmp_gt_i32_e32 vcc_lo, s9, v31
	v_cndmask_b32_e32 v14, 0, v23, vcc_lo
	v_cmp_gt_i32_e32 vcc_lo, s23, v40
	v_cndmask_b32_e32 v15, 0, v22, vcc_lo
	;; [unrolled: 2-line block ×4, first 2 shown]
	v_cmp_gt_i32_e32 vcc_lo, s9, v37
	s_delay_alu instid0(VALU_DEP_4) | instskip(NEXT) | instid1(VALU_DEP_3)
	v_or_b32_e32 v17, v16, v14
	v_or_b32_e32 v16, v20, v15
	v_cndmask_b32_e32 v19, 0, v19, vcc_lo
	v_cmp_gt_i32_e32 vcc_lo, s23, v36
	v_cndmask_b32_e32 v18, 0, v18, vcc_lo
	v_cmp_gt_i32_e32 vcc_lo, s9, v35
	v_cndmask_b32_e32 v1, 0, v1, vcc_lo
	v_cmp_gt_i32_e32 vcc_lo, s23, v34
	s_delay_alu instid0(VALU_DEP_2) | instskip(NEXT) | instid1(VALU_DEP_1)
	v_dual_cndmask_b32 v8, 0, v8, vcc_lo :: v_dual_bitop2_b32 v15, v1, v19 bitop3:0x54
	v_or_b32_e32 v14, v8, v18
	s_branch .LBB266_423
.LBB266_820:
	s_or_b32 exec_lo, exec_lo, s8
.LBB266_821:
	s_delay_alu instid0(SALU_CYCLE_1)
	s_or_b32 exec_lo, exec_lo, s1
	ds_bpermute_b32 v10, v30, v6
	ds_bpermute_b32 v11, v30, v7
	;; [unrolled: 1-line block ×6, first 2 shown]
	v_and_b32_e32 v14, 0x3c1, v0
	v_lshrrev_b32_e32 v1, 1, v29
	s_mov_b32 s0, exec_lo
	s_wait_dscnt 0x0
	s_barrier_signal -1
	s_barrier_wait -1
	v_pk_add_f32 v[6:7], v[6:7], v[10:11]
	v_pk_add_f32 v[4:5], v[4:5], v[12:13]
	v_cmpx_ne_u32_e32 64, v14
	s_xor_b32 s0, exec_lo, s0
	s_delay_alu instid0(SALU_CYCLE_1)
	s_or_saveexec_b32 s0, s0
	v_pk_add_f32 v[2:3], v[2:3], v[8:9]
	v_lshl_add_u32 v8, v1, 2, 0xe0
	v_mul_u32_u24_e32 v9, 0x180, v28
	s_xor_b32 exec_lo, exec_lo, s0
	s_cbranch_execz .LBB266_823
; %bb.822:
	s_delay_alu instid0(VALU_DEP_1) | instskip(NEXT) | instid1(VALU_DEP_1)
	v_add_nc_u32_e32 v10, v8, v9
	v_add_nc_u32_e32 v11, 0xfffffd00, v10
	;; [unrolled: 1-line block ×7, first 2 shown]
	ds_store_b32 v11, v6
	ds_store_b32 v12, v7
	ds_store_b32 v13, v4
	ds_store_b32 v14, v5
	ds_store_b32 v15, v2
	ds_store_b32 v10, v3
.LBB266_823:
	s_or_b32 exec_lo, exec_lo, s0
	v_lshlrev_b32_e32 v1, 2, v1
	s_mov_b32 s1, exec_lo
	v_cmp_eq_u32_e32 vcc_lo, 0, v27
	s_wait_dscnt 0x0
	s_barrier_signal -1
	v_add3_u32 v1, 0xe0, v9, v1
	s_barrier_wait -1
	v_cmpx_gt_u32_e32 64, v0
	s_cbranch_execz .LBB266_832
; %bb.824:
	s_and_saveexec_b32 s0, vcc_lo
	s_cbranch_execnz .LBB266_846
; %bb.825:
	s_or_b32 exec_lo, exec_lo, s0
	s_and_saveexec_b32 s0, vcc_lo
	s_cbranch_execnz .LBB266_847
.LBB266_826:
	s_or_b32 exec_lo, exec_lo, s0
	s_and_saveexec_b32 s0, vcc_lo
	s_cbranch_execnz .LBB266_848
.LBB266_827:
	s_or_b32 exec_lo, exec_lo, s0
	s_and_saveexec_b32 s0, vcc_lo
	s_cbranch_execnz .LBB266_849
.LBB266_828:
	s_or_b32 exec_lo, exec_lo, s0
	s_and_saveexec_b32 s0, vcc_lo
	s_cbranch_execnz .LBB266_850
.LBB266_829:
	s_or_b32 exec_lo, exec_lo, s0
	s_and_saveexec_b32 s0, vcc_lo
	s_cbranch_execz .LBB266_831
.LBB266_830:
	ds_load_b32 v9, v1 offset:320
	s_wait_dscnt 0x0
	v_add_f32_e32 v3, v3, v9
.LBB266_831:
	s_or_b32 exec_lo, exec_lo, s0
.LBB266_832:
	s_delay_alu instid0(SALU_CYCLE_1) | instskip(SKIP_4) | instid1(VALU_DEP_1)
	s_or_b32 exec_lo, exec_lo, s1
	v_and_b32_e32 v9, 0x3e1, v0
	s_mov_b32 s1, exec_lo
	s_barrier_signal -1
	s_barrier_wait -1
	v_cmpx_eq_u32_e32 32, v9
	s_cbranch_execz .LBB266_834
; %bb.833:
	ds_store_2addr_b32 v8, v6, v7 offset1:16
	ds_store_2addr_b32 v8, v4, v5 offset0:32 offset1:48
	ds_store_2addr_b32 v8, v2, v3 offset0:64 offset1:80
.LBB266_834:
	s_or_b32 exec_lo, exec_lo, s1
	s_delay_alu instid0(SALU_CYCLE_1)
	s_mov_b32 s1, exec_lo
	s_wait_dscnt 0x0
	s_barrier_signal -1
	s_barrier_wait -1
	v_cmpx_gt_u32_e32 32, v0
	s_cbranch_execz .LBB266_843
; %bb.835:
	s_and_saveexec_b32 s0, vcc_lo
	s_cbranch_execnz .LBB266_851
; %bb.836:
	s_or_b32 exec_lo, exec_lo, s0
	s_and_saveexec_b32 s0, vcc_lo
	s_cbranch_execnz .LBB266_852
.LBB266_837:
	s_or_b32 exec_lo, exec_lo, s0
	s_and_saveexec_b32 s0, vcc_lo
	s_cbranch_execnz .LBB266_853
.LBB266_838:
	s_or_b32 exec_lo, exec_lo, s0
	s_and_saveexec_b32 s0, vcc_lo
	s_cbranch_execnz .LBB266_854
.LBB266_839:
	s_or_b32 exec_lo, exec_lo, s0
	s_and_saveexec_b32 s0, vcc_lo
	s_cbranch_execnz .LBB266_855
.LBB266_840:
	s_or_b32 exec_lo, exec_lo, s0
	s_and_saveexec_b32 s0, vcc_lo
	s_cbranch_execz .LBB266_842
.LBB266_841:
	ds_load_b32 v0, v1 offset:320
	s_wait_dscnt 0x0
	v_add_f32_e32 v3, v3, v0
.LBB266_842:
	s_or_b32 exec_lo, exec_lo, s0
.LBB266_843:
	s_delay_alu instid0(SALU_CYCLE_1)
	s_or_b32 exec_lo, exec_lo, s1
	s_mov_b32 s1, 0
	s_barrier_signal -1
	s_barrier_wait -1
	s_mov_b32 s0, exec_lo
	v_cmpx_eq_u32_e32 0, v9
	s_cbranch_execz .LBB266_845
; %bb.844:
	s_mul_i32 s0, s22, s13
	s_mul_i32 s2, s13, s12
	;; [unrolled: 1-line block ×3, first 2 shown]
	s_wait_kmcnt 0x0
	s_lshr_b32 s8, ttmp7, 16
	s_mul_i32 s4, s0, 0x60
	s_bfe_u32 s0, ttmp6, 0x40014
	s_ashr_i32 s5, s4, 31
	s_add_co_i32 s0, s0, 1
	s_ashr_i32 s3, s2, 31
	s_mul_i32 s0, s8, s0
	s_bfe_u32 s9, ttmp6, 0x40008
	s_lshl_b64 s[4:5], s[4:5], 1
	s_lshl_b64 s[2:3], s[2:3], 1
	s_add_co_i32 s9, s9, s0
	s_cmp_eq_u32 s20, 0
	s_add_nc_u64 s[4:5], s[6:7], s[4:5]
	s_cselect_b32 s0, s8, s9
	s_add_nc_u64 s[2:3], s[4:5], s[2:3]
	s_mulk_i32 s0, 0xc0
	;;#ASMSTART
	v_cvt_f16_f32 v0, v6;

	;;#ASMEND
	s_add_nc_u64 s[0:1], s[2:3], s[0:1]
	global_store_b16 v26, v0, s[0:1] scale_offset
	s_wait_xcnt 0x0
	;;#ASMSTART
	v_cvt_f16_f32 v0, v7;

	;;#ASMEND
	global_store_b16 v26, v0, s[0:1] offset:32 scale_offset
	s_wait_xcnt 0x0
	;;#ASMSTART
	v_cvt_f16_f32 v0, v4;

	;;#ASMEND
	global_store_b16 v26, v0, s[0:1] offset:64 scale_offset
	;; [unrolled: 6-line block ×5, first 2 shown]
.LBB266_845:
	s_sendmsg sendmsg(MSG_DEALLOC_VGPRS)
	s_endpgm
.LBB266_846:
	ds_load_b32 v9, v1
	s_wait_dscnt 0x0
	v_add_f32_e32 v6, v6, v9
	s_or_b32 exec_lo, exec_lo, s0
	s_and_saveexec_b32 s0, vcc_lo
	s_cbranch_execz .LBB266_826
.LBB266_847:
	ds_load_b32 v9, v1 offset:64
	s_wait_dscnt 0x0
	v_add_f32_e32 v7, v7, v9
	s_or_b32 exec_lo, exec_lo, s0
	s_and_saveexec_b32 s0, vcc_lo
	s_cbranch_execz .LBB266_827
.LBB266_848:
	ds_load_b32 v9, v1 offset:128
	s_wait_dscnt 0x0
	v_add_f32_e32 v4, v4, v9
	s_or_b32 exec_lo, exec_lo, s0
	s_and_saveexec_b32 s0, vcc_lo
	s_cbranch_execz .LBB266_828
.LBB266_849:
	ds_load_b32 v9, v1 offset:192
	s_wait_dscnt 0x0
	v_add_f32_e32 v5, v5, v9
	s_or_b32 exec_lo, exec_lo, s0
	s_and_saveexec_b32 s0, vcc_lo
	s_cbranch_execz .LBB266_829
.LBB266_850:
	ds_load_b32 v9, v1 offset:256
	s_wait_dscnt 0x0
	v_add_f32_e32 v2, v2, v9
	s_or_b32 exec_lo, exec_lo, s0
	s_and_saveexec_b32 s0, vcc_lo
	s_cbranch_execnz .LBB266_830
	s_branch .LBB266_831
.LBB266_851:
	ds_load_b32 v0, v1
	s_wait_dscnt 0x0
	v_add_f32_e32 v6, v6, v0
	s_or_b32 exec_lo, exec_lo, s0
	s_and_saveexec_b32 s0, vcc_lo
	s_cbranch_execz .LBB266_837
.LBB266_852:
	ds_load_b32 v0, v1 offset:64
	s_wait_dscnt 0x0
	v_add_f32_e32 v7, v7, v0
	s_or_b32 exec_lo, exec_lo, s0
	s_and_saveexec_b32 s0, vcc_lo
	s_cbranch_execz .LBB266_838
.LBB266_853:
	ds_load_b32 v0, v1 offset:128
	s_wait_dscnt 0x0
	v_add_f32_e32 v4, v4, v0
	s_or_b32 exec_lo, exec_lo, s0
	s_and_saveexec_b32 s0, vcc_lo
	s_cbranch_execz .LBB266_839
.LBB266_854:
	ds_load_b32 v0, v1 offset:192
	s_wait_dscnt 0x0
	v_add_f32_e32 v5, v5, v0
	s_or_b32 exec_lo, exec_lo, s0
	s_and_saveexec_b32 s0, vcc_lo
	s_cbranch_execz .LBB266_840
.LBB266_855:
	ds_load_b32 v0, v1 offset:256
	s_wait_dscnt 0x0
	v_add_f32_e32 v2, v2, v0
	s_or_b32 exec_lo, exec_lo, s0
	s_and_saveexec_b32 s0, vcc_lo
	s_cbranch_execnz .LBB266_841
	s_branch .LBB266_842
	.section	.rodata,"a",@progbits
	.p2align	6, 0x0
	.amdhsa_kernel _ZN4vllm25paged_attention_v1_kernelIthLi96ELi16ELi128ELNS_18Fp8KVCacheDataTypeE1ELb0EEEvPT_PKS2_PKT0_S8_ifPKiSA_iPKfiiiSC_SC_iiiii
		.amdhsa_group_segment_fixed_size 224
		.amdhsa_private_segment_fixed_size 0
		.amdhsa_kernarg_size 384
		.amdhsa_user_sgpr_count 2
		.amdhsa_user_sgpr_dispatch_ptr 0
		.amdhsa_user_sgpr_queue_ptr 0
		.amdhsa_user_sgpr_kernarg_segment_ptr 1
		.amdhsa_user_sgpr_dispatch_id 0
		.amdhsa_user_sgpr_kernarg_preload_length 0
		.amdhsa_user_sgpr_kernarg_preload_offset 0
		.amdhsa_user_sgpr_private_segment_size 0
		.amdhsa_wavefront_size32 1
		.amdhsa_uses_dynamic_stack 0
		.amdhsa_enable_private_segment 0
		.amdhsa_system_sgpr_workgroup_id_x 1
		.amdhsa_system_sgpr_workgroup_id_y 1
		.amdhsa_system_sgpr_workgroup_id_z 1
		.amdhsa_system_sgpr_workgroup_info 0
		.amdhsa_system_vgpr_workitem_id 0
		.amdhsa_next_free_vgpr 108
		.amdhsa_next_free_sgpr 32
		.amdhsa_named_barrier_count 0
		.amdhsa_reserve_vcc 1
		.amdhsa_float_round_mode_32 0
		.amdhsa_float_round_mode_16_64 0
		.amdhsa_float_denorm_mode_32 3
		.amdhsa_float_denorm_mode_16_64 3
		.amdhsa_fp16_overflow 0
		.amdhsa_memory_ordered 1
		.amdhsa_forward_progress 1
		.amdhsa_inst_pref_size 237
		.amdhsa_round_robin_scheduling 0
		.amdhsa_exception_fp_ieee_invalid_op 0
		.amdhsa_exception_fp_denorm_src 0
		.amdhsa_exception_fp_ieee_div_zero 0
		.amdhsa_exception_fp_ieee_overflow 0
		.amdhsa_exception_fp_ieee_underflow 0
		.amdhsa_exception_fp_ieee_inexact 0
		.amdhsa_exception_int_div_zero 0
	.end_amdhsa_kernel
	.section	.text._ZN4vllm25paged_attention_v1_kernelIthLi96ELi16ELi128ELNS_18Fp8KVCacheDataTypeE1ELb0EEEvPT_PKS2_PKT0_S8_ifPKiSA_iPKfiiiSC_SC_iiiii,"axG",@progbits,_ZN4vllm25paged_attention_v1_kernelIthLi96ELi16ELi128ELNS_18Fp8KVCacheDataTypeE1ELb0EEEvPT_PKS2_PKT0_S8_ifPKiSA_iPKfiiiSC_SC_iiiii,comdat
.Lfunc_end266:
	.size	_ZN4vllm25paged_attention_v1_kernelIthLi96ELi16ELi128ELNS_18Fp8KVCacheDataTypeE1ELb0EEEvPT_PKS2_PKT0_S8_ifPKiSA_iPKfiiiSC_SC_iiiii, .Lfunc_end266-_ZN4vllm25paged_attention_v1_kernelIthLi96ELi16ELi128ELNS_18Fp8KVCacheDataTypeE1ELb0EEEvPT_PKS2_PKT0_S8_ifPKiSA_iPKfiiiSC_SC_iiiii
                                        ; -- End function
	.set _ZN4vllm25paged_attention_v1_kernelIthLi96ELi16ELi128ELNS_18Fp8KVCacheDataTypeE1ELb0EEEvPT_PKS2_PKT0_S8_ifPKiSA_iPKfiiiSC_SC_iiiii.num_vgpr, 108
	.set _ZN4vllm25paged_attention_v1_kernelIthLi96ELi16ELi128ELNS_18Fp8KVCacheDataTypeE1ELb0EEEvPT_PKS2_PKT0_S8_ifPKiSA_iPKfiiiSC_SC_iiiii.num_agpr, 0
	.set _ZN4vllm25paged_attention_v1_kernelIthLi96ELi16ELi128ELNS_18Fp8KVCacheDataTypeE1ELb0EEEvPT_PKS2_PKT0_S8_ifPKiSA_iPKfiiiSC_SC_iiiii.numbered_sgpr, 32
	.set _ZN4vllm25paged_attention_v1_kernelIthLi96ELi16ELi128ELNS_18Fp8KVCacheDataTypeE1ELb0EEEvPT_PKS2_PKT0_S8_ifPKiSA_iPKfiiiSC_SC_iiiii.num_named_barrier, 0
	.set _ZN4vllm25paged_attention_v1_kernelIthLi96ELi16ELi128ELNS_18Fp8KVCacheDataTypeE1ELb0EEEvPT_PKS2_PKT0_S8_ifPKiSA_iPKfiiiSC_SC_iiiii.private_seg_size, 0
	.set _ZN4vllm25paged_attention_v1_kernelIthLi96ELi16ELi128ELNS_18Fp8KVCacheDataTypeE1ELb0EEEvPT_PKS2_PKT0_S8_ifPKiSA_iPKfiiiSC_SC_iiiii.uses_vcc, 1
	.set _ZN4vllm25paged_attention_v1_kernelIthLi96ELi16ELi128ELNS_18Fp8KVCacheDataTypeE1ELb0EEEvPT_PKS2_PKT0_S8_ifPKiSA_iPKfiiiSC_SC_iiiii.uses_flat_scratch, 0
	.set _ZN4vllm25paged_attention_v1_kernelIthLi96ELi16ELi128ELNS_18Fp8KVCacheDataTypeE1ELb0EEEvPT_PKS2_PKT0_S8_ifPKiSA_iPKfiiiSC_SC_iiiii.has_dyn_sized_stack, 0
	.set _ZN4vllm25paged_attention_v1_kernelIthLi96ELi16ELi128ELNS_18Fp8KVCacheDataTypeE1ELb0EEEvPT_PKS2_PKT0_S8_ifPKiSA_iPKfiiiSC_SC_iiiii.has_recursion, 0
	.set _ZN4vllm25paged_attention_v1_kernelIthLi96ELi16ELi128ELNS_18Fp8KVCacheDataTypeE1ELb0EEEvPT_PKS2_PKT0_S8_ifPKiSA_iPKfiiiSC_SC_iiiii.has_indirect_call, 0
	.section	.AMDGPU.csdata,"",@progbits
; Kernel info:
; codeLenInByte = 30264
; TotalNumSgprs: 34
; NumVgprs: 108
; ScratchSize: 0
; MemoryBound: 0
; FloatMode: 240
; IeeeMode: 1
; LDSByteSize: 224 bytes/workgroup (compile time only)
; SGPRBlocks: 0
; VGPRBlocks: 6
; NumSGPRsForWavesPerEU: 34
; NumVGPRsForWavesPerEU: 108
; NamedBarCnt: 0
; Occupancy: 9
; WaveLimiterHint : 1
; COMPUTE_PGM_RSRC2:SCRATCH_EN: 0
; COMPUTE_PGM_RSRC2:USER_SGPR: 2
; COMPUTE_PGM_RSRC2:TRAP_HANDLER: 0
; COMPUTE_PGM_RSRC2:TGID_X_EN: 1
; COMPUTE_PGM_RSRC2:TGID_Y_EN: 1
; COMPUTE_PGM_RSRC2:TGID_Z_EN: 1
; COMPUTE_PGM_RSRC2:TIDIG_COMP_CNT: 0
	.section	.text._ZN4vllm25paged_attention_v1_kernelIthLi112ELi16ELi128ELNS_18Fp8KVCacheDataTypeE1ELb0EEEvPT_PKS2_PKT0_S8_ifPKiSA_iPKfiiiSC_SC_iiiii,"axG",@progbits,_ZN4vllm25paged_attention_v1_kernelIthLi112ELi16ELi128ELNS_18Fp8KVCacheDataTypeE1ELb0EEEvPT_PKS2_PKT0_S8_ifPKiSA_iPKfiiiSC_SC_iiiii,comdat
	.protected	_ZN4vllm25paged_attention_v1_kernelIthLi112ELi16ELi128ELNS_18Fp8KVCacheDataTypeE1ELb0EEEvPT_PKS2_PKT0_S8_ifPKiSA_iPKfiiiSC_SC_iiiii ; -- Begin function _ZN4vllm25paged_attention_v1_kernelIthLi112ELi16ELi128ELNS_18Fp8KVCacheDataTypeE1ELb0EEEvPT_PKS2_PKT0_S8_ifPKiSA_iPKfiiiSC_SC_iiiii
	.globl	_ZN4vllm25paged_attention_v1_kernelIthLi112ELi16ELi128ELNS_18Fp8KVCacheDataTypeE1ELb0EEEvPT_PKS2_PKT0_S8_ifPKiSA_iPKfiiiSC_SC_iiiii
	.p2align	8
	.type	_ZN4vllm25paged_attention_v1_kernelIthLi112ELi16ELi128ELNS_18Fp8KVCacheDataTypeE1ELb0EEEvPT_PKS2_PKT0_S8_ifPKiSA_iPKfiiiSC_SC_iiiii,@function
_ZN4vllm25paged_attention_v1_kernelIthLi112ELi16ELi128ELNS_18Fp8KVCacheDataTypeE1ELb0EEEvPT_PKS2_PKT0_S8_ifPKiSA_iPKfiiiSC_SC_iiiii: ; @_ZN4vllm25paged_attention_v1_kernelIthLi112ELi16ELi128ELNS_18Fp8KVCacheDataTypeE1ELb0EEEvPT_PKS2_PKT0_S8_ifPKiSA_iPKfiiiSC_SC_iiiii
; %bb.0:
	s_load_b64 s[6:7], s[0:1], 0x20
	s_bfe_u32 s3, ttmp6, 0x4000c
	s_bfe_u32 s5, ttmp6, 0x40010
	s_and_b32 s4, ttmp7, 0xffff
	s_add_co_i32 s3, s3, 1
	s_add_co_i32 s5, s5, 1
	s_and_b32 s2, ttmp6, 15
	s_bfe_u32 s8, ttmp6, 0x40004
	s_mul_i32 s3, ttmp9, s3
	s_mul_i32 s5, s4, s5
	s_getreg_b32 s20, hwreg(HW_REG_IB_STS2, 6, 4)
	s_add_co_i32 s2, s2, s3
	s_add_co_i32 s8, s8, s5
	s_cmp_eq_u32 s20, 0
	s_clause 0x1
	s_load_b32 s21, s[0:1], 0x80
	s_load_b64 s[10:11], s[0:1], 0x30
	s_cselect_b32 s22, s4, s8
	s_cselect_b32 s8, ttmp9, s2
	s_wait_kmcnt 0x0
	s_abs_i32 s2, s6
	s_delay_alu instid0(SALU_CYCLE_1) | instskip(SKIP_1) | instid1(SALU_CYCLE_2)
	s_cvt_f32_u32 s3, s2
	s_sub_co_i32 s4, 0, s2
	v_rcp_iflag_f32_e32 v1, s3
	s_abs_i32 s5, s21
	v_nop
	s_delay_alu instid0(TRANS32_DEP_1) | instskip(SKIP_1) | instid1(SALU_CYCLE_3)
	v_readfirstlane_b32 s3, v1
	s_mul_f32 s3, s3, 0x4f7ffffe
	s_cvt_u32_f32 s3, s3
	s_delay_alu instid0(SALU_CYCLE_3) | instskip(NEXT) | instid1(SALU_CYCLE_1)
	s_mul_i32 s4, s4, s3
	s_mul_hi_u32 s4, s3, s4
	s_delay_alu instid0(SALU_CYCLE_1) | instskip(SKIP_4) | instid1(SALU_CYCLE_1)
	s_add_co_i32 s3, s3, s4
	s_xor_b32 s4, s21, s6
	s_mul_hi_u32 s3, s5, s3
	s_ashr_i32 s4, s4, 31
	s_mul_i32 s6, s3, s2
	s_sub_co_i32 s5, s5, s6
	s_add_co_i32 s6, s3, 1
	s_sub_co_i32 s9, s5, s2
	s_cmp_ge_u32 s5, s2
	s_cselect_b32 s3, s6, s3
	s_cselect_b32 s5, s9, s5
	s_add_co_i32 s6, s3, 1
	s_cmp_ge_u32 s5, s2
	s_cselect_b32 s2, s6, s3
	s_mov_b32 s3, 0
	s_xor_b32 s2, s2, s4
	s_mov_b32 s13, s3
	s_sub_co_i32 s15, s2, s4
	s_load_b64 s[4:5], s[0:1], 0x40
	s_abs_i32 s14, s15
	s_mov_b32 s25, s3
	s_cvt_f32_u32 s2, s14
	s_delay_alu instid0(SALU_CYCLE_3) | instskip(SKIP_1) | instid1(TRANS32_DEP_1)
	v_rcp_iflag_f32_e32 v1, s2
	v_nop
	v_readfirstlane_b32 s2, v1
	s_mul_f32 s2, s2, 0x4f7ffffe
	s_delay_alu instid0(SALU_CYCLE_3) | instskip(SKIP_1) | instid1(SALU_CYCLE_2)
	s_cvt_u32_f32 s6, s2
	s_sub_co_i32 s2, 0, s14
	s_mul_i32 s2, s2, s6
	s_delay_alu instid0(SALU_CYCLE_1)
	s_mul_hi_u32 s9, s6, s2
	s_abs_i32 s2, s8
	s_add_co_i32 s12, s6, s9
	s_wait_kmcnt 0x0
	s_cmp_eq_u64 s[4:5], 0
	s_cbranch_scc1 .LBB267_2
; %bb.1:
	s_ashr_i32 s9, s8, 31
	s_delay_alu instid0(SALU_CYCLE_1) | instskip(NEXT) | instid1(SALU_CYCLE_1)
	s_lshl_b64 s[16:17], s[8:9], 2
	s_add_nc_u64 s[4:5], s[4:5], s[16:17]
	s_load_b32 s25, s[4:5], 0x0
.LBB267_2:
	s_load_b32 s23, s[10:11], s22 offset:0x0 scale_offset
	s_wait_xcnt 0x0
	s_load_b96 s[4:6], s[0:1], 0x48
	v_dual_lshrrev_b32 v26, 1, v0 :: v_dual_bitop2_b32 v27, 1, v0 bitop3:0x40
	s_ashr_i32 s9, s8, 31
	s_ashr_i32 s15, s15, 31
	s_mul_u64 s[10:11], s[2:3], s[12:13]
	s_mul_i32 s12, s8, 0x70
	s_mov_b32 s3, exec_lo
	v_cmpx_gt_u32_e32 28, v0
	s_cbranch_execz .LBB267_4
; %bb.3:
	s_load_b64 s[16:17], s[0:1], 0x8
	s_wait_kmcnt 0x0
	s_mul_i32 s18, s4, s22
	s_ashr_i32 s13, s12, 31
	s_ashr_i32 s19, s18, 31
	v_lshlrev_b32_e32 v1, 3, v26
	s_lshl_b64 s[18:19], s[18:19], 1
	s_delay_alu instid0(VALU_DEP_1) | instskip(SKIP_2) | instid1(SALU_CYCLE_1)
	v_mad_u32_u24 v1, 0x70, v27, v1
	s_add_nc_u64 s[16:17], s[16:17], s[18:19]
	s_lshl_b64 s[18:19], s[12:13], 1
	s_add_nc_u64 s[16:17], s[16:17], s[18:19]
	global_load_b64 v[2:3], v0, s[16:17] scale_offset
	s_wait_loadcnt 0x0
	ds_store_b64 v1, v[2:3]
.LBB267_4:
	s_or_b32 exec_lo, exec_lo, s3
	s_wait_kmcnt 0x0
	s_add_co_i32 s3, s23, 15
	s_load_b32 s4, s[0:1], 0x38
	s_ashr_i32 s8, s3, 31
	s_mul_i32 s10, s11, s14
	s_lshr_b32 s8, s8, 28
	s_sub_co_i32 s2, s2, s10
	s_add_co_i32 s3, s3, s8
	s_xor_b32 s9, s9, s15
	s_ashr_i32 s24, s3, 4
	s_add_co_i32 s3, s11, 1
	s_sub_co_i32 s8, s2, s14
	s_cmp_ge_u32 s2, s14
	v_lshrrev_b32_e32 v28, 5, v0
	s_cselect_b32 s3, s3, s11
	s_cselect_b32 s2, s8, s2
	s_add_co_i32 s8, s3, 1
	s_cmp_ge_u32 s2, s14
	v_mbcnt_lo_u32_b32 v11, -1, 0
	s_cselect_b32 s2, s8, s3
	s_wait_dscnt 0x0
	s_xor_b32 s2, s2, s9
	s_wait_kmcnt 0x0
	s_mul_i32 s14, s4, s22
	s_sub_co_i32 s3, s2, s9
	v_cmp_gt_i32_e64 s2, s24, v28
	s_ashr_i32 s15, s14, 31
	s_mov_b32 s4, exec_lo
	s_barrier_signal -1
	s_barrier_wait -1
                                        ; implicit-def: $vgpr3
                                        ; implicit-def: $vgpr12
	v_cmpx_le_i32_e64 s24, v28
	s_xor_b32 s4, exec_lo, s4
; %bb.5:
	v_dual_mov_b32 v3, 0 :: v_dual_mov_b32 v12, 32
	v_mbcnt_lo_u32_b32 v11, -1, 0
; %bb.6:
	s_or_saveexec_b32 s26, s4
	s_clause 0x2
	s_load_b32 s13, s[0:1], 0x88
	s_load_b64 s[16:17], s[0:1], 0x28
	s_load_b128 s[8:11], s[0:1], 0x58
	v_mov_b32_e32 v13, 0xff7fffff
	v_lshrrev_b32_e32 v1, 3, v0
	s_mul_i32 s18, s3, s6
	s_xor_b32 exec_lo, exec_lo, s26
	s_cbranch_execz .LBB267_460
; %bb.7:
	s_load_b64 s[28:29], s[0:1], 0x10
	v_bfe_u32 v6, v0, 1, 4
	v_mov_b32_e32 v3, 0
	s_ashr_i32 s19, s18, 31
	s_cmp_neq_f32 s25, 0
	v_mul_u32_u24_e32 v14, 0x70, v27
	v_dual_lshlrev_b32 v2, 4, v6 :: v_dual_lshlrev_b32 v7, 2, v6
	s_cselect_b32 s3, -1, 0
	v_lshl_or_b32 v15, v28, 4, v6
	v_dual_mov_b32 v13, 0xff7fffff :: v_dual_mov_b32 v12, 32
	s_mov_b32 s6, 0
	s_sub_co_i32 s27, 1, s23
	v_cmp_eq_u32_e32 vcc_lo, 0, v27
	v_mov_b32_e32 v17, v28
	s_wait_kmcnt 0x0
	s_add_nc_u64 s[28:29], s[28:29], s[18:19]
	s_mov_b32 s19, s5
	v_add_nc_u64_e32 v[4:5], s[28:29], v[2:3]
	v_lshlrev_b32_e32 v2, 2, v27
	v_lshl_or_b32 v7, v28, 6, v7
	s_lshl_b64 s[28:29], s[14:15], 2
	s_delay_alu instid0(SALU_CYCLE_1) | instskip(NEXT) | instid1(VALU_DEP_1)
	s_add_nc_u64 s[28:29], s[16:17], s[28:29]
	v_add_nc_u32_e32 v16, 0x100, v7
	s_delay_alu instid0(VALU_DEP_4) | instskip(SKIP_1) | instid1(VALU_DEP_1)
	v_add_nc_u64_e32 v[4:5], v[4:5], v[2:3]
	v_and_b32_e32 v2, 0x7c, v1
	v_add_nc_u64_e32 v[6:7], s[28:29], v[2:3]
	s_branch .LBB267_9
.LBB267_8:                              ;   in Loop: Header=BB267_9 Depth=1
	s_or_b32 exec_lo, exec_lo, s28
	v_dual_add_nc_u32 v17, 4, v17 :: v_dual_add_nc_u32 v15, 64, v15
	v_add_nc_u64_e32 v[6:7], 16, v[6:7]
	v_add_nc_u32_e32 v16, 0x100, v16
	s_delay_alu instid0(VALU_DEP_3) | instskip(SKIP_1) | instid1(SALU_CYCLE_1)
	v_cmp_le_i32_e64 s4, s24, v17
	s_or_b32 s6, s4, s6
	s_and_not1_b32 exec_lo, exec_lo, s6
	s_cbranch_execz .LBB267_459
.LBB267_9:                              ; =>This Inner Loop Header: Depth=1
	global_load_b32 v2, v[6:7], off
	v_dual_mov_b32 v19, 0 :: v_dual_mov_b32 v20, 0
	s_mov_b32 s28, exec_lo
	global_load_b32 v18, v19, s[8:9]
	s_wait_loadcnt_dscnt 0x100
	v_mad_nc_i64_i32 v[8:9], v2, s19, v[4:5]
	global_load_b32 v10, v[8:9], off
	s_wait_loadcnt 0x0
	v_and_b32_e32 v2, 0xff, v10
	s_wait_xcnt 0x0
	s_delay_alu instid0(VALU_DEP_1)
	v_cmpx_ne_u16_e32 0, v2
	s_cbranch_execz .LBB267_17
; %bb.10:                               ;   in Loop: Header=BB267_9 Depth=1
	v_mov_b32_e32 v20, 0x8000
	s_mov_b32 s29, exec_lo
	v_cmpx_ne_u16_e32 0x80, v2
	s_cbranch_execz .LBB267_16
; %bb.11:                               ;   in Loop: Header=BB267_9 Depth=1
	v_and_b32_e32 v21, 0x7f, v10
	v_mov_b32_e32 v20, 0x7c01
	s_mov_b32 s30, exec_lo
	s_delay_alu instid0(VALU_DEP_2)
	v_cmpx_ne_u32_e32 0x7f, v21
	s_cbranch_execz .LBB267_15
; %bb.12:                               ;   in Loop: Header=BB267_9 Depth=1
	v_dual_lshrrev_b32 v20, 3, v21 :: v_dual_bitop2_b32 v2, 7, v10 bitop3:0x40
	s_mov_b32 s31, exec_lo
	v_cmpx_gt_u32_e32 8, v21
; %bb.13:                               ;   in Loop: Header=BB267_9 Depth=1
	s_delay_alu instid0(VALU_DEP_2) | instskip(NEXT) | instid1(VALU_DEP_1)
	v_clz_i32_u32_e32 v2, v2
	v_min_u32_e32 v2, 32, v2
	s_delay_alu instid0(VALU_DEP_1) | instskip(NEXT) | instid1(VALU_DEP_1)
	v_subrev_nc_u32_e32 v20, 28, v2
	v_lshlrev_b64_e32 v[22:23], v20, v[10:11]
	v_sub_nc_u32_e32 v20, 29, v2
	s_delay_alu instid0(VALU_DEP_2)
	v_and_b32_e32 v2, 7, v22
; %bb.14:                               ;   in Loop: Header=BB267_9 Depth=1
	s_or_b32 exec_lo, exec_lo, s31
	v_lshlrev_b32_e32 v21, 8, v10
	s_delay_alu instid0(VALU_DEP_3) | instskip(NEXT) | instid1(VALU_DEP_3)
	v_lshl_add_u32 v20, v20, 10, 0x2000
	v_lshlrev_b32_e32 v2, 7, v2
	s_delay_alu instid0(VALU_DEP_3) | instskip(NEXT) | instid1(VALU_DEP_3)
	v_and_b32_e32 v21, 0x8000, v21
	v_and_b32_e32 v20, 0xfc00, v20
	s_delay_alu instid0(VALU_DEP_1)
	v_or3_b32 v20, v21, v20, v2
.LBB267_15:                             ;   in Loop: Header=BB267_9 Depth=1
	s_or_b32 exec_lo, exec_lo, s30
.LBB267_16:                             ;   in Loop: Header=BB267_9 Depth=1
	s_delay_alu instid0(SALU_CYCLE_1)
	s_or_b32 exec_lo, exec_lo, s29
.LBB267_17:                             ;   in Loop: Header=BB267_9 Depth=1
	s_delay_alu instid0(SALU_CYCLE_1) | instskip(SKIP_2) | instid1(VALU_DEP_1)
	s_or_b32 exec_lo, exec_lo, s28
	v_lshrrev_b16 v2, 8, v10
	s_mov_b32 s28, exec_lo
	v_cmpx_ne_u16_e32 0, v2
	s_cbranch_execz .LBB267_25
; %bb.18:                               ;   in Loop: Header=BB267_9 Depth=1
	v_bfrev_b32_e32 v19, 1
	s_mov_b32 s29, exec_lo
	v_cmpx_ne_u16_e32 0x80, v2
	s_cbranch_execz .LBB267_24
; %bb.19:                               ;   in Loop: Header=BB267_9 Depth=1
	v_and_b32_e32 v21, 0xffff, v2
	v_mov_b32_e32 v19, 0x7c010000
	s_mov_b32 s30, exec_lo
	s_delay_alu instid0(VALU_DEP_2) | instskip(NEXT) | instid1(VALU_DEP_1)
	v_and_b32_e32 v23, 0x7f, v21
	v_cmpx_ne_u32_e32 0x7f, v23
	s_cbranch_execz .LBB267_23
; %bb.20:                               ;   in Loop: Header=BB267_9 Depth=1
	v_dual_lshrrev_b32 v22, 3, v23 :: v_dual_bitop2_b32 v19, 7, v21 bitop3:0x40
	s_mov_b32 s31, exec_lo
	v_cmpx_gt_u32_e32 8, v23
; %bb.21:                               ;   in Loop: Header=BB267_9 Depth=1
	s_delay_alu instid0(VALU_DEP_2) | instskip(NEXT) | instid1(VALU_DEP_1)
	v_clz_i32_u32_e32 v19, v19
	v_min_u32_e32 v19, 32, v19
	s_delay_alu instid0(VALU_DEP_1) | instskip(NEXT) | instid1(VALU_DEP_1)
	v_subrev_nc_u32_e32 v22, 28, v19
	v_lshlrev_b64_e32 v[24:25], v22, v[2:3]
	s_delay_alu instid0(VALU_DEP_1)
	v_dual_sub_nc_u32 v22, 29, v19 :: v_dual_bitop2_b32 v19, 7, v24 bitop3:0x40
; %bb.22:                               ;   in Loop: Header=BB267_9 Depth=1
	s_or_b32 exec_lo, exec_lo, s31
	s_delay_alu instid0(VALU_DEP_1) | instskip(NEXT) | instid1(VALU_DEP_2)
	v_dual_lshlrev_b32 v2, 8, v21 :: v_dual_lshlrev_b32 v19, 23, v19
	v_lshl_add_u32 v21, v22, 10, 0x2000
	s_delay_alu instid0(VALU_DEP_1) | instskip(NEXT) | instid1(VALU_DEP_1)
	v_and_or_b32 v2, 0x8000, v2, v21
	v_lshl_or_b32 v19, v2, 16, v19
.LBB267_23:                             ;   in Loop: Header=BB267_9 Depth=1
	s_or_b32 exec_lo, exec_lo, s30
.LBB267_24:                             ;   in Loop: Header=BB267_9 Depth=1
	s_delay_alu instid0(SALU_CYCLE_1)
	s_or_b32 exec_lo, exec_lo, s29
.LBB267_25:                             ;   in Loop: Header=BB267_9 Depth=1
	s_delay_alu instid0(SALU_CYCLE_1) | instskip(SKIP_3) | instid1(VALU_DEP_2)
	s_or_b32 exec_lo, exec_lo, s28
	v_dual_mov_b32 v21, 0 :: v_dual_lshrrev_b32 v2, 16, v10
	v_mov_b32_e32 v22, 0
	s_mov_b32 s28, exec_lo
	v_and_b32_e32 v23, 0xff, v2
	s_delay_alu instid0(VALU_DEP_1)
	v_cmpx_ne_u16_e32 0, v23
	s_cbranch_execz .LBB267_33
; %bb.26:                               ;   in Loop: Header=BB267_9 Depth=1
	v_mov_b32_e32 v22, 0x8000
	s_mov_b32 s29, exec_lo
	v_cmpx_ne_u16_e32 0x80, v23
	s_cbranch_execz .LBB267_32
; %bb.27:                               ;   in Loop: Header=BB267_9 Depth=1
	v_bfe_u32 v24, v10, 16, 7
	v_mov_b32_e32 v22, 0x7c01
	s_mov_b32 s30, exec_lo
	s_delay_alu instid0(VALU_DEP_2)
	v_cmpx_ne_u32_e32 0x7f, v24
	s_cbranch_execz .LBB267_31
; %bb.28:                               ;   in Loop: Header=BB267_9 Depth=1
	v_dual_lshrrev_b32 v23, 3, v24 :: v_dual_bitop2_b32 v22, 7, v2 bitop3:0x40
	s_mov_b32 s31, exec_lo
	v_cmpx_gt_u32_e32 8, v24
; %bb.29:                               ;   in Loop: Header=BB267_9 Depth=1
	s_delay_alu instid0(VALU_DEP_2) | instskip(NEXT) | instid1(VALU_DEP_1)
	v_clz_i32_u32_e32 v22, v22
	v_min_u32_e32 v24, 32, v22
	s_delay_alu instid0(VALU_DEP_1) | instskip(NEXT) | instid1(VALU_DEP_1)
	v_subrev_nc_u32_e32 v22, 28, v24
	v_lshlrev_b64_e32 v[22:23], v22, v[2:3]
	s_delay_alu instid0(VALU_DEP_1)
	v_dual_sub_nc_u32 v23, 29, v24 :: v_dual_bitop2_b32 v22, 7, v22 bitop3:0x40
; %bb.30:                               ;   in Loop: Header=BB267_9 Depth=1
	s_or_b32 exec_lo, exec_lo, s31
	v_lshlrev_b32_e32 v2, 8, v2
	s_delay_alu instid0(VALU_DEP_2) | instskip(NEXT) | instid1(VALU_DEP_3)
	v_lshl_add_u32 v23, v23, 10, 0x2000
	v_lshlrev_b32_e32 v22, 7, v22
	s_delay_alu instid0(VALU_DEP_3) | instskip(NEXT) | instid1(VALU_DEP_3)
	v_and_b32_e32 v2, 0x8000, v2
	v_and_b32_e32 v23, 0xfc00, v23
	s_delay_alu instid0(VALU_DEP_1)
	v_or3_b32 v22, v2, v23, v22
.LBB267_31:                             ;   in Loop: Header=BB267_9 Depth=1
	s_or_b32 exec_lo, exec_lo, s30
.LBB267_32:                             ;   in Loop: Header=BB267_9 Depth=1
	s_delay_alu instid0(SALU_CYCLE_1)
	s_or_b32 exec_lo, exec_lo, s29
.LBB267_33:                             ;   in Loop: Header=BB267_9 Depth=1
	s_delay_alu instid0(SALU_CYCLE_1) | instskip(NEXT) | instid1(SALU_CYCLE_1)
	s_or_b32 exec_lo, exec_lo, s28
	s_mov_b32 s28, exec_lo
	v_cmpx_lt_u32_e32 0xffffff, v10
	s_cbranch_execz .LBB267_41
; %bb.34:                               ;   in Loop: Header=BB267_9 Depth=1
	v_lshrrev_b32_e32 v2, 24, v10
	v_bfrev_b32_e32 v21, 1
	s_mov_b32 s29, exec_lo
	s_delay_alu instid0(VALU_DEP_2)
	v_cmpx_ne_u32_e32 0x80, v2
	s_cbranch_execz .LBB267_40
; %bb.35:                               ;   in Loop: Header=BB267_9 Depth=1
	v_and_b32_e32 v23, 0x7f, v2
	v_mov_b32_e32 v21, 0x7c010000
	s_mov_b32 s30, exec_lo
	s_delay_alu instid0(VALU_DEP_2)
	v_cmpx_ne_u32_e32 0x7f, v23
	s_cbranch_execz .LBB267_39
; %bb.36:                               ;   in Loop: Header=BB267_9 Depth=1
	v_dual_lshrrev_b32 v21, 3, v23 :: v_dual_bitop2_b32 v10, 7, v2 bitop3:0x40
	s_mov_b32 s31, exec_lo
	v_cmpx_gt_u32_e32 8, v23
; %bb.37:                               ;   in Loop: Header=BB267_9 Depth=1
	s_delay_alu instid0(VALU_DEP_2) | instskip(NEXT) | instid1(VALU_DEP_1)
	v_clz_i32_u32_e32 v10, v10
	v_min_u32_e32 v10, 32, v10
	s_delay_alu instid0(VALU_DEP_1) | instskip(NEXT) | instid1(VALU_DEP_1)
	v_subrev_nc_u32_e32 v21, 28, v10
	v_lshlrev_b64_e32 v[24:25], v21, v[2:3]
	s_delay_alu instid0(VALU_DEP_1)
	v_dual_sub_nc_u32 v21, 29, v10 :: v_dual_bitop2_b32 v10, 7, v24 bitop3:0x40
; %bb.38:                               ;   in Loop: Header=BB267_9 Depth=1
	s_or_b32 exec_lo, exec_lo, s31
	v_lshlrev_b32_e32 v2, 8, v2
	s_delay_alu instid0(VALU_DEP_2) | instskip(NEXT) | instid1(VALU_DEP_3)
	v_lshl_add_u32 v21, v21, 10, 0x2000
	v_lshlrev_b32_e32 v10, 23, v10
	s_delay_alu instid0(VALU_DEP_2) | instskip(NEXT) | instid1(VALU_DEP_1)
	v_and_or_b32 v2, 0x8000, v2, v21
	v_lshl_or_b32 v21, v2, 16, v10
.LBB267_39:                             ;   in Loop: Header=BB267_9 Depth=1
	s_or_b32 exec_lo, exec_lo, s30
.LBB267_40:                             ;   in Loop: Header=BB267_9 Depth=1
	s_delay_alu instid0(SALU_CYCLE_1)
	s_or_b32 exec_lo, exec_lo, s29
.LBB267_41:                             ;   in Loop: Header=BB267_9 Depth=1
	s_delay_alu instid0(SALU_CYCLE_1)
	s_or_b32 exec_lo, exec_lo, s28
	global_load_b32 v10, v[8:9], off offset:8
	v_dual_mov_b32 v23, 0 :: v_dual_mov_b32 v24, 0
	s_mov_b32 s28, exec_lo
	s_wait_loadcnt 0x0
	v_and_b32_e32 v2, 0xff, v10
	s_delay_alu instid0(VALU_DEP_1)
	v_cmpx_ne_u16_e32 0, v2
	s_cbranch_execz .LBB267_49
; %bb.42:                               ;   in Loop: Header=BB267_9 Depth=1
	v_mov_b32_e32 v24, 0x8000
	s_mov_b32 s29, exec_lo
	v_cmpx_ne_u16_e32 0x80, v2
	s_cbranch_execz .LBB267_48
; %bb.43:                               ;   in Loop: Header=BB267_9 Depth=1
	v_and_b32_e32 v25, 0x7f, v10
	v_mov_b32_e32 v24, 0x7c01
	s_mov_b32 s30, exec_lo
	s_delay_alu instid0(VALU_DEP_2)
	v_cmpx_ne_u32_e32 0x7f, v25
	s_cbranch_execz .LBB267_47
; %bb.44:                               ;   in Loop: Header=BB267_9 Depth=1
	v_dual_lshrrev_b32 v24, 3, v25 :: v_dual_bitop2_b32 v2, 7, v10 bitop3:0x40
	s_mov_b32 s31, exec_lo
	v_cmpx_gt_u32_e32 8, v25
; %bb.45:                               ;   in Loop: Header=BB267_9 Depth=1
	s_delay_alu instid0(VALU_DEP_2) | instskip(NEXT) | instid1(VALU_DEP_1)
	v_clz_i32_u32_e32 v2, v2
	v_min_u32_e32 v2, 32, v2
	s_delay_alu instid0(VALU_DEP_1) | instskip(NEXT) | instid1(VALU_DEP_1)
	v_subrev_nc_u32_e32 v24, 28, v2
	v_lshlrev_b64_e32 v[30:31], v24, v[10:11]
	v_sub_nc_u32_e32 v24, 29, v2
	s_delay_alu instid0(VALU_DEP_2)
	v_and_b32_e32 v2, 7, v30
; %bb.46:                               ;   in Loop: Header=BB267_9 Depth=1
	s_or_b32 exec_lo, exec_lo, s31
	v_lshlrev_b32_e32 v25, 8, v10
	s_delay_alu instid0(VALU_DEP_3) | instskip(NEXT) | instid1(VALU_DEP_3)
	v_lshl_add_u32 v24, v24, 10, 0x2000
	v_lshlrev_b32_e32 v2, 7, v2
	s_delay_alu instid0(VALU_DEP_3) | instskip(NEXT) | instid1(VALU_DEP_3)
	v_and_b32_e32 v25, 0x8000, v25
	v_and_b32_e32 v24, 0xfc00, v24
	s_delay_alu instid0(VALU_DEP_1)
	v_or3_b32 v24, v25, v24, v2
.LBB267_47:                             ;   in Loop: Header=BB267_9 Depth=1
	s_or_b32 exec_lo, exec_lo, s30
.LBB267_48:                             ;   in Loop: Header=BB267_9 Depth=1
	s_delay_alu instid0(SALU_CYCLE_1)
	s_or_b32 exec_lo, exec_lo, s29
.LBB267_49:                             ;   in Loop: Header=BB267_9 Depth=1
	s_delay_alu instid0(SALU_CYCLE_1) | instskip(SKIP_2) | instid1(VALU_DEP_1)
	s_or_b32 exec_lo, exec_lo, s28
	v_lshrrev_b16 v2, 8, v10
	s_mov_b32 s28, exec_lo
	v_cmpx_ne_u16_e32 0, v2
	s_cbranch_execz .LBB267_57
; %bb.50:                               ;   in Loop: Header=BB267_9 Depth=1
	v_bfrev_b32_e32 v23, 1
	s_mov_b32 s29, exec_lo
	v_cmpx_ne_u16_e32 0x80, v2
	s_cbranch_execz .LBB267_56
; %bb.51:                               ;   in Loop: Header=BB267_9 Depth=1
	v_and_b32_e32 v25, 0xffff, v2
	v_mov_b32_e32 v23, 0x7c010000
	s_mov_b32 s30, exec_lo
	s_delay_alu instid0(VALU_DEP_2) | instskip(NEXT) | instid1(VALU_DEP_1)
	v_and_b32_e32 v30, 0x7f, v25
	v_cmpx_ne_u32_e32 0x7f, v30
	s_cbranch_execz .LBB267_55
; %bb.52:                               ;   in Loop: Header=BB267_9 Depth=1
	v_dual_lshrrev_b32 v29, 3, v30 :: v_dual_bitop2_b32 v23, 7, v25 bitop3:0x40
	s_mov_b32 s31, exec_lo
	v_cmpx_gt_u32_e32 8, v30
; %bb.53:                               ;   in Loop: Header=BB267_9 Depth=1
	s_delay_alu instid0(VALU_DEP_2) | instskip(NEXT) | instid1(VALU_DEP_1)
	v_clz_i32_u32_e32 v23, v23
	v_min_u32_e32 v23, 32, v23
	s_delay_alu instid0(VALU_DEP_1) | instskip(NEXT) | instid1(VALU_DEP_1)
	v_subrev_nc_u32_e32 v29, 28, v23
	v_lshlrev_b64_e32 v[30:31], v29, v[2:3]
	s_delay_alu instid0(VALU_DEP_1)
	v_dual_sub_nc_u32 v29, 29, v23 :: v_dual_bitop2_b32 v23, 7, v30 bitop3:0x40
; %bb.54:                               ;   in Loop: Header=BB267_9 Depth=1
	s_or_b32 exec_lo, exec_lo, s31
	s_delay_alu instid0(VALU_DEP_1) | instskip(NEXT) | instid1(VALU_DEP_2)
	v_dual_lshlrev_b32 v2, 8, v25 :: v_dual_lshlrev_b32 v23, 23, v23
	v_lshl_add_u32 v25, v29, 10, 0x2000
	s_delay_alu instid0(VALU_DEP_1) | instskip(NEXT) | instid1(VALU_DEP_1)
	v_and_or_b32 v2, 0x8000, v2, v25
	v_lshl_or_b32 v23, v2, 16, v23
.LBB267_55:                             ;   in Loop: Header=BB267_9 Depth=1
	s_or_b32 exec_lo, exec_lo, s30
.LBB267_56:                             ;   in Loop: Header=BB267_9 Depth=1
	s_delay_alu instid0(SALU_CYCLE_1)
	s_or_b32 exec_lo, exec_lo, s29
.LBB267_57:                             ;   in Loop: Header=BB267_9 Depth=1
	s_delay_alu instid0(SALU_CYCLE_1) | instskip(SKIP_3) | instid1(VALU_DEP_2)
	s_or_b32 exec_lo, exec_lo, s28
	v_dual_mov_b32 v25, 0 :: v_dual_lshrrev_b32 v2, 16, v10
	v_mov_b32_e32 v29, 0
	s_mov_b32 s28, exec_lo
	v_and_b32_e32 v30, 0xff, v2
	s_delay_alu instid0(VALU_DEP_1)
	v_cmpx_ne_u16_e32 0, v30
	s_cbranch_execz .LBB267_65
; %bb.58:                               ;   in Loop: Header=BB267_9 Depth=1
	v_mov_b32_e32 v29, 0x8000
	s_mov_b32 s29, exec_lo
	v_cmpx_ne_u16_e32 0x80, v30
	s_cbranch_execz .LBB267_64
; %bb.59:                               ;   in Loop: Header=BB267_9 Depth=1
	v_bfe_u32 v31, v10, 16, 7
	v_mov_b32_e32 v29, 0x7c01
	s_mov_b32 s30, exec_lo
	s_delay_alu instid0(VALU_DEP_2)
	v_cmpx_ne_u32_e32 0x7f, v31
	s_cbranch_execz .LBB267_63
; %bb.60:                               ;   in Loop: Header=BB267_9 Depth=1
	v_dual_lshrrev_b32 v30, 3, v31 :: v_dual_bitop2_b32 v29, 7, v2 bitop3:0x40
	s_mov_b32 s31, exec_lo
	v_cmpx_gt_u32_e32 8, v31
; %bb.61:                               ;   in Loop: Header=BB267_9 Depth=1
	s_delay_alu instid0(VALU_DEP_2) | instskip(NEXT) | instid1(VALU_DEP_1)
	v_clz_i32_u32_e32 v29, v29
	v_min_u32_e32 v29, 32, v29
	s_delay_alu instid0(VALU_DEP_1) | instskip(NEXT) | instid1(VALU_DEP_1)
	v_subrev_nc_u32_e32 v30, 28, v29
	v_lshlrev_b64_e32 v[32:33], v30, v[2:3]
	s_delay_alu instid0(VALU_DEP_1)
	v_dual_sub_nc_u32 v30, 29, v29 :: v_dual_bitop2_b32 v29, 7, v32 bitop3:0x40
; %bb.62:                               ;   in Loop: Header=BB267_9 Depth=1
	s_or_b32 exec_lo, exec_lo, s31
	s_delay_alu instid0(VALU_DEP_1) | instskip(NEXT) | instid1(VALU_DEP_2)
	v_dual_lshlrev_b32 v2, 8, v2 :: v_dual_lshlrev_b32 v29, 7, v29
	v_lshl_add_u32 v30, v30, 10, 0x2000
	s_delay_alu instid0(VALU_DEP_2) | instskip(NEXT) | instid1(VALU_DEP_2)
	v_and_b32_e32 v2, 0x8000, v2
	v_and_b32_e32 v30, 0xfc00, v30
	s_delay_alu instid0(VALU_DEP_1)
	v_or3_b32 v29, v2, v30, v29
.LBB267_63:                             ;   in Loop: Header=BB267_9 Depth=1
	s_or_b32 exec_lo, exec_lo, s30
.LBB267_64:                             ;   in Loop: Header=BB267_9 Depth=1
	s_delay_alu instid0(SALU_CYCLE_1)
	s_or_b32 exec_lo, exec_lo, s29
.LBB267_65:                             ;   in Loop: Header=BB267_9 Depth=1
	s_delay_alu instid0(SALU_CYCLE_1) | instskip(NEXT) | instid1(SALU_CYCLE_1)
	s_or_b32 exec_lo, exec_lo, s28
	s_mov_b32 s28, exec_lo
	v_cmpx_lt_u32_e32 0xffffff, v10
	s_cbranch_execz .LBB267_73
; %bb.66:                               ;   in Loop: Header=BB267_9 Depth=1
	v_lshrrev_b32_e32 v2, 24, v10
	v_bfrev_b32_e32 v25, 1
	s_mov_b32 s29, exec_lo
	s_delay_alu instid0(VALU_DEP_2)
	v_cmpx_ne_u32_e32 0x80, v2
	s_cbranch_execz .LBB267_72
; %bb.67:                               ;   in Loop: Header=BB267_9 Depth=1
	v_and_b32_e32 v30, 0x7f, v2
	v_mov_b32_e32 v25, 0x7c010000
	s_mov_b32 s30, exec_lo
	s_delay_alu instid0(VALU_DEP_2)
	v_cmpx_ne_u32_e32 0x7f, v30
	s_cbranch_execz .LBB267_71
; %bb.68:                               ;   in Loop: Header=BB267_9 Depth=1
	v_and_b32_e32 v10, 7, v2
	v_lshrrev_b32_e32 v25, 3, v30
	s_mov_b32 s31, exec_lo
	v_cmpx_gt_u32_e32 8, v30
; %bb.69:                               ;   in Loop: Header=BB267_9 Depth=1
	s_delay_alu instid0(VALU_DEP_3) | instskip(NEXT) | instid1(VALU_DEP_1)
	v_clz_i32_u32_e32 v10, v10
	v_min_u32_e32 v10, 32, v10
	s_delay_alu instid0(VALU_DEP_1) | instskip(NEXT) | instid1(VALU_DEP_1)
	v_subrev_nc_u32_e32 v25, 28, v10
	v_lshlrev_b64_e32 v[30:31], v25, v[2:3]
	v_sub_nc_u32_e32 v25, 29, v10
	s_delay_alu instid0(VALU_DEP_2)
	v_and_b32_e32 v10, 7, v30
; %bb.70:                               ;   in Loop: Header=BB267_9 Depth=1
	s_or_b32 exec_lo, exec_lo, s31
	v_lshlrev_b32_e32 v2, 8, v2
	s_delay_alu instid0(VALU_DEP_3) | instskip(NEXT) | instid1(VALU_DEP_3)
	v_lshl_add_u32 v25, v25, 10, 0x2000
	v_lshlrev_b32_e32 v10, 23, v10
	s_delay_alu instid0(VALU_DEP_2) | instskip(NEXT) | instid1(VALU_DEP_1)
	v_and_or_b32 v2, 0x8000, v2, v25
	v_lshl_or_b32 v25, v2, 16, v10
.LBB267_71:                             ;   in Loop: Header=BB267_9 Depth=1
	s_or_b32 exec_lo, exec_lo, s30
.LBB267_72:                             ;   in Loop: Header=BB267_9 Depth=1
	s_delay_alu instid0(SALU_CYCLE_1)
	s_or_b32 exec_lo, exec_lo, s29
.LBB267_73:                             ;   in Loop: Header=BB267_9 Depth=1
	s_delay_alu instid0(SALU_CYCLE_1)
	s_or_b32 exec_lo, exec_lo, s28
	global_load_b32 v10, v[8:9], off offset:256
	v_dual_mov_b32 v30, 0 :: v_dual_mov_b32 v31, 0
	s_mov_b32 s28, exec_lo
	s_wait_loadcnt 0x0
	v_and_b32_e32 v2, 0xff, v10
	s_delay_alu instid0(VALU_DEP_1)
	v_cmpx_ne_u16_e32 0, v2
	s_cbranch_execz .LBB267_81
; %bb.74:                               ;   in Loop: Header=BB267_9 Depth=1
	v_mov_b32_e32 v31, 0x8000
	s_mov_b32 s29, exec_lo
	v_cmpx_ne_u16_e32 0x80, v2
	s_cbranch_execz .LBB267_80
; %bb.75:                               ;   in Loop: Header=BB267_9 Depth=1
	v_and_b32_e32 v32, 0x7f, v10
	v_mov_b32_e32 v31, 0x7c01
	s_mov_b32 s30, exec_lo
	s_delay_alu instid0(VALU_DEP_2)
	v_cmpx_ne_u32_e32 0x7f, v32
	s_cbranch_execz .LBB267_79
; %bb.76:                               ;   in Loop: Header=BB267_9 Depth=1
	v_dual_lshrrev_b32 v31, 3, v32 :: v_dual_bitop2_b32 v2, 7, v10 bitop3:0x40
	s_mov_b32 s31, exec_lo
	v_cmpx_gt_u32_e32 8, v32
; %bb.77:                               ;   in Loop: Header=BB267_9 Depth=1
	s_delay_alu instid0(VALU_DEP_2) | instskip(NEXT) | instid1(VALU_DEP_1)
	v_clz_i32_u32_e32 v2, v2
	v_min_u32_e32 v2, 32, v2
	s_delay_alu instid0(VALU_DEP_1) | instskip(NEXT) | instid1(VALU_DEP_1)
	v_subrev_nc_u32_e32 v31, 28, v2
	v_lshlrev_b64_e32 v[32:33], v31, v[10:11]
	s_delay_alu instid0(VALU_DEP_1)
	v_dual_sub_nc_u32 v31, 29, v2 :: v_dual_bitop2_b32 v2, 7, v32 bitop3:0x40
; %bb.78:                               ;   in Loop: Header=BB267_9 Depth=1
	s_or_b32 exec_lo, exec_lo, s31
	v_lshlrev_b32_e32 v32, 8, v10
	s_delay_alu instid0(VALU_DEP_2) | instskip(NEXT) | instid1(VALU_DEP_3)
	v_lshl_add_u32 v31, v31, 10, 0x2000
	v_lshlrev_b32_e32 v2, 7, v2
	s_delay_alu instid0(VALU_DEP_3) | instskip(NEXT) | instid1(VALU_DEP_3)
	v_and_b32_e32 v32, 0x8000, v32
	v_and_b32_e32 v31, 0xfc00, v31
	s_delay_alu instid0(VALU_DEP_1)
	v_or3_b32 v31, v32, v31, v2
.LBB267_79:                             ;   in Loop: Header=BB267_9 Depth=1
	s_or_b32 exec_lo, exec_lo, s30
.LBB267_80:                             ;   in Loop: Header=BB267_9 Depth=1
	s_delay_alu instid0(SALU_CYCLE_1)
	s_or_b32 exec_lo, exec_lo, s29
.LBB267_81:                             ;   in Loop: Header=BB267_9 Depth=1
	s_delay_alu instid0(SALU_CYCLE_1) | instskip(SKIP_2) | instid1(VALU_DEP_1)
	s_or_b32 exec_lo, exec_lo, s28
	v_lshrrev_b16 v2, 8, v10
	s_mov_b32 s28, exec_lo
	v_cmpx_ne_u16_e32 0, v2
	s_cbranch_execz .LBB267_89
; %bb.82:                               ;   in Loop: Header=BB267_9 Depth=1
	v_bfrev_b32_e32 v30, 1
	s_mov_b32 s29, exec_lo
	v_cmpx_ne_u16_e32 0x80, v2
	s_cbranch_execz .LBB267_88
; %bb.83:                               ;   in Loop: Header=BB267_9 Depth=1
	v_and_b32_e32 v32, 0xffff, v2
	v_mov_b32_e32 v30, 0x7c010000
	s_mov_b32 s30, exec_lo
	s_delay_alu instid0(VALU_DEP_2) | instskip(NEXT) | instid1(VALU_DEP_1)
	v_and_b32_e32 v34, 0x7f, v32
	v_cmpx_ne_u32_e32 0x7f, v34
	s_cbranch_execz .LBB267_87
; %bb.84:                               ;   in Loop: Header=BB267_9 Depth=1
	v_dual_lshrrev_b32 v33, 3, v34 :: v_dual_bitop2_b32 v30, 7, v32 bitop3:0x40
	s_mov_b32 s31, exec_lo
	v_cmpx_gt_u32_e32 8, v34
; %bb.85:                               ;   in Loop: Header=BB267_9 Depth=1
	s_delay_alu instid0(VALU_DEP_2) | instskip(NEXT) | instid1(VALU_DEP_1)
	v_clz_i32_u32_e32 v30, v30
	v_min_u32_e32 v30, 32, v30
	s_delay_alu instid0(VALU_DEP_1) | instskip(NEXT) | instid1(VALU_DEP_1)
	v_subrev_nc_u32_e32 v33, 28, v30
	v_lshlrev_b64_e32 v[34:35], v33, v[2:3]
	v_sub_nc_u32_e32 v33, 29, v30
	s_delay_alu instid0(VALU_DEP_2)
	v_and_b32_e32 v30, 7, v34
; %bb.86:                               ;   in Loop: Header=BB267_9 Depth=1
	s_or_b32 exec_lo, exec_lo, s31
	s_delay_alu instid0(VALU_DEP_1) | instskip(NEXT) | instid1(VALU_DEP_3)
	v_dual_lshlrev_b32 v2, 8, v32 :: v_dual_lshlrev_b32 v30, 23, v30
	v_lshl_add_u32 v32, v33, 10, 0x2000
	s_delay_alu instid0(VALU_DEP_1) | instskip(NEXT) | instid1(VALU_DEP_1)
	v_and_or_b32 v2, 0x8000, v2, v32
	v_lshl_or_b32 v30, v2, 16, v30
.LBB267_87:                             ;   in Loop: Header=BB267_9 Depth=1
	s_or_b32 exec_lo, exec_lo, s30
.LBB267_88:                             ;   in Loop: Header=BB267_9 Depth=1
	s_delay_alu instid0(SALU_CYCLE_1)
	s_or_b32 exec_lo, exec_lo, s29
.LBB267_89:                             ;   in Loop: Header=BB267_9 Depth=1
	s_delay_alu instid0(SALU_CYCLE_1) | instskip(SKIP_3) | instid1(VALU_DEP_2)
	s_or_b32 exec_lo, exec_lo, s28
	v_dual_lshrrev_b32 v2, 16, v10 :: v_dual_mov_b32 v34, 0
	v_mov_b32_e32 v35, 0
	s_mov_b32 s28, exec_lo
	v_and_b32_e32 v32, 0xff, v2
	s_delay_alu instid0(VALU_DEP_1)
	v_cmpx_ne_u16_e32 0, v32
	s_cbranch_execz .LBB267_97
; %bb.90:                               ;   in Loop: Header=BB267_9 Depth=1
	v_mov_b32_e32 v35, 0x8000
	s_mov_b32 s29, exec_lo
	v_cmpx_ne_u16_e32 0x80, v32
	s_cbranch_execz .LBB267_96
; %bb.91:                               ;   in Loop: Header=BB267_9 Depth=1
	v_bfe_u32 v36, v10, 16, 7
	v_mov_b32_e32 v35, 0x7c01
	s_mov_b32 s30, exec_lo
	s_delay_alu instid0(VALU_DEP_2)
	v_cmpx_ne_u32_e32 0x7f, v36
	s_cbranch_execz .LBB267_95
; %bb.92:                               ;   in Loop: Header=BB267_9 Depth=1
	v_dual_lshrrev_b32 v33, 3, v36 :: v_dual_bitop2_b32 v32, 7, v2 bitop3:0x40
	s_mov_b32 s31, exec_lo
	v_cmpx_gt_u32_e32 8, v36
; %bb.93:                               ;   in Loop: Header=BB267_9 Depth=1
	s_delay_alu instid0(VALU_DEP_2) | instskip(NEXT) | instid1(VALU_DEP_1)
	v_clz_i32_u32_e32 v32, v32
	v_min_u32_e32 v35, 32, v32
	s_delay_alu instid0(VALU_DEP_1) | instskip(NEXT) | instid1(VALU_DEP_1)
	v_subrev_nc_u32_e32 v32, 28, v35
	v_lshlrev_b64_e32 v[32:33], v32, v[2:3]
	s_delay_alu instid0(VALU_DEP_1)
	v_dual_sub_nc_u32 v33, 29, v35 :: v_dual_bitop2_b32 v32, 7, v32 bitop3:0x40
; %bb.94:                               ;   in Loop: Header=BB267_9 Depth=1
	s_or_b32 exec_lo, exec_lo, s31
	s_delay_alu instid0(VALU_DEP_1) | instskip(NEXT) | instid1(VALU_DEP_2)
	v_dual_lshlrev_b32 v2, 8, v2 :: v_dual_lshlrev_b32 v32, 7, v32
	v_lshl_add_u32 v33, v33, 10, 0x2000
	s_delay_alu instid0(VALU_DEP_2) | instskip(NEXT) | instid1(VALU_DEP_2)
	v_and_b32_e32 v2, 0x8000, v2
	v_and_b32_e32 v33, 0xfc00, v33
	s_delay_alu instid0(VALU_DEP_1)
	v_or3_b32 v35, v2, v33, v32
.LBB267_95:                             ;   in Loop: Header=BB267_9 Depth=1
	s_or_b32 exec_lo, exec_lo, s30
.LBB267_96:                             ;   in Loop: Header=BB267_9 Depth=1
	s_delay_alu instid0(SALU_CYCLE_1)
	s_or_b32 exec_lo, exec_lo, s29
.LBB267_97:                             ;   in Loop: Header=BB267_9 Depth=1
	s_delay_alu instid0(SALU_CYCLE_1) | instskip(NEXT) | instid1(SALU_CYCLE_1)
	s_or_b32 exec_lo, exec_lo, s28
	s_mov_b32 s28, exec_lo
	v_cmpx_lt_u32_e32 0xffffff, v10
	s_cbranch_execz .LBB267_105
; %bb.98:                               ;   in Loop: Header=BB267_9 Depth=1
	v_lshrrev_b32_e32 v2, 24, v10
	v_bfrev_b32_e32 v34, 1
	s_mov_b32 s29, exec_lo
	s_delay_alu instid0(VALU_DEP_2)
	v_cmpx_ne_u32_e32 0x80, v2
	s_cbranch_execz .LBB267_104
; %bb.99:                               ;   in Loop: Header=BB267_9 Depth=1
	v_and_b32_e32 v33, 0x7f, v2
	v_mov_b32_e32 v34, 0x7c010000
	s_mov_b32 s30, exec_lo
	s_delay_alu instid0(VALU_DEP_2)
	v_cmpx_ne_u32_e32 0x7f, v33
	s_cbranch_execz .LBB267_103
; %bb.100:                              ;   in Loop: Header=BB267_9 Depth=1
	v_dual_lshrrev_b32 v32, 3, v33 :: v_dual_bitop2_b32 v10, 7, v2 bitop3:0x40
	s_mov_b32 s31, exec_lo
	v_cmpx_gt_u32_e32 8, v33
; %bb.101:                              ;   in Loop: Header=BB267_9 Depth=1
	s_delay_alu instid0(VALU_DEP_2) | instskip(NEXT) | instid1(VALU_DEP_1)
	v_clz_i32_u32_e32 v10, v10
	v_min_u32_e32 v10, 32, v10
	s_delay_alu instid0(VALU_DEP_1) | instskip(NEXT) | instid1(VALU_DEP_1)
	v_subrev_nc_u32_e32 v32, 28, v10
	v_lshlrev_b64_e32 v[36:37], v32, v[2:3]
	s_delay_alu instid0(VALU_DEP_1)
	v_dual_sub_nc_u32 v32, 29, v10 :: v_dual_bitop2_b32 v10, 7, v36 bitop3:0x40
; %bb.102:                              ;   in Loop: Header=BB267_9 Depth=1
	s_or_b32 exec_lo, exec_lo, s31
	v_lshlrev_b32_e32 v2, 8, v2
	s_delay_alu instid0(VALU_DEP_2) | instskip(NEXT) | instid1(VALU_DEP_3)
	v_lshl_add_u32 v32, v32, 10, 0x2000
	v_lshlrev_b32_e32 v10, 23, v10
	s_delay_alu instid0(VALU_DEP_2) | instskip(NEXT) | instid1(VALU_DEP_1)
	v_and_or_b32 v2, 0x8000, v2, v32
	v_lshl_or_b32 v34, v2, 16, v10
.LBB267_103:                            ;   in Loop: Header=BB267_9 Depth=1
	s_or_b32 exec_lo, exec_lo, s30
.LBB267_104:                            ;   in Loop: Header=BB267_9 Depth=1
	s_delay_alu instid0(SALU_CYCLE_1)
	s_or_b32 exec_lo, exec_lo, s29
.LBB267_105:                            ;   in Loop: Header=BB267_9 Depth=1
	s_delay_alu instid0(SALU_CYCLE_1)
	s_or_b32 exec_lo, exec_lo, s28
	global_load_b32 v10, v[8:9], off offset:264
	v_dual_mov_b32 v32, 0 :: v_dual_mov_b32 v33, 0
	s_mov_b32 s28, exec_lo
	s_wait_loadcnt 0x0
	v_and_b32_e32 v2, 0xff, v10
	s_delay_alu instid0(VALU_DEP_1)
	v_cmpx_ne_u16_e32 0, v2
	s_cbranch_execz .LBB267_113
; %bb.106:                              ;   in Loop: Header=BB267_9 Depth=1
	v_mov_b32_e32 v33, 0x8000
	s_mov_b32 s29, exec_lo
	v_cmpx_ne_u16_e32 0x80, v2
	s_cbranch_execz .LBB267_112
; %bb.107:                              ;   in Loop: Header=BB267_9 Depth=1
	v_and_b32_e32 v36, 0x7f, v10
	v_mov_b32_e32 v33, 0x7c01
	s_mov_b32 s30, exec_lo
	s_delay_alu instid0(VALU_DEP_2)
	v_cmpx_ne_u32_e32 0x7f, v36
	s_cbranch_execz .LBB267_111
; %bb.108:                              ;   in Loop: Header=BB267_9 Depth=1
	v_dual_lshrrev_b32 v33, 3, v36 :: v_dual_bitop2_b32 v2, 7, v10 bitop3:0x40
	s_mov_b32 s31, exec_lo
	v_cmpx_gt_u32_e32 8, v36
; %bb.109:                              ;   in Loop: Header=BB267_9 Depth=1
	s_delay_alu instid0(VALU_DEP_2) | instskip(NEXT) | instid1(VALU_DEP_1)
	v_clz_i32_u32_e32 v2, v2
	v_min_u32_e32 v2, 32, v2
	s_delay_alu instid0(VALU_DEP_1) | instskip(NEXT) | instid1(VALU_DEP_1)
	v_subrev_nc_u32_e32 v33, 28, v2
	v_lshlrev_b64_e32 v[36:37], v33, v[10:11]
	s_delay_alu instid0(VALU_DEP_1)
	v_dual_sub_nc_u32 v33, 29, v2 :: v_dual_bitop2_b32 v2, 7, v36 bitop3:0x40
; %bb.110:                              ;   in Loop: Header=BB267_9 Depth=1
	s_or_b32 exec_lo, exec_lo, s31
	v_lshlrev_b32_e32 v36, 8, v10
	s_delay_alu instid0(VALU_DEP_2) | instskip(NEXT) | instid1(VALU_DEP_3)
	v_lshl_add_u32 v33, v33, 10, 0x2000
	v_lshlrev_b32_e32 v2, 7, v2
	s_delay_alu instid0(VALU_DEP_3) | instskip(NEXT) | instid1(VALU_DEP_3)
	v_and_b32_e32 v36, 0x8000, v36
	v_and_b32_e32 v33, 0xfc00, v33
	s_delay_alu instid0(VALU_DEP_1)
	v_or3_b32 v33, v36, v33, v2
.LBB267_111:                            ;   in Loop: Header=BB267_9 Depth=1
	s_or_b32 exec_lo, exec_lo, s30
.LBB267_112:                            ;   in Loop: Header=BB267_9 Depth=1
	s_delay_alu instid0(SALU_CYCLE_1)
	s_or_b32 exec_lo, exec_lo, s29
.LBB267_113:                            ;   in Loop: Header=BB267_9 Depth=1
	s_delay_alu instid0(SALU_CYCLE_1) | instskip(SKIP_2) | instid1(VALU_DEP_1)
	s_or_b32 exec_lo, exec_lo, s28
	v_lshrrev_b16 v2, 8, v10
	s_mov_b32 s28, exec_lo
	v_cmpx_ne_u16_e32 0, v2
	s_cbranch_execz .LBB267_121
; %bb.114:                              ;   in Loop: Header=BB267_9 Depth=1
	v_bfrev_b32_e32 v32, 1
	s_mov_b32 s29, exec_lo
	v_cmpx_ne_u16_e32 0x80, v2
	s_cbranch_execz .LBB267_120
; %bb.115:                              ;   in Loop: Header=BB267_9 Depth=1
	v_and_b32_e32 v36, 0xffff, v2
	v_mov_b32_e32 v32, 0x7c010000
	s_mov_b32 s30, exec_lo
	s_delay_alu instid0(VALU_DEP_2) | instskip(NEXT) | instid1(VALU_DEP_1)
	v_and_b32_e32 v38, 0x7f, v36
	v_cmpx_ne_u32_e32 0x7f, v38
	s_cbranch_execz .LBB267_119
; %bb.116:                              ;   in Loop: Header=BB267_9 Depth=1
	v_dual_lshrrev_b32 v37, 3, v38 :: v_dual_bitop2_b32 v32, 7, v36 bitop3:0x40
	s_mov_b32 s31, exec_lo
	v_cmpx_gt_u32_e32 8, v38
; %bb.117:                              ;   in Loop: Header=BB267_9 Depth=1
	s_delay_alu instid0(VALU_DEP_2) | instskip(NEXT) | instid1(VALU_DEP_1)
	v_clz_i32_u32_e32 v32, v32
	v_min_u32_e32 v32, 32, v32
	s_delay_alu instid0(VALU_DEP_1) | instskip(NEXT) | instid1(VALU_DEP_1)
	v_subrev_nc_u32_e32 v37, 28, v32
	v_lshlrev_b64_e32 v[38:39], v37, v[2:3]
	s_delay_alu instid0(VALU_DEP_1)
	v_dual_sub_nc_u32 v37, 29, v32 :: v_dual_bitop2_b32 v32, 7, v38 bitop3:0x40
; %bb.118:                              ;   in Loop: Header=BB267_9 Depth=1
	s_or_b32 exec_lo, exec_lo, s31
	v_lshlrev_b32_e32 v2, 8, v36
	s_delay_alu instid0(VALU_DEP_2) | instskip(NEXT) | instid1(VALU_DEP_3)
	v_lshl_add_u32 v36, v37, 10, 0x2000
	v_lshlrev_b32_e32 v32, 23, v32
	s_delay_alu instid0(VALU_DEP_2) | instskip(NEXT) | instid1(VALU_DEP_1)
	v_and_or_b32 v2, 0x8000, v2, v36
	v_lshl_or_b32 v32, v2, 16, v32
.LBB267_119:                            ;   in Loop: Header=BB267_9 Depth=1
	s_or_b32 exec_lo, exec_lo, s30
.LBB267_120:                            ;   in Loop: Header=BB267_9 Depth=1
	s_delay_alu instid0(SALU_CYCLE_1)
	s_or_b32 exec_lo, exec_lo, s29
.LBB267_121:                            ;   in Loop: Header=BB267_9 Depth=1
	s_delay_alu instid0(SALU_CYCLE_1) | instskip(SKIP_3) | instid1(VALU_DEP_2)
	s_or_b32 exec_lo, exec_lo, s28
	v_dual_lshrrev_b32 v2, 16, v10 :: v_dual_mov_b32 v36, 0
	v_mov_b32_e32 v37, 0
	s_mov_b32 s28, exec_lo
	v_and_b32_e32 v38, 0xff, v2
	s_delay_alu instid0(VALU_DEP_1)
	v_cmpx_ne_u16_e32 0, v38
	s_cbranch_execz .LBB267_129
; %bb.122:                              ;   in Loop: Header=BB267_9 Depth=1
	v_mov_b32_e32 v37, 0x8000
	s_mov_b32 s29, exec_lo
	v_cmpx_ne_u16_e32 0x80, v38
	s_cbranch_execz .LBB267_128
; %bb.123:                              ;   in Loop: Header=BB267_9 Depth=1
	v_bfe_u32 v39, v10, 16, 7
	v_mov_b32_e32 v37, 0x7c01
	s_mov_b32 s30, exec_lo
	s_delay_alu instid0(VALU_DEP_2)
	v_cmpx_ne_u32_e32 0x7f, v39
	s_cbranch_execz .LBB267_127
; %bb.124:                              ;   in Loop: Header=BB267_9 Depth=1
	v_dual_lshrrev_b32 v38, 3, v39 :: v_dual_bitop2_b32 v37, 7, v2 bitop3:0x40
	s_mov_b32 s31, exec_lo
	v_cmpx_gt_u32_e32 8, v39
; %bb.125:                              ;   in Loop: Header=BB267_9 Depth=1
	s_delay_alu instid0(VALU_DEP_2) | instskip(NEXT) | instid1(VALU_DEP_1)
	v_clz_i32_u32_e32 v37, v37
	v_min_u32_e32 v37, 32, v37
	s_delay_alu instid0(VALU_DEP_1) | instskip(NEXT) | instid1(VALU_DEP_1)
	v_subrev_nc_u32_e32 v38, 28, v37
	v_lshlrev_b64_e32 v[40:41], v38, v[2:3]
	s_delay_alu instid0(VALU_DEP_1)
	v_dual_sub_nc_u32 v38, 29, v37 :: v_dual_bitop2_b32 v37, 7, v40 bitop3:0x40
; %bb.126:                              ;   in Loop: Header=BB267_9 Depth=1
	s_or_b32 exec_lo, exec_lo, s31
	s_delay_alu instid0(VALU_DEP_1) | instskip(NEXT) | instid1(VALU_DEP_2)
	v_dual_lshlrev_b32 v2, 8, v2 :: v_dual_lshlrev_b32 v37, 7, v37
	v_lshl_add_u32 v38, v38, 10, 0x2000
	s_delay_alu instid0(VALU_DEP_2) | instskip(NEXT) | instid1(VALU_DEP_2)
	v_and_b32_e32 v2, 0x8000, v2
	v_and_b32_e32 v38, 0xfc00, v38
	s_delay_alu instid0(VALU_DEP_1)
	v_or3_b32 v37, v2, v38, v37
.LBB267_127:                            ;   in Loop: Header=BB267_9 Depth=1
	s_or_b32 exec_lo, exec_lo, s30
.LBB267_128:                            ;   in Loop: Header=BB267_9 Depth=1
	s_delay_alu instid0(SALU_CYCLE_1)
	s_or_b32 exec_lo, exec_lo, s29
.LBB267_129:                            ;   in Loop: Header=BB267_9 Depth=1
	s_delay_alu instid0(SALU_CYCLE_1) | instskip(NEXT) | instid1(SALU_CYCLE_1)
	s_or_b32 exec_lo, exec_lo, s28
	s_mov_b32 s28, exec_lo
	v_cmpx_lt_u32_e32 0xffffff, v10
	s_cbranch_execz .LBB267_137
; %bb.130:                              ;   in Loop: Header=BB267_9 Depth=1
	v_lshrrev_b32_e32 v2, 24, v10
	v_bfrev_b32_e32 v36, 1
	s_mov_b32 s29, exec_lo
	s_delay_alu instid0(VALU_DEP_2)
	v_cmpx_ne_u32_e32 0x80, v2
	s_cbranch_execz .LBB267_136
; %bb.131:                              ;   in Loop: Header=BB267_9 Depth=1
	v_and_b32_e32 v38, 0x7f, v2
	v_mov_b32_e32 v36, 0x7c010000
	s_mov_b32 s30, exec_lo
	s_delay_alu instid0(VALU_DEP_2)
	v_cmpx_ne_u32_e32 0x7f, v38
	s_cbranch_execz .LBB267_135
; %bb.132:                              ;   in Loop: Header=BB267_9 Depth=1
	v_and_b32_e32 v10, 7, v2
	v_lshrrev_b32_e32 v36, 3, v38
	s_mov_b32 s31, exec_lo
	v_cmpx_gt_u32_e32 8, v38
; %bb.133:                              ;   in Loop: Header=BB267_9 Depth=1
	s_delay_alu instid0(VALU_DEP_3) | instskip(NEXT) | instid1(VALU_DEP_1)
	v_clz_i32_u32_e32 v10, v10
	v_min_u32_e32 v10, 32, v10
	s_delay_alu instid0(VALU_DEP_1) | instskip(NEXT) | instid1(VALU_DEP_1)
	v_subrev_nc_u32_e32 v36, 28, v10
	v_lshlrev_b64_e32 v[38:39], v36, v[2:3]
	v_sub_nc_u32_e32 v36, 29, v10
	s_delay_alu instid0(VALU_DEP_2)
	v_and_b32_e32 v10, 7, v38
; %bb.134:                              ;   in Loop: Header=BB267_9 Depth=1
	s_or_b32 exec_lo, exec_lo, s31
	v_lshlrev_b32_e32 v2, 8, v2
	s_delay_alu instid0(VALU_DEP_3) | instskip(NEXT) | instid1(VALU_DEP_3)
	v_lshl_add_u32 v36, v36, 10, 0x2000
	v_lshlrev_b32_e32 v10, 23, v10
	s_delay_alu instid0(VALU_DEP_2) | instskip(NEXT) | instid1(VALU_DEP_1)
	v_and_or_b32 v2, 0x8000, v2, v36
	v_lshl_or_b32 v36, v2, 16, v10
.LBB267_135:                            ;   in Loop: Header=BB267_9 Depth=1
	s_or_b32 exec_lo, exec_lo, s30
.LBB267_136:                            ;   in Loop: Header=BB267_9 Depth=1
	s_delay_alu instid0(SALU_CYCLE_1)
	s_or_b32 exec_lo, exec_lo, s29
.LBB267_137:                            ;   in Loop: Header=BB267_9 Depth=1
	s_delay_alu instid0(SALU_CYCLE_1)
	s_or_b32 exec_lo, exec_lo, s28
	global_load_b32 v10, v[8:9], off offset:512
	v_dual_mov_b32 v38, 0 :: v_dual_mov_b32 v39, 0
	s_mov_b32 s28, exec_lo
	s_wait_loadcnt 0x0
	v_and_b32_e32 v2, 0xff, v10
	s_delay_alu instid0(VALU_DEP_1)
	v_cmpx_ne_u16_e32 0, v2
	s_cbranch_execz .LBB267_145
; %bb.138:                              ;   in Loop: Header=BB267_9 Depth=1
	v_mov_b32_e32 v39, 0x8000
	s_mov_b32 s29, exec_lo
	v_cmpx_ne_u16_e32 0x80, v2
	s_cbranch_execz .LBB267_144
; %bb.139:                              ;   in Loop: Header=BB267_9 Depth=1
	v_and_b32_e32 v40, 0x7f, v10
	v_mov_b32_e32 v39, 0x7c01
	s_mov_b32 s30, exec_lo
	s_delay_alu instid0(VALU_DEP_2)
	v_cmpx_ne_u32_e32 0x7f, v40
	s_cbranch_execz .LBB267_143
; %bb.140:                              ;   in Loop: Header=BB267_9 Depth=1
	v_dual_lshrrev_b32 v39, 3, v40 :: v_dual_bitop2_b32 v2, 7, v10 bitop3:0x40
	s_mov_b32 s31, exec_lo
	v_cmpx_gt_u32_e32 8, v40
; %bb.141:                              ;   in Loop: Header=BB267_9 Depth=1
	s_delay_alu instid0(VALU_DEP_2) | instskip(NEXT) | instid1(VALU_DEP_1)
	v_clz_i32_u32_e32 v2, v2
	v_min_u32_e32 v2, 32, v2
	s_delay_alu instid0(VALU_DEP_1) | instskip(NEXT) | instid1(VALU_DEP_1)
	v_subrev_nc_u32_e32 v39, 28, v2
	v_lshlrev_b64_e32 v[40:41], v39, v[10:11]
	s_delay_alu instid0(VALU_DEP_1)
	v_dual_sub_nc_u32 v39, 29, v2 :: v_dual_bitop2_b32 v2, 7, v40 bitop3:0x40
; %bb.142:                              ;   in Loop: Header=BB267_9 Depth=1
	s_or_b32 exec_lo, exec_lo, s31
	v_lshlrev_b32_e32 v40, 8, v10
	s_delay_alu instid0(VALU_DEP_2) | instskip(NEXT) | instid1(VALU_DEP_3)
	v_lshl_add_u32 v39, v39, 10, 0x2000
	v_lshlrev_b32_e32 v2, 7, v2
	s_delay_alu instid0(VALU_DEP_3) | instskip(NEXT) | instid1(VALU_DEP_3)
	v_and_b32_e32 v40, 0x8000, v40
	v_and_b32_e32 v39, 0xfc00, v39
	s_delay_alu instid0(VALU_DEP_1)
	v_or3_b32 v39, v40, v39, v2
.LBB267_143:                            ;   in Loop: Header=BB267_9 Depth=1
	s_or_b32 exec_lo, exec_lo, s30
.LBB267_144:                            ;   in Loop: Header=BB267_9 Depth=1
	s_delay_alu instid0(SALU_CYCLE_1)
	s_or_b32 exec_lo, exec_lo, s29
.LBB267_145:                            ;   in Loop: Header=BB267_9 Depth=1
	s_delay_alu instid0(SALU_CYCLE_1) | instskip(SKIP_2) | instid1(VALU_DEP_1)
	s_or_b32 exec_lo, exec_lo, s28
	v_lshrrev_b16 v2, 8, v10
	s_mov_b32 s28, exec_lo
	v_cmpx_ne_u16_e32 0, v2
	s_cbranch_execz .LBB267_153
; %bb.146:                              ;   in Loop: Header=BB267_9 Depth=1
	v_bfrev_b32_e32 v38, 1
	s_mov_b32 s29, exec_lo
	v_cmpx_ne_u16_e32 0x80, v2
	s_cbranch_execz .LBB267_152
; %bb.147:                              ;   in Loop: Header=BB267_9 Depth=1
	v_and_b32_e32 v40, 0xffff, v2
	v_mov_b32_e32 v38, 0x7c010000
	s_mov_b32 s30, exec_lo
	s_delay_alu instid0(VALU_DEP_2) | instskip(NEXT) | instid1(VALU_DEP_1)
	v_and_b32_e32 v42, 0x7f, v40
	v_cmpx_ne_u32_e32 0x7f, v42
	s_cbranch_execz .LBB267_151
; %bb.148:                              ;   in Loop: Header=BB267_9 Depth=1
	v_dual_lshrrev_b32 v41, 3, v42 :: v_dual_bitop2_b32 v38, 7, v40 bitop3:0x40
	s_mov_b32 s31, exec_lo
	v_cmpx_gt_u32_e32 8, v42
; %bb.149:                              ;   in Loop: Header=BB267_9 Depth=1
	s_delay_alu instid0(VALU_DEP_2) | instskip(NEXT) | instid1(VALU_DEP_1)
	v_clz_i32_u32_e32 v38, v38
	v_min_u32_e32 v38, 32, v38
	s_delay_alu instid0(VALU_DEP_1) | instskip(NEXT) | instid1(VALU_DEP_1)
	v_subrev_nc_u32_e32 v41, 28, v38
	v_lshlrev_b64_e32 v[42:43], v41, v[2:3]
	v_sub_nc_u32_e32 v41, 29, v38
	s_delay_alu instid0(VALU_DEP_2)
	v_and_b32_e32 v38, 7, v42
; %bb.150:                              ;   in Loop: Header=BB267_9 Depth=1
	s_or_b32 exec_lo, exec_lo, s31
	s_delay_alu instid0(VALU_DEP_1) | instskip(NEXT) | instid1(VALU_DEP_3)
	v_dual_lshlrev_b32 v2, 8, v40 :: v_dual_lshlrev_b32 v38, 23, v38
	v_lshl_add_u32 v40, v41, 10, 0x2000
	s_delay_alu instid0(VALU_DEP_1) | instskip(NEXT) | instid1(VALU_DEP_1)
	v_and_or_b32 v2, 0x8000, v2, v40
	v_lshl_or_b32 v38, v2, 16, v38
.LBB267_151:                            ;   in Loop: Header=BB267_9 Depth=1
	s_or_b32 exec_lo, exec_lo, s30
.LBB267_152:                            ;   in Loop: Header=BB267_9 Depth=1
	s_delay_alu instid0(SALU_CYCLE_1)
	s_or_b32 exec_lo, exec_lo, s29
.LBB267_153:                            ;   in Loop: Header=BB267_9 Depth=1
	s_delay_alu instid0(SALU_CYCLE_1) | instskip(SKIP_3) | instid1(VALU_DEP_2)
	s_or_b32 exec_lo, exec_lo, s28
	v_dual_lshrrev_b32 v2, 16, v10 :: v_dual_mov_b32 v40, 0
	v_mov_b32_e32 v41, 0
	s_mov_b32 s28, exec_lo
	v_and_b32_e32 v42, 0xff, v2
	s_delay_alu instid0(VALU_DEP_1)
	v_cmpx_ne_u16_e32 0, v42
	s_cbranch_execz .LBB267_161
; %bb.154:                              ;   in Loop: Header=BB267_9 Depth=1
	v_mov_b32_e32 v41, 0x8000
	s_mov_b32 s29, exec_lo
	v_cmpx_ne_u16_e32 0x80, v42
	s_cbranch_execz .LBB267_160
; %bb.155:                              ;   in Loop: Header=BB267_9 Depth=1
	v_bfe_u32 v43, v10, 16, 7
	v_mov_b32_e32 v41, 0x7c01
	s_mov_b32 s30, exec_lo
	s_delay_alu instid0(VALU_DEP_2)
	v_cmpx_ne_u32_e32 0x7f, v43
	s_cbranch_execz .LBB267_159
; %bb.156:                              ;   in Loop: Header=BB267_9 Depth=1
	v_dual_lshrrev_b32 v42, 3, v43 :: v_dual_bitop2_b32 v41, 7, v2 bitop3:0x40
	s_mov_b32 s31, exec_lo
	v_cmpx_gt_u32_e32 8, v43
; %bb.157:                              ;   in Loop: Header=BB267_9 Depth=1
	s_delay_alu instid0(VALU_DEP_2) | instskip(NEXT) | instid1(VALU_DEP_1)
	v_clz_i32_u32_e32 v41, v41
	v_min_u32_e32 v41, 32, v41
	s_delay_alu instid0(VALU_DEP_1) | instskip(NEXT) | instid1(VALU_DEP_1)
	v_subrev_nc_u32_e32 v42, 28, v41
	v_lshlrev_b64_e32 v[44:45], v42, v[2:3]
	s_delay_alu instid0(VALU_DEP_1)
	v_dual_sub_nc_u32 v42, 29, v41 :: v_dual_bitop2_b32 v41, 7, v44 bitop3:0x40
; %bb.158:                              ;   in Loop: Header=BB267_9 Depth=1
	s_or_b32 exec_lo, exec_lo, s31
	s_delay_alu instid0(VALU_DEP_1) | instskip(NEXT) | instid1(VALU_DEP_2)
	v_dual_lshlrev_b32 v2, 8, v2 :: v_dual_lshlrev_b32 v41, 7, v41
	v_lshl_add_u32 v42, v42, 10, 0x2000
	s_delay_alu instid0(VALU_DEP_2) | instskip(NEXT) | instid1(VALU_DEP_2)
	v_and_b32_e32 v2, 0x8000, v2
	v_and_b32_e32 v42, 0xfc00, v42
	s_delay_alu instid0(VALU_DEP_1)
	v_or3_b32 v41, v2, v42, v41
.LBB267_159:                            ;   in Loop: Header=BB267_9 Depth=1
	s_or_b32 exec_lo, exec_lo, s30
.LBB267_160:                            ;   in Loop: Header=BB267_9 Depth=1
	s_delay_alu instid0(SALU_CYCLE_1)
	s_or_b32 exec_lo, exec_lo, s29
.LBB267_161:                            ;   in Loop: Header=BB267_9 Depth=1
	s_delay_alu instid0(SALU_CYCLE_1) | instskip(NEXT) | instid1(SALU_CYCLE_1)
	s_or_b32 exec_lo, exec_lo, s28
	s_mov_b32 s28, exec_lo
	v_cmpx_lt_u32_e32 0xffffff, v10
	s_cbranch_execz .LBB267_169
; %bb.162:                              ;   in Loop: Header=BB267_9 Depth=1
	v_lshrrev_b32_e32 v2, 24, v10
	v_bfrev_b32_e32 v40, 1
	s_mov_b32 s29, exec_lo
	s_delay_alu instid0(VALU_DEP_2)
	v_cmpx_ne_u32_e32 0x80, v2
	s_cbranch_execz .LBB267_168
; %bb.163:                              ;   in Loop: Header=BB267_9 Depth=1
	v_and_b32_e32 v42, 0x7f, v2
	v_mov_b32_e32 v40, 0x7c010000
	s_mov_b32 s30, exec_lo
	s_delay_alu instid0(VALU_DEP_2)
	v_cmpx_ne_u32_e32 0x7f, v42
	s_cbranch_execz .LBB267_167
; %bb.164:                              ;   in Loop: Header=BB267_9 Depth=1
	v_and_b32_e32 v10, 7, v2
	v_lshrrev_b32_e32 v40, 3, v42
	s_mov_b32 s31, exec_lo
	v_cmpx_gt_u32_e32 8, v42
; %bb.165:                              ;   in Loop: Header=BB267_9 Depth=1
	s_delay_alu instid0(VALU_DEP_3) | instskip(NEXT) | instid1(VALU_DEP_1)
	v_clz_i32_u32_e32 v10, v10
	v_min_u32_e32 v10, 32, v10
	s_delay_alu instid0(VALU_DEP_1) | instskip(NEXT) | instid1(VALU_DEP_1)
	v_subrev_nc_u32_e32 v40, 28, v10
	v_lshlrev_b64_e32 v[42:43], v40, v[2:3]
	v_sub_nc_u32_e32 v40, 29, v10
	s_delay_alu instid0(VALU_DEP_2)
	v_and_b32_e32 v10, 7, v42
; %bb.166:                              ;   in Loop: Header=BB267_9 Depth=1
	s_or_b32 exec_lo, exec_lo, s31
	v_lshlrev_b32_e32 v2, 8, v2
	s_delay_alu instid0(VALU_DEP_3) | instskip(NEXT) | instid1(VALU_DEP_3)
	v_lshl_add_u32 v40, v40, 10, 0x2000
	v_lshlrev_b32_e32 v10, 23, v10
	s_delay_alu instid0(VALU_DEP_2) | instskip(NEXT) | instid1(VALU_DEP_1)
	v_and_or_b32 v2, 0x8000, v2, v40
	v_lshl_or_b32 v40, v2, 16, v10
.LBB267_167:                            ;   in Loop: Header=BB267_9 Depth=1
	s_or_b32 exec_lo, exec_lo, s30
.LBB267_168:                            ;   in Loop: Header=BB267_9 Depth=1
	s_delay_alu instid0(SALU_CYCLE_1)
	s_or_b32 exec_lo, exec_lo, s29
.LBB267_169:                            ;   in Loop: Header=BB267_9 Depth=1
	s_delay_alu instid0(SALU_CYCLE_1)
	s_or_b32 exec_lo, exec_lo, s28
	global_load_b32 v10, v[8:9], off offset:520
	v_dual_mov_b32 v42, 0 :: v_dual_mov_b32 v43, 0
	s_mov_b32 s28, exec_lo
	s_wait_loadcnt 0x0
	v_and_b32_e32 v2, 0xff, v10
	s_delay_alu instid0(VALU_DEP_1)
	v_cmpx_ne_u16_e32 0, v2
	s_cbranch_execz .LBB267_177
; %bb.170:                              ;   in Loop: Header=BB267_9 Depth=1
	v_mov_b32_e32 v43, 0x8000
	s_mov_b32 s29, exec_lo
	v_cmpx_ne_u16_e32 0x80, v2
	s_cbranch_execz .LBB267_176
; %bb.171:                              ;   in Loop: Header=BB267_9 Depth=1
	v_and_b32_e32 v44, 0x7f, v10
	v_mov_b32_e32 v43, 0x7c01
	s_mov_b32 s30, exec_lo
	s_delay_alu instid0(VALU_DEP_2)
	v_cmpx_ne_u32_e32 0x7f, v44
	s_cbranch_execz .LBB267_175
; %bb.172:                              ;   in Loop: Header=BB267_9 Depth=1
	v_dual_lshrrev_b32 v43, 3, v44 :: v_dual_bitop2_b32 v2, 7, v10 bitop3:0x40
	s_mov_b32 s31, exec_lo
	v_cmpx_gt_u32_e32 8, v44
; %bb.173:                              ;   in Loop: Header=BB267_9 Depth=1
	s_delay_alu instid0(VALU_DEP_2) | instskip(NEXT) | instid1(VALU_DEP_1)
	v_clz_i32_u32_e32 v2, v2
	v_min_u32_e32 v2, 32, v2
	s_delay_alu instid0(VALU_DEP_1) | instskip(NEXT) | instid1(VALU_DEP_1)
	v_subrev_nc_u32_e32 v43, 28, v2
	v_lshlrev_b64_e32 v[44:45], v43, v[10:11]
	s_delay_alu instid0(VALU_DEP_1)
	v_dual_sub_nc_u32 v43, 29, v2 :: v_dual_bitop2_b32 v2, 7, v44 bitop3:0x40
; %bb.174:                              ;   in Loop: Header=BB267_9 Depth=1
	s_or_b32 exec_lo, exec_lo, s31
	v_lshlrev_b32_e32 v44, 8, v10
	s_delay_alu instid0(VALU_DEP_2) | instskip(NEXT) | instid1(VALU_DEP_3)
	v_lshl_add_u32 v43, v43, 10, 0x2000
	v_lshlrev_b32_e32 v2, 7, v2
	s_delay_alu instid0(VALU_DEP_3) | instskip(NEXT) | instid1(VALU_DEP_3)
	v_and_b32_e32 v44, 0x8000, v44
	v_and_b32_e32 v43, 0xfc00, v43
	s_delay_alu instid0(VALU_DEP_1)
	v_or3_b32 v43, v44, v43, v2
.LBB267_175:                            ;   in Loop: Header=BB267_9 Depth=1
	s_or_b32 exec_lo, exec_lo, s30
.LBB267_176:                            ;   in Loop: Header=BB267_9 Depth=1
	s_delay_alu instid0(SALU_CYCLE_1)
	s_or_b32 exec_lo, exec_lo, s29
.LBB267_177:                            ;   in Loop: Header=BB267_9 Depth=1
	s_delay_alu instid0(SALU_CYCLE_1) | instskip(SKIP_2) | instid1(VALU_DEP_1)
	s_or_b32 exec_lo, exec_lo, s28
	v_lshrrev_b16 v2, 8, v10
	s_mov_b32 s28, exec_lo
	v_cmpx_ne_u16_e32 0, v2
	s_cbranch_execz .LBB267_185
; %bb.178:                              ;   in Loop: Header=BB267_9 Depth=1
	v_bfrev_b32_e32 v42, 1
	s_mov_b32 s29, exec_lo
	v_cmpx_ne_u16_e32 0x80, v2
	s_cbranch_execz .LBB267_184
; %bb.179:                              ;   in Loop: Header=BB267_9 Depth=1
	v_and_b32_e32 v44, 0xffff, v2
	v_mov_b32_e32 v42, 0x7c010000
	s_mov_b32 s30, exec_lo
	s_delay_alu instid0(VALU_DEP_2) | instskip(NEXT) | instid1(VALU_DEP_1)
	v_and_b32_e32 v46, 0x7f, v44
	v_cmpx_ne_u32_e32 0x7f, v46
	s_cbranch_execz .LBB267_183
; %bb.180:                              ;   in Loop: Header=BB267_9 Depth=1
	v_dual_lshrrev_b32 v45, 3, v46 :: v_dual_bitop2_b32 v42, 7, v44 bitop3:0x40
	s_mov_b32 s31, exec_lo
	v_cmpx_gt_u32_e32 8, v46
; %bb.181:                              ;   in Loop: Header=BB267_9 Depth=1
	s_delay_alu instid0(VALU_DEP_2) | instskip(NEXT) | instid1(VALU_DEP_1)
	v_clz_i32_u32_e32 v42, v42
	v_min_u32_e32 v42, 32, v42
	s_delay_alu instid0(VALU_DEP_1) | instskip(NEXT) | instid1(VALU_DEP_1)
	v_subrev_nc_u32_e32 v45, 28, v42
	v_lshlrev_b64_e32 v[46:47], v45, v[2:3]
	v_sub_nc_u32_e32 v45, 29, v42
	s_delay_alu instid0(VALU_DEP_2)
	v_and_b32_e32 v42, 7, v46
; %bb.182:                              ;   in Loop: Header=BB267_9 Depth=1
	s_or_b32 exec_lo, exec_lo, s31
	s_delay_alu instid0(VALU_DEP_1) | instskip(NEXT) | instid1(VALU_DEP_3)
	v_dual_lshlrev_b32 v2, 8, v44 :: v_dual_lshlrev_b32 v42, 23, v42
	v_lshl_add_u32 v44, v45, 10, 0x2000
	s_delay_alu instid0(VALU_DEP_1) | instskip(NEXT) | instid1(VALU_DEP_1)
	v_and_or_b32 v2, 0x8000, v2, v44
	v_lshl_or_b32 v42, v2, 16, v42
.LBB267_183:                            ;   in Loop: Header=BB267_9 Depth=1
	s_or_b32 exec_lo, exec_lo, s30
.LBB267_184:                            ;   in Loop: Header=BB267_9 Depth=1
	s_delay_alu instid0(SALU_CYCLE_1)
	s_or_b32 exec_lo, exec_lo, s29
.LBB267_185:                            ;   in Loop: Header=BB267_9 Depth=1
	s_delay_alu instid0(SALU_CYCLE_1) | instskip(SKIP_3) | instid1(VALU_DEP_2)
	s_or_b32 exec_lo, exec_lo, s28
	v_dual_lshrrev_b32 v2, 16, v10 :: v_dual_mov_b32 v44, 0
	v_mov_b32_e32 v45, 0
	s_mov_b32 s28, exec_lo
	v_and_b32_e32 v46, 0xff, v2
	s_delay_alu instid0(VALU_DEP_1)
	v_cmpx_ne_u16_e32 0, v46
	s_cbranch_execz .LBB267_193
; %bb.186:                              ;   in Loop: Header=BB267_9 Depth=1
	v_mov_b32_e32 v45, 0x8000
	s_mov_b32 s29, exec_lo
	v_cmpx_ne_u16_e32 0x80, v46
	s_cbranch_execz .LBB267_192
; %bb.187:                              ;   in Loop: Header=BB267_9 Depth=1
	v_bfe_u32 v47, v10, 16, 7
	v_mov_b32_e32 v45, 0x7c01
	s_mov_b32 s30, exec_lo
	s_delay_alu instid0(VALU_DEP_2)
	v_cmpx_ne_u32_e32 0x7f, v47
	s_cbranch_execz .LBB267_191
; %bb.188:                              ;   in Loop: Header=BB267_9 Depth=1
	v_dual_lshrrev_b32 v46, 3, v47 :: v_dual_bitop2_b32 v45, 7, v2 bitop3:0x40
	s_mov_b32 s31, exec_lo
	v_cmpx_gt_u32_e32 8, v47
; %bb.189:                              ;   in Loop: Header=BB267_9 Depth=1
	s_delay_alu instid0(VALU_DEP_2) | instskip(NEXT) | instid1(VALU_DEP_1)
	v_clz_i32_u32_e32 v45, v45
	v_min_u32_e32 v45, 32, v45
	s_delay_alu instid0(VALU_DEP_1) | instskip(NEXT) | instid1(VALU_DEP_1)
	v_subrev_nc_u32_e32 v46, 28, v45
	v_lshlrev_b64_e32 v[48:49], v46, v[2:3]
	s_delay_alu instid0(VALU_DEP_1)
	v_dual_sub_nc_u32 v46, 29, v45 :: v_dual_bitop2_b32 v45, 7, v48 bitop3:0x40
; %bb.190:                              ;   in Loop: Header=BB267_9 Depth=1
	s_or_b32 exec_lo, exec_lo, s31
	s_delay_alu instid0(VALU_DEP_1) | instskip(NEXT) | instid1(VALU_DEP_2)
	v_dual_lshlrev_b32 v2, 8, v2 :: v_dual_lshlrev_b32 v45, 7, v45
	v_lshl_add_u32 v46, v46, 10, 0x2000
	s_delay_alu instid0(VALU_DEP_2) | instskip(NEXT) | instid1(VALU_DEP_2)
	v_and_b32_e32 v2, 0x8000, v2
	v_and_b32_e32 v46, 0xfc00, v46
	s_delay_alu instid0(VALU_DEP_1)
	v_or3_b32 v45, v2, v46, v45
.LBB267_191:                            ;   in Loop: Header=BB267_9 Depth=1
	s_or_b32 exec_lo, exec_lo, s30
.LBB267_192:                            ;   in Loop: Header=BB267_9 Depth=1
	s_delay_alu instid0(SALU_CYCLE_1)
	s_or_b32 exec_lo, exec_lo, s29
.LBB267_193:                            ;   in Loop: Header=BB267_9 Depth=1
	s_delay_alu instid0(SALU_CYCLE_1) | instskip(NEXT) | instid1(SALU_CYCLE_1)
	s_or_b32 exec_lo, exec_lo, s28
	s_mov_b32 s28, exec_lo
	v_cmpx_lt_u32_e32 0xffffff, v10
	s_cbranch_execz .LBB267_201
; %bb.194:                              ;   in Loop: Header=BB267_9 Depth=1
	v_lshrrev_b32_e32 v2, 24, v10
	v_bfrev_b32_e32 v44, 1
	s_mov_b32 s29, exec_lo
	s_delay_alu instid0(VALU_DEP_2)
	v_cmpx_ne_u32_e32 0x80, v2
	s_cbranch_execz .LBB267_200
; %bb.195:                              ;   in Loop: Header=BB267_9 Depth=1
	v_and_b32_e32 v46, 0x7f, v2
	v_mov_b32_e32 v44, 0x7c010000
	s_mov_b32 s30, exec_lo
	s_delay_alu instid0(VALU_DEP_2)
	v_cmpx_ne_u32_e32 0x7f, v46
	s_cbranch_execz .LBB267_199
; %bb.196:                              ;   in Loop: Header=BB267_9 Depth=1
	v_and_b32_e32 v10, 7, v2
	v_lshrrev_b32_e32 v44, 3, v46
	s_mov_b32 s31, exec_lo
	v_cmpx_gt_u32_e32 8, v46
; %bb.197:                              ;   in Loop: Header=BB267_9 Depth=1
	s_delay_alu instid0(VALU_DEP_3) | instskip(NEXT) | instid1(VALU_DEP_1)
	v_clz_i32_u32_e32 v10, v10
	v_min_u32_e32 v10, 32, v10
	s_delay_alu instid0(VALU_DEP_1) | instskip(NEXT) | instid1(VALU_DEP_1)
	v_subrev_nc_u32_e32 v44, 28, v10
	v_lshlrev_b64_e32 v[46:47], v44, v[2:3]
	v_sub_nc_u32_e32 v44, 29, v10
	s_delay_alu instid0(VALU_DEP_2)
	v_and_b32_e32 v10, 7, v46
; %bb.198:                              ;   in Loop: Header=BB267_9 Depth=1
	s_or_b32 exec_lo, exec_lo, s31
	v_lshlrev_b32_e32 v2, 8, v2
	s_delay_alu instid0(VALU_DEP_3) | instskip(NEXT) | instid1(VALU_DEP_3)
	v_lshl_add_u32 v44, v44, 10, 0x2000
	v_lshlrev_b32_e32 v10, 23, v10
	s_delay_alu instid0(VALU_DEP_2) | instskip(NEXT) | instid1(VALU_DEP_1)
	v_and_or_b32 v2, 0x8000, v2, v44
	v_lshl_or_b32 v44, v2, 16, v10
.LBB267_199:                            ;   in Loop: Header=BB267_9 Depth=1
	s_or_b32 exec_lo, exec_lo, s30
.LBB267_200:                            ;   in Loop: Header=BB267_9 Depth=1
	s_delay_alu instid0(SALU_CYCLE_1)
	s_or_b32 exec_lo, exec_lo, s29
.LBB267_201:                            ;   in Loop: Header=BB267_9 Depth=1
	s_delay_alu instid0(SALU_CYCLE_1)
	s_or_b32 exec_lo, exec_lo, s28
	global_load_b32 v10, v[8:9], off offset:768
	v_dual_mov_b32 v46, 0 :: v_dual_mov_b32 v47, 0
	s_mov_b32 s28, exec_lo
	s_wait_loadcnt 0x0
	v_and_b32_e32 v2, 0xff, v10
	s_delay_alu instid0(VALU_DEP_1)
	v_cmpx_ne_u16_e32 0, v2
	s_cbranch_execz .LBB267_209
; %bb.202:                              ;   in Loop: Header=BB267_9 Depth=1
	v_mov_b32_e32 v47, 0x8000
	s_mov_b32 s29, exec_lo
	v_cmpx_ne_u16_e32 0x80, v2
	s_cbranch_execz .LBB267_208
; %bb.203:                              ;   in Loop: Header=BB267_9 Depth=1
	v_and_b32_e32 v48, 0x7f, v10
	v_mov_b32_e32 v47, 0x7c01
	s_mov_b32 s30, exec_lo
	s_delay_alu instid0(VALU_DEP_2)
	v_cmpx_ne_u32_e32 0x7f, v48
	s_cbranch_execz .LBB267_207
; %bb.204:                              ;   in Loop: Header=BB267_9 Depth=1
	v_dual_lshrrev_b32 v47, 3, v48 :: v_dual_bitop2_b32 v2, 7, v10 bitop3:0x40
	s_mov_b32 s31, exec_lo
	v_cmpx_gt_u32_e32 8, v48
; %bb.205:                              ;   in Loop: Header=BB267_9 Depth=1
	s_delay_alu instid0(VALU_DEP_2) | instskip(NEXT) | instid1(VALU_DEP_1)
	v_clz_i32_u32_e32 v2, v2
	v_min_u32_e32 v2, 32, v2
	s_delay_alu instid0(VALU_DEP_1) | instskip(NEXT) | instid1(VALU_DEP_1)
	v_subrev_nc_u32_e32 v47, 28, v2
	v_lshlrev_b64_e32 v[48:49], v47, v[10:11]
	s_delay_alu instid0(VALU_DEP_1)
	v_dual_sub_nc_u32 v47, 29, v2 :: v_dual_bitop2_b32 v2, 7, v48 bitop3:0x40
; %bb.206:                              ;   in Loop: Header=BB267_9 Depth=1
	s_or_b32 exec_lo, exec_lo, s31
	v_lshlrev_b32_e32 v48, 8, v10
	s_delay_alu instid0(VALU_DEP_2) | instskip(NEXT) | instid1(VALU_DEP_3)
	v_lshl_add_u32 v47, v47, 10, 0x2000
	v_lshlrev_b32_e32 v2, 7, v2
	s_delay_alu instid0(VALU_DEP_3) | instskip(NEXT) | instid1(VALU_DEP_3)
	v_and_b32_e32 v48, 0x8000, v48
	v_and_b32_e32 v47, 0xfc00, v47
	s_delay_alu instid0(VALU_DEP_1)
	v_or3_b32 v47, v48, v47, v2
.LBB267_207:                            ;   in Loop: Header=BB267_9 Depth=1
	s_or_b32 exec_lo, exec_lo, s30
.LBB267_208:                            ;   in Loop: Header=BB267_9 Depth=1
	s_delay_alu instid0(SALU_CYCLE_1)
	s_or_b32 exec_lo, exec_lo, s29
.LBB267_209:                            ;   in Loop: Header=BB267_9 Depth=1
	s_delay_alu instid0(SALU_CYCLE_1) | instskip(SKIP_2) | instid1(VALU_DEP_1)
	s_or_b32 exec_lo, exec_lo, s28
	v_lshrrev_b16 v2, 8, v10
	s_mov_b32 s28, exec_lo
	v_cmpx_ne_u16_e32 0, v2
	s_cbranch_execz .LBB267_217
; %bb.210:                              ;   in Loop: Header=BB267_9 Depth=1
	v_bfrev_b32_e32 v46, 1
	s_mov_b32 s29, exec_lo
	v_cmpx_ne_u16_e32 0x80, v2
	s_cbranch_execz .LBB267_216
; %bb.211:                              ;   in Loop: Header=BB267_9 Depth=1
	v_and_b32_e32 v48, 0xffff, v2
	v_mov_b32_e32 v46, 0x7c010000
	s_mov_b32 s30, exec_lo
	s_delay_alu instid0(VALU_DEP_2) | instskip(NEXT) | instid1(VALU_DEP_1)
	v_and_b32_e32 v50, 0x7f, v48
	v_cmpx_ne_u32_e32 0x7f, v50
	s_cbranch_execz .LBB267_215
; %bb.212:                              ;   in Loop: Header=BB267_9 Depth=1
	v_dual_lshrrev_b32 v49, 3, v50 :: v_dual_bitop2_b32 v46, 7, v48 bitop3:0x40
	s_mov_b32 s31, exec_lo
	v_cmpx_gt_u32_e32 8, v50
; %bb.213:                              ;   in Loop: Header=BB267_9 Depth=1
	s_delay_alu instid0(VALU_DEP_2) | instskip(NEXT) | instid1(VALU_DEP_1)
	v_clz_i32_u32_e32 v46, v46
	v_min_u32_e32 v46, 32, v46
	s_delay_alu instid0(VALU_DEP_1) | instskip(NEXT) | instid1(VALU_DEP_1)
	v_subrev_nc_u32_e32 v49, 28, v46
	v_lshlrev_b64_e32 v[50:51], v49, v[2:3]
	v_sub_nc_u32_e32 v49, 29, v46
	s_delay_alu instid0(VALU_DEP_2)
	v_and_b32_e32 v46, 7, v50
; %bb.214:                              ;   in Loop: Header=BB267_9 Depth=1
	s_or_b32 exec_lo, exec_lo, s31
	s_delay_alu instid0(VALU_DEP_1) | instskip(NEXT) | instid1(VALU_DEP_3)
	v_dual_lshlrev_b32 v2, 8, v48 :: v_dual_lshlrev_b32 v46, 23, v46
	v_lshl_add_u32 v48, v49, 10, 0x2000
	s_delay_alu instid0(VALU_DEP_1) | instskip(NEXT) | instid1(VALU_DEP_1)
	v_and_or_b32 v2, 0x8000, v2, v48
	v_lshl_or_b32 v46, v2, 16, v46
.LBB267_215:                            ;   in Loop: Header=BB267_9 Depth=1
	s_or_b32 exec_lo, exec_lo, s30
.LBB267_216:                            ;   in Loop: Header=BB267_9 Depth=1
	s_delay_alu instid0(SALU_CYCLE_1)
	s_or_b32 exec_lo, exec_lo, s29
.LBB267_217:                            ;   in Loop: Header=BB267_9 Depth=1
	s_delay_alu instid0(SALU_CYCLE_1) | instskip(SKIP_3) | instid1(VALU_DEP_2)
	s_or_b32 exec_lo, exec_lo, s28
	v_dual_lshrrev_b32 v2, 16, v10 :: v_dual_mov_b32 v48, 0
	v_mov_b32_e32 v49, 0
	s_mov_b32 s28, exec_lo
	v_and_b32_e32 v50, 0xff, v2
	s_delay_alu instid0(VALU_DEP_1)
	v_cmpx_ne_u16_e32 0, v50
	s_cbranch_execz .LBB267_225
; %bb.218:                              ;   in Loop: Header=BB267_9 Depth=1
	v_mov_b32_e32 v49, 0x8000
	s_mov_b32 s29, exec_lo
	v_cmpx_ne_u16_e32 0x80, v50
	s_cbranch_execz .LBB267_224
; %bb.219:                              ;   in Loop: Header=BB267_9 Depth=1
	v_bfe_u32 v51, v10, 16, 7
	v_mov_b32_e32 v49, 0x7c01
	s_mov_b32 s30, exec_lo
	s_delay_alu instid0(VALU_DEP_2)
	v_cmpx_ne_u32_e32 0x7f, v51
	s_cbranch_execz .LBB267_223
; %bb.220:                              ;   in Loop: Header=BB267_9 Depth=1
	v_dual_lshrrev_b32 v50, 3, v51 :: v_dual_bitop2_b32 v49, 7, v2 bitop3:0x40
	s_mov_b32 s31, exec_lo
	v_cmpx_gt_u32_e32 8, v51
; %bb.221:                              ;   in Loop: Header=BB267_9 Depth=1
	s_delay_alu instid0(VALU_DEP_2) | instskip(NEXT) | instid1(VALU_DEP_1)
	v_clz_i32_u32_e32 v49, v49
	v_min_u32_e32 v49, 32, v49
	s_delay_alu instid0(VALU_DEP_1) | instskip(NEXT) | instid1(VALU_DEP_1)
	v_subrev_nc_u32_e32 v50, 28, v49
	v_lshlrev_b64_e32 v[52:53], v50, v[2:3]
	s_delay_alu instid0(VALU_DEP_1)
	v_dual_sub_nc_u32 v50, 29, v49 :: v_dual_bitop2_b32 v49, 7, v52 bitop3:0x40
; %bb.222:                              ;   in Loop: Header=BB267_9 Depth=1
	s_or_b32 exec_lo, exec_lo, s31
	s_delay_alu instid0(VALU_DEP_1) | instskip(NEXT) | instid1(VALU_DEP_2)
	v_dual_lshlrev_b32 v2, 8, v2 :: v_dual_lshlrev_b32 v49, 7, v49
	v_lshl_add_u32 v50, v50, 10, 0x2000
	s_delay_alu instid0(VALU_DEP_2) | instskip(NEXT) | instid1(VALU_DEP_2)
	v_and_b32_e32 v2, 0x8000, v2
	v_and_b32_e32 v50, 0xfc00, v50
	s_delay_alu instid0(VALU_DEP_1)
	v_or3_b32 v49, v2, v50, v49
.LBB267_223:                            ;   in Loop: Header=BB267_9 Depth=1
	s_or_b32 exec_lo, exec_lo, s30
.LBB267_224:                            ;   in Loop: Header=BB267_9 Depth=1
	s_delay_alu instid0(SALU_CYCLE_1)
	s_or_b32 exec_lo, exec_lo, s29
.LBB267_225:                            ;   in Loop: Header=BB267_9 Depth=1
	s_delay_alu instid0(SALU_CYCLE_1) | instskip(NEXT) | instid1(SALU_CYCLE_1)
	s_or_b32 exec_lo, exec_lo, s28
	s_mov_b32 s28, exec_lo
	v_cmpx_lt_u32_e32 0xffffff, v10
	s_cbranch_execz .LBB267_233
; %bb.226:                              ;   in Loop: Header=BB267_9 Depth=1
	v_lshrrev_b32_e32 v2, 24, v10
	v_bfrev_b32_e32 v48, 1
	s_mov_b32 s29, exec_lo
	s_delay_alu instid0(VALU_DEP_2)
	v_cmpx_ne_u32_e32 0x80, v2
	s_cbranch_execz .LBB267_232
; %bb.227:                              ;   in Loop: Header=BB267_9 Depth=1
	v_and_b32_e32 v50, 0x7f, v2
	v_mov_b32_e32 v48, 0x7c010000
	s_mov_b32 s30, exec_lo
	s_delay_alu instid0(VALU_DEP_2)
	v_cmpx_ne_u32_e32 0x7f, v50
	s_cbranch_execz .LBB267_231
; %bb.228:                              ;   in Loop: Header=BB267_9 Depth=1
	v_and_b32_e32 v10, 7, v2
	v_lshrrev_b32_e32 v48, 3, v50
	s_mov_b32 s31, exec_lo
	v_cmpx_gt_u32_e32 8, v50
; %bb.229:                              ;   in Loop: Header=BB267_9 Depth=1
	s_delay_alu instid0(VALU_DEP_3) | instskip(NEXT) | instid1(VALU_DEP_1)
	v_clz_i32_u32_e32 v10, v10
	v_min_u32_e32 v10, 32, v10
	s_delay_alu instid0(VALU_DEP_1) | instskip(NEXT) | instid1(VALU_DEP_1)
	v_subrev_nc_u32_e32 v48, 28, v10
	v_lshlrev_b64_e32 v[50:51], v48, v[2:3]
	v_sub_nc_u32_e32 v48, 29, v10
	s_delay_alu instid0(VALU_DEP_2)
	v_and_b32_e32 v10, 7, v50
; %bb.230:                              ;   in Loop: Header=BB267_9 Depth=1
	s_or_b32 exec_lo, exec_lo, s31
	v_lshlrev_b32_e32 v2, 8, v2
	s_delay_alu instid0(VALU_DEP_3) | instskip(NEXT) | instid1(VALU_DEP_3)
	v_lshl_add_u32 v48, v48, 10, 0x2000
	v_lshlrev_b32_e32 v10, 23, v10
	s_delay_alu instid0(VALU_DEP_2) | instskip(NEXT) | instid1(VALU_DEP_1)
	v_and_or_b32 v2, 0x8000, v2, v48
	v_lshl_or_b32 v48, v2, 16, v10
.LBB267_231:                            ;   in Loop: Header=BB267_9 Depth=1
	s_or_b32 exec_lo, exec_lo, s30
.LBB267_232:                            ;   in Loop: Header=BB267_9 Depth=1
	s_delay_alu instid0(SALU_CYCLE_1)
	s_or_b32 exec_lo, exec_lo, s29
.LBB267_233:                            ;   in Loop: Header=BB267_9 Depth=1
	s_delay_alu instid0(SALU_CYCLE_1)
	s_or_b32 exec_lo, exec_lo, s28
	global_load_b32 v10, v[8:9], off offset:776
	v_dual_mov_b32 v50, 0 :: v_dual_mov_b32 v51, 0
	s_mov_b32 s28, exec_lo
	s_wait_loadcnt 0x0
	v_and_b32_e32 v2, 0xff, v10
	s_delay_alu instid0(VALU_DEP_1)
	v_cmpx_ne_u16_e32 0, v2
	s_cbranch_execz .LBB267_241
; %bb.234:                              ;   in Loop: Header=BB267_9 Depth=1
	v_mov_b32_e32 v51, 0x8000
	s_mov_b32 s29, exec_lo
	v_cmpx_ne_u16_e32 0x80, v2
	s_cbranch_execz .LBB267_240
; %bb.235:                              ;   in Loop: Header=BB267_9 Depth=1
	v_and_b32_e32 v52, 0x7f, v10
	v_mov_b32_e32 v51, 0x7c01
	s_mov_b32 s30, exec_lo
	s_delay_alu instid0(VALU_DEP_2)
	v_cmpx_ne_u32_e32 0x7f, v52
	s_cbranch_execz .LBB267_239
; %bb.236:                              ;   in Loop: Header=BB267_9 Depth=1
	v_dual_lshrrev_b32 v51, 3, v52 :: v_dual_bitop2_b32 v2, 7, v10 bitop3:0x40
	s_mov_b32 s31, exec_lo
	v_cmpx_gt_u32_e32 8, v52
; %bb.237:                              ;   in Loop: Header=BB267_9 Depth=1
	s_delay_alu instid0(VALU_DEP_2) | instskip(NEXT) | instid1(VALU_DEP_1)
	v_clz_i32_u32_e32 v2, v2
	v_min_u32_e32 v2, 32, v2
	s_delay_alu instid0(VALU_DEP_1) | instskip(NEXT) | instid1(VALU_DEP_1)
	v_subrev_nc_u32_e32 v51, 28, v2
	v_lshlrev_b64_e32 v[52:53], v51, v[10:11]
	s_delay_alu instid0(VALU_DEP_1)
	v_dual_sub_nc_u32 v51, 29, v2 :: v_dual_bitop2_b32 v2, 7, v52 bitop3:0x40
; %bb.238:                              ;   in Loop: Header=BB267_9 Depth=1
	s_or_b32 exec_lo, exec_lo, s31
	v_lshlrev_b32_e32 v52, 8, v10
	s_delay_alu instid0(VALU_DEP_2) | instskip(NEXT) | instid1(VALU_DEP_3)
	v_lshl_add_u32 v51, v51, 10, 0x2000
	v_lshlrev_b32_e32 v2, 7, v2
	s_delay_alu instid0(VALU_DEP_3) | instskip(NEXT) | instid1(VALU_DEP_3)
	v_and_b32_e32 v52, 0x8000, v52
	v_and_b32_e32 v51, 0xfc00, v51
	s_delay_alu instid0(VALU_DEP_1)
	v_or3_b32 v51, v52, v51, v2
.LBB267_239:                            ;   in Loop: Header=BB267_9 Depth=1
	s_or_b32 exec_lo, exec_lo, s30
.LBB267_240:                            ;   in Loop: Header=BB267_9 Depth=1
	s_delay_alu instid0(SALU_CYCLE_1)
	s_or_b32 exec_lo, exec_lo, s29
.LBB267_241:                            ;   in Loop: Header=BB267_9 Depth=1
	s_delay_alu instid0(SALU_CYCLE_1) | instskip(SKIP_2) | instid1(VALU_DEP_1)
	s_or_b32 exec_lo, exec_lo, s28
	v_lshrrev_b16 v2, 8, v10
	s_mov_b32 s28, exec_lo
	v_cmpx_ne_u16_e32 0, v2
	s_cbranch_execz .LBB267_249
; %bb.242:                              ;   in Loop: Header=BB267_9 Depth=1
	v_bfrev_b32_e32 v50, 1
	s_mov_b32 s29, exec_lo
	v_cmpx_ne_u16_e32 0x80, v2
	s_cbranch_execz .LBB267_248
; %bb.243:                              ;   in Loop: Header=BB267_9 Depth=1
	v_and_b32_e32 v52, 0xffff, v2
	v_mov_b32_e32 v50, 0x7c010000
	s_mov_b32 s30, exec_lo
	s_delay_alu instid0(VALU_DEP_2) | instskip(NEXT) | instid1(VALU_DEP_1)
	v_and_b32_e32 v54, 0x7f, v52
	v_cmpx_ne_u32_e32 0x7f, v54
	s_cbranch_execz .LBB267_247
; %bb.244:                              ;   in Loop: Header=BB267_9 Depth=1
	v_dual_lshrrev_b32 v53, 3, v54 :: v_dual_bitop2_b32 v50, 7, v52 bitop3:0x40
	s_mov_b32 s31, exec_lo
	v_cmpx_gt_u32_e32 8, v54
; %bb.245:                              ;   in Loop: Header=BB267_9 Depth=1
	s_delay_alu instid0(VALU_DEP_2) | instskip(NEXT) | instid1(VALU_DEP_1)
	v_clz_i32_u32_e32 v50, v50
	v_min_u32_e32 v50, 32, v50
	s_delay_alu instid0(VALU_DEP_1) | instskip(NEXT) | instid1(VALU_DEP_1)
	v_subrev_nc_u32_e32 v53, 28, v50
	v_lshlrev_b64_e32 v[54:55], v53, v[2:3]
	v_sub_nc_u32_e32 v53, 29, v50
	s_delay_alu instid0(VALU_DEP_2)
	v_and_b32_e32 v50, 7, v54
; %bb.246:                              ;   in Loop: Header=BB267_9 Depth=1
	s_or_b32 exec_lo, exec_lo, s31
	s_delay_alu instid0(VALU_DEP_1) | instskip(NEXT) | instid1(VALU_DEP_3)
	v_dual_lshlrev_b32 v2, 8, v52 :: v_dual_lshlrev_b32 v50, 23, v50
	v_lshl_add_u32 v52, v53, 10, 0x2000
	s_delay_alu instid0(VALU_DEP_1) | instskip(NEXT) | instid1(VALU_DEP_1)
	v_and_or_b32 v2, 0x8000, v2, v52
	v_lshl_or_b32 v50, v2, 16, v50
.LBB267_247:                            ;   in Loop: Header=BB267_9 Depth=1
	s_or_b32 exec_lo, exec_lo, s30
.LBB267_248:                            ;   in Loop: Header=BB267_9 Depth=1
	s_delay_alu instid0(SALU_CYCLE_1)
	s_or_b32 exec_lo, exec_lo, s29
.LBB267_249:                            ;   in Loop: Header=BB267_9 Depth=1
	s_delay_alu instid0(SALU_CYCLE_1) | instskip(SKIP_3) | instid1(VALU_DEP_2)
	s_or_b32 exec_lo, exec_lo, s28
	v_dual_lshrrev_b32 v2, 16, v10 :: v_dual_mov_b32 v52, 0
	v_mov_b32_e32 v53, 0
	s_mov_b32 s28, exec_lo
	v_and_b32_e32 v54, 0xff, v2
	s_delay_alu instid0(VALU_DEP_1)
	v_cmpx_ne_u16_e32 0, v54
	s_cbranch_execz .LBB267_257
; %bb.250:                              ;   in Loop: Header=BB267_9 Depth=1
	v_mov_b32_e32 v53, 0x8000
	s_mov_b32 s29, exec_lo
	v_cmpx_ne_u16_e32 0x80, v54
	s_cbranch_execz .LBB267_256
; %bb.251:                              ;   in Loop: Header=BB267_9 Depth=1
	v_bfe_u32 v55, v10, 16, 7
	v_mov_b32_e32 v53, 0x7c01
	s_mov_b32 s30, exec_lo
	s_delay_alu instid0(VALU_DEP_2)
	v_cmpx_ne_u32_e32 0x7f, v55
	s_cbranch_execz .LBB267_255
; %bb.252:                              ;   in Loop: Header=BB267_9 Depth=1
	v_dual_lshrrev_b32 v54, 3, v55 :: v_dual_bitop2_b32 v53, 7, v2 bitop3:0x40
	s_mov_b32 s31, exec_lo
	v_cmpx_gt_u32_e32 8, v55
; %bb.253:                              ;   in Loop: Header=BB267_9 Depth=1
	s_delay_alu instid0(VALU_DEP_2) | instskip(NEXT) | instid1(VALU_DEP_1)
	v_clz_i32_u32_e32 v53, v53
	v_min_u32_e32 v53, 32, v53
	s_delay_alu instid0(VALU_DEP_1) | instskip(NEXT) | instid1(VALU_DEP_1)
	v_subrev_nc_u32_e32 v54, 28, v53
	v_lshlrev_b64_e32 v[56:57], v54, v[2:3]
	s_delay_alu instid0(VALU_DEP_1)
	v_dual_sub_nc_u32 v54, 29, v53 :: v_dual_bitop2_b32 v53, 7, v56 bitop3:0x40
; %bb.254:                              ;   in Loop: Header=BB267_9 Depth=1
	s_or_b32 exec_lo, exec_lo, s31
	s_delay_alu instid0(VALU_DEP_1) | instskip(NEXT) | instid1(VALU_DEP_2)
	v_dual_lshlrev_b32 v2, 8, v2 :: v_dual_lshlrev_b32 v53, 7, v53
	v_lshl_add_u32 v54, v54, 10, 0x2000
	s_delay_alu instid0(VALU_DEP_2) | instskip(NEXT) | instid1(VALU_DEP_2)
	v_and_b32_e32 v2, 0x8000, v2
	v_and_b32_e32 v54, 0xfc00, v54
	s_delay_alu instid0(VALU_DEP_1)
	v_or3_b32 v53, v2, v54, v53
.LBB267_255:                            ;   in Loop: Header=BB267_9 Depth=1
	s_or_b32 exec_lo, exec_lo, s30
.LBB267_256:                            ;   in Loop: Header=BB267_9 Depth=1
	s_delay_alu instid0(SALU_CYCLE_1)
	s_or_b32 exec_lo, exec_lo, s29
.LBB267_257:                            ;   in Loop: Header=BB267_9 Depth=1
	s_delay_alu instid0(SALU_CYCLE_1) | instskip(NEXT) | instid1(SALU_CYCLE_1)
	s_or_b32 exec_lo, exec_lo, s28
	s_mov_b32 s28, exec_lo
	v_cmpx_lt_u32_e32 0xffffff, v10
	s_cbranch_execz .LBB267_265
; %bb.258:                              ;   in Loop: Header=BB267_9 Depth=1
	v_lshrrev_b32_e32 v2, 24, v10
	v_bfrev_b32_e32 v52, 1
	s_mov_b32 s29, exec_lo
	s_delay_alu instid0(VALU_DEP_2)
	v_cmpx_ne_u32_e32 0x80, v2
	s_cbranch_execz .LBB267_264
; %bb.259:                              ;   in Loop: Header=BB267_9 Depth=1
	v_and_b32_e32 v54, 0x7f, v2
	v_mov_b32_e32 v52, 0x7c010000
	s_mov_b32 s30, exec_lo
	s_delay_alu instid0(VALU_DEP_2)
	v_cmpx_ne_u32_e32 0x7f, v54
	s_cbranch_execz .LBB267_263
; %bb.260:                              ;   in Loop: Header=BB267_9 Depth=1
	v_and_b32_e32 v10, 7, v2
	v_lshrrev_b32_e32 v52, 3, v54
	s_mov_b32 s31, exec_lo
	v_cmpx_gt_u32_e32 8, v54
; %bb.261:                              ;   in Loop: Header=BB267_9 Depth=1
	s_delay_alu instid0(VALU_DEP_3) | instskip(NEXT) | instid1(VALU_DEP_1)
	v_clz_i32_u32_e32 v10, v10
	v_min_u32_e32 v10, 32, v10
	s_delay_alu instid0(VALU_DEP_1) | instskip(NEXT) | instid1(VALU_DEP_1)
	v_subrev_nc_u32_e32 v52, 28, v10
	v_lshlrev_b64_e32 v[54:55], v52, v[2:3]
	v_sub_nc_u32_e32 v52, 29, v10
	s_delay_alu instid0(VALU_DEP_2)
	v_and_b32_e32 v10, 7, v54
; %bb.262:                              ;   in Loop: Header=BB267_9 Depth=1
	s_or_b32 exec_lo, exec_lo, s31
	v_lshlrev_b32_e32 v2, 8, v2
	s_delay_alu instid0(VALU_DEP_3) | instskip(NEXT) | instid1(VALU_DEP_3)
	v_lshl_add_u32 v52, v52, 10, 0x2000
	v_lshlrev_b32_e32 v10, 23, v10
	s_delay_alu instid0(VALU_DEP_2) | instskip(NEXT) | instid1(VALU_DEP_1)
	v_and_or_b32 v2, 0x8000, v2, v52
	v_lshl_or_b32 v52, v2, 16, v10
.LBB267_263:                            ;   in Loop: Header=BB267_9 Depth=1
	s_or_b32 exec_lo, exec_lo, s30
.LBB267_264:                            ;   in Loop: Header=BB267_9 Depth=1
	s_delay_alu instid0(SALU_CYCLE_1)
	s_or_b32 exec_lo, exec_lo, s29
.LBB267_265:                            ;   in Loop: Header=BB267_9 Depth=1
	s_delay_alu instid0(SALU_CYCLE_1)
	s_or_b32 exec_lo, exec_lo, s28
	global_load_b32 v10, v[8:9], off offset:1024
	v_dual_mov_b32 v54, 0 :: v_dual_mov_b32 v55, 0
	s_mov_b32 s28, exec_lo
	s_wait_loadcnt 0x0
	v_and_b32_e32 v2, 0xff, v10
	s_delay_alu instid0(VALU_DEP_1)
	v_cmpx_ne_u16_e32 0, v2
	s_cbranch_execz .LBB267_273
; %bb.266:                              ;   in Loop: Header=BB267_9 Depth=1
	v_mov_b32_e32 v55, 0x8000
	s_mov_b32 s29, exec_lo
	v_cmpx_ne_u16_e32 0x80, v2
	s_cbranch_execz .LBB267_272
; %bb.267:                              ;   in Loop: Header=BB267_9 Depth=1
	v_and_b32_e32 v56, 0x7f, v10
	v_mov_b32_e32 v55, 0x7c01
	s_mov_b32 s30, exec_lo
	s_delay_alu instid0(VALU_DEP_2)
	v_cmpx_ne_u32_e32 0x7f, v56
	s_cbranch_execz .LBB267_271
; %bb.268:                              ;   in Loop: Header=BB267_9 Depth=1
	v_dual_lshrrev_b32 v55, 3, v56 :: v_dual_bitop2_b32 v2, 7, v10 bitop3:0x40
	s_mov_b32 s31, exec_lo
	v_cmpx_gt_u32_e32 8, v56
; %bb.269:                              ;   in Loop: Header=BB267_9 Depth=1
	s_delay_alu instid0(VALU_DEP_2) | instskip(NEXT) | instid1(VALU_DEP_1)
	v_clz_i32_u32_e32 v2, v2
	v_min_u32_e32 v2, 32, v2
	s_delay_alu instid0(VALU_DEP_1) | instskip(NEXT) | instid1(VALU_DEP_1)
	v_subrev_nc_u32_e32 v55, 28, v2
	v_lshlrev_b64_e32 v[56:57], v55, v[10:11]
	s_delay_alu instid0(VALU_DEP_1)
	v_dual_sub_nc_u32 v55, 29, v2 :: v_dual_bitop2_b32 v2, 7, v56 bitop3:0x40
; %bb.270:                              ;   in Loop: Header=BB267_9 Depth=1
	s_or_b32 exec_lo, exec_lo, s31
	v_lshlrev_b32_e32 v56, 8, v10
	s_delay_alu instid0(VALU_DEP_2) | instskip(NEXT) | instid1(VALU_DEP_3)
	v_lshl_add_u32 v55, v55, 10, 0x2000
	v_lshlrev_b32_e32 v2, 7, v2
	s_delay_alu instid0(VALU_DEP_3) | instskip(NEXT) | instid1(VALU_DEP_3)
	v_and_b32_e32 v56, 0x8000, v56
	v_and_b32_e32 v55, 0xfc00, v55
	s_delay_alu instid0(VALU_DEP_1)
	v_or3_b32 v55, v56, v55, v2
.LBB267_271:                            ;   in Loop: Header=BB267_9 Depth=1
	s_or_b32 exec_lo, exec_lo, s30
.LBB267_272:                            ;   in Loop: Header=BB267_9 Depth=1
	s_delay_alu instid0(SALU_CYCLE_1)
	s_or_b32 exec_lo, exec_lo, s29
.LBB267_273:                            ;   in Loop: Header=BB267_9 Depth=1
	s_delay_alu instid0(SALU_CYCLE_1) | instskip(SKIP_2) | instid1(VALU_DEP_1)
	s_or_b32 exec_lo, exec_lo, s28
	v_lshrrev_b16 v2, 8, v10
	s_mov_b32 s28, exec_lo
	v_cmpx_ne_u16_e32 0, v2
	s_cbranch_execz .LBB267_281
; %bb.274:                              ;   in Loop: Header=BB267_9 Depth=1
	v_bfrev_b32_e32 v54, 1
	s_mov_b32 s29, exec_lo
	v_cmpx_ne_u16_e32 0x80, v2
	s_cbranch_execz .LBB267_280
; %bb.275:                              ;   in Loop: Header=BB267_9 Depth=1
	v_and_b32_e32 v56, 0xffff, v2
	v_mov_b32_e32 v54, 0x7c010000
	s_mov_b32 s30, exec_lo
	s_delay_alu instid0(VALU_DEP_2) | instskip(NEXT) | instid1(VALU_DEP_1)
	v_and_b32_e32 v58, 0x7f, v56
	v_cmpx_ne_u32_e32 0x7f, v58
	s_cbranch_execz .LBB267_279
; %bb.276:                              ;   in Loop: Header=BB267_9 Depth=1
	v_dual_lshrrev_b32 v57, 3, v58 :: v_dual_bitop2_b32 v54, 7, v56 bitop3:0x40
	s_mov_b32 s31, exec_lo
	v_cmpx_gt_u32_e32 8, v58
; %bb.277:                              ;   in Loop: Header=BB267_9 Depth=1
	s_delay_alu instid0(VALU_DEP_2) | instskip(NEXT) | instid1(VALU_DEP_1)
	v_clz_i32_u32_e32 v54, v54
	v_min_u32_e32 v54, 32, v54
	s_delay_alu instid0(VALU_DEP_1) | instskip(NEXT) | instid1(VALU_DEP_1)
	v_subrev_nc_u32_e32 v57, 28, v54
	v_lshlrev_b64_e32 v[58:59], v57, v[2:3]
	v_sub_nc_u32_e32 v57, 29, v54
	s_delay_alu instid0(VALU_DEP_2)
	v_and_b32_e32 v54, 7, v58
; %bb.278:                              ;   in Loop: Header=BB267_9 Depth=1
	s_or_b32 exec_lo, exec_lo, s31
	s_delay_alu instid0(VALU_DEP_1) | instskip(NEXT) | instid1(VALU_DEP_3)
	v_dual_lshlrev_b32 v2, 8, v56 :: v_dual_lshlrev_b32 v54, 23, v54
	v_lshl_add_u32 v56, v57, 10, 0x2000
	s_delay_alu instid0(VALU_DEP_1) | instskip(NEXT) | instid1(VALU_DEP_1)
	v_and_or_b32 v2, 0x8000, v2, v56
	v_lshl_or_b32 v54, v2, 16, v54
.LBB267_279:                            ;   in Loop: Header=BB267_9 Depth=1
	s_or_b32 exec_lo, exec_lo, s30
.LBB267_280:                            ;   in Loop: Header=BB267_9 Depth=1
	s_delay_alu instid0(SALU_CYCLE_1)
	s_or_b32 exec_lo, exec_lo, s29
.LBB267_281:                            ;   in Loop: Header=BB267_9 Depth=1
	s_delay_alu instid0(SALU_CYCLE_1) | instskip(SKIP_3) | instid1(VALU_DEP_2)
	s_or_b32 exec_lo, exec_lo, s28
	v_dual_lshrrev_b32 v2, 16, v10 :: v_dual_mov_b32 v56, 0
	v_mov_b32_e32 v57, 0
	s_mov_b32 s28, exec_lo
	v_and_b32_e32 v58, 0xff, v2
	s_delay_alu instid0(VALU_DEP_1)
	v_cmpx_ne_u16_e32 0, v58
	s_cbranch_execz .LBB267_289
; %bb.282:                              ;   in Loop: Header=BB267_9 Depth=1
	v_mov_b32_e32 v57, 0x8000
	s_mov_b32 s29, exec_lo
	v_cmpx_ne_u16_e32 0x80, v58
	s_cbranch_execz .LBB267_288
; %bb.283:                              ;   in Loop: Header=BB267_9 Depth=1
	v_bfe_u32 v59, v10, 16, 7
	v_mov_b32_e32 v57, 0x7c01
	s_mov_b32 s30, exec_lo
	s_delay_alu instid0(VALU_DEP_2)
	v_cmpx_ne_u32_e32 0x7f, v59
	s_cbranch_execz .LBB267_287
; %bb.284:                              ;   in Loop: Header=BB267_9 Depth=1
	v_dual_lshrrev_b32 v58, 3, v59 :: v_dual_bitop2_b32 v57, 7, v2 bitop3:0x40
	s_mov_b32 s31, exec_lo
	v_cmpx_gt_u32_e32 8, v59
; %bb.285:                              ;   in Loop: Header=BB267_9 Depth=1
	s_delay_alu instid0(VALU_DEP_2) | instskip(NEXT) | instid1(VALU_DEP_1)
	v_clz_i32_u32_e32 v57, v57
	v_min_u32_e32 v57, 32, v57
	s_delay_alu instid0(VALU_DEP_1) | instskip(NEXT) | instid1(VALU_DEP_1)
	v_subrev_nc_u32_e32 v58, 28, v57
	v_lshlrev_b64_e32 v[60:61], v58, v[2:3]
	s_delay_alu instid0(VALU_DEP_1)
	v_dual_sub_nc_u32 v58, 29, v57 :: v_dual_bitop2_b32 v57, 7, v60 bitop3:0x40
; %bb.286:                              ;   in Loop: Header=BB267_9 Depth=1
	s_or_b32 exec_lo, exec_lo, s31
	s_delay_alu instid0(VALU_DEP_1) | instskip(NEXT) | instid1(VALU_DEP_2)
	v_dual_lshlrev_b32 v2, 8, v2 :: v_dual_lshlrev_b32 v57, 7, v57
	v_lshl_add_u32 v58, v58, 10, 0x2000
	s_delay_alu instid0(VALU_DEP_2) | instskip(NEXT) | instid1(VALU_DEP_2)
	v_and_b32_e32 v2, 0x8000, v2
	v_and_b32_e32 v58, 0xfc00, v58
	s_delay_alu instid0(VALU_DEP_1)
	v_or3_b32 v57, v2, v58, v57
.LBB267_287:                            ;   in Loop: Header=BB267_9 Depth=1
	s_or_b32 exec_lo, exec_lo, s30
.LBB267_288:                            ;   in Loop: Header=BB267_9 Depth=1
	s_delay_alu instid0(SALU_CYCLE_1)
	s_or_b32 exec_lo, exec_lo, s29
.LBB267_289:                            ;   in Loop: Header=BB267_9 Depth=1
	s_delay_alu instid0(SALU_CYCLE_1) | instskip(NEXT) | instid1(SALU_CYCLE_1)
	s_or_b32 exec_lo, exec_lo, s28
	s_mov_b32 s28, exec_lo
	v_cmpx_lt_u32_e32 0xffffff, v10
	s_cbranch_execz .LBB267_297
; %bb.290:                              ;   in Loop: Header=BB267_9 Depth=1
	v_lshrrev_b32_e32 v2, 24, v10
	v_bfrev_b32_e32 v56, 1
	s_mov_b32 s29, exec_lo
	s_delay_alu instid0(VALU_DEP_2)
	v_cmpx_ne_u32_e32 0x80, v2
	s_cbranch_execz .LBB267_296
; %bb.291:                              ;   in Loop: Header=BB267_9 Depth=1
	v_and_b32_e32 v58, 0x7f, v2
	v_mov_b32_e32 v56, 0x7c010000
	s_mov_b32 s30, exec_lo
	s_delay_alu instid0(VALU_DEP_2)
	v_cmpx_ne_u32_e32 0x7f, v58
	s_cbranch_execz .LBB267_295
; %bb.292:                              ;   in Loop: Header=BB267_9 Depth=1
	v_and_b32_e32 v10, 7, v2
	v_lshrrev_b32_e32 v56, 3, v58
	s_mov_b32 s31, exec_lo
	v_cmpx_gt_u32_e32 8, v58
; %bb.293:                              ;   in Loop: Header=BB267_9 Depth=1
	s_delay_alu instid0(VALU_DEP_3) | instskip(NEXT) | instid1(VALU_DEP_1)
	v_clz_i32_u32_e32 v10, v10
	v_min_u32_e32 v10, 32, v10
	s_delay_alu instid0(VALU_DEP_1) | instskip(NEXT) | instid1(VALU_DEP_1)
	v_subrev_nc_u32_e32 v56, 28, v10
	v_lshlrev_b64_e32 v[58:59], v56, v[2:3]
	v_sub_nc_u32_e32 v56, 29, v10
	s_delay_alu instid0(VALU_DEP_2)
	v_and_b32_e32 v10, 7, v58
; %bb.294:                              ;   in Loop: Header=BB267_9 Depth=1
	s_or_b32 exec_lo, exec_lo, s31
	v_lshlrev_b32_e32 v2, 8, v2
	s_delay_alu instid0(VALU_DEP_3) | instskip(NEXT) | instid1(VALU_DEP_3)
	v_lshl_add_u32 v56, v56, 10, 0x2000
	v_lshlrev_b32_e32 v10, 23, v10
	s_delay_alu instid0(VALU_DEP_2) | instskip(NEXT) | instid1(VALU_DEP_1)
	v_and_or_b32 v2, 0x8000, v2, v56
	v_lshl_or_b32 v56, v2, 16, v10
.LBB267_295:                            ;   in Loop: Header=BB267_9 Depth=1
	s_or_b32 exec_lo, exec_lo, s30
.LBB267_296:                            ;   in Loop: Header=BB267_9 Depth=1
	s_delay_alu instid0(SALU_CYCLE_1)
	s_or_b32 exec_lo, exec_lo, s29
.LBB267_297:                            ;   in Loop: Header=BB267_9 Depth=1
	s_delay_alu instid0(SALU_CYCLE_1)
	s_or_b32 exec_lo, exec_lo, s28
	global_load_b32 v10, v[8:9], off offset:1032
	v_dual_mov_b32 v58, 0 :: v_dual_mov_b32 v59, 0
	s_mov_b32 s28, exec_lo
	s_wait_loadcnt 0x0
	v_and_b32_e32 v2, 0xff, v10
	s_delay_alu instid0(VALU_DEP_1)
	v_cmpx_ne_u16_e32 0, v2
	s_cbranch_execz .LBB267_305
; %bb.298:                              ;   in Loop: Header=BB267_9 Depth=1
	v_mov_b32_e32 v59, 0x8000
	s_mov_b32 s29, exec_lo
	v_cmpx_ne_u16_e32 0x80, v2
	s_cbranch_execz .LBB267_304
; %bb.299:                              ;   in Loop: Header=BB267_9 Depth=1
	v_and_b32_e32 v60, 0x7f, v10
	v_mov_b32_e32 v59, 0x7c01
	s_mov_b32 s30, exec_lo
	s_delay_alu instid0(VALU_DEP_2)
	v_cmpx_ne_u32_e32 0x7f, v60
	s_cbranch_execz .LBB267_303
; %bb.300:                              ;   in Loop: Header=BB267_9 Depth=1
	v_dual_lshrrev_b32 v59, 3, v60 :: v_dual_bitop2_b32 v2, 7, v10 bitop3:0x40
	s_mov_b32 s31, exec_lo
	v_cmpx_gt_u32_e32 8, v60
; %bb.301:                              ;   in Loop: Header=BB267_9 Depth=1
	s_delay_alu instid0(VALU_DEP_2) | instskip(NEXT) | instid1(VALU_DEP_1)
	v_clz_i32_u32_e32 v2, v2
	v_min_u32_e32 v2, 32, v2
	s_delay_alu instid0(VALU_DEP_1) | instskip(NEXT) | instid1(VALU_DEP_1)
	v_subrev_nc_u32_e32 v59, 28, v2
	v_lshlrev_b64_e32 v[60:61], v59, v[10:11]
	s_delay_alu instid0(VALU_DEP_1)
	v_dual_sub_nc_u32 v59, 29, v2 :: v_dual_bitop2_b32 v2, 7, v60 bitop3:0x40
; %bb.302:                              ;   in Loop: Header=BB267_9 Depth=1
	s_or_b32 exec_lo, exec_lo, s31
	v_lshlrev_b32_e32 v60, 8, v10
	s_delay_alu instid0(VALU_DEP_2) | instskip(NEXT) | instid1(VALU_DEP_3)
	v_lshl_add_u32 v59, v59, 10, 0x2000
	v_lshlrev_b32_e32 v2, 7, v2
	s_delay_alu instid0(VALU_DEP_3) | instskip(NEXT) | instid1(VALU_DEP_3)
	v_and_b32_e32 v60, 0x8000, v60
	v_and_b32_e32 v59, 0xfc00, v59
	s_delay_alu instid0(VALU_DEP_1)
	v_or3_b32 v59, v60, v59, v2
.LBB267_303:                            ;   in Loop: Header=BB267_9 Depth=1
	s_or_b32 exec_lo, exec_lo, s30
.LBB267_304:                            ;   in Loop: Header=BB267_9 Depth=1
	s_delay_alu instid0(SALU_CYCLE_1)
	s_or_b32 exec_lo, exec_lo, s29
.LBB267_305:                            ;   in Loop: Header=BB267_9 Depth=1
	s_delay_alu instid0(SALU_CYCLE_1) | instskip(SKIP_2) | instid1(VALU_DEP_1)
	s_or_b32 exec_lo, exec_lo, s28
	v_lshrrev_b16 v2, 8, v10
	s_mov_b32 s28, exec_lo
	v_cmpx_ne_u16_e32 0, v2
	s_cbranch_execz .LBB267_313
; %bb.306:                              ;   in Loop: Header=BB267_9 Depth=1
	v_bfrev_b32_e32 v58, 1
	s_mov_b32 s29, exec_lo
	v_cmpx_ne_u16_e32 0x80, v2
	s_cbranch_execz .LBB267_312
; %bb.307:                              ;   in Loop: Header=BB267_9 Depth=1
	v_and_b32_e32 v60, 0xffff, v2
	v_mov_b32_e32 v58, 0x7c010000
	s_mov_b32 s30, exec_lo
	s_delay_alu instid0(VALU_DEP_2) | instskip(NEXT) | instid1(VALU_DEP_1)
	v_and_b32_e32 v62, 0x7f, v60
	v_cmpx_ne_u32_e32 0x7f, v62
	s_cbranch_execz .LBB267_311
; %bb.308:                              ;   in Loop: Header=BB267_9 Depth=1
	v_dual_lshrrev_b32 v61, 3, v62 :: v_dual_bitop2_b32 v58, 7, v60 bitop3:0x40
	s_mov_b32 s31, exec_lo
	v_cmpx_gt_u32_e32 8, v62
; %bb.309:                              ;   in Loop: Header=BB267_9 Depth=1
	s_delay_alu instid0(VALU_DEP_2) | instskip(NEXT) | instid1(VALU_DEP_1)
	v_clz_i32_u32_e32 v58, v58
	v_min_u32_e32 v58, 32, v58
	s_delay_alu instid0(VALU_DEP_1) | instskip(NEXT) | instid1(VALU_DEP_1)
	v_subrev_nc_u32_e32 v61, 28, v58
	v_lshlrev_b64_e32 v[62:63], v61, v[2:3]
	v_sub_nc_u32_e32 v61, 29, v58
	s_delay_alu instid0(VALU_DEP_2)
	v_and_b32_e32 v58, 7, v62
; %bb.310:                              ;   in Loop: Header=BB267_9 Depth=1
	s_or_b32 exec_lo, exec_lo, s31
	s_delay_alu instid0(VALU_DEP_1) | instskip(NEXT) | instid1(VALU_DEP_3)
	v_dual_lshlrev_b32 v2, 8, v60 :: v_dual_lshlrev_b32 v58, 23, v58
	v_lshl_add_u32 v60, v61, 10, 0x2000
	s_delay_alu instid0(VALU_DEP_1) | instskip(NEXT) | instid1(VALU_DEP_1)
	v_and_or_b32 v2, 0x8000, v2, v60
	v_lshl_or_b32 v58, v2, 16, v58
.LBB267_311:                            ;   in Loop: Header=BB267_9 Depth=1
	s_or_b32 exec_lo, exec_lo, s30
.LBB267_312:                            ;   in Loop: Header=BB267_9 Depth=1
	s_delay_alu instid0(SALU_CYCLE_1)
	s_or_b32 exec_lo, exec_lo, s29
.LBB267_313:                            ;   in Loop: Header=BB267_9 Depth=1
	s_delay_alu instid0(SALU_CYCLE_1) | instskip(SKIP_3) | instid1(VALU_DEP_2)
	s_or_b32 exec_lo, exec_lo, s28
	v_dual_lshrrev_b32 v2, 16, v10 :: v_dual_mov_b32 v60, 0
	v_mov_b32_e32 v61, 0
	s_mov_b32 s28, exec_lo
	v_and_b32_e32 v62, 0xff, v2
	s_delay_alu instid0(VALU_DEP_1)
	v_cmpx_ne_u16_e32 0, v62
	s_cbranch_execz .LBB267_321
; %bb.314:                              ;   in Loop: Header=BB267_9 Depth=1
	v_mov_b32_e32 v61, 0x8000
	s_mov_b32 s29, exec_lo
	v_cmpx_ne_u16_e32 0x80, v62
	s_cbranch_execz .LBB267_320
; %bb.315:                              ;   in Loop: Header=BB267_9 Depth=1
	v_bfe_u32 v63, v10, 16, 7
	v_mov_b32_e32 v61, 0x7c01
	s_mov_b32 s30, exec_lo
	s_delay_alu instid0(VALU_DEP_2)
	v_cmpx_ne_u32_e32 0x7f, v63
	s_cbranch_execz .LBB267_319
; %bb.316:                              ;   in Loop: Header=BB267_9 Depth=1
	v_dual_lshrrev_b32 v62, 3, v63 :: v_dual_bitop2_b32 v61, 7, v2 bitop3:0x40
	s_mov_b32 s31, exec_lo
	v_cmpx_gt_u32_e32 8, v63
; %bb.317:                              ;   in Loop: Header=BB267_9 Depth=1
	s_delay_alu instid0(VALU_DEP_2) | instskip(NEXT) | instid1(VALU_DEP_1)
	v_clz_i32_u32_e32 v61, v61
	v_min_u32_e32 v61, 32, v61
	s_delay_alu instid0(VALU_DEP_1) | instskip(NEXT) | instid1(VALU_DEP_1)
	v_subrev_nc_u32_e32 v62, 28, v61
	v_lshlrev_b64_e32 v[64:65], v62, v[2:3]
	s_delay_alu instid0(VALU_DEP_1)
	v_dual_sub_nc_u32 v62, 29, v61 :: v_dual_bitop2_b32 v61, 7, v64 bitop3:0x40
; %bb.318:                              ;   in Loop: Header=BB267_9 Depth=1
	s_or_b32 exec_lo, exec_lo, s31
	s_delay_alu instid0(VALU_DEP_1) | instskip(NEXT) | instid1(VALU_DEP_2)
	v_dual_lshlrev_b32 v2, 8, v2 :: v_dual_lshlrev_b32 v61, 7, v61
	v_lshl_add_u32 v62, v62, 10, 0x2000
	s_delay_alu instid0(VALU_DEP_2) | instskip(NEXT) | instid1(VALU_DEP_2)
	v_and_b32_e32 v2, 0x8000, v2
	v_and_b32_e32 v62, 0xfc00, v62
	s_delay_alu instid0(VALU_DEP_1)
	v_or3_b32 v61, v2, v62, v61
.LBB267_319:                            ;   in Loop: Header=BB267_9 Depth=1
	s_or_b32 exec_lo, exec_lo, s30
.LBB267_320:                            ;   in Loop: Header=BB267_9 Depth=1
	s_delay_alu instid0(SALU_CYCLE_1)
	s_or_b32 exec_lo, exec_lo, s29
.LBB267_321:                            ;   in Loop: Header=BB267_9 Depth=1
	s_delay_alu instid0(SALU_CYCLE_1) | instskip(NEXT) | instid1(SALU_CYCLE_1)
	s_or_b32 exec_lo, exec_lo, s28
	s_mov_b32 s28, exec_lo
	v_cmpx_lt_u32_e32 0xffffff, v10
	s_cbranch_execz .LBB267_329
; %bb.322:                              ;   in Loop: Header=BB267_9 Depth=1
	v_lshrrev_b32_e32 v2, 24, v10
	v_bfrev_b32_e32 v60, 1
	s_mov_b32 s29, exec_lo
	s_delay_alu instid0(VALU_DEP_2)
	v_cmpx_ne_u32_e32 0x80, v2
	s_cbranch_execz .LBB267_328
; %bb.323:                              ;   in Loop: Header=BB267_9 Depth=1
	v_and_b32_e32 v62, 0x7f, v2
	v_mov_b32_e32 v60, 0x7c010000
	s_mov_b32 s30, exec_lo
	s_delay_alu instid0(VALU_DEP_2)
	v_cmpx_ne_u32_e32 0x7f, v62
	s_cbranch_execz .LBB267_327
; %bb.324:                              ;   in Loop: Header=BB267_9 Depth=1
	v_and_b32_e32 v10, 7, v2
	v_lshrrev_b32_e32 v60, 3, v62
	s_mov_b32 s31, exec_lo
	v_cmpx_gt_u32_e32 8, v62
; %bb.325:                              ;   in Loop: Header=BB267_9 Depth=1
	s_delay_alu instid0(VALU_DEP_3) | instskip(NEXT) | instid1(VALU_DEP_1)
	v_clz_i32_u32_e32 v10, v10
	v_min_u32_e32 v10, 32, v10
	s_delay_alu instid0(VALU_DEP_1) | instskip(NEXT) | instid1(VALU_DEP_1)
	v_subrev_nc_u32_e32 v60, 28, v10
	v_lshlrev_b64_e32 v[62:63], v60, v[2:3]
	v_sub_nc_u32_e32 v60, 29, v10
	s_delay_alu instid0(VALU_DEP_2)
	v_and_b32_e32 v10, 7, v62
; %bb.326:                              ;   in Loop: Header=BB267_9 Depth=1
	s_or_b32 exec_lo, exec_lo, s31
	v_lshlrev_b32_e32 v2, 8, v2
	s_delay_alu instid0(VALU_DEP_3) | instskip(NEXT) | instid1(VALU_DEP_3)
	v_lshl_add_u32 v60, v60, 10, 0x2000
	v_lshlrev_b32_e32 v10, 23, v10
	s_delay_alu instid0(VALU_DEP_2) | instskip(NEXT) | instid1(VALU_DEP_1)
	v_and_or_b32 v2, 0x8000, v2, v60
	v_lshl_or_b32 v60, v2, 16, v10
.LBB267_327:                            ;   in Loop: Header=BB267_9 Depth=1
	s_or_b32 exec_lo, exec_lo, s30
.LBB267_328:                            ;   in Loop: Header=BB267_9 Depth=1
	s_delay_alu instid0(SALU_CYCLE_1)
	s_or_b32 exec_lo, exec_lo, s29
.LBB267_329:                            ;   in Loop: Header=BB267_9 Depth=1
	s_delay_alu instid0(SALU_CYCLE_1)
	s_or_b32 exec_lo, exec_lo, s28
	global_load_b32 v10, v[8:9], off offset:1280
	v_dual_mov_b32 v62, 0 :: v_dual_mov_b32 v63, 0
	s_mov_b32 s28, exec_lo
	s_wait_loadcnt 0x0
	v_and_b32_e32 v2, 0xff, v10
	s_delay_alu instid0(VALU_DEP_1)
	v_cmpx_ne_u16_e32 0, v2
	s_cbranch_execz .LBB267_337
; %bb.330:                              ;   in Loop: Header=BB267_9 Depth=1
	v_mov_b32_e32 v63, 0x8000
	s_mov_b32 s29, exec_lo
	v_cmpx_ne_u16_e32 0x80, v2
	s_cbranch_execz .LBB267_336
; %bb.331:                              ;   in Loop: Header=BB267_9 Depth=1
	v_and_b32_e32 v64, 0x7f, v10
	v_mov_b32_e32 v63, 0x7c01
	s_mov_b32 s30, exec_lo
	s_delay_alu instid0(VALU_DEP_2)
	v_cmpx_ne_u32_e32 0x7f, v64
	s_cbranch_execz .LBB267_335
; %bb.332:                              ;   in Loop: Header=BB267_9 Depth=1
	v_dual_lshrrev_b32 v63, 3, v64 :: v_dual_bitop2_b32 v2, 7, v10 bitop3:0x40
	s_mov_b32 s31, exec_lo
	v_cmpx_gt_u32_e32 8, v64
; %bb.333:                              ;   in Loop: Header=BB267_9 Depth=1
	s_delay_alu instid0(VALU_DEP_2) | instskip(NEXT) | instid1(VALU_DEP_1)
	v_clz_i32_u32_e32 v2, v2
	v_min_u32_e32 v2, 32, v2
	s_delay_alu instid0(VALU_DEP_1) | instskip(NEXT) | instid1(VALU_DEP_1)
	v_subrev_nc_u32_e32 v63, 28, v2
	v_lshlrev_b64_e32 v[64:65], v63, v[10:11]
	s_delay_alu instid0(VALU_DEP_1)
	v_dual_sub_nc_u32 v63, 29, v2 :: v_dual_bitop2_b32 v2, 7, v64 bitop3:0x40
; %bb.334:                              ;   in Loop: Header=BB267_9 Depth=1
	s_or_b32 exec_lo, exec_lo, s31
	v_lshlrev_b32_e32 v64, 8, v10
	s_delay_alu instid0(VALU_DEP_2) | instskip(NEXT) | instid1(VALU_DEP_3)
	v_lshl_add_u32 v63, v63, 10, 0x2000
	v_lshlrev_b32_e32 v2, 7, v2
	s_delay_alu instid0(VALU_DEP_3) | instskip(NEXT) | instid1(VALU_DEP_3)
	v_and_b32_e32 v64, 0x8000, v64
	v_and_b32_e32 v63, 0xfc00, v63
	s_delay_alu instid0(VALU_DEP_1)
	v_or3_b32 v63, v64, v63, v2
.LBB267_335:                            ;   in Loop: Header=BB267_9 Depth=1
	s_or_b32 exec_lo, exec_lo, s30
.LBB267_336:                            ;   in Loop: Header=BB267_9 Depth=1
	s_delay_alu instid0(SALU_CYCLE_1)
	s_or_b32 exec_lo, exec_lo, s29
.LBB267_337:                            ;   in Loop: Header=BB267_9 Depth=1
	s_delay_alu instid0(SALU_CYCLE_1) | instskip(SKIP_2) | instid1(VALU_DEP_1)
	s_or_b32 exec_lo, exec_lo, s28
	v_lshrrev_b16 v2, 8, v10
	s_mov_b32 s28, exec_lo
	v_cmpx_ne_u16_e32 0, v2
	s_cbranch_execz .LBB267_345
; %bb.338:                              ;   in Loop: Header=BB267_9 Depth=1
	v_bfrev_b32_e32 v62, 1
	s_mov_b32 s29, exec_lo
	v_cmpx_ne_u16_e32 0x80, v2
	s_cbranch_execz .LBB267_344
; %bb.339:                              ;   in Loop: Header=BB267_9 Depth=1
	v_and_b32_e32 v64, 0xffff, v2
	v_mov_b32_e32 v62, 0x7c010000
	s_mov_b32 s30, exec_lo
	s_delay_alu instid0(VALU_DEP_2) | instskip(NEXT) | instid1(VALU_DEP_1)
	v_and_b32_e32 v66, 0x7f, v64
	v_cmpx_ne_u32_e32 0x7f, v66
	s_cbranch_execz .LBB267_343
; %bb.340:                              ;   in Loop: Header=BB267_9 Depth=1
	v_dual_lshrrev_b32 v65, 3, v66 :: v_dual_bitop2_b32 v62, 7, v64 bitop3:0x40
	s_mov_b32 s31, exec_lo
	v_cmpx_gt_u32_e32 8, v66
; %bb.341:                              ;   in Loop: Header=BB267_9 Depth=1
	s_delay_alu instid0(VALU_DEP_2) | instskip(NEXT) | instid1(VALU_DEP_1)
	v_clz_i32_u32_e32 v62, v62
	v_min_u32_e32 v62, 32, v62
	s_delay_alu instid0(VALU_DEP_1) | instskip(NEXT) | instid1(VALU_DEP_1)
	v_subrev_nc_u32_e32 v65, 28, v62
	v_lshlrev_b64_e32 v[66:67], v65, v[2:3]
	v_sub_nc_u32_e32 v65, 29, v62
	s_delay_alu instid0(VALU_DEP_2)
	v_and_b32_e32 v62, 7, v66
; %bb.342:                              ;   in Loop: Header=BB267_9 Depth=1
	s_or_b32 exec_lo, exec_lo, s31
	s_delay_alu instid0(VALU_DEP_1) | instskip(NEXT) | instid1(VALU_DEP_3)
	v_dual_lshlrev_b32 v2, 8, v64 :: v_dual_lshlrev_b32 v62, 23, v62
	v_lshl_add_u32 v64, v65, 10, 0x2000
	s_delay_alu instid0(VALU_DEP_1) | instskip(NEXT) | instid1(VALU_DEP_1)
	v_and_or_b32 v2, 0x8000, v2, v64
	v_lshl_or_b32 v62, v2, 16, v62
.LBB267_343:                            ;   in Loop: Header=BB267_9 Depth=1
	s_or_b32 exec_lo, exec_lo, s30
.LBB267_344:                            ;   in Loop: Header=BB267_9 Depth=1
	s_delay_alu instid0(SALU_CYCLE_1)
	s_or_b32 exec_lo, exec_lo, s29
.LBB267_345:                            ;   in Loop: Header=BB267_9 Depth=1
	s_delay_alu instid0(SALU_CYCLE_1) | instskip(SKIP_3) | instid1(VALU_DEP_2)
	s_or_b32 exec_lo, exec_lo, s28
	v_dual_lshrrev_b32 v2, 16, v10 :: v_dual_mov_b32 v64, 0
	v_mov_b32_e32 v65, 0
	s_mov_b32 s28, exec_lo
	v_and_b32_e32 v66, 0xff, v2
	s_delay_alu instid0(VALU_DEP_1)
	v_cmpx_ne_u16_e32 0, v66
	s_cbranch_execz .LBB267_353
; %bb.346:                              ;   in Loop: Header=BB267_9 Depth=1
	v_mov_b32_e32 v65, 0x8000
	s_mov_b32 s29, exec_lo
	v_cmpx_ne_u16_e32 0x80, v66
	s_cbranch_execz .LBB267_352
; %bb.347:                              ;   in Loop: Header=BB267_9 Depth=1
	v_bfe_u32 v67, v10, 16, 7
	v_mov_b32_e32 v65, 0x7c01
	s_mov_b32 s30, exec_lo
	s_delay_alu instid0(VALU_DEP_2)
	v_cmpx_ne_u32_e32 0x7f, v67
	s_cbranch_execz .LBB267_351
; %bb.348:                              ;   in Loop: Header=BB267_9 Depth=1
	v_dual_lshrrev_b32 v66, 3, v67 :: v_dual_bitop2_b32 v65, 7, v2 bitop3:0x40
	s_mov_b32 s31, exec_lo
	v_cmpx_gt_u32_e32 8, v67
; %bb.349:                              ;   in Loop: Header=BB267_9 Depth=1
	s_delay_alu instid0(VALU_DEP_2) | instskip(NEXT) | instid1(VALU_DEP_1)
	v_clz_i32_u32_e32 v65, v65
	v_min_u32_e32 v65, 32, v65
	s_delay_alu instid0(VALU_DEP_1) | instskip(NEXT) | instid1(VALU_DEP_1)
	v_subrev_nc_u32_e32 v66, 28, v65
	v_lshlrev_b64_e32 v[68:69], v66, v[2:3]
	s_delay_alu instid0(VALU_DEP_1)
	v_dual_sub_nc_u32 v66, 29, v65 :: v_dual_bitop2_b32 v65, 7, v68 bitop3:0x40
; %bb.350:                              ;   in Loop: Header=BB267_9 Depth=1
	s_or_b32 exec_lo, exec_lo, s31
	s_delay_alu instid0(VALU_DEP_1) | instskip(NEXT) | instid1(VALU_DEP_2)
	v_dual_lshlrev_b32 v2, 8, v2 :: v_dual_lshlrev_b32 v65, 7, v65
	v_lshl_add_u32 v66, v66, 10, 0x2000
	s_delay_alu instid0(VALU_DEP_2) | instskip(NEXT) | instid1(VALU_DEP_2)
	v_and_b32_e32 v2, 0x8000, v2
	v_and_b32_e32 v66, 0xfc00, v66
	s_delay_alu instid0(VALU_DEP_1)
	v_or3_b32 v65, v2, v66, v65
.LBB267_351:                            ;   in Loop: Header=BB267_9 Depth=1
	s_or_b32 exec_lo, exec_lo, s30
.LBB267_352:                            ;   in Loop: Header=BB267_9 Depth=1
	s_delay_alu instid0(SALU_CYCLE_1)
	s_or_b32 exec_lo, exec_lo, s29
.LBB267_353:                            ;   in Loop: Header=BB267_9 Depth=1
	s_delay_alu instid0(SALU_CYCLE_1) | instskip(NEXT) | instid1(SALU_CYCLE_1)
	s_or_b32 exec_lo, exec_lo, s28
	s_mov_b32 s28, exec_lo
	v_cmpx_lt_u32_e32 0xffffff, v10
	s_cbranch_execz .LBB267_361
; %bb.354:                              ;   in Loop: Header=BB267_9 Depth=1
	v_lshrrev_b32_e32 v2, 24, v10
	v_bfrev_b32_e32 v64, 1
	s_mov_b32 s29, exec_lo
	s_delay_alu instid0(VALU_DEP_2)
	v_cmpx_ne_u32_e32 0x80, v2
	s_cbranch_execz .LBB267_360
; %bb.355:                              ;   in Loop: Header=BB267_9 Depth=1
	v_and_b32_e32 v66, 0x7f, v2
	v_mov_b32_e32 v64, 0x7c010000
	s_mov_b32 s30, exec_lo
	s_delay_alu instid0(VALU_DEP_2)
	v_cmpx_ne_u32_e32 0x7f, v66
	s_cbranch_execz .LBB267_359
; %bb.356:                              ;   in Loop: Header=BB267_9 Depth=1
	v_and_b32_e32 v10, 7, v2
	v_lshrrev_b32_e32 v64, 3, v66
	s_mov_b32 s31, exec_lo
	v_cmpx_gt_u32_e32 8, v66
; %bb.357:                              ;   in Loop: Header=BB267_9 Depth=1
	s_delay_alu instid0(VALU_DEP_3) | instskip(NEXT) | instid1(VALU_DEP_1)
	v_clz_i32_u32_e32 v10, v10
	v_min_u32_e32 v10, 32, v10
	s_delay_alu instid0(VALU_DEP_1) | instskip(NEXT) | instid1(VALU_DEP_1)
	v_subrev_nc_u32_e32 v64, 28, v10
	v_lshlrev_b64_e32 v[66:67], v64, v[2:3]
	v_sub_nc_u32_e32 v64, 29, v10
	s_delay_alu instid0(VALU_DEP_2)
	v_and_b32_e32 v10, 7, v66
; %bb.358:                              ;   in Loop: Header=BB267_9 Depth=1
	s_or_b32 exec_lo, exec_lo, s31
	v_lshlrev_b32_e32 v2, 8, v2
	s_delay_alu instid0(VALU_DEP_3) | instskip(NEXT) | instid1(VALU_DEP_3)
	v_lshl_add_u32 v64, v64, 10, 0x2000
	v_lshlrev_b32_e32 v10, 23, v10
	s_delay_alu instid0(VALU_DEP_2) | instskip(NEXT) | instid1(VALU_DEP_1)
	v_and_or_b32 v2, 0x8000, v2, v64
	v_lshl_or_b32 v64, v2, 16, v10
.LBB267_359:                            ;   in Loop: Header=BB267_9 Depth=1
	s_or_b32 exec_lo, exec_lo, s30
.LBB267_360:                            ;   in Loop: Header=BB267_9 Depth=1
	s_delay_alu instid0(SALU_CYCLE_1)
	s_or_b32 exec_lo, exec_lo, s29
.LBB267_361:                            ;   in Loop: Header=BB267_9 Depth=1
	s_delay_alu instid0(SALU_CYCLE_1)
	s_or_b32 exec_lo, exec_lo, s28
	global_load_b32 v10, v[8:9], off offset:1288
	v_dual_mov_b32 v66, 0 :: v_dual_mov_b32 v67, 0
	s_mov_b32 s28, exec_lo
	s_wait_loadcnt 0x0
	v_and_b32_e32 v2, 0xff, v10
	s_delay_alu instid0(VALU_DEP_1)
	v_cmpx_ne_u16_e32 0, v2
	s_cbranch_execz .LBB267_369
; %bb.362:                              ;   in Loop: Header=BB267_9 Depth=1
	v_mov_b32_e32 v67, 0x8000
	s_mov_b32 s29, exec_lo
	v_cmpx_ne_u16_e32 0x80, v2
	s_cbranch_execz .LBB267_368
; %bb.363:                              ;   in Loop: Header=BB267_9 Depth=1
	v_and_b32_e32 v68, 0x7f, v10
	v_mov_b32_e32 v67, 0x7c01
	s_mov_b32 s30, exec_lo
	s_delay_alu instid0(VALU_DEP_2)
	v_cmpx_ne_u32_e32 0x7f, v68
	s_cbranch_execz .LBB267_367
; %bb.364:                              ;   in Loop: Header=BB267_9 Depth=1
	v_dual_lshrrev_b32 v67, 3, v68 :: v_dual_bitop2_b32 v2, 7, v10 bitop3:0x40
	s_mov_b32 s31, exec_lo
	v_cmpx_gt_u32_e32 8, v68
; %bb.365:                              ;   in Loop: Header=BB267_9 Depth=1
	s_delay_alu instid0(VALU_DEP_2) | instskip(NEXT) | instid1(VALU_DEP_1)
	v_clz_i32_u32_e32 v2, v2
	v_min_u32_e32 v2, 32, v2
	s_delay_alu instid0(VALU_DEP_1) | instskip(NEXT) | instid1(VALU_DEP_1)
	v_subrev_nc_u32_e32 v67, 28, v2
	v_lshlrev_b64_e32 v[68:69], v67, v[10:11]
	s_delay_alu instid0(VALU_DEP_1)
	v_dual_sub_nc_u32 v67, 29, v2 :: v_dual_bitop2_b32 v2, 7, v68 bitop3:0x40
; %bb.366:                              ;   in Loop: Header=BB267_9 Depth=1
	s_or_b32 exec_lo, exec_lo, s31
	v_lshlrev_b32_e32 v68, 8, v10
	s_delay_alu instid0(VALU_DEP_2) | instskip(NEXT) | instid1(VALU_DEP_3)
	v_lshl_add_u32 v67, v67, 10, 0x2000
	v_lshlrev_b32_e32 v2, 7, v2
	s_delay_alu instid0(VALU_DEP_3) | instskip(NEXT) | instid1(VALU_DEP_3)
	v_and_b32_e32 v68, 0x8000, v68
	v_and_b32_e32 v67, 0xfc00, v67
	s_delay_alu instid0(VALU_DEP_1)
	v_or3_b32 v67, v68, v67, v2
.LBB267_367:                            ;   in Loop: Header=BB267_9 Depth=1
	s_or_b32 exec_lo, exec_lo, s30
.LBB267_368:                            ;   in Loop: Header=BB267_9 Depth=1
	s_delay_alu instid0(SALU_CYCLE_1)
	s_or_b32 exec_lo, exec_lo, s29
.LBB267_369:                            ;   in Loop: Header=BB267_9 Depth=1
	s_delay_alu instid0(SALU_CYCLE_1) | instskip(SKIP_2) | instid1(VALU_DEP_1)
	s_or_b32 exec_lo, exec_lo, s28
	v_lshrrev_b16 v2, 8, v10
	s_mov_b32 s28, exec_lo
	v_cmpx_ne_u16_e32 0, v2
	s_cbranch_execz .LBB267_377
; %bb.370:                              ;   in Loop: Header=BB267_9 Depth=1
	v_bfrev_b32_e32 v66, 1
	s_mov_b32 s29, exec_lo
	v_cmpx_ne_u16_e32 0x80, v2
	s_cbranch_execz .LBB267_376
; %bb.371:                              ;   in Loop: Header=BB267_9 Depth=1
	v_and_b32_e32 v68, 0xffff, v2
	v_mov_b32_e32 v66, 0x7c010000
	s_mov_b32 s30, exec_lo
	s_delay_alu instid0(VALU_DEP_2) | instskip(NEXT) | instid1(VALU_DEP_1)
	v_and_b32_e32 v70, 0x7f, v68
	v_cmpx_ne_u32_e32 0x7f, v70
	s_cbranch_execz .LBB267_375
; %bb.372:                              ;   in Loop: Header=BB267_9 Depth=1
	v_dual_lshrrev_b32 v69, 3, v70 :: v_dual_bitop2_b32 v66, 7, v68 bitop3:0x40
	s_mov_b32 s31, exec_lo
	v_cmpx_gt_u32_e32 8, v70
; %bb.373:                              ;   in Loop: Header=BB267_9 Depth=1
	s_delay_alu instid0(VALU_DEP_2) | instskip(NEXT) | instid1(VALU_DEP_1)
	v_clz_i32_u32_e32 v66, v66
	v_min_u32_e32 v66, 32, v66
	s_delay_alu instid0(VALU_DEP_1) | instskip(NEXT) | instid1(VALU_DEP_1)
	v_subrev_nc_u32_e32 v69, 28, v66
	v_lshlrev_b64_e32 v[70:71], v69, v[2:3]
	v_sub_nc_u32_e32 v69, 29, v66
	s_delay_alu instid0(VALU_DEP_2)
	v_and_b32_e32 v66, 7, v70
; %bb.374:                              ;   in Loop: Header=BB267_9 Depth=1
	s_or_b32 exec_lo, exec_lo, s31
	s_delay_alu instid0(VALU_DEP_1) | instskip(NEXT) | instid1(VALU_DEP_3)
	v_dual_lshlrev_b32 v2, 8, v68 :: v_dual_lshlrev_b32 v66, 23, v66
	v_lshl_add_u32 v68, v69, 10, 0x2000
	s_delay_alu instid0(VALU_DEP_1) | instskip(NEXT) | instid1(VALU_DEP_1)
	v_and_or_b32 v2, 0x8000, v2, v68
	v_lshl_or_b32 v66, v2, 16, v66
.LBB267_375:                            ;   in Loop: Header=BB267_9 Depth=1
	s_or_b32 exec_lo, exec_lo, s30
.LBB267_376:                            ;   in Loop: Header=BB267_9 Depth=1
	s_delay_alu instid0(SALU_CYCLE_1)
	s_or_b32 exec_lo, exec_lo, s29
.LBB267_377:                            ;   in Loop: Header=BB267_9 Depth=1
	s_delay_alu instid0(SALU_CYCLE_1) | instskip(SKIP_3) | instid1(VALU_DEP_2)
	s_or_b32 exec_lo, exec_lo, s28
	v_dual_lshrrev_b32 v2, 16, v10 :: v_dual_mov_b32 v68, 0
	v_mov_b32_e32 v69, 0
	s_mov_b32 s28, exec_lo
	v_and_b32_e32 v70, 0xff, v2
	s_delay_alu instid0(VALU_DEP_1)
	v_cmpx_ne_u16_e32 0, v70
	s_cbranch_execz .LBB267_385
; %bb.378:                              ;   in Loop: Header=BB267_9 Depth=1
	v_mov_b32_e32 v69, 0x8000
	s_mov_b32 s29, exec_lo
	v_cmpx_ne_u16_e32 0x80, v70
	s_cbranch_execz .LBB267_384
; %bb.379:                              ;   in Loop: Header=BB267_9 Depth=1
	v_bfe_u32 v71, v10, 16, 7
	v_mov_b32_e32 v69, 0x7c01
	s_mov_b32 s30, exec_lo
	s_delay_alu instid0(VALU_DEP_2)
	v_cmpx_ne_u32_e32 0x7f, v71
	s_cbranch_execz .LBB267_383
; %bb.380:                              ;   in Loop: Header=BB267_9 Depth=1
	v_dual_lshrrev_b32 v70, 3, v71 :: v_dual_bitop2_b32 v69, 7, v2 bitop3:0x40
	s_mov_b32 s31, exec_lo
	v_cmpx_gt_u32_e32 8, v71
; %bb.381:                              ;   in Loop: Header=BB267_9 Depth=1
	s_delay_alu instid0(VALU_DEP_2) | instskip(NEXT) | instid1(VALU_DEP_1)
	v_clz_i32_u32_e32 v69, v69
	v_min_u32_e32 v69, 32, v69
	s_delay_alu instid0(VALU_DEP_1) | instskip(NEXT) | instid1(VALU_DEP_1)
	v_subrev_nc_u32_e32 v70, 28, v69
	v_lshlrev_b64_e32 v[72:73], v70, v[2:3]
	s_delay_alu instid0(VALU_DEP_1)
	v_dual_sub_nc_u32 v70, 29, v69 :: v_dual_bitop2_b32 v69, 7, v72 bitop3:0x40
; %bb.382:                              ;   in Loop: Header=BB267_9 Depth=1
	s_or_b32 exec_lo, exec_lo, s31
	s_delay_alu instid0(VALU_DEP_1) | instskip(NEXT) | instid1(VALU_DEP_2)
	v_dual_lshlrev_b32 v2, 8, v2 :: v_dual_lshlrev_b32 v69, 7, v69
	v_lshl_add_u32 v70, v70, 10, 0x2000
	s_delay_alu instid0(VALU_DEP_2) | instskip(NEXT) | instid1(VALU_DEP_2)
	v_and_b32_e32 v2, 0x8000, v2
	v_and_b32_e32 v70, 0xfc00, v70
	s_delay_alu instid0(VALU_DEP_1)
	v_or3_b32 v69, v2, v70, v69
.LBB267_383:                            ;   in Loop: Header=BB267_9 Depth=1
	s_or_b32 exec_lo, exec_lo, s30
.LBB267_384:                            ;   in Loop: Header=BB267_9 Depth=1
	s_delay_alu instid0(SALU_CYCLE_1)
	s_or_b32 exec_lo, exec_lo, s29
.LBB267_385:                            ;   in Loop: Header=BB267_9 Depth=1
	s_delay_alu instid0(SALU_CYCLE_1) | instskip(NEXT) | instid1(SALU_CYCLE_1)
	s_or_b32 exec_lo, exec_lo, s28
	s_mov_b32 s28, exec_lo
	v_cmpx_lt_u32_e32 0xffffff, v10
	s_cbranch_execz .LBB267_393
; %bb.386:                              ;   in Loop: Header=BB267_9 Depth=1
	v_lshrrev_b32_e32 v2, 24, v10
	v_bfrev_b32_e32 v68, 1
	s_mov_b32 s29, exec_lo
	s_delay_alu instid0(VALU_DEP_2)
	v_cmpx_ne_u32_e32 0x80, v2
	s_cbranch_execz .LBB267_392
; %bb.387:                              ;   in Loop: Header=BB267_9 Depth=1
	v_and_b32_e32 v70, 0x7f, v2
	v_mov_b32_e32 v68, 0x7c010000
	s_mov_b32 s30, exec_lo
	s_delay_alu instid0(VALU_DEP_2)
	v_cmpx_ne_u32_e32 0x7f, v70
	s_cbranch_execz .LBB267_391
; %bb.388:                              ;   in Loop: Header=BB267_9 Depth=1
	v_and_b32_e32 v10, 7, v2
	v_lshrrev_b32_e32 v68, 3, v70
	s_mov_b32 s31, exec_lo
	v_cmpx_gt_u32_e32 8, v70
; %bb.389:                              ;   in Loop: Header=BB267_9 Depth=1
	s_delay_alu instid0(VALU_DEP_3) | instskip(NEXT) | instid1(VALU_DEP_1)
	v_clz_i32_u32_e32 v10, v10
	v_min_u32_e32 v10, 32, v10
	s_delay_alu instid0(VALU_DEP_1) | instskip(NEXT) | instid1(VALU_DEP_1)
	v_subrev_nc_u32_e32 v68, 28, v10
	v_lshlrev_b64_e32 v[70:71], v68, v[2:3]
	v_sub_nc_u32_e32 v68, 29, v10
	s_delay_alu instid0(VALU_DEP_2)
	v_and_b32_e32 v10, 7, v70
; %bb.390:                              ;   in Loop: Header=BB267_9 Depth=1
	s_or_b32 exec_lo, exec_lo, s31
	v_lshlrev_b32_e32 v2, 8, v2
	s_delay_alu instid0(VALU_DEP_3) | instskip(NEXT) | instid1(VALU_DEP_3)
	v_lshl_add_u32 v68, v68, 10, 0x2000
	v_lshlrev_b32_e32 v10, 23, v10
	s_delay_alu instid0(VALU_DEP_2) | instskip(NEXT) | instid1(VALU_DEP_1)
	v_and_or_b32 v2, 0x8000, v2, v68
	v_lshl_or_b32 v68, v2, 16, v10
.LBB267_391:                            ;   in Loop: Header=BB267_9 Depth=1
	s_or_b32 exec_lo, exec_lo, s30
.LBB267_392:                            ;   in Loop: Header=BB267_9 Depth=1
	s_delay_alu instid0(SALU_CYCLE_1)
	s_or_b32 exec_lo, exec_lo, s29
.LBB267_393:                            ;   in Loop: Header=BB267_9 Depth=1
	s_delay_alu instid0(SALU_CYCLE_1)
	s_or_b32 exec_lo, exec_lo, s28
	global_load_b32 v10, v[8:9], off offset:1536
	v_dual_mov_b32 v70, 0 :: v_dual_mov_b32 v71, 0
	s_mov_b32 s28, exec_lo
	s_wait_loadcnt 0x0
	v_and_b32_e32 v2, 0xff, v10
	s_delay_alu instid0(VALU_DEP_1)
	v_cmpx_ne_u16_e32 0, v2
	s_cbranch_execz .LBB267_401
; %bb.394:                              ;   in Loop: Header=BB267_9 Depth=1
	v_mov_b32_e32 v71, 0x8000
	s_mov_b32 s29, exec_lo
	v_cmpx_ne_u16_e32 0x80, v2
	s_cbranch_execz .LBB267_400
; %bb.395:                              ;   in Loop: Header=BB267_9 Depth=1
	v_and_b32_e32 v72, 0x7f, v10
	v_mov_b32_e32 v71, 0x7c01
	s_mov_b32 s30, exec_lo
	s_delay_alu instid0(VALU_DEP_2)
	v_cmpx_ne_u32_e32 0x7f, v72
	s_cbranch_execz .LBB267_399
; %bb.396:                              ;   in Loop: Header=BB267_9 Depth=1
	v_dual_lshrrev_b32 v71, 3, v72 :: v_dual_bitop2_b32 v2, 7, v10 bitop3:0x40
	s_mov_b32 s31, exec_lo
	v_cmpx_gt_u32_e32 8, v72
; %bb.397:                              ;   in Loop: Header=BB267_9 Depth=1
	s_delay_alu instid0(VALU_DEP_2) | instskip(NEXT) | instid1(VALU_DEP_1)
	v_clz_i32_u32_e32 v2, v2
	v_min_u32_e32 v2, 32, v2
	s_delay_alu instid0(VALU_DEP_1) | instskip(NEXT) | instid1(VALU_DEP_1)
	v_subrev_nc_u32_e32 v71, 28, v2
	v_lshlrev_b64_e32 v[72:73], v71, v[10:11]
	s_delay_alu instid0(VALU_DEP_1)
	v_dual_sub_nc_u32 v71, 29, v2 :: v_dual_bitop2_b32 v2, 7, v72 bitop3:0x40
; %bb.398:                              ;   in Loop: Header=BB267_9 Depth=1
	s_or_b32 exec_lo, exec_lo, s31
	v_lshlrev_b32_e32 v72, 8, v10
	s_delay_alu instid0(VALU_DEP_2) | instskip(NEXT) | instid1(VALU_DEP_3)
	v_lshl_add_u32 v71, v71, 10, 0x2000
	v_lshlrev_b32_e32 v2, 7, v2
	s_delay_alu instid0(VALU_DEP_3) | instskip(NEXT) | instid1(VALU_DEP_3)
	v_and_b32_e32 v72, 0x8000, v72
	v_and_b32_e32 v71, 0xfc00, v71
	s_delay_alu instid0(VALU_DEP_1)
	v_or3_b32 v71, v72, v71, v2
.LBB267_399:                            ;   in Loop: Header=BB267_9 Depth=1
	s_or_b32 exec_lo, exec_lo, s30
.LBB267_400:                            ;   in Loop: Header=BB267_9 Depth=1
	s_delay_alu instid0(SALU_CYCLE_1)
	s_or_b32 exec_lo, exec_lo, s29
.LBB267_401:                            ;   in Loop: Header=BB267_9 Depth=1
	s_delay_alu instid0(SALU_CYCLE_1) | instskip(SKIP_2) | instid1(VALU_DEP_1)
	s_or_b32 exec_lo, exec_lo, s28
	v_lshrrev_b16 v2, 8, v10
	s_mov_b32 s28, exec_lo
	v_cmpx_ne_u16_e32 0, v2
	s_cbranch_execz .LBB267_409
; %bb.402:                              ;   in Loop: Header=BB267_9 Depth=1
	v_bfrev_b32_e32 v70, 1
	s_mov_b32 s29, exec_lo
	v_cmpx_ne_u16_e32 0x80, v2
	s_cbranch_execz .LBB267_408
; %bb.403:                              ;   in Loop: Header=BB267_9 Depth=1
	v_and_b32_e32 v72, 0xffff, v2
	v_mov_b32_e32 v70, 0x7c010000
	s_mov_b32 s30, exec_lo
	s_delay_alu instid0(VALU_DEP_2) | instskip(NEXT) | instid1(VALU_DEP_1)
	v_and_b32_e32 v74, 0x7f, v72
	v_cmpx_ne_u32_e32 0x7f, v74
	s_cbranch_execz .LBB267_407
; %bb.404:                              ;   in Loop: Header=BB267_9 Depth=1
	v_dual_lshrrev_b32 v73, 3, v74 :: v_dual_bitop2_b32 v70, 7, v72 bitop3:0x40
	s_mov_b32 s31, exec_lo
	v_cmpx_gt_u32_e32 8, v74
; %bb.405:                              ;   in Loop: Header=BB267_9 Depth=1
	s_delay_alu instid0(VALU_DEP_2) | instskip(NEXT) | instid1(VALU_DEP_1)
	v_clz_i32_u32_e32 v70, v70
	v_min_u32_e32 v70, 32, v70
	s_delay_alu instid0(VALU_DEP_1) | instskip(NEXT) | instid1(VALU_DEP_1)
	v_subrev_nc_u32_e32 v73, 28, v70
	v_lshlrev_b64_e32 v[74:75], v73, v[2:3]
	v_sub_nc_u32_e32 v73, 29, v70
	s_delay_alu instid0(VALU_DEP_2)
	v_and_b32_e32 v70, 7, v74
; %bb.406:                              ;   in Loop: Header=BB267_9 Depth=1
	s_or_b32 exec_lo, exec_lo, s31
	s_delay_alu instid0(VALU_DEP_1) | instskip(NEXT) | instid1(VALU_DEP_3)
	v_dual_lshlrev_b32 v2, 8, v72 :: v_dual_lshlrev_b32 v70, 23, v70
	v_lshl_add_u32 v72, v73, 10, 0x2000
	s_delay_alu instid0(VALU_DEP_1) | instskip(NEXT) | instid1(VALU_DEP_1)
	v_and_or_b32 v2, 0x8000, v2, v72
	v_lshl_or_b32 v70, v2, 16, v70
.LBB267_407:                            ;   in Loop: Header=BB267_9 Depth=1
	s_or_b32 exec_lo, exec_lo, s30
.LBB267_408:                            ;   in Loop: Header=BB267_9 Depth=1
	s_delay_alu instid0(SALU_CYCLE_1)
	s_or_b32 exec_lo, exec_lo, s29
.LBB267_409:                            ;   in Loop: Header=BB267_9 Depth=1
	s_delay_alu instid0(SALU_CYCLE_1) | instskip(SKIP_3) | instid1(VALU_DEP_2)
	s_or_b32 exec_lo, exec_lo, s28
	v_dual_lshrrev_b32 v2, 16, v10 :: v_dual_mov_b32 v72, 0
	v_mov_b32_e32 v73, 0
	s_mov_b32 s28, exec_lo
	v_and_b32_e32 v74, 0xff, v2
	s_delay_alu instid0(VALU_DEP_1)
	v_cmpx_ne_u16_e32 0, v74
	s_cbranch_execz .LBB267_417
; %bb.410:                              ;   in Loop: Header=BB267_9 Depth=1
	v_mov_b32_e32 v73, 0x8000
	s_mov_b32 s29, exec_lo
	v_cmpx_ne_u16_e32 0x80, v74
	s_cbranch_execz .LBB267_416
; %bb.411:                              ;   in Loop: Header=BB267_9 Depth=1
	v_bfe_u32 v75, v10, 16, 7
	v_mov_b32_e32 v73, 0x7c01
	s_mov_b32 s30, exec_lo
	s_delay_alu instid0(VALU_DEP_2)
	v_cmpx_ne_u32_e32 0x7f, v75
	s_cbranch_execz .LBB267_415
; %bb.412:                              ;   in Loop: Header=BB267_9 Depth=1
	v_dual_lshrrev_b32 v74, 3, v75 :: v_dual_bitop2_b32 v73, 7, v2 bitop3:0x40
	s_mov_b32 s31, exec_lo
	v_cmpx_gt_u32_e32 8, v75
; %bb.413:                              ;   in Loop: Header=BB267_9 Depth=1
	s_delay_alu instid0(VALU_DEP_2) | instskip(NEXT) | instid1(VALU_DEP_1)
	v_clz_i32_u32_e32 v73, v73
	v_min_u32_e32 v73, 32, v73
	s_delay_alu instid0(VALU_DEP_1) | instskip(NEXT) | instid1(VALU_DEP_1)
	v_subrev_nc_u32_e32 v74, 28, v73
	v_lshlrev_b64_e32 v[76:77], v74, v[2:3]
	s_delay_alu instid0(VALU_DEP_1)
	v_dual_sub_nc_u32 v74, 29, v73 :: v_dual_bitop2_b32 v73, 7, v76 bitop3:0x40
; %bb.414:                              ;   in Loop: Header=BB267_9 Depth=1
	s_or_b32 exec_lo, exec_lo, s31
	s_delay_alu instid0(VALU_DEP_1) | instskip(NEXT) | instid1(VALU_DEP_2)
	v_dual_lshlrev_b32 v2, 8, v2 :: v_dual_lshlrev_b32 v73, 7, v73
	v_lshl_add_u32 v74, v74, 10, 0x2000
	s_delay_alu instid0(VALU_DEP_2) | instskip(NEXT) | instid1(VALU_DEP_2)
	v_and_b32_e32 v2, 0x8000, v2
	v_and_b32_e32 v74, 0xfc00, v74
	s_delay_alu instid0(VALU_DEP_1)
	v_or3_b32 v73, v2, v74, v73
.LBB267_415:                            ;   in Loop: Header=BB267_9 Depth=1
	s_or_b32 exec_lo, exec_lo, s30
.LBB267_416:                            ;   in Loop: Header=BB267_9 Depth=1
	s_delay_alu instid0(SALU_CYCLE_1)
	s_or_b32 exec_lo, exec_lo, s29
.LBB267_417:                            ;   in Loop: Header=BB267_9 Depth=1
	s_delay_alu instid0(SALU_CYCLE_1) | instskip(NEXT) | instid1(SALU_CYCLE_1)
	s_or_b32 exec_lo, exec_lo, s28
	s_mov_b32 s28, exec_lo
	v_cmpx_lt_u32_e32 0xffffff, v10
	s_cbranch_execz .LBB267_425
; %bb.418:                              ;   in Loop: Header=BB267_9 Depth=1
	v_lshrrev_b32_e32 v2, 24, v10
	v_bfrev_b32_e32 v72, 1
	s_mov_b32 s29, exec_lo
	s_delay_alu instid0(VALU_DEP_2)
	v_cmpx_ne_u32_e32 0x80, v2
	s_cbranch_execz .LBB267_424
; %bb.419:                              ;   in Loop: Header=BB267_9 Depth=1
	v_and_b32_e32 v74, 0x7f, v2
	v_mov_b32_e32 v72, 0x7c010000
	s_mov_b32 s30, exec_lo
	s_delay_alu instid0(VALU_DEP_2)
	v_cmpx_ne_u32_e32 0x7f, v74
	s_cbranch_execz .LBB267_423
; %bb.420:                              ;   in Loop: Header=BB267_9 Depth=1
	v_and_b32_e32 v10, 7, v2
	v_lshrrev_b32_e32 v72, 3, v74
	s_mov_b32 s31, exec_lo
	v_cmpx_gt_u32_e32 8, v74
; %bb.421:                              ;   in Loop: Header=BB267_9 Depth=1
	s_delay_alu instid0(VALU_DEP_3) | instskip(NEXT) | instid1(VALU_DEP_1)
	v_clz_i32_u32_e32 v10, v10
	v_min_u32_e32 v10, 32, v10
	s_delay_alu instid0(VALU_DEP_1) | instskip(NEXT) | instid1(VALU_DEP_1)
	v_subrev_nc_u32_e32 v72, 28, v10
	v_lshlrev_b64_e32 v[74:75], v72, v[2:3]
	v_sub_nc_u32_e32 v72, 29, v10
	s_delay_alu instid0(VALU_DEP_2)
	v_and_b32_e32 v10, 7, v74
; %bb.422:                              ;   in Loop: Header=BB267_9 Depth=1
	s_or_b32 exec_lo, exec_lo, s31
	v_lshlrev_b32_e32 v2, 8, v2
	s_delay_alu instid0(VALU_DEP_3) | instskip(NEXT) | instid1(VALU_DEP_3)
	v_lshl_add_u32 v72, v72, 10, 0x2000
	v_lshlrev_b32_e32 v10, 23, v10
	s_delay_alu instid0(VALU_DEP_2) | instskip(NEXT) | instid1(VALU_DEP_1)
	v_and_or_b32 v2, 0x8000, v2, v72
	v_lshl_or_b32 v72, v2, 16, v10
.LBB267_423:                            ;   in Loop: Header=BB267_9 Depth=1
	s_or_b32 exec_lo, exec_lo, s30
.LBB267_424:                            ;   in Loop: Header=BB267_9 Depth=1
	s_delay_alu instid0(SALU_CYCLE_1)
	s_or_b32 exec_lo, exec_lo, s29
.LBB267_425:                            ;   in Loop: Header=BB267_9 Depth=1
	s_delay_alu instid0(SALU_CYCLE_1)
	s_or_b32 exec_lo, exec_lo, s28
	global_load_b32 v8, v[8:9], off offset:1544
	v_dual_mov_b32 v10, 0 :: v_dual_mov_b32 v74, 0
	s_mov_b32 s28, exec_lo
	s_wait_loadcnt 0x0
	v_and_b32_e32 v2, 0xff, v8
	s_delay_alu instid0(VALU_DEP_1)
	v_cmpx_ne_u16_e32 0, v2
	s_cbranch_execz .LBB267_433
; %bb.426:                              ;   in Loop: Header=BB267_9 Depth=1
	v_mov_b32_e32 v74, 0x8000
	s_mov_b32 s29, exec_lo
	v_cmpx_ne_u16_e32 0x80, v2
	s_cbranch_execz .LBB267_432
; %bb.427:                              ;   in Loop: Header=BB267_9 Depth=1
	v_and_b32_e32 v75, 0x7f, v8
	v_mov_b32_e32 v74, 0x7c01
	s_mov_b32 s30, exec_lo
	s_delay_alu instid0(VALU_DEP_2)
	v_cmpx_ne_u32_e32 0x7f, v75
	s_cbranch_execz .LBB267_431
; %bb.428:                              ;   in Loop: Header=BB267_9 Depth=1
	v_dual_lshrrev_b32 v9, 3, v75 :: v_dual_bitop2_b32 v2, 7, v8 bitop3:0x40
	s_mov_b32 s31, exec_lo
	v_cmpx_gt_u32_e32 8, v75
; %bb.429:                              ;   in Loop: Header=BB267_9 Depth=1
	s_delay_alu instid0(VALU_DEP_2) | instskip(NEXT) | instid1(VALU_DEP_1)
	v_clz_i32_u32_e32 v2, v2
	v_min_u32_e32 v2, 32, v2
	s_delay_alu instid0(VALU_DEP_1) | instskip(NEXT) | instid1(VALU_DEP_1)
	v_subrev_nc_u32_e32 v9, 28, v2
	v_lshlrev_b64_e32 v[74:75], v9, v[8:9]
	v_sub_nc_u32_e32 v9, 29, v2
	s_delay_alu instid0(VALU_DEP_2)
	v_and_b32_e32 v2, 7, v74
; %bb.430:                              ;   in Loop: Header=BB267_9 Depth=1
	s_or_b32 exec_lo, exec_lo, s31
	s_delay_alu instid0(VALU_DEP_1) | instskip(NEXT) | instid1(VALU_DEP_3)
	v_dual_lshlrev_b32 v74, 8, v8 :: v_dual_lshlrev_b32 v2, 7, v2
	v_lshl_add_u32 v9, v9, 10, 0x2000
	s_delay_alu instid0(VALU_DEP_2) | instskip(NEXT) | instid1(VALU_DEP_2)
	v_and_b32_e32 v74, 0x8000, v74
	v_and_b32_e32 v9, 0xfc00, v9
	s_delay_alu instid0(VALU_DEP_1)
	v_or3_b32 v74, v74, v9, v2
.LBB267_431:                            ;   in Loop: Header=BB267_9 Depth=1
	s_or_b32 exec_lo, exec_lo, s30
.LBB267_432:                            ;   in Loop: Header=BB267_9 Depth=1
	s_delay_alu instid0(SALU_CYCLE_1)
	s_or_b32 exec_lo, exec_lo, s29
.LBB267_433:                            ;   in Loop: Header=BB267_9 Depth=1
	s_delay_alu instid0(SALU_CYCLE_1) | instskip(SKIP_2) | instid1(VALU_DEP_1)
	s_or_b32 exec_lo, exec_lo, s28
	v_lshrrev_b16 v2, 8, v8
	s_mov_b32 s28, exec_lo
	v_cmpx_ne_u16_e32 0, v2
	s_cbranch_execz .LBB267_441
; %bb.434:                              ;   in Loop: Header=BB267_9 Depth=1
	v_bfrev_b32_e32 v10, 1
	s_mov_b32 s29, exec_lo
	v_cmpx_ne_u16_e32 0x80, v2
	s_cbranch_execz .LBB267_440
; %bb.435:                              ;   in Loop: Header=BB267_9 Depth=1
	v_and_b32_e32 v9, 0xffff, v2
	v_mov_b32_e32 v10, 0x7c010000
	s_mov_b32 s30, exec_lo
	s_delay_alu instid0(VALU_DEP_2) | instskip(NEXT) | instid1(VALU_DEP_1)
	v_and_b32_e32 v76, 0x7f, v9
	v_cmpx_ne_u32_e32 0x7f, v76
	s_cbranch_execz .LBB267_439
; %bb.436:                              ;   in Loop: Header=BB267_9 Depth=1
	v_dual_lshrrev_b32 v75, 3, v76 :: v_dual_bitop2_b32 v10, 7, v9 bitop3:0x40
	s_mov_b32 s31, exec_lo
	v_cmpx_gt_u32_e32 8, v76
; %bb.437:                              ;   in Loop: Header=BB267_9 Depth=1
	s_delay_alu instid0(VALU_DEP_2) | instskip(NEXT) | instid1(VALU_DEP_1)
	v_clz_i32_u32_e32 v10, v10
	v_min_u32_e32 v10, 32, v10
	s_delay_alu instid0(VALU_DEP_1) | instskip(NEXT) | instid1(VALU_DEP_1)
	v_subrev_nc_u32_e32 v75, 28, v10
	v_lshlrev_b64_e32 v[76:77], v75, v[2:3]
	s_delay_alu instid0(VALU_DEP_1)
	v_dual_sub_nc_u32 v75, 29, v10 :: v_dual_bitop2_b32 v10, 7, v76 bitop3:0x40
; %bb.438:                              ;   in Loop: Header=BB267_9 Depth=1
	s_or_b32 exec_lo, exec_lo, s31
	v_lshlrev_b32_e32 v2, 8, v9
	s_delay_alu instid0(VALU_DEP_2) | instskip(NEXT) | instid1(VALU_DEP_1)
	v_lshl_add_u32 v9, v75, 10, 0x2000
	v_and_or_b32 v2, 0x8000, v2, v9
	v_lshlrev_b32_e32 v9, 23, v10
	s_delay_alu instid0(VALU_DEP_1)
	v_lshl_or_b32 v10, v2, 16, v9
.LBB267_439:                            ;   in Loop: Header=BB267_9 Depth=1
	s_or_b32 exec_lo, exec_lo, s30
.LBB267_440:                            ;   in Loop: Header=BB267_9 Depth=1
	s_delay_alu instid0(SALU_CYCLE_1)
	s_or_b32 exec_lo, exec_lo, s29
.LBB267_441:                            ;   in Loop: Header=BB267_9 Depth=1
	s_delay_alu instid0(SALU_CYCLE_1) | instskip(SKIP_3) | instid1(VALU_DEP_2)
	s_or_b32 exec_lo, exec_lo, s28
	v_dual_mov_b32 v75, 0 :: v_dual_lshrrev_b32 v2, 16, v8
	v_mov_b32_e32 v76, 0
	s_mov_b32 s28, exec_lo
	v_and_b32_e32 v9, 0xff, v2
	s_delay_alu instid0(VALU_DEP_1)
	v_cmpx_ne_u16_e32 0, v9
	s_cbranch_execz .LBB267_449
; %bb.442:                              ;   in Loop: Header=BB267_9 Depth=1
	v_mov_b32_e32 v76, 0x8000
	s_mov_b32 s29, exec_lo
	v_cmpx_ne_u16_e32 0x80, v9
	s_cbranch_execz .LBB267_448
; %bb.443:                              ;   in Loop: Header=BB267_9 Depth=1
	v_bfe_u32 v77, v8, 16, 7
	v_mov_b32_e32 v76, 0x7c01
	s_mov_b32 s30, exec_lo
	s_delay_alu instid0(VALU_DEP_2)
	v_cmpx_ne_u32_e32 0x7f, v77
	s_cbranch_execz .LBB267_447
; %bb.444:                              ;   in Loop: Header=BB267_9 Depth=1
	v_dual_lshrrev_b32 v76, 3, v77 :: v_dual_bitop2_b32 v9, 7, v2 bitop3:0x40
	s_mov_b32 s31, exec_lo
	v_cmpx_gt_u32_e32 8, v77
; %bb.445:                              ;   in Loop: Header=BB267_9 Depth=1
	s_delay_alu instid0(VALU_DEP_2) | instskip(NEXT) | instid1(VALU_DEP_1)
	v_clz_i32_u32_e32 v9, v9
	v_min_u32_e32 v9, 32, v9
	s_delay_alu instid0(VALU_DEP_1) | instskip(NEXT) | instid1(VALU_DEP_1)
	v_subrev_nc_u32_e32 v76, 28, v9
	v_lshlrev_b64_e32 v[78:79], v76, v[2:3]
	s_delay_alu instid0(VALU_DEP_1)
	v_dual_sub_nc_u32 v76, 29, v9 :: v_dual_bitop2_b32 v9, 7, v78 bitop3:0x40
; %bb.446:                              ;   in Loop: Header=BB267_9 Depth=1
	s_or_b32 exec_lo, exec_lo, s31
	s_delay_alu instid0(VALU_DEP_1) | instskip(NEXT) | instid1(VALU_DEP_2)
	v_dual_lshlrev_b32 v2, 8, v2 :: v_dual_lshlrev_b32 v9, 7, v9
	v_lshl_add_u32 v76, v76, 10, 0x2000
	s_delay_alu instid0(VALU_DEP_2) | instskip(NEXT) | instid1(VALU_DEP_2)
	v_and_b32_e32 v2, 0x8000, v2
	v_and_b32_e32 v76, 0xfc00, v76
	s_delay_alu instid0(VALU_DEP_1)
	v_or3_b32 v76, v2, v76, v9
.LBB267_447:                            ;   in Loop: Header=BB267_9 Depth=1
	s_or_b32 exec_lo, exec_lo, s30
.LBB267_448:                            ;   in Loop: Header=BB267_9 Depth=1
	s_delay_alu instid0(SALU_CYCLE_1)
	s_or_b32 exec_lo, exec_lo, s29
.LBB267_449:                            ;   in Loop: Header=BB267_9 Depth=1
	s_delay_alu instid0(SALU_CYCLE_1) | instskip(NEXT) | instid1(SALU_CYCLE_1)
	s_or_b32 exec_lo, exec_lo, s28
	s_mov_b32 s28, exec_lo
	v_cmpx_lt_u32_e32 0xffffff, v8
	s_cbranch_execz .LBB267_457
; %bb.450:                              ;   in Loop: Header=BB267_9 Depth=1
	v_lshrrev_b32_e32 v2, 24, v8
	v_bfrev_b32_e32 v75, 1
	s_mov_b32 s29, exec_lo
	s_delay_alu instid0(VALU_DEP_2)
	v_cmpx_ne_u32_e32 0x80, v2
	s_cbranch_execz .LBB267_456
; %bb.451:                              ;   in Loop: Header=BB267_9 Depth=1
	v_and_b32_e32 v77, 0x7f, v2
	v_mov_b32_e32 v75, 0x7c010000
	s_mov_b32 s30, exec_lo
	s_delay_alu instid0(VALU_DEP_2)
	v_cmpx_ne_u32_e32 0x7f, v77
	s_cbranch_execz .LBB267_455
; %bb.452:                              ;   in Loop: Header=BB267_9 Depth=1
	v_dual_lshrrev_b32 v9, 3, v77 :: v_dual_bitop2_b32 v8, 7, v2 bitop3:0x40
	s_mov_b32 s31, exec_lo
	v_cmpx_gt_u32_e32 8, v77
; %bb.453:                              ;   in Loop: Header=BB267_9 Depth=1
	s_delay_alu instid0(VALU_DEP_2) | instskip(NEXT) | instid1(VALU_DEP_1)
	v_clz_i32_u32_e32 v8, v8
	v_min_u32_e32 v75, 32, v8
	s_delay_alu instid0(VALU_DEP_1) | instskip(NEXT) | instid1(VALU_DEP_1)
	v_subrev_nc_u32_e32 v8, 28, v75
	v_lshlrev_b64_e32 v[8:9], v8, v[2:3]
	s_delay_alu instid0(VALU_DEP_1)
	v_dual_sub_nc_u32 v9, 29, v75 :: v_dual_bitop2_b32 v8, 7, v8 bitop3:0x40
; %bb.454:                              ;   in Loop: Header=BB267_9 Depth=1
	s_or_b32 exec_lo, exec_lo, s31
	s_delay_alu instid0(VALU_DEP_1) | instskip(NEXT) | instid1(VALU_DEP_2)
	v_dual_lshlrev_b32 v2, 8, v2 :: v_dual_lshlrev_b32 v8, 23, v8
	v_lshl_add_u32 v9, v9, 10, 0x2000
	s_delay_alu instid0(VALU_DEP_1) | instskip(NEXT) | instid1(VALU_DEP_1)
	v_and_or_b32 v2, 0x8000, v2, v9
	v_lshl_or_b32 v75, v2, 16, v8
.LBB267_455:                            ;   in Loop: Header=BB267_9 Depth=1
	s_or_b32 exec_lo, exec_lo, s30
.LBB267_456:                            ;   in Loop: Header=BB267_9 Depth=1
	s_delay_alu instid0(SALU_CYCLE_1)
	s_or_b32 exec_lo, exec_lo, s29
.LBB267_457:                            ;   in Loop: Header=BB267_9 Depth=1
	s_delay_alu instid0(SALU_CYCLE_1)
	s_or_b32 exec_lo, exec_lo, s28
	ds_load_b64 v[8:9], v14
	v_or_b32_e32 v2, v19, v20
	v_or_b32_e32 v20, v21, v22
	v_fma_mixlo_f16 v19, v18, v19, 0 op_sel:[0,1,0] op_sel_hi:[0,1,0]
	v_fma_mixlo_f16 v21, v18, v21, 0 op_sel:[0,1,0] op_sel_hi:[0,1,0]
	v_or_b32_e32 v33, v32, v33
	v_fma_mixlo_f16 v32, v18, v32, 0 op_sel:[0,1,0] op_sel_hi:[0,1,0]
	v_or_b32_e32 v41, v40, v41
	v_and_b32_e32 v19, 0xffff, v19
	v_and_b32_e32 v21, 0xffff, v21
	v_fma_mixlo_f16 v33, v18, v33, 0 op_sel_hi:[0,1,0]
	v_fma_mixlo_f16 v40, v18, v40, 0 op_sel:[0,1,0] op_sel_hi:[0,1,0]
	v_fma_mixlo_f16 v41, v18, v41, 0 op_sel_hi:[0,1,0]
	v_or_b32_e32 v45, v44, v45
	v_fma_mixlo_f16 v44, v18, v44, 0 op_sel:[0,1,0] op_sel_hi:[0,1,0]
	s_delay_alu instid0(VALU_DEP_4) | instskip(NEXT) | instid1(VALU_DEP_4)
	v_and_b32_e32 v94, 0xffff, v40
	v_and_b32_e32 v93, 0xffff, v41
	s_delay_alu instid0(VALU_DEP_4) | instskip(NEXT) | instid1(VALU_DEP_4)
	v_fma_mixlo_f16 v45, v18, v45, 0 op_sel_hi:[0,1,0]
	v_and_b32_e32 v99, 0xffff, v44
	s_wait_dscnt 0x0
	v_and_b32_e32 v22, 0xffff, v8
	v_lshrrev_b32_e32 v8, 16, v8
	v_fma_mixlo_f16 v20, v18, v20, 0 op_sel_hi:[0,1,0]
	v_lshrrev_b32_e32 v78, 16, v9
	v_fma_mixlo_f16 v2, v18, v2, 0 op_sel_hi:[0,1,0]
	v_and_b32_e32 v9, 0xffff, v9
	;;#ASMSTART
	v_cvt_f32_f16 v81, v22;
	;;#ASMEND
	v_and_b32_e32 v20, 0xffff, v20
	;;#ASMSTART
	v_cvt_f32_f16 v79, v8;
	;;#ASMEND
	v_and_b32_e32 v2, 0xffff, v2
	;;#ASMSTART
	v_cvt_f32_f16 v82, v2;
	;;#ASMEND
	;;#ASMSTART
	v_cvt_f32_f16 v80, v19;
	;;#ASMEND
	;;#ASMSTART
	v_cvt_f32_f16 v77, v9;
	;;#ASMEND
	;; [unrolled: 3-line block ×5, first 2 shown]
	ds_load_b64 v[8:9], v14 offset:8
	v_or_b32_e32 v21, v25, v29
	v_or_b32_e32 v2, v23, v24
	v_fma_mixlo_f16 v22, v18, v23, 0 op_sel:[0,1,0] op_sel_hi:[0,1,0]
	v_fma_mixlo_f16 v23, v18, v25, 0 op_sel:[0,1,0] op_sel_hi:[0,1,0]
	;; [unrolled: 1-line block ×3, first 2 shown]
	v_fma_mixlo_f16 v21, v18, v21, 0 op_sel_hi:[0,1,0]
	v_and_b32_e32 v98, 0xffff, v45
	v_and_b32_e32 v22, 0xffff, v22
	v_and_b32_e32 v23, 0xffff, v23
	s_delay_alu instid0(VALU_DEP_4) | instskip(SKIP_4) | instid1(VALU_DEP_2)
	v_and_b32_e32 v25, 0xffff, v21
	s_wait_dscnt 0x0
	v_lshrrev_b32_e32 v21, 16, v9
	v_fma_mixlo_f16 v2, v18, v2, 0 op_sel_hi:[0,1,0]
	v_and_b32_e32 v9, 0xffff, v9
	v_and_b32_e32 v24, 0xffff, v2
	;; [unrolled: 1-line block ×3, first 2 shown]
	v_lshrrev_b32_e32 v8, 16, v8
	;;#ASMSTART
	v_cvt_f32_f16 v2, v2;
	;;#ASMEND
	;;#ASMSTART
	v_cvt_f32_f16 v83, v8;
	;;#ASMEND
	;; [unrolled: 3-line block ×8, first 2 shown]
	ds_load_b64 v[8:9], v14 offset:16
	v_or_b32_e32 v23, v30, v31
	v_or_b32_e32 v24, v34, v35
	v_fma_mixlo_f16 v25, v18, v30, 0 op_sel:[0,1,0] op_sel_hi:[0,1,0]
	v_and_b32_e32 v30, 0xffff, v29
	v_or_b32_e32 v34, v36, v37
	v_fma_mixlo_f16 v23, v18, v23, 0 op_sel_hi:[0,1,0]
	v_fma_mixlo_f16 v24, v18, v24, 0 op_sel_hi:[0,1,0]
	v_and_b32_e32 v25, 0xffff, v25
	v_fma_mixlo_f16 v35, v18, v36, 0 op_sel:[0,1,0] op_sel_hi:[0,1,0]
	v_fma_mixlo_f16 v34, v18, v34, 0 op_sel_hi:[0,1,0]
	v_and_b32_e32 v29, 0xffff, v23
	v_and_b32_e32 v31, 0xffff, v24
	;; [unrolled: 1-line block ×6, first 2 shown]
	v_dual_mul_f32 v2, v2, v95 :: v_dual_bitop2_b32 v49, v48, v49 bitop3:0x54
	v_fma_mixlo_f16 v48, v18, v48, 0 op_sel:[0,1,0] op_sel_hi:[0,1,0]
	s_wait_dscnt 0x0
	v_and_b32_e32 v23, 0xffff, v8
	v_dual_lshrrev_b32 v8, 16, v8 :: v_dual_lshrrev_b32 v24, 16, v9
	v_and_b32_e32 v9, 0xffff, v9
	;;#ASMSTART
	v_cvt_f32_f16 v89, v23;
	;;#ASMEND
	;;#ASMSTART
	v_cvt_f32_f16 v23, v8;
	;;#ASMEND
	;; [unrolled: 3-line block ×8, first 2 shown]
	ds_load_b64 v[8:9], v14 offset:24
	v_fma_mixlo_f16 v49, v18, v49, 0 op_sel_hi:[0,1,0]
	v_and_b32_e32 v103, 0xffff, v48
	v_or_b32_e32 v53, v52, v53
	v_fma_mixlo_f16 v52, v18, v52, 0 op_sel:[0,1,0] op_sel_hi:[0,1,0]
	v_mul_f32_e32 v22, v21, v22
	v_and_b32_e32 v102, 0xffff, v49
	s_delay_alu instid0(VALU_DEP_4) | instskip(NEXT) | instid1(VALU_DEP_4)
	v_fma_mixlo_f16 v53, v18, v53, 0 op_sel_hi:[0,1,0]
	v_and_b32_e32 v106, 0xffff, v52
	s_delay_alu instid0(VALU_DEP_4) | instskip(NEXT) | instid1(VALU_DEP_3)
	v_fmac_f32_e32 v22, v19, v20
	v_and_b32_e32 v105, 0xffff, v53
	s_wait_dscnt 0x0
	v_and_b32_e32 v32, 0xffff, v8
	v_dual_lshrrev_b32 v8, 16, v8 :: v_dual_lshrrev_b32 v34, 16, v9
	v_and_b32_e32 v9, 0xffff, v9
	;;#ASMSTART
	v_cvt_f32_f16 v32, v32;
	;;#ASMEND
	;;#ASMSTART
	v_cvt_f32_f16 v33, v8;
	;;#ASMEND
	;; [unrolled: 3-line block ×8, first 2 shown]
	ds_load_b64 v[8:9], v14 offset:32
	v_or_b32_e32 v39, v38, v39
	v_fma_mixlo_f16 v38, v18, v38, 0 op_sel:[0,1,0] op_sel_hi:[0,1,0]
	s_delay_alu instid0(VALU_DEP_1)
	v_and_b32_e32 v91, 0xffff, v38
	s_wait_dscnt 0x0
	v_lshrrev_b32_e32 v92, 16, v9
	v_fma_mixlo_f16 v39, v18, v39, 0 op_sel_hi:[0,1,0]
	v_and_b32_e32 v38, 0xffff, v8
	v_lshrrev_b32_e32 v8, 16, v8
	v_and_b32_e32 v9, 0xffff, v9
	;;#ASMSTART
	v_cvt_f32_f16 v38, v38;
	;;#ASMEND
	v_and_b32_e32 v40, 0xffff, v39
	;;#ASMSTART
	v_cvt_f32_f16 v39, v8;
	;;#ASMEND
	;;#ASMSTART
	v_cvt_f32_f16 v40, v40;
	;;#ASMEND
	;;#ASMSTART
	v_cvt_f32_f16 v41, v91;
	;;#ASMEND
	;;#ASMSTART
	v_cvt_f32_f16 v91, v9;
	;;#ASMEND
	;;#ASMSTART
	v_cvt_f32_f16 v92, v92;
	;;#ASMEND
	;;#ASMSTART
	v_cvt_f32_f16 v93, v93;
	;;#ASMEND
	;;#ASMSTART
	v_cvt_f32_f16 v94, v94;
	;;#ASMEND
	ds_load_b64 v[8:9], v14 offset:40
	v_or_b32_e32 v43, v42, v43
	v_fma_mixlo_f16 v42, v18, v42, 0 op_sel:[0,1,0] op_sel_hi:[0,1,0]
	s_delay_alu instid0(VALU_DEP_1)
	v_and_b32_e32 v96, 0xffff, v42
	s_wait_dscnt 0x0
	v_lshrrev_b32_e32 v97, 16, v9
	v_fma_mixlo_f16 v43, v18, v43, 0 op_sel_hi:[0,1,0]
	v_and_b32_e32 v42, 0xffff, v8
	v_lshrrev_b32_e32 v8, 16, v8
	v_and_b32_e32 v9, 0xffff, v9
	;;#ASMSTART
	v_cvt_f32_f16 v42, v42;
	;;#ASMEND
	v_and_b32_e32 v44, 0xffff, v43
	;;#ASMSTART
	v_cvt_f32_f16 v43, v8;
	;;#ASMEND
	;;#ASMSTART
	v_cvt_f32_f16 v44, v44;
	;;#ASMEND
	;;#ASMSTART
	v_cvt_f32_f16 v45, v96;
	;;#ASMEND
	;;#ASMSTART
	v_cvt_f32_f16 v96, v9;
	;;#ASMEND
	;;#ASMSTART
	v_cvt_f32_f16 v97, v97;
	;;#ASMEND
	;;#ASMSTART
	v_cvt_f32_f16 v98, v98;
	;;#ASMEND
	;;#ASMSTART
	v_cvt_f32_f16 v99, v99;
	;;#ASMEND
	;; [unrolled: 36-line block ×4, first 2 shown]
	ds_load_b64 v[108:109], v14 offset:64
	v_or_b32_e32 v9, v56, v57
	v_or_b32_e32 v8, v54, v55
	v_fma_mixlo_f16 v54, v18, v54, 0 op_sel:[0,1,0] op_sel_hi:[0,1,0]
	v_fma_mixlo_f16 v55, v18, v56, 0 op_sel:[0,1,0] op_sel_hi:[0,1,0]
	v_fmac_f32_e32 v2, v81, v82
	v_fma_mixlo_f16 v9, v18, v9, 0 op_sel_hi:[0,1,0]
	s_delay_alu instid0(VALU_DEP_4) | instskip(NEXT) | instid1(VALU_DEP_4)
	v_and_b32_e32 v54, 0xffff, v54
	v_and_b32_e32 v55, 0xffff, v55
	s_delay_alu instid0(VALU_DEP_3) | instskip(SKIP_2) | instid1(VALU_DEP_2)
	v_and_b32_e32 v57, 0xffff, v9
	v_dual_mul_f32 v9, v83, v84 :: v_dual_bitop2_b32 v59, v58, v59 bitop3:0x54
	v_fma_mixlo_f16 v58, v18, v58, 0 op_sel:[0,1,0] op_sel_hi:[0,1,0]
	v_fmac_f32_e32 v9, v79, v80
	s_delay_alu instid0(VALU_DEP_3) | instskip(NEXT) | instid1(VALU_DEP_3)
	v_fma_mixlo_f16 v59, v18, v59, 0 op_sel_hi:[0,1,0]
	v_and_b32_e32 v58, 0xffff, v58
	s_wait_dscnt 0x0
	v_lshrrev_b32_e32 v84, 16, v108
	v_fma_mixlo_f16 v8, v18, v8, 0 op_sel_hi:[0,1,0]
	v_and_b32_e32 v83, 0xffff, v108
	v_lshrrev_b32_e32 v81, 16, v109
	v_and_b32_e32 v82, 0xffff, v109
	;;#ASMSTART
	v_cvt_f32_f16 v83, v83;
	;;#ASMEND
	v_and_b32_e32 v56, 0xffff, v8
	v_mul_f32_e32 v8, v85, v86
	;;#ASMSTART
	v_cvt_f32_f16 v84, v84;
	;;#ASMEND
	;;#ASMSTART
	v_cvt_f32_f16 v85, v56;
	;;#ASMEND
	;; [unrolled: 3-line block ×7, first 2 shown]
	ds_load_b64 v[56:57], v14 offset:72
	v_or_b32_e32 v61, v60, v61
	v_fma_mixlo_f16 v60, v18, v60, 0 op_sel:[0,1,0] op_sel_hi:[0,1,0]
	v_fmac_f32_e32 v8, v77, v78
	v_and_b32_e32 v59, 0xffff, v59
	v_dual_fmac_f32 v2, v89, v90 :: v_dual_fmac_f32 v9, v23, v25
	s_delay_alu instid0(VALU_DEP_4) | instskip(NEXT) | instid1(VALU_DEP_2)
	v_and_b32_e32 v60, 0xffff, v60
	v_dual_fmac_f32 v22, v24, v30 :: v_dual_fmac_f32 v9, v33, v36
	s_delay_alu instid0(VALU_DEP_1) | instskip(NEXT) | instid1(VALU_DEP_1)
	v_dual_fmac_f32 v22, v34, v87 :: v_dual_fmac_f32 v9, v39, v41
	v_fmac_f32_e32 v22, v92, v94
	s_wait_dscnt 0x0
	v_and_b32_e32 v79, 0xffff, v56
	v_lshrrev_b32_e32 v56, 16, v56
	v_fma_mixlo_f16 v61, v18, v61, 0 op_sel_hi:[0,1,0]
	v_lshrrev_b32_e32 v77, 16, v57
	v_and_b32_e32 v57, 0xffff, v57
	;;#ASMSTART
	v_cvt_f32_f16 v78, v79;
	;;#ASMEND
	;;#ASMSTART
	v_cvt_f32_f16 v79, v56;
	;;#ASMEND
	v_and_b32_e32 v61, 0xffff, v61
	;;#ASMSTART
	v_cvt_f32_f16 v80, v59;
	;;#ASMEND
	;;#ASMSTART
	v_cvt_f32_f16 v107, v58;
	;;#ASMEND
	;; [unrolled: 3-line block ×6, first 2 shown]
	ds_load_b64 v[56:57], v14 offset:80
	v_or_b32_e32 v58, v62, v63
	v_or_b32_e32 v59, v64, v65
	v_fma_mixlo_f16 v60, v18, v62, 0 op_sel:[0,1,0] op_sel_hi:[0,1,0]
	v_fma_mixlo_f16 v61, v18, v64, 0 op_sel:[0,1,0] op_sel_hi:[0,1,0]
	v_or_b32_e32 v62, v66, v67
	v_fma_mixlo_f16 v58, v18, v58, 0 op_sel_hi:[0,1,0]
	v_fma_mixlo_f16 v59, v18, v59, 0 op_sel_hi:[0,1,0]
	v_and_b32_e32 v21, 0xffff, v60
	v_or_b32_e32 v63, v68, v69
	v_fma_mixlo_f16 v64, v18, v66, 0 op_sel:[0,1,0] op_sel_hi:[0,1,0]
	v_fma_mixlo_f16 v65, v18, v68, 0 op_sel:[0,1,0] op_sel_hi:[0,1,0]
	v_and_b32_e32 v60, 0xffff, v61
	v_and_b32_e32 v58, 0xffff, v58
	;; [unrolled: 1-line block ×3, first 2 shown]
	v_fmac_f32_e32 v8, v29, v31
	v_fmac_f32_e32 v2, v32, v35
	v_fma_mixlo_f16 v61, v18, v63, 0 op_sel_hi:[0,1,0]
	v_and_b32_e32 v63, 0xffff, v65
	s_wait_dscnt 0x0
	v_and_b32_e32 v19, 0xffff, v56
	v_dual_lshrrev_b32 v20, 16, v56 :: v_dual_lshrrev_b32 v56, 16, v57
	v_and_b32_e32 v57, 0xffff, v57
	;;#ASMSTART
	v_cvt_f32_f16 v66, v19;
	;;#ASMEND
	;;#ASMSTART
	v_cvt_f32_f16 v67, v20;
	;;#ASMEND
	;; [unrolled: 3-line block ×5, first 2 shown]
	v_or_b32_e32 v19, v70, v71
	;;#ASMSTART
	v_cvt_f32_f16 v90, v56;
	;;#ASMEND
	;;#ASMSTART
	v_cvt_f32_f16 v111, v59;
	;;#ASMEND
	;;#ASMSTART
	v_cvt_f32_f16 v112, v60;
	;;#ASMEND
	ds_load_b64 v[20:21], v14 offset:88
	v_or_b32_e32 v59, v10, v74
	v_or_b32_e32 v57, v72, v73
	v_fma_mixlo_f16 v60, v18, v62, 0 op_sel_hi:[0,1,0]
	v_fmac_f32_e32 v8, v37, v88
	v_fmac_f32_e32 v2, v38, v40
	v_and_b32_e32 v62, 0xffff, v64
	v_and_b32_e32 v23, 0xffff, v61
	;; [unrolled: 1-line block ×3, first 2 shown]
	s_delay_alu instid0(VALU_DEP_4) | instskip(SKIP_3) | instid1(VALU_DEP_4)
	v_dual_fmac_f32 v8, v91, v93 :: v_dual_fmac_f32 v2, v42, v44
	v_fmac_f32_e32 v9, v43, v45
	v_fma_mixlo_f16 v58, v18, v72, 0 op_sel:[0,1,0] op_sel_hi:[0,1,0]
	v_fma_mixlo_f16 v19, v18, v19, 0 op_sel_hi:[0,1,0]
	v_dual_fmac_f32 v8, v96, v98 :: v_dual_fmac_f32 v22, v97, v99
	s_delay_alu instid0(VALU_DEP_4) | instskip(SKIP_1) | instid1(VALU_DEP_3)
	v_dual_fmac_f32 v9, v47, v49 :: v_dual_fmac_f32 v2, v46, v48
	v_fma_mixlo_f16 v56, v18, v70, 0 op_sel:[0,1,0] op_sel_hi:[0,1,0]
	v_fmac_f32_e32 v8, v100, v102
	s_wait_dscnt 0x0
	v_and_b32_e32 v24, 0xffff, v20
	v_dual_lshrrev_b32 v20, 16, v20 :: v_dual_lshrrev_b32 v25, 16, v21
	v_and_b32_e32 v21, 0xffff, v21
	;;#ASMSTART
	v_cvt_f32_f16 v29, v24;
	;;#ASMEND
	;;#ASMSTART
	v_cvt_f32_f16 v30, v20;
	;;#ASMEND
	;; [unrolled: 3-line block ×8, first 2 shown]
	ds_load_b64 v[20:21], v14 offset:96
	v_dual_fmac_f32 v22, v101, v103 :: v_dual_fmac_f32 v9, v51, v53
	v_dual_fmac_f32 v2, v50, v52 :: v_dual_fmac_f32 v8, v95, v105
	v_fma_mixlo_f16 v23, v18, v57, 0 op_sel_hi:[0,1,0]
	s_delay_alu instid0(VALU_DEP_3) | instskip(NEXT) | instid1(VALU_DEP_3)
	v_fmac_f32_e32 v22, v104, v106
	v_dual_fmac_f32 v9, v84, v86 :: v_dual_fmac_f32 v2, v83, v85
	v_and_b32_e32 v19, 0xffff, v19
	s_delay_alu instid0(VALU_DEP_4) | instskip(SKIP_1) | instid1(VALU_DEP_4)
	v_and_b32_e32 v23, 0xffff, v23
	v_and_b32_e32 v39, 0xffff, v58
	v_dual_fmac_f32 v8, v82, v81 :: v_dual_fmac_f32 v9, v79, v107
	v_fmac_f32_e32 v2, v78, v80
	v_fma_mixlo_f16 v10, v18, v10, 0 op_sel:[0,1,0] op_sel_hi:[0,1,0]
	v_fma_mixlo_f16 v24, v18, v59, 0 op_sel_hi:[0,1,0]
	s_delay_alu instid0(VALU_DEP_4) | instskip(NEXT) | instid1(VALU_DEP_4)
	v_fmac_f32_e32 v8, v108, v109
	v_dual_fmac_f32 v9, v67, v69 :: v_dual_fmac_f32 v2, v66, v68
	s_wait_dscnt 0x0
	v_and_b32_e32 v36, 0xffff, v20
	v_lshrrev_b32_e32 v20, 16, v20
	;;#ASMSTART
	v_cvt_f32_f16 v36, v36;
	;;#ASMEND
	;;#ASMSTART
	v_cvt_f32_f16 v37, v20;
	;;#ASMEND
	v_and_b32_e32 v20, 0xffff, v21
	v_dual_fmac_f32 v22, v54, v55 :: v_dual_lshrrev_b32 v21, 16, v21
	;;#ASMSTART
	v_cvt_f32_f16 v38, v19;
	;;#ASMEND
	v_and_b32_e32 v19, 0xffff, v56
	;;#ASMSTART
	v_cvt_f32_f16 v40, v19;
	;;#ASMEND
	;;#ASMSTART
	v_cvt_f32_f16 v41, v20;
	;;#ASMEND
	;; [unrolled: 3-line block ×5, first 2 shown]
	ds_load_b64 v[20:21], v14 offset:104
	v_dual_fmac_f32 v22, v77, v110 :: v_dual_bitop2_b32 v19, v75, v76 bitop3:0x54
	v_fmac_f32_e32 v8, v89, v111
	v_dual_fmac_f32 v2, v29, v31 :: v_dual_fmac_f32 v9, v30, v32
	v_and_b32_e32 v24, 0xffff, v24
	s_delay_alu instid0(VALU_DEP_3) | instskip(NEXT) | instid1(VALU_DEP_3)
	v_dual_fmac_f32 v22, v90, v112 :: v_dual_fmac_f32 v8, v33, v34
	v_dual_fmac_f32 v2, v36, v38 :: v_dual_fmac_f32 v9, v37, v40
	v_and_b32_e32 v10, 0xffff, v10
	s_delay_alu instid0(VALU_DEP_3) | instskip(NEXT) | instid1(VALU_DEP_4)
	v_fmac_f32_e32 v22, v25, v35
	v_fmac_f32_e32 v8, v41, v23
	v_fma_mixlo_f16 v19, v18, v19, 0 op_sel_hi:[0,1,0]
	v_fma_mixlo_f16 v18, v18, v75, 0 op_sel:[0,1,0] op_sel_hi:[0,1,0]
	s_delay_alu instid0(VALU_DEP_2)
	v_and_b32_e32 v19, 0xffff, v19
	s_wait_dscnt 0x0
	v_and_b32_e32 v23, 0xffff, v20
	v_lshrrev_b32_e32 v20, 16, v20
	;;#ASMSTART
	v_cvt_f32_f16 v23, v23;
	;;#ASMEND
	;;#ASMSTART
	v_cvt_f32_f16 v20, v20;
	;;#ASMEND
	;; [unrolled: 3-line block ×4, first 2 shown]
	v_and_b32_e32 v25, 0xffff, v21
	v_dual_fmac_f32 v22, v42, v39 :: v_dual_lshrrev_b32 v21, 16, v21
	v_dual_fmac_f32 v9, v20, v10 :: v_dual_fmac_f32 v2, v23, v24
	;;#ASMSTART
	v_cvt_f32_f16 v10, v25;
	;;#ASMEND
	;;#ASMSTART
	v_cvt_f32_f16 v20, v21;
	;;#ASMEND
	;; [unrolled: 3-line block ×3, first 2 shown]
	v_fmac_f32_e32 v8, v10, v19
	v_dual_add_f32 v2, v2, v9 :: v_dual_bitop2_b32 v9, 1, v11 bitop3:0x14
	v_and_b32_e32 v18, 0xffff, v18
	;;#ASMSTART
	v_cvt_f32_f16 v10, v18;
	;;#ASMEND
	v_fmac_f32_e32 v22, v20, v10
	s_delay_alu instid0(VALU_DEP_3) | instskip(NEXT) | instid1(VALU_DEP_1)
	v_cmp_gt_i32_e64 s4, 32, v9
	v_dual_add_f32 v2, v2, v8 :: v_dual_cndmask_b32 v8, v11, v9, s4
	s_delay_alu instid0(VALU_DEP_1)
	v_dual_add_f32 v2, v22, v2 :: v_dual_lshlrev_b32 v8, 2, v8
	ds_bpermute_b32 v8, v8, v2
	s_and_saveexec_b32 s28, vcc_lo
	s_cbranch_execz .LBB267_8
; %bb.458:                              ;   in Loop: Header=BB267_9 Depth=1
	s_wait_dscnt 0x0
	v_dual_add_f32 v2, v2, v8 :: v_dual_add_nc_u32 v9, s27, v15
	v_cmp_gt_i32_e64 s4, s23, v15
	s_delay_alu instid0(VALU_DEP_2) | instskip(NEXT) | instid1(VALU_DEP_1)
	v_cvt_f32_i32_e32 v9, v9
	v_mul_f32_e32 v9, s25, v9
	s_delay_alu instid0(VALU_DEP_1) | instskip(NEXT) | instid1(VALU_DEP_1)
	v_cndmask_b32_e64 v8, 0, v9, s3
	v_dual_fmac_f32 v8, s7, v2 :: v_dual_max_num_f32 v9, v13, v13
	s_delay_alu instid0(VALU_DEP_1) | instskip(NEXT) | instid1(VALU_DEP_1)
	v_dual_max_num_f32 v2, v9, v8 :: v_dual_cndmask_b32 v8, 0, v8, s4
	v_cndmask_b32_e64 v13, v13, v2, s4
	ds_store_b32 v16, v8
	s_branch .LBB267_8
.LBB267_459:
	s_or_b32 exec_lo, exec_lo, s6
.LBB267_460:
	s_delay_alu instid0(SALU_CYCLE_1)
	s_or_b32 exec_lo, exec_lo, s26
	v_dual_max_num_f32 v6, v13, v13 :: v_dual_bitop2_b32 v2, 16, v11 bitop3:0x14
	s_load_b64 s[6:7], s[0:1], 0x0
	s_wait_kmcnt 0x0
	s_load_b64 s[8:9], s[0:1], 0x18
	v_xor_b32_e32 v5, 8, v11
	v_xor_b32_e32 v7, 4, v11
	v_cmp_lt_i32_e32 vcc_lo, v2, v12
	v_dual_cndmask_b32 v2, v11, v2, vcc_lo :: v_dual_bitop2_b32 v29, 31, v0 bitop3:0x40
	s_delay_alu instid0(VALU_DEP_4) | instskip(NEXT) | instid1(VALU_DEP_2)
	v_cmp_lt_i32_e32 vcc_lo, v5, v12
	v_dual_cndmask_b32 v5, v11, v5 :: v_dual_lshlrev_b32 v4, 2, v2
	v_cmp_lt_i32_e32 vcc_lo, v7, v12
	ds_bpermute_b32 v2, v4, v13
	s_wait_dscnt 0x0
	v_dual_max_num_f32 v2, v2, v2 :: v_dual_lshlrev_b32 v5, 2, v5
	s_delay_alu instid0(VALU_DEP_1) | instskip(SKIP_3) | instid1(VALU_DEP_1)
	v_max_num_f32_e32 v2, v6, v2
	ds_bpermute_b32 v6, v5, v2
	s_wait_dscnt 0x0
	v_dual_cndmask_b32 v7, v11, v7 :: v_dual_max_num_f32 v8, v6, v6
	v_dual_lshlrev_b32 v6, 2, v7 :: v_dual_max_num_f32 v2, v2, v8
	v_xor_b32_e32 v8, 2, v11
	ds_bpermute_b32 v7, v6, v2
	v_cmp_lt_i32_e32 vcc_lo, v8, v12
	s_wait_dscnt 0x0
	v_max_num_f32_e32 v7, v7, v7
	v_cndmask_b32_e32 v9, v11, v8, vcc_lo
	v_cmp_eq_u32_e32 vcc_lo, 0, v29
	s_delay_alu instid0(VALU_DEP_2)
	v_dual_max_num_f32 v8, v2, v7 :: v_dual_lshlrev_b32 v2, 2, v9
	v_lshlrev_b32_e32 v7, 2, v28
	ds_bpermute_b32 v9, v2, v8
	s_wait_xcnt 0x0
	s_and_saveexec_b32 s0, vcc_lo
	s_cbranch_execz .LBB267_462
; %bb.461:
	s_wait_dscnt 0x0
	v_dual_max_num_f32 v9, v9, v9 :: v_dual_max_num_f32 v8, v8, v8
	s_delay_alu instid0(VALU_DEP_1)
	v_max_num_f32_e32 v8, v8, v9
	ds_store_b32 v7, v8 offset:224
.LBB267_462:
	s_or_b32 exec_lo, exec_lo, s0
	v_cmp_gt_u32_e64 s0, 4, v29
	s_wait_dscnt 0x0
	v_dual_mov_b32 v9, 0xff7fffff :: v_dual_lshlrev_b32 v8, 2, v29
	s_barrier_signal -1
	s_barrier_wait -1
	s_and_saveexec_b32 s1, s0
; %bb.463:
	ds_load_b32 v9, v8 offset:224
; %bb.464:
	s_or_b32 exec_lo, exec_lo, s1
	s_wait_dscnt 0x0
	ds_bpermute_b32 v10, v2, v9
	v_dual_max_num_f32 v9, v9, v9 :: v_dual_bitop2_b32 v13, 1, v11 bitop3:0x14
	v_lshlrev_b32_e32 v3, 2, v3
	s_delay_alu instid0(VALU_DEP_2) | instskip(NEXT) | instid1(VALU_DEP_1)
	v_cmp_lt_i32_e64 s1, v13, v12
	v_cndmask_b32_e64 v12, v11, v13, s1
	s_lshl_b32 s1, s24, 4
	s_delay_alu instid0(SALU_CYCLE_1) | instskip(NEXT) | instid1(SALU_CYCLE_1)
	s_min_i32 s4, s1, s23
	v_cmp_gt_i32_e64 s1, s4, v0
	s_wait_dscnt 0x0
	v_dual_max_num_f32 v10, v10, v10 :: v_dual_lshlrev_b32 v30, 2, v12
	s_delay_alu instid0(VALU_DEP_1) | instskip(SKIP_3) | instid1(VALU_DEP_1)
	v_max_num_f32_e32 v9, v9, v10
	ds_bpermute_b32 v10, v30, v9
	s_wait_dscnt 0x0
	v_max_num_f32_e32 v10, v10, v10
	v_max_num_f32_e32 v9, v9, v10
	ds_bpermute_b32 v9, v3, v9
	v_mov_b32_e32 v3, 0
	s_and_saveexec_b32 s19, s1
	s_cbranch_execz .LBB267_468
; %bb.465:
	v_lshl_add_u32 v10, v0, 2, 0x100
	v_dual_mov_b32 v3, 0 :: v_dual_mov_b32 v12, v0
	s_mov_b32 s25, 0
.LBB267_466:                            ; =>This Inner Loop Header: Depth=1
	ds_load_b32 v13, v10
	v_add_nc_u32_e32 v12, 0x80, v12
	s_delay_alu instid0(VALU_DEP_1) | instskip(SKIP_3) | instid1(VALU_DEP_1)
	v_cmp_le_i32_e64 s3, s4, v12
	s_or_b32 s25, s3, s25
	s_wait_dscnt 0x0
	v_sub_f32_e32 v13, v13, v9
	v_mul_f32_e32 v13, 0x3fb8aa3b, v13
	s_delay_alu instid0(VALU_DEP_1)
	v_exp_f32_e32 v13, v13
	ds_store_b32 v10, v13
	v_nop
	v_dual_add_f32 v3, v3, v13 :: v_dual_add_nc_u32 v10, 0x200, v10
	s_and_not1_b32 exec_lo, exec_lo, s25
	s_cbranch_execnz .LBB267_466
; %bb.467:
	s_or_b32 exec_lo, exec_lo, s25
.LBB267_468:
	s_delay_alu instid0(SALU_CYCLE_1)
	s_or_b32 exec_lo, exec_lo, s19
	ds_bpermute_b32 v4, v4, v3
	s_wait_dscnt 0x0
	v_add_f32_e32 v3, v3, v4
	ds_bpermute_b32 v4, v5, v3
	s_wait_dscnt 0x0
	v_add_f32_e32 v3, v3, v4
	;; [unrolled: 3-line block ×5, first 2 shown]
	s_and_saveexec_b32 s3, vcc_lo
; %bb.469:
	ds_store_b32 v7, v3 offset:240
; %bb.470:
	s_or_b32 exec_lo, exec_lo, s3
	s_wait_dscnt 0x0
	s_barrier_signal -1
	s_barrier_wait -1
	s_and_saveexec_b32 s3, s0
; %bb.471:
	ds_load_b32 v3, v8 offset:240
; %bb.472:
	s_or_b32 exec_lo, exec_lo, s3
	s_wait_dscnt 0x0
	ds_bpermute_b32 v2, v2, v3
	s_wait_dscnt 0x0
	v_dual_lshlrev_b32 v4, 2, v11 :: v_dual_add_f32 v2, v3, v2
	ds_bpermute_b32 v3, v30, v2
	s_wait_dscnt 0x0
	v_add_f32_e32 v2, v2, v3
	v_and_b32_e32 v3, 0xffffff80, v4
	ds_bpermute_b32 v2, v3, v2
	s_and_saveexec_b32 s0, s1
	s_cbranch_execz .LBB267_485
; %bb.473:
	s_wait_dscnt 0x0
	v_add_f32_e32 v2, 0x358637bd, v2
	s_mov_b32 s3, -1
	s_mov_b32 s1, exec_lo
	s_delay_alu instid0(VALU_DEP_1) | instskip(NEXT) | instid1(VALU_DEP_1)
	v_div_scale_f32 v3, null, v2, v2, 1.0
	v_rcp_f32_e32 v5, v3
	v_nop
	s_delay_alu instid0(TRANS32_DEP_1) | instskip(NEXT) | instid1(VALU_DEP_1)
	v_fma_f32 v4, -v3, v5, 1.0
	v_fmac_f32_e32 v5, v4, v5
	v_div_scale_f32 v6, vcc_lo, 1.0, v2, 1.0
	s_delay_alu instid0(VALU_DEP_1) | instskip(NEXT) | instid1(VALU_DEP_1)
	v_mul_f32_e32 v7, v6, v5
	v_fma_f32 v4, -v3, v7, v6
	s_delay_alu instid0(VALU_DEP_1) | instskip(SKIP_1) | instid1(VALU_DEP_2)
	v_fmac_f32_e32 v7, v4, v5
	v_xad_u32 v4, v0, -1, s4
	v_fma_f32 v3, -v3, v7, v6
	s_delay_alu instid0(VALU_DEP_1) | instskip(NEXT) | instid1(VALU_DEP_1)
	v_div_fmas_f32 v3, v3, v5, v7
	v_div_fixup_f32 v2, v3, v2, 1.0
	v_mov_b32_e32 v3, v0
	v_cmpx_lt_u32_e32 0x7f, v4
	s_cbranch_execz .LBB267_482
; %bb.474:
	s_delay_alu instid0(VALU_DEP_3) | instskip(NEXT) | instid1(VALU_DEP_1)
	v_dual_mov_b32 v3, v2 :: v_dual_lshrrev_b32 v4, 7, v4
	v_dual_mov_b32 v8, 0 :: v_dual_add_nc_u32 v5, -1, v4
	s_delay_alu instid0(VALU_DEP_1) | instskip(SKIP_1) | instid1(VALU_DEP_2)
	v_lshrrev_b32_e32 v6, 1, v5
	v_cmp_lt_u32_e32 vcc_lo, 13, v5
	v_add_nc_u32_e32 v5, 1, v6
	s_and_saveexec_b32 s3, vcc_lo
	s_cbranch_execz .LBB267_478
; %bb.475:
	s_delay_alu instid0(VALU_DEP_1)
	v_and_b32_e32 v6, -8, v5
	v_lshl_add_u32 v7, v0, 2, 0x100
	s_mov_b32 s19, 0
	s_mov_b32 s25, 0
.LBB267_476:                            ; =>This Inner Loop Header: Depth=1
	ds_load_2addr_stride64_b32 v[8:9], v7 offset1:2
	ds_load_2addr_stride64_b32 v[10:11], v7 offset0:4 offset1:6
	ds_load_2addr_stride64_b32 v[12:13], v7 offset0:8 offset1:10
	;; [unrolled: 1-line block ×7, first 2 shown]
	s_add_co_i32 s25, s25, 16
	v_add_nc_u32_e32 v6, -8, v6
	s_wait_dscnt 0x7
	v_pk_mul_f32 v[8:9], v[2:3], v[8:9]
	s_wait_dscnt 0x6
	v_pk_mul_f32 v[10:11], v[2:3], v[10:11]
	;; [unrolled: 2-line block ×8, first 2 shown]
	ds_store_2addr_stride64_b32 v7, v8, v9 offset1:2
	ds_store_2addr_stride64_b32 v7, v10, v11 offset0:4 offset1:6
	ds_store_2addr_stride64_b32 v7, v12, v13 offset0:8 offset1:10
	;; [unrolled: 1-line block ×7, first 2 shown]
	v_mov_b32_e32 v8, s25
	v_cmp_eq_u32_e32 vcc_lo, 0, v6
	v_add_nc_u32_e32 v7, 0x2000, v7
	s_or_b32 s19, vcc_lo, s19
	s_delay_alu instid0(SALU_CYCLE_1)
	s_and_not1_b32 exec_lo, exec_lo, s19
	s_cbranch_execnz .LBB267_476
; %bb.477:
	s_or_b32 exec_lo, exec_lo, s19
.LBB267_478:
	s_delay_alu instid0(SALU_CYCLE_1) | instskip(NEXT) | instid1(VALU_DEP_1)
	s_or_b32 exec_lo, exec_lo, s3
	v_and_b32_e32 v5, 7, v5
	s_mov_b32 s19, 0
	s_mov_b32 s3, exec_lo
	s_delay_alu instid0(VALU_DEP_1)
	v_cmpx_ne_u32_e32 0, v5
	s_cbranch_execz .LBB267_481
; %bb.479:
	v_lshlrev_b32_e32 v6, 9, v8
	v_lshlrev_b32_e32 v7, 2, v0
	s_delay_alu instid0(VALU_DEP_1)
	v_add3_u32 v6, v6, v7, 0x100
.LBB267_480:                            ; =>This Inner Loop Header: Depth=1
	ds_load_2addr_stride64_b32 v[8:9], v6 offset1:2
	v_add_nc_u32_e32 v5, -1, v5
	s_delay_alu instid0(VALU_DEP_1)
	v_cmp_eq_u32_e32 vcc_lo, 0, v5
	s_or_b32 s19, vcc_lo, s19
	s_wait_dscnt 0x0
	v_pk_mul_f32 v[8:9], v[2:3], v[8:9]
	ds_store_2addr_stride64_b32 v6, v8, v9 offset1:2
	v_add_nc_u32_e32 v6, 0x400, v6
	s_and_not1_b32 exec_lo, exec_lo, s19
	s_cbranch_execnz .LBB267_480
.LBB267_481:
	s_or_b32 exec_lo, exec_lo, s3
	v_add_nc_u32_e32 v3, 1, v4
	s_delay_alu instid0(VALU_DEP_1) | instskip(NEXT) | instid1(VALU_DEP_1)
	v_and_b32_e32 v4, 0x3fffffe, v3
	v_cmp_ne_u32_e32 vcc_lo, v3, v4
	v_lshl_add_u32 v3, v4, 7, v0
	s_or_not1_b32 s3, vcc_lo, exec_lo
.LBB267_482:
	s_or_b32 exec_lo, exec_lo, s1
	s_delay_alu instid0(SALU_CYCLE_1)
	s_and_b32 exec_lo, exec_lo, s3
	s_cbranch_execz .LBB267_485
; %bb.483:
	v_lshl_add_u32 v4, v3, 2, 0x100
	s_mov_b32 s1, 0
.LBB267_484:                            ; =>This Inner Loop Header: Depth=1
	ds_load_b32 v5, v4
	v_add_nc_u32_e32 v3, 0x80, v3
	s_delay_alu instid0(VALU_DEP_1)
	v_cmp_le_i32_e32 vcc_lo, s4, v3
	s_or_b32 s1, vcc_lo, s1
	s_wait_dscnt 0x0
	v_mul_f32_e32 v5, v2, v5
	ds_store_b32 v4, v5
	v_add_nc_u32_e32 v4, 0x200, v4
	s_and_not1_b32 exec_lo, exec_lo, s1
	s_cbranch_execnz .LBB267_484
.LBB267_485:
	s_or_b32 exec_lo, exec_lo, s0
	s_wait_dscnt 0x0
	v_dual_mov_b32 v3, 0 :: v_dual_mov_b32 v2, 0
	v_dual_mov_b32 v5, 0 :: v_dual_mov_b32 v4, 0
	;; [unrolled: 1-line block ×3, first 2 shown]
	v_mov_b32_e32 v31, 0
	s_barrier_signal -1
	s_barrier_wait -1
	s_and_saveexec_b32 s1, s2
	s_cbranch_execz .LBB267_951
; %bb.486:
	v_dual_mov_b32 v9, 0 :: v_dual_lshlrev_b32 v2, 3, v0
	s_ashr_i32 s19, s18, 31
	v_lshlrev_b32_e32 v3, 5, v27
	s_wait_kmcnt 0x0
	s_add_nc_u64 s[8:9], s[8:9], s[18:19]
	v_and_b32_e32 v8, 0xf8, v2
	s_lshl_b64 s[2:3], s[14:15], 2
	v_and_b32_e32 v2, 8, v2
	v_lshl_or_b32 v3, v28, 6, v3
	s_add_nc_u64 s[2:3], s[16:17], s[2:3]
	v_add_nc_u64_e32 v[10:11], s[8:9], v[8:9]
	v_and_b32_e32 v8, 0x7c, v1
	v_lshl_or_b32 v32, v28, 4, v2
	v_dual_mov_b32 v2, 0 :: v_dual_add_nc_u32 v33, 0x100, v3
	v_dual_mov_b32 v31, 0 :: v_dual_mov_b32 v3, 0
	s_delay_alu instid0(VALU_DEP_4)
	v_add_nc_u64_e32 v[12:13], s[2:3], v[8:9]
	v_dual_mov_b32 v5, 0 :: v_dual_mov_b32 v4, 0
	v_dual_mov_b32 v7, 0 :: v_dual_mov_b32 v6, 0
	v_mov_b32_e32 v34, v28
	s_mov_b32 s4, s5
	s_mov_b64 s[2:3], 0xffffffffffffff
	s_add_co_i32 s5, s24, -1
	s_mov_b32 s9, s23
	s_mov_b32 s8, 0
	s_branch .LBB267_488
.LBB267_487:                            ;   in Loop: Header=BB267_488 Depth=1
	s_or_b32 exec_lo, exec_lo, s0
	v_dual_add_f32 v1, v42, v43 :: v_dual_add_f32 v8, v56, v57
	v_add_f32_e32 v18, v54, v55
	v_add_nc_u64_e32 v[12:13], 16, v[12:13]
	s_delay_alu instid0(VALU_DEP_3) | instskip(SKIP_1) | instid1(VALU_DEP_3)
	v_dual_add_f32 v3, v3, v1 :: v_dual_add_nc_u32 v32, 64, v32
	;;#ASMSTART
	v_pk_mul_f16 v1, v47, v17;

	;;#ASMEND
	v_dual_add_f32 v2, v2, v8 :: v_dual_add_f32 v5, v5, v18
	;;#ASMSTART
	v_pk_mul_f16 v8, v46, v16;

	;;#ASMEND
	;;#ASMSTART
	v_pk_mul_f16 v15, v45, v15;

	;;#ASMEND
	;;#ASMSTART
	v_pk_mul_f16 v14, v44, v14;

	;;#ASMEND
	;;#ASMSTART
	v_pk_add_f16 v1, v1, v8;

	;;#ASMEND
	;;#ASMSTART
	v_pk_add_f16 v1, v1, v15;

	;;#ASMEND
	;; [unrolled: 4-line block ×3, first 2 shown]
	v_and_b32_e32 v15, 0xffff, v1
	v_dual_add_f32 v14, v48, v49 :: v_dual_add_nc_u32 v34, 4, v34
	v_dual_lshrrev_b32 v16, 16, v1 :: v_dual_add_f32 v8, v50, v51
	;;#ASMSTART
	v_cvt_f32_f16 v15, v15;
	;;#ASMEND
	;;#ASMSTART
	v_cvt_f32_f16 v16, v16;
	;;#ASMEND
	s_delay_alu instid0(VALU_DEP_1) | instskip(SKIP_2) | instid1(VALU_DEP_3)
	v_dual_add_f32 v1, v52, v53 :: v_dual_add_f32 v15, v15, v16
	v_cmp_le_i32_e32 vcc_lo, s24, v34
	v_dual_add_f32 v7, v7, v8 :: v_dual_add_f32 v6, v6, v14
	v_dual_add_f32 v4, v4, v1 :: v_dual_add_f32 v31, v31, v15
	v_add_nc_u32_e32 v33, 0x100, v33
	s_or_b32 s8, vcc_lo, s8
	s_delay_alu instid0(SALU_CYCLE_1)
	s_and_not1_b32 exec_lo, exec_lo, s8
	s_cbranch_execz .LBB267_950
.LBB267_488:                            ; =>This Inner Loop Header: Depth=1
	global_load_b32 v1, v[12:13], off
	ds_load_2addr_b64 v[16:19], v33 offset1:1
	ds_load_2addr_b64 v[20:23], v33 offset0:2 offset1:3
	s_mov_b32 s0, exec_lo
	s_wait_dscnt 0x1
	;;#ASMSTART
	v_cvt_f16_f32 v45, v16;

	;;#ASMEND
	;;#ASMSTART
	v_cvt_f16_f32 v42, v17;

	;;#ASMEND
	;;#ASMSTART
	v_cvt_f16_f32 v46, v18;

	;;#ASMEND
	;;#ASMSTART
	v_cvt_f16_f32 v43, v19;

	;;#ASMEND
	s_wait_dscnt 0x0
	;;#ASMSTART
	v_cvt_f16_f32 v47, v20;

	;;#ASMEND
	;;#ASMSTART
	v_cvt_f16_f32 v44, v21;

	;;#ASMEND
	;; [unrolled: 4-line block ×4, first 2 shown]
	s_wait_loadcnt 0x0
	v_mad_nc_i64_i32 v[14:15], v1, s4, v[10:11]
	v_mov_b32_e32 v1, 0
	global_load_b64 v[18:19], v[14:15], off
	global_load_b32 v16, v9, s[10:11]
	s_wait_loadcnt 0x1
	v_and_b32_e32 v8, 0xff, v18
	s_wait_xcnt 0x0
	s_delay_alu instid0(VALU_DEP_1)
	v_cmpx_ne_u16_e32 0, v8
	s_cbranch_execz .LBB267_496
; %bb.489:                              ;   in Loop: Header=BB267_488 Depth=1
	v_mov_b32_e32 v1, 0x8000
	s_mov_b32 s14, exec_lo
	v_cmpx_ne_u16_e32 0x80, v8
	s_cbranch_execz .LBB267_495
; %bb.490:                              ;   in Loop: Header=BB267_488 Depth=1
	v_and_b32_e32 v17, 0x7f, v18
	v_mov_b32_e32 v1, 0x7c01
	s_mov_b32 s15, exec_lo
	s_delay_alu instid0(VALU_DEP_2)
	v_cmpx_ne_u32_e32 0x7f, v17
	s_cbranch_execz .LBB267_494
; %bb.491:                              ;   in Loop: Header=BB267_488 Depth=1
	v_dual_lshrrev_b32 v8, 3, v17 :: v_dual_bitop2_b32 v1, 7, v18 bitop3:0x40
	s_mov_b32 s16, exec_lo
	v_cmpx_gt_u32_e32 8, v17
; %bb.492:                              ;   in Loop: Header=BB267_488 Depth=1
	s_delay_alu instid0(VALU_DEP_2) | instskip(NEXT) | instid1(VALU_DEP_1)
	v_clz_i32_u32_e32 v1, v1
	v_min_u32_e32 v1, 32, v1
	s_delay_alu instid0(VALU_DEP_1) | instskip(NEXT) | instid1(VALU_DEP_1)
	v_subrev_nc_u32_e32 v8, 28, v1
	v_lshlrev_b64_e32 v[20:21], v8, v[18:19]
	s_delay_alu instid0(VALU_DEP_1)
	v_dual_sub_nc_u32 v8, 29, v1 :: v_dual_bitop2_b32 v1, 7, v20 bitop3:0x40
; %bb.493:                              ;   in Loop: Header=BB267_488 Depth=1
	s_or_b32 exec_lo, exec_lo, s16
	s_delay_alu instid0(VALU_DEP_1) | instskip(NEXT) | instid1(VALU_DEP_2)
	v_dual_lshlrev_b32 v17, 8, v18 :: v_dual_lshlrev_b32 v1, 7, v1
	v_lshl_add_u32 v8, v8, 10, 0x2000
	s_delay_alu instid0(VALU_DEP_2) | instskip(NEXT) | instid1(VALU_DEP_2)
	v_and_b32_e32 v17, 0x8000, v17
	v_and_b32_e32 v8, 0xfc00, v8
	s_delay_alu instid0(VALU_DEP_1)
	v_or3_b32 v1, v17, v8, v1
.LBB267_494:                            ;   in Loop: Header=BB267_488 Depth=1
	s_or_b32 exec_lo, exec_lo, s15
.LBB267_495:                            ;   in Loop: Header=BB267_488 Depth=1
	s_delay_alu instid0(SALU_CYCLE_1)
	s_or_b32 exec_lo, exec_lo, s14
.LBB267_496:                            ;   in Loop: Header=BB267_488 Depth=1
	s_delay_alu instid0(SALU_CYCLE_1) | instskip(SKIP_3) | instid1(VALU_DEP_2)
	s_or_b32 exec_lo, exec_lo, s0
	v_lshrrev_b16 v8, 8, v18
	v_dual_mov_b32 v17, 0 :: v_dual_mov_b32 v20, 0
	s_mov_b32 s0, exec_lo
	v_cmpx_ne_u16_e32 0, v8
	s_cbranch_execz .LBB267_504
; %bb.497:                              ;   in Loop: Header=BB267_488 Depth=1
	v_bfrev_b32_e32 v20, 1
	s_mov_b32 s14, exec_lo
	v_cmpx_ne_u16_e32 0x80, v8
	s_cbranch_execz .LBB267_503
; %bb.498:                              ;   in Loop: Header=BB267_488 Depth=1
	v_and_b32_e32 v21, 0xffff, v8
	v_mov_b32_e32 v20, 0x7c010000
	s_mov_b32 s15, exec_lo
	s_delay_alu instid0(VALU_DEP_2) | instskip(NEXT) | instid1(VALU_DEP_1)
	v_and_b32_e32 v23, 0x7f, v21
	v_cmpx_ne_u32_e32 0x7f, v23
	s_cbranch_execz .LBB267_502
; %bb.499:                              ;   in Loop: Header=BB267_488 Depth=1
	v_dual_lshrrev_b32 v22, 3, v23 :: v_dual_bitop2_b32 v20, 7, v21 bitop3:0x40
	s_mov_b32 s16, exec_lo
	v_cmpx_gt_u32_e32 8, v23
; %bb.500:                              ;   in Loop: Header=BB267_488 Depth=1
	s_delay_alu instid0(VALU_DEP_2) | instskip(NEXT) | instid1(VALU_DEP_1)
	v_clz_i32_u32_e32 v20, v20
	v_min_u32_e32 v20, 32, v20
	s_delay_alu instid0(VALU_DEP_1) | instskip(NEXT) | instid1(VALU_DEP_1)
	v_subrev_nc_u32_e32 v22, 28, v20
	v_lshlrev_b64_e32 v[24:25], v22, v[8:9]
	v_sub_nc_u32_e32 v22, 29, v20
	s_delay_alu instid0(VALU_DEP_2)
	v_and_b32_e32 v20, 7, v24
; %bb.501:                              ;   in Loop: Header=BB267_488 Depth=1
	s_or_b32 exec_lo, exec_lo, s16
	s_delay_alu instid0(VALU_DEP_1) | instskip(NEXT) | instid1(VALU_DEP_3)
	v_dual_lshlrev_b32 v8, 8, v21 :: v_dual_lshlrev_b32 v20, 23, v20
	v_lshl_add_u32 v21, v22, 10, 0x2000
	s_delay_alu instid0(VALU_DEP_1) | instskip(NEXT) | instid1(VALU_DEP_1)
	v_and_or_b32 v8, 0x8000, v8, v21
	v_lshl_or_b32 v20, v8, 16, v20
.LBB267_502:                            ;   in Loop: Header=BB267_488 Depth=1
	s_or_b32 exec_lo, exec_lo, s15
.LBB267_503:                            ;   in Loop: Header=BB267_488 Depth=1
	s_delay_alu instid0(SALU_CYCLE_1)
	s_or_b32 exec_lo, exec_lo, s14
.LBB267_504:                            ;   in Loop: Header=BB267_488 Depth=1
	s_delay_alu instid0(SALU_CYCLE_1) | instskip(SKIP_2) | instid1(VALU_DEP_1)
	s_or_b32 exec_lo, exec_lo, s0
	v_lshrrev_b32_e32 v8, 16, v18
	s_mov_b32 s0, exec_lo
	v_and_b32_e32 v21, 0xff, v8
	s_delay_alu instid0(VALU_DEP_1)
	v_cmpx_ne_u16_e32 0, v21
	s_cbranch_execz .LBB267_512
; %bb.505:                              ;   in Loop: Header=BB267_488 Depth=1
	v_mov_b32_e32 v17, 0x8000
	s_mov_b32 s14, exec_lo
	v_cmpx_ne_u16_e32 0x80, v21
	s_cbranch_execz .LBB267_511
; %bb.506:                              ;   in Loop: Header=BB267_488 Depth=1
	v_bfe_u32 v22, v18, 16, 7
	v_mov_b32_e32 v17, 0x7c01
	s_mov_b32 s15, exec_lo
	s_delay_alu instid0(VALU_DEP_2)
	v_cmpx_ne_u32_e32 0x7f, v22
	s_cbranch_execz .LBB267_510
; %bb.507:                              ;   in Loop: Header=BB267_488 Depth=1
	v_dual_lshrrev_b32 v21, 3, v22 :: v_dual_bitop2_b32 v17, 7, v8 bitop3:0x40
	s_mov_b32 s16, exec_lo
	v_cmpx_gt_u32_e32 8, v22
; %bb.508:                              ;   in Loop: Header=BB267_488 Depth=1
	s_delay_alu instid0(VALU_DEP_2) | instskip(NEXT) | instid1(VALU_DEP_1)
	v_clz_i32_u32_e32 v17, v17
	v_min_u32_e32 v17, 32, v17
	s_delay_alu instid0(VALU_DEP_1) | instskip(NEXT) | instid1(VALU_DEP_1)
	v_subrev_nc_u32_e32 v21, 28, v17
	v_lshlrev_b64_e32 v[22:23], v21, v[8:9]
	s_delay_alu instid0(VALU_DEP_1)
	v_dual_sub_nc_u32 v21, 29, v17 :: v_dual_bitop2_b32 v17, 7, v22 bitop3:0x40
; %bb.509:                              ;   in Loop: Header=BB267_488 Depth=1
	s_or_b32 exec_lo, exec_lo, s16
	s_delay_alu instid0(VALU_DEP_1) | instskip(NEXT) | instid1(VALU_DEP_2)
	v_dual_lshlrev_b32 v8, 8, v8 :: v_dual_lshlrev_b32 v17, 7, v17
	v_lshl_add_u32 v21, v21, 10, 0x2000
	s_delay_alu instid0(VALU_DEP_2) | instskip(NEXT) | instid1(VALU_DEP_2)
	v_and_b32_e32 v8, 0x8000, v8
	v_and_b32_e32 v21, 0xfc00, v21
	s_delay_alu instid0(VALU_DEP_1)
	v_or3_b32 v17, v8, v21, v17
.LBB267_510:                            ;   in Loop: Header=BB267_488 Depth=1
	s_or_b32 exec_lo, exec_lo, s15
.LBB267_511:                            ;   in Loop: Header=BB267_488 Depth=1
	s_delay_alu instid0(SALU_CYCLE_1)
	s_or_b32 exec_lo, exec_lo, s14
.LBB267_512:                            ;   in Loop: Header=BB267_488 Depth=1
	s_delay_alu instid0(SALU_CYCLE_1)
	s_or_b32 exec_lo, exec_lo, s0
	v_dual_mov_b32 v21, 0 :: v_dual_mov_b32 v22, 0
	s_mov_b32 s0, exec_lo
	v_cmpx_lt_u32_e32 0xffffff, v18
	s_cbranch_execz .LBB267_520
; %bb.513:                              ;   in Loop: Header=BB267_488 Depth=1
	v_lshrrev_b32_e32 v8, 24, v18
	v_bfrev_b32_e32 v22, 1
	s_mov_b32 s14, exec_lo
	s_delay_alu instid0(VALU_DEP_2)
	v_cmpx_ne_u32_e32 0x80, v8
	s_cbranch_execz .LBB267_519
; %bb.514:                              ;   in Loop: Header=BB267_488 Depth=1
	v_and_b32_e32 v24, 0x7f, v8
	v_mov_b32_e32 v22, 0x7c010000
	s_mov_b32 s15, exec_lo
	s_delay_alu instid0(VALU_DEP_2)
	v_cmpx_ne_u32_e32 0x7f, v24
	s_cbranch_execz .LBB267_518
; %bb.515:                              ;   in Loop: Header=BB267_488 Depth=1
	v_and_b32_e32 v22, 7, v8
	v_lshrrev_b32_e32 v23, 3, v24
	s_mov_b32 s16, exec_lo
	v_cmpx_gt_u32_e32 8, v24
; %bb.516:                              ;   in Loop: Header=BB267_488 Depth=1
	s_delay_alu instid0(VALU_DEP_3) | instskip(NEXT) | instid1(VALU_DEP_1)
	v_clz_i32_u32_e32 v22, v22
	v_min_u32_e32 v24, 32, v22
	s_delay_alu instid0(VALU_DEP_1) | instskip(NEXT) | instid1(VALU_DEP_1)
	v_subrev_nc_u32_e32 v22, 28, v24
	v_lshlrev_b64_e32 v[22:23], v22, v[8:9]
	s_delay_alu instid0(VALU_DEP_1)
	v_dual_sub_nc_u32 v23, 29, v24 :: v_dual_bitop2_b32 v22, 7, v22 bitop3:0x40
; %bb.517:                              ;   in Loop: Header=BB267_488 Depth=1
	s_or_b32 exec_lo, exec_lo, s16
	s_delay_alu instid0(VALU_DEP_1) | instskip(NEXT) | instid1(VALU_DEP_2)
	v_dual_lshlrev_b32 v8, 8, v8 :: v_dual_lshlrev_b32 v22, 23, v22
	v_lshl_add_u32 v23, v23, 10, 0x2000
	s_delay_alu instid0(VALU_DEP_1) | instskip(NEXT) | instid1(VALU_DEP_1)
	v_and_or_b32 v8, 0x8000, v8, v23
	v_lshl_or_b32 v22, v8, 16, v22
.LBB267_518:                            ;   in Loop: Header=BB267_488 Depth=1
	s_or_b32 exec_lo, exec_lo, s15
.LBB267_519:                            ;   in Loop: Header=BB267_488 Depth=1
	s_delay_alu instid0(SALU_CYCLE_1)
	s_or_b32 exec_lo, exec_lo, s14
.LBB267_520:                            ;   in Loop: Header=BB267_488 Depth=1
	s_delay_alu instid0(SALU_CYCLE_1) | instskip(SKIP_3) | instid1(VALU_DEP_2)
	s_or_b32 exec_lo, exec_lo, s0
	v_and_b32_e32 v23, 0xff, v19
	v_mov_b32_e32 v8, v19
	s_mov_b32 s0, exec_lo
	v_cmpx_ne_u16_e32 0, v23
	s_cbranch_execz .LBB267_528
; %bb.521:                              ;   in Loop: Header=BB267_488 Depth=1
	v_mov_b32_e32 v21, 0x8000
	s_mov_b32 s14, exec_lo
	v_cmpx_ne_u16_e32 0x80, v23
	s_cbranch_execz .LBB267_527
; %bb.522:                              ;   in Loop: Header=BB267_488 Depth=1
	v_and_b32_e32 v24, 0x7f, v19
	v_mov_b32_e32 v21, 0x7c01
	s_mov_b32 s15, exec_lo
	s_delay_alu instid0(VALU_DEP_2)
	v_cmpx_ne_u32_e32 0x7f, v24
	s_cbranch_execz .LBB267_526
; %bb.523:                              ;   in Loop: Header=BB267_488 Depth=1
	v_dual_lshrrev_b32 v23, 3, v24 :: v_dual_bitop2_b32 v21, 7, v19 bitop3:0x40
	s_mov_b32 s16, exec_lo
	v_cmpx_gt_u32_e32 8, v24
; %bb.524:                              ;   in Loop: Header=BB267_488 Depth=1
	s_delay_alu instid0(VALU_DEP_2) | instskip(NEXT) | instid1(VALU_DEP_1)
	v_clz_i32_u32_e32 v21, v21
	v_min_u32_e32 v21, 32, v21
	s_delay_alu instid0(VALU_DEP_1) | instskip(NEXT) | instid1(VALU_DEP_1)
	v_subrev_nc_u32_e32 v23, 28, v21
	v_lshlrev_b64_e32 v[24:25], v23, v[8:9]
	s_delay_alu instid0(VALU_DEP_1)
	v_dual_sub_nc_u32 v23, 29, v21 :: v_dual_bitop2_b32 v21, 7, v24 bitop3:0x40
; %bb.525:                              ;   in Loop: Header=BB267_488 Depth=1
	s_or_b32 exec_lo, exec_lo, s16
	s_delay_alu instid0(VALU_DEP_1) | instskip(NEXT) | instid1(VALU_DEP_2)
	v_dual_lshlrev_b32 v24, 8, v19 :: v_dual_lshlrev_b32 v21, 7, v21
	v_lshl_add_u32 v23, v23, 10, 0x2000
	s_delay_alu instid0(VALU_DEP_2) | instskip(NEXT) | instid1(VALU_DEP_2)
	v_and_b32_e32 v24, 0x8000, v24
	v_and_b32_e32 v23, 0xfc00, v23
	s_delay_alu instid0(VALU_DEP_1)
	v_or3_b32 v21, v24, v23, v21
.LBB267_526:                            ;   in Loop: Header=BB267_488 Depth=1
	s_or_b32 exec_lo, exec_lo, s15
.LBB267_527:                            ;   in Loop: Header=BB267_488 Depth=1
	s_delay_alu instid0(SALU_CYCLE_1)
	s_or_b32 exec_lo, exec_lo, s14
.LBB267_528:                            ;   in Loop: Header=BB267_488 Depth=1
	s_delay_alu instid0(SALU_CYCLE_1) | instskip(SKIP_3) | instid1(VALU_DEP_2)
	s_or_b32 exec_lo, exec_lo, s0
	v_lshrrev_b16 v8, 8, v8
	v_dual_mov_b32 v24, 0 :: v_dual_mov_b32 v23, 0
	s_mov_b32 s0, exec_lo
	v_cmpx_ne_u16_e32 0, v8
	s_cbranch_execz .LBB267_536
; %bb.529:                              ;   in Loop: Header=BB267_488 Depth=1
	v_bfrev_b32_e32 v23, 1
	s_mov_b32 s14, exec_lo
	v_cmpx_ne_u16_e32 0x80, v8
	s_cbranch_execz .LBB267_535
; %bb.530:                              ;   in Loop: Header=BB267_488 Depth=1
	v_and_b32_e32 v25, 0xffff, v8
	v_mov_b32_e32 v23, 0x7c010000
	s_mov_b32 s15, exec_lo
	s_delay_alu instid0(VALU_DEP_2) | instskip(NEXT) | instid1(VALU_DEP_1)
	v_and_b32_e32 v36, 0x7f, v25
	v_cmpx_ne_u32_e32 0x7f, v36
	s_cbranch_execz .LBB267_534
; %bb.531:                              ;   in Loop: Header=BB267_488 Depth=1
	v_dual_lshrrev_b32 v35, 3, v36 :: v_dual_bitop2_b32 v23, 7, v25 bitop3:0x40
	s_mov_b32 s16, exec_lo
	v_cmpx_gt_u32_e32 8, v36
; %bb.532:                              ;   in Loop: Header=BB267_488 Depth=1
	s_delay_alu instid0(VALU_DEP_2) | instskip(NEXT) | instid1(VALU_DEP_1)
	v_clz_i32_u32_e32 v23, v23
	v_min_u32_e32 v23, 32, v23
	s_delay_alu instid0(VALU_DEP_1) | instskip(NEXT) | instid1(VALU_DEP_1)
	v_subrev_nc_u32_e32 v35, 28, v23
	v_lshlrev_b64_e32 v[36:37], v35, v[8:9]
	s_delay_alu instid0(VALU_DEP_1)
	v_dual_sub_nc_u32 v35, 29, v23 :: v_dual_bitop2_b32 v23, 7, v36 bitop3:0x40
; %bb.533:                              ;   in Loop: Header=BB267_488 Depth=1
	s_or_b32 exec_lo, exec_lo, s16
	s_delay_alu instid0(VALU_DEP_1) | instskip(NEXT) | instid1(VALU_DEP_2)
	v_dual_lshlrev_b32 v8, 8, v25 :: v_dual_lshlrev_b32 v23, 23, v23
	v_lshl_add_u32 v25, v35, 10, 0x2000
	s_delay_alu instid0(VALU_DEP_1) | instskip(NEXT) | instid1(VALU_DEP_1)
	v_and_or_b32 v8, 0x8000, v8, v25
	v_lshl_or_b32 v23, v8, 16, v23
.LBB267_534:                            ;   in Loop: Header=BB267_488 Depth=1
	s_or_b32 exec_lo, exec_lo, s15
.LBB267_535:                            ;   in Loop: Header=BB267_488 Depth=1
	s_delay_alu instid0(SALU_CYCLE_1)
	s_or_b32 exec_lo, exec_lo, s14
.LBB267_536:                            ;   in Loop: Header=BB267_488 Depth=1
	s_delay_alu instid0(SALU_CYCLE_1) | instskip(SKIP_2) | instid1(VALU_DEP_1)
	s_or_b32 exec_lo, exec_lo, s0
	v_lshrrev_b32_e32 v8, 16, v19
	s_mov_b32 s0, exec_lo
	v_and_b32_e32 v25, 0xff, v8
	s_delay_alu instid0(VALU_DEP_1)
	v_cmpx_ne_u16_e32 0, v25
	s_cbranch_execz .LBB267_544
; %bb.537:                              ;   in Loop: Header=BB267_488 Depth=1
	v_mov_b32_e32 v24, 0x8000
	s_mov_b32 s14, exec_lo
	v_cmpx_ne_u16_e32 0x80, v25
	s_cbranch_execz .LBB267_543
; %bb.538:                              ;   in Loop: Header=BB267_488 Depth=1
	v_bfe_u32 v35, v19, 16, 7
	v_mov_b32_e32 v24, 0x7c01
	s_mov_b32 s15, exec_lo
	s_delay_alu instid0(VALU_DEP_2)
	v_cmpx_ne_u32_e32 0x7f, v35
	s_cbranch_execz .LBB267_542
; %bb.539:                              ;   in Loop: Header=BB267_488 Depth=1
	v_dual_lshrrev_b32 v25, 3, v35 :: v_dual_bitop2_b32 v24, 7, v8 bitop3:0x40
	s_mov_b32 s16, exec_lo
	v_cmpx_gt_u32_e32 8, v35
; %bb.540:                              ;   in Loop: Header=BB267_488 Depth=1
	s_delay_alu instid0(VALU_DEP_2) | instskip(NEXT) | instid1(VALU_DEP_1)
	v_clz_i32_u32_e32 v24, v24
	v_min_u32_e32 v35, 32, v24
	s_delay_alu instid0(VALU_DEP_1) | instskip(NEXT) | instid1(VALU_DEP_1)
	v_subrev_nc_u32_e32 v24, 28, v35
	v_lshlrev_b64_e32 v[24:25], v24, v[8:9]
	s_delay_alu instid0(VALU_DEP_1)
	v_dual_sub_nc_u32 v25, 29, v35 :: v_dual_bitop2_b32 v24, 7, v24 bitop3:0x40
; %bb.541:                              ;   in Loop: Header=BB267_488 Depth=1
	s_or_b32 exec_lo, exec_lo, s16
	v_lshlrev_b32_e32 v8, 8, v8
	s_delay_alu instid0(VALU_DEP_2) | instskip(NEXT) | instid1(VALU_DEP_3)
	v_lshl_add_u32 v25, v25, 10, 0x2000
	v_lshlrev_b32_e32 v24, 7, v24
	s_delay_alu instid0(VALU_DEP_3) | instskip(NEXT) | instid1(VALU_DEP_3)
	v_and_b32_e32 v8, 0x8000, v8
	v_and_b32_e32 v25, 0xfc00, v25
	s_delay_alu instid0(VALU_DEP_1)
	v_or3_b32 v24, v8, v25, v24
.LBB267_542:                            ;   in Loop: Header=BB267_488 Depth=1
	s_or_b32 exec_lo, exec_lo, s15
.LBB267_543:                            ;   in Loop: Header=BB267_488 Depth=1
	s_delay_alu instid0(SALU_CYCLE_1)
	s_or_b32 exec_lo, exec_lo, s14
.LBB267_544:                            ;   in Loop: Header=BB267_488 Depth=1
	s_delay_alu instid0(SALU_CYCLE_1)
	s_or_b32 exec_lo, exec_lo, s0
	v_cmp_lt_u64_e32 vcc_lo, s[2:3], v[18:19]
	v_mov_b32_e32 v18, 0
	s_and_saveexec_b32 s0, vcc_lo
	s_cbranch_execz .LBB267_552
; %bb.545:                              ;   in Loop: Header=BB267_488 Depth=1
	v_lshrrev_b32_e32 v8, 24, v19
	v_bfrev_b32_e32 v18, 1
	s_mov_b32 s14, exec_lo
	s_delay_alu instid0(VALU_DEP_2)
	v_cmpx_ne_u32_e32 0x80, v8
	s_cbranch_execz .LBB267_551
; %bb.546:                              ;   in Loop: Header=BB267_488 Depth=1
	v_and_b32_e32 v25, 0x7f, v8
	v_mov_b32_e32 v18, 0x7c010000
	s_mov_b32 s15, exec_lo
	s_delay_alu instid0(VALU_DEP_2)
	v_cmpx_ne_u32_e32 0x7f, v25
	s_cbranch_execz .LBB267_550
; %bb.547:                              ;   in Loop: Header=BB267_488 Depth=1
	v_dual_lshrrev_b32 v19, 3, v25 :: v_dual_bitop2_b32 v18, 7, v8 bitop3:0x40
	s_mov_b32 s16, exec_lo
	v_cmpx_gt_u32_e32 8, v25
; %bb.548:                              ;   in Loop: Header=BB267_488 Depth=1
	s_delay_alu instid0(VALU_DEP_2) | instskip(NEXT) | instid1(VALU_DEP_1)
	v_clz_i32_u32_e32 v18, v18
	v_min_u32_e32 v25, 32, v18
	s_delay_alu instid0(VALU_DEP_1) | instskip(NEXT) | instid1(VALU_DEP_1)
	v_subrev_nc_u32_e32 v18, 28, v25
	v_lshlrev_b64_e32 v[18:19], v18, v[8:9]
	s_delay_alu instid0(VALU_DEP_1)
	v_dual_sub_nc_u32 v19, 29, v25 :: v_dual_bitop2_b32 v18, 7, v18 bitop3:0x40
; %bb.549:                              ;   in Loop: Header=BB267_488 Depth=1
	s_or_b32 exec_lo, exec_lo, s16
	s_delay_alu instid0(VALU_DEP_1) | instskip(NEXT) | instid1(VALU_DEP_2)
	v_dual_lshlrev_b32 v8, 8, v8 :: v_dual_lshlrev_b32 v18, 23, v18
	v_lshl_add_u32 v19, v19, 10, 0x2000
	s_delay_alu instid0(VALU_DEP_1) | instskip(NEXT) | instid1(VALU_DEP_1)
	v_and_or_b32 v8, 0x8000, v8, v19
	v_lshl_or_b32 v18, v8, 16, v18
.LBB267_550:                            ;   in Loop: Header=BB267_488 Depth=1
	s_or_b32 exec_lo, exec_lo, s15
.LBB267_551:                            ;   in Loop: Header=BB267_488 Depth=1
	s_delay_alu instid0(SALU_CYCLE_1)
	s_or_b32 exec_lo, exec_lo, s14
.LBB267_552:                            ;   in Loop: Header=BB267_488 Depth=1
	s_delay_alu instid0(SALU_CYCLE_1) | instskip(SKIP_3) | instid1(VALU_DEP_3)
	s_or_b32 exec_lo, exec_lo, s0
	v_dual_lshrrev_b32 v8, 16, v20 :: v_dual_lshrrev_b32 v19, 16, v22
	v_dual_lshrrev_b32 v20, 16, v23 :: v_dual_bitop2_b32 v1, v20, v1 bitop3:0x54
	v_dual_lshrrev_b32 v22, 16, v18 :: v_dual_bitop2_b32 v17, v22, v17 bitop3:0x54
	v_cvt_f32_f16_e32 v37, v8
	s_delay_alu instid0(VALU_DEP_4) | instskip(SKIP_1) | instid1(VALU_DEP_4)
	v_cvt_f32_f16_e32 v36, v19
	v_or_b32_e32 v8, v18, v24
	v_cvt_f32_f16_e32 v18, v17
	v_cvt_f32_f16_e32 v19, v1
	v_cmp_eq_u32_e32 vcc_lo, s5, v34
	s_wait_loadcnt 0x0
	v_pk_mul_f32 v[24:25], v[16:17], v[36:37] op_sel_hi:[0,1]
	v_or_b32_e32 v17, v23, v21
	v_cvt_f32_f16_e32 v21, v20
	v_cvt_f32_f16_e32 v20, v22
	;; [unrolled: 1-line block ×3, first 2 shown]
	v_cvt_pk_f16_f32 v1, v24, v25
	v_pk_mul_f32 v[18:19], v[16:17], v[18:19] op_sel_hi:[0,1]
	v_or_b32_e32 v40, 1, v32
	v_or_b32_e32 v39, 3, v32
	;; [unrolled: 1-line block ×4, first 2 shown]
	v_cvt_pk_f16_f32 v8, v18, v19
	v_or_b32_e32 v36, 5, v32
	v_dual_add_nc_u32 v41, 2, v32 :: v_dual_bitop2_b32 v35, 7, v32 bitop3:0x54
	s_delay_alu instid0(VALU_DEP_3) | instskip(SKIP_3) | instid1(VALU_DEP_3)
	v_lshrrev_b32_e32 v25, 16, v8
	v_cvt_f32_f16_e32 v23, v17
	v_pk_mul_f32 v[20:21], v[16:17], v[20:21] op_sel_hi:[0,1]
	v_and_b32_e32 v24, 0xffff, v8
	v_pk_mul_f32 v[16:17], v[16:17], v[22:23] op_sel_hi:[0,1]
	s_delay_alu instid0(VALU_DEP_3) | instskip(SKIP_2) | instid1(VALU_DEP_4)
	v_cvt_pk_f16_f32 v18, v20, v21
	v_and_b32_e32 v23, 0xffff0000, v1
	v_lshlrev_b32_e32 v22, 16, v1
	v_cvt_pk_f16_f32 v16, v16, v17
	s_delay_alu instid0(VALU_DEP_4) | instskip(NEXT) | instid1(VALU_DEP_4)
	v_and_b32_e32 v1, 0xffff0000, v18
	v_dual_lshlrev_b32 v8, 16, v18 :: v_dual_bitop2_b32 v19, v23, v25 bitop3:0x54
	s_delay_alu instid0(VALU_DEP_4) | instskip(NEXT) | instid1(VALU_DEP_4)
	v_or_b32_e32 v18, v22, v24
	v_lshrrev_b32_e32 v21, 16, v16
	v_and_b32_e32 v20, 0xffff, v16
	s_delay_alu instid0(VALU_DEP_2) | instskip(NEXT) | instid1(VALU_DEP_2)
	v_or_b32_e32 v17, v1, v21
	v_or_b32_e32 v16, v8, v20
	s_and_saveexec_b32 s14, vcc_lo
	s_cbranch_execz .LBB267_554
; %bb.553:                              ;   in Loop: Header=BB267_488 Depth=1
	v_cmp_gt_i32_e64 s0, s9, v32
	s_delay_alu instid0(VALU_DEP_1) | instskip(SKIP_1) | instid1(VALU_DEP_1)
	v_cndmask_b32_e64 v16, 0, v25, s0
	v_cmp_gt_i32_e64 s0, s23, v41
	v_cndmask_b32_e64 v17, 0, v24, s0
	v_cmp_gt_i32_e64 s0, s9, v40
	s_delay_alu instid0(VALU_DEP_1) | instskip(SKIP_1) | instid1(VALU_DEP_1)
	v_cndmask_b32_e64 v18, 0, v23, s0
	v_cmp_gt_i32_e64 s0, s23, v39
	v_cndmask_b32_e64 v22, 0, v22, s0
	v_cmp_gt_i32_e64 s0, s9, v38
	s_delay_alu instid0(VALU_DEP_4) | instskip(NEXT) | instid1(VALU_DEP_3)
	v_or_b32_e32 v19, v18, v16
	v_or_b32_e32 v18, v22, v17
	s_delay_alu instid0(VALU_DEP_3) | instskip(SKIP_1) | instid1(VALU_DEP_1)
	v_cndmask_b32_e64 v21, 0, v21, s0
	v_cmp_gt_i32_e64 s0, s23, v37
	v_cndmask_b32_e64 v20, 0, v20, s0
	v_cmp_gt_i32_e64 s0, s9, v36
	s_delay_alu instid0(VALU_DEP_1) | instskip(SKIP_1) | instid1(VALU_DEP_1)
	v_cndmask_b32_e64 v1, 0, v1, s0
	v_cmp_gt_i32_e64 s0, s23, v35
	v_dual_cndmask_b32 v8, 0, v8, s0 :: v_dual_bitop2_b32 v17, v1, v21 bitop3:0x54
	s_delay_alu instid0(VALU_DEP_1)
	v_or_b32_e32 v16, v8, v20
.LBB267_554:                            ;   in Loop: Header=BB267_488 Depth=1
	s_or_b32 exec_lo, exec_lo, s14
	v_and_b32_e32 v1, 0xffff, v45
	v_and_b32_e32 v8, 0xffff, v46
	;; [unrolled: 1-line block ×4, first 2 shown]
	s_mov_b32 s14, exec_lo
	v_lshl_or_b32 v47, v42, 16, v1
	;;#ASMSTART
	v_pk_mul_f16 v1, v47, v19;

	;;#ASMEND
	v_lshl_or_b32 v46, v43, 16, v8
	v_lshl_or_b32 v45, v44, 16, v20
	;; [unrolled: 1-line block ×3, first 2 shown]
	;;#ASMSTART
	v_pk_mul_f16 v8, v46, v18;

	;;#ASMEND
	;;#ASMSTART
	v_pk_mul_f16 v17, v45, v17;

	;;#ASMEND
	;; [unrolled: 4-line block ×3, first 2 shown]
	;;#ASMSTART
	v_pk_add_f16 v1, v1, v8;

	;;#ASMEND
	;;#ASMSTART
	v_pk_add_f16 v1, v1, v17;

	;;#ASMEND
	;; [unrolled: 4-line block ×3, first 2 shown]
	v_and_b32_e32 v8, 0xffff, v1
	v_dual_lshrrev_b32 v1, 16, v1 :: v_dual_mov_b32 v17, 0
	;;#ASMSTART
	v_cvt_f32_f16 v48, v8;
	;;#ASMEND
	;;#ASMSTART
	v_cvt_f32_f16 v49, v1;
	;;#ASMEND
	global_load_b64 v[18:19], v[14:15], off offset:256
	v_mov_b32_e32 v1, 0
	global_load_b32 v16, v1, s[10:11]
	s_wait_loadcnt 0x1
	v_and_b32_e32 v8, 0xff, v18
	s_wait_xcnt 0x0
	s_delay_alu instid0(VALU_DEP_1)
	v_cmpx_ne_u16_e32 0, v8
	s_cbranch_execz .LBB267_562
; %bb.555:                              ;   in Loop: Header=BB267_488 Depth=1
	v_mov_b32_e32 v17, 0x8000
	s_mov_b32 s15, exec_lo
	v_cmpx_ne_u16_e32 0x80, v8
	s_cbranch_execz .LBB267_561
; %bb.556:                              ;   in Loop: Header=BB267_488 Depth=1
	v_and_b32_e32 v20, 0x7f, v18
	v_mov_b32_e32 v17, 0x7c01
	s_mov_b32 s16, exec_lo
	s_delay_alu instid0(VALU_DEP_2)
	v_cmpx_ne_u32_e32 0x7f, v20
	s_cbranch_execz .LBB267_560
; %bb.557:                              ;   in Loop: Header=BB267_488 Depth=1
	v_dual_lshrrev_b32 v17, 3, v20 :: v_dual_bitop2_b32 v8, 7, v18 bitop3:0x40
	s_mov_b32 s17, exec_lo
	v_cmpx_gt_u32_e32 8, v20
; %bb.558:                              ;   in Loop: Header=BB267_488 Depth=1
	s_delay_alu instid0(VALU_DEP_2) | instskip(NEXT) | instid1(VALU_DEP_1)
	v_clz_i32_u32_e32 v8, v8
	v_min_u32_e32 v8, 32, v8
	s_delay_alu instid0(VALU_DEP_1) | instskip(NEXT) | instid1(VALU_DEP_1)
	v_subrev_nc_u32_e32 v17, 28, v8
	v_lshlrev_b64_e32 v[20:21], v17, v[18:19]
	v_sub_nc_u32_e32 v17, 29, v8
	s_delay_alu instid0(VALU_DEP_2)
	v_and_b32_e32 v8, 7, v20
; %bb.559:                              ;   in Loop: Header=BB267_488 Depth=1
	s_or_b32 exec_lo, exec_lo, s17
	s_delay_alu instid0(VALU_DEP_1) | instskip(NEXT) | instid1(VALU_DEP_3)
	v_dual_lshlrev_b32 v20, 8, v18 :: v_dual_lshlrev_b32 v8, 7, v8
	v_lshl_add_u32 v17, v17, 10, 0x2000
	s_delay_alu instid0(VALU_DEP_2) | instskip(NEXT) | instid1(VALU_DEP_2)
	v_and_b32_e32 v20, 0x8000, v20
	v_and_b32_e32 v17, 0xfc00, v17
	s_delay_alu instid0(VALU_DEP_1)
	v_or3_b32 v17, v20, v17, v8
.LBB267_560:                            ;   in Loop: Header=BB267_488 Depth=1
	s_or_b32 exec_lo, exec_lo, s16
.LBB267_561:                            ;   in Loop: Header=BB267_488 Depth=1
	s_delay_alu instid0(SALU_CYCLE_1)
	s_or_b32 exec_lo, exec_lo, s15
.LBB267_562:                            ;   in Loop: Header=BB267_488 Depth=1
	s_delay_alu instid0(SALU_CYCLE_1) | instskip(SKIP_2) | instid1(VALU_DEP_1)
	s_or_b32 exec_lo, exec_lo, s14
	v_lshrrev_b16 v8, 8, v18
	s_mov_b32 s14, exec_lo
	v_cmpx_ne_u16_e32 0, v8
	s_cbranch_execz .LBB267_570
; %bb.563:                              ;   in Loop: Header=BB267_488 Depth=1
	v_bfrev_b32_e32 v1, 1
	s_mov_b32 s15, exec_lo
	v_cmpx_ne_u16_e32 0x80, v8
	s_cbranch_execz .LBB267_569
; %bb.564:                              ;   in Loop: Header=BB267_488 Depth=1
	v_and_b32_e32 v20, 0xffff, v8
	v_mov_b32_e32 v1, 0x7c010000
	s_mov_b32 s16, exec_lo
	s_delay_alu instid0(VALU_DEP_2) | instskip(NEXT) | instid1(VALU_DEP_1)
	v_and_b32_e32 v22, 0x7f, v20
	v_cmpx_ne_u32_e32 0x7f, v22
	s_cbranch_execz .LBB267_568
; %bb.565:                              ;   in Loop: Header=BB267_488 Depth=1
	v_dual_lshrrev_b32 v21, 3, v22 :: v_dual_bitop2_b32 v1, 7, v20 bitop3:0x40
	s_mov_b32 s17, exec_lo
	v_cmpx_gt_u32_e32 8, v22
; %bb.566:                              ;   in Loop: Header=BB267_488 Depth=1
	s_delay_alu instid0(VALU_DEP_2) | instskip(NEXT) | instid1(VALU_DEP_1)
	v_clz_i32_u32_e32 v1, v1
	v_min_u32_e32 v1, 32, v1
	s_delay_alu instid0(VALU_DEP_1) | instskip(NEXT) | instid1(VALU_DEP_1)
	v_subrev_nc_u32_e32 v21, 28, v1
	v_lshlrev_b64_e32 v[22:23], v21, v[8:9]
	s_delay_alu instid0(VALU_DEP_1)
	v_dual_sub_nc_u32 v21, 29, v1 :: v_dual_bitop2_b32 v1, 7, v22 bitop3:0x40
; %bb.567:                              ;   in Loop: Header=BB267_488 Depth=1
	s_or_b32 exec_lo, exec_lo, s17
	s_delay_alu instid0(VALU_DEP_1) | instskip(NEXT) | instid1(VALU_DEP_2)
	v_dual_lshlrev_b32 v8, 8, v20 :: v_dual_lshlrev_b32 v1, 23, v1
	v_lshl_add_u32 v20, v21, 10, 0x2000
	s_delay_alu instid0(VALU_DEP_1) | instskip(NEXT) | instid1(VALU_DEP_1)
	v_and_or_b32 v8, 0x8000, v8, v20
	v_lshl_or_b32 v1, v8, 16, v1
.LBB267_568:                            ;   in Loop: Header=BB267_488 Depth=1
	s_or_b32 exec_lo, exec_lo, s16
.LBB267_569:                            ;   in Loop: Header=BB267_488 Depth=1
	s_delay_alu instid0(SALU_CYCLE_1)
	s_or_b32 exec_lo, exec_lo, s15
.LBB267_570:                            ;   in Loop: Header=BB267_488 Depth=1
	s_delay_alu instid0(SALU_CYCLE_1) | instskip(SKIP_3) | instid1(VALU_DEP_2)
	s_or_b32 exec_lo, exec_lo, s14
	v_dual_lshrrev_b32 v8, 16, v18 :: v_dual_mov_b32 v20, 0
	v_mov_b32_e32 v21, 0
	s_mov_b32 s14, exec_lo
	v_and_b32_e32 v22, 0xff, v8
	s_delay_alu instid0(VALU_DEP_1)
	v_cmpx_ne_u16_e32 0, v22
	s_cbranch_execz .LBB267_578
; %bb.571:                              ;   in Loop: Header=BB267_488 Depth=1
	v_mov_b32_e32 v21, 0x8000
	s_mov_b32 s15, exec_lo
	v_cmpx_ne_u16_e32 0x80, v22
	s_cbranch_execz .LBB267_577
; %bb.572:                              ;   in Loop: Header=BB267_488 Depth=1
	v_bfe_u32 v23, v18, 16, 7
	v_mov_b32_e32 v21, 0x7c01
	s_mov_b32 s16, exec_lo
	s_delay_alu instid0(VALU_DEP_2)
	v_cmpx_ne_u32_e32 0x7f, v23
	s_cbranch_execz .LBB267_576
; %bb.573:                              ;   in Loop: Header=BB267_488 Depth=1
	v_dual_lshrrev_b32 v22, 3, v23 :: v_dual_bitop2_b32 v21, 7, v8 bitop3:0x40
	s_mov_b32 s17, exec_lo
	v_cmpx_gt_u32_e32 8, v23
; %bb.574:                              ;   in Loop: Header=BB267_488 Depth=1
	s_delay_alu instid0(VALU_DEP_2) | instskip(NEXT) | instid1(VALU_DEP_1)
	v_clz_i32_u32_e32 v21, v21
	v_min_u32_e32 v21, 32, v21
	s_delay_alu instid0(VALU_DEP_1) | instskip(NEXT) | instid1(VALU_DEP_1)
	v_subrev_nc_u32_e32 v22, 28, v21
	v_lshlrev_b64_e32 v[24:25], v22, v[8:9]
	s_delay_alu instid0(VALU_DEP_1)
	v_dual_sub_nc_u32 v22, 29, v21 :: v_dual_bitop2_b32 v21, 7, v24 bitop3:0x40
; %bb.575:                              ;   in Loop: Header=BB267_488 Depth=1
	s_or_b32 exec_lo, exec_lo, s17
	s_delay_alu instid0(VALU_DEP_1) | instskip(NEXT) | instid1(VALU_DEP_2)
	v_dual_lshlrev_b32 v8, 8, v8 :: v_dual_lshlrev_b32 v21, 7, v21
	v_lshl_add_u32 v22, v22, 10, 0x2000
	s_delay_alu instid0(VALU_DEP_2) | instskip(NEXT) | instid1(VALU_DEP_2)
	v_and_b32_e32 v8, 0x8000, v8
	v_and_b32_e32 v22, 0xfc00, v22
	s_delay_alu instid0(VALU_DEP_1)
	v_or3_b32 v21, v8, v22, v21
.LBB267_576:                            ;   in Loop: Header=BB267_488 Depth=1
	s_or_b32 exec_lo, exec_lo, s16
.LBB267_577:                            ;   in Loop: Header=BB267_488 Depth=1
	s_delay_alu instid0(SALU_CYCLE_1)
	s_or_b32 exec_lo, exec_lo, s15
.LBB267_578:                            ;   in Loop: Header=BB267_488 Depth=1
	s_delay_alu instid0(SALU_CYCLE_1) | instskip(NEXT) | instid1(SALU_CYCLE_1)
	s_or_b32 exec_lo, exec_lo, s14
	s_mov_b32 s14, exec_lo
	v_cmpx_lt_u32_e32 0xffffff, v18
	s_cbranch_execz .LBB267_586
; %bb.579:                              ;   in Loop: Header=BB267_488 Depth=1
	v_lshrrev_b32_e32 v8, 24, v18
	v_bfrev_b32_e32 v20, 1
	s_mov_b32 s15, exec_lo
	s_delay_alu instid0(VALU_DEP_2)
	v_cmpx_ne_u32_e32 0x80, v8
	s_cbranch_execz .LBB267_585
; %bb.580:                              ;   in Loop: Header=BB267_488 Depth=1
	v_and_b32_e32 v23, 0x7f, v8
	v_mov_b32_e32 v20, 0x7c010000
	s_mov_b32 s16, exec_lo
	s_delay_alu instid0(VALU_DEP_2)
	v_cmpx_ne_u32_e32 0x7f, v23
	s_cbranch_execz .LBB267_584
; %bb.581:                              ;   in Loop: Header=BB267_488 Depth=1
	v_dual_lshrrev_b32 v22, 3, v23 :: v_dual_bitop2_b32 v20, 7, v8 bitop3:0x40
	s_mov_b32 s17, exec_lo
	v_cmpx_gt_u32_e32 8, v23
; %bb.582:                              ;   in Loop: Header=BB267_488 Depth=1
	s_delay_alu instid0(VALU_DEP_2) | instskip(NEXT) | instid1(VALU_DEP_1)
	v_clz_i32_u32_e32 v20, v20
	v_min_u32_e32 v20, 32, v20
	s_delay_alu instid0(VALU_DEP_1) | instskip(NEXT) | instid1(VALU_DEP_1)
	v_subrev_nc_u32_e32 v22, 28, v20
	v_lshlrev_b64_e32 v[24:25], v22, v[8:9]
	v_sub_nc_u32_e32 v22, 29, v20
	s_delay_alu instid0(VALU_DEP_2)
	v_and_b32_e32 v20, 7, v24
; %bb.583:                              ;   in Loop: Header=BB267_488 Depth=1
	s_or_b32 exec_lo, exec_lo, s17
	v_lshlrev_b32_e32 v8, 8, v8
	s_delay_alu instid0(VALU_DEP_3) | instskip(NEXT) | instid1(VALU_DEP_3)
	v_lshl_add_u32 v22, v22, 10, 0x2000
	v_lshlrev_b32_e32 v20, 23, v20
	s_delay_alu instid0(VALU_DEP_2) | instskip(NEXT) | instid1(VALU_DEP_1)
	v_and_or_b32 v8, 0x8000, v8, v22
	v_lshl_or_b32 v20, v8, 16, v20
.LBB267_584:                            ;   in Loop: Header=BB267_488 Depth=1
	s_or_b32 exec_lo, exec_lo, s16
.LBB267_585:                            ;   in Loop: Header=BB267_488 Depth=1
	s_delay_alu instid0(SALU_CYCLE_1)
	s_or_b32 exec_lo, exec_lo, s15
.LBB267_586:                            ;   in Loop: Header=BB267_488 Depth=1
	s_delay_alu instid0(SALU_CYCLE_1) | instskip(SKIP_4) | instid1(VALU_DEP_3)
	s_or_b32 exec_lo, exec_lo, s14
	v_and_b32_e32 v24, 0xff, v19
	v_dual_mov_b32 v8, v19 :: v_dual_mov_b32 v23, 0
	v_mov_b32_e32 v22, 0
	s_mov_b32 s14, exec_lo
	v_cmpx_ne_u16_e32 0, v24
	s_cbranch_execz .LBB267_594
; %bb.587:                              ;   in Loop: Header=BB267_488 Depth=1
	v_mov_b32_e32 v22, 0x8000
	s_mov_b32 s15, exec_lo
	v_cmpx_ne_u16_e32 0x80, v24
	s_cbranch_execz .LBB267_593
; %bb.588:                              ;   in Loop: Header=BB267_488 Depth=1
	v_and_b32_e32 v25, 0x7f, v19
	v_mov_b32_e32 v22, 0x7c01
	s_mov_b32 s16, exec_lo
	s_delay_alu instid0(VALU_DEP_2)
	v_cmpx_ne_u32_e32 0x7f, v25
	s_cbranch_execz .LBB267_592
; %bb.589:                              ;   in Loop: Header=BB267_488 Depth=1
	v_dual_lshrrev_b32 v24, 3, v25 :: v_dual_bitop2_b32 v22, 7, v19 bitop3:0x40
	s_mov_b32 s17, exec_lo
	v_cmpx_gt_u32_e32 8, v25
; %bb.590:                              ;   in Loop: Header=BB267_488 Depth=1
	s_delay_alu instid0(VALU_DEP_2) | instskip(NEXT) | instid1(VALU_DEP_1)
	v_clz_i32_u32_e32 v22, v22
	v_min_u32_e32 v22, 32, v22
	s_delay_alu instid0(VALU_DEP_1) | instskip(NEXT) | instid1(VALU_DEP_1)
	v_subrev_nc_u32_e32 v24, 28, v22
	v_lshlrev_b64_e32 v[42:43], v24, v[8:9]
	v_sub_nc_u32_e32 v24, 29, v22
	s_delay_alu instid0(VALU_DEP_2)
	v_and_b32_e32 v22, 7, v42
; %bb.591:                              ;   in Loop: Header=BB267_488 Depth=1
	s_or_b32 exec_lo, exec_lo, s17
	s_delay_alu instid0(VALU_DEP_1) | instskip(NEXT) | instid1(VALU_DEP_3)
	v_dual_lshlrev_b32 v25, 8, v19 :: v_dual_lshlrev_b32 v22, 7, v22
	v_lshl_add_u32 v24, v24, 10, 0x2000
	s_delay_alu instid0(VALU_DEP_2) | instskip(NEXT) | instid1(VALU_DEP_2)
	v_and_b32_e32 v25, 0x8000, v25
	v_and_b32_e32 v24, 0xfc00, v24
	s_delay_alu instid0(VALU_DEP_1)
	v_or3_b32 v22, v25, v24, v22
.LBB267_592:                            ;   in Loop: Header=BB267_488 Depth=1
	s_or_b32 exec_lo, exec_lo, s16
.LBB267_593:                            ;   in Loop: Header=BB267_488 Depth=1
	s_delay_alu instid0(SALU_CYCLE_1)
	s_or_b32 exec_lo, exec_lo, s15
.LBB267_594:                            ;   in Loop: Header=BB267_488 Depth=1
	s_delay_alu instid0(SALU_CYCLE_1) | instskip(SKIP_3) | instid1(VALU_DEP_2)
	s_or_b32 exec_lo, exec_lo, s14
	v_lshrrev_b16 v8, 8, v8
	v_mov_b32_e32 v24, 0
	s_mov_b32 s14, exec_lo
	v_cmpx_ne_u16_e32 0, v8
	s_cbranch_execz .LBB267_602
; %bb.595:                              ;   in Loop: Header=BB267_488 Depth=1
	v_bfrev_b32_e32 v24, 1
	s_mov_b32 s15, exec_lo
	v_cmpx_ne_u16_e32 0x80, v8
	s_cbranch_execz .LBB267_601
; %bb.596:                              ;   in Loop: Header=BB267_488 Depth=1
	v_and_b32_e32 v25, 0xffff, v8
	v_mov_b32_e32 v24, 0x7c010000
	s_mov_b32 s16, exec_lo
	s_delay_alu instid0(VALU_DEP_2) | instskip(NEXT) | instid1(VALU_DEP_1)
	v_and_b32_e32 v43, 0x7f, v25
	v_cmpx_ne_u32_e32 0x7f, v43
	s_cbranch_execz .LBB267_600
; %bb.597:                              ;   in Loop: Header=BB267_488 Depth=1
	v_dual_lshrrev_b32 v42, 3, v43 :: v_dual_bitop2_b32 v24, 7, v25 bitop3:0x40
	s_mov_b32 s17, exec_lo
	v_cmpx_gt_u32_e32 8, v43
; %bb.598:                              ;   in Loop: Header=BB267_488 Depth=1
	s_delay_alu instid0(VALU_DEP_2) | instskip(NEXT) | instid1(VALU_DEP_1)
	v_clz_i32_u32_e32 v24, v24
	v_min_u32_e32 v24, 32, v24
	s_delay_alu instid0(VALU_DEP_1) | instskip(NEXT) | instid1(VALU_DEP_1)
	v_subrev_nc_u32_e32 v42, 28, v24
	v_lshlrev_b64_e32 v[50:51], v42, v[8:9]
	s_delay_alu instid0(VALU_DEP_1)
	v_dual_sub_nc_u32 v42, 29, v24 :: v_dual_bitop2_b32 v24, 7, v50 bitop3:0x40
; %bb.599:                              ;   in Loop: Header=BB267_488 Depth=1
	s_or_b32 exec_lo, exec_lo, s17
	s_delay_alu instid0(VALU_DEP_1) | instskip(NEXT) | instid1(VALU_DEP_2)
	v_dual_lshlrev_b32 v8, 8, v25 :: v_dual_lshlrev_b32 v24, 23, v24
	v_lshl_add_u32 v25, v42, 10, 0x2000
	s_delay_alu instid0(VALU_DEP_1) | instskip(NEXT) | instid1(VALU_DEP_1)
	v_and_or_b32 v8, 0x8000, v8, v25
	v_lshl_or_b32 v24, v8, 16, v24
.LBB267_600:                            ;   in Loop: Header=BB267_488 Depth=1
	s_or_b32 exec_lo, exec_lo, s16
.LBB267_601:                            ;   in Loop: Header=BB267_488 Depth=1
	s_delay_alu instid0(SALU_CYCLE_1)
	s_or_b32 exec_lo, exec_lo, s15
.LBB267_602:                            ;   in Loop: Header=BB267_488 Depth=1
	s_delay_alu instid0(SALU_CYCLE_1) | instskip(SKIP_2) | instid1(VALU_DEP_1)
	s_or_b32 exec_lo, exec_lo, s14
	v_lshrrev_b32_e32 v8, 16, v19
	s_mov_b32 s14, exec_lo
	v_and_b32_e32 v25, 0xff, v8
	s_delay_alu instid0(VALU_DEP_1)
	v_cmpx_ne_u16_e32 0, v25
	s_cbranch_execz .LBB267_610
; %bb.603:                              ;   in Loop: Header=BB267_488 Depth=1
	v_mov_b32_e32 v23, 0x8000
	s_mov_b32 s15, exec_lo
	v_cmpx_ne_u16_e32 0x80, v25
	s_cbranch_execz .LBB267_609
; %bb.604:                              ;   in Loop: Header=BB267_488 Depth=1
	v_bfe_u32 v42, v19, 16, 7
	v_mov_b32_e32 v23, 0x7c01
	s_mov_b32 s16, exec_lo
	s_delay_alu instid0(VALU_DEP_2)
	v_cmpx_ne_u32_e32 0x7f, v42
	s_cbranch_execz .LBB267_608
; %bb.605:                              ;   in Loop: Header=BB267_488 Depth=1
	v_dual_lshrrev_b32 v25, 3, v42 :: v_dual_bitop2_b32 v23, 7, v8 bitop3:0x40
	s_mov_b32 s17, exec_lo
	v_cmpx_gt_u32_e32 8, v42
; %bb.606:                              ;   in Loop: Header=BB267_488 Depth=1
	s_delay_alu instid0(VALU_DEP_2) | instskip(NEXT) | instid1(VALU_DEP_1)
	v_clz_i32_u32_e32 v23, v23
	v_min_u32_e32 v23, 32, v23
	s_delay_alu instid0(VALU_DEP_1) | instskip(NEXT) | instid1(VALU_DEP_1)
	v_subrev_nc_u32_e32 v25, 28, v23
	v_lshlrev_b64_e32 v[42:43], v25, v[8:9]
	s_delay_alu instid0(VALU_DEP_1)
	v_dual_sub_nc_u32 v25, 29, v23 :: v_dual_bitop2_b32 v23, 7, v42 bitop3:0x40
; %bb.607:                              ;   in Loop: Header=BB267_488 Depth=1
	s_or_b32 exec_lo, exec_lo, s17
	s_delay_alu instid0(VALU_DEP_1) | instskip(NEXT) | instid1(VALU_DEP_2)
	v_dual_lshlrev_b32 v8, 8, v8 :: v_dual_lshlrev_b32 v23, 7, v23
	v_lshl_add_u32 v25, v25, 10, 0x2000
	s_delay_alu instid0(VALU_DEP_2) | instskip(NEXT) | instid1(VALU_DEP_2)
	v_and_b32_e32 v8, 0x8000, v8
	v_and_b32_e32 v25, 0xfc00, v25
	s_delay_alu instid0(VALU_DEP_1)
	v_or3_b32 v23, v8, v25, v23
.LBB267_608:                            ;   in Loop: Header=BB267_488 Depth=1
	s_or_b32 exec_lo, exec_lo, s16
.LBB267_609:                            ;   in Loop: Header=BB267_488 Depth=1
	s_delay_alu instid0(SALU_CYCLE_1)
	s_or_b32 exec_lo, exec_lo, s15
.LBB267_610:                            ;   in Loop: Header=BB267_488 Depth=1
	s_delay_alu instid0(SALU_CYCLE_1)
	s_or_b32 exec_lo, exec_lo, s14
	v_cmp_lt_u64_e64 s0, s[2:3], v[18:19]
	v_mov_b32_e32 v18, 0
	s_and_saveexec_b32 s14, s0
	s_cbranch_execz .LBB267_618
; %bb.611:                              ;   in Loop: Header=BB267_488 Depth=1
	v_lshrrev_b32_e32 v8, 24, v19
	v_bfrev_b32_e32 v18, 1
	s_mov_b32 s15, exec_lo
	s_delay_alu instid0(VALU_DEP_2)
	v_cmpx_ne_u32_e32 0x80, v8
	s_cbranch_execz .LBB267_617
; %bb.612:                              ;   in Loop: Header=BB267_488 Depth=1
	v_and_b32_e32 v25, 0x7f, v8
	v_mov_b32_e32 v18, 0x7c010000
	s_mov_b32 s16, exec_lo
	s_delay_alu instid0(VALU_DEP_2)
	v_cmpx_ne_u32_e32 0x7f, v25
	s_cbranch_execz .LBB267_616
; %bb.613:                              ;   in Loop: Header=BB267_488 Depth=1
	v_dual_lshrrev_b32 v19, 3, v25 :: v_dual_bitop2_b32 v18, 7, v8 bitop3:0x40
	s_mov_b32 s17, exec_lo
	v_cmpx_gt_u32_e32 8, v25
; %bb.614:                              ;   in Loop: Header=BB267_488 Depth=1
	s_delay_alu instid0(VALU_DEP_2) | instskip(NEXT) | instid1(VALU_DEP_1)
	v_clz_i32_u32_e32 v18, v18
	v_min_u32_e32 v25, 32, v18
	s_delay_alu instid0(VALU_DEP_1) | instskip(NEXT) | instid1(VALU_DEP_1)
	v_subrev_nc_u32_e32 v18, 28, v25
	v_lshlrev_b64_e32 v[18:19], v18, v[8:9]
	s_delay_alu instid0(VALU_DEP_1)
	v_dual_sub_nc_u32 v19, 29, v25 :: v_dual_bitop2_b32 v18, 7, v18 bitop3:0x40
; %bb.615:                              ;   in Loop: Header=BB267_488 Depth=1
	s_or_b32 exec_lo, exec_lo, s17
	s_delay_alu instid0(VALU_DEP_1) | instskip(NEXT) | instid1(VALU_DEP_2)
	v_dual_lshlrev_b32 v8, 8, v8 :: v_dual_lshlrev_b32 v18, 23, v18
	v_lshl_add_u32 v19, v19, 10, 0x2000
	s_delay_alu instid0(VALU_DEP_1) | instskip(NEXT) | instid1(VALU_DEP_1)
	v_and_or_b32 v8, 0x8000, v8, v19
	v_lshl_or_b32 v18, v8, 16, v18
.LBB267_616:                            ;   in Loop: Header=BB267_488 Depth=1
	s_or_b32 exec_lo, exec_lo, s16
.LBB267_617:                            ;   in Loop: Header=BB267_488 Depth=1
	s_delay_alu instid0(SALU_CYCLE_1)
	s_or_b32 exec_lo, exec_lo, s15
.LBB267_618:                            ;   in Loop: Header=BB267_488 Depth=1
	s_delay_alu instid0(SALU_CYCLE_1) | instskip(SKIP_3) | instid1(VALU_DEP_3)
	s_or_b32 exec_lo, exec_lo, s14
	v_dual_lshrrev_b32 v8, 16, v1 :: v_dual_lshrrev_b32 v19, 16, v20
	v_or_b32_e32 v1, v1, v17
	v_dual_lshrrev_b32 v25, 16, v18 :: v_dual_bitop2_b32 v17, v20, v21 bitop3:0x54
	v_cvt_f32_f16_e32 v21, v8
	s_delay_alu instid0(VALU_DEP_4) | instskip(SKIP_1) | instid1(VALU_DEP_4)
	v_cvt_f32_f16_e32 v20, v19
	v_dual_lshrrev_b32 v23, 16, v24 :: v_dual_bitop2_b32 v8, v18, v23 bitop3:0x54
	v_cvt_f32_f16_e32 v18, v17
	v_cvt_f32_f16_e32 v19, v1
	s_wait_loadcnt 0x0
	v_pk_mul_f32 v[20:21], v[16:17], v[20:21] op_sel_hi:[0,1]
	v_or_b32_e32 v17, v24, v22
	v_cvt_f32_f16_e32 v23, v23
	v_cvt_f32_f16_e32 v22, v25
	;; [unrolled: 1-line block ×3, first 2 shown]
	v_cvt_pk_f16_f32 v1, v20, v21
	v_cvt_f32_f16_e32 v25, v17
	v_pk_mul_f32 v[18:19], v[16:17], v[18:19] op_sel_hi:[0,1]
	v_pk_mul_f32 v[20:21], v[16:17], v[22:23] op_sel_hi:[0,1]
	s_delay_alu instid0(VALU_DEP_3) | instskip(NEXT) | instid1(VALU_DEP_3)
	v_pk_mul_f32 v[16:17], v[16:17], v[24:25] op_sel_hi:[0,1]
	v_cvt_pk_f16_f32 v8, v18, v19
	v_and_b32_e32 v19, 0xffff0000, v1
	s_delay_alu instid0(VALU_DEP_4)
	v_cvt_pk_f16_f32 v20, v20, v21
	v_lshlrev_b32_e32 v18, 16, v1
	v_cvt_pk_f16_f32 v16, v16, v17
	v_lshrrev_b32_e32 v25, 16, v8
	v_and_b32_e32 v24, 0xffff, v8
	v_and_b32_e32 v1, 0xffff0000, v20
	s_delay_alu instid0(VALU_DEP_3) | instskip(SKIP_3) | instid1(VALU_DEP_2)
	v_dual_lshlrev_b32 v8, 16, v20 :: v_dual_bitop2_b32 v23, v19, v25 bitop3:0x54
	v_lshrrev_b32_e32 v17, 16, v16
	v_and_b32_e32 v16, 0xffff, v16
	v_or_b32_e32 v22, v18, v24
	v_or_b32_e32 v20, v8, v16
	s_delay_alu instid0(VALU_DEP_4)
	v_or_b32_e32 v21, v1, v17
	s_and_saveexec_b32 s14, vcc_lo
	s_cbranch_execz .LBB267_620
; %bb.619:                              ;   in Loop: Header=BB267_488 Depth=1
	v_cmp_gt_i32_e64 s0, s9, v32
	s_delay_alu instid0(VALU_DEP_1) | instskip(SKIP_1) | instid1(VALU_DEP_1)
	v_cndmask_b32_e64 v20, 0, v25, s0
	v_cmp_gt_i32_e64 s0, s23, v41
	v_cndmask_b32_e64 v21, 0, v24, s0
	v_cmp_gt_i32_e64 s0, s9, v40
	s_delay_alu instid0(VALU_DEP_1) | instskip(SKIP_1) | instid1(VALU_DEP_1)
	v_cndmask_b32_e64 v19, 0, v19, s0
	v_cmp_gt_i32_e64 s0, s23, v39
	v_cndmask_b32_e64 v18, 0, v18, s0
	v_cmp_gt_i32_e64 s0, s9, v38
	s_delay_alu instid0(VALU_DEP_4) | instskip(NEXT) | instid1(VALU_DEP_3)
	v_or_b32_e32 v23, v19, v20
	v_or_b32_e32 v22, v18, v21
	s_delay_alu instid0(VALU_DEP_3) | instskip(SKIP_1) | instid1(VALU_DEP_1)
	v_cndmask_b32_e64 v17, 0, v17, s0
	v_cmp_gt_i32_e64 s0, s23, v37
	v_cndmask_b32_e64 v16, 0, v16, s0
	v_cmp_gt_i32_e64 s0, s9, v36
	s_delay_alu instid0(VALU_DEP_1) | instskip(SKIP_1) | instid1(VALU_DEP_1)
	v_cndmask_b32_e64 v1, 0, v1, s0
	v_cmp_gt_i32_e64 s0, s23, v35
	v_dual_cndmask_b32 v8, 0, v8, s0 :: v_dual_bitop2_b32 v21, v1, v17 bitop3:0x54
	s_delay_alu instid0(VALU_DEP_1)
	v_or_b32_e32 v20, v8, v16
.LBB267_620:                            ;   in Loop: Header=BB267_488 Depth=1
	s_or_b32 exec_lo, exec_lo, s14
	;;#ASMSTART
	v_pk_mul_f16 v1, v47, v23;

	;;#ASMEND
	;;#ASMSTART
	v_pk_mul_f16 v8, v46, v22;

	;;#ASMEND
	;;#ASMSTART
	v_pk_mul_f16 v16, v45, v21;

	;;#ASMEND
	;;#ASMSTART
	v_pk_mul_f16 v17, v44, v20;

	;;#ASMEND
	;;#ASMSTART
	v_pk_add_f16 v1, v1, v8;

	;;#ASMEND
	;;#ASMSTART
	v_pk_add_f16 v1, v1, v16;

	;;#ASMEND
	;; [unrolled: 4-line block ×3, first 2 shown]
	v_and_b32_e32 v8, 0xffff, v1
	v_dual_lshrrev_b32 v1, 16, v1 :: v_dual_mov_b32 v17, 0
	;;#ASMSTART
	v_cvt_f32_f16 v50, v8;
	;;#ASMEND
	;;#ASMSTART
	v_cvt_f32_f16 v51, v1;
	;;#ASMEND
	global_load_b64 v[18:19], v[14:15], off offset:512
	v_mov_b32_e32 v1, 0
	s_mov_b32 s14, exec_lo
	global_load_b32 v16, v1, s[10:11]
	s_wait_loadcnt 0x1
	v_and_b32_e32 v8, 0xff, v18
	s_wait_xcnt 0x0
	s_delay_alu instid0(VALU_DEP_1)
	v_cmpx_ne_u16_e32 0, v8
	s_cbranch_execz .LBB267_628
; %bb.621:                              ;   in Loop: Header=BB267_488 Depth=1
	v_mov_b32_e32 v17, 0x8000
	s_mov_b32 s15, exec_lo
	v_cmpx_ne_u16_e32 0x80, v8
	s_cbranch_execz .LBB267_627
; %bb.622:                              ;   in Loop: Header=BB267_488 Depth=1
	v_and_b32_e32 v20, 0x7f, v18
	v_mov_b32_e32 v17, 0x7c01
	s_mov_b32 s16, exec_lo
	s_delay_alu instid0(VALU_DEP_2)
	v_cmpx_ne_u32_e32 0x7f, v20
	s_cbranch_execz .LBB267_626
; %bb.623:                              ;   in Loop: Header=BB267_488 Depth=1
	v_dual_lshrrev_b32 v17, 3, v20 :: v_dual_bitop2_b32 v8, 7, v18 bitop3:0x40
	s_mov_b32 s17, exec_lo
	v_cmpx_gt_u32_e32 8, v20
; %bb.624:                              ;   in Loop: Header=BB267_488 Depth=1
	s_delay_alu instid0(VALU_DEP_2) | instskip(NEXT) | instid1(VALU_DEP_1)
	v_clz_i32_u32_e32 v8, v8
	v_min_u32_e32 v8, 32, v8
	s_delay_alu instid0(VALU_DEP_1) | instskip(NEXT) | instid1(VALU_DEP_1)
	v_subrev_nc_u32_e32 v17, 28, v8
	v_lshlrev_b64_e32 v[20:21], v17, v[18:19]
	v_sub_nc_u32_e32 v17, 29, v8
	s_delay_alu instid0(VALU_DEP_2)
	v_and_b32_e32 v8, 7, v20
; %bb.625:                              ;   in Loop: Header=BB267_488 Depth=1
	s_or_b32 exec_lo, exec_lo, s17
	s_delay_alu instid0(VALU_DEP_1) | instskip(NEXT) | instid1(VALU_DEP_3)
	v_dual_lshlrev_b32 v20, 8, v18 :: v_dual_lshlrev_b32 v8, 7, v8
	v_lshl_add_u32 v17, v17, 10, 0x2000
	s_delay_alu instid0(VALU_DEP_2) | instskip(NEXT) | instid1(VALU_DEP_2)
	v_and_b32_e32 v20, 0x8000, v20
	v_and_b32_e32 v17, 0xfc00, v17
	s_delay_alu instid0(VALU_DEP_1)
	v_or3_b32 v17, v20, v17, v8
.LBB267_626:                            ;   in Loop: Header=BB267_488 Depth=1
	s_or_b32 exec_lo, exec_lo, s16
.LBB267_627:                            ;   in Loop: Header=BB267_488 Depth=1
	s_delay_alu instid0(SALU_CYCLE_1)
	s_or_b32 exec_lo, exec_lo, s15
.LBB267_628:                            ;   in Loop: Header=BB267_488 Depth=1
	s_delay_alu instid0(SALU_CYCLE_1) | instskip(SKIP_2) | instid1(VALU_DEP_1)
	s_or_b32 exec_lo, exec_lo, s14
	v_lshrrev_b16 v8, 8, v18
	s_mov_b32 s14, exec_lo
	v_cmpx_ne_u16_e32 0, v8
	s_cbranch_execz .LBB267_636
; %bb.629:                              ;   in Loop: Header=BB267_488 Depth=1
	v_bfrev_b32_e32 v1, 1
	s_mov_b32 s15, exec_lo
	v_cmpx_ne_u16_e32 0x80, v8
	s_cbranch_execz .LBB267_635
; %bb.630:                              ;   in Loop: Header=BB267_488 Depth=1
	v_and_b32_e32 v20, 0xffff, v8
	v_mov_b32_e32 v1, 0x7c010000
	s_mov_b32 s16, exec_lo
	s_delay_alu instid0(VALU_DEP_2) | instskip(NEXT) | instid1(VALU_DEP_1)
	v_and_b32_e32 v22, 0x7f, v20
	v_cmpx_ne_u32_e32 0x7f, v22
	s_cbranch_execz .LBB267_634
; %bb.631:                              ;   in Loop: Header=BB267_488 Depth=1
	v_dual_lshrrev_b32 v21, 3, v22 :: v_dual_bitop2_b32 v1, 7, v20 bitop3:0x40
	s_mov_b32 s17, exec_lo
	v_cmpx_gt_u32_e32 8, v22
; %bb.632:                              ;   in Loop: Header=BB267_488 Depth=1
	s_delay_alu instid0(VALU_DEP_2) | instskip(NEXT) | instid1(VALU_DEP_1)
	v_clz_i32_u32_e32 v1, v1
	v_min_u32_e32 v1, 32, v1
	s_delay_alu instid0(VALU_DEP_1) | instskip(NEXT) | instid1(VALU_DEP_1)
	v_subrev_nc_u32_e32 v21, 28, v1
	v_lshlrev_b64_e32 v[22:23], v21, v[8:9]
	s_delay_alu instid0(VALU_DEP_1)
	v_dual_sub_nc_u32 v21, 29, v1 :: v_dual_bitop2_b32 v1, 7, v22 bitop3:0x40
; %bb.633:                              ;   in Loop: Header=BB267_488 Depth=1
	s_or_b32 exec_lo, exec_lo, s17
	s_delay_alu instid0(VALU_DEP_1) | instskip(NEXT) | instid1(VALU_DEP_2)
	v_dual_lshlrev_b32 v8, 8, v20 :: v_dual_lshlrev_b32 v1, 23, v1
	v_lshl_add_u32 v20, v21, 10, 0x2000
	s_delay_alu instid0(VALU_DEP_1) | instskip(NEXT) | instid1(VALU_DEP_1)
	v_and_or_b32 v8, 0x8000, v8, v20
	v_lshl_or_b32 v1, v8, 16, v1
.LBB267_634:                            ;   in Loop: Header=BB267_488 Depth=1
	s_or_b32 exec_lo, exec_lo, s16
.LBB267_635:                            ;   in Loop: Header=BB267_488 Depth=1
	s_delay_alu instid0(SALU_CYCLE_1)
	s_or_b32 exec_lo, exec_lo, s15
.LBB267_636:                            ;   in Loop: Header=BB267_488 Depth=1
	s_delay_alu instid0(SALU_CYCLE_1) | instskip(SKIP_3) | instid1(VALU_DEP_2)
	s_or_b32 exec_lo, exec_lo, s14
	v_dual_lshrrev_b32 v8, 16, v18 :: v_dual_mov_b32 v20, 0
	v_mov_b32_e32 v21, 0
	s_mov_b32 s14, exec_lo
	v_and_b32_e32 v22, 0xff, v8
	s_delay_alu instid0(VALU_DEP_1)
	v_cmpx_ne_u16_e32 0, v22
	s_cbranch_execz .LBB267_644
; %bb.637:                              ;   in Loop: Header=BB267_488 Depth=1
	v_mov_b32_e32 v21, 0x8000
	s_mov_b32 s15, exec_lo
	v_cmpx_ne_u16_e32 0x80, v22
	s_cbranch_execz .LBB267_643
; %bb.638:                              ;   in Loop: Header=BB267_488 Depth=1
	v_bfe_u32 v23, v18, 16, 7
	v_mov_b32_e32 v21, 0x7c01
	s_mov_b32 s16, exec_lo
	s_delay_alu instid0(VALU_DEP_2)
	v_cmpx_ne_u32_e32 0x7f, v23
	s_cbranch_execz .LBB267_642
; %bb.639:                              ;   in Loop: Header=BB267_488 Depth=1
	v_dual_lshrrev_b32 v22, 3, v23 :: v_dual_bitop2_b32 v21, 7, v8 bitop3:0x40
	s_mov_b32 s17, exec_lo
	v_cmpx_gt_u32_e32 8, v23
; %bb.640:                              ;   in Loop: Header=BB267_488 Depth=1
	s_delay_alu instid0(VALU_DEP_2) | instskip(NEXT) | instid1(VALU_DEP_1)
	v_clz_i32_u32_e32 v21, v21
	v_min_u32_e32 v21, 32, v21
	s_delay_alu instid0(VALU_DEP_1) | instskip(NEXT) | instid1(VALU_DEP_1)
	v_subrev_nc_u32_e32 v22, 28, v21
	v_lshlrev_b64_e32 v[24:25], v22, v[8:9]
	s_delay_alu instid0(VALU_DEP_1)
	v_dual_sub_nc_u32 v22, 29, v21 :: v_dual_bitop2_b32 v21, 7, v24 bitop3:0x40
; %bb.641:                              ;   in Loop: Header=BB267_488 Depth=1
	s_or_b32 exec_lo, exec_lo, s17
	s_delay_alu instid0(VALU_DEP_1) | instskip(NEXT) | instid1(VALU_DEP_2)
	v_dual_lshlrev_b32 v8, 8, v8 :: v_dual_lshlrev_b32 v21, 7, v21
	v_lshl_add_u32 v22, v22, 10, 0x2000
	s_delay_alu instid0(VALU_DEP_2) | instskip(NEXT) | instid1(VALU_DEP_2)
	v_and_b32_e32 v8, 0x8000, v8
	v_and_b32_e32 v22, 0xfc00, v22
	s_delay_alu instid0(VALU_DEP_1)
	v_or3_b32 v21, v8, v22, v21
.LBB267_642:                            ;   in Loop: Header=BB267_488 Depth=1
	s_or_b32 exec_lo, exec_lo, s16
.LBB267_643:                            ;   in Loop: Header=BB267_488 Depth=1
	s_delay_alu instid0(SALU_CYCLE_1)
	s_or_b32 exec_lo, exec_lo, s15
.LBB267_644:                            ;   in Loop: Header=BB267_488 Depth=1
	s_delay_alu instid0(SALU_CYCLE_1) | instskip(NEXT) | instid1(SALU_CYCLE_1)
	s_or_b32 exec_lo, exec_lo, s14
	s_mov_b32 s14, exec_lo
	v_cmpx_lt_u32_e32 0xffffff, v18
	s_cbranch_execz .LBB267_652
; %bb.645:                              ;   in Loop: Header=BB267_488 Depth=1
	v_lshrrev_b32_e32 v8, 24, v18
	v_bfrev_b32_e32 v20, 1
	s_mov_b32 s15, exec_lo
	s_delay_alu instid0(VALU_DEP_2)
	v_cmpx_ne_u32_e32 0x80, v8
	s_cbranch_execz .LBB267_651
; %bb.646:                              ;   in Loop: Header=BB267_488 Depth=1
	v_and_b32_e32 v23, 0x7f, v8
	v_mov_b32_e32 v20, 0x7c010000
	s_mov_b32 s16, exec_lo
	s_delay_alu instid0(VALU_DEP_2)
	v_cmpx_ne_u32_e32 0x7f, v23
	s_cbranch_execz .LBB267_650
; %bb.647:                              ;   in Loop: Header=BB267_488 Depth=1
	v_dual_lshrrev_b32 v22, 3, v23 :: v_dual_bitop2_b32 v20, 7, v8 bitop3:0x40
	s_mov_b32 s17, exec_lo
	v_cmpx_gt_u32_e32 8, v23
; %bb.648:                              ;   in Loop: Header=BB267_488 Depth=1
	s_delay_alu instid0(VALU_DEP_2) | instskip(NEXT) | instid1(VALU_DEP_1)
	v_clz_i32_u32_e32 v20, v20
	v_min_u32_e32 v20, 32, v20
	s_delay_alu instid0(VALU_DEP_1) | instskip(NEXT) | instid1(VALU_DEP_1)
	v_subrev_nc_u32_e32 v22, 28, v20
	v_lshlrev_b64_e32 v[24:25], v22, v[8:9]
	v_sub_nc_u32_e32 v22, 29, v20
	s_delay_alu instid0(VALU_DEP_2)
	v_and_b32_e32 v20, 7, v24
; %bb.649:                              ;   in Loop: Header=BB267_488 Depth=1
	s_or_b32 exec_lo, exec_lo, s17
	v_lshlrev_b32_e32 v8, 8, v8
	s_delay_alu instid0(VALU_DEP_3) | instskip(NEXT) | instid1(VALU_DEP_3)
	v_lshl_add_u32 v22, v22, 10, 0x2000
	v_lshlrev_b32_e32 v20, 23, v20
	s_delay_alu instid0(VALU_DEP_2) | instskip(NEXT) | instid1(VALU_DEP_1)
	v_and_or_b32 v8, 0x8000, v8, v22
	v_lshl_or_b32 v20, v8, 16, v20
.LBB267_650:                            ;   in Loop: Header=BB267_488 Depth=1
	s_or_b32 exec_lo, exec_lo, s16
.LBB267_651:                            ;   in Loop: Header=BB267_488 Depth=1
	s_delay_alu instid0(SALU_CYCLE_1)
	s_or_b32 exec_lo, exec_lo, s15
.LBB267_652:                            ;   in Loop: Header=BB267_488 Depth=1
	s_delay_alu instid0(SALU_CYCLE_1) | instskip(SKIP_4) | instid1(VALU_DEP_3)
	s_or_b32 exec_lo, exec_lo, s14
	v_and_b32_e32 v24, 0xff, v19
	v_dual_mov_b32 v8, v19 :: v_dual_mov_b32 v23, 0
	v_mov_b32_e32 v22, 0
	s_mov_b32 s14, exec_lo
	v_cmpx_ne_u16_e32 0, v24
	s_cbranch_execz .LBB267_660
; %bb.653:                              ;   in Loop: Header=BB267_488 Depth=1
	v_mov_b32_e32 v22, 0x8000
	s_mov_b32 s15, exec_lo
	v_cmpx_ne_u16_e32 0x80, v24
	s_cbranch_execz .LBB267_659
; %bb.654:                              ;   in Loop: Header=BB267_488 Depth=1
	v_and_b32_e32 v25, 0x7f, v19
	v_mov_b32_e32 v22, 0x7c01
	s_mov_b32 s16, exec_lo
	s_delay_alu instid0(VALU_DEP_2)
	v_cmpx_ne_u32_e32 0x7f, v25
	s_cbranch_execz .LBB267_658
; %bb.655:                              ;   in Loop: Header=BB267_488 Depth=1
	v_dual_lshrrev_b32 v24, 3, v25 :: v_dual_bitop2_b32 v22, 7, v19 bitop3:0x40
	s_mov_b32 s17, exec_lo
	v_cmpx_gt_u32_e32 8, v25
; %bb.656:                              ;   in Loop: Header=BB267_488 Depth=1
	s_delay_alu instid0(VALU_DEP_2) | instskip(NEXT) | instid1(VALU_DEP_1)
	v_clz_i32_u32_e32 v22, v22
	v_min_u32_e32 v22, 32, v22
	s_delay_alu instid0(VALU_DEP_1) | instskip(NEXT) | instid1(VALU_DEP_1)
	v_subrev_nc_u32_e32 v24, 28, v22
	v_lshlrev_b64_e32 v[42:43], v24, v[8:9]
	v_sub_nc_u32_e32 v24, 29, v22
	s_delay_alu instid0(VALU_DEP_2)
	v_and_b32_e32 v22, 7, v42
; %bb.657:                              ;   in Loop: Header=BB267_488 Depth=1
	s_or_b32 exec_lo, exec_lo, s17
	s_delay_alu instid0(VALU_DEP_1) | instskip(NEXT) | instid1(VALU_DEP_3)
	v_dual_lshlrev_b32 v25, 8, v19 :: v_dual_lshlrev_b32 v22, 7, v22
	v_lshl_add_u32 v24, v24, 10, 0x2000
	s_delay_alu instid0(VALU_DEP_2) | instskip(NEXT) | instid1(VALU_DEP_2)
	v_and_b32_e32 v25, 0x8000, v25
	v_and_b32_e32 v24, 0xfc00, v24
	s_delay_alu instid0(VALU_DEP_1)
	v_or3_b32 v22, v25, v24, v22
.LBB267_658:                            ;   in Loop: Header=BB267_488 Depth=1
	s_or_b32 exec_lo, exec_lo, s16
.LBB267_659:                            ;   in Loop: Header=BB267_488 Depth=1
	s_delay_alu instid0(SALU_CYCLE_1)
	s_or_b32 exec_lo, exec_lo, s15
.LBB267_660:                            ;   in Loop: Header=BB267_488 Depth=1
	s_delay_alu instid0(SALU_CYCLE_1) | instskip(SKIP_3) | instid1(VALU_DEP_2)
	s_or_b32 exec_lo, exec_lo, s14
	v_lshrrev_b16 v8, 8, v8
	v_mov_b32_e32 v24, 0
	s_mov_b32 s14, exec_lo
	v_cmpx_ne_u16_e32 0, v8
	s_cbranch_execz .LBB267_668
; %bb.661:                              ;   in Loop: Header=BB267_488 Depth=1
	v_bfrev_b32_e32 v24, 1
	s_mov_b32 s15, exec_lo
	v_cmpx_ne_u16_e32 0x80, v8
	s_cbranch_execz .LBB267_667
; %bb.662:                              ;   in Loop: Header=BB267_488 Depth=1
	v_and_b32_e32 v25, 0xffff, v8
	v_mov_b32_e32 v24, 0x7c010000
	s_mov_b32 s16, exec_lo
	s_delay_alu instid0(VALU_DEP_2) | instskip(NEXT) | instid1(VALU_DEP_1)
	v_and_b32_e32 v43, 0x7f, v25
	v_cmpx_ne_u32_e32 0x7f, v43
	s_cbranch_execz .LBB267_666
; %bb.663:                              ;   in Loop: Header=BB267_488 Depth=1
	v_dual_lshrrev_b32 v42, 3, v43 :: v_dual_bitop2_b32 v24, 7, v25 bitop3:0x40
	s_mov_b32 s17, exec_lo
	v_cmpx_gt_u32_e32 8, v43
; %bb.664:                              ;   in Loop: Header=BB267_488 Depth=1
	s_delay_alu instid0(VALU_DEP_2) | instskip(NEXT) | instid1(VALU_DEP_1)
	v_clz_i32_u32_e32 v24, v24
	v_min_u32_e32 v24, 32, v24
	s_delay_alu instid0(VALU_DEP_1) | instskip(NEXT) | instid1(VALU_DEP_1)
	v_subrev_nc_u32_e32 v42, 28, v24
	v_lshlrev_b64_e32 v[52:53], v42, v[8:9]
	v_sub_nc_u32_e32 v42, 29, v24
	s_delay_alu instid0(VALU_DEP_2)
	v_and_b32_e32 v24, 7, v52
; %bb.665:                              ;   in Loop: Header=BB267_488 Depth=1
	s_or_b32 exec_lo, exec_lo, s17
	s_delay_alu instid0(VALU_DEP_1) | instskip(NEXT) | instid1(VALU_DEP_3)
	v_dual_lshlrev_b32 v8, 8, v25 :: v_dual_lshlrev_b32 v24, 23, v24
	v_lshl_add_u32 v25, v42, 10, 0x2000
	s_delay_alu instid0(VALU_DEP_1) | instskip(NEXT) | instid1(VALU_DEP_1)
	v_and_or_b32 v8, 0x8000, v8, v25
	v_lshl_or_b32 v24, v8, 16, v24
.LBB267_666:                            ;   in Loop: Header=BB267_488 Depth=1
	s_or_b32 exec_lo, exec_lo, s16
.LBB267_667:                            ;   in Loop: Header=BB267_488 Depth=1
	s_delay_alu instid0(SALU_CYCLE_1)
	s_or_b32 exec_lo, exec_lo, s15
.LBB267_668:                            ;   in Loop: Header=BB267_488 Depth=1
	s_delay_alu instid0(SALU_CYCLE_1) | instskip(SKIP_2) | instid1(VALU_DEP_1)
	s_or_b32 exec_lo, exec_lo, s14
	v_lshrrev_b32_e32 v8, 16, v19
	s_mov_b32 s14, exec_lo
	v_and_b32_e32 v25, 0xff, v8
	s_delay_alu instid0(VALU_DEP_1)
	v_cmpx_ne_u16_e32 0, v25
	s_cbranch_execz .LBB267_676
; %bb.669:                              ;   in Loop: Header=BB267_488 Depth=1
	v_mov_b32_e32 v23, 0x8000
	s_mov_b32 s15, exec_lo
	v_cmpx_ne_u16_e32 0x80, v25
	s_cbranch_execz .LBB267_675
; %bb.670:                              ;   in Loop: Header=BB267_488 Depth=1
	v_bfe_u32 v42, v19, 16, 7
	v_mov_b32_e32 v23, 0x7c01
	s_mov_b32 s16, exec_lo
	s_delay_alu instid0(VALU_DEP_2)
	v_cmpx_ne_u32_e32 0x7f, v42
	s_cbranch_execz .LBB267_674
; %bb.671:                              ;   in Loop: Header=BB267_488 Depth=1
	v_dual_lshrrev_b32 v25, 3, v42 :: v_dual_bitop2_b32 v23, 7, v8 bitop3:0x40
	s_mov_b32 s17, exec_lo
	v_cmpx_gt_u32_e32 8, v42
; %bb.672:                              ;   in Loop: Header=BB267_488 Depth=1
	s_delay_alu instid0(VALU_DEP_2) | instskip(NEXT) | instid1(VALU_DEP_1)
	v_clz_i32_u32_e32 v23, v23
	v_min_u32_e32 v23, 32, v23
	s_delay_alu instid0(VALU_DEP_1) | instskip(NEXT) | instid1(VALU_DEP_1)
	v_subrev_nc_u32_e32 v25, 28, v23
	v_lshlrev_b64_e32 v[42:43], v25, v[8:9]
	s_delay_alu instid0(VALU_DEP_1)
	v_dual_sub_nc_u32 v25, 29, v23 :: v_dual_bitop2_b32 v23, 7, v42 bitop3:0x40
; %bb.673:                              ;   in Loop: Header=BB267_488 Depth=1
	s_or_b32 exec_lo, exec_lo, s17
	s_delay_alu instid0(VALU_DEP_1) | instskip(NEXT) | instid1(VALU_DEP_2)
	v_dual_lshlrev_b32 v8, 8, v8 :: v_dual_lshlrev_b32 v23, 7, v23
	v_lshl_add_u32 v25, v25, 10, 0x2000
	s_delay_alu instid0(VALU_DEP_2) | instskip(NEXT) | instid1(VALU_DEP_2)
	v_and_b32_e32 v8, 0x8000, v8
	v_and_b32_e32 v25, 0xfc00, v25
	s_delay_alu instid0(VALU_DEP_1)
	v_or3_b32 v23, v8, v25, v23
.LBB267_674:                            ;   in Loop: Header=BB267_488 Depth=1
	s_or_b32 exec_lo, exec_lo, s16
.LBB267_675:                            ;   in Loop: Header=BB267_488 Depth=1
	s_delay_alu instid0(SALU_CYCLE_1)
	s_or_b32 exec_lo, exec_lo, s15
.LBB267_676:                            ;   in Loop: Header=BB267_488 Depth=1
	s_delay_alu instid0(SALU_CYCLE_1)
	s_or_b32 exec_lo, exec_lo, s14
	v_cmp_lt_u64_e64 s0, s[2:3], v[18:19]
	v_mov_b32_e32 v18, 0
	s_and_saveexec_b32 s14, s0
	s_cbranch_execz .LBB267_684
; %bb.677:                              ;   in Loop: Header=BB267_488 Depth=1
	v_lshrrev_b32_e32 v8, 24, v19
	v_bfrev_b32_e32 v18, 1
	s_mov_b32 s15, exec_lo
	s_delay_alu instid0(VALU_DEP_2)
	v_cmpx_ne_u32_e32 0x80, v8
	s_cbranch_execz .LBB267_683
; %bb.678:                              ;   in Loop: Header=BB267_488 Depth=1
	v_and_b32_e32 v25, 0x7f, v8
	v_mov_b32_e32 v18, 0x7c010000
	s_mov_b32 s16, exec_lo
	s_delay_alu instid0(VALU_DEP_2)
	v_cmpx_ne_u32_e32 0x7f, v25
	s_cbranch_execz .LBB267_682
; %bb.679:                              ;   in Loop: Header=BB267_488 Depth=1
	v_dual_lshrrev_b32 v19, 3, v25 :: v_dual_bitop2_b32 v18, 7, v8 bitop3:0x40
	s_mov_b32 s17, exec_lo
	v_cmpx_gt_u32_e32 8, v25
; %bb.680:                              ;   in Loop: Header=BB267_488 Depth=1
	s_delay_alu instid0(VALU_DEP_2) | instskip(NEXT) | instid1(VALU_DEP_1)
	v_clz_i32_u32_e32 v18, v18
	v_min_u32_e32 v25, 32, v18
	s_delay_alu instid0(VALU_DEP_1) | instskip(NEXT) | instid1(VALU_DEP_1)
	v_subrev_nc_u32_e32 v18, 28, v25
	v_lshlrev_b64_e32 v[18:19], v18, v[8:9]
	s_delay_alu instid0(VALU_DEP_1)
	v_dual_sub_nc_u32 v19, 29, v25 :: v_dual_bitop2_b32 v18, 7, v18 bitop3:0x40
; %bb.681:                              ;   in Loop: Header=BB267_488 Depth=1
	s_or_b32 exec_lo, exec_lo, s17
	s_delay_alu instid0(VALU_DEP_1) | instskip(NEXT) | instid1(VALU_DEP_2)
	v_dual_lshlrev_b32 v8, 8, v8 :: v_dual_lshlrev_b32 v18, 23, v18
	v_lshl_add_u32 v19, v19, 10, 0x2000
	s_delay_alu instid0(VALU_DEP_1) | instskip(NEXT) | instid1(VALU_DEP_1)
	v_and_or_b32 v8, 0x8000, v8, v19
	v_lshl_or_b32 v18, v8, 16, v18
.LBB267_682:                            ;   in Loop: Header=BB267_488 Depth=1
	s_or_b32 exec_lo, exec_lo, s16
.LBB267_683:                            ;   in Loop: Header=BB267_488 Depth=1
	s_delay_alu instid0(SALU_CYCLE_1)
	s_or_b32 exec_lo, exec_lo, s15
.LBB267_684:                            ;   in Loop: Header=BB267_488 Depth=1
	s_delay_alu instid0(SALU_CYCLE_1) | instskip(SKIP_3) | instid1(VALU_DEP_3)
	s_or_b32 exec_lo, exec_lo, s14
	v_dual_lshrrev_b32 v8, 16, v1 :: v_dual_lshrrev_b32 v19, 16, v20
	v_or_b32_e32 v1, v1, v17
	v_dual_lshrrev_b32 v25, 16, v18 :: v_dual_bitop2_b32 v17, v20, v21 bitop3:0x54
	v_cvt_f32_f16_e32 v21, v8
	s_delay_alu instid0(VALU_DEP_4) | instskip(SKIP_1) | instid1(VALU_DEP_4)
	v_cvt_f32_f16_e32 v20, v19
	v_dual_lshrrev_b32 v23, 16, v24 :: v_dual_bitop2_b32 v8, v18, v23 bitop3:0x54
	v_cvt_f32_f16_e32 v18, v17
	v_cvt_f32_f16_e32 v19, v1
	s_wait_loadcnt 0x0
	v_pk_mul_f32 v[20:21], v[16:17], v[20:21] op_sel_hi:[0,1]
	v_or_b32_e32 v17, v24, v22
	v_cvt_f32_f16_e32 v23, v23
	v_cvt_f32_f16_e32 v22, v25
	;; [unrolled: 1-line block ×3, first 2 shown]
	v_cvt_pk_f16_f32 v1, v20, v21
	v_cvt_f32_f16_e32 v25, v17
	v_pk_mul_f32 v[18:19], v[16:17], v[18:19] op_sel_hi:[0,1]
	v_pk_mul_f32 v[20:21], v[16:17], v[22:23] op_sel_hi:[0,1]
	s_delay_alu instid0(VALU_DEP_3) | instskip(NEXT) | instid1(VALU_DEP_3)
	v_pk_mul_f32 v[16:17], v[16:17], v[24:25] op_sel_hi:[0,1]
	v_cvt_pk_f16_f32 v8, v18, v19
	v_and_b32_e32 v19, 0xffff0000, v1
	s_delay_alu instid0(VALU_DEP_4)
	v_cvt_pk_f16_f32 v20, v20, v21
	v_lshlrev_b32_e32 v18, 16, v1
	v_cvt_pk_f16_f32 v16, v16, v17
	v_lshrrev_b32_e32 v25, 16, v8
	v_and_b32_e32 v24, 0xffff, v8
	v_and_b32_e32 v1, 0xffff0000, v20
	s_delay_alu instid0(VALU_DEP_3) | instskip(SKIP_3) | instid1(VALU_DEP_2)
	v_dual_lshlrev_b32 v8, 16, v20 :: v_dual_bitop2_b32 v23, v19, v25 bitop3:0x54
	v_lshrrev_b32_e32 v17, 16, v16
	v_and_b32_e32 v16, 0xffff, v16
	v_or_b32_e32 v22, v18, v24
	v_or_b32_e32 v20, v8, v16
	s_delay_alu instid0(VALU_DEP_4)
	v_or_b32_e32 v21, v1, v17
	s_and_saveexec_b32 s14, vcc_lo
	s_cbranch_execz .LBB267_686
; %bb.685:                              ;   in Loop: Header=BB267_488 Depth=1
	v_cmp_gt_i32_e64 s0, s9, v32
	s_delay_alu instid0(VALU_DEP_1) | instskip(SKIP_1) | instid1(VALU_DEP_1)
	v_cndmask_b32_e64 v20, 0, v25, s0
	v_cmp_gt_i32_e64 s0, s23, v41
	v_cndmask_b32_e64 v21, 0, v24, s0
	v_cmp_gt_i32_e64 s0, s9, v40
	s_delay_alu instid0(VALU_DEP_1) | instskip(SKIP_1) | instid1(VALU_DEP_1)
	v_cndmask_b32_e64 v19, 0, v19, s0
	v_cmp_gt_i32_e64 s0, s23, v39
	v_cndmask_b32_e64 v18, 0, v18, s0
	v_cmp_gt_i32_e64 s0, s9, v38
	s_delay_alu instid0(VALU_DEP_4) | instskip(NEXT) | instid1(VALU_DEP_3)
	v_or_b32_e32 v23, v19, v20
	v_or_b32_e32 v22, v18, v21
	s_delay_alu instid0(VALU_DEP_3) | instskip(SKIP_1) | instid1(VALU_DEP_1)
	v_cndmask_b32_e64 v17, 0, v17, s0
	v_cmp_gt_i32_e64 s0, s23, v37
	v_cndmask_b32_e64 v16, 0, v16, s0
	v_cmp_gt_i32_e64 s0, s9, v36
	s_delay_alu instid0(VALU_DEP_1) | instskip(SKIP_1) | instid1(VALU_DEP_1)
	v_cndmask_b32_e64 v1, 0, v1, s0
	v_cmp_gt_i32_e64 s0, s23, v35
	v_dual_cndmask_b32 v8, 0, v8, s0 :: v_dual_bitop2_b32 v21, v1, v17 bitop3:0x54
	s_delay_alu instid0(VALU_DEP_1)
	v_or_b32_e32 v20, v8, v16
.LBB267_686:                            ;   in Loop: Header=BB267_488 Depth=1
	s_or_b32 exec_lo, exec_lo, s14
	;;#ASMSTART
	v_pk_mul_f16 v1, v47, v23;

	;;#ASMEND
	;;#ASMSTART
	v_pk_mul_f16 v8, v46, v22;

	;;#ASMEND
	;;#ASMSTART
	v_pk_mul_f16 v16, v45, v21;

	;;#ASMEND
	;;#ASMSTART
	v_pk_mul_f16 v17, v44, v20;

	;;#ASMEND
	;;#ASMSTART
	v_pk_add_f16 v1, v1, v8;

	;;#ASMEND
	;;#ASMSTART
	v_pk_add_f16 v1, v1, v16;

	;;#ASMEND
	;; [unrolled: 4-line block ×3, first 2 shown]
	v_and_b32_e32 v8, 0xffff, v1
	v_dual_lshrrev_b32 v1, 16, v1 :: v_dual_mov_b32 v17, 0
	;;#ASMSTART
	v_cvt_f32_f16 v52, v8;
	;;#ASMEND
	;;#ASMSTART
	v_cvt_f32_f16 v53, v1;
	;;#ASMEND
	global_load_b64 v[18:19], v[14:15], off offset:768
	v_mov_b32_e32 v1, 0
	s_mov_b32 s14, exec_lo
	global_load_b32 v16, v1, s[10:11]
	s_wait_loadcnt 0x1
	v_and_b32_e32 v8, 0xff, v18
	s_wait_xcnt 0x0
	s_delay_alu instid0(VALU_DEP_1)
	v_cmpx_ne_u16_e32 0, v8
	s_cbranch_execz .LBB267_694
; %bb.687:                              ;   in Loop: Header=BB267_488 Depth=1
	v_mov_b32_e32 v17, 0x8000
	s_mov_b32 s15, exec_lo
	v_cmpx_ne_u16_e32 0x80, v8
	s_cbranch_execz .LBB267_693
; %bb.688:                              ;   in Loop: Header=BB267_488 Depth=1
	v_and_b32_e32 v20, 0x7f, v18
	v_mov_b32_e32 v17, 0x7c01
	s_mov_b32 s16, exec_lo
	s_delay_alu instid0(VALU_DEP_2)
	v_cmpx_ne_u32_e32 0x7f, v20
	s_cbranch_execz .LBB267_692
; %bb.689:                              ;   in Loop: Header=BB267_488 Depth=1
	v_dual_lshrrev_b32 v17, 3, v20 :: v_dual_bitop2_b32 v8, 7, v18 bitop3:0x40
	s_mov_b32 s17, exec_lo
	v_cmpx_gt_u32_e32 8, v20
; %bb.690:                              ;   in Loop: Header=BB267_488 Depth=1
	s_delay_alu instid0(VALU_DEP_2) | instskip(NEXT) | instid1(VALU_DEP_1)
	v_clz_i32_u32_e32 v8, v8
	v_min_u32_e32 v8, 32, v8
	s_delay_alu instid0(VALU_DEP_1) | instskip(NEXT) | instid1(VALU_DEP_1)
	v_subrev_nc_u32_e32 v17, 28, v8
	v_lshlrev_b64_e32 v[20:21], v17, v[18:19]
	v_sub_nc_u32_e32 v17, 29, v8
	s_delay_alu instid0(VALU_DEP_2)
	v_and_b32_e32 v8, 7, v20
; %bb.691:                              ;   in Loop: Header=BB267_488 Depth=1
	s_or_b32 exec_lo, exec_lo, s17
	s_delay_alu instid0(VALU_DEP_1) | instskip(NEXT) | instid1(VALU_DEP_3)
	v_dual_lshlrev_b32 v20, 8, v18 :: v_dual_lshlrev_b32 v8, 7, v8
	v_lshl_add_u32 v17, v17, 10, 0x2000
	s_delay_alu instid0(VALU_DEP_2) | instskip(NEXT) | instid1(VALU_DEP_2)
	v_and_b32_e32 v20, 0x8000, v20
	v_and_b32_e32 v17, 0xfc00, v17
	s_delay_alu instid0(VALU_DEP_1)
	v_or3_b32 v17, v20, v17, v8
.LBB267_692:                            ;   in Loop: Header=BB267_488 Depth=1
	s_or_b32 exec_lo, exec_lo, s16
.LBB267_693:                            ;   in Loop: Header=BB267_488 Depth=1
	s_delay_alu instid0(SALU_CYCLE_1)
	s_or_b32 exec_lo, exec_lo, s15
.LBB267_694:                            ;   in Loop: Header=BB267_488 Depth=1
	s_delay_alu instid0(SALU_CYCLE_1) | instskip(SKIP_2) | instid1(VALU_DEP_1)
	s_or_b32 exec_lo, exec_lo, s14
	v_lshrrev_b16 v8, 8, v18
	s_mov_b32 s14, exec_lo
	v_cmpx_ne_u16_e32 0, v8
	s_cbranch_execz .LBB267_702
; %bb.695:                              ;   in Loop: Header=BB267_488 Depth=1
	v_bfrev_b32_e32 v1, 1
	s_mov_b32 s15, exec_lo
	v_cmpx_ne_u16_e32 0x80, v8
	s_cbranch_execz .LBB267_701
; %bb.696:                              ;   in Loop: Header=BB267_488 Depth=1
	v_and_b32_e32 v20, 0xffff, v8
	v_mov_b32_e32 v1, 0x7c010000
	s_mov_b32 s16, exec_lo
	s_delay_alu instid0(VALU_DEP_2) | instskip(NEXT) | instid1(VALU_DEP_1)
	v_and_b32_e32 v22, 0x7f, v20
	v_cmpx_ne_u32_e32 0x7f, v22
	s_cbranch_execz .LBB267_700
; %bb.697:                              ;   in Loop: Header=BB267_488 Depth=1
	v_dual_lshrrev_b32 v21, 3, v22 :: v_dual_bitop2_b32 v1, 7, v20 bitop3:0x40
	s_mov_b32 s17, exec_lo
	v_cmpx_gt_u32_e32 8, v22
; %bb.698:                              ;   in Loop: Header=BB267_488 Depth=1
	s_delay_alu instid0(VALU_DEP_2) | instskip(NEXT) | instid1(VALU_DEP_1)
	v_clz_i32_u32_e32 v1, v1
	v_min_u32_e32 v1, 32, v1
	s_delay_alu instid0(VALU_DEP_1) | instskip(NEXT) | instid1(VALU_DEP_1)
	v_subrev_nc_u32_e32 v21, 28, v1
	v_lshlrev_b64_e32 v[22:23], v21, v[8:9]
	s_delay_alu instid0(VALU_DEP_1)
	v_dual_sub_nc_u32 v21, 29, v1 :: v_dual_bitop2_b32 v1, 7, v22 bitop3:0x40
; %bb.699:                              ;   in Loop: Header=BB267_488 Depth=1
	s_or_b32 exec_lo, exec_lo, s17
	s_delay_alu instid0(VALU_DEP_1) | instskip(NEXT) | instid1(VALU_DEP_2)
	v_dual_lshlrev_b32 v8, 8, v20 :: v_dual_lshlrev_b32 v1, 23, v1
	v_lshl_add_u32 v20, v21, 10, 0x2000
	s_delay_alu instid0(VALU_DEP_1) | instskip(NEXT) | instid1(VALU_DEP_1)
	v_and_or_b32 v8, 0x8000, v8, v20
	v_lshl_or_b32 v1, v8, 16, v1
.LBB267_700:                            ;   in Loop: Header=BB267_488 Depth=1
	s_or_b32 exec_lo, exec_lo, s16
.LBB267_701:                            ;   in Loop: Header=BB267_488 Depth=1
	s_delay_alu instid0(SALU_CYCLE_1)
	s_or_b32 exec_lo, exec_lo, s15
.LBB267_702:                            ;   in Loop: Header=BB267_488 Depth=1
	s_delay_alu instid0(SALU_CYCLE_1) | instskip(SKIP_3) | instid1(VALU_DEP_2)
	s_or_b32 exec_lo, exec_lo, s14
	v_dual_lshrrev_b32 v8, 16, v18 :: v_dual_mov_b32 v20, 0
	v_mov_b32_e32 v21, 0
	s_mov_b32 s14, exec_lo
	v_and_b32_e32 v22, 0xff, v8
	s_delay_alu instid0(VALU_DEP_1)
	v_cmpx_ne_u16_e32 0, v22
	s_cbranch_execz .LBB267_710
; %bb.703:                              ;   in Loop: Header=BB267_488 Depth=1
	v_mov_b32_e32 v21, 0x8000
	s_mov_b32 s15, exec_lo
	v_cmpx_ne_u16_e32 0x80, v22
	s_cbranch_execz .LBB267_709
; %bb.704:                              ;   in Loop: Header=BB267_488 Depth=1
	v_bfe_u32 v23, v18, 16, 7
	v_mov_b32_e32 v21, 0x7c01
	s_mov_b32 s16, exec_lo
	s_delay_alu instid0(VALU_DEP_2)
	v_cmpx_ne_u32_e32 0x7f, v23
	s_cbranch_execz .LBB267_708
; %bb.705:                              ;   in Loop: Header=BB267_488 Depth=1
	v_dual_lshrrev_b32 v22, 3, v23 :: v_dual_bitop2_b32 v21, 7, v8 bitop3:0x40
	s_mov_b32 s17, exec_lo
	v_cmpx_gt_u32_e32 8, v23
; %bb.706:                              ;   in Loop: Header=BB267_488 Depth=1
	s_delay_alu instid0(VALU_DEP_2) | instskip(NEXT) | instid1(VALU_DEP_1)
	v_clz_i32_u32_e32 v21, v21
	v_min_u32_e32 v21, 32, v21
	s_delay_alu instid0(VALU_DEP_1) | instskip(NEXT) | instid1(VALU_DEP_1)
	v_subrev_nc_u32_e32 v22, 28, v21
	v_lshlrev_b64_e32 v[24:25], v22, v[8:9]
	s_delay_alu instid0(VALU_DEP_1)
	v_dual_sub_nc_u32 v22, 29, v21 :: v_dual_bitop2_b32 v21, 7, v24 bitop3:0x40
; %bb.707:                              ;   in Loop: Header=BB267_488 Depth=1
	s_or_b32 exec_lo, exec_lo, s17
	s_delay_alu instid0(VALU_DEP_1) | instskip(NEXT) | instid1(VALU_DEP_2)
	v_dual_lshlrev_b32 v8, 8, v8 :: v_dual_lshlrev_b32 v21, 7, v21
	v_lshl_add_u32 v22, v22, 10, 0x2000
	s_delay_alu instid0(VALU_DEP_2) | instskip(NEXT) | instid1(VALU_DEP_2)
	v_and_b32_e32 v8, 0x8000, v8
	v_and_b32_e32 v22, 0xfc00, v22
	s_delay_alu instid0(VALU_DEP_1)
	v_or3_b32 v21, v8, v22, v21
.LBB267_708:                            ;   in Loop: Header=BB267_488 Depth=1
	s_or_b32 exec_lo, exec_lo, s16
.LBB267_709:                            ;   in Loop: Header=BB267_488 Depth=1
	s_delay_alu instid0(SALU_CYCLE_1)
	s_or_b32 exec_lo, exec_lo, s15
.LBB267_710:                            ;   in Loop: Header=BB267_488 Depth=1
	s_delay_alu instid0(SALU_CYCLE_1) | instskip(NEXT) | instid1(SALU_CYCLE_1)
	s_or_b32 exec_lo, exec_lo, s14
	s_mov_b32 s14, exec_lo
	v_cmpx_lt_u32_e32 0xffffff, v18
	s_cbranch_execz .LBB267_718
; %bb.711:                              ;   in Loop: Header=BB267_488 Depth=1
	v_lshrrev_b32_e32 v8, 24, v18
	v_bfrev_b32_e32 v20, 1
	s_mov_b32 s15, exec_lo
	s_delay_alu instid0(VALU_DEP_2)
	v_cmpx_ne_u32_e32 0x80, v8
	s_cbranch_execz .LBB267_717
; %bb.712:                              ;   in Loop: Header=BB267_488 Depth=1
	v_and_b32_e32 v23, 0x7f, v8
	v_mov_b32_e32 v20, 0x7c010000
	s_mov_b32 s16, exec_lo
	s_delay_alu instid0(VALU_DEP_2)
	v_cmpx_ne_u32_e32 0x7f, v23
	s_cbranch_execz .LBB267_716
; %bb.713:                              ;   in Loop: Header=BB267_488 Depth=1
	v_dual_lshrrev_b32 v22, 3, v23 :: v_dual_bitop2_b32 v20, 7, v8 bitop3:0x40
	s_mov_b32 s17, exec_lo
	v_cmpx_gt_u32_e32 8, v23
; %bb.714:                              ;   in Loop: Header=BB267_488 Depth=1
	s_delay_alu instid0(VALU_DEP_2) | instskip(NEXT) | instid1(VALU_DEP_1)
	v_clz_i32_u32_e32 v20, v20
	v_min_u32_e32 v20, 32, v20
	s_delay_alu instid0(VALU_DEP_1) | instskip(NEXT) | instid1(VALU_DEP_1)
	v_subrev_nc_u32_e32 v22, 28, v20
	v_lshlrev_b64_e32 v[24:25], v22, v[8:9]
	v_sub_nc_u32_e32 v22, 29, v20
	s_delay_alu instid0(VALU_DEP_2)
	v_and_b32_e32 v20, 7, v24
; %bb.715:                              ;   in Loop: Header=BB267_488 Depth=1
	s_or_b32 exec_lo, exec_lo, s17
	v_lshlrev_b32_e32 v8, 8, v8
	s_delay_alu instid0(VALU_DEP_3) | instskip(NEXT) | instid1(VALU_DEP_3)
	v_lshl_add_u32 v22, v22, 10, 0x2000
	v_lshlrev_b32_e32 v20, 23, v20
	s_delay_alu instid0(VALU_DEP_2) | instskip(NEXT) | instid1(VALU_DEP_1)
	v_and_or_b32 v8, 0x8000, v8, v22
	v_lshl_or_b32 v20, v8, 16, v20
.LBB267_716:                            ;   in Loop: Header=BB267_488 Depth=1
	s_or_b32 exec_lo, exec_lo, s16
.LBB267_717:                            ;   in Loop: Header=BB267_488 Depth=1
	s_delay_alu instid0(SALU_CYCLE_1)
	s_or_b32 exec_lo, exec_lo, s15
.LBB267_718:                            ;   in Loop: Header=BB267_488 Depth=1
	s_delay_alu instid0(SALU_CYCLE_1) | instskip(SKIP_4) | instid1(VALU_DEP_3)
	s_or_b32 exec_lo, exec_lo, s14
	v_and_b32_e32 v24, 0xff, v19
	v_dual_mov_b32 v8, v19 :: v_dual_mov_b32 v23, 0
	v_mov_b32_e32 v22, 0
	s_mov_b32 s14, exec_lo
	v_cmpx_ne_u16_e32 0, v24
	s_cbranch_execz .LBB267_726
; %bb.719:                              ;   in Loop: Header=BB267_488 Depth=1
	v_mov_b32_e32 v22, 0x8000
	s_mov_b32 s15, exec_lo
	v_cmpx_ne_u16_e32 0x80, v24
	s_cbranch_execz .LBB267_725
; %bb.720:                              ;   in Loop: Header=BB267_488 Depth=1
	v_and_b32_e32 v25, 0x7f, v19
	v_mov_b32_e32 v22, 0x7c01
	s_mov_b32 s16, exec_lo
	s_delay_alu instid0(VALU_DEP_2)
	v_cmpx_ne_u32_e32 0x7f, v25
	s_cbranch_execz .LBB267_724
; %bb.721:                              ;   in Loop: Header=BB267_488 Depth=1
	v_dual_lshrrev_b32 v24, 3, v25 :: v_dual_bitop2_b32 v22, 7, v19 bitop3:0x40
	s_mov_b32 s17, exec_lo
	v_cmpx_gt_u32_e32 8, v25
; %bb.722:                              ;   in Loop: Header=BB267_488 Depth=1
	s_delay_alu instid0(VALU_DEP_2) | instskip(NEXT) | instid1(VALU_DEP_1)
	v_clz_i32_u32_e32 v22, v22
	v_min_u32_e32 v22, 32, v22
	s_delay_alu instid0(VALU_DEP_1) | instskip(NEXT) | instid1(VALU_DEP_1)
	v_subrev_nc_u32_e32 v24, 28, v22
	v_lshlrev_b64_e32 v[42:43], v24, v[8:9]
	v_sub_nc_u32_e32 v24, 29, v22
	s_delay_alu instid0(VALU_DEP_2)
	v_and_b32_e32 v22, 7, v42
; %bb.723:                              ;   in Loop: Header=BB267_488 Depth=1
	s_or_b32 exec_lo, exec_lo, s17
	s_delay_alu instid0(VALU_DEP_1) | instskip(NEXT) | instid1(VALU_DEP_3)
	v_dual_lshlrev_b32 v25, 8, v19 :: v_dual_lshlrev_b32 v22, 7, v22
	v_lshl_add_u32 v24, v24, 10, 0x2000
	s_delay_alu instid0(VALU_DEP_2) | instskip(NEXT) | instid1(VALU_DEP_2)
	v_and_b32_e32 v25, 0x8000, v25
	v_and_b32_e32 v24, 0xfc00, v24
	s_delay_alu instid0(VALU_DEP_1)
	v_or3_b32 v22, v25, v24, v22
.LBB267_724:                            ;   in Loop: Header=BB267_488 Depth=1
	s_or_b32 exec_lo, exec_lo, s16
.LBB267_725:                            ;   in Loop: Header=BB267_488 Depth=1
	s_delay_alu instid0(SALU_CYCLE_1)
	s_or_b32 exec_lo, exec_lo, s15
.LBB267_726:                            ;   in Loop: Header=BB267_488 Depth=1
	s_delay_alu instid0(SALU_CYCLE_1) | instskip(SKIP_3) | instid1(VALU_DEP_2)
	s_or_b32 exec_lo, exec_lo, s14
	v_lshrrev_b16 v8, 8, v8
	v_mov_b32_e32 v24, 0
	s_mov_b32 s14, exec_lo
	v_cmpx_ne_u16_e32 0, v8
	s_cbranch_execz .LBB267_734
; %bb.727:                              ;   in Loop: Header=BB267_488 Depth=1
	v_bfrev_b32_e32 v24, 1
	s_mov_b32 s15, exec_lo
	v_cmpx_ne_u16_e32 0x80, v8
	s_cbranch_execz .LBB267_733
; %bb.728:                              ;   in Loop: Header=BB267_488 Depth=1
	v_and_b32_e32 v25, 0xffff, v8
	v_mov_b32_e32 v24, 0x7c010000
	s_mov_b32 s16, exec_lo
	s_delay_alu instid0(VALU_DEP_2) | instskip(NEXT) | instid1(VALU_DEP_1)
	v_and_b32_e32 v43, 0x7f, v25
	v_cmpx_ne_u32_e32 0x7f, v43
	s_cbranch_execz .LBB267_732
; %bb.729:                              ;   in Loop: Header=BB267_488 Depth=1
	v_dual_lshrrev_b32 v42, 3, v43 :: v_dual_bitop2_b32 v24, 7, v25 bitop3:0x40
	s_mov_b32 s17, exec_lo
	v_cmpx_gt_u32_e32 8, v43
; %bb.730:                              ;   in Loop: Header=BB267_488 Depth=1
	s_delay_alu instid0(VALU_DEP_2) | instskip(NEXT) | instid1(VALU_DEP_1)
	v_clz_i32_u32_e32 v24, v24
	v_min_u32_e32 v24, 32, v24
	s_delay_alu instid0(VALU_DEP_1) | instskip(NEXT) | instid1(VALU_DEP_1)
	v_subrev_nc_u32_e32 v42, 28, v24
	v_lshlrev_b64_e32 v[54:55], v42, v[8:9]
	s_delay_alu instid0(VALU_DEP_1)
	v_dual_sub_nc_u32 v42, 29, v24 :: v_dual_bitop2_b32 v24, 7, v54 bitop3:0x40
; %bb.731:                              ;   in Loop: Header=BB267_488 Depth=1
	s_or_b32 exec_lo, exec_lo, s17
	s_delay_alu instid0(VALU_DEP_1) | instskip(NEXT) | instid1(VALU_DEP_2)
	v_dual_lshlrev_b32 v8, 8, v25 :: v_dual_lshlrev_b32 v24, 23, v24
	v_lshl_add_u32 v25, v42, 10, 0x2000
	s_delay_alu instid0(VALU_DEP_1) | instskip(NEXT) | instid1(VALU_DEP_1)
	v_and_or_b32 v8, 0x8000, v8, v25
	v_lshl_or_b32 v24, v8, 16, v24
.LBB267_732:                            ;   in Loop: Header=BB267_488 Depth=1
	s_or_b32 exec_lo, exec_lo, s16
.LBB267_733:                            ;   in Loop: Header=BB267_488 Depth=1
	s_delay_alu instid0(SALU_CYCLE_1)
	s_or_b32 exec_lo, exec_lo, s15
.LBB267_734:                            ;   in Loop: Header=BB267_488 Depth=1
	s_delay_alu instid0(SALU_CYCLE_1) | instskip(SKIP_2) | instid1(VALU_DEP_1)
	s_or_b32 exec_lo, exec_lo, s14
	v_lshrrev_b32_e32 v8, 16, v19
	s_mov_b32 s14, exec_lo
	v_and_b32_e32 v25, 0xff, v8
	s_delay_alu instid0(VALU_DEP_1)
	v_cmpx_ne_u16_e32 0, v25
	s_cbranch_execz .LBB267_742
; %bb.735:                              ;   in Loop: Header=BB267_488 Depth=1
	v_mov_b32_e32 v23, 0x8000
	s_mov_b32 s15, exec_lo
	v_cmpx_ne_u16_e32 0x80, v25
	s_cbranch_execz .LBB267_741
; %bb.736:                              ;   in Loop: Header=BB267_488 Depth=1
	v_bfe_u32 v42, v19, 16, 7
	v_mov_b32_e32 v23, 0x7c01
	s_mov_b32 s16, exec_lo
	s_delay_alu instid0(VALU_DEP_2)
	v_cmpx_ne_u32_e32 0x7f, v42
	s_cbranch_execz .LBB267_740
; %bb.737:                              ;   in Loop: Header=BB267_488 Depth=1
	v_dual_lshrrev_b32 v25, 3, v42 :: v_dual_bitop2_b32 v23, 7, v8 bitop3:0x40
	s_mov_b32 s17, exec_lo
	v_cmpx_gt_u32_e32 8, v42
; %bb.738:                              ;   in Loop: Header=BB267_488 Depth=1
	s_delay_alu instid0(VALU_DEP_2) | instskip(NEXT) | instid1(VALU_DEP_1)
	v_clz_i32_u32_e32 v23, v23
	v_min_u32_e32 v23, 32, v23
	s_delay_alu instid0(VALU_DEP_1) | instskip(NEXT) | instid1(VALU_DEP_1)
	v_subrev_nc_u32_e32 v25, 28, v23
	v_lshlrev_b64_e32 v[42:43], v25, v[8:9]
	s_delay_alu instid0(VALU_DEP_1)
	v_dual_sub_nc_u32 v25, 29, v23 :: v_dual_bitop2_b32 v23, 7, v42 bitop3:0x40
; %bb.739:                              ;   in Loop: Header=BB267_488 Depth=1
	s_or_b32 exec_lo, exec_lo, s17
	s_delay_alu instid0(VALU_DEP_1) | instskip(NEXT) | instid1(VALU_DEP_2)
	v_dual_lshlrev_b32 v8, 8, v8 :: v_dual_lshlrev_b32 v23, 7, v23
	v_lshl_add_u32 v25, v25, 10, 0x2000
	s_delay_alu instid0(VALU_DEP_2) | instskip(NEXT) | instid1(VALU_DEP_2)
	v_and_b32_e32 v8, 0x8000, v8
	v_and_b32_e32 v25, 0xfc00, v25
	s_delay_alu instid0(VALU_DEP_1)
	v_or3_b32 v23, v8, v25, v23
.LBB267_740:                            ;   in Loop: Header=BB267_488 Depth=1
	s_or_b32 exec_lo, exec_lo, s16
.LBB267_741:                            ;   in Loop: Header=BB267_488 Depth=1
	s_delay_alu instid0(SALU_CYCLE_1)
	s_or_b32 exec_lo, exec_lo, s15
.LBB267_742:                            ;   in Loop: Header=BB267_488 Depth=1
	s_delay_alu instid0(SALU_CYCLE_1)
	s_or_b32 exec_lo, exec_lo, s14
	v_cmp_lt_u64_e64 s0, s[2:3], v[18:19]
	v_mov_b32_e32 v18, 0
	s_and_saveexec_b32 s14, s0
	s_cbranch_execz .LBB267_750
; %bb.743:                              ;   in Loop: Header=BB267_488 Depth=1
	v_lshrrev_b32_e32 v8, 24, v19
	v_bfrev_b32_e32 v18, 1
	s_mov_b32 s15, exec_lo
	s_delay_alu instid0(VALU_DEP_2)
	v_cmpx_ne_u32_e32 0x80, v8
	s_cbranch_execz .LBB267_749
; %bb.744:                              ;   in Loop: Header=BB267_488 Depth=1
	v_and_b32_e32 v25, 0x7f, v8
	v_mov_b32_e32 v18, 0x7c010000
	s_mov_b32 s16, exec_lo
	s_delay_alu instid0(VALU_DEP_2)
	v_cmpx_ne_u32_e32 0x7f, v25
	s_cbranch_execz .LBB267_748
; %bb.745:                              ;   in Loop: Header=BB267_488 Depth=1
	v_dual_lshrrev_b32 v19, 3, v25 :: v_dual_bitop2_b32 v18, 7, v8 bitop3:0x40
	s_mov_b32 s17, exec_lo
	v_cmpx_gt_u32_e32 8, v25
; %bb.746:                              ;   in Loop: Header=BB267_488 Depth=1
	s_delay_alu instid0(VALU_DEP_2) | instskip(NEXT) | instid1(VALU_DEP_1)
	v_clz_i32_u32_e32 v18, v18
	v_min_u32_e32 v25, 32, v18
	s_delay_alu instid0(VALU_DEP_1) | instskip(NEXT) | instid1(VALU_DEP_1)
	v_subrev_nc_u32_e32 v18, 28, v25
	v_lshlrev_b64_e32 v[18:19], v18, v[8:9]
	s_delay_alu instid0(VALU_DEP_1)
	v_dual_sub_nc_u32 v19, 29, v25 :: v_dual_bitop2_b32 v18, 7, v18 bitop3:0x40
; %bb.747:                              ;   in Loop: Header=BB267_488 Depth=1
	s_or_b32 exec_lo, exec_lo, s17
	s_delay_alu instid0(VALU_DEP_1) | instskip(NEXT) | instid1(VALU_DEP_2)
	v_dual_lshlrev_b32 v8, 8, v8 :: v_dual_lshlrev_b32 v18, 23, v18
	v_lshl_add_u32 v19, v19, 10, 0x2000
	s_delay_alu instid0(VALU_DEP_1) | instskip(NEXT) | instid1(VALU_DEP_1)
	v_and_or_b32 v8, 0x8000, v8, v19
	v_lshl_or_b32 v18, v8, 16, v18
.LBB267_748:                            ;   in Loop: Header=BB267_488 Depth=1
	s_or_b32 exec_lo, exec_lo, s16
.LBB267_749:                            ;   in Loop: Header=BB267_488 Depth=1
	s_delay_alu instid0(SALU_CYCLE_1)
	s_or_b32 exec_lo, exec_lo, s15
.LBB267_750:                            ;   in Loop: Header=BB267_488 Depth=1
	s_delay_alu instid0(SALU_CYCLE_1) | instskip(SKIP_3) | instid1(VALU_DEP_3)
	s_or_b32 exec_lo, exec_lo, s14
	v_dual_lshrrev_b32 v8, 16, v1 :: v_dual_lshrrev_b32 v19, 16, v20
	v_or_b32_e32 v1, v1, v17
	v_dual_lshrrev_b32 v25, 16, v18 :: v_dual_bitop2_b32 v17, v20, v21 bitop3:0x54
	v_cvt_f32_f16_e32 v21, v8
	s_delay_alu instid0(VALU_DEP_4) | instskip(SKIP_1) | instid1(VALU_DEP_4)
	v_cvt_f32_f16_e32 v20, v19
	v_dual_lshrrev_b32 v23, 16, v24 :: v_dual_bitop2_b32 v8, v18, v23 bitop3:0x54
	v_cvt_f32_f16_e32 v18, v17
	v_cvt_f32_f16_e32 v19, v1
	s_wait_loadcnt 0x0
	v_pk_mul_f32 v[20:21], v[16:17], v[20:21] op_sel_hi:[0,1]
	v_or_b32_e32 v17, v24, v22
	v_cvt_f32_f16_e32 v23, v23
	v_cvt_f32_f16_e32 v22, v25
	;; [unrolled: 1-line block ×3, first 2 shown]
	v_cvt_pk_f16_f32 v1, v20, v21
	v_cvt_f32_f16_e32 v25, v17
	v_pk_mul_f32 v[18:19], v[16:17], v[18:19] op_sel_hi:[0,1]
	v_pk_mul_f32 v[20:21], v[16:17], v[22:23] op_sel_hi:[0,1]
	s_delay_alu instid0(VALU_DEP_3) | instskip(NEXT) | instid1(VALU_DEP_3)
	v_pk_mul_f32 v[16:17], v[16:17], v[24:25] op_sel_hi:[0,1]
	v_cvt_pk_f16_f32 v8, v18, v19
	v_and_b32_e32 v19, 0xffff0000, v1
	s_delay_alu instid0(VALU_DEP_4)
	v_cvt_pk_f16_f32 v20, v20, v21
	v_lshlrev_b32_e32 v18, 16, v1
	v_cvt_pk_f16_f32 v16, v16, v17
	v_lshrrev_b32_e32 v25, 16, v8
	v_and_b32_e32 v24, 0xffff, v8
	v_and_b32_e32 v1, 0xffff0000, v20
	s_delay_alu instid0(VALU_DEP_3) | instskip(SKIP_3) | instid1(VALU_DEP_2)
	v_dual_lshlrev_b32 v8, 16, v20 :: v_dual_bitop2_b32 v23, v19, v25 bitop3:0x54
	v_lshrrev_b32_e32 v17, 16, v16
	v_and_b32_e32 v16, 0xffff, v16
	v_or_b32_e32 v22, v18, v24
	v_or_b32_e32 v20, v8, v16
	s_delay_alu instid0(VALU_DEP_4)
	v_or_b32_e32 v21, v1, v17
	s_and_saveexec_b32 s14, vcc_lo
	s_cbranch_execz .LBB267_752
; %bb.751:                              ;   in Loop: Header=BB267_488 Depth=1
	v_cmp_gt_i32_e64 s0, s9, v32
	s_delay_alu instid0(VALU_DEP_1) | instskip(SKIP_1) | instid1(VALU_DEP_1)
	v_cndmask_b32_e64 v20, 0, v25, s0
	v_cmp_gt_i32_e64 s0, s23, v41
	v_cndmask_b32_e64 v21, 0, v24, s0
	v_cmp_gt_i32_e64 s0, s9, v40
	s_delay_alu instid0(VALU_DEP_1) | instskip(SKIP_1) | instid1(VALU_DEP_1)
	v_cndmask_b32_e64 v19, 0, v19, s0
	v_cmp_gt_i32_e64 s0, s23, v39
	v_cndmask_b32_e64 v18, 0, v18, s0
	v_cmp_gt_i32_e64 s0, s9, v38
	s_delay_alu instid0(VALU_DEP_4) | instskip(NEXT) | instid1(VALU_DEP_3)
	v_or_b32_e32 v23, v19, v20
	v_or_b32_e32 v22, v18, v21
	s_delay_alu instid0(VALU_DEP_3) | instskip(SKIP_1) | instid1(VALU_DEP_1)
	v_cndmask_b32_e64 v17, 0, v17, s0
	v_cmp_gt_i32_e64 s0, s23, v37
	v_cndmask_b32_e64 v16, 0, v16, s0
	v_cmp_gt_i32_e64 s0, s9, v36
	s_delay_alu instid0(VALU_DEP_1) | instskip(SKIP_1) | instid1(VALU_DEP_1)
	v_cndmask_b32_e64 v1, 0, v1, s0
	v_cmp_gt_i32_e64 s0, s23, v35
	v_dual_cndmask_b32 v8, 0, v8, s0 :: v_dual_bitop2_b32 v21, v1, v17 bitop3:0x54
	s_delay_alu instid0(VALU_DEP_1)
	v_or_b32_e32 v20, v8, v16
.LBB267_752:                            ;   in Loop: Header=BB267_488 Depth=1
	s_or_b32 exec_lo, exec_lo, s14
	;;#ASMSTART
	v_pk_mul_f16 v1, v47, v23;

	;;#ASMEND
	;;#ASMSTART
	v_pk_mul_f16 v8, v46, v22;

	;;#ASMEND
	;; [unrolled: 4-line block ×4, first 2 shown]
	;;#ASMSTART
	v_pk_add_f16 v1, v1, v8;

	;;#ASMEND
	;;#ASMSTART
	v_pk_add_f16 v1, v1, v16;

	;;#ASMEND
	;; [unrolled: 4-line block ×3, first 2 shown]
	v_and_b32_e32 v8, 0xffff, v1
	v_dual_lshrrev_b32 v1, 16, v1 :: v_dual_mov_b32 v17, 0
	;;#ASMSTART
	v_cvt_f32_f16 v54, v8;
	;;#ASMEND
	;;#ASMSTART
	v_cvt_f32_f16 v55, v1;
	;;#ASMEND
	global_load_b64 v[18:19], v[14:15], off offset:1024
	v_mov_b32_e32 v1, 0
	s_mov_b32 s14, exec_lo
	global_load_b32 v16, v1, s[10:11]
	s_wait_loadcnt 0x1
	v_and_b32_e32 v8, 0xff, v18
	s_wait_xcnt 0x0
	s_delay_alu instid0(VALU_DEP_1)
	v_cmpx_ne_u16_e32 0, v8
	s_cbranch_execz .LBB267_760
; %bb.753:                              ;   in Loop: Header=BB267_488 Depth=1
	v_mov_b32_e32 v17, 0x8000
	s_mov_b32 s15, exec_lo
	v_cmpx_ne_u16_e32 0x80, v8
	s_cbranch_execz .LBB267_759
; %bb.754:                              ;   in Loop: Header=BB267_488 Depth=1
	v_and_b32_e32 v20, 0x7f, v18
	v_mov_b32_e32 v17, 0x7c01
	s_mov_b32 s16, exec_lo
	s_delay_alu instid0(VALU_DEP_2)
	v_cmpx_ne_u32_e32 0x7f, v20
	s_cbranch_execz .LBB267_758
; %bb.755:                              ;   in Loop: Header=BB267_488 Depth=1
	v_dual_lshrrev_b32 v17, 3, v20 :: v_dual_bitop2_b32 v8, 7, v18 bitop3:0x40
	s_mov_b32 s17, exec_lo
	v_cmpx_gt_u32_e32 8, v20
; %bb.756:                              ;   in Loop: Header=BB267_488 Depth=1
	s_delay_alu instid0(VALU_DEP_2) | instskip(NEXT) | instid1(VALU_DEP_1)
	v_clz_i32_u32_e32 v8, v8
	v_min_u32_e32 v8, 32, v8
	s_delay_alu instid0(VALU_DEP_1) | instskip(NEXT) | instid1(VALU_DEP_1)
	v_subrev_nc_u32_e32 v17, 28, v8
	v_lshlrev_b64_e32 v[20:21], v17, v[18:19]
	v_sub_nc_u32_e32 v17, 29, v8
	s_delay_alu instid0(VALU_DEP_2)
	v_and_b32_e32 v8, 7, v20
; %bb.757:                              ;   in Loop: Header=BB267_488 Depth=1
	s_or_b32 exec_lo, exec_lo, s17
	s_delay_alu instid0(VALU_DEP_1) | instskip(NEXT) | instid1(VALU_DEP_3)
	v_dual_lshlrev_b32 v20, 8, v18 :: v_dual_lshlrev_b32 v8, 7, v8
	v_lshl_add_u32 v17, v17, 10, 0x2000
	s_delay_alu instid0(VALU_DEP_2) | instskip(NEXT) | instid1(VALU_DEP_2)
	v_and_b32_e32 v20, 0x8000, v20
	v_and_b32_e32 v17, 0xfc00, v17
	s_delay_alu instid0(VALU_DEP_1)
	v_or3_b32 v17, v20, v17, v8
.LBB267_758:                            ;   in Loop: Header=BB267_488 Depth=1
	s_or_b32 exec_lo, exec_lo, s16
.LBB267_759:                            ;   in Loop: Header=BB267_488 Depth=1
	s_delay_alu instid0(SALU_CYCLE_1)
	s_or_b32 exec_lo, exec_lo, s15
.LBB267_760:                            ;   in Loop: Header=BB267_488 Depth=1
	s_delay_alu instid0(SALU_CYCLE_1) | instskip(SKIP_2) | instid1(VALU_DEP_1)
	s_or_b32 exec_lo, exec_lo, s14
	v_lshrrev_b16 v8, 8, v18
	s_mov_b32 s14, exec_lo
	v_cmpx_ne_u16_e32 0, v8
	s_cbranch_execz .LBB267_768
; %bb.761:                              ;   in Loop: Header=BB267_488 Depth=1
	v_bfrev_b32_e32 v1, 1
	s_mov_b32 s15, exec_lo
	v_cmpx_ne_u16_e32 0x80, v8
	s_cbranch_execz .LBB267_767
; %bb.762:                              ;   in Loop: Header=BB267_488 Depth=1
	v_and_b32_e32 v20, 0xffff, v8
	v_mov_b32_e32 v1, 0x7c010000
	s_mov_b32 s16, exec_lo
	s_delay_alu instid0(VALU_DEP_2) | instskip(NEXT) | instid1(VALU_DEP_1)
	v_and_b32_e32 v22, 0x7f, v20
	v_cmpx_ne_u32_e32 0x7f, v22
	s_cbranch_execz .LBB267_766
; %bb.763:                              ;   in Loop: Header=BB267_488 Depth=1
	v_dual_lshrrev_b32 v21, 3, v22 :: v_dual_bitop2_b32 v1, 7, v20 bitop3:0x40
	s_mov_b32 s17, exec_lo
	v_cmpx_gt_u32_e32 8, v22
; %bb.764:                              ;   in Loop: Header=BB267_488 Depth=1
	s_delay_alu instid0(VALU_DEP_2) | instskip(NEXT) | instid1(VALU_DEP_1)
	v_clz_i32_u32_e32 v1, v1
	v_min_u32_e32 v1, 32, v1
	s_delay_alu instid0(VALU_DEP_1) | instskip(NEXT) | instid1(VALU_DEP_1)
	v_subrev_nc_u32_e32 v21, 28, v1
	v_lshlrev_b64_e32 v[22:23], v21, v[8:9]
	s_delay_alu instid0(VALU_DEP_1)
	v_dual_sub_nc_u32 v21, 29, v1 :: v_dual_bitop2_b32 v1, 7, v22 bitop3:0x40
; %bb.765:                              ;   in Loop: Header=BB267_488 Depth=1
	s_or_b32 exec_lo, exec_lo, s17
	s_delay_alu instid0(VALU_DEP_1) | instskip(NEXT) | instid1(VALU_DEP_2)
	v_dual_lshlrev_b32 v8, 8, v20 :: v_dual_lshlrev_b32 v1, 23, v1
	v_lshl_add_u32 v20, v21, 10, 0x2000
	s_delay_alu instid0(VALU_DEP_1) | instskip(NEXT) | instid1(VALU_DEP_1)
	v_and_or_b32 v8, 0x8000, v8, v20
	v_lshl_or_b32 v1, v8, 16, v1
.LBB267_766:                            ;   in Loop: Header=BB267_488 Depth=1
	s_or_b32 exec_lo, exec_lo, s16
.LBB267_767:                            ;   in Loop: Header=BB267_488 Depth=1
	s_delay_alu instid0(SALU_CYCLE_1)
	s_or_b32 exec_lo, exec_lo, s15
.LBB267_768:                            ;   in Loop: Header=BB267_488 Depth=1
	s_delay_alu instid0(SALU_CYCLE_1) | instskip(SKIP_3) | instid1(VALU_DEP_2)
	s_or_b32 exec_lo, exec_lo, s14
	v_dual_lshrrev_b32 v8, 16, v18 :: v_dual_mov_b32 v20, 0
	v_mov_b32_e32 v21, 0
	s_mov_b32 s14, exec_lo
	v_and_b32_e32 v22, 0xff, v8
	s_delay_alu instid0(VALU_DEP_1)
	v_cmpx_ne_u16_e32 0, v22
	s_cbranch_execz .LBB267_776
; %bb.769:                              ;   in Loop: Header=BB267_488 Depth=1
	v_mov_b32_e32 v21, 0x8000
	s_mov_b32 s15, exec_lo
	v_cmpx_ne_u16_e32 0x80, v22
	s_cbranch_execz .LBB267_775
; %bb.770:                              ;   in Loop: Header=BB267_488 Depth=1
	v_bfe_u32 v23, v18, 16, 7
	v_mov_b32_e32 v21, 0x7c01
	s_mov_b32 s16, exec_lo
	s_delay_alu instid0(VALU_DEP_2)
	v_cmpx_ne_u32_e32 0x7f, v23
	s_cbranch_execz .LBB267_774
; %bb.771:                              ;   in Loop: Header=BB267_488 Depth=1
	v_dual_lshrrev_b32 v22, 3, v23 :: v_dual_bitop2_b32 v21, 7, v8 bitop3:0x40
	s_mov_b32 s17, exec_lo
	v_cmpx_gt_u32_e32 8, v23
; %bb.772:                              ;   in Loop: Header=BB267_488 Depth=1
	s_delay_alu instid0(VALU_DEP_2) | instskip(NEXT) | instid1(VALU_DEP_1)
	v_clz_i32_u32_e32 v21, v21
	v_min_u32_e32 v21, 32, v21
	s_delay_alu instid0(VALU_DEP_1) | instskip(NEXT) | instid1(VALU_DEP_1)
	v_subrev_nc_u32_e32 v22, 28, v21
	v_lshlrev_b64_e32 v[24:25], v22, v[8:9]
	s_delay_alu instid0(VALU_DEP_1)
	v_dual_sub_nc_u32 v22, 29, v21 :: v_dual_bitop2_b32 v21, 7, v24 bitop3:0x40
; %bb.773:                              ;   in Loop: Header=BB267_488 Depth=1
	s_or_b32 exec_lo, exec_lo, s17
	s_delay_alu instid0(VALU_DEP_1) | instskip(NEXT) | instid1(VALU_DEP_2)
	v_dual_lshlrev_b32 v8, 8, v8 :: v_dual_lshlrev_b32 v21, 7, v21
	v_lshl_add_u32 v22, v22, 10, 0x2000
	s_delay_alu instid0(VALU_DEP_2) | instskip(NEXT) | instid1(VALU_DEP_2)
	v_and_b32_e32 v8, 0x8000, v8
	v_and_b32_e32 v22, 0xfc00, v22
	s_delay_alu instid0(VALU_DEP_1)
	v_or3_b32 v21, v8, v22, v21
.LBB267_774:                            ;   in Loop: Header=BB267_488 Depth=1
	s_or_b32 exec_lo, exec_lo, s16
.LBB267_775:                            ;   in Loop: Header=BB267_488 Depth=1
	s_delay_alu instid0(SALU_CYCLE_1)
	s_or_b32 exec_lo, exec_lo, s15
.LBB267_776:                            ;   in Loop: Header=BB267_488 Depth=1
	s_delay_alu instid0(SALU_CYCLE_1) | instskip(NEXT) | instid1(SALU_CYCLE_1)
	s_or_b32 exec_lo, exec_lo, s14
	s_mov_b32 s14, exec_lo
	v_cmpx_lt_u32_e32 0xffffff, v18
	s_cbranch_execz .LBB267_784
; %bb.777:                              ;   in Loop: Header=BB267_488 Depth=1
	v_lshrrev_b32_e32 v8, 24, v18
	v_bfrev_b32_e32 v20, 1
	s_mov_b32 s15, exec_lo
	s_delay_alu instid0(VALU_DEP_2)
	v_cmpx_ne_u32_e32 0x80, v8
	s_cbranch_execz .LBB267_783
; %bb.778:                              ;   in Loop: Header=BB267_488 Depth=1
	v_and_b32_e32 v23, 0x7f, v8
	v_mov_b32_e32 v20, 0x7c010000
	s_mov_b32 s16, exec_lo
	s_delay_alu instid0(VALU_DEP_2)
	v_cmpx_ne_u32_e32 0x7f, v23
	s_cbranch_execz .LBB267_782
; %bb.779:                              ;   in Loop: Header=BB267_488 Depth=1
	v_dual_lshrrev_b32 v22, 3, v23 :: v_dual_bitop2_b32 v20, 7, v8 bitop3:0x40
	s_mov_b32 s17, exec_lo
	v_cmpx_gt_u32_e32 8, v23
; %bb.780:                              ;   in Loop: Header=BB267_488 Depth=1
	s_delay_alu instid0(VALU_DEP_2) | instskip(NEXT) | instid1(VALU_DEP_1)
	v_clz_i32_u32_e32 v20, v20
	v_min_u32_e32 v20, 32, v20
	s_delay_alu instid0(VALU_DEP_1) | instskip(NEXT) | instid1(VALU_DEP_1)
	v_subrev_nc_u32_e32 v22, 28, v20
	v_lshlrev_b64_e32 v[24:25], v22, v[8:9]
	v_sub_nc_u32_e32 v22, 29, v20
	s_delay_alu instid0(VALU_DEP_2)
	v_and_b32_e32 v20, 7, v24
; %bb.781:                              ;   in Loop: Header=BB267_488 Depth=1
	s_or_b32 exec_lo, exec_lo, s17
	v_lshlrev_b32_e32 v8, 8, v8
	s_delay_alu instid0(VALU_DEP_3) | instskip(NEXT) | instid1(VALU_DEP_3)
	v_lshl_add_u32 v22, v22, 10, 0x2000
	v_lshlrev_b32_e32 v20, 23, v20
	s_delay_alu instid0(VALU_DEP_2) | instskip(NEXT) | instid1(VALU_DEP_1)
	v_and_or_b32 v8, 0x8000, v8, v22
	v_lshl_or_b32 v20, v8, 16, v20
.LBB267_782:                            ;   in Loop: Header=BB267_488 Depth=1
	s_or_b32 exec_lo, exec_lo, s16
.LBB267_783:                            ;   in Loop: Header=BB267_488 Depth=1
	s_delay_alu instid0(SALU_CYCLE_1)
	s_or_b32 exec_lo, exec_lo, s15
.LBB267_784:                            ;   in Loop: Header=BB267_488 Depth=1
	s_delay_alu instid0(SALU_CYCLE_1) | instskip(SKIP_4) | instid1(VALU_DEP_3)
	s_or_b32 exec_lo, exec_lo, s14
	v_and_b32_e32 v24, 0xff, v19
	v_dual_mov_b32 v8, v19 :: v_dual_mov_b32 v23, 0
	v_mov_b32_e32 v22, 0
	s_mov_b32 s14, exec_lo
	v_cmpx_ne_u16_e32 0, v24
	s_cbranch_execz .LBB267_792
; %bb.785:                              ;   in Loop: Header=BB267_488 Depth=1
	v_mov_b32_e32 v22, 0x8000
	s_mov_b32 s15, exec_lo
	v_cmpx_ne_u16_e32 0x80, v24
	s_cbranch_execz .LBB267_791
; %bb.786:                              ;   in Loop: Header=BB267_488 Depth=1
	v_and_b32_e32 v25, 0x7f, v19
	v_mov_b32_e32 v22, 0x7c01
	s_mov_b32 s16, exec_lo
	s_delay_alu instid0(VALU_DEP_2)
	v_cmpx_ne_u32_e32 0x7f, v25
	s_cbranch_execz .LBB267_790
; %bb.787:                              ;   in Loop: Header=BB267_488 Depth=1
	v_dual_lshrrev_b32 v24, 3, v25 :: v_dual_bitop2_b32 v22, 7, v19 bitop3:0x40
	s_mov_b32 s17, exec_lo
	v_cmpx_gt_u32_e32 8, v25
; %bb.788:                              ;   in Loop: Header=BB267_488 Depth=1
	s_delay_alu instid0(VALU_DEP_2) | instskip(NEXT) | instid1(VALU_DEP_1)
	v_clz_i32_u32_e32 v22, v22
	v_min_u32_e32 v22, 32, v22
	s_delay_alu instid0(VALU_DEP_1) | instskip(NEXT) | instid1(VALU_DEP_1)
	v_subrev_nc_u32_e32 v24, 28, v22
	v_lshlrev_b64_e32 v[42:43], v24, v[8:9]
	v_sub_nc_u32_e32 v24, 29, v22
	s_delay_alu instid0(VALU_DEP_2)
	v_and_b32_e32 v22, 7, v42
; %bb.789:                              ;   in Loop: Header=BB267_488 Depth=1
	s_or_b32 exec_lo, exec_lo, s17
	s_delay_alu instid0(VALU_DEP_1) | instskip(NEXT) | instid1(VALU_DEP_3)
	v_dual_lshlrev_b32 v25, 8, v19 :: v_dual_lshlrev_b32 v22, 7, v22
	v_lshl_add_u32 v24, v24, 10, 0x2000
	s_delay_alu instid0(VALU_DEP_2) | instskip(NEXT) | instid1(VALU_DEP_2)
	v_and_b32_e32 v25, 0x8000, v25
	v_and_b32_e32 v24, 0xfc00, v24
	s_delay_alu instid0(VALU_DEP_1)
	v_or3_b32 v22, v25, v24, v22
.LBB267_790:                            ;   in Loop: Header=BB267_488 Depth=1
	s_or_b32 exec_lo, exec_lo, s16
.LBB267_791:                            ;   in Loop: Header=BB267_488 Depth=1
	s_delay_alu instid0(SALU_CYCLE_1)
	s_or_b32 exec_lo, exec_lo, s15
.LBB267_792:                            ;   in Loop: Header=BB267_488 Depth=1
	s_delay_alu instid0(SALU_CYCLE_1) | instskip(SKIP_3) | instid1(VALU_DEP_2)
	s_or_b32 exec_lo, exec_lo, s14
	v_lshrrev_b16 v8, 8, v8
	v_mov_b32_e32 v24, 0
	s_mov_b32 s14, exec_lo
	v_cmpx_ne_u16_e32 0, v8
	s_cbranch_execz .LBB267_800
; %bb.793:                              ;   in Loop: Header=BB267_488 Depth=1
	v_bfrev_b32_e32 v24, 1
	s_mov_b32 s15, exec_lo
	v_cmpx_ne_u16_e32 0x80, v8
	s_cbranch_execz .LBB267_799
; %bb.794:                              ;   in Loop: Header=BB267_488 Depth=1
	v_and_b32_e32 v25, 0xffff, v8
	v_mov_b32_e32 v24, 0x7c010000
	s_mov_b32 s16, exec_lo
	s_delay_alu instid0(VALU_DEP_2) | instskip(NEXT) | instid1(VALU_DEP_1)
	v_and_b32_e32 v43, 0x7f, v25
	v_cmpx_ne_u32_e32 0x7f, v43
	s_cbranch_execz .LBB267_798
; %bb.795:                              ;   in Loop: Header=BB267_488 Depth=1
	v_dual_lshrrev_b32 v42, 3, v43 :: v_dual_bitop2_b32 v24, 7, v25 bitop3:0x40
	s_mov_b32 s17, exec_lo
	v_cmpx_gt_u32_e32 8, v43
; %bb.796:                              ;   in Loop: Header=BB267_488 Depth=1
	s_delay_alu instid0(VALU_DEP_2) | instskip(NEXT) | instid1(VALU_DEP_1)
	v_clz_i32_u32_e32 v24, v24
	v_min_u32_e32 v24, 32, v24
	s_delay_alu instid0(VALU_DEP_1) | instskip(NEXT) | instid1(VALU_DEP_1)
	v_subrev_nc_u32_e32 v42, 28, v24
	v_lshlrev_b64_e32 v[56:57], v42, v[8:9]
	v_sub_nc_u32_e32 v42, 29, v24
	s_delay_alu instid0(VALU_DEP_2)
	v_and_b32_e32 v24, 7, v56
; %bb.797:                              ;   in Loop: Header=BB267_488 Depth=1
	s_or_b32 exec_lo, exec_lo, s17
	s_delay_alu instid0(VALU_DEP_1) | instskip(NEXT) | instid1(VALU_DEP_3)
	v_dual_lshlrev_b32 v8, 8, v25 :: v_dual_lshlrev_b32 v24, 23, v24
	v_lshl_add_u32 v25, v42, 10, 0x2000
	s_delay_alu instid0(VALU_DEP_1) | instskip(NEXT) | instid1(VALU_DEP_1)
	v_and_or_b32 v8, 0x8000, v8, v25
	v_lshl_or_b32 v24, v8, 16, v24
.LBB267_798:                            ;   in Loop: Header=BB267_488 Depth=1
	s_or_b32 exec_lo, exec_lo, s16
.LBB267_799:                            ;   in Loop: Header=BB267_488 Depth=1
	s_delay_alu instid0(SALU_CYCLE_1)
	s_or_b32 exec_lo, exec_lo, s15
.LBB267_800:                            ;   in Loop: Header=BB267_488 Depth=1
	s_delay_alu instid0(SALU_CYCLE_1) | instskip(SKIP_2) | instid1(VALU_DEP_1)
	s_or_b32 exec_lo, exec_lo, s14
	v_lshrrev_b32_e32 v8, 16, v19
	s_mov_b32 s14, exec_lo
	v_and_b32_e32 v25, 0xff, v8
	s_delay_alu instid0(VALU_DEP_1)
	v_cmpx_ne_u16_e32 0, v25
	s_cbranch_execz .LBB267_808
; %bb.801:                              ;   in Loop: Header=BB267_488 Depth=1
	v_mov_b32_e32 v23, 0x8000
	s_mov_b32 s15, exec_lo
	v_cmpx_ne_u16_e32 0x80, v25
	s_cbranch_execz .LBB267_807
; %bb.802:                              ;   in Loop: Header=BB267_488 Depth=1
	v_bfe_u32 v42, v19, 16, 7
	v_mov_b32_e32 v23, 0x7c01
	s_mov_b32 s16, exec_lo
	s_delay_alu instid0(VALU_DEP_2)
	v_cmpx_ne_u32_e32 0x7f, v42
	s_cbranch_execz .LBB267_806
; %bb.803:                              ;   in Loop: Header=BB267_488 Depth=1
	v_dual_lshrrev_b32 v25, 3, v42 :: v_dual_bitop2_b32 v23, 7, v8 bitop3:0x40
	s_mov_b32 s17, exec_lo
	v_cmpx_gt_u32_e32 8, v42
; %bb.804:                              ;   in Loop: Header=BB267_488 Depth=1
	s_delay_alu instid0(VALU_DEP_2) | instskip(NEXT) | instid1(VALU_DEP_1)
	v_clz_i32_u32_e32 v23, v23
	v_min_u32_e32 v23, 32, v23
	s_delay_alu instid0(VALU_DEP_1) | instskip(NEXT) | instid1(VALU_DEP_1)
	v_subrev_nc_u32_e32 v25, 28, v23
	v_lshlrev_b64_e32 v[42:43], v25, v[8:9]
	s_delay_alu instid0(VALU_DEP_1)
	v_dual_sub_nc_u32 v25, 29, v23 :: v_dual_bitop2_b32 v23, 7, v42 bitop3:0x40
; %bb.805:                              ;   in Loop: Header=BB267_488 Depth=1
	s_or_b32 exec_lo, exec_lo, s17
	s_delay_alu instid0(VALU_DEP_1) | instskip(NEXT) | instid1(VALU_DEP_2)
	v_dual_lshlrev_b32 v8, 8, v8 :: v_dual_lshlrev_b32 v23, 7, v23
	v_lshl_add_u32 v25, v25, 10, 0x2000
	s_delay_alu instid0(VALU_DEP_2) | instskip(NEXT) | instid1(VALU_DEP_2)
	v_and_b32_e32 v8, 0x8000, v8
	v_and_b32_e32 v25, 0xfc00, v25
	s_delay_alu instid0(VALU_DEP_1)
	v_or3_b32 v23, v8, v25, v23
.LBB267_806:                            ;   in Loop: Header=BB267_488 Depth=1
	s_or_b32 exec_lo, exec_lo, s16
.LBB267_807:                            ;   in Loop: Header=BB267_488 Depth=1
	s_delay_alu instid0(SALU_CYCLE_1)
	s_or_b32 exec_lo, exec_lo, s15
.LBB267_808:                            ;   in Loop: Header=BB267_488 Depth=1
	s_delay_alu instid0(SALU_CYCLE_1)
	s_or_b32 exec_lo, exec_lo, s14
	v_cmp_lt_u64_e64 s0, s[2:3], v[18:19]
	v_mov_b32_e32 v18, 0
	s_and_saveexec_b32 s14, s0
	s_cbranch_execz .LBB267_816
; %bb.809:                              ;   in Loop: Header=BB267_488 Depth=1
	v_lshrrev_b32_e32 v8, 24, v19
	v_bfrev_b32_e32 v18, 1
	s_mov_b32 s15, exec_lo
	s_delay_alu instid0(VALU_DEP_2)
	v_cmpx_ne_u32_e32 0x80, v8
	s_cbranch_execz .LBB267_815
; %bb.810:                              ;   in Loop: Header=BB267_488 Depth=1
	v_and_b32_e32 v25, 0x7f, v8
	v_mov_b32_e32 v18, 0x7c010000
	s_mov_b32 s16, exec_lo
	s_delay_alu instid0(VALU_DEP_2)
	v_cmpx_ne_u32_e32 0x7f, v25
	s_cbranch_execz .LBB267_814
; %bb.811:                              ;   in Loop: Header=BB267_488 Depth=1
	v_dual_lshrrev_b32 v19, 3, v25 :: v_dual_bitop2_b32 v18, 7, v8 bitop3:0x40
	s_mov_b32 s17, exec_lo
	v_cmpx_gt_u32_e32 8, v25
; %bb.812:                              ;   in Loop: Header=BB267_488 Depth=1
	s_delay_alu instid0(VALU_DEP_2) | instskip(NEXT) | instid1(VALU_DEP_1)
	v_clz_i32_u32_e32 v18, v18
	v_min_u32_e32 v25, 32, v18
	s_delay_alu instid0(VALU_DEP_1) | instskip(NEXT) | instid1(VALU_DEP_1)
	v_subrev_nc_u32_e32 v18, 28, v25
	v_lshlrev_b64_e32 v[18:19], v18, v[8:9]
	s_delay_alu instid0(VALU_DEP_1)
	v_dual_sub_nc_u32 v19, 29, v25 :: v_dual_bitop2_b32 v18, 7, v18 bitop3:0x40
; %bb.813:                              ;   in Loop: Header=BB267_488 Depth=1
	s_or_b32 exec_lo, exec_lo, s17
	s_delay_alu instid0(VALU_DEP_1) | instskip(NEXT) | instid1(VALU_DEP_2)
	v_dual_lshlrev_b32 v8, 8, v8 :: v_dual_lshlrev_b32 v18, 23, v18
	v_lshl_add_u32 v19, v19, 10, 0x2000
	s_delay_alu instid0(VALU_DEP_1) | instskip(NEXT) | instid1(VALU_DEP_1)
	v_and_or_b32 v8, 0x8000, v8, v19
	v_lshl_or_b32 v18, v8, 16, v18
.LBB267_814:                            ;   in Loop: Header=BB267_488 Depth=1
	s_or_b32 exec_lo, exec_lo, s16
.LBB267_815:                            ;   in Loop: Header=BB267_488 Depth=1
	s_delay_alu instid0(SALU_CYCLE_1)
	s_or_b32 exec_lo, exec_lo, s15
.LBB267_816:                            ;   in Loop: Header=BB267_488 Depth=1
	s_delay_alu instid0(SALU_CYCLE_1) | instskip(SKIP_3) | instid1(VALU_DEP_3)
	s_or_b32 exec_lo, exec_lo, s14
	v_dual_lshrrev_b32 v8, 16, v1 :: v_dual_lshrrev_b32 v19, 16, v20
	v_or_b32_e32 v1, v1, v17
	v_dual_lshrrev_b32 v25, 16, v18 :: v_dual_bitop2_b32 v17, v20, v21 bitop3:0x54
	v_cvt_f32_f16_e32 v21, v8
	s_delay_alu instid0(VALU_DEP_4) | instskip(SKIP_1) | instid1(VALU_DEP_4)
	v_cvt_f32_f16_e32 v20, v19
	v_dual_lshrrev_b32 v23, 16, v24 :: v_dual_bitop2_b32 v8, v18, v23 bitop3:0x54
	v_cvt_f32_f16_e32 v18, v17
	v_cvt_f32_f16_e32 v19, v1
	s_wait_loadcnt 0x0
	v_pk_mul_f32 v[20:21], v[16:17], v[20:21] op_sel_hi:[0,1]
	v_or_b32_e32 v17, v24, v22
	v_cvt_f32_f16_e32 v23, v23
	v_cvt_f32_f16_e32 v22, v25
	;; [unrolled: 1-line block ×3, first 2 shown]
	v_cvt_pk_f16_f32 v1, v20, v21
	v_cvt_f32_f16_e32 v25, v17
	v_pk_mul_f32 v[18:19], v[16:17], v[18:19] op_sel_hi:[0,1]
	v_pk_mul_f32 v[20:21], v[16:17], v[22:23] op_sel_hi:[0,1]
	s_delay_alu instid0(VALU_DEP_3) | instskip(NEXT) | instid1(VALU_DEP_3)
	v_pk_mul_f32 v[16:17], v[16:17], v[24:25] op_sel_hi:[0,1]
	v_cvt_pk_f16_f32 v8, v18, v19
	v_and_b32_e32 v19, 0xffff0000, v1
	s_delay_alu instid0(VALU_DEP_4)
	v_cvt_pk_f16_f32 v20, v20, v21
	v_lshlrev_b32_e32 v18, 16, v1
	v_cvt_pk_f16_f32 v16, v16, v17
	v_lshrrev_b32_e32 v25, 16, v8
	v_and_b32_e32 v24, 0xffff, v8
	v_and_b32_e32 v1, 0xffff0000, v20
	s_delay_alu instid0(VALU_DEP_3) | instskip(SKIP_3) | instid1(VALU_DEP_2)
	v_dual_lshlrev_b32 v8, 16, v20 :: v_dual_bitop2_b32 v23, v19, v25 bitop3:0x54
	v_lshrrev_b32_e32 v17, 16, v16
	v_and_b32_e32 v16, 0xffff, v16
	v_or_b32_e32 v22, v18, v24
	v_or_b32_e32 v20, v8, v16
	s_delay_alu instid0(VALU_DEP_4)
	v_or_b32_e32 v21, v1, v17
	s_and_saveexec_b32 s14, vcc_lo
	s_cbranch_execz .LBB267_818
; %bb.817:                              ;   in Loop: Header=BB267_488 Depth=1
	v_cmp_gt_i32_e64 s0, s9, v32
	s_delay_alu instid0(VALU_DEP_1) | instskip(SKIP_1) | instid1(VALU_DEP_1)
	v_cndmask_b32_e64 v20, 0, v25, s0
	v_cmp_gt_i32_e64 s0, s23, v41
	v_cndmask_b32_e64 v21, 0, v24, s0
	v_cmp_gt_i32_e64 s0, s9, v40
	s_delay_alu instid0(VALU_DEP_1) | instskip(SKIP_1) | instid1(VALU_DEP_1)
	v_cndmask_b32_e64 v19, 0, v19, s0
	v_cmp_gt_i32_e64 s0, s23, v39
	v_cndmask_b32_e64 v18, 0, v18, s0
	v_cmp_gt_i32_e64 s0, s9, v38
	s_delay_alu instid0(VALU_DEP_4) | instskip(NEXT) | instid1(VALU_DEP_3)
	v_or_b32_e32 v23, v19, v20
	v_or_b32_e32 v22, v18, v21
	s_delay_alu instid0(VALU_DEP_3) | instskip(SKIP_1) | instid1(VALU_DEP_1)
	v_cndmask_b32_e64 v17, 0, v17, s0
	v_cmp_gt_i32_e64 s0, s23, v37
	v_cndmask_b32_e64 v16, 0, v16, s0
	v_cmp_gt_i32_e64 s0, s9, v36
	s_delay_alu instid0(VALU_DEP_1) | instskip(SKIP_1) | instid1(VALU_DEP_1)
	v_cndmask_b32_e64 v1, 0, v1, s0
	v_cmp_gt_i32_e64 s0, s23, v35
	v_dual_cndmask_b32 v8, 0, v8, s0 :: v_dual_bitop2_b32 v21, v1, v17 bitop3:0x54
	s_delay_alu instid0(VALU_DEP_1)
	v_or_b32_e32 v20, v8, v16
.LBB267_818:                            ;   in Loop: Header=BB267_488 Depth=1
	s_or_b32 exec_lo, exec_lo, s14
	;;#ASMSTART
	v_pk_mul_f16 v1, v47, v23;

	;;#ASMEND
	;;#ASMSTART
	v_pk_mul_f16 v8, v46, v22;

	;;#ASMEND
	;; [unrolled: 4-line block ×4, first 2 shown]
	;;#ASMSTART
	v_pk_add_f16 v1, v1, v8;

	;;#ASMEND
	;;#ASMSTART
	v_pk_add_f16 v1, v1, v16;

	;;#ASMEND
	;; [unrolled: 4-line block ×3, first 2 shown]
	v_and_b32_e32 v8, 0xffff, v1
	v_dual_lshrrev_b32 v1, 16, v1 :: v_dual_mov_b32 v17, 0
	;;#ASMSTART
	v_cvt_f32_f16 v56, v8;
	;;#ASMEND
	;;#ASMSTART
	v_cvt_f32_f16 v57, v1;
	;;#ASMEND
	global_load_b64 v[18:19], v[14:15], off offset:1280
	v_mov_b32_e32 v1, 0
	s_mov_b32 s14, exec_lo
	global_load_b32 v16, v1, s[10:11]
	s_wait_loadcnt 0x1
	v_and_b32_e32 v8, 0xff, v18
	s_wait_xcnt 0x0
	s_delay_alu instid0(VALU_DEP_1)
	v_cmpx_ne_u16_e32 0, v8
	s_cbranch_execz .LBB267_826
; %bb.819:                              ;   in Loop: Header=BB267_488 Depth=1
	v_mov_b32_e32 v17, 0x8000
	s_mov_b32 s15, exec_lo
	v_cmpx_ne_u16_e32 0x80, v8
	s_cbranch_execz .LBB267_825
; %bb.820:                              ;   in Loop: Header=BB267_488 Depth=1
	v_and_b32_e32 v20, 0x7f, v18
	v_mov_b32_e32 v17, 0x7c01
	s_mov_b32 s16, exec_lo
	s_delay_alu instid0(VALU_DEP_2)
	v_cmpx_ne_u32_e32 0x7f, v20
	s_cbranch_execz .LBB267_824
; %bb.821:                              ;   in Loop: Header=BB267_488 Depth=1
	v_dual_lshrrev_b32 v17, 3, v20 :: v_dual_bitop2_b32 v8, 7, v18 bitop3:0x40
	s_mov_b32 s17, exec_lo
	v_cmpx_gt_u32_e32 8, v20
; %bb.822:                              ;   in Loop: Header=BB267_488 Depth=1
	s_delay_alu instid0(VALU_DEP_2) | instskip(NEXT) | instid1(VALU_DEP_1)
	v_clz_i32_u32_e32 v8, v8
	v_min_u32_e32 v8, 32, v8
	s_delay_alu instid0(VALU_DEP_1) | instskip(NEXT) | instid1(VALU_DEP_1)
	v_subrev_nc_u32_e32 v17, 28, v8
	v_lshlrev_b64_e32 v[20:21], v17, v[18:19]
	v_sub_nc_u32_e32 v17, 29, v8
	s_delay_alu instid0(VALU_DEP_2)
	v_and_b32_e32 v8, 7, v20
; %bb.823:                              ;   in Loop: Header=BB267_488 Depth=1
	s_or_b32 exec_lo, exec_lo, s17
	s_delay_alu instid0(VALU_DEP_1) | instskip(NEXT) | instid1(VALU_DEP_3)
	v_dual_lshlrev_b32 v20, 8, v18 :: v_dual_lshlrev_b32 v8, 7, v8
	v_lshl_add_u32 v17, v17, 10, 0x2000
	s_delay_alu instid0(VALU_DEP_2) | instskip(NEXT) | instid1(VALU_DEP_2)
	v_and_b32_e32 v20, 0x8000, v20
	v_and_b32_e32 v17, 0xfc00, v17
	s_delay_alu instid0(VALU_DEP_1)
	v_or3_b32 v17, v20, v17, v8
.LBB267_824:                            ;   in Loop: Header=BB267_488 Depth=1
	s_or_b32 exec_lo, exec_lo, s16
.LBB267_825:                            ;   in Loop: Header=BB267_488 Depth=1
	s_delay_alu instid0(SALU_CYCLE_1)
	s_or_b32 exec_lo, exec_lo, s15
.LBB267_826:                            ;   in Loop: Header=BB267_488 Depth=1
	s_delay_alu instid0(SALU_CYCLE_1) | instskip(SKIP_2) | instid1(VALU_DEP_1)
	s_or_b32 exec_lo, exec_lo, s14
	v_lshrrev_b16 v8, 8, v18
	s_mov_b32 s14, exec_lo
	v_cmpx_ne_u16_e32 0, v8
	s_cbranch_execz .LBB267_834
; %bb.827:                              ;   in Loop: Header=BB267_488 Depth=1
	v_bfrev_b32_e32 v1, 1
	s_mov_b32 s15, exec_lo
	v_cmpx_ne_u16_e32 0x80, v8
	s_cbranch_execz .LBB267_833
; %bb.828:                              ;   in Loop: Header=BB267_488 Depth=1
	v_and_b32_e32 v20, 0xffff, v8
	v_mov_b32_e32 v1, 0x7c010000
	s_mov_b32 s16, exec_lo
	s_delay_alu instid0(VALU_DEP_2) | instskip(NEXT) | instid1(VALU_DEP_1)
	v_and_b32_e32 v22, 0x7f, v20
	v_cmpx_ne_u32_e32 0x7f, v22
	s_cbranch_execz .LBB267_832
; %bb.829:                              ;   in Loop: Header=BB267_488 Depth=1
	v_dual_lshrrev_b32 v21, 3, v22 :: v_dual_bitop2_b32 v1, 7, v20 bitop3:0x40
	s_mov_b32 s17, exec_lo
	v_cmpx_gt_u32_e32 8, v22
; %bb.830:                              ;   in Loop: Header=BB267_488 Depth=1
	s_delay_alu instid0(VALU_DEP_2) | instskip(NEXT) | instid1(VALU_DEP_1)
	v_clz_i32_u32_e32 v1, v1
	v_min_u32_e32 v1, 32, v1
	s_delay_alu instid0(VALU_DEP_1) | instskip(NEXT) | instid1(VALU_DEP_1)
	v_subrev_nc_u32_e32 v21, 28, v1
	v_lshlrev_b64_e32 v[22:23], v21, v[8:9]
	s_delay_alu instid0(VALU_DEP_1)
	v_dual_sub_nc_u32 v21, 29, v1 :: v_dual_bitop2_b32 v1, 7, v22 bitop3:0x40
; %bb.831:                              ;   in Loop: Header=BB267_488 Depth=1
	s_or_b32 exec_lo, exec_lo, s17
	s_delay_alu instid0(VALU_DEP_1) | instskip(NEXT) | instid1(VALU_DEP_2)
	v_dual_lshlrev_b32 v8, 8, v20 :: v_dual_lshlrev_b32 v1, 23, v1
	v_lshl_add_u32 v20, v21, 10, 0x2000
	s_delay_alu instid0(VALU_DEP_1) | instskip(NEXT) | instid1(VALU_DEP_1)
	v_and_or_b32 v8, 0x8000, v8, v20
	v_lshl_or_b32 v1, v8, 16, v1
.LBB267_832:                            ;   in Loop: Header=BB267_488 Depth=1
	s_or_b32 exec_lo, exec_lo, s16
.LBB267_833:                            ;   in Loop: Header=BB267_488 Depth=1
	s_delay_alu instid0(SALU_CYCLE_1)
	s_or_b32 exec_lo, exec_lo, s15
.LBB267_834:                            ;   in Loop: Header=BB267_488 Depth=1
	s_delay_alu instid0(SALU_CYCLE_1) | instskip(SKIP_3) | instid1(VALU_DEP_2)
	s_or_b32 exec_lo, exec_lo, s14
	v_dual_lshrrev_b32 v8, 16, v18 :: v_dual_mov_b32 v20, 0
	v_mov_b32_e32 v21, 0
	s_mov_b32 s14, exec_lo
	v_and_b32_e32 v22, 0xff, v8
	s_delay_alu instid0(VALU_DEP_1)
	v_cmpx_ne_u16_e32 0, v22
	s_cbranch_execz .LBB267_842
; %bb.835:                              ;   in Loop: Header=BB267_488 Depth=1
	v_mov_b32_e32 v21, 0x8000
	s_mov_b32 s15, exec_lo
	v_cmpx_ne_u16_e32 0x80, v22
	s_cbranch_execz .LBB267_841
; %bb.836:                              ;   in Loop: Header=BB267_488 Depth=1
	v_bfe_u32 v23, v18, 16, 7
	v_mov_b32_e32 v21, 0x7c01
	s_mov_b32 s16, exec_lo
	s_delay_alu instid0(VALU_DEP_2)
	v_cmpx_ne_u32_e32 0x7f, v23
	s_cbranch_execz .LBB267_840
; %bb.837:                              ;   in Loop: Header=BB267_488 Depth=1
	v_dual_lshrrev_b32 v22, 3, v23 :: v_dual_bitop2_b32 v21, 7, v8 bitop3:0x40
	s_mov_b32 s17, exec_lo
	v_cmpx_gt_u32_e32 8, v23
; %bb.838:                              ;   in Loop: Header=BB267_488 Depth=1
	s_delay_alu instid0(VALU_DEP_2) | instskip(NEXT) | instid1(VALU_DEP_1)
	v_clz_i32_u32_e32 v21, v21
	v_min_u32_e32 v21, 32, v21
	s_delay_alu instid0(VALU_DEP_1) | instskip(NEXT) | instid1(VALU_DEP_1)
	v_subrev_nc_u32_e32 v22, 28, v21
	v_lshlrev_b64_e32 v[24:25], v22, v[8:9]
	s_delay_alu instid0(VALU_DEP_1)
	v_dual_sub_nc_u32 v22, 29, v21 :: v_dual_bitop2_b32 v21, 7, v24 bitop3:0x40
; %bb.839:                              ;   in Loop: Header=BB267_488 Depth=1
	s_or_b32 exec_lo, exec_lo, s17
	s_delay_alu instid0(VALU_DEP_1) | instskip(NEXT) | instid1(VALU_DEP_2)
	v_dual_lshlrev_b32 v8, 8, v8 :: v_dual_lshlrev_b32 v21, 7, v21
	v_lshl_add_u32 v22, v22, 10, 0x2000
	s_delay_alu instid0(VALU_DEP_2) | instskip(NEXT) | instid1(VALU_DEP_2)
	v_and_b32_e32 v8, 0x8000, v8
	v_and_b32_e32 v22, 0xfc00, v22
	s_delay_alu instid0(VALU_DEP_1)
	v_or3_b32 v21, v8, v22, v21
.LBB267_840:                            ;   in Loop: Header=BB267_488 Depth=1
	s_or_b32 exec_lo, exec_lo, s16
.LBB267_841:                            ;   in Loop: Header=BB267_488 Depth=1
	s_delay_alu instid0(SALU_CYCLE_1)
	s_or_b32 exec_lo, exec_lo, s15
.LBB267_842:                            ;   in Loop: Header=BB267_488 Depth=1
	s_delay_alu instid0(SALU_CYCLE_1) | instskip(NEXT) | instid1(SALU_CYCLE_1)
	s_or_b32 exec_lo, exec_lo, s14
	s_mov_b32 s14, exec_lo
	v_cmpx_lt_u32_e32 0xffffff, v18
	s_cbranch_execz .LBB267_850
; %bb.843:                              ;   in Loop: Header=BB267_488 Depth=1
	v_lshrrev_b32_e32 v8, 24, v18
	v_bfrev_b32_e32 v20, 1
	s_mov_b32 s15, exec_lo
	s_delay_alu instid0(VALU_DEP_2)
	v_cmpx_ne_u32_e32 0x80, v8
	s_cbranch_execz .LBB267_849
; %bb.844:                              ;   in Loop: Header=BB267_488 Depth=1
	v_and_b32_e32 v23, 0x7f, v8
	v_mov_b32_e32 v20, 0x7c010000
	s_mov_b32 s16, exec_lo
	s_delay_alu instid0(VALU_DEP_2)
	v_cmpx_ne_u32_e32 0x7f, v23
	s_cbranch_execz .LBB267_848
; %bb.845:                              ;   in Loop: Header=BB267_488 Depth=1
	v_dual_lshrrev_b32 v22, 3, v23 :: v_dual_bitop2_b32 v20, 7, v8 bitop3:0x40
	s_mov_b32 s17, exec_lo
	v_cmpx_gt_u32_e32 8, v23
; %bb.846:                              ;   in Loop: Header=BB267_488 Depth=1
	s_delay_alu instid0(VALU_DEP_2) | instskip(NEXT) | instid1(VALU_DEP_1)
	v_clz_i32_u32_e32 v20, v20
	v_min_u32_e32 v20, 32, v20
	s_delay_alu instid0(VALU_DEP_1) | instskip(NEXT) | instid1(VALU_DEP_1)
	v_subrev_nc_u32_e32 v22, 28, v20
	v_lshlrev_b64_e32 v[24:25], v22, v[8:9]
	v_sub_nc_u32_e32 v22, 29, v20
	s_delay_alu instid0(VALU_DEP_2)
	v_and_b32_e32 v20, 7, v24
; %bb.847:                              ;   in Loop: Header=BB267_488 Depth=1
	s_or_b32 exec_lo, exec_lo, s17
	v_lshlrev_b32_e32 v8, 8, v8
	s_delay_alu instid0(VALU_DEP_3) | instskip(NEXT) | instid1(VALU_DEP_3)
	v_lshl_add_u32 v22, v22, 10, 0x2000
	v_lshlrev_b32_e32 v20, 23, v20
	s_delay_alu instid0(VALU_DEP_2) | instskip(NEXT) | instid1(VALU_DEP_1)
	v_and_or_b32 v8, 0x8000, v8, v22
	v_lshl_or_b32 v20, v8, 16, v20
.LBB267_848:                            ;   in Loop: Header=BB267_488 Depth=1
	s_or_b32 exec_lo, exec_lo, s16
.LBB267_849:                            ;   in Loop: Header=BB267_488 Depth=1
	s_delay_alu instid0(SALU_CYCLE_1)
	s_or_b32 exec_lo, exec_lo, s15
.LBB267_850:                            ;   in Loop: Header=BB267_488 Depth=1
	s_delay_alu instid0(SALU_CYCLE_1) | instskip(SKIP_4) | instid1(VALU_DEP_3)
	s_or_b32 exec_lo, exec_lo, s14
	v_and_b32_e32 v24, 0xff, v19
	v_dual_mov_b32 v8, v19 :: v_dual_mov_b32 v23, 0
	v_mov_b32_e32 v22, 0
	s_mov_b32 s14, exec_lo
	v_cmpx_ne_u16_e32 0, v24
	s_cbranch_execz .LBB267_858
; %bb.851:                              ;   in Loop: Header=BB267_488 Depth=1
	v_mov_b32_e32 v22, 0x8000
	s_mov_b32 s15, exec_lo
	v_cmpx_ne_u16_e32 0x80, v24
	s_cbranch_execz .LBB267_857
; %bb.852:                              ;   in Loop: Header=BB267_488 Depth=1
	v_and_b32_e32 v25, 0x7f, v19
	v_mov_b32_e32 v22, 0x7c01
	s_mov_b32 s16, exec_lo
	s_delay_alu instid0(VALU_DEP_2)
	v_cmpx_ne_u32_e32 0x7f, v25
	s_cbranch_execz .LBB267_856
; %bb.853:                              ;   in Loop: Header=BB267_488 Depth=1
	v_dual_lshrrev_b32 v24, 3, v25 :: v_dual_bitop2_b32 v22, 7, v19 bitop3:0x40
	s_mov_b32 s17, exec_lo
	v_cmpx_gt_u32_e32 8, v25
; %bb.854:                              ;   in Loop: Header=BB267_488 Depth=1
	s_delay_alu instid0(VALU_DEP_2) | instskip(NEXT) | instid1(VALU_DEP_1)
	v_clz_i32_u32_e32 v22, v22
	v_min_u32_e32 v22, 32, v22
	s_delay_alu instid0(VALU_DEP_1) | instskip(NEXT) | instid1(VALU_DEP_1)
	v_subrev_nc_u32_e32 v24, 28, v22
	v_lshlrev_b64_e32 v[42:43], v24, v[8:9]
	v_sub_nc_u32_e32 v24, 29, v22
	s_delay_alu instid0(VALU_DEP_2)
	v_and_b32_e32 v22, 7, v42
; %bb.855:                              ;   in Loop: Header=BB267_488 Depth=1
	s_or_b32 exec_lo, exec_lo, s17
	s_delay_alu instid0(VALU_DEP_1) | instskip(NEXT) | instid1(VALU_DEP_3)
	v_dual_lshlrev_b32 v25, 8, v19 :: v_dual_lshlrev_b32 v22, 7, v22
	v_lshl_add_u32 v24, v24, 10, 0x2000
	s_delay_alu instid0(VALU_DEP_2) | instskip(NEXT) | instid1(VALU_DEP_2)
	v_and_b32_e32 v25, 0x8000, v25
	v_and_b32_e32 v24, 0xfc00, v24
	s_delay_alu instid0(VALU_DEP_1)
	v_or3_b32 v22, v25, v24, v22
.LBB267_856:                            ;   in Loop: Header=BB267_488 Depth=1
	s_or_b32 exec_lo, exec_lo, s16
.LBB267_857:                            ;   in Loop: Header=BB267_488 Depth=1
	s_delay_alu instid0(SALU_CYCLE_1)
	s_or_b32 exec_lo, exec_lo, s15
.LBB267_858:                            ;   in Loop: Header=BB267_488 Depth=1
	s_delay_alu instid0(SALU_CYCLE_1) | instskip(SKIP_3) | instid1(VALU_DEP_2)
	s_or_b32 exec_lo, exec_lo, s14
	v_lshrrev_b16 v8, 8, v8
	v_mov_b32_e32 v24, 0
	s_mov_b32 s14, exec_lo
	v_cmpx_ne_u16_e32 0, v8
	s_cbranch_execz .LBB267_866
; %bb.859:                              ;   in Loop: Header=BB267_488 Depth=1
	v_bfrev_b32_e32 v24, 1
	s_mov_b32 s15, exec_lo
	v_cmpx_ne_u16_e32 0x80, v8
	s_cbranch_execz .LBB267_865
; %bb.860:                              ;   in Loop: Header=BB267_488 Depth=1
	v_and_b32_e32 v25, 0xffff, v8
	v_mov_b32_e32 v24, 0x7c010000
	s_mov_b32 s16, exec_lo
	s_delay_alu instid0(VALU_DEP_2) | instskip(NEXT) | instid1(VALU_DEP_1)
	v_and_b32_e32 v43, 0x7f, v25
	v_cmpx_ne_u32_e32 0x7f, v43
	s_cbranch_execz .LBB267_864
; %bb.861:                              ;   in Loop: Header=BB267_488 Depth=1
	v_dual_lshrrev_b32 v42, 3, v43 :: v_dual_bitop2_b32 v24, 7, v25 bitop3:0x40
	s_mov_b32 s17, exec_lo
	v_cmpx_gt_u32_e32 8, v43
; %bb.862:                              ;   in Loop: Header=BB267_488 Depth=1
	s_delay_alu instid0(VALU_DEP_2) | instskip(NEXT) | instid1(VALU_DEP_1)
	v_clz_i32_u32_e32 v24, v24
	v_min_u32_e32 v24, 32, v24
	s_delay_alu instid0(VALU_DEP_1) | instskip(NEXT) | instid1(VALU_DEP_1)
	v_subrev_nc_u32_e32 v42, 28, v24
	v_lshlrev_b64_e32 v[58:59], v42, v[8:9]
	s_delay_alu instid0(VALU_DEP_1)
	v_dual_sub_nc_u32 v42, 29, v24 :: v_dual_bitop2_b32 v24, 7, v58 bitop3:0x40
; %bb.863:                              ;   in Loop: Header=BB267_488 Depth=1
	s_or_b32 exec_lo, exec_lo, s17
	s_delay_alu instid0(VALU_DEP_1) | instskip(NEXT) | instid1(VALU_DEP_2)
	v_dual_lshlrev_b32 v8, 8, v25 :: v_dual_lshlrev_b32 v24, 23, v24
	v_lshl_add_u32 v25, v42, 10, 0x2000
	s_delay_alu instid0(VALU_DEP_1) | instskip(NEXT) | instid1(VALU_DEP_1)
	v_and_or_b32 v8, 0x8000, v8, v25
	v_lshl_or_b32 v24, v8, 16, v24
.LBB267_864:                            ;   in Loop: Header=BB267_488 Depth=1
	s_or_b32 exec_lo, exec_lo, s16
.LBB267_865:                            ;   in Loop: Header=BB267_488 Depth=1
	s_delay_alu instid0(SALU_CYCLE_1)
	s_or_b32 exec_lo, exec_lo, s15
.LBB267_866:                            ;   in Loop: Header=BB267_488 Depth=1
	s_delay_alu instid0(SALU_CYCLE_1) | instskip(SKIP_2) | instid1(VALU_DEP_1)
	s_or_b32 exec_lo, exec_lo, s14
	v_lshrrev_b32_e32 v8, 16, v19
	s_mov_b32 s14, exec_lo
	v_and_b32_e32 v25, 0xff, v8
	s_delay_alu instid0(VALU_DEP_1)
	v_cmpx_ne_u16_e32 0, v25
	s_cbranch_execz .LBB267_874
; %bb.867:                              ;   in Loop: Header=BB267_488 Depth=1
	v_mov_b32_e32 v23, 0x8000
	s_mov_b32 s15, exec_lo
	v_cmpx_ne_u16_e32 0x80, v25
	s_cbranch_execz .LBB267_873
; %bb.868:                              ;   in Loop: Header=BB267_488 Depth=1
	v_bfe_u32 v42, v19, 16, 7
	v_mov_b32_e32 v23, 0x7c01
	s_mov_b32 s16, exec_lo
	s_delay_alu instid0(VALU_DEP_2)
	v_cmpx_ne_u32_e32 0x7f, v42
	s_cbranch_execz .LBB267_872
; %bb.869:                              ;   in Loop: Header=BB267_488 Depth=1
	v_dual_lshrrev_b32 v25, 3, v42 :: v_dual_bitop2_b32 v23, 7, v8 bitop3:0x40
	s_mov_b32 s17, exec_lo
	v_cmpx_gt_u32_e32 8, v42
; %bb.870:                              ;   in Loop: Header=BB267_488 Depth=1
	s_delay_alu instid0(VALU_DEP_2) | instskip(NEXT) | instid1(VALU_DEP_1)
	v_clz_i32_u32_e32 v23, v23
	v_min_u32_e32 v23, 32, v23
	s_delay_alu instid0(VALU_DEP_1) | instskip(NEXT) | instid1(VALU_DEP_1)
	v_subrev_nc_u32_e32 v25, 28, v23
	v_lshlrev_b64_e32 v[42:43], v25, v[8:9]
	s_delay_alu instid0(VALU_DEP_1)
	v_dual_sub_nc_u32 v25, 29, v23 :: v_dual_bitop2_b32 v23, 7, v42 bitop3:0x40
; %bb.871:                              ;   in Loop: Header=BB267_488 Depth=1
	s_or_b32 exec_lo, exec_lo, s17
	s_delay_alu instid0(VALU_DEP_1) | instskip(NEXT) | instid1(VALU_DEP_2)
	v_dual_lshlrev_b32 v8, 8, v8 :: v_dual_lshlrev_b32 v23, 7, v23
	v_lshl_add_u32 v25, v25, 10, 0x2000
	s_delay_alu instid0(VALU_DEP_2) | instskip(NEXT) | instid1(VALU_DEP_2)
	v_and_b32_e32 v8, 0x8000, v8
	v_and_b32_e32 v25, 0xfc00, v25
	s_delay_alu instid0(VALU_DEP_1)
	v_or3_b32 v23, v8, v25, v23
.LBB267_872:                            ;   in Loop: Header=BB267_488 Depth=1
	s_or_b32 exec_lo, exec_lo, s16
.LBB267_873:                            ;   in Loop: Header=BB267_488 Depth=1
	s_delay_alu instid0(SALU_CYCLE_1)
	s_or_b32 exec_lo, exec_lo, s15
.LBB267_874:                            ;   in Loop: Header=BB267_488 Depth=1
	s_delay_alu instid0(SALU_CYCLE_1)
	s_or_b32 exec_lo, exec_lo, s14
	v_cmp_lt_u64_e64 s0, s[2:3], v[18:19]
	v_mov_b32_e32 v18, 0
	s_and_saveexec_b32 s14, s0
	s_cbranch_execz .LBB267_882
; %bb.875:                              ;   in Loop: Header=BB267_488 Depth=1
	v_lshrrev_b32_e32 v8, 24, v19
	v_bfrev_b32_e32 v18, 1
	s_mov_b32 s15, exec_lo
	s_delay_alu instid0(VALU_DEP_2)
	v_cmpx_ne_u32_e32 0x80, v8
	s_cbranch_execz .LBB267_881
; %bb.876:                              ;   in Loop: Header=BB267_488 Depth=1
	v_and_b32_e32 v25, 0x7f, v8
	v_mov_b32_e32 v18, 0x7c010000
	s_mov_b32 s16, exec_lo
	s_delay_alu instid0(VALU_DEP_2)
	v_cmpx_ne_u32_e32 0x7f, v25
	s_cbranch_execz .LBB267_880
; %bb.877:                              ;   in Loop: Header=BB267_488 Depth=1
	v_dual_lshrrev_b32 v19, 3, v25 :: v_dual_bitop2_b32 v18, 7, v8 bitop3:0x40
	s_mov_b32 s17, exec_lo
	v_cmpx_gt_u32_e32 8, v25
; %bb.878:                              ;   in Loop: Header=BB267_488 Depth=1
	s_delay_alu instid0(VALU_DEP_2) | instskip(NEXT) | instid1(VALU_DEP_1)
	v_clz_i32_u32_e32 v18, v18
	v_min_u32_e32 v25, 32, v18
	s_delay_alu instid0(VALU_DEP_1) | instskip(NEXT) | instid1(VALU_DEP_1)
	v_subrev_nc_u32_e32 v18, 28, v25
	v_lshlrev_b64_e32 v[18:19], v18, v[8:9]
	s_delay_alu instid0(VALU_DEP_1)
	v_dual_sub_nc_u32 v19, 29, v25 :: v_dual_bitop2_b32 v18, 7, v18 bitop3:0x40
; %bb.879:                              ;   in Loop: Header=BB267_488 Depth=1
	s_or_b32 exec_lo, exec_lo, s17
	s_delay_alu instid0(VALU_DEP_1) | instskip(NEXT) | instid1(VALU_DEP_2)
	v_dual_lshlrev_b32 v8, 8, v8 :: v_dual_lshlrev_b32 v18, 23, v18
	v_lshl_add_u32 v19, v19, 10, 0x2000
	s_delay_alu instid0(VALU_DEP_1) | instskip(NEXT) | instid1(VALU_DEP_1)
	v_and_or_b32 v8, 0x8000, v8, v19
	v_lshl_or_b32 v18, v8, 16, v18
.LBB267_880:                            ;   in Loop: Header=BB267_488 Depth=1
	s_or_b32 exec_lo, exec_lo, s16
.LBB267_881:                            ;   in Loop: Header=BB267_488 Depth=1
	s_delay_alu instid0(SALU_CYCLE_1)
	s_or_b32 exec_lo, exec_lo, s15
.LBB267_882:                            ;   in Loop: Header=BB267_488 Depth=1
	s_delay_alu instid0(SALU_CYCLE_1) | instskip(SKIP_3) | instid1(VALU_DEP_3)
	s_or_b32 exec_lo, exec_lo, s14
	v_dual_lshrrev_b32 v8, 16, v1 :: v_dual_lshrrev_b32 v19, 16, v20
	v_or_b32_e32 v1, v1, v17
	v_dual_lshrrev_b32 v25, 16, v18 :: v_dual_bitop2_b32 v17, v20, v21 bitop3:0x54
	v_cvt_f32_f16_e32 v21, v8
	s_delay_alu instid0(VALU_DEP_4) | instskip(SKIP_1) | instid1(VALU_DEP_4)
	v_cvt_f32_f16_e32 v20, v19
	v_dual_lshrrev_b32 v23, 16, v24 :: v_dual_bitop2_b32 v8, v18, v23 bitop3:0x54
	v_cvt_f32_f16_e32 v18, v17
	v_cvt_f32_f16_e32 v19, v1
	s_wait_loadcnt 0x0
	v_pk_mul_f32 v[20:21], v[16:17], v[20:21] op_sel_hi:[0,1]
	v_or_b32_e32 v17, v24, v22
	v_cvt_f32_f16_e32 v23, v23
	v_cvt_f32_f16_e32 v22, v25
	;; [unrolled: 1-line block ×3, first 2 shown]
	v_cvt_pk_f16_f32 v1, v20, v21
	v_cvt_f32_f16_e32 v25, v17
	v_pk_mul_f32 v[18:19], v[16:17], v[18:19] op_sel_hi:[0,1]
	v_pk_mul_f32 v[20:21], v[16:17], v[22:23] op_sel_hi:[0,1]
	s_delay_alu instid0(VALU_DEP_3) | instskip(NEXT) | instid1(VALU_DEP_3)
	v_pk_mul_f32 v[16:17], v[16:17], v[24:25] op_sel_hi:[0,1]
	v_cvt_pk_f16_f32 v8, v18, v19
	v_and_b32_e32 v19, 0xffff0000, v1
	s_delay_alu instid0(VALU_DEP_4)
	v_cvt_pk_f16_f32 v20, v20, v21
	v_lshlrev_b32_e32 v18, 16, v1
	v_cvt_pk_f16_f32 v16, v16, v17
	v_lshrrev_b32_e32 v25, 16, v8
	v_and_b32_e32 v24, 0xffff, v8
	v_and_b32_e32 v1, 0xffff0000, v20
	s_delay_alu instid0(VALU_DEP_3) | instskip(SKIP_3) | instid1(VALU_DEP_2)
	v_dual_lshlrev_b32 v8, 16, v20 :: v_dual_bitop2_b32 v23, v19, v25 bitop3:0x54
	v_lshrrev_b32_e32 v17, 16, v16
	v_and_b32_e32 v16, 0xffff, v16
	v_or_b32_e32 v22, v18, v24
	v_or_b32_e32 v20, v8, v16
	s_delay_alu instid0(VALU_DEP_4)
	v_or_b32_e32 v21, v1, v17
	s_and_saveexec_b32 s14, vcc_lo
	s_cbranch_execz .LBB267_884
; %bb.883:                              ;   in Loop: Header=BB267_488 Depth=1
	v_cmp_gt_i32_e64 s0, s9, v32
	s_delay_alu instid0(VALU_DEP_1) | instskip(SKIP_1) | instid1(VALU_DEP_1)
	v_cndmask_b32_e64 v20, 0, v25, s0
	v_cmp_gt_i32_e64 s0, s23, v41
	v_cndmask_b32_e64 v21, 0, v24, s0
	v_cmp_gt_i32_e64 s0, s9, v40
	s_delay_alu instid0(VALU_DEP_1) | instskip(SKIP_1) | instid1(VALU_DEP_1)
	v_cndmask_b32_e64 v19, 0, v19, s0
	v_cmp_gt_i32_e64 s0, s23, v39
	v_cndmask_b32_e64 v18, 0, v18, s0
	v_cmp_gt_i32_e64 s0, s9, v38
	s_delay_alu instid0(VALU_DEP_4) | instskip(NEXT) | instid1(VALU_DEP_3)
	v_or_b32_e32 v23, v19, v20
	v_or_b32_e32 v22, v18, v21
	s_delay_alu instid0(VALU_DEP_3) | instskip(SKIP_1) | instid1(VALU_DEP_1)
	v_cndmask_b32_e64 v17, 0, v17, s0
	v_cmp_gt_i32_e64 s0, s23, v37
	v_cndmask_b32_e64 v16, 0, v16, s0
	v_cmp_gt_i32_e64 s0, s9, v36
	s_delay_alu instid0(VALU_DEP_1) | instskip(SKIP_1) | instid1(VALU_DEP_1)
	v_cndmask_b32_e64 v1, 0, v1, s0
	v_cmp_gt_i32_e64 s0, s23, v35
	v_dual_cndmask_b32 v8, 0, v8, s0 :: v_dual_bitop2_b32 v21, v1, v17 bitop3:0x54
	s_delay_alu instid0(VALU_DEP_1)
	v_or_b32_e32 v20, v8, v16
.LBB267_884:                            ;   in Loop: Header=BB267_488 Depth=1
	s_or_b32 exec_lo, exec_lo, s14
	;;#ASMSTART
	v_pk_mul_f16 v1, v47, v23;

	;;#ASMEND
	;;#ASMSTART
	v_pk_mul_f16 v8, v46, v22;

	;;#ASMEND
	;; [unrolled: 4-line block ×4, first 2 shown]
	;;#ASMSTART
	v_pk_add_f16 v1, v1, v8;

	;;#ASMEND
	;;#ASMSTART
	v_pk_add_f16 v1, v1, v16;

	;;#ASMEND
	;; [unrolled: 4-line block ×3, first 2 shown]
	v_and_b32_e32 v8, 0xffff, v1
	v_lshrrev_b32_e32 v1, 16, v1
	;;#ASMSTART
	v_cvt_f32_f16 v42, v8;
	;;#ASMEND
	;;#ASMSTART
	v_cvt_f32_f16 v43, v1;
	;;#ASMEND
	global_load_b64 v[16:17], v[14:15], off offset:1536
	s_wait_xcnt 0x0
	v_dual_mov_b32 v1, 0 :: v_dual_mov_b32 v15, 0
	s_mov_b32 s14, exec_lo
	global_load_b32 v14, v1, s[10:11]
	s_wait_loadcnt 0x1
	v_and_b32_e32 v8, 0xff, v16
	s_wait_xcnt 0x0
	s_delay_alu instid0(VALU_DEP_1)
	v_cmpx_ne_u16_e32 0, v8
	s_cbranch_execz .LBB267_892
; %bb.885:                              ;   in Loop: Header=BB267_488 Depth=1
	v_mov_b32_e32 v15, 0x8000
	s_mov_b32 s15, exec_lo
	v_cmpx_ne_u16_e32 0x80, v8
	s_cbranch_execz .LBB267_891
; %bb.886:                              ;   in Loop: Header=BB267_488 Depth=1
	v_and_b32_e32 v18, 0x7f, v16
	v_mov_b32_e32 v15, 0x7c01
	s_mov_b32 s16, exec_lo
	s_delay_alu instid0(VALU_DEP_2)
	v_cmpx_ne_u32_e32 0x7f, v18
	s_cbranch_execz .LBB267_890
; %bb.887:                              ;   in Loop: Header=BB267_488 Depth=1
	v_dual_lshrrev_b32 v15, 3, v18 :: v_dual_bitop2_b32 v8, 7, v16 bitop3:0x40
	s_mov_b32 s17, exec_lo
	v_cmpx_gt_u32_e32 8, v18
; %bb.888:                              ;   in Loop: Header=BB267_488 Depth=1
	s_delay_alu instid0(VALU_DEP_2) | instskip(NEXT) | instid1(VALU_DEP_1)
	v_clz_i32_u32_e32 v8, v8
	v_min_u32_e32 v8, 32, v8
	s_delay_alu instid0(VALU_DEP_1) | instskip(NEXT) | instid1(VALU_DEP_1)
	v_subrev_nc_u32_e32 v15, 28, v8
	v_lshlrev_b64_e32 v[18:19], v15, v[16:17]
	s_delay_alu instid0(VALU_DEP_1)
	v_dual_sub_nc_u32 v15, 29, v8 :: v_dual_bitop2_b32 v8, 7, v18 bitop3:0x40
; %bb.889:                              ;   in Loop: Header=BB267_488 Depth=1
	s_or_b32 exec_lo, exec_lo, s17
	v_lshlrev_b32_e32 v18, 8, v16
	s_delay_alu instid0(VALU_DEP_2) | instskip(NEXT) | instid1(VALU_DEP_3)
	v_lshl_add_u32 v15, v15, 10, 0x2000
	v_lshlrev_b32_e32 v8, 7, v8
	s_delay_alu instid0(VALU_DEP_3) | instskip(NEXT) | instid1(VALU_DEP_3)
	v_and_b32_e32 v18, 0x8000, v18
	v_and_b32_e32 v15, 0xfc00, v15
	s_delay_alu instid0(VALU_DEP_1)
	v_or3_b32 v15, v18, v15, v8
.LBB267_890:                            ;   in Loop: Header=BB267_488 Depth=1
	s_or_b32 exec_lo, exec_lo, s16
.LBB267_891:                            ;   in Loop: Header=BB267_488 Depth=1
	s_delay_alu instid0(SALU_CYCLE_1)
	s_or_b32 exec_lo, exec_lo, s15
.LBB267_892:                            ;   in Loop: Header=BB267_488 Depth=1
	s_delay_alu instid0(SALU_CYCLE_1) | instskip(SKIP_2) | instid1(VALU_DEP_1)
	s_or_b32 exec_lo, exec_lo, s14
	v_lshrrev_b16 v8, 8, v16
	s_mov_b32 s14, exec_lo
	v_cmpx_ne_u16_e32 0, v8
	s_cbranch_execz .LBB267_900
; %bb.893:                              ;   in Loop: Header=BB267_488 Depth=1
	v_bfrev_b32_e32 v1, 1
	s_mov_b32 s15, exec_lo
	v_cmpx_ne_u16_e32 0x80, v8
	s_cbranch_execz .LBB267_899
; %bb.894:                              ;   in Loop: Header=BB267_488 Depth=1
	v_and_b32_e32 v18, 0xffff, v8
	v_mov_b32_e32 v1, 0x7c010000
	s_mov_b32 s16, exec_lo
	s_delay_alu instid0(VALU_DEP_2) | instskip(NEXT) | instid1(VALU_DEP_1)
	v_and_b32_e32 v20, 0x7f, v18
	v_cmpx_ne_u32_e32 0x7f, v20
	s_cbranch_execz .LBB267_898
; %bb.895:                              ;   in Loop: Header=BB267_488 Depth=1
	v_dual_lshrrev_b32 v19, 3, v20 :: v_dual_bitop2_b32 v1, 7, v18 bitop3:0x40
	s_mov_b32 s17, exec_lo
	v_cmpx_gt_u32_e32 8, v20
; %bb.896:                              ;   in Loop: Header=BB267_488 Depth=1
	s_delay_alu instid0(VALU_DEP_2) | instskip(NEXT) | instid1(VALU_DEP_1)
	v_clz_i32_u32_e32 v1, v1
	v_min_u32_e32 v1, 32, v1
	s_delay_alu instid0(VALU_DEP_1) | instskip(NEXT) | instid1(VALU_DEP_1)
	v_subrev_nc_u32_e32 v19, 28, v1
	v_lshlrev_b64_e32 v[20:21], v19, v[8:9]
	s_delay_alu instid0(VALU_DEP_1)
	v_dual_sub_nc_u32 v19, 29, v1 :: v_dual_bitop2_b32 v1, 7, v20 bitop3:0x40
; %bb.897:                              ;   in Loop: Header=BB267_488 Depth=1
	s_or_b32 exec_lo, exec_lo, s17
	s_delay_alu instid0(VALU_DEP_1) | instskip(NEXT) | instid1(VALU_DEP_2)
	v_dual_lshlrev_b32 v8, 8, v18 :: v_dual_lshlrev_b32 v1, 23, v1
	v_lshl_add_u32 v18, v19, 10, 0x2000
	s_delay_alu instid0(VALU_DEP_1) | instskip(NEXT) | instid1(VALU_DEP_1)
	v_and_or_b32 v8, 0x8000, v8, v18
	v_lshl_or_b32 v1, v8, 16, v1
.LBB267_898:                            ;   in Loop: Header=BB267_488 Depth=1
	s_or_b32 exec_lo, exec_lo, s16
.LBB267_899:                            ;   in Loop: Header=BB267_488 Depth=1
	s_delay_alu instid0(SALU_CYCLE_1)
	s_or_b32 exec_lo, exec_lo, s15
.LBB267_900:                            ;   in Loop: Header=BB267_488 Depth=1
	s_delay_alu instid0(SALU_CYCLE_1) | instskip(SKIP_3) | instid1(VALU_DEP_2)
	s_or_b32 exec_lo, exec_lo, s14
	v_dual_lshrrev_b32 v8, 16, v16 :: v_dual_mov_b32 v18, 0
	v_mov_b32_e32 v19, 0
	s_mov_b32 s14, exec_lo
	v_and_b32_e32 v20, 0xff, v8
	s_delay_alu instid0(VALU_DEP_1)
	v_cmpx_ne_u16_e32 0, v20
	s_cbranch_execz .LBB267_908
; %bb.901:                              ;   in Loop: Header=BB267_488 Depth=1
	v_mov_b32_e32 v19, 0x8000
	s_mov_b32 s15, exec_lo
	v_cmpx_ne_u16_e32 0x80, v20
	s_cbranch_execz .LBB267_907
; %bb.902:                              ;   in Loop: Header=BB267_488 Depth=1
	v_bfe_u32 v21, v16, 16, 7
	v_mov_b32_e32 v19, 0x7c01
	s_mov_b32 s16, exec_lo
	s_delay_alu instid0(VALU_DEP_2)
	v_cmpx_ne_u32_e32 0x7f, v21
	s_cbranch_execz .LBB267_906
; %bb.903:                              ;   in Loop: Header=BB267_488 Depth=1
	v_dual_lshrrev_b32 v20, 3, v21 :: v_dual_bitop2_b32 v19, 7, v8 bitop3:0x40
	s_mov_b32 s17, exec_lo
	v_cmpx_gt_u32_e32 8, v21
; %bb.904:                              ;   in Loop: Header=BB267_488 Depth=1
	s_delay_alu instid0(VALU_DEP_2) | instskip(NEXT) | instid1(VALU_DEP_1)
	v_clz_i32_u32_e32 v19, v19
	v_min_u32_e32 v19, 32, v19
	s_delay_alu instid0(VALU_DEP_1) | instskip(NEXT) | instid1(VALU_DEP_1)
	v_subrev_nc_u32_e32 v20, 28, v19
	v_lshlrev_b64_e32 v[22:23], v20, v[8:9]
	s_delay_alu instid0(VALU_DEP_1)
	v_dual_sub_nc_u32 v20, 29, v19 :: v_dual_bitop2_b32 v19, 7, v22 bitop3:0x40
; %bb.905:                              ;   in Loop: Header=BB267_488 Depth=1
	s_or_b32 exec_lo, exec_lo, s17
	s_delay_alu instid0(VALU_DEP_1) | instskip(NEXT) | instid1(VALU_DEP_2)
	v_dual_lshlrev_b32 v8, 8, v8 :: v_dual_lshlrev_b32 v19, 7, v19
	v_lshl_add_u32 v20, v20, 10, 0x2000
	s_delay_alu instid0(VALU_DEP_2) | instskip(NEXT) | instid1(VALU_DEP_2)
	v_and_b32_e32 v8, 0x8000, v8
	v_and_b32_e32 v20, 0xfc00, v20
	s_delay_alu instid0(VALU_DEP_1)
	v_or3_b32 v19, v8, v20, v19
.LBB267_906:                            ;   in Loop: Header=BB267_488 Depth=1
	s_or_b32 exec_lo, exec_lo, s16
.LBB267_907:                            ;   in Loop: Header=BB267_488 Depth=1
	s_delay_alu instid0(SALU_CYCLE_1)
	s_or_b32 exec_lo, exec_lo, s15
.LBB267_908:                            ;   in Loop: Header=BB267_488 Depth=1
	s_delay_alu instid0(SALU_CYCLE_1) | instskip(NEXT) | instid1(SALU_CYCLE_1)
	s_or_b32 exec_lo, exec_lo, s14
	s_mov_b32 s14, exec_lo
	v_cmpx_lt_u32_e32 0xffffff, v16
	s_cbranch_execz .LBB267_916
; %bb.909:                              ;   in Loop: Header=BB267_488 Depth=1
	v_lshrrev_b32_e32 v8, 24, v16
	v_bfrev_b32_e32 v18, 1
	s_mov_b32 s15, exec_lo
	s_delay_alu instid0(VALU_DEP_2)
	v_cmpx_ne_u32_e32 0x80, v8
	s_cbranch_execz .LBB267_915
; %bb.910:                              ;   in Loop: Header=BB267_488 Depth=1
	v_and_b32_e32 v21, 0x7f, v8
	v_mov_b32_e32 v18, 0x7c010000
	s_mov_b32 s16, exec_lo
	s_delay_alu instid0(VALU_DEP_2)
	v_cmpx_ne_u32_e32 0x7f, v21
	s_cbranch_execz .LBB267_914
; %bb.911:                              ;   in Loop: Header=BB267_488 Depth=1
	v_dual_lshrrev_b32 v20, 3, v21 :: v_dual_bitop2_b32 v18, 7, v8 bitop3:0x40
	s_mov_b32 s17, exec_lo
	v_cmpx_gt_u32_e32 8, v21
; %bb.912:                              ;   in Loop: Header=BB267_488 Depth=1
	s_delay_alu instid0(VALU_DEP_2) | instskip(NEXT) | instid1(VALU_DEP_1)
	v_clz_i32_u32_e32 v18, v18
	v_min_u32_e32 v18, 32, v18
	s_delay_alu instid0(VALU_DEP_1) | instskip(NEXT) | instid1(VALU_DEP_1)
	v_subrev_nc_u32_e32 v20, 28, v18
	v_lshlrev_b64_e32 v[22:23], v20, v[8:9]
	v_sub_nc_u32_e32 v20, 29, v18
	s_delay_alu instid0(VALU_DEP_2)
	v_and_b32_e32 v18, 7, v22
; %bb.913:                              ;   in Loop: Header=BB267_488 Depth=1
	s_or_b32 exec_lo, exec_lo, s17
	s_delay_alu instid0(VALU_DEP_1) | instskip(NEXT) | instid1(VALU_DEP_3)
	v_dual_lshlrev_b32 v8, 8, v8 :: v_dual_lshlrev_b32 v18, 23, v18
	v_lshl_add_u32 v20, v20, 10, 0x2000
	s_delay_alu instid0(VALU_DEP_1) | instskip(NEXT) | instid1(VALU_DEP_1)
	v_and_or_b32 v8, 0x8000, v8, v20
	v_lshl_or_b32 v18, v8, 16, v18
.LBB267_914:                            ;   in Loop: Header=BB267_488 Depth=1
	s_or_b32 exec_lo, exec_lo, s16
.LBB267_915:                            ;   in Loop: Header=BB267_488 Depth=1
	s_delay_alu instid0(SALU_CYCLE_1)
	s_or_b32 exec_lo, exec_lo, s15
.LBB267_916:                            ;   in Loop: Header=BB267_488 Depth=1
	s_delay_alu instid0(SALU_CYCLE_1) | instskip(SKIP_4) | instid1(VALU_DEP_3)
	s_or_b32 exec_lo, exec_lo, s14
	v_and_b32_e32 v22, 0xff, v17
	v_dual_mov_b32 v8, v17 :: v_dual_mov_b32 v21, 0
	v_mov_b32_e32 v20, 0
	s_mov_b32 s14, exec_lo
	v_cmpx_ne_u16_e32 0, v22
	s_cbranch_execz .LBB267_924
; %bb.917:                              ;   in Loop: Header=BB267_488 Depth=1
	v_mov_b32_e32 v20, 0x8000
	s_mov_b32 s15, exec_lo
	v_cmpx_ne_u16_e32 0x80, v22
	s_cbranch_execz .LBB267_923
; %bb.918:                              ;   in Loop: Header=BB267_488 Depth=1
	v_and_b32_e32 v23, 0x7f, v17
	v_mov_b32_e32 v20, 0x7c01
	s_mov_b32 s16, exec_lo
	s_delay_alu instid0(VALU_DEP_2)
	v_cmpx_ne_u32_e32 0x7f, v23
	s_cbranch_execz .LBB267_922
; %bb.919:                              ;   in Loop: Header=BB267_488 Depth=1
	v_dual_lshrrev_b32 v22, 3, v23 :: v_dual_bitop2_b32 v20, 7, v17 bitop3:0x40
	s_mov_b32 s17, exec_lo
	v_cmpx_gt_u32_e32 8, v23
; %bb.920:                              ;   in Loop: Header=BB267_488 Depth=1
	s_delay_alu instid0(VALU_DEP_2) | instskip(NEXT) | instid1(VALU_DEP_1)
	v_clz_i32_u32_e32 v20, v20
	v_min_u32_e32 v20, 32, v20
	s_delay_alu instid0(VALU_DEP_1) | instskip(NEXT) | instid1(VALU_DEP_1)
	v_subrev_nc_u32_e32 v22, 28, v20
	v_lshlrev_b64_e32 v[24:25], v22, v[8:9]
	v_sub_nc_u32_e32 v22, 29, v20
	s_delay_alu instid0(VALU_DEP_2)
	v_and_b32_e32 v20, 7, v24
; %bb.921:                              ;   in Loop: Header=BB267_488 Depth=1
	s_or_b32 exec_lo, exec_lo, s17
	s_delay_alu instid0(VALU_DEP_1) | instskip(NEXT) | instid1(VALU_DEP_3)
	v_dual_lshlrev_b32 v23, 8, v17 :: v_dual_lshlrev_b32 v20, 7, v20
	v_lshl_add_u32 v22, v22, 10, 0x2000
	s_delay_alu instid0(VALU_DEP_2) | instskip(NEXT) | instid1(VALU_DEP_2)
	v_and_b32_e32 v23, 0x8000, v23
	v_and_b32_e32 v22, 0xfc00, v22
	s_delay_alu instid0(VALU_DEP_1)
	v_or3_b32 v20, v23, v22, v20
.LBB267_922:                            ;   in Loop: Header=BB267_488 Depth=1
	s_or_b32 exec_lo, exec_lo, s16
.LBB267_923:                            ;   in Loop: Header=BB267_488 Depth=1
	s_delay_alu instid0(SALU_CYCLE_1)
	s_or_b32 exec_lo, exec_lo, s15
.LBB267_924:                            ;   in Loop: Header=BB267_488 Depth=1
	s_delay_alu instid0(SALU_CYCLE_1) | instskip(SKIP_3) | instid1(VALU_DEP_2)
	s_or_b32 exec_lo, exec_lo, s14
	v_lshrrev_b16 v8, 8, v8
	v_mov_b32_e32 v22, 0
	s_mov_b32 s14, exec_lo
	v_cmpx_ne_u16_e32 0, v8
	s_cbranch_execz .LBB267_932
; %bb.925:                              ;   in Loop: Header=BB267_488 Depth=1
	v_bfrev_b32_e32 v22, 1
	s_mov_b32 s15, exec_lo
	v_cmpx_ne_u16_e32 0x80, v8
	s_cbranch_execz .LBB267_931
; %bb.926:                              ;   in Loop: Header=BB267_488 Depth=1
	v_and_b32_e32 v23, 0xffff, v8
	v_mov_b32_e32 v22, 0x7c010000
	s_mov_b32 s16, exec_lo
	s_delay_alu instid0(VALU_DEP_2) | instskip(NEXT) | instid1(VALU_DEP_1)
	v_and_b32_e32 v25, 0x7f, v23
	v_cmpx_ne_u32_e32 0x7f, v25
	s_cbranch_execz .LBB267_930
; %bb.927:                              ;   in Loop: Header=BB267_488 Depth=1
	v_dual_lshrrev_b32 v24, 3, v25 :: v_dual_bitop2_b32 v22, 7, v23 bitop3:0x40
	s_mov_b32 s17, exec_lo
	v_cmpx_gt_u32_e32 8, v25
; %bb.928:                              ;   in Loop: Header=BB267_488 Depth=1
	s_delay_alu instid0(VALU_DEP_2) | instskip(NEXT) | instid1(VALU_DEP_1)
	v_clz_i32_u32_e32 v22, v22
	v_min_u32_e32 v22, 32, v22
	s_delay_alu instid0(VALU_DEP_1) | instskip(NEXT) | instid1(VALU_DEP_1)
	v_subrev_nc_u32_e32 v24, 28, v22
	v_lshlrev_b64_e32 v[58:59], v24, v[8:9]
	v_sub_nc_u32_e32 v24, 29, v22
	s_delay_alu instid0(VALU_DEP_2)
	v_and_b32_e32 v22, 7, v58
; %bb.929:                              ;   in Loop: Header=BB267_488 Depth=1
	s_or_b32 exec_lo, exec_lo, s17
	s_delay_alu instid0(VALU_DEP_1) | instskip(NEXT) | instid1(VALU_DEP_3)
	v_dual_lshlrev_b32 v8, 8, v23 :: v_dual_lshlrev_b32 v22, 23, v22
	v_lshl_add_u32 v23, v24, 10, 0x2000
	s_delay_alu instid0(VALU_DEP_1) | instskip(NEXT) | instid1(VALU_DEP_1)
	v_and_or_b32 v8, 0x8000, v8, v23
	v_lshl_or_b32 v22, v8, 16, v22
.LBB267_930:                            ;   in Loop: Header=BB267_488 Depth=1
	s_or_b32 exec_lo, exec_lo, s16
.LBB267_931:                            ;   in Loop: Header=BB267_488 Depth=1
	s_delay_alu instid0(SALU_CYCLE_1)
	s_or_b32 exec_lo, exec_lo, s15
.LBB267_932:                            ;   in Loop: Header=BB267_488 Depth=1
	s_delay_alu instid0(SALU_CYCLE_1) | instskip(SKIP_2) | instid1(VALU_DEP_1)
	s_or_b32 exec_lo, exec_lo, s14
	v_lshrrev_b32_e32 v8, 16, v17
	s_mov_b32 s14, exec_lo
	v_and_b32_e32 v23, 0xff, v8
	s_delay_alu instid0(VALU_DEP_1)
	v_cmpx_ne_u16_e32 0, v23
	s_cbranch_execz .LBB267_940
; %bb.933:                              ;   in Loop: Header=BB267_488 Depth=1
	v_mov_b32_e32 v21, 0x8000
	s_mov_b32 s15, exec_lo
	v_cmpx_ne_u16_e32 0x80, v23
	s_cbranch_execz .LBB267_939
; %bb.934:                              ;   in Loop: Header=BB267_488 Depth=1
	v_bfe_u32 v24, v17, 16, 7
	v_mov_b32_e32 v21, 0x7c01
	s_mov_b32 s16, exec_lo
	s_delay_alu instid0(VALU_DEP_2)
	v_cmpx_ne_u32_e32 0x7f, v24
	s_cbranch_execz .LBB267_938
; %bb.935:                              ;   in Loop: Header=BB267_488 Depth=1
	v_and_b32_e32 v21, 7, v8
	v_lshrrev_b32_e32 v23, 3, v24
	s_mov_b32 s17, exec_lo
	v_cmpx_gt_u32_e32 8, v24
; %bb.936:                              ;   in Loop: Header=BB267_488 Depth=1
	s_delay_alu instid0(VALU_DEP_3) | instskip(NEXT) | instid1(VALU_DEP_1)
	v_clz_i32_u32_e32 v21, v21
	v_min_u32_e32 v21, 32, v21
	s_delay_alu instid0(VALU_DEP_1) | instskip(NEXT) | instid1(VALU_DEP_1)
	v_subrev_nc_u32_e32 v23, 28, v21
	v_lshlrev_b64_e32 v[24:25], v23, v[8:9]
	s_delay_alu instid0(VALU_DEP_1)
	v_dual_sub_nc_u32 v23, 29, v21 :: v_dual_bitop2_b32 v21, 7, v24 bitop3:0x40
; %bb.937:                              ;   in Loop: Header=BB267_488 Depth=1
	s_or_b32 exec_lo, exec_lo, s17
	s_delay_alu instid0(VALU_DEP_1) | instskip(NEXT) | instid1(VALU_DEP_2)
	v_dual_lshlrev_b32 v8, 8, v8 :: v_dual_lshlrev_b32 v21, 7, v21
	v_lshl_add_u32 v23, v23, 10, 0x2000
	s_delay_alu instid0(VALU_DEP_2) | instskip(NEXT) | instid1(VALU_DEP_2)
	v_and_b32_e32 v8, 0x8000, v8
	v_and_b32_e32 v23, 0xfc00, v23
	s_delay_alu instid0(VALU_DEP_1)
	v_or3_b32 v21, v8, v23, v21
.LBB267_938:                            ;   in Loop: Header=BB267_488 Depth=1
	s_or_b32 exec_lo, exec_lo, s16
.LBB267_939:                            ;   in Loop: Header=BB267_488 Depth=1
	s_delay_alu instid0(SALU_CYCLE_1)
	s_or_b32 exec_lo, exec_lo, s15
.LBB267_940:                            ;   in Loop: Header=BB267_488 Depth=1
	s_delay_alu instid0(SALU_CYCLE_1)
	s_or_b32 exec_lo, exec_lo, s14
	v_cmp_lt_u64_e64 s0, s[2:3], v[16:17]
	v_mov_b32_e32 v16, 0
	s_and_saveexec_b32 s14, s0
	s_cbranch_execz .LBB267_948
; %bb.941:                              ;   in Loop: Header=BB267_488 Depth=1
	v_lshrrev_b32_e32 v8, 24, v17
	v_bfrev_b32_e32 v16, 1
	s_mov_b32 s15, exec_lo
	s_delay_alu instid0(VALU_DEP_2)
	v_cmpx_ne_u32_e32 0x80, v8
	s_cbranch_execz .LBB267_947
; %bb.942:                              ;   in Loop: Header=BB267_488 Depth=1
	v_and_b32_e32 v23, 0x7f, v8
	v_mov_b32_e32 v16, 0x7c010000
	s_mov_b32 s16, exec_lo
	s_delay_alu instid0(VALU_DEP_2)
	v_cmpx_ne_u32_e32 0x7f, v23
	s_cbranch_execz .LBB267_946
; %bb.943:                              ;   in Loop: Header=BB267_488 Depth=1
	v_dual_lshrrev_b32 v17, 3, v23 :: v_dual_bitop2_b32 v16, 7, v8 bitop3:0x40
	s_mov_b32 s17, exec_lo
	v_cmpx_gt_u32_e32 8, v23
; %bb.944:                              ;   in Loop: Header=BB267_488 Depth=1
	s_delay_alu instid0(VALU_DEP_2) | instskip(NEXT) | instid1(VALU_DEP_1)
	v_clz_i32_u32_e32 v16, v16
	v_min_u32_e32 v23, 32, v16
	s_delay_alu instid0(VALU_DEP_1) | instskip(NEXT) | instid1(VALU_DEP_1)
	v_subrev_nc_u32_e32 v16, 28, v23
	v_lshlrev_b64_e32 v[16:17], v16, v[8:9]
	s_delay_alu instid0(VALU_DEP_1)
	v_dual_sub_nc_u32 v17, 29, v23 :: v_dual_bitop2_b32 v16, 7, v16 bitop3:0x40
; %bb.945:                              ;   in Loop: Header=BB267_488 Depth=1
	s_or_b32 exec_lo, exec_lo, s17
	v_lshlrev_b32_e32 v8, 8, v8
	s_delay_alu instid0(VALU_DEP_2) | instskip(NEXT) | instid1(VALU_DEP_3)
	v_lshl_add_u32 v17, v17, 10, 0x2000
	v_lshlrev_b32_e32 v16, 23, v16
	s_delay_alu instid0(VALU_DEP_2) | instskip(NEXT) | instid1(VALU_DEP_1)
	v_and_or_b32 v8, 0x8000, v8, v17
	v_lshl_or_b32 v16, v8, 16, v16
.LBB267_946:                            ;   in Loop: Header=BB267_488 Depth=1
	s_or_b32 exec_lo, exec_lo, s16
.LBB267_947:                            ;   in Loop: Header=BB267_488 Depth=1
	s_delay_alu instid0(SALU_CYCLE_1)
	s_or_b32 exec_lo, exec_lo, s15
.LBB267_948:                            ;   in Loop: Header=BB267_488 Depth=1
	s_delay_alu instid0(SALU_CYCLE_1) | instskip(SKIP_3) | instid1(VALU_DEP_3)
	s_or_b32 exec_lo, exec_lo, s14
	v_dual_lshrrev_b32 v8, 16, v1 :: v_dual_lshrrev_b32 v17, 16, v18
	v_or_b32_e32 v1, v1, v15
	v_dual_lshrrev_b32 v23, 16, v16 :: v_dual_bitop2_b32 v15, v18, v19 bitop3:0x54
	v_cvt_f32_f16_e32 v19, v8
	s_delay_alu instid0(VALU_DEP_4) | instskip(SKIP_1) | instid1(VALU_DEP_4)
	v_cvt_f32_f16_e32 v18, v17
	v_dual_lshrrev_b32 v21, 16, v22 :: v_dual_bitop2_b32 v8, v16, v21 bitop3:0x54
	v_cvt_f32_f16_e32 v16, v15
	v_cvt_f32_f16_e32 v17, v1
	s_wait_loadcnt 0x0
	v_pk_mul_f32 v[18:19], v[14:15], v[18:19] op_sel_hi:[0,1]
	v_cvt_f32_f16_e32 v21, v21
	s_delay_alu instid0(VALU_DEP_2) | instskip(SKIP_3) | instid1(VALU_DEP_2)
	v_cvt_pk_f16_f32 v1, v18, v19
	v_or_b32_e32 v15, v22, v20
	v_cvt_f32_f16_e32 v20, v23
	v_cvt_f32_f16_e32 v22, v8
	v_pk_mul_f32 v[18:19], v[14:15], v[20:21] op_sel_hi:[0,1]
	v_lshlrev_b32_e32 v20, 16, v1
	v_cvt_f32_f16_e32 v23, v15
	v_pk_mul_f32 v[16:17], v[14:15], v[16:17] op_sel_hi:[0,1]
	v_and_b32_e32 v21, 0xffff0000, v1
	s_delay_alu instid0(VALU_DEP_3) | instskip(NEXT) | instid1(VALU_DEP_3)
	v_pk_mul_f32 v[14:15], v[14:15], v[22:23] op_sel_hi:[0,1]
	v_cvt_pk_f16_f32 v8, v16, v17
	v_cvt_pk_f16_f32 v16, v18, v19
	s_delay_alu instid0(VALU_DEP_3) | instskip(NEXT) | instid1(VALU_DEP_3)
	v_cvt_pk_f16_f32 v14, v14, v15
	v_and_b32_e32 v22, 0xffff, v8
	v_lshrrev_b32_e32 v23, 16, v8
	s_delay_alu instid0(VALU_DEP_4) | instskip(NEXT) | instid1(VALU_DEP_4)
	v_and_b32_e32 v1, 0xffff0000, v16
	v_dual_lshlrev_b32 v8, 16, v16 :: v_dual_lshrrev_b32 v19, 16, v14
	v_and_b32_e32 v18, 0xffff, v14
	v_or_b32_e32 v16, v20, v22
	v_or_b32_e32 v17, v21, v23
	s_delay_alu instid0(VALU_DEP_4) | instskip(NEXT) | instid1(VALU_DEP_4)
	v_or_b32_e32 v15, v1, v19
	v_or_b32_e32 v14, v8, v18
	s_and_saveexec_b32 s0, vcc_lo
	s_cbranch_execz .LBB267_487
; %bb.949:                              ;   in Loop: Header=BB267_488 Depth=1
	v_cmp_gt_i32_e32 vcc_lo, s9, v32
	v_cndmask_b32_e32 v14, 0, v23, vcc_lo
	v_cmp_gt_i32_e32 vcc_lo, s23, v41
	v_cndmask_b32_e32 v15, 0, v22, vcc_lo
	;; [unrolled: 2-line block ×4, first 2 shown]
	v_cmp_gt_i32_e32 vcc_lo, s9, v38
	s_delay_alu instid0(VALU_DEP_4) | instskip(NEXT) | instid1(VALU_DEP_3)
	v_or_b32_e32 v17, v16, v14
	v_or_b32_e32 v16, v20, v15
	v_cndmask_b32_e32 v19, 0, v19, vcc_lo
	v_cmp_gt_i32_e32 vcc_lo, s23, v37
	v_cndmask_b32_e32 v18, 0, v18, vcc_lo
	v_cmp_gt_i32_e32 vcc_lo, s9, v36
	;; [unrolled: 2-line block ×3, first 2 shown]
	s_delay_alu instid0(VALU_DEP_2) | instskip(NEXT) | instid1(VALU_DEP_1)
	v_dual_cndmask_b32 v8, 0, v8, vcc_lo :: v_dual_bitop2_b32 v15, v1, v19 bitop3:0x54
	v_or_b32_e32 v14, v8, v18
	s_branch .LBB267_487
.LBB267_950:
	s_or_b32 exec_lo, exec_lo, s8
.LBB267_951:
	s_delay_alu instid0(SALU_CYCLE_1)
	s_or_b32 exec_lo, exec_lo, s1
	ds_bpermute_b32 v10, v30, v6
	ds_bpermute_b32 v11, v30, v7
	ds_bpermute_b32 v12, v30, v4
	ds_bpermute_b32 v13, v30, v5
	ds_bpermute_b32 v14, v30, v2
	ds_bpermute_b32 v15, v30, v3
	ds_bpermute_b32 v8, v30, v31
	v_and_b32_e32 v9, 0x3c1, v0
	v_lshrrev_b32_e32 v1, 1, v29
	s_mov_b32 s0, exec_lo
	s_wait_dscnt 0x0
	s_barrier_signal -1
	s_barrier_wait -1
	v_pk_add_f32 v[6:7], v[6:7], v[10:11]
	v_pk_add_f32 v[4:5], v[4:5], v[12:13]
	;; [unrolled: 1-line block ×3, first 2 shown]
	v_cmpx_ne_u32_e32 64, v9
	s_xor_b32 s0, exec_lo, s0
	s_delay_alu instid0(SALU_CYCLE_1)
	s_or_saveexec_b32 s0, s0
	v_add_f32_e32 v10, v31, v8
	v_lshl_add_u32 v8, v1, 2, 0x100
	v_mul_u32_u24_e32 v9, 0x1c0, v28
	s_xor_b32 exec_lo, exec_lo, s0
	s_cbranch_execz .LBB267_953
; %bb.952:
	s_delay_alu instid0(VALU_DEP_1) | instskip(NEXT) | instid1(VALU_DEP_1)
	v_add_nc_u32_e32 v11, v8, v9
	v_add_nc_u32_e32 v12, 0xfffffc80, v11
	;; [unrolled: 1-line block ×8, first 2 shown]
	ds_store_b32 v12, v6
	ds_store_b32 v13, v7
	;; [unrolled: 1-line block ×7, first 2 shown]
.LBB267_953:
	s_or_b32 exec_lo, exec_lo, s0
	v_lshlrev_b32_e32 v1, 2, v1
	s_mov_b32 s1, exec_lo
	v_cmp_eq_u32_e32 vcc_lo, 0, v27
	s_wait_dscnt 0x0
	s_barrier_signal -1
	v_add3_u32 v1, 0x100, v9, v1
	s_barrier_wait -1
	v_cmpx_gt_u32_e32 64, v0
	s_cbranch_execz .LBB267_963
; %bb.954:
	s_and_saveexec_b32 s0, vcc_lo
	s_cbranch_execnz .LBB267_978
; %bb.955:
	s_or_b32 exec_lo, exec_lo, s0
	s_and_saveexec_b32 s0, vcc_lo
	s_cbranch_execnz .LBB267_979
.LBB267_956:
	s_or_b32 exec_lo, exec_lo, s0
	s_and_saveexec_b32 s0, vcc_lo
	s_cbranch_execnz .LBB267_980
.LBB267_957:
	s_or_b32 exec_lo, exec_lo, s0
	s_and_saveexec_b32 s0, vcc_lo
	s_cbranch_execnz .LBB267_981
.LBB267_958:
	s_or_b32 exec_lo, exec_lo, s0
	s_and_saveexec_b32 s0, vcc_lo
	s_cbranch_execnz .LBB267_982
.LBB267_959:
	s_or_b32 exec_lo, exec_lo, s0
	s_and_saveexec_b32 s0, vcc_lo
	s_cbranch_execnz .LBB267_983
.LBB267_960:
	s_or_b32 exec_lo, exec_lo, s0
	s_and_saveexec_b32 s0, vcc_lo
	s_cbranch_execz .LBB267_962
.LBB267_961:
	ds_load_b32 v9, v1 offset:384
	s_wait_dscnt 0x0
	v_add_f32_e32 v10, v10, v9
.LBB267_962:
	s_or_b32 exec_lo, exec_lo, s0
.LBB267_963:
	s_delay_alu instid0(SALU_CYCLE_1) | instskip(SKIP_4) | instid1(VALU_DEP_1)
	s_or_b32 exec_lo, exec_lo, s1
	v_and_b32_e32 v9, 0x3e1, v0
	s_mov_b32 s1, exec_lo
	s_barrier_signal -1
	s_barrier_wait -1
	v_cmpx_eq_u32_e32 32, v9
	s_cbranch_execz .LBB267_965
; %bb.964:
	ds_store_2addr_b32 v8, v6, v7 offset1:16
	ds_store_2addr_b32 v8, v4, v5 offset0:32 offset1:48
	ds_store_2addr_b32 v8, v2, v3 offset0:64 offset1:80
	ds_store_b32 v8, v10 offset:384
.LBB267_965:
	s_or_b32 exec_lo, exec_lo, s1
	s_delay_alu instid0(SALU_CYCLE_1)
	s_mov_b32 s1, exec_lo
	s_wait_dscnt 0x0
	s_barrier_signal -1
	s_barrier_wait -1
	v_cmpx_gt_u32_e32 32, v0
	s_cbranch_execz .LBB267_975
; %bb.966:
	s_and_saveexec_b32 s0, vcc_lo
	s_cbranch_execnz .LBB267_984
; %bb.967:
	s_or_b32 exec_lo, exec_lo, s0
	s_and_saveexec_b32 s0, vcc_lo
	s_cbranch_execnz .LBB267_985
.LBB267_968:
	s_or_b32 exec_lo, exec_lo, s0
	s_and_saveexec_b32 s0, vcc_lo
	s_cbranch_execnz .LBB267_986
.LBB267_969:
	s_or_b32 exec_lo, exec_lo, s0
	s_and_saveexec_b32 s0, vcc_lo
	s_cbranch_execnz .LBB267_987
.LBB267_970:
	s_or_b32 exec_lo, exec_lo, s0
	s_and_saveexec_b32 s0, vcc_lo
	s_cbranch_execnz .LBB267_988
.LBB267_971:
	s_or_b32 exec_lo, exec_lo, s0
	s_and_saveexec_b32 s0, vcc_lo
	s_cbranch_execnz .LBB267_989
.LBB267_972:
	s_or_b32 exec_lo, exec_lo, s0
	s_and_saveexec_b32 s0, vcc_lo
	s_cbranch_execz .LBB267_974
.LBB267_973:
	ds_load_b32 v0, v1 offset:384
	s_wait_dscnt 0x0
	v_add_f32_e32 v10, v10, v0
.LBB267_974:
	s_or_b32 exec_lo, exec_lo, s0
.LBB267_975:
	s_delay_alu instid0(SALU_CYCLE_1)
	s_or_b32 exec_lo, exec_lo, s1
	s_mov_b32 s1, 0
	s_barrier_signal -1
	s_barrier_wait -1
	s_mov_b32 s0, exec_lo
	v_cmpx_eq_u32_e32 0, v9
	s_cbranch_execz .LBB267_977
; %bb.976:
	s_mul_i32 s0, s22, s13
	s_mul_i32 s2, s13, s12
	;; [unrolled: 1-line block ×3, first 2 shown]
	s_wait_kmcnt 0x0
	s_lshr_b32 s8, ttmp7, 16
	s_mul_i32 s4, s0, 0x70
	s_bfe_u32 s0, ttmp6, 0x40014
	s_ashr_i32 s5, s4, 31
	s_add_co_i32 s0, s0, 1
	s_ashr_i32 s3, s2, 31
	s_mul_i32 s0, s8, s0
	s_bfe_u32 s9, ttmp6, 0x40008
	s_lshl_b64 s[4:5], s[4:5], 1
	s_lshl_b64 s[2:3], s[2:3], 1
	s_add_co_i32 s9, s9, s0
	s_cmp_eq_u32 s20, 0
	s_add_nc_u64 s[4:5], s[6:7], s[4:5]
	s_cselect_b32 s0, s8, s9
	s_add_nc_u64 s[2:3], s[4:5], s[2:3]
	s_mulk_i32 s0, 0xe0
	;;#ASMSTART
	v_cvt_f16_f32 v0, v6;

	;;#ASMEND
	s_add_nc_u64 s[0:1], s[2:3], s[0:1]
	global_store_b16 v26, v0, s[0:1] scale_offset
	s_wait_xcnt 0x0
	;;#ASMSTART
	v_cvt_f16_f32 v0, v7;

	;;#ASMEND
	global_store_b16 v26, v0, s[0:1] offset:32 scale_offset
	s_wait_xcnt 0x0
	;;#ASMSTART
	v_cvt_f16_f32 v0, v4;

	;;#ASMEND
	global_store_b16 v26, v0, s[0:1] offset:64 scale_offset
	;; [unrolled: 6-line block ×6, first 2 shown]
.LBB267_977:
	s_sendmsg sendmsg(MSG_DEALLOC_VGPRS)
	s_endpgm
.LBB267_978:
	ds_load_b32 v9, v1
	s_wait_dscnt 0x0
	v_add_f32_e32 v6, v6, v9
	s_or_b32 exec_lo, exec_lo, s0
	s_and_saveexec_b32 s0, vcc_lo
	s_cbranch_execz .LBB267_956
.LBB267_979:
	ds_load_b32 v9, v1 offset:64
	s_wait_dscnt 0x0
	v_add_f32_e32 v7, v7, v9
	s_or_b32 exec_lo, exec_lo, s0
	s_and_saveexec_b32 s0, vcc_lo
	s_cbranch_execz .LBB267_957
.LBB267_980:
	ds_load_b32 v9, v1 offset:128
	s_wait_dscnt 0x0
	v_add_f32_e32 v4, v4, v9
	s_or_b32 exec_lo, exec_lo, s0
	s_and_saveexec_b32 s0, vcc_lo
	s_cbranch_execz .LBB267_958
.LBB267_981:
	ds_load_b32 v9, v1 offset:192
	s_wait_dscnt 0x0
	v_add_f32_e32 v5, v5, v9
	s_or_b32 exec_lo, exec_lo, s0
	s_and_saveexec_b32 s0, vcc_lo
	s_cbranch_execz .LBB267_959
.LBB267_982:
	ds_load_b32 v9, v1 offset:256
	s_wait_dscnt 0x0
	v_add_f32_e32 v2, v2, v9
	s_or_b32 exec_lo, exec_lo, s0
	s_and_saveexec_b32 s0, vcc_lo
	s_cbranch_execz .LBB267_960
.LBB267_983:
	ds_load_b32 v9, v1 offset:320
	s_wait_dscnt 0x0
	v_add_f32_e32 v3, v3, v9
	s_or_b32 exec_lo, exec_lo, s0
	s_and_saveexec_b32 s0, vcc_lo
	s_cbranch_execnz .LBB267_961
	s_branch .LBB267_962
.LBB267_984:
	ds_load_b32 v0, v1
	s_wait_dscnt 0x0
	v_add_f32_e32 v6, v6, v0
	s_or_b32 exec_lo, exec_lo, s0
	s_and_saveexec_b32 s0, vcc_lo
	s_cbranch_execz .LBB267_968
.LBB267_985:
	ds_load_b32 v0, v1 offset:64
	s_wait_dscnt 0x0
	v_add_f32_e32 v7, v7, v0
	s_or_b32 exec_lo, exec_lo, s0
	s_and_saveexec_b32 s0, vcc_lo
	s_cbranch_execz .LBB267_969
.LBB267_986:
	ds_load_b32 v0, v1 offset:128
	s_wait_dscnt 0x0
	v_add_f32_e32 v4, v4, v0
	s_or_b32 exec_lo, exec_lo, s0
	s_and_saveexec_b32 s0, vcc_lo
	s_cbranch_execz .LBB267_970
.LBB267_987:
	ds_load_b32 v0, v1 offset:192
	s_wait_dscnt 0x0
	v_add_f32_e32 v5, v5, v0
	s_or_b32 exec_lo, exec_lo, s0
	s_and_saveexec_b32 s0, vcc_lo
	s_cbranch_execz .LBB267_971
.LBB267_988:
	ds_load_b32 v0, v1 offset:256
	s_wait_dscnt 0x0
	v_add_f32_e32 v2, v2, v0
	s_or_b32 exec_lo, exec_lo, s0
	s_and_saveexec_b32 s0, vcc_lo
	s_cbranch_execz .LBB267_972
.LBB267_989:
	ds_load_b32 v0, v1 offset:320
	s_wait_dscnt 0x0
	v_add_f32_e32 v3, v3, v0
	s_or_b32 exec_lo, exec_lo, s0
	s_and_saveexec_b32 s0, vcc_lo
	s_cbranch_execnz .LBB267_973
	s_branch .LBB267_974
	.section	.rodata,"a",@progbits
	.p2align	6, 0x0
	.amdhsa_kernel _ZN4vllm25paged_attention_v1_kernelIthLi112ELi16ELi128ELNS_18Fp8KVCacheDataTypeE1ELb0EEEvPT_PKS2_PKT0_S8_ifPKiSA_iPKfiiiSC_SC_iiiii
		.amdhsa_group_segment_fixed_size 256
		.amdhsa_private_segment_fixed_size 0
		.amdhsa_kernarg_size 384
		.amdhsa_user_sgpr_count 2
		.amdhsa_user_sgpr_dispatch_ptr 0
		.amdhsa_user_sgpr_queue_ptr 0
		.amdhsa_user_sgpr_kernarg_segment_ptr 1
		.amdhsa_user_sgpr_dispatch_id 0
		.amdhsa_user_sgpr_kernarg_preload_length 0
		.amdhsa_user_sgpr_kernarg_preload_offset 0
		.amdhsa_user_sgpr_private_segment_size 0
		.amdhsa_wavefront_size32 1
		.amdhsa_uses_dynamic_stack 0
		.amdhsa_enable_private_segment 0
		.amdhsa_system_sgpr_workgroup_id_x 1
		.amdhsa_system_sgpr_workgroup_id_y 1
		.amdhsa_system_sgpr_workgroup_id_z 1
		.amdhsa_system_sgpr_workgroup_info 0
		.amdhsa_system_vgpr_workitem_id 0
		.amdhsa_next_free_vgpr 113
		.amdhsa_next_free_sgpr 32
		.amdhsa_named_barrier_count 0
		.amdhsa_reserve_vcc 1
		.amdhsa_float_round_mode_32 0
		.amdhsa_float_round_mode_16_64 0
		.amdhsa_float_denorm_mode_32 3
		.amdhsa_float_denorm_mode_16_64 3
		.amdhsa_fp16_overflow 0
		.amdhsa_memory_ordered 1
		.amdhsa_forward_progress 1
		.amdhsa_inst_pref_size 255
		.amdhsa_round_robin_scheduling 0
		.amdhsa_exception_fp_ieee_invalid_op 0
		.amdhsa_exception_fp_denorm_src 0
		.amdhsa_exception_fp_ieee_div_zero 0
		.amdhsa_exception_fp_ieee_overflow 0
		.amdhsa_exception_fp_ieee_underflow 0
		.amdhsa_exception_fp_ieee_inexact 0
		.amdhsa_exception_int_div_zero 0
	.end_amdhsa_kernel
	.section	.text._ZN4vllm25paged_attention_v1_kernelIthLi112ELi16ELi128ELNS_18Fp8KVCacheDataTypeE1ELb0EEEvPT_PKS2_PKT0_S8_ifPKiSA_iPKfiiiSC_SC_iiiii,"axG",@progbits,_ZN4vllm25paged_attention_v1_kernelIthLi112ELi16ELi128ELNS_18Fp8KVCacheDataTypeE1ELb0EEEvPT_PKS2_PKT0_S8_ifPKiSA_iPKfiiiSC_SC_iiiii,comdat
.Lfunc_end267:
	.size	_ZN4vllm25paged_attention_v1_kernelIthLi112ELi16ELi128ELNS_18Fp8KVCacheDataTypeE1ELb0EEEvPT_PKS2_PKT0_S8_ifPKiSA_iPKfiiiSC_SC_iiiii, .Lfunc_end267-_ZN4vllm25paged_attention_v1_kernelIthLi112ELi16ELi128ELNS_18Fp8KVCacheDataTypeE1ELb0EEEvPT_PKS2_PKT0_S8_ifPKiSA_iPKfiiiSC_SC_iiiii
                                        ; -- End function
	.set _ZN4vllm25paged_attention_v1_kernelIthLi112ELi16ELi128ELNS_18Fp8KVCacheDataTypeE1ELb0EEEvPT_PKS2_PKT0_S8_ifPKiSA_iPKfiiiSC_SC_iiiii.num_vgpr, 113
	.set _ZN4vllm25paged_attention_v1_kernelIthLi112ELi16ELi128ELNS_18Fp8KVCacheDataTypeE1ELb0EEEvPT_PKS2_PKT0_S8_ifPKiSA_iPKfiiiSC_SC_iiiii.num_agpr, 0
	.set _ZN4vllm25paged_attention_v1_kernelIthLi112ELi16ELi128ELNS_18Fp8KVCacheDataTypeE1ELb0EEEvPT_PKS2_PKT0_S8_ifPKiSA_iPKfiiiSC_SC_iiiii.numbered_sgpr, 32
	.set _ZN4vllm25paged_attention_v1_kernelIthLi112ELi16ELi128ELNS_18Fp8KVCacheDataTypeE1ELb0EEEvPT_PKS2_PKT0_S8_ifPKiSA_iPKfiiiSC_SC_iiiii.num_named_barrier, 0
	.set _ZN4vllm25paged_attention_v1_kernelIthLi112ELi16ELi128ELNS_18Fp8KVCacheDataTypeE1ELb0EEEvPT_PKS2_PKT0_S8_ifPKiSA_iPKfiiiSC_SC_iiiii.private_seg_size, 0
	.set _ZN4vllm25paged_attention_v1_kernelIthLi112ELi16ELi128ELNS_18Fp8KVCacheDataTypeE1ELb0EEEvPT_PKS2_PKT0_S8_ifPKiSA_iPKfiiiSC_SC_iiiii.uses_vcc, 1
	.set _ZN4vllm25paged_attention_v1_kernelIthLi112ELi16ELi128ELNS_18Fp8KVCacheDataTypeE1ELb0EEEvPT_PKS2_PKT0_S8_ifPKiSA_iPKfiiiSC_SC_iiiii.uses_flat_scratch, 0
	.set _ZN4vllm25paged_attention_v1_kernelIthLi112ELi16ELi128ELNS_18Fp8KVCacheDataTypeE1ELb0EEEvPT_PKS2_PKT0_S8_ifPKiSA_iPKfiiiSC_SC_iiiii.has_dyn_sized_stack, 0
	.set _ZN4vllm25paged_attention_v1_kernelIthLi112ELi16ELi128ELNS_18Fp8KVCacheDataTypeE1ELb0EEEvPT_PKS2_PKT0_S8_ifPKiSA_iPKfiiiSC_SC_iiiii.has_recursion, 0
	.set _ZN4vllm25paged_attention_v1_kernelIthLi112ELi16ELi128ELNS_18Fp8KVCacheDataTypeE1ELb0EEEvPT_PKS2_PKT0_S8_ifPKiSA_iPKfiiiSC_SC_iiiii.has_indirect_call, 0
	.section	.AMDGPU.csdata,"",@progbits
; Kernel info:
; codeLenInByte = 34772
; TotalNumSgprs: 34
; NumVgprs: 113
; ScratchSize: 0
; MemoryBound: 0
; FloatMode: 240
; IeeeMode: 1
; LDSByteSize: 256 bytes/workgroup (compile time only)
; SGPRBlocks: 0
; VGPRBlocks: 7
; NumSGPRsForWavesPerEU: 34
; NumVGPRsForWavesPerEU: 113
; NamedBarCnt: 0
; Occupancy: 8
; WaveLimiterHint : 1
; COMPUTE_PGM_RSRC2:SCRATCH_EN: 0
; COMPUTE_PGM_RSRC2:USER_SGPR: 2
; COMPUTE_PGM_RSRC2:TRAP_HANDLER: 0
; COMPUTE_PGM_RSRC2:TGID_X_EN: 1
; COMPUTE_PGM_RSRC2:TGID_Y_EN: 1
; COMPUTE_PGM_RSRC2:TGID_Z_EN: 1
; COMPUTE_PGM_RSRC2:TIDIG_COMP_CNT: 0
	.section	.text._ZN4vllm25paged_attention_v1_kernelIthLi120ELi16ELi128ELNS_18Fp8KVCacheDataTypeE1ELb0EEEvPT_PKS2_PKT0_S8_ifPKiSA_iPKfiiiSC_SC_iiiii,"axG",@progbits,_ZN4vllm25paged_attention_v1_kernelIthLi120ELi16ELi128ELNS_18Fp8KVCacheDataTypeE1ELb0EEEvPT_PKS2_PKT0_S8_ifPKiSA_iPKfiiiSC_SC_iiiii,comdat
	.protected	_ZN4vllm25paged_attention_v1_kernelIthLi120ELi16ELi128ELNS_18Fp8KVCacheDataTypeE1ELb0EEEvPT_PKS2_PKT0_S8_ifPKiSA_iPKfiiiSC_SC_iiiii ; -- Begin function _ZN4vllm25paged_attention_v1_kernelIthLi120ELi16ELi128ELNS_18Fp8KVCacheDataTypeE1ELb0EEEvPT_PKS2_PKT0_S8_ifPKiSA_iPKfiiiSC_SC_iiiii
	.globl	_ZN4vllm25paged_attention_v1_kernelIthLi120ELi16ELi128ELNS_18Fp8KVCacheDataTypeE1ELb0EEEvPT_PKS2_PKT0_S8_ifPKiSA_iPKfiiiSC_SC_iiiii
	.p2align	8
	.type	_ZN4vllm25paged_attention_v1_kernelIthLi120ELi16ELi128ELNS_18Fp8KVCacheDataTypeE1ELb0EEEvPT_PKS2_PKT0_S8_ifPKiSA_iPKfiiiSC_SC_iiiii,@function
_ZN4vllm25paged_attention_v1_kernelIthLi120ELi16ELi128ELNS_18Fp8KVCacheDataTypeE1ELb0EEEvPT_PKS2_PKT0_S8_ifPKiSA_iPKfiiiSC_SC_iiiii: ; @_ZN4vllm25paged_attention_v1_kernelIthLi120ELi16ELi128ELNS_18Fp8KVCacheDataTypeE1ELb0EEEvPT_PKS2_PKT0_S8_ifPKiSA_iPKfiiiSC_SC_iiiii
; %bb.0:
	s_load_b64 s[6:7], s[0:1], 0x20
	s_bfe_u32 s3, ttmp6, 0x4000c
	s_bfe_u32 s5, ttmp6, 0x40010
	s_and_b32 s4, ttmp7, 0xffff
	s_add_co_i32 s3, s3, 1
	s_add_co_i32 s5, s5, 1
	s_and_b32 s2, ttmp6, 15
	s_bfe_u32 s8, ttmp6, 0x40004
	s_mul_i32 s3, ttmp9, s3
	s_mul_i32 s5, s4, s5
	s_getreg_b32 s20, hwreg(HW_REG_IB_STS2, 6, 4)
	s_add_co_i32 s2, s2, s3
	s_add_co_i32 s8, s8, s5
	s_cmp_eq_u32 s20, 0
	s_clause 0x1
	s_load_b32 s21, s[0:1], 0x80
	s_load_b64 s[10:11], s[0:1], 0x30
	s_cselect_b32 s22, s4, s8
	s_cselect_b32 s8, ttmp9, s2
	s_wait_kmcnt 0x0
	s_abs_i32 s2, s6
	s_delay_alu instid0(SALU_CYCLE_1) | instskip(SKIP_1) | instid1(SALU_CYCLE_2)
	s_cvt_f32_u32 s3, s2
	s_sub_co_i32 s4, 0, s2
	v_rcp_iflag_f32_e32 v1, s3
	s_abs_i32 s5, s21
	v_nop
	s_delay_alu instid0(TRANS32_DEP_1) | instskip(SKIP_1) | instid1(SALU_CYCLE_3)
	v_readfirstlane_b32 s3, v1
	s_mul_f32 s3, s3, 0x4f7ffffe
	s_cvt_u32_f32 s3, s3
	s_delay_alu instid0(SALU_CYCLE_3) | instskip(NEXT) | instid1(SALU_CYCLE_1)
	s_mul_i32 s4, s4, s3
	s_mul_hi_u32 s4, s3, s4
	s_delay_alu instid0(SALU_CYCLE_1) | instskip(SKIP_4) | instid1(SALU_CYCLE_1)
	s_add_co_i32 s3, s3, s4
	s_xor_b32 s4, s21, s6
	s_mul_hi_u32 s3, s5, s3
	s_ashr_i32 s4, s4, 31
	s_mul_i32 s6, s3, s2
	s_sub_co_i32 s5, s5, s6
	s_add_co_i32 s6, s3, 1
	s_sub_co_i32 s9, s5, s2
	s_cmp_ge_u32 s5, s2
	s_cselect_b32 s3, s6, s3
	s_cselect_b32 s5, s9, s5
	s_add_co_i32 s6, s3, 1
	s_cmp_ge_u32 s5, s2
	s_cselect_b32 s2, s6, s3
	s_mov_b32 s3, 0
	s_xor_b32 s2, s2, s4
	s_mov_b32 s13, s3
	s_sub_co_i32 s15, s2, s4
	s_load_b64 s[4:5], s[0:1], 0x40
	s_abs_i32 s14, s15
	s_mov_b32 s25, s3
	s_cvt_f32_u32 s2, s14
	s_delay_alu instid0(SALU_CYCLE_3) | instskip(SKIP_1) | instid1(TRANS32_DEP_1)
	v_rcp_iflag_f32_e32 v1, s2
	v_nop
	v_readfirstlane_b32 s2, v1
	s_mul_f32 s2, s2, 0x4f7ffffe
	s_delay_alu instid0(SALU_CYCLE_3) | instskip(SKIP_1) | instid1(SALU_CYCLE_2)
	s_cvt_u32_f32 s6, s2
	s_sub_co_i32 s2, 0, s14
	s_mul_i32 s2, s2, s6
	s_delay_alu instid0(SALU_CYCLE_1)
	s_mul_hi_u32 s9, s6, s2
	s_abs_i32 s2, s8
	s_add_co_i32 s12, s6, s9
	s_wait_kmcnt 0x0
	s_cmp_eq_u64 s[4:5], 0
	s_cbranch_scc1 .LBB268_2
; %bb.1:
	s_ashr_i32 s9, s8, 31
	s_delay_alu instid0(SALU_CYCLE_1) | instskip(NEXT) | instid1(SALU_CYCLE_1)
	s_lshl_b64 s[16:17], s[8:9], 2
	s_add_nc_u64 s[4:5], s[4:5], s[16:17]
	s_load_b32 s25, s[4:5], 0x0
.LBB268_2:
	s_load_b32 s23, s[10:11], s22 offset:0x0 scale_offset
	s_wait_xcnt 0x0
	s_load_b96 s[4:6], s[0:1], 0x48
	v_dual_lshrrev_b32 v32, 1, v0 :: v_dual_bitop2_b32 v33, 1, v0 bitop3:0x40
	s_ashr_i32 s9, s8, 31
	s_ashr_i32 s15, s15, 31
	s_mul_u64 s[10:11], s[2:3], s[12:13]
	s_mul_i32 s12, s8, 0x78
	s_mov_b32 s3, exec_lo
	v_cmpx_gt_u32_e32 30, v0
	s_cbranch_execz .LBB268_4
; %bb.3:
	s_load_b64 s[16:17], s[0:1], 0x8
	s_wait_kmcnt 0x0
	s_mul_i32 s18, s4, s22
	s_ashr_i32 s13, s12, 31
	s_ashr_i32 s19, s18, 31
	v_lshlrev_b32_e32 v1, 3, v32
	s_lshl_b64 s[18:19], s[18:19], 1
	s_delay_alu instid0(VALU_DEP_1) | instskip(SKIP_2) | instid1(SALU_CYCLE_1)
	v_mad_u32_u24 v1, 0x78, v33, v1
	s_add_nc_u64 s[16:17], s[16:17], s[18:19]
	s_lshl_b64 s[18:19], s[12:13], 1
	s_add_nc_u64 s[16:17], s[16:17], s[18:19]
	global_load_b64 v[2:3], v0, s[16:17] scale_offset
	s_wait_loadcnt 0x0
	ds_store_b64 v1, v[2:3]
.LBB268_4:
	s_or_b32 exec_lo, exec_lo, s3
	s_wait_kmcnt 0x0
	s_add_co_i32 s3, s23, 15
	s_load_b32 s4, s[0:1], 0x38
	s_ashr_i32 s8, s3, 31
	s_mul_i32 s10, s11, s14
	s_lshr_b32 s8, s8, 28
	s_sub_co_i32 s2, s2, s10
	s_add_co_i32 s3, s3, s8
	s_xor_b32 s9, s9, s15
	s_ashr_i32 s24, s3, 4
	s_add_co_i32 s3, s11, 1
	s_sub_co_i32 s8, s2, s14
	s_cmp_ge_u32 s2, s14
	v_lshrrev_b32_e32 v34, 5, v0
	s_cselect_b32 s3, s3, s11
	s_cselect_b32 s2, s8, s2
	s_add_co_i32 s8, s3, 1
	s_cmp_ge_u32 s2, s14
	v_mbcnt_lo_u32_b32 v11, -1, 0
	s_cselect_b32 s2, s8, s3
	s_wait_dscnt 0x0
	s_xor_b32 s2, s2, s9
	s_wait_kmcnt 0x0
	s_mul_i32 s14, s4, s22
	s_sub_co_i32 s3, s2, s9
	v_cmp_le_i32_e64 s2, s24, v34
	s_ashr_i32 s15, s14, 31
	s_barrier_signal -1
	s_barrier_wait -1
                                        ; implicit-def: $vgpr3
                                        ; implicit-def: $vgpr12
	s_and_saveexec_b32 s4, s2
	s_delay_alu instid0(SALU_CYCLE_1)
	s_xor_b32 s4, exec_lo, s4
; %bb.5:
	v_dual_mov_b32 v3, 0 :: v_dual_mov_b32 v12, 32
	v_mbcnt_lo_u32_b32 v11, -1, 0
; %bb.6:
	s_or_saveexec_b32 s26, s4
	s_clause 0x2
	s_load_b32 s13, s[0:1], 0x88
	s_load_b64 s[16:17], s[0:1], 0x28
	s_load_b128 s[8:11], s[0:1], 0x58
	v_mov_b32_e32 v13, 0xff7fffff
	v_lshrrev_b32_e32 v1, 3, v0
	s_mul_i32 s18, s3, s6
	s_xor_b32 exec_lo, exec_lo, s26
	s_cbranch_execz .LBB268_492
; %bb.7:
	s_load_b64 s[28:29], s[0:1], 0x10
	v_bfe_u32 v6, v0, 1, 4
	v_mov_b32_e32 v3, 0
	s_ashr_i32 s19, s18, 31
	s_cmp_neq_f32 s25, 0
	v_mul_u32_u24_e32 v14, 0x78, v33
	v_dual_lshlrev_b32 v2, 4, v6 :: v_dual_lshlrev_b32 v7, 2, v6
	s_cselect_b32 s3, -1, 0
	v_lshl_or_b32 v15, v34, 4, v6
	v_dual_mov_b32 v13, 0xff7fffff :: v_dual_mov_b32 v12, 32
	s_mov_b32 s6, 0
	s_sub_co_i32 s27, 1, s23
	v_cmp_eq_u32_e32 vcc_lo, 0, v33
	v_mov_b32_e32 v17, v34
	s_wait_kmcnt 0x0
	s_add_nc_u64 s[28:29], s[28:29], s[18:19]
	s_mov_b32 s19, s5
	v_add_nc_u64_e32 v[4:5], s[28:29], v[2:3]
	v_lshlrev_b32_e32 v2, 2, v33
	v_lshl_or_b32 v7, v34, 6, v7
	s_lshl_b64 s[28:29], s[14:15], 2
	s_delay_alu instid0(SALU_CYCLE_1) | instskip(NEXT) | instid1(VALU_DEP_1)
	s_add_nc_u64 s[28:29], s[16:17], s[28:29]
	v_add_nc_u32_e32 v16, 0x110, v7
	s_delay_alu instid0(VALU_DEP_4) | instskip(SKIP_1) | instid1(VALU_DEP_1)
	v_add_nc_u64_e32 v[4:5], v[4:5], v[2:3]
	v_and_b32_e32 v2, 0x7c, v1
	v_add_nc_u64_e32 v[6:7], s[28:29], v[2:3]
	s_branch .LBB268_9
.LBB268_8:                              ;   in Loop: Header=BB268_9 Depth=1
	s_or_b32 exec_lo, exec_lo, s28
	v_dual_add_nc_u32 v17, 4, v17 :: v_dual_add_nc_u32 v15, 64, v15
	v_add_nc_u64_e32 v[6:7], 16, v[6:7]
	v_add_nc_u32_e32 v16, 0x100, v16
	s_delay_alu instid0(VALU_DEP_3) | instskip(SKIP_1) | instid1(SALU_CYCLE_1)
	v_cmp_le_i32_e64 s4, s24, v17
	s_or_b32 s6, s4, s6
	s_and_not1_b32 exec_lo, exec_lo, s6
	s_cbranch_execz .LBB268_491
.LBB268_9:                              ; =>This Inner Loop Header: Depth=1
	global_load_b32 v2, v[6:7], off
	v_dual_mov_b32 v19, 0 :: v_dual_mov_b32 v20, 0
	s_mov_b32 s28, exec_lo
	global_load_b32 v18, v19, s[8:9]
	s_wait_loadcnt_dscnt 0x100
	v_mad_nc_i64_i32 v[8:9], v2, s19, v[4:5]
	global_load_b32 v10, v[8:9], off
	s_wait_loadcnt 0x0
	v_and_b32_e32 v2, 0xff, v10
	s_wait_xcnt 0x0
	s_delay_alu instid0(VALU_DEP_1)
	v_cmpx_ne_u16_e32 0, v2
	s_cbranch_execz .LBB268_17
; %bb.10:                               ;   in Loop: Header=BB268_9 Depth=1
	v_mov_b32_e32 v20, 0x8000
	s_mov_b32 s29, exec_lo
	v_cmpx_ne_u16_e32 0x80, v2
	s_cbranch_execz .LBB268_16
; %bb.11:                               ;   in Loop: Header=BB268_9 Depth=1
	v_and_b32_e32 v21, 0x7f, v10
	v_mov_b32_e32 v20, 0x7c01
	s_mov_b32 s30, exec_lo
	s_delay_alu instid0(VALU_DEP_2)
	v_cmpx_ne_u32_e32 0x7f, v21
	s_cbranch_execz .LBB268_15
; %bb.12:                               ;   in Loop: Header=BB268_9 Depth=1
	v_dual_lshrrev_b32 v20, 3, v21 :: v_dual_bitop2_b32 v2, 7, v10 bitop3:0x40
	s_mov_b32 s31, exec_lo
	v_cmpx_gt_u32_e32 8, v21
; %bb.13:                               ;   in Loop: Header=BB268_9 Depth=1
	s_delay_alu instid0(VALU_DEP_2) | instskip(NEXT) | instid1(VALU_DEP_1)
	v_clz_i32_u32_e32 v2, v2
	v_min_u32_e32 v2, 32, v2
	s_delay_alu instid0(VALU_DEP_1) | instskip(NEXT) | instid1(VALU_DEP_1)
	v_subrev_nc_u32_e32 v20, 28, v2
	v_lshlrev_b64_e32 v[22:23], v20, v[10:11]
	v_sub_nc_u32_e32 v20, 29, v2
	s_delay_alu instid0(VALU_DEP_2)
	v_and_b32_e32 v2, 7, v22
; %bb.14:                               ;   in Loop: Header=BB268_9 Depth=1
	s_or_b32 exec_lo, exec_lo, s31
	v_lshlrev_b32_e32 v21, 8, v10
	s_delay_alu instid0(VALU_DEP_3) | instskip(NEXT) | instid1(VALU_DEP_3)
	v_lshl_add_u32 v20, v20, 10, 0x2000
	v_lshlrev_b32_e32 v2, 7, v2
	s_delay_alu instid0(VALU_DEP_3) | instskip(NEXT) | instid1(VALU_DEP_3)
	v_and_b32_e32 v21, 0x8000, v21
	v_and_b32_e32 v20, 0xfc00, v20
	s_delay_alu instid0(VALU_DEP_1)
	v_or3_b32 v20, v21, v20, v2
.LBB268_15:                             ;   in Loop: Header=BB268_9 Depth=1
	s_or_b32 exec_lo, exec_lo, s30
.LBB268_16:                             ;   in Loop: Header=BB268_9 Depth=1
	s_delay_alu instid0(SALU_CYCLE_1)
	s_or_b32 exec_lo, exec_lo, s29
.LBB268_17:                             ;   in Loop: Header=BB268_9 Depth=1
	s_delay_alu instid0(SALU_CYCLE_1) | instskip(SKIP_2) | instid1(VALU_DEP_1)
	s_or_b32 exec_lo, exec_lo, s28
	v_lshrrev_b16 v2, 8, v10
	s_mov_b32 s28, exec_lo
	v_cmpx_ne_u16_e32 0, v2
	s_cbranch_execz .LBB268_25
; %bb.18:                               ;   in Loop: Header=BB268_9 Depth=1
	v_bfrev_b32_e32 v19, 1
	s_mov_b32 s29, exec_lo
	v_cmpx_ne_u16_e32 0x80, v2
	s_cbranch_execz .LBB268_24
; %bb.19:                               ;   in Loop: Header=BB268_9 Depth=1
	v_and_b32_e32 v21, 0xffff, v2
	v_mov_b32_e32 v19, 0x7c010000
	s_mov_b32 s30, exec_lo
	s_delay_alu instid0(VALU_DEP_2) | instskip(NEXT) | instid1(VALU_DEP_1)
	v_and_b32_e32 v23, 0x7f, v21
	v_cmpx_ne_u32_e32 0x7f, v23
	s_cbranch_execz .LBB268_23
; %bb.20:                               ;   in Loop: Header=BB268_9 Depth=1
	v_dual_lshrrev_b32 v22, 3, v23 :: v_dual_bitop2_b32 v19, 7, v21 bitop3:0x40
	s_mov_b32 s31, exec_lo
	v_cmpx_gt_u32_e32 8, v23
; %bb.21:                               ;   in Loop: Header=BB268_9 Depth=1
	s_delay_alu instid0(VALU_DEP_2) | instskip(NEXT) | instid1(VALU_DEP_1)
	v_clz_i32_u32_e32 v19, v19
	v_min_u32_e32 v19, 32, v19
	s_delay_alu instid0(VALU_DEP_1) | instskip(NEXT) | instid1(VALU_DEP_1)
	v_subrev_nc_u32_e32 v22, 28, v19
	v_lshlrev_b64_e32 v[24:25], v22, v[2:3]
	s_delay_alu instid0(VALU_DEP_1)
	v_dual_sub_nc_u32 v22, 29, v19 :: v_dual_bitop2_b32 v19, 7, v24 bitop3:0x40
; %bb.22:                               ;   in Loop: Header=BB268_9 Depth=1
	s_or_b32 exec_lo, exec_lo, s31
	s_delay_alu instid0(VALU_DEP_1) | instskip(NEXT) | instid1(VALU_DEP_2)
	v_dual_lshlrev_b32 v2, 8, v21 :: v_dual_lshlrev_b32 v19, 23, v19
	v_lshl_add_u32 v21, v22, 10, 0x2000
	s_delay_alu instid0(VALU_DEP_1) | instskip(NEXT) | instid1(VALU_DEP_1)
	v_and_or_b32 v2, 0x8000, v2, v21
	v_lshl_or_b32 v19, v2, 16, v19
.LBB268_23:                             ;   in Loop: Header=BB268_9 Depth=1
	s_or_b32 exec_lo, exec_lo, s30
.LBB268_24:                             ;   in Loop: Header=BB268_9 Depth=1
	s_delay_alu instid0(SALU_CYCLE_1)
	s_or_b32 exec_lo, exec_lo, s29
.LBB268_25:                             ;   in Loop: Header=BB268_9 Depth=1
	s_delay_alu instid0(SALU_CYCLE_1) | instskip(SKIP_3) | instid1(VALU_DEP_2)
	s_or_b32 exec_lo, exec_lo, s28
	v_dual_mov_b32 v21, 0 :: v_dual_lshrrev_b32 v2, 16, v10
	v_mov_b32_e32 v22, 0
	s_mov_b32 s28, exec_lo
	v_and_b32_e32 v23, 0xff, v2
	s_delay_alu instid0(VALU_DEP_1)
	v_cmpx_ne_u16_e32 0, v23
	s_cbranch_execz .LBB268_33
; %bb.26:                               ;   in Loop: Header=BB268_9 Depth=1
	v_mov_b32_e32 v22, 0x8000
	s_mov_b32 s29, exec_lo
	v_cmpx_ne_u16_e32 0x80, v23
	s_cbranch_execz .LBB268_32
; %bb.27:                               ;   in Loop: Header=BB268_9 Depth=1
	v_bfe_u32 v24, v10, 16, 7
	v_mov_b32_e32 v22, 0x7c01
	s_mov_b32 s30, exec_lo
	s_delay_alu instid0(VALU_DEP_2)
	v_cmpx_ne_u32_e32 0x7f, v24
	s_cbranch_execz .LBB268_31
; %bb.28:                               ;   in Loop: Header=BB268_9 Depth=1
	v_dual_lshrrev_b32 v23, 3, v24 :: v_dual_bitop2_b32 v22, 7, v2 bitop3:0x40
	s_mov_b32 s31, exec_lo
	v_cmpx_gt_u32_e32 8, v24
; %bb.29:                               ;   in Loop: Header=BB268_9 Depth=1
	s_delay_alu instid0(VALU_DEP_2) | instskip(NEXT) | instid1(VALU_DEP_1)
	v_clz_i32_u32_e32 v22, v22
	v_min_u32_e32 v24, 32, v22
	s_delay_alu instid0(VALU_DEP_1) | instskip(NEXT) | instid1(VALU_DEP_1)
	v_subrev_nc_u32_e32 v22, 28, v24
	v_lshlrev_b64_e32 v[22:23], v22, v[2:3]
	s_delay_alu instid0(VALU_DEP_1)
	v_dual_sub_nc_u32 v23, 29, v24 :: v_dual_bitop2_b32 v22, 7, v22 bitop3:0x40
; %bb.30:                               ;   in Loop: Header=BB268_9 Depth=1
	s_or_b32 exec_lo, exec_lo, s31
	v_lshlrev_b32_e32 v2, 8, v2
	s_delay_alu instid0(VALU_DEP_2) | instskip(NEXT) | instid1(VALU_DEP_3)
	v_lshl_add_u32 v23, v23, 10, 0x2000
	v_lshlrev_b32_e32 v22, 7, v22
	s_delay_alu instid0(VALU_DEP_3) | instskip(NEXT) | instid1(VALU_DEP_3)
	v_and_b32_e32 v2, 0x8000, v2
	v_and_b32_e32 v23, 0xfc00, v23
	s_delay_alu instid0(VALU_DEP_1)
	v_or3_b32 v22, v2, v23, v22
.LBB268_31:                             ;   in Loop: Header=BB268_9 Depth=1
	s_or_b32 exec_lo, exec_lo, s30
.LBB268_32:                             ;   in Loop: Header=BB268_9 Depth=1
	s_delay_alu instid0(SALU_CYCLE_1)
	s_or_b32 exec_lo, exec_lo, s29
.LBB268_33:                             ;   in Loop: Header=BB268_9 Depth=1
	s_delay_alu instid0(SALU_CYCLE_1) | instskip(NEXT) | instid1(SALU_CYCLE_1)
	s_or_b32 exec_lo, exec_lo, s28
	s_mov_b32 s28, exec_lo
	v_cmpx_lt_u32_e32 0xffffff, v10
	s_cbranch_execz .LBB268_41
; %bb.34:                               ;   in Loop: Header=BB268_9 Depth=1
	v_lshrrev_b32_e32 v2, 24, v10
	v_bfrev_b32_e32 v21, 1
	s_mov_b32 s29, exec_lo
	s_delay_alu instid0(VALU_DEP_2)
	v_cmpx_ne_u32_e32 0x80, v2
	s_cbranch_execz .LBB268_40
; %bb.35:                               ;   in Loop: Header=BB268_9 Depth=1
	v_and_b32_e32 v23, 0x7f, v2
	v_mov_b32_e32 v21, 0x7c010000
	s_mov_b32 s30, exec_lo
	s_delay_alu instid0(VALU_DEP_2)
	v_cmpx_ne_u32_e32 0x7f, v23
	s_cbranch_execz .LBB268_39
; %bb.36:                               ;   in Loop: Header=BB268_9 Depth=1
	v_dual_lshrrev_b32 v21, 3, v23 :: v_dual_bitop2_b32 v10, 7, v2 bitop3:0x40
	s_mov_b32 s31, exec_lo
	v_cmpx_gt_u32_e32 8, v23
; %bb.37:                               ;   in Loop: Header=BB268_9 Depth=1
	s_delay_alu instid0(VALU_DEP_2) | instskip(NEXT) | instid1(VALU_DEP_1)
	v_clz_i32_u32_e32 v10, v10
	v_min_u32_e32 v10, 32, v10
	s_delay_alu instid0(VALU_DEP_1) | instskip(NEXT) | instid1(VALU_DEP_1)
	v_subrev_nc_u32_e32 v21, 28, v10
	v_lshlrev_b64_e32 v[24:25], v21, v[2:3]
	s_delay_alu instid0(VALU_DEP_1)
	v_dual_sub_nc_u32 v21, 29, v10 :: v_dual_bitop2_b32 v10, 7, v24 bitop3:0x40
; %bb.38:                               ;   in Loop: Header=BB268_9 Depth=1
	s_or_b32 exec_lo, exec_lo, s31
	v_lshlrev_b32_e32 v2, 8, v2
	s_delay_alu instid0(VALU_DEP_2) | instskip(NEXT) | instid1(VALU_DEP_3)
	v_lshl_add_u32 v21, v21, 10, 0x2000
	v_lshlrev_b32_e32 v10, 23, v10
	s_delay_alu instid0(VALU_DEP_2) | instskip(NEXT) | instid1(VALU_DEP_1)
	v_and_or_b32 v2, 0x8000, v2, v21
	v_lshl_or_b32 v21, v2, 16, v10
.LBB268_39:                             ;   in Loop: Header=BB268_9 Depth=1
	s_or_b32 exec_lo, exec_lo, s30
.LBB268_40:                             ;   in Loop: Header=BB268_9 Depth=1
	s_delay_alu instid0(SALU_CYCLE_1)
	s_or_b32 exec_lo, exec_lo, s29
.LBB268_41:                             ;   in Loop: Header=BB268_9 Depth=1
	s_delay_alu instid0(SALU_CYCLE_1)
	s_or_b32 exec_lo, exec_lo, s28
	global_load_b32 v10, v[8:9], off offset:8
	v_dual_mov_b32 v23, 0 :: v_dual_mov_b32 v24, 0
	s_mov_b32 s28, exec_lo
	s_wait_loadcnt 0x0
	v_and_b32_e32 v2, 0xff, v10
	s_delay_alu instid0(VALU_DEP_1)
	v_cmpx_ne_u16_e32 0, v2
	s_cbranch_execz .LBB268_49
; %bb.42:                               ;   in Loop: Header=BB268_9 Depth=1
	v_mov_b32_e32 v24, 0x8000
	s_mov_b32 s29, exec_lo
	v_cmpx_ne_u16_e32 0x80, v2
	s_cbranch_execz .LBB268_48
; %bb.43:                               ;   in Loop: Header=BB268_9 Depth=1
	v_and_b32_e32 v25, 0x7f, v10
	v_mov_b32_e32 v24, 0x7c01
	s_mov_b32 s30, exec_lo
	s_delay_alu instid0(VALU_DEP_2)
	v_cmpx_ne_u32_e32 0x7f, v25
	s_cbranch_execz .LBB268_47
; %bb.44:                               ;   in Loop: Header=BB268_9 Depth=1
	v_dual_lshrrev_b32 v24, 3, v25 :: v_dual_bitop2_b32 v2, 7, v10 bitop3:0x40
	s_mov_b32 s31, exec_lo
	v_cmpx_gt_u32_e32 8, v25
; %bb.45:                               ;   in Loop: Header=BB268_9 Depth=1
	s_delay_alu instid0(VALU_DEP_2) | instskip(NEXT) | instid1(VALU_DEP_1)
	v_clz_i32_u32_e32 v2, v2
	v_min_u32_e32 v2, 32, v2
	s_delay_alu instid0(VALU_DEP_1) | instskip(NEXT) | instid1(VALU_DEP_1)
	v_subrev_nc_u32_e32 v24, 28, v2
	v_lshlrev_b64_e32 v[26:27], v24, v[10:11]
	v_sub_nc_u32_e32 v24, 29, v2
	s_delay_alu instid0(VALU_DEP_2)
	v_and_b32_e32 v2, 7, v26
; %bb.46:                               ;   in Loop: Header=BB268_9 Depth=1
	s_or_b32 exec_lo, exec_lo, s31
	v_lshlrev_b32_e32 v25, 8, v10
	s_delay_alu instid0(VALU_DEP_3) | instskip(NEXT) | instid1(VALU_DEP_3)
	v_lshl_add_u32 v24, v24, 10, 0x2000
	v_lshlrev_b32_e32 v2, 7, v2
	s_delay_alu instid0(VALU_DEP_3) | instskip(NEXT) | instid1(VALU_DEP_3)
	v_and_b32_e32 v25, 0x8000, v25
	v_and_b32_e32 v24, 0xfc00, v24
	s_delay_alu instid0(VALU_DEP_1)
	v_or3_b32 v24, v25, v24, v2
.LBB268_47:                             ;   in Loop: Header=BB268_9 Depth=1
	s_or_b32 exec_lo, exec_lo, s30
.LBB268_48:                             ;   in Loop: Header=BB268_9 Depth=1
	s_delay_alu instid0(SALU_CYCLE_1)
	s_or_b32 exec_lo, exec_lo, s29
.LBB268_49:                             ;   in Loop: Header=BB268_9 Depth=1
	s_delay_alu instid0(SALU_CYCLE_1) | instskip(SKIP_2) | instid1(VALU_DEP_1)
	s_or_b32 exec_lo, exec_lo, s28
	v_lshrrev_b16 v2, 8, v10
	s_mov_b32 s28, exec_lo
	v_cmpx_ne_u16_e32 0, v2
	s_cbranch_execz .LBB268_57
; %bb.50:                               ;   in Loop: Header=BB268_9 Depth=1
	v_bfrev_b32_e32 v23, 1
	s_mov_b32 s29, exec_lo
	v_cmpx_ne_u16_e32 0x80, v2
	s_cbranch_execz .LBB268_56
; %bb.51:                               ;   in Loop: Header=BB268_9 Depth=1
	v_and_b32_e32 v25, 0xffff, v2
	v_mov_b32_e32 v23, 0x7c010000
	s_mov_b32 s30, exec_lo
	s_delay_alu instid0(VALU_DEP_2) | instskip(NEXT) | instid1(VALU_DEP_1)
	v_and_b32_e32 v27, 0x7f, v25
	v_cmpx_ne_u32_e32 0x7f, v27
	s_cbranch_execz .LBB268_55
; %bb.52:                               ;   in Loop: Header=BB268_9 Depth=1
	v_dual_lshrrev_b32 v26, 3, v27 :: v_dual_bitop2_b32 v23, 7, v25 bitop3:0x40
	s_mov_b32 s31, exec_lo
	v_cmpx_gt_u32_e32 8, v27
; %bb.53:                               ;   in Loop: Header=BB268_9 Depth=1
	s_delay_alu instid0(VALU_DEP_2) | instskip(NEXT) | instid1(VALU_DEP_1)
	v_clz_i32_u32_e32 v23, v23
	v_min_u32_e32 v23, 32, v23
	s_delay_alu instid0(VALU_DEP_1) | instskip(NEXT) | instid1(VALU_DEP_1)
	v_subrev_nc_u32_e32 v26, 28, v23
	v_lshlrev_b64_e32 v[28:29], v26, v[2:3]
	s_delay_alu instid0(VALU_DEP_1)
	v_dual_sub_nc_u32 v26, 29, v23 :: v_dual_bitop2_b32 v23, 7, v28 bitop3:0x40
; %bb.54:                               ;   in Loop: Header=BB268_9 Depth=1
	s_or_b32 exec_lo, exec_lo, s31
	s_delay_alu instid0(VALU_DEP_1) | instskip(NEXT) | instid1(VALU_DEP_2)
	v_dual_lshlrev_b32 v2, 8, v25 :: v_dual_lshlrev_b32 v23, 23, v23
	v_lshl_add_u32 v25, v26, 10, 0x2000
	s_delay_alu instid0(VALU_DEP_1) | instskip(NEXT) | instid1(VALU_DEP_1)
	v_and_or_b32 v2, 0x8000, v2, v25
	v_lshl_or_b32 v23, v2, 16, v23
.LBB268_55:                             ;   in Loop: Header=BB268_9 Depth=1
	s_or_b32 exec_lo, exec_lo, s30
.LBB268_56:                             ;   in Loop: Header=BB268_9 Depth=1
	s_delay_alu instid0(SALU_CYCLE_1)
	s_or_b32 exec_lo, exec_lo, s29
.LBB268_57:                             ;   in Loop: Header=BB268_9 Depth=1
	s_delay_alu instid0(SALU_CYCLE_1) | instskip(SKIP_3) | instid1(VALU_DEP_2)
	s_or_b32 exec_lo, exec_lo, s28
	v_dual_mov_b32 v25, 0 :: v_dual_lshrrev_b32 v2, 16, v10
	v_mov_b32_e32 v26, 0
	s_mov_b32 s28, exec_lo
	v_and_b32_e32 v27, 0xff, v2
	s_delay_alu instid0(VALU_DEP_1)
	v_cmpx_ne_u16_e32 0, v27
	s_cbranch_execz .LBB268_65
; %bb.58:                               ;   in Loop: Header=BB268_9 Depth=1
	v_mov_b32_e32 v26, 0x8000
	s_mov_b32 s29, exec_lo
	v_cmpx_ne_u16_e32 0x80, v27
	s_cbranch_execz .LBB268_64
; %bb.59:                               ;   in Loop: Header=BB268_9 Depth=1
	v_bfe_u32 v28, v10, 16, 7
	v_mov_b32_e32 v26, 0x7c01
	s_mov_b32 s30, exec_lo
	s_delay_alu instid0(VALU_DEP_2)
	v_cmpx_ne_u32_e32 0x7f, v28
	s_cbranch_execz .LBB268_63
; %bb.60:                               ;   in Loop: Header=BB268_9 Depth=1
	v_dual_lshrrev_b32 v27, 3, v28 :: v_dual_bitop2_b32 v26, 7, v2 bitop3:0x40
	s_mov_b32 s31, exec_lo
	v_cmpx_gt_u32_e32 8, v28
; %bb.61:                               ;   in Loop: Header=BB268_9 Depth=1
	s_delay_alu instid0(VALU_DEP_2) | instskip(NEXT) | instid1(VALU_DEP_1)
	v_clz_i32_u32_e32 v26, v26
	v_min_u32_e32 v28, 32, v26
	s_delay_alu instid0(VALU_DEP_1) | instskip(NEXT) | instid1(VALU_DEP_1)
	v_subrev_nc_u32_e32 v26, 28, v28
	v_lshlrev_b64_e32 v[26:27], v26, v[2:3]
	s_delay_alu instid0(VALU_DEP_1)
	v_dual_sub_nc_u32 v27, 29, v28 :: v_dual_bitop2_b32 v26, 7, v26 bitop3:0x40
; %bb.62:                               ;   in Loop: Header=BB268_9 Depth=1
	s_or_b32 exec_lo, exec_lo, s31
	v_lshlrev_b32_e32 v2, 8, v2
	s_delay_alu instid0(VALU_DEP_2) | instskip(NEXT) | instid1(VALU_DEP_3)
	v_lshl_add_u32 v27, v27, 10, 0x2000
	v_lshlrev_b32_e32 v26, 7, v26
	s_delay_alu instid0(VALU_DEP_3) | instskip(NEXT) | instid1(VALU_DEP_3)
	v_and_b32_e32 v2, 0x8000, v2
	v_and_b32_e32 v27, 0xfc00, v27
	s_delay_alu instid0(VALU_DEP_1)
	v_or3_b32 v26, v2, v27, v26
.LBB268_63:                             ;   in Loop: Header=BB268_9 Depth=1
	s_or_b32 exec_lo, exec_lo, s30
.LBB268_64:                             ;   in Loop: Header=BB268_9 Depth=1
	s_delay_alu instid0(SALU_CYCLE_1)
	s_or_b32 exec_lo, exec_lo, s29
.LBB268_65:                             ;   in Loop: Header=BB268_9 Depth=1
	s_delay_alu instid0(SALU_CYCLE_1) | instskip(NEXT) | instid1(SALU_CYCLE_1)
	s_or_b32 exec_lo, exec_lo, s28
	s_mov_b32 s28, exec_lo
	v_cmpx_lt_u32_e32 0xffffff, v10
	s_cbranch_execz .LBB268_73
; %bb.66:                               ;   in Loop: Header=BB268_9 Depth=1
	v_lshrrev_b32_e32 v2, 24, v10
	v_bfrev_b32_e32 v25, 1
	s_mov_b32 s29, exec_lo
	s_delay_alu instid0(VALU_DEP_2)
	v_cmpx_ne_u32_e32 0x80, v2
	s_cbranch_execz .LBB268_72
; %bb.67:                               ;   in Loop: Header=BB268_9 Depth=1
	v_and_b32_e32 v27, 0x7f, v2
	v_mov_b32_e32 v25, 0x7c010000
	s_mov_b32 s30, exec_lo
	s_delay_alu instid0(VALU_DEP_2)
	v_cmpx_ne_u32_e32 0x7f, v27
	s_cbranch_execz .LBB268_71
; %bb.68:                               ;   in Loop: Header=BB268_9 Depth=1
	v_dual_lshrrev_b32 v25, 3, v27 :: v_dual_bitop2_b32 v10, 7, v2 bitop3:0x40
	s_mov_b32 s31, exec_lo
	v_cmpx_gt_u32_e32 8, v27
; %bb.69:                               ;   in Loop: Header=BB268_9 Depth=1
	s_delay_alu instid0(VALU_DEP_2) | instskip(NEXT) | instid1(VALU_DEP_1)
	v_clz_i32_u32_e32 v10, v10
	v_min_u32_e32 v10, 32, v10
	s_delay_alu instid0(VALU_DEP_1) | instskip(NEXT) | instid1(VALU_DEP_1)
	v_subrev_nc_u32_e32 v25, 28, v10
	v_lshlrev_b64_e32 v[28:29], v25, v[2:3]
	s_delay_alu instid0(VALU_DEP_1)
	v_dual_sub_nc_u32 v25, 29, v10 :: v_dual_bitop2_b32 v10, 7, v28 bitop3:0x40
; %bb.70:                               ;   in Loop: Header=BB268_9 Depth=1
	s_or_b32 exec_lo, exec_lo, s31
	v_lshlrev_b32_e32 v2, 8, v2
	s_delay_alu instid0(VALU_DEP_2) | instskip(NEXT) | instid1(VALU_DEP_3)
	v_lshl_add_u32 v25, v25, 10, 0x2000
	v_lshlrev_b32_e32 v10, 23, v10
	s_delay_alu instid0(VALU_DEP_2) | instskip(NEXT) | instid1(VALU_DEP_1)
	v_and_or_b32 v2, 0x8000, v2, v25
	v_lshl_or_b32 v25, v2, 16, v10
.LBB268_71:                             ;   in Loop: Header=BB268_9 Depth=1
	s_or_b32 exec_lo, exec_lo, s30
.LBB268_72:                             ;   in Loop: Header=BB268_9 Depth=1
	s_delay_alu instid0(SALU_CYCLE_1)
	s_or_b32 exec_lo, exec_lo, s29
.LBB268_73:                             ;   in Loop: Header=BB268_9 Depth=1
	s_delay_alu instid0(SALU_CYCLE_1)
	s_or_b32 exec_lo, exec_lo, s28
	global_load_b32 v10, v[8:9], off offset:256
	v_dual_mov_b32 v27, 0 :: v_dual_mov_b32 v28, 0
	s_mov_b32 s28, exec_lo
	s_wait_loadcnt 0x0
	v_and_b32_e32 v2, 0xff, v10
	s_delay_alu instid0(VALU_DEP_1)
	v_cmpx_ne_u16_e32 0, v2
	s_cbranch_execz .LBB268_81
; %bb.74:                               ;   in Loop: Header=BB268_9 Depth=1
	v_mov_b32_e32 v28, 0x8000
	s_mov_b32 s29, exec_lo
	v_cmpx_ne_u16_e32 0x80, v2
	s_cbranch_execz .LBB268_80
; %bb.75:                               ;   in Loop: Header=BB268_9 Depth=1
	v_and_b32_e32 v29, 0x7f, v10
	v_mov_b32_e32 v28, 0x7c01
	s_mov_b32 s30, exec_lo
	s_delay_alu instid0(VALU_DEP_2)
	v_cmpx_ne_u32_e32 0x7f, v29
	s_cbranch_execz .LBB268_79
; %bb.76:                               ;   in Loop: Header=BB268_9 Depth=1
	v_dual_lshrrev_b32 v28, 3, v29 :: v_dual_bitop2_b32 v2, 7, v10 bitop3:0x40
	s_mov_b32 s31, exec_lo
	v_cmpx_gt_u32_e32 8, v29
; %bb.77:                               ;   in Loop: Header=BB268_9 Depth=1
	s_delay_alu instid0(VALU_DEP_2) | instskip(NEXT) | instid1(VALU_DEP_1)
	v_clz_i32_u32_e32 v2, v2
	v_min_u32_e32 v2, 32, v2
	s_delay_alu instid0(VALU_DEP_1) | instskip(NEXT) | instid1(VALU_DEP_1)
	v_subrev_nc_u32_e32 v28, 28, v2
	v_lshlrev_b64_e32 v[30:31], v28, v[10:11]
	v_sub_nc_u32_e32 v28, 29, v2
	s_delay_alu instid0(VALU_DEP_2)
	v_and_b32_e32 v2, 7, v30
; %bb.78:                               ;   in Loop: Header=BB268_9 Depth=1
	s_or_b32 exec_lo, exec_lo, s31
	v_lshlrev_b32_e32 v29, 8, v10
	s_delay_alu instid0(VALU_DEP_3) | instskip(NEXT) | instid1(VALU_DEP_3)
	v_lshl_add_u32 v28, v28, 10, 0x2000
	v_lshlrev_b32_e32 v2, 7, v2
	s_delay_alu instid0(VALU_DEP_3) | instskip(NEXT) | instid1(VALU_DEP_3)
	v_and_b32_e32 v29, 0x8000, v29
	v_and_b32_e32 v28, 0xfc00, v28
	s_delay_alu instid0(VALU_DEP_1)
	v_or3_b32 v28, v29, v28, v2
.LBB268_79:                             ;   in Loop: Header=BB268_9 Depth=1
	s_or_b32 exec_lo, exec_lo, s30
.LBB268_80:                             ;   in Loop: Header=BB268_9 Depth=1
	s_delay_alu instid0(SALU_CYCLE_1)
	s_or_b32 exec_lo, exec_lo, s29
.LBB268_81:                             ;   in Loop: Header=BB268_9 Depth=1
	s_delay_alu instid0(SALU_CYCLE_1) | instskip(SKIP_2) | instid1(VALU_DEP_1)
	s_or_b32 exec_lo, exec_lo, s28
	v_lshrrev_b16 v2, 8, v10
	s_mov_b32 s28, exec_lo
	v_cmpx_ne_u16_e32 0, v2
	s_cbranch_execz .LBB268_89
; %bb.82:                               ;   in Loop: Header=BB268_9 Depth=1
	v_bfrev_b32_e32 v27, 1
	s_mov_b32 s29, exec_lo
	v_cmpx_ne_u16_e32 0x80, v2
	s_cbranch_execz .LBB268_88
; %bb.83:                               ;   in Loop: Header=BB268_9 Depth=1
	v_and_b32_e32 v29, 0xffff, v2
	v_mov_b32_e32 v27, 0x7c010000
	s_mov_b32 s30, exec_lo
	s_delay_alu instid0(VALU_DEP_2) | instskip(NEXT) | instid1(VALU_DEP_1)
	v_and_b32_e32 v31, 0x7f, v29
	v_cmpx_ne_u32_e32 0x7f, v31
	s_cbranch_execz .LBB268_87
; %bb.84:                               ;   in Loop: Header=BB268_9 Depth=1
	v_dual_lshrrev_b32 v30, 3, v31 :: v_dual_bitop2_b32 v27, 7, v29 bitop3:0x40
	s_mov_b32 s31, exec_lo
	v_cmpx_gt_u32_e32 8, v31
; %bb.85:                               ;   in Loop: Header=BB268_9 Depth=1
	s_delay_alu instid0(VALU_DEP_2) | instskip(NEXT) | instid1(VALU_DEP_1)
	v_clz_i32_u32_e32 v27, v27
	v_min_u32_e32 v27, 32, v27
	s_delay_alu instid0(VALU_DEP_1) | instskip(NEXT) | instid1(VALU_DEP_1)
	v_subrev_nc_u32_e32 v30, 28, v27
	v_lshlrev_b64_e32 v[36:37], v30, v[2:3]
	s_delay_alu instid0(VALU_DEP_1)
	v_dual_sub_nc_u32 v30, 29, v27 :: v_dual_bitop2_b32 v27, 7, v36 bitop3:0x40
; %bb.86:                               ;   in Loop: Header=BB268_9 Depth=1
	s_or_b32 exec_lo, exec_lo, s31
	s_delay_alu instid0(VALU_DEP_1) | instskip(NEXT) | instid1(VALU_DEP_2)
	v_dual_lshlrev_b32 v2, 8, v29 :: v_dual_lshlrev_b32 v27, 23, v27
	v_lshl_add_u32 v29, v30, 10, 0x2000
	s_delay_alu instid0(VALU_DEP_1) | instskip(NEXT) | instid1(VALU_DEP_1)
	v_and_or_b32 v2, 0x8000, v2, v29
	v_lshl_or_b32 v27, v2, 16, v27
.LBB268_87:                             ;   in Loop: Header=BB268_9 Depth=1
	s_or_b32 exec_lo, exec_lo, s30
.LBB268_88:                             ;   in Loop: Header=BB268_9 Depth=1
	s_delay_alu instid0(SALU_CYCLE_1)
	s_or_b32 exec_lo, exec_lo, s29
.LBB268_89:                             ;   in Loop: Header=BB268_9 Depth=1
	s_delay_alu instid0(SALU_CYCLE_1) | instskip(SKIP_3) | instid1(VALU_DEP_2)
	s_or_b32 exec_lo, exec_lo, s28
	v_dual_mov_b32 v29, 0 :: v_dual_lshrrev_b32 v2, 16, v10
	v_mov_b32_e32 v30, 0
	s_mov_b32 s28, exec_lo
	v_and_b32_e32 v31, 0xff, v2
	s_delay_alu instid0(VALU_DEP_1)
	v_cmpx_ne_u16_e32 0, v31
	s_cbranch_execz .LBB268_97
; %bb.90:                               ;   in Loop: Header=BB268_9 Depth=1
	v_mov_b32_e32 v30, 0x8000
	s_mov_b32 s29, exec_lo
	v_cmpx_ne_u16_e32 0x80, v31
	s_cbranch_execz .LBB268_96
; %bb.91:                               ;   in Loop: Header=BB268_9 Depth=1
	v_bfe_u32 v35, v10, 16, 7
	v_mov_b32_e32 v30, 0x7c01
	s_mov_b32 s30, exec_lo
	s_delay_alu instid0(VALU_DEP_2)
	v_cmpx_ne_u32_e32 0x7f, v35
	s_cbranch_execz .LBB268_95
; %bb.92:                               ;   in Loop: Header=BB268_9 Depth=1
	v_dual_lshrrev_b32 v31, 3, v35 :: v_dual_bitop2_b32 v30, 7, v2 bitop3:0x40
	s_mov_b32 s31, exec_lo
	v_cmpx_gt_u32_e32 8, v35
; %bb.93:                               ;   in Loop: Header=BB268_9 Depth=1
	s_delay_alu instid0(VALU_DEP_2) | instskip(NEXT) | instid1(VALU_DEP_1)
	v_clz_i32_u32_e32 v30, v30
	v_min_u32_e32 v35, 32, v30
	s_delay_alu instid0(VALU_DEP_1) | instskip(NEXT) | instid1(VALU_DEP_1)
	v_subrev_nc_u32_e32 v30, 28, v35
	v_lshlrev_b64_e32 v[30:31], v30, v[2:3]
	s_delay_alu instid0(VALU_DEP_1)
	v_dual_sub_nc_u32 v31, 29, v35 :: v_dual_bitop2_b32 v30, 7, v30 bitop3:0x40
; %bb.94:                               ;   in Loop: Header=BB268_9 Depth=1
	s_or_b32 exec_lo, exec_lo, s31
	v_lshlrev_b32_e32 v2, 8, v2
	s_delay_alu instid0(VALU_DEP_2) | instskip(NEXT) | instid1(VALU_DEP_3)
	v_lshl_add_u32 v31, v31, 10, 0x2000
	v_lshlrev_b32_e32 v30, 7, v30
	s_delay_alu instid0(VALU_DEP_3) | instskip(NEXT) | instid1(VALU_DEP_3)
	v_and_b32_e32 v2, 0x8000, v2
	v_and_b32_e32 v31, 0xfc00, v31
	s_delay_alu instid0(VALU_DEP_1)
	v_or3_b32 v30, v2, v31, v30
.LBB268_95:                             ;   in Loop: Header=BB268_9 Depth=1
	s_or_b32 exec_lo, exec_lo, s30
.LBB268_96:                             ;   in Loop: Header=BB268_9 Depth=1
	s_delay_alu instid0(SALU_CYCLE_1)
	s_or_b32 exec_lo, exec_lo, s29
.LBB268_97:                             ;   in Loop: Header=BB268_9 Depth=1
	s_delay_alu instid0(SALU_CYCLE_1) | instskip(NEXT) | instid1(SALU_CYCLE_1)
	s_or_b32 exec_lo, exec_lo, s28
	s_mov_b32 s28, exec_lo
	v_cmpx_lt_u32_e32 0xffffff, v10
	s_cbranch_execz .LBB268_105
; %bb.98:                               ;   in Loop: Header=BB268_9 Depth=1
	v_lshrrev_b32_e32 v2, 24, v10
	v_bfrev_b32_e32 v29, 1
	s_mov_b32 s29, exec_lo
	s_delay_alu instid0(VALU_DEP_2)
	v_cmpx_ne_u32_e32 0x80, v2
	s_cbranch_execz .LBB268_104
; %bb.99:                               ;   in Loop: Header=BB268_9 Depth=1
	v_and_b32_e32 v31, 0x7f, v2
	v_mov_b32_e32 v29, 0x7c010000
	s_mov_b32 s30, exec_lo
	s_delay_alu instid0(VALU_DEP_2)
	v_cmpx_ne_u32_e32 0x7f, v31
	s_cbranch_execz .LBB268_103
; %bb.100:                              ;   in Loop: Header=BB268_9 Depth=1
	v_dual_lshrrev_b32 v29, 3, v31 :: v_dual_bitop2_b32 v10, 7, v2 bitop3:0x40
	s_mov_b32 s31, exec_lo
	v_cmpx_gt_u32_e32 8, v31
; %bb.101:                              ;   in Loop: Header=BB268_9 Depth=1
	s_delay_alu instid0(VALU_DEP_2) | instskip(NEXT) | instid1(VALU_DEP_1)
	v_clz_i32_u32_e32 v10, v10
	v_min_u32_e32 v10, 32, v10
	s_delay_alu instid0(VALU_DEP_1) | instskip(NEXT) | instid1(VALU_DEP_1)
	v_subrev_nc_u32_e32 v29, 28, v10
	v_lshlrev_b64_e32 v[36:37], v29, v[2:3]
	s_delay_alu instid0(VALU_DEP_1)
	v_dual_sub_nc_u32 v29, 29, v10 :: v_dual_bitop2_b32 v10, 7, v36 bitop3:0x40
; %bb.102:                              ;   in Loop: Header=BB268_9 Depth=1
	s_or_b32 exec_lo, exec_lo, s31
	v_lshlrev_b32_e32 v2, 8, v2
	s_delay_alu instid0(VALU_DEP_2) | instskip(NEXT) | instid1(VALU_DEP_3)
	v_lshl_add_u32 v29, v29, 10, 0x2000
	v_lshlrev_b32_e32 v10, 23, v10
	s_delay_alu instid0(VALU_DEP_2) | instskip(NEXT) | instid1(VALU_DEP_1)
	v_and_or_b32 v2, 0x8000, v2, v29
	v_lshl_or_b32 v29, v2, 16, v10
.LBB268_103:                            ;   in Loop: Header=BB268_9 Depth=1
	s_or_b32 exec_lo, exec_lo, s30
.LBB268_104:                            ;   in Loop: Header=BB268_9 Depth=1
	s_delay_alu instid0(SALU_CYCLE_1)
	s_or_b32 exec_lo, exec_lo, s29
.LBB268_105:                            ;   in Loop: Header=BB268_9 Depth=1
	s_delay_alu instid0(SALU_CYCLE_1)
	s_or_b32 exec_lo, exec_lo, s28
	global_load_b32 v10, v[8:9], off offset:264
	v_dual_mov_b32 v31, 0 :: v_dual_mov_b32 v35, 0
	s_mov_b32 s28, exec_lo
	s_wait_loadcnt 0x0
	v_and_b32_e32 v2, 0xff, v10
	s_delay_alu instid0(VALU_DEP_1)
	v_cmpx_ne_u16_e32 0, v2
	s_cbranch_execz .LBB268_113
; %bb.106:                              ;   in Loop: Header=BB268_9 Depth=1
	v_mov_b32_e32 v35, 0x8000
	s_mov_b32 s29, exec_lo
	v_cmpx_ne_u16_e32 0x80, v2
	s_cbranch_execz .LBB268_112
; %bb.107:                              ;   in Loop: Header=BB268_9 Depth=1
	v_and_b32_e32 v36, 0x7f, v10
	v_mov_b32_e32 v35, 0x7c01
	s_mov_b32 s30, exec_lo
	s_delay_alu instid0(VALU_DEP_2)
	v_cmpx_ne_u32_e32 0x7f, v36
	s_cbranch_execz .LBB268_111
; %bb.108:                              ;   in Loop: Header=BB268_9 Depth=1
	v_dual_lshrrev_b32 v35, 3, v36 :: v_dual_bitop2_b32 v2, 7, v10 bitop3:0x40
	s_mov_b32 s31, exec_lo
	v_cmpx_gt_u32_e32 8, v36
; %bb.109:                              ;   in Loop: Header=BB268_9 Depth=1
	s_delay_alu instid0(VALU_DEP_2) | instskip(NEXT) | instid1(VALU_DEP_1)
	v_clz_i32_u32_e32 v2, v2
	v_min_u32_e32 v2, 32, v2
	s_delay_alu instid0(VALU_DEP_1) | instskip(NEXT) | instid1(VALU_DEP_1)
	v_subrev_nc_u32_e32 v35, 28, v2
	v_lshlrev_b64_e32 v[36:37], v35, v[10:11]
	s_delay_alu instid0(VALU_DEP_1)
	v_dual_sub_nc_u32 v35, 29, v2 :: v_dual_bitop2_b32 v2, 7, v36 bitop3:0x40
; %bb.110:                              ;   in Loop: Header=BB268_9 Depth=1
	s_or_b32 exec_lo, exec_lo, s31
	v_lshlrev_b32_e32 v36, 8, v10
	s_delay_alu instid0(VALU_DEP_2) | instskip(NEXT) | instid1(VALU_DEP_3)
	v_lshl_add_u32 v35, v35, 10, 0x2000
	v_lshlrev_b32_e32 v2, 7, v2
	s_delay_alu instid0(VALU_DEP_3) | instskip(NEXT) | instid1(VALU_DEP_3)
	v_and_b32_e32 v36, 0x8000, v36
	v_and_b32_e32 v35, 0xfc00, v35
	s_delay_alu instid0(VALU_DEP_1)
	v_or3_b32 v35, v36, v35, v2
.LBB268_111:                            ;   in Loop: Header=BB268_9 Depth=1
	s_or_b32 exec_lo, exec_lo, s30
.LBB268_112:                            ;   in Loop: Header=BB268_9 Depth=1
	s_delay_alu instid0(SALU_CYCLE_1)
	s_or_b32 exec_lo, exec_lo, s29
.LBB268_113:                            ;   in Loop: Header=BB268_9 Depth=1
	s_delay_alu instid0(SALU_CYCLE_1) | instskip(SKIP_2) | instid1(VALU_DEP_1)
	s_or_b32 exec_lo, exec_lo, s28
	v_lshrrev_b16 v2, 8, v10
	s_mov_b32 s28, exec_lo
	v_cmpx_ne_u16_e32 0, v2
	s_cbranch_execz .LBB268_121
; %bb.114:                              ;   in Loop: Header=BB268_9 Depth=1
	v_bfrev_b32_e32 v31, 1
	s_mov_b32 s29, exec_lo
	v_cmpx_ne_u16_e32 0x80, v2
	s_cbranch_execz .LBB268_120
; %bb.115:                              ;   in Loop: Header=BB268_9 Depth=1
	v_and_b32_e32 v36, 0xffff, v2
	v_mov_b32_e32 v31, 0x7c010000
	s_mov_b32 s30, exec_lo
	s_delay_alu instid0(VALU_DEP_2) | instskip(NEXT) | instid1(VALU_DEP_1)
	v_and_b32_e32 v38, 0x7f, v36
	v_cmpx_ne_u32_e32 0x7f, v38
	s_cbranch_execz .LBB268_119
; %bb.116:                              ;   in Loop: Header=BB268_9 Depth=1
	v_dual_lshrrev_b32 v37, 3, v38 :: v_dual_bitop2_b32 v31, 7, v36 bitop3:0x40
	s_mov_b32 s31, exec_lo
	v_cmpx_gt_u32_e32 8, v38
; %bb.117:                              ;   in Loop: Header=BB268_9 Depth=1
	s_delay_alu instid0(VALU_DEP_2) | instskip(NEXT) | instid1(VALU_DEP_1)
	v_clz_i32_u32_e32 v31, v31
	v_min_u32_e32 v31, 32, v31
	s_delay_alu instid0(VALU_DEP_1) | instskip(NEXT) | instid1(VALU_DEP_1)
	v_subrev_nc_u32_e32 v37, 28, v31
	v_lshlrev_b64_e32 v[38:39], v37, v[2:3]
	s_delay_alu instid0(VALU_DEP_1)
	v_dual_sub_nc_u32 v37, 29, v31 :: v_dual_bitop2_b32 v31, 7, v38 bitop3:0x40
; %bb.118:                              ;   in Loop: Header=BB268_9 Depth=1
	s_or_b32 exec_lo, exec_lo, s31
	s_delay_alu instid0(VALU_DEP_1) | instskip(NEXT) | instid1(VALU_DEP_2)
	v_dual_lshlrev_b32 v2, 8, v36 :: v_dual_lshlrev_b32 v31, 23, v31
	v_lshl_add_u32 v36, v37, 10, 0x2000
	s_delay_alu instid0(VALU_DEP_1) | instskip(NEXT) | instid1(VALU_DEP_1)
	v_and_or_b32 v2, 0x8000, v2, v36
	v_lshl_or_b32 v31, v2, 16, v31
.LBB268_119:                            ;   in Loop: Header=BB268_9 Depth=1
	s_or_b32 exec_lo, exec_lo, s30
.LBB268_120:                            ;   in Loop: Header=BB268_9 Depth=1
	s_delay_alu instid0(SALU_CYCLE_1)
	s_or_b32 exec_lo, exec_lo, s29
.LBB268_121:                            ;   in Loop: Header=BB268_9 Depth=1
	s_delay_alu instid0(SALU_CYCLE_1) | instskip(SKIP_3) | instid1(VALU_DEP_2)
	s_or_b32 exec_lo, exec_lo, s28
	v_dual_lshrrev_b32 v2, 16, v10 :: v_dual_mov_b32 v36, 0
	v_mov_b32_e32 v37, 0
	s_mov_b32 s28, exec_lo
	v_and_b32_e32 v38, 0xff, v2
	s_delay_alu instid0(VALU_DEP_1)
	v_cmpx_ne_u16_e32 0, v38
	s_cbranch_execz .LBB268_129
; %bb.122:                              ;   in Loop: Header=BB268_9 Depth=1
	v_mov_b32_e32 v37, 0x8000
	s_mov_b32 s29, exec_lo
	v_cmpx_ne_u16_e32 0x80, v38
	s_cbranch_execz .LBB268_128
; %bb.123:                              ;   in Loop: Header=BB268_9 Depth=1
	v_bfe_u32 v39, v10, 16, 7
	v_mov_b32_e32 v37, 0x7c01
	s_mov_b32 s30, exec_lo
	s_delay_alu instid0(VALU_DEP_2)
	v_cmpx_ne_u32_e32 0x7f, v39
	s_cbranch_execz .LBB268_127
; %bb.124:                              ;   in Loop: Header=BB268_9 Depth=1
	v_dual_lshrrev_b32 v38, 3, v39 :: v_dual_bitop2_b32 v37, 7, v2 bitop3:0x40
	s_mov_b32 s31, exec_lo
	v_cmpx_gt_u32_e32 8, v39
; %bb.125:                              ;   in Loop: Header=BB268_9 Depth=1
	s_delay_alu instid0(VALU_DEP_2) | instskip(NEXT) | instid1(VALU_DEP_1)
	v_clz_i32_u32_e32 v37, v37
	v_min_u32_e32 v37, 32, v37
	s_delay_alu instid0(VALU_DEP_1) | instskip(NEXT) | instid1(VALU_DEP_1)
	v_subrev_nc_u32_e32 v38, 28, v37
	v_lshlrev_b64_e32 v[40:41], v38, v[2:3]
	s_delay_alu instid0(VALU_DEP_1)
	v_dual_sub_nc_u32 v38, 29, v37 :: v_dual_bitop2_b32 v37, 7, v40 bitop3:0x40
; %bb.126:                              ;   in Loop: Header=BB268_9 Depth=1
	s_or_b32 exec_lo, exec_lo, s31
	s_delay_alu instid0(VALU_DEP_1) | instskip(NEXT) | instid1(VALU_DEP_2)
	v_dual_lshlrev_b32 v2, 8, v2 :: v_dual_lshlrev_b32 v37, 7, v37
	v_lshl_add_u32 v38, v38, 10, 0x2000
	s_delay_alu instid0(VALU_DEP_2) | instskip(NEXT) | instid1(VALU_DEP_2)
	v_and_b32_e32 v2, 0x8000, v2
	v_and_b32_e32 v38, 0xfc00, v38
	s_delay_alu instid0(VALU_DEP_1)
	v_or3_b32 v37, v2, v38, v37
.LBB268_127:                            ;   in Loop: Header=BB268_9 Depth=1
	s_or_b32 exec_lo, exec_lo, s30
.LBB268_128:                            ;   in Loop: Header=BB268_9 Depth=1
	s_delay_alu instid0(SALU_CYCLE_1)
	s_or_b32 exec_lo, exec_lo, s29
.LBB268_129:                            ;   in Loop: Header=BB268_9 Depth=1
	s_delay_alu instid0(SALU_CYCLE_1) | instskip(NEXT) | instid1(SALU_CYCLE_1)
	s_or_b32 exec_lo, exec_lo, s28
	s_mov_b32 s28, exec_lo
	v_cmpx_lt_u32_e32 0xffffff, v10
	s_cbranch_execz .LBB268_137
; %bb.130:                              ;   in Loop: Header=BB268_9 Depth=1
	v_lshrrev_b32_e32 v2, 24, v10
	v_bfrev_b32_e32 v36, 1
	s_mov_b32 s29, exec_lo
	s_delay_alu instid0(VALU_DEP_2)
	v_cmpx_ne_u32_e32 0x80, v2
	s_cbranch_execz .LBB268_136
; %bb.131:                              ;   in Loop: Header=BB268_9 Depth=1
	v_and_b32_e32 v38, 0x7f, v2
	v_mov_b32_e32 v36, 0x7c010000
	s_mov_b32 s30, exec_lo
	s_delay_alu instid0(VALU_DEP_2)
	v_cmpx_ne_u32_e32 0x7f, v38
	s_cbranch_execz .LBB268_135
; %bb.132:                              ;   in Loop: Header=BB268_9 Depth=1
	v_and_b32_e32 v10, 7, v2
	v_lshrrev_b32_e32 v36, 3, v38
	s_mov_b32 s31, exec_lo
	v_cmpx_gt_u32_e32 8, v38
; %bb.133:                              ;   in Loop: Header=BB268_9 Depth=1
	s_delay_alu instid0(VALU_DEP_3) | instskip(NEXT) | instid1(VALU_DEP_1)
	v_clz_i32_u32_e32 v10, v10
	v_min_u32_e32 v10, 32, v10
	s_delay_alu instid0(VALU_DEP_1) | instskip(NEXT) | instid1(VALU_DEP_1)
	v_subrev_nc_u32_e32 v36, 28, v10
	v_lshlrev_b64_e32 v[38:39], v36, v[2:3]
	v_sub_nc_u32_e32 v36, 29, v10
	s_delay_alu instid0(VALU_DEP_2)
	v_and_b32_e32 v10, 7, v38
; %bb.134:                              ;   in Loop: Header=BB268_9 Depth=1
	s_or_b32 exec_lo, exec_lo, s31
	v_lshlrev_b32_e32 v2, 8, v2
	s_delay_alu instid0(VALU_DEP_3) | instskip(NEXT) | instid1(VALU_DEP_3)
	v_lshl_add_u32 v36, v36, 10, 0x2000
	v_lshlrev_b32_e32 v10, 23, v10
	s_delay_alu instid0(VALU_DEP_2) | instskip(NEXT) | instid1(VALU_DEP_1)
	v_and_or_b32 v2, 0x8000, v2, v36
	v_lshl_or_b32 v36, v2, 16, v10
.LBB268_135:                            ;   in Loop: Header=BB268_9 Depth=1
	s_or_b32 exec_lo, exec_lo, s30
.LBB268_136:                            ;   in Loop: Header=BB268_9 Depth=1
	s_delay_alu instid0(SALU_CYCLE_1)
	s_or_b32 exec_lo, exec_lo, s29
.LBB268_137:                            ;   in Loop: Header=BB268_9 Depth=1
	s_delay_alu instid0(SALU_CYCLE_1)
	s_or_b32 exec_lo, exec_lo, s28
	global_load_b32 v10, v[8:9], off offset:512
	v_dual_mov_b32 v38, 0 :: v_dual_mov_b32 v39, 0
	s_mov_b32 s28, exec_lo
	s_wait_loadcnt 0x0
	v_and_b32_e32 v2, 0xff, v10
	s_delay_alu instid0(VALU_DEP_1)
	v_cmpx_ne_u16_e32 0, v2
	s_cbranch_execz .LBB268_145
; %bb.138:                              ;   in Loop: Header=BB268_9 Depth=1
	v_mov_b32_e32 v39, 0x8000
	s_mov_b32 s29, exec_lo
	v_cmpx_ne_u16_e32 0x80, v2
	s_cbranch_execz .LBB268_144
; %bb.139:                              ;   in Loop: Header=BB268_9 Depth=1
	v_and_b32_e32 v40, 0x7f, v10
	v_mov_b32_e32 v39, 0x7c01
	s_mov_b32 s30, exec_lo
	s_delay_alu instid0(VALU_DEP_2)
	v_cmpx_ne_u32_e32 0x7f, v40
	s_cbranch_execz .LBB268_143
; %bb.140:                              ;   in Loop: Header=BB268_9 Depth=1
	v_dual_lshrrev_b32 v39, 3, v40 :: v_dual_bitop2_b32 v2, 7, v10 bitop3:0x40
	s_mov_b32 s31, exec_lo
	v_cmpx_gt_u32_e32 8, v40
; %bb.141:                              ;   in Loop: Header=BB268_9 Depth=1
	s_delay_alu instid0(VALU_DEP_2) | instskip(NEXT) | instid1(VALU_DEP_1)
	v_clz_i32_u32_e32 v2, v2
	v_min_u32_e32 v2, 32, v2
	s_delay_alu instid0(VALU_DEP_1) | instskip(NEXT) | instid1(VALU_DEP_1)
	v_subrev_nc_u32_e32 v39, 28, v2
	v_lshlrev_b64_e32 v[40:41], v39, v[10:11]
	s_delay_alu instid0(VALU_DEP_1)
	v_dual_sub_nc_u32 v39, 29, v2 :: v_dual_bitop2_b32 v2, 7, v40 bitop3:0x40
; %bb.142:                              ;   in Loop: Header=BB268_9 Depth=1
	s_or_b32 exec_lo, exec_lo, s31
	v_lshlrev_b32_e32 v40, 8, v10
	s_delay_alu instid0(VALU_DEP_2) | instskip(NEXT) | instid1(VALU_DEP_3)
	v_lshl_add_u32 v39, v39, 10, 0x2000
	v_lshlrev_b32_e32 v2, 7, v2
	s_delay_alu instid0(VALU_DEP_3) | instskip(NEXT) | instid1(VALU_DEP_3)
	v_and_b32_e32 v40, 0x8000, v40
	v_and_b32_e32 v39, 0xfc00, v39
	s_delay_alu instid0(VALU_DEP_1)
	v_or3_b32 v39, v40, v39, v2
.LBB268_143:                            ;   in Loop: Header=BB268_9 Depth=1
	s_or_b32 exec_lo, exec_lo, s30
.LBB268_144:                            ;   in Loop: Header=BB268_9 Depth=1
	s_delay_alu instid0(SALU_CYCLE_1)
	s_or_b32 exec_lo, exec_lo, s29
.LBB268_145:                            ;   in Loop: Header=BB268_9 Depth=1
	s_delay_alu instid0(SALU_CYCLE_1) | instskip(SKIP_2) | instid1(VALU_DEP_1)
	s_or_b32 exec_lo, exec_lo, s28
	v_lshrrev_b16 v2, 8, v10
	s_mov_b32 s28, exec_lo
	v_cmpx_ne_u16_e32 0, v2
	s_cbranch_execz .LBB268_153
; %bb.146:                              ;   in Loop: Header=BB268_9 Depth=1
	v_bfrev_b32_e32 v38, 1
	s_mov_b32 s29, exec_lo
	v_cmpx_ne_u16_e32 0x80, v2
	s_cbranch_execz .LBB268_152
; %bb.147:                              ;   in Loop: Header=BB268_9 Depth=1
	v_and_b32_e32 v40, 0xffff, v2
	v_mov_b32_e32 v38, 0x7c010000
	s_mov_b32 s30, exec_lo
	s_delay_alu instid0(VALU_DEP_2) | instskip(NEXT) | instid1(VALU_DEP_1)
	v_and_b32_e32 v42, 0x7f, v40
	v_cmpx_ne_u32_e32 0x7f, v42
	s_cbranch_execz .LBB268_151
; %bb.148:                              ;   in Loop: Header=BB268_9 Depth=1
	v_dual_lshrrev_b32 v41, 3, v42 :: v_dual_bitop2_b32 v38, 7, v40 bitop3:0x40
	s_mov_b32 s31, exec_lo
	v_cmpx_gt_u32_e32 8, v42
; %bb.149:                              ;   in Loop: Header=BB268_9 Depth=1
	s_delay_alu instid0(VALU_DEP_2) | instskip(NEXT) | instid1(VALU_DEP_1)
	v_clz_i32_u32_e32 v38, v38
	v_min_u32_e32 v38, 32, v38
	s_delay_alu instid0(VALU_DEP_1) | instskip(NEXT) | instid1(VALU_DEP_1)
	v_subrev_nc_u32_e32 v41, 28, v38
	v_lshlrev_b64_e32 v[42:43], v41, v[2:3]
	v_sub_nc_u32_e32 v41, 29, v38
	s_delay_alu instid0(VALU_DEP_2)
	v_and_b32_e32 v38, 7, v42
; %bb.150:                              ;   in Loop: Header=BB268_9 Depth=1
	s_or_b32 exec_lo, exec_lo, s31
	s_delay_alu instid0(VALU_DEP_1) | instskip(NEXT) | instid1(VALU_DEP_3)
	v_dual_lshlrev_b32 v2, 8, v40 :: v_dual_lshlrev_b32 v38, 23, v38
	v_lshl_add_u32 v40, v41, 10, 0x2000
	s_delay_alu instid0(VALU_DEP_1) | instskip(NEXT) | instid1(VALU_DEP_1)
	v_and_or_b32 v2, 0x8000, v2, v40
	v_lshl_or_b32 v38, v2, 16, v38
.LBB268_151:                            ;   in Loop: Header=BB268_9 Depth=1
	s_or_b32 exec_lo, exec_lo, s30
.LBB268_152:                            ;   in Loop: Header=BB268_9 Depth=1
	s_delay_alu instid0(SALU_CYCLE_1)
	s_or_b32 exec_lo, exec_lo, s29
.LBB268_153:                            ;   in Loop: Header=BB268_9 Depth=1
	s_delay_alu instid0(SALU_CYCLE_1) | instskip(SKIP_3) | instid1(VALU_DEP_2)
	s_or_b32 exec_lo, exec_lo, s28
	v_dual_lshrrev_b32 v2, 16, v10 :: v_dual_mov_b32 v40, 0
	v_mov_b32_e32 v41, 0
	s_mov_b32 s28, exec_lo
	v_and_b32_e32 v42, 0xff, v2
	s_delay_alu instid0(VALU_DEP_1)
	v_cmpx_ne_u16_e32 0, v42
	s_cbranch_execz .LBB268_161
; %bb.154:                              ;   in Loop: Header=BB268_9 Depth=1
	v_mov_b32_e32 v41, 0x8000
	s_mov_b32 s29, exec_lo
	v_cmpx_ne_u16_e32 0x80, v42
	s_cbranch_execz .LBB268_160
; %bb.155:                              ;   in Loop: Header=BB268_9 Depth=1
	v_bfe_u32 v43, v10, 16, 7
	v_mov_b32_e32 v41, 0x7c01
	s_mov_b32 s30, exec_lo
	s_delay_alu instid0(VALU_DEP_2)
	v_cmpx_ne_u32_e32 0x7f, v43
	s_cbranch_execz .LBB268_159
; %bb.156:                              ;   in Loop: Header=BB268_9 Depth=1
	v_dual_lshrrev_b32 v42, 3, v43 :: v_dual_bitop2_b32 v41, 7, v2 bitop3:0x40
	s_mov_b32 s31, exec_lo
	v_cmpx_gt_u32_e32 8, v43
; %bb.157:                              ;   in Loop: Header=BB268_9 Depth=1
	s_delay_alu instid0(VALU_DEP_2) | instskip(NEXT) | instid1(VALU_DEP_1)
	v_clz_i32_u32_e32 v41, v41
	v_min_u32_e32 v41, 32, v41
	s_delay_alu instid0(VALU_DEP_1) | instskip(NEXT) | instid1(VALU_DEP_1)
	v_subrev_nc_u32_e32 v42, 28, v41
	v_lshlrev_b64_e32 v[44:45], v42, v[2:3]
	s_delay_alu instid0(VALU_DEP_1)
	v_dual_sub_nc_u32 v42, 29, v41 :: v_dual_bitop2_b32 v41, 7, v44 bitop3:0x40
; %bb.158:                              ;   in Loop: Header=BB268_9 Depth=1
	s_or_b32 exec_lo, exec_lo, s31
	s_delay_alu instid0(VALU_DEP_1) | instskip(NEXT) | instid1(VALU_DEP_2)
	v_dual_lshlrev_b32 v2, 8, v2 :: v_dual_lshlrev_b32 v41, 7, v41
	v_lshl_add_u32 v42, v42, 10, 0x2000
	s_delay_alu instid0(VALU_DEP_2) | instskip(NEXT) | instid1(VALU_DEP_2)
	v_and_b32_e32 v2, 0x8000, v2
	v_and_b32_e32 v42, 0xfc00, v42
	s_delay_alu instid0(VALU_DEP_1)
	v_or3_b32 v41, v2, v42, v41
.LBB268_159:                            ;   in Loop: Header=BB268_9 Depth=1
	s_or_b32 exec_lo, exec_lo, s30
.LBB268_160:                            ;   in Loop: Header=BB268_9 Depth=1
	s_delay_alu instid0(SALU_CYCLE_1)
	s_or_b32 exec_lo, exec_lo, s29
.LBB268_161:                            ;   in Loop: Header=BB268_9 Depth=1
	s_delay_alu instid0(SALU_CYCLE_1) | instskip(NEXT) | instid1(SALU_CYCLE_1)
	s_or_b32 exec_lo, exec_lo, s28
	s_mov_b32 s28, exec_lo
	v_cmpx_lt_u32_e32 0xffffff, v10
	s_cbranch_execz .LBB268_169
; %bb.162:                              ;   in Loop: Header=BB268_9 Depth=1
	v_lshrrev_b32_e32 v2, 24, v10
	v_bfrev_b32_e32 v40, 1
	s_mov_b32 s29, exec_lo
	s_delay_alu instid0(VALU_DEP_2)
	v_cmpx_ne_u32_e32 0x80, v2
	s_cbranch_execz .LBB268_168
; %bb.163:                              ;   in Loop: Header=BB268_9 Depth=1
	v_and_b32_e32 v42, 0x7f, v2
	v_mov_b32_e32 v40, 0x7c010000
	s_mov_b32 s30, exec_lo
	s_delay_alu instid0(VALU_DEP_2)
	v_cmpx_ne_u32_e32 0x7f, v42
	s_cbranch_execz .LBB268_167
; %bb.164:                              ;   in Loop: Header=BB268_9 Depth=1
	v_and_b32_e32 v10, 7, v2
	v_lshrrev_b32_e32 v40, 3, v42
	s_mov_b32 s31, exec_lo
	v_cmpx_gt_u32_e32 8, v42
; %bb.165:                              ;   in Loop: Header=BB268_9 Depth=1
	s_delay_alu instid0(VALU_DEP_3) | instskip(NEXT) | instid1(VALU_DEP_1)
	v_clz_i32_u32_e32 v10, v10
	v_min_u32_e32 v10, 32, v10
	s_delay_alu instid0(VALU_DEP_1) | instskip(NEXT) | instid1(VALU_DEP_1)
	v_subrev_nc_u32_e32 v40, 28, v10
	v_lshlrev_b64_e32 v[42:43], v40, v[2:3]
	v_sub_nc_u32_e32 v40, 29, v10
	s_delay_alu instid0(VALU_DEP_2)
	v_and_b32_e32 v10, 7, v42
; %bb.166:                              ;   in Loop: Header=BB268_9 Depth=1
	s_or_b32 exec_lo, exec_lo, s31
	v_lshlrev_b32_e32 v2, 8, v2
	s_delay_alu instid0(VALU_DEP_3) | instskip(NEXT) | instid1(VALU_DEP_3)
	v_lshl_add_u32 v40, v40, 10, 0x2000
	v_lshlrev_b32_e32 v10, 23, v10
	s_delay_alu instid0(VALU_DEP_2) | instskip(NEXT) | instid1(VALU_DEP_1)
	v_and_or_b32 v2, 0x8000, v2, v40
	v_lshl_or_b32 v40, v2, 16, v10
.LBB268_167:                            ;   in Loop: Header=BB268_9 Depth=1
	s_or_b32 exec_lo, exec_lo, s30
.LBB268_168:                            ;   in Loop: Header=BB268_9 Depth=1
	s_delay_alu instid0(SALU_CYCLE_1)
	s_or_b32 exec_lo, exec_lo, s29
.LBB268_169:                            ;   in Loop: Header=BB268_9 Depth=1
	s_delay_alu instid0(SALU_CYCLE_1)
	s_or_b32 exec_lo, exec_lo, s28
	global_load_b32 v10, v[8:9], off offset:520
	v_dual_mov_b32 v42, 0 :: v_dual_mov_b32 v43, 0
	s_mov_b32 s28, exec_lo
	s_wait_loadcnt 0x0
	v_and_b32_e32 v2, 0xff, v10
	s_delay_alu instid0(VALU_DEP_1)
	v_cmpx_ne_u16_e32 0, v2
	s_cbranch_execz .LBB268_177
; %bb.170:                              ;   in Loop: Header=BB268_9 Depth=1
	v_mov_b32_e32 v43, 0x8000
	s_mov_b32 s29, exec_lo
	v_cmpx_ne_u16_e32 0x80, v2
	s_cbranch_execz .LBB268_176
; %bb.171:                              ;   in Loop: Header=BB268_9 Depth=1
	v_and_b32_e32 v44, 0x7f, v10
	v_mov_b32_e32 v43, 0x7c01
	s_mov_b32 s30, exec_lo
	s_delay_alu instid0(VALU_DEP_2)
	v_cmpx_ne_u32_e32 0x7f, v44
	s_cbranch_execz .LBB268_175
; %bb.172:                              ;   in Loop: Header=BB268_9 Depth=1
	v_dual_lshrrev_b32 v43, 3, v44 :: v_dual_bitop2_b32 v2, 7, v10 bitop3:0x40
	s_mov_b32 s31, exec_lo
	v_cmpx_gt_u32_e32 8, v44
; %bb.173:                              ;   in Loop: Header=BB268_9 Depth=1
	s_delay_alu instid0(VALU_DEP_2) | instskip(NEXT) | instid1(VALU_DEP_1)
	v_clz_i32_u32_e32 v2, v2
	v_min_u32_e32 v2, 32, v2
	s_delay_alu instid0(VALU_DEP_1) | instskip(NEXT) | instid1(VALU_DEP_1)
	v_subrev_nc_u32_e32 v43, 28, v2
	v_lshlrev_b64_e32 v[44:45], v43, v[10:11]
	s_delay_alu instid0(VALU_DEP_1)
	v_dual_sub_nc_u32 v43, 29, v2 :: v_dual_bitop2_b32 v2, 7, v44 bitop3:0x40
; %bb.174:                              ;   in Loop: Header=BB268_9 Depth=1
	s_or_b32 exec_lo, exec_lo, s31
	v_lshlrev_b32_e32 v44, 8, v10
	s_delay_alu instid0(VALU_DEP_2) | instskip(NEXT) | instid1(VALU_DEP_3)
	v_lshl_add_u32 v43, v43, 10, 0x2000
	v_lshlrev_b32_e32 v2, 7, v2
	s_delay_alu instid0(VALU_DEP_3) | instskip(NEXT) | instid1(VALU_DEP_3)
	v_and_b32_e32 v44, 0x8000, v44
	v_and_b32_e32 v43, 0xfc00, v43
	s_delay_alu instid0(VALU_DEP_1)
	v_or3_b32 v43, v44, v43, v2
.LBB268_175:                            ;   in Loop: Header=BB268_9 Depth=1
	s_or_b32 exec_lo, exec_lo, s30
.LBB268_176:                            ;   in Loop: Header=BB268_9 Depth=1
	s_delay_alu instid0(SALU_CYCLE_1)
	s_or_b32 exec_lo, exec_lo, s29
.LBB268_177:                            ;   in Loop: Header=BB268_9 Depth=1
	s_delay_alu instid0(SALU_CYCLE_1) | instskip(SKIP_2) | instid1(VALU_DEP_1)
	s_or_b32 exec_lo, exec_lo, s28
	v_lshrrev_b16 v2, 8, v10
	s_mov_b32 s28, exec_lo
	v_cmpx_ne_u16_e32 0, v2
	s_cbranch_execz .LBB268_185
; %bb.178:                              ;   in Loop: Header=BB268_9 Depth=1
	v_bfrev_b32_e32 v42, 1
	s_mov_b32 s29, exec_lo
	v_cmpx_ne_u16_e32 0x80, v2
	s_cbranch_execz .LBB268_184
; %bb.179:                              ;   in Loop: Header=BB268_9 Depth=1
	v_and_b32_e32 v44, 0xffff, v2
	v_mov_b32_e32 v42, 0x7c010000
	s_mov_b32 s30, exec_lo
	s_delay_alu instid0(VALU_DEP_2) | instskip(NEXT) | instid1(VALU_DEP_1)
	v_and_b32_e32 v46, 0x7f, v44
	v_cmpx_ne_u32_e32 0x7f, v46
	s_cbranch_execz .LBB268_183
; %bb.180:                              ;   in Loop: Header=BB268_9 Depth=1
	v_dual_lshrrev_b32 v45, 3, v46 :: v_dual_bitop2_b32 v42, 7, v44 bitop3:0x40
	s_mov_b32 s31, exec_lo
	v_cmpx_gt_u32_e32 8, v46
; %bb.181:                              ;   in Loop: Header=BB268_9 Depth=1
	s_delay_alu instid0(VALU_DEP_2) | instskip(NEXT) | instid1(VALU_DEP_1)
	v_clz_i32_u32_e32 v42, v42
	v_min_u32_e32 v42, 32, v42
	s_delay_alu instid0(VALU_DEP_1) | instskip(NEXT) | instid1(VALU_DEP_1)
	v_subrev_nc_u32_e32 v45, 28, v42
	v_lshlrev_b64_e32 v[46:47], v45, v[2:3]
	v_sub_nc_u32_e32 v45, 29, v42
	s_delay_alu instid0(VALU_DEP_2)
	v_and_b32_e32 v42, 7, v46
; %bb.182:                              ;   in Loop: Header=BB268_9 Depth=1
	s_or_b32 exec_lo, exec_lo, s31
	s_delay_alu instid0(VALU_DEP_1) | instskip(NEXT) | instid1(VALU_DEP_3)
	v_dual_lshlrev_b32 v2, 8, v44 :: v_dual_lshlrev_b32 v42, 23, v42
	v_lshl_add_u32 v44, v45, 10, 0x2000
	s_delay_alu instid0(VALU_DEP_1) | instskip(NEXT) | instid1(VALU_DEP_1)
	v_and_or_b32 v2, 0x8000, v2, v44
	v_lshl_or_b32 v42, v2, 16, v42
.LBB268_183:                            ;   in Loop: Header=BB268_9 Depth=1
	s_or_b32 exec_lo, exec_lo, s30
.LBB268_184:                            ;   in Loop: Header=BB268_9 Depth=1
	s_delay_alu instid0(SALU_CYCLE_1)
	s_or_b32 exec_lo, exec_lo, s29
.LBB268_185:                            ;   in Loop: Header=BB268_9 Depth=1
	s_delay_alu instid0(SALU_CYCLE_1) | instskip(SKIP_3) | instid1(VALU_DEP_2)
	s_or_b32 exec_lo, exec_lo, s28
	v_dual_lshrrev_b32 v2, 16, v10 :: v_dual_mov_b32 v46, 0
	v_mov_b32_e32 v47, 0
	s_mov_b32 s28, exec_lo
	v_and_b32_e32 v44, 0xff, v2
	s_delay_alu instid0(VALU_DEP_1)
	v_cmpx_ne_u16_e32 0, v44
	s_cbranch_execz .LBB268_193
; %bb.186:                              ;   in Loop: Header=BB268_9 Depth=1
	v_mov_b32_e32 v47, 0x8000
	s_mov_b32 s29, exec_lo
	v_cmpx_ne_u16_e32 0x80, v44
	s_cbranch_execz .LBB268_192
; %bb.187:                              ;   in Loop: Header=BB268_9 Depth=1
	v_bfe_u32 v48, v10, 16, 7
	v_mov_b32_e32 v47, 0x7c01
	s_mov_b32 s30, exec_lo
	s_delay_alu instid0(VALU_DEP_2)
	v_cmpx_ne_u32_e32 0x7f, v48
	s_cbranch_execz .LBB268_191
; %bb.188:                              ;   in Loop: Header=BB268_9 Depth=1
	v_dual_lshrrev_b32 v45, 3, v48 :: v_dual_bitop2_b32 v44, 7, v2 bitop3:0x40
	s_mov_b32 s31, exec_lo
	v_cmpx_gt_u32_e32 8, v48
; %bb.189:                              ;   in Loop: Header=BB268_9 Depth=1
	s_delay_alu instid0(VALU_DEP_2) | instskip(NEXT) | instid1(VALU_DEP_1)
	v_clz_i32_u32_e32 v44, v44
	v_min_u32_e32 v47, 32, v44
	s_delay_alu instid0(VALU_DEP_1) | instskip(NEXT) | instid1(VALU_DEP_1)
	v_subrev_nc_u32_e32 v44, 28, v47
	v_lshlrev_b64_e32 v[44:45], v44, v[2:3]
	s_delay_alu instid0(VALU_DEP_1)
	v_dual_sub_nc_u32 v45, 29, v47 :: v_dual_bitop2_b32 v44, 7, v44 bitop3:0x40
; %bb.190:                              ;   in Loop: Header=BB268_9 Depth=1
	s_or_b32 exec_lo, exec_lo, s31
	s_delay_alu instid0(VALU_DEP_1) | instskip(NEXT) | instid1(VALU_DEP_2)
	v_dual_lshlrev_b32 v2, 8, v2 :: v_dual_lshlrev_b32 v44, 7, v44
	v_lshl_add_u32 v45, v45, 10, 0x2000
	s_delay_alu instid0(VALU_DEP_2) | instskip(NEXT) | instid1(VALU_DEP_2)
	v_and_b32_e32 v2, 0x8000, v2
	v_and_b32_e32 v45, 0xfc00, v45
	s_delay_alu instid0(VALU_DEP_1)
	v_or3_b32 v47, v2, v45, v44
.LBB268_191:                            ;   in Loop: Header=BB268_9 Depth=1
	s_or_b32 exec_lo, exec_lo, s30
.LBB268_192:                            ;   in Loop: Header=BB268_9 Depth=1
	s_delay_alu instid0(SALU_CYCLE_1)
	s_or_b32 exec_lo, exec_lo, s29
.LBB268_193:                            ;   in Loop: Header=BB268_9 Depth=1
	s_delay_alu instid0(SALU_CYCLE_1) | instskip(NEXT) | instid1(SALU_CYCLE_1)
	s_or_b32 exec_lo, exec_lo, s28
	s_mov_b32 s28, exec_lo
	v_cmpx_lt_u32_e32 0xffffff, v10
	s_cbranch_execz .LBB268_201
; %bb.194:                              ;   in Loop: Header=BB268_9 Depth=1
	v_lshrrev_b32_e32 v2, 24, v10
	v_bfrev_b32_e32 v46, 1
	s_mov_b32 s29, exec_lo
	s_delay_alu instid0(VALU_DEP_2)
	v_cmpx_ne_u32_e32 0x80, v2
	s_cbranch_execz .LBB268_200
; %bb.195:                              ;   in Loop: Header=BB268_9 Depth=1
	v_and_b32_e32 v45, 0x7f, v2
	v_mov_b32_e32 v46, 0x7c010000
	s_mov_b32 s30, exec_lo
	s_delay_alu instid0(VALU_DEP_2)
	v_cmpx_ne_u32_e32 0x7f, v45
	s_cbranch_execz .LBB268_199
; %bb.196:                              ;   in Loop: Header=BB268_9 Depth=1
	v_dual_lshrrev_b32 v44, 3, v45 :: v_dual_bitop2_b32 v10, 7, v2 bitop3:0x40
	s_mov_b32 s31, exec_lo
	v_cmpx_gt_u32_e32 8, v45
; %bb.197:                              ;   in Loop: Header=BB268_9 Depth=1
	s_delay_alu instid0(VALU_DEP_2) | instskip(NEXT) | instid1(VALU_DEP_1)
	v_clz_i32_u32_e32 v10, v10
	v_min_u32_e32 v10, 32, v10
	s_delay_alu instid0(VALU_DEP_1) | instskip(NEXT) | instid1(VALU_DEP_1)
	v_subrev_nc_u32_e32 v44, 28, v10
	v_lshlrev_b64_e32 v[48:49], v44, v[2:3]
	s_delay_alu instid0(VALU_DEP_1)
	v_dual_sub_nc_u32 v44, 29, v10 :: v_dual_bitop2_b32 v10, 7, v48 bitop3:0x40
; %bb.198:                              ;   in Loop: Header=BB268_9 Depth=1
	s_or_b32 exec_lo, exec_lo, s31
	v_lshlrev_b32_e32 v2, 8, v2
	s_delay_alu instid0(VALU_DEP_2) | instskip(NEXT) | instid1(VALU_DEP_3)
	v_lshl_add_u32 v44, v44, 10, 0x2000
	v_lshlrev_b32_e32 v10, 23, v10
	s_delay_alu instid0(VALU_DEP_2) | instskip(NEXT) | instid1(VALU_DEP_1)
	v_and_or_b32 v2, 0x8000, v2, v44
	v_lshl_or_b32 v46, v2, 16, v10
.LBB268_199:                            ;   in Loop: Header=BB268_9 Depth=1
	s_or_b32 exec_lo, exec_lo, s30
.LBB268_200:                            ;   in Loop: Header=BB268_9 Depth=1
	s_delay_alu instid0(SALU_CYCLE_1)
	s_or_b32 exec_lo, exec_lo, s29
.LBB268_201:                            ;   in Loop: Header=BB268_9 Depth=1
	s_delay_alu instid0(SALU_CYCLE_1)
	s_or_b32 exec_lo, exec_lo, s28
	global_load_b32 v10, v[8:9], off offset:768
	v_dual_mov_b32 v44, 0 :: v_dual_mov_b32 v45, 0
	s_mov_b32 s28, exec_lo
	s_wait_loadcnt 0x0
	v_and_b32_e32 v2, 0xff, v10
	s_delay_alu instid0(VALU_DEP_1)
	v_cmpx_ne_u16_e32 0, v2
	s_cbranch_execz .LBB268_209
; %bb.202:                              ;   in Loop: Header=BB268_9 Depth=1
	v_mov_b32_e32 v45, 0x8000
	s_mov_b32 s29, exec_lo
	v_cmpx_ne_u16_e32 0x80, v2
	s_cbranch_execz .LBB268_208
; %bb.203:                              ;   in Loop: Header=BB268_9 Depth=1
	v_and_b32_e32 v48, 0x7f, v10
	v_mov_b32_e32 v45, 0x7c01
	s_mov_b32 s30, exec_lo
	s_delay_alu instid0(VALU_DEP_2)
	v_cmpx_ne_u32_e32 0x7f, v48
	s_cbranch_execz .LBB268_207
; %bb.204:                              ;   in Loop: Header=BB268_9 Depth=1
	v_dual_lshrrev_b32 v45, 3, v48 :: v_dual_bitop2_b32 v2, 7, v10 bitop3:0x40
	s_mov_b32 s31, exec_lo
	v_cmpx_gt_u32_e32 8, v48
; %bb.205:                              ;   in Loop: Header=BB268_9 Depth=1
	s_delay_alu instid0(VALU_DEP_2) | instskip(NEXT) | instid1(VALU_DEP_1)
	v_clz_i32_u32_e32 v2, v2
	v_min_u32_e32 v2, 32, v2
	s_delay_alu instid0(VALU_DEP_1) | instskip(NEXT) | instid1(VALU_DEP_1)
	v_subrev_nc_u32_e32 v45, 28, v2
	v_lshlrev_b64_e32 v[48:49], v45, v[10:11]
	s_delay_alu instid0(VALU_DEP_1)
	v_dual_sub_nc_u32 v45, 29, v2 :: v_dual_bitop2_b32 v2, 7, v48 bitop3:0x40
; %bb.206:                              ;   in Loop: Header=BB268_9 Depth=1
	s_or_b32 exec_lo, exec_lo, s31
	v_lshlrev_b32_e32 v48, 8, v10
	s_delay_alu instid0(VALU_DEP_2) | instskip(NEXT) | instid1(VALU_DEP_3)
	v_lshl_add_u32 v45, v45, 10, 0x2000
	v_lshlrev_b32_e32 v2, 7, v2
	s_delay_alu instid0(VALU_DEP_3) | instskip(NEXT) | instid1(VALU_DEP_3)
	v_and_b32_e32 v48, 0x8000, v48
	v_and_b32_e32 v45, 0xfc00, v45
	s_delay_alu instid0(VALU_DEP_1)
	v_or3_b32 v45, v48, v45, v2
.LBB268_207:                            ;   in Loop: Header=BB268_9 Depth=1
	s_or_b32 exec_lo, exec_lo, s30
.LBB268_208:                            ;   in Loop: Header=BB268_9 Depth=1
	s_delay_alu instid0(SALU_CYCLE_1)
	s_or_b32 exec_lo, exec_lo, s29
.LBB268_209:                            ;   in Loop: Header=BB268_9 Depth=1
	s_delay_alu instid0(SALU_CYCLE_1) | instskip(SKIP_2) | instid1(VALU_DEP_1)
	s_or_b32 exec_lo, exec_lo, s28
	v_lshrrev_b16 v2, 8, v10
	s_mov_b32 s28, exec_lo
	v_cmpx_ne_u16_e32 0, v2
	s_cbranch_execz .LBB268_217
; %bb.210:                              ;   in Loop: Header=BB268_9 Depth=1
	v_bfrev_b32_e32 v44, 1
	s_mov_b32 s29, exec_lo
	v_cmpx_ne_u16_e32 0x80, v2
	s_cbranch_execz .LBB268_216
; %bb.211:                              ;   in Loop: Header=BB268_9 Depth=1
	v_and_b32_e32 v48, 0xffff, v2
	v_mov_b32_e32 v44, 0x7c010000
	s_mov_b32 s30, exec_lo
	s_delay_alu instid0(VALU_DEP_2) | instskip(NEXT) | instid1(VALU_DEP_1)
	v_and_b32_e32 v50, 0x7f, v48
	v_cmpx_ne_u32_e32 0x7f, v50
	s_cbranch_execz .LBB268_215
; %bb.212:                              ;   in Loop: Header=BB268_9 Depth=1
	v_dual_lshrrev_b32 v49, 3, v50 :: v_dual_bitop2_b32 v44, 7, v48 bitop3:0x40
	s_mov_b32 s31, exec_lo
	v_cmpx_gt_u32_e32 8, v50
; %bb.213:                              ;   in Loop: Header=BB268_9 Depth=1
	s_delay_alu instid0(VALU_DEP_2) | instskip(NEXT) | instid1(VALU_DEP_1)
	v_clz_i32_u32_e32 v44, v44
	v_min_u32_e32 v44, 32, v44
	s_delay_alu instid0(VALU_DEP_1) | instskip(NEXT) | instid1(VALU_DEP_1)
	v_subrev_nc_u32_e32 v49, 28, v44
	v_lshlrev_b64_e32 v[50:51], v49, v[2:3]
	s_delay_alu instid0(VALU_DEP_1)
	v_dual_sub_nc_u32 v49, 29, v44 :: v_dual_bitop2_b32 v44, 7, v50 bitop3:0x40
; %bb.214:                              ;   in Loop: Header=BB268_9 Depth=1
	s_or_b32 exec_lo, exec_lo, s31
	v_lshlrev_b32_e32 v2, 8, v48
	s_delay_alu instid0(VALU_DEP_2) | instskip(NEXT) | instid1(VALU_DEP_3)
	v_lshl_add_u32 v48, v49, 10, 0x2000
	v_lshlrev_b32_e32 v44, 23, v44
	s_delay_alu instid0(VALU_DEP_2) | instskip(NEXT) | instid1(VALU_DEP_1)
	v_and_or_b32 v2, 0x8000, v2, v48
	v_lshl_or_b32 v44, v2, 16, v44
.LBB268_215:                            ;   in Loop: Header=BB268_9 Depth=1
	s_or_b32 exec_lo, exec_lo, s30
.LBB268_216:                            ;   in Loop: Header=BB268_9 Depth=1
	s_delay_alu instid0(SALU_CYCLE_1)
	s_or_b32 exec_lo, exec_lo, s29
.LBB268_217:                            ;   in Loop: Header=BB268_9 Depth=1
	s_delay_alu instid0(SALU_CYCLE_1) | instskip(SKIP_3) | instid1(VALU_DEP_2)
	s_or_b32 exec_lo, exec_lo, s28
	v_dual_lshrrev_b32 v2, 16, v10 :: v_dual_mov_b32 v48, 0
	v_mov_b32_e32 v49, 0
	s_mov_b32 s28, exec_lo
	v_and_b32_e32 v50, 0xff, v2
	s_delay_alu instid0(VALU_DEP_1)
	v_cmpx_ne_u16_e32 0, v50
	s_cbranch_execz .LBB268_225
; %bb.218:                              ;   in Loop: Header=BB268_9 Depth=1
	v_mov_b32_e32 v49, 0x8000
	s_mov_b32 s29, exec_lo
	v_cmpx_ne_u16_e32 0x80, v50
	s_cbranch_execz .LBB268_224
; %bb.219:                              ;   in Loop: Header=BB268_9 Depth=1
	v_bfe_u32 v51, v10, 16, 7
	v_mov_b32_e32 v49, 0x7c01
	s_mov_b32 s30, exec_lo
	s_delay_alu instid0(VALU_DEP_2)
	v_cmpx_ne_u32_e32 0x7f, v51
	s_cbranch_execz .LBB268_223
; %bb.220:                              ;   in Loop: Header=BB268_9 Depth=1
	v_dual_lshrrev_b32 v50, 3, v51 :: v_dual_bitop2_b32 v49, 7, v2 bitop3:0x40
	s_mov_b32 s31, exec_lo
	v_cmpx_gt_u32_e32 8, v51
; %bb.221:                              ;   in Loop: Header=BB268_9 Depth=1
	s_delay_alu instid0(VALU_DEP_2) | instskip(NEXT) | instid1(VALU_DEP_1)
	v_clz_i32_u32_e32 v49, v49
	v_min_u32_e32 v49, 32, v49
	s_delay_alu instid0(VALU_DEP_1) | instskip(NEXT) | instid1(VALU_DEP_1)
	v_subrev_nc_u32_e32 v50, 28, v49
	v_lshlrev_b64_e32 v[52:53], v50, v[2:3]
	s_delay_alu instid0(VALU_DEP_1)
	v_dual_sub_nc_u32 v50, 29, v49 :: v_dual_bitop2_b32 v49, 7, v52 bitop3:0x40
; %bb.222:                              ;   in Loop: Header=BB268_9 Depth=1
	s_or_b32 exec_lo, exec_lo, s31
	s_delay_alu instid0(VALU_DEP_1) | instskip(NEXT) | instid1(VALU_DEP_2)
	v_dual_lshlrev_b32 v2, 8, v2 :: v_dual_lshlrev_b32 v49, 7, v49
	v_lshl_add_u32 v50, v50, 10, 0x2000
	s_delay_alu instid0(VALU_DEP_2) | instskip(NEXT) | instid1(VALU_DEP_2)
	v_and_b32_e32 v2, 0x8000, v2
	v_and_b32_e32 v50, 0xfc00, v50
	s_delay_alu instid0(VALU_DEP_1)
	v_or3_b32 v49, v2, v50, v49
.LBB268_223:                            ;   in Loop: Header=BB268_9 Depth=1
	s_or_b32 exec_lo, exec_lo, s30
.LBB268_224:                            ;   in Loop: Header=BB268_9 Depth=1
	s_delay_alu instid0(SALU_CYCLE_1)
	s_or_b32 exec_lo, exec_lo, s29
.LBB268_225:                            ;   in Loop: Header=BB268_9 Depth=1
	s_delay_alu instid0(SALU_CYCLE_1) | instskip(NEXT) | instid1(SALU_CYCLE_1)
	s_or_b32 exec_lo, exec_lo, s28
	s_mov_b32 s28, exec_lo
	v_cmpx_lt_u32_e32 0xffffff, v10
	s_cbranch_execz .LBB268_233
; %bb.226:                              ;   in Loop: Header=BB268_9 Depth=1
	v_lshrrev_b32_e32 v2, 24, v10
	v_bfrev_b32_e32 v48, 1
	s_mov_b32 s29, exec_lo
	s_delay_alu instid0(VALU_DEP_2)
	v_cmpx_ne_u32_e32 0x80, v2
	s_cbranch_execz .LBB268_232
; %bb.227:                              ;   in Loop: Header=BB268_9 Depth=1
	v_and_b32_e32 v50, 0x7f, v2
	v_mov_b32_e32 v48, 0x7c010000
	s_mov_b32 s30, exec_lo
	s_delay_alu instid0(VALU_DEP_2)
	v_cmpx_ne_u32_e32 0x7f, v50
	s_cbranch_execz .LBB268_231
; %bb.228:                              ;   in Loop: Header=BB268_9 Depth=1
	v_and_b32_e32 v10, 7, v2
	v_lshrrev_b32_e32 v48, 3, v50
	s_mov_b32 s31, exec_lo
	v_cmpx_gt_u32_e32 8, v50
; %bb.229:                              ;   in Loop: Header=BB268_9 Depth=1
	s_delay_alu instid0(VALU_DEP_3) | instskip(NEXT) | instid1(VALU_DEP_1)
	v_clz_i32_u32_e32 v10, v10
	v_min_u32_e32 v10, 32, v10
	s_delay_alu instid0(VALU_DEP_1) | instskip(NEXT) | instid1(VALU_DEP_1)
	v_subrev_nc_u32_e32 v48, 28, v10
	v_lshlrev_b64_e32 v[50:51], v48, v[2:3]
	v_sub_nc_u32_e32 v48, 29, v10
	s_delay_alu instid0(VALU_DEP_2)
	v_and_b32_e32 v10, 7, v50
; %bb.230:                              ;   in Loop: Header=BB268_9 Depth=1
	s_or_b32 exec_lo, exec_lo, s31
	v_lshlrev_b32_e32 v2, 8, v2
	s_delay_alu instid0(VALU_DEP_3) | instskip(NEXT) | instid1(VALU_DEP_3)
	v_lshl_add_u32 v48, v48, 10, 0x2000
	v_lshlrev_b32_e32 v10, 23, v10
	s_delay_alu instid0(VALU_DEP_2) | instskip(NEXT) | instid1(VALU_DEP_1)
	v_and_or_b32 v2, 0x8000, v2, v48
	v_lshl_or_b32 v48, v2, 16, v10
.LBB268_231:                            ;   in Loop: Header=BB268_9 Depth=1
	s_or_b32 exec_lo, exec_lo, s30
.LBB268_232:                            ;   in Loop: Header=BB268_9 Depth=1
	s_delay_alu instid0(SALU_CYCLE_1)
	s_or_b32 exec_lo, exec_lo, s29
.LBB268_233:                            ;   in Loop: Header=BB268_9 Depth=1
	s_delay_alu instid0(SALU_CYCLE_1)
	s_or_b32 exec_lo, exec_lo, s28
	global_load_b32 v10, v[8:9], off offset:776
	v_dual_mov_b32 v50, 0 :: v_dual_mov_b32 v51, 0
	s_mov_b32 s28, exec_lo
	s_wait_loadcnt 0x0
	v_and_b32_e32 v2, 0xff, v10
	s_delay_alu instid0(VALU_DEP_1)
	v_cmpx_ne_u16_e32 0, v2
	s_cbranch_execz .LBB268_241
; %bb.234:                              ;   in Loop: Header=BB268_9 Depth=1
	v_mov_b32_e32 v51, 0x8000
	s_mov_b32 s29, exec_lo
	v_cmpx_ne_u16_e32 0x80, v2
	s_cbranch_execz .LBB268_240
; %bb.235:                              ;   in Loop: Header=BB268_9 Depth=1
	v_and_b32_e32 v52, 0x7f, v10
	v_mov_b32_e32 v51, 0x7c01
	s_mov_b32 s30, exec_lo
	s_delay_alu instid0(VALU_DEP_2)
	v_cmpx_ne_u32_e32 0x7f, v52
	s_cbranch_execz .LBB268_239
; %bb.236:                              ;   in Loop: Header=BB268_9 Depth=1
	v_dual_lshrrev_b32 v51, 3, v52 :: v_dual_bitop2_b32 v2, 7, v10 bitop3:0x40
	s_mov_b32 s31, exec_lo
	v_cmpx_gt_u32_e32 8, v52
; %bb.237:                              ;   in Loop: Header=BB268_9 Depth=1
	s_delay_alu instid0(VALU_DEP_2) | instskip(NEXT) | instid1(VALU_DEP_1)
	v_clz_i32_u32_e32 v2, v2
	v_min_u32_e32 v2, 32, v2
	s_delay_alu instid0(VALU_DEP_1) | instskip(NEXT) | instid1(VALU_DEP_1)
	v_subrev_nc_u32_e32 v51, 28, v2
	v_lshlrev_b64_e32 v[52:53], v51, v[10:11]
	s_delay_alu instid0(VALU_DEP_1)
	v_dual_sub_nc_u32 v51, 29, v2 :: v_dual_bitop2_b32 v2, 7, v52 bitop3:0x40
; %bb.238:                              ;   in Loop: Header=BB268_9 Depth=1
	s_or_b32 exec_lo, exec_lo, s31
	v_lshlrev_b32_e32 v52, 8, v10
	s_delay_alu instid0(VALU_DEP_2) | instskip(NEXT) | instid1(VALU_DEP_3)
	v_lshl_add_u32 v51, v51, 10, 0x2000
	v_lshlrev_b32_e32 v2, 7, v2
	s_delay_alu instid0(VALU_DEP_3) | instskip(NEXT) | instid1(VALU_DEP_3)
	v_and_b32_e32 v52, 0x8000, v52
	v_and_b32_e32 v51, 0xfc00, v51
	s_delay_alu instid0(VALU_DEP_1)
	v_or3_b32 v51, v52, v51, v2
.LBB268_239:                            ;   in Loop: Header=BB268_9 Depth=1
	s_or_b32 exec_lo, exec_lo, s30
.LBB268_240:                            ;   in Loop: Header=BB268_9 Depth=1
	s_delay_alu instid0(SALU_CYCLE_1)
	s_or_b32 exec_lo, exec_lo, s29
.LBB268_241:                            ;   in Loop: Header=BB268_9 Depth=1
	s_delay_alu instid0(SALU_CYCLE_1) | instskip(SKIP_2) | instid1(VALU_DEP_1)
	s_or_b32 exec_lo, exec_lo, s28
	v_lshrrev_b16 v2, 8, v10
	s_mov_b32 s28, exec_lo
	v_cmpx_ne_u16_e32 0, v2
	s_cbranch_execz .LBB268_249
; %bb.242:                              ;   in Loop: Header=BB268_9 Depth=1
	v_bfrev_b32_e32 v50, 1
	s_mov_b32 s29, exec_lo
	v_cmpx_ne_u16_e32 0x80, v2
	s_cbranch_execz .LBB268_248
; %bb.243:                              ;   in Loop: Header=BB268_9 Depth=1
	v_and_b32_e32 v52, 0xffff, v2
	v_mov_b32_e32 v50, 0x7c010000
	s_mov_b32 s30, exec_lo
	s_delay_alu instid0(VALU_DEP_2) | instskip(NEXT) | instid1(VALU_DEP_1)
	v_and_b32_e32 v54, 0x7f, v52
	v_cmpx_ne_u32_e32 0x7f, v54
	s_cbranch_execz .LBB268_247
; %bb.244:                              ;   in Loop: Header=BB268_9 Depth=1
	v_dual_lshrrev_b32 v53, 3, v54 :: v_dual_bitop2_b32 v50, 7, v52 bitop3:0x40
	s_mov_b32 s31, exec_lo
	v_cmpx_gt_u32_e32 8, v54
; %bb.245:                              ;   in Loop: Header=BB268_9 Depth=1
	s_delay_alu instid0(VALU_DEP_2) | instskip(NEXT) | instid1(VALU_DEP_1)
	v_clz_i32_u32_e32 v50, v50
	v_min_u32_e32 v50, 32, v50
	s_delay_alu instid0(VALU_DEP_1) | instskip(NEXT) | instid1(VALU_DEP_1)
	v_subrev_nc_u32_e32 v53, 28, v50
	v_lshlrev_b64_e32 v[54:55], v53, v[2:3]
	v_sub_nc_u32_e32 v53, 29, v50
	s_delay_alu instid0(VALU_DEP_2)
	v_and_b32_e32 v50, 7, v54
; %bb.246:                              ;   in Loop: Header=BB268_9 Depth=1
	s_or_b32 exec_lo, exec_lo, s31
	s_delay_alu instid0(VALU_DEP_1) | instskip(NEXT) | instid1(VALU_DEP_3)
	v_dual_lshlrev_b32 v2, 8, v52 :: v_dual_lshlrev_b32 v50, 23, v50
	v_lshl_add_u32 v52, v53, 10, 0x2000
	s_delay_alu instid0(VALU_DEP_1) | instskip(NEXT) | instid1(VALU_DEP_1)
	v_and_or_b32 v2, 0x8000, v2, v52
	v_lshl_or_b32 v50, v2, 16, v50
.LBB268_247:                            ;   in Loop: Header=BB268_9 Depth=1
	s_or_b32 exec_lo, exec_lo, s30
.LBB268_248:                            ;   in Loop: Header=BB268_9 Depth=1
	s_delay_alu instid0(SALU_CYCLE_1)
	s_or_b32 exec_lo, exec_lo, s29
.LBB268_249:                            ;   in Loop: Header=BB268_9 Depth=1
	s_delay_alu instid0(SALU_CYCLE_1) | instskip(SKIP_3) | instid1(VALU_DEP_2)
	s_or_b32 exec_lo, exec_lo, s28
	v_dual_lshrrev_b32 v2, 16, v10 :: v_dual_mov_b32 v52, 0
	v_mov_b32_e32 v53, 0
	s_mov_b32 s28, exec_lo
	v_and_b32_e32 v54, 0xff, v2
	s_delay_alu instid0(VALU_DEP_1)
	v_cmpx_ne_u16_e32 0, v54
	s_cbranch_execz .LBB268_257
; %bb.250:                              ;   in Loop: Header=BB268_9 Depth=1
	v_mov_b32_e32 v53, 0x8000
	s_mov_b32 s29, exec_lo
	v_cmpx_ne_u16_e32 0x80, v54
	s_cbranch_execz .LBB268_256
; %bb.251:                              ;   in Loop: Header=BB268_9 Depth=1
	v_bfe_u32 v55, v10, 16, 7
	v_mov_b32_e32 v53, 0x7c01
	s_mov_b32 s30, exec_lo
	s_delay_alu instid0(VALU_DEP_2)
	v_cmpx_ne_u32_e32 0x7f, v55
	s_cbranch_execz .LBB268_255
; %bb.252:                              ;   in Loop: Header=BB268_9 Depth=1
	v_dual_lshrrev_b32 v54, 3, v55 :: v_dual_bitop2_b32 v53, 7, v2 bitop3:0x40
	s_mov_b32 s31, exec_lo
	v_cmpx_gt_u32_e32 8, v55
; %bb.253:                              ;   in Loop: Header=BB268_9 Depth=1
	s_delay_alu instid0(VALU_DEP_2) | instskip(NEXT) | instid1(VALU_DEP_1)
	v_clz_i32_u32_e32 v53, v53
	v_min_u32_e32 v53, 32, v53
	s_delay_alu instid0(VALU_DEP_1) | instskip(NEXT) | instid1(VALU_DEP_1)
	v_subrev_nc_u32_e32 v54, 28, v53
	v_lshlrev_b64_e32 v[56:57], v54, v[2:3]
	s_delay_alu instid0(VALU_DEP_1)
	v_dual_sub_nc_u32 v54, 29, v53 :: v_dual_bitop2_b32 v53, 7, v56 bitop3:0x40
; %bb.254:                              ;   in Loop: Header=BB268_9 Depth=1
	s_or_b32 exec_lo, exec_lo, s31
	s_delay_alu instid0(VALU_DEP_1) | instskip(NEXT) | instid1(VALU_DEP_2)
	v_dual_lshlrev_b32 v2, 8, v2 :: v_dual_lshlrev_b32 v53, 7, v53
	v_lshl_add_u32 v54, v54, 10, 0x2000
	s_delay_alu instid0(VALU_DEP_2) | instskip(NEXT) | instid1(VALU_DEP_2)
	v_and_b32_e32 v2, 0x8000, v2
	v_and_b32_e32 v54, 0xfc00, v54
	s_delay_alu instid0(VALU_DEP_1)
	v_or3_b32 v53, v2, v54, v53
.LBB268_255:                            ;   in Loop: Header=BB268_9 Depth=1
	s_or_b32 exec_lo, exec_lo, s30
.LBB268_256:                            ;   in Loop: Header=BB268_9 Depth=1
	s_delay_alu instid0(SALU_CYCLE_1)
	s_or_b32 exec_lo, exec_lo, s29
.LBB268_257:                            ;   in Loop: Header=BB268_9 Depth=1
	s_delay_alu instid0(SALU_CYCLE_1) | instskip(NEXT) | instid1(SALU_CYCLE_1)
	s_or_b32 exec_lo, exec_lo, s28
	s_mov_b32 s28, exec_lo
	v_cmpx_lt_u32_e32 0xffffff, v10
	s_cbranch_execz .LBB268_265
; %bb.258:                              ;   in Loop: Header=BB268_9 Depth=1
	v_lshrrev_b32_e32 v2, 24, v10
	v_bfrev_b32_e32 v52, 1
	s_mov_b32 s29, exec_lo
	s_delay_alu instid0(VALU_DEP_2)
	v_cmpx_ne_u32_e32 0x80, v2
	s_cbranch_execz .LBB268_264
; %bb.259:                              ;   in Loop: Header=BB268_9 Depth=1
	v_and_b32_e32 v54, 0x7f, v2
	v_mov_b32_e32 v52, 0x7c010000
	s_mov_b32 s30, exec_lo
	s_delay_alu instid0(VALU_DEP_2)
	v_cmpx_ne_u32_e32 0x7f, v54
	s_cbranch_execz .LBB268_263
; %bb.260:                              ;   in Loop: Header=BB268_9 Depth=1
	v_and_b32_e32 v10, 7, v2
	v_lshrrev_b32_e32 v52, 3, v54
	s_mov_b32 s31, exec_lo
	v_cmpx_gt_u32_e32 8, v54
; %bb.261:                              ;   in Loop: Header=BB268_9 Depth=1
	s_delay_alu instid0(VALU_DEP_3) | instskip(NEXT) | instid1(VALU_DEP_1)
	v_clz_i32_u32_e32 v10, v10
	v_min_u32_e32 v10, 32, v10
	s_delay_alu instid0(VALU_DEP_1) | instskip(NEXT) | instid1(VALU_DEP_1)
	v_subrev_nc_u32_e32 v52, 28, v10
	v_lshlrev_b64_e32 v[54:55], v52, v[2:3]
	v_sub_nc_u32_e32 v52, 29, v10
	s_delay_alu instid0(VALU_DEP_2)
	v_and_b32_e32 v10, 7, v54
; %bb.262:                              ;   in Loop: Header=BB268_9 Depth=1
	s_or_b32 exec_lo, exec_lo, s31
	v_lshlrev_b32_e32 v2, 8, v2
	s_delay_alu instid0(VALU_DEP_3) | instskip(NEXT) | instid1(VALU_DEP_3)
	v_lshl_add_u32 v52, v52, 10, 0x2000
	v_lshlrev_b32_e32 v10, 23, v10
	s_delay_alu instid0(VALU_DEP_2) | instskip(NEXT) | instid1(VALU_DEP_1)
	v_and_or_b32 v2, 0x8000, v2, v52
	v_lshl_or_b32 v52, v2, 16, v10
.LBB268_263:                            ;   in Loop: Header=BB268_9 Depth=1
	s_or_b32 exec_lo, exec_lo, s30
.LBB268_264:                            ;   in Loop: Header=BB268_9 Depth=1
	s_delay_alu instid0(SALU_CYCLE_1)
	s_or_b32 exec_lo, exec_lo, s29
.LBB268_265:                            ;   in Loop: Header=BB268_9 Depth=1
	s_delay_alu instid0(SALU_CYCLE_1)
	s_or_b32 exec_lo, exec_lo, s28
	global_load_b32 v10, v[8:9], off offset:1024
	v_dual_mov_b32 v54, 0 :: v_dual_mov_b32 v55, 0
	s_mov_b32 s28, exec_lo
	s_wait_loadcnt 0x0
	v_and_b32_e32 v2, 0xff, v10
	s_delay_alu instid0(VALU_DEP_1)
	v_cmpx_ne_u16_e32 0, v2
	s_cbranch_execz .LBB268_273
; %bb.266:                              ;   in Loop: Header=BB268_9 Depth=1
	v_mov_b32_e32 v55, 0x8000
	s_mov_b32 s29, exec_lo
	v_cmpx_ne_u16_e32 0x80, v2
	s_cbranch_execz .LBB268_272
; %bb.267:                              ;   in Loop: Header=BB268_9 Depth=1
	v_and_b32_e32 v56, 0x7f, v10
	v_mov_b32_e32 v55, 0x7c01
	s_mov_b32 s30, exec_lo
	s_delay_alu instid0(VALU_DEP_2)
	v_cmpx_ne_u32_e32 0x7f, v56
	s_cbranch_execz .LBB268_271
; %bb.268:                              ;   in Loop: Header=BB268_9 Depth=1
	v_dual_lshrrev_b32 v55, 3, v56 :: v_dual_bitop2_b32 v2, 7, v10 bitop3:0x40
	s_mov_b32 s31, exec_lo
	v_cmpx_gt_u32_e32 8, v56
; %bb.269:                              ;   in Loop: Header=BB268_9 Depth=1
	s_delay_alu instid0(VALU_DEP_2) | instskip(NEXT) | instid1(VALU_DEP_1)
	v_clz_i32_u32_e32 v2, v2
	v_min_u32_e32 v2, 32, v2
	s_delay_alu instid0(VALU_DEP_1) | instskip(NEXT) | instid1(VALU_DEP_1)
	v_subrev_nc_u32_e32 v55, 28, v2
	v_lshlrev_b64_e32 v[56:57], v55, v[10:11]
	s_delay_alu instid0(VALU_DEP_1)
	v_dual_sub_nc_u32 v55, 29, v2 :: v_dual_bitop2_b32 v2, 7, v56 bitop3:0x40
; %bb.270:                              ;   in Loop: Header=BB268_9 Depth=1
	s_or_b32 exec_lo, exec_lo, s31
	v_lshlrev_b32_e32 v56, 8, v10
	s_delay_alu instid0(VALU_DEP_2) | instskip(NEXT) | instid1(VALU_DEP_3)
	v_lshl_add_u32 v55, v55, 10, 0x2000
	v_lshlrev_b32_e32 v2, 7, v2
	s_delay_alu instid0(VALU_DEP_3) | instskip(NEXT) | instid1(VALU_DEP_3)
	v_and_b32_e32 v56, 0x8000, v56
	v_and_b32_e32 v55, 0xfc00, v55
	s_delay_alu instid0(VALU_DEP_1)
	v_or3_b32 v55, v56, v55, v2
.LBB268_271:                            ;   in Loop: Header=BB268_9 Depth=1
	s_or_b32 exec_lo, exec_lo, s30
.LBB268_272:                            ;   in Loop: Header=BB268_9 Depth=1
	s_delay_alu instid0(SALU_CYCLE_1)
	s_or_b32 exec_lo, exec_lo, s29
.LBB268_273:                            ;   in Loop: Header=BB268_9 Depth=1
	s_delay_alu instid0(SALU_CYCLE_1) | instskip(SKIP_2) | instid1(VALU_DEP_1)
	s_or_b32 exec_lo, exec_lo, s28
	v_lshrrev_b16 v2, 8, v10
	s_mov_b32 s28, exec_lo
	v_cmpx_ne_u16_e32 0, v2
	s_cbranch_execz .LBB268_281
; %bb.274:                              ;   in Loop: Header=BB268_9 Depth=1
	v_bfrev_b32_e32 v54, 1
	s_mov_b32 s29, exec_lo
	v_cmpx_ne_u16_e32 0x80, v2
	s_cbranch_execz .LBB268_280
; %bb.275:                              ;   in Loop: Header=BB268_9 Depth=1
	v_and_b32_e32 v56, 0xffff, v2
	v_mov_b32_e32 v54, 0x7c010000
	s_mov_b32 s30, exec_lo
	s_delay_alu instid0(VALU_DEP_2) | instskip(NEXT) | instid1(VALU_DEP_1)
	v_and_b32_e32 v58, 0x7f, v56
	v_cmpx_ne_u32_e32 0x7f, v58
	s_cbranch_execz .LBB268_279
; %bb.276:                              ;   in Loop: Header=BB268_9 Depth=1
	v_dual_lshrrev_b32 v57, 3, v58 :: v_dual_bitop2_b32 v54, 7, v56 bitop3:0x40
	s_mov_b32 s31, exec_lo
	v_cmpx_gt_u32_e32 8, v58
; %bb.277:                              ;   in Loop: Header=BB268_9 Depth=1
	s_delay_alu instid0(VALU_DEP_2) | instskip(NEXT) | instid1(VALU_DEP_1)
	v_clz_i32_u32_e32 v54, v54
	v_min_u32_e32 v54, 32, v54
	s_delay_alu instid0(VALU_DEP_1) | instskip(NEXT) | instid1(VALU_DEP_1)
	v_subrev_nc_u32_e32 v57, 28, v54
	v_lshlrev_b64_e32 v[58:59], v57, v[2:3]
	v_sub_nc_u32_e32 v57, 29, v54
	s_delay_alu instid0(VALU_DEP_2)
	v_and_b32_e32 v54, 7, v58
; %bb.278:                              ;   in Loop: Header=BB268_9 Depth=1
	s_or_b32 exec_lo, exec_lo, s31
	s_delay_alu instid0(VALU_DEP_1) | instskip(NEXT) | instid1(VALU_DEP_3)
	v_dual_lshlrev_b32 v2, 8, v56 :: v_dual_lshlrev_b32 v54, 23, v54
	v_lshl_add_u32 v56, v57, 10, 0x2000
	s_delay_alu instid0(VALU_DEP_1) | instskip(NEXT) | instid1(VALU_DEP_1)
	v_and_or_b32 v2, 0x8000, v2, v56
	v_lshl_or_b32 v54, v2, 16, v54
.LBB268_279:                            ;   in Loop: Header=BB268_9 Depth=1
	s_or_b32 exec_lo, exec_lo, s30
.LBB268_280:                            ;   in Loop: Header=BB268_9 Depth=1
	s_delay_alu instid0(SALU_CYCLE_1)
	s_or_b32 exec_lo, exec_lo, s29
.LBB268_281:                            ;   in Loop: Header=BB268_9 Depth=1
	s_delay_alu instid0(SALU_CYCLE_1) | instskip(SKIP_3) | instid1(VALU_DEP_2)
	s_or_b32 exec_lo, exec_lo, s28
	v_dual_lshrrev_b32 v2, 16, v10 :: v_dual_mov_b32 v56, 0
	v_mov_b32_e32 v57, 0
	s_mov_b32 s28, exec_lo
	v_and_b32_e32 v58, 0xff, v2
	s_delay_alu instid0(VALU_DEP_1)
	v_cmpx_ne_u16_e32 0, v58
	s_cbranch_execz .LBB268_289
; %bb.282:                              ;   in Loop: Header=BB268_9 Depth=1
	v_mov_b32_e32 v57, 0x8000
	s_mov_b32 s29, exec_lo
	v_cmpx_ne_u16_e32 0x80, v58
	s_cbranch_execz .LBB268_288
; %bb.283:                              ;   in Loop: Header=BB268_9 Depth=1
	v_bfe_u32 v59, v10, 16, 7
	v_mov_b32_e32 v57, 0x7c01
	s_mov_b32 s30, exec_lo
	s_delay_alu instid0(VALU_DEP_2)
	v_cmpx_ne_u32_e32 0x7f, v59
	s_cbranch_execz .LBB268_287
; %bb.284:                              ;   in Loop: Header=BB268_9 Depth=1
	v_dual_lshrrev_b32 v58, 3, v59 :: v_dual_bitop2_b32 v57, 7, v2 bitop3:0x40
	s_mov_b32 s31, exec_lo
	v_cmpx_gt_u32_e32 8, v59
; %bb.285:                              ;   in Loop: Header=BB268_9 Depth=1
	s_delay_alu instid0(VALU_DEP_2) | instskip(NEXT) | instid1(VALU_DEP_1)
	v_clz_i32_u32_e32 v57, v57
	v_min_u32_e32 v57, 32, v57
	s_delay_alu instid0(VALU_DEP_1) | instskip(NEXT) | instid1(VALU_DEP_1)
	v_subrev_nc_u32_e32 v58, 28, v57
	v_lshlrev_b64_e32 v[60:61], v58, v[2:3]
	s_delay_alu instid0(VALU_DEP_1)
	v_dual_sub_nc_u32 v58, 29, v57 :: v_dual_bitop2_b32 v57, 7, v60 bitop3:0x40
; %bb.286:                              ;   in Loop: Header=BB268_9 Depth=1
	s_or_b32 exec_lo, exec_lo, s31
	s_delay_alu instid0(VALU_DEP_1) | instskip(NEXT) | instid1(VALU_DEP_2)
	v_dual_lshlrev_b32 v2, 8, v2 :: v_dual_lshlrev_b32 v57, 7, v57
	v_lshl_add_u32 v58, v58, 10, 0x2000
	s_delay_alu instid0(VALU_DEP_2) | instskip(NEXT) | instid1(VALU_DEP_2)
	v_and_b32_e32 v2, 0x8000, v2
	v_and_b32_e32 v58, 0xfc00, v58
	s_delay_alu instid0(VALU_DEP_1)
	v_or3_b32 v57, v2, v58, v57
.LBB268_287:                            ;   in Loop: Header=BB268_9 Depth=1
	s_or_b32 exec_lo, exec_lo, s30
.LBB268_288:                            ;   in Loop: Header=BB268_9 Depth=1
	s_delay_alu instid0(SALU_CYCLE_1)
	s_or_b32 exec_lo, exec_lo, s29
.LBB268_289:                            ;   in Loop: Header=BB268_9 Depth=1
	s_delay_alu instid0(SALU_CYCLE_1) | instskip(NEXT) | instid1(SALU_CYCLE_1)
	s_or_b32 exec_lo, exec_lo, s28
	s_mov_b32 s28, exec_lo
	v_cmpx_lt_u32_e32 0xffffff, v10
	s_cbranch_execz .LBB268_297
; %bb.290:                              ;   in Loop: Header=BB268_9 Depth=1
	v_lshrrev_b32_e32 v2, 24, v10
	v_bfrev_b32_e32 v56, 1
	s_mov_b32 s29, exec_lo
	s_delay_alu instid0(VALU_DEP_2)
	v_cmpx_ne_u32_e32 0x80, v2
	s_cbranch_execz .LBB268_296
; %bb.291:                              ;   in Loop: Header=BB268_9 Depth=1
	v_and_b32_e32 v58, 0x7f, v2
	v_mov_b32_e32 v56, 0x7c010000
	s_mov_b32 s30, exec_lo
	s_delay_alu instid0(VALU_DEP_2)
	v_cmpx_ne_u32_e32 0x7f, v58
	s_cbranch_execz .LBB268_295
; %bb.292:                              ;   in Loop: Header=BB268_9 Depth=1
	v_and_b32_e32 v10, 7, v2
	v_lshrrev_b32_e32 v56, 3, v58
	s_mov_b32 s31, exec_lo
	v_cmpx_gt_u32_e32 8, v58
; %bb.293:                              ;   in Loop: Header=BB268_9 Depth=1
	s_delay_alu instid0(VALU_DEP_3) | instskip(NEXT) | instid1(VALU_DEP_1)
	v_clz_i32_u32_e32 v10, v10
	v_min_u32_e32 v10, 32, v10
	s_delay_alu instid0(VALU_DEP_1) | instskip(NEXT) | instid1(VALU_DEP_1)
	v_subrev_nc_u32_e32 v56, 28, v10
	v_lshlrev_b64_e32 v[58:59], v56, v[2:3]
	v_sub_nc_u32_e32 v56, 29, v10
	s_delay_alu instid0(VALU_DEP_2)
	v_and_b32_e32 v10, 7, v58
; %bb.294:                              ;   in Loop: Header=BB268_9 Depth=1
	s_or_b32 exec_lo, exec_lo, s31
	v_lshlrev_b32_e32 v2, 8, v2
	s_delay_alu instid0(VALU_DEP_3) | instskip(NEXT) | instid1(VALU_DEP_3)
	v_lshl_add_u32 v56, v56, 10, 0x2000
	v_lshlrev_b32_e32 v10, 23, v10
	s_delay_alu instid0(VALU_DEP_2) | instskip(NEXT) | instid1(VALU_DEP_1)
	v_and_or_b32 v2, 0x8000, v2, v56
	v_lshl_or_b32 v56, v2, 16, v10
.LBB268_295:                            ;   in Loop: Header=BB268_9 Depth=1
	s_or_b32 exec_lo, exec_lo, s30
.LBB268_296:                            ;   in Loop: Header=BB268_9 Depth=1
	s_delay_alu instid0(SALU_CYCLE_1)
	s_or_b32 exec_lo, exec_lo, s29
.LBB268_297:                            ;   in Loop: Header=BB268_9 Depth=1
	s_delay_alu instid0(SALU_CYCLE_1)
	s_or_b32 exec_lo, exec_lo, s28
	global_load_b32 v10, v[8:9], off offset:1032
	v_dual_mov_b32 v58, 0 :: v_dual_mov_b32 v59, 0
	s_mov_b32 s28, exec_lo
	s_wait_loadcnt 0x0
	v_and_b32_e32 v2, 0xff, v10
	s_delay_alu instid0(VALU_DEP_1)
	v_cmpx_ne_u16_e32 0, v2
	s_cbranch_execz .LBB268_305
; %bb.298:                              ;   in Loop: Header=BB268_9 Depth=1
	v_mov_b32_e32 v59, 0x8000
	s_mov_b32 s29, exec_lo
	v_cmpx_ne_u16_e32 0x80, v2
	s_cbranch_execz .LBB268_304
; %bb.299:                              ;   in Loop: Header=BB268_9 Depth=1
	v_and_b32_e32 v60, 0x7f, v10
	v_mov_b32_e32 v59, 0x7c01
	s_mov_b32 s30, exec_lo
	s_delay_alu instid0(VALU_DEP_2)
	v_cmpx_ne_u32_e32 0x7f, v60
	s_cbranch_execz .LBB268_303
; %bb.300:                              ;   in Loop: Header=BB268_9 Depth=1
	v_dual_lshrrev_b32 v59, 3, v60 :: v_dual_bitop2_b32 v2, 7, v10 bitop3:0x40
	s_mov_b32 s31, exec_lo
	v_cmpx_gt_u32_e32 8, v60
; %bb.301:                              ;   in Loop: Header=BB268_9 Depth=1
	s_delay_alu instid0(VALU_DEP_2) | instskip(NEXT) | instid1(VALU_DEP_1)
	v_clz_i32_u32_e32 v2, v2
	v_min_u32_e32 v2, 32, v2
	s_delay_alu instid0(VALU_DEP_1) | instskip(NEXT) | instid1(VALU_DEP_1)
	v_subrev_nc_u32_e32 v59, 28, v2
	v_lshlrev_b64_e32 v[60:61], v59, v[10:11]
	s_delay_alu instid0(VALU_DEP_1)
	v_dual_sub_nc_u32 v59, 29, v2 :: v_dual_bitop2_b32 v2, 7, v60 bitop3:0x40
; %bb.302:                              ;   in Loop: Header=BB268_9 Depth=1
	s_or_b32 exec_lo, exec_lo, s31
	v_lshlrev_b32_e32 v60, 8, v10
	s_delay_alu instid0(VALU_DEP_2) | instskip(NEXT) | instid1(VALU_DEP_3)
	v_lshl_add_u32 v59, v59, 10, 0x2000
	v_lshlrev_b32_e32 v2, 7, v2
	s_delay_alu instid0(VALU_DEP_3) | instskip(NEXT) | instid1(VALU_DEP_3)
	v_and_b32_e32 v60, 0x8000, v60
	v_and_b32_e32 v59, 0xfc00, v59
	s_delay_alu instid0(VALU_DEP_1)
	v_or3_b32 v59, v60, v59, v2
.LBB268_303:                            ;   in Loop: Header=BB268_9 Depth=1
	s_or_b32 exec_lo, exec_lo, s30
.LBB268_304:                            ;   in Loop: Header=BB268_9 Depth=1
	s_delay_alu instid0(SALU_CYCLE_1)
	s_or_b32 exec_lo, exec_lo, s29
.LBB268_305:                            ;   in Loop: Header=BB268_9 Depth=1
	s_delay_alu instid0(SALU_CYCLE_1) | instskip(SKIP_2) | instid1(VALU_DEP_1)
	s_or_b32 exec_lo, exec_lo, s28
	v_lshrrev_b16 v2, 8, v10
	s_mov_b32 s28, exec_lo
	v_cmpx_ne_u16_e32 0, v2
	s_cbranch_execz .LBB268_313
; %bb.306:                              ;   in Loop: Header=BB268_9 Depth=1
	v_bfrev_b32_e32 v58, 1
	s_mov_b32 s29, exec_lo
	v_cmpx_ne_u16_e32 0x80, v2
	s_cbranch_execz .LBB268_312
; %bb.307:                              ;   in Loop: Header=BB268_9 Depth=1
	v_and_b32_e32 v60, 0xffff, v2
	v_mov_b32_e32 v58, 0x7c010000
	s_mov_b32 s30, exec_lo
	s_delay_alu instid0(VALU_DEP_2) | instskip(NEXT) | instid1(VALU_DEP_1)
	v_and_b32_e32 v62, 0x7f, v60
	v_cmpx_ne_u32_e32 0x7f, v62
	s_cbranch_execz .LBB268_311
; %bb.308:                              ;   in Loop: Header=BB268_9 Depth=1
	v_dual_lshrrev_b32 v61, 3, v62 :: v_dual_bitop2_b32 v58, 7, v60 bitop3:0x40
	s_mov_b32 s31, exec_lo
	v_cmpx_gt_u32_e32 8, v62
; %bb.309:                              ;   in Loop: Header=BB268_9 Depth=1
	s_delay_alu instid0(VALU_DEP_2) | instskip(NEXT) | instid1(VALU_DEP_1)
	v_clz_i32_u32_e32 v58, v58
	v_min_u32_e32 v58, 32, v58
	s_delay_alu instid0(VALU_DEP_1) | instskip(NEXT) | instid1(VALU_DEP_1)
	v_subrev_nc_u32_e32 v61, 28, v58
	v_lshlrev_b64_e32 v[62:63], v61, v[2:3]
	v_sub_nc_u32_e32 v61, 29, v58
	s_delay_alu instid0(VALU_DEP_2)
	v_and_b32_e32 v58, 7, v62
; %bb.310:                              ;   in Loop: Header=BB268_9 Depth=1
	s_or_b32 exec_lo, exec_lo, s31
	s_delay_alu instid0(VALU_DEP_1) | instskip(NEXT) | instid1(VALU_DEP_3)
	v_dual_lshlrev_b32 v2, 8, v60 :: v_dual_lshlrev_b32 v58, 23, v58
	v_lshl_add_u32 v60, v61, 10, 0x2000
	s_delay_alu instid0(VALU_DEP_1) | instskip(NEXT) | instid1(VALU_DEP_1)
	v_and_or_b32 v2, 0x8000, v2, v60
	v_lshl_or_b32 v58, v2, 16, v58
.LBB268_311:                            ;   in Loop: Header=BB268_9 Depth=1
	s_or_b32 exec_lo, exec_lo, s30
.LBB268_312:                            ;   in Loop: Header=BB268_9 Depth=1
	s_delay_alu instid0(SALU_CYCLE_1)
	s_or_b32 exec_lo, exec_lo, s29
.LBB268_313:                            ;   in Loop: Header=BB268_9 Depth=1
	s_delay_alu instid0(SALU_CYCLE_1) | instskip(SKIP_3) | instid1(VALU_DEP_2)
	s_or_b32 exec_lo, exec_lo, s28
	v_dual_lshrrev_b32 v2, 16, v10 :: v_dual_mov_b32 v60, 0
	v_mov_b32_e32 v61, 0
	s_mov_b32 s28, exec_lo
	v_and_b32_e32 v62, 0xff, v2
	s_delay_alu instid0(VALU_DEP_1)
	v_cmpx_ne_u16_e32 0, v62
	s_cbranch_execz .LBB268_321
; %bb.314:                              ;   in Loop: Header=BB268_9 Depth=1
	v_mov_b32_e32 v61, 0x8000
	s_mov_b32 s29, exec_lo
	v_cmpx_ne_u16_e32 0x80, v62
	s_cbranch_execz .LBB268_320
; %bb.315:                              ;   in Loop: Header=BB268_9 Depth=1
	v_bfe_u32 v63, v10, 16, 7
	v_mov_b32_e32 v61, 0x7c01
	s_mov_b32 s30, exec_lo
	s_delay_alu instid0(VALU_DEP_2)
	v_cmpx_ne_u32_e32 0x7f, v63
	s_cbranch_execz .LBB268_319
; %bb.316:                              ;   in Loop: Header=BB268_9 Depth=1
	v_dual_lshrrev_b32 v62, 3, v63 :: v_dual_bitop2_b32 v61, 7, v2 bitop3:0x40
	s_mov_b32 s31, exec_lo
	v_cmpx_gt_u32_e32 8, v63
; %bb.317:                              ;   in Loop: Header=BB268_9 Depth=1
	s_delay_alu instid0(VALU_DEP_2) | instskip(NEXT) | instid1(VALU_DEP_1)
	v_clz_i32_u32_e32 v61, v61
	v_min_u32_e32 v61, 32, v61
	s_delay_alu instid0(VALU_DEP_1) | instskip(NEXT) | instid1(VALU_DEP_1)
	v_subrev_nc_u32_e32 v62, 28, v61
	v_lshlrev_b64_e32 v[64:65], v62, v[2:3]
	s_delay_alu instid0(VALU_DEP_1)
	v_dual_sub_nc_u32 v62, 29, v61 :: v_dual_bitop2_b32 v61, 7, v64 bitop3:0x40
; %bb.318:                              ;   in Loop: Header=BB268_9 Depth=1
	s_or_b32 exec_lo, exec_lo, s31
	s_delay_alu instid0(VALU_DEP_1) | instskip(NEXT) | instid1(VALU_DEP_2)
	v_dual_lshlrev_b32 v2, 8, v2 :: v_dual_lshlrev_b32 v61, 7, v61
	v_lshl_add_u32 v62, v62, 10, 0x2000
	s_delay_alu instid0(VALU_DEP_2) | instskip(NEXT) | instid1(VALU_DEP_2)
	v_and_b32_e32 v2, 0x8000, v2
	v_and_b32_e32 v62, 0xfc00, v62
	s_delay_alu instid0(VALU_DEP_1)
	v_or3_b32 v61, v2, v62, v61
.LBB268_319:                            ;   in Loop: Header=BB268_9 Depth=1
	s_or_b32 exec_lo, exec_lo, s30
.LBB268_320:                            ;   in Loop: Header=BB268_9 Depth=1
	s_delay_alu instid0(SALU_CYCLE_1)
	s_or_b32 exec_lo, exec_lo, s29
.LBB268_321:                            ;   in Loop: Header=BB268_9 Depth=1
	s_delay_alu instid0(SALU_CYCLE_1) | instskip(NEXT) | instid1(SALU_CYCLE_1)
	s_or_b32 exec_lo, exec_lo, s28
	s_mov_b32 s28, exec_lo
	v_cmpx_lt_u32_e32 0xffffff, v10
	s_cbranch_execz .LBB268_329
; %bb.322:                              ;   in Loop: Header=BB268_9 Depth=1
	v_lshrrev_b32_e32 v2, 24, v10
	v_bfrev_b32_e32 v60, 1
	s_mov_b32 s29, exec_lo
	s_delay_alu instid0(VALU_DEP_2)
	v_cmpx_ne_u32_e32 0x80, v2
	s_cbranch_execz .LBB268_328
; %bb.323:                              ;   in Loop: Header=BB268_9 Depth=1
	v_and_b32_e32 v62, 0x7f, v2
	v_mov_b32_e32 v60, 0x7c010000
	s_mov_b32 s30, exec_lo
	s_delay_alu instid0(VALU_DEP_2)
	v_cmpx_ne_u32_e32 0x7f, v62
	s_cbranch_execz .LBB268_327
; %bb.324:                              ;   in Loop: Header=BB268_9 Depth=1
	v_and_b32_e32 v10, 7, v2
	v_lshrrev_b32_e32 v60, 3, v62
	s_mov_b32 s31, exec_lo
	v_cmpx_gt_u32_e32 8, v62
; %bb.325:                              ;   in Loop: Header=BB268_9 Depth=1
	s_delay_alu instid0(VALU_DEP_3) | instskip(NEXT) | instid1(VALU_DEP_1)
	v_clz_i32_u32_e32 v10, v10
	v_min_u32_e32 v10, 32, v10
	s_delay_alu instid0(VALU_DEP_1) | instskip(NEXT) | instid1(VALU_DEP_1)
	v_subrev_nc_u32_e32 v60, 28, v10
	v_lshlrev_b64_e32 v[62:63], v60, v[2:3]
	v_sub_nc_u32_e32 v60, 29, v10
	s_delay_alu instid0(VALU_DEP_2)
	v_and_b32_e32 v10, 7, v62
; %bb.326:                              ;   in Loop: Header=BB268_9 Depth=1
	s_or_b32 exec_lo, exec_lo, s31
	v_lshlrev_b32_e32 v2, 8, v2
	s_delay_alu instid0(VALU_DEP_3) | instskip(NEXT) | instid1(VALU_DEP_3)
	v_lshl_add_u32 v60, v60, 10, 0x2000
	v_lshlrev_b32_e32 v10, 23, v10
	s_delay_alu instid0(VALU_DEP_2) | instskip(NEXT) | instid1(VALU_DEP_1)
	v_and_or_b32 v2, 0x8000, v2, v60
	v_lshl_or_b32 v60, v2, 16, v10
.LBB268_327:                            ;   in Loop: Header=BB268_9 Depth=1
	s_or_b32 exec_lo, exec_lo, s30
.LBB268_328:                            ;   in Loop: Header=BB268_9 Depth=1
	s_delay_alu instid0(SALU_CYCLE_1)
	s_or_b32 exec_lo, exec_lo, s29
.LBB268_329:                            ;   in Loop: Header=BB268_9 Depth=1
	s_delay_alu instid0(SALU_CYCLE_1)
	s_or_b32 exec_lo, exec_lo, s28
	global_load_b32 v10, v[8:9], off offset:1280
	v_dual_mov_b32 v62, 0 :: v_dual_mov_b32 v63, 0
	s_mov_b32 s28, exec_lo
	s_wait_loadcnt 0x0
	v_and_b32_e32 v2, 0xff, v10
	s_delay_alu instid0(VALU_DEP_1)
	v_cmpx_ne_u16_e32 0, v2
	s_cbranch_execz .LBB268_337
; %bb.330:                              ;   in Loop: Header=BB268_9 Depth=1
	v_mov_b32_e32 v63, 0x8000
	s_mov_b32 s29, exec_lo
	v_cmpx_ne_u16_e32 0x80, v2
	s_cbranch_execz .LBB268_336
; %bb.331:                              ;   in Loop: Header=BB268_9 Depth=1
	v_and_b32_e32 v64, 0x7f, v10
	v_mov_b32_e32 v63, 0x7c01
	s_mov_b32 s30, exec_lo
	s_delay_alu instid0(VALU_DEP_2)
	v_cmpx_ne_u32_e32 0x7f, v64
	s_cbranch_execz .LBB268_335
; %bb.332:                              ;   in Loop: Header=BB268_9 Depth=1
	v_dual_lshrrev_b32 v63, 3, v64 :: v_dual_bitop2_b32 v2, 7, v10 bitop3:0x40
	s_mov_b32 s31, exec_lo
	v_cmpx_gt_u32_e32 8, v64
; %bb.333:                              ;   in Loop: Header=BB268_9 Depth=1
	s_delay_alu instid0(VALU_DEP_2) | instskip(NEXT) | instid1(VALU_DEP_1)
	v_clz_i32_u32_e32 v2, v2
	v_min_u32_e32 v2, 32, v2
	s_delay_alu instid0(VALU_DEP_1) | instskip(NEXT) | instid1(VALU_DEP_1)
	v_subrev_nc_u32_e32 v63, 28, v2
	v_lshlrev_b64_e32 v[64:65], v63, v[10:11]
	s_delay_alu instid0(VALU_DEP_1)
	v_dual_sub_nc_u32 v63, 29, v2 :: v_dual_bitop2_b32 v2, 7, v64 bitop3:0x40
; %bb.334:                              ;   in Loop: Header=BB268_9 Depth=1
	s_or_b32 exec_lo, exec_lo, s31
	v_lshlrev_b32_e32 v64, 8, v10
	s_delay_alu instid0(VALU_DEP_2) | instskip(NEXT) | instid1(VALU_DEP_3)
	v_lshl_add_u32 v63, v63, 10, 0x2000
	v_lshlrev_b32_e32 v2, 7, v2
	s_delay_alu instid0(VALU_DEP_3) | instskip(NEXT) | instid1(VALU_DEP_3)
	v_and_b32_e32 v64, 0x8000, v64
	v_and_b32_e32 v63, 0xfc00, v63
	s_delay_alu instid0(VALU_DEP_1)
	v_or3_b32 v63, v64, v63, v2
.LBB268_335:                            ;   in Loop: Header=BB268_9 Depth=1
	s_or_b32 exec_lo, exec_lo, s30
.LBB268_336:                            ;   in Loop: Header=BB268_9 Depth=1
	s_delay_alu instid0(SALU_CYCLE_1)
	s_or_b32 exec_lo, exec_lo, s29
.LBB268_337:                            ;   in Loop: Header=BB268_9 Depth=1
	s_delay_alu instid0(SALU_CYCLE_1) | instskip(SKIP_2) | instid1(VALU_DEP_1)
	s_or_b32 exec_lo, exec_lo, s28
	v_lshrrev_b16 v2, 8, v10
	s_mov_b32 s28, exec_lo
	v_cmpx_ne_u16_e32 0, v2
	s_cbranch_execz .LBB268_345
; %bb.338:                              ;   in Loop: Header=BB268_9 Depth=1
	v_bfrev_b32_e32 v62, 1
	s_mov_b32 s29, exec_lo
	v_cmpx_ne_u16_e32 0x80, v2
	s_cbranch_execz .LBB268_344
; %bb.339:                              ;   in Loop: Header=BB268_9 Depth=1
	v_and_b32_e32 v64, 0xffff, v2
	v_mov_b32_e32 v62, 0x7c010000
	s_mov_b32 s30, exec_lo
	s_delay_alu instid0(VALU_DEP_2) | instskip(NEXT) | instid1(VALU_DEP_1)
	v_and_b32_e32 v66, 0x7f, v64
	v_cmpx_ne_u32_e32 0x7f, v66
	s_cbranch_execz .LBB268_343
; %bb.340:                              ;   in Loop: Header=BB268_9 Depth=1
	v_dual_lshrrev_b32 v65, 3, v66 :: v_dual_bitop2_b32 v62, 7, v64 bitop3:0x40
	s_mov_b32 s31, exec_lo
	v_cmpx_gt_u32_e32 8, v66
; %bb.341:                              ;   in Loop: Header=BB268_9 Depth=1
	s_delay_alu instid0(VALU_DEP_2) | instskip(NEXT) | instid1(VALU_DEP_1)
	v_clz_i32_u32_e32 v62, v62
	v_min_u32_e32 v62, 32, v62
	s_delay_alu instid0(VALU_DEP_1) | instskip(NEXT) | instid1(VALU_DEP_1)
	v_subrev_nc_u32_e32 v65, 28, v62
	v_lshlrev_b64_e32 v[66:67], v65, v[2:3]
	v_sub_nc_u32_e32 v65, 29, v62
	s_delay_alu instid0(VALU_DEP_2)
	v_and_b32_e32 v62, 7, v66
; %bb.342:                              ;   in Loop: Header=BB268_9 Depth=1
	s_or_b32 exec_lo, exec_lo, s31
	s_delay_alu instid0(VALU_DEP_1) | instskip(NEXT) | instid1(VALU_DEP_3)
	v_dual_lshlrev_b32 v2, 8, v64 :: v_dual_lshlrev_b32 v62, 23, v62
	v_lshl_add_u32 v64, v65, 10, 0x2000
	s_delay_alu instid0(VALU_DEP_1) | instskip(NEXT) | instid1(VALU_DEP_1)
	v_and_or_b32 v2, 0x8000, v2, v64
	v_lshl_or_b32 v62, v2, 16, v62
.LBB268_343:                            ;   in Loop: Header=BB268_9 Depth=1
	s_or_b32 exec_lo, exec_lo, s30
.LBB268_344:                            ;   in Loop: Header=BB268_9 Depth=1
	s_delay_alu instid0(SALU_CYCLE_1)
	s_or_b32 exec_lo, exec_lo, s29
.LBB268_345:                            ;   in Loop: Header=BB268_9 Depth=1
	s_delay_alu instid0(SALU_CYCLE_1) | instskip(SKIP_3) | instid1(VALU_DEP_2)
	s_or_b32 exec_lo, exec_lo, s28
	v_dual_lshrrev_b32 v2, 16, v10 :: v_dual_mov_b32 v64, 0
	v_mov_b32_e32 v65, 0
	s_mov_b32 s28, exec_lo
	v_and_b32_e32 v66, 0xff, v2
	s_delay_alu instid0(VALU_DEP_1)
	v_cmpx_ne_u16_e32 0, v66
	s_cbranch_execz .LBB268_353
; %bb.346:                              ;   in Loop: Header=BB268_9 Depth=1
	v_mov_b32_e32 v65, 0x8000
	s_mov_b32 s29, exec_lo
	v_cmpx_ne_u16_e32 0x80, v66
	s_cbranch_execz .LBB268_352
; %bb.347:                              ;   in Loop: Header=BB268_9 Depth=1
	v_bfe_u32 v67, v10, 16, 7
	v_mov_b32_e32 v65, 0x7c01
	s_mov_b32 s30, exec_lo
	s_delay_alu instid0(VALU_DEP_2)
	v_cmpx_ne_u32_e32 0x7f, v67
	s_cbranch_execz .LBB268_351
; %bb.348:                              ;   in Loop: Header=BB268_9 Depth=1
	v_dual_lshrrev_b32 v66, 3, v67 :: v_dual_bitop2_b32 v65, 7, v2 bitop3:0x40
	s_mov_b32 s31, exec_lo
	v_cmpx_gt_u32_e32 8, v67
; %bb.349:                              ;   in Loop: Header=BB268_9 Depth=1
	s_delay_alu instid0(VALU_DEP_2) | instskip(NEXT) | instid1(VALU_DEP_1)
	v_clz_i32_u32_e32 v65, v65
	v_min_u32_e32 v65, 32, v65
	s_delay_alu instid0(VALU_DEP_1) | instskip(NEXT) | instid1(VALU_DEP_1)
	v_subrev_nc_u32_e32 v66, 28, v65
	v_lshlrev_b64_e32 v[68:69], v66, v[2:3]
	s_delay_alu instid0(VALU_DEP_1)
	v_dual_sub_nc_u32 v66, 29, v65 :: v_dual_bitop2_b32 v65, 7, v68 bitop3:0x40
; %bb.350:                              ;   in Loop: Header=BB268_9 Depth=1
	s_or_b32 exec_lo, exec_lo, s31
	s_delay_alu instid0(VALU_DEP_1) | instskip(NEXT) | instid1(VALU_DEP_2)
	v_dual_lshlrev_b32 v2, 8, v2 :: v_dual_lshlrev_b32 v65, 7, v65
	v_lshl_add_u32 v66, v66, 10, 0x2000
	s_delay_alu instid0(VALU_DEP_2) | instskip(NEXT) | instid1(VALU_DEP_2)
	v_and_b32_e32 v2, 0x8000, v2
	v_and_b32_e32 v66, 0xfc00, v66
	s_delay_alu instid0(VALU_DEP_1)
	v_or3_b32 v65, v2, v66, v65
.LBB268_351:                            ;   in Loop: Header=BB268_9 Depth=1
	s_or_b32 exec_lo, exec_lo, s30
.LBB268_352:                            ;   in Loop: Header=BB268_9 Depth=1
	s_delay_alu instid0(SALU_CYCLE_1)
	s_or_b32 exec_lo, exec_lo, s29
.LBB268_353:                            ;   in Loop: Header=BB268_9 Depth=1
	s_delay_alu instid0(SALU_CYCLE_1) | instskip(NEXT) | instid1(SALU_CYCLE_1)
	s_or_b32 exec_lo, exec_lo, s28
	s_mov_b32 s28, exec_lo
	v_cmpx_lt_u32_e32 0xffffff, v10
	s_cbranch_execz .LBB268_361
; %bb.354:                              ;   in Loop: Header=BB268_9 Depth=1
	v_lshrrev_b32_e32 v2, 24, v10
	v_bfrev_b32_e32 v64, 1
	s_mov_b32 s29, exec_lo
	s_delay_alu instid0(VALU_DEP_2)
	v_cmpx_ne_u32_e32 0x80, v2
	s_cbranch_execz .LBB268_360
; %bb.355:                              ;   in Loop: Header=BB268_9 Depth=1
	v_and_b32_e32 v66, 0x7f, v2
	v_mov_b32_e32 v64, 0x7c010000
	s_mov_b32 s30, exec_lo
	s_delay_alu instid0(VALU_DEP_2)
	v_cmpx_ne_u32_e32 0x7f, v66
	s_cbranch_execz .LBB268_359
; %bb.356:                              ;   in Loop: Header=BB268_9 Depth=1
	v_and_b32_e32 v10, 7, v2
	v_lshrrev_b32_e32 v64, 3, v66
	s_mov_b32 s31, exec_lo
	v_cmpx_gt_u32_e32 8, v66
; %bb.357:                              ;   in Loop: Header=BB268_9 Depth=1
	s_delay_alu instid0(VALU_DEP_3) | instskip(NEXT) | instid1(VALU_DEP_1)
	v_clz_i32_u32_e32 v10, v10
	v_min_u32_e32 v10, 32, v10
	s_delay_alu instid0(VALU_DEP_1) | instskip(NEXT) | instid1(VALU_DEP_1)
	v_subrev_nc_u32_e32 v64, 28, v10
	v_lshlrev_b64_e32 v[66:67], v64, v[2:3]
	v_sub_nc_u32_e32 v64, 29, v10
	s_delay_alu instid0(VALU_DEP_2)
	v_and_b32_e32 v10, 7, v66
; %bb.358:                              ;   in Loop: Header=BB268_9 Depth=1
	s_or_b32 exec_lo, exec_lo, s31
	v_lshlrev_b32_e32 v2, 8, v2
	s_delay_alu instid0(VALU_DEP_3) | instskip(NEXT) | instid1(VALU_DEP_3)
	v_lshl_add_u32 v64, v64, 10, 0x2000
	v_lshlrev_b32_e32 v10, 23, v10
	s_delay_alu instid0(VALU_DEP_2) | instskip(NEXT) | instid1(VALU_DEP_1)
	v_and_or_b32 v2, 0x8000, v2, v64
	v_lshl_or_b32 v64, v2, 16, v10
.LBB268_359:                            ;   in Loop: Header=BB268_9 Depth=1
	s_or_b32 exec_lo, exec_lo, s30
.LBB268_360:                            ;   in Loop: Header=BB268_9 Depth=1
	s_delay_alu instid0(SALU_CYCLE_1)
	s_or_b32 exec_lo, exec_lo, s29
.LBB268_361:                            ;   in Loop: Header=BB268_9 Depth=1
	s_delay_alu instid0(SALU_CYCLE_1)
	s_or_b32 exec_lo, exec_lo, s28
	global_load_b32 v10, v[8:9], off offset:1288
	v_dual_mov_b32 v66, 0 :: v_dual_mov_b32 v67, 0
	s_mov_b32 s28, exec_lo
	s_wait_loadcnt 0x0
	v_and_b32_e32 v2, 0xff, v10
	s_delay_alu instid0(VALU_DEP_1)
	v_cmpx_ne_u16_e32 0, v2
	s_cbranch_execz .LBB268_369
; %bb.362:                              ;   in Loop: Header=BB268_9 Depth=1
	v_mov_b32_e32 v67, 0x8000
	s_mov_b32 s29, exec_lo
	v_cmpx_ne_u16_e32 0x80, v2
	s_cbranch_execz .LBB268_368
; %bb.363:                              ;   in Loop: Header=BB268_9 Depth=1
	v_and_b32_e32 v68, 0x7f, v10
	v_mov_b32_e32 v67, 0x7c01
	s_mov_b32 s30, exec_lo
	s_delay_alu instid0(VALU_DEP_2)
	v_cmpx_ne_u32_e32 0x7f, v68
	s_cbranch_execz .LBB268_367
; %bb.364:                              ;   in Loop: Header=BB268_9 Depth=1
	v_dual_lshrrev_b32 v67, 3, v68 :: v_dual_bitop2_b32 v2, 7, v10 bitop3:0x40
	s_mov_b32 s31, exec_lo
	v_cmpx_gt_u32_e32 8, v68
; %bb.365:                              ;   in Loop: Header=BB268_9 Depth=1
	s_delay_alu instid0(VALU_DEP_2) | instskip(NEXT) | instid1(VALU_DEP_1)
	v_clz_i32_u32_e32 v2, v2
	v_min_u32_e32 v2, 32, v2
	s_delay_alu instid0(VALU_DEP_1) | instskip(NEXT) | instid1(VALU_DEP_1)
	v_subrev_nc_u32_e32 v67, 28, v2
	v_lshlrev_b64_e32 v[68:69], v67, v[10:11]
	s_delay_alu instid0(VALU_DEP_1)
	v_dual_sub_nc_u32 v67, 29, v2 :: v_dual_bitop2_b32 v2, 7, v68 bitop3:0x40
; %bb.366:                              ;   in Loop: Header=BB268_9 Depth=1
	s_or_b32 exec_lo, exec_lo, s31
	v_lshlrev_b32_e32 v68, 8, v10
	s_delay_alu instid0(VALU_DEP_2) | instskip(NEXT) | instid1(VALU_DEP_3)
	v_lshl_add_u32 v67, v67, 10, 0x2000
	v_lshlrev_b32_e32 v2, 7, v2
	s_delay_alu instid0(VALU_DEP_3) | instskip(NEXT) | instid1(VALU_DEP_3)
	v_and_b32_e32 v68, 0x8000, v68
	v_and_b32_e32 v67, 0xfc00, v67
	s_delay_alu instid0(VALU_DEP_1)
	v_or3_b32 v67, v68, v67, v2
.LBB268_367:                            ;   in Loop: Header=BB268_9 Depth=1
	s_or_b32 exec_lo, exec_lo, s30
.LBB268_368:                            ;   in Loop: Header=BB268_9 Depth=1
	s_delay_alu instid0(SALU_CYCLE_1)
	s_or_b32 exec_lo, exec_lo, s29
.LBB268_369:                            ;   in Loop: Header=BB268_9 Depth=1
	s_delay_alu instid0(SALU_CYCLE_1) | instskip(SKIP_2) | instid1(VALU_DEP_1)
	s_or_b32 exec_lo, exec_lo, s28
	v_lshrrev_b16 v2, 8, v10
	s_mov_b32 s28, exec_lo
	v_cmpx_ne_u16_e32 0, v2
	s_cbranch_execz .LBB268_377
; %bb.370:                              ;   in Loop: Header=BB268_9 Depth=1
	v_bfrev_b32_e32 v66, 1
	s_mov_b32 s29, exec_lo
	v_cmpx_ne_u16_e32 0x80, v2
	s_cbranch_execz .LBB268_376
; %bb.371:                              ;   in Loop: Header=BB268_9 Depth=1
	v_and_b32_e32 v68, 0xffff, v2
	v_mov_b32_e32 v66, 0x7c010000
	s_mov_b32 s30, exec_lo
	s_delay_alu instid0(VALU_DEP_2) | instskip(NEXT) | instid1(VALU_DEP_1)
	v_and_b32_e32 v70, 0x7f, v68
	v_cmpx_ne_u32_e32 0x7f, v70
	s_cbranch_execz .LBB268_375
; %bb.372:                              ;   in Loop: Header=BB268_9 Depth=1
	v_dual_lshrrev_b32 v69, 3, v70 :: v_dual_bitop2_b32 v66, 7, v68 bitop3:0x40
	s_mov_b32 s31, exec_lo
	v_cmpx_gt_u32_e32 8, v70
; %bb.373:                              ;   in Loop: Header=BB268_9 Depth=1
	s_delay_alu instid0(VALU_DEP_2) | instskip(NEXT) | instid1(VALU_DEP_1)
	v_clz_i32_u32_e32 v66, v66
	v_min_u32_e32 v66, 32, v66
	s_delay_alu instid0(VALU_DEP_1) | instskip(NEXT) | instid1(VALU_DEP_1)
	v_subrev_nc_u32_e32 v69, 28, v66
	v_lshlrev_b64_e32 v[70:71], v69, v[2:3]
	v_sub_nc_u32_e32 v69, 29, v66
	s_delay_alu instid0(VALU_DEP_2)
	v_and_b32_e32 v66, 7, v70
; %bb.374:                              ;   in Loop: Header=BB268_9 Depth=1
	s_or_b32 exec_lo, exec_lo, s31
	s_delay_alu instid0(VALU_DEP_1) | instskip(NEXT) | instid1(VALU_DEP_3)
	v_dual_lshlrev_b32 v2, 8, v68 :: v_dual_lshlrev_b32 v66, 23, v66
	v_lshl_add_u32 v68, v69, 10, 0x2000
	s_delay_alu instid0(VALU_DEP_1) | instskip(NEXT) | instid1(VALU_DEP_1)
	v_and_or_b32 v2, 0x8000, v2, v68
	v_lshl_or_b32 v66, v2, 16, v66
.LBB268_375:                            ;   in Loop: Header=BB268_9 Depth=1
	s_or_b32 exec_lo, exec_lo, s30
.LBB268_376:                            ;   in Loop: Header=BB268_9 Depth=1
	s_delay_alu instid0(SALU_CYCLE_1)
	s_or_b32 exec_lo, exec_lo, s29
.LBB268_377:                            ;   in Loop: Header=BB268_9 Depth=1
	s_delay_alu instid0(SALU_CYCLE_1) | instskip(SKIP_3) | instid1(VALU_DEP_2)
	s_or_b32 exec_lo, exec_lo, s28
	v_dual_lshrrev_b32 v2, 16, v10 :: v_dual_mov_b32 v68, 0
	v_mov_b32_e32 v69, 0
	s_mov_b32 s28, exec_lo
	v_and_b32_e32 v70, 0xff, v2
	s_delay_alu instid0(VALU_DEP_1)
	v_cmpx_ne_u16_e32 0, v70
	s_cbranch_execz .LBB268_385
; %bb.378:                              ;   in Loop: Header=BB268_9 Depth=1
	v_mov_b32_e32 v69, 0x8000
	s_mov_b32 s29, exec_lo
	v_cmpx_ne_u16_e32 0x80, v70
	s_cbranch_execz .LBB268_384
; %bb.379:                              ;   in Loop: Header=BB268_9 Depth=1
	v_bfe_u32 v71, v10, 16, 7
	v_mov_b32_e32 v69, 0x7c01
	s_mov_b32 s30, exec_lo
	s_delay_alu instid0(VALU_DEP_2)
	v_cmpx_ne_u32_e32 0x7f, v71
	s_cbranch_execz .LBB268_383
; %bb.380:                              ;   in Loop: Header=BB268_9 Depth=1
	v_dual_lshrrev_b32 v70, 3, v71 :: v_dual_bitop2_b32 v69, 7, v2 bitop3:0x40
	s_mov_b32 s31, exec_lo
	v_cmpx_gt_u32_e32 8, v71
; %bb.381:                              ;   in Loop: Header=BB268_9 Depth=1
	s_delay_alu instid0(VALU_DEP_2) | instskip(NEXT) | instid1(VALU_DEP_1)
	v_clz_i32_u32_e32 v69, v69
	v_min_u32_e32 v69, 32, v69
	s_delay_alu instid0(VALU_DEP_1) | instskip(NEXT) | instid1(VALU_DEP_1)
	v_subrev_nc_u32_e32 v70, 28, v69
	v_lshlrev_b64_e32 v[72:73], v70, v[2:3]
	s_delay_alu instid0(VALU_DEP_1)
	v_dual_sub_nc_u32 v70, 29, v69 :: v_dual_bitop2_b32 v69, 7, v72 bitop3:0x40
; %bb.382:                              ;   in Loop: Header=BB268_9 Depth=1
	s_or_b32 exec_lo, exec_lo, s31
	s_delay_alu instid0(VALU_DEP_1) | instskip(NEXT) | instid1(VALU_DEP_2)
	v_dual_lshlrev_b32 v2, 8, v2 :: v_dual_lshlrev_b32 v69, 7, v69
	v_lshl_add_u32 v70, v70, 10, 0x2000
	s_delay_alu instid0(VALU_DEP_2) | instskip(NEXT) | instid1(VALU_DEP_2)
	v_and_b32_e32 v2, 0x8000, v2
	v_and_b32_e32 v70, 0xfc00, v70
	s_delay_alu instid0(VALU_DEP_1)
	v_or3_b32 v69, v2, v70, v69
.LBB268_383:                            ;   in Loop: Header=BB268_9 Depth=1
	s_or_b32 exec_lo, exec_lo, s30
.LBB268_384:                            ;   in Loop: Header=BB268_9 Depth=1
	s_delay_alu instid0(SALU_CYCLE_1)
	s_or_b32 exec_lo, exec_lo, s29
.LBB268_385:                            ;   in Loop: Header=BB268_9 Depth=1
	s_delay_alu instid0(SALU_CYCLE_1) | instskip(NEXT) | instid1(SALU_CYCLE_1)
	s_or_b32 exec_lo, exec_lo, s28
	s_mov_b32 s28, exec_lo
	v_cmpx_lt_u32_e32 0xffffff, v10
	s_cbranch_execz .LBB268_393
; %bb.386:                              ;   in Loop: Header=BB268_9 Depth=1
	v_lshrrev_b32_e32 v2, 24, v10
	v_bfrev_b32_e32 v68, 1
	s_mov_b32 s29, exec_lo
	s_delay_alu instid0(VALU_DEP_2)
	v_cmpx_ne_u32_e32 0x80, v2
	s_cbranch_execz .LBB268_392
; %bb.387:                              ;   in Loop: Header=BB268_9 Depth=1
	v_and_b32_e32 v70, 0x7f, v2
	v_mov_b32_e32 v68, 0x7c010000
	s_mov_b32 s30, exec_lo
	s_delay_alu instid0(VALU_DEP_2)
	v_cmpx_ne_u32_e32 0x7f, v70
	s_cbranch_execz .LBB268_391
; %bb.388:                              ;   in Loop: Header=BB268_9 Depth=1
	v_and_b32_e32 v10, 7, v2
	v_lshrrev_b32_e32 v68, 3, v70
	s_mov_b32 s31, exec_lo
	v_cmpx_gt_u32_e32 8, v70
; %bb.389:                              ;   in Loop: Header=BB268_9 Depth=1
	s_delay_alu instid0(VALU_DEP_3) | instskip(NEXT) | instid1(VALU_DEP_1)
	v_clz_i32_u32_e32 v10, v10
	v_min_u32_e32 v10, 32, v10
	s_delay_alu instid0(VALU_DEP_1) | instskip(NEXT) | instid1(VALU_DEP_1)
	v_subrev_nc_u32_e32 v68, 28, v10
	v_lshlrev_b64_e32 v[70:71], v68, v[2:3]
	v_sub_nc_u32_e32 v68, 29, v10
	s_delay_alu instid0(VALU_DEP_2)
	v_and_b32_e32 v10, 7, v70
; %bb.390:                              ;   in Loop: Header=BB268_9 Depth=1
	s_or_b32 exec_lo, exec_lo, s31
	v_lshlrev_b32_e32 v2, 8, v2
	s_delay_alu instid0(VALU_DEP_3) | instskip(NEXT) | instid1(VALU_DEP_3)
	v_lshl_add_u32 v68, v68, 10, 0x2000
	v_lshlrev_b32_e32 v10, 23, v10
	s_delay_alu instid0(VALU_DEP_2) | instskip(NEXT) | instid1(VALU_DEP_1)
	v_and_or_b32 v2, 0x8000, v2, v68
	v_lshl_or_b32 v68, v2, 16, v10
.LBB268_391:                            ;   in Loop: Header=BB268_9 Depth=1
	s_or_b32 exec_lo, exec_lo, s30
.LBB268_392:                            ;   in Loop: Header=BB268_9 Depth=1
	s_delay_alu instid0(SALU_CYCLE_1)
	s_or_b32 exec_lo, exec_lo, s29
.LBB268_393:                            ;   in Loop: Header=BB268_9 Depth=1
	s_delay_alu instid0(SALU_CYCLE_1)
	s_or_b32 exec_lo, exec_lo, s28
	global_load_b32 v10, v[8:9], off offset:1536
	v_dual_mov_b32 v70, 0 :: v_dual_mov_b32 v71, 0
	s_mov_b32 s28, exec_lo
	s_wait_loadcnt 0x0
	v_and_b32_e32 v2, 0xff, v10
	s_delay_alu instid0(VALU_DEP_1)
	v_cmpx_ne_u16_e32 0, v2
	s_cbranch_execz .LBB268_401
; %bb.394:                              ;   in Loop: Header=BB268_9 Depth=1
	v_mov_b32_e32 v71, 0x8000
	s_mov_b32 s29, exec_lo
	v_cmpx_ne_u16_e32 0x80, v2
	s_cbranch_execz .LBB268_400
; %bb.395:                              ;   in Loop: Header=BB268_9 Depth=1
	v_and_b32_e32 v72, 0x7f, v10
	v_mov_b32_e32 v71, 0x7c01
	s_mov_b32 s30, exec_lo
	s_delay_alu instid0(VALU_DEP_2)
	v_cmpx_ne_u32_e32 0x7f, v72
	s_cbranch_execz .LBB268_399
; %bb.396:                              ;   in Loop: Header=BB268_9 Depth=1
	v_dual_lshrrev_b32 v71, 3, v72 :: v_dual_bitop2_b32 v2, 7, v10 bitop3:0x40
	s_mov_b32 s31, exec_lo
	v_cmpx_gt_u32_e32 8, v72
; %bb.397:                              ;   in Loop: Header=BB268_9 Depth=1
	s_delay_alu instid0(VALU_DEP_2) | instskip(NEXT) | instid1(VALU_DEP_1)
	v_clz_i32_u32_e32 v2, v2
	v_min_u32_e32 v2, 32, v2
	s_delay_alu instid0(VALU_DEP_1) | instskip(NEXT) | instid1(VALU_DEP_1)
	v_subrev_nc_u32_e32 v71, 28, v2
	v_lshlrev_b64_e32 v[72:73], v71, v[10:11]
	s_delay_alu instid0(VALU_DEP_1)
	v_dual_sub_nc_u32 v71, 29, v2 :: v_dual_bitop2_b32 v2, 7, v72 bitop3:0x40
; %bb.398:                              ;   in Loop: Header=BB268_9 Depth=1
	s_or_b32 exec_lo, exec_lo, s31
	v_lshlrev_b32_e32 v72, 8, v10
	s_delay_alu instid0(VALU_DEP_2) | instskip(NEXT) | instid1(VALU_DEP_3)
	v_lshl_add_u32 v71, v71, 10, 0x2000
	v_lshlrev_b32_e32 v2, 7, v2
	s_delay_alu instid0(VALU_DEP_3) | instskip(NEXT) | instid1(VALU_DEP_3)
	v_and_b32_e32 v72, 0x8000, v72
	v_and_b32_e32 v71, 0xfc00, v71
	s_delay_alu instid0(VALU_DEP_1)
	v_or3_b32 v71, v72, v71, v2
.LBB268_399:                            ;   in Loop: Header=BB268_9 Depth=1
	s_or_b32 exec_lo, exec_lo, s30
.LBB268_400:                            ;   in Loop: Header=BB268_9 Depth=1
	s_delay_alu instid0(SALU_CYCLE_1)
	s_or_b32 exec_lo, exec_lo, s29
.LBB268_401:                            ;   in Loop: Header=BB268_9 Depth=1
	s_delay_alu instid0(SALU_CYCLE_1) | instskip(SKIP_2) | instid1(VALU_DEP_1)
	s_or_b32 exec_lo, exec_lo, s28
	v_lshrrev_b16 v2, 8, v10
	s_mov_b32 s28, exec_lo
	v_cmpx_ne_u16_e32 0, v2
	s_cbranch_execz .LBB268_409
; %bb.402:                              ;   in Loop: Header=BB268_9 Depth=1
	v_bfrev_b32_e32 v70, 1
	s_mov_b32 s29, exec_lo
	v_cmpx_ne_u16_e32 0x80, v2
	s_cbranch_execz .LBB268_408
; %bb.403:                              ;   in Loop: Header=BB268_9 Depth=1
	v_and_b32_e32 v72, 0xffff, v2
	v_mov_b32_e32 v70, 0x7c010000
	s_mov_b32 s30, exec_lo
	s_delay_alu instid0(VALU_DEP_2) | instskip(NEXT) | instid1(VALU_DEP_1)
	v_and_b32_e32 v74, 0x7f, v72
	v_cmpx_ne_u32_e32 0x7f, v74
	s_cbranch_execz .LBB268_407
; %bb.404:                              ;   in Loop: Header=BB268_9 Depth=1
	v_dual_lshrrev_b32 v73, 3, v74 :: v_dual_bitop2_b32 v70, 7, v72 bitop3:0x40
	s_mov_b32 s31, exec_lo
	v_cmpx_gt_u32_e32 8, v74
; %bb.405:                              ;   in Loop: Header=BB268_9 Depth=1
	s_delay_alu instid0(VALU_DEP_2) | instskip(NEXT) | instid1(VALU_DEP_1)
	v_clz_i32_u32_e32 v70, v70
	v_min_u32_e32 v70, 32, v70
	s_delay_alu instid0(VALU_DEP_1) | instskip(NEXT) | instid1(VALU_DEP_1)
	v_subrev_nc_u32_e32 v73, 28, v70
	v_lshlrev_b64_e32 v[74:75], v73, v[2:3]
	v_sub_nc_u32_e32 v73, 29, v70
	s_delay_alu instid0(VALU_DEP_2)
	v_and_b32_e32 v70, 7, v74
; %bb.406:                              ;   in Loop: Header=BB268_9 Depth=1
	s_or_b32 exec_lo, exec_lo, s31
	s_delay_alu instid0(VALU_DEP_1) | instskip(NEXT) | instid1(VALU_DEP_3)
	v_dual_lshlrev_b32 v2, 8, v72 :: v_dual_lshlrev_b32 v70, 23, v70
	v_lshl_add_u32 v72, v73, 10, 0x2000
	s_delay_alu instid0(VALU_DEP_1) | instskip(NEXT) | instid1(VALU_DEP_1)
	v_and_or_b32 v2, 0x8000, v2, v72
	v_lshl_or_b32 v70, v2, 16, v70
.LBB268_407:                            ;   in Loop: Header=BB268_9 Depth=1
	s_or_b32 exec_lo, exec_lo, s30
.LBB268_408:                            ;   in Loop: Header=BB268_9 Depth=1
	s_delay_alu instid0(SALU_CYCLE_1)
	s_or_b32 exec_lo, exec_lo, s29
.LBB268_409:                            ;   in Loop: Header=BB268_9 Depth=1
	s_delay_alu instid0(SALU_CYCLE_1) | instskip(SKIP_3) | instid1(VALU_DEP_2)
	s_or_b32 exec_lo, exec_lo, s28
	v_dual_lshrrev_b32 v2, 16, v10 :: v_dual_mov_b32 v72, 0
	v_mov_b32_e32 v73, 0
	s_mov_b32 s28, exec_lo
	v_and_b32_e32 v74, 0xff, v2
	s_delay_alu instid0(VALU_DEP_1)
	v_cmpx_ne_u16_e32 0, v74
	s_cbranch_execz .LBB268_417
; %bb.410:                              ;   in Loop: Header=BB268_9 Depth=1
	v_mov_b32_e32 v73, 0x8000
	s_mov_b32 s29, exec_lo
	v_cmpx_ne_u16_e32 0x80, v74
	s_cbranch_execz .LBB268_416
; %bb.411:                              ;   in Loop: Header=BB268_9 Depth=1
	v_bfe_u32 v75, v10, 16, 7
	v_mov_b32_e32 v73, 0x7c01
	s_mov_b32 s30, exec_lo
	s_delay_alu instid0(VALU_DEP_2)
	v_cmpx_ne_u32_e32 0x7f, v75
	s_cbranch_execz .LBB268_415
; %bb.412:                              ;   in Loop: Header=BB268_9 Depth=1
	v_dual_lshrrev_b32 v74, 3, v75 :: v_dual_bitop2_b32 v73, 7, v2 bitop3:0x40
	s_mov_b32 s31, exec_lo
	v_cmpx_gt_u32_e32 8, v75
; %bb.413:                              ;   in Loop: Header=BB268_9 Depth=1
	s_delay_alu instid0(VALU_DEP_2) | instskip(NEXT) | instid1(VALU_DEP_1)
	v_clz_i32_u32_e32 v73, v73
	v_min_u32_e32 v73, 32, v73
	s_delay_alu instid0(VALU_DEP_1) | instskip(NEXT) | instid1(VALU_DEP_1)
	v_subrev_nc_u32_e32 v74, 28, v73
	v_lshlrev_b64_e32 v[76:77], v74, v[2:3]
	s_delay_alu instid0(VALU_DEP_1)
	v_dual_sub_nc_u32 v74, 29, v73 :: v_dual_bitop2_b32 v73, 7, v76 bitop3:0x40
; %bb.414:                              ;   in Loop: Header=BB268_9 Depth=1
	s_or_b32 exec_lo, exec_lo, s31
	s_delay_alu instid0(VALU_DEP_1) | instskip(NEXT) | instid1(VALU_DEP_2)
	v_dual_lshlrev_b32 v2, 8, v2 :: v_dual_lshlrev_b32 v73, 7, v73
	v_lshl_add_u32 v74, v74, 10, 0x2000
	s_delay_alu instid0(VALU_DEP_2) | instskip(NEXT) | instid1(VALU_DEP_2)
	v_and_b32_e32 v2, 0x8000, v2
	v_and_b32_e32 v74, 0xfc00, v74
	s_delay_alu instid0(VALU_DEP_1)
	v_or3_b32 v73, v2, v74, v73
.LBB268_415:                            ;   in Loop: Header=BB268_9 Depth=1
	s_or_b32 exec_lo, exec_lo, s30
.LBB268_416:                            ;   in Loop: Header=BB268_9 Depth=1
	s_delay_alu instid0(SALU_CYCLE_1)
	s_or_b32 exec_lo, exec_lo, s29
.LBB268_417:                            ;   in Loop: Header=BB268_9 Depth=1
	s_delay_alu instid0(SALU_CYCLE_1) | instskip(NEXT) | instid1(SALU_CYCLE_1)
	s_or_b32 exec_lo, exec_lo, s28
	s_mov_b32 s28, exec_lo
	v_cmpx_lt_u32_e32 0xffffff, v10
	s_cbranch_execz .LBB268_425
; %bb.418:                              ;   in Loop: Header=BB268_9 Depth=1
	v_lshrrev_b32_e32 v2, 24, v10
	v_bfrev_b32_e32 v72, 1
	s_mov_b32 s29, exec_lo
	s_delay_alu instid0(VALU_DEP_2)
	v_cmpx_ne_u32_e32 0x80, v2
	s_cbranch_execz .LBB268_424
; %bb.419:                              ;   in Loop: Header=BB268_9 Depth=1
	v_and_b32_e32 v74, 0x7f, v2
	v_mov_b32_e32 v72, 0x7c010000
	s_mov_b32 s30, exec_lo
	s_delay_alu instid0(VALU_DEP_2)
	v_cmpx_ne_u32_e32 0x7f, v74
	s_cbranch_execz .LBB268_423
; %bb.420:                              ;   in Loop: Header=BB268_9 Depth=1
	v_and_b32_e32 v10, 7, v2
	v_lshrrev_b32_e32 v72, 3, v74
	s_mov_b32 s31, exec_lo
	v_cmpx_gt_u32_e32 8, v74
; %bb.421:                              ;   in Loop: Header=BB268_9 Depth=1
	s_delay_alu instid0(VALU_DEP_3) | instskip(NEXT) | instid1(VALU_DEP_1)
	v_clz_i32_u32_e32 v10, v10
	v_min_u32_e32 v10, 32, v10
	s_delay_alu instid0(VALU_DEP_1) | instskip(NEXT) | instid1(VALU_DEP_1)
	v_subrev_nc_u32_e32 v72, 28, v10
	v_lshlrev_b64_e32 v[74:75], v72, v[2:3]
	v_sub_nc_u32_e32 v72, 29, v10
	s_delay_alu instid0(VALU_DEP_2)
	v_and_b32_e32 v10, 7, v74
; %bb.422:                              ;   in Loop: Header=BB268_9 Depth=1
	s_or_b32 exec_lo, exec_lo, s31
	v_lshlrev_b32_e32 v2, 8, v2
	s_delay_alu instid0(VALU_DEP_3) | instskip(NEXT) | instid1(VALU_DEP_3)
	v_lshl_add_u32 v72, v72, 10, 0x2000
	v_lshlrev_b32_e32 v10, 23, v10
	s_delay_alu instid0(VALU_DEP_2) | instskip(NEXT) | instid1(VALU_DEP_1)
	v_and_or_b32 v2, 0x8000, v2, v72
	v_lshl_or_b32 v72, v2, 16, v10
.LBB268_423:                            ;   in Loop: Header=BB268_9 Depth=1
	s_or_b32 exec_lo, exec_lo, s30
.LBB268_424:                            ;   in Loop: Header=BB268_9 Depth=1
	s_delay_alu instid0(SALU_CYCLE_1)
	s_or_b32 exec_lo, exec_lo, s29
.LBB268_425:                            ;   in Loop: Header=BB268_9 Depth=1
	s_delay_alu instid0(SALU_CYCLE_1)
	s_or_b32 exec_lo, exec_lo, s28
	global_load_b32 v10, v[8:9], off offset:1544
	v_dual_mov_b32 v74, 0 :: v_dual_mov_b32 v75, 0
	s_mov_b32 s28, exec_lo
	s_wait_loadcnt 0x0
	v_and_b32_e32 v2, 0xff, v10
	s_delay_alu instid0(VALU_DEP_1)
	v_cmpx_ne_u16_e32 0, v2
	s_cbranch_execz .LBB268_433
; %bb.426:                              ;   in Loop: Header=BB268_9 Depth=1
	v_mov_b32_e32 v75, 0x8000
	s_mov_b32 s29, exec_lo
	v_cmpx_ne_u16_e32 0x80, v2
	s_cbranch_execz .LBB268_432
; %bb.427:                              ;   in Loop: Header=BB268_9 Depth=1
	v_and_b32_e32 v76, 0x7f, v10
	v_mov_b32_e32 v75, 0x7c01
	s_mov_b32 s30, exec_lo
	s_delay_alu instid0(VALU_DEP_2)
	v_cmpx_ne_u32_e32 0x7f, v76
	s_cbranch_execz .LBB268_431
; %bb.428:                              ;   in Loop: Header=BB268_9 Depth=1
	v_dual_lshrrev_b32 v75, 3, v76 :: v_dual_bitop2_b32 v2, 7, v10 bitop3:0x40
	s_mov_b32 s31, exec_lo
	v_cmpx_gt_u32_e32 8, v76
; %bb.429:                              ;   in Loop: Header=BB268_9 Depth=1
	s_delay_alu instid0(VALU_DEP_2) | instskip(NEXT) | instid1(VALU_DEP_1)
	v_clz_i32_u32_e32 v2, v2
	v_min_u32_e32 v2, 32, v2
	s_delay_alu instid0(VALU_DEP_1) | instskip(NEXT) | instid1(VALU_DEP_1)
	v_subrev_nc_u32_e32 v75, 28, v2
	v_lshlrev_b64_e32 v[76:77], v75, v[10:11]
	s_delay_alu instid0(VALU_DEP_1)
	v_dual_sub_nc_u32 v75, 29, v2 :: v_dual_bitop2_b32 v2, 7, v76 bitop3:0x40
; %bb.430:                              ;   in Loop: Header=BB268_9 Depth=1
	s_or_b32 exec_lo, exec_lo, s31
	v_lshlrev_b32_e32 v76, 8, v10
	s_delay_alu instid0(VALU_DEP_2) | instskip(NEXT) | instid1(VALU_DEP_3)
	v_lshl_add_u32 v75, v75, 10, 0x2000
	v_lshlrev_b32_e32 v2, 7, v2
	s_delay_alu instid0(VALU_DEP_3) | instskip(NEXT) | instid1(VALU_DEP_3)
	v_and_b32_e32 v76, 0x8000, v76
	v_and_b32_e32 v75, 0xfc00, v75
	s_delay_alu instid0(VALU_DEP_1)
	v_or3_b32 v75, v76, v75, v2
.LBB268_431:                            ;   in Loop: Header=BB268_9 Depth=1
	s_or_b32 exec_lo, exec_lo, s30
.LBB268_432:                            ;   in Loop: Header=BB268_9 Depth=1
	s_delay_alu instid0(SALU_CYCLE_1)
	s_or_b32 exec_lo, exec_lo, s29
.LBB268_433:                            ;   in Loop: Header=BB268_9 Depth=1
	s_delay_alu instid0(SALU_CYCLE_1) | instskip(SKIP_2) | instid1(VALU_DEP_1)
	s_or_b32 exec_lo, exec_lo, s28
	v_lshrrev_b16 v2, 8, v10
	s_mov_b32 s28, exec_lo
	v_cmpx_ne_u16_e32 0, v2
	s_cbranch_execz .LBB268_441
; %bb.434:                              ;   in Loop: Header=BB268_9 Depth=1
	v_bfrev_b32_e32 v74, 1
	s_mov_b32 s29, exec_lo
	v_cmpx_ne_u16_e32 0x80, v2
	s_cbranch_execz .LBB268_440
; %bb.435:                              ;   in Loop: Header=BB268_9 Depth=1
	v_and_b32_e32 v76, 0xffff, v2
	v_mov_b32_e32 v74, 0x7c010000
	s_mov_b32 s30, exec_lo
	s_delay_alu instid0(VALU_DEP_2) | instskip(NEXT) | instid1(VALU_DEP_1)
	v_and_b32_e32 v78, 0x7f, v76
	v_cmpx_ne_u32_e32 0x7f, v78
	s_cbranch_execz .LBB268_439
; %bb.436:                              ;   in Loop: Header=BB268_9 Depth=1
	v_dual_lshrrev_b32 v77, 3, v78 :: v_dual_bitop2_b32 v74, 7, v76 bitop3:0x40
	s_mov_b32 s31, exec_lo
	v_cmpx_gt_u32_e32 8, v78
; %bb.437:                              ;   in Loop: Header=BB268_9 Depth=1
	s_delay_alu instid0(VALU_DEP_2) | instskip(NEXT) | instid1(VALU_DEP_1)
	v_clz_i32_u32_e32 v74, v74
	v_min_u32_e32 v74, 32, v74
	s_delay_alu instid0(VALU_DEP_1) | instskip(NEXT) | instid1(VALU_DEP_1)
	v_subrev_nc_u32_e32 v77, 28, v74
	v_lshlrev_b64_e32 v[78:79], v77, v[2:3]
	v_sub_nc_u32_e32 v77, 29, v74
	s_delay_alu instid0(VALU_DEP_2)
	v_and_b32_e32 v74, 7, v78
; %bb.438:                              ;   in Loop: Header=BB268_9 Depth=1
	s_or_b32 exec_lo, exec_lo, s31
	s_delay_alu instid0(VALU_DEP_1) | instskip(NEXT) | instid1(VALU_DEP_3)
	v_dual_lshlrev_b32 v2, 8, v76 :: v_dual_lshlrev_b32 v74, 23, v74
	v_lshl_add_u32 v76, v77, 10, 0x2000
	s_delay_alu instid0(VALU_DEP_1) | instskip(NEXT) | instid1(VALU_DEP_1)
	v_and_or_b32 v2, 0x8000, v2, v76
	v_lshl_or_b32 v74, v2, 16, v74
.LBB268_439:                            ;   in Loop: Header=BB268_9 Depth=1
	s_or_b32 exec_lo, exec_lo, s30
.LBB268_440:                            ;   in Loop: Header=BB268_9 Depth=1
	s_delay_alu instid0(SALU_CYCLE_1)
	s_or_b32 exec_lo, exec_lo, s29
.LBB268_441:                            ;   in Loop: Header=BB268_9 Depth=1
	s_delay_alu instid0(SALU_CYCLE_1) | instskip(SKIP_3) | instid1(VALU_DEP_2)
	s_or_b32 exec_lo, exec_lo, s28
	v_dual_lshrrev_b32 v2, 16, v10 :: v_dual_mov_b32 v76, 0
	v_mov_b32_e32 v77, 0
	s_mov_b32 s28, exec_lo
	v_and_b32_e32 v78, 0xff, v2
	s_delay_alu instid0(VALU_DEP_1)
	v_cmpx_ne_u16_e32 0, v78
	s_cbranch_execz .LBB268_449
; %bb.442:                              ;   in Loop: Header=BB268_9 Depth=1
	v_mov_b32_e32 v77, 0x8000
	s_mov_b32 s29, exec_lo
	v_cmpx_ne_u16_e32 0x80, v78
	s_cbranch_execz .LBB268_448
; %bb.443:                              ;   in Loop: Header=BB268_9 Depth=1
	v_bfe_u32 v79, v10, 16, 7
	v_mov_b32_e32 v77, 0x7c01
	s_mov_b32 s30, exec_lo
	s_delay_alu instid0(VALU_DEP_2)
	v_cmpx_ne_u32_e32 0x7f, v79
	s_cbranch_execz .LBB268_447
; %bb.444:                              ;   in Loop: Header=BB268_9 Depth=1
	v_dual_lshrrev_b32 v78, 3, v79 :: v_dual_bitop2_b32 v77, 7, v2 bitop3:0x40
	s_mov_b32 s31, exec_lo
	v_cmpx_gt_u32_e32 8, v79
; %bb.445:                              ;   in Loop: Header=BB268_9 Depth=1
	s_delay_alu instid0(VALU_DEP_2) | instskip(NEXT) | instid1(VALU_DEP_1)
	v_clz_i32_u32_e32 v77, v77
	v_min_u32_e32 v77, 32, v77
	s_delay_alu instid0(VALU_DEP_1) | instskip(NEXT) | instid1(VALU_DEP_1)
	v_subrev_nc_u32_e32 v78, 28, v77
	v_lshlrev_b64_e32 v[80:81], v78, v[2:3]
	s_delay_alu instid0(VALU_DEP_1)
	v_dual_sub_nc_u32 v78, 29, v77 :: v_dual_bitop2_b32 v77, 7, v80 bitop3:0x40
; %bb.446:                              ;   in Loop: Header=BB268_9 Depth=1
	s_or_b32 exec_lo, exec_lo, s31
	s_delay_alu instid0(VALU_DEP_1) | instskip(NEXT) | instid1(VALU_DEP_2)
	v_dual_lshlrev_b32 v2, 8, v2 :: v_dual_lshlrev_b32 v77, 7, v77
	v_lshl_add_u32 v78, v78, 10, 0x2000
	s_delay_alu instid0(VALU_DEP_2) | instskip(NEXT) | instid1(VALU_DEP_2)
	v_and_b32_e32 v2, 0x8000, v2
	v_and_b32_e32 v78, 0xfc00, v78
	s_delay_alu instid0(VALU_DEP_1)
	v_or3_b32 v77, v2, v78, v77
.LBB268_447:                            ;   in Loop: Header=BB268_9 Depth=1
	s_or_b32 exec_lo, exec_lo, s30
.LBB268_448:                            ;   in Loop: Header=BB268_9 Depth=1
	s_delay_alu instid0(SALU_CYCLE_1)
	s_or_b32 exec_lo, exec_lo, s29
.LBB268_449:                            ;   in Loop: Header=BB268_9 Depth=1
	s_delay_alu instid0(SALU_CYCLE_1) | instskip(NEXT) | instid1(SALU_CYCLE_1)
	s_or_b32 exec_lo, exec_lo, s28
	s_mov_b32 s28, exec_lo
	v_cmpx_lt_u32_e32 0xffffff, v10
	s_cbranch_execz .LBB268_457
; %bb.450:                              ;   in Loop: Header=BB268_9 Depth=1
	v_lshrrev_b32_e32 v2, 24, v10
	v_bfrev_b32_e32 v76, 1
	s_mov_b32 s29, exec_lo
	s_delay_alu instid0(VALU_DEP_2)
	v_cmpx_ne_u32_e32 0x80, v2
	s_cbranch_execz .LBB268_456
; %bb.451:                              ;   in Loop: Header=BB268_9 Depth=1
	v_and_b32_e32 v78, 0x7f, v2
	v_mov_b32_e32 v76, 0x7c010000
	s_mov_b32 s30, exec_lo
	s_delay_alu instid0(VALU_DEP_2)
	v_cmpx_ne_u32_e32 0x7f, v78
	s_cbranch_execz .LBB268_455
; %bb.452:                              ;   in Loop: Header=BB268_9 Depth=1
	v_and_b32_e32 v10, 7, v2
	v_lshrrev_b32_e32 v76, 3, v78
	s_mov_b32 s31, exec_lo
	v_cmpx_gt_u32_e32 8, v78
; %bb.453:                              ;   in Loop: Header=BB268_9 Depth=1
	s_delay_alu instid0(VALU_DEP_3) | instskip(NEXT) | instid1(VALU_DEP_1)
	v_clz_i32_u32_e32 v10, v10
	v_min_u32_e32 v10, 32, v10
	s_delay_alu instid0(VALU_DEP_1) | instskip(NEXT) | instid1(VALU_DEP_1)
	v_subrev_nc_u32_e32 v76, 28, v10
	v_lshlrev_b64_e32 v[78:79], v76, v[2:3]
	v_sub_nc_u32_e32 v76, 29, v10
	s_delay_alu instid0(VALU_DEP_2)
	v_and_b32_e32 v10, 7, v78
; %bb.454:                              ;   in Loop: Header=BB268_9 Depth=1
	s_or_b32 exec_lo, exec_lo, s31
	v_lshlrev_b32_e32 v2, 8, v2
	s_delay_alu instid0(VALU_DEP_3) | instskip(NEXT) | instid1(VALU_DEP_3)
	v_lshl_add_u32 v76, v76, 10, 0x2000
	v_lshlrev_b32_e32 v10, 23, v10
	s_delay_alu instid0(VALU_DEP_2) | instskip(NEXT) | instid1(VALU_DEP_1)
	v_and_or_b32 v2, 0x8000, v2, v76
	v_lshl_or_b32 v76, v2, 16, v10
.LBB268_455:                            ;   in Loop: Header=BB268_9 Depth=1
	s_or_b32 exec_lo, exec_lo, s30
.LBB268_456:                            ;   in Loop: Header=BB268_9 Depth=1
	s_delay_alu instid0(SALU_CYCLE_1)
	s_or_b32 exec_lo, exec_lo, s29
.LBB268_457:                            ;   in Loop: Header=BB268_9 Depth=1
	s_delay_alu instid0(SALU_CYCLE_1)
	s_or_b32 exec_lo, exec_lo, s28
	global_load_b32 v8, v[8:9], off offset:1792
	v_dual_mov_b32 v10, 0 :: v_dual_mov_b32 v78, 0
	s_mov_b32 s28, exec_lo
	s_wait_loadcnt 0x0
	v_and_b32_e32 v2, 0xff, v8
	s_delay_alu instid0(VALU_DEP_1)
	v_cmpx_ne_u16_e32 0, v2
	s_cbranch_execz .LBB268_465
; %bb.458:                              ;   in Loop: Header=BB268_9 Depth=1
	v_mov_b32_e32 v78, 0x8000
	s_mov_b32 s29, exec_lo
	v_cmpx_ne_u16_e32 0x80, v2
	s_cbranch_execz .LBB268_464
; %bb.459:                              ;   in Loop: Header=BB268_9 Depth=1
	v_and_b32_e32 v79, 0x7f, v8
	v_mov_b32_e32 v78, 0x7c01
	s_mov_b32 s30, exec_lo
	s_delay_alu instid0(VALU_DEP_2)
	v_cmpx_ne_u32_e32 0x7f, v79
	s_cbranch_execz .LBB268_463
; %bb.460:                              ;   in Loop: Header=BB268_9 Depth=1
	v_dual_lshrrev_b32 v9, 3, v79 :: v_dual_bitop2_b32 v2, 7, v8 bitop3:0x40
	s_mov_b32 s31, exec_lo
	v_cmpx_gt_u32_e32 8, v79
; %bb.461:                              ;   in Loop: Header=BB268_9 Depth=1
	s_delay_alu instid0(VALU_DEP_2) | instskip(NEXT) | instid1(VALU_DEP_1)
	v_clz_i32_u32_e32 v2, v2
	v_min_u32_e32 v2, 32, v2
	s_delay_alu instid0(VALU_DEP_1) | instskip(NEXT) | instid1(VALU_DEP_1)
	v_subrev_nc_u32_e32 v9, 28, v2
	v_lshlrev_b64_e32 v[78:79], v9, v[8:9]
	v_sub_nc_u32_e32 v9, 29, v2
	s_delay_alu instid0(VALU_DEP_2)
	v_and_b32_e32 v2, 7, v78
; %bb.462:                              ;   in Loop: Header=BB268_9 Depth=1
	s_or_b32 exec_lo, exec_lo, s31
	s_delay_alu instid0(VALU_DEP_1) | instskip(NEXT) | instid1(VALU_DEP_3)
	v_dual_lshlrev_b32 v78, 8, v8 :: v_dual_lshlrev_b32 v2, 7, v2
	v_lshl_add_u32 v9, v9, 10, 0x2000
	s_delay_alu instid0(VALU_DEP_2) | instskip(NEXT) | instid1(VALU_DEP_2)
	v_and_b32_e32 v78, 0x8000, v78
	v_and_b32_e32 v9, 0xfc00, v9
	s_delay_alu instid0(VALU_DEP_1)
	v_or3_b32 v78, v78, v9, v2
.LBB268_463:                            ;   in Loop: Header=BB268_9 Depth=1
	s_or_b32 exec_lo, exec_lo, s30
.LBB268_464:                            ;   in Loop: Header=BB268_9 Depth=1
	s_delay_alu instid0(SALU_CYCLE_1)
	s_or_b32 exec_lo, exec_lo, s29
.LBB268_465:                            ;   in Loop: Header=BB268_9 Depth=1
	s_delay_alu instid0(SALU_CYCLE_1) | instskip(SKIP_2) | instid1(VALU_DEP_1)
	s_or_b32 exec_lo, exec_lo, s28
	v_lshrrev_b16 v2, 8, v8
	s_mov_b32 s28, exec_lo
	v_cmpx_ne_u16_e32 0, v2
	s_cbranch_execz .LBB268_473
; %bb.466:                              ;   in Loop: Header=BB268_9 Depth=1
	v_bfrev_b32_e32 v10, 1
	s_mov_b32 s29, exec_lo
	v_cmpx_ne_u16_e32 0x80, v2
	s_cbranch_execz .LBB268_472
; %bb.467:                              ;   in Loop: Header=BB268_9 Depth=1
	v_and_b32_e32 v9, 0xffff, v2
	v_mov_b32_e32 v10, 0x7c010000
	s_mov_b32 s30, exec_lo
	s_delay_alu instid0(VALU_DEP_2) | instskip(NEXT) | instid1(VALU_DEP_1)
	v_and_b32_e32 v80, 0x7f, v9
	v_cmpx_ne_u32_e32 0x7f, v80
	s_cbranch_execz .LBB268_471
; %bb.468:                              ;   in Loop: Header=BB268_9 Depth=1
	v_dual_lshrrev_b32 v79, 3, v80 :: v_dual_bitop2_b32 v10, 7, v9 bitop3:0x40
	s_mov_b32 s31, exec_lo
	v_cmpx_gt_u32_e32 8, v80
; %bb.469:                              ;   in Loop: Header=BB268_9 Depth=1
	s_delay_alu instid0(VALU_DEP_2) | instskip(NEXT) | instid1(VALU_DEP_1)
	v_clz_i32_u32_e32 v10, v10
	v_min_u32_e32 v10, 32, v10
	s_delay_alu instid0(VALU_DEP_1) | instskip(NEXT) | instid1(VALU_DEP_1)
	v_subrev_nc_u32_e32 v79, 28, v10
	v_lshlrev_b64_e32 v[80:81], v79, v[2:3]
	s_delay_alu instid0(VALU_DEP_1)
	v_dual_sub_nc_u32 v79, 29, v10 :: v_dual_bitop2_b32 v10, 7, v80 bitop3:0x40
; %bb.470:                              ;   in Loop: Header=BB268_9 Depth=1
	s_or_b32 exec_lo, exec_lo, s31
	v_lshlrev_b32_e32 v2, 8, v9
	s_delay_alu instid0(VALU_DEP_2) | instskip(NEXT) | instid1(VALU_DEP_1)
	v_lshl_add_u32 v9, v79, 10, 0x2000
	v_and_or_b32 v2, 0x8000, v2, v9
	v_lshlrev_b32_e32 v9, 23, v10
	s_delay_alu instid0(VALU_DEP_1)
	v_lshl_or_b32 v10, v2, 16, v9
.LBB268_471:                            ;   in Loop: Header=BB268_9 Depth=1
	s_or_b32 exec_lo, exec_lo, s30
.LBB268_472:                            ;   in Loop: Header=BB268_9 Depth=1
	s_delay_alu instid0(SALU_CYCLE_1)
	s_or_b32 exec_lo, exec_lo, s29
.LBB268_473:                            ;   in Loop: Header=BB268_9 Depth=1
	s_delay_alu instid0(SALU_CYCLE_1) | instskip(SKIP_3) | instid1(VALU_DEP_2)
	s_or_b32 exec_lo, exec_lo, s28
	v_dual_mov_b32 v79, 0 :: v_dual_lshrrev_b32 v2, 16, v8
	v_mov_b32_e32 v80, 0
	s_mov_b32 s28, exec_lo
	v_and_b32_e32 v9, 0xff, v2
	s_delay_alu instid0(VALU_DEP_1)
	v_cmpx_ne_u16_e32 0, v9
	s_cbranch_execz .LBB268_481
; %bb.474:                              ;   in Loop: Header=BB268_9 Depth=1
	v_mov_b32_e32 v80, 0x8000
	s_mov_b32 s29, exec_lo
	v_cmpx_ne_u16_e32 0x80, v9
	s_cbranch_execz .LBB268_480
; %bb.475:                              ;   in Loop: Header=BB268_9 Depth=1
	v_bfe_u32 v81, v8, 16, 7
	v_mov_b32_e32 v80, 0x7c01
	s_mov_b32 s30, exec_lo
	s_delay_alu instid0(VALU_DEP_2)
	v_cmpx_ne_u32_e32 0x7f, v81
	s_cbranch_execz .LBB268_479
; %bb.476:                              ;   in Loop: Header=BB268_9 Depth=1
	v_dual_lshrrev_b32 v80, 3, v81 :: v_dual_bitop2_b32 v9, 7, v2 bitop3:0x40
	s_mov_b32 s31, exec_lo
	v_cmpx_gt_u32_e32 8, v81
; %bb.477:                              ;   in Loop: Header=BB268_9 Depth=1
	s_delay_alu instid0(VALU_DEP_2) | instskip(NEXT) | instid1(VALU_DEP_1)
	v_clz_i32_u32_e32 v9, v9
	v_min_u32_e32 v9, 32, v9
	s_delay_alu instid0(VALU_DEP_1) | instskip(NEXT) | instid1(VALU_DEP_1)
	v_subrev_nc_u32_e32 v80, 28, v9
	v_lshlrev_b64_e32 v[82:83], v80, v[2:3]
	s_delay_alu instid0(VALU_DEP_1)
	v_dual_sub_nc_u32 v80, 29, v9 :: v_dual_bitop2_b32 v9, 7, v82 bitop3:0x40
; %bb.478:                              ;   in Loop: Header=BB268_9 Depth=1
	s_or_b32 exec_lo, exec_lo, s31
	s_delay_alu instid0(VALU_DEP_1) | instskip(NEXT) | instid1(VALU_DEP_2)
	v_dual_lshlrev_b32 v2, 8, v2 :: v_dual_lshlrev_b32 v9, 7, v9
	v_lshl_add_u32 v80, v80, 10, 0x2000
	s_delay_alu instid0(VALU_DEP_2) | instskip(NEXT) | instid1(VALU_DEP_2)
	v_and_b32_e32 v2, 0x8000, v2
	v_and_b32_e32 v80, 0xfc00, v80
	s_delay_alu instid0(VALU_DEP_1)
	v_or3_b32 v80, v2, v80, v9
.LBB268_479:                            ;   in Loop: Header=BB268_9 Depth=1
	s_or_b32 exec_lo, exec_lo, s30
.LBB268_480:                            ;   in Loop: Header=BB268_9 Depth=1
	s_delay_alu instid0(SALU_CYCLE_1)
	s_or_b32 exec_lo, exec_lo, s29
.LBB268_481:                            ;   in Loop: Header=BB268_9 Depth=1
	s_delay_alu instid0(SALU_CYCLE_1) | instskip(NEXT) | instid1(SALU_CYCLE_1)
	s_or_b32 exec_lo, exec_lo, s28
	s_mov_b32 s28, exec_lo
	v_cmpx_lt_u32_e32 0xffffff, v8
	s_cbranch_execz .LBB268_489
; %bb.482:                              ;   in Loop: Header=BB268_9 Depth=1
	v_lshrrev_b32_e32 v2, 24, v8
	v_bfrev_b32_e32 v79, 1
	s_mov_b32 s29, exec_lo
	s_delay_alu instid0(VALU_DEP_2)
	v_cmpx_ne_u32_e32 0x80, v2
	s_cbranch_execz .LBB268_488
; %bb.483:                              ;   in Loop: Header=BB268_9 Depth=1
	v_and_b32_e32 v81, 0x7f, v2
	v_mov_b32_e32 v79, 0x7c010000
	s_mov_b32 s30, exec_lo
	s_delay_alu instid0(VALU_DEP_2)
	v_cmpx_ne_u32_e32 0x7f, v81
	s_cbranch_execz .LBB268_487
; %bb.484:                              ;   in Loop: Header=BB268_9 Depth=1
	v_dual_lshrrev_b32 v9, 3, v81 :: v_dual_bitop2_b32 v8, 7, v2 bitop3:0x40
	s_mov_b32 s31, exec_lo
	v_cmpx_gt_u32_e32 8, v81
; %bb.485:                              ;   in Loop: Header=BB268_9 Depth=1
	s_delay_alu instid0(VALU_DEP_2) | instskip(NEXT) | instid1(VALU_DEP_1)
	v_clz_i32_u32_e32 v8, v8
	v_min_u32_e32 v79, 32, v8
	s_delay_alu instid0(VALU_DEP_1) | instskip(NEXT) | instid1(VALU_DEP_1)
	v_subrev_nc_u32_e32 v8, 28, v79
	v_lshlrev_b64_e32 v[8:9], v8, v[2:3]
	s_delay_alu instid0(VALU_DEP_1)
	v_dual_sub_nc_u32 v9, 29, v79 :: v_dual_bitop2_b32 v8, 7, v8 bitop3:0x40
; %bb.486:                              ;   in Loop: Header=BB268_9 Depth=1
	s_or_b32 exec_lo, exec_lo, s31
	s_delay_alu instid0(VALU_DEP_1) | instskip(NEXT) | instid1(VALU_DEP_2)
	v_dual_lshlrev_b32 v2, 8, v2 :: v_dual_lshlrev_b32 v8, 23, v8
	v_lshl_add_u32 v9, v9, 10, 0x2000
	s_delay_alu instid0(VALU_DEP_1) | instskip(NEXT) | instid1(VALU_DEP_1)
	v_and_or_b32 v2, 0x8000, v2, v9
	v_lshl_or_b32 v79, v2, 16, v8
.LBB268_487:                            ;   in Loop: Header=BB268_9 Depth=1
	s_or_b32 exec_lo, exec_lo, s30
.LBB268_488:                            ;   in Loop: Header=BB268_9 Depth=1
	s_delay_alu instid0(SALU_CYCLE_1)
	s_or_b32 exec_lo, exec_lo, s29
.LBB268_489:                            ;   in Loop: Header=BB268_9 Depth=1
	s_delay_alu instid0(SALU_CYCLE_1)
	s_or_b32 exec_lo, exec_lo, s28
	ds_load_b64 v[8:9], v14
	v_or_b32_e32 v2, v19, v20
	v_or_b32_e32 v20, v21, v22
	v_fma_mixlo_f16 v21, v18, v21, 0 op_sel:[0,1,0] op_sel_hi:[0,1,0]
	v_fma_mixlo_f16 v19, v18, v19, 0 op_sel:[0,1,0] op_sel_hi:[0,1,0]
	v_or_b32_e32 v37, v36, v37
	v_fma_mixlo_f16 v36, v18, v36, 0 op_sel:[0,1,0] op_sel_hi:[0,1,0]
	v_or_b32_e32 v41, v40, v41
	v_and_b32_e32 v81, 0xffff, v21
	v_and_b32_e32 v19, 0xffff, v19
	v_fma_mixlo_f16 v37, v18, v37, 0 op_sel_hi:[0,1,0]
	v_and_b32_e32 v95, 0xffff, v36
	v_fma_mixlo_f16 v40, v18, v40, 0 op_sel:[0,1,0] op_sel_hi:[0,1,0]
	v_fma_mixlo_f16 v41, v18, v41, 0 op_sel_hi:[0,1,0]
	v_or_b32_e32 v39, v38, v39
	v_and_b32_e32 v94, 0xffff, v37
	v_fma_mixlo_f16 v38, v18, v38, 0 op_sel:[0,1,0] op_sel_hi:[0,1,0]
	v_and_b32_e32 v99, 0xffff, v40
	v_and_b32_e32 v98, 0xffff, v41
	v_fma_mixlo_f16 v39, v18, v39, 0 op_sel_hi:[0,1,0]
	s_wait_dscnt 0x0
	v_lshrrev_b32_e32 v84, 16, v9
	v_fma_mixlo_f16 v2, v18, v2, 0 op_sel_hi:[0,1,0]
	v_and_b32_e32 v9, 0xffff, v9
	v_and_b32_e32 v96, 0xffff, v38
	;; [unrolled: 1-line block ×3, first 2 shown]
	v_or_b32_e32 v43, v42, v43
	v_and_b32_e32 v21, 0xffff, v2
	v_and_b32_e32 v2, 0xffff, v8
	v_lshrrev_b32_e32 v8, 16, v8
	v_fma_mixlo_f16 v20, v18, v20, 0 op_sel_hi:[0,1,0]
	;;#ASMSTART
	v_cvt_f32_f16 v82, v2;
	;;#ASMEND
	;;#ASMSTART
	v_cvt_f32_f16 v2, v8;
	;;#ASMEND
	;; [unrolled: 3-line block ×4, first 2 shown]
	v_and_b32_e32 v22, 0xffff, v20
	;;#ASMSTART
	v_cvt_f32_f16 v20, v9;
	;;#ASMEND
	;;#ASMSTART
	v_cvt_f32_f16 v21, v84;
	;;#ASMEND
	;; [unrolled: 3-line block ×4, first 2 shown]
	ds_load_b64 v[8:9], v14 offset:8
	v_or_b32_e32 v24, v23, v24
	v_or_b32_e32 v26, v25, v26
	v_fma_mixlo_f16 v23, v18, v23, 0 op_sel:[0,1,0] op_sel_hi:[0,1,0]
	v_fma_mixlo_f16 v25, v18, v25, 0 op_sel:[0,1,0] op_sel_hi:[0,1,0]
	;; [unrolled: 1-line block ×3, first 2 shown]
	v_fma_mixlo_f16 v43, v18, v43, 0 op_sel_hi:[0,1,0]
	s_delay_alu instid0(VALU_DEP_4) | instskip(NEXT) | instid1(VALU_DEP_4)
	v_and_b32_e32 v84, 0xffff, v23
	v_and_b32_e32 v85, 0xffff, v25
	s_delay_alu instid0(VALU_DEP_4) | instskip(NEXT) | instid1(VALU_DEP_4)
	v_and_b32_e32 v42, 0xffff, v42
	v_and_b32_e32 v43, 0xffff, v43
	s_wait_dscnt 0x0
	v_and_b32_e32 v23, 0xffff, v8
	v_lshrrev_b32_e32 v8, 16, v8
	v_fma_mixlo_f16 v26, v18, v26, 0 op_sel_hi:[0,1,0]
	;;#ASMSTART
	v_cvt_f32_f16 v86, v23;
	;;#ASMEND
	;;#ASMSTART
	v_cvt_f32_f16 v23, v8;
	;;#ASMEND
	s_delay_alu instid0(VALU_DEP_1) | instskip(SKIP_3) | instid1(VALU_DEP_2)
	v_and_b32_e32 v88, 0xffff, v26
	v_lshrrev_b32_e32 v26, 16, v9
	v_fma_mixlo_f16 v24, v18, v24, 0 op_sel_hi:[0,1,0]
	v_and_b32_e32 v9, 0xffff, v9
	v_and_b32_e32 v24, 0xffff, v24
	;;#ASMSTART
	v_cvt_f32_f16 v87, v24;
	;;#ASMEND
	;;#ASMSTART
	v_cvt_f32_f16 v24, v84;
	;;#ASMEND
	;; [unrolled: 3-line block ×6, first 2 shown]
	ds_load_b64 v[8:9], v14 offset:16
	v_or_b32_e32 v28, v27, v28
	v_or_b32_e32 v30, v29, v30
	v_fma_mixlo_f16 v27, v18, v27, 0 op_sel:[0,1,0] op_sel_hi:[0,1,0]
	v_fma_mixlo_f16 v29, v18, v29, 0 op_sel:[0,1,0] op_sel_hi:[0,1,0]
	v_or_b32_e32 v65, v64, v65
	v_fma_mixlo_f16 v64, v18, v64, 0 op_sel:[0,1,0] op_sel_hi:[0,1,0]
	v_dual_mul_f32 v23, v23, v24 :: v_dual_bitop2_b32 v69, v68, v69 bitop3:0x54
	v_and_b32_e32 v88, 0xffff, v27
	v_and_b32_e32 v91, 0xffff, v29
	s_delay_alu instid0(VALU_DEP_4) | instskip(SKIP_4) | instid1(VALU_DEP_3)
	v_and_b32_e32 v64, 0xffff, v64
	v_fma_mixlo_f16 v68, v18, v68, 0 op_sel:[0,1,0] op_sel_hi:[0,1,0]
	v_fma_mixlo_f16 v69, v18, v69, 0 op_sel_hi:[0,1,0]
	v_or_b32_e32 v75, v74, v75
	v_fma_mixlo_f16 v74, v18, v74, 0 op_sel:[0,1,0] op_sel_hi:[0,1,0]
	v_and_b32_e32 v69, 0xffff, v69
	s_wait_dscnt 0x0
	v_and_b32_e32 v27, 0xffff, v8
	v_lshrrev_b32_e32 v8, 16, v8
	v_fma_mixlo_f16 v30, v18, v30, 0 op_sel_hi:[0,1,0]
	v_lshrrev_b32_e32 v89, 16, v9
	v_fma_mixlo_f16 v28, v18, v28, 0 op_sel_hi:[0,1,0]
	v_and_b32_e32 v9, 0xffff, v9
	;;#ASMSTART
	v_cvt_f32_f16 v27, v27;
	;;#ASMEND
	v_and_b32_e32 v90, 0xffff, v30
	s_delay_alu instid0(VALU_DEP_3)
	v_and_b32_e32 v29, 0xffff, v28
	;;#ASMSTART
	v_cvt_f32_f16 v28, v8;
	;;#ASMEND
	;;#ASMSTART
	v_cvt_f32_f16 v29, v29;
	;;#ASMEND
	;; [unrolled: 3-line block ×7, first 2 shown]
	ds_load_b64 v[8:9], v14 offset:24
	v_or_b32_e32 v35, v31, v35
	v_fma_mixlo_f16 v31, v18, v31, 0 op_sel:[0,1,0] op_sel_hi:[0,1,0]
	s_delay_alu instid0(VALU_DEP_1)
	v_and_b32_e32 v92, 0xffff, v31
	s_wait_dscnt 0x0
	v_and_b32_e32 v31, 0xffff, v8
	v_lshrrev_b32_e32 v8, 16, v8
	v_fma_mixlo_f16 v35, v18, v35, 0 op_sel_hi:[0,1,0]
	v_lshrrev_b32_e32 v93, 16, v9
	v_and_b32_e32 v9, 0xffff, v9
	;;#ASMSTART
	v_cvt_f32_f16 v31, v31;
	;;#ASMEND
	s_delay_alu instid0(VALU_DEP_3)
	v_and_b32_e32 v36, 0xffff, v35
	;;#ASMSTART
	v_cvt_f32_f16 v35, v8;
	;;#ASMEND
	;;#ASMSTART
	v_cvt_f32_f16 v36, v36;
	;;#ASMEND
	;; [unrolled: 3-line block ×7, first 2 shown]
	ds_load_b64 v[8:9], v14 offset:32
	s_wait_dscnt 0x0
	v_and_b32_e32 v38, 0xffff, v8
	v_dual_lshrrev_b32 v8, 16, v8 :: v_dual_lshrrev_b32 v97, 16, v9
	v_and_b32_e32 v9, 0xffff, v9
	;;#ASMSTART
	v_cvt_f32_f16 v38, v38;
	;;#ASMEND
	;;#ASMSTART
	v_cvt_f32_f16 v39, v8;
	;;#ASMEND
	;; [unrolled: 3-line block ×8, first 2 shown]
	ds_load_b64 v[8:9], v14 offset:40
	v_or_b32_e32 v47, v46, v47
	v_fma_mixlo_f16 v46, v18, v46, 0 op_sel:[0,1,0] op_sel_hi:[0,1,0]
	s_delay_alu instid0(VALU_DEP_1)
	v_and_b32_e32 v102, 0xffff, v46
	s_wait_dscnt 0x0
	v_lshrrev_b32_e32 v103, 16, v9
	v_fma_mixlo_f16 v47, v18, v47, 0 op_sel_hi:[0,1,0]
	v_and_b32_e32 v46, 0xffff, v8
	v_lshrrev_b32_e32 v8, 16, v8
	v_and_b32_e32 v104, 0xffff, v9
	;;#ASMSTART
	v_cvt_f32_f16 v100, v46;
	;;#ASMEND
	v_and_b32_e32 v47, 0xffff, v47
	;;#ASMSTART
	v_cvt_f32_f16 v8, v8;
	;;#ASMEND
	;;#ASMSTART
	v_cvt_f32_f16 v101, v43;
	;;#ASMEND
	;;#ASMSTART
	v_cvt_f32_f16 v9, v42;
	;;#ASMEND
	;;#ASMSTART
	v_cvt_f32_f16 v42, v104;
	;;#ASMEND
	;;#ASMSTART
	v_cvt_f32_f16 v43, v103;
	;;#ASMEND
	;;#ASMSTART
	v_cvt_f32_f16 v46, v47;
	;;#ASMEND
	;;#ASMSTART
	v_cvt_f32_f16 v47, v102;
	;;#ASMEND
	ds_load_b64 v[102:103], v14 offset:48
	v_or_b32_e32 v45, v44, v45
	v_or_b32_e32 v49, v48, v49
	v_fma_mixlo_f16 v44, v18, v44, 0 op_sel:[0,1,0] op_sel_hi:[0,1,0]
	v_fma_mixlo_f16 v48, v18, v48, 0 op_sel:[0,1,0] op_sel_hi:[0,1,0]
	s_delay_alu instid0(VALU_DEP_2) | instskip(NEXT) | instid1(VALU_DEP_2)
	v_and_b32_e32 v104, 0xffff, v44
	v_and_b32_e32 v105, 0xffff, v48
	s_wait_dscnt 0x0
	v_and_b32_e32 v44, 0xffff, v102
	v_lshrrev_b32_e32 v102, 16, v102
	v_fma_mixlo_f16 v45, v18, v45, 0 op_sel_hi:[0,1,0]
	v_lshrrev_b32_e32 v107, 16, v103
	v_fma_mixlo_f16 v49, v18, v49, 0 op_sel_hi:[0,1,0]
	s_delay_alu instid0(VALU_DEP_3) | instskip(SKIP_1) | instid1(VALU_DEP_2)
	v_and_b32_e32 v48, 0xffff, v45
	;;#ASMSTART
	v_cvt_f32_f16 v45, v44;
	;;#ASMEND
	v_and_b32_e32 v106, 0xffff, v49
	v_and_b32_e32 v49, 0xffff, v103
	;;#ASMSTART
	v_cvt_f32_f16 v44, v102;
	;;#ASMEND
	;;#ASMSTART
	v_cvt_f32_f16 v103, v48;
	;;#ASMEND
	;;#ASMSTART
	v_cvt_f32_f16 v48, v104;
	;;#ASMEND
	;;#ASMSTART
	v_cvt_f32_f16 v49, v49;
	;;#ASMEND
	;;#ASMSTART
	v_cvt_f32_f16 v102, v107;
	;;#ASMEND
	;;#ASMSTART
	v_cvt_f32_f16 v104, v106;
	;;#ASMEND
	;;#ASMSTART
	v_cvt_f32_f16 v105, v105;
	;;#ASMEND
	ds_load_b64 v[106:107], v14 offset:56
	v_or_b32_e32 v51, v50, v51
	v_or_b32_e32 v53, v52, v53
	v_fma_mixlo_f16 v50, v18, v50, 0 op_sel:[0,1,0] op_sel_hi:[0,1,0]
	v_fma_mixlo_f16 v52, v18, v52, 0 op_sel:[0,1,0] op_sel_hi:[0,1,0]
	s_delay_alu instid0(VALU_DEP_2) | instskip(NEXT) | instid1(VALU_DEP_2)
	v_and_b32_e32 v108, 0xffff, v50
	v_and_b32_e32 v109, 0xffff, v52
	s_wait_dscnt 0x0
	v_and_b32_e32 v50, 0xffff, v106
	v_lshrrev_b32_e32 v106, 16, v106
	v_fma_mixlo_f16 v51, v18, v51, 0 op_sel_hi:[0,1,0]
	v_lshrrev_b32_e32 v111, 16, v107
	v_fma_mixlo_f16 v53, v18, v53, 0 op_sel_hi:[0,1,0]
	s_delay_alu instid0(VALU_DEP_3) | instskip(SKIP_1) | instid1(VALU_DEP_2)
	v_and_b32_e32 v52, 0xffff, v51
	;;#ASMSTART
	v_cvt_f32_f16 v51, v50;
	;;#ASMEND
	v_and_b32_e32 v110, 0xffff, v53
	;; [unrolled: 42-line block ×3, first 2 shown]
	v_and_b32_e32 v57, 0xffff, v111
	;;#ASMSTART
	v_cvt_f32_f16 v54, v110;
	;;#ASMEND
	;;#ASMSTART
	v_cvt_f32_f16 v111, v56;
	;;#ASMEND
	;; [unrolled: 3-line block ×7, first 2 shown]
	ds_load_b64 v[114:115], v14 offset:72
	v_or_b32_e32 v59, v58, v59
	v_or_b32_e32 v61, v60, v61
	v_fma_mixlo_f16 v58, v18, v58, 0 op_sel:[0,1,0] op_sel_hi:[0,1,0]
	v_fma_mixlo_f16 v60, v18, v60, 0 op_sel:[0,1,0] op_sel_hi:[0,1,0]
	s_delay_alu instid0(VALU_DEP_2) | instskip(NEXT) | instid1(VALU_DEP_2)
	v_and_b32_e32 v58, 0xffff, v58
	v_and_b32_e32 v60, 0xffff, v60
	s_wait_dscnt 0x0
	v_and_b32_e32 v116, 0xffff, v114
	v_lshrrev_b32_e32 v114, 16, v114
	v_fma_mixlo_f16 v59, v18, v59, 0 op_sel_hi:[0,1,0]
	v_lshrrev_b32_e32 v117, 16, v115
	v_fma_mixlo_f16 v61, v18, v61, 0 op_sel_hi:[0,1,0]
	v_and_b32_e32 v115, 0xffff, v115
	;;#ASMSTART
	v_cvt_f32_f16 v116, v116;
	;;#ASMEND
	v_and_b32_e32 v59, 0xffff, v59
	;;#ASMSTART
	v_cvt_f32_f16 v114, v114;
	;;#ASMEND
	v_and_b32_e32 v61, 0xffff, v61
	;;#ASMSTART
	v_cvt_f32_f16 v118, v59;
	;;#ASMEND
	;;#ASMSTART
	v_cvt_f32_f16 v119, v58;
	;;#ASMEND
	;;#ASMSTART
	v_cvt_f32_f16 v115, v115;
	;;#ASMEND
	;; [unrolled: 3-line block ×5, first 2 shown]
	ds_load_b64 v[60:61], v14 offset:80
	v_or_b32_e32 v63, v62, v63
	v_fma_mixlo_f16 v62, v18, v62, 0 op_sel:[0,1,0] op_sel_hi:[0,1,0]
	v_or_b32_e32 v67, v66, v67
	v_fma_mixlo_f16 v66, v18, v66, 0 op_sel:[0,1,0] op_sel_hi:[0,1,0]
	s_delay_alu instid0(VALU_DEP_3) | instskip(SKIP_2) | instid1(VALU_DEP_2)
	v_and_b32_e32 v120, 0xffff, v62
	v_mul_f32_e32 v62, v86, v87
	v_fma_mixlo_f16 v65, v18, v65, 0 op_sel_hi:[0,1,0]
	v_fmac_f32_e32 v62, v82, v83
	s_delay_alu instid0(VALU_DEP_2)
	v_and_b32_e32 v65, 0xffff, v65
	s_wait_dscnt 0x0
	v_and_b32_e32 v121, 0xffff, v60
	v_lshrrev_b32_e32 v60, 16, v60
	v_fma_mixlo_f16 v63, v18, v63, 0 op_sel_hi:[0,1,0]
	v_lshrrev_b32_e32 v86, 16, v61
	v_and_b32_e32 v61, 0xffff, v61
	;;#ASMSTART
	v_cvt_f32_f16 v87, v121;
	;;#ASMEND
	;;#ASMSTART
	v_cvt_f32_f16 v121, v60;
	;;#ASMEND
	v_and_b32_e32 v63, 0xffff, v63
	;;#ASMSTART
	v_cvt_f32_f16 v122, v63;
	;;#ASMEND
	;;#ASMSTART
	v_cvt_f32_f16 v120, v120;
	;;#ASMEND
	;;#ASMSTART
	v_cvt_f32_f16 v123, v61;
	;;#ASMEND
	;;#ASMSTART
	v_cvt_f32_f16 v86, v86;
	;;#ASMEND
	;;#ASMSTART
	v_cvt_f32_f16 v124, v65;
	;;#ASMEND
	;;#ASMSTART
	v_cvt_f32_f16 v125, v64;
	;;#ASMEND
	ds_load_b64 v[60:61], v14 offset:88
	v_or_b32_e32 v65, v70, v71
	v_or_b32_e32 v71, v72, v73
	v_fma_mixlo_f16 v67, v18, v67, 0 op_sel_hi:[0,1,0]
	v_or_b32_e32 v63, v76, v77
	v_fma_mixlo_f16 v64, v18, v76, 0 op_sel:[0,1,0] op_sel_hi:[0,1,0]
	v_and_b32_e32 v76, 0xffff, v68
	v_fma_mixlo_f16 v68, v18, v71, 0 op_sel_hi:[0,1,0]
	v_and_b32_e32 v71, 0xffff, v67
	v_mul_f32_e32 v67, v25, v84
	v_and_b32_e32 v73, 0xffff, v66
	v_fma_mixlo_f16 v66, v18, v75, 0 op_sel_hi:[0,1,0]
	v_mul_f32_e32 v26, v26, v85
	v_fma_mixlo_f16 v70, v18, v70, 0 op_sel:[0,1,0] op_sel_hi:[0,1,0]
	v_fmac_f32_e32 v67, v20, v22
	v_fmac_f32_e32 v23, v2, v19
	v_fma_mixlo_f16 v72, v18, v72, 0 op_sel:[0,1,0] op_sel_hi:[0,1,0]
	v_fmac_f32_e32 v26, v21, v81
	s_delay_alu instid0(VALU_DEP_4)
	v_dual_fmac_f32 v62, v27, v29 :: v_dual_fmac_f32 v67, v88, v90
	s_wait_dscnt 0x0
	v_and_b32_e32 v24, 0xffff, v60
	v_dual_lshrrev_b32 v25, 16, v60 :: v_dual_lshrrev_b32 v60, 16, v61
	v_and_b32_e32 v61, 0xffff, v61
	;;#ASMSTART
	v_cvt_f32_f16 v75, v24;
	;;#ASMEND
	;;#ASMSTART
	v_cvt_f32_f16 v77, v25;
	;;#ASMEND
	;; [unrolled: 3-line block ×8, first 2 shown]
	ds_load_b64 v[24:25], v14 offset:96
	v_dual_fmac_f32 v23, v28, v30 :: v_dual_fmac_f32 v26, v89, v91
	v_dual_fmac_f32 v62, v31, v36 :: v_dual_fmac_f32 v67, v92, v94
	v_fma_mixlo_f16 v65, v18, v65, 0 op_sel_hi:[0,1,0]
	s_delay_alu instid0(VALU_DEP_3) | instskip(NEXT) | instid1(VALU_DEP_3)
	v_dual_fmac_f32 v23, v35, v37 :: v_dual_fmac_f32 v26, v93, v95
	v_dual_fmac_f32 v62, v38, v40 :: v_dual_fmac_f32 v67, v96, v98
	v_and_b32_e32 v20, 0xffff, v68
	s_delay_alu instid0(VALU_DEP_3)
	v_dual_fmac_f32 v23, v39, v41 :: v_dual_fmac_f32 v26, v97, v99
	v_and_b32_e32 v70, 0xffff, v70
	v_and_b32_e32 v2, 0xffff, v72
	;; [unrolled: 1-line block ×3, first 2 shown]
	v_fmac_f32_e32 v62, v100, v101
	v_dual_fmac_f32 v23, v8, v9 :: v_dual_fmac_f32 v26, v43, v47
	v_fmac_f32_e32 v67, v42, v46
	s_wait_dscnt 0x0
	v_and_b32_e32 v21, 0xffff, v24
	v_dual_lshrrev_b32 v22, 16, v24 :: v_dual_lshrrev_b32 v24, 16, v25
	v_and_b32_e32 v25, 0xffff, v25
	;;#ASMSTART
	v_cvt_f32_f16 v27, v21;
	;;#ASMEND
	;;#ASMSTART
	v_cvt_f32_f16 v22, v22;
	;;#ASMEND
	;; [unrolled: 3-line block ×8, first 2 shown]
	ds_load_b64 v[20:21], v14 offset:104
	v_dual_fmac_f32 v62, v45, v103 :: v_dual_bitop2_b32 v2, v10, v78 bitop3:0x54
	v_dual_fmac_f32 v23, v44, v48 :: v_dual_fmac_f32 v26, v102, v105
	s_delay_alu instid0(VALU_DEP_2) | instskip(SKIP_1) | instid1(VALU_DEP_3)
	v_dual_fmac_f32 v67, v49, v104 :: v_dual_fmac_f32 v62, v51, v107
	v_fma_mixlo_f16 v63, v18, v63, 0 op_sel_hi:[0,1,0]
	v_fmac_f32_e32 v23, v50, v52
	s_delay_alu instid0(VALU_DEP_3) | instskip(NEXT) | instid1(VALU_DEP_4)
	v_dual_fmac_f32 v26, v106, v109 :: v_dual_fmac_f32 v67, v53, v108
	v_fmac_f32_e32 v62, v55, v111
	v_and_b32_e32 v19, 0xffff, v66
	s_delay_alu instid0(VALU_DEP_4) | instskip(NEXT) | instid1(VALU_DEP_4)
	v_fmac_f32_e32 v23, v54, v56
	v_dual_fmac_f32 v26, v110, v113 :: v_dual_fmac_f32 v67, v57, v112
	s_delay_alu instid0(VALU_DEP_4) | instskip(SKIP_1) | instid1(VALU_DEP_4)
	v_fmac_f32_e32 v62, v116, v118
	v_and_b32_e32 v37, 0xffff, v64
	v_fmac_f32_e32 v23, v114, v119
	s_delay_alu instid0(VALU_DEP_4) | instskip(SKIP_3) | instid1(VALU_DEP_3)
	v_dual_fmac_f32 v26, v58, v59 :: v_dual_fmac_f32 v67, v115, v117
	s_wait_dscnt 0x0
	v_lshrrev_b32_e32 v9, 16, v20
	v_and_b32_e32 v8, 0xffff, v20
	v_dual_fmac_f32 v23, v121, v120 :: v_dual_fmac_f32 v26, v86, v125
	;;#ASMSTART
	v_cvt_f32_f16 v20, v8;
	;;#ASMEND
	;;#ASMSTART
	v_cvt_f32_f16 v35, v9;
	;;#ASMEND
	;; [unrolled: 3-line block ×3, first 2 shown]
	v_dual_fmac_f32 v62, v87, v122 :: v_dual_lshrrev_b32 v19, 16, v21
	v_and_b32_e32 v8, 0xffff, v74
	v_and_b32_e32 v9, 0xffff, v21
	;;#ASMSTART
	v_cvt_f32_f16 v38, v8;
	;;#ASMEND
	;;#ASMSTART
	v_cvt_f32_f16 v39, v9;
	;;#ASMEND
	;; [unrolled: 3-line block ×3, first 2 shown]
	v_dual_fmac_f32 v23, v77, v73 :: v_dual_bitop2_b32 v19, v79, v80 bitop3:0x54
	v_and_b32_e32 v21, 0xffff, v63
	;;#ASMSTART
	v_cvt_f32_f16 v21, v21;
	;;#ASMEND
	;;#ASMSTART
	v_cvt_f32_f16 v37, v37;
	;;#ASMEND
	ds_load_b64 v[8:9], v14 offset:112
	v_dual_fmac_f32 v26, v60, v76 :: v_dual_fmac_f32 v23, v22, v29
	v_fmac_f32_e32 v67, v123, v124
	v_fma_mixlo_f16 v2, v18, v2, 0 op_sel_hi:[0,1,0]
	v_fma_mixlo_f16 v10, v18, v10, 0 op_sel:[0,1,0] op_sel_hi:[0,1,0]
	s_delay_alu instid0(VALU_DEP_4) | instskip(NEXT) | instid1(VALU_DEP_4)
	v_fmac_f32_e32 v26, v24, v31
	v_dual_fmac_f32 v62, v75, v71 :: v_dual_fmac_f32 v67, v61, v69
	v_fma_mixlo_f16 v19, v18, v19, 0 op_sel_hi:[0,1,0]
	v_fmac_f32_e32 v23, v35, v38
	v_and_b32_e32 v2, 0xffff, v2
	s_delay_alu instid0(VALU_DEP_4) | instskip(SKIP_3) | instid1(VALU_DEP_4)
	v_dual_fmac_f32 v62, v27, v28 :: v_dual_fmac_f32 v67, v25, v30
	v_and_b32_e32 v10, 0xffff, v10
	v_fma_mixlo_f16 v18, v18, v79, 0 op_sel:[0,1,0] op_sel_hi:[0,1,0]
	v_and_b32_e32 v19, 0xffff, v19
	v_dual_fmac_f32 v62, v20, v36 :: v_dual_fmac_f32 v67, v39, v21
	s_wait_dscnt 0x0
	v_and_b32_e32 v20, 0xffff, v8
	v_lshrrev_b32_e32 v8, 16, v8
	;;#ASMSTART
	v_cvt_f32_f16 v20, v20;
	;;#ASMEND
	;;#ASMSTART
	v_cvt_f32_f16 v8, v8;
	;;#ASMEND
	;; [unrolled: 3-line block ×3, first 2 shown]
	v_and_b32_e32 v21, 0xffff, v9
	v_dual_fmac_f32 v62, v20, v2 :: v_dual_lshrrev_b32 v9, 16, v9
	;;#ASMSTART
	v_cvt_f32_f16 v10, v10;
	;;#ASMEND
	v_fmac_f32_e32 v23, v8, v10
	;;#ASMSTART
	v_cvt_f32_f16 v2, v21;
	;;#ASMEND
	;;#ASMSTART
	v_cvt_f32_f16 v9, v9;
	;;#ASMEND
	;; [unrolled: 3-line block ×3, first 2 shown]
	v_dual_fmac_f32 v26, v40, v37 :: v_dual_fmac_f32 v67, v2, v8
	v_xor_b32_e32 v8, 1, v11
	v_and_b32_e32 v10, 0xffff, v18
	;;#ASMSTART
	v_cvt_f32_f16 v10, v10;
	;;#ASMEND
	s_delay_alu instid0(VALU_DEP_1) | instskip(NEXT) | instid1(VALU_DEP_3)
	v_dual_add_f32 v2, v62, v23 :: v_dual_fmac_f32 v26, v9, v10
	v_cmp_gt_i32_e64 s4, 32, v8
	s_delay_alu instid0(VALU_DEP_1) | instskip(NEXT) | instid1(VALU_DEP_1)
	v_dual_add_f32 v2, v2, v67 :: v_dual_cndmask_b32 v8, v11, v8, s4
	v_dual_add_f32 v2, v26, v2 :: v_dual_lshlrev_b32 v8, 2, v8
	ds_bpermute_b32 v8, v8, v2
	s_and_saveexec_b32 s28, vcc_lo
	s_cbranch_execz .LBB268_8
; %bb.490:                              ;   in Loop: Header=BB268_9 Depth=1
	s_wait_dscnt 0x0
	v_dual_add_f32 v2, v2, v8 :: v_dual_add_nc_u32 v9, s27, v15
	v_cmp_gt_i32_e64 s4, s23, v15
	s_delay_alu instid0(VALU_DEP_2) | instskip(NEXT) | instid1(VALU_DEP_1)
	v_cvt_f32_i32_e32 v9, v9
	v_mul_f32_e32 v9, s25, v9
	s_delay_alu instid0(VALU_DEP_1) | instskip(NEXT) | instid1(VALU_DEP_1)
	v_cndmask_b32_e64 v8, 0, v9, s3
	v_dual_fmac_f32 v8, s7, v2 :: v_dual_max_num_f32 v9, v13, v13
	s_delay_alu instid0(VALU_DEP_1) | instskip(NEXT) | instid1(VALU_DEP_1)
	v_dual_max_num_f32 v2, v9, v8 :: v_dual_cndmask_b32 v8, 0, v8, s4
	v_cndmask_b32_e64 v13, v13, v2, s4
	ds_store_b32 v16, v8
	s_branch .LBB268_8
.LBB268_491:
	s_or_b32 exec_lo, exec_lo, s6
.LBB268_492:
	s_delay_alu instid0(SALU_CYCLE_1)
	s_or_b32 exec_lo, exec_lo, s26
	v_dual_max_num_f32 v7, v13, v13 :: v_dual_bitop2_b32 v2, 16, v11 bitop3:0x14
	s_load_b64 s[6:7], s[0:1], 0x0
	s_wait_kmcnt 0x0
	s_load_b64 s[8:9], s[0:1], 0x18
	v_xor_b32_e32 v4, 8, v11
	v_cmp_lt_i32_e32 vcc_lo, v2, v12
	v_cndmask_b32_e32 v2, v11, v2, vcc_lo
	s_delay_alu instid0(VALU_DEP_3) | instskip(NEXT) | instid1(VALU_DEP_2)
	v_cmp_lt_i32_e32 vcc_lo, v4, v12
	v_dual_cndmask_b32 v4, v11, v4 :: v_dual_lshlrev_b32 v5, 2, v2
	ds_bpermute_b32 v2, v5, v13
	s_wait_dscnt 0x0
	v_dual_lshlrev_b32 v6, 2, v4 :: v_dual_max_num_f32 v2, v2, v2
	s_delay_alu instid0(VALU_DEP_1) | instskip(SKIP_4) | instid1(VALU_DEP_1)
	v_dual_max_num_f32 v2, v7, v2 :: v_dual_bitop2_b32 v7, 4, v11 bitop3:0x14
	ds_bpermute_b32 v4, v6, v2
	v_cmp_lt_i32_e32 vcc_lo, v7, v12
	s_wait_dscnt 0x0
	v_dual_cndmask_b32 v7, v11, v7 :: v_dual_max_num_f32 v4, v4, v4
	v_dual_max_num_f32 v2, v2, v4 :: v_dual_lshlrev_b32 v7, 2, v7
	ds_bpermute_b32 v4, v7, v2
	s_wait_dscnt 0x0
	v_dual_max_num_f32 v4, v4, v4 :: v_dual_bitop2_b32 v8, 2, v11 bitop3:0x14
	s_delay_alu instid0(VALU_DEP_1) | instskip(NEXT) | instid1(VALU_DEP_2)
	v_cmp_lt_i32_e32 vcc_lo, v8, v12
	v_max_num_f32_e32 v9, v2, v4
	v_cndmask_b32_e32 v8, v11, v8, vcc_lo
	v_and_b32_e32 v4, 31, v0
	s_delay_alu instid0(VALU_DEP_2) | instskip(NEXT) | instid1(VALU_DEP_2)
	v_dual_lshlrev_b32 v2, 2, v8 :: v_dual_lshlrev_b32 v8, 2, v34
	v_cmp_eq_u32_e32 vcc_lo, 0, v4
	ds_bpermute_b32 v10, v2, v9
	s_wait_xcnt 0x0
	s_and_saveexec_b32 s0, vcc_lo
	s_cbranch_execz .LBB268_494
; %bb.493:
	s_wait_dscnt 0x0
	v_dual_max_num_f32 v10, v10, v10 :: v_dual_max_num_f32 v9, v9, v9
	s_delay_alu instid0(VALU_DEP_1)
	v_max_num_f32_e32 v9, v9, v10
	ds_store_b32 v8, v9 offset:240
.LBB268_494:
	s_or_b32 exec_lo, exec_lo, s0
	v_cmp_gt_u32_e64 s0, 4, v4
	s_wait_dscnt 0x0
	v_dual_mov_b32 v10, 0xff7fffff :: v_dual_lshlrev_b32 v9, 2, v4
	s_barrier_signal -1
	s_barrier_wait -1
	s_and_saveexec_b32 s1, s0
; %bb.495:
	ds_load_b32 v10, v9 offset:240
; %bb.496:
	s_or_b32 exec_lo, exec_lo, s1
	s_wait_dscnt 0x0
	ds_bpermute_b32 v13, v2, v10
	v_dual_max_num_f32 v10, v10, v10 :: v_dual_bitop2_b32 v14, 1, v11 bitop3:0x14
	v_lshlrev_b32_e32 v3, 2, v3
	s_delay_alu instid0(VALU_DEP_2) | instskip(NEXT) | instid1(VALU_DEP_1)
	v_cmp_lt_i32_e64 s1, v14, v12
	v_cndmask_b32_e64 v12, v11, v14, s1
	s_lshl_b32 s1, s24, 4
	s_delay_alu instid0(SALU_CYCLE_1) | instskip(NEXT) | instid1(SALU_CYCLE_1)
	s_min_i32 s4, s1, s23
	v_cmp_gt_i32_e64 s1, s4, v0
	s_wait_dscnt 0x0
	v_dual_max_num_f32 v13, v13, v13 :: v_dual_lshlrev_b32 v36, 2, v12
	s_delay_alu instid0(VALU_DEP_1) | instskip(SKIP_3) | instid1(VALU_DEP_1)
	v_max_num_f32_e32 v10, v10, v13
	ds_bpermute_b32 v12, v36, v10
	s_wait_dscnt 0x0
	v_max_num_f32_e32 v12, v12, v12
	v_max_num_f32_e32 v10, v10, v12
	ds_bpermute_b32 v10, v3, v10
	v_mov_b32_e32 v3, 0
	s_and_saveexec_b32 s19, s1
	s_cbranch_execz .LBB268_500
; %bb.497:
	v_lshl_add_u32 v12, v0, 2, 0x110
	v_dual_mov_b32 v3, 0 :: v_dual_mov_b32 v13, v0
	s_mov_b32 s25, 0
.LBB268_498:                            ; =>This Inner Loop Header: Depth=1
	ds_load_b32 v14, v12
	v_add_nc_u32_e32 v13, 0x80, v13
	s_delay_alu instid0(VALU_DEP_1) | instskip(SKIP_3) | instid1(VALU_DEP_1)
	v_cmp_le_i32_e64 s3, s4, v13
	s_or_b32 s25, s3, s25
	s_wait_dscnt 0x0
	v_sub_f32_e32 v14, v14, v10
	v_mul_f32_e32 v14, 0x3fb8aa3b, v14
	s_delay_alu instid0(VALU_DEP_1)
	v_exp_f32_e32 v14, v14
	ds_store_b32 v12, v14
	v_nop
	v_dual_add_f32 v3, v3, v14 :: v_dual_add_nc_u32 v12, 0x200, v12
	s_and_not1_b32 exec_lo, exec_lo, s25
	s_cbranch_execnz .LBB268_498
; %bb.499:
	s_or_b32 exec_lo, exec_lo, s25
.LBB268_500:
	s_delay_alu instid0(SALU_CYCLE_1)
	s_or_b32 exec_lo, exec_lo, s19
	ds_bpermute_b32 v5, v5, v3
	s_wait_dscnt 0x0
	v_add_f32_e32 v3, v3, v5
	ds_bpermute_b32 v5, v6, v3
	s_wait_dscnt 0x0
	v_add_f32_e32 v3, v3, v5
	;; [unrolled: 3-line block ×5, first 2 shown]
	s_and_saveexec_b32 s3, vcc_lo
; %bb.501:
	ds_store_b32 v8, v3 offset:256
; %bb.502:
	s_or_b32 exec_lo, exec_lo, s3
	s_wait_dscnt 0x0
	s_barrier_signal -1
	s_barrier_wait -1
	s_and_saveexec_b32 s3, s0
; %bb.503:
	ds_load_b32 v3, v9 offset:256
; %bb.504:
	s_or_b32 exec_lo, exec_lo, s3
	s_wait_dscnt 0x0
	ds_bpermute_b32 v2, v2, v3
	s_wait_dscnt 0x0
	v_dual_add_f32 v2, v3, v2 :: v_dual_lshlrev_b32 v5, 2, v11
	ds_bpermute_b32 v3, v36, v2
	s_wait_dscnt 0x0
	v_add_f32_e32 v2, v2, v3
	v_and_b32_e32 v3, 0xffffff80, v5
	ds_bpermute_b32 v2, v3, v2
	s_and_saveexec_b32 s0, s1
	s_cbranch_execz .LBB268_517
; %bb.505:
	s_wait_dscnt 0x0
	v_add_f32_e32 v2, 0x358637bd, v2
	s_mov_b32 s3, -1
	s_mov_b32 s1, exec_lo
	s_delay_alu instid0(VALU_DEP_1) | instskip(SKIP_1) | instid1(VALU_DEP_2)
	v_div_scale_f32 v3, null, v2, v2, 1.0
	v_div_scale_f32 v7, vcc_lo, 1.0, v2, 1.0
	v_rcp_f32_e32 v6, v3
	v_nop
	s_delay_alu instid0(TRANS32_DEP_1) | instskip(NEXT) | instid1(VALU_DEP_1)
	v_fma_f32 v5, -v3, v6, 1.0
	v_fmac_f32_e32 v6, v5, v6
	s_delay_alu instid0(VALU_DEP_1) | instskip(NEXT) | instid1(VALU_DEP_1)
	v_mul_f32_e32 v8, v7, v6
	v_fma_f32 v5, -v3, v8, v7
	s_delay_alu instid0(VALU_DEP_1) | instskip(SKIP_1) | instid1(VALU_DEP_2)
	v_fmac_f32_e32 v8, v5, v6
	v_xad_u32 v5, v0, -1, s4
	v_fma_f32 v3, -v3, v8, v7
	s_delay_alu instid0(VALU_DEP_1) | instskip(NEXT) | instid1(VALU_DEP_1)
	v_div_fmas_f32 v3, v3, v6, v8
	v_div_fixup_f32 v2, v3, v2, 1.0
	v_mov_b32_e32 v3, v0
	v_cmpx_lt_u32_e32 0x7f, v5
	s_cbranch_execz .LBB268_514
; %bb.506:
	s_delay_alu instid0(VALU_DEP_3) | instskip(NEXT) | instid1(VALU_DEP_1)
	v_dual_lshrrev_b32 v5, 7, v5 :: v_dual_mov_b32 v3, v2
	v_dual_mov_b32 v9, 0 :: v_dual_add_nc_u32 v6, -1, v5
	s_delay_alu instid0(VALU_DEP_1) | instskip(SKIP_1) | instid1(VALU_DEP_2)
	v_lshrrev_b32_e32 v7, 1, v6
	v_cmp_lt_u32_e32 vcc_lo, 13, v6
	v_add_nc_u32_e32 v6, 1, v7
	s_and_saveexec_b32 s3, vcc_lo
	s_cbranch_execz .LBB268_510
; %bb.507:
	s_delay_alu instid0(VALU_DEP_1)
	v_and_b32_e32 v7, -8, v6
	v_lshl_add_u32 v8, v0, 2, 0x110
	s_mov_b32 s19, 0
	s_mov_b32 s25, 0
.LBB268_508:                            ; =>This Inner Loop Header: Depth=1
	ds_load_2addr_stride64_b32 v[10:11], v8 offset1:2
	ds_load_2addr_stride64_b32 v[12:13], v8 offset0:4 offset1:6
	ds_load_2addr_stride64_b32 v[14:15], v8 offset0:8 offset1:10
	;; [unrolled: 1-line block ×7, first 2 shown]
	s_add_co_i32 s25, s25, 16
	s_delay_alu instid0(SALU_CYCLE_1) | instskip(NEXT) | instid1(VALU_DEP_1)
	v_dual_add_nc_u32 v7, -8, v7 :: v_dual_mov_b32 v9, s25
	v_cmp_eq_u32_e32 vcc_lo, 0, v7
	s_or_b32 s19, vcc_lo, s19
	s_wait_dscnt 0x7
	v_pk_mul_f32 v[10:11], v[2:3], v[10:11]
	s_wait_dscnt 0x6
	v_pk_mul_f32 v[12:13], v[2:3], v[12:13]
	;; [unrolled: 2-line block ×8, first 2 shown]
	ds_store_2addr_stride64_b32 v8, v10, v11 offset1:2
	ds_store_2addr_stride64_b32 v8, v12, v13 offset0:4 offset1:6
	ds_store_2addr_stride64_b32 v8, v14, v15 offset0:8 offset1:10
	;; [unrolled: 1-line block ×7, first 2 shown]
	v_add_nc_u32_e32 v8, 0x2000, v8
	s_and_not1_b32 exec_lo, exec_lo, s19
	s_cbranch_execnz .LBB268_508
; %bb.509:
	s_or_b32 exec_lo, exec_lo, s19
.LBB268_510:
	s_delay_alu instid0(SALU_CYCLE_1) | instskip(NEXT) | instid1(VALU_DEP_1)
	s_or_b32 exec_lo, exec_lo, s3
	v_and_b32_e32 v6, 7, v6
	s_mov_b32 s19, 0
	s_mov_b32 s3, exec_lo
	s_delay_alu instid0(VALU_DEP_1)
	v_cmpx_ne_u32_e32 0, v6
	s_cbranch_execz .LBB268_513
; %bb.511:
	v_dual_lshlrev_b32 v7, 9, v9 :: v_dual_lshlrev_b32 v8, 2, v0
	s_delay_alu instid0(VALU_DEP_1)
	v_add3_u32 v7, v7, v8, 0x110
.LBB268_512:                            ; =>This Inner Loop Header: Depth=1
	ds_load_2addr_stride64_b32 v[8:9], v7 offset1:2
	v_add_nc_u32_e32 v6, -1, v6
	s_delay_alu instid0(VALU_DEP_1)
	v_cmp_eq_u32_e32 vcc_lo, 0, v6
	s_or_b32 s19, vcc_lo, s19
	s_wait_dscnt 0x0
	v_pk_mul_f32 v[8:9], v[2:3], v[8:9]
	ds_store_2addr_stride64_b32 v7, v8, v9 offset1:2
	v_add_nc_u32_e32 v7, 0x400, v7
	s_and_not1_b32 exec_lo, exec_lo, s19
	s_cbranch_execnz .LBB268_512
.LBB268_513:
	s_or_b32 exec_lo, exec_lo, s3
	v_add_nc_u32_e32 v3, 1, v5
	s_delay_alu instid0(VALU_DEP_1) | instskip(NEXT) | instid1(VALU_DEP_1)
	v_and_b32_e32 v5, 0x3fffffe, v3
	v_cmp_ne_u32_e32 vcc_lo, v3, v5
	v_lshl_add_u32 v3, v5, 7, v0
	s_or_not1_b32 s3, vcc_lo, exec_lo
.LBB268_514:
	s_or_b32 exec_lo, exec_lo, s1
	s_delay_alu instid0(SALU_CYCLE_1)
	s_and_b32 exec_lo, exec_lo, s3
	s_cbranch_execz .LBB268_517
; %bb.515:
	v_lshl_add_u32 v5, v3, 2, 0x110
	s_mov_b32 s1, 0
.LBB268_516:                            ; =>This Inner Loop Header: Depth=1
	ds_load_b32 v6, v5
	s_wait_dscnt 0x0
	v_dual_mul_f32 v6, v2, v6 :: v_dual_add_nc_u32 v3, 0x80, v3
	s_delay_alu instid0(VALU_DEP_1) | instskip(SKIP_3) | instid1(SALU_CYCLE_1)
	v_cmp_le_i32_e32 vcc_lo, s4, v3
	ds_store_b32 v5, v6
	v_add_nc_u32_e32 v5, 0x200, v5
	s_or_b32 s1, vcc_lo, s1
	s_and_not1_b32 exec_lo, exec_lo, s1
	s_cbranch_execnz .LBB268_516
.LBB268_517:
	s_or_b32 exec_lo, exec_lo, s0
	v_lshrrev_b32_e32 v35, 1, v4
	s_wait_dscnt 0x0
	s_barrier_signal -1
	s_barrier_wait -1
	s_and_saveexec_b32 s0, s2
	s_delay_alu instid0(SALU_CYCLE_1)
	s_xor_b32 s0, exec_lo, s0
; %bb.518:
	v_lshrrev_b32_e32 v35, 1, v4
                                        ; implicit-def: $vgpr1
; %bb.519:
	s_or_saveexec_b32 s25, s0
	v_dual_mov_b32 v3, 0 :: v_dual_mov_b32 v2, 0
	v_dual_mov_b32 v5, 0 :: v_dual_mov_b32 v4, 0
	;; [unrolled: 1-line block ×4, first 2 shown]
	s_xor_b32 exec_lo, exec_lo, s25
	s_cbranch_execz .LBB268_1053
; %bb.520:
	v_dual_mov_b32 v11, 0 :: v_dual_lshlrev_b32 v2, 3, v0
	v_or_b32_e32 v3, 0x70, v35
	v_and_b32_e32 v10, 0x7c, v1
	s_lshl_b64 s[0:1], s[14:15], 2
	s_delay_alu instid0(VALU_DEP_3) | instskip(NEXT) | instid1(VALU_DEP_3)
	v_dual_lshlrev_b32 v4, 5, v33 :: v_dual_bitop2_b32 v2, 8, v2 bitop3:0x40
	v_cmp_gt_u32_e32 vcc_lo, 0x78, v3
	s_add_nc_u64 s[0:1], s[16:17], s[0:1]
	v_dual_mov_b32 v13, v11 :: v_dual_mov_b32 v15, v11
	s_delay_alu instid0(VALU_DEP_3)
	v_lshl_or_b32 v14, v3, 4, v2
	v_lshl_or_b32 v3, v34, 6, v4
	v_add_nc_u64_e32 v[16:17], s[0:1], v[10:11]
	v_lshl_or_b32 v12, v35, 4, v2
	v_lshl_or_b32 v37, v34, 4, v2
	v_dual_mov_b32 v2, 0 :: v_dual_mov_b32 v5, 0
	v_dual_mov_b32 v3, 0 :: v_dual_add_nc_u32 v38, 0x110, v3
	v_dual_mov_b32 v4, 0 :: v_dual_mov_b32 v7, 0
	v_dual_mov_b32 v6, 0 :: v_dual_mov_b32 v9, 0
	;; [unrolled: 1-line block ×3, first 2 shown]
	s_ashr_i32 s19, s18, 31
	s_mov_b32 s26, s5
	s_wait_kmcnt 0x0
	s_add_nc_u64 s[2:3], s[8:9], s[18:19]
	s_mov_b64 s[4:5], 0xffffffffffffff
	s_add_co_i32 s8, s24, -1
	s_mov_b32 s14, s23
	s_mov_b32 s9, 0
	s_branch .LBB268_523
.LBB268_521:                            ;   in Loop: Header=BB268_523 Depth=1
	s_or_b32 exec_lo, exec_lo, s1
	;;#ASMSTART
	v_pk_mul_f16 v1, v47, v27;

	;;#ASMEND
	;;#ASMSTART
	v_pk_mul_f16 v10, v46, v26;

	;;#ASMEND
	;; [unrolled: 4-line block ×4, first 2 shown]
	;;#ASMSTART
	v_pk_add_f16 v1, v1, v10;

	;;#ASMEND
	;;#ASMSTART
	v_pk_add_f16 v1, v1, v18;

	;;#ASMEND
	;; [unrolled: 4-line block ×3, first 2 shown]
	v_and_b32_e32 v10, 0xffff, v1
	v_lshrrev_b32_e32 v1, 16, v1
	;;#ASMSTART
	v_cvt_f32_f16 v10, v10;
	;;#ASMEND
	;;#ASMSTART
	v_cvt_f32_f16 v1, v1;
	;;#ASMEND
	s_delay_alu instid0(VALU_DEP_1) | instskip(NEXT) | instid1(VALU_DEP_1)
	v_add_f32_e32 v1, v10, v1
	v_add_f32_e32 v3, v3, v1
.LBB268_522:                            ;   in Loop: Header=BB268_523 Depth=1
	s_or_b32 exec_lo, exec_lo, s15
	v_dual_add_f32 v1, v30, v31 :: v_dual_add_f32 v10, v40, v41
	v_add_f32_e32 v18, v54, v55
	v_add_nc_u64_e32 v[16:17], 16, v[16:17]
	v_dual_add_f32 v19, v42, v43 :: v_dual_add_nc_u32 v38, 0x100, v38
	s_delay_alu instid0(VALU_DEP_4) | instskip(NEXT) | instid1(VALU_DEP_4)
	v_dual_add_f32 v5, v5, v10 :: v_dual_add_f32 v2, v2, v1
	v_add_f32_e32 v4, v4, v18
	v_dual_add_f32 v1, v52, v53 :: v_dual_add_f32 v10, v50, v51
	v_dual_add_f32 v18, v48, v49 :: v_dual_add_nc_u32 v39, 4, v39
	s_delay_alu instid0(VALU_DEP_2) | instskip(NEXT) | instid1(VALU_DEP_3)
	v_dual_add_f32 v8, v8, v19 :: v_dual_add_f32 v7, v7, v1
	v_add_f32_e32 v6, v6, v10
	s_delay_alu instid0(VALU_DEP_3) | instskip(NEXT) | instid1(VALU_DEP_4)
	v_cmp_le_i32_e64 s0, s24, v39
	v_dual_add_f32 v9, v9, v18 :: v_dual_add_nc_u32 v37, 64, v37
	s_or_b32 s9, s0, s9
	s_delay_alu instid0(SALU_CYCLE_1)
	s_and_not1_b32 exec_lo, exec_lo, s9
	s_cbranch_execz .LBB268_1052
.LBB268_523:                            ; =>This Inner Loop Header: Depth=1
	global_load_b32 v1, v[16:17], off
	ds_load_2addr_b64 v[20:23], v38 offset1:1
	ds_load_2addr_b64 v[24:27], v38 offset0:2 offset1:3
	s_mov_b32 s1, exec_lo
	s_wait_dscnt 0x1
	;;#ASMSTART
	v_cvt_f16_f32 v45, v20;

	;;#ASMEND
	;;#ASMSTART
	v_cvt_f16_f32 v42, v21;

	;;#ASMEND
	;; [unrolled: 4-line block ×4, first 2 shown]
	s_wait_dscnt 0x0
	;;#ASMSTART
	v_cvt_f16_f32 v47, v24;

	;;#ASMEND
	;;#ASMSTART
	v_cvt_f16_f32 v44, v25;

	;;#ASMEND
	;; [unrolled: 4-line block ×4, first 2 shown]
	s_wait_loadcnt 0x0
	v_mad_nc_i64_i32 v[18:19], v1, s26, s[2:3]
	v_mov_b32_e32 v1, 0
	s_delay_alu instid0(VALU_DEP_2)
	v_add_nc_u64_e32 v[20:21], v[18:19], v[12:13]
	global_load_b64 v[24:25], v[20:21], off
	global_load_b32 v22, v11, s[10:11]
	s_wait_loadcnt 0x1
	v_and_b32_e32 v10, 0xff, v24
	s_wait_xcnt 0x0
	s_delay_alu instid0(VALU_DEP_1)
	v_cmpx_ne_u16_e32 0, v10
	s_cbranch_execz .LBB268_531
; %bb.524:                              ;   in Loop: Header=BB268_523 Depth=1
	v_mov_b32_e32 v1, 0x8000
	s_mov_b32 s15, exec_lo
	v_cmpx_ne_u16_e32 0x80, v10
	s_cbranch_execz .LBB268_530
; %bb.525:                              ;   in Loop: Header=BB268_523 Depth=1
	v_and_b32_e32 v23, 0x7f, v24
	v_mov_b32_e32 v1, 0x7c01
	s_mov_b32 s16, exec_lo
	s_delay_alu instid0(VALU_DEP_2)
	v_cmpx_ne_u32_e32 0x7f, v23
	s_cbranch_execz .LBB268_529
; %bb.526:                              ;   in Loop: Header=BB268_523 Depth=1
	v_dual_lshrrev_b32 v10, 3, v23 :: v_dual_bitop2_b32 v1, 7, v24 bitop3:0x40
	s_mov_b32 s17, exec_lo
	v_cmpx_gt_u32_e32 8, v23
; %bb.527:                              ;   in Loop: Header=BB268_523 Depth=1
	s_delay_alu instid0(VALU_DEP_2) | instskip(NEXT) | instid1(VALU_DEP_1)
	v_clz_i32_u32_e32 v1, v1
	v_min_u32_e32 v1, 32, v1
	s_delay_alu instid0(VALU_DEP_1) | instskip(NEXT) | instid1(VALU_DEP_1)
	v_subrev_nc_u32_e32 v10, 28, v1
	v_lshlrev_b64_e32 v[26:27], v10, v[24:25]
	s_delay_alu instid0(VALU_DEP_1)
	v_dual_sub_nc_u32 v10, 29, v1 :: v_dual_bitop2_b32 v1, 7, v26 bitop3:0x40
; %bb.528:                              ;   in Loop: Header=BB268_523 Depth=1
	s_or_b32 exec_lo, exec_lo, s17
	s_delay_alu instid0(VALU_DEP_1) | instskip(NEXT) | instid1(VALU_DEP_2)
	v_dual_lshlrev_b32 v23, 8, v24 :: v_dual_lshlrev_b32 v1, 7, v1
	v_lshl_add_u32 v10, v10, 10, 0x2000
	s_delay_alu instid0(VALU_DEP_2) | instskip(NEXT) | instid1(VALU_DEP_2)
	v_and_b32_e32 v23, 0x8000, v23
	v_and_b32_e32 v10, 0xfc00, v10
	s_delay_alu instid0(VALU_DEP_1)
	v_or3_b32 v1, v23, v10, v1
.LBB268_529:                            ;   in Loop: Header=BB268_523 Depth=1
	s_or_b32 exec_lo, exec_lo, s16
.LBB268_530:                            ;   in Loop: Header=BB268_523 Depth=1
	s_delay_alu instid0(SALU_CYCLE_1)
	s_or_b32 exec_lo, exec_lo, s15
.LBB268_531:                            ;   in Loop: Header=BB268_523 Depth=1
	s_delay_alu instid0(SALU_CYCLE_1) | instskip(SKIP_3) | instid1(VALU_DEP_2)
	s_or_b32 exec_lo, exec_lo, s1
	v_lshrrev_b16 v10, 8, v24
	v_dual_mov_b32 v23, 0 :: v_dual_mov_b32 v26, 0
	s_mov_b32 s1, exec_lo
	v_cmpx_ne_u16_e32 0, v10
	s_cbranch_execz .LBB268_539
; %bb.532:                              ;   in Loop: Header=BB268_523 Depth=1
	v_bfrev_b32_e32 v26, 1
	s_mov_b32 s15, exec_lo
	v_cmpx_ne_u16_e32 0x80, v10
	s_cbranch_execz .LBB268_538
; %bb.533:                              ;   in Loop: Header=BB268_523 Depth=1
	v_and_b32_e32 v27, 0xffff, v10
	v_mov_b32_e32 v26, 0x7c010000
	s_mov_b32 s16, exec_lo
	s_delay_alu instid0(VALU_DEP_2) | instskip(NEXT) | instid1(VALU_DEP_1)
	v_and_b32_e32 v29, 0x7f, v27
	v_cmpx_ne_u32_e32 0x7f, v29
	s_cbranch_execz .LBB268_537
; %bb.534:                              ;   in Loop: Header=BB268_523 Depth=1
	v_dual_lshrrev_b32 v28, 3, v29 :: v_dual_bitop2_b32 v26, 7, v27 bitop3:0x40
	s_mov_b32 s17, exec_lo
	v_cmpx_gt_u32_e32 8, v29
; %bb.535:                              ;   in Loop: Header=BB268_523 Depth=1
	s_delay_alu instid0(VALU_DEP_2) | instskip(NEXT) | instid1(VALU_DEP_1)
	v_clz_i32_u32_e32 v26, v26
	v_min_u32_e32 v26, 32, v26
	s_delay_alu instid0(VALU_DEP_1) | instskip(NEXT) | instid1(VALU_DEP_1)
	v_subrev_nc_u32_e32 v28, 28, v26
	v_lshlrev_b64_e32 v[30:31], v28, v[10:11]
	v_sub_nc_u32_e32 v28, 29, v26
	s_delay_alu instid0(VALU_DEP_2)
	v_and_b32_e32 v26, 7, v30
; %bb.536:                              ;   in Loop: Header=BB268_523 Depth=1
	s_or_b32 exec_lo, exec_lo, s17
	s_delay_alu instid0(VALU_DEP_1) | instskip(NEXT) | instid1(VALU_DEP_3)
	v_dual_lshlrev_b32 v10, 8, v27 :: v_dual_lshlrev_b32 v26, 23, v26
	v_lshl_add_u32 v27, v28, 10, 0x2000
	s_delay_alu instid0(VALU_DEP_1) | instskip(NEXT) | instid1(VALU_DEP_1)
	v_and_or_b32 v10, 0x8000, v10, v27
	v_lshl_or_b32 v26, v10, 16, v26
.LBB268_537:                            ;   in Loop: Header=BB268_523 Depth=1
	s_or_b32 exec_lo, exec_lo, s16
.LBB268_538:                            ;   in Loop: Header=BB268_523 Depth=1
	s_delay_alu instid0(SALU_CYCLE_1)
	s_or_b32 exec_lo, exec_lo, s15
.LBB268_539:                            ;   in Loop: Header=BB268_523 Depth=1
	s_delay_alu instid0(SALU_CYCLE_1) | instskip(SKIP_2) | instid1(VALU_DEP_1)
	s_or_b32 exec_lo, exec_lo, s1
	v_lshrrev_b32_e32 v10, 16, v24
	s_mov_b32 s1, exec_lo
	v_and_b32_e32 v27, 0xff, v10
	s_delay_alu instid0(VALU_DEP_1)
	v_cmpx_ne_u16_e32 0, v27
	s_cbranch_execz .LBB268_547
; %bb.540:                              ;   in Loop: Header=BB268_523 Depth=1
	v_mov_b32_e32 v23, 0x8000
	s_mov_b32 s15, exec_lo
	v_cmpx_ne_u16_e32 0x80, v27
	s_cbranch_execz .LBB268_546
; %bb.541:                              ;   in Loop: Header=BB268_523 Depth=1
	v_bfe_u32 v28, v24, 16, 7
	v_mov_b32_e32 v23, 0x7c01
	s_mov_b32 s16, exec_lo
	s_delay_alu instid0(VALU_DEP_2)
	v_cmpx_ne_u32_e32 0x7f, v28
	s_cbranch_execz .LBB268_545
; %bb.542:                              ;   in Loop: Header=BB268_523 Depth=1
	v_dual_lshrrev_b32 v27, 3, v28 :: v_dual_bitop2_b32 v23, 7, v10 bitop3:0x40
	s_mov_b32 s17, exec_lo
	v_cmpx_gt_u32_e32 8, v28
; %bb.543:                              ;   in Loop: Header=BB268_523 Depth=1
	s_delay_alu instid0(VALU_DEP_2) | instskip(NEXT) | instid1(VALU_DEP_1)
	v_clz_i32_u32_e32 v23, v23
	v_min_u32_e32 v23, 32, v23
	s_delay_alu instid0(VALU_DEP_1) | instskip(NEXT) | instid1(VALU_DEP_1)
	v_subrev_nc_u32_e32 v27, 28, v23
	v_lshlrev_b64_e32 v[28:29], v27, v[10:11]
	s_delay_alu instid0(VALU_DEP_1)
	v_dual_sub_nc_u32 v27, 29, v23 :: v_dual_bitop2_b32 v23, 7, v28 bitop3:0x40
; %bb.544:                              ;   in Loop: Header=BB268_523 Depth=1
	s_or_b32 exec_lo, exec_lo, s17
	s_delay_alu instid0(VALU_DEP_1) | instskip(NEXT) | instid1(VALU_DEP_2)
	v_dual_lshlrev_b32 v10, 8, v10 :: v_dual_lshlrev_b32 v23, 7, v23
	v_lshl_add_u32 v27, v27, 10, 0x2000
	s_delay_alu instid0(VALU_DEP_2) | instskip(NEXT) | instid1(VALU_DEP_2)
	v_and_b32_e32 v10, 0x8000, v10
	v_and_b32_e32 v27, 0xfc00, v27
	s_delay_alu instid0(VALU_DEP_1)
	v_or3_b32 v23, v10, v27, v23
.LBB268_545:                            ;   in Loop: Header=BB268_523 Depth=1
	s_or_b32 exec_lo, exec_lo, s16
.LBB268_546:                            ;   in Loop: Header=BB268_523 Depth=1
	s_delay_alu instid0(SALU_CYCLE_1)
	s_or_b32 exec_lo, exec_lo, s15
.LBB268_547:                            ;   in Loop: Header=BB268_523 Depth=1
	s_delay_alu instid0(SALU_CYCLE_1)
	s_or_b32 exec_lo, exec_lo, s1
	v_dual_mov_b32 v27, 0 :: v_dual_mov_b32 v28, 0
	s_mov_b32 s1, exec_lo
	v_cmpx_lt_u32_e32 0xffffff, v24
	s_cbranch_execz .LBB268_555
; %bb.548:                              ;   in Loop: Header=BB268_523 Depth=1
	v_lshrrev_b32_e32 v10, 24, v24
	v_bfrev_b32_e32 v28, 1
	s_mov_b32 s15, exec_lo
	s_delay_alu instid0(VALU_DEP_2)
	v_cmpx_ne_u32_e32 0x80, v10
	s_cbranch_execz .LBB268_554
; %bb.549:                              ;   in Loop: Header=BB268_523 Depth=1
	v_and_b32_e32 v30, 0x7f, v10
	v_mov_b32_e32 v28, 0x7c010000
	s_mov_b32 s16, exec_lo
	s_delay_alu instid0(VALU_DEP_2)
	v_cmpx_ne_u32_e32 0x7f, v30
	s_cbranch_execz .LBB268_553
; %bb.550:                              ;   in Loop: Header=BB268_523 Depth=1
	v_and_b32_e32 v28, 7, v10
	v_lshrrev_b32_e32 v29, 3, v30
	s_mov_b32 s17, exec_lo
	v_cmpx_gt_u32_e32 8, v30
; %bb.551:                              ;   in Loop: Header=BB268_523 Depth=1
	s_delay_alu instid0(VALU_DEP_3) | instskip(NEXT) | instid1(VALU_DEP_1)
	v_clz_i32_u32_e32 v28, v28
	v_min_u32_e32 v30, 32, v28
	s_delay_alu instid0(VALU_DEP_1) | instskip(NEXT) | instid1(VALU_DEP_1)
	v_subrev_nc_u32_e32 v28, 28, v30
	v_lshlrev_b64_e32 v[28:29], v28, v[10:11]
	s_delay_alu instid0(VALU_DEP_1)
	v_dual_sub_nc_u32 v29, 29, v30 :: v_dual_bitop2_b32 v28, 7, v28 bitop3:0x40
; %bb.552:                              ;   in Loop: Header=BB268_523 Depth=1
	s_or_b32 exec_lo, exec_lo, s17
	s_delay_alu instid0(VALU_DEP_1) | instskip(NEXT) | instid1(VALU_DEP_2)
	v_dual_lshlrev_b32 v10, 8, v10 :: v_dual_lshlrev_b32 v28, 23, v28
	v_lshl_add_u32 v29, v29, 10, 0x2000
	s_delay_alu instid0(VALU_DEP_1) | instskip(NEXT) | instid1(VALU_DEP_1)
	v_and_or_b32 v10, 0x8000, v10, v29
	v_lshl_or_b32 v28, v10, 16, v28
.LBB268_553:                            ;   in Loop: Header=BB268_523 Depth=1
	s_or_b32 exec_lo, exec_lo, s16
.LBB268_554:                            ;   in Loop: Header=BB268_523 Depth=1
	s_delay_alu instid0(SALU_CYCLE_1)
	s_or_b32 exec_lo, exec_lo, s15
.LBB268_555:                            ;   in Loop: Header=BB268_523 Depth=1
	s_delay_alu instid0(SALU_CYCLE_1) | instskip(SKIP_3) | instid1(VALU_DEP_2)
	s_or_b32 exec_lo, exec_lo, s1
	v_and_b32_e32 v29, 0xff, v25
	v_mov_b32_e32 v10, v25
	s_mov_b32 s1, exec_lo
	v_cmpx_ne_u16_e32 0, v29
	s_cbranch_execz .LBB268_563
; %bb.556:                              ;   in Loop: Header=BB268_523 Depth=1
	v_mov_b32_e32 v27, 0x8000
	s_mov_b32 s15, exec_lo
	v_cmpx_ne_u16_e32 0x80, v29
	s_cbranch_execz .LBB268_562
; %bb.557:                              ;   in Loop: Header=BB268_523 Depth=1
	v_and_b32_e32 v30, 0x7f, v25
	v_mov_b32_e32 v27, 0x7c01
	s_mov_b32 s16, exec_lo
	s_delay_alu instid0(VALU_DEP_2)
	v_cmpx_ne_u32_e32 0x7f, v30
	s_cbranch_execz .LBB268_561
; %bb.558:                              ;   in Loop: Header=BB268_523 Depth=1
	v_dual_lshrrev_b32 v29, 3, v30 :: v_dual_bitop2_b32 v27, 7, v25 bitop3:0x40
	s_mov_b32 s17, exec_lo
	v_cmpx_gt_u32_e32 8, v30
; %bb.559:                              ;   in Loop: Header=BB268_523 Depth=1
	s_delay_alu instid0(VALU_DEP_2) | instskip(NEXT) | instid1(VALU_DEP_1)
	v_clz_i32_u32_e32 v27, v27
	v_min_u32_e32 v27, 32, v27
	s_delay_alu instid0(VALU_DEP_1) | instskip(NEXT) | instid1(VALU_DEP_1)
	v_subrev_nc_u32_e32 v29, 28, v27
	v_lshlrev_b64_e32 v[30:31], v29, v[10:11]
	s_delay_alu instid0(VALU_DEP_1)
	v_dual_sub_nc_u32 v29, 29, v27 :: v_dual_bitop2_b32 v27, 7, v30 bitop3:0x40
; %bb.560:                              ;   in Loop: Header=BB268_523 Depth=1
	s_or_b32 exec_lo, exec_lo, s17
	s_delay_alu instid0(VALU_DEP_1) | instskip(NEXT) | instid1(VALU_DEP_2)
	v_dual_lshlrev_b32 v30, 8, v25 :: v_dual_lshlrev_b32 v27, 7, v27
	v_lshl_add_u32 v29, v29, 10, 0x2000
	s_delay_alu instid0(VALU_DEP_2) | instskip(NEXT) | instid1(VALU_DEP_2)
	v_and_b32_e32 v30, 0x8000, v30
	v_and_b32_e32 v29, 0xfc00, v29
	s_delay_alu instid0(VALU_DEP_1)
	v_or3_b32 v27, v30, v29, v27
.LBB268_561:                            ;   in Loop: Header=BB268_523 Depth=1
	s_or_b32 exec_lo, exec_lo, s16
.LBB268_562:                            ;   in Loop: Header=BB268_523 Depth=1
	s_delay_alu instid0(SALU_CYCLE_1)
	s_or_b32 exec_lo, exec_lo, s15
.LBB268_563:                            ;   in Loop: Header=BB268_523 Depth=1
	s_delay_alu instid0(SALU_CYCLE_1) | instskip(SKIP_3) | instid1(VALU_DEP_2)
	s_or_b32 exec_lo, exec_lo, s1
	v_lshrrev_b16 v10, 8, v10
	v_dual_mov_b32 v30, 0 :: v_dual_mov_b32 v29, 0
	s_mov_b32 s1, exec_lo
	v_cmpx_ne_u16_e32 0, v10
	s_cbranch_execz .LBB268_571
; %bb.564:                              ;   in Loop: Header=BB268_523 Depth=1
	v_bfrev_b32_e32 v29, 1
	s_mov_b32 s15, exec_lo
	v_cmpx_ne_u16_e32 0x80, v10
	s_cbranch_execz .LBB268_570
; %bb.565:                              ;   in Loop: Header=BB268_523 Depth=1
	v_and_b32_e32 v31, 0xffff, v10
	v_mov_b32_e32 v29, 0x7c010000
	s_mov_b32 s16, exec_lo
	s_delay_alu instid0(VALU_DEP_2) | instskip(NEXT) | instid1(VALU_DEP_1)
	v_and_b32_e32 v41, 0x7f, v31
	v_cmpx_ne_u32_e32 0x7f, v41
	s_cbranch_execz .LBB268_569
; %bb.566:                              ;   in Loop: Header=BB268_523 Depth=1
	v_dual_lshrrev_b32 v40, 3, v41 :: v_dual_bitop2_b32 v29, 7, v31 bitop3:0x40
	s_mov_b32 s17, exec_lo
	v_cmpx_gt_u32_e32 8, v41
; %bb.567:                              ;   in Loop: Header=BB268_523 Depth=1
	s_delay_alu instid0(VALU_DEP_2) | instskip(NEXT) | instid1(VALU_DEP_1)
	v_clz_i32_u32_e32 v29, v29
	v_min_u32_e32 v29, 32, v29
	s_delay_alu instid0(VALU_DEP_1) | instskip(NEXT) | instid1(VALU_DEP_1)
	v_subrev_nc_u32_e32 v40, 28, v29
	v_lshlrev_b64_e32 v[50:51], v40, v[10:11]
	s_delay_alu instid0(VALU_DEP_1)
	v_dual_sub_nc_u32 v40, 29, v29 :: v_dual_bitop2_b32 v29, 7, v50 bitop3:0x40
; %bb.568:                              ;   in Loop: Header=BB268_523 Depth=1
	s_or_b32 exec_lo, exec_lo, s17
	s_delay_alu instid0(VALU_DEP_1) | instskip(NEXT) | instid1(VALU_DEP_2)
	v_dual_lshlrev_b32 v10, 8, v31 :: v_dual_lshlrev_b32 v29, 23, v29
	v_lshl_add_u32 v31, v40, 10, 0x2000
	s_delay_alu instid0(VALU_DEP_1) | instskip(NEXT) | instid1(VALU_DEP_1)
	v_and_or_b32 v10, 0x8000, v10, v31
	v_lshl_or_b32 v29, v10, 16, v29
.LBB268_569:                            ;   in Loop: Header=BB268_523 Depth=1
	s_or_b32 exec_lo, exec_lo, s16
.LBB268_570:                            ;   in Loop: Header=BB268_523 Depth=1
	s_delay_alu instid0(SALU_CYCLE_1)
	s_or_b32 exec_lo, exec_lo, s15
.LBB268_571:                            ;   in Loop: Header=BB268_523 Depth=1
	s_delay_alu instid0(SALU_CYCLE_1) | instskip(SKIP_2) | instid1(VALU_DEP_1)
	s_or_b32 exec_lo, exec_lo, s1
	v_lshrrev_b32_e32 v10, 16, v25
	s_mov_b32 s1, exec_lo
	v_and_b32_e32 v31, 0xff, v10
	s_delay_alu instid0(VALU_DEP_1)
	v_cmpx_ne_u16_e32 0, v31
	s_cbranch_execz .LBB268_579
; %bb.572:                              ;   in Loop: Header=BB268_523 Depth=1
	v_mov_b32_e32 v30, 0x8000
	s_mov_b32 s15, exec_lo
	v_cmpx_ne_u16_e32 0x80, v31
	s_cbranch_execz .LBB268_578
; %bb.573:                              ;   in Loop: Header=BB268_523 Depth=1
	v_bfe_u32 v40, v25, 16, 7
	v_mov_b32_e32 v30, 0x7c01
	s_mov_b32 s16, exec_lo
	s_delay_alu instid0(VALU_DEP_2)
	v_cmpx_ne_u32_e32 0x7f, v40
	s_cbranch_execz .LBB268_577
; %bb.574:                              ;   in Loop: Header=BB268_523 Depth=1
	v_dual_lshrrev_b32 v31, 3, v40 :: v_dual_bitop2_b32 v30, 7, v10 bitop3:0x40
	s_mov_b32 s17, exec_lo
	v_cmpx_gt_u32_e32 8, v40
; %bb.575:                              ;   in Loop: Header=BB268_523 Depth=1
	s_delay_alu instid0(VALU_DEP_2) | instskip(NEXT) | instid1(VALU_DEP_1)
	v_clz_i32_u32_e32 v30, v30
	v_min_u32_e32 v40, 32, v30
	s_delay_alu instid0(VALU_DEP_1) | instskip(NEXT) | instid1(VALU_DEP_1)
	v_subrev_nc_u32_e32 v30, 28, v40
	v_lshlrev_b64_e32 v[30:31], v30, v[10:11]
	s_delay_alu instid0(VALU_DEP_1)
	v_dual_sub_nc_u32 v31, 29, v40 :: v_dual_bitop2_b32 v30, 7, v30 bitop3:0x40
; %bb.576:                              ;   in Loop: Header=BB268_523 Depth=1
	s_or_b32 exec_lo, exec_lo, s17
	v_lshlrev_b32_e32 v10, 8, v10
	s_delay_alu instid0(VALU_DEP_2) | instskip(NEXT) | instid1(VALU_DEP_3)
	v_lshl_add_u32 v31, v31, 10, 0x2000
	v_lshlrev_b32_e32 v30, 7, v30
	s_delay_alu instid0(VALU_DEP_3) | instskip(NEXT) | instid1(VALU_DEP_3)
	v_and_b32_e32 v10, 0x8000, v10
	v_and_b32_e32 v31, 0xfc00, v31
	s_delay_alu instid0(VALU_DEP_1)
	v_or3_b32 v30, v10, v31, v30
.LBB268_577:                            ;   in Loop: Header=BB268_523 Depth=1
	s_or_b32 exec_lo, exec_lo, s16
.LBB268_578:                            ;   in Loop: Header=BB268_523 Depth=1
	s_delay_alu instid0(SALU_CYCLE_1)
	s_or_b32 exec_lo, exec_lo, s15
.LBB268_579:                            ;   in Loop: Header=BB268_523 Depth=1
	s_delay_alu instid0(SALU_CYCLE_1)
	s_or_b32 exec_lo, exec_lo, s1
	v_cmp_lt_u64_e64 s0, s[4:5], v[24:25]
	v_mov_b32_e32 v24, 0
	s_and_saveexec_b32 s1, s0
	s_cbranch_execz .LBB268_587
; %bb.580:                              ;   in Loop: Header=BB268_523 Depth=1
	v_lshrrev_b32_e32 v10, 24, v25
	v_bfrev_b32_e32 v24, 1
	s_mov_b32 s15, exec_lo
	s_delay_alu instid0(VALU_DEP_2)
	v_cmpx_ne_u32_e32 0x80, v10
	s_cbranch_execz .LBB268_586
; %bb.581:                              ;   in Loop: Header=BB268_523 Depth=1
	v_and_b32_e32 v31, 0x7f, v10
	v_mov_b32_e32 v24, 0x7c010000
	s_mov_b32 s16, exec_lo
	s_delay_alu instid0(VALU_DEP_2)
	v_cmpx_ne_u32_e32 0x7f, v31
	s_cbranch_execz .LBB268_585
; %bb.582:                              ;   in Loop: Header=BB268_523 Depth=1
	v_dual_lshrrev_b32 v25, 3, v31 :: v_dual_bitop2_b32 v24, 7, v10 bitop3:0x40
	s_mov_b32 s17, exec_lo
	v_cmpx_gt_u32_e32 8, v31
; %bb.583:                              ;   in Loop: Header=BB268_523 Depth=1
	s_delay_alu instid0(VALU_DEP_2) | instskip(NEXT) | instid1(VALU_DEP_1)
	v_clz_i32_u32_e32 v24, v24
	v_min_u32_e32 v31, 32, v24
	s_delay_alu instid0(VALU_DEP_1) | instskip(NEXT) | instid1(VALU_DEP_1)
	v_subrev_nc_u32_e32 v24, 28, v31
	v_lshlrev_b64_e32 v[24:25], v24, v[10:11]
	s_delay_alu instid0(VALU_DEP_1)
	v_dual_sub_nc_u32 v25, 29, v31 :: v_dual_bitop2_b32 v24, 7, v24 bitop3:0x40
; %bb.584:                              ;   in Loop: Header=BB268_523 Depth=1
	s_or_b32 exec_lo, exec_lo, s17
	s_delay_alu instid0(VALU_DEP_1) | instskip(NEXT) | instid1(VALU_DEP_2)
	v_dual_lshlrev_b32 v10, 8, v10 :: v_dual_lshlrev_b32 v24, 23, v24
	v_lshl_add_u32 v25, v25, 10, 0x2000
	s_delay_alu instid0(VALU_DEP_1) | instskip(NEXT) | instid1(VALU_DEP_1)
	v_and_or_b32 v10, 0x8000, v10, v25
	v_lshl_or_b32 v24, v10, 16, v24
.LBB268_585:                            ;   in Loop: Header=BB268_523 Depth=1
	s_or_b32 exec_lo, exec_lo, s16
.LBB268_586:                            ;   in Loop: Header=BB268_523 Depth=1
	s_delay_alu instid0(SALU_CYCLE_1)
	s_or_b32 exec_lo, exec_lo, s15
.LBB268_587:                            ;   in Loop: Header=BB268_523 Depth=1
	s_delay_alu instid0(SALU_CYCLE_1) | instskip(SKIP_3) | instid1(VALU_DEP_3)
	s_or_b32 exec_lo, exec_lo, s1
	v_dual_lshrrev_b32 v10, 16, v26 :: v_dual_lshrrev_b32 v25, 16, v28
	v_or_b32_e32 v1, v26, v1
	v_dual_lshrrev_b32 v26, 16, v29 :: v_dual_bitop2_b32 v23, v28, v23 bitop3:0x54
	v_cvt_f32_f16_e32 v41, v10
	s_delay_alu instid0(VALU_DEP_4) | instskip(SKIP_1) | instid1(VALU_DEP_4)
	v_cvt_f32_f16_e32 v40, v25
	v_dual_lshrrev_b32 v28, 16, v24 :: v_dual_bitop2_b32 v10, v24, v30 bitop3:0x54
	v_cvt_f32_f16_e32 v24, v23
	v_cvt_f32_f16_e32 v25, v1
	s_wait_loadcnt 0x0
	v_pk_mul_f32 v[30:31], v[22:23], v[40:41] op_sel_hi:[0,1]
	v_or_b32_e32 v23, v29, v27
	v_cvt_f32_f16_e32 v27, v26
	v_cvt_f32_f16_e32 v26, v28
	;; [unrolled: 1-line block ×3, first 2 shown]
	v_cvt_pk_f16_f32 v1, v30, v31
	v_pk_mul_f32 v[24:25], v[22:23], v[24:25] op_sel_hi:[0,1]
	v_cmp_eq_u32_e64 s0, s8, v39
	s_delay_alu instid0(VALU_DEP_2) | instskip(NEXT) | instid1(VALU_DEP_4)
	v_cvt_pk_f16_f32 v10, v24, v25
	v_and_b32_e32 v25, 0xffff0000, v1
	s_delay_alu instid0(VALU_DEP_2) | instskip(SKIP_3) | instid1(VALU_DEP_3)
	v_lshrrev_b32_e32 v31, 16, v10
	v_cvt_f32_f16_e32 v29, v23
	v_pk_mul_f32 v[26:27], v[22:23], v[26:27] op_sel_hi:[0,1]
	v_and_b32_e32 v30, 0xffff, v10
	v_pk_mul_f32 v[28:29], v[22:23], v[28:29] op_sel_hi:[0,1]
	s_delay_alu instid0(VALU_DEP_3) | instskip(SKIP_1) | instid1(VALU_DEP_3)
	v_cvt_pk_f16_f32 v23, v26, v27
	v_lshlrev_b32_e32 v22, 16, v1
	v_cvt_pk_f16_f32 v24, v28, v29
	s_delay_alu instid0(VALU_DEP_3) | instskip(SKIP_2) | instid1(VALU_DEP_4)
	v_and_b32_e32 v1, 0xffff0000, v23
	v_lshlrev_b32_e32 v10, 16, v23
	v_or_b32_e32 v29, v25, v31
	v_dual_lshrrev_b32 v23, 16, v24 :: v_dual_bitop2_b32 v28, v22, v30 bitop3:0x54
	v_and_b32_e32 v24, 0xffff, v24
	s_delay_alu instid0(VALU_DEP_2) | instskip(NEXT) | instid1(VALU_DEP_2)
	v_or_b32_e32 v27, v1, v23
	v_or_b32_e32 v26, v10, v24
	s_and_saveexec_b32 s15, s0
	s_cbranch_execz .LBB268_589
; %bb.588:                              ;   in Loop: Header=BB268_523 Depth=1
	v_dual_add_nc_u32 v26, 2, v37 :: v_dual_bitop2_b32 v27, 1, v37 bitop3:0x54
	v_cmp_gt_i32_e64 s1, s14, v37
	s_delay_alu instid0(VALU_DEP_1) | instskip(NEXT) | instid1(VALU_DEP_3)
	v_dual_cndmask_b32 v29, 0, v31, s1 :: v_dual_bitop2_b32 v28, 3, v37 bitop3:0x54
	v_cmp_gt_i32_e64 s1, s23, v26
	s_delay_alu instid0(VALU_DEP_1) | instskip(SKIP_1) | instid1(VALU_DEP_1)
	v_dual_cndmask_b32 v26, 0, v30, s1 :: v_dual_bitop2_b32 v31, 7, v37 bitop3:0x54
	v_cmp_gt_i32_e64 s1, s14, v27
	v_cndmask_b32_e64 v25, 0, v25, s1
	v_cmp_gt_i32_e64 s1, s23, v28
	v_or_b32_e32 v27, 4, v37
	s_delay_alu instid0(VALU_DEP_2) | instskip(NEXT) | instid1(VALU_DEP_2)
	v_dual_cndmask_b32 v22, 0, v22, s1 :: v_dual_bitop2_b32 v29, v25, v29 bitop3:0x54
	v_cmp_gt_i32_e64 s1, s14, v27
	s_delay_alu instid0(VALU_DEP_1) | instskip(NEXT) | instid1(VALU_DEP_1)
	v_dual_cndmask_b32 v23, 0, v23, s1 :: v_dual_bitop2_b32 v28, 6, v37 bitop3:0x54
	v_cmp_gt_i32_e64 s1, s23, v28
	v_or_b32_e32 v30, 5, v37
	s_delay_alu instid0(VALU_DEP_2) | instskip(NEXT) | instid1(VALU_DEP_2)
	v_dual_cndmask_b32 v24, 0, v24, s1 :: v_dual_bitop2_b32 v28, v22, v26 bitop3:0x54
	v_cmp_gt_i32_e64 s1, s14, v30
	s_delay_alu instid0(VALU_DEP_1) | instskip(SKIP_1) | instid1(VALU_DEP_1)
	v_cndmask_b32_e64 v1, 0, v1, s1
	v_cmp_gt_i32_e64 s1, s23, v31
	v_dual_cndmask_b32 v10, 0, v10, s1 :: v_dual_bitop2_b32 v27, v1, v23 bitop3:0x54
	s_delay_alu instid0(VALU_DEP_1)
	v_or_b32_e32 v26, v10, v24
.LBB268_589:                            ;   in Loop: Header=BB268_523 Depth=1
	s_or_b32 exec_lo, exec_lo, s15
	v_and_b32_e32 v1, 0xffff, v45
	v_and_b32_e32 v10, 0xffff, v46
	;; [unrolled: 1-line block ×4, first 2 shown]
	s_mov_b32 s15, exec_lo
	v_lshl_or_b32 v47, v42, 16, v1
	;;#ASMSTART
	v_pk_mul_f16 v1, v47, v29;

	;;#ASMEND
	v_lshl_or_b32 v46, v43, 16, v10
	v_lshl_or_b32 v45, v44, 16, v22
	;; [unrolled: 1-line block ×3, first 2 shown]
	;;#ASMSTART
	v_pk_mul_f16 v10, v46, v28;

	;;#ASMEND
	;;#ASMSTART
	v_pk_mul_f16 v22, v45, v27;

	;;#ASMEND
	;; [unrolled: 4-line block ×3, first 2 shown]
	;;#ASMSTART
	v_pk_add_f16 v1, v1, v10;

	;;#ASMEND
	;;#ASMSTART
	v_pk_add_f16 v1, v1, v22;

	;;#ASMEND
	;; [unrolled: 4-line block ×3, first 2 shown]
	v_and_b32_e32 v10, 0xffff, v1
	v_dual_lshrrev_b32 v1, 16, v1 :: v_dual_mov_b32 v23, 0
	;;#ASMSTART
	v_cvt_f32_f16 v42, v10;
	;;#ASMEND
	;;#ASMSTART
	v_cvt_f32_f16 v43, v1;
	;;#ASMEND
	global_load_b64 v[24:25], v[20:21], off offset:256
	v_mov_b32_e32 v1, 0
	global_load_b32 v22, v1, s[10:11]
	s_wait_loadcnt 0x1
	v_and_b32_e32 v10, 0xff, v24
	s_wait_xcnt 0x0
	s_delay_alu instid0(VALU_DEP_1)
	v_cmpx_ne_u16_e32 0, v10
	s_cbranch_execz .LBB268_597
; %bb.590:                              ;   in Loop: Header=BB268_523 Depth=1
	v_mov_b32_e32 v23, 0x8000
	s_mov_b32 s16, exec_lo
	v_cmpx_ne_u16_e32 0x80, v10
	s_cbranch_execz .LBB268_596
; %bb.591:                              ;   in Loop: Header=BB268_523 Depth=1
	v_and_b32_e32 v26, 0x7f, v24
	v_mov_b32_e32 v23, 0x7c01
	s_mov_b32 s17, exec_lo
	s_delay_alu instid0(VALU_DEP_2)
	v_cmpx_ne_u32_e32 0x7f, v26
	s_cbranch_execz .LBB268_595
; %bb.592:                              ;   in Loop: Header=BB268_523 Depth=1
	v_dual_lshrrev_b32 v23, 3, v26 :: v_dual_bitop2_b32 v10, 7, v24 bitop3:0x40
	s_mov_b32 s18, exec_lo
	v_cmpx_gt_u32_e32 8, v26
; %bb.593:                              ;   in Loop: Header=BB268_523 Depth=1
	s_delay_alu instid0(VALU_DEP_2) | instskip(NEXT) | instid1(VALU_DEP_1)
	v_clz_i32_u32_e32 v10, v10
	v_min_u32_e32 v10, 32, v10
	s_delay_alu instid0(VALU_DEP_1) | instskip(NEXT) | instid1(VALU_DEP_1)
	v_subrev_nc_u32_e32 v23, 28, v10
	v_lshlrev_b64_e32 v[26:27], v23, v[24:25]
	v_sub_nc_u32_e32 v23, 29, v10
	s_delay_alu instid0(VALU_DEP_2)
	v_and_b32_e32 v10, 7, v26
; %bb.594:                              ;   in Loop: Header=BB268_523 Depth=1
	s_or_b32 exec_lo, exec_lo, s18
	s_delay_alu instid0(VALU_DEP_1) | instskip(NEXT) | instid1(VALU_DEP_3)
	v_dual_lshlrev_b32 v26, 8, v24 :: v_dual_lshlrev_b32 v10, 7, v10
	v_lshl_add_u32 v23, v23, 10, 0x2000
	s_delay_alu instid0(VALU_DEP_2) | instskip(NEXT) | instid1(VALU_DEP_2)
	v_and_b32_e32 v26, 0x8000, v26
	v_and_b32_e32 v23, 0xfc00, v23
	s_delay_alu instid0(VALU_DEP_1)
	v_or3_b32 v23, v26, v23, v10
.LBB268_595:                            ;   in Loop: Header=BB268_523 Depth=1
	s_or_b32 exec_lo, exec_lo, s17
.LBB268_596:                            ;   in Loop: Header=BB268_523 Depth=1
	s_delay_alu instid0(SALU_CYCLE_1)
	s_or_b32 exec_lo, exec_lo, s16
.LBB268_597:                            ;   in Loop: Header=BB268_523 Depth=1
	s_delay_alu instid0(SALU_CYCLE_1) | instskip(SKIP_2) | instid1(VALU_DEP_1)
	s_or_b32 exec_lo, exec_lo, s15
	v_lshrrev_b16 v10, 8, v24
	s_mov_b32 s15, exec_lo
	v_cmpx_ne_u16_e32 0, v10
	s_cbranch_execz .LBB268_605
; %bb.598:                              ;   in Loop: Header=BB268_523 Depth=1
	v_bfrev_b32_e32 v1, 1
	s_mov_b32 s16, exec_lo
	v_cmpx_ne_u16_e32 0x80, v10
	s_cbranch_execz .LBB268_604
; %bb.599:                              ;   in Loop: Header=BB268_523 Depth=1
	v_and_b32_e32 v26, 0xffff, v10
	v_mov_b32_e32 v1, 0x7c010000
	s_mov_b32 s17, exec_lo
	s_delay_alu instid0(VALU_DEP_2) | instskip(NEXT) | instid1(VALU_DEP_1)
	v_and_b32_e32 v28, 0x7f, v26
	v_cmpx_ne_u32_e32 0x7f, v28
	s_cbranch_execz .LBB268_603
; %bb.600:                              ;   in Loop: Header=BB268_523 Depth=1
	v_dual_lshrrev_b32 v27, 3, v28 :: v_dual_bitop2_b32 v1, 7, v26 bitop3:0x40
	s_mov_b32 s18, exec_lo
	v_cmpx_gt_u32_e32 8, v28
; %bb.601:                              ;   in Loop: Header=BB268_523 Depth=1
	s_delay_alu instid0(VALU_DEP_2) | instskip(NEXT) | instid1(VALU_DEP_1)
	v_clz_i32_u32_e32 v1, v1
	v_min_u32_e32 v1, 32, v1
	s_delay_alu instid0(VALU_DEP_1) | instskip(NEXT) | instid1(VALU_DEP_1)
	v_subrev_nc_u32_e32 v27, 28, v1
	v_lshlrev_b64_e32 v[28:29], v27, v[10:11]
	s_delay_alu instid0(VALU_DEP_1)
	v_dual_sub_nc_u32 v27, 29, v1 :: v_dual_bitop2_b32 v1, 7, v28 bitop3:0x40
; %bb.602:                              ;   in Loop: Header=BB268_523 Depth=1
	s_or_b32 exec_lo, exec_lo, s18
	s_delay_alu instid0(VALU_DEP_1) | instskip(NEXT) | instid1(VALU_DEP_2)
	v_dual_lshlrev_b32 v10, 8, v26 :: v_dual_lshlrev_b32 v1, 23, v1
	v_lshl_add_u32 v26, v27, 10, 0x2000
	s_delay_alu instid0(VALU_DEP_1) | instskip(NEXT) | instid1(VALU_DEP_1)
	v_and_or_b32 v10, 0x8000, v10, v26
	v_lshl_or_b32 v1, v10, 16, v1
.LBB268_603:                            ;   in Loop: Header=BB268_523 Depth=1
	s_or_b32 exec_lo, exec_lo, s17
.LBB268_604:                            ;   in Loop: Header=BB268_523 Depth=1
	s_delay_alu instid0(SALU_CYCLE_1)
	s_or_b32 exec_lo, exec_lo, s16
.LBB268_605:                            ;   in Loop: Header=BB268_523 Depth=1
	s_delay_alu instid0(SALU_CYCLE_1) | instskip(SKIP_3) | instid1(VALU_DEP_2)
	s_or_b32 exec_lo, exec_lo, s15
	v_dual_lshrrev_b32 v10, 16, v24 :: v_dual_mov_b32 v26, 0
	v_mov_b32_e32 v27, 0
	s_mov_b32 s15, exec_lo
	v_and_b32_e32 v28, 0xff, v10
	s_delay_alu instid0(VALU_DEP_1)
	v_cmpx_ne_u16_e32 0, v28
	s_cbranch_execz .LBB268_613
; %bb.606:                              ;   in Loop: Header=BB268_523 Depth=1
	v_mov_b32_e32 v27, 0x8000
	s_mov_b32 s16, exec_lo
	v_cmpx_ne_u16_e32 0x80, v28
	s_cbranch_execz .LBB268_612
; %bb.607:                              ;   in Loop: Header=BB268_523 Depth=1
	v_bfe_u32 v29, v24, 16, 7
	v_mov_b32_e32 v27, 0x7c01
	s_mov_b32 s17, exec_lo
	s_delay_alu instid0(VALU_DEP_2)
	v_cmpx_ne_u32_e32 0x7f, v29
	s_cbranch_execz .LBB268_611
; %bb.608:                              ;   in Loop: Header=BB268_523 Depth=1
	v_dual_lshrrev_b32 v28, 3, v29 :: v_dual_bitop2_b32 v27, 7, v10 bitop3:0x40
	s_mov_b32 s18, exec_lo
	v_cmpx_gt_u32_e32 8, v29
; %bb.609:                              ;   in Loop: Header=BB268_523 Depth=1
	s_delay_alu instid0(VALU_DEP_2) | instskip(NEXT) | instid1(VALU_DEP_1)
	v_clz_i32_u32_e32 v27, v27
	v_min_u32_e32 v27, 32, v27
	s_delay_alu instid0(VALU_DEP_1) | instskip(NEXT) | instid1(VALU_DEP_1)
	v_subrev_nc_u32_e32 v28, 28, v27
	v_lshlrev_b64_e32 v[30:31], v28, v[10:11]
	s_delay_alu instid0(VALU_DEP_1)
	v_dual_sub_nc_u32 v28, 29, v27 :: v_dual_bitop2_b32 v27, 7, v30 bitop3:0x40
; %bb.610:                              ;   in Loop: Header=BB268_523 Depth=1
	s_or_b32 exec_lo, exec_lo, s18
	s_delay_alu instid0(VALU_DEP_1) | instskip(NEXT) | instid1(VALU_DEP_2)
	v_dual_lshlrev_b32 v10, 8, v10 :: v_dual_lshlrev_b32 v27, 7, v27
	v_lshl_add_u32 v28, v28, 10, 0x2000
	s_delay_alu instid0(VALU_DEP_2) | instskip(NEXT) | instid1(VALU_DEP_2)
	v_and_b32_e32 v10, 0x8000, v10
	v_and_b32_e32 v28, 0xfc00, v28
	s_delay_alu instid0(VALU_DEP_1)
	v_or3_b32 v27, v10, v28, v27
.LBB268_611:                            ;   in Loop: Header=BB268_523 Depth=1
	s_or_b32 exec_lo, exec_lo, s17
.LBB268_612:                            ;   in Loop: Header=BB268_523 Depth=1
	s_delay_alu instid0(SALU_CYCLE_1)
	s_or_b32 exec_lo, exec_lo, s16
.LBB268_613:                            ;   in Loop: Header=BB268_523 Depth=1
	s_delay_alu instid0(SALU_CYCLE_1) | instskip(NEXT) | instid1(SALU_CYCLE_1)
	s_or_b32 exec_lo, exec_lo, s15
	s_mov_b32 s15, exec_lo
	v_cmpx_lt_u32_e32 0xffffff, v24
	s_cbranch_execz .LBB268_621
; %bb.614:                              ;   in Loop: Header=BB268_523 Depth=1
	v_lshrrev_b32_e32 v10, 24, v24
	v_bfrev_b32_e32 v26, 1
	s_mov_b32 s16, exec_lo
	s_delay_alu instid0(VALU_DEP_2)
	v_cmpx_ne_u32_e32 0x80, v10
	s_cbranch_execz .LBB268_620
; %bb.615:                              ;   in Loop: Header=BB268_523 Depth=1
	v_and_b32_e32 v29, 0x7f, v10
	v_mov_b32_e32 v26, 0x7c010000
	s_mov_b32 s17, exec_lo
	s_delay_alu instid0(VALU_DEP_2)
	v_cmpx_ne_u32_e32 0x7f, v29
	s_cbranch_execz .LBB268_619
; %bb.616:                              ;   in Loop: Header=BB268_523 Depth=1
	v_dual_lshrrev_b32 v28, 3, v29 :: v_dual_bitop2_b32 v26, 7, v10 bitop3:0x40
	s_mov_b32 s18, exec_lo
	v_cmpx_gt_u32_e32 8, v29
; %bb.617:                              ;   in Loop: Header=BB268_523 Depth=1
	s_delay_alu instid0(VALU_DEP_2) | instskip(NEXT) | instid1(VALU_DEP_1)
	v_clz_i32_u32_e32 v26, v26
	v_min_u32_e32 v26, 32, v26
	s_delay_alu instid0(VALU_DEP_1) | instskip(NEXT) | instid1(VALU_DEP_1)
	v_subrev_nc_u32_e32 v28, 28, v26
	v_lshlrev_b64_e32 v[30:31], v28, v[10:11]
	v_sub_nc_u32_e32 v28, 29, v26
	s_delay_alu instid0(VALU_DEP_2)
	v_and_b32_e32 v26, 7, v30
; %bb.618:                              ;   in Loop: Header=BB268_523 Depth=1
	s_or_b32 exec_lo, exec_lo, s18
	v_lshlrev_b32_e32 v10, 8, v10
	s_delay_alu instid0(VALU_DEP_3) | instskip(NEXT) | instid1(VALU_DEP_3)
	v_lshl_add_u32 v28, v28, 10, 0x2000
	v_lshlrev_b32_e32 v26, 23, v26
	s_delay_alu instid0(VALU_DEP_2) | instskip(NEXT) | instid1(VALU_DEP_1)
	v_and_or_b32 v10, 0x8000, v10, v28
	v_lshl_or_b32 v26, v10, 16, v26
.LBB268_619:                            ;   in Loop: Header=BB268_523 Depth=1
	s_or_b32 exec_lo, exec_lo, s17
.LBB268_620:                            ;   in Loop: Header=BB268_523 Depth=1
	s_delay_alu instid0(SALU_CYCLE_1)
	s_or_b32 exec_lo, exec_lo, s16
.LBB268_621:                            ;   in Loop: Header=BB268_523 Depth=1
	s_delay_alu instid0(SALU_CYCLE_1) | instskip(SKIP_4) | instid1(VALU_DEP_3)
	s_or_b32 exec_lo, exec_lo, s15
	v_and_b32_e32 v30, 0xff, v25
	v_dual_mov_b32 v10, v25 :: v_dual_mov_b32 v29, 0
	v_mov_b32_e32 v28, 0
	s_mov_b32 s15, exec_lo
	v_cmpx_ne_u16_e32 0, v30
	s_cbranch_execz .LBB268_629
; %bb.622:                              ;   in Loop: Header=BB268_523 Depth=1
	v_mov_b32_e32 v28, 0x8000
	s_mov_b32 s16, exec_lo
	v_cmpx_ne_u16_e32 0x80, v30
	s_cbranch_execz .LBB268_628
; %bb.623:                              ;   in Loop: Header=BB268_523 Depth=1
	v_and_b32_e32 v31, 0x7f, v25
	v_mov_b32_e32 v28, 0x7c01
	s_mov_b32 s17, exec_lo
	s_delay_alu instid0(VALU_DEP_2)
	v_cmpx_ne_u32_e32 0x7f, v31
	s_cbranch_execz .LBB268_627
; %bb.624:                              ;   in Loop: Header=BB268_523 Depth=1
	v_dual_lshrrev_b32 v30, 3, v31 :: v_dual_bitop2_b32 v28, 7, v25 bitop3:0x40
	s_mov_b32 s18, exec_lo
	v_cmpx_gt_u32_e32 8, v31
; %bb.625:                              ;   in Loop: Header=BB268_523 Depth=1
	s_delay_alu instid0(VALU_DEP_2) | instskip(NEXT) | instid1(VALU_DEP_1)
	v_clz_i32_u32_e32 v28, v28
	v_min_u32_e32 v28, 32, v28
	s_delay_alu instid0(VALU_DEP_1) | instskip(NEXT) | instid1(VALU_DEP_1)
	v_subrev_nc_u32_e32 v30, 28, v28
	v_lshlrev_b64_e32 v[40:41], v30, v[10:11]
	v_sub_nc_u32_e32 v30, 29, v28
	s_delay_alu instid0(VALU_DEP_2)
	v_and_b32_e32 v28, 7, v40
; %bb.626:                              ;   in Loop: Header=BB268_523 Depth=1
	s_or_b32 exec_lo, exec_lo, s18
	s_delay_alu instid0(VALU_DEP_1) | instskip(NEXT) | instid1(VALU_DEP_3)
	v_dual_lshlrev_b32 v31, 8, v25 :: v_dual_lshlrev_b32 v28, 7, v28
	v_lshl_add_u32 v30, v30, 10, 0x2000
	s_delay_alu instid0(VALU_DEP_2) | instskip(NEXT) | instid1(VALU_DEP_2)
	v_and_b32_e32 v31, 0x8000, v31
	v_and_b32_e32 v30, 0xfc00, v30
	s_delay_alu instid0(VALU_DEP_1)
	v_or3_b32 v28, v31, v30, v28
.LBB268_627:                            ;   in Loop: Header=BB268_523 Depth=1
	s_or_b32 exec_lo, exec_lo, s17
.LBB268_628:                            ;   in Loop: Header=BB268_523 Depth=1
	s_delay_alu instid0(SALU_CYCLE_1)
	s_or_b32 exec_lo, exec_lo, s16
.LBB268_629:                            ;   in Loop: Header=BB268_523 Depth=1
	s_delay_alu instid0(SALU_CYCLE_1) | instskip(SKIP_3) | instid1(VALU_DEP_2)
	s_or_b32 exec_lo, exec_lo, s15
	v_lshrrev_b16 v10, 8, v10
	v_mov_b32_e32 v30, 0
	s_mov_b32 s15, exec_lo
	v_cmpx_ne_u16_e32 0, v10
	s_cbranch_execz .LBB268_637
; %bb.630:                              ;   in Loop: Header=BB268_523 Depth=1
	v_bfrev_b32_e32 v30, 1
	s_mov_b32 s16, exec_lo
	v_cmpx_ne_u16_e32 0x80, v10
	s_cbranch_execz .LBB268_636
; %bb.631:                              ;   in Loop: Header=BB268_523 Depth=1
	v_and_b32_e32 v31, 0xffff, v10
	v_mov_b32_e32 v30, 0x7c010000
	s_mov_b32 s17, exec_lo
	s_delay_alu instid0(VALU_DEP_2) | instskip(NEXT) | instid1(VALU_DEP_1)
	v_and_b32_e32 v41, 0x7f, v31
	v_cmpx_ne_u32_e32 0x7f, v41
	s_cbranch_execz .LBB268_635
; %bb.632:                              ;   in Loop: Header=BB268_523 Depth=1
	v_dual_lshrrev_b32 v40, 3, v41 :: v_dual_bitop2_b32 v30, 7, v31 bitop3:0x40
	s_mov_b32 s18, exec_lo
	v_cmpx_gt_u32_e32 8, v41
; %bb.633:                              ;   in Loop: Header=BB268_523 Depth=1
	s_delay_alu instid0(VALU_DEP_2) | instskip(NEXT) | instid1(VALU_DEP_1)
	v_clz_i32_u32_e32 v30, v30
	v_min_u32_e32 v30, 32, v30
	s_delay_alu instid0(VALU_DEP_1) | instskip(NEXT) | instid1(VALU_DEP_1)
	v_subrev_nc_u32_e32 v40, 28, v30
	v_lshlrev_b64_e32 v[48:49], v40, v[10:11]
	s_delay_alu instid0(VALU_DEP_1)
	v_dual_sub_nc_u32 v40, 29, v30 :: v_dual_bitop2_b32 v30, 7, v48 bitop3:0x40
; %bb.634:                              ;   in Loop: Header=BB268_523 Depth=1
	s_or_b32 exec_lo, exec_lo, s18
	s_delay_alu instid0(VALU_DEP_1) | instskip(NEXT) | instid1(VALU_DEP_2)
	v_dual_lshlrev_b32 v10, 8, v31 :: v_dual_lshlrev_b32 v30, 23, v30
	v_lshl_add_u32 v31, v40, 10, 0x2000
	s_delay_alu instid0(VALU_DEP_1) | instskip(NEXT) | instid1(VALU_DEP_1)
	v_and_or_b32 v10, 0x8000, v10, v31
	v_lshl_or_b32 v30, v10, 16, v30
.LBB268_635:                            ;   in Loop: Header=BB268_523 Depth=1
	s_or_b32 exec_lo, exec_lo, s17
.LBB268_636:                            ;   in Loop: Header=BB268_523 Depth=1
	s_delay_alu instid0(SALU_CYCLE_1)
	s_or_b32 exec_lo, exec_lo, s16
.LBB268_637:                            ;   in Loop: Header=BB268_523 Depth=1
	s_delay_alu instid0(SALU_CYCLE_1) | instskip(SKIP_2) | instid1(VALU_DEP_1)
	s_or_b32 exec_lo, exec_lo, s15
	v_lshrrev_b32_e32 v10, 16, v25
	s_mov_b32 s15, exec_lo
	v_and_b32_e32 v31, 0xff, v10
	s_delay_alu instid0(VALU_DEP_1)
	v_cmpx_ne_u16_e32 0, v31
	s_cbranch_execz .LBB268_645
; %bb.638:                              ;   in Loop: Header=BB268_523 Depth=1
	v_mov_b32_e32 v29, 0x8000
	s_mov_b32 s16, exec_lo
	v_cmpx_ne_u16_e32 0x80, v31
	s_cbranch_execz .LBB268_644
; %bb.639:                              ;   in Loop: Header=BB268_523 Depth=1
	v_bfe_u32 v40, v25, 16, 7
	v_mov_b32_e32 v29, 0x7c01
	s_mov_b32 s17, exec_lo
	s_delay_alu instid0(VALU_DEP_2)
	v_cmpx_ne_u32_e32 0x7f, v40
	s_cbranch_execz .LBB268_643
; %bb.640:                              ;   in Loop: Header=BB268_523 Depth=1
	v_dual_lshrrev_b32 v31, 3, v40 :: v_dual_bitop2_b32 v29, 7, v10 bitop3:0x40
	s_mov_b32 s18, exec_lo
	v_cmpx_gt_u32_e32 8, v40
; %bb.641:                              ;   in Loop: Header=BB268_523 Depth=1
	s_delay_alu instid0(VALU_DEP_2) | instskip(NEXT) | instid1(VALU_DEP_1)
	v_clz_i32_u32_e32 v29, v29
	v_min_u32_e32 v29, 32, v29
	s_delay_alu instid0(VALU_DEP_1) | instskip(NEXT) | instid1(VALU_DEP_1)
	v_subrev_nc_u32_e32 v31, 28, v29
	v_lshlrev_b64_e32 v[40:41], v31, v[10:11]
	s_delay_alu instid0(VALU_DEP_1)
	v_dual_sub_nc_u32 v31, 29, v29 :: v_dual_bitop2_b32 v29, 7, v40 bitop3:0x40
; %bb.642:                              ;   in Loop: Header=BB268_523 Depth=1
	s_or_b32 exec_lo, exec_lo, s18
	s_delay_alu instid0(VALU_DEP_1) | instskip(NEXT) | instid1(VALU_DEP_2)
	v_dual_lshlrev_b32 v10, 8, v10 :: v_dual_lshlrev_b32 v29, 7, v29
	v_lshl_add_u32 v31, v31, 10, 0x2000
	s_delay_alu instid0(VALU_DEP_2) | instskip(NEXT) | instid1(VALU_DEP_2)
	v_and_b32_e32 v10, 0x8000, v10
	v_and_b32_e32 v31, 0xfc00, v31
	s_delay_alu instid0(VALU_DEP_1)
	v_or3_b32 v29, v10, v31, v29
.LBB268_643:                            ;   in Loop: Header=BB268_523 Depth=1
	s_or_b32 exec_lo, exec_lo, s17
.LBB268_644:                            ;   in Loop: Header=BB268_523 Depth=1
	s_delay_alu instid0(SALU_CYCLE_1)
	s_or_b32 exec_lo, exec_lo, s16
.LBB268_645:                            ;   in Loop: Header=BB268_523 Depth=1
	s_delay_alu instid0(SALU_CYCLE_1)
	s_or_b32 exec_lo, exec_lo, s15
	v_cmp_lt_u64_e64 s1, s[4:5], v[24:25]
	v_mov_b32_e32 v24, 0
	s_and_saveexec_b32 s15, s1
	s_cbranch_execz .LBB268_653
; %bb.646:                              ;   in Loop: Header=BB268_523 Depth=1
	v_lshrrev_b32_e32 v10, 24, v25
	v_bfrev_b32_e32 v24, 1
	s_mov_b32 s16, exec_lo
	s_delay_alu instid0(VALU_DEP_2)
	v_cmpx_ne_u32_e32 0x80, v10
	s_cbranch_execz .LBB268_652
; %bb.647:                              ;   in Loop: Header=BB268_523 Depth=1
	v_and_b32_e32 v31, 0x7f, v10
	v_mov_b32_e32 v24, 0x7c010000
	s_mov_b32 s17, exec_lo
	s_delay_alu instid0(VALU_DEP_2)
	v_cmpx_ne_u32_e32 0x7f, v31
	s_cbranch_execz .LBB268_651
; %bb.648:                              ;   in Loop: Header=BB268_523 Depth=1
	v_dual_lshrrev_b32 v25, 3, v31 :: v_dual_bitop2_b32 v24, 7, v10 bitop3:0x40
	s_mov_b32 s18, exec_lo
	v_cmpx_gt_u32_e32 8, v31
; %bb.649:                              ;   in Loop: Header=BB268_523 Depth=1
	s_delay_alu instid0(VALU_DEP_2) | instskip(NEXT) | instid1(VALU_DEP_1)
	v_clz_i32_u32_e32 v24, v24
	v_min_u32_e32 v31, 32, v24
	s_delay_alu instid0(VALU_DEP_1) | instskip(NEXT) | instid1(VALU_DEP_1)
	v_subrev_nc_u32_e32 v24, 28, v31
	v_lshlrev_b64_e32 v[24:25], v24, v[10:11]
	s_delay_alu instid0(VALU_DEP_1)
	v_dual_sub_nc_u32 v25, 29, v31 :: v_dual_bitop2_b32 v24, 7, v24 bitop3:0x40
; %bb.650:                              ;   in Loop: Header=BB268_523 Depth=1
	s_or_b32 exec_lo, exec_lo, s18
	s_delay_alu instid0(VALU_DEP_1) | instskip(NEXT) | instid1(VALU_DEP_2)
	v_dual_lshlrev_b32 v10, 8, v10 :: v_dual_lshlrev_b32 v24, 23, v24
	v_lshl_add_u32 v25, v25, 10, 0x2000
	s_delay_alu instid0(VALU_DEP_1) | instskip(NEXT) | instid1(VALU_DEP_1)
	v_and_or_b32 v10, 0x8000, v10, v25
	v_lshl_or_b32 v24, v10, 16, v24
.LBB268_651:                            ;   in Loop: Header=BB268_523 Depth=1
	s_or_b32 exec_lo, exec_lo, s17
.LBB268_652:                            ;   in Loop: Header=BB268_523 Depth=1
	s_delay_alu instid0(SALU_CYCLE_1)
	s_or_b32 exec_lo, exec_lo, s16
.LBB268_653:                            ;   in Loop: Header=BB268_523 Depth=1
	s_delay_alu instid0(SALU_CYCLE_1) | instskip(SKIP_3) | instid1(VALU_DEP_3)
	s_or_b32 exec_lo, exec_lo, s15
	v_dual_lshrrev_b32 v10, 16, v1 :: v_dual_lshrrev_b32 v25, 16, v26
	v_or_b32_e32 v1, v1, v23
	v_dual_lshrrev_b32 v31, 16, v24 :: v_dual_bitop2_b32 v23, v26, v27 bitop3:0x54
	v_cvt_f32_f16_e32 v27, v10
	s_delay_alu instid0(VALU_DEP_4) | instskip(SKIP_1) | instid1(VALU_DEP_4)
	v_cvt_f32_f16_e32 v26, v25
	v_dual_lshrrev_b32 v29, 16, v30 :: v_dual_bitop2_b32 v10, v24, v29 bitop3:0x54
	v_cvt_f32_f16_e32 v24, v23
	v_cvt_f32_f16_e32 v25, v1
	s_wait_loadcnt 0x0
	v_pk_mul_f32 v[26:27], v[22:23], v[26:27] op_sel_hi:[0,1]
	v_cvt_f32_f16_e32 v29, v29
	s_delay_alu instid0(VALU_DEP_2) | instskip(SKIP_3) | instid1(VALU_DEP_3)
	v_cvt_pk_f16_f32 v1, v26, v27
	v_or_b32_e32 v23, v30, v28
	v_cvt_f32_f16_e32 v28, v31
	v_cvt_f32_f16_e32 v30, v10
	;; [unrolled: 1-line block ×3, first 2 shown]
	v_pk_mul_f32 v[24:25], v[22:23], v[24:25] op_sel_hi:[0,1]
	s_delay_alu instid0(VALU_DEP_4) | instskip(NEXT) | instid1(VALU_DEP_3)
	v_pk_mul_f32 v[26:27], v[22:23], v[28:29] op_sel_hi:[0,1]
	v_pk_mul_f32 v[28:29], v[22:23], v[30:31] op_sel_hi:[0,1]
	s_delay_alu instid0(VALU_DEP_3) | instskip(NEXT) | instid1(VALU_DEP_3)
	v_cvt_pk_f16_f32 v10, v24, v25
	v_cvt_pk_f16_f32 v23, v26, v27
	v_and_b32_e32 v25, 0xffff0000, v1
	v_lshlrev_b32_e32 v22, 16, v1
	v_cvt_pk_f16_f32 v24, v28, v29
	v_lshrrev_b32_e32 v27, 16, v10
	v_and_b32_e32 v26, 0xffff, v10
	v_and_b32_e32 v1, 0xffff0000, v23
	s_delay_alu instid0(VALU_DEP_4) | instskip(SKIP_3) | instid1(VALU_DEP_4)
	v_dual_lshlrev_b32 v10, 16, v23 :: v_dual_lshrrev_b32 v23, 16, v24
	v_and_b32_e32 v24, 0xffff, v24
	v_or_b32_e32 v31, v25, v27
	v_or_b32_e32 v30, v22, v26
	;; [unrolled: 1-line block ×3, first 2 shown]
	s_delay_alu instid0(VALU_DEP_4)
	v_or_b32_e32 v28, v10, v24
	s_and_saveexec_b32 s15, s0
	s_cbranch_execz .LBB268_655
; %bb.654:                              ;   in Loop: Header=BB268_523 Depth=1
	v_dual_add_nc_u32 v28, 2, v37 :: v_dual_bitop2_b32 v29, 1, v37 bitop3:0x54
	v_cmp_gt_i32_e64 s1, s14, v37
	v_or_b32_e32 v30, 3, v37
	s_delay_alu instid0(VALU_DEP_2) | instskip(NEXT) | instid1(VALU_DEP_4)
	v_dual_cndmask_b32 v27, 0, v27, s1 :: v_dual_bitop2_b32 v31, 7, v37 bitop3:0x54
	v_cmp_gt_i32_e64 s1, s23, v28
	s_delay_alu instid0(VALU_DEP_1) | instskip(SKIP_1) | instid1(VALU_DEP_1)
	v_cndmask_b32_e64 v26, 0, v26, s1
	v_cmp_gt_i32_e64 s1, s14, v29
	v_cndmask_b32_e64 v25, 0, v25, s1
	v_cmp_gt_i32_e64 s1, s23, v30
	s_delay_alu instid0(VALU_DEP_1) | instskip(NEXT) | instid1(VALU_DEP_1)
	v_dual_cndmask_b32 v22, 0, v22, s1 :: v_dual_bitop2_b32 v28, 4, v37 bitop3:0x54
	v_cmp_gt_i32_e64 s1, s14, v28
	s_delay_alu instid0(VALU_DEP_1) | instskip(NEXT) | instid1(VALU_DEP_1)
	v_dual_cndmask_b32 v23, 0, v23, s1 :: v_dual_bitop2_b32 v29, 6, v37 bitop3:0x54
	;; [unrolled: 3-line block ×3, first 2 shown]
	v_cmp_gt_i32_e64 s1, s14, v30
	s_delay_alu instid0(VALU_DEP_1) | instskip(SKIP_2) | instid1(VALU_DEP_2)
	v_dual_cndmask_b32 v1, 0, v1, s1 :: v_dual_bitop2_b32 v30, v22, v26 bitop3:0x54
	v_cmp_gt_i32_e64 s1, s23, v31
	v_or_b32_e32 v31, v25, v27
	v_dual_cndmask_b32 v10, 0, v10, s1 :: v_dual_bitop2_b32 v29, v1, v23 bitop3:0x54
	s_delay_alu instid0(VALU_DEP_1)
	v_or_b32_e32 v28, v10, v24
.LBB268_655:                            ;   in Loop: Header=BB268_523 Depth=1
	s_or_b32 exec_lo, exec_lo, s15
	;;#ASMSTART
	v_pk_mul_f16 v1, v47, v31;

	;;#ASMEND
	;;#ASMSTART
	v_pk_mul_f16 v10, v46, v30;

	;;#ASMEND
	;; [unrolled: 4-line block ×4, first 2 shown]
	;;#ASMSTART
	v_pk_add_f16 v1, v1, v10;

	;;#ASMEND
	;;#ASMSTART
	v_pk_add_f16 v1, v1, v22;

	;;#ASMEND
	;; [unrolled: 4-line block ×3, first 2 shown]
	v_and_b32_e32 v10, 0xffff, v1
	v_dual_lshrrev_b32 v1, 16, v1 :: v_dual_mov_b32 v23, 0
	;;#ASMSTART
	v_cvt_f32_f16 v48, v10;
	;;#ASMEND
	;;#ASMSTART
	v_cvt_f32_f16 v49, v1;
	;;#ASMEND
	global_load_b64 v[24:25], v[20:21], off offset:512
	v_mov_b32_e32 v1, 0
	s_mov_b32 s15, exec_lo
	global_load_b32 v22, v1, s[10:11]
	s_wait_loadcnt 0x1
	v_and_b32_e32 v10, 0xff, v24
	s_wait_xcnt 0x0
	s_delay_alu instid0(VALU_DEP_1)
	v_cmpx_ne_u16_e32 0, v10
	s_cbranch_execz .LBB268_663
; %bb.656:                              ;   in Loop: Header=BB268_523 Depth=1
	v_mov_b32_e32 v23, 0x8000
	s_mov_b32 s16, exec_lo
	v_cmpx_ne_u16_e32 0x80, v10
	s_cbranch_execz .LBB268_662
; %bb.657:                              ;   in Loop: Header=BB268_523 Depth=1
	v_and_b32_e32 v26, 0x7f, v24
	v_mov_b32_e32 v23, 0x7c01
	s_mov_b32 s17, exec_lo
	s_delay_alu instid0(VALU_DEP_2)
	v_cmpx_ne_u32_e32 0x7f, v26
	s_cbranch_execz .LBB268_661
; %bb.658:                              ;   in Loop: Header=BB268_523 Depth=1
	v_dual_lshrrev_b32 v23, 3, v26 :: v_dual_bitop2_b32 v10, 7, v24 bitop3:0x40
	s_mov_b32 s18, exec_lo
	v_cmpx_gt_u32_e32 8, v26
; %bb.659:                              ;   in Loop: Header=BB268_523 Depth=1
	s_delay_alu instid0(VALU_DEP_2) | instskip(NEXT) | instid1(VALU_DEP_1)
	v_clz_i32_u32_e32 v10, v10
	v_min_u32_e32 v10, 32, v10
	s_delay_alu instid0(VALU_DEP_1) | instskip(NEXT) | instid1(VALU_DEP_1)
	v_subrev_nc_u32_e32 v23, 28, v10
	v_lshlrev_b64_e32 v[26:27], v23, v[24:25]
	v_sub_nc_u32_e32 v23, 29, v10
	s_delay_alu instid0(VALU_DEP_2)
	v_and_b32_e32 v10, 7, v26
; %bb.660:                              ;   in Loop: Header=BB268_523 Depth=1
	s_or_b32 exec_lo, exec_lo, s18
	s_delay_alu instid0(VALU_DEP_1) | instskip(NEXT) | instid1(VALU_DEP_3)
	v_dual_lshlrev_b32 v26, 8, v24 :: v_dual_lshlrev_b32 v10, 7, v10
	v_lshl_add_u32 v23, v23, 10, 0x2000
	s_delay_alu instid0(VALU_DEP_2) | instskip(NEXT) | instid1(VALU_DEP_2)
	v_and_b32_e32 v26, 0x8000, v26
	v_and_b32_e32 v23, 0xfc00, v23
	s_delay_alu instid0(VALU_DEP_1)
	v_or3_b32 v23, v26, v23, v10
.LBB268_661:                            ;   in Loop: Header=BB268_523 Depth=1
	s_or_b32 exec_lo, exec_lo, s17
.LBB268_662:                            ;   in Loop: Header=BB268_523 Depth=1
	s_delay_alu instid0(SALU_CYCLE_1)
	s_or_b32 exec_lo, exec_lo, s16
.LBB268_663:                            ;   in Loop: Header=BB268_523 Depth=1
	s_delay_alu instid0(SALU_CYCLE_1) | instskip(SKIP_2) | instid1(VALU_DEP_1)
	s_or_b32 exec_lo, exec_lo, s15
	v_lshrrev_b16 v10, 8, v24
	s_mov_b32 s15, exec_lo
	v_cmpx_ne_u16_e32 0, v10
	s_cbranch_execz .LBB268_671
; %bb.664:                              ;   in Loop: Header=BB268_523 Depth=1
	v_bfrev_b32_e32 v1, 1
	s_mov_b32 s16, exec_lo
	v_cmpx_ne_u16_e32 0x80, v10
	s_cbranch_execz .LBB268_670
; %bb.665:                              ;   in Loop: Header=BB268_523 Depth=1
	v_and_b32_e32 v26, 0xffff, v10
	v_mov_b32_e32 v1, 0x7c010000
	s_mov_b32 s17, exec_lo
	s_delay_alu instid0(VALU_DEP_2) | instskip(NEXT) | instid1(VALU_DEP_1)
	v_and_b32_e32 v28, 0x7f, v26
	v_cmpx_ne_u32_e32 0x7f, v28
	s_cbranch_execz .LBB268_669
; %bb.666:                              ;   in Loop: Header=BB268_523 Depth=1
	v_dual_lshrrev_b32 v27, 3, v28 :: v_dual_bitop2_b32 v1, 7, v26 bitop3:0x40
	s_mov_b32 s18, exec_lo
	v_cmpx_gt_u32_e32 8, v28
; %bb.667:                              ;   in Loop: Header=BB268_523 Depth=1
	s_delay_alu instid0(VALU_DEP_2) | instskip(NEXT) | instid1(VALU_DEP_1)
	v_clz_i32_u32_e32 v1, v1
	v_min_u32_e32 v1, 32, v1
	s_delay_alu instid0(VALU_DEP_1) | instskip(NEXT) | instid1(VALU_DEP_1)
	v_subrev_nc_u32_e32 v27, 28, v1
	v_lshlrev_b64_e32 v[28:29], v27, v[10:11]
	s_delay_alu instid0(VALU_DEP_1)
	v_dual_sub_nc_u32 v27, 29, v1 :: v_dual_bitop2_b32 v1, 7, v28 bitop3:0x40
; %bb.668:                              ;   in Loop: Header=BB268_523 Depth=1
	s_or_b32 exec_lo, exec_lo, s18
	s_delay_alu instid0(VALU_DEP_1) | instskip(NEXT) | instid1(VALU_DEP_2)
	v_dual_lshlrev_b32 v10, 8, v26 :: v_dual_lshlrev_b32 v1, 23, v1
	v_lshl_add_u32 v26, v27, 10, 0x2000
	s_delay_alu instid0(VALU_DEP_1) | instskip(NEXT) | instid1(VALU_DEP_1)
	v_and_or_b32 v10, 0x8000, v10, v26
	v_lshl_or_b32 v1, v10, 16, v1
.LBB268_669:                            ;   in Loop: Header=BB268_523 Depth=1
	s_or_b32 exec_lo, exec_lo, s17
.LBB268_670:                            ;   in Loop: Header=BB268_523 Depth=1
	s_delay_alu instid0(SALU_CYCLE_1)
	s_or_b32 exec_lo, exec_lo, s16
.LBB268_671:                            ;   in Loop: Header=BB268_523 Depth=1
	s_delay_alu instid0(SALU_CYCLE_1) | instskip(SKIP_3) | instid1(VALU_DEP_2)
	s_or_b32 exec_lo, exec_lo, s15
	v_dual_lshrrev_b32 v10, 16, v24 :: v_dual_mov_b32 v26, 0
	v_mov_b32_e32 v27, 0
	s_mov_b32 s15, exec_lo
	v_and_b32_e32 v28, 0xff, v10
	s_delay_alu instid0(VALU_DEP_1)
	v_cmpx_ne_u16_e32 0, v28
	s_cbranch_execz .LBB268_679
; %bb.672:                              ;   in Loop: Header=BB268_523 Depth=1
	v_mov_b32_e32 v27, 0x8000
	s_mov_b32 s16, exec_lo
	v_cmpx_ne_u16_e32 0x80, v28
	s_cbranch_execz .LBB268_678
; %bb.673:                              ;   in Loop: Header=BB268_523 Depth=1
	v_bfe_u32 v29, v24, 16, 7
	v_mov_b32_e32 v27, 0x7c01
	s_mov_b32 s17, exec_lo
	s_delay_alu instid0(VALU_DEP_2)
	v_cmpx_ne_u32_e32 0x7f, v29
	s_cbranch_execz .LBB268_677
; %bb.674:                              ;   in Loop: Header=BB268_523 Depth=1
	v_dual_lshrrev_b32 v28, 3, v29 :: v_dual_bitop2_b32 v27, 7, v10 bitop3:0x40
	s_mov_b32 s18, exec_lo
	v_cmpx_gt_u32_e32 8, v29
; %bb.675:                              ;   in Loop: Header=BB268_523 Depth=1
	s_delay_alu instid0(VALU_DEP_2) | instskip(NEXT) | instid1(VALU_DEP_1)
	v_clz_i32_u32_e32 v27, v27
	v_min_u32_e32 v27, 32, v27
	s_delay_alu instid0(VALU_DEP_1) | instskip(NEXT) | instid1(VALU_DEP_1)
	v_subrev_nc_u32_e32 v28, 28, v27
	v_lshlrev_b64_e32 v[30:31], v28, v[10:11]
	s_delay_alu instid0(VALU_DEP_1)
	v_dual_sub_nc_u32 v28, 29, v27 :: v_dual_bitop2_b32 v27, 7, v30 bitop3:0x40
; %bb.676:                              ;   in Loop: Header=BB268_523 Depth=1
	s_or_b32 exec_lo, exec_lo, s18
	s_delay_alu instid0(VALU_DEP_1) | instskip(NEXT) | instid1(VALU_DEP_2)
	v_dual_lshlrev_b32 v10, 8, v10 :: v_dual_lshlrev_b32 v27, 7, v27
	v_lshl_add_u32 v28, v28, 10, 0x2000
	s_delay_alu instid0(VALU_DEP_2) | instskip(NEXT) | instid1(VALU_DEP_2)
	v_and_b32_e32 v10, 0x8000, v10
	v_and_b32_e32 v28, 0xfc00, v28
	s_delay_alu instid0(VALU_DEP_1)
	v_or3_b32 v27, v10, v28, v27
.LBB268_677:                            ;   in Loop: Header=BB268_523 Depth=1
	s_or_b32 exec_lo, exec_lo, s17
.LBB268_678:                            ;   in Loop: Header=BB268_523 Depth=1
	s_delay_alu instid0(SALU_CYCLE_1)
	s_or_b32 exec_lo, exec_lo, s16
.LBB268_679:                            ;   in Loop: Header=BB268_523 Depth=1
	s_delay_alu instid0(SALU_CYCLE_1) | instskip(NEXT) | instid1(SALU_CYCLE_1)
	s_or_b32 exec_lo, exec_lo, s15
	s_mov_b32 s15, exec_lo
	v_cmpx_lt_u32_e32 0xffffff, v24
	s_cbranch_execz .LBB268_687
; %bb.680:                              ;   in Loop: Header=BB268_523 Depth=1
	v_lshrrev_b32_e32 v10, 24, v24
	v_bfrev_b32_e32 v26, 1
	s_mov_b32 s16, exec_lo
	s_delay_alu instid0(VALU_DEP_2)
	v_cmpx_ne_u32_e32 0x80, v10
	s_cbranch_execz .LBB268_686
; %bb.681:                              ;   in Loop: Header=BB268_523 Depth=1
	v_and_b32_e32 v29, 0x7f, v10
	v_mov_b32_e32 v26, 0x7c010000
	s_mov_b32 s17, exec_lo
	s_delay_alu instid0(VALU_DEP_2)
	v_cmpx_ne_u32_e32 0x7f, v29
	s_cbranch_execz .LBB268_685
; %bb.682:                              ;   in Loop: Header=BB268_523 Depth=1
	v_dual_lshrrev_b32 v28, 3, v29 :: v_dual_bitop2_b32 v26, 7, v10 bitop3:0x40
	s_mov_b32 s18, exec_lo
	v_cmpx_gt_u32_e32 8, v29
; %bb.683:                              ;   in Loop: Header=BB268_523 Depth=1
	s_delay_alu instid0(VALU_DEP_2) | instskip(NEXT) | instid1(VALU_DEP_1)
	v_clz_i32_u32_e32 v26, v26
	v_min_u32_e32 v26, 32, v26
	s_delay_alu instid0(VALU_DEP_1) | instskip(NEXT) | instid1(VALU_DEP_1)
	v_subrev_nc_u32_e32 v28, 28, v26
	v_lshlrev_b64_e32 v[30:31], v28, v[10:11]
	v_sub_nc_u32_e32 v28, 29, v26
	s_delay_alu instid0(VALU_DEP_2)
	v_and_b32_e32 v26, 7, v30
; %bb.684:                              ;   in Loop: Header=BB268_523 Depth=1
	s_or_b32 exec_lo, exec_lo, s18
	v_lshlrev_b32_e32 v10, 8, v10
	s_delay_alu instid0(VALU_DEP_3) | instskip(NEXT) | instid1(VALU_DEP_3)
	v_lshl_add_u32 v28, v28, 10, 0x2000
	v_lshlrev_b32_e32 v26, 23, v26
	s_delay_alu instid0(VALU_DEP_2) | instskip(NEXT) | instid1(VALU_DEP_1)
	v_and_or_b32 v10, 0x8000, v10, v28
	v_lshl_or_b32 v26, v10, 16, v26
.LBB268_685:                            ;   in Loop: Header=BB268_523 Depth=1
	s_or_b32 exec_lo, exec_lo, s17
.LBB268_686:                            ;   in Loop: Header=BB268_523 Depth=1
	s_delay_alu instid0(SALU_CYCLE_1)
	s_or_b32 exec_lo, exec_lo, s16
.LBB268_687:                            ;   in Loop: Header=BB268_523 Depth=1
	s_delay_alu instid0(SALU_CYCLE_1) | instskip(SKIP_4) | instid1(VALU_DEP_3)
	s_or_b32 exec_lo, exec_lo, s15
	v_and_b32_e32 v30, 0xff, v25
	v_dual_mov_b32 v10, v25 :: v_dual_mov_b32 v29, 0
	v_mov_b32_e32 v28, 0
	s_mov_b32 s15, exec_lo
	v_cmpx_ne_u16_e32 0, v30
	s_cbranch_execz .LBB268_695
; %bb.688:                              ;   in Loop: Header=BB268_523 Depth=1
	v_mov_b32_e32 v28, 0x8000
	s_mov_b32 s16, exec_lo
	v_cmpx_ne_u16_e32 0x80, v30
	s_cbranch_execz .LBB268_694
; %bb.689:                              ;   in Loop: Header=BB268_523 Depth=1
	v_and_b32_e32 v31, 0x7f, v25
	v_mov_b32_e32 v28, 0x7c01
	s_mov_b32 s17, exec_lo
	s_delay_alu instid0(VALU_DEP_2)
	v_cmpx_ne_u32_e32 0x7f, v31
	s_cbranch_execz .LBB268_693
; %bb.690:                              ;   in Loop: Header=BB268_523 Depth=1
	v_dual_lshrrev_b32 v30, 3, v31 :: v_dual_bitop2_b32 v28, 7, v25 bitop3:0x40
	s_mov_b32 s18, exec_lo
	v_cmpx_gt_u32_e32 8, v31
; %bb.691:                              ;   in Loop: Header=BB268_523 Depth=1
	s_delay_alu instid0(VALU_DEP_2) | instskip(NEXT) | instid1(VALU_DEP_1)
	v_clz_i32_u32_e32 v28, v28
	v_min_u32_e32 v28, 32, v28
	s_delay_alu instid0(VALU_DEP_1) | instskip(NEXT) | instid1(VALU_DEP_1)
	v_subrev_nc_u32_e32 v30, 28, v28
	v_lshlrev_b64_e32 v[40:41], v30, v[10:11]
	v_sub_nc_u32_e32 v30, 29, v28
	s_delay_alu instid0(VALU_DEP_2)
	v_and_b32_e32 v28, 7, v40
; %bb.692:                              ;   in Loop: Header=BB268_523 Depth=1
	s_or_b32 exec_lo, exec_lo, s18
	s_delay_alu instid0(VALU_DEP_1) | instskip(NEXT) | instid1(VALU_DEP_3)
	v_dual_lshlrev_b32 v31, 8, v25 :: v_dual_lshlrev_b32 v28, 7, v28
	v_lshl_add_u32 v30, v30, 10, 0x2000
	s_delay_alu instid0(VALU_DEP_2) | instskip(NEXT) | instid1(VALU_DEP_2)
	v_and_b32_e32 v31, 0x8000, v31
	v_and_b32_e32 v30, 0xfc00, v30
	s_delay_alu instid0(VALU_DEP_1)
	v_or3_b32 v28, v31, v30, v28
.LBB268_693:                            ;   in Loop: Header=BB268_523 Depth=1
	s_or_b32 exec_lo, exec_lo, s17
.LBB268_694:                            ;   in Loop: Header=BB268_523 Depth=1
	s_delay_alu instid0(SALU_CYCLE_1)
	s_or_b32 exec_lo, exec_lo, s16
.LBB268_695:                            ;   in Loop: Header=BB268_523 Depth=1
	s_delay_alu instid0(SALU_CYCLE_1) | instskip(SKIP_3) | instid1(VALU_DEP_2)
	s_or_b32 exec_lo, exec_lo, s15
	v_lshrrev_b16 v10, 8, v10
	v_mov_b32_e32 v30, 0
	s_mov_b32 s15, exec_lo
	v_cmpx_ne_u16_e32 0, v10
	s_cbranch_execz .LBB268_703
; %bb.696:                              ;   in Loop: Header=BB268_523 Depth=1
	v_bfrev_b32_e32 v30, 1
	s_mov_b32 s16, exec_lo
	v_cmpx_ne_u16_e32 0x80, v10
	s_cbranch_execz .LBB268_702
; %bb.697:                              ;   in Loop: Header=BB268_523 Depth=1
	v_and_b32_e32 v31, 0xffff, v10
	v_mov_b32_e32 v30, 0x7c010000
	s_mov_b32 s17, exec_lo
	s_delay_alu instid0(VALU_DEP_2) | instskip(NEXT) | instid1(VALU_DEP_1)
	v_and_b32_e32 v41, 0x7f, v31
	v_cmpx_ne_u32_e32 0x7f, v41
	s_cbranch_execz .LBB268_701
; %bb.698:                              ;   in Loop: Header=BB268_523 Depth=1
	v_dual_lshrrev_b32 v40, 3, v41 :: v_dual_bitop2_b32 v30, 7, v31 bitop3:0x40
	s_mov_b32 s18, exec_lo
	v_cmpx_gt_u32_e32 8, v41
; %bb.699:                              ;   in Loop: Header=BB268_523 Depth=1
	s_delay_alu instid0(VALU_DEP_2) | instskip(NEXT) | instid1(VALU_DEP_1)
	v_clz_i32_u32_e32 v30, v30
	v_min_u32_e32 v30, 32, v30
	s_delay_alu instid0(VALU_DEP_1) | instskip(NEXT) | instid1(VALU_DEP_1)
	v_subrev_nc_u32_e32 v40, 28, v30
	v_lshlrev_b64_e32 v[50:51], v40, v[10:11]
	v_sub_nc_u32_e32 v40, 29, v30
	s_delay_alu instid0(VALU_DEP_2)
	v_and_b32_e32 v30, 7, v50
; %bb.700:                              ;   in Loop: Header=BB268_523 Depth=1
	s_or_b32 exec_lo, exec_lo, s18
	s_delay_alu instid0(VALU_DEP_1) | instskip(NEXT) | instid1(VALU_DEP_3)
	v_dual_lshlrev_b32 v10, 8, v31 :: v_dual_lshlrev_b32 v30, 23, v30
	v_lshl_add_u32 v31, v40, 10, 0x2000
	s_delay_alu instid0(VALU_DEP_1) | instskip(NEXT) | instid1(VALU_DEP_1)
	v_and_or_b32 v10, 0x8000, v10, v31
	v_lshl_or_b32 v30, v10, 16, v30
.LBB268_701:                            ;   in Loop: Header=BB268_523 Depth=1
	s_or_b32 exec_lo, exec_lo, s17
.LBB268_702:                            ;   in Loop: Header=BB268_523 Depth=1
	s_delay_alu instid0(SALU_CYCLE_1)
	s_or_b32 exec_lo, exec_lo, s16
.LBB268_703:                            ;   in Loop: Header=BB268_523 Depth=1
	s_delay_alu instid0(SALU_CYCLE_1) | instskip(SKIP_2) | instid1(VALU_DEP_1)
	s_or_b32 exec_lo, exec_lo, s15
	v_lshrrev_b32_e32 v10, 16, v25
	s_mov_b32 s15, exec_lo
	v_and_b32_e32 v31, 0xff, v10
	s_delay_alu instid0(VALU_DEP_1)
	v_cmpx_ne_u16_e32 0, v31
	s_cbranch_execz .LBB268_711
; %bb.704:                              ;   in Loop: Header=BB268_523 Depth=1
	v_mov_b32_e32 v29, 0x8000
	s_mov_b32 s16, exec_lo
	v_cmpx_ne_u16_e32 0x80, v31
	s_cbranch_execz .LBB268_710
; %bb.705:                              ;   in Loop: Header=BB268_523 Depth=1
	v_bfe_u32 v40, v25, 16, 7
	v_mov_b32_e32 v29, 0x7c01
	s_mov_b32 s17, exec_lo
	s_delay_alu instid0(VALU_DEP_2)
	v_cmpx_ne_u32_e32 0x7f, v40
	s_cbranch_execz .LBB268_709
; %bb.706:                              ;   in Loop: Header=BB268_523 Depth=1
	v_dual_lshrrev_b32 v31, 3, v40 :: v_dual_bitop2_b32 v29, 7, v10 bitop3:0x40
	s_mov_b32 s18, exec_lo
	v_cmpx_gt_u32_e32 8, v40
; %bb.707:                              ;   in Loop: Header=BB268_523 Depth=1
	s_delay_alu instid0(VALU_DEP_2) | instskip(NEXT) | instid1(VALU_DEP_1)
	v_clz_i32_u32_e32 v29, v29
	v_min_u32_e32 v29, 32, v29
	s_delay_alu instid0(VALU_DEP_1) | instskip(NEXT) | instid1(VALU_DEP_1)
	v_subrev_nc_u32_e32 v31, 28, v29
	v_lshlrev_b64_e32 v[40:41], v31, v[10:11]
	s_delay_alu instid0(VALU_DEP_1)
	v_dual_sub_nc_u32 v31, 29, v29 :: v_dual_bitop2_b32 v29, 7, v40 bitop3:0x40
; %bb.708:                              ;   in Loop: Header=BB268_523 Depth=1
	s_or_b32 exec_lo, exec_lo, s18
	s_delay_alu instid0(VALU_DEP_1) | instskip(NEXT) | instid1(VALU_DEP_2)
	v_dual_lshlrev_b32 v10, 8, v10 :: v_dual_lshlrev_b32 v29, 7, v29
	v_lshl_add_u32 v31, v31, 10, 0x2000
	s_delay_alu instid0(VALU_DEP_2) | instskip(NEXT) | instid1(VALU_DEP_2)
	v_and_b32_e32 v10, 0x8000, v10
	v_and_b32_e32 v31, 0xfc00, v31
	s_delay_alu instid0(VALU_DEP_1)
	v_or3_b32 v29, v10, v31, v29
.LBB268_709:                            ;   in Loop: Header=BB268_523 Depth=1
	s_or_b32 exec_lo, exec_lo, s17
.LBB268_710:                            ;   in Loop: Header=BB268_523 Depth=1
	s_delay_alu instid0(SALU_CYCLE_1)
	s_or_b32 exec_lo, exec_lo, s16
.LBB268_711:                            ;   in Loop: Header=BB268_523 Depth=1
	s_delay_alu instid0(SALU_CYCLE_1)
	s_or_b32 exec_lo, exec_lo, s15
	v_cmp_lt_u64_e64 s1, s[4:5], v[24:25]
	v_mov_b32_e32 v24, 0
	s_and_saveexec_b32 s15, s1
	s_cbranch_execz .LBB268_719
; %bb.712:                              ;   in Loop: Header=BB268_523 Depth=1
	v_lshrrev_b32_e32 v10, 24, v25
	v_bfrev_b32_e32 v24, 1
	s_mov_b32 s16, exec_lo
	s_delay_alu instid0(VALU_DEP_2)
	v_cmpx_ne_u32_e32 0x80, v10
	s_cbranch_execz .LBB268_718
; %bb.713:                              ;   in Loop: Header=BB268_523 Depth=1
	v_and_b32_e32 v31, 0x7f, v10
	v_mov_b32_e32 v24, 0x7c010000
	s_mov_b32 s17, exec_lo
	s_delay_alu instid0(VALU_DEP_2)
	v_cmpx_ne_u32_e32 0x7f, v31
	s_cbranch_execz .LBB268_717
; %bb.714:                              ;   in Loop: Header=BB268_523 Depth=1
	v_dual_lshrrev_b32 v25, 3, v31 :: v_dual_bitop2_b32 v24, 7, v10 bitop3:0x40
	s_mov_b32 s18, exec_lo
	v_cmpx_gt_u32_e32 8, v31
; %bb.715:                              ;   in Loop: Header=BB268_523 Depth=1
	s_delay_alu instid0(VALU_DEP_2) | instskip(NEXT) | instid1(VALU_DEP_1)
	v_clz_i32_u32_e32 v24, v24
	v_min_u32_e32 v31, 32, v24
	s_delay_alu instid0(VALU_DEP_1) | instskip(NEXT) | instid1(VALU_DEP_1)
	v_subrev_nc_u32_e32 v24, 28, v31
	v_lshlrev_b64_e32 v[24:25], v24, v[10:11]
	s_delay_alu instid0(VALU_DEP_1)
	v_dual_sub_nc_u32 v25, 29, v31 :: v_dual_bitop2_b32 v24, 7, v24 bitop3:0x40
; %bb.716:                              ;   in Loop: Header=BB268_523 Depth=1
	s_or_b32 exec_lo, exec_lo, s18
	s_delay_alu instid0(VALU_DEP_1) | instskip(NEXT) | instid1(VALU_DEP_2)
	v_dual_lshlrev_b32 v10, 8, v10 :: v_dual_lshlrev_b32 v24, 23, v24
	v_lshl_add_u32 v25, v25, 10, 0x2000
	s_delay_alu instid0(VALU_DEP_1) | instskip(NEXT) | instid1(VALU_DEP_1)
	v_and_or_b32 v10, 0x8000, v10, v25
	v_lshl_or_b32 v24, v10, 16, v24
.LBB268_717:                            ;   in Loop: Header=BB268_523 Depth=1
	s_or_b32 exec_lo, exec_lo, s17
.LBB268_718:                            ;   in Loop: Header=BB268_523 Depth=1
	s_delay_alu instid0(SALU_CYCLE_1)
	s_or_b32 exec_lo, exec_lo, s16
.LBB268_719:                            ;   in Loop: Header=BB268_523 Depth=1
	s_delay_alu instid0(SALU_CYCLE_1) | instskip(SKIP_3) | instid1(VALU_DEP_3)
	s_or_b32 exec_lo, exec_lo, s15
	v_dual_lshrrev_b32 v10, 16, v1 :: v_dual_lshrrev_b32 v25, 16, v26
	v_or_b32_e32 v1, v1, v23
	v_dual_lshrrev_b32 v31, 16, v24 :: v_dual_bitop2_b32 v23, v26, v27 bitop3:0x54
	v_cvt_f32_f16_e32 v27, v10
	s_delay_alu instid0(VALU_DEP_4) | instskip(SKIP_1) | instid1(VALU_DEP_4)
	v_cvt_f32_f16_e32 v26, v25
	v_dual_lshrrev_b32 v29, 16, v30 :: v_dual_bitop2_b32 v10, v24, v29 bitop3:0x54
	v_cvt_f32_f16_e32 v24, v23
	v_cvt_f32_f16_e32 v25, v1
	s_wait_loadcnt 0x0
	v_pk_mul_f32 v[26:27], v[22:23], v[26:27] op_sel_hi:[0,1]
	v_cvt_f32_f16_e32 v29, v29
	s_delay_alu instid0(VALU_DEP_2) | instskip(SKIP_3) | instid1(VALU_DEP_3)
	v_cvt_pk_f16_f32 v1, v26, v27
	v_or_b32_e32 v23, v30, v28
	v_cvt_f32_f16_e32 v28, v31
	v_cvt_f32_f16_e32 v30, v10
	;; [unrolled: 1-line block ×3, first 2 shown]
	v_pk_mul_f32 v[24:25], v[22:23], v[24:25] op_sel_hi:[0,1]
	s_delay_alu instid0(VALU_DEP_4) | instskip(NEXT) | instid1(VALU_DEP_3)
	v_pk_mul_f32 v[26:27], v[22:23], v[28:29] op_sel_hi:[0,1]
	v_pk_mul_f32 v[28:29], v[22:23], v[30:31] op_sel_hi:[0,1]
	s_delay_alu instid0(VALU_DEP_3) | instskip(NEXT) | instid1(VALU_DEP_3)
	v_cvt_pk_f16_f32 v10, v24, v25
	v_cvt_pk_f16_f32 v23, v26, v27
	v_and_b32_e32 v25, 0xffff0000, v1
	v_lshlrev_b32_e32 v22, 16, v1
	v_cvt_pk_f16_f32 v24, v28, v29
	v_lshrrev_b32_e32 v27, 16, v10
	v_and_b32_e32 v26, 0xffff, v10
	v_and_b32_e32 v1, 0xffff0000, v23
	s_delay_alu instid0(VALU_DEP_4) | instskip(SKIP_3) | instid1(VALU_DEP_4)
	v_dual_lshlrev_b32 v10, 16, v23 :: v_dual_lshrrev_b32 v23, 16, v24
	v_and_b32_e32 v24, 0xffff, v24
	v_or_b32_e32 v31, v25, v27
	v_or_b32_e32 v30, v22, v26
	;; [unrolled: 1-line block ×3, first 2 shown]
	s_delay_alu instid0(VALU_DEP_4)
	v_or_b32_e32 v28, v10, v24
	s_and_saveexec_b32 s15, s0
	s_cbranch_execz .LBB268_721
; %bb.720:                              ;   in Loop: Header=BB268_523 Depth=1
	v_dual_add_nc_u32 v28, 2, v37 :: v_dual_bitop2_b32 v29, 1, v37 bitop3:0x54
	v_cmp_gt_i32_e64 s1, s14, v37
	v_or_b32_e32 v30, 3, v37
	s_delay_alu instid0(VALU_DEP_2) | instskip(NEXT) | instid1(VALU_DEP_4)
	v_dual_cndmask_b32 v27, 0, v27, s1 :: v_dual_bitop2_b32 v31, 7, v37 bitop3:0x54
	v_cmp_gt_i32_e64 s1, s23, v28
	s_delay_alu instid0(VALU_DEP_1) | instskip(SKIP_1) | instid1(VALU_DEP_1)
	v_cndmask_b32_e64 v26, 0, v26, s1
	v_cmp_gt_i32_e64 s1, s14, v29
	v_cndmask_b32_e64 v25, 0, v25, s1
	v_cmp_gt_i32_e64 s1, s23, v30
	s_delay_alu instid0(VALU_DEP_1) | instskip(NEXT) | instid1(VALU_DEP_1)
	v_dual_cndmask_b32 v22, 0, v22, s1 :: v_dual_bitop2_b32 v28, 4, v37 bitop3:0x54
	v_cmp_gt_i32_e64 s1, s14, v28
	s_delay_alu instid0(VALU_DEP_1) | instskip(NEXT) | instid1(VALU_DEP_1)
	v_dual_cndmask_b32 v23, 0, v23, s1 :: v_dual_bitop2_b32 v29, 6, v37 bitop3:0x54
	;; [unrolled: 3-line block ×3, first 2 shown]
	v_cmp_gt_i32_e64 s1, s14, v30
	s_delay_alu instid0(VALU_DEP_1) | instskip(SKIP_2) | instid1(VALU_DEP_2)
	v_dual_cndmask_b32 v1, 0, v1, s1 :: v_dual_bitop2_b32 v30, v22, v26 bitop3:0x54
	v_cmp_gt_i32_e64 s1, s23, v31
	v_or_b32_e32 v31, v25, v27
	v_dual_cndmask_b32 v10, 0, v10, s1 :: v_dual_bitop2_b32 v29, v1, v23 bitop3:0x54
	s_delay_alu instid0(VALU_DEP_1)
	v_or_b32_e32 v28, v10, v24
.LBB268_721:                            ;   in Loop: Header=BB268_523 Depth=1
	s_or_b32 exec_lo, exec_lo, s15
	;;#ASMSTART
	v_pk_mul_f16 v1, v47, v31;

	;;#ASMEND
	;;#ASMSTART
	v_pk_mul_f16 v10, v46, v30;

	;;#ASMEND
	;; [unrolled: 4-line block ×4, first 2 shown]
	;;#ASMSTART
	v_pk_add_f16 v1, v1, v10;

	;;#ASMEND
	;;#ASMSTART
	v_pk_add_f16 v1, v1, v22;

	;;#ASMEND
	;;#ASMSTART
	v_pk_add_f16 v1, v1, v23;

	;;#ASMEND
	v_and_b32_e32 v10, 0xffff, v1
	v_dual_lshrrev_b32 v1, 16, v1 :: v_dual_mov_b32 v23, 0
	;;#ASMSTART
	v_cvt_f32_f16 v50, v10;
	;;#ASMEND
	;;#ASMSTART
	v_cvt_f32_f16 v51, v1;
	;;#ASMEND
	global_load_b64 v[24:25], v[20:21], off offset:768
	v_mov_b32_e32 v1, 0
	s_mov_b32 s15, exec_lo
	global_load_b32 v22, v1, s[10:11]
	s_wait_loadcnt 0x1
	v_and_b32_e32 v10, 0xff, v24
	s_wait_xcnt 0x0
	s_delay_alu instid0(VALU_DEP_1)
	v_cmpx_ne_u16_e32 0, v10
	s_cbranch_execz .LBB268_729
; %bb.722:                              ;   in Loop: Header=BB268_523 Depth=1
	v_mov_b32_e32 v23, 0x8000
	s_mov_b32 s16, exec_lo
	v_cmpx_ne_u16_e32 0x80, v10
	s_cbranch_execz .LBB268_728
; %bb.723:                              ;   in Loop: Header=BB268_523 Depth=1
	v_and_b32_e32 v26, 0x7f, v24
	v_mov_b32_e32 v23, 0x7c01
	s_mov_b32 s17, exec_lo
	s_delay_alu instid0(VALU_DEP_2)
	v_cmpx_ne_u32_e32 0x7f, v26
	s_cbranch_execz .LBB268_727
; %bb.724:                              ;   in Loop: Header=BB268_523 Depth=1
	v_dual_lshrrev_b32 v23, 3, v26 :: v_dual_bitop2_b32 v10, 7, v24 bitop3:0x40
	s_mov_b32 s18, exec_lo
	v_cmpx_gt_u32_e32 8, v26
; %bb.725:                              ;   in Loop: Header=BB268_523 Depth=1
	s_delay_alu instid0(VALU_DEP_2) | instskip(NEXT) | instid1(VALU_DEP_1)
	v_clz_i32_u32_e32 v10, v10
	v_min_u32_e32 v10, 32, v10
	s_delay_alu instid0(VALU_DEP_1) | instskip(NEXT) | instid1(VALU_DEP_1)
	v_subrev_nc_u32_e32 v23, 28, v10
	v_lshlrev_b64_e32 v[26:27], v23, v[24:25]
	v_sub_nc_u32_e32 v23, 29, v10
	s_delay_alu instid0(VALU_DEP_2)
	v_and_b32_e32 v10, 7, v26
; %bb.726:                              ;   in Loop: Header=BB268_523 Depth=1
	s_or_b32 exec_lo, exec_lo, s18
	s_delay_alu instid0(VALU_DEP_1) | instskip(NEXT) | instid1(VALU_DEP_3)
	v_dual_lshlrev_b32 v26, 8, v24 :: v_dual_lshlrev_b32 v10, 7, v10
	v_lshl_add_u32 v23, v23, 10, 0x2000
	s_delay_alu instid0(VALU_DEP_2) | instskip(NEXT) | instid1(VALU_DEP_2)
	v_and_b32_e32 v26, 0x8000, v26
	v_and_b32_e32 v23, 0xfc00, v23
	s_delay_alu instid0(VALU_DEP_1)
	v_or3_b32 v23, v26, v23, v10
.LBB268_727:                            ;   in Loop: Header=BB268_523 Depth=1
	s_or_b32 exec_lo, exec_lo, s17
.LBB268_728:                            ;   in Loop: Header=BB268_523 Depth=1
	s_delay_alu instid0(SALU_CYCLE_1)
	s_or_b32 exec_lo, exec_lo, s16
.LBB268_729:                            ;   in Loop: Header=BB268_523 Depth=1
	s_delay_alu instid0(SALU_CYCLE_1) | instskip(SKIP_2) | instid1(VALU_DEP_1)
	s_or_b32 exec_lo, exec_lo, s15
	v_lshrrev_b16 v10, 8, v24
	s_mov_b32 s15, exec_lo
	v_cmpx_ne_u16_e32 0, v10
	s_cbranch_execz .LBB268_737
; %bb.730:                              ;   in Loop: Header=BB268_523 Depth=1
	v_bfrev_b32_e32 v1, 1
	s_mov_b32 s16, exec_lo
	v_cmpx_ne_u16_e32 0x80, v10
	s_cbranch_execz .LBB268_736
; %bb.731:                              ;   in Loop: Header=BB268_523 Depth=1
	v_and_b32_e32 v26, 0xffff, v10
	v_mov_b32_e32 v1, 0x7c010000
	s_mov_b32 s17, exec_lo
	s_delay_alu instid0(VALU_DEP_2) | instskip(NEXT) | instid1(VALU_DEP_1)
	v_and_b32_e32 v28, 0x7f, v26
	v_cmpx_ne_u32_e32 0x7f, v28
	s_cbranch_execz .LBB268_735
; %bb.732:                              ;   in Loop: Header=BB268_523 Depth=1
	v_dual_lshrrev_b32 v27, 3, v28 :: v_dual_bitop2_b32 v1, 7, v26 bitop3:0x40
	s_mov_b32 s18, exec_lo
	v_cmpx_gt_u32_e32 8, v28
; %bb.733:                              ;   in Loop: Header=BB268_523 Depth=1
	s_delay_alu instid0(VALU_DEP_2) | instskip(NEXT) | instid1(VALU_DEP_1)
	v_clz_i32_u32_e32 v1, v1
	v_min_u32_e32 v1, 32, v1
	s_delay_alu instid0(VALU_DEP_1) | instskip(NEXT) | instid1(VALU_DEP_1)
	v_subrev_nc_u32_e32 v27, 28, v1
	v_lshlrev_b64_e32 v[28:29], v27, v[10:11]
	s_delay_alu instid0(VALU_DEP_1)
	v_dual_sub_nc_u32 v27, 29, v1 :: v_dual_bitop2_b32 v1, 7, v28 bitop3:0x40
; %bb.734:                              ;   in Loop: Header=BB268_523 Depth=1
	s_or_b32 exec_lo, exec_lo, s18
	s_delay_alu instid0(VALU_DEP_1) | instskip(NEXT) | instid1(VALU_DEP_2)
	v_dual_lshlrev_b32 v10, 8, v26 :: v_dual_lshlrev_b32 v1, 23, v1
	v_lshl_add_u32 v26, v27, 10, 0x2000
	s_delay_alu instid0(VALU_DEP_1) | instskip(NEXT) | instid1(VALU_DEP_1)
	v_and_or_b32 v10, 0x8000, v10, v26
	v_lshl_or_b32 v1, v10, 16, v1
.LBB268_735:                            ;   in Loop: Header=BB268_523 Depth=1
	s_or_b32 exec_lo, exec_lo, s17
.LBB268_736:                            ;   in Loop: Header=BB268_523 Depth=1
	s_delay_alu instid0(SALU_CYCLE_1)
	s_or_b32 exec_lo, exec_lo, s16
.LBB268_737:                            ;   in Loop: Header=BB268_523 Depth=1
	s_delay_alu instid0(SALU_CYCLE_1) | instskip(SKIP_3) | instid1(VALU_DEP_2)
	s_or_b32 exec_lo, exec_lo, s15
	v_dual_lshrrev_b32 v10, 16, v24 :: v_dual_mov_b32 v26, 0
	v_mov_b32_e32 v27, 0
	s_mov_b32 s15, exec_lo
	v_and_b32_e32 v28, 0xff, v10
	s_delay_alu instid0(VALU_DEP_1)
	v_cmpx_ne_u16_e32 0, v28
	s_cbranch_execz .LBB268_745
; %bb.738:                              ;   in Loop: Header=BB268_523 Depth=1
	v_mov_b32_e32 v27, 0x8000
	s_mov_b32 s16, exec_lo
	v_cmpx_ne_u16_e32 0x80, v28
	s_cbranch_execz .LBB268_744
; %bb.739:                              ;   in Loop: Header=BB268_523 Depth=1
	v_bfe_u32 v29, v24, 16, 7
	v_mov_b32_e32 v27, 0x7c01
	s_mov_b32 s17, exec_lo
	s_delay_alu instid0(VALU_DEP_2)
	v_cmpx_ne_u32_e32 0x7f, v29
	s_cbranch_execz .LBB268_743
; %bb.740:                              ;   in Loop: Header=BB268_523 Depth=1
	v_dual_lshrrev_b32 v28, 3, v29 :: v_dual_bitop2_b32 v27, 7, v10 bitop3:0x40
	s_mov_b32 s18, exec_lo
	v_cmpx_gt_u32_e32 8, v29
; %bb.741:                              ;   in Loop: Header=BB268_523 Depth=1
	s_delay_alu instid0(VALU_DEP_2) | instskip(NEXT) | instid1(VALU_DEP_1)
	v_clz_i32_u32_e32 v27, v27
	v_min_u32_e32 v27, 32, v27
	s_delay_alu instid0(VALU_DEP_1) | instskip(NEXT) | instid1(VALU_DEP_1)
	v_subrev_nc_u32_e32 v28, 28, v27
	v_lshlrev_b64_e32 v[30:31], v28, v[10:11]
	s_delay_alu instid0(VALU_DEP_1)
	v_dual_sub_nc_u32 v28, 29, v27 :: v_dual_bitop2_b32 v27, 7, v30 bitop3:0x40
; %bb.742:                              ;   in Loop: Header=BB268_523 Depth=1
	s_or_b32 exec_lo, exec_lo, s18
	s_delay_alu instid0(VALU_DEP_1) | instskip(NEXT) | instid1(VALU_DEP_2)
	v_dual_lshlrev_b32 v10, 8, v10 :: v_dual_lshlrev_b32 v27, 7, v27
	v_lshl_add_u32 v28, v28, 10, 0x2000
	s_delay_alu instid0(VALU_DEP_2) | instskip(NEXT) | instid1(VALU_DEP_2)
	v_and_b32_e32 v10, 0x8000, v10
	v_and_b32_e32 v28, 0xfc00, v28
	s_delay_alu instid0(VALU_DEP_1)
	v_or3_b32 v27, v10, v28, v27
.LBB268_743:                            ;   in Loop: Header=BB268_523 Depth=1
	s_or_b32 exec_lo, exec_lo, s17
.LBB268_744:                            ;   in Loop: Header=BB268_523 Depth=1
	s_delay_alu instid0(SALU_CYCLE_1)
	s_or_b32 exec_lo, exec_lo, s16
.LBB268_745:                            ;   in Loop: Header=BB268_523 Depth=1
	s_delay_alu instid0(SALU_CYCLE_1) | instskip(NEXT) | instid1(SALU_CYCLE_1)
	s_or_b32 exec_lo, exec_lo, s15
	s_mov_b32 s15, exec_lo
	v_cmpx_lt_u32_e32 0xffffff, v24
	s_cbranch_execz .LBB268_753
; %bb.746:                              ;   in Loop: Header=BB268_523 Depth=1
	v_lshrrev_b32_e32 v10, 24, v24
	v_bfrev_b32_e32 v26, 1
	s_mov_b32 s16, exec_lo
	s_delay_alu instid0(VALU_DEP_2)
	v_cmpx_ne_u32_e32 0x80, v10
	s_cbranch_execz .LBB268_752
; %bb.747:                              ;   in Loop: Header=BB268_523 Depth=1
	v_and_b32_e32 v29, 0x7f, v10
	v_mov_b32_e32 v26, 0x7c010000
	s_mov_b32 s17, exec_lo
	s_delay_alu instid0(VALU_DEP_2)
	v_cmpx_ne_u32_e32 0x7f, v29
	s_cbranch_execz .LBB268_751
; %bb.748:                              ;   in Loop: Header=BB268_523 Depth=1
	v_dual_lshrrev_b32 v28, 3, v29 :: v_dual_bitop2_b32 v26, 7, v10 bitop3:0x40
	s_mov_b32 s18, exec_lo
	v_cmpx_gt_u32_e32 8, v29
; %bb.749:                              ;   in Loop: Header=BB268_523 Depth=1
	s_delay_alu instid0(VALU_DEP_2) | instskip(NEXT) | instid1(VALU_DEP_1)
	v_clz_i32_u32_e32 v26, v26
	v_min_u32_e32 v26, 32, v26
	s_delay_alu instid0(VALU_DEP_1) | instskip(NEXT) | instid1(VALU_DEP_1)
	v_subrev_nc_u32_e32 v28, 28, v26
	v_lshlrev_b64_e32 v[30:31], v28, v[10:11]
	v_sub_nc_u32_e32 v28, 29, v26
	s_delay_alu instid0(VALU_DEP_2)
	v_and_b32_e32 v26, 7, v30
; %bb.750:                              ;   in Loop: Header=BB268_523 Depth=1
	s_or_b32 exec_lo, exec_lo, s18
	v_lshlrev_b32_e32 v10, 8, v10
	s_delay_alu instid0(VALU_DEP_3) | instskip(NEXT) | instid1(VALU_DEP_3)
	v_lshl_add_u32 v28, v28, 10, 0x2000
	v_lshlrev_b32_e32 v26, 23, v26
	s_delay_alu instid0(VALU_DEP_2) | instskip(NEXT) | instid1(VALU_DEP_1)
	v_and_or_b32 v10, 0x8000, v10, v28
	v_lshl_or_b32 v26, v10, 16, v26
.LBB268_751:                            ;   in Loop: Header=BB268_523 Depth=1
	s_or_b32 exec_lo, exec_lo, s17
.LBB268_752:                            ;   in Loop: Header=BB268_523 Depth=1
	s_delay_alu instid0(SALU_CYCLE_1)
	s_or_b32 exec_lo, exec_lo, s16
.LBB268_753:                            ;   in Loop: Header=BB268_523 Depth=1
	s_delay_alu instid0(SALU_CYCLE_1) | instskip(SKIP_4) | instid1(VALU_DEP_3)
	s_or_b32 exec_lo, exec_lo, s15
	v_and_b32_e32 v30, 0xff, v25
	v_dual_mov_b32 v10, v25 :: v_dual_mov_b32 v29, 0
	v_mov_b32_e32 v28, 0
	s_mov_b32 s15, exec_lo
	v_cmpx_ne_u16_e32 0, v30
	s_cbranch_execz .LBB268_761
; %bb.754:                              ;   in Loop: Header=BB268_523 Depth=1
	v_mov_b32_e32 v28, 0x8000
	s_mov_b32 s16, exec_lo
	v_cmpx_ne_u16_e32 0x80, v30
	s_cbranch_execz .LBB268_760
; %bb.755:                              ;   in Loop: Header=BB268_523 Depth=1
	v_and_b32_e32 v31, 0x7f, v25
	v_mov_b32_e32 v28, 0x7c01
	s_mov_b32 s17, exec_lo
	s_delay_alu instid0(VALU_DEP_2)
	v_cmpx_ne_u32_e32 0x7f, v31
	s_cbranch_execz .LBB268_759
; %bb.756:                              ;   in Loop: Header=BB268_523 Depth=1
	v_dual_lshrrev_b32 v30, 3, v31 :: v_dual_bitop2_b32 v28, 7, v25 bitop3:0x40
	s_mov_b32 s18, exec_lo
	v_cmpx_gt_u32_e32 8, v31
; %bb.757:                              ;   in Loop: Header=BB268_523 Depth=1
	s_delay_alu instid0(VALU_DEP_2) | instskip(NEXT) | instid1(VALU_DEP_1)
	v_clz_i32_u32_e32 v28, v28
	v_min_u32_e32 v28, 32, v28
	s_delay_alu instid0(VALU_DEP_1) | instskip(NEXT) | instid1(VALU_DEP_1)
	v_subrev_nc_u32_e32 v30, 28, v28
	v_lshlrev_b64_e32 v[40:41], v30, v[10:11]
	v_sub_nc_u32_e32 v30, 29, v28
	s_delay_alu instid0(VALU_DEP_2)
	v_and_b32_e32 v28, 7, v40
; %bb.758:                              ;   in Loop: Header=BB268_523 Depth=1
	s_or_b32 exec_lo, exec_lo, s18
	s_delay_alu instid0(VALU_DEP_1) | instskip(NEXT) | instid1(VALU_DEP_3)
	v_dual_lshlrev_b32 v31, 8, v25 :: v_dual_lshlrev_b32 v28, 7, v28
	v_lshl_add_u32 v30, v30, 10, 0x2000
	s_delay_alu instid0(VALU_DEP_2) | instskip(NEXT) | instid1(VALU_DEP_2)
	v_and_b32_e32 v31, 0x8000, v31
	v_and_b32_e32 v30, 0xfc00, v30
	s_delay_alu instid0(VALU_DEP_1)
	v_or3_b32 v28, v31, v30, v28
.LBB268_759:                            ;   in Loop: Header=BB268_523 Depth=1
	s_or_b32 exec_lo, exec_lo, s17
.LBB268_760:                            ;   in Loop: Header=BB268_523 Depth=1
	s_delay_alu instid0(SALU_CYCLE_1)
	s_or_b32 exec_lo, exec_lo, s16
.LBB268_761:                            ;   in Loop: Header=BB268_523 Depth=1
	s_delay_alu instid0(SALU_CYCLE_1) | instskip(SKIP_3) | instid1(VALU_DEP_2)
	s_or_b32 exec_lo, exec_lo, s15
	v_lshrrev_b16 v10, 8, v10
	v_mov_b32_e32 v30, 0
	s_mov_b32 s15, exec_lo
	v_cmpx_ne_u16_e32 0, v10
	s_cbranch_execz .LBB268_769
; %bb.762:                              ;   in Loop: Header=BB268_523 Depth=1
	v_bfrev_b32_e32 v30, 1
	s_mov_b32 s16, exec_lo
	v_cmpx_ne_u16_e32 0x80, v10
	s_cbranch_execz .LBB268_768
; %bb.763:                              ;   in Loop: Header=BB268_523 Depth=1
	v_and_b32_e32 v31, 0xffff, v10
	v_mov_b32_e32 v30, 0x7c010000
	s_mov_b32 s17, exec_lo
	s_delay_alu instid0(VALU_DEP_2) | instskip(NEXT) | instid1(VALU_DEP_1)
	v_and_b32_e32 v41, 0x7f, v31
	v_cmpx_ne_u32_e32 0x7f, v41
	s_cbranch_execz .LBB268_767
; %bb.764:                              ;   in Loop: Header=BB268_523 Depth=1
	v_dual_lshrrev_b32 v40, 3, v41 :: v_dual_bitop2_b32 v30, 7, v31 bitop3:0x40
	s_mov_b32 s18, exec_lo
	v_cmpx_gt_u32_e32 8, v41
; %bb.765:                              ;   in Loop: Header=BB268_523 Depth=1
	s_delay_alu instid0(VALU_DEP_2) | instskip(NEXT) | instid1(VALU_DEP_1)
	v_clz_i32_u32_e32 v30, v30
	v_min_u32_e32 v30, 32, v30
	s_delay_alu instid0(VALU_DEP_1) | instskip(NEXT) | instid1(VALU_DEP_1)
	v_subrev_nc_u32_e32 v40, 28, v30
	v_lshlrev_b64_e32 v[52:53], v40, v[10:11]
	s_delay_alu instid0(VALU_DEP_1)
	v_dual_sub_nc_u32 v40, 29, v30 :: v_dual_bitop2_b32 v30, 7, v52 bitop3:0x40
; %bb.766:                              ;   in Loop: Header=BB268_523 Depth=1
	s_or_b32 exec_lo, exec_lo, s18
	s_delay_alu instid0(VALU_DEP_1) | instskip(NEXT) | instid1(VALU_DEP_2)
	v_dual_lshlrev_b32 v10, 8, v31 :: v_dual_lshlrev_b32 v30, 23, v30
	v_lshl_add_u32 v31, v40, 10, 0x2000
	s_delay_alu instid0(VALU_DEP_1) | instskip(NEXT) | instid1(VALU_DEP_1)
	v_and_or_b32 v10, 0x8000, v10, v31
	v_lshl_or_b32 v30, v10, 16, v30
.LBB268_767:                            ;   in Loop: Header=BB268_523 Depth=1
	s_or_b32 exec_lo, exec_lo, s17
.LBB268_768:                            ;   in Loop: Header=BB268_523 Depth=1
	s_delay_alu instid0(SALU_CYCLE_1)
	s_or_b32 exec_lo, exec_lo, s16
.LBB268_769:                            ;   in Loop: Header=BB268_523 Depth=1
	s_delay_alu instid0(SALU_CYCLE_1) | instskip(SKIP_2) | instid1(VALU_DEP_1)
	s_or_b32 exec_lo, exec_lo, s15
	v_lshrrev_b32_e32 v10, 16, v25
	s_mov_b32 s15, exec_lo
	v_and_b32_e32 v31, 0xff, v10
	s_delay_alu instid0(VALU_DEP_1)
	v_cmpx_ne_u16_e32 0, v31
	s_cbranch_execz .LBB268_777
; %bb.770:                              ;   in Loop: Header=BB268_523 Depth=1
	v_mov_b32_e32 v29, 0x8000
	s_mov_b32 s16, exec_lo
	v_cmpx_ne_u16_e32 0x80, v31
	s_cbranch_execz .LBB268_776
; %bb.771:                              ;   in Loop: Header=BB268_523 Depth=1
	v_bfe_u32 v40, v25, 16, 7
	v_mov_b32_e32 v29, 0x7c01
	s_mov_b32 s17, exec_lo
	s_delay_alu instid0(VALU_DEP_2)
	v_cmpx_ne_u32_e32 0x7f, v40
	s_cbranch_execz .LBB268_775
; %bb.772:                              ;   in Loop: Header=BB268_523 Depth=1
	v_dual_lshrrev_b32 v31, 3, v40 :: v_dual_bitop2_b32 v29, 7, v10 bitop3:0x40
	s_mov_b32 s18, exec_lo
	v_cmpx_gt_u32_e32 8, v40
; %bb.773:                              ;   in Loop: Header=BB268_523 Depth=1
	s_delay_alu instid0(VALU_DEP_2) | instskip(NEXT) | instid1(VALU_DEP_1)
	v_clz_i32_u32_e32 v29, v29
	v_min_u32_e32 v29, 32, v29
	s_delay_alu instid0(VALU_DEP_1) | instskip(NEXT) | instid1(VALU_DEP_1)
	v_subrev_nc_u32_e32 v31, 28, v29
	v_lshlrev_b64_e32 v[40:41], v31, v[10:11]
	s_delay_alu instid0(VALU_DEP_1)
	v_dual_sub_nc_u32 v31, 29, v29 :: v_dual_bitop2_b32 v29, 7, v40 bitop3:0x40
; %bb.774:                              ;   in Loop: Header=BB268_523 Depth=1
	s_or_b32 exec_lo, exec_lo, s18
	s_delay_alu instid0(VALU_DEP_1) | instskip(NEXT) | instid1(VALU_DEP_2)
	v_dual_lshlrev_b32 v10, 8, v10 :: v_dual_lshlrev_b32 v29, 7, v29
	v_lshl_add_u32 v31, v31, 10, 0x2000
	s_delay_alu instid0(VALU_DEP_2) | instskip(NEXT) | instid1(VALU_DEP_2)
	v_and_b32_e32 v10, 0x8000, v10
	v_and_b32_e32 v31, 0xfc00, v31
	s_delay_alu instid0(VALU_DEP_1)
	v_or3_b32 v29, v10, v31, v29
.LBB268_775:                            ;   in Loop: Header=BB268_523 Depth=1
	s_or_b32 exec_lo, exec_lo, s17
.LBB268_776:                            ;   in Loop: Header=BB268_523 Depth=1
	s_delay_alu instid0(SALU_CYCLE_1)
	s_or_b32 exec_lo, exec_lo, s16
.LBB268_777:                            ;   in Loop: Header=BB268_523 Depth=1
	s_delay_alu instid0(SALU_CYCLE_1)
	s_or_b32 exec_lo, exec_lo, s15
	v_cmp_lt_u64_e64 s1, s[4:5], v[24:25]
	v_mov_b32_e32 v24, 0
	s_and_saveexec_b32 s15, s1
	s_cbranch_execz .LBB268_785
; %bb.778:                              ;   in Loop: Header=BB268_523 Depth=1
	v_lshrrev_b32_e32 v10, 24, v25
	v_bfrev_b32_e32 v24, 1
	s_mov_b32 s16, exec_lo
	s_delay_alu instid0(VALU_DEP_2)
	v_cmpx_ne_u32_e32 0x80, v10
	s_cbranch_execz .LBB268_784
; %bb.779:                              ;   in Loop: Header=BB268_523 Depth=1
	v_and_b32_e32 v31, 0x7f, v10
	v_mov_b32_e32 v24, 0x7c010000
	s_mov_b32 s17, exec_lo
	s_delay_alu instid0(VALU_DEP_2)
	v_cmpx_ne_u32_e32 0x7f, v31
	s_cbranch_execz .LBB268_783
; %bb.780:                              ;   in Loop: Header=BB268_523 Depth=1
	v_dual_lshrrev_b32 v25, 3, v31 :: v_dual_bitop2_b32 v24, 7, v10 bitop3:0x40
	s_mov_b32 s18, exec_lo
	v_cmpx_gt_u32_e32 8, v31
; %bb.781:                              ;   in Loop: Header=BB268_523 Depth=1
	s_delay_alu instid0(VALU_DEP_2) | instskip(NEXT) | instid1(VALU_DEP_1)
	v_clz_i32_u32_e32 v24, v24
	v_min_u32_e32 v31, 32, v24
	s_delay_alu instid0(VALU_DEP_1) | instskip(NEXT) | instid1(VALU_DEP_1)
	v_subrev_nc_u32_e32 v24, 28, v31
	v_lshlrev_b64_e32 v[24:25], v24, v[10:11]
	s_delay_alu instid0(VALU_DEP_1)
	v_dual_sub_nc_u32 v25, 29, v31 :: v_dual_bitop2_b32 v24, 7, v24 bitop3:0x40
; %bb.782:                              ;   in Loop: Header=BB268_523 Depth=1
	s_or_b32 exec_lo, exec_lo, s18
	s_delay_alu instid0(VALU_DEP_1) | instskip(NEXT) | instid1(VALU_DEP_2)
	v_dual_lshlrev_b32 v10, 8, v10 :: v_dual_lshlrev_b32 v24, 23, v24
	v_lshl_add_u32 v25, v25, 10, 0x2000
	s_delay_alu instid0(VALU_DEP_1) | instskip(NEXT) | instid1(VALU_DEP_1)
	v_and_or_b32 v10, 0x8000, v10, v25
	v_lshl_or_b32 v24, v10, 16, v24
.LBB268_783:                            ;   in Loop: Header=BB268_523 Depth=1
	s_or_b32 exec_lo, exec_lo, s17
.LBB268_784:                            ;   in Loop: Header=BB268_523 Depth=1
	s_delay_alu instid0(SALU_CYCLE_1)
	s_or_b32 exec_lo, exec_lo, s16
.LBB268_785:                            ;   in Loop: Header=BB268_523 Depth=1
	s_delay_alu instid0(SALU_CYCLE_1) | instskip(SKIP_3) | instid1(VALU_DEP_3)
	s_or_b32 exec_lo, exec_lo, s15
	v_dual_lshrrev_b32 v10, 16, v1 :: v_dual_lshrrev_b32 v25, 16, v26
	v_or_b32_e32 v1, v1, v23
	v_dual_lshrrev_b32 v31, 16, v24 :: v_dual_bitop2_b32 v23, v26, v27 bitop3:0x54
	v_cvt_f32_f16_e32 v27, v10
	s_delay_alu instid0(VALU_DEP_4) | instskip(SKIP_1) | instid1(VALU_DEP_4)
	v_cvt_f32_f16_e32 v26, v25
	v_dual_lshrrev_b32 v29, 16, v30 :: v_dual_bitop2_b32 v10, v24, v29 bitop3:0x54
	v_cvt_f32_f16_e32 v24, v23
	v_cvt_f32_f16_e32 v25, v1
	s_wait_loadcnt 0x0
	v_pk_mul_f32 v[26:27], v[22:23], v[26:27] op_sel_hi:[0,1]
	v_cvt_f32_f16_e32 v29, v29
	s_delay_alu instid0(VALU_DEP_2) | instskip(SKIP_3) | instid1(VALU_DEP_3)
	v_cvt_pk_f16_f32 v1, v26, v27
	v_or_b32_e32 v23, v30, v28
	v_cvt_f32_f16_e32 v28, v31
	v_cvt_f32_f16_e32 v30, v10
	;; [unrolled: 1-line block ×3, first 2 shown]
	v_pk_mul_f32 v[24:25], v[22:23], v[24:25] op_sel_hi:[0,1]
	s_delay_alu instid0(VALU_DEP_4) | instskip(NEXT) | instid1(VALU_DEP_3)
	v_pk_mul_f32 v[26:27], v[22:23], v[28:29] op_sel_hi:[0,1]
	v_pk_mul_f32 v[28:29], v[22:23], v[30:31] op_sel_hi:[0,1]
	s_delay_alu instid0(VALU_DEP_3) | instskip(NEXT) | instid1(VALU_DEP_3)
	v_cvt_pk_f16_f32 v10, v24, v25
	v_cvt_pk_f16_f32 v23, v26, v27
	v_and_b32_e32 v25, 0xffff0000, v1
	v_lshlrev_b32_e32 v22, 16, v1
	v_cvt_pk_f16_f32 v24, v28, v29
	v_lshrrev_b32_e32 v27, 16, v10
	v_and_b32_e32 v26, 0xffff, v10
	v_and_b32_e32 v1, 0xffff0000, v23
	s_delay_alu instid0(VALU_DEP_4) | instskip(SKIP_3) | instid1(VALU_DEP_4)
	v_dual_lshlrev_b32 v10, 16, v23 :: v_dual_lshrrev_b32 v23, 16, v24
	v_and_b32_e32 v24, 0xffff, v24
	v_or_b32_e32 v31, v25, v27
	v_or_b32_e32 v30, v22, v26
	;; [unrolled: 1-line block ×3, first 2 shown]
	s_delay_alu instid0(VALU_DEP_4)
	v_or_b32_e32 v28, v10, v24
	s_and_saveexec_b32 s15, s0
	s_cbranch_execz .LBB268_787
; %bb.786:                              ;   in Loop: Header=BB268_523 Depth=1
	v_dual_add_nc_u32 v28, 2, v37 :: v_dual_bitop2_b32 v29, 1, v37 bitop3:0x54
	v_cmp_gt_i32_e64 s1, s14, v37
	v_or_b32_e32 v30, 3, v37
	s_delay_alu instid0(VALU_DEP_2) | instskip(NEXT) | instid1(VALU_DEP_4)
	v_dual_cndmask_b32 v27, 0, v27, s1 :: v_dual_bitop2_b32 v31, 7, v37 bitop3:0x54
	v_cmp_gt_i32_e64 s1, s23, v28
	s_delay_alu instid0(VALU_DEP_1) | instskip(SKIP_1) | instid1(VALU_DEP_1)
	v_cndmask_b32_e64 v26, 0, v26, s1
	v_cmp_gt_i32_e64 s1, s14, v29
	v_cndmask_b32_e64 v25, 0, v25, s1
	v_cmp_gt_i32_e64 s1, s23, v30
	s_delay_alu instid0(VALU_DEP_1) | instskip(NEXT) | instid1(VALU_DEP_1)
	v_dual_cndmask_b32 v22, 0, v22, s1 :: v_dual_bitop2_b32 v28, 4, v37 bitop3:0x54
	v_cmp_gt_i32_e64 s1, s14, v28
	s_delay_alu instid0(VALU_DEP_1) | instskip(NEXT) | instid1(VALU_DEP_1)
	v_dual_cndmask_b32 v23, 0, v23, s1 :: v_dual_bitop2_b32 v29, 6, v37 bitop3:0x54
	;; [unrolled: 3-line block ×3, first 2 shown]
	v_cmp_gt_i32_e64 s1, s14, v30
	s_delay_alu instid0(VALU_DEP_1) | instskip(SKIP_2) | instid1(VALU_DEP_2)
	v_dual_cndmask_b32 v1, 0, v1, s1 :: v_dual_bitop2_b32 v30, v22, v26 bitop3:0x54
	v_cmp_gt_i32_e64 s1, s23, v31
	v_or_b32_e32 v31, v25, v27
	v_dual_cndmask_b32 v10, 0, v10, s1 :: v_dual_bitop2_b32 v29, v1, v23 bitop3:0x54
	s_delay_alu instid0(VALU_DEP_1)
	v_or_b32_e32 v28, v10, v24
.LBB268_787:                            ;   in Loop: Header=BB268_523 Depth=1
	s_or_b32 exec_lo, exec_lo, s15
	;;#ASMSTART
	v_pk_mul_f16 v1, v47, v31;

	;;#ASMEND
	;;#ASMSTART
	v_pk_mul_f16 v10, v46, v30;

	;;#ASMEND
	;; [unrolled: 4-line block ×4, first 2 shown]
	;;#ASMSTART
	v_pk_add_f16 v1, v1, v10;

	;;#ASMEND
	;;#ASMSTART
	v_pk_add_f16 v1, v1, v22;

	;;#ASMEND
	;; [unrolled: 4-line block ×3, first 2 shown]
	v_and_b32_e32 v10, 0xffff, v1
	v_dual_lshrrev_b32 v1, 16, v1 :: v_dual_mov_b32 v23, 0
	;;#ASMSTART
	v_cvt_f32_f16 v52, v10;
	;;#ASMEND
	;;#ASMSTART
	v_cvt_f32_f16 v53, v1;
	;;#ASMEND
	global_load_b64 v[24:25], v[20:21], off offset:1024
	v_mov_b32_e32 v1, 0
	s_mov_b32 s15, exec_lo
	global_load_b32 v22, v1, s[10:11]
	s_wait_loadcnt 0x1
	v_and_b32_e32 v10, 0xff, v24
	s_wait_xcnt 0x0
	s_delay_alu instid0(VALU_DEP_1)
	v_cmpx_ne_u16_e32 0, v10
	s_cbranch_execz .LBB268_795
; %bb.788:                              ;   in Loop: Header=BB268_523 Depth=1
	v_mov_b32_e32 v23, 0x8000
	s_mov_b32 s16, exec_lo
	v_cmpx_ne_u16_e32 0x80, v10
	s_cbranch_execz .LBB268_794
; %bb.789:                              ;   in Loop: Header=BB268_523 Depth=1
	v_and_b32_e32 v26, 0x7f, v24
	v_mov_b32_e32 v23, 0x7c01
	s_mov_b32 s17, exec_lo
	s_delay_alu instid0(VALU_DEP_2)
	v_cmpx_ne_u32_e32 0x7f, v26
	s_cbranch_execz .LBB268_793
; %bb.790:                              ;   in Loop: Header=BB268_523 Depth=1
	v_dual_lshrrev_b32 v23, 3, v26 :: v_dual_bitop2_b32 v10, 7, v24 bitop3:0x40
	s_mov_b32 s18, exec_lo
	v_cmpx_gt_u32_e32 8, v26
; %bb.791:                              ;   in Loop: Header=BB268_523 Depth=1
	s_delay_alu instid0(VALU_DEP_2) | instskip(NEXT) | instid1(VALU_DEP_1)
	v_clz_i32_u32_e32 v10, v10
	v_min_u32_e32 v10, 32, v10
	s_delay_alu instid0(VALU_DEP_1) | instskip(NEXT) | instid1(VALU_DEP_1)
	v_subrev_nc_u32_e32 v23, 28, v10
	v_lshlrev_b64_e32 v[26:27], v23, v[24:25]
	v_sub_nc_u32_e32 v23, 29, v10
	s_delay_alu instid0(VALU_DEP_2)
	v_and_b32_e32 v10, 7, v26
; %bb.792:                              ;   in Loop: Header=BB268_523 Depth=1
	s_or_b32 exec_lo, exec_lo, s18
	s_delay_alu instid0(VALU_DEP_1) | instskip(NEXT) | instid1(VALU_DEP_3)
	v_dual_lshlrev_b32 v26, 8, v24 :: v_dual_lshlrev_b32 v10, 7, v10
	v_lshl_add_u32 v23, v23, 10, 0x2000
	s_delay_alu instid0(VALU_DEP_2) | instskip(NEXT) | instid1(VALU_DEP_2)
	v_and_b32_e32 v26, 0x8000, v26
	v_and_b32_e32 v23, 0xfc00, v23
	s_delay_alu instid0(VALU_DEP_1)
	v_or3_b32 v23, v26, v23, v10
.LBB268_793:                            ;   in Loop: Header=BB268_523 Depth=1
	s_or_b32 exec_lo, exec_lo, s17
.LBB268_794:                            ;   in Loop: Header=BB268_523 Depth=1
	s_delay_alu instid0(SALU_CYCLE_1)
	s_or_b32 exec_lo, exec_lo, s16
.LBB268_795:                            ;   in Loop: Header=BB268_523 Depth=1
	s_delay_alu instid0(SALU_CYCLE_1) | instskip(SKIP_2) | instid1(VALU_DEP_1)
	s_or_b32 exec_lo, exec_lo, s15
	v_lshrrev_b16 v10, 8, v24
	s_mov_b32 s15, exec_lo
	v_cmpx_ne_u16_e32 0, v10
	s_cbranch_execz .LBB268_803
; %bb.796:                              ;   in Loop: Header=BB268_523 Depth=1
	v_bfrev_b32_e32 v1, 1
	s_mov_b32 s16, exec_lo
	v_cmpx_ne_u16_e32 0x80, v10
	s_cbranch_execz .LBB268_802
; %bb.797:                              ;   in Loop: Header=BB268_523 Depth=1
	v_and_b32_e32 v26, 0xffff, v10
	v_mov_b32_e32 v1, 0x7c010000
	s_mov_b32 s17, exec_lo
	s_delay_alu instid0(VALU_DEP_2) | instskip(NEXT) | instid1(VALU_DEP_1)
	v_and_b32_e32 v28, 0x7f, v26
	v_cmpx_ne_u32_e32 0x7f, v28
	s_cbranch_execz .LBB268_801
; %bb.798:                              ;   in Loop: Header=BB268_523 Depth=1
	v_dual_lshrrev_b32 v27, 3, v28 :: v_dual_bitop2_b32 v1, 7, v26 bitop3:0x40
	s_mov_b32 s18, exec_lo
	v_cmpx_gt_u32_e32 8, v28
; %bb.799:                              ;   in Loop: Header=BB268_523 Depth=1
	s_delay_alu instid0(VALU_DEP_2) | instskip(NEXT) | instid1(VALU_DEP_1)
	v_clz_i32_u32_e32 v1, v1
	v_min_u32_e32 v1, 32, v1
	s_delay_alu instid0(VALU_DEP_1) | instskip(NEXT) | instid1(VALU_DEP_1)
	v_subrev_nc_u32_e32 v27, 28, v1
	v_lshlrev_b64_e32 v[28:29], v27, v[10:11]
	s_delay_alu instid0(VALU_DEP_1)
	v_dual_sub_nc_u32 v27, 29, v1 :: v_dual_bitop2_b32 v1, 7, v28 bitop3:0x40
; %bb.800:                              ;   in Loop: Header=BB268_523 Depth=1
	s_or_b32 exec_lo, exec_lo, s18
	s_delay_alu instid0(VALU_DEP_1) | instskip(NEXT) | instid1(VALU_DEP_2)
	v_dual_lshlrev_b32 v10, 8, v26 :: v_dual_lshlrev_b32 v1, 23, v1
	v_lshl_add_u32 v26, v27, 10, 0x2000
	s_delay_alu instid0(VALU_DEP_1) | instskip(NEXT) | instid1(VALU_DEP_1)
	v_and_or_b32 v10, 0x8000, v10, v26
	v_lshl_or_b32 v1, v10, 16, v1
.LBB268_801:                            ;   in Loop: Header=BB268_523 Depth=1
	s_or_b32 exec_lo, exec_lo, s17
.LBB268_802:                            ;   in Loop: Header=BB268_523 Depth=1
	s_delay_alu instid0(SALU_CYCLE_1)
	s_or_b32 exec_lo, exec_lo, s16
.LBB268_803:                            ;   in Loop: Header=BB268_523 Depth=1
	s_delay_alu instid0(SALU_CYCLE_1) | instskip(SKIP_3) | instid1(VALU_DEP_2)
	s_or_b32 exec_lo, exec_lo, s15
	v_dual_lshrrev_b32 v10, 16, v24 :: v_dual_mov_b32 v26, 0
	v_mov_b32_e32 v27, 0
	s_mov_b32 s15, exec_lo
	v_and_b32_e32 v28, 0xff, v10
	s_delay_alu instid0(VALU_DEP_1)
	v_cmpx_ne_u16_e32 0, v28
	s_cbranch_execz .LBB268_811
; %bb.804:                              ;   in Loop: Header=BB268_523 Depth=1
	v_mov_b32_e32 v27, 0x8000
	s_mov_b32 s16, exec_lo
	v_cmpx_ne_u16_e32 0x80, v28
	s_cbranch_execz .LBB268_810
; %bb.805:                              ;   in Loop: Header=BB268_523 Depth=1
	v_bfe_u32 v29, v24, 16, 7
	v_mov_b32_e32 v27, 0x7c01
	s_mov_b32 s17, exec_lo
	s_delay_alu instid0(VALU_DEP_2)
	v_cmpx_ne_u32_e32 0x7f, v29
	s_cbranch_execz .LBB268_809
; %bb.806:                              ;   in Loop: Header=BB268_523 Depth=1
	v_dual_lshrrev_b32 v28, 3, v29 :: v_dual_bitop2_b32 v27, 7, v10 bitop3:0x40
	s_mov_b32 s18, exec_lo
	v_cmpx_gt_u32_e32 8, v29
; %bb.807:                              ;   in Loop: Header=BB268_523 Depth=1
	s_delay_alu instid0(VALU_DEP_2) | instskip(NEXT) | instid1(VALU_DEP_1)
	v_clz_i32_u32_e32 v27, v27
	v_min_u32_e32 v27, 32, v27
	s_delay_alu instid0(VALU_DEP_1) | instskip(NEXT) | instid1(VALU_DEP_1)
	v_subrev_nc_u32_e32 v28, 28, v27
	v_lshlrev_b64_e32 v[30:31], v28, v[10:11]
	s_delay_alu instid0(VALU_DEP_1)
	v_dual_sub_nc_u32 v28, 29, v27 :: v_dual_bitop2_b32 v27, 7, v30 bitop3:0x40
; %bb.808:                              ;   in Loop: Header=BB268_523 Depth=1
	s_or_b32 exec_lo, exec_lo, s18
	s_delay_alu instid0(VALU_DEP_1) | instskip(NEXT) | instid1(VALU_DEP_2)
	v_dual_lshlrev_b32 v10, 8, v10 :: v_dual_lshlrev_b32 v27, 7, v27
	v_lshl_add_u32 v28, v28, 10, 0x2000
	s_delay_alu instid0(VALU_DEP_2) | instskip(NEXT) | instid1(VALU_DEP_2)
	v_and_b32_e32 v10, 0x8000, v10
	v_and_b32_e32 v28, 0xfc00, v28
	s_delay_alu instid0(VALU_DEP_1)
	v_or3_b32 v27, v10, v28, v27
.LBB268_809:                            ;   in Loop: Header=BB268_523 Depth=1
	s_or_b32 exec_lo, exec_lo, s17
.LBB268_810:                            ;   in Loop: Header=BB268_523 Depth=1
	s_delay_alu instid0(SALU_CYCLE_1)
	s_or_b32 exec_lo, exec_lo, s16
.LBB268_811:                            ;   in Loop: Header=BB268_523 Depth=1
	s_delay_alu instid0(SALU_CYCLE_1) | instskip(NEXT) | instid1(SALU_CYCLE_1)
	s_or_b32 exec_lo, exec_lo, s15
	s_mov_b32 s15, exec_lo
	v_cmpx_lt_u32_e32 0xffffff, v24
	s_cbranch_execz .LBB268_819
; %bb.812:                              ;   in Loop: Header=BB268_523 Depth=1
	v_lshrrev_b32_e32 v10, 24, v24
	v_bfrev_b32_e32 v26, 1
	s_mov_b32 s16, exec_lo
	s_delay_alu instid0(VALU_DEP_2)
	v_cmpx_ne_u32_e32 0x80, v10
	s_cbranch_execz .LBB268_818
; %bb.813:                              ;   in Loop: Header=BB268_523 Depth=1
	v_and_b32_e32 v29, 0x7f, v10
	v_mov_b32_e32 v26, 0x7c010000
	s_mov_b32 s17, exec_lo
	s_delay_alu instid0(VALU_DEP_2)
	v_cmpx_ne_u32_e32 0x7f, v29
	s_cbranch_execz .LBB268_817
; %bb.814:                              ;   in Loop: Header=BB268_523 Depth=1
	v_dual_lshrrev_b32 v28, 3, v29 :: v_dual_bitop2_b32 v26, 7, v10 bitop3:0x40
	s_mov_b32 s18, exec_lo
	v_cmpx_gt_u32_e32 8, v29
; %bb.815:                              ;   in Loop: Header=BB268_523 Depth=1
	s_delay_alu instid0(VALU_DEP_2) | instskip(NEXT) | instid1(VALU_DEP_1)
	v_clz_i32_u32_e32 v26, v26
	v_min_u32_e32 v26, 32, v26
	s_delay_alu instid0(VALU_DEP_1) | instskip(NEXT) | instid1(VALU_DEP_1)
	v_subrev_nc_u32_e32 v28, 28, v26
	v_lshlrev_b64_e32 v[30:31], v28, v[10:11]
	v_sub_nc_u32_e32 v28, 29, v26
	s_delay_alu instid0(VALU_DEP_2)
	v_and_b32_e32 v26, 7, v30
; %bb.816:                              ;   in Loop: Header=BB268_523 Depth=1
	s_or_b32 exec_lo, exec_lo, s18
	v_lshlrev_b32_e32 v10, 8, v10
	s_delay_alu instid0(VALU_DEP_3) | instskip(NEXT) | instid1(VALU_DEP_3)
	v_lshl_add_u32 v28, v28, 10, 0x2000
	v_lshlrev_b32_e32 v26, 23, v26
	s_delay_alu instid0(VALU_DEP_2) | instskip(NEXT) | instid1(VALU_DEP_1)
	v_and_or_b32 v10, 0x8000, v10, v28
	v_lshl_or_b32 v26, v10, 16, v26
.LBB268_817:                            ;   in Loop: Header=BB268_523 Depth=1
	s_or_b32 exec_lo, exec_lo, s17
.LBB268_818:                            ;   in Loop: Header=BB268_523 Depth=1
	s_delay_alu instid0(SALU_CYCLE_1)
	s_or_b32 exec_lo, exec_lo, s16
.LBB268_819:                            ;   in Loop: Header=BB268_523 Depth=1
	s_delay_alu instid0(SALU_CYCLE_1) | instskip(SKIP_4) | instid1(VALU_DEP_3)
	s_or_b32 exec_lo, exec_lo, s15
	v_and_b32_e32 v30, 0xff, v25
	v_dual_mov_b32 v10, v25 :: v_dual_mov_b32 v29, 0
	v_mov_b32_e32 v28, 0
	s_mov_b32 s15, exec_lo
	v_cmpx_ne_u16_e32 0, v30
	s_cbranch_execz .LBB268_827
; %bb.820:                              ;   in Loop: Header=BB268_523 Depth=1
	v_mov_b32_e32 v28, 0x8000
	s_mov_b32 s16, exec_lo
	v_cmpx_ne_u16_e32 0x80, v30
	s_cbranch_execz .LBB268_826
; %bb.821:                              ;   in Loop: Header=BB268_523 Depth=1
	v_and_b32_e32 v31, 0x7f, v25
	v_mov_b32_e32 v28, 0x7c01
	s_mov_b32 s17, exec_lo
	s_delay_alu instid0(VALU_DEP_2)
	v_cmpx_ne_u32_e32 0x7f, v31
	s_cbranch_execz .LBB268_825
; %bb.822:                              ;   in Loop: Header=BB268_523 Depth=1
	v_dual_lshrrev_b32 v30, 3, v31 :: v_dual_bitop2_b32 v28, 7, v25 bitop3:0x40
	s_mov_b32 s18, exec_lo
	v_cmpx_gt_u32_e32 8, v31
; %bb.823:                              ;   in Loop: Header=BB268_523 Depth=1
	s_delay_alu instid0(VALU_DEP_2) | instskip(NEXT) | instid1(VALU_DEP_1)
	v_clz_i32_u32_e32 v28, v28
	v_min_u32_e32 v28, 32, v28
	s_delay_alu instid0(VALU_DEP_1) | instskip(NEXT) | instid1(VALU_DEP_1)
	v_subrev_nc_u32_e32 v30, 28, v28
	v_lshlrev_b64_e32 v[40:41], v30, v[10:11]
	v_sub_nc_u32_e32 v30, 29, v28
	s_delay_alu instid0(VALU_DEP_2)
	v_and_b32_e32 v28, 7, v40
; %bb.824:                              ;   in Loop: Header=BB268_523 Depth=1
	s_or_b32 exec_lo, exec_lo, s18
	s_delay_alu instid0(VALU_DEP_1) | instskip(NEXT) | instid1(VALU_DEP_3)
	v_dual_lshlrev_b32 v31, 8, v25 :: v_dual_lshlrev_b32 v28, 7, v28
	v_lshl_add_u32 v30, v30, 10, 0x2000
	s_delay_alu instid0(VALU_DEP_2) | instskip(NEXT) | instid1(VALU_DEP_2)
	v_and_b32_e32 v31, 0x8000, v31
	v_and_b32_e32 v30, 0xfc00, v30
	s_delay_alu instid0(VALU_DEP_1)
	v_or3_b32 v28, v31, v30, v28
.LBB268_825:                            ;   in Loop: Header=BB268_523 Depth=1
	s_or_b32 exec_lo, exec_lo, s17
.LBB268_826:                            ;   in Loop: Header=BB268_523 Depth=1
	s_delay_alu instid0(SALU_CYCLE_1)
	s_or_b32 exec_lo, exec_lo, s16
.LBB268_827:                            ;   in Loop: Header=BB268_523 Depth=1
	s_delay_alu instid0(SALU_CYCLE_1) | instskip(SKIP_3) | instid1(VALU_DEP_2)
	s_or_b32 exec_lo, exec_lo, s15
	v_lshrrev_b16 v10, 8, v10
	v_mov_b32_e32 v30, 0
	s_mov_b32 s15, exec_lo
	v_cmpx_ne_u16_e32 0, v10
	s_cbranch_execz .LBB268_835
; %bb.828:                              ;   in Loop: Header=BB268_523 Depth=1
	v_bfrev_b32_e32 v30, 1
	s_mov_b32 s16, exec_lo
	v_cmpx_ne_u16_e32 0x80, v10
	s_cbranch_execz .LBB268_834
; %bb.829:                              ;   in Loop: Header=BB268_523 Depth=1
	v_and_b32_e32 v31, 0xffff, v10
	v_mov_b32_e32 v30, 0x7c010000
	s_mov_b32 s17, exec_lo
	s_delay_alu instid0(VALU_DEP_2) | instskip(NEXT) | instid1(VALU_DEP_1)
	v_and_b32_e32 v41, 0x7f, v31
	v_cmpx_ne_u32_e32 0x7f, v41
	s_cbranch_execz .LBB268_833
; %bb.830:                              ;   in Loop: Header=BB268_523 Depth=1
	v_dual_lshrrev_b32 v40, 3, v41 :: v_dual_bitop2_b32 v30, 7, v31 bitop3:0x40
	s_mov_b32 s18, exec_lo
	v_cmpx_gt_u32_e32 8, v41
; %bb.831:                              ;   in Loop: Header=BB268_523 Depth=1
	s_delay_alu instid0(VALU_DEP_2) | instskip(NEXT) | instid1(VALU_DEP_1)
	v_clz_i32_u32_e32 v30, v30
	v_min_u32_e32 v30, 32, v30
	s_delay_alu instid0(VALU_DEP_1) | instskip(NEXT) | instid1(VALU_DEP_1)
	v_subrev_nc_u32_e32 v40, 28, v30
	v_lshlrev_b64_e32 v[54:55], v40, v[10:11]
	v_sub_nc_u32_e32 v40, 29, v30
	s_delay_alu instid0(VALU_DEP_2)
	v_and_b32_e32 v30, 7, v54
; %bb.832:                              ;   in Loop: Header=BB268_523 Depth=1
	s_or_b32 exec_lo, exec_lo, s18
	s_delay_alu instid0(VALU_DEP_1) | instskip(NEXT) | instid1(VALU_DEP_3)
	v_dual_lshlrev_b32 v10, 8, v31 :: v_dual_lshlrev_b32 v30, 23, v30
	v_lshl_add_u32 v31, v40, 10, 0x2000
	s_delay_alu instid0(VALU_DEP_1) | instskip(NEXT) | instid1(VALU_DEP_1)
	v_and_or_b32 v10, 0x8000, v10, v31
	v_lshl_or_b32 v30, v10, 16, v30
.LBB268_833:                            ;   in Loop: Header=BB268_523 Depth=1
	s_or_b32 exec_lo, exec_lo, s17
.LBB268_834:                            ;   in Loop: Header=BB268_523 Depth=1
	s_delay_alu instid0(SALU_CYCLE_1)
	s_or_b32 exec_lo, exec_lo, s16
.LBB268_835:                            ;   in Loop: Header=BB268_523 Depth=1
	s_delay_alu instid0(SALU_CYCLE_1) | instskip(SKIP_2) | instid1(VALU_DEP_1)
	s_or_b32 exec_lo, exec_lo, s15
	v_lshrrev_b32_e32 v10, 16, v25
	s_mov_b32 s15, exec_lo
	v_and_b32_e32 v31, 0xff, v10
	s_delay_alu instid0(VALU_DEP_1)
	v_cmpx_ne_u16_e32 0, v31
	s_cbranch_execz .LBB268_843
; %bb.836:                              ;   in Loop: Header=BB268_523 Depth=1
	v_mov_b32_e32 v29, 0x8000
	s_mov_b32 s16, exec_lo
	v_cmpx_ne_u16_e32 0x80, v31
	s_cbranch_execz .LBB268_842
; %bb.837:                              ;   in Loop: Header=BB268_523 Depth=1
	v_bfe_u32 v40, v25, 16, 7
	v_mov_b32_e32 v29, 0x7c01
	s_mov_b32 s17, exec_lo
	s_delay_alu instid0(VALU_DEP_2)
	v_cmpx_ne_u32_e32 0x7f, v40
	s_cbranch_execz .LBB268_841
; %bb.838:                              ;   in Loop: Header=BB268_523 Depth=1
	v_dual_lshrrev_b32 v31, 3, v40 :: v_dual_bitop2_b32 v29, 7, v10 bitop3:0x40
	s_mov_b32 s18, exec_lo
	v_cmpx_gt_u32_e32 8, v40
; %bb.839:                              ;   in Loop: Header=BB268_523 Depth=1
	s_delay_alu instid0(VALU_DEP_2) | instskip(NEXT) | instid1(VALU_DEP_1)
	v_clz_i32_u32_e32 v29, v29
	v_min_u32_e32 v29, 32, v29
	s_delay_alu instid0(VALU_DEP_1) | instskip(NEXT) | instid1(VALU_DEP_1)
	v_subrev_nc_u32_e32 v31, 28, v29
	v_lshlrev_b64_e32 v[40:41], v31, v[10:11]
	s_delay_alu instid0(VALU_DEP_1)
	v_dual_sub_nc_u32 v31, 29, v29 :: v_dual_bitop2_b32 v29, 7, v40 bitop3:0x40
; %bb.840:                              ;   in Loop: Header=BB268_523 Depth=1
	s_or_b32 exec_lo, exec_lo, s18
	s_delay_alu instid0(VALU_DEP_1) | instskip(NEXT) | instid1(VALU_DEP_2)
	v_dual_lshlrev_b32 v10, 8, v10 :: v_dual_lshlrev_b32 v29, 7, v29
	v_lshl_add_u32 v31, v31, 10, 0x2000
	s_delay_alu instid0(VALU_DEP_2) | instskip(NEXT) | instid1(VALU_DEP_2)
	v_and_b32_e32 v10, 0x8000, v10
	v_and_b32_e32 v31, 0xfc00, v31
	s_delay_alu instid0(VALU_DEP_1)
	v_or3_b32 v29, v10, v31, v29
.LBB268_841:                            ;   in Loop: Header=BB268_523 Depth=1
	s_or_b32 exec_lo, exec_lo, s17
.LBB268_842:                            ;   in Loop: Header=BB268_523 Depth=1
	s_delay_alu instid0(SALU_CYCLE_1)
	s_or_b32 exec_lo, exec_lo, s16
.LBB268_843:                            ;   in Loop: Header=BB268_523 Depth=1
	s_delay_alu instid0(SALU_CYCLE_1)
	s_or_b32 exec_lo, exec_lo, s15
	v_cmp_lt_u64_e64 s1, s[4:5], v[24:25]
	v_mov_b32_e32 v24, 0
	s_and_saveexec_b32 s15, s1
	s_cbranch_execz .LBB268_851
; %bb.844:                              ;   in Loop: Header=BB268_523 Depth=1
	v_lshrrev_b32_e32 v10, 24, v25
	v_bfrev_b32_e32 v24, 1
	s_mov_b32 s16, exec_lo
	s_delay_alu instid0(VALU_DEP_2)
	v_cmpx_ne_u32_e32 0x80, v10
	s_cbranch_execz .LBB268_850
; %bb.845:                              ;   in Loop: Header=BB268_523 Depth=1
	v_and_b32_e32 v31, 0x7f, v10
	v_mov_b32_e32 v24, 0x7c010000
	s_mov_b32 s17, exec_lo
	s_delay_alu instid0(VALU_DEP_2)
	v_cmpx_ne_u32_e32 0x7f, v31
	s_cbranch_execz .LBB268_849
; %bb.846:                              ;   in Loop: Header=BB268_523 Depth=1
	v_dual_lshrrev_b32 v25, 3, v31 :: v_dual_bitop2_b32 v24, 7, v10 bitop3:0x40
	s_mov_b32 s18, exec_lo
	v_cmpx_gt_u32_e32 8, v31
; %bb.847:                              ;   in Loop: Header=BB268_523 Depth=1
	s_delay_alu instid0(VALU_DEP_2) | instskip(NEXT) | instid1(VALU_DEP_1)
	v_clz_i32_u32_e32 v24, v24
	v_min_u32_e32 v31, 32, v24
	s_delay_alu instid0(VALU_DEP_1) | instskip(NEXT) | instid1(VALU_DEP_1)
	v_subrev_nc_u32_e32 v24, 28, v31
	v_lshlrev_b64_e32 v[24:25], v24, v[10:11]
	s_delay_alu instid0(VALU_DEP_1)
	v_dual_sub_nc_u32 v25, 29, v31 :: v_dual_bitop2_b32 v24, 7, v24 bitop3:0x40
; %bb.848:                              ;   in Loop: Header=BB268_523 Depth=1
	s_or_b32 exec_lo, exec_lo, s18
	s_delay_alu instid0(VALU_DEP_1) | instskip(NEXT) | instid1(VALU_DEP_2)
	v_dual_lshlrev_b32 v10, 8, v10 :: v_dual_lshlrev_b32 v24, 23, v24
	v_lshl_add_u32 v25, v25, 10, 0x2000
	s_delay_alu instid0(VALU_DEP_1) | instskip(NEXT) | instid1(VALU_DEP_1)
	v_and_or_b32 v10, 0x8000, v10, v25
	v_lshl_or_b32 v24, v10, 16, v24
.LBB268_849:                            ;   in Loop: Header=BB268_523 Depth=1
	s_or_b32 exec_lo, exec_lo, s17
.LBB268_850:                            ;   in Loop: Header=BB268_523 Depth=1
	s_delay_alu instid0(SALU_CYCLE_1)
	s_or_b32 exec_lo, exec_lo, s16
.LBB268_851:                            ;   in Loop: Header=BB268_523 Depth=1
	s_delay_alu instid0(SALU_CYCLE_1) | instskip(SKIP_3) | instid1(VALU_DEP_3)
	s_or_b32 exec_lo, exec_lo, s15
	v_dual_lshrrev_b32 v10, 16, v1 :: v_dual_lshrrev_b32 v25, 16, v26
	v_or_b32_e32 v1, v1, v23
	v_dual_lshrrev_b32 v31, 16, v24 :: v_dual_bitop2_b32 v23, v26, v27 bitop3:0x54
	v_cvt_f32_f16_e32 v27, v10
	s_delay_alu instid0(VALU_DEP_4) | instskip(SKIP_1) | instid1(VALU_DEP_4)
	v_cvt_f32_f16_e32 v26, v25
	v_dual_lshrrev_b32 v29, 16, v30 :: v_dual_bitop2_b32 v10, v24, v29 bitop3:0x54
	v_cvt_f32_f16_e32 v24, v23
	v_cvt_f32_f16_e32 v25, v1
	s_wait_loadcnt 0x0
	v_pk_mul_f32 v[26:27], v[22:23], v[26:27] op_sel_hi:[0,1]
	v_cvt_f32_f16_e32 v29, v29
	s_delay_alu instid0(VALU_DEP_2) | instskip(SKIP_3) | instid1(VALU_DEP_3)
	v_cvt_pk_f16_f32 v1, v26, v27
	v_or_b32_e32 v23, v30, v28
	v_cvt_f32_f16_e32 v28, v31
	v_cvt_f32_f16_e32 v30, v10
	;; [unrolled: 1-line block ×3, first 2 shown]
	v_pk_mul_f32 v[24:25], v[22:23], v[24:25] op_sel_hi:[0,1]
	s_delay_alu instid0(VALU_DEP_4) | instskip(NEXT) | instid1(VALU_DEP_3)
	v_pk_mul_f32 v[26:27], v[22:23], v[28:29] op_sel_hi:[0,1]
	v_pk_mul_f32 v[28:29], v[22:23], v[30:31] op_sel_hi:[0,1]
	s_delay_alu instid0(VALU_DEP_3) | instskip(NEXT) | instid1(VALU_DEP_3)
	v_cvt_pk_f16_f32 v10, v24, v25
	v_cvt_pk_f16_f32 v23, v26, v27
	v_and_b32_e32 v25, 0xffff0000, v1
	v_lshlrev_b32_e32 v22, 16, v1
	v_cvt_pk_f16_f32 v24, v28, v29
	v_lshrrev_b32_e32 v27, 16, v10
	v_and_b32_e32 v26, 0xffff, v10
	v_and_b32_e32 v1, 0xffff0000, v23
	s_delay_alu instid0(VALU_DEP_4) | instskip(SKIP_3) | instid1(VALU_DEP_4)
	v_dual_lshlrev_b32 v10, 16, v23 :: v_dual_lshrrev_b32 v23, 16, v24
	v_and_b32_e32 v24, 0xffff, v24
	v_or_b32_e32 v31, v25, v27
	v_or_b32_e32 v30, v22, v26
	;; [unrolled: 1-line block ×3, first 2 shown]
	s_delay_alu instid0(VALU_DEP_4)
	v_or_b32_e32 v28, v10, v24
	s_and_saveexec_b32 s15, s0
	s_cbranch_execz .LBB268_853
; %bb.852:                              ;   in Loop: Header=BB268_523 Depth=1
	v_dual_add_nc_u32 v28, 2, v37 :: v_dual_bitop2_b32 v29, 1, v37 bitop3:0x54
	v_cmp_gt_i32_e64 s1, s14, v37
	v_or_b32_e32 v30, 3, v37
	s_delay_alu instid0(VALU_DEP_2) | instskip(NEXT) | instid1(VALU_DEP_4)
	v_dual_cndmask_b32 v27, 0, v27, s1 :: v_dual_bitop2_b32 v31, 7, v37 bitop3:0x54
	v_cmp_gt_i32_e64 s1, s23, v28
	s_delay_alu instid0(VALU_DEP_1) | instskip(SKIP_1) | instid1(VALU_DEP_1)
	v_cndmask_b32_e64 v26, 0, v26, s1
	v_cmp_gt_i32_e64 s1, s14, v29
	v_cndmask_b32_e64 v25, 0, v25, s1
	v_cmp_gt_i32_e64 s1, s23, v30
	s_delay_alu instid0(VALU_DEP_1) | instskip(NEXT) | instid1(VALU_DEP_1)
	v_dual_cndmask_b32 v22, 0, v22, s1 :: v_dual_bitop2_b32 v28, 4, v37 bitop3:0x54
	v_cmp_gt_i32_e64 s1, s14, v28
	s_delay_alu instid0(VALU_DEP_1) | instskip(NEXT) | instid1(VALU_DEP_1)
	v_dual_cndmask_b32 v23, 0, v23, s1 :: v_dual_bitop2_b32 v29, 6, v37 bitop3:0x54
	v_cmp_gt_i32_e64 s1, s23, v29
	s_delay_alu instid0(VALU_DEP_1) | instskip(NEXT) | instid1(VALU_DEP_1)
	v_dual_cndmask_b32 v24, 0, v24, s1 :: v_dual_bitop2_b32 v30, 5, v37 bitop3:0x54
	v_cmp_gt_i32_e64 s1, s14, v30
	s_delay_alu instid0(VALU_DEP_1) | instskip(SKIP_2) | instid1(VALU_DEP_2)
	v_dual_cndmask_b32 v1, 0, v1, s1 :: v_dual_bitop2_b32 v30, v22, v26 bitop3:0x54
	v_cmp_gt_i32_e64 s1, s23, v31
	v_or_b32_e32 v31, v25, v27
	v_dual_cndmask_b32 v10, 0, v10, s1 :: v_dual_bitop2_b32 v29, v1, v23 bitop3:0x54
	s_delay_alu instid0(VALU_DEP_1)
	v_or_b32_e32 v28, v10, v24
.LBB268_853:                            ;   in Loop: Header=BB268_523 Depth=1
	s_or_b32 exec_lo, exec_lo, s15
	;;#ASMSTART
	v_pk_mul_f16 v1, v47, v31;

	;;#ASMEND
	;;#ASMSTART
	v_pk_mul_f16 v10, v46, v30;

	;;#ASMEND
	;; [unrolled: 4-line block ×4, first 2 shown]
	;;#ASMSTART
	v_pk_add_f16 v1, v1, v10;

	;;#ASMEND
	;;#ASMSTART
	v_pk_add_f16 v1, v1, v22;

	;;#ASMEND
	;; [unrolled: 4-line block ×3, first 2 shown]
	v_and_b32_e32 v10, 0xffff, v1
	v_dual_lshrrev_b32 v1, 16, v1 :: v_dual_mov_b32 v23, 0
	;;#ASMSTART
	v_cvt_f32_f16 v54, v10;
	;;#ASMEND
	;;#ASMSTART
	v_cvt_f32_f16 v55, v1;
	;;#ASMEND
	global_load_b64 v[24:25], v[20:21], off offset:1280
	v_mov_b32_e32 v1, 0
	s_mov_b32 s15, exec_lo
	global_load_b32 v22, v1, s[10:11]
	s_wait_loadcnt 0x1
	v_and_b32_e32 v10, 0xff, v24
	s_wait_xcnt 0x0
	s_delay_alu instid0(VALU_DEP_1)
	v_cmpx_ne_u16_e32 0, v10
	s_cbranch_execz .LBB268_861
; %bb.854:                              ;   in Loop: Header=BB268_523 Depth=1
	v_mov_b32_e32 v23, 0x8000
	s_mov_b32 s16, exec_lo
	v_cmpx_ne_u16_e32 0x80, v10
	s_cbranch_execz .LBB268_860
; %bb.855:                              ;   in Loop: Header=BB268_523 Depth=1
	v_and_b32_e32 v26, 0x7f, v24
	v_mov_b32_e32 v23, 0x7c01
	s_mov_b32 s17, exec_lo
	s_delay_alu instid0(VALU_DEP_2)
	v_cmpx_ne_u32_e32 0x7f, v26
	s_cbranch_execz .LBB268_859
; %bb.856:                              ;   in Loop: Header=BB268_523 Depth=1
	v_dual_lshrrev_b32 v23, 3, v26 :: v_dual_bitop2_b32 v10, 7, v24 bitop3:0x40
	s_mov_b32 s18, exec_lo
	v_cmpx_gt_u32_e32 8, v26
; %bb.857:                              ;   in Loop: Header=BB268_523 Depth=1
	s_delay_alu instid0(VALU_DEP_2) | instskip(NEXT) | instid1(VALU_DEP_1)
	v_clz_i32_u32_e32 v10, v10
	v_min_u32_e32 v10, 32, v10
	s_delay_alu instid0(VALU_DEP_1) | instskip(NEXT) | instid1(VALU_DEP_1)
	v_subrev_nc_u32_e32 v23, 28, v10
	v_lshlrev_b64_e32 v[26:27], v23, v[24:25]
	v_sub_nc_u32_e32 v23, 29, v10
	s_delay_alu instid0(VALU_DEP_2)
	v_and_b32_e32 v10, 7, v26
; %bb.858:                              ;   in Loop: Header=BB268_523 Depth=1
	s_or_b32 exec_lo, exec_lo, s18
	s_delay_alu instid0(VALU_DEP_1) | instskip(NEXT) | instid1(VALU_DEP_3)
	v_dual_lshlrev_b32 v26, 8, v24 :: v_dual_lshlrev_b32 v10, 7, v10
	v_lshl_add_u32 v23, v23, 10, 0x2000
	s_delay_alu instid0(VALU_DEP_2) | instskip(NEXT) | instid1(VALU_DEP_2)
	v_and_b32_e32 v26, 0x8000, v26
	v_and_b32_e32 v23, 0xfc00, v23
	s_delay_alu instid0(VALU_DEP_1)
	v_or3_b32 v23, v26, v23, v10
.LBB268_859:                            ;   in Loop: Header=BB268_523 Depth=1
	s_or_b32 exec_lo, exec_lo, s17
.LBB268_860:                            ;   in Loop: Header=BB268_523 Depth=1
	s_delay_alu instid0(SALU_CYCLE_1)
	s_or_b32 exec_lo, exec_lo, s16
.LBB268_861:                            ;   in Loop: Header=BB268_523 Depth=1
	s_delay_alu instid0(SALU_CYCLE_1) | instskip(SKIP_2) | instid1(VALU_DEP_1)
	s_or_b32 exec_lo, exec_lo, s15
	v_lshrrev_b16 v10, 8, v24
	s_mov_b32 s15, exec_lo
	v_cmpx_ne_u16_e32 0, v10
	s_cbranch_execz .LBB268_869
; %bb.862:                              ;   in Loop: Header=BB268_523 Depth=1
	v_bfrev_b32_e32 v1, 1
	s_mov_b32 s16, exec_lo
	v_cmpx_ne_u16_e32 0x80, v10
	s_cbranch_execz .LBB268_868
; %bb.863:                              ;   in Loop: Header=BB268_523 Depth=1
	v_and_b32_e32 v26, 0xffff, v10
	v_mov_b32_e32 v1, 0x7c010000
	s_mov_b32 s17, exec_lo
	s_delay_alu instid0(VALU_DEP_2) | instskip(NEXT) | instid1(VALU_DEP_1)
	v_and_b32_e32 v28, 0x7f, v26
	v_cmpx_ne_u32_e32 0x7f, v28
	s_cbranch_execz .LBB268_867
; %bb.864:                              ;   in Loop: Header=BB268_523 Depth=1
	v_dual_lshrrev_b32 v27, 3, v28 :: v_dual_bitop2_b32 v1, 7, v26 bitop3:0x40
	s_mov_b32 s18, exec_lo
	v_cmpx_gt_u32_e32 8, v28
; %bb.865:                              ;   in Loop: Header=BB268_523 Depth=1
	s_delay_alu instid0(VALU_DEP_2) | instskip(NEXT) | instid1(VALU_DEP_1)
	v_clz_i32_u32_e32 v1, v1
	v_min_u32_e32 v1, 32, v1
	s_delay_alu instid0(VALU_DEP_1) | instskip(NEXT) | instid1(VALU_DEP_1)
	v_subrev_nc_u32_e32 v27, 28, v1
	v_lshlrev_b64_e32 v[28:29], v27, v[10:11]
	s_delay_alu instid0(VALU_DEP_1)
	v_dual_sub_nc_u32 v27, 29, v1 :: v_dual_bitop2_b32 v1, 7, v28 bitop3:0x40
; %bb.866:                              ;   in Loop: Header=BB268_523 Depth=1
	s_or_b32 exec_lo, exec_lo, s18
	s_delay_alu instid0(VALU_DEP_1) | instskip(NEXT) | instid1(VALU_DEP_2)
	v_dual_lshlrev_b32 v10, 8, v26 :: v_dual_lshlrev_b32 v1, 23, v1
	v_lshl_add_u32 v26, v27, 10, 0x2000
	s_delay_alu instid0(VALU_DEP_1) | instskip(NEXT) | instid1(VALU_DEP_1)
	v_and_or_b32 v10, 0x8000, v10, v26
	v_lshl_or_b32 v1, v10, 16, v1
.LBB268_867:                            ;   in Loop: Header=BB268_523 Depth=1
	s_or_b32 exec_lo, exec_lo, s17
.LBB268_868:                            ;   in Loop: Header=BB268_523 Depth=1
	s_delay_alu instid0(SALU_CYCLE_1)
	s_or_b32 exec_lo, exec_lo, s16
.LBB268_869:                            ;   in Loop: Header=BB268_523 Depth=1
	s_delay_alu instid0(SALU_CYCLE_1) | instskip(SKIP_3) | instid1(VALU_DEP_2)
	s_or_b32 exec_lo, exec_lo, s15
	v_dual_lshrrev_b32 v10, 16, v24 :: v_dual_mov_b32 v26, 0
	v_mov_b32_e32 v27, 0
	s_mov_b32 s15, exec_lo
	v_and_b32_e32 v28, 0xff, v10
	s_delay_alu instid0(VALU_DEP_1)
	v_cmpx_ne_u16_e32 0, v28
	s_cbranch_execz .LBB268_877
; %bb.870:                              ;   in Loop: Header=BB268_523 Depth=1
	v_mov_b32_e32 v27, 0x8000
	s_mov_b32 s16, exec_lo
	v_cmpx_ne_u16_e32 0x80, v28
	s_cbranch_execz .LBB268_876
; %bb.871:                              ;   in Loop: Header=BB268_523 Depth=1
	v_bfe_u32 v29, v24, 16, 7
	v_mov_b32_e32 v27, 0x7c01
	s_mov_b32 s17, exec_lo
	s_delay_alu instid0(VALU_DEP_2)
	v_cmpx_ne_u32_e32 0x7f, v29
	s_cbranch_execz .LBB268_875
; %bb.872:                              ;   in Loop: Header=BB268_523 Depth=1
	v_dual_lshrrev_b32 v28, 3, v29 :: v_dual_bitop2_b32 v27, 7, v10 bitop3:0x40
	s_mov_b32 s18, exec_lo
	v_cmpx_gt_u32_e32 8, v29
; %bb.873:                              ;   in Loop: Header=BB268_523 Depth=1
	s_delay_alu instid0(VALU_DEP_2) | instskip(NEXT) | instid1(VALU_DEP_1)
	v_clz_i32_u32_e32 v27, v27
	v_min_u32_e32 v27, 32, v27
	s_delay_alu instid0(VALU_DEP_1) | instskip(NEXT) | instid1(VALU_DEP_1)
	v_subrev_nc_u32_e32 v28, 28, v27
	v_lshlrev_b64_e32 v[30:31], v28, v[10:11]
	s_delay_alu instid0(VALU_DEP_1)
	v_dual_sub_nc_u32 v28, 29, v27 :: v_dual_bitop2_b32 v27, 7, v30 bitop3:0x40
; %bb.874:                              ;   in Loop: Header=BB268_523 Depth=1
	s_or_b32 exec_lo, exec_lo, s18
	s_delay_alu instid0(VALU_DEP_1) | instskip(NEXT) | instid1(VALU_DEP_2)
	v_dual_lshlrev_b32 v10, 8, v10 :: v_dual_lshlrev_b32 v27, 7, v27
	v_lshl_add_u32 v28, v28, 10, 0x2000
	s_delay_alu instid0(VALU_DEP_2) | instskip(NEXT) | instid1(VALU_DEP_2)
	v_and_b32_e32 v10, 0x8000, v10
	v_and_b32_e32 v28, 0xfc00, v28
	s_delay_alu instid0(VALU_DEP_1)
	v_or3_b32 v27, v10, v28, v27
.LBB268_875:                            ;   in Loop: Header=BB268_523 Depth=1
	s_or_b32 exec_lo, exec_lo, s17
.LBB268_876:                            ;   in Loop: Header=BB268_523 Depth=1
	s_delay_alu instid0(SALU_CYCLE_1)
	s_or_b32 exec_lo, exec_lo, s16
.LBB268_877:                            ;   in Loop: Header=BB268_523 Depth=1
	s_delay_alu instid0(SALU_CYCLE_1) | instskip(NEXT) | instid1(SALU_CYCLE_1)
	s_or_b32 exec_lo, exec_lo, s15
	s_mov_b32 s15, exec_lo
	v_cmpx_lt_u32_e32 0xffffff, v24
	s_cbranch_execz .LBB268_885
; %bb.878:                              ;   in Loop: Header=BB268_523 Depth=1
	v_lshrrev_b32_e32 v10, 24, v24
	v_bfrev_b32_e32 v26, 1
	s_mov_b32 s16, exec_lo
	s_delay_alu instid0(VALU_DEP_2)
	v_cmpx_ne_u32_e32 0x80, v10
	s_cbranch_execz .LBB268_884
; %bb.879:                              ;   in Loop: Header=BB268_523 Depth=1
	v_and_b32_e32 v29, 0x7f, v10
	v_mov_b32_e32 v26, 0x7c010000
	s_mov_b32 s17, exec_lo
	s_delay_alu instid0(VALU_DEP_2)
	v_cmpx_ne_u32_e32 0x7f, v29
	s_cbranch_execz .LBB268_883
; %bb.880:                              ;   in Loop: Header=BB268_523 Depth=1
	v_dual_lshrrev_b32 v28, 3, v29 :: v_dual_bitop2_b32 v26, 7, v10 bitop3:0x40
	s_mov_b32 s18, exec_lo
	v_cmpx_gt_u32_e32 8, v29
; %bb.881:                              ;   in Loop: Header=BB268_523 Depth=1
	s_delay_alu instid0(VALU_DEP_2) | instskip(NEXT) | instid1(VALU_DEP_1)
	v_clz_i32_u32_e32 v26, v26
	v_min_u32_e32 v26, 32, v26
	s_delay_alu instid0(VALU_DEP_1) | instskip(NEXT) | instid1(VALU_DEP_1)
	v_subrev_nc_u32_e32 v28, 28, v26
	v_lshlrev_b64_e32 v[30:31], v28, v[10:11]
	v_sub_nc_u32_e32 v28, 29, v26
	s_delay_alu instid0(VALU_DEP_2)
	v_and_b32_e32 v26, 7, v30
; %bb.882:                              ;   in Loop: Header=BB268_523 Depth=1
	s_or_b32 exec_lo, exec_lo, s18
	v_lshlrev_b32_e32 v10, 8, v10
	s_delay_alu instid0(VALU_DEP_3) | instskip(NEXT) | instid1(VALU_DEP_3)
	v_lshl_add_u32 v28, v28, 10, 0x2000
	v_lshlrev_b32_e32 v26, 23, v26
	s_delay_alu instid0(VALU_DEP_2) | instskip(NEXT) | instid1(VALU_DEP_1)
	v_and_or_b32 v10, 0x8000, v10, v28
	v_lshl_or_b32 v26, v10, 16, v26
.LBB268_883:                            ;   in Loop: Header=BB268_523 Depth=1
	s_or_b32 exec_lo, exec_lo, s17
.LBB268_884:                            ;   in Loop: Header=BB268_523 Depth=1
	s_delay_alu instid0(SALU_CYCLE_1)
	s_or_b32 exec_lo, exec_lo, s16
.LBB268_885:                            ;   in Loop: Header=BB268_523 Depth=1
	s_delay_alu instid0(SALU_CYCLE_1) | instskip(SKIP_4) | instid1(VALU_DEP_3)
	s_or_b32 exec_lo, exec_lo, s15
	v_and_b32_e32 v30, 0xff, v25
	v_dual_mov_b32 v10, v25 :: v_dual_mov_b32 v29, 0
	v_mov_b32_e32 v28, 0
	s_mov_b32 s15, exec_lo
	v_cmpx_ne_u16_e32 0, v30
	s_cbranch_execz .LBB268_893
; %bb.886:                              ;   in Loop: Header=BB268_523 Depth=1
	v_mov_b32_e32 v28, 0x8000
	s_mov_b32 s16, exec_lo
	v_cmpx_ne_u16_e32 0x80, v30
	s_cbranch_execz .LBB268_892
; %bb.887:                              ;   in Loop: Header=BB268_523 Depth=1
	v_and_b32_e32 v31, 0x7f, v25
	v_mov_b32_e32 v28, 0x7c01
	s_mov_b32 s17, exec_lo
	s_delay_alu instid0(VALU_DEP_2)
	v_cmpx_ne_u32_e32 0x7f, v31
	s_cbranch_execz .LBB268_891
; %bb.888:                              ;   in Loop: Header=BB268_523 Depth=1
	v_dual_lshrrev_b32 v30, 3, v31 :: v_dual_bitop2_b32 v28, 7, v25 bitop3:0x40
	s_mov_b32 s18, exec_lo
	v_cmpx_gt_u32_e32 8, v31
; %bb.889:                              ;   in Loop: Header=BB268_523 Depth=1
	s_delay_alu instid0(VALU_DEP_2) | instskip(NEXT) | instid1(VALU_DEP_1)
	v_clz_i32_u32_e32 v28, v28
	v_min_u32_e32 v28, 32, v28
	s_delay_alu instid0(VALU_DEP_1) | instskip(NEXT) | instid1(VALU_DEP_1)
	v_subrev_nc_u32_e32 v30, 28, v28
	v_lshlrev_b64_e32 v[40:41], v30, v[10:11]
	v_sub_nc_u32_e32 v30, 29, v28
	s_delay_alu instid0(VALU_DEP_2)
	v_and_b32_e32 v28, 7, v40
; %bb.890:                              ;   in Loop: Header=BB268_523 Depth=1
	s_or_b32 exec_lo, exec_lo, s18
	s_delay_alu instid0(VALU_DEP_1) | instskip(NEXT) | instid1(VALU_DEP_3)
	v_dual_lshlrev_b32 v31, 8, v25 :: v_dual_lshlrev_b32 v28, 7, v28
	v_lshl_add_u32 v30, v30, 10, 0x2000
	s_delay_alu instid0(VALU_DEP_2) | instskip(NEXT) | instid1(VALU_DEP_2)
	v_and_b32_e32 v31, 0x8000, v31
	v_and_b32_e32 v30, 0xfc00, v30
	s_delay_alu instid0(VALU_DEP_1)
	v_or3_b32 v28, v31, v30, v28
.LBB268_891:                            ;   in Loop: Header=BB268_523 Depth=1
	s_or_b32 exec_lo, exec_lo, s17
.LBB268_892:                            ;   in Loop: Header=BB268_523 Depth=1
	s_delay_alu instid0(SALU_CYCLE_1)
	s_or_b32 exec_lo, exec_lo, s16
.LBB268_893:                            ;   in Loop: Header=BB268_523 Depth=1
	s_delay_alu instid0(SALU_CYCLE_1) | instskip(SKIP_3) | instid1(VALU_DEP_2)
	s_or_b32 exec_lo, exec_lo, s15
	v_lshrrev_b16 v10, 8, v10
	v_mov_b32_e32 v30, 0
	s_mov_b32 s15, exec_lo
	v_cmpx_ne_u16_e32 0, v10
	s_cbranch_execz .LBB268_901
; %bb.894:                              ;   in Loop: Header=BB268_523 Depth=1
	v_bfrev_b32_e32 v30, 1
	s_mov_b32 s16, exec_lo
	v_cmpx_ne_u16_e32 0x80, v10
	s_cbranch_execz .LBB268_900
; %bb.895:                              ;   in Loop: Header=BB268_523 Depth=1
	v_and_b32_e32 v31, 0xffff, v10
	v_mov_b32_e32 v30, 0x7c010000
	s_mov_b32 s17, exec_lo
	s_delay_alu instid0(VALU_DEP_2) | instskip(NEXT) | instid1(VALU_DEP_1)
	v_and_b32_e32 v41, 0x7f, v31
	v_cmpx_ne_u32_e32 0x7f, v41
	s_cbranch_execz .LBB268_899
; %bb.896:                              ;   in Loop: Header=BB268_523 Depth=1
	v_dual_lshrrev_b32 v40, 3, v41 :: v_dual_bitop2_b32 v30, 7, v31 bitop3:0x40
	s_mov_b32 s18, exec_lo
	v_cmpx_gt_u32_e32 8, v41
; %bb.897:                              ;   in Loop: Header=BB268_523 Depth=1
	s_delay_alu instid0(VALU_DEP_2) | instskip(NEXT) | instid1(VALU_DEP_1)
	v_clz_i32_u32_e32 v30, v30
	v_min_u32_e32 v30, 32, v30
	s_delay_alu instid0(VALU_DEP_1) | instskip(NEXT) | instid1(VALU_DEP_1)
	v_subrev_nc_u32_e32 v40, 28, v30
	v_lshlrev_b64_e32 v[56:57], v40, v[10:11]
	s_delay_alu instid0(VALU_DEP_1)
	v_dual_sub_nc_u32 v40, 29, v30 :: v_dual_bitop2_b32 v30, 7, v56 bitop3:0x40
; %bb.898:                              ;   in Loop: Header=BB268_523 Depth=1
	s_or_b32 exec_lo, exec_lo, s18
	s_delay_alu instid0(VALU_DEP_1) | instskip(NEXT) | instid1(VALU_DEP_2)
	v_dual_lshlrev_b32 v10, 8, v31 :: v_dual_lshlrev_b32 v30, 23, v30
	v_lshl_add_u32 v31, v40, 10, 0x2000
	s_delay_alu instid0(VALU_DEP_1) | instskip(NEXT) | instid1(VALU_DEP_1)
	v_and_or_b32 v10, 0x8000, v10, v31
	v_lshl_or_b32 v30, v10, 16, v30
.LBB268_899:                            ;   in Loop: Header=BB268_523 Depth=1
	s_or_b32 exec_lo, exec_lo, s17
.LBB268_900:                            ;   in Loop: Header=BB268_523 Depth=1
	s_delay_alu instid0(SALU_CYCLE_1)
	s_or_b32 exec_lo, exec_lo, s16
.LBB268_901:                            ;   in Loop: Header=BB268_523 Depth=1
	s_delay_alu instid0(SALU_CYCLE_1) | instskip(SKIP_2) | instid1(VALU_DEP_1)
	s_or_b32 exec_lo, exec_lo, s15
	v_lshrrev_b32_e32 v10, 16, v25
	s_mov_b32 s15, exec_lo
	v_and_b32_e32 v31, 0xff, v10
	s_delay_alu instid0(VALU_DEP_1)
	v_cmpx_ne_u16_e32 0, v31
	s_cbranch_execz .LBB268_909
; %bb.902:                              ;   in Loop: Header=BB268_523 Depth=1
	v_mov_b32_e32 v29, 0x8000
	s_mov_b32 s16, exec_lo
	v_cmpx_ne_u16_e32 0x80, v31
	s_cbranch_execz .LBB268_908
; %bb.903:                              ;   in Loop: Header=BB268_523 Depth=1
	v_bfe_u32 v40, v25, 16, 7
	v_mov_b32_e32 v29, 0x7c01
	s_mov_b32 s17, exec_lo
	s_delay_alu instid0(VALU_DEP_2)
	v_cmpx_ne_u32_e32 0x7f, v40
	s_cbranch_execz .LBB268_907
; %bb.904:                              ;   in Loop: Header=BB268_523 Depth=1
	v_dual_lshrrev_b32 v31, 3, v40 :: v_dual_bitop2_b32 v29, 7, v10 bitop3:0x40
	s_mov_b32 s18, exec_lo
	v_cmpx_gt_u32_e32 8, v40
; %bb.905:                              ;   in Loop: Header=BB268_523 Depth=1
	s_delay_alu instid0(VALU_DEP_2) | instskip(NEXT) | instid1(VALU_DEP_1)
	v_clz_i32_u32_e32 v29, v29
	v_min_u32_e32 v29, 32, v29
	s_delay_alu instid0(VALU_DEP_1) | instskip(NEXT) | instid1(VALU_DEP_1)
	v_subrev_nc_u32_e32 v31, 28, v29
	v_lshlrev_b64_e32 v[40:41], v31, v[10:11]
	s_delay_alu instid0(VALU_DEP_1)
	v_dual_sub_nc_u32 v31, 29, v29 :: v_dual_bitop2_b32 v29, 7, v40 bitop3:0x40
; %bb.906:                              ;   in Loop: Header=BB268_523 Depth=1
	s_or_b32 exec_lo, exec_lo, s18
	s_delay_alu instid0(VALU_DEP_1) | instskip(NEXT) | instid1(VALU_DEP_2)
	v_dual_lshlrev_b32 v10, 8, v10 :: v_dual_lshlrev_b32 v29, 7, v29
	v_lshl_add_u32 v31, v31, 10, 0x2000
	s_delay_alu instid0(VALU_DEP_2) | instskip(NEXT) | instid1(VALU_DEP_2)
	v_and_b32_e32 v10, 0x8000, v10
	v_and_b32_e32 v31, 0xfc00, v31
	s_delay_alu instid0(VALU_DEP_1)
	v_or3_b32 v29, v10, v31, v29
.LBB268_907:                            ;   in Loop: Header=BB268_523 Depth=1
	s_or_b32 exec_lo, exec_lo, s17
.LBB268_908:                            ;   in Loop: Header=BB268_523 Depth=1
	s_delay_alu instid0(SALU_CYCLE_1)
	s_or_b32 exec_lo, exec_lo, s16
.LBB268_909:                            ;   in Loop: Header=BB268_523 Depth=1
	s_delay_alu instid0(SALU_CYCLE_1)
	s_or_b32 exec_lo, exec_lo, s15
	v_cmp_lt_u64_e64 s1, s[4:5], v[24:25]
	v_mov_b32_e32 v24, 0
	s_and_saveexec_b32 s15, s1
	s_cbranch_execz .LBB268_917
; %bb.910:                              ;   in Loop: Header=BB268_523 Depth=1
	v_lshrrev_b32_e32 v10, 24, v25
	v_bfrev_b32_e32 v24, 1
	s_mov_b32 s16, exec_lo
	s_delay_alu instid0(VALU_DEP_2)
	v_cmpx_ne_u32_e32 0x80, v10
	s_cbranch_execz .LBB268_916
; %bb.911:                              ;   in Loop: Header=BB268_523 Depth=1
	v_and_b32_e32 v31, 0x7f, v10
	v_mov_b32_e32 v24, 0x7c010000
	s_mov_b32 s17, exec_lo
	s_delay_alu instid0(VALU_DEP_2)
	v_cmpx_ne_u32_e32 0x7f, v31
	s_cbranch_execz .LBB268_915
; %bb.912:                              ;   in Loop: Header=BB268_523 Depth=1
	v_dual_lshrrev_b32 v25, 3, v31 :: v_dual_bitop2_b32 v24, 7, v10 bitop3:0x40
	s_mov_b32 s18, exec_lo
	v_cmpx_gt_u32_e32 8, v31
; %bb.913:                              ;   in Loop: Header=BB268_523 Depth=1
	s_delay_alu instid0(VALU_DEP_2) | instskip(NEXT) | instid1(VALU_DEP_1)
	v_clz_i32_u32_e32 v24, v24
	v_min_u32_e32 v31, 32, v24
	s_delay_alu instid0(VALU_DEP_1) | instskip(NEXT) | instid1(VALU_DEP_1)
	v_subrev_nc_u32_e32 v24, 28, v31
	v_lshlrev_b64_e32 v[24:25], v24, v[10:11]
	s_delay_alu instid0(VALU_DEP_1)
	v_dual_sub_nc_u32 v25, 29, v31 :: v_dual_bitop2_b32 v24, 7, v24 bitop3:0x40
; %bb.914:                              ;   in Loop: Header=BB268_523 Depth=1
	s_or_b32 exec_lo, exec_lo, s18
	s_delay_alu instid0(VALU_DEP_1) | instskip(NEXT) | instid1(VALU_DEP_2)
	v_dual_lshlrev_b32 v10, 8, v10 :: v_dual_lshlrev_b32 v24, 23, v24
	v_lshl_add_u32 v25, v25, 10, 0x2000
	s_delay_alu instid0(VALU_DEP_1) | instskip(NEXT) | instid1(VALU_DEP_1)
	v_and_or_b32 v10, 0x8000, v10, v25
	v_lshl_or_b32 v24, v10, 16, v24
.LBB268_915:                            ;   in Loop: Header=BB268_523 Depth=1
	s_or_b32 exec_lo, exec_lo, s17
.LBB268_916:                            ;   in Loop: Header=BB268_523 Depth=1
	s_delay_alu instid0(SALU_CYCLE_1)
	s_or_b32 exec_lo, exec_lo, s16
.LBB268_917:                            ;   in Loop: Header=BB268_523 Depth=1
	s_delay_alu instid0(SALU_CYCLE_1) | instskip(SKIP_3) | instid1(VALU_DEP_3)
	s_or_b32 exec_lo, exec_lo, s15
	v_dual_lshrrev_b32 v10, 16, v1 :: v_dual_lshrrev_b32 v25, 16, v26
	v_or_b32_e32 v1, v1, v23
	v_dual_lshrrev_b32 v31, 16, v24 :: v_dual_bitop2_b32 v23, v26, v27 bitop3:0x54
	v_cvt_f32_f16_e32 v27, v10
	s_delay_alu instid0(VALU_DEP_4) | instskip(SKIP_1) | instid1(VALU_DEP_4)
	v_cvt_f32_f16_e32 v26, v25
	v_dual_lshrrev_b32 v29, 16, v30 :: v_dual_bitop2_b32 v10, v24, v29 bitop3:0x54
	v_cvt_f32_f16_e32 v24, v23
	v_cvt_f32_f16_e32 v25, v1
	s_wait_loadcnt 0x0
	v_pk_mul_f32 v[26:27], v[22:23], v[26:27] op_sel_hi:[0,1]
	v_cvt_f32_f16_e32 v29, v29
	s_delay_alu instid0(VALU_DEP_2) | instskip(SKIP_3) | instid1(VALU_DEP_3)
	v_cvt_pk_f16_f32 v1, v26, v27
	v_or_b32_e32 v23, v30, v28
	v_cvt_f32_f16_e32 v28, v31
	v_cvt_f32_f16_e32 v30, v10
	;; [unrolled: 1-line block ×3, first 2 shown]
	v_pk_mul_f32 v[24:25], v[22:23], v[24:25] op_sel_hi:[0,1]
	s_delay_alu instid0(VALU_DEP_4) | instskip(NEXT) | instid1(VALU_DEP_3)
	v_pk_mul_f32 v[26:27], v[22:23], v[28:29] op_sel_hi:[0,1]
	v_pk_mul_f32 v[28:29], v[22:23], v[30:31] op_sel_hi:[0,1]
	s_delay_alu instid0(VALU_DEP_3) | instskip(NEXT) | instid1(VALU_DEP_3)
	v_cvt_pk_f16_f32 v10, v24, v25
	v_cvt_pk_f16_f32 v23, v26, v27
	v_and_b32_e32 v25, 0xffff0000, v1
	v_lshlrev_b32_e32 v22, 16, v1
	v_cvt_pk_f16_f32 v24, v28, v29
	v_lshrrev_b32_e32 v27, 16, v10
	v_and_b32_e32 v26, 0xffff, v10
	v_and_b32_e32 v1, 0xffff0000, v23
	s_delay_alu instid0(VALU_DEP_4) | instskip(SKIP_3) | instid1(VALU_DEP_4)
	v_dual_lshlrev_b32 v10, 16, v23 :: v_dual_lshrrev_b32 v23, 16, v24
	v_and_b32_e32 v24, 0xffff, v24
	v_or_b32_e32 v31, v25, v27
	v_or_b32_e32 v30, v22, v26
	;; [unrolled: 1-line block ×3, first 2 shown]
	s_delay_alu instid0(VALU_DEP_4)
	v_or_b32_e32 v28, v10, v24
	s_and_saveexec_b32 s15, s0
	s_cbranch_execz .LBB268_919
; %bb.918:                              ;   in Loop: Header=BB268_523 Depth=1
	v_dual_add_nc_u32 v28, 2, v37 :: v_dual_bitop2_b32 v29, 1, v37 bitop3:0x54
	v_cmp_gt_i32_e64 s1, s14, v37
	v_or_b32_e32 v30, 3, v37
	s_delay_alu instid0(VALU_DEP_2) | instskip(NEXT) | instid1(VALU_DEP_4)
	v_dual_cndmask_b32 v27, 0, v27, s1 :: v_dual_bitop2_b32 v31, 7, v37 bitop3:0x54
	v_cmp_gt_i32_e64 s1, s23, v28
	s_delay_alu instid0(VALU_DEP_1) | instskip(SKIP_1) | instid1(VALU_DEP_1)
	v_cndmask_b32_e64 v26, 0, v26, s1
	v_cmp_gt_i32_e64 s1, s14, v29
	v_cndmask_b32_e64 v25, 0, v25, s1
	v_cmp_gt_i32_e64 s1, s23, v30
	s_delay_alu instid0(VALU_DEP_1) | instskip(NEXT) | instid1(VALU_DEP_1)
	v_dual_cndmask_b32 v22, 0, v22, s1 :: v_dual_bitop2_b32 v28, 4, v37 bitop3:0x54
	v_cmp_gt_i32_e64 s1, s14, v28
	s_delay_alu instid0(VALU_DEP_1) | instskip(NEXT) | instid1(VALU_DEP_1)
	v_dual_cndmask_b32 v23, 0, v23, s1 :: v_dual_bitop2_b32 v29, 6, v37 bitop3:0x54
	;; [unrolled: 3-line block ×3, first 2 shown]
	v_cmp_gt_i32_e64 s1, s14, v30
	s_delay_alu instid0(VALU_DEP_1) | instskip(SKIP_2) | instid1(VALU_DEP_2)
	v_dual_cndmask_b32 v1, 0, v1, s1 :: v_dual_bitop2_b32 v30, v22, v26 bitop3:0x54
	v_cmp_gt_i32_e64 s1, s23, v31
	v_or_b32_e32 v31, v25, v27
	v_dual_cndmask_b32 v10, 0, v10, s1 :: v_dual_bitop2_b32 v29, v1, v23 bitop3:0x54
	s_delay_alu instid0(VALU_DEP_1)
	v_or_b32_e32 v28, v10, v24
.LBB268_919:                            ;   in Loop: Header=BB268_523 Depth=1
	s_or_b32 exec_lo, exec_lo, s15
	;;#ASMSTART
	v_pk_mul_f16 v1, v47, v31;

	;;#ASMEND
	;;#ASMSTART
	v_pk_mul_f16 v10, v46, v30;

	;;#ASMEND
	;; [unrolled: 4-line block ×4, first 2 shown]
	;;#ASMSTART
	v_pk_add_f16 v1, v1, v10;

	;;#ASMEND
	;;#ASMSTART
	v_pk_add_f16 v1, v1, v22;

	;;#ASMEND
	;; [unrolled: 4-line block ×3, first 2 shown]
	v_and_b32_e32 v10, 0xffff, v1
	v_lshrrev_b32_e32 v1, 16, v1
	;;#ASMSTART
	v_cvt_f32_f16 v40, v10;
	;;#ASMEND
	;;#ASMSTART
	v_cvt_f32_f16 v41, v1;
	;;#ASMEND
	global_load_b64 v[22:23], v[20:21], off offset:1536
	s_wait_xcnt 0x0
	v_dual_mov_b32 v1, 0 :: v_dual_mov_b32 v21, 0
	s_mov_b32 s15, exec_lo
	global_load_b32 v20, v1, s[10:11]
	s_wait_loadcnt 0x1
	v_and_b32_e32 v10, 0xff, v22
	s_wait_xcnt 0x0
	s_delay_alu instid0(VALU_DEP_1)
	v_cmpx_ne_u16_e32 0, v10
	s_cbranch_execz .LBB268_927
; %bb.920:                              ;   in Loop: Header=BB268_523 Depth=1
	v_mov_b32_e32 v21, 0x8000
	s_mov_b32 s16, exec_lo
	v_cmpx_ne_u16_e32 0x80, v10
	s_cbranch_execz .LBB268_926
; %bb.921:                              ;   in Loop: Header=BB268_523 Depth=1
	v_and_b32_e32 v24, 0x7f, v22
	v_mov_b32_e32 v21, 0x7c01
	s_mov_b32 s17, exec_lo
	s_delay_alu instid0(VALU_DEP_2)
	v_cmpx_ne_u32_e32 0x7f, v24
	s_cbranch_execz .LBB268_925
; %bb.922:                              ;   in Loop: Header=BB268_523 Depth=1
	v_dual_lshrrev_b32 v21, 3, v24 :: v_dual_bitop2_b32 v10, 7, v22 bitop3:0x40
	s_mov_b32 s18, exec_lo
	v_cmpx_gt_u32_e32 8, v24
; %bb.923:                              ;   in Loop: Header=BB268_523 Depth=1
	s_delay_alu instid0(VALU_DEP_2) | instskip(NEXT) | instid1(VALU_DEP_1)
	v_clz_i32_u32_e32 v10, v10
	v_min_u32_e32 v10, 32, v10
	s_delay_alu instid0(VALU_DEP_1) | instskip(NEXT) | instid1(VALU_DEP_1)
	v_subrev_nc_u32_e32 v21, 28, v10
	v_lshlrev_b64_e32 v[24:25], v21, v[22:23]
	s_delay_alu instid0(VALU_DEP_1)
	v_dual_sub_nc_u32 v21, 29, v10 :: v_dual_bitop2_b32 v10, 7, v24 bitop3:0x40
; %bb.924:                              ;   in Loop: Header=BB268_523 Depth=1
	s_or_b32 exec_lo, exec_lo, s18
	v_lshlrev_b32_e32 v24, 8, v22
	s_delay_alu instid0(VALU_DEP_2) | instskip(NEXT) | instid1(VALU_DEP_3)
	v_lshl_add_u32 v21, v21, 10, 0x2000
	v_lshlrev_b32_e32 v10, 7, v10
	s_delay_alu instid0(VALU_DEP_3) | instskip(NEXT) | instid1(VALU_DEP_3)
	v_and_b32_e32 v24, 0x8000, v24
	v_and_b32_e32 v21, 0xfc00, v21
	s_delay_alu instid0(VALU_DEP_1)
	v_or3_b32 v21, v24, v21, v10
.LBB268_925:                            ;   in Loop: Header=BB268_523 Depth=1
	s_or_b32 exec_lo, exec_lo, s17
.LBB268_926:                            ;   in Loop: Header=BB268_523 Depth=1
	s_delay_alu instid0(SALU_CYCLE_1)
	s_or_b32 exec_lo, exec_lo, s16
.LBB268_927:                            ;   in Loop: Header=BB268_523 Depth=1
	s_delay_alu instid0(SALU_CYCLE_1) | instskip(SKIP_2) | instid1(VALU_DEP_1)
	s_or_b32 exec_lo, exec_lo, s15
	v_lshrrev_b16 v10, 8, v22
	s_mov_b32 s15, exec_lo
	v_cmpx_ne_u16_e32 0, v10
	s_cbranch_execz .LBB268_935
; %bb.928:                              ;   in Loop: Header=BB268_523 Depth=1
	v_bfrev_b32_e32 v1, 1
	s_mov_b32 s16, exec_lo
	v_cmpx_ne_u16_e32 0x80, v10
	s_cbranch_execz .LBB268_934
; %bb.929:                              ;   in Loop: Header=BB268_523 Depth=1
	v_and_b32_e32 v24, 0xffff, v10
	v_mov_b32_e32 v1, 0x7c010000
	s_mov_b32 s17, exec_lo
	s_delay_alu instid0(VALU_DEP_2) | instskip(NEXT) | instid1(VALU_DEP_1)
	v_and_b32_e32 v26, 0x7f, v24
	v_cmpx_ne_u32_e32 0x7f, v26
	s_cbranch_execz .LBB268_933
; %bb.930:                              ;   in Loop: Header=BB268_523 Depth=1
	v_dual_lshrrev_b32 v25, 3, v26 :: v_dual_bitop2_b32 v1, 7, v24 bitop3:0x40
	s_mov_b32 s18, exec_lo
	v_cmpx_gt_u32_e32 8, v26
; %bb.931:                              ;   in Loop: Header=BB268_523 Depth=1
	s_delay_alu instid0(VALU_DEP_2) | instskip(NEXT) | instid1(VALU_DEP_1)
	v_clz_i32_u32_e32 v1, v1
	v_min_u32_e32 v1, 32, v1
	s_delay_alu instid0(VALU_DEP_1) | instskip(NEXT) | instid1(VALU_DEP_1)
	v_subrev_nc_u32_e32 v25, 28, v1
	v_lshlrev_b64_e32 v[26:27], v25, v[10:11]
	s_delay_alu instid0(VALU_DEP_1)
	v_dual_sub_nc_u32 v25, 29, v1 :: v_dual_bitop2_b32 v1, 7, v26 bitop3:0x40
; %bb.932:                              ;   in Loop: Header=BB268_523 Depth=1
	s_or_b32 exec_lo, exec_lo, s18
	s_delay_alu instid0(VALU_DEP_1) | instskip(NEXT) | instid1(VALU_DEP_2)
	v_dual_lshlrev_b32 v10, 8, v24 :: v_dual_lshlrev_b32 v1, 23, v1
	v_lshl_add_u32 v24, v25, 10, 0x2000
	s_delay_alu instid0(VALU_DEP_1) | instskip(NEXT) | instid1(VALU_DEP_1)
	v_and_or_b32 v10, 0x8000, v10, v24
	v_lshl_or_b32 v1, v10, 16, v1
.LBB268_933:                            ;   in Loop: Header=BB268_523 Depth=1
	s_or_b32 exec_lo, exec_lo, s17
.LBB268_934:                            ;   in Loop: Header=BB268_523 Depth=1
	s_delay_alu instid0(SALU_CYCLE_1)
	s_or_b32 exec_lo, exec_lo, s16
.LBB268_935:                            ;   in Loop: Header=BB268_523 Depth=1
	s_delay_alu instid0(SALU_CYCLE_1) | instskip(SKIP_3) | instid1(VALU_DEP_2)
	s_or_b32 exec_lo, exec_lo, s15
	v_dual_lshrrev_b32 v10, 16, v22 :: v_dual_mov_b32 v24, 0
	v_mov_b32_e32 v25, 0
	s_mov_b32 s15, exec_lo
	v_and_b32_e32 v26, 0xff, v10
	s_delay_alu instid0(VALU_DEP_1)
	v_cmpx_ne_u16_e32 0, v26
	s_cbranch_execz .LBB268_943
; %bb.936:                              ;   in Loop: Header=BB268_523 Depth=1
	v_mov_b32_e32 v25, 0x8000
	s_mov_b32 s16, exec_lo
	v_cmpx_ne_u16_e32 0x80, v26
	s_cbranch_execz .LBB268_942
; %bb.937:                              ;   in Loop: Header=BB268_523 Depth=1
	v_bfe_u32 v27, v22, 16, 7
	v_mov_b32_e32 v25, 0x7c01
	s_mov_b32 s17, exec_lo
	s_delay_alu instid0(VALU_DEP_2)
	v_cmpx_ne_u32_e32 0x7f, v27
	s_cbranch_execz .LBB268_941
; %bb.938:                              ;   in Loop: Header=BB268_523 Depth=1
	v_dual_lshrrev_b32 v26, 3, v27 :: v_dual_bitop2_b32 v25, 7, v10 bitop3:0x40
	s_mov_b32 s18, exec_lo
	v_cmpx_gt_u32_e32 8, v27
; %bb.939:                              ;   in Loop: Header=BB268_523 Depth=1
	s_delay_alu instid0(VALU_DEP_2) | instskip(NEXT) | instid1(VALU_DEP_1)
	v_clz_i32_u32_e32 v25, v25
	v_min_u32_e32 v25, 32, v25
	s_delay_alu instid0(VALU_DEP_1) | instskip(NEXT) | instid1(VALU_DEP_1)
	v_subrev_nc_u32_e32 v26, 28, v25
	v_lshlrev_b64_e32 v[28:29], v26, v[10:11]
	s_delay_alu instid0(VALU_DEP_1)
	v_dual_sub_nc_u32 v26, 29, v25 :: v_dual_bitop2_b32 v25, 7, v28 bitop3:0x40
; %bb.940:                              ;   in Loop: Header=BB268_523 Depth=1
	s_or_b32 exec_lo, exec_lo, s18
	s_delay_alu instid0(VALU_DEP_1) | instskip(NEXT) | instid1(VALU_DEP_2)
	v_dual_lshlrev_b32 v10, 8, v10 :: v_dual_lshlrev_b32 v25, 7, v25
	v_lshl_add_u32 v26, v26, 10, 0x2000
	s_delay_alu instid0(VALU_DEP_2) | instskip(NEXT) | instid1(VALU_DEP_2)
	v_and_b32_e32 v10, 0x8000, v10
	v_and_b32_e32 v26, 0xfc00, v26
	s_delay_alu instid0(VALU_DEP_1)
	v_or3_b32 v25, v10, v26, v25
.LBB268_941:                            ;   in Loop: Header=BB268_523 Depth=1
	s_or_b32 exec_lo, exec_lo, s17
.LBB268_942:                            ;   in Loop: Header=BB268_523 Depth=1
	s_delay_alu instid0(SALU_CYCLE_1)
	s_or_b32 exec_lo, exec_lo, s16
.LBB268_943:                            ;   in Loop: Header=BB268_523 Depth=1
	s_delay_alu instid0(SALU_CYCLE_1) | instskip(NEXT) | instid1(SALU_CYCLE_1)
	s_or_b32 exec_lo, exec_lo, s15
	s_mov_b32 s15, exec_lo
	v_cmpx_lt_u32_e32 0xffffff, v22
	s_cbranch_execz .LBB268_951
; %bb.944:                              ;   in Loop: Header=BB268_523 Depth=1
	v_lshrrev_b32_e32 v10, 24, v22
	v_bfrev_b32_e32 v24, 1
	s_mov_b32 s16, exec_lo
	s_delay_alu instid0(VALU_DEP_2)
	v_cmpx_ne_u32_e32 0x80, v10
	s_cbranch_execz .LBB268_950
; %bb.945:                              ;   in Loop: Header=BB268_523 Depth=1
	v_and_b32_e32 v27, 0x7f, v10
	v_mov_b32_e32 v24, 0x7c010000
	s_mov_b32 s17, exec_lo
	s_delay_alu instid0(VALU_DEP_2)
	v_cmpx_ne_u32_e32 0x7f, v27
	s_cbranch_execz .LBB268_949
; %bb.946:                              ;   in Loop: Header=BB268_523 Depth=1
	v_dual_lshrrev_b32 v26, 3, v27 :: v_dual_bitop2_b32 v24, 7, v10 bitop3:0x40
	s_mov_b32 s18, exec_lo
	v_cmpx_gt_u32_e32 8, v27
; %bb.947:                              ;   in Loop: Header=BB268_523 Depth=1
	s_delay_alu instid0(VALU_DEP_2) | instskip(NEXT) | instid1(VALU_DEP_1)
	v_clz_i32_u32_e32 v24, v24
	v_min_u32_e32 v24, 32, v24
	s_delay_alu instid0(VALU_DEP_1) | instskip(NEXT) | instid1(VALU_DEP_1)
	v_subrev_nc_u32_e32 v26, 28, v24
	v_lshlrev_b64_e32 v[28:29], v26, v[10:11]
	v_sub_nc_u32_e32 v26, 29, v24
	s_delay_alu instid0(VALU_DEP_2)
	v_and_b32_e32 v24, 7, v28
; %bb.948:                              ;   in Loop: Header=BB268_523 Depth=1
	s_or_b32 exec_lo, exec_lo, s18
	s_delay_alu instid0(VALU_DEP_1) | instskip(NEXT) | instid1(VALU_DEP_3)
	v_dual_lshlrev_b32 v10, 8, v10 :: v_dual_lshlrev_b32 v24, 23, v24
	v_lshl_add_u32 v26, v26, 10, 0x2000
	s_delay_alu instid0(VALU_DEP_1) | instskip(NEXT) | instid1(VALU_DEP_1)
	v_and_or_b32 v10, 0x8000, v10, v26
	v_lshl_or_b32 v24, v10, 16, v24
.LBB268_949:                            ;   in Loop: Header=BB268_523 Depth=1
	s_or_b32 exec_lo, exec_lo, s17
.LBB268_950:                            ;   in Loop: Header=BB268_523 Depth=1
	s_delay_alu instid0(SALU_CYCLE_1)
	s_or_b32 exec_lo, exec_lo, s16
.LBB268_951:                            ;   in Loop: Header=BB268_523 Depth=1
	s_delay_alu instid0(SALU_CYCLE_1) | instskip(SKIP_4) | instid1(VALU_DEP_3)
	s_or_b32 exec_lo, exec_lo, s15
	v_and_b32_e32 v28, 0xff, v23
	v_dual_mov_b32 v10, v23 :: v_dual_mov_b32 v27, 0
	v_mov_b32_e32 v26, 0
	s_mov_b32 s15, exec_lo
	v_cmpx_ne_u16_e32 0, v28
	s_cbranch_execz .LBB268_959
; %bb.952:                              ;   in Loop: Header=BB268_523 Depth=1
	v_mov_b32_e32 v26, 0x8000
	s_mov_b32 s16, exec_lo
	v_cmpx_ne_u16_e32 0x80, v28
	s_cbranch_execz .LBB268_958
; %bb.953:                              ;   in Loop: Header=BB268_523 Depth=1
	v_and_b32_e32 v29, 0x7f, v23
	v_mov_b32_e32 v26, 0x7c01
	s_mov_b32 s17, exec_lo
	s_delay_alu instid0(VALU_DEP_2)
	v_cmpx_ne_u32_e32 0x7f, v29
	s_cbranch_execz .LBB268_957
; %bb.954:                              ;   in Loop: Header=BB268_523 Depth=1
	v_dual_lshrrev_b32 v28, 3, v29 :: v_dual_bitop2_b32 v26, 7, v23 bitop3:0x40
	s_mov_b32 s18, exec_lo
	v_cmpx_gt_u32_e32 8, v29
; %bb.955:                              ;   in Loop: Header=BB268_523 Depth=1
	s_delay_alu instid0(VALU_DEP_2) | instskip(NEXT) | instid1(VALU_DEP_1)
	v_clz_i32_u32_e32 v26, v26
	v_min_u32_e32 v26, 32, v26
	s_delay_alu instid0(VALU_DEP_1) | instskip(NEXT) | instid1(VALU_DEP_1)
	v_subrev_nc_u32_e32 v28, 28, v26
	v_lshlrev_b64_e32 v[30:31], v28, v[10:11]
	v_sub_nc_u32_e32 v28, 29, v26
	s_delay_alu instid0(VALU_DEP_2)
	v_and_b32_e32 v26, 7, v30
; %bb.956:                              ;   in Loop: Header=BB268_523 Depth=1
	s_or_b32 exec_lo, exec_lo, s18
	s_delay_alu instid0(VALU_DEP_1) | instskip(NEXT) | instid1(VALU_DEP_3)
	v_dual_lshlrev_b32 v29, 8, v23 :: v_dual_lshlrev_b32 v26, 7, v26
	v_lshl_add_u32 v28, v28, 10, 0x2000
	s_delay_alu instid0(VALU_DEP_2) | instskip(NEXT) | instid1(VALU_DEP_2)
	v_and_b32_e32 v29, 0x8000, v29
	v_and_b32_e32 v28, 0xfc00, v28
	s_delay_alu instid0(VALU_DEP_1)
	v_or3_b32 v26, v29, v28, v26
.LBB268_957:                            ;   in Loop: Header=BB268_523 Depth=1
	s_or_b32 exec_lo, exec_lo, s17
.LBB268_958:                            ;   in Loop: Header=BB268_523 Depth=1
	s_delay_alu instid0(SALU_CYCLE_1)
	s_or_b32 exec_lo, exec_lo, s16
.LBB268_959:                            ;   in Loop: Header=BB268_523 Depth=1
	s_delay_alu instid0(SALU_CYCLE_1) | instskip(SKIP_3) | instid1(VALU_DEP_2)
	s_or_b32 exec_lo, exec_lo, s15
	v_lshrrev_b16 v10, 8, v10
	v_mov_b32_e32 v28, 0
	s_mov_b32 s15, exec_lo
	v_cmpx_ne_u16_e32 0, v10
	s_cbranch_execz .LBB268_967
; %bb.960:                              ;   in Loop: Header=BB268_523 Depth=1
	v_bfrev_b32_e32 v28, 1
	s_mov_b32 s16, exec_lo
	v_cmpx_ne_u16_e32 0x80, v10
	s_cbranch_execz .LBB268_966
; %bb.961:                              ;   in Loop: Header=BB268_523 Depth=1
	v_and_b32_e32 v29, 0xffff, v10
	v_mov_b32_e32 v28, 0x7c010000
	s_mov_b32 s17, exec_lo
	s_delay_alu instid0(VALU_DEP_2) | instskip(NEXT) | instid1(VALU_DEP_1)
	v_and_b32_e32 v31, 0x7f, v29
	v_cmpx_ne_u32_e32 0x7f, v31
	s_cbranch_execz .LBB268_965
; %bb.962:                              ;   in Loop: Header=BB268_523 Depth=1
	v_dual_lshrrev_b32 v30, 3, v31 :: v_dual_bitop2_b32 v28, 7, v29 bitop3:0x40
	s_mov_b32 s18, exec_lo
	v_cmpx_gt_u32_e32 8, v31
; %bb.963:                              ;   in Loop: Header=BB268_523 Depth=1
	s_delay_alu instid0(VALU_DEP_2) | instskip(NEXT) | instid1(VALU_DEP_1)
	v_clz_i32_u32_e32 v28, v28
	v_min_u32_e32 v28, 32, v28
	s_delay_alu instid0(VALU_DEP_1) | instskip(NEXT) | instid1(VALU_DEP_1)
	v_subrev_nc_u32_e32 v30, 28, v28
	v_lshlrev_b64_e32 v[56:57], v30, v[10:11]
	v_sub_nc_u32_e32 v30, 29, v28
	s_delay_alu instid0(VALU_DEP_2)
	v_and_b32_e32 v28, 7, v56
; %bb.964:                              ;   in Loop: Header=BB268_523 Depth=1
	s_or_b32 exec_lo, exec_lo, s18
	s_delay_alu instid0(VALU_DEP_1) | instskip(NEXT) | instid1(VALU_DEP_3)
	v_dual_lshlrev_b32 v10, 8, v29 :: v_dual_lshlrev_b32 v28, 23, v28
	v_lshl_add_u32 v29, v30, 10, 0x2000
	s_delay_alu instid0(VALU_DEP_1) | instskip(NEXT) | instid1(VALU_DEP_1)
	v_and_or_b32 v10, 0x8000, v10, v29
	v_lshl_or_b32 v28, v10, 16, v28
.LBB268_965:                            ;   in Loop: Header=BB268_523 Depth=1
	s_or_b32 exec_lo, exec_lo, s17
.LBB268_966:                            ;   in Loop: Header=BB268_523 Depth=1
	s_delay_alu instid0(SALU_CYCLE_1)
	s_or_b32 exec_lo, exec_lo, s16
.LBB268_967:                            ;   in Loop: Header=BB268_523 Depth=1
	s_delay_alu instid0(SALU_CYCLE_1) | instskip(SKIP_2) | instid1(VALU_DEP_1)
	s_or_b32 exec_lo, exec_lo, s15
	v_lshrrev_b32_e32 v10, 16, v23
	s_mov_b32 s15, exec_lo
	v_and_b32_e32 v29, 0xff, v10
	s_delay_alu instid0(VALU_DEP_1)
	v_cmpx_ne_u16_e32 0, v29
	s_cbranch_execz .LBB268_975
; %bb.968:                              ;   in Loop: Header=BB268_523 Depth=1
	v_mov_b32_e32 v27, 0x8000
	s_mov_b32 s16, exec_lo
	v_cmpx_ne_u16_e32 0x80, v29
	s_cbranch_execz .LBB268_974
; %bb.969:                              ;   in Loop: Header=BB268_523 Depth=1
	v_bfe_u32 v30, v23, 16, 7
	v_mov_b32_e32 v27, 0x7c01
	s_mov_b32 s17, exec_lo
	s_delay_alu instid0(VALU_DEP_2)
	v_cmpx_ne_u32_e32 0x7f, v30
	s_cbranch_execz .LBB268_973
; %bb.970:                              ;   in Loop: Header=BB268_523 Depth=1
	v_and_b32_e32 v27, 7, v10
	v_lshrrev_b32_e32 v29, 3, v30
	s_mov_b32 s18, exec_lo
	v_cmpx_gt_u32_e32 8, v30
; %bb.971:                              ;   in Loop: Header=BB268_523 Depth=1
	s_delay_alu instid0(VALU_DEP_3) | instskip(NEXT) | instid1(VALU_DEP_1)
	v_clz_i32_u32_e32 v27, v27
	v_min_u32_e32 v27, 32, v27
	s_delay_alu instid0(VALU_DEP_1) | instskip(NEXT) | instid1(VALU_DEP_1)
	v_subrev_nc_u32_e32 v29, 28, v27
	v_lshlrev_b64_e32 v[30:31], v29, v[10:11]
	s_delay_alu instid0(VALU_DEP_1)
	v_dual_sub_nc_u32 v29, 29, v27 :: v_dual_bitop2_b32 v27, 7, v30 bitop3:0x40
; %bb.972:                              ;   in Loop: Header=BB268_523 Depth=1
	s_or_b32 exec_lo, exec_lo, s18
	s_delay_alu instid0(VALU_DEP_1) | instskip(NEXT) | instid1(VALU_DEP_2)
	v_dual_lshlrev_b32 v10, 8, v10 :: v_dual_lshlrev_b32 v27, 7, v27
	v_lshl_add_u32 v29, v29, 10, 0x2000
	s_delay_alu instid0(VALU_DEP_2) | instskip(NEXT) | instid1(VALU_DEP_2)
	v_and_b32_e32 v10, 0x8000, v10
	v_and_b32_e32 v29, 0xfc00, v29
	s_delay_alu instid0(VALU_DEP_1)
	v_or3_b32 v27, v10, v29, v27
.LBB268_973:                            ;   in Loop: Header=BB268_523 Depth=1
	s_or_b32 exec_lo, exec_lo, s17
.LBB268_974:                            ;   in Loop: Header=BB268_523 Depth=1
	s_delay_alu instid0(SALU_CYCLE_1)
	s_or_b32 exec_lo, exec_lo, s16
.LBB268_975:                            ;   in Loop: Header=BB268_523 Depth=1
	s_delay_alu instid0(SALU_CYCLE_1)
	s_or_b32 exec_lo, exec_lo, s15
	v_cmp_lt_u64_e64 s1, s[4:5], v[22:23]
	v_mov_b32_e32 v22, 0
	s_and_saveexec_b32 s15, s1
	s_cbranch_execz .LBB268_983
; %bb.976:                              ;   in Loop: Header=BB268_523 Depth=1
	v_lshrrev_b32_e32 v10, 24, v23
	v_bfrev_b32_e32 v22, 1
	s_mov_b32 s16, exec_lo
	s_delay_alu instid0(VALU_DEP_2)
	v_cmpx_ne_u32_e32 0x80, v10
	s_cbranch_execz .LBB268_982
; %bb.977:                              ;   in Loop: Header=BB268_523 Depth=1
	v_and_b32_e32 v29, 0x7f, v10
	v_mov_b32_e32 v22, 0x7c010000
	s_mov_b32 s17, exec_lo
	s_delay_alu instid0(VALU_DEP_2)
	v_cmpx_ne_u32_e32 0x7f, v29
	s_cbranch_execz .LBB268_981
; %bb.978:                              ;   in Loop: Header=BB268_523 Depth=1
	v_dual_lshrrev_b32 v23, 3, v29 :: v_dual_bitop2_b32 v22, 7, v10 bitop3:0x40
	s_mov_b32 s18, exec_lo
	v_cmpx_gt_u32_e32 8, v29
; %bb.979:                              ;   in Loop: Header=BB268_523 Depth=1
	s_delay_alu instid0(VALU_DEP_2) | instskip(NEXT) | instid1(VALU_DEP_1)
	v_clz_i32_u32_e32 v22, v22
	v_min_u32_e32 v29, 32, v22
	s_delay_alu instid0(VALU_DEP_1) | instskip(NEXT) | instid1(VALU_DEP_1)
	v_subrev_nc_u32_e32 v22, 28, v29
	v_lshlrev_b64_e32 v[22:23], v22, v[10:11]
	s_delay_alu instid0(VALU_DEP_1)
	v_dual_sub_nc_u32 v23, 29, v29 :: v_dual_bitop2_b32 v22, 7, v22 bitop3:0x40
; %bb.980:                              ;   in Loop: Header=BB268_523 Depth=1
	s_or_b32 exec_lo, exec_lo, s18
	v_lshlrev_b32_e32 v10, 8, v10
	s_delay_alu instid0(VALU_DEP_2) | instskip(NEXT) | instid1(VALU_DEP_3)
	v_lshl_add_u32 v23, v23, 10, 0x2000
	v_lshlrev_b32_e32 v22, 23, v22
	s_delay_alu instid0(VALU_DEP_2) | instskip(NEXT) | instid1(VALU_DEP_1)
	v_and_or_b32 v10, 0x8000, v10, v23
	v_lshl_or_b32 v22, v10, 16, v22
.LBB268_981:                            ;   in Loop: Header=BB268_523 Depth=1
	s_or_b32 exec_lo, exec_lo, s17
.LBB268_982:                            ;   in Loop: Header=BB268_523 Depth=1
	s_delay_alu instid0(SALU_CYCLE_1)
	s_or_b32 exec_lo, exec_lo, s16
.LBB268_983:                            ;   in Loop: Header=BB268_523 Depth=1
	s_delay_alu instid0(SALU_CYCLE_1) | instskip(SKIP_3) | instid1(VALU_DEP_3)
	s_or_b32 exec_lo, exec_lo, s15
	v_dual_lshrrev_b32 v10, 16, v1 :: v_dual_lshrrev_b32 v23, 16, v24
	v_or_b32_e32 v1, v1, v21
	v_dual_lshrrev_b32 v29, 16, v22 :: v_dual_bitop2_b32 v21, v24, v25 bitop3:0x54
	v_cvt_f32_f16_e32 v25, v10
	s_delay_alu instid0(VALU_DEP_4) | instskip(SKIP_1) | instid1(VALU_DEP_4)
	v_cvt_f32_f16_e32 v24, v23
	v_dual_lshrrev_b32 v27, 16, v28 :: v_dual_bitop2_b32 v10, v22, v27 bitop3:0x54
	v_cvt_f32_f16_e32 v22, v21
	v_cvt_f32_f16_e32 v23, v1
	s_wait_loadcnt 0x0
	v_pk_mul_f32 v[24:25], v[20:21], v[24:25] op_sel_hi:[0,1]
	v_or_b32_e32 v21, v28, v26
	v_cvt_f32_f16_e32 v27, v27
	v_cvt_f32_f16_e32 v26, v29
	;; [unrolled: 1-line block ×3, first 2 shown]
	v_cvt_pk_f16_f32 v1, v24, v25
	v_cvt_f32_f16_e32 v29, v21
	v_pk_mul_f32 v[22:23], v[20:21], v[22:23] op_sel_hi:[0,1]
	v_pk_mul_f32 v[24:25], v[20:21], v[26:27] op_sel_hi:[0,1]
	s_delay_alu instid0(VALU_DEP_3) | instskip(NEXT) | instid1(VALU_DEP_3)
	v_pk_mul_f32 v[26:27], v[20:21], v[28:29] op_sel_hi:[0,1]
	v_cvt_pk_f16_f32 v10, v22, v23
	s_delay_alu instid0(VALU_DEP_3)
	v_cvt_pk_f16_f32 v21, v24, v25
	v_and_b32_e32 v23, 0xffff0000, v1
	v_lshlrev_b32_e32 v20, 16, v1
	v_cvt_pk_f16_f32 v22, v26, v27
	v_lshrrev_b32_e32 v25, 16, v10
	v_and_b32_e32 v24, 0xffff, v10
	v_and_b32_e32 v1, 0xffff0000, v21
	s_delay_alu instid0(VALU_DEP_4) | instskip(NEXT) | instid1(VALU_DEP_4)
	v_dual_lshlrev_b32 v10, 16, v21 :: v_dual_lshrrev_b32 v21, 16, v22
	v_or_b32_e32 v29, v23, v25
	v_and_b32_e32 v22, 0xffff, v22
	v_or_b32_e32 v28, v20, v24
	s_delay_alu instid0(VALU_DEP_4) | instskip(NEXT) | instid1(VALU_DEP_3)
	v_or_b32_e32 v27, v1, v21
	v_or_b32_e32 v26, v10, v22
	s_and_saveexec_b32 s15, s0
	s_cbranch_execz .LBB268_985
; %bb.984:                              ;   in Loop: Header=BB268_523 Depth=1
	v_dual_add_nc_u32 v26, 2, v37 :: v_dual_bitop2_b32 v27, 1, v37 bitop3:0x54
	v_cmp_gt_i32_e64 s1, s14, v37
	v_or_b32_e32 v29, 7, v37
	s_delay_alu instid0(VALU_DEP_2) | instskip(NEXT) | instid1(VALU_DEP_4)
	v_cndmask_b32_e64 v25, 0, v25, s1
	v_cmp_gt_i32_e64 s1, s23, v26
	s_delay_alu instid0(VALU_DEP_1) | instskip(SKIP_1) | instid1(VALU_DEP_1)
	v_dual_cndmask_b32 v24, 0, v24, s1 :: v_dual_bitop2_b32 v28, 3, v37 bitop3:0x54
	v_cmp_gt_i32_e64 s1, s14, v27
	v_dual_cndmask_b32 v23, 0, v23, s1 :: v_dual_bitop2_b32 v27, 6, v37 bitop3:0x54
	s_delay_alu instid0(VALU_DEP_3) | instskip(SKIP_1) | instid1(VALU_DEP_2)
	v_cmp_gt_i32_e64 s1, s23, v28
	v_or_b32_e32 v26, 4, v37
	v_dual_cndmask_b32 v20, 0, v20, s1 :: v_dual_bitop2_b32 v28, 5, v37 bitop3:0x54
	s_delay_alu instid0(VALU_DEP_2) | instskip(NEXT) | instid1(VALU_DEP_1)
	v_cmp_gt_i32_e64 s1, s14, v26
	v_cndmask_b32_e64 v21, 0, v21, s1
	v_cmp_gt_i32_e64 s1, s23, v27
	s_delay_alu instid0(VALU_DEP_1) | instskip(SKIP_1) | instid1(VALU_DEP_1)
	v_cndmask_b32_e64 v22, 0, v22, s1
	v_cmp_gt_i32_e64 s1, s14, v28
	v_dual_cndmask_b32 v1, 0, v1, s1 :: v_dual_bitop2_b32 v28, v20, v24 bitop3:0x54
	v_cmp_gt_i32_e64 s1, s23, v29
	s_delay_alu instid0(VALU_DEP_1) | instskip(NEXT) | instid1(VALU_DEP_1)
	v_dual_cndmask_b32 v10, 0, v10, s1 :: v_dual_bitop2_b32 v29, v23, v25 bitop3:0x54
	v_or_b32_e32 v26, v10, v22
	s_delay_alu instid0(VALU_DEP_4)
	v_or_b32_e32 v27, v1, v21
.LBB268_985:                            ;   in Loop: Header=BB268_523 Depth=1
	s_or_b32 exec_lo, exec_lo, s15
	;;#ASMSTART
	v_pk_mul_f16 v1, v47, v29;

	;;#ASMEND
	;;#ASMSTART
	v_pk_mul_f16 v10, v46, v28;

	;;#ASMEND
	;; [unrolled: 4-line block ×4, first 2 shown]
	;;#ASMSTART
	v_pk_add_f16 v1, v1, v10;

	;;#ASMEND
	;;#ASMSTART
	v_pk_add_f16 v1, v1, v20;

	;;#ASMEND
	;; [unrolled: 4-line block ×3, first 2 shown]
	v_and_b32_e32 v10, 0xffff, v1
	v_lshrrev_b32_e32 v1, 16, v1
	;;#ASMSTART
	v_cvt_f32_f16 v30, v10;
	;;#ASMEND
	;;#ASMSTART
	v_cvt_f32_f16 v31, v1;
	;;#ASMEND
	s_and_saveexec_b32 s15, vcc_lo
	s_cbranch_execz .LBB268_522
; %bb.986:                              ;   in Loop: Header=BB268_523 Depth=1
	v_add_nc_u64_e32 v[18:19], v[18:19], v[14:15]
	v_mov_b32_e32 v1, 0
	s_mov_b32 s16, exec_lo
	global_load_b64 v[20:21], v[18:19], off
	s_wait_xcnt 0x0
	v_mov_b32_e32 v19, 0
	global_load_b32 v18, v1, s[10:11]
	s_wait_loadcnt 0x1
	v_and_b32_e32 v10, 0xff, v20
	s_wait_xcnt 0x0
	s_delay_alu instid0(VALU_DEP_1)
	v_cmpx_ne_u16_e32 0, v10
	s_cbranch_execz .LBB268_994
; %bb.987:                              ;   in Loop: Header=BB268_523 Depth=1
	v_mov_b32_e32 v19, 0x8000
	s_mov_b32 s17, exec_lo
	v_cmpx_ne_u16_e32 0x80, v10
	s_cbranch_execz .LBB268_993
; %bb.988:                              ;   in Loop: Header=BB268_523 Depth=1
	v_and_b32_e32 v22, 0x7f, v20
	v_mov_b32_e32 v19, 0x7c01
	s_mov_b32 s18, exec_lo
	s_delay_alu instid0(VALU_DEP_2)
	v_cmpx_ne_u32_e32 0x7f, v22
	s_cbranch_execz .LBB268_992
; %bb.989:                              ;   in Loop: Header=BB268_523 Depth=1
	v_dual_lshrrev_b32 v19, 3, v22 :: v_dual_bitop2_b32 v10, 7, v20 bitop3:0x40
	s_mov_b32 s19, exec_lo
	v_cmpx_gt_u32_e32 8, v22
; %bb.990:                              ;   in Loop: Header=BB268_523 Depth=1
	s_delay_alu instid0(VALU_DEP_2) | instskip(NEXT) | instid1(VALU_DEP_1)
	v_clz_i32_u32_e32 v10, v10
	v_min_u32_e32 v10, 32, v10
	s_delay_alu instid0(VALU_DEP_1) | instskip(NEXT) | instid1(VALU_DEP_1)
	v_subrev_nc_u32_e32 v19, 28, v10
	v_lshlrev_b64_e32 v[22:23], v19, v[20:21]
	v_sub_nc_u32_e32 v19, 29, v10
	s_delay_alu instid0(VALU_DEP_2)
	v_and_b32_e32 v10, 7, v22
; %bb.991:                              ;   in Loop: Header=BB268_523 Depth=1
	s_or_b32 exec_lo, exec_lo, s19
	s_delay_alu instid0(VALU_DEP_1) | instskip(NEXT) | instid1(VALU_DEP_3)
	v_dual_lshlrev_b32 v22, 8, v20 :: v_dual_lshlrev_b32 v10, 7, v10
	v_lshl_add_u32 v19, v19, 10, 0x2000
	s_delay_alu instid0(VALU_DEP_2) | instskip(NEXT) | instid1(VALU_DEP_2)
	v_and_b32_e32 v22, 0x8000, v22
	v_and_b32_e32 v19, 0xfc00, v19
	s_delay_alu instid0(VALU_DEP_1)
	v_or3_b32 v19, v22, v19, v10
.LBB268_992:                            ;   in Loop: Header=BB268_523 Depth=1
	s_or_b32 exec_lo, exec_lo, s18
.LBB268_993:                            ;   in Loop: Header=BB268_523 Depth=1
	s_delay_alu instid0(SALU_CYCLE_1)
	s_or_b32 exec_lo, exec_lo, s17
.LBB268_994:                            ;   in Loop: Header=BB268_523 Depth=1
	s_delay_alu instid0(SALU_CYCLE_1) | instskip(SKIP_2) | instid1(VALU_DEP_1)
	s_or_b32 exec_lo, exec_lo, s16
	v_lshrrev_b16 v10, 8, v20
	s_mov_b32 s16, exec_lo
	v_cmpx_ne_u16_e32 0, v10
	s_cbranch_execz .LBB268_1002
; %bb.995:                              ;   in Loop: Header=BB268_523 Depth=1
	v_bfrev_b32_e32 v1, 1
	s_mov_b32 s17, exec_lo
	v_cmpx_ne_u16_e32 0x80, v10
	s_cbranch_execz .LBB268_1001
; %bb.996:                              ;   in Loop: Header=BB268_523 Depth=1
	v_and_b32_e32 v22, 0xffff, v10
	v_mov_b32_e32 v1, 0x7c010000
	s_mov_b32 s18, exec_lo
	s_delay_alu instid0(VALU_DEP_2) | instskip(NEXT) | instid1(VALU_DEP_1)
	v_and_b32_e32 v24, 0x7f, v22
	v_cmpx_ne_u32_e32 0x7f, v24
	s_cbranch_execz .LBB268_1000
; %bb.997:                              ;   in Loop: Header=BB268_523 Depth=1
	v_dual_lshrrev_b32 v23, 3, v24 :: v_dual_bitop2_b32 v1, 7, v22 bitop3:0x40
	s_mov_b32 s19, exec_lo
	v_cmpx_gt_u32_e32 8, v24
; %bb.998:                              ;   in Loop: Header=BB268_523 Depth=1
	s_delay_alu instid0(VALU_DEP_2) | instskip(NEXT) | instid1(VALU_DEP_1)
	v_clz_i32_u32_e32 v1, v1
	v_min_u32_e32 v1, 32, v1
	s_delay_alu instid0(VALU_DEP_1) | instskip(NEXT) | instid1(VALU_DEP_1)
	v_subrev_nc_u32_e32 v23, 28, v1
	v_lshlrev_b64_e32 v[24:25], v23, v[10:11]
	s_delay_alu instid0(VALU_DEP_1)
	v_dual_sub_nc_u32 v23, 29, v1 :: v_dual_bitop2_b32 v1, 7, v24 bitop3:0x40
; %bb.999:                              ;   in Loop: Header=BB268_523 Depth=1
	s_or_b32 exec_lo, exec_lo, s19
	s_delay_alu instid0(VALU_DEP_1) | instskip(NEXT) | instid1(VALU_DEP_2)
	v_dual_lshlrev_b32 v10, 8, v22 :: v_dual_lshlrev_b32 v1, 23, v1
	v_lshl_add_u32 v22, v23, 10, 0x2000
	s_delay_alu instid0(VALU_DEP_1) | instskip(NEXT) | instid1(VALU_DEP_1)
	v_and_or_b32 v10, 0x8000, v10, v22
	v_lshl_or_b32 v1, v10, 16, v1
.LBB268_1000:                           ;   in Loop: Header=BB268_523 Depth=1
	s_or_b32 exec_lo, exec_lo, s18
.LBB268_1001:                           ;   in Loop: Header=BB268_523 Depth=1
	s_delay_alu instid0(SALU_CYCLE_1)
	s_or_b32 exec_lo, exec_lo, s17
.LBB268_1002:                           ;   in Loop: Header=BB268_523 Depth=1
	s_delay_alu instid0(SALU_CYCLE_1) | instskip(SKIP_3) | instid1(VALU_DEP_2)
	s_or_b32 exec_lo, exec_lo, s16
	v_dual_lshrrev_b32 v10, 16, v20 :: v_dual_mov_b32 v22, 0
	v_mov_b32_e32 v23, 0
	s_mov_b32 s16, exec_lo
	v_and_b32_e32 v24, 0xff, v10
	s_delay_alu instid0(VALU_DEP_1)
	v_cmpx_ne_u16_e32 0, v24
	s_cbranch_execz .LBB268_1010
; %bb.1003:                             ;   in Loop: Header=BB268_523 Depth=1
	v_mov_b32_e32 v23, 0x8000
	s_mov_b32 s17, exec_lo
	v_cmpx_ne_u16_e32 0x80, v24
	s_cbranch_execz .LBB268_1009
; %bb.1004:                             ;   in Loop: Header=BB268_523 Depth=1
	v_bfe_u32 v25, v20, 16, 7
	v_mov_b32_e32 v23, 0x7c01
	s_mov_b32 s18, exec_lo
	s_delay_alu instid0(VALU_DEP_2)
	v_cmpx_ne_u32_e32 0x7f, v25
	s_cbranch_execz .LBB268_1008
; %bb.1005:                             ;   in Loop: Header=BB268_523 Depth=1
	v_dual_lshrrev_b32 v24, 3, v25 :: v_dual_bitop2_b32 v23, 7, v10 bitop3:0x40
	s_mov_b32 s19, exec_lo
	v_cmpx_gt_u32_e32 8, v25
; %bb.1006:                             ;   in Loop: Header=BB268_523 Depth=1
	s_delay_alu instid0(VALU_DEP_2) | instskip(NEXT) | instid1(VALU_DEP_1)
	v_clz_i32_u32_e32 v23, v23
	v_min_u32_e32 v23, 32, v23
	s_delay_alu instid0(VALU_DEP_1) | instskip(NEXT) | instid1(VALU_DEP_1)
	v_subrev_nc_u32_e32 v24, 28, v23
	v_lshlrev_b64_e32 v[26:27], v24, v[10:11]
	s_delay_alu instid0(VALU_DEP_1)
	v_dual_sub_nc_u32 v24, 29, v23 :: v_dual_bitop2_b32 v23, 7, v26 bitop3:0x40
; %bb.1007:                             ;   in Loop: Header=BB268_523 Depth=1
	s_or_b32 exec_lo, exec_lo, s19
	s_delay_alu instid0(VALU_DEP_1) | instskip(NEXT) | instid1(VALU_DEP_2)
	v_dual_lshlrev_b32 v10, 8, v10 :: v_dual_lshlrev_b32 v23, 7, v23
	v_lshl_add_u32 v24, v24, 10, 0x2000
	s_delay_alu instid0(VALU_DEP_2) | instskip(NEXT) | instid1(VALU_DEP_2)
	v_and_b32_e32 v10, 0x8000, v10
	v_and_b32_e32 v24, 0xfc00, v24
	s_delay_alu instid0(VALU_DEP_1)
	v_or3_b32 v23, v10, v24, v23
.LBB268_1008:                           ;   in Loop: Header=BB268_523 Depth=1
	s_or_b32 exec_lo, exec_lo, s18
.LBB268_1009:                           ;   in Loop: Header=BB268_523 Depth=1
	s_delay_alu instid0(SALU_CYCLE_1)
	s_or_b32 exec_lo, exec_lo, s17
.LBB268_1010:                           ;   in Loop: Header=BB268_523 Depth=1
	s_delay_alu instid0(SALU_CYCLE_1) | instskip(NEXT) | instid1(SALU_CYCLE_1)
	s_or_b32 exec_lo, exec_lo, s16
	s_mov_b32 s16, exec_lo
	v_cmpx_lt_u32_e32 0xffffff, v20
	s_cbranch_execz .LBB268_1018
; %bb.1011:                             ;   in Loop: Header=BB268_523 Depth=1
	v_lshrrev_b32_e32 v10, 24, v20
	v_bfrev_b32_e32 v22, 1
	s_mov_b32 s17, exec_lo
	s_delay_alu instid0(VALU_DEP_2)
	v_cmpx_ne_u32_e32 0x80, v10
	s_cbranch_execz .LBB268_1017
; %bb.1012:                             ;   in Loop: Header=BB268_523 Depth=1
	v_and_b32_e32 v25, 0x7f, v10
	v_mov_b32_e32 v22, 0x7c010000
	s_mov_b32 s18, exec_lo
	s_delay_alu instid0(VALU_DEP_2)
	v_cmpx_ne_u32_e32 0x7f, v25
	s_cbranch_execz .LBB268_1016
; %bb.1013:                             ;   in Loop: Header=BB268_523 Depth=1
	v_dual_lshrrev_b32 v24, 3, v25 :: v_dual_bitop2_b32 v22, 7, v10 bitop3:0x40
	s_mov_b32 s19, exec_lo
	v_cmpx_gt_u32_e32 8, v25
; %bb.1014:                             ;   in Loop: Header=BB268_523 Depth=1
	s_delay_alu instid0(VALU_DEP_2) | instskip(NEXT) | instid1(VALU_DEP_1)
	v_clz_i32_u32_e32 v22, v22
	v_min_u32_e32 v22, 32, v22
	s_delay_alu instid0(VALU_DEP_1) | instskip(NEXT) | instid1(VALU_DEP_1)
	v_subrev_nc_u32_e32 v24, 28, v22
	v_lshlrev_b64_e32 v[26:27], v24, v[10:11]
	v_sub_nc_u32_e32 v24, 29, v22
	s_delay_alu instid0(VALU_DEP_2)
	v_and_b32_e32 v22, 7, v26
; %bb.1015:                             ;   in Loop: Header=BB268_523 Depth=1
	s_or_b32 exec_lo, exec_lo, s19
	v_lshlrev_b32_e32 v10, 8, v10
	s_delay_alu instid0(VALU_DEP_3) | instskip(NEXT) | instid1(VALU_DEP_3)
	v_lshl_add_u32 v24, v24, 10, 0x2000
	v_lshlrev_b32_e32 v22, 23, v22
	s_delay_alu instid0(VALU_DEP_2) | instskip(NEXT) | instid1(VALU_DEP_1)
	v_and_or_b32 v10, 0x8000, v10, v24
	v_lshl_or_b32 v22, v10, 16, v22
.LBB268_1016:                           ;   in Loop: Header=BB268_523 Depth=1
	s_or_b32 exec_lo, exec_lo, s18
.LBB268_1017:                           ;   in Loop: Header=BB268_523 Depth=1
	s_delay_alu instid0(SALU_CYCLE_1)
	s_or_b32 exec_lo, exec_lo, s17
.LBB268_1018:                           ;   in Loop: Header=BB268_523 Depth=1
	s_delay_alu instid0(SALU_CYCLE_1) | instskip(SKIP_4) | instid1(VALU_DEP_3)
	s_or_b32 exec_lo, exec_lo, s16
	v_and_b32_e32 v26, 0xff, v21
	v_dual_mov_b32 v10, v21 :: v_dual_mov_b32 v25, 0
	v_mov_b32_e32 v24, 0
	s_mov_b32 s16, exec_lo
	v_cmpx_ne_u16_e32 0, v26
	s_cbranch_execz .LBB268_1026
; %bb.1019:                             ;   in Loop: Header=BB268_523 Depth=1
	v_mov_b32_e32 v24, 0x8000
	s_mov_b32 s17, exec_lo
	v_cmpx_ne_u16_e32 0x80, v26
	s_cbranch_execz .LBB268_1025
; %bb.1020:                             ;   in Loop: Header=BB268_523 Depth=1
	v_and_b32_e32 v27, 0x7f, v21
	v_mov_b32_e32 v24, 0x7c01
	s_mov_b32 s18, exec_lo
	s_delay_alu instid0(VALU_DEP_2)
	v_cmpx_ne_u32_e32 0x7f, v27
	s_cbranch_execz .LBB268_1024
; %bb.1021:                             ;   in Loop: Header=BB268_523 Depth=1
	v_dual_lshrrev_b32 v26, 3, v27 :: v_dual_bitop2_b32 v24, 7, v21 bitop3:0x40
	s_mov_b32 s19, exec_lo
	v_cmpx_gt_u32_e32 8, v27
; %bb.1022:                             ;   in Loop: Header=BB268_523 Depth=1
	s_delay_alu instid0(VALU_DEP_2) | instskip(NEXT) | instid1(VALU_DEP_1)
	v_clz_i32_u32_e32 v24, v24
	v_min_u32_e32 v24, 32, v24
	s_delay_alu instid0(VALU_DEP_1) | instskip(NEXT) | instid1(VALU_DEP_1)
	v_subrev_nc_u32_e32 v26, 28, v24
	v_lshlrev_b64_e32 v[28:29], v26, v[10:11]
	v_sub_nc_u32_e32 v26, 29, v24
	s_delay_alu instid0(VALU_DEP_2)
	v_and_b32_e32 v24, 7, v28
; %bb.1023:                             ;   in Loop: Header=BB268_523 Depth=1
	s_or_b32 exec_lo, exec_lo, s19
	s_delay_alu instid0(VALU_DEP_1) | instskip(NEXT) | instid1(VALU_DEP_3)
	v_dual_lshlrev_b32 v27, 8, v21 :: v_dual_lshlrev_b32 v24, 7, v24
	v_lshl_add_u32 v26, v26, 10, 0x2000
	s_delay_alu instid0(VALU_DEP_2) | instskip(NEXT) | instid1(VALU_DEP_2)
	v_and_b32_e32 v27, 0x8000, v27
	v_and_b32_e32 v26, 0xfc00, v26
	s_delay_alu instid0(VALU_DEP_1)
	v_or3_b32 v24, v27, v26, v24
.LBB268_1024:                           ;   in Loop: Header=BB268_523 Depth=1
	s_or_b32 exec_lo, exec_lo, s18
.LBB268_1025:                           ;   in Loop: Header=BB268_523 Depth=1
	s_delay_alu instid0(SALU_CYCLE_1)
	s_or_b32 exec_lo, exec_lo, s17
.LBB268_1026:                           ;   in Loop: Header=BB268_523 Depth=1
	s_delay_alu instid0(SALU_CYCLE_1) | instskip(SKIP_3) | instid1(VALU_DEP_2)
	s_or_b32 exec_lo, exec_lo, s16
	v_lshrrev_b16 v10, 8, v10
	v_mov_b32_e32 v26, 0
	s_mov_b32 s16, exec_lo
	v_cmpx_ne_u16_e32 0, v10
	s_cbranch_execz .LBB268_1034
; %bb.1027:                             ;   in Loop: Header=BB268_523 Depth=1
	v_bfrev_b32_e32 v26, 1
	s_mov_b32 s17, exec_lo
	v_cmpx_ne_u16_e32 0x80, v10
	s_cbranch_execz .LBB268_1033
; %bb.1028:                             ;   in Loop: Header=BB268_523 Depth=1
	v_and_b32_e32 v27, 0xffff, v10
	v_mov_b32_e32 v26, 0x7c010000
	s_mov_b32 s18, exec_lo
	s_delay_alu instid0(VALU_DEP_2) | instskip(NEXT) | instid1(VALU_DEP_1)
	v_and_b32_e32 v29, 0x7f, v27
	v_cmpx_ne_u32_e32 0x7f, v29
	s_cbranch_execz .LBB268_1032
; %bb.1029:                             ;   in Loop: Header=BB268_523 Depth=1
	v_dual_lshrrev_b32 v28, 3, v29 :: v_dual_bitop2_b32 v26, 7, v27 bitop3:0x40
	s_mov_b32 s19, exec_lo
	v_cmpx_gt_u32_e32 8, v29
; %bb.1030:                             ;   in Loop: Header=BB268_523 Depth=1
	s_delay_alu instid0(VALU_DEP_2) | instskip(NEXT) | instid1(VALU_DEP_1)
	v_clz_i32_u32_e32 v26, v26
	v_min_u32_e32 v26, 32, v26
	s_delay_alu instid0(VALU_DEP_1) | instskip(NEXT) | instid1(VALU_DEP_1)
	v_subrev_nc_u32_e32 v28, 28, v26
	v_lshlrev_b64_e32 v[56:57], v28, v[10:11]
	s_delay_alu instid0(VALU_DEP_1)
	v_dual_sub_nc_u32 v28, 29, v26 :: v_dual_bitop2_b32 v26, 7, v56 bitop3:0x40
; %bb.1031:                             ;   in Loop: Header=BB268_523 Depth=1
	s_or_b32 exec_lo, exec_lo, s19
	s_delay_alu instid0(VALU_DEP_1) | instskip(NEXT) | instid1(VALU_DEP_2)
	v_dual_lshlrev_b32 v10, 8, v27 :: v_dual_lshlrev_b32 v26, 23, v26
	v_lshl_add_u32 v27, v28, 10, 0x2000
	s_delay_alu instid0(VALU_DEP_1) | instskip(NEXT) | instid1(VALU_DEP_1)
	v_and_or_b32 v10, 0x8000, v10, v27
	v_lshl_or_b32 v26, v10, 16, v26
.LBB268_1032:                           ;   in Loop: Header=BB268_523 Depth=1
	s_or_b32 exec_lo, exec_lo, s18
.LBB268_1033:                           ;   in Loop: Header=BB268_523 Depth=1
	s_delay_alu instid0(SALU_CYCLE_1)
	s_or_b32 exec_lo, exec_lo, s17
.LBB268_1034:                           ;   in Loop: Header=BB268_523 Depth=1
	s_delay_alu instid0(SALU_CYCLE_1) | instskip(SKIP_2) | instid1(VALU_DEP_1)
	s_or_b32 exec_lo, exec_lo, s16
	v_lshrrev_b32_e32 v10, 16, v21
	s_mov_b32 s16, exec_lo
	v_and_b32_e32 v27, 0xff, v10
	s_delay_alu instid0(VALU_DEP_1)
	v_cmpx_ne_u16_e32 0, v27
	s_cbranch_execz .LBB268_1042
; %bb.1035:                             ;   in Loop: Header=BB268_523 Depth=1
	v_mov_b32_e32 v25, 0x8000
	s_mov_b32 s17, exec_lo
	v_cmpx_ne_u16_e32 0x80, v27
	s_cbranch_execz .LBB268_1041
; %bb.1036:                             ;   in Loop: Header=BB268_523 Depth=1
	v_bfe_u32 v28, v21, 16, 7
	v_mov_b32_e32 v25, 0x7c01
	s_mov_b32 s18, exec_lo
	s_delay_alu instid0(VALU_DEP_2)
	v_cmpx_ne_u32_e32 0x7f, v28
	s_cbranch_execz .LBB268_1040
; %bb.1037:                             ;   in Loop: Header=BB268_523 Depth=1
	v_dual_lshrrev_b32 v27, 3, v28 :: v_dual_bitop2_b32 v25, 7, v10 bitop3:0x40
	s_mov_b32 s19, exec_lo
	v_cmpx_gt_u32_e32 8, v28
; %bb.1038:                             ;   in Loop: Header=BB268_523 Depth=1
	s_delay_alu instid0(VALU_DEP_2) | instskip(NEXT) | instid1(VALU_DEP_1)
	v_clz_i32_u32_e32 v25, v25
	v_min_u32_e32 v25, 32, v25
	s_delay_alu instid0(VALU_DEP_1) | instskip(NEXT) | instid1(VALU_DEP_1)
	v_subrev_nc_u32_e32 v27, 28, v25
	v_lshlrev_b64_e32 v[28:29], v27, v[10:11]
	s_delay_alu instid0(VALU_DEP_1)
	v_dual_sub_nc_u32 v27, 29, v25 :: v_dual_bitop2_b32 v25, 7, v28 bitop3:0x40
; %bb.1039:                             ;   in Loop: Header=BB268_523 Depth=1
	s_or_b32 exec_lo, exec_lo, s19
	s_delay_alu instid0(VALU_DEP_1) | instskip(NEXT) | instid1(VALU_DEP_2)
	v_dual_lshlrev_b32 v10, 8, v10 :: v_dual_lshlrev_b32 v25, 7, v25
	v_lshl_add_u32 v27, v27, 10, 0x2000
	s_delay_alu instid0(VALU_DEP_2) | instskip(NEXT) | instid1(VALU_DEP_2)
	v_and_b32_e32 v10, 0x8000, v10
	v_and_b32_e32 v27, 0xfc00, v27
	s_delay_alu instid0(VALU_DEP_1)
	v_or3_b32 v25, v10, v27, v25
.LBB268_1040:                           ;   in Loop: Header=BB268_523 Depth=1
	s_or_b32 exec_lo, exec_lo, s18
.LBB268_1041:                           ;   in Loop: Header=BB268_523 Depth=1
	s_delay_alu instid0(SALU_CYCLE_1)
	s_or_b32 exec_lo, exec_lo, s17
.LBB268_1042:                           ;   in Loop: Header=BB268_523 Depth=1
	s_delay_alu instid0(SALU_CYCLE_1)
	s_or_b32 exec_lo, exec_lo, s16
	v_cmp_lt_u64_e64 s1, s[4:5], v[20:21]
	v_mov_b32_e32 v20, 0
	s_and_saveexec_b32 s16, s1
	s_cbranch_execz .LBB268_1050
; %bb.1043:                             ;   in Loop: Header=BB268_523 Depth=1
	v_lshrrev_b32_e32 v10, 24, v21
	v_bfrev_b32_e32 v20, 1
	s_mov_b32 s17, exec_lo
	s_delay_alu instid0(VALU_DEP_2)
	v_cmpx_ne_u32_e32 0x80, v10
	s_cbranch_execz .LBB268_1049
; %bb.1044:                             ;   in Loop: Header=BB268_523 Depth=1
	v_and_b32_e32 v27, 0x7f, v10
	v_mov_b32_e32 v20, 0x7c010000
	s_mov_b32 s18, exec_lo
	s_delay_alu instid0(VALU_DEP_2)
	v_cmpx_ne_u32_e32 0x7f, v27
	s_cbranch_execz .LBB268_1048
; %bb.1045:                             ;   in Loop: Header=BB268_523 Depth=1
	v_dual_lshrrev_b32 v21, 3, v27 :: v_dual_bitop2_b32 v20, 7, v10 bitop3:0x40
	s_mov_b32 s19, exec_lo
	v_cmpx_gt_u32_e32 8, v27
; %bb.1046:                             ;   in Loop: Header=BB268_523 Depth=1
	s_delay_alu instid0(VALU_DEP_2) | instskip(NEXT) | instid1(VALU_DEP_1)
	v_clz_i32_u32_e32 v20, v20
	v_min_u32_e32 v27, 32, v20
	s_delay_alu instid0(VALU_DEP_1) | instskip(NEXT) | instid1(VALU_DEP_1)
	v_subrev_nc_u32_e32 v20, 28, v27
	v_lshlrev_b64_e32 v[20:21], v20, v[10:11]
	s_delay_alu instid0(VALU_DEP_1)
	v_dual_sub_nc_u32 v21, 29, v27 :: v_dual_bitop2_b32 v20, 7, v20 bitop3:0x40
; %bb.1047:                             ;   in Loop: Header=BB268_523 Depth=1
	s_or_b32 exec_lo, exec_lo, s19
	s_delay_alu instid0(VALU_DEP_1) | instskip(NEXT) | instid1(VALU_DEP_2)
	v_dual_lshlrev_b32 v10, 8, v10 :: v_dual_lshlrev_b32 v20, 23, v20
	v_lshl_add_u32 v21, v21, 10, 0x2000
	s_delay_alu instid0(VALU_DEP_1) | instskip(NEXT) | instid1(VALU_DEP_1)
	v_and_or_b32 v10, 0x8000, v10, v21
	v_lshl_or_b32 v20, v10, 16, v20
.LBB268_1048:                           ;   in Loop: Header=BB268_523 Depth=1
	s_or_b32 exec_lo, exec_lo, s18
.LBB268_1049:                           ;   in Loop: Header=BB268_523 Depth=1
	s_delay_alu instid0(SALU_CYCLE_1)
	s_or_b32 exec_lo, exec_lo, s17
.LBB268_1050:                           ;   in Loop: Header=BB268_523 Depth=1
	s_delay_alu instid0(SALU_CYCLE_1) | instskip(SKIP_3) | instid1(VALU_DEP_3)
	s_or_b32 exec_lo, exec_lo, s16
	v_dual_lshrrev_b32 v10, 16, v1 :: v_dual_lshrrev_b32 v21, 16, v22
	v_or_b32_e32 v1, v1, v19
	v_dual_lshrrev_b32 v27, 16, v20 :: v_dual_bitop2_b32 v19, v22, v23 bitop3:0x54
	v_cvt_f32_f16_e32 v23, v10
	s_delay_alu instid0(VALU_DEP_4) | instskip(SKIP_1) | instid1(VALU_DEP_4)
	v_cvt_f32_f16_e32 v22, v21
	v_dual_lshrrev_b32 v25, 16, v26 :: v_dual_bitop2_b32 v10, v20, v25 bitop3:0x54
	v_cvt_f32_f16_e32 v20, v19
	v_cvt_f32_f16_e32 v21, v1
	s_wait_loadcnt 0x0
	v_pk_mul_f32 v[22:23], v[18:19], v[22:23] op_sel_hi:[0,1]
	v_cvt_f32_f16_e32 v25, v25
	s_delay_alu instid0(VALU_DEP_2) | instskip(SKIP_3) | instid1(VALU_DEP_3)
	v_cvt_pk_f16_f32 v1, v22, v23
	v_or_b32_e32 v19, v26, v24
	v_cvt_f32_f16_e32 v24, v27
	v_cvt_f32_f16_e32 v26, v10
	;; [unrolled: 1-line block ×3, first 2 shown]
	v_pk_mul_f32 v[20:21], v[18:19], v[20:21] op_sel_hi:[0,1]
	s_delay_alu instid0(VALU_DEP_4) | instskip(NEXT) | instid1(VALU_DEP_3)
	v_pk_mul_f32 v[22:23], v[18:19], v[24:25] op_sel_hi:[0,1]
	v_pk_mul_f32 v[24:25], v[18:19], v[26:27] op_sel_hi:[0,1]
	s_delay_alu instid0(VALU_DEP_3) | instskip(NEXT) | instid1(VALU_DEP_3)
	v_cvt_pk_f16_f32 v10, v20, v21
	v_cvt_pk_f16_f32 v19, v22, v23
	v_and_b32_e32 v21, 0xffff0000, v1
	v_lshlrev_b32_e32 v18, 16, v1
	v_cvt_pk_f16_f32 v20, v24, v25
	v_lshrrev_b32_e32 v23, 16, v10
	v_and_b32_e32 v22, 0xffff, v10
	v_and_b32_e32 v1, 0xffff0000, v19
	s_delay_alu instid0(VALU_DEP_4) | instskip(SKIP_3) | instid1(VALU_DEP_4)
	v_dual_lshlrev_b32 v10, 16, v19 :: v_dual_lshrrev_b32 v19, 16, v20
	v_and_b32_e32 v20, 0xffff, v20
	v_or_b32_e32 v27, v21, v23
	v_or_b32_e32 v26, v18, v22
	;; [unrolled: 1-line block ×3, first 2 shown]
	s_delay_alu instid0(VALU_DEP_4)
	v_or_b32_e32 v24, v10, v20
	s_and_saveexec_b32 s1, s0
	s_cbranch_execz .LBB268_521
; %bb.1051:                             ;   in Loop: Header=BB268_523 Depth=1
	v_dual_add_nc_u32 v24, 2, v37 :: v_dual_bitop2_b32 v25, 1, v37 bitop3:0x54
	v_cmp_gt_i32_e64 s0, s14, v37
	v_or_b32_e32 v26, 3, v37
	s_delay_alu instid0(VALU_DEP_2) | instskip(NEXT) | instid1(VALU_DEP_4)
	v_dual_cndmask_b32 v23, 0, v23, s0 :: v_dual_bitop2_b32 v27, 7, v37 bitop3:0x54
	v_cmp_gt_i32_e64 s0, s23, v24
	s_delay_alu instid0(VALU_DEP_1) | instskip(SKIP_1) | instid1(VALU_DEP_1)
	v_cndmask_b32_e64 v22, 0, v22, s0
	v_cmp_gt_i32_e64 s0, s14, v25
	v_cndmask_b32_e64 v21, 0, v21, s0
	v_cmp_gt_i32_e64 s0, s23, v26
	s_delay_alu instid0(VALU_DEP_1) | instskip(NEXT) | instid1(VALU_DEP_1)
	v_dual_cndmask_b32 v18, 0, v18, s0 :: v_dual_bitop2_b32 v24, 4, v37 bitop3:0x54
	v_cmp_gt_i32_e64 s0, s14, v24
	s_delay_alu instid0(VALU_DEP_1) | instskip(NEXT) | instid1(VALU_DEP_1)
	v_dual_cndmask_b32 v19, 0, v19, s0 :: v_dual_bitop2_b32 v25, 6, v37 bitop3:0x54
	;; [unrolled: 3-line block ×3, first 2 shown]
	v_cmp_gt_i32_e64 s0, s14, v26
	s_delay_alu instid0(VALU_DEP_1) | instskip(SKIP_2) | instid1(VALU_DEP_2)
	v_dual_cndmask_b32 v1, 0, v1, s0 :: v_dual_bitop2_b32 v26, v18, v22 bitop3:0x54
	v_cmp_gt_i32_e64 s0, s23, v27
	v_or_b32_e32 v27, v21, v23
	v_dual_cndmask_b32 v10, 0, v10, s0 :: v_dual_bitop2_b32 v25, v1, v19 bitop3:0x54
	s_delay_alu instid0(VALU_DEP_1)
	v_or_b32_e32 v24, v10, v20
	s_branch .LBB268_521
.LBB268_1052:
	s_or_b32 exec_lo, exec_lo, s9
.LBB268_1053:
	s_delay_alu instid0(SALU_CYCLE_1)
	s_or_b32 exec_lo, exec_lo, s25
	ds_bpermute_b32 v10, v36, v8
	ds_bpermute_b32 v11, v36, v9
	;; [unrolled: 1-line block ×8, first 2 shown]
	s_movk_i32 s0, 0x1e0
	v_and_b32_e32 v18, 0x3c0, v0
	v_mad_u32_u24 v1, v34, s0, 0x110
	s_mov_b32 s1, exec_lo
	v_cmp_eq_u32_e32 vcc_lo, 0, v33
	s_wait_dscnt 0x0
	s_barrier_signal -1
	s_barrier_wait -1
	v_pk_add_f32 v[8:9], v[8:9], v[10:11]
	v_pk_add_f32 v[6:7], v[6:7], v[12:13]
	;; [unrolled: 1-line block ×4, first 2 shown]
	v_cmpx_eq_u32_e32 64, v18
	s_cbranch_execz .LBB268_1058
; %bb.1054:
	v_add_nc_u32_e32 v10, 0xfffffc40, v1
	s_and_saveexec_b32 s0, vcc_lo
	s_cbranch_execz .LBB268_1056
; %bb.1055:
	s_delay_alu instid0(VALU_DEP_1)
	v_lshl_add_u32 v11, v35, 2, v10
	ds_store_2addr_b32 v11, v8, v9 offset1:16
	ds_store_2addr_b32 v11, v6, v7 offset0:32 offset1:48
	ds_store_2addr_b32 v11, v4, v5 offset0:64 offset1:80
	ds_store_b32 v11, v2 offset:384
.LBB268_1056:
	s_or_b32 exec_lo, exec_lo, s0
	v_or_b32_e32 v11, 0x70, v35
	s_delay_alu instid0(VALU_DEP_1) | instskip(SKIP_1) | instid1(SALU_CYCLE_1)
	v_cmp_gt_u32_e64 s0, 0x78, v11
	s_and_b32 s0, vcc_lo, s0
	s_and_b32 exec_lo, exec_lo, s0
; %bb.1057:
	v_lshl_add_u32 v10, v11, 2, v10
	ds_store_b32 v10, v3
.LBB268_1058:
	s_or_b32 exec_lo, exec_lo, s1
	s_delay_alu instid0(SALU_CYCLE_1)
	s_mov_b32 s1, exec_lo
	s_wait_dscnt 0x0
	s_barrier_signal -1
	s_barrier_wait -1
	v_cmpx_gt_u32_e32 64, v0
	s_cbranch_execz .LBB268_1070
; %bb.1059:
	s_and_saveexec_b32 s0, vcc_lo
	s_cbranch_execnz .LBB268_1105
; %bb.1060:
	s_or_b32 exec_lo, exec_lo, s0
	s_and_saveexec_b32 s0, vcc_lo
	s_cbranch_execnz .LBB268_1106
.LBB268_1061:
	s_or_b32 exec_lo, exec_lo, s0
	s_and_saveexec_b32 s0, vcc_lo
	s_cbranch_execnz .LBB268_1107
.LBB268_1062:
	s_or_b32 exec_lo, exec_lo, s0
	s_and_saveexec_b32 s0, vcc_lo
	s_cbranch_execnz .LBB268_1108
.LBB268_1063:
	s_or_b32 exec_lo, exec_lo, s0
	s_and_saveexec_b32 s0, vcc_lo
	s_cbranch_execnz .LBB268_1109
.LBB268_1064:
	s_or_b32 exec_lo, exec_lo, s0
	s_and_saveexec_b32 s0, vcc_lo
	s_cbranch_execnz .LBB268_1110
.LBB268_1065:
	s_or_b32 exec_lo, exec_lo, s0
	s_and_saveexec_b32 s0, vcc_lo
	s_cbranch_execz .LBB268_1067
.LBB268_1066:
	v_lshl_add_u32 v10, v35, 2, v1
	ds_load_b32 v10, v10 offset:384
	s_wait_dscnt 0x0
	v_add_f32_e32 v2, v2, v10
.LBB268_1067:
	s_or_b32 exec_lo, exec_lo, s0
	v_or_b32_e32 v10, 0x70, v35
	s_delay_alu instid0(VALU_DEP_1) | instskip(SKIP_1) | instid1(SALU_CYCLE_1)
	v_cmp_gt_u32_e64 s0, 0x78, v10
	s_and_b32 s2, vcc_lo, s0
	s_and_saveexec_b32 s0, s2
	s_cbranch_execz .LBB268_1069
; %bb.1068:
	v_lshl_add_u32 v10, v35, 2, v1
	ds_load_b32 v10, v10 offset:448
	s_wait_dscnt 0x0
	v_add_f32_e32 v3, v3, v10
.LBB268_1069:
	s_or_b32 exec_lo, exec_lo, s0
.LBB268_1070:
	s_delay_alu instid0(SALU_CYCLE_1) | instskip(SKIP_4) | instid1(VALU_DEP_1)
	s_or_b32 exec_lo, exec_lo, s1
	v_and_b32_e32 v10, 0x3e0, v0
	s_mov_b32 s1, exec_lo
	s_barrier_signal -1
	s_barrier_wait -1
	v_cmpx_eq_u32_e32 32, v10
	s_cbranch_execz .LBB268_1075
; %bb.1071:
	v_lshl_add_u32 v10, v35, 2, 0x110
	s_and_saveexec_b32 s0, vcc_lo
	s_cbranch_execz .LBB268_1073
; %bb.1072:
	ds_store_2addr_b32 v10, v8, v9 offset1:16
	ds_store_2addr_b32 v10, v6, v7 offset0:32 offset1:48
	ds_store_2addr_b32 v10, v4, v5 offset0:64 offset1:80
	ds_store_b32 v10, v2 offset:384
.LBB268_1073:
	s_or_b32 exec_lo, exec_lo, s0
	v_or_b32_e32 v11, 0x70, v35
	s_delay_alu instid0(VALU_DEP_1) | instskip(SKIP_1) | instid1(SALU_CYCLE_1)
	v_cmp_gt_u32_e64 s0, 0x78, v11
	s_and_b32 s0, vcc_lo, s0
	s_and_b32 exec_lo, exec_lo, s0
; %bb.1074:
	ds_store_b32 v10, v3 offset:448
.LBB268_1075:
	s_or_b32 exec_lo, exec_lo, s1
	v_cmp_gt_u32_e64 s0, 32, v0
	s_wait_dscnt 0x0
	s_barrier_signal -1
	s_barrier_wait -1
	s_and_saveexec_b32 s2, s0
	s_cbranch_execz .LBB268_1087
; %bb.1076:
	v_lshl_add_u32 v0, v35, 2, v1
	s_and_saveexec_b32 s1, vcc_lo
	s_cbranch_execnz .LBB268_1111
; %bb.1077:
	s_or_b32 exec_lo, exec_lo, s1
	s_and_saveexec_b32 s1, vcc_lo
	s_cbranch_execnz .LBB268_1112
.LBB268_1078:
	s_or_b32 exec_lo, exec_lo, s1
	s_and_saveexec_b32 s1, vcc_lo
	s_cbranch_execnz .LBB268_1113
.LBB268_1079:
	s_or_b32 exec_lo, exec_lo, s1
	s_and_saveexec_b32 s1, vcc_lo
	s_cbranch_execnz .LBB268_1114
.LBB268_1080:
	s_or_b32 exec_lo, exec_lo, s1
	s_and_saveexec_b32 s1, vcc_lo
	s_cbranch_execnz .LBB268_1115
.LBB268_1081:
	s_or_b32 exec_lo, exec_lo, s1
	s_and_saveexec_b32 s1, vcc_lo
	s_cbranch_execnz .LBB268_1116
.LBB268_1082:
	s_or_b32 exec_lo, exec_lo, s1
	s_and_saveexec_b32 s1, vcc_lo
	s_cbranch_execz .LBB268_1084
.LBB268_1083:
	ds_load_b32 v1, v0 offset:384
	s_wait_dscnt 0x0
	v_add_f32_e32 v2, v2, v1
.LBB268_1084:
	s_or_b32 exec_lo, exec_lo, s1
	v_or_b32_e32 v1, 0x70, v35
	s_delay_alu instid0(VALU_DEP_1) | instskip(SKIP_1) | instid1(SALU_CYCLE_1)
	v_cmp_gt_u32_e64 s1, 0x78, v1
	s_and_b32 s3, vcc_lo, s1
	s_and_saveexec_b32 s1, s3
	s_cbranch_execz .LBB268_1086
; %bb.1085:
	ds_load_b32 v0, v0 offset:448
	s_wait_dscnt 0x0
	v_add_f32_e32 v3, v3, v0
.LBB268_1086:
	s_or_b32 exec_lo, exec_lo, s1
.LBB268_1087:
	s_delay_alu instid0(SALU_CYCLE_1)
	s_or_b32 exec_lo, exec_lo, s2
	s_barrier_signal -1
	s_barrier_wait -1
	s_and_saveexec_b32 s1, s0
	s_cbranch_execz .LBB268_1104
; %bb.1088:
	s_mul_i32 s1, s22, s13
	s_bfe_u32 s5, ttmp6, 0x40014
	s_mul_i32 s1, s1, s21
	s_mul_i32 s0, s13, s12
	;; [unrolled: 1-line block ×3, first 2 shown]
	s_lshr_b32 s4, ttmp7, 16
	s_ashr_i32 s3, s2, 31
	s_add_co_i32 s5, s5, 1
	s_lshl_b64 s[2:3], s[2:3], 1
	s_ashr_i32 s1, s0, 31
	s_add_nc_u64 s[2:3], s[6:7], s[2:3]
	s_mul_i32 s5, s4, s5
	s_bfe_u32 s6, ttmp6, 0x40008
	s_lshl_b64 s[0:1], s[0:1], 1
	s_add_co_i32 s6, s6, s5
	s_cmp_eq_u32 s20, 0
	s_add_nc_u64 s[0:1], s[2:3], s[0:1]
	s_cselect_b32 s2, s4, s6
	s_mov_b32 s3, 0
	s_mulk_i32 s2, 0xf0
	s_delay_alu instid0(SALU_CYCLE_1)
	s_add_nc_u64 s[2:3], s[0:1], s[2:3]
	s_and_saveexec_b32 s0, vcc_lo
	s_cbranch_execz .LBB268_1090
; %bb.1089:
	;;#ASMSTART
	v_cvt_f16_f32 v0, v8;

	;;#ASMEND
	global_store_b16 v32, v0, s[2:3] scale_offset
.LBB268_1090:
	s_wait_xcnt 0x0
	s_or_b32 exec_lo, exec_lo, s0
	v_or_b32_e32 v0, 16, v32
	s_delay_alu instid0(VALU_DEP_1) | instskip(SKIP_1) | instid1(SALU_CYCLE_1)
	v_cmp_gt_u32_e64 s0, 0x78, v0
	s_and_b32 s1, vcc_lo, s0
	s_and_saveexec_b32 s0, s1
	s_cbranch_execz .LBB268_1092
; %bb.1091:
	;;#ASMSTART
	v_cvt_f16_f32 v0, v9;

	;;#ASMEND
	global_store_b16 v32, v0, s[2:3] offset:32 scale_offset
.LBB268_1092:
	s_wait_xcnt 0x0
	s_or_b32 exec_lo, exec_lo, s0
	v_or_b32_e32 v0, 32, v32
	s_delay_alu instid0(VALU_DEP_1) | instskip(SKIP_1) | instid1(SALU_CYCLE_1)
	v_cmp_gt_u32_e64 s0, 0x78, v0
	s_and_b32 s1, vcc_lo, s0
	s_and_saveexec_b32 s0, s1
	s_cbranch_execz .LBB268_1094
; %bb.1093:
	;;#ASMSTART
	v_cvt_f16_f32 v0, v6;

	;;#ASMEND
	global_store_b16 v32, v0, s[2:3] offset:64 scale_offset
.LBB268_1094:
	;; [unrolled: 15-line block ×6, first 2 shown]
	s_wait_xcnt 0x0
	s_or_b32 exec_lo, exec_lo, s0
	v_or_b32_e32 v0, 0x70, v32
	s_delay_alu instid0(VALU_DEP_1) | instskip(SKIP_1) | instid1(SALU_CYCLE_1)
	v_cmp_gt_u32_e64 s0, 0x78, v0
	s_and_b32 s0, vcc_lo, s0
	s_and_b32 exec_lo, exec_lo, s0
	s_cbranch_execz .LBB268_1104
; %bb.1103:
	;;#ASMSTART
	v_cvt_f16_f32 v0, v3;

	;;#ASMEND
	global_store_b16 v32, v0, s[2:3] offset:224 scale_offset
.LBB268_1104:
	s_sendmsg sendmsg(MSG_DEALLOC_VGPRS)
	s_endpgm
.LBB268_1105:
	v_lshl_add_u32 v10, v35, 2, v1
	ds_load_b32 v10, v10
	s_wait_dscnt 0x0
	v_add_f32_e32 v8, v8, v10
	s_or_b32 exec_lo, exec_lo, s0
	s_and_saveexec_b32 s0, vcc_lo
	s_cbranch_execz .LBB268_1061
.LBB268_1106:
	v_lshl_add_u32 v10, v35, 2, v1
	ds_load_b32 v10, v10 offset:64
	s_wait_dscnt 0x0
	v_add_f32_e32 v9, v9, v10
	s_or_b32 exec_lo, exec_lo, s0
	s_and_saveexec_b32 s0, vcc_lo
	s_cbranch_execz .LBB268_1062
.LBB268_1107:
	v_lshl_add_u32 v10, v35, 2, v1
	ds_load_b32 v10, v10 offset:128
	s_wait_dscnt 0x0
	v_add_f32_e32 v6, v6, v10
	s_or_b32 exec_lo, exec_lo, s0
	s_and_saveexec_b32 s0, vcc_lo
	s_cbranch_execz .LBB268_1063
.LBB268_1108:
	v_lshl_add_u32 v10, v35, 2, v1
	ds_load_b32 v10, v10 offset:192
	s_wait_dscnt 0x0
	v_add_f32_e32 v7, v7, v10
	s_or_b32 exec_lo, exec_lo, s0
	s_and_saveexec_b32 s0, vcc_lo
	s_cbranch_execz .LBB268_1064
.LBB268_1109:
	v_lshl_add_u32 v10, v35, 2, v1
	ds_load_b32 v10, v10 offset:256
	s_wait_dscnt 0x0
	v_add_f32_e32 v4, v4, v10
	s_or_b32 exec_lo, exec_lo, s0
	s_and_saveexec_b32 s0, vcc_lo
	s_cbranch_execz .LBB268_1065
.LBB268_1110:
	v_lshl_add_u32 v10, v35, 2, v1
	ds_load_b32 v10, v10 offset:320
	s_wait_dscnt 0x0
	v_add_f32_e32 v5, v5, v10
	s_or_b32 exec_lo, exec_lo, s0
	s_and_saveexec_b32 s0, vcc_lo
	s_cbranch_execnz .LBB268_1066
	s_branch .LBB268_1067
.LBB268_1111:
	ds_load_b32 v1, v0
	s_wait_dscnt 0x0
	v_add_f32_e32 v8, v8, v1
	s_or_b32 exec_lo, exec_lo, s1
	s_and_saveexec_b32 s1, vcc_lo
	s_cbranch_execz .LBB268_1078
.LBB268_1112:
	ds_load_b32 v1, v0 offset:64
	s_wait_dscnt 0x0
	v_add_f32_e32 v9, v9, v1
	s_or_b32 exec_lo, exec_lo, s1
	s_and_saveexec_b32 s1, vcc_lo
	s_cbranch_execz .LBB268_1079
.LBB268_1113:
	ds_load_b32 v1, v0 offset:128
	s_wait_dscnt 0x0
	v_add_f32_e32 v6, v6, v1
	s_or_b32 exec_lo, exec_lo, s1
	s_and_saveexec_b32 s1, vcc_lo
	s_cbranch_execz .LBB268_1080
.LBB268_1114:
	ds_load_b32 v1, v0 offset:192
	s_wait_dscnt 0x0
	v_add_f32_e32 v7, v7, v1
	s_or_b32 exec_lo, exec_lo, s1
	s_and_saveexec_b32 s1, vcc_lo
	s_cbranch_execz .LBB268_1081
.LBB268_1115:
	ds_load_b32 v1, v0 offset:256
	s_wait_dscnt 0x0
	v_add_f32_e32 v4, v4, v1
	s_or_b32 exec_lo, exec_lo, s1
	s_and_saveexec_b32 s1, vcc_lo
	s_cbranch_execz .LBB268_1082
.LBB268_1116:
	ds_load_b32 v1, v0 offset:320
	s_wait_dscnt 0x0
	v_add_f32_e32 v5, v5, v1
	s_or_b32 exec_lo, exec_lo, s1
	s_and_saveexec_b32 s1, vcc_lo
	s_cbranch_execnz .LBB268_1083
	s_branch .LBB268_1084
	.section	.rodata,"a",@progbits
	.p2align	6, 0x0
	.amdhsa_kernel _ZN4vllm25paged_attention_v1_kernelIthLi120ELi16ELi128ELNS_18Fp8KVCacheDataTypeE1ELb0EEEvPT_PKS2_PKT0_S8_ifPKiSA_iPKfiiiSC_SC_iiiii
		.amdhsa_group_segment_fixed_size 272
		.amdhsa_private_segment_fixed_size 0
		.amdhsa_kernarg_size 384
		.amdhsa_user_sgpr_count 2
		.amdhsa_user_sgpr_dispatch_ptr 0
		.amdhsa_user_sgpr_queue_ptr 0
		.amdhsa_user_sgpr_kernarg_segment_ptr 1
		.amdhsa_user_sgpr_dispatch_id 0
		.amdhsa_user_sgpr_kernarg_preload_length 0
		.amdhsa_user_sgpr_kernarg_preload_offset 0
		.amdhsa_user_sgpr_private_segment_size 0
		.amdhsa_wavefront_size32 1
		.amdhsa_uses_dynamic_stack 0
		.amdhsa_enable_private_segment 0
		.amdhsa_system_sgpr_workgroup_id_x 1
		.amdhsa_system_sgpr_workgroup_id_y 1
		.amdhsa_system_sgpr_workgroup_id_z 1
		.amdhsa_system_sgpr_workgroup_info 0
		.amdhsa_system_vgpr_workitem_id 0
		.amdhsa_next_free_vgpr 126
		.amdhsa_next_free_sgpr 32
		.amdhsa_named_barrier_count 0
		.amdhsa_reserve_vcc 1
		.amdhsa_float_round_mode_32 0
		.amdhsa_float_round_mode_16_64 0
		.amdhsa_float_denorm_mode_32 3
		.amdhsa_float_denorm_mode_16_64 3
		.amdhsa_fp16_overflow 0
		.amdhsa_memory_ordered 1
		.amdhsa_forward_progress 1
		.amdhsa_inst_pref_size 255
		.amdhsa_round_robin_scheduling 0
		.amdhsa_exception_fp_ieee_invalid_op 0
		.amdhsa_exception_fp_denorm_src 0
		.amdhsa_exception_fp_ieee_div_zero 0
		.amdhsa_exception_fp_ieee_overflow 0
		.amdhsa_exception_fp_ieee_underflow 0
		.amdhsa_exception_fp_ieee_inexact 0
		.amdhsa_exception_int_div_zero 0
	.end_amdhsa_kernel
	.section	.text._ZN4vllm25paged_attention_v1_kernelIthLi120ELi16ELi128ELNS_18Fp8KVCacheDataTypeE1ELb0EEEvPT_PKS2_PKT0_S8_ifPKiSA_iPKfiiiSC_SC_iiiii,"axG",@progbits,_ZN4vllm25paged_attention_v1_kernelIthLi120ELi16ELi128ELNS_18Fp8KVCacheDataTypeE1ELb0EEEvPT_PKS2_PKT0_S8_ifPKiSA_iPKfiiiSC_SC_iiiii,comdat
.Lfunc_end268:
	.size	_ZN4vllm25paged_attention_v1_kernelIthLi120ELi16ELi128ELNS_18Fp8KVCacheDataTypeE1ELb0EEEvPT_PKS2_PKT0_S8_ifPKiSA_iPKfiiiSC_SC_iiiii, .Lfunc_end268-_ZN4vllm25paged_attention_v1_kernelIthLi120ELi16ELi128ELNS_18Fp8KVCacheDataTypeE1ELb0EEEvPT_PKS2_PKT0_S8_ifPKiSA_iPKfiiiSC_SC_iiiii
                                        ; -- End function
	.set _ZN4vllm25paged_attention_v1_kernelIthLi120ELi16ELi128ELNS_18Fp8KVCacheDataTypeE1ELb0EEEvPT_PKS2_PKT0_S8_ifPKiSA_iPKfiiiSC_SC_iiiii.num_vgpr, 126
	.set _ZN4vllm25paged_attention_v1_kernelIthLi120ELi16ELi128ELNS_18Fp8KVCacheDataTypeE1ELb0EEEvPT_PKS2_PKT0_S8_ifPKiSA_iPKfiiiSC_SC_iiiii.num_agpr, 0
	.set _ZN4vllm25paged_attention_v1_kernelIthLi120ELi16ELi128ELNS_18Fp8KVCacheDataTypeE1ELb0EEEvPT_PKS2_PKT0_S8_ifPKiSA_iPKfiiiSC_SC_iiiii.numbered_sgpr, 32
	.set _ZN4vllm25paged_attention_v1_kernelIthLi120ELi16ELi128ELNS_18Fp8KVCacheDataTypeE1ELb0EEEvPT_PKS2_PKT0_S8_ifPKiSA_iPKfiiiSC_SC_iiiii.num_named_barrier, 0
	.set _ZN4vllm25paged_attention_v1_kernelIthLi120ELi16ELi128ELNS_18Fp8KVCacheDataTypeE1ELb0EEEvPT_PKS2_PKT0_S8_ifPKiSA_iPKfiiiSC_SC_iiiii.private_seg_size, 0
	.set _ZN4vllm25paged_attention_v1_kernelIthLi120ELi16ELi128ELNS_18Fp8KVCacheDataTypeE1ELb0EEEvPT_PKS2_PKT0_S8_ifPKiSA_iPKfiiiSC_SC_iiiii.uses_vcc, 1
	.set _ZN4vllm25paged_attention_v1_kernelIthLi120ELi16ELi128ELNS_18Fp8KVCacheDataTypeE1ELb0EEEvPT_PKS2_PKT0_S8_ifPKiSA_iPKfiiiSC_SC_iiiii.uses_flat_scratch, 0
	.set _ZN4vllm25paged_attention_v1_kernelIthLi120ELi16ELi128ELNS_18Fp8KVCacheDataTypeE1ELb0EEEvPT_PKS2_PKT0_S8_ifPKiSA_iPKfiiiSC_SC_iiiii.has_dyn_sized_stack, 0
	.set _ZN4vllm25paged_attention_v1_kernelIthLi120ELi16ELi128ELNS_18Fp8KVCacheDataTypeE1ELb0EEEvPT_PKS2_PKT0_S8_ifPKiSA_iPKfiiiSC_SC_iiiii.has_recursion, 0
	.set _ZN4vllm25paged_attention_v1_kernelIthLi120ELi16ELi128ELNS_18Fp8KVCacheDataTypeE1ELb0EEEvPT_PKS2_PKT0_S8_ifPKiSA_iPKfiiiSC_SC_iiiii.has_indirect_call, 0
	.section	.AMDGPU.csdata,"",@progbits
; Kernel info:
; codeLenInByte = 39068
; TotalNumSgprs: 34
; NumVgprs: 126
; ScratchSize: 0
; MemoryBound: 0
; FloatMode: 240
; IeeeMode: 1
; LDSByteSize: 272 bytes/workgroup (compile time only)
; SGPRBlocks: 0
; VGPRBlocks: 7
; NumSGPRsForWavesPerEU: 34
; NumVGPRsForWavesPerEU: 126
; NamedBarCnt: 0
; Occupancy: 8
; WaveLimiterHint : 1
; COMPUTE_PGM_RSRC2:SCRATCH_EN: 0
; COMPUTE_PGM_RSRC2:USER_SGPR: 2
; COMPUTE_PGM_RSRC2:TRAP_HANDLER: 0
; COMPUTE_PGM_RSRC2:TGID_X_EN: 1
; COMPUTE_PGM_RSRC2:TGID_Y_EN: 1
; COMPUTE_PGM_RSRC2:TGID_Z_EN: 1
; COMPUTE_PGM_RSRC2:TIDIG_COMP_CNT: 0
	.section	.text._ZN4vllm25paged_attention_v1_kernelIthLi128ELi16ELi128ELNS_18Fp8KVCacheDataTypeE1ELb0EEEvPT_PKS2_PKT0_S8_ifPKiSA_iPKfiiiSC_SC_iiiii,"axG",@progbits,_ZN4vllm25paged_attention_v1_kernelIthLi128ELi16ELi128ELNS_18Fp8KVCacheDataTypeE1ELb0EEEvPT_PKS2_PKT0_S8_ifPKiSA_iPKfiiiSC_SC_iiiii,comdat
	.protected	_ZN4vllm25paged_attention_v1_kernelIthLi128ELi16ELi128ELNS_18Fp8KVCacheDataTypeE1ELb0EEEvPT_PKS2_PKT0_S8_ifPKiSA_iPKfiiiSC_SC_iiiii ; -- Begin function _ZN4vllm25paged_attention_v1_kernelIthLi128ELi16ELi128ELNS_18Fp8KVCacheDataTypeE1ELb0EEEvPT_PKS2_PKT0_S8_ifPKiSA_iPKfiiiSC_SC_iiiii
	.globl	_ZN4vllm25paged_attention_v1_kernelIthLi128ELi16ELi128ELNS_18Fp8KVCacheDataTypeE1ELb0EEEvPT_PKS2_PKT0_S8_ifPKiSA_iPKfiiiSC_SC_iiiii
	.p2align	8
	.type	_ZN4vllm25paged_attention_v1_kernelIthLi128ELi16ELi128ELNS_18Fp8KVCacheDataTypeE1ELb0EEEvPT_PKS2_PKT0_S8_ifPKiSA_iPKfiiiSC_SC_iiiii,@function
_ZN4vllm25paged_attention_v1_kernelIthLi128ELi16ELi128ELNS_18Fp8KVCacheDataTypeE1ELb0EEEvPT_PKS2_PKT0_S8_ifPKiSA_iPKfiiiSC_SC_iiiii: ; @_ZN4vllm25paged_attention_v1_kernelIthLi128ELi16ELi128ELNS_18Fp8KVCacheDataTypeE1ELb0EEEvPT_PKS2_PKT0_S8_ifPKiSA_iPKfiiiSC_SC_iiiii
; %bb.0:
	s_load_b64 s[20:21], s[0:1], 0x20
	s_bfe_u32 s3, ttmp6, 0x4000c
	s_bfe_u32 s5, ttmp6, 0x40010
	s_and_b32 s4, ttmp7, 0xffff
	s_add_co_i32 s3, s3, 1
	s_add_co_i32 s5, s5, 1
	s_and_b32 s2, ttmp6, 15
	s_bfe_u32 s6, ttmp6, 0x40004
	s_mul_i32 s3, ttmp9, s3
	s_mul_i32 s5, s4, s5
	s_getreg_b32 s22, hwreg(HW_REG_IB_STS2, 6, 4)
	s_add_co_i32 s7, s2, s3
	s_add_co_i32 s6, s6, s5
	s_cmp_eq_u32 s22, 0
	s_clause 0x1
	s_load_b32 s23, s[0:1], 0x80
	s_load_b64 s[2:3], s[0:1], 0x30
	s_cselect_b32 s24, s4, s6
	s_cselect_b32 s6, ttmp9, s7
	s_wait_kmcnt 0x0
	s_abs_i32 s4, s20
	s_delay_alu instid0(SALU_CYCLE_1) | instskip(SKIP_1) | instid1(SALU_CYCLE_2)
	s_cvt_f32_u32 s5, s4
	s_sub_co_i32 s7, 0, s4
	v_rcp_iflag_f32_e32 v1, s5
	s_abs_i32 s8, s23
	v_nop
	s_delay_alu instid0(TRANS32_DEP_1) | instskip(SKIP_1) | instid1(SALU_CYCLE_3)
	v_readfirstlane_b32 s5, v1
	s_mul_f32 s5, s5, 0x4f7ffffe
	s_cvt_u32_f32 s5, s5
	s_delay_alu instid0(SALU_CYCLE_3) | instskip(NEXT) | instid1(SALU_CYCLE_1)
	s_mul_i32 s7, s7, s5
	s_mul_hi_u32 s7, s5, s7
	s_delay_alu instid0(SALU_CYCLE_1) | instskip(SKIP_4) | instid1(SALU_CYCLE_1)
	s_add_co_i32 s5, s5, s7
	s_xor_b32 s7, s23, s20
	s_mul_hi_u32 s5, s8, s5
	s_ashr_i32 s7, s7, 31
	s_mul_i32 s9, s5, s4
	s_sub_co_i32 s8, s8, s9
	s_add_co_i32 s9, s5, 1
	s_sub_co_i32 s10, s8, s4
	s_cmp_ge_u32 s8, s4
	s_cselect_b32 s5, s9, s5
	s_cselect_b32 s8, s10, s8
	s_add_co_i32 s9, s5, 1
	s_cmp_ge_u32 s8, s4
	s_load_b64 s[10:11], s[0:1], 0x40
	s_cselect_b32 s4, s9, s5
	s_mov_b32 s5, 0
	s_xor_b32 s4, s4, s7
	s_mov_b32 s9, s5
	s_sub_co_i32 s16, s4, s7
	s_mov_b32 s20, s5
	s_abs_i32 s15, s16
	s_delay_alu instid0(SALU_CYCLE_1) | instskip(NEXT) | instid1(SALU_CYCLE_3)
	s_cvt_f32_u32 s4, s15
	v_rcp_iflag_f32_e32 v1, s4
	v_nop
	s_delay_alu instid0(TRANS32_DEP_1) | instskip(SKIP_1) | instid1(SALU_CYCLE_3)
	v_readfirstlane_b32 s4, v1
	s_mul_f32 s4, s4, 0x4f7ffffe
	s_cvt_u32_f32 s7, s4
	s_sub_co_i32 s4, 0, s15
	s_delay_alu instid0(SALU_CYCLE_2) | instskip(NEXT) | instid1(SALU_CYCLE_1)
	s_mul_i32 s4, s4, s7
	s_mul_hi_u32 s8, s7, s4
	s_abs_i32 s4, s6
	s_add_co_i32 s8, s7, s8
	s_wait_kmcnt 0x0
	s_cmp_eq_u64 s[10:11], 0
	s_cbranch_scc1 .LBB269_2
; %bb.1:
	s_ashr_i32 s7, s6, 31
	s_delay_alu instid0(SALU_CYCLE_1) | instskip(NEXT) | instid1(SALU_CYCLE_1)
	s_lshl_b64 s[12:13], s[6:7], 2
	s_add_nc_u64 s[10:11], s[10:11], s[12:13]
	s_load_b32 s20, s[10:11], 0x0
.LBB269_2:
	s_load_b32 s25, s[2:3], s24 offset:0x0 scale_offset
	s_load_b96 s[12:14], s[0:1], 0x48
	v_dual_lshrrev_b32 v28, 1, v0 :: v_dual_bitop2_b32 v29, 1, v0 bitop3:0x40
	s_wait_xcnt 0x0
	v_cmp_gt_u32_e64 s2, 32, v0
	s_ashr_i32 s3, s6, 31
	s_ashr_i32 s10, s16, 31
	s_mul_u64 s[8:9], s[4:5], s[8:9]
	s_lshl_b32 s6, s6, 7
	s_and_saveexec_b32 s5, s2
	s_cbranch_execz .LBB269_4
; %bb.3:
	s_load_b64 s[16:17], s[0:1], 0x8
	s_wait_kmcnt 0x0
	s_mul_i32 s18, s12, s24
	s_ashr_i32 s7, s6, 31
	s_ashr_i32 s19, s18, 31
	v_lshlrev_b32_e32 v1, 3, v28
	s_lshl_b64 s[18:19], s[18:19], 1
	s_delay_alu instid0(VALU_DEP_1) | instskip(SKIP_2) | instid1(SALU_CYCLE_1)
	v_lshl_add_u32 v1, v29, 7, v1
	s_add_nc_u64 s[16:17], s[16:17], s[18:19]
	s_lshl_b64 s[18:19], s[6:7], 1
	s_add_nc_u64 s[16:17], s[16:17], s[18:19]
	global_load_b64 v[2:3], v0, s[16:17] scale_offset
	s_wait_loadcnt 0x0
	ds_store_b64 v1, v[2:3]
.LBB269_4:
	s_or_b32 exec_lo, exec_lo, s5
	s_wait_kmcnt 0x0
	s_add_co_i32 s5, s25, 15
	s_load_b32 s7, s[0:1], 0x38
	s_ashr_i32 s8, s5, 31
	s_xor_b32 s3, s3, s10
	s_lshr_b32 s8, s8, 28
	s_mul_i32 s10, s9, s15
	s_add_co_i32 s5, s5, s8
	s_sub_co_i32 s4, s4, s10
	s_ashr_i32 s12, s5, 4
	s_add_co_i32 s5, s9, 1
	s_sub_co_i32 s8, s4, s15
	s_cmp_ge_u32 s4, s15
	v_lshrrev_b32_e32 v30, 5, v0
	s_cselect_b32 s5, s5, s9
	s_cselect_b32 s4, s8, s4
	s_add_co_i32 s8, s5, 1
	s_cmp_ge_u32 s4, s15
	v_mbcnt_lo_u32_b32 v11, -1, 0
	s_cselect_b32 s4, s8, s5
	s_mov_b32 s5, exec_lo
	s_xor_b32 s4, s4, s3
	s_wait_kmcnt 0x0
	s_mul_i32 s16, s7, s24
	s_sub_co_i32 s4, s4, s3
	v_cmp_gt_i32_e64 s3, s12, v30
	s_ashr_i32 s17, s16, 31
	s_wait_dscnt 0x0
	s_barrier_signal -1
	s_barrier_wait -1
                                        ; implicit-def: $vgpr3
                                        ; implicit-def: $vgpr12
	v_cmpx_le_i32_e64 s12, v30
	s_xor_b32 s5, exec_lo, s5
; %bb.5:
	v_dual_mov_b32 v3, 0 :: v_dual_mov_b32 v12, 32
	v_mbcnt_lo_u32_b32 v11, -1, 0
; %bb.6:
	s_or_saveexec_b32 s26, s5
	s_clause 0x2
	s_load_b32 s7, s[0:1], 0x88
	s_load_b64 s[18:19], s[0:1], 0x28
	s_load_b128 s[8:11], s[0:1], 0x58
	v_mov_b32_e32 v13, 0xff7fffff
	v_lshrrev_b32_e32 v1, 3, v0
	s_mul_i32 s14, s4, s14
	s_xor_b32 exec_lo, exec_lo, s26
	s_cbranch_execz .LBB269_524
; %bb.7:
	s_load_b64 s[4:5], s[0:1], 0x10
	v_bfe_u32 v6, v0, 1, 4
	v_mov_b32_e32 v3, 0
	s_ashr_i32 s15, s14, 31
	s_cmp_neq_f32 s20, 0
	v_dual_mov_b32 v13, 0xff7fffff :: v_dual_lshlrev_b32 v14, 7, v29
	v_dual_lshlrev_b32 v2, 4, v6 :: v_dual_lshlrev_b32 v7, 2, v6
	v_lshl_or_b32 v15, v30, 4, v6
	v_mov_b32_e32 v12, 32
	s_mov_b32 s27, s13
	v_cmp_eq_u32_e32 vcc_lo, 0, v29
	v_mov_b32_e32 v17, v30
	s_wait_kmcnt 0x0
	s_add_nc_u64 s[4:5], s[4:5], s[14:15]
	s_mov_b32 s15, 0
	v_add_nc_u64_e32 v[4:5], s[4:5], v[2:3]
	v_lshlrev_b32_e32 v2, 2, v29
	v_lshl_or_b32 v7, v30, 6, v7
	s_cselect_b32 s4, -1, 0
	s_lshl_b64 s[28:29], s[16:17], 2
	s_delay_alu instid0(SALU_CYCLE_1) | instskip(NEXT) | instid1(VALU_DEP_3)
	s_add_nc_u64 s[28:29], s[18:19], s[28:29]
	v_add_nc_u64_e32 v[4:5], v[4:5], v[2:3]
	v_and_b32_e32 v2, 0x7c, v1
	v_add_nc_u32_e32 v16, 0x120, v7
	s_delay_alu instid0(VALU_DEP_2)
	v_add_nc_u64_e32 v[6:7], s[28:29], v[2:3]
	s_sub_co_i32 s28, 1, s25
	s_branch .LBB269_9
.LBB269_8:                              ;   in Loop: Header=BB269_9 Depth=1
	s_or_b32 exec_lo, exec_lo, s29
	v_dual_add_nc_u32 v17, 4, v17 :: v_dual_add_nc_u32 v15, 64, v15
	v_add_nc_u64_e32 v[6:7], 16, v[6:7]
	v_add_nc_u32_e32 v16, 0x100, v16
	s_delay_alu instid0(VALU_DEP_3) | instskip(SKIP_1) | instid1(SALU_CYCLE_1)
	v_cmp_le_i32_e64 s5, s12, v17
	s_or_b32 s15, s5, s15
	s_and_not1_b32 exec_lo, exec_lo, s15
	s_cbranch_execz .LBB269_523
.LBB269_9:                              ; =>This Inner Loop Header: Depth=1
	global_load_b32 v2, v[6:7], off
	v_dual_mov_b32 v19, 0 :: v_dual_mov_b32 v20, 0
	s_mov_b32 s29, exec_lo
	global_load_b32 v18, v19, s[8:9]
	s_wait_loadcnt_dscnt 0x100
	v_mad_nc_i64_i32 v[8:9], v2, s27, v[4:5]
	global_load_b32 v10, v[8:9], off
	s_wait_loadcnt 0x0
	v_and_b32_e32 v2, 0xff, v10
	s_wait_xcnt 0x0
	s_delay_alu instid0(VALU_DEP_1)
	v_cmpx_ne_u16_e32 0, v2
	s_cbranch_execz .LBB269_17
; %bb.10:                               ;   in Loop: Header=BB269_9 Depth=1
	v_mov_b32_e32 v20, 0x8000
	s_mov_b32 s30, exec_lo
	v_cmpx_ne_u16_e32 0x80, v2
	s_cbranch_execz .LBB269_16
; %bb.11:                               ;   in Loop: Header=BB269_9 Depth=1
	v_and_b32_e32 v21, 0x7f, v10
	v_mov_b32_e32 v20, 0x7c01
	s_mov_b32 s31, exec_lo
	s_delay_alu instid0(VALU_DEP_2)
	v_cmpx_ne_u32_e32 0x7f, v21
	s_cbranch_execz .LBB269_15
; %bb.12:                               ;   in Loop: Header=BB269_9 Depth=1
	v_dual_lshrrev_b32 v20, 3, v21 :: v_dual_bitop2_b32 v2, 7, v10 bitop3:0x40
	s_mov_b32 s33, exec_lo
	v_cmpx_gt_u32_e32 8, v21
; %bb.13:                               ;   in Loop: Header=BB269_9 Depth=1
	s_delay_alu instid0(VALU_DEP_2) | instskip(NEXT) | instid1(VALU_DEP_1)
	v_clz_i32_u32_e32 v2, v2
	v_min_u32_e32 v2, 32, v2
	s_delay_alu instid0(VALU_DEP_1) | instskip(NEXT) | instid1(VALU_DEP_1)
	v_subrev_nc_u32_e32 v20, 28, v2
	v_lshlrev_b64_e32 v[22:23], v20, v[10:11]
	v_sub_nc_u32_e32 v20, 29, v2
	s_delay_alu instid0(VALU_DEP_2)
	v_and_b32_e32 v2, 7, v22
; %bb.14:                               ;   in Loop: Header=BB269_9 Depth=1
	s_or_b32 exec_lo, exec_lo, s33
	v_lshlrev_b32_e32 v21, 8, v10
	s_delay_alu instid0(VALU_DEP_3) | instskip(NEXT) | instid1(VALU_DEP_3)
	v_lshl_add_u32 v20, v20, 10, 0x2000
	v_lshlrev_b32_e32 v2, 7, v2
	s_delay_alu instid0(VALU_DEP_3) | instskip(NEXT) | instid1(VALU_DEP_3)
	v_and_b32_e32 v21, 0x8000, v21
	v_and_b32_e32 v20, 0xfc00, v20
	s_delay_alu instid0(VALU_DEP_1)
	v_or3_b32 v20, v21, v20, v2
.LBB269_15:                             ;   in Loop: Header=BB269_9 Depth=1
	s_or_b32 exec_lo, exec_lo, s31
.LBB269_16:                             ;   in Loop: Header=BB269_9 Depth=1
	s_delay_alu instid0(SALU_CYCLE_1)
	s_or_b32 exec_lo, exec_lo, s30
.LBB269_17:                             ;   in Loop: Header=BB269_9 Depth=1
	s_delay_alu instid0(SALU_CYCLE_1) | instskip(SKIP_2) | instid1(VALU_DEP_1)
	s_or_b32 exec_lo, exec_lo, s29
	v_lshrrev_b16 v2, 8, v10
	s_mov_b32 s29, exec_lo
	v_cmpx_ne_u16_e32 0, v2
	s_cbranch_execz .LBB269_25
; %bb.18:                               ;   in Loop: Header=BB269_9 Depth=1
	v_bfrev_b32_e32 v19, 1
	s_mov_b32 s30, exec_lo
	v_cmpx_ne_u16_e32 0x80, v2
	s_cbranch_execz .LBB269_24
; %bb.19:                               ;   in Loop: Header=BB269_9 Depth=1
	v_and_b32_e32 v21, 0xffff, v2
	v_mov_b32_e32 v19, 0x7c010000
	s_mov_b32 s31, exec_lo
	s_delay_alu instid0(VALU_DEP_2) | instskip(NEXT) | instid1(VALU_DEP_1)
	v_and_b32_e32 v23, 0x7f, v21
	v_cmpx_ne_u32_e32 0x7f, v23
	s_cbranch_execz .LBB269_23
; %bb.20:                               ;   in Loop: Header=BB269_9 Depth=1
	v_dual_lshrrev_b32 v22, 3, v23 :: v_dual_bitop2_b32 v19, 7, v21 bitop3:0x40
	s_mov_b32 s33, exec_lo
	v_cmpx_gt_u32_e32 8, v23
; %bb.21:                               ;   in Loop: Header=BB269_9 Depth=1
	s_delay_alu instid0(VALU_DEP_2) | instskip(NEXT) | instid1(VALU_DEP_1)
	v_clz_i32_u32_e32 v19, v19
	v_min_u32_e32 v19, 32, v19
	s_delay_alu instid0(VALU_DEP_1) | instskip(NEXT) | instid1(VALU_DEP_1)
	v_subrev_nc_u32_e32 v22, 28, v19
	v_lshlrev_b64_e32 v[24:25], v22, v[2:3]
	s_delay_alu instid0(VALU_DEP_1)
	v_dual_sub_nc_u32 v22, 29, v19 :: v_dual_bitop2_b32 v19, 7, v24 bitop3:0x40
; %bb.22:                               ;   in Loop: Header=BB269_9 Depth=1
	s_or_b32 exec_lo, exec_lo, s33
	s_delay_alu instid0(VALU_DEP_1) | instskip(NEXT) | instid1(VALU_DEP_2)
	v_dual_lshlrev_b32 v2, 8, v21 :: v_dual_lshlrev_b32 v19, 23, v19
	v_lshl_add_u32 v21, v22, 10, 0x2000
	s_delay_alu instid0(VALU_DEP_1) | instskip(NEXT) | instid1(VALU_DEP_1)
	v_and_or_b32 v2, 0x8000, v2, v21
	v_lshl_or_b32 v19, v2, 16, v19
.LBB269_23:                             ;   in Loop: Header=BB269_9 Depth=1
	s_or_b32 exec_lo, exec_lo, s31
.LBB269_24:                             ;   in Loop: Header=BB269_9 Depth=1
	s_delay_alu instid0(SALU_CYCLE_1)
	s_or_b32 exec_lo, exec_lo, s30
.LBB269_25:                             ;   in Loop: Header=BB269_9 Depth=1
	s_delay_alu instid0(SALU_CYCLE_1) | instskip(SKIP_3) | instid1(VALU_DEP_2)
	s_or_b32 exec_lo, exec_lo, s29
	v_dual_mov_b32 v21, 0 :: v_dual_lshrrev_b32 v2, 16, v10
	v_mov_b32_e32 v22, 0
	s_mov_b32 s29, exec_lo
	v_and_b32_e32 v23, 0xff, v2
	s_delay_alu instid0(VALU_DEP_1)
	v_cmpx_ne_u16_e32 0, v23
	s_cbranch_execz .LBB269_33
; %bb.26:                               ;   in Loop: Header=BB269_9 Depth=1
	v_mov_b32_e32 v22, 0x8000
	s_mov_b32 s30, exec_lo
	v_cmpx_ne_u16_e32 0x80, v23
	s_cbranch_execz .LBB269_32
; %bb.27:                               ;   in Loop: Header=BB269_9 Depth=1
	v_bfe_u32 v24, v10, 16, 7
	v_mov_b32_e32 v22, 0x7c01
	s_mov_b32 s31, exec_lo
	s_delay_alu instid0(VALU_DEP_2)
	v_cmpx_ne_u32_e32 0x7f, v24
	s_cbranch_execz .LBB269_31
; %bb.28:                               ;   in Loop: Header=BB269_9 Depth=1
	v_dual_lshrrev_b32 v23, 3, v24 :: v_dual_bitop2_b32 v22, 7, v2 bitop3:0x40
	s_mov_b32 s33, exec_lo
	v_cmpx_gt_u32_e32 8, v24
; %bb.29:                               ;   in Loop: Header=BB269_9 Depth=1
	s_delay_alu instid0(VALU_DEP_2) | instskip(NEXT) | instid1(VALU_DEP_1)
	v_clz_i32_u32_e32 v22, v22
	v_min_u32_e32 v24, 32, v22
	s_delay_alu instid0(VALU_DEP_1) | instskip(NEXT) | instid1(VALU_DEP_1)
	v_subrev_nc_u32_e32 v22, 28, v24
	v_lshlrev_b64_e32 v[22:23], v22, v[2:3]
	s_delay_alu instid0(VALU_DEP_1)
	v_dual_sub_nc_u32 v23, 29, v24 :: v_dual_bitop2_b32 v22, 7, v22 bitop3:0x40
; %bb.30:                               ;   in Loop: Header=BB269_9 Depth=1
	s_or_b32 exec_lo, exec_lo, s33
	v_lshlrev_b32_e32 v2, 8, v2
	s_delay_alu instid0(VALU_DEP_2) | instskip(NEXT) | instid1(VALU_DEP_3)
	v_lshl_add_u32 v23, v23, 10, 0x2000
	v_lshlrev_b32_e32 v22, 7, v22
	s_delay_alu instid0(VALU_DEP_3) | instskip(NEXT) | instid1(VALU_DEP_3)
	v_and_b32_e32 v2, 0x8000, v2
	v_and_b32_e32 v23, 0xfc00, v23
	s_delay_alu instid0(VALU_DEP_1)
	v_or3_b32 v22, v2, v23, v22
.LBB269_31:                             ;   in Loop: Header=BB269_9 Depth=1
	s_or_b32 exec_lo, exec_lo, s31
.LBB269_32:                             ;   in Loop: Header=BB269_9 Depth=1
	s_delay_alu instid0(SALU_CYCLE_1)
	s_or_b32 exec_lo, exec_lo, s30
.LBB269_33:                             ;   in Loop: Header=BB269_9 Depth=1
	s_delay_alu instid0(SALU_CYCLE_1) | instskip(NEXT) | instid1(SALU_CYCLE_1)
	s_or_b32 exec_lo, exec_lo, s29
	s_mov_b32 s29, exec_lo
	v_cmpx_lt_u32_e32 0xffffff, v10
	s_cbranch_execz .LBB269_41
; %bb.34:                               ;   in Loop: Header=BB269_9 Depth=1
	v_lshrrev_b32_e32 v2, 24, v10
	v_bfrev_b32_e32 v21, 1
	s_mov_b32 s30, exec_lo
	s_delay_alu instid0(VALU_DEP_2)
	v_cmpx_ne_u32_e32 0x80, v2
	s_cbranch_execz .LBB269_40
; %bb.35:                               ;   in Loop: Header=BB269_9 Depth=1
	v_and_b32_e32 v23, 0x7f, v2
	v_mov_b32_e32 v21, 0x7c010000
	s_mov_b32 s31, exec_lo
	s_delay_alu instid0(VALU_DEP_2)
	v_cmpx_ne_u32_e32 0x7f, v23
	s_cbranch_execz .LBB269_39
; %bb.36:                               ;   in Loop: Header=BB269_9 Depth=1
	v_dual_lshrrev_b32 v21, 3, v23 :: v_dual_bitop2_b32 v10, 7, v2 bitop3:0x40
	s_mov_b32 s33, exec_lo
	v_cmpx_gt_u32_e32 8, v23
; %bb.37:                               ;   in Loop: Header=BB269_9 Depth=1
	s_delay_alu instid0(VALU_DEP_2) | instskip(NEXT) | instid1(VALU_DEP_1)
	v_clz_i32_u32_e32 v10, v10
	v_min_u32_e32 v10, 32, v10
	s_delay_alu instid0(VALU_DEP_1) | instskip(NEXT) | instid1(VALU_DEP_1)
	v_subrev_nc_u32_e32 v21, 28, v10
	v_lshlrev_b64_e32 v[24:25], v21, v[2:3]
	s_delay_alu instid0(VALU_DEP_1)
	v_dual_sub_nc_u32 v21, 29, v10 :: v_dual_bitop2_b32 v10, 7, v24 bitop3:0x40
; %bb.38:                               ;   in Loop: Header=BB269_9 Depth=1
	s_or_b32 exec_lo, exec_lo, s33
	v_lshlrev_b32_e32 v2, 8, v2
	s_delay_alu instid0(VALU_DEP_2) | instskip(NEXT) | instid1(VALU_DEP_3)
	v_lshl_add_u32 v21, v21, 10, 0x2000
	v_lshlrev_b32_e32 v10, 23, v10
	s_delay_alu instid0(VALU_DEP_2) | instskip(NEXT) | instid1(VALU_DEP_1)
	v_and_or_b32 v2, 0x8000, v2, v21
	v_lshl_or_b32 v21, v2, 16, v10
.LBB269_39:                             ;   in Loop: Header=BB269_9 Depth=1
	s_or_b32 exec_lo, exec_lo, s31
.LBB269_40:                             ;   in Loop: Header=BB269_9 Depth=1
	s_delay_alu instid0(SALU_CYCLE_1)
	s_or_b32 exec_lo, exec_lo, s30
.LBB269_41:                             ;   in Loop: Header=BB269_9 Depth=1
	s_delay_alu instid0(SALU_CYCLE_1)
	s_or_b32 exec_lo, exec_lo, s29
	global_load_b32 v10, v[8:9], off offset:8
	v_dual_mov_b32 v23, 0 :: v_dual_mov_b32 v24, 0
	s_mov_b32 s29, exec_lo
	s_wait_loadcnt 0x0
	v_and_b32_e32 v2, 0xff, v10
	s_delay_alu instid0(VALU_DEP_1)
	v_cmpx_ne_u16_e32 0, v2
	s_cbranch_execz .LBB269_49
; %bb.42:                               ;   in Loop: Header=BB269_9 Depth=1
	v_mov_b32_e32 v24, 0x8000
	s_mov_b32 s30, exec_lo
	v_cmpx_ne_u16_e32 0x80, v2
	s_cbranch_execz .LBB269_48
; %bb.43:                               ;   in Loop: Header=BB269_9 Depth=1
	v_and_b32_e32 v25, 0x7f, v10
	v_mov_b32_e32 v24, 0x7c01
	s_mov_b32 s31, exec_lo
	s_delay_alu instid0(VALU_DEP_2)
	v_cmpx_ne_u32_e32 0x7f, v25
	s_cbranch_execz .LBB269_47
; %bb.44:                               ;   in Loop: Header=BB269_9 Depth=1
	v_dual_lshrrev_b32 v24, 3, v25 :: v_dual_bitop2_b32 v2, 7, v10 bitop3:0x40
	s_mov_b32 s33, exec_lo
	v_cmpx_gt_u32_e32 8, v25
; %bb.45:                               ;   in Loop: Header=BB269_9 Depth=1
	s_delay_alu instid0(VALU_DEP_2) | instskip(NEXT) | instid1(VALU_DEP_1)
	v_clz_i32_u32_e32 v2, v2
	v_min_u32_e32 v2, 32, v2
	s_delay_alu instid0(VALU_DEP_1) | instskip(NEXT) | instid1(VALU_DEP_1)
	v_subrev_nc_u32_e32 v24, 28, v2
	v_lshlrev_b64_e32 v[26:27], v24, v[10:11]
	v_sub_nc_u32_e32 v24, 29, v2
	s_delay_alu instid0(VALU_DEP_2)
	v_and_b32_e32 v2, 7, v26
; %bb.46:                               ;   in Loop: Header=BB269_9 Depth=1
	s_or_b32 exec_lo, exec_lo, s33
	v_lshlrev_b32_e32 v25, 8, v10
	s_delay_alu instid0(VALU_DEP_3) | instskip(NEXT) | instid1(VALU_DEP_3)
	v_lshl_add_u32 v24, v24, 10, 0x2000
	v_lshlrev_b32_e32 v2, 7, v2
	s_delay_alu instid0(VALU_DEP_3) | instskip(NEXT) | instid1(VALU_DEP_3)
	v_and_b32_e32 v25, 0x8000, v25
	v_and_b32_e32 v24, 0xfc00, v24
	s_delay_alu instid0(VALU_DEP_1)
	v_or3_b32 v24, v25, v24, v2
.LBB269_47:                             ;   in Loop: Header=BB269_9 Depth=1
	s_or_b32 exec_lo, exec_lo, s31
.LBB269_48:                             ;   in Loop: Header=BB269_9 Depth=1
	s_delay_alu instid0(SALU_CYCLE_1)
	s_or_b32 exec_lo, exec_lo, s30
.LBB269_49:                             ;   in Loop: Header=BB269_9 Depth=1
	s_delay_alu instid0(SALU_CYCLE_1) | instskip(SKIP_2) | instid1(VALU_DEP_1)
	s_or_b32 exec_lo, exec_lo, s29
	v_lshrrev_b16 v2, 8, v10
	s_mov_b32 s29, exec_lo
	v_cmpx_ne_u16_e32 0, v2
	s_cbranch_execz .LBB269_57
; %bb.50:                               ;   in Loop: Header=BB269_9 Depth=1
	v_bfrev_b32_e32 v23, 1
	s_mov_b32 s30, exec_lo
	v_cmpx_ne_u16_e32 0x80, v2
	s_cbranch_execz .LBB269_56
; %bb.51:                               ;   in Loop: Header=BB269_9 Depth=1
	v_and_b32_e32 v25, 0xffff, v2
	v_mov_b32_e32 v23, 0x7c010000
	s_mov_b32 s31, exec_lo
	s_delay_alu instid0(VALU_DEP_2) | instskip(NEXT) | instid1(VALU_DEP_1)
	v_and_b32_e32 v27, 0x7f, v25
	v_cmpx_ne_u32_e32 0x7f, v27
	s_cbranch_execz .LBB269_55
; %bb.52:                               ;   in Loop: Header=BB269_9 Depth=1
	v_dual_lshrrev_b32 v26, 3, v27 :: v_dual_bitop2_b32 v23, 7, v25 bitop3:0x40
	s_mov_b32 s33, exec_lo
	v_cmpx_gt_u32_e32 8, v27
; %bb.53:                               ;   in Loop: Header=BB269_9 Depth=1
	s_delay_alu instid0(VALU_DEP_2) | instskip(NEXT) | instid1(VALU_DEP_1)
	v_clz_i32_u32_e32 v23, v23
	v_min_u32_e32 v23, 32, v23
	s_delay_alu instid0(VALU_DEP_1) | instskip(NEXT) | instid1(VALU_DEP_1)
	v_subrev_nc_u32_e32 v26, 28, v23
	v_lshlrev_b64_e32 v[32:33], v26, v[2:3]
	s_delay_alu instid0(VALU_DEP_1)
	v_dual_sub_nc_u32 v26, 29, v23 :: v_dual_bitop2_b32 v23, 7, v32 bitop3:0x40
; %bb.54:                               ;   in Loop: Header=BB269_9 Depth=1
	s_or_b32 exec_lo, exec_lo, s33
	s_delay_alu instid0(VALU_DEP_1) | instskip(NEXT) | instid1(VALU_DEP_2)
	v_dual_lshlrev_b32 v2, 8, v25 :: v_dual_lshlrev_b32 v23, 23, v23
	v_lshl_add_u32 v25, v26, 10, 0x2000
	s_delay_alu instid0(VALU_DEP_1) | instskip(NEXT) | instid1(VALU_DEP_1)
	v_and_or_b32 v2, 0x8000, v2, v25
	v_lshl_or_b32 v23, v2, 16, v23
.LBB269_55:                             ;   in Loop: Header=BB269_9 Depth=1
	s_or_b32 exec_lo, exec_lo, s31
.LBB269_56:                             ;   in Loop: Header=BB269_9 Depth=1
	s_delay_alu instid0(SALU_CYCLE_1)
	s_or_b32 exec_lo, exec_lo, s30
.LBB269_57:                             ;   in Loop: Header=BB269_9 Depth=1
	s_delay_alu instid0(SALU_CYCLE_1) | instskip(SKIP_3) | instid1(VALU_DEP_2)
	s_or_b32 exec_lo, exec_lo, s29
	v_dual_mov_b32 v25, 0 :: v_dual_lshrrev_b32 v2, 16, v10
	v_mov_b32_e32 v26, 0
	s_mov_b32 s29, exec_lo
	v_and_b32_e32 v27, 0xff, v2
	s_delay_alu instid0(VALU_DEP_1)
	v_cmpx_ne_u16_e32 0, v27
	s_cbranch_execz .LBB269_65
; %bb.58:                               ;   in Loop: Header=BB269_9 Depth=1
	v_mov_b32_e32 v26, 0x8000
	s_mov_b32 s30, exec_lo
	v_cmpx_ne_u16_e32 0x80, v27
	s_cbranch_execz .LBB269_64
; %bb.59:                               ;   in Loop: Header=BB269_9 Depth=1
	v_bfe_u32 v31, v10, 16, 7
	v_mov_b32_e32 v26, 0x7c01
	s_mov_b32 s31, exec_lo
	s_delay_alu instid0(VALU_DEP_2)
	v_cmpx_ne_u32_e32 0x7f, v31
	s_cbranch_execz .LBB269_63
; %bb.60:                               ;   in Loop: Header=BB269_9 Depth=1
	v_dual_lshrrev_b32 v27, 3, v31 :: v_dual_bitop2_b32 v26, 7, v2 bitop3:0x40
	s_mov_b32 s33, exec_lo
	v_cmpx_gt_u32_e32 8, v31
; %bb.61:                               ;   in Loop: Header=BB269_9 Depth=1
	s_delay_alu instid0(VALU_DEP_2) | instskip(NEXT) | instid1(VALU_DEP_1)
	v_clz_i32_u32_e32 v26, v26
	v_min_u32_e32 v31, 32, v26
	s_delay_alu instid0(VALU_DEP_1) | instskip(NEXT) | instid1(VALU_DEP_1)
	v_subrev_nc_u32_e32 v26, 28, v31
	v_lshlrev_b64_e32 v[26:27], v26, v[2:3]
	s_delay_alu instid0(VALU_DEP_1)
	v_dual_sub_nc_u32 v27, 29, v31 :: v_dual_bitop2_b32 v26, 7, v26 bitop3:0x40
; %bb.62:                               ;   in Loop: Header=BB269_9 Depth=1
	s_or_b32 exec_lo, exec_lo, s33
	v_lshlrev_b32_e32 v2, 8, v2
	s_delay_alu instid0(VALU_DEP_2) | instskip(NEXT) | instid1(VALU_DEP_3)
	v_lshl_add_u32 v27, v27, 10, 0x2000
	v_lshlrev_b32_e32 v26, 7, v26
	s_delay_alu instid0(VALU_DEP_3) | instskip(NEXT) | instid1(VALU_DEP_3)
	v_and_b32_e32 v2, 0x8000, v2
	v_and_b32_e32 v27, 0xfc00, v27
	s_delay_alu instid0(VALU_DEP_1)
	v_or3_b32 v26, v2, v27, v26
.LBB269_63:                             ;   in Loop: Header=BB269_9 Depth=1
	s_or_b32 exec_lo, exec_lo, s31
.LBB269_64:                             ;   in Loop: Header=BB269_9 Depth=1
	s_delay_alu instid0(SALU_CYCLE_1)
	s_or_b32 exec_lo, exec_lo, s30
.LBB269_65:                             ;   in Loop: Header=BB269_9 Depth=1
	s_delay_alu instid0(SALU_CYCLE_1) | instskip(NEXT) | instid1(SALU_CYCLE_1)
	s_or_b32 exec_lo, exec_lo, s29
	s_mov_b32 s29, exec_lo
	v_cmpx_lt_u32_e32 0xffffff, v10
	s_cbranch_execz .LBB269_73
; %bb.66:                               ;   in Loop: Header=BB269_9 Depth=1
	v_lshrrev_b32_e32 v2, 24, v10
	v_bfrev_b32_e32 v25, 1
	s_mov_b32 s30, exec_lo
	s_delay_alu instid0(VALU_DEP_2)
	v_cmpx_ne_u32_e32 0x80, v2
	s_cbranch_execz .LBB269_72
; %bb.67:                               ;   in Loop: Header=BB269_9 Depth=1
	v_and_b32_e32 v27, 0x7f, v2
	v_mov_b32_e32 v25, 0x7c010000
	s_mov_b32 s31, exec_lo
	s_delay_alu instid0(VALU_DEP_2)
	v_cmpx_ne_u32_e32 0x7f, v27
	s_cbranch_execz .LBB269_71
; %bb.68:                               ;   in Loop: Header=BB269_9 Depth=1
	v_dual_lshrrev_b32 v25, 3, v27 :: v_dual_bitop2_b32 v10, 7, v2 bitop3:0x40
	s_mov_b32 s33, exec_lo
	v_cmpx_gt_u32_e32 8, v27
; %bb.69:                               ;   in Loop: Header=BB269_9 Depth=1
	s_delay_alu instid0(VALU_DEP_2) | instskip(NEXT) | instid1(VALU_DEP_1)
	v_clz_i32_u32_e32 v10, v10
	v_min_u32_e32 v10, 32, v10
	s_delay_alu instid0(VALU_DEP_1) | instskip(NEXT) | instid1(VALU_DEP_1)
	v_subrev_nc_u32_e32 v25, 28, v10
	v_lshlrev_b64_e32 v[32:33], v25, v[2:3]
	s_delay_alu instid0(VALU_DEP_1)
	v_dual_sub_nc_u32 v25, 29, v10 :: v_dual_bitop2_b32 v10, 7, v32 bitop3:0x40
; %bb.70:                               ;   in Loop: Header=BB269_9 Depth=1
	s_or_b32 exec_lo, exec_lo, s33
	v_lshlrev_b32_e32 v2, 8, v2
	s_delay_alu instid0(VALU_DEP_2) | instskip(NEXT) | instid1(VALU_DEP_3)
	v_lshl_add_u32 v25, v25, 10, 0x2000
	v_lshlrev_b32_e32 v10, 23, v10
	s_delay_alu instid0(VALU_DEP_2) | instskip(NEXT) | instid1(VALU_DEP_1)
	v_and_or_b32 v2, 0x8000, v2, v25
	v_lshl_or_b32 v25, v2, 16, v10
.LBB269_71:                             ;   in Loop: Header=BB269_9 Depth=1
	s_or_b32 exec_lo, exec_lo, s31
.LBB269_72:                             ;   in Loop: Header=BB269_9 Depth=1
	s_delay_alu instid0(SALU_CYCLE_1)
	s_or_b32 exec_lo, exec_lo, s30
.LBB269_73:                             ;   in Loop: Header=BB269_9 Depth=1
	s_delay_alu instid0(SALU_CYCLE_1)
	s_or_b32 exec_lo, exec_lo, s29
	global_load_b32 v10, v[8:9], off offset:256
	v_dual_mov_b32 v27, 0 :: v_dual_mov_b32 v31, 0
	s_mov_b32 s29, exec_lo
	s_wait_loadcnt 0x0
	v_and_b32_e32 v2, 0xff, v10
	s_delay_alu instid0(VALU_DEP_1)
	v_cmpx_ne_u16_e32 0, v2
	s_cbranch_execz .LBB269_81
; %bb.74:                               ;   in Loop: Header=BB269_9 Depth=1
	v_mov_b32_e32 v31, 0x8000
	s_mov_b32 s30, exec_lo
	v_cmpx_ne_u16_e32 0x80, v2
	s_cbranch_execz .LBB269_80
; %bb.75:                               ;   in Loop: Header=BB269_9 Depth=1
	v_and_b32_e32 v32, 0x7f, v10
	v_mov_b32_e32 v31, 0x7c01
	s_mov_b32 s31, exec_lo
	s_delay_alu instid0(VALU_DEP_2)
	v_cmpx_ne_u32_e32 0x7f, v32
	s_cbranch_execz .LBB269_79
; %bb.76:                               ;   in Loop: Header=BB269_9 Depth=1
	v_dual_lshrrev_b32 v31, 3, v32 :: v_dual_bitop2_b32 v2, 7, v10 bitop3:0x40
	s_mov_b32 s33, exec_lo
	v_cmpx_gt_u32_e32 8, v32
; %bb.77:                               ;   in Loop: Header=BB269_9 Depth=1
	s_delay_alu instid0(VALU_DEP_2) | instskip(NEXT) | instid1(VALU_DEP_1)
	v_clz_i32_u32_e32 v2, v2
	v_min_u32_e32 v2, 32, v2
	s_delay_alu instid0(VALU_DEP_1) | instskip(NEXT) | instid1(VALU_DEP_1)
	v_subrev_nc_u32_e32 v31, 28, v2
	v_lshlrev_b64_e32 v[32:33], v31, v[10:11]
	s_delay_alu instid0(VALU_DEP_1)
	v_dual_sub_nc_u32 v31, 29, v2 :: v_dual_bitop2_b32 v2, 7, v32 bitop3:0x40
; %bb.78:                               ;   in Loop: Header=BB269_9 Depth=1
	s_or_b32 exec_lo, exec_lo, s33
	v_lshlrev_b32_e32 v32, 8, v10
	s_delay_alu instid0(VALU_DEP_2) | instskip(NEXT) | instid1(VALU_DEP_3)
	v_lshl_add_u32 v31, v31, 10, 0x2000
	v_lshlrev_b32_e32 v2, 7, v2
	s_delay_alu instid0(VALU_DEP_3) | instskip(NEXT) | instid1(VALU_DEP_3)
	v_and_b32_e32 v32, 0x8000, v32
	v_and_b32_e32 v31, 0xfc00, v31
	s_delay_alu instid0(VALU_DEP_1)
	v_or3_b32 v31, v32, v31, v2
.LBB269_79:                             ;   in Loop: Header=BB269_9 Depth=1
	s_or_b32 exec_lo, exec_lo, s31
.LBB269_80:                             ;   in Loop: Header=BB269_9 Depth=1
	s_delay_alu instid0(SALU_CYCLE_1)
	s_or_b32 exec_lo, exec_lo, s30
.LBB269_81:                             ;   in Loop: Header=BB269_9 Depth=1
	s_delay_alu instid0(SALU_CYCLE_1) | instskip(SKIP_2) | instid1(VALU_DEP_1)
	s_or_b32 exec_lo, exec_lo, s29
	v_lshrrev_b16 v2, 8, v10
	s_mov_b32 s29, exec_lo
	v_cmpx_ne_u16_e32 0, v2
	s_cbranch_execz .LBB269_89
; %bb.82:                               ;   in Loop: Header=BB269_9 Depth=1
	v_bfrev_b32_e32 v27, 1
	s_mov_b32 s30, exec_lo
	v_cmpx_ne_u16_e32 0x80, v2
	s_cbranch_execz .LBB269_88
; %bb.83:                               ;   in Loop: Header=BB269_9 Depth=1
	v_and_b32_e32 v32, 0xffff, v2
	v_mov_b32_e32 v27, 0x7c010000
	s_mov_b32 s31, exec_lo
	s_delay_alu instid0(VALU_DEP_2) | instskip(NEXT) | instid1(VALU_DEP_1)
	v_and_b32_e32 v34, 0x7f, v32
	v_cmpx_ne_u32_e32 0x7f, v34
	s_cbranch_execz .LBB269_87
; %bb.84:                               ;   in Loop: Header=BB269_9 Depth=1
	v_dual_lshrrev_b32 v33, 3, v34 :: v_dual_bitop2_b32 v27, 7, v32 bitop3:0x40
	s_mov_b32 s33, exec_lo
	v_cmpx_gt_u32_e32 8, v34
; %bb.85:                               ;   in Loop: Header=BB269_9 Depth=1
	s_delay_alu instid0(VALU_DEP_2) | instskip(NEXT) | instid1(VALU_DEP_1)
	v_clz_i32_u32_e32 v27, v27
	v_min_u32_e32 v27, 32, v27
	s_delay_alu instid0(VALU_DEP_1) | instskip(NEXT) | instid1(VALU_DEP_1)
	v_subrev_nc_u32_e32 v33, 28, v27
	v_lshlrev_b64_e32 v[34:35], v33, v[2:3]
	s_delay_alu instid0(VALU_DEP_1)
	v_dual_sub_nc_u32 v33, 29, v27 :: v_dual_bitop2_b32 v27, 7, v34 bitop3:0x40
; %bb.86:                               ;   in Loop: Header=BB269_9 Depth=1
	s_or_b32 exec_lo, exec_lo, s33
	s_delay_alu instid0(VALU_DEP_1) | instskip(NEXT) | instid1(VALU_DEP_2)
	v_dual_lshlrev_b32 v2, 8, v32 :: v_dual_lshlrev_b32 v27, 23, v27
	v_lshl_add_u32 v32, v33, 10, 0x2000
	s_delay_alu instid0(VALU_DEP_1) | instskip(NEXT) | instid1(VALU_DEP_1)
	v_and_or_b32 v2, 0x8000, v2, v32
	v_lshl_or_b32 v27, v2, 16, v27
.LBB269_87:                             ;   in Loop: Header=BB269_9 Depth=1
	s_or_b32 exec_lo, exec_lo, s31
.LBB269_88:                             ;   in Loop: Header=BB269_9 Depth=1
	s_delay_alu instid0(SALU_CYCLE_1)
	s_or_b32 exec_lo, exec_lo, s30
.LBB269_89:                             ;   in Loop: Header=BB269_9 Depth=1
	s_delay_alu instid0(SALU_CYCLE_1) | instskip(SKIP_3) | instid1(VALU_DEP_2)
	s_or_b32 exec_lo, exec_lo, s29
	v_dual_lshrrev_b32 v2, 16, v10 :: v_dual_mov_b32 v32, 0
	v_mov_b32_e32 v33, 0
	s_mov_b32 s29, exec_lo
	v_and_b32_e32 v34, 0xff, v2
	s_delay_alu instid0(VALU_DEP_1)
	v_cmpx_ne_u16_e32 0, v34
	s_cbranch_execz .LBB269_97
; %bb.90:                               ;   in Loop: Header=BB269_9 Depth=1
	v_mov_b32_e32 v33, 0x8000
	s_mov_b32 s30, exec_lo
	v_cmpx_ne_u16_e32 0x80, v34
	s_cbranch_execz .LBB269_96
; %bb.91:                               ;   in Loop: Header=BB269_9 Depth=1
	v_bfe_u32 v35, v10, 16, 7
	v_mov_b32_e32 v33, 0x7c01
	s_mov_b32 s31, exec_lo
	s_delay_alu instid0(VALU_DEP_2)
	v_cmpx_ne_u32_e32 0x7f, v35
	s_cbranch_execz .LBB269_95
; %bb.92:                               ;   in Loop: Header=BB269_9 Depth=1
	v_dual_lshrrev_b32 v34, 3, v35 :: v_dual_bitop2_b32 v33, 7, v2 bitop3:0x40
	s_mov_b32 s33, exec_lo
	v_cmpx_gt_u32_e32 8, v35
; %bb.93:                               ;   in Loop: Header=BB269_9 Depth=1
	s_delay_alu instid0(VALU_DEP_2) | instskip(NEXT) | instid1(VALU_DEP_1)
	v_clz_i32_u32_e32 v33, v33
	v_min_u32_e32 v33, 32, v33
	s_delay_alu instid0(VALU_DEP_1) | instskip(NEXT) | instid1(VALU_DEP_1)
	v_subrev_nc_u32_e32 v34, 28, v33
	v_lshlrev_b64_e32 v[36:37], v34, v[2:3]
	s_delay_alu instid0(VALU_DEP_1)
	v_dual_sub_nc_u32 v34, 29, v33 :: v_dual_bitop2_b32 v33, 7, v36 bitop3:0x40
; %bb.94:                               ;   in Loop: Header=BB269_9 Depth=1
	s_or_b32 exec_lo, exec_lo, s33
	s_delay_alu instid0(VALU_DEP_1) | instskip(NEXT) | instid1(VALU_DEP_2)
	v_dual_lshlrev_b32 v2, 8, v2 :: v_dual_lshlrev_b32 v33, 7, v33
	v_lshl_add_u32 v34, v34, 10, 0x2000
	s_delay_alu instid0(VALU_DEP_2) | instskip(NEXT) | instid1(VALU_DEP_2)
	v_and_b32_e32 v2, 0x8000, v2
	v_and_b32_e32 v34, 0xfc00, v34
	s_delay_alu instid0(VALU_DEP_1)
	v_or3_b32 v33, v2, v34, v33
.LBB269_95:                             ;   in Loop: Header=BB269_9 Depth=1
	s_or_b32 exec_lo, exec_lo, s31
.LBB269_96:                             ;   in Loop: Header=BB269_9 Depth=1
	s_delay_alu instid0(SALU_CYCLE_1)
	s_or_b32 exec_lo, exec_lo, s30
.LBB269_97:                             ;   in Loop: Header=BB269_9 Depth=1
	s_delay_alu instid0(SALU_CYCLE_1) | instskip(NEXT) | instid1(SALU_CYCLE_1)
	s_or_b32 exec_lo, exec_lo, s29
	s_mov_b32 s29, exec_lo
	v_cmpx_lt_u32_e32 0xffffff, v10
	s_cbranch_execz .LBB269_105
; %bb.98:                               ;   in Loop: Header=BB269_9 Depth=1
	v_lshrrev_b32_e32 v2, 24, v10
	v_bfrev_b32_e32 v32, 1
	s_mov_b32 s30, exec_lo
	s_delay_alu instid0(VALU_DEP_2)
	v_cmpx_ne_u32_e32 0x80, v2
	s_cbranch_execz .LBB269_104
; %bb.99:                               ;   in Loop: Header=BB269_9 Depth=1
	v_and_b32_e32 v34, 0x7f, v2
	v_mov_b32_e32 v32, 0x7c010000
	s_mov_b32 s31, exec_lo
	s_delay_alu instid0(VALU_DEP_2)
	v_cmpx_ne_u32_e32 0x7f, v34
	s_cbranch_execz .LBB269_103
; %bb.100:                              ;   in Loop: Header=BB269_9 Depth=1
	v_and_b32_e32 v10, 7, v2
	v_lshrrev_b32_e32 v32, 3, v34
	s_mov_b32 s33, exec_lo
	v_cmpx_gt_u32_e32 8, v34
; %bb.101:                              ;   in Loop: Header=BB269_9 Depth=1
	s_delay_alu instid0(VALU_DEP_3) | instskip(NEXT) | instid1(VALU_DEP_1)
	v_clz_i32_u32_e32 v10, v10
	v_min_u32_e32 v10, 32, v10
	s_delay_alu instid0(VALU_DEP_1) | instskip(NEXT) | instid1(VALU_DEP_1)
	v_subrev_nc_u32_e32 v32, 28, v10
	v_lshlrev_b64_e32 v[34:35], v32, v[2:3]
	v_sub_nc_u32_e32 v32, 29, v10
	s_delay_alu instid0(VALU_DEP_2)
	v_and_b32_e32 v10, 7, v34
; %bb.102:                              ;   in Loop: Header=BB269_9 Depth=1
	s_or_b32 exec_lo, exec_lo, s33
	v_lshlrev_b32_e32 v2, 8, v2
	s_delay_alu instid0(VALU_DEP_3) | instskip(NEXT) | instid1(VALU_DEP_3)
	v_lshl_add_u32 v32, v32, 10, 0x2000
	v_lshlrev_b32_e32 v10, 23, v10
	s_delay_alu instid0(VALU_DEP_2) | instskip(NEXT) | instid1(VALU_DEP_1)
	v_and_or_b32 v2, 0x8000, v2, v32
	v_lshl_or_b32 v32, v2, 16, v10
.LBB269_103:                            ;   in Loop: Header=BB269_9 Depth=1
	s_or_b32 exec_lo, exec_lo, s31
.LBB269_104:                            ;   in Loop: Header=BB269_9 Depth=1
	s_delay_alu instid0(SALU_CYCLE_1)
	s_or_b32 exec_lo, exec_lo, s30
.LBB269_105:                            ;   in Loop: Header=BB269_9 Depth=1
	s_delay_alu instid0(SALU_CYCLE_1)
	s_or_b32 exec_lo, exec_lo, s29
	global_load_b32 v10, v[8:9], off offset:264
	v_dual_mov_b32 v34, 0 :: v_dual_mov_b32 v35, 0
	s_mov_b32 s29, exec_lo
	s_wait_loadcnt 0x0
	v_and_b32_e32 v2, 0xff, v10
	s_delay_alu instid0(VALU_DEP_1)
	v_cmpx_ne_u16_e32 0, v2
	s_cbranch_execz .LBB269_113
; %bb.106:                              ;   in Loop: Header=BB269_9 Depth=1
	v_mov_b32_e32 v35, 0x8000
	s_mov_b32 s30, exec_lo
	v_cmpx_ne_u16_e32 0x80, v2
	s_cbranch_execz .LBB269_112
; %bb.107:                              ;   in Loop: Header=BB269_9 Depth=1
	v_and_b32_e32 v36, 0x7f, v10
	v_mov_b32_e32 v35, 0x7c01
	s_mov_b32 s31, exec_lo
	s_delay_alu instid0(VALU_DEP_2)
	v_cmpx_ne_u32_e32 0x7f, v36
	s_cbranch_execz .LBB269_111
; %bb.108:                              ;   in Loop: Header=BB269_9 Depth=1
	v_dual_lshrrev_b32 v35, 3, v36 :: v_dual_bitop2_b32 v2, 7, v10 bitop3:0x40
	s_mov_b32 s33, exec_lo
	v_cmpx_gt_u32_e32 8, v36
; %bb.109:                              ;   in Loop: Header=BB269_9 Depth=1
	s_delay_alu instid0(VALU_DEP_2) | instskip(NEXT) | instid1(VALU_DEP_1)
	v_clz_i32_u32_e32 v2, v2
	v_min_u32_e32 v2, 32, v2
	s_delay_alu instid0(VALU_DEP_1) | instskip(NEXT) | instid1(VALU_DEP_1)
	v_subrev_nc_u32_e32 v35, 28, v2
	v_lshlrev_b64_e32 v[36:37], v35, v[10:11]
	s_delay_alu instid0(VALU_DEP_1)
	v_dual_sub_nc_u32 v35, 29, v2 :: v_dual_bitop2_b32 v2, 7, v36 bitop3:0x40
; %bb.110:                              ;   in Loop: Header=BB269_9 Depth=1
	s_or_b32 exec_lo, exec_lo, s33
	v_lshlrev_b32_e32 v36, 8, v10
	s_delay_alu instid0(VALU_DEP_2) | instskip(NEXT) | instid1(VALU_DEP_3)
	v_lshl_add_u32 v35, v35, 10, 0x2000
	v_lshlrev_b32_e32 v2, 7, v2
	s_delay_alu instid0(VALU_DEP_3) | instskip(NEXT) | instid1(VALU_DEP_3)
	v_and_b32_e32 v36, 0x8000, v36
	v_and_b32_e32 v35, 0xfc00, v35
	s_delay_alu instid0(VALU_DEP_1)
	v_or3_b32 v35, v36, v35, v2
.LBB269_111:                            ;   in Loop: Header=BB269_9 Depth=1
	s_or_b32 exec_lo, exec_lo, s31
.LBB269_112:                            ;   in Loop: Header=BB269_9 Depth=1
	s_delay_alu instid0(SALU_CYCLE_1)
	s_or_b32 exec_lo, exec_lo, s30
.LBB269_113:                            ;   in Loop: Header=BB269_9 Depth=1
	s_delay_alu instid0(SALU_CYCLE_1) | instskip(SKIP_2) | instid1(VALU_DEP_1)
	s_or_b32 exec_lo, exec_lo, s29
	v_lshrrev_b16 v2, 8, v10
	s_mov_b32 s29, exec_lo
	v_cmpx_ne_u16_e32 0, v2
	s_cbranch_execz .LBB269_121
; %bb.114:                              ;   in Loop: Header=BB269_9 Depth=1
	v_bfrev_b32_e32 v34, 1
	s_mov_b32 s30, exec_lo
	v_cmpx_ne_u16_e32 0x80, v2
	s_cbranch_execz .LBB269_120
; %bb.115:                              ;   in Loop: Header=BB269_9 Depth=1
	v_and_b32_e32 v36, 0xffff, v2
	v_mov_b32_e32 v34, 0x7c010000
	s_mov_b32 s31, exec_lo
	s_delay_alu instid0(VALU_DEP_2) | instskip(NEXT) | instid1(VALU_DEP_1)
	v_and_b32_e32 v38, 0x7f, v36
	v_cmpx_ne_u32_e32 0x7f, v38
	s_cbranch_execz .LBB269_119
; %bb.116:                              ;   in Loop: Header=BB269_9 Depth=1
	v_dual_lshrrev_b32 v37, 3, v38 :: v_dual_bitop2_b32 v34, 7, v36 bitop3:0x40
	s_mov_b32 s33, exec_lo
	v_cmpx_gt_u32_e32 8, v38
; %bb.117:                              ;   in Loop: Header=BB269_9 Depth=1
	s_delay_alu instid0(VALU_DEP_2) | instskip(NEXT) | instid1(VALU_DEP_1)
	v_clz_i32_u32_e32 v34, v34
	v_min_u32_e32 v34, 32, v34
	s_delay_alu instid0(VALU_DEP_1) | instskip(NEXT) | instid1(VALU_DEP_1)
	v_subrev_nc_u32_e32 v37, 28, v34
	v_lshlrev_b64_e32 v[38:39], v37, v[2:3]
	v_sub_nc_u32_e32 v37, 29, v34
	s_delay_alu instid0(VALU_DEP_2)
	v_and_b32_e32 v34, 7, v38
; %bb.118:                              ;   in Loop: Header=BB269_9 Depth=1
	s_or_b32 exec_lo, exec_lo, s33
	s_delay_alu instid0(VALU_DEP_1) | instskip(NEXT) | instid1(VALU_DEP_3)
	v_dual_lshlrev_b32 v2, 8, v36 :: v_dual_lshlrev_b32 v34, 23, v34
	v_lshl_add_u32 v36, v37, 10, 0x2000
	s_delay_alu instid0(VALU_DEP_1) | instskip(NEXT) | instid1(VALU_DEP_1)
	v_and_or_b32 v2, 0x8000, v2, v36
	v_lshl_or_b32 v34, v2, 16, v34
.LBB269_119:                            ;   in Loop: Header=BB269_9 Depth=1
	s_or_b32 exec_lo, exec_lo, s31
.LBB269_120:                            ;   in Loop: Header=BB269_9 Depth=1
	s_delay_alu instid0(SALU_CYCLE_1)
	s_or_b32 exec_lo, exec_lo, s30
.LBB269_121:                            ;   in Loop: Header=BB269_9 Depth=1
	s_delay_alu instid0(SALU_CYCLE_1) | instskip(SKIP_3) | instid1(VALU_DEP_2)
	s_or_b32 exec_lo, exec_lo, s29
	v_dual_lshrrev_b32 v2, 16, v10 :: v_dual_mov_b32 v36, 0
	v_mov_b32_e32 v37, 0
	s_mov_b32 s29, exec_lo
	v_and_b32_e32 v38, 0xff, v2
	s_delay_alu instid0(VALU_DEP_1)
	v_cmpx_ne_u16_e32 0, v38
	s_cbranch_execz .LBB269_129
; %bb.122:                              ;   in Loop: Header=BB269_9 Depth=1
	v_mov_b32_e32 v37, 0x8000
	s_mov_b32 s30, exec_lo
	v_cmpx_ne_u16_e32 0x80, v38
	s_cbranch_execz .LBB269_128
; %bb.123:                              ;   in Loop: Header=BB269_9 Depth=1
	v_bfe_u32 v39, v10, 16, 7
	v_mov_b32_e32 v37, 0x7c01
	s_mov_b32 s31, exec_lo
	s_delay_alu instid0(VALU_DEP_2)
	v_cmpx_ne_u32_e32 0x7f, v39
	s_cbranch_execz .LBB269_127
; %bb.124:                              ;   in Loop: Header=BB269_9 Depth=1
	v_dual_lshrrev_b32 v38, 3, v39 :: v_dual_bitop2_b32 v37, 7, v2 bitop3:0x40
	s_mov_b32 s33, exec_lo
	v_cmpx_gt_u32_e32 8, v39
; %bb.125:                              ;   in Loop: Header=BB269_9 Depth=1
	s_delay_alu instid0(VALU_DEP_2) | instskip(NEXT) | instid1(VALU_DEP_1)
	v_clz_i32_u32_e32 v37, v37
	v_min_u32_e32 v37, 32, v37
	s_delay_alu instid0(VALU_DEP_1) | instskip(NEXT) | instid1(VALU_DEP_1)
	v_subrev_nc_u32_e32 v38, 28, v37
	v_lshlrev_b64_e32 v[40:41], v38, v[2:3]
	s_delay_alu instid0(VALU_DEP_1)
	v_dual_sub_nc_u32 v38, 29, v37 :: v_dual_bitop2_b32 v37, 7, v40 bitop3:0x40
; %bb.126:                              ;   in Loop: Header=BB269_9 Depth=1
	s_or_b32 exec_lo, exec_lo, s33
	s_delay_alu instid0(VALU_DEP_1) | instskip(NEXT) | instid1(VALU_DEP_2)
	v_dual_lshlrev_b32 v2, 8, v2 :: v_dual_lshlrev_b32 v37, 7, v37
	v_lshl_add_u32 v38, v38, 10, 0x2000
	s_delay_alu instid0(VALU_DEP_2) | instskip(NEXT) | instid1(VALU_DEP_2)
	v_and_b32_e32 v2, 0x8000, v2
	v_and_b32_e32 v38, 0xfc00, v38
	s_delay_alu instid0(VALU_DEP_1)
	v_or3_b32 v37, v2, v38, v37
.LBB269_127:                            ;   in Loop: Header=BB269_9 Depth=1
	s_or_b32 exec_lo, exec_lo, s31
.LBB269_128:                            ;   in Loop: Header=BB269_9 Depth=1
	s_delay_alu instid0(SALU_CYCLE_1)
	s_or_b32 exec_lo, exec_lo, s30
.LBB269_129:                            ;   in Loop: Header=BB269_9 Depth=1
	s_delay_alu instid0(SALU_CYCLE_1) | instskip(NEXT) | instid1(SALU_CYCLE_1)
	s_or_b32 exec_lo, exec_lo, s29
	s_mov_b32 s29, exec_lo
	v_cmpx_lt_u32_e32 0xffffff, v10
	s_cbranch_execz .LBB269_137
; %bb.130:                              ;   in Loop: Header=BB269_9 Depth=1
	v_lshrrev_b32_e32 v2, 24, v10
	v_bfrev_b32_e32 v36, 1
	s_mov_b32 s30, exec_lo
	s_delay_alu instid0(VALU_DEP_2)
	v_cmpx_ne_u32_e32 0x80, v2
	s_cbranch_execz .LBB269_136
; %bb.131:                              ;   in Loop: Header=BB269_9 Depth=1
	v_and_b32_e32 v38, 0x7f, v2
	v_mov_b32_e32 v36, 0x7c010000
	s_mov_b32 s31, exec_lo
	s_delay_alu instid0(VALU_DEP_2)
	v_cmpx_ne_u32_e32 0x7f, v38
	s_cbranch_execz .LBB269_135
; %bb.132:                              ;   in Loop: Header=BB269_9 Depth=1
	v_and_b32_e32 v10, 7, v2
	v_lshrrev_b32_e32 v36, 3, v38
	s_mov_b32 s33, exec_lo
	v_cmpx_gt_u32_e32 8, v38
; %bb.133:                              ;   in Loop: Header=BB269_9 Depth=1
	s_delay_alu instid0(VALU_DEP_3) | instskip(NEXT) | instid1(VALU_DEP_1)
	v_clz_i32_u32_e32 v10, v10
	v_min_u32_e32 v10, 32, v10
	s_delay_alu instid0(VALU_DEP_1) | instskip(NEXT) | instid1(VALU_DEP_1)
	v_subrev_nc_u32_e32 v36, 28, v10
	v_lshlrev_b64_e32 v[38:39], v36, v[2:3]
	v_sub_nc_u32_e32 v36, 29, v10
	s_delay_alu instid0(VALU_DEP_2)
	v_and_b32_e32 v10, 7, v38
; %bb.134:                              ;   in Loop: Header=BB269_9 Depth=1
	s_or_b32 exec_lo, exec_lo, s33
	v_lshlrev_b32_e32 v2, 8, v2
	s_delay_alu instid0(VALU_DEP_3) | instskip(NEXT) | instid1(VALU_DEP_3)
	v_lshl_add_u32 v36, v36, 10, 0x2000
	v_lshlrev_b32_e32 v10, 23, v10
	s_delay_alu instid0(VALU_DEP_2) | instskip(NEXT) | instid1(VALU_DEP_1)
	v_and_or_b32 v2, 0x8000, v2, v36
	v_lshl_or_b32 v36, v2, 16, v10
.LBB269_135:                            ;   in Loop: Header=BB269_9 Depth=1
	s_or_b32 exec_lo, exec_lo, s31
.LBB269_136:                            ;   in Loop: Header=BB269_9 Depth=1
	s_delay_alu instid0(SALU_CYCLE_1)
	s_or_b32 exec_lo, exec_lo, s30
.LBB269_137:                            ;   in Loop: Header=BB269_9 Depth=1
	s_delay_alu instid0(SALU_CYCLE_1)
	s_or_b32 exec_lo, exec_lo, s29
	global_load_b32 v10, v[8:9], off offset:512
	v_dual_mov_b32 v38, 0 :: v_dual_mov_b32 v39, 0
	s_mov_b32 s29, exec_lo
	s_wait_loadcnt 0x0
	v_and_b32_e32 v2, 0xff, v10
	s_delay_alu instid0(VALU_DEP_1)
	v_cmpx_ne_u16_e32 0, v2
	s_cbranch_execz .LBB269_145
; %bb.138:                              ;   in Loop: Header=BB269_9 Depth=1
	v_mov_b32_e32 v39, 0x8000
	s_mov_b32 s30, exec_lo
	v_cmpx_ne_u16_e32 0x80, v2
	s_cbranch_execz .LBB269_144
; %bb.139:                              ;   in Loop: Header=BB269_9 Depth=1
	v_and_b32_e32 v40, 0x7f, v10
	v_mov_b32_e32 v39, 0x7c01
	s_mov_b32 s31, exec_lo
	s_delay_alu instid0(VALU_DEP_2)
	v_cmpx_ne_u32_e32 0x7f, v40
	s_cbranch_execz .LBB269_143
; %bb.140:                              ;   in Loop: Header=BB269_9 Depth=1
	v_dual_lshrrev_b32 v39, 3, v40 :: v_dual_bitop2_b32 v2, 7, v10 bitop3:0x40
	s_mov_b32 s33, exec_lo
	v_cmpx_gt_u32_e32 8, v40
; %bb.141:                              ;   in Loop: Header=BB269_9 Depth=1
	s_delay_alu instid0(VALU_DEP_2) | instskip(NEXT) | instid1(VALU_DEP_1)
	v_clz_i32_u32_e32 v2, v2
	v_min_u32_e32 v2, 32, v2
	s_delay_alu instid0(VALU_DEP_1) | instskip(NEXT) | instid1(VALU_DEP_1)
	v_subrev_nc_u32_e32 v39, 28, v2
	v_lshlrev_b64_e32 v[40:41], v39, v[10:11]
	s_delay_alu instid0(VALU_DEP_1)
	v_dual_sub_nc_u32 v39, 29, v2 :: v_dual_bitop2_b32 v2, 7, v40 bitop3:0x40
; %bb.142:                              ;   in Loop: Header=BB269_9 Depth=1
	s_or_b32 exec_lo, exec_lo, s33
	v_lshlrev_b32_e32 v40, 8, v10
	s_delay_alu instid0(VALU_DEP_2) | instskip(NEXT) | instid1(VALU_DEP_3)
	v_lshl_add_u32 v39, v39, 10, 0x2000
	v_lshlrev_b32_e32 v2, 7, v2
	s_delay_alu instid0(VALU_DEP_3) | instskip(NEXT) | instid1(VALU_DEP_3)
	v_and_b32_e32 v40, 0x8000, v40
	v_and_b32_e32 v39, 0xfc00, v39
	s_delay_alu instid0(VALU_DEP_1)
	v_or3_b32 v39, v40, v39, v2
.LBB269_143:                            ;   in Loop: Header=BB269_9 Depth=1
	s_or_b32 exec_lo, exec_lo, s31
.LBB269_144:                            ;   in Loop: Header=BB269_9 Depth=1
	s_delay_alu instid0(SALU_CYCLE_1)
	s_or_b32 exec_lo, exec_lo, s30
.LBB269_145:                            ;   in Loop: Header=BB269_9 Depth=1
	s_delay_alu instid0(SALU_CYCLE_1) | instskip(SKIP_2) | instid1(VALU_DEP_1)
	s_or_b32 exec_lo, exec_lo, s29
	v_lshrrev_b16 v2, 8, v10
	s_mov_b32 s29, exec_lo
	v_cmpx_ne_u16_e32 0, v2
	s_cbranch_execz .LBB269_153
; %bb.146:                              ;   in Loop: Header=BB269_9 Depth=1
	v_bfrev_b32_e32 v38, 1
	s_mov_b32 s30, exec_lo
	v_cmpx_ne_u16_e32 0x80, v2
	s_cbranch_execz .LBB269_152
; %bb.147:                              ;   in Loop: Header=BB269_9 Depth=1
	v_and_b32_e32 v40, 0xffff, v2
	v_mov_b32_e32 v38, 0x7c010000
	s_mov_b32 s31, exec_lo
	s_delay_alu instid0(VALU_DEP_2) | instskip(NEXT) | instid1(VALU_DEP_1)
	v_and_b32_e32 v42, 0x7f, v40
	v_cmpx_ne_u32_e32 0x7f, v42
	s_cbranch_execz .LBB269_151
; %bb.148:                              ;   in Loop: Header=BB269_9 Depth=1
	v_dual_lshrrev_b32 v41, 3, v42 :: v_dual_bitop2_b32 v38, 7, v40 bitop3:0x40
	s_mov_b32 s33, exec_lo
	v_cmpx_gt_u32_e32 8, v42
; %bb.149:                              ;   in Loop: Header=BB269_9 Depth=1
	s_delay_alu instid0(VALU_DEP_2) | instskip(NEXT) | instid1(VALU_DEP_1)
	v_clz_i32_u32_e32 v38, v38
	v_min_u32_e32 v38, 32, v38
	s_delay_alu instid0(VALU_DEP_1) | instskip(NEXT) | instid1(VALU_DEP_1)
	v_subrev_nc_u32_e32 v41, 28, v38
	v_lshlrev_b64_e32 v[42:43], v41, v[2:3]
	v_sub_nc_u32_e32 v41, 29, v38
	s_delay_alu instid0(VALU_DEP_2)
	v_and_b32_e32 v38, 7, v42
; %bb.150:                              ;   in Loop: Header=BB269_9 Depth=1
	s_or_b32 exec_lo, exec_lo, s33
	s_delay_alu instid0(VALU_DEP_1) | instskip(NEXT) | instid1(VALU_DEP_3)
	v_dual_lshlrev_b32 v2, 8, v40 :: v_dual_lshlrev_b32 v38, 23, v38
	v_lshl_add_u32 v40, v41, 10, 0x2000
	s_delay_alu instid0(VALU_DEP_1) | instskip(NEXT) | instid1(VALU_DEP_1)
	v_and_or_b32 v2, 0x8000, v2, v40
	v_lshl_or_b32 v38, v2, 16, v38
.LBB269_151:                            ;   in Loop: Header=BB269_9 Depth=1
	s_or_b32 exec_lo, exec_lo, s31
.LBB269_152:                            ;   in Loop: Header=BB269_9 Depth=1
	s_delay_alu instid0(SALU_CYCLE_1)
	s_or_b32 exec_lo, exec_lo, s30
.LBB269_153:                            ;   in Loop: Header=BB269_9 Depth=1
	s_delay_alu instid0(SALU_CYCLE_1) | instskip(SKIP_3) | instid1(VALU_DEP_2)
	s_or_b32 exec_lo, exec_lo, s29
	v_dual_lshrrev_b32 v2, 16, v10 :: v_dual_mov_b32 v42, 0
	v_mov_b32_e32 v43, 0
	s_mov_b32 s29, exec_lo
	v_and_b32_e32 v40, 0xff, v2
	s_delay_alu instid0(VALU_DEP_1)
	v_cmpx_ne_u16_e32 0, v40
	s_cbranch_execz .LBB269_161
; %bb.154:                              ;   in Loop: Header=BB269_9 Depth=1
	v_mov_b32_e32 v43, 0x8000
	s_mov_b32 s30, exec_lo
	v_cmpx_ne_u16_e32 0x80, v40
	s_cbranch_execz .LBB269_160
; %bb.155:                              ;   in Loop: Header=BB269_9 Depth=1
	v_bfe_u32 v44, v10, 16, 7
	v_mov_b32_e32 v43, 0x7c01
	s_mov_b32 s31, exec_lo
	s_delay_alu instid0(VALU_DEP_2)
	v_cmpx_ne_u32_e32 0x7f, v44
	s_cbranch_execz .LBB269_159
; %bb.156:                              ;   in Loop: Header=BB269_9 Depth=1
	v_dual_lshrrev_b32 v41, 3, v44 :: v_dual_bitop2_b32 v40, 7, v2 bitop3:0x40
	s_mov_b32 s33, exec_lo
	v_cmpx_gt_u32_e32 8, v44
; %bb.157:                              ;   in Loop: Header=BB269_9 Depth=1
	s_delay_alu instid0(VALU_DEP_2) | instskip(NEXT) | instid1(VALU_DEP_1)
	v_clz_i32_u32_e32 v40, v40
	v_min_u32_e32 v43, 32, v40
	s_delay_alu instid0(VALU_DEP_1) | instskip(NEXT) | instid1(VALU_DEP_1)
	v_subrev_nc_u32_e32 v40, 28, v43
	v_lshlrev_b64_e32 v[40:41], v40, v[2:3]
	s_delay_alu instid0(VALU_DEP_1)
	v_dual_sub_nc_u32 v41, 29, v43 :: v_dual_bitop2_b32 v40, 7, v40 bitop3:0x40
; %bb.158:                              ;   in Loop: Header=BB269_9 Depth=1
	s_or_b32 exec_lo, exec_lo, s33
	s_delay_alu instid0(VALU_DEP_1) | instskip(NEXT) | instid1(VALU_DEP_2)
	v_dual_lshlrev_b32 v2, 8, v2 :: v_dual_lshlrev_b32 v40, 7, v40
	v_lshl_add_u32 v41, v41, 10, 0x2000
	s_delay_alu instid0(VALU_DEP_2) | instskip(NEXT) | instid1(VALU_DEP_2)
	v_and_b32_e32 v2, 0x8000, v2
	v_and_b32_e32 v41, 0xfc00, v41
	s_delay_alu instid0(VALU_DEP_1)
	v_or3_b32 v43, v2, v41, v40
.LBB269_159:                            ;   in Loop: Header=BB269_9 Depth=1
	s_or_b32 exec_lo, exec_lo, s31
.LBB269_160:                            ;   in Loop: Header=BB269_9 Depth=1
	s_delay_alu instid0(SALU_CYCLE_1)
	s_or_b32 exec_lo, exec_lo, s30
.LBB269_161:                            ;   in Loop: Header=BB269_9 Depth=1
	s_delay_alu instid0(SALU_CYCLE_1) | instskip(NEXT) | instid1(SALU_CYCLE_1)
	s_or_b32 exec_lo, exec_lo, s29
	s_mov_b32 s29, exec_lo
	v_cmpx_lt_u32_e32 0xffffff, v10
	s_cbranch_execz .LBB269_169
; %bb.162:                              ;   in Loop: Header=BB269_9 Depth=1
	v_lshrrev_b32_e32 v2, 24, v10
	v_bfrev_b32_e32 v42, 1
	s_mov_b32 s30, exec_lo
	s_delay_alu instid0(VALU_DEP_2)
	v_cmpx_ne_u32_e32 0x80, v2
	s_cbranch_execz .LBB269_168
; %bb.163:                              ;   in Loop: Header=BB269_9 Depth=1
	v_and_b32_e32 v41, 0x7f, v2
	v_mov_b32_e32 v42, 0x7c010000
	s_mov_b32 s31, exec_lo
	s_delay_alu instid0(VALU_DEP_2)
	v_cmpx_ne_u32_e32 0x7f, v41
	s_cbranch_execz .LBB269_167
; %bb.164:                              ;   in Loop: Header=BB269_9 Depth=1
	v_dual_lshrrev_b32 v40, 3, v41 :: v_dual_bitop2_b32 v10, 7, v2 bitop3:0x40
	s_mov_b32 s33, exec_lo
	v_cmpx_gt_u32_e32 8, v41
; %bb.165:                              ;   in Loop: Header=BB269_9 Depth=1
	s_delay_alu instid0(VALU_DEP_2) | instskip(NEXT) | instid1(VALU_DEP_1)
	v_clz_i32_u32_e32 v10, v10
	v_min_u32_e32 v10, 32, v10
	s_delay_alu instid0(VALU_DEP_1) | instskip(NEXT) | instid1(VALU_DEP_1)
	v_subrev_nc_u32_e32 v40, 28, v10
	v_lshlrev_b64_e32 v[44:45], v40, v[2:3]
	s_delay_alu instid0(VALU_DEP_1)
	v_dual_sub_nc_u32 v40, 29, v10 :: v_dual_bitop2_b32 v10, 7, v44 bitop3:0x40
; %bb.166:                              ;   in Loop: Header=BB269_9 Depth=1
	s_or_b32 exec_lo, exec_lo, s33
	v_lshlrev_b32_e32 v2, 8, v2
	s_delay_alu instid0(VALU_DEP_2) | instskip(NEXT) | instid1(VALU_DEP_3)
	v_lshl_add_u32 v40, v40, 10, 0x2000
	v_lshlrev_b32_e32 v10, 23, v10
	s_delay_alu instid0(VALU_DEP_2) | instskip(NEXT) | instid1(VALU_DEP_1)
	v_and_or_b32 v2, 0x8000, v2, v40
	v_lshl_or_b32 v42, v2, 16, v10
.LBB269_167:                            ;   in Loop: Header=BB269_9 Depth=1
	s_or_b32 exec_lo, exec_lo, s31
.LBB269_168:                            ;   in Loop: Header=BB269_9 Depth=1
	s_delay_alu instid0(SALU_CYCLE_1)
	s_or_b32 exec_lo, exec_lo, s30
.LBB269_169:                            ;   in Loop: Header=BB269_9 Depth=1
	s_delay_alu instid0(SALU_CYCLE_1)
	s_or_b32 exec_lo, exec_lo, s29
	global_load_b32 v10, v[8:9], off offset:520
	v_dual_mov_b32 v40, 0 :: v_dual_mov_b32 v41, 0
	s_mov_b32 s29, exec_lo
	s_wait_loadcnt 0x0
	v_and_b32_e32 v2, 0xff, v10
	s_delay_alu instid0(VALU_DEP_1)
	v_cmpx_ne_u16_e32 0, v2
	s_cbranch_execz .LBB269_177
; %bb.170:                              ;   in Loop: Header=BB269_9 Depth=1
	v_mov_b32_e32 v41, 0x8000
	s_mov_b32 s30, exec_lo
	v_cmpx_ne_u16_e32 0x80, v2
	s_cbranch_execz .LBB269_176
; %bb.171:                              ;   in Loop: Header=BB269_9 Depth=1
	v_and_b32_e32 v44, 0x7f, v10
	v_mov_b32_e32 v41, 0x7c01
	s_mov_b32 s31, exec_lo
	s_delay_alu instid0(VALU_DEP_2)
	v_cmpx_ne_u32_e32 0x7f, v44
	s_cbranch_execz .LBB269_175
; %bb.172:                              ;   in Loop: Header=BB269_9 Depth=1
	v_dual_lshrrev_b32 v41, 3, v44 :: v_dual_bitop2_b32 v2, 7, v10 bitop3:0x40
	s_mov_b32 s33, exec_lo
	v_cmpx_gt_u32_e32 8, v44
; %bb.173:                              ;   in Loop: Header=BB269_9 Depth=1
	s_delay_alu instid0(VALU_DEP_2) | instskip(NEXT) | instid1(VALU_DEP_1)
	v_clz_i32_u32_e32 v2, v2
	v_min_u32_e32 v2, 32, v2
	s_delay_alu instid0(VALU_DEP_1) | instskip(NEXT) | instid1(VALU_DEP_1)
	v_subrev_nc_u32_e32 v41, 28, v2
	v_lshlrev_b64_e32 v[44:45], v41, v[10:11]
	s_delay_alu instid0(VALU_DEP_1)
	v_dual_sub_nc_u32 v41, 29, v2 :: v_dual_bitop2_b32 v2, 7, v44 bitop3:0x40
; %bb.174:                              ;   in Loop: Header=BB269_9 Depth=1
	s_or_b32 exec_lo, exec_lo, s33
	v_lshlrev_b32_e32 v44, 8, v10
	s_delay_alu instid0(VALU_DEP_2) | instskip(NEXT) | instid1(VALU_DEP_3)
	v_lshl_add_u32 v41, v41, 10, 0x2000
	v_lshlrev_b32_e32 v2, 7, v2
	s_delay_alu instid0(VALU_DEP_3) | instskip(NEXT) | instid1(VALU_DEP_3)
	v_and_b32_e32 v44, 0x8000, v44
	v_and_b32_e32 v41, 0xfc00, v41
	s_delay_alu instid0(VALU_DEP_1)
	v_or3_b32 v41, v44, v41, v2
.LBB269_175:                            ;   in Loop: Header=BB269_9 Depth=1
	s_or_b32 exec_lo, exec_lo, s31
.LBB269_176:                            ;   in Loop: Header=BB269_9 Depth=1
	s_delay_alu instid0(SALU_CYCLE_1)
	s_or_b32 exec_lo, exec_lo, s30
.LBB269_177:                            ;   in Loop: Header=BB269_9 Depth=1
	s_delay_alu instid0(SALU_CYCLE_1) | instskip(SKIP_2) | instid1(VALU_DEP_1)
	s_or_b32 exec_lo, exec_lo, s29
	v_lshrrev_b16 v2, 8, v10
	s_mov_b32 s29, exec_lo
	v_cmpx_ne_u16_e32 0, v2
	s_cbranch_execz .LBB269_185
; %bb.178:                              ;   in Loop: Header=BB269_9 Depth=1
	v_bfrev_b32_e32 v40, 1
	s_mov_b32 s30, exec_lo
	v_cmpx_ne_u16_e32 0x80, v2
	s_cbranch_execz .LBB269_184
; %bb.179:                              ;   in Loop: Header=BB269_9 Depth=1
	v_and_b32_e32 v44, 0xffff, v2
	v_mov_b32_e32 v40, 0x7c010000
	s_mov_b32 s31, exec_lo
	s_delay_alu instid0(VALU_DEP_2) | instskip(NEXT) | instid1(VALU_DEP_1)
	v_and_b32_e32 v46, 0x7f, v44
	v_cmpx_ne_u32_e32 0x7f, v46
	s_cbranch_execz .LBB269_183
; %bb.180:                              ;   in Loop: Header=BB269_9 Depth=1
	v_dual_lshrrev_b32 v45, 3, v46 :: v_dual_bitop2_b32 v40, 7, v44 bitop3:0x40
	s_mov_b32 s33, exec_lo
	v_cmpx_gt_u32_e32 8, v46
; %bb.181:                              ;   in Loop: Header=BB269_9 Depth=1
	s_delay_alu instid0(VALU_DEP_2) | instskip(NEXT) | instid1(VALU_DEP_1)
	v_clz_i32_u32_e32 v40, v40
	v_min_u32_e32 v40, 32, v40
	s_delay_alu instid0(VALU_DEP_1) | instskip(NEXT) | instid1(VALU_DEP_1)
	v_subrev_nc_u32_e32 v45, 28, v40
	v_lshlrev_b64_e32 v[46:47], v45, v[2:3]
	s_delay_alu instid0(VALU_DEP_1)
	v_dual_sub_nc_u32 v45, 29, v40 :: v_dual_bitop2_b32 v40, 7, v46 bitop3:0x40
; %bb.182:                              ;   in Loop: Header=BB269_9 Depth=1
	s_or_b32 exec_lo, exec_lo, s33
	v_lshlrev_b32_e32 v2, 8, v44
	s_delay_alu instid0(VALU_DEP_2) | instskip(NEXT) | instid1(VALU_DEP_3)
	v_lshl_add_u32 v44, v45, 10, 0x2000
	v_lshlrev_b32_e32 v40, 23, v40
	s_delay_alu instid0(VALU_DEP_2) | instskip(NEXT) | instid1(VALU_DEP_1)
	v_and_or_b32 v2, 0x8000, v2, v44
	v_lshl_or_b32 v40, v2, 16, v40
.LBB269_183:                            ;   in Loop: Header=BB269_9 Depth=1
	s_or_b32 exec_lo, exec_lo, s31
.LBB269_184:                            ;   in Loop: Header=BB269_9 Depth=1
	s_delay_alu instid0(SALU_CYCLE_1)
	s_or_b32 exec_lo, exec_lo, s30
.LBB269_185:                            ;   in Loop: Header=BB269_9 Depth=1
	s_delay_alu instid0(SALU_CYCLE_1) | instskip(SKIP_3) | instid1(VALU_DEP_2)
	s_or_b32 exec_lo, exec_lo, s29
	v_dual_lshrrev_b32 v2, 16, v10 :: v_dual_mov_b32 v44, 0
	v_mov_b32_e32 v45, 0
	s_mov_b32 s29, exec_lo
	v_and_b32_e32 v46, 0xff, v2
	s_delay_alu instid0(VALU_DEP_1)
	v_cmpx_ne_u16_e32 0, v46
	s_cbranch_execz .LBB269_193
; %bb.186:                              ;   in Loop: Header=BB269_9 Depth=1
	v_mov_b32_e32 v45, 0x8000
	s_mov_b32 s30, exec_lo
	v_cmpx_ne_u16_e32 0x80, v46
	s_cbranch_execz .LBB269_192
; %bb.187:                              ;   in Loop: Header=BB269_9 Depth=1
	v_bfe_u32 v47, v10, 16, 7
	v_mov_b32_e32 v45, 0x7c01
	s_mov_b32 s31, exec_lo
	s_delay_alu instid0(VALU_DEP_2)
	v_cmpx_ne_u32_e32 0x7f, v47
	s_cbranch_execz .LBB269_191
; %bb.188:                              ;   in Loop: Header=BB269_9 Depth=1
	v_dual_lshrrev_b32 v46, 3, v47 :: v_dual_bitop2_b32 v45, 7, v2 bitop3:0x40
	s_mov_b32 s33, exec_lo
	v_cmpx_gt_u32_e32 8, v47
; %bb.189:                              ;   in Loop: Header=BB269_9 Depth=1
	s_delay_alu instid0(VALU_DEP_2) | instskip(NEXT) | instid1(VALU_DEP_1)
	v_clz_i32_u32_e32 v45, v45
	v_min_u32_e32 v45, 32, v45
	s_delay_alu instid0(VALU_DEP_1) | instskip(NEXT) | instid1(VALU_DEP_1)
	v_subrev_nc_u32_e32 v46, 28, v45
	v_lshlrev_b64_e32 v[48:49], v46, v[2:3]
	s_delay_alu instid0(VALU_DEP_1)
	v_dual_sub_nc_u32 v46, 29, v45 :: v_dual_bitop2_b32 v45, 7, v48 bitop3:0x40
; %bb.190:                              ;   in Loop: Header=BB269_9 Depth=1
	s_or_b32 exec_lo, exec_lo, s33
	s_delay_alu instid0(VALU_DEP_1) | instskip(NEXT) | instid1(VALU_DEP_2)
	v_dual_lshlrev_b32 v2, 8, v2 :: v_dual_lshlrev_b32 v45, 7, v45
	v_lshl_add_u32 v46, v46, 10, 0x2000
	s_delay_alu instid0(VALU_DEP_2) | instskip(NEXT) | instid1(VALU_DEP_2)
	v_and_b32_e32 v2, 0x8000, v2
	v_and_b32_e32 v46, 0xfc00, v46
	s_delay_alu instid0(VALU_DEP_1)
	v_or3_b32 v45, v2, v46, v45
.LBB269_191:                            ;   in Loop: Header=BB269_9 Depth=1
	s_or_b32 exec_lo, exec_lo, s31
.LBB269_192:                            ;   in Loop: Header=BB269_9 Depth=1
	s_delay_alu instid0(SALU_CYCLE_1)
	s_or_b32 exec_lo, exec_lo, s30
.LBB269_193:                            ;   in Loop: Header=BB269_9 Depth=1
	s_delay_alu instid0(SALU_CYCLE_1) | instskip(NEXT) | instid1(SALU_CYCLE_1)
	s_or_b32 exec_lo, exec_lo, s29
	s_mov_b32 s29, exec_lo
	v_cmpx_lt_u32_e32 0xffffff, v10
	s_cbranch_execz .LBB269_201
; %bb.194:                              ;   in Loop: Header=BB269_9 Depth=1
	v_lshrrev_b32_e32 v2, 24, v10
	v_bfrev_b32_e32 v44, 1
	s_mov_b32 s30, exec_lo
	s_delay_alu instid0(VALU_DEP_2)
	v_cmpx_ne_u32_e32 0x80, v2
	s_cbranch_execz .LBB269_200
; %bb.195:                              ;   in Loop: Header=BB269_9 Depth=1
	v_and_b32_e32 v46, 0x7f, v2
	v_mov_b32_e32 v44, 0x7c010000
	s_mov_b32 s31, exec_lo
	s_delay_alu instid0(VALU_DEP_2)
	v_cmpx_ne_u32_e32 0x7f, v46
	s_cbranch_execz .LBB269_199
; %bb.196:                              ;   in Loop: Header=BB269_9 Depth=1
	v_and_b32_e32 v10, 7, v2
	v_lshrrev_b32_e32 v44, 3, v46
	s_mov_b32 s33, exec_lo
	v_cmpx_gt_u32_e32 8, v46
; %bb.197:                              ;   in Loop: Header=BB269_9 Depth=1
	s_delay_alu instid0(VALU_DEP_3) | instskip(NEXT) | instid1(VALU_DEP_1)
	v_clz_i32_u32_e32 v10, v10
	v_min_u32_e32 v10, 32, v10
	s_delay_alu instid0(VALU_DEP_1) | instskip(NEXT) | instid1(VALU_DEP_1)
	v_subrev_nc_u32_e32 v44, 28, v10
	v_lshlrev_b64_e32 v[46:47], v44, v[2:3]
	v_sub_nc_u32_e32 v44, 29, v10
	s_delay_alu instid0(VALU_DEP_2)
	v_and_b32_e32 v10, 7, v46
; %bb.198:                              ;   in Loop: Header=BB269_9 Depth=1
	s_or_b32 exec_lo, exec_lo, s33
	v_lshlrev_b32_e32 v2, 8, v2
	s_delay_alu instid0(VALU_DEP_3) | instskip(NEXT) | instid1(VALU_DEP_3)
	v_lshl_add_u32 v44, v44, 10, 0x2000
	v_lshlrev_b32_e32 v10, 23, v10
	s_delay_alu instid0(VALU_DEP_2) | instskip(NEXT) | instid1(VALU_DEP_1)
	v_and_or_b32 v2, 0x8000, v2, v44
	v_lshl_or_b32 v44, v2, 16, v10
.LBB269_199:                            ;   in Loop: Header=BB269_9 Depth=1
	s_or_b32 exec_lo, exec_lo, s31
.LBB269_200:                            ;   in Loop: Header=BB269_9 Depth=1
	s_delay_alu instid0(SALU_CYCLE_1)
	s_or_b32 exec_lo, exec_lo, s30
.LBB269_201:                            ;   in Loop: Header=BB269_9 Depth=1
	s_delay_alu instid0(SALU_CYCLE_1)
	s_or_b32 exec_lo, exec_lo, s29
	global_load_b32 v10, v[8:9], off offset:768
	v_dual_mov_b32 v46, 0 :: v_dual_mov_b32 v47, 0
	s_mov_b32 s29, exec_lo
	s_wait_loadcnt 0x0
	v_and_b32_e32 v2, 0xff, v10
	s_delay_alu instid0(VALU_DEP_1)
	v_cmpx_ne_u16_e32 0, v2
	s_cbranch_execz .LBB269_209
; %bb.202:                              ;   in Loop: Header=BB269_9 Depth=1
	v_mov_b32_e32 v47, 0x8000
	s_mov_b32 s30, exec_lo
	v_cmpx_ne_u16_e32 0x80, v2
	s_cbranch_execz .LBB269_208
; %bb.203:                              ;   in Loop: Header=BB269_9 Depth=1
	v_and_b32_e32 v48, 0x7f, v10
	v_mov_b32_e32 v47, 0x7c01
	s_mov_b32 s31, exec_lo
	s_delay_alu instid0(VALU_DEP_2)
	v_cmpx_ne_u32_e32 0x7f, v48
	s_cbranch_execz .LBB269_207
; %bb.204:                              ;   in Loop: Header=BB269_9 Depth=1
	v_dual_lshrrev_b32 v47, 3, v48 :: v_dual_bitop2_b32 v2, 7, v10 bitop3:0x40
	s_mov_b32 s33, exec_lo
	v_cmpx_gt_u32_e32 8, v48
; %bb.205:                              ;   in Loop: Header=BB269_9 Depth=1
	s_delay_alu instid0(VALU_DEP_2) | instskip(NEXT) | instid1(VALU_DEP_1)
	v_clz_i32_u32_e32 v2, v2
	v_min_u32_e32 v2, 32, v2
	s_delay_alu instid0(VALU_DEP_1) | instskip(NEXT) | instid1(VALU_DEP_1)
	v_subrev_nc_u32_e32 v47, 28, v2
	v_lshlrev_b64_e32 v[48:49], v47, v[10:11]
	s_delay_alu instid0(VALU_DEP_1)
	v_dual_sub_nc_u32 v47, 29, v2 :: v_dual_bitop2_b32 v2, 7, v48 bitop3:0x40
; %bb.206:                              ;   in Loop: Header=BB269_9 Depth=1
	s_or_b32 exec_lo, exec_lo, s33
	v_lshlrev_b32_e32 v48, 8, v10
	s_delay_alu instid0(VALU_DEP_2) | instskip(NEXT) | instid1(VALU_DEP_3)
	v_lshl_add_u32 v47, v47, 10, 0x2000
	v_lshlrev_b32_e32 v2, 7, v2
	s_delay_alu instid0(VALU_DEP_3) | instskip(NEXT) | instid1(VALU_DEP_3)
	v_and_b32_e32 v48, 0x8000, v48
	v_and_b32_e32 v47, 0xfc00, v47
	s_delay_alu instid0(VALU_DEP_1)
	v_or3_b32 v47, v48, v47, v2
.LBB269_207:                            ;   in Loop: Header=BB269_9 Depth=1
	s_or_b32 exec_lo, exec_lo, s31
.LBB269_208:                            ;   in Loop: Header=BB269_9 Depth=1
	s_delay_alu instid0(SALU_CYCLE_1)
	s_or_b32 exec_lo, exec_lo, s30
.LBB269_209:                            ;   in Loop: Header=BB269_9 Depth=1
	s_delay_alu instid0(SALU_CYCLE_1) | instskip(SKIP_2) | instid1(VALU_DEP_1)
	s_or_b32 exec_lo, exec_lo, s29
	v_lshrrev_b16 v2, 8, v10
	s_mov_b32 s29, exec_lo
	v_cmpx_ne_u16_e32 0, v2
	s_cbranch_execz .LBB269_217
; %bb.210:                              ;   in Loop: Header=BB269_9 Depth=1
	v_bfrev_b32_e32 v46, 1
	s_mov_b32 s30, exec_lo
	v_cmpx_ne_u16_e32 0x80, v2
	s_cbranch_execz .LBB269_216
; %bb.211:                              ;   in Loop: Header=BB269_9 Depth=1
	v_and_b32_e32 v48, 0xffff, v2
	v_mov_b32_e32 v46, 0x7c010000
	s_mov_b32 s31, exec_lo
	s_delay_alu instid0(VALU_DEP_2) | instskip(NEXT) | instid1(VALU_DEP_1)
	v_and_b32_e32 v50, 0x7f, v48
	v_cmpx_ne_u32_e32 0x7f, v50
	s_cbranch_execz .LBB269_215
; %bb.212:                              ;   in Loop: Header=BB269_9 Depth=1
	v_dual_lshrrev_b32 v49, 3, v50 :: v_dual_bitop2_b32 v46, 7, v48 bitop3:0x40
	s_mov_b32 s33, exec_lo
	v_cmpx_gt_u32_e32 8, v50
; %bb.213:                              ;   in Loop: Header=BB269_9 Depth=1
	s_delay_alu instid0(VALU_DEP_2) | instskip(NEXT) | instid1(VALU_DEP_1)
	v_clz_i32_u32_e32 v46, v46
	v_min_u32_e32 v46, 32, v46
	s_delay_alu instid0(VALU_DEP_1) | instskip(NEXT) | instid1(VALU_DEP_1)
	v_subrev_nc_u32_e32 v49, 28, v46
	v_lshlrev_b64_e32 v[50:51], v49, v[2:3]
	v_sub_nc_u32_e32 v49, 29, v46
	s_delay_alu instid0(VALU_DEP_2)
	v_and_b32_e32 v46, 7, v50
; %bb.214:                              ;   in Loop: Header=BB269_9 Depth=1
	s_or_b32 exec_lo, exec_lo, s33
	s_delay_alu instid0(VALU_DEP_1) | instskip(NEXT) | instid1(VALU_DEP_3)
	v_dual_lshlrev_b32 v2, 8, v48 :: v_dual_lshlrev_b32 v46, 23, v46
	v_lshl_add_u32 v48, v49, 10, 0x2000
	s_delay_alu instid0(VALU_DEP_1) | instskip(NEXT) | instid1(VALU_DEP_1)
	v_and_or_b32 v2, 0x8000, v2, v48
	v_lshl_or_b32 v46, v2, 16, v46
.LBB269_215:                            ;   in Loop: Header=BB269_9 Depth=1
	s_or_b32 exec_lo, exec_lo, s31
.LBB269_216:                            ;   in Loop: Header=BB269_9 Depth=1
	s_delay_alu instid0(SALU_CYCLE_1)
	s_or_b32 exec_lo, exec_lo, s30
.LBB269_217:                            ;   in Loop: Header=BB269_9 Depth=1
	s_delay_alu instid0(SALU_CYCLE_1) | instskip(SKIP_3) | instid1(VALU_DEP_2)
	s_or_b32 exec_lo, exec_lo, s29
	v_dual_lshrrev_b32 v2, 16, v10 :: v_dual_mov_b32 v48, 0
	v_mov_b32_e32 v49, 0
	s_mov_b32 s29, exec_lo
	v_and_b32_e32 v50, 0xff, v2
	s_delay_alu instid0(VALU_DEP_1)
	v_cmpx_ne_u16_e32 0, v50
	s_cbranch_execz .LBB269_225
; %bb.218:                              ;   in Loop: Header=BB269_9 Depth=1
	v_mov_b32_e32 v49, 0x8000
	s_mov_b32 s30, exec_lo
	v_cmpx_ne_u16_e32 0x80, v50
	s_cbranch_execz .LBB269_224
; %bb.219:                              ;   in Loop: Header=BB269_9 Depth=1
	v_bfe_u32 v51, v10, 16, 7
	v_mov_b32_e32 v49, 0x7c01
	s_mov_b32 s31, exec_lo
	s_delay_alu instid0(VALU_DEP_2)
	v_cmpx_ne_u32_e32 0x7f, v51
	s_cbranch_execz .LBB269_223
; %bb.220:                              ;   in Loop: Header=BB269_9 Depth=1
	v_dual_lshrrev_b32 v50, 3, v51 :: v_dual_bitop2_b32 v49, 7, v2 bitop3:0x40
	s_mov_b32 s33, exec_lo
	v_cmpx_gt_u32_e32 8, v51
; %bb.221:                              ;   in Loop: Header=BB269_9 Depth=1
	s_delay_alu instid0(VALU_DEP_2) | instskip(NEXT) | instid1(VALU_DEP_1)
	v_clz_i32_u32_e32 v49, v49
	v_min_u32_e32 v49, 32, v49
	s_delay_alu instid0(VALU_DEP_1) | instskip(NEXT) | instid1(VALU_DEP_1)
	v_subrev_nc_u32_e32 v50, 28, v49
	v_lshlrev_b64_e32 v[52:53], v50, v[2:3]
	s_delay_alu instid0(VALU_DEP_1)
	v_dual_sub_nc_u32 v50, 29, v49 :: v_dual_bitop2_b32 v49, 7, v52 bitop3:0x40
; %bb.222:                              ;   in Loop: Header=BB269_9 Depth=1
	s_or_b32 exec_lo, exec_lo, s33
	s_delay_alu instid0(VALU_DEP_1) | instskip(NEXT) | instid1(VALU_DEP_2)
	v_dual_lshlrev_b32 v2, 8, v2 :: v_dual_lshlrev_b32 v49, 7, v49
	v_lshl_add_u32 v50, v50, 10, 0x2000
	s_delay_alu instid0(VALU_DEP_2) | instskip(NEXT) | instid1(VALU_DEP_2)
	v_and_b32_e32 v2, 0x8000, v2
	v_and_b32_e32 v50, 0xfc00, v50
	s_delay_alu instid0(VALU_DEP_1)
	v_or3_b32 v49, v2, v50, v49
.LBB269_223:                            ;   in Loop: Header=BB269_9 Depth=1
	s_or_b32 exec_lo, exec_lo, s31
.LBB269_224:                            ;   in Loop: Header=BB269_9 Depth=1
	s_delay_alu instid0(SALU_CYCLE_1)
	s_or_b32 exec_lo, exec_lo, s30
.LBB269_225:                            ;   in Loop: Header=BB269_9 Depth=1
	s_delay_alu instid0(SALU_CYCLE_1) | instskip(NEXT) | instid1(SALU_CYCLE_1)
	s_or_b32 exec_lo, exec_lo, s29
	s_mov_b32 s29, exec_lo
	v_cmpx_lt_u32_e32 0xffffff, v10
	s_cbranch_execz .LBB269_233
; %bb.226:                              ;   in Loop: Header=BB269_9 Depth=1
	v_lshrrev_b32_e32 v2, 24, v10
	v_bfrev_b32_e32 v48, 1
	s_mov_b32 s30, exec_lo
	s_delay_alu instid0(VALU_DEP_2)
	v_cmpx_ne_u32_e32 0x80, v2
	s_cbranch_execz .LBB269_232
; %bb.227:                              ;   in Loop: Header=BB269_9 Depth=1
	v_and_b32_e32 v50, 0x7f, v2
	v_mov_b32_e32 v48, 0x7c010000
	s_mov_b32 s31, exec_lo
	s_delay_alu instid0(VALU_DEP_2)
	v_cmpx_ne_u32_e32 0x7f, v50
	s_cbranch_execz .LBB269_231
; %bb.228:                              ;   in Loop: Header=BB269_9 Depth=1
	v_and_b32_e32 v10, 7, v2
	v_lshrrev_b32_e32 v48, 3, v50
	s_mov_b32 s33, exec_lo
	v_cmpx_gt_u32_e32 8, v50
; %bb.229:                              ;   in Loop: Header=BB269_9 Depth=1
	s_delay_alu instid0(VALU_DEP_3) | instskip(NEXT) | instid1(VALU_DEP_1)
	v_clz_i32_u32_e32 v10, v10
	v_min_u32_e32 v10, 32, v10
	s_delay_alu instid0(VALU_DEP_1) | instskip(NEXT) | instid1(VALU_DEP_1)
	v_subrev_nc_u32_e32 v48, 28, v10
	v_lshlrev_b64_e32 v[50:51], v48, v[2:3]
	v_sub_nc_u32_e32 v48, 29, v10
	s_delay_alu instid0(VALU_DEP_2)
	v_and_b32_e32 v10, 7, v50
; %bb.230:                              ;   in Loop: Header=BB269_9 Depth=1
	s_or_b32 exec_lo, exec_lo, s33
	v_lshlrev_b32_e32 v2, 8, v2
	s_delay_alu instid0(VALU_DEP_3) | instskip(NEXT) | instid1(VALU_DEP_3)
	v_lshl_add_u32 v48, v48, 10, 0x2000
	v_lshlrev_b32_e32 v10, 23, v10
	s_delay_alu instid0(VALU_DEP_2) | instskip(NEXT) | instid1(VALU_DEP_1)
	v_and_or_b32 v2, 0x8000, v2, v48
	v_lshl_or_b32 v48, v2, 16, v10
.LBB269_231:                            ;   in Loop: Header=BB269_9 Depth=1
	s_or_b32 exec_lo, exec_lo, s31
.LBB269_232:                            ;   in Loop: Header=BB269_9 Depth=1
	s_delay_alu instid0(SALU_CYCLE_1)
	s_or_b32 exec_lo, exec_lo, s30
.LBB269_233:                            ;   in Loop: Header=BB269_9 Depth=1
	s_delay_alu instid0(SALU_CYCLE_1)
	s_or_b32 exec_lo, exec_lo, s29
	global_load_b32 v10, v[8:9], off offset:776
	v_dual_mov_b32 v50, 0 :: v_dual_mov_b32 v51, 0
	s_mov_b32 s29, exec_lo
	s_wait_loadcnt 0x0
	v_and_b32_e32 v2, 0xff, v10
	s_delay_alu instid0(VALU_DEP_1)
	v_cmpx_ne_u16_e32 0, v2
	s_cbranch_execz .LBB269_241
; %bb.234:                              ;   in Loop: Header=BB269_9 Depth=1
	v_mov_b32_e32 v51, 0x8000
	s_mov_b32 s30, exec_lo
	v_cmpx_ne_u16_e32 0x80, v2
	s_cbranch_execz .LBB269_240
; %bb.235:                              ;   in Loop: Header=BB269_9 Depth=1
	v_and_b32_e32 v52, 0x7f, v10
	v_mov_b32_e32 v51, 0x7c01
	s_mov_b32 s31, exec_lo
	s_delay_alu instid0(VALU_DEP_2)
	v_cmpx_ne_u32_e32 0x7f, v52
	s_cbranch_execz .LBB269_239
; %bb.236:                              ;   in Loop: Header=BB269_9 Depth=1
	v_dual_lshrrev_b32 v51, 3, v52 :: v_dual_bitop2_b32 v2, 7, v10 bitop3:0x40
	s_mov_b32 s33, exec_lo
	v_cmpx_gt_u32_e32 8, v52
; %bb.237:                              ;   in Loop: Header=BB269_9 Depth=1
	s_delay_alu instid0(VALU_DEP_2) | instskip(NEXT) | instid1(VALU_DEP_1)
	v_clz_i32_u32_e32 v2, v2
	v_min_u32_e32 v2, 32, v2
	s_delay_alu instid0(VALU_DEP_1) | instskip(NEXT) | instid1(VALU_DEP_1)
	v_subrev_nc_u32_e32 v51, 28, v2
	v_lshlrev_b64_e32 v[52:53], v51, v[10:11]
	s_delay_alu instid0(VALU_DEP_1)
	v_dual_sub_nc_u32 v51, 29, v2 :: v_dual_bitop2_b32 v2, 7, v52 bitop3:0x40
; %bb.238:                              ;   in Loop: Header=BB269_9 Depth=1
	s_or_b32 exec_lo, exec_lo, s33
	v_lshlrev_b32_e32 v52, 8, v10
	s_delay_alu instid0(VALU_DEP_2) | instskip(NEXT) | instid1(VALU_DEP_3)
	v_lshl_add_u32 v51, v51, 10, 0x2000
	v_lshlrev_b32_e32 v2, 7, v2
	s_delay_alu instid0(VALU_DEP_3) | instskip(NEXT) | instid1(VALU_DEP_3)
	v_and_b32_e32 v52, 0x8000, v52
	v_and_b32_e32 v51, 0xfc00, v51
	s_delay_alu instid0(VALU_DEP_1)
	v_or3_b32 v51, v52, v51, v2
.LBB269_239:                            ;   in Loop: Header=BB269_9 Depth=1
	s_or_b32 exec_lo, exec_lo, s31
.LBB269_240:                            ;   in Loop: Header=BB269_9 Depth=1
	s_delay_alu instid0(SALU_CYCLE_1)
	s_or_b32 exec_lo, exec_lo, s30
.LBB269_241:                            ;   in Loop: Header=BB269_9 Depth=1
	s_delay_alu instid0(SALU_CYCLE_1) | instskip(SKIP_2) | instid1(VALU_DEP_1)
	s_or_b32 exec_lo, exec_lo, s29
	v_lshrrev_b16 v2, 8, v10
	s_mov_b32 s29, exec_lo
	v_cmpx_ne_u16_e32 0, v2
	s_cbranch_execz .LBB269_249
; %bb.242:                              ;   in Loop: Header=BB269_9 Depth=1
	v_bfrev_b32_e32 v50, 1
	s_mov_b32 s30, exec_lo
	v_cmpx_ne_u16_e32 0x80, v2
	s_cbranch_execz .LBB269_248
; %bb.243:                              ;   in Loop: Header=BB269_9 Depth=1
	v_and_b32_e32 v52, 0xffff, v2
	v_mov_b32_e32 v50, 0x7c010000
	s_mov_b32 s31, exec_lo
	s_delay_alu instid0(VALU_DEP_2) | instskip(NEXT) | instid1(VALU_DEP_1)
	v_and_b32_e32 v54, 0x7f, v52
	v_cmpx_ne_u32_e32 0x7f, v54
	s_cbranch_execz .LBB269_247
; %bb.244:                              ;   in Loop: Header=BB269_9 Depth=1
	v_dual_lshrrev_b32 v53, 3, v54 :: v_dual_bitop2_b32 v50, 7, v52 bitop3:0x40
	s_mov_b32 s33, exec_lo
	v_cmpx_gt_u32_e32 8, v54
; %bb.245:                              ;   in Loop: Header=BB269_9 Depth=1
	s_delay_alu instid0(VALU_DEP_2) | instskip(NEXT) | instid1(VALU_DEP_1)
	v_clz_i32_u32_e32 v50, v50
	v_min_u32_e32 v50, 32, v50
	s_delay_alu instid0(VALU_DEP_1) | instskip(NEXT) | instid1(VALU_DEP_1)
	v_subrev_nc_u32_e32 v53, 28, v50
	v_lshlrev_b64_e32 v[54:55], v53, v[2:3]
	v_sub_nc_u32_e32 v53, 29, v50
	s_delay_alu instid0(VALU_DEP_2)
	v_and_b32_e32 v50, 7, v54
; %bb.246:                              ;   in Loop: Header=BB269_9 Depth=1
	s_or_b32 exec_lo, exec_lo, s33
	s_delay_alu instid0(VALU_DEP_1) | instskip(NEXT) | instid1(VALU_DEP_3)
	v_dual_lshlrev_b32 v2, 8, v52 :: v_dual_lshlrev_b32 v50, 23, v50
	v_lshl_add_u32 v52, v53, 10, 0x2000
	s_delay_alu instid0(VALU_DEP_1) | instskip(NEXT) | instid1(VALU_DEP_1)
	v_and_or_b32 v2, 0x8000, v2, v52
	v_lshl_or_b32 v50, v2, 16, v50
.LBB269_247:                            ;   in Loop: Header=BB269_9 Depth=1
	s_or_b32 exec_lo, exec_lo, s31
.LBB269_248:                            ;   in Loop: Header=BB269_9 Depth=1
	s_delay_alu instid0(SALU_CYCLE_1)
	s_or_b32 exec_lo, exec_lo, s30
.LBB269_249:                            ;   in Loop: Header=BB269_9 Depth=1
	s_delay_alu instid0(SALU_CYCLE_1) | instskip(SKIP_3) | instid1(VALU_DEP_2)
	s_or_b32 exec_lo, exec_lo, s29
	v_dual_lshrrev_b32 v2, 16, v10 :: v_dual_mov_b32 v52, 0
	v_mov_b32_e32 v53, 0
	s_mov_b32 s29, exec_lo
	v_and_b32_e32 v54, 0xff, v2
	s_delay_alu instid0(VALU_DEP_1)
	v_cmpx_ne_u16_e32 0, v54
	s_cbranch_execz .LBB269_257
; %bb.250:                              ;   in Loop: Header=BB269_9 Depth=1
	v_mov_b32_e32 v53, 0x8000
	s_mov_b32 s30, exec_lo
	v_cmpx_ne_u16_e32 0x80, v54
	s_cbranch_execz .LBB269_256
; %bb.251:                              ;   in Loop: Header=BB269_9 Depth=1
	v_bfe_u32 v55, v10, 16, 7
	v_mov_b32_e32 v53, 0x7c01
	s_mov_b32 s31, exec_lo
	s_delay_alu instid0(VALU_DEP_2)
	v_cmpx_ne_u32_e32 0x7f, v55
	s_cbranch_execz .LBB269_255
; %bb.252:                              ;   in Loop: Header=BB269_9 Depth=1
	v_dual_lshrrev_b32 v54, 3, v55 :: v_dual_bitop2_b32 v53, 7, v2 bitop3:0x40
	s_mov_b32 s33, exec_lo
	v_cmpx_gt_u32_e32 8, v55
; %bb.253:                              ;   in Loop: Header=BB269_9 Depth=1
	s_delay_alu instid0(VALU_DEP_2) | instskip(NEXT) | instid1(VALU_DEP_1)
	v_clz_i32_u32_e32 v53, v53
	v_min_u32_e32 v53, 32, v53
	s_delay_alu instid0(VALU_DEP_1) | instskip(NEXT) | instid1(VALU_DEP_1)
	v_subrev_nc_u32_e32 v54, 28, v53
	v_lshlrev_b64_e32 v[56:57], v54, v[2:3]
	s_delay_alu instid0(VALU_DEP_1)
	v_dual_sub_nc_u32 v54, 29, v53 :: v_dual_bitop2_b32 v53, 7, v56 bitop3:0x40
; %bb.254:                              ;   in Loop: Header=BB269_9 Depth=1
	s_or_b32 exec_lo, exec_lo, s33
	s_delay_alu instid0(VALU_DEP_1) | instskip(NEXT) | instid1(VALU_DEP_2)
	v_dual_lshlrev_b32 v2, 8, v2 :: v_dual_lshlrev_b32 v53, 7, v53
	v_lshl_add_u32 v54, v54, 10, 0x2000
	s_delay_alu instid0(VALU_DEP_2) | instskip(NEXT) | instid1(VALU_DEP_2)
	v_and_b32_e32 v2, 0x8000, v2
	v_and_b32_e32 v54, 0xfc00, v54
	s_delay_alu instid0(VALU_DEP_1)
	v_or3_b32 v53, v2, v54, v53
.LBB269_255:                            ;   in Loop: Header=BB269_9 Depth=1
	s_or_b32 exec_lo, exec_lo, s31
.LBB269_256:                            ;   in Loop: Header=BB269_9 Depth=1
	s_delay_alu instid0(SALU_CYCLE_1)
	s_or_b32 exec_lo, exec_lo, s30
.LBB269_257:                            ;   in Loop: Header=BB269_9 Depth=1
	s_delay_alu instid0(SALU_CYCLE_1) | instskip(NEXT) | instid1(SALU_CYCLE_1)
	s_or_b32 exec_lo, exec_lo, s29
	s_mov_b32 s29, exec_lo
	v_cmpx_lt_u32_e32 0xffffff, v10
	s_cbranch_execz .LBB269_265
; %bb.258:                              ;   in Loop: Header=BB269_9 Depth=1
	v_lshrrev_b32_e32 v2, 24, v10
	v_bfrev_b32_e32 v52, 1
	s_mov_b32 s30, exec_lo
	s_delay_alu instid0(VALU_DEP_2)
	v_cmpx_ne_u32_e32 0x80, v2
	s_cbranch_execz .LBB269_264
; %bb.259:                              ;   in Loop: Header=BB269_9 Depth=1
	v_and_b32_e32 v54, 0x7f, v2
	v_mov_b32_e32 v52, 0x7c010000
	s_mov_b32 s31, exec_lo
	s_delay_alu instid0(VALU_DEP_2)
	v_cmpx_ne_u32_e32 0x7f, v54
	s_cbranch_execz .LBB269_263
; %bb.260:                              ;   in Loop: Header=BB269_9 Depth=1
	v_and_b32_e32 v10, 7, v2
	v_lshrrev_b32_e32 v52, 3, v54
	s_mov_b32 s33, exec_lo
	v_cmpx_gt_u32_e32 8, v54
; %bb.261:                              ;   in Loop: Header=BB269_9 Depth=1
	s_delay_alu instid0(VALU_DEP_3) | instskip(NEXT) | instid1(VALU_DEP_1)
	v_clz_i32_u32_e32 v10, v10
	v_min_u32_e32 v10, 32, v10
	s_delay_alu instid0(VALU_DEP_1) | instskip(NEXT) | instid1(VALU_DEP_1)
	v_subrev_nc_u32_e32 v52, 28, v10
	v_lshlrev_b64_e32 v[54:55], v52, v[2:3]
	v_sub_nc_u32_e32 v52, 29, v10
	s_delay_alu instid0(VALU_DEP_2)
	v_and_b32_e32 v10, 7, v54
; %bb.262:                              ;   in Loop: Header=BB269_9 Depth=1
	s_or_b32 exec_lo, exec_lo, s33
	v_lshlrev_b32_e32 v2, 8, v2
	s_delay_alu instid0(VALU_DEP_3) | instskip(NEXT) | instid1(VALU_DEP_3)
	v_lshl_add_u32 v52, v52, 10, 0x2000
	v_lshlrev_b32_e32 v10, 23, v10
	s_delay_alu instid0(VALU_DEP_2) | instskip(NEXT) | instid1(VALU_DEP_1)
	v_and_or_b32 v2, 0x8000, v2, v52
	v_lshl_or_b32 v52, v2, 16, v10
.LBB269_263:                            ;   in Loop: Header=BB269_9 Depth=1
	s_or_b32 exec_lo, exec_lo, s31
.LBB269_264:                            ;   in Loop: Header=BB269_9 Depth=1
	s_delay_alu instid0(SALU_CYCLE_1)
	s_or_b32 exec_lo, exec_lo, s30
.LBB269_265:                            ;   in Loop: Header=BB269_9 Depth=1
	s_delay_alu instid0(SALU_CYCLE_1)
	s_or_b32 exec_lo, exec_lo, s29
	global_load_b32 v10, v[8:9], off offset:1024
	v_dual_mov_b32 v54, 0 :: v_dual_mov_b32 v55, 0
	s_mov_b32 s29, exec_lo
	s_wait_loadcnt 0x0
	v_and_b32_e32 v2, 0xff, v10
	s_delay_alu instid0(VALU_DEP_1)
	v_cmpx_ne_u16_e32 0, v2
	s_cbranch_execz .LBB269_273
; %bb.266:                              ;   in Loop: Header=BB269_9 Depth=1
	v_mov_b32_e32 v55, 0x8000
	s_mov_b32 s30, exec_lo
	v_cmpx_ne_u16_e32 0x80, v2
	s_cbranch_execz .LBB269_272
; %bb.267:                              ;   in Loop: Header=BB269_9 Depth=1
	v_and_b32_e32 v56, 0x7f, v10
	v_mov_b32_e32 v55, 0x7c01
	s_mov_b32 s31, exec_lo
	s_delay_alu instid0(VALU_DEP_2)
	v_cmpx_ne_u32_e32 0x7f, v56
	s_cbranch_execz .LBB269_271
; %bb.268:                              ;   in Loop: Header=BB269_9 Depth=1
	v_dual_lshrrev_b32 v55, 3, v56 :: v_dual_bitop2_b32 v2, 7, v10 bitop3:0x40
	s_mov_b32 s33, exec_lo
	v_cmpx_gt_u32_e32 8, v56
; %bb.269:                              ;   in Loop: Header=BB269_9 Depth=1
	s_delay_alu instid0(VALU_DEP_2) | instskip(NEXT) | instid1(VALU_DEP_1)
	v_clz_i32_u32_e32 v2, v2
	v_min_u32_e32 v2, 32, v2
	s_delay_alu instid0(VALU_DEP_1) | instskip(NEXT) | instid1(VALU_DEP_1)
	v_subrev_nc_u32_e32 v55, 28, v2
	v_lshlrev_b64_e32 v[56:57], v55, v[10:11]
	s_delay_alu instid0(VALU_DEP_1)
	v_dual_sub_nc_u32 v55, 29, v2 :: v_dual_bitop2_b32 v2, 7, v56 bitop3:0x40
; %bb.270:                              ;   in Loop: Header=BB269_9 Depth=1
	s_or_b32 exec_lo, exec_lo, s33
	v_lshlrev_b32_e32 v56, 8, v10
	s_delay_alu instid0(VALU_DEP_2) | instskip(NEXT) | instid1(VALU_DEP_3)
	v_lshl_add_u32 v55, v55, 10, 0x2000
	v_lshlrev_b32_e32 v2, 7, v2
	s_delay_alu instid0(VALU_DEP_3) | instskip(NEXT) | instid1(VALU_DEP_3)
	v_and_b32_e32 v56, 0x8000, v56
	v_and_b32_e32 v55, 0xfc00, v55
	s_delay_alu instid0(VALU_DEP_1)
	v_or3_b32 v55, v56, v55, v2
.LBB269_271:                            ;   in Loop: Header=BB269_9 Depth=1
	s_or_b32 exec_lo, exec_lo, s31
.LBB269_272:                            ;   in Loop: Header=BB269_9 Depth=1
	s_delay_alu instid0(SALU_CYCLE_1)
	s_or_b32 exec_lo, exec_lo, s30
.LBB269_273:                            ;   in Loop: Header=BB269_9 Depth=1
	s_delay_alu instid0(SALU_CYCLE_1) | instskip(SKIP_2) | instid1(VALU_DEP_1)
	s_or_b32 exec_lo, exec_lo, s29
	v_lshrrev_b16 v2, 8, v10
	s_mov_b32 s29, exec_lo
	v_cmpx_ne_u16_e32 0, v2
	s_cbranch_execz .LBB269_281
; %bb.274:                              ;   in Loop: Header=BB269_9 Depth=1
	v_bfrev_b32_e32 v54, 1
	s_mov_b32 s30, exec_lo
	v_cmpx_ne_u16_e32 0x80, v2
	s_cbranch_execz .LBB269_280
; %bb.275:                              ;   in Loop: Header=BB269_9 Depth=1
	v_and_b32_e32 v56, 0xffff, v2
	v_mov_b32_e32 v54, 0x7c010000
	s_mov_b32 s31, exec_lo
	s_delay_alu instid0(VALU_DEP_2) | instskip(NEXT) | instid1(VALU_DEP_1)
	v_and_b32_e32 v58, 0x7f, v56
	v_cmpx_ne_u32_e32 0x7f, v58
	s_cbranch_execz .LBB269_279
; %bb.276:                              ;   in Loop: Header=BB269_9 Depth=1
	v_dual_lshrrev_b32 v57, 3, v58 :: v_dual_bitop2_b32 v54, 7, v56 bitop3:0x40
	s_mov_b32 s33, exec_lo
	v_cmpx_gt_u32_e32 8, v58
; %bb.277:                              ;   in Loop: Header=BB269_9 Depth=1
	s_delay_alu instid0(VALU_DEP_2) | instskip(NEXT) | instid1(VALU_DEP_1)
	v_clz_i32_u32_e32 v54, v54
	v_min_u32_e32 v54, 32, v54
	s_delay_alu instid0(VALU_DEP_1) | instskip(NEXT) | instid1(VALU_DEP_1)
	v_subrev_nc_u32_e32 v57, 28, v54
	v_lshlrev_b64_e32 v[58:59], v57, v[2:3]
	v_sub_nc_u32_e32 v57, 29, v54
	s_delay_alu instid0(VALU_DEP_2)
	v_and_b32_e32 v54, 7, v58
; %bb.278:                              ;   in Loop: Header=BB269_9 Depth=1
	s_or_b32 exec_lo, exec_lo, s33
	s_delay_alu instid0(VALU_DEP_1) | instskip(NEXT) | instid1(VALU_DEP_3)
	v_dual_lshlrev_b32 v2, 8, v56 :: v_dual_lshlrev_b32 v54, 23, v54
	v_lshl_add_u32 v56, v57, 10, 0x2000
	s_delay_alu instid0(VALU_DEP_1) | instskip(NEXT) | instid1(VALU_DEP_1)
	v_and_or_b32 v2, 0x8000, v2, v56
	v_lshl_or_b32 v54, v2, 16, v54
.LBB269_279:                            ;   in Loop: Header=BB269_9 Depth=1
	s_or_b32 exec_lo, exec_lo, s31
.LBB269_280:                            ;   in Loop: Header=BB269_9 Depth=1
	s_delay_alu instid0(SALU_CYCLE_1)
	s_or_b32 exec_lo, exec_lo, s30
.LBB269_281:                            ;   in Loop: Header=BB269_9 Depth=1
	s_delay_alu instid0(SALU_CYCLE_1) | instskip(SKIP_3) | instid1(VALU_DEP_2)
	s_or_b32 exec_lo, exec_lo, s29
	v_dual_lshrrev_b32 v2, 16, v10 :: v_dual_mov_b32 v56, 0
	v_mov_b32_e32 v57, 0
	s_mov_b32 s29, exec_lo
	v_and_b32_e32 v58, 0xff, v2
	s_delay_alu instid0(VALU_DEP_1)
	v_cmpx_ne_u16_e32 0, v58
	s_cbranch_execz .LBB269_289
; %bb.282:                              ;   in Loop: Header=BB269_9 Depth=1
	v_mov_b32_e32 v57, 0x8000
	s_mov_b32 s30, exec_lo
	v_cmpx_ne_u16_e32 0x80, v58
	s_cbranch_execz .LBB269_288
; %bb.283:                              ;   in Loop: Header=BB269_9 Depth=1
	v_bfe_u32 v59, v10, 16, 7
	v_mov_b32_e32 v57, 0x7c01
	s_mov_b32 s31, exec_lo
	s_delay_alu instid0(VALU_DEP_2)
	v_cmpx_ne_u32_e32 0x7f, v59
	s_cbranch_execz .LBB269_287
; %bb.284:                              ;   in Loop: Header=BB269_9 Depth=1
	v_dual_lshrrev_b32 v58, 3, v59 :: v_dual_bitop2_b32 v57, 7, v2 bitop3:0x40
	s_mov_b32 s33, exec_lo
	v_cmpx_gt_u32_e32 8, v59
; %bb.285:                              ;   in Loop: Header=BB269_9 Depth=1
	s_delay_alu instid0(VALU_DEP_2) | instskip(NEXT) | instid1(VALU_DEP_1)
	v_clz_i32_u32_e32 v57, v57
	v_min_u32_e32 v57, 32, v57
	s_delay_alu instid0(VALU_DEP_1) | instskip(NEXT) | instid1(VALU_DEP_1)
	v_subrev_nc_u32_e32 v58, 28, v57
	v_lshlrev_b64_e32 v[60:61], v58, v[2:3]
	s_delay_alu instid0(VALU_DEP_1)
	v_dual_sub_nc_u32 v58, 29, v57 :: v_dual_bitop2_b32 v57, 7, v60 bitop3:0x40
; %bb.286:                              ;   in Loop: Header=BB269_9 Depth=1
	s_or_b32 exec_lo, exec_lo, s33
	s_delay_alu instid0(VALU_DEP_1) | instskip(NEXT) | instid1(VALU_DEP_2)
	v_dual_lshlrev_b32 v2, 8, v2 :: v_dual_lshlrev_b32 v57, 7, v57
	v_lshl_add_u32 v58, v58, 10, 0x2000
	s_delay_alu instid0(VALU_DEP_2) | instskip(NEXT) | instid1(VALU_DEP_2)
	v_and_b32_e32 v2, 0x8000, v2
	v_and_b32_e32 v58, 0xfc00, v58
	s_delay_alu instid0(VALU_DEP_1)
	v_or3_b32 v57, v2, v58, v57
.LBB269_287:                            ;   in Loop: Header=BB269_9 Depth=1
	s_or_b32 exec_lo, exec_lo, s31
.LBB269_288:                            ;   in Loop: Header=BB269_9 Depth=1
	s_delay_alu instid0(SALU_CYCLE_1)
	s_or_b32 exec_lo, exec_lo, s30
.LBB269_289:                            ;   in Loop: Header=BB269_9 Depth=1
	s_delay_alu instid0(SALU_CYCLE_1) | instskip(NEXT) | instid1(SALU_CYCLE_1)
	s_or_b32 exec_lo, exec_lo, s29
	s_mov_b32 s29, exec_lo
	v_cmpx_lt_u32_e32 0xffffff, v10
	s_cbranch_execz .LBB269_297
; %bb.290:                              ;   in Loop: Header=BB269_9 Depth=1
	v_lshrrev_b32_e32 v2, 24, v10
	v_bfrev_b32_e32 v56, 1
	s_mov_b32 s30, exec_lo
	s_delay_alu instid0(VALU_DEP_2)
	v_cmpx_ne_u32_e32 0x80, v2
	s_cbranch_execz .LBB269_296
; %bb.291:                              ;   in Loop: Header=BB269_9 Depth=1
	v_and_b32_e32 v58, 0x7f, v2
	v_mov_b32_e32 v56, 0x7c010000
	s_mov_b32 s31, exec_lo
	s_delay_alu instid0(VALU_DEP_2)
	v_cmpx_ne_u32_e32 0x7f, v58
	s_cbranch_execz .LBB269_295
; %bb.292:                              ;   in Loop: Header=BB269_9 Depth=1
	v_and_b32_e32 v10, 7, v2
	v_lshrrev_b32_e32 v56, 3, v58
	s_mov_b32 s33, exec_lo
	v_cmpx_gt_u32_e32 8, v58
; %bb.293:                              ;   in Loop: Header=BB269_9 Depth=1
	s_delay_alu instid0(VALU_DEP_3) | instskip(NEXT) | instid1(VALU_DEP_1)
	v_clz_i32_u32_e32 v10, v10
	v_min_u32_e32 v10, 32, v10
	s_delay_alu instid0(VALU_DEP_1) | instskip(NEXT) | instid1(VALU_DEP_1)
	v_subrev_nc_u32_e32 v56, 28, v10
	v_lshlrev_b64_e32 v[58:59], v56, v[2:3]
	v_sub_nc_u32_e32 v56, 29, v10
	s_delay_alu instid0(VALU_DEP_2)
	v_and_b32_e32 v10, 7, v58
; %bb.294:                              ;   in Loop: Header=BB269_9 Depth=1
	s_or_b32 exec_lo, exec_lo, s33
	v_lshlrev_b32_e32 v2, 8, v2
	s_delay_alu instid0(VALU_DEP_3) | instskip(NEXT) | instid1(VALU_DEP_3)
	v_lshl_add_u32 v56, v56, 10, 0x2000
	v_lshlrev_b32_e32 v10, 23, v10
	s_delay_alu instid0(VALU_DEP_2) | instskip(NEXT) | instid1(VALU_DEP_1)
	v_and_or_b32 v2, 0x8000, v2, v56
	v_lshl_or_b32 v56, v2, 16, v10
.LBB269_295:                            ;   in Loop: Header=BB269_9 Depth=1
	s_or_b32 exec_lo, exec_lo, s31
.LBB269_296:                            ;   in Loop: Header=BB269_9 Depth=1
	s_delay_alu instid0(SALU_CYCLE_1)
	s_or_b32 exec_lo, exec_lo, s30
.LBB269_297:                            ;   in Loop: Header=BB269_9 Depth=1
	s_delay_alu instid0(SALU_CYCLE_1)
	s_or_b32 exec_lo, exec_lo, s29
	global_load_b32 v10, v[8:9], off offset:1032
	v_dual_mov_b32 v58, 0 :: v_dual_mov_b32 v59, 0
	s_mov_b32 s29, exec_lo
	s_wait_loadcnt 0x0
	v_and_b32_e32 v2, 0xff, v10
	s_delay_alu instid0(VALU_DEP_1)
	v_cmpx_ne_u16_e32 0, v2
	s_cbranch_execz .LBB269_305
; %bb.298:                              ;   in Loop: Header=BB269_9 Depth=1
	v_mov_b32_e32 v59, 0x8000
	s_mov_b32 s30, exec_lo
	v_cmpx_ne_u16_e32 0x80, v2
	s_cbranch_execz .LBB269_304
; %bb.299:                              ;   in Loop: Header=BB269_9 Depth=1
	v_and_b32_e32 v60, 0x7f, v10
	v_mov_b32_e32 v59, 0x7c01
	s_mov_b32 s31, exec_lo
	s_delay_alu instid0(VALU_DEP_2)
	v_cmpx_ne_u32_e32 0x7f, v60
	s_cbranch_execz .LBB269_303
; %bb.300:                              ;   in Loop: Header=BB269_9 Depth=1
	v_dual_lshrrev_b32 v59, 3, v60 :: v_dual_bitop2_b32 v2, 7, v10 bitop3:0x40
	s_mov_b32 s33, exec_lo
	v_cmpx_gt_u32_e32 8, v60
; %bb.301:                              ;   in Loop: Header=BB269_9 Depth=1
	s_delay_alu instid0(VALU_DEP_2) | instskip(NEXT) | instid1(VALU_DEP_1)
	v_clz_i32_u32_e32 v2, v2
	v_min_u32_e32 v2, 32, v2
	s_delay_alu instid0(VALU_DEP_1) | instskip(NEXT) | instid1(VALU_DEP_1)
	v_subrev_nc_u32_e32 v59, 28, v2
	v_lshlrev_b64_e32 v[60:61], v59, v[10:11]
	s_delay_alu instid0(VALU_DEP_1)
	v_dual_sub_nc_u32 v59, 29, v2 :: v_dual_bitop2_b32 v2, 7, v60 bitop3:0x40
; %bb.302:                              ;   in Loop: Header=BB269_9 Depth=1
	s_or_b32 exec_lo, exec_lo, s33
	v_lshlrev_b32_e32 v60, 8, v10
	s_delay_alu instid0(VALU_DEP_2) | instskip(NEXT) | instid1(VALU_DEP_3)
	v_lshl_add_u32 v59, v59, 10, 0x2000
	v_lshlrev_b32_e32 v2, 7, v2
	s_delay_alu instid0(VALU_DEP_3) | instskip(NEXT) | instid1(VALU_DEP_3)
	v_and_b32_e32 v60, 0x8000, v60
	v_and_b32_e32 v59, 0xfc00, v59
	s_delay_alu instid0(VALU_DEP_1)
	v_or3_b32 v59, v60, v59, v2
.LBB269_303:                            ;   in Loop: Header=BB269_9 Depth=1
	s_or_b32 exec_lo, exec_lo, s31
.LBB269_304:                            ;   in Loop: Header=BB269_9 Depth=1
	s_delay_alu instid0(SALU_CYCLE_1)
	s_or_b32 exec_lo, exec_lo, s30
.LBB269_305:                            ;   in Loop: Header=BB269_9 Depth=1
	s_delay_alu instid0(SALU_CYCLE_1) | instskip(SKIP_2) | instid1(VALU_DEP_1)
	s_or_b32 exec_lo, exec_lo, s29
	v_lshrrev_b16 v2, 8, v10
	s_mov_b32 s29, exec_lo
	v_cmpx_ne_u16_e32 0, v2
	s_cbranch_execz .LBB269_313
; %bb.306:                              ;   in Loop: Header=BB269_9 Depth=1
	v_bfrev_b32_e32 v58, 1
	s_mov_b32 s30, exec_lo
	v_cmpx_ne_u16_e32 0x80, v2
	s_cbranch_execz .LBB269_312
; %bb.307:                              ;   in Loop: Header=BB269_9 Depth=1
	v_and_b32_e32 v60, 0xffff, v2
	v_mov_b32_e32 v58, 0x7c010000
	s_mov_b32 s31, exec_lo
	s_delay_alu instid0(VALU_DEP_2) | instskip(NEXT) | instid1(VALU_DEP_1)
	v_and_b32_e32 v62, 0x7f, v60
	v_cmpx_ne_u32_e32 0x7f, v62
	s_cbranch_execz .LBB269_311
; %bb.308:                              ;   in Loop: Header=BB269_9 Depth=1
	v_dual_lshrrev_b32 v61, 3, v62 :: v_dual_bitop2_b32 v58, 7, v60 bitop3:0x40
	s_mov_b32 s33, exec_lo
	v_cmpx_gt_u32_e32 8, v62
; %bb.309:                              ;   in Loop: Header=BB269_9 Depth=1
	s_delay_alu instid0(VALU_DEP_2) | instskip(NEXT) | instid1(VALU_DEP_1)
	v_clz_i32_u32_e32 v58, v58
	v_min_u32_e32 v58, 32, v58
	s_delay_alu instid0(VALU_DEP_1) | instskip(NEXT) | instid1(VALU_DEP_1)
	v_subrev_nc_u32_e32 v61, 28, v58
	v_lshlrev_b64_e32 v[62:63], v61, v[2:3]
	v_sub_nc_u32_e32 v61, 29, v58
	s_delay_alu instid0(VALU_DEP_2)
	v_and_b32_e32 v58, 7, v62
; %bb.310:                              ;   in Loop: Header=BB269_9 Depth=1
	s_or_b32 exec_lo, exec_lo, s33
	s_delay_alu instid0(VALU_DEP_1) | instskip(NEXT) | instid1(VALU_DEP_3)
	v_dual_lshlrev_b32 v2, 8, v60 :: v_dual_lshlrev_b32 v58, 23, v58
	v_lshl_add_u32 v60, v61, 10, 0x2000
	s_delay_alu instid0(VALU_DEP_1) | instskip(NEXT) | instid1(VALU_DEP_1)
	v_and_or_b32 v2, 0x8000, v2, v60
	v_lshl_or_b32 v58, v2, 16, v58
.LBB269_311:                            ;   in Loop: Header=BB269_9 Depth=1
	s_or_b32 exec_lo, exec_lo, s31
.LBB269_312:                            ;   in Loop: Header=BB269_9 Depth=1
	s_delay_alu instid0(SALU_CYCLE_1)
	s_or_b32 exec_lo, exec_lo, s30
.LBB269_313:                            ;   in Loop: Header=BB269_9 Depth=1
	s_delay_alu instid0(SALU_CYCLE_1) | instskip(SKIP_3) | instid1(VALU_DEP_2)
	s_or_b32 exec_lo, exec_lo, s29
	v_dual_lshrrev_b32 v2, 16, v10 :: v_dual_mov_b32 v60, 0
	v_mov_b32_e32 v61, 0
	s_mov_b32 s29, exec_lo
	v_and_b32_e32 v62, 0xff, v2
	s_delay_alu instid0(VALU_DEP_1)
	v_cmpx_ne_u16_e32 0, v62
	s_cbranch_execz .LBB269_321
; %bb.314:                              ;   in Loop: Header=BB269_9 Depth=1
	v_mov_b32_e32 v61, 0x8000
	s_mov_b32 s30, exec_lo
	v_cmpx_ne_u16_e32 0x80, v62
	s_cbranch_execz .LBB269_320
; %bb.315:                              ;   in Loop: Header=BB269_9 Depth=1
	v_bfe_u32 v63, v10, 16, 7
	v_mov_b32_e32 v61, 0x7c01
	s_mov_b32 s31, exec_lo
	s_delay_alu instid0(VALU_DEP_2)
	v_cmpx_ne_u32_e32 0x7f, v63
	s_cbranch_execz .LBB269_319
; %bb.316:                              ;   in Loop: Header=BB269_9 Depth=1
	v_dual_lshrrev_b32 v62, 3, v63 :: v_dual_bitop2_b32 v61, 7, v2 bitop3:0x40
	s_mov_b32 s33, exec_lo
	v_cmpx_gt_u32_e32 8, v63
; %bb.317:                              ;   in Loop: Header=BB269_9 Depth=1
	s_delay_alu instid0(VALU_DEP_2) | instskip(NEXT) | instid1(VALU_DEP_1)
	v_clz_i32_u32_e32 v61, v61
	v_min_u32_e32 v61, 32, v61
	s_delay_alu instid0(VALU_DEP_1) | instskip(NEXT) | instid1(VALU_DEP_1)
	v_subrev_nc_u32_e32 v62, 28, v61
	v_lshlrev_b64_e32 v[64:65], v62, v[2:3]
	s_delay_alu instid0(VALU_DEP_1)
	v_dual_sub_nc_u32 v62, 29, v61 :: v_dual_bitop2_b32 v61, 7, v64 bitop3:0x40
; %bb.318:                              ;   in Loop: Header=BB269_9 Depth=1
	s_or_b32 exec_lo, exec_lo, s33
	s_delay_alu instid0(VALU_DEP_1) | instskip(NEXT) | instid1(VALU_DEP_2)
	v_dual_lshlrev_b32 v2, 8, v2 :: v_dual_lshlrev_b32 v61, 7, v61
	v_lshl_add_u32 v62, v62, 10, 0x2000
	s_delay_alu instid0(VALU_DEP_2) | instskip(NEXT) | instid1(VALU_DEP_2)
	v_and_b32_e32 v2, 0x8000, v2
	v_and_b32_e32 v62, 0xfc00, v62
	s_delay_alu instid0(VALU_DEP_1)
	v_or3_b32 v61, v2, v62, v61
.LBB269_319:                            ;   in Loop: Header=BB269_9 Depth=1
	s_or_b32 exec_lo, exec_lo, s31
.LBB269_320:                            ;   in Loop: Header=BB269_9 Depth=1
	s_delay_alu instid0(SALU_CYCLE_1)
	s_or_b32 exec_lo, exec_lo, s30
.LBB269_321:                            ;   in Loop: Header=BB269_9 Depth=1
	s_delay_alu instid0(SALU_CYCLE_1) | instskip(NEXT) | instid1(SALU_CYCLE_1)
	s_or_b32 exec_lo, exec_lo, s29
	s_mov_b32 s29, exec_lo
	v_cmpx_lt_u32_e32 0xffffff, v10
	s_cbranch_execz .LBB269_329
; %bb.322:                              ;   in Loop: Header=BB269_9 Depth=1
	v_lshrrev_b32_e32 v2, 24, v10
	v_bfrev_b32_e32 v60, 1
	s_mov_b32 s30, exec_lo
	s_delay_alu instid0(VALU_DEP_2)
	v_cmpx_ne_u32_e32 0x80, v2
	s_cbranch_execz .LBB269_328
; %bb.323:                              ;   in Loop: Header=BB269_9 Depth=1
	v_and_b32_e32 v62, 0x7f, v2
	v_mov_b32_e32 v60, 0x7c010000
	s_mov_b32 s31, exec_lo
	s_delay_alu instid0(VALU_DEP_2)
	v_cmpx_ne_u32_e32 0x7f, v62
	s_cbranch_execz .LBB269_327
; %bb.324:                              ;   in Loop: Header=BB269_9 Depth=1
	v_and_b32_e32 v10, 7, v2
	v_lshrrev_b32_e32 v60, 3, v62
	s_mov_b32 s33, exec_lo
	v_cmpx_gt_u32_e32 8, v62
; %bb.325:                              ;   in Loop: Header=BB269_9 Depth=1
	s_delay_alu instid0(VALU_DEP_3) | instskip(NEXT) | instid1(VALU_DEP_1)
	v_clz_i32_u32_e32 v10, v10
	v_min_u32_e32 v10, 32, v10
	s_delay_alu instid0(VALU_DEP_1) | instskip(NEXT) | instid1(VALU_DEP_1)
	v_subrev_nc_u32_e32 v60, 28, v10
	v_lshlrev_b64_e32 v[62:63], v60, v[2:3]
	v_sub_nc_u32_e32 v60, 29, v10
	s_delay_alu instid0(VALU_DEP_2)
	v_and_b32_e32 v10, 7, v62
; %bb.326:                              ;   in Loop: Header=BB269_9 Depth=1
	s_or_b32 exec_lo, exec_lo, s33
	v_lshlrev_b32_e32 v2, 8, v2
	s_delay_alu instid0(VALU_DEP_3) | instskip(NEXT) | instid1(VALU_DEP_3)
	v_lshl_add_u32 v60, v60, 10, 0x2000
	v_lshlrev_b32_e32 v10, 23, v10
	s_delay_alu instid0(VALU_DEP_2) | instskip(NEXT) | instid1(VALU_DEP_1)
	v_and_or_b32 v2, 0x8000, v2, v60
	v_lshl_or_b32 v60, v2, 16, v10
.LBB269_327:                            ;   in Loop: Header=BB269_9 Depth=1
	s_or_b32 exec_lo, exec_lo, s31
.LBB269_328:                            ;   in Loop: Header=BB269_9 Depth=1
	s_delay_alu instid0(SALU_CYCLE_1)
	s_or_b32 exec_lo, exec_lo, s30
.LBB269_329:                            ;   in Loop: Header=BB269_9 Depth=1
	s_delay_alu instid0(SALU_CYCLE_1)
	s_or_b32 exec_lo, exec_lo, s29
	global_load_b32 v10, v[8:9], off offset:1280
	v_dual_mov_b32 v62, 0 :: v_dual_mov_b32 v63, 0
	s_mov_b32 s29, exec_lo
	s_wait_loadcnt 0x0
	v_and_b32_e32 v2, 0xff, v10
	s_delay_alu instid0(VALU_DEP_1)
	v_cmpx_ne_u16_e32 0, v2
	s_cbranch_execz .LBB269_337
; %bb.330:                              ;   in Loop: Header=BB269_9 Depth=1
	v_mov_b32_e32 v63, 0x8000
	s_mov_b32 s30, exec_lo
	v_cmpx_ne_u16_e32 0x80, v2
	s_cbranch_execz .LBB269_336
; %bb.331:                              ;   in Loop: Header=BB269_9 Depth=1
	v_and_b32_e32 v64, 0x7f, v10
	v_mov_b32_e32 v63, 0x7c01
	s_mov_b32 s31, exec_lo
	s_delay_alu instid0(VALU_DEP_2)
	v_cmpx_ne_u32_e32 0x7f, v64
	s_cbranch_execz .LBB269_335
; %bb.332:                              ;   in Loop: Header=BB269_9 Depth=1
	v_dual_lshrrev_b32 v63, 3, v64 :: v_dual_bitop2_b32 v2, 7, v10 bitop3:0x40
	s_mov_b32 s33, exec_lo
	v_cmpx_gt_u32_e32 8, v64
; %bb.333:                              ;   in Loop: Header=BB269_9 Depth=1
	s_delay_alu instid0(VALU_DEP_2) | instskip(NEXT) | instid1(VALU_DEP_1)
	v_clz_i32_u32_e32 v2, v2
	v_min_u32_e32 v2, 32, v2
	s_delay_alu instid0(VALU_DEP_1) | instskip(NEXT) | instid1(VALU_DEP_1)
	v_subrev_nc_u32_e32 v63, 28, v2
	v_lshlrev_b64_e32 v[64:65], v63, v[10:11]
	s_delay_alu instid0(VALU_DEP_1)
	v_dual_sub_nc_u32 v63, 29, v2 :: v_dual_bitop2_b32 v2, 7, v64 bitop3:0x40
; %bb.334:                              ;   in Loop: Header=BB269_9 Depth=1
	s_or_b32 exec_lo, exec_lo, s33
	v_lshlrev_b32_e32 v64, 8, v10
	s_delay_alu instid0(VALU_DEP_2) | instskip(NEXT) | instid1(VALU_DEP_3)
	v_lshl_add_u32 v63, v63, 10, 0x2000
	v_lshlrev_b32_e32 v2, 7, v2
	s_delay_alu instid0(VALU_DEP_3) | instskip(NEXT) | instid1(VALU_DEP_3)
	v_and_b32_e32 v64, 0x8000, v64
	v_and_b32_e32 v63, 0xfc00, v63
	s_delay_alu instid0(VALU_DEP_1)
	v_or3_b32 v63, v64, v63, v2
.LBB269_335:                            ;   in Loop: Header=BB269_9 Depth=1
	s_or_b32 exec_lo, exec_lo, s31
.LBB269_336:                            ;   in Loop: Header=BB269_9 Depth=1
	s_delay_alu instid0(SALU_CYCLE_1)
	s_or_b32 exec_lo, exec_lo, s30
.LBB269_337:                            ;   in Loop: Header=BB269_9 Depth=1
	s_delay_alu instid0(SALU_CYCLE_1) | instskip(SKIP_2) | instid1(VALU_DEP_1)
	s_or_b32 exec_lo, exec_lo, s29
	v_lshrrev_b16 v2, 8, v10
	s_mov_b32 s29, exec_lo
	v_cmpx_ne_u16_e32 0, v2
	s_cbranch_execz .LBB269_345
; %bb.338:                              ;   in Loop: Header=BB269_9 Depth=1
	v_bfrev_b32_e32 v62, 1
	s_mov_b32 s30, exec_lo
	v_cmpx_ne_u16_e32 0x80, v2
	s_cbranch_execz .LBB269_344
; %bb.339:                              ;   in Loop: Header=BB269_9 Depth=1
	v_and_b32_e32 v64, 0xffff, v2
	v_mov_b32_e32 v62, 0x7c010000
	s_mov_b32 s31, exec_lo
	s_delay_alu instid0(VALU_DEP_2) | instskip(NEXT) | instid1(VALU_DEP_1)
	v_and_b32_e32 v66, 0x7f, v64
	v_cmpx_ne_u32_e32 0x7f, v66
	s_cbranch_execz .LBB269_343
; %bb.340:                              ;   in Loop: Header=BB269_9 Depth=1
	v_dual_lshrrev_b32 v65, 3, v66 :: v_dual_bitop2_b32 v62, 7, v64 bitop3:0x40
	s_mov_b32 s33, exec_lo
	v_cmpx_gt_u32_e32 8, v66
; %bb.341:                              ;   in Loop: Header=BB269_9 Depth=1
	s_delay_alu instid0(VALU_DEP_2) | instskip(NEXT) | instid1(VALU_DEP_1)
	v_clz_i32_u32_e32 v62, v62
	v_min_u32_e32 v62, 32, v62
	s_delay_alu instid0(VALU_DEP_1) | instskip(NEXT) | instid1(VALU_DEP_1)
	v_subrev_nc_u32_e32 v65, 28, v62
	v_lshlrev_b64_e32 v[66:67], v65, v[2:3]
	v_sub_nc_u32_e32 v65, 29, v62
	s_delay_alu instid0(VALU_DEP_2)
	v_and_b32_e32 v62, 7, v66
; %bb.342:                              ;   in Loop: Header=BB269_9 Depth=1
	s_or_b32 exec_lo, exec_lo, s33
	s_delay_alu instid0(VALU_DEP_1) | instskip(NEXT) | instid1(VALU_DEP_3)
	v_dual_lshlrev_b32 v2, 8, v64 :: v_dual_lshlrev_b32 v62, 23, v62
	v_lshl_add_u32 v64, v65, 10, 0x2000
	s_delay_alu instid0(VALU_DEP_1) | instskip(NEXT) | instid1(VALU_DEP_1)
	v_and_or_b32 v2, 0x8000, v2, v64
	v_lshl_or_b32 v62, v2, 16, v62
.LBB269_343:                            ;   in Loop: Header=BB269_9 Depth=1
	s_or_b32 exec_lo, exec_lo, s31
.LBB269_344:                            ;   in Loop: Header=BB269_9 Depth=1
	s_delay_alu instid0(SALU_CYCLE_1)
	s_or_b32 exec_lo, exec_lo, s30
.LBB269_345:                            ;   in Loop: Header=BB269_9 Depth=1
	s_delay_alu instid0(SALU_CYCLE_1) | instskip(SKIP_3) | instid1(VALU_DEP_2)
	s_or_b32 exec_lo, exec_lo, s29
	v_dual_lshrrev_b32 v2, 16, v10 :: v_dual_mov_b32 v64, 0
	v_mov_b32_e32 v65, 0
	s_mov_b32 s29, exec_lo
	v_and_b32_e32 v66, 0xff, v2
	s_delay_alu instid0(VALU_DEP_1)
	v_cmpx_ne_u16_e32 0, v66
	s_cbranch_execz .LBB269_353
; %bb.346:                              ;   in Loop: Header=BB269_9 Depth=1
	v_mov_b32_e32 v65, 0x8000
	s_mov_b32 s30, exec_lo
	v_cmpx_ne_u16_e32 0x80, v66
	s_cbranch_execz .LBB269_352
; %bb.347:                              ;   in Loop: Header=BB269_9 Depth=1
	v_bfe_u32 v67, v10, 16, 7
	v_mov_b32_e32 v65, 0x7c01
	s_mov_b32 s31, exec_lo
	s_delay_alu instid0(VALU_DEP_2)
	v_cmpx_ne_u32_e32 0x7f, v67
	s_cbranch_execz .LBB269_351
; %bb.348:                              ;   in Loop: Header=BB269_9 Depth=1
	v_dual_lshrrev_b32 v66, 3, v67 :: v_dual_bitop2_b32 v65, 7, v2 bitop3:0x40
	s_mov_b32 s33, exec_lo
	v_cmpx_gt_u32_e32 8, v67
; %bb.349:                              ;   in Loop: Header=BB269_9 Depth=1
	s_delay_alu instid0(VALU_DEP_2) | instskip(NEXT) | instid1(VALU_DEP_1)
	v_clz_i32_u32_e32 v65, v65
	v_min_u32_e32 v65, 32, v65
	s_delay_alu instid0(VALU_DEP_1) | instskip(NEXT) | instid1(VALU_DEP_1)
	v_subrev_nc_u32_e32 v66, 28, v65
	v_lshlrev_b64_e32 v[68:69], v66, v[2:3]
	s_delay_alu instid0(VALU_DEP_1)
	v_dual_sub_nc_u32 v66, 29, v65 :: v_dual_bitop2_b32 v65, 7, v68 bitop3:0x40
; %bb.350:                              ;   in Loop: Header=BB269_9 Depth=1
	s_or_b32 exec_lo, exec_lo, s33
	s_delay_alu instid0(VALU_DEP_1) | instskip(NEXT) | instid1(VALU_DEP_2)
	v_dual_lshlrev_b32 v2, 8, v2 :: v_dual_lshlrev_b32 v65, 7, v65
	v_lshl_add_u32 v66, v66, 10, 0x2000
	s_delay_alu instid0(VALU_DEP_2) | instskip(NEXT) | instid1(VALU_DEP_2)
	v_and_b32_e32 v2, 0x8000, v2
	v_and_b32_e32 v66, 0xfc00, v66
	s_delay_alu instid0(VALU_DEP_1)
	v_or3_b32 v65, v2, v66, v65
.LBB269_351:                            ;   in Loop: Header=BB269_9 Depth=1
	s_or_b32 exec_lo, exec_lo, s31
.LBB269_352:                            ;   in Loop: Header=BB269_9 Depth=1
	s_delay_alu instid0(SALU_CYCLE_1)
	s_or_b32 exec_lo, exec_lo, s30
.LBB269_353:                            ;   in Loop: Header=BB269_9 Depth=1
	s_delay_alu instid0(SALU_CYCLE_1) | instskip(NEXT) | instid1(SALU_CYCLE_1)
	s_or_b32 exec_lo, exec_lo, s29
	s_mov_b32 s29, exec_lo
	v_cmpx_lt_u32_e32 0xffffff, v10
	s_cbranch_execz .LBB269_361
; %bb.354:                              ;   in Loop: Header=BB269_9 Depth=1
	v_lshrrev_b32_e32 v2, 24, v10
	v_bfrev_b32_e32 v64, 1
	s_mov_b32 s30, exec_lo
	s_delay_alu instid0(VALU_DEP_2)
	v_cmpx_ne_u32_e32 0x80, v2
	s_cbranch_execz .LBB269_360
; %bb.355:                              ;   in Loop: Header=BB269_9 Depth=1
	v_and_b32_e32 v66, 0x7f, v2
	v_mov_b32_e32 v64, 0x7c010000
	s_mov_b32 s31, exec_lo
	s_delay_alu instid0(VALU_DEP_2)
	v_cmpx_ne_u32_e32 0x7f, v66
	s_cbranch_execz .LBB269_359
; %bb.356:                              ;   in Loop: Header=BB269_9 Depth=1
	v_and_b32_e32 v10, 7, v2
	v_lshrrev_b32_e32 v64, 3, v66
	s_mov_b32 s33, exec_lo
	v_cmpx_gt_u32_e32 8, v66
; %bb.357:                              ;   in Loop: Header=BB269_9 Depth=1
	s_delay_alu instid0(VALU_DEP_3) | instskip(NEXT) | instid1(VALU_DEP_1)
	v_clz_i32_u32_e32 v10, v10
	v_min_u32_e32 v10, 32, v10
	s_delay_alu instid0(VALU_DEP_1) | instskip(NEXT) | instid1(VALU_DEP_1)
	v_subrev_nc_u32_e32 v64, 28, v10
	v_lshlrev_b64_e32 v[66:67], v64, v[2:3]
	v_sub_nc_u32_e32 v64, 29, v10
	s_delay_alu instid0(VALU_DEP_2)
	v_and_b32_e32 v10, 7, v66
; %bb.358:                              ;   in Loop: Header=BB269_9 Depth=1
	s_or_b32 exec_lo, exec_lo, s33
	v_lshlrev_b32_e32 v2, 8, v2
	s_delay_alu instid0(VALU_DEP_3) | instskip(NEXT) | instid1(VALU_DEP_3)
	v_lshl_add_u32 v64, v64, 10, 0x2000
	v_lshlrev_b32_e32 v10, 23, v10
	s_delay_alu instid0(VALU_DEP_2) | instskip(NEXT) | instid1(VALU_DEP_1)
	v_and_or_b32 v2, 0x8000, v2, v64
	v_lshl_or_b32 v64, v2, 16, v10
.LBB269_359:                            ;   in Loop: Header=BB269_9 Depth=1
	s_or_b32 exec_lo, exec_lo, s31
.LBB269_360:                            ;   in Loop: Header=BB269_9 Depth=1
	s_delay_alu instid0(SALU_CYCLE_1)
	s_or_b32 exec_lo, exec_lo, s30
.LBB269_361:                            ;   in Loop: Header=BB269_9 Depth=1
	s_delay_alu instid0(SALU_CYCLE_1)
	s_or_b32 exec_lo, exec_lo, s29
	global_load_b32 v10, v[8:9], off offset:1288
	v_dual_mov_b32 v66, 0 :: v_dual_mov_b32 v67, 0
	s_mov_b32 s29, exec_lo
	s_wait_loadcnt 0x0
	v_and_b32_e32 v2, 0xff, v10
	s_delay_alu instid0(VALU_DEP_1)
	v_cmpx_ne_u16_e32 0, v2
	s_cbranch_execz .LBB269_369
; %bb.362:                              ;   in Loop: Header=BB269_9 Depth=1
	v_mov_b32_e32 v67, 0x8000
	s_mov_b32 s30, exec_lo
	v_cmpx_ne_u16_e32 0x80, v2
	s_cbranch_execz .LBB269_368
; %bb.363:                              ;   in Loop: Header=BB269_9 Depth=1
	v_and_b32_e32 v68, 0x7f, v10
	v_mov_b32_e32 v67, 0x7c01
	s_mov_b32 s31, exec_lo
	s_delay_alu instid0(VALU_DEP_2)
	v_cmpx_ne_u32_e32 0x7f, v68
	s_cbranch_execz .LBB269_367
; %bb.364:                              ;   in Loop: Header=BB269_9 Depth=1
	v_dual_lshrrev_b32 v67, 3, v68 :: v_dual_bitop2_b32 v2, 7, v10 bitop3:0x40
	s_mov_b32 s33, exec_lo
	v_cmpx_gt_u32_e32 8, v68
; %bb.365:                              ;   in Loop: Header=BB269_9 Depth=1
	s_delay_alu instid0(VALU_DEP_2) | instskip(NEXT) | instid1(VALU_DEP_1)
	v_clz_i32_u32_e32 v2, v2
	v_min_u32_e32 v2, 32, v2
	s_delay_alu instid0(VALU_DEP_1) | instskip(NEXT) | instid1(VALU_DEP_1)
	v_subrev_nc_u32_e32 v67, 28, v2
	v_lshlrev_b64_e32 v[68:69], v67, v[10:11]
	s_delay_alu instid0(VALU_DEP_1)
	v_dual_sub_nc_u32 v67, 29, v2 :: v_dual_bitop2_b32 v2, 7, v68 bitop3:0x40
; %bb.366:                              ;   in Loop: Header=BB269_9 Depth=1
	s_or_b32 exec_lo, exec_lo, s33
	v_lshlrev_b32_e32 v68, 8, v10
	s_delay_alu instid0(VALU_DEP_2) | instskip(NEXT) | instid1(VALU_DEP_3)
	v_lshl_add_u32 v67, v67, 10, 0x2000
	v_lshlrev_b32_e32 v2, 7, v2
	s_delay_alu instid0(VALU_DEP_3) | instskip(NEXT) | instid1(VALU_DEP_3)
	v_and_b32_e32 v68, 0x8000, v68
	v_and_b32_e32 v67, 0xfc00, v67
	s_delay_alu instid0(VALU_DEP_1)
	v_or3_b32 v67, v68, v67, v2
.LBB269_367:                            ;   in Loop: Header=BB269_9 Depth=1
	s_or_b32 exec_lo, exec_lo, s31
.LBB269_368:                            ;   in Loop: Header=BB269_9 Depth=1
	s_delay_alu instid0(SALU_CYCLE_1)
	s_or_b32 exec_lo, exec_lo, s30
.LBB269_369:                            ;   in Loop: Header=BB269_9 Depth=1
	s_delay_alu instid0(SALU_CYCLE_1) | instskip(SKIP_2) | instid1(VALU_DEP_1)
	s_or_b32 exec_lo, exec_lo, s29
	v_lshrrev_b16 v2, 8, v10
	s_mov_b32 s29, exec_lo
	v_cmpx_ne_u16_e32 0, v2
	s_cbranch_execz .LBB269_377
; %bb.370:                              ;   in Loop: Header=BB269_9 Depth=1
	v_bfrev_b32_e32 v66, 1
	s_mov_b32 s30, exec_lo
	v_cmpx_ne_u16_e32 0x80, v2
	s_cbranch_execz .LBB269_376
; %bb.371:                              ;   in Loop: Header=BB269_9 Depth=1
	v_and_b32_e32 v68, 0xffff, v2
	v_mov_b32_e32 v66, 0x7c010000
	s_mov_b32 s31, exec_lo
	s_delay_alu instid0(VALU_DEP_2) | instskip(NEXT) | instid1(VALU_DEP_1)
	v_and_b32_e32 v70, 0x7f, v68
	v_cmpx_ne_u32_e32 0x7f, v70
	s_cbranch_execz .LBB269_375
; %bb.372:                              ;   in Loop: Header=BB269_9 Depth=1
	v_dual_lshrrev_b32 v69, 3, v70 :: v_dual_bitop2_b32 v66, 7, v68 bitop3:0x40
	s_mov_b32 s33, exec_lo
	v_cmpx_gt_u32_e32 8, v70
; %bb.373:                              ;   in Loop: Header=BB269_9 Depth=1
	s_delay_alu instid0(VALU_DEP_2) | instskip(NEXT) | instid1(VALU_DEP_1)
	v_clz_i32_u32_e32 v66, v66
	v_min_u32_e32 v66, 32, v66
	s_delay_alu instid0(VALU_DEP_1) | instskip(NEXT) | instid1(VALU_DEP_1)
	v_subrev_nc_u32_e32 v69, 28, v66
	v_lshlrev_b64_e32 v[70:71], v69, v[2:3]
	v_sub_nc_u32_e32 v69, 29, v66
	s_delay_alu instid0(VALU_DEP_2)
	v_and_b32_e32 v66, 7, v70
; %bb.374:                              ;   in Loop: Header=BB269_9 Depth=1
	s_or_b32 exec_lo, exec_lo, s33
	s_delay_alu instid0(VALU_DEP_1) | instskip(NEXT) | instid1(VALU_DEP_3)
	v_dual_lshlrev_b32 v2, 8, v68 :: v_dual_lshlrev_b32 v66, 23, v66
	v_lshl_add_u32 v68, v69, 10, 0x2000
	s_delay_alu instid0(VALU_DEP_1) | instskip(NEXT) | instid1(VALU_DEP_1)
	v_and_or_b32 v2, 0x8000, v2, v68
	v_lshl_or_b32 v66, v2, 16, v66
.LBB269_375:                            ;   in Loop: Header=BB269_9 Depth=1
	s_or_b32 exec_lo, exec_lo, s31
.LBB269_376:                            ;   in Loop: Header=BB269_9 Depth=1
	s_delay_alu instid0(SALU_CYCLE_1)
	s_or_b32 exec_lo, exec_lo, s30
.LBB269_377:                            ;   in Loop: Header=BB269_9 Depth=1
	s_delay_alu instid0(SALU_CYCLE_1) | instskip(SKIP_3) | instid1(VALU_DEP_2)
	s_or_b32 exec_lo, exec_lo, s29
	v_dual_lshrrev_b32 v2, 16, v10 :: v_dual_mov_b32 v68, 0
	v_mov_b32_e32 v69, 0
	s_mov_b32 s29, exec_lo
	v_and_b32_e32 v70, 0xff, v2
	s_delay_alu instid0(VALU_DEP_1)
	v_cmpx_ne_u16_e32 0, v70
	s_cbranch_execz .LBB269_385
; %bb.378:                              ;   in Loop: Header=BB269_9 Depth=1
	v_mov_b32_e32 v69, 0x8000
	s_mov_b32 s30, exec_lo
	v_cmpx_ne_u16_e32 0x80, v70
	s_cbranch_execz .LBB269_384
; %bb.379:                              ;   in Loop: Header=BB269_9 Depth=1
	v_bfe_u32 v71, v10, 16, 7
	v_mov_b32_e32 v69, 0x7c01
	s_mov_b32 s31, exec_lo
	s_delay_alu instid0(VALU_DEP_2)
	v_cmpx_ne_u32_e32 0x7f, v71
	s_cbranch_execz .LBB269_383
; %bb.380:                              ;   in Loop: Header=BB269_9 Depth=1
	v_dual_lshrrev_b32 v70, 3, v71 :: v_dual_bitop2_b32 v69, 7, v2 bitop3:0x40
	s_mov_b32 s33, exec_lo
	v_cmpx_gt_u32_e32 8, v71
; %bb.381:                              ;   in Loop: Header=BB269_9 Depth=1
	s_delay_alu instid0(VALU_DEP_2) | instskip(NEXT) | instid1(VALU_DEP_1)
	v_clz_i32_u32_e32 v69, v69
	v_min_u32_e32 v69, 32, v69
	s_delay_alu instid0(VALU_DEP_1) | instskip(NEXT) | instid1(VALU_DEP_1)
	v_subrev_nc_u32_e32 v70, 28, v69
	v_lshlrev_b64_e32 v[72:73], v70, v[2:3]
	s_delay_alu instid0(VALU_DEP_1)
	v_dual_sub_nc_u32 v70, 29, v69 :: v_dual_bitop2_b32 v69, 7, v72 bitop3:0x40
; %bb.382:                              ;   in Loop: Header=BB269_9 Depth=1
	s_or_b32 exec_lo, exec_lo, s33
	s_delay_alu instid0(VALU_DEP_1) | instskip(NEXT) | instid1(VALU_DEP_2)
	v_dual_lshlrev_b32 v2, 8, v2 :: v_dual_lshlrev_b32 v69, 7, v69
	v_lshl_add_u32 v70, v70, 10, 0x2000
	s_delay_alu instid0(VALU_DEP_2) | instskip(NEXT) | instid1(VALU_DEP_2)
	v_and_b32_e32 v2, 0x8000, v2
	v_and_b32_e32 v70, 0xfc00, v70
	s_delay_alu instid0(VALU_DEP_1)
	v_or3_b32 v69, v2, v70, v69
.LBB269_383:                            ;   in Loop: Header=BB269_9 Depth=1
	s_or_b32 exec_lo, exec_lo, s31
.LBB269_384:                            ;   in Loop: Header=BB269_9 Depth=1
	s_delay_alu instid0(SALU_CYCLE_1)
	s_or_b32 exec_lo, exec_lo, s30
.LBB269_385:                            ;   in Loop: Header=BB269_9 Depth=1
	s_delay_alu instid0(SALU_CYCLE_1) | instskip(NEXT) | instid1(SALU_CYCLE_1)
	s_or_b32 exec_lo, exec_lo, s29
	s_mov_b32 s29, exec_lo
	v_cmpx_lt_u32_e32 0xffffff, v10
	s_cbranch_execz .LBB269_393
; %bb.386:                              ;   in Loop: Header=BB269_9 Depth=1
	v_lshrrev_b32_e32 v2, 24, v10
	v_bfrev_b32_e32 v68, 1
	s_mov_b32 s30, exec_lo
	s_delay_alu instid0(VALU_DEP_2)
	v_cmpx_ne_u32_e32 0x80, v2
	s_cbranch_execz .LBB269_392
; %bb.387:                              ;   in Loop: Header=BB269_9 Depth=1
	v_and_b32_e32 v70, 0x7f, v2
	v_mov_b32_e32 v68, 0x7c010000
	s_mov_b32 s31, exec_lo
	s_delay_alu instid0(VALU_DEP_2)
	v_cmpx_ne_u32_e32 0x7f, v70
	s_cbranch_execz .LBB269_391
; %bb.388:                              ;   in Loop: Header=BB269_9 Depth=1
	v_and_b32_e32 v10, 7, v2
	v_lshrrev_b32_e32 v68, 3, v70
	s_mov_b32 s33, exec_lo
	v_cmpx_gt_u32_e32 8, v70
; %bb.389:                              ;   in Loop: Header=BB269_9 Depth=1
	s_delay_alu instid0(VALU_DEP_3) | instskip(NEXT) | instid1(VALU_DEP_1)
	v_clz_i32_u32_e32 v10, v10
	v_min_u32_e32 v10, 32, v10
	s_delay_alu instid0(VALU_DEP_1) | instskip(NEXT) | instid1(VALU_DEP_1)
	v_subrev_nc_u32_e32 v68, 28, v10
	v_lshlrev_b64_e32 v[70:71], v68, v[2:3]
	v_sub_nc_u32_e32 v68, 29, v10
	s_delay_alu instid0(VALU_DEP_2)
	v_and_b32_e32 v10, 7, v70
; %bb.390:                              ;   in Loop: Header=BB269_9 Depth=1
	s_or_b32 exec_lo, exec_lo, s33
	v_lshlrev_b32_e32 v2, 8, v2
	s_delay_alu instid0(VALU_DEP_3) | instskip(NEXT) | instid1(VALU_DEP_3)
	v_lshl_add_u32 v68, v68, 10, 0x2000
	v_lshlrev_b32_e32 v10, 23, v10
	s_delay_alu instid0(VALU_DEP_2) | instskip(NEXT) | instid1(VALU_DEP_1)
	v_and_or_b32 v2, 0x8000, v2, v68
	v_lshl_or_b32 v68, v2, 16, v10
.LBB269_391:                            ;   in Loop: Header=BB269_9 Depth=1
	s_or_b32 exec_lo, exec_lo, s31
.LBB269_392:                            ;   in Loop: Header=BB269_9 Depth=1
	s_delay_alu instid0(SALU_CYCLE_1)
	s_or_b32 exec_lo, exec_lo, s30
.LBB269_393:                            ;   in Loop: Header=BB269_9 Depth=1
	s_delay_alu instid0(SALU_CYCLE_1)
	s_or_b32 exec_lo, exec_lo, s29
	global_load_b32 v10, v[8:9], off offset:1536
	v_dual_mov_b32 v70, 0 :: v_dual_mov_b32 v71, 0
	s_mov_b32 s29, exec_lo
	s_wait_loadcnt 0x0
	v_and_b32_e32 v2, 0xff, v10
	s_delay_alu instid0(VALU_DEP_1)
	v_cmpx_ne_u16_e32 0, v2
	s_cbranch_execz .LBB269_401
; %bb.394:                              ;   in Loop: Header=BB269_9 Depth=1
	v_mov_b32_e32 v71, 0x8000
	s_mov_b32 s30, exec_lo
	v_cmpx_ne_u16_e32 0x80, v2
	s_cbranch_execz .LBB269_400
; %bb.395:                              ;   in Loop: Header=BB269_9 Depth=1
	v_and_b32_e32 v72, 0x7f, v10
	v_mov_b32_e32 v71, 0x7c01
	s_mov_b32 s31, exec_lo
	s_delay_alu instid0(VALU_DEP_2)
	v_cmpx_ne_u32_e32 0x7f, v72
	s_cbranch_execz .LBB269_399
; %bb.396:                              ;   in Loop: Header=BB269_9 Depth=1
	v_dual_lshrrev_b32 v71, 3, v72 :: v_dual_bitop2_b32 v2, 7, v10 bitop3:0x40
	s_mov_b32 s33, exec_lo
	v_cmpx_gt_u32_e32 8, v72
; %bb.397:                              ;   in Loop: Header=BB269_9 Depth=1
	s_delay_alu instid0(VALU_DEP_2) | instskip(NEXT) | instid1(VALU_DEP_1)
	v_clz_i32_u32_e32 v2, v2
	v_min_u32_e32 v2, 32, v2
	s_delay_alu instid0(VALU_DEP_1) | instskip(NEXT) | instid1(VALU_DEP_1)
	v_subrev_nc_u32_e32 v71, 28, v2
	v_lshlrev_b64_e32 v[72:73], v71, v[10:11]
	s_delay_alu instid0(VALU_DEP_1)
	v_dual_sub_nc_u32 v71, 29, v2 :: v_dual_bitop2_b32 v2, 7, v72 bitop3:0x40
; %bb.398:                              ;   in Loop: Header=BB269_9 Depth=1
	s_or_b32 exec_lo, exec_lo, s33
	v_lshlrev_b32_e32 v72, 8, v10
	s_delay_alu instid0(VALU_DEP_2) | instskip(NEXT) | instid1(VALU_DEP_3)
	v_lshl_add_u32 v71, v71, 10, 0x2000
	v_lshlrev_b32_e32 v2, 7, v2
	s_delay_alu instid0(VALU_DEP_3) | instskip(NEXT) | instid1(VALU_DEP_3)
	v_and_b32_e32 v72, 0x8000, v72
	v_and_b32_e32 v71, 0xfc00, v71
	s_delay_alu instid0(VALU_DEP_1)
	v_or3_b32 v71, v72, v71, v2
.LBB269_399:                            ;   in Loop: Header=BB269_9 Depth=1
	s_or_b32 exec_lo, exec_lo, s31
.LBB269_400:                            ;   in Loop: Header=BB269_9 Depth=1
	s_delay_alu instid0(SALU_CYCLE_1)
	s_or_b32 exec_lo, exec_lo, s30
.LBB269_401:                            ;   in Loop: Header=BB269_9 Depth=1
	s_delay_alu instid0(SALU_CYCLE_1) | instskip(SKIP_2) | instid1(VALU_DEP_1)
	s_or_b32 exec_lo, exec_lo, s29
	v_lshrrev_b16 v2, 8, v10
	s_mov_b32 s29, exec_lo
	v_cmpx_ne_u16_e32 0, v2
	s_cbranch_execz .LBB269_409
; %bb.402:                              ;   in Loop: Header=BB269_9 Depth=1
	v_bfrev_b32_e32 v70, 1
	s_mov_b32 s30, exec_lo
	v_cmpx_ne_u16_e32 0x80, v2
	s_cbranch_execz .LBB269_408
; %bb.403:                              ;   in Loop: Header=BB269_9 Depth=1
	v_and_b32_e32 v72, 0xffff, v2
	v_mov_b32_e32 v70, 0x7c010000
	s_mov_b32 s31, exec_lo
	s_delay_alu instid0(VALU_DEP_2) | instskip(NEXT) | instid1(VALU_DEP_1)
	v_and_b32_e32 v74, 0x7f, v72
	v_cmpx_ne_u32_e32 0x7f, v74
	s_cbranch_execz .LBB269_407
; %bb.404:                              ;   in Loop: Header=BB269_9 Depth=1
	v_dual_lshrrev_b32 v73, 3, v74 :: v_dual_bitop2_b32 v70, 7, v72 bitop3:0x40
	s_mov_b32 s33, exec_lo
	v_cmpx_gt_u32_e32 8, v74
; %bb.405:                              ;   in Loop: Header=BB269_9 Depth=1
	s_delay_alu instid0(VALU_DEP_2) | instskip(NEXT) | instid1(VALU_DEP_1)
	v_clz_i32_u32_e32 v70, v70
	v_min_u32_e32 v70, 32, v70
	s_delay_alu instid0(VALU_DEP_1) | instskip(NEXT) | instid1(VALU_DEP_1)
	v_subrev_nc_u32_e32 v73, 28, v70
	v_lshlrev_b64_e32 v[74:75], v73, v[2:3]
	v_sub_nc_u32_e32 v73, 29, v70
	s_delay_alu instid0(VALU_DEP_2)
	v_and_b32_e32 v70, 7, v74
; %bb.406:                              ;   in Loop: Header=BB269_9 Depth=1
	s_or_b32 exec_lo, exec_lo, s33
	s_delay_alu instid0(VALU_DEP_1) | instskip(NEXT) | instid1(VALU_DEP_3)
	v_dual_lshlrev_b32 v2, 8, v72 :: v_dual_lshlrev_b32 v70, 23, v70
	v_lshl_add_u32 v72, v73, 10, 0x2000
	s_delay_alu instid0(VALU_DEP_1) | instskip(NEXT) | instid1(VALU_DEP_1)
	v_and_or_b32 v2, 0x8000, v2, v72
	v_lshl_or_b32 v70, v2, 16, v70
.LBB269_407:                            ;   in Loop: Header=BB269_9 Depth=1
	s_or_b32 exec_lo, exec_lo, s31
.LBB269_408:                            ;   in Loop: Header=BB269_9 Depth=1
	s_delay_alu instid0(SALU_CYCLE_1)
	s_or_b32 exec_lo, exec_lo, s30
.LBB269_409:                            ;   in Loop: Header=BB269_9 Depth=1
	s_delay_alu instid0(SALU_CYCLE_1) | instskip(SKIP_3) | instid1(VALU_DEP_2)
	s_or_b32 exec_lo, exec_lo, s29
	v_dual_lshrrev_b32 v2, 16, v10 :: v_dual_mov_b32 v72, 0
	v_mov_b32_e32 v73, 0
	s_mov_b32 s29, exec_lo
	v_and_b32_e32 v74, 0xff, v2
	s_delay_alu instid0(VALU_DEP_1)
	v_cmpx_ne_u16_e32 0, v74
	s_cbranch_execz .LBB269_417
; %bb.410:                              ;   in Loop: Header=BB269_9 Depth=1
	v_mov_b32_e32 v73, 0x8000
	s_mov_b32 s30, exec_lo
	v_cmpx_ne_u16_e32 0x80, v74
	s_cbranch_execz .LBB269_416
; %bb.411:                              ;   in Loop: Header=BB269_9 Depth=1
	v_bfe_u32 v75, v10, 16, 7
	v_mov_b32_e32 v73, 0x7c01
	s_mov_b32 s31, exec_lo
	s_delay_alu instid0(VALU_DEP_2)
	v_cmpx_ne_u32_e32 0x7f, v75
	s_cbranch_execz .LBB269_415
; %bb.412:                              ;   in Loop: Header=BB269_9 Depth=1
	v_dual_lshrrev_b32 v74, 3, v75 :: v_dual_bitop2_b32 v73, 7, v2 bitop3:0x40
	s_mov_b32 s33, exec_lo
	v_cmpx_gt_u32_e32 8, v75
; %bb.413:                              ;   in Loop: Header=BB269_9 Depth=1
	s_delay_alu instid0(VALU_DEP_2) | instskip(NEXT) | instid1(VALU_DEP_1)
	v_clz_i32_u32_e32 v73, v73
	v_min_u32_e32 v73, 32, v73
	s_delay_alu instid0(VALU_DEP_1) | instskip(NEXT) | instid1(VALU_DEP_1)
	v_subrev_nc_u32_e32 v74, 28, v73
	v_lshlrev_b64_e32 v[76:77], v74, v[2:3]
	s_delay_alu instid0(VALU_DEP_1)
	v_dual_sub_nc_u32 v74, 29, v73 :: v_dual_bitop2_b32 v73, 7, v76 bitop3:0x40
; %bb.414:                              ;   in Loop: Header=BB269_9 Depth=1
	s_or_b32 exec_lo, exec_lo, s33
	s_delay_alu instid0(VALU_DEP_1) | instskip(NEXT) | instid1(VALU_DEP_2)
	v_dual_lshlrev_b32 v2, 8, v2 :: v_dual_lshlrev_b32 v73, 7, v73
	v_lshl_add_u32 v74, v74, 10, 0x2000
	s_delay_alu instid0(VALU_DEP_2) | instskip(NEXT) | instid1(VALU_DEP_2)
	v_and_b32_e32 v2, 0x8000, v2
	v_and_b32_e32 v74, 0xfc00, v74
	s_delay_alu instid0(VALU_DEP_1)
	v_or3_b32 v73, v2, v74, v73
.LBB269_415:                            ;   in Loop: Header=BB269_9 Depth=1
	s_or_b32 exec_lo, exec_lo, s31
.LBB269_416:                            ;   in Loop: Header=BB269_9 Depth=1
	s_delay_alu instid0(SALU_CYCLE_1)
	s_or_b32 exec_lo, exec_lo, s30
.LBB269_417:                            ;   in Loop: Header=BB269_9 Depth=1
	s_delay_alu instid0(SALU_CYCLE_1) | instskip(NEXT) | instid1(SALU_CYCLE_1)
	s_or_b32 exec_lo, exec_lo, s29
	s_mov_b32 s29, exec_lo
	v_cmpx_lt_u32_e32 0xffffff, v10
	s_cbranch_execz .LBB269_425
; %bb.418:                              ;   in Loop: Header=BB269_9 Depth=1
	v_lshrrev_b32_e32 v2, 24, v10
	v_bfrev_b32_e32 v72, 1
	s_mov_b32 s30, exec_lo
	s_delay_alu instid0(VALU_DEP_2)
	v_cmpx_ne_u32_e32 0x80, v2
	s_cbranch_execz .LBB269_424
; %bb.419:                              ;   in Loop: Header=BB269_9 Depth=1
	v_and_b32_e32 v74, 0x7f, v2
	v_mov_b32_e32 v72, 0x7c010000
	s_mov_b32 s31, exec_lo
	s_delay_alu instid0(VALU_DEP_2)
	v_cmpx_ne_u32_e32 0x7f, v74
	s_cbranch_execz .LBB269_423
; %bb.420:                              ;   in Loop: Header=BB269_9 Depth=1
	v_and_b32_e32 v10, 7, v2
	v_lshrrev_b32_e32 v72, 3, v74
	s_mov_b32 s33, exec_lo
	v_cmpx_gt_u32_e32 8, v74
; %bb.421:                              ;   in Loop: Header=BB269_9 Depth=1
	s_delay_alu instid0(VALU_DEP_3) | instskip(NEXT) | instid1(VALU_DEP_1)
	v_clz_i32_u32_e32 v10, v10
	v_min_u32_e32 v10, 32, v10
	s_delay_alu instid0(VALU_DEP_1) | instskip(NEXT) | instid1(VALU_DEP_1)
	v_subrev_nc_u32_e32 v72, 28, v10
	v_lshlrev_b64_e32 v[74:75], v72, v[2:3]
	v_sub_nc_u32_e32 v72, 29, v10
	s_delay_alu instid0(VALU_DEP_2)
	v_and_b32_e32 v10, 7, v74
; %bb.422:                              ;   in Loop: Header=BB269_9 Depth=1
	s_or_b32 exec_lo, exec_lo, s33
	v_lshlrev_b32_e32 v2, 8, v2
	s_delay_alu instid0(VALU_DEP_3) | instskip(NEXT) | instid1(VALU_DEP_3)
	v_lshl_add_u32 v72, v72, 10, 0x2000
	v_lshlrev_b32_e32 v10, 23, v10
	s_delay_alu instid0(VALU_DEP_2) | instskip(NEXT) | instid1(VALU_DEP_1)
	v_and_or_b32 v2, 0x8000, v2, v72
	v_lshl_or_b32 v72, v2, 16, v10
.LBB269_423:                            ;   in Loop: Header=BB269_9 Depth=1
	s_or_b32 exec_lo, exec_lo, s31
.LBB269_424:                            ;   in Loop: Header=BB269_9 Depth=1
	s_delay_alu instid0(SALU_CYCLE_1)
	s_or_b32 exec_lo, exec_lo, s30
.LBB269_425:                            ;   in Loop: Header=BB269_9 Depth=1
	s_delay_alu instid0(SALU_CYCLE_1)
	s_or_b32 exec_lo, exec_lo, s29
	global_load_b32 v10, v[8:9], off offset:1544
	v_dual_mov_b32 v74, 0 :: v_dual_mov_b32 v75, 0
	s_mov_b32 s29, exec_lo
	s_wait_loadcnt 0x0
	v_and_b32_e32 v2, 0xff, v10
	s_delay_alu instid0(VALU_DEP_1)
	v_cmpx_ne_u16_e32 0, v2
	s_cbranch_execz .LBB269_433
; %bb.426:                              ;   in Loop: Header=BB269_9 Depth=1
	v_mov_b32_e32 v75, 0x8000
	s_mov_b32 s30, exec_lo
	v_cmpx_ne_u16_e32 0x80, v2
	s_cbranch_execz .LBB269_432
; %bb.427:                              ;   in Loop: Header=BB269_9 Depth=1
	v_and_b32_e32 v76, 0x7f, v10
	v_mov_b32_e32 v75, 0x7c01
	s_mov_b32 s31, exec_lo
	s_delay_alu instid0(VALU_DEP_2)
	v_cmpx_ne_u32_e32 0x7f, v76
	s_cbranch_execz .LBB269_431
; %bb.428:                              ;   in Loop: Header=BB269_9 Depth=1
	v_dual_lshrrev_b32 v75, 3, v76 :: v_dual_bitop2_b32 v2, 7, v10 bitop3:0x40
	s_mov_b32 s33, exec_lo
	v_cmpx_gt_u32_e32 8, v76
; %bb.429:                              ;   in Loop: Header=BB269_9 Depth=1
	s_delay_alu instid0(VALU_DEP_2) | instskip(NEXT) | instid1(VALU_DEP_1)
	v_clz_i32_u32_e32 v2, v2
	v_min_u32_e32 v2, 32, v2
	s_delay_alu instid0(VALU_DEP_1) | instskip(NEXT) | instid1(VALU_DEP_1)
	v_subrev_nc_u32_e32 v75, 28, v2
	v_lshlrev_b64_e32 v[76:77], v75, v[10:11]
	s_delay_alu instid0(VALU_DEP_1)
	v_dual_sub_nc_u32 v75, 29, v2 :: v_dual_bitop2_b32 v2, 7, v76 bitop3:0x40
; %bb.430:                              ;   in Loop: Header=BB269_9 Depth=1
	s_or_b32 exec_lo, exec_lo, s33
	v_lshlrev_b32_e32 v76, 8, v10
	s_delay_alu instid0(VALU_DEP_2) | instskip(NEXT) | instid1(VALU_DEP_3)
	v_lshl_add_u32 v75, v75, 10, 0x2000
	v_lshlrev_b32_e32 v2, 7, v2
	s_delay_alu instid0(VALU_DEP_3) | instskip(NEXT) | instid1(VALU_DEP_3)
	v_and_b32_e32 v76, 0x8000, v76
	v_and_b32_e32 v75, 0xfc00, v75
	s_delay_alu instid0(VALU_DEP_1)
	v_or3_b32 v75, v76, v75, v2
.LBB269_431:                            ;   in Loop: Header=BB269_9 Depth=1
	s_or_b32 exec_lo, exec_lo, s31
.LBB269_432:                            ;   in Loop: Header=BB269_9 Depth=1
	s_delay_alu instid0(SALU_CYCLE_1)
	s_or_b32 exec_lo, exec_lo, s30
.LBB269_433:                            ;   in Loop: Header=BB269_9 Depth=1
	s_delay_alu instid0(SALU_CYCLE_1) | instskip(SKIP_2) | instid1(VALU_DEP_1)
	s_or_b32 exec_lo, exec_lo, s29
	v_lshrrev_b16 v2, 8, v10
	s_mov_b32 s29, exec_lo
	v_cmpx_ne_u16_e32 0, v2
	s_cbranch_execz .LBB269_441
; %bb.434:                              ;   in Loop: Header=BB269_9 Depth=1
	v_bfrev_b32_e32 v74, 1
	s_mov_b32 s30, exec_lo
	v_cmpx_ne_u16_e32 0x80, v2
	s_cbranch_execz .LBB269_440
; %bb.435:                              ;   in Loop: Header=BB269_9 Depth=1
	v_and_b32_e32 v76, 0xffff, v2
	v_mov_b32_e32 v74, 0x7c010000
	s_mov_b32 s31, exec_lo
	s_delay_alu instid0(VALU_DEP_2) | instskip(NEXT) | instid1(VALU_DEP_1)
	v_and_b32_e32 v78, 0x7f, v76
	v_cmpx_ne_u32_e32 0x7f, v78
	s_cbranch_execz .LBB269_439
; %bb.436:                              ;   in Loop: Header=BB269_9 Depth=1
	v_dual_lshrrev_b32 v77, 3, v78 :: v_dual_bitop2_b32 v74, 7, v76 bitop3:0x40
	s_mov_b32 s33, exec_lo
	v_cmpx_gt_u32_e32 8, v78
; %bb.437:                              ;   in Loop: Header=BB269_9 Depth=1
	s_delay_alu instid0(VALU_DEP_2) | instskip(NEXT) | instid1(VALU_DEP_1)
	v_clz_i32_u32_e32 v74, v74
	v_min_u32_e32 v74, 32, v74
	s_delay_alu instid0(VALU_DEP_1) | instskip(NEXT) | instid1(VALU_DEP_1)
	v_subrev_nc_u32_e32 v77, 28, v74
	v_lshlrev_b64_e32 v[78:79], v77, v[2:3]
	v_sub_nc_u32_e32 v77, 29, v74
	s_delay_alu instid0(VALU_DEP_2)
	v_and_b32_e32 v74, 7, v78
; %bb.438:                              ;   in Loop: Header=BB269_9 Depth=1
	s_or_b32 exec_lo, exec_lo, s33
	s_delay_alu instid0(VALU_DEP_1) | instskip(NEXT) | instid1(VALU_DEP_3)
	v_dual_lshlrev_b32 v2, 8, v76 :: v_dual_lshlrev_b32 v74, 23, v74
	v_lshl_add_u32 v76, v77, 10, 0x2000
	s_delay_alu instid0(VALU_DEP_1) | instskip(NEXT) | instid1(VALU_DEP_1)
	v_and_or_b32 v2, 0x8000, v2, v76
	v_lshl_or_b32 v74, v2, 16, v74
.LBB269_439:                            ;   in Loop: Header=BB269_9 Depth=1
	s_or_b32 exec_lo, exec_lo, s31
.LBB269_440:                            ;   in Loop: Header=BB269_9 Depth=1
	s_delay_alu instid0(SALU_CYCLE_1)
	s_or_b32 exec_lo, exec_lo, s30
.LBB269_441:                            ;   in Loop: Header=BB269_9 Depth=1
	s_delay_alu instid0(SALU_CYCLE_1) | instskip(SKIP_3) | instid1(VALU_DEP_2)
	s_or_b32 exec_lo, exec_lo, s29
	v_dual_lshrrev_b32 v2, 16, v10 :: v_dual_mov_b32 v76, 0
	v_mov_b32_e32 v77, 0
	s_mov_b32 s29, exec_lo
	v_and_b32_e32 v78, 0xff, v2
	s_delay_alu instid0(VALU_DEP_1)
	v_cmpx_ne_u16_e32 0, v78
	s_cbranch_execz .LBB269_449
; %bb.442:                              ;   in Loop: Header=BB269_9 Depth=1
	v_mov_b32_e32 v77, 0x8000
	s_mov_b32 s30, exec_lo
	v_cmpx_ne_u16_e32 0x80, v78
	s_cbranch_execz .LBB269_448
; %bb.443:                              ;   in Loop: Header=BB269_9 Depth=1
	v_bfe_u32 v79, v10, 16, 7
	v_mov_b32_e32 v77, 0x7c01
	s_mov_b32 s31, exec_lo
	s_delay_alu instid0(VALU_DEP_2)
	v_cmpx_ne_u32_e32 0x7f, v79
	s_cbranch_execz .LBB269_447
; %bb.444:                              ;   in Loop: Header=BB269_9 Depth=1
	v_dual_lshrrev_b32 v78, 3, v79 :: v_dual_bitop2_b32 v77, 7, v2 bitop3:0x40
	s_mov_b32 s33, exec_lo
	v_cmpx_gt_u32_e32 8, v79
; %bb.445:                              ;   in Loop: Header=BB269_9 Depth=1
	s_delay_alu instid0(VALU_DEP_2) | instskip(NEXT) | instid1(VALU_DEP_1)
	v_clz_i32_u32_e32 v77, v77
	v_min_u32_e32 v77, 32, v77
	s_delay_alu instid0(VALU_DEP_1) | instskip(NEXT) | instid1(VALU_DEP_1)
	v_subrev_nc_u32_e32 v78, 28, v77
	v_lshlrev_b64_e32 v[80:81], v78, v[2:3]
	s_delay_alu instid0(VALU_DEP_1)
	v_dual_sub_nc_u32 v78, 29, v77 :: v_dual_bitop2_b32 v77, 7, v80 bitop3:0x40
; %bb.446:                              ;   in Loop: Header=BB269_9 Depth=1
	s_or_b32 exec_lo, exec_lo, s33
	s_delay_alu instid0(VALU_DEP_1) | instskip(NEXT) | instid1(VALU_DEP_2)
	v_dual_lshlrev_b32 v2, 8, v2 :: v_dual_lshlrev_b32 v77, 7, v77
	v_lshl_add_u32 v78, v78, 10, 0x2000
	s_delay_alu instid0(VALU_DEP_2) | instskip(NEXT) | instid1(VALU_DEP_2)
	v_and_b32_e32 v2, 0x8000, v2
	v_and_b32_e32 v78, 0xfc00, v78
	s_delay_alu instid0(VALU_DEP_1)
	v_or3_b32 v77, v2, v78, v77
.LBB269_447:                            ;   in Loop: Header=BB269_9 Depth=1
	s_or_b32 exec_lo, exec_lo, s31
.LBB269_448:                            ;   in Loop: Header=BB269_9 Depth=1
	s_delay_alu instid0(SALU_CYCLE_1)
	s_or_b32 exec_lo, exec_lo, s30
.LBB269_449:                            ;   in Loop: Header=BB269_9 Depth=1
	s_delay_alu instid0(SALU_CYCLE_1) | instskip(NEXT) | instid1(SALU_CYCLE_1)
	s_or_b32 exec_lo, exec_lo, s29
	s_mov_b32 s29, exec_lo
	v_cmpx_lt_u32_e32 0xffffff, v10
	s_cbranch_execz .LBB269_457
; %bb.450:                              ;   in Loop: Header=BB269_9 Depth=1
	v_lshrrev_b32_e32 v2, 24, v10
	v_bfrev_b32_e32 v76, 1
	s_mov_b32 s30, exec_lo
	s_delay_alu instid0(VALU_DEP_2)
	v_cmpx_ne_u32_e32 0x80, v2
	s_cbranch_execz .LBB269_456
; %bb.451:                              ;   in Loop: Header=BB269_9 Depth=1
	v_and_b32_e32 v78, 0x7f, v2
	v_mov_b32_e32 v76, 0x7c010000
	s_mov_b32 s31, exec_lo
	s_delay_alu instid0(VALU_DEP_2)
	v_cmpx_ne_u32_e32 0x7f, v78
	s_cbranch_execz .LBB269_455
; %bb.452:                              ;   in Loop: Header=BB269_9 Depth=1
	v_and_b32_e32 v10, 7, v2
	v_lshrrev_b32_e32 v76, 3, v78
	s_mov_b32 s33, exec_lo
	v_cmpx_gt_u32_e32 8, v78
; %bb.453:                              ;   in Loop: Header=BB269_9 Depth=1
	s_delay_alu instid0(VALU_DEP_3) | instskip(NEXT) | instid1(VALU_DEP_1)
	v_clz_i32_u32_e32 v10, v10
	v_min_u32_e32 v10, 32, v10
	s_delay_alu instid0(VALU_DEP_1) | instskip(NEXT) | instid1(VALU_DEP_1)
	v_subrev_nc_u32_e32 v76, 28, v10
	v_lshlrev_b64_e32 v[78:79], v76, v[2:3]
	v_sub_nc_u32_e32 v76, 29, v10
	s_delay_alu instid0(VALU_DEP_2)
	v_and_b32_e32 v10, 7, v78
; %bb.454:                              ;   in Loop: Header=BB269_9 Depth=1
	s_or_b32 exec_lo, exec_lo, s33
	v_lshlrev_b32_e32 v2, 8, v2
	s_delay_alu instid0(VALU_DEP_3) | instskip(NEXT) | instid1(VALU_DEP_3)
	v_lshl_add_u32 v76, v76, 10, 0x2000
	v_lshlrev_b32_e32 v10, 23, v10
	s_delay_alu instid0(VALU_DEP_2) | instskip(NEXT) | instid1(VALU_DEP_1)
	v_and_or_b32 v2, 0x8000, v2, v76
	v_lshl_or_b32 v76, v2, 16, v10
.LBB269_455:                            ;   in Loop: Header=BB269_9 Depth=1
	s_or_b32 exec_lo, exec_lo, s31
.LBB269_456:                            ;   in Loop: Header=BB269_9 Depth=1
	s_delay_alu instid0(SALU_CYCLE_1)
	s_or_b32 exec_lo, exec_lo, s30
.LBB269_457:                            ;   in Loop: Header=BB269_9 Depth=1
	s_delay_alu instid0(SALU_CYCLE_1)
	s_or_b32 exec_lo, exec_lo, s29
	global_load_b32 v10, v[8:9], off offset:1792
	v_dual_mov_b32 v78, 0 :: v_dual_mov_b32 v79, 0
	s_mov_b32 s29, exec_lo
	s_wait_loadcnt 0x0
	v_and_b32_e32 v2, 0xff, v10
	s_delay_alu instid0(VALU_DEP_1)
	v_cmpx_ne_u16_e32 0, v2
	s_cbranch_execz .LBB269_465
; %bb.458:                              ;   in Loop: Header=BB269_9 Depth=1
	v_mov_b32_e32 v79, 0x8000
	s_mov_b32 s30, exec_lo
	v_cmpx_ne_u16_e32 0x80, v2
	s_cbranch_execz .LBB269_464
; %bb.459:                              ;   in Loop: Header=BB269_9 Depth=1
	v_and_b32_e32 v80, 0x7f, v10
	v_mov_b32_e32 v79, 0x7c01
	s_mov_b32 s31, exec_lo
	s_delay_alu instid0(VALU_DEP_2)
	v_cmpx_ne_u32_e32 0x7f, v80
	s_cbranch_execz .LBB269_463
; %bb.460:                              ;   in Loop: Header=BB269_9 Depth=1
	v_dual_lshrrev_b32 v79, 3, v80 :: v_dual_bitop2_b32 v2, 7, v10 bitop3:0x40
	s_mov_b32 s33, exec_lo
	v_cmpx_gt_u32_e32 8, v80
; %bb.461:                              ;   in Loop: Header=BB269_9 Depth=1
	s_delay_alu instid0(VALU_DEP_2) | instskip(NEXT) | instid1(VALU_DEP_1)
	v_clz_i32_u32_e32 v2, v2
	v_min_u32_e32 v2, 32, v2
	s_delay_alu instid0(VALU_DEP_1) | instskip(NEXT) | instid1(VALU_DEP_1)
	v_subrev_nc_u32_e32 v79, 28, v2
	v_lshlrev_b64_e32 v[80:81], v79, v[10:11]
	s_delay_alu instid0(VALU_DEP_1)
	v_dual_sub_nc_u32 v79, 29, v2 :: v_dual_bitop2_b32 v2, 7, v80 bitop3:0x40
; %bb.462:                              ;   in Loop: Header=BB269_9 Depth=1
	s_or_b32 exec_lo, exec_lo, s33
	v_lshlrev_b32_e32 v80, 8, v10
	s_delay_alu instid0(VALU_DEP_2) | instskip(NEXT) | instid1(VALU_DEP_3)
	v_lshl_add_u32 v79, v79, 10, 0x2000
	v_lshlrev_b32_e32 v2, 7, v2
	s_delay_alu instid0(VALU_DEP_3) | instskip(NEXT) | instid1(VALU_DEP_3)
	v_and_b32_e32 v80, 0x8000, v80
	v_and_b32_e32 v79, 0xfc00, v79
	s_delay_alu instid0(VALU_DEP_1)
	v_or3_b32 v79, v80, v79, v2
.LBB269_463:                            ;   in Loop: Header=BB269_9 Depth=1
	s_or_b32 exec_lo, exec_lo, s31
.LBB269_464:                            ;   in Loop: Header=BB269_9 Depth=1
	s_delay_alu instid0(SALU_CYCLE_1)
	s_or_b32 exec_lo, exec_lo, s30
.LBB269_465:                            ;   in Loop: Header=BB269_9 Depth=1
	s_delay_alu instid0(SALU_CYCLE_1) | instskip(SKIP_2) | instid1(VALU_DEP_1)
	s_or_b32 exec_lo, exec_lo, s29
	v_lshrrev_b16 v2, 8, v10
	s_mov_b32 s29, exec_lo
	v_cmpx_ne_u16_e32 0, v2
	s_cbranch_execz .LBB269_473
; %bb.466:                              ;   in Loop: Header=BB269_9 Depth=1
	v_bfrev_b32_e32 v78, 1
	s_mov_b32 s30, exec_lo
	v_cmpx_ne_u16_e32 0x80, v2
	s_cbranch_execz .LBB269_472
; %bb.467:                              ;   in Loop: Header=BB269_9 Depth=1
	v_and_b32_e32 v80, 0xffff, v2
	v_mov_b32_e32 v78, 0x7c010000
	s_mov_b32 s31, exec_lo
	s_delay_alu instid0(VALU_DEP_2) | instskip(NEXT) | instid1(VALU_DEP_1)
	v_and_b32_e32 v82, 0x7f, v80
	v_cmpx_ne_u32_e32 0x7f, v82
	s_cbranch_execz .LBB269_471
; %bb.468:                              ;   in Loop: Header=BB269_9 Depth=1
	v_dual_lshrrev_b32 v81, 3, v82 :: v_dual_bitop2_b32 v78, 7, v80 bitop3:0x40
	s_mov_b32 s33, exec_lo
	v_cmpx_gt_u32_e32 8, v82
; %bb.469:                              ;   in Loop: Header=BB269_9 Depth=1
	s_delay_alu instid0(VALU_DEP_2) | instskip(NEXT) | instid1(VALU_DEP_1)
	v_clz_i32_u32_e32 v78, v78
	v_min_u32_e32 v78, 32, v78
	s_delay_alu instid0(VALU_DEP_1) | instskip(NEXT) | instid1(VALU_DEP_1)
	v_subrev_nc_u32_e32 v81, 28, v78
	v_lshlrev_b64_e32 v[82:83], v81, v[2:3]
	v_sub_nc_u32_e32 v81, 29, v78
	s_delay_alu instid0(VALU_DEP_2)
	v_and_b32_e32 v78, 7, v82
; %bb.470:                              ;   in Loop: Header=BB269_9 Depth=1
	s_or_b32 exec_lo, exec_lo, s33
	s_delay_alu instid0(VALU_DEP_1) | instskip(NEXT) | instid1(VALU_DEP_3)
	v_dual_lshlrev_b32 v2, 8, v80 :: v_dual_lshlrev_b32 v78, 23, v78
	v_lshl_add_u32 v80, v81, 10, 0x2000
	s_delay_alu instid0(VALU_DEP_1) | instskip(NEXT) | instid1(VALU_DEP_1)
	v_and_or_b32 v2, 0x8000, v2, v80
	v_lshl_or_b32 v78, v2, 16, v78
.LBB269_471:                            ;   in Loop: Header=BB269_9 Depth=1
	s_or_b32 exec_lo, exec_lo, s31
.LBB269_472:                            ;   in Loop: Header=BB269_9 Depth=1
	s_delay_alu instid0(SALU_CYCLE_1)
	s_or_b32 exec_lo, exec_lo, s30
.LBB269_473:                            ;   in Loop: Header=BB269_9 Depth=1
	s_delay_alu instid0(SALU_CYCLE_1) | instskip(SKIP_3) | instid1(VALU_DEP_2)
	s_or_b32 exec_lo, exec_lo, s29
	v_dual_lshrrev_b32 v2, 16, v10 :: v_dual_mov_b32 v80, 0
	v_mov_b32_e32 v81, 0
	s_mov_b32 s29, exec_lo
	v_and_b32_e32 v82, 0xff, v2
	s_delay_alu instid0(VALU_DEP_1)
	v_cmpx_ne_u16_e32 0, v82
	s_cbranch_execz .LBB269_481
; %bb.474:                              ;   in Loop: Header=BB269_9 Depth=1
	v_mov_b32_e32 v81, 0x8000
	s_mov_b32 s30, exec_lo
	v_cmpx_ne_u16_e32 0x80, v82
	s_cbranch_execz .LBB269_480
; %bb.475:                              ;   in Loop: Header=BB269_9 Depth=1
	v_bfe_u32 v83, v10, 16, 7
	v_mov_b32_e32 v81, 0x7c01
	s_mov_b32 s31, exec_lo
	s_delay_alu instid0(VALU_DEP_2)
	v_cmpx_ne_u32_e32 0x7f, v83
	s_cbranch_execz .LBB269_479
; %bb.476:                              ;   in Loop: Header=BB269_9 Depth=1
	v_dual_lshrrev_b32 v82, 3, v83 :: v_dual_bitop2_b32 v81, 7, v2 bitop3:0x40
	s_mov_b32 s33, exec_lo
	v_cmpx_gt_u32_e32 8, v83
; %bb.477:                              ;   in Loop: Header=BB269_9 Depth=1
	s_delay_alu instid0(VALU_DEP_2) | instskip(NEXT) | instid1(VALU_DEP_1)
	v_clz_i32_u32_e32 v81, v81
	v_min_u32_e32 v81, 32, v81
	s_delay_alu instid0(VALU_DEP_1) | instskip(NEXT) | instid1(VALU_DEP_1)
	v_subrev_nc_u32_e32 v82, 28, v81
	v_lshlrev_b64_e32 v[84:85], v82, v[2:3]
	s_delay_alu instid0(VALU_DEP_1)
	v_dual_sub_nc_u32 v82, 29, v81 :: v_dual_bitop2_b32 v81, 7, v84 bitop3:0x40
; %bb.478:                              ;   in Loop: Header=BB269_9 Depth=1
	s_or_b32 exec_lo, exec_lo, s33
	s_delay_alu instid0(VALU_DEP_1) | instskip(NEXT) | instid1(VALU_DEP_2)
	v_dual_lshlrev_b32 v2, 8, v2 :: v_dual_lshlrev_b32 v81, 7, v81
	v_lshl_add_u32 v82, v82, 10, 0x2000
	s_delay_alu instid0(VALU_DEP_2) | instskip(NEXT) | instid1(VALU_DEP_2)
	v_and_b32_e32 v2, 0x8000, v2
	v_and_b32_e32 v82, 0xfc00, v82
	s_delay_alu instid0(VALU_DEP_1)
	v_or3_b32 v81, v2, v82, v81
.LBB269_479:                            ;   in Loop: Header=BB269_9 Depth=1
	s_or_b32 exec_lo, exec_lo, s31
.LBB269_480:                            ;   in Loop: Header=BB269_9 Depth=1
	s_delay_alu instid0(SALU_CYCLE_1)
	s_or_b32 exec_lo, exec_lo, s30
.LBB269_481:                            ;   in Loop: Header=BB269_9 Depth=1
	s_delay_alu instid0(SALU_CYCLE_1) | instskip(NEXT) | instid1(SALU_CYCLE_1)
	s_or_b32 exec_lo, exec_lo, s29
	s_mov_b32 s29, exec_lo
	v_cmpx_lt_u32_e32 0xffffff, v10
	s_cbranch_execz .LBB269_489
; %bb.482:                              ;   in Loop: Header=BB269_9 Depth=1
	v_lshrrev_b32_e32 v2, 24, v10
	v_bfrev_b32_e32 v80, 1
	s_mov_b32 s30, exec_lo
	s_delay_alu instid0(VALU_DEP_2)
	v_cmpx_ne_u32_e32 0x80, v2
	s_cbranch_execz .LBB269_488
; %bb.483:                              ;   in Loop: Header=BB269_9 Depth=1
	v_and_b32_e32 v82, 0x7f, v2
	v_mov_b32_e32 v80, 0x7c010000
	s_mov_b32 s31, exec_lo
	s_delay_alu instid0(VALU_DEP_2)
	v_cmpx_ne_u32_e32 0x7f, v82
	s_cbranch_execz .LBB269_487
; %bb.484:                              ;   in Loop: Header=BB269_9 Depth=1
	v_and_b32_e32 v10, 7, v2
	v_lshrrev_b32_e32 v80, 3, v82
	s_mov_b32 s33, exec_lo
	v_cmpx_gt_u32_e32 8, v82
; %bb.485:                              ;   in Loop: Header=BB269_9 Depth=1
	s_delay_alu instid0(VALU_DEP_3) | instskip(NEXT) | instid1(VALU_DEP_1)
	v_clz_i32_u32_e32 v10, v10
	v_min_u32_e32 v10, 32, v10
	s_delay_alu instid0(VALU_DEP_1) | instskip(NEXT) | instid1(VALU_DEP_1)
	v_subrev_nc_u32_e32 v80, 28, v10
	v_lshlrev_b64_e32 v[82:83], v80, v[2:3]
	v_sub_nc_u32_e32 v80, 29, v10
	s_delay_alu instid0(VALU_DEP_2)
	v_and_b32_e32 v10, 7, v82
; %bb.486:                              ;   in Loop: Header=BB269_9 Depth=1
	s_or_b32 exec_lo, exec_lo, s33
	v_lshlrev_b32_e32 v2, 8, v2
	s_delay_alu instid0(VALU_DEP_3) | instskip(NEXT) | instid1(VALU_DEP_3)
	v_lshl_add_u32 v80, v80, 10, 0x2000
	v_lshlrev_b32_e32 v10, 23, v10
	s_delay_alu instid0(VALU_DEP_2) | instskip(NEXT) | instid1(VALU_DEP_1)
	v_and_or_b32 v2, 0x8000, v2, v80
	v_lshl_or_b32 v80, v2, 16, v10
.LBB269_487:                            ;   in Loop: Header=BB269_9 Depth=1
	s_or_b32 exec_lo, exec_lo, s31
.LBB269_488:                            ;   in Loop: Header=BB269_9 Depth=1
	s_delay_alu instid0(SALU_CYCLE_1)
	s_or_b32 exec_lo, exec_lo, s30
.LBB269_489:                            ;   in Loop: Header=BB269_9 Depth=1
	s_delay_alu instid0(SALU_CYCLE_1)
	s_or_b32 exec_lo, exec_lo, s29
	global_load_b32 v8, v[8:9], off offset:1800
	v_dual_mov_b32 v10, 0 :: v_dual_mov_b32 v82, 0
	s_mov_b32 s29, exec_lo
	s_wait_loadcnt 0x0
	v_and_b32_e32 v2, 0xff, v8
	s_delay_alu instid0(VALU_DEP_1)
	v_cmpx_ne_u16_e32 0, v2
	s_cbranch_execz .LBB269_497
; %bb.490:                              ;   in Loop: Header=BB269_9 Depth=1
	v_mov_b32_e32 v82, 0x8000
	s_mov_b32 s30, exec_lo
	v_cmpx_ne_u16_e32 0x80, v2
	s_cbranch_execz .LBB269_496
; %bb.491:                              ;   in Loop: Header=BB269_9 Depth=1
	v_and_b32_e32 v83, 0x7f, v8
	v_mov_b32_e32 v82, 0x7c01
	s_mov_b32 s31, exec_lo
	s_delay_alu instid0(VALU_DEP_2)
	v_cmpx_ne_u32_e32 0x7f, v83
	s_cbranch_execz .LBB269_495
; %bb.492:                              ;   in Loop: Header=BB269_9 Depth=1
	v_dual_lshrrev_b32 v9, 3, v83 :: v_dual_bitop2_b32 v2, 7, v8 bitop3:0x40
	s_mov_b32 s33, exec_lo
	v_cmpx_gt_u32_e32 8, v83
; %bb.493:                              ;   in Loop: Header=BB269_9 Depth=1
	s_delay_alu instid0(VALU_DEP_2) | instskip(NEXT) | instid1(VALU_DEP_1)
	v_clz_i32_u32_e32 v2, v2
	v_min_u32_e32 v2, 32, v2
	s_delay_alu instid0(VALU_DEP_1) | instskip(NEXT) | instid1(VALU_DEP_1)
	v_subrev_nc_u32_e32 v9, 28, v2
	v_lshlrev_b64_e32 v[82:83], v9, v[8:9]
	v_sub_nc_u32_e32 v9, 29, v2
	s_delay_alu instid0(VALU_DEP_2)
	v_and_b32_e32 v2, 7, v82
; %bb.494:                              ;   in Loop: Header=BB269_9 Depth=1
	s_or_b32 exec_lo, exec_lo, s33
	s_delay_alu instid0(VALU_DEP_1) | instskip(NEXT) | instid1(VALU_DEP_3)
	v_dual_lshlrev_b32 v82, 8, v8 :: v_dual_lshlrev_b32 v2, 7, v2
	v_lshl_add_u32 v9, v9, 10, 0x2000
	s_delay_alu instid0(VALU_DEP_2) | instskip(NEXT) | instid1(VALU_DEP_2)
	v_and_b32_e32 v82, 0x8000, v82
	v_and_b32_e32 v9, 0xfc00, v9
	s_delay_alu instid0(VALU_DEP_1)
	v_or3_b32 v82, v82, v9, v2
.LBB269_495:                            ;   in Loop: Header=BB269_9 Depth=1
	s_or_b32 exec_lo, exec_lo, s31
.LBB269_496:                            ;   in Loop: Header=BB269_9 Depth=1
	s_delay_alu instid0(SALU_CYCLE_1)
	s_or_b32 exec_lo, exec_lo, s30
.LBB269_497:                            ;   in Loop: Header=BB269_9 Depth=1
	s_delay_alu instid0(SALU_CYCLE_1) | instskip(SKIP_2) | instid1(VALU_DEP_1)
	s_or_b32 exec_lo, exec_lo, s29
	v_lshrrev_b16 v2, 8, v8
	s_mov_b32 s29, exec_lo
	v_cmpx_ne_u16_e32 0, v2
	s_cbranch_execz .LBB269_505
; %bb.498:                              ;   in Loop: Header=BB269_9 Depth=1
	v_bfrev_b32_e32 v10, 1
	s_mov_b32 s30, exec_lo
	v_cmpx_ne_u16_e32 0x80, v2
	s_cbranch_execz .LBB269_504
; %bb.499:                              ;   in Loop: Header=BB269_9 Depth=1
	v_and_b32_e32 v9, 0xffff, v2
	v_mov_b32_e32 v10, 0x7c010000
	s_mov_b32 s31, exec_lo
	s_delay_alu instid0(VALU_DEP_2) | instskip(NEXT) | instid1(VALU_DEP_1)
	v_and_b32_e32 v84, 0x7f, v9
	v_cmpx_ne_u32_e32 0x7f, v84
	s_cbranch_execz .LBB269_503
; %bb.500:                              ;   in Loop: Header=BB269_9 Depth=1
	v_dual_lshrrev_b32 v83, 3, v84 :: v_dual_bitop2_b32 v10, 7, v9 bitop3:0x40
	s_mov_b32 s33, exec_lo
	v_cmpx_gt_u32_e32 8, v84
; %bb.501:                              ;   in Loop: Header=BB269_9 Depth=1
	s_delay_alu instid0(VALU_DEP_2) | instskip(NEXT) | instid1(VALU_DEP_1)
	v_clz_i32_u32_e32 v10, v10
	v_min_u32_e32 v10, 32, v10
	s_delay_alu instid0(VALU_DEP_1) | instskip(NEXT) | instid1(VALU_DEP_1)
	v_subrev_nc_u32_e32 v83, 28, v10
	v_lshlrev_b64_e32 v[84:85], v83, v[2:3]
	s_delay_alu instid0(VALU_DEP_1)
	v_dual_sub_nc_u32 v83, 29, v10 :: v_dual_bitop2_b32 v10, 7, v84 bitop3:0x40
; %bb.502:                              ;   in Loop: Header=BB269_9 Depth=1
	s_or_b32 exec_lo, exec_lo, s33
	v_lshlrev_b32_e32 v2, 8, v9
	s_delay_alu instid0(VALU_DEP_2) | instskip(NEXT) | instid1(VALU_DEP_1)
	v_lshl_add_u32 v9, v83, 10, 0x2000
	v_and_or_b32 v2, 0x8000, v2, v9
	v_lshlrev_b32_e32 v9, 23, v10
	s_delay_alu instid0(VALU_DEP_1)
	v_lshl_or_b32 v10, v2, 16, v9
.LBB269_503:                            ;   in Loop: Header=BB269_9 Depth=1
	s_or_b32 exec_lo, exec_lo, s31
.LBB269_504:                            ;   in Loop: Header=BB269_9 Depth=1
	s_delay_alu instid0(SALU_CYCLE_1)
	s_or_b32 exec_lo, exec_lo, s30
.LBB269_505:                            ;   in Loop: Header=BB269_9 Depth=1
	s_delay_alu instid0(SALU_CYCLE_1) | instskip(SKIP_3) | instid1(VALU_DEP_2)
	s_or_b32 exec_lo, exec_lo, s29
	v_dual_mov_b32 v83, 0 :: v_dual_lshrrev_b32 v2, 16, v8
	v_mov_b32_e32 v84, 0
	s_mov_b32 s29, exec_lo
	v_and_b32_e32 v9, 0xff, v2
	s_delay_alu instid0(VALU_DEP_1)
	v_cmpx_ne_u16_e32 0, v9
	s_cbranch_execz .LBB269_513
; %bb.506:                              ;   in Loop: Header=BB269_9 Depth=1
	v_mov_b32_e32 v84, 0x8000
	s_mov_b32 s30, exec_lo
	v_cmpx_ne_u16_e32 0x80, v9
	s_cbranch_execz .LBB269_512
; %bb.507:                              ;   in Loop: Header=BB269_9 Depth=1
	v_bfe_u32 v85, v8, 16, 7
	v_mov_b32_e32 v84, 0x7c01
	s_mov_b32 s31, exec_lo
	s_delay_alu instid0(VALU_DEP_2)
	v_cmpx_ne_u32_e32 0x7f, v85
	s_cbranch_execz .LBB269_511
; %bb.508:                              ;   in Loop: Header=BB269_9 Depth=1
	v_dual_lshrrev_b32 v84, 3, v85 :: v_dual_bitop2_b32 v9, 7, v2 bitop3:0x40
	s_mov_b32 s33, exec_lo
	v_cmpx_gt_u32_e32 8, v85
; %bb.509:                              ;   in Loop: Header=BB269_9 Depth=1
	s_delay_alu instid0(VALU_DEP_2) | instskip(NEXT) | instid1(VALU_DEP_1)
	v_clz_i32_u32_e32 v9, v9
	v_min_u32_e32 v9, 32, v9
	s_delay_alu instid0(VALU_DEP_1) | instskip(NEXT) | instid1(VALU_DEP_1)
	v_subrev_nc_u32_e32 v84, 28, v9
	v_lshlrev_b64_e32 v[86:87], v84, v[2:3]
	s_delay_alu instid0(VALU_DEP_1)
	v_dual_sub_nc_u32 v84, 29, v9 :: v_dual_bitop2_b32 v9, 7, v86 bitop3:0x40
; %bb.510:                              ;   in Loop: Header=BB269_9 Depth=1
	s_or_b32 exec_lo, exec_lo, s33
	s_delay_alu instid0(VALU_DEP_1) | instskip(NEXT) | instid1(VALU_DEP_2)
	v_dual_lshlrev_b32 v2, 8, v2 :: v_dual_lshlrev_b32 v9, 7, v9
	v_lshl_add_u32 v84, v84, 10, 0x2000
	s_delay_alu instid0(VALU_DEP_2) | instskip(NEXT) | instid1(VALU_DEP_2)
	v_and_b32_e32 v2, 0x8000, v2
	v_and_b32_e32 v84, 0xfc00, v84
	s_delay_alu instid0(VALU_DEP_1)
	v_or3_b32 v84, v2, v84, v9
.LBB269_511:                            ;   in Loop: Header=BB269_9 Depth=1
	s_or_b32 exec_lo, exec_lo, s31
.LBB269_512:                            ;   in Loop: Header=BB269_9 Depth=1
	s_delay_alu instid0(SALU_CYCLE_1)
	s_or_b32 exec_lo, exec_lo, s30
.LBB269_513:                            ;   in Loop: Header=BB269_9 Depth=1
	s_delay_alu instid0(SALU_CYCLE_1) | instskip(NEXT) | instid1(SALU_CYCLE_1)
	s_or_b32 exec_lo, exec_lo, s29
	s_mov_b32 s29, exec_lo
	v_cmpx_lt_u32_e32 0xffffff, v8
	s_cbranch_execz .LBB269_521
; %bb.514:                              ;   in Loop: Header=BB269_9 Depth=1
	v_lshrrev_b32_e32 v2, 24, v8
	v_bfrev_b32_e32 v83, 1
	s_mov_b32 s30, exec_lo
	s_delay_alu instid0(VALU_DEP_2)
	v_cmpx_ne_u32_e32 0x80, v2
	s_cbranch_execz .LBB269_520
; %bb.515:                              ;   in Loop: Header=BB269_9 Depth=1
	v_and_b32_e32 v85, 0x7f, v2
	v_mov_b32_e32 v83, 0x7c010000
	s_mov_b32 s31, exec_lo
	s_delay_alu instid0(VALU_DEP_2)
	v_cmpx_ne_u32_e32 0x7f, v85
	s_cbranch_execz .LBB269_519
; %bb.516:                              ;   in Loop: Header=BB269_9 Depth=1
	v_dual_lshrrev_b32 v9, 3, v85 :: v_dual_bitop2_b32 v8, 7, v2 bitop3:0x40
	s_mov_b32 s33, exec_lo
	v_cmpx_gt_u32_e32 8, v85
; %bb.517:                              ;   in Loop: Header=BB269_9 Depth=1
	s_delay_alu instid0(VALU_DEP_2) | instskip(NEXT) | instid1(VALU_DEP_1)
	v_clz_i32_u32_e32 v8, v8
	v_min_u32_e32 v83, 32, v8
	s_delay_alu instid0(VALU_DEP_1) | instskip(NEXT) | instid1(VALU_DEP_1)
	v_subrev_nc_u32_e32 v8, 28, v83
	v_lshlrev_b64_e32 v[8:9], v8, v[2:3]
	s_delay_alu instid0(VALU_DEP_1)
	v_dual_sub_nc_u32 v9, 29, v83 :: v_dual_bitop2_b32 v8, 7, v8 bitop3:0x40
; %bb.518:                              ;   in Loop: Header=BB269_9 Depth=1
	s_or_b32 exec_lo, exec_lo, s33
	s_delay_alu instid0(VALU_DEP_1) | instskip(NEXT) | instid1(VALU_DEP_2)
	v_dual_lshlrev_b32 v2, 8, v2 :: v_dual_lshlrev_b32 v8, 23, v8
	v_lshl_add_u32 v9, v9, 10, 0x2000
	s_delay_alu instid0(VALU_DEP_1) | instskip(NEXT) | instid1(VALU_DEP_1)
	v_and_or_b32 v2, 0x8000, v2, v9
	v_lshl_or_b32 v83, v2, 16, v8
.LBB269_519:                            ;   in Loop: Header=BB269_9 Depth=1
	s_or_b32 exec_lo, exec_lo, s31
.LBB269_520:                            ;   in Loop: Header=BB269_9 Depth=1
	s_delay_alu instid0(SALU_CYCLE_1)
	s_or_b32 exec_lo, exec_lo, s30
.LBB269_521:                            ;   in Loop: Header=BB269_9 Depth=1
	s_delay_alu instid0(SALU_CYCLE_1)
	s_or_b32 exec_lo, exec_lo, s29
	ds_load_b64 v[8:9], v14
	v_or_b32_e32 v2, v19, v20
	v_or_b32_e32 v20, v21, v22
	v_fma_mixlo_f16 v21, v18, v21, 0 op_sel:[0,1,0] op_sel_hi:[0,1,0]
	v_fma_mixlo_f16 v19, v18, v19, 0 op_sel:[0,1,0] op_sel_hi:[0,1,0]
	v_or_b32_e32 v37, v36, v37
	v_fma_mixlo_f16 v36, v18, v36, 0 op_sel:[0,1,0] op_sel_hi:[0,1,0]
	v_or_b32_e32 v45, v44, v45
	v_and_b32_e32 v87, 0xffff, v21
	v_and_b32_e32 v19, 0xffff, v19
	v_fma_mixlo_f16 v37, v18, v37, 0 op_sel_hi:[0,1,0]
	v_and_b32_e32 v92, 0xffff, v36
	v_fma_mixlo_f16 v44, v18, v44, 0 op_sel:[0,1,0] op_sel_hi:[0,1,0]
	v_fma_mixlo_f16 v45, v18, v45, 0 op_sel_hi:[0,1,0]
	v_or_b32_e32 v49, v48, v49
	v_and_b32_e32 v91, 0xffff, v37
	v_fma_mixlo_f16 v48, v18, v48, 0 op_sel:[0,1,0] op_sel_hi:[0,1,0]
	v_and_b32_e32 v107, 0xffff, v44
	v_and_b32_e32 v106, 0xffff, v45
	v_fma_mixlo_f16 v49, v18, v49, 0 op_sel_hi:[0,1,0]
	s_wait_dscnt 0x0
	v_and_b32_e32 v21, 0xffff, v8
	v_lshrrev_b32_e32 v8, 16, v8
	v_fma_mixlo_f16 v20, v18, v20, 0 op_sel_hi:[0,1,0]
	v_lshrrev_b32_e32 v86, 16, v9
	v_fma_mixlo_f16 v2, v18, v2, 0 op_sel_hi:[0,1,0]
	v_and_b32_e32 v9, 0xffff, v9
	;;#ASMSTART
	v_cvt_f32_f16 v93, v21;
	;;#ASMEND
	v_and_b32_e32 v20, 0xffff, v20
	;;#ASMSTART
	v_cvt_f32_f16 v21, v8;
	;;#ASMEND
	;; [unrolled: 4-line block ×3, first 2 shown]
	;;#ASMSTART
	v_cvt_f32_f16 v85, v19;
	;;#ASMEND
	;;#ASMSTART
	v_cvt_f32_f16 v22, v9;
	;;#ASMEND
	;; [unrolled: 3-line block ×5, first 2 shown]
	ds_load_b64 v[8:9], v14 offset:8
	v_or_b32_e32 v2, v23, v24
	v_or_b32_e32 v24, v25, v26
	v_fma_mixlo_f16 v23, v18, v23, 0 op_sel:[0,1,0] op_sel_hi:[0,1,0]
	v_fma_mixlo_f16 v25, v18, v25, 0 op_sel:[0,1,0] op_sel_hi:[0,1,0]
	v_and_b32_e32 v109, 0xffff, v48
	v_and_b32_e32 v112, 0xffff, v49
	v_or_b32_e32 v53, v52, v53
	v_and_b32_e32 v23, 0xffff, v23
	v_and_b32_e32 v25, 0xffff, v25
	v_fma_mixlo_f16 v52, v18, v52, 0 op_sel:[0,1,0] op_sel_hi:[0,1,0]
	v_or_b32_e32 v57, v56, v57
	v_fma_mixlo_f16 v53, v18, v53, 0 op_sel_hi:[0,1,0]
	v_fma_mixlo_f16 v56, v18, v56, 0 op_sel:[0,1,0] op_sel_hi:[0,1,0]
	v_or_b32_e32 v35, v34, v35
	v_fma_mixlo_f16 v34, v18, v34, 0 op_sel:[0,1,0] op_sel_hi:[0,1,0]
	v_and_b32_e32 v115, 0xffff, v52
	v_and_b32_e32 v114, 0xffff, v53
	v_fma_mixlo_f16 v57, v18, v57, 0 op_sel_hi:[0,1,0]
	v_and_b32_e32 v119, 0xffff, v56
	s_wait_dscnt 0x0
	v_lshrrev_b32_e32 v87, 16, v9
	v_fma_mixlo_f16 v2, v18, v2, 0 op_sel_hi:[0,1,0]
	v_and_b32_e32 v9, 0xffff, v9
	v_and_b32_e32 v118, 0xffff, v57
	v_fma_mixlo_f16 v35, v18, v35, 0 op_sel_hi:[0,1,0]
	v_or_b32_e32 v39, v38, v39
	v_and_b32_e32 v26, 0xffff, v2
	v_and_b32_e32 v2, 0xffff, v8
	v_lshrrev_b32_e32 v8, 16, v8
	v_fma_mixlo_f16 v24, v18, v24, 0 op_sel_hi:[0,1,0]
	;;#ASMSTART
	v_cvt_f32_f16 v2, v2;
	;;#ASMEND
	;;#ASMSTART
	v_cvt_f32_f16 v95, v8;
	;;#ASMEND
	;; [unrolled: 3-line block ×4, first 2 shown]
	v_and_b32_e32 v24, 0xffff, v24
	;;#ASMSTART
	v_cvt_f32_f16 v97, v9;
	;;#ASMEND
	;;#ASMSTART
	v_cvt_f32_f16 v23, v87;
	;;#ASMEND
	;; [unrolled: 3-line block ×4, first 2 shown]
	ds_load_b64 v[8:9], v14 offset:16
	v_or_b32_e32 v25, v27, v31
	v_or_b32_e32 v26, v32, v33
	v_fma_mixlo_f16 v27, v18, v27, 0 op_sel:[0,1,0] op_sel_hi:[0,1,0]
	v_fma_mixlo_f16 v31, v18, v32, 0 op_sel:[0,1,0] op_sel_hi:[0,1,0]
	v_and_b32_e32 v36, 0xffff, v35
	v_fma_mixlo_f16 v25, v18, v25, 0 op_sel_hi:[0,1,0]
	v_fma_mixlo_f16 v26, v18, v26, 0 op_sel_hi:[0,1,0]
	v_and_b32_e32 v27, 0xffff, v27
	v_and_b32_e32 v33, 0xffff, v31
	v_fma_mixlo_f16 v38, v18, v38, 0 op_sel:[0,1,0] op_sel_hi:[0,1,0]
	v_and_b32_e32 v31, 0xffff, v25
	v_and_b32_e32 v32, 0xffff, v26
	v_dual_mul_f32 v2, v2, v99 :: v_dual_bitop2_b32 v61, v60, v61 bitop3:0x54
	v_fma_mixlo_f16 v60, v18, v60, 0 op_sel:[0,1,0] op_sel_hi:[0,1,0]
	v_dual_mul_f32 v23, v23, v24 :: v_dual_bitop2_b32 v79, v78, v79 bitop3:0x54
	s_delay_alu instid0(VALU_DEP_3)
	v_fma_mixlo_f16 v61, v18, v61, 0 op_sel_hi:[0,1,0]
	v_fma_mixlo_f16 v39, v18, v39, 0 op_sel_hi:[0,1,0]
	s_wait_dscnt 0x0
	v_and_b32_e32 v25, 0xffff, v8
	v_dual_lshrrev_b32 v8, 16, v8 :: v_dual_lshrrev_b32 v89, 16, v9
	v_and_b32_e32 v9, 0xffff, v9
	;;#ASMSTART
	v_cvt_f32_f16 v87, v25;
	;;#ASMEND
	;;#ASMSTART
	v_cvt_f32_f16 v25, v8;
	;;#ASMEND
	;; [unrolled: 3-line block ×8, first 2 shown]
	ds_load_b64 v[8:9], v14 offset:24
	v_and_b32_e32 v89, 0xffff, v34
	v_and_b32_e32 v100, 0xffff, v38
	;; [unrolled: 1-line block ×4, first 2 shown]
	v_or_b32_e32 v47, v46, v47
	v_fma_mixlo_f16 v46, v18, v46, 0 op_sel:[0,1,0] op_sel_hi:[0,1,0]
	v_or_b32_e32 v51, v50, v51
	v_fma_mixlo_f16 v50, v18, v50, 0 op_sel:[0,1,0] op_sel_hi:[0,1,0]
	v_or_b32_e32 v55, v54, v55
	v_fma_mixlo_f16 v47, v18, v47, 0 op_sel_hi:[0,1,0]
	v_and_b32_e32 v108, 0xffff, v46
	v_fma_mixlo_f16 v51, v18, v51, 0 op_sel_hi:[0,1,0]
	v_fma_mixlo_f16 v54, v18, v54, 0 op_sel:[0,1,0] op_sel_hi:[0,1,0]
	v_fma_mixlo_f16 v55, v18, v55, 0 op_sel_hi:[0,1,0]
	v_and_b32_e32 v47, 0xffff, v47
	v_or_b32_e32 v59, v58, v59
	v_and_b32_e32 v52, 0xffff, v51
	v_fma_mixlo_f16 v58, v18, v58, 0 op_sel:[0,1,0] op_sel_hi:[0,1,0]
	v_and_b32_e32 v56, 0xffff, v55
	s_wait_dscnt 0x0
	v_and_b32_e32 v34, 0xffff, v8
	v_dual_lshrrev_b32 v8, 16, v8 :: v_dual_lshrrev_b32 v90, 16, v9
	v_and_b32_e32 v9, 0xffff, v9
	;;#ASMSTART
	v_cvt_f32_f16 v34, v34;
	;;#ASMEND
	;;#ASMSTART
	v_cvt_f32_f16 v35, v8;
	;;#ASMEND
	;; [unrolled: 3-line block ×8, first 2 shown]
	ds_load_b64 v[8:9], v14 offset:32
	v_or_b32_e32 v43, v42, v43
	v_fma_mixlo_f16 v42, v18, v42, 0 op_sel:[0,1,0] op_sel_hi:[0,1,0]
	v_fma_mixlo_f16 v59, v18, v59, 0 op_sel_hi:[0,1,0]
	v_and_b32_e32 v121, 0xffff, v58
	v_dual_fmac_f32 v2, v93, v94 :: v_dual_fmac_f32 v23, v19, v20
	s_delay_alu instid0(VALU_DEP_4) | instskip(SKIP_2) | instid1(VALU_DEP_4)
	v_and_b32_e32 v103, 0xffff, v42
	v_and_b32_e32 v42, 0xffff, v39
	;; [unrolled: 1-line block ×3, first 2 shown]
	v_fmac_f32_e32 v2, v87, v88
	s_delay_alu instid0(VALU_DEP_1)
	v_dual_fmac_f32 v23, v31, v33 :: v_dual_fmac_f32 v2, v34, v36
	s_wait_dscnt 0x0
	v_lshrrev_b32_e32 v101, 16, v9
	v_fma_mixlo_f16 v43, v18, v43, 0 op_sel_hi:[0,1,0]
	v_and_b32_e32 v38, 0xffff, v8
	v_lshrrev_b32_e32 v8, 16, v8
	v_and_b32_e32 v9, 0xffff, v9
	;;#ASMSTART
	v_cvt_f32_f16 v38, v38;
	;;#ASMEND
	v_and_b32_e32 v102, 0xffff, v43
	;;#ASMSTART
	v_cvt_f32_f16 v39, v8;
	;;#ASMEND
	;;#ASMSTART
	v_cvt_f32_f16 v42, v42;
	;;#ASMEND
	;; [unrolled: 3-line block ×7, first 2 shown]
	ds_load_b64 v[8:9], v14 offset:40
	v_or_b32_e32 v41, v40, v41
	v_fma_mixlo_f16 v40, v18, v40, 0 op_sel:[0,1,0] op_sel_hi:[0,1,0]
	v_fmac_f32_e32 v2, v38, v42
	s_delay_alu instid0(VALU_DEP_2)
	v_and_b32_e32 v104, 0xffff, v40
	s_wait_dscnt 0x0
	v_and_b32_e32 v40, 0xffff, v8
	v_lshrrev_b32_e32 v8, 16, v8
	v_fma_mixlo_f16 v41, v18, v41, 0 op_sel_hi:[0,1,0]
	v_lshrrev_b32_e32 v105, 16, v9
	v_and_b32_e32 v9, 0xffff, v9
	;;#ASMSTART
	v_cvt_f32_f16 v40, v40;
	;;#ASMEND
	s_delay_alu instid0(VALU_DEP_3)
	v_and_b32_e32 v44, 0xffff, v41
	;;#ASMSTART
	v_cvt_f32_f16 v41, v8;
	;;#ASMEND
	;;#ASMSTART
	v_cvt_f32_f16 v44, v44;
	;;#ASMEND
	;; [unrolled: 3-line block ×7, first 2 shown]
	ds_load_b64 v[8:9], v14 offset:48
	s_wait_dscnt 0x0
	v_and_b32_e32 v46, 0xffff, v8
	v_dual_lshrrev_b32 v8, 16, v8 :: v_dual_lshrrev_b32 v49, 16, v9
	v_and_b32_e32 v9, 0xffff, v9
	;;#ASMSTART
	v_cvt_f32_f16 v110, v46;
	;;#ASMEND
	;;#ASMSTART
	v_cvt_f32_f16 v46, v8;
	;;#ASMEND
	;;#ASMSTART
	v_cvt_f32_f16 v111, v47;
	;;#ASMEND
	;;#ASMSTART
	v_cvt_f32_f16 v47, v108;
	;;#ASMEND
	;;#ASMSTART
	v_cvt_f32_f16 v48, v9;
	;;#ASMEND
	;;#ASMSTART
	v_cvt_f32_f16 v49, v49;
	;;#ASMEND
	;;#ASMSTART
	v_cvt_f32_f16 v108, v112;
	;;#ASMEND
	;;#ASMSTART
	v_cvt_f32_f16 v109, v109;
	;;#ASMEND
	ds_load_b64 v[8:9], v14 offset:56
	v_and_b32_e32 v112, 0xffff, v50
	s_wait_dscnt 0x0
	v_and_b32_e32 v50, 0xffff, v8
	v_dual_lshrrev_b32 v8, 16, v8 :: v_dual_lshrrev_b32 v116, 16, v9
	v_and_b32_e32 v9, 0xffff, v9
	;;#ASMSTART
	v_cvt_f32_f16 v51, v50;
	;;#ASMEND
	;;#ASMSTART
	v_cvt_f32_f16 v50, v8;
	;;#ASMEND
	;; [unrolled: 3-line block ×8, first 2 shown]
	ds_load_b64 v[8:9], v14 offset:64
	v_and_b32_e32 v116, 0xffff, v54
	s_wait_dscnt 0x0
	v_and_b32_e32 v54, 0xffff, v8
	v_dual_lshrrev_b32 v8, 16, v8 :: v_dual_lshrrev_b32 v120, 16, v9
	v_and_b32_e32 v9, 0xffff, v9
	;;#ASMSTART
	v_cvt_f32_f16 v55, v54;
	;;#ASMEND
	;;#ASMSTART
	v_cvt_f32_f16 v54, v8;
	;;#ASMEND
	;; [unrolled: 3-line block ×8, first 2 shown]
	ds_load_b64 v[8:9], v14 offset:72
	s_wait_dscnt 0x0
	v_and_b32_e32 v58, 0xffff, v8
	v_dual_lshrrev_b32 v8, 16, v8 :: v_dual_lshrrev_b32 v99, 16, v9
	v_and_b32_e32 v9, 0xffff, v9
	;;#ASMSTART
	v_cvt_f32_f16 v59, v58;
	;;#ASMEND
	;;#ASMSTART
	v_cvt_f32_f16 v58, v8;
	;;#ASMEND
	;; [unrolled: 3-line block ×5, first 2 shown]
	v_or_b32_e32 v8, v62, v63
	;;#ASMSTART
	v_cvt_f32_f16 v99, v99;
	;;#ASMEND
	;;#ASMSTART
	v_cvt_f32_f16 v121, v123;
	;;#ASMEND
	;; [unrolled: 3-line block ×3, first 2 shown]
	ds_load_b64 v[124:125], v14 offset:80
	v_or_b32_e32 v9, v64, v65
	v_fma_mixlo_f16 v8, v18, v8, 0 op_sel_hi:[0,1,0]
	v_fma_mixlo_f16 v62, v18, v62, 0 op_sel:[0,1,0] op_sel_hi:[0,1,0]
	v_fma_mixlo_f16 v63, v18, v64, 0 op_sel:[0,1,0] op_sel_hi:[0,1,0]
	s_delay_alu instid0(VALU_DEP_3) | instskip(SKIP_4) | instid1(VALU_DEP_4)
	v_and_b32_e32 v64, 0xffff, v8
	v_mul_f32_e32 v8, v97, v98
	v_fma_mixlo_f16 v9, v18, v9, 0 op_sel_hi:[0,1,0]
	v_and_b32_e32 v62, 0xffff, v62
	v_and_b32_e32 v63, 0xffff, v63
	v_dual_fmac_f32 v8, v22, v86 :: v_dual_bitop2_b32 v73, v72, v73 bitop3:0x54
	s_delay_alu instid0(VALU_DEP_4)
	v_and_b32_e32 v65, 0xffff, v9
	v_dual_mul_f32 v9, v95, v96 :: v_dual_bitop2_b32 v67, v66, v67 bitop3:0x54
	v_fma_mixlo_f16 v66, v18, v66, 0 op_sel:[0,1,0] op_sel_hi:[0,1,0]
	v_fma_mixlo_f16 v72, v18, v72, 0 op_sel:[0,1,0] op_sel_hi:[0,1,0]
	v_fma_mixlo_f16 v73, v18, v73, 0 op_sel_hi:[0,1,0]
	s_wait_dscnt 0x0
	v_and_b32_e32 v95, 0xffff, v124
	v_dual_lshrrev_b32 v96, 16, v124 :: v_dual_lshrrev_b32 v93, 16, v125
	v_and_b32_e32 v94, 0xffff, v125
	;;#ASMSTART
	v_cvt_f32_f16 v95, v95;
	;;#ASMEND
	;;#ASMSTART
	v_cvt_f32_f16 v96, v96;
	;;#ASMEND
	;; [unrolled: 3-line block ×8, first 2 shown]
	ds_load_b64 v[64:65], v14 offset:88
	v_or_b32_e32 v69, v68, v69
	v_fma_mixlo_f16 v68, v18, v68, 0 op_sel:[0,1,0] op_sel_hi:[0,1,0]
	v_fmac_f32_e32 v9, v21, v85
	v_fma_mixlo_f16 v67, v18, v67, 0 op_sel_hi:[0,1,0]
	v_or_b32_e32 v71, v70, v71
	v_and_b32_e32 v66, 0xffff, v66
	v_and_b32_e32 v68, 0xffff, v68
	v_fma_mixlo_f16 v70, v18, v70, 0 op_sel:[0,1,0] op_sel_hi:[0,1,0]
	v_and_b32_e32 v67, 0xffff, v67
	v_and_b32_e32 v72, 0xffff, v72
	v_dual_fmac_f32 v9, v25, v26 :: v_dual_fmac_f32 v8, v27, v32
	s_delay_alu instid0(VALU_DEP_1)
	v_dual_fmac_f32 v9, v35, v37 :: v_dual_fmac_f32 v8, v89, v91
	v_fmac_f32_e32 v23, v90, v92
	s_wait_dscnt 0x0
	v_and_b32_e32 v21, 0xffff, v64
	v_lshrrev_b32_e32 v64, 16, v64
	v_fma_mixlo_f16 v69, v18, v69, 0 op_sel_hi:[0,1,0]
	v_lshrrev_b32_e32 v22, 16, v65
	v_and_b32_e32 v65, 0xffff, v65
	;;#ASMSTART
	v_cvt_f32_f16 v85, v21;
	;;#ASMEND
	;;#ASMSTART
	v_cvt_f32_f16 v86, v64;
	;;#ASMEND
	v_and_b32_e32 v69, 0xffff, v69
	;;#ASMSTART
	v_cvt_f32_f16 v123, v67;
	;;#ASMEND
	;;#ASMSTART
	v_cvt_f32_f16 v124, v66;
	;;#ASMEND
	;; [unrolled: 3-line block ×6, first 2 shown]
	ds_load_b64 v[64:65], v14 offset:96
	v_or_b32_e32 v21, v80, v81
	v_or_b32_e32 v68, v76, v77
	v_fma_mixlo_f16 v71, v18, v71, 0 op_sel_hi:[0,1,0]
	v_or_b32_e32 v67, v74, v75
	v_and_b32_e32 v75, 0xffff, v70
	v_fma_mixlo_f16 v69, v18, v74, 0 op_sel:[0,1,0] op_sel_hi:[0,1,0]
	v_fma_mixlo_f16 v24, v18, v68, 0 op_sel_hi:[0,1,0]
	v_fma_mixlo_f16 v68, v18, v21, 0 op_sel_hi:[0,1,0]
	v_and_b32_e32 v21, 0xffff, v71
	v_and_b32_e32 v71, 0xffff, v73
	v_fma_mixlo_f16 v74, v18, v76, 0 op_sel:[0,1,0] op_sel_hi:[0,1,0]
	v_dual_fmac_f32 v9, v39, v43 :: v_dual_fmac_f32 v8, v100, v102
	v_dual_fmac_f32 v23, v101, v103 :: v_dual_fmac_f32 v2, v40, v44
	s_delay_alu instid0(VALU_DEP_3) | instskip(NEXT) | instid1(VALU_DEP_3)
	v_and_b32_e32 v25, 0xffff, v74
	v_dual_fmac_f32 v9, v41, v45 :: v_dual_fmac_f32 v8, v104, v106
	s_delay_alu instid0(VALU_DEP_3)
	v_fmac_f32_e32 v23, v105, v107
	s_wait_dscnt 0x0
	v_and_b32_e32 v19, 0xffff, v64
	v_dual_lshrrev_b32 v20, 16, v64 :: v_dual_lshrrev_b32 v64, 16, v65
	v_and_b32_e32 v65, 0xffff, v65
	;;#ASMSTART
	v_cvt_f32_f16 v73, v19;
	;;#ASMEND
	;;#ASMSTART
	v_cvt_f32_f16 v76, v20;
	;;#ASMEND
	;;#ASMSTART
	v_cvt_f32_f16 v77, v21;
	;;#ASMEND
	;;#ASMSTART
	v_cvt_f32_f16 v75, v75;
	;;#ASMEND
	;;#ASMSTART
	v_cvt_f32_f16 v65, v65;
	;;#ASMEND
	;;#ASMSTART
	v_cvt_f32_f16 v64, v64;
	;;#ASMEND
	;;#ASMSTART
	v_cvt_f32_f16 v71, v71;
	;;#ASMEND
	;;#ASMSTART
	v_cvt_f32_f16 v72, v72;
	;;#ASMEND
	ds_load_b64 v[20:21], v14 offset:104
	v_fma_mixlo_f16 v67, v18, v67, 0 op_sel_hi:[0,1,0]
	v_fmac_f32_e32 v2, v110, v111
	v_fmac_f32_e32 v9, v46, v47
	v_and_b32_e32 v24, 0xffff, v24
	v_and_b32_e32 v19, 0xffff, v69
	;; [unrolled: 1-line block ×3, first 2 shown]
	v_dual_fmac_f32 v8, v48, v108 :: v_dual_fmac_f32 v23, v49, v109
	v_dual_fmac_f32 v2, v51, v113 :: v_dual_fmac_f32 v9, v50, v52
	v_fma_mixlo_f16 v22, v18, v78, 0 op_sel:[0,1,0] op_sel_hi:[0,1,0]
	s_delay_alu instid0(VALU_DEP_3)
	v_fmac_f32_e32 v8, v53, v114
	v_fma_mixlo_f16 v66, v18, v80, 0 op_sel:[0,1,0] op_sel_hi:[0,1,0]
	v_fma_mixlo_f16 v70, v18, v79, 0 op_sel_hi:[0,1,0]
	v_fmac_f32_e32 v9, v54, v56
	v_and_b32_e32 v38, 0xffff, v68
	v_fmac_f32_e32 v8, v57, v118
	v_and_b32_e32 v39, 0xffff, v66
	v_and_b32_e32 v36, 0xffff, v70
	s_wait_dscnt 0x0
	v_and_b32_e32 v27, 0xffff, v20
	v_dual_lshrrev_b32 v20, 16, v20 :: v_dual_lshrrev_b32 v31, 16, v21
	v_and_b32_e32 v21, 0xffff, v21
	;;#ASMSTART
	v_cvt_f32_f16 v27, v27;
	;;#ASMEND
	;;#ASMSTART
	v_cvt_f32_f16 v32, v20;
	;;#ASMEND
	;;#ASMSTART
	v_cvt_f32_f16 v26, v26;
	;;#ASMEND
	;;#ASMSTART
	v_cvt_f32_f16 v33, v19;
	;;#ASMEND
	;;#ASMSTART
	v_cvt_f32_f16 v34, v21;
	;;#ASMEND
	;;#ASMSTART
	v_cvt_f32_f16 v31, v31;
	;;#ASMEND
	;;#ASMSTART
	v_cvt_f32_f16 v24, v24;
	;;#ASMEND
	;;#ASMSTART
	v_cvt_f32_f16 v25, v25;
	;;#ASMEND
	ds_load_b64 v[20:21], v14 offset:112
	v_dual_fmac_f32 v23, v112, v115 :: v_dual_bitop2_b32 v19, v10, v82 bitop3:0x54
	v_dual_fmac_f32 v2, v55, v117 :: v_dual_fmac_f32 v9, v58, v60
	v_fmac_f32_e32 v8, v61, v121
	v_fma_mixlo_f16 v10, v18, v10, 0 op_sel:[0,1,0] op_sel_hi:[0,1,0]
	s_delay_alu instid0(VALU_DEP_3) | instskip(NEXT) | instid1(VALU_DEP_4)
	v_dual_fmac_f32 v23, v116, v119 :: v_dual_fmac_f32 v2, v59, v120
	v_fmac_f32_e32 v9, v96, v98
	v_fma_mixlo_f16 v19, v18, v19, 0 op_sel_hi:[0,1,0]
	s_delay_alu instid0(VALU_DEP_4) | instskip(NEXT) | instid1(VALU_DEP_4)
	v_and_b32_e32 v10, 0xffff, v10
	v_fmac_f32_e32 v23, v99, v122
	v_fmac_f32_e32 v2, v95, v97
	;; [unrolled: 1-line block ×3, first 2 shown]
	v_and_b32_e32 v19, 0xffff, v19
	s_delay_alu instid0(VALU_DEP_3) | instskip(NEXT) | instid1(VALU_DEP_3)
	v_dual_fmac_f32 v2, v85, v123 :: v_dual_fmac_f32 v9, v86, v124
	v_fmac_f32_e32 v8, v125, v127
	s_wait_dscnt 0x0
	v_and_b32_e32 v35, 0xffff, v20
	v_lshrrev_b32_e32 v20, 16, v20
	;;#ASMSTART
	v_cvt_f32_f16 v35, v35;
	;;#ASMEND
	;;#ASMSTART
	v_cvt_f32_f16 v37, v20;
	;;#ASMEND
	v_and_b32_e32 v20, 0xffff, v22
	v_and_b32_e32 v22, 0xffff, v21
	v_dual_lshrrev_b32 v21, 16, v21 :: v_dual_fmac_f32 v23, v62, v63
	;;#ASMSTART
	v_cvt_f32_f16 v36, v36;
	;;#ASMEND
	;;#ASMSTART
	v_cvt_f32_f16 v40, v20;
	;;#ASMEND
	;; [unrolled: 3-line block ×6, first 2 shown]
	ds_load_b64 v[20:21], v14 offset:120
	v_dual_fmac_f32 v23, v126, v1 :: v_dual_bitop2_b32 v22, v83, v84 bitop3:0x54
	v_dual_fmac_f32 v2, v73, v77 :: v_dual_fmac_f32 v9, v76, v75
	v_fmac_f32_e32 v8, v65, v71
	s_delay_alu instid0(VALU_DEP_3) | instskip(NEXT) | instid1(VALU_DEP_3)
	v_fma_mixlo_f16 v22, v18, v22, 0 op_sel_hi:[0,1,0]
	v_dual_fmac_f32 v23, v64, v72 :: v_dual_fmac_f32 v2, v27, v26
	s_delay_alu instid0(VALU_DEP_3) | instskip(SKIP_1) | instid1(VALU_DEP_3)
	v_dual_fmac_f32 v9, v32, v33 :: v_dual_fmac_f32 v8, v34, v24
	v_fma_mixlo_f16 v18, v18, v83, 0 op_sel:[0,1,0] op_sel_hi:[0,1,0]
	v_fmac_f32_e32 v23, v31, v25
	s_delay_alu instid0(VALU_DEP_4) | instskip(NEXT) | instid1(VALU_DEP_4)
	v_fmac_f32_e32 v2, v35, v36
	v_fmac_f32_e32 v9, v37, v40
	;; [unrolled: 1-line block ×3, first 2 shown]
	v_and_b32_e32 v22, 0xffff, v22
	v_fmac_f32_e32 v23, v42, v39
	v_and_b32_e32 v18, 0xffff, v18
	s_wait_dscnt 0x0
	v_and_b32_e32 v1, 0xffff, v20
	v_lshrrev_b32_e32 v20, 16, v20
	;;#ASMSTART
	v_cvt_f32_f16 v1, v1;
	;;#ASMEND
	v_and_b32_e32 v24, 0xffff, v21
	v_lshrrev_b32_e32 v21, 16, v21
	;;#ASMSTART
	v_cvt_f32_f16 v20, v20;
	;;#ASMEND
	;;#ASMSTART
	v_cvt_f32_f16 v19, v19;
	;;#ASMEND
	;; [unrolled: 3-line block ×3, first 2 shown]
	v_dual_fmac_f32 v2, v1, v19 :: v_dual_fmac_f32 v9, v20, v10
	;;#ASMSTART
	v_cvt_f32_f16 v1, v24;
	;;#ASMEND
	;;#ASMSTART
	v_cvt_f32_f16 v10, v21;
	;;#ASMEND
	;; [unrolled: 3-line block ×3, first 2 shown]
	s_delay_alu instid0(VALU_DEP_1) | instskip(SKIP_2) | instid1(VALU_DEP_1)
	v_dual_fmac_f32 v8, v1, v19 :: v_dual_add_f32 v2, v2, v9
	;;#ASMSTART
	v_cvt_f32_f16 v1, v18;
	;;#ASMEND
	v_dual_fmac_f32 v23, v10, v1 :: v_dual_bitop2_b32 v9, 1, v11 bitop3:0x14
	v_cmp_gt_i32_e64 s5, 32, v9
	s_delay_alu instid0(VALU_DEP_1) | instskip(NEXT) | instid1(VALU_DEP_1)
	v_dual_add_f32 v2, v2, v8 :: v_dual_cndmask_b32 v8, v11, v9, s5
	v_dual_add_f32 v2, v23, v2 :: v_dual_lshlrev_b32 v8, 2, v8
	ds_bpermute_b32 v8, v8, v2
	s_and_saveexec_b32 s29, vcc_lo
	s_cbranch_execz .LBB269_8
; %bb.522:                              ;   in Loop: Header=BB269_9 Depth=1
	s_wait_dscnt 0x0
	v_dual_add_f32 v2, v2, v8 :: v_dual_add_nc_u32 v9, s28, v15
	v_cmp_gt_i32_e64 s5, s25, v15
	s_delay_alu instid0(VALU_DEP_2) | instskip(NEXT) | instid1(VALU_DEP_1)
	v_cvt_f32_i32_e32 v9, v9
	v_mul_f32_e32 v9, s20, v9
	s_delay_alu instid0(VALU_DEP_1) | instskip(NEXT) | instid1(VALU_DEP_1)
	v_cndmask_b32_e64 v8, 0, v9, s4
	v_dual_fmac_f32 v8, s21, v2 :: v_dual_max_num_f32 v9, v13, v13
	s_delay_alu instid0(VALU_DEP_1) | instskip(NEXT) | instid1(VALU_DEP_1)
	v_dual_max_num_f32 v2, v9, v8 :: v_dual_cndmask_b32 v8, 0, v8, s5
	v_cndmask_b32_e64 v13, v13, v2, s5
	ds_store_b32 v16, v8
	s_branch .LBB269_8
.LBB269_523:
	s_or_b32 exec_lo, exec_lo, s15
	v_lshrrev_b32_e32 v1, 3, v0
.LBB269_524:
	s_or_b32 exec_lo, exec_lo, s26
	v_dual_max_num_f32 v6, v13, v13 :: v_dual_bitop2_b32 v2, 16, v11 bitop3:0x14
	s_wait_kmcnt 0x0
	s_clause 0x1
	s_load_b64 s[8:9], s[0:1], 0x0
	s_load_b64 s[20:21], s[0:1], 0x18
	v_xor_b32_e32 v5, 8, v11
	v_xor_b32_e32 v7, 4, v11
	v_cmp_lt_i32_e32 vcc_lo, v2, v12
	v_dual_cndmask_b32 v2, v11, v2, vcc_lo :: v_dual_bitop2_b32 v31, 31, v0 bitop3:0x40
	s_delay_alu instid0(VALU_DEP_4) | instskip(NEXT) | instid1(VALU_DEP_2)
	v_cmp_lt_i32_e32 vcc_lo, v5, v12
	v_dual_cndmask_b32 v5, v11, v5 :: v_dual_lshlrev_b32 v4, 2, v2
	v_cmp_lt_i32_e32 vcc_lo, v7, v12
	ds_bpermute_b32 v2, v4, v13
	s_wait_dscnt 0x0
	v_dual_max_num_f32 v2, v2, v2 :: v_dual_lshlrev_b32 v5, 2, v5
	s_delay_alu instid0(VALU_DEP_1) | instskip(SKIP_3) | instid1(VALU_DEP_1)
	v_max_num_f32_e32 v2, v6, v2
	ds_bpermute_b32 v6, v5, v2
	s_wait_dscnt 0x0
	v_dual_cndmask_b32 v7, v11, v7 :: v_dual_max_num_f32 v8, v6, v6
	v_dual_lshlrev_b32 v6, 2, v7 :: v_dual_max_num_f32 v2, v2, v8
	v_xor_b32_e32 v8, 2, v11
	ds_bpermute_b32 v7, v6, v2
	v_cmp_lt_i32_e32 vcc_lo, v8, v12
	s_wait_dscnt 0x0
	v_max_num_f32_e32 v7, v7, v7
	v_cndmask_b32_e32 v9, v11, v8, vcc_lo
	v_cmp_eq_u32_e32 vcc_lo, 0, v31
	s_delay_alu instid0(VALU_DEP_2)
	v_dual_max_num_f32 v8, v2, v7 :: v_dual_lshlrev_b32 v2, 2, v9
	v_lshlrev_b32_e32 v7, 2, v30
	ds_bpermute_b32 v9, v2, v8
	s_wait_xcnt 0x0
	s_and_saveexec_b32 s0, vcc_lo
	s_cbranch_execz .LBB269_526
; %bb.525:
	s_wait_dscnt 0x0
	v_dual_max_num_f32 v9, v9, v9 :: v_dual_max_num_f32 v8, v8, v8
	s_delay_alu instid0(VALU_DEP_1)
	v_max_num_f32_e32 v8, v8, v9
	ds_store_b32 v7, v8 offset:256
.LBB269_526:
	s_or_b32 exec_lo, exec_lo, s0
	v_cmp_gt_u32_e64 s0, 4, v31
	s_wait_dscnt 0x0
	v_dual_mov_b32 v9, 0xff7fffff :: v_dual_lshlrev_b32 v8, 2, v31
	s_barrier_signal -1
	s_barrier_wait -1
	s_and_saveexec_b32 s1, s0
; %bb.527:
	ds_load_b32 v9, v8 offset:256
; %bb.528:
	s_or_b32 exec_lo, exec_lo, s1
	s_wait_dscnt 0x0
	ds_bpermute_b32 v10, v2, v9
	v_dual_max_num_f32 v9, v9, v9 :: v_dual_bitop2_b32 v13, 1, v11 bitop3:0x14
	v_lshlrev_b32_e32 v3, 2, v3
	s_delay_alu instid0(VALU_DEP_2) | instskip(NEXT) | instid1(VALU_DEP_1)
	v_cmp_lt_i32_e64 s1, v13, v12
	v_cndmask_b32_e64 v12, v11, v13, s1
	s_lshl_b32 s1, s12, 4
	s_delay_alu instid0(SALU_CYCLE_1) | instskip(NEXT) | instid1(SALU_CYCLE_1)
	s_min_i32 s5, s1, s25
	v_cmp_gt_i32_e64 s1, s5, v0
	s_wait_dscnt 0x0
	v_dual_max_num_f32 v10, v10, v10 :: v_dual_lshlrev_b32 v32, 2, v12
	s_delay_alu instid0(VALU_DEP_1) | instskip(SKIP_3) | instid1(VALU_DEP_1)
	v_max_num_f32_e32 v9, v9, v10
	ds_bpermute_b32 v10, v32, v9
	s_wait_dscnt 0x0
	v_max_num_f32_e32 v10, v10, v10
	v_max_num_f32_e32 v9, v9, v10
	ds_bpermute_b32 v9, v3, v9
	v_mov_b32_e32 v3, 0
	s_and_saveexec_b32 s15, s1
	s_cbranch_execz .LBB269_532
; %bb.529:
	v_lshl_add_u32 v10, v0, 2, 0x120
	v_dual_mov_b32 v3, 0 :: v_dual_mov_b32 v12, v0
	s_mov_b32 s26, 0
.LBB269_530:                            ; =>This Inner Loop Header: Depth=1
	ds_load_b32 v13, v10
	v_add_nc_u32_e32 v12, 0x80, v12
	s_delay_alu instid0(VALU_DEP_1) | instskip(SKIP_3) | instid1(VALU_DEP_1)
	v_cmp_le_i32_e64 s4, s5, v12
	s_or_b32 s26, s4, s26
	s_wait_dscnt 0x0
	v_sub_f32_e32 v13, v13, v9
	v_mul_f32_e32 v13, 0x3fb8aa3b, v13
	s_delay_alu instid0(VALU_DEP_1)
	v_exp_f32_e32 v13, v13
	ds_store_b32 v10, v13
	v_nop
	v_dual_add_f32 v3, v3, v13 :: v_dual_add_nc_u32 v10, 0x200, v10
	s_and_not1_b32 exec_lo, exec_lo, s26
	s_cbranch_execnz .LBB269_530
; %bb.531:
	s_or_b32 exec_lo, exec_lo, s26
.LBB269_532:
	s_delay_alu instid0(SALU_CYCLE_1)
	s_or_b32 exec_lo, exec_lo, s15
	ds_bpermute_b32 v4, v4, v3
	s_wait_dscnt 0x0
	v_add_f32_e32 v3, v3, v4
	ds_bpermute_b32 v4, v5, v3
	s_wait_dscnt 0x0
	v_add_f32_e32 v3, v3, v4
	;; [unrolled: 3-line block ×5, first 2 shown]
	s_and_saveexec_b32 s4, vcc_lo
; %bb.533:
	ds_store_b32 v7, v3 offset:272
; %bb.534:
	s_or_b32 exec_lo, exec_lo, s4
	s_wait_dscnt 0x0
	s_barrier_signal -1
	s_barrier_wait -1
	s_and_saveexec_b32 s4, s0
; %bb.535:
	ds_load_b32 v3, v8 offset:272
; %bb.536:
	s_or_b32 exec_lo, exec_lo, s4
	s_wait_dscnt 0x0
	ds_bpermute_b32 v2, v2, v3
	s_wait_dscnt 0x0
	v_dual_lshlrev_b32 v4, 2, v11 :: v_dual_add_f32 v2, v3, v2
	ds_bpermute_b32 v3, v32, v2
	s_wait_dscnt 0x0
	v_add_f32_e32 v2, v2, v3
	v_and_b32_e32 v3, 0xffffff80, v4
	ds_bpermute_b32 v2, v3, v2
	s_and_saveexec_b32 s0, s1
	s_cbranch_execz .LBB269_549
; %bb.537:
	s_wait_dscnt 0x0
	v_add_f32_e32 v2, 0x358637bd, v2
	s_mov_b32 s4, -1
	s_mov_b32 s1, exec_lo
	s_delay_alu instid0(VALU_DEP_1) | instskip(NEXT) | instid1(VALU_DEP_1)
	v_div_scale_f32 v3, null, v2, v2, 1.0
	v_rcp_f32_e32 v5, v3
	v_nop
	s_delay_alu instid0(TRANS32_DEP_1) | instskip(NEXT) | instid1(VALU_DEP_1)
	v_fma_f32 v4, -v3, v5, 1.0
	v_fmac_f32_e32 v5, v4, v5
	v_div_scale_f32 v6, vcc_lo, 1.0, v2, 1.0
	s_delay_alu instid0(VALU_DEP_1) | instskip(NEXT) | instid1(VALU_DEP_1)
	v_mul_f32_e32 v7, v6, v5
	v_fma_f32 v4, -v3, v7, v6
	s_delay_alu instid0(VALU_DEP_1) | instskip(SKIP_1) | instid1(VALU_DEP_2)
	v_fmac_f32_e32 v7, v4, v5
	v_xad_u32 v4, v0, -1, s5
	v_fma_f32 v3, -v3, v7, v6
	s_delay_alu instid0(VALU_DEP_1) | instskip(NEXT) | instid1(VALU_DEP_1)
	v_div_fmas_f32 v3, v3, v5, v7
	v_div_fixup_f32 v2, v3, v2, 1.0
	v_mov_b32_e32 v3, v0
	v_cmpx_lt_u32_e32 0x7f, v4
	s_cbranch_execz .LBB269_546
; %bb.538:
	s_delay_alu instid0(VALU_DEP_3) | instskip(NEXT) | instid1(VALU_DEP_1)
	v_dual_mov_b32 v3, v2 :: v_dual_lshrrev_b32 v4, 7, v4
	v_dual_mov_b32 v8, 0 :: v_dual_add_nc_u32 v5, -1, v4
	s_delay_alu instid0(VALU_DEP_1) | instskip(SKIP_1) | instid1(VALU_DEP_2)
	v_lshrrev_b32_e32 v6, 1, v5
	v_cmp_lt_u32_e32 vcc_lo, 13, v5
	v_add_nc_u32_e32 v5, 1, v6
	s_and_saveexec_b32 s4, vcc_lo
	s_cbranch_execz .LBB269_542
; %bb.539:
	s_delay_alu instid0(VALU_DEP_1)
	v_and_b32_e32 v6, -8, v5
	v_lshl_add_u32 v7, v0, 2, 0x120
	s_mov_b32 s15, 0
	s_mov_b32 s26, 0
.LBB269_540:                            ; =>This Inner Loop Header: Depth=1
	ds_load_2addr_stride64_b32 v[8:9], v7 offset1:2
	ds_load_2addr_stride64_b32 v[10:11], v7 offset0:4 offset1:6
	ds_load_2addr_stride64_b32 v[12:13], v7 offset0:8 offset1:10
	;; [unrolled: 1-line block ×7, first 2 shown]
	s_add_co_i32 s26, s26, 16
	v_add_nc_u32_e32 v6, -8, v6
	s_wait_dscnt 0x7
	v_pk_mul_f32 v[8:9], v[2:3], v[8:9]
	s_wait_dscnt 0x6
	v_pk_mul_f32 v[10:11], v[2:3], v[10:11]
	;; [unrolled: 2-line block ×8, first 2 shown]
	ds_store_2addr_stride64_b32 v7, v8, v9 offset1:2
	ds_store_2addr_stride64_b32 v7, v10, v11 offset0:4 offset1:6
	ds_store_2addr_stride64_b32 v7, v12, v13 offset0:8 offset1:10
	;; [unrolled: 1-line block ×7, first 2 shown]
	v_mov_b32_e32 v8, s26
	v_cmp_eq_u32_e32 vcc_lo, 0, v6
	v_add_nc_u32_e32 v7, 0x2000, v7
	s_or_b32 s15, vcc_lo, s15
	s_delay_alu instid0(SALU_CYCLE_1)
	s_and_not1_b32 exec_lo, exec_lo, s15
	s_cbranch_execnz .LBB269_540
; %bb.541:
	s_or_b32 exec_lo, exec_lo, s15
.LBB269_542:
	s_delay_alu instid0(SALU_CYCLE_1) | instskip(NEXT) | instid1(VALU_DEP_1)
	s_or_b32 exec_lo, exec_lo, s4
	v_and_b32_e32 v5, 7, v5
	s_mov_b32 s15, 0
	s_mov_b32 s4, exec_lo
	s_delay_alu instid0(VALU_DEP_1)
	v_cmpx_ne_u32_e32 0, v5
	s_cbranch_execz .LBB269_545
; %bb.543:
	v_lshlrev_b32_e32 v6, 9, v8
	v_lshlrev_b32_e32 v7, 2, v0
	s_delay_alu instid0(VALU_DEP_1)
	v_add3_u32 v6, v6, v7, 0x120
.LBB269_544:                            ; =>This Inner Loop Header: Depth=1
	ds_load_2addr_stride64_b32 v[8:9], v6 offset1:2
	v_add_nc_u32_e32 v5, -1, v5
	s_delay_alu instid0(VALU_DEP_1)
	v_cmp_eq_u32_e32 vcc_lo, 0, v5
	s_or_b32 s15, vcc_lo, s15
	s_wait_dscnt 0x0
	v_pk_mul_f32 v[8:9], v[2:3], v[8:9]
	ds_store_2addr_stride64_b32 v6, v8, v9 offset1:2
	v_add_nc_u32_e32 v6, 0x400, v6
	s_and_not1_b32 exec_lo, exec_lo, s15
	s_cbranch_execnz .LBB269_544
.LBB269_545:
	s_or_b32 exec_lo, exec_lo, s4
	v_add_nc_u32_e32 v3, 1, v4
	s_delay_alu instid0(VALU_DEP_1) | instskip(NEXT) | instid1(VALU_DEP_1)
	v_and_b32_e32 v4, 0x3fffffe, v3
	v_cmp_ne_u32_e32 vcc_lo, v3, v4
	v_lshl_add_u32 v3, v4, 7, v0
	s_or_not1_b32 s4, vcc_lo, exec_lo
.LBB269_546:
	s_or_b32 exec_lo, exec_lo, s1
	s_delay_alu instid0(SALU_CYCLE_1)
	s_and_b32 exec_lo, exec_lo, s4
	s_cbranch_execz .LBB269_549
; %bb.547:
	v_lshl_add_u32 v4, v3, 2, 0x120
	s_mov_b32 s1, 0
.LBB269_548:                            ; =>This Inner Loop Header: Depth=1
	ds_load_b32 v5, v4
	v_add_nc_u32_e32 v3, 0x80, v3
	s_delay_alu instid0(VALU_DEP_1)
	v_cmp_le_i32_e32 vcc_lo, s5, v3
	s_or_b32 s1, vcc_lo, s1
	s_wait_dscnt 0x0
	v_mul_f32_e32 v5, v2, v5
	ds_store_b32 v4, v5
	v_add_nc_u32_e32 v4, 0x200, v4
	s_and_not1_b32 exec_lo, exec_lo, s1
	s_cbranch_execnz .LBB269_548
.LBB269_549:
	s_or_b32 exec_lo, exec_lo, s0
	v_mov_b32_e32 v3, 0
	s_wait_dscnt 0x0
	s_barrier_signal -1
	s_barrier_wait -1
	s_delay_alu instid0(VALU_DEP_1)
	v_dual_mov_b32 v2, v3 :: v_dual_mov_b32 v5, v3
	v_dual_mov_b32 v4, v3 :: v_dual_mov_b32 v7, v3
	;; [unrolled: 1-line block ×3, first 2 shown]
	v_mov_b32_e32 v8, v3
	s_and_saveexec_b32 s1, s3
	s_cbranch_execz .LBB269_1081
; %bb.550:
	v_dual_mov_b32 v11, 0 :: v_dual_lshlrev_b32 v2, 3, v0
	s_ashr_i32 s15, s14, 31
	v_lshlrev_b32_e32 v3, 5, v29
	s_wait_kmcnt 0x0
	s_add_nc_u64 s[14:15], s[20:21], s[14:15]
	v_and_b32_e32 v10, 0xf8, v2
	s_lshl_b64 s[4:5], s[16:17], 2
	v_and_b32_e32 v2, 8, v2
	v_lshl_or_b32 v3, v30, 6, v3
	s_add_nc_u64 s[4:5], s[18:19], s[4:5]
	v_add_nc_u64_e32 v[12:13], s[14:15], v[10:11]
	v_and_b32_e32 v10, 0x7c, v1
	v_lshl_or_b32 v33, v30, 4, v2
	v_dual_mov_b32 v3, 0 :: v_dual_add_nc_u32 v34, 0x120, v3
	v_dual_mov_b32 v2, 0 :: v_dual_mov_b32 v5, 0
	s_delay_alu instid0(VALU_DEP_4)
	v_add_nc_u64_e32 v[14:15], s[4:5], v[10:11]
	v_dual_mov_b32 v4, 0 :: v_dual_mov_b32 v7, 0
	v_dual_mov_b32 v6, 0 :: v_dual_mov_b32 v9, 0
	;; [unrolled: 1-line block ×3, first 2 shown]
	s_mov_b32 s3, s13
	s_mov_b64 s[4:5], 0xffffffffffffff
	s_add_co_i32 s13, s12, -1
	s_mov_b32 s15, s25
	s_mov_b32 s14, 0
	s_branch .LBB269_552
.LBB269_551:                            ;   in Loop: Header=BB269_552 Depth=1
	s_or_b32 exec_lo, exec_lo, s0
	v_dual_add_f32 v18, v43, v44 :: v_dual_add_f32 v20, v57, v58
	;;#ASMSTART
	v_pk_mul_f16 v17, v48, v17;

	;;#ASMEND
	;;#ASMSTART
	v_pk_mul_f16 v16, v47, v16;

	;;#ASMEND
	;; [unrolled: 4-line block ×4, first 2 shown]
	;;#ASMSTART
	v_pk_add_f16 v16, v17, v16;

	;;#ASMEND
	;;#ASMSTART
	v_pk_add_f16 v1, v16, v1;

	;;#ASMEND
	;; [unrolled: 4-line block ×3, first 2 shown]
	v_and_b32_e32 v17, 0xffff, v1
	v_dual_add_f32 v19, v59, v60 :: v_dual_add_f32 v2, v2, v18
	v_dual_add_f32 v1, v53, v54 :: v_dual_lshrrev_b32 v18, 16, v1
	;;#ASMSTART
	v_cvt_f32_f16 v17, v17;
	;;#ASMEND
	;;#ASMSTART
	v_cvt_f32_f16 v18, v18;
	;;#ASMEND
	s_delay_alu instid0(VALU_DEP_1) | instskip(SKIP_2) | instid1(VALU_DEP_3)
	v_dual_add_f32 v17, v17, v18 :: v_dual_add_nc_u32 v35, 4, v35
	v_dual_add_f32 v21, v55, v56 :: v_dual_add_f32 v5, v5, v19
	v_dual_add_f32 v10, v51, v52 :: v_dual_add_f32 v16, v49, v50
	v_cmp_le_i32_e32 vcc_lo, s12, v35
	v_add_nc_u64_e32 v[14:15], 16, v[14:15]
	s_delay_alu instid0(VALU_DEP_4) | instskip(NEXT) | instid1(VALU_DEP_4)
	v_dual_add_f32 v4, v4, v20 :: v_dual_add_f32 v7, v7, v21
	v_dual_add_f32 v6, v6, v1 :: v_dual_add_f32 v9, v9, v10
	;; [unrolled: 1-line block ×3, first 2 shown]
	v_add_nc_u32_e32 v33, 64, v33
	v_add_nc_u32_e32 v34, 0x100, v34
	s_or_b32 s14, vcc_lo, s14
	s_delay_alu instid0(SALU_CYCLE_1)
	s_and_not1_b32 exec_lo, exec_lo, s14
	s_cbranch_execz .LBB269_1080
.LBB269_552:                            ; =>This Inner Loop Header: Depth=1
	global_load_b32 v1, v[14:15], off
	ds_load_2addr_b64 v[18:21], v34 offset1:1
	ds_load_2addr_b64 v[22:25], v34 offset0:2 offset1:3
	s_mov_b32 s0, exec_lo
	s_wait_dscnt 0x1
	;;#ASMSTART
	v_cvt_f16_f32 v46, v18;

	;;#ASMEND
	;;#ASMSTART
	v_cvt_f16_f32 v43, v19;

	;;#ASMEND
	;; [unrolled: 4-line block ×4, first 2 shown]
	s_wait_dscnt 0x0
	;;#ASMSTART
	v_cvt_f16_f32 v48, v22;

	;;#ASMEND
	;;#ASMSTART
	v_cvt_f16_f32 v45, v23;

	;;#ASMEND
	;; [unrolled: 4-line block ×4, first 2 shown]
	s_wait_loadcnt 0x0
	v_mad_nc_i64_i32 v[16:17], v1, s3, v[12:13]
	v_mov_b32_e32 v1, 0
	global_load_b64 v[20:21], v[16:17], off
	global_load_b32 v18, v11, s[10:11]
	s_wait_loadcnt 0x1
	v_and_b32_e32 v10, 0xff, v20
	s_wait_xcnt 0x0
	s_delay_alu instid0(VALU_DEP_1)
	v_cmpx_ne_u16_e32 0, v10
	s_cbranch_execz .LBB269_560
; %bb.553:                              ;   in Loop: Header=BB269_552 Depth=1
	v_mov_b32_e32 v1, 0x8000
	s_mov_b32 s16, exec_lo
	v_cmpx_ne_u16_e32 0x80, v10
	s_cbranch_execz .LBB269_559
; %bb.554:                              ;   in Loop: Header=BB269_552 Depth=1
	v_and_b32_e32 v19, 0x7f, v20
	v_mov_b32_e32 v1, 0x7c01
	s_mov_b32 s17, exec_lo
	s_delay_alu instid0(VALU_DEP_2)
	v_cmpx_ne_u32_e32 0x7f, v19
	s_cbranch_execz .LBB269_558
; %bb.555:                              ;   in Loop: Header=BB269_552 Depth=1
	v_dual_lshrrev_b32 v10, 3, v19 :: v_dual_bitop2_b32 v1, 7, v20 bitop3:0x40
	s_mov_b32 s18, exec_lo
	v_cmpx_gt_u32_e32 8, v19
; %bb.556:                              ;   in Loop: Header=BB269_552 Depth=1
	s_delay_alu instid0(VALU_DEP_2) | instskip(NEXT) | instid1(VALU_DEP_1)
	v_clz_i32_u32_e32 v1, v1
	v_min_u32_e32 v1, 32, v1
	s_delay_alu instid0(VALU_DEP_1) | instskip(NEXT) | instid1(VALU_DEP_1)
	v_subrev_nc_u32_e32 v10, 28, v1
	v_lshlrev_b64_e32 v[22:23], v10, v[20:21]
	s_delay_alu instid0(VALU_DEP_1)
	v_dual_sub_nc_u32 v10, 29, v1 :: v_dual_bitop2_b32 v1, 7, v22 bitop3:0x40
; %bb.557:                              ;   in Loop: Header=BB269_552 Depth=1
	s_or_b32 exec_lo, exec_lo, s18
	s_delay_alu instid0(VALU_DEP_1) | instskip(NEXT) | instid1(VALU_DEP_2)
	v_dual_lshlrev_b32 v19, 8, v20 :: v_dual_lshlrev_b32 v1, 7, v1
	v_lshl_add_u32 v10, v10, 10, 0x2000
	s_delay_alu instid0(VALU_DEP_2) | instskip(NEXT) | instid1(VALU_DEP_2)
	v_and_b32_e32 v19, 0x8000, v19
	v_and_b32_e32 v10, 0xfc00, v10
	s_delay_alu instid0(VALU_DEP_1)
	v_or3_b32 v1, v19, v10, v1
.LBB269_558:                            ;   in Loop: Header=BB269_552 Depth=1
	s_or_b32 exec_lo, exec_lo, s17
.LBB269_559:                            ;   in Loop: Header=BB269_552 Depth=1
	s_delay_alu instid0(SALU_CYCLE_1)
	s_or_b32 exec_lo, exec_lo, s16
.LBB269_560:                            ;   in Loop: Header=BB269_552 Depth=1
	s_delay_alu instid0(SALU_CYCLE_1) | instskip(SKIP_3) | instid1(VALU_DEP_2)
	s_or_b32 exec_lo, exec_lo, s0
	v_lshrrev_b16 v10, 8, v20
	v_dual_mov_b32 v19, 0 :: v_dual_mov_b32 v22, 0
	s_mov_b32 s0, exec_lo
	v_cmpx_ne_u16_e32 0, v10
	s_cbranch_execz .LBB269_568
; %bb.561:                              ;   in Loop: Header=BB269_552 Depth=1
	v_bfrev_b32_e32 v22, 1
	s_mov_b32 s16, exec_lo
	v_cmpx_ne_u16_e32 0x80, v10
	s_cbranch_execz .LBB269_567
; %bb.562:                              ;   in Loop: Header=BB269_552 Depth=1
	v_and_b32_e32 v23, 0xffff, v10
	v_mov_b32_e32 v22, 0x7c010000
	s_mov_b32 s17, exec_lo
	s_delay_alu instid0(VALU_DEP_2) | instskip(NEXT) | instid1(VALU_DEP_1)
	v_and_b32_e32 v25, 0x7f, v23
	v_cmpx_ne_u32_e32 0x7f, v25
	s_cbranch_execz .LBB269_566
; %bb.563:                              ;   in Loop: Header=BB269_552 Depth=1
	v_dual_lshrrev_b32 v24, 3, v25 :: v_dual_bitop2_b32 v22, 7, v23 bitop3:0x40
	s_mov_b32 s18, exec_lo
	v_cmpx_gt_u32_e32 8, v25
; %bb.564:                              ;   in Loop: Header=BB269_552 Depth=1
	s_delay_alu instid0(VALU_DEP_2) | instskip(NEXT) | instid1(VALU_DEP_1)
	v_clz_i32_u32_e32 v22, v22
	v_min_u32_e32 v22, 32, v22
	s_delay_alu instid0(VALU_DEP_1) | instskip(NEXT) | instid1(VALU_DEP_1)
	v_subrev_nc_u32_e32 v24, 28, v22
	v_lshlrev_b64_e32 v[26:27], v24, v[10:11]
	v_sub_nc_u32_e32 v24, 29, v22
	s_delay_alu instid0(VALU_DEP_2)
	v_and_b32_e32 v22, 7, v26
; %bb.565:                              ;   in Loop: Header=BB269_552 Depth=1
	s_or_b32 exec_lo, exec_lo, s18
	s_delay_alu instid0(VALU_DEP_1) | instskip(NEXT) | instid1(VALU_DEP_3)
	v_dual_lshlrev_b32 v10, 8, v23 :: v_dual_lshlrev_b32 v22, 23, v22
	v_lshl_add_u32 v23, v24, 10, 0x2000
	s_delay_alu instid0(VALU_DEP_1) | instskip(NEXT) | instid1(VALU_DEP_1)
	v_and_or_b32 v10, 0x8000, v10, v23
	v_lshl_or_b32 v22, v10, 16, v22
.LBB269_566:                            ;   in Loop: Header=BB269_552 Depth=1
	s_or_b32 exec_lo, exec_lo, s17
.LBB269_567:                            ;   in Loop: Header=BB269_552 Depth=1
	s_delay_alu instid0(SALU_CYCLE_1)
	s_or_b32 exec_lo, exec_lo, s16
.LBB269_568:                            ;   in Loop: Header=BB269_552 Depth=1
	s_delay_alu instid0(SALU_CYCLE_1) | instskip(SKIP_2) | instid1(VALU_DEP_1)
	s_or_b32 exec_lo, exec_lo, s0
	v_lshrrev_b32_e32 v10, 16, v20
	s_mov_b32 s0, exec_lo
	v_and_b32_e32 v23, 0xff, v10
	s_delay_alu instid0(VALU_DEP_1)
	v_cmpx_ne_u16_e32 0, v23
	s_cbranch_execz .LBB269_576
; %bb.569:                              ;   in Loop: Header=BB269_552 Depth=1
	v_mov_b32_e32 v19, 0x8000
	s_mov_b32 s16, exec_lo
	v_cmpx_ne_u16_e32 0x80, v23
	s_cbranch_execz .LBB269_575
; %bb.570:                              ;   in Loop: Header=BB269_552 Depth=1
	v_bfe_u32 v24, v20, 16, 7
	v_mov_b32_e32 v19, 0x7c01
	s_mov_b32 s17, exec_lo
	s_delay_alu instid0(VALU_DEP_2)
	v_cmpx_ne_u32_e32 0x7f, v24
	s_cbranch_execz .LBB269_574
; %bb.571:                              ;   in Loop: Header=BB269_552 Depth=1
	v_dual_lshrrev_b32 v23, 3, v24 :: v_dual_bitop2_b32 v19, 7, v10 bitop3:0x40
	s_mov_b32 s18, exec_lo
	v_cmpx_gt_u32_e32 8, v24
; %bb.572:                              ;   in Loop: Header=BB269_552 Depth=1
	s_delay_alu instid0(VALU_DEP_2) | instskip(NEXT) | instid1(VALU_DEP_1)
	v_clz_i32_u32_e32 v19, v19
	v_min_u32_e32 v19, 32, v19
	s_delay_alu instid0(VALU_DEP_1) | instskip(NEXT) | instid1(VALU_DEP_1)
	v_subrev_nc_u32_e32 v23, 28, v19
	v_lshlrev_b64_e32 v[24:25], v23, v[10:11]
	s_delay_alu instid0(VALU_DEP_1)
	v_dual_sub_nc_u32 v23, 29, v19 :: v_dual_bitop2_b32 v19, 7, v24 bitop3:0x40
; %bb.573:                              ;   in Loop: Header=BB269_552 Depth=1
	s_or_b32 exec_lo, exec_lo, s18
	s_delay_alu instid0(VALU_DEP_1) | instskip(NEXT) | instid1(VALU_DEP_2)
	v_dual_lshlrev_b32 v10, 8, v10 :: v_dual_lshlrev_b32 v19, 7, v19
	v_lshl_add_u32 v23, v23, 10, 0x2000
	s_delay_alu instid0(VALU_DEP_2) | instskip(NEXT) | instid1(VALU_DEP_2)
	v_and_b32_e32 v10, 0x8000, v10
	v_and_b32_e32 v23, 0xfc00, v23
	s_delay_alu instid0(VALU_DEP_1)
	v_or3_b32 v19, v10, v23, v19
.LBB269_574:                            ;   in Loop: Header=BB269_552 Depth=1
	s_or_b32 exec_lo, exec_lo, s17
.LBB269_575:                            ;   in Loop: Header=BB269_552 Depth=1
	s_delay_alu instid0(SALU_CYCLE_1)
	s_or_b32 exec_lo, exec_lo, s16
.LBB269_576:                            ;   in Loop: Header=BB269_552 Depth=1
	s_delay_alu instid0(SALU_CYCLE_1)
	s_or_b32 exec_lo, exec_lo, s0
	v_dual_mov_b32 v23, 0 :: v_dual_mov_b32 v24, 0
	s_mov_b32 s0, exec_lo
	v_cmpx_lt_u32_e32 0xffffff, v20
	s_cbranch_execz .LBB269_584
; %bb.577:                              ;   in Loop: Header=BB269_552 Depth=1
	v_lshrrev_b32_e32 v10, 24, v20
	v_bfrev_b32_e32 v24, 1
	s_mov_b32 s16, exec_lo
	s_delay_alu instid0(VALU_DEP_2)
	v_cmpx_ne_u32_e32 0x80, v10
	s_cbranch_execz .LBB269_583
; %bb.578:                              ;   in Loop: Header=BB269_552 Depth=1
	v_and_b32_e32 v26, 0x7f, v10
	v_mov_b32_e32 v24, 0x7c010000
	s_mov_b32 s17, exec_lo
	s_delay_alu instid0(VALU_DEP_2)
	v_cmpx_ne_u32_e32 0x7f, v26
	s_cbranch_execz .LBB269_582
; %bb.579:                              ;   in Loop: Header=BB269_552 Depth=1
	v_and_b32_e32 v24, 7, v10
	v_lshrrev_b32_e32 v25, 3, v26
	s_mov_b32 s18, exec_lo
	v_cmpx_gt_u32_e32 8, v26
; %bb.580:                              ;   in Loop: Header=BB269_552 Depth=1
	s_delay_alu instid0(VALU_DEP_3) | instskip(NEXT) | instid1(VALU_DEP_1)
	v_clz_i32_u32_e32 v24, v24
	v_min_u32_e32 v26, 32, v24
	s_delay_alu instid0(VALU_DEP_1) | instskip(NEXT) | instid1(VALU_DEP_1)
	v_subrev_nc_u32_e32 v24, 28, v26
	v_lshlrev_b64_e32 v[24:25], v24, v[10:11]
	s_delay_alu instid0(VALU_DEP_1)
	v_dual_sub_nc_u32 v25, 29, v26 :: v_dual_bitop2_b32 v24, 7, v24 bitop3:0x40
; %bb.581:                              ;   in Loop: Header=BB269_552 Depth=1
	s_or_b32 exec_lo, exec_lo, s18
	s_delay_alu instid0(VALU_DEP_1) | instskip(NEXT) | instid1(VALU_DEP_2)
	v_dual_lshlrev_b32 v10, 8, v10 :: v_dual_lshlrev_b32 v24, 23, v24
	v_lshl_add_u32 v25, v25, 10, 0x2000
	s_delay_alu instid0(VALU_DEP_1) | instskip(NEXT) | instid1(VALU_DEP_1)
	v_and_or_b32 v10, 0x8000, v10, v25
	v_lshl_or_b32 v24, v10, 16, v24
.LBB269_582:                            ;   in Loop: Header=BB269_552 Depth=1
	s_or_b32 exec_lo, exec_lo, s17
.LBB269_583:                            ;   in Loop: Header=BB269_552 Depth=1
	s_delay_alu instid0(SALU_CYCLE_1)
	s_or_b32 exec_lo, exec_lo, s16
.LBB269_584:                            ;   in Loop: Header=BB269_552 Depth=1
	s_delay_alu instid0(SALU_CYCLE_1) | instskip(SKIP_3) | instid1(VALU_DEP_2)
	s_or_b32 exec_lo, exec_lo, s0
	v_and_b32_e32 v25, 0xff, v21
	v_mov_b32_e32 v10, v21
	s_mov_b32 s0, exec_lo
	v_cmpx_ne_u16_e32 0, v25
	s_cbranch_execz .LBB269_592
; %bb.585:                              ;   in Loop: Header=BB269_552 Depth=1
	v_mov_b32_e32 v23, 0x8000
	s_mov_b32 s16, exec_lo
	v_cmpx_ne_u16_e32 0x80, v25
	s_cbranch_execz .LBB269_591
; %bb.586:                              ;   in Loop: Header=BB269_552 Depth=1
	v_and_b32_e32 v26, 0x7f, v21
	v_mov_b32_e32 v23, 0x7c01
	s_mov_b32 s17, exec_lo
	s_delay_alu instid0(VALU_DEP_2)
	v_cmpx_ne_u32_e32 0x7f, v26
	s_cbranch_execz .LBB269_590
; %bb.587:                              ;   in Loop: Header=BB269_552 Depth=1
	v_dual_lshrrev_b32 v25, 3, v26 :: v_dual_bitop2_b32 v23, 7, v21 bitop3:0x40
	s_mov_b32 s18, exec_lo
	v_cmpx_gt_u32_e32 8, v26
; %bb.588:                              ;   in Loop: Header=BB269_552 Depth=1
	s_delay_alu instid0(VALU_DEP_2) | instskip(NEXT) | instid1(VALU_DEP_1)
	v_clz_i32_u32_e32 v23, v23
	v_min_u32_e32 v23, 32, v23
	s_delay_alu instid0(VALU_DEP_1) | instskip(NEXT) | instid1(VALU_DEP_1)
	v_subrev_nc_u32_e32 v25, 28, v23
	v_lshlrev_b64_e32 v[26:27], v25, v[10:11]
	s_delay_alu instid0(VALU_DEP_1)
	v_dual_sub_nc_u32 v25, 29, v23 :: v_dual_bitop2_b32 v23, 7, v26 bitop3:0x40
; %bb.589:                              ;   in Loop: Header=BB269_552 Depth=1
	s_or_b32 exec_lo, exec_lo, s18
	s_delay_alu instid0(VALU_DEP_1) | instskip(NEXT) | instid1(VALU_DEP_2)
	v_dual_lshlrev_b32 v26, 8, v21 :: v_dual_lshlrev_b32 v23, 7, v23
	v_lshl_add_u32 v25, v25, 10, 0x2000
	s_delay_alu instid0(VALU_DEP_2) | instskip(NEXT) | instid1(VALU_DEP_2)
	v_and_b32_e32 v26, 0x8000, v26
	v_and_b32_e32 v25, 0xfc00, v25
	s_delay_alu instid0(VALU_DEP_1)
	v_or3_b32 v23, v26, v25, v23
.LBB269_590:                            ;   in Loop: Header=BB269_552 Depth=1
	s_or_b32 exec_lo, exec_lo, s17
.LBB269_591:                            ;   in Loop: Header=BB269_552 Depth=1
	s_delay_alu instid0(SALU_CYCLE_1)
	s_or_b32 exec_lo, exec_lo, s16
.LBB269_592:                            ;   in Loop: Header=BB269_552 Depth=1
	s_delay_alu instid0(SALU_CYCLE_1) | instskip(SKIP_3) | instid1(VALU_DEP_2)
	s_or_b32 exec_lo, exec_lo, s0
	v_lshrrev_b16 v10, 8, v10
	v_dual_mov_b32 v26, 0 :: v_dual_mov_b32 v25, 0
	s_mov_b32 s0, exec_lo
	v_cmpx_ne_u16_e32 0, v10
	s_cbranch_execz .LBB269_600
; %bb.593:                              ;   in Loop: Header=BB269_552 Depth=1
	v_bfrev_b32_e32 v25, 1
	s_mov_b32 s16, exec_lo
	v_cmpx_ne_u16_e32 0x80, v10
	s_cbranch_execz .LBB269_599
; %bb.594:                              ;   in Loop: Header=BB269_552 Depth=1
	v_and_b32_e32 v27, 0xffff, v10
	v_mov_b32_e32 v25, 0x7c010000
	s_mov_b32 s17, exec_lo
	s_delay_alu instid0(VALU_DEP_2) | instskip(NEXT) | instid1(VALU_DEP_1)
	v_and_b32_e32 v37, 0x7f, v27
	v_cmpx_ne_u32_e32 0x7f, v37
	s_cbranch_execz .LBB269_598
; %bb.595:                              ;   in Loop: Header=BB269_552 Depth=1
	v_dual_lshrrev_b32 v36, 3, v37 :: v_dual_bitop2_b32 v25, 7, v27 bitop3:0x40
	s_mov_b32 s18, exec_lo
	v_cmpx_gt_u32_e32 8, v37
; %bb.596:                              ;   in Loop: Header=BB269_552 Depth=1
	s_delay_alu instid0(VALU_DEP_2) | instskip(NEXT) | instid1(VALU_DEP_1)
	v_clz_i32_u32_e32 v25, v25
	v_min_u32_e32 v25, 32, v25
	s_delay_alu instid0(VALU_DEP_1) | instskip(NEXT) | instid1(VALU_DEP_1)
	v_subrev_nc_u32_e32 v36, 28, v25
	v_lshlrev_b64_e32 v[38:39], v36, v[10:11]
	s_delay_alu instid0(VALU_DEP_1)
	v_dual_sub_nc_u32 v36, 29, v25 :: v_dual_bitop2_b32 v25, 7, v38 bitop3:0x40
; %bb.597:                              ;   in Loop: Header=BB269_552 Depth=1
	s_or_b32 exec_lo, exec_lo, s18
	s_delay_alu instid0(VALU_DEP_1) | instskip(NEXT) | instid1(VALU_DEP_2)
	v_dual_lshlrev_b32 v10, 8, v27 :: v_dual_lshlrev_b32 v25, 23, v25
	v_lshl_add_u32 v27, v36, 10, 0x2000
	s_delay_alu instid0(VALU_DEP_1) | instskip(NEXT) | instid1(VALU_DEP_1)
	v_and_or_b32 v10, 0x8000, v10, v27
	v_lshl_or_b32 v25, v10, 16, v25
.LBB269_598:                            ;   in Loop: Header=BB269_552 Depth=1
	s_or_b32 exec_lo, exec_lo, s17
.LBB269_599:                            ;   in Loop: Header=BB269_552 Depth=1
	s_delay_alu instid0(SALU_CYCLE_1)
	s_or_b32 exec_lo, exec_lo, s16
.LBB269_600:                            ;   in Loop: Header=BB269_552 Depth=1
	s_delay_alu instid0(SALU_CYCLE_1) | instskip(SKIP_2) | instid1(VALU_DEP_1)
	s_or_b32 exec_lo, exec_lo, s0
	v_lshrrev_b32_e32 v10, 16, v21
	s_mov_b32 s0, exec_lo
	v_and_b32_e32 v27, 0xff, v10
	s_delay_alu instid0(VALU_DEP_1)
	v_cmpx_ne_u16_e32 0, v27
	s_cbranch_execz .LBB269_608
; %bb.601:                              ;   in Loop: Header=BB269_552 Depth=1
	v_mov_b32_e32 v26, 0x8000
	s_mov_b32 s16, exec_lo
	v_cmpx_ne_u16_e32 0x80, v27
	s_cbranch_execz .LBB269_607
; %bb.602:                              ;   in Loop: Header=BB269_552 Depth=1
	v_bfe_u32 v36, v21, 16, 7
	v_mov_b32_e32 v26, 0x7c01
	s_mov_b32 s17, exec_lo
	s_delay_alu instid0(VALU_DEP_2)
	v_cmpx_ne_u32_e32 0x7f, v36
	s_cbranch_execz .LBB269_606
; %bb.603:                              ;   in Loop: Header=BB269_552 Depth=1
	v_dual_lshrrev_b32 v27, 3, v36 :: v_dual_bitop2_b32 v26, 7, v10 bitop3:0x40
	s_mov_b32 s18, exec_lo
	v_cmpx_gt_u32_e32 8, v36
; %bb.604:                              ;   in Loop: Header=BB269_552 Depth=1
	s_delay_alu instid0(VALU_DEP_2) | instskip(NEXT) | instid1(VALU_DEP_1)
	v_clz_i32_u32_e32 v26, v26
	v_min_u32_e32 v36, 32, v26
	s_delay_alu instid0(VALU_DEP_1) | instskip(NEXT) | instid1(VALU_DEP_1)
	v_subrev_nc_u32_e32 v26, 28, v36
	v_lshlrev_b64_e32 v[26:27], v26, v[10:11]
	s_delay_alu instid0(VALU_DEP_1)
	v_dual_sub_nc_u32 v27, 29, v36 :: v_dual_bitop2_b32 v26, 7, v26 bitop3:0x40
; %bb.605:                              ;   in Loop: Header=BB269_552 Depth=1
	s_or_b32 exec_lo, exec_lo, s18
	v_lshlrev_b32_e32 v10, 8, v10
	s_delay_alu instid0(VALU_DEP_2) | instskip(NEXT) | instid1(VALU_DEP_3)
	v_lshl_add_u32 v27, v27, 10, 0x2000
	v_lshlrev_b32_e32 v26, 7, v26
	s_delay_alu instid0(VALU_DEP_3) | instskip(NEXT) | instid1(VALU_DEP_3)
	v_and_b32_e32 v10, 0x8000, v10
	v_and_b32_e32 v27, 0xfc00, v27
	s_delay_alu instid0(VALU_DEP_1)
	v_or3_b32 v26, v10, v27, v26
.LBB269_606:                            ;   in Loop: Header=BB269_552 Depth=1
	s_or_b32 exec_lo, exec_lo, s17
.LBB269_607:                            ;   in Loop: Header=BB269_552 Depth=1
	s_delay_alu instid0(SALU_CYCLE_1)
	s_or_b32 exec_lo, exec_lo, s16
.LBB269_608:                            ;   in Loop: Header=BB269_552 Depth=1
	s_delay_alu instid0(SALU_CYCLE_1)
	s_or_b32 exec_lo, exec_lo, s0
	v_cmp_lt_u64_e32 vcc_lo, s[4:5], v[20:21]
	v_mov_b32_e32 v20, 0
	s_and_saveexec_b32 s0, vcc_lo
	s_cbranch_execz .LBB269_616
; %bb.609:                              ;   in Loop: Header=BB269_552 Depth=1
	v_lshrrev_b32_e32 v10, 24, v21
	v_bfrev_b32_e32 v20, 1
	s_mov_b32 s16, exec_lo
	s_delay_alu instid0(VALU_DEP_2)
	v_cmpx_ne_u32_e32 0x80, v10
	s_cbranch_execz .LBB269_615
; %bb.610:                              ;   in Loop: Header=BB269_552 Depth=1
	v_and_b32_e32 v27, 0x7f, v10
	v_mov_b32_e32 v20, 0x7c010000
	s_mov_b32 s17, exec_lo
	s_delay_alu instid0(VALU_DEP_2)
	v_cmpx_ne_u32_e32 0x7f, v27
	s_cbranch_execz .LBB269_614
; %bb.611:                              ;   in Loop: Header=BB269_552 Depth=1
	v_dual_lshrrev_b32 v21, 3, v27 :: v_dual_bitop2_b32 v20, 7, v10 bitop3:0x40
	s_mov_b32 s18, exec_lo
	v_cmpx_gt_u32_e32 8, v27
; %bb.612:                              ;   in Loop: Header=BB269_552 Depth=1
	s_delay_alu instid0(VALU_DEP_2) | instskip(NEXT) | instid1(VALU_DEP_1)
	v_clz_i32_u32_e32 v20, v20
	v_min_u32_e32 v27, 32, v20
	s_delay_alu instid0(VALU_DEP_1) | instskip(NEXT) | instid1(VALU_DEP_1)
	v_subrev_nc_u32_e32 v20, 28, v27
	v_lshlrev_b64_e32 v[20:21], v20, v[10:11]
	s_delay_alu instid0(VALU_DEP_1)
	v_dual_sub_nc_u32 v21, 29, v27 :: v_dual_bitop2_b32 v20, 7, v20 bitop3:0x40
; %bb.613:                              ;   in Loop: Header=BB269_552 Depth=1
	s_or_b32 exec_lo, exec_lo, s18
	s_delay_alu instid0(VALU_DEP_1) | instskip(NEXT) | instid1(VALU_DEP_2)
	v_dual_lshlrev_b32 v10, 8, v10 :: v_dual_lshlrev_b32 v20, 23, v20
	v_lshl_add_u32 v21, v21, 10, 0x2000
	s_delay_alu instid0(VALU_DEP_1) | instskip(NEXT) | instid1(VALU_DEP_1)
	v_and_or_b32 v10, 0x8000, v10, v21
	v_lshl_or_b32 v20, v10, 16, v20
.LBB269_614:                            ;   in Loop: Header=BB269_552 Depth=1
	s_or_b32 exec_lo, exec_lo, s17
.LBB269_615:                            ;   in Loop: Header=BB269_552 Depth=1
	s_delay_alu instid0(SALU_CYCLE_1)
	s_or_b32 exec_lo, exec_lo, s16
.LBB269_616:                            ;   in Loop: Header=BB269_552 Depth=1
	s_delay_alu instid0(SALU_CYCLE_1) | instskip(SKIP_3) | instid1(VALU_DEP_3)
	s_or_b32 exec_lo, exec_lo, s0
	v_dual_lshrrev_b32 v10, 16, v22 :: v_dual_lshrrev_b32 v21, 16, v24
	v_or_b32_e32 v1, v22, v1
	v_dual_lshrrev_b32 v22, 16, v25 :: v_dual_bitop2_b32 v19, v24, v19 bitop3:0x54
	v_cvt_f32_f16_e32 v37, v10
	s_delay_alu instid0(VALU_DEP_4) | instskip(SKIP_1) | instid1(VALU_DEP_4)
	v_cvt_f32_f16_e32 v36, v21
	v_dual_lshrrev_b32 v24, 16, v20 :: v_dual_bitop2_b32 v10, v20, v26 bitop3:0x54
	v_cvt_f32_f16_e32 v20, v19
	v_cvt_f32_f16_e32 v21, v1
	s_wait_loadcnt 0x0
	v_pk_mul_f32 v[26:27], v[18:19], v[36:37] op_sel_hi:[0,1]
	v_or_b32_e32 v19, v25, v23
	v_cvt_f32_f16_e32 v23, v22
	v_cvt_f32_f16_e32 v22, v24
	;; [unrolled: 1-line block ×3, first 2 shown]
	v_cvt_pk_f16_f32 v1, v26, v27
	v_pk_mul_f32 v[20:21], v[18:19], v[20:21] op_sel_hi:[0,1]
	v_cmp_eq_u32_e32 vcc_lo, s13, v35
	v_or_b32_e32 v41, 1, v33
	v_or_b32_e32 v40, 3, v33
	v_or_b32_e32 v39, 4, v33
	v_cvt_pk_f16_f32 v10, v20, v21
	v_or_b32_e32 v38, 6, v33
	v_or_b32_e32 v37, 5, v33
	v_dual_add_nc_u32 v42, 2, v33 :: v_dual_bitop2_b32 v36, 7, v33 bitop3:0x54
	s_delay_alu instid0(VALU_DEP_4) | instskip(SKIP_3) | instid1(VALU_DEP_3)
	v_lshrrev_b32_e32 v27, 16, v10
	v_cvt_f32_f16_e32 v25, v19
	v_pk_mul_f32 v[22:23], v[18:19], v[22:23] op_sel_hi:[0,1]
	v_and_b32_e32 v26, 0xffff, v10
	v_pk_mul_f32 v[18:19], v[18:19], v[24:25] op_sel_hi:[0,1]
	s_delay_alu instid0(VALU_DEP_3) | instskip(SKIP_2) | instid1(VALU_DEP_4)
	v_cvt_pk_f16_f32 v20, v22, v23
	v_and_b32_e32 v25, 0xffff0000, v1
	v_lshlrev_b32_e32 v24, 16, v1
	v_cvt_pk_f16_f32 v18, v18, v19
	s_delay_alu instid0(VALU_DEP_4) | instskip(NEXT) | instid1(VALU_DEP_4)
	v_and_b32_e32 v1, 0xffff0000, v20
	v_dual_lshlrev_b32 v10, 16, v20 :: v_dual_bitop2_b32 v21, v25, v27 bitop3:0x54
	s_delay_alu instid0(VALU_DEP_4) | instskip(NEXT) | instid1(VALU_DEP_4)
	v_or_b32_e32 v20, v24, v26
	v_lshrrev_b32_e32 v23, 16, v18
	v_and_b32_e32 v22, 0xffff, v18
	s_delay_alu instid0(VALU_DEP_2) | instskip(NEXT) | instid1(VALU_DEP_2)
	v_or_b32_e32 v19, v1, v23
	v_or_b32_e32 v18, v10, v22
	s_and_saveexec_b32 s16, vcc_lo
	s_cbranch_execz .LBB269_618
; %bb.617:                              ;   in Loop: Header=BB269_552 Depth=1
	v_cmp_gt_i32_e64 s0, s15, v33
	s_delay_alu instid0(VALU_DEP_1) | instskip(SKIP_1) | instid1(VALU_DEP_1)
	v_cndmask_b32_e64 v18, 0, v27, s0
	v_cmp_gt_i32_e64 s0, s25, v42
	v_cndmask_b32_e64 v19, 0, v26, s0
	v_cmp_gt_i32_e64 s0, s15, v41
	s_delay_alu instid0(VALU_DEP_1) | instskip(SKIP_1) | instid1(VALU_DEP_1)
	v_cndmask_b32_e64 v20, 0, v25, s0
	v_cmp_gt_i32_e64 s0, s25, v40
	v_cndmask_b32_e64 v24, 0, v24, s0
	v_cmp_gt_i32_e64 s0, s15, v39
	s_delay_alu instid0(VALU_DEP_4) | instskip(NEXT) | instid1(VALU_DEP_3)
	v_or_b32_e32 v21, v20, v18
	v_or_b32_e32 v20, v24, v19
	s_delay_alu instid0(VALU_DEP_3) | instskip(SKIP_1) | instid1(VALU_DEP_1)
	v_cndmask_b32_e64 v23, 0, v23, s0
	v_cmp_gt_i32_e64 s0, s25, v38
	v_cndmask_b32_e64 v22, 0, v22, s0
	v_cmp_gt_i32_e64 s0, s15, v37
	s_delay_alu instid0(VALU_DEP_1) | instskip(SKIP_1) | instid1(VALU_DEP_1)
	v_cndmask_b32_e64 v1, 0, v1, s0
	v_cmp_gt_i32_e64 s0, s25, v36
	v_dual_cndmask_b32 v10, 0, v10, s0 :: v_dual_bitop2_b32 v19, v1, v23 bitop3:0x54
	s_delay_alu instid0(VALU_DEP_1)
	v_or_b32_e32 v18, v10, v22
.LBB269_618:                            ;   in Loop: Header=BB269_552 Depth=1
	s_or_b32 exec_lo, exec_lo, s16
	v_and_b32_e32 v1, 0xffff, v46
	v_and_b32_e32 v10, 0xffff, v47
	v_and_b32_e32 v22, 0xffff, v48
	v_and_b32_e32 v23, 0xffff, v50
	s_mov_b32 s16, exec_lo
	v_lshl_or_b32 v48, v43, 16, v1
	;;#ASMSTART
	v_pk_mul_f16 v1, v48, v21;

	;;#ASMEND
	v_lshl_or_b32 v47, v44, 16, v10
	v_lshl_or_b32 v46, v45, 16, v22
	;; [unrolled: 1-line block ×3, first 2 shown]
	;;#ASMSTART
	v_pk_mul_f16 v10, v47, v20;

	;;#ASMEND
	;;#ASMSTART
	v_pk_mul_f16 v19, v46, v19;

	;;#ASMEND
	;; [unrolled: 4-line block ×3, first 2 shown]
	;;#ASMSTART
	v_pk_add_f16 v1, v1, v10;

	;;#ASMEND
	;;#ASMSTART
	v_pk_add_f16 v1, v1, v19;

	;;#ASMEND
	;; [unrolled: 4-line block ×3, first 2 shown]
	v_and_b32_e32 v10, 0xffff, v1
	v_dual_lshrrev_b32 v1, 16, v1 :: v_dual_mov_b32 v19, 0
	;;#ASMSTART
	v_cvt_f32_f16 v49, v10;
	;;#ASMEND
	;;#ASMSTART
	v_cvt_f32_f16 v50, v1;
	;;#ASMEND
	global_load_b64 v[20:21], v[16:17], off offset:256
	v_mov_b32_e32 v1, 0
	global_load_b32 v18, v1, s[10:11]
	s_wait_loadcnt 0x1
	v_and_b32_e32 v10, 0xff, v20
	s_wait_xcnt 0x0
	s_delay_alu instid0(VALU_DEP_1)
	v_cmpx_ne_u16_e32 0, v10
	s_cbranch_execz .LBB269_626
; %bb.619:                              ;   in Loop: Header=BB269_552 Depth=1
	v_mov_b32_e32 v19, 0x8000
	s_mov_b32 s17, exec_lo
	v_cmpx_ne_u16_e32 0x80, v10
	s_cbranch_execz .LBB269_625
; %bb.620:                              ;   in Loop: Header=BB269_552 Depth=1
	v_and_b32_e32 v22, 0x7f, v20
	v_mov_b32_e32 v19, 0x7c01
	s_mov_b32 s18, exec_lo
	s_delay_alu instid0(VALU_DEP_2)
	v_cmpx_ne_u32_e32 0x7f, v22
	s_cbranch_execz .LBB269_624
; %bb.621:                              ;   in Loop: Header=BB269_552 Depth=1
	v_dual_lshrrev_b32 v19, 3, v22 :: v_dual_bitop2_b32 v10, 7, v20 bitop3:0x40
	s_mov_b32 s19, exec_lo
	v_cmpx_gt_u32_e32 8, v22
; %bb.622:                              ;   in Loop: Header=BB269_552 Depth=1
	s_delay_alu instid0(VALU_DEP_2) | instskip(NEXT) | instid1(VALU_DEP_1)
	v_clz_i32_u32_e32 v10, v10
	v_min_u32_e32 v10, 32, v10
	s_delay_alu instid0(VALU_DEP_1) | instskip(NEXT) | instid1(VALU_DEP_1)
	v_subrev_nc_u32_e32 v19, 28, v10
	v_lshlrev_b64_e32 v[22:23], v19, v[20:21]
	v_sub_nc_u32_e32 v19, 29, v10
	s_delay_alu instid0(VALU_DEP_2)
	v_and_b32_e32 v10, 7, v22
; %bb.623:                              ;   in Loop: Header=BB269_552 Depth=1
	s_or_b32 exec_lo, exec_lo, s19
	s_delay_alu instid0(VALU_DEP_1) | instskip(NEXT) | instid1(VALU_DEP_3)
	v_dual_lshlrev_b32 v22, 8, v20 :: v_dual_lshlrev_b32 v10, 7, v10
	v_lshl_add_u32 v19, v19, 10, 0x2000
	s_delay_alu instid0(VALU_DEP_2) | instskip(NEXT) | instid1(VALU_DEP_2)
	v_and_b32_e32 v22, 0x8000, v22
	v_and_b32_e32 v19, 0xfc00, v19
	s_delay_alu instid0(VALU_DEP_1)
	v_or3_b32 v19, v22, v19, v10
.LBB269_624:                            ;   in Loop: Header=BB269_552 Depth=1
	s_or_b32 exec_lo, exec_lo, s18
.LBB269_625:                            ;   in Loop: Header=BB269_552 Depth=1
	s_delay_alu instid0(SALU_CYCLE_1)
	s_or_b32 exec_lo, exec_lo, s17
.LBB269_626:                            ;   in Loop: Header=BB269_552 Depth=1
	s_delay_alu instid0(SALU_CYCLE_1) | instskip(SKIP_2) | instid1(VALU_DEP_1)
	s_or_b32 exec_lo, exec_lo, s16
	v_lshrrev_b16 v10, 8, v20
	s_mov_b32 s16, exec_lo
	v_cmpx_ne_u16_e32 0, v10
	s_cbranch_execz .LBB269_634
; %bb.627:                              ;   in Loop: Header=BB269_552 Depth=1
	v_bfrev_b32_e32 v1, 1
	s_mov_b32 s17, exec_lo
	v_cmpx_ne_u16_e32 0x80, v10
	s_cbranch_execz .LBB269_633
; %bb.628:                              ;   in Loop: Header=BB269_552 Depth=1
	v_and_b32_e32 v22, 0xffff, v10
	v_mov_b32_e32 v1, 0x7c010000
	s_mov_b32 s18, exec_lo
	s_delay_alu instid0(VALU_DEP_2) | instskip(NEXT) | instid1(VALU_DEP_1)
	v_and_b32_e32 v24, 0x7f, v22
	v_cmpx_ne_u32_e32 0x7f, v24
	s_cbranch_execz .LBB269_632
; %bb.629:                              ;   in Loop: Header=BB269_552 Depth=1
	v_dual_lshrrev_b32 v23, 3, v24 :: v_dual_bitop2_b32 v1, 7, v22 bitop3:0x40
	s_mov_b32 s19, exec_lo
	v_cmpx_gt_u32_e32 8, v24
; %bb.630:                              ;   in Loop: Header=BB269_552 Depth=1
	s_delay_alu instid0(VALU_DEP_2) | instskip(NEXT) | instid1(VALU_DEP_1)
	v_clz_i32_u32_e32 v1, v1
	v_min_u32_e32 v1, 32, v1
	s_delay_alu instid0(VALU_DEP_1) | instskip(NEXT) | instid1(VALU_DEP_1)
	v_subrev_nc_u32_e32 v23, 28, v1
	v_lshlrev_b64_e32 v[24:25], v23, v[10:11]
	s_delay_alu instid0(VALU_DEP_1)
	v_dual_sub_nc_u32 v23, 29, v1 :: v_dual_bitop2_b32 v1, 7, v24 bitop3:0x40
; %bb.631:                              ;   in Loop: Header=BB269_552 Depth=1
	s_or_b32 exec_lo, exec_lo, s19
	s_delay_alu instid0(VALU_DEP_1) | instskip(NEXT) | instid1(VALU_DEP_2)
	v_dual_lshlrev_b32 v10, 8, v22 :: v_dual_lshlrev_b32 v1, 23, v1
	v_lshl_add_u32 v22, v23, 10, 0x2000
	s_delay_alu instid0(VALU_DEP_1) | instskip(NEXT) | instid1(VALU_DEP_1)
	v_and_or_b32 v10, 0x8000, v10, v22
	v_lshl_or_b32 v1, v10, 16, v1
.LBB269_632:                            ;   in Loop: Header=BB269_552 Depth=1
	s_or_b32 exec_lo, exec_lo, s18
.LBB269_633:                            ;   in Loop: Header=BB269_552 Depth=1
	s_delay_alu instid0(SALU_CYCLE_1)
	s_or_b32 exec_lo, exec_lo, s17
.LBB269_634:                            ;   in Loop: Header=BB269_552 Depth=1
	s_delay_alu instid0(SALU_CYCLE_1) | instskip(SKIP_3) | instid1(VALU_DEP_2)
	s_or_b32 exec_lo, exec_lo, s16
	v_dual_lshrrev_b32 v10, 16, v20 :: v_dual_mov_b32 v22, 0
	v_mov_b32_e32 v23, 0
	s_mov_b32 s16, exec_lo
	v_and_b32_e32 v24, 0xff, v10
	s_delay_alu instid0(VALU_DEP_1)
	v_cmpx_ne_u16_e32 0, v24
	s_cbranch_execz .LBB269_642
; %bb.635:                              ;   in Loop: Header=BB269_552 Depth=1
	v_mov_b32_e32 v23, 0x8000
	s_mov_b32 s17, exec_lo
	v_cmpx_ne_u16_e32 0x80, v24
	s_cbranch_execz .LBB269_641
; %bb.636:                              ;   in Loop: Header=BB269_552 Depth=1
	v_bfe_u32 v25, v20, 16, 7
	v_mov_b32_e32 v23, 0x7c01
	s_mov_b32 s18, exec_lo
	s_delay_alu instid0(VALU_DEP_2)
	v_cmpx_ne_u32_e32 0x7f, v25
	s_cbranch_execz .LBB269_640
; %bb.637:                              ;   in Loop: Header=BB269_552 Depth=1
	v_dual_lshrrev_b32 v24, 3, v25 :: v_dual_bitop2_b32 v23, 7, v10 bitop3:0x40
	s_mov_b32 s19, exec_lo
	v_cmpx_gt_u32_e32 8, v25
; %bb.638:                              ;   in Loop: Header=BB269_552 Depth=1
	s_delay_alu instid0(VALU_DEP_2) | instskip(NEXT) | instid1(VALU_DEP_1)
	v_clz_i32_u32_e32 v23, v23
	v_min_u32_e32 v23, 32, v23
	s_delay_alu instid0(VALU_DEP_1) | instskip(NEXT) | instid1(VALU_DEP_1)
	v_subrev_nc_u32_e32 v24, 28, v23
	v_lshlrev_b64_e32 v[26:27], v24, v[10:11]
	s_delay_alu instid0(VALU_DEP_1)
	v_dual_sub_nc_u32 v24, 29, v23 :: v_dual_bitop2_b32 v23, 7, v26 bitop3:0x40
; %bb.639:                              ;   in Loop: Header=BB269_552 Depth=1
	s_or_b32 exec_lo, exec_lo, s19
	s_delay_alu instid0(VALU_DEP_1) | instskip(NEXT) | instid1(VALU_DEP_2)
	v_dual_lshlrev_b32 v10, 8, v10 :: v_dual_lshlrev_b32 v23, 7, v23
	v_lshl_add_u32 v24, v24, 10, 0x2000
	s_delay_alu instid0(VALU_DEP_2) | instskip(NEXT) | instid1(VALU_DEP_2)
	v_and_b32_e32 v10, 0x8000, v10
	v_and_b32_e32 v24, 0xfc00, v24
	s_delay_alu instid0(VALU_DEP_1)
	v_or3_b32 v23, v10, v24, v23
.LBB269_640:                            ;   in Loop: Header=BB269_552 Depth=1
	s_or_b32 exec_lo, exec_lo, s18
.LBB269_641:                            ;   in Loop: Header=BB269_552 Depth=1
	s_delay_alu instid0(SALU_CYCLE_1)
	s_or_b32 exec_lo, exec_lo, s17
.LBB269_642:                            ;   in Loop: Header=BB269_552 Depth=1
	s_delay_alu instid0(SALU_CYCLE_1) | instskip(NEXT) | instid1(SALU_CYCLE_1)
	s_or_b32 exec_lo, exec_lo, s16
	s_mov_b32 s16, exec_lo
	v_cmpx_lt_u32_e32 0xffffff, v20
	s_cbranch_execz .LBB269_650
; %bb.643:                              ;   in Loop: Header=BB269_552 Depth=1
	v_lshrrev_b32_e32 v10, 24, v20
	v_bfrev_b32_e32 v22, 1
	s_mov_b32 s17, exec_lo
	s_delay_alu instid0(VALU_DEP_2)
	v_cmpx_ne_u32_e32 0x80, v10
	s_cbranch_execz .LBB269_649
; %bb.644:                              ;   in Loop: Header=BB269_552 Depth=1
	v_and_b32_e32 v25, 0x7f, v10
	v_mov_b32_e32 v22, 0x7c010000
	s_mov_b32 s18, exec_lo
	s_delay_alu instid0(VALU_DEP_2)
	v_cmpx_ne_u32_e32 0x7f, v25
	s_cbranch_execz .LBB269_648
; %bb.645:                              ;   in Loop: Header=BB269_552 Depth=1
	v_dual_lshrrev_b32 v24, 3, v25 :: v_dual_bitop2_b32 v22, 7, v10 bitop3:0x40
	s_mov_b32 s19, exec_lo
	v_cmpx_gt_u32_e32 8, v25
; %bb.646:                              ;   in Loop: Header=BB269_552 Depth=1
	s_delay_alu instid0(VALU_DEP_2) | instskip(NEXT) | instid1(VALU_DEP_1)
	v_clz_i32_u32_e32 v22, v22
	v_min_u32_e32 v22, 32, v22
	s_delay_alu instid0(VALU_DEP_1) | instskip(NEXT) | instid1(VALU_DEP_1)
	v_subrev_nc_u32_e32 v24, 28, v22
	v_lshlrev_b64_e32 v[26:27], v24, v[10:11]
	v_sub_nc_u32_e32 v24, 29, v22
	s_delay_alu instid0(VALU_DEP_2)
	v_and_b32_e32 v22, 7, v26
; %bb.647:                              ;   in Loop: Header=BB269_552 Depth=1
	s_or_b32 exec_lo, exec_lo, s19
	v_lshlrev_b32_e32 v10, 8, v10
	s_delay_alu instid0(VALU_DEP_3) | instskip(NEXT) | instid1(VALU_DEP_3)
	v_lshl_add_u32 v24, v24, 10, 0x2000
	v_lshlrev_b32_e32 v22, 23, v22
	s_delay_alu instid0(VALU_DEP_2) | instskip(NEXT) | instid1(VALU_DEP_1)
	v_and_or_b32 v10, 0x8000, v10, v24
	v_lshl_or_b32 v22, v10, 16, v22
.LBB269_648:                            ;   in Loop: Header=BB269_552 Depth=1
	s_or_b32 exec_lo, exec_lo, s18
.LBB269_649:                            ;   in Loop: Header=BB269_552 Depth=1
	s_delay_alu instid0(SALU_CYCLE_1)
	s_or_b32 exec_lo, exec_lo, s17
.LBB269_650:                            ;   in Loop: Header=BB269_552 Depth=1
	s_delay_alu instid0(SALU_CYCLE_1) | instskip(SKIP_4) | instid1(VALU_DEP_3)
	s_or_b32 exec_lo, exec_lo, s16
	v_and_b32_e32 v26, 0xff, v21
	v_dual_mov_b32 v10, v21 :: v_dual_mov_b32 v25, 0
	v_mov_b32_e32 v24, 0
	s_mov_b32 s16, exec_lo
	v_cmpx_ne_u16_e32 0, v26
	s_cbranch_execz .LBB269_658
; %bb.651:                              ;   in Loop: Header=BB269_552 Depth=1
	v_mov_b32_e32 v24, 0x8000
	s_mov_b32 s17, exec_lo
	v_cmpx_ne_u16_e32 0x80, v26
	s_cbranch_execz .LBB269_657
; %bb.652:                              ;   in Loop: Header=BB269_552 Depth=1
	v_and_b32_e32 v27, 0x7f, v21
	v_mov_b32_e32 v24, 0x7c01
	s_mov_b32 s18, exec_lo
	s_delay_alu instid0(VALU_DEP_2)
	v_cmpx_ne_u32_e32 0x7f, v27
	s_cbranch_execz .LBB269_656
; %bb.653:                              ;   in Loop: Header=BB269_552 Depth=1
	v_dual_lshrrev_b32 v26, 3, v27 :: v_dual_bitop2_b32 v24, 7, v21 bitop3:0x40
	s_mov_b32 s19, exec_lo
	v_cmpx_gt_u32_e32 8, v27
; %bb.654:                              ;   in Loop: Header=BB269_552 Depth=1
	s_delay_alu instid0(VALU_DEP_2) | instskip(NEXT) | instid1(VALU_DEP_1)
	v_clz_i32_u32_e32 v24, v24
	v_min_u32_e32 v24, 32, v24
	s_delay_alu instid0(VALU_DEP_1) | instskip(NEXT) | instid1(VALU_DEP_1)
	v_subrev_nc_u32_e32 v26, 28, v24
	v_lshlrev_b64_e32 v[52:53], v26, v[10:11]
	v_sub_nc_u32_e32 v26, 29, v24
	s_delay_alu instid0(VALU_DEP_2)
	v_and_b32_e32 v24, 7, v52
; %bb.655:                              ;   in Loop: Header=BB269_552 Depth=1
	s_or_b32 exec_lo, exec_lo, s19
	s_delay_alu instid0(VALU_DEP_1) | instskip(NEXT) | instid1(VALU_DEP_3)
	v_dual_lshlrev_b32 v27, 8, v21 :: v_dual_lshlrev_b32 v24, 7, v24
	v_lshl_add_u32 v26, v26, 10, 0x2000
	s_delay_alu instid0(VALU_DEP_2) | instskip(NEXT) | instid1(VALU_DEP_2)
	v_and_b32_e32 v27, 0x8000, v27
	v_and_b32_e32 v26, 0xfc00, v26
	s_delay_alu instid0(VALU_DEP_1)
	v_or3_b32 v24, v27, v26, v24
.LBB269_656:                            ;   in Loop: Header=BB269_552 Depth=1
	s_or_b32 exec_lo, exec_lo, s18
.LBB269_657:                            ;   in Loop: Header=BB269_552 Depth=1
	s_delay_alu instid0(SALU_CYCLE_1)
	s_or_b32 exec_lo, exec_lo, s17
.LBB269_658:                            ;   in Loop: Header=BB269_552 Depth=1
	s_delay_alu instid0(SALU_CYCLE_1) | instskip(SKIP_3) | instid1(VALU_DEP_2)
	s_or_b32 exec_lo, exec_lo, s16
	v_lshrrev_b16 v10, 8, v10
	v_mov_b32_e32 v26, 0
	s_mov_b32 s16, exec_lo
	v_cmpx_ne_u16_e32 0, v10
	s_cbranch_execz .LBB269_666
; %bb.659:                              ;   in Loop: Header=BB269_552 Depth=1
	v_bfrev_b32_e32 v26, 1
	s_mov_b32 s17, exec_lo
	v_cmpx_ne_u16_e32 0x80, v10
	s_cbranch_execz .LBB269_665
; %bb.660:                              ;   in Loop: Header=BB269_552 Depth=1
	v_and_b32_e32 v27, 0xffff, v10
	v_mov_b32_e32 v26, 0x7c010000
	s_mov_b32 s18, exec_lo
	s_delay_alu instid0(VALU_DEP_2) | instskip(NEXT) | instid1(VALU_DEP_1)
	v_and_b32_e32 v44, 0x7f, v27
	v_cmpx_ne_u32_e32 0x7f, v44
	s_cbranch_execz .LBB269_664
; %bb.661:                              ;   in Loop: Header=BB269_552 Depth=1
	v_dual_lshrrev_b32 v43, 3, v44 :: v_dual_bitop2_b32 v26, 7, v27 bitop3:0x40
	s_mov_b32 s19, exec_lo
	v_cmpx_gt_u32_e32 8, v44
; %bb.662:                              ;   in Loop: Header=BB269_552 Depth=1
	s_delay_alu instid0(VALU_DEP_2) | instskip(NEXT) | instid1(VALU_DEP_1)
	v_clz_i32_u32_e32 v26, v26
	v_min_u32_e32 v26, 32, v26
	s_delay_alu instid0(VALU_DEP_1) | instskip(NEXT) | instid1(VALU_DEP_1)
	v_subrev_nc_u32_e32 v43, 28, v26
	v_lshlrev_b64_e32 v[52:53], v43, v[10:11]
	s_delay_alu instid0(VALU_DEP_1)
	v_dual_sub_nc_u32 v43, 29, v26 :: v_dual_bitop2_b32 v26, 7, v52 bitop3:0x40
; %bb.663:                              ;   in Loop: Header=BB269_552 Depth=1
	s_or_b32 exec_lo, exec_lo, s19
	s_delay_alu instid0(VALU_DEP_1) | instskip(NEXT) | instid1(VALU_DEP_2)
	v_dual_lshlrev_b32 v10, 8, v27 :: v_dual_lshlrev_b32 v26, 23, v26
	v_lshl_add_u32 v27, v43, 10, 0x2000
	s_delay_alu instid0(VALU_DEP_1) | instskip(NEXT) | instid1(VALU_DEP_1)
	v_and_or_b32 v10, 0x8000, v10, v27
	v_lshl_or_b32 v26, v10, 16, v26
.LBB269_664:                            ;   in Loop: Header=BB269_552 Depth=1
	s_or_b32 exec_lo, exec_lo, s18
.LBB269_665:                            ;   in Loop: Header=BB269_552 Depth=1
	s_delay_alu instid0(SALU_CYCLE_1)
	s_or_b32 exec_lo, exec_lo, s17
.LBB269_666:                            ;   in Loop: Header=BB269_552 Depth=1
	s_delay_alu instid0(SALU_CYCLE_1) | instskip(SKIP_2) | instid1(VALU_DEP_1)
	s_or_b32 exec_lo, exec_lo, s16
	v_lshrrev_b32_e32 v10, 16, v21
	s_mov_b32 s16, exec_lo
	v_and_b32_e32 v27, 0xff, v10
	s_delay_alu instid0(VALU_DEP_1)
	v_cmpx_ne_u16_e32 0, v27
	s_cbranch_execz .LBB269_674
; %bb.667:                              ;   in Loop: Header=BB269_552 Depth=1
	v_mov_b32_e32 v25, 0x8000
	s_mov_b32 s17, exec_lo
	v_cmpx_ne_u16_e32 0x80, v27
	s_cbranch_execz .LBB269_673
; %bb.668:                              ;   in Loop: Header=BB269_552 Depth=1
	v_bfe_u32 v43, v21, 16, 7
	v_mov_b32_e32 v25, 0x7c01
	s_mov_b32 s18, exec_lo
	s_delay_alu instid0(VALU_DEP_2)
	v_cmpx_ne_u32_e32 0x7f, v43
	s_cbranch_execz .LBB269_672
; %bb.669:                              ;   in Loop: Header=BB269_552 Depth=1
	v_dual_lshrrev_b32 v27, 3, v43 :: v_dual_bitop2_b32 v25, 7, v10 bitop3:0x40
	s_mov_b32 s19, exec_lo
	v_cmpx_gt_u32_e32 8, v43
; %bb.670:                              ;   in Loop: Header=BB269_552 Depth=1
	s_delay_alu instid0(VALU_DEP_2) | instskip(NEXT) | instid1(VALU_DEP_1)
	v_clz_i32_u32_e32 v25, v25
	v_min_u32_e32 v25, 32, v25
	s_delay_alu instid0(VALU_DEP_1) | instskip(NEXT) | instid1(VALU_DEP_1)
	v_subrev_nc_u32_e32 v27, 28, v25
	v_lshlrev_b64_e32 v[52:53], v27, v[10:11]
	s_delay_alu instid0(VALU_DEP_1)
	v_dual_sub_nc_u32 v27, 29, v25 :: v_dual_bitop2_b32 v25, 7, v52 bitop3:0x40
; %bb.671:                              ;   in Loop: Header=BB269_552 Depth=1
	s_or_b32 exec_lo, exec_lo, s19
	s_delay_alu instid0(VALU_DEP_1) | instskip(NEXT) | instid1(VALU_DEP_2)
	v_dual_lshlrev_b32 v10, 8, v10 :: v_dual_lshlrev_b32 v25, 7, v25
	v_lshl_add_u32 v27, v27, 10, 0x2000
	s_delay_alu instid0(VALU_DEP_2) | instskip(NEXT) | instid1(VALU_DEP_2)
	v_and_b32_e32 v10, 0x8000, v10
	v_and_b32_e32 v27, 0xfc00, v27
	s_delay_alu instid0(VALU_DEP_1)
	v_or3_b32 v25, v10, v27, v25
.LBB269_672:                            ;   in Loop: Header=BB269_552 Depth=1
	s_or_b32 exec_lo, exec_lo, s18
.LBB269_673:                            ;   in Loop: Header=BB269_552 Depth=1
	s_delay_alu instid0(SALU_CYCLE_1)
	s_or_b32 exec_lo, exec_lo, s17
.LBB269_674:                            ;   in Loop: Header=BB269_552 Depth=1
	s_delay_alu instid0(SALU_CYCLE_1)
	s_or_b32 exec_lo, exec_lo, s16
	v_cmp_lt_u64_e64 s0, s[4:5], v[20:21]
	v_mov_b32_e32 v20, 0
	s_and_saveexec_b32 s16, s0
	s_cbranch_execz .LBB269_682
; %bb.675:                              ;   in Loop: Header=BB269_552 Depth=1
	v_lshrrev_b32_e32 v10, 24, v21
	v_bfrev_b32_e32 v20, 1
	s_mov_b32 s17, exec_lo
	s_delay_alu instid0(VALU_DEP_2)
	v_cmpx_ne_u32_e32 0x80, v10
	s_cbranch_execz .LBB269_681
; %bb.676:                              ;   in Loop: Header=BB269_552 Depth=1
	v_and_b32_e32 v27, 0x7f, v10
	v_mov_b32_e32 v20, 0x7c010000
	s_mov_b32 s18, exec_lo
	s_delay_alu instid0(VALU_DEP_2)
	v_cmpx_ne_u32_e32 0x7f, v27
	s_cbranch_execz .LBB269_680
; %bb.677:                              ;   in Loop: Header=BB269_552 Depth=1
	v_dual_lshrrev_b32 v21, 3, v27 :: v_dual_bitop2_b32 v20, 7, v10 bitop3:0x40
	s_mov_b32 s19, exec_lo
	v_cmpx_gt_u32_e32 8, v27
; %bb.678:                              ;   in Loop: Header=BB269_552 Depth=1
	s_delay_alu instid0(VALU_DEP_2) | instskip(NEXT) | instid1(VALU_DEP_1)
	v_clz_i32_u32_e32 v20, v20
	v_min_u32_e32 v27, 32, v20
	s_delay_alu instid0(VALU_DEP_1) | instskip(NEXT) | instid1(VALU_DEP_1)
	v_subrev_nc_u32_e32 v20, 28, v27
	v_lshlrev_b64_e32 v[20:21], v20, v[10:11]
	s_delay_alu instid0(VALU_DEP_1)
	v_dual_sub_nc_u32 v21, 29, v27 :: v_dual_bitop2_b32 v20, 7, v20 bitop3:0x40
; %bb.679:                              ;   in Loop: Header=BB269_552 Depth=1
	s_or_b32 exec_lo, exec_lo, s19
	s_delay_alu instid0(VALU_DEP_1) | instskip(NEXT) | instid1(VALU_DEP_2)
	v_dual_lshlrev_b32 v10, 8, v10 :: v_dual_lshlrev_b32 v20, 23, v20
	v_lshl_add_u32 v21, v21, 10, 0x2000
	s_delay_alu instid0(VALU_DEP_1) | instskip(NEXT) | instid1(VALU_DEP_1)
	v_and_or_b32 v10, 0x8000, v10, v21
	v_lshl_or_b32 v20, v10, 16, v20
.LBB269_680:                            ;   in Loop: Header=BB269_552 Depth=1
	s_or_b32 exec_lo, exec_lo, s18
.LBB269_681:                            ;   in Loop: Header=BB269_552 Depth=1
	s_delay_alu instid0(SALU_CYCLE_1)
	s_or_b32 exec_lo, exec_lo, s17
.LBB269_682:                            ;   in Loop: Header=BB269_552 Depth=1
	s_delay_alu instid0(SALU_CYCLE_1) | instskip(SKIP_3) | instid1(VALU_DEP_3)
	s_or_b32 exec_lo, exec_lo, s16
	v_dual_lshrrev_b32 v10, 16, v1 :: v_dual_lshrrev_b32 v21, 16, v22
	v_or_b32_e32 v1, v1, v19
	v_dual_lshrrev_b32 v27, 16, v20 :: v_dual_bitop2_b32 v19, v22, v23 bitop3:0x54
	v_cvt_f32_f16_e32 v23, v10
	s_delay_alu instid0(VALU_DEP_4) | instskip(SKIP_1) | instid1(VALU_DEP_4)
	v_cvt_f32_f16_e32 v22, v21
	v_dual_lshrrev_b32 v25, 16, v26 :: v_dual_bitop2_b32 v10, v20, v25 bitop3:0x54
	v_cvt_f32_f16_e32 v20, v19
	v_cvt_f32_f16_e32 v21, v1
	s_wait_loadcnt 0x0
	v_pk_mul_f32 v[22:23], v[18:19], v[22:23] op_sel_hi:[0,1]
	v_cvt_f32_f16_e32 v25, v25
	s_delay_alu instid0(VALU_DEP_2) | instskip(SKIP_3) | instid1(VALU_DEP_3)
	v_cvt_pk_f16_f32 v1, v22, v23
	v_or_b32_e32 v19, v26, v24
	v_cvt_f32_f16_e32 v24, v27
	v_cvt_f32_f16_e32 v26, v10
	v_pk_mul_f32 v[20:21], v[18:19], v[20:21] op_sel_hi:[0,1]
	s_delay_alu instid0(VALU_DEP_1) | instskip(SKIP_4) | instid1(VALU_DEP_3)
	v_cvt_pk_f16_f32 v10, v20, v21
	v_lshlrev_b32_e32 v20, 16, v1
	v_cvt_f32_f16_e32 v27, v19
	v_pk_mul_f32 v[22:23], v[18:19], v[24:25] op_sel_hi:[0,1]
	v_and_b32_e32 v21, 0xffff0000, v1
	v_pk_mul_f32 v[18:19], v[18:19], v[26:27] op_sel_hi:[0,1]
	s_delay_alu instid0(VALU_DEP_3) | instskip(SKIP_1) | instid1(VALU_DEP_3)
	v_cvt_pk_f16_f32 v22, v22, v23
	v_and_b32_e32 v26, 0xffff, v10
	v_cvt_pk_f16_f32 v18, v18, v19
	s_delay_alu instid0(VALU_DEP_3) | instskip(NEXT) | instid1(VALU_DEP_3)
	v_and_b32_e32 v1, 0xffff0000, v22
	v_or_b32_e32 v24, v20, v26
	s_delay_alu instid0(VALU_DEP_3) | instskip(SKIP_2) | instid1(VALU_DEP_3)
	v_lshrrev_b32_e32 v19, 16, v18
	v_lshrrev_b32_e32 v27, 16, v10
	v_and_b32_e32 v18, 0xffff, v18
	v_dual_lshlrev_b32 v10, 16, v22 :: v_dual_bitop2_b32 v23, v1, v19 bitop3:0x54
	s_delay_alu instid0(VALU_DEP_3) | instskip(NEXT) | instid1(VALU_DEP_2)
	v_or_b32_e32 v25, v21, v27
	v_or_b32_e32 v22, v10, v18
	s_and_saveexec_b32 s16, vcc_lo
	s_cbranch_execz .LBB269_684
; %bb.683:                              ;   in Loop: Header=BB269_552 Depth=1
	v_cmp_gt_i32_e64 s0, s15, v33
	s_delay_alu instid0(VALU_DEP_1) | instskip(SKIP_1) | instid1(VALU_DEP_1)
	v_cndmask_b32_e64 v22, 0, v27, s0
	v_cmp_gt_i32_e64 s0, s25, v42
	v_cndmask_b32_e64 v23, 0, v26, s0
	v_cmp_gt_i32_e64 s0, s15, v41
	s_delay_alu instid0(VALU_DEP_1) | instskip(SKIP_1) | instid1(VALU_DEP_1)
	v_cndmask_b32_e64 v21, 0, v21, s0
	v_cmp_gt_i32_e64 s0, s25, v40
	v_cndmask_b32_e64 v20, 0, v20, s0
	v_cmp_gt_i32_e64 s0, s15, v39
	s_delay_alu instid0(VALU_DEP_4) | instskip(NEXT) | instid1(VALU_DEP_3)
	v_or_b32_e32 v25, v21, v22
	v_or_b32_e32 v24, v20, v23
	s_delay_alu instid0(VALU_DEP_3) | instskip(SKIP_1) | instid1(VALU_DEP_1)
	v_cndmask_b32_e64 v19, 0, v19, s0
	v_cmp_gt_i32_e64 s0, s25, v38
	v_cndmask_b32_e64 v18, 0, v18, s0
	v_cmp_gt_i32_e64 s0, s15, v37
	s_delay_alu instid0(VALU_DEP_1) | instskip(SKIP_1) | instid1(VALU_DEP_1)
	v_cndmask_b32_e64 v1, 0, v1, s0
	v_cmp_gt_i32_e64 s0, s25, v36
	v_dual_cndmask_b32 v10, 0, v10, s0 :: v_dual_bitop2_b32 v23, v1, v19 bitop3:0x54
	s_delay_alu instid0(VALU_DEP_1)
	v_or_b32_e32 v22, v10, v18
.LBB269_684:                            ;   in Loop: Header=BB269_552 Depth=1
	s_or_b32 exec_lo, exec_lo, s16
	;;#ASMSTART
	v_pk_mul_f16 v1, v48, v25;

	;;#ASMEND
	;;#ASMSTART
	v_pk_mul_f16 v10, v47, v24;

	;;#ASMEND
	;;#ASMSTART
	v_pk_mul_f16 v18, v46, v23;

	;;#ASMEND
	;;#ASMSTART
	v_pk_mul_f16 v19, v45, v22;

	;;#ASMEND
	;;#ASMSTART
	v_pk_add_f16 v1, v1, v10;

	;;#ASMEND
	;;#ASMSTART
	v_pk_add_f16 v1, v1, v18;

	;;#ASMEND
	;; [unrolled: 4-line block ×3, first 2 shown]
	v_and_b32_e32 v10, 0xffff, v1
	v_dual_lshrrev_b32 v1, 16, v1 :: v_dual_mov_b32 v19, 0
	;;#ASMSTART
	v_cvt_f32_f16 v51, v10;
	;;#ASMEND
	;;#ASMSTART
	v_cvt_f32_f16 v52, v1;
	;;#ASMEND
	global_load_b64 v[20:21], v[16:17], off offset:512
	v_mov_b32_e32 v1, 0
	s_mov_b32 s16, exec_lo
	global_load_b32 v18, v1, s[10:11]
	s_wait_loadcnt 0x1
	v_and_b32_e32 v10, 0xff, v20
	s_wait_xcnt 0x0
	s_delay_alu instid0(VALU_DEP_1)
	v_cmpx_ne_u16_e32 0, v10
	s_cbranch_execz .LBB269_692
; %bb.685:                              ;   in Loop: Header=BB269_552 Depth=1
	v_mov_b32_e32 v19, 0x8000
	s_mov_b32 s17, exec_lo
	v_cmpx_ne_u16_e32 0x80, v10
	s_cbranch_execz .LBB269_691
; %bb.686:                              ;   in Loop: Header=BB269_552 Depth=1
	v_and_b32_e32 v22, 0x7f, v20
	v_mov_b32_e32 v19, 0x7c01
	s_mov_b32 s18, exec_lo
	s_delay_alu instid0(VALU_DEP_2)
	v_cmpx_ne_u32_e32 0x7f, v22
	s_cbranch_execz .LBB269_690
; %bb.687:                              ;   in Loop: Header=BB269_552 Depth=1
	v_dual_lshrrev_b32 v19, 3, v22 :: v_dual_bitop2_b32 v10, 7, v20 bitop3:0x40
	s_mov_b32 s19, exec_lo
	v_cmpx_gt_u32_e32 8, v22
; %bb.688:                              ;   in Loop: Header=BB269_552 Depth=1
	s_delay_alu instid0(VALU_DEP_2) | instskip(NEXT) | instid1(VALU_DEP_1)
	v_clz_i32_u32_e32 v10, v10
	v_min_u32_e32 v10, 32, v10
	s_delay_alu instid0(VALU_DEP_1) | instskip(NEXT) | instid1(VALU_DEP_1)
	v_subrev_nc_u32_e32 v19, 28, v10
	v_lshlrev_b64_e32 v[22:23], v19, v[20:21]
	v_sub_nc_u32_e32 v19, 29, v10
	s_delay_alu instid0(VALU_DEP_2)
	v_and_b32_e32 v10, 7, v22
; %bb.689:                              ;   in Loop: Header=BB269_552 Depth=1
	s_or_b32 exec_lo, exec_lo, s19
	s_delay_alu instid0(VALU_DEP_1) | instskip(NEXT) | instid1(VALU_DEP_3)
	v_dual_lshlrev_b32 v22, 8, v20 :: v_dual_lshlrev_b32 v10, 7, v10
	v_lshl_add_u32 v19, v19, 10, 0x2000
	s_delay_alu instid0(VALU_DEP_2) | instskip(NEXT) | instid1(VALU_DEP_2)
	v_and_b32_e32 v22, 0x8000, v22
	v_and_b32_e32 v19, 0xfc00, v19
	s_delay_alu instid0(VALU_DEP_1)
	v_or3_b32 v19, v22, v19, v10
.LBB269_690:                            ;   in Loop: Header=BB269_552 Depth=1
	s_or_b32 exec_lo, exec_lo, s18
.LBB269_691:                            ;   in Loop: Header=BB269_552 Depth=1
	s_delay_alu instid0(SALU_CYCLE_1)
	s_or_b32 exec_lo, exec_lo, s17
.LBB269_692:                            ;   in Loop: Header=BB269_552 Depth=1
	s_delay_alu instid0(SALU_CYCLE_1) | instskip(SKIP_2) | instid1(VALU_DEP_1)
	s_or_b32 exec_lo, exec_lo, s16
	v_lshrrev_b16 v10, 8, v20
	s_mov_b32 s16, exec_lo
	v_cmpx_ne_u16_e32 0, v10
	s_cbranch_execz .LBB269_700
; %bb.693:                              ;   in Loop: Header=BB269_552 Depth=1
	v_bfrev_b32_e32 v1, 1
	s_mov_b32 s17, exec_lo
	v_cmpx_ne_u16_e32 0x80, v10
	s_cbranch_execz .LBB269_699
; %bb.694:                              ;   in Loop: Header=BB269_552 Depth=1
	v_and_b32_e32 v22, 0xffff, v10
	v_mov_b32_e32 v1, 0x7c010000
	s_mov_b32 s18, exec_lo
	s_delay_alu instid0(VALU_DEP_2) | instskip(NEXT) | instid1(VALU_DEP_1)
	v_and_b32_e32 v24, 0x7f, v22
	v_cmpx_ne_u32_e32 0x7f, v24
	s_cbranch_execz .LBB269_698
; %bb.695:                              ;   in Loop: Header=BB269_552 Depth=1
	v_dual_lshrrev_b32 v23, 3, v24 :: v_dual_bitop2_b32 v1, 7, v22 bitop3:0x40
	s_mov_b32 s19, exec_lo
	v_cmpx_gt_u32_e32 8, v24
; %bb.696:                              ;   in Loop: Header=BB269_552 Depth=1
	s_delay_alu instid0(VALU_DEP_2) | instskip(NEXT) | instid1(VALU_DEP_1)
	v_clz_i32_u32_e32 v1, v1
	v_min_u32_e32 v1, 32, v1
	s_delay_alu instid0(VALU_DEP_1) | instskip(NEXT) | instid1(VALU_DEP_1)
	v_subrev_nc_u32_e32 v23, 28, v1
	v_lshlrev_b64_e32 v[24:25], v23, v[10:11]
	s_delay_alu instid0(VALU_DEP_1)
	v_dual_sub_nc_u32 v23, 29, v1 :: v_dual_bitop2_b32 v1, 7, v24 bitop3:0x40
; %bb.697:                              ;   in Loop: Header=BB269_552 Depth=1
	s_or_b32 exec_lo, exec_lo, s19
	s_delay_alu instid0(VALU_DEP_1) | instskip(NEXT) | instid1(VALU_DEP_2)
	v_dual_lshlrev_b32 v10, 8, v22 :: v_dual_lshlrev_b32 v1, 23, v1
	v_lshl_add_u32 v22, v23, 10, 0x2000
	s_delay_alu instid0(VALU_DEP_1) | instskip(NEXT) | instid1(VALU_DEP_1)
	v_and_or_b32 v10, 0x8000, v10, v22
	v_lshl_or_b32 v1, v10, 16, v1
.LBB269_698:                            ;   in Loop: Header=BB269_552 Depth=1
	s_or_b32 exec_lo, exec_lo, s18
.LBB269_699:                            ;   in Loop: Header=BB269_552 Depth=1
	s_delay_alu instid0(SALU_CYCLE_1)
	s_or_b32 exec_lo, exec_lo, s17
.LBB269_700:                            ;   in Loop: Header=BB269_552 Depth=1
	s_delay_alu instid0(SALU_CYCLE_1) | instskip(SKIP_3) | instid1(VALU_DEP_2)
	s_or_b32 exec_lo, exec_lo, s16
	v_dual_lshrrev_b32 v10, 16, v20 :: v_dual_mov_b32 v22, 0
	v_mov_b32_e32 v23, 0
	s_mov_b32 s16, exec_lo
	v_and_b32_e32 v24, 0xff, v10
	s_delay_alu instid0(VALU_DEP_1)
	v_cmpx_ne_u16_e32 0, v24
	s_cbranch_execz .LBB269_708
; %bb.701:                              ;   in Loop: Header=BB269_552 Depth=1
	v_mov_b32_e32 v23, 0x8000
	s_mov_b32 s17, exec_lo
	v_cmpx_ne_u16_e32 0x80, v24
	s_cbranch_execz .LBB269_707
; %bb.702:                              ;   in Loop: Header=BB269_552 Depth=1
	v_bfe_u32 v25, v20, 16, 7
	v_mov_b32_e32 v23, 0x7c01
	s_mov_b32 s18, exec_lo
	s_delay_alu instid0(VALU_DEP_2)
	v_cmpx_ne_u32_e32 0x7f, v25
	s_cbranch_execz .LBB269_706
; %bb.703:                              ;   in Loop: Header=BB269_552 Depth=1
	v_dual_lshrrev_b32 v24, 3, v25 :: v_dual_bitop2_b32 v23, 7, v10 bitop3:0x40
	s_mov_b32 s19, exec_lo
	v_cmpx_gt_u32_e32 8, v25
; %bb.704:                              ;   in Loop: Header=BB269_552 Depth=1
	s_delay_alu instid0(VALU_DEP_2) | instskip(NEXT) | instid1(VALU_DEP_1)
	v_clz_i32_u32_e32 v23, v23
	v_min_u32_e32 v23, 32, v23
	s_delay_alu instid0(VALU_DEP_1) | instskip(NEXT) | instid1(VALU_DEP_1)
	v_subrev_nc_u32_e32 v24, 28, v23
	v_lshlrev_b64_e32 v[26:27], v24, v[10:11]
	s_delay_alu instid0(VALU_DEP_1)
	v_dual_sub_nc_u32 v24, 29, v23 :: v_dual_bitop2_b32 v23, 7, v26 bitop3:0x40
; %bb.705:                              ;   in Loop: Header=BB269_552 Depth=1
	s_or_b32 exec_lo, exec_lo, s19
	s_delay_alu instid0(VALU_DEP_1) | instskip(NEXT) | instid1(VALU_DEP_2)
	v_dual_lshlrev_b32 v10, 8, v10 :: v_dual_lshlrev_b32 v23, 7, v23
	v_lshl_add_u32 v24, v24, 10, 0x2000
	s_delay_alu instid0(VALU_DEP_2) | instskip(NEXT) | instid1(VALU_DEP_2)
	v_and_b32_e32 v10, 0x8000, v10
	v_and_b32_e32 v24, 0xfc00, v24
	s_delay_alu instid0(VALU_DEP_1)
	v_or3_b32 v23, v10, v24, v23
.LBB269_706:                            ;   in Loop: Header=BB269_552 Depth=1
	s_or_b32 exec_lo, exec_lo, s18
.LBB269_707:                            ;   in Loop: Header=BB269_552 Depth=1
	s_delay_alu instid0(SALU_CYCLE_1)
	s_or_b32 exec_lo, exec_lo, s17
.LBB269_708:                            ;   in Loop: Header=BB269_552 Depth=1
	s_delay_alu instid0(SALU_CYCLE_1) | instskip(NEXT) | instid1(SALU_CYCLE_1)
	s_or_b32 exec_lo, exec_lo, s16
	s_mov_b32 s16, exec_lo
	v_cmpx_lt_u32_e32 0xffffff, v20
	s_cbranch_execz .LBB269_716
; %bb.709:                              ;   in Loop: Header=BB269_552 Depth=1
	v_lshrrev_b32_e32 v10, 24, v20
	v_bfrev_b32_e32 v22, 1
	s_mov_b32 s17, exec_lo
	s_delay_alu instid0(VALU_DEP_2)
	v_cmpx_ne_u32_e32 0x80, v10
	s_cbranch_execz .LBB269_715
; %bb.710:                              ;   in Loop: Header=BB269_552 Depth=1
	v_and_b32_e32 v25, 0x7f, v10
	v_mov_b32_e32 v22, 0x7c010000
	s_mov_b32 s18, exec_lo
	s_delay_alu instid0(VALU_DEP_2)
	v_cmpx_ne_u32_e32 0x7f, v25
	s_cbranch_execz .LBB269_714
; %bb.711:                              ;   in Loop: Header=BB269_552 Depth=1
	v_dual_lshrrev_b32 v24, 3, v25 :: v_dual_bitop2_b32 v22, 7, v10 bitop3:0x40
	s_mov_b32 s19, exec_lo
	v_cmpx_gt_u32_e32 8, v25
; %bb.712:                              ;   in Loop: Header=BB269_552 Depth=1
	s_delay_alu instid0(VALU_DEP_2) | instskip(NEXT) | instid1(VALU_DEP_1)
	v_clz_i32_u32_e32 v22, v22
	v_min_u32_e32 v22, 32, v22
	s_delay_alu instid0(VALU_DEP_1) | instskip(NEXT) | instid1(VALU_DEP_1)
	v_subrev_nc_u32_e32 v24, 28, v22
	v_lshlrev_b64_e32 v[26:27], v24, v[10:11]
	v_sub_nc_u32_e32 v24, 29, v22
	s_delay_alu instid0(VALU_DEP_2)
	v_and_b32_e32 v22, 7, v26
; %bb.713:                              ;   in Loop: Header=BB269_552 Depth=1
	s_or_b32 exec_lo, exec_lo, s19
	v_lshlrev_b32_e32 v10, 8, v10
	s_delay_alu instid0(VALU_DEP_3) | instskip(NEXT) | instid1(VALU_DEP_3)
	v_lshl_add_u32 v24, v24, 10, 0x2000
	v_lshlrev_b32_e32 v22, 23, v22
	s_delay_alu instid0(VALU_DEP_2) | instskip(NEXT) | instid1(VALU_DEP_1)
	v_and_or_b32 v10, 0x8000, v10, v24
	v_lshl_or_b32 v22, v10, 16, v22
.LBB269_714:                            ;   in Loop: Header=BB269_552 Depth=1
	s_or_b32 exec_lo, exec_lo, s18
.LBB269_715:                            ;   in Loop: Header=BB269_552 Depth=1
	s_delay_alu instid0(SALU_CYCLE_1)
	s_or_b32 exec_lo, exec_lo, s17
.LBB269_716:                            ;   in Loop: Header=BB269_552 Depth=1
	s_delay_alu instid0(SALU_CYCLE_1) | instskip(SKIP_4) | instid1(VALU_DEP_3)
	s_or_b32 exec_lo, exec_lo, s16
	v_and_b32_e32 v26, 0xff, v21
	v_dual_mov_b32 v10, v21 :: v_dual_mov_b32 v25, 0
	v_mov_b32_e32 v24, 0
	s_mov_b32 s16, exec_lo
	v_cmpx_ne_u16_e32 0, v26
	s_cbranch_execz .LBB269_724
; %bb.717:                              ;   in Loop: Header=BB269_552 Depth=1
	v_mov_b32_e32 v24, 0x8000
	s_mov_b32 s17, exec_lo
	v_cmpx_ne_u16_e32 0x80, v26
	s_cbranch_execz .LBB269_723
; %bb.718:                              ;   in Loop: Header=BB269_552 Depth=1
	v_and_b32_e32 v27, 0x7f, v21
	v_mov_b32_e32 v24, 0x7c01
	s_mov_b32 s18, exec_lo
	s_delay_alu instid0(VALU_DEP_2)
	v_cmpx_ne_u32_e32 0x7f, v27
	s_cbranch_execz .LBB269_722
; %bb.719:                              ;   in Loop: Header=BB269_552 Depth=1
	v_dual_lshrrev_b32 v26, 3, v27 :: v_dual_bitop2_b32 v24, 7, v21 bitop3:0x40
	s_mov_b32 s19, exec_lo
	v_cmpx_gt_u32_e32 8, v27
; %bb.720:                              ;   in Loop: Header=BB269_552 Depth=1
	s_delay_alu instid0(VALU_DEP_2) | instskip(NEXT) | instid1(VALU_DEP_1)
	v_clz_i32_u32_e32 v24, v24
	v_min_u32_e32 v24, 32, v24
	s_delay_alu instid0(VALU_DEP_1) | instskip(NEXT) | instid1(VALU_DEP_1)
	v_subrev_nc_u32_e32 v26, 28, v24
	v_lshlrev_b64_e32 v[54:55], v26, v[10:11]
	s_delay_alu instid0(VALU_DEP_1)
	v_dual_sub_nc_u32 v26, 29, v24 :: v_dual_bitop2_b32 v24, 7, v54 bitop3:0x40
; %bb.721:                              ;   in Loop: Header=BB269_552 Depth=1
	s_or_b32 exec_lo, exec_lo, s19
	s_delay_alu instid0(VALU_DEP_1) | instskip(NEXT) | instid1(VALU_DEP_2)
	v_dual_lshlrev_b32 v27, 8, v21 :: v_dual_lshlrev_b32 v24, 7, v24
	v_lshl_add_u32 v26, v26, 10, 0x2000
	s_delay_alu instid0(VALU_DEP_2) | instskip(NEXT) | instid1(VALU_DEP_2)
	v_and_b32_e32 v27, 0x8000, v27
	v_and_b32_e32 v26, 0xfc00, v26
	s_delay_alu instid0(VALU_DEP_1)
	v_or3_b32 v24, v27, v26, v24
.LBB269_722:                            ;   in Loop: Header=BB269_552 Depth=1
	s_or_b32 exec_lo, exec_lo, s18
.LBB269_723:                            ;   in Loop: Header=BB269_552 Depth=1
	s_delay_alu instid0(SALU_CYCLE_1)
	s_or_b32 exec_lo, exec_lo, s17
.LBB269_724:                            ;   in Loop: Header=BB269_552 Depth=1
	s_delay_alu instid0(SALU_CYCLE_1) | instskip(SKIP_3) | instid1(VALU_DEP_2)
	s_or_b32 exec_lo, exec_lo, s16
	v_lshrrev_b16 v10, 8, v10
	v_mov_b32_e32 v26, 0
	s_mov_b32 s16, exec_lo
	v_cmpx_ne_u16_e32 0, v10
	s_cbranch_execz .LBB269_732
; %bb.725:                              ;   in Loop: Header=BB269_552 Depth=1
	v_bfrev_b32_e32 v26, 1
	s_mov_b32 s17, exec_lo
	v_cmpx_ne_u16_e32 0x80, v10
	s_cbranch_execz .LBB269_731
; %bb.726:                              ;   in Loop: Header=BB269_552 Depth=1
	v_and_b32_e32 v27, 0xffff, v10
	v_mov_b32_e32 v26, 0x7c010000
	s_mov_b32 s18, exec_lo
	s_delay_alu instid0(VALU_DEP_2) | instskip(NEXT) | instid1(VALU_DEP_1)
	v_and_b32_e32 v44, 0x7f, v27
	v_cmpx_ne_u32_e32 0x7f, v44
	s_cbranch_execz .LBB269_730
; %bb.727:                              ;   in Loop: Header=BB269_552 Depth=1
	v_dual_lshrrev_b32 v43, 3, v44 :: v_dual_bitop2_b32 v26, 7, v27 bitop3:0x40
	s_mov_b32 s19, exec_lo
	v_cmpx_gt_u32_e32 8, v44
; %bb.728:                              ;   in Loop: Header=BB269_552 Depth=1
	s_delay_alu instid0(VALU_DEP_2) | instskip(NEXT) | instid1(VALU_DEP_1)
	v_clz_i32_u32_e32 v26, v26
	v_min_u32_e32 v26, 32, v26
	s_delay_alu instid0(VALU_DEP_1) | instskip(NEXT) | instid1(VALU_DEP_1)
	v_subrev_nc_u32_e32 v43, 28, v26
	v_lshlrev_b64_e32 v[54:55], v43, v[10:11]
	v_sub_nc_u32_e32 v43, 29, v26
	s_delay_alu instid0(VALU_DEP_2)
	v_and_b32_e32 v26, 7, v54
; %bb.729:                              ;   in Loop: Header=BB269_552 Depth=1
	s_or_b32 exec_lo, exec_lo, s19
	s_delay_alu instid0(VALU_DEP_1) | instskip(NEXT) | instid1(VALU_DEP_3)
	v_dual_lshlrev_b32 v10, 8, v27 :: v_dual_lshlrev_b32 v26, 23, v26
	v_lshl_add_u32 v27, v43, 10, 0x2000
	s_delay_alu instid0(VALU_DEP_1) | instskip(NEXT) | instid1(VALU_DEP_1)
	v_and_or_b32 v10, 0x8000, v10, v27
	v_lshl_or_b32 v26, v10, 16, v26
.LBB269_730:                            ;   in Loop: Header=BB269_552 Depth=1
	s_or_b32 exec_lo, exec_lo, s18
.LBB269_731:                            ;   in Loop: Header=BB269_552 Depth=1
	s_delay_alu instid0(SALU_CYCLE_1)
	s_or_b32 exec_lo, exec_lo, s17
.LBB269_732:                            ;   in Loop: Header=BB269_552 Depth=1
	s_delay_alu instid0(SALU_CYCLE_1) | instskip(SKIP_2) | instid1(VALU_DEP_1)
	s_or_b32 exec_lo, exec_lo, s16
	v_lshrrev_b32_e32 v10, 16, v21
	s_mov_b32 s16, exec_lo
	v_and_b32_e32 v27, 0xff, v10
	s_delay_alu instid0(VALU_DEP_1)
	v_cmpx_ne_u16_e32 0, v27
	s_cbranch_execz .LBB269_740
; %bb.733:                              ;   in Loop: Header=BB269_552 Depth=1
	v_mov_b32_e32 v25, 0x8000
	s_mov_b32 s17, exec_lo
	v_cmpx_ne_u16_e32 0x80, v27
	s_cbranch_execz .LBB269_739
; %bb.734:                              ;   in Loop: Header=BB269_552 Depth=1
	v_bfe_u32 v43, v21, 16, 7
	v_mov_b32_e32 v25, 0x7c01
	s_mov_b32 s18, exec_lo
	s_delay_alu instid0(VALU_DEP_2)
	v_cmpx_ne_u32_e32 0x7f, v43
	s_cbranch_execz .LBB269_738
; %bb.735:                              ;   in Loop: Header=BB269_552 Depth=1
	v_dual_lshrrev_b32 v27, 3, v43 :: v_dual_bitop2_b32 v25, 7, v10 bitop3:0x40
	s_mov_b32 s19, exec_lo
	v_cmpx_gt_u32_e32 8, v43
; %bb.736:                              ;   in Loop: Header=BB269_552 Depth=1
	s_delay_alu instid0(VALU_DEP_2) | instskip(NEXT) | instid1(VALU_DEP_1)
	v_clz_i32_u32_e32 v25, v25
	v_min_u32_e32 v25, 32, v25
	s_delay_alu instid0(VALU_DEP_1) | instskip(NEXT) | instid1(VALU_DEP_1)
	v_subrev_nc_u32_e32 v27, 28, v25
	v_lshlrev_b64_e32 v[54:55], v27, v[10:11]
	s_delay_alu instid0(VALU_DEP_1)
	v_dual_sub_nc_u32 v27, 29, v25 :: v_dual_bitop2_b32 v25, 7, v54 bitop3:0x40
; %bb.737:                              ;   in Loop: Header=BB269_552 Depth=1
	s_or_b32 exec_lo, exec_lo, s19
	s_delay_alu instid0(VALU_DEP_1) | instskip(NEXT) | instid1(VALU_DEP_2)
	v_dual_lshlrev_b32 v10, 8, v10 :: v_dual_lshlrev_b32 v25, 7, v25
	v_lshl_add_u32 v27, v27, 10, 0x2000
	s_delay_alu instid0(VALU_DEP_2) | instskip(NEXT) | instid1(VALU_DEP_2)
	v_and_b32_e32 v10, 0x8000, v10
	v_and_b32_e32 v27, 0xfc00, v27
	s_delay_alu instid0(VALU_DEP_1)
	v_or3_b32 v25, v10, v27, v25
.LBB269_738:                            ;   in Loop: Header=BB269_552 Depth=1
	s_or_b32 exec_lo, exec_lo, s18
.LBB269_739:                            ;   in Loop: Header=BB269_552 Depth=1
	s_delay_alu instid0(SALU_CYCLE_1)
	s_or_b32 exec_lo, exec_lo, s17
.LBB269_740:                            ;   in Loop: Header=BB269_552 Depth=1
	s_delay_alu instid0(SALU_CYCLE_1)
	s_or_b32 exec_lo, exec_lo, s16
	v_cmp_lt_u64_e64 s0, s[4:5], v[20:21]
	v_mov_b32_e32 v20, 0
	s_and_saveexec_b32 s16, s0
	s_cbranch_execz .LBB269_748
; %bb.741:                              ;   in Loop: Header=BB269_552 Depth=1
	v_lshrrev_b32_e32 v10, 24, v21
	v_bfrev_b32_e32 v20, 1
	s_mov_b32 s17, exec_lo
	s_delay_alu instid0(VALU_DEP_2)
	v_cmpx_ne_u32_e32 0x80, v10
	s_cbranch_execz .LBB269_747
; %bb.742:                              ;   in Loop: Header=BB269_552 Depth=1
	v_and_b32_e32 v27, 0x7f, v10
	v_mov_b32_e32 v20, 0x7c010000
	s_mov_b32 s18, exec_lo
	s_delay_alu instid0(VALU_DEP_2)
	v_cmpx_ne_u32_e32 0x7f, v27
	s_cbranch_execz .LBB269_746
; %bb.743:                              ;   in Loop: Header=BB269_552 Depth=1
	v_dual_lshrrev_b32 v21, 3, v27 :: v_dual_bitop2_b32 v20, 7, v10 bitop3:0x40
	s_mov_b32 s19, exec_lo
	v_cmpx_gt_u32_e32 8, v27
; %bb.744:                              ;   in Loop: Header=BB269_552 Depth=1
	s_delay_alu instid0(VALU_DEP_2) | instskip(NEXT) | instid1(VALU_DEP_1)
	v_clz_i32_u32_e32 v20, v20
	v_min_u32_e32 v27, 32, v20
	s_delay_alu instid0(VALU_DEP_1) | instskip(NEXT) | instid1(VALU_DEP_1)
	v_subrev_nc_u32_e32 v20, 28, v27
	v_lshlrev_b64_e32 v[20:21], v20, v[10:11]
	s_delay_alu instid0(VALU_DEP_1)
	v_dual_sub_nc_u32 v21, 29, v27 :: v_dual_bitop2_b32 v20, 7, v20 bitop3:0x40
; %bb.745:                              ;   in Loop: Header=BB269_552 Depth=1
	s_or_b32 exec_lo, exec_lo, s19
	s_delay_alu instid0(VALU_DEP_1) | instskip(NEXT) | instid1(VALU_DEP_2)
	v_dual_lshlrev_b32 v10, 8, v10 :: v_dual_lshlrev_b32 v20, 23, v20
	v_lshl_add_u32 v21, v21, 10, 0x2000
	s_delay_alu instid0(VALU_DEP_1) | instskip(NEXT) | instid1(VALU_DEP_1)
	v_and_or_b32 v10, 0x8000, v10, v21
	v_lshl_or_b32 v20, v10, 16, v20
.LBB269_746:                            ;   in Loop: Header=BB269_552 Depth=1
	s_or_b32 exec_lo, exec_lo, s18
.LBB269_747:                            ;   in Loop: Header=BB269_552 Depth=1
	s_delay_alu instid0(SALU_CYCLE_1)
	s_or_b32 exec_lo, exec_lo, s17
.LBB269_748:                            ;   in Loop: Header=BB269_552 Depth=1
	s_delay_alu instid0(SALU_CYCLE_1) | instskip(SKIP_3) | instid1(VALU_DEP_3)
	s_or_b32 exec_lo, exec_lo, s16
	v_dual_lshrrev_b32 v10, 16, v1 :: v_dual_lshrrev_b32 v21, 16, v22
	v_or_b32_e32 v1, v1, v19
	v_dual_lshrrev_b32 v27, 16, v20 :: v_dual_bitop2_b32 v19, v22, v23 bitop3:0x54
	v_cvt_f32_f16_e32 v23, v10
	s_delay_alu instid0(VALU_DEP_4) | instskip(SKIP_1) | instid1(VALU_DEP_4)
	v_cvt_f32_f16_e32 v22, v21
	v_dual_lshrrev_b32 v25, 16, v26 :: v_dual_bitop2_b32 v10, v20, v25 bitop3:0x54
	v_cvt_f32_f16_e32 v20, v19
	v_cvt_f32_f16_e32 v21, v1
	s_wait_loadcnt 0x0
	v_pk_mul_f32 v[22:23], v[18:19], v[22:23] op_sel_hi:[0,1]
	v_cvt_f32_f16_e32 v25, v25
	s_delay_alu instid0(VALU_DEP_2) | instskip(SKIP_3) | instid1(VALU_DEP_3)
	v_cvt_pk_f16_f32 v1, v22, v23
	v_or_b32_e32 v19, v26, v24
	v_cvt_f32_f16_e32 v24, v27
	v_cvt_f32_f16_e32 v26, v10
	v_pk_mul_f32 v[20:21], v[18:19], v[20:21] op_sel_hi:[0,1]
	s_delay_alu instid0(VALU_DEP_1) | instskip(SKIP_4) | instid1(VALU_DEP_3)
	v_cvt_pk_f16_f32 v10, v20, v21
	v_lshlrev_b32_e32 v20, 16, v1
	v_cvt_f32_f16_e32 v27, v19
	v_pk_mul_f32 v[22:23], v[18:19], v[24:25] op_sel_hi:[0,1]
	v_and_b32_e32 v21, 0xffff0000, v1
	v_pk_mul_f32 v[18:19], v[18:19], v[26:27] op_sel_hi:[0,1]
	s_delay_alu instid0(VALU_DEP_3) | instskip(SKIP_1) | instid1(VALU_DEP_3)
	v_cvt_pk_f16_f32 v22, v22, v23
	v_and_b32_e32 v26, 0xffff, v10
	v_cvt_pk_f16_f32 v18, v18, v19
	s_delay_alu instid0(VALU_DEP_3) | instskip(NEXT) | instid1(VALU_DEP_3)
	v_and_b32_e32 v1, 0xffff0000, v22
	v_or_b32_e32 v24, v20, v26
	s_delay_alu instid0(VALU_DEP_3) | instskip(SKIP_2) | instid1(VALU_DEP_3)
	v_lshrrev_b32_e32 v19, 16, v18
	v_lshrrev_b32_e32 v27, 16, v10
	v_and_b32_e32 v18, 0xffff, v18
	v_dual_lshlrev_b32 v10, 16, v22 :: v_dual_bitop2_b32 v23, v1, v19 bitop3:0x54
	s_delay_alu instid0(VALU_DEP_3) | instskip(NEXT) | instid1(VALU_DEP_2)
	v_or_b32_e32 v25, v21, v27
	v_or_b32_e32 v22, v10, v18
	s_and_saveexec_b32 s16, vcc_lo
	s_cbranch_execz .LBB269_750
; %bb.749:                              ;   in Loop: Header=BB269_552 Depth=1
	v_cmp_gt_i32_e64 s0, s15, v33
	s_delay_alu instid0(VALU_DEP_1) | instskip(SKIP_1) | instid1(VALU_DEP_1)
	v_cndmask_b32_e64 v22, 0, v27, s0
	v_cmp_gt_i32_e64 s0, s25, v42
	v_cndmask_b32_e64 v23, 0, v26, s0
	v_cmp_gt_i32_e64 s0, s15, v41
	s_delay_alu instid0(VALU_DEP_1) | instskip(SKIP_1) | instid1(VALU_DEP_1)
	v_cndmask_b32_e64 v21, 0, v21, s0
	v_cmp_gt_i32_e64 s0, s25, v40
	v_cndmask_b32_e64 v20, 0, v20, s0
	v_cmp_gt_i32_e64 s0, s15, v39
	s_delay_alu instid0(VALU_DEP_4) | instskip(NEXT) | instid1(VALU_DEP_3)
	v_or_b32_e32 v25, v21, v22
	v_or_b32_e32 v24, v20, v23
	s_delay_alu instid0(VALU_DEP_3) | instskip(SKIP_1) | instid1(VALU_DEP_1)
	v_cndmask_b32_e64 v19, 0, v19, s0
	v_cmp_gt_i32_e64 s0, s25, v38
	v_cndmask_b32_e64 v18, 0, v18, s0
	v_cmp_gt_i32_e64 s0, s15, v37
	s_delay_alu instid0(VALU_DEP_1) | instskip(SKIP_1) | instid1(VALU_DEP_1)
	v_cndmask_b32_e64 v1, 0, v1, s0
	v_cmp_gt_i32_e64 s0, s25, v36
	v_dual_cndmask_b32 v10, 0, v10, s0 :: v_dual_bitop2_b32 v23, v1, v19 bitop3:0x54
	s_delay_alu instid0(VALU_DEP_1)
	v_or_b32_e32 v22, v10, v18
.LBB269_750:                            ;   in Loop: Header=BB269_552 Depth=1
	s_or_b32 exec_lo, exec_lo, s16
	;;#ASMSTART
	v_pk_mul_f16 v1, v48, v25;

	;;#ASMEND
	;;#ASMSTART
	v_pk_mul_f16 v10, v47, v24;

	;;#ASMEND
	;; [unrolled: 4-line block ×4, first 2 shown]
	;;#ASMSTART
	v_pk_add_f16 v1, v1, v10;

	;;#ASMEND
	;;#ASMSTART
	v_pk_add_f16 v1, v1, v18;

	;;#ASMEND
	;; [unrolled: 4-line block ×3, first 2 shown]
	v_and_b32_e32 v10, 0xffff, v1
	v_dual_lshrrev_b32 v1, 16, v1 :: v_dual_mov_b32 v19, 0
	;;#ASMSTART
	v_cvt_f32_f16 v53, v10;
	;;#ASMEND
	;;#ASMSTART
	v_cvt_f32_f16 v54, v1;
	;;#ASMEND
	global_load_b64 v[20:21], v[16:17], off offset:768
	v_mov_b32_e32 v1, 0
	s_mov_b32 s16, exec_lo
	global_load_b32 v18, v1, s[10:11]
	s_wait_loadcnt 0x1
	v_and_b32_e32 v10, 0xff, v20
	s_wait_xcnt 0x0
	s_delay_alu instid0(VALU_DEP_1)
	v_cmpx_ne_u16_e32 0, v10
	s_cbranch_execz .LBB269_758
; %bb.751:                              ;   in Loop: Header=BB269_552 Depth=1
	v_mov_b32_e32 v19, 0x8000
	s_mov_b32 s17, exec_lo
	v_cmpx_ne_u16_e32 0x80, v10
	s_cbranch_execz .LBB269_757
; %bb.752:                              ;   in Loop: Header=BB269_552 Depth=1
	v_and_b32_e32 v22, 0x7f, v20
	v_mov_b32_e32 v19, 0x7c01
	s_mov_b32 s18, exec_lo
	s_delay_alu instid0(VALU_DEP_2)
	v_cmpx_ne_u32_e32 0x7f, v22
	s_cbranch_execz .LBB269_756
; %bb.753:                              ;   in Loop: Header=BB269_552 Depth=1
	v_dual_lshrrev_b32 v19, 3, v22 :: v_dual_bitop2_b32 v10, 7, v20 bitop3:0x40
	s_mov_b32 s19, exec_lo
	v_cmpx_gt_u32_e32 8, v22
; %bb.754:                              ;   in Loop: Header=BB269_552 Depth=1
	s_delay_alu instid0(VALU_DEP_2) | instskip(NEXT) | instid1(VALU_DEP_1)
	v_clz_i32_u32_e32 v10, v10
	v_min_u32_e32 v10, 32, v10
	s_delay_alu instid0(VALU_DEP_1) | instskip(NEXT) | instid1(VALU_DEP_1)
	v_subrev_nc_u32_e32 v19, 28, v10
	v_lshlrev_b64_e32 v[22:23], v19, v[20:21]
	v_sub_nc_u32_e32 v19, 29, v10
	s_delay_alu instid0(VALU_DEP_2)
	v_and_b32_e32 v10, 7, v22
; %bb.755:                              ;   in Loop: Header=BB269_552 Depth=1
	s_or_b32 exec_lo, exec_lo, s19
	s_delay_alu instid0(VALU_DEP_1) | instskip(NEXT) | instid1(VALU_DEP_3)
	v_dual_lshlrev_b32 v22, 8, v20 :: v_dual_lshlrev_b32 v10, 7, v10
	v_lshl_add_u32 v19, v19, 10, 0x2000
	s_delay_alu instid0(VALU_DEP_2) | instskip(NEXT) | instid1(VALU_DEP_2)
	v_and_b32_e32 v22, 0x8000, v22
	v_and_b32_e32 v19, 0xfc00, v19
	s_delay_alu instid0(VALU_DEP_1)
	v_or3_b32 v19, v22, v19, v10
.LBB269_756:                            ;   in Loop: Header=BB269_552 Depth=1
	s_or_b32 exec_lo, exec_lo, s18
.LBB269_757:                            ;   in Loop: Header=BB269_552 Depth=1
	s_delay_alu instid0(SALU_CYCLE_1)
	s_or_b32 exec_lo, exec_lo, s17
.LBB269_758:                            ;   in Loop: Header=BB269_552 Depth=1
	s_delay_alu instid0(SALU_CYCLE_1) | instskip(SKIP_2) | instid1(VALU_DEP_1)
	s_or_b32 exec_lo, exec_lo, s16
	v_lshrrev_b16 v10, 8, v20
	s_mov_b32 s16, exec_lo
	v_cmpx_ne_u16_e32 0, v10
	s_cbranch_execz .LBB269_766
; %bb.759:                              ;   in Loop: Header=BB269_552 Depth=1
	v_bfrev_b32_e32 v1, 1
	s_mov_b32 s17, exec_lo
	v_cmpx_ne_u16_e32 0x80, v10
	s_cbranch_execz .LBB269_765
; %bb.760:                              ;   in Loop: Header=BB269_552 Depth=1
	v_and_b32_e32 v22, 0xffff, v10
	v_mov_b32_e32 v1, 0x7c010000
	s_mov_b32 s18, exec_lo
	s_delay_alu instid0(VALU_DEP_2) | instskip(NEXT) | instid1(VALU_DEP_1)
	v_and_b32_e32 v24, 0x7f, v22
	v_cmpx_ne_u32_e32 0x7f, v24
	s_cbranch_execz .LBB269_764
; %bb.761:                              ;   in Loop: Header=BB269_552 Depth=1
	v_dual_lshrrev_b32 v23, 3, v24 :: v_dual_bitop2_b32 v1, 7, v22 bitop3:0x40
	s_mov_b32 s19, exec_lo
	v_cmpx_gt_u32_e32 8, v24
; %bb.762:                              ;   in Loop: Header=BB269_552 Depth=1
	s_delay_alu instid0(VALU_DEP_2) | instskip(NEXT) | instid1(VALU_DEP_1)
	v_clz_i32_u32_e32 v1, v1
	v_min_u32_e32 v1, 32, v1
	s_delay_alu instid0(VALU_DEP_1) | instskip(NEXT) | instid1(VALU_DEP_1)
	v_subrev_nc_u32_e32 v23, 28, v1
	v_lshlrev_b64_e32 v[24:25], v23, v[10:11]
	s_delay_alu instid0(VALU_DEP_1)
	v_dual_sub_nc_u32 v23, 29, v1 :: v_dual_bitop2_b32 v1, 7, v24 bitop3:0x40
; %bb.763:                              ;   in Loop: Header=BB269_552 Depth=1
	s_or_b32 exec_lo, exec_lo, s19
	s_delay_alu instid0(VALU_DEP_1) | instskip(NEXT) | instid1(VALU_DEP_2)
	v_dual_lshlrev_b32 v10, 8, v22 :: v_dual_lshlrev_b32 v1, 23, v1
	v_lshl_add_u32 v22, v23, 10, 0x2000
	s_delay_alu instid0(VALU_DEP_1) | instskip(NEXT) | instid1(VALU_DEP_1)
	v_and_or_b32 v10, 0x8000, v10, v22
	v_lshl_or_b32 v1, v10, 16, v1
.LBB269_764:                            ;   in Loop: Header=BB269_552 Depth=1
	s_or_b32 exec_lo, exec_lo, s18
.LBB269_765:                            ;   in Loop: Header=BB269_552 Depth=1
	s_delay_alu instid0(SALU_CYCLE_1)
	s_or_b32 exec_lo, exec_lo, s17
.LBB269_766:                            ;   in Loop: Header=BB269_552 Depth=1
	s_delay_alu instid0(SALU_CYCLE_1) | instskip(SKIP_3) | instid1(VALU_DEP_2)
	s_or_b32 exec_lo, exec_lo, s16
	v_dual_lshrrev_b32 v10, 16, v20 :: v_dual_mov_b32 v22, 0
	v_mov_b32_e32 v23, 0
	s_mov_b32 s16, exec_lo
	v_and_b32_e32 v24, 0xff, v10
	s_delay_alu instid0(VALU_DEP_1)
	v_cmpx_ne_u16_e32 0, v24
	s_cbranch_execz .LBB269_774
; %bb.767:                              ;   in Loop: Header=BB269_552 Depth=1
	v_mov_b32_e32 v23, 0x8000
	s_mov_b32 s17, exec_lo
	v_cmpx_ne_u16_e32 0x80, v24
	s_cbranch_execz .LBB269_773
; %bb.768:                              ;   in Loop: Header=BB269_552 Depth=1
	v_bfe_u32 v25, v20, 16, 7
	v_mov_b32_e32 v23, 0x7c01
	s_mov_b32 s18, exec_lo
	s_delay_alu instid0(VALU_DEP_2)
	v_cmpx_ne_u32_e32 0x7f, v25
	s_cbranch_execz .LBB269_772
; %bb.769:                              ;   in Loop: Header=BB269_552 Depth=1
	v_dual_lshrrev_b32 v24, 3, v25 :: v_dual_bitop2_b32 v23, 7, v10 bitop3:0x40
	s_mov_b32 s19, exec_lo
	v_cmpx_gt_u32_e32 8, v25
; %bb.770:                              ;   in Loop: Header=BB269_552 Depth=1
	s_delay_alu instid0(VALU_DEP_2) | instskip(NEXT) | instid1(VALU_DEP_1)
	v_clz_i32_u32_e32 v23, v23
	v_min_u32_e32 v23, 32, v23
	s_delay_alu instid0(VALU_DEP_1) | instskip(NEXT) | instid1(VALU_DEP_1)
	v_subrev_nc_u32_e32 v24, 28, v23
	v_lshlrev_b64_e32 v[26:27], v24, v[10:11]
	s_delay_alu instid0(VALU_DEP_1)
	v_dual_sub_nc_u32 v24, 29, v23 :: v_dual_bitop2_b32 v23, 7, v26 bitop3:0x40
; %bb.771:                              ;   in Loop: Header=BB269_552 Depth=1
	s_or_b32 exec_lo, exec_lo, s19
	s_delay_alu instid0(VALU_DEP_1) | instskip(NEXT) | instid1(VALU_DEP_2)
	v_dual_lshlrev_b32 v10, 8, v10 :: v_dual_lshlrev_b32 v23, 7, v23
	v_lshl_add_u32 v24, v24, 10, 0x2000
	s_delay_alu instid0(VALU_DEP_2) | instskip(NEXT) | instid1(VALU_DEP_2)
	v_and_b32_e32 v10, 0x8000, v10
	v_and_b32_e32 v24, 0xfc00, v24
	s_delay_alu instid0(VALU_DEP_1)
	v_or3_b32 v23, v10, v24, v23
.LBB269_772:                            ;   in Loop: Header=BB269_552 Depth=1
	s_or_b32 exec_lo, exec_lo, s18
.LBB269_773:                            ;   in Loop: Header=BB269_552 Depth=1
	s_delay_alu instid0(SALU_CYCLE_1)
	s_or_b32 exec_lo, exec_lo, s17
.LBB269_774:                            ;   in Loop: Header=BB269_552 Depth=1
	s_delay_alu instid0(SALU_CYCLE_1) | instskip(NEXT) | instid1(SALU_CYCLE_1)
	s_or_b32 exec_lo, exec_lo, s16
	s_mov_b32 s16, exec_lo
	v_cmpx_lt_u32_e32 0xffffff, v20
	s_cbranch_execz .LBB269_782
; %bb.775:                              ;   in Loop: Header=BB269_552 Depth=1
	v_lshrrev_b32_e32 v10, 24, v20
	v_bfrev_b32_e32 v22, 1
	s_mov_b32 s17, exec_lo
	s_delay_alu instid0(VALU_DEP_2)
	v_cmpx_ne_u32_e32 0x80, v10
	s_cbranch_execz .LBB269_781
; %bb.776:                              ;   in Loop: Header=BB269_552 Depth=1
	v_and_b32_e32 v25, 0x7f, v10
	v_mov_b32_e32 v22, 0x7c010000
	s_mov_b32 s18, exec_lo
	s_delay_alu instid0(VALU_DEP_2)
	v_cmpx_ne_u32_e32 0x7f, v25
	s_cbranch_execz .LBB269_780
; %bb.777:                              ;   in Loop: Header=BB269_552 Depth=1
	v_dual_lshrrev_b32 v24, 3, v25 :: v_dual_bitop2_b32 v22, 7, v10 bitop3:0x40
	s_mov_b32 s19, exec_lo
	v_cmpx_gt_u32_e32 8, v25
; %bb.778:                              ;   in Loop: Header=BB269_552 Depth=1
	s_delay_alu instid0(VALU_DEP_2) | instskip(NEXT) | instid1(VALU_DEP_1)
	v_clz_i32_u32_e32 v22, v22
	v_min_u32_e32 v22, 32, v22
	s_delay_alu instid0(VALU_DEP_1) | instskip(NEXT) | instid1(VALU_DEP_1)
	v_subrev_nc_u32_e32 v24, 28, v22
	v_lshlrev_b64_e32 v[26:27], v24, v[10:11]
	v_sub_nc_u32_e32 v24, 29, v22
	s_delay_alu instid0(VALU_DEP_2)
	v_and_b32_e32 v22, 7, v26
; %bb.779:                              ;   in Loop: Header=BB269_552 Depth=1
	s_or_b32 exec_lo, exec_lo, s19
	v_lshlrev_b32_e32 v10, 8, v10
	s_delay_alu instid0(VALU_DEP_3) | instskip(NEXT) | instid1(VALU_DEP_3)
	v_lshl_add_u32 v24, v24, 10, 0x2000
	v_lshlrev_b32_e32 v22, 23, v22
	s_delay_alu instid0(VALU_DEP_2) | instskip(NEXT) | instid1(VALU_DEP_1)
	v_and_or_b32 v10, 0x8000, v10, v24
	v_lshl_or_b32 v22, v10, 16, v22
.LBB269_780:                            ;   in Loop: Header=BB269_552 Depth=1
	s_or_b32 exec_lo, exec_lo, s18
.LBB269_781:                            ;   in Loop: Header=BB269_552 Depth=1
	s_delay_alu instid0(SALU_CYCLE_1)
	s_or_b32 exec_lo, exec_lo, s17
.LBB269_782:                            ;   in Loop: Header=BB269_552 Depth=1
	s_delay_alu instid0(SALU_CYCLE_1) | instskip(SKIP_4) | instid1(VALU_DEP_3)
	s_or_b32 exec_lo, exec_lo, s16
	v_and_b32_e32 v26, 0xff, v21
	v_dual_mov_b32 v10, v21 :: v_dual_mov_b32 v25, 0
	v_mov_b32_e32 v24, 0
	s_mov_b32 s16, exec_lo
	v_cmpx_ne_u16_e32 0, v26
	s_cbranch_execz .LBB269_790
; %bb.783:                              ;   in Loop: Header=BB269_552 Depth=1
	v_mov_b32_e32 v24, 0x8000
	s_mov_b32 s17, exec_lo
	v_cmpx_ne_u16_e32 0x80, v26
	s_cbranch_execz .LBB269_789
; %bb.784:                              ;   in Loop: Header=BB269_552 Depth=1
	v_and_b32_e32 v27, 0x7f, v21
	v_mov_b32_e32 v24, 0x7c01
	s_mov_b32 s18, exec_lo
	s_delay_alu instid0(VALU_DEP_2)
	v_cmpx_ne_u32_e32 0x7f, v27
	s_cbranch_execz .LBB269_788
; %bb.785:                              ;   in Loop: Header=BB269_552 Depth=1
	v_dual_lshrrev_b32 v26, 3, v27 :: v_dual_bitop2_b32 v24, 7, v21 bitop3:0x40
	s_mov_b32 s19, exec_lo
	v_cmpx_gt_u32_e32 8, v27
; %bb.786:                              ;   in Loop: Header=BB269_552 Depth=1
	s_delay_alu instid0(VALU_DEP_2) | instskip(NEXT) | instid1(VALU_DEP_1)
	v_clz_i32_u32_e32 v24, v24
	v_min_u32_e32 v24, 32, v24
	s_delay_alu instid0(VALU_DEP_1) | instskip(NEXT) | instid1(VALU_DEP_1)
	v_subrev_nc_u32_e32 v26, 28, v24
	v_lshlrev_b64_e32 v[56:57], v26, v[10:11]
	v_sub_nc_u32_e32 v26, 29, v24
	s_delay_alu instid0(VALU_DEP_2)
	v_and_b32_e32 v24, 7, v56
; %bb.787:                              ;   in Loop: Header=BB269_552 Depth=1
	s_or_b32 exec_lo, exec_lo, s19
	s_delay_alu instid0(VALU_DEP_1) | instskip(NEXT) | instid1(VALU_DEP_3)
	v_dual_lshlrev_b32 v27, 8, v21 :: v_dual_lshlrev_b32 v24, 7, v24
	v_lshl_add_u32 v26, v26, 10, 0x2000
	s_delay_alu instid0(VALU_DEP_2) | instskip(NEXT) | instid1(VALU_DEP_2)
	v_and_b32_e32 v27, 0x8000, v27
	v_and_b32_e32 v26, 0xfc00, v26
	s_delay_alu instid0(VALU_DEP_1)
	v_or3_b32 v24, v27, v26, v24
.LBB269_788:                            ;   in Loop: Header=BB269_552 Depth=1
	s_or_b32 exec_lo, exec_lo, s18
.LBB269_789:                            ;   in Loop: Header=BB269_552 Depth=1
	s_delay_alu instid0(SALU_CYCLE_1)
	s_or_b32 exec_lo, exec_lo, s17
.LBB269_790:                            ;   in Loop: Header=BB269_552 Depth=1
	s_delay_alu instid0(SALU_CYCLE_1) | instskip(SKIP_3) | instid1(VALU_DEP_2)
	s_or_b32 exec_lo, exec_lo, s16
	v_lshrrev_b16 v10, 8, v10
	v_mov_b32_e32 v26, 0
	s_mov_b32 s16, exec_lo
	v_cmpx_ne_u16_e32 0, v10
	s_cbranch_execz .LBB269_798
; %bb.791:                              ;   in Loop: Header=BB269_552 Depth=1
	v_bfrev_b32_e32 v26, 1
	s_mov_b32 s17, exec_lo
	v_cmpx_ne_u16_e32 0x80, v10
	s_cbranch_execz .LBB269_797
; %bb.792:                              ;   in Loop: Header=BB269_552 Depth=1
	v_and_b32_e32 v27, 0xffff, v10
	v_mov_b32_e32 v26, 0x7c010000
	s_mov_b32 s18, exec_lo
	s_delay_alu instid0(VALU_DEP_2) | instskip(NEXT) | instid1(VALU_DEP_1)
	v_and_b32_e32 v44, 0x7f, v27
	v_cmpx_ne_u32_e32 0x7f, v44
	s_cbranch_execz .LBB269_796
; %bb.793:                              ;   in Loop: Header=BB269_552 Depth=1
	v_dual_lshrrev_b32 v43, 3, v44 :: v_dual_bitop2_b32 v26, 7, v27 bitop3:0x40
	s_mov_b32 s19, exec_lo
	v_cmpx_gt_u32_e32 8, v44
; %bb.794:                              ;   in Loop: Header=BB269_552 Depth=1
	s_delay_alu instid0(VALU_DEP_2) | instskip(NEXT) | instid1(VALU_DEP_1)
	v_clz_i32_u32_e32 v26, v26
	v_min_u32_e32 v26, 32, v26
	s_delay_alu instid0(VALU_DEP_1) | instskip(NEXT) | instid1(VALU_DEP_1)
	v_subrev_nc_u32_e32 v43, 28, v26
	v_lshlrev_b64_e32 v[56:57], v43, v[10:11]
	s_delay_alu instid0(VALU_DEP_1)
	v_dual_sub_nc_u32 v43, 29, v26 :: v_dual_bitop2_b32 v26, 7, v56 bitop3:0x40
; %bb.795:                              ;   in Loop: Header=BB269_552 Depth=1
	s_or_b32 exec_lo, exec_lo, s19
	s_delay_alu instid0(VALU_DEP_1) | instskip(NEXT) | instid1(VALU_DEP_2)
	v_dual_lshlrev_b32 v10, 8, v27 :: v_dual_lshlrev_b32 v26, 23, v26
	v_lshl_add_u32 v27, v43, 10, 0x2000
	s_delay_alu instid0(VALU_DEP_1) | instskip(NEXT) | instid1(VALU_DEP_1)
	v_and_or_b32 v10, 0x8000, v10, v27
	v_lshl_or_b32 v26, v10, 16, v26
.LBB269_796:                            ;   in Loop: Header=BB269_552 Depth=1
	s_or_b32 exec_lo, exec_lo, s18
.LBB269_797:                            ;   in Loop: Header=BB269_552 Depth=1
	s_delay_alu instid0(SALU_CYCLE_1)
	s_or_b32 exec_lo, exec_lo, s17
.LBB269_798:                            ;   in Loop: Header=BB269_552 Depth=1
	s_delay_alu instid0(SALU_CYCLE_1) | instskip(SKIP_2) | instid1(VALU_DEP_1)
	s_or_b32 exec_lo, exec_lo, s16
	v_lshrrev_b32_e32 v10, 16, v21
	s_mov_b32 s16, exec_lo
	v_and_b32_e32 v27, 0xff, v10
	s_delay_alu instid0(VALU_DEP_1)
	v_cmpx_ne_u16_e32 0, v27
	s_cbranch_execz .LBB269_806
; %bb.799:                              ;   in Loop: Header=BB269_552 Depth=1
	v_mov_b32_e32 v25, 0x8000
	s_mov_b32 s17, exec_lo
	v_cmpx_ne_u16_e32 0x80, v27
	s_cbranch_execz .LBB269_805
; %bb.800:                              ;   in Loop: Header=BB269_552 Depth=1
	v_bfe_u32 v43, v21, 16, 7
	v_mov_b32_e32 v25, 0x7c01
	s_mov_b32 s18, exec_lo
	s_delay_alu instid0(VALU_DEP_2)
	v_cmpx_ne_u32_e32 0x7f, v43
	s_cbranch_execz .LBB269_804
; %bb.801:                              ;   in Loop: Header=BB269_552 Depth=1
	v_dual_lshrrev_b32 v27, 3, v43 :: v_dual_bitop2_b32 v25, 7, v10 bitop3:0x40
	s_mov_b32 s19, exec_lo
	v_cmpx_gt_u32_e32 8, v43
; %bb.802:                              ;   in Loop: Header=BB269_552 Depth=1
	s_delay_alu instid0(VALU_DEP_2) | instskip(NEXT) | instid1(VALU_DEP_1)
	v_clz_i32_u32_e32 v25, v25
	v_min_u32_e32 v25, 32, v25
	s_delay_alu instid0(VALU_DEP_1) | instskip(NEXT) | instid1(VALU_DEP_1)
	v_subrev_nc_u32_e32 v27, 28, v25
	v_lshlrev_b64_e32 v[56:57], v27, v[10:11]
	s_delay_alu instid0(VALU_DEP_1)
	v_dual_sub_nc_u32 v27, 29, v25 :: v_dual_bitop2_b32 v25, 7, v56 bitop3:0x40
; %bb.803:                              ;   in Loop: Header=BB269_552 Depth=1
	s_or_b32 exec_lo, exec_lo, s19
	s_delay_alu instid0(VALU_DEP_1) | instskip(NEXT) | instid1(VALU_DEP_2)
	v_dual_lshlrev_b32 v10, 8, v10 :: v_dual_lshlrev_b32 v25, 7, v25
	v_lshl_add_u32 v27, v27, 10, 0x2000
	s_delay_alu instid0(VALU_DEP_2) | instskip(NEXT) | instid1(VALU_DEP_2)
	v_and_b32_e32 v10, 0x8000, v10
	v_and_b32_e32 v27, 0xfc00, v27
	s_delay_alu instid0(VALU_DEP_1)
	v_or3_b32 v25, v10, v27, v25
.LBB269_804:                            ;   in Loop: Header=BB269_552 Depth=1
	s_or_b32 exec_lo, exec_lo, s18
.LBB269_805:                            ;   in Loop: Header=BB269_552 Depth=1
	s_delay_alu instid0(SALU_CYCLE_1)
	s_or_b32 exec_lo, exec_lo, s17
.LBB269_806:                            ;   in Loop: Header=BB269_552 Depth=1
	s_delay_alu instid0(SALU_CYCLE_1)
	s_or_b32 exec_lo, exec_lo, s16
	v_cmp_lt_u64_e64 s0, s[4:5], v[20:21]
	v_mov_b32_e32 v20, 0
	s_and_saveexec_b32 s16, s0
	s_cbranch_execz .LBB269_814
; %bb.807:                              ;   in Loop: Header=BB269_552 Depth=1
	v_lshrrev_b32_e32 v10, 24, v21
	v_bfrev_b32_e32 v20, 1
	s_mov_b32 s17, exec_lo
	s_delay_alu instid0(VALU_DEP_2)
	v_cmpx_ne_u32_e32 0x80, v10
	s_cbranch_execz .LBB269_813
; %bb.808:                              ;   in Loop: Header=BB269_552 Depth=1
	v_and_b32_e32 v27, 0x7f, v10
	v_mov_b32_e32 v20, 0x7c010000
	s_mov_b32 s18, exec_lo
	s_delay_alu instid0(VALU_DEP_2)
	v_cmpx_ne_u32_e32 0x7f, v27
	s_cbranch_execz .LBB269_812
; %bb.809:                              ;   in Loop: Header=BB269_552 Depth=1
	v_dual_lshrrev_b32 v21, 3, v27 :: v_dual_bitop2_b32 v20, 7, v10 bitop3:0x40
	s_mov_b32 s19, exec_lo
	v_cmpx_gt_u32_e32 8, v27
; %bb.810:                              ;   in Loop: Header=BB269_552 Depth=1
	s_delay_alu instid0(VALU_DEP_2) | instskip(NEXT) | instid1(VALU_DEP_1)
	v_clz_i32_u32_e32 v20, v20
	v_min_u32_e32 v27, 32, v20
	s_delay_alu instid0(VALU_DEP_1) | instskip(NEXT) | instid1(VALU_DEP_1)
	v_subrev_nc_u32_e32 v20, 28, v27
	v_lshlrev_b64_e32 v[20:21], v20, v[10:11]
	s_delay_alu instid0(VALU_DEP_1)
	v_dual_sub_nc_u32 v21, 29, v27 :: v_dual_bitop2_b32 v20, 7, v20 bitop3:0x40
; %bb.811:                              ;   in Loop: Header=BB269_552 Depth=1
	s_or_b32 exec_lo, exec_lo, s19
	s_delay_alu instid0(VALU_DEP_1) | instskip(NEXT) | instid1(VALU_DEP_2)
	v_dual_lshlrev_b32 v10, 8, v10 :: v_dual_lshlrev_b32 v20, 23, v20
	v_lshl_add_u32 v21, v21, 10, 0x2000
	s_delay_alu instid0(VALU_DEP_1) | instskip(NEXT) | instid1(VALU_DEP_1)
	v_and_or_b32 v10, 0x8000, v10, v21
	v_lshl_or_b32 v20, v10, 16, v20
.LBB269_812:                            ;   in Loop: Header=BB269_552 Depth=1
	s_or_b32 exec_lo, exec_lo, s18
.LBB269_813:                            ;   in Loop: Header=BB269_552 Depth=1
	s_delay_alu instid0(SALU_CYCLE_1)
	s_or_b32 exec_lo, exec_lo, s17
.LBB269_814:                            ;   in Loop: Header=BB269_552 Depth=1
	s_delay_alu instid0(SALU_CYCLE_1) | instskip(SKIP_3) | instid1(VALU_DEP_3)
	s_or_b32 exec_lo, exec_lo, s16
	v_dual_lshrrev_b32 v10, 16, v1 :: v_dual_lshrrev_b32 v21, 16, v22
	v_or_b32_e32 v1, v1, v19
	v_dual_lshrrev_b32 v27, 16, v20 :: v_dual_bitop2_b32 v19, v22, v23 bitop3:0x54
	v_cvt_f32_f16_e32 v23, v10
	s_delay_alu instid0(VALU_DEP_4) | instskip(SKIP_1) | instid1(VALU_DEP_4)
	v_cvt_f32_f16_e32 v22, v21
	v_dual_lshrrev_b32 v25, 16, v26 :: v_dual_bitop2_b32 v10, v20, v25 bitop3:0x54
	v_cvt_f32_f16_e32 v20, v19
	v_cvt_f32_f16_e32 v21, v1
	s_wait_loadcnt 0x0
	v_pk_mul_f32 v[22:23], v[18:19], v[22:23] op_sel_hi:[0,1]
	v_cvt_f32_f16_e32 v25, v25
	s_delay_alu instid0(VALU_DEP_2) | instskip(SKIP_3) | instid1(VALU_DEP_3)
	v_cvt_pk_f16_f32 v1, v22, v23
	v_or_b32_e32 v19, v26, v24
	v_cvt_f32_f16_e32 v24, v27
	v_cvt_f32_f16_e32 v26, v10
	v_pk_mul_f32 v[20:21], v[18:19], v[20:21] op_sel_hi:[0,1]
	s_delay_alu instid0(VALU_DEP_1) | instskip(SKIP_4) | instid1(VALU_DEP_3)
	v_cvt_pk_f16_f32 v10, v20, v21
	v_lshlrev_b32_e32 v20, 16, v1
	v_cvt_f32_f16_e32 v27, v19
	v_pk_mul_f32 v[22:23], v[18:19], v[24:25] op_sel_hi:[0,1]
	v_and_b32_e32 v21, 0xffff0000, v1
	v_pk_mul_f32 v[18:19], v[18:19], v[26:27] op_sel_hi:[0,1]
	s_delay_alu instid0(VALU_DEP_3) | instskip(SKIP_1) | instid1(VALU_DEP_3)
	v_cvt_pk_f16_f32 v22, v22, v23
	v_and_b32_e32 v26, 0xffff, v10
	v_cvt_pk_f16_f32 v18, v18, v19
	s_delay_alu instid0(VALU_DEP_3) | instskip(NEXT) | instid1(VALU_DEP_3)
	v_and_b32_e32 v1, 0xffff0000, v22
	v_or_b32_e32 v24, v20, v26
	s_delay_alu instid0(VALU_DEP_3) | instskip(SKIP_2) | instid1(VALU_DEP_3)
	v_lshrrev_b32_e32 v19, 16, v18
	v_lshrrev_b32_e32 v27, 16, v10
	v_and_b32_e32 v18, 0xffff, v18
	v_dual_lshlrev_b32 v10, 16, v22 :: v_dual_bitop2_b32 v23, v1, v19 bitop3:0x54
	s_delay_alu instid0(VALU_DEP_3) | instskip(NEXT) | instid1(VALU_DEP_2)
	v_or_b32_e32 v25, v21, v27
	v_or_b32_e32 v22, v10, v18
	s_and_saveexec_b32 s16, vcc_lo
	s_cbranch_execz .LBB269_816
; %bb.815:                              ;   in Loop: Header=BB269_552 Depth=1
	v_cmp_gt_i32_e64 s0, s15, v33
	s_delay_alu instid0(VALU_DEP_1) | instskip(SKIP_1) | instid1(VALU_DEP_1)
	v_cndmask_b32_e64 v22, 0, v27, s0
	v_cmp_gt_i32_e64 s0, s25, v42
	v_cndmask_b32_e64 v23, 0, v26, s0
	v_cmp_gt_i32_e64 s0, s15, v41
	s_delay_alu instid0(VALU_DEP_1) | instskip(SKIP_1) | instid1(VALU_DEP_1)
	v_cndmask_b32_e64 v21, 0, v21, s0
	v_cmp_gt_i32_e64 s0, s25, v40
	v_cndmask_b32_e64 v20, 0, v20, s0
	v_cmp_gt_i32_e64 s0, s15, v39
	s_delay_alu instid0(VALU_DEP_4) | instskip(NEXT) | instid1(VALU_DEP_3)
	v_or_b32_e32 v25, v21, v22
	v_or_b32_e32 v24, v20, v23
	s_delay_alu instid0(VALU_DEP_3) | instskip(SKIP_1) | instid1(VALU_DEP_1)
	v_cndmask_b32_e64 v19, 0, v19, s0
	v_cmp_gt_i32_e64 s0, s25, v38
	v_cndmask_b32_e64 v18, 0, v18, s0
	v_cmp_gt_i32_e64 s0, s15, v37
	s_delay_alu instid0(VALU_DEP_1) | instskip(SKIP_1) | instid1(VALU_DEP_1)
	v_cndmask_b32_e64 v1, 0, v1, s0
	v_cmp_gt_i32_e64 s0, s25, v36
	v_dual_cndmask_b32 v10, 0, v10, s0 :: v_dual_bitop2_b32 v23, v1, v19 bitop3:0x54
	s_delay_alu instid0(VALU_DEP_1)
	v_or_b32_e32 v22, v10, v18
.LBB269_816:                            ;   in Loop: Header=BB269_552 Depth=1
	s_or_b32 exec_lo, exec_lo, s16
	;;#ASMSTART
	v_pk_mul_f16 v1, v48, v25;

	;;#ASMEND
	;;#ASMSTART
	v_pk_mul_f16 v10, v47, v24;

	;;#ASMEND
	;; [unrolled: 4-line block ×4, first 2 shown]
	;;#ASMSTART
	v_pk_add_f16 v1, v1, v10;

	;;#ASMEND
	;;#ASMSTART
	v_pk_add_f16 v1, v1, v18;

	;;#ASMEND
	;; [unrolled: 4-line block ×3, first 2 shown]
	v_and_b32_e32 v10, 0xffff, v1
	v_dual_lshrrev_b32 v1, 16, v1 :: v_dual_mov_b32 v19, 0
	;;#ASMSTART
	v_cvt_f32_f16 v55, v10;
	;;#ASMEND
	;;#ASMSTART
	v_cvt_f32_f16 v56, v1;
	;;#ASMEND
	global_load_b64 v[20:21], v[16:17], off offset:1024
	v_mov_b32_e32 v1, 0
	s_mov_b32 s16, exec_lo
	global_load_b32 v18, v1, s[10:11]
	s_wait_loadcnt 0x1
	v_and_b32_e32 v10, 0xff, v20
	s_wait_xcnt 0x0
	s_delay_alu instid0(VALU_DEP_1)
	v_cmpx_ne_u16_e32 0, v10
	s_cbranch_execz .LBB269_824
; %bb.817:                              ;   in Loop: Header=BB269_552 Depth=1
	v_mov_b32_e32 v19, 0x8000
	s_mov_b32 s17, exec_lo
	v_cmpx_ne_u16_e32 0x80, v10
	s_cbranch_execz .LBB269_823
; %bb.818:                              ;   in Loop: Header=BB269_552 Depth=1
	v_and_b32_e32 v22, 0x7f, v20
	v_mov_b32_e32 v19, 0x7c01
	s_mov_b32 s18, exec_lo
	s_delay_alu instid0(VALU_DEP_2)
	v_cmpx_ne_u32_e32 0x7f, v22
	s_cbranch_execz .LBB269_822
; %bb.819:                              ;   in Loop: Header=BB269_552 Depth=1
	v_dual_lshrrev_b32 v19, 3, v22 :: v_dual_bitop2_b32 v10, 7, v20 bitop3:0x40
	s_mov_b32 s19, exec_lo
	v_cmpx_gt_u32_e32 8, v22
; %bb.820:                              ;   in Loop: Header=BB269_552 Depth=1
	s_delay_alu instid0(VALU_DEP_2) | instskip(NEXT) | instid1(VALU_DEP_1)
	v_clz_i32_u32_e32 v10, v10
	v_min_u32_e32 v10, 32, v10
	s_delay_alu instid0(VALU_DEP_1) | instskip(NEXT) | instid1(VALU_DEP_1)
	v_subrev_nc_u32_e32 v19, 28, v10
	v_lshlrev_b64_e32 v[22:23], v19, v[20:21]
	v_sub_nc_u32_e32 v19, 29, v10
	s_delay_alu instid0(VALU_DEP_2)
	v_and_b32_e32 v10, 7, v22
; %bb.821:                              ;   in Loop: Header=BB269_552 Depth=1
	s_or_b32 exec_lo, exec_lo, s19
	s_delay_alu instid0(VALU_DEP_1) | instskip(NEXT) | instid1(VALU_DEP_3)
	v_dual_lshlrev_b32 v22, 8, v20 :: v_dual_lshlrev_b32 v10, 7, v10
	v_lshl_add_u32 v19, v19, 10, 0x2000
	s_delay_alu instid0(VALU_DEP_2) | instskip(NEXT) | instid1(VALU_DEP_2)
	v_and_b32_e32 v22, 0x8000, v22
	v_and_b32_e32 v19, 0xfc00, v19
	s_delay_alu instid0(VALU_DEP_1)
	v_or3_b32 v19, v22, v19, v10
.LBB269_822:                            ;   in Loop: Header=BB269_552 Depth=1
	s_or_b32 exec_lo, exec_lo, s18
.LBB269_823:                            ;   in Loop: Header=BB269_552 Depth=1
	s_delay_alu instid0(SALU_CYCLE_1)
	s_or_b32 exec_lo, exec_lo, s17
.LBB269_824:                            ;   in Loop: Header=BB269_552 Depth=1
	s_delay_alu instid0(SALU_CYCLE_1) | instskip(SKIP_2) | instid1(VALU_DEP_1)
	s_or_b32 exec_lo, exec_lo, s16
	v_lshrrev_b16 v10, 8, v20
	s_mov_b32 s16, exec_lo
	v_cmpx_ne_u16_e32 0, v10
	s_cbranch_execz .LBB269_832
; %bb.825:                              ;   in Loop: Header=BB269_552 Depth=1
	v_bfrev_b32_e32 v1, 1
	s_mov_b32 s17, exec_lo
	v_cmpx_ne_u16_e32 0x80, v10
	s_cbranch_execz .LBB269_831
; %bb.826:                              ;   in Loop: Header=BB269_552 Depth=1
	v_and_b32_e32 v22, 0xffff, v10
	v_mov_b32_e32 v1, 0x7c010000
	s_mov_b32 s18, exec_lo
	s_delay_alu instid0(VALU_DEP_2) | instskip(NEXT) | instid1(VALU_DEP_1)
	v_and_b32_e32 v24, 0x7f, v22
	v_cmpx_ne_u32_e32 0x7f, v24
	s_cbranch_execz .LBB269_830
; %bb.827:                              ;   in Loop: Header=BB269_552 Depth=1
	v_dual_lshrrev_b32 v23, 3, v24 :: v_dual_bitop2_b32 v1, 7, v22 bitop3:0x40
	s_mov_b32 s19, exec_lo
	v_cmpx_gt_u32_e32 8, v24
; %bb.828:                              ;   in Loop: Header=BB269_552 Depth=1
	s_delay_alu instid0(VALU_DEP_2) | instskip(NEXT) | instid1(VALU_DEP_1)
	v_clz_i32_u32_e32 v1, v1
	v_min_u32_e32 v1, 32, v1
	s_delay_alu instid0(VALU_DEP_1) | instskip(NEXT) | instid1(VALU_DEP_1)
	v_subrev_nc_u32_e32 v23, 28, v1
	v_lshlrev_b64_e32 v[24:25], v23, v[10:11]
	s_delay_alu instid0(VALU_DEP_1)
	v_dual_sub_nc_u32 v23, 29, v1 :: v_dual_bitop2_b32 v1, 7, v24 bitop3:0x40
; %bb.829:                              ;   in Loop: Header=BB269_552 Depth=1
	s_or_b32 exec_lo, exec_lo, s19
	s_delay_alu instid0(VALU_DEP_1) | instskip(NEXT) | instid1(VALU_DEP_2)
	v_dual_lshlrev_b32 v10, 8, v22 :: v_dual_lshlrev_b32 v1, 23, v1
	v_lshl_add_u32 v22, v23, 10, 0x2000
	s_delay_alu instid0(VALU_DEP_1) | instskip(NEXT) | instid1(VALU_DEP_1)
	v_and_or_b32 v10, 0x8000, v10, v22
	v_lshl_or_b32 v1, v10, 16, v1
.LBB269_830:                            ;   in Loop: Header=BB269_552 Depth=1
	s_or_b32 exec_lo, exec_lo, s18
.LBB269_831:                            ;   in Loop: Header=BB269_552 Depth=1
	s_delay_alu instid0(SALU_CYCLE_1)
	s_or_b32 exec_lo, exec_lo, s17
.LBB269_832:                            ;   in Loop: Header=BB269_552 Depth=1
	s_delay_alu instid0(SALU_CYCLE_1) | instskip(SKIP_3) | instid1(VALU_DEP_2)
	s_or_b32 exec_lo, exec_lo, s16
	v_dual_lshrrev_b32 v10, 16, v20 :: v_dual_mov_b32 v22, 0
	v_mov_b32_e32 v23, 0
	s_mov_b32 s16, exec_lo
	v_and_b32_e32 v24, 0xff, v10
	s_delay_alu instid0(VALU_DEP_1)
	v_cmpx_ne_u16_e32 0, v24
	s_cbranch_execz .LBB269_840
; %bb.833:                              ;   in Loop: Header=BB269_552 Depth=1
	v_mov_b32_e32 v23, 0x8000
	s_mov_b32 s17, exec_lo
	v_cmpx_ne_u16_e32 0x80, v24
	s_cbranch_execz .LBB269_839
; %bb.834:                              ;   in Loop: Header=BB269_552 Depth=1
	v_bfe_u32 v25, v20, 16, 7
	v_mov_b32_e32 v23, 0x7c01
	s_mov_b32 s18, exec_lo
	s_delay_alu instid0(VALU_DEP_2)
	v_cmpx_ne_u32_e32 0x7f, v25
	s_cbranch_execz .LBB269_838
; %bb.835:                              ;   in Loop: Header=BB269_552 Depth=1
	v_dual_lshrrev_b32 v24, 3, v25 :: v_dual_bitop2_b32 v23, 7, v10 bitop3:0x40
	s_mov_b32 s19, exec_lo
	v_cmpx_gt_u32_e32 8, v25
; %bb.836:                              ;   in Loop: Header=BB269_552 Depth=1
	s_delay_alu instid0(VALU_DEP_2) | instskip(NEXT) | instid1(VALU_DEP_1)
	v_clz_i32_u32_e32 v23, v23
	v_min_u32_e32 v23, 32, v23
	s_delay_alu instid0(VALU_DEP_1) | instskip(NEXT) | instid1(VALU_DEP_1)
	v_subrev_nc_u32_e32 v24, 28, v23
	v_lshlrev_b64_e32 v[26:27], v24, v[10:11]
	s_delay_alu instid0(VALU_DEP_1)
	v_dual_sub_nc_u32 v24, 29, v23 :: v_dual_bitop2_b32 v23, 7, v26 bitop3:0x40
; %bb.837:                              ;   in Loop: Header=BB269_552 Depth=1
	s_or_b32 exec_lo, exec_lo, s19
	s_delay_alu instid0(VALU_DEP_1) | instskip(NEXT) | instid1(VALU_DEP_2)
	v_dual_lshlrev_b32 v10, 8, v10 :: v_dual_lshlrev_b32 v23, 7, v23
	v_lshl_add_u32 v24, v24, 10, 0x2000
	s_delay_alu instid0(VALU_DEP_2) | instskip(NEXT) | instid1(VALU_DEP_2)
	v_and_b32_e32 v10, 0x8000, v10
	v_and_b32_e32 v24, 0xfc00, v24
	s_delay_alu instid0(VALU_DEP_1)
	v_or3_b32 v23, v10, v24, v23
.LBB269_838:                            ;   in Loop: Header=BB269_552 Depth=1
	s_or_b32 exec_lo, exec_lo, s18
.LBB269_839:                            ;   in Loop: Header=BB269_552 Depth=1
	s_delay_alu instid0(SALU_CYCLE_1)
	s_or_b32 exec_lo, exec_lo, s17
.LBB269_840:                            ;   in Loop: Header=BB269_552 Depth=1
	s_delay_alu instid0(SALU_CYCLE_1) | instskip(NEXT) | instid1(SALU_CYCLE_1)
	s_or_b32 exec_lo, exec_lo, s16
	s_mov_b32 s16, exec_lo
	v_cmpx_lt_u32_e32 0xffffff, v20
	s_cbranch_execz .LBB269_848
; %bb.841:                              ;   in Loop: Header=BB269_552 Depth=1
	v_lshrrev_b32_e32 v10, 24, v20
	v_bfrev_b32_e32 v22, 1
	s_mov_b32 s17, exec_lo
	s_delay_alu instid0(VALU_DEP_2)
	v_cmpx_ne_u32_e32 0x80, v10
	s_cbranch_execz .LBB269_847
; %bb.842:                              ;   in Loop: Header=BB269_552 Depth=1
	v_and_b32_e32 v25, 0x7f, v10
	v_mov_b32_e32 v22, 0x7c010000
	s_mov_b32 s18, exec_lo
	s_delay_alu instid0(VALU_DEP_2)
	v_cmpx_ne_u32_e32 0x7f, v25
	s_cbranch_execz .LBB269_846
; %bb.843:                              ;   in Loop: Header=BB269_552 Depth=1
	v_dual_lshrrev_b32 v24, 3, v25 :: v_dual_bitop2_b32 v22, 7, v10 bitop3:0x40
	s_mov_b32 s19, exec_lo
	v_cmpx_gt_u32_e32 8, v25
; %bb.844:                              ;   in Loop: Header=BB269_552 Depth=1
	s_delay_alu instid0(VALU_DEP_2) | instskip(NEXT) | instid1(VALU_DEP_1)
	v_clz_i32_u32_e32 v22, v22
	v_min_u32_e32 v22, 32, v22
	s_delay_alu instid0(VALU_DEP_1) | instskip(NEXT) | instid1(VALU_DEP_1)
	v_subrev_nc_u32_e32 v24, 28, v22
	v_lshlrev_b64_e32 v[26:27], v24, v[10:11]
	v_sub_nc_u32_e32 v24, 29, v22
	s_delay_alu instid0(VALU_DEP_2)
	v_and_b32_e32 v22, 7, v26
; %bb.845:                              ;   in Loop: Header=BB269_552 Depth=1
	s_or_b32 exec_lo, exec_lo, s19
	v_lshlrev_b32_e32 v10, 8, v10
	s_delay_alu instid0(VALU_DEP_3) | instskip(NEXT) | instid1(VALU_DEP_3)
	v_lshl_add_u32 v24, v24, 10, 0x2000
	v_lshlrev_b32_e32 v22, 23, v22
	s_delay_alu instid0(VALU_DEP_2) | instskip(NEXT) | instid1(VALU_DEP_1)
	v_and_or_b32 v10, 0x8000, v10, v24
	v_lshl_or_b32 v22, v10, 16, v22
.LBB269_846:                            ;   in Loop: Header=BB269_552 Depth=1
	s_or_b32 exec_lo, exec_lo, s18
.LBB269_847:                            ;   in Loop: Header=BB269_552 Depth=1
	s_delay_alu instid0(SALU_CYCLE_1)
	s_or_b32 exec_lo, exec_lo, s17
.LBB269_848:                            ;   in Loop: Header=BB269_552 Depth=1
	s_delay_alu instid0(SALU_CYCLE_1) | instskip(SKIP_4) | instid1(VALU_DEP_3)
	s_or_b32 exec_lo, exec_lo, s16
	v_and_b32_e32 v26, 0xff, v21
	v_dual_mov_b32 v10, v21 :: v_dual_mov_b32 v25, 0
	v_mov_b32_e32 v24, 0
	s_mov_b32 s16, exec_lo
	v_cmpx_ne_u16_e32 0, v26
	s_cbranch_execz .LBB269_856
; %bb.849:                              ;   in Loop: Header=BB269_552 Depth=1
	v_mov_b32_e32 v24, 0x8000
	s_mov_b32 s17, exec_lo
	v_cmpx_ne_u16_e32 0x80, v26
	s_cbranch_execz .LBB269_855
; %bb.850:                              ;   in Loop: Header=BB269_552 Depth=1
	v_and_b32_e32 v27, 0x7f, v21
	v_mov_b32_e32 v24, 0x7c01
	s_mov_b32 s18, exec_lo
	s_delay_alu instid0(VALU_DEP_2)
	v_cmpx_ne_u32_e32 0x7f, v27
	s_cbranch_execz .LBB269_854
; %bb.851:                              ;   in Loop: Header=BB269_552 Depth=1
	v_dual_lshrrev_b32 v26, 3, v27 :: v_dual_bitop2_b32 v24, 7, v21 bitop3:0x40
	s_mov_b32 s19, exec_lo
	v_cmpx_gt_u32_e32 8, v27
; %bb.852:                              ;   in Loop: Header=BB269_552 Depth=1
	s_delay_alu instid0(VALU_DEP_2) | instskip(NEXT) | instid1(VALU_DEP_1)
	v_clz_i32_u32_e32 v24, v24
	v_min_u32_e32 v24, 32, v24
	s_delay_alu instid0(VALU_DEP_1) | instskip(NEXT) | instid1(VALU_DEP_1)
	v_subrev_nc_u32_e32 v26, 28, v24
	v_lshlrev_b64_e32 v[58:59], v26, v[10:11]
	s_delay_alu instid0(VALU_DEP_1)
	v_dual_sub_nc_u32 v26, 29, v24 :: v_dual_bitop2_b32 v24, 7, v58 bitop3:0x40
; %bb.853:                              ;   in Loop: Header=BB269_552 Depth=1
	s_or_b32 exec_lo, exec_lo, s19
	s_delay_alu instid0(VALU_DEP_1) | instskip(NEXT) | instid1(VALU_DEP_2)
	v_dual_lshlrev_b32 v27, 8, v21 :: v_dual_lshlrev_b32 v24, 7, v24
	v_lshl_add_u32 v26, v26, 10, 0x2000
	s_delay_alu instid0(VALU_DEP_2) | instskip(NEXT) | instid1(VALU_DEP_2)
	v_and_b32_e32 v27, 0x8000, v27
	v_and_b32_e32 v26, 0xfc00, v26
	s_delay_alu instid0(VALU_DEP_1)
	v_or3_b32 v24, v27, v26, v24
.LBB269_854:                            ;   in Loop: Header=BB269_552 Depth=1
	s_or_b32 exec_lo, exec_lo, s18
.LBB269_855:                            ;   in Loop: Header=BB269_552 Depth=1
	s_delay_alu instid0(SALU_CYCLE_1)
	s_or_b32 exec_lo, exec_lo, s17
.LBB269_856:                            ;   in Loop: Header=BB269_552 Depth=1
	s_delay_alu instid0(SALU_CYCLE_1) | instskip(SKIP_3) | instid1(VALU_DEP_2)
	s_or_b32 exec_lo, exec_lo, s16
	v_lshrrev_b16 v10, 8, v10
	v_mov_b32_e32 v26, 0
	s_mov_b32 s16, exec_lo
	v_cmpx_ne_u16_e32 0, v10
	s_cbranch_execz .LBB269_864
; %bb.857:                              ;   in Loop: Header=BB269_552 Depth=1
	v_bfrev_b32_e32 v26, 1
	s_mov_b32 s17, exec_lo
	v_cmpx_ne_u16_e32 0x80, v10
	s_cbranch_execz .LBB269_863
; %bb.858:                              ;   in Loop: Header=BB269_552 Depth=1
	v_and_b32_e32 v27, 0xffff, v10
	v_mov_b32_e32 v26, 0x7c010000
	s_mov_b32 s18, exec_lo
	s_delay_alu instid0(VALU_DEP_2) | instskip(NEXT) | instid1(VALU_DEP_1)
	v_and_b32_e32 v44, 0x7f, v27
	v_cmpx_ne_u32_e32 0x7f, v44
	s_cbranch_execz .LBB269_862
; %bb.859:                              ;   in Loop: Header=BB269_552 Depth=1
	v_dual_lshrrev_b32 v43, 3, v44 :: v_dual_bitop2_b32 v26, 7, v27 bitop3:0x40
	s_mov_b32 s19, exec_lo
	v_cmpx_gt_u32_e32 8, v44
; %bb.860:                              ;   in Loop: Header=BB269_552 Depth=1
	s_delay_alu instid0(VALU_DEP_2) | instskip(NEXT) | instid1(VALU_DEP_1)
	v_clz_i32_u32_e32 v26, v26
	v_min_u32_e32 v26, 32, v26
	s_delay_alu instid0(VALU_DEP_1) | instskip(NEXT) | instid1(VALU_DEP_1)
	v_subrev_nc_u32_e32 v43, 28, v26
	v_lshlrev_b64_e32 v[58:59], v43, v[10:11]
	v_sub_nc_u32_e32 v43, 29, v26
	s_delay_alu instid0(VALU_DEP_2)
	v_and_b32_e32 v26, 7, v58
; %bb.861:                              ;   in Loop: Header=BB269_552 Depth=1
	s_or_b32 exec_lo, exec_lo, s19
	s_delay_alu instid0(VALU_DEP_1) | instskip(NEXT) | instid1(VALU_DEP_3)
	v_dual_lshlrev_b32 v10, 8, v27 :: v_dual_lshlrev_b32 v26, 23, v26
	v_lshl_add_u32 v27, v43, 10, 0x2000
	s_delay_alu instid0(VALU_DEP_1) | instskip(NEXT) | instid1(VALU_DEP_1)
	v_and_or_b32 v10, 0x8000, v10, v27
	v_lshl_or_b32 v26, v10, 16, v26
.LBB269_862:                            ;   in Loop: Header=BB269_552 Depth=1
	s_or_b32 exec_lo, exec_lo, s18
.LBB269_863:                            ;   in Loop: Header=BB269_552 Depth=1
	s_delay_alu instid0(SALU_CYCLE_1)
	s_or_b32 exec_lo, exec_lo, s17
.LBB269_864:                            ;   in Loop: Header=BB269_552 Depth=1
	s_delay_alu instid0(SALU_CYCLE_1) | instskip(SKIP_2) | instid1(VALU_DEP_1)
	s_or_b32 exec_lo, exec_lo, s16
	v_lshrrev_b32_e32 v10, 16, v21
	s_mov_b32 s16, exec_lo
	v_and_b32_e32 v27, 0xff, v10
	s_delay_alu instid0(VALU_DEP_1)
	v_cmpx_ne_u16_e32 0, v27
	s_cbranch_execz .LBB269_872
; %bb.865:                              ;   in Loop: Header=BB269_552 Depth=1
	v_mov_b32_e32 v25, 0x8000
	s_mov_b32 s17, exec_lo
	v_cmpx_ne_u16_e32 0x80, v27
	s_cbranch_execz .LBB269_871
; %bb.866:                              ;   in Loop: Header=BB269_552 Depth=1
	v_bfe_u32 v43, v21, 16, 7
	v_mov_b32_e32 v25, 0x7c01
	s_mov_b32 s18, exec_lo
	s_delay_alu instid0(VALU_DEP_2)
	v_cmpx_ne_u32_e32 0x7f, v43
	s_cbranch_execz .LBB269_870
; %bb.867:                              ;   in Loop: Header=BB269_552 Depth=1
	v_dual_lshrrev_b32 v27, 3, v43 :: v_dual_bitop2_b32 v25, 7, v10 bitop3:0x40
	s_mov_b32 s19, exec_lo
	v_cmpx_gt_u32_e32 8, v43
; %bb.868:                              ;   in Loop: Header=BB269_552 Depth=1
	s_delay_alu instid0(VALU_DEP_2) | instskip(NEXT) | instid1(VALU_DEP_1)
	v_clz_i32_u32_e32 v25, v25
	v_min_u32_e32 v25, 32, v25
	s_delay_alu instid0(VALU_DEP_1) | instskip(NEXT) | instid1(VALU_DEP_1)
	v_subrev_nc_u32_e32 v27, 28, v25
	v_lshlrev_b64_e32 v[58:59], v27, v[10:11]
	s_delay_alu instid0(VALU_DEP_1)
	v_dual_sub_nc_u32 v27, 29, v25 :: v_dual_bitop2_b32 v25, 7, v58 bitop3:0x40
; %bb.869:                              ;   in Loop: Header=BB269_552 Depth=1
	s_or_b32 exec_lo, exec_lo, s19
	s_delay_alu instid0(VALU_DEP_1) | instskip(NEXT) | instid1(VALU_DEP_2)
	v_dual_lshlrev_b32 v10, 8, v10 :: v_dual_lshlrev_b32 v25, 7, v25
	v_lshl_add_u32 v27, v27, 10, 0x2000
	s_delay_alu instid0(VALU_DEP_2) | instskip(NEXT) | instid1(VALU_DEP_2)
	v_and_b32_e32 v10, 0x8000, v10
	v_and_b32_e32 v27, 0xfc00, v27
	s_delay_alu instid0(VALU_DEP_1)
	v_or3_b32 v25, v10, v27, v25
.LBB269_870:                            ;   in Loop: Header=BB269_552 Depth=1
	s_or_b32 exec_lo, exec_lo, s18
.LBB269_871:                            ;   in Loop: Header=BB269_552 Depth=1
	s_delay_alu instid0(SALU_CYCLE_1)
	s_or_b32 exec_lo, exec_lo, s17
.LBB269_872:                            ;   in Loop: Header=BB269_552 Depth=1
	s_delay_alu instid0(SALU_CYCLE_1)
	s_or_b32 exec_lo, exec_lo, s16
	v_cmp_lt_u64_e64 s0, s[4:5], v[20:21]
	v_mov_b32_e32 v20, 0
	s_and_saveexec_b32 s16, s0
	s_cbranch_execz .LBB269_880
; %bb.873:                              ;   in Loop: Header=BB269_552 Depth=1
	v_lshrrev_b32_e32 v10, 24, v21
	v_bfrev_b32_e32 v20, 1
	s_mov_b32 s17, exec_lo
	s_delay_alu instid0(VALU_DEP_2)
	v_cmpx_ne_u32_e32 0x80, v10
	s_cbranch_execz .LBB269_879
; %bb.874:                              ;   in Loop: Header=BB269_552 Depth=1
	v_and_b32_e32 v27, 0x7f, v10
	v_mov_b32_e32 v20, 0x7c010000
	s_mov_b32 s18, exec_lo
	s_delay_alu instid0(VALU_DEP_2)
	v_cmpx_ne_u32_e32 0x7f, v27
	s_cbranch_execz .LBB269_878
; %bb.875:                              ;   in Loop: Header=BB269_552 Depth=1
	v_dual_lshrrev_b32 v21, 3, v27 :: v_dual_bitop2_b32 v20, 7, v10 bitop3:0x40
	s_mov_b32 s19, exec_lo
	v_cmpx_gt_u32_e32 8, v27
; %bb.876:                              ;   in Loop: Header=BB269_552 Depth=1
	s_delay_alu instid0(VALU_DEP_2) | instskip(NEXT) | instid1(VALU_DEP_1)
	v_clz_i32_u32_e32 v20, v20
	v_min_u32_e32 v27, 32, v20
	s_delay_alu instid0(VALU_DEP_1) | instskip(NEXT) | instid1(VALU_DEP_1)
	v_subrev_nc_u32_e32 v20, 28, v27
	v_lshlrev_b64_e32 v[20:21], v20, v[10:11]
	s_delay_alu instid0(VALU_DEP_1)
	v_dual_sub_nc_u32 v21, 29, v27 :: v_dual_bitop2_b32 v20, 7, v20 bitop3:0x40
; %bb.877:                              ;   in Loop: Header=BB269_552 Depth=1
	s_or_b32 exec_lo, exec_lo, s19
	s_delay_alu instid0(VALU_DEP_1) | instskip(NEXT) | instid1(VALU_DEP_2)
	v_dual_lshlrev_b32 v10, 8, v10 :: v_dual_lshlrev_b32 v20, 23, v20
	v_lshl_add_u32 v21, v21, 10, 0x2000
	s_delay_alu instid0(VALU_DEP_1) | instskip(NEXT) | instid1(VALU_DEP_1)
	v_and_or_b32 v10, 0x8000, v10, v21
	v_lshl_or_b32 v20, v10, 16, v20
.LBB269_878:                            ;   in Loop: Header=BB269_552 Depth=1
	s_or_b32 exec_lo, exec_lo, s18
.LBB269_879:                            ;   in Loop: Header=BB269_552 Depth=1
	s_delay_alu instid0(SALU_CYCLE_1)
	s_or_b32 exec_lo, exec_lo, s17
.LBB269_880:                            ;   in Loop: Header=BB269_552 Depth=1
	s_delay_alu instid0(SALU_CYCLE_1) | instskip(SKIP_3) | instid1(VALU_DEP_3)
	s_or_b32 exec_lo, exec_lo, s16
	v_dual_lshrrev_b32 v10, 16, v1 :: v_dual_lshrrev_b32 v21, 16, v22
	v_or_b32_e32 v1, v1, v19
	v_dual_lshrrev_b32 v27, 16, v20 :: v_dual_bitop2_b32 v19, v22, v23 bitop3:0x54
	v_cvt_f32_f16_e32 v23, v10
	s_delay_alu instid0(VALU_DEP_4) | instskip(SKIP_1) | instid1(VALU_DEP_4)
	v_cvt_f32_f16_e32 v22, v21
	v_dual_lshrrev_b32 v25, 16, v26 :: v_dual_bitop2_b32 v10, v20, v25 bitop3:0x54
	v_cvt_f32_f16_e32 v20, v19
	v_cvt_f32_f16_e32 v21, v1
	s_wait_loadcnt 0x0
	v_pk_mul_f32 v[22:23], v[18:19], v[22:23] op_sel_hi:[0,1]
	v_cvt_f32_f16_e32 v25, v25
	s_delay_alu instid0(VALU_DEP_2) | instskip(SKIP_3) | instid1(VALU_DEP_3)
	v_cvt_pk_f16_f32 v1, v22, v23
	v_or_b32_e32 v19, v26, v24
	v_cvt_f32_f16_e32 v24, v27
	v_cvt_f32_f16_e32 v26, v10
	v_pk_mul_f32 v[20:21], v[18:19], v[20:21] op_sel_hi:[0,1]
	s_delay_alu instid0(VALU_DEP_1) | instskip(SKIP_4) | instid1(VALU_DEP_3)
	v_cvt_pk_f16_f32 v10, v20, v21
	v_lshlrev_b32_e32 v20, 16, v1
	v_cvt_f32_f16_e32 v27, v19
	v_pk_mul_f32 v[22:23], v[18:19], v[24:25] op_sel_hi:[0,1]
	v_and_b32_e32 v21, 0xffff0000, v1
	v_pk_mul_f32 v[18:19], v[18:19], v[26:27] op_sel_hi:[0,1]
	s_delay_alu instid0(VALU_DEP_3) | instskip(SKIP_1) | instid1(VALU_DEP_3)
	v_cvt_pk_f16_f32 v22, v22, v23
	v_and_b32_e32 v26, 0xffff, v10
	v_cvt_pk_f16_f32 v18, v18, v19
	s_delay_alu instid0(VALU_DEP_3) | instskip(NEXT) | instid1(VALU_DEP_3)
	v_and_b32_e32 v1, 0xffff0000, v22
	v_or_b32_e32 v24, v20, v26
	s_delay_alu instid0(VALU_DEP_3) | instskip(SKIP_2) | instid1(VALU_DEP_3)
	v_lshrrev_b32_e32 v19, 16, v18
	v_lshrrev_b32_e32 v27, 16, v10
	v_and_b32_e32 v18, 0xffff, v18
	v_dual_lshlrev_b32 v10, 16, v22 :: v_dual_bitop2_b32 v23, v1, v19 bitop3:0x54
	s_delay_alu instid0(VALU_DEP_3) | instskip(NEXT) | instid1(VALU_DEP_2)
	v_or_b32_e32 v25, v21, v27
	v_or_b32_e32 v22, v10, v18
	s_and_saveexec_b32 s16, vcc_lo
	s_cbranch_execz .LBB269_882
; %bb.881:                              ;   in Loop: Header=BB269_552 Depth=1
	v_cmp_gt_i32_e64 s0, s15, v33
	s_delay_alu instid0(VALU_DEP_1) | instskip(SKIP_1) | instid1(VALU_DEP_1)
	v_cndmask_b32_e64 v22, 0, v27, s0
	v_cmp_gt_i32_e64 s0, s25, v42
	v_cndmask_b32_e64 v23, 0, v26, s0
	v_cmp_gt_i32_e64 s0, s15, v41
	s_delay_alu instid0(VALU_DEP_1) | instskip(SKIP_1) | instid1(VALU_DEP_1)
	v_cndmask_b32_e64 v21, 0, v21, s0
	v_cmp_gt_i32_e64 s0, s25, v40
	v_cndmask_b32_e64 v20, 0, v20, s0
	v_cmp_gt_i32_e64 s0, s15, v39
	s_delay_alu instid0(VALU_DEP_4) | instskip(NEXT) | instid1(VALU_DEP_3)
	v_or_b32_e32 v25, v21, v22
	v_or_b32_e32 v24, v20, v23
	s_delay_alu instid0(VALU_DEP_3) | instskip(SKIP_1) | instid1(VALU_DEP_1)
	v_cndmask_b32_e64 v19, 0, v19, s0
	v_cmp_gt_i32_e64 s0, s25, v38
	v_cndmask_b32_e64 v18, 0, v18, s0
	v_cmp_gt_i32_e64 s0, s15, v37
	s_delay_alu instid0(VALU_DEP_1) | instskip(SKIP_1) | instid1(VALU_DEP_1)
	v_cndmask_b32_e64 v1, 0, v1, s0
	v_cmp_gt_i32_e64 s0, s25, v36
	v_dual_cndmask_b32 v10, 0, v10, s0 :: v_dual_bitop2_b32 v23, v1, v19 bitop3:0x54
	s_delay_alu instid0(VALU_DEP_1)
	v_or_b32_e32 v22, v10, v18
.LBB269_882:                            ;   in Loop: Header=BB269_552 Depth=1
	s_or_b32 exec_lo, exec_lo, s16
	;;#ASMSTART
	v_pk_mul_f16 v1, v48, v25;

	;;#ASMEND
	;;#ASMSTART
	v_pk_mul_f16 v10, v47, v24;

	;;#ASMEND
	;;#ASMSTART
	v_pk_mul_f16 v18, v46, v23;

	;;#ASMEND
	;;#ASMSTART
	v_pk_mul_f16 v19, v45, v22;

	;;#ASMEND
	;;#ASMSTART
	v_pk_add_f16 v1, v1, v10;

	;;#ASMEND
	;;#ASMSTART
	v_pk_add_f16 v1, v1, v18;

	;;#ASMEND
	;; [unrolled: 4-line block ×3, first 2 shown]
	v_and_b32_e32 v10, 0xffff, v1
	v_dual_lshrrev_b32 v1, 16, v1 :: v_dual_mov_b32 v19, 0
	;;#ASMSTART
	v_cvt_f32_f16 v57, v10;
	;;#ASMEND
	;;#ASMSTART
	v_cvt_f32_f16 v58, v1;
	;;#ASMEND
	global_load_b64 v[20:21], v[16:17], off offset:1280
	v_mov_b32_e32 v1, 0
	s_mov_b32 s16, exec_lo
	global_load_b32 v18, v1, s[10:11]
	s_wait_loadcnt 0x1
	v_and_b32_e32 v10, 0xff, v20
	s_wait_xcnt 0x0
	s_delay_alu instid0(VALU_DEP_1)
	v_cmpx_ne_u16_e32 0, v10
	s_cbranch_execz .LBB269_890
; %bb.883:                              ;   in Loop: Header=BB269_552 Depth=1
	v_mov_b32_e32 v19, 0x8000
	s_mov_b32 s17, exec_lo
	v_cmpx_ne_u16_e32 0x80, v10
	s_cbranch_execz .LBB269_889
; %bb.884:                              ;   in Loop: Header=BB269_552 Depth=1
	v_and_b32_e32 v22, 0x7f, v20
	v_mov_b32_e32 v19, 0x7c01
	s_mov_b32 s18, exec_lo
	s_delay_alu instid0(VALU_DEP_2)
	v_cmpx_ne_u32_e32 0x7f, v22
	s_cbranch_execz .LBB269_888
; %bb.885:                              ;   in Loop: Header=BB269_552 Depth=1
	v_dual_lshrrev_b32 v19, 3, v22 :: v_dual_bitop2_b32 v10, 7, v20 bitop3:0x40
	s_mov_b32 s19, exec_lo
	v_cmpx_gt_u32_e32 8, v22
; %bb.886:                              ;   in Loop: Header=BB269_552 Depth=1
	s_delay_alu instid0(VALU_DEP_2) | instskip(NEXT) | instid1(VALU_DEP_1)
	v_clz_i32_u32_e32 v10, v10
	v_min_u32_e32 v10, 32, v10
	s_delay_alu instid0(VALU_DEP_1) | instskip(NEXT) | instid1(VALU_DEP_1)
	v_subrev_nc_u32_e32 v19, 28, v10
	v_lshlrev_b64_e32 v[22:23], v19, v[20:21]
	v_sub_nc_u32_e32 v19, 29, v10
	s_delay_alu instid0(VALU_DEP_2)
	v_and_b32_e32 v10, 7, v22
; %bb.887:                              ;   in Loop: Header=BB269_552 Depth=1
	s_or_b32 exec_lo, exec_lo, s19
	s_delay_alu instid0(VALU_DEP_1) | instskip(NEXT) | instid1(VALU_DEP_3)
	v_dual_lshlrev_b32 v22, 8, v20 :: v_dual_lshlrev_b32 v10, 7, v10
	v_lshl_add_u32 v19, v19, 10, 0x2000
	s_delay_alu instid0(VALU_DEP_2) | instskip(NEXT) | instid1(VALU_DEP_2)
	v_and_b32_e32 v22, 0x8000, v22
	v_and_b32_e32 v19, 0xfc00, v19
	s_delay_alu instid0(VALU_DEP_1)
	v_or3_b32 v19, v22, v19, v10
.LBB269_888:                            ;   in Loop: Header=BB269_552 Depth=1
	s_or_b32 exec_lo, exec_lo, s18
.LBB269_889:                            ;   in Loop: Header=BB269_552 Depth=1
	s_delay_alu instid0(SALU_CYCLE_1)
	s_or_b32 exec_lo, exec_lo, s17
.LBB269_890:                            ;   in Loop: Header=BB269_552 Depth=1
	s_delay_alu instid0(SALU_CYCLE_1) | instskip(SKIP_2) | instid1(VALU_DEP_1)
	s_or_b32 exec_lo, exec_lo, s16
	v_lshrrev_b16 v10, 8, v20
	s_mov_b32 s16, exec_lo
	v_cmpx_ne_u16_e32 0, v10
	s_cbranch_execz .LBB269_898
; %bb.891:                              ;   in Loop: Header=BB269_552 Depth=1
	v_bfrev_b32_e32 v1, 1
	s_mov_b32 s17, exec_lo
	v_cmpx_ne_u16_e32 0x80, v10
	s_cbranch_execz .LBB269_897
; %bb.892:                              ;   in Loop: Header=BB269_552 Depth=1
	v_and_b32_e32 v22, 0xffff, v10
	v_mov_b32_e32 v1, 0x7c010000
	s_mov_b32 s18, exec_lo
	s_delay_alu instid0(VALU_DEP_2) | instskip(NEXT) | instid1(VALU_DEP_1)
	v_and_b32_e32 v24, 0x7f, v22
	v_cmpx_ne_u32_e32 0x7f, v24
	s_cbranch_execz .LBB269_896
; %bb.893:                              ;   in Loop: Header=BB269_552 Depth=1
	v_dual_lshrrev_b32 v23, 3, v24 :: v_dual_bitop2_b32 v1, 7, v22 bitop3:0x40
	s_mov_b32 s19, exec_lo
	v_cmpx_gt_u32_e32 8, v24
; %bb.894:                              ;   in Loop: Header=BB269_552 Depth=1
	s_delay_alu instid0(VALU_DEP_2) | instskip(NEXT) | instid1(VALU_DEP_1)
	v_clz_i32_u32_e32 v1, v1
	v_min_u32_e32 v1, 32, v1
	s_delay_alu instid0(VALU_DEP_1) | instskip(NEXT) | instid1(VALU_DEP_1)
	v_subrev_nc_u32_e32 v23, 28, v1
	v_lshlrev_b64_e32 v[24:25], v23, v[10:11]
	s_delay_alu instid0(VALU_DEP_1)
	v_dual_sub_nc_u32 v23, 29, v1 :: v_dual_bitop2_b32 v1, 7, v24 bitop3:0x40
; %bb.895:                              ;   in Loop: Header=BB269_552 Depth=1
	s_or_b32 exec_lo, exec_lo, s19
	s_delay_alu instid0(VALU_DEP_1) | instskip(NEXT) | instid1(VALU_DEP_2)
	v_dual_lshlrev_b32 v10, 8, v22 :: v_dual_lshlrev_b32 v1, 23, v1
	v_lshl_add_u32 v22, v23, 10, 0x2000
	s_delay_alu instid0(VALU_DEP_1) | instskip(NEXT) | instid1(VALU_DEP_1)
	v_and_or_b32 v10, 0x8000, v10, v22
	v_lshl_or_b32 v1, v10, 16, v1
.LBB269_896:                            ;   in Loop: Header=BB269_552 Depth=1
	s_or_b32 exec_lo, exec_lo, s18
.LBB269_897:                            ;   in Loop: Header=BB269_552 Depth=1
	s_delay_alu instid0(SALU_CYCLE_1)
	s_or_b32 exec_lo, exec_lo, s17
.LBB269_898:                            ;   in Loop: Header=BB269_552 Depth=1
	s_delay_alu instid0(SALU_CYCLE_1) | instskip(SKIP_3) | instid1(VALU_DEP_2)
	s_or_b32 exec_lo, exec_lo, s16
	v_dual_lshrrev_b32 v10, 16, v20 :: v_dual_mov_b32 v22, 0
	v_mov_b32_e32 v23, 0
	s_mov_b32 s16, exec_lo
	v_and_b32_e32 v24, 0xff, v10
	s_delay_alu instid0(VALU_DEP_1)
	v_cmpx_ne_u16_e32 0, v24
	s_cbranch_execz .LBB269_906
; %bb.899:                              ;   in Loop: Header=BB269_552 Depth=1
	v_mov_b32_e32 v23, 0x8000
	s_mov_b32 s17, exec_lo
	v_cmpx_ne_u16_e32 0x80, v24
	s_cbranch_execz .LBB269_905
; %bb.900:                              ;   in Loop: Header=BB269_552 Depth=1
	v_bfe_u32 v25, v20, 16, 7
	v_mov_b32_e32 v23, 0x7c01
	s_mov_b32 s18, exec_lo
	s_delay_alu instid0(VALU_DEP_2)
	v_cmpx_ne_u32_e32 0x7f, v25
	s_cbranch_execz .LBB269_904
; %bb.901:                              ;   in Loop: Header=BB269_552 Depth=1
	v_dual_lshrrev_b32 v24, 3, v25 :: v_dual_bitop2_b32 v23, 7, v10 bitop3:0x40
	s_mov_b32 s19, exec_lo
	v_cmpx_gt_u32_e32 8, v25
; %bb.902:                              ;   in Loop: Header=BB269_552 Depth=1
	s_delay_alu instid0(VALU_DEP_2) | instskip(NEXT) | instid1(VALU_DEP_1)
	v_clz_i32_u32_e32 v23, v23
	v_min_u32_e32 v23, 32, v23
	s_delay_alu instid0(VALU_DEP_1) | instskip(NEXT) | instid1(VALU_DEP_1)
	v_subrev_nc_u32_e32 v24, 28, v23
	v_lshlrev_b64_e32 v[26:27], v24, v[10:11]
	s_delay_alu instid0(VALU_DEP_1)
	v_dual_sub_nc_u32 v24, 29, v23 :: v_dual_bitop2_b32 v23, 7, v26 bitop3:0x40
; %bb.903:                              ;   in Loop: Header=BB269_552 Depth=1
	s_or_b32 exec_lo, exec_lo, s19
	s_delay_alu instid0(VALU_DEP_1) | instskip(NEXT) | instid1(VALU_DEP_2)
	v_dual_lshlrev_b32 v10, 8, v10 :: v_dual_lshlrev_b32 v23, 7, v23
	v_lshl_add_u32 v24, v24, 10, 0x2000
	s_delay_alu instid0(VALU_DEP_2) | instskip(NEXT) | instid1(VALU_DEP_2)
	v_and_b32_e32 v10, 0x8000, v10
	v_and_b32_e32 v24, 0xfc00, v24
	s_delay_alu instid0(VALU_DEP_1)
	v_or3_b32 v23, v10, v24, v23
.LBB269_904:                            ;   in Loop: Header=BB269_552 Depth=1
	s_or_b32 exec_lo, exec_lo, s18
.LBB269_905:                            ;   in Loop: Header=BB269_552 Depth=1
	s_delay_alu instid0(SALU_CYCLE_1)
	s_or_b32 exec_lo, exec_lo, s17
.LBB269_906:                            ;   in Loop: Header=BB269_552 Depth=1
	s_delay_alu instid0(SALU_CYCLE_1) | instskip(NEXT) | instid1(SALU_CYCLE_1)
	s_or_b32 exec_lo, exec_lo, s16
	s_mov_b32 s16, exec_lo
	v_cmpx_lt_u32_e32 0xffffff, v20
	s_cbranch_execz .LBB269_914
; %bb.907:                              ;   in Loop: Header=BB269_552 Depth=1
	v_lshrrev_b32_e32 v10, 24, v20
	v_bfrev_b32_e32 v22, 1
	s_mov_b32 s17, exec_lo
	s_delay_alu instid0(VALU_DEP_2)
	v_cmpx_ne_u32_e32 0x80, v10
	s_cbranch_execz .LBB269_913
; %bb.908:                              ;   in Loop: Header=BB269_552 Depth=1
	v_and_b32_e32 v25, 0x7f, v10
	v_mov_b32_e32 v22, 0x7c010000
	s_mov_b32 s18, exec_lo
	s_delay_alu instid0(VALU_DEP_2)
	v_cmpx_ne_u32_e32 0x7f, v25
	s_cbranch_execz .LBB269_912
; %bb.909:                              ;   in Loop: Header=BB269_552 Depth=1
	v_dual_lshrrev_b32 v24, 3, v25 :: v_dual_bitop2_b32 v22, 7, v10 bitop3:0x40
	s_mov_b32 s19, exec_lo
	v_cmpx_gt_u32_e32 8, v25
; %bb.910:                              ;   in Loop: Header=BB269_552 Depth=1
	s_delay_alu instid0(VALU_DEP_2) | instskip(NEXT) | instid1(VALU_DEP_1)
	v_clz_i32_u32_e32 v22, v22
	v_min_u32_e32 v22, 32, v22
	s_delay_alu instid0(VALU_DEP_1) | instskip(NEXT) | instid1(VALU_DEP_1)
	v_subrev_nc_u32_e32 v24, 28, v22
	v_lshlrev_b64_e32 v[26:27], v24, v[10:11]
	v_sub_nc_u32_e32 v24, 29, v22
	s_delay_alu instid0(VALU_DEP_2)
	v_and_b32_e32 v22, 7, v26
; %bb.911:                              ;   in Loop: Header=BB269_552 Depth=1
	s_or_b32 exec_lo, exec_lo, s19
	v_lshlrev_b32_e32 v10, 8, v10
	s_delay_alu instid0(VALU_DEP_3) | instskip(NEXT) | instid1(VALU_DEP_3)
	v_lshl_add_u32 v24, v24, 10, 0x2000
	v_lshlrev_b32_e32 v22, 23, v22
	s_delay_alu instid0(VALU_DEP_2) | instskip(NEXT) | instid1(VALU_DEP_1)
	v_and_or_b32 v10, 0x8000, v10, v24
	v_lshl_or_b32 v22, v10, 16, v22
.LBB269_912:                            ;   in Loop: Header=BB269_552 Depth=1
	s_or_b32 exec_lo, exec_lo, s18
.LBB269_913:                            ;   in Loop: Header=BB269_552 Depth=1
	s_delay_alu instid0(SALU_CYCLE_1)
	s_or_b32 exec_lo, exec_lo, s17
.LBB269_914:                            ;   in Loop: Header=BB269_552 Depth=1
	s_delay_alu instid0(SALU_CYCLE_1) | instskip(SKIP_4) | instid1(VALU_DEP_3)
	s_or_b32 exec_lo, exec_lo, s16
	v_and_b32_e32 v26, 0xff, v21
	v_dual_mov_b32 v10, v21 :: v_dual_mov_b32 v25, 0
	v_mov_b32_e32 v24, 0
	s_mov_b32 s16, exec_lo
	v_cmpx_ne_u16_e32 0, v26
	s_cbranch_execz .LBB269_922
; %bb.915:                              ;   in Loop: Header=BB269_552 Depth=1
	v_mov_b32_e32 v24, 0x8000
	s_mov_b32 s17, exec_lo
	v_cmpx_ne_u16_e32 0x80, v26
	s_cbranch_execz .LBB269_921
; %bb.916:                              ;   in Loop: Header=BB269_552 Depth=1
	v_and_b32_e32 v27, 0x7f, v21
	v_mov_b32_e32 v24, 0x7c01
	s_mov_b32 s18, exec_lo
	s_delay_alu instid0(VALU_DEP_2)
	v_cmpx_ne_u32_e32 0x7f, v27
	s_cbranch_execz .LBB269_920
; %bb.917:                              ;   in Loop: Header=BB269_552 Depth=1
	v_dual_lshrrev_b32 v26, 3, v27 :: v_dual_bitop2_b32 v24, 7, v21 bitop3:0x40
	s_mov_b32 s19, exec_lo
	v_cmpx_gt_u32_e32 8, v27
; %bb.918:                              ;   in Loop: Header=BB269_552 Depth=1
	s_delay_alu instid0(VALU_DEP_2) | instskip(NEXT) | instid1(VALU_DEP_1)
	v_clz_i32_u32_e32 v24, v24
	v_min_u32_e32 v24, 32, v24
	s_delay_alu instid0(VALU_DEP_1) | instskip(NEXT) | instid1(VALU_DEP_1)
	v_subrev_nc_u32_e32 v26, 28, v24
	v_lshlrev_b64_e32 v[60:61], v26, v[10:11]
	v_sub_nc_u32_e32 v26, 29, v24
	s_delay_alu instid0(VALU_DEP_2)
	v_and_b32_e32 v24, 7, v60
; %bb.919:                              ;   in Loop: Header=BB269_552 Depth=1
	s_or_b32 exec_lo, exec_lo, s19
	s_delay_alu instid0(VALU_DEP_1) | instskip(NEXT) | instid1(VALU_DEP_3)
	v_dual_lshlrev_b32 v27, 8, v21 :: v_dual_lshlrev_b32 v24, 7, v24
	v_lshl_add_u32 v26, v26, 10, 0x2000
	s_delay_alu instid0(VALU_DEP_2) | instskip(NEXT) | instid1(VALU_DEP_2)
	v_and_b32_e32 v27, 0x8000, v27
	v_and_b32_e32 v26, 0xfc00, v26
	s_delay_alu instid0(VALU_DEP_1)
	v_or3_b32 v24, v27, v26, v24
.LBB269_920:                            ;   in Loop: Header=BB269_552 Depth=1
	s_or_b32 exec_lo, exec_lo, s18
.LBB269_921:                            ;   in Loop: Header=BB269_552 Depth=1
	s_delay_alu instid0(SALU_CYCLE_1)
	s_or_b32 exec_lo, exec_lo, s17
.LBB269_922:                            ;   in Loop: Header=BB269_552 Depth=1
	s_delay_alu instid0(SALU_CYCLE_1) | instskip(SKIP_3) | instid1(VALU_DEP_2)
	s_or_b32 exec_lo, exec_lo, s16
	v_lshrrev_b16 v10, 8, v10
	v_mov_b32_e32 v26, 0
	s_mov_b32 s16, exec_lo
	v_cmpx_ne_u16_e32 0, v10
	s_cbranch_execz .LBB269_930
; %bb.923:                              ;   in Loop: Header=BB269_552 Depth=1
	v_bfrev_b32_e32 v26, 1
	s_mov_b32 s17, exec_lo
	v_cmpx_ne_u16_e32 0x80, v10
	s_cbranch_execz .LBB269_929
; %bb.924:                              ;   in Loop: Header=BB269_552 Depth=1
	v_and_b32_e32 v27, 0xffff, v10
	v_mov_b32_e32 v26, 0x7c010000
	s_mov_b32 s18, exec_lo
	s_delay_alu instid0(VALU_DEP_2) | instskip(NEXT) | instid1(VALU_DEP_1)
	v_and_b32_e32 v44, 0x7f, v27
	v_cmpx_ne_u32_e32 0x7f, v44
	s_cbranch_execz .LBB269_928
; %bb.925:                              ;   in Loop: Header=BB269_552 Depth=1
	v_dual_lshrrev_b32 v43, 3, v44 :: v_dual_bitop2_b32 v26, 7, v27 bitop3:0x40
	s_mov_b32 s19, exec_lo
	v_cmpx_gt_u32_e32 8, v44
; %bb.926:                              ;   in Loop: Header=BB269_552 Depth=1
	s_delay_alu instid0(VALU_DEP_2) | instskip(NEXT) | instid1(VALU_DEP_1)
	v_clz_i32_u32_e32 v26, v26
	v_min_u32_e32 v26, 32, v26
	s_delay_alu instid0(VALU_DEP_1) | instskip(NEXT) | instid1(VALU_DEP_1)
	v_subrev_nc_u32_e32 v43, 28, v26
	v_lshlrev_b64_e32 v[60:61], v43, v[10:11]
	s_delay_alu instid0(VALU_DEP_1)
	v_dual_sub_nc_u32 v43, 29, v26 :: v_dual_bitop2_b32 v26, 7, v60 bitop3:0x40
; %bb.927:                              ;   in Loop: Header=BB269_552 Depth=1
	s_or_b32 exec_lo, exec_lo, s19
	s_delay_alu instid0(VALU_DEP_1) | instskip(NEXT) | instid1(VALU_DEP_2)
	v_dual_lshlrev_b32 v10, 8, v27 :: v_dual_lshlrev_b32 v26, 23, v26
	v_lshl_add_u32 v27, v43, 10, 0x2000
	s_delay_alu instid0(VALU_DEP_1) | instskip(NEXT) | instid1(VALU_DEP_1)
	v_and_or_b32 v10, 0x8000, v10, v27
	v_lshl_or_b32 v26, v10, 16, v26
.LBB269_928:                            ;   in Loop: Header=BB269_552 Depth=1
	s_or_b32 exec_lo, exec_lo, s18
.LBB269_929:                            ;   in Loop: Header=BB269_552 Depth=1
	s_delay_alu instid0(SALU_CYCLE_1)
	s_or_b32 exec_lo, exec_lo, s17
.LBB269_930:                            ;   in Loop: Header=BB269_552 Depth=1
	s_delay_alu instid0(SALU_CYCLE_1) | instskip(SKIP_2) | instid1(VALU_DEP_1)
	s_or_b32 exec_lo, exec_lo, s16
	v_lshrrev_b32_e32 v10, 16, v21
	s_mov_b32 s16, exec_lo
	v_and_b32_e32 v27, 0xff, v10
	s_delay_alu instid0(VALU_DEP_1)
	v_cmpx_ne_u16_e32 0, v27
	s_cbranch_execz .LBB269_938
; %bb.931:                              ;   in Loop: Header=BB269_552 Depth=1
	v_mov_b32_e32 v25, 0x8000
	s_mov_b32 s17, exec_lo
	v_cmpx_ne_u16_e32 0x80, v27
	s_cbranch_execz .LBB269_937
; %bb.932:                              ;   in Loop: Header=BB269_552 Depth=1
	v_bfe_u32 v43, v21, 16, 7
	v_mov_b32_e32 v25, 0x7c01
	s_mov_b32 s18, exec_lo
	s_delay_alu instid0(VALU_DEP_2)
	v_cmpx_ne_u32_e32 0x7f, v43
	s_cbranch_execz .LBB269_936
; %bb.933:                              ;   in Loop: Header=BB269_552 Depth=1
	v_dual_lshrrev_b32 v27, 3, v43 :: v_dual_bitop2_b32 v25, 7, v10 bitop3:0x40
	s_mov_b32 s19, exec_lo
	v_cmpx_gt_u32_e32 8, v43
; %bb.934:                              ;   in Loop: Header=BB269_552 Depth=1
	s_delay_alu instid0(VALU_DEP_2) | instskip(NEXT) | instid1(VALU_DEP_1)
	v_clz_i32_u32_e32 v25, v25
	v_min_u32_e32 v25, 32, v25
	s_delay_alu instid0(VALU_DEP_1) | instskip(NEXT) | instid1(VALU_DEP_1)
	v_subrev_nc_u32_e32 v27, 28, v25
	v_lshlrev_b64_e32 v[60:61], v27, v[10:11]
	s_delay_alu instid0(VALU_DEP_1)
	v_dual_sub_nc_u32 v27, 29, v25 :: v_dual_bitop2_b32 v25, 7, v60 bitop3:0x40
; %bb.935:                              ;   in Loop: Header=BB269_552 Depth=1
	s_or_b32 exec_lo, exec_lo, s19
	s_delay_alu instid0(VALU_DEP_1) | instskip(NEXT) | instid1(VALU_DEP_2)
	v_dual_lshlrev_b32 v10, 8, v10 :: v_dual_lshlrev_b32 v25, 7, v25
	v_lshl_add_u32 v27, v27, 10, 0x2000
	s_delay_alu instid0(VALU_DEP_2) | instskip(NEXT) | instid1(VALU_DEP_2)
	v_and_b32_e32 v10, 0x8000, v10
	v_and_b32_e32 v27, 0xfc00, v27
	s_delay_alu instid0(VALU_DEP_1)
	v_or3_b32 v25, v10, v27, v25
.LBB269_936:                            ;   in Loop: Header=BB269_552 Depth=1
	s_or_b32 exec_lo, exec_lo, s18
.LBB269_937:                            ;   in Loop: Header=BB269_552 Depth=1
	s_delay_alu instid0(SALU_CYCLE_1)
	s_or_b32 exec_lo, exec_lo, s17
.LBB269_938:                            ;   in Loop: Header=BB269_552 Depth=1
	s_delay_alu instid0(SALU_CYCLE_1)
	s_or_b32 exec_lo, exec_lo, s16
	v_cmp_lt_u64_e64 s0, s[4:5], v[20:21]
	v_mov_b32_e32 v20, 0
	s_and_saveexec_b32 s16, s0
	s_cbranch_execz .LBB269_946
; %bb.939:                              ;   in Loop: Header=BB269_552 Depth=1
	v_lshrrev_b32_e32 v10, 24, v21
	v_bfrev_b32_e32 v20, 1
	s_mov_b32 s17, exec_lo
	s_delay_alu instid0(VALU_DEP_2)
	v_cmpx_ne_u32_e32 0x80, v10
	s_cbranch_execz .LBB269_945
; %bb.940:                              ;   in Loop: Header=BB269_552 Depth=1
	v_and_b32_e32 v27, 0x7f, v10
	v_mov_b32_e32 v20, 0x7c010000
	s_mov_b32 s18, exec_lo
	s_delay_alu instid0(VALU_DEP_2)
	v_cmpx_ne_u32_e32 0x7f, v27
	s_cbranch_execz .LBB269_944
; %bb.941:                              ;   in Loop: Header=BB269_552 Depth=1
	v_dual_lshrrev_b32 v21, 3, v27 :: v_dual_bitop2_b32 v20, 7, v10 bitop3:0x40
	s_mov_b32 s19, exec_lo
	v_cmpx_gt_u32_e32 8, v27
; %bb.942:                              ;   in Loop: Header=BB269_552 Depth=1
	s_delay_alu instid0(VALU_DEP_2) | instskip(NEXT) | instid1(VALU_DEP_1)
	v_clz_i32_u32_e32 v20, v20
	v_min_u32_e32 v27, 32, v20
	s_delay_alu instid0(VALU_DEP_1) | instskip(NEXT) | instid1(VALU_DEP_1)
	v_subrev_nc_u32_e32 v20, 28, v27
	v_lshlrev_b64_e32 v[20:21], v20, v[10:11]
	s_delay_alu instid0(VALU_DEP_1)
	v_dual_sub_nc_u32 v21, 29, v27 :: v_dual_bitop2_b32 v20, 7, v20 bitop3:0x40
; %bb.943:                              ;   in Loop: Header=BB269_552 Depth=1
	s_or_b32 exec_lo, exec_lo, s19
	s_delay_alu instid0(VALU_DEP_1) | instskip(NEXT) | instid1(VALU_DEP_2)
	v_dual_lshlrev_b32 v10, 8, v10 :: v_dual_lshlrev_b32 v20, 23, v20
	v_lshl_add_u32 v21, v21, 10, 0x2000
	s_delay_alu instid0(VALU_DEP_1) | instskip(NEXT) | instid1(VALU_DEP_1)
	v_and_or_b32 v10, 0x8000, v10, v21
	v_lshl_or_b32 v20, v10, 16, v20
.LBB269_944:                            ;   in Loop: Header=BB269_552 Depth=1
	s_or_b32 exec_lo, exec_lo, s18
.LBB269_945:                            ;   in Loop: Header=BB269_552 Depth=1
	s_delay_alu instid0(SALU_CYCLE_1)
	s_or_b32 exec_lo, exec_lo, s17
.LBB269_946:                            ;   in Loop: Header=BB269_552 Depth=1
	s_delay_alu instid0(SALU_CYCLE_1) | instskip(SKIP_3) | instid1(VALU_DEP_3)
	s_or_b32 exec_lo, exec_lo, s16
	v_dual_lshrrev_b32 v10, 16, v1 :: v_dual_lshrrev_b32 v21, 16, v22
	v_or_b32_e32 v1, v1, v19
	v_dual_lshrrev_b32 v27, 16, v20 :: v_dual_bitop2_b32 v19, v22, v23 bitop3:0x54
	v_cvt_f32_f16_e32 v23, v10
	s_delay_alu instid0(VALU_DEP_4) | instskip(SKIP_1) | instid1(VALU_DEP_4)
	v_cvt_f32_f16_e32 v22, v21
	v_dual_lshrrev_b32 v25, 16, v26 :: v_dual_bitop2_b32 v10, v20, v25 bitop3:0x54
	v_cvt_f32_f16_e32 v20, v19
	v_cvt_f32_f16_e32 v21, v1
	s_wait_loadcnt 0x0
	v_pk_mul_f32 v[22:23], v[18:19], v[22:23] op_sel_hi:[0,1]
	v_cvt_f32_f16_e32 v25, v25
	s_delay_alu instid0(VALU_DEP_2) | instskip(SKIP_3) | instid1(VALU_DEP_3)
	v_cvt_pk_f16_f32 v1, v22, v23
	v_or_b32_e32 v19, v26, v24
	v_cvt_f32_f16_e32 v24, v27
	v_cvt_f32_f16_e32 v26, v10
	v_pk_mul_f32 v[20:21], v[18:19], v[20:21] op_sel_hi:[0,1]
	s_delay_alu instid0(VALU_DEP_1) | instskip(SKIP_4) | instid1(VALU_DEP_3)
	v_cvt_pk_f16_f32 v10, v20, v21
	v_lshlrev_b32_e32 v20, 16, v1
	v_cvt_f32_f16_e32 v27, v19
	v_pk_mul_f32 v[22:23], v[18:19], v[24:25] op_sel_hi:[0,1]
	v_and_b32_e32 v21, 0xffff0000, v1
	v_pk_mul_f32 v[18:19], v[18:19], v[26:27] op_sel_hi:[0,1]
	s_delay_alu instid0(VALU_DEP_3) | instskip(SKIP_1) | instid1(VALU_DEP_3)
	v_cvt_pk_f16_f32 v22, v22, v23
	v_and_b32_e32 v26, 0xffff, v10
	v_cvt_pk_f16_f32 v18, v18, v19
	s_delay_alu instid0(VALU_DEP_3) | instskip(NEXT) | instid1(VALU_DEP_3)
	v_and_b32_e32 v1, 0xffff0000, v22
	v_or_b32_e32 v24, v20, v26
	s_delay_alu instid0(VALU_DEP_3) | instskip(SKIP_2) | instid1(VALU_DEP_3)
	v_lshrrev_b32_e32 v19, 16, v18
	v_lshrrev_b32_e32 v27, 16, v10
	v_and_b32_e32 v18, 0xffff, v18
	v_dual_lshlrev_b32 v10, 16, v22 :: v_dual_bitop2_b32 v23, v1, v19 bitop3:0x54
	s_delay_alu instid0(VALU_DEP_3) | instskip(NEXT) | instid1(VALU_DEP_2)
	v_or_b32_e32 v25, v21, v27
	v_or_b32_e32 v22, v10, v18
	s_and_saveexec_b32 s16, vcc_lo
	s_cbranch_execz .LBB269_948
; %bb.947:                              ;   in Loop: Header=BB269_552 Depth=1
	v_cmp_gt_i32_e64 s0, s15, v33
	s_delay_alu instid0(VALU_DEP_1) | instskip(SKIP_1) | instid1(VALU_DEP_1)
	v_cndmask_b32_e64 v22, 0, v27, s0
	v_cmp_gt_i32_e64 s0, s25, v42
	v_cndmask_b32_e64 v23, 0, v26, s0
	v_cmp_gt_i32_e64 s0, s15, v41
	s_delay_alu instid0(VALU_DEP_1) | instskip(SKIP_1) | instid1(VALU_DEP_1)
	v_cndmask_b32_e64 v21, 0, v21, s0
	v_cmp_gt_i32_e64 s0, s25, v40
	v_cndmask_b32_e64 v20, 0, v20, s0
	v_cmp_gt_i32_e64 s0, s15, v39
	s_delay_alu instid0(VALU_DEP_4) | instskip(NEXT) | instid1(VALU_DEP_3)
	v_or_b32_e32 v25, v21, v22
	v_or_b32_e32 v24, v20, v23
	s_delay_alu instid0(VALU_DEP_3) | instskip(SKIP_1) | instid1(VALU_DEP_1)
	v_cndmask_b32_e64 v19, 0, v19, s0
	v_cmp_gt_i32_e64 s0, s25, v38
	v_cndmask_b32_e64 v18, 0, v18, s0
	v_cmp_gt_i32_e64 s0, s15, v37
	s_delay_alu instid0(VALU_DEP_1) | instskip(SKIP_1) | instid1(VALU_DEP_1)
	v_cndmask_b32_e64 v1, 0, v1, s0
	v_cmp_gt_i32_e64 s0, s25, v36
	v_dual_cndmask_b32 v10, 0, v10, s0 :: v_dual_bitop2_b32 v23, v1, v19 bitop3:0x54
	s_delay_alu instid0(VALU_DEP_1)
	v_or_b32_e32 v22, v10, v18
.LBB269_948:                            ;   in Loop: Header=BB269_552 Depth=1
	s_or_b32 exec_lo, exec_lo, s16
	;;#ASMSTART
	v_pk_mul_f16 v1, v48, v25;

	;;#ASMEND
	;;#ASMSTART
	v_pk_mul_f16 v10, v47, v24;

	;;#ASMEND
	;;#ASMSTART
	v_pk_mul_f16 v18, v46, v23;

	;;#ASMEND
	;;#ASMSTART
	v_pk_mul_f16 v19, v45, v22;

	;;#ASMEND
	;;#ASMSTART
	v_pk_add_f16 v1, v1, v10;

	;;#ASMEND
	;;#ASMSTART
	v_pk_add_f16 v1, v1, v18;

	;;#ASMEND
	;; [unrolled: 4-line block ×3, first 2 shown]
	v_and_b32_e32 v10, 0xffff, v1
	v_dual_lshrrev_b32 v1, 16, v1 :: v_dual_mov_b32 v19, 0
	;;#ASMSTART
	v_cvt_f32_f16 v59, v10;
	;;#ASMEND
	;;#ASMSTART
	v_cvt_f32_f16 v60, v1;
	;;#ASMEND
	global_load_b64 v[20:21], v[16:17], off offset:1536
	v_mov_b32_e32 v1, 0
	s_mov_b32 s16, exec_lo
	global_load_b32 v18, v1, s[10:11]
	s_wait_loadcnt 0x1
	v_and_b32_e32 v10, 0xff, v20
	s_wait_xcnt 0x0
	s_delay_alu instid0(VALU_DEP_1)
	v_cmpx_ne_u16_e32 0, v10
	s_cbranch_execz .LBB269_956
; %bb.949:                              ;   in Loop: Header=BB269_552 Depth=1
	v_mov_b32_e32 v19, 0x8000
	s_mov_b32 s17, exec_lo
	v_cmpx_ne_u16_e32 0x80, v10
	s_cbranch_execz .LBB269_955
; %bb.950:                              ;   in Loop: Header=BB269_552 Depth=1
	v_and_b32_e32 v22, 0x7f, v20
	v_mov_b32_e32 v19, 0x7c01
	s_mov_b32 s18, exec_lo
	s_delay_alu instid0(VALU_DEP_2)
	v_cmpx_ne_u32_e32 0x7f, v22
	s_cbranch_execz .LBB269_954
; %bb.951:                              ;   in Loop: Header=BB269_552 Depth=1
	v_dual_lshrrev_b32 v19, 3, v22 :: v_dual_bitop2_b32 v10, 7, v20 bitop3:0x40
	s_mov_b32 s19, exec_lo
	v_cmpx_gt_u32_e32 8, v22
; %bb.952:                              ;   in Loop: Header=BB269_552 Depth=1
	s_delay_alu instid0(VALU_DEP_2) | instskip(NEXT) | instid1(VALU_DEP_1)
	v_clz_i32_u32_e32 v10, v10
	v_min_u32_e32 v10, 32, v10
	s_delay_alu instid0(VALU_DEP_1) | instskip(NEXT) | instid1(VALU_DEP_1)
	v_subrev_nc_u32_e32 v19, 28, v10
	v_lshlrev_b64_e32 v[22:23], v19, v[20:21]
	v_sub_nc_u32_e32 v19, 29, v10
	s_delay_alu instid0(VALU_DEP_2)
	v_and_b32_e32 v10, 7, v22
; %bb.953:                              ;   in Loop: Header=BB269_552 Depth=1
	s_or_b32 exec_lo, exec_lo, s19
	s_delay_alu instid0(VALU_DEP_1) | instskip(NEXT) | instid1(VALU_DEP_3)
	v_dual_lshlrev_b32 v22, 8, v20 :: v_dual_lshlrev_b32 v10, 7, v10
	v_lshl_add_u32 v19, v19, 10, 0x2000
	s_delay_alu instid0(VALU_DEP_2) | instskip(NEXT) | instid1(VALU_DEP_2)
	v_and_b32_e32 v22, 0x8000, v22
	v_and_b32_e32 v19, 0xfc00, v19
	s_delay_alu instid0(VALU_DEP_1)
	v_or3_b32 v19, v22, v19, v10
.LBB269_954:                            ;   in Loop: Header=BB269_552 Depth=1
	s_or_b32 exec_lo, exec_lo, s18
.LBB269_955:                            ;   in Loop: Header=BB269_552 Depth=1
	s_delay_alu instid0(SALU_CYCLE_1)
	s_or_b32 exec_lo, exec_lo, s17
.LBB269_956:                            ;   in Loop: Header=BB269_552 Depth=1
	s_delay_alu instid0(SALU_CYCLE_1) | instskip(SKIP_2) | instid1(VALU_DEP_1)
	s_or_b32 exec_lo, exec_lo, s16
	v_lshrrev_b16 v10, 8, v20
	s_mov_b32 s16, exec_lo
	v_cmpx_ne_u16_e32 0, v10
	s_cbranch_execz .LBB269_964
; %bb.957:                              ;   in Loop: Header=BB269_552 Depth=1
	v_bfrev_b32_e32 v1, 1
	s_mov_b32 s17, exec_lo
	v_cmpx_ne_u16_e32 0x80, v10
	s_cbranch_execz .LBB269_963
; %bb.958:                              ;   in Loop: Header=BB269_552 Depth=1
	v_and_b32_e32 v22, 0xffff, v10
	v_mov_b32_e32 v1, 0x7c010000
	s_mov_b32 s18, exec_lo
	s_delay_alu instid0(VALU_DEP_2) | instskip(NEXT) | instid1(VALU_DEP_1)
	v_and_b32_e32 v24, 0x7f, v22
	v_cmpx_ne_u32_e32 0x7f, v24
	s_cbranch_execz .LBB269_962
; %bb.959:                              ;   in Loop: Header=BB269_552 Depth=1
	v_dual_lshrrev_b32 v23, 3, v24 :: v_dual_bitop2_b32 v1, 7, v22 bitop3:0x40
	s_mov_b32 s19, exec_lo
	v_cmpx_gt_u32_e32 8, v24
; %bb.960:                              ;   in Loop: Header=BB269_552 Depth=1
	s_delay_alu instid0(VALU_DEP_2) | instskip(NEXT) | instid1(VALU_DEP_1)
	v_clz_i32_u32_e32 v1, v1
	v_min_u32_e32 v1, 32, v1
	s_delay_alu instid0(VALU_DEP_1) | instskip(NEXT) | instid1(VALU_DEP_1)
	v_subrev_nc_u32_e32 v23, 28, v1
	v_lshlrev_b64_e32 v[24:25], v23, v[10:11]
	s_delay_alu instid0(VALU_DEP_1)
	v_dual_sub_nc_u32 v23, 29, v1 :: v_dual_bitop2_b32 v1, 7, v24 bitop3:0x40
; %bb.961:                              ;   in Loop: Header=BB269_552 Depth=1
	s_or_b32 exec_lo, exec_lo, s19
	s_delay_alu instid0(VALU_DEP_1) | instskip(NEXT) | instid1(VALU_DEP_2)
	v_dual_lshlrev_b32 v10, 8, v22 :: v_dual_lshlrev_b32 v1, 23, v1
	v_lshl_add_u32 v22, v23, 10, 0x2000
	s_delay_alu instid0(VALU_DEP_1) | instskip(NEXT) | instid1(VALU_DEP_1)
	v_and_or_b32 v10, 0x8000, v10, v22
	v_lshl_or_b32 v1, v10, 16, v1
.LBB269_962:                            ;   in Loop: Header=BB269_552 Depth=1
	s_or_b32 exec_lo, exec_lo, s18
.LBB269_963:                            ;   in Loop: Header=BB269_552 Depth=1
	s_delay_alu instid0(SALU_CYCLE_1)
	s_or_b32 exec_lo, exec_lo, s17
.LBB269_964:                            ;   in Loop: Header=BB269_552 Depth=1
	s_delay_alu instid0(SALU_CYCLE_1) | instskip(SKIP_3) | instid1(VALU_DEP_2)
	s_or_b32 exec_lo, exec_lo, s16
	v_dual_lshrrev_b32 v10, 16, v20 :: v_dual_mov_b32 v22, 0
	v_mov_b32_e32 v23, 0
	s_mov_b32 s16, exec_lo
	v_and_b32_e32 v24, 0xff, v10
	s_delay_alu instid0(VALU_DEP_1)
	v_cmpx_ne_u16_e32 0, v24
	s_cbranch_execz .LBB269_972
; %bb.965:                              ;   in Loop: Header=BB269_552 Depth=1
	v_mov_b32_e32 v23, 0x8000
	s_mov_b32 s17, exec_lo
	v_cmpx_ne_u16_e32 0x80, v24
	s_cbranch_execz .LBB269_971
; %bb.966:                              ;   in Loop: Header=BB269_552 Depth=1
	v_bfe_u32 v25, v20, 16, 7
	v_mov_b32_e32 v23, 0x7c01
	s_mov_b32 s18, exec_lo
	s_delay_alu instid0(VALU_DEP_2)
	v_cmpx_ne_u32_e32 0x7f, v25
	s_cbranch_execz .LBB269_970
; %bb.967:                              ;   in Loop: Header=BB269_552 Depth=1
	v_dual_lshrrev_b32 v24, 3, v25 :: v_dual_bitop2_b32 v23, 7, v10 bitop3:0x40
	s_mov_b32 s19, exec_lo
	v_cmpx_gt_u32_e32 8, v25
; %bb.968:                              ;   in Loop: Header=BB269_552 Depth=1
	s_delay_alu instid0(VALU_DEP_2) | instskip(NEXT) | instid1(VALU_DEP_1)
	v_clz_i32_u32_e32 v23, v23
	v_min_u32_e32 v23, 32, v23
	s_delay_alu instid0(VALU_DEP_1) | instskip(NEXT) | instid1(VALU_DEP_1)
	v_subrev_nc_u32_e32 v24, 28, v23
	v_lshlrev_b64_e32 v[26:27], v24, v[10:11]
	s_delay_alu instid0(VALU_DEP_1)
	v_dual_sub_nc_u32 v24, 29, v23 :: v_dual_bitop2_b32 v23, 7, v26 bitop3:0x40
; %bb.969:                              ;   in Loop: Header=BB269_552 Depth=1
	s_or_b32 exec_lo, exec_lo, s19
	s_delay_alu instid0(VALU_DEP_1) | instskip(NEXT) | instid1(VALU_DEP_2)
	v_dual_lshlrev_b32 v10, 8, v10 :: v_dual_lshlrev_b32 v23, 7, v23
	v_lshl_add_u32 v24, v24, 10, 0x2000
	s_delay_alu instid0(VALU_DEP_2) | instskip(NEXT) | instid1(VALU_DEP_2)
	v_and_b32_e32 v10, 0x8000, v10
	v_and_b32_e32 v24, 0xfc00, v24
	s_delay_alu instid0(VALU_DEP_1)
	v_or3_b32 v23, v10, v24, v23
.LBB269_970:                            ;   in Loop: Header=BB269_552 Depth=1
	s_or_b32 exec_lo, exec_lo, s18
.LBB269_971:                            ;   in Loop: Header=BB269_552 Depth=1
	s_delay_alu instid0(SALU_CYCLE_1)
	s_or_b32 exec_lo, exec_lo, s17
.LBB269_972:                            ;   in Loop: Header=BB269_552 Depth=1
	s_delay_alu instid0(SALU_CYCLE_1) | instskip(NEXT) | instid1(SALU_CYCLE_1)
	s_or_b32 exec_lo, exec_lo, s16
	s_mov_b32 s16, exec_lo
	v_cmpx_lt_u32_e32 0xffffff, v20
	s_cbranch_execz .LBB269_980
; %bb.973:                              ;   in Loop: Header=BB269_552 Depth=1
	v_lshrrev_b32_e32 v10, 24, v20
	v_bfrev_b32_e32 v22, 1
	s_mov_b32 s17, exec_lo
	s_delay_alu instid0(VALU_DEP_2)
	v_cmpx_ne_u32_e32 0x80, v10
	s_cbranch_execz .LBB269_979
; %bb.974:                              ;   in Loop: Header=BB269_552 Depth=1
	v_and_b32_e32 v25, 0x7f, v10
	v_mov_b32_e32 v22, 0x7c010000
	s_mov_b32 s18, exec_lo
	s_delay_alu instid0(VALU_DEP_2)
	v_cmpx_ne_u32_e32 0x7f, v25
	s_cbranch_execz .LBB269_978
; %bb.975:                              ;   in Loop: Header=BB269_552 Depth=1
	v_dual_lshrrev_b32 v24, 3, v25 :: v_dual_bitop2_b32 v22, 7, v10 bitop3:0x40
	s_mov_b32 s19, exec_lo
	v_cmpx_gt_u32_e32 8, v25
; %bb.976:                              ;   in Loop: Header=BB269_552 Depth=1
	s_delay_alu instid0(VALU_DEP_2) | instskip(NEXT) | instid1(VALU_DEP_1)
	v_clz_i32_u32_e32 v22, v22
	v_min_u32_e32 v22, 32, v22
	s_delay_alu instid0(VALU_DEP_1) | instskip(NEXT) | instid1(VALU_DEP_1)
	v_subrev_nc_u32_e32 v24, 28, v22
	v_lshlrev_b64_e32 v[26:27], v24, v[10:11]
	v_sub_nc_u32_e32 v24, 29, v22
	s_delay_alu instid0(VALU_DEP_2)
	v_and_b32_e32 v22, 7, v26
; %bb.977:                              ;   in Loop: Header=BB269_552 Depth=1
	s_or_b32 exec_lo, exec_lo, s19
	v_lshlrev_b32_e32 v10, 8, v10
	s_delay_alu instid0(VALU_DEP_3) | instskip(NEXT) | instid1(VALU_DEP_3)
	v_lshl_add_u32 v24, v24, 10, 0x2000
	v_lshlrev_b32_e32 v22, 23, v22
	s_delay_alu instid0(VALU_DEP_2) | instskip(NEXT) | instid1(VALU_DEP_1)
	v_and_or_b32 v10, 0x8000, v10, v24
	v_lshl_or_b32 v22, v10, 16, v22
.LBB269_978:                            ;   in Loop: Header=BB269_552 Depth=1
	s_or_b32 exec_lo, exec_lo, s18
.LBB269_979:                            ;   in Loop: Header=BB269_552 Depth=1
	s_delay_alu instid0(SALU_CYCLE_1)
	s_or_b32 exec_lo, exec_lo, s17
.LBB269_980:                            ;   in Loop: Header=BB269_552 Depth=1
	s_delay_alu instid0(SALU_CYCLE_1) | instskip(SKIP_4) | instid1(VALU_DEP_3)
	s_or_b32 exec_lo, exec_lo, s16
	v_and_b32_e32 v26, 0xff, v21
	v_dual_mov_b32 v10, v21 :: v_dual_mov_b32 v25, 0
	v_mov_b32_e32 v24, 0
	s_mov_b32 s16, exec_lo
	v_cmpx_ne_u16_e32 0, v26
	s_cbranch_execz .LBB269_988
; %bb.981:                              ;   in Loop: Header=BB269_552 Depth=1
	v_mov_b32_e32 v24, 0x8000
	s_mov_b32 s17, exec_lo
	v_cmpx_ne_u16_e32 0x80, v26
	s_cbranch_execz .LBB269_987
; %bb.982:                              ;   in Loop: Header=BB269_552 Depth=1
	v_and_b32_e32 v27, 0x7f, v21
	v_mov_b32_e32 v24, 0x7c01
	s_mov_b32 s18, exec_lo
	s_delay_alu instid0(VALU_DEP_2)
	v_cmpx_ne_u32_e32 0x7f, v27
	s_cbranch_execz .LBB269_986
; %bb.983:                              ;   in Loop: Header=BB269_552 Depth=1
	v_dual_lshrrev_b32 v26, 3, v27 :: v_dual_bitop2_b32 v24, 7, v21 bitop3:0x40
	s_mov_b32 s19, exec_lo
	v_cmpx_gt_u32_e32 8, v27
; %bb.984:                              ;   in Loop: Header=BB269_552 Depth=1
	s_delay_alu instid0(VALU_DEP_2) | instskip(NEXT) | instid1(VALU_DEP_1)
	v_clz_i32_u32_e32 v24, v24
	v_min_u32_e32 v24, 32, v24
	s_delay_alu instid0(VALU_DEP_1) | instskip(NEXT) | instid1(VALU_DEP_1)
	v_subrev_nc_u32_e32 v26, 28, v24
	v_lshlrev_b64_e32 v[62:63], v26, v[10:11]
	s_delay_alu instid0(VALU_DEP_1)
	v_dual_sub_nc_u32 v26, 29, v24 :: v_dual_bitop2_b32 v24, 7, v62 bitop3:0x40
; %bb.985:                              ;   in Loop: Header=BB269_552 Depth=1
	s_or_b32 exec_lo, exec_lo, s19
	s_delay_alu instid0(VALU_DEP_1) | instskip(NEXT) | instid1(VALU_DEP_2)
	v_dual_lshlrev_b32 v27, 8, v21 :: v_dual_lshlrev_b32 v24, 7, v24
	v_lshl_add_u32 v26, v26, 10, 0x2000
	s_delay_alu instid0(VALU_DEP_2) | instskip(NEXT) | instid1(VALU_DEP_2)
	v_and_b32_e32 v27, 0x8000, v27
	v_and_b32_e32 v26, 0xfc00, v26
	s_delay_alu instid0(VALU_DEP_1)
	v_or3_b32 v24, v27, v26, v24
.LBB269_986:                            ;   in Loop: Header=BB269_552 Depth=1
	s_or_b32 exec_lo, exec_lo, s18
.LBB269_987:                            ;   in Loop: Header=BB269_552 Depth=1
	s_delay_alu instid0(SALU_CYCLE_1)
	s_or_b32 exec_lo, exec_lo, s17
.LBB269_988:                            ;   in Loop: Header=BB269_552 Depth=1
	s_delay_alu instid0(SALU_CYCLE_1) | instskip(SKIP_3) | instid1(VALU_DEP_2)
	s_or_b32 exec_lo, exec_lo, s16
	v_lshrrev_b16 v10, 8, v10
	v_mov_b32_e32 v26, 0
	s_mov_b32 s16, exec_lo
	v_cmpx_ne_u16_e32 0, v10
	s_cbranch_execz .LBB269_996
; %bb.989:                              ;   in Loop: Header=BB269_552 Depth=1
	v_bfrev_b32_e32 v26, 1
	s_mov_b32 s17, exec_lo
	v_cmpx_ne_u16_e32 0x80, v10
	s_cbranch_execz .LBB269_995
; %bb.990:                              ;   in Loop: Header=BB269_552 Depth=1
	v_and_b32_e32 v27, 0xffff, v10
	v_mov_b32_e32 v26, 0x7c010000
	s_mov_b32 s18, exec_lo
	s_delay_alu instid0(VALU_DEP_2) | instskip(NEXT) | instid1(VALU_DEP_1)
	v_and_b32_e32 v44, 0x7f, v27
	v_cmpx_ne_u32_e32 0x7f, v44
	s_cbranch_execz .LBB269_994
; %bb.991:                              ;   in Loop: Header=BB269_552 Depth=1
	v_dual_lshrrev_b32 v43, 3, v44 :: v_dual_bitop2_b32 v26, 7, v27 bitop3:0x40
	s_mov_b32 s19, exec_lo
	v_cmpx_gt_u32_e32 8, v44
; %bb.992:                              ;   in Loop: Header=BB269_552 Depth=1
	s_delay_alu instid0(VALU_DEP_2) | instskip(NEXT) | instid1(VALU_DEP_1)
	v_clz_i32_u32_e32 v26, v26
	v_min_u32_e32 v26, 32, v26
	s_delay_alu instid0(VALU_DEP_1) | instskip(NEXT) | instid1(VALU_DEP_1)
	v_subrev_nc_u32_e32 v43, 28, v26
	v_lshlrev_b64_e32 v[62:63], v43, v[10:11]
	v_sub_nc_u32_e32 v43, 29, v26
	s_delay_alu instid0(VALU_DEP_2)
	v_and_b32_e32 v26, 7, v62
; %bb.993:                              ;   in Loop: Header=BB269_552 Depth=1
	s_or_b32 exec_lo, exec_lo, s19
	s_delay_alu instid0(VALU_DEP_1) | instskip(NEXT) | instid1(VALU_DEP_3)
	v_dual_lshlrev_b32 v10, 8, v27 :: v_dual_lshlrev_b32 v26, 23, v26
	v_lshl_add_u32 v27, v43, 10, 0x2000
	s_delay_alu instid0(VALU_DEP_1) | instskip(NEXT) | instid1(VALU_DEP_1)
	v_and_or_b32 v10, 0x8000, v10, v27
	v_lshl_or_b32 v26, v10, 16, v26
.LBB269_994:                            ;   in Loop: Header=BB269_552 Depth=1
	s_or_b32 exec_lo, exec_lo, s18
.LBB269_995:                            ;   in Loop: Header=BB269_552 Depth=1
	s_delay_alu instid0(SALU_CYCLE_1)
	s_or_b32 exec_lo, exec_lo, s17
.LBB269_996:                            ;   in Loop: Header=BB269_552 Depth=1
	s_delay_alu instid0(SALU_CYCLE_1) | instskip(SKIP_2) | instid1(VALU_DEP_1)
	s_or_b32 exec_lo, exec_lo, s16
	v_lshrrev_b32_e32 v10, 16, v21
	s_mov_b32 s16, exec_lo
	v_and_b32_e32 v27, 0xff, v10
	s_delay_alu instid0(VALU_DEP_1)
	v_cmpx_ne_u16_e32 0, v27
	s_cbranch_execz .LBB269_1004
; %bb.997:                              ;   in Loop: Header=BB269_552 Depth=1
	v_mov_b32_e32 v25, 0x8000
	s_mov_b32 s17, exec_lo
	v_cmpx_ne_u16_e32 0x80, v27
	s_cbranch_execz .LBB269_1003
; %bb.998:                              ;   in Loop: Header=BB269_552 Depth=1
	v_bfe_u32 v43, v21, 16, 7
	v_mov_b32_e32 v25, 0x7c01
	s_mov_b32 s18, exec_lo
	s_delay_alu instid0(VALU_DEP_2)
	v_cmpx_ne_u32_e32 0x7f, v43
	s_cbranch_execz .LBB269_1002
; %bb.999:                              ;   in Loop: Header=BB269_552 Depth=1
	v_dual_lshrrev_b32 v27, 3, v43 :: v_dual_bitop2_b32 v25, 7, v10 bitop3:0x40
	s_mov_b32 s19, exec_lo
	v_cmpx_gt_u32_e32 8, v43
; %bb.1000:                             ;   in Loop: Header=BB269_552 Depth=1
	s_delay_alu instid0(VALU_DEP_2) | instskip(NEXT) | instid1(VALU_DEP_1)
	v_clz_i32_u32_e32 v25, v25
	v_min_u32_e32 v25, 32, v25
	s_delay_alu instid0(VALU_DEP_1) | instskip(NEXT) | instid1(VALU_DEP_1)
	v_subrev_nc_u32_e32 v27, 28, v25
	v_lshlrev_b64_e32 v[62:63], v27, v[10:11]
	s_delay_alu instid0(VALU_DEP_1)
	v_dual_sub_nc_u32 v27, 29, v25 :: v_dual_bitop2_b32 v25, 7, v62 bitop3:0x40
; %bb.1001:                             ;   in Loop: Header=BB269_552 Depth=1
	s_or_b32 exec_lo, exec_lo, s19
	s_delay_alu instid0(VALU_DEP_1) | instskip(NEXT) | instid1(VALU_DEP_2)
	v_dual_lshlrev_b32 v10, 8, v10 :: v_dual_lshlrev_b32 v25, 7, v25
	v_lshl_add_u32 v27, v27, 10, 0x2000
	s_delay_alu instid0(VALU_DEP_2) | instskip(NEXT) | instid1(VALU_DEP_2)
	v_and_b32_e32 v10, 0x8000, v10
	v_and_b32_e32 v27, 0xfc00, v27
	s_delay_alu instid0(VALU_DEP_1)
	v_or3_b32 v25, v10, v27, v25
.LBB269_1002:                           ;   in Loop: Header=BB269_552 Depth=1
	s_or_b32 exec_lo, exec_lo, s18
.LBB269_1003:                           ;   in Loop: Header=BB269_552 Depth=1
	s_delay_alu instid0(SALU_CYCLE_1)
	s_or_b32 exec_lo, exec_lo, s17
.LBB269_1004:                           ;   in Loop: Header=BB269_552 Depth=1
	s_delay_alu instid0(SALU_CYCLE_1)
	s_or_b32 exec_lo, exec_lo, s16
	v_cmp_lt_u64_e64 s0, s[4:5], v[20:21]
	v_mov_b32_e32 v20, 0
	s_and_saveexec_b32 s16, s0
	s_cbranch_execz .LBB269_1012
; %bb.1005:                             ;   in Loop: Header=BB269_552 Depth=1
	v_lshrrev_b32_e32 v10, 24, v21
	v_bfrev_b32_e32 v20, 1
	s_mov_b32 s17, exec_lo
	s_delay_alu instid0(VALU_DEP_2)
	v_cmpx_ne_u32_e32 0x80, v10
	s_cbranch_execz .LBB269_1011
; %bb.1006:                             ;   in Loop: Header=BB269_552 Depth=1
	v_and_b32_e32 v27, 0x7f, v10
	v_mov_b32_e32 v20, 0x7c010000
	s_mov_b32 s18, exec_lo
	s_delay_alu instid0(VALU_DEP_2)
	v_cmpx_ne_u32_e32 0x7f, v27
	s_cbranch_execz .LBB269_1010
; %bb.1007:                             ;   in Loop: Header=BB269_552 Depth=1
	v_dual_lshrrev_b32 v21, 3, v27 :: v_dual_bitop2_b32 v20, 7, v10 bitop3:0x40
	s_mov_b32 s19, exec_lo
	v_cmpx_gt_u32_e32 8, v27
; %bb.1008:                             ;   in Loop: Header=BB269_552 Depth=1
	s_delay_alu instid0(VALU_DEP_2) | instskip(NEXT) | instid1(VALU_DEP_1)
	v_clz_i32_u32_e32 v20, v20
	v_min_u32_e32 v27, 32, v20
	s_delay_alu instid0(VALU_DEP_1) | instskip(NEXT) | instid1(VALU_DEP_1)
	v_subrev_nc_u32_e32 v20, 28, v27
	v_lshlrev_b64_e32 v[20:21], v20, v[10:11]
	s_delay_alu instid0(VALU_DEP_1)
	v_dual_sub_nc_u32 v21, 29, v27 :: v_dual_bitop2_b32 v20, 7, v20 bitop3:0x40
; %bb.1009:                             ;   in Loop: Header=BB269_552 Depth=1
	s_or_b32 exec_lo, exec_lo, s19
	s_delay_alu instid0(VALU_DEP_1) | instskip(NEXT) | instid1(VALU_DEP_2)
	v_dual_lshlrev_b32 v10, 8, v10 :: v_dual_lshlrev_b32 v20, 23, v20
	v_lshl_add_u32 v21, v21, 10, 0x2000
	s_delay_alu instid0(VALU_DEP_1) | instskip(NEXT) | instid1(VALU_DEP_1)
	v_and_or_b32 v10, 0x8000, v10, v21
	v_lshl_or_b32 v20, v10, 16, v20
.LBB269_1010:                           ;   in Loop: Header=BB269_552 Depth=1
	s_or_b32 exec_lo, exec_lo, s18
.LBB269_1011:                           ;   in Loop: Header=BB269_552 Depth=1
	s_delay_alu instid0(SALU_CYCLE_1)
	s_or_b32 exec_lo, exec_lo, s17
.LBB269_1012:                           ;   in Loop: Header=BB269_552 Depth=1
	s_delay_alu instid0(SALU_CYCLE_1) | instskip(SKIP_3) | instid1(VALU_DEP_3)
	s_or_b32 exec_lo, exec_lo, s16
	v_dual_lshrrev_b32 v10, 16, v1 :: v_dual_lshrrev_b32 v21, 16, v22
	v_or_b32_e32 v1, v1, v19
	v_dual_lshrrev_b32 v27, 16, v20 :: v_dual_bitop2_b32 v19, v22, v23 bitop3:0x54
	v_cvt_f32_f16_e32 v23, v10
	s_delay_alu instid0(VALU_DEP_4) | instskip(SKIP_1) | instid1(VALU_DEP_4)
	v_cvt_f32_f16_e32 v22, v21
	v_dual_lshrrev_b32 v25, 16, v26 :: v_dual_bitop2_b32 v10, v20, v25 bitop3:0x54
	v_cvt_f32_f16_e32 v20, v19
	v_cvt_f32_f16_e32 v21, v1
	s_wait_loadcnt 0x0
	v_pk_mul_f32 v[22:23], v[18:19], v[22:23] op_sel_hi:[0,1]
	v_cvt_f32_f16_e32 v25, v25
	s_delay_alu instid0(VALU_DEP_2) | instskip(SKIP_3) | instid1(VALU_DEP_3)
	v_cvt_pk_f16_f32 v1, v22, v23
	v_or_b32_e32 v19, v26, v24
	v_cvt_f32_f16_e32 v24, v27
	v_cvt_f32_f16_e32 v26, v10
	v_pk_mul_f32 v[20:21], v[18:19], v[20:21] op_sel_hi:[0,1]
	s_delay_alu instid0(VALU_DEP_1) | instskip(SKIP_4) | instid1(VALU_DEP_3)
	v_cvt_pk_f16_f32 v10, v20, v21
	v_lshlrev_b32_e32 v20, 16, v1
	v_cvt_f32_f16_e32 v27, v19
	v_pk_mul_f32 v[22:23], v[18:19], v[24:25] op_sel_hi:[0,1]
	v_and_b32_e32 v21, 0xffff0000, v1
	v_pk_mul_f32 v[18:19], v[18:19], v[26:27] op_sel_hi:[0,1]
	s_delay_alu instid0(VALU_DEP_3) | instskip(SKIP_1) | instid1(VALU_DEP_3)
	v_cvt_pk_f16_f32 v22, v22, v23
	v_and_b32_e32 v26, 0xffff, v10
	v_cvt_pk_f16_f32 v18, v18, v19
	s_delay_alu instid0(VALU_DEP_3) | instskip(NEXT) | instid1(VALU_DEP_3)
	v_and_b32_e32 v1, 0xffff0000, v22
	v_or_b32_e32 v24, v20, v26
	s_delay_alu instid0(VALU_DEP_3) | instskip(SKIP_2) | instid1(VALU_DEP_3)
	v_lshrrev_b32_e32 v19, 16, v18
	v_lshrrev_b32_e32 v27, 16, v10
	v_and_b32_e32 v18, 0xffff, v18
	v_dual_lshlrev_b32 v10, 16, v22 :: v_dual_bitop2_b32 v23, v1, v19 bitop3:0x54
	s_delay_alu instid0(VALU_DEP_3) | instskip(NEXT) | instid1(VALU_DEP_2)
	v_or_b32_e32 v25, v21, v27
	v_or_b32_e32 v22, v10, v18
	s_and_saveexec_b32 s16, vcc_lo
	s_cbranch_execz .LBB269_1014
; %bb.1013:                             ;   in Loop: Header=BB269_552 Depth=1
	v_cmp_gt_i32_e64 s0, s15, v33
	s_delay_alu instid0(VALU_DEP_1) | instskip(SKIP_1) | instid1(VALU_DEP_1)
	v_cndmask_b32_e64 v22, 0, v27, s0
	v_cmp_gt_i32_e64 s0, s25, v42
	v_cndmask_b32_e64 v23, 0, v26, s0
	v_cmp_gt_i32_e64 s0, s15, v41
	s_delay_alu instid0(VALU_DEP_1) | instskip(SKIP_1) | instid1(VALU_DEP_1)
	v_cndmask_b32_e64 v21, 0, v21, s0
	v_cmp_gt_i32_e64 s0, s25, v40
	v_cndmask_b32_e64 v20, 0, v20, s0
	v_cmp_gt_i32_e64 s0, s15, v39
	s_delay_alu instid0(VALU_DEP_4) | instskip(NEXT) | instid1(VALU_DEP_3)
	v_or_b32_e32 v25, v21, v22
	v_or_b32_e32 v24, v20, v23
	s_delay_alu instid0(VALU_DEP_3) | instskip(SKIP_1) | instid1(VALU_DEP_1)
	v_cndmask_b32_e64 v19, 0, v19, s0
	v_cmp_gt_i32_e64 s0, s25, v38
	v_cndmask_b32_e64 v18, 0, v18, s0
	v_cmp_gt_i32_e64 s0, s15, v37
	s_delay_alu instid0(VALU_DEP_1) | instskip(SKIP_1) | instid1(VALU_DEP_1)
	v_cndmask_b32_e64 v1, 0, v1, s0
	v_cmp_gt_i32_e64 s0, s25, v36
	v_dual_cndmask_b32 v10, 0, v10, s0 :: v_dual_bitop2_b32 v23, v1, v19 bitop3:0x54
	s_delay_alu instid0(VALU_DEP_1)
	v_or_b32_e32 v22, v10, v18
.LBB269_1014:                           ;   in Loop: Header=BB269_552 Depth=1
	s_or_b32 exec_lo, exec_lo, s16
	;;#ASMSTART
	v_pk_mul_f16 v1, v48, v25;

	;;#ASMEND
	;;#ASMSTART
	v_pk_mul_f16 v10, v47, v24;

	;;#ASMEND
	;; [unrolled: 4-line block ×4, first 2 shown]
	;;#ASMSTART
	v_pk_add_f16 v1, v1, v10;

	;;#ASMEND
	;;#ASMSTART
	v_pk_add_f16 v1, v1, v18;

	;;#ASMEND
	;;#ASMSTART
	v_pk_add_f16 v1, v1, v19;

	;;#ASMEND
	v_and_b32_e32 v10, 0xffff, v1
	v_lshrrev_b32_e32 v1, 16, v1
	;;#ASMSTART
	v_cvt_f32_f16 v43, v10;
	;;#ASMEND
	;;#ASMSTART
	v_cvt_f32_f16 v44, v1;
	;;#ASMEND
	global_load_b64 v[18:19], v[16:17], off offset:1792
	s_wait_xcnt 0x0
	v_dual_mov_b32 v1, 0 :: v_dual_mov_b32 v17, 0
	s_mov_b32 s16, exec_lo
	global_load_b32 v16, v1, s[10:11]
	s_wait_loadcnt 0x1
	v_and_b32_e32 v10, 0xff, v18
	s_wait_xcnt 0x0
	s_delay_alu instid0(VALU_DEP_1)
	v_cmpx_ne_u16_e32 0, v10
	s_cbranch_execz .LBB269_1022
; %bb.1015:                             ;   in Loop: Header=BB269_552 Depth=1
	v_mov_b32_e32 v17, 0x8000
	s_mov_b32 s17, exec_lo
	v_cmpx_ne_u16_e32 0x80, v10
	s_cbranch_execz .LBB269_1021
; %bb.1016:                             ;   in Loop: Header=BB269_552 Depth=1
	v_and_b32_e32 v20, 0x7f, v18
	v_mov_b32_e32 v17, 0x7c01
	s_mov_b32 s18, exec_lo
	s_delay_alu instid0(VALU_DEP_2)
	v_cmpx_ne_u32_e32 0x7f, v20
	s_cbranch_execz .LBB269_1020
; %bb.1017:                             ;   in Loop: Header=BB269_552 Depth=1
	v_dual_lshrrev_b32 v17, 3, v20 :: v_dual_bitop2_b32 v10, 7, v18 bitop3:0x40
	s_mov_b32 s19, exec_lo
	v_cmpx_gt_u32_e32 8, v20
; %bb.1018:                             ;   in Loop: Header=BB269_552 Depth=1
	s_delay_alu instid0(VALU_DEP_2) | instskip(NEXT) | instid1(VALU_DEP_1)
	v_clz_i32_u32_e32 v10, v10
	v_min_u32_e32 v10, 32, v10
	s_delay_alu instid0(VALU_DEP_1) | instskip(NEXT) | instid1(VALU_DEP_1)
	v_subrev_nc_u32_e32 v17, 28, v10
	v_lshlrev_b64_e32 v[20:21], v17, v[18:19]
	s_delay_alu instid0(VALU_DEP_1)
	v_dual_sub_nc_u32 v17, 29, v10 :: v_dual_bitop2_b32 v10, 7, v20 bitop3:0x40
; %bb.1019:                             ;   in Loop: Header=BB269_552 Depth=1
	s_or_b32 exec_lo, exec_lo, s19
	v_lshlrev_b32_e32 v20, 8, v18
	s_delay_alu instid0(VALU_DEP_2) | instskip(NEXT) | instid1(VALU_DEP_3)
	v_lshl_add_u32 v17, v17, 10, 0x2000
	v_lshlrev_b32_e32 v10, 7, v10
	s_delay_alu instid0(VALU_DEP_3) | instskip(NEXT) | instid1(VALU_DEP_3)
	v_and_b32_e32 v20, 0x8000, v20
	v_and_b32_e32 v17, 0xfc00, v17
	s_delay_alu instid0(VALU_DEP_1)
	v_or3_b32 v17, v20, v17, v10
.LBB269_1020:                           ;   in Loop: Header=BB269_552 Depth=1
	s_or_b32 exec_lo, exec_lo, s18
.LBB269_1021:                           ;   in Loop: Header=BB269_552 Depth=1
	s_delay_alu instid0(SALU_CYCLE_1)
	s_or_b32 exec_lo, exec_lo, s17
.LBB269_1022:                           ;   in Loop: Header=BB269_552 Depth=1
	s_delay_alu instid0(SALU_CYCLE_1) | instskip(SKIP_2) | instid1(VALU_DEP_1)
	s_or_b32 exec_lo, exec_lo, s16
	v_lshrrev_b16 v10, 8, v18
	s_mov_b32 s16, exec_lo
	v_cmpx_ne_u16_e32 0, v10
	s_cbranch_execz .LBB269_1030
; %bb.1023:                             ;   in Loop: Header=BB269_552 Depth=1
	v_bfrev_b32_e32 v1, 1
	s_mov_b32 s17, exec_lo
	v_cmpx_ne_u16_e32 0x80, v10
	s_cbranch_execz .LBB269_1029
; %bb.1024:                             ;   in Loop: Header=BB269_552 Depth=1
	v_and_b32_e32 v20, 0xffff, v10
	v_mov_b32_e32 v1, 0x7c010000
	s_mov_b32 s18, exec_lo
	s_delay_alu instid0(VALU_DEP_2) | instskip(NEXT) | instid1(VALU_DEP_1)
	v_and_b32_e32 v22, 0x7f, v20
	v_cmpx_ne_u32_e32 0x7f, v22
	s_cbranch_execz .LBB269_1028
; %bb.1025:                             ;   in Loop: Header=BB269_552 Depth=1
	v_dual_lshrrev_b32 v21, 3, v22 :: v_dual_bitop2_b32 v1, 7, v20 bitop3:0x40
	s_mov_b32 s19, exec_lo
	v_cmpx_gt_u32_e32 8, v22
; %bb.1026:                             ;   in Loop: Header=BB269_552 Depth=1
	s_delay_alu instid0(VALU_DEP_2) | instskip(NEXT) | instid1(VALU_DEP_1)
	v_clz_i32_u32_e32 v1, v1
	v_min_u32_e32 v1, 32, v1
	s_delay_alu instid0(VALU_DEP_1) | instskip(NEXT) | instid1(VALU_DEP_1)
	v_subrev_nc_u32_e32 v21, 28, v1
	v_lshlrev_b64_e32 v[22:23], v21, v[10:11]
	s_delay_alu instid0(VALU_DEP_1)
	v_dual_sub_nc_u32 v21, 29, v1 :: v_dual_bitop2_b32 v1, 7, v22 bitop3:0x40
; %bb.1027:                             ;   in Loop: Header=BB269_552 Depth=1
	s_or_b32 exec_lo, exec_lo, s19
	s_delay_alu instid0(VALU_DEP_1) | instskip(NEXT) | instid1(VALU_DEP_2)
	v_dual_lshlrev_b32 v10, 8, v20 :: v_dual_lshlrev_b32 v1, 23, v1
	v_lshl_add_u32 v20, v21, 10, 0x2000
	s_delay_alu instid0(VALU_DEP_1) | instskip(NEXT) | instid1(VALU_DEP_1)
	v_and_or_b32 v10, 0x8000, v10, v20
	v_lshl_or_b32 v1, v10, 16, v1
.LBB269_1028:                           ;   in Loop: Header=BB269_552 Depth=1
	s_or_b32 exec_lo, exec_lo, s18
.LBB269_1029:                           ;   in Loop: Header=BB269_552 Depth=1
	s_delay_alu instid0(SALU_CYCLE_1)
	s_or_b32 exec_lo, exec_lo, s17
.LBB269_1030:                           ;   in Loop: Header=BB269_552 Depth=1
	s_delay_alu instid0(SALU_CYCLE_1) | instskip(SKIP_3) | instid1(VALU_DEP_2)
	s_or_b32 exec_lo, exec_lo, s16
	v_dual_lshrrev_b32 v10, 16, v18 :: v_dual_mov_b32 v20, 0
	v_mov_b32_e32 v21, 0
	s_mov_b32 s16, exec_lo
	v_and_b32_e32 v22, 0xff, v10
	s_delay_alu instid0(VALU_DEP_1)
	v_cmpx_ne_u16_e32 0, v22
	s_cbranch_execz .LBB269_1038
; %bb.1031:                             ;   in Loop: Header=BB269_552 Depth=1
	v_mov_b32_e32 v21, 0x8000
	s_mov_b32 s17, exec_lo
	v_cmpx_ne_u16_e32 0x80, v22
	s_cbranch_execz .LBB269_1037
; %bb.1032:                             ;   in Loop: Header=BB269_552 Depth=1
	v_bfe_u32 v23, v18, 16, 7
	v_mov_b32_e32 v21, 0x7c01
	s_mov_b32 s18, exec_lo
	s_delay_alu instid0(VALU_DEP_2)
	v_cmpx_ne_u32_e32 0x7f, v23
	s_cbranch_execz .LBB269_1036
; %bb.1033:                             ;   in Loop: Header=BB269_552 Depth=1
	v_dual_lshrrev_b32 v22, 3, v23 :: v_dual_bitop2_b32 v21, 7, v10 bitop3:0x40
	s_mov_b32 s19, exec_lo
	v_cmpx_gt_u32_e32 8, v23
; %bb.1034:                             ;   in Loop: Header=BB269_552 Depth=1
	s_delay_alu instid0(VALU_DEP_2) | instskip(NEXT) | instid1(VALU_DEP_1)
	v_clz_i32_u32_e32 v21, v21
	v_min_u32_e32 v21, 32, v21
	s_delay_alu instid0(VALU_DEP_1) | instskip(NEXT) | instid1(VALU_DEP_1)
	v_subrev_nc_u32_e32 v22, 28, v21
	v_lshlrev_b64_e32 v[24:25], v22, v[10:11]
	s_delay_alu instid0(VALU_DEP_1)
	v_dual_sub_nc_u32 v22, 29, v21 :: v_dual_bitop2_b32 v21, 7, v24 bitop3:0x40
; %bb.1035:                             ;   in Loop: Header=BB269_552 Depth=1
	s_or_b32 exec_lo, exec_lo, s19
	s_delay_alu instid0(VALU_DEP_1) | instskip(NEXT) | instid1(VALU_DEP_2)
	v_dual_lshlrev_b32 v10, 8, v10 :: v_dual_lshlrev_b32 v21, 7, v21
	v_lshl_add_u32 v22, v22, 10, 0x2000
	s_delay_alu instid0(VALU_DEP_2) | instskip(NEXT) | instid1(VALU_DEP_2)
	v_and_b32_e32 v10, 0x8000, v10
	v_and_b32_e32 v22, 0xfc00, v22
	s_delay_alu instid0(VALU_DEP_1)
	v_or3_b32 v21, v10, v22, v21
.LBB269_1036:                           ;   in Loop: Header=BB269_552 Depth=1
	s_or_b32 exec_lo, exec_lo, s18
.LBB269_1037:                           ;   in Loop: Header=BB269_552 Depth=1
	s_delay_alu instid0(SALU_CYCLE_1)
	s_or_b32 exec_lo, exec_lo, s17
.LBB269_1038:                           ;   in Loop: Header=BB269_552 Depth=1
	s_delay_alu instid0(SALU_CYCLE_1) | instskip(NEXT) | instid1(SALU_CYCLE_1)
	s_or_b32 exec_lo, exec_lo, s16
	s_mov_b32 s16, exec_lo
	v_cmpx_lt_u32_e32 0xffffff, v18
	s_cbranch_execz .LBB269_1046
; %bb.1039:                             ;   in Loop: Header=BB269_552 Depth=1
	v_lshrrev_b32_e32 v10, 24, v18
	v_bfrev_b32_e32 v20, 1
	s_mov_b32 s17, exec_lo
	s_delay_alu instid0(VALU_DEP_2)
	v_cmpx_ne_u32_e32 0x80, v10
	s_cbranch_execz .LBB269_1045
; %bb.1040:                             ;   in Loop: Header=BB269_552 Depth=1
	v_and_b32_e32 v23, 0x7f, v10
	v_mov_b32_e32 v20, 0x7c010000
	s_mov_b32 s18, exec_lo
	s_delay_alu instid0(VALU_DEP_2)
	v_cmpx_ne_u32_e32 0x7f, v23
	s_cbranch_execz .LBB269_1044
; %bb.1041:                             ;   in Loop: Header=BB269_552 Depth=1
	v_dual_lshrrev_b32 v22, 3, v23 :: v_dual_bitop2_b32 v20, 7, v10 bitop3:0x40
	s_mov_b32 s19, exec_lo
	v_cmpx_gt_u32_e32 8, v23
; %bb.1042:                             ;   in Loop: Header=BB269_552 Depth=1
	s_delay_alu instid0(VALU_DEP_2) | instskip(NEXT) | instid1(VALU_DEP_1)
	v_clz_i32_u32_e32 v20, v20
	v_min_u32_e32 v20, 32, v20
	s_delay_alu instid0(VALU_DEP_1) | instskip(NEXT) | instid1(VALU_DEP_1)
	v_subrev_nc_u32_e32 v22, 28, v20
	v_lshlrev_b64_e32 v[24:25], v22, v[10:11]
	v_sub_nc_u32_e32 v22, 29, v20
	s_delay_alu instid0(VALU_DEP_2)
	v_and_b32_e32 v20, 7, v24
; %bb.1043:                             ;   in Loop: Header=BB269_552 Depth=1
	s_or_b32 exec_lo, exec_lo, s19
	s_delay_alu instid0(VALU_DEP_1) | instskip(NEXT) | instid1(VALU_DEP_3)
	v_dual_lshlrev_b32 v10, 8, v10 :: v_dual_lshlrev_b32 v20, 23, v20
	v_lshl_add_u32 v22, v22, 10, 0x2000
	s_delay_alu instid0(VALU_DEP_1) | instskip(NEXT) | instid1(VALU_DEP_1)
	v_and_or_b32 v10, 0x8000, v10, v22
	v_lshl_or_b32 v20, v10, 16, v20
.LBB269_1044:                           ;   in Loop: Header=BB269_552 Depth=1
	s_or_b32 exec_lo, exec_lo, s18
.LBB269_1045:                           ;   in Loop: Header=BB269_552 Depth=1
	s_delay_alu instid0(SALU_CYCLE_1)
	s_or_b32 exec_lo, exec_lo, s17
.LBB269_1046:                           ;   in Loop: Header=BB269_552 Depth=1
	s_delay_alu instid0(SALU_CYCLE_1) | instskip(SKIP_4) | instid1(VALU_DEP_3)
	s_or_b32 exec_lo, exec_lo, s16
	v_and_b32_e32 v24, 0xff, v19
	v_dual_mov_b32 v10, v19 :: v_dual_mov_b32 v23, 0
	v_mov_b32_e32 v22, 0
	s_mov_b32 s16, exec_lo
	v_cmpx_ne_u16_e32 0, v24
	s_cbranch_execz .LBB269_1054
; %bb.1047:                             ;   in Loop: Header=BB269_552 Depth=1
	v_mov_b32_e32 v22, 0x8000
	s_mov_b32 s17, exec_lo
	v_cmpx_ne_u16_e32 0x80, v24
	s_cbranch_execz .LBB269_1053
; %bb.1048:                             ;   in Loop: Header=BB269_552 Depth=1
	v_and_b32_e32 v25, 0x7f, v19
	v_mov_b32_e32 v22, 0x7c01
	s_mov_b32 s18, exec_lo
	s_delay_alu instid0(VALU_DEP_2)
	v_cmpx_ne_u32_e32 0x7f, v25
	s_cbranch_execz .LBB269_1052
; %bb.1049:                             ;   in Loop: Header=BB269_552 Depth=1
	v_dual_lshrrev_b32 v24, 3, v25 :: v_dual_bitop2_b32 v22, 7, v19 bitop3:0x40
	s_mov_b32 s19, exec_lo
	v_cmpx_gt_u32_e32 8, v25
; %bb.1050:                             ;   in Loop: Header=BB269_552 Depth=1
	s_delay_alu instid0(VALU_DEP_2) | instskip(NEXT) | instid1(VALU_DEP_1)
	v_clz_i32_u32_e32 v22, v22
	v_min_u32_e32 v22, 32, v22
	s_delay_alu instid0(VALU_DEP_1) | instskip(NEXT) | instid1(VALU_DEP_1)
	v_subrev_nc_u32_e32 v24, 28, v22
	v_lshlrev_b64_e32 v[26:27], v24, v[10:11]
	v_sub_nc_u32_e32 v24, 29, v22
	s_delay_alu instid0(VALU_DEP_2)
	v_and_b32_e32 v22, 7, v26
; %bb.1051:                             ;   in Loop: Header=BB269_552 Depth=1
	s_or_b32 exec_lo, exec_lo, s19
	s_delay_alu instid0(VALU_DEP_1) | instskip(NEXT) | instid1(VALU_DEP_3)
	v_dual_lshlrev_b32 v25, 8, v19 :: v_dual_lshlrev_b32 v22, 7, v22
	v_lshl_add_u32 v24, v24, 10, 0x2000
	s_delay_alu instid0(VALU_DEP_2) | instskip(NEXT) | instid1(VALU_DEP_2)
	v_and_b32_e32 v25, 0x8000, v25
	v_and_b32_e32 v24, 0xfc00, v24
	s_delay_alu instid0(VALU_DEP_1)
	v_or3_b32 v22, v25, v24, v22
.LBB269_1052:                           ;   in Loop: Header=BB269_552 Depth=1
	s_or_b32 exec_lo, exec_lo, s18
.LBB269_1053:                           ;   in Loop: Header=BB269_552 Depth=1
	s_delay_alu instid0(SALU_CYCLE_1)
	s_or_b32 exec_lo, exec_lo, s17
.LBB269_1054:                           ;   in Loop: Header=BB269_552 Depth=1
	s_delay_alu instid0(SALU_CYCLE_1) | instskip(SKIP_3) | instid1(VALU_DEP_2)
	s_or_b32 exec_lo, exec_lo, s16
	v_lshrrev_b16 v10, 8, v10
	v_mov_b32_e32 v24, 0
	s_mov_b32 s16, exec_lo
	v_cmpx_ne_u16_e32 0, v10
	s_cbranch_execz .LBB269_1062
; %bb.1055:                             ;   in Loop: Header=BB269_552 Depth=1
	v_bfrev_b32_e32 v24, 1
	s_mov_b32 s17, exec_lo
	v_cmpx_ne_u16_e32 0x80, v10
	s_cbranch_execz .LBB269_1061
; %bb.1056:                             ;   in Loop: Header=BB269_552 Depth=1
	v_and_b32_e32 v25, 0xffff, v10
	v_mov_b32_e32 v24, 0x7c010000
	s_mov_b32 s18, exec_lo
	s_delay_alu instid0(VALU_DEP_2) | instskip(NEXT) | instid1(VALU_DEP_1)
	v_and_b32_e32 v27, 0x7f, v25
	v_cmpx_ne_u32_e32 0x7f, v27
	s_cbranch_execz .LBB269_1060
; %bb.1057:                             ;   in Loop: Header=BB269_552 Depth=1
	v_dual_lshrrev_b32 v26, 3, v27 :: v_dual_bitop2_b32 v24, 7, v25 bitop3:0x40
	s_mov_b32 s19, exec_lo
	v_cmpx_gt_u32_e32 8, v27
; %bb.1058:                             ;   in Loop: Header=BB269_552 Depth=1
	s_delay_alu instid0(VALU_DEP_2) | instskip(NEXT) | instid1(VALU_DEP_1)
	v_clz_i32_u32_e32 v24, v24
	v_min_u32_e32 v24, 32, v24
	s_delay_alu instid0(VALU_DEP_1) | instskip(NEXT) | instid1(VALU_DEP_1)
	v_subrev_nc_u32_e32 v26, 28, v24
	v_lshlrev_b64_e32 v[62:63], v26, v[10:11]
	s_delay_alu instid0(VALU_DEP_1)
	v_dual_sub_nc_u32 v26, 29, v24 :: v_dual_bitop2_b32 v24, 7, v62 bitop3:0x40
; %bb.1059:                             ;   in Loop: Header=BB269_552 Depth=1
	s_or_b32 exec_lo, exec_lo, s19
	s_delay_alu instid0(VALU_DEP_1) | instskip(NEXT) | instid1(VALU_DEP_2)
	v_dual_lshlrev_b32 v10, 8, v25 :: v_dual_lshlrev_b32 v24, 23, v24
	v_lshl_add_u32 v25, v26, 10, 0x2000
	s_delay_alu instid0(VALU_DEP_1) | instskip(NEXT) | instid1(VALU_DEP_1)
	v_and_or_b32 v10, 0x8000, v10, v25
	v_lshl_or_b32 v24, v10, 16, v24
.LBB269_1060:                           ;   in Loop: Header=BB269_552 Depth=1
	s_or_b32 exec_lo, exec_lo, s18
.LBB269_1061:                           ;   in Loop: Header=BB269_552 Depth=1
	s_delay_alu instid0(SALU_CYCLE_1)
	s_or_b32 exec_lo, exec_lo, s17
.LBB269_1062:                           ;   in Loop: Header=BB269_552 Depth=1
	s_delay_alu instid0(SALU_CYCLE_1) | instskip(SKIP_2) | instid1(VALU_DEP_1)
	s_or_b32 exec_lo, exec_lo, s16
	v_lshrrev_b32_e32 v10, 16, v19
	s_mov_b32 s16, exec_lo
	v_and_b32_e32 v25, 0xff, v10
	s_delay_alu instid0(VALU_DEP_1)
	v_cmpx_ne_u16_e32 0, v25
	s_cbranch_execz .LBB269_1070
; %bb.1063:                             ;   in Loop: Header=BB269_552 Depth=1
	v_mov_b32_e32 v23, 0x8000
	s_mov_b32 s17, exec_lo
	v_cmpx_ne_u16_e32 0x80, v25
	s_cbranch_execz .LBB269_1069
; %bb.1064:                             ;   in Loop: Header=BB269_552 Depth=1
	v_bfe_u32 v26, v19, 16, 7
	v_mov_b32_e32 v23, 0x7c01
	s_mov_b32 s18, exec_lo
	s_delay_alu instid0(VALU_DEP_2)
	v_cmpx_ne_u32_e32 0x7f, v26
	s_cbranch_execz .LBB269_1068
; %bb.1065:                             ;   in Loop: Header=BB269_552 Depth=1
	v_and_b32_e32 v23, 7, v10
	v_lshrrev_b32_e32 v25, 3, v26
	s_mov_b32 s19, exec_lo
	v_cmpx_gt_u32_e32 8, v26
; %bb.1066:                             ;   in Loop: Header=BB269_552 Depth=1
	s_delay_alu instid0(VALU_DEP_3) | instskip(NEXT) | instid1(VALU_DEP_1)
	v_clz_i32_u32_e32 v23, v23
	v_min_u32_e32 v23, 32, v23
	s_delay_alu instid0(VALU_DEP_1) | instskip(NEXT) | instid1(VALU_DEP_1)
	v_subrev_nc_u32_e32 v25, 28, v23
	v_lshlrev_b64_e32 v[26:27], v25, v[10:11]
	s_delay_alu instid0(VALU_DEP_1)
	v_dual_sub_nc_u32 v25, 29, v23 :: v_dual_bitop2_b32 v23, 7, v26 bitop3:0x40
; %bb.1067:                             ;   in Loop: Header=BB269_552 Depth=1
	s_or_b32 exec_lo, exec_lo, s19
	s_delay_alu instid0(VALU_DEP_1) | instskip(NEXT) | instid1(VALU_DEP_2)
	v_dual_lshlrev_b32 v10, 8, v10 :: v_dual_lshlrev_b32 v23, 7, v23
	v_lshl_add_u32 v25, v25, 10, 0x2000
	s_delay_alu instid0(VALU_DEP_2) | instskip(NEXT) | instid1(VALU_DEP_2)
	v_and_b32_e32 v10, 0x8000, v10
	v_and_b32_e32 v25, 0xfc00, v25
	s_delay_alu instid0(VALU_DEP_1)
	v_or3_b32 v23, v10, v25, v23
.LBB269_1068:                           ;   in Loop: Header=BB269_552 Depth=1
	s_or_b32 exec_lo, exec_lo, s18
.LBB269_1069:                           ;   in Loop: Header=BB269_552 Depth=1
	s_delay_alu instid0(SALU_CYCLE_1)
	s_or_b32 exec_lo, exec_lo, s17
.LBB269_1070:                           ;   in Loop: Header=BB269_552 Depth=1
	s_delay_alu instid0(SALU_CYCLE_1)
	s_or_b32 exec_lo, exec_lo, s16
	v_cmp_lt_u64_e64 s0, s[4:5], v[18:19]
	v_mov_b32_e32 v18, 0
	s_and_saveexec_b32 s16, s0
	s_cbranch_execz .LBB269_1078
; %bb.1071:                             ;   in Loop: Header=BB269_552 Depth=1
	v_lshrrev_b32_e32 v10, 24, v19
	v_bfrev_b32_e32 v18, 1
	s_mov_b32 s17, exec_lo
	s_delay_alu instid0(VALU_DEP_2)
	v_cmpx_ne_u32_e32 0x80, v10
	s_cbranch_execz .LBB269_1077
; %bb.1072:                             ;   in Loop: Header=BB269_552 Depth=1
	v_and_b32_e32 v25, 0x7f, v10
	v_mov_b32_e32 v18, 0x7c010000
	s_mov_b32 s18, exec_lo
	s_delay_alu instid0(VALU_DEP_2)
	v_cmpx_ne_u32_e32 0x7f, v25
	s_cbranch_execz .LBB269_1076
; %bb.1073:                             ;   in Loop: Header=BB269_552 Depth=1
	v_dual_lshrrev_b32 v19, 3, v25 :: v_dual_bitop2_b32 v18, 7, v10 bitop3:0x40
	s_mov_b32 s19, exec_lo
	v_cmpx_gt_u32_e32 8, v25
; %bb.1074:                             ;   in Loop: Header=BB269_552 Depth=1
	s_delay_alu instid0(VALU_DEP_2) | instskip(NEXT) | instid1(VALU_DEP_1)
	v_clz_i32_u32_e32 v18, v18
	v_min_u32_e32 v25, 32, v18
	s_delay_alu instid0(VALU_DEP_1) | instskip(NEXT) | instid1(VALU_DEP_1)
	v_subrev_nc_u32_e32 v18, 28, v25
	v_lshlrev_b64_e32 v[18:19], v18, v[10:11]
	s_delay_alu instid0(VALU_DEP_1)
	v_dual_sub_nc_u32 v19, 29, v25 :: v_dual_bitop2_b32 v18, 7, v18 bitop3:0x40
; %bb.1075:                             ;   in Loop: Header=BB269_552 Depth=1
	s_or_b32 exec_lo, exec_lo, s19
	v_lshlrev_b32_e32 v10, 8, v10
	s_delay_alu instid0(VALU_DEP_2) | instskip(NEXT) | instid1(VALU_DEP_3)
	v_lshl_add_u32 v19, v19, 10, 0x2000
	v_lshlrev_b32_e32 v18, 23, v18
	s_delay_alu instid0(VALU_DEP_2) | instskip(NEXT) | instid1(VALU_DEP_1)
	v_and_or_b32 v10, 0x8000, v10, v19
	v_lshl_or_b32 v18, v10, 16, v18
.LBB269_1076:                           ;   in Loop: Header=BB269_552 Depth=1
	s_or_b32 exec_lo, exec_lo, s18
.LBB269_1077:                           ;   in Loop: Header=BB269_552 Depth=1
	s_delay_alu instid0(SALU_CYCLE_1)
	s_or_b32 exec_lo, exec_lo, s17
.LBB269_1078:                           ;   in Loop: Header=BB269_552 Depth=1
	s_delay_alu instid0(SALU_CYCLE_1) | instskip(SKIP_3) | instid1(VALU_DEP_3)
	s_or_b32 exec_lo, exec_lo, s16
	v_dual_lshrrev_b32 v10, 16, v1 :: v_dual_lshrrev_b32 v19, 16, v20
	v_or_b32_e32 v1, v1, v17
	v_dual_lshrrev_b32 v25, 16, v18 :: v_dual_bitop2_b32 v17, v20, v21 bitop3:0x54
	v_cvt_f32_f16_e32 v21, v10
	s_delay_alu instid0(VALU_DEP_4) | instskip(SKIP_1) | instid1(VALU_DEP_4)
	v_cvt_f32_f16_e32 v20, v19
	v_dual_lshrrev_b32 v23, 16, v24 :: v_dual_bitop2_b32 v10, v18, v23 bitop3:0x54
	v_cvt_f32_f16_e32 v18, v17
	v_cvt_f32_f16_e32 v19, v1
	s_wait_loadcnt 0x0
	v_pk_mul_f32 v[20:21], v[16:17], v[20:21] op_sel_hi:[0,1]
	v_or_b32_e32 v17, v24, v22
	v_cvt_f32_f16_e32 v23, v23
	v_cvt_f32_f16_e32 v22, v25
	s_delay_alu instid0(VALU_DEP_4) | instskip(NEXT) | instid1(VALU_DEP_4)
	v_cvt_pk_f16_f32 v1, v20, v21
	v_cvt_f32_f16_e32 v25, v17
	v_pk_mul_f32 v[18:19], v[16:17], v[18:19] op_sel_hi:[0,1]
	s_delay_alu instid0(VALU_DEP_4) | instskip(NEXT) | instid1(VALU_DEP_4)
	v_pk_mul_f32 v[20:21], v[16:17], v[22:23] op_sel_hi:[0,1]
	v_lshlrev_b32_e32 v22, 16, v1
	v_cvt_f32_f16_e32 v24, v10
	s_delay_alu instid0(VALU_DEP_4) | instskip(SKIP_2) | instid1(VALU_DEP_4)
	v_cvt_pk_f16_f32 v10, v18, v19
	v_and_b32_e32 v23, 0xffff0000, v1
	v_cvt_pk_f16_f32 v18, v20, v21
	v_pk_mul_f32 v[16:17], v[16:17], v[24:25] op_sel_hi:[0,1]
	s_delay_alu instid0(VALU_DEP_4) | instskip(SKIP_1) | instid1(VALU_DEP_4)
	v_and_b32_e32 v24, 0xffff, v10
	v_lshrrev_b32_e32 v25, 16, v10
	v_and_b32_e32 v19, 0xffff0000, v18
	s_delay_alu instid0(VALU_DEP_4) | instskip(NEXT) | instid1(VALU_DEP_4)
	v_cvt_pk_f16_f32 v1, v16, v17
	v_dual_lshlrev_b32 v18, 16, v18 :: v_dual_bitop2_b32 v16, v22, v24 bitop3:0x54
	s_delay_alu instid0(VALU_DEP_4) | instskip(NEXT) | instid1(VALU_DEP_3)
	v_or_b32_e32 v17, v23, v25
	v_lshrrev_b32_e32 v21, 16, v1
	v_and_b32_e32 v20, 0xffff, v1
	s_delay_alu instid0(VALU_DEP_2) | instskip(NEXT) | instid1(VALU_DEP_2)
	v_or_b32_e32 v1, v19, v21
	v_or_b32_e32 v10, v18, v20
	s_and_saveexec_b32 s0, vcc_lo
	s_cbranch_execz .LBB269_551
; %bb.1079:                             ;   in Loop: Header=BB269_552 Depth=1
	v_cmp_gt_i32_e32 vcc_lo, s15, v33
	v_cndmask_b32_e32 v1, 0, v25, vcc_lo
	v_cmp_gt_i32_e32 vcc_lo, s25, v42
	v_cndmask_b32_e32 v10, 0, v24, vcc_lo
	v_cmp_gt_i32_e32 vcc_lo, s15, v41
	v_cndmask_b32_e32 v16, 0, v23, vcc_lo
	v_cmp_gt_i32_e32 vcc_lo, s25, v40
	v_cndmask_b32_e32 v22, 0, v22, vcc_lo
	v_cmp_gt_i32_e32 vcc_lo, s15, v39
	s_delay_alu instid0(VALU_DEP_4) | instskip(NEXT) | instid1(VALU_DEP_3)
	v_or_b32_e32 v17, v16, v1
	v_dual_cndmask_b32 v21, 0, v21, vcc_lo :: v_dual_bitop2_b32 v16, v22, v10 bitop3:0x54
	v_cmp_gt_i32_e32 vcc_lo, s25, v38
	v_cndmask_b32_e32 v20, 0, v20, vcc_lo
	v_cmp_gt_i32_e32 vcc_lo, s15, v37
	v_cndmask_b32_e32 v19, 0, v19, vcc_lo
	v_cmp_gt_i32_e32 vcc_lo, s25, v36
	s_delay_alu instid0(VALU_DEP_2) | instskip(NEXT) | instid1(VALU_DEP_1)
	v_dual_cndmask_b32 v18, 0, v18, vcc_lo :: v_dual_bitop2_b32 v1, v19, v21 bitop3:0x54
	v_or_b32_e32 v10, v18, v20
	s_branch .LBB269_551
.LBB269_1080:
	s_or_b32 exec_lo, exec_lo, s14
.LBB269_1081:
	s_delay_alu instid0(SALU_CYCLE_1)
	s_or_b32 exec_lo, exec_lo, s1
	ds_bpermute_b32 v12, v32, v8
	ds_bpermute_b32 v13, v32, v9
	;; [unrolled: 1-line block ×8, first 2 shown]
	v_and_b32_e32 v18, 0x3c1, v0
	v_lshrrev_b32_e32 v1, 1, v31
	s_mov_b32 s0, exec_lo
	s_wait_dscnt 0x0
	s_barrier_signal -1
	s_barrier_wait -1
	v_pk_add_f32 v[8:9], v[8:9], v[12:13]
	v_pk_add_f32 v[6:7], v[6:7], v[14:15]
	;; [unrolled: 1-line block ×3, first 2 shown]
	v_cmpx_ne_u32_e32 64, v18
	s_xor_b32 s0, exec_lo, s0
	s_delay_alu instid0(SALU_CYCLE_1)
	s_or_saveexec_b32 s0, s0
	v_pk_add_f32 v[2:3], v[2:3], v[10:11]
	v_lshl_add_u32 v10, v1, 2, 0x120
	v_lshlrev_b32_e32 v11, 9, v30
	s_xor_b32 exec_lo, exec_lo, s0
	s_cbranch_execz .LBB269_1083
; %bb.1082:
	s_delay_alu instid0(VALU_DEP_1) | instskip(NEXT) | instid1(VALU_DEP_1)
	v_add_nc_u32_e32 v12, v10, v11
	v_add_nc_u32_e32 v13, 0xfffffc00, v12
	;; [unrolled: 1-line block ×9, first 2 shown]
	ds_store_b32 v13, v8
	ds_store_b32 v14, v9
	;; [unrolled: 1-line block ×8, first 2 shown]
.LBB269_1083:
	s_or_b32 exec_lo, exec_lo, s0
	v_lshlrev_b32_e32 v1, 2, v1
	s_mov_b32 s1, exec_lo
	v_cmp_eq_u32_e32 vcc_lo, 0, v29
	s_wait_dscnt 0x0
	s_barrier_signal -1
	v_add3_u32 v1, 0x120, v11, v1
	s_barrier_wait -1
	v_cmpx_gt_u32_e32 64, v0
	s_cbranch_execz .LBB269_1094
; %bb.1084:
	s_and_saveexec_b32 s0, vcc_lo
	s_cbranch_execnz .LBB269_1110
; %bb.1085:
	s_or_b32 exec_lo, exec_lo, s0
	s_and_saveexec_b32 s0, vcc_lo
	s_cbranch_execnz .LBB269_1111
.LBB269_1086:
	s_or_b32 exec_lo, exec_lo, s0
	s_and_saveexec_b32 s0, vcc_lo
	s_cbranch_execnz .LBB269_1112
.LBB269_1087:
	s_or_b32 exec_lo, exec_lo, s0
	s_and_saveexec_b32 s0, vcc_lo
	s_cbranch_execnz .LBB269_1113
.LBB269_1088:
	s_or_b32 exec_lo, exec_lo, s0
	s_and_saveexec_b32 s0, vcc_lo
	s_cbranch_execnz .LBB269_1114
.LBB269_1089:
	s_or_b32 exec_lo, exec_lo, s0
	s_and_saveexec_b32 s0, vcc_lo
	s_cbranch_execnz .LBB269_1115
.LBB269_1090:
	s_or_b32 exec_lo, exec_lo, s0
	s_and_saveexec_b32 s0, vcc_lo
	s_cbranch_execnz .LBB269_1116
.LBB269_1091:
	s_or_b32 exec_lo, exec_lo, s0
	s_and_saveexec_b32 s0, vcc_lo
	s_cbranch_execz .LBB269_1093
.LBB269_1092:
	ds_load_b32 v11, v1 offset:448
	s_wait_dscnt 0x0
	v_add_f32_e32 v3, v3, v11
.LBB269_1093:
	s_or_b32 exec_lo, exec_lo, s0
.LBB269_1094:
	s_delay_alu instid0(SALU_CYCLE_1) | instskip(SKIP_4) | instid1(VALU_DEP_1)
	s_or_b32 exec_lo, exec_lo, s1
	v_and_b32_e32 v0, 0x3e1, v0
	s_mov_b32 s1, exec_lo
	s_barrier_signal -1
	s_barrier_wait -1
	v_cmpx_eq_u32_e32 32, v0
	s_cbranch_execz .LBB269_1096
; %bb.1095:
	ds_store_2addr_b32 v10, v8, v9 offset1:16
	ds_store_2addr_b32 v10, v6, v7 offset0:32 offset1:48
	ds_store_2addr_b32 v10, v4, v5 offset0:64 offset1:80
	ds_store_2addr_b32 v10, v2, v3 offset0:96 offset1:112
.LBB269_1096:
	s_or_b32 exec_lo, exec_lo, s1
	s_wait_dscnt 0x0
	s_barrier_signal -1
	s_barrier_wait -1
	s_and_saveexec_b32 s0, s2
	s_cbranch_execz .LBB269_1107
; %bb.1097:
	s_and_saveexec_b32 s1, vcc_lo
	s_cbranch_execnz .LBB269_1117
; %bb.1098:
	s_or_b32 exec_lo, exec_lo, s1
	s_and_saveexec_b32 s1, vcc_lo
	s_cbranch_execnz .LBB269_1118
.LBB269_1099:
	s_or_b32 exec_lo, exec_lo, s1
	s_and_saveexec_b32 s1, vcc_lo
	s_cbranch_execnz .LBB269_1119
.LBB269_1100:
	s_or_b32 exec_lo, exec_lo, s1
	s_and_saveexec_b32 s1, vcc_lo
	s_cbranch_execnz .LBB269_1120
.LBB269_1101:
	s_or_b32 exec_lo, exec_lo, s1
	s_and_saveexec_b32 s1, vcc_lo
	s_cbranch_execnz .LBB269_1121
.LBB269_1102:
	s_or_b32 exec_lo, exec_lo, s1
	s_and_saveexec_b32 s1, vcc_lo
	s_cbranch_execnz .LBB269_1122
.LBB269_1103:
	s_or_b32 exec_lo, exec_lo, s1
	s_and_saveexec_b32 s1, vcc_lo
	s_cbranch_execnz .LBB269_1123
.LBB269_1104:
	s_or_b32 exec_lo, exec_lo, s1
	s_and_saveexec_b32 s1, vcc_lo
	s_cbranch_execz .LBB269_1106
.LBB269_1105:
	ds_load_b32 v1, v1 offset:448
	s_wait_dscnt 0x0
	v_add_f32_e32 v3, v3, v1
.LBB269_1106:
	s_or_b32 exec_lo, exec_lo, s1
.LBB269_1107:
	s_delay_alu instid0(SALU_CYCLE_1)
	s_or_b32 exec_lo, exec_lo, s0
	s_mov_b32 s1, 0
	s_barrier_signal -1
	s_barrier_wait -1
	s_mov_b32 s0, exec_lo
	v_cmpx_eq_u32_e32 0, v0
	s_cbranch_execz .LBB269_1109
; %bb.1108:
	s_mul_i32 s0, s24, s7
	s_mul_i32 s2, s7, s6
	;; [unrolled: 1-line block ×3, first 2 shown]
	s_lshr_b32 s6, ttmp7, 16
	s_lshl_b32 s4, s0, 7
	s_bfe_u32 s0, ttmp6, 0x40014
	s_ashr_i32 s5, s4, 31
	s_add_co_i32 s0, s0, 1
	s_ashr_i32 s3, s2, 31
	s_mul_i32 s0, s6, s0
	s_bfe_u32 s7, ttmp6, 0x40008
	s_lshl_b64 s[4:5], s[4:5], 1
	s_lshl_b64 s[2:3], s[2:3], 1
	s_add_co_i32 s7, s7, s0
	s_cmp_eq_u32 s22, 0
	s_wait_kmcnt 0x0
	s_add_nc_u64 s[4:5], s[8:9], s[4:5]
	s_cselect_b32 s0, s6, s7
	s_add_nc_u64 s[2:3], s[4:5], s[2:3]
	s_lshl_b32 s0, s0, 8
	;;#ASMSTART
	v_cvt_f16_f32 v0, v8;

	;;#ASMEND
	s_add_nc_u64 s[0:1], s[2:3], s[0:1]
	global_store_b16 v28, v0, s[0:1] scale_offset
	s_wait_xcnt 0x0
	;;#ASMSTART
	v_cvt_f16_f32 v0, v9;

	;;#ASMEND
	global_store_b16 v28, v0, s[0:1] offset:32 scale_offset
	s_wait_xcnt 0x0
	;;#ASMSTART
	v_cvt_f16_f32 v0, v6;

	;;#ASMEND
	global_store_b16 v28, v0, s[0:1] offset:64 scale_offset
	;; [unrolled: 6-line block ×7, first 2 shown]
.LBB269_1109:
	s_sendmsg sendmsg(MSG_DEALLOC_VGPRS)
	s_endpgm
.LBB269_1110:
	ds_load_b32 v11, v1
	s_wait_dscnt 0x0
	v_add_f32_e32 v8, v8, v11
	s_or_b32 exec_lo, exec_lo, s0
	s_and_saveexec_b32 s0, vcc_lo
	s_cbranch_execz .LBB269_1086
.LBB269_1111:
	ds_load_b32 v11, v1 offset:64
	s_wait_dscnt 0x0
	v_add_f32_e32 v9, v9, v11
	s_or_b32 exec_lo, exec_lo, s0
	s_and_saveexec_b32 s0, vcc_lo
	s_cbranch_execz .LBB269_1087
.LBB269_1112:
	ds_load_b32 v11, v1 offset:128
	s_wait_dscnt 0x0
	v_add_f32_e32 v6, v6, v11
	s_or_b32 exec_lo, exec_lo, s0
	s_and_saveexec_b32 s0, vcc_lo
	s_cbranch_execz .LBB269_1088
.LBB269_1113:
	ds_load_b32 v11, v1 offset:192
	s_wait_dscnt 0x0
	v_add_f32_e32 v7, v7, v11
	s_or_b32 exec_lo, exec_lo, s0
	s_and_saveexec_b32 s0, vcc_lo
	s_cbranch_execz .LBB269_1089
.LBB269_1114:
	ds_load_b32 v11, v1 offset:256
	s_wait_dscnt 0x0
	v_add_f32_e32 v4, v4, v11
	s_or_b32 exec_lo, exec_lo, s0
	s_and_saveexec_b32 s0, vcc_lo
	s_cbranch_execz .LBB269_1090
.LBB269_1115:
	ds_load_b32 v11, v1 offset:320
	s_wait_dscnt 0x0
	v_add_f32_e32 v5, v5, v11
	s_or_b32 exec_lo, exec_lo, s0
	s_and_saveexec_b32 s0, vcc_lo
	s_cbranch_execz .LBB269_1091
.LBB269_1116:
	ds_load_b32 v11, v1 offset:384
	s_wait_dscnt 0x0
	v_add_f32_e32 v2, v2, v11
	s_or_b32 exec_lo, exec_lo, s0
	s_and_saveexec_b32 s0, vcc_lo
	s_cbranch_execnz .LBB269_1092
	s_branch .LBB269_1093
.LBB269_1117:
	ds_load_b32 v10, v1
	s_wait_dscnt 0x0
	v_add_f32_e32 v8, v8, v10
	s_or_b32 exec_lo, exec_lo, s1
	s_and_saveexec_b32 s1, vcc_lo
	s_cbranch_execz .LBB269_1099
.LBB269_1118:
	ds_load_b32 v10, v1 offset:64
	s_wait_dscnt 0x0
	v_add_f32_e32 v9, v9, v10
	s_or_b32 exec_lo, exec_lo, s1
	s_and_saveexec_b32 s1, vcc_lo
	s_cbranch_execz .LBB269_1100
.LBB269_1119:
	ds_load_b32 v10, v1 offset:128
	s_wait_dscnt 0x0
	v_add_f32_e32 v6, v6, v10
	s_or_b32 exec_lo, exec_lo, s1
	s_and_saveexec_b32 s1, vcc_lo
	s_cbranch_execz .LBB269_1101
.LBB269_1120:
	ds_load_b32 v10, v1 offset:192
	s_wait_dscnt 0x0
	v_add_f32_e32 v7, v7, v10
	s_or_b32 exec_lo, exec_lo, s1
	s_and_saveexec_b32 s1, vcc_lo
	s_cbranch_execz .LBB269_1102
.LBB269_1121:
	ds_load_b32 v10, v1 offset:256
	s_wait_dscnt 0x0
	v_add_f32_e32 v4, v4, v10
	s_or_b32 exec_lo, exec_lo, s1
	s_and_saveexec_b32 s1, vcc_lo
	s_cbranch_execz .LBB269_1103
.LBB269_1122:
	ds_load_b32 v10, v1 offset:320
	s_wait_dscnt 0x0
	v_add_f32_e32 v5, v5, v10
	s_or_b32 exec_lo, exec_lo, s1
	s_and_saveexec_b32 s1, vcc_lo
	s_cbranch_execz .LBB269_1104
.LBB269_1123:
	ds_load_b32 v10, v1 offset:384
	s_wait_dscnt 0x0
	v_add_f32_e32 v2, v2, v10
	s_or_b32 exec_lo, exec_lo, s1
	s_and_saveexec_b32 s1, vcc_lo
	s_cbranch_execnz .LBB269_1105
	s_branch .LBB269_1106
	.section	.rodata,"a",@progbits
	.p2align	6, 0x0
	.amdhsa_kernel _ZN4vllm25paged_attention_v1_kernelIthLi128ELi16ELi128ELNS_18Fp8KVCacheDataTypeE1ELb0EEEvPT_PKS2_PKT0_S8_ifPKiSA_iPKfiiiSC_SC_iiiii
		.amdhsa_group_segment_fixed_size 288
		.amdhsa_private_segment_fixed_size 0
		.amdhsa_kernarg_size 384
		.amdhsa_user_sgpr_count 2
		.amdhsa_user_sgpr_dispatch_ptr 0
		.amdhsa_user_sgpr_queue_ptr 0
		.amdhsa_user_sgpr_kernarg_segment_ptr 1
		.amdhsa_user_sgpr_dispatch_id 0
		.amdhsa_user_sgpr_kernarg_preload_length 0
		.amdhsa_user_sgpr_kernarg_preload_offset 0
		.amdhsa_user_sgpr_private_segment_size 0
		.amdhsa_wavefront_size32 1
		.amdhsa_uses_dynamic_stack 0
		.amdhsa_enable_private_segment 0
		.amdhsa_system_sgpr_workgroup_id_x 1
		.amdhsa_system_sgpr_workgroup_id_y 1
		.amdhsa_system_sgpr_workgroup_id_z 1
		.amdhsa_system_sgpr_workgroup_info 0
		.amdhsa_system_vgpr_workitem_id 0
		.amdhsa_next_free_vgpr 128
		.amdhsa_next_free_sgpr 34
		.amdhsa_named_barrier_count 0
		.amdhsa_reserve_vcc 1
		.amdhsa_float_round_mode_32 0
		.amdhsa_float_round_mode_16_64 0
		.amdhsa_float_denorm_mode_32 3
		.amdhsa_float_denorm_mode_16_64 3
		.amdhsa_fp16_overflow 0
		.amdhsa_memory_ordered 1
		.amdhsa_forward_progress 1
		.amdhsa_inst_pref_size 255
		.amdhsa_round_robin_scheduling 0
		.amdhsa_exception_fp_ieee_invalid_op 0
		.amdhsa_exception_fp_denorm_src 0
		.amdhsa_exception_fp_ieee_div_zero 0
		.amdhsa_exception_fp_ieee_overflow 0
		.amdhsa_exception_fp_ieee_underflow 0
		.amdhsa_exception_fp_ieee_inexact 0
		.amdhsa_exception_int_div_zero 0
	.end_amdhsa_kernel
	.section	.text._ZN4vllm25paged_attention_v1_kernelIthLi128ELi16ELi128ELNS_18Fp8KVCacheDataTypeE1ELb0EEEvPT_PKS2_PKT0_S8_ifPKiSA_iPKfiiiSC_SC_iiiii,"axG",@progbits,_ZN4vllm25paged_attention_v1_kernelIthLi128ELi16ELi128ELNS_18Fp8KVCacheDataTypeE1ELb0EEEvPT_PKS2_PKT0_S8_ifPKiSA_iPKfiiiSC_SC_iiiii,comdat
.Lfunc_end269:
	.size	_ZN4vllm25paged_attention_v1_kernelIthLi128ELi16ELi128ELNS_18Fp8KVCacheDataTypeE1ELb0EEEvPT_PKS2_PKT0_S8_ifPKiSA_iPKfiiiSC_SC_iiiii, .Lfunc_end269-_ZN4vllm25paged_attention_v1_kernelIthLi128ELi16ELi128ELNS_18Fp8KVCacheDataTypeE1ELb0EEEvPT_PKS2_PKT0_S8_ifPKiSA_iPKfiiiSC_SC_iiiii
                                        ; -- End function
	.set _ZN4vllm25paged_attention_v1_kernelIthLi128ELi16ELi128ELNS_18Fp8KVCacheDataTypeE1ELb0EEEvPT_PKS2_PKT0_S8_ifPKiSA_iPKfiiiSC_SC_iiiii.num_vgpr, 128
	.set _ZN4vllm25paged_attention_v1_kernelIthLi128ELi16ELi128ELNS_18Fp8KVCacheDataTypeE1ELb0EEEvPT_PKS2_PKT0_S8_ifPKiSA_iPKfiiiSC_SC_iiiii.num_agpr, 0
	.set _ZN4vllm25paged_attention_v1_kernelIthLi128ELi16ELi128ELNS_18Fp8KVCacheDataTypeE1ELb0EEEvPT_PKS2_PKT0_S8_ifPKiSA_iPKfiiiSC_SC_iiiii.numbered_sgpr, 34
	.set _ZN4vllm25paged_attention_v1_kernelIthLi128ELi16ELi128ELNS_18Fp8KVCacheDataTypeE1ELb0EEEvPT_PKS2_PKT0_S8_ifPKiSA_iPKfiiiSC_SC_iiiii.num_named_barrier, 0
	.set _ZN4vllm25paged_attention_v1_kernelIthLi128ELi16ELi128ELNS_18Fp8KVCacheDataTypeE1ELb0EEEvPT_PKS2_PKT0_S8_ifPKiSA_iPKfiiiSC_SC_iiiii.private_seg_size, 0
	.set _ZN4vllm25paged_attention_v1_kernelIthLi128ELi16ELi128ELNS_18Fp8KVCacheDataTypeE1ELb0EEEvPT_PKS2_PKT0_S8_ifPKiSA_iPKfiiiSC_SC_iiiii.uses_vcc, 1
	.set _ZN4vllm25paged_attention_v1_kernelIthLi128ELi16ELi128ELNS_18Fp8KVCacheDataTypeE1ELb0EEEvPT_PKS2_PKT0_S8_ifPKiSA_iPKfiiiSC_SC_iiiii.uses_flat_scratch, 0
	.set _ZN4vllm25paged_attention_v1_kernelIthLi128ELi16ELi128ELNS_18Fp8KVCacheDataTypeE1ELb0EEEvPT_PKS2_PKT0_S8_ifPKiSA_iPKfiiiSC_SC_iiiii.has_dyn_sized_stack, 0
	.set _ZN4vllm25paged_attention_v1_kernelIthLi128ELi16ELi128ELNS_18Fp8KVCacheDataTypeE1ELb0EEEvPT_PKS2_PKT0_S8_ifPKiSA_iPKfiiiSC_SC_iiiii.has_recursion, 0
	.set _ZN4vllm25paged_attention_v1_kernelIthLi128ELi16ELi128ELNS_18Fp8KVCacheDataTypeE1ELb0EEEvPT_PKS2_PKT0_S8_ifPKiSA_iPKfiiiSC_SC_iiiii.has_indirect_call, 0
	.section	.AMDGPU.csdata,"",@progbits
; Kernel info:
; codeLenInByte = 39328
; TotalNumSgprs: 36
; NumVgprs: 128
; ScratchSize: 0
; MemoryBound: 0
; FloatMode: 240
; IeeeMode: 1
; LDSByteSize: 288 bytes/workgroup (compile time only)
; SGPRBlocks: 0
; VGPRBlocks: 7
; NumSGPRsForWavesPerEU: 36
; NumVGPRsForWavesPerEU: 128
; NamedBarCnt: 0
; Occupancy: 8
; WaveLimiterHint : 1
; COMPUTE_PGM_RSRC2:SCRATCH_EN: 0
; COMPUTE_PGM_RSRC2:USER_SGPR: 2
; COMPUTE_PGM_RSRC2:TRAP_HANDLER: 0
; COMPUTE_PGM_RSRC2:TGID_X_EN: 1
; COMPUTE_PGM_RSRC2:TGID_Y_EN: 1
; COMPUTE_PGM_RSRC2:TGID_Z_EN: 1
; COMPUTE_PGM_RSRC2:TIDIG_COMP_CNT: 0
	.text
	.p2align	2                               ; -- Begin function _ZN4vllm22paged_attention_kernelIthLi192ELi16ELi128ELNS_18Fp8KVCacheDataTypeE1ELb0ELi0EEEvPfS2_PT_PKS3_PKT0_S9_ifPKiSB_iPKfiiiSD_SD_iiiii
	.type	_ZN4vllm22paged_attention_kernelIthLi192ELi16ELi128ELNS_18Fp8KVCacheDataTypeE1ELb0ELi0EEEvPfS2_PT_PKS3_PKT0_S9_ifPKiSB_iPKfiiiSD_SD_iiiii,@function
_ZN4vllm22paged_attention_kernelIthLi192ELi16ELi128ELNS_18Fp8KVCacheDataTypeE1ELb0ELi0EEEvPfS2_PT_PKS3_PKT0_S9_ifPKiSB_iPKfiiiSD_SD_iiiii: ; @_ZN4vllm22paged_attention_kernelIthLi192ELi16ELi128ELNS_18Fp8KVCacheDataTypeE1ELb0ELi0EEEvPfS2_PT_PKS3_PKT0_S9_ifPKiSB_iPKfiiiSD_SD_iiiii
; %bb.0:
	s_wait_loadcnt_dscnt 0x0
	s_wait_kmcnt 0x0
	s_clause 0x2f
	scratch_store_b32 off, v40, s32 offset:188
	; meta instruction
	scratch_store_b32 off, v41, s32 offset:184
	; meta instruction
	;; [unrolled: 2-line block ×47, first 2 shown]
	scratch_store_b32 off, v127, s32
	s_bfe_u32 s0, ttmp6, 0x4000c
	s_bfe_u32 s2, ttmp6, 0x40010
	s_add_co_i32 s0, s0, 1
	s_and_b32 s1, ttmp6, 15
	s_mul_i32 s0, ttmp9, s0
	s_and_b32 s3, ttmp7, 0xffff
	s_add_co_i32 s2, s2, 1
	s_add_co_i32 s0, s1, s0
	s_mul_i32 s1, s3, s2
	s_bfe_u32 s2, ttmp6, 0x40004
	s_getreg_b32 s12, hwreg(HW_REG_IB_STS2, 6, 4)
	s_add_co_i32 s2, s2, s1
	s_cmp_eq_u32 s12, 0
	s_mov_b32 s1, 0
	s_cselect_b32 s13, s3, s2
	s_cselect_b32 s2, ttmp9, s0
	s_lshl_b32 s0, s13, 2
	s_clause 0x1
	scratch_store_b64 off, v[10:11], s32 offset:200
	scratch_store_b64 off, v[0:1], s32 offset:216
	s_wait_xcnt 0x0
	v_add_nc_u64_e32 v[0:1], s[0:1], v[12:13]
	v_dual_mov_b32 v27, 0 :: v_dual_mov_b32 v33, v7
	v_mov_b32_e32 v32, v6
	s_clause 0x1
	s_load_u16 s0, s[8:9], 0x12
	s_load_b32 s3, s[8:9], 0x0
	v_dual_mov_b32 v25, v16 :: v_dual_mov_b32 v24, v15
	flat_load_b32 v12, v[0:1]
	s_wait_xcnt 0x0
	v_sub_nc_u32_e32 v0, 0, v8
	global_load_u16 v6, v27, s[8:9] offset:22
	s_mov_b32 s6, s15
	s_mov_b32 s4, exec_lo
	v_dual_mov_b32 v30, v27 :: v_dual_max_i32 v0, v8, v0
	s_delay_alu instid0(VALU_DEP_1) | instskip(NEXT) | instid1(VALU_DEP_1)
	v_cvt_f32_u32_e32 v1, v0
	v_rcp_iflag_f32_e32 v1, v1
	s_wait_kmcnt 0x0
	s_cmp_lg_u32 s0, 0
	s_cselect_b32 s0, -1, 0
	s_delay_alu instid0(SALU_CYCLE_1) | instskip(SKIP_1) | instid1(TRANS32_DEP_1)
	s_cmp_lg_u32 s0, 0
	v_nop
	v_mul_f32_e32 v1, 0x4f7ffffe, v1
	v_sub_nc_u32_e32 v7, 0, v0
	s_add_co_ci_u32 s14, s3, 0
	s_delay_alu instid0(SALU_CYCLE_1) | instskip(NEXT) | instid1(VALU_DEP_2)
	s_abs_i32 s0, s14
	v_cvt_u32_f32_e32 v1, v1
	s_delay_alu instid0(VALU_DEP_1) | instskip(NEXT) | instid1(VALU_DEP_1)
	v_mul_lo_u32 v7, v7, v1
	v_mul_hi_u32 v7, v1, v7
	s_delay_alu instid0(VALU_DEP_1) | instskip(NEXT) | instid1(VALU_DEP_1)
	v_add_nc_u32_e32 v1, v1, v7
	v_mul_hi_u32 v1, s0, v1
	s_delay_alu instid0(VALU_DEP_1) | instskip(NEXT) | instid1(VALU_DEP_1)
	v_mul_lo_u32 v7, v1, v0
	v_dual_add_nc_u32 v10, 1, v1 :: v_dual_sub_nc_u32 v7, s0, v7
	s_abs_i32 s0, s2
	s_delay_alu instid0(VALU_DEP_1) | instskip(NEXT) | instid1(VALU_DEP_2)
	v_cmp_ge_u32_e32 vcc_lo, v7, v0
	v_dual_sub_nc_u32 v11, v7, v0 :: v_dual_cndmask_b32 v1, v1, v10, vcc_lo
	s_delay_alu instid0(VALU_DEP_1) | instskip(NEXT) | instid1(VALU_DEP_1)
	v_dual_cndmask_b32 v7, v7, v11, vcc_lo :: v_dual_bitop2_b32 v8, s14, v8 bitop3:0x14
	v_dual_add_nc_u32 v10, 1, v1 :: v_dual_ashrrev_i32 v8, 31, v8
	s_delay_alu instid0(VALU_DEP_2) | instskip(NEXT) | instid1(VALU_DEP_2)
	v_cmp_ge_u32_e32 vcc_lo, v7, v0
	v_cndmask_b32_e32 v0, v1, v10, vcc_lo
	s_delay_alu instid0(VALU_DEP_1) | instskip(NEXT) | instid1(VALU_DEP_1)
	v_xor_b32_e32 v0, v0, v8
	v_sub_nc_u32_e32 v1, v0, v8
	s_delay_alu instid0(VALU_DEP_1) | instskip(NEXT) | instid1(VALU_DEP_1)
	v_sub_nc_u32_e32 v0, 0, v1
	v_max_i32_e32 v0, v1, v0
	s_delay_alu instid0(VALU_DEP_1) | instskip(SKIP_1) | instid1(VALU_DEP_2)
	v_cvt_f32_u32_e32 v7, v0
	v_sub_nc_u32_e32 v8, 0, v0
	v_rcp_iflag_f32_e32 v7, v7
	v_nop
	s_delay_alu instid0(TRANS32_DEP_1) | instskip(NEXT) | instid1(VALU_DEP_1)
	v_mul_f32_e32 v7, 0x4f7ffffe, v7
	v_cvt_u32_f32_e32 v7, v7
	s_delay_alu instid0(VALU_DEP_1) | instskip(NEXT) | instid1(VALU_DEP_1)
	v_mul_lo_u32 v8, v8, v7
	v_mul_hi_u32 v8, v7, v8
	s_delay_alu instid0(VALU_DEP_1)
	v_add_nc_u32_e32 v26, v7, v8
	s_wait_loadcnt 0x0
	v_readfirstlane_b32 s15, v6
	s_wait_xcnt 0x0
	v_cmpx_ne_u64_e32 0, v[24:25]
	s_cbranch_execz .LBB270_2
; %bb.1:
	s_ashr_i32 s3, s2, 31
	s_delay_alu instid0(SALU_CYCLE_1)
	v_lshl_add_u64 v[6:7], s[2:3], 2, v[24:25]
	flat_load_b32 v30, v[6:7]
.LBB270_2:
	s_wait_xcnt 0x0
	s_or_b32 exec_lo, exec_lo, s4
	v_mul_u64_e32 v[24:25], s[0:1], v[26:27]
	v_and_b32_e32 v39, 0x3ff, v31
	v_bfe_u32 v6, v31, 1, 9
	v_ashrrev_i32_e32 v1, 31, v1
	s_ashr_i32 s1, s2, 31
	s_mul_i32 s4, s2, 0xc0
	v_lshlrev_b32_e32 v34, 3, v39
	scratch_store_b32 off, v6, s32 offset:196 ; 4-byte Folded Spill
	s_wait_xcnt 0x0
	v_and_b32_e32 v6, 1, v31
	s_mov_b32 s2, exec_lo
	scratch_store_b32 off, v6, s32 offset:192 ; 4-byte Folded Spill
	s_wait_xcnt 0x0
	v_cmpx_gt_u32_e32 48, v39
	s_cbranch_execz .LBB270_4
; %bb.3:
	v_mul_lo_u32 v6, v17, s13
	s_ashr_i32 s5, s4, 31
	s_delay_alu instid0(VALU_DEP_1) | instskip(NEXT) | instid1(VALU_DEP_1)
	v_dual_mov_b32 v35, 0 :: v_dual_ashrrev_i32 v7, 31, v6
	v_lshl_add_u64 v[2:3], v[6:7], 1, v[2:3]
	s_delay_alu instid0(VALU_DEP_1) | instskip(NEXT) | instid1(VALU_DEP_1)
	v_lshl_add_u64 v[2:3], s[4:5], 1, v[2:3]
	v_add_nc_u64_e32 v[2:3], v[2:3], v[34:35]
	flat_load_b64 v[2:3], v[2:3]
	s_clause 0x1
	scratch_load_b32 v6, off, s32 offset:196
	scratch_load_b32 v7, off, s32 offset:192
	s_wait_loadcnt 0x1
	v_lshlrev_b32_e32 v6, 3, v6
	s_wait_loadcnt 0x0
	s_delay_alu instid0(VALU_DEP_1)
	v_mad_u32_u24 v6, 0xc0, v7, v6
	s_wait_dscnt 0x0
	ds_store_b64 v6, v[2:3]
.LBB270_4:
	s_wait_xcnt 0x0
	s_or_b32 exec_lo, exec_lo, s2
	v_mul_lo_u32 v2, v25, v0
	s_wait_dscnt 0x0
	v_add_nc_u32_e32 v3, 15, v12
	v_mul_lo_u32 v10, v14, s13
	v_mbcnt_lo_u32_b32 v13, -1, 0
                                        ; implicit-def: $vgpr31
	s_delay_alu instid0(VALU_DEP_4) | instskip(NEXT) | instid1(VALU_DEP_4)
	v_dual_sub_nc_u32 v2, s0, v2 :: v_dual_bitop2_b32 v1, s1, v1 bitop3:0x14
	v_dual_add_nc_u32 v6, 1, v25 :: v_dual_ashrrev_i32 v7, 31, v3
	s_delay_alu instid0(VALU_DEP_4) | instskip(NEXT) | instid1(VALU_DEP_3)
	v_ashrrev_i32_e32 v11, 31, v10
	v_cmp_ge_u32_e32 vcc_lo, v2, v0
	v_sub_nc_u32_e32 v8, v2, v0
	scratch_store_b64 off, v[10:11], s32 offset:208 ; 8-byte Folded Spill
	s_wait_loadcnt 0x0
	s_wait_storecnt 0x0
	v_dual_cndmask_b32 v6, v25, v6 :: v_dual_lshrrev_b32 v7, 28, v7
	v_cndmask_b32_e32 v2, v2, v8, vcc_lo
	s_barrier_signal -1
	s_barrier_wait -1
	s_delay_alu instid0(VALU_DEP_2) | instskip(NEXT) | instid1(VALU_DEP_2)
	v_add_nc_u32_e32 v8, 1, v6
	v_cmp_ge_u32_e32 vcc_lo, v2, v0
	v_add_nc_u32_e32 v3, v3, v7
                                        ; implicit-def: $vgpr25
	s_delay_alu instid0(VALU_DEP_3) | instskip(NEXT) | instid1(VALU_DEP_1)
	v_dual_cndmask_b32 v0, v6, v8, vcc_lo :: v_dual_lshrrev_b32 v2, 5, v39
	v_dual_ashrrev_i32 v50, 4, v3 :: v_dual_bitop2_b32 v0, v0, v1 bitop3:0x14
	s_delay_alu instid0(VALU_DEP_1) | instskip(NEXT) | instid1(VALU_DEP_2)
	v_cmp_ge_i32_e64 s0, v2, v50
	v_sub_nc_u32_e32 v0, v0, v1
	s_wait_xcnt 0x0
	s_and_saveexec_b32 s1, s0
	s_delay_alu instid0(SALU_CYCLE_1)
	s_xor_b32 s1, exec_lo, s1
; %bb.5:
	v_dual_mov_b32 v25, 0 :: v_dual_mov_b32 v31, 32
	v_mbcnt_lo_u32_b32 v13, -1, 0
                                        ; implicit-def: $vgpr30
                                        ; implicit-def: $vgpr9
                                        ; implicit-def: $vgpr4
                                        ; implicit-def: $vgpr20
; %bb.6:
	s_or_saveexec_b32 s3, s1
	s_load_b32 s5, s[8:9], 0x8
	v_mul_lo_u32 v14, v0, v19
	v_dual_mov_b32 v19, 0xff7fffff :: v_dual_lshrrev_b32 v0, 3, v39
	s_wait_xcnt 0x0
	s_get_pc_i64 s[8:9]
	s_add_nc_u64 s[8:9], s[8:9], llvm.amdgcn.dynlds.offset.table@rel64+4
	scratch_store_b32 off, v0, s32 offset:224 ; 4-byte Folded Spill
	v_ashrrev_i32_e32 v15, 31, v14
	s_wait_xcnt 0x0
	s_xor_b32 exec_lo, exec_lo, s3
	s_cbranch_execz .LBB270_780
; %bb.7:
	s_clause 0x2
	scratch_store_b64 off, v[34:35], s32 offset:236
	scratch_store_b64 off, v[32:33], s32 offset:228
	scratch_load_b32 v3, off, s32 offset:192
	v_bfe_u32 v2, v39, 1, 4
	v_add_nc_u64_e32 v[0:1], v[4:5], v[14:15]
	v_mov_b32_e32 v25, 0
	s_ashr_i32 s7, s6, 31
	v_cmp_neq_f32_e64 s1, 0, v30
	v_dual_mov_b32 v19, 0xff7fffff :: v_dual_lshlrev_b32 v24, 4, v2
	v_mov_b32_e32 v31, 32
	s_lshl_b64 s[10:11], s[6:7], 2
	s_mov_b32 s7, 0
	s_delay_alu instid0(VALU_DEP_2) | instskip(SKIP_4) | instid1(VALU_DEP_1)
	v_add_nc_u64_e32 v[0:1], v[0:1], v[24:25]
	s_add_nc_u64 s[10:11], s[8:9], s[10:11]
	s_wait_xcnt 0x2
	v_lshrrev_b32_e32 v35, 5, v39
	s_wait_xcnt 0x1
	v_lshl_or_b32 v33, v35, 4, v2
	s_wait_loadcnt 0x0
	v_lshlrev_b32_e32 v24, 2, v3
	v_mul_u32_u24_e32 v32, 0xc0, v3
	v_cmp_eq_u32_e32 vcc_lo, 0, v3
	v_lshlrev_b32_e32 v3, 2, v2
	s_delay_alu instid0(VALU_DEP_4) | instskip(SKIP_1) | instid1(VALU_DEP_3)
	v_add_nc_u64_e32 v[4:5], v[0:1], v[24:25]
	v_lshrrev_b32_e32 v0, 3, v39
	v_lshl_or_b32 v34, v35, 6, v3
	scratch_load_b64 v[2:3], off, s32 offset:200 ; 8-byte Folded Reload
	v_and_b32_e32 v24, 0x7c, v0
	scratch_load_b64 v[0:1], off, s32 offset:208 ; 8-byte Folded Reload
	s_wait_loadcnt 0x0
	v_lshl_add_u64 v[0:1], v[0:1], 2, v[24:25]
	s_delay_alu instid0(VALU_DEP_1)
	v_add_nc_u64_e32 v[26:27], v[2:3], v[0:1]
	s_branch .LBB270_9
.LBB270_8:                              ;   in Loop: Header=BB270_9 Depth=1
	s_or_b32 exec_lo, exec_lo, s16
	v_dual_add_nc_u32 v35, 4, v35 :: v_dual_add_nc_u32 v33, 64, v33
	v_add_nc_u64_e32 v[26:27], 16, v[26:27]
	v_add_nc_u32_e32 v34, 0x100, v34
	s_delay_alu instid0(VALU_DEP_3) | instskip(SKIP_1) | instid1(SALU_CYCLE_1)
	v_cmp_ge_i32_e64 s2, v35, v50
	s_or_b32 s7, s2, s7
	s_and_not1_b32 exec_lo, exec_lo, s7
	s_cbranch_execz .LBB270_779
.LBB270_9:                              ; =>This Inner Loop Header: Depth=1
	flat_load_b32 v0, v[26:27]
	v_dual_mov_b32 v37, 0 :: v_dual_mov_b32 v51, 0
	s_mov_b32 s16, exec_lo
	s_wait_loadcnt_dscnt 0x0
	v_mad_nc_i64_i32 v[28:29], v0, v18, v[4:5]
	flat_load_b32 v8, v[28:29]
	flat_load_b32 v36, v[20:21]
	s_wait_loadcnt_dscnt 0x101
	v_and_b32_e32 v0, 0xff, v8
	s_wait_xcnt 0x0
	s_delay_alu instid0(VALU_DEP_1)
	v_cmpx_ne_u16_e32 0, v0
	s_cbranch_execz .LBB270_17
; %bb.10:                               ;   in Loop: Header=BB270_9 Depth=1
	v_mov_b32_e32 v51, 0x8000
	s_mov_b32 s17, exec_lo
	v_cmpx_ne_u16_e32 0x80, v0
	s_cbranch_execz .LBB270_16
; %bb.11:                               ;   in Loop: Header=BB270_9 Depth=1
	v_and_b32_e32 v2, 0x7f, v8
	v_mov_b32_e32 v51, 0x7c01
	s_mov_b32 s18, exec_lo
	s_delay_alu instid0(VALU_DEP_2)
	v_cmpx_ne_u32_e32 0x7f, v2
	s_cbranch_execz .LBB270_15
; %bb.12:                               ;   in Loop: Header=BB270_9 Depth=1
	v_dual_lshrrev_b32 v1, 3, v2 :: v_dual_bitop2_b32 v0, 7, v8 bitop3:0x40
	s_mov_b32 s19, exec_lo
	v_cmpx_gt_u32_e32 8, v2
; %bb.13:                               ;   in Loop: Header=BB270_9 Depth=1
	s_delay_alu instid0(VALU_DEP_2) | instskip(NEXT) | instid1(VALU_DEP_1)
	v_clz_i32_u32_e32 v0, v0
	v_min_u32_e32 v2, 32, v0
	s_delay_alu instid0(VALU_DEP_1) | instskip(NEXT) | instid1(VALU_DEP_1)
	v_subrev_nc_u32_e32 v0, 28, v2
	v_lshlrev_b64_e32 v[0:1], v0, v[8:9]
	s_delay_alu instid0(VALU_DEP_1)
	v_dual_sub_nc_u32 v1, 29, v2 :: v_dual_bitop2_b32 v0, 7, v0 bitop3:0x40
; %bb.14:                               ;   in Loop: Header=BB270_9 Depth=1
	s_or_b32 exec_lo, exec_lo, s19
	v_lshlrev_b32_e32 v2, 8, v8
	s_delay_alu instid0(VALU_DEP_2) | instskip(NEXT) | instid1(VALU_DEP_3)
	v_lshl_add_u32 v1, v1, 10, 0x2000
	v_lshlrev_b32_e32 v0, 7, v0
	s_delay_alu instid0(VALU_DEP_3) | instskip(NEXT) | instid1(VALU_DEP_3)
	v_and_b32_e32 v2, 0x8000, v2
	v_and_b32_e32 v1, 0xfc00, v1
	s_delay_alu instid0(VALU_DEP_1)
	v_or3_b32 v51, v2, v1, v0
.LBB270_15:                             ;   in Loop: Header=BB270_9 Depth=1
	s_or_b32 exec_lo, exec_lo, s18
.LBB270_16:                             ;   in Loop: Header=BB270_9 Depth=1
	s_delay_alu instid0(SALU_CYCLE_1)
	s_or_b32 exec_lo, exec_lo, s17
.LBB270_17:                             ;   in Loop: Header=BB270_9 Depth=1
	s_delay_alu instid0(SALU_CYCLE_1) | instskip(SKIP_2) | instid1(VALU_DEP_1)
	s_or_b32 exec_lo, exec_lo, s16
	v_lshrrev_b16 v24, 8, v8
	s_mov_b32 s16, exec_lo
	v_cmpx_ne_u16_e32 0, v24
	s_cbranch_execz .LBB270_25
; %bb.18:                               ;   in Loop: Header=BB270_9 Depth=1
	v_bfrev_b32_e32 v37, 1
	s_mov_b32 s17, exec_lo
	v_cmpx_ne_u16_e32 0x80, v24
	s_cbranch_execz .LBB270_24
; %bb.19:                               ;   in Loop: Header=BB270_9 Depth=1
	v_and_b32_e32 v0, 0xffff, v24
	v_mov_b32_e32 v37, 0x7c010000
	s_mov_b32 s18, exec_lo
	s_delay_alu instid0(VALU_DEP_2) | instskip(NEXT) | instid1(VALU_DEP_1)
	v_and_b32_e32 v3, 0x7f, v0
	v_cmpx_ne_u32_e32 0x7f, v3
	s_cbranch_execz .LBB270_23
; %bb.20:                               ;   in Loop: Header=BB270_9 Depth=1
	v_dual_lshrrev_b32 v2, 3, v3 :: v_dual_bitop2_b32 v1, 7, v0 bitop3:0x40
	s_mov_b32 s19, exec_lo
	v_cmpx_gt_u32_e32 8, v3
; %bb.21:                               ;   in Loop: Header=BB270_9 Depth=1
	s_delay_alu instid0(VALU_DEP_2) | instskip(NEXT) | instid1(VALU_DEP_1)
	v_clz_i32_u32_e32 v1, v1
	v_min_u32_e32 v1, 32, v1
	s_delay_alu instid0(VALU_DEP_1) | instskip(NEXT) | instid1(VALU_DEP_1)
	v_subrev_nc_u32_e32 v2, 28, v1
	v_lshlrev_b64_e32 v[6:7], v2, v[24:25]
	s_delay_alu instid0(VALU_DEP_1)
	v_dual_sub_nc_u32 v2, 29, v1 :: v_dual_bitop2_b32 v1, 7, v6 bitop3:0x40
; %bb.22:                               ;   in Loop: Header=BB270_9 Depth=1
	s_or_b32 exec_lo, exec_lo, s19
	s_delay_alu instid0(VALU_DEP_1) | instskip(NEXT) | instid1(VALU_DEP_2)
	v_dual_lshlrev_b32 v0, 8, v0 :: v_dual_lshlrev_b32 v1, 23, v1
	v_lshl_add_u32 v2, v2, 10, 0x2000
	s_delay_alu instid0(VALU_DEP_1) | instskip(NEXT) | instid1(VALU_DEP_1)
	v_and_or_b32 v0, 0x8000, v0, v2
	v_lshl_or_b32 v37, v0, 16, v1
.LBB270_23:                             ;   in Loop: Header=BB270_9 Depth=1
	s_or_b32 exec_lo, exec_lo, s18
.LBB270_24:                             ;   in Loop: Header=BB270_9 Depth=1
	s_delay_alu instid0(SALU_CYCLE_1)
	s_or_b32 exec_lo, exec_lo, s17
.LBB270_25:                             ;   in Loop: Header=BB270_9 Depth=1
	s_delay_alu instid0(SALU_CYCLE_1) | instskip(SKIP_3) | instid1(VALU_DEP_2)
	s_or_b32 exec_lo, exec_lo, s16
	v_dual_lshrrev_b32 v24, 16, v8 :: v_dual_mov_b32 v52, 0
	v_mov_b32_e32 v53, 0
	s_mov_b32 s16, exec_lo
	v_and_b32_e32 v0, 0xff, v24
	s_delay_alu instid0(VALU_DEP_1)
	v_cmpx_ne_u16_e32 0, v0
	s_cbranch_execz .LBB270_33
; %bb.26:                               ;   in Loop: Header=BB270_9 Depth=1
	v_mov_b32_e32 v53, 0x8000
	s_mov_b32 s17, exec_lo
	v_cmpx_ne_u16_e32 0x80, v0
	s_cbranch_execz .LBB270_32
; %bb.27:                               ;   in Loop: Header=BB270_9 Depth=1
	v_bfe_u32 v2, v8, 16, 7
	v_mov_b32_e32 v53, 0x7c01
	s_mov_b32 s18, exec_lo
	s_delay_alu instid0(VALU_DEP_2)
	v_cmpx_ne_u32_e32 0x7f, v2
	s_cbranch_execz .LBB270_31
; %bb.28:                               ;   in Loop: Header=BB270_9 Depth=1
	v_dual_lshrrev_b32 v1, 3, v2 :: v_dual_bitop2_b32 v0, 7, v24 bitop3:0x40
	s_mov_b32 s19, exec_lo
	v_cmpx_gt_u32_e32 8, v2
; %bb.29:                               ;   in Loop: Header=BB270_9 Depth=1
	s_delay_alu instid0(VALU_DEP_2) | instskip(NEXT) | instid1(VALU_DEP_1)
	v_clz_i32_u32_e32 v0, v0
	v_min_u32_e32 v2, 32, v0
	s_delay_alu instid0(VALU_DEP_1) | instskip(NEXT) | instid1(VALU_DEP_1)
	v_subrev_nc_u32_e32 v0, 28, v2
	v_lshlrev_b64_e32 v[0:1], v0, v[24:25]
	s_delay_alu instid0(VALU_DEP_1)
	v_dual_sub_nc_u32 v1, 29, v2 :: v_dual_bitop2_b32 v0, 7, v0 bitop3:0x40
; %bb.30:                               ;   in Loop: Header=BB270_9 Depth=1
	s_or_b32 exec_lo, exec_lo, s19
	v_lshlrev_b32_e32 v2, 8, v24
	s_delay_alu instid0(VALU_DEP_2) | instskip(NEXT) | instid1(VALU_DEP_3)
	v_lshl_add_u32 v1, v1, 10, 0x2000
	v_lshlrev_b32_e32 v0, 7, v0
	s_delay_alu instid0(VALU_DEP_3) | instskip(NEXT) | instid1(VALU_DEP_3)
	v_and_b32_e32 v2, 0x8000, v2
	v_and_b32_e32 v1, 0xfc00, v1
	s_delay_alu instid0(VALU_DEP_1)
	v_or3_b32 v53, v2, v1, v0
.LBB270_31:                             ;   in Loop: Header=BB270_9 Depth=1
	s_or_b32 exec_lo, exec_lo, s18
.LBB270_32:                             ;   in Loop: Header=BB270_9 Depth=1
	s_delay_alu instid0(SALU_CYCLE_1)
	s_or_b32 exec_lo, exec_lo, s17
.LBB270_33:                             ;   in Loop: Header=BB270_9 Depth=1
	s_delay_alu instid0(SALU_CYCLE_1) | instskip(NEXT) | instid1(SALU_CYCLE_1)
	s_or_b32 exec_lo, exec_lo, s16
	s_mov_b32 s16, exec_lo
	v_cmpx_lt_u32_e32 0xffffff, v8
	s_cbranch_execz .LBB270_41
; %bb.34:                               ;   in Loop: Header=BB270_9 Depth=1
	v_lshrrev_b32_e32 v24, 24, v8
	v_bfrev_b32_e32 v52, 1
	s_mov_b32 s17, exec_lo
	s_delay_alu instid0(VALU_DEP_2)
	v_cmpx_ne_u32_e32 0x80, v24
	s_cbranch_execz .LBB270_40
; %bb.35:                               ;   in Loop: Header=BB270_9 Depth=1
	v_and_b32_e32 v2, 0x7f, v24
	v_mov_b32_e32 v52, 0x7c010000
	s_mov_b32 s18, exec_lo
	s_delay_alu instid0(VALU_DEP_2)
	v_cmpx_ne_u32_e32 0x7f, v2
	s_cbranch_execz .LBB270_39
; %bb.36:                               ;   in Loop: Header=BB270_9 Depth=1
	v_dual_lshrrev_b32 v1, 3, v2 :: v_dual_bitop2_b32 v0, 7, v24 bitop3:0x40
	s_mov_b32 s19, exec_lo
	v_cmpx_gt_u32_e32 8, v2
; %bb.37:                               ;   in Loop: Header=BB270_9 Depth=1
	s_delay_alu instid0(VALU_DEP_2) | instskip(NEXT) | instid1(VALU_DEP_1)
	v_clz_i32_u32_e32 v0, v0
	v_min_u32_e32 v2, 32, v0
	s_delay_alu instid0(VALU_DEP_1) | instskip(NEXT) | instid1(VALU_DEP_1)
	v_subrev_nc_u32_e32 v0, 28, v2
	v_lshlrev_b64_e32 v[0:1], v0, v[24:25]
	s_delay_alu instid0(VALU_DEP_1)
	v_dual_sub_nc_u32 v1, 29, v2 :: v_dual_bitop2_b32 v0, 7, v0 bitop3:0x40
; %bb.38:                               ;   in Loop: Header=BB270_9 Depth=1
	s_or_b32 exec_lo, exec_lo, s19
	v_lshlrev_b32_e32 v2, 8, v24
	s_delay_alu instid0(VALU_DEP_2) | instskip(NEXT) | instid1(VALU_DEP_3)
	v_lshl_add_u32 v1, v1, 10, 0x2000
	v_lshlrev_b32_e32 v0, 23, v0
	s_delay_alu instid0(VALU_DEP_2) | instskip(NEXT) | instid1(VALU_DEP_1)
	v_and_or_b32 v1, 0x8000, v2, v1
	v_lshl_or_b32 v52, v1, 16, v0
.LBB270_39:                             ;   in Loop: Header=BB270_9 Depth=1
	s_or_b32 exec_lo, exec_lo, s18
.LBB270_40:                             ;   in Loop: Header=BB270_9 Depth=1
	s_delay_alu instid0(SALU_CYCLE_1)
	s_or_b32 exec_lo, exec_lo, s17
.LBB270_41:                             ;   in Loop: Header=BB270_9 Depth=1
	s_delay_alu instid0(SALU_CYCLE_1)
	s_or_b32 exec_lo, exec_lo, s16
	flat_load_b32 v8, v[28:29] offset:8
	v_dual_mov_b32 v54, 0 :: v_dual_mov_b32 v55, 0
	s_mov_b32 s16, exec_lo
	s_wait_loadcnt_dscnt 0x0
	v_and_b32_e32 v0, 0xff, v8
	s_wait_xcnt 0x0
	s_delay_alu instid0(VALU_DEP_1)
	v_cmpx_ne_u16_e32 0, v0
	s_cbranch_execz .LBB270_49
; %bb.42:                               ;   in Loop: Header=BB270_9 Depth=1
	v_mov_b32_e32 v55, 0x8000
	s_mov_b32 s17, exec_lo
	v_cmpx_ne_u16_e32 0x80, v0
	s_cbranch_execz .LBB270_48
; %bb.43:                               ;   in Loop: Header=BB270_9 Depth=1
	v_and_b32_e32 v2, 0x7f, v8
	v_mov_b32_e32 v55, 0x7c01
	s_mov_b32 s18, exec_lo
	s_delay_alu instid0(VALU_DEP_2)
	v_cmpx_ne_u32_e32 0x7f, v2
	s_cbranch_execz .LBB270_47
; %bb.44:                               ;   in Loop: Header=BB270_9 Depth=1
	v_dual_lshrrev_b32 v1, 3, v2 :: v_dual_bitop2_b32 v0, 7, v8 bitop3:0x40
	s_mov_b32 s19, exec_lo
	v_cmpx_gt_u32_e32 8, v2
; %bb.45:                               ;   in Loop: Header=BB270_9 Depth=1
	s_delay_alu instid0(VALU_DEP_2) | instskip(NEXT) | instid1(VALU_DEP_1)
	v_clz_i32_u32_e32 v0, v0
	v_min_u32_e32 v2, 32, v0
	s_delay_alu instid0(VALU_DEP_1) | instskip(NEXT) | instid1(VALU_DEP_1)
	v_subrev_nc_u32_e32 v0, 28, v2
	v_lshlrev_b64_e32 v[0:1], v0, v[8:9]
	s_delay_alu instid0(VALU_DEP_1)
	v_dual_sub_nc_u32 v1, 29, v2 :: v_dual_bitop2_b32 v0, 7, v0 bitop3:0x40
; %bb.46:                               ;   in Loop: Header=BB270_9 Depth=1
	s_or_b32 exec_lo, exec_lo, s19
	v_lshlrev_b32_e32 v2, 8, v8
	s_delay_alu instid0(VALU_DEP_2) | instskip(NEXT) | instid1(VALU_DEP_3)
	v_lshl_add_u32 v1, v1, 10, 0x2000
	v_lshlrev_b32_e32 v0, 7, v0
	s_delay_alu instid0(VALU_DEP_3) | instskip(NEXT) | instid1(VALU_DEP_3)
	v_and_b32_e32 v2, 0x8000, v2
	v_and_b32_e32 v1, 0xfc00, v1
	s_delay_alu instid0(VALU_DEP_1)
	v_or3_b32 v55, v2, v1, v0
.LBB270_47:                             ;   in Loop: Header=BB270_9 Depth=1
	s_or_b32 exec_lo, exec_lo, s18
.LBB270_48:                             ;   in Loop: Header=BB270_9 Depth=1
	s_delay_alu instid0(SALU_CYCLE_1)
	s_or_b32 exec_lo, exec_lo, s17
.LBB270_49:                             ;   in Loop: Header=BB270_9 Depth=1
	s_delay_alu instid0(SALU_CYCLE_1) | instskip(SKIP_2) | instid1(VALU_DEP_1)
	s_or_b32 exec_lo, exec_lo, s16
	v_lshrrev_b16 v24, 8, v8
	s_mov_b32 s16, exec_lo
	v_cmpx_ne_u16_e32 0, v24
	s_cbranch_execz .LBB270_57
; %bb.50:                               ;   in Loop: Header=BB270_9 Depth=1
	v_bfrev_b32_e32 v54, 1
	s_mov_b32 s17, exec_lo
	v_cmpx_ne_u16_e32 0x80, v24
	s_cbranch_execz .LBB270_56
; %bb.51:                               ;   in Loop: Header=BB270_9 Depth=1
	v_and_b32_e32 v0, 0xffff, v24
	v_mov_b32_e32 v54, 0x7c010000
	s_mov_b32 s18, exec_lo
	s_delay_alu instid0(VALU_DEP_2) | instskip(NEXT) | instid1(VALU_DEP_1)
	v_and_b32_e32 v3, 0x7f, v0
	v_cmpx_ne_u32_e32 0x7f, v3
	s_cbranch_execz .LBB270_55
; %bb.52:                               ;   in Loop: Header=BB270_9 Depth=1
	v_dual_lshrrev_b32 v2, 3, v3 :: v_dual_bitop2_b32 v1, 7, v0 bitop3:0x40
	s_mov_b32 s19, exec_lo
	v_cmpx_gt_u32_e32 8, v3
; %bb.53:                               ;   in Loop: Header=BB270_9 Depth=1
	s_delay_alu instid0(VALU_DEP_2) | instskip(NEXT) | instid1(VALU_DEP_1)
	v_clz_i32_u32_e32 v1, v1
	v_min_u32_e32 v1, 32, v1
	s_delay_alu instid0(VALU_DEP_1) | instskip(NEXT) | instid1(VALU_DEP_1)
	v_subrev_nc_u32_e32 v2, 28, v1
	v_lshlrev_b64_e32 v[6:7], v2, v[24:25]
	s_delay_alu instid0(VALU_DEP_1)
	v_dual_sub_nc_u32 v2, 29, v1 :: v_dual_bitop2_b32 v1, 7, v6 bitop3:0x40
; %bb.54:                               ;   in Loop: Header=BB270_9 Depth=1
	s_or_b32 exec_lo, exec_lo, s19
	s_delay_alu instid0(VALU_DEP_1) | instskip(NEXT) | instid1(VALU_DEP_2)
	v_dual_lshlrev_b32 v0, 8, v0 :: v_dual_lshlrev_b32 v1, 23, v1
	v_lshl_add_u32 v2, v2, 10, 0x2000
	s_delay_alu instid0(VALU_DEP_1) | instskip(NEXT) | instid1(VALU_DEP_1)
	v_and_or_b32 v0, 0x8000, v0, v2
	v_lshl_or_b32 v54, v0, 16, v1
.LBB270_55:                             ;   in Loop: Header=BB270_9 Depth=1
	s_or_b32 exec_lo, exec_lo, s18
.LBB270_56:                             ;   in Loop: Header=BB270_9 Depth=1
	s_delay_alu instid0(SALU_CYCLE_1)
	s_or_b32 exec_lo, exec_lo, s17
.LBB270_57:                             ;   in Loop: Header=BB270_9 Depth=1
	s_delay_alu instid0(SALU_CYCLE_1) | instskip(SKIP_3) | instid1(VALU_DEP_2)
	s_or_b32 exec_lo, exec_lo, s16
	v_dual_lshrrev_b32 v24, 16, v8 :: v_dual_mov_b32 v64, 0
	v_mov_b32_e32 v65, 0
	s_mov_b32 s16, exec_lo
	v_and_b32_e32 v0, 0xff, v24
	s_delay_alu instid0(VALU_DEP_1)
	v_cmpx_ne_u16_e32 0, v0
	s_cbranch_execz .LBB270_65
; %bb.58:                               ;   in Loop: Header=BB270_9 Depth=1
	v_mov_b32_e32 v65, 0x8000
	s_mov_b32 s17, exec_lo
	v_cmpx_ne_u16_e32 0x80, v0
	s_cbranch_execz .LBB270_64
; %bb.59:                               ;   in Loop: Header=BB270_9 Depth=1
	v_bfe_u32 v2, v8, 16, 7
	v_mov_b32_e32 v65, 0x7c01
	s_mov_b32 s18, exec_lo
	s_delay_alu instid0(VALU_DEP_2)
	v_cmpx_ne_u32_e32 0x7f, v2
	s_cbranch_execz .LBB270_63
; %bb.60:                               ;   in Loop: Header=BB270_9 Depth=1
	v_dual_lshrrev_b32 v1, 3, v2 :: v_dual_bitop2_b32 v0, 7, v24 bitop3:0x40
	s_mov_b32 s19, exec_lo
	v_cmpx_gt_u32_e32 8, v2
; %bb.61:                               ;   in Loop: Header=BB270_9 Depth=1
	s_delay_alu instid0(VALU_DEP_2) | instskip(NEXT) | instid1(VALU_DEP_1)
	v_clz_i32_u32_e32 v0, v0
	v_min_u32_e32 v2, 32, v0
	s_delay_alu instid0(VALU_DEP_1) | instskip(NEXT) | instid1(VALU_DEP_1)
	v_subrev_nc_u32_e32 v0, 28, v2
	v_lshlrev_b64_e32 v[0:1], v0, v[24:25]
	s_delay_alu instid0(VALU_DEP_1)
	v_dual_sub_nc_u32 v1, 29, v2 :: v_dual_bitop2_b32 v0, 7, v0 bitop3:0x40
; %bb.62:                               ;   in Loop: Header=BB270_9 Depth=1
	s_or_b32 exec_lo, exec_lo, s19
	v_lshlrev_b32_e32 v2, 8, v24
	s_delay_alu instid0(VALU_DEP_2) | instskip(NEXT) | instid1(VALU_DEP_3)
	v_lshl_add_u32 v1, v1, 10, 0x2000
	v_lshlrev_b32_e32 v0, 7, v0
	s_delay_alu instid0(VALU_DEP_3) | instskip(NEXT) | instid1(VALU_DEP_3)
	v_and_b32_e32 v2, 0x8000, v2
	v_and_b32_e32 v1, 0xfc00, v1
	s_delay_alu instid0(VALU_DEP_1)
	v_or3_b32 v65, v2, v1, v0
.LBB270_63:                             ;   in Loop: Header=BB270_9 Depth=1
	s_or_b32 exec_lo, exec_lo, s18
.LBB270_64:                             ;   in Loop: Header=BB270_9 Depth=1
	s_delay_alu instid0(SALU_CYCLE_1)
	s_or_b32 exec_lo, exec_lo, s17
.LBB270_65:                             ;   in Loop: Header=BB270_9 Depth=1
	s_delay_alu instid0(SALU_CYCLE_1) | instskip(NEXT) | instid1(SALU_CYCLE_1)
	s_or_b32 exec_lo, exec_lo, s16
	s_mov_b32 s16, exec_lo
	v_cmpx_lt_u32_e32 0xffffff, v8
	s_cbranch_execz .LBB270_73
; %bb.66:                               ;   in Loop: Header=BB270_9 Depth=1
	v_lshrrev_b32_e32 v24, 24, v8
	v_bfrev_b32_e32 v64, 1
	s_mov_b32 s17, exec_lo
	s_delay_alu instid0(VALU_DEP_2)
	v_cmpx_ne_u32_e32 0x80, v24
	s_cbranch_execz .LBB270_72
; %bb.67:                               ;   in Loop: Header=BB270_9 Depth=1
	v_and_b32_e32 v2, 0x7f, v24
	v_mov_b32_e32 v64, 0x7c010000
	s_mov_b32 s18, exec_lo
	s_delay_alu instid0(VALU_DEP_2)
	v_cmpx_ne_u32_e32 0x7f, v2
	s_cbranch_execz .LBB270_71
; %bb.68:                               ;   in Loop: Header=BB270_9 Depth=1
	v_dual_lshrrev_b32 v1, 3, v2 :: v_dual_bitop2_b32 v0, 7, v24 bitop3:0x40
	s_mov_b32 s19, exec_lo
	v_cmpx_gt_u32_e32 8, v2
; %bb.69:                               ;   in Loop: Header=BB270_9 Depth=1
	s_delay_alu instid0(VALU_DEP_2) | instskip(NEXT) | instid1(VALU_DEP_1)
	v_clz_i32_u32_e32 v0, v0
	v_min_u32_e32 v2, 32, v0
	s_delay_alu instid0(VALU_DEP_1) | instskip(NEXT) | instid1(VALU_DEP_1)
	v_subrev_nc_u32_e32 v0, 28, v2
	v_lshlrev_b64_e32 v[0:1], v0, v[24:25]
	s_delay_alu instid0(VALU_DEP_1)
	v_dual_sub_nc_u32 v1, 29, v2 :: v_dual_bitop2_b32 v0, 7, v0 bitop3:0x40
; %bb.70:                               ;   in Loop: Header=BB270_9 Depth=1
	s_or_b32 exec_lo, exec_lo, s19
	v_lshlrev_b32_e32 v2, 8, v24
	s_delay_alu instid0(VALU_DEP_2) | instskip(NEXT) | instid1(VALU_DEP_3)
	v_lshl_add_u32 v1, v1, 10, 0x2000
	v_lshlrev_b32_e32 v0, 23, v0
	s_delay_alu instid0(VALU_DEP_2) | instskip(NEXT) | instid1(VALU_DEP_1)
	v_and_or_b32 v1, 0x8000, v2, v1
	v_lshl_or_b32 v64, v1, 16, v0
.LBB270_71:                             ;   in Loop: Header=BB270_9 Depth=1
	s_or_b32 exec_lo, exec_lo, s18
.LBB270_72:                             ;   in Loop: Header=BB270_9 Depth=1
	s_delay_alu instid0(SALU_CYCLE_1)
	s_or_b32 exec_lo, exec_lo, s17
.LBB270_73:                             ;   in Loop: Header=BB270_9 Depth=1
	s_delay_alu instid0(SALU_CYCLE_1)
	s_or_b32 exec_lo, exec_lo, s16
	flat_load_b32 v8, v[28:29] offset:256
	v_dual_mov_b32 v66, 0 :: v_dual_mov_b32 v67, 0
	s_mov_b32 s16, exec_lo
	s_wait_loadcnt_dscnt 0x0
	v_and_b32_e32 v0, 0xff, v8
	s_wait_xcnt 0x0
	s_delay_alu instid0(VALU_DEP_1)
	v_cmpx_ne_u16_e32 0, v0
	s_cbranch_execz .LBB270_81
; %bb.74:                               ;   in Loop: Header=BB270_9 Depth=1
	v_mov_b32_e32 v67, 0x8000
	s_mov_b32 s17, exec_lo
	v_cmpx_ne_u16_e32 0x80, v0
	s_cbranch_execz .LBB270_80
; %bb.75:                               ;   in Loop: Header=BB270_9 Depth=1
	v_and_b32_e32 v2, 0x7f, v8
	v_mov_b32_e32 v67, 0x7c01
	s_mov_b32 s18, exec_lo
	s_delay_alu instid0(VALU_DEP_2)
	v_cmpx_ne_u32_e32 0x7f, v2
	s_cbranch_execz .LBB270_79
; %bb.76:                               ;   in Loop: Header=BB270_9 Depth=1
	v_dual_lshrrev_b32 v1, 3, v2 :: v_dual_bitop2_b32 v0, 7, v8 bitop3:0x40
	s_mov_b32 s19, exec_lo
	v_cmpx_gt_u32_e32 8, v2
; %bb.77:                               ;   in Loop: Header=BB270_9 Depth=1
	s_delay_alu instid0(VALU_DEP_2) | instskip(NEXT) | instid1(VALU_DEP_1)
	v_clz_i32_u32_e32 v0, v0
	v_min_u32_e32 v2, 32, v0
	s_delay_alu instid0(VALU_DEP_1) | instskip(NEXT) | instid1(VALU_DEP_1)
	v_subrev_nc_u32_e32 v0, 28, v2
	v_lshlrev_b64_e32 v[0:1], v0, v[8:9]
	s_delay_alu instid0(VALU_DEP_1)
	v_dual_sub_nc_u32 v1, 29, v2 :: v_dual_bitop2_b32 v0, 7, v0 bitop3:0x40
; %bb.78:                               ;   in Loop: Header=BB270_9 Depth=1
	s_or_b32 exec_lo, exec_lo, s19
	v_lshlrev_b32_e32 v2, 8, v8
	s_delay_alu instid0(VALU_DEP_2) | instskip(NEXT) | instid1(VALU_DEP_3)
	v_lshl_add_u32 v1, v1, 10, 0x2000
	v_lshlrev_b32_e32 v0, 7, v0
	s_delay_alu instid0(VALU_DEP_3) | instskip(NEXT) | instid1(VALU_DEP_3)
	v_and_b32_e32 v2, 0x8000, v2
	v_and_b32_e32 v1, 0xfc00, v1
	s_delay_alu instid0(VALU_DEP_1)
	v_or3_b32 v67, v2, v1, v0
.LBB270_79:                             ;   in Loop: Header=BB270_9 Depth=1
	s_or_b32 exec_lo, exec_lo, s18
.LBB270_80:                             ;   in Loop: Header=BB270_9 Depth=1
	s_delay_alu instid0(SALU_CYCLE_1)
	s_or_b32 exec_lo, exec_lo, s17
.LBB270_81:                             ;   in Loop: Header=BB270_9 Depth=1
	s_delay_alu instid0(SALU_CYCLE_1) | instskip(SKIP_2) | instid1(VALU_DEP_1)
	s_or_b32 exec_lo, exec_lo, s16
	v_lshrrev_b16 v24, 8, v8
	s_mov_b32 s16, exec_lo
	v_cmpx_ne_u16_e32 0, v24
	s_cbranch_execz .LBB270_89
; %bb.82:                               ;   in Loop: Header=BB270_9 Depth=1
	v_bfrev_b32_e32 v66, 1
	s_mov_b32 s17, exec_lo
	v_cmpx_ne_u16_e32 0x80, v24
	s_cbranch_execz .LBB270_88
; %bb.83:                               ;   in Loop: Header=BB270_9 Depth=1
	v_and_b32_e32 v0, 0xffff, v24
	v_mov_b32_e32 v66, 0x7c010000
	s_mov_b32 s18, exec_lo
	s_delay_alu instid0(VALU_DEP_2) | instskip(NEXT) | instid1(VALU_DEP_1)
	v_and_b32_e32 v3, 0x7f, v0
	v_cmpx_ne_u32_e32 0x7f, v3
	s_cbranch_execz .LBB270_87
; %bb.84:                               ;   in Loop: Header=BB270_9 Depth=1
	v_dual_lshrrev_b32 v2, 3, v3 :: v_dual_bitop2_b32 v1, 7, v0 bitop3:0x40
	s_mov_b32 s19, exec_lo
	v_cmpx_gt_u32_e32 8, v3
; %bb.85:                               ;   in Loop: Header=BB270_9 Depth=1
	s_delay_alu instid0(VALU_DEP_2) | instskip(NEXT) | instid1(VALU_DEP_1)
	v_clz_i32_u32_e32 v1, v1
	v_min_u32_e32 v1, 32, v1
	s_delay_alu instid0(VALU_DEP_1) | instskip(NEXT) | instid1(VALU_DEP_1)
	v_subrev_nc_u32_e32 v2, 28, v1
	v_lshlrev_b64_e32 v[6:7], v2, v[24:25]
	s_delay_alu instid0(VALU_DEP_1)
	v_dual_sub_nc_u32 v2, 29, v1 :: v_dual_bitop2_b32 v1, 7, v6 bitop3:0x40
; %bb.86:                               ;   in Loop: Header=BB270_9 Depth=1
	s_or_b32 exec_lo, exec_lo, s19
	s_delay_alu instid0(VALU_DEP_1) | instskip(NEXT) | instid1(VALU_DEP_2)
	v_dual_lshlrev_b32 v0, 8, v0 :: v_dual_lshlrev_b32 v1, 23, v1
	v_lshl_add_u32 v2, v2, 10, 0x2000
	s_delay_alu instid0(VALU_DEP_1) | instskip(NEXT) | instid1(VALU_DEP_1)
	v_and_or_b32 v0, 0x8000, v0, v2
	v_lshl_or_b32 v66, v0, 16, v1
.LBB270_87:                             ;   in Loop: Header=BB270_9 Depth=1
	s_or_b32 exec_lo, exec_lo, s18
.LBB270_88:                             ;   in Loop: Header=BB270_9 Depth=1
	s_delay_alu instid0(SALU_CYCLE_1)
	s_or_b32 exec_lo, exec_lo, s17
.LBB270_89:                             ;   in Loop: Header=BB270_9 Depth=1
	s_delay_alu instid0(SALU_CYCLE_1) | instskip(SKIP_3) | instid1(VALU_DEP_2)
	s_or_b32 exec_lo, exec_lo, s16
	v_dual_lshrrev_b32 v24, 16, v8 :: v_dual_mov_b32 v68, 0
	v_mov_b32_e32 v69, 0
	s_mov_b32 s16, exec_lo
	v_and_b32_e32 v0, 0xff, v24
	s_delay_alu instid0(VALU_DEP_1)
	v_cmpx_ne_u16_e32 0, v0
	s_cbranch_execz .LBB270_97
; %bb.90:                               ;   in Loop: Header=BB270_9 Depth=1
	v_mov_b32_e32 v69, 0x8000
	s_mov_b32 s17, exec_lo
	v_cmpx_ne_u16_e32 0x80, v0
	s_cbranch_execz .LBB270_96
; %bb.91:                               ;   in Loop: Header=BB270_9 Depth=1
	v_bfe_u32 v2, v8, 16, 7
	v_mov_b32_e32 v69, 0x7c01
	s_mov_b32 s18, exec_lo
	s_delay_alu instid0(VALU_DEP_2)
	v_cmpx_ne_u32_e32 0x7f, v2
	s_cbranch_execz .LBB270_95
; %bb.92:                               ;   in Loop: Header=BB270_9 Depth=1
	v_dual_lshrrev_b32 v1, 3, v2 :: v_dual_bitop2_b32 v0, 7, v24 bitop3:0x40
	s_mov_b32 s19, exec_lo
	v_cmpx_gt_u32_e32 8, v2
; %bb.93:                               ;   in Loop: Header=BB270_9 Depth=1
	s_delay_alu instid0(VALU_DEP_2) | instskip(NEXT) | instid1(VALU_DEP_1)
	v_clz_i32_u32_e32 v0, v0
	v_min_u32_e32 v2, 32, v0
	s_delay_alu instid0(VALU_DEP_1) | instskip(NEXT) | instid1(VALU_DEP_1)
	v_subrev_nc_u32_e32 v0, 28, v2
	v_lshlrev_b64_e32 v[0:1], v0, v[24:25]
	s_delay_alu instid0(VALU_DEP_1)
	v_dual_sub_nc_u32 v1, 29, v2 :: v_dual_bitop2_b32 v0, 7, v0 bitop3:0x40
; %bb.94:                               ;   in Loop: Header=BB270_9 Depth=1
	s_or_b32 exec_lo, exec_lo, s19
	v_lshlrev_b32_e32 v2, 8, v24
	s_delay_alu instid0(VALU_DEP_2) | instskip(NEXT) | instid1(VALU_DEP_3)
	v_lshl_add_u32 v1, v1, 10, 0x2000
	v_lshlrev_b32_e32 v0, 7, v0
	s_delay_alu instid0(VALU_DEP_3) | instskip(NEXT) | instid1(VALU_DEP_3)
	v_and_b32_e32 v2, 0x8000, v2
	v_and_b32_e32 v1, 0xfc00, v1
	s_delay_alu instid0(VALU_DEP_1)
	v_or3_b32 v69, v2, v1, v0
.LBB270_95:                             ;   in Loop: Header=BB270_9 Depth=1
	s_or_b32 exec_lo, exec_lo, s18
.LBB270_96:                             ;   in Loop: Header=BB270_9 Depth=1
	s_delay_alu instid0(SALU_CYCLE_1)
	s_or_b32 exec_lo, exec_lo, s17
.LBB270_97:                             ;   in Loop: Header=BB270_9 Depth=1
	s_delay_alu instid0(SALU_CYCLE_1) | instskip(NEXT) | instid1(SALU_CYCLE_1)
	s_or_b32 exec_lo, exec_lo, s16
	s_mov_b32 s16, exec_lo
	v_cmpx_lt_u32_e32 0xffffff, v8
	s_cbranch_execz .LBB270_105
; %bb.98:                               ;   in Loop: Header=BB270_9 Depth=1
	v_lshrrev_b32_e32 v24, 24, v8
	v_bfrev_b32_e32 v68, 1
	s_mov_b32 s17, exec_lo
	s_delay_alu instid0(VALU_DEP_2)
	v_cmpx_ne_u32_e32 0x80, v24
	s_cbranch_execz .LBB270_104
; %bb.99:                               ;   in Loop: Header=BB270_9 Depth=1
	v_and_b32_e32 v2, 0x7f, v24
	v_mov_b32_e32 v68, 0x7c010000
	s_mov_b32 s18, exec_lo
	s_delay_alu instid0(VALU_DEP_2)
	v_cmpx_ne_u32_e32 0x7f, v2
	s_cbranch_execz .LBB270_103
; %bb.100:                              ;   in Loop: Header=BB270_9 Depth=1
	v_dual_lshrrev_b32 v1, 3, v2 :: v_dual_bitop2_b32 v0, 7, v24 bitop3:0x40
	s_mov_b32 s19, exec_lo
	v_cmpx_gt_u32_e32 8, v2
; %bb.101:                              ;   in Loop: Header=BB270_9 Depth=1
	s_delay_alu instid0(VALU_DEP_2) | instskip(NEXT) | instid1(VALU_DEP_1)
	v_clz_i32_u32_e32 v0, v0
	v_min_u32_e32 v2, 32, v0
	s_delay_alu instid0(VALU_DEP_1) | instskip(NEXT) | instid1(VALU_DEP_1)
	v_subrev_nc_u32_e32 v0, 28, v2
	v_lshlrev_b64_e32 v[0:1], v0, v[24:25]
	s_delay_alu instid0(VALU_DEP_1)
	v_dual_sub_nc_u32 v1, 29, v2 :: v_dual_bitop2_b32 v0, 7, v0 bitop3:0x40
; %bb.102:                              ;   in Loop: Header=BB270_9 Depth=1
	s_or_b32 exec_lo, exec_lo, s19
	v_lshlrev_b32_e32 v2, 8, v24
	s_delay_alu instid0(VALU_DEP_2) | instskip(NEXT) | instid1(VALU_DEP_3)
	v_lshl_add_u32 v1, v1, 10, 0x2000
	v_lshlrev_b32_e32 v0, 23, v0
	s_delay_alu instid0(VALU_DEP_2) | instskip(NEXT) | instid1(VALU_DEP_1)
	v_and_or_b32 v1, 0x8000, v2, v1
	v_lshl_or_b32 v68, v1, 16, v0
.LBB270_103:                            ;   in Loop: Header=BB270_9 Depth=1
	s_or_b32 exec_lo, exec_lo, s18
.LBB270_104:                            ;   in Loop: Header=BB270_9 Depth=1
	s_delay_alu instid0(SALU_CYCLE_1)
	s_or_b32 exec_lo, exec_lo, s17
.LBB270_105:                            ;   in Loop: Header=BB270_9 Depth=1
	s_delay_alu instid0(SALU_CYCLE_1)
	s_or_b32 exec_lo, exec_lo, s16
	flat_load_b32 v8, v[28:29] offset:264
	v_dual_mov_b32 v70, 0 :: v_dual_mov_b32 v71, 0
	s_mov_b32 s16, exec_lo
	s_wait_loadcnt_dscnt 0x0
	v_and_b32_e32 v0, 0xff, v8
	s_wait_xcnt 0x0
	s_delay_alu instid0(VALU_DEP_1)
	v_cmpx_ne_u16_e32 0, v0
	s_cbranch_execz .LBB270_113
; %bb.106:                              ;   in Loop: Header=BB270_9 Depth=1
	v_mov_b32_e32 v71, 0x8000
	s_mov_b32 s17, exec_lo
	v_cmpx_ne_u16_e32 0x80, v0
	s_cbranch_execz .LBB270_112
; %bb.107:                              ;   in Loop: Header=BB270_9 Depth=1
	v_and_b32_e32 v2, 0x7f, v8
	v_mov_b32_e32 v71, 0x7c01
	s_mov_b32 s18, exec_lo
	s_delay_alu instid0(VALU_DEP_2)
	v_cmpx_ne_u32_e32 0x7f, v2
	s_cbranch_execz .LBB270_111
; %bb.108:                              ;   in Loop: Header=BB270_9 Depth=1
	v_dual_lshrrev_b32 v1, 3, v2 :: v_dual_bitop2_b32 v0, 7, v8 bitop3:0x40
	s_mov_b32 s19, exec_lo
	v_cmpx_gt_u32_e32 8, v2
; %bb.109:                              ;   in Loop: Header=BB270_9 Depth=1
	s_delay_alu instid0(VALU_DEP_2) | instskip(NEXT) | instid1(VALU_DEP_1)
	v_clz_i32_u32_e32 v0, v0
	v_min_u32_e32 v2, 32, v0
	s_delay_alu instid0(VALU_DEP_1) | instskip(NEXT) | instid1(VALU_DEP_1)
	v_subrev_nc_u32_e32 v0, 28, v2
	v_lshlrev_b64_e32 v[0:1], v0, v[8:9]
	s_delay_alu instid0(VALU_DEP_1)
	v_dual_sub_nc_u32 v1, 29, v2 :: v_dual_bitop2_b32 v0, 7, v0 bitop3:0x40
; %bb.110:                              ;   in Loop: Header=BB270_9 Depth=1
	s_or_b32 exec_lo, exec_lo, s19
	v_lshlrev_b32_e32 v2, 8, v8
	s_delay_alu instid0(VALU_DEP_2) | instskip(NEXT) | instid1(VALU_DEP_3)
	v_lshl_add_u32 v1, v1, 10, 0x2000
	v_lshlrev_b32_e32 v0, 7, v0
	s_delay_alu instid0(VALU_DEP_3) | instskip(NEXT) | instid1(VALU_DEP_3)
	v_and_b32_e32 v2, 0x8000, v2
	v_and_b32_e32 v1, 0xfc00, v1
	s_delay_alu instid0(VALU_DEP_1)
	v_or3_b32 v71, v2, v1, v0
.LBB270_111:                            ;   in Loop: Header=BB270_9 Depth=1
	s_or_b32 exec_lo, exec_lo, s18
.LBB270_112:                            ;   in Loop: Header=BB270_9 Depth=1
	s_delay_alu instid0(SALU_CYCLE_1)
	s_or_b32 exec_lo, exec_lo, s17
.LBB270_113:                            ;   in Loop: Header=BB270_9 Depth=1
	s_delay_alu instid0(SALU_CYCLE_1) | instskip(SKIP_2) | instid1(VALU_DEP_1)
	s_or_b32 exec_lo, exec_lo, s16
	v_lshrrev_b16 v24, 8, v8
	s_mov_b32 s16, exec_lo
	v_cmpx_ne_u16_e32 0, v24
	s_cbranch_execz .LBB270_121
; %bb.114:                              ;   in Loop: Header=BB270_9 Depth=1
	v_bfrev_b32_e32 v70, 1
	s_mov_b32 s17, exec_lo
	v_cmpx_ne_u16_e32 0x80, v24
	s_cbranch_execz .LBB270_120
; %bb.115:                              ;   in Loop: Header=BB270_9 Depth=1
	v_and_b32_e32 v0, 0xffff, v24
	v_mov_b32_e32 v70, 0x7c010000
	s_mov_b32 s18, exec_lo
	s_delay_alu instid0(VALU_DEP_2) | instskip(NEXT) | instid1(VALU_DEP_1)
	v_and_b32_e32 v3, 0x7f, v0
	v_cmpx_ne_u32_e32 0x7f, v3
	s_cbranch_execz .LBB270_119
; %bb.116:                              ;   in Loop: Header=BB270_9 Depth=1
	v_dual_lshrrev_b32 v2, 3, v3 :: v_dual_bitop2_b32 v1, 7, v0 bitop3:0x40
	s_mov_b32 s19, exec_lo
	v_cmpx_gt_u32_e32 8, v3
; %bb.117:                              ;   in Loop: Header=BB270_9 Depth=1
	s_delay_alu instid0(VALU_DEP_2) | instskip(NEXT) | instid1(VALU_DEP_1)
	v_clz_i32_u32_e32 v1, v1
	v_min_u32_e32 v1, 32, v1
	s_delay_alu instid0(VALU_DEP_1) | instskip(NEXT) | instid1(VALU_DEP_1)
	v_subrev_nc_u32_e32 v2, 28, v1
	v_lshlrev_b64_e32 v[6:7], v2, v[24:25]
	s_delay_alu instid0(VALU_DEP_1)
	v_dual_sub_nc_u32 v2, 29, v1 :: v_dual_bitop2_b32 v1, 7, v6 bitop3:0x40
; %bb.118:                              ;   in Loop: Header=BB270_9 Depth=1
	s_or_b32 exec_lo, exec_lo, s19
	s_delay_alu instid0(VALU_DEP_1) | instskip(NEXT) | instid1(VALU_DEP_2)
	v_dual_lshlrev_b32 v0, 8, v0 :: v_dual_lshlrev_b32 v1, 23, v1
	v_lshl_add_u32 v2, v2, 10, 0x2000
	s_delay_alu instid0(VALU_DEP_1) | instskip(NEXT) | instid1(VALU_DEP_1)
	v_and_or_b32 v0, 0x8000, v0, v2
	v_lshl_or_b32 v70, v0, 16, v1
.LBB270_119:                            ;   in Loop: Header=BB270_9 Depth=1
	s_or_b32 exec_lo, exec_lo, s18
.LBB270_120:                            ;   in Loop: Header=BB270_9 Depth=1
	s_delay_alu instid0(SALU_CYCLE_1)
	s_or_b32 exec_lo, exec_lo, s17
.LBB270_121:                            ;   in Loop: Header=BB270_9 Depth=1
	s_delay_alu instid0(SALU_CYCLE_1) | instskip(SKIP_3) | instid1(VALU_DEP_2)
	s_or_b32 exec_lo, exec_lo, s16
	v_dual_lshrrev_b32 v24, 16, v8 :: v_dual_mov_b32 v80, 0
	v_mov_b32_e32 v81, 0
	s_mov_b32 s16, exec_lo
	v_and_b32_e32 v0, 0xff, v24
	s_delay_alu instid0(VALU_DEP_1)
	v_cmpx_ne_u16_e32 0, v0
	s_cbranch_execz .LBB270_129
; %bb.122:                              ;   in Loop: Header=BB270_9 Depth=1
	v_mov_b32_e32 v81, 0x8000
	s_mov_b32 s17, exec_lo
	v_cmpx_ne_u16_e32 0x80, v0
	s_cbranch_execz .LBB270_128
; %bb.123:                              ;   in Loop: Header=BB270_9 Depth=1
	v_bfe_u32 v2, v8, 16, 7
	v_mov_b32_e32 v81, 0x7c01
	s_mov_b32 s18, exec_lo
	s_delay_alu instid0(VALU_DEP_2)
	v_cmpx_ne_u32_e32 0x7f, v2
	s_cbranch_execz .LBB270_127
; %bb.124:                              ;   in Loop: Header=BB270_9 Depth=1
	v_dual_lshrrev_b32 v1, 3, v2 :: v_dual_bitop2_b32 v0, 7, v24 bitop3:0x40
	s_mov_b32 s19, exec_lo
	v_cmpx_gt_u32_e32 8, v2
; %bb.125:                              ;   in Loop: Header=BB270_9 Depth=1
	s_delay_alu instid0(VALU_DEP_2) | instskip(NEXT) | instid1(VALU_DEP_1)
	v_clz_i32_u32_e32 v0, v0
	v_min_u32_e32 v2, 32, v0
	s_delay_alu instid0(VALU_DEP_1) | instskip(NEXT) | instid1(VALU_DEP_1)
	v_subrev_nc_u32_e32 v0, 28, v2
	v_lshlrev_b64_e32 v[0:1], v0, v[24:25]
	s_delay_alu instid0(VALU_DEP_1)
	v_dual_sub_nc_u32 v1, 29, v2 :: v_dual_bitop2_b32 v0, 7, v0 bitop3:0x40
; %bb.126:                              ;   in Loop: Header=BB270_9 Depth=1
	s_or_b32 exec_lo, exec_lo, s19
	v_lshlrev_b32_e32 v2, 8, v24
	s_delay_alu instid0(VALU_DEP_2) | instskip(NEXT) | instid1(VALU_DEP_3)
	v_lshl_add_u32 v1, v1, 10, 0x2000
	v_lshlrev_b32_e32 v0, 7, v0
	s_delay_alu instid0(VALU_DEP_3) | instskip(NEXT) | instid1(VALU_DEP_3)
	v_and_b32_e32 v2, 0x8000, v2
	v_and_b32_e32 v1, 0xfc00, v1
	s_delay_alu instid0(VALU_DEP_1)
	v_or3_b32 v81, v2, v1, v0
.LBB270_127:                            ;   in Loop: Header=BB270_9 Depth=1
	s_or_b32 exec_lo, exec_lo, s18
.LBB270_128:                            ;   in Loop: Header=BB270_9 Depth=1
	s_delay_alu instid0(SALU_CYCLE_1)
	s_or_b32 exec_lo, exec_lo, s17
.LBB270_129:                            ;   in Loop: Header=BB270_9 Depth=1
	s_delay_alu instid0(SALU_CYCLE_1) | instskip(NEXT) | instid1(SALU_CYCLE_1)
	s_or_b32 exec_lo, exec_lo, s16
	s_mov_b32 s16, exec_lo
	v_cmpx_lt_u32_e32 0xffffff, v8
	s_cbranch_execz .LBB270_137
; %bb.130:                              ;   in Loop: Header=BB270_9 Depth=1
	v_lshrrev_b32_e32 v24, 24, v8
	v_bfrev_b32_e32 v80, 1
	s_mov_b32 s17, exec_lo
	s_delay_alu instid0(VALU_DEP_2)
	v_cmpx_ne_u32_e32 0x80, v24
	s_cbranch_execz .LBB270_136
; %bb.131:                              ;   in Loop: Header=BB270_9 Depth=1
	v_and_b32_e32 v2, 0x7f, v24
	v_mov_b32_e32 v80, 0x7c010000
	s_mov_b32 s18, exec_lo
	s_delay_alu instid0(VALU_DEP_2)
	v_cmpx_ne_u32_e32 0x7f, v2
	s_cbranch_execz .LBB270_135
; %bb.132:                              ;   in Loop: Header=BB270_9 Depth=1
	v_dual_lshrrev_b32 v1, 3, v2 :: v_dual_bitop2_b32 v0, 7, v24 bitop3:0x40
	s_mov_b32 s19, exec_lo
	v_cmpx_gt_u32_e32 8, v2
; %bb.133:                              ;   in Loop: Header=BB270_9 Depth=1
	s_delay_alu instid0(VALU_DEP_2) | instskip(NEXT) | instid1(VALU_DEP_1)
	v_clz_i32_u32_e32 v0, v0
	v_min_u32_e32 v2, 32, v0
	s_delay_alu instid0(VALU_DEP_1) | instskip(NEXT) | instid1(VALU_DEP_1)
	v_subrev_nc_u32_e32 v0, 28, v2
	v_lshlrev_b64_e32 v[0:1], v0, v[24:25]
	s_delay_alu instid0(VALU_DEP_1)
	v_dual_sub_nc_u32 v1, 29, v2 :: v_dual_bitop2_b32 v0, 7, v0 bitop3:0x40
; %bb.134:                              ;   in Loop: Header=BB270_9 Depth=1
	s_or_b32 exec_lo, exec_lo, s19
	v_lshlrev_b32_e32 v2, 8, v24
	s_delay_alu instid0(VALU_DEP_2) | instskip(NEXT) | instid1(VALU_DEP_3)
	v_lshl_add_u32 v1, v1, 10, 0x2000
	v_lshlrev_b32_e32 v0, 23, v0
	s_delay_alu instid0(VALU_DEP_2) | instskip(NEXT) | instid1(VALU_DEP_1)
	v_and_or_b32 v1, 0x8000, v2, v1
	v_lshl_or_b32 v80, v1, 16, v0
.LBB270_135:                            ;   in Loop: Header=BB270_9 Depth=1
	s_or_b32 exec_lo, exec_lo, s18
.LBB270_136:                            ;   in Loop: Header=BB270_9 Depth=1
	s_delay_alu instid0(SALU_CYCLE_1)
	s_or_b32 exec_lo, exec_lo, s17
.LBB270_137:                            ;   in Loop: Header=BB270_9 Depth=1
	s_delay_alu instid0(SALU_CYCLE_1)
	s_or_b32 exec_lo, exec_lo, s16
	flat_load_b32 v8, v[28:29] offset:512
	v_dual_mov_b32 v82, 0 :: v_dual_mov_b32 v83, 0
	s_mov_b32 s16, exec_lo
	s_wait_loadcnt_dscnt 0x0
	v_and_b32_e32 v0, 0xff, v8
	s_wait_xcnt 0x0
	s_delay_alu instid0(VALU_DEP_1)
	v_cmpx_ne_u16_e32 0, v0
	s_cbranch_execz .LBB270_145
; %bb.138:                              ;   in Loop: Header=BB270_9 Depth=1
	v_mov_b32_e32 v83, 0x8000
	s_mov_b32 s17, exec_lo
	v_cmpx_ne_u16_e32 0x80, v0
	s_cbranch_execz .LBB270_144
; %bb.139:                              ;   in Loop: Header=BB270_9 Depth=1
	v_and_b32_e32 v2, 0x7f, v8
	v_mov_b32_e32 v83, 0x7c01
	s_mov_b32 s18, exec_lo
	s_delay_alu instid0(VALU_DEP_2)
	v_cmpx_ne_u32_e32 0x7f, v2
	s_cbranch_execz .LBB270_143
; %bb.140:                              ;   in Loop: Header=BB270_9 Depth=1
	v_dual_lshrrev_b32 v1, 3, v2 :: v_dual_bitop2_b32 v0, 7, v8 bitop3:0x40
	s_mov_b32 s19, exec_lo
	v_cmpx_gt_u32_e32 8, v2
; %bb.141:                              ;   in Loop: Header=BB270_9 Depth=1
	s_delay_alu instid0(VALU_DEP_2) | instskip(NEXT) | instid1(VALU_DEP_1)
	v_clz_i32_u32_e32 v0, v0
	v_min_u32_e32 v2, 32, v0
	s_delay_alu instid0(VALU_DEP_1) | instskip(NEXT) | instid1(VALU_DEP_1)
	v_subrev_nc_u32_e32 v0, 28, v2
	v_lshlrev_b64_e32 v[0:1], v0, v[8:9]
	s_delay_alu instid0(VALU_DEP_1)
	v_dual_sub_nc_u32 v1, 29, v2 :: v_dual_bitop2_b32 v0, 7, v0 bitop3:0x40
; %bb.142:                              ;   in Loop: Header=BB270_9 Depth=1
	s_or_b32 exec_lo, exec_lo, s19
	v_lshlrev_b32_e32 v2, 8, v8
	s_delay_alu instid0(VALU_DEP_2) | instskip(NEXT) | instid1(VALU_DEP_3)
	v_lshl_add_u32 v1, v1, 10, 0x2000
	v_lshlrev_b32_e32 v0, 7, v0
	s_delay_alu instid0(VALU_DEP_3) | instskip(NEXT) | instid1(VALU_DEP_3)
	v_and_b32_e32 v2, 0x8000, v2
	v_and_b32_e32 v1, 0xfc00, v1
	s_delay_alu instid0(VALU_DEP_1)
	v_or3_b32 v83, v2, v1, v0
.LBB270_143:                            ;   in Loop: Header=BB270_9 Depth=1
	s_or_b32 exec_lo, exec_lo, s18
.LBB270_144:                            ;   in Loop: Header=BB270_9 Depth=1
	s_delay_alu instid0(SALU_CYCLE_1)
	s_or_b32 exec_lo, exec_lo, s17
.LBB270_145:                            ;   in Loop: Header=BB270_9 Depth=1
	s_delay_alu instid0(SALU_CYCLE_1) | instskip(SKIP_2) | instid1(VALU_DEP_1)
	s_or_b32 exec_lo, exec_lo, s16
	v_lshrrev_b16 v24, 8, v8
	s_mov_b32 s16, exec_lo
	v_cmpx_ne_u16_e32 0, v24
	s_cbranch_execz .LBB270_153
; %bb.146:                              ;   in Loop: Header=BB270_9 Depth=1
	v_bfrev_b32_e32 v82, 1
	s_mov_b32 s17, exec_lo
	v_cmpx_ne_u16_e32 0x80, v24
	s_cbranch_execz .LBB270_152
; %bb.147:                              ;   in Loop: Header=BB270_9 Depth=1
	v_and_b32_e32 v0, 0xffff, v24
	v_mov_b32_e32 v82, 0x7c010000
	s_mov_b32 s18, exec_lo
	s_delay_alu instid0(VALU_DEP_2) | instskip(NEXT) | instid1(VALU_DEP_1)
	v_and_b32_e32 v3, 0x7f, v0
	v_cmpx_ne_u32_e32 0x7f, v3
	s_cbranch_execz .LBB270_151
; %bb.148:                              ;   in Loop: Header=BB270_9 Depth=1
	v_dual_lshrrev_b32 v2, 3, v3 :: v_dual_bitop2_b32 v1, 7, v0 bitop3:0x40
	s_mov_b32 s19, exec_lo
	v_cmpx_gt_u32_e32 8, v3
; %bb.149:                              ;   in Loop: Header=BB270_9 Depth=1
	s_delay_alu instid0(VALU_DEP_2) | instskip(NEXT) | instid1(VALU_DEP_1)
	v_clz_i32_u32_e32 v1, v1
	v_min_u32_e32 v1, 32, v1
	s_delay_alu instid0(VALU_DEP_1) | instskip(NEXT) | instid1(VALU_DEP_1)
	v_subrev_nc_u32_e32 v2, 28, v1
	v_lshlrev_b64_e32 v[6:7], v2, v[24:25]
	s_delay_alu instid0(VALU_DEP_1)
	v_dual_sub_nc_u32 v2, 29, v1 :: v_dual_bitop2_b32 v1, 7, v6 bitop3:0x40
; %bb.150:                              ;   in Loop: Header=BB270_9 Depth=1
	s_or_b32 exec_lo, exec_lo, s19
	s_delay_alu instid0(VALU_DEP_1) | instskip(NEXT) | instid1(VALU_DEP_2)
	v_dual_lshlrev_b32 v0, 8, v0 :: v_dual_lshlrev_b32 v1, 23, v1
	v_lshl_add_u32 v2, v2, 10, 0x2000
	s_delay_alu instid0(VALU_DEP_1) | instskip(NEXT) | instid1(VALU_DEP_1)
	v_and_or_b32 v0, 0x8000, v0, v2
	v_lshl_or_b32 v82, v0, 16, v1
.LBB270_151:                            ;   in Loop: Header=BB270_9 Depth=1
	s_or_b32 exec_lo, exec_lo, s18
.LBB270_152:                            ;   in Loop: Header=BB270_9 Depth=1
	s_delay_alu instid0(SALU_CYCLE_1)
	s_or_b32 exec_lo, exec_lo, s17
.LBB270_153:                            ;   in Loop: Header=BB270_9 Depth=1
	s_delay_alu instid0(SALU_CYCLE_1) | instskip(SKIP_3) | instid1(VALU_DEP_2)
	s_or_b32 exec_lo, exec_lo, s16
	v_dual_lshrrev_b32 v24, 16, v8 :: v_dual_mov_b32 v84, 0
	v_mov_b32_e32 v85, 0
	s_mov_b32 s16, exec_lo
	v_and_b32_e32 v0, 0xff, v24
	s_delay_alu instid0(VALU_DEP_1)
	v_cmpx_ne_u16_e32 0, v0
	s_cbranch_execz .LBB270_161
; %bb.154:                              ;   in Loop: Header=BB270_9 Depth=1
	v_mov_b32_e32 v85, 0x8000
	s_mov_b32 s17, exec_lo
	v_cmpx_ne_u16_e32 0x80, v0
	s_cbranch_execz .LBB270_160
; %bb.155:                              ;   in Loop: Header=BB270_9 Depth=1
	v_bfe_u32 v2, v8, 16, 7
	v_mov_b32_e32 v85, 0x7c01
	s_mov_b32 s18, exec_lo
	s_delay_alu instid0(VALU_DEP_2)
	v_cmpx_ne_u32_e32 0x7f, v2
	s_cbranch_execz .LBB270_159
; %bb.156:                              ;   in Loop: Header=BB270_9 Depth=1
	v_dual_lshrrev_b32 v1, 3, v2 :: v_dual_bitop2_b32 v0, 7, v24 bitop3:0x40
	s_mov_b32 s19, exec_lo
	v_cmpx_gt_u32_e32 8, v2
; %bb.157:                              ;   in Loop: Header=BB270_9 Depth=1
	s_delay_alu instid0(VALU_DEP_2) | instskip(NEXT) | instid1(VALU_DEP_1)
	v_clz_i32_u32_e32 v0, v0
	v_min_u32_e32 v2, 32, v0
	s_delay_alu instid0(VALU_DEP_1) | instskip(NEXT) | instid1(VALU_DEP_1)
	v_subrev_nc_u32_e32 v0, 28, v2
	v_lshlrev_b64_e32 v[0:1], v0, v[24:25]
	s_delay_alu instid0(VALU_DEP_1)
	v_dual_sub_nc_u32 v1, 29, v2 :: v_dual_bitop2_b32 v0, 7, v0 bitop3:0x40
; %bb.158:                              ;   in Loop: Header=BB270_9 Depth=1
	s_or_b32 exec_lo, exec_lo, s19
	v_lshlrev_b32_e32 v2, 8, v24
	s_delay_alu instid0(VALU_DEP_2) | instskip(NEXT) | instid1(VALU_DEP_3)
	v_lshl_add_u32 v1, v1, 10, 0x2000
	v_lshlrev_b32_e32 v0, 7, v0
	s_delay_alu instid0(VALU_DEP_3) | instskip(NEXT) | instid1(VALU_DEP_3)
	v_and_b32_e32 v2, 0x8000, v2
	v_and_b32_e32 v1, 0xfc00, v1
	s_delay_alu instid0(VALU_DEP_1)
	v_or3_b32 v85, v2, v1, v0
.LBB270_159:                            ;   in Loop: Header=BB270_9 Depth=1
	s_or_b32 exec_lo, exec_lo, s18
.LBB270_160:                            ;   in Loop: Header=BB270_9 Depth=1
	s_delay_alu instid0(SALU_CYCLE_1)
	s_or_b32 exec_lo, exec_lo, s17
.LBB270_161:                            ;   in Loop: Header=BB270_9 Depth=1
	s_delay_alu instid0(SALU_CYCLE_1) | instskip(NEXT) | instid1(SALU_CYCLE_1)
	s_or_b32 exec_lo, exec_lo, s16
	s_mov_b32 s16, exec_lo
	v_cmpx_lt_u32_e32 0xffffff, v8
	s_cbranch_execz .LBB270_169
; %bb.162:                              ;   in Loop: Header=BB270_9 Depth=1
	v_lshrrev_b32_e32 v24, 24, v8
	v_bfrev_b32_e32 v84, 1
	s_mov_b32 s17, exec_lo
	s_delay_alu instid0(VALU_DEP_2)
	v_cmpx_ne_u32_e32 0x80, v24
	s_cbranch_execz .LBB270_168
; %bb.163:                              ;   in Loop: Header=BB270_9 Depth=1
	v_and_b32_e32 v2, 0x7f, v24
	v_mov_b32_e32 v84, 0x7c010000
	s_mov_b32 s18, exec_lo
	s_delay_alu instid0(VALU_DEP_2)
	v_cmpx_ne_u32_e32 0x7f, v2
	s_cbranch_execz .LBB270_167
; %bb.164:                              ;   in Loop: Header=BB270_9 Depth=1
	v_dual_lshrrev_b32 v1, 3, v2 :: v_dual_bitop2_b32 v0, 7, v24 bitop3:0x40
	s_mov_b32 s19, exec_lo
	v_cmpx_gt_u32_e32 8, v2
; %bb.165:                              ;   in Loop: Header=BB270_9 Depth=1
	s_delay_alu instid0(VALU_DEP_2) | instskip(NEXT) | instid1(VALU_DEP_1)
	v_clz_i32_u32_e32 v0, v0
	v_min_u32_e32 v2, 32, v0
	s_delay_alu instid0(VALU_DEP_1) | instskip(NEXT) | instid1(VALU_DEP_1)
	v_subrev_nc_u32_e32 v0, 28, v2
	v_lshlrev_b64_e32 v[0:1], v0, v[24:25]
	s_delay_alu instid0(VALU_DEP_1)
	v_dual_sub_nc_u32 v1, 29, v2 :: v_dual_bitop2_b32 v0, 7, v0 bitop3:0x40
; %bb.166:                              ;   in Loop: Header=BB270_9 Depth=1
	s_or_b32 exec_lo, exec_lo, s19
	v_lshlrev_b32_e32 v2, 8, v24
	s_delay_alu instid0(VALU_DEP_2) | instskip(NEXT) | instid1(VALU_DEP_3)
	v_lshl_add_u32 v1, v1, 10, 0x2000
	v_lshlrev_b32_e32 v0, 23, v0
	s_delay_alu instid0(VALU_DEP_2) | instskip(NEXT) | instid1(VALU_DEP_1)
	v_and_or_b32 v1, 0x8000, v2, v1
	v_lshl_or_b32 v84, v1, 16, v0
.LBB270_167:                            ;   in Loop: Header=BB270_9 Depth=1
	s_or_b32 exec_lo, exec_lo, s18
.LBB270_168:                            ;   in Loop: Header=BB270_9 Depth=1
	s_delay_alu instid0(SALU_CYCLE_1)
	s_or_b32 exec_lo, exec_lo, s17
.LBB270_169:                            ;   in Loop: Header=BB270_9 Depth=1
	s_delay_alu instid0(SALU_CYCLE_1)
	s_or_b32 exec_lo, exec_lo, s16
	flat_load_b32 v8, v[28:29] offset:520
	v_dual_mov_b32 v86, 0 :: v_dual_mov_b32 v87, 0
	s_mov_b32 s16, exec_lo
	s_wait_loadcnt_dscnt 0x0
	v_and_b32_e32 v0, 0xff, v8
	s_wait_xcnt 0x0
	s_delay_alu instid0(VALU_DEP_1)
	v_cmpx_ne_u16_e32 0, v0
	s_cbranch_execz .LBB270_177
; %bb.170:                              ;   in Loop: Header=BB270_9 Depth=1
	v_mov_b32_e32 v87, 0x8000
	s_mov_b32 s17, exec_lo
	v_cmpx_ne_u16_e32 0x80, v0
	s_cbranch_execz .LBB270_176
; %bb.171:                              ;   in Loop: Header=BB270_9 Depth=1
	v_and_b32_e32 v2, 0x7f, v8
	v_mov_b32_e32 v87, 0x7c01
	s_mov_b32 s18, exec_lo
	s_delay_alu instid0(VALU_DEP_2)
	v_cmpx_ne_u32_e32 0x7f, v2
	s_cbranch_execz .LBB270_175
; %bb.172:                              ;   in Loop: Header=BB270_9 Depth=1
	v_dual_lshrrev_b32 v1, 3, v2 :: v_dual_bitop2_b32 v0, 7, v8 bitop3:0x40
	s_mov_b32 s19, exec_lo
	v_cmpx_gt_u32_e32 8, v2
; %bb.173:                              ;   in Loop: Header=BB270_9 Depth=1
	s_delay_alu instid0(VALU_DEP_2) | instskip(NEXT) | instid1(VALU_DEP_1)
	v_clz_i32_u32_e32 v0, v0
	v_min_u32_e32 v2, 32, v0
	s_delay_alu instid0(VALU_DEP_1) | instskip(NEXT) | instid1(VALU_DEP_1)
	v_subrev_nc_u32_e32 v0, 28, v2
	v_lshlrev_b64_e32 v[0:1], v0, v[8:9]
	s_delay_alu instid0(VALU_DEP_1)
	v_dual_sub_nc_u32 v1, 29, v2 :: v_dual_bitop2_b32 v0, 7, v0 bitop3:0x40
; %bb.174:                              ;   in Loop: Header=BB270_9 Depth=1
	s_or_b32 exec_lo, exec_lo, s19
	v_lshlrev_b32_e32 v2, 8, v8
	s_delay_alu instid0(VALU_DEP_2) | instskip(NEXT) | instid1(VALU_DEP_3)
	v_lshl_add_u32 v1, v1, 10, 0x2000
	v_lshlrev_b32_e32 v0, 7, v0
	s_delay_alu instid0(VALU_DEP_3) | instskip(NEXT) | instid1(VALU_DEP_3)
	v_and_b32_e32 v2, 0x8000, v2
	v_and_b32_e32 v1, 0xfc00, v1
	s_delay_alu instid0(VALU_DEP_1)
	v_or3_b32 v87, v2, v1, v0
.LBB270_175:                            ;   in Loop: Header=BB270_9 Depth=1
	s_or_b32 exec_lo, exec_lo, s18
.LBB270_176:                            ;   in Loop: Header=BB270_9 Depth=1
	s_delay_alu instid0(SALU_CYCLE_1)
	s_or_b32 exec_lo, exec_lo, s17
.LBB270_177:                            ;   in Loop: Header=BB270_9 Depth=1
	s_delay_alu instid0(SALU_CYCLE_1) | instskip(SKIP_2) | instid1(VALU_DEP_1)
	s_or_b32 exec_lo, exec_lo, s16
	v_lshrrev_b16 v24, 8, v8
	s_mov_b32 s16, exec_lo
	v_cmpx_ne_u16_e32 0, v24
	s_cbranch_execz .LBB270_185
; %bb.178:                              ;   in Loop: Header=BB270_9 Depth=1
	v_bfrev_b32_e32 v86, 1
	s_mov_b32 s17, exec_lo
	v_cmpx_ne_u16_e32 0x80, v24
	s_cbranch_execz .LBB270_184
; %bb.179:                              ;   in Loop: Header=BB270_9 Depth=1
	v_and_b32_e32 v0, 0xffff, v24
	v_mov_b32_e32 v86, 0x7c010000
	s_mov_b32 s18, exec_lo
	s_delay_alu instid0(VALU_DEP_2) | instskip(NEXT) | instid1(VALU_DEP_1)
	v_and_b32_e32 v3, 0x7f, v0
	v_cmpx_ne_u32_e32 0x7f, v3
	s_cbranch_execz .LBB270_183
; %bb.180:                              ;   in Loop: Header=BB270_9 Depth=1
	v_dual_lshrrev_b32 v2, 3, v3 :: v_dual_bitop2_b32 v1, 7, v0 bitop3:0x40
	s_mov_b32 s19, exec_lo
	v_cmpx_gt_u32_e32 8, v3
; %bb.181:                              ;   in Loop: Header=BB270_9 Depth=1
	s_delay_alu instid0(VALU_DEP_2) | instskip(NEXT) | instid1(VALU_DEP_1)
	v_clz_i32_u32_e32 v1, v1
	v_min_u32_e32 v1, 32, v1
	s_delay_alu instid0(VALU_DEP_1) | instskip(NEXT) | instid1(VALU_DEP_1)
	v_subrev_nc_u32_e32 v2, 28, v1
	v_lshlrev_b64_e32 v[6:7], v2, v[24:25]
	s_delay_alu instid0(VALU_DEP_1)
	v_dual_sub_nc_u32 v2, 29, v1 :: v_dual_bitop2_b32 v1, 7, v6 bitop3:0x40
; %bb.182:                              ;   in Loop: Header=BB270_9 Depth=1
	s_or_b32 exec_lo, exec_lo, s19
	s_delay_alu instid0(VALU_DEP_1) | instskip(NEXT) | instid1(VALU_DEP_2)
	v_dual_lshlrev_b32 v0, 8, v0 :: v_dual_lshlrev_b32 v1, 23, v1
	v_lshl_add_u32 v2, v2, 10, 0x2000
	s_delay_alu instid0(VALU_DEP_1) | instskip(NEXT) | instid1(VALU_DEP_1)
	v_and_or_b32 v0, 0x8000, v0, v2
	v_lshl_or_b32 v86, v0, 16, v1
.LBB270_183:                            ;   in Loop: Header=BB270_9 Depth=1
	s_or_b32 exec_lo, exec_lo, s18
.LBB270_184:                            ;   in Loop: Header=BB270_9 Depth=1
	s_delay_alu instid0(SALU_CYCLE_1)
	s_or_b32 exec_lo, exec_lo, s17
.LBB270_185:                            ;   in Loop: Header=BB270_9 Depth=1
	s_delay_alu instid0(SALU_CYCLE_1) | instskip(SKIP_3) | instid1(VALU_DEP_2)
	s_or_b32 exec_lo, exec_lo, s16
	v_dual_lshrrev_b32 v24, 16, v8 :: v_dual_mov_b32 v96, 0
	v_mov_b32_e32 v97, 0
	s_mov_b32 s16, exec_lo
	v_and_b32_e32 v0, 0xff, v24
	s_delay_alu instid0(VALU_DEP_1)
	v_cmpx_ne_u16_e32 0, v0
	s_cbranch_execz .LBB270_193
; %bb.186:                              ;   in Loop: Header=BB270_9 Depth=1
	v_mov_b32_e32 v97, 0x8000
	s_mov_b32 s17, exec_lo
	v_cmpx_ne_u16_e32 0x80, v0
	s_cbranch_execz .LBB270_192
; %bb.187:                              ;   in Loop: Header=BB270_9 Depth=1
	v_bfe_u32 v2, v8, 16, 7
	v_mov_b32_e32 v97, 0x7c01
	s_mov_b32 s18, exec_lo
	s_delay_alu instid0(VALU_DEP_2)
	v_cmpx_ne_u32_e32 0x7f, v2
	s_cbranch_execz .LBB270_191
; %bb.188:                              ;   in Loop: Header=BB270_9 Depth=1
	v_dual_lshrrev_b32 v1, 3, v2 :: v_dual_bitop2_b32 v0, 7, v24 bitop3:0x40
	s_mov_b32 s19, exec_lo
	v_cmpx_gt_u32_e32 8, v2
; %bb.189:                              ;   in Loop: Header=BB270_9 Depth=1
	s_delay_alu instid0(VALU_DEP_2) | instskip(NEXT) | instid1(VALU_DEP_1)
	v_clz_i32_u32_e32 v0, v0
	v_min_u32_e32 v2, 32, v0
	s_delay_alu instid0(VALU_DEP_1) | instskip(NEXT) | instid1(VALU_DEP_1)
	v_subrev_nc_u32_e32 v0, 28, v2
	v_lshlrev_b64_e32 v[0:1], v0, v[24:25]
	s_delay_alu instid0(VALU_DEP_1)
	v_dual_sub_nc_u32 v1, 29, v2 :: v_dual_bitop2_b32 v0, 7, v0 bitop3:0x40
; %bb.190:                              ;   in Loop: Header=BB270_9 Depth=1
	s_or_b32 exec_lo, exec_lo, s19
	v_lshlrev_b32_e32 v2, 8, v24
	s_delay_alu instid0(VALU_DEP_2) | instskip(NEXT) | instid1(VALU_DEP_3)
	v_lshl_add_u32 v1, v1, 10, 0x2000
	v_lshlrev_b32_e32 v0, 7, v0
	s_delay_alu instid0(VALU_DEP_3) | instskip(NEXT) | instid1(VALU_DEP_3)
	v_and_b32_e32 v2, 0x8000, v2
	v_and_b32_e32 v1, 0xfc00, v1
	s_delay_alu instid0(VALU_DEP_1)
	v_or3_b32 v97, v2, v1, v0
.LBB270_191:                            ;   in Loop: Header=BB270_9 Depth=1
	s_or_b32 exec_lo, exec_lo, s18
.LBB270_192:                            ;   in Loop: Header=BB270_9 Depth=1
	s_delay_alu instid0(SALU_CYCLE_1)
	s_or_b32 exec_lo, exec_lo, s17
.LBB270_193:                            ;   in Loop: Header=BB270_9 Depth=1
	s_delay_alu instid0(SALU_CYCLE_1) | instskip(NEXT) | instid1(SALU_CYCLE_1)
	s_or_b32 exec_lo, exec_lo, s16
	s_mov_b32 s16, exec_lo
	v_cmpx_lt_u32_e32 0xffffff, v8
	s_cbranch_execz .LBB270_201
; %bb.194:                              ;   in Loop: Header=BB270_9 Depth=1
	v_lshrrev_b32_e32 v24, 24, v8
	v_bfrev_b32_e32 v96, 1
	s_mov_b32 s17, exec_lo
	s_delay_alu instid0(VALU_DEP_2)
	v_cmpx_ne_u32_e32 0x80, v24
	s_cbranch_execz .LBB270_200
; %bb.195:                              ;   in Loop: Header=BB270_9 Depth=1
	v_and_b32_e32 v2, 0x7f, v24
	v_mov_b32_e32 v96, 0x7c010000
	s_mov_b32 s18, exec_lo
	s_delay_alu instid0(VALU_DEP_2)
	v_cmpx_ne_u32_e32 0x7f, v2
	s_cbranch_execz .LBB270_199
; %bb.196:                              ;   in Loop: Header=BB270_9 Depth=1
	v_dual_lshrrev_b32 v1, 3, v2 :: v_dual_bitop2_b32 v0, 7, v24 bitop3:0x40
	s_mov_b32 s19, exec_lo
	v_cmpx_gt_u32_e32 8, v2
; %bb.197:                              ;   in Loop: Header=BB270_9 Depth=1
	s_delay_alu instid0(VALU_DEP_2) | instskip(NEXT) | instid1(VALU_DEP_1)
	v_clz_i32_u32_e32 v0, v0
	v_min_u32_e32 v2, 32, v0
	s_delay_alu instid0(VALU_DEP_1) | instskip(NEXT) | instid1(VALU_DEP_1)
	v_subrev_nc_u32_e32 v0, 28, v2
	v_lshlrev_b64_e32 v[0:1], v0, v[24:25]
	s_delay_alu instid0(VALU_DEP_1)
	v_dual_sub_nc_u32 v1, 29, v2 :: v_dual_bitop2_b32 v0, 7, v0 bitop3:0x40
; %bb.198:                              ;   in Loop: Header=BB270_9 Depth=1
	s_or_b32 exec_lo, exec_lo, s19
	v_lshlrev_b32_e32 v2, 8, v24
	s_delay_alu instid0(VALU_DEP_2) | instskip(NEXT) | instid1(VALU_DEP_3)
	v_lshl_add_u32 v1, v1, 10, 0x2000
	v_lshlrev_b32_e32 v0, 23, v0
	s_delay_alu instid0(VALU_DEP_2) | instskip(NEXT) | instid1(VALU_DEP_1)
	v_and_or_b32 v1, 0x8000, v2, v1
	v_lshl_or_b32 v96, v1, 16, v0
.LBB270_199:                            ;   in Loop: Header=BB270_9 Depth=1
	s_or_b32 exec_lo, exec_lo, s18
.LBB270_200:                            ;   in Loop: Header=BB270_9 Depth=1
	s_delay_alu instid0(SALU_CYCLE_1)
	s_or_b32 exec_lo, exec_lo, s17
.LBB270_201:                            ;   in Loop: Header=BB270_9 Depth=1
	s_delay_alu instid0(SALU_CYCLE_1)
	s_or_b32 exec_lo, exec_lo, s16
	flat_load_b32 v8, v[28:29] offset:768
	v_dual_mov_b32 v98, 0 :: v_dual_mov_b32 v99, 0
	s_mov_b32 s16, exec_lo
	s_wait_loadcnt_dscnt 0x0
	v_and_b32_e32 v0, 0xff, v8
	s_wait_xcnt 0x0
	s_delay_alu instid0(VALU_DEP_1)
	v_cmpx_ne_u16_e32 0, v0
	s_cbranch_execz .LBB270_209
; %bb.202:                              ;   in Loop: Header=BB270_9 Depth=1
	v_mov_b32_e32 v99, 0x8000
	s_mov_b32 s17, exec_lo
	v_cmpx_ne_u16_e32 0x80, v0
	s_cbranch_execz .LBB270_208
; %bb.203:                              ;   in Loop: Header=BB270_9 Depth=1
	v_and_b32_e32 v2, 0x7f, v8
	v_mov_b32_e32 v99, 0x7c01
	s_mov_b32 s18, exec_lo
	s_delay_alu instid0(VALU_DEP_2)
	v_cmpx_ne_u32_e32 0x7f, v2
	s_cbranch_execz .LBB270_207
; %bb.204:                              ;   in Loop: Header=BB270_9 Depth=1
	v_dual_lshrrev_b32 v1, 3, v2 :: v_dual_bitop2_b32 v0, 7, v8 bitop3:0x40
	s_mov_b32 s19, exec_lo
	v_cmpx_gt_u32_e32 8, v2
; %bb.205:                              ;   in Loop: Header=BB270_9 Depth=1
	s_delay_alu instid0(VALU_DEP_2) | instskip(NEXT) | instid1(VALU_DEP_1)
	v_clz_i32_u32_e32 v0, v0
	v_min_u32_e32 v2, 32, v0
	s_delay_alu instid0(VALU_DEP_1) | instskip(NEXT) | instid1(VALU_DEP_1)
	v_subrev_nc_u32_e32 v0, 28, v2
	v_lshlrev_b64_e32 v[0:1], v0, v[8:9]
	s_delay_alu instid0(VALU_DEP_1)
	v_dual_sub_nc_u32 v1, 29, v2 :: v_dual_bitop2_b32 v0, 7, v0 bitop3:0x40
; %bb.206:                              ;   in Loop: Header=BB270_9 Depth=1
	s_or_b32 exec_lo, exec_lo, s19
	v_lshlrev_b32_e32 v2, 8, v8
	s_delay_alu instid0(VALU_DEP_2) | instskip(NEXT) | instid1(VALU_DEP_3)
	v_lshl_add_u32 v1, v1, 10, 0x2000
	v_lshlrev_b32_e32 v0, 7, v0
	s_delay_alu instid0(VALU_DEP_3) | instskip(NEXT) | instid1(VALU_DEP_3)
	v_and_b32_e32 v2, 0x8000, v2
	v_and_b32_e32 v1, 0xfc00, v1
	s_delay_alu instid0(VALU_DEP_1)
	v_or3_b32 v99, v2, v1, v0
.LBB270_207:                            ;   in Loop: Header=BB270_9 Depth=1
	s_or_b32 exec_lo, exec_lo, s18
.LBB270_208:                            ;   in Loop: Header=BB270_9 Depth=1
	s_delay_alu instid0(SALU_CYCLE_1)
	s_or_b32 exec_lo, exec_lo, s17
.LBB270_209:                            ;   in Loop: Header=BB270_9 Depth=1
	s_delay_alu instid0(SALU_CYCLE_1) | instskip(SKIP_2) | instid1(VALU_DEP_1)
	s_or_b32 exec_lo, exec_lo, s16
	v_lshrrev_b16 v24, 8, v8
	s_mov_b32 s16, exec_lo
	v_cmpx_ne_u16_e32 0, v24
	s_cbranch_execz .LBB270_217
; %bb.210:                              ;   in Loop: Header=BB270_9 Depth=1
	v_bfrev_b32_e32 v98, 1
	s_mov_b32 s17, exec_lo
	v_cmpx_ne_u16_e32 0x80, v24
	s_cbranch_execz .LBB270_216
; %bb.211:                              ;   in Loop: Header=BB270_9 Depth=1
	v_and_b32_e32 v0, 0xffff, v24
	v_mov_b32_e32 v98, 0x7c010000
	s_mov_b32 s18, exec_lo
	s_delay_alu instid0(VALU_DEP_2) | instskip(NEXT) | instid1(VALU_DEP_1)
	v_and_b32_e32 v3, 0x7f, v0
	v_cmpx_ne_u32_e32 0x7f, v3
	s_cbranch_execz .LBB270_215
; %bb.212:                              ;   in Loop: Header=BB270_9 Depth=1
	v_dual_lshrrev_b32 v2, 3, v3 :: v_dual_bitop2_b32 v1, 7, v0 bitop3:0x40
	s_mov_b32 s19, exec_lo
	v_cmpx_gt_u32_e32 8, v3
; %bb.213:                              ;   in Loop: Header=BB270_9 Depth=1
	s_delay_alu instid0(VALU_DEP_2) | instskip(NEXT) | instid1(VALU_DEP_1)
	v_clz_i32_u32_e32 v1, v1
	v_min_u32_e32 v1, 32, v1
	s_delay_alu instid0(VALU_DEP_1) | instskip(NEXT) | instid1(VALU_DEP_1)
	v_subrev_nc_u32_e32 v2, 28, v1
	v_lshlrev_b64_e32 v[6:7], v2, v[24:25]
	s_delay_alu instid0(VALU_DEP_1)
	v_dual_sub_nc_u32 v2, 29, v1 :: v_dual_bitop2_b32 v1, 7, v6 bitop3:0x40
; %bb.214:                              ;   in Loop: Header=BB270_9 Depth=1
	s_or_b32 exec_lo, exec_lo, s19
	s_delay_alu instid0(VALU_DEP_1) | instskip(NEXT) | instid1(VALU_DEP_2)
	v_dual_lshlrev_b32 v0, 8, v0 :: v_dual_lshlrev_b32 v1, 23, v1
	v_lshl_add_u32 v2, v2, 10, 0x2000
	s_delay_alu instid0(VALU_DEP_1) | instskip(NEXT) | instid1(VALU_DEP_1)
	v_and_or_b32 v0, 0x8000, v0, v2
	v_lshl_or_b32 v98, v0, 16, v1
.LBB270_215:                            ;   in Loop: Header=BB270_9 Depth=1
	s_or_b32 exec_lo, exec_lo, s18
.LBB270_216:                            ;   in Loop: Header=BB270_9 Depth=1
	s_delay_alu instid0(SALU_CYCLE_1)
	s_or_b32 exec_lo, exec_lo, s17
.LBB270_217:                            ;   in Loop: Header=BB270_9 Depth=1
	s_delay_alu instid0(SALU_CYCLE_1) | instskip(SKIP_3) | instid1(VALU_DEP_2)
	s_or_b32 exec_lo, exec_lo, s16
	v_dual_lshrrev_b32 v24, 16, v8 :: v_dual_mov_b32 v100, 0
	v_mov_b32_e32 v101, 0
	s_mov_b32 s16, exec_lo
	v_and_b32_e32 v0, 0xff, v24
	s_delay_alu instid0(VALU_DEP_1)
	v_cmpx_ne_u16_e32 0, v0
	s_cbranch_execz .LBB270_225
; %bb.218:                              ;   in Loop: Header=BB270_9 Depth=1
	v_mov_b32_e32 v101, 0x8000
	s_mov_b32 s17, exec_lo
	v_cmpx_ne_u16_e32 0x80, v0
	s_cbranch_execz .LBB270_224
; %bb.219:                              ;   in Loop: Header=BB270_9 Depth=1
	v_bfe_u32 v2, v8, 16, 7
	v_mov_b32_e32 v101, 0x7c01
	s_mov_b32 s18, exec_lo
	s_delay_alu instid0(VALU_DEP_2)
	v_cmpx_ne_u32_e32 0x7f, v2
	s_cbranch_execz .LBB270_223
; %bb.220:                              ;   in Loop: Header=BB270_9 Depth=1
	v_dual_lshrrev_b32 v1, 3, v2 :: v_dual_bitop2_b32 v0, 7, v24 bitop3:0x40
	s_mov_b32 s19, exec_lo
	v_cmpx_gt_u32_e32 8, v2
; %bb.221:                              ;   in Loop: Header=BB270_9 Depth=1
	s_delay_alu instid0(VALU_DEP_2) | instskip(NEXT) | instid1(VALU_DEP_1)
	v_clz_i32_u32_e32 v0, v0
	v_min_u32_e32 v2, 32, v0
	s_delay_alu instid0(VALU_DEP_1) | instskip(NEXT) | instid1(VALU_DEP_1)
	v_subrev_nc_u32_e32 v0, 28, v2
	v_lshlrev_b64_e32 v[0:1], v0, v[24:25]
	s_delay_alu instid0(VALU_DEP_1)
	v_dual_sub_nc_u32 v1, 29, v2 :: v_dual_bitop2_b32 v0, 7, v0 bitop3:0x40
; %bb.222:                              ;   in Loop: Header=BB270_9 Depth=1
	s_or_b32 exec_lo, exec_lo, s19
	v_lshlrev_b32_e32 v2, 8, v24
	s_delay_alu instid0(VALU_DEP_2) | instskip(NEXT) | instid1(VALU_DEP_3)
	v_lshl_add_u32 v1, v1, 10, 0x2000
	v_lshlrev_b32_e32 v0, 7, v0
	s_delay_alu instid0(VALU_DEP_3) | instskip(NEXT) | instid1(VALU_DEP_3)
	v_and_b32_e32 v2, 0x8000, v2
	v_and_b32_e32 v1, 0xfc00, v1
	s_delay_alu instid0(VALU_DEP_1)
	v_or3_b32 v101, v2, v1, v0
.LBB270_223:                            ;   in Loop: Header=BB270_9 Depth=1
	s_or_b32 exec_lo, exec_lo, s18
.LBB270_224:                            ;   in Loop: Header=BB270_9 Depth=1
	s_delay_alu instid0(SALU_CYCLE_1)
	s_or_b32 exec_lo, exec_lo, s17
.LBB270_225:                            ;   in Loop: Header=BB270_9 Depth=1
	s_delay_alu instid0(SALU_CYCLE_1) | instskip(NEXT) | instid1(SALU_CYCLE_1)
	s_or_b32 exec_lo, exec_lo, s16
	s_mov_b32 s16, exec_lo
	v_cmpx_lt_u32_e32 0xffffff, v8
	s_cbranch_execz .LBB270_233
; %bb.226:                              ;   in Loop: Header=BB270_9 Depth=1
	v_lshrrev_b32_e32 v24, 24, v8
	v_bfrev_b32_e32 v100, 1
	s_mov_b32 s17, exec_lo
	s_delay_alu instid0(VALU_DEP_2)
	v_cmpx_ne_u32_e32 0x80, v24
	s_cbranch_execz .LBB270_232
; %bb.227:                              ;   in Loop: Header=BB270_9 Depth=1
	v_and_b32_e32 v2, 0x7f, v24
	v_mov_b32_e32 v100, 0x7c010000
	s_mov_b32 s18, exec_lo
	s_delay_alu instid0(VALU_DEP_2)
	v_cmpx_ne_u32_e32 0x7f, v2
	s_cbranch_execz .LBB270_231
; %bb.228:                              ;   in Loop: Header=BB270_9 Depth=1
	v_dual_lshrrev_b32 v1, 3, v2 :: v_dual_bitop2_b32 v0, 7, v24 bitop3:0x40
	s_mov_b32 s19, exec_lo
	v_cmpx_gt_u32_e32 8, v2
; %bb.229:                              ;   in Loop: Header=BB270_9 Depth=1
	s_delay_alu instid0(VALU_DEP_2) | instskip(NEXT) | instid1(VALU_DEP_1)
	v_clz_i32_u32_e32 v0, v0
	v_min_u32_e32 v2, 32, v0
	s_delay_alu instid0(VALU_DEP_1) | instskip(NEXT) | instid1(VALU_DEP_1)
	v_subrev_nc_u32_e32 v0, 28, v2
	v_lshlrev_b64_e32 v[0:1], v0, v[24:25]
	s_delay_alu instid0(VALU_DEP_1)
	v_dual_sub_nc_u32 v1, 29, v2 :: v_dual_bitop2_b32 v0, 7, v0 bitop3:0x40
; %bb.230:                              ;   in Loop: Header=BB270_9 Depth=1
	s_or_b32 exec_lo, exec_lo, s19
	v_lshlrev_b32_e32 v2, 8, v24
	s_delay_alu instid0(VALU_DEP_2) | instskip(NEXT) | instid1(VALU_DEP_3)
	v_lshl_add_u32 v1, v1, 10, 0x2000
	v_lshlrev_b32_e32 v0, 23, v0
	s_delay_alu instid0(VALU_DEP_2) | instskip(NEXT) | instid1(VALU_DEP_1)
	v_and_or_b32 v1, 0x8000, v2, v1
	v_lshl_or_b32 v100, v1, 16, v0
.LBB270_231:                            ;   in Loop: Header=BB270_9 Depth=1
	s_or_b32 exec_lo, exec_lo, s18
.LBB270_232:                            ;   in Loop: Header=BB270_9 Depth=1
	s_delay_alu instid0(SALU_CYCLE_1)
	s_or_b32 exec_lo, exec_lo, s17
.LBB270_233:                            ;   in Loop: Header=BB270_9 Depth=1
	s_delay_alu instid0(SALU_CYCLE_1)
	s_or_b32 exec_lo, exec_lo, s16
	flat_load_b32 v8, v[28:29] offset:776
	v_dual_mov_b32 v102, 0 :: v_dual_mov_b32 v103, 0
	s_mov_b32 s16, exec_lo
	s_wait_loadcnt_dscnt 0x0
	v_and_b32_e32 v0, 0xff, v8
	s_wait_xcnt 0x0
	s_delay_alu instid0(VALU_DEP_1)
	v_cmpx_ne_u16_e32 0, v0
	s_cbranch_execz .LBB270_241
; %bb.234:                              ;   in Loop: Header=BB270_9 Depth=1
	v_mov_b32_e32 v103, 0x8000
	s_mov_b32 s17, exec_lo
	v_cmpx_ne_u16_e32 0x80, v0
	s_cbranch_execz .LBB270_240
; %bb.235:                              ;   in Loop: Header=BB270_9 Depth=1
	v_and_b32_e32 v2, 0x7f, v8
	v_mov_b32_e32 v103, 0x7c01
	s_mov_b32 s18, exec_lo
	s_delay_alu instid0(VALU_DEP_2)
	v_cmpx_ne_u32_e32 0x7f, v2
	s_cbranch_execz .LBB270_239
; %bb.236:                              ;   in Loop: Header=BB270_9 Depth=1
	v_dual_lshrrev_b32 v1, 3, v2 :: v_dual_bitop2_b32 v0, 7, v8 bitop3:0x40
	s_mov_b32 s19, exec_lo
	v_cmpx_gt_u32_e32 8, v2
; %bb.237:                              ;   in Loop: Header=BB270_9 Depth=1
	s_delay_alu instid0(VALU_DEP_2) | instskip(NEXT) | instid1(VALU_DEP_1)
	v_clz_i32_u32_e32 v0, v0
	v_min_u32_e32 v2, 32, v0
	s_delay_alu instid0(VALU_DEP_1) | instskip(NEXT) | instid1(VALU_DEP_1)
	v_subrev_nc_u32_e32 v0, 28, v2
	v_lshlrev_b64_e32 v[0:1], v0, v[8:9]
	s_delay_alu instid0(VALU_DEP_1)
	v_dual_sub_nc_u32 v1, 29, v2 :: v_dual_bitop2_b32 v0, 7, v0 bitop3:0x40
; %bb.238:                              ;   in Loop: Header=BB270_9 Depth=1
	s_or_b32 exec_lo, exec_lo, s19
	v_lshlrev_b32_e32 v2, 8, v8
	s_delay_alu instid0(VALU_DEP_2) | instskip(NEXT) | instid1(VALU_DEP_3)
	v_lshl_add_u32 v1, v1, 10, 0x2000
	v_lshlrev_b32_e32 v0, 7, v0
	s_delay_alu instid0(VALU_DEP_3) | instskip(NEXT) | instid1(VALU_DEP_3)
	v_and_b32_e32 v2, 0x8000, v2
	v_and_b32_e32 v1, 0xfc00, v1
	s_delay_alu instid0(VALU_DEP_1)
	v_or3_b32 v103, v2, v1, v0
.LBB270_239:                            ;   in Loop: Header=BB270_9 Depth=1
	s_or_b32 exec_lo, exec_lo, s18
.LBB270_240:                            ;   in Loop: Header=BB270_9 Depth=1
	s_delay_alu instid0(SALU_CYCLE_1)
	s_or_b32 exec_lo, exec_lo, s17
.LBB270_241:                            ;   in Loop: Header=BB270_9 Depth=1
	s_delay_alu instid0(SALU_CYCLE_1) | instskip(SKIP_2) | instid1(VALU_DEP_1)
	s_or_b32 exec_lo, exec_lo, s16
	v_lshrrev_b16 v24, 8, v8
	s_mov_b32 s16, exec_lo
	v_cmpx_ne_u16_e32 0, v24
	s_cbranch_execz .LBB270_249
; %bb.242:                              ;   in Loop: Header=BB270_9 Depth=1
	v_bfrev_b32_e32 v102, 1
	s_mov_b32 s17, exec_lo
	v_cmpx_ne_u16_e32 0x80, v24
	s_cbranch_execz .LBB270_248
; %bb.243:                              ;   in Loop: Header=BB270_9 Depth=1
	v_and_b32_e32 v0, 0xffff, v24
	v_mov_b32_e32 v102, 0x7c010000
	s_mov_b32 s18, exec_lo
	s_delay_alu instid0(VALU_DEP_2) | instskip(NEXT) | instid1(VALU_DEP_1)
	v_and_b32_e32 v3, 0x7f, v0
	v_cmpx_ne_u32_e32 0x7f, v3
	s_cbranch_execz .LBB270_247
; %bb.244:                              ;   in Loop: Header=BB270_9 Depth=1
	v_dual_lshrrev_b32 v2, 3, v3 :: v_dual_bitop2_b32 v1, 7, v0 bitop3:0x40
	s_mov_b32 s19, exec_lo
	v_cmpx_gt_u32_e32 8, v3
; %bb.245:                              ;   in Loop: Header=BB270_9 Depth=1
	s_delay_alu instid0(VALU_DEP_2) | instskip(NEXT) | instid1(VALU_DEP_1)
	v_clz_i32_u32_e32 v1, v1
	v_min_u32_e32 v1, 32, v1
	s_delay_alu instid0(VALU_DEP_1) | instskip(NEXT) | instid1(VALU_DEP_1)
	v_subrev_nc_u32_e32 v2, 28, v1
	v_lshlrev_b64_e32 v[6:7], v2, v[24:25]
	s_delay_alu instid0(VALU_DEP_1)
	v_dual_sub_nc_u32 v2, 29, v1 :: v_dual_bitop2_b32 v1, 7, v6 bitop3:0x40
; %bb.246:                              ;   in Loop: Header=BB270_9 Depth=1
	s_or_b32 exec_lo, exec_lo, s19
	s_delay_alu instid0(VALU_DEP_1) | instskip(NEXT) | instid1(VALU_DEP_2)
	v_dual_lshlrev_b32 v0, 8, v0 :: v_dual_lshlrev_b32 v1, 23, v1
	v_lshl_add_u32 v2, v2, 10, 0x2000
	s_delay_alu instid0(VALU_DEP_1) | instskip(NEXT) | instid1(VALU_DEP_1)
	v_and_or_b32 v0, 0x8000, v0, v2
	v_lshl_or_b32 v102, v0, 16, v1
.LBB270_247:                            ;   in Loop: Header=BB270_9 Depth=1
	s_or_b32 exec_lo, exec_lo, s18
.LBB270_248:                            ;   in Loop: Header=BB270_9 Depth=1
	s_delay_alu instid0(SALU_CYCLE_1)
	s_or_b32 exec_lo, exec_lo, s17
.LBB270_249:                            ;   in Loop: Header=BB270_9 Depth=1
	s_delay_alu instid0(SALU_CYCLE_1) | instskip(SKIP_3) | instid1(VALU_DEP_2)
	s_or_b32 exec_lo, exec_lo, s16
	v_dual_lshrrev_b32 v24, 16, v8 :: v_dual_mov_b32 v112, 0
	v_mov_b32_e32 v113, 0
	s_mov_b32 s16, exec_lo
	v_and_b32_e32 v0, 0xff, v24
	s_delay_alu instid0(VALU_DEP_1)
	v_cmpx_ne_u16_e32 0, v0
	s_cbranch_execz .LBB270_257
; %bb.250:                              ;   in Loop: Header=BB270_9 Depth=1
	v_mov_b32_e32 v113, 0x8000
	s_mov_b32 s17, exec_lo
	v_cmpx_ne_u16_e32 0x80, v0
	s_cbranch_execz .LBB270_256
; %bb.251:                              ;   in Loop: Header=BB270_9 Depth=1
	v_bfe_u32 v2, v8, 16, 7
	v_mov_b32_e32 v113, 0x7c01
	s_mov_b32 s18, exec_lo
	s_delay_alu instid0(VALU_DEP_2)
	v_cmpx_ne_u32_e32 0x7f, v2
	s_cbranch_execz .LBB270_255
; %bb.252:                              ;   in Loop: Header=BB270_9 Depth=1
	v_dual_lshrrev_b32 v1, 3, v2 :: v_dual_bitop2_b32 v0, 7, v24 bitop3:0x40
	s_mov_b32 s19, exec_lo
	v_cmpx_gt_u32_e32 8, v2
; %bb.253:                              ;   in Loop: Header=BB270_9 Depth=1
	s_delay_alu instid0(VALU_DEP_2) | instskip(NEXT) | instid1(VALU_DEP_1)
	v_clz_i32_u32_e32 v0, v0
	v_min_u32_e32 v2, 32, v0
	s_delay_alu instid0(VALU_DEP_1) | instskip(NEXT) | instid1(VALU_DEP_1)
	v_subrev_nc_u32_e32 v0, 28, v2
	v_lshlrev_b64_e32 v[0:1], v0, v[24:25]
	s_delay_alu instid0(VALU_DEP_1)
	v_dual_sub_nc_u32 v1, 29, v2 :: v_dual_bitop2_b32 v0, 7, v0 bitop3:0x40
; %bb.254:                              ;   in Loop: Header=BB270_9 Depth=1
	s_or_b32 exec_lo, exec_lo, s19
	v_lshlrev_b32_e32 v2, 8, v24
	s_delay_alu instid0(VALU_DEP_2) | instskip(NEXT) | instid1(VALU_DEP_3)
	v_lshl_add_u32 v1, v1, 10, 0x2000
	v_lshlrev_b32_e32 v0, 7, v0
	s_delay_alu instid0(VALU_DEP_3) | instskip(NEXT) | instid1(VALU_DEP_3)
	v_and_b32_e32 v2, 0x8000, v2
	v_and_b32_e32 v1, 0xfc00, v1
	s_delay_alu instid0(VALU_DEP_1)
	v_or3_b32 v113, v2, v1, v0
.LBB270_255:                            ;   in Loop: Header=BB270_9 Depth=1
	s_or_b32 exec_lo, exec_lo, s18
.LBB270_256:                            ;   in Loop: Header=BB270_9 Depth=1
	s_delay_alu instid0(SALU_CYCLE_1)
	s_or_b32 exec_lo, exec_lo, s17
.LBB270_257:                            ;   in Loop: Header=BB270_9 Depth=1
	s_delay_alu instid0(SALU_CYCLE_1) | instskip(NEXT) | instid1(SALU_CYCLE_1)
	s_or_b32 exec_lo, exec_lo, s16
	s_mov_b32 s16, exec_lo
	v_cmpx_lt_u32_e32 0xffffff, v8
	s_cbranch_execz .LBB270_265
; %bb.258:                              ;   in Loop: Header=BB270_9 Depth=1
	v_lshrrev_b32_e32 v24, 24, v8
	v_bfrev_b32_e32 v112, 1
	s_mov_b32 s17, exec_lo
	s_delay_alu instid0(VALU_DEP_2)
	v_cmpx_ne_u32_e32 0x80, v24
	s_cbranch_execz .LBB270_264
; %bb.259:                              ;   in Loop: Header=BB270_9 Depth=1
	v_and_b32_e32 v2, 0x7f, v24
	v_mov_b32_e32 v112, 0x7c010000
	s_mov_b32 s18, exec_lo
	s_delay_alu instid0(VALU_DEP_2)
	v_cmpx_ne_u32_e32 0x7f, v2
	s_cbranch_execz .LBB270_263
; %bb.260:                              ;   in Loop: Header=BB270_9 Depth=1
	v_dual_lshrrev_b32 v1, 3, v2 :: v_dual_bitop2_b32 v0, 7, v24 bitop3:0x40
	s_mov_b32 s19, exec_lo
	v_cmpx_gt_u32_e32 8, v2
; %bb.261:                              ;   in Loop: Header=BB270_9 Depth=1
	s_delay_alu instid0(VALU_DEP_2) | instskip(NEXT) | instid1(VALU_DEP_1)
	v_clz_i32_u32_e32 v0, v0
	v_min_u32_e32 v2, 32, v0
	s_delay_alu instid0(VALU_DEP_1) | instskip(NEXT) | instid1(VALU_DEP_1)
	v_subrev_nc_u32_e32 v0, 28, v2
	v_lshlrev_b64_e32 v[0:1], v0, v[24:25]
	s_delay_alu instid0(VALU_DEP_1)
	v_dual_sub_nc_u32 v1, 29, v2 :: v_dual_bitop2_b32 v0, 7, v0 bitop3:0x40
; %bb.262:                              ;   in Loop: Header=BB270_9 Depth=1
	s_or_b32 exec_lo, exec_lo, s19
	v_lshlrev_b32_e32 v2, 8, v24
	s_delay_alu instid0(VALU_DEP_2) | instskip(NEXT) | instid1(VALU_DEP_3)
	v_lshl_add_u32 v1, v1, 10, 0x2000
	v_lshlrev_b32_e32 v0, 23, v0
	s_delay_alu instid0(VALU_DEP_2) | instskip(NEXT) | instid1(VALU_DEP_1)
	v_and_or_b32 v1, 0x8000, v2, v1
	v_lshl_or_b32 v112, v1, 16, v0
.LBB270_263:                            ;   in Loop: Header=BB270_9 Depth=1
	s_or_b32 exec_lo, exec_lo, s18
.LBB270_264:                            ;   in Loop: Header=BB270_9 Depth=1
	s_delay_alu instid0(SALU_CYCLE_1)
	s_or_b32 exec_lo, exec_lo, s17
.LBB270_265:                            ;   in Loop: Header=BB270_9 Depth=1
	s_delay_alu instid0(SALU_CYCLE_1)
	s_or_b32 exec_lo, exec_lo, s16
	flat_load_b32 v8, v[28:29] offset:1024
	v_dual_mov_b32 v118, 0 :: v_dual_mov_b32 v119, 0
	s_mov_b32 s16, exec_lo
	s_wait_loadcnt_dscnt 0x0
	v_and_b32_e32 v0, 0xff, v8
	s_wait_xcnt 0x0
	s_delay_alu instid0(VALU_DEP_1)
	v_cmpx_ne_u16_e32 0, v0
	s_cbranch_execz .LBB270_273
; %bb.266:                              ;   in Loop: Header=BB270_9 Depth=1
	v_mov_b32_e32 v119, 0x8000
	s_mov_b32 s17, exec_lo
	v_cmpx_ne_u16_e32 0x80, v0
	s_cbranch_execz .LBB270_272
; %bb.267:                              ;   in Loop: Header=BB270_9 Depth=1
	v_and_b32_e32 v2, 0x7f, v8
	v_mov_b32_e32 v119, 0x7c01
	s_mov_b32 s18, exec_lo
	s_delay_alu instid0(VALU_DEP_2)
	v_cmpx_ne_u32_e32 0x7f, v2
	s_cbranch_execz .LBB270_271
; %bb.268:                              ;   in Loop: Header=BB270_9 Depth=1
	v_dual_lshrrev_b32 v1, 3, v2 :: v_dual_bitop2_b32 v0, 7, v8 bitop3:0x40
	s_mov_b32 s19, exec_lo
	v_cmpx_gt_u32_e32 8, v2
; %bb.269:                              ;   in Loop: Header=BB270_9 Depth=1
	s_delay_alu instid0(VALU_DEP_2) | instskip(NEXT) | instid1(VALU_DEP_1)
	v_clz_i32_u32_e32 v0, v0
	v_min_u32_e32 v2, 32, v0
	s_delay_alu instid0(VALU_DEP_1) | instskip(NEXT) | instid1(VALU_DEP_1)
	v_subrev_nc_u32_e32 v0, 28, v2
	v_lshlrev_b64_e32 v[0:1], v0, v[8:9]
	s_delay_alu instid0(VALU_DEP_1)
	v_dual_sub_nc_u32 v1, 29, v2 :: v_dual_bitop2_b32 v0, 7, v0 bitop3:0x40
; %bb.270:                              ;   in Loop: Header=BB270_9 Depth=1
	s_or_b32 exec_lo, exec_lo, s19
	v_lshlrev_b32_e32 v2, 8, v8
	s_delay_alu instid0(VALU_DEP_2) | instskip(NEXT) | instid1(VALU_DEP_3)
	v_lshl_add_u32 v1, v1, 10, 0x2000
	v_lshlrev_b32_e32 v0, 7, v0
	s_delay_alu instid0(VALU_DEP_3) | instskip(NEXT) | instid1(VALU_DEP_3)
	v_and_b32_e32 v2, 0x8000, v2
	v_and_b32_e32 v1, 0xfc00, v1
	s_delay_alu instid0(VALU_DEP_1)
	v_or3_b32 v119, v2, v1, v0
.LBB270_271:                            ;   in Loop: Header=BB270_9 Depth=1
	s_or_b32 exec_lo, exec_lo, s18
.LBB270_272:                            ;   in Loop: Header=BB270_9 Depth=1
	s_delay_alu instid0(SALU_CYCLE_1)
	s_or_b32 exec_lo, exec_lo, s17
.LBB270_273:                            ;   in Loop: Header=BB270_9 Depth=1
	s_delay_alu instid0(SALU_CYCLE_1) | instskip(SKIP_2) | instid1(VALU_DEP_1)
	s_or_b32 exec_lo, exec_lo, s16
	v_lshrrev_b16 v24, 8, v8
	s_mov_b32 s16, exec_lo
	v_cmpx_ne_u16_e32 0, v24
	s_cbranch_execz .LBB270_281
; %bb.274:                              ;   in Loop: Header=BB270_9 Depth=1
	v_bfrev_b32_e32 v118, 1
	s_mov_b32 s17, exec_lo
	v_cmpx_ne_u16_e32 0x80, v24
	s_cbranch_execz .LBB270_280
; %bb.275:                              ;   in Loop: Header=BB270_9 Depth=1
	v_and_b32_e32 v0, 0xffff, v24
	v_mov_b32_e32 v118, 0x7c010000
	s_mov_b32 s18, exec_lo
	s_delay_alu instid0(VALU_DEP_2) | instskip(NEXT) | instid1(VALU_DEP_1)
	v_and_b32_e32 v3, 0x7f, v0
	v_cmpx_ne_u32_e32 0x7f, v3
	s_cbranch_execz .LBB270_279
; %bb.276:                              ;   in Loop: Header=BB270_9 Depth=1
	v_dual_lshrrev_b32 v2, 3, v3 :: v_dual_bitop2_b32 v1, 7, v0 bitop3:0x40
	s_mov_b32 s19, exec_lo
	v_cmpx_gt_u32_e32 8, v3
; %bb.277:                              ;   in Loop: Header=BB270_9 Depth=1
	s_delay_alu instid0(VALU_DEP_2) | instskip(NEXT) | instid1(VALU_DEP_1)
	v_clz_i32_u32_e32 v1, v1
	v_min_u32_e32 v1, 32, v1
	s_delay_alu instid0(VALU_DEP_1) | instskip(NEXT) | instid1(VALU_DEP_1)
	v_subrev_nc_u32_e32 v2, 28, v1
	v_lshlrev_b64_e32 v[6:7], v2, v[24:25]
	s_delay_alu instid0(VALU_DEP_1)
	v_dual_sub_nc_u32 v2, 29, v1 :: v_dual_bitop2_b32 v1, 7, v6 bitop3:0x40
; %bb.278:                              ;   in Loop: Header=BB270_9 Depth=1
	s_or_b32 exec_lo, exec_lo, s19
	s_delay_alu instid0(VALU_DEP_1) | instskip(NEXT) | instid1(VALU_DEP_2)
	v_dual_lshlrev_b32 v0, 8, v0 :: v_dual_lshlrev_b32 v1, 23, v1
	v_lshl_add_u32 v2, v2, 10, 0x2000
	s_delay_alu instid0(VALU_DEP_1) | instskip(NEXT) | instid1(VALU_DEP_1)
	v_and_or_b32 v0, 0x8000, v0, v2
	v_lshl_or_b32 v118, v0, 16, v1
.LBB270_279:                            ;   in Loop: Header=BB270_9 Depth=1
	s_or_b32 exec_lo, exec_lo, s18
.LBB270_280:                            ;   in Loop: Header=BB270_9 Depth=1
	s_delay_alu instid0(SALU_CYCLE_1)
	s_or_b32 exec_lo, exec_lo, s17
.LBB270_281:                            ;   in Loop: Header=BB270_9 Depth=1
	s_delay_alu instid0(SALU_CYCLE_1) | instskip(SKIP_3) | instid1(VALU_DEP_2)
	s_or_b32 exec_lo, exec_lo, s16
	v_dual_lshrrev_b32 v24, 16, v8 :: v_dual_mov_b32 v44, 0
	v_mov_b32_e32 v45, 0
	s_mov_b32 s16, exec_lo
	v_and_b32_e32 v0, 0xff, v24
	s_delay_alu instid0(VALU_DEP_1)
	v_cmpx_ne_u16_e32 0, v0
	s_cbranch_execz .LBB270_289
; %bb.282:                              ;   in Loop: Header=BB270_9 Depth=1
	v_mov_b32_e32 v45, 0x8000
	s_mov_b32 s17, exec_lo
	v_cmpx_ne_u16_e32 0x80, v0
	s_cbranch_execz .LBB270_288
; %bb.283:                              ;   in Loop: Header=BB270_9 Depth=1
	v_bfe_u32 v2, v8, 16, 7
	v_mov_b32_e32 v45, 0x7c01
	s_mov_b32 s18, exec_lo
	s_delay_alu instid0(VALU_DEP_2)
	v_cmpx_ne_u32_e32 0x7f, v2
	s_cbranch_execz .LBB270_287
; %bb.284:                              ;   in Loop: Header=BB270_9 Depth=1
	v_dual_lshrrev_b32 v1, 3, v2 :: v_dual_bitop2_b32 v0, 7, v24 bitop3:0x40
	s_mov_b32 s19, exec_lo
	v_cmpx_gt_u32_e32 8, v2
; %bb.285:                              ;   in Loop: Header=BB270_9 Depth=1
	s_delay_alu instid0(VALU_DEP_2) | instskip(NEXT) | instid1(VALU_DEP_1)
	v_clz_i32_u32_e32 v0, v0
	v_min_u32_e32 v2, 32, v0
	s_delay_alu instid0(VALU_DEP_1) | instskip(NEXT) | instid1(VALU_DEP_1)
	v_subrev_nc_u32_e32 v0, 28, v2
	v_lshlrev_b64_e32 v[0:1], v0, v[24:25]
	s_delay_alu instid0(VALU_DEP_1)
	v_dual_sub_nc_u32 v1, 29, v2 :: v_dual_bitop2_b32 v0, 7, v0 bitop3:0x40
; %bb.286:                              ;   in Loop: Header=BB270_9 Depth=1
	s_or_b32 exec_lo, exec_lo, s19
	v_lshlrev_b32_e32 v2, 8, v24
	s_delay_alu instid0(VALU_DEP_2) | instskip(NEXT) | instid1(VALU_DEP_3)
	v_lshl_add_u32 v1, v1, 10, 0x2000
	v_lshlrev_b32_e32 v0, 7, v0
	s_delay_alu instid0(VALU_DEP_3) | instskip(NEXT) | instid1(VALU_DEP_3)
	v_and_b32_e32 v2, 0x8000, v2
	v_and_b32_e32 v1, 0xfc00, v1
	s_delay_alu instid0(VALU_DEP_1)
	v_or3_b32 v45, v2, v1, v0
.LBB270_287:                            ;   in Loop: Header=BB270_9 Depth=1
	s_or_b32 exec_lo, exec_lo, s18
.LBB270_288:                            ;   in Loop: Header=BB270_9 Depth=1
	s_delay_alu instid0(SALU_CYCLE_1)
	s_or_b32 exec_lo, exec_lo, s17
.LBB270_289:                            ;   in Loop: Header=BB270_9 Depth=1
	s_delay_alu instid0(SALU_CYCLE_1) | instskip(NEXT) | instid1(SALU_CYCLE_1)
	s_or_b32 exec_lo, exec_lo, s16
	s_mov_b32 s16, exec_lo
	v_cmpx_lt_u32_e32 0xffffff, v8
	s_cbranch_execz .LBB270_297
; %bb.290:                              ;   in Loop: Header=BB270_9 Depth=1
	v_lshrrev_b32_e32 v24, 24, v8
	v_bfrev_b32_e32 v44, 1
	s_mov_b32 s17, exec_lo
	s_delay_alu instid0(VALU_DEP_2)
	v_cmpx_ne_u32_e32 0x80, v24
	s_cbranch_execz .LBB270_296
; %bb.291:                              ;   in Loop: Header=BB270_9 Depth=1
	v_and_b32_e32 v2, 0x7f, v24
	v_mov_b32_e32 v44, 0x7c010000
	s_mov_b32 s18, exec_lo
	s_delay_alu instid0(VALU_DEP_2)
	v_cmpx_ne_u32_e32 0x7f, v2
	s_cbranch_execz .LBB270_295
; %bb.292:                              ;   in Loop: Header=BB270_9 Depth=1
	v_dual_lshrrev_b32 v1, 3, v2 :: v_dual_bitop2_b32 v0, 7, v24 bitop3:0x40
	s_mov_b32 s19, exec_lo
	v_cmpx_gt_u32_e32 8, v2
; %bb.293:                              ;   in Loop: Header=BB270_9 Depth=1
	s_delay_alu instid0(VALU_DEP_2) | instskip(NEXT) | instid1(VALU_DEP_1)
	v_clz_i32_u32_e32 v0, v0
	v_min_u32_e32 v2, 32, v0
	s_delay_alu instid0(VALU_DEP_1) | instskip(NEXT) | instid1(VALU_DEP_1)
	v_subrev_nc_u32_e32 v0, 28, v2
	v_lshlrev_b64_e32 v[0:1], v0, v[24:25]
	s_delay_alu instid0(VALU_DEP_1)
	v_dual_sub_nc_u32 v1, 29, v2 :: v_dual_bitop2_b32 v0, 7, v0 bitop3:0x40
; %bb.294:                              ;   in Loop: Header=BB270_9 Depth=1
	s_or_b32 exec_lo, exec_lo, s19
	v_lshlrev_b32_e32 v2, 8, v24
	s_delay_alu instid0(VALU_DEP_2) | instskip(NEXT) | instid1(VALU_DEP_3)
	v_lshl_add_u32 v1, v1, 10, 0x2000
	v_lshlrev_b32_e32 v0, 23, v0
	s_delay_alu instid0(VALU_DEP_2) | instskip(NEXT) | instid1(VALU_DEP_1)
	v_and_or_b32 v1, 0x8000, v2, v1
	v_lshl_or_b32 v44, v1, 16, v0
.LBB270_295:                            ;   in Loop: Header=BB270_9 Depth=1
	s_or_b32 exec_lo, exec_lo, s18
.LBB270_296:                            ;   in Loop: Header=BB270_9 Depth=1
	s_delay_alu instid0(SALU_CYCLE_1)
	s_or_b32 exec_lo, exec_lo, s17
.LBB270_297:                            ;   in Loop: Header=BB270_9 Depth=1
	s_delay_alu instid0(SALU_CYCLE_1)
	s_or_b32 exec_lo, exec_lo, s16
	flat_load_b32 v8, v[28:29] offset:1032
	v_dual_mov_b32 v46, 0 :: v_dual_mov_b32 v47, 0
	s_mov_b32 s16, exec_lo
	s_wait_loadcnt_dscnt 0x0
	v_and_b32_e32 v0, 0xff, v8
	s_wait_xcnt 0x0
	s_delay_alu instid0(VALU_DEP_1)
	v_cmpx_ne_u16_e32 0, v0
	s_cbranch_execz .LBB270_305
; %bb.298:                              ;   in Loop: Header=BB270_9 Depth=1
	v_mov_b32_e32 v47, 0x8000
	s_mov_b32 s17, exec_lo
	v_cmpx_ne_u16_e32 0x80, v0
	s_cbranch_execz .LBB270_304
; %bb.299:                              ;   in Loop: Header=BB270_9 Depth=1
	v_and_b32_e32 v2, 0x7f, v8
	v_mov_b32_e32 v47, 0x7c01
	s_mov_b32 s18, exec_lo
	s_delay_alu instid0(VALU_DEP_2)
	v_cmpx_ne_u32_e32 0x7f, v2
	s_cbranch_execz .LBB270_303
; %bb.300:                              ;   in Loop: Header=BB270_9 Depth=1
	v_dual_lshrrev_b32 v1, 3, v2 :: v_dual_bitop2_b32 v0, 7, v8 bitop3:0x40
	s_mov_b32 s19, exec_lo
	v_cmpx_gt_u32_e32 8, v2
; %bb.301:                              ;   in Loop: Header=BB270_9 Depth=1
	s_delay_alu instid0(VALU_DEP_2) | instskip(NEXT) | instid1(VALU_DEP_1)
	v_clz_i32_u32_e32 v0, v0
	v_min_u32_e32 v2, 32, v0
	s_delay_alu instid0(VALU_DEP_1) | instskip(NEXT) | instid1(VALU_DEP_1)
	v_subrev_nc_u32_e32 v0, 28, v2
	v_lshlrev_b64_e32 v[0:1], v0, v[8:9]
	s_delay_alu instid0(VALU_DEP_1)
	v_dual_sub_nc_u32 v1, 29, v2 :: v_dual_bitop2_b32 v0, 7, v0 bitop3:0x40
; %bb.302:                              ;   in Loop: Header=BB270_9 Depth=1
	s_or_b32 exec_lo, exec_lo, s19
	v_lshlrev_b32_e32 v2, 8, v8
	s_delay_alu instid0(VALU_DEP_2) | instskip(NEXT) | instid1(VALU_DEP_3)
	v_lshl_add_u32 v1, v1, 10, 0x2000
	v_lshlrev_b32_e32 v0, 7, v0
	s_delay_alu instid0(VALU_DEP_3) | instskip(NEXT) | instid1(VALU_DEP_3)
	v_and_b32_e32 v2, 0x8000, v2
	v_and_b32_e32 v1, 0xfc00, v1
	s_delay_alu instid0(VALU_DEP_1)
	v_or3_b32 v47, v2, v1, v0
.LBB270_303:                            ;   in Loop: Header=BB270_9 Depth=1
	s_or_b32 exec_lo, exec_lo, s18
.LBB270_304:                            ;   in Loop: Header=BB270_9 Depth=1
	s_delay_alu instid0(SALU_CYCLE_1)
	s_or_b32 exec_lo, exec_lo, s17
.LBB270_305:                            ;   in Loop: Header=BB270_9 Depth=1
	s_delay_alu instid0(SALU_CYCLE_1) | instskip(SKIP_2) | instid1(VALU_DEP_1)
	s_or_b32 exec_lo, exec_lo, s16
	v_lshrrev_b16 v24, 8, v8
	s_mov_b32 s16, exec_lo
	v_cmpx_ne_u16_e32 0, v24
	s_cbranch_execz .LBB270_313
; %bb.306:                              ;   in Loop: Header=BB270_9 Depth=1
	v_bfrev_b32_e32 v46, 1
	s_mov_b32 s17, exec_lo
	v_cmpx_ne_u16_e32 0x80, v24
	s_cbranch_execz .LBB270_312
; %bb.307:                              ;   in Loop: Header=BB270_9 Depth=1
	v_and_b32_e32 v0, 0xffff, v24
	v_mov_b32_e32 v46, 0x7c010000
	s_mov_b32 s18, exec_lo
	s_delay_alu instid0(VALU_DEP_2) | instskip(NEXT) | instid1(VALU_DEP_1)
	v_and_b32_e32 v3, 0x7f, v0
	v_cmpx_ne_u32_e32 0x7f, v3
	s_cbranch_execz .LBB270_311
; %bb.308:                              ;   in Loop: Header=BB270_9 Depth=1
	v_dual_lshrrev_b32 v2, 3, v3 :: v_dual_bitop2_b32 v1, 7, v0 bitop3:0x40
	s_mov_b32 s19, exec_lo
	v_cmpx_gt_u32_e32 8, v3
; %bb.309:                              ;   in Loop: Header=BB270_9 Depth=1
	s_delay_alu instid0(VALU_DEP_2) | instskip(NEXT) | instid1(VALU_DEP_1)
	v_clz_i32_u32_e32 v1, v1
	v_min_u32_e32 v1, 32, v1
	s_delay_alu instid0(VALU_DEP_1) | instskip(NEXT) | instid1(VALU_DEP_1)
	v_subrev_nc_u32_e32 v2, 28, v1
	v_lshlrev_b64_e32 v[6:7], v2, v[24:25]
	s_delay_alu instid0(VALU_DEP_1)
	v_dual_sub_nc_u32 v2, 29, v1 :: v_dual_bitop2_b32 v1, 7, v6 bitop3:0x40
; %bb.310:                              ;   in Loop: Header=BB270_9 Depth=1
	s_or_b32 exec_lo, exec_lo, s19
	s_delay_alu instid0(VALU_DEP_1) | instskip(NEXT) | instid1(VALU_DEP_2)
	v_dual_lshlrev_b32 v0, 8, v0 :: v_dual_lshlrev_b32 v1, 23, v1
	v_lshl_add_u32 v2, v2, 10, 0x2000
	s_delay_alu instid0(VALU_DEP_1) | instskip(NEXT) | instid1(VALU_DEP_1)
	v_and_or_b32 v0, 0x8000, v0, v2
	v_lshl_or_b32 v46, v0, 16, v1
.LBB270_311:                            ;   in Loop: Header=BB270_9 Depth=1
	s_or_b32 exec_lo, exec_lo, s18
.LBB270_312:                            ;   in Loop: Header=BB270_9 Depth=1
	s_delay_alu instid0(SALU_CYCLE_1)
	s_or_b32 exec_lo, exec_lo, s17
.LBB270_313:                            ;   in Loop: Header=BB270_9 Depth=1
	s_delay_alu instid0(SALU_CYCLE_1) | instskip(SKIP_3) | instid1(VALU_DEP_2)
	s_or_b32 exec_lo, exec_lo, s16
	v_dual_mov_b32 v57, 0 :: v_dual_lshrrev_b32 v24, 16, v8
	v_mov_b32_e32 v58, 0
	s_mov_b32 s16, exec_lo
	v_and_b32_e32 v0, 0xff, v24
	s_delay_alu instid0(VALU_DEP_1)
	v_cmpx_ne_u16_e32 0, v0
	s_cbranch_execz .LBB270_321
; %bb.314:                              ;   in Loop: Header=BB270_9 Depth=1
	v_mov_b32_e32 v58, 0x8000
	s_mov_b32 s17, exec_lo
	v_cmpx_ne_u16_e32 0x80, v0
	s_cbranch_execz .LBB270_320
; %bb.315:                              ;   in Loop: Header=BB270_9 Depth=1
	v_bfe_u32 v2, v8, 16, 7
	v_mov_b32_e32 v58, 0x7c01
	s_mov_b32 s18, exec_lo
	s_delay_alu instid0(VALU_DEP_2)
	v_cmpx_ne_u32_e32 0x7f, v2
	s_cbranch_execz .LBB270_319
; %bb.316:                              ;   in Loop: Header=BB270_9 Depth=1
	v_dual_lshrrev_b32 v1, 3, v2 :: v_dual_bitop2_b32 v0, 7, v24 bitop3:0x40
	s_mov_b32 s19, exec_lo
	v_cmpx_gt_u32_e32 8, v2
; %bb.317:                              ;   in Loop: Header=BB270_9 Depth=1
	s_delay_alu instid0(VALU_DEP_2) | instskip(NEXT) | instid1(VALU_DEP_1)
	v_clz_i32_u32_e32 v0, v0
	v_min_u32_e32 v2, 32, v0
	s_delay_alu instid0(VALU_DEP_1) | instskip(NEXT) | instid1(VALU_DEP_1)
	v_subrev_nc_u32_e32 v0, 28, v2
	v_lshlrev_b64_e32 v[0:1], v0, v[24:25]
	s_delay_alu instid0(VALU_DEP_1)
	v_dual_sub_nc_u32 v1, 29, v2 :: v_dual_bitop2_b32 v0, 7, v0 bitop3:0x40
; %bb.318:                              ;   in Loop: Header=BB270_9 Depth=1
	s_or_b32 exec_lo, exec_lo, s19
	v_lshlrev_b32_e32 v2, 8, v24
	s_delay_alu instid0(VALU_DEP_2) | instskip(NEXT) | instid1(VALU_DEP_3)
	v_lshl_add_u32 v1, v1, 10, 0x2000
	v_lshlrev_b32_e32 v0, 7, v0
	s_delay_alu instid0(VALU_DEP_3) | instskip(NEXT) | instid1(VALU_DEP_3)
	v_and_b32_e32 v2, 0x8000, v2
	v_and_b32_e32 v1, 0xfc00, v1
	s_delay_alu instid0(VALU_DEP_1)
	v_or3_b32 v58, v2, v1, v0
.LBB270_319:                            ;   in Loop: Header=BB270_9 Depth=1
	s_or_b32 exec_lo, exec_lo, s18
.LBB270_320:                            ;   in Loop: Header=BB270_9 Depth=1
	s_delay_alu instid0(SALU_CYCLE_1)
	s_or_b32 exec_lo, exec_lo, s17
.LBB270_321:                            ;   in Loop: Header=BB270_9 Depth=1
	s_delay_alu instid0(SALU_CYCLE_1) | instskip(NEXT) | instid1(SALU_CYCLE_1)
	s_or_b32 exec_lo, exec_lo, s16
	s_mov_b32 s16, exec_lo
	v_cmpx_lt_u32_e32 0xffffff, v8
	s_cbranch_execz .LBB270_329
; %bb.322:                              ;   in Loop: Header=BB270_9 Depth=1
	v_lshrrev_b32_e32 v24, 24, v8
	v_bfrev_b32_e32 v57, 1
	s_mov_b32 s17, exec_lo
	s_delay_alu instid0(VALU_DEP_2)
	v_cmpx_ne_u32_e32 0x80, v24
	s_cbranch_execz .LBB270_328
; %bb.323:                              ;   in Loop: Header=BB270_9 Depth=1
	v_and_b32_e32 v2, 0x7f, v24
	v_mov_b32_e32 v57, 0x7c010000
	s_mov_b32 s18, exec_lo
	s_delay_alu instid0(VALU_DEP_2)
	v_cmpx_ne_u32_e32 0x7f, v2
	s_cbranch_execz .LBB270_327
; %bb.324:                              ;   in Loop: Header=BB270_9 Depth=1
	v_dual_lshrrev_b32 v1, 3, v2 :: v_dual_bitop2_b32 v0, 7, v24 bitop3:0x40
	s_mov_b32 s19, exec_lo
	v_cmpx_gt_u32_e32 8, v2
; %bb.325:                              ;   in Loop: Header=BB270_9 Depth=1
	s_delay_alu instid0(VALU_DEP_2) | instskip(NEXT) | instid1(VALU_DEP_1)
	v_clz_i32_u32_e32 v0, v0
	v_min_u32_e32 v2, 32, v0
	s_delay_alu instid0(VALU_DEP_1) | instskip(NEXT) | instid1(VALU_DEP_1)
	v_subrev_nc_u32_e32 v0, 28, v2
	v_lshlrev_b64_e32 v[0:1], v0, v[24:25]
	s_delay_alu instid0(VALU_DEP_1)
	v_dual_sub_nc_u32 v1, 29, v2 :: v_dual_bitop2_b32 v0, 7, v0 bitop3:0x40
; %bb.326:                              ;   in Loop: Header=BB270_9 Depth=1
	s_or_b32 exec_lo, exec_lo, s19
	v_lshlrev_b32_e32 v2, 8, v24
	s_delay_alu instid0(VALU_DEP_2) | instskip(NEXT) | instid1(VALU_DEP_3)
	v_lshl_add_u32 v1, v1, 10, 0x2000
	v_lshlrev_b32_e32 v0, 23, v0
	s_delay_alu instid0(VALU_DEP_2) | instskip(NEXT) | instid1(VALU_DEP_1)
	v_and_or_b32 v1, 0x8000, v2, v1
	v_lshl_or_b32 v57, v1, 16, v0
.LBB270_327:                            ;   in Loop: Header=BB270_9 Depth=1
	s_or_b32 exec_lo, exec_lo, s18
.LBB270_328:                            ;   in Loop: Header=BB270_9 Depth=1
	s_delay_alu instid0(SALU_CYCLE_1)
	s_or_b32 exec_lo, exec_lo, s17
.LBB270_329:                            ;   in Loop: Header=BB270_9 Depth=1
	s_delay_alu instid0(SALU_CYCLE_1)
	s_or_b32 exec_lo, exec_lo, s16
	flat_load_b32 v8, v[28:29] offset:1280
	v_dual_mov_b32 v63, 0 :: v_dual_mov_b32 v72, 0
	s_mov_b32 s16, exec_lo
	s_wait_loadcnt_dscnt 0x0
	v_and_b32_e32 v0, 0xff, v8
	s_wait_xcnt 0x0
	s_delay_alu instid0(VALU_DEP_1)
	v_cmpx_ne_u16_e32 0, v0
	s_cbranch_execz .LBB270_337
; %bb.330:                              ;   in Loop: Header=BB270_9 Depth=1
	v_mov_b32_e32 v72, 0x8000
	s_mov_b32 s17, exec_lo
	v_cmpx_ne_u16_e32 0x80, v0
	s_cbranch_execz .LBB270_336
; %bb.331:                              ;   in Loop: Header=BB270_9 Depth=1
	v_and_b32_e32 v2, 0x7f, v8
	v_mov_b32_e32 v72, 0x7c01
	s_mov_b32 s18, exec_lo
	s_delay_alu instid0(VALU_DEP_2)
	v_cmpx_ne_u32_e32 0x7f, v2
	s_cbranch_execz .LBB270_335
; %bb.332:                              ;   in Loop: Header=BB270_9 Depth=1
	v_dual_lshrrev_b32 v1, 3, v2 :: v_dual_bitop2_b32 v0, 7, v8 bitop3:0x40
	s_mov_b32 s19, exec_lo
	v_cmpx_gt_u32_e32 8, v2
; %bb.333:                              ;   in Loop: Header=BB270_9 Depth=1
	s_delay_alu instid0(VALU_DEP_2) | instskip(NEXT) | instid1(VALU_DEP_1)
	v_clz_i32_u32_e32 v0, v0
	v_min_u32_e32 v2, 32, v0
	s_delay_alu instid0(VALU_DEP_1) | instskip(NEXT) | instid1(VALU_DEP_1)
	v_subrev_nc_u32_e32 v0, 28, v2
	v_lshlrev_b64_e32 v[0:1], v0, v[8:9]
	s_delay_alu instid0(VALU_DEP_1)
	v_dual_sub_nc_u32 v1, 29, v2 :: v_dual_bitop2_b32 v0, 7, v0 bitop3:0x40
; %bb.334:                              ;   in Loop: Header=BB270_9 Depth=1
	s_or_b32 exec_lo, exec_lo, s19
	v_lshlrev_b32_e32 v2, 8, v8
	s_delay_alu instid0(VALU_DEP_2) | instskip(NEXT) | instid1(VALU_DEP_3)
	v_lshl_add_u32 v1, v1, 10, 0x2000
	v_lshlrev_b32_e32 v0, 7, v0
	s_delay_alu instid0(VALU_DEP_3) | instskip(NEXT) | instid1(VALU_DEP_3)
	v_and_b32_e32 v2, 0x8000, v2
	v_and_b32_e32 v1, 0xfc00, v1
	s_delay_alu instid0(VALU_DEP_1)
	v_or3_b32 v72, v2, v1, v0
.LBB270_335:                            ;   in Loop: Header=BB270_9 Depth=1
	s_or_b32 exec_lo, exec_lo, s18
.LBB270_336:                            ;   in Loop: Header=BB270_9 Depth=1
	s_delay_alu instid0(SALU_CYCLE_1)
	s_or_b32 exec_lo, exec_lo, s17
.LBB270_337:                            ;   in Loop: Header=BB270_9 Depth=1
	s_delay_alu instid0(SALU_CYCLE_1) | instskip(SKIP_2) | instid1(VALU_DEP_1)
	s_or_b32 exec_lo, exec_lo, s16
	v_lshrrev_b16 v24, 8, v8
	s_mov_b32 s16, exec_lo
	v_cmpx_ne_u16_e32 0, v24
	s_cbranch_execz .LBB270_345
; %bb.338:                              ;   in Loop: Header=BB270_9 Depth=1
	v_bfrev_b32_e32 v63, 1
	s_mov_b32 s17, exec_lo
	v_cmpx_ne_u16_e32 0x80, v24
	s_cbranch_execz .LBB270_344
; %bb.339:                              ;   in Loop: Header=BB270_9 Depth=1
	v_and_b32_e32 v0, 0xffff, v24
	v_mov_b32_e32 v63, 0x7c010000
	s_mov_b32 s18, exec_lo
	s_delay_alu instid0(VALU_DEP_2) | instskip(NEXT) | instid1(VALU_DEP_1)
	v_and_b32_e32 v3, 0x7f, v0
	v_cmpx_ne_u32_e32 0x7f, v3
	s_cbranch_execz .LBB270_343
; %bb.340:                              ;   in Loop: Header=BB270_9 Depth=1
	v_dual_lshrrev_b32 v2, 3, v3 :: v_dual_bitop2_b32 v1, 7, v0 bitop3:0x40
	s_mov_b32 s19, exec_lo
	v_cmpx_gt_u32_e32 8, v3
; %bb.341:                              ;   in Loop: Header=BB270_9 Depth=1
	s_delay_alu instid0(VALU_DEP_2) | instskip(NEXT) | instid1(VALU_DEP_1)
	v_clz_i32_u32_e32 v1, v1
	v_min_u32_e32 v1, 32, v1
	s_delay_alu instid0(VALU_DEP_1) | instskip(NEXT) | instid1(VALU_DEP_1)
	v_subrev_nc_u32_e32 v2, 28, v1
	v_lshlrev_b64_e32 v[6:7], v2, v[24:25]
	s_delay_alu instid0(VALU_DEP_1)
	v_dual_sub_nc_u32 v2, 29, v1 :: v_dual_bitop2_b32 v1, 7, v6 bitop3:0x40
; %bb.342:                              ;   in Loop: Header=BB270_9 Depth=1
	s_or_b32 exec_lo, exec_lo, s19
	s_delay_alu instid0(VALU_DEP_1) | instskip(NEXT) | instid1(VALU_DEP_2)
	v_dual_lshlrev_b32 v0, 8, v0 :: v_dual_lshlrev_b32 v1, 23, v1
	v_lshl_add_u32 v2, v2, 10, 0x2000
	s_delay_alu instid0(VALU_DEP_1) | instskip(NEXT) | instid1(VALU_DEP_1)
	v_and_or_b32 v0, 0x8000, v0, v2
	v_lshl_or_b32 v63, v0, 16, v1
.LBB270_343:                            ;   in Loop: Header=BB270_9 Depth=1
	s_or_b32 exec_lo, exec_lo, s18
.LBB270_344:                            ;   in Loop: Header=BB270_9 Depth=1
	s_delay_alu instid0(SALU_CYCLE_1)
	s_or_b32 exec_lo, exec_lo, s17
.LBB270_345:                            ;   in Loop: Header=BB270_9 Depth=1
	s_delay_alu instid0(SALU_CYCLE_1) | instskip(SKIP_3) | instid1(VALU_DEP_2)
	s_or_b32 exec_lo, exec_lo, s16
	v_dual_lshrrev_b32 v24, 16, v8 :: v_dual_mov_b32 v74, 0
	v_mov_b32_e32 v76, 0
	s_mov_b32 s16, exec_lo
	v_and_b32_e32 v0, 0xff, v24
	s_delay_alu instid0(VALU_DEP_1)
	v_cmpx_ne_u16_e32 0, v0
	s_cbranch_execz .LBB270_353
; %bb.346:                              ;   in Loop: Header=BB270_9 Depth=1
	v_mov_b32_e32 v76, 0x8000
	s_mov_b32 s17, exec_lo
	v_cmpx_ne_u16_e32 0x80, v0
	s_cbranch_execz .LBB270_352
; %bb.347:                              ;   in Loop: Header=BB270_9 Depth=1
	v_bfe_u32 v2, v8, 16, 7
	v_mov_b32_e32 v76, 0x7c01
	s_mov_b32 s18, exec_lo
	s_delay_alu instid0(VALU_DEP_2)
	v_cmpx_ne_u32_e32 0x7f, v2
	s_cbranch_execz .LBB270_351
; %bb.348:                              ;   in Loop: Header=BB270_9 Depth=1
	v_dual_lshrrev_b32 v1, 3, v2 :: v_dual_bitop2_b32 v0, 7, v24 bitop3:0x40
	s_mov_b32 s19, exec_lo
	v_cmpx_gt_u32_e32 8, v2
; %bb.349:                              ;   in Loop: Header=BB270_9 Depth=1
	s_delay_alu instid0(VALU_DEP_2) | instskip(NEXT) | instid1(VALU_DEP_1)
	v_clz_i32_u32_e32 v0, v0
	v_min_u32_e32 v2, 32, v0
	s_delay_alu instid0(VALU_DEP_1) | instskip(NEXT) | instid1(VALU_DEP_1)
	v_subrev_nc_u32_e32 v0, 28, v2
	v_lshlrev_b64_e32 v[0:1], v0, v[24:25]
	s_delay_alu instid0(VALU_DEP_1)
	v_dual_sub_nc_u32 v1, 29, v2 :: v_dual_bitop2_b32 v0, 7, v0 bitop3:0x40
; %bb.350:                              ;   in Loop: Header=BB270_9 Depth=1
	s_or_b32 exec_lo, exec_lo, s19
	v_lshlrev_b32_e32 v2, 8, v24
	s_delay_alu instid0(VALU_DEP_2) | instskip(NEXT) | instid1(VALU_DEP_3)
	v_lshl_add_u32 v1, v1, 10, 0x2000
	v_lshlrev_b32_e32 v0, 7, v0
	s_delay_alu instid0(VALU_DEP_3) | instskip(NEXT) | instid1(VALU_DEP_3)
	v_and_b32_e32 v2, 0x8000, v2
	v_and_b32_e32 v1, 0xfc00, v1
	s_delay_alu instid0(VALU_DEP_1)
	v_or3_b32 v76, v2, v1, v0
.LBB270_351:                            ;   in Loop: Header=BB270_9 Depth=1
	s_or_b32 exec_lo, exec_lo, s18
.LBB270_352:                            ;   in Loop: Header=BB270_9 Depth=1
	s_delay_alu instid0(SALU_CYCLE_1)
	s_or_b32 exec_lo, exec_lo, s17
.LBB270_353:                            ;   in Loop: Header=BB270_9 Depth=1
	s_delay_alu instid0(SALU_CYCLE_1) | instskip(NEXT) | instid1(SALU_CYCLE_1)
	s_or_b32 exec_lo, exec_lo, s16
	s_mov_b32 s16, exec_lo
	v_cmpx_lt_u32_e32 0xffffff, v8
	s_cbranch_execz .LBB270_361
; %bb.354:                              ;   in Loop: Header=BB270_9 Depth=1
	v_lshrrev_b32_e32 v24, 24, v8
	v_bfrev_b32_e32 v74, 1
	s_mov_b32 s17, exec_lo
	s_delay_alu instid0(VALU_DEP_2)
	v_cmpx_ne_u32_e32 0x80, v24
	s_cbranch_execz .LBB270_360
; %bb.355:                              ;   in Loop: Header=BB270_9 Depth=1
	v_and_b32_e32 v2, 0x7f, v24
	v_mov_b32_e32 v74, 0x7c010000
	s_mov_b32 s18, exec_lo
	s_delay_alu instid0(VALU_DEP_2)
	v_cmpx_ne_u32_e32 0x7f, v2
	s_cbranch_execz .LBB270_359
; %bb.356:                              ;   in Loop: Header=BB270_9 Depth=1
	v_dual_lshrrev_b32 v1, 3, v2 :: v_dual_bitop2_b32 v0, 7, v24 bitop3:0x40
	s_mov_b32 s19, exec_lo
	v_cmpx_gt_u32_e32 8, v2
; %bb.357:                              ;   in Loop: Header=BB270_9 Depth=1
	s_delay_alu instid0(VALU_DEP_2) | instskip(NEXT) | instid1(VALU_DEP_1)
	v_clz_i32_u32_e32 v0, v0
	v_min_u32_e32 v2, 32, v0
	s_delay_alu instid0(VALU_DEP_1) | instskip(NEXT) | instid1(VALU_DEP_1)
	v_subrev_nc_u32_e32 v0, 28, v2
	v_lshlrev_b64_e32 v[0:1], v0, v[24:25]
	s_delay_alu instid0(VALU_DEP_1)
	v_dual_sub_nc_u32 v1, 29, v2 :: v_dual_bitop2_b32 v0, 7, v0 bitop3:0x40
; %bb.358:                              ;   in Loop: Header=BB270_9 Depth=1
	s_or_b32 exec_lo, exec_lo, s19
	v_lshlrev_b32_e32 v2, 8, v24
	s_delay_alu instid0(VALU_DEP_2) | instskip(NEXT) | instid1(VALU_DEP_3)
	v_lshl_add_u32 v1, v1, 10, 0x2000
	v_lshlrev_b32_e32 v0, 23, v0
	s_delay_alu instid0(VALU_DEP_2) | instskip(NEXT) | instid1(VALU_DEP_1)
	v_and_or_b32 v1, 0x8000, v2, v1
	v_lshl_or_b32 v74, v1, 16, v0
.LBB270_359:                            ;   in Loop: Header=BB270_9 Depth=1
	s_or_b32 exec_lo, exec_lo, s18
.LBB270_360:                            ;   in Loop: Header=BB270_9 Depth=1
	s_delay_alu instid0(SALU_CYCLE_1)
	s_or_b32 exec_lo, exec_lo, s17
.LBB270_361:                            ;   in Loop: Header=BB270_9 Depth=1
	s_delay_alu instid0(SALU_CYCLE_1)
	s_or_b32 exec_lo, exec_lo, s16
	flat_load_b32 v8, v[28:29] offset:1288
	v_dual_mov_b32 v88, 0 :: v_dual_mov_b32 v89, 0
	s_mov_b32 s16, exec_lo
	s_wait_loadcnt_dscnt 0x0
	v_and_b32_e32 v0, 0xff, v8
	s_wait_xcnt 0x0
	s_delay_alu instid0(VALU_DEP_1)
	v_cmpx_ne_u16_e32 0, v0
	s_cbranch_execz .LBB270_369
; %bb.362:                              ;   in Loop: Header=BB270_9 Depth=1
	v_mov_b32_e32 v89, 0x8000
	s_mov_b32 s17, exec_lo
	v_cmpx_ne_u16_e32 0x80, v0
	s_cbranch_execz .LBB270_368
; %bb.363:                              ;   in Loop: Header=BB270_9 Depth=1
	v_and_b32_e32 v2, 0x7f, v8
	v_mov_b32_e32 v89, 0x7c01
	s_mov_b32 s18, exec_lo
	s_delay_alu instid0(VALU_DEP_2)
	v_cmpx_ne_u32_e32 0x7f, v2
	s_cbranch_execz .LBB270_367
; %bb.364:                              ;   in Loop: Header=BB270_9 Depth=1
	v_dual_lshrrev_b32 v1, 3, v2 :: v_dual_bitop2_b32 v0, 7, v8 bitop3:0x40
	s_mov_b32 s19, exec_lo
	v_cmpx_gt_u32_e32 8, v2
; %bb.365:                              ;   in Loop: Header=BB270_9 Depth=1
	s_delay_alu instid0(VALU_DEP_2) | instskip(NEXT) | instid1(VALU_DEP_1)
	v_clz_i32_u32_e32 v0, v0
	v_min_u32_e32 v2, 32, v0
	s_delay_alu instid0(VALU_DEP_1) | instskip(NEXT) | instid1(VALU_DEP_1)
	v_subrev_nc_u32_e32 v0, 28, v2
	v_lshlrev_b64_e32 v[0:1], v0, v[8:9]
	s_delay_alu instid0(VALU_DEP_1)
	v_dual_sub_nc_u32 v1, 29, v2 :: v_dual_bitop2_b32 v0, 7, v0 bitop3:0x40
; %bb.366:                              ;   in Loop: Header=BB270_9 Depth=1
	s_or_b32 exec_lo, exec_lo, s19
	v_lshlrev_b32_e32 v2, 8, v8
	s_delay_alu instid0(VALU_DEP_2) | instskip(NEXT) | instid1(VALU_DEP_3)
	v_lshl_add_u32 v1, v1, 10, 0x2000
	v_lshlrev_b32_e32 v0, 7, v0
	s_delay_alu instid0(VALU_DEP_3) | instskip(NEXT) | instid1(VALU_DEP_3)
	v_and_b32_e32 v2, 0x8000, v2
	v_and_b32_e32 v1, 0xfc00, v1
	s_delay_alu instid0(VALU_DEP_1)
	v_or3_b32 v89, v2, v1, v0
.LBB270_367:                            ;   in Loop: Header=BB270_9 Depth=1
	s_or_b32 exec_lo, exec_lo, s18
.LBB270_368:                            ;   in Loop: Header=BB270_9 Depth=1
	s_delay_alu instid0(SALU_CYCLE_1)
	s_or_b32 exec_lo, exec_lo, s17
.LBB270_369:                            ;   in Loop: Header=BB270_9 Depth=1
	s_delay_alu instid0(SALU_CYCLE_1) | instskip(SKIP_2) | instid1(VALU_DEP_1)
	s_or_b32 exec_lo, exec_lo, s16
	v_lshrrev_b16 v24, 8, v8
	s_mov_b32 s16, exec_lo
	v_cmpx_ne_u16_e32 0, v24
	s_cbranch_execz .LBB270_377
; %bb.370:                              ;   in Loop: Header=BB270_9 Depth=1
	v_bfrev_b32_e32 v88, 1
	s_mov_b32 s17, exec_lo
	v_cmpx_ne_u16_e32 0x80, v24
	s_cbranch_execz .LBB270_376
; %bb.371:                              ;   in Loop: Header=BB270_9 Depth=1
	v_and_b32_e32 v0, 0xffff, v24
	v_mov_b32_e32 v88, 0x7c010000
	s_mov_b32 s18, exec_lo
	s_delay_alu instid0(VALU_DEP_2) | instskip(NEXT) | instid1(VALU_DEP_1)
	v_and_b32_e32 v3, 0x7f, v0
	v_cmpx_ne_u32_e32 0x7f, v3
	s_cbranch_execz .LBB270_375
; %bb.372:                              ;   in Loop: Header=BB270_9 Depth=1
	v_dual_lshrrev_b32 v2, 3, v3 :: v_dual_bitop2_b32 v1, 7, v0 bitop3:0x40
	s_mov_b32 s19, exec_lo
	v_cmpx_gt_u32_e32 8, v3
; %bb.373:                              ;   in Loop: Header=BB270_9 Depth=1
	s_delay_alu instid0(VALU_DEP_2) | instskip(NEXT) | instid1(VALU_DEP_1)
	v_clz_i32_u32_e32 v1, v1
	v_min_u32_e32 v1, 32, v1
	s_delay_alu instid0(VALU_DEP_1) | instskip(NEXT) | instid1(VALU_DEP_1)
	v_subrev_nc_u32_e32 v2, 28, v1
	v_lshlrev_b64_e32 v[6:7], v2, v[24:25]
	s_delay_alu instid0(VALU_DEP_1)
	v_dual_sub_nc_u32 v2, 29, v1 :: v_dual_bitop2_b32 v1, 7, v6 bitop3:0x40
; %bb.374:                              ;   in Loop: Header=BB270_9 Depth=1
	s_or_b32 exec_lo, exec_lo, s19
	s_delay_alu instid0(VALU_DEP_1) | instskip(NEXT) | instid1(VALU_DEP_2)
	v_dual_lshlrev_b32 v0, 8, v0 :: v_dual_lshlrev_b32 v1, 23, v1
	v_lshl_add_u32 v2, v2, 10, 0x2000
	s_delay_alu instid0(VALU_DEP_1) | instskip(NEXT) | instid1(VALU_DEP_1)
	v_and_or_b32 v0, 0x8000, v0, v2
	v_lshl_or_b32 v88, v0, 16, v1
.LBB270_375:                            ;   in Loop: Header=BB270_9 Depth=1
	s_or_b32 exec_lo, exec_lo, s18
.LBB270_376:                            ;   in Loop: Header=BB270_9 Depth=1
	s_delay_alu instid0(SALU_CYCLE_1)
	s_or_b32 exec_lo, exec_lo, s17
.LBB270_377:                            ;   in Loop: Header=BB270_9 Depth=1
	s_delay_alu instid0(SALU_CYCLE_1) | instskip(SKIP_3) | instid1(VALU_DEP_2)
	s_or_b32 exec_lo, exec_lo, s16
	v_dual_lshrrev_b32 v24, 16, v8 :: v_dual_mov_b32 v94, 0
	v_mov_b32_e32 v95, 0
	s_mov_b32 s16, exec_lo
	v_and_b32_e32 v0, 0xff, v24
	s_delay_alu instid0(VALU_DEP_1)
	v_cmpx_ne_u16_e32 0, v0
	s_cbranch_execz .LBB270_385
; %bb.378:                              ;   in Loop: Header=BB270_9 Depth=1
	v_mov_b32_e32 v95, 0x8000
	s_mov_b32 s17, exec_lo
	v_cmpx_ne_u16_e32 0x80, v0
	s_cbranch_execz .LBB270_384
; %bb.379:                              ;   in Loop: Header=BB270_9 Depth=1
	v_bfe_u32 v2, v8, 16, 7
	v_mov_b32_e32 v95, 0x7c01
	s_mov_b32 s18, exec_lo
	s_delay_alu instid0(VALU_DEP_2)
	v_cmpx_ne_u32_e32 0x7f, v2
	s_cbranch_execz .LBB270_383
; %bb.380:                              ;   in Loop: Header=BB270_9 Depth=1
	v_dual_lshrrev_b32 v1, 3, v2 :: v_dual_bitop2_b32 v0, 7, v24 bitop3:0x40
	s_mov_b32 s19, exec_lo
	v_cmpx_gt_u32_e32 8, v2
; %bb.381:                              ;   in Loop: Header=BB270_9 Depth=1
	s_delay_alu instid0(VALU_DEP_2) | instskip(NEXT) | instid1(VALU_DEP_1)
	v_clz_i32_u32_e32 v0, v0
	v_min_u32_e32 v2, 32, v0
	s_delay_alu instid0(VALU_DEP_1) | instskip(NEXT) | instid1(VALU_DEP_1)
	v_subrev_nc_u32_e32 v0, 28, v2
	v_lshlrev_b64_e32 v[0:1], v0, v[24:25]
	s_delay_alu instid0(VALU_DEP_1)
	v_dual_sub_nc_u32 v1, 29, v2 :: v_dual_bitop2_b32 v0, 7, v0 bitop3:0x40
; %bb.382:                              ;   in Loop: Header=BB270_9 Depth=1
	s_or_b32 exec_lo, exec_lo, s19
	v_lshlrev_b32_e32 v2, 8, v24
	s_delay_alu instid0(VALU_DEP_2) | instskip(NEXT) | instid1(VALU_DEP_3)
	v_lshl_add_u32 v1, v1, 10, 0x2000
	v_lshlrev_b32_e32 v0, 7, v0
	s_delay_alu instid0(VALU_DEP_3) | instskip(NEXT) | instid1(VALU_DEP_3)
	v_and_b32_e32 v2, 0x8000, v2
	v_and_b32_e32 v1, 0xfc00, v1
	s_delay_alu instid0(VALU_DEP_1)
	v_or3_b32 v95, v2, v1, v0
.LBB270_383:                            ;   in Loop: Header=BB270_9 Depth=1
	s_or_b32 exec_lo, exec_lo, s18
.LBB270_384:                            ;   in Loop: Header=BB270_9 Depth=1
	s_delay_alu instid0(SALU_CYCLE_1)
	s_or_b32 exec_lo, exec_lo, s17
.LBB270_385:                            ;   in Loop: Header=BB270_9 Depth=1
	s_delay_alu instid0(SALU_CYCLE_1) | instskip(NEXT) | instid1(SALU_CYCLE_1)
	s_or_b32 exec_lo, exec_lo, s16
	s_mov_b32 s16, exec_lo
	v_cmpx_lt_u32_e32 0xffffff, v8
	s_cbranch_execz .LBB270_393
; %bb.386:                              ;   in Loop: Header=BB270_9 Depth=1
	v_lshrrev_b32_e32 v24, 24, v8
	v_bfrev_b32_e32 v94, 1
	s_mov_b32 s17, exec_lo
	s_delay_alu instid0(VALU_DEP_2)
	v_cmpx_ne_u32_e32 0x80, v24
	s_cbranch_execz .LBB270_392
; %bb.387:                              ;   in Loop: Header=BB270_9 Depth=1
	v_and_b32_e32 v2, 0x7f, v24
	v_mov_b32_e32 v94, 0x7c010000
	s_mov_b32 s18, exec_lo
	s_delay_alu instid0(VALU_DEP_2)
	v_cmpx_ne_u32_e32 0x7f, v2
	s_cbranch_execz .LBB270_391
; %bb.388:                              ;   in Loop: Header=BB270_9 Depth=1
	v_dual_lshrrev_b32 v1, 3, v2 :: v_dual_bitop2_b32 v0, 7, v24 bitop3:0x40
	s_mov_b32 s19, exec_lo
	v_cmpx_gt_u32_e32 8, v2
; %bb.389:                              ;   in Loop: Header=BB270_9 Depth=1
	s_delay_alu instid0(VALU_DEP_2) | instskip(NEXT) | instid1(VALU_DEP_1)
	v_clz_i32_u32_e32 v0, v0
	v_min_u32_e32 v2, 32, v0
	s_delay_alu instid0(VALU_DEP_1) | instskip(NEXT) | instid1(VALU_DEP_1)
	v_subrev_nc_u32_e32 v0, 28, v2
	v_lshlrev_b64_e32 v[0:1], v0, v[24:25]
	s_delay_alu instid0(VALU_DEP_1)
	v_dual_sub_nc_u32 v1, 29, v2 :: v_dual_bitop2_b32 v0, 7, v0 bitop3:0x40
; %bb.390:                              ;   in Loop: Header=BB270_9 Depth=1
	s_or_b32 exec_lo, exec_lo, s19
	v_lshlrev_b32_e32 v2, 8, v24
	s_delay_alu instid0(VALU_DEP_2) | instskip(NEXT) | instid1(VALU_DEP_3)
	v_lshl_add_u32 v1, v1, 10, 0x2000
	v_lshlrev_b32_e32 v0, 23, v0
	s_delay_alu instid0(VALU_DEP_2) | instskip(NEXT) | instid1(VALU_DEP_1)
	v_and_or_b32 v1, 0x8000, v2, v1
	v_lshl_or_b32 v94, v1, 16, v0
.LBB270_391:                            ;   in Loop: Header=BB270_9 Depth=1
	s_or_b32 exec_lo, exec_lo, s18
.LBB270_392:                            ;   in Loop: Header=BB270_9 Depth=1
	s_delay_alu instid0(SALU_CYCLE_1)
	s_or_b32 exec_lo, exec_lo, s17
.LBB270_393:                            ;   in Loop: Header=BB270_9 Depth=1
	s_delay_alu instid0(SALU_CYCLE_1)
	s_or_b32 exec_lo, exec_lo, s16
	flat_load_b32 v8, v[28:29] offset:1536
	v_dual_mov_b32 v107, 0 :: v_dual_mov_b32 v108, 0
	s_mov_b32 s16, exec_lo
	s_wait_loadcnt_dscnt 0x0
	v_and_b32_e32 v0, 0xff, v8
	s_wait_xcnt 0x0
	s_delay_alu instid0(VALU_DEP_1)
	v_cmpx_ne_u16_e32 0, v0
	s_cbranch_execz .LBB270_401
; %bb.394:                              ;   in Loop: Header=BB270_9 Depth=1
	v_mov_b32_e32 v108, 0x8000
	s_mov_b32 s17, exec_lo
	v_cmpx_ne_u16_e32 0x80, v0
	s_cbranch_execz .LBB270_400
; %bb.395:                              ;   in Loop: Header=BB270_9 Depth=1
	v_and_b32_e32 v2, 0x7f, v8
	v_mov_b32_e32 v108, 0x7c01
	s_mov_b32 s18, exec_lo
	s_delay_alu instid0(VALU_DEP_2)
	v_cmpx_ne_u32_e32 0x7f, v2
	s_cbranch_execz .LBB270_399
; %bb.396:                              ;   in Loop: Header=BB270_9 Depth=1
	v_dual_lshrrev_b32 v1, 3, v2 :: v_dual_bitop2_b32 v0, 7, v8 bitop3:0x40
	s_mov_b32 s19, exec_lo
	v_cmpx_gt_u32_e32 8, v2
; %bb.397:                              ;   in Loop: Header=BB270_9 Depth=1
	s_delay_alu instid0(VALU_DEP_2) | instskip(NEXT) | instid1(VALU_DEP_1)
	v_clz_i32_u32_e32 v0, v0
	v_min_u32_e32 v2, 32, v0
	s_delay_alu instid0(VALU_DEP_1) | instskip(NEXT) | instid1(VALU_DEP_1)
	v_subrev_nc_u32_e32 v0, 28, v2
	v_lshlrev_b64_e32 v[0:1], v0, v[8:9]
	s_delay_alu instid0(VALU_DEP_1)
	v_dual_sub_nc_u32 v1, 29, v2 :: v_dual_bitop2_b32 v0, 7, v0 bitop3:0x40
; %bb.398:                              ;   in Loop: Header=BB270_9 Depth=1
	s_or_b32 exec_lo, exec_lo, s19
	v_lshlrev_b32_e32 v2, 8, v8
	s_delay_alu instid0(VALU_DEP_2) | instskip(NEXT) | instid1(VALU_DEP_3)
	v_lshl_add_u32 v1, v1, 10, 0x2000
	v_lshlrev_b32_e32 v0, 7, v0
	s_delay_alu instid0(VALU_DEP_3) | instskip(NEXT) | instid1(VALU_DEP_3)
	v_and_b32_e32 v2, 0x8000, v2
	v_and_b32_e32 v1, 0xfc00, v1
	s_delay_alu instid0(VALU_DEP_1)
	v_or3_b32 v108, v2, v1, v0
.LBB270_399:                            ;   in Loop: Header=BB270_9 Depth=1
	s_or_b32 exec_lo, exec_lo, s18
.LBB270_400:                            ;   in Loop: Header=BB270_9 Depth=1
	s_delay_alu instid0(SALU_CYCLE_1)
	s_or_b32 exec_lo, exec_lo, s17
.LBB270_401:                            ;   in Loop: Header=BB270_9 Depth=1
	s_delay_alu instid0(SALU_CYCLE_1) | instskip(SKIP_2) | instid1(VALU_DEP_1)
	s_or_b32 exec_lo, exec_lo, s16
	v_lshrrev_b16 v24, 8, v8
	s_mov_b32 s16, exec_lo
	v_cmpx_ne_u16_e32 0, v24
	s_cbranch_execz .LBB270_409
; %bb.402:                              ;   in Loop: Header=BB270_9 Depth=1
	v_bfrev_b32_e32 v107, 1
	s_mov_b32 s17, exec_lo
	v_cmpx_ne_u16_e32 0x80, v24
	s_cbranch_execz .LBB270_408
; %bb.403:                              ;   in Loop: Header=BB270_9 Depth=1
	v_and_b32_e32 v0, 0xffff, v24
	v_mov_b32_e32 v107, 0x7c010000
	s_mov_b32 s18, exec_lo
	s_delay_alu instid0(VALU_DEP_2) | instskip(NEXT) | instid1(VALU_DEP_1)
	v_and_b32_e32 v3, 0x7f, v0
	v_cmpx_ne_u32_e32 0x7f, v3
	s_cbranch_execz .LBB270_407
; %bb.404:                              ;   in Loop: Header=BB270_9 Depth=1
	v_dual_lshrrev_b32 v2, 3, v3 :: v_dual_bitop2_b32 v1, 7, v0 bitop3:0x40
	s_mov_b32 s19, exec_lo
	v_cmpx_gt_u32_e32 8, v3
; %bb.405:                              ;   in Loop: Header=BB270_9 Depth=1
	s_delay_alu instid0(VALU_DEP_2) | instskip(NEXT) | instid1(VALU_DEP_1)
	v_clz_i32_u32_e32 v1, v1
	v_min_u32_e32 v1, 32, v1
	s_delay_alu instid0(VALU_DEP_1) | instskip(NEXT) | instid1(VALU_DEP_1)
	v_subrev_nc_u32_e32 v2, 28, v1
	v_lshlrev_b64_e32 v[6:7], v2, v[24:25]
	s_delay_alu instid0(VALU_DEP_1)
	v_dual_sub_nc_u32 v2, 29, v1 :: v_dual_bitop2_b32 v1, 7, v6 bitop3:0x40
; %bb.406:                              ;   in Loop: Header=BB270_9 Depth=1
	s_or_b32 exec_lo, exec_lo, s19
	s_delay_alu instid0(VALU_DEP_1) | instskip(NEXT) | instid1(VALU_DEP_2)
	v_dual_lshlrev_b32 v0, 8, v0 :: v_dual_lshlrev_b32 v1, 23, v1
	v_lshl_add_u32 v2, v2, 10, 0x2000
	s_delay_alu instid0(VALU_DEP_1) | instskip(NEXT) | instid1(VALU_DEP_1)
	v_and_or_b32 v0, 0x8000, v0, v2
	v_lshl_or_b32 v107, v0, 16, v1
.LBB270_407:                            ;   in Loop: Header=BB270_9 Depth=1
	s_or_b32 exec_lo, exec_lo, s18
.LBB270_408:                            ;   in Loop: Header=BB270_9 Depth=1
	s_delay_alu instid0(SALU_CYCLE_1)
	s_or_b32 exec_lo, exec_lo, s17
.LBB270_409:                            ;   in Loop: Header=BB270_9 Depth=1
	s_delay_alu instid0(SALU_CYCLE_1) | instskip(SKIP_3) | instid1(VALU_DEP_2)
	s_or_b32 exec_lo, exec_lo, s16
	v_dual_mov_b32 v111, 0 :: v_dual_lshrrev_b32 v24, 16, v8
	v_mov_b32_e32 v120, 0
	s_mov_b32 s16, exec_lo
	v_and_b32_e32 v0, 0xff, v24
	s_delay_alu instid0(VALU_DEP_1)
	v_cmpx_ne_u16_e32 0, v0
	s_cbranch_execz .LBB270_417
; %bb.410:                              ;   in Loop: Header=BB270_9 Depth=1
	v_mov_b32_e32 v120, 0x8000
	s_mov_b32 s17, exec_lo
	v_cmpx_ne_u16_e32 0x80, v0
	s_cbranch_execz .LBB270_416
; %bb.411:                              ;   in Loop: Header=BB270_9 Depth=1
	v_bfe_u32 v2, v8, 16, 7
	v_mov_b32_e32 v120, 0x7c01
	s_mov_b32 s18, exec_lo
	s_delay_alu instid0(VALU_DEP_2)
	v_cmpx_ne_u32_e32 0x7f, v2
	s_cbranch_execz .LBB270_415
; %bb.412:                              ;   in Loop: Header=BB270_9 Depth=1
	v_dual_lshrrev_b32 v1, 3, v2 :: v_dual_bitop2_b32 v0, 7, v24 bitop3:0x40
	s_mov_b32 s19, exec_lo
	v_cmpx_gt_u32_e32 8, v2
; %bb.413:                              ;   in Loop: Header=BB270_9 Depth=1
	s_delay_alu instid0(VALU_DEP_2) | instskip(NEXT) | instid1(VALU_DEP_1)
	v_clz_i32_u32_e32 v0, v0
	v_min_u32_e32 v2, 32, v0
	s_delay_alu instid0(VALU_DEP_1) | instskip(NEXT) | instid1(VALU_DEP_1)
	v_subrev_nc_u32_e32 v0, 28, v2
	v_lshlrev_b64_e32 v[0:1], v0, v[24:25]
	s_delay_alu instid0(VALU_DEP_1)
	v_dual_sub_nc_u32 v1, 29, v2 :: v_dual_bitop2_b32 v0, 7, v0 bitop3:0x40
; %bb.414:                              ;   in Loop: Header=BB270_9 Depth=1
	s_or_b32 exec_lo, exec_lo, s19
	v_lshlrev_b32_e32 v2, 8, v24
	s_delay_alu instid0(VALU_DEP_2) | instskip(NEXT) | instid1(VALU_DEP_3)
	v_lshl_add_u32 v1, v1, 10, 0x2000
	v_lshlrev_b32_e32 v0, 7, v0
	s_delay_alu instid0(VALU_DEP_3) | instskip(NEXT) | instid1(VALU_DEP_3)
	v_and_b32_e32 v2, 0x8000, v2
	v_and_b32_e32 v1, 0xfc00, v1
	s_delay_alu instid0(VALU_DEP_1)
	v_or3_b32 v120, v2, v1, v0
.LBB270_415:                            ;   in Loop: Header=BB270_9 Depth=1
	s_or_b32 exec_lo, exec_lo, s18
.LBB270_416:                            ;   in Loop: Header=BB270_9 Depth=1
	s_delay_alu instid0(SALU_CYCLE_1)
	s_or_b32 exec_lo, exec_lo, s17
.LBB270_417:                            ;   in Loop: Header=BB270_9 Depth=1
	s_delay_alu instid0(SALU_CYCLE_1) | instskip(NEXT) | instid1(SALU_CYCLE_1)
	s_or_b32 exec_lo, exec_lo, s16
	s_mov_b32 s16, exec_lo
	v_cmpx_lt_u32_e32 0xffffff, v8
	s_cbranch_execz .LBB270_425
; %bb.418:                              ;   in Loop: Header=BB270_9 Depth=1
	v_lshrrev_b32_e32 v24, 24, v8
	v_bfrev_b32_e32 v111, 1
	s_mov_b32 s17, exec_lo
	s_delay_alu instid0(VALU_DEP_2)
	v_cmpx_ne_u32_e32 0x80, v24
	s_cbranch_execz .LBB270_424
; %bb.419:                              ;   in Loop: Header=BB270_9 Depth=1
	v_and_b32_e32 v2, 0x7f, v24
	v_mov_b32_e32 v111, 0x7c010000
	s_mov_b32 s18, exec_lo
	s_delay_alu instid0(VALU_DEP_2)
	v_cmpx_ne_u32_e32 0x7f, v2
	s_cbranch_execz .LBB270_423
; %bb.420:                              ;   in Loop: Header=BB270_9 Depth=1
	v_dual_lshrrev_b32 v1, 3, v2 :: v_dual_bitop2_b32 v0, 7, v24 bitop3:0x40
	s_mov_b32 s19, exec_lo
	v_cmpx_gt_u32_e32 8, v2
; %bb.421:                              ;   in Loop: Header=BB270_9 Depth=1
	s_delay_alu instid0(VALU_DEP_2) | instskip(NEXT) | instid1(VALU_DEP_1)
	v_clz_i32_u32_e32 v0, v0
	v_min_u32_e32 v2, 32, v0
	s_delay_alu instid0(VALU_DEP_1) | instskip(NEXT) | instid1(VALU_DEP_1)
	v_subrev_nc_u32_e32 v0, 28, v2
	v_lshlrev_b64_e32 v[0:1], v0, v[24:25]
	s_delay_alu instid0(VALU_DEP_1)
	v_dual_sub_nc_u32 v1, 29, v2 :: v_dual_bitop2_b32 v0, 7, v0 bitop3:0x40
; %bb.422:                              ;   in Loop: Header=BB270_9 Depth=1
	s_or_b32 exec_lo, exec_lo, s19
	v_lshlrev_b32_e32 v2, 8, v24
	s_delay_alu instid0(VALU_DEP_2) | instskip(NEXT) | instid1(VALU_DEP_3)
	v_lshl_add_u32 v1, v1, 10, 0x2000
	v_lshlrev_b32_e32 v0, 23, v0
	s_delay_alu instid0(VALU_DEP_2) | instskip(NEXT) | instid1(VALU_DEP_1)
	v_and_or_b32 v1, 0x8000, v2, v1
	v_lshl_or_b32 v111, v1, 16, v0
.LBB270_423:                            ;   in Loop: Header=BB270_9 Depth=1
	s_or_b32 exec_lo, exec_lo, s18
.LBB270_424:                            ;   in Loop: Header=BB270_9 Depth=1
	s_delay_alu instid0(SALU_CYCLE_1)
	s_or_b32 exec_lo, exec_lo, s17
.LBB270_425:                            ;   in Loop: Header=BB270_9 Depth=1
	s_delay_alu instid0(SALU_CYCLE_1)
	s_or_b32 exec_lo, exec_lo, s16
	flat_load_b32 v8, v[28:29] offset:1544
	v_dual_mov_b32 v125, 0 :: v_dual_mov_b32 v126, 0
	s_mov_b32 s16, exec_lo
	s_wait_loadcnt_dscnt 0x0
	v_and_b32_e32 v0, 0xff, v8
	s_wait_xcnt 0x0
	s_delay_alu instid0(VALU_DEP_1)
	v_cmpx_ne_u16_e32 0, v0
	s_cbranch_execz .LBB270_433
; %bb.426:                              ;   in Loop: Header=BB270_9 Depth=1
	v_mov_b32_e32 v126, 0x8000
	s_mov_b32 s17, exec_lo
	v_cmpx_ne_u16_e32 0x80, v0
	s_cbranch_execz .LBB270_432
; %bb.427:                              ;   in Loop: Header=BB270_9 Depth=1
	v_and_b32_e32 v2, 0x7f, v8
	v_mov_b32_e32 v126, 0x7c01
	s_mov_b32 s18, exec_lo
	s_delay_alu instid0(VALU_DEP_2)
	v_cmpx_ne_u32_e32 0x7f, v2
	s_cbranch_execz .LBB270_431
; %bb.428:                              ;   in Loop: Header=BB270_9 Depth=1
	v_dual_lshrrev_b32 v1, 3, v2 :: v_dual_bitop2_b32 v0, 7, v8 bitop3:0x40
	s_mov_b32 s19, exec_lo
	v_cmpx_gt_u32_e32 8, v2
; %bb.429:                              ;   in Loop: Header=BB270_9 Depth=1
	s_delay_alu instid0(VALU_DEP_2) | instskip(NEXT) | instid1(VALU_DEP_1)
	v_clz_i32_u32_e32 v0, v0
	v_min_u32_e32 v2, 32, v0
	s_delay_alu instid0(VALU_DEP_1) | instskip(NEXT) | instid1(VALU_DEP_1)
	v_subrev_nc_u32_e32 v0, 28, v2
	v_lshlrev_b64_e32 v[0:1], v0, v[8:9]
	s_delay_alu instid0(VALU_DEP_1)
	v_dual_sub_nc_u32 v1, 29, v2 :: v_dual_bitop2_b32 v0, 7, v0 bitop3:0x40
; %bb.430:                              ;   in Loop: Header=BB270_9 Depth=1
	s_or_b32 exec_lo, exec_lo, s19
	v_lshlrev_b32_e32 v2, 8, v8
	s_delay_alu instid0(VALU_DEP_2) | instskip(NEXT) | instid1(VALU_DEP_3)
	v_lshl_add_u32 v1, v1, 10, 0x2000
	v_lshlrev_b32_e32 v0, 7, v0
	s_delay_alu instid0(VALU_DEP_3) | instskip(NEXT) | instid1(VALU_DEP_3)
	v_and_b32_e32 v2, 0x8000, v2
	v_and_b32_e32 v1, 0xfc00, v1
	s_delay_alu instid0(VALU_DEP_1)
	v_or3_b32 v126, v2, v1, v0
.LBB270_431:                            ;   in Loop: Header=BB270_9 Depth=1
	s_or_b32 exec_lo, exec_lo, s18
.LBB270_432:                            ;   in Loop: Header=BB270_9 Depth=1
	s_delay_alu instid0(SALU_CYCLE_1)
	s_or_b32 exec_lo, exec_lo, s17
.LBB270_433:                            ;   in Loop: Header=BB270_9 Depth=1
	s_delay_alu instid0(SALU_CYCLE_1) | instskip(SKIP_2) | instid1(VALU_DEP_1)
	s_or_b32 exec_lo, exec_lo, s16
	v_lshrrev_b16 v24, 8, v8
	s_mov_b32 s16, exec_lo
	v_cmpx_ne_u16_e32 0, v24
	s_cbranch_execz .LBB270_441
; %bb.434:                              ;   in Loop: Header=BB270_9 Depth=1
	v_bfrev_b32_e32 v125, 1
	s_mov_b32 s17, exec_lo
	v_cmpx_ne_u16_e32 0x80, v24
	s_cbranch_execz .LBB270_440
; %bb.435:                              ;   in Loop: Header=BB270_9 Depth=1
	v_and_b32_e32 v0, 0xffff, v24
	v_mov_b32_e32 v125, 0x7c010000
	s_mov_b32 s18, exec_lo
	s_delay_alu instid0(VALU_DEP_2) | instskip(NEXT) | instid1(VALU_DEP_1)
	v_and_b32_e32 v3, 0x7f, v0
	v_cmpx_ne_u32_e32 0x7f, v3
	s_cbranch_execz .LBB270_439
; %bb.436:                              ;   in Loop: Header=BB270_9 Depth=1
	v_dual_lshrrev_b32 v2, 3, v3 :: v_dual_bitop2_b32 v1, 7, v0 bitop3:0x40
	s_mov_b32 s19, exec_lo
	v_cmpx_gt_u32_e32 8, v3
; %bb.437:                              ;   in Loop: Header=BB270_9 Depth=1
	s_delay_alu instid0(VALU_DEP_2) | instskip(NEXT) | instid1(VALU_DEP_1)
	v_clz_i32_u32_e32 v1, v1
	v_min_u32_e32 v1, 32, v1
	s_delay_alu instid0(VALU_DEP_1) | instskip(NEXT) | instid1(VALU_DEP_1)
	v_subrev_nc_u32_e32 v2, 28, v1
	v_lshlrev_b64_e32 v[6:7], v2, v[24:25]
	s_delay_alu instid0(VALU_DEP_1)
	v_dual_sub_nc_u32 v2, 29, v1 :: v_dual_bitop2_b32 v1, 7, v6 bitop3:0x40
; %bb.438:                              ;   in Loop: Header=BB270_9 Depth=1
	s_or_b32 exec_lo, exec_lo, s19
	s_delay_alu instid0(VALU_DEP_1) | instskip(NEXT) | instid1(VALU_DEP_2)
	v_dual_lshlrev_b32 v0, 8, v0 :: v_dual_lshlrev_b32 v1, 23, v1
	v_lshl_add_u32 v2, v2, 10, 0x2000
	s_delay_alu instid0(VALU_DEP_1) | instskip(NEXT) | instid1(VALU_DEP_1)
	v_and_or_b32 v0, 0x8000, v0, v2
	v_lshl_or_b32 v125, v0, 16, v1
.LBB270_439:                            ;   in Loop: Header=BB270_9 Depth=1
	s_or_b32 exec_lo, exec_lo, s18
.LBB270_440:                            ;   in Loop: Header=BB270_9 Depth=1
	s_delay_alu instid0(SALU_CYCLE_1)
	s_or_b32 exec_lo, exec_lo, s17
.LBB270_441:                            ;   in Loop: Header=BB270_9 Depth=1
	s_delay_alu instid0(SALU_CYCLE_1) | instskip(SKIP_3) | instid1(VALU_DEP_2)
	s_or_b32 exec_lo, exec_lo, s16
	v_dual_mov_b32 v49, 0 :: v_dual_lshrrev_b32 v24, 16, v8
	v_mov_b32_e32 v1, 0
	s_mov_b32 s16, exec_lo
	v_and_b32_e32 v0, 0xff, v24
	s_delay_alu instid0(VALU_DEP_1)
	v_cmpx_ne_u16_e32 0, v0
	s_cbranch_execz .LBB270_449
; %bb.442:                              ;   in Loop: Header=BB270_9 Depth=1
	v_mov_b32_e32 v1, 0x8000
	s_mov_b32 s17, exec_lo
	v_cmpx_ne_u16_e32 0x80, v0
	s_cbranch_execz .LBB270_448
; %bb.443:                              ;   in Loop: Header=BB270_9 Depth=1
	v_bfe_u32 v2, v8, 16, 7
	v_mov_b32_e32 v1, 0x7c01
	s_mov_b32 s18, exec_lo
	s_delay_alu instid0(VALU_DEP_2)
	v_cmpx_ne_u32_e32 0x7f, v2
	s_cbranch_execz .LBB270_447
; %bb.444:                              ;   in Loop: Header=BB270_9 Depth=1
	v_dual_lshrrev_b32 v1, 3, v2 :: v_dual_bitop2_b32 v0, 7, v24 bitop3:0x40
	s_mov_b32 s19, exec_lo
	v_cmpx_gt_u32_e32 8, v2
; %bb.445:                              ;   in Loop: Header=BB270_9 Depth=1
	s_delay_alu instid0(VALU_DEP_2) | instskip(NEXT) | instid1(VALU_DEP_1)
	v_clz_i32_u32_e32 v0, v0
	v_min_u32_e32 v2, 32, v0
	s_delay_alu instid0(VALU_DEP_1) | instskip(NEXT) | instid1(VALU_DEP_1)
	v_subrev_nc_u32_e32 v0, 28, v2
	v_lshlrev_b64_e32 v[0:1], v0, v[24:25]
	s_delay_alu instid0(VALU_DEP_1)
	v_dual_sub_nc_u32 v1, 29, v2 :: v_dual_bitop2_b32 v0, 7, v0 bitop3:0x40
; %bb.446:                              ;   in Loop: Header=BB270_9 Depth=1
	s_or_b32 exec_lo, exec_lo, s19
	v_lshlrev_b32_e32 v2, 8, v24
	s_delay_alu instid0(VALU_DEP_2) | instskip(NEXT) | instid1(VALU_DEP_3)
	v_lshl_add_u32 v1, v1, 10, 0x2000
	v_lshlrev_b32_e32 v0, 7, v0
	s_delay_alu instid0(VALU_DEP_3) | instskip(NEXT) | instid1(VALU_DEP_3)
	v_and_b32_e32 v2, 0x8000, v2
	v_and_b32_e32 v1, 0xfc00, v1
	s_delay_alu instid0(VALU_DEP_1)
	v_or3_b32 v1, v2, v1, v0
.LBB270_447:                            ;   in Loop: Header=BB270_9 Depth=1
	s_or_b32 exec_lo, exec_lo, s18
.LBB270_448:                            ;   in Loop: Header=BB270_9 Depth=1
	s_delay_alu instid0(SALU_CYCLE_1)
	s_or_b32 exec_lo, exec_lo, s17
.LBB270_449:                            ;   in Loop: Header=BB270_9 Depth=1
	s_delay_alu instid0(SALU_CYCLE_1) | instskip(NEXT) | instid1(SALU_CYCLE_1)
	s_or_b32 exec_lo, exec_lo, s16
	s_mov_b32 s16, exec_lo
	v_cmpx_lt_u32_e32 0xffffff, v8
	s_cbranch_execz .LBB270_457
; %bb.450:                              ;   in Loop: Header=BB270_9 Depth=1
	v_lshrrev_b32_e32 v24, 24, v8
	v_bfrev_b32_e32 v49, 1
	s_mov_b32 s17, exec_lo
	s_delay_alu instid0(VALU_DEP_2)
	v_cmpx_ne_u32_e32 0x80, v24
	s_cbranch_execz .LBB270_456
; %bb.451:                              ;   in Loop: Header=BB270_9 Depth=1
	v_and_b32_e32 v3, 0x7f, v24
	v_mov_b32_e32 v49, 0x7c010000
	s_mov_b32 s18, exec_lo
	s_delay_alu instid0(VALU_DEP_2)
	v_cmpx_ne_u32_e32 0x7f, v3
	s_cbranch_execz .LBB270_455
; %bb.452:                              ;   in Loop: Header=BB270_9 Depth=1
	v_dual_lshrrev_b32 v2, 3, v3 :: v_dual_bitop2_b32 v0, 7, v24 bitop3:0x40
	s_mov_b32 s19, exec_lo
	v_cmpx_gt_u32_e32 8, v3
; %bb.453:                              ;   in Loop: Header=BB270_9 Depth=1
	s_delay_alu instid0(VALU_DEP_2) | instskip(NEXT) | instid1(VALU_DEP_1)
	v_clz_i32_u32_e32 v0, v0
	v_min_u32_e32 v0, 32, v0
	s_delay_alu instid0(VALU_DEP_1) | instskip(NEXT) | instid1(VALU_DEP_1)
	v_subrev_nc_u32_e32 v2, 28, v0
	v_lshlrev_b64_e32 v[6:7], v2, v[24:25]
	s_delay_alu instid0(VALU_DEP_1)
	v_dual_sub_nc_u32 v2, 29, v0 :: v_dual_bitop2_b32 v0, 7, v6 bitop3:0x40
; %bb.454:                              ;   in Loop: Header=BB270_9 Depth=1
	s_or_b32 exec_lo, exec_lo, s19
	v_lshlrev_b32_e32 v3, 8, v24
	s_delay_alu instid0(VALU_DEP_2) | instskip(NEXT) | instid1(VALU_DEP_3)
	v_lshl_add_u32 v2, v2, 10, 0x2000
	v_lshlrev_b32_e32 v0, 23, v0
	s_delay_alu instid0(VALU_DEP_2) | instskip(NEXT) | instid1(VALU_DEP_1)
	v_and_or_b32 v2, 0x8000, v3, v2
	v_lshl_or_b32 v49, v2, 16, v0
.LBB270_455:                            ;   in Loop: Header=BB270_9 Depth=1
	s_or_b32 exec_lo, exec_lo, s18
.LBB270_456:                            ;   in Loop: Header=BB270_9 Depth=1
	s_delay_alu instid0(SALU_CYCLE_1)
	s_or_b32 exec_lo, exec_lo, s17
.LBB270_457:                            ;   in Loop: Header=BB270_9 Depth=1
	s_delay_alu instid0(SALU_CYCLE_1)
	s_or_b32 exec_lo, exec_lo, s16
	flat_load_b32 v8, v[28:29] offset:1792
	v_dual_mov_b32 v0, 0 :: v_dual_mov_b32 v17, 0
	s_mov_b32 s16, exec_lo
	s_wait_loadcnt_dscnt 0x0
	v_and_b32_e32 v2, 0xff, v8
	s_wait_xcnt 0x0
	s_delay_alu instid0(VALU_DEP_1)
	v_cmpx_ne_u16_e32 0, v2
	s_cbranch_execz .LBB270_465
; %bb.458:                              ;   in Loop: Header=BB270_9 Depth=1
	v_mov_b32_e32 v17, 0x8000
	s_mov_b32 s17, exec_lo
	v_cmpx_ne_u16_e32 0x80, v2
	s_cbranch_execz .LBB270_464
; %bb.459:                              ;   in Loop: Header=BB270_9 Depth=1
	v_and_b32_e32 v6, 0x7f, v8
	v_mov_b32_e32 v17, 0x7c01
	s_mov_b32 s18, exec_lo
	s_delay_alu instid0(VALU_DEP_2)
	v_cmpx_ne_u32_e32 0x7f, v6
	s_cbranch_execz .LBB270_463
; %bb.460:                              ;   in Loop: Header=BB270_9 Depth=1
	v_dual_lshrrev_b32 v3, 3, v6 :: v_dual_bitop2_b32 v2, 7, v8 bitop3:0x40
	s_mov_b32 s19, exec_lo
	v_cmpx_gt_u32_e32 8, v6
; %bb.461:                              ;   in Loop: Header=BB270_9 Depth=1
	s_delay_alu instid0(VALU_DEP_2) | instskip(NEXT) | instid1(VALU_DEP_1)
	v_clz_i32_u32_e32 v2, v2
	v_min_u32_e32 v6, 32, v2
	s_delay_alu instid0(VALU_DEP_1) | instskip(NEXT) | instid1(VALU_DEP_1)
	v_subrev_nc_u32_e32 v2, 28, v6
	v_lshlrev_b64_e32 v[2:3], v2, v[8:9]
	v_sub_nc_u32_e32 v3, 29, v6
	s_delay_alu instid0(VALU_DEP_2)
	v_and_b32_e32 v2, 7, v2
; %bb.462:                              ;   in Loop: Header=BB270_9 Depth=1
	s_or_b32 exec_lo, exec_lo, s19
	s_delay_alu instid0(VALU_DEP_1) | instskip(NEXT) | instid1(VALU_DEP_3)
	v_dual_lshlrev_b32 v6, 8, v8 :: v_dual_lshlrev_b32 v2, 7, v2
	v_lshl_add_u32 v3, v3, 10, 0x2000
	s_delay_alu instid0(VALU_DEP_2) | instskip(NEXT) | instid1(VALU_DEP_2)
	v_and_b32_e32 v6, 0x8000, v6
	v_and_b32_e32 v3, 0xfc00, v3
	s_delay_alu instid0(VALU_DEP_1)
	v_or3_b32 v17, v6, v3, v2
.LBB270_463:                            ;   in Loop: Header=BB270_9 Depth=1
	s_or_b32 exec_lo, exec_lo, s18
.LBB270_464:                            ;   in Loop: Header=BB270_9 Depth=1
	s_delay_alu instid0(SALU_CYCLE_1)
	s_or_b32 exec_lo, exec_lo, s17
.LBB270_465:                            ;   in Loop: Header=BB270_9 Depth=1
	s_delay_alu instid0(SALU_CYCLE_1) | instskip(SKIP_2) | instid1(VALU_DEP_1)
	s_or_b32 exec_lo, exec_lo, s16
	v_lshrrev_b16 v24, 8, v8
	s_mov_b32 s16, exec_lo
	v_cmpx_ne_u16_e32 0, v24
	s_cbranch_execz .LBB270_473
; %bb.466:                              ;   in Loop: Header=BB270_9 Depth=1
	v_bfrev_b32_e32 v0, 1
	s_mov_b32 s17, exec_lo
	v_cmpx_ne_u16_e32 0x80, v24
	s_cbranch_execz .LBB270_472
; %bb.467:                              ;   in Loop: Header=BB270_9 Depth=1
	v_and_b32_e32 v2, 0xffff, v24
	v_mov_b32_e32 v0, 0x7c010000
	s_mov_b32 s18, exec_lo
	s_delay_alu instid0(VALU_DEP_2) | instskip(NEXT) | instid1(VALU_DEP_1)
	v_and_b32_e32 v6, 0x7f, v2
	v_cmpx_ne_u32_e32 0x7f, v6
	s_cbranch_execz .LBB270_471
; %bb.468:                              ;   in Loop: Header=BB270_9 Depth=1
	v_and_b32_e32 v0, 7, v2
	v_lshrrev_b32_e32 v3, 3, v6
	s_mov_b32 s19, exec_lo
	v_cmpx_gt_u32_e32 8, v6
; %bb.469:                              ;   in Loop: Header=BB270_9 Depth=1
	s_delay_alu instid0(VALU_DEP_3) | instskip(NEXT) | instid1(VALU_DEP_1)
	v_clz_i32_u32_e32 v0, v0
	v_min_u32_e32 v0, 32, v0
	s_delay_alu instid0(VALU_DEP_1) | instskip(NEXT) | instid1(VALU_DEP_1)
	v_subrev_nc_u32_e32 v3, 28, v0
	v_lshlrev_b64_e32 v[6:7], v3, v[24:25]
	s_delay_alu instid0(VALU_DEP_1)
	v_dual_sub_nc_u32 v3, 29, v0 :: v_dual_bitop2_b32 v0, 7, v6 bitop3:0x40
; %bb.470:                              ;   in Loop: Header=BB270_9 Depth=1
	s_or_b32 exec_lo, exec_lo, s19
	s_delay_alu instid0(VALU_DEP_1) | instskip(NEXT) | instid1(VALU_DEP_2)
	v_dual_lshlrev_b32 v2, 8, v2 :: v_dual_lshlrev_b32 v0, 23, v0
	v_lshl_add_u32 v3, v3, 10, 0x2000
	s_delay_alu instid0(VALU_DEP_1) | instskip(NEXT) | instid1(VALU_DEP_1)
	v_and_or_b32 v2, 0x8000, v2, v3
	v_lshl_or_b32 v0, v2, 16, v0
.LBB270_471:                            ;   in Loop: Header=BB270_9 Depth=1
	s_or_b32 exec_lo, exec_lo, s18
.LBB270_472:                            ;   in Loop: Header=BB270_9 Depth=1
	s_delay_alu instid0(SALU_CYCLE_1)
	s_or_b32 exec_lo, exec_lo, s17
.LBB270_473:                            ;   in Loop: Header=BB270_9 Depth=1
	s_delay_alu instid0(SALU_CYCLE_1) | instskip(SKIP_3) | instid1(VALU_DEP_2)
	s_or_b32 exec_lo, exec_lo, s16
	v_dual_lshrrev_b32 v24, 16, v8 :: v_dual_mov_b32 v124, 0
	v_mov_b32_e32 v127, 0
	s_mov_b32 s16, exec_lo
	v_and_b32_e32 v2, 0xff, v24
	s_delay_alu instid0(VALU_DEP_1)
	v_cmpx_ne_u16_e32 0, v2
	s_cbranch_execz .LBB270_481
; %bb.474:                              ;   in Loop: Header=BB270_9 Depth=1
	v_mov_b32_e32 v127, 0x8000
	s_mov_b32 s17, exec_lo
	v_cmpx_ne_u16_e32 0x80, v2
	s_cbranch_execz .LBB270_480
; %bb.475:                              ;   in Loop: Header=BB270_9 Depth=1
	v_bfe_u32 v6, v8, 16, 7
	v_mov_b32_e32 v127, 0x7c01
	s_mov_b32 s18, exec_lo
	s_delay_alu instid0(VALU_DEP_2)
	v_cmpx_ne_u32_e32 0x7f, v6
	s_cbranch_execz .LBB270_479
; %bb.476:                              ;   in Loop: Header=BB270_9 Depth=1
	v_dual_lshrrev_b32 v3, 3, v6 :: v_dual_bitop2_b32 v2, 7, v24 bitop3:0x40
	s_mov_b32 s19, exec_lo
	v_cmpx_gt_u32_e32 8, v6
; %bb.477:                              ;   in Loop: Header=BB270_9 Depth=1
	s_delay_alu instid0(VALU_DEP_2) | instskip(NEXT) | instid1(VALU_DEP_1)
	v_clz_i32_u32_e32 v2, v2
	v_min_u32_e32 v6, 32, v2
	s_delay_alu instid0(VALU_DEP_1) | instskip(NEXT) | instid1(VALU_DEP_1)
	v_subrev_nc_u32_e32 v2, 28, v6
	v_lshlrev_b64_e32 v[2:3], v2, v[24:25]
	v_sub_nc_u32_e32 v3, 29, v6
	s_delay_alu instid0(VALU_DEP_2)
	v_and_b32_e32 v2, 7, v2
; %bb.478:                              ;   in Loop: Header=BB270_9 Depth=1
	s_or_b32 exec_lo, exec_lo, s19
	s_delay_alu instid0(VALU_DEP_1) | instskip(NEXT) | instid1(VALU_DEP_3)
	v_dual_lshlrev_b32 v6, 8, v24 :: v_dual_lshlrev_b32 v2, 7, v2
	v_lshl_add_u32 v3, v3, 10, 0x2000
	s_delay_alu instid0(VALU_DEP_2) | instskip(NEXT) | instid1(VALU_DEP_2)
	v_and_b32_e32 v6, 0x8000, v6
	v_and_b32_e32 v3, 0xfc00, v3
	s_delay_alu instid0(VALU_DEP_1)
	v_or3_b32 v127, v6, v3, v2
.LBB270_479:                            ;   in Loop: Header=BB270_9 Depth=1
	s_or_b32 exec_lo, exec_lo, s18
.LBB270_480:                            ;   in Loop: Header=BB270_9 Depth=1
	s_delay_alu instid0(SALU_CYCLE_1)
	s_or_b32 exec_lo, exec_lo, s17
.LBB270_481:                            ;   in Loop: Header=BB270_9 Depth=1
	s_delay_alu instid0(SALU_CYCLE_1) | instskip(NEXT) | instid1(SALU_CYCLE_1)
	s_or_b32 exec_lo, exec_lo, s16
	s_mov_b32 s16, exec_lo
	v_cmpx_lt_u32_e32 0xffffff, v8
	s_cbranch_execz .LBB270_489
; %bb.482:                              ;   in Loop: Header=BB270_9 Depth=1
	v_lshrrev_b32_e32 v24, 24, v8
	v_bfrev_b32_e32 v124, 1
	s_mov_b32 s17, exec_lo
	s_delay_alu instid0(VALU_DEP_2)
	v_cmpx_ne_u32_e32 0x80, v24
	s_cbranch_execz .LBB270_488
; %bb.483:                              ;   in Loop: Header=BB270_9 Depth=1
	v_and_b32_e32 v6, 0x7f, v24
	v_mov_b32_e32 v124, 0x7c010000
	s_mov_b32 s18, exec_lo
	s_delay_alu instid0(VALU_DEP_2)
	v_cmpx_ne_u32_e32 0x7f, v6
	s_cbranch_execz .LBB270_487
; %bb.484:                              ;   in Loop: Header=BB270_9 Depth=1
	v_dual_lshrrev_b32 v3, 3, v6 :: v_dual_bitop2_b32 v2, 7, v24 bitop3:0x40
	s_mov_b32 s19, exec_lo
	v_cmpx_gt_u32_e32 8, v6
; %bb.485:                              ;   in Loop: Header=BB270_9 Depth=1
	s_delay_alu instid0(VALU_DEP_2) | instskip(NEXT) | instid1(VALU_DEP_1)
	v_clz_i32_u32_e32 v2, v2
	v_min_u32_e32 v6, 32, v2
	s_delay_alu instid0(VALU_DEP_1) | instskip(NEXT) | instid1(VALU_DEP_1)
	v_subrev_nc_u32_e32 v2, 28, v6
	v_lshlrev_b64_e32 v[2:3], v2, v[24:25]
	v_sub_nc_u32_e32 v3, 29, v6
	s_delay_alu instid0(VALU_DEP_2)
	v_and_b32_e32 v2, 7, v2
; %bb.486:                              ;   in Loop: Header=BB270_9 Depth=1
	s_or_b32 exec_lo, exec_lo, s19
	s_delay_alu instid0(VALU_DEP_1) | instskip(NEXT) | instid1(VALU_DEP_3)
	v_dual_lshlrev_b32 v6, 8, v24 :: v_dual_lshlrev_b32 v2, 23, v2
	v_lshl_add_u32 v3, v3, 10, 0x2000
	s_delay_alu instid0(VALU_DEP_1) | instskip(NEXT) | instid1(VALU_DEP_1)
	v_and_or_b32 v3, 0x8000, v6, v3
	v_lshl_or_b32 v124, v3, 16, v2
.LBB270_487:                            ;   in Loop: Header=BB270_9 Depth=1
	s_or_b32 exec_lo, exec_lo, s18
.LBB270_488:                            ;   in Loop: Header=BB270_9 Depth=1
	s_delay_alu instid0(SALU_CYCLE_1)
	s_or_b32 exec_lo, exec_lo, s17
.LBB270_489:                            ;   in Loop: Header=BB270_9 Depth=1
	s_delay_alu instid0(SALU_CYCLE_1)
	s_or_b32 exec_lo, exec_lo, s16
	flat_load_b32 v8, v[28:29] offset:1800
	v_dual_mov_b32 v38, 0 :: v_dual_mov_b32 v48, 0
	s_mov_b32 s16, exec_lo
	s_wait_loadcnt_dscnt 0x0
	v_and_b32_e32 v2, 0xff, v8
	s_wait_xcnt 0x0
	s_delay_alu instid0(VALU_DEP_1)
	v_cmpx_ne_u16_e32 0, v2
	s_cbranch_execz .LBB270_497
; %bb.490:                              ;   in Loop: Header=BB270_9 Depth=1
	v_mov_b32_e32 v48, 0x8000
	s_mov_b32 s17, exec_lo
	v_cmpx_ne_u16_e32 0x80, v2
	s_cbranch_execz .LBB270_496
; %bb.491:                              ;   in Loop: Header=BB270_9 Depth=1
	v_and_b32_e32 v6, 0x7f, v8
	v_mov_b32_e32 v48, 0x7c01
	s_mov_b32 s18, exec_lo
	s_delay_alu instid0(VALU_DEP_2)
	v_cmpx_ne_u32_e32 0x7f, v6
	s_cbranch_execz .LBB270_495
; %bb.492:                              ;   in Loop: Header=BB270_9 Depth=1
	v_dual_lshrrev_b32 v3, 3, v6 :: v_dual_bitop2_b32 v2, 7, v8 bitop3:0x40
	s_mov_b32 s19, exec_lo
	v_cmpx_gt_u32_e32 8, v6
; %bb.493:                              ;   in Loop: Header=BB270_9 Depth=1
	s_delay_alu instid0(VALU_DEP_2) | instskip(NEXT) | instid1(VALU_DEP_1)
	v_clz_i32_u32_e32 v2, v2
	v_min_u32_e32 v6, 32, v2
	s_delay_alu instid0(VALU_DEP_1) | instskip(NEXT) | instid1(VALU_DEP_1)
	v_subrev_nc_u32_e32 v2, 28, v6
	v_lshlrev_b64_e32 v[2:3], v2, v[8:9]
	v_sub_nc_u32_e32 v3, 29, v6
	s_delay_alu instid0(VALU_DEP_2)
	v_and_b32_e32 v2, 7, v2
; %bb.494:                              ;   in Loop: Header=BB270_9 Depth=1
	s_or_b32 exec_lo, exec_lo, s19
	s_delay_alu instid0(VALU_DEP_1) | instskip(NEXT) | instid1(VALU_DEP_3)
	v_dual_lshlrev_b32 v6, 8, v8 :: v_dual_lshlrev_b32 v2, 7, v2
	v_lshl_add_u32 v3, v3, 10, 0x2000
	s_delay_alu instid0(VALU_DEP_2) | instskip(NEXT) | instid1(VALU_DEP_2)
	v_and_b32_e32 v6, 0x8000, v6
	v_and_b32_e32 v3, 0xfc00, v3
	s_delay_alu instid0(VALU_DEP_1)
	v_or3_b32 v48, v6, v3, v2
.LBB270_495:                            ;   in Loop: Header=BB270_9 Depth=1
	s_or_b32 exec_lo, exec_lo, s18
.LBB270_496:                            ;   in Loop: Header=BB270_9 Depth=1
	s_delay_alu instid0(SALU_CYCLE_1)
	s_or_b32 exec_lo, exec_lo, s17
.LBB270_497:                            ;   in Loop: Header=BB270_9 Depth=1
	s_delay_alu instid0(SALU_CYCLE_1) | instskip(SKIP_2) | instid1(VALU_DEP_1)
	s_or_b32 exec_lo, exec_lo, s16
	v_lshrrev_b16 v24, 8, v8
	s_mov_b32 s16, exec_lo
	v_cmpx_ne_u16_e32 0, v24
	s_cbranch_execz .LBB270_505
; %bb.498:                              ;   in Loop: Header=BB270_9 Depth=1
	v_bfrev_b32_e32 v38, 1
	s_mov_b32 s17, exec_lo
	v_cmpx_ne_u16_e32 0x80, v24
	s_cbranch_execz .LBB270_504
; %bb.499:                              ;   in Loop: Header=BB270_9 Depth=1
	v_and_b32_e32 v2, 0xffff, v24
	v_mov_b32_e32 v38, 0x7c010000
	s_mov_b32 s18, exec_lo
	s_delay_alu instid0(VALU_DEP_2) | instskip(NEXT) | instid1(VALU_DEP_1)
	v_and_b32_e32 v7, 0x7f, v2
	v_cmpx_ne_u32_e32 0x7f, v7
	s_cbranch_execz .LBB270_503
; %bb.500:                              ;   in Loop: Header=BB270_9 Depth=1
	v_dual_lshrrev_b32 v6, 3, v7 :: v_dual_bitop2_b32 v3, 7, v2 bitop3:0x40
	s_mov_b32 s19, exec_lo
	v_cmpx_gt_u32_e32 8, v7
; %bb.501:                              ;   in Loop: Header=BB270_9 Depth=1
	s_delay_alu instid0(VALU_DEP_2) | instskip(NEXT) | instid1(VALU_DEP_1)
	v_clz_i32_u32_e32 v3, v3
	v_min_u32_e32 v3, 32, v3
	s_delay_alu instid0(VALU_DEP_1) | instskip(NEXT) | instid1(VALU_DEP_1)
	v_subrev_nc_u32_e32 v6, 28, v3
	v_lshlrev_b64_e32 v[10:11], v6, v[24:25]
	s_delay_alu instid0(VALU_DEP_1)
	v_dual_sub_nc_u32 v6, 29, v3 :: v_dual_bitop2_b32 v3, 7, v10 bitop3:0x40
; %bb.502:                              ;   in Loop: Header=BB270_9 Depth=1
	s_or_b32 exec_lo, exec_lo, s19
	s_delay_alu instid0(VALU_DEP_1) | instskip(NEXT) | instid1(VALU_DEP_2)
	v_dual_lshlrev_b32 v2, 8, v2 :: v_dual_lshlrev_b32 v3, 23, v3
	v_lshl_add_u32 v6, v6, 10, 0x2000
	s_delay_alu instid0(VALU_DEP_1) | instskip(NEXT) | instid1(VALU_DEP_1)
	v_and_or_b32 v2, 0x8000, v2, v6
	v_lshl_or_b32 v38, v2, 16, v3
.LBB270_503:                            ;   in Loop: Header=BB270_9 Depth=1
	s_or_b32 exec_lo, exec_lo, s18
.LBB270_504:                            ;   in Loop: Header=BB270_9 Depth=1
	s_delay_alu instid0(SALU_CYCLE_1)
	s_or_b32 exec_lo, exec_lo, s17
.LBB270_505:                            ;   in Loop: Header=BB270_9 Depth=1
	s_delay_alu instid0(SALU_CYCLE_1) | instskip(SKIP_3) | instid1(VALU_DEP_2)
	s_or_b32 exec_lo, exec_lo, s16
	v_dual_lshrrev_b32 v24, 16, v8 :: v_dual_mov_b32 v110, 0
	v_mov_b32_e32 v121, 0
	s_mov_b32 s16, exec_lo
	v_and_b32_e32 v2, 0xff, v24
	s_delay_alu instid0(VALU_DEP_1)
	v_cmpx_ne_u16_e32 0, v2
	s_cbranch_execz .LBB270_513
; %bb.506:                              ;   in Loop: Header=BB270_9 Depth=1
	v_mov_b32_e32 v121, 0x8000
	s_mov_b32 s17, exec_lo
	v_cmpx_ne_u16_e32 0x80, v2
	s_cbranch_execz .LBB270_512
; %bb.507:                              ;   in Loop: Header=BB270_9 Depth=1
	v_bfe_u32 v6, v8, 16, 7
	v_mov_b32_e32 v121, 0x7c01
	s_mov_b32 s18, exec_lo
	s_delay_alu instid0(VALU_DEP_2)
	v_cmpx_ne_u32_e32 0x7f, v6
	s_cbranch_execz .LBB270_511
; %bb.508:                              ;   in Loop: Header=BB270_9 Depth=1
	v_dual_lshrrev_b32 v3, 3, v6 :: v_dual_bitop2_b32 v2, 7, v24 bitop3:0x40
	s_mov_b32 s19, exec_lo
	v_cmpx_gt_u32_e32 8, v6
; %bb.509:                              ;   in Loop: Header=BB270_9 Depth=1
	s_delay_alu instid0(VALU_DEP_2) | instskip(NEXT) | instid1(VALU_DEP_1)
	v_clz_i32_u32_e32 v2, v2
	v_min_u32_e32 v6, 32, v2
	s_delay_alu instid0(VALU_DEP_1) | instskip(NEXT) | instid1(VALU_DEP_1)
	v_subrev_nc_u32_e32 v2, 28, v6
	v_lshlrev_b64_e32 v[2:3], v2, v[24:25]
	v_sub_nc_u32_e32 v3, 29, v6
	s_delay_alu instid0(VALU_DEP_2)
	v_and_b32_e32 v2, 7, v2
; %bb.510:                              ;   in Loop: Header=BB270_9 Depth=1
	s_or_b32 exec_lo, exec_lo, s19
	s_delay_alu instid0(VALU_DEP_1) | instskip(NEXT) | instid1(VALU_DEP_3)
	v_dual_lshlrev_b32 v6, 8, v24 :: v_dual_lshlrev_b32 v2, 7, v2
	v_lshl_add_u32 v3, v3, 10, 0x2000
	s_delay_alu instid0(VALU_DEP_2) | instskip(NEXT) | instid1(VALU_DEP_2)
	v_and_b32_e32 v6, 0x8000, v6
	v_and_b32_e32 v3, 0xfc00, v3
	s_delay_alu instid0(VALU_DEP_1)
	v_or3_b32 v121, v6, v3, v2
.LBB270_511:                            ;   in Loop: Header=BB270_9 Depth=1
	s_or_b32 exec_lo, exec_lo, s18
.LBB270_512:                            ;   in Loop: Header=BB270_9 Depth=1
	s_delay_alu instid0(SALU_CYCLE_1)
	s_or_b32 exec_lo, exec_lo, s17
.LBB270_513:                            ;   in Loop: Header=BB270_9 Depth=1
	s_delay_alu instid0(SALU_CYCLE_1) | instskip(NEXT) | instid1(SALU_CYCLE_1)
	s_or_b32 exec_lo, exec_lo, s16
	s_mov_b32 s16, exec_lo
	v_cmpx_lt_u32_e32 0xffffff, v8
	s_cbranch_execz .LBB270_521
; %bb.514:                              ;   in Loop: Header=BB270_9 Depth=1
	v_lshrrev_b32_e32 v24, 24, v8
	v_bfrev_b32_e32 v110, 1
	s_mov_b32 s17, exec_lo
	s_delay_alu instid0(VALU_DEP_2)
	v_cmpx_ne_u32_e32 0x80, v24
	s_cbranch_execz .LBB270_520
; %bb.515:                              ;   in Loop: Header=BB270_9 Depth=1
	v_and_b32_e32 v6, 0x7f, v24
	v_mov_b32_e32 v110, 0x7c010000
	s_mov_b32 s18, exec_lo
	s_delay_alu instid0(VALU_DEP_2)
	v_cmpx_ne_u32_e32 0x7f, v6
	s_cbranch_execz .LBB270_519
; %bb.516:                              ;   in Loop: Header=BB270_9 Depth=1
	v_dual_lshrrev_b32 v3, 3, v6 :: v_dual_bitop2_b32 v2, 7, v24 bitop3:0x40
	s_mov_b32 s19, exec_lo
	v_cmpx_gt_u32_e32 8, v6
; %bb.517:                              ;   in Loop: Header=BB270_9 Depth=1
	s_delay_alu instid0(VALU_DEP_2) | instskip(NEXT) | instid1(VALU_DEP_1)
	v_clz_i32_u32_e32 v2, v2
	v_min_u32_e32 v6, 32, v2
	s_delay_alu instid0(VALU_DEP_1) | instskip(NEXT) | instid1(VALU_DEP_1)
	v_subrev_nc_u32_e32 v2, 28, v6
	v_lshlrev_b64_e32 v[2:3], v2, v[24:25]
	v_sub_nc_u32_e32 v3, 29, v6
	s_delay_alu instid0(VALU_DEP_2)
	v_and_b32_e32 v2, 7, v2
; %bb.518:                              ;   in Loop: Header=BB270_9 Depth=1
	s_or_b32 exec_lo, exec_lo, s19
	s_delay_alu instid0(VALU_DEP_1) | instskip(NEXT) | instid1(VALU_DEP_3)
	v_dual_lshlrev_b32 v6, 8, v24 :: v_dual_lshlrev_b32 v2, 23, v2
	v_lshl_add_u32 v3, v3, 10, 0x2000
	s_delay_alu instid0(VALU_DEP_1) | instskip(NEXT) | instid1(VALU_DEP_1)
	v_and_or_b32 v3, 0x8000, v6, v3
	v_lshl_or_b32 v110, v3, 16, v2
.LBB270_519:                            ;   in Loop: Header=BB270_9 Depth=1
	s_or_b32 exec_lo, exec_lo, s18
.LBB270_520:                            ;   in Loop: Header=BB270_9 Depth=1
	s_delay_alu instid0(SALU_CYCLE_1)
	s_or_b32 exec_lo, exec_lo, s17
.LBB270_521:                            ;   in Loop: Header=BB270_9 Depth=1
	s_delay_alu instid0(SALU_CYCLE_1)
	s_or_b32 exec_lo, exec_lo, s16
	flat_load_b32 v8, v[28:29] offset:2048
	v_dual_mov_b32 v104, 0 :: v_dual_mov_b32 v105, 0
	s_mov_b32 s16, exec_lo
	s_wait_loadcnt_dscnt 0x0
	v_and_b32_e32 v2, 0xff, v8
	s_wait_xcnt 0x0
	s_delay_alu instid0(VALU_DEP_1)
	v_cmpx_ne_u16_e32 0, v2
	s_cbranch_execz .LBB270_529
; %bb.522:                              ;   in Loop: Header=BB270_9 Depth=1
	v_mov_b32_e32 v105, 0x8000
	s_mov_b32 s17, exec_lo
	v_cmpx_ne_u16_e32 0x80, v2
	s_cbranch_execz .LBB270_528
; %bb.523:                              ;   in Loop: Header=BB270_9 Depth=1
	v_and_b32_e32 v6, 0x7f, v8
	v_mov_b32_e32 v105, 0x7c01
	s_mov_b32 s18, exec_lo
	s_delay_alu instid0(VALU_DEP_2)
	v_cmpx_ne_u32_e32 0x7f, v6
	s_cbranch_execz .LBB270_527
; %bb.524:                              ;   in Loop: Header=BB270_9 Depth=1
	v_dual_lshrrev_b32 v3, 3, v6 :: v_dual_bitop2_b32 v2, 7, v8 bitop3:0x40
	s_mov_b32 s19, exec_lo
	v_cmpx_gt_u32_e32 8, v6
; %bb.525:                              ;   in Loop: Header=BB270_9 Depth=1
	s_delay_alu instid0(VALU_DEP_2) | instskip(NEXT) | instid1(VALU_DEP_1)
	v_clz_i32_u32_e32 v2, v2
	v_min_u32_e32 v6, 32, v2
	s_delay_alu instid0(VALU_DEP_1) | instskip(NEXT) | instid1(VALU_DEP_1)
	v_subrev_nc_u32_e32 v2, 28, v6
	v_lshlrev_b64_e32 v[2:3], v2, v[8:9]
	v_sub_nc_u32_e32 v3, 29, v6
	s_delay_alu instid0(VALU_DEP_2)
	v_and_b32_e32 v2, 7, v2
; %bb.526:                              ;   in Loop: Header=BB270_9 Depth=1
	s_or_b32 exec_lo, exec_lo, s19
	s_delay_alu instid0(VALU_DEP_1) | instskip(NEXT) | instid1(VALU_DEP_3)
	v_dual_lshlrev_b32 v6, 8, v8 :: v_dual_lshlrev_b32 v2, 7, v2
	v_lshl_add_u32 v3, v3, 10, 0x2000
	s_delay_alu instid0(VALU_DEP_2) | instskip(NEXT) | instid1(VALU_DEP_2)
	v_and_b32_e32 v6, 0x8000, v6
	v_and_b32_e32 v3, 0xfc00, v3
	s_delay_alu instid0(VALU_DEP_1)
	v_or3_b32 v105, v6, v3, v2
.LBB270_527:                            ;   in Loop: Header=BB270_9 Depth=1
	s_or_b32 exec_lo, exec_lo, s18
.LBB270_528:                            ;   in Loop: Header=BB270_9 Depth=1
	s_delay_alu instid0(SALU_CYCLE_1)
	s_or_b32 exec_lo, exec_lo, s17
.LBB270_529:                            ;   in Loop: Header=BB270_9 Depth=1
	s_delay_alu instid0(SALU_CYCLE_1) | instskip(SKIP_2) | instid1(VALU_DEP_1)
	s_or_b32 exec_lo, exec_lo, s16
	v_lshrrev_b16 v24, 8, v8
	s_mov_b32 s16, exec_lo
	v_cmpx_ne_u16_e32 0, v24
	s_cbranch_execz .LBB270_537
; %bb.530:                              ;   in Loop: Header=BB270_9 Depth=1
	v_bfrev_b32_e32 v104, 1
	s_mov_b32 s17, exec_lo
	v_cmpx_ne_u16_e32 0x80, v24
	s_cbranch_execz .LBB270_536
; %bb.531:                              ;   in Loop: Header=BB270_9 Depth=1
	v_and_b32_e32 v2, 0xffff, v24
	v_mov_b32_e32 v104, 0x7c010000
	s_mov_b32 s18, exec_lo
	s_delay_alu instid0(VALU_DEP_2) | instskip(NEXT) | instid1(VALU_DEP_1)
	v_and_b32_e32 v7, 0x7f, v2
	v_cmpx_ne_u32_e32 0x7f, v7
	s_cbranch_execz .LBB270_535
; %bb.532:                              ;   in Loop: Header=BB270_9 Depth=1
	v_dual_lshrrev_b32 v6, 3, v7 :: v_dual_bitop2_b32 v3, 7, v2 bitop3:0x40
	s_mov_b32 s19, exec_lo
	v_cmpx_gt_u32_e32 8, v7
; %bb.533:                              ;   in Loop: Header=BB270_9 Depth=1
	s_delay_alu instid0(VALU_DEP_2) | instskip(NEXT) | instid1(VALU_DEP_1)
	v_clz_i32_u32_e32 v3, v3
	v_min_u32_e32 v3, 32, v3
	s_delay_alu instid0(VALU_DEP_1) | instskip(NEXT) | instid1(VALU_DEP_1)
	v_subrev_nc_u32_e32 v6, 28, v3
	v_lshlrev_b64_e32 v[10:11], v6, v[24:25]
	s_delay_alu instid0(VALU_DEP_1)
	v_dual_sub_nc_u32 v6, 29, v3 :: v_dual_bitop2_b32 v3, 7, v10 bitop3:0x40
; %bb.534:                              ;   in Loop: Header=BB270_9 Depth=1
	s_or_b32 exec_lo, exec_lo, s19
	s_delay_alu instid0(VALU_DEP_1) | instskip(NEXT) | instid1(VALU_DEP_2)
	v_dual_lshlrev_b32 v2, 8, v2 :: v_dual_lshlrev_b32 v3, 23, v3
	v_lshl_add_u32 v6, v6, 10, 0x2000
	s_delay_alu instid0(VALU_DEP_1) | instskip(NEXT) | instid1(VALU_DEP_1)
	v_and_or_b32 v2, 0x8000, v2, v6
	v_lshl_or_b32 v104, v2, 16, v3
.LBB270_535:                            ;   in Loop: Header=BB270_9 Depth=1
	s_or_b32 exec_lo, exec_lo, s18
.LBB270_536:                            ;   in Loop: Header=BB270_9 Depth=1
	s_delay_alu instid0(SALU_CYCLE_1)
	s_or_b32 exec_lo, exec_lo, s17
.LBB270_537:                            ;   in Loop: Header=BB270_9 Depth=1
	s_delay_alu instid0(SALU_CYCLE_1) | instskip(SKIP_3) | instid1(VALU_DEP_2)
	s_or_b32 exec_lo, exec_lo, s16
	v_dual_lshrrev_b32 v24, 16, v8 :: v_dual_mov_b32 v122, 0
	v_mov_b32_e32 v123, 0
	s_mov_b32 s16, exec_lo
	v_and_b32_e32 v2, 0xff, v24
	s_delay_alu instid0(VALU_DEP_1)
	v_cmpx_ne_u16_e32 0, v2
	s_cbranch_execz .LBB270_545
; %bb.538:                              ;   in Loop: Header=BB270_9 Depth=1
	v_mov_b32_e32 v123, 0x8000
	s_mov_b32 s17, exec_lo
	v_cmpx_ne_u16_e32 0x80, v2
	s_cbranch_execz .LBB270_544
; %bb.539:                              ;   in Loop: Header=BB270_9 Depth=1
	v_bfe_u32 v6, v8, 16, 7
	v_mov_b32_e32 v123, 0x7c01
	s_mov_b32 s18, exec_lo
	s_delay_alu instid0(VALU_DEP_2)
	v_cmpx_ne_u32_e32 0x7f, v6
	s_cbranch_execz .LBB270_543
; %bb.540:                              ;   in Loop: Header=BB270_9 Depth=1
	v_dual_lshrrev_b32 v3, 3, v6 :: v_dual_bitop2_b32 v2, 7, v24 bitop3:0x40
	s_mov_b32 s19, exec_lo
	v_cmpx_gt_u32_e32 8, v6
; %bb.541:                              ;   in Loop: Header=BB270_9 Depth=1
	s_delay_alu instid0(VALU_DEP_2) | instskip(NEXT) | instid1(VALU_DEP_1)
	v_clz_i32_u32_e32 v2, v2
	v_min_u32_e32 v6, 32, v2
	s_delay_alu instid0(VALU_DEP_1) | instskip(NEXT) | instid1(VALU_DEP_1)
	v_subrev_nc_u32_e32 v2, 28, v6
	v_lshlrev_b64_e32 v[2:3], v2, v[24:25]
	v_sub_nc_u32_e32 v3, 29, v6
	s_delay_alu instid0(VALU_DEP_2)
	v_and_b32_e32 v2, 7, v2
; %bb.542:                              ;   in Loop: Header=BB270_9 Depth=1
	s_or_b32 exec_lo, exec_lo, s19
	s_delay_alu instid0(VALU_DEP_1) | instskip(NEXT) | instid1(VALU_DEP_3)
	v_dual_lshlrev_b32 v6, 8, v24 :: v_dual_lshlrev_b32 v2, 7, v2
	v_lshl_add_u32 v3, v3, 10, 0x2000
	s_delay_alu instid0(VALU_DEP_2) | instskip(NEXT) | instid1(VALU_DEP_2)
	v_and_b32_e32 v6, 0x8000, v6
	v_and_b32_e32 v3, 0xfc00, v3
	s_delay_alu instid0(VALU_DEP_1)
	v_or3_b32 v123, v6, v3, v2
.LBB270_543:                            ;   in Loop: Header=BB270_9 Depth=1
	s_or_b32 exec_lo, exec_lo, s18
.LBB270_544:                            ;   in Loop: Header=BB270_9 Depth=1
	s_delay_alu instid0(SALU_CYCLE_1)
	s_or_b32 exec_lo, exec_lo, s17
.LBB270_545:                            ;   in Loop: Header=BB270_9 Depth=1
	s_delay_alu instid0(SALU_CYCLE_1) | instskip(NEXT) | instid1(SALU_CYCLE_1)
	s_or_b32 exec_lo, exec_lo, s16
	s_mov_b32 s16, exec_lo
	v_cmpx_lt_u32_e32 0xffffff, v8
	s_cbranch_execz .LBB270_553
; %bb.546:                              ;   in Loop: Header=BB270_9 Depth=1
	v_lshrrev_b32_e32 v24, 24, v8
	v_bfrev_b32_e32 v122, 1
	s_mov_b32 s17, exec_lo
	s_delay_alu instid0(VALU_DEP_2)
	v_cmpx_ne_u32_e32 0x80, v24
	s_cbranch_execz .LBB270_552
; %bb.547:                              ;   in Loop: Header=BB270_9 Depth=1
	v_and_b32_e32 v6, 0x7f, v24
	v_mov_b32_e32 v122, 0x7c010000
	s_mov_b32 s18, exec_lo
	s_delay_alu instid0(VALU_DEP_2)
	v_cmpx_ne_u32_e32 0x7f, v6
	s_cbranch_execz .LBB270_551
; %bb.548:                              ;   in Loop: Header=BB270_9 Depth=1
	v_dual_lshrrev_b32 v3, 3, v6 :: v_dual_bitop2_b32 v2, 7, v24 bitop3:0x40
	s_mov_b32 s19, exec_lo
	v_cmpx_gt_u32_e32 8, v6
; %bb.549:                              ;   in Loop: Header=BB270_9 Depth=1
	s_delay_alu instid0(VALU_DEP_2) | instskip(NEXT) | instid1(VALU_DEP_1)
	v_clz_i32_u32_e32 v2, v2
	v_min_u32_e32 v6, 32, v2
	s_delay_alu instid0(VALU_DEP_1) | instskip(NEXT) | instid1(VALU_DEP_1)
	v_subrev_nc_u32_e32 v2, 28, v6
	v_lshlrev_b64_e32 v[2:3], v2, v[24:25]
	v_sub_nc_u32_e32 v3, 29, v6
	s_delay_alu instid0(VALU_DEP_2)
	v_and_b32_e32 v2, 7, v2
; %bb.550:                              ;   in Loop: Header=BB270_9 Depth=1
	s_or_b32 exec_lo, exec_lo, s19
	s_delay_alu instid0(VALU_DEP_1) | instskip(NEXT) | instid1(VALU_DEP_3)
	v_dual_lshlrev_b32 v6, 8, v24 :: v_dual_lshlrev_b32 v2, 23, v2
	v_lshl_add_u32 v3, v3, 10, 0x2000
	s_delay_alu instid0(VALU_DEP_1) | instskip(NEXT) | instid1(VALU_DEP_1)
	v_and_or_b32 v3, 0x8000, v6, v3
	v_lshl_or_b32 v122, v3, 16, v2
.LBB270_551:                            ;   in Loop: Header=BB270_9 Depth=1
	s_or_b32 exec_lo, exec_lo, s18
.LBB270_552:                            ;   in Loop: Header=BB270_9 Depth=1
	s_delay_alu instid0(SALU_CYCLE_1)
	s_or_b32 exec_lo, exec_lo, s17
.LBB270_553:                            ;   in Loop: Header=BB270_9 Depth=1
	s_delay_alu instid0(SALU_CYCLE_1)
	s_or_b32 exec_lo, exec_lo, s16
	flat_load_b32 v8, v[28:29] offset:2056
	v_dual_mov_b32 v90, 0 :: v_dual_mov_b32 v91, 0
	s_mov_b32 s16, exec_lo
	s_wait_loadcnt_dscnt 0x0
	v_and_b32_e32 v2, 0xff, v8
	s_wait_xcnt 0x0
	s_delay_alu instid0(VALU_DEP_1)
	v_cmpx_ne_u16_e32 0, v2
	s_cbranch_execz .LBB270_561
; %bb.554:                              ;   in Loop: Header=BB270_9 Depth=1
	v_mov_b32_e32 v91, 0x8000
	s_mov_b32 s17, exec_lo
	v_cmpx_ne_u16_e32 0x80, v2
	s_cbranch_execz .LBB270_560
; %bb.555:                              ;   in Loop: Header=BB270_9 Depth=1
	v_and_b32_e32 v6, 0x7f, v8
	v_mov_b32_e32 v91, 0x7c01
	s_mov_b32 s18, exec_lo
	s_delay_alu instid0(VALU_DEP_2)
	v_cmpx_ne_u32_e32 0x7f, v6
	s_cbranch_execz .LBB270_559
; %bb.556:                              ;   in Loop: Header=BB270_9 Depth=1
	v_dual_lshrrev_b32 v3, 3, v6 :: v_dual_bitop2_b32 v2, 7, v8 bitop3:0x40
	s_mov_b32 s19, exec_lo
	v_cmpx_gt_u32_e32 8, v6
; %bb.557:                              ;   in Loop: Header=BB270_9 Depth=1
	s_delay_alu instid0(VALU_DEP_2) | instskip(NEXT) | instid1(VALU_DEP_1)
	v_clz_i32_u32_e32 v2, v2
	v_min_u32_e32 v6, 32, v2
	s_delay_alu instid0(VALU_DEP_1) | instskip(NEXT) | instid1(VALU_DEP_1)
	v_subrev_nc_u32_e32 v2, 28, v6
	v_lshlrev_b64_e32 v[2:3], v2, v[8:9]
	v_sub_nc_u32_e32 v3, 29, v6
	s_delay_alu instid0(VALU_DEP_2)
	v_and_b32_e32 v2, 7, v2
; %bb.558:                              ;   in Loop: Header=BB270_9 Depth=1
	s_or_b32 exec_lo, exec_lo, s19
	s_delay_alu instid0(VALU_DEP_1) | instskip(NEXT) | instid1(VALU_DEP_3)
	v_dual_lshlrev_b32 v6, 8, v8 :: v_dual_lshlrev_b32 v2, 7, v2
	v_lshl_add_u32 v3, v3, 10, 0x2000
	s_delay_alu instid0(VALU_DEP_2) | instskip(NEXT) | instid1(VALU_DEP_2)
	v_and_b32_e32 v6, 0x8000, v6
	v_and_b32_e32 v3, 0xfc00, v3
	s_delay_alu instid0(VALU_DEP_1)
	v_or3_b32 v91, v6, v3, v2
.LBB270_559:                            ;   in Loop: Header=BB270_9 Depth=1
	s_or_b32 exec_lo, exec_lo, s18
.LBB270_560:                            ;   in Loop: Header=BB270_9 Depth=1
	s_delay_alu instid0(SALU_CYCLE_1)
	s_or_b32 exec_lo, exec_lo, s17
.LBB270_561:                            ;   in Loop: Header=BB270_9 Depth=1
	s_delay_alu instid0(SALU_CYCLE_1) | instskip(SKIP_2) | instid1(VALU_DEP_1)
	s_or_b32 exec_lo, exec_lo, s16
	v_lshrrev_b16 v24, 8, v8
	s_mov_b32 s16, exec_lo
	v_cmpx_ne_u16_e32 0, v24
	s_cbranch_execz .LBB270_569
; %bb.562:                              ;   in Loop: Header=BB270_9 Depth=1
	v_bfrev_b32_e32 v90, 1
	s_mov_b32 s17, exec_lo
	v_cmpx_ne_u16_e32 0x80, v24
	s_cbranch_execz .LBB270_568
; %bb.563:                              ;   in Loop: Header=BB270_9 Depth=1
	v_and_b32_e32 v2, 0xffff, v24
	v_mov_b32_e32 v90, 0x7c010000
	s_mov_b32 s18, exec_lo
	s_delay_alu instid0(VALU_DEP_2) | instskip(NEXT) | instid1(VALU_DEP_1)
	v_and_b32_e32 v7, 0x7f, v2
	v_cmpx_ne_u32_e32 0x7f, v7
	s_cbranch_execz .LBB270_567
; %bb.564:                              ;   in Loop: Header=BB270_9 Depth=1
	v_dual_lshrrev_b32 v6, 3, v7 :: v_dual_bitop2_b32 v3, 7, v2 bitop3:0x40
	s_mov_b32 s19, exec_lo
	v_cmpx_gt_u32_e32 8, v7
; %bb.565:                              ;   in Loop: Header=BB270_9 Depth=1
	s_delay_alu instid0(VALU_DEP_2) | instskip(NEXT) | instid1(VALU_DEP_1)
	v_clz_i32_u32_e32 v3, v3
	v_min_u32_e32 v3, 32, v3
	s_delay_alu instid0(VALU_DEP_1) | instskip(NEXT) | instid1(VALU_DEP_1)
	v_subrev_nc_u32_e32 v6, 28, v3
	v_lshlrev_b64_e32 v[10:11], v6, v[24:25]
	s_delay_alu instid0(VALU_DEP_1)
	v_dual_sub_nc_u32 v6, 29, v3 :: v_dual_bitop2_b32 v3, 7, v10 bitop3:0x40
; %bb.566:                              ;   in Loop: Header=BB270_9 Depth=1
	s_or_b32 exec_lo, exec_lo, s19
	s_delay_alu instid0(VALU_DEP_1) | instskip(NEXT) | instid1(VALU_DEP_2)
	v_dual_lshlrev_b32 v2, 8, v2 :: v_dual_lshlrev_b32 v3, 23, v3
	v_lshl_add_u32 v6, v6, 10, 0x2000
	s_delay_alu instid0(VALU_DEP_1) | instskip(NEXT) | instid1(VALU_DEP_1)
	v_and_or_b32 v2, 0x8000, v2, v6
	v_lshl_or_b32 v90, v2, 16, v3
.LBB270_567:                            ;   in Loop: Header=BB270_9 Depth=1
	s_or_b32 exec_lo, exec_lo, s18
.LBB270_568:                            ;   in Loop: Header=BB270_9 Depth=1
	s_delay_alu instid0(SALU_CYCLE_1)
	s_or_b32 exec_lo, exec_lo, s17
.LBB270_569:                            ;   in Loop: Header=BB270_9 Depth=1
	s_delay_alu instid0(SALU_CYCLE_1) | instskip(SKIP_3) | instid1(VALU_DEP_2)
	s_or_b32 exec_lo, exec_lo, s16
	v_dual_lshrrev_b32 v24, 16, v8 :: v_dual_mov_b32 v106, 0
	v_mov_b32_e32 v109, 0
	s_mov_b32 s16, exec_lo
	v_and_b32_e32 v2, 0xff, v24
	s_delay_alu instid0(VALU_DEP_1)
	v_cmpx_ne_u16_e32 0, v2
	s_cbranch_execz .LBB270_577
; %bb.570:                              ;   in Loop: Header=BB270_9 Depth=1
	v_mov_b32_e32 v109, 0x8000
	s_mov_b32 s17, exec_lo
	v_cmpx_ne_u16_e32 0x80, v2
	s_cbranch_execz .LBB270_576
; %bb.571:                              ;   in Loop: Header=BB270_9 Depth=1
	v_bfe_u32 v6, v8, 16, 7
	v_mov_b32_e32 v109, 0x7c01
	s_mov_b32 s18, exec_lo
	s_delay_alu instid0(VALU_DEP_2)
	v_cmpx_ne_u32_e32 0x7f, v6
	s_cbranch_execz .LBB270_575
; %bb.572:                              ;   in Loop: Header=BB270_9 Depth=1
	v_dual_lshrrev_b32 v3, 3, v6 :: v_dual_bitop2_b32 v2, 7, v24 bitop3:0x40
	s_mov_b32 s19, exec_lo
	v_cmpx_gt_u32_e32 8, v6
; %bb.573:                              ;   in Loop: Header=BB270_9 Depth=1
	s_delay_alu instid0(VALU_DEP_2) | instskip(NEXT) | instid1(VALU_DEP_1)
	v_clz_i32_u32_e32 v2, v2
	v_min_u32_e32 v6, 32, v2
	s_delay_alu instid0(VALU_DEP_1) | instskip(NEXT) | instid1(VALU_DEP_1)
	v_subrev_nc_u32_e32 v2, 28, v6
	v_lshlrev_b64_e32 v[2:3], v2, v[24:25]
	v_sub_nc_u32_e32 v3, 29, v6
	s_delay_alu instid0(VALU_DEP_2)
	v_and_b32_e32 v2, 7, v2
; %bb.574:                              ;   in Loop: Header=BB270_9 Depth=1
	s_or_b32 exec_lo, exec_lo, s19
	s_delay_alu instid0(VALU_DEP_1) | instskip(NEXT) | instid1(VALU_DEP_3)
	v_dual_lshlrev_b32 v6, 8, v24 :: v_dual_lshlrev_b32 v2, 7, v2
	v_lshl_add_u32 v3, v3, 10, 0x2000
	s_delay_alu instid0(VALU_DEP_2) | instskip(NEXT) | instid1(VALU_DEP_2)
	v_and_b32_e32 v6, 0x8000, v6
	v_and_b32_e32 v3, 0xfc00, v3
	s_delay_alu instid0(VALU_DEP_1)
	v_or3_b32 v109, v6, v3, v2
.LBB270_575:                            ;   in Loop: Header=BB270_9 Depth=1
	s_or_b32 exec_lo, exec_lo, s18
.LBB270_576:                            ;   in Loop: Header=BB270_9 Depth=1
	s_delay_alu instid0(SALU_CYCLE_1)
	s_or_b32 exec_lo, exec_lo, s17
.LBB270_577:                            ;   in Loop: Header=BB270_9 Depth=1
	s_delay_alu instid0(SALU_CYCLE_1) | instskip(NEXT) | instid1(SALU_CYCLE_1)
	s_or_b32 exec_lo, exec_lo, s16
	s_mov_b32 s16, exec_lo
	v_cmpx_lt_u32_e32 0xffffff, v8
	s_cbranch_execz .LBB270_585
; %bb.578:                              ;   in Loop: Header=BB270_9 Depth=1
	v_lshrrev_b32_e32 v24, 24, v8
	v_bfrev_b32_e32 v106, 1
	s_mov_b32 s17, exec_lo
	s_delay_alu instid0(VALU_DEP_2)
	v_cmpx_ne_u32_e32 0x80, v24
	s_cbranch_execz .LBB270_584
; %bb.579:                              ;   in Loop: Header=BB270_9 Depth=1
	v_and_b32_e32 v6, 0x7f, v24
	v_mov_b32_e32 v106, 0x7c010000
	s_mov_b32 s18, exec_lo
	s_delay_alu instid0(VALU_DEP_2)
	v_cmpx_ne_u32_e32 0x7f, v6
	s_cbranch_execz .LBB270_583
; %bb.580:                              ;   in Loop: Header=BB270_9 Depth=1
	v_dual_lshrrev_b32 v3, 3, v6 :: v_dual_bitop2_b32 v2, 7, v24 bitop3:0x40
	s_mov_b32 s19, exec_lo
	v_cmpx_gt_u32_e32 8, v6
; %bb.581:                              ;   in Loop: Header=BB270_9 Depth=1
	s_delay_alu instid0(VALU_DEP_2) | instskip(NEXT) | instid1(VALU_DEP_1)
	v_clz_i32_u32_e32 v2, v2
	v_min_u32_e32 v6, 32, v2
	s_delay_alu instid0(VALU_DEP_1) | instskip(NEXT) | instid1(VALU_DEP_1)
	v_subrev_nc_u32_e32 v2, 28, v6
	v_lshlrev_b64_e32 v[2:3], v2, v[24:25]
	v_sub_nc_u32_e32 v3, 29, v6
	s_delay_alu instid0(VALU_DEP_2)
	v_and_b32_e32 v2, 7, v2
; %bb.582:                              ;   in Loop: Header=BB270_9 Depth=1
	s_or_b32 exec_lo, exec_lo, s19
	s_delay_alu instid0(VALU_DEP_1) | instskip(NEXT) | instid1(VALU_DEP_3)
	v_dual_lshlrev_b32 v6, 8, v24 :: v_dual_lshlrev_b32 v2, 23, v2
	v_lshl_add_u32 v3, v3, 10, 0x2000
	s_delay_alu instid0(VALU_DEP_1) | instskip(NEXT) | instid1(VALU_DEP_1)
	v_and_or_b32 v3, 0x8000, v6, v3
	v_lshl_or_b32 v106, v3, 16, v2
.LBB270_583:                            ;   in Loop: Header=BB270_9 Depth=1
	s_or_b32 exec_lo, exec_lo, s18
.LBB270_584:                            ;   in Loop: Header=BB270_9 Depth=1
	s_delay_alu instid0(SALU_CYCLE_1)
	s_or_b32 exec_lo, exec_lo, s17
.LBB270_585:                            ;   in Loop: Header=BB270_9 Depth=1
	s_delay_alu instid0(SALU_CYCLE_1)
	s_or_b32 exec_lo, exec_lo, s16
	flat_load_b32 v8, v[28:29] offset:2304
	v_dual_mov_b32 v75, 0 :: v_dual_mov_b32 v77, 0
	s_mov_b32 s16, exec_lo
	s_wait_loadcnt_dscnt 0x0
	v_and_b32_e32 v2, 0xff, v8
	s_wait_xcnt 0x0
	s_delay_alu instid0(VALU_DEP_1)
	v_cmpx_ne_u16_e32 0, v2
	s_cbranch_execz .LBB270_593
; %bb.586:                              ;   in Loop: Header=BB270_9 Depth=1
	v_mov_b32_e32 v77, 0x8000
	s_mov_b32 s17, exec_lo
	v_cmpx_ne_u16_e32 0x80, v2
	s_cbranch_execz .LBB270_592
; %bb.587:                              ;   in Loop: Header=BB270_9 Depth=1
	v_and_b32_e32 v6, 0x7f, v8
	v_mov_b32_e32 v77, 0x7c01
	s_mov_b32 s18, exec_lo
	s_delay_alu instid0(VALU_DEP_2)
	v_cmpx_ne_u32_e32 0x7f, v6
	s_cbranch_execz .LBB270_591
; %bb.588:                              ;   in Loop: Header=BB270_9 Depth=1
	v_dual_lshrrev_b32 v3, 3, v6 :: v_dual_bitop2_b32 v2, 7, v8 bitop3:0x40
	s_mov_b32 s19, exec_lo
	v_cmpx_gt_u32_e32 8, v6
; %bb.589:                              ;   in Loop: Header=BB270_9 Depth=1
	s_delay_alu instid0(VALU_DEP_2) | instskip(NEXT) | instid1(VALU_DEP_1)
	v_clz_i32_u32_e32 v2, v2
	v_min_u32_e32 v6, 32, v2
	s_delay_alu instid0(VALU_DEP_1) | instskip(NEXT) | instid1(VALU_DEP_1)
	v_subrev_nc_u32_e32 v2, 28, v6
	v_lshlrev_b64_e32 v[2:3], v2, v[8:9]
	v_sub_nc_u32_e32 v3, 29, v6
	s_delay_alu instid0(VALU_DEP_2)
	v_and_b32_e32 v2, 7, v2
; %bb.590:                              ;   in Loop: Header=BB270_9 Depth=1
	s_or_b32 exec_lo, exec_lo, s19
	s_delay_alu instid0(VALU_DEP_1) | instskip(NEXT) | instid1(VALU_DEP_3)
	v_dual_lshlrev_b32 v6, 8, v8 :: v_dual_lshlrev_b32 v2, 7, v2
	v_lshl_add_u32 v3, v3, 10, 0x2000
	s_delay_alu instid0(VALU_DEP_2) | instskip(NEXT) | instid1(VALU_DEP_2)
	v_and_b32_e32 v6, 0x8000, v6
	v_and_b32_e32 v3, 0xfc00, v3
	s_delay_alu instid0(VALU_DEP_1)
	v_or3_b32 v77, v6, v3, v2
.LBB270_591:                            ;   in Loop: Header=BB270_9 Depth=1
	s_or_b32 exec_lo, exec_lo, s18
.LBB270_592:                            ;   in Loop: Header=BB270_9 Depth=1
	s_delay_alu instid0(SALU_CYCLE_1)
	s_or_b32 exec_lo, exec_lo, s17
.LBB270_593:                            ;   in Loop: Header=BB270_9 Depth=1
	s_delay_alu instid0(SALU_CYCLE_1) | instskip(SKIP_2) | instid1(VALU_DEP_1)
	s_or_b32 exec_lo, exec_lo, s16
	v_lshrrev_b16 v24, 8, v8
	s_mov_b32 s16, exec_lo
	v_cmpx_ne_u16_e32 0, v24
	s_cbranch_execz .LBB270_601
; %bb.594:                              ;   in Loop: Header=BB270_9 Depth=1
	v_bfrev_b32_e32 v75, 1
	s_mov_b32 s17, exec_lo
	v_cmpx_ne_u16_e32 0x80, v24
	s_cbranch_execz .LBB270_600
; %bb.595:                              ;   in Loop: Header=BB270_9 Depth=1
	v_and_b32_e32 v2, 0xffff, v24
	v_mov_b32_e32 v75, 0x7c010000
	s_mov_b32 s18, exec_lo
	s_delay_alu instid0(VALU_DEP_2) | instskip(NEXT) | instid1(VALU_DEP_1)
	v_and_b32_e32 v7, 0x7f, v2
	v_cmpx_ne_u32_e32 0x7f, v7
	s_cbranch_execz .LBB270_599
; %bb.596:                              ;   in Loop: Header=BB270_9 Depth=1
	v_dual_lshrrev_b32 v6, 3, v7 :: v_dual_bitop2_b32 v3, 7, v2 bitop3:0x40
	s_mov_b32 s19, exec_lo
	v_cmpx_gt_u32_e32 8, v7
; %bb.597:                              ;   in Loop: Header=BB270_9 Depth=1
	s_delay_alu instid0(VALU_DEP_2) | instskip(NEXT) | instid1(VALU_DEP_1)
	v_clz_i32_u32_e32 v3, v3
	v_min_u32_e32 v3, 32, v3
	s_delay_alu instid0(VALU_DEP_1) | instskip(NEXT) | instid1(VALU_DEP_1)
	v_subrev_nc_u32_e32 v6, 28, v3
	v_lshlrev_b64_e32 v[10:11], v6, v[24:25]
	s_delay_alu instid0(VALU_DEP_1)
	v_dual_sub_nc_u32 v6, 29, v3 :: v_dual_bitop2_b32 v3, 7, v10 bitop3:0x40
; %bb.598:                              ;   in Loop: Header=BB270_9 Depth=1
	s_or_b32 exec_lo, exec_lo, s19
	s_delay_alu instid0(VALU_DEP_1) | instskip(NEXT) | instid1(VALU_DEP_2)
	v_dual_lshlrev_b32 v2, 8, v2 :: v_dual_lshlrev_b32 v3, 23, v3
	v_lshl_add_u32 v6, v6, 10, 0x2000
	s_delay_alu instid0(VALU_DEP_1) | instskip(NEXT) | instid1(VALU_DEP_1)
	v_and_or_b32 v2, 0x8000, v2, v6
	v_lshl_or_b32 v75, v2, 16, v3
.LBB270_599:                            ;   in Loop: Header=BB270_9 Depth=1
	s_or_b32 exec_lo, exec_lo, s18
.LBB270_600:                            ;   in Loop: Header=BB270_9 Depth=1
	s_delay_alu instid0(SALU_CYCLE_1)
	s_or_b32 exec_lo, exec_lo, s17
.LBB270_601:                            ;   in Loop: Header=BB270_9 Depth=1
	s_delay_alu instid0(SALU_CYCLE_1) | instskip(SKIP_3) | instid1(VALU_DEP_2)
	s_or_b32 exec_lo, exec_lo, s16
	v_dual_lshrrev_b32 v24, 16, v8 :: v_dual_mov_b32 v92, 0
	v_mov_b32_e32 v93, 0
	s_mov_b32 s16, exec_lo
	v_and_b32_e32 v2, 0xff, v24
	s_delay_alu instid0(VALU_DEP_1)
	v_cmpx_ne_u16_e32 0, v2
	s_cbranch_execz .LBB270_609
; %bb.602:                              ;   in Loop: Header=BB270_9 Depth=1
	v_mov_b32_e32 v93, 0x8000
	s_mov_b32 s17, exec_lo
	v_cmpx_ne_u16_e32 0x80, v2
	s_cbranch_execz .LBB270_608
; %bb.603:                              ;   in Loop: Header=BB270_9 Depth=1
	v_bfe_u32 v6, v8, 16, 7
	v_mov_b32_e32 v93, 0x7c01
	s_mov_b32 s18, exec_lo
	s_delay_alu instid0(VALU_DEP_2)
	v_cmpx_ne_u32_e32 0x7f, v6
	s_cbranch_execz .LBB270_607
; %bb.604:                              ;   in Loop: Header=BB270_9 Depth=1
	v_dual_lshrrev_b32 v3, 3, v6 :: v_dual_bitop2_b32 v2, 7, v24 bitop3:0x40
	s_mov_b32 s19, exec_lo
	v_cmpx_gt_u32_e32 8, v6
; %bb.605:                              ;   in Loop: Header=BB270_9 Depth=1
	s_delay_alu instid0(VALU_DEP_2) | instskip(NEXT) | instid1(VALU_DEP_1)
	v_clz_i32_u32_e32 v2, v2
	v_min_u32_e32 v6, 32, v2
	s_delay_alu instid0(VALU_DEP_1) | instskip(NEXT) | instid1(VALU_DEP_1)
	v_subrev_nc_u32_e32 v2, 28, v6
	v_lshlrev_b64_e32 v[2:3], v2, v[24:25]
	v_sub_nc_u32_e32 v3, 29, v6
	s_delay_alu instid0(VALU_DEP_2)
	v_and_b32_e32 v2, 7, v2
; %bb.606:                              ;   in Loop: Header=BB270_9 Depth=1
	s_or_b32 exec_lo, exec_lo, s19
	s_delay_alu instid0(VALU_DEP_1) | instskip(NEXT) | instid1(VALU_DEP_3)
	v_dual_lshlrev_b32 v6, 8, v24 :: v_dual_lshlrev_b32 v2, 7, v2
	v_lshl_add_u32 v3, v3, 10, 0x2000
	s_delay_alu instid0(VALU_DEP_2) | instskip(NEXT) | instid1(VALU_DEP_2)
	v_and_b32_e32 v6, 0x8000, v6
	v_and_b32_e32 v3, 0xfc00, v3
	s_delay_alu instid0(VALU_DEP_1)
	v_or3_b32 v93, v6, v3, v2
.LBB270_607:                            ;   in Loop: Header=BB270_9 Depth=1
	s_or_b32 exec_lo, exec_lo, s18
.LBB270_608:                            ;   in Loop: Header=BB270_9 Depth=1
	s_delay_alu instid0(SALU_CYCLE_1)
	s_or_b32 exec_lo, exec_lo, s17
.LBB270_609:                            ;   in Loop: Header=BB270_9 Depth=1
	s_delay_alu instid0(SALU_CYCLE_1) | instskip(NEXT) | instid1(SALU_CYCLE_1)
	s_or_b32 exec_lo, exec_lo, s16
	s_mov_b32 s16, exec_lo
	v_cmpx_lt_u32_e32 0xffffff, v8
	s_cbranch_execz .LBB270_617
; %bb.610:                              ;   in Loop: Header=BB270_9 Depth=1
	v_lshrrev_b32_e32 v24, 24, v8
	v_bfrev_b32_e32 v92, 1
	s_mov_b32 s17, exec_lo
	s_delay_alu instid0(VALU_DEP_2)
	v_cmpx_ne_u32_e32 0x80, v24
	s_cbranch_execz .LBB270_616
; %bb.611:                              ;   in Loop: Header=BB270_9 Depth=1
	v_and_b32_e32 v6, 0x7f, v24
	v_mov_b32_e32 v92, 0x7c010000
	s_mov_b32 s18, exec_lo
	s_delay_alu instid0(VALU_DEP_2)
	v_cmpx_ne_u32_e32 0x7f, v6
	s_cbranch_execz .LBB270_615
; %bb.612:                              ;   in Loop: Header=BB270_9 Depth=1
	v_dual_lshrrev_b32 v3, 3, v6 :: v_dual_bitop2_b32 v2, 7, v24 bitop3:0x40
	s_mov_b32 s19, exec_lo
	v_cmpx_gt_u32_e32 8, v6
; %bb.613:                              ;   in Loop: Header=BB270_9 Depth=1
	s_delay_alu instid0(VALU_DEP_2) | instskip(NEXT) | instid1(VALU_DEP_1)
	v_clz_i32_u32_e32 v2, v2
	v_min_u32_e32 v6, 32, v2
	s_delay_alu instid0(VALU_DEP_1) | instskip(NEXT) | instid1(VALU_DEP_1)
	v_subrev_nc_u32_e32 v2, 28, v6
	v_lshlrev_b64_e32 v[2:3], v2, v[24:25]
	v_sub_nc_u32_e32 v3, 29, v6
	s_delay_alu instid0(VALU_DEP_2)
	v_and_b32_e32 v2, 7, v2
; %bb.614:                              ;   in Loop: Header=BB270_9 Depth=1
	s_or_b32 exec_lo, exec_lo, s19
	s_delay_alu instid0(VALU_DEP_1) | instskip(NEXT) | instid1(VALU_DEP_3)
	v_dual_lshlrev_b32 v6, 8, v24 :: v_dual_lshlrev_b32 v2, 23, v2
	v_lshl_add_u32 v3, v3, 10, 0x2000
	s_delay_alu instid0(VALU_DEP_1) | instskip(NEXT) | instid1(VALU_DEP_1)
	v_and_or_b32 v3, 0x8000, v6, v3
	v_lshl_or_b32 v92, v3, 16, v2
.LBB270_615:                            ;   in Loop: Header=BB270_9 Depth=1
	s_or_b32 exec_lo, exec_lo, s18
.LBB270_616:                            ;   in Loop: Header=BB270_9 Depth=1
	s_delay_alu instid0(SALU_CYCLE_1)
	s_or_b32 exec_lo, exec_lo, s17
.LBB270_617:                            ;   in Loop: Header=BB270_9 Depth=1
	s_delay_alu instid0(SALU_CYCLE_1)
	s_or_b32 exec_lo, exec_lo, s16
	flat_load_b32 v8, v[28:29] offset:2312
	v_dual_mov_b32 v60, 0 :: v_dual_mov_b32 v61, 0
	s_mov_b32 s16, exec_lo
	s_wait_loadcnt_dscnt 0x0
	v_and_b32_e32 v2, 0xff, v8
	s_wait_xcnt 0x0
	s_delay_alu instid0(VALU_DEP_1)
	v_cmpx_ne_u16_e32 0, v2
	s_cbranch_execz .LBB270_625
; %bb.618:                              ;   in Loop: Header=BB270_9 Depth=1
	v_mov_b32_e32 v61, 0x8000
	s_mov_b32 s17, exec_lo
	v_cmpx_ne_u16_e32 0x80, v2
	s_cbranch_execz .LBB270_624
; %bb.619:                              ;   in Loop: Header=BB270_9 Depth=1
	v_and_b32_e32 v6, 0x7f, v8
	v_mov_b32_e32 v61, 0x7c01
	s_mov_b32 s18, exec_lo
	s_delay_alu instid0(VALU_DEP_2)
	v_cmpx_ne_u32_e32 0x7f, v6
	s_cbranch_execz .LBB270_623
; %bb.620:                              ;   in Loop: Header=BB270_9 Depth=1
	v_dual_lshrrev_b32 v3, 3, v6 :: v_dual_bitop2_b32 v2, 7, v8 bitop3:0x40
	s_mov_b32 s19, exec_lo
	v_cmpx_gt_u32_e32 8, v6
; %bb.621:                              ;   in Loop: Header=BB270_9 Depth=1
	s_delay_alu instid0(VALU_DEP_2) | instskip(NEXT) | instid1(VALU_DEP_1)
	v_clz_i32_u32_e32 v2, v2
	v_min_u32_e32 v6, 32, v2
	s_delay_alu instid0(VALU_DEP_1) | instskip(NEXT) | instid1(VALU_DEP_1)
	v_subrev_nc_u32_e32 v2, 28, v6
	v_lshlrev_b64_e32 v[2:3], v2, v[8:9]
	v_sub_nc_u32_e32 v3, 29, v6
	s_delay_alu instid0(VALU_DEP_2)
	v_and_b32_e32 v2, 7, v2
; %bb.622:                              ;   in Loop: Header=BB270_9 Depth=1
	s_or_b32 exec_lo, exec_lo, s19
	s_delay_alu instid0(VALU_DEP_1) | instskip(NEXT) | instid1(VALU_DEP_3)
	v_dual_lshlrev_b32 v6, 8, v8 :: v_dual_lshlrev_b32 v2, 7, v2
	v_lshl_add_u32 v3, v3, 10, 0x2000
	s_delay_alu instid0(VALU_DEP_2) | instskip(NEXT) | instid1(VALU_DEP_2)
	v_and_b32_e32 v6, 0x8000, v6
	v_and_b32_e32 v3, 0xfc00, v3
	s_delay_alu instid0(VALU_DEP_1)
	v_or3_b32 v61, v6, v3, v2
.LBB270_623:                            ;   in Loop: Header=BB270_9 Depth=1
	s_or_b32 exec_lo, exec_lo, s18
.LBB270_624:                            ;   in Loop: Header=BB270_9 Depth=1
	s_delay_alu instid0(SALU_CYCLE_1)
	s_or_b32 exec_lo, exec_lo, s17
.LBB270_625:                            ;   in Loop: Header=BB270_9 Depth=1
	s_delay_alu instid0(SALU_CYCLE_1) | instskip(SKIP_2) | instid1(VALU_DEP_1)
	s_or_b32 exec_lo, exec_lo, s16
	v_lshrrev_b16 v24, 8, v8
	s_mov_b32 s16, exec_lo
	v_cmpx_ne_u16_e32 0, v24
	s_cbranch_execz .LBB270_633
; %bb.626:                              ;   in Loop: Header=BB270_9 Depth=1
	v_bfrev_b32_e32 v60, 1
	s_mov_b32 s17, exec_lo
	v_cmpx_ne_u16_e32 0x80, v24
	s_cbranch_execz .LBB270_632
; %bb.627:                              ;   in Loop: Header=BB270_9 Depth=1
	v_and_b32_e32 v2, 0xffff, v24
	v_mov_b32_e32 v60, 0x7c010000
	s_mov_b32 s18, exec_lo
	s_delay_alu instid0(VALU_DEP_2) | instskip(NEXT) | instid1(VALU_DEP_1)
	v_and_b32_e32 v7, 0x7f, v2
	v_cmpx_ne_u32_e32 0x7f, v7
	s_cbranch_execz .LBB270_631
; %bb.628:                              ;   in Loop: Header=BB270_9 Depth=1
	v_dual_lshrrev_b32 v6, 3, v7 :: v_dual_bitop2_b32 v3, 7, v2 bitop3:0x40
	s_mov_b32 s19, exec_lo
	v_cmpx_gt_u32_e32 8, v7
; %bb.629:                              ;   in Loop: Header=BB270_9 Depth=1
	s_delay_alu instid0(VALU_DEP_2) | instskip(NEXT) | instid1(VALU_DEP_1)
	v_clz_i32_u32_e32 v3, v3
	v_min_u32_e32 v3, 32, v3
	s_delay_alu instid0(VALU_DEP_1) | instskip(NEXT) | instid1(VALU_DEP_1)
	v_subrev_nc_u32_e32 v6, 28, v3
	v_lshlrev_b64_e32 v[10:11], v6, v[24:25]
	s_delay_alu instid0(VALU_DEP_1)
	v_dual_sub_nc_u32 v6, 29, v3 :: v_dual_bitop2_b32 v3, 7, v10 bitop3:0x40
; %bb.630:                              ;   in Loop: Header=BB270_9 Depth=1
	s_or_b32 exec_lo, exec_lo, s19
	s_delay_alu instid0(VALU_DEP_1) | instskip(NEXT) | instid1(VALU_DEP_2)
	v_dual_lshlrev_b32 v2, 8, v2 :: v_dual_lshlrev_b32 v3, 23, v3
	v_lshl_add_u32 v6, v6, 10, 0x2000
	s_delay_alu instid0(VALU_DEP_1) | instskip(NEXT) | instid1(VALU_DEP_1)
	v_and_or_b32 v2, 0x8000, v2, v6
	v_lshl_or_b32 v60, v2, 16, v3
.LBB270_631:                            ;   in Loop: Header=BB270_9 Depth=1
	s_or_b32 exec_lo, exec_lo, s18
.LBB270_632:                            ;   in Loop: Header=BB270_9 Depth=1
	s_delay_alu instid0(SALU_CYCLE_1)
	s_or_b32 exec_lo, exec_lo, s17
.LBB270_633:                            ;   in Loop: Header=BB270_9 Depth=1
	s_delay_alu instid0(SALU_CYCLE_1) | instskip(SKIP_3) | instid1(VALU_DEP_2)
	s_or_b32 exec_lo, exec_lo, s16
	v_dual_lshrrev_b32 v24, 16, v8 :: v_dual_mov_b32 v78, 0
	v_mov_b32_e32 v79, 0
	s_mov_b32 s16, exec_lo
	v_and_b32_e32 v2, 0xff, v24
	s_delay_alu instid0(VALU_DEP_1)
	v_cmpx_ne_u16_e32 0, v2
	s_cbranch_execz .LBB270_641
; %bb.634:                              ;   in Loop: Header=BB270_9 Depth=1
	v_mov_b32_e32 v79, 0x8000
	s_mov_b32 s17, exec_lo
	v_cmpx_ne_u16_e32 0x80, v2
	s_cbranch_execz .LBB270_640
; %bb.635:                              ;   in Loop: Header=BB270_9 Depth=1
	v_bfe_u32 v6, v8, 16, 7
	v_mov_b32_e32 v79, 0x7c01
	s_mov_b32 s18, exec_lo
	s_delay_alu instid0(VALU_DEP_2)
	v_cmpx_ne_u32_e32 0x7f, v6
	s_cbranch_execz .LBB270_639
; %bb.636:                              ;   in Loop: Header=BB270_9 Depth=1
	v_dual_lshrrev_b32 v3, 3, v6 :: v_dual_bitop2_b32 v2, 7, v24 bitop3:0x40
	s_mov_b32 s19, exec_lo
	v_cmpx_gt_u32_e32 8, v6
; %bb.637:                              ;   in Loop: Header=BB270_9 Depth=1
	s_delay_alu instid0(VALU_DEP_2) | instskip(NEXT) | instid1(VALU_DEP_1)
	v_clz_i32_u32_e32 v2, v2
	v_min_u32_e32 v6, 32, v2
	s_delay_alu instid0(VALU_DEP_1) | instskip(NEXT) | instid1(VALU_DEP_1)
	v_subrev_nc_u32_e32 v2, 28, v6
	v_lshlrev_b64_e32 v[2:3], v2, v[24:25]
	v_sub_nc_u32_e32 v3, 29, v6
	s_delay_alu instid0(VALU_DEP_2)
	v_and_b32_e32 v2, 7, v2
; %bb.638:                              ;   in Loop: Header=BB270_9 Depth=1
	s_or_b32 exec_lo, exec_lo, s19
	s_delay_alu instid0(VALU_DEP_1) | instskip(NEXT) | instid1(VALU_DEP_3)
	v_dual_lshlrev_b32 v6, 8, v24 :: v_dual_lshlrev_b32 v2, 7, v2
	v_lshl_add_u32 v3, v3, 10, 0x2000
	s_delay_alu instid0(VALU_DEP_2) | instskip(NEXT) | instid1(VALU_DEP_2)
	v_and_b32_e32 v6, 0x8000, v6
	v_and_b32_e32 v3, 0xfc00, v3
	s_delay_alu instid0(VALU_DEP_1)
	v_or3_b32 v79, v6, v3, v2
.LBB270_639:                            ;   in Loop: Header=BB270_9 Depth=1
	s_or_b32 exec_lo, exec_lo, s18
.LBB270_640:                            ;   in Loop: Header=BB270_9 Depth=1
	s_delay_alu instid0(SALU_CYCLE_1)
	s_or_b32 exec_lo, exec_lo, s17
.LBB270_641:                            ;   in Loop: Header=BB270_9 Depth=1
	s_delay_alu instid0(SALU_CYCLE_1) | instskip(NEXT) | instid1(SALU_CYCLE_1)
	s_or_b32 exec_lo, exec_lo, s16
	s_mov_b32 s16, exec_lo
	v_cmpx_lt_u32_e32 0xffffff, v8
	s_cbranch_execz .LBB270_649
; %bb.642:                              ;   in Loop: Header=BB270_9 Depth=1
	v_lshrrev_b32_e32 v24, 24, v8
	v_bfrev_b32_e32 v78, 1
	s_mov_b32 s17, exec_lo
	s_delay_alu instid0(VALU_DEP_2)
	v_cmpx_ne_u32_e32 0x80, v24
	s_cbranch_execz .LBB270_648
; %bb.643:                              ;   in Loop: Header=BB270_9 Depth=1
	v_and_b32_e32 v6, 0x7f, v24
	v_mov_b32_e32 v78, 0x7c010000
	s_mov_b32 s18, exec_lo
	s_delay_alu instid0(VALU_DEP_2)
	v_cmpx_ne_u32_e32 0x7f, v6
	s_cbranch_execz .LBB270_647
; %bb.644:                              ;   in Loop: Header=BB270_9 Depth=1
	v_dual_lshrrev_b32 v3, 3, v6 :: v_dual_bitop2_b32 v2, 7, v24 bitop3:0x40
	s_mov_b32 s19, exec_lo
	v_cmpx_gt_u32_e32 8, v6
; %bb.645:                              ;   in Loop: Header=BB270_9 Depth=1
	s_delay_alu instid0(VALU_DEP_2) | instskip(NEXT) | instid1(VALU_DEP_1)
	v_clz_i32_u32_e32 v2, v2
	v_min_u32_e32 v6, 32, v2
	s_delay_alu instid0(VALU_DEP_1) | instskip(NEXT) | instid1(VALU_DEP_1)
	v_subrev_nc_u32_e32 v2, 28, v6
	v_lshlrev_b64_e32 v[2:3], v2, v[24:25]
	v_sub_nc_u32_e32 v3, 29, v6
	s_delay_alu instid0(VALU_DEP_2)
	v_and_b32_e32 v2, 7, v2
; %bb.646:                              ;   in Loop: Header=BB270_9 Depth=1
	s_or_b32 exec_lo, exec_lo, s19
	s_delay_alu instid0(VALU_DEP_1) | instskip(NEXT) | instid1(VALU_DEP_3)
	v_dual_lshlrev_b32 v6, 8, v24 :: v_dual_lshlrev_b32 v2, 23, v2
	v_lshl_add_u32 v3, v3, 10, 0x2000
	s_delay_alu instid0(VALU_DEP_1) | instskip(NEXT) | instid1(VALU_DEP_1)
	v_and_or_b32 v3, 0x8000, v6, v3
	v_lshl_or_b32 v78, v3, 16, v2
.LBB270_647:                            ;   in Loop: Header=BB270_9 Depth=1
	s_or_b32 exec_lo, exec_lo, s18
.LBB270_648:                            ;   in Loop: Header=BB270_9 Depth=1
	s_delay_alu instid0(SALU_CYCLE_1)
	s_or_b32 exec_lo, exec_lo, s17
.LBB270_649:                            ;   in Loop: Header=BB270_9 Depth=1
	s_delay_alu instid0(SALU_CYCLE_1)
	s_or_b32 exec_lo, exec_lo, s16
	flat_load_b32 v8, v[28:29] offset:2560
	v_dual_mov_b32 v56, 0 :: v_dual_mov_b32 v59, 0
	s_mov_b32 s16, exec_lo
	s_wait_loadcnt_dscnt 0x0
	v_and_b32_e32 v2, 0xff, v8
	s_wait_xcnt 0x0
	s_delay_alu instid0(VALU_DEP_1)
	v_cmpx_ne_u16_e32 0, v2
	s_cbranch_execz .LBB270_657
; %bb.650:                              ;   in Loop: Header=BB270_9 Depth=1
	v_mov_b32_e32 v59, 0x8000
	s_mov_b32 s17, exec_lo
	v_cmpx_ne_u16_e32 0x80, v2
	s_cbranch_execz .LBB270_656
; %bb.651:                              ;   in Loop: Header=BB270_9 Depth=1
	v_and_b32_e32 v6, 0x7f, v8
	v_mov_b32_e32 v59, 0x7c01
	s_mov_b32 s18, exec_lo
	s_delay_alu instid0(VALU_DEP_2)
	v_cmpx_ne_u32_e32 0x7f, v6
	s_cbranch_execz .LBB270_655
; %bb.652:                              ;   in Loop: Header=BB270_9 Depth=1
	v_dual_lshrrev_b32 v3, 3, v6 :: v_dual_bitop2_b32 v2, 7, v8 bitop3:0x40
	s_mov_b32 s19, exec_lo
	v_cmpx_gt_u32_e32 8, v6
; %bb.653:                              ;   in Loop: Header=BB270_9 Depth=1
	s_delay_alu instid0(VALU_DEP_2) | instskip(NEXT) | instid1(VALU_DEP_1)
	v_clz_i32_u32_e32 v2, v2
	v_min_u32_e32 v6, 32, v2
	s_delay_alu instid0(VALU_DEP_1) | instskip(NEXT) | instid1(VALU_DEP_1)
	v_subrev_nc_u32_e32 v2, 28, v6
	v_lshlrev_b64_e32 v[2:3], v2, v[8:9]
	v_sub_nc_u32_e32 v3, 29, v6
	s_delay_alu instid0(VALU_DEP_2)
	v_and_b32_e32 v2, 7, v2
; %bb.654:                              ;   in Loop: Header=BB270_9 Depth=1
	s_or_b32 exec_lo, exec_lo, s19
	s_delay_alu instid0(VALU_DEP_1) | instskip(NEXT) | instid1(VALU_DEP_3)
	v_dual_lshlrev_b32 v6, 8, v8 :: v_dual_lshlrev_b32 v2, 7, v2
	v_lshl_add_u32 v3, v3, 10, 0x2000
	s_delay_alu instid0(VALU_DEP_2) | instskip(NEXT) | instid1(VALU_DEP_2)
	v_and_b32_e32 v6, 0x8000, v6
	v_and_b32_e32 v3, 0xfc00, v3
	s_delay_alu instid0(VALU_DEP_1)
	v_or3_b32 v59, v6, v3, v2
.LBB270_655:                            ;   in Loop: Header=BB270_9 Depth=1
	s_or_b32 exec_lo, exec_lo, s18
.LBB270_656:                            ;   in Loop: Header=BB270_9 Depth=1
	s_delay_alu instid0(SALU_CYCLE_1)
	s_or_b32 exec_lo, exec_lo, s17
.LBB270_657:                            ;   in Loop: Header=BB270_9 Depth=1
	s_delay_alu instid0(SALU_CYCLE_1) | instskip(SKIP_2) | instid1(VALU_DEP_1)
	s_or_b32 exec_lo, exec_lo, s16
	v_lshrrev_b16 v24, 8, v8
	s_mov_b32 s16, exec_lo
	v_cmpx_ne_u16_e32 0, v24
	s_cbranch_execz .LBB270_665
; %bb.658:                              ;   in Loop: Header=BB270_9 Depth=1
	v_bfrev_b32_e32 v56, 1
	s_mov_b32 s17, exec_lo
	v_cmpx_ne_u16_e32 0x80, v24
	s_cbranch_execz .LBB270_664
; %bb.659:                              ;   in Loop: Header=BB270_9 Depth=1
	v_and_b32_e32 v2, 0xffff, v24
	v_mov_b32_e32 v56, 0x7c010000
	s_mov_b32 s18, exec_lo
	s_delay_alu instid0(VALU_DEP_2) | instskip(NEXT) | instid1(VALU_DEP_1)
	v_and_b32_e32 v7, 0x7f, v2
	v_cmpx_ne_u32_e32 0x7f, v7
	s_cbranch_execz .LBB270_663
; %bb.660:                              ;   in Loop: Header=BB270_9 Depth=1
	v_dual_lshrrev_b32 v6, 3, v7 :: v_dual_bitop2_b32 v3, 7, v2 bitop3:0x40
	s_mov_b32 s19, exec_lo
	v_cmpx_gt_u32_e32 8, v7
; %bb.661:                              ;   in Loop: Header=BB270_9 Depth=1
	s_delay_alu instid0(VALU_DEP_2) | instskip(NEXT) | instid1(VALU_DEP_1)
	v_clz_i32_u32_e32 v3, v3
	v_min_u32_e32 v3, 32, v3
	s_delay_alu instid0(VALU_DEP_1) | instskip(NEXT) | instid1(VALU_DEP_1)
	v_subrev_nc_u32_e32 v6, 28, v3
	v_lshlrev_b64_e32 v[10:11], v6, v[24:25]
	s_delay_alu instid0(VALU_DEP_1)
	v_dual_sub_nc_u32 v6, 29, v3 :: v_dual_bitop2_b32 v3, 7, v10 bitop3:0x40
; %bb.662:                              ;   in Loop: Header=BB270_9 Depth=1
	s_or_b32 exec_lo, exec_lo, s19
	s_delay_alu instid0(VALU_DEP_1) | instskip(NEXT) | instid1(VALU_DEP_2)
	v_dual_lshlrev_b32 v2, 8, v2 :: v_dual_lshlrev_b32 v3, 23, v3
	v_lshl_add_u32 v6, v6, 10, 0x2000
	s_delay_alu instid0(VALU_DEP_1) | instskip(NEXT) | instid1(VALU_DEP_1)
	v_and_or_b32 v2, 0x8000, v2, v6
	v_lshl_or_b32 v56, v2, 16, v3
.LBB270_663:                            ;   in Loop: Header=BB270_9 Depth=1
	s_or_b32 exec_lo, exec_lo, s18
.LBB270_664:                            ;   in Loop: Header=BB270_9 Depth=1
	s_delay_alu instid0(SALU_CYCLE_1)
	s_or_b32 exec_lo, exec_lo, s17
.LBB270_665:                            ;   in Loop: Header=BB270_9 Depth=1
	s_delay_alu instid0(SALU_CYCLE_1) | instskip(SKIP_3) | instid1(VALU_DEP_2)
	s_or_b32 exec_lo, exec_lo, s16
	v_dual_lshrrev_b32 v24, 16, v8 :: v_dual_mov_b32 v62, 0
	v_mov_b32_e32 v73, 0
	s_mov_b32 s16, exec_lo
	v_and_b32_e32 v2, 0xff, v24
	s_delay_alu instid0(VALU_DEP_1)
	v_cmpx_ne_u16_e32 0, v2
	s_cbranch_execz .LBB270_673
; %bb.666:                              ;   in Loop: Header=BB270_9 Depth=1
	v_mov_b32_e32 v73, 0x8000
	s_mov_b32 s17, exec_lo
	v_cmpx_ne_u16_e32 0x80, v2
	s_cbranch_execz .LBB270_672
; %bb.667:                              ;   in Loop: Header=BB270_9 Depth=1
	v_bfe_u32 v6, v8, 16, 7
	v_mov_b32_e32 v73, 0x7c01
	s_mov_b32 s18, exec_lo
	s_delay_alu instid0(VALU_DEP_2)
	v_cmpx_ne_u32_e32 0x7f, v6
	s_cbranch_execz .LBB270_671
; %bb.668:                              ;   in Loop: Header=BB270_9 Depth=1
	v_dual_lshrrev_b32 v3, 3, v6 :: v_dual_bitop2_b32 v2, 7, v24 bitop3:0x40
	s_mov_b32 s19, exec_lo
	v_cmpx_gt_u32_e32 8, v6
; %bb.669:                              ;   in Loop: Header=BB270_9 Depth=1
	s_delay_alu instid0(VALU_DEP_2) | instskip(NEXT) | instid1(VALU_DEP_1)
	v_clz_i32_u32_e32 v2, v2
	v_min_u32_e32 v6, 32, v2
	s_delay_alu instid0(VALU_DEP_1) | instskip(NEXT) | instid1(VALU_DEP_1)
	v_subrev_nc_u32_e32 v2, 28, v6
	v_lshlrev_b64_e32 v[2:3], v2, v[24:25]
	v_sub_nc_u32_e32 v3, 29, v6
	s_delay_alu instid0(VALU_DEP_2)
	v_and_b32_e32 v2, 7, v2
; %bb.670:                              ;   in Loop: Header=BB270_9 Depth=1
	s_or_b32 exec_lo, exec_lo, s19
	s_delay_alu instid0(VALU_DEP_1) | instskip(NEXT) | instid1(VALU_DEP_3)
	v_dual_lshlrev_b32 v6, 8, v24 :: v_dual_lshlrev_b32 v2, 7, v2
	v_lshl_add_u32 v3, v3, 10, 0x2000
	s_delay_alu instid0(VALU_DEP_2) | instskip(NEXT) | instid1(VALU_DEP_2)
	v_and_b32_e32 v6, 0x8000, v6
	v_and_b32_e32 v3, 0xfc00, v3
	s_delay_alu instid0(VALU_DEP_1)
	v_or3_b32 v73, v6, v3, v2
.LBB270_671:                            ;   in Loop: Header=BB270_9 Depth=1
	s_or_b32 exec_lo, exec_lo, s18
.LBB270_672:                            ;   in Loop: Header=BB270_9 Depth=1
	s_delay_alu instid0(SALU_CYCLE_1)
	s_or_b32 exec_lo, exec_lo, s17
.LBB270_673:                            ;   in Loop: Header=BB270_9 Depth=1
	s_delay_alu instid0(SALU_CYCLE_1) | instskip(NEXT) | instid1(SALU_CYCLE_1)
	s_or_b32 exec_lo, exec_lo, s16
	s_mov_b32 s16, exec_lo
	v_cmpx_lt_u32_e32 0xffffff, v8
	s_cbranch_execz .LBB270_681
; %bb.674:                              ;   in Loop: Header=BB270_9 Depth=1
	v_lshrrev_b32_e32 v24, 24, v8
	v_bfrev_b32_e32 v62, 1
	s_mov_b32 s17, exec_lo
	s_delay_alu instid0(VALU_DEP_2)
	v_cmpx_ne_u32_e32 0x80, v24
	s_cbranch_execz .LBB270_680
; %bb.675:                              ;   in Loop: Header=BB270_9 Depth=1
	v_and_b32_e32 v6, 0x7f, v24
	v_mov_b32_e32 v62, 0x7c010000
	s_mov_b32 s18, exec_lo
	s_delay_alu instid0(VALU_DEP_2)
	v_cmpx_ne_u32_e32 0x7f, v6
	s_cbranch_execz .LBB270_679
; %bb.676:                              ;   in Loop: Header=BB270_9 Depth=1
	v_dual_lshrrev_b32 v3, 3, v6 :: v_dual_bitop2_b32 v2, 7, v24 bitop3:0x40
	s_mov_b32 s19, exec_lo
	v_cmpx_gt_u32_e32 8, v6
; %bb.677:                              ;   in Loop: Header=BB270_9 Depth=1
	s_delay_alu instid0(VALU_DEP_2) | instskip(NEXT) | instid1(VALU_DEP_1)
	v_clz_i32_u32_e32 v2, v2
	v_min_u32_e32 v6, 32, v2
	s_delay_alu instid0(VALU_DEP_1) | instskip(NEXT) | instid1(VALU_DEP_1)
	v_subrev_nc_u32_e32 v2, 28, v6
	v_lshlrev_b64_e32 v[2:3], v2, v[24:25]
	v_sub_nc_u32_e32 v3, 29, v6
	s_delay_alu instid0(VALU_DEP_2)
	v_and_b32_e32 v2, 7, v2
; %bb.678:                              ;   in Loop: Header=BB270_9 Depth=1
	s_or_b32 exec_lo, exec_lo, s19
	s_delay_alu instid0(VALU_DEP_1) | instskip(NEXT) | instid1(VALU_DEP_3)
	v_dual_lshlrev_b32 v6, 8, v24 :: v_dual_lshlrev_b32 v2, 23, v2
	v_lshl_add_u32 v3, v3, 10, 0x2000
	s_delay_alu instid0(VALU_DEP_1) | instskip(NEXT) | instid1(VALU_DEP_1)
	v_and_or_b32 v3, 0x8000, v6, v3
	v_lshl_or_b32 v62, v3, 16, v2
.LBB270_679:                            ;   in Loop: Header=BB270_9 Depth=1
	s_or_b32 exec_lo, exec_lo, s18
.LBB270_680:                            ;   in Loop: Header=BB270_9 Depth=1
	s_delay_alu instid0(SALU_CYCLE_1)
	s_or_b32 exec_lo, exec_lo, s17
.LBB270_681:                            ;   in Loop: Header=BB270_9 Depth=1
	s_delay_alu instid0(SALU_CYCLE_1)
	s_or_b32 exec_lo, exec_lo, s16
	flat_load_b32 v8, v[28:29] offset:2568
	v_dual_mov_b32 v40, 0 :: v_dual_mov_b32 v41, 0
	s_mov_b32 s16, exec_lo
	s_wait_loadcnt_dscnt 0x0
	v_and_b32_e32 v2, 0xff, v8
	s_wait_xcnt 0x0
	s_delay_alu instid0(VALU_DEP_1)
	v_cmpx_ne_u16_e32 0, v2
	s_cbranch_execz .LBB270_689
; %bb.682:                              ;   in Loop: Header=BB270_9 Depth=1
	v_mov_b32_e32 v41, 0x8000
	s_mov_b32 s17, exec_lo
	v_cmpx_ne_u16_e32 0x80, v2
	s_cbranch_execz .LBB270_688
; %bb.683:                              ;   in Loop: Header=BB270_9 Depth=1
	v_and_b32_e32 v6, 0x7f, v8
	v_mov_b32_e32 v41, 0x7c01
	s_mov_b32 s18, exec_lo
	s_delay_alu instid0(VALU_DEP_2)
	v_cmpx_ne_u32_e32 0x7f, v6
	s_cbranch_execz .LBB270_687
; %bb.684:                              ;   in Loop: Header=BB270_9 Depth=1
	v_dual_lshrrev_b32 v3, 3, v6 :: v_dual_bitop2_b32 v2, 7, v8 bitop3:0x40
	s_mov_b32 s19, exec_lo
	v_cmpx_gt_u32_e32 8, v6
; %bb.685:                              ;   in Loop: Header=BB270_9 Depth=1
	s_delay_alu instid0(VALU_DEP_2) | instskip(NEXT) | instid1(VALU_DEP_1)
	v_clz_i32_u32_e32 v2, v2
	v_min_u32_e32 v6, 32, v2
	s_delay_alu instid0(VALU_DEP_1) | instskip(NEXT) | instid1(VALU_DEP_1)
	v_subrev_nc_u32_e32 v2, 28, v6
	v_lshlrev_b64_e32 v[2:3], v2, v[8:9]
	v_sub_nc_u32_e32 v3, 29, v6
	s_delay_alu instid0(VALU_DEP_2)
	v_and_b32_e32 v2, 7, v2
; %bb.686:                              ;   in Loop: Header=BB270_9 Depth=1
	s_or_b32 exec_lo, exec_lo, s19
	s_delay_alu instid0(VALU_DEP_1) | instskip(NEXT) | instid1(VALU_DEP_3)
	v_dual_lshlrev_b32 v6, 8, v8 :: v_dual_lshlrev_b32 v2, 7, v2
	v_lshl_add_u32 v3, v3, 10, 0x2000
	s_delay_alu instid0(VALU_DEP_2) | instskip(NEXT) | instid1(VALU_DEP_2)
	v_and_b32_e32 v6, 0x8000, v6
	v_and_b32_e32 v3, 0xfc00, v3
	s_delay_alu instid0(VALU_DEP_1)
	v_or3_b32 v41, v6, v3, v2
.LBB270_687:                            ;   in Loop: Header=BB270_9 Depth=1
	s_or_b32 exec_lo, exec_lo, s18
.LBB270_688:                            ;   in Loop: Header=BB270_9 Depth=1
	s_delay_alu instid0(SALU_CYCLE_1)
	s_or_b32 exec_lo, exec_lo, s17
.LBB270_689:                            ;   in Loop: Header=BB270_9 Depth=1
	s_delay_alu instid0(SALU_CYCLE_1) | instskip(SKIP_2) | instid1(VALU_DEP_1)
	s_or_b32 exec_lo, exec_lo, s16
	v_lshrrev_b16 v24, 8, v8
	s_mov_b32 s16, exec_lo
	v_cmpx_ne_u16_e32 0, v24
	s_cbranch_execz .LBB270_697
; %bb.690:                              ;   in Loop: Header=BB270_9 Depth=1
	v_bfrev_b32_e32 v40, 1
	s_mov_b32 s17, exec_lo
	v_cmpx_ne_u16_e32 0x80, v24
	s_cbranch_execz .LBB270_696
; %bb.691:                              ;   in Loop: Header=BB270_9 Depth=1
	v_and_b32_e32 v2, 0xffff, v24
	v_mov_b32_e32 v40, 0x7c010000
	s_mov_b32 s18, exec_lo
	s_delay_alu instid0(VALU_DEP_2) | instskip(NEXT) | instid1(VALU_DEP_1)
	v_and_b32_e32 v7, 0x7f, v2
	v_cmpx_ne_u32_e32 0x7f, v7
	s_cbranch_execz .LBB270_695
; %bb.692:                              ;   in Loop: Header=BB270_9 Depth=1
	v_dual_lshrrev_b32 v6, 3, v7 :: v_dual_bitop2_b32 v3, 7, v2 bitop3:0x40
	s_mov_b32 s19, exec_lo
	v_cmpx_gt_u32_e32 8, v7
; %bb.693:                              ;   in Loop: Header=BB270_9 Depth=1
	s_delay_alu instid0(VALU_DEP_2) | instskip(NEXT) | instid1(VALU_DEP_1)
	v_clz_i32_u32_e32 v3, v3
	v_min_u32_e32 v3, 32, v3
	s_delay_alu instid0(VALU_DEP_1) | instskip(NEXT) | instid1(VALU_DEP_1)
	v_subrev_nc_u32_e32 v6, 28, v3
	v_lshlrev_b64_e32 v[10:11], v6, v[24:25]
	s_delay_alu instid0(VALU_DEP_1)
	v_dual_sub_nc_u32 v6, 29, v3 :: v_dual_bitop2_b32 v3, 7, v10 bitop3:0x40
; %bb.694:                              ;   in Loop: Header=BB270_9 Depth=1
	s_or_b32 exec_lo, exec_lo, s19
	s_delay_alu instid0(VALU_DEP_1) | instskip(NEXT) | instid1(VALU_DEP_2)
	v_dual_lshlrev_b32 v2, 8, v2 :: v_dual_lshlrev_b32 v3, 23, v3
	v_lshl_add_u32 v6, v6, 10, 0x2000
	s_delay_alu instid0(VALU_DEP_1) | instskip(NEXT) | instid1(VALU_DEP_1)
	v_and_or_b32 v2, 0x8000, v2, v6
	v_lshl_or_b32 v40, v2, 16, v3
.LBB270_695:                            ;   in Loop: Header=BB270_9 Depth=1
	s_or_b32 exec_lo, exec_lo, s18
.LBB270_696:                            ;   in Loop: Header=BB270_9 Depth=1
	s_delay_alu instid0(SALU_CYCLE_1)
	s_or_b32 exec_lo, exec_lo, s17
.LBB270_697:                            ;   in Loop: Header=BB270_9 Depth=1
	s_delay_alu instid0(SALU_CYCLE_1) | instskip(SKIP_3) | instid1(VALU_DEP_2)
	s_or_b32 exec_lo, exec_lo, s16
	v_dual_lshrrev_b32 v24, 16, v8 :: v_dual_mov_b32 v16, 0
	v_mov_b32_e32 v7, 0
	s_mov_b32 s16, exec_lo
	v_and_b32_e32 v2, 0xff, v24
	s_delay_alu instid0(VALU_DEP_1)
	v_cmpx_ne_u16_e32 0, v2
	s_cbranch_execz .LBB270_705
; %bb.698:                              ;   in Loop: Header=BB270_9 Depth=1
	v_mov_b32_e32 v7, 0x8000
	s_mov_b32 s17, exec_lo
	v_cmpx_ne_u16_e32 0x80, v2
	s_cbranch_execz .LBB270_704
; %bb.699:                              ;   in Loop: Header=BB270_9 Depth=1
	v_bfe_u32 v6, v8, 16, 7
	v_mov_b32_e32 v7, 0x7c01
	s_mov_b32 s18, exec_lo
	s_delay_alu instid0(VALU_DEP_2)
	v_cmpx_ne_u32_e32 0x7f, v6
	s_cbranch_execz .LBB270_703
; %bb.700:                              ;   in Loop: Header=BB270_9 Depth=1
	v_dual_lshrrev_b32 v3, 3, v6 :: v_dual_bitop2_b32 v2, 7, v24 bitop3:0x40
	s_mov_b32 s19, exec_lo
	v_cmpx_gt_u32_e32 8, v6
; %bb.701:                              ;   in Loop: Header=BB270_9 Depth=1
	s_delay_alu instid0(VALU_DEP_2) | instskip(NEXT) | instid1(VALU_DEP_1)
	v_clz_i32_u32_e32 v2, v2
	v_min_u32_e32 v6, 32, v2
	s_delay_alu instid0(VALU_DEP_1) | instskip(NEXT) | instid1(VALU_DEP_1)
	v_subrev_nc_u32_e32 v2, 28, v6
	v_lshlrev_b64_e32 v[2:3], v2, v[24:25]
	v_sub_nc_u32_e32 v3, 29, v6
	s_delay_alu instid0(VALU_DEP_2)
	v_and_b32_e32 v2, 7, v2
; %bb.702:                              ;   in Loop: Header=BB270_9 Depth=1
	s_or_b32 exec_lo, exec_lo, s19
	s_delay_alu instid0(VALU_DEP_1) | instskip(NEXT) | instid1(VALU_DEP_3)
	v_dual_lshlrev_b32 v6, 8, v24 :: v_dual_lshlrev_b32 v2, 7, v2
	v_lshl_add_u32 v3, v3, 10, 0x2000
	s_delay_alu instid0(VALU_DEP_2) | instskip(NEXT) | instid1(VALU_DEP_2)
	v_and_b32_e32 v6, 0x8000, v6
	v_and_b32_e32 v3, 0xfc00, v3
	s_delay_alu instid0(VALU_DEP_1)
	v_or3_b32 v7, v6, v3, v2
.LBB270_703:                            ;   in Loop: Header=BB270_9 Depth=1
	s_or_b32 exec_lo, exec_lo, s18
.LBB270_704:                            ;   in Loop: Header=BB270_9 Depth=1
	s_delay_alu instid0(SALU_CYCLE_1)
	s_or_b32 exec_lo, exec_lo, s17
.LBB270_705:                            ;   in Loop: Header=BB270_9 Depth=1
	s_delay_alu instid0(SALU_CYCLE_1) | instskip(NEXT) | instid1(SALU_CYCLE_1)
	s_or_b32 exec_lo, exec_lo, s16
	s_mov_b32 s16, exec_lo
	v_cmpx_lt_u32_e32 0xffffff, v8
	s_cbranch_execz .LBB270_713
; %bb.706:                              ;   in Loop: Header=BB270_9 Depth=1
	v_lshrrev_b32_e32 v24, 24, v8
	v_bfrev_b32_e32 v16, 1
	s_mov_b32 s17, exec_lo
	s_delay_alu instid0(VALU_DEP_2)
	v_cmpx_ne_u32_e32 0x80, v24
	s_cbranch_execz .LBB270_712
; %bb.707:                              ;   in Loop: Header=BB270_9 Depth=1
	v_and_b32_e32 v6, 0x7f, v24
	v_mov_b32_e32 v16, 0x7c010000
	s_mov_b32 s18, exec_lo
	s_delay_alu instid0(VALU_DEP_2)
	v_cmpx_ne_u32_e32 0x7f, v6
	s_cbranch_execz .LBB270_711
; %bb.708:                              ;   in Loop: Header=BB270_9 Depth=1
	v_dual_lshrrev_b32 v3, 3, v6 :: v_dual_bitop2_b32 v2, 7, v24 bitop3:0x40
	s_mov_b32 s19, exec_lo
	v_cmpx_gt_u32_e32 8, v6
; %bb.709:                              ;   in Loop: Header=BB270_9 Depth=1
	s_delay_alu instid0(VALU_DEP_2) | instskip(NEXT) | instid1(VALU_DEP_1)
	v_clz_i32_u32_e32 v2, v2
	v_min_u32_e32 v6, 32, v2
	s_delay_alu instid0(VALU_DEP_1) | instskip(NEXT) | instid1(VALU_DEP_1)
	v_subrev_nc_u32_e32 v2, 28, v6
	v_lshlrev_b64_e32 v[2:3], v2, v[24:25]
	v_sub_nc_u32_e32 v3, 29, v6
	s_delay_alu instid0(VALU_DEP_2)
	v_and_b32_e32 v2, 7, v2
; %bb.710:                              ;   in Loop: Header=BB270_9 Depth=1
	s_or_b32 exec_lo, exec_lo, s19
	s_delay_alu instid0(VALU_DEP_1) | instskip(NEXT) | instid1(VALU_DEP_3)
	v_dual_lshlrev_b32 v6, 8, v24 :: v_dual_lshlrev_b32 v2, 23, v2
	v_lshl_add_u32 v3, v3, 10, 0x2000
	s_delay_alu instid0(VALU_DEP_1) | instskip(NEXT) | instid1(VALU_DEP_1)
	v_and_or_b32 v3, 0x8000, v6, v3
	v_lshl_or_b32 v16, v3, 16, v2
.LBB270_711:                            ;   in Loop: Header=BB270_9 Depth=1
	s_or_b32 exec_lo, exec_lo, s18
.LBB270_712:                            ;   in Loop: Header=BB270_9 Depth=1
	s_delay_alu instid0(SALU_CYCLE_1)
	s_or_b32 exec_lo, exec_lo, s17
.LBB270_713:                            ;   in Loop: Header=BB270_9 Depth=1
	s_delay_alu instid0(SALU_CYCLE_1)
	s_or_b32 exec_lo, exec_lo, s16
	flat_load_b32 v8, v[28:29] offset:2816
	v_dual_mov_b32 v114, 0 :: v_dual_mov_b32 v115, 0
	s_mov_b32 s16, exec_lo
	s_wait_loadcnt_dscnt 0x0
	v_and_b32_e32 v2, 0xff, v8
	s_wait_xcnt 0x0
	s_delay_alu instid0(VALU_DEP_1)
	v_cmpx_ne_u16_e32 0, v2
	s_cbranch_execz .LBB270_721
; %bb.714:                              ;   in Loop: Header=BB270_9 Depth=1
	v_mov_b32_e32 v115, 0x8000
	s_mov_b32 s17, exec_lo
	v_cmpx_ne_u16_e32 0x80, v2
	s_cbranch_execz .LBB270_720
; %bb.715:                              ;   in Loop: Header=BB270_9 Depth=1
	v_and_b32_e32 v6, 0x7f, v8
	v_mov_b32_e32 v115, 0x7c01
	s_mov_b32 s18, exec_lo
	s_delay_alu instid0(VALU_DEP_2)
	v_cmpx_ne_u32_e32 0x7f, v6
	s_cbranch_execz .LBB270_719
; %bb.716:                              ;   in Loop: Header=BB270_9 Depth=1
	v_dual_lshrrev_b32 v3, 3, v6 :: v_dual_bitop2_b32 v2, 7, v8 bitop3:0x40
	s_mov_b32 s19, exec_lo
	v_cmpx_gt_u32_e32 8, v6
; %bb.717:                              ;   in Loop: Header=BB270_9 Depth=1
	s_delay_alu instid0(VALU_DEP_2) | instskip(NEXT) | instid1(VALU_DEP_1)
	v_clz_i32_u32_e32 v2, v2
	v_min_u32_e32 v6, 32, v2
	s_delay_alu instid0(VALU_DEP_1) | instskip(NEXT) | instid1(VALU_DEP_1)
	v_subrev_nc_u32_e32 v2, 28, v6
	v_lshlrev_b64_e32 v[2:3], v2, v[8:9]
	v_sub_nc_u32_e32 v3, 29, v6
	s_delay_alu instid0(VALU_DEP_2)
	v_and_b32_e32 v2, 7, v2
; %bb.718:                              ;   in Loop: Header=BB270_9 Depth=1
	s_or_b32 exec_lo, exec_lo, s19
	s_delay_alu instid0(VALU_DEP_1) | instskip(NEXT) | instid1(VALU_DEP_3)
	v_dual_lshlrev_b32 v6, 8, v8 :: v_dual_lshlrev_b32 v2, 7, v2
	v_lshl_add_u32 v3, v3, 10, 0x2000
	s_delay_alu instid0(VALU_DEP_2) | instskip(NEXT) | instid1(VALU_DEP_2)
	v_and_b32_e32 v6, 0x8000, v6
	v_and_b32_e32 v3, 0xfc00, v3
	s_delay_alu instid0(VALU_DEP_1)
	v_or3_b32 v115, v6, v3, v2
.LBB270_719:                            ;   in Loop: Header=BB270_9 Depth=1
	s_or_b32 exec_lo, exec_lo, s18
.LBB270_720:                            ;   in Loop: Header=BB270_9 Depth=1
	s_delay_alu instid0(SALU_CYCLE_1)
	s_or_b32 exec_lo, exec_lo, s17
.LBB270_721:                            ;   in Loop: Header=BB270_9 Depth=1
	s_delay_alu instid0(SALU_CYCLE_1) | instskip(SKIP_2) | instid1(VALU_DEP_1)
	s_or_b32 exec_lo, exec_lo, s16
	v_lshrrev_b16 v24, 8, v8
	s_mov_b32 s16, exec_lo
	v_cmpx_ne_u16_e32 0, v24
	s_cbranch_execz .LBB270_729
; %bb.722:                              ;   in Loop: Header=BB270_9 Depth=1
	v_bfrev_b32_e32 v114, 1
	s_mov_b32 s17, exec_lo
	v_cmpx_ne_u16_e32 0x80, v24
	s_cbranch_execz .LBB270_728
; %bb.723:                              ;   in Loop: Header=BB270_9 Depth=1
	v_and_b32_e32 v2, 0xffff, v24
	v_mov_b32_e32 v114, 0x7c010000
	s_mov_b32 s18, exec_lo
	s_delay_alu instid0(VALU_DEP_2) | instskip(NEXT) | instid1(VALU_DEP_1)
	v_and_b32_e32 v10, 0x7f, v2
	v_cmpx_ne_u32_e32 0x7f, v10
	s_cbranch_execz .LBB270_727
; %bb.724:                              ;   in Loop: Header=BB270_9 Depth=1
	v_and_b32_e32 v3, 7, v2
	v_lshrrev_b32_e32 v6, 3, v10
	s_mov_b32 s19, exec_lo
	v_cmpx_gt_u32_e32 8, v10
; %bb.725:                              ;   in Loop: Header=BB270_9 Depth=1
	s_delay_alu instid0(VALU_DEP_3) | instskip(NEXT) | instid1(VALU_DEP_1)
	v_clz_i32_u32_e32 v3, v3
	v_min_u32_e32 v3, 32, v3
	s_delay_alu instid0(VALU_DEP_1) | instskip(NEXT) | instid1(VALU_DEP_1)
	v_subrev_nc_u32_e32 v6, 28, v3
	v_lshlrev_b64_e32 v[10:11], v6, v[24:25]
	s_delay_alu instid0(VALU_DEP_1)
	v_dual_sub_nc_u32 v6, 29, v3 :: v_dual_bitop2_b32 v3, 7, v10 bitop3:0x40
; %bb.726:                              ;   in Loop: Header=BB270_9 Depth=1
	s_or_b32 exec_lo, exec_lo, s19
	s_delay_alu instid0(VALU_DEP_1) | instskip(NEXT) | instid1(VALU_DEP_2)
	v_dual_lshlrev_b32 v2, 8, v2 :: v_dual_lshlrev_b32 v3, 23, v3
	v_lshl_add_u32 v6, v6, 10, 0x2000
	s_delay_alu instid0(VALU_DEP_1) | instskip(NEXT) | instid1(VALU_DEP_1)
	v_and_or_b32 v2, 0x8000, v2, v6
	v_lshl_or_b32 v114, v2, 16, v3
.LBB270_727:                            ;   in Loop: Header=BB270_9 Depth=1
	s_or_b32 exec_lo, exec_lo, s18
.LBB270_728:                            ;   in Loop: Header=BB270_9 Depth=1
	s_delay_alu instid0(SALU_CYCLE_1)
	s_or_b32 exec_lo, exec_lo, s17
.LBB270_729:                            ;   in Loop: Header=BB270_9 Depth=1
	s_delay_alu instid0(SALU_CYCLE_1) | instskip(SKIP_3) | instid1(VALU_DEP_2)
	s_or_b32 exec_lo, exec_lo, s16
	v_dual_lshrrev_b32 v24, 16, v8 :: v_dual_mov_b32 v42, 0
	v_mov_b32_e32 v43, 0
	s_mov_b32 s16, exec_lo
	v_and_b32_e32 v2, 0xff, v24
	s_delay_alu instid0(VALU_DEP_1)
	v_cmpx_ne_u16_e32 0, v2
	s_cbranch_execz .LBB270_737
; %bb.730:                              ;   in Loop: Header=BB270_9 Depth=1
	v_mov_b32_e32 v43, 0x8000
	s_mov_b32 s17, exec_lo
	v_cmpx_ne_u16_e32 0x80, v2
	s_cbranch_execz .LBB270_736
; %bb.731:                              ;   in Loop: Header=BB270_9 Depth=1
	v_bfe_u32 v6, v8, 16, 7
	v_mov_b32_e32 v43, 0x7c01
	s_mov_b32 s18, exec_lo
	s_delay_alu instid0(VALU_DEP_2)
	v_cmpx_ne_u32_e32 0x7f, v6
	s_cbranch_execz .LBB270_735
; %bb.732:                              ;   in Loop: Header=BB270_9 Depth=1
	v_dual_lshrrev_b32 v3, 3, v6 :: v_dual_bitop2_b32 v2, 7, v24 bitop3:0x40
	s_mov_b32 s19, exec_lo
	v_cmpx_gt_u32_e32 8, v6
; %bb.733:                              ;   in Loop: Header=BB270_9 Depth=1
	s_delay_alu instid0(VALU_DEP_2) | instskip(NEXT) | instid1(VALU_DEP_1)
	v_clz_i32_u32_e32 v2, v2
	v_min_u32_e32 v6, 32, v2
	s_delay_alu instid0(VALU_DEP_1) | instskip(NEXT) | instid1(VALU_DEP_1)
	v_subrev_nc_u32_e32 v2, 28, v6
	v_lshlrev_b64_e32 v[2:3], v2, v[24:25]
	v_sub_nc_u32_e32 v3, 29, v6
	s_delay_alu instid0(VALU_DEP_2)
	v_and_b32_e32 v2, 7, v2
; %bb.734:                              ;   in Loop: Header=BB270_9 Depth=1
	s_or_b32 exec_lo, exec_lo, s19
	s_delay_alu instid0(VALU_DEP_1) | instskip(NEXT) | instid1(VALU_DEP_3)
	v_dual_lshlrev_b32 v6, 8, v24 :: v_dual_lshlrev_b32 v2, 7, v2
	v_lshl_add_u32 v3, v3, 10, 0x2000
	s_delay_alu instid0(VALU_DEP_2) | instskip(NEXT) | instid1(VALU_DEP_2)
	v_and_b32_e32 v6, 0x8000, v6
	v_and_b32_e32 v3, 0xfc00, v3
	s_delay_alu instid0(VALU_DEP_1)
	v_or3_b32 v43, v6, v3, v2
.LBB270_735:                            ;   in Loop: Header=BB270_9 Depth=1
	s_or_b32 exec_lo, exec_lo, s18
.LBB270_736:                            ;   in Loop: Header=BB270_9 Depth=1
	s_delay_alu instid0(SALU_CYCLE_1)
	s_or_b32 exec_lo, exec_lo, s17
.LBB270_737:                            ;   in Loop: Header=BB270_9 Depth=1
	s_delay_alu instid0(SALU_CYCLE_1) | instskip(NEXT) | instid1(SALU_CYCLE_1)
	s_or_b32 exec_lo, exec_lo, s16
	s_mov_b32 s16, exec_lo
	v_cmpx_lt_u32_e32 0xffffff, v8
	s_cbranch_execz .LBB270_745
; %bb.738:                              ;   in Loop: Header=BB270_9 Depth=1
	v_lshrrev_b32_e32 v24, 24, v8
	v_bfrev_b32_e32 v42, 1
	s_mov_b32 s17, exec_lo
	s_delay_alu instid0(VALU_DEP_2)
	v_cmpx_ne_u32_e32 0x80, v24
	s_cbranch_execz .LBB270_744
; %bb.739:                              ;   in Loop: Header=BB270_9 Depth=1
	v_and_b32_e32 v6, 0x7f, v24
	v_mov_b32_e32 v42, 0x7c010000
	s_mov_b32 s18, exec_lo
	s_delay_alu instid0(VALU_DEP_2)
	v_cmpx_ne_u32_e32 0x7f, v6
	s_cbranch_execz .LBB270_743
; %bb.740:                              ;   in Loop: Header=BB270_9 Depth=1
	v_dual_lshrrev_b32 v3, 3, v6 :: v_dual_bitop2_b32 v2, 7, v24 bitop3:0x40
	s_mov_b32 s19, exec_lo
	v_cmpx_gt_u32_e32 8, v6
; %bb.741:                              ;   in Loop: Header=BB270_9 Depth=1
	s_delay_alu instid0(VALU_DEP_2) | instskip(NEXT) | instid1(VALU_DEP_1)
	v_clz_i32_u32_e32 v2, v2
	v_min_u32_e32 v6, 32, v2
	s_delay_alu instid0(VALU_DEP_1) | instskip(NEXT) | instid1(VALU_DEP_1)
	v_subrev_nc_u32_e32 v2, 28, v6
	v_lshlrev_b64_e32 v[2:3], v2, v[24:25]
	v_sub_nc_u32_e32 v3, 29, v6
	s_delay_alu instid0(VALU_DEP_2)
	v_and_b32_e32 v2, 7, v2
; %bb.742:                              ;   in Loop: Header=BB270_9 Depth=1
	s_or_b32 exec_lo, exec_lo, s19
	s_delay_alu instid0(VALU_DEP_1) | instskip(NEXT) | instid1(VALU_DEP_3)
	v_dual_lshlrev_b32 v6, 8, v24 :: v_dual_lshlrev_b32 v2, 23, v2
	v_lshl_add_u32 v3, v3, 10, 0x2000
	s_delay_alu instid0(VALU_DEP_1) | instskip(NEXT) | instid1(VALU_DEP_1)
	v_and_or_b32 v3, 0x8000, v6, v3
	v_lshl_or_b32 v42, v3, 16, v2
.LBB270_743:                            ;   in Loop: Header=BB270_9 Depth=1
	s_or_b32 exec_lo, exec_lo, s18
.LBB270_744:                            ;   in Loop: Header=BB270_9 Depth=1
	s_delay_alu instid0(SALU_CYCLE_1)
	s_or_b32 exec_lo, exec_lo, s17
.LBB270_745:                            ;   in Loop: Header=BB270_9 Depth=1
	s_delay_alu instid0(SALU_CYCLE_1)
	s_or_b32 exec_lo, exec_lo, s16
	flat_load_b32 v8, v[28:29] offset:2824
	v_dual_mov_b32 v6, 0 :: v_dual_mov_b32 v2, 0
	s_mov_b32 s16, exec_lo
	s_wait_loadcnt_dscnt 0x0
	v_and_b32_e32 v3, 0xff, v8
	s_wait_xcnt 0x0
	s_delay_alu instid0(VALU_DEP_1)
	v_cmpx_ne_u16_e32 0, v3
	s_cbranch_execz .LBB270_753
; %bb.746:                              ;   in Loop: Header=BB270_9 Depth=1
	v_mov_b32_e32 v2, 0x8000
	s_mov_b32 s17, exec_lo
	v_cmpx_ne_u16_e32 0x80, v3
	s_cbranch_execz .LBB270_752
; %bb.747:                              ;   in Loop: Header=BB270_9 Depth=1
	v_and_b32_e32 v10, 0x7f, v8
	v_mov_b32_e32 v2, 0x7c01
	s_mov_b32 s18, exec_lo
	s_delay_alu instid0(VALU_DEP_2)
	v_cmpx_ne_u32_e32 0x7f, v10
	s_cbranch_execz .LBB270_751
; %bb.748:                              ;   in Loop: Header=BB270_9 Depth=1
	v_dual_lshrrev_b32 v3, 3, v10 :: v_dual_bitop2_b32 v2, 7, v8 bitop3:0x40
	s_mov_b32 s19, exec_lo
	v_cmpx_gt_u32_e32 8, v10
; %bb.749:                              ;   in Loop: Header=BB270_9 Depth=1
	s_delay_alu instid0(VALU_DEP_2) | instskip(NEXT) | instid1(VALU_DEP_1)
	v_clz_i32_u32_e32 v2, v2
	v_min_u32_e32 v10, 32, v2
	s_delay_alu instid0(VALU_DEP_1) | instskip(NEXT) | instid1(VALU_DEP_1)
	v_subrev_nc_u32_e32 v2, 28, v10
	v_lshlrev_b64_e32 v[2:3], v2, v[8:9]
	v_sub_nc_u32_e32 v3, 29, v10
	s_delay_alu instid0(VALU_DEP_2)
	v_and_b32_e32 v2, 7, v2
; %bb.750:                              ;   in Loop: Header=BB270_9 Depth=1
	s_or_b32 exec_lo, exec_lo, s19
	s_delay_alu instid0(VALU_DEP_1) | instskip(NEXT) | instid1(VALU_DEP_3)
	v_dual_lshlrev_b32 v10, 8, v8 :: v_dual_lshlrev_b32 v2, 7, v2
	v_lshl_add_u32 v3, v3, 10, 0x2000
	s_delay_alu instid0(VALU_DEP_2) | instskip(NEXT) | instid1(VALU_DEP_2)
	v_and_b32_e32 v10, 0x8000, v10
	v_and_b32_e32 v3, 0xfc00, v3
	s_delay_alu instid0(VALU_DEP_1)
	v_or3_b32 v2, v10, v3, v2
.LBB270_751:                            ;   in Loop: Header=BB270_9 Depth=1
	s_or_b32 exec_lo, exec_lo, s18
.LBB270_752:                            ;   in Loop: Header=BB270_9 Depth=1
	s_delay_alu instid0(SALU_CYCLE_1)
	s_or_b32 exec_lo, exec_lo, s17
.LBB270_753:                            ;   in Loop: Header=BB270_9 Depth=1
	s_delay_alu instid0(SALU_CYCLE_1) | instskip(SKIP_2) | instid1(VALU_DEP_1)
	s_or_b32 exec_lo, exec_lo, s16
	v_lshrrev_b16 v24, 8, v8
	s_mov_b32 s16, exec_lo
	v_cmpx_ne_u16_e32 0, v24
	s_cbranch_execz .LBB270_761
; %bb.754:                              ;   in Loop: Header=BB270_9 Depth=1
	v_bfrev_b32_e32 v6, 1
	s_mov_b32 s17, exec_lo
	v_cmpx_ne_u16_e32 0x80, v24
	s_cbranch_execz .LBB270_760
; %bb.755:                              ;   in Loop: Header=BB270_9 Depth=1
	v_and_b32_e32 v3, 0xffff, v24
	v_mov_b32_e32 v6, 0x7c010000
	s_mov_b32 s18, exec_lo
	s_delay_alu instid0(VALU_DEP_2) | instskip(NEXT) | instid1(VALU_DEP_1)
	v_and_b32_e32 v11, 0x7f, v3
	v_cmpx_ne_u32_e32 0x7f, v11
	s_cbranch_execz .LBB270_759
; %bb.756:                              ;   in Loop: Header=BB270_9 Depth=1
	v_and_b32_e32 v6, 7, v3
	v_lshrrev_b32_e32 v10, 3, v11
	s_mov_b32 s19, exec_lo
	v_cmpx_gt_u32_e32 8, v11
; %bb.757:                              ;   in Loop: Header=BB270_9 Depth=1
	s_delay_alu instid0(VALU_DEP_3) | instskip(NEXT) | instid1(VALU_DEP_1)
	v_clz_i32_u32_e32 v6, v6
	v_min_u32_e32 v6, 32, v6
	s_delay_alu instid0(VALU_DEP_1) | instskip(NEXT) | instid1(VALU_DEP_1)
	v_subrev_nc_u32_e32 v10, 28, v6
	v_lshlrev_b64_e32 v[28:29], v10, v[24:25]
	s_delay_alu instid0(VALU_DEP_1)
	v_dual_sub_nc_u32 v10, 29, v6 :: v_dual_bitop2_b32 v6, 7, v28 bitop3:0x40
; %bb.758:                              ;   in Loop: Header=BB270_9 Depth=1
	s_or_b32 exec_lo, exec_lo, s19
	s_delay_alu instid0(VALU_DEP_1) | instskip(NEXT) | instid1(VALU_DEP_2)
	v_dual_lshlrev_b32 v3, 8, v3 :: v_dual_lshlrev_b32 v6, 23, v6
	v_lshl_add_u32 v10, v10, 10, 0x2000
	s_delay_alu instid0(VALU_DEP_1) | instskip(NEXT) | instid1(VALU_DEP_1)
	v_and_or_b32 v3, 0x8000, v3, v10
	v_lshl_or_b32 v6, v3, 16, v6
.LBB270_759:                            ;   in Loop: Header=BB270_9 Depth=1
	s_or_b32 exec_lo, exec_lo, s18
.LBB270_760:                            ;   in Loop: Header=BB270_9 Depth=1
	s_delay_alu instid0(SALU_CYCLE_1)
	s_or_b32 exec_lo, exec_lo, s17
.LBB270_761:                            ;   in Loop: Header=BB270_9 Depth=1
	s_delay_alu instid0(SALU_CYCLE_1) | instskip(SKIP_3) | instid1(VALU_DEP_2)
	s_or_b32 exec_lo, exec_lo, s16
	v_dual_mov_b32 v3, 0 :: v_dual_lshrrev_b32 v24, 16, v8
	v_mov_b32_e32 v10, 0
	s_mov_b32 s16, exec_lo
	v_and_b32_e32 v11, 0xff, v24
	s_delay_alu instid0(VALU_DEP_1)
	v_cmpx_ne_u16_e32 0, v11
	s_cbranch_execz .LBB270_769
; %bb.762:                              ;   in Loop: Header=BB270_9 Depth=1
	v_mov_b32_e32 v10, 0x8000
	s_mov_b32 s17, exec_lo
	v_cmpx_ne_u16_e32 0x80, v11
	s_cbranch_execz .LBB270_768
; %bb.763:                              ;   in Loop: Header=BB270_9 Depth=1
	v_bfe_u32 v28, v8, 16, 7
	v_mov_b32_e32 v10, 0x7c01
	s_mov_b32 s18, exec_lo
	s_delay_alu instid0(VALU_DEP_2)
	v_cmpx_ne_u32_e32 0x7f, v28
	s_cbranch_execz .LBB270_767
; %bb.764:                              ;   in Loop: Header=BB270_9 Depth=1
	v_and_b32_e32 v10, 7, v24
	v_lshrrev_b32_e32 v11, 3, v28
	s_mov_b32 s19, exec_lo
	v_cmpx_gt_u32_e32 8, v28
; %bb.765:                              ;   in Loop: Header=BB270_9 Depth=1
	s_delay_alu instid0(VALU_DEP_3) | instskip(NEXT) | instid1(VALU_DEP_1)
	v_clz_i32_u32_e32 v10, v10
	v_min_u32_e32 v28, 32, v10
	s_delay_alu instid0(VALU_DEP_1) | instskip(NEXT) | instid1(VALU_DEP_1)
	v_subrev_nc_u32_e32 v10, 28, v28
	v_lshlrev_b64_e32 v[10:11], v10, v[24:25]
	s_delay_alu instid0(VALU_DEP_1)
	v_dual_sub_nc_u32 v11, 29, v28 :: v_dual_bitop2_b32 v10, 7, v10 bitop3:0x40
; %bb.766:                              ;   in Loop: Header=BB270_9 Depth=1
	s_or_b32 exec_lo, exec_lo, s19
	s_delay_alu instid0(VALU_DEP_1) | instskip(NEXT) | instid1(VALU_DEP_2)
	v_dual_lshlrev_b32 v24, 8, v24 :: v_dual_lshlrev_b32 v10, 7, v10
	v_lshl_add_u32 v11, v11, 10, 0x2000
	s_delay_alu instid0(VALU_DEP_2) | instskip(NEXT) | instid1(VALU_DEP_2)
	v_and_b32_e32 v24, 0x8000, v24
	v_and_b32_e32 v11, 0xfc00, v11
	s_delay_alu instid0(VALU_DEP_1)
	v_or3_b32 v10, v24, v11, v10
.LBB270_767:                            ;   in Loop: Header=BB270_9 Depth=1
	s_or_b32 exec_lo, exec_lo, s18
.LBB270_768:                            ;   in Loop: Header=BB270_9 Depth=1
	s_delay_alu instid0(SALU_CYCLE_1)
	s_or_b32 exec_lo, exec_lo, s17
.LBB270_769:                            ;   in Loop: Header=BB270_9 Depth=1
	s_delay_alu instid0(SALU_CYCLE_1) | instskip(NEXT) | instid1(SALU_CYCLE_1)
	s_or_b32 exec_lo, exec_lo, s16
	s_mov_b32 s16, exec_lo
	v_cmpx_lt_u32_e32 0xffffff, v8
	s_cbranch_execz .LBB270_777
; %bb.770:                              ;   in Loop: Header=BB270_9 Depth=1
	v_lshrrev_b32_e32 v24, 24, v8
	v_bfrev_b32_e32 v3, 1
	s_mov_b32 s17, exec_lo
	s_delay_alu instid0(VALU_DEP_2)
	v_cmpx_ne_u32_e32 0x80, v24
	s_cbranch_execz .LBB270_776
; %bb.771:                              ;   in Loop: Header=BB270_9 Depth=1
	v_and_b32_e32 v11, 0x7f, v24
	v_mov_b32_e32 v3, 0x7c010000
	s_mov_b32 s18, exec_lo
	s_delay_alu instid0(VALU_DEP_2)
	v_cmpx_ne_u32_e32 0x7f, v11
	s_cbranch_execz .LBB270_775
; %bb.772:                              ;   in Loop: Header=BB270_9 Depth=1
	v_dual_lshrrev_b32 v8, 3, v11 :: v_dual_bitop2_b32 v3, 7, v24 bitop3:0x40
	s_mov_b32 s19, exec_lo
	v_cmpx_gt_u32_e32 8, v11
; %bb.773:                              ;   in Loop: Header=BB270_9 Depth=1
	s_delay_alu instid0(VALU_DEP_2) | instskip(NEXT) | instid1(VALU_DEP_1)
	v_clz_i32_u32_e32 v3, v3
	v_min_u32_e32 v3, 32, v3
	s_delay_alu instid0(VALU_DEP_1) | instskip(NEXT) | instid1(VALU_DEP_1)
	v_subrev_nc_u32_e32 v8, 28, v3
	v_lshlrev_b64_e32 v[28:29], v8, v[24:25]
	s_delay_alu instid0(VALU_DEP_1)
	v_dual_sub_nc_u32 v8, 29, v3 :: v_dual_bitop2_b32 v3, 7, v28 bitop3:0x40
; %bb.774:                              ;   in Loop: Header=BB270_9 Depth=1
	s_or_b32 exec_lo, exec_lo, s19
	s_delay_alu instid0(VALU_DEP_1) | instskip(NEXT) | instid1(VALU_DEP_2)
	v_dual_lshlrev_b32 v11, 8, v24 :: v_dual_lshlrev_b32 v3, 23, v3
	v_lshl_add_u32 v8, v8, 10, 0x2000
	s_delay_alu instid0(VALU_DEP_1) | instskip(NEXT) | instid1(VALU_DEP_1)
	v_and_or_b32 v8, 0x8000, v11, v8
	v_lshl_or_b32 v3, v8, 16, v3
.LBB270_775:                            ;   in Loop: Header=BB270_9 Depth=1
	s_or_b32 exec_lo, exec_lo, s18
.LBB270_776:                            ;   in Loop: Header=BB270_9 Depth=1
	s_delay_alu instid0(SALU_CYCLE_1)
	s_or_b32 exec_lo, exec_lo, s17
.LBB270_777:                            ;   in Loop: Header=BB270_9 Depth=1
	s_delay_alu instid0(SALU_CYCLE_1)
	s_or_b32 exec_lo, exec_lo, s16
	v_or_b32_e32 v8, v114, v115
	v_or_b32_e32 v7, v16, v7
	;; [unrolled: 1-line block ×3, first 2 shown]
	v_fma_mixlo_f16 v28, v36, v62, 0 op_sel:[0,1,0] op_sel_hi:[0,1,0]
	v_or_b32_e32 v1, v49, v1
	v_fma_mixlo_f16 v117, v36, v8, 0 op_sel_hi:[0,1,0]
	v_or_b32_e32 v8, v42, v43
	v_fma_mixlo_f16 v116, v36, v114, 0 op_sel:[0,1,0] op_sel_hi:[0,1,0]
	v_fma_mixlo_f16 v114, v36, v42, 0 op_sel:[0,1,0] op_sel_hi:[0,1,0]
	;; [unrolled: 1-line block ×3, first 2 shown]
	s_delay_alu instid0(VALU_DEP_4)
	v_fma_mixlo_f16 v115, v36, v8, 0 op_sel_hi:[0,1,0]
	v_or_b32_e32 v8, v40, v41
	v_fma_mixlo_f16 v41, v36, v7, 0 op_sel_hi:[0,1,0]
	v_or_b32_e32 v7, v56, v59
	v_fma_mixlo_f16 v40, v36, v16, 0 op_sel:[0,1,0] op_sel_hi:[0,1,0]
	v_fma_mixlo_f16 v56, v36, v56, 0 op_sel:[0,1,0] op_sel_hi:[0,1,0]
	v_fma_mixlo_f16 v43, v36, v8, 0 op_sel_hi:[0,1,0]
	v_fma_mixlo_f16 v8, v36, v3, 0 op_sel:[0,1,0] op_sel_hi:[0,1,0]
	v_fma_mixlo_f16 v59, v36, v7, 0 op_sel_hi:[0,1,0]
	v_or_b32_e32 v7, v62, v73
	v_fma_mixlo_f16 v62, v36, v60, 0 op_sel:[0,1,0] op_sel_hi:[0,1,0]
	s_delay_alu instid0(VALU_DEP_2) | instskip(SKIP_2) | instid1(VALU_DEP_2)
	v_fma_mixlo_f16 v29, v36, v7, 0 op_sel_hi:[0,1,0]
	v_or_b32_e32 v7, v60, v61
	v_fma_mixlo_f16 v60, v36, v78, 0 op_sel:[0,1,0] op_sel_hi:[0,1,0]
	v_fma_mixlo_f16 v73, v36, v7, 0 op_sel_hi:[0,1,0]
	v_or_b32_e32 v7, v78, v79
	v_fma_mixlo_f16 v78, v36, v75, 0 op_sel:[0,1,0] op_sel_hi:[0,1,0]
	s_delay_alu instid0(VALU_DEP_2) | instskip(SKIP_2) | instid1(VALU_DEP_2)
	v_fma_mixlo_f16 v61, v36, v7, 0 op_sel_hi:[0,1,0]
	v_or_b32_e32 v7, v75, v77
	;; [unrolled: 7-line block ×5, first 2 shown]
	v_fma_mixlo_f16 v38, v36, v0, 0 op_sel:[0,1,0] op_sel_hi:[0,1,0]
	v_fma_mixlo_f16 v123, v36, v7, 0 op_sel_hi:[0,1,0]
	v_or_b32_e32 v7, v110, v121
	v_fma_mixlo_f16 v110, v36, v110, 0 op_sel:[0,1,0] op_sel_hi:[0,1,0]
	s_delay_alu instid0(VALU_DEP_2) | instskip(SKIP_3) | instid1(VALU_DEP_3)
	v_fma_mixlo_f16 v121, v36, v7, 0 op_sel_hi:[0,1,0]
	v_or_b32_e32 v7, v0, v17
	v_or_b32_e32 v0, v124, v127
	v_fma_mixlo_f16 v124, v36, v124, 0 op_sel:[0,1,0] op_sel_hi:[0,1,0]
	v_fma_mixlo_f16 v17, v36, v7, 0 op_sel_hi:[0,1,0]
	v_or_b32_e32 v7, v107, v108
	v_fma_mixlo_f16 v108, v36, v107, 0 op_sel:[0,1,0] op_sel_hi:[0,1,0]
	v_fma_mixlo_f16 v127, v36, v0, 0 op_sel_hi:[0,1,0]
	;; [unrolled: 3-line block ×3, first 2 shown]
	v_or_b32_e32 v7, v111, v120
	v_fma_mixlo_f16 v125, v36, v1, 0 op_sel_hi:[0,1,0]
	v_fma_mixlo_f16 v1, v36, v49, 0 op_sel:[0,1,0] op_sel_hi:[0,1,0]
	v_fma_mixlo_f16 v49, v36, v111, 0 op_sel:[0,1,0] op_sel_hi:[0,1,0]
	;; [unrolled: 1-line block ×3, first 2 shown]
	v_fma_mixlo_f16 v107, v36, v7, 0 op_sel_hi:[0,1,0]
	v_or_b32_e32 v7, v88, v89
	v_fma_mixlo_f16 v88, v36, v94, 0 op_sel:[0,1,0] op_sel_hi:[0,1,0]
	v_fma_mixlo_f16 v0, v36, v0, 0 op_sel_hi:[0,1,0]
	v_and_b32_e32 v1, 0xffff, v1
	s_delay_alu instid0(VALU_DEP_4) | instskip(SKIP_3) | instid1(VALU_DEP_3)
	v_fma_mixlo_f16 v120, v36, v7, 0 op_sel_hi:[0,1,0]
	v_or_b32_e32 v7, v94, v95
	v_fma_mixlo_f16 v94, v36, v63, 0 op_sel:[0,1,0] op_sel_hi:[0,1,0]
	v_and_b32_e32 v0, 0xffff, v0
	v_fma_mixlo_f16 v89, v36, v7, 0 op_sel_hi:[0,1,0]
	v_or_b32_e32 v7, v63, v72
	v_fma_mixlo_f16 v63, v36, v74, 0 op_sel:[0,1,0] op_sel_hi:[0,1,0]
	s_delay_alu instid0(VALU_DEP_2) | instskip(SKIP_2) | instid1(VALU_DEP_2)
	v_fma_mixlo_f16 v95, v36, v7, 0 op_sel_hi:[0,1,0]
	v_or_b32_e32 v7, v74, v76
	v_fma_mixlo_f16 v74, v36, v46, 0 op_sel:[0,1,0] op_sel_hi:[0,1,0]
	v_fma_mixlo_f16 v72, v36, v7, 0 op_sel_hi:[0,1,0]
	v_or_b32_e32 v7, v46, v47
	v_fma_mixlo_f16 v46, v36, v57, 0 op_sel:[0,1,0] op_sel_hi:[0,1,0]
	s_delay_alu instid0(VALU_DEP_2) | instskip(SKIP_2) | instid1(VALU_DEP_2)
	v_fma_mixlo_f16 v76, v36, v7, 0 op_sel_hi:[0,1,0]
	v_or_b32_e32 v7, v57, v58
	v_fma_mixlo_f16 v57, v36, v118, 0 op_sel:[0,1,0] op_sel_hi:[0,1,0]
	;; [unrolled: 7-line block ×9, first 2 shown]
	v_fma_mixlo_f16 v67, v36, v7, 0 op_sel_hi:[0,1,0]
	v_or_b32_e32 v7, v54, v55
	v_fma_mixlo_f16 v54, v36, v64, 0 op_sel:[0,1,0] op_sel_hi:[0,1,0]
	s_delay_alu instid0(VALU_DEP_4) | instskip(NEXT) | instid1(VALU_DEP_3)
	v_and_b32_e32 v68, 0xffff, v68
	v_fma_mixlo_f16 v69, v36, v7, 0 op_sel_hi:[0,1,0]
	v_or_b32_e32 v7, v64, v65
	v_fma_mixlo_f16 v64, v36, v37, 0 op_sel:[0,1,0] op_sel_hi:[0,1,0]
	s_delay_alu instid0(VALU_DEP_2) | instskip(SKIP_4) | instid1(VALU_DEP_4)
	v_fma_mixlo_f16 v55, v36, v7, 0 op_sel_hi:[0,1,0]
	v_or_b32_e32 v7, v37, v51
	v_fma_mixlo_f16 v51, v36, v2, 0 op_sel_hi:[0,1,0]
	v_or_b32_e32 v2, v3, v10
	v_fma_mixlo_f16 v37, v36, v6, 0 op_sel:[0,1,0] op_sel_hi:[0,1,0]
	v_fma_mixlo_f16 v65, v36, v7, 0 op_sel_hi:[0,1,0]
	v_or_b32_e32 v7, v52, v53
	s_delay_alu instid0(VALU_DEP_4) | instskip(SKIP_4) | instid1(VALU_DEP_2)
	v_fma_mixlo_f16 v24, v36, v2, 0 op_sel_hi:[0,1,0]
	ds_load_b64 v[2:3], v32
	v_fma_mixlo_f16 v16, v36, v7, 0 op_sel_hi:[0,1,0]
	v_fma_mixlo_f16 v7, v36, v52, 0 op_sel:[0,1,0] op_sel_hi:[0,1,0]
	v_and_b32_e32 v36, 0xffff, v69
	v_and_b32_e32 v7, 0xffff, v7
	s_wait_dscnt 0x0
	v_lshrrev_b32_e32 v6, 16, v2
	v_and_b32_e32 v2, 0xffff, v2
	;;#ASMSTART
	v_cvt_f32_f16 v52, v2;
	;;#ASMEND
	v_and_b32_e32 v2, 0xffff, v65
	;;#ASMSTART
	v_cvt_f32_f16 v53, v6;
	;;#ASMEND
	;;#ASMSTART
	v_cvt_f32_f16 v65, v2;
	;;#ASMEND
	v_and_b32_e32 v2, 0xffff, v64
	;;#ASMSTART
	v_cvt_f32_f16 v64, v2;
	;;#ASMEND
	v_lshrrev_b32_e32 v2, 16, v3
	v_and_b32_e32 v3, 0xffff, v3
	v_and_b32_e32 v6, 0xffff, v16
	;;#ASMSTART
	v_cvt_f32_f16 v3, v3;
	;;#ASMEND
	;;#ASMSTART
	v_cvt_f32_f16 v2, v2;
	;;#ASMEND
	;; [unrolled: 3-line block ×4, first 2 shown]
	ds_load_b64 v[10:11], v32 offset:8
	s_wait_dscnt 0x0
	v_lshrrev_b32_e32 v16, 16, v10
	v_and_b32_e32 v10, 0xffff, v10
	;;#ASMSTART
	v_cvt_f32_f16 v10, v10;
	;;#ASMEND
	;;#ASMSTART
	v_cvt_f32_f16 v16, v16;
	;;#ASMEND
	;; [unrolled: 3-line block ×3, first 2 shown]
	s_delay_alu instid0(VALU_DEP_1)
	v_mul_f32_e32 v36, v10, v36
	;;#ASMSTART
	v_cvt_f32_f16 v68, v68;
	;;#ASMEND
	v_lshrrev_b32_e32 v10, 16, v11
	v_and_b32_e32 v11, 0xffff, v11
	;;#ASMSTART
	v_cvt_f32_f16 v11, v11;
	;;#ASMEND
	v_fmac_f32_e32 v36, v52, v65
	v_mul_f32_e32 v52, v16, v68
	v_and_b32_e32 v16, 0xffff, v55
	;;#ASMSTART
	v_cvt_f32_f16 v10, v10;
	;;#ASMEND
	;;#ASMSTART
	v_cvt_f32_f16 v16, v16;
	;;#ASMEND
	s_delay_alu instid0(VALU_DEP_2) | instskip(SKIP_4) | instid1(VALU_DEP_2)
	v_fmac_f32_e32 v52, v53, v64
	v_and_b32_e32 v53, 0xffff, v54
	;;#ASMSTART
	v_cvt_f32_f16 v54, v53;
	;;#ASMEND
	v_dual_mul_f32 v53, v11, v16 :: v_dual_mul_f32 v54, v10, v54
	v_and_b32_e32 v10, 0xffff, v80
	v_dual_fmac_f32 v53, v3, v6 :: v_dual_fmac_f32 v54, v2, v7
	ds_load_b64 v[2:3], v32 offset:16
	v_and_b32_e32 v7, 0xffff, v81
	s_wait_dscnt 0x0
	v_lshrrev_b32_e32 v6, 16, v2
	v_and_b32_e32 v2, 0xffff, v2
	;;#ASMSTART
	v_cvt_f32_f16 v2, v2;
	;;#ASMEND
	;;#ASMSTART
	v_cvt_f32_f16 v6, v6;
	;;#ASMEND
	;;#ASMSTART
	v_cvt_f32_f16 v7, v7;
	;;#ASMEND
	s_delay_alu instid0(VALU_DEP_1)
	v_fmac_f32_e32 v36, v2, v7
	v_lshrrev_b32_e32 v2, 16, v3
	v_and_b32_e32 v3, 0xffff, v3
	;;#ASMSTART
	v_cvt_f32_f16 v10, v10;
	;;#ASMEND
	v_fmac_f32_e32 v52, v6, v10
	;;#ASMSTART
	v_cvt_f32_f16 v3, v3;
	;;#ASMEND
	;;#ASMSTART
	v_cvt_f32_f16 v2, v2;
	;;#ASMEND
	v_and_b32_e32 v6, 0xffff, v67
	v_and_b32_e32 v7, 0xffff, v66
	;;#ASMSTART
	v_cvt_f32_f16 v6, v6;
	;;#ASMEND
	;;#ASMSTART
	v_cvt_f32_f16 v7, v7;
	;;#ASMEND
	s_delay_alu instid0(VALU_DEP_1)
	v_dual_fmac_f32 v53, v3, v6 :: v_dual_fmac_f32 v54, v2, v7
	ds_load_b64 v[2:3], v32 offset:24
	v_and_b32_e32 v7, 0xffff, v85
	v_and_b32_e32 v10, 0xffff, v84
	s_wait_dscnt 0x0
	v_lshrrev_b32_e32 v6, 16, v2
	v_and_b32_e32 v2, 0xffff, v2
	;;#ASMSTART
	v_cvt_f32_f16 v2, v2;
	;;#ASMEND
	;;#ASMSTART
	v_cvt_f32_f16 v6, v6;
	;;#ASMEND
	;;#ASMSTART
	v_cvt_f32_f16 v7, v7;
	;;#ASMEND
	s_delay_alu instid0(VALU_DEP_1)
	v_fmac_f32_e32 v36, v2, v7
	v_lshrrev_b32_e32 v2, 16, v3
	v_and_b32_e32 v3, 0xffff, v3
	;;#ASMSTART
	v_cvt_f32_f16 v10, v10;
	;;#ASMEND
	v_fmac_f32_e32 v52, v6, v10
	;;#ASMSTART
	v_cvt_f32_f16 v3, v3;
	;;#ASMEND
	;;#ASMSTART
	v_cvt_f32_f16 v2, v2;
	;;#ASMEND
	v_and_b32_e32 v6, 0xffff, v71
	v_and_b32_e32 v7, 0xffff, v70
	;;#ASMSTART
	v_cvt_f32_f16 v6, v6;
	;;#ASMEND
	;;#ASMSTART
	v_cvt_f32_f16 v7, v7;
	;;#ASMEND
	s_delay_alu instid0(VALU_DEP_1)
	v_dual_fmac_f32 v53, v3, v6 :: v_dual_fmac_f32 v54, v2, v7
	ds_load_b64 v[2:3], v32 offset:32
	v_and_b32_e32 v7, 0xffff, v97
	;; [unrolled: 39-line block ×9, first 2 shown]
	v_and_b32_e32 v10, 0xffff, v111
	s_wait_dscnt 0x0
	v_lshrrev_b32_e32 v6, 16, v2
	v_and_b32_e32 v2, 0xffff, v2
	;;#ASMSTART
	v_cvt_f32_f16 v2, v2;
	;;#ASMEND
	;;#ASMSTART
	v_cvt_f32_f16 v6, v6;
	;;#ASMEND
	;; [unrolled: 3-line block ×4, first 2 shown]
	v_fmac_f32_e32 v36, v2, v7
	v_dual_fmac_f32 v52, v6, v10 :: v_dual_lshrrev_b32 v2, 16, v3
	v_and_b32_e32 v3, 0xffff, v3
	;;#ASMSTART
	v_cvt_f32_f16 v3, v3;
	;;#ASMEND
	;;#ASMSTART
	v_cvt_f32_f16 v2, v2;
	;;#ASMEND
	v_and_b32_e32 v6, 0xffff, v89
	v_and_b32_e32 v7, 0xffff, v88
	;;#ASMSTART
	v_cvt_f32_f16 v6, v6;
	;;#ASMEND
	;;#ASMSTART
	v_cvt_f32_f16 v7, v7;
	;;#ASMEND
	s_delay_alu instid0(VALU_DEP_1)
	v_dual_fmac_f32 v53, v3, v6 :: v_dual_fmac_f32 v54, v2, v7
	ds_load_b64 v[2:3], v32 offset:96
	v_and_b32_e32 v7, 0xffff, v48
	v_and_b32_e32 v10, 0xffff, v108
	s_wait_dscnt 0x0
	v_lshrrev_b32_e32 v6, 16, v2
	v_and_b32_e32 v2, 0xffff, v2
	;;#ASMSTART
	v_cvt_f32_f16 v2, v2;
	;;#ASMEND
	;;#ASMSTART
	v_cvt_f32_f16 v6, v6;
	;;#ASMEND
	;; [unrolled: 3-line block ×4, first 2 shown]
	v_fmac_f32_e32 v36, v2, v7
	v_dual_fmac_f32 v52, v6, v10 :: v_dual_lshrrev_b32 v2, 16, v3
	v_and_b32_e32 v3, 0xffff, v3
	;;#ASMSTART
	v_cvt_f32_f16 v3, v3;
	;;#ASMEND
	;;#ASMSTART
	v_cvt_f32_f16 v2, v2;
	;;#ASMEND
	v_and_b32_e32 v6, 0xffff, v107
	v_and_b32_e32 v7, 0xffff, v49
	;;#ASMSTART
	v_cvt_f32_f16 v6, v6;
	;;#ASMEND
	;;#ASMSTART
	v_cvt_f32_f16 v7, v7;
	;;#ASMEND
	s_delay_alu instid0(VALU_DEP_1)
	v_dual_fmac_f32 v53, v3, v6 :: v_dual_fmac_f32 v54, v2, v7
	ds_load_b64 v[2:3], v32 offset:104
	v_and_b32_e32 v7, 0xffff, v126
	s_wait_dscnt 0x0
	v_lshrrev_b32_e32 v6, 16, v2
	v_and_b32_e32 v2, 0xffff, v2
	;;#ASMSTART
	v_cvt_f32_f16 v2, v2;
	;;#ASMEND
	;;#ASMSTART
	v_cvt_f32_f16 v6, v6;
	;;#ASMEND
	;; [unrolled: 3-line block ×3, first 2 shown]
	s_delay_alu instid0(VALU_DEP_1)
	v_dual_fmac_f32 v36, v2, v0 :: v_dual_lshrrev_b32 v0, 16, v3
	v_and_b32_e32 v2, 0xffff, v3
	v_and_b32_e32 v3, 0xffff, v125
	;;#ASMSTART
	v_cvt_f32_f16 v7, v7;
	;;#ASMEND
	;;#ASMSTART
	v_cvt_f32_f16 v2, v2;
	;;#ASMEND
	;; [unrolled: 3-line block ×5, first 2 shown]
	v_dual_fmac_f32 v53, v2, v3 :: v_dual_fmac_f32 v54, v0, v1
	ds_load_b64 v[0:1], v32 offset:112
	v_fmac_f32_e32 v52, v6, v7
	v_and_b32_e32 v3, 0xffff, v17
	v_and_b32_e32 v6, 0xffff, v38
	s_wait_dscnt 0x0
	v_lshrrev_b32_e32 v2, 16, v0
	v_and_b32_e32 v0, 0xffff, v0
	;;#ASMSTART
	v_cvt_f32_f16 v0, v0;
	;;#ASMEND
	;;#ASMSTART
	v_cvt_f32_f16 v2, v2;
	;;#ASMEND
	;;#ASMSTART
	v_cvt_f32_f16 v3, v3;
	;;#ASMEND
	;;#ASMSTART
	v_cvt_f32_f16 v6, v6;
	;;#ASMEND
	v_fmac_f32_e32 v36, v0, v3
	v_dual_fmac_f32 v52, v2, v6 :: v_dual_lshrrev_b32 v0, 16, v1
	v_and_b32_e32 v1, 0xffff, v1
	;;#ASMSTART
	v_cvt_f32_f16 v1, v1;
	;;#ASMEND
	;;#ASMSTART
	v_cvt_f32_f16 v0, v0;
	;;#ASMEND
	v_and_b32_e32 v2, 0xffff, v127
	v_and_b32_e32 v3, 0xffff, v124
	;;#ASMSTART
	v_cvt_f32_f16 v2, v2;
	;;#ASMEND
	;;#ASMSTART
	v_cvt_f32_f16 v3, v3;
	;;#ASMEND
	s_delay_alu instid0(VALU_DEP_1)
	v_dual_fmac_f32 v53, v1, v2 :: v_dual_fmac_f32 v54, v0, v3
	ds_load_b64 v[0:1], v32 offset:120
	v_and_b32_e32 v3, 0xffff, v123
	v_and_b32_e32 v6, 0xffff, v122
	s_wait_dscnt 0x0
	v_lshrrev_b32_e32 v2, 16, v0
	v_and_b32_e32 v0, 0xffff, v0
	;;#ASMSTART
	v_cvt_f32_f16 v0, v0;
	;;#ASMEND
	;;#ASMSTART
	v_cvt_f32_f16 v2, v2;
	;;#ASMEND
	;;#ASMSTART
	v_cvt_f32_f16 v3, v3;
	;;#ASMEND
	;;#ASMSTART
	v_cvt_f32_f16 v6, v6;
	;;#ASMEND
	v_fmac_f32_e32 v36, v0, v3
	v_dual_fmac_f32 v52, v2, v6 :: v_dual_lshrrev_b32 v0, 16, v1
	v_and_b32_e32 v1, 0xffff, v1
	;;#ASMSTART
	v_cvt_f32_f16 v1, v1;
	;;#ASMEND
	;;#ASMSTART
	v_cvt_f32_f16 v0, v0;
	;;#ASMEND
	v_and_b32_e32 v2, 0xffff, v121
	v_and_b32_e32 v3, 0xffff, v110
	;;#ASMSTART
	v_cvt_f32_f16 v2, v2;
	;;#ASMEND
	;;#ASMSTART
	v_cvt_f32_f16 v3, v3;
	;;#ASMEND
	s_delay_alu instid0(VALU_DEP_1)
	v_dual_fmac_f32 v53, v1, v2 :: v_dual_fmac_f32 v54, v0, v3
	ds_load_b64 v[0:1], v32 offset:128
	v_and_b32_e32 v3, 0xffff, v109
	v_and_b32_e32 v6, 0xffff, v106
	s_wait_dscnt 0x0
	v_lshrrev_b32_e32 v2, 16, v0
	v_and_b32_e32 v0, 0xffff, v0
	;;#ASMSTART
	v_cvt_f32_f16 v0, v0;
	;;#ASMEND
	;;#ASMSTART
	v_cvt_f32_f16 v2, v2;
	;;#ASMEND
	;;#ASMSTART
	v_cvt_f32_f16 v3, v3;
	;;#ASMEND
	;;#ASMSTART
	v_cvt_f32_f16 v6, v6;
	;;#ASMEND
	v_fmac_f32_e32 v36, v0, v3
	v_dual_fmac_f32 v52, v2, v6 :: v_dual_lshrrev_b32 v0, 16, v1
	v_and_b32_e32 v1, 0xffff, v1
	;;#ASMSTART
	v_cvt_f32_f16 v1, v1;
	;;#ASMEND
	;;#ASMSTART
	v_cvt_f32_f16 v0, v0;
	;;#ASMEND
	v_and_b32_e32 v2, 0xffff, v105
	v_and_b32_e32 v3, 0xffff, v104
	;;#ASMSTART
	v_cvt_f32_f16 v2, v2;
	;;#ASMEND
	;;#ASMSTART
	v_cvt_f32_f16 v3, v3;
	;;#ASMEND
	s_delay_alu instid0(VALU_DEP_1)
	v_dual_fmac_f32 v53, v1, v2 :: v_dual_fmac_f32 v54, v0, v3
	ds_load_b64 v[0:1], v32 offset:136
	v_and_b32_e32 v3, 0xffff, v93
	v_and_b32_e32 v6, 0xffff, v92
	s_wait_dscnt 0x0
	v_lshrrev_b32_e32 v2, 16, v0
	v_and_b32_e32 v0, 0xffff, v0
	;;#ASMSTART
	v_cvt_f32_f16 v0, v0;
	;;#ASMEND
	;;#ASMSTART
	v_cvt_f32_f16 v2, v2;
	;;#ASMEND
	;;#ASMSTART
	v_cvt_f32_f16 v3, v3;
	;;#ASMEND
	;;#ASMSTART
	v_cvt_f32_f16 v6, v6;
	;;#ASMEND
	v_fmac_f32_e32 v36, v0, v3
	v_dual_fmac_f32 v52, v2, v6 :: v_dual_lshrrev_b32 v0, 16, v1
	v_and_b32_e32 v1, 0xffff, v1
	;;#ASMSTART
	v_cvt_f32_f16 v1, v1;
	;;#ASMEND
	;;#ASMSTART
	v_cvt_f32_f16 v0, v0;
	;;#ASMEND
	v_and_b32_e32 v2, 0xffff, v91
	v_and_b32_e32 v3, 0xffff, v90
	;;#ASMSTART
	v_cvt_f32_f16 v2, v2;
	;;#ASMEND
	;;#ASMSTART
	v_cvt_f32_f16 v3, v3;
	;;#ASMEND
	s_delay_alu instid0(VALU_DEP_1)
	v_dual_fmac_f32 v53, v1, v2 :: v_dual_fmac_f32 v54, v0, v3
	ds_load_b64 v[0:1], v32 offset:144
	v_and_b32_e32 v3, 0xffff, v79
	v_and_b32_e32 v6, 0xffff, v78
	s_wait_dscnt 0x0
	v_lshrrev_b32_e32 v2, 16, v0
	v_and_b32_e32 v0, 0xffff, v0
	;;#ASMSTART
	v_cvt_f32_f16 v0, v0;
	;;#ASMEND
	;;#ASMSTART
	v_cvt_f32_f16 v2, v2;
	;;#ASMEND
	;;#ASMSTART
	v_cvt_f32_f16 v3, v3;
	;;#ASMEND
	;;#ASMSTART
	v_cvt_f32_f16 v6, v6;
	;;#ASMEND
	v_fmac_f32_e32 v36, v0, v3
	v_dual_fmac_f32 v52, v2, v6 :: v_dual_lshrrev_b32 v0, 16, v1
	v_and_b32_e32 v1, 0xffff, v1
	;;#ASMSTART
	v_cvt_f32_f16 v1, v1;
	;;#ASMEND
	;;#ASMSTART
	v_cvt_f32_f16 v0, v0;
	;;#ASMEND
	v_and_b32_e32 v2, 0xffff, v77
	v_and_b32_e32 v3, 0xffff, v75
	;;#ASMSTART
	v_cvt_f32_f16 v2, v2;
	;;#ASMEND
	;;#ASMSTART
	v_cvt_f32_f16 v3, v3;
	;;#ASMEND
	s_delay_alu instid0(VALU_DEP_1)
	v_dual_fmac_f32 v53, v1, v2 :: v_dual_fmac_f32 v54, v0, v3
	ds_load_b64 v[0:1], v32 offset:152
	v_and_b32_e32 v3, 0xffff, v73
	v_and_b32_e32 v6, 0xffff, v62
	s_wait_dscnt 0x0
	v_lshrrev_b32_e32 v2, 16, v0
	v_and_b32_e32 v0, 0xffff, v0
	;;#ASMSTART
	v_cvt_f32_f16 v0, v0;
	;;#ASMEND
	;;#ASMSTART
	v_cvt_f32_f16 v2, v2;
	;;#ASMEND
	;;#ASMSTART
	v_cvt_f32_f16 v3, v3;
	;;#ASMEND
	;;#ASMSTART
	v_cvt_f32_f16 v6, v6;
	;;#ASMEND
	v_fmac_f32_e32 v36, v0, v3
	v_dual_fmac_f32 v52, v2, v6 :: v_dual_lshrrev_b32 v0, 16, v1
	v_and_b32_e32 v1, 0xffff, v1
	;;#ASMSTART
	v_cvt_f32_f16 v1, v1;
	;;#ASMEND
	;;#ASMSTART
	v_cvt_f32_f16 v0, v0;
	;;#ASMEND
	v_and_b32_e32 v2, 0xffff, v61
	v_and_b32_e32 v3, 0xffff, v60
	;;#ASMSTART
	v_cvt_f32_f16 v2, v2;
	;;#ASMEND
	;;#ASMSTART
	v_cvt_f32_f16 v3, v3;
	;;#ASMEND
	s_delay_alu instid0(VALU_DEP_1)
	v_dual_fmac_f32 v53, v1, v2 :: v_dual_fmac_f32 v54, v0, v3
	ds_load_b64 v[0:1], v32 offset:160
	v_and_b32_e32 v3, 0xffff, v59
	v_and_b32_e32 v6, 0xffff, v56
	s_wait_dscnt 0x0
	v_lshrrev_b32_e32 v2, 16, v0
	v_and_b32_e32 v0, 0xffff, v0
	;;#ASMSTART
	v_cvt_f32_f16 v0, v0;
	;;#ASMEND
	;;#ASMSTART
	v_cvt_f32_f16 v2, v2;
	;;#ASMEND
	;; [unrolled: 3-line block ×4, first 2 shown]
	v_fmac_f32_e32 v36, v0, v3
	v_dual_fmac_f32 v52, v2, v6 :: v_dual_lshrrev_b32 v0, 16, v1
	v_and_b32_e32 v1, 0xffff, v1
	v_and_b32_e32 v2, 0xffff, v29
	v_and_b32_e32 v3, 0xffff, v28
	;;#ASMSTART
	v_cvt_f32_f16 v1, v1;
	;;#ASMEND
	;;#ASMSTART
	v_cvt_f32_f16 v0, v0;
	;;#ASMEND
	;;#ASMSTART
	v_cvt_f32_f16 v2, v2;
	;;#ASMEND
	;;#ASMSTART
	v_cvt_f32_f16 v3, v3;
	;;#ASMEND
	ds_load_b64 v[28:29], v32 offset:168
	v_dual_fmac_f32 v53, v1, v2 :: v_dual_fmac_f32 v54, v0, v3
	v_and_b32_e32 v2, 0xffff, v43
	v_and_b32_e32 v3, 0xffff, v42
	s_wait_dscnt 0x0
	v_and_b32_e32 v1, 0xffff, v28
	;;#ASMSTART
	v_cvt_f32_f16 v1, v1;
	;;#ASMEND
	v_lshrrev_b32_e32 v0, 16, v28
	;;#ASMSTART
	v_cvt_f32_f16 v0, v0;
	;;#ASMEND
	;;#ASMSTART
	v_cvt_f32_f16 v2, v2;
	;;#ASMEND
	;;#ASMSTART
	v_cvt_f32_f16 v3, v3;
	;;#ASMEND
	v_fmac_f32_e32 v36, v1, v2
	v_dual_fmac_f32 v52, v0, v3 :: v_dual_lshrrev_b32 v0, 16, v29
	v_and_b32_e32 v1, 0xffff, v29
	v_and_b32_e32 v2, 0xffff, v41
	v_and_b32_e32 v3, 0xffff, v40
	;;#ASMSTART
	v_cvt_f32_f16 v1, v1;
	;;#ASMEND
	;;#ASMSTART
	v_cvt_f32_f16 v0, v0;
	;;#ASMEND
	;;#ASMSTART
	v_cvt_f32_f16 v2, v2;
	;;#ASMEND
	;;#ASMSTART
	v_cvt_f32_f16 v3, v3;
	;;#ASMEND
	ds_load_b64 v[28:29], v32 offset:176
	v_dual_fmac_f32 v53, v1, v2 :: v_dual_fmac_f32 v54, v0, v3
	v_and_b32_e32 v2, 0xffff, v117
	v_and_b32_e32 v3, 0xffff, v116
	s_wait_dscnt 0x0
	v_and_b32_e32 v1, 0xffff, v28
	;;#ASMSTART
	v_cvt_f32_f16 v1, v1;
	;;#ASMEND
	v_lshrrev_b32_e32 v0, 16, v28
	;;#ASMSTART
	v_cvt_f32_f16 v0, v0;
	;;#ASMEND
	;;#ASMSTART
	v_cvt_f32_f16 v2, v2;
	;;#ASMEND
	;;#ASMSTART
	v_cvt_f32_f16 v3, v3;
	;;#ASMEND
	;; [unrolled: 36-line block ×3, first 2 shown]
	v_fmac_f32_e32 v36, v1, v2
	v_dual_fmac_f32 v52, v0, v3 :: v_dual_lshrrev_b32 v0, 16, v29
	v_and_b32_e32 v1, 0xffff, v29
	;;#ASMSTART
	v_cvt_f32_f16 v1, v1;
	;;#ASMEND
	;;#ASMSTART
	v_cvt_f32_f16 v0, v0;
	;;#ASMEND
	v_and_b32_e32 v2, 0xffff, v24
	v_and_b32_e32 v3, 0xffff, v8
	;;#ASMSTART
	v_cvt_f32_f16 v2, v2;
	;;#ASMEND
	;;#ASMSTART
	v_cvt_f32_f16 v3, v3;
	;;#ASMEND
	s_delay_alu instid0(VALU_DEP_1) | instskip(SKIP_1) | instid1(VALU_DEP_1)
	v_dual_fmac_f32 v53, v1, v2 :: v_dual_fmac_f32 v54, v0, v3
	v_dual_add_f32 v0, v36, v52 :: v_dual_bitop2_b32 v1, 1, v13 bitop3:0x14
	v_add_f32_e32 v0, v0, v53
	s_delay_alu instid0(VALU_DEP_2) | instskip(NEXT) | instid1(VALU_DEP_1)
	v_cmp_gt_i32_e64 s2, 32, v1
	v_dual_add_f32 v0, v54, v0 :: v_dual_cndmask_b32 v1, v13, v1, s2
	s_delay_alu instid0(VALU_DEP_1)
	v_lshlrev_b32_e32 v1, 2, v1
	ds_bpermute_b32 v1, v1, v0
	s_and_saveexec_b32 s16, vcc_lo
	s_cbranch_execz .LBB270_8
; %bb.778:                              ;   in Loop: Header=BB270_9 Depth=1
	s_wait_dscnt 0x0
	v_dual_sub_nc_u32 v2, 1, v12 :: v_dual_add_f32 v0, v0, v1
	s_load_b32 s17, s[10:11], 0x0
	v_cmp_lt_i32_e64 s2, v33, v12
	s_delay_alu instid0(VALU_DEP_2) | instskip(NEXT) | instid1(VALU_DEP_1)
	v_add_nc_u32_e32 v2, v2, v33
	v_cvt_f32_i32_e32 v2, v2
	s_delay_alu instid0(VALU_DEP_1) | instskip(NEXT) | instid1(VALU_DEP_1)
	v_mul_f32_e32 v2, v30, v2
	v_cndmask_b32_e64 v1, 0, v2, s1
	s_wait_kmcnt 0x0
	s_delay_alu instid0(VALU_DEP_1) | instskip(SKIP_1) | instid1(VALU_DEP_1)
	v_dual_fmac_f32 v1, v9, v0 :: v_dual_add_nc_u32 v2, s17, v34
	v_max_num_f32_e32 v0, v19, v19
	v_dual_max_num_f32 v0, v0, v1 :: v_dual_cndmask_b32 v1, 0, v1, s2
	s_delay_alu instid0(VALU_DEP_1)
	v_cndmask_b32_e64 v19, v19, v0, s2
	ds_store_b32 v2, v1
	s_branch .LBB270_8
.LBB270_779:
	s_or_b32 exec_lo, exec_lo, s7
	s_clause 0x1
	scratch_load_b64 v[32:33], off, s32 offset:228
	scratch_load_b64 v[34:35], off, s32 offset:236
.LBB270_780:
	s_wait_xcnt 0x0
	s_or_b32 exec_lo, exec_lo, s3
	v_dual_max_num_f32 v4, v19, v19 :: v_dual_bitop2_b32 v0, 16, v13 bitop3:0x14
	v_xor_b32_e32 v5, 2, v13
	s_wait_dscnt 0x0
	v_xor_b32_e32 v1, 8, v13
	v_and_b32_e32 v51, 31, v39
	v_cmp_lt_i32_e32 vcc_lo, v0, v31
	v_cndmask_b32_e32 v0, v13, v0, vcc_lo
	s_delay_alu instid0(VALU_DEP_4) | instskip(NEXT) | instid1(VALU_DEP_2)
	v_cmp_lt_i32_e32 vcc_lo, v1, v31
	v_dual_cndmask_b32 v1, v13, v1 :: v_dual_lshlrev_b32 v2, 2, v0
	ds_bpermute_b32 v0, v2, v19
	s_wait_dscnt 0x0
	v_dual_max_num_f32 v0, v0, v0 :: v_dual_lshlrev_b32 v3, 2, v1
	s_delay_alu instid0(VALU_DEP_1)
	v_dual_max_num_f32 v0, v4, v0 :: v_dual_bitop2_b32 v4, 4, v13 bitop3:0x14
	ds_bpermute_b32 v1, v3, v0
	v_cmp_lt_i32_e32 vcc_lo, v4, v31
	s_wait_dscnt 0x0
	v_max_num_f32_e32 v1, v1, v1
	v_cndmask_b32_e32 v4, v13, v4, vcc_lo
	v_cmp_lt_i32_e32 vcc_lo, v5, v31
	s_delay_alu instid0(VALU_DEP_2)
	v_dual_max_num_f32 v0, v0, v1 :: v_dual_lshlrev_b32 v4, 2, v4
	v_cndmask_b32_e32 v5, v13, v5, vcc_lo
	v_cmp_eq_u32_e32 vcc_lo, 0, v51
	ds_bpermute_b32 v1, v4, v0
	s_wait_dscnt 0x0
	v_max_num_f32_e32 v1, v1, v1
	s_delay_alu instid0(VALU_DEP_1) | instskip(SKIP_1) | instid1(VALU_DEP_1)
	v_max_num_f32_e32 v0, v0, v1
	v_dual_lshlrev_b32 v1, 2, v5 :: v_dual_lshrrev_b32 v5, 5, v39
	v_lshlrev_b32_e32 v5, 2, v5
	ds_bpermute_b32 v6, v1, v0
	s_and_saveexec_b32 s1, vcc_lo
	s_cbranch_execz .LBB270_782
; %bb.781:
	s_wait_dscnt 0x0
	v_dual_max_num_f32 v6, v6, v6 :: v_dual_max_num_f32 v0, v0, v0
	s_delay_alu instid0(VALU_DEP_1)
	v_max_num_f32_e32 v0, v0, v6
	ds_store_b32 v5, v0 offset:384
.LBB270_782:
	s_or_b32 exec_lo, exec_lo, s1
	v_cmp_gt_u32_e64 s1, 4, v51
	v_mov_b32_e32 v0, 0xff7fffff
	s_wait_dscnt 0x0
	v_lshlrev_b32_e32 v6, 2, v51
	s_wait_loadcnt 0x0
	s_wait_storecnt 0x0
	s_barrier_signal -1
	s_barrier_wait -1
	s_and_saveexec_b32 s2, s1
; %bb.783:
	ds_load_b32 v0, v6 offset:384
; %bb.784:
	s_or_b32 exec_lo, exec_lo, s2
	s_wait_dscnt 0x0
	ds_bpermute_b32 v7, v1, v0
	v_dual_max_num_f32 v0, v0, v0 :: v_dual_bitop2_b32 v8, 1, v13 bitop3:0x14
	s_delay_alu instid0(VALU_DEP_1) | instskip(SKIP_1) | instid1(VALU_DEP_1)
	v_cmp_lt_i32_e64 s2, v8, v31
	s_wait_dscnt 0x0
	v_dual_cndmask_b32 v8, v13, v8, s2 :: v_dual_max_num_f32 v7, v7, v7
	s_delay_alu instid0(VALU_DEP_1) | instskip(NEXT) | instid1(VALU_DEP_2)
	v_dual_lshlrev_b32 v52, 2, v8 :: v_dual_mov_b32 v8, 0
	v_max_num_f32_e32 v0, v0, v7
	ds_bpermute_b32 v7, v52, v0
	s_wait_dscnt 0x0
	v_max_num_f32_e32 v7, v7, v7
	s_delay_alu instid0(VALU_DEP_1) | instskip(SKIP_2) | instid1(VALU_DEP_1)
	v_dual_max_num_f32 v0, v0, v7 :: v_dual_lshlrev_b32 v7, 2, v25
	ds_bpermute_b32 v7, v7, v0
	v_lshlrev_b32_e32 v0, 4, v50
	v_min_i32_e32 v0, v0, v12
	s_delay_alu instid0(VALU_DEP_1)
	v_cmp_lt_i32_e64 s2, v39, v0
	s_and_saveexec_b32 s10, s2
	s_cbranch_execz .LBB270_788
; %bb.785:
	s_ashr_i32 s7, s6, 31
	v_dual_mov_b32 v8, 0 :: v_dual_mov_b32 v10, v39
	s_lshl_b64 s[16:17], s[6:7], 2
	s_mov_b32 s7, 0
	s_add_nc_u64 s[16:17], s[8:9], s[16:17]
	s_load_b32 s3, s[16:17], 0x0
	s_wait_kmcnt 0x0
	v_lshl_add_u32 v9, v39, 2, s3
.LBB270_786:                            ; =>This Inner Loop Header: Depth=1
	ds_load_b32 v11, v9
	v_add_nc_u32_e32 v10, 0x80, v10
	s_delay_alu instid0(VALU_DEP_1) | instskip(SKIP_3) | instid1(VALU_DEP_1)
	v_cmp_ge_i32_e64 s3, v10, v0
	s_or_b32 s7, s3, s7
	s_wait_dscnt 0x0
	v_sub_f32_e32 v11, v11, v7
	v_mul_f32_e32 v11, 0x3fb8aa3b, v11
	s_delay_alu instid0(VALU_DEP_1)
	v_exp_f32_e32 v11, v11
	ds_store_b32 v9, v11
	v_nop
	v_dual_add_f32 v8, v8, v11 :: v_dual_add_nc_u32 v9, 0x200, v9
	s_and_not1_b32 exec_lo, exec_lo, s7
	s_cbranch_execnz .LBB270_786
; %bb.787:
	s_or_b32 exec_lo, exec_lo, s7
.LBB270_788:
	s_delay_alu instid0(SALU_CYCLE_1)
	s_or_b32 exec_lo, exec_lo, s10
	ds_bpermute_b32 v2, v2, v8
	s_wait_dscnt 0x0
	v_add_f32_e32 v2, v8, v2
	ds_bpermute_b32 v3, v3, v2
	s_wait_dscnt 0x0
	v_add_f32_e32 v2, v2, v3
	;; [unrolled: 3-line block ×5, first 2 shown]
	s_and_saveexec_b32 s3, vcc_lo
; %bb.789:
	ds_store_b32 v5, v2 offset:400
; %bb.790:
	s_or_b32 exec_lo, exec_lo, s3
	s_wait_dscnt 0x0
	s_barrier_signal -1
	s_barrier_wait -1
	s_and_saveexec_b32 s3, s1
; %bb.791:
	ds_load_b32 v2, v6 offset:400
; %bb.792:
	s_or_b32 exec_lo, exec_lo, s3
	s_wait_dscnt 0x0
	ds_bpermute_b32 v1, v1, v2
	s_wait_dscnt 0x0
	v_add_f32_e32 v1, v2, v1
	ds_bpermute_b32 v2, v52, v1
	s_wait_dscnt 0x0
	v_dual_lshlrev_b32 v3, 2, v13 :: v_dual_add_f32 v1, v1, v2
	s_delay_alu instid0(VALU_DEP_1)
	v_and_b32_e32 v2, 0xffffff80, v3
	ds_bpermute_b32 v1, v2, v1
	s_and_saveexec_b32 s1, s2
	s_cbranch_execz .LBB270_805
; %bb.793:
	s_wait_dscnt 0x0
	v_add_f32_e32 v1, 0x358637bd, v1
	s_mov_b32 s3, -1
	s_mov_b32 s2, exec_lo
	s_delay_alu instid0(VALU_DEP_1) | instskip(SKIP_1) | instid1(VALU_DEP_2)
	v_div_scale_f32 v2, null, v1, v1, 1.0
	v_div_scale_f32 v5, vcc_lo, 1.0, v1, 1.0
	v_rcp_f32_e32 v3, v2
	v_nop
	s_delay_alu instid0(TRANS32_DEP_1) | instskip(NEXT) | instid1(VALU_DEP_1)
	v_fma_f32 v4, -v2, v3, 1.0
	v_fmac_f32_e32 v3, v4, v3
	s_delay_alu instid0(VALU_DEP_1) | instskip(NEXT) | instid1(VALU_DEP_1)
	v_mul_f32_e32 v4, v5, v3
	v_fma_f32 v6, -v2, v4, v5
	s_delay_alu instid0(VALU_DEP_1) | instskip(NEXT) | instid1(VALU_DEP_1)
	v_fmac_f32_e32 v4, v6, v3
	v_fma_f32 v5, -v2, v4, v5
	v_xad_u32 v2, v39, -1, v0
	s_delay_alu instid0(VALU_DEP_2) | instskip(NEXT) | instid1(VALU_DEP_1)
	v_div_fmas_f32 v3, v5, v3, v4
	v_div_fixup_f32 v4, v3, v1, 1.0
	v_mov_b32_e32 v1, v39
	s_delay_alu instid0(VALU_DEP_4)
	v_cmpx_lt_u32_e32 0x7f, v2
	s_cbranch_execz .LBB270_802
; %bb.794:
	s_delay_alu instid0(VALU_DEP_3) | instskip(NEXT) | instid1(VALU_DEP_1)
	v_dual_lshrrev_b32 v1, 7, v2 :: v_dual_mov_b32 v5, v4
	v_dual_mov_b32 v7, 0 :: v_dual_add_nc_u32 v2, -1, v1
	s_delay_alu instid0(VALU_DEP_1) | instskip(SKIP_1) | instid1(VALU_DEP_2)
	v_lshrrev_b32_e32 v3, 1, v2
	v_cmp_lt_u32_e32 vcc_lo, 13, v2
	v_add_nc_u32_e32 v2, 1, v3
	s_and_saveexec_b32 s3, vcc_lo
	s_cbranch_execz .LBB270_798
; %bb.795:
	s_ashr_i32 s7, s6, 31
	s_delay_alu instid0(VALU_DEP_1) | instskip(SKIP_1) | instid1(SALU_CYCLE_1)
	v_and_b32_e32 v3, -8, v2
	s_lshl_b64 s[10:11], s[6:7], 2
	s_add_nc_u64 s[10:11], s[8:9], s[10:11]
	s_load_b32 s7, s[10:11], 0x0
	s_wait_xcnt 0x0
	s_mov_b32 s10, 0
	s_wait_kmcnt 0x0
	v_lshl_add_u32 v6, v39, 2, s7
	s_mov_b32 s7, 0
.LBB270_796:                            ; =>This Inner Loop Header: Depth=1
	ds_load_2addr_stride64_b32 v[8:9], v6 offset1:2
	ds_load_2addr_stride64_b32 v[10:11], v6 offset0:4 offset1:6
	ds_load_2addr_stride64_b32 v[16:17], v6 offset0:8 offset1:10
	;; [unrolled: 1-line block ×7, first 2 shown]
	s_add_co_i32 s10, s10, 16
	s_delay_alu instid0(SALU_CYCLE_1) | instskip(NEXT) | instid1(VALU_DEP_1)
	v_dual_add_nc_u32 v3, -8, v3 :: v_dual_mov_b32 v7, s10
	v_cmp_eq_u32_e32 vcc_lo, 0, v3
	s_or_b32 s7, vcc_lo, s7
	s_wait_dscnt 0x7
	v_pk_mul_f32 v[8:9], v[4:5], v[8:9]
	s_wait_dscnt 0x6
	v_pk_mul_f32 v[10:11], v[4:5], v[10:11]
	s_wait_dscnt 0x5
	v_pk_mul_f32 v[16:17], v[4:5], v[16:17]
	s_wait_dscnt 0x4
	v_pk_mul_f32 v[20:21], v[4:5], v[20:21]
	s_wait_dscnt 0x3
	v_pk_mul_f32 v[24:25], v[4:5], v[24:25]
	s_wait_dscnt 0x2
	v_pk_mul_f32 v[26:27], v[4:5], v[26:27]
	s_wait_dscnt 0x1
	v_pk_mul_f32 v[28:29], v[4:5], v[28:29]
	s_wait_dscnt 0x0
	v_pk_mul_f32 v[30:31], v[4:5], v[30:31]
	ds_store_2addr_stride64_b32 v6, v8, v9 offset1:2
	ds_store_2addr_stride64_b32 v6, v10, v11 offset0:4 offset1:6
	ds_store_2addr_stride64_b32 v6, v16, v17 offset0:8 offset1:10
	;; [unrolled: 1-line block ×7, first 2 shown]
	v_add_nc_u32_e32 v6, 0x2000, v6
	s_and_not1_b32 exec_lo, exec_lo, s7
	s_cbranch_execnz .LBB270_796
; %bb.797:
	s_or_b32 exec_lo, exec_lo, s7
.LBB270_798:
	s_delay_alu instid0(SALU_CYCLE_1) | instskip(NEXT) | instid1(VALU_DEP_1)
	s_or_b32 exec_lo, exec_lo, s3
	v_and_b32_e32 v2, 7, v2
	s_mov_b32 s10, 0
	s_mov_b32 s3, exec_lo
	s_delay_alu instid0(VALU_DEP_1)
	v_cmpx_ne_u32_e32 0, v2
	s_cbranch_execz .LBB270_801
; %bb.799:
	s_ashr_i32 s7, s6, 31
	v_lshlrev_b32_e32 v3, 9, v7
	s_lshl_b64 s[16:17], s[6:7], 2
	v_lshlrev_b32_e32 v6, 2, v39
	s_add_nc_u64 s[16:17], s[8:9], s[16:17]
	s_load_b32 s7, s[16:17], 0x0
	s_wait_kmcnt 0x0
	s_delay_alu instid0(VALU_DEP_1)
	v_add3_u32 v3, v3, v6, s7
.LBB270_800:                            ; =>This Inner Loop Header: Depth=1
	ds_load_2addr_stride64_b32 v[6:7], v3 offset1:2
	v_add_nc_u32_e32 v2, -1, v2
	s_delay_alu instid0(VALU_DEP_1)
	v_cmp_eq_u32_e32 vcc_lo, 0, v2
	s_or_b32 s10, vcc_lo, s10
	s_wait_dscnt 0x0
	v_pk_mul_f32 v[6:7], v[4:5], v[6:7]
	ds_store_2addr_stride64_b32 v3, v6, v7 offset1:2
	v_add_nc_u32_e32 v3, 0x400, v3
	s_and_not1_b32 exec_lo, exec_lo, s10
	s_cbranch_execnz .LBB270_800
.LBB270_801:
	s_or_b32 exec_lo, exec_lo, s3
	v_add_nc_u32_e32 v1, 1, v1
	s_delay_alu instid0(VALU_DEP_1) | instskip(NEXT) | instid1(VALU_DEP_1)
	v_and_b32_e32 v2, 0x3fffffe, v1
	v_cmp_ne_u32_e32 vcc_lo, v1, v2
	v_lshl_add_u32 v1, v2, 7, v39
	s_or_not1_b32 s3, vcc_lo, exec_lo
.LBB270_802:
	s_or_b32 exec_lo, exec_lo, s2
	s_delay_alu instid0(SALU_CYCLE_1)
	s_and_b32 exec_lo, exec_lo, s3
	s_cbranch_execz .LBB270_805
; %bb.803:
	s_ashr_i32 s7, s6, 31
	s_delay_alu instid0(SALU_CYCLE_1) | instskip(NEXT) | instid1(SALU_CYCLE_1)
	s_lshl_b64 s[2:3], s[6:7], 2
	s_add_nc_u64 s[2:3], s[8:9], s[2:3]
	s_load_b32 s2, s[2:3], 0x0
	s_wait_kmcnt 0x0
	v_lshl_add_u32 v2, v1, 2, s2
	s_mov_b32 s2, 0
.LBB270_804:                            ; =>This Inner Loop Header: Depth=1
	ds_load_b32 v3, v2
	v_add_nc_u32_e32 v1, 0x80, v1
	s_delay_alu instid0(VALU_DEP_1)
	v_cmp_ge_i32_e32 vcc_lo, v1, v0
	s_or_b32 s2, vcc_lo, s2
	s_wait_dscnt 0x0
	v_mul_f32_e32 v3, v4, v3
	ds_store_b32 v2, v3
	v_add_nc_u32_e32 v2, 0x200, v2
	s_and_not1_b32 exec_lo, exec_lo, s2
	s_cbranch_execnz .LBB270_804
.LBB270_805:
	s_or_b32 exec_lo, exec_lo, s1
	s_wait_dscnt 0x0
	s_barrier_signal -1
	s_barrier_wait -1
	s_and_saveexec_b32 s1, s0
	s_delay_alu instid0(SALU_CYCLE_1)
	s_xor_b32 s0, exec_lo, s1
; %bb.806:
	s_ashr_i32 s7, s6, 31
                                        ; implicit-def: $vgpr0_vgpr1
                                        ; kill: killed $vgpr0_vgpr1
                                        ; implicit-def: $vgpr0_vgpr1
                                        ; implicit-def: $vgpr12
                                        ; implicit-def: $vgpr50
                                        ; implicit-def: $vgpr18
                                        ; implicit-def: $vgpr22_vgpr23
                                        ; kill: killed $vgpr0_vgpr1
                                        ; implicit-def: $vgpr32_vgpr33
                                        ; implicit-def: $vgpr14
                                        ; implicit-def: $vgpr0
                                        ; kill: killed $vgpr0
                                        ; implicit-def: $vgpr34
; %bb.807:
	s_or_saveexec_b32 s1, s0
	v_mov_b32_e32 v5, 0
	v_mov_b64_e32 v[30:31], s[6:7]
	s_delay_alu instid0(VALU_DEP_2)
	v_dual_mov_b32 v4, v5 :: v_dual_mov_b32 v9, v5
	v_dual_mov_b32 v8, v5 :: v_dual_mov_b32 v21, v5
	;; [unrolled: 1-line block ×5, first 2 shown]
	v_mov_b32_e32 v28, v5
	s_xor_b32 exec_lo, exec_lo, s1
	s_cbranch_execz .LBB270_1603
; %bb.808:
	v_add_nc_u64_e32 v[0:1], v[32:33], v[14:15]
	v_dual_mov_b32 v7, 0 :: v_dual_bitop2_b32 v2, 8, v34 bitop3:0x40
	v_and_b32_e32 v6, 0xf8, v34
	v_dual_mov_b32 v5, 0 :: v_dual_bitop2_b32 v3, 1, v39 bitop3:0x40
	v_dual_mov_b32 v21, 0 :: v_dual_lshrrev_b32 v64, 5, v39
	s_delay_alu instid0(VALU_DEP_3)
	v_add_nc_u64_e32 v[14:15], v[0:1], v[6:7]
	scratch_load_b32 v0, off, s32 offset:224 th:TH_LOAD_LU ; 4-byte Folded Reload
	v_dual_mov_b32 v4, 0 :: v_dual_lshlrev_b32 v3, 5, v3
	v_lshl_or_b32 v54, v64, 4, v2
	s_ashr_i32 s7, s6, 31
	v_dual_add_nc_u32 v53, -1, v50 :: v_dual_mov_b32 v13, v12
	s_lshl_b64 s[2:3], s[6:7], 2
	v_dual_mov_b32 v9, 0 :: v_dual_mov_b32 v8, 0
	s_add_nc_u64 s[2:3], s[8:9], s[2:3]
	v_dual_mov_b32 v25, 0 :: v_dual_mov_b32 v24, 0
	s_load_b32 s0, s[2:3], 0x0
	v_dual_mov_b32 v27, 0 :: v_dual_mov_b32 v26, 0
	v_dual_mov_b32 v29, 0 :: v_dual_mov_b32 v28, 0
	s_wait_xcnt 0x0
	s_mov_b64 s[2:3], 0xffffffffffffff
	s_mov_b32 s10, 0
	s_wait_loadcnt 0x0
	v_and_b32_e32 v6, 0x7c, v0
	scratch_load_b64 v[0:1], off, s32 offset:208 th:TH_LOAD_LU ; 8-byte Folded Reload
	s_wait_loadcnt 0x0
	v_lshl_add_u64 v[0:1], v[0:1], 2, v[6:7]
	v_lshl_or_b32 v6, v64, 6, v3
	scratch_load_b64 v[2:3], off, s32 offset:200 th:TH_LOAD_LU ; 8-byte Folded Reload
	s_wait_kmcnt 0x0
	v_dual_mov_b32 v20, 0 :: v_dual_add_nc_u32 v55, s0, v6
	s_wait_loadcnt 0x0
	v_add_nc_u64_e32 v[2:3], v[2:3], v[0:1]
	s_branch .LBB270_810
.LBB270_809:                            ;   in Loop: Header=BB270_810 Depth=1
	s_or_b32 exec_lo, exec_lo, s0
	v_dual_add_f32 v0, v36, v37 :: v_dual_add_f32 v1, v115, v116
	v_add_f32_e32 v16, v113, v114
	v_add_nc_u64_e32 v[2:3], 16, v[2:3]
	s_delay_alu instid0(VALU_DEP_3) | instskip(NEXT) | instid1(VALU_DEP_4)
	v_dual_add_nc_u32 v54, 64, v54 :: v_dual_add_f32 v4, v4, v0
	v_dual_add_f32 v0, v103, v112 :: v_dual_add_f32 v9, v9, v1
	s_delay_alu instid0(VALU_DEP_4) | instskip(SKIP_1) | instid1(VALU_DEP_3)
	v_dual_add_f32 v8, v8, v16 :: v_dual_add_f32 v1, v101, v102
	v_dual_add_f32 v16, v99, v100 :: v_dual_add_f32 v19, v97, v98
	v_add_f32_e32 v21, v21, v0
	;;#ASMSTART
	v_pk_mul_f16 v0, v80, v17;

	;;#ASMEND
	s_delay_alu instid0(VALU_DEP_3)
	v_dual_add_f32 v30, v87, v96 :: v_dual_add_f32 v20, v20, v1
	;;#ASMSTART
	v_pk_mul_f16 v1, v49, v10;

	;;#ASMEND
	;;#ASMSTART
	v_pk_mul_f16 v10, v48, v11;

	;;#ASMEND
	;; [unrolled: 4-line block ×3, first 2 shown]
	;;#ASMSTART
	v_pk_add_f16 v0, v0, v1;

	;;#ASMEND
	;;#ASMSTART
	v_pk_add_f16 v0, v0, v10;

	;;#ASMEND
	;; [unrolled: 4-line block ×3, first 2 shown]
	v_and_b32_e32 v10, 0xffff, v0
	v_dual_add_f32 v0, v85, v86 :: v_dual_lshrrev_b32 v11, 16, v0
	;;#ASMSTART
	v_cvt_f32_f16 v10, v10;
	;;#ASMEND
	;;#ASMSTART
	v_cvt_f32_f16 v11, v11;
	;;#ASMEND
	s_delay_alu instid0(VALU_DEP_1) | instskip(SKIP_2) | instid1(VALU_DEP_3)
	v_dual_add_f32 v10, v10, v11 :: v_dual_add_nc_u32 v64, 4, v64
	v_dual_add_f32 v1, v83, v84 :: v_dual_add_f32 v6, v81, v82
	v_dual_add_f32 v25, v25, v16 :: v_dual_add_f32 v27, v27, v30
	v_cmp_ge_i32_e32 vcc_lo, v64, v50
	v_dual_add_f32 v24, v24, v19 :: v_dual_add_f32 v26, v26, v0
	s_delay_alu instid0(VALU_DEP_4) | instskip(SKIP_3) | instid1(SALU_CYCLE_1)
	v_dual_add_f32 v29, v29, v1 :: v_dual_add_f32 v28, v28, v6
	v_add_nc_u32_e32 v55, 0x100, v55
	v_add_f32_e32 v5, v5, v10
	s_or_b32 s10, vcc_lo, s10
	s_and_not1_b32 exec_lo, exec_lo, s10
	s_cbranch_execz .LBB270_1602
.LBB270_810:                            ; =>This Inner Loop Header: Depth=1
	flat_load_b32 v0, v[2:3]
	ds_load_2addr_b64 v[30:33], v55 offset1:1
	ds_load_2addr_b64 v[34:37], v55 offset0:2 offset1:3
	s_mov_b32 s0, exec_lo
	s_wait_dscnt 0x1
	;;#ASMSTART
	v_cvt_f16_f32 v49, v30;

	;;#ASMEND
	;;#ASMSTART
	v_cvt_f16_f32 v38, v31;

	;;#ASMEND
	;;#ASMSTART
	v_cvt_f16_f32 v80, v32;

	;;#ASMEND
	;;#ASMSTART
	v_cvt_f16_f32 v48, v33;

	;;#ASMEND
	s_wait_dscnt 0x0
	;;#ASMSTART
	v_cvt_f16_f32 v83, v34;

	;;#ASMEND
	;;#ASMSTART
	v_cvt_f16_f32 v81, v35;

	;;#ASMEND
	;; [unrolled: 4-line block ×4, first 2 shown]
	s_wait_loadcnt 0x0
	v_mad_nc_i64_i32 v[10:11], v0, v18, v[14:15]
	v_mov_b32_e32 v0, 0
	flat_load_b64 v[30:31], v[10:11]
	flat_load_b32 v16, v[22:23]
	s_wait_loadcnt_dscnt 0x101
	v_and_b32_e32 v1, 0xff, v30
	s_wait_xcnt 0x0
	s_delay_alu instid0(VALU_DEP_1)
	v_cmpx_ne_u16_e32 0, v1
	s_cbranch_execz .LBB270_818
; %bb.811:                              ;   in Loop: Header=BB270_810 Depth=1
	v_mov_b32_e32 v0, 0x8000
	s_mov_b32 s11, exec_lo
	v_cmpx_ne_u16_e32 0x80, v1
	s_cbranch_execz .LBB270_817
; %bb.812:                              ;   in Loop: Header=BB270_810 Depth=1
	v_and_b32_e32 v6, 0x7f, v30
	v_mov_b32_e32 v0, 0x7c01
	s_mov_b32 s16, exec_lo
	s_delay_alu instid0(VALU_DEP_2)
	v_cmpx_ne_u32_e32 0x7f, v6
	s_cbranch_execz .LBB270_816
; %bb.813:                              ;   in Loop: Header=BB270_810 Depth=1
	v_and_b32_e32 v0, 7, v30
	v_lshrrev_b32_e32 v1, 3, v6
	s_mov_b32 s17, exec_lo
	v_cmpx_gt_u32_e32 8, v6
; %bb.814:                              ;   in Loop: Header=BB270_810 Depth=1
	s_delay_alu instid0(VALU_DEP_3) | instskip(NEXT) | instid1(VALU_DEP_1)
	v_clz_i32_u32_e32 v0, v0
	v_min_u32_e32 v6, 32, v0
	s_delay_alu instid0(VALU_DEP_1) | instskip(NEXT) | instid1(VALU_DEP_1)
	v_subrev_nc_u32_e32 v0, 28, v6
	v_lshlrev_b64_e32 v[0:1], v0, v[30:31]
	s_delay_alu instid0(VALU_DEP_1)
	v_dual_sub_nc_u32 v1, 29, v6 :: v_dual_bitop2_b32 v0, 7, v0 bitop3:0x40
; %bb.815:                              ;   in Loop: Header=BB270_810 Depth=1
	s_or_b32 exec_lo, exec_lo, s17
	s_delay_alu instid0(VALU_DEP_1) | instskip(NEXT) | instid1(VALU_DEP_2)
	v_dual_lshlrev_b32 v6, 8, v30 :: v_dual_lshlrev_b32 v0, 7, v0
	v_lshl_add_u32 v1, v1, 10, 0x2000
	s_delay_alu instid0(VALU_DEP_2) | instskip(NEXT) | instid1(VALU_DEP_2)
	v_and_b32_e32 v6, 0x8000, v6
	v_and_b32_e32 v1, 0xfc00, v1
	s_delay_alu instid0(VALU_DEP_1)
	v_or3_b32 v0, v6, v1, v0
.LBB270_816:                            ;   in Loop: Header=BB270_810 Depth=1
	s_or_b32 exec_lo, exec_lo, s16
.LBB270_817:                            ;   in Loop: Header=BB270_810 Depth=1
	s_delay_alu instid0(SALU_CYCLE_1)
	s_or_b32 exec_lo, exec_lo, s11
.LBB270_818:                            ;   in Loop: Header=BB270_810 Depth=1
	s_delay_alu instid0(SALU_CYCLE_1) | instskip(SKIP_3) | instid1(VALU_DEP_2)
	s_or_b32 exec_lo, exec_lo, s0
	v_lshrrev_b16 v6, 8, v30
	v_dual_mov_b32 v1, 0 :: v_dual_mov_b32 v17, 0
	s_mov_b32 s0, exec_lo
	v_cmpx_ne_u16_e32 0, v6
	s_cbranch_execz .LBB270_826
; %bb.819:                              ;   in Loop: Header=BB270_810 Depth=1
	v_bfrev_b32_e32 v17, 1
	s_mov_b32 s11, exec_lo
	v_cmpx_ne_u16_e32 0x80, v6
	s_cbranch_execz .LBB270_825
; %bb.820:                              ;   in Loop: Header=BB270_810 Depth=1
	v_and_b32_e32 v19, 0xffff, v6
	v_mov_b32_e32 v17, 0x7c010000
	s_mov_b32 s16, exec_lo
	s_delay_alu instid0(VALU_DEP_2) | instskip(NEXT) | instid1(VALU_DEP_1)
	v_and_b32_e32 v33, 0x7f, v19
	v_cmpx_ne_u32_e32 0x7f, v33
	s_cbranch_execz .LBB270_824
; %bb.821:                              ;   in Loop: Header=BB270_810 Depth=1
	v_dual_lshrrev_b32 v32, 3, v33 :: v_dual_bitop2_b32 v17, 7, v19 bitop3:0x40
	s_mov_b32 s17, exec_lo
	v_cmpx_gt_u32_e32 8, v33
; %bb.822:                              ;   in Loop: Header=BB270_810 Depth=1
	s_delay_alu instid0(VALU_DEP_2) | instskip(NEXT) | instid1(VALU_DEP_1)
	v_clz_i32_u32_e32 v17, v17
	v_min_u32_e32 v17, 32, v17
	s_delay_alu instid0(VALU_DEP_1) | instskip(NEXT) | instid1(VALU_DEP_1)
	v_subrev_nc_u32_e32 v32, 28, v17
	v_lshlrev_b64_e32 v[34:35], v32, v[6:7]
	s_delay_alu instid0(VALU_DEP_1)
	v_dual_sub_nc_u32 v32, 29, v17 :: v_dual_bitop2_b32 v17, 7, v34 bitop3:0x40
; %bb.823:                              ;   in Loop: Header=BB270_810 Depth=1
	s_or_b32 exec_lo, exec_lo, s17
	s_delay_alu instid0(VALU_DEP_1) | instskip(NEXT) | instid1(VALU_DEP_2)
	v_dual_lshlrev_b32 v6, 8, v19 :: v_dual_lshlrev_b32 v17, 23, v17
	v_lshl_add_u32 v19, v32, 10, 0x2000
	s_delay_alu instid0(VALU_DEP_1) | instskip(NEXT) | instid1(VALU_DEP_1)
	v_and_or_b32 v6, 0x8000, v6, v19
	v_lshl_or_b32 v17, v6, 16, v17
.LBB270_824:                            ;   in Loop: Header=BB270_810 Depth=1
	s_or_b32 exec_lo, exec_lo, s16
.LBB270_825:                            ;   in Loop: Header=BB270_810 Depth=1
	s_delay_alu instid0(SALU_CYCLE_1)
	s_or_b32 exec_lo, exec_lo, s11
.LBB270_826:                            ;   in Loop: Header=BB270_810 Depth=1
	s_delay_alu instid0(SALU_CYCLE_1) | instskip(SKIP_2) | instid1(VALU_DEP_1)
	s_or_b32 exec_lo, exec_lo, s0
	v_lshrrev_b32_e32 v6, 16, v30
	s_mov_b32 s0, exec_lo
	v_and_b32_e32 v19, 0xff, v6
	s_delay_alu instid0(VALU_DEP_1)
	v_cmpx_ne_u16_e32 0, v19
	s_cbranch_execz .LBB270_834
; %bb.827:                              ;   in Loop: Header=BB270_810 Depth=1
	v_mov_b32_e32 v1, 0x8000
	s_mov_b32 s11, exec_lo
	v_cmpx_ne_u16_e32 0x80, v19
	s_cbranch_execz .LBB270_833
; %bb.828:                              ;   in Loop: Header=BB270_810 Depth=1
	v_bfe_u32 v32, v30, 16, 7
	v_mov_b32_e32 v1, 0x7c01
	s_mov_b32 s16, exec_lo
	s_delay_alu instid0(VALU_DEP_2)
	v_cmpx_ne_u32_e32 0x7f, v32
	s_cbranch_execz .LBB270_832
; %bb.829:                              ;   in Loop: Header=BB270_810 Depth=1
	v_dual_lshrrev_b32 v19, 3, v32 :: v_dual_bitop2_b32 v1, 7, v6 bitop3:0x40
	s_mov_b32 s17, exec_lo
	v_cmpx_gt_u32_e32 8, v32
; %bb.830:                              ;   in Loop: Header=BB270_810 Depth=1
	s_delay_alu instid0(VALU_DEP_2) | instskip(NEXT) | instid1(VALU_DEP_1)
	v_clz_i32_u32_e32 v1, v1
	v_min_u32_e32 v1, 32, v1
	s_delay_alu instid0(VALU_DEP_1) | instskip(NEXT) | instid1(VALU_DEP_1)
	v_subrev_nc_u32_e32 v19, 28, v1
	v_lshlrev_b64_e32 v[32:33], v19, v[6:7]
	s_delay_alu instid0(VALU_DEP_1)
	v_dual_sub_nc_u32 v19, 29, v1 :: v_dual_bitop2_b32 v1, 7, v32 bitop3:0x40
; %bb.831:                              ;   in Loop: Header=BB270_810 Depth=1
	s_or_b32 exec_lo, exec_lo, s17
	s_delay_alu instid0(VALU_DEP_1) | instskip(NEXT) | instid1(VALU_DEP_2)
	v_dual_lshlrev_b32 v6, 8, v6 :: v_dual_lshlrev_b32 v1, 7, v1
	v_lshl_add_u32 v19, v19, 10, 0x2000
	s_delay_alu instid0(VALU_DEP_2) | instskip(NEXT) | instid1(VALU_DEP_2)
	v_and_b32_e32 v6, 0x8000, v6
	v_and_b32_e32 v19, 0xfc00, v19
	s_delay_alu instid0(VALU_DEP_1)
	v_or3_b32 v1, v6, v19, v1
.LBB270_832:                            ;   in Loop: Header=BB270_810 Depth=1
	s_or_b32 exec_lo, exec_lo, s16
.LBB270_833:                            ;   in Loop: Header=BB270_810 Depth=1
	s_delay_alu instid0(SALU_CYCLE_1)
	s_or_b32 exec_lo, exec_lo, s11
.LBB270_834:                            ;   in Loop: Header=BB270_810 Depth=1
	s_delay_alu instid0(SALU_CYCLE_1)
	s_or_b32 exec_lo, exec_lo, s0
	v_dual_mov_b32 v19, 0 :: v_dual_mov_b32 v32, 0
	s_mov_b32 s0, exec_lo
	v_cmpx_lt_u32_e32 0xffffff, v30
	s_cbranch_execz .LBB270_842
; %bb.835:                              ;   in Loop: Header=BB270_810 Depth=1
	v_lshrrev_b32_e32 v6, 24, v30
	v_bfrev_b32_e32 v32, 1
	s_mov_b32 s11, exec_lo
	s_delay_alu instid0(VALU_DEP_2)
	v_cmpx_ne_u32_e32 0x80, v6
	s_cbranch_execz .LBB270_841
; %bb.836:                              ;   in Loop: Header=BB270_810 Depth=1
	v_and_b32_e32 v34, 0x7f, v6
	v_mov_b32_e32 v32, 0x7c010000
	s_mov_b32 s16, exec_lo
	s_delay_alu instid0(VALU_DEP_2)
	v_cmpx_ne_u32_e32 0x7f, v34
	s_cbranch_execz .LBB270_840
; %bb.837:                              ;   in Loop: Header=BB270_810 Depth=1
	v_and_b32_e32 v32, 7, v6
	v_lshrrev_b32_e32 v33, 3, v34
	s_mov_b32 s17, exec_lo
	v_cmpx_gt_u32_e32 8, v34
; %bb.838:                              ;   in Loop: Header=BB270_810 Depth=1
	s_delay_alu instid0(VALU_DEP_3) | instskip(NEXT) | instid1(VALU_DEP_1)
	v_clz_i32_u32_e32 v32, v32
	v_min_u32_e32 v34, 32, v32
	s_delay_alu instid0(VALU_DEP_1) | instskip(NEXT) | instid1(VALU_DEP_1)
	v_subrev_nc_u32_e32 v32, 28, v34
	v_lshlrev_b64_e32 v[32:33], v32, v[6:7]
	s_delay_alu instid0(VALU_DEP_1)
	v_dual_sub_nc_u32 v33, 29, v34 :: v_dual_bitop2_b32 v32, 7, v32 bitop3:0x40
; %bb.839:                              ;   in Loop: Header=BB270_810 Depth=1
	s_or_b32 exec_lo, exec_lo, s17
	s_delay_alu instid0(VALU_DEP_1) | instskip(NEXT) | instid1(VALU_DEP_2)
	v_dual_lshlrev_b32 v6, 8, v6 :: v_dual_lshlrev_b32 v32, 23, v32
	v_lshl_add_u32 v33, v33, 10, 0x2000
	s_delay_alu instid0(VALU_DEP_1) | instskip(NEXT) | instid1(VALU_DEP_1)
	v_and_or_b32 v6, 0x8000, v6, v33
	v_lshl_or_b32 v32, v6, 16, v32
.LBB270_840:                            ;   in Loop: Header=BB270_810 Depth=1
	s_or_b32 exec_lo, exec_lo, s16
.LBB270_841:                            ;   in Loop: Header=BB270_810 Depth=1
	s_delay_alu instid0(SALU_CYCLE_1)
	s_or_b32 exec_lo, exec_lo, s11
.LBB270_842:                            ;   in Loop: Header=BB270_810 Depth=1
	s_delay_alu instid0(SALU_CYCLE_1) | instskip(SKIP_3) | instid1(VALU_DEP_2)
	s_or_b32 exec_lo, exec_lo, s0
	v_and_b32_e32 v33, 0xff, v31
	v_mov_b32_e32 v6, v31
	s_mov_b32 s0, exec_lo
	v_cmpx_ne_u16_e32 0, v33
	s_cbranch_execz .LBB270_850
; %bb.843:                              ;   in Loop: Header=BB270_810 Depth=1
	v_mov_b32_e32 v19, 0x8000
	s_mov_b32 s11, exec_lo
	v_cmpx_ne_u16_e32 0x80, v33
	s_cbranch_execz .LBB270_849
; %bb.844:                              ;   in Loop: Header=BB270_810 Depth=1
	v_and_b32_e32 v34, 0x7f, v31
	v_mov_b32_e32 v19, 0x7c01
	s_mov_b32 s16, exec_lo
	s_delay_alu instid0(VALU_DEP_2)
	v_cmpx_ne_u32_e32 0x7f, v34
	s_cbranch_execz .LBB270_848
; %bb.845:                              ;   in Loop: Header=BB270_810 Depth=1
	v_dual_lshrrev_b32 v33, 3, v34 :: v_dual_bitop2_b32 v19, 7, v31 bitop3:0x40
	s_mov_b32 s17, exec_lo
	v_cmpx_gt_u32_e32 8, v34
; %bb.846:                              ;   in Loop: Header=BB270_810 Depth=1
	s_delay_alu instid0(VALU_DEP_2) | instskip(NEXT) | instid1(VALU_DEP_1)
	v_clz_i32_u32_e32 v19, v19
	v_min_u32_e32 v19, 32, v19
	s_delay_alu instid0(VALU_DEP_1) | instskip(NEXT) | instid1(VALU_DEP_1)
	v_subrev_nc_u32_e32 v33, 28, v19
	v_lshlrev_b64_e32 v[34:35], v33, v[6:7]
	s_delay_alu instid0(VALU_DEP_1)
	v_dual_sub_nc_u32 v33, 29, v19 :: v_dual_bitop2_b32 v19, 7, v34 bitop3:0x40
; %bb.847:                              ;   in Loop: Header=BB270_810 Depth=1
	s_or_b32 exec_lo, exec_lo, s17
	v_lshlrev_b32_e32 v34, 8, v31
	s_delay_alu instid0(VALU_DEP_2) | instskip(NEXT) | instid1(VALU_DEP_3)
	v_lshl_add_u32 v33, v33, 10, 0x2000
	v_lshlrev_b32_e32 v19, 7, v19
	s_delay_alu instid0(VALU_DEP_3) | instskip(NEXT) | instid1(VALU_DEP_3)
	v_and_b32_e32 v34, 0x8000, v34
	v_and_b32_e32 v33, 0xfc00, v33
	s_delay_alu instid0(VALU_DEP_1)
	v_or3_b32 v19, v34, v33, v19
.LBB270_848:                            ;   in Loop: Header=BB270_810 Depth=1
	s_or_b32 exec_lo, exec_lo, s16
.LBB270_849:                            ;   in Loop: Header=BB270_810 Depth=1
	s_delay_alu instid0(SALU_CYCLE_1)
	s_or_b32 exec_lo, exec_lo, s11
.LBB270_850:                            ;   in Loop: Header=BB270_810 Depth=1
	s_delay_alu instid0(SALU_CYCLE_1) | instskip(SKIP_3) | instid1(VALU_DEP_2)
	s_or_b32 exec_lo, exec_lo, s0
	v_lshrrev_b16 v6, 8, v6
	v_dual_mov_b32 v34, 0 :: v_dual_mov_b32 v33, 0
	s_mov_b32 s0, exec_lo
	v_cmpx_ne_u16_e32 0, v6
	s_cbranch_execz .LBB270_858
; %bb.851:                              ;   in Loop: Header=BB270_810 Depth=1
	v_bfrev_b32_e32 v33, 1
	s_mov_b32 s11, exec_lo
	v_cmpx_ne_u16_e32 0x80, v6
	s_cbranch_execz .LBB270_857
; %bb.852:                              ;   in Loop: Header=BB270_810 Depth=1
	v_and_b32_e32 v35, 0xffff, v6
	v_mov_b32_e32 v33, 0x7c010000
	s_mov_b32 s16, exec_lo
	s_delay_alu instid0(VALU_DEP_2) | instskip(NEXT) | instid1(VALU_DEP_1)
	v_and_b32_e32 v37, 0x7f, v35
	v_cmpx_ne_u32_e32 0x7f, v37
	s_cbranch_execz .LBB270_856
; %bb.853:                              ;   in Loop: Header=BB270_810 Depth=1
	v_dual_lshrrev_b32 v36, 3, v37 :: v_dual_bitop2_b32 v33, 7, v35 bitop3:0x40
	s_mov_b32 s17, exec_lo
	v_cmpx_gt_u32_e32 8, v37
; %bb.854:                              ;   in Loop: Header=BB270_810 Depth=1
	s_delay_alu instid0(VALU_DEP_2) | instskip(NEXT) | instid1(VALU_DEP_1)
	v_clz_i32_u32_e32 v33, v33
	v_min_u32_e32 v33, 32, v33
	s_delay_alu instid0(VALU_DEP_1) | instskip(NEXT) | instid1(VALU_DEP_1)
	v_subrev_nc_u32_e32 v36, 28, v33
	v_lshlrev_b64_e32 v[66:67], v36, v[6:7]
	s_delay_alu instid0(VALU_DEP_1)
	v_dual_sub_nc_u32 v36, 29, v33 :: v_dual_bitop2_b32 v33, 7, v66 bitop3:0x40
; %bb.855:                              ;   in Loop: Header=BB270_810 Depth=1
	s_or_b32 exec_lo, exec_lo, s17
	s_delay_alu instid0(VALU_DEP_1) | instskip(NEXT) | instid1(VALU_DEP_2)
	v_dual_lshlrev_b32 v6, 8, v35 :: v_dual_lshlrev_b32 v33, 23, v33
	v_lshl_add_u32 v35, v36, 10, 0x2000
	s_delay_alu instid0(VALU_DEP_1) | instskip(NEXT) | instid1(VALU_DEP_1)
	v_and_or_b32 v6, 0x8000, v6, v35
	v_lshl_or_b32 v33, v6, 16, v33
.LBB270_856:                            ;   in Loop: Header=BB270_810 Depth=1
	s_or_b32 exec_lo, exec_lo, s16
.LBB270_857:                            ;   in Loop: Header=BB270_810 Depth=1
	s_delay_alu instid0(SALU_CYCLE_1)
	s_or_b32 exec_lo, exec_lo, s11
.LBB270_858:                            ;   in Loop: Header=BB270_810 Depth=1
	s_delay_alu instid0(SALU_CYCLE_1) | instskip(SKIP_2) | instid1(VALU_DEP_1)
	s_or_b32 exec_lo, exec_lo, s0
	v_lshrrev_b32_e32 v6, 16, v31
	s_mov_b32 s0, exec_lo
	v_and_b32_e32 v35, 0xff, v6
	s_delay_alu instid0(VALU_DEP_1)
	v_cmpx_ne_u16_e32 0, v35
	s_cbranch_execz .LBB270_866
; %bb.859:                              ;   in Loop: Header=BB270_810 Depth=1
	v_mov_b32_e32 v34, 0x8000
	s_mov_b32 s11, exec_lo
	v_cmpx_ne_u16_e32 0x80, v35
	s_cbranch_execz .LBB270_865
; %bb.860:                              ;   in Loop: Header=BB270_810 Depth=1
	v_bfe_u32 v36, v31, 16, 7
	v_mov_b32_e32 v34, 0x7c01
	s_mov_b32 s16, exec_lo
	s_delay_alu instid0(VALU_DEP_2)
	v_cmpx_ne_u32_e32 0x7f, v36
	s_cbranch_execz .LBB270_864
; %bb.861:                              ;   in Loop: Header=BB270_810 Depth=1
	v_dual_lshrrev_b32 v35, 3, v36 :: v_dual_bitop2_b32 v34, 7, v6 bitop3:0x40
	s_mov_b32 s17, exec_lo
	v_cmpx_gt_u32_e32 8, v36
; %bb.862:                              ;   in Loop: Header=BB270_810 Depth=1
	s_delay_alu instid0(VALU_DEP_2) | instskip(NEXT) | instid1(VALU_DEP_1)
	v_clz_i32_u32_e32 v34, v34
	v_min_u32_e32 v36, 32, v34
	s_delay_alu instid0(VALU_DEP_1) | instskip(NEXT) | instid1(VALU_DEP_1)
	v_subrev_nc_u32_e32 v34, 28, v36
	v_lshlrev_b64_e32 v[34:35], v34, v[6:7]
	s_delay_alu instid0(VALU_DEP_1)
	v_dual_sub_nc_u32 v35, 29, v36 :: v_dual_bitop2_b32 v34, 7, v34 bitop3:0x40
; %bb.863:                              ;   in Loop: Header=BB270_810 Depth=1
	s_or_b32 exec_lo, exec_lo, s17
	v_lshlrev_b32_e32 v6, 8, v6
	s_delay_alu instid0(VALU_DEP_2) | instskip(NEXT) | instid1(VALU_DEP_3)
	v_lshl_add_u32 v35, v35, 10, 0x2000
	v_lshlrev_b32_e32 v34, 7, v34
	s_delay_alu instid0(VALU_DEP_3) | instskip(NEXT) | instid1(VALU_DEP_3)
	v_and_b32_e32 v6, 0x8000, v6
	v_and_b32_e32 v35, 0xfc00, v35
	s_delay_alu instid0(VALU_DEP_1)
	v_or3_b32 v34, v6, v35, v34
.LBB270_864:                            ;   in Loop: Header=BB270_810 Depth=1
	s_or_b32 exec_lo, exec_lo, s16
.LBB270_865:                            ;   in Loop: Header=BB270_810 Depth=1
	s_delay_alu instid0(SALU_CYCLE_1)
	s_or_b32 exec_lo, exec_lo, s11
.LBB270_866:                            ;   in Loop: Header=BB270_810 Depth=1
	s_delay_alu instid0(SALU_CYCLE_1)
	s_or_b32 exec_lo, exec_lo, s0
	v_cmp_lt_u64_e32 vcc_lo, s[2:3], v[30:31]
	v_mov_b32_e32 v30, 0
	s_and_saveexec_b32 s0, vcc_lo
	s_cbranch_execz .LBB270_874
; %bb.867:                              ;   in Loop: Header=BB270_810 Depth=1
	v_lshrrev_b32_e32 v6, 24, v31
	v_bfrev_b32_e32 v30, 1
	s_mov_b32 s11, exec_lo
	s_delay_alu instid0(VALU_DEP_2)
	v_cmpx_ne_u32_e32 0x80, v6
	s_cbranch_execz .LBB270_873
; %bb.868:                              ;   in Loop: Header=BB270_810 Depth=1
	v_and_b32_e32 v35, 0x7f, v6
	v_mov_b32_e32 v30, 0x7c010000
	s_mov_b32 s16, exec_lo
	s_delay_alu instid0(VALU_DEP_2)
	v_cmpx_ne_u32_e32 0x7f, v35
	s_cbranch_execz .LBB270_872
; %bb.869:                              ;   in Loop: Header=BB270_810 Depth=1
	v_dual_lshrrev_b32 v31, 3, v35 :: v_dual_bitop2_b32 v30, 7, v6 bitop3:0x40
	s_mov_b32 s17, exec_lo
	v_cmpx_gt_u32_e32 8, v35
; %bb.870:                              ;   in Loop: Header=BB270_810 Depth=1
	s_delay_alu instid0(VALU_DEP_2) | instskip(NEXT) | instid1(VALU_DEP_1)
	v_clz_i32_u32_e32 v30, v30
	v_min_u32_e32 v35, 32, v30
	s_delay_alu instid0(VALU_DEP_1) | instskip(NEXT) | instid1(VALU_DEP_1)
	v_subrev_nc_u32_e32 v30, 28, v35
	v_lshlrev_b64_e32 v[30:31], v30, v[6:7]
	s_delay_alu instid0(VALU_DEP_1)
	v_dual_sub_nc_u32 v31, 29, v35 :: v_dual_bitop2_b32 v30, 7, v30 bitop3:0x40
; %bb.871:                              ;   in Loop: Header=BB270_810 Depth=1
	s_or_b32 exec_lo, exec_lo, s17
	v_lshlrev_b32_e32 v6, 8, v6
	s_delay_alu instid0(VALU_DEP_2) | instskip(NEXT) | instid1(VALU_DEP_3)
	v_lshl_add_u32 v31, v31, 10, 0x2000
	v_lshlrev_b32_e32 v30, 23, v30
	s_delay_alu instid0(VALU_DEP_2) | instskip(NEXT) | instid1(VALU_DEP_1)
	v_and_or_b32 v6, 0x8000, v6, v31
	v_lshl_or_b32 v30, v6, 16, v30
.LBB270_872:                            ;   in Loop: Header=BB270_810 Depth=1
	s_or_b32 exec_lo, exec_lo, s16
.LBB270_873:                            ;   in Loop: Header=BB270_810 Depth=1
	s_delay_alu instid0(SALU_CYCLE_1)
	s_or_b32 exec_lo, exec_lo, s11
.LBB270_874:                            ;   in Loop: Header=BB270_810 Depth=1
	s_delay_alu instid0(SALU_CYCLE_1) | instskip(SKIP_3) | instid1(VALU_DEP_3)
	s_or_b32 exec_lo, exec_lo, s0
	v_dual_lshrrev_b32 v6, 16, v17 :: v_dual_lshrrev_b32 v31, 16, v32
	v_or_b32_e32 v17, v17, v0
	v_dual_lshrrev_b32 v35, 16, v30 :: v_dual_bitop2_b32 v32, v32, v1 bitop3:0x54
	v_cvt_f32_f16_e32 v1, v6
	s_delay_alu instid0(VALU_DEP_4) | instskip(SKIP_1) | instid1(VALU_DEP_4)
	v_cvt_f32_f16_e32 v0, v31
	v_dual_lshrrev_b32 v34, 16, v33 :: v_dual_bitop2_b32 v6, v30, v34 bitop3:0x54
	v_cvt_f32_f16_e32 v30, v32
	v_cvt_f32_f16_e32 v31, v17
	v_or_b32_e32 v19, v33, v19
	v_cvt_f32_f16_e32 v32, v35
	s_wait_loadcnt_dscnt 0x0
	v_pk_mul_f32 v[0:1], v[16:17], v[0:1] op_sel_hi:[0,1]
	v_cvt_f32_f16_e32 v33, v34
	v_pk_mul_f32 v[30:31], v[16:17], v[30:31] op_sel_hi:[0,1]
	v_cvt_f32_f16_e32 v35, v19
	v_cmp_eq_u32_e32 vcc_lo, v53, v64
	v_or_b32_e32 v70, 1, v54
	v_or_b32_e32 v69, 3, v54
	v_cvt_pk_f16_f32 v19, v30, v31
	v_or_b32_e32 v68, 4, v54
	v_or_b32_e32 v67, 6, v54
	;; [unrolled: 1-line block ×3, first 2 shown]
	s_delay_alu instid0(VALU_DEP_4)
	v_dual_lshrrev_b32 v37, 16, v19 :: v_dual_bitop2_b32 v65, 7, v54 bitop3:0x54
	v_cvt_f32_f16_e32 v34, v6
	v_cvt_pk_f16_f32 v6, v0, v1
	v_pk_mul_f32 v[0:1], v[16:17], v[32:33] op_sel_hi:[0,1]
	v_and_b32_e32 v36, 0xffff, v19
	v_add_nc_u32_e32 v71, 2, v54
	v_pk_mul_f32 v[16:17], v[16:17], v[34:35] op_sel_hi:[0,1]
	v_and_b32_e32 v35, 0xffff0000, v6
	v_cvt_pk_f16_f32 v0, v0, v1
	v_lshlrev_b32_e32 v34, 16, v6
	s_delay_alu instid0(VALU_DEP_4) | instskip(NEXT) | instid1(VALU_DEP_4)
	v_cvt_pk_f16_f32 v1, v16, v17
	v_or_b32_e32 v31, v35, v37
	s_delay_alu instid0(VALU_DEP_4) | instskip(SKIP_1) | instid1(VALU_DEP_4)
	v_and_b32_e32 v17, 0xffff0000, v0
	v_lshlrev_b32_e32 v6, 16, v0
	v_dual_lshrrev_b32 v33, 16, v1 :: v_dual_bitop2_b32 v30, v34, v36 bitop3:0x54
	v_and_b32_e32 v32, 0xffff, v1
	s_delay_alu instid0(VALU_DEP_2) | instskip(NEXT) | instid1(VALU_DEP_2)
	v_or_b32_e32 v19, v17, v33
	v_or_b32_e32 v16, v6, v32
	s_and_saveexec_b32 s11, vcc_lo
	s_cbranch_execz .LBB270_876
; %bb.875:                              ;   in Loop: Header=BB270_810 Depth=1
	v_cmp_lt_i32_e64 s0, v54, v13
	s_delay_alu instid0(VALU_DEP_1) | instskip(SKIP_1) | instid1(VALU_DEP_1)
	v_cndmask_b32_e64 v0, 0, v37, s0
	v_cmp_lt_i32_e64 s0, v71, v12
	v_cndmask_b32_e64 v1, 0, v36, s0
	v_cmp_lt_i32_e64 s0, v70, v13
	s_delay_alu instid0(VALU_DEP_1) | instskip(SKIP_1) | instid1(VALU_DEP_1)
	v_cndmask_b32_e64 v16, 0, v35, s0
	v_cmp_lt_i32_e64 s0, v69, v12
	v_cndmask_b32_e64 v19, 0, v34, s0
	v_cmp_lt_i32_e64 s0, v68, v13
	s_delay_alu instid0(VALU_DEP_4) | instskip(NEXT) | instid1(VALU_DEP_2)
	v_or_b32_e32 v31, v0, v16
	v_dual_cndmask_b32 v33, 0, v33, s0 :: v_dual_bitop2_b32 v30, v1, v19 bitop3:0x54
	v_cmp_lt_i32_e64 s0, v67, v12
	s_delay_alu instid0(VALU_DEP_1) | instskip(SKIP_1) | instid1(VALU_DEP_1)
	v_cndmask_b32_e64 v32, 0, v32, s0
	v_cmp_lt_i32_e64 s0, v66, v13
	v_cndmask_b32_e64 v17, 0, v17, s0
	v_cmp_lt_i32_e64 s0, v65, v12
	s_delay_alu instid0(VALU_DEP_1) | instskip(NEXT) | instid1(VALU_DEP_1)
	v_dual_cndmask_b32 v6, 0, v6, s0 :: v_dual_bitop2_b32 v19, v33, v17 bitop3:0x54
	v_or_b32_e32 v16, v32, v6
.LBB270_876:                            ;   in Loop: Header=BB270_810 Depth=1
	s_or_b32 exec_lo, exec_lo, s11
	v_and_b32_e32 v0, 0xffff, v49
	v_and_b32_e32 v1, 0xffff, v80
	;; [unrolled: 1-line block ×4, first 2 shown]
	s_mov_b32 s11, exec_lo
	v_lshl_or_b32 v80, v38, 16, v0
	;;#ASMSTART
	v_pk_mul_f16 v0, v80, v31;

	;;#ASMEND
	v_lshl_or_b32 v49, v48, 16, v1
	v_lshl_or_b32 v48, v81, 16, v6
	;; [unrolled: 1-line block ×3, first 2 shown]
	;;#ASMSTART
	v_pk_mul_f16 v1, v49, v30;

	;;#ASMEND
	;;#ASMSTART
	v_pk_mul_f16 v6, v48, v19;

	;;#ASMEND
	;; [unrolled: 4-line block ×3, first 2 shown]
	;;#ASMSTART
	v_pk_add_f16 v0, v0, v1;

	;;#ASMEND
	;;#ASMSTART
	v_pk_add_f16 v0, v0, v6;

	;;#ASMEND
	;; [unrolled: 4-line block ×3, first 2 shown]
	v_and_b32_e32 v1, 0xffff, v0
	v_lshrrev_b32_e32 v0, 16, v0
	;;#ASMSTART
	v_cvt_f32_f16 v81, v1;
	;;#ASMEND
	v_mov_b32_e32 v1, 0
	;;#ASMSTART
	v_cvt_f32_f16 v82, v0;
	;;#ASMEND
	flat_load_b64 v[30:31], v[10:11] offset:256
	flat_load_b32 v16, v[22:23]
	v_mov_b32_e32 v0, 0
	s_wait_loadcnt_dscnt 0x101
	v_and_b32_e32 v6, 0xff, v30
	s_wait_xcnt 0x0
	s_delay_alu instid0(VALU_DEP_1)
	v_cmpx_ne_u16_e32 0, v6
	s_cbranch_execz .LBB270_884
; %bb.877:                              ;   in Loop: Header=BB270_810 Depth=1
	v_mov_b32_e32 v1, 0x8000
	s_mov_b32 s16, exec_lo
	v_cmpx_ne_u16_e32 0x80, v6
	s_cbranch_execz .LBB270_883
; %bb.878:                              ;   in Loop: Header=BB270_810 Depth=1
	v_and_b32_e32 v17, 0x7f, v30
	v_mov_b32_e32 v1, 0x7c01
	s_mov_b32 s17, exec_lo
	s_delay_alu instid0(VALU_DEP_2)
	v_cmpx_ne_u32_e32 0x7f, v17
	s_cbranch_execz .LBB270_882
; %bb.879:                              ;   in Loop: Header=BB270_810 Depth=1
	v_dual_lshrrev_b32 v6, 3, v17 :: v_dual_bitop2_b32 v1, 7, v30 bitop3:0x40
	s_mov_b32 s18, exec_lo
	v_cmpx_gt_u32_e32 8, v17
; %bb.880:                              ;   in Loop: Header=BB270_810 Depth=1
	s_delay_alu instid0(VALU_DEP_2) | instskip(NEXT) | instid1(VALU_DEP_1)
	v_clz_i32_u32_e32 v1, v1
	v_min_u32_e32 v1, 32, v1
	s_delay_alu instid0(VALU_DEP_1) | instskip(NEXT) | instid1(VALU_DEP_1)
	v_subrev_nc_u32_e32 v6, 28, v1
	v_lshlrev_b64_e32 v[32:33], v6, v[30:31]
	s_delay_alu instid0(VALU_DEP_1)
	v_dual_sub_nc_u32 v6, 29, v1 :: v_dual_bitop2_b32 v1, 7, v32 bitop3:0x40
; %bb.881:                              ;   in Loop: Header=BB270_810 Depth=1
	s_or_b32 exec_lo, exec_lo, s18
	s_delay_alu instid0(VALU_DEP_1) | instskip(NEXT) | instid1(VALU_DEP_2)
	v_dual_lshlrev_b32 v17, 8, v30 :: v_dual_lshlrev_b32 v1, 7, v1
	v_lshl_add_u32 v6, v6, 10, 0x2000
	s_delay_alu instid0(VALU_DEP_2) | instskip(NEXT) | instid1(VALU_DEP_2)
	v_and_b32_e32 v17, 0x8000, v17
	v_and_b32_e32 v6, 0xfc00, v6
	s_delay_alu instid0(VALU_DEP_1)
	v_or3_b32 v1, v17, v6, v1
.LBB270_882:                            ;   in Loop: Header=BB270_810 Depth=1
	s_or_b32 exec_lo, exec_lo, s17
.LBB270_883:                            ;   in Loop: Header=BB270_810 Depth=1
	s_delay_alu instid0(SALU_CYCLE_1)
	s_or_b32 exec_lo, exec_lo, s16
.LBB270_884:                            ;   in Loop: Header=BB270_810 Depth=1
	s_delay_alu instid0(SALU_CYCLE_1) | instskip(SKIP_2) | instid1(VALU_DEP_1)
	s_or_b32 exec_lo, exec_lo, s11
	v_lshrrev_b16 v6, 8, v30
	s_mov_b32 s11, exec_lo
	v_cmpx_ne_u16_e32 0, v6
	s_cbranch_execz .LBB270_892
; %bb.885:                              ;   in Loop: Header=BB270_810 Depth=1
	v_bfrev_b32_e32 v0, 1
	s_mov_b32 s16, exec_lo
	v_cmpx_ne_u16_e32 0x80, v6
	s_cbranch_execz .LBB270_891
; %bb.886:                              ;   in Loop: Header=BB270_810 Depth=1
	v_and_b32_e32 v17, 0xffff, v6
	v_mov_b32_e32 v0, 0x7c010000
	s_mov_b32 s17, exec_lo
	s_delay_alu instid0(VALU_DEP_2) | instskip(NEXT) | instid1(VALU_DEP_1)
	v_and_b32_e32 v32, 0x7f, v17
	v_cmpx_ne_u32_e32 0x7f, v32
	s_cbranch_execz .LBB270_890
; %bb.887:                              ;   in Loop: Header=BB270_810 Depth=1
	v_dual_lshrrev_b32 v19, 3, v32 :: v_dual_bitop2_b32 v0, 7, v17 bitop3:0x40
	s_mov_b32 s18, exec_lo
	v_cmpx_gt_u32_e32 8, v32
; %bb.888:                              ;   in Loop: Header=BB270_810 Depth=1
	s_delay_alu instid0(VALU_DEP_2) | instskip(NEXT) | instid1(VALU_DEP_1)
	v_clz_i32_u32_e32 v0, v0
	v_min_u32_e32 v0, 32, v0
	s_delay_alu instid0(VALU_DEP_1) | instskip(NEXT) | instid1(VALU_DEP_1)
	v_subrev_nc_u32_e32 v19, 28, v0
	v_lshlrev_b64_e32 v[32:33], v19, v[6:7]
	v_sub_nc_u32_e32 v19, 29, v0
	s_delay_alu instid0(VALU_DEP_2)
	v_and_b32_e32 v0, 7, v32
; %bb.889:                              ;   in Loop: Header=BB270_810 Depth=1
	s_or_b32 exec_lo, exec_lo, s18
	s_delay_alu instid0(VALU_DEP_1) | instskip(NEXT) | instid1(VALU_DEP_3)
	v_dual_lshlrev_b32 v6, 8, v17 :: v_dual_lshlrev_b32 v0, 23, v0
	v_lshl_add_u32 v17, v19, 10, 0x2000
	s_delay_alu instid0(VALU_DEP_1) | instskip(NEXT) | instid1(VALU_DEP_1)
	v_and_or_b32 v6, 0x8000, v6, v17
	v_lshl_or_b32 v0, v6, 16, v0
.LBB270_890:                            ;   in Loop: Header=BB270_810 Depth=1
	s_or_b32 exec_lo, exec_lo, s17
.LBB270_891:                            ;   in Loop: Header=BB270_810 Depth=1
	s_delay_alu instid0(SALU_CYCLE_1)
	s_or_b32 exec_lo, exec_lo, s16
.LBB270_892:                            ;   in Loop: Header=BB270_810 Depth=1
	s_delay_alu instid0(SALU_CYCLE_1) | instskip(SKIP_3) | instid1(VALU_DEP_2)
	s_or_b32 exec_lo, exec_lo, s11
	v_dual_mov_b32 v17, 0 :: v_dual_lshrrev_b32 v6, 16, v30
	v_mov_b32_e32 v19, 0
	s_mov_b32 s11, exec_lo
	v_and_b32_e32 v32, 0xff, v6
	s_delay_alu instid0(VALU_DEP_1)
	v_cmpx_ne_u16_e32 0, v32
	s_cbranch_execz .LBB270_900
; %bb.893:                              ;   in Loop: Header=BB270_810 Depth=1
	v_mov_b32_e32 v19, 0x8000
	s_mov_b32 s16, exec_lo
	v_cmpx_ne_u16_e32 0x80, v32
	s_cbranch_execz .LBB270_899
; %bb.894:                              ;   in Loop: Header=BB270_810 Depth=1
	v_bfe_u32 v33, v30, 16, 7
	v_mov_b32_e32 v19, 0x7c01
	s_mov_b32 s17, exec_lo
	s_delay_alu instid0(VALU_DEP_2)
	v_cmpx_ne_u32_e32 0x7f, v33
	s_cbranch_execz .LBB270_898
; %bb.895:                              ;   in Loop: Header=BB270_810 Depth=1
	v_dual_lshrrev_b32 v32, 3, v33 :: v_dual_bitop2_b32 v19, 7, v6 bitop3:0x40
	s_mov_b32 s18, exec_lo
	v_cmpx_gt_u32_e32 8, v33
; %bb.896:                              ;   in Loop: Header=BB270_810 Depth=1
	s_delay_alu instid0(VALU_DEP_2) | instskip(NEXT) | instid1(VALU_DEP_1)
	v_clz_i32_u32_e32 v19, v19
	v_min_u32_e32 v19, 32, v19
	s_delay_alu instid0(VALU_DEP_1) | instskip(NEXT) | instid1(VALU_DEP_1)
	v_subrev_nc_u32_e32 v32, 28, v19
	v_lshlrev_b64_e32 v[34:35], v32, v[6:7]
	s_delay_alu instid0(VALU_DEP_1)
	v_dual_sub_nc_u32 v32, 29, v19 :: v_dual_bitop2_b32 v19, 7, v34 bitop3:0x40
; %bb.897:                              ;   in Loop: Header=BB270_810 Depth=1
	s_or_b32 exec_lo, exec_lo, s18
	s_delay_alu instid0(VALU_DEP_1) | instskip(NEXT) | instid1(VALU_DEP_2)
	v_dual_lshlrev_b32 v6, 8, v6 :: v_dual_lshlrev_b32 v19, 7, v19
	v_lshl_add_u32 v32, v32, 10, 0x2000
	s_delay_alu instid0(VALU_DEP_2) | instskip(NEXT) | instid1(VALU_DEP_2)
	v_and_b32_e32 v6, 0x8000, v6
	v_and_b32_e32 v32, 0xfc00, v32
	s_delay_alu instid0(VALU_DEP_1)
	v_or3_b32 v19, v6, v32, v19
.LBB270_898:                            ;   in Loop: Header=BB270_810 Depth=1
	s_or_b32 exec_lo, exec_lo, s17
.LBB270_899:                            ;   in Loop: Header=BB270_810 Depth=1
	s_delay_alu instid0(SALU_CYCLE_1)
	s_or_b32 exec_lo, exec_lo, s16
.LBB270_900:                            ;   in Loop: Header=BB270_810 Depth=1
	s_delay_alu instid0(SALU_CYCLE_1) | instskip(NEXT) | instid1(SALU_CYCLE_1)
	s_or_b32 exec_lo, exec_lo, s11
	s_mov_b32 s11, exec_lo
	v_cmpx_lt_u32_e32 0xffffff, v30
	s_cbranch_execz .LBB270_908
; %bb.901:                              ;   in Loop: Header=BB270_810 Depth=1
	v_lshrrev_b32_e32 v6, 24, v30
	v_bfrev_b32_e32 v17, 1
	s_mov_b32 s16, exec_lo
	s_delay_alu instid0(VALU_DEP_2)
	v_cmpx_ne_u32_e32 0x80, v6
	s_cbranch_execz .LBB270_907
; %bb.902:                              ;   in Loop: Header=BB270_810 Depth=1
	v_and_b32_e32 v33, 0x7f, v6
	v_mov_b32_e32 v17, 0x7c010000
	s_mov_b32 s17, exec_lo
	s_delay_alu instid0(VALU_DEP_2)
	v_cmpx_ne_u32_e32 0x7f, v33
	s_cbranch_execz .LBB270_906
; %bb.903:                              ;   in Loop: Header=BB270_810 Depth=1
	v_dual_lshrrev_b32 v32, 3, v33 :: v_dual_bitop2_b32 v17, 7, v6 bitop3:0x40
	s_mov_b32 s18, exec_lo
	v_cmpx_gt_u32_e32 8, v33
; %bb.904:                              ;   in Loop: Header=BB270_810 Depth=1
	s_delay_alu instid0(VALU_DEP_2) | instskip(NEXT) | instid1(VALU_DEP_1)
	v_clz_i32_u32_e32 v17, v17
	v_min_u32_e32 v17, 32, v17
	s_delay_alu instid0(VALU_DEP_1) | instskip(NEXT) | instid1(VALU_DEP_1)
	v_subrev_nc_u32_e32 v32, 28, v17
	v_lshlrev_b64_e32 v[34:35], v32, v[6:7]
	s_delay_alu instid0(VALU_DEP_1)
	v_dual_sub_nc_u32 v32, 29, v17 :: v_dual_bitop2_b32 v17, 7, v34 bitop3:0x40
; %bb.905:                              ;   in Loop: Header=BB270_810 Depth=1
	s_or_b32 exec_lo, exec_lo, s18
	s_delay_alu instid0(VALU_DEP_1) | instskip(NEXT) | instid1(VALU_DEP_2)
	v_dual_lshlrev_b32 v6, 8, v6 :: v_dual_lshlrev_b32 v17, 23, v17
	v_lshl_add_u32 v32, v32, 10, 0x2000
	s_delay_alu instid0(VALU_DEP_1) | instskip(NEXT) | instid1(VALU_DEP_1)
	v_and_or_b32 v6, 0x8000, v6, v32
	v_lshl_or_b32 v17, v6, 16, v17
.LBB270_906:                            ;   in Loop: Header=BB270_810 Depth=1
	s_or_b32 exec_lo, exec_lo, s17
.LBB270_907:                            ;   in Loop: Header=BB270_810 Depth=1
	s_delay_alu instid0(SALU_CYCLE_1)
	s_or_b32 exec_lo, exec_lo, s16
.LBB270_908:                            ;   in Loop: Header=BB270_810 Depth=1
	s_delay_alu instid0(SALU_CYCLE_1) | instskip(SKIP_4) | instid1(VALU_DEP_3)
	s_or_b32 exec_lo, exec_lo, s11
	v_and_b32_e32 v34, 0xff, v31
	v_dual_mov_b32 v6, v31 :: v_dual_mov_b32 v33, 0
	v_mov_b32_e32 v32, 0
	s_mov_b32 s11, exec_lo
	v_cmpx_ne_u16_e32 0, v34
	s_cbranch_execz .LBB270_916
; %bb.909:                              ;   in Loop: Header=BB270_810 Depth=1
	v_mov_b32_e32 v32, 0x8000
	s_mov_b32 s16, exec_lo
	v_cmpx_ne_u16_e32 0x80, v34
	s_cbranch_execz .LBB270_915
; %bb.910:                              ;   in Loop: Header=BB270_810 Depth=1
	v_and_b32_e32 v35, 0x7f, v31
	v_mov_b32_e32 v32, 0x7c01
	s_mov_b32 s17, exec_lo
	s_delay_alu instid0(VALU_DEP_2)
	v_cmpx_ne_u32_e32 0x7f, v35
	s_cbranch_execz .LBB270_914
; %bb.911:                              ;   in Loop: Header=BB270_810 Depth=1
	v_and_b32_e32 v32, 7, v31
	v_lshrrev_b32_e32 v34, 3, v35
	s_mov_b32 s18, exec_lo
	v_cmpx_gt_u32_e32 8, v35
; %bb.912:                              ;   in Loop: Header=BB270_810 Depth=1
	s_delay_alu instid0(VALU_DEP_3) | instskip(NEXT) | instid1(VALU_DEP_1)
	v_clz_i32_u32_e32 v32, v32
	v_min_u32_e32 v32, 32, v32
	s_delay_alu instid0(VALU_DEP_1) | instskip(NEXT) | instid1(VALU_DEP_1)
	v_subrev_nc_u32_e32 v34, 28, v32
	v_lshlrev_b64_e32 v[36:37], v34, v[6:7]
	v_sub_nc_u32_e32 v34, 29, v32
	s_delay_alu instid0(VALU_DEP_2)
	v_and_b32_e32 v32, 7, v36
; %bb.913:                              ;   in Loop: Header=BB270_810 Depth=1
	s_or_b32 exec_lo, exec_lo, s18
	s_delay_alu instid0(VALU_DEP_1) | instskip(NEXT) | instid1(VALU_DEP_3)
	v_dual_lshlrev_b32 v35, 8, v31 :: v_dual_lshlrev_b32 v32, 7, v32
	v_lshl_add_u32 v34, v34, 10, 0x2000
	s_delay_alu instid0(VALU_DEP_2) | instskip(NEXT) | instid1(VALU_DEP_2)
	v_and_b32_e32 v35, 0x8000, v35
	v_and_b32_e32 v34, 0xfc00, v34
	s_delay_alu instid0(VALU_DEP_1)
	v_or3_b32 v32, v35, v34, v32
.LBB270_914:                            ;   in Loop: Header=BB270_810 Depth=1
	s_or_b32 exec_lo, exec_lo, s17
.LBB270_915:                            ;   in Loop: Header=BB270_810 Depth=1
	s_delay_alu instid0(SALU_CYCLE_1)
	s_or_b32 exec_lo, exec_lo, s16
.LBB270_916:                            ;   in Loop: Header=BB270_810 Depth=1
	s_delay_alu instid0(SALU_CYCLE_1) | instskip(SKIP_3) | instid1(VALU_DEP_2)
	s_or_b32 exec_lo, exec_lo, s11
	v_lshrrev_b16 v6, 8, v6
	v_mov_b32_e32 v34, 0
	s_mov_b32 s11, exec_lo
	v_cmpx_ne_u16_e32 0, v6
	s_cbranch_execz .LBB270_924
; %bb.917:                              ;   in Loop: Header=BB270_810 Depth=1
	v_bfrev_b32_e32 v34, 1
	s_mov_b32 s16, exec_lo
	v_cmpx_ne_u16_e32 0x80, v6
	s_cbranch_execz .LBB270_923
; %bb.918:                              ;   in Loop: Header=BB270_810 Depth=1
	v_and_b32_e32 v35, 0xffff, v6
	v_mov_b32_e32 v34, 0x7c010000
	s_mov_b32 s17, exec_lo
	s_delay_alu instid0(VALU_DEP_2) | instskip(NEXT) | instid1(VALU_DEP_1)
	v_and_b32_e32 v37, 0x7f, v35
	v_cmpx_ne_u32_e32 0x7f, v37
	s_cbranch_execz .LBB270_922
; %bb.919:                              ;   in Loop: Header=BB270_810 Depth=1
	v_dual_lshrrev_b32 v36, 3, v37 :: v_dual_bitop2_b32 v34, 7, v35 bitop3:0x40
	s_mov_b32 s18, exec_lo
	v_cmpx_gt_u32_e32 8, v37
; %bb.920:                              ;   in Loop: Header=BB270_810 Depth=1
	s_delay_alu instid0(VALU_DEP_2) | instskip(NEXT) | instid1(VALU_DEP_1)
	v_clz_i32_u32_e32 v34, v34
	v_min_u32_e32 v34, 32, v34
	s_delay_alu instid0(VALU_DEP_1) | instskip(NEXT) | instid1(VALU_DEP_1)
	v_subrev_nc_u32_e32 v36, 28, v34
	v_lshlrev_b64_e32 v[84:85], v36, v[6:7]
	s_delay_alu instid0(VALU_DEP_1)
	v_dual_sub_nc_u32 v36, 29, v34 :: v_dual_bitop2_b32 v34, 7, v84 bitop3:0x40
; %bb.921:                              ;   in Loop: Header=BB270_810 Depth=1
	s_or_b32 exec_lo, exec_lo, s18
	s_delay_alu instid0(VALU_DEP_1) | instskip(NEXT) | instid1(VALU_DEP_2)
	v_dual_lshlrev_b32 v6, 8, v35 :: v_dual_lshlrev_b32 v34, 23, v34
	v_lshl_add_u32 v35, v36, 10, 0x2000
	s_delay_alu instid0(VALU_DEP_1) | instskip(NEXT) | instid1(VALU_DEP_1)
	v_and_or_b32 v6, 0x8000, v6, v35
	v_lshl_or_b32 v34, v6, 16, v34
.LBB270_922:                            ;   in Loop: Header=BB270_810 Depth=1
	s_or_b32 exec_lo, exec_lo, s17
.LBB270_923:                            ;   in Loop: Header=BB270_810 Depth=1
	s_delay_alu instid0(SALU_CYCLE_1)
	s_or_b32 exec_lo, exec_lo, s16
.LBB270_924:                            ;   in Loop: Header=BB270_810 Depth=1
	s_delay_alu instid0(SALU_CYCLE_1) | instskip(SKIP_2) | instid1(VALU_DEP_1)
	s_or_b32 exec_lo, exec_lo, s11
	v_lshrrev_b32_e32 v6, 16, v31
	s_mov_b32 s11, exec_lo
	v_and_b32_e32 v35, 0xff, v6
	s_delay_alu instid0(VALU_DEP_1)
	v_cmpx_ne_u16_e32 0, v35
	s_cbranch_execz .LBB270_932
; %bb.925:                              ;   in Loop: Header=BB270_810 Depth=1
	v_mov_b32_e32 v33, 0x8000
	s_mov_b32 s16, exec_lo
	v_cmpx_ne_u16_e32 0x80, v35
	s_cbranch_execz .LBB270_931
; %bb.926:                              ;   in Loop: Header=BB270_810 Depth=1
	v_bfe_u32 v36, v31, 16, 7
	v_mov_b32_e32 v33, 0x7c01
	s_mov_b32 s17, exec_lo
	s_delay_alu instid0(VALU_DEP_2)
	v_cmpx_ne_u32_e32 0x7f, v36
	s_cbranch_execz .LBB270_930
; %bb.927:                              ;   in Loop: Header=BB270_810 Depth=1
	v_dual_lshrrev_b32 v35, 3, v36 :: v_dual_bitop2_b32 v33, 7, v6 bitop3:0x40
	s_mov_b32 s18, exec_lo
	v_cmpx_gt_u32_e32 8, v36
; %bb.928:                              ;   in Loop: Header=BB270_810 Depth=1
	s_delay_alu instid0(VALU_DEP_2) | instskip(NEXT) | instid1(VALU_DEP_1)
	v_clz_i32_u32_e32 v33, v33
	v_min_u32_e32 v33, 32, v33
	s_delay_alu instid0(VALU_DEP_1) | instskip(NEXT) | instid1(VALU_DEP_1)
	v_subrev_nc_u32_e32 v35, 28, v33
	v_lshlrev_b64_e32 v[36:37], v35, v[6:7]
	s_delay_alu instid0(VALU_DEP_1)
	v_dual_sub_nc_u32 v35, 29, v33 :: v_dual_bitop2_b32 v33, 7, v36 bitop3:0x40
; %bb.929:                              ;   in Loop: Header=BB270_810 Depth=1
	s_or_b32 exec_lo, exec_lo, s18
	s_delay_alu instid0(VALU_DEP_1) | instskip(NEXT) | instid1(VALU_DEP_2)
	v_dual_lshlrev_b32 v6, 8, v6 :: v_dual_lshlrev_b32 v33, 7, v33
	v_lshl_add_u32 v35, v35, 10, 0x2000
	s_delay_alu instid0(VALU_DEP_2) | instskip(NEXT) | instid1(VALU_DEP_2)
	v_and_b32_e32 v6, 0x8000, v6
	v_and_b32_e32 v35, 0xfc00, v35
	s_delay_alu instid0(VALU_DEP_1)
	v_or3_b32 v33, v6, v35, v33
.LBB270_930:                            ;   in Loop: Header=BB270_810 Depth=1
	s_or_b32 exec_lo, exec_lo, s17
.LBB270_931:                            ;   in Loop: Header=BB270_810 Depth=1
	s_delay_alu instid0(SALU_CYCLE_1)
	s_or_b32 exec_lo, exec_lo, s16
.LBB270_932:                            ;   in Loop: Header=BB270_810 Depth=1
	s_delay_alu instid0(SALU_CYCLE_1)
	s_or_b32 exec_lo, exec_lo, s11
	v_cmp_lt_u64_e64 s0, s[2:3], v[30:31]
	v_mov_b32_e32 v30, 0
	s_and_saveexec_b32 s11, s0
	s_cbranch_execz .LBB270_940
; %bb.933:                              ;   in Loop: Header=BB270_810 Depth=1
	v_lshrrev_b32_e32 v6, 24, v31
	v_bfrev_b32_e32 v30, 1
	s_mov_b32 s16, exec_lo
	s_delay_alu instid0(VALU_DEP_2)
	v_cmpx_ne_u32_e32 0x80, v6
	s_cbranch_execz .LBB270_939
; %bb.934:                              ;   in Loop: Header=BB270_810 Depth=1
	v_and_b32_e32 v35, 0x7f, v6
	v_mov_b32_e32 v30, 0x7c010000
	s_mov_b32 s17, exec_lo
	s_delay_alu instid0(VALU_DEP_2)
	v_cmpx_ne_u32_e32 0x7f, v35
	s_cbranch_execz .LBB270_938
; %bb.935:                              ;   in Loop: Header=BB270_810 Depth=1
	v_dual_lshrrev_b32 v31, 3, v35 :: v_dual_bitop2_b32 v30, 7, v6 bitop3:0x40
	s_mov_b32 s18, exec_lo
	v_cmpx_gt_u32_e32 8, v35
; %bb.936:                              ;   in Loop: Header=BB270_810 Depth=1
	s_delay_alu instid0(VALU_DEP_2) | instskip(NEXT) | instid1(VALU_DEP_1)
	v_clz_i32_u32_e32 v30, v30
	v_min_u32_e32 v35, 32, v30
	s_delay_alu instid0(VALU_DEP_1) | instskip(NEXT) | instid1(VALU_DEP_1)
	v_subrev_nc_u32_e32 v30, 28, v35
	v_lshlrev_b64_e32 v[30:31], v30, v[6:7]
	s_delay_alu instid0(VALU_DEP_1)
	v_dual_sub_nc_u32 v31, 29, v35 :: v_dual_bitop2_b32 v30, 7, v30 bitop3:0x40
; %bb.937:                              ;   in Loop: Header=BB270_810 Depth=1
	s_or_b32 exec_lo, exec_lo, s18
	v_lshlrev_b32_e32 v6, 8, v6
	s_delay_alu instid0(VALU_DEP_2) | instskip(NEXT) | instid1(VALU_DEP_3)
	v_lshl_add_u32 v31, v31, 10, 0x2000
	v_lshlrev_b32_e32 v30, 23, v30
	s_delay_alu instid0(VALU_DEP_2) | instskip(NEXT) | instid1(VALU_DEP_1)
	v_and_or_b32 v6, 0x8000, v6, v31
	v_lshl_or_b32 v30, v6, 16, v30
.LBB270_938:                            ;   in Loop: Header=BB270_810 Depth=1
	s_or_b32 exec_lo, exec_lo, s17
.LBB270_939:                            ;   in Loop: Header=BB270_810 Depth=1
	s_delay_alu instid0(SALU_CYCLE_1)
	s_or_b32 exec_lo, exec_lo, s16
.LBB270_940:                            ;   in Loop: Header=BB270_810 Depth=1
	s_delay_alu instid0(SALU_CYCLE_1) | instskip(SKIP_3) | instid1(VALU_DEP_3)
	s_or_b32 exec_lo, exec_lo, s11
	v_dual_lshrrev_b32 v6, 16, v0 :: v_dual_lshrrev_b32 v31, 16, v17
	v_or_b32_e32 v35, v0, v1
	v_dual_lshrrev_b32 v36, 16, v30 :: v_dual_bitop2_b32 v17, v17, v19 bitop3:0x54
	v_cvt_f32_f16_e32 v1, v6
	s_delay_alu instid0(VALU_DEP_4) | instskip(SKIP_1) | instid1(VALU_DEP_4)
	v_cvt_f32_f16_e32 v0, v31
	v_dual_lshrrev_b32 v19, 16, v34 :: v_dual_bitop2_b32 v6, v30, v33 bitop3:0x54
	v_cvt_f32_f16_e32 v30, v17
	v_cvt_f32_f16_e32 v31, v35
	s_wait_loadcnt_dscnt 0x0
	v_pk_mul_f32 v[0:1], v[16:17], v[0:1] op_sel_hi:[0,1]
	v_or_b32_e32 v17, v34, v32
	v_cvt_f32_f16_e32 v33, v19
	v_cvt_f32_f16_e32 v32, v36
	s_delay_alu instid0(VALU_DEP_3) | instskip(NEXT) | instid1(VALU_DEP_1)
	v_pk_mul_f32 v[30:31], v[16:17], v[30:31] op_sel_hi:[0,1]
	v_cvt_pk_f16_f32 v19, v30, v31
	s_delay_alu instid0(VALU_DEP_1) | instskip(SKIP_3) | instid1(VALU_DEP_2)
	v_lshrrev_b32_e32 v37, 16, v19
	v_cvt_f32_f16_e32 v34, v6
	v_cvt_pk_f16_f32 v6, v0, v1
	v_and_b32_e32 v36, 0xffff, v19
	v_lshlrev_b32_e32 v30, 16, v6
	v_cvt_f32_f16_e32 v35, v17
	v_pk_mul_f32 v[0:1], v[16:17], v[32:33] op_sel_hi:[0,1]
	v_and_b32_e32 v31, 0xffff0000, v6
	s_delay_alu instid0(VALU_DEP_3) | instskip(NEXT) | instid1(VALU_DEP_3)
	v_pk_mul_f32 v[16:17], v[16:17], v[34:35] op_sel_hi:[0,1]
	v_cvt_pk_f16_f32 v0, v0, v1
	s_delay_alu instid0(VALU_DEP_3) | instskip(SKIP_1) | instid1(VALU_DEP_4)
	v_or_b32_e32 v35, v31, v37
	v_or_b32_e32 v34, v30, v36
	v_cvt_pk_f16_f32 v1, v16, v17
	s_delay_alu instid0(VALU_DEP_4) | instskip(NEXT) | instid1(VALU_DEP_2)
	v_and_b32_e32 v17, 0xffff0000, v0
	v_dual_lshlrev_b32 v6, 16, v0 :: v_dual_lshrrev_b32 v19, 16, v1
	v_and_b32_e32 v16, 0xffff, v1
	s_delay_alu instid0(VALU_DEP_2) | instskip(NEXT) | instid1(VALU_DEP_2)
	v_or_b32_e32 v33, v17, v19
	v_or_b32_e32 v32, v6, v16
	s_and_saveexec_b32 s11, vcc_lo
	s_cbranch_execz .LBB270_942
; %bb.941:                              ;   in Loop: Header=BB270_810 Depth=1
	v_cmp_lt_i32_e64 s0, v54, v13
	s_delay_alu instid0(VALU_DEP_1) | instskip(SKIP_1) | instid1(VALU_DEP_1)
	v_cndmask_b32_e64 v0, 0, v37, s0
	v_cmp_lt_i32_e64 s0, v71, v12
	v_cndmask_b32_e64 v1, 0, v36, s0
	v_cmp_lt_i32_e64 s0, v70, v13
	s_delay_alu instid0(VALU_DEP_1) | instskip(SKIP_1) | instid1(VALU_DEP_1)
	v_cndmask_b32_e64 v31, 0, v31, s0
	v_cmp_lt_i32_e64 s0, v69, v12
	v_cndmask_b32_e64 v30, 0, v30, s0
	v_cmp_lt_i32_e64 s0, v68, v13
	s_delay_alu instid0(VALU_DEP_4) | instskip(NEXT) | instid1(VALU_DEP_2)
	v_or_b32_e32 v35, v0, v31
	v_dual_cndmask_b32 v19, 0, v19, s0 :: v_dual_bitop2_b32 v34, v1, v30 bitop3:0x54
	v_cmp_lt_i32_e64 s0, v67, v12
	s_delay_alu instid0(VALU_DEP_1) | instskip(SKIP_1) | instid1(VALU_DEP_1)
	v_cndmask_b32_e64 v16, 0, v16, s0
	v_cmp_lt_i32_e64 s0, v66, v13
	v_cndmask_b32_e64 v17, 0, v17, s0
	v_cmp_lt_i32_e64 s0, v65, v12
	s_delay_alu instid0(VALU_DEP_1) | instskip(NEXT) | instid1(VALU_DEP_1)
	v_dual_cndmask_b32 v6, 0, v6, s0 :: v_dual_bitop2_b32 v33, v19, v17 bitop3:0x54
	v_or_b32_e32 v32, v16, v6
.LBB270_942:                            ;   in Loop: Header=BB270_810 Depth=1
	s_or_b32 exec_lo, exec_lo, s11
	;;#ASMSTART
	v_pk_mul_f16 v0, v80, v35;

	;;#ASMEND
	;;#ASMSTART
	v_pk_mul_f16 v1, v49, v34;

	;;#ASMEND
	;; [unrolled: 4-line block ×4, first 2 shown]
	;;#ASMSTART
	v_pk_add_f16 v0, v0, v1;

	;;#ASMEND
	;;#ASMSTART
	v_pk_add_f16 v0, v0, v6;

	;;#ASMEND
	;;#ASMSTART
	v_pk_add_f16 v0, v0, v16;

	;;#ASMEND
	v_and_b32_e32 v1, 0xffff, v0
	v_lshrrev_b32_e32 v0, 16, v0
	;;#ASMSTART
	v_cvt_f32_f16 v83, v1;
	;;#ASMEND
	v_mov_b32_e32 v1, 0
	;;#ASMSTART
	v_cvt_f32_f16 v84, v0;
	;;#ASMEND
	flat_load_b64 v[30:31], v[10:11] offset:512
	flat_load_b32 v16, v[22:23]
	v_mov_b32_e32 v0, 0
	s_mov_b32 s11, exec_lo
	s_wait_loadcnt_dscnt 0x101
	v_and_b32_e32 v6, 0xff, v30
	s_wait_xcnt 0x0
	s_delay_alu instid0(VALU_DEP_1)
	v_cmpx_ne_u16_e32 0, v6
	s_cbranch_execz .LBB270_950
; %bb.943:                              ;   in Loop: Header=BB270_810 Depth=1
	v_mov_b32_e32 v1, 0x8000
	s_mov_b32 s16, exec_lo
	v_cmpx_ne_u16_e32 0x80, v6
	s_cbranch_execz .LBB270_949
; %bb.944:                              ;   in Loop: Header=BB270_810 Depth=1
	v_and_b32_e32 v17, 0x7f, v30
	v_mov_b32_e32 v1, 0x7c01
	s_mov_b32 s17, exec_lo
	s_delay_alu instid0(VALU_DEP_2)
	v_cmpx_ne_u32_e32 0x7f, v17
	s_cbranch_execz .LBB270_948
; %bb.945:                              ;   in Loop: Header=BB270_810 Depth=1
	v_dual_lshrrev_b32 v6, 3, v17 :: v_dual_bitop2_b32 v1, 7, v30 bitop3:0x40
	s_mov_b32 s18, exec_lo
	v_cmpx_gt_u32_e32 8, v17
; %bb.946:                              ;   in Loop: Header=BB270_810 Depth=1
	s_delay_alu instid0(VALU_DEP_2) | instskip(NEXT) | instid1(VALU_DEP_1)
	v_clz_i32_u32_e32 v1, v1
	v_min_u32_e32 v1, 32, v1
	s_delay_alu instid0(VALU_DEP_1) | instskip(NEXT) | instid1(VALU_DEP_1)
	v_subrev_nc_u32_e32 v6, 28, v1
	v_lshlrev_b64_e32 v[32:33], v6, v[30:31]
	s_delay_alu instid0(VALU_DEP_1)
	v_dual_sub_nc_u32 v6, 29, v1 :: v_dual_bitop2_b32 v1, 7, v32 bitop3:0x40
; %bb.947:                              ;   in Loop: Header=BB270_810 Depth=1
	s_or_b32 exec_lo, exec_lo, s18
	s_delay_alu instid0(VALU_DEP_1) | instskip(NEXT) | instid1(VALU_DEP_2)
	v_dual_lshlrev_b32 v17, 8, v30 :: v_dual_lshlrev_b32 v1, 7, v1
	v_lshl_add_u32 v6, v6, 10, 0x2000
	s_delay_alu instid0(VALU_DEP_2) | instskip(NEXT) | instid1(VALU_DEP_2)
	v_and_b32_e32 v17, 0x8000, v17
	v_and_b32_e32 v6, 0xfc00, v6
	s_delay_alu instid0(VALU_DEP_1)
	v_or3_b32 v1, v17, v6, v1
.LBB270_948:                            ;   in Loop: Header=BB270_810 Depth=1
	s_or_b32 exec_lo, exec_lo, s17
.LBB270_949:                            ;   in Loop: Header=BB270_810 Depth=1
	s_delay_alu instid0(SALU_CYCLE_1)
	s_or_b32 exec_lo, exec_lo, s16
.LBB270_950:                            ;   in Loop: Header=BB270_810 Depth=1
	s_delay_alu instid0(SALU_CYCLE_1) | instskip(SKIP_2) | instid1(VALU_DEP_1)
	s_or_b32 exec_lo, exec_lo, s11
	v_lshrrev_b16 v6, 8, v30
	s_mov_b32 s11, exec_lo
	v_cmpx_ne_u16_e32 0, v6
	s_cbranch_execz .LBB270_958
; %bb.951:                              ;   in Loop: Header=BB270_810 Depth=1
	v_bfrev_b32_e32 v0, 1
	s_mov_b32 s16, exec_lo
	v_cmpx_ne_u16_e32 0x80, v6
	s_cbranch_execz .LBB270_957
; %bb.952:                              ;   in Loop: Header=BB270_810 Depth=1
	v_and_b32_e32 v17, 0xffff, v6
	v_mov_b32_e32 v0, 0x7c010000
	s_mov_b32 s17, exec_lo
	s_delay_alu instid0(VALU_DEP_2) | instskip(NEXT) | instid1(VALU_DEP_1)
	v_and_b32_e32 v32, 0x7f, v17
	v_cmpx_ne_u32_e32 0x7f, v32
	s_cbranch_execz .LBB270_956
; %bb.953:                              ;   in Loop: Header=BB270_810 Depth=1
	v_dual_lshrrev_b32 v19, 3, v32 :: v_dual_bitop2_b32 v0, 7, v17 bitop3:0x40
	s_mov_b32 s18, exec_lo
	v_cmpx_gt_u32_e32 8, v32
; %bb.954:                              ;   in Loop: Header=BB270_810 Depth=1
	s_delay_alu instid0(VALU_DEP_2) | instskip(NEXT) | instid1(VALU_DEP_1)
	v_clz_i32_u32_e32 v0, v0
	v_min_u32_e32 v0, 32, v0
	s_delay_alu instid0(VALU_DEP_1) | instskip(NEXT) | instid1(VALU_DEP_1)
	v_subrev_nc_u32_e32 v19, 28, v0
	v_lshlrev_b64_e32 v[32:33], v19, v[6:7]
	v_sub_nc_u32_e32 v19, 29, v0
	s_delay_alu instid0(VALU_DEP_2)
	v_and_b32_e32 v0, 7, v32
; %bb.955:                              ;   in Loop: Header=BB270_810 Depth=1
	s_or_b32 exec_lo, exec_lo, s18
	s_delay_alu instid0(VALU_DEP_1) | instskip(NEXT) | instid1(VALU_DEP_3)
	v_dual_lshlrev_b32 v6, 8, v17 :: v_dual_lshlrev_b32 v0, 23, v0
	v_lshl_add_u32 v17, v19, 10, 0x2000
	s_delay_alu instid0(VALU_DEP_1) | instskip(NEXT) | instid1(VALU_DEP_1)
	v_and_or_b32 v6, 0x8000, v6, v17
	v_lshl_or_b32 v0, v6, 16, v0
.LBB270_956:                            ;   in Loop: Header=BB270_810 Depth=1
	s_or_b32 exec_lo, exec_lo, s17
.LBB270_957:                            ;   in Loop: Header=BB270_810 Depth=1
	s_delay_alu instid0(SALU_CYCLE_1)
	s_or_b32 exec_lo, exec_lo, s16
.LBB270_958:                            ;   in Loop: Header=BB270_810 Depth=1
	s_delay_alu instid0(SALU_CYCLE_1) | instskip(SKIP_3) | instid1(VALU_DEP_2)
	s_or_b32 exec_lo, exec_lo, s11
	v_dual_mov_b32 v17, 0 :: v_dual_lshrrev_b32 v6, 16, v30
	v_mov_b32_e32 v19, 0
	s_mov_b32 s11, exec_lo
	v_and_b32_e32 v32, 0xff, v6
	s_delay_alu instid0(VALU_DEP_1)
	v_cmpx_ne_u16_e32 0, v32
	s_cbranch_execz .LBB270_966
; %bb.959:                              ;   in Loop: Header=BB270_810 Depth=1
	v_mov_b32_e32 v19, 0x8000
	s_mov_b32 s16, exec_lo
	v_cmpx_ne_u16_e32 0x80, v32
	s_cbranch_execz .LBB270_965
; %bb.960:                              ;   in Loop: Header=BB270_810 Depth=1
	v_bfe_u32 v33, v30, 16, 7
	v_mov_b32_e32 v19, 0x7c01
	s_mov_b32 s17, exec_lo
	s_delay_alu instid0(VALU_DEP_2)
	v_cmpx_ne_u32_e32 0x7f, v33
	s_cbranch_execz .LBB270_964
; %bb.961:                              ;   in Loop: Header=BB270_810 Depth=1
	v_dual_lshrrev_b32 v32, 3, v33 :: v_dual_bitop2_b32 v19, 7, v6 bitop3:0x40
	s_mov_b32 s18, exec_lo
	v_cmpx_gt_u32_e32 8, v33
; %bb.962:                              ;   in Loop: Header=BB270_810 Depth=1
	s_delay_alu instid0(VALU_DEP_2) | instskip(NEXT) | instid1(VALU_DEP_1)
	v_clz_i32_u32_e32 v19, v19
	v_min_u32_e32 v19, 32, v19
	s_delay_alu instid0(VALU_DEP_1) | instskip(NEXT) | instid1(VALU_DEP_1)
	v_subrev_nc_u32_e32 v32, 28, v19
	v_lshlrev_b64_e32 v[34:35], v32, v[6:7]
	s_delay_alu instid0(VALU_DEP_1)
	v_dual_sub_nc_u32 v32, 29, v19 :: v_dual_bitop2_b32 v19, 7, v34 bitop3:0x40
; %bb.963:                              ;   in Loop: Header=BB270_810 Depth=1
	s_or_b32 exec_lo, exec_lo, s18
	s_delay_alu instid0(VALU_DEP_1) | instskip(NEXT) | instid1(VALU_DEP_2)
	v_dual_lshlrev_b32 v6, 8, v6 :: v_dual_lshlrev_b32 v19, 7, v19
	v_lshl_add_u32 v32, v32, 10, 0x2000
	s_delay_alu instid0(VALU_DEP_2) | instskip(NEXT) | instid1(VALU_DEP_2)
	v_and_b32_e32 v6, 0x8000, v6
	v_and_b32_e32 v32, 0xfc00, v32
	s_delay_alu instid0(VALU_DEP_1)
	v_or3_b32 v19, v6, v32, v19
.LBB270_964:                            ;   in Loop: Header=BB270_810 Depth=1
	s_or_b32 exec_lo, exec_lo, s17
.LBB270_965:                            ;   in Loop: Header=BB270_810 Depth=1
	s_delay_alu instid0(SALU_CYCLE_1)
	s_or_b32 exec_lo, exec_lo, s16
.LBB270_966:                            ;   in Loop: Header=BB270_810 Depth=1
	s_delay_alu instid0(SALU_CYCLE_1) | instskip(NEXT) | instid1(SALU_CYCLE_1)
	s_or_b32 exec_lo, exec_lo, s11
	s_mov_b32 s11, exec_lo
	v_cmpx_lt_u32_e32 0xffffff, v30
	s_cbranch_execz .LBB270_974
; %bb.967:                              ;   in Loop: Header=BB270_810 Depth=1
	v_lshrrev_b32_e32 v6, 24, v30
	v_bfrev_b32_e32 v17, 1
	s_mov_b32 s16, exec_lo
	s_delay_alu instid0(VALU_DEP_2)
	v_cmpx_ne_u32_e32 0x80, v6
	s_cbranch_execz .LBB270_973
; %bb.968:                              ;   in Loop: Header=BB270_810 Depth=1
	v_and_b32_e32 v33, 0x7f, v6
	v_mov_b32_e32 v17, 0x7c010000
	s_mov_b32 s17, exec_lo
	s_delay_alu instid0(VALU_DEP_2)
	v_cmpx_ne_u32_e32 0x7f, v33
	s_cbranch_execz .LBB270_972
; %bb.969:                              ;   in Loop: Header=BB270_810 Depth=1
	v_dual_lshrrev_b32 v32, 3, v33 :: v_dual_bitop2_b32 v17, 7, v6 bitop3:0x40
	s_mov_b32 s18, exec_lo
	v_cmpx_gt_u32_e32 8, v33
; %bb.970:                              ;   in Loop: Header=BB270_810 Depth=1
	s_delay_alu instid0(VALU_DEP_2) | instskip(NEXT) | instid1(VALU_DEP_1)
	v_clz_i32_u32_e32 v17, v17
	v_min_u32_e32 v17, 32, v17
	s_delay_alu instid0(VALU_DEP_1) | instskip(NEXT) | instid1(VALU_DEP_1)
	v_subrev_nc_u32_e32 v32, 28, v17
	v_lshlrev_b64_e32 v[34:35], v32, v[6:7]
	s_delay_alu instid0(VALU_DEP_1)
	v_dual_sub_nc_u32 v32, 29, v17 :: v_dual_bitop2_b32 v17, 7, v34 bitop3:0x40
; %bb.971:                              ;   in Loop: Header=BB270_810 Depth=1
	s_or_b32 exec_lo, exec_lo, s18
	s_delay_alu instid0(VALU_DEP_1) | instskip(NEXT) | instid1(VALU_DEP_2)
	v_dual_lshlrev_b32 v6, 8, v6 :: v_dual_lshlrev_b32 v17, 23, v17
	v_lshl_add_u32 v32, v32, 10, 0x2000
	s_delay_alu instid0(VALU_DEP_1) | instskip(NEXT) | instid1(VALU_DEP_1)
	v_and_or_b32 v6, 0x8000, v6, v32
	v_lshl_or_b32 v17, v6, 16, v17
.LBB270_972:                            ;   in Loop: Header=BB270_810 Depth=1
	s_or_b32 exec_lo, exec_lo, s17
.LBB270_973:                            ;   in Loop: Header=BB270_810 Depth=1
	s_delay_alu instid0(SALU_CYCLE_1)
	s_or_b32 exec_lo, exec_lo, s16
.LBB270_974:                            ;   in Loop: Header=BB270_810 Depth=1
	s_delay_alu instid0(SALU_CYCLE_1) | instskip(SKIP_4) | instid1(VALU_DEP_3)
	s_or_b32 exec_lo, exec_lo, s11
	v_and_b32_e32 v34, 0xff, v31
	v_dual_mov_b32 v6, v31 :: v_dual_mov_b32 v33, 0
	v_mov_b32_e32 v32, 0
	s_mov_b32 s11, exec_lo
	v_cmpx_ne_u16_e32 0, v34
	s_cbranch_execz .LBB270_982
; %bb.975:                              ;   in Loop: Header=BB270_810 Depth=1
	v_mov_b32_e32 v32, 0x8000
	s_mov_b32 s16, exec_lo
	v_cmpx_ne_u16_e32 0x80, v34
	s_cbranch_execz .LBB270_981
; %bb.976:                              ;   in Loop: Header=BB270_810 Depth=1
	v_and_b32_e32 v35, 0x7f, v31
	v_mov_b32_e32 v32, 0x7c01
	s_mov_b32 s17, exec_lo
	s_delay_alu instid0(VALU_DEP_2)
	v_cmpx_ne_u32_e32 0x7f, v35
	s_cbranch_execz .LBB270_980
; %bb.977:                              ;   in Loop: Header=BB270_810 Depth=1
	v_and_b32_e32 v32, 7, v31
	v_lshrrev_b32_e32 v34, 3, v35
	s_mov_b32 s18, exec_lo
	v_cmpx_gt_u32_e32 8, v35
; %bb.978:                              ;   in Loop: Header=BB270_810 Depth=1
	s_delay_alu instid0(VALU_DEP_3) | instskip(NEXT) | instid1(VALU_DEP_1)
	v_clz_i32_u32_e32 v32, v32
	v_min_u32_e32 v32, 32, v32
	s_delay_alu instid0(VALU_DEP_1) | instskip(NEXT) | instid1(VALU_DEP_1)
	v_subrev_nc_u32_e32 v34, 28, v32
	v_lshlrev_b64_e32 v[36:37], v34, v[6:7]
	v_sub_nc_u32_e32 v34, 29, v32
	s_delay_alu instid0(VALU_DEP_2)
	v_and_b32_e32 v32, 7, v36
; %bb.979:                              ;   in Loop: Header=BB270_810 Depth=1
	s_or_b32 exec_lo, exec_lo, s18
	s_delay_alu instid0(VALU_DEP_1) | instskip(NEXT) | instid1(VALU_DEP_3)
	v_dual_lshlrev_b32 v35, 8, v31 :: v_dual_lshlrev_b32 v32, 7, v32
	v_lshl_add_u32 v34, v34, 10, 0x2000
	s_delay_alu instid0(VALU_DEP_2) | instskip(NEXT) | instid1(VALU_DEP_2)
	v_and_b32_e32 v35, 0x8000, v35
	v_and_b32_e32 v34, 0xfc00, v34
	s_delay_alu instid0(VALU_DEP_1)
	v_or3_b32 v32, v35, v34, v32
.LBB270_980:                            ;   in Loop: Header=BB270_810 Depth=1
	s_or_b32 exec_lo, exec_lo, s17
.LBB270_981:                            ;   in Loop: Header=BB270_810 Depth=1
	s_delay_alu instid0(SALU_CYCLE_1)
	s_or_b32 exec_lo, exec_lo, s16
.LBB270_982:                            ;   in Loop: Header=BB270_810 Depth=1
	s_delay_alu instid0(SALU_CYCLE_1) | instskip(SKIP_3) | instid1(VALU_DEP_2)
	s_or_b32 exec_lo, exec_lo, s11
	v_lshrrev_b16 v6, 8, v6
	v_mov_b32_e32 v34, 0
	s_mov_b32 s11, exec_lo
	v_cmpx_ne_u16_e32 0, v6
	s_cbranch_execz .LBB270_990
; %bb.983:                              ;   in Loop: Header=BB270_810 Depth=1
	v_bfrev_b32_e32 v34, 1
	s_mov_b32 s16, exec_lo
	v_cmpx_ne_u16_e32 0x80, v6
	s_cbranch_execz .LBB270_989
; %bb.984:                              ;   in Loop: Header=BB270_810 Depth=1
	v_and_b32_e32 v35, 0xffff, v6
	v_mov_b32_e32 v34, 0x7c010000
	s_mov_b32 s17, exec_lo
	s_delay_alu instid0(VALU_DEP_2) | instskip(NEXT) | instid1(VALU_DEP_1)
	v_and_b32_e32 v37, 0x7f, v35
	v_cmpx_ne_u32_e32 0x7f, v37
	s_cbranch_execz .LBB270_988
; %bb.985:                              ;   in Loop: Header=BB270_810 Depth=1
	v_dual_lshrrev_b32 v36, 3, v37 :: v_dual_bitop2_b32 v34, 7, v35 bitop3:0x40
	s_mov_b32 s18, exec_lo
	v_cmpx_gt_u32_e32 8, v37
; %bb.986:                              ;   in Loop: Header=BB270_810 Depth=1
	s_delay_alu instid0(VALU_DEP_2) | instskip(NEXT) | instid1(VALU_DEP_1)
	v_clz_i32_u32_e32 v34, v34
	v_min_u32_e32 v34, 32, v34
	s_delay_alu instid0(VALU_DEP_1) | instskip(NEXT) | instid1(VALU_DEP_1)
	v_subrev_nc_u32_e32 v36, 28, v34
	v_lshlrev_b64_e32 v[86:87], v36, v[6:7]
	v_sub_nc_u32_e32 v36, 29, v34
	s_delay_alu instid0(VALU_DEP_2)
	v_and_b32_e32 v34, 7, v86
; %bb.987:                              ;   in Loop: Header=BB270_810 Depth=1
	s_or_b32 exec_lo, exec_lo, s18
	s_delay_alu instid0(VALU_DEP_1) | instskip(NEXT) | instid1(VALU_DEP_3)
	v_dual_lshlrev_b32 v6, 8, v35 :: v_dual_lshlrev_b32 v34, 23, v34
	v_lshl_add_u32 v35, v36, 10, 0x2000
	s_delay_alu instid0(VALU_DEP_1) | instskip(NEXT) | instid1(VALU_DEP_1)
	v_and_or_b32 v6, 0x8000, v6, v35
	v_lshl_or_b32 v34, v6, 16, v34
.LBB270_988:                            ;   in Loop: Header=BB270_810 Depth=1
	s_or_b32 exec_lo, exec_lo, s17
.LBB270_989:                            ;   in Loop: Header=BB270_810 Depth=1
	s_delay_alu instid0(SALU_CYCLE_1)
	s_or_b32 exec_lo, exec_lo, s16
.LBB270_990:                            ;   in Loop: Header=BB270_810 Depth=1
	s_delay_alu instid0(SALU_CYCLE_1) | instskip(SKIP_2) | instid1(VALU_DEP_1)
	s_or_b32 exec_lo, exec_lo, s11
	v_lshrrev_b32_e32 v6, 16, v31
	s_mov_b32 s11, exec_lo
	v_and_b32_e32 v35, 0xff, v6
	s_delay_alu instid0(VALU_DEP_1)
	v_cmpx_ne_u16_e32 0, v35
	s_cbranch_execz .LBB270_998
; %bb.991:                              ;   in Loop: Header=BB270_810 Depth=1
	v_mov_b32_e32 v33, 0x8000
	s_mov_b32 s16, exec_lo
	v_cmpx_ne_u16_e32 0x80, v35
	s_cbranch_execz .LBB270_997
; %bb.992:                              ;   in Loop: Header=BB270_810 Depth=1
	v_bfe_u32 v36, v31, 16, 7
	v_mov_b32_e32 v33, 0x7c01
	s_mov_b32 s17, exec_lo
	s_delay_alu instid0(VALU_DEP_2)
	v_cmpx_ne_u32_e32 0x7f, v36
	s_cbranch_execz .LBB270_996
; %bb.993:                              ;   in Loop: Header=BB270_810 Depth=1
	v_dual_lshrrev_b32 v35, 3, v36 :: v_dual_bitop2_b32 v33, 7, v6 bitop3:0x40
	s_mov_b32 s18, exec_lo
	v_cmpx_gt_u32_e32 8, v36
; %bb.994:                              ;   in Loop: Header=BB270_810 Depth=1
	s_delay_alu instid0(VALU_DEP_2) | instskip(NEXT) | instid1(VALU_DEP_1)
	v_clz_i32_u32_e32 v33, v33
	v_min_u32_e32 v33, 32, v33
	s_delay_alu instid0(VALU_DEP_1) | instskip(NEXT) | instid1(VALU_DEP_1)
	v_subrev_nc_u32_e32 v35, 28, v33
	v_lshlrev_b64_e32 v[36:37], v35, v[6:7]
	s_delay_alu instid0(VALU_DEP_1)
	v_dual_sub_nc_u32 v35, 29, v33 :: v_dual_bitop2_b32 v33, 7, v36 bitop3:0x40
; %bb.995:                              ;   in Loop: Header=BB270_810 Depth=1
	s_or_b32 exec_lo, exec_lo, s18
	s_delay_alu instid0(VALU_DEP_1) | instskip(NEXT) | instid1(VALU_DEP_2)
	v_dual_lshlrev_b32 v6, 8, v6 :: v_dual_lshlrev_b32 v33, 7, v33
	v_lshl_add_u32 v35, v35, 10, 0x2000
	s_delay_alu instid0(VALU_DEP_2) | instskip(NEXT) | instid1(VALU_DEP_2)
	v_and_b32_e32 v6, 0x8000, v6
	v_and_b32_e32 v35, 0xfc00, v35
	s_delay_alu instid0(VALU_DEP_1)
	v_or3_b32 v33, v6, v35, v33
.LBB270_996:                            ;   in Loop: Header=BB270_810 Depth=1
	s_or_b32 exec_lo, exec_lo, s17
.LBB270_997:                            ;   in Loop: Header=BB270_810 Depth=1
	s_delay_alu instid0(SALU_CYCLE_1)
	s_or_b32 exec_lo, exec_lo, s16
.LBB270_998:                            ;   in Loop: Header=BB270_810 Depth=1
	s_delay_alu instid0(SALU_CYCLE_1)
	s_or_b32 exec_lo, exec_lo, s11
	v_cmp_lt_u64_e64 s0, s[2:3], v[30:31]
	v_mov_b32_e32 v30, 0
	s_and_saveexec_b32 s11, s0
	s_cbranch_execz .LBB270_1006
; %bb.999:                              ;   in Loop: Header=BB270_810 Depth=1
	v_lshrrev_b32_e32 v6, 24, v31
	v_bfrev_b32_e32 v30, 1
	s_mov_b32 s16, exec_lo
	s_delay_alu instid0(VALU_DEP_2)
	v_cmpx_ne_u32_e32 0x80, v6
	s_cbranch_execz .LBB270_1005
; %bb.1000:                             ;   in Loop: Header=BB270_810 Depth=1
	v_and_b32_e32 v35, 0x7f, v6
	v_mov_b32_e32 v30, 0x7c010000
	s_mov_b32 s17, exec_lo
	s_delay_alu instid0(VALU_DEP_2)
	v_cmpx_ne_u32_e32 0x7f, v35
	s_cbranch_execz .LBB270_1004
; %bb.1001:                             ;   in Loop: Header=BB270_810 Depth=1
	v_dual_lshrrev_b32 v31, 3, v35 :: v_dual_bitop2_b32 v30, 7, v6 bitop3:0x40
	s_mov_b32 s18, exec_lo
	v_cmpx_gt_u32_e32 8, v35
; %bb.1002:                             ;   in Loop: Header=BB270_810 Depth=1
	s_delay_alu instid0(VALU_DEP_2) | instskip(NEXT) | instid1(VALU_DEP_1)
	v_clz_i32_u32_e32 v30, v30
	v_min_u32_e32 v35, 32, v30
	s_delay_alu instid0(VALU_DEP_1) | instskip(NEXT) | instid1(VALU_DEP_1)
	v_subrev_nc_u32_e32 v30, 28, v35
	v_lshlrev_b64_e32 v[30:31], v30, v[6:7]
	s_delay_alu instid0(VALU_DEP_1)
	v_dual_sub_nc_u32 v31, 29, v35 :: v_dual_bitop2_b32 v30, 7, v30 bitop3:0x40
; %bb.1003:                             ;   in Loop: Header=BB270_810 Depth=1
	s_or_b32 exec_lo, exec_lo, s18
	v_lshlrev_b32_e32 v6, 8, v6
	s_delay_alu instid0(VALU_DEP_2) | instskip(NEXT) | instid1(VALU_DEP_3)
	v_lshl_add_u32 v31, v31, 10, 0x2000
	v_lshlrev_b32_e32 v30, 23, v30
	s_delay_alu instid0(VALU_DEP_2) | instskip(NEXT) | instid1(VALU_DEP_1)
	v_and_or_b32 v6, 0x8000, v6, v31
	v_lshl_or_b32 v30, v6, 16, v30
.LBB270_1004:                           ;   in Loop: Header=BB270_810 Depth=1
	s_or_b32 exec_lo, exec_lo, s17
.LBB270_1005:                           ;   in Loop: Header=BB270_810 Depth=1
	s_delay_alu instid0(SALU_CYCLE_1)
	s_or_b32 exec_lo, exec_lo, s16
.LBB270_1006:                           ;   in Loop: Header=BB270_810 Depth=1
	s_delay_alu instid0(SALU_CYCLE_1) | instskip(SKIP_3) | instid1(VALU_DEP_3)
	s_or_b32 exec_lo, exec_lo, s11
	v_dual_lshrrev_b32 v6, 16, v0 :: v_dual_lshrrev_b32 v31, 16, v17
	v_or_b32_e32 v35, v0, v1
	v_dual_lshrrev_b32 v36, 16, v30 :: v_dual_bitop2_b32 v17, v17, v19 bitop3:0x54
	v_cvt_f32_f16_e32 v1, v6
	s_delay_alu instid0(VALU_DEP_4) | instskip(SKIP_1) | instid1(VALU_DEP_4)
	v_cvt_f32_f16_e32 v0, v31
	v_dual_lshrrev_b32 v19, 16, v34 :: v_dual_bitop2_b32 v6, v30, v33 bitop3:0x54
	v_cvt_f32_f16_e32 v30, v17
	v_cvt_f32_f16_e32 v31, v35
	s_wait_loadcnt_dscnt 0x0
	v_pk_mul_f32 v[0:1], v[16:17], v[0:1] op_sel_hi:[0,1]
	v_or_b32_e32 v17, v34, v32
	v_cvt_f32_f16_e32 v33, v19
	v_cvt_f32_f16_e32 v32, v36
	s_delay_alu instid0(VALU_DEP_3) | instskip(NEXT) | instid1(VALU_DEP_1)
	v_pk_mul_f32 v[30:31], v[16:17], v[30:31] op_sel_hi:[0,1]
	v_cvt_pk_f16_f32 v19, v30, v31
	s_delay_alu instid0(VALU_DEP_1) | instskip(SKIP_3) | instid1(VALU_DEP_2)
	v_lshrrev_b32_e32 v37, 16, v19
	v_cvt_f32_f16_e32 v34, v6
	v_cvt_pk_f16_f32 v6, v0, v1
	v_and_b32_e32 v36, 0xffff, v19
	v_lshlrev_b32_e32 v30, 16, v6
	v_cvt_f32_f16_e32 v35, v17
	v_pk_mul_f32 v[0:1], v[16:17], v[32:33] op_sel_hi:[0,1]
	v_and_b32_e32 v31, 0xffff0000, v6
	s_delay_alu instid0(VALU_DEP_3) | instskip(NEXT) | instid1(VALU_DEP_3)
	v_pk_mul_f32 v[16:17], v[16:17], v[34:35] op_sel_hi:[0,1]
	v_cvt_pk_f16_f32 v0, v0, v1
	s_delay_alu instid0(VALU_DEP_3) | instskip(SKIP_1) | instid1(VALU_DEP_4)
	v_or_b32_e32 v35, v31, v37
	v_or_b32_e32 v34, v30, v36
	v_cvt_pk_f16_f32 v1, v16, v17
	s_delay_alu instid0(VALU_DEP_4) | instskip(NEXT) | instid1(VALU_DEP_2)
	v_and_b32_e32 v17, 0xffff0000, v0
	v_dual_lshlrev_b32 v6, 16, v0 :: v_dual_lshrrev_b32 v19, 16, v1
	v_and_b32_e32 v16, 0xffff, v1
	s_delay_alu instid0(VALU_DEP_2) | instskip(NEXT) | instid1(VALU_DEP_2)
	v_or_b32_e32 v33, v17, v19
	v_or_b32_e32 v32, v6, v16
	s_and_saveexec_b32 s11, vcc_lo
	s_cbranch_execz .LBB270_1008
; %bb.1007:                             ;   in Loop: Header=BB270_810 Depth=1
	v_cmp_lt_i32_e64 s0, v54, v13
	s_delay_alu instid0(VALU_DEP_1) | instskip(SKIP_1) | instid1(VALU_DEP_1)
	v_cndmask_b32_e64 v0, 0, v37, s0
	v_cmp_lt_i32_e64 s0, v71, v12
	v_cndmask_b32_e64 v1, 0, v36, s0
	v_cmp_lt_i32_e64 s0, v70, v13
	s_delay_alu instid0(VALU_DEP_1) | instskip(SKIP_1) | instid1(VALU_DEP_1)
	v_cndmask_b32_e64 v31, 0, v31, s0
	v_cmp_lt_i32_e64 s0, v69, v12
	v_cndmask_b32_e64 v30, 0, v30, s0
	v_cmp_lt_i32_e64 s0, v68, v13
	s_delay_alu instid0(VALU_DEP_4) | instskip(NEXT) | instid1(VALU_DEP_2)
	v_or_b32_e32 v35, v0, v31
	v_dual_cndmask_b32 v19, 0, v19, s0 :: v_dual_bitop2_b32 v34, v1, v30 bitop3:0x54
	v_cmp_lt_i32_e64 s0, v67, v12
	s_delay_alu instid0(VALU_DEP_1) | instskip(SKIP_1) | instid1(VALU_DEP_1)
	v_cndmask_b32_e64 v16, 0, v16, s0
	v_cmp_lt_i32_e64 s0, v66, v13
	v_cndmask_b32_e64 v17, 0, v17, s0
	v_cmp_lt_i32_e64 s0, v65, v12
	s_delay_alu instid0(VALU_DEP_1) | instskip(NEXT) | instid1(VALU_DEP_1)
	v_dual_cndmask_b32 v6, 0, v6, s0 :: v_dual_bitop2_b32 v33, v19, v17 bitop3:0x54
	v_or_b32_e32 v32, v16, v6
.LBB270_1008:                           ;   in Loop: Header=BB270_810 Depth=1
	s_or_b32 exec_lo, exec_lo, s11
	;;#ASMSTART
	v_pk_mul_f16 v0, v80, v35;

	;;#ASMEND
	;;#ASMSTART
	v_pk_mul_f16 v1, v49, v34;

	;;#ASMEND
	;; [unrolled: 4-line block ×4, first 2 shown]
	;;#ASMSTART
	v_pk_add_f16 v0, v0, v1;

	;;#ASMEND
	;;#ASMSTART
	v_pk_add_f16 v0, v0, v6;

	;;#ASMEND
	;; [unrolled: 4-line block ×3, first 2 shown]
	v_and_b32_e32 v1, 0xffff, v0
	v_lshrrev_b32_e32 v0, 16, v0
	;;#ASMSTART
	v_cvt_f32_f16 v85, v1;
	;;#ASMEND
	v_mov_b32_e32 v1, 0
	;;#ASMSTART
	v_cvt_f32_f16 v86, v0;
	;;#ASMEND
	flat_load_b64 v[30:31], v[10:11] offset:768
	flat_load_b32 v16, v[22:23]
	v_mov_b32_e32 v0, 0
	s_mov_b32 s11, exec_lo
	s_wait_loadcnt_dscnt 0x101
	v_and_b32_e32 v6, 0xff, v30
	s_wait_xcnt 0x0
	s_delay_alu instid0(VALU_DEP_1)
	v_cmpx_ne_u16_e32 0, v6
	s_cbranch_execz .LBB270_1016
; %bb.1009:                             ;   in Loop: Header=BB270_810 Depth=1
	v_mov_b32_e32 v1, 0x8000
	s_mov_b32 s16, exec_lo
	v_cmpx_ne_u16_e32 0x80, v6
	s_cbranch_execz .LBB270_1015
; %bb.1010:                             ;   in Loop: Header=BB270_810 Depth=1
	v_and_b32_e32 v17, 0x7f, v30
	v_mov_b32_e32 v1, 0x7c01
	s_mov_b32 s17, exec_lo
	s_delay_alu instid0(VALU_DEP_2)
	v_cmpx_ne_u32_e32 0x7f, v17
	s_cbranch_execz .LBB270_1014
; %bb.1011:                             ;   in Loop: Header=BB270_810 Depth=1
	v_dual_lshrrev_b32 v6, 3, v17 :: v_dual_bitop2_b32 v1, 7, v30 bitop3:0x40
	s_mov_b32 s18, exec_lo
	v_cmpx_gt_u32_e32 8, v17
; %bb.1012:                             ;   in Loop: Header=BB270_810 Depth=1
	s_delay_alu instid0(VALU_DEP_2) | instskip(NEXT) | instid1(VALU_DEP_1)
	v_clz_i32_u32_e32 v1, v1
	v_min_u32_e32 v1, 32, v1
	s_delay_alu instid0(VALU_DEP_1) | instskip(NEXT) | instid1(VALU_DEP_1)
	v_subrev_nc_u32_e32 v6, 28, v1
	v_lshlrev_b64_e32 v[32:33], v6, v[30:31]
	s_delay_alu instid0(VALU_DEP_1)
	v_dual_sub_nc_u32 v6, 29, v1 :: v_dual_bitop2_b32 v1, 7, v32 bitop3:0x40
; %bb.1013:                             ;   in Loop: Header=BB270_810 Depth=1
	s_or_b32 exec_lo, exec_lo, s18
	s_delay_alu instid0(VALU_DEP_1) | instskip(NEXT) | instid1(VALU_DEP_2)
	v_dual_lshlrev_b32 v17, 8, v30 :: v_dual_lshlrev_b32 v1, 7, v1
	v_lshl_add_u32 v6, v6, 10, 0x2000
	s_delay_alu instid0(VALU_DEP_2) | instskip(NEXT) | instid1(VALU_DEP_2)
	v_and_b32_e32 v17, 0x8000, v17
	v_and_b32_e32 v6, 0xfc00, v6
	s_delay_alu instid0(VALU_DEP_1)
	v_or3_b32 v1, v17, v6, v1
.LBB270_1014:                           ;   in Loop: Header=BB270_810 Depth=1
	s_or_b32 exec_lo, exec_lo, s17
.LBB270_1015:                           ;   in Loop: Header=BB270_810 Depth=1
	s_delay_alu instid0(SALU_CYCLE_1)
	s_or_b32 exec_lo, exec_lo, s16
.LBB270_1016:                           ;   in Loop: Header=BB270_810 Depth=1
	s_delay_alu instid0(SALU_CYCLE_1) | instskip(SKIP_2) | instid1(VALU_DEP_1)
	s_or_b32 exec_lo, exec_lo, s11
	v_lshrrev_b16 v6, 8, v30
	s_mov_b32 s11, exec_lo
	v_cmpx_ne_u16_e32 0, v6
	s_cbranch_execz .LBB270_1024
; %bb.1017:                             ;   in Loop: Header=BB270_810 Depth=1
	v_bfrev_b32_e32 v0, 1
	s_mov_b32 s16, exec_lo
	v_cmpx_ne_u16_e32 0x80, v6
	s_cbranch_execz .LBB270_1023
; %bb.1018:                             ;   in Loop: Header=BB270_810 Depth=1
	v_and_b32_e32 v17, 0xffff, v6
	v_mov_b32_e32 v0, 0x7c010000
	s_mov_b32 s17, exec_lo
	s_delay_alu instid0(VALU_DEP_2) | instskip(NEXT) | instid1(VALU_DEP_1)
	v_and_b32_e32 v32, 0x7f, v17
	v_cmpx_ne_u32_e32 0x7f, v32
	s_cbranch_execz .LBB270_1022
; %bb.1019:                             ;   in Loop: Header=BB270_810 Depth=1
	v_dual_lshrrev_b32 v19, 3, v32 :: v_dual_bitop2_b32 v0, 7, v17 bitop3:0x40
	s_mov_b32 s18, exec_lo
	v_cmpx_gt_u32_e32 8, v32
; %bb.1020:                             ;   in Loop: Header=BB270_810 Depth=1
	s_delay_alu instid0(VALU_DEP_2) | instskip(NEXT) | instid1(VALU_DEP_1)
	v_clz_i32_u32_e32 v0, v0
	v_min_u32_e32 v0, 32, v0
	s_delay_alu instid0(VALU_DEP_1) | instskip(NEXT) | instid1(VALU_DEP_1)
	v_subrev_nc_u32_e32 v19, 28, v0
	v_lshlrev_b64_e32 v[32:33], v19, v[6:7]
	v_sub_nc_u32_e32 v19, 29, v0
	s_delay_alu instid0(VALU_DEP_2)
	v_and_b32_e32 v0, 7, v32
; %bb.1021:                             ;   in Loop: Header=BB270_810 Depth=1
	s_or_b32 exec_lo, exec_lo, s18
	s_delay_alu instid0(VALU_DEP_1) | instskip(NEXT) | instid1(VALU_DEP_3)
	v_dual_lshlrev_b32 v6, 8, v17 :: v_dual_lshlrev_b32 v0, 23, v0
	v_lshl_add_u32 v17, v19, 10, 0x2000
	s_delay_alu instid0(VALU_DEP_1) | instskip(NEXT) | instid1(VALU_DEP_1)
	v_and_or_b32 v6, 0x8000, v6, v17
	v_lshl_or_b32 v0, v6, 16, v0
.LBB270_1022:                           ;   in Loop: Header=BB270_810 Depth=1
	s_or_b32 exec_lo, exec_lo, s17
.LBB270_1023:                           ;   in Loop: Header=BB270_810 Depth=1
	s_delay_alu instid0(SALU_CYCLE_1)
	s_or_b32 exec_lo, exec_lo, s16
.LBB270_1024:                           ;   in Loop: Header=BB270_810 Depth=1
	s_delay_alu instid0(SALU_CYCLE_1) | instskip(SKIP_3) | instid1(VALU_DEP_2)
	s_or_b32 exec_lo, exec_lo, s11
	v_dual_mov_b32 v17, 0 :: v_dual_lshrrev_b32 v6, 16, v30
	v_mov_b32_e32 v19, 0
	s_mov_b32 s11, exec_lo
	v_and_b32_e32 v32, 0xff, v6
	s_delay_alu instid0(VALU_DEP_1)
	v_cmpx_ne_u16_e32 0, v32
	s_cbranch_execz .LBB270_1032
; %bb.1025:                             ;   in Loop: Header=BB270_810 Depth=1
	v_mov_b32_e32 v19, 0x8000
	s_mov_b32 s16, exec_lo
	v_cmpx_ne_u16_e32 0x80, v32
	s_cbranch_execz .LBB270_1031
; %bb.1026:                             ;   in Loop: Header=BB270_810 Depth=1
	v_bfe_u32 v33, v30, 16, 7
	v_mov_b32_e32 v19, 0x7c01
	s_mov_b32 s17, exec_lo
	s_delay_alu instid0(VALU_DEP_2)
	v_cmpx_ne_u32_e32 0x7f, v33
	s_cbranch_execz .LBB270_1030
; %bb.1027:                             ;   in Loop: Header=BB270_810 Depth=1
	v_dual_lshrrev_b32 v32, 3, v33 :: v_dual_bitop2_b32 v19, 7, v6 bitop3:0x40
	s_mov_b32 s18, exec_lo
	v_cmpx_gt_u32_e32 8, v33
; %bb.1028:                             ;   in Loop: Header=BB270_810 Depth=1
	s_delay_alu instid0(VALU_DEP_2) | instskip(NEXT) | instid1(VALU_DEP_1)
	v_clz_i32_u32_e32 v19, v19
	v_min_u32_e32 v19, 32, v19
	s_delay_alu instid0(VALU_DEP_1) | instskip(NEXT) | instid1(VALU_DEP_1)
	v_subrev_nc_u32_e32 v32, 28, v19
	v_lshlrev_b64_e32 v[34:35], v32, v[6:7]
	s_delay_alu instid0(VALU_DEP_1)
	v_dual_sub_nc_u32 v32, 29, v19 :: v_dual_bitop2_b32 v19, 7, v34 bitop3:0x40
; %bb.1029:                             ;   in Loop: Header=BB270_810 Depth=1
	s_or_b32 exec_lo, exec_lo, s18
	s_delay_alu instid0(VALU_DEP_1) | instskip(NEXT) | instid1(VALU_DEP_2)
	v_dual_lshlrev_b32 v6, 8, v6 :: v_dual_lshlrev_b32 v19, 7, v19
	v_lshl_add_u32 v32, v32, 10, 0x2000
	s_delay_alu instid0(VALU_DEP_2) | instskip(NEXT) | instid1(VALU_DEP_2)
	v_and_b32_e32 v6, 0x8000, v6
	v_and_b32_e32 v32, 0xfc00, v32
	s_delay_alu instid0(VALU_DEP_1)
	v_or3_b32 v19, v6, v32, v19
.LBB270_1030:                           ;   in Loop: Header=BB270_810 Depth=1
	s_or_b32 exec_lo, exec_lo, s17
.LBB270_1031:                           ;   in Loop: Header=BB270_810 Depth=1
	s_delay_alu instid0(SALU_CYCLE_1)
	s_or_b32 exec_lo, exec_lo, s16
.LBB270_1032:                           ;   in Loop: Header=BB270_810 Depth=1
	s_delay_alu instid0(SALU_CYCLE_1) | instskip(NEXT) | instid1(SALU_CYCLE_1)
	s_or_b32 exec_lo, exec_lo, s11
	s_mov_b32 s11, exec_lo
	v_cmpx_lt_u32_e32 0xffffff, v30
	s_cbranch_execz .LBB270_1040
; %bb.1033:                             ;   in Loop: Header=BB270_810 Depth=1
	v_lshrrev_b32_e32 v6, 24, v30
	v_bfrev_b32_e32 v17, 1
	s_mov_b32 s16, exec_lo
	s_delay_alu instid0(VALU_DEP_2)
	v_cmpx_ne_u32_e32 0x80, v6
	s_cbranch_execz .LBB270_1039
; %bb.1034:                             ;   in Loop: Header=BB270_810 Depth=1
	v_and_b32_e32 v33, 0x7f, v6
	v_mov_b32_e32 v17, 0x7c010000
	s_mov_b32 s17, exec_lo
	s_delay_alu instid0(VALU_DEP_2)
	v_cmpx_ne_u32_e32 0x7f, v33
	s_cbranch_execz .LBB270_1038
; %bb.1035:                             ;   in Loop: Header=BB270_810 Depth=1
	v_dual_lshrrev_b32 v32, 3, v33 :: v_dual_bitop2_b32 v17, 7, v6 bitop3:0x40
	s_mov_b32 s18, exec_lo
	v_cmpx_gt_u32_e32 8, v33
; %bb.1036:                             ;   in Loop: Header=BB270_810 Depth=1
	s_delay_alu instid0(VALU_DEP_2) | instskip(NEXT) | instid1(VALU_DEP_1)
	v_clz_i32_u32_e32 v17, v17
	v_min_u32_e32 v17, 32, v17
	s_delay_alu instid0(VALU_DEP_1) | instskip(NEXT) | instid1(VALU_DEP_1)
	v_subrev_nc_u32_e32 v32, 28, v17
	v_lshlrev_b64_e32 v[34:35], v32, v[6:7]
	s_delay_alu instid0(VALU_DEP_1)
	v_dual_sub_nc_u32 v32, 29, v17 :: v_dual_bitop2_b32 v17, 7, v34 bitop3:0x40
; %bb.1037:                             ;   in Loop: Header=BB270_810 Depth=1
	s_or_b32 exec_lo, exec_lo, s18
	s_delay_alu instid0(VALU_DEP_1) | instskip(NEXT) | instid1(VALU_DEP_2)
	v_dual_lshlrev_b32 v6, 8, v6 :: v_dual_lshlrev_b32 v17, 23, v17
	v_lshl_add_u32 v32, v32, 10, 0x2000
	s_delay_alu instid0(VALU_DEP_1) | instskip(NEXT) | instid1(VALU_DEP_1)
	v_and_or_b32 v6, 0x8000, v6, v32
	v_lshl_or_b32 v17, v6, 16, v17
.LBB270_1038:                           ;   in Loop: Header=BB270_810 Depth=1
	s_or_b32 exec_lo, exec_lo, s17
.LBB270_1039:                           ;   in Loop: Header=BB270_810 Depth=1
	s_delay_alu instid0(SALU_CYCLE_1)
	s_or_b32 exec_lo, exec_lo, s16
.LBB270_1040:                           ;   in Loop: Header=BB270_810 Depth=1
	s_delay_alu instid0(SALU_CYCLE_1) | instskip(SKIP_4) | instid1(VALU_DEP_3)
	s_or_b32 exec_lo, exec_lo, s11
	v_and_b32_e32 v34, 0xff, v31
	v_dual_mov_b32 v6, v31 :: v_dual_mov_b32 v33, 0
	v_mov_b32_e32 v32, 0
	s_mov_b32 s11, exec_lo
	v_cmpx_ne_u16_e32 0, v34
	s_cbranch_execz .LBB270_1048
; %bb.1041:                             ;   in Loop: Header=BB270_810 Depth=1
	v_mov_b32_e32 v32, 0x8000
	s_mov_b32 s16, exec_lo
	v_cmpx_ne_u16_e32 0x80, v34
	s_cbranch_execz .LBB270_1047
; %bb.1042:                             ;   in Loop: Header=BB270_810 Depth=1
	v_and_b32_e32 v35, 0x7f, v31
	v_mov_b32_e32 v32, 0x7c01
	s_mov_b32 s17, exec_lo
	s_delay_alu instid0(VALU_DEP_2)
	v_cmpx_ne_u32_e32 0x7f, v35
	s_cbranch_execz .LBB270_1046
; %bb.1043:                             ;   in Loop: Header=BB270_810 Depth=1
	v_and_b32_e32 v32, 7, v31
	v_lshrrev_b32_e32 v34, 3, v35
	s_mov_b32 s18, exec_lo
	v_cmpx_gt_u32_e32 8, v35
; %bb.1044:                             ;   in Loop: Header=BB270_810 Depth=1
	s_delay_alu instid0(VALU_DEP_3) | instskip(NEXT) | instid1(VALU_DEP_1)
	v_clz_i32_u32_e32 v32, v32
	v_min_u32_e32 v32, 32, v32
	s_delay_alu instid0(VALU_DEP_1) | instskip(NEXT) | instid1(VALU_DEP_1)
	v_subrev_nc_u32_e32 v34, 28, v32
	v_lshlrev_b64_e32 v[36:37], v34, v[6:7]
	v_sub_nc_u32_e32 v34, 29, v32
	s_delay_alu instid0(VALU_DEP_2)
	v_and_b32_e32 v32, 7, v36
; %bb.1045:                             ;   in Loop: Header=BB270_810 Depth=1
	s_or_b32 exec_lo, exec_lo, s18
	s_delay_alu instid0(VALU_DEP_1) | instskip(NEXT) | instid1(VALU_DEP_3)
	v_dual_lshlrev_b32 v35, 8, v31 :: v_dual_lshlrev_b32 v32, 7, v32
	v_lshl_add_u32 v34, v34, 10, 0x2000
	s_delay_alu instid0(VALU_DEP_2) | instskip(NEXT) | instid1(VALU_DEP_2)
	v_and_b32_e32 v35, 0x8000, v35
	v_and_b32_e32 v34, 0xfc00, v34
	s_delay_alu instid0(VALU_DEP_1)
	v_or3_b32 v32, v35, v34, v32
.LBB270_1046:                           ;   in Loop: Header=BB270_810 Depth=1
	s_or_b32 exec_lo, exec_lo, s17
.LBB270_1047:                           ;   in Loop: Header=BB270_810 Depth=1
	s_delay_alu instid0(SALU_CYCLE_1)
	s_or_b32 exec_lo, exec_lo, s16
.LBB270_1048:                           ;   in Loop: Header=BB270_810 Depth=1
	s_delay_alu instid0(SALU_CYCLE_1) | instskip(SKIP_3) | instid1(VALU_DEP_2)
	s_or_b32 exec_lo, exec_lo, s11
	v_lshrrev_b16 v6, 8, v6
	v_mov_b32_e32 v34, 0
	s_mov_b32 s11, exec_lo
	v_cmpx_ne_u16_e32 0, v6
	s_cbranch_execz .LBB270_1056
; %bb.1049:                             ;   in Loop: Header=BB270_810 Depth=1
	v_bfrev_b32_e32 v34, 1
	s_mov_b32 s16, exec_lo
	v_cmpx_ne_u16_e32 0x80, v6
	s_cbranch_execz .LBB270_1055
; %bb.1050:                             ;   in Loop: Header=BB270_810 Depth=1
	v_and_b32_e32 v35, 0xffff, v6
	v_mov_b32_e32 v34, 0x7c010000
	s_mov_b32 s17, exec_lo
	s_delay_alu instid0(VALU_DEP_2) | instskip(NEXT) | instid1(VALU_DEP_1)
	v_and_b32_e32 v37, 0x7f, v35
	v_cmpx_ne_u32_e32 0x7f, v37
	s_cbranch_execz .LBB270_1054
; %bb.1051:                             ;   in Loop: Header=BB270_810 Depth=1
	v_dual_lshrrev_b32 v36, 3, v37 :: v_dual_bitop2_b32 v34, 7, v35 bitop3:0x40
	s_mov_b32 s18, exec_lo
	v_cmpx_gt_u32_e32 8, v37
; %bb.1052:                             ;   in Loop: Header=BB270_810 Depth=1
	s_delay_alu instid0(VALU_DEP_2) | instskip(NEXT) | instid1(VALU_DEP_1)
	v_clz_i32_u32_e32 v34, v34
	v_min_u32_e32 v34, 32, v34
	s_delay_alu instid0(VALU_DEP_1) | instskip(NEXT) | instid1(VALU_DEP_1)
	v_subrev_nc_u32_e32 v36, 28, v34
	v_lshlrev_b64_e32 v[96:97], v36, v[6:7]
	s_delay_alu instid0(VALU_DEP_1)
	v_dual_sub_nc_u32 v36, 29, v34 :: v_dual_bitop2_b32 v34, 7, v96 bitop3:0x40
; %bb.1053:                             ;   in Loop: Header=BB270_810 Depth=1
	s_or_b32 exec_lo, exec_lo, s18
	s_delay_alu instid0(VALU_DEP_1) | instskip(NEXT) | instid1(VALU_DEP_2)
	v_dual_lshlrev_b32 v6, 8, v35 :: v_dual_lshlrev_b32 v34, 23, v34
	v_lshl_add_u32 v35, v36, 10, 0x2000
	s_delay_alu instid0(VALU_DEP_1) | instskip(NEXT) | instid1(VALU_DEP_1)
	v_and_or_b32 v6, 0x8000, v6, v35
	v_lshl_or_b32 v34, v6, 16, v34
.LBB270_1054:                           ;   in Loop: Header=BB270_810 Depth=1
	s_or_b32 exec_lo, exec_lo, s17
.LBB270_1055:                           ;   in Loop: Header=BB270_810 Depth=1
	s_delay_alu instid0(SALU_CYCLE_1)
	s_or_b32 exec_lo, exec_lo, s16
.LBB270_1056:                           ;   in Loop: Header=BB270_810 Depth=1
	s_delay_alu instid0(SALU_CYCLE_1) | instskip(SKIP_2) | instid1(VALU_DEP_1)
	s_or_b32 exec_lo, exec_lo, s11
	v_lshrrev_b32_e32 v6, 16, v31
	s_mov_b32 s11, exec_lo
	v_and_b32_e32 v35, 0xff, v6
	s_delay_alu instid0(VALU_DEP_1)
	v_cmpx_ne_u16_e32 0, v35
	s_cbranch_execz .LBB270_1064
; %bb.1057:                             ;   in Loop: Header=BB270_810 Depth=1
	v_mov_b32_e32 v33, 0x8000
	s_mov_b32 s16, exec_lo
	v_cmpx_ne_u16_e32 0x80, v35
	s_cbranch_execz .LBB270_1063
; %bb.1058:                             ;   in Loop: Header=BB270_810 Depth=1
	v_bfe_u32 v36, v31, 16, 7
	v_mov_b32_e32 v33, 0x7c01
	s_mov_b32 s17, exec_lo
	s_delay_alu instid0(VALU_DEP_2)
	v_cmpx_ne_u32_e32 0x7f, v36
	s_cbranch_execz .LBB270_1062
; %bb.1059:                             ;   in Loop: Header=BB270_810 Depth=1
	v_dual_lshrrev_b32 v35, 3, v36 :: v_dual_bitop2_b32 v33, 7, v6 bitop3:0x40
	s_mov_b32 s18, exec_lo
	v_cmpx_gt_u32_e32 8, v36
; %bb.1060:                             ;   in Loop: Header=BB270_810 Depth=1
	s_delay_alu instid0(VALU_DEP_2) | instskip(NEXT) | instid1(VALU_DEP_1)
	v_clz_i32_u32_e32 v33, v33
	v_min_u32_e32 v33, 32, v33
	s_delay_alu instid0(VALU_DEP_1) | instskip(NEXT) | instid1(VALU_DEP_1)
	v_subrev_nc_u32_e32 v35, 28, v33
	v_lshlrev_b64_e32 v[36:37], v35, v[6:7]
	s_delay_alu instid0(VALU_DEP_1)
	v_dual_sub_nc_u32 v35, 29, v33 :: v_dual_bitop2_b32 v33, 7, v36 bitop3:0x40
; %bb.1061:                             ;   in Loop: Header=BB270_810 Depth=1
	s_or_b32 exec_lo, exec_lo, s18
	s_delay_alu instid0(VALU_DEP_1) | instskip(NEXT) | instid1(VALU_DEP_2)
	v_dual_lshlrev_b32 v6, 8, v6 :: v_dual_lshlrev_b32 v33, 7, v33
	v_lshl_add_u32 v35, v35, 10, 0x2000
	s_delay_alu instid0(VALU_DEP_2) | instskip(NEXT) | instid1(VALU_DEP_2)
	v_and_b32_e32 v6, 0x8000, v6
	v_and_b32_e32 v35, 0xfc00, v35
	s_delay_alu instid0(VALU_DEP_1)
	v_or3_b32 v33, v6, v35, v33
.LBB270_1062:                           ;   in Loop: Header=BB270_810 Depth=1
	s_or_b32 exec_lo, exec_lo, s17
.LBB270_1063:                           ;   in Loop: Header=BB270_810 Depth=1
	s_delay_alu instid0(SALU_CYCLE_1)
	s_or_b32 exec_lo, exec_lo, s16
.LBB270_1064:                           ;   in Loop: Header=BB270_810 Depth=1
	s_delay_alu instid0(SALU_CYCLE_1)
	s_or_b32 exec_lo, exec_lo, s11
	v_cmp_lt_u64_e64 s0, s[2:3], v[30:31]
	v_mov_b32_e32 v30, 0
	s_and_saveexec_b32 s11, s0
	s_cbranch_execz .LBB270_1072
; %bb.1065:                             ;   in Loop: Header=BB270_810 Depth=1
	v_lshrrev_b32_e32 v6, 24, v31
	v_bfrev_b32_e32 v30, 1
	s_mov_b32 s16, exec_lo
	s_delay_alu instid0(VALU_DEP_2)
	v_cmpx_ne_u32_e32 0x80, v6
	s_cbranch_execz .LBB270_1071
; %bb.1066:                             ;   in Loop: Header=BB270_810 Depth=1
	v_and_b32_e32 v35, 0x7f, v6
	v_mov_b32_e32 v30, 0x7c010000
	s_mov_b32 s17, exec_lo
	s_delay_alu instid0(VALU_DEP_2)
	v_cmpx_ne_u32_e32 0x7f, v35
	s_cbranch_execz .LBB270_1070
; %bb.1067:                             ;   in Loop: Header=BB270_810 Depth=1
	v_dual_lshrrev_b32 v31, 3, v35 :: v_dual_bitop2_b32 v30, 7, v6 bitop3:0x40
	s_mov_b32 s18, exec_lo
	v_cmpx_gt_u32_e32 8, v35
; %bb.1068:                             ;   in Loop: Header=BB270_810 Depth=1
	s_delay_alu instid0(VALU_DEP_2) | instskip(NEXT) | instid1(VALU_DEP_1)
	v_clz_i32_u32_e32 v30, v30
	v_min_u32_e32 v35, 32, v30
	s_delay_alu instid0(VALU_DEP_1) | instskip(NEXT) | instid1(VALU_DEP_1)
	v_subrev_nc_u32_e32 v30, 28, v35
	v_lshlrev_b64_e32 v[30:31], v30, v[6:7]
	s_delay_alu instid0(VALU_DEP_1)
	v_dual_sub_nc_u32 v31, 29, v35 :: v_dual_bitop2_b32 v30, 7, v30 bitop3:0x40
; %bb.1069:                             ;   in Loop: Header=BB270_810 Depth=1
	s_or_b32 exec_lo, exec_lo, s18
	v_lshlrev_b32_e32 v6, 8, v6
	s_delay_alu instid0(VALU_DEP_2) | instskip(NEXT) | instid1(VALU_DEP_3)
	v_lshl_add_u32 v31, v31, 10, 0x2000
	v_lshlrev_b32_e32 v30, 23, v30
	s_delay_alu instid0(VALU_DEP_2) | instskip(NEXT) | instid1(VALU_DEP_1)
	v_and_or_b32 v6, 0x8000, v6, v31
	v_lshl_or_b32 v30, v6, 16, v30
.LBB270_1070:                           ;   in Loop: Header=BB270_810 Depth=1
	s_or_b32 exec_lo, exec_lo, s17
.LBB270_1071:                           ;   in Loop: Header=BB270_810 Depth=1
	s_delay_alu instid0(SALU_CYCLE_1)
	s_or_b32 exec_lo, exec_lo, s16
.LBB270_1072:                           ;   in Loop: Header=BB270_810 Depth=1
	s_delay_alu instid0(SALU_CYCLE_1) | instskip(SKIP_3) | instid1(VALU_DEP_3)
	s_or_b32 exec_lo, exec_lo, s11
	v_dual_lshrrev_b32 v6, 16, v0 :: v_dual_lshrrev_b32 v31, 16, v17
	v_or_b32_e32 v35, v0, v1
	v_dual_lshrrev_b32 v36, 16, v30 :: v_dual_bitop2_b32 v17, v17, v19 bitop3:0x54
	v_cvt_f32_f16_e32 v1, v6
	s_delay_alu instid0(VALU_DEP_4) | instskip(SKIP_1) | instid1(VALU_DEP_4)
	v_cvt_f32_f16_e32 v0, v31
	v_dual_lshrrev_b32 v19, 16, v34 :: v_dual_bitop2_b32 v6, v30, v33 bitop3:0x54
	v_cvt_f32_f16_e32 v30, v17
	v_cvt_f32_f16_e32 v31, v35
	s_wait_loadcnt_dscnt 0x0
	v_pk_mul_f32 v[0:1], v[16:17], v[0:1] op_sel_hi:[0,1]
	v_or_b32_e32 v17, v34, v32
	v_cvt_f32_f16_e32 v33, v19
	v_cvt_f32_f16_e32 v32, v36
	s_delay_alu instid0(VALU_DEP_3) | instskip(NEXT) | instid1(VALU_DEP_1)
	v_pk_mul_f32 v[30:31], v[16:17], v[30:31] op_sel_hi:[0,1]
	v_cvt_pk_f16_f32 v19, v30, v31
	s_delay_alu instid0(VALU_DEP_1) | instskip(SKIP_3) | instid1(VALU_DEP_2)
	v_lshrrev_b32_e32 v37, 16, v19
	v_cvt_f32_f16_e32 v34, v6
	v_cvt_pk_f16_f32 v6, v0, v1
	v_and_b32_e32 v36, 0xffff, v19
	v_lshlrev_b32_e32 v30, 16, v6
	v_cvt_f32_f16_e32 v35, v17
	v_pk_mul_f32 v[0:1], v[16:17], v[32:33] op_sel_hi:[0,1]
	v_and_b32_e32 v31, 0xffff0000, v6
	s_delay_alu instid0(VALU_DEP_3) | instskip(NEXT) | instid1(VALU_DEP_3)
	v_pk_mul_f32 v[16:17], v[16:17], v[34:35] op_sel_hi:[0,1]
	v_cvt_pk_f16_f32 v0, v0, v1
	s_delay_alu instid0(VALU_DEP_3) | instskip(SKIP_1) | instid1(VALU_DEP_4)
	v_or_b32_e32 v35, v31, v37
	v_or_b32_e32 v34, v30, v36
	v_cvt_pk_f16_f32 v1, v16, v17
	s_delay_alu instid0(VALU_DEP_4) | instskip(NEXT) | instid1(VALU_DEP_2)
	v_and_b32_e32 v17, 0xffff0000, v0
	v_dual_lshlrev_b32 v6, 16, v0 :: v_dual_lshrrev_b32 v19, 16, v1
	v_and_b32_e32 v16, 0xffff, v1
	s_delay_alu instid0(VALU_DEP_2) | instskip(NEXT) | instid1(VALU_DEP_2)
	v_or_b32_e32 v33, v17, v19
	v_or_b32_e32 v32, v6, v16
	s_and_saveexec_b32 s11, vcc_lo
	s_cbranch_execz .LBB270_1074
; %bb.1073:                             ;   in Loop: Header=BB270_810 Depth=1
	v_cmp_lt_i32_e64 s0, v54, v13
	s_delay_alu instid0(VALU_DEP_1) | instskip(SKIP_1) | instid1(VALU_DEP_1)
	v_cndmask_b32_e64 v0, 0, v37, s0
	v_cmp_lt_i32_e64 s0, v71, v12
	v_cndmask_b32_e64 v1, 0, v36, s0
	v_cmp_lt_i32_e64 s0, v70, v13
	s_delay_alu instid0(VALU_DEP_1) | instskip(SKIP_1) | instid1(VALU_DEP_1)
	v_cndmask_b32_e64 v31, 0, v31, s0
	v_cmp_lt_i32_e64 s0, v69, v12
	v_cndmask_b32_e64 v30, 0, v30, s0
	v_cmp_lt_i32_e64 s0, v68, v13
	s_delay_alu instid0(VALU_DEP_4) | instskip(NEXT) | instid1(VALU_DEP_2)
	v_or_b32_e32 v35, v0, v31
	v_dual_cndmask_b32 v19, 0, v19, s0 :: v_dual_bitop2_b32 v34, v1, v30 bitop3:0x54
	v_cmp_lt_i32_e64 s0, v67, v12
	s_delay_alu instid0(VALU_DEP_1) | instskip(SKIP_1) | instid1(VALU_DEP_1)
	v_cndmask_b32_e64 v16, 0, v16, s0
	v_cmp_lt_i32_e64 s0, v66, v13
	v_cndmask_b32_e64 v17, 0, v17, s0
	v_cmp_lt_i32_e64 s0, v65, v12
	s_delay_alu instid0(VALU_DEP_1) | instskip(NEXT) | instid1(VALU_DEP_1)
	v_dual_cndmask_b32 v6, 0, v6, s0 :: v_dual_bitop2_b32 v33, v19, v17 bitop3:0x54
	v_or_b32_e32 v32, v16, v6
.LBB270_1074:                           ;   in Loop: Header=BB270_810 Depth=1
	s_or_b32 exec_lo, exec_lo, s11
	;;#ASMSTART
	v_pk_mul_f16 v0, v80, v35;

	;;#ASMEND
	;;#ASMSTART
	v_pk_mul_f16 v1, v49, v34;

	;;#ASMEND
	;; [unrolled: 4-line block ×4, first 2 shown]
	;;#ASMSTART
	v_pk_add_f16 v0, v0, v1;

	;;#ASMEND
	;;#ASMSTART
	v_pk_add_f16 v0, v0, v6;

	;;#ASMEND
	;; [unrolled: 4-line block ×3, first 2 shown]
	v_and_b32_e32 v1, 0xffff, v0
	v_lshrrev_b32_e32 v0, 16, v0
	;;#ASMSTART
	v_cvt_f32_f16 v87, v1;
	;;#ASMEND
	v_mov_b32_e32 v1, 0
	;;#ASMSTART
	v_cvt_f32_f16 v96, v0;
	;;#ASMEND
	flat_load_b64 v[30:31], v[10:11] offset:1024
	flat_load_b32 v16, v[22:23]
	v_mov_b32_e32 v0, 0
	s_mov_b32 s11, exec_lo
	s_wait_loadcnt_dscnt 0x101
	v_and_b32_e32 v6, 0xff, v30
	s_wait_xcnt 0x0
	s_delay_alu instid0(VALU_DEP_1)
	v_cmpx_ne_u16_e32 0, v6
	s_cbranch_execz .LBB270_1082
; %bb.1075:                             ;   in Loop: Header=BB270_810 Depth=1
	v_mov_b32_e32 v1, 0x8000
	s_mov_b32 s16, exec_lo
	v_cmpx_ne_u16_e32 0x80, v6
	s_cbranch_execz .LBB270_1081
; %bb.1076:                             ;   in Loop: Header=BB270_810 Depth=1
	v_and_b32_e32 v17, 0x7f, v30
	v_mov_b32_e32 v1, 0x7c01
	s_mov_b32 s17, exec_lo
	s_delay_alu instid0(VALU_DEP_2)
	v_cmpx_ne_u32_e32 0x7f, v17
	s_cbranch_execz .LBB270_1080
; %bb.1077:                             ;   in Loop: Header=BB270_810 Depth=1
	v_dual_lshrrev_b32 v6, 3, v17 :: v_dual_bitop2_b32 v1, 7, v30 bitop3:0x40
	s_mov_b32 s18, exec_lo
	v_cmpx_gt_u32_e32 8, v17
; %bb.1078:                             ;   in Loop: Header=BB270_810 Depth=1
	s_delay_alu instid0(VALU_DEP_2) | instskip(NEXT) | instid1(VALU_DEP_1)
	v_clz_i32_u32_e32 v1, v1
	v_min_u32_e32 v1, 32, v1
	s_delay_alu instid0(VALU_DEP_1) | instskip(NEXT) | instid1(VALU_DEP_1)
	v_subrev_nc_u32_e32 v6, 28, v1
	v_lshlrev_b64_e32 v[32:33], v6, v[30:31]
	s_delay_alu instid0(VALU_DEP_1)
	v_dual_sub_nc_u32 v6, 29, v1 :: v_dual_bitop2_b32 v1, 7, v32 bitop3:0x40
; %bb.1079:                             ;   in Loop: Header=BB270_810 Depth=1
	s_or_b32 exec_lo, exec_lo, s18
	s_delay_alu instid0(VALU_DEP_1) | instskip(NEXT) | instid1(VALU_DEP_2)
	v_dual_lshlrev_b32 v17, 8, v30 :: v_dual_lshlrev_b32 v1, 7, v1
	v_lshl_add_u32 v6, v6, 10, 0x2000
	s_delay_alu instid0(VALU_DEP_2) | instskip(NEXT) | instid1(VALU_DEP_2)
	v_and_b32_e32 v17, 0x8000, v17
	v_and_b32_e32 v6, 0xfc00, v6
	s_delay_alu instid0(VALU_DEP_1)
	v_or3_b32 v1, v17, v6, v1
.LBB270_1080:                           ;   in Loop: Header=BB270_810 Depth=1
	s_or_b32 exec_lo, exec_lo, s17
.LBB270_1081:                           ;   in Loop: Header=BB270_810 Depth=1
	s_delay_alu instid0(SALU_CYCLE_1)
	s_or_b32 exec_lo, exec_lo, s16
.LBB270_1082:                           ;   in Loop: Header=BB270_810 Depth=1
	s_delay_alu instid0(SALU_CYCLE_1) | instskip(SKIP_2) | instid1(VALU_DEP_1)
	s_or_b32 exec_lo, exec_lo, s11
	v_lshrrev_b16 v6, 8, v30
	s_mov_b32 s11, exec_lo
	v_cmpx_ne_u16_e32 0, v6
	s_cbranch_execz .LBB270_1090
; %bb.1083:                             ;   in Loop: Header=BB270_810 Depth=1
	v_bfrev_b32_e32 v0, 1
	s_mov_b32 s16, exec_lo
	v_cmpx_ne_u16_e32 0x80, v6
	s_cbranch_execz .LBB270_1089
; %bb.1084:                             ;   in Loop: Header=BB270_810 Depth=1
	v_and_b32_e32 v17, 0xffff, v6
	v_mov_b32_e32 v0, 0x7c010000
	s_mov_b32 s17, exec_lo
	s_delay_alu instid0(VALU_DEP_2) | instskip(NEXT) | instid1(VALU_DEP_1)
	v_and_b32_e32 v32, 0x7f, v17
	v_cmpx_ne_u32_e32 0x7f, v32
	s_cbranch_execz .LBB270_1088
; %bb.1085:                             ;   in Loop: Header=BB270_810 Depth=1
	v_dual_lshrrev_b32 v19, 3, v32 :: v_dual_bitop2_b32 v0, 7, v17 bitop3:0x40
	s_mov_b32 s18, exec_lo
	v_cmpx_gt_u32_e32 8, v32
; %bb.1086:                             ;   in Loop: Header=BB270_810 Depth=1
	s_delay_alu instid0(VALU_DEP_2) | instskip(NEXT) | instid1(VALU_DEP_1)
	v_clz_i32_u32_e32 v0, v0
	v_min_u32_e32 v0, 32, v0
	s_delay_alu instid0(VALU_DEP_1) | instskip(NEXT) | instid1(VALU_DEP_1)
	v_subrev_nc_u32_e32 v19, 28, v0
	v_lshlrev_b64_e32 v[32:33], v19, v[6:7]
	v_sub_nc_u32_e32 v19, 29, v0
	s_delay_alu instid0(VALU_DEP_2)
	v_and_b32_e32 v0, 7, v32
; %bb.1087:                             ;   in Loop: Header=BB270_810 Depth=1
	s_or_b32 exec_lo, exec_lo, s18
	s_delay_alu instid0(VALU_DEP_1) | instskip(NEXT) | instid1(VALU_DEP_3)
	v_dual_lshlrev_b32 v6, 8, v17 :: v_dual_lshlrev_b32 v0, 23, v0
	v_lshl_add_u32 v17, v19, 10, 0x2000
	s_delay_alu instid0(VALU_DEP_1) | instskip(NEXT) | instid1(VALU_DEP_1)
	v_and_or_b32 v6, 0x8000, v6, v17
	v_lshl_or_b32 v0, v6, 16, v0
.LBB270_1088:                           ;   in Loop: Header=BB270_810 Depth=1
	s_or_b32 exec_lo, exec_lo, s17
.LBB270_1089:                           ;   in Loop: Header=BB270_810 Depth=1
	s_delay_alu instid0(SALU_CYCLE_1)
	s_or_b32 exec_lo, exec_lo, s16
.LBB270_1090:                           ;   in Loop: Header=BB270_810 Depth=1
	s_delay_alu instid0(SALU_CYCLE_1) | instskip(SKIP_3) | instid1(VALU_DEP_2)
	s_or_b32 exec_lo, exec_lo, s11
	v_dual_mov_b32 v17, 0 :: v_dual_lshrrev_b32 v6, 16, v30
	v_mov_b32_e32 v19, 0
	s_mov_b32 s11, exec_lo
	v_and_b32_e32 v32, 0xff, v6
	s_delay_alu instid0(VALU_DEP_1)
	v_cmpx_ne_u16_e32 0, v32
	s_cbranch_execz .LBB270_1098
; %bb.1091:                             ;   in Loop: Header=BB270_810 Depth=1
	v_mov_b32_e32 v19, 0x8000
	s_mov_b32 s16, exec_lo
	v_cmpx_ne_u16_e32 0x80, v32
	s_cbranch_execz .LBB270_1097
; %bb.1092:                             ;   in Loop: Header=BB270_810 Depth=1
	v_bfe_u32 v33, v30, 16, 7
	v_mov_b32_e32 v19, 0x7c01
	s_mov_b32 s17, exec_lo
	s_delay_alu instid0(VALU_DEP_2)
	v_cmpx_ne_u32_e32 0x7f, v33
	s_cbranch_execz .LBB270_1096
; %bb.1093:                             ;   in Loop: Header=BB270_810 Depth=1
	v_dual_lshrrev_b32 v32, 3, v33 :: v_dual_bitop2_b32 v19, 7, v6 bitop3:0x40
	s_mov_b32 s18, exec_lo
	v_cmpx_gt_u32_e32 8, v33
; %bb.1094:                             ;   in Loop: Header=BB270_810 Depth=1
	s_delay_alu instid0(VALU_DEP_2) | instskip(NEXT) | instid1(VALU_DEP_1)
	v_clz_i32_u32_e32 v19, v19
	v_min_u32_e32 v19, 32, v19
	s_delay_alu instid0(VALU_DEP_1) | instskip(NEXT) | instid1(VALU_DEP_1)
	v_subrev_nc_u32_e32 v32, 28, v19
	v_lshlrev_b64_e32 v[34:35], v32, v[6:7]
	s_delay_alu instid0(VALU_DEP_1)
	v_dual_sub_nc_u32 v32, 29, v19 :: v_dual_bitop2_b32 v19, 7, v34 bitop3:0x40
; %bb.1095:                             ;   in Loop: Header=BB270_810 Depth=1
	s_or_b32 exec_lo, exec_lo, s18
	s_delay_alu instid0(VALU_DEP_1) | instskip(NEXT) | instid1(VALU_DEP_2)
	v_dual_lshlrev_b32 v6, 8, v6 :: v_dual_lshlrev_b32 v19, 7, v19
	v_lshl_add_u32 v32, v32, 10, 0x2000
	s_delay_alu instid0(VALU_DEP_2) | instskip(NEXT) | instid1(VALU_DEP_2)
	v_and_b32_e32 v6, 0x8000, v6
	v_and_b32_e32 v32, 0xfc00, v32
	s_delay_alu instid0(VALU_DEP_1)
	v_or3_b32 v19, v6, v32, v19
.LBB270_1096:                           ;   in Loop: Header=BB270_810 Depth=1
	s_or_b32 exec_lo, exec_lo, s17
.LBB270_1097:                           ;   in Loop: Header=BB270_810 Depth=1
	s_delay_alu instid0(SALU_CYCLE_1)
	s_or_b32 exec_lo, exec_lo, s16
.LBB270_1098:                           ;   in Loop: Header=BB270_810 Depth=1
	s_delay_alu instid0(SALU_CYCLE_1) | instskip(NEXT) | instid1(SALU_CYCLE_1)
	s_or_b32 exec_lo, exec_lo, s11
	s_mov_b32 s11, exec_lo
	v_cmpx_lt_u32_e32 0xffffff, v30
	s_cbranch_execz .LBB270_1106
; %bb.1099:                             ;   in Loop: Header=BB270_810 Depth=1
	v_lshrrev_b32_e32 v6, 24, v30
	v_bfrev_b32_e32 v17, 1
	s_mov_b32 s16, exec_lo
	s_delay_alu instid0(VALU_DEP_2)
	v_cmpx_ne_u32_e32 0x80, v6
	s_cbranch_execz .LBB270_1105
; %bb.1100:                             ;   in Loop: Header=BB270_810 Depth=1
	v_and_b32_e32 v33, 0x7f, v6
	v_mov_b32_e32 v17, 0x7c010000
	s_mov_b32 s17, exec_lo
	s_delay_alu instid0(VALU_DEP_2)
	v_cmpx_ne_u32_e32 0x7f, v33
	s_cbranch_execz .LBB270_1104
; %bb.1101:                             ;   in Loop: Header=BB270_810 Depth=1
	v_dual_lshrrev_b32 v32, 3, v33 :: v_dual_bitop2_b32 v17, 7, v6 bitop3:0x40
	s_mov_b32 s18, exec_lo
	v_cmpx_gt_u32_e32 8, v33
; %bb.1102:                             ;   in Loop: Header=BB270_810 Depth=1
	s_delay_alu instid0(VALU_DEP_2) | instskip(NEXT) | instid1(VALU_DEP_1)
	v_clz_i32_u32_e32 v17, v17
	v_min_u32_e32 v17, 32, v17
	s_delay_alu instid0(VALU_DEP_1) | instskip(NEXT) | instid1(VALU_DEP_1)
	v_subrev_nc_u32_e32 v32, 28, v17
	v_lshlrev_b64_e32 v[34:35], v32, v[6:7]
	s_delay_alu instid0(VALU_DEP_1)
	v_dual_sub_nc_u32 v32, 29, v17 :: v_dual_bitop2_b32 v17, 7, v34 bitop3:0x40
; %bb.1103:                             ;   in Loop: Header=BB270_810 Depth=1
	s_or_b32 exec_lo, exec_lo, s18
	s_delay_alu instid0(VALU_DEP_1) | instskip(NEXT) | instid1(VALU_DEP_2)
	v_dual_lshlrev_b32 v6, 8, v6 :: v_dual_lshlrev_b32 v17, 23, v17
	v_lshl_add_u32 v32, v32, 10, 0x2000
	s_delay_alu instid0(VALU_DEP_1) | instskip(NEXT) | instid1(VALU_DEP_1)
	v_and_or_b32 v6, 0x8000, v6, v32
	v_lshl_or_b32 v17, v6, 16, v17
.LBB270_1104:                           ;   in Loop: Header=BB270_810 Depth=1
	s_or_b32 exec_lo, exec_lo, s17
.LBB270_1105:                           ;   in Loop: Header=BB270_810 Depth=1
	s_delay_alu instid0(SALU_CYCLE_1)
	s_or_b32 exec_lo, exec_lo, s16
.LBB270_1106:                           ;   in Loop: Header=BB270_810 Depth=1
	s_delay_alu instid0(SALU_CYCLE_1) | instskip(SKIP_4) | instid1(VALU_DEP_3)
	s_or_b32 exec_lo, exec_lo, s11
	v_and_b32_e32 v34, 0xff, v31
	v_dual_mov_b32 v6, v31 :: v_dual_mov_b32 v33, 0
	v_mov_b32_e32 v32, 0
	s_mov_b32 s11, exec_lo
	v_cmpx_ne_u16_e32 0, v34
	s_cbranch_execz .LBB270_1114
; %bb.1107:                             ;   in Loop: Header=BB270_810 Depth=1
	v_mov_b32_e32 v32, 0x8000
	s_mov_b32 s16, exec_lo
	v_cmpx_ne_u16_e32 0x80, v34
	s_cbranch_execz .LBB270_1113
; %bb.1108:                             ;   in Loop: Header=BB270_810 Depth=1
	v_and_b32_e32 v35, 0x7f, v31
	v_mov_b32_e32 v32, 0x7c01
	s_mov_b32 s17, exec_lo
	s_delay_alu instid0(VALU_DEP_2)
	v_cmpx_ne_u32_e32 0x7f, v35
	s_cbranch_execz .LBB270_1112
; %bb.1109:                             ;   in Loop: Header=BB270_810 Depth=1
	v_and_b32_e32 v32, 7, v31
	v_lshrrev_b32_e32 v34, 3, v35
	s_mov_b32 s18, exec_lo
	v_cmpx_gt_u32_e32 8, v35
; %bb.1110:                             ;   in Loop: Header=BB270_810 Depth=1
	s_delay_alu instid0(VALU_DEP_3) | instskip(NEXT) | instid1(VALU_DEP_1)
	v_clz_i32_u32_e32 v32, v32
	v_min_u32_e32 v32, 32, v32
	s_delay_alu instid0(VALU_DEP_1) | instskip(NEXT) | instid1(VALU_DEP_1)
	v_subrev_nc_u32_e32 v34, 28, v32
	v_lshlrev_b64_e32 v[36:37], v34, v[6:7]
	v_sub_nc_u32_e32 v34, 29, v32
	s_delay_alu instid0(VALU_DEP_2)
	v_and_b32_e32 v32, 7, v36
; %bb.1111:                             ;   in Loop: Header=BB270_810 Depth=1
	s_or_b32 exec_lo, exec_lo, s18
	s_delay_alu instid0(VALU_DEP_1) | instskip(NEXT) | instid1(VALU_DEP_3)
	v_dual_lshlrev_b32 v35, 8, v31 :: v_dual_lshlrev_b32 v32, 7, v32
	v_lshl_add_u32 v34, v34, 10, 0x2000
	s_delay_alu instid0(VALU_DEP_2) | instskip(NEXT) | instid1(VALU_DEP_2)
	v_and_b32_e32 v35, 0x8000, v35
	v_and_b32_e32 v34, 0xfc00, v34
	s_delay_alu instid0(VALU_DEP_1)
	v_or3_b32 v32, v35, v34, v32
.LBB270_1112:                           ;   in Loop: Header=BB270_810 Depth=1
	s_or_b32 exec_lo, exec_lo, s17
.LBB270_1113:                           ;   in Loop: Header=BB270_810 Depth=1
	s_delay_alu instid0(SALU_CYCLE_1)
	s_or_b32 exec_lo, exec_lo, s16
.LBB270_1114:                           ;   in Loop: Header=BB270_810 Depth=1
	s_delay_alu instid0(SALU_CYCLE_1) | instskip(SKIP_3) | instid1(VALU_DEP_2)
	s_or_b32 exec_lo, exec_lo, s11
	v_lshrrev_b16 v6, 8, v6
	v_mov_b32_e32 v34, 0
	s_mov_b32 s11, exec_lo
	v_cmpx_ne_u16_e32 0, v6
	s_cbranch_execz .LBB270_1122
; %bb.1115:                             ;   in Loop: Header=BB270_810 Depth=1
	v_bfrev_b32_e32 v34, 1
	s_mov_b32 s16, exec_lo
	v_cmpx_ne_u16_e32 0x80, v6
	s_cbranch_execz .LBB270_1121
; %bb.1116:                             ;   in Loop: Header=BB270_810 Depth=1
	v_and_b32_e32 v35, 0xffff, v6
	v_mov_b32_e32 v34, 0x7c010000
	s_mov_b32 s17, exec_lo
	s_delay_alu instid0(VALU_DEP_2) | instskip(NEXT) | instid1(VALU_DEP_1)
	v_and_b32_e32 v37, 0x7f, v35
	v_cmpx_ne_u32_e32 0x7f, v37
	s_cbranch_execz .LBB270_1120
; %bb.1117:                             ;   in Loop: Header=BB270_810 Depth=1
	v_dual_lshrrev_b32 v36, 3, v37 :: v_dual_bitop2_b32 v34, 7, v35 bitop3:0x40
	s_mov_b32 s18, exec_lo
	v_cmpx_gt_u32_e32 8, v37
; %bb.1118:                             ;   in Loop: Header=BB270_810 Depth=1
	s_delay_alu instid0(VALU_DEP_2) | instskip(NEXT) | instid1(VALU_DEP_1)
	v_clz_i32_u32_e32 v34, v34
	v_min_u32_e32 v34, 32, v34
	s_delay_alu instid0(VALU_DEP_1) | instskip(NEXT) | instid1(VALU_DEP_1)
	v_subrev_nc_u32_e32 v36, 28, v34
	v_lshlrev_b64_e32 v[98:99], v36, v[6:7]
	v_sub_nc_u32_e32 v36, 29, v34
	s_delay_alu instid0(VALU_DEP_2)
	v_and_b32_e32 v34, 7, v98
; %bb.1119:                             ;   in Loop: Header=BB270_810 Depth=1
	s_or_b32 exec_lo, exec_lo, s18
	s_delay_alu instid0(VALU_DEP_1) | instskip(NEXT) | instid1(VALU_DEP_3)
	v_dual_lshlrev_b32 v6, 8, v35 :: v_dual_lshlrev_b32 v34, 23, v34
	v_lshl_add_u32 v35, v36, 10, 0x2000
	s_delay_alu instid0(VALU_DEP_1) | instskip(NEXT) | instid1(VALU_DEP_1)
	v_and_or_b32 v6, 0x8000, v6, v35
	v_lshl_or_b32 v34, v6, 16, v34
.LBB270_1120:                           ;   in Loop: Header=BB270_810 Depth=1
	s_or_b32 exec_lo, exec_lo, s17
.LBB270_1121:                           ;   in Loop: Header=BB270_810 Depth=1
	s_delay_alu instid0(SALU_CYCLE_1)
	s_or_b32 exec_lo, exec_lo, s16
.LBB270_1122:                           ;   in Loop: Header=BB270_810 Depth=1
	s_delay_alu instid0(SALU_CYCLE_1) | instskip(SKIP_2) | instid1(VALU_DEP_1)
	s_or_b32 exec_lo, exec_lo, s11
	v_lshrrev_b32_e32 v6, 16, v31
	s_mov_b32 s11, exec_lo
	v_and_b32_e32 v35, 0xff, v6
	s_delay_alu instid0(VALU_DEP_1)
	v_cmpx_ne_u16_e32 0, v35
	s_cbranch_execz .LBB270_1130
; %bb.1123:                             ;   in Loop: Header=BB270_810 Depth=1
	v_mov_b32_e32 v33, 0x8000
	s_mov_b32 s16, exec_lo
	v_cmpx_ne_u16_e32 0x80, v35
	s_cbranch_execz .LBB270_1129
; %bb.1124:                             ;   in Loop: Header=BB270_810 Depth=1
	v_bfe_u32 v36, v31, 16, 7
	v_mov_b32_e32 v33, 0x7c01
	s_mov_b32 s17, exec_lo
	s_delay_alu instid0(VALU_DEP_2)
	v_cmpx_ne_u32_e32 0x7f, v36
	s_cbranch_execz .LBB270_1128
; %bb.1125:                             ;   in Loop: Header=BB270_810 Depth=1
	v_dual_lshrrev_b32 v35, 3, v36 :: v_dual_bitop2_b32 v33, 7, v6 bitop3:0x40
	s_mov_b32 s18, exec_lo
	v_cmpx_gt_u32_e32 8, v36
; %bb.1126:                             ;   in Loop: Header=BB270_810 Depth=1
	s_delay_alu instid0(VALU_DEP_2) | instskip(NEXT) | instid1(VALU_DEP_1)
	v_clz_i32_u32_e32 v33, v33
	v_min_u32_e32 v33, 32, v33
	s_delay_alu instid0(VALU_DEP_1) | instskip(NEXT) | instid1(VALU_DEP_1)
	v_subrev_nc_u32_e32 v35, 28, v33
	v_lshlrev_b64_e32 v[36:37], v35, v[6:7]
	s_delay_alu instid0(VALU_DEP_1)
	v_dual_sub_nc_u32 v35, 29, v33 :: v_dual_bitop2_b32 v33, 7, v36 bitop3:0x40
; %bb.1127:                             ;   in Loop: Header=BB270_810 Depth=1
	s_or_b32 exec_lo, exec_lo, s18
	s_delay_alu instid0(VALU_DEP_1) | instskip(NEXT) | instid1(VALU_DEP_2)
	v_dual_lshlrev_b32 v6, 8, v6 :: v_dual_lshlrev_b32 v33, 7, v33
	v_lshl_add_u32 v35, v35, 10, 0x2000
	s_delay_alu instid0(VALU_DEP_2) | instskip(NEXT) | instid1(VALU_DEP_2)
	v_and_b32_e32 v6, 0x8000, v6
	v_and_b32_e32 v35, 0xfc00, v35
	s_delay_alu instid0(VALU_DEP_1)
	v_or3_b32 v33, v6, v35, v33
.LBB270_1128:                           ;   in Loop: Header=BB270_810 Depth=1
	s_or_b32 exec_lo, exec_lo, s17
.LBB270_1129:                           ;   in Loop: Header=BB270_810 Depth=1
	s_delay_alu instid0(SALU_CYCLE_1)
	s_or_b32 exec_lo, exec_lo, s16
.LBB270_1130:                           ;   in Loop: Header=BB270_810 Depth=1
	s_delay_alu instid0(SALU_CYCLE_1)
	s_or_b32 exec_lo, exec_lo, s11
	v_cmp_lt_u64_e64 s0, s[2:3], v[30:31]
	v_mov_b32_e32 v30, 0
	s_and_saveexec_b32 s11, s0
	s_cbranch_execz .LBB270_1138
; %bb.1131:                             ;   in Loop: Header=BB270_810 Depth=1
	v_lshrrev_b32_e32 v6, 24, v31
	v_bfrev_b32_e32 v30, 1
	s_mov_b32 s16, exec_lo
	s_delay_alu instid0(VALU_DEP_2)
	v_cmpx_ne_u32_e32 0x80, v6
	s_cbranch_execz .LBB270_1137
; %bb.1132:                             ;   in Loop: Header=BB270_810 Depth=1
	v_and_b32_e32 v35, 0x7f, v6
	v_mov_b32_e32 v30, 0x7c010000
	s_mov_b32 s17, exec_lo
	s_delay_alu instid0(VALU_DEP_2)
	v_cmpx_ne_u32_e32 0x7f, v35
	s_cbranch_execz .LBB270_1136
; %bb.1133:                             ;   in Loop: Header=BB270_810 Depth=1
	v_dual_lshrrev_b32 v31, 3, v35 :: v_dual_bitop2_b32 v30, 7, v6 bitop3:0x40
	s_mov_b32 s18, exec_lo
	v_cmpx_gt_u32_e32 8, v35
; %bb.1134:                             ;   in Loop: Header=BB270_810 Depth=1
	s_delay_alu instid0(VALU_DEP_2) | instskip(NEXT) | instid1(VALU_DEP_1)
	v_clz_i32_u32_e32 v30, v30
	v_min_u32_e32 v35, 32, v30
	s_delay_alu instid0(VALU_DEP_1) | instskip(NEXT) | instid1(VALU_DEP_1)
	v_subrev_nc_u32_e32 v30, 28, v35
	v_lshlrev_b64_e32 v[30:31], v30, v[6:7]
	s_delay_alu instid0(VALU_DEP_1)
	v_dual_sub_nc_u32 v31, 29, v35 :: v_dual_bitop2_b32 v30, 7, v30 bitop3:0x40
; %bb.1135:                             ;   in Loop: Header=BB270_810 Depth=1
	s_or_b32 exec_lo, exec_lo, s18
	v_lshlrev_b32_e32 v6, 8, v6
	s_delay_alu instid0(VALU_DEP_2) | instskip(NEXT) | instid1(VALU_DEP_3)
	v_lshl_add_u32 v31, v31, 10, 0x2000
	v_lshlrev_b32_e32 v30, 23, v30
	s_delay_alu instid0(VALU_DEP_2) | instskip(NEXT) | instid1(VALU_DEP_1)
	v_and_or_b32 v6, 0x8000, v6, v31
	v_lshl_or_b32 v30, v6, 16, v30
.LBB270_1136:                           ;   in Loop: Header=BB270_810 Depth=1
	s_or_b32 exec_lo, exec_lo, s17
.LBB270_1137:                           ;   in Loop: Header=BB270_810 Depth=1
	s_delay_alu instid0(SALU_CYCLE_1)
	s_or_b32 exec_lo, exec_lo, s16
.LBB270_1138:                           ;   in Loop: Header=BB270_810 Depth=1
	s_delay_alu instid0(SALU_CYCLE_1) | instskip(SKIP_3) | instid1(VALU_DEP_3)
	s_or_b32 exec_lo, exec_lo, s11
	v_dual_lshrrev_b32 v6, 16, v0 :: v_dual_lshrrev_b32 v31, 16, v17
	v_or_b32_e32 v35, v0, v1
	v_dual_lshrrev_b32 v36, 16, v30 :: v_dual_bitop2_b32 v17, v17, v19 bitop3:0x54
	v_cvt_f32_f16_e32 v1, v6
	s_delay_alu instid0(VALU_DEP_4) | instskip(SKIP_1) | instid1(VALU_DEP_4)
	v_cvt_f32_f16_e32 v0, v31
	v_dual_lshrrev_b32 v19, 16, v34 :: v_dual_bitop2_b32 v6, v30, v33 bitop3:0x54
	v_cvt_f32_f16_e32 v30, v17
	v_cvt_f32_f16_e32 v31, v35
	s_wait_loadcnt_dscnt 0x0
	v_pk_mul_f32 v[0:1], v[16:17], v[0:1] op_sel_hi:[0,1]
	v_or_b32_e32 v17, v34, v32
	v_cvt_f32_f16_e32 v33, v19
	v_cvt_f32_f16_e32 v32, v36
	s_delay_alu instid0(VALU_DEP_3) | instskip(NEXT) | instid1(VALU_DEP_1)
	v_pk_mul_f32 v[30:31], v[16:17], v[30:31] op_sel_hi:[0,1]
	v_cvt_pk_f16_f32 v19, v30, v31
	s_delay_alu instid0(VALU_DEP_1) | instskip(SKIP_3) | instid1(VALU_DEP_2)
	v_lshrrev_b32_e32 v37, 16, v19
	v_cvt_f32_f16_e32 v34, v6
	v_cvt_pk_f16_f32 v6, v0, v1
	v_and_b32_e32 v36, 0xffff, v19
	v_lshlrev_b32_e32 v30, 16, v6
	v_cvt_f32_f16_e32 v35, v17
	v_pk_mul_f32 v[0:1], v[16:17], v[32:33] op_sel_hi:[0,1]
	v_and_b32_e32 v31, 0xffff0000, v6
	s_delay_alu instid0(VALU_DEP_3) | instskip(NEXT) | instid1(VALU_DEP_3)
	v_pk_mul_f32 v[16:17], v[16:17], v[34:35] op_sel_hi:[0,1]
	v_cvt_pk_f16_f32 v0, v0, v1
	s_delay_alu instid0(VALU_DEP_3) | instskip(SKIP_1) | instid1(VALU_DEP_4)
	v_or_b32_e32 v35, v31, v37
	v_or_b32_e32 v34, v30, v36
	v_cvt_pk_f16_f32 v1, v16, v17
	s_delay_alu instid0(VALU_DEP_4) | instskip(NEXT) | instid1(VALU_DEP_2)
	v_and_b32_e32 v17, 0xffff0000, v0
	v_dual_lshlrev_b32 v6, 16, v0 :: v_dual_lshrrev_b32 v19, 16, v1
	v_and_b32_e32 v16, 0xffff, v1
	s_delay_alu instid0(VALU_DEP_2) | instskip(NEXT) | instid1(VALU_DEP_2)
	v_or_b32_e32 v33, v17, v19
	v_or_b32_e32 v32, v6, v16
	s_and_saveexec_b32 s11, vcc_lo
	s_cbranch_execz .LBB270_1140
; %bb.1139:                             ;   in Loop: Header=BB270_810 Depth=1
	v_cmp_lt_i32_e64 s0, v54, v13
	s_delay_alu instid0(VALU_DEP_1) | instskip(SKIP_1) | instid1(VALU_DEP_1)
	v_cndmask_b32_e64 v0, 0, v37, s0
	v_cmp_lt_i32_e64 s0, v71, v12
	v_cndmask_b32_e64 v1, 0, v36, s0
	v_cmp_lt_i32_e64 s0, v70, v13
	s_delay_alu instid0(VALU_DEP_1) | instskip(SKIP_1) | instid1(VALU_DEP_1)
	v_cndmask_b32_e64 v31, 0, v31, s0
	v_cmp_lt_i32_e64 s0, v69, v12
	v_cndmask_b32_e64 v30, 0, v30, s0
	v_cmp_lt_i32_e64 s0, v68, v13
	s_delay_alu instid0(VALU_DEP_4) | instskip(NEXT) | instid1(VALU_DEP_2)
	v_or_b32_e32 v35, v0, v31
	v_dual_cndmask_b32 v19, 0, v19, s0 :: v_dual_bitop2_b32 v34, v1, v30 bitop3:0x54
	v_cmp_lt_i32_e64 s0, v67, v12
	s_delay_alu instid0(VALU_DEP_1) | instskip(SKIP_1) | instid1(VALU_DEP_1)
	v_cndmask_b32_e64 v16, 0, v16, s0
	v_cmp_lt_i32_e64 s0, v66, v13
	v_cndmask_b32_e64 v17, 0, v17, s0
	v_cmp_lt_i32_e64 s0, v65, v12
	s_delay_alu instid0(VALU_DEP_1) | instskip(NEXT) | instid1(VALU_DEP_1)
	v_dual_cndmask_b32 v6, 0, v6, s0 :: v_dual_bitop2_b32 v33, v19, v17 bitop3:0x54
	v_or_b32_e32 v32, v16, v6
.LBB270_1140:                           ;   in Loop: Header=BB270_810 Depth=1
	s_or_b32 exec_lo, exec_lo, s11
	;;#ASMSTART
	v_pk_mul_f16 v0, v80, v35;

	;;#ASMEND
	;;#ASMSTART
	v_pk_mul_f16 v1, v49, v34;

	;;#ASMEND
	;; [unrolled: 4-line block ×4, first 2 shown]
	;;#ASMSTART
	v_pk_add_f16 v0, v0, v1;

	;;#ASMEND
	;;#ASMSTART
	v_pk_add_f16 v0, v0, v6;

	;;#ASMEND
	;; [unrolled: 4-line block ×3, first 2 shown]
	v_and_b32_e32 v1, 0xffff, v0
	v_lshrrev_b32_e32 v0, 16, v0
	;;#ASMSTART
	v_cvt_f32_f16 v97, v1;
	;;#ASMEND
	v_mov_b32_e32 v1, 0
	;;#ASMSTART
	v_cvt_f32_f16 v98, v0;
	;;#ASMEND
	flat_load_b64 v[30:31], v[10:11] offset:1280
	flat_load_b32 v16, v[22:23]
	v_mov_b32_e32 v0, 0
	s_mov_b32 s11, exec_lo
	s_wait_loadcnt_dscnt 0x101
	v_and_b32_e32 v6, 0xff, v30
	s_wait_xcnt 0x0
	s_delay_alu instid0(VALU_DEP_1)
	v_cmpx_ne_u16_e32 0, v6
	s_cbranch_execz .LBB270_1148
; %bb.1141:                             ;   in Loop: Header=BB270_810 Depth=1
	v_mov_b32_e32 v1, 0x8000
	s_mov_b32 s16, exec_lo
	v_cmpx_ne_u16_e32 0x80, v6
	s_cbranch_execz .LBB270_1147
; %bb.1142:                             ;   in Loop: Header=BB270_810 Depth=1
	v_and_b32_e32 v17, 0x7f, v30
	v_mov_b32_e32 v1, 0x7c01
	s_mov_b32 s17, exec_lo
	s_delay_alu instid0(VALU_DEP_2)
	v_cmpx_ne_u32_e32 0x7f, v17
	s_cbranch_execz .LBB270_1146
; %bb.1143:                             ;   in Loop: Header=BB270_810 Depth=1
	v_dual_lshrrev_b32 v6, 3, v17 :: v_dual_bitop2_b32 v1, 7, v30 bitop3:0x40
	s_mov_b32 s18, exec_lo
	v_cmpx_gt_u32_e32 8, v17
; %bb.1144:                             ;   in Loop: Header=BB270_810 Depth=1
	s_delay_alu instid0(VALU_DEP_2) | instskip(NEXT) | instid1(VALU_DEP_1)
	v_clz_i32_u32_e32 v1, v1
	v_min_u32_e32 v1, 32, v1
	s_delay_alu instid0(VALU_DEP_1) | instskip(NEXT) | instid1(VALU_DEP_1)
	v_subrev_nc_u32_e32 v6, 28, v1
	v_lshlrev_b64_e32 v[32:33], v6, v[30:31]
	s_delay_alu instid0(VALU_DEP_1)
	v_dual_sub_nc_u32 v6, 29, v1 :: v_dual_bitop2_b32 v1, 7, v32 bitop3:0x40
; %bb.1145:                             ;   in Loop: Header=BB270_810 Depth=1
	s_or_b32 exec_lo, exec_lo, s18
	s_delay_alu instid0(VALU_DEP_1) | instskip(NEXT) | instid1(VALU_DEP_2)
	v_dual_lshlrev_b32 v17, 8, v30 :: v_dual_lshlrev_b32 v1, 7, v1
	v_lshl_add_u32 v6, v6, 10, 0x2000
	s_delay_alu instid0(VALU_DEP_2) | instskip(NEXT) | instid1(VALU_DEP_2)
	v_and_b32_e32 v17, 0x8000, v17
	v_and_b32_e32 v6, 0xfc00, v6
	s_delay_alu instid0(VALU_DEP_1)
	v_or3_b32 v1, v17, v6, v1
.LBB270_1146:                           ;   in Loop: Header=BB270_810 Depth=1
	s_or_b32 exec_lo, exec_lo, s17
.LBB270_1147:                           ;   in Loop: Header=BB270_810 Depth=1
	s_delay_alu instid0(SALU_CYCLE_1)
	s_or_b32 exec_lo, exec_lo, s16
.LBB270_1148:                           ;   in Loop: Header=BB270_810 Depth=1
	s_delay_alu instid0(SALU_CYCLE_1) | instskip(SKIP_2) | instid1(VALU_DEP_1)
	s_or_b32 exec_lo, exec_lo, s11
	v_lshrrev_b16 v6, 8, v30
	s_mov_b32 s11, exec_lo
	v_cmpx_ne_u16_e32 0, v6
	s_cbranch_execz .LBB270_1156
; %bb.1149:                             ;   in Loop: Header=BB270_810 Depth=1
	v_bfrev_b32_e32 v0, 1
	s_mov_b32 s16, exec_lo
	v_cmpx_ne_u16_e32 0x80, v6
	s_cbranch_execz .LBB270_1155
; %bb.1150:                             ;   in Loop: Header=BB270_810 Depth=1
	v_and_b32_e32 v17, 0xffff, v6
	v_mov_b32_e32 v0, 0x7c010000
	s_mov_b32 s17, exec_lo
	s_delay_alu instid0(VALU_DEP_2) | instskip(NEXT) | instid1(VALU_DEP_1)
	v_and_b32_e32 v32, 0x7f, v17
	v_cmpx_ne_u32_e32 0x7f, v32
	s_cbranch_execz .LBB270_1154
; %bb.1151:                             ;   in Loop: Header=BB270_810 Depth=1
	v_dual_lshrrev_b32 v19, 3, v32 :: v_dual_bitop2_b32 v0, 7, v17 bitop3:0x40
	s_mov_b32 s18, exec_lo
	v_cmpx_gt_u32_e32 8, v32
; %bb.1152:                             ;   in Loop: Header=BB270_810 Depth=1
	s_delay_alu instid0(VALU_DEP_2) | instskip(NEXT) | instid1(VALU_DEP_1)
	v_clz_i32_u32_e32 v0, v0
	v_min_u32_e32 v0, 32, v0
	s_delay_alu instid0(VALU_DEP_1) | instskip(NEXT) | instid1(VALU_DEP_1)
	v_subrev_nc_u32_e32 v19, 28, v0
	v_lshlrev_b64_e32 v[32:33], v19, v[6:7]
	v_sub_nc_u32_e32 v19, 29, v0
	s_delay_alu instid0(VALU_DEP_2)
	v_and_b32_e32 v0, 7, v32
; %bb.1153:                             ;   in Loop: Header=BB270_810 Depth=1
	s_or_b32 exec_lo, exec_lo, s18
	s_delay_alu instid0(VALU_DEP_1) | instskip(NEXT) | instid1(VALU_DEP_3)
	v_dual_lshlrev_b32 v6, 8, v17 :: v_dual_lshlrev_b32 v0, 23, v0
	v_lshl_add_u32 v17, v19, 10, 0x2000
	s_delay_alu instid0(VALU_DEP_1) | instskip(NEXT) | instid1(VALU_DEP_1)
	v_and_or_b32 v6, 0x8000, v6, v17
	v_lshl_or_b32 v0, v6, 16, v0
.LBB270_1154:                           ;   in Loop: Header=BB270_810 Depth=1
	s_or_b32 exec_lo, exec_lo, s17
.LBB270_1155:                           ;   in Loop: Header=BB270_810 Depth=1
	s_delay_alu instid0(SALU_CYCLE_1)
	s_or_b32 exec_lo, exec_lo, s16
.LBB270_1156:                           ;   in Loop: Header=BB270_810 Depth=1
	s_delay_alu instid0(SALU_CYCLE_1) | instskip(SKIP_3) | instid1(VALU_DEP_2)
	s_or_b32 exec_lo, exec_lo, s11
	v_dual_mov_b32 v17, 0 :: v_dual_lshrrev_b32 v6, 16, v30
	v_mov_b32_e32 v19, 0
	s_mov_b32 s11, exec_lo
	v_and_b32_e32 v32, 0xff, v6
	s_delay_alu instid0(VALU_DEP_1)
	v_cmpx_ne_u16_e32 0, v32
	s_cbranch_execz .LBB270_1164
; %bb.1157:                             ;   in Loop: Header=BB270_810 Depth=1
	v_mov_b32_e32 v19, 0x8000
	s_mov_b32 s16, exec_lo
	v_cmpx_ne_u16_e32 0x80, v32
	s_cbranch_execz .LBB270_1163
; %bb.1158:                             ;   in Loop: Header=BB270_810 Depth=1
	v_bfe_u32 v33, v30, 16, 7
	v_mov_b32_e32 v19, 0x7c01
	s_mov_b32 s17, exec_lo
	s_delay_alu instid0(VALU_DEP_2)
	v_cmpx_ne_u32_e32 0x7f, v33
	s_cbranch_execz .LBB270_1162
; %bb.1159:                             ;   in Loop: Header=BB270_810 Depth=1
	v_dual_lshrrev_b32 v32, 3, v33 :: v_dual_bitop2_b32 v19, 7, v6 bitop3:0x40
	s_mov_b32 s18, exec_lo
	v_cmpx_gt_u32_e32 8, v33
; %bb.1160:                             ;   in Loop: Header=BB270_810 Depth=1
	s_delay_alu instid0(VALU_DEP_2) | instskip(NEXT) | instid1(VALU_DEP_1)
	v_clz_i32_u32_e32 v19, v19
	v_min_u32_e32 v19, 32, v19
	s_delay_alu instid0(VALU_DEP_1) | instskip(NEXT) | instid1(VALU_DEP_1)
	v_subrev_nc_u32_e32 v32, 28, v19
	v_lshlrev_b64_e32 v[34:35], v32, v[6:7]
	s_delay_alu instid0(VALU_DEP_1)
	v_dual_sub_nc_u32 v32, 29, v19 :: v_dual_bitop2_b32 v19, 7, v34 bitop3:0x40
; %bb.1161:                             ;   in Loop: Header=BB270_810 Depth=1
	s_or_b32 exec_lo, exec_lo, s18
	s_delay_alu instid0(VALU_DEP_1) | instskip(NEXT) | instid1(VALU_DEP_2)
	v_dual_lshlrev_b32 v6, 8, v6 :: v_dual_lshlrev_b32 v19, 7, v19
	v_lshl_add_u32 v32, v32, 10, 0x2000
	s_delay_alu instid0(VALU_DEP_2) | instskip(NEXT) | instid1(VALU_DEP_2)
	v_and_b32_e32 v6, 0x8000, v6
	v_and_b32_e32 v32, 0xfc00, v32
	s_delay_alu instid0(VALU_DEP_1)
	v_or3_b32 v19, v6, v32, v19
.LBB270_1162:                           ;   in Loop: Header=BB270_810 Depth=1
	s_or_b32 exec_lo, exec_lo, s17
.LBB270_1163:                           ;   in Loop: Header=BB270_810 Depth=1
	s_delay_alu instid0(SALU_CYCLE_1)
	s_or_b32 exec_lo, exec_lo, s16
.LBB270_1164:                           ;   in Loop: Header=BB270_810 Depth=1
	s_delay_alu instid0(SALU_CYCLE_1) | instskip(NEXT) | instid1(SALU_CYCLE_1)
	s_or_b32 exec_lo, exec_lo, s11
	s_mov_b32 s11, exec_lo
	v_cmpx_lt_u32_e32 0xffffff, v30
	s_cbranch_execz .LBB270_1172
; %bb.1165:                             ;   in Loop: Header=BB270_810 Depth=1
	v_lshrrev_b32_e32 v6, 24, v30
	v_bfrev_b32_e32 v17, 1
	s_mov_b32 s16, exec_lo
	s_delay_alu instid0(VALU_DEP_2)
	v_cmpx_ne_u32_e32 0x80, v6
	s_cbranch_execz .LBB270_1171
; %bb.1166:                             ;   in Loop: Header=BB270_810 Depth=1
	v_and_b32_e32 v33, 0x7f, v6
	v_mov_b32_e32 v17, 0x7c010000
	s_mov_b32 s17, exec_lo
	s_delay_alu instid0(VALU_DEP_2)
	v_cmpx_ne_u32_e32 0x7f, v33
	s_cbranch_execz .LBB270_1170
; %bb.1167:                             ;   in Loop: Header=BB270_810 Depth=1
	v_dual_lshrrev_b32 v32, 3, v33 :: v_dual_bitop2_b32 v17, 7, v6 bitop3:0x40
	s_mov_b32 s18, exec_lo
	v_cmpx_gt_u32_e32 8, v33
; %bb.1168:                             ;   in Loop: Header=BB270_810 Depth=1
	s_delay_alu instid0(VALU_DEP_2) | instskip(NEXT) | instid1(VALU_DEP_1)
	v_clz_i32_u32_e32 v17, v17
	v_min_u32_e32 v17, 32, v17
	s_delay_alu instid0(VALU_DEP_1) | instskip(NEXT) | instid1(VALU_DEP_1)
	v_subrev_nc_u32_e32 v32, 28, v17
	v_lshlrev_b64_e32 v[34:35], v32, v[6:7]
	s_delay_alu instid0(VALU_DEP_1)
	v_dual_sub_nc_u32 v32, 29, v17 :: v_dual_bitop2_b32 v17, 7, v34 bitop3:0x40
; %bb.1169:                             ;   in Loop: Header=BB270_810 Depth=1
	s_or_b32 exec_lo, exec_lo, s18
	s_delay_alu instid0(VALU_DEP_1) | instskip(NEXT) | instid1(VALU_DEP_2)
	v_dual_lshlrev_b32 v6, 8, v6 :: v_dual_lshlrev_b32 v17, 23, v17
	v_lshl_add_u32 v32, v32, 10, 0x2000
	s_delay_alu instid0(VALU_DEP_1) | instskip(NEXT) | instid1(VALU_DEP_1)
	v_and_or_b32 v6, 0x8000, v6, v32
	v_lshl_or_b32 v17, v6, 16, v17
.LBB270_1170:                           ;   in Loop: Header=BB270_810 Depth=1
	s_or_b32 exec_lo, exec_lo, s17
.LBB270_1171:                           ;   in Loop: Header=BB270_810 Depth=1
	s_delay_alu instid0(SALU_CYCLE_1)
	s_or_b32 exec_lo, exec_lo, s16
.LBB270_1172:                           ;   in Loop: Header=BB270_810 Depth=1
	s_delay_alu instid0(SALU_CYCLE_1) | instskip(SKIP_4) | instid1(VALU_DEP_3)
	s_or_b32 exec_lo, exec_lo, s11
	v_and_b32_e32 v34, 0xff, v31
	v_dual_mov_b32 v6, v31 :: v_dual_mov_b32 v33, 0
	v_mov_b32_e32 v32, 0
	s_mov_b32 s11, exec_lo
	v_cmpx_ne_u16_e32 0, v34
	s_cbranch_execz .LBB270_1180
; %bb.1173:                             ;   in Loop: Header=BB270_810 Depth=1
	v_mov_b32_e32 v32, 0x8000
	s_mov_b32 s16, exec_lo
	v_cmpx_ne_u16_e32 0x80, v34
	s_cbranch_execz .LBB270_1179
; %bb.1174:                             ;   in Loop: Header=BB270_810 Depth=1
	v_and_b32_e32 v35, 0x7f, v31
	v_mov_b32_e32 v32, 0x7c01
	s_mov_b32 s17, exec_lo
	s_delay_alu instid0(VALU_DEP_2)
	v_cmpx_ne_u32_e32 0x7f, v35
	s_cbranch_execz .LBB270_1178
; %bb.1175:                             ;   in Loop: Header=BB270_810 Depth=1
	v_and_b32_e32 v32, 7, v31
	v_lshrrev_b32_e32 v34, 3, v35
	s_mov_b32 s18, exec_lo
	v_cmpx_gt_u32_e32 8, v35
; %bb.1176:                             ;   in Loop: Header=BB270_810 Depth=1
	s_delay_alu instid0(VALU_DEP_3) | instskip(NEXT) | instid1(VALU_DEP_1)
	v_clz_i32_u32_e32 v32, v32
	v_min_u32_e32 v32, 32, v32
	s_delay_alu instid0(VALU_DEP_1) | instskip(NEXT) | instid1(VALU_DEP_1)
	v_subrev_nc_u32_e32 v34, 28, v32
	v_lshlrev_b64_e32 v[36:37], v34, v[6:7]
	v_sub_nc_u32_e32 v34, 29, v32
	s_delay_alu instid0(VALU_DEP_2)
	v_and_b32_e32 v32, 7, v36
; %bb.1177:                             ;   in Loop: Header=BB270_810 Depth=1
	s_or_b32 exec_lo, exec_lo, s18
	s_delay_alu instid0(VALU_DEP_1) | instskip(NEXT) | instid1(VALU_DEP_3)
	v_dual_lshlrev_b32 v35, 8, v31 :: v_dual_lshlrev_b32 v32, 7, v32
	v_lshl_add_u32 v34, v34, 10, 0x2000
	s_delay_alu instid0(VALU_DEP_2) | instskip(NEXT) | instid1(VALU_DEP_2)
	v_and_b32_e32 v35, 0x8000, v35
	v_and_b32_e32 v34, 0xfc00, v34
	s_delay_alu instid0(VALU_DEP_1)
	v_or3_b32 v32, v35, v34, v32
.LBB270_1178:                           ;   in Loop: Header=BB270_810 Depth=1
	s_or_b32 exec_lo, exec_lo, s17
.LBB270_1179:                           ;   in Loop: Header=BB270_810 Depth=1
	s_delay_alu instid0(SALU_CYCLE_1)
	s_or_b32 exec_lo, exec_lo, s16
.LBB270_1180:                           ;   in Loop: Header=BB270_810 Depth=1
	s_delay_alu instid0(SALU_CYCLE_1) | instskip(SKIP_3) | instid1(VALU_DEP_2)
	s_or_b32 exec_lo, exec_lo, s11
	v_lshrrev_b16 v6, 8, v6
	v_mov_b32_e32 v34, 0
	s_mov_b32 s11, exec_lo
	v_cmpx_ne_u16_e32 0, v6
	s_cbranch_execz .LBB270_1188
; %bb.1181:                             ;   in Loop: Header=BB270_810 Depth=1
	v_bfrev_b32_e32 v34, 1
	s_mov_b32 s16, exec_lo
	v_cmpx_ne_u16_e32 0x80, v6
	s_cbranch_execz .LBB270_1187
; %bb.1182:                             ;   in Loop: Header=BB270_810 Depth=1
	v_and_b32_e32 v35, 0xffff, v6
	v_mov_b32_e32 v34, 0x7c010000
	s_mov_b32 s17, exec_lo
	s_delay_alu instid0(VALU_DEP_2) | instskip(NEXT) | instid1(VALU_DEP_1)
	v_and_b32_e32 v37, 0x7f, v35
	v_cmpx_ne_u32_e32 0x7f, v37
	s_cbranch_execz .LBB270_1186
; %bb.1183:                             ;   in Loop: Header=BB270_810 Depth=1
	v_dual_lshrrev_b32 v36, 3, v37 :: v_dual_bitop2_b32 v34, 7, v35 bitop3:0x40
	s_mov_b32 s18, exec_lo
	v_cmpx_gt_u32_e32 8, v37
; %bb.1184:                             ;   in Loop: Header=BB270_810 Depth=1
	s_delay_alu instid0(VALU_DEP_2) | instskip(NEXT) | instid1(VALU_DEP_1)
	v_clz_i32_u32_e32 v34, v34
	v_min_u32_e32 v34, 32, v34
	s_delay_alu instid0(VALU_DEP_1) | instskip(NEXT) | instid1(VALU_DEP_1)
	v_subrev_nc_u32_e32 v36, 28, v34
	v_lshlrev_b64_e32 v[100:101], v36, v[6:7]
	s_delay_alu instid0(VALU_DEP_1)
	v_dual_sub_nc_u32 v36, 29, v34 :: v_dual_bitop2_b32 v34, 7, v100 bitop3:0x40
; %bb.1185:                             ;   in Loop: Header=BB270_810 Depth=1
	s_or_b32 exec_lo, exec_lo, s18
	s_delay_alu instid0(VALU_DEP_1) | instskip(NEXT) | instid1(VALU_DEP_2)
	v_dual_lshlrev_b32 v6, 8, v35 :: v_dual_lshlrev_b32 v34, 23, v34
	v_lshl_add_u32 v35, v36, 10, 0x2000
	s_delay_alu instid0(VALU_DEP_1) | instskip(NEXT) | instid1(VALU_DEP_1)
	v_and_or_b32 v6, 0x8000, v6, v35
	v_lshl_or_b32 v34, v6, 16, v34
.LBB270_1186:                           ;   in Loop: Header=BB270_810 Depth=1
	s_or_b32 exec_lo, exec_lo, s17
.LBB270_1187:                           ;   in Loop: Header=BB270_810 Depth=1
	s_delay_alu instid0(SALU_CYCLE_1)
	s_or_b32 exec_lo, exec_lo, s16
.LBB270_1188:                           ;   in Loop: Header=BB270_810 Depth=1
	s_delay_alu instid0(SALU_CYCLE_1) | instskip(SKIP_2) | instid1(VALU_DEP_1)
	s_or_b32 exec_lo, exec_lo, s11
	v_lshrrev_b32_e32 v6, 16, v31
	s_mov_b32 s11, exec_lo
	v_and_b32_e32 v35, 0xff, v6
	s_delay_alu instid0(VALU_DEP_1)
	v_cmpx_ne_u16_e32 0, v35
	s_cbranch_execz .LBB270_1196
; %bb.1189:                             ;   in Loop: Header=BB270_810 Depth=1
	v_mov_b32_e32 v33, 0x8000
	s_mov_b32 s16, exec_lo
	v_cmpx_ne_u16_e32 0x80, v35
	s_cbranch_execz .LBB270_1195
; %bb.1190:                             ;   in Loop: Header=BB270_810 Depth=1
	v_bfe_u32 v36, v31, 16, 7
	v_mov_b32_e32 v33, 0x7c01
	s_mov_b32 s17, exec_lo
	s_delay_alu instid0(VALU_DEP_2)
	v_cmpx_ne_u32_e32 0x7f, v36
	s_cbranch_execz .LBB270_1194
; %bb.1191:                             ;   in Loop: Header=BB270_810 Depth=1
	v_dual_lshrrev_b32 v35, 3, v36 :: v_dual_bitop2_b32 v33, 7, v6 bitop3:0x40
	s_mov_b32 s18, exec_lo
	v_cmpx_gt_u32_e32 8, v36
; %bb.1192:                             ;   in Loop: Header=BB270_810 Depth=1
	s_delay_alu instid0(VALU_DEP_2) | instskip(NEXT) | instid1(VALU_DEP_1)
	v_clz_i32_u32_e32 v33, v33
	v_min_u32_e32 v33, 32, v33
	s_delay_alu instid0(VALU_DEP_1) | instskip(NEXT) | instid1(VALU_DEP_1)
	v_subrev_nc_u32_e32 v35, 28, v33
	v_lshlrev_b64_e32 v[36:37], v35, v[6:7]
	s_delay_alu instid0(VALU_DEP_1)
	v_dual_sub_nc_u32 v35, 29, v33 :: v_dual_bitop2_b32 v33, 7, v36 bitop3:0x40
; %bb.1193:                             ;   in Loop: Header=BB270_810 Depth=1
	s_or_b32 exec_lo, exec_lo, s18
	s_delay_alu instid0(VALU_DEP_1) | instskip(NEXT) | instid1(VALU_DEP_2)
	v_dual_lshlrev_b32 v6, 8, v6 :: v_dual_lshlrev_b32 v33, 7, v33
	v_lshl_add_u32 v35, v35, 10, 0x2000
	s_delay_alu instid0(VALU_DEP_2) | instskip(NEXT) | instid1(VALU_DEP_2)
	v_and_b32_e32 v6, 0x8000, v6
	v_and_b32_e32 v35, 0xfc00, v35
	s_delay_alu instid0(VALU_DEP_1)
	v_or3_b32 v33, v6, v35, v33
.LBB270_1194:                           ;   in Loop: Header=BB270_810 Depth=1
	s_or_b32 exec_lo, exec_lo, s17
.LBB270_1195:                           ;   in Loop: Header=BB270_810 Depth=1
	s_delay_alu instid0(SALU_CYCLE_1)
	s_or_b32 exec_lo, exec_lo, s16
.LBB270_1196:                           ;   in Loop: Header=BB270_810 Depth=1
	s_delay_alu instid0(SALU_CYCLE_1)
	s_or_b32 exec_lo, exec_lo, s11
	v_cmp_lt_u64_e64 s0, s[2:3], v[30:31]
	v_mov_b32_e32 v30, 0
	s_and_saveexec_b32 s11, s0
	s_cbranch_execz .LBB270_1204
; %bb.1197:                             ;   in Loop: Header=BB270_810 Depth=1
	v_lshrrev_b32_e32 v6, 24, v31
	v_bfrev_b32_e32 v30, 1
	s_mov_b32 s16, exec_lo
	s_delay_alu instid0(VALU_DEP_2)
	v_cmpx_ne_u32_e32 0x80, v6
	s_cbranch_execz .LBB270_1203
; %bb.1198:                             ;   in Loop: Header=BB270_810 Depth=1
	v_and_b32_e32 v35, 0x7f, v6
	v_mov_b32_e32 v30, 0x7c010000
	s_mov_b32 s17, exec_lo
	s_delay_alu instid0(VALU_DEP_2)
	v_cmpx_ne_u32_e32 0x7f, v35
	s_cbranch_execz .LBB270_1202
; %bb.1199:                             ;   in Loop: Header=BB270_810 Depth=1
	v_dual_lshrrev_b32 v31, 3, v35 :: v_dual_bitop2_b32 v30, 7, v6 bitop3:0x40
	s_mov_b32 s18, exec_lo
	v_cmpx_gt_u32_e32 8, v35
; %bb.1200:                             ;   in Loop: Header=BB270_810 Depth=1
	s_delay_alu instid0(VALU_DEP_2) | instskip(NEXT) | instid1(VALU_DEP_1)
	v_clz_i32_u32_e32 v30, v30
	v_min_u32_e32 v35, 32, v30
	s_delay_alu instid0(VALU_DEP_1) | instskip(NEXT) | instid1(VALU_DEP_1)
	v_subrev_nc_u32_e32 v30, 28, v35
	v_lshlrev_b64_e32 v[30:31], v30, v[6:7]
	s_delay_alu instid0(VALU_DEP_1)
	v_dual_sub_nc_u32 v31, 29, v35 :: v_dual_bitop2_b32 v30, 7, v30 bitop3:0x40
; %bb.1201:                             ;   in Loop: Header=BB270_810 Depth=1
	s_or_b32 exec_lo, exec_lo, s18
	v_lshlrev_b32_e32 v6, 8, v6
	s_delay_alu instid0(VALU_DEP_2) | instskip(NEXT) | instid1(VALU_DEP_3)
	v_lshl_add_u32 v31, v31, 10, 0x2000
	v_lshlrev_b32_e32 v30, 23, v30
	s_delay_alu instid0(VALU_DEP_2) | instskip(NEXT) | instid1(VALU_DEP_1)
	v_and_or_b32 v6, 0x8000, v6, v31
	v_lshl_or_b32 v30, v6, 16, v30
.LBB270_1202:                           ;   in Loop: Header=BB270_810 Depth=1
	s_or_b32 exec_lo, exec_lo, s17
.LBB270_1203:                           ;   in Loop: Header=BB270_810 Depth=1
	s_delay_alu instid0(SALU_CYCLE_1)
	s_or_b32 exec_lo, exec_lo, s16
.LBB270_1204:                           ;   in Loop: Header=BB270_810 Depth=1
	s_delay_alu instid0(SALU_CYCLE_1) | instskip(SKIP_3) | instid1(VALU_DEP_3)
	s_or_b32 exec_lo, exec_lo, s11
	v_dual_lshrrev_b32 v6, 16, v0 :: v_dual_lshrrev_b32 v31, 16, v17
	v_or_b32_e32 v35, v0, v1
	v_dual_lshrrev_b32 v36, 16, v30 :: v_dual_bitop2_b32 v17, v17, v19 bitop3:0x54
	v_cvt_f32_f16_e32 v1, v6
	s_delay_alu instid0(VALU_DEP_4) | instskip(SKIP_1) | instid1(VALU_DEP_4)
	v_cvt_f32_f16_e32 v0, v31
	v_dual_lshrrev_b32 v19, 16, v34 :: v_dual_bitop2_b32 v6, v30, v33 bitop3:0x54
	v_cvt_f32_f16_e32 v30, v17
	v_cvt_f32_f16_e32 v31, v35
	s_wait_loadcnt_dscnt 0x0
	v_pk_mul_f32 v[0:1], v[16:17], v[0:1] op_sel_hi:[0,1]
	v_or_b32_e32 v17, v34, v32
	v_cvt_f32_f16_e32 v33, v19
	v_cvt_f32_f16_e32 v32, v36
	s_delay_alu instid0(VALU_DEP_3) | instskip(NEXT) | instid1(VALU_DEP_1)
	v_pk_mul_f32 v[30:31], v[16:17], v[30:31] op_sel_hi:[0,1]
	v_cvt_pk_f16_f32 v19, v30, v31
	s_delay_alu instid0(VALU_DEP_1) | instskip(SKIP_3) | instid1(VALU_DEP_2)
	v_lshrrev_b32_e32 v37, 16, v19
	v_cvt_f32_f16_e32 v34, v6
	v_cvt_pk_f16_f32 v6, v0, v1
	v_and_b32_e32 v36, 0xffff, v19
	v_lshlrev_b32_e32 v30, 16, v6
	v_cvt_f32_f16_e32 v35, v17
	v_pk_mul_f32 v[0:1], v[16:17], v[32:33] op_sel_hi:[0,1]
	v_and_b32_e32 v31, 0xffff0000, v6
	s_delay_alu instid0(VALU_DEP_3) | instskip(NEXT) | instid1(VALU_DEP_3)
	v_pk_mul_f32 v[16:17], v[16:17], v[34:35] op_sel_hi:[0,1]
	v_cvt_pk_f16_f32 v0, v0, v1
	s_delay_alu instid0(VALU_DEP_3) | instskip(SKIP_1) | instid1(VALU_DEP_4)
	v_or_b32_e32 v35, v31, v37
	v_or_b32_e32 v34, v30, v36
	v_cvt_pk_f16_f32 v1, v16, v17
	s_delay_alu instid0(VALU_DEP_4) | instskip(NEXT) | instid1(VALU_DEP_2)
	v_and_b32_e32 v17, 0xffff0000, v0
	v_dual_lshlrev_b32 v6, 16, v0 :: v_dual_lshrrev_b32 v19, 16, v1
	v_and_b32_e32 v16, 0xffff, v1
	s_delay_alu instid0(VALU_DEP_2) | instskip(NEXT) | instid1(VALU_DEP_2)
	v_or_b32_e32 v33, v17, v19
	v_or_b32_e32 v32, v6, v16
	s_and_saveexec_b32 s11, vcc_lo
	s_cbranch_execz .LBB270_1206
; %bb.1205:                             ;   in Loop: Header=BB270_810 Depth=1
	v_cmp_lt_i32_e64 s0, v54, v13
	s_delay_alu instid0(VALU_DEP_1) | instskip(SKIP_1) | instid1(VALU_DEP_1)
	v_cndmask_b32_e64 v0, 0, v37, s0
	v_cmp_lt_i32_e64 s0, v71, v12
	v_cndmask_b32_e64 v1, 0, v36, s0
	v_cmp_lt_i32_e64 s0, v70, v13
	s_delay_alu instid0(VALU_DEP_1) | instskip(SKIP_1) | instid1(VALU_DEP_1)
	v_cndmask_b32_e64 v31, 0, v31, s0
	v_cmp_lt_i32_e64 s0, v69, v12
	v_cndmask_b32_e64 v30, 0, v30, s0
	v_cmp_lt_i32_e64 s0, v68, v13
	s_delay_alu instid0(VALU_DEP_4) | instskip(NEXT) | instid1(VALU_DEP_2)
	v_or_b32_e32 v35, v0, v31
	v_dual_cndmask_b32 v19, 0, v19, s0 :: v_dual_bitop2_b32 v34, v1, v30 bitop3:0x54
	v_cmp_lt_i32_e64 s0, v67, v12
	s_delay_alu instid0(VALU_DEP_1) | instskip(SKIP_1) | instid1(VALU_DEP_1)
	v_cndmask_b32_e64 v16, 0, v16, s0
	v_cmp_lt_i32_e64 s0, v66, v13
	v_cndmask_b32_e64 v17, 0, v17, s0
	v_cmp_lt_i32_e64 s0, v65, v12
	s_delay_alu instid0(VALU_DEP_1) | instskip(NEXT) | instid1(VALU_DEP_1)
	v_dual_cndmask_b32 v6, 0, v6, s0 :: v_dual_bitop2_b32 v33, v19, v17 bitop3:0x54
	v_or_b32_e32 v32, v16, v6
.LBB270_1206:                           ;   in Loop: Header=BB270_810 Depth=1
	s_or_b32 exec_lo, exec_lo, s11
	;;#ASMSTART
	v_pk_mul_f16 v0, v80, v35;

	;;#ASMEND
	;;#ASMSTART
	v_pk_mul_f16 v1, v49, v34;

	;;#ASMEND
	;; [unrolled: 4-line block ×4, first 2 shown]
	;;#ASMSTART
	v_pk_add_f16 v0, v0, v1;

	;;#ASMEND
	;;#ASMSTART
	v_pk_add_f16 v0, v0, v6;

	;;#ASMEND
	;; [unrolled: 4-line block ×3, first 2 shown]
	v_and_b32_e32 v1, 0xffff, v0
	v_lshrrev_b32_e32 v0, 16, v0
	;;#ASMSTART
	v_cvt_f32_f16 v99, v1;
	;;#ASMEND
	v_mov_b32_e32 v1, 0
	;;#ASMSTART
	v_cvt_f32_f16 v100, v0;
	;;#ASMEND
	flat_load_b64 v[30:31], v[10:11] offset:1536
	flat_load_b32 v16, v[22:23]
	v_mov_b32_e32 v0, 0
	s_mov_b32 s11, exec_lo
	s_wait_loadcnt_dscnt 0x101
	v_and_b32_e32 v6, 0xff, v30
	s_wait_xcnt 0x0
	s_delay_alu instid0(VALU_DEP_1)
	v_cmpx_ne_u16_e32 0, v6
	s_cbranch_execz .LBB270_1214
; %bb.1207:                             ;   in Loop: Header=BB270_810 Depth=1
	v_mov_b32_e32 v1, 0x8000
	s_mov_b32 s16, exec_lo
	v_cmpx_ne_u16_e32 0x80, v6
	s_cbranch_execz .LBB270_1213
; %bb.1208:                             ;   in Loop: Header=BB270_810 Depth=1
	v_and_b32_e32 v17, 0x7f, v30
	v_mov_b32_e32 v1, 0x7c01
	s_mov_b32 s17, exec_lo
	s_delay_alu instid0(VALU_DEP_2)
	v_cmpx_ne_u32_e32 0x7f, v17
	s_cbranch_execz .LBB270_1212
; %bb.1209:                             ;   in Loop: Header=BB270_810 Depth=1
	v_dual_lshrrev_b32 v6, 3, v17 :: v_dual_bitop2_b32 v1, 7, v30 bitop3:0x40
	s_mov_b32 s18, exec_lo
	v_cmpx_gt_u32_e32 8, v17
; %bb.1210:                             ;   in Loop: Header=BB270_810 Depth=1
	s_delay_alu instid0(VALU_DEP_2) | instskip(NEXT) | instid1(VALU_DEP_1)
	v_clz_i32_u32_e32 v1, v1
	v_min_u32_e32 v1, 32, v1
	s_delay_alu instid0(VALU_DEP_1) | instskip(NEXT) | instid1(VALU_DEP_1)
	v_subrev_nc_u32_e32 v6, 28, v1
	v_lshlrev_b64_e32 v[32:33], v6, v[30:31]
	s_delay_alu instid0(VALU_DEP_1)
	v_dual_sub_nc_u32 v6, 29, v1 :: v_dual_bitop2_b32 v1, 7, v32 bitop3:0x40
; %bb.1211:                             ;   in Loop: Header=BB270_810 Depth=1
	s_or_b32 exec_lo, exec_lo, s18
	s_delay_alu instid0(VALU_DEP_1) | instskip(NEXT) | instid1(VALU_DEP_2)
	v_dual_lshlrev_b32 v17, 8, v30 :: v_dual_lshlrev_b32 v1, 7, v1
	v_lshl_add_u32 v6, v6, 10, 0x2000
	s_delay_alu instid0(VALU_DEP_2) | instskip(NEXT) | instid1(VALU_DEP_2)
	v_and_b32_e32 v17, 0x8000, v17
	v_and_b32_e32 v6, 0xfc00, v6
	s_delay_alu instid0(VALU_DEP_1)
	v_or3_b32 v1, v17, v6, v1
.LBB270_1212:                           ;   in Loop: Header=BB270_810 Depth=1
	s_or_b32 exec_lo, exec_lo, s17
.LBB270_1213:                           ;   in Loop: Header=BB270_810 Depth=1
	s_delay_alu instid0(SALU_CYCLE_1)
	s_or_b32 exec_lo, exec_lo, s16
.LBB270_1214:                           ;   in Loop: Header=BB270_810 Depth=1
	s_delay_alu instid0(SALU_CYCLE_1) | instskip(SKIP_2) | instid1(VALU_DEP_1)
	s_or_b32 exec_lo, exec_lo, s11
	v_lshrrev_b16 v6, 8, v30
	s_mov_b32 s11, exec_lo
	v_cmpx_ne_u16_e32 0, v6
	s_cbranch_execz .LBB270_1222
; %bb.1215:                             ;   in Loop: Header=BB270_810 Depth=1
	v_bfrev_b32_e32 v0, 1
	s_mov_b32 s16, exec_lo
	v_cmpx_ne_u16_e32 0x80, v6
	s_cbranch_execz .LBB270_1221
; %bb.1216:                             ;   in Loop: Header=BB270_810 Depth=1
	v_and_b32_e32 v17, 0xffff, v6
	v_mov_b32_e32 v0, 0x7c010000
	s_mov_b32 s17, exec_lo
	s_delay_alu instid0(VALU_DEP_2) | instskip(NEXT) | instid1(VALU_DEP_1)
	v_and_b32_e32 v32, 0x7f, v17
	v_cmpx_ne_u32_e32 0x7f, v32
	s_cbranch_execz .LBB270_1220
; %bb.1217:                             ;   in Loop: Header=BB270_810 Depth=1
	v_dual_lshrrev_b32 v19, 3, v32 :: v_dual_bitop2_b32 v0, 7, v17 bitop3:0x40
	s_mov_b32 s18, exec_lo
	v_cmpx_gt_u32_e32 8, v32
; %bb.1218:                             ;   in Loop: Header=BB270_810 Depth=1
	s_delay_alu instid0(VALU_DEP_2) | instskip(NEXT) | instid1(VALU_DEP_1)
	v_clz_i32_u32_e32 v0, v0
	v_min_u32_e32 v0, 32, v0
	s_delay_alu instid0(VALU_DEP_1) | instskip(NEXT) | instid1(VALU_DEP_1)
	v_subrev_nc_u32_e32 v19, 28, v0
	v_lshlrev_b64_e32 v[32:33], v19, v[6:7]
	v_sub_nc_u32_e32 v19, 29, v0
	s_delay_alu instid0(VALU_DEP_2)
	v_and_b32_e32 v0, 7, v32
; %bb.1219:                             ;   in Loop: Header=BB270_810 Depth=1
	s_or_b32 exec_lo, exec_lo, s18
	s_delay_alu instid0(VALU_DEP_1) | instskip(NEXT) | instid1(VALU_DEP_3)
	v_dual_lshlrev_b32 v6, 8, v17 :: v_dual_lshlrev_b32 v0, 23, v0
	v_lshl_add_u32 v17, v19, 10, 0x2000
	s_delay_alu instid0(VALU_DEP_1) | instskip(NEXT) | instid1(VALU_DEP_1)
	v_and_or_b32 v6, 0x8000, v6, v17
	v_lshl_or_b32 v0, v6, 16, v0
.LBB270_1220:                           ;   in Loop: Header=BB270_810 Depth=1
	s_or_b32 exec_lo, exec_lo, s17
.LBB270_1221:                           ;   in Loop: Header=BB270_810 Depth=1
	s_delay_alu instid0(SALU_CYCLE_1)
	s_or_b32 exec_lo, exec_lo, s16
.LBB270_1222:                           ;   in Loop: Header=BB270_810 Depth=1
	s_delay_alu instid0(SALU_CYCLE_1) | instskip(SKIP_3) | instid1(VALU_DEP_2)
	s_or_b32 exec_lo, exec_lo, s11
	v_dual_mov_b32 v17, 0 :: v_dual_lshrrev_b32 v6, 16, v30
	v_mov_b32_e32 v19, 0
	s_mov_b32 s11, exec_lo
	v_and_b32_e32 v32, 0xff, v6
	s_delay_alu instid0(VALU_DEP_1)
	v_cmpx_ne_u16_e32 0, v32
	s_cbranch_execz .LBB270_1230
; %bb.1223:                             ;   in Loop: Header=BB270_810 Depth=1
	v_mov_b32_e32 v19, 0x8000
	s_mov_b32 s16, exec_lo
	v_cmpx_ne_u16_e32 0x80, v32
	s_cbranch_execz .LBB270_1229
; %bb.1224:                             ;   in Loop: Header=BB270_810 Depth=1
	v_bfe_u32 v33, v30, 16, 7
	v_mov_b32_e32 v19, 0x7c01
	s_mov_b32 s17, exec_lo
	s_delay_alu instid0(VALU_DEP_2)
	v_cmpx_ne_u32_e32 0x7f, v33
	s_cbranch_execz .LBB270_1228
; %bb.1225:                             ;   in Loop: Header=BB270_810 Depth=1
	v_dual_lshrrev_b32 v32, 3, v33 :: v_dual_bitop2_b32 v19, 7, v6 bitop3:0x40
	s_mov_b32 s18, exec_lo
	v_cmpx_gt_u32_e32 8, v33
; %bb.1226:                             ;   in Loop: Header=BB270_810 Depth=1
	s_delay_alu instid0(VALU_DEP_2) | instskip(NEXT) | instid1(VALU_DEP_1)
	v_clz_i32_u32_e32 v19, v19
	v_min_u32_e32 v19, 32, v19
	s_delay_alu instid0(VALU_DEP_1) | instskip(NEXT) | instid1(VALU_DEP_1)
	v_subrev_nc_u32_e32 v32, 28, v19
	v_lshlrev_b64_e32 v[34:35], v32, v[6:7]
	s_delay_alu instid0(VALU_DEP_1)
	v_dual_sub_nc_u32 v32, 29, v19 :: v_dual_bitop2_b32 v19, 7, v34 bitop3:0x40
; %bb.1227:                             ;   in Loop: Header=BB270_810 Depth=1
	s_or_b32 exec_lo, exec_lo, s18
	s_delay_alu instid0(VALU_DEP_1) | instskip(NEXT) | instid1(VALU_DEP_2)
	v_dual_lshlrev_b32 v6, 8, v6 :: v_dual_lshlrev_b32 v19, 7, v19
	v_lshl_add_u32 v32, v32, 10, 0x2000
	s_delay_alu instid0(VALU_DEP_2) | instskip(NEXT) | instid1(VALU_DEP_2)
	v_and_b32_e32 v6, 0x8000, v6
	v_and_b32_e32 v32, 0xfc00, v32
	s_delay_alu instid0(VALU_DEP_1)
	v_or3_b32 v19, v6, v32, v19
.LBB270_1228:                           ;   in Loop: Header=BB270_810 Depth=1
	s_or_b32 exec_lo, exec_lo, s17
.LBB270_1229:                           ;   in Loop: Header=BB270_810 Depth=1
	s_delay_alu instid0(SALU_CYCLE_1)
	s_or_b32 exec_lo, exec_lo, s16
.LBB270_1230:                           ;   in Loop: Header=BB270_810 Depth=1
	s_delay_alu instid0(SALU_CYCLE_1) | instskip(NEXT) | instid1(SALU_CYCLE_1)
	s_or_b32 exec_lo, exec_lo, s11
	s_mov_b32 s11, exec_lo
	v_cmpx_lt_u32_e32 0xffffff, v30
	s_cbranch_execz .LBB270_1238
; %bb.1231:                             ;   in Loop: Header=BB270_810 Depth=1
	v_lshrrev_b32_e32 v6, 24, v30
	v_bfrev_b32_e32 v17, 1
	s_mov_b32 s16, exec_lo
	s_delay_alu instid0(VALU_DEP_2)
	v_cmpx_ne_u32_e32 0x80, v6
	s_cbranch_execz .LBB270_1237
; %bb.1232:                             ;   in Loop: Header=BB270_810 Depth=1
	v_and_b32_e32 v33, 0x7f, v6
	v_mov_b32_e32 v17, 0x7c010000
	s_mov_b32 s17, exec_lo
	s_delay_alu instid0(VALU_DEP_2)
	v_cmpx_ne_u32_e32 0x7f, v33
	s_cbranch_execz .LBB270_1236
; %bb.1233:                             ;   in Loop: Header=BB270_810 Depth=1
	v_dual_lshrrev_b32 v32, 3, v33 :: v_dual_bitop2_b32 v17, 7, v6 bitop3:0x40
	s_mov_b32 s18, exec_lo
	v_cmpx_gt_u32_e32 8, v33
; %bb.1234:                             ;   in Loop: Header=BB270_810 Depth=1
	s_delay_alu instid0(VALU_DEP_2) | instskip(NEXT) | instid1(VALU_DEP_1)
	v_clz_i32_u32_e32 v17, v17
	v_min_u32_e32 v17, 32, v17
	s_delay_alu instid0(VALU_DEP_1) | instskip(NEXT) | instid1(VALU_DEP_1)
	v_subrev_nc_u32_e32 v32, 28, v17
	v_lshlrev_b64_e32 v[34:35], v32, v[6:7]
	s_delay_alu instid0(VALU_DEP_1)
	v_dual_sub_nc_u32 v32, 29, v17 :: v_dual_bitop2_b32 v17, 7, v34 bitop3:0x40
; %bb.1235:                             ;   in Loop: Header=BB270_810 Depth=1
	s_or_b32 exec_lo, exec_lo, s18
	s_delay_alu instid0(VALU_DEP_1) | instskip(NEXT) | instid1(VALU_DEP_2)
	v_dual_lshlrev_b32 v6, 8, v6 :: v_dual_lshlrev_b32 v17, 23, v17
	v_lshl_add_u32 v32, v32, 10, 0x2000
	s_delay_alu instid0(VALU_DEP_1) | instskip(NEXT) | instid1(VALU_DEP_1)
	v_and_or_b32 v6, 0x8000, v6, v32
	v_lshl_or_b32 v17, v6, 16, v17
.LBB270_1236:                           ;   in Loop: Header=BB270_810 Depth=1
	s_or_b32 exec_lo, exec_lo, s17
.LBB270_1237:                           ;   in Loop: Header=BB270_810 Depth=1
	s_delay_alu instid0(SALU_CYCLE_1)
	s_or_b32 exec_lo, exec_lo, s16
.LBB270_1238:                           ;   in Loop: Header=BB270_810 Depth=1
	s_delay_alu instid0(SALU_CYCLE_1) | instskip(SKIP_4) | instid1(VALU_DEP_3)
	s_or_b32 exec_lo, exec_lo, s11
	v_and_b32_e32 v34, 0xff, v31
	v_dual_mov_b32 v6, v31 :: v_dual_mov_b32 v33, 0
	v_mov_b32_e32 v32, 0
	s_mov_b32 s11, exec_lo
	v_cmpx_ne_u16_e32 0, v34
	s_cbranch_execz .LBB270_1246
; %bb.1239:                             ;   in Loop: Header=BB270_810 Depth=1
	v_mov_b32_e32 v32, 0x8000
	s_mov_b32 s16, exec_lo
	v_cmpx_ne_u16_e32 0x80, v34
	s_cbranch_execz .LBB270_1245
; %bb.1240:                             ;   in Loop: Header=BB270_810 Depth=1
	v_and_b32_e32 v35, 0x7f, v31
	v_mov_b32_e32 v32, 0x7c01
	s_mov_b32 s17, exec_lo
	s_delay_alu instid0(VALU_DEP_2)
	v_cmpx_ne_u32_e32 0x7f, v35
	s_cbranch_execz .LBB270_1244
; %bb.1241:                             ;   in Loop: Header=BB270_810 Depth=1
	v_and_b32_e32 v32, 7, v31
	v_lshrrev_b32_e32 v34, 3, v35
	s_mov_b32 s18, exec_lo
	v_cmpx_gt_u32_e32 8, v35
; %bb.1242:                             ;   in Loop: Header=BB270_810 Depth=1
	s_delay_alu instid0(VALU_DEP_3) | instskip(NEXT) | instid1(VALU_DEP_1)
	v_clz_i32_u32_e32 v32, v32
	v_min_u32_e32 v32, 32, v32
	s_delay_alu instid0(VALU_DEP_1) | instskip(NEXT) | instid1(VALU_DEP_1)
	v_subrev_nc_u32_e32 v34, 28, v32
	v_lshlrev_b64_e32 v[36:37], v34, v[6:7]
	v_sub_nc_u32_e32 v34, 29, v32
	s_delay_alu instid0(VALU_DEP_2)
	v_and_b32_e32 v32, 7, v36
; %bb.1243:                             ;   in Loop: Header=BB270_810 Depth=1
	s_or_b32 exec_lo, exec_lo, s18
	s_delay_alu instid0(VALU_DEP_1) | instskip(NEXT) | instid1(VALU_DEP_3)
	v_dual_lshlrev_b32 v35, 8, v31 :: v_dual_lshlrev_b32 v32, 7, v32
	v_lshl_add_u32 v34, v34, 10, 0x2000
	s_delay_alu instid0(VALU_DEP_2) | instskip(NEXT) | instid1(VALU_DEP_2)
	v_and_b32_e32 v35, 0x8000, v35
	v_and_b32_e32 v34, 0xfc00, v34
	s_delay_alu instid0(VALU_DEP_1)
	v_or3_b32 v32, v35, v34, v32
.LBB270_1244:                           ;   in Loop: Header=BB270_810 Depth=1
	s_or_b32 exec_lo, exec_lo, s17
.LBB270_1245:                           ;   in Loop: Header=BB270_810 Depth=1
	s_delay_alu instid0(SALU_CYCLE_1)
	s_or_b32 exec_lo, exec_lo, s16
.LBB270_1246:                           ;   in Loop: Header=BB270_810 Depth=1
	s_delay_alu instid0(SALU_CYCLE_1) | instskip(SKIP_3) | instid1(VALU_DEP_2)
	s_or_b32 exec_lo, exec_lo, s11
	v_lshrrev_b16 v6, 8, v6
	v_mov_b32_e32 v34, 0
	s_mov_b32 s11, exec_lo
	v_cmpx_ne_u16_e32 0, v6
	s_cbranch_execz .LBB270_1254
; %bb.1247:                             ;   in Loop: Header=BB270_810 Depth=1
	v_bfrev_b32_e32 v34, 1
	s_mov_b32 s16, exec_lo
	v_cmpx_ne_u16_e32 0x80, v6
	s_cbranch_execz .LBB270_1253
; %bb.1248:                             ;   in Loop: Header=BB270_810 Depth=1
	v_and_b32_e32 v35, 0xffff, v6
	v_mov_b32_e32 v34, 0x7c010000
	s_mov_b32 s17, exec_lo
	s_delay_alu instid0(VALU_DEP_2) | instskip(NEXT) | instid1(VALU_DEP_1)
	v_and_b32_e32 v37, 0x7f, v35
	v_cmpx_ne_u32_e32 0x7f, v37
	s_cbranch_execz .LBB270_1252
; %bb.1249:                             ;   in Loop: Header=BB270_810 Depth=1
	v_dual_lshrrev_b32 v36, 3, v37 :: v_dual_bitop2_b32 v34, 7, v35 bitop3:0x40
	s_mov_b32 s18, exec_lo
	v_cmpx_gt_u32_e32 8, v37
; %bb.1250:                             ;   in Loop: Header=BB270_810 Depth=1
	s_delay_alu instid0(VALU_DEP_2) | instskip(NEXT) | instid1(VALU_DEP_1)
	v_clz_i32_u32_e32 v34, v34
	v_min_u32_e32 v34, 32, v34
	s_delay_alu instid0(VALU_DEP_1) | instskip(NEXT) | instid1(VALU_DEP_1)
	v_subrev_nc_u32_e32 v36, 28, v34
	v_lshlrev_b64_e32 v[102:103], v36, v[6:7]
	v_sub_nc_u32_e32 v36, 29, v34
	s_delay_alu instid0(VALU_DEP_2)
	v_and_b32_e32 v34, 7, v102
; %bb.1251:                             ;   in Loop: Header=BB270_810 Depth=1
	s_or_b32 exec_lo, exec_lo, s18
	s_delay_alu instid0(VALU_DEP_1) | instskip(NEXT) | instid1(VALU_DEP_3)
	v_dual_lshlrev_b32 v6, 8, v35 :: v_dual_lshlrev_b32 v34, 23, v34
	v_lshl_add_u32 v35, v36, 10, 0x2000
	s_delay_alu instid0(VALU_DEP_1) | instskip(NEXT) | instid1(VALU_DEP_1)
	v_and_or_b32 v6, 0x8000, v6, v35
	v_lshl_or_b32 v34, v6, 16, v34
.LBB270_1252:                           ;   in Loop: Header=BB270_810 Depth=1
	s_or_b32 exec_lo, exec_lo, s17
.LBB270_1253:                           ;   in Loop: Header=BB270_810 Depth=1
	s_delay_alu instid0(SALU_CYCLE_1)
	s_or_b32 exec_lo, exec_lo, s16
.LBB270_1254:                           ;   in Loop: Header=BB270_810 Depth=1
	s_delay_alu instid0(SALU_CYCLE_1) | instskip(SKIP_2) | instid1(VALU_DEP_1)
	s_or_b32 exec_lo, exec_lo, s11
	v_lshrrev_b32_e32 v6, 16, v31
	s_mov_b32 s11, exec_lo
	v_and_b32_e32 v35, 0xff, v6
	s_delay_alu instid0(VALU_DEP_1)
	v_cmpx_ne_u16_e32 0, v35
	s_cbranch_execz .LBB270_1262
; %bb.1255:                             ;   in Loop: Header=BB270_810 Depth=1
	v_mov_b32_e32 v33, 0x8000
	s_mov_b32 s16, exec_lo
	v_cmpx_ne_u16_e32 0x80, v35
	s_cbranch_execz .LBB270_1261
; %bb.1256:                             ;   in Loop: Header=BB270_810 Depth=1
	v_bfe_u32 v36, v31, 16, 7
	v_mov_b32_e32 v33, 0x7c01
	s_mov_b32 s17, exec_lo
	s_delay_alu instid0(VALU_DEP_2)
	v_cmpx_ne_u32_e32 0x7f, v36
	s_cbranch_execz .LBB270_1260
; %bb.1257:                             ;   in Loop: Header=BB270_810 Depth=1
	v_dual_lshrrev_b32 v35, 3, v36 :: v_dual_bitop2_b32 v33, 7, v6 bitop3:0x40
	s_mov_b32 s18, exec_lo
	v_cmpx_gt_u32_e32 8, v36
; %bb.1258:                             ;   in Loop: Header=BB270_810 Depth=1
	s_delay_alu instid0(VALU_DEP_2) | instskip(NEXT) | instid1(VALU_DEP_1)
	v_clz_i32_u32_e32 v33, v33
	v_min_u32_e32 v33, 32, v33
	s_delay_alu instid0(VALU_DEP_1) | instskip(NEXT) | instid1(VALU_DEP_1)
	v_subrev_nc_u32_e32 v35, 28, v33
	v_lshlrev_b64_e32 v[36:37], v35, v[6:7]
	s_delay_alu instid0(VALU_DEP_1)
	v_dual_sub_nc_u32 v35, 29, v33 :: v_dual_bitop2_b32 v33, 7, v36 bitop3:0x40
; %bb.1259:                             ;   in Loop: Header=BB270_810 Depth=1
	s_or_b32 exec_lo, exec_lo, s18
	s_delay_alu instid0(VALU_DEP_1) | instskip(NEXT) | instid1(VALU_DEP_2)
	v_dual_lshlrev_b32 v6, 8, v6 :: v_dual_lshlrev_b32 v33, 7, v33
	v_lshl_add_u32 v35, v35, 10, 0x2000
	s_delay_alu instid0(VALU_DEP_2) | instskip(NEXT) | instid1(VALU_DEP_2)
	v_and_b32_e32 v6, 0x8000, v6
	v_and_b32_e32 v35, 0xfc00, v35
	s_delay_alu instid0(VALU_DEP_1)
	v_or3_b32 v33, v6, v35, v33
.LBB270_1260:                           ;   in Loop: Header=BB270_810 Depth=1
	s_or_b32 exec_lo, exec_lo, s17
.LBB270_1261:                           ;   in Loop: Header=BB270_810 Depth=1
	s_delay_alu instid0(SALU_CYCLE_1)
	s_or_b32 exec_lo, exec_lo, s16
.LBB270_1262:                           ;   in Loop: Header=BB270_810 Depth=1
	s_delay_alu instid0(SALU_CYCLE_1)
	s_or_b32 exec_lo, exec_lo, s11
	v_cmp_lt_u64_e64 s0, s[2:3], v[30:31]
	v_mov_b32_e32 v30, 0
	s_and_saveexec_b32 s11, s0
	s_cbranch_execz .LBB270_1270
; %bb.1263:                             ;   in Loop: Header=BB270_810 Depth=1
	v_lshrrev_b32_e32 v6, 24, v31
	v_bfrev_b32_e32 v30, 1
	s_mov_b32 s16, exec_lo
	s_delay_alu instid0(VALU_DEP_2)
	v_cmpx_ne_u32_e32 0x80, v6
	s_cbranch_execz .LBB270_1269
; %bb.1264:                             ;   in Loop: Header=BB270_810 Depth=1
	v_and_b32_e32 v35, 0x7f, v6
	v_mov_b32_e32 v30, 0x7c010000
	s_mov_b32 s17, exec_lo
	s_delay_alu instid0(VALU_DEP_2)
	v_cmpx_ne_u32_e32 0x7f, v35
	s_cbranch_execz .LBB270_1268
; %bb.1265:                             ;   in Loop: Header=BB270_810 Depth=1
	v_dual_lshrrev_b32 v31, 3, v35 :: v_dual_bitop2_b32 v30, 7, v6 bitop3:0x40
	s_mov_b32 s18, exec_lo
	v_cmpx_gt_u32_e32 8, v35
; %bb.1266:                             ;   in Loop: Header=BB270_810 Depth=1
	s_delay_alu instid0(VALU_DEP_2) | instskip(NEXT) | instid1(VALU_DEP_1)
	v_clz_i32_u32_e32 v30, v30
	v_min_u32_e32 v35, 32, v30
	s_delay_alu instid0(VALU_DEP_1) | instskip(NEXT) | instid1(VALU_DEP_1)
	v_subrev_nc_u32_e32 v30, 28, v35
	v_lshlrev_b64_e32 v[30:31], v30, v[6:7]
	s_delay_alu instid0(VALU_DEP_1)
	v_dual_sub_nc_u32 v31, 29, v35 :: v_dual_bitop2_b32 v30, 7, v30 bitop3:0x40
; %bb.1267:                             ;   in Loop: Header=BB270_810 Depth=1
	s_or_b32 exec_lo, exec_lo, s18
	v_lshlrev_b32_e32 v6, 8, v6
	s_delay_alu instid0(VALU_DEP_2) | instskip(NEXT) | instid1(VALU_DEP_3)
	v_lshl_add_u32 v31, v31, 10, 0x2000
	v_lshlrev_b32_e32 v30, 23, v30
	s_delay_alu instid0(VALU_DEP_2) | instskip(NEXT) | instid1(VALU_DEP_1)
	v_and_or_b32 v6, 0x8000, v6, v31
	v_lshl_or_b32 v30, v6, 16, v30
.LBB270_1268:                           ;   in Loop: Header=BB270_810 Depth=1
	s_or_b32 exec_lo, exec_lo, s17
.LBB270_1269:                           ;   in Loop: Header=BB270_810 Depth=1
	s_delay_alu instid0(SALU_CYCLE_1)
	s_or_b32 exec_lo, exec_lo, s16
.LBB270_1270:                           ;   in Loop: Header=BB270_810 Depth=1
	s_delay_alu instid0(SALU_CYCLE_1) | instskip(SKIP_3) | instid1(VALU_DEP_3)
	s_or_b32 exec_lo, exec_lo, s11
	v_dual_lshrrev_b32 v6, 16, v0 :: v_dual_lshrrev_b32 v31, 16, v17
	v_or_b32_e32 v35, v0, v1
	v_dual_lshrrev_b32 v36, 16, v30 :: v_dual_bitop2_b32 v17, v17, v19 bitop3:0x54
	v_cvt_f32_f16_e32 v1, v6
	s_delay_alu instid0(VALU_DEP_4) | instskip(SKIP_1) | instid1(VALU_DEP_4)
	v_cvt_f32_f16_e32 v0, v31
	v_dual_lshrrev_b32 v19, 16, v34 :: v_dual_bitop2_b32 v6, v30, v33 bitop3:0x54
	v_cvt_f32_f16_e32 v30, v17
	v_cvt_f32_f16_e32 v31, v35
	s_wait_loadcnt_dscnt 0x0
	v_pk_mul_f32 v[0:1], v[16:17], v[0:1] op_sel_hi:[0,1]
	v_or_b32_e32 v17, v34, v32
	v_cvt_f32_f16_e32 v33, v19
	v_cvt_f32_f16_e32 v32, v36
	s_delay_alu instid0(VALU_DEP_3) | instskip(NEXT) | instid1(VALU_DEP_1)
	v_pk_mul_f32 v[30:31], v[16:17], v[30:31] op_sel_hi:[0,1]
	v_cvt_pk_f16_f32 v19, v30, v31
	s_delay_alu instid0(VALU_DEP_1) | instskip(SKIP_3) | instid1(VALU_DEP_2)
	v_lshrrev_b32_e32 v37, 16, v19
	v_cvt_f32_f16_e32 v34, v6
	v_cvt_pk_f16_f32 v6, v0, v1
	v_and_b32_e32 v36, 0xffff, v19
	v_lshlrev_b32_e32 v30, 16, v6
	v_cvt_f32_f16_e32 v35, v17
	v_pk_mul_f32 v[0:1], v[16:17], v[32:33] op_sel_hi:[0,1]
	v_and_b32_e32 v31, 0xffff0000, v6
	s_delay_alu instid0(VALU_DEP_3) | instskip(NEXT) | instid1(VALU_DEP_3)
	v_pk_mul_f32 v[16:17], v[16:17], v[34:35] op_sel_hi:[0,1]
	v_cvt_pk_f16_f32 v0, v0, v1
	s_delay_alu instid0(VALU_DEP_3) | instskip(SKIP_1) | instid1(VALU_DEP_4)
	v_or_b32_e32 v35, v31, v37
	v_or_b32_e32 v34, v30, v36
	v_cvt_pk_f16_f32 v1, v16, v17
	s_delay_alu instid0(VALU_DEP_4) | instskip(NEXT) | instid1(VALU_DEP_2)
	v_and_b32_e32 v17, 0xffff0000, v0
	v_dual_lshlrev_b32 v6, 16, v0 :: v_dual_lshrrev_b32 v19, 16, v1
	v_and_b32_e32 v16, 0xffff, v1
	s_delay_alu instid0(VALU_DEP_2) | instskip(NEXT) | instid1(VALU_DEP_2)
	v_or_b32_e32 v33, v17, v19
	v_or_b32_e32 v32, v6, v16
	s_and_saveexec_b32 s11, vcc_lo
	s_cbranch_execz .LBB270_1272
; %bb.1271:                             ;   in Loop: Header=BB270_810 Depth=1
	v_cmp_lt_i32_e64 s0, v54, v13
	s_delay_alu instid0(VALU_DEP_1) | instskip(SKIP_1) | instid1(VALU_DEP_1)
	v_cndmask_b32_e64 v0, 0, v37, s0
	v_cmp_lt_i32_e64 s0, v71, v12
	v_cndmask_b32_e64 v1, 0, v36, s0
	v_cmp_lt_i32_e64 s0, v70, v13
	s_delay_alu instid0(VALU_DEP_1) | instskip(SKIP_1) | instid1(VALU_DEP_1)
	v_cndmask_b32_e64 v31, 0, v31, s0
	v_cmp_lt_i32_e64 s0, v69, v12
	v_cndmask_b32_e64 v30, 0, v30, s0
	v_cmp_lt_i32_e64 s0, v68, v13
	s_delay_alu instid0(VALU_DEP_4) | instskip(NEXT) | instid1(VALU_DEP_2)
	v_or_b32_e32 v35, v0, v31
	v_dual_cndmask_b32 v19, 0, v19, s0 :: v_dual_bitop2_b32 v34, v1, v30 bitop3:0x54
	v_cmp_lt_i32_e64 s0, v67, v12
	s_delay_alu instid0(VALU_DEP_1) | instskip(SKIP_1) | instid1(VALU_DEP_1)
	v_cndmask_b32_e64 v16, 0, v16, s0
	v_cmp_lt_i32_e64 s0, v66, v13
	v_cndmask_b32_e64 v17, 0, v17, s0
	v_cmp_lt_i32_e64 s0, v65, v12
	s_delay_alu instid0(VALU_DEP_1) | instskip(NEXT) | instid1(VALU_DEP_1)
	v_dual_cndmask_b32 v6, 0, v6, s0 :: v_dual_bitop2_b32 v33, v19, v17 bitop3:0x54
	v_or_b32_e32 v32, v16, v6
.LBB270_1272:                           ;   in Loop: Header=BB270_810 Depth=1
	s_or_b32 exec_lo, exec_lo, s11
	;;#ASMSTART
	v_pk_mul_f16 v0, v80, v35;

	;;#ASMEND
	;;#ASMSTART
	v_pk_mul_f16 v1, v49, v34;

	;;#ASMEND
	;; [unrolled: 4-line block ×4, first 2 shown]
	;;#ASMSTART
	v_pk_add_f16 v0, v0, v1;

	;;#ASMEND
	;;#ASMSTART
	v_pk_add_f16 v0, v0, v6;

	;;#ASMEND
	;; [unrolled: 4-line block ×3, first 2 shown]
	v_and_b32_e32 v1, 0xffff, v0
	v_lshrrev_b32_e32 v0, 16, v0
	;;#ASMSTART
	v_cvt_f32_f16 v101, v1;
	;;#ASMEND
	v_mov_b32_e32 v1, 0
	;;#ASMSTART
	v_cvt_f32_f16 v102, v0;
	;;#ASMEND
	flat_load_b64 v[30:31], v[10:11] offset:1792
	flat_load_b32 v16, v[22:23]
	v_mov_b32_e32 v0, 0
	s_mov_b32 s11, exec_lo
	s_wait_loadcnt_dscnt 0x101
	v_and_b32_e32 v6, 0xff, v30
	s_wait_xcnt 0x0
	s_delay_alu instid0(VALU_DEP_1)
	v_cmpx_ne_u16_e32 0, v6
	s_cbranch_execz .LBB270_1280
; %bb.1273:                             ;   in Loop: Header=BB270_810 Depth=1
	v_mov_b32_e32 v1, 0x8000
	s_mov_b32 s16, exec_lo
	v_cmpx_ne_u16_e32 0x80, v6
	s_cbranch_execz .LBB270_1279
; %bb.1274:                             ;   in Loop: Header=BB270_810 Depth=1
	v_and_b32_e32 v17, 0x7f, v30
	v_mov_b32_e32 v1, 0x7c01
	s_mov_b32 s17, exec_lo
	s_delay_alu instid0(VALU_DEP_2)
	v_cmpx_ne_u32_e32 0x7f, v17
	s_cbranch_execz .LBB270_1278
; %bb.1275:                             ;   in Loop: Header=BB270_810 Depth=1
	v_dual_lshrrev_b32 v6, 3, v17 :: v_dual_bitop2_b32 v1, 7, v30 bitop3:0x40
	s_mov_b32 s18, exec_lo
	v_cmpx_gt_u32_e32 8, v17
; %bb.1276:                             ;   in Loop: Header=BB270_810 Depth=1
	s_delay_alu instid0(VALU_DEP_2) | instskip(NEXT) | instid1(VALU_DEP_1)
	v_clz_i32_u32_e32 v1, v1
	v_min_u32_e32 v1, 32, v1
	s_delay_alu instid0(VALU_DEP_1) | instskip(NEXT) | instid1(VALU_DEP_1)
	v_subrev_nc_u32_e32 v6, 28, v1
	v_lshlrev_b64_e32 v[32:33], v6, v[30:31]
	s_delay_alu instid0(VALU_DEP_1)
	v_dual_sub_nc_u32 v6, 29, v1 :: v_dual_bitop2_b32 v1, 7, v32 bitop3:0x40
; %bb.1277:                             ;   in Loop: Header=BB270_810 Depth=1
	s_or_b32 exec_lo, exec_lo, s18
	s_delay_alu instid0(VALU_DEP_1) | instskip(NEXT) | instid1(VALU_DEP_2)
	v_dual_lshlrev_b32 v17, 8, v30 :: v_dual_lshlrev_b32 v1, 7, v1
	v_lshl_add_u32 v6, v6, 10, 0x2000
	s_delay_alu instid0(VALU_DEP_2) | instskip(NEXT) | instid1(VALU_DEP_2)
	v_and_b32_e32 v17, 0x8000, v17
	v_and_b32_e32 v6, 0xfc00, v6
	s_delay_alu instid0(VALU_DEP_1)
	v_or3_b32 v1, v17, v6, v1
.LBB270_1278:                           ;   in Loop: Header=BB270_810 Depth=1
	s_or_b32 exec_lo, exec_lo, s17
.LBB270_1279:                           ;   in Loop: Header=BB270_810 Depth=1
	s_delay_alu instid0(SALU_CYCLE_1)
	s_or_b32 exec_lo, exec_lo, s16
.LBB270_1280:                           ;   in Loop: Header=BB270_810 Depth=1
	s_delay_alu instid0(SALU_CYCLE_1) | instskip(SKIP_2) | instid1(VALU_DEP_1)
	s_or_b32 exec_lo, exec_lo, s11
	v_lshrrev_b16 v6, 8, v30
	s_mov_b32 s11, exec_lo
	v_cmpx_ne_u16_e32 0, v6
	s_cbranch_execz .LBB270_1288
; %bb.1281:                             ;   in Loop: Header=BB270_810 Depth=1
	v_bfrev_b32_e32 v0, 1
	s_mov_b32 s16, exec_lo
	v_cmpx_ne_u16_e32 0x80, v6
	s_cbranch_execz .LBB270_1287
; %bb.1282:                             ;   in Loop: Header=BB270_810 Depth=1
	v_and_b32_e32 v17, 0xffff, v6
	v_mov_b32_e32 v0, 0x7c010000
	s_mov_b32 s17, exec_lo
	s_delay_alu instid0(VALU_DEP_2) | instskip(NEXT) | instid1(VALU_DEP_1)
	v_and_b32_e32 v32, 0x7f, v17
	v_cmpx_ne_u32_e32 0x7f, v32
	s_cbranch_execz .LBB270_1286
; %bb.1283:                             ;   in Loop: Header=BB270_810 Depth=1
	v_dual_lshrrev_b32 v19, 3, v32 :: v_dual_bitop2_b32 v0, 7, v17 bitop3:0x40
	s_mov_b32 s18, exec_lo
	v_cmpx_gt_u32_e32 8, v32
; %bb.1284:                             ;   in Loop: Header=BB270_810 Depth=1
	s_delay_alu instid0(VALU_DEP_2) | instskip(NEXT) | instid1(VALU_DEP_1)
	v_clz_i32_u32_e32 v0, v0
	v_min_u32_e32 v0, 32, v0
	s_delay_alu instid0(VALU_DEP_1) | instskip(NEXT) | instid1(VALU_DEP_1)
	v_subrev_nc_u32_e32 v19, 28, v0
	v_lshlrev_b64_e32 v[32:33], v19, v[6:7]
	v_sub_nc_u32_e32 v19, 29, v0
	s_delay_alu instid0(VALU_DEP_2)
	v_and_b32_e32 v0, 7, v32
; %bb.1285:                             ;   in Loop: Header=BB270_810 Depth=1
	s_or_b32 exec_lo, exec_lo, s18
	s_delay_alu instid0(VALU_DEP_1) | instskip(NEXT) | instid1(VALU_DEP_3)
	v_dual_lshlrev_b32 v6, 8, v17 :: v_dual_lshlrev_b32 v0, 23, v0
	v_lshl_add_u32 v17, v19, 10, 0x2000
	s_delay_alu instid0(VALU_DEP_1) | instskip(NEXT) | instid1(VALU_DEP_1)
	v_and_or_b32 v6, 0x8000, v6, v17
	v_lshl_or_b32 v0, v6, 16, v0
.LBB270_1286:                           ;   in Loop: Header=BB270_810 Depth=1
	s_or_b32 exec_lo, exec_lo, s17
.LBB270_1287:                           ;   in Loop: Header=BB270_810 Depth=1
	s_delay_alu instid0(SALU_CYCLE_1)
	s_or_b32 exec_lo, exec_lo, s16
.LBB270_1288:                           ;   in Loop: Header=BB270_810 Depth=1
	s_delay_alu instid0(SALU_CYCLE_1) | instskip(SKIP_3) | instid1(VALU_DEP_2)
	s_or_b32 exec_lo, exec_lo, s11
	v_dual_mov_b32 v17, 0 :: v_dual_lshrrev_b32 v6, 16, v30
	v_mov_b32_e32 v19, 0
	s_mov_b32 s11, exec_lo
	v_and_b32_e32 v32, 0xff, v6
	s_delay_alu instid0(VALU_DEP_1)
	v_cmpx_ne_u16_e32 0, v32
	s_cbranch_execz .LBB270_1296
; %bb.1289:                             ;   in Loop: Header=BB270_810 Depth=1
	v_mov_b32_e32 v19, 0x8000
	s_mov_b32 s16, exec_lo
	v_cmpx_ne_u16_e32 0x80, v32
	s_cbranch_execz .LBB270_1295
; %bb.1290:                             ;   in Loop: Header=BB270_810 Depth=1
	v_bfe_u32 v33, v30, 16, 7
	v_mov_b32_e32 v19, 0x7c01
	s_mov_b32 s17, exec_lo
	s_delay_alu instid0(VALU_DEP_2)
	v_cmpx_ne_u32_e32 0x7f, v33
	s_cbranch_execz .LBB270_1294
; %bb.1291:                             ;   in Loop: Header=BB270_810 Depth=1
	v_dual_lshrrev_b32 v32, 3, v33 :: v_dual_bitop2_b32 v19, 7, v6 bitop3:0x40
	s_mov_b32 s18, exec_lo
	v_cmpx_gt_u32_e32 8, v33
; %bb.1292:                             ;   in Loop: Header=BB270_810 Depth=1
	s_delay_alu instid0(VALU_DEP_2) | instskip(NEXT) | instid1(VALU_DEP_1)
	v_clz_i32_u32_e32 v19, v19
	v_min_u32_e32 v19, 32, v19
	s_delay_alu instid0(VALU_DEP_1) | instskip(NEXT) | instid1(VALU_DEP_1)
	v_subrev_nc_u32_e32 v32, 28, v19
	v_lshlrev_b64_e32 v[34:35], v32, v[6:7]
	s_delay_alu instid0(VALU_DEP_1)
	v_dual_sub_nc_u32 v32, 29, v19 :: v_dual_bitop2_b32 v19, 7, v34 bitop3:0x40
; %bb.1293:                             ;   in Loop: Header=BB270_810 Depth=1
	s_or_b32 exec_lo, exec_lo, s18
	s_delay_alu instid0(VALU_DEP_1) | instskip(NEXT) | instid1(VALU_DEP_2)
	v_dual_lshlrev_b32 v6, 8, v6 :: v_dual_lshlrev_b32 v19, 7, v19
	v_lshl_add_u32 v32, v32, 10, 0x2000
	s_delay_alu instid0(VALU_DEP_2) | instskip(NEXT) | instid1(VALU_DEP_2)
	v_and_b32_e32 v6, 0x8000, v6
	v_and_b32_e32 v32, 0xfc00, v32
	s_delay_alu instid0(VALU_DEP_1)
	v_or3_b32 v19, v6, v32, v19
.LBB270_1294:                           ;   in Loop: Header=BB270_810 Depth=1
	s_or_b32 exec_lo, exec_lo, s17
.LBB270_1295:                           ;   in Loop: Header=BB270_810 Depth=1
	s_delay_alu instid0(SALU_CYCLE_1)
	s_or_b32 exec_lo, exec_lo, s16
.LBB270_1296:                           ;   in Loop: Header=BB270_810 Depth=1
	s_delay_alu instid0(SALU_CYCLE_1) | instskip(NEXT) | instid1(SALU_CYCLE_1)
	s_or_b32 exec_lo, exec_lo, s11
	s_mov_b32 s11, exec_lo
	v_cmpx_lt_u32_e32 0xffffff, v30
	s_cbranch_execz .LBB270_1304
; %bb.1297:                             ;   in Loop: Header=BB270_810 Depth=1
	v_lshrrev_b32_e32 v6, 24, v30
	v_bfrev_b32_e32 v17, 1
	s_mov_b32 s16, exec_lo
	s_delay_alu instid0(VALU_DEP_2)
	v_cmpx_ne_u32_e32 0x80, v6
	s_cbranch_execz .LBB270_1303
; %bb.1298:                             ;   in Loop: Header=BB270_810 Depth=1
	v_and_b32_e32 v33, 0x7f, v6
	v_mov_b32_e32 v17, 0x7c010000
	s_mov_b32 s17, exec_lo
	s_delay_alu instid0(VALU_DEP_2)
	v_cmpx_ne_u32_e32 0x7f, v33
	s_cbranch_execz .LBB270_1302
; %bb.1299:                             ;   in Loop: Header=BB270_810 Depth=1
	v_dual_lshrrev_b32 v32, 3, v33 :: v_dual_bitop2_b32 v17, 7, v6 bitop3:0x40
	s_mov_b32 s18, exec_lo
	v_cmpx_gt_u32_e32 8, v33
; %bb.1300:                             ;   in Loop: Header=BB270_810 Depth=1
	s_delay_alu instid0(VALU_DEP_2) | instskip(NEXT) | instid1(VALU_DEP_1)
	v_clz_i32_u32_e32 v17, v17
	v_min_u32_e32 v17, 32, v17
	s_delay_alu instid0(VALU_DEP_1) | instskip(NEXT) | instid1(VALU_DEP_1)
	v_subrev_nc_u32_e32 v32, 28, v17
	v_lshlrev_b64_e32 v[34:35], v32, v[6:7]
	s_delay_alu instid0(VALU_DEP_1)
	v_dual_sub_nc_u32 v32, 29, v17 :: v_dual_bitop2_b32 v17, 7, v34 bitop3:0x40
; %bb.1301:                             ;   in Loop: Header=BB270_810 Depth=1
	s_or_b32 exec_lo, exec_lo, s18
	s_delay_alu instid0(VALU_DEP_1) | instskip(NEXT) | instid1(VALU_DEP_2)
	v_dual_lshlrev_b32 v6, 8, v6 :: v_dual_lshlrev_b32 v17, 23, v17
	v_lshl_add_u32 v32, v32, 10, 0x2000
	s_delay_alu instid0(VALU_DEP_1) | instskip(NEXT) | instid1(VALU_DEP_1)
	v_and_or_b32 v6, 0x8000, v6, v32
	v_lshl_or_b32 v17, v6, 16, v17
.LBB270_1302:                           ;   in Loop: Header=BB270_810 Depth=1
	s_or_b32 exec_lo, exec_lo, s17
.LBB270_1303:                           ;   in Loop: Header=BB270_810 Depth=1
	s_delay_alu instid0(SALU_CYCLE_1)
	s_or_b32 exec_lo, exec_lo, s16
.LBB270_1304:                           ;   in Loop: Header=BB270_810 Depth=1
	s_delay_alu instid0(SALU_CYCLE_1) | instskip(SKIP_4) | instid1(VALU_DEP_3)
	s_or_b32 exec_lo, exec_lo, s11
	v_and_b32_e32 v34, 0xff, v31
	v_dual_mov_b32 v6, v31 :: v_dual_mov_b32 v33, 0
	v_mov_b32_e32 v32, 0
	s_mov_b32 s11, exec_lo
	v_cmpx_ne_u16_e32 0, v34
	s_cbranch_execz .LBB270_1312
; %bb.1305:                             ;   in Loop: Header=BB270_810 Depth=1
	v_mov_b32_e32 v32, 0x8000
	s_mov_b32 s16, exec_lo
	v_cmpx_ne_u16_e32 0x80, v34
	s_cbranch_execz .LBB270_1311
; %bb.1306:                             ;   in Loop: Header=BB270_810 Depth=1
	v_and_b32_e32 v35, 0x7f, v31
	v_mov_b32_e32 v32, 0x7c01
	s_mov_b32 s17, exec_lo
	s_delay_alu instid0(VALU_DEP_2)
	v_cmpx_ne_u32_e32 0x7f, v35
	s_cbranch_execz .LBB270_1310
; %bb.1307:                             ;   in Loop: Header=BB270_810 Depth=1
	v_and_b32_e32 v32, 7, v31
	v_lshrrev_b32_e32 v34, 3, v35
	s_mov_b32 s18, exec_lo
	v_cmpx_gt_u32_e32 8, v35
; %bb.1308:                             ;   in Loop: Header=BB270_810 Depth=1
	s_delay_alu instid0(VALU_DEP_3) | instskip(NEXT) | instid1(VALU_DEP_1)
	v_clz_i32_u32_e32 v32, v32
	v_min_u32_e32 v32, 32, v32
	s_delay_alu instid0(VALU_DEP_1) | instskip(NEXT) | instid1(VALU_DEP_1)
	v_subrev_nc_u32_e32 v34, 28, v32
	v_lshlrev_b64_e32 v[36:37], v34, v[6:7]
	v_sub_nc_u32_e32 v34, 29, v32
	s_delay_alu instid0(VALU_DEP_2)
	v_and_b32_e32 v32, 7, v36
; %bb.1309:                             ;   in Loop: Header=BB270_810 Depth=1
	s_or_b32 exec_lo, exec_lo, s18
	s_delay_alu instid0(VALU_DEP_1) | instskip(NEXT) | instid1(VALU_DEP_3)
	v_dual_lshlrev_b32 v35, 8, v31 :: v_dual_lshlrev_b32 v32, 7, v32
	v_lshl_add_u32 v34, v34, 10, 0x2000
	s_delay_alu instid0(VALU_DEP_2) | instskip(NEXT) | instid1(VALU_DEP_2)
	v_and_b32_e32 v35, 0x8000, v35
	v_and_b32_e32 v34, 0xfc00, v34
	s_delay_alu instid0(VALU_DEP_1)
	v_or3_b32 v32, v35, v34, v32
.LBB270_1310:                           ;   in Loop: Header=BB270_810 Depth=1
	s_or_b32 exec_lo, exec_lo, s17
.LBB270_1311:                           ;   in Loop: Header=BB270_810 Depth=1
	s_delay_alu instid0(SALU_CYCLE_1)
	s_or_b32 exec_lo, exec_lo, s16
.LBB270_1312:                           ;   in Loop: Header=BB270_810 Depth=1
	s_delay_alu instid0(SALU_CYCLE_1) | instskip(SKIP_3) | instid1(VALU_DEP_2)
	s_or_b32 exec_lo, exec_lo, s11
	v_lshrrev_b16 v6, 8, v6
	v_mov_b32_e32 v34, 0
	s_mov_b32 s11, exec_lo
	v_cmpx_ne_u16_e32 0, v6
	s_cbranch_execz .LBB270_1320
; %bb.1313:                             ;   in Loop: Header=BB270_810 Depth=1
	v_bfrev_b32_e32 v34, 1
	s_mov_b32 s16, exec_lo
	v_cmpx_ne_u16_e32 0x80, v6
	s_cbranch_execz .LBB270_1319
; %bb.1314:                             ;   in Loop: Header=BB270_810 Depth=1
	v_and_b32_e32 v35, 0xffff, v6
	v_mov_b32_e32 v34, 0x7c010000
	s_mov_b32 s17, exec_lo
	s_delay_alu instid0(VALU_DEP_2) | instskip(NEXT) | instid1(VALU_DEP_1)
	v_and_b32_e32 v37, 0x7f, v35
	v_cmpx_ne_u32_e32 0x7f, v37
	s_cbranch_execz .LBB270_1318
; %bb.1315:                             ;   in Loop: Header=BB270_810 Depth=1
	v_dual_lshrrev_b32 v36, 3, v37 :: v_dual_bitop2_b32 v34, 7, v35 bitop3:0x40
	s_mov_b32 s18, exec_lo
	v_cmpx_gt_u32_e32 8, v37
; %bb.1316:                             ;   in Loop: Header=BB270_810 Depth=1
	s_delay_alu instid0(VALU_DEP_2) | instskip(NEXT) | instid1(VALU_DEP_1)
	v_clz_i32_u32_e32 v34, v34
	v_min_u32_e32 v34, 32, v34
	s_delay_alu instid0(VALU_DEP_1) | instskip(NEXT) | instid1(VALU_DEP_1)
	v_subrev_nc_u32_e32 v36, 28, v34
	v_lshlrev_b64_e32 v[112:113], v36, v[6:7]
	s_delay_alu instid0(VALU_DEP_1)
	v_dual_sub_nc_u32 v36, 29, v34 :: v_dual_bitop2_b32 v34, 7, v112 bitop3:0x40
; %bb.1317:                             ;   in Loop: Header=BB270_810 Depth=1
	s_or_b32 exec_lo, exec_lo, s18
	s_delay_alu instid0(VALU_DEP_1) | instskip(NEXT) | instid1(VALU_DEP_2)
	v_dual_lshlrev_b32 v6, 8, v35 :: v_dual_lshlrev_b32 v34, 23, v34
	v_lshl_add_u32 v35, v36, 10, 0x2000
	s_delay_alu instid0(VALU_DEP_1) | instskip(NEXT) | instid1(VALU_DEP_1)
	v_and_or_b32 v6, 0x8000, v6, v35
	v_lshl_or_b32 v34, v6, 16, v34
.LBB270_1318:                           ;   in Loop: Header=BB270_810 Depth=1
	s_or_b32 exec_lo, exec_lo, s17
.LBB270_1319:                           ;   in Loop: Header=BB270_810 Depth=1
	s_delay_alu instid0(SALU_CYCLE_1)
	s_or_b32 exec_lo, exec_lo, s16
.LBB270_1320:                           ;   in Loop: Header=BB270_810 Depth=1
	s_delay_alu instid0(SALU_CYCLE_1) | instskip(SKIP_2) | instid1(VALU_DEP_1)
	s_or_b32 exec_lo, exec_lo, s11
	v_lshrrev_b32_e32 v6, 16, v31
	s_mov_b32 s11, exec_lo
	v_and_b32_e32 v35, 0xff, v6
	s_delay_alu instid0(VALU_DEP_1)
	v_cmpx_ne_u16_e32 0, v35
	s_cbranch_execz .LBB270_1328
; %bb.1321:                             ;   in Loop: Header=BB270_810 Depth=1
	v_mov_b32_e32 v33, 0x8000
	s_mov_b32 s16, exec_lo
	v_cmpx_ne_u16_e32 0x80, v35
	s_cbranch_execz .LBB270_1327
; %bb.1322:                             ;   in Loop: Header=BB270_810 Depth=1
	v_bfe_u32 v36, v31, 16, 7
	v_mov_b32_e32 v33, 0x7c01
	s_mov_b32 s17, exec_lo
	s_delay_alu instid0(VALU_DEP_2)
	v_cmpx_ne_u32_e32 0x7f, v36
	s_cbranch_execz .LBB270_1326
; %bb.1323:                             ;   in Loop: Header=BB270_810 Depth=1
	v_dual_lshrrev_b32 v35, 3, v36 :: v_dual_bitop2_b32 v33, 7, v6 bitop3:0x40
	s_mov_b32 s18, exec_lo
	v_cmpx_gt_u32_e32 8, v36
; %bb.1324:                             ;   in Loop: Header=BB270_810 Depth=1
	s_delay_alu instid0(VALU_DEP_2) | instskip(NEXT) | instid1(VALU_DEP_1)
	v_clz_i32_u32_e32 v33, v33
	v_min_u32_e32 v33, 32, v33
	s_delay_alu instid0(VALU_DEP_1) | instskip(NEXT) | instid1(VALU_DEP_1)
	v_subrev_nc_u32_e32 v35, 28, v33
	v_lshlrev_b64_e32 v[36:37], v35, v[6:7]
	s_delay_alu instid0(VALU_DEP_1)
	v_dual_sub_nc_u32 v35, 29, v33 :: v_dual_bitop2_b32 v33, 7, v36 bitop3:0x40
; %bb.1325:                             ;   in Loop: Header=BB270_810 Depth=1
	s_or_b32 exec_lo, exec_lo, s18
	s_delay_alu instid0(VALU_DEP_1) | instskip(NEXT) | instid1(VALU_DEP_2)
	v_dual_lshlrev_b32 v6, 8, v6 :: v_dual_lshlrev_b32 v33, 7, v33
	v_lshl_add_u32 v35, v35, 10, 0x2000
	s_delay_alu instid0(VALU_DEP_2) | instskip(NEXT) | instid1(VALU_DEP_2)
	v_and_b32_e32 v6, 0x8000, v6
	v_and_b32_e32 v35, 0xfc00, v35
	s_delay_alu instid0(VALU_DEP_1)
	v_or3_b32 v33, v6, v35, v33
.LBB270_1326:                           ;   in Loop: Header=BB270_810 Depth=1
	s_or_b32 exec_lo, exec_lo, s17
.LBB270_1327:                           ;   in Loop: Header=BB270_810 Depth=1
	s_delay_alu instid0(SALU_CYCLE_1)
	s_or_b32 exec_lo, exec_lo, s16
.LBB270_1328:                           ;   in Loop: Header=BB270_810 Depth=1
	s_delay_alu instid0(SALU_CYCLE_1)
	s_or_b32 exec_lo, exec_lo, s11
	v_cmp_lt_u64_e64 s0, s[2:3], v[30:31]
	v_mov_b32_e32 v30, 0
	s_and_saveexec_b32 s11, s0
	s_cbranch_execz .LBB270_1336
; %bb.1329:                             ;   in Loop: Header=BB270_810 Depth=1
	v_lshrrev_b32_e32 v6, 24, v31
	v_bfrev_b32_e32 v30, 1
	s_mov_b32 s16, exec_lo
	s_delay_alu instid0(VALU_DEP_2)
	v_cmpx_ne_u32_e32 0x80, v6
	s_cbranch_execz .LBB270_1335
; %bb.1330:                             ;   in Loop: Header=BB270_810 Depth=1
	v_and_b32_e32 v35, 0x7f, v6
	v_mov_b32_e32 v30, 0x7c010000
	s_mov_b32 s17, exec_lo
	s_delay_alu instid0(VALU_DEP_2)
	v_cmpx_ne_u32_e32 0x7f, v35
	s_cbranch_execz .LBB270_1334
; %bb.1331:                             ;   in Loop: Header=BB270_810 Depth=1
	v_dual_lshrrev_b32 v31, 3, v35 :: v_dual_bitop2_b32 v30, 7, v6 bitop3:0x40
	s_mov_b32 s18, exec_lo
	v_cmpx_gt_u32_e32 8, v35
; %bb.1332:                             ;   in Loop: Header=BB270_810 Depth=1
	s_delay_alu instid0(VALU_DEP_2) | instskip(NEXT) | instid1(VALU_DEP_1)
	v_clz_i32_u32_e32 v30, v30
	v_min_u32_e32 v35, 32, v30
	s_delay_alu instid0(VALU_DEP_1) | instskip(NEXT) | instid1(VALU_DEP_1)
	v_subrev_nc_u32_e32 v30, 28, v35
	v_lshlrev_b64_e32 v[30:31], v30, v[6:7]
	s_delay_alu instid0(VALU_DEP_1)
	v_dual_sub_nc_u32 v31, 29, v35 :: v_dual_bitop2_b32 v30, 7, v30 bitop3:0x40
; %bb.1333:                             ;   in Loop: Header=BB270_810 Depth=1
	s_or_b32 exec_lo, exec_lo, s18
	v_lshlrev_b32_e32 v6, 8, v6
	s_delay_alu instid0(VALU_DEP_2) | instskip(NEXT) | instid1(VALU_DEP_3)
	v_lshl_add_u32 v31, v31, 10, 0x2000
	v_lshlrev_b32_e32 v30, 23, v30
	s_delay_alu instid0(VALU_DEP_2) | instskip(NEXT) | instid1(VALU_DEP_1)
	v_and_or_b32 v6, 0x8000, v6, v31
	v_lshl_or_b32 v30, v6, 16, v30
.LBB270_1334:                           ;   in Loop: Header=BB270_810 Depth=1
	s_or_b32 exec_lo, exec_lo, s17
.LBB270_1335:                           ;   in Loop: Header=BB270_810 Depth=1
	s_delay_alu instid0(SALU_CYCLE_1)
	s_or_b32 exec_lo, exec_lo, s16
.LBB270_1336:                           ;   in Loop: Header=BB270_810 Depth=1
	s_delay_alu instid0(SALU_CYCLE_1) | instskip(SKIP_3) | instid1(VALU_DEP_3)
	s_or_b32 exec_lo, exec_lo, s11
	v_dual_lshrrev_b32 v6, 16, v0 :: v_dual_lshrrev_b32 v31, 16, v17
	v_or_b32_e32 v35, v0, v1
	v_dual_lshrrev_b32 v36, 16, v30 :: v_dual_bitop2_b32 v17, v17, v19 bitop3:0x54
	v_cvt_f32_f16_e32 v1, v6
	s_delay_alu instid0(VALU_DEP_4) | instskip(SKIP_1) | instid1(VALU_DEP_4)
	v_cvt_f32_f16_e32 v0, v31
	v_dual_lshrrev_b32 v19, 16, v34 :: v_dual_bitop2_b32 v6, v30, v33 bitop3:0x54
	v_cvt_f32_f16_e32 v30, v17
	v_cvt_f32_f16_e32 v31, v35
	s_wait_loadcnt_dscnt 0x0
	v_pk_mul_f32 v[0:1], v[16:17], v[0:1] op_sel_hi:[0,1]
	v_or_b32_e32 v17, v34, v32
	v_cvt_f32_f16_e32 v33, v19
	v_cvt_f32_f16_e32 v32, v36
	s_delay_alu instid0(VALU_DEP_3) | instskip(NEXT) | instid1(VALU_DEP_1)
	v_pk_mul_f32 v[30:31], v[16:17], v[30:31] op_sel_hi:[0,1]
	v_cvt_pk_f16_f32 v19, v30, v31
	s_delay_alu instid0(VALU_DEP_1) | instskip(SKIP_3) | instid1(VALU_DEP_2)
	v_lshrrev_b32_e32 v37, 16, v19
	v_cvt_f32_f16_e32 v34, v6
	v_cvt_pk_f16_f32 v6, v0, v1
	v_and_b32_e32 v36, 0xffff, v19
	v_lshlrev_b32_e32 v30, 16, v6
	v_cvt_f32_f16_e32 v35, v17
	v_pk_mul_f32 v[0:1], v[16:17], v[32:33] op_sel_hi:[0,1]
	v_and_b32_e32 v31, 0xffff0000, v6
	s_delay_alu instid0(VALU_DEP_3) | instskip(NEXT) | instid1(VALU_DEP_3)
	v_pk_mul_f32 v[16:17], v[16:17], v[34:35] op_sel_hi:[0,1]
	v_cvt_pk_f16_f32 v0, v0, v1
	s_delay_alu instid0(VALU_DEP_3) | instskip(SKIP_1) | instid1(VALU_DEP_4)
	v_or_b32_e32 v35, v31, v37
	v_or_b32_e32 v34, v30, v36
	v_cvt_pk_f16_f32 v1, v16, v17
	s_delay_alu instid0(VALU_DEP_4) | instskip(NEXT) | instid1(VALU_DEP_2)
	v_and_b32_e32 v17, 0xffff0000, v0
	v_dual_lshlrev_b32 v6, 16, v0 :: v_dual_lshrrev_b32 v19, 16, v1
	v_and_b32_e32 v16, 0xffff, v1
	s_delay_alu instid0(VALU_DEP_2) | instskip(NEXT) | instid1(VALU_DEP_2)
	v_or_b32_e32 v33, v17, v19
	v_or_b32_e32 v32, v6, v16
	s_and_saveexec_b32 s11, vcc_lo
	s_cbranch_execz .LBB270_1338
; %bb.1337:                             ;   in Loop: Header=BB270_810 Depth=1
	v_cmp_lt_i32_e64 s0, v54, v13
	s_delay_alu instid0(VALU_DEP_1) | instskip(SKIP_1) | instid1(VALU_DEP_1)
	v_cndmask_b32_e64 v0, 0, v37, s0
	v_cmp_lt_i32_e64 s0, v71, v12
	v_cndmask_b32_e64 v1, 0, v36, s0
	v_cmp_lt_i32_e64 s0, v70, v13
	s_delay_alu instid0(VALU_DEP_1) | instskip(SKIP_1) | instid1(VALU_DEP_1)
	v_cndmask_b32_e64 v31, 0, v31, s0
	v_cmp_lt_i32_e64 s0, v69, v12
	v_cndmask_b32_e64 v30, 0, v30, s0
	v_cmp_lt_i32_e64 s0, v68, v13
	s_delay_alu instid0(VALU_DEP_4) | instskip(NEXT) | instid1(VALU_DEP_2)
	v_or_b32_e32 v35, v0, v31
	v_dual_cndmask_b32 v19, 0, v19, s0 :: v_dual_bitop2_b32 v34, v1, v30 bitop3:0x54
	v_cmp_lt_i32_e64 s0, v67, v12
	s_delay_alu instid0(VALU_DEP_1) | instskip(SKIP_1) | instid1(VALU_DEP_1)
	v_cndmask_b32_e64 v16, 0, v16, s0
	v_cmp_lt_i32_e64 s0, v66, v13
	v_cndmask_b32_e64 v17, 0, v17, s0
	v_cmp_lt_i32_e64 s0, v65, v12
	s_delay_alu instid0(VALU_DEP_1) | instskip(NEXT) | instid1(VALU_DEP_1)
	v_dual_cndmask_b32 v6, 0, v6, s0 :: v_dual_bitop2_b32 v33, v19, v17 bitop3:0x54
	v_or_b32_e32 v32, v16, v6
.LBB270_1338:                           ;   in Loop: Header=BB270_810 Depth=1
	s_or_b32 exec_lo, exec_lo, s11
	;;#ASMSTART
	v_pk_mul_f16 v0, v80, v35;

	;;#ASMEND
	;;#ASMSTART
	v_pk_mul_f16 v1, v49, v34;

	;;#ASMEND
	;; [unrolled: 4-line block ×4, first 2 shown]
	;;#ASMSTART
	v_pk_add_f16 v0, v0, v1;

	;;#ASMEND
	;;#ASMSTART
	v_pk_add_f16 v0, v0, v6;

	;;#ASMEND
	;; [unrolled: 4-line block ×3, first 2 shown]
	v_and_b32_e32 v1, 0xffff, v0
	v_lshrrev_b32_e32 v0, 16, v0
	;;#ASMSTART
	v_cvt_f32_f16 v103, v1;
	;;#ASMEND
	v_mov_b32_e32 v1, 0
	;;#ASMSTART
	v_cvt_f32_f16 v112, v0;
	;;#ASMEND
	flat_load_b64 v[30:31], v[10:11] offset:2048
	flat_load_b32 v16, v[22:23]
	v_mov_b32_e32 v0, 0
	s_mov_b32 s11, exec_lo
	s_wait_loadcnt_dscnt 0x101
	v_and_b32_e32 v6, 0xff, v30
	s_wait_xcnt 0x0
	s_delay_alu instid0(VALU_DEP_1)
	v_cmpx_ne_u16_e32 0, v6
	s_cbranch_execz .LBB270_1346
; %bb.1339:                             ;   in Loop: Header=BB270_810 Depth=1
	v_mov_b32_e32 v1, 0x8000
	s_mov_b32 s16, exec_lo
	v_cmpx_ne_u16_e32 0x80, v6
	s_cbranch_execz .LBB270_1345
; %bb.1340:                             ;   in Loop: Header=BB270_810 Depth=1
	v_and_b32_e32 v17, 0x7f, v30
	v_mov_b32_e32 v1, 0x7c01
	s_mov_b32 s17, exec_lo
	s_delay_alu instid0(VALU_DEP_2)
	v_cmpx_ne_u32_e32 0x7f, v17
	s_cbranch_execz .LBB270_1344
; %bb.1341:                             ;   in Loop: Header=BB270_810 Depth=1
	v_dual_lshrrev_b32 v6, 3, v17 :: v_dual_bitop2_b32 v1, 7, v30 bitop3:0x40
	s_mov_b32 s18, exec_lo
	v_cmpx_gt_u32_e32 8, v17
; %bb.1342:                             ;   in Loop: Header=BB270_810 Depth=1
	s_delay_alu instid0(VALU_DEP_2) | instskip(NEXT) | instid1(VALU_DEP_1)
	v_clz_i32_u32_e32 v1, v1
	v_min_u32_e32 v1, 32, v1
	s_delay_alu instid0(VALU_DEP_1) | instskip(NEXT) | instid1(VALU_DEP_1)
	v_subrev_nc_u32_e32 v6, 28, v1
	v_lshlrev_b64_e32 v[32:33], v6, v[30:31]
	s_delay_alu instid0(VALU_DEP_1)
	v_dual_sub_nc_u32 v6, 29, v1 :: v_dual_bitop2_b32 v1, 7, v32 bitop3:0x40
; %bb.1343:                             ;   in Loop: Header=BB270_810 Depth=1
	s_or_b32 exec_lo, exec_lo, s18
	s_delay_alu instid0(VALU_DEP_1) | instskip(NEXT) | instid1(VALU_DEP_2)
	v_dual_lshlrev_b32 v17, 8, v30 :: v_dual_lshlrev_b32 v1, 7, v1
	v_lshl_add_u32 v6, v6, 10, 0x2000
	s_delay_alu instid0(VALU_DEP_2) | instskip(NEXT) | instid1(VALU_DEP_2)
	v_and_b32_e32 v17, 0x8000, v17
	v_and_b32_e32 v6, 0xfc00, v6
	s_delay_alu instid0(VALU_DEP_1)
	v_or3_b32 v1, v17, v6, v1
.LBB270_1344:                           ;   in Loop: Header=BB270_810 Depth=1
	s_or_b32 exec_lo, exec_lo, s17
.LBB270_1345:                           ;   in Loop: Header=BB270_810 Depth=1
	s_delay_alu instid0(SALU_CYCLE_1)
	s_or_b32 exec_lo, exec_lo, s16
.LBB270_1346:                           ;   in Loop: Header=BB270_810 Depth=1
	s_delay_alu instid0(SALU_CYCLE_1) | instskip(SKIP_2) | instid1(VALU_DEP_1)
	s_or_b32 exec_lo, exec_lo, s11
	v_lshrrev_b16 v6, 8, v30
	s_mov_b32 s11, exec_lo
	v_cmpx_ne_u16_e32 0, v6
	s_cbranch_execz .LBB270_1354
; %bb.1347:                             ;   in Loop: Header=BB270_810 Depth=1
	v_bfrev_b32_e32 v0, 1
	s_mov_b32 s16, exec_lo
	v_cmpx_ne_u16_e32 0x80, v6
	s_cbranch_execz .LBB270_1353
; %bb.1348:                             ;   in Loop: Header=BB270_810 Depth=1
	v_and_b32_e32 v17, 0xffff, v6
	v_mov_b32_e32 v0, 0x7c010000
	s_mov_b32 s17, exec_lo
	s_delay_alu instid0(VALU_DEP_2) | instskip(NEXT) | instid1(VALU_DEP_1)
	v_and_b32_e32 v32, 0x7f, v17
	v_cmpx_ne_u32_e32 0x7f, v32
	s_cbranch_execz .LBB270_1352
; %bb.1349:                             ;   in Loop: Header=BB270_810 Depth=1
	v_dual_lshrrev_b32 v19, 3, v32 :: v_dual_bitop2_b32 v0, 7, v17 bitop3:0x40
	s_mov_b32 s18, exec_lo
	v_cmpx_gt_u32_e32 8, v32
; %bb.1350:                             ;   in Loop: Header=BB270_810 Depth=1
	s_delay_alu instid0(VALU_DEP_2) | instskip(NEXT) | instid1(VALU_DEP_1)
	v_clz_i32_u32_e32 v0, v0
	v_min_u32_e32 v0, 32, v0
	s_delay_alu instid0(VALU_DEP_1) | instskip(NEXT) | instid1(VALU_DEP_1)
	v_subrev_nc_u32_e32 v19, 28, v0
	v_lshlrev_b64_e32 v[32:33], v19, v[6:7]
	v_sub_nc_u32_e32 v19, 29, v0
	s_delay_alu instid0(VALU_DEP_2)
	v_and_b32_e32 v0, 7, v32
; %bb.1351:                             ;   in Loop: Header=BB270_810 Depth=1
	s_or_b32 exec_lo, exec_lo, s18
	s_delay_alu instid0(VALU_DEP_1) | instskip(NEXT) | instid1(VALU_DEP_3)
	v_dual_lshlrev_b32 v6, 8, v17 :: v_dual_lshlrev_b32 v0, 23, v0
	v_lshl_add_u32 v17, v19, 10, 0x2000
	s_delay_alu instid0(VALU_DEP_1) | instskip(NEXT) | instid1(VALU_DEP_1)
	v_and_or_b32 v6, 0x8000, v6, v17
	v_lshl_or_b32 v0, v6, 16, v0
.LBB270_1352:                           ;   in Loop: Header=BB270_810 Depth=1
	s_or_b32 exec_lo, exec_lo, s17
.LBB270_1353:                           ;   in Loop: Header=BB270_810 Depth=1
	s_delay_alu instid0(SALU_CYCLE_1)
	s_or_b32 exec_lo, exec_lo, s16
.LBB270_1354:                           ;   in Loop: Header=BB270_810 Depth=1
	s_delay_alu instid0(SALU_CYCLE_1) | instskip(SKIP_3) | instid1(VALU_DEP_2)
	s_or_b32 exec_lo, exec_lo, s11
	v_dual_mov_b32 v17, 0 :: v_dual_lshrrev_b32 v6, 16, v30
	v_mov_b32_e32 v19, 0
	s_mov_b32 s11, exec_lo
	v_and_b32_e32 v32, 0xff, v6
	s_delay_alu instid0(VALU_DEP_1)
	v_cmpx_ne_u16_e32 0, v32
	s_cbranch_execz .LBB270_1362
; %bb.1355:                             ;   in Loop: Header=BB270_810 Depth=1
	v_mov_b32_e32 v19, 0x8000
	s_mov_b32 s16, exec_lo
	v_cmpx_ne_u16_e32 0x80, v32
	s_cbranch_execz .LBB270_1361
; %bb.1356:                             ;   in Loop: Header=BB270_810 Depth=1
	v_bfe_u32 v33, v30, 16, 7
	v_mov_b32_e32 v19, 0x7c01
	s_mov_b32 s17, exec_lo
	s_delay_alu instid0(VALU_DEP_2)
	v_cmpx_ne_u32_e32 0x7f, v33
	s_cbranch_execz .LBB270_1360
; %bb.1357:                             ;   in Loop: Header=BB270_810 Depth=1
	v_dual_lshrrev_b32 v32, 3, v33 :: v_dual_bitop2_b32 v19, 7, v6 bitop3:0x40
	s_mov_b32 s18, exec_lo
	v_cmpx_gt_u32_e32 8, v33
; %bb.1358:                             ;   in Loop: Header=BB270_810 Depth=1
	s_delay_alu instid0(VALU_DEP_2) | instskip(NEXT) | instid1(VALU_DEP_1)
	v_clz_i32_u32_e32 v19, v19
	v_min_u32_e32 v19, 32, v19
	s_delay_alu instid0(VALU_DEP_1) | instskip(NEXT) | instid1(VALU_DEP_1)
	v_subrev_nc_u32_e32 v32, 28, v19
	v_lshlrev_b64_e32 v[34:35], v32, v[6:7]
	s_delay_alu instid0(VALU_DEP_1)
	v_dual_sub_nc_u32 v32, 29, v19 :: v_dual_bitop2_b32 v19, 7, v34 bitop3:0x40
; %bb.1359:                             ;   in Loop: Header=BB270_810 Depth=1
	s_or_b32 exec_lo, exec_lo, s18
	s_delay_alu instid0(VALU_DEP_1) | instskip(NEXT) | instid1(VALU_DEP_2)
	v_dual_lshlrev_b32 v6, 8, v6 :: v_dual_lshlrev_b32 v19, 7, v19
	v_lshl_add_u32 v32, v32, 10, 0x2000
	s_delay_alu instid0(VALU_DEP_2) | instskip(NEXT) | instid1(VALU_DEP_2)
	v_and_b32_e32 v6, 0x8000, v6
	v_and_b32_e32 v32, 0xfc00, v32
	s_delay_alu instid0(VALU_DEP_1)
	v_or3_b32 v19, v6, v32, v19
.LBB270_1360:                           ;   in Loop: Header=BB270_810 Depth=1
	s_or_b32 exec_lo, exec_lo, s17
.LBB270_1361:                           ;   in Loop: Header=BB270_810 Depth=1
	s_delay_alu instid0(SALU_CYCLE_1)
	s_or_b32 exec_lo, exec_lo, s16
.LBB270_1362:                           ;   in Loop: Header=BB270_810 Depth=1
	s_delay_alu instid0(SALU_CYCLE_1) | instskip(NEXT) | instid1(SALU_CYCLE_1)
	s_or_b32 exec_lo, exec_lo, s11
	s_mov_b32 s11, exec_lo
	v_cmpx_lt_u32_e32 0xffffff, v30
	s_cbranch_execz .LBB270_1370
; %bb.1363:                             ;   in Loop: Header=BB270_810 Depth=1
	v_lshrrev_b32_e32 v6, 24, v30
	v_bfrev_b32_e32 v17, 1
	s_mov_b32 s16, exec_lo
	s_delay_alu instid0(VALU_DEP_2)
	v_cmpx_ne_u32_e32 0x80, v6
	s_cbranch_execz .LBB270_1369
; %bb.1364:                             ;   in Loop: Header=BB270_810 Depth=1
	v_and_b32_e32 v33, 0x7f, v6
	v_mov_b32_e32 v17, 0x7c010000
	s_mov_b32 s17, exec_lo
	s_delay_alu instid0(VALU_DEP_2)
	v_cmpx_ne_u32_e32 0x7f, v33
	s_cbranch_execz .LBB270_1368
; %bb.1365:                             ;   in Loop: Header=BB270_810 Depth=1
	v_dual_lshrrev_b32 v32, 3, v33 :: v_dual_bitop2_b32 v17, 7, v6 bitop3:0x40
	s_mov_b32 s18, exec_lo
	v_cmpx_gt_u32_e32 8, v33
; %bb.1366:                             ;   in Loop: Header=BB270_810 Depth=1
	s_delay_alu instid0(VALU_DEP_2) | instskip(NEXT) | instid1(VALU_DEP_1)
	v_clz_i32_u32_e32 v17, v17
	v_min_u32_e32 v17, 32, v17
	s_delay_alu instid0(VALU_DEP_1) | instskip(NEXT) | instid1(VALU_DEP_1)
	v_subrev_nc_u32_e32 v32, 28, v17
	v_lshlrev_b64_e32 v[34:35], v32, v[6:7]
	s_delay_alu instid0(VALU_DEP_1)
	v_dual_sub_nc_u32 v32, 29, v17 :: v_dual_bitop2_b32 v17, 7, v34 bitop3:0x40
; %bb.1367:                             ;   in Loop: Header=BB270_810 Depth=1
	s_or_b32 exec_lo, exec_lo, s18
	s_delay_alu instid0(VALU_DEP_1) | instskip(NEXT) | instid1(VALU_DEP_2)
	v_dual_lshlrev_b32 v6, 8, v6 :: v_dual_lshlrev_b32 v17, 23, v17
	v_lshl_add_u32 v32, v32, 10, 0x2000
	s_delay_alu instid0(VALU_DEP_1) | instskip(NEXT) | instid1(VALU_DEP_1)
	v_and_or_b32 v6, 0x8000, v6, v32
	v_lshl_or_b32 v17, v6, 16, v17
.LBB270_1368:                           ;   in Loop: Header=BB270_810 Depth=1
	s_or_b32 exec_lo, exec_lo, s17
.LBB270_1369:                           ;   in Loop: Header=BB270_810 Depth=1
	s_delay_alu instid0(SALU_CYCLE_1)
	s_or_b32 exec_lo, exec_lo, s16
.LBB270_1370:                           ;   in Loop: Header=BB270_810 Depth=1
	s_delay_alu instid0(SALU_CYCLE_1) | instskip(SKIP_4) | instid1(VALU_DEP_3)
	s_or_b32 exec_lo, exec_lo, s11
	v_and_b32_e32 v34, 0xff, v31
	v_dual_mov_b32 v6, v31 :: v_dual_mov_b32 v33, 0
	v_mov_b32_e32 v32, 0
	s_mov_b32 s11, exec_lo
	v_cmpx_ne_u16_e32 0, v34
	s_cbranch_execz .LBB270_1378
; %bb.1371:                             ;   in Loop: Header=BB270_810 Depth=1
	v_mov_b32_e32 v32, 0x8000
	s_mov_b32 s16, exec_lo
	v_cmpx_ne_u16_e32 0x80, v34
	s_cbranch_execz .LBB270_1377
; %bb.1372:                             ;   in Loop: Header=BB270_810 Depth=1
	v_and_b32_e32 v35, 0x7f, v31
	v_mov_b32_e32 v32, 0x7c01
	s_mov_b32 s17, exec_lo
	s_delay_alu instid0(VALU_DEP_2)
	v_cmpx_ne_u32_e32 0x7f, v35
	s_cbranch_execz .LBB270_1376
; %bb.1373:                             ;   in Loop: Header=BB270_810 Depth=1
	v_and_b32_e32 v32, 7, v31
	v_lshrrev_b32_e32 v34, 3, v35
	s_mov_b32 s18, exec_lo
	v_cmpx_gt_u32_e32 8, v35
; %bb.1374:                             ;   in Loop: Header=BB270_810 Depth=1
	s_delay_alu instid0(VALU_DEP_3) | instskip(NEXT) | instid1(VALU_DEP_1)
	v_clz_i32_u32_e32 v32, v32
	v_min_u32_e32 v32, 32, v32
	s_delay_alu instid0(VALU_DEP_1) | instskip(NEXT) | instid1(VALU_DEP_1)
	v_subrev_nc_u32_e32 v34, 28, v32
	v_lshlrev_b64_e32 v[36:37], v34, v[6:7]
	v_sub_nc_u32_e32 v34, 29, v32
	s_delay_alu instid0(VALU_DEP_2)
	v_and_b32_e32 v32, 7, v36
; %bb.1375:                             ;   in Loop: Header=BB270_810 Depth=1
	s_or_b32 exec_lo, exec_lo, s18
	s_delay_alu instid0(VALU_DEP_1) | instskip(NEXT) | instid1(VALU_DEP_3)
	v_dual_lshlrev_b32 v35, 8, v31 :: v_dual_lshlrev_b32 v32, 7, v32
	v_lshl_add_u32 v34, v34, 10, 0x2000
	s_delay_alu instid0(VALU_DEP_2) | instskip(NEXT) | instid1(VALU_DEP_2)
	v_and_b32_e32 v35, 0x8000, v35
	v_and_b32_e32 v34, 0xfc00, v34
	s_delay_alu instid0(VALU_DEP_1)
	v_or3_b32 v32, v35, v34, v32
.LBB270_1376:                           ;   in Loop: Header=BB270_810 Depth=1
	s_or_b32 exec_lo, exec_lo, s17
.LBB270_1377:                           ;   in Loop: Header=BB270_810 Depth=1
	s_delay_alu instid0(SALU_CYCLE_1)
	s_or_b32 exec_lo, exec_lo, s16
.LBB270_1378:                           ;   in Loop: Header=BB270_810 Depth=1
	s_delay_alu instid0(SALU_CYCLE_1) | instskip(SKIP_3) | instid1(VALU_DEP_2)
	s_or_b32 exec_lo, exec_lo, s11
	v_lshrrev_b16 v6, 8, v6
	v_mov_b32_e32 v34, 0
	s_mov_b32 s11, exec_lo
	v_cmpx_ne_u16_e32 0, v6
	s_cbranch_execz .LBB270_1386
; %bb.1379:                             ;   in Loop: Header=BB270_810 Depth=1
	v_bfrev_b32_e32 v34, 1
	s_mov_b32 s16, exec_lo
	v_cmpx_ne_u16_e32 0x80, v6
	s_cbranch_execz .LBB270_1385
; %bb.1380:                             ;   in Loop: Header=BB270_810 Depth=1
	v_and_b32_e32 v35, 0xffff, v6
	v_mov_b32_e32 v34, 0x7c010000
	s_mov_b32 s17, exec_lo
	s_delay_alu instid0(VALU_DEP_2) | instskip(NEXT) | instid1(VALU_DEP_1)
	v_and_b32_e32 v37, 0x7f, v35
	v_cmpx_ne_u32_e32 0x7f, v37
	s_cbranch_execz .LBB270_1384
; %bb.1381:                             ;   in Loop: Header=BB270_810 Depth=1
	v_dual_lshrrev_b32 v36, 3, v37 :: v_dual_bitop2_b32 v34, 7, v35 bitop3:0x40
	s_mov_b32 s18, exec_lo
	v_cmpx_gt_u32_e32 8, v37
; %bb.1382:                             ;   in Loop: Header=BB270_810 Depth=1
	s_delay_alu instid0(VALU_DEP_2) | instskip(NEXT) | instid1(VALU_DEP_1)
	v_clz_i32_u32_e32 v34, v34
	v_min_u32_e32 v34, 32, v34
	s_delay_alu instid0(VALU_DEP_1) | instskip(NEXT) | instid1(VALU_DEP_1)
	v_subrev_nc_u32_e32 v36, 28, v34
	v_lshlrev_b64_e32 v[114:115], v36, v[6:7]
	v_sub_nc_u32_e32 v36, 29, v34
	s_delay_alu instid0(VALU_DEP_2)
	v_and_b32_e32 v34, 7, v114
; %bb.1383:                             ;   in Loop: Header=BB270_810 Depth=1
	s_or_b32 exec_lo, exec_lo, s18
	s_delay_alu instid0(VALU_DEP_1) | instskip(NEXT) | instid1(VALU_DEP_3)
	v_dual_lshlrev_b32 v6, 8, v35 :: v_dual_lshlrev_b32 v34, 23, v34
	v_lshl_add_u32 v35, v36, 10, 0x2000
	s_delay_alu instid0(VALU_DEP_1) | instskip(NEXT) | instid1(VALU_DEP_1)
	v_and_or_b32 v6, 0x8000, v6, v35
	v_lshl_or_b32 v34, v6, 16, v34
.LBB270_1384:                           ;   in Loop: Header=BB270_810 Depth=1
	s_or_b32 exec_lo, exec_lo, s17
.LBB270_1385:                           ;   in Loop: Header=BB270_810 Depth=1
	s_delay_alu instid0(SALU_CYCLE_1)
	s_or_b32 exec_lo, exec_lo, s16
.LBB270_1386:                           ;   in Loop: Header=BB270_810 Depth=1
	s_delay_alu instid0(SALU_CYCLE_1) | instskip(SKIP_2) | instid1(VALU_DEP_1)
	s_or_b32 exec_lo, exec_lo, s11
	v_lshrrev_b32_e32 v6, 16, v31
	s_mov_b32 s11, exec_lo
	v_and_b32_e32 v35, 0xff, v6
	s_delay_alu instid0(VALU_DEP_1)
	v_cmpx_ne_u16_e32 0, v35
	s_cbranch_execz .LBB270_1394
; %bb.1387:                             ;   in Loop: Header=BB270_810 Depth=1
	v_mov_b32_e32 v33, 0x8000
	s_mov_b32 s16, exec_lo
	v_cmpx_ne_u16_e32 0x80, v35
	s_cbranch_execz .LBB270_1393
; %bb.1388:                             ;   in Loop: Header=BB270_810 Depth=1
	v_bfe_u32 v36, v31, 16, 7
	v_mov_b32_e32 v33, 0x7c01
	s_mov_b32 s17, exec_lo
	s_delay_alu instid0(VALU_DEP_2)
	v_cmpx_ne_u32_e32 0x7f, v36
	s_cbranch_execz .LBB270_1392
; %bb.1389:                             ;   in Loop: Header=BB270_810 Depth=1
	v_dual_lshrrev_b32 v35, 3, v36 :: v_dual_bitop2_b32 v33, 7, v6 bitop3:0x40
	s_mov_b32 s18, exec_lo
	v_cmpx_gt_u32_e32 8, v36
; %bb.1390:                             ;   in Loop: Header=BB270_810 Depth=1
	s_delay_alu instid0(VALU_DEP_2) | instskip(NEXT) | instid1(VALU_DEP_1)
	v_clz_i32_u32_e32 v33, v33
	v_min_u32_e32 v33, 32, v33
	s_delay_alu instid0(VALU_DEP_1) | instskip(NEXT) | instid1(VALU_DEP_1)
	v_subrev_nc_u32_e32 v35, 28, v33
	v_lshlrev_b64_e32 v[36:37], v35, v[6:7]
	s_delay_alu instid0(VALU_DEP_1)
	v_dual_sub_nc_u32 v35, 29, v33 :: v_dual_bitop2_b32 v33, 7, v36 bitop3:0x40
; %bb.1391:                             ;   in Loop: Header=BB270_810 Depth=1
	s_or_b32 exec_lo, exec_lo, s18
	s_delay_alu instid0(VALU_DEP_1) | instskip(NEXT) | instid1(VALU_DEP_2)
	v_dual_lshlrev_b32 v6, 8, v6 :: v_dual_lshlrev_b32 v33, 7, v33
	v_lshl_add_u32 v35, v35, 10, 0x2000
	s_delay_alu instid0(VALU_DEP_2) | instskip(NEXT) | instid1(VALU_DEP_2)
	v_and_b32_e32 v6, 0x8000, v6
	v_and_b32_e32 v35, 0xfc00, v35
	s_delay_alu instid0(VALU_DEP_1)
	v_or3_b32 v33, v6, v35, v33
.LBB270_1392:                           ;   in Loop: Header=BB270_810 Depth=1
	s_or_b32 exec_lo, exec_lo, s17
.LBB270_1393:                           ;   in Loop: Header=BB270_810 Depth=1
	s_delay_alu instid0(SALU_CYCLE_1)
	s_or_b32 exec_lo, exec_lo, s16
.LBB270_1394:                           ;   in Loop: Header=BB270_810 Depth=1
	s_delay_alu instid0(SALU_CYCLE_1)
	s_or_b32 exec_lo, exec_lo, s11
	v_cmp_lt_u64_e64 s0, s[2:3], v[30:31]
	v_mov_b32_e32 v30, 0
	s_and_saveexec_b32 s11, s0
	s_cbranch_execz .LBB270_1402
; %bb.1395:                             ;   in Loop: Header=BB270_810 Depth=1
	v_lshrrev_b32_e32 v6, 24, v31
	v_bfrev_b32_e32 v30, 1
	s_mov_b32 s16, exec_lo
	s_delay_alu instid0(VALU_DEP_2)
	v_cmpx_ne_u32_e32 0x80, v6
	s_cbranch_execz .LBB270_1401
; %bb.1396:                             ;   in Loop: Header=BB270_810 Depth=1
	v_and_b32_e32 v35, 0x7f, v6
	v_mov_b32_e32 v30, 0x7c010000
	s_mov_b32 s17, exec_lo
	s_delay_alu instid0(VALU_DEP_2)
	v_cmpx_ne_u32_e32 0x7f, v35
	s_cbranch_execz .LBB270_1400
; %bb.1397:                             ;   in Loop: Header=BB270_810 Depth=1
	v_dual_lshrrev_b32 v31, 3, v35 :: v_dual_bitop2_b32 v30, 7, v6 bitop3:0x40
	s_mov_b32 s18, exec_lo
	v_cmpx_gt_u32_e32 8, v35
; %bb.1398:                             ;   in Loop: Header=BB270_810 Depth=1
	s_delay_alu instid0(VALU_DEP_2) | instskip(NEXT) | instid1(VALU_DEP_1)
	v_clz_i32_u32_e32 v30, v30
	v_min_u32_e32 v35, 32, v30
	s_delay_alu instid0(VALU_DEP_1) | instskip(NEXT) | instid1(VALU_DEP_1)
	v_subrev_nc_u32_e32 v30, 28, v35
	v_lshlrev_b64_e32 v[30:31], v30, v[6:7]
	s_delay_alu instid0(VALU_DEP_1)
	v_dual_sub_nc_u32 v31, 29, v35 :: v_dual_bitop2_b32 v30, 7, v30 bitop3:0x40
; %bb.1399:                             ;   in Loop: Header=BB270_810 Depth=1
	s_or_b32 exec_lo, exec_lo, s18
	v_lshlrev_b32_e32 v6, 8, v6
	s_delay_alu instid0(VALU_DEP_2) | instskip(NEXT) | instid1(VALU_DEP_3)
	v_lshl_add_u32 v31, v31, 10, 0x2000
	v_lshlrev_b32_e32 v30, 23, v30
	s_delay_alu instid0(VALU_DEP_2) | instskip(NEXT) | instid1(VALU_DEP_1)
	v_and_or_b32 v6, 0x8000, v6, v31
	v_lshl_or_b32 v30, v6, 16, v30
.LBB270_1400:                           ;   in Loop: Header=BB270_810 Depth=1
	s_or_b32 exec_lo, exec_lo, s17
.LBB270_1401:                           ;   in Loop: Header=BB270_810 Depth=1
	s_delay_alu instid0(SALU_CYCLE_1)
	s_or_b32 exec_lo, exec_lo, s16
.LBB270_1402:                           ;   in Loop: Header=BB270_810 Depth=1
	s_delay_alu instid0(SALU_CYCLE_1) | instskip(SKIP_3) | instid1(VALU_DEP_3)
	s_or_b32 exec_lo, exec_lo, s11
	v_dual_lshrrev_b32 v6, 16, v0 :: v_dual_lshrrev_b32 v31, 16, v17
	v_or_b32_e32 v35, v0, v1
	v_dual_lshrrev_b32 v36, 16, v30 :: v_dual_bitop2_b32 v17, v17, v19 bitop3:0x54
	v_cvt_f32_f16_e32 v1, v6
	s_delay_alu instid0(VALU_DEP_4) | instskip(SKIP_1) | instid1(VALU_DEP_4)
	v_cvt_f32_f16_e32 v0, v31
	v_dual_lshrrev_b32 v19, 16, v34 :: v_dual_bitop2_b32 v6, v30, v33 bitop3:0x54
	v_cvt_f32_f16_e32 v30, v17
	v_cvt_f32_f16_e32 v31, v35
	s_wait_loadcnt_dscnt 0x0
	v_pk_mul_f32 v[0:1], v[16:17], v[0:1] op_sel_hi:[0,1]
	v_or_b32_e32 v17, v34, v32
	v_cvt_f32_f16_e32 v33, v19
	v_cvt_f32_f16_e32 v32, v36
	s_delay_alu instid0(VALU_DEP_3) | instskip(NEXT) | instid1(VALU_DEP_1)
	v_pk_mul_f32 v[30:31], v[16:17], v[30:31] op_sel_hi:[0,1]
	v_cvt_pk_f16_f32 v19, v30, v31
	s_delay_alu instid0(VALU_DEP_1) | instskip(SKIP_3) | instid1(VALU_DEP_2)
	v_lshrrev_b32_e32 v37, 16, v19
	v_cvt_f32_f16_e32 v34, v6
	v_cvt_pk_f16_f32 v6, v0, v1
	v_and_b32_e32 v36, 0xffff, v19
	v_lshlrev_b32_e32 v30, 16, v6
	v_cvt_f32_f16_e32 v35, v17
	v_pk_mul_f32 v[0:1], v[16:17], v[32:33] op_sel_hi:[0,1]
	v_and_b32_e32 v31, 0xffff0000, v6
	s_delay_alu instid0(VALU_DEP_3) | instskip(NEXT) | instid1(VALU_DEP_3)
	v_pk_mul_f32 v[16:17], v[16:17], v[34:35] op_sel_hi:[0,1]
	v_cvt_pk_f16_f32 v0, v0, v1
	s_delay_alu instid0(VALU_DEP_3) | instskip(SKIP_1) | instid1(VALU_DEP_4)
	v_or_b32_e32 v35, v31, v37
	v_or_b32_e32 v34, v30, v36
	v_cvt_pk_f16_f32 v1, v16, v17
	s_delay_alu instid0(VALU_DEP_4) | instskip(NEXT) | instid1(VALU_DEP_2)
	v_and_b32_e32 v17, 0xffff0000, v0
	v_dual_lshlrev_b32 v6, 16, v0 :: v_dual_lshrrev_b32 v19, 16, v1
	v_and_b32_e32 v16, 0xffff, v1
	s_delay_alu instid0(VALU_DEP_2) | instskip(NEXT) | instid1(VALU_DEP_2)
	v_or_b32_e32 v33, v17, v19
	v_or_b32_e32 v32, v6, v16
	s_and_saveexec_b32 s11, vcc_lo
	s_cbranch_execz .LBB270_1404
; %bb.1403:                             ;   in Loop: Header=BB270_810 Depth=1
	v_cmp_lt_i32_e64 s0, v54, v13
	s_delay_alu instid0(VALU_DEP_1) | instskip(SKIP_1) | instid1(VALU_DEP_1)
	v_cndmask_b32_e64 v0, 0, v37, s0
	v_cmp_lt_i32_e64 s0, v71, v12
	v_cndmask_b32_e64 v1, 0, v36, s0
	v_cmp_lt_i32_e64 s0, v70, v13
	s_delay_alu instid0(VALU_DEP_1) | instskip(SKIP_1) | instid1(VALU_DEP_1)
	v_cndmask_b32_e64 v31, 0, v31, s0
	v_cmp_lt_i32_e64 s0, v69, v12
	v_cndmask_b32_e64 v30, 0, v30, s0
	v_cmp_lt_i32_e64 s0, v68, v13
	s_delay_alu instid0(VALU_DEP_4) | instskip(NEXT) | instid1(VALU_DEP_2)
	v_or_b32_e32 v35, v0, v31
	v_dual_cndmask_b32 v19, 0, v19, s0 :: v_dual_bitop2_b32 v34, v1, v30 bitop3:0x54
	v_cmp_lt_i32_e64 s0, v67, v12
	s_delay_alu instid0(VALU_DEP_1) | instskip(SKIP_1) | instid1(VALU_DEP_1)
	v_cndmask_b32_e64 v16, 0, v16, s0
	v_cmp_lt_i32_e64 s0, v66, v13
	v_cndmask_b32_e64 v17, 0, v17, s0
	v_cmp_lt_i32_e64 s0, v65, v12
	s_delay_alu instid0(VALU_DEP_1) | instskip(NEXT) | instid1(VALU_DEP_1)
	v_dual_cndmask_b32 v6, 0, v6, s0 :: v_dual_bitop2_b32 v33, v19, v17 bitop3:0x54
	v_or_b32_e32 v32, v16, v6
.LBB270_1404:                           ;   in Loop: Header=BB270_810 Depth=1
	s_or_b32 exec_lo, exec_lo, s11
	;;#ASMSTART
	v_pk_mul_f16 v0, v80, v35;

	;;#ASMEND
	;;#ASMSTART
	v_pk_mul_f16 v1, v49, v34;

	;;#ASMEND
	;; [unrolled: 4-line block ×4, first 2 shown]
	;;#ASMSTART
	v_pk_add_f16 v0, v0, v1;

	;;#ASMEND
	;;#ASMSTART
	v_pk_add_f16 v0, v0, v6;

	;;#ASMEND
	;; [unrolled: 4-line block ×3, first 2 shown]
	v_and_b32_e32 v1, 0xffff, v0
	v_lshrrev_b32_e32 v0, 16, v0
	;;#ASMSTART
	v_cvt_f32_f16 v113, v1;
	;;#ASMEND
	v_mov_b32_e32 v1, 0
	;;#ASMSTART
	v_cvt_f32_f16 v114, v0;
	;;#ASMEND
	flat_load_b64 v[30:31], v[10:11] offset:2304
	flat_load_b32 v16, v[22:23]
	v_mov_b32_e32 v0, 0
	s_mov_b32 s11, exec_lo
	s_wait_loadcnt_dscnt 0x101
	v_and_b32_e32 v6, 0xff, v30
	s_wait_xcnt 0x0
	s_delay_alu instid0(VALU_DEP_1)
	v_cmpx_ne_u16_e32 0, v6
	s_cbranch_execz .LBB270_1412
; %bb.1405:                             ;   in Loop: Header=BB270_810 Depth=1
	v_mov_b32_e32 v1, 0x8000
	s_mov_b32 s16, exec_lo
	v_cmpx_ne_u16_e32 0x80, v6
	s_cbranch_execz .LBB270_1411
; %bb.1406:                             ;   in Loop: Header=BB270_810 Depth=1
	v_and_b32_e32 v17, 0x7f, v30
	v_mov_b32_e32 v1, 0x7c01
	s_mov_b32 s17, exec_lo
	s_delay_alu instid0(VALU_DEP_2)
	v_cmpx_ne_u32_e32 0x7f, v17
	s_cbranch_execz .LBB270_1410
; %bb.1407:                             ;   in Loop: Header=BB270_810 Depth=1
	v_dual_lshrrev_b32 v6, 3, v17 :: v_dual_bitop2_b32 v1, 7, v30 bitop3:0x40
	s_mov_b32 s18, exec_lo
	v_cmpx_gt_u32_e32 8, v17
; %bb.1408:                             ;   in Loop: Header=BB270_810 Depth=1
	s_delay_alu instid0(VALU_DEP_2) | instskip(NEXT) | instid1(VALU_DEP_1)
	v_clz_i32_u32_e32 v1, v1
	v_min_u32_e32 v1, 32, v1
	s_delay_alu instid0(VALU_DEP_1) | instskip(NEXT) | instid1(VALU_DEP_1)
	v_subrev_nc_u32_e32 v6, 28, v1
	v_lshlrev_b64_e32 v[32:33], v6, v[30:31]
	s_delay_alu instid0(VALU_DEP_1)
	v_dual_sub_nc_u32 v6, 29, v1 :: v_dual_bitop2_b32 v1, 7, v32 bitop3:0x40
; %bb.1409:                             ;   in Loop: Header=BB270_810 Depth=1
	s_or_b32 exec_lo, exec_lo, s18
	s_delay_alu instid0(VALU_DEP_1) | instskip(NEXT) | instid1(VALU_DEP_2)
	v_dual_lshlrev_b32 v17, 8, v30 :: v_dual_lshlrev_b32 v1, 7, v1
	v_lshl_add_u32 v6, v6, 10, 0x2000
	s_delay_alu instid0(VALU_DEP_2) | instskip(NEXT) | instid1(VALU_DEP_2)
	v_and_b32_e32 v17, 0x8000, v17
	v_and_b32_e32 v6, 0xfc00, v6
	s_delay_alu instid0(VALU_DEP_1)
	v_or3_b32 v1, v17, v6, v1
.LBB270_1410:                           ;   in Loop: Header=BB270_810 Depth=1
	s_or_b32 exec_lo, exec_lo, s17
.LBB270_1411:                           ;   in Loop: Header=BB270_810 Depth=1
	s_delay_alu instid0(SALU_CYCLE_1)
	s_or_b32 exec_lo, exec_lo, s16
.LBB270_1412:                           ;   in Loop: Header=BB270_810 Depth=1
	s_delay_alu instid0(SALU_CYCLE_1) | instskip(SKIP_2) | instid1(VALU_DEP_1)
	s_or_b32 exec_lo, exec_lo, s11
	v_lshrrev_b16 v6, 8, v30
	s_mov_b32 s11, exec_lo
	v_cmpx_ne_u16_e32 0, v6
	s_cbranch_execz .LBB270_1420
; %bb.1413:                             ;   in Loop: Header=BB270_810 Depth=1
	v_bfrev_b32_e32 v0, 1
	s_mov_b32 s16, exec_lo
	v_cmpx_ne_u16_e32 0x80, v6
	s_cbranch_execz .LBB270_1419
; %bb.1414:                             ;   in Loop: Header=BB270_810 Depth=1
	v_and_b32_e32 v17, 0xffff, v6
	v_mov_b32_e32 v0, 0x7c010000
	s_mov_b32 s17, exec_lo
	s_delay_alu instid0(VALU_DEP_2) | instskip(NEXT) | instid1(VALU_DEP_1)
	v_and_b32_e32 v32, 0x7f, v17
	v_cmpx_ne_u32_e32 0x7f, v32
	s_cbranch_execz .LBB270_1418
; %bb.1415:                             ;   in Loop: Header=BB270_810 Depth=1
	v_dual_lshrrev_b32 v19, 3, v32 :: v_dual_bitop2_b32 v0, 7, v17 bitop3:0x40
	s_mov_b32 s18, exec_lo
	v_cmpx_gt_u32_e32 8, v32
; %bb.1416:                             ;   in Loop: Header=BB270_810 Depth=1
	s_delay_alu instid0(VALU_DEP_2) | instskip(NEXT) | instid1(VALU_DEP_1)
	v_clz_i32_u32_e32 v0, v0
	v_min_u32_e32 v0, 32, v0
	s_delay_alu instid0(VALU_DEP_1) | instskip(NEXT) | instid1(VALU_DEP_1)
	v_subrev_nc_u32_e32 v19, 28, v0
	v_lshlrev_b64_e32 v[32:33], v19, v[6:7]
	v_sub_nc_u32_e32 v19, 29, v0
	s_delay_alu instid0(VALU_DEP_2)
	v_and_b32_e32 v0, 7, v32
; %bb.1417:                             ;   in Loop: Header=BB270_810 Depth=1
	s_or_b32 exec_lo, exec_lo, s18
	s_delay_alu instid0(VALU_DEP_1) | instskip(NEXT) | instid1(VALU_DEP_3)
	v_dual_lshlrev_b32 v6, 8, v17 :: v_dual_lshlrev_b32 v0, 23, v0
	v_lshl_add_u32 v17, v19, 10, 0x2000
	s_delay_alu instid0(VALU_DEP_1) | instskip(NEXT) | instid1(VALU_DEP_1)
	v_and_or_b32 v6, 0x8000, v6, v17
	v_lshl_or_b32 v0, v6, 16, v0
.LBB270_1418:                           ;   in Loop: Header=BB270_810 Depth=1
	s_or_b32 exec_lo, exec_lo, s17
.LBB270_1419:                           ;   in Loop: Header=BB270_810 Depth=1
	s_delay_alu instid0(SALU_CYCLE_1)
	s_or_b32 exec_lo, exec_lo, s16
.LBB270_1420:                           ;   in Loop: Header=BB270_810 Depth=1
	s_delay_alu instid0(SALU_CYCLE_1) | instskip(SKIP_3) | instid1(VALU_DEP_2)
	s_or_b32 exec_lo, exec_lo, s11
	v_dual_mov_b32 v17, 0 :: v_dual_lshrrev_b32 v6, 16, v30
	v_mov_b32_e32 v19, 0
	s_mov_b32 s11, exec_lo
	v_and_b32_e32 v32, 0xff, v6
	s_delay_alu instid0(VALU_DEP_1)
	v_cmpx_ne_u16_e32 0, v32
	s_cbranch_execz .LBB270_1428
; %bb.1421:                             ;   in Loop: Header=BB270_810 Depth=1
	v_mov_b32_e32 v19, 0x8000
	s_mov_b32 s16, exec_lo
	v_cmpx_ne_u16_e32 0x80, v32
	s_cbranch_execz .LBB270_1427
; %bb.1422:                             ;   in Loop: Header=BB270_810 Depth=1
	v_bfe_u32 v33, v30, 16, 7
	v_mov_b32_e32 v19, 0x7c01
	s_mov_b32 s17, exec_lo
	s_delay_alu instid0(VALU_DEP_2)
	v_cmpx_ne_u32_e32 0x7f, v33
	s_cbranch_execz .LBB270_1426
; %bb.1423:                             ;   in Loop: Header=BB270_810 Depth=1
	v_dual_lshrrev_b32 v32, 3, v33 :: v_dual_bitop2_b32 v19, 7, v6 bitop3:0x40
	s_mov_b32 s18, exec_lo
	v_cmpx_gt_u32_e32 8, v33
; %bb.1424:                             ;   in Loop: Header=BB270_810 Depth=1
	s_delay_alu instid0(VALU_DEP_2) | instskip(NEXT) | instid1(VALU_DEP_1)
	v_clz_i32_u32_e32 v19, v19
	v_min_u32_e32 v19, 32, v19
	s_delay_alu instid0(VALU_DEP_1) | instskip(NEXT) | instid1(VALU_DEP_1)
	v_subrev_nc_u32_e32 v32, 28, v19
	v_lshlrev_b64_e32 v[34:35], v32, v[6:7]
	s_delay_alu instid0(VALU_DEP_1)
	v_dual_sub_nc_u32 v32, 29, v19 :: v_dual_bitop2_b32 v19, 7, v34 bitop3:0x40
; %bb.1425:                             ;   in Loop: Header=BB270_810 Depth=1
	s_or_b32 exec_lo, exec_lo, s18
	s_delay_alu instid0(VALU_DEP_1) | instskip(NEXT) | instid1(VALU_DEP_2)
	v_dual_lshlrev_b32 v6, 8, v6 :: v_dual_lshlrev_b32 v19, 7, v19
	v_lshl_add_u32 v32, v32, 10, 0x2000
	s_delay_alu instid0(VALU_DEP_2) | instskip(NEXT) | instid1(VALU_DEP_2)
	v_and_b32_e32 v6, 0x8000, v6
	v_and_b32_e32 v32, 0xfc00, v32
	s_delay_alu instid0(VALU_DEP_1)
	v_or3_b32 v19, v6, v32, v19
.LBB270_1426:                           ;   in Loop: Header=BB270_810 Depth=1
	s_or_b32 exec_lo, exec_lo, s17
.LBB270_1427:                           ;   in Loop: Header=BB270_810 Depth=1
	s_delay_alu instid0(SALU_CYCLE_1)
	s_or_b32 exec_lo, exec_lo, s16
.LBB270_1428:                           ;   in Loop: Header=BB270_810 Depth=1
	s_delay_alu instid0(SALU_CYCLE_1) | instskip(NEXT) | instid1(SALU_CYCLE_1)
	s_or_b32 exec_lo, exec_lo, s11
	s_mov_b32 s11, exec_lo
	v_cmpx_lt_u32_e32 0xffffff, v30
	s_cbranch_execz .LBB270_1436
; %bb.1429:                             ;   in Loop: Header=BB270_810 Depth=1
	v_lshrrev_b32_e32 v6, 24, v30
	v_bfrev_b32_e32 v17, 1
	s_mov_b32 s16, exec_lo
	s_delay_alu instid0(VALU_DEP_2)
	v_cmpx_ne_u32_e32 0x80, v6
	s_cbranch_execz .LBB270_1435
; %bb.1430:                             ;   in Loop: Header=BB270_810 Depth=1
	v_and_b32_e32 v33, 0x7f, v6
	v_mov_b32_e32 v17, 0x7c010000
	s_mov_b32 s17, exec_lo
	s_delay_alu instid0(VALU_DEP_2)
	v_cmpx_ne_u32_e32 0x7f, v33
	s_cbranch_execz .LBB270_1434
; %bb.1431:                             ;   in Loop: Header=BB270_810 Depth=1
	v_dual_lshrrev_b32 v32, 3, v33 :: v_dual_bitop2_b32 v17, 7, v6 bitop3:0x40
	s_mov_b32 s18, exec_lo
	v_cmpx_gt_u32_e32 8, v33
; %bb.1432:                             ;   in Loop: Header=BB270_810 Depth=1
	s_delay_alu instid0(VALU_DEP_2) | instskip(NEXT) | instid1(VALU_DEP_1)
	v_clz_i32_u32_e32 v17, v17
	v_min_u32_e32 v17, 32, v17
	s_delay_alu instid0(VALU_DEP_1) | instskip(NEXT) | instid1(VALU_DEP_1)
	v_subrev_nc_u32_e32 v32, 28, v17
	v_lshlrev_b64_e32 v[34:35], v32, v[6:7]
	s_delay_alu instid0(VALU_DEP_1)
	v_dual_sub_nc_u32 v32, 29, v17 :: v_dual_bitop2_b32 v17, 7, v34 bitop3:0x40
; %bb.1433:                             ;   in Loop: Header=BB270_810 Depth=1
	s_or_b32 exec_lo, exec_lo, s18
	s_delay_alu instid0(VALU_DEP_1) | instskip(NEXT) | instid1(VALU_DEP_2)
	v_dual_lshlrev_b32 v6, 8, v6 :: v_dual_lshlrev_b32 v17, 23, v17
	v_lshl_add_u32 v32, v32, 10, 0x2000
	s_delay_alu instid0(VALU_DEP_1) | instskip(NEXT) | instid1(VALU_DEP_1)
	v_and_or_b32 v6, 0x8000, v6, v32
	v_lshl_or_b32 v17, v6, 16, v17
.LBB270_1434:                           ;   in Loop: Header=BB270_810 Depth=1
	s_or_b32 exec_lo, exec_lo, s17
.LBB270_1435:                           ;   in Loop: Header=BB270_810 Depth=1
	s_delay_alu instid0(SALU_CYCLE_1)
	s_or_b32 exec_lo, exec_lo, s16
.LBB270_1436:                           ;   in Loop: Header=BB270_810 Depth=1
	s_delay_alu instid0(SALU_CYCLE_1) | instskip(SKIP_4) | instid1(VALU_DEP_3)
	s_or_b32 exec_lo, exec_lo, s11
	v_and_b32_e32 v34, 0xff, v31
	v_dual_mov_b32 v6, v31 :: v_dual_mov_b32 v33, 0
	v_mov_b32_e32 v32, 0
	s_mov_b32 s11, exec_lo
	v_cmpx_ne_u16_e32 0, v34
	s_cbranch_execz .LBB270_1444
; %bb.1437:                             ;   in Loop: Header=BB270_810 Depth=1
	v_mov_b32_e32 v32, 0x8000
	s_mov_b32 s16, exec_lo
	v_cmpx_ne_u16_e32 0x80, v34
	s_cbranch_execz .LBB270_1443
; %bb.1438:                             ;   in Loop: Header=BB270_810 Depth=1
	v_and_b32_e32 v35, 0x7f, v31
	v_mov_b32_e32 v32, 0x7c01
	s_mov_b32 s17, exec_lo
	s_delay_alu instid0(VALU_DEP_2)
	v_cmpx_ne_u32_e32 0x7f, v35
	s_cbranch_execz .LBB270_1442
; %bb.1439:                             ;   in Loop: Header=BB270_810 Depth=1
	v_and_b32_e32 v32, 7, v31
	v_lshrrev_b32_e32 v34, 3, v35
	s_mov_b32 s18, exec_lo
	v_cmpx_gt_u32_e32 8, v35
; %bb.1440:                             ;   in Loop: Header=BB270_810 Depth=1
	s_delay_alu instid0(VALU_DEP_3) | instskip(NEXT) | instid1(VALU_DEP_1)
	v_clz_i32_u32_e32 v32, v32
	v_min_u32_e32 v32, 32, v32
	s_delay_alu instid0(VALU_DEP_1) | instskip(NEXT) | instid1(VALU_DEP_1)
	v_subrev_nc_u32_e32 v34, 28, v32
	v_lshlrev_b64_e32 v[36:37], v34, v[6:7]
	v_sub_nc_u32_e32 v34, 29, v32
	s_delay_alu instid0(VALU_DEP_2)
	v_and_b32_e32 v32, 7, v36
; %bb.1441:                             ;   in Loop: Header=BB270_810 Depth=1
	s_or_b32 exec_lo, exec_lo, s18
	s_delay_alu instid0(VALU_DEP_1) | instskip(NEXT) | instid1(VALU_DEP_3)
	v_dual_lshlrev_b32 v35, 8, v31 :: v_dual_lshlrev_b32 v32, 7, v32
	v_lshl_add_u32 v34, v34, 10, 0x2000
	s_delay_alu instid0(VALU_DEP_2) | instskip(NEXT) | instid1(VALU_DEP_2)
	v_and_b32_e32 v35, 0x8000, v35
	v_and_b32_e32 v34, 0xfc00, v34
	s_delay_alu instid0(VALU_DEP_1)
	v_or3_b32 v32, v35, v34, v32
.LBB270_1442:                           ;   in Loop: Header=BB270_810 Depth=1
	s_or_b32 exec_lo, exec_lo, s17
.LBB270_1443:                           ;   in Loop: Header=BB270_810 Depth=1
	s_delay_alu instid0(SALU_CYCLE_1)
	s_or_b32 exec_lo, exec_lo, s16
.LBB270_1444:                           ;   in Loop: Header=BB270_810 Depth=1
	s_delay_alu instid0(SALU_CYCLE_1) | instskip(SKIP_3) | instid1(VALU_DEP_2)
	s_or_b32 exec_lo, exec_lo, s11
	v_lshrrev_b16 v6, 8, v6
	v_mov_b32_e32 v34, 0
	s_mov_b32 s11, exec_lo
	v_cmpx_ne_u16_e32 0, v6
	s_cbranch_execz .LBB270_1452
; %bb.1445:                             ;   in Loop: Header=BB270_810 Depth=1
	v_bfrev_b32_e32 v34, 1
	s_mov_b32 s16, exec_lo
	v_cmpx_ne_u16_e32 0x80, v6
	s_cbranch_execz .LBB270_1451
; %bb.1446:                             ;   in Loop: Header=BB270_810 Depth=1
	v_and_b32_e32 v35, 0xffff, v6
	v_mov_b32_e32 v34, 0x7c010000
	s_mov_b32 s17, exec_lo
	s_delay_alu instid0(VALU_DEP_2) | instskip(NEXT) | instid1(VALU_DEP_1)
	v_and_b32_e32 v37, 0x7f, v35
	v_cmpx_ne_u32_e32 0x7f, v37
	s_cbranch_execz .LBB270_1450
; %bb.1447:                             ;   in Loop: Header=BB270_810 Depth=1
	v_dual_lshrrev_b32 v36, 3, v37 :: v_dual_bitop2_b32 v34, 7, v35 bitop3:0x40
	s_mov_b32 s18, exec_lo
	v_cmpx_gt_u32_e32 8, v37
; %bb.1448:                             ;   in Loop: Header=BB270_810 Depth=1
	s_delay_alu instid0(VALU_DEP_2) | instskip(NEXT) | instid1(VALU_DEP_1)
	v_clz_i32_u32_e32 v34, v34
	v_min_u32_e32 v34, 32, v34
	s_delay_alu instid0(VALU_DEP_1) | instskip(NEXT) | instid1(VALU_DEP_1)
	v_subrev_nc_u32_e32 v36, 28, v34
	v_lshlrev_b64_e32 v[116:117], v36, v[6:7]
	s_delay_alu instid0(VALU_DEP_1)
	v_dual_sub_nc_u32 v36, 29, v34 :: v_dual_bitop2_b32 v34, 7, v116 bitop3:0x40
; %bb.1449:                             ;   in Loop: Header=BB270_810 Depth=1
	s_or_b32 exec_lo, exec_lo, s18
	s_delay_alu instid0(VALU_DEP_1) | instskip(NEXT) | instid1(VALU_DEP_2)
	v_dual_lshlrev_b32 v6, 8, v35 :: v_dual_lshlrev_b32 v34, 23, v34
	v_lshl_add_u32 v35, v36, 10, 0x2000
	s_delay_alu instid0(VALU_DEP_1) | instskip(NEXT) | instid1(VALU_DEP_1)
	v_and_or_b32 v6, 0x8000, v6, v35
	v_lshl_or_b32 v34, v6, 16, v34
.LBB270_1450:                           ;   in Loop: Header=BB270_810 Depth=1
	s_or_b32 exec_lo, exec_lo, s17
.LBB270_1451:                           ;   in Loop: Header=BB270_810 Depth=1
	s_delay_alu instid0(SALU_CYCLE_1)
	s_or_b32 exec_lo, exec_lo, s16
.LBB270_1452:                           ;   in Loop: Header=BB270_810 Depth=1
	s_delay_alu instid0(SALU_CYCLE_1) | instskip(SKIP_2) | instid1(VALU_DEP_1)
	s_or_b32 exec_lo, exec_lo, s11
	v_lshrrev_b32_e32 v6, 16, v31
	s_mov_b32 s11, exec_lo
	v_and_b32_e32 v35, 0xff, v6
	s_delay_alu instid0(VALU_DEP_1)
	v_cmpx_ne_u16_e32 0, v35
	s_cbranch_execz .LBB270_1460
; %bb.1453:                             ;   in Loop: Header=BB270_810 Depth=1
	v_mov_b32_e32 v33, 0x8000
	s_mov_b32 s16, exec_lo
	v_cmpx_ne_u16_e32 0x80, v35
	s_cbranch_execz .LBB270_1459
; %bb.1454:                             ;   in Loop: Header=BB270_810 Depth=1
	v_bfe_u32 v36, v31, 16, 7
	v_mov_b32_e32 v33, 0x7c01
	s_mov_b32 s17, exec_lo
	s_delay_alu instid0(VALU_DEP_2)
	v_cmpx_ne_u32_e32 0x7f, v36
	s_cbranch_execz .LBB270_1458
; %bb.1455:                             ;   in Loop: Header=BB270_810 Depth=1
	v_dual_lshrrev_b32 v35, 3, v36 :: v_dual_bitop2_b32 v33, 7, v6 bitop3:0x40
	s_mov_b32 s18, exec_lo
	v_cmpx_gt_u32_e32 8, v36
; %bb.1456:                             ;   in Loop: Header=BB270_810 Depth=1
	s_delay_alu instid0(VALU_DEP_2) | instskip(NEXT) | instid1(VALU_DEP_1)
	v_clz_i32_u32_e32 v33, v33
	v_min_u32_e32 v33, 32, v33
	s_delay_alu instid0(VALU_DEP_1) | instskip(NEXT) | instid1(VALU_DEP_1)
	v_subrev_nc_u32_e32 v35, 28, v33
	v_lshlrev_b64_e32 v[36:37], v35, v[6:7]
	s_delay_alu instid0(VALU_DEP_1)
	v_dual_sub_nc_u32 v35, 29, v33 :: v_dual_bitop2_b32 v33, 7, v36 bitop3:0x40
; %bb.1457:                             ;   in Loop: Header=BB270_810 Depth=1
	s_or_b32 exec_lo, exec_lo, s18
	s_delay_alu instid0(VALU_DEP_1) | instskip(NEXT) | instid1(VALU_DEP_2)
	v_dual_lshlrev_b32 v6, 8, v6 :: v_dual_lshlrev_b32 v33, 7, v33
	v_lshl_add_u32 v35, v35, 10, 0x2000
	s_delay_alu instid0(VALU_DEP_2) | instskip(NEXT) | instid1(VALU_DEP_2)
	v_and_b32_e32 v6, 0x8000, v6
	v_and_b32_e32 v35, 0xfc00, v35
	s_delay_alu instid0(VALU_DEP_1)
	v_or3_b32 v33, v6, v35, v33
.LBB270_1458:                           ;   in Loop: Header=BB270_810 Depth=1
	s_or_b32 exec_lo, exec_lo, s17
.LBB270_1459:                           ;   in Loop: Header=BB270_810 Depth=1
	s_delay_alu instid0(SALU_CYCLE_1)
	s_or_b32 exec_lo, exec_lo, s16
.LBB270_1460:                           ;   in Loop: Header=BB270_810 Depth=1
	s_delay_alu instid0(SALU_CYCLE_1)
	s_or_b32 exec_lo, exec_lo, s11
	v_cmp_lt_u64_e64 s0, s[2:3], v[30:31]
	v_mov_b32_e32 v30, 0
	s_and_saveexec_b32 s11, s0
	s_cbranch_execz .LBB270_1468
; %bb.1461:                             ;   in Loop: Header=BB270_810 Depth=1
	v_lshrrev_b32_e32 v6, 24, v31
	v_bfrev_b32_e32 v30, 1
	s_mov_b32 s16, exec_lo
	s_delay_alu instid0(VALU_DEP_2)
	v_cmpx_ne_u32_e32 0x80, v6
	s_cbranch_execz .LBB270_1467
; %bb.1462:                             ;   in Loop: Header=BB270_810 Depth=1
	v_and_b32_e32 v35, 0x7f, v6
	v_mov_b32_e32 v30, 0x7c010000
	s_mov_b32 s17, exec_lo
	s_delay_alu instid0(VALU_DEP_2)
	v_cmpx_ne_u32_e32 0x7f, v35
	s_cbranch_execz .LBB270_1466
; %bb.1463:                             ;   in Loop: Header=BB270_810 Depth=1
	v_dual_lshrrev_b32 v31, 3, v35 :: v_dual_bitop2_b32 v30, 7, v6 bitop3:0x40
	s_mov_b32 s18, exec_lo
	v_cmpx_gt_u32_e32 8, v35
; %bb.1464:                             ;   in Loop: Header=BB270_810 Depth=1
	s_delay_alu instid0(VALU_DEP_2) | instskip(NEXT) | instid1(VALU_DEP_1)
	v_clz_i32_u32_e32 v30, v30
	v_min_u32_e32 v35, 32, v30
	s_delay_alu instid0(VALU_DEP_1) | instskip(NEXT) | instid1(VALU_DEP_1)
	v_subrev_nc_u32_e32 v30, 28, v35
	v_lshlrev_b64_e32 v[30:31], v30, v[6:7]
	s_delay_alu instid0(VALU_DEP_1)
	v_dual_sub_nc_u32 v31, 29, v35 :: v_dual_bitop2_b32 v30, 7, v30 bitop3:0x40
; %bb.1465:                             ;   in Loop: Header=BB270_810 Depth=1
	s_or_b32 exec_lo, exec_lo, s18
	v_lshlrev_b32_e32 v6, 8, v6
	s_delay_alu instid0(VALU_DEP_2) | instskip(NEXT) | instid1(VALU_DEP_3)
	v_lshl_add_u32 v31, v31, 10, 0x2000
	v_lshlrev_b32_e32 v30, 23, v30
	s_delay_alu instid0(VALU_DEP_2) | instskip(NEXT) | instid1(VALU_DEP_1)
	v_and_or_b32 v6, 0x8000, v6, v31
	v_lshl_or_b32 v30, v6, 16, v30
.LBB270_1466:                           ;   in Loop: Header=BB270_810 Depth=1
	s_or_b32 exec_lo, exec_lo, s17
.LBB270_1467:                           ;   in Loop: Header=BB270_810 Depth=1
	s_delay_alu instid0(SALU_CYCLE_1)
	s_or_b32 exec_lo, exec_lo, s16
.LBB270_1468:                           ;   in Loop: Header=BB270_810 Depth=1
	s_delay_alu instid0(SALU_CYCLE_1) | instskip(SKIP_3) | instid1(VALU_DEP_3)
	s_or_b32 exec_lo, exec_lo, s11
	v_dual_lshrrev_b32 v6, 16, v0 :: v_dual_lshrrev_b32 v31, 16, v17
	v_or_b32_e32 v35, v0, v1
	v_dual_lshrrev_b32 v36, 16, v30 :: v_dual_bitop2_b32 v17, v17, v19 bitop3:0x54
	v_cvt_f32_f16_e32 v1, v6
	s_delay_alu instid0(VALU_DEP_4) | instskip(SKIP_1) | instid1(VALU_DEP_4)
	v_cvt_f32_f16_e32 v0, v31
	v_dual_lshrrev_b32 v19, 16, v34 :: v_dual_bitop2_b32 v6, v30, v33 bitop3:0x54
	v_cvt_f32_f16_e32 v30, v17
	v_cvt_f32_f16_e32 v31, v35
	s_wait_loadcnt_dscnt 0x0
	v_pk_mul_f32 v[0:1], v[16:17], v[0:1] op_sel_hi:[0,1]
	v_or_b32_e32 v17, v34, v32
	v_cvt_f32_f16_e32 v33, v19
	v_cvt_f32_f16_e32 v32, v36
	s_delay_alu instid0(VALU_DEP_3) | instskip(NEXT) | instid1(VALU_DEP_1)
	v_pk_mul_f32 v[30:31], v[16:17], v[30:31] op_sel_hi:[0,1]
	v_cvt_pk_f16_f32 v19, v30, v31
	s_delay_alu instid0(VALU_DEP_1) | instskip(SKIP_3) | instid1(VALU_DEP_2)
	v_lshrrev_b32_e32 v37, 16, v19
	v_cvt_f32_f16_e32 v34, v6
	v_cvt_pk_f16_f32 v6, v0, v1
	v_and_b32_e32 v36, 0xffff, v19
	v_lshlrev_b32_e32 v30, 16, v6
	v_cvt_f32_f16_e32 v35, v17
	v_pk_mul_f32 v[0:1], v[16:17], v[32:33] op_sel_hi:[0,1]
	v_and_b32_e32 v31, 0xffff0000, v6
	s_delay_alu instid0(VALU_DEP_3) | instskip(NEXT) | instid1(VALU_DEP_3)
	v_pk_mul_f32 v[16:17], v[16:17], v[34:35] op_sel_hi:[0,1]
	v_cvt_pk_f16_f32 v0, v0, v1
	s_delay_alu instid0(VALU_DEP_3) | instskip(SKIP_1) | instid1(VALU_DEP_4)
	v_or_b32_e32 v35, v31, v37
	v_or_b32_e32 v34, v30, v36
	v_cvt_pk_f16_f32 v1, v16, v17
	s_delay_alu instid0(VALU_DEP_4) | instskip(NEXT) | instid1(VALU_DEP_2)
	v_and_b32_e32 v17, 0xffff0000, v0
	v_dual_lshlrev_b32 v6, 16, v0 :: v_dual_lshrrev_b32 v19, 16, v1
	v_and_b32_e32 v16, 0xffff, v1
	s_delay_alu instid0(VALU_DEP_2) | instskip(NEXT) | instid1(VALU_DEP_2)
	v_or_b32_e32 v33, v17, v19
	v_or_b32_e32 v32, v6, v16
	s_and_saveexec_b32 s11, vcc_lo
	s_cbranch_execz .LBB270_1470
; %bb.1469:                             ;   in Loop: Header=BB270_810 Depth=1
	v_cmp_lt_i32_e64 s0, v54, v13
	s_delay_alu instid0(VALU_DEP_1) | instskip(SKIP_1) | instid1(VALU_DEP_1)
	v_cndmask_b32_e64 v0, 0, v37, s0
	v_cmp_lt_i32_e64 s0, v71, v12
	v_cndmask_b32_e64 v1, 0, v36, s0
	v_cmp_lt_i32_e64 s0, v70, v13
	s_delay_alu instid0(VALU_DEP_1) | instskip(SKIP_1) | instid1(VALU_DEP_1)
	v_cndmask_b32_e64 v31, 0, v31, s0
	v_cmp_lt_i32_e64 s0, v69, v12
	v_cndmask_b32_e64 v30, 0, v30, s0
	v_cmp_lt_i32_e64 s0, v68, v13
	s_delay_alu instid0(VALU_DEP_4) | instskip(NEXT) | instid1(VALU_DEP_2)
	v_or_b32_e32 v35, v0, v31
	v_dual_cndmask_b32 v19, 0, v19, s0 :: v_dual_bitop2_b32 v34, v1, v30 bitop3:0x54
	v_cmp_lt_i32_e64 s0, v67, v12
	s_delay_alu instid0(VALU_DEP_1) | instskip(SKIP_1) | instid1(VALU_DEP_1)
	v_cndmask_b32_e64 v16, 0, v16, s0
	v_cmp_lt_i32_e64 s0, v66, v13
	v_cndmask_b32_e64 v17, 0, v17, s0
	v_cmp_lt_i32_e64 s0, v65, v12
	s_delay_alu instid0(VALU_DEP_1) | instskip(NEXT) | instid1(VALU_DEP_1)
	v_dual_cndmask_b32 v6, 0, v6, s0 :: v_dual_bitop2_b32 v33, v19, v17 bitop3:0x54
	v_or_b32_e32 v32, v16, v6
.LBB270_1470:                           ;   in Loop: Header=BB270_810 Depth=1
	s_or_b32 exec_lo, exec_lo, s11
	;;#ASMSTART
	v_pk_mul_f16 v0, v80, v35;

	;;#ASMEND
	;;#ASMSTART
	v_pk_mul_f16 v1, v49, v34;

	;;#ASMEND
	;; [unrolled: 4-line block ×4, first 2 shown]
	;;#ASMSTART
	v_pk_add_f16 v0, v0, v1;

	;;#ASMEND
	;;#ASMSTART
	v_pk_add_f16 v0, v0, v6;

	;;#ASMEND
	;; [unrolled: 4-line block ×3, first 2 shown]
	v_and_b32_e32 v1, 0xffff, v0
	v_lshrrev_b32_e32 v0, 16, v0
	;;#ASMSTART
	v_cvt_f32_f16 v115, v1;
	;;#ASMEND
	v_mov_b32_e32 v1, 0
	;;#ASMSTART
	v_cvt_f32_f16 v116, v0;
	;;#ASMEND
	flat_load_b64 v[30:31], v[10:11] offset:2560
	flat_load_b32 v16, v[22:23]
	v_mov_b32_e32 v0, 0
	s_mov_b32 s11, exec_lo
	s_wait_loadcnt_dscnt 0x101
	v_and_b32_e32 v6, 0xff, v30
	s_wait_xcnt 0x0
	s_delay_alu instid0(VALU_DEP_1)
	v_cmpx_ne_u16_e32 0, v6
	s_cbranch_execz .LBB270_1478
; %bb.1471:                             ;   in Loop: Header=BB270_810 Depth=1
	v_mov_b32_e32 v1, 0x8000
	s_mov_b32 s16, exec_lo
	v_cmpx_ne_u16_e32 0x80, v6
	s_cbranch_execz .LBB270_1477
; %bb.1472:                             ;   in Loop: Header=BB270_810 Depth=1
	v_and_b32_e32 v17, 0x7f, v30
	v_mov_b32_e32 v1, 0x7c01
	s_mov_b32 s17, exec_lo
	s_delay_alu instid0(VALU_DEP_2)
	v_cmpx_ne_u32_e32 0x7f, v17
	s_cbranch_execz .LBB270_1476
; %bb.1473:                             ;   in Loop: Header=BB270_810 Depth=1
	v_dual_lshrrev_b32 v6, 3, v17 :: v_dual_bitop2_b32 v1, 7, v30 bitop3:0x40
	s_mov_b32 s18, exec_lo
	v_cmpx_gt_u32_e32 8, v17
; %bb.1474:                             ;   in Loop: Header=BB270_810 Depth=1
	s_delay_alu instid0(VALU_DEP_2) | instskip(NEXT) | instid1(VALU_DEP_1)
	v_clz_i32_u32_e32 v1, v1
	v_min_u32_e32 v1, 32, v1
	s_delay_alu instid0(VALU_DEP_1) | instskip(NEXT) | instid1(VALU_DEP_1)
	v_subrev_nc_u32_e32 v6, 28, v1
	v_lshlrev_b64_e32 v[32:33], v6, v[30:31]
	s_delay_alu instid0(VALU_DEP_1)
	v_dual_sub_nc_u32 v6, 29, v1 :: v_dual_bitop2_b32 v1, 7, v32 bitop3:0x40
; %bb.1475:                             ;   in Loop: Header=BB270_810 Depth=1
	s_or_b32 exec_lo, exec_lo, s18
	s_delay_alu instid0(VALU_DEP_1) | instskip(NEXT) | instid1(VALU_DEP_2)
	v_dual_lshlrev_b32 v17, 8, v30 :: v_dual_lshlrev_b32 v1, 7, v1
	v_lshl_add_u32 v6, v6, 10, 0x2000
	s_delay_alu instid0(VALU_DEP_2) | instskip(NEXT) | instid1(VALU_DEP_2)
	v_and_b32_e32 v17, 0x8000, v17
	v_and_b32_e32 v6, 0xfc00, v6
	s_delay_alu instid0(VALU_DEP_1)
	v_or3_b32 v1, v17, v6, v1
.LBB270_1476:                           ;   in Loop: Header=BB270_810 Depth=1
	s_or_b32 exec_lo, exec_lo, s17
.LBB270_1477:                           ;   in Loop: Header=BB270_810 Depth=1
	s_delay_alu instid0(SALU_CYCLE_1)
	s_or_b32 exec_lo, exec_lo, s16
.LBB270_1478:                           ;   in Loop: Header=BB270_810 Depth=1
	s_delay_alu instid0(SALU_CYCLE_1) | instskip(SKIP_2) | instid1(VALU_DEP_1)
	s_or_b32 exec_lo, exec_lo, s11
	v_lshrrev_b16 v6, 8, v30
	s_mov_b32 s11, exec_lo
	v_cmpx_ne_u16_e32 0, v6
	s_cbranch_execz .LBB270_1486
; %bb.1479:                             ;   in Loop: Header=BB270_810 Depth=1
	v_bfrev_b32_e32 v0, 1
	s_mov_b32 s16, exec_lo
	v_cmpx_ne_u16_e32 0x80, v6
	s_cbranch_execz .LBB270_1485
; %bb.1480:                             ;   in Loop: Header=BB270_810 Depth=1
	v_and_b32_e32 v17, 0xffff, v6
	v_mov_b32_e32 v0, 0x7c010000
	s_mov_b32 s17, exec_lo
	s_delay_alu instid0(VALU_DEP_2) | instskip(NEXT) | instid1(VALU_DEP_1)
	v_and_b32_e32 v32, 0x7f, v17
	v_cmpx_ne_u32_e32 0x7f, v32
	s_cbranch_execz .LBB270_1484
; %bb.1481:                             ;   in Loop: Header=BB270_810 Depth=1
	v_dual_lshrrev_b32 v19, 3, v32 :: v_dual_bitop2_b32 v0, 7, v17 bitop3:0x40
	s_mov_b32 s18, exec_lo
	v_cmpx_gt_u32_e32 8, v32
; %bb.1482:                             ;   in Loop: Header=BB270_810 Depth=1
	s_delay_alu instid0(VALU_DEP_2) | instskip(NEXT) | instid1(VALU_DEP_1)
	v_clz_i32_u32_e32 v0, v0
	v_min_u32_e32 v0, 32, v0
	s_delay_alu instid0(VALU_DEP_1) | instskip(NEXT) | instid1(VALU_DEP_1)
	v_subrev_nc_u32_e32 v19, 28, v0
	v_lshlrev_b64_e32 v[32:33], v19, v[6:7]
	v_sub_nc_u32_e32 v19, 29, v0
	s_delay_alu instid0(VALU_DEP_2)
	v_and_b32_e32 v0, 7, v32
; %bb.1483:                             ;   in Loop: Header=BB270_810 Depth=1
	s_or_b32 exec_lo, exec_lo, s18
	s_delay_alu instid0(VALU_DEP_1) | instskip(NEXT) | instid1(VALU_DEP_3)
	v_dual_lshlrev_b32 v6, 8, v17 :: v_dual_lshlrev_b32 v0, 23, v0
	v_lshl_add_u32 v17, v19, 10, 0x2000
	s_delay_alu instid0(VALU_DEP_1) | instskip(NEXT) | instid1(VALU_DEP_1)
	v_and_or_b32 v6, 0x8000, v6, v17
	v_lshl_or_b32 v0, v6, 16, v0
.LBB270_1484:                           ;   in Loop: Header=BB270_810 Depth=1
	s_or_b32 exec_lo, exec_lo, s17
.LBB270_1485:                           ;   in Loop: Header=BB270_810 Depth=1
	s_delay_alu instid0(SALU_CYCLE_1)
	s_or_b32 exec_lo, exec_lo, s16
.LBB270_1486:                           ;   in Loop: Header=BB270_810 Depth=1
	s_delay_alu instid0(SALU_CYCLE_1) | instskip(SKIP_3) | instid1(VALU_DEP_2)
	s_or_b32 exec_lo, exec_lo, s11
	v_dual_mov_b32 v17, 0 :: v_dual_lshrrev_b32 v6, 16, v30
	v_mov_b32_e32 v19, 0
	s_mov_b32 s11, exec_lo
	v_and_b32_e32 v32, 0xff, v6
	s_delay_alu instid0(VALU_DEP_1)
	v_cmpx_ne_u16_e32 0, v32
	s_cbranch_execz .LBB270_1494
; %bb.1487:                             ;   in Loop: Header=BB270_810 Depth=1
	v_mov_b32_e32 v19, 0x8000
	s_mov_b32 s16, exec_lo
	v_cmpx_ne_u16_e32 0x80, v32
	s_cbranch_execz .LBB270_1493
; %bb.1488:                             ;   in Loop: Header=BB270_810 Depth=1
	v_bfe_u32 v33, v30, 16, 7
	v_mov_b32_e32 v19, 0x7c01
	s_mov_b32 s17, exec_lo
	s_delay_alu instid0(VALU_DEP_2)
	v_cmpx_ne_u32_e32 0x7f, v33
	s_cbranch_execz .LBB270_1492
; %bb.1489:                             ;   in Loop: Header=BB270_810 Depth=1
	v_dual_lshrrev_b32 v32, 3, v33 :: v_dual_bitop2_b32 v19, 7, v6 bitop3:0x40
	s_mov_b32 s18, exec_lo
	v_cmpx_gt_u32_e32 8, v33
; %bb.1490:                             ;   in Loop: Header=BB270_810 Depth=1
	s_delay_alu instid0(VALU_DEP_2) | instskip(NEXT) | instid1(VALU_DEP_1)
	v_clz_i32_u32_e32 v19, v19
	v_min_u32_e32 v19, 32, v19
	s_delay_alu instid0(VALU_DEP_1) | instskip(NEXT) | instid1(VALU_DEP_1)
	v_subrev_nc_u32_e32 v32, 28, v19
	v_lshlrev_b64_e32 v[34:35], v32, v[6:7]
	s_delay_alu instid0(VALU_DEP_1)
	v_dual_sub_nc_u32 v32, 29, v19 :: v_dual_bitop2_b32 v19, 7, v34 bitop3:0x40
; %bb.1491:                             ;   in Loop: Header=BB270_810 Depth=1
	s_or_b32 exec_lo, exec_lo, s18
	s_delay_alu instid0(VALU_DEP_1) | instskip(NEXT) | instid1(VALU_DEP_2)
	v_dual_lshlrev_b32 v6, 8, v6 :: v_dual_lshlrev_b32 v19, 7, v19
	v_lshl_add_u32 v32, v32, 10, 0x2000
	s_delay_alu instid0(VALU_DEP_2) | instskip(NEXT) | instid1(VALU_DEP_2)
	v_and_b32_e32 v6, 0x8000, v6
	v_and_b32_e32 v32, 0xfc00, v32
	s_delay_alu instid0(VALU_DEP_1)
	v_or3_b32 v19, v6, v32, v19
.LBB270_1492:                           ;   in Loop: Header=BB270_810 Depth=1
	s_or_b32 exec_lo, exec_lo, s17
.LBB270_1493:                           ;   in Loop: Header=BB270_810 Depth=1
	s_delay_alu instid0(SALU_CYCLE_1)
	s_or_b32 exec_lo, exec_lo, s16
.LBB270_1494:                           ;   in Loop: Header=BB270_810 Depth=1
	s_delay_alu instid0(SALU_CYCLE_1) | instskip(NEXT) | instid1(SALU_CYCLE_1)
	s_or_b32 exec_lo, exec_lo, s11
	s_mov_b32 s11, exec_lo
	v_cmpx_lt_u32_e32 0xffffff, v30
	s_cbranch_execz .LBB270_1502
; %bb.1495:                             ;   in Loop: Header=BB270_810 Depth=1
	v_lshrrev_b32_e32 v6, 24, v30
	v_bfrev_b32_e32 v17, 1
	s_mov_b32 s16, exec_lo
	s_delay_alu instid0(VALU_DEP_2)
	v_cmpx_ne_u32_e32 0x80, v6
	s_cbranch_execz .LBB270_1501
; %bb.1496:                             ;   in Loop: Header=BB270_810 Depth=1
	v_and_b32_e32 v33, 0x7f, v6
	v_mov_b32_e32 v17, 0x7c010000
	s_mov_b32 s17, exec_lo
	s_delay_alu instid0(VALU_DEP_2)
	v_cmpx_ne_u32_e32 0x7f, v33
	s_cbranch_execz .LBB270_1500
; %bb.1497:                             ;   in Loop: Header=BB270_810 Depth=1
	v_dual_lshrrev_b32 v32, 3, v33 :: v_dual_bitop2_b32 v17, 7, v6 bitop3:0x40
	s_mov_b32 s18, exec_lo
	v_cmpx_gt_u32_e32 8, v33
; %bb.1498:                             ;   in Loop: Header=BB270_810 Depth=1
	s_delay_alu instid0(VALU_DEP_2) | instskip(NEXT) | instid1(VALU_DEP_1)
	v_clz_i32_u32_e32 v17, v17
	v_min_u32_e32 v17, 32, v17
	s_delay_alu instid0(VALU_DEP_1) | instskip(NEXT) | instid1(VALU_DEP_1)
	v_subrev_nc_u32_e32 v32, 28, v17
	v_lshlrev_b64_e32 v[34:35], v32, v[6:7]
	s_delay_alu instid0(VALU_DEP_1)
	v_dual_sub_nc_u32 v32, 29, v17 :: v_dual_bitop2_b32 v17, 7, v34 bitop3:0x40
; %bb.1499:                             ;   in Loop: Header=BB270_810 Depth=1
	s_or_b32 exec_lo, exec_lo, s18
	s_delay_alu instid0(VALU_DEP_1) | instskip(NEXT) | instid1(VALU_DEP_2)
	v_dual_lshlrev_b32 v6, 8, v6 :: v_dual_lshlrev_b32 v17, 23, v17
	v_lshl_add_u32 v32, v32, 10, 0x2000
	s_delay_alu instid0(VALU_DEP_1) | instskip(NEXT) | instid1(VALU_DEP_1)
	v_and_or_b32 v6, 0x8000, v6, v32
	v_lshl_or_b32 v17, v6, 16, v17
.LBB270_1500:                           ;   in Loop: Header=BB270_810 Depth=1
	s_or_b32 exec_lo, exec_lo, s17
.LBB270_1501:                           ;   in Loop: Header=BB270_810 Depth=1
	s_delay_alu instid0(SALU_CYCLE_1)
	s_or_b32 exec_lo, exec_lo, s16
.LBB270_1502:                           ;   in Loop: Header=BB270_810 Depth=1
	s_delay_alu instid0(SALU_CYCLE_1) | instskip(SKIP_4) | instid1(VALU_DEP_3)
	s_or_b32 exec_lo, exec_lo, s11
	v_and_b32_e32 v34, 0xff, v31
	v_dual_mov_b32 v6, v31 :: v_dual_mov_b32 v33, 0
	v_mov_b32_e32 v32, 0
	s_mov_b32 s11, exec_lo
	v_cmpx_ne_u16_e32 0, v34
	s_cbranch_execz .LBB270_1510
; %bb.1503:                             ;   in Loop: Header=BB270_810 Depth=1
	v_mov_b32_e32 v32, 0x8000
	s_mov_b32 s16, exec_lo
	v_cmpx_ne_u16_e32 0x80, v34
	s_cbranch_execz .LBB270_1509
; %bb.1504:                             ;   in Loop: Header=BB270_810 Depth=1
	v_and_b32_e32 v35, 0x7f, v31
	v_mov_b32_e32 v32, 0x7c01
	s_mov_b32 s17, exec_lo
	s_delay_alu instid0(VALU_DEP_2)
	v_cmpx_ne_u32_e32 0x7f, v35
	s_cbranch_execz .LBB270_1508
; %bb.1505:                             ;   in Loop: Header=BB270_810 Depth=1
	v_and_b32_e32 v32, 7, v31
	v_lshrrev_b32_e32 v34, 3, v35
	s_mov_b32 s18, exec_lo
	v_cmpx_gt_u32_e32 8, v35
; %bb.1506:                             ;   in Loop: Header=BB270_810 Depth=1
	s_delay_alu instid0(VALU_DEP_3) | instskip(NEXT) | instid1(VALU_DEP_1)
	v_clz_i32_u32_e32 v32, v32
	v_min_u32_e32 v32, 32, v32
	s_delay_alu instid0(VALU_DEP_1) | instskip(NEXT) | instid1(VALU_DEP_1)
	v_subrev_nc_u32_e32 v34, 28, v32
	v_lshlrev_b64_e32 v[36:37], v34, v[6:7]
	v_sub_nc_u32_e32 v34, 29, v32
	s_delay_alu instid0(VALU_DEP_2)
	v_and_b32_e32 v32, 7, v36
; %bb.1507:                             ;   in Loop: Header=BB270_810 Depth=1
	s_or_b32 exec_lo, exec_lo, s18
	s_delay_alu instid0(VALU_DEP_1) | instskip(NEXT) | instid1(VALU_DEP_3)
	v_dual_lshlrev_b32 v35, 8, v31 :: v_dual_lshlrev_b32 v32, 7, v32
	v_lshl_add_u32 v34, v34, 10, 0x2000
	s_delay_alu instid0(VALU_DEP_2) | instskip(NEXT) | instid1(VALU_DEP_2)
	v_and_b32_e32 v35, 0x8000, v35
	v_and_b32_e32 v34, 0xfc00, v34
	s_delay_alu instid0(VALU_DEP_1)
	v_or3_b32 v32, v35, v34, v32
.LBB270_1508:                           ;   in Loop: Header=BB270_810 Depth=1
	s_or_b32 exec_lo, exec_lo, s17
.LBB270_1509:                           ;   in Loop: Header=BB270_810 Depth=1
	s_delay_alu instid0(SALU_CYCLE_1)
	s_or_b32 exec_lo, exec_lo, s16
.LBB270_1510:                           ;   in Loop: Header=BB270_810 Depth=1
	s_delay_alu instid0(SALU_CYCLE_1) | instskip(SKIP_3) | instid1(VALU_DEP_2)
	s_or_b32 exec_lo, exec_lo, s11
	v_lshrrev_b16 v6, 8, v6
	v_mov_b32_e32 v34, 0
	s_mov_b32 s11, exec_lo
	v_cmpx_ne_u16_e32 0, v6
	s_cbranch_execz .LBB270_1518
; %bb.1511:                             ;   in Loop: Header=BB270_810 Depth=1
	v_bfrev_b32_e32 v34, 1
	s_mov_b32 s16, exec_lo
	v_cmpx_ne_u16_e32 0x80, v6
	s_cbranch_execz .LBB270_1517
; %bb.1512:                             ;   in Loop: Header=BB270_810 Depth=1
	v_and_b32_e32 v35, 0xffff, v6
	v_mov_b32_e32 v34, 0x7c010000
	s_mov_b32 s17, exec_lo
	s_delay_alu instid0(VALU_DEP_2) | instskip(NEXT) | instid1(VALU_DEP_1)
	v_and_b32_e32 v37, 0x7f, v35
	v_cmpx_ne_u32_e32 0x7f, v37
	s_cbranch_execz .LBB270_1516
; %bb.1513:                             ;   in Loop: Header=BB270_810 Depth=1
	v_dual_lshrrev_b32 v36, 3, v37 :: v_dual_bitop2_b32 v34, 7, v35 bitop3:0x40
	s_mov_b32 s18, exec_lo
	v_cmpx_gt_u32_e32 8, v37
; %bb.1514:                             ;   in Loop: Header=BB270_810 Depth=1
	s_delay_alu instid0(VALU_DEP_2) | instskip(NEXT) | instid1(VALU_DEP_1)
	v_clz_i32_u32_e32 v34, v34
	v_min_u32_e32 v34, 32, v34
	s_delay_alu instid0(VALU_DEP_1) | instskip(NEXT) | instid1(VALU_DEP_1)
	v_subrev_nc_u32_e32 v36, 28, v34
	v_lshlrev_b64_e32 v[118:119], v36, v[6:7]
	v_sub_nc_u32_e32 v36, 29, v34
	s_delay_alu instid0(VALU_DEP_2)
	v_and_b32_e32 v34, 7, v118
; %bb.1515:                             ;   in Loop: Header=BB270_810 Depth=1
	s_or_b32 exec_lo, exec_lo, s18
	s_delay_alu instid0(VALU_DEP_1) | instskip(NEXT) | instid1(VALU_DEP_3)
	v_dual_lshlrev_b32 v6, 8, v35 :: v_dual_lshlrev_b32 v34, 23, v34
	v_lshl_add_u32 v35, v36, 10, 0x2000
	s_delay_alu instid0(VALU_DEP_1) | instskip(NEXT) | instid1(VALU_DEP_1)
	v_and_or_b32 v6, 0x8000, v6, v35
	v_lshl_or_b32 v34, v6, 16, v34
.LBB270_1516:                           ;   in Loop: Header=BB270_810 Depth=1
	s_or_b32 exec_lo, exec_lo, s17
.LBB270_1517:                           ;   in Loop: Header=BB270_810 Depth=1
	s_delay_alu instid0(SALU_CYCLE_1)
	s_or_b32 exec_lo, exec_lo, s16
.LBB270_1518:                           ;   in Loop: Header=BB270_810 Depth=1
	s_delay_alu instid0(SALU_CYCLE_1) | instskip(SKIP_2) | instid1(VALU_DEP_1)
	s_or_b32 exec_lo, exec_lo, s11
	v_lshrrev_b32_e32 v6, 16, v31
	s_mov_b32 s11, exec_lo
	v_and_b32_e32 v35, 0xff, v6
	s_delay_alu instid0(VALU_DEP_1)
	v_cmpx_ne_u16_e32 0, v35
	s_cbranch_execz .LBB270_1526
; %bb.1519:                             ;   in Loop: Header=BB270_810 Depth=1
	v_mov_b32_e32 v33, 0x8000
	s_mov_b32 s16, exec_lo
	v_cmpx_ne_u16_e32 0x80, v35
	s_cbranch_execz .LBB270_1525
; %bb.1520:                             ;   in Loop: Header=BB270_810 Depth=1
	v_bfe_u32 v36, v31, 16, 7
	v_mov_b32_e32 v33, 0x7c01
	s_mov_b32 s17, exec_lo
	s_delay_alu instid0(VALU_DEP_2)
	v_cmpx_ne_u32_e32 0x7f, v36
	s_cbranch_execz .LBB270_1524
; %bb.1521:                             ;   in Loop: Header=BB270_810 Depth=1
	v_dual_lshrrev_b32 v35, 3, v36 :: v_dual_bitop2_b32 v33, 7, v6 bitop3:0x40
	s_mov_b32 s18, exec_lo
	v_cmpx_gt_u32_e32 8, v36
; %bb.1522:                             ;   in Loop: Header=BB270_810 Depth=1
	s_delay_alu instid0(VALU_DEP_2) | instskip(NEXT) | instid1(VALU_DEP_1)
	v_clz_i32_u32_e32 v33, v33
	v_min_u32_e32 v33, 32, v33
	s_delay_alu instid0(VALU_DEP_1) | instskip(NEXT) | instid1(VALU_DEP_1)
	v_subrev_nc_u32_e32 v35, 28, v33
	v_lshlrev_b64_e32 v[36:37], v35, v[6:7]
	s_delay_alu instid0(VALU_DEP_1)
	v_dual_sub_nc_u32 v35, 29, v33 :: v_dual_bitop2_b32 v33, 7, v36 bitop3:0x40
; %bb.1523:                             ;   in Loop: Header=BB270_810 Depth=1
	s_or_b32 exec_lo, exec_lo, s18
	s_delay_alu instid0(VALU_DEP_1) | instskip(NEXT) | instid1(VALU_DEP_2)
	v_dual_lshlrev_b32 v6, 8, v6 :: v_dual_lshlrev_b32 v33, 7, v33
	v_lshl_add_u32 v35, v35, 10, 0x2000
	s_delay_alu instid0(VALU_DEP_2) | instskip(NEXT) | instid1(VALU_DEP_2)
	v_and_b32_e32 v6, 0x8000, v6
	v_and_b32_e32 v35, 0xfc00, v35
	s_delay_alu instid0(VALU_DEP_1)
	v_or3_b32 v33, v6, v35, v33
.LBB270_1524:                           ;   in Loop: Header=BB270_810 Depth=1
	s_or_b32 exec_lo, exec_lo, s17
.LBB270_1525:                           ;   in Loop: Header=BB270_810 Depth=1
	s_delay_alu instid0(SALU_CYCLE_1)
	s_or_b32 exec_lo, exec_lo, s16
.LBB270_1526:                           ;   in Loop: Header=BB270_810 Depth=1
	s_delay_alu instid0(SALU_CYCLE_1)
	s_or_b32 exec_lo, exec_lo, s11
	v_cmp_lt_u64_e64 s0, s[2:3], v[30:31]
	v_mov_b32_e32 v30, 0
	s_and_saveexec_b32 s11, s0
	s_cbranch_execz .LBB270_1534
; %bb.1527:                             ;   in Loop: Header=BB270_810 Depth=1
	v_lshrrev_b32_e32 v6, 24, v31
	v_bfrev_b32_e32 v30, 1
	s_mov_b32 s16, exec_lo
	s_delay_alu instid0(VALU_DEP_2)
	v_cmpx_ne_u32_e32 0x80, v6
	s_cbranch_execz .LBB270_1533
; %bb.1528:                             ;   in Loop: Header=BB270_810 Depth=1
	v_and_b32_e32 v35, 0x7f, v6
	v_mov_b32_e32 v30, 0x7c010000
	s_mov_b32 s17, exec_lo
	s_delay_alu instid0(VALU_DEP_2)
	v_cmpx_ne_u32_e32 0x7f, v35
	s_cbranch_execz .LBB270_1532
; %bb.1529:                             ;   in Loop: Header=BB270_810 Depth=1
	v_dual_lshrrev_b32 v31, 3, v35 :: v_dual_bitop2_b32 v30, 7, v6 bitop3:0x40
	s_mov_b32 s18, exec_lo
	v_cmpx_gt_u32_e32 8, v35
; %bb.1530:                             ;   in Loop: Header=BB270_810 Depth=1
	s_delay_alu instid0(VALU_DEP_2) | instskip(NEXT) | instid1(VALU_DEP_1)
	v_clz_i32_u32_e32 v30, v30
	v_min_u32_e32 v35, 32, v30
	s_delay_alu instid0(VALU_DEP_1) | instskip(NEXT) | instid1(VALU_DEP_1)
	v_subrev_nc_u32_e32 v30, 28, v35
	v_lshlrev_b64_e32 v[30:31], v30, v[6:7]
	s_delay_alu instid0(VALU_DEP_1)
	v_dual_sub_nc_u32 v31, 29, v35 :: v_dual_bitop2_b32 v30, 7, v30 bitop3:0x40
; %bb.1531:                             ;   in Loop: Header=BB270_810 Depth=1
	s_or_b32 exec_lo, exec_lo, s18
	v_lshlrev_b32_e32 v6, 8, v6
	s_delay_alu instid0(VALU_DEP_2) | instskip(NEXT) | instid1(VALU_DEP_3)
	v_lshl_add_u32 v31, v31, 10, 0x2000
	v_lshlrev_b32_e32 v30, 23, v30
	s_delay_alu instid0(VALU_DEP_2) | instskip(NEXT) | instid1(VALU_DEP_1)
	v_and_or_b32 v6, 0x8000, v6, v31
	v_lshl_or_b32 v30, v6, 16, v30
.LBB270_1532:                           ;   in Loop: Header=BB270_810 Depth=1
	s_or_b32 exec_lo, exec_lo, s17
.LBB270_1533:                           ;   in Loop: Header=BB270_810 Depth=1
	s_delay_alu instid0(SALU_CYCLE_1)
	s_or_b32 exec_lo, exec_lo, s16
.LBB270_1534:                           ;   in Loop: Header=BB270_810 Depth=1
	s_delay_alu instid0(SALU_CYCLE_1) | instskip(SKIP_3) | instid1(VALU_DEP_3)
	s_or_b32 exec_lo, exec_lo, s11
	v_dual_lshrrev_b32 v6, 16, v0 :: v_dual_lshrrev_b32 v31, 16, v17
	v_or_b32_e32 v35, v0, v1
	v_dual_lshrrev_b32 v36, 16, v30 :: v_dual_bitop2_b32 v17, v17, v19 bitop3:0x54
	v_cvt_f32_f16_e32 v1, v6
	s_delay_alu instid0(VALU_DEP_4) | instskip(SKIP_1) | instid1(VALU_DEP_4)
	v_cvt_f32_f16_e32 v0, v31
	v_dual_lshrrev_b32 v19, 16, v34 :: v_dual_bitop2_b32 v6, v30, v33 bitop3:0x54
	v_cvt_f32_f16_e32 v30, v17
	v_cvt_f32_f16_e32 v31, v35
	s_wait_loadcnt_dscnt 0x0
	v_pk_mul_f32 v[0:1], v[16:17], v[0:1] op_sel_hi:[0,1]
	v_or_b32_e32 v17, v34, v32
	v_cvt_f32_f16_e32 v33, v19
	v_cvt_f32_f16_e32 v32, v36
	s_delay_alu instid0(VALU_DEP_3) | instskip(NEXT) | instid1(VALU_DEP_1)
	v_pk_mul_f32 v[30:31], v[16:17], v[30:31] op_sel_hi:[0,1]
	v_cvt_pk_f16_f32 v19, v30, v31
	s_delay_alu instid0(VALU_DEP_1) | instskip(SKIP_3) | instid1(VALU_DEP_2)
	v_lshrrev_b32_e32 v37, 16, v19
	v_cvt_f32_f16_e32 v34, v6
	v_cvt_pk_f16_f32 v6, v0, v1
	v_and_b32_e32 v36, 0xffff, v19
	v_lshlrev_b32_e32 v30, 16, v6
	v_cvt_f32_f16_e32 v35, v17
	v_pk_mul_f32 v[0:1], v[16:17], v[32:33] op_sel_hi:[0,1]
	v_and_b32_e32 v31, 0xffff0000, v6
	s_delay_alu instid0(VALU_DEP_3) | instskip(NEXT) | instid1(VALU_DEP_3)
	v_pk_mul_f32 v[16:17], v[16:17], v[34:35] op_sel_hi:[0,1]
	v_cvt_pk_f16_f32 v0, v0, v1
	s_delay_alu instid0(VALU_DEP_3) | instskip(SKIP_1) | instid1(VALU_DEP_4)
	v_or_b32_e32 v35, v31, v37
	v_or_b32_e32 v34, v30, v36
	v_cvt_pk_f16_f32 v1, v16, v17
	s_delay_alu instid0(VALU_DEP_4) | instskip(NEXT) | instid1(VALU_DEP_2)
	v_and_b32_e32 v17, 0xffff0000, v0
	v_dual_lshlrev_b32 v6, 16, v0 :: v_dual_lshrrev_b32 v19, 16, v1
	v_and_b32_e32 v16, 0xffff, v1
	s_delay_alu instid0(VALU_DEP_2) | instskip(NEXT) | instid1(VALU_DEP_2)
	v_or_b32_e32 v33, v17, v19
	v_or_b32_e32 v32, v6, v16
	s_and_saveexec_b32 s11, vcc_lo
	s_cbranch_execz .LBB270_1536
; %bb.1535:                             ;   in Loop: Header=BB270_810 Depth=1
	v_cmp_lt_i32_e64 s0, v54, v13
	s_delay_alu instid0(VALU_DEP_1) | instskip(SKIP_1) | instid1(VALU_DEP_1)
	v_cndmask_b32_e64 v0, 0, v37, s0
	v_cmp_lt_i32_e64 s0, v71, v12
	v_cndmask_b32_e64 v1, 0, v36, s0
	v_cmp_lt_i32_e64 s0, v70, v13
	s_delay_alu instid0(VALU_DEP_1) | instskip(SKIP_1) | instid1(VALU_DEP_1)
	v_cndmask_b32_e64 v31, 0, v31, s0
	v_cmp_lt_i32_e64 s0, v69, v12
	v_cndmask_b32_e64 v30, 0, v30, s0
	v_cmp_lt_i32_e64 s0, v68, v13
	s_delay_alu instid0(VALU_DEP_4) | instskip(NEXT) | instid1(VALU_DEP_2)
	v_or_b32_e32 v35, v0, v31
	v_dual_cndmask_b32 v19, 0, v19, s0 :: v_dual_bitop2_b32 v34, v1, v30 bitop3:0x54
	v_cmp_lt_i32_e64 s0, v67, v12
	s_delay_alu instid0(VALU_DEP_1) | instskip(SKIP_1) | instid1(VALU_DEP_1)
	v_cndmask_b32_e64 v16, 0, v16, s0
	v_cmp_lt_i32_e64 s0, v66, v13
	v_cndmask_b32_e64 v17, 0, v17, s0
	v_cmp_lt_i32_e64 s0, v65, v12
	s_delay_alu instid0(VALU_DEP_1) | instskip(NEXT) | instid1(VALU_DEP_1)
	v_dual_cndmask_b32 v6, 0, v6, s0 :: v_dual_bitop2_b32 v33, v19, v17 bitop3:0x54
	v_or_b32_e32 v32, v16, v6
.LBB270_1536:                           ;   in Loop: Header=BB270_810 Depth=1
	s_or_b32 exec_lo, exec_lo, s11
	;;#ASMSTART
	v_pk_mul_f16 v0, v80, v35;

	;;#ASMEND
	;;#ASMSTART
	v_pk_mul_f16 v1, v49, v34;

	;;#ASMEND
	;; [unrolled: 4-line block ×4, first 2 shown]
	;;#ASMSTART
	v_pk_add_f16 v0, v0, v1;

	;;#ASMEND
	;;#ASMSTART
	v_pk_add_f16 v0, v0, v6;

	;;#ASMEND
	;; [unrolled: 4-line block ×3, first 2 shown]
	v_and_b32_e32 v1, 0xffff, v0
	v_lshrrev_b32_e32 v0, 16, v0
	;;#ASMSTART
	v_cvt_f32_f16 v36, v1;
	;;#ASMEND
	v_mov_b32_e32 v1, 0
	;;#ASMSTART
	v_cvt_f32_f16 v37, v0;
	;;#ASMEND
	flat_load_b64 v[16:17], v[10:11] offset:2816
	flat_load_b32 v10, v[22:23]
	v_mov_b32_e32 v0, 0
	s_mov_b32 s11, exec_lo
	s_wait_loadcnt_dscnt 0x101
	v_and_b32_e32 v6, 0xff, v16
	s_wait_xcnt 0x0
	s_delay_alu instid0(VALU_DEP_1)
	v_cmpx_ne_u16_e32 0, v6
	s_cbranch_execz .LBB270_1544
; %bb.1537:                             ;   in Loop: Header=BB270_810 Depth=1
	v_mov_b32_e32 v1, 0x8000
	s_mov_b32 s16, exec_lo
	v_cmpx_ne_u16_e32 0x80, v6
	s_cbranch_execz .LBB270_1543
; %bb.1538:                             ;   in Loop: Header=BB270_810 Depth=1
	v_and_b32_e32 v11, 0x7f, v16
	v_mov_b32_e32 v1, 0x7c01
	s_mov_b32 s17, exec_lo
	s_delay_alu instid0(VALU_DEP_2)
	v_cmpx_ne_u32_e32 0x7f, v11
	s_cbranch_execz .LBB270_1542
; %bb.1539:                             ;   in Loop: Header=BB270_810 Depth=1
	v_dual_lshrrev_b32 v6, 3, v11 :: v_dual_bitop2_b32 v1, 7, v16 bitop3:0x40
	s_mov_b32 s18, exec_lo
	v_cmpx_gt_u32_e32 8, v11
; %bb.1540:                             ;   in Loop: Header=BB270_810 Depth=1
	s_delay_alu instid0(VALU_DEP_2) | instskip(NEXT) | instid1(VALU_DEP_1)
	v_clz_i32_u32_e32 v1, v1
	v_min_u32_e32 v1, 32, v1
	s_delay_alu instid0(VALU_DEP_1) | instskip(NEXT) | instid1(VALU_DEP_1)
	v_subrev_nc_u32_e32 v6, 28, v1
	v_lshlrev_b64_e32 v[30:31], v6, v[16:17]
	s_delay_alu instid0(VALU_DEP_1)
	v_dual_sub_nc_u32 v6, 29, v1 :: v_dual_bitop2_b32 v1, 7, v30 bitop3:0x40
; %bb.1541:                             ;   in Loop: Header=BB270_810 Depth=1
	s_or_b32 exec_lo, exec_lo, s18
	s_delay_alu instid0(VALU_DEP_1) | instskip(NEXT) | instid1(VALU_DEP_2)
	v_dual_lshlrev_b32 v11, 8, v16 :: v_dual_lshlrev_b32 v1, 7, v1
	v_lshl_add_u32 v6, v6, 10, 0x2000
	s_delay_alu instid0(VALU_DEP_2) | instskip(NEXT) | instid1(VALU_DEP_2)
	v_and_b32_e32 v11, 0x8000, v11
	v_and_b32_e32 v6, 0xfc00, v6
	s_delay_alu instid0(VALU_DEP_1)
	v_or3_b32 v1, v11, v6, v1
.LBB270_1542:                           ;   in Loop: Header=BB270_810 Depth=1
	s_or_b32 exec_lo, exec_lo, s17
.LBB270_1543:                           ;   in Loop: Header=BB270_810 Depth=1
	s_delay_alu instid0(SALU_CYCLE_1)
	s_or_b32 exec_lo, exec_lo, s16
.LBB270_1544:                           ;   in Loop: Header=BB270_810 Depth=1
	s_delay_alu instid0(SALU_CYCLE_1) | instskip(SKIP_2) | instid1(VALU_DEP_1)
	s_or_b32 exec_lo, exec_lo, s11
	v_lshrrev_b16 v6, 8, v16
	s_mov_b32 s11, exec_lo
	v_cmpx_ne_u16_e32 0, v6
	s_cbranch_execz .LBB270_1552
; %bb.1545:                             ;   in Loop: Header=BB270_810 Depth=1
	v_bfrev_b32_e32 v0, 1
	s_mov_b32 s16, exec_lo
	v_cmpx_ne_u16_e32 0x80, v6
	s_cbranch_execz .LBB270_1551
; %bb.1546:                             ;   in Loop: Header=BB270_810 Depth=1
	v_and_b32_e32 v11, 0xffff, v6
	v_mov_b32_e32 v0, 0x7c010000
	s_mov_b32 s17, exec_lo
	s_delay_alu instid0(VALU_DEP_2) | instskip(NEXT) | instid1(VALU_DEP_1)
	v_and_b32_e32 v30, 0x7f, v11
	v_cmpx_ne_u32_e32 0x7f, v30
	s_cbranch_execz .LBB270_1550
; %bb.1547:                             ;   in Loop: Header=BB270_810 Depth=1
	v_dual_lshrrev_b32 v19, 3, v30 :: v_dual_bitop2_b32 v0, 7, v11 bitop3:0x40
	s_mov_b32 s18, exec_lo
	v_cmpx_gt_u32_e32 8, v30
; %bb.1548:                             ;   in Loop: Header=BB270_810 Depth=1
	s_delay_alu instid0(VALU_DEP_2) | instskip(NEXT) | instid1(VALU_DEP_1)
	v_clz_i32_u32_e32 v0, v0
	v_min_u32_e32 v0, 32, v0
	s_delay_alu instid0(VALU_DEP_1) | instskip(NEXT) | instid1(VALU_DEP_1)
	v_subrev_nc_u32_e32 v19, 28, v0
	v_lshlrev_b64_e32 v[30:31], v19, v[6:7]
	s_delay_alu instid0(VALU_DEP_1)
	v_dual_sub_nc_u32 v19, 29, v0 :: v_dual_bitop2_b32 v0, 7, v30 bitop3:0x40
; %bb.1549:                             ;   in Loop: Header=BB270_810 Depth=1
	s_or_b32 exec_lo, exec_lo, s18
	s_delay_alu instid0(VALU_DEP_1) | instskip(NEXT) | instid1(VALU_DEP_2)
	v_dual_lshlrev_b32 v6, 8, v11 :: v_dual_lshlrev_b32 v0, 23, v0
	v_lshl_add_u32 v11, v19, 10, 0x2000
	s_delay_alu instid0(VALU_DEP_1) | instskip(NEXT) | instid1(VALU_DEP_1)
	v_and_or_b32 v6, 0x8000, v6, v11
	v_lshl_or_b32 v0, v6, 16, v0
.LBB270_1550:                           ;   in Loop: Header=BB270_810 Depth=1
	s_or_b32 exec_lo, exec_lo, s17
.LBB270_1551:                           ;   in Loop: Header=BB270_810 Depth=1
	s_delay_alu instid0(SALU_CYCLE_1)
	s_or_b32 exec_lo, exec_lo, s16
.LBB270_1552:                           ;   in Loop: Header=BB270_810 Depth=1
	s_delay_alu instid0(SALU_CYCLE_1) | instskip(SKIP_3) | instid1(VALU_DEP_2)
	s_or_b32 exec_lo, exec_lo, s11
	v_dual_mov_b32 v11, 0 :: v_dual_lshrrev_b32 v6, 16, v16
	v_mov_b32_e32 v19, 0
	s_mov_b32 s11, exec_lo
	v_and_b32_e32 v30, 0xff, v6
	s_delay_alu instid0(VALU_DEP_1)
	v_cmpx_ne_u16_e32 0, v30
	s_cbranch_execz .LBB270_1560
; %bb.1553:                             ;   in Loop: Header=BB270_810 Depth=1
	v_mov_b32_e32 v19, 0x8000
	s_mov_b32 s16, exec_lo
	v_cmpx_ne_u16_e32 0x80, v30
	s_cbranch_execz .LBB270_1559
; %bb.1554:                             ;   in Loop: Header=BB270_810 Depth=1
	v_bfe_u32 v31, v16, 16, 7
	v_mov_b32_e32 v19, 0x7c01
	s_mov_b32 s17, exec_lo
	s_delay_alu instid0(VALU_DEP_2)
	v_cmpx_ne_u32_e32 0x7f, v31
	s_cbranch_execz .LBB270_1558
; %bb.1555:                             ;   in Loop: Header=BB270_810 Depth=1
	v_dual_lshrrev_b32 v30, 3, v31 :: v_dual_bitop2_b32 v19, 7, v6 bitop3:0x40
	s_mov_b32 s18, exec_lo
	v_cmpx_gt_u32_e32 8, v31
; %bb.1556:                             ;   in Loop: Header=BB270_810 Depth=1
	s_delay_alu instid0(VALU_DEP_2) | instskip(NEXT) | instid1(VALU_DEP_1)
	v_clz_i32_u32_e32 v19, v19
	v_min_u32_e32 v19, 32, v19
	s_delay_alu instid0(VALU_DEP_1) | instskip(NEXT) | instid1(VALU_DEP_1)
	v_subrev_nc_u32_e32 v30, 28, v19
	v_lshlrev_b64_e32 v[32:33], v30, v[6:7]
	s_delay_alu instid0(VALU_DEP_1)
	v_dual_sub_nc_u32 v30, 29, v19 :: v_dual_bitop2_b32 v19, 7, v32 bitop3:0x40
; %bb.1557:                             ;   in Loop: Header=BB270_810 Depth=1
	s_or_b32 exec_lo, exec_lo, s18
	s_delay_alu instid0(VALU_DEP_1) | instskip(NEXT) | instid1(VALU_DEP_2)
	v_dual_lshlrev_b32 v6, 8, v6 :: v_dual_lshlrev_b32 v19, 7, v19
	v_lshl_add_u32 v30, v30, 10, 0x2000
	s_delay_alu instid0(VALU_DEP_2) | instskip(NEXT) | instid1(VALU_DEP_2)
	v_and_b32_e32 v6, 0x8000, v6
	v_and_b32_e32 v30, 0xfc00, v30
	s_delay_alu instid0(VALU_DEP_1)
	v_or3_b32 v19, v6, v30, v19
.LBB270_1558:                           ;   in Loop: Header=BB270_810 Depth=1
	s_or_b32 exec_lo, exec_lo, s17
.LBB270_1559:                           ;   in Loop: Header=BB270_810 Depth=1
	s_delay_alu instid0(SALU_CYCLE_1)
	s_or_b32 exec_lo, exec_lo, s16
.LBB270_1560:                           ;   in Loop: Header=BB270_810 Depth=1
	s_delay_alu instid0(SALU_CYCLE_1) | instskip(NEXT) | instid1(SALU_CYCLE_1)
	s_or_b32 exec_lo, exec_lo, s11
	s_mov_b32 s11, exec_lo
	v_cmpx_lt_u32_e32 0xffffff, v16
	s_cbranch_execz .LBB270_1568
; %bb.1561:                             ;   in Loop: Header=BB270_810 Depth=1
	v_lshrrev_b32_e32 v6, 24, v16
	v_bfrev_b32_e32 v11, 1
	s_mov_b32 s16, exec_lo
	s_delay_alu instid0(VALU_DEP_2)
	v_cmpx_ne_u32_e32 0x80, v6
	s_cbranch_execz .LBB270_1567
; %bb.1562:                             ;   in Loop: Header=BB270_810 Depth=1
	v_and_b32_e32 v31, 0x7f, v6
	v_mov_b32_e32 v11, 0x7c010000
	s_mov_b32 s17, exec_lo
	s_delay_alu instid0(VALU_DEP_2)
	v_cmpx_ne_u32_e32 0x7f, v31
	s_cbranch_execz .LBB270_1566
; %bb.1563:                             ;   in Loop: Header=BB270_810 Depth=1
	v_dual_lshrrev_b32 v30, 3, v31 :: v_dual_bitop2_b32 v11, 7, v6 bitop3:0x40
	s_mov_b32 s18, exec_lo
	v_cmpx_gt_u32_e32 8, v31
; %bb.1564:                             ;   in Loop: Header=BB270_810 Depth=1
	s_delay_alu instid0(VALU_DEP_2) | instskip(NEXT) | instid1(VALU_DEP_1)
	v_clz_i32_u32_e32 v11, v11
	v_min_u32_e32 v11, 32, v11
	s_delay_alu instid0(VALU_DEP_1) | instskip(NEXT) | instid1(VALU_DEP_1)
	v_subrev_nc_u32_e32 v30, 28, v11
	v_lshlrev_b64_e32 v[32:33], v30, v[6:7]
	s_delay_alu instid0(VALU_DEP_1)
	v_dual_sub_nc_u32 v30, 29, v11 :: v_dual_bitop2_b32 v11, 7, v32 bitop3:0x40
; %bb.1565:                             ;   in Loop: Header=BB270_810 Depth=1
	s_or_b32 exec_lo, exec_lo, s18
	s_delay_alu instid0(VALU_DEP_1) | instskip(NEXT) | instid1(VALU_DEP_2)
	v_dual_lshlrev_b32 v6, 8, v6 :: v_dual_lshlrev_b32 v11, 23, v11
	v_lshl_add_u32 v30, v30, 10, 0x2000
	s_delay_alu instid0(VALU_DEP_1) | instskip(NEXT) | instid1(VALU_DEP_1)
	v_and_or_b32 v6, 0x8000, v6, v30
	v_lshl_or_b32 v11, v6, 16, v11
.LBB270_1566:                           ;   in Loop: Header=BB270_810 Depth=1
	s_or_b32 exec_lo, exec_lo, s17
.LBB270_1567:                           ;   in Loop: Header=BB270_810 Depth=1
	s_delay_alu instid0(SALU_CYCLE_1)
	s_or_b32 exec_lo, exec_lo, s16
.LBB270_1568:                           ;   in Loop: Header=BB270_810 Depth=1
	s_delay_alu instid0(SALU_CYCLE_1) | instskip(SKIP_4) | instid1(VALU_DEP_3)
	s_or_b32 exec_lo, exec_lo, s11
	v_and_b32_e32 v32, 0xff, v17
	v_dual_mov_b32 v6, v17 :: v_dual_mov_b32 v31, 0
	v_mov_b32_e32 v30, 0
	s_mov_b32 s11, exec_lo
	v_cmpx_ne_u16_e32 0, v32
	s_cbranch_execz .LBB270_1576
; %bb.1569:                             ;   in Loop: Header=BB270_810 Depth=1
	v_mov_b32_e32 v30, 0x8000
	s_mov_b32 s16, exec_lo
	v_cmpx_ne_u16_e32 0x80, v32
	s_cbranch_execz .LBB270_1575
; %bb.1570:                             ;   in Loop: Header=BB270_810 Depth=1
	v_and_b32_e32 v33, 0x7f, v17
	v_mov_b32_e32 v30, 0x7c01
	s_mov_b32 s17, exec_lo
	s_delay_alu instid0(VALU_DEP_2)
	v_cmpx_ne_u32_e32 0x7f, v33
	s_cbranch_execz .LBB270_1574
; %bb.1571:                             ;   in Loop: Header=BB270_810 Depth=1
	v_and_b32_e32 v30, 7, v17
	v_lshrrev_b32_e32 v32, 3, v33
	s_mov_b32 s18, exec_lo
	v_cmpx_gt_u32_e32 8, v33
; %bb.1572:                             ;   in Loop: Header=BB270_810 Depth=1
	s_delay_alu instid0(VALU_DEP_3) | instskip(NEXT) | instid1(VALU_DEP_1)
	v_clz_i32_u32_e32 v30, v30
	v_min_u32_e32 v30, 32, v30
	s_delay_alu instid0(VALU_DEP_1) | instskip(NEXT) | instid1(VALU_DEP_1)
	v_subrev_nc_u32_e32 v32, 28, v30
	v_lshlrev_b64_e32 v[34:35], v32, v[6:7]
	v_sub_nc_u32_e32 v32, 29, v30
	s_delay_alu instid0(VALU_DEP_2)
	v_and_b32_e32 v30, 7, v34
; %bb.1573:                             ;   in Loop: Header=BB270_810 Depth=1
	s_or_b32 exec_lo, exec_lo, s18
	s_delay_alu instid0(VALU_DEP_1) | instskip(NEXT) | instid1(VALU_DEP_3)
	v_dual_lshlrev_b32 v33, 8, v17 :: v_dual_lshlrev_b32 v30, 7, v30
	v_lshl_add_u32 v32, v32, 10, 0x2000
	s_delay_alu instid0(VALU_DEP_2) | instskip(NEXT) | instid1(VALU_DEP_2)
	v_and_b32_e32 v33, 0x8000, v33
	v_and_b32_e32 v32, 0xfc00, v32
	s_delay_alu instid0(VALU_DEP_1)
	v_or3_b32 v30, v33, v32, v30
.LBB270_1574:                           ;   in Loop: Header=BB270_810 Depth=1
	s_or_b32 exec_lo, exec_lo, s17
.LBB270_1575:                           ;   in Loop: Header=BB270_810 Depth=1
	s_delay_alu instid0(SALU_CYCLE_1)
	s_or_b32 exec_lo, exec_lo, s16
.LBB270_1576:                           ;   in Loop: Header=BB270_810 Depth=1
	s_delay_alu instid0(SALU_CYCLE_1) | instskip(SKIP_3) | instid1(VALU_DEP_2)
	s_or_b32 exec_lo, exec_lo, s11
	v_lshrrev_b16 v6, 8, v6
	v_mov_b32_e32 v32, 0
	s_mov_b32 s11, exec_lo
	v_cmpx_ne_u16_e32 0, v6
	s_cbranch_execz .LBB270_1584
; %bb.1577:                             ;   in Loop: Header=BB270_810 Depth=1
	v_bfrev_b32_e32 v32, 1
	s_mov_b32 s16, exec_lo
	v_cmpx_ne_u16_e32 0x80, v6
	s_cbranch_execz .LBB270_1583
; %bb.1578:                             ;   in Loop: Header=BB270_810 Depth=1
	v_and_b32_e32 v33, 0xffff, v6
	v_mov_b32_e32 v32, 0x7c010000
	s_mov_b32 s17, exec_lo
	s_delay_alu instid0(VALU_DEP_2) | instskip(NEXT) | instid1(VALU_DEP_1)
	v_and_b32_e32 v35, 0x7f, v33
	v_cmpx_ne_u32_e32 0x7f, v35
	s_cbranch_execz .LBB270_1582
; %bb.1579:                             ;   in Loop: Header=BB270_810 Depth=1
	v_dual_lshrrev_b32 v34, 3, v35 :: v_dual_bitop2_b32 v32, 7, v33 bitop3:0x40
	s_mov_b32 s18, exec_lo
	v_cmpx_gt_u32_e32 8, v35
; %bb.1580:                             ;   in Loop: Header=BB270_810 Depth=1
	s_delay_alu instid0(VALU_DEP_2) | instskip(NEXT) | instid1(VALU_DEP_1)
	v_clz_i32_u32_e32 v32, v32
	v_min_u32_e32 v32, 32, v32
	s_delay_alu instid0(VALU_DEP_1) | instskip(NEXT) | instid1(VALU_DEP_1)
	v_subrev_nc_u32_e32 v34, 28, v32
	v_lshlrev_b64_e32 v[118:119], v34, v[6:7]
	s_delay_alu instid0(VALU_DEP_1)
	v_dual_sub_nc_u32 v34, 29, v32 :: v_dual_bitop2_b32 v32, 7, v118 bitop3:0x40
; %bb.1581:                             ;   in Loop: Header=BB270_810 Depth=1
	s_or_b32 exec_lo, exec_lo, s18
	s_delay_alu instid0(VALU_DEP_1) | instskip(NEXT) | instid1(VALU_DEP_2)
	v_dual_lshlrev_b32 v6, 8, v33 :: v_dual_lshlrev_b32 v32, 23, v32
	v_lshl_add_u32 v33, v34, 10, 0x2000
	s_delay_alu instid0(VALU_DEP_1) | instskip(NEXT) | instid1(VALU_DEP_1)
	v_and_or_b32 v6, 0x8000, v6, v33
	v_lshl_or_b32 v32, v6, 16, v32
.LBB270_1582:                           ;   in Loop: Header=BB270_810 Depth=1
	s_or_b32 exec_lo, exec_lo, s17
.LBB270_1583:                           ;   in Loop: Header=BB270_810 Depth=1
	s_delay_alu instid0(SALU_CYCLE_1)
	s_or_b32 exec_lo, exec_lo, s16
.LBB270_1584:                           ;   in Loop: Header=BB270_810 Depth=1
	s_delay_alu instid0(SALU_CYCLE_1) | instskip(SKIP_2) | instid1(VALU_DEP_1)
	s_or_b32 exec_lo, exec_lo, s11
	v_lshrrev_b32_e32 v6, 16, v17
	s_mov_b32 s11, exec_lo
	v_and_b32_e32 v33, 0xff, v6
	s_delay_alu instid0(VALU_DEP_1)
	v_cmpx_ne_u16_e32 0, v33
	s_cbranch_execz .LBB270_1592
; %bb.1585:                             ;   in Loop: Header=BB270_810 Depth=1
	v_mov_b32_e32 v31, 0x8000
	s_mov_b32 s16, exec_lo
	v_cmpx_ne_u16_e32 0x80, v33
	s_cbranch_execz .LBB270_1591
; %bb.1586:                             ;   in Loop: Header=BB270_810 Depth=1
	v_bfe_u32 v34, v17, 16, 7
	v_mov_b32_e32 v31, 0x7c01
	s_mov_b32 s17, exec_lo
	s_delay_alu instid0(VALU_DEP_2)
	v_cmpx_ne_u32_e32 0x7f, v34
	s_cbranch_execz .LBB270_1590
; %bb.1587:                             ;   in Loop: Header=BB270_810 Depth=1
	v_and_b32_e32 v31, 7, v6
	v_lshrrev_b32_e32 v33, 3, v34
	s_mov_b32 s18, exec_lo
	v_cmpx_gt_u32_e32 8, v34
; %bb.1588:                             ;   in Loop: Header=BB270_810 Depth=1
	s_delay_alu instid0(VALU_DEP_3) | instskip(NEXT) | instid1(VALU_DEP_1)
	v_clz_i32_u32_e32 v31, v31
	v_min_u32_e32 v31, 32, v31
	s_delay_alu instid0(VALU_DEP_1) | instskip(NEXT) | instid1(VALU_DEP_1)
	v_subrev_nc_u32_e32 v33, 28, v31
	v_lshlrev_b64_e32 v[34:35], v33, v[6:7]
	s_delay_alu instid0(VALU_DEP_1)
	v_dual_sub_nc_u32 v33, 29, v31 :: v_dual_bitop2_b32 v31, 7, v34 bitop3:0x40
; %bb.1589:                             ;   in Loop: Header=BB270_810 Depth=1
	s_or_b32 exec_lo, exec_lo, s18
	s_delay_alu instid0(VALU_DEP_1) | instskip(NEXT) | instid1(VALU_DEP_2)
	v_dual_lshlrev_b32 v6, 8, v6 :: v_dual_lshlrev_b32 v31, 7, v31
	v_lshl_add_u32 v33, v33, 10, 0x2000
	s_delay_alu instid0(VALU_DEP_2) | instskip(NEXT) | instid1(VALU_DEP_2)
	v_and_b32_e32 v6, 0x8000, v6
	v_and_b32_e32 v33, 0xfc00, v33
	s_delay_alu instid0(VALU_DEP_1)
	v_or3_b32 v31, v6, v33, v31
.LBB270_1590:                           ;   in Loop: Header=BB270_810 Depth=1
	s_or_b32 exec_lo, exec_lo, s17
.LBB270_1591:                           ;   in Loop: Header=BB270_810 Depth=1
	s_delay_alu instid0(SALU_CYCLE_1)
	s_or_b32 exec_lo, exec_lo, s16
.LBB270_1592:                           ;   in Loop: Header=BB270_810 Depth=1
	s_delay_alu instid0(SALU_CYCLE_1)
	s_or_b32 exec_lo, exec_lo, s11
	v_cmp_lt_u64_e64 s0, s[2:3], v[16:17]
	v_mov_b32_e32 v16, 0
	s_and_saveexec_b32 s11, s0
	s_cbranch_execz .LBB270_1600
; %bb.1593:                             ;   in Loop: Header=BB270_810 Depth=1
	v_lshrrev_b32_e32 v6, 24, v17
	v_bfrev_b32_e32 v16, 1
	s_mov_b32 s16, exec_lo
	s_delay_alu instid0(VALU_DEP_2)
	v_cmpx_ne_u32_e32 0x80, v6
	s_cbranch_execz .LBB270_1599
; %bb.1594:                             ;   in Loop: Header=BB270_810 Depth=1
	v_and_b32_e32 v33, 0x7f, v6
	v_mov_b32_e32 v16, 0x7c010000
	s_mov_b32 s17, exec_lo
	s_delay_alu instid0(VALU_DEP_2)
	v_cmpx_ne_u32_e32 0x7f, v33
	s_cbranch_execz .LBB270_1598
; %bb.1595:                             ;   in Loop: Header=BB270_810 Depth=1
	v_dual_lshrrev_b32 v17, 3, v33 :: v_dual_bitop2_b32 v16, 7, v6 bitop3:0x40
	s_mov_b32 s18, exec_lo
	v_cmpx_gt_u32_e32 8, v33
; %bb.1596:                             ;   in Loop: Header=BB270_810 Depth=1
	s_delay_alu instid0(VALU_DEP_2) | instskip(NEXT) | instid1(VALU_DEP_1)
	v_clz_i32_u32_e32 v16, v16
	v_min_u32_e32 v33, 32, v16
	s_delay_alu instid0(VALU_DEP_1) | instskip(NEXT) | instid1(VALU_DEP_1)
	v_subrev_nc_u32_e32 v16, 28, v33
	v_lshlrev_b64_e32 v[16:17], v16, v[6:7]
	s_delay_alu instid0(VALU_DEP_1)
	v_dual_sub_nc_u32 v17, 29, v33 :: v_dual_bitop2_b32 v16, 7, v16 bitop3:0x40
; %bb.1597:                             ;   in Loop: Header=BB270_810 Depth=1
	s_or_b32 exec_lo, exec_lo, s18
	s_delay_alu instid0(VALU_DEP_1) | instskip(NEXT) | instid1(VALU_DEP_2)
	v_dual_lshlrev_b32 v6, 8, v6 :: v_dual_lshlrev_b32 v16, 23, v16
	v_lshl_add_u32 v17, v17, 10, 0x2000
	s_delay_alu instid0(VALU_DEP_1) | instskip(NEXT) | instid1(VALU_DEP_1)
	v_and_or_b32 v6, 0x8000, v6, v17
	v_lshl_or_b32 v16, v6, 16, v16
.LBB270_1598:                           ;   in Loop: Header=BB270_810 Depth=1
	s_or_b32 exec_lo, exec_lo, s17
.LBB270_1599:                           ;   in Loop: Header=BB270_810 Depth=1
	s_delay_alu instid0(SALU_CYCLE_1)
	s_or_b32 exec_lo, exec_lo, s16
.LBB270_1600:                           ;   in Loop: Header=BB270_810 Depth=1
	s_delay_alu instid0(SALU_CYCLE_1) | instskip(SKIP_3) | instid1(VALU_DEP_3)
	s_or_b32 exec_lo, exec_lo, s11
	v_dual_lshrrev_b32 v6, 16, v0 :: v_dual_lshrrev_b32 v17, 16, v11
	v_or_b32_e32 v33, v0, v1
	v_dual_lshrrev_b32 v34, 16, v16 :: v_dual_bitop2_b32 v11, v11, v19 bitop3:0x54
	v_cvt_f32_f16_e32 v1, v6
	s_delay_alu instid0(VALU_DEP_4) | instskip(SKIP_1) | instid1(VALU_DEP_4)
	v_cvt_f32_f16_e32 v0, v17
	v_dual_lshrrev_b32 v19, 16, v32 :: v_dual_bitop2_b32 v6, v16, v31 bitop3:0x54
	v_cvt_f32_f16_e32 v16, v11
	v_cvt_f32_f16_e32 v17, v33
	s_wait_loadcnt_dscnt 0x0
	v_pk_mul_f32 v[0:1], v[10:11], v[0:1] op_sel_hi:[0,1]
	v_or_b32_e32 v11, v32, v30
	v_cvt_f32_f16_e32 v31, v19
	v_cvt_f32_f16_e32 v30, v34
	s_delay_alu instid0(VALU_DEP_3) | instskip(NEXT) | instid1(VALU_DEP_1)
	v_pk_mul_f32 v[16:17], v[10:11], v[16:17] op_sel_hi:[0,1]
	v_cvt_pk_f16_f32 v16, v16, v17
	s_delay_alu instid0(VALU_DEP_1) | instskip(SKIP_4) | instid1(VALU_DEP_2)
	v_lshrrev_b32_e32 v35, 16, v16
	v_cvt_f32_f16_e32 v32, v6
	v_cvt_pk_f16_f32 v6, v0, v1
	v_pk_mul_f32 v[0:1], v[10:11], v[30:31] op_sel_hi:[0,1]
	v_and_b32_e32 v34, 0xffff, v16
	v_cvt_pk_f16_f32 v0, v0, v1
	s_delay_alu instid0(VALU_DEP_1) | instskip(SKIP_2) | instid1(VALU_DEP_2)
	v_lshlrev_b32_e32 v16, 16, v0
	v_cvt_f32_f16_e32 v33, v11
	v_and_b32_e32 v19, 0xffff0000, v0
	v_pk_mul_f32 v[10:11], v[10:11], v[32:33] op_sel_hi:[0,1]
	v_and_b32_e32 v33, 0xffff0000, v6
	s_delay_alu instid0(VALU_DEP_2) | instskip(NEXT) | instid1(VALU_DEP_2)
	v_cvt_pk_f16_f32 v1, v10, v11
	v_dual_lshlrev_b32 v32, 16, v6 :: v_dual_bitop2_b32 v17, v33, v35 bitop3:0x54
	s_delay_alu instid0(VALU_DEP_2) | instskip(SKIP_1) | instid1(VALU_DEP_3)
	v_lshrrev_b32_e32 v31, 16, v1
	v_and_b32_e32 v30, 0xffff, v1
	v_or_b32_e32 v10, v32, v34
	s_delay_alu instid0(VALU_DEP_3) | instskip(NEXT) | instid1(VALU_DEP_3)
	v_or_b32_e32 v11, v19, v31
	v_or_b32_e32 v6, v16, v30
	s_and_saveexec_b32 s0, vcc_lo
	s_cbranch_execz .LBB270_809
; %bb.1601:                             ;   in Loop: Header=BB270_810 Depth=1
	v_cmp_lt_i32_e32 vcc_lo, v54, v13
	v_cndmask_b32_e32 v0, 0, v35, vcc_lo
	v_cmp_lt_i32_e32 vcc_lo, v71, v12
	v_cndmask_b32_e32 v1, 0, v34, vcc_lo
	v_cmp_lt_i32_e32 vcc_lo, v70, v13
	v_cndmask_b32_e32 v6, 0, v33, vcc_lo
	v_cmp_lt_i32_e32 vcc_lo, v69, v12
	v_cndmask_b32_e32 v10, 0, v32, vcc_lo
	v_cmp_lt_i32_e32 vcc_lo, v68, v13
	s_delay_alu instid0(VALU_DEP_4) | instskip(NEXT) | instid1(VALU_DEP_3)
	v_or_b32_e32 v17, v0, v6
	v_dual_cndmask_b32 v11, 0, v31, vcc_lo :: v_dual_bitop2_b32 v10, v1, v10 bitop3:0x54
	v_cmp_lt_i32_e32 vcc_lo, v67, v12
	v_cndmask_b32_e32 v30, 0, v30, vcc_lo
	v_cmp_lt_i32_e32 vcc_lo, v66, v13
	v_cndmask_b32_e32 v19, 0, v19, vcc_lo
	v_cmp_lt_i32_e32 vcc_lo, v65, v12
	s_delay_alu instid0(VALU_DEP_2) | instskip(NEXT) | instid1(VALU_DEP_1)
	v_dual_cndmask_b32 v16, 0, v16, vcc_lo :: v_dual_bitop2_b32 v11, v11, v19 bitop3:0x54
	v_or_b32_e32 v6, v30, v16
	s_branch .LBB270_809
.LBB270_1602:
	s_or_b32 exec_lo, exec_lo, s10
	v_mov_b64_e32 v[30:31], s[6:7]
.LBB270_1603:
	s_or_b32 exec_lo, exec_lo, s1
	s_delay_alu instid0(VALU_DEP_1)
	v_lshl_add_u64 v[0:1], v[30:31], 2, s[8:9]
	s_barrier_signal -1
	s_barrier_wait -1
	global_load_b32 v0, v[0:1], off
	ds_bpermute_b32 v2, v52, v28
	ds_bpermute_b32 v3, v52, v29
	;; [unrolled: 1-line block ×10, first 2 shown]
	s_wait_xcnt 0x0
	v_and_b32_e32 v1, 0x3c1, v39
	s_mov_b32 s0, exec_lo
	ds_bpermute_b32 v16, v52, v4
	ds_bpermute_b32 v17, v52, v5
	s_wait_dscnt 0xa
	v_pk_add_f32 v[14:15], v[28:29], v[2:3]
	s_wait_dscnt 0x8
	v_pk_add_f32 v[12:13], v[26:27], v[6:7]
	;; [unrolled: 2-line block ×5, first 2 shown]
	v_lshrrev_b32_e32 v8, 1, v51
	v_cmpx_ne_u32_e32 64, v1
	s_xor_b32 s0, exec_lo, s0
	s_delay_alu instid0(SALU_CYCLE_1)
	s_or_saveexec_b32 s0, s0
	v_lshrrev_b32_e32 v9, 5, v39
	s_wait_dscnt 0x0
	v_pk_add_f32 v[4:5], v[4:5], v[16:17]
	s_wait_loadcnt 0x0
	v_lshl_add_u32 v1, v8, 2, v0
	v_mul_u32_u24_e32 v9, 0x300, v9
	s_xor_b32 exec_lo, exec_lo, s0
	s_cbranch_execz .LBB270_1605
; %bb.1604:
	s_delay_alu instid0(VALU_DEP_1) | instskip(NEXT) | instid1(VALU_DEP_1)
	v_add_nc_u32_e32 v16, v1, v9
	v_add_nc_u32_e32 v17, 0xfffffa00, v16
	;; [unrolled: 1-line block ×13, first 2 shown]
	ds_store_b32 v17, v14
	ds_store_b32 v18, v15
	;; [unrolled: 1-line block ×12, first 2 shown]
.LBB270_1605:
	s_or_b32 exec_lo, exec_lo, s0
	scratch_load_b32 v16, off, s32 offset:192 th:TH_LOAD_LU ; 4-byte Folded Reload
	v_lshlrev_b32_e32 v8, 2, v8
	s_mov_b32 s1, exec_lo
	s_wait_loadcnt_dscnt 0x0
	s_barrier_signal -1
	s_barrier_wait -1
	v_add3_u32 v0, v0, v9, v8
	v_cmp_eq_u32_e32 vcc_lo, 0, v16
	v_cmpx_gt_u32_e32 64, v39
	s_cbranch_execz .LBB270_1620
; %bb.1606:
	s_and_saveexec_b32 s0, vcc_lo
	s_cbranch_execnz .LBB270_1640
; %bb.1607:
	s_or_b32 exec_lo, exec_lo, s0
	s_and_saveexec_b32 s0, vcc_lo
	s_cbranch_execnz .LBB270_1641
.LBB270_1608:
	s_or_b32 exec_lo, exec_lo, s0
	s_and_saveexec_b32 s0, vcc_lo
	s_cbranch_execnz .LBB270_1642
.LBB270_1609:
	s_or_b32 exec_lo, exec_lo, s0
	s_and_saveexec_b32 s0, vcc_lo
	s_cbranch_execnz .LBB270_1643
.LBB270_1610:
	s_or_b32 exec_lo, exec_lo, s0
	s_and_saveexec_b32 s0, vcc_lo
	s_cbranch_execnz .LBB270_1644
.LBB270_1611:
	s_or_b32 exec_lo, exec_lo, s0
	s_and_saveexec_b32 s0, vcc_lo
	s_cbranch_execnz .LBB270_1645
.LBB270_1612:
	s_or_b32 exec_lo, exec_lo, s0
	s_and_saveexec_b32 s0, vcc_lo
	s_cbranch_execnz .LBB270_1646
.LBB270_1613:
	s_or_b32 exec_lo, exec_lo, s0
	s_and_saveexec_b32 s0, vcc_lo
	s_cbranch_execnz .LBB270_1647
.LBB270_1614:
	s_or_b32 exec_lo, exec_lo, s0
	s_and_saveexec_b32 s0, vcc_lo
	s_cbranch_execnz .LBB270_1648
.LBB270_1615:
	s_or_b32 exec_lo, exec_lo, s0
	s_and_saveexec_b32 s0, vcc_lo
	s_cbranch_execnz .LBB270_1649
.LBB270_1616:
	s_or_b32 exec_lo, exec_lo, s0
	s_and_saveexec_b32 s0, vcc_lo
	s_cbranch_execnz .LBB270_1650
.LBB270_1617:
	s_or_b32 exec_lo, exec_lo, s0
	s_and_saveexec_b32 s0, vcc_lo
	s_cbranch_execz .LBB270_1619
.LBB270_1618:
	ds_load_b32 v8, v0 offset:704
	s_wait_dscnt 0x0
	v_add_f32_e32 v5, v8, v5
.LBB270_1619:
	s_or_b32 exec_lo, exec_lo, s0
.LBB270_1620:
	s_delay_alu instid0(SALU_CYCLE_1) | instskip(SKIP_4) | instid1(VALU_DEP_1)
	s_or_b32 exec_lo, exec_lo, s1
	v_and_b32_e32 v8, 0x3e1, v39
	s_mov_b32 s1, exec_lo
	s_barrier_signal -1
	s_barrier_wait -1
	v_cmpx_eq_u32_e32 32, v8
	s_cbranch_execz .LBB270_1622
; %bb.1621:
	ds_store_2addr_b32 v1, v14, v15 offset1:16
	ds_store_2addr_b32 v1, v12, v13 offset0:32 offset1:48
	ds_store_2addr_b32 v1, v10, v11 offset0:64 offset1:80
	;; [unrolled: 1-line block ×5, first 2 shown]
.LBB270_1622:
	s_or_b32 exec_lo, exec_lo, s1
	s_delay_alu instid0(SALU_CYCLE_1)
	s_mov_b32 s1, exec_lo
	s_wait_dscnt 0x0
	s_barrier_signal -1
	s_barrier_wait -1
	v_cmpx_gt_u32_e32 32, v39
	s_cbranch_execz .LBB270_1637
; %bb.1623:
	s_and_saveexec_b32 s0, vcc_lo
	s_cbranch_execnz .LBB270_1651
; %bb.1624:
	s_or_b32 exec_lo, exec_lo, s0
	s_and_saveexec_b32 s0, vcc_lo
	s_cbranch_execnz .LBB270_1652
.LBB270_1625:
	s_or_b32 exec_lo, exec_lo, s0
	s_and_saveexec_b32 s0, vcc_lo
	s_cbranch_execnz .LBB270_1653
.LBB270_1626:
	s_or_b32 exec_lo, exec_lo, s0
	s_and_saveexec_b32 s0, vcc_lo
	s_cbranch_execnz .LBB270_1654
.LBB270_1627:
	s_or_b32 exec_lo, exec_lo, s0
	s_and_saveexec_b32 s0, vcc_lo
	s_cbranch_execnz .LBB270_1655
.LBB270_1628:
	s_or_b32 exec_lo, exec_lo, s0
	s_and_saveexec_b32 s0, vcc_lo
	s_cbranch_execnz .LBB270_1656
.LBB270_1629:
	s_or_b32 exec_lo, exec_lo, s0
	s_and_saveexec_b32 s0, vcc_lo
	s_cbranch_execnz .LBB270_1657
.LBB270_1630:
	s_or_b32 exec_lo, exec_lo, s0
	s_and_saveexec_b32 s0, vcc_lo
	s_cbranch_execnz .LBB270_1658
.LBB270_1631:
	s_or_b32 exec_lo, exec_lo, s0
	s_and_saveexec_b32 s0, vcc_lo
	s_cbranch_execnz .LBB270_1659
.LBB270_1632:
	s_or_b32 exec_lo, exec_lo, s0
	s_and_saveexec_b32 s0, vcc_lo
	s_cbranch_execnz .LBB270_1660
.LBB270_1633:
	s_or_b32 exec_lo, exec_lo, s0
	s_and_saveexec_b32 s0, vcc_lo
	s_cbranch_execnz .LBB270_1661
.LBB270_1634:
	s_or_b32 exec_lo, exec_lo, s0
	s_and_saveexec_b32 s0, vcc_lo
	s_cbranch_execz .LBB270_1636
.LBB270_1635:
	ds_load_b32 v0, v0 offset:704
	s_wait_dscnt 0x0
	v_add_f32_e32 v5, v0, v5
.LBB270_1636:
	s_or_b32 exec_lo, exec_lo, s0
.LBB270_1637:
	s_delay_alu instid0(SALU_CYCLE_1)
	s_or_b32 exec_lo, exec_lo, s1
	s_mov_b32 s1, 0
	s_mov_b32 s2, exec_lo
	s_barrier_signal -1
	s_barrier_wait -1
	v_cmpx_eq_u32_e32 0, v8
	s_cbranch_execz .LBB270_1639
; %bb.1638:
	s_clause 0x1
	scratch_load_b64 v[0:1], off, s32 offset:216 th:TH_LOAD_LU
	scratch_load_b32 v8, off, s32 offset:196 th:TH_LOAD_LU
	s_and_b32 s0, 0xffff, s15
	v_mov_b32_e32 v9, 0
	s_cmp_lg_u32 s0, 0
	s_cselect_b32 s0, -1, 0
	s_delay_alu instid0(SALU_CYCLE_1)
	s_cmp_lg_u32 s0, 0
	s_wait_kmcnt 0x0
	s_add_co_ci_u32 s0, s5, 0
	s_bfe_u32 s8, ttmp6, 0x40014
	s_mul_i32 s5, s0, s13
	s_lshr_b32 s3, ttmp7, 16
	s_mul_i32 s5, s5, s14
	s_add_co_i32 s8, s8, 1
	s_mul_i32 s6, s5, 0xc0
	s_bfe_u32 s9, ttmp6, 0x40008
	s_ashr_i32 s7, s6, 31
	s_mul_i32 s4, s4, s0
	s_mul_i32 s0, s3, s8
	s_ashr_i32 s5, s4, 31
	s_add_co_i32 s9, s9, s0
	s_cmp_eq_u32 s12, 0
	s_cselect_b32 s0, s3, s9
	s_delay_alu instid0(SALU_CYCLE_1) | instskip(SKIP_4) | instid1(VALU_DEP_2)
	s_mulk_i32 s0, 0x180
	s_wait_loadcnt 0x1
	v_lshl_add_u64 v[0:1], s[6:7], 1, v[0:1]
	s_wait_loadcnt 0x0
	v_lshlrev_b32_e32 v8, 1, v8
	v_lshl_add_u64 v[0:1], s[4:5], 1, v[0:1]
	s_delay_alu instid0(VALU_DEP_1) | instskip(NEXT) | instid1(VALU_DEP_1)
	v_add_nc_u64_e32 v[0:1], s[0:1], v[0:1]
	v_add_nc_u64_e32 v[0:1], v[0:1], v[8:9]
	;;#ASMSTART
	v_cvt_f16_f32 v8, v14;

	;;#ASMEND
	flat_store_b16 v[0:1], v8
	s_wait_xcnt 0x0
	;;#ASMSTART
	v_cvt_f16_f32 v8, v15;

	;;#ASMEND
	flat_store_b16 v[0:1], v8 offset:32
	s_wait_xcnt 0x0
	;;#ASMSTART
	v_cvt_f16_f32 v8, v12;

	;;#ASMEND
	flat_store_b16 v[0:1], v8 offset:64
	;; [unrolled: 6-line block ×5, first 2 shown]
	;;#ASMSTART
	v_cvt_f16_f32 v6, v6;

	;;#ASMEND
	flat_store_b16 v[0:1], v6 offset:192
	s_wait_xcnt 0x0
	;;#ASMSTART
	v_cvt_f16_f32 v6, v7;

	;;#ASMEND
	flat_store_b16 v[0:1], v6 offset:224
	;;#ASMSTART
	v_cvt_f16_f32 v2, v2;

	;;#ASMEND
	flat_store_b16 v[0:1], v2 offset:256
	s_wait_xcnt 0x0
	;;#ASMSTART
	v_cvt_f16_f32 v2, v3;

	;;#ASMEND
	flat_store_b16 v[0:1], v2 offset:288
	s_wait_xcnt 0x0
	;; [unrolled: 6-line block ×3, first 2 shown]
	;;#ASMSTART
	v_cvt_f16_f32 v2, v5;

	;;#ASMEND
	flat_store_b16 v[0:1], v2 offset:352
.LBB270_1639:
	s_wait_xcnt 0x0
	s_or_b32 exec_lo, exec_lo, s2
	s_clause 0x2f
	scratch_load_b32 v127, off, s32
	scratch_load_b32 v126, off, s32 offset:4
	scratch_load_b32 v125, off, s32 offset:8
	;; [unrolled: 1-line block ×47, first 2 shown]
	s_wait_loadcnt_dscnt 0x0
	s_wait_kmcnt 0x0
	s_set_pc_i64 s[30:31]
.LBB270_1640:
	ds_load_b32 v8, v0
	s_wait_dscnt 0x0
	v_add_f32_e32 v14, v8, v14
	s_or_b32 exec_lo, exec_lo, s0
	s_and_saveexec_b32 s0, vcc_lo
	s_cbranch_execz .LBB270_1608
.LBB270_1641:
	ds_load_b32 v8, v0 offset:64
	s_wait_dscnt 0x0
	v_add_f32_e32 v15, v8, v15
	s_or_b32 exec_lo, exec_lo, s0
	s_and_saveexec_b32 s0, vcc_lo
	s_cbranch_execz .LBB270_1609
.LBB270_1642:
	ds_load_b32 v8, v0 offset:128
	s_wait_dscnt 0x0
	v_add_f32_e32 v12, v8, v12
	s_or_b32 exec_lo, exec_lo, s0
	s_and_saveexec_b32 s0, vcc_lo
	s_cbranch_execz .LBB270_1610
.LBB270_1643:
	ds_load_b32 v8, v0 offset:192
	s_wait_dscnt 0x0
	v_add_f32_e32 v13, v8, v13
	s_or_b32 exec_lo, exec_lo, s0
	s_and_saveexec_b32 s0, vcc_lo
	s_cbranch_execz .LBB270_1611
.LBB270_1644:
	ds_load_b32 v8, v0 offset:256
	s_wait_dscnt 0x0
	v_add_f32_e32 v10, v8, v10
	s_or_b32 exec_lo, exec_lo, s0
	s_and_saveexec_b32 s0, vcc_lo
	s_cbranch_execz .LBB270_1612
.LBB270_1645:
	ds_load_b32 v8, v0 offset:320
	s_wait_dscnt 0x0
	v_add_f32_e32 v11, v8, v11
	s_or_b32 exec_lo, exec_lo, s0
	s_and_saveexec_b32 s0, vcc_lo
	s_cbranch_execz .LBB270_1613
.LBB270_1646:
	ds_load_b32 v8, v0 offset:384
	s_wait_dscnt 0x0
	v_add_f32_e32 v6, v8, v6
	s_or_b32 exec_lo, exec_lo, s0
	s_and_saveexec_b32 s0, vcc_lo
	s_cbranch_execz .LBB270_1614
.LBB270_1647:
	ds_load_b32 v8, v0 offset:448
	s_wait_dscnt 0x0
	v_add_f32_e32 v7, v8, v7
	s_or_b32 exec_lo, exec_lo, s0
	s_and_saveexec_b32 s0, vcc_lo
	s_cbranch_execz .LBB270_1615
.LBB270_1648:
	ds_load_b32 v8, v0 offset:512
	s_wait_dscnt 0x0
	v_add_f32_e32 v2, v8, v2
	s_or_b32 exec_lo, exec_lo, s0
	s_and_saveexec_b32 s0, vcc_lo
	s_cbranch_execz .LBB270_1616
.LBB270_1649:
	ds_load_b32 v8, v0 offset:576
	s_wait_dscnt 0x0
	v_add_f32_e32 v3, v8, v3
	s_or_b32 exec_lo, exec_lo, s0
	s_and_saveexec_b32 s0, vcc_lo
	s_cbranch_execz .LBB270_1617
.LBB270_1650:
	ds_load_b32 v8, v0 offset:640
	s_wait_dscnt 0x0
	v_add_f32_e32 v4, v8, v4
	s_or_b32 exec_lo, exec_lo, s0
	s_and_saveexec_b32 s0, vcc_lo
	s_cbranch_execnz .LBB270_1618
	s_branch .LBB270_1619
.LBB270_1651:
	ds_load_b32 v1, v0
	s_wait_dscnt 0x0
	v_add_f32_e32 v14, v1, v14
	s_or_b32 exec_lo, exec_lo, s0
	s_and_saveexec_b32 s0, vcc_lo
	s_cbranch_execz .LBB270_1625
.LBB270_1652:
	ds_load_b32 v1, v0 offset:64
	s_wait_dscnt 0x0
	v_add_f32_e32 v15, v1, v15
	s_or_b32 exec_lo, exec_lo, s0
	s_and_saveexec_b32 s0, vcc_lo
	s_cbranch_execz .LBB270_1626
.LBB270_1653:
	ds_load_b32 v1, v0 offset:128
	s_wait_dscnt 0x0
	v_add_f32_e32 v12, v1, v12
	s_or_b32 exec_lo, exec_lo, s0
	s_and_saveexec_b32 s0, vcc_lo
	s_cbranch_execz .LBB270_1627
.LBB270_1654:
	ds_load_b32 v1, v0 offset:192
	s_wait_dscnt 0x0
	v_add_f32_e32 v13, v1, v13
	s_or_b32 exec_lo, exec_lo, s0
	s_and_saveexec_b32 s0, vcc_lo
	s_cbranch_execz .LBB270_1628
.LBB270_1655:
	ds_load_b32 v1, v0 offset:256
	s_wait_dscnt 0x0
	v_add_f32_e32 v10, v1, v10
	s_or_b32 exec_lo, exec_lo, s0
	s_and_saveexec_b32 s0, vcc_lo
	s_cbranch_execz .LBB270_1629
.LBB270_1656:
	ds_load_b32 v1, v0 offset:320
	s_wait_dscnt 0x0
	v_add_f32_e32 v11, v1, v11
	s_or_b32 exec_lo, exec_lo, s0
	s_and_saveexec_b32 s0, vcc_lo
	s_cbranch_execz .LBB270_1630
.LBB270_1657:
	ds_load_b32 v1, v0 offset:384
	s_wait_dscnt 0x0
	v_add_f32_e32 v6, v1, v6
	s_or_b32 exec_lo, exec_lo, s0
	s_and_saveexec_b32 s0, vcc_lo
	s_cbranch_execz .LBB270_1631
.LBB270_1658:
	ds_load_b32 v1, v0 offset:448
	s_wait_dscnt 0x0
	v_add_f32_e32 v7, v1, v7
	s_or_b32 exec_lo, exec_lo, s0
	s_and_saveexec_b32 s0, vcc_lo
	s_cbranch_execz .LBB270_1632
.LBB270_1659:
	ds_load_b32 v1, v0 offset:512
	s_wait_dscnt 0x0
	v_add_f32_e32 v2, v1, v2
	s_or_b32 exec_lo, exec_lo, s0
	s_and_saveexec_b32 s0, vcc_lo
	s_cbranch_execz .LBB270_1633
.LBB270_1660:
	ds_load_b32 v1, v0 offset:576
	s_wait_dscnt 0x0
	v_add_f32_e32 v3, v1, v3
	s_or_b32 exec_lo, exec_lo, s0
	s_and_saveexec_b32 s0, vcc_lo
	s_cbranch_execz .LBB270_1634
.LBB270_1661:
	ds_load_b32 v1, v0 offset:640
	s_wait_dscnt 0x0
	v_add_f32_e32 v4, v1, v4
	s_or_b32 exec_lo, exec_lo, s0
	s_and_saveexec_b32 s0, vcc_lo
	s_cbranch_execnz .LBB270_1635
	s_branch .LBB270_1636
.Lfunc_end270:
	.size	_ZN4vllm22paged_attention_kernelIthLi192ELi16ELi128ELNS_18Fp8KVCacheDataTypeE1ELb0ELi0EEEvPfS2_PT_PKS3_PKT0_S9_ifPKiSB_iPKfiiiSD_SD_iiiii, .Lfunc_end270-_ZN4vllm22paged_attention_kernelIthLi192ELi16ELi128ELNS_18Fp8KVCacheDataTypeE1ELb0ELi0EEEvPfS2_PT_PKS3_PKT0_S9_ifPKiSB_iPKfiiiSD_SD_iiiii
                                        ; -- End function
	.set .L_ZN4vllm22paged_attention_kernelIthLi192ELi16ELi128ELNS_18Fp8KVCacheDataTypeE1ELb0ELi0EEEvPfS2_PT_PKS3_PKT0_S9_ifPKiSB_iPKfiiiSD_SD_iiiii.num_vgpr, 128
	.set .L_ZN4vllm22paged_attention_kernelIthLi192ELi16ELi128ELNS_18Fp8KVCacheDataTypeE1ELb0ELi0EEEvPfS2_PT_PKS3_PKT0_S9_ifPKiSB_iPKfiiiSD_SD_iiiii.num_agpr, 0
	.set .L_ZN4vllm22paged_attention_kernelIthLi192ELi16ELi128ELNS_18Fp8KVCacheDataTypeE1ELb0ELi0EEEvPfS2_PT_PKS3_PKT0_S9_ifPKiSB_iPKfiiiSD_SD_iiiii.numbered_sgpr, 33
	.set .L_ZN4vllm22paged_attention_kernelIthLi192ELi16ELi128ELNS_18Fp8KVCacheDataTypeE1ELb0ELi0EEEvPfS2_PT_PKS3_PKT0_S9_ifPKiSB_iPKfiiiSD_SD_iiiii.num_named_barrier, 0
	.set .L_ZN4vllm22paged_attention_kernelIthLi192ELi16ELi128ELNS_18Fp8KVCacheDataTypeE1ELb0ELi0EEEvPfS2_PT_PKS3_PKT0_S9_ifPKiSB_iPKfiiiSD_SD_iiiii.private_seg_size, 248
	.set .L_ZN4vllm22paged_attention_kernelIthLi192ELi16ELi128ELNS_18Fp8KVCacheDataTypeE1ELb0ELi0EEEvPfS2_PT_PKS3_PKT0_S9_ifPKiSB_iPKfiiiSD_SD_iiiii.uses_vcc, 1
	.set .L_ZN4vllm22paged_attention_kernelIthLi192ELi16ELi128ELNS_18Fp8KVCacheDataTypeE1ELb0ELi0EEEvPfS2_PT_PKS3_PKT0_S9_ifPKiSB_iPKfiiiSD_SD_iiiii.uses_flat_scratch, 1
	.set .L_ZN4vllm22paged_attention_kernelIthLi192ELi16ELi128ELNS_18Fp8KVCacheDataTypeE1ELb0ELi0EEEvPfS2_PT_PKS3_PKT0_S9_ifPKiSB_iPKfiiiSD_SD_iiiii.has_dyn_sized_stack, 0
	.set .L_ZN4vllm22paged_attention_kernelIthLi192ELi16ELi128ELNS_18Fp8KVCacheDataTypeE1ELb0ELi0EEEvPfS2_PT_PKS3_PKT0_S9_ifPKiSB_iPKfiiiSD_SD_iiiii.has_recursion, 0
	.set .L_ZN4vllm22paged_attention_kernelIthLi192ELi16ELi128ELNS_18Fp8KVCacheDataTypeE1ELb0ELi0EEEvPfS2_PT_PKS3_PKT0_S9_ifPKiSB_iPKfiiiSD_SD_iiiii.has_indirect_call, 0
	.section	.AMDGPU.csdata,"",@progbits
; Function info:
; codeLenInByte = 64652
; TotalNumSgprs: 35
; NumVgprs: 128
; ScratchSize: 248
; MemoryBound: 0
	.section	.text._ZN4vllm25paged_attention_v1_kernelIthLi192ELi16ELi128ELNS_18Fp8KVCacheDataTypeE1ELb0EEEvPT_PKS2_PKT0_S8_ifPKiSA_iPKfiiiSC_SC_iiiii,"axG",@progbits,_ZN4vllm25paged_attention_v1_kernelIthLi192ELi16ELi128ELNS_18Fp8KVCacheDataTypeE1ELb0EEEvPT_PKS2_PKT0_S8_ifPKiSA_iPKfiiiSC_SC_iiiii,comdat
	.protected	_ZN4vllm25paged_attention_v1_kernelIthLi192ELi16ELi128ELNS_18Fp8KVCacheDataTypeE1ELb0EEEvPT_PKS2_PKT0_S8_ifPKiSA_iPKfiiiSC_SC_iiiii ; -- Begin function _ZN4vllm25paged_attention_v1_kernelIthLi192ELi16ELi128ELNS_18Fp8KVCacheDataTypeE1ELb0EEEvPT_PKS2_PKT0_S8_ifPKiSA_iPKfiiiSC_SC_iiiii
	.globl	_ZN4vllm25paged_attention_v1_kernelIthLi192ELi16ELi128ELNS_18Fp8KVCacheDataTypeE1ELb0EEEvPT_PKS2_PKT0_S8_ifPKiSA_iPKfiiiSC_SC_iiiii
	.p2align	8
	.type	_ZN4vllm25paged_attention_v1_kernelIthLi192ELi16ELi128ELNS_18Fp8KVCacheDataTypeE1ELb0EEEvPT_PKS2_PKT0_S8_ifPKiSA_iPKfiiiSC_SC_iiiii,@function
_ZN4vllm25paged_attention_v1_kernelIthLi192ELi16ELi128ELNS_18Fp8KVCacheDataTypeE1ELb0EEEvPT_PKS2_PKT0_S8_ifPKiSA_iPKfiiiSC_SC_iiiii: ; @_ZN4vllm25paged_attention_v1_kernelIthLi192ELi16ELi128ELNS_18Fp8KVCacheDataTypeE1ELb0EEEvPT_PKS2_PKT0_S8_ifPKiSA_iPKfiiiSC_SC_iiiii
; %bb.0:
	s_clause 0x5
	s_load_b256 s[12:19], s[0:1], 0x0
	s_load_b128 s[4:7], s[0:1], 0x20
	s_load_b96 s[20:22], s[0:1], 0x30
	s_load_b64 s[10:11], s[0:1], 0x40
	s_load_b96 s[28:30], s[0:1], 0x48
	s_load_b128 s[24:27], s[0:1], 0x58
	v_mov_b32_e32 v31, v0
	s_get_pc_i64 s[2:3]
	s_add_nc_u64 s[2:3], s[2:3], _ZN4vllm22paged_attention_kernelIthLi192ELi16ELi128ELNS_18Fp8KVCacheDataTypeE1ELb0ELi0EEEvPfS2_PT_PKS3_PKT0_S9_ifPKiSB_iPKfiiiSD_SD_iiiii@rel64+4
	s_add_nc_u64 s[8:9], s[0:1], 0x80
	s_mov_b32 s32, 0
	s_wait_kmcnt 0x0
	v_dual_mov_b32 v0, s12 :: v_dual_mov_b32 v1, s13
	v_dual_mov_b32 v2, s14 :: v_dual_mov_b32 v3, s15
	;; [unrolled: 1-line block ×12, first 2 shown]
	s_mov_b32 s15, 40
	s_swap_pc_i64 s[30:31], s[2:3]
	s_endpgm
	.section	.rodata,"a",@progbits
	.p2align	6, 0x0
	.amdhsa_kernel _ZN4vllm25paged_attention_v1_kernelIthLi192ELi16ELi128ELNS_18Fp8KVCacheDataTypeE1ELb0EEEvPT_PKS2_PKT0_S8_ifPKiSA_iPKfiiiSC_SC_iiiii
		.amdhsa_group_segment_fixed_size 416
		.amdhsa_private_segment_fixed_size 248
		.amdhsa_kernarg_size 384
		.amdhsa_user_sgpr_count 2
		.amdhsa_user_sgpr_dispatch_ptr 0
		.amdhsa_user_sgpr_queue_ptr 0
		.amdhsa_user_sgpr_kernarg_segment_ptr 1
		.amdhsa_user_sgpr_dispatch_id 0
		.amdhsa_user_sgpr_kernarg_preload_length 0
		.amdhsa_user_sgpr_kernarg_preload_offset 0
		.amdhsa_user_sgpr_private_segment_size 0
		.amdhsa_wavefront_size32 1
		.amdhsa_uses_dynamic_stack 0
		.amdhsa_enable_private_segment 1
		.amdhsa_system_sgpr_workgroup_id_x 1
		.amdhsa_system_sgpr_workgroup_id_y 1
		.amdhsa_system_sgpr_workgroup_id_z 1
		.amdhsa_system_sgpr_workgroup_info 0
		.amdhsa_system_vgpr_workitem_id 0
		.amdhsa_next_free_vgpr 128
		.amdhsa_next_free_sgpr 33
		.amdhsa_named_barrier_count 0
		.amdhsa_reserve_vcc 1
		.amdhsa_float_round_mode_32 0
		.amdhsa_float_round_mode_16_64 0
		.amdhsa_float_denorm_mode_32 3
		.amdhsa_float_denorm_mode_16_64 3
		.amdhsa_fp16_overflow 0
		.amdhsa_memory_ordered 1
		.amdhsa_forward_progress 1
		.amdhsa_inst_pref_size 2
		.amdhsa_round_robin_scheduling 0
		.amdhsa_exception_fp_ieee_invalid_op 0
		.amdhsa_exception_fp_denorm_src 0
		.amdhsa_exception_fp_ieee_div_zero 0
		.amdhsa_exception_fp_ieee_overflow 0
		.amdhsa_exception_fp_ieee_underflow 0
		.amdhsa_exception_fp_ieee_inexact 0
		.amdhsa_exception_int_div_zero 0
	.end_amdhsa_kernel
	.section	.text._ZN4vllm25paged_attention_v1_kernelIthLi192ELi16ELi128ELNS_18Fp8KVCacheDataTypeE1ELb0EEEvPT_PKS2_PKT0_S8_ifPKiSA_iPKfiiiSC_SC_iiiii,"axG",@progbits,_ZN4vllm25paged_attention_v1_kernelIthLi192ELi16ELi128ELNS_18Fp8KVCacheDataTypeE1ELb0EEEvPT_PKS2_PKT0_S8_ifPKiSA_iPKfiiiSC_SC_iiiii,comdat
.Lfunc_end271:
	.size	_ZN4vllm25paged_attention_v1_kernelIthLi192ELi16ELi128ELNS_18Fp8KVCacheDataTypeE1ELb0EEEvPT_PKS2_PKT0_S8_ifPKiSA_iPKfiiiSC_SC_iiiii, .Lfunc_end271-_ZN4vllm25paged_attention_v1_kernelIthLi192ELi16ELi128ELNS_18Fp8KVCacheDataTypeE1ELb0EEEvPT_PKS2_PKT0_S8_ifPKiSA_iPKfiiiSC_SC_iiiii
                                        ; -- End function
	.set _ZN4vllm25paged_attention_v1_kernelIthLi192ELi16ELi128ELNS_18Fp8KVCacheDataTypeE1ELb0EEEvPT_PKS2_PKT0_S8_ifPKiSA_iPKfiiiSC_SC_iiiii.num_vgpr, max(32, .L_ZN4vllm22paged_attention_kernelIthLi192ELi16ELi128ELNS_18Fp8KVCacheDataTypeE1ELb0ELi0EEEvPfS2_PT_PKS3_PKT0_S9_ifPKiSB_iPKfiiiSD_SD_iiiii.num_vgpr)
	.set _ZN4vllm25paged_attention_v1_kernelIthLi192ELi16ELi128ELNS_18Fp8KVCacheDataTypeE1ELb0EEEvPT_PKS2_PKT0_S8_ifPKiSA_iPKfiiiSC_SC_iiiii.num_agpr, max(0, .L_ZN4vllm22paged_attention_kernelIthLi192ELi16ELi128ELNS_18Fp8KVCacheDataTypeE1ELb0ELi0EEEvPfS2_PT_PKS3_PKT0_S9_ifPKiSB_iPKfiiiSD_SD_iiiii.num_agpr)
	.set _ZN4vllm25paged_attention_v1_kernelIthLi192ELi16ELi128ELNS_18Fp8KVCacheDataTypeE1ELb0EEEvPT_PKS2_PKT0_S8_ifPKiSA_iPKfiiiSC_SC_iiiii.numbered_sgpr, max(33, .L_ZN4vllm22paged_attention_kernelIthLi192ELi16ELi128ELNS_18Fp8KVCacheDataTypeE1ELb0ELi0EEEvPfS2_PT_PKS3_PKT0_S9_ifPKiSB_iPKfiiiSD_SD_iiiii.numbered_sgpr)
	.set _ZN4vllm25paged_attention_v1_kernelIthLi192ELi16ELi128ELNS_18Fp8KVCacheDataTypeE1ELb0EEEvPT_PKS2_PKT0_S8_ifPKiSA_iPKfiiiSC_SC_iiiii.num_named_barrier, max(0, .L_ZN4vllm22paged_attention_kernelIthLi192ELi16ELi128ELNS_18Fp8KVCacheDataTypeE1ELb0ELi0EEEvPfS2_PT_PKS3_PKT0_S9_ifPKiSB_iPKfiiiSD_SD_iiiii.num_named_barrier)
	.set _ZN4vllm25paged_attention_v1_kernelIthLi192ELi16ELi128ELNS_18Fp8KVCacheDataTypeE1ELb0EEEvPT_PKS2_PKT0_S8_ifPKiSA_iPKfiiiSC_SC_iiiii.private_seg_size, 0+max(.L_ZN4vllm22paged_attention_kernelIthLi192ELi16ELi128ELNS_18Fp8KVCacheDataTypeE1ELb0ELi0EEEvPfS2_PT_PKS3_PKT0_S9_ifPKiSB_iPKfiiiSD_SD_iiiii.private_seg_size)
	.set _ZN4vllm25paged_attention_v1_kernelIthLi192ELi16ELi128ELNS_18Fp8KVCacheDataTypeE1ELb0EEEvPT_PKS2_PKT0_S8_ifPKiSA_iPKfiiiSC_SC_iiiii.uses_vcc, or(1, .L_ZN4vllm22paged_attention_kernelIthLi192ELi16ELi128ELNS_18Fp8KVCacheDataTypeE1ELb0ELi0EEEvPfS2_PT_PKS3_PKT0_S9_ifPKiSB_iPKfiiiSD_SD_iiiii.uses_vcc)
	.set _ZN4vllm25paged_attention_v1_kernelIthLi192ELi16ELi128ELNS_18Fp8KVCacheDataTypeE1ELb0EEEvPT_PKS2_PKT0_S8_ifPKiSA_iPKfiiiSC_SC_iiiii.uses_flat_scratch, or(0, .L_ZN4vllm22paged_attention_kernelIthLi192ELi16ELi128ELNS_18Fp8KVCacheDataTypeE1ELb0ELi0EEEvPfS2_PT_PKS3_PKT0_S9_ifPKiSB_iPKfiiiSD_SD_iiiii.uses_flat_scratch)
	.set _ZN4vllm25paged_attention_v1_kernelIthLi192ELi16ELi128ELNS_18Fp8KVCacheDataTypeE1ELb0EEEvPT_PKS2_PKT0_S8_ifPKiSA_iPKfiiiSC_SC_iiiii.has_dyn_sized_stack, or(0, .L_ZN4vllm22paged_attention_kernelIthLi192ELi16ELi128ELNS_18Fp8KVCacheDataTypeE1ELb0ELi0EEEvPfS2_PT_PKS3_PKT0_S9_ifPKiSB_iPKfiiiSD_SD_iiiii.has_dyn_sized_stack)
	.set _ZN4vllm25paged_attention_v1_kernelIthLi192ELi16ELi128ELNS_18Fp8KVCacheDataTypeE1ELb0EEEvPT_PKS2_PKT0_S8_ifPKiSA_iPKfiiiSC_SC_iiiii.has_recursion, or(0, .L_ZN4vllm22paged_attention_kernelIthLi192ELi16ELi128ELNS_18Fp8KVCacheDataTypeE1ELb0ELi0EEEvPfS2_PT_PKS3_PKT0_S9_ifPKiSB_iPKfiiiSD_SD_iiiii.has_recursion)
	.set _ZN4vllm25paged_attention_v1_kernelIthLi192ELi16ELi128ELNS_18Fp8KVCacheDataTypeE1ELb0EEEvPT_PKS2_PKT0_S8_ifPKiSA_iPKfiiiSC_SC_iiiii.has_indirect_call, or(0, .L_ZN4vllm22paged_attention_kernelIthLi192ELi16ELi128ELNS_18Fp8KVCacheDataTypeE1ELb0ELi0EEEvPfS2_PT_PKS3_PKT0_S9_ifPKiSB_iPKfiiiSD_SD_iiiii.has_indirect_call)
	.section	.AMDGPU.csdata,"",@progbits
; Kernel info:
; codeLenInByte = 196
; TotalNumSgprs: 35
; NumVgprs: 128
; ScratchSize: 248
; MemoryBound: 0
; FloatMode: 240
; IeeeMode: 1
; LDSByteSize: 416 bytes/workgroup (compile time only)
; SGPRBlocks: 0
; VGPRBlocks: 7
; NumSGPRsForWavesPerEU: 35
; NumVGPRsForWavesPerEU: 128
; NamedBarCnt: 0
; Occupancy: 8
; WaveLimiterHint : 1
; COMPUTE_PGM_RSRC2:SCRATCH_EN: 1
; COMPUTE_PGM_RSRC2:USER_SGPR: 2
; COMPUTE_PGM_RSRC2:TRAP_HANDLER: 0
; COMPUTE_PGM_RSRC2:TGID_X_EN: 1
; COMPUTE_PGM_RSRC2:TGID_Y_EN: 1
; COMPUTE_PGM_RSRC2:TGID_Z_EN: 1
; COMPUTE_PGM_RSRC2:TIDIG_COMP_CNT: 0
	.text
	.p2align	2                               ; -- Begin function _ZN4vllm22paged_attention_kernelIthLi256ELi16ELi128ELNS_18Fp8KVCacheDataTypeE1ELb0ELi0EEEvPfS2_PT_PKS3_PKT0_S9_ifPKiSB_iPKfiiiSD_SD_iiiii
	.type	_ZN4vllm22paged_attention_kernelIthLi256ELi16ELi128ELNS_18Fp8KVCacheDataTypeE1ELb0ELi0EEEvPfS2_PT_PKS3_PKT0_S9_ifPKiSB_iPKfiiiSD_SD_iiiii,@function
_ZN4vllm22paged_attention_kernelIthLi256ELi16ELi128ELNS_18Fp8KVCacheDataTypeE1ELb0ELi0EEEvPfS2_PT_PKS3_PKT0_S9_ifPKiSB_iPKfiiiSD_SD_iiiii: ; @_ZN4vllm22paged_attention_kernelIthLi256ELi16ELi128ELNS_18Fp8KVCacheDataTypeE1ELb0ELi0EEEvPfS2_PT_PKS3_PKT0_S9_ifPKiSB_iPKfiiiSD_SD_iiiii
; %bb.0:
	s_wait_loadcnt_dscnt 0x0
	s_wait_kmcnt 0x0
	s_clause 0x2f
	scratch_store_b32 off, v40, s32 offset:188
	; meta instruction
	scratch_store_b32 off, v41, s32 offset:184
	; meta instruction
	;; [unrolled: 2-line block ×47, first 2 shown]
	scratch_store_b32 off, v127, s32
	v_mov_b32_e32 v27, 0
	s_clause 0x3
	scratch_store_b64 off, v[20:21], s32 offset:336
	scratch_store_b64 off, v[18:19], s32 offset:256
	scratch_store_b64 off, v[10:11], s32 offset:396
	scratch_store_b32 off, v9, s32 offset:360
	v_dual_mov_b32 v37, v7 :: v_dual_mov_b32 v36, v6
	s_bfe_u32 s0, ttmp6, 0x4000c
	global_load_u16 v6, v27, s[8:9] offset:22
	s_add_co_i32 s0, s0, 1
	s_bfe_u32 s2, ttmp6, 0x40010
	s_and_b32 s1, ttmp6, 15
	s_mul_i32 s0, ttmp9, s0
	s_and_b32 s4, ttmp7, 0xffff
	s_add_co_i32 s2, s2, 1
	s_add_co_i32 s1, s1, s0
	s_mul_i32 s0, s4, s2
	s_bfe_u32 s2, ttmp6, 0x40004
	s_getreg_b32 s12, hwreg(HW_REG_IB_STS2, 6, 4)
	s_add_co_i32 s2, s2, s0
	s_cmp_eq_u32 s12, 0
	s_mov_b32 s3, 0
	s_cselect_b32 s13, s4, s2
	s_cselect_b32 s4, ttmp9, s1
	s_lshl_b32 s2, s13, 2
	s_mov_b32 s10, s15
	s_clause 0x1
	s_load_u16 s0, s[8:9], 0x12
	s_load_b32 s1, s[8:9], 0x0
	v_dual_mov_b32 v25, v16 :: v_dual_mov_b32 v24, v15
	s_wait_kmcnt 0x0
	s_cmp_lg_u32 s0, 0
	s_cselect_b32 s0, -1, 0
	s_delay_alu instid0(SALU_CYCLE_1) | instskip(SKIP_1) | instid1(SALU_CYCLE_1)
	s_cmp_lg_u32 s0, 0
	s_add_co_ci_u32 s14, s1, 0
	s_abs_i32 s0, s14
	s_wait_loadcnt 0x0
	v_readfirstlane_b32 s15, v6
	v_mov_b32_e32 v6, v27
	scratch_store_b64 off, v[0:1], s32 offset:416 ; 8-byte Folded Spill
	s_wait_xcnt 0x0
	v_add_nc_u64_e32 v[0:1], s[2:3], v[12:13]
	s_abs_i32 s2, s4
	scratch_store_b32 off, v6, s32 offset:356 ; 4-byte Folded Spill
	flat_load_b32 v12, v[0:1]
	s_wait_xcnt 0x0
	v_sub_nc_u32_e32 v0, 0, v8
	s_delay_alu instid0(VALU_DEP_1) | instskip(NEXT) | instid1(VALU_DEP_1)
	v_max_i32_e32 v0, v8, v0
	v_cvt_f32_u32_e32 v1, v0
	s_delay_alu instid0(VALU_DEP_1) | instskip(SKIP_1) | instid1(TRANS32_DEP_1)
	v_rcp_iflag_f32_e32 v1, v1
	v_nop
	v_mul_f32_e32 v1, 0x4f7ffffe, v1
	v_sub_nc_u32_e32 v7, 0, v0
	s_delay_alu instid0(VALU_DEP_2) | instskip(NEXT) | instid1(VALU_DEP_1)
	v_cvt_u32_f32_e32 v1, v1
	v_mul_lo_u32 v7, v7, v1
	s_delay_alu instid0(VALU_DEP_1) | instskip(NEXT) | instid1(VALU_DEP_1)
	v_mul_hi_u32 v7, v1, v7
	v_add_nc_u32_e32 v1, v1, v7
	s_delay_alu instid0(VALU_DEP_1) | instskip(NEXT) | instid1(VALU_DEP_1)
	v_mul_hi_u32 v1, s0, v1
	v_mul_lo_u32 v7, v1, v0
	s_delay_alu instid0(VALU_DEP_1) | instskip(SKIP_1) | instid1(VALU_DEP_1)
	v_dual_add_nc_u32 v9, 1, v1 :: v_dual_sub_nc_u32 v7, s0, v7
	s_mov_b32 s0, exec_lo
	v_cmp_ge_u32_e32 vcc_lo, v7, v0
	s_delay_alu instid0(VALU_DEP_2) | instskip(NEXT) | instid1(VALU_DEP_1)
	v_dual_cndmask_b32 v1, v1, v9 :: v_dual_sub_nc_u32 v10, v7, v0
	v_dual_cndmask_b32 v7, v7, v10, vcc_lo :: v_dual_bitop2_b32 v8, s14, v8 bitop3:0x14
	s_delay_alu instid0(VALU_DEP_1) | instskip(NEXT) | instid1(VALU_DEP_2)
	v_dual_add_nc_u32 v9, 1, v1 :: v_dual_ashrrev_i32 v8, 31, v8
	v_cmp_ge_u32_e32 vcc_lo, v7, v0
	s_delay_alu instid0(VALU_DEP_2) | instskip(NEXT) | instid1(VALU_DEP_1)
	v_cndmask_b32_e32 v0, v1, v9, vcc_lo
	v_xor_b32_e32 v0, v0, v8
	s_delay_alu instid0(VALU_DEP_1) | instskip(NEXT) | instid1(VALU_DEP_1)
	v_sub_nc_u32_e32 v1, v0, v8
	v_sub_nc_u32_e32 v0, 0, v1
	s_delay_alu instid0(VALU_DEP_1) | instskip(NEXT) | instid1(VALU_DEP_1)
	v_max_i32_e32 v0, v1, v0
	v_cvt_f32_u32_e32 v7, v0
	v_sub_nc_u32_e32 v8, 0, v0
	s_delay_alu instid0(VALU_DEP_2) | instskip(SKIP_1) | instid1(TRANS32_DEP_1)
	v_rcp_iflag_f32_e32 v7, v7
	v_nop
	v_mul_f32_e32 v7, 0x4f7ffffe, v7
	s_delay_alu instid0(VALU_DEP_1) | instskip(NEXT) | instid1(VALU_DEP_1)
	v_cvt_u32_f32_e32 v7, v7
	v_mul_lo_u32 v8, v8, v7
	s_delay_alu instid0(VALU_DEP_1) | instskip(NEXT) | instid1(VALU_DEP_1)
	v_mul_hi_u32 v8, v7, v8
	v_add_nc_u32_e32 v26, v7, v8
	v_cmpx_ne_u64_e32 0, v[24:25]
	s_cbranch_execz .LBB272_2
; %bb.1:
	s_ashr_i32 s5, s4, 31
	s_delay_alu instid0(SALU_CYCLE_1)
	v_lshl_add_u64 v[6:7], s[4:5], 2, v[24:25]
	flat_load_b32 v6, v[6:7]
	s_wait_loadcnt_dscnt 0x0
	scratch_store_b32 off, v6, s32 offset:356 ; 4-byte Folded Spill
.LBB272_2:
	s_wait_xcnt 0x0
	s_or_b32 exec_lo, exec_lo, s0
	v_mul_u64_e32 v[24:25], s[2:3], v[26:27]
	v_bfe_u32 v6, v31, 1, 9
	v_and_b32_e32 v9, 0x3ff, v31
	v_ashrrev_i32_e32 v1, 31, v1
	s_ashr_i32 s1, s4, 31
	s_lshl_b32 s6, s4, 8
	scratch_store_b32 off, v6, s32 offset:392 ; 4-byte Folded Spill
	s_wait_xcnt 0x0
	v_and_b32_e32 v6, 1, v31
	v_cmp_gt_u32_e64 s0, 64, v9
	scratch_store_b32 off, v6, s32 offset:372 ; 4-byte Folded Spill
	s_wait_xcnt 0x0
	v_lshlrev_b32_e32 v6, 3, v9
	scratch_store_b64 off, v[6:7], s32 offset:376 ; 8-byte Folded Spill
	s_wait_xcnt 0x0
	s_and_saveexec_b32 s3, s0
	s_cbranch_execz .LBB272_4
; %bb.3:
	v_mul_lo_u32 v6, v17, s13
	s_ashr_i32 s7, s6, 31
	v_dual_mov_b32 v11, 0 :: v_dual_lshlrev_b32 v10, 3, v9
	s_delay_alu instid0(VALU_DEP_2) | instskip(NEXT) | instid1(VALU_DEP_1)
	v_ashrrev_i32_e32 v7, 31, v6
	v_lshl_add_u64 v[2:3], v[6:7], 1, v[2:3]
	s_delay_alu instid0(VALU_DEP_3) | instskip(NEXT) | instid1(VALU_DEP_2)
	v_mov_b32_e32 v6, v10
	v_lshl_add_u64 v[2:3], s[6:7], 1, v[2:3]
	scratch_store_b64 off, v[6:7], s32 offset:376 ; 8-byte Folded Spill
	v_add_nc_u64_e32 v[2:3], v[2:3], v[10:11]
	flat_load_b64 v[2:3], v[2:3]
	s_clause 0x1
	scratch_load_b32 v6, off, s32 offset:392
	scratch_load_b32 v7, off, s32 offset:372
	s_wait_loadcnt 0x1
	v_lshlrev_b32_e32 v6, 3, v6
	s_wait_loadcnt 0x0
	s_delay_alu instid0(VALU_DEP_1)
	v_lshl_add_u32 v6, v7, 8, v6
	s_wait_dscnt 0x0
	ds_store_b64 v6, v[2:3]
.LBB272_4:
	s_wait_xcnt 0x0
	s_or_b32 exec_lo, exec_lo, s3
	v_mul_lo_u32 v2, v25, v0
	s_wait_loadcnt_dscnt 0x0
	v_add_nc_u32_e32 v3, 15, v12
	v_mul_lo_u32 v10, v14, s13
	s_delay_alu instid0(VALU_DEP_3) | instskip(NEXT) | instid1(VALU_DEP_3)
	v_dual_sub_nc_u32 v2, s2, v2 :: v_dual_bitop2_b32 v1, s1, v1 bitop3:0x14
	v_dual_add_nc_u32 v6, 1, v25 :: v_dual_ashrrev_i32 v7, 31, v3
	s_delay_alu instid0(VALU_DEP_3) | instskip(NEXT) | instid1(VALU_DEP_3)
	v_ashrrev_i32_e32 v11, 31, v10
	v_cmp_ge_u32_e32 vcc_lo, v2, v0
	s_delay_alu instid0(VALU_DEP_3) | instskip(NEXT) | instid1(VALU_DEP_1)
	v_dual_sub_nc_u32 v8, v2, v0 :: v_dual_cndmask_b32 v6, v25, v6, vcc_lo
	v_dual_cndmask_b32 v2, v2, v8 :: v_dual_lshrrev_b32 v7, 28, v7
                                        ; implicit-def: $vgpr25
	s_delay_alu instid0(VALU_DEP_2) | instskip(NEXT) | instid1(VALU_DEP_2)
	v_add_nc_u32_e32 v8, 1, v6
	v_cmp_ge_u32_e32 vcc_lo, v2, v0
	s_delay_alu instid0(VALU_DEP_2) | instskip(NEXT) | instid1(VALU_DEP_1)
	v_dual_cndmask_b32 v0, v6, v8 :: v_dual_add_nc_u32 v3, v3, v7
	v_dual_lshrrev_b32 v2, 5, v9 :: v_dual_ashrrev_i32 v3, 4, v3
	s_clause 0x2
	scratch_store_b64 off, v[10:11], s32 offset:404
	scratch_store_b32 off, v2, s32 offset:368
	scratch_store_b32 off, v3, s32 offset:252
	v_xor_b32_e32 v0, v0, v1
	v_cmp_ge_i32_e64 s1, v2, v3
                                        ; implicit-def: $vgpr10
	s_delay_alu instid0(VALU_DEP_2)
	v_sub_nc_u32_e32 v0, v0, v1
	v_mbcnt_lo_u32_b32 v1, -1, 0
	scratch_store_b32 off, v1, s32 offset:332 ; 4-byte Folded Spill
	s_wait_storecnt 0x0
	s_barrier_signal -1
	s_barrier_wait -1
	s_wait_xcnt 0x0
	s_and_saveexec_b32 s2, s1
	s_delay_alu instid0(SALU_CYCLE_1)
	s_xor_b32 s2, exec_lo, s2
	s_cbranch_execz .LBB272_6
; %bb.5:
	v_mbcnt_lo_u32_b32 v1, -1, 0
	v_dual_mov_b32 v25, 0 :: v_dual_mov_b32 v10, 32
                                        ; implicit-def: $vgpr2
                                        ; implicit-def: $vgpr4
	s_clause 0x1
	scratch_store_b64 off, v[2:3], s32 offset:336
	scratch_store_b32 off, v1, s32 offset:332
                                        ; implicit-def: $vgpr1
                                        ; kill: killed $vgpr1
                                        ; implicit-def: $vgpr1
                                        ; kill: killed $vgpr1
.LBB272_6:
	s_wait_xcnt 0x0
	s_or_saveexec_b32 s16, s2
	v_mul_lo_u32 v0, v0, v19
	s_load_b32 s7, s[8:9], 0x8
	v_mov_b32_e32 v3, 0xff7fffff
	s_wait_xcnt 0x0
	s_get_pc_i64 s[8:9]
	s_add_nc_u64 s[8:9], s[8:9], llvm.amdgcn.dynlds.offset.table@rel64+4
	s_delay_alu instid0(VALU_DEP_2)
	v_ashrrev_i32_e32 v1, 31, v0
	scratch_store_b64 off, v[0:1], s32 offset:384 ; 8-byte Folded Spill
	s_wait_xcnt 0x0
	v_lshrrev_b32_e32 v0, 3, v9
	s_clause 0x1
	scratch_store_b32 off, v0, s32 offset:412
	scratch_store_b32 off, v9, s32 offset:364
	s_wait_xcnt 0x0
	s_xor_b32 exec_lo, exec_lo, s16
	s_cbranch_execz .LBB272_1036
; %bb.7:
	s_clause 0x2
	scratch_load_b64 v[0:1], off, s32 offset:384
	scratch_load_b32 v3, off, s32 offset:372
	scratch_load_b32 v35, off, s32 offset:368
	v_bfe_u32 v2, v9, 1, 4
	v_mov_b32_e32 v25, 0
	s_ashr_i32 s11, s10, 31
	s_delay_alu instid0(SALU_CYCLE_1) | instskip(NEXT) | instid1(VALU_DEP_2)
	s_lshl_b64 s[4:5], s[10:11], 2
	v_lshlrev_b32_e32 v24, 4, v2
	s_mov_b32 s11, 0
	s_add_nc_u64 s[4:5], s[8:9], s[4:5]
	s_wait_loadcnt 0x2
	v_add_nc_u64_e32 v[0:1], v[4:5], v[0:1]
	scratch_load_b32 v4, off, s32 offset:356 ; 4-byte Folded Reload
	s_wait_loadcnt 0x2
	v_cmp_eq_u32_e32 vcc_lo, 0, v3
	v_lshlrev_b32_e32 v32, 8, v3
	s_wait_loadcnt 0x1
	v_lshl_or_b32 v64, v35, 4, v2
	v_add_nc_u64_e32 v[0:1], v[0:1], v[24:25]
	v_dual_lshlrev_b32 v24, 2, v3 :: v_dual_lshlrev_b32 v3, 2, v2
	s_delay_alu instid0(VALU_DEP_1) | instskip(NEXT) | instid1(VALU_DEP_2)
	v_add_nc_u64_e32 v[0:1], v[0:1], v[24:25]
	v_lshl_or_b32 v2, v35, 6, v3
	s_clause 0x3
	scratch_store_b32 off, v2, s32 offset:192
	scratch_store_b64 off, v[0:1], s32 offset:348
	scratch_load_b32 v0, off, s32 offset:412
	scratch_load_b64 v[2:3], off, s32 offset:396
	s_wait_loadcnt 0x2
	v_cmp_neq_f32_e64 s2, 0, v4
	s_wait_loadcnt 0x1
	v_and_b32_e32 v24, 0x7c, v0
	scratch_load_b64 v[0:1], off, s32 offset:404 ; 8-byte Folded Reload
	s_wait_loadcnt 0x0
	v_lshl_add_u64 v[0:1], v[0:1], 2, v[24:25]
	s_delay_alu instid0(VALU_DEP_1)
	v_add_nc_u64_e32 v[2:3], v[2:3], v[0:1]
	v_mov_b32_e32 v0, 0xff7fffff
	s_clause 0x1
	scratch_store_b64 off, v[36:37], s32 offset:424
	scratch_store_b32 off, v0, s32 offset:344
	s_branch .LBB272_9
.LBB272_8:                              ;   in Loop: Header=BB272_9 Depth=1
	s_wait_xcnt 0x0
	s_or_b32 exec_lo, exec_lo, s17
	scratch_load_b32 v0, off, s32 offset:252 ; 4-byte Folded Reload
	v_dual_add_nc_u32 v35, 4, v35 :: v_dual_add_nc_u32 v64, 64, v64
	scratch_load_b64 v[2:3], off, s32 offset:264 th:TH_LOAD_LU ; 8-byte Folded Reload
	s_wait_loadcnt 0x1
	v_cmp_ge_i32_e64 s3, v35, v0
	scratch_load_b32 v0, off, s32 offset:192 ; 4-byte Folded Reload
	s_wait_loadcnt 0x1
	v_add_nc_u64_e32 v[2:3], 16, v[2:3]
	s_or_b32 s11, s3, s11
	s_wait_loadcnt 0x0
	v_add_nc_u32_e32 v0, 0x100, v0
	scratch_store_b32 off, v0, s32 offset:192 ; 4-byte Folded Spill
	s_wait_xcnt 0x0
	s_and_not1_b32 exec_lo, exec_lo, s11
	s_cbranch_execz .LBB272_1035
.LBB272_9:                              ; =>This Inner Loop Header: Depth=1
	scratch_store_b64 off, v[2:3], s32 offset:264 ; 8-byte Folded Spill
	flat_load_b32 v0, v[2:3]
	s_clause 0x1
	scratch_load_b64 v[2:3], off, s32 offset:256
	scratch_load_b64 v[4:5], off, s32 offset:348
	v_mov_b32_e32 v91, 0
	s_mov_b32 s17, exec_lo
	s_wait_loadcnt_dscnt 0x0
	v_mad_nc_i64_i32 v[28:29], v0, v2, v[4:5]
	flat_load_b32 v8, v[28:29]
	scratch_load_b64 v[0:1], off, s32 offset:336 ; 8-byte Folded Reload
	s_wait_loadcnt 0x0
	flat_load_b32 v36, v[0:1]
	s_wait_dscnt 0x1
	s_wait_xcnt 0x0
	v_and_b32_e32 v0, 0xff, v8
	v_mov_b32_e32 v1, 0
	scratch_store_b32 off, v1, s32 offset:196 ; 4-byte Folded Spill
	s_wait_xcnt 0x0
	v_cmpx_ne_u16_e32 0, v0
	s_cbranch_execz .LBB272_17
; %bb.10:                               ;   in Loop: Header=BB272_9 Depth=1
	v_cmp_ne_u16_e64 s3, 0x80, v0
	v_mov_b32_e32 v0, 0x8000
	s_and_saveexec_b32 s18, s3
	s_cbranch_execz .LBB272_16
; %bb.11:                               ;   in Loop: Header=BB272_9 Depth=1
	v_and_b32_e32 v2, 0x7f, v8
	v_mov_b32_e32 v0, 0x7c01
	s_mov_b32 s19, exec_lo
	s_delay_alu instid0(VALU_DEP_2)
	v_cmpx_ne_u32_e32 0x7f, v2
	s_cbranch_execz .LBB272_15
; %bb.12:                               ;   in Loop: Header=BB272_9 Depth=1
	v_dual_lshrrev_b32 v1, 3, v2 :: v_dual_bitop2_b32 v0, 7, v8 bitop3:0x40
	s_mov_b32 s20, exec_lo
	v_cmpx_gt_u32_e32 8, v2
; %bb.13:                               ;   in Loop: Header=BB272_9 Depth=1
	s_delay_alu instid0(VALU_DEP_2) | instskip(NEXT) | instid1(VALU_DEP_1)
	v_clz_i32_u32_e32 v0, v0
	v_min_u32_e32 v2, 32, v0
	s_delay_alu instid0(VALU_DEP_1) | instskip(NEXT) | instid1(VALU_DEP_1)
	v_subrev_nc_u32_e32 v0, 28, v2
	v_lshlrev_b64_e32 v[0:1], v0, v[8:9]
	s_delay_alu instid0(VALU_DEP_1)
	v_dual_sub_nc_u32 v1, 29, v2 :: v_dual_bitop2_b32 v0, 7, v0 bitop3:0x40
; %bb.14:                               ;   in Loop: Header=BB272_9 Depth=1
	s_or_b32 exec_lo, exec_lo, s20
	v_lshlrev_b32_e32 v2, 8, v8
	s_delay_alu instid0(VALU_DEP_2) | instskip(NEXT) | instid1(VALU_DEP_3)
	v_lshl_add_u32 v1, v1, 10, 0x2000
	v_lshlrev_b32_e32 v0, 7, v0
	s_delay_alu instid0(VALU_DEP_3) | instskip(NEXT) | instid1(VALU_DEP_3)
	v_and_b32_e32 v2, 0x8000, v2
	v_and_b32_e32 v1, 0xfc00, v1
	s_delay_alu instid0(VALU_DEP_1)
	v_or3_b32 v0, v2, v1, v0
.LBB272_15:                             ;   in Loop: Header=BB272_9 Depth=1
	s_or_b32 exec_lo, exec_lo, s19
.LBB272_16:                             ;   in Loop: Header=BB272_9 Depth=1
	s_delay_alu instid0(SALU_CYCLE_1)
	s_or_b32 exec_lo, exec_lo, s18
	scratch_store_b32 off, v0, s32 offset:196 ; 4-byte Folded Spill
.LBB272_17:                             ;   in Loop: Header=BB272_9 Depth=1
	s_wait_xcnt 0x0
	s_or_b32 exec_lo, exec_lo, s17
	v_lshrrev_b16 v24, 8, v8
	s_mov_b32 s17, exec_lo
	s_delay_alu instid0(VALU_DEP_1)
	v_cmpx_ne_u16_e32 0, v24
	s_cbranch_execz .LBB272_25
; %bb.18:                               ;   in Loop: Header=BB272_9 Depth=1
	v_bfrev_b32_e32 v91, 1
	s_mov_b32 s18, exec_lo
	v_cmpx_ne_u16_e32 0x80, v24
	s_cbranch_execz .LBB272_24
; %bb.19:                               ;   in Loop: Header=BB272_9 Depth=1
	v_and_b32_e32 v0, 0xffff, v24
	v_mov_b32_e32 v91, 0x7c010000
	s_mov_b32 s19, exec_lo
	s_delay_alu instid0(VALU_DEP_2) | instskip(NEXT) | instid1(VALU_DEP_1)
	v_and_b32_e32 v3, 0x7f, v0
	v_cmpx_ne_u32_e32 0x7f, v3
	s_cbranch_execz .LBB272_23
; %bb.20:                               ;   in Loop: Header=BB272_9 Depth=1
	v_dual_lshrrev_b32 v2, 3, v3 :: v_dual_bitop2_b32 v1, 7, v0 bitop3:0x40
	s_mov_b32 s20, exec_lo
	v_cmpx_gt_u32_e32 8, v3
; %bb.21:                               ;   in Loop: Header=BB272_9 Depth=1
	s_delay_alu instid0(VALU_DEP_2) | instskip(NEXT) | instid1(VALU_DEP_1)
	v_clz_i32_u32_e32 v1, v1
	v_min_u32_e32 v1, 32, v1
	s_delay_alu instid0(VALU_DEP_1) | instskip(NEXT) | instid1(VALU_DEP_1)
	v_subrev_nc_u32_e32 v2, 28, v1
	v_lshlrev_b64_e32 v[4:5], v2, v[24:25]
	s_delay_alu instid0(VALU_DEP_1)
	v_dual_sub_nc_u32 v2, 29, v1 :: v_dual_bitop2_b32 v1, 7, v4 bitop3:0x40
; %bb.22:                               ;   in Loop: Header=BB272_9 Depth=1
	s_or_b32 exec_lo, exec_lo, s20
	s_delay_alu instid0(VALU_DEP_1) | instskip(NEXT) | instid1(VALU_DEP_2)
	v_dual_lshlrev_b32 v0, 8, v0 :: v_dual_lshlrev_b32 v1, 23, v1
	v_lshl_add_u32 v2, v2, 10, 0x2000
	s_delay_alu instid0(VALU_DEP_1) | instskip(NEXT) | instid1(VALU_DEP_1)
	v_and_or_b32 v0, 0x8000, v0, v2
	v_lshl_or_b32 v91, v0, 16, v1
.LBB272_23:                             ;   in Loop: Header=BB272_9 Depth=1
	s_or_b32 exec_lo, exec_lo, s19
.LBB272_24:                             ;   in Loop: Header=BB272_9 Depth=1
	s_delay_alu instid0(SALU_CYCLE_1)
	s_or_b32 exec_lo, exec_lo, s18
.LBB272_25:                             ;   in Loop: Header=BB272_9 Depth=1
	s_delay_alu instid0(SALU_CYCLE_1) | instskip(SKIP_3) | instid1(VALU_DEP_2)
	s_or_b32 exec_lo, exec_lo, s17
	v_dual_mov_b32 v99, 0 :: v_dual_lshrrev_b32 v24, 16, v8
	v_mov_b32_e32 v1, 0
	s_mov_b32 s17, exec_lo
	v_and_b32_e32 v0, 0xff, v24
	scratch_store_b32 off, v1, s32 offset:200 ; 4-byte Folded Spill
	s_wait_xcnt 0x0
	v_cmpx_ne_u16_e32 0, v0
	s_cbranch_execz .LBB272_33
; %bb.26:                               ;   in Loop: Header=BB272_9 Depth=1
	v_cmp_ne_u16_e64 s3, 0x80, v0
	v_mov_b32_e32 v0, 0x8000
	s_and_saveexec_b32 s18, s3
	s_cbranch_execz .LBB272_32
; %bb.27:                               ;   in Loop: Header=BB272_9 Depth=1
	v_bfe_u32 v2, v8, 16, 7
	v_mov_b32_e32 v0, 0x7c01
	s_mov_b32 s19, exec_lo
	s_delay_alu instid0(VALU_DEP_2)
	v_cmpx_ne_u32_e32 0x7f, v2
	s_cbranch_execz .LBB272_31
; %bb.28:                               ;   in Loop: Header=BB272_9 Depth=1
	v_dual_lshrrev_b32 v1, 3, v2 :: v_dual_bitop2_b32 v0, 7, v24 bitop3:0x40
	s_mov_b32 s20, exec_lo
	v_cmpx_gt_u32_e32 8, v2
; %bb.29:                               ;   in Loop: Header=BB272_9 Depth=1
	s_delay_alu instid0(VALU_DEP_2) | instskip(NEXT) | instid1(VALU_DEP_1)
	v_clz_i32_u32_e32 v0, v0
	v_min_u32_e32 v2, 32, v0
	s_delay_alu instid0(VALU_DEP_1) | instskip(NEXT) | instid1(VALU_DEP_1)
	v_subrev_nc_u32_e32 v0, 28, v2
	v_lshlrev_b64_e32 v[0:1], v0, v[24:25]
	s_delay_alu instid0(VALU_DEP_1)
	v_dual_sub_nc_u32 v1, 29, v2 :: v_dual_bitop2_b32 v0, 7, v0 bitop3:0x40
; %bb.30:                               ;   in Loop: Header=BB272_9 Depth=1
	s_or_b32 exec_lo, exec_lo, s20
	v_lshlrev_b32_e32 v2, 8, v24
	s_delay_alu instid0(VALU_DEP_2) | instskip(NEXT) | instid1(VALU_DEP_3)
	v_lshl_add_u32 v1, v1, 10, 0x2000
	v_lshlrev_b32_e32 v0, 7, v0
	s_delay_alu instid0(VALU_DEP_3) | instskip(NEXT) | instid1(VALU_DEP_3)
	v_and_b32_e32 v2, 0x8000, v2
	v_and_b32_e32 v1, 0xfc00, v1
	s_delay_alu instid0(VALU_DEP_1)
	v_or3_b32 v0, v2, v1, v0
.LBB272_31:                             ;   in Loop: Header=BB272_9 Depth=1
	s_or_b32 exec_lo, exec_lo, s19
.LBB272_32:                             ;   in Loop: Header=BB272_9 Depth=1
	s_delay_alu instid0(SALU_CYCLE_1)
	s_or_b32 exec_lo, exec_lo, s18
	scratch_store_b32 off, v0, s32 offset:200 ; 4-byte Folded Spill
.LBB272_33:                             ;   in Loop: Header=BB272_9 Depth=1
	s_wait_xcnt 0x0
	s_or_b32 exec_lo, exec_lo, s17
	s_delay_alu instid0(SALU_CYCLE_1)
	s_mov_b32 s17, exec_lo
	v_cmpx_lt_u32_e32 0xffffff, v8
	s_cbranch_execz .LBB272_41
; %bb.34:                               ;   in Loop: Header=BB272_9 Depth=1
	v_lshrrev_b32_e32 v24, 24, v8
	v_bfrev_b32_e32 v99, 1
	s_mov_b32 s18, exec_lo
	s_delay_alu instid0(VALU_DEP_2)
	v_cmpx_ne_u32_e32 0x80, v24
	s_cbranch_execz .LBB272_40
; %bb.35:                               ;   in Loop: Header=BB272_9 Depth=1
	v_and_b32_e32 v2, 0x7f, v24
	v_mov_b32_e32 v99, 0x7c010000
	s_mov_b32 s19, exec_lo
	s_delay_alu instid0(VALU_DEP_2)
	v_cmpx_ne_u32_e32 0x7f, v2
	s_cbranch_execz .LBB272_39
; %bb.36:                               ;   in Loop: Header=BB272_9 Depth=1
	v_dual_lshrrev_b32 v1, 3, v2 :: v_dual_bitop2_b32 v0, 7, v24 bitop3:0x40
	s_mov_b32 s20, exec_lo
	v_cmpx_gt_u32_e32 8, v2
; %bb.37:                               ;   in Loop: Header=BB272_9 Depth=1
	s_delay_alu instid0(VALU_DEP_2) | instskip(NEXT) | instid1(VALU_DEP_1)
	v_clz_i32_u32_e32 v0, v0
	v_min_u32_e32 v2, 32, v0
	s_delay_alu instid0(VALU_DEP_1) | instskip(NEXT) | instid1(VALU_DEP_1)
	v_subrev_nc_u32_e32 v0, 28, v2
	v_lshlrev_b64_e32 v[0:1], v0, v[24:25]
	s_delay_alu instid0(VALU_DEP_1)
	v_dual_sub_nc_u32 v1, 29, v2 :: v_dual_bitop2_b32 v0, 7, v0 bitop3:0x40
; %bb.38:                               ;   in Loop: Header=BB272_9 Depth=1
	s_or_b32 exec_lo, exec_lo, s20
	v_lshlrev_b32_e32 v2, 8, v24
	s_delay_alu instid0(VALU_DEP_2) | instskip(NEXT) | instid1(VALU_DEP_3)
	v_lshl_add_u32 v1, v1, 10, 0x2000
	v_lshlrev_b32_e32 v0, 23, v0
	s_delay_alu instid0(VALU_DEP_2) | instskip(NEXT) | instid1(VALU_DEP_1)
	v_and_or_b32 v1, 0x8000, v2, v1
	v_lshl_or_b32 v99, v1, 16, v0
.LBB272_39:                             ;   in Loop: Header=BB272_9 Depth=1
	s_or_b32 exec_lo, exec_lo, s19
.LBB272_40:                             ;   in Loop: Header=BB272_9 Depth=1
	s_delay_alu instid0(SALU_CYCLE_1)
	s_or_b32 exec_lo, exec_lo, s18
.LBB272_41:                             ;   in Loop: Header=BB272_9 Depth=1
	s_delay_alu instid0(SALU_CYCLE_1)
	s_or_b32 exec_lo, exec_lo, s17
	flat_load_b32 v8, v[28:29] offset:8
	v_dual_mov_b32 v49, 0 :: v_dual_mov_b32 v1, 0
	s_mov_b32 s17, exec_lo
	scratch_store_b32 off, v1, s32 offset:204 ; 4-byte Folded Spill
	s_wait_loadcnt_dscnt 0x0
	v_and_b32_e32 v0, 0xff, v8
	s_wait_xcnt 0x0
	s_delay_alu instid0(VALU_DEP_1)
	v_cmpx_ne_u16_e32 0, v0
	s_cbranch_execz .LBB272_49
; %bb.42:                               ;   in Loop: Header=BB272_9 Depth=1
	v_cmp_ne_u16_e64 s3, 0x80, v0
	v_mov_b32_e32 v0, 0x8000
	s_and_saveexec_b32 s18, s3
	s_cbranch_execz .LBB272_48
; %bb.43:                               ;   in Loop: Header=BB272_9 Depth=1
	v_and_b32_e32 v2, 0x7f, v8
	v_mov_b32_e32 v0, 0x7c01
	s_mov_b32 s19, exec_lo
	s_delay_alu instid0(VALU_DEP_2)
	v_cmpx_ne_u32_e32 0x7f, v2
	s_cbranch_execz .LBB272_47
; %bb.44:                               ;   in Loop: Header=BB272_9 Depth=1
	v_dual_lshrrev_b32 v1, 3, v2 :: v_dual_bitop2_b32 v0, 7, v8 bitop3:0x40
	s_mov_b32 s20, exec_lo
	v_cmpx_gt_u32_e32 8, v2
; %bb.45:                               ;   in Loop: Header=BB272_9 Depth=1
	s_delay_alu instid0(VALU_DEP_2) | instskip(NEXT) | instid1(VALU_DEP_1)
	v_clz_i32_u32_e32 v0, v0
	v_min_u32_e32 v2, 32, v0
	s_delay_alu instid0(VALU_DEP_1) | instskip(NEXT) | instid1(VALU_DEP_1)
	v_subrev_nc_u32_e32 v0, 28, v2
	v_lshlrev_b64_e32 v[0:1], v0, v[8:9]
	s_delay_alu instid0(VALU_DEP_1)
	v_dual_sub_nc_u32 v1, 29, v2 :: v_dual_bitop2_b32 v0, 7, v0 bitop3:0x40
; %bb.46:                               ;   in Loop: Header=BB272_9 Depth=1
	s_or_b32 exec_lo, exec_lo, s20
	v_lshlrev_b32_e32 v2, 8, v8
	s_delay_alu instid0(VALU_DEP_2) | instskip(NEXT) | instid1(VALU_DEP_3)
	v_lshl_add_u32 v1, v1, 10, 0x2000
	v_lshlrev_b32_e32 v0, 7, v0
	s_delay_alu instid0(VALU_DEP_3) | instskip(NEXT) | instid1(VALU_DEP_3)
	v_and_b32_e32 v2, 0x8000, v2
	v_and_b32_e32 v1, 0xfc00, v1
	s_delay_alu instid0(VALU_DEP_1)
	v_or3_b32 v0, v2, v1, v0
.LBB272_47:                             ;   in Loop: Header=BB272_9 Depth=1
	s_or_b32 exec_lo, exec_lo, s19
.LBB272_48:                             ;   in Loop: Header=BB272_9 Depth=1
	s_delay_alu instid0(SALU_CYCLE_1)
	s_or_b32 exec_lo, exec_lo, s18
	scratch_store_b32 off, v0, s32 offset:204 ; 4-byte Folded Spill
.LBB272_49:                             ;   in Loop: Header=BB272_9 Depth=1
	s_wait_xcnt 0x0
	s_or_b32 exec_lo, exec_lo, s17
	v_lshrrev_b16 v24, 8, v8
	s_mov_b32 s17, exec_lo
	s_delay_alu instid0(VALU_DEP_1)
	v_cmpx_ne_u16_e32 0, v24
	s_cbranch_execz .LBB272_57
; %bb.50:                               ;   in Loop: Header=BB272_9 Depth=1
	v_bfrev_b32_e32 v49, 1
	s_mov_b32 s18, exec_lo
	v_cmpx_ne_u16_e32 0x80, v24
	s_cbranch_execz .LBB272_56
; %bb.51:                               ;   in Loop: Header=BB272_9 Depth=1
	v_and_b32_e32 v0, 0xffff, v24
	v_mov_b32_e32 v49, 0x7c010000
	s_mov_b32 s19, exec_lo
	s_delay_alu instid0(VALU_DEP_2) | instskip(NEXT) | instid1(VALU_DEP_1)
	v_and_b32_e32 v3, 0x7f, v0
	v_cmpx_ne_u32_e32 0x7f, v3
	s_cbranch_execz .LBB272_55
; %bb.52:                               ;   in Loop: Header=BB272_9 Depth=1
	v_dual_lshrrev_b32 v2, 3, v3 :: v_dual_bitop2_b32 v1, 7, v0 bitop3:0x40
	s_mov_b32 s20, exec_lo
	v_cmpx_gt_u32_e32 8, v3
; %bb.53:                               ;   in Loop: Header=BB272_9 Depth=1
	s_delay_alu instid0(VALU_DEP_2) | instskip(NEXT) | instid1(VALU_DEP_1)
	v_clz_i32_u32_e32 v1, v1
	v_min_u32_e32 v1, 32, v1
	s_delay_alu instid0(VALU_DEP_1) | instskip(NEXT) | instid1(VALU_DEP_1)
	v_subrev_nc_u32_e32 v2, 28, v1
	v_lshlrev_b64_e32 v[4:5], v2, v[24:25]
	s_delay_alu instid0(VALU_DEP_1)
	v_dual_sub_nc_u32 v2, 29, v1 :: v_dual_bitop2_b32 v1, 7, v4 bitop3:0x40
; %bb.54:                               ;   in Loop: Header=BB272_9 Depth=1
	s_or_b32 exec_lo, exec_lo, s20
	s_delay_alu instid0(VALU_DEP_1) | instskip(NEXT) | instid1(VALU_DEP_2)
	v_dual_lshlrev_b32 v0, 8, v0 :: v_dual_lshlrev_b32 v1, 23, v1
	v_lshl_add_u32 v2, v2, 10, 0x2000
	s_delay_alu instid0(VALU_DEP_1) | instskip(NEXT) | instid1(VALU_DEP_1)
	v_and_or_b32 v0, 0x8000, v0, v2
	v_lshl_or_b32 v49, v0, 16, v1
.LBB272_55:                             ;   in Loop: Header=BB272_9 Depth=1
	s_or_b32 exec_lo, exec_lo, s19
.LBB272_56:                             ;   in Loop: Header=BB272_9 Depth=1
	s_delay_alu instid0(SALU_CYCLE_1)
	s_or_b32 exec_lo, exec_lo, s18
.LBB272_57:                             ;   in Loop: Header=BB272_9 Depth=1
	s_delay_alu instid0(SALU_CYCLE_1) | instskip(SKIP_3) | instid1(VALU_DEP_2)
	s_or_b32 exec_lo, exec_lo, s17
	v_dual_mov_b32 v33, 0 :: v_dual_lshrrev_b32 v24, 16, v8
	v_mov_b32_e32 v1, 0
	s_mov_b32 s17, exec_lo
	v_and_b32_e32 v0, 0xff, v24
	scratch_store_b32 off, v1, s32 offset:208 ; 4-byte Folded Spill
	s_wait_xcnt 0x0
	v_cmpx_ne_u16_e32 0, v0
	s_cbranch_execz .LBB272_65
; %bb.58:                               ;   in Loop: Header=BB272_9 Depth=1
	v_cmp_ne_u16_e64 s3, 0x80, v0
	v_mov_b32_e32 v0, 0x8000
	s_and_saveexec_b32 s18, s3
	s_cbranch_execz .LBB272_64
; %bb.59:                               ;   in Loop: Header=BB272_9 Depth=1
	v_bfe_u32 v2, v8, 16, 7
	v_mov_b32_e32 v0, 0x7c01
	s_mov_b32 s19, exec_lo
	s_delay_alu instid0(VALU_DEP_2)
	v_cmpx_ne_u32_e32 0x7f, v2
	s_cbranch_execz .LBB272_63
; %bb.60:                               ;   in Loop: Header=BB272_9 Depth=1
	v_dual_lshrrev_b32 v1, 3, v2 :: v_dual_bitop2_b32 v0, 7, v24 bitop3:0x40
	s_mov_b32 s20, exec_lo
	v_cmpx_gt_u32_e32 8, v2
; %bb.61:                               ;   in Loop: Header=BB272_9 Depth=1
	s_delay_alu instid0(VALU_DEP_2) | instskip(NEXT) | instid1(VALU_DEP_1)
	v_clz_i32_u32_e32 v0, v0
	v_min_u32_e32 v2, 32, v0
	s_delay_alu instid0(VALU_DEP_1) | instskip(NEXT) | instid1(VALU_DEP_1)
	v_subrev_nc_u32_e32 v0, 28, v2
	v_lshlrev_b64_e32 v[0:1], v0, v[24:25]
	s_delay_alu instid0(VALU_DEP_1)
	v_dual_sub_nc_u32 v1, 29, v2 :: v_dual_bitop2_b32 v0, 7, v0 bitop3:0x40
; %bb.62:                               ;   in Loop: Header=BB272_9 Depth=1
	s_or_b32 exec_lo, exec_lo, s20
	v_lshlrev_b32_e32 v2, 8, v24
	s_delay_alu instid0(VALU_DEP_2) | instskip(NEXT) | instid1(VALU_DEP_3)
	v_lshl_add_u32 v1, v1, 10, 0x2000
	v_lshlrev_b32_e32 v0, 7, v0
	s_delay_alu instid0(VALU_DEP_3) | instskip(NEXT) | instid1(VALU_DEP_3)
	v_and_b32_e32 v2, 0x8000, v2
	v_and_b32_e32 v1, 0xfc00, v1
	s_delay_alu instid0(VALU_DEP_1)
	v_or3_b32 v0, v2, v1, v0
.LBB272_63:                             ;   in Loop: Header=BB272_9 Depth=1
	s_or_b32 exec_lo, exec_lo, s19
.LBB272_64:                             ;   in Loop: Header=BB272_9 Depth=1
	s_delay_alu instid0(SALU_CYCLE_1)
	s_or_b32 exec_lo, exec_lo, s18
	scratch_store_b32 off, v0, s32 offset:208 ; 4-byte Folded Spill
.LBB272_65:                             ;   in Loop: Header=BB272_9 Depth=1
	s_wait_xcnt 0x0
	s_or_b32 exec_lo, exec_lo, s17
	s_delay_alu instid0(SALU_CYCLE_1)
	s_mov_b32 s17, exec_lo
	v_cmpx_lt_u32_e32 0xffffff, v8
	s_cbranch_execz .LBB272_73
; %bb.66:                               ;   in Loop: Header=BB272_9 Depth=1
	v_lshrrev_b32_e32 v24, 24, v8
	v_bfrev_b32_e32 v33, 1
	s_mov_b32 s18, exec_lo
	s_delay_alu instid0(VALU_DEP_2)
	v_cmpx_ne_u32_e32 0x80, v24
	s_cbranch_execz .LBB272_72
; %bb.67:                               ;   in Loop: Header=BB272_9 Depth=1
	v_and_b32_e32 v2, 0x7f, v24
	v_mov_b32_e32 v33, 0x7c010000
	s_mov_b32 s19, exec_lo
	s_delay_alu instid0(VALU_DEP_2)
	v_cmpx_ne_u32_e32 0x7f, v2
	s_cbranch_execz .LBB272_71
; %bb.68:                               ;   in Loop: Header=BB272_9 Depth=1
	v_dual_lshrrev_b32 v1, 3, v2 :: v_dual_bitop2_b32 v0, 7, v24 bitop3:0x40
	s_mov_b32 s20, exec_lo
	v_cmpx_gt_u32_e32 8, v2
; %bb.69:                               ;   in Loop: Header=BB272_9 Depth=1
	s_delay_alu instid0(VALU_DEP_2) | instskip(NEXT) | instid1(VALU_DEP_1)
	v_clz_i32_u32_e32 v0, v0
	v_min_u32_e32 v2, 32, v0
	s_delay_alu instid0(VALU_DEP_1) | instskip(NEXT) | instid1(VALU_DEP_1)
	v_subrev_nc_u32_e32 v0, 28, v2
	v_lshlrev_b64_e32 v[0:1], v0, v[24:25]
	s_delay_alu instid0(VALU_DEP_1)
	v_dual_sub_nc_u32 v1, 29, v2 :: v_dual_bitop2_b32 v0, 7, v0 bitop3:0x40
; %bb.70:                               ;   in Loop: Header=BB272_9 Depth=1
	s_or_b32 exec_lo, exec_lo, s20
	v_lshlrev_b32_e32 v2, 8, v24
	s_delay_alu instid0(VALU_DEP_2) | instskip(NEXT) | instid1(VALU_DEP_3)
	v_lshl_add_u32 v1, v1, 10, 0x2000
	v_lshlrev_b32_e32 v0, 23, v0
	s_delay_alu instid0(VALU_DEP_2) | instskip(NEXT) | instid1(VALU_DEP_1)
	v_and_or_b32 v1, 0x8000, v2, v1
	v_lshl_or_b32 v33, v1, 16, v0
.LBB272_71:                             ;   in Loop: Header=BB272_9 Depth=1
	s_or_b32 exec_lo, exec_lo, s19
.LBB272_72:                             ;   in Loop: Header=BB272_9 Depth=1
	s_delay_alu instid0(SALU_CYCLE_1)
	s_or_b32 exec_lo, exec_lo, s18
.LBB272_73:                             ;   in Loop: Header=BB272_9 Depth=1
	s_delay_alu instid0(SALU_CYCLE_1)
	s_or_b32 exec_lo, exec_lo, s17
	flat_load_b32 v8, v[28:29] offset:256
	v_dual_mov_b32 v66, 0 :: v_dual_mov_b32 v1, 0
	s_mov_b32 s17, exec_lo
	scratch_store_b32 off, v1, s32 offset:212 ; 4-byte Folded Spill
	s_wait_loadcnt_dscnt 0x0
	v_and_b32_e32 v0, 0xff, v8
	s_wait_xcnt 0x0
	s_delay_alu instid0(VALU_DEP_1)
	v_cmpx_ne_u16_e32 0, v0
	s_cbranch_execz .LBB272_81
; %bb.74:                               ;   in Loop: Header=BB272_9 Depth=1
	v_cmp_ne_u16_e64 s3, 0x80, v0
	v_mov_b32_e32 v0, 0x8000
	s_and_saveexec_b32 s18, s3
	s_cbranch_execz .LBB272_80
; %bb.75:                               ;   in Loop: Header=BB272_9 Depth=1
	v_and_b32_e32 v2, 0x7f, v8
	v_mov_b32_e32 v0, 0x7c01
	s_mov_b32 s19, exec_lo
	s_delay_alu instid0(VALU_DEP_2)
	v_cmpx_ne_u32_e32 0x7f, v2
	s_cbranch_execz .LBB272_79
; %bb.76:                               ;   in Loop: Header=BB272_9 Depth=1
	v_dual_lshrrev_b32 v1, 3, v2 :: v_dual_bitop2_b32 v0, 7, v8 bitop3:0x40
	s_mov_b32 s20, exec_lo
	v_cmpx_gt_u32_e32 8, v2
; %bb.77:                               ;   in Loop: Header=BB272_9 Depth=1
	s_delay_alu instid0(VALU_DEP_2) | instskip(NEXT) | instid1(VALU_DEP_1)
	v_clz_i32_u32_e32 v0, v0
	v_min_u32_e32 v2, 32, v0
	s_delay_alu instid0(VALU_DEP_1) | instskip(NEXT) | instid1(VALU_DEP_1)
	v_subrev_nc_u32_e32 v0, 28, v2
	v_lshlrev_b64_e32 v[0:1], v0, v[8:9]
	s_delay_alu instid0(VALU_DEP_1)
	v_dual_sub_nc_u32 v1, 29, v2 :: v_dual_bitop2_b32 v0, 7, v0 bitop3:0x40
; %bb.78:                               ;   in Loop: Header=BB272_9 Depth=1
	s_or_b32 exec_lo, exec_lo, s20
	v_lshlrev_b32_e32 v2, 8, v8
	s_delay_alu instid0(VALU_DEP_2) | instskip(NEXT) | instid1(VALU_DEP_3)
	v_lshl_add_u32 v1, v1, 10, 0x2000
	v_lshlrev_b32_e32 v0, 7, v0
	s_delay_alu instid0(VALU_DEP_3) | instskip(NEXT) | instid1(VALU_DEP_3)
	v_and_b32_e32 v2, 0x8000, v2
	v_and_b32_e32 v1, 0xfc00, v1
	s_delay_alu instid0(VALU_DEP_1)
	v_or3_b32 v0, v2, v1, v0
.LBB272_79:                             ;   in Loop: Header=BB272_9 Depth=1
	s_or_b32 exec_lo, exec_lo, s19
.LBB272_80:                             ;   in Loop: Header=BB272_9 Depth=1
	s_delay_alu instid0(SALU_CYCLE_1)
	s_or_b32 exec_lo, exec_lo, s18
	scratch_store_b32 off, v0, s32 offset:212 ; 4-byte Folded Spill
.LBB272_81:                             ;   in Loop: Header=BB272_9 Depth=1
	s_wait_xcnt 0x0
	s_or_b32 exec_lo, exec_lo, s17
	v_lshrrev_b16 v24, 8, v8
	s_mov_b32 s17, exec_lo
	s_delay_alu instid0(VALU_DEP_1)
	v_cmpx_ne_u16_e32 0, v24
	s_cbranch_execz .LBB272_89
; %bb.82:                               ;   in Loop: Header=BB272_9 Depth=1
	v_bfrev_b32_e32 v66, 1
	s_mov_b32 s18, exec_lo
	v_cmpx_ne_u16_e32 0x80, v24
	s_cbranch_execz .LBB272_88
; %bb.83:                               ;   in Loop: Header=BB272_9 Depth=1
	v_and_b32_e32 v0, 0xffff, v24
	v_mov_b32_e32 v66, 0x7c010000
	s_mov_b32 s19, exec_lo
	s_delay_alu instid0(VALU_DEP_2) | instskip(NEXT) | instid1(VALU_DEP_1)
	v_and_b32_e32 v3, 0x7f, v0
	v_cmpx_ne_u32_e32 0x7f, v3
	s_cbranch_execz .LBB272_87
; %bb.84:                               ;   in Loop: Header=BB272_9 Depth=1
	v_dual_lshrrev_b32 v2, 3, v3 :: v_dual_bitop2_b32 v1, 7, v0 bitop3:0x40
	s_mov_b32 s20, exec_lo
	v_cmpx_gt_u32_e32 8, v3
; %bb.85:                               ;   in Loop: Header=BB272_9 Depth=1
	s_delay_alu instid0(VALU_DEP_2) | instskip(NEXT) | instid1(VALU_DEP_1)
	v_clz_i32_u32_e32 v1, v1
	v_min_u32_e32 v1, 32, v1
	s_delay_alu instid0(VALU_DEP_1) | instskip(NEXT) | instid1(VALU_DEP_1)
	v_subrev_nc_u32_e32 v2, 28, v1
	v_lshlrev_b64_e32 v[4:5], v2, v[24:25]
	s_delay_alu instid0(VALU_DEP_1)
	v_dual_sub_nc_u32 v2, 29, v1 :: v_dual_bitop2_b32 v1, 7, v4 bitop3:0x40
; %bb.86:                               ;   in Loop: Header=BB272_9 Depth=1
	s_or_b32 exec_lo, exec_lo, s20
	s_delay_alu instid0(VALU_DEP_1) | instskip(NEXT) | instid1(VALU_DEP_2)
	v_dual_lshlrev_b32 v0, 8, v0 :: v_dual_lshlrev_b32 v1, 23, v1
	v_lshl_add_u32 v2, v2, 10, 0x2000
	s_delay_alu instid0(VALU_DEP_1) | instskip(NEXT) | instid1(VALU_DEP_1)
	v_and_or_b32 v0, 0x8000, v0, v2
	v_lshl_or_b32 v66, v0, 16, v1
.LBB272_87:                             ;   in Loop: Header=BB272_9 Depth=1
	s_or_b32 exec_lo, exec_lo, s19
.LBB272_88:                             ;   in Loop: Header=BB272_9 Depth=1
	s_delay_alu instid0(SALU_CYCLE_1)
	s_or_b32 exec_lo, exec_lo, s18
.LBB272_89:                             ;   in Loop: Header=BB272_9 Depth=1
	s_delay_alu instid0(SALU_CYCLE_1) | instskip(SKIP_3) | instid1(VALU_DEP_2)
	s_or_b32 exec_lo, exec_lo, s17
	v_dual_lshrrev_b32 v24, 16, v8 :: v_dual_mov_b32 v68, 0
	v_mov_b32_e32 v1, 0
	s_mov_b32 s17, exec_lo
	v_and_b32_e32 v0, 0xff, v24
	scratch_store_b32 off, v1, s32 offset:216 ; 4-byte Folded Spill
	s_wait_xcnt 0x0
	v_cmpx_ne_u16_e32 0, v0
	s_cbranch_execz .LBB272_97
; %bb.90:                               ;   in Loop: Header=BB272_9 Depth=1
	v_cmp_ne_u16_e64 s3, 0x80, v0
	v_mov_b32_e32 v0, 0x8000
	s_and_saveexec_b32 s18, s3
	s_cbranch_execz .LBB272_96
; %bb.91:                               ;   in Loop: Header=BB272_9 Depth=1
	v_bfe_u32 v2, v8, 16, 7
	v_mov_b32_e32 v0, 0x7c01
	s_mov_b32 s19, exec_lo
	s_delay_alu instid0(VALU_DEP_2)
	v_cmpx_ne_u32_e32 0x7f, v2
	s_cbranch_execz .LBB272_95
; %bb.92:                               ;   in Loop: Header=BB272_9 Depth=1
	v_dual_lshrrev_b32 v1, 3, v2 :: v_dual_bitop2_b32 v0, 7, v24 bitop3:0x40
	s_mov_b32 s20, exec_lo
	v_cmpx_gt_u32_e32 8, v2
; %bb.93:                               ;   in Loop: Header=BB272_9 Depth=1
	s_delay_alu instid0(VALU_DEP_2) | instskip(NEXT) | instid1(VALU_DEP_1)
	v_clz_i32_u32_e32 v0, v0
	v_min_u32_e32 v2, 32, v0
	s_delay_alu instid0(VALU_DEP_1) | instskip(NEXT) | instid1(VALU_DEP_1)
	v_subrev_nc_u32_e32 v0, 28, v2
	v_lshlrev_b64_e32 v[0:1], v0, v[24:25]
	s_delay_alu instid0(VALU_DEP_1)
	v_dual_sub_nc_u32 v1, 29, v2 :: v_dual_bitop2_b32 v0, 7, v0 bitop3:0x40
; %bb.94:                               ;   in Loop: Header=BB272_9 Depth=1
	s_or_b32 exec_lo, exec_lo, s20
	v_lshlrev_b32_e32 v2, 8, v24
	s_delay_alu instid0(VALU_DEP_2) | instskip(NEXT) | instid1(VALU_DEP_3)
	v_lshl_add_u32 v1, v1, 10, 0x2000
	v_lshlrev_b32_e32 v0, 7, v0
	s_delay_alu instid0(VALU_DEP_3) | instskip(NEXT) | instid1(VALU_DEP_3)
	v_and_b32_e32 v2, 0x8000, v2
	v_and_b32_e32 v1, 0xfc00, v1
	s_delay_alu instid0(VALU_DEP_1)
	v_or3_b32 v0, v2, v1, v0
.LBB272_95:                             ;   in Loop: Header=BB272_9 Depth=1
	s_or_b32 exec_lo, exec_lo, s19
.LBB272_96:                             ;   in Loop: Header=BB272_9 Depth=1
	s_delay_alu instid0(SALU_CYCLE_1)
	s_or_b32 exec_lo, exec_lo, s18
	scratch_store_b32 off, v0, s32 offset:216 ; 4-byte Folded Spill
.LBB272_97:                             ;   in Loop: Header=BB272_9 Depth=1
	s_wait_xcnt 0x0
	s_or_b32 exec_lo, exec_lo, s17
	s_delay_alu instid0(SALU_CYCLE_1)
	s_mov_b32 s17, exec_lo
	v_cmpx_lt_u32_e32 0xffffff, v8
	s_cbranch_execz .LBB272_105
; %bb.98:                               ;   in Loop: Header=BB272_9 Depth=1
	v_lshrrev_b32_e32 v24, 24, v8
	v_bfrev_b32_e32 v68, 1
	s_mov_b32 s18, exec_lo
	s_delay_alu instid0(VALU_DEP_2)
	v_cmpx_ne_u32_e32 0x80, v24
	s_cbranch_execz .LBB272_104
; %bb.99:                               ;   in Loop: Header=BB272_9 Depth=1
	v_and_b32_e32 v2, 0x7f, v24
	v_mov_b32_e32 v68, 0x7c010000
	s_mov_b32 s19, exec_lo
	s_delay_alu instid0(VALU_DEP_2)
	v_cmpx_ne_u32_e32 0x7f, v2
	s_cbranch_execz .LBB272_103
; %bb.100:                              ;   in Loop: Header=BB272_9 Depth=1
	v_dual_lshrrev_b32 v1, 3, v2 :: v_dual_bitop2_b32 v0, 7, v24 bitop3:0x40
	s_mov_b32 s20, exec_lo
	v_cmpx_gt_u32_e32 8, v2
; %bb.101:                              ;   in Loop: Header=BB272_9 Depth=1
	s_delay_alu instid0(VALU_DEP_2) | instskip(NEXT) | instid1(VALU_DEP_1)
	v_clz_i32_u32_e32 v0, v0
	v_min_u32_e32 v2, 32, v0
	s_delay_alu instid0(VALU_DEP_1) | instskip(NEXT) | instid1(VALU_DEP_1)
	v_subrev_nc_u32_e32 v0, 28, v2
	v_lshlrev_b64_e32 v[0:1], v0, v[24:25]
	s_delay_alu instid0(VALU_DEP_1)
	v_dual_sub_nc_u32 v1, 29, v2 :: v_dual_bitop2_b32 v0, 7, v0 bitop3:0x40
; %bb.102:                              ;   in Loop: Header=BB272_9 Depth=1
	s_or_b32 exec_lo, exec_lo, s20
	v_lshlrev_b32_e32 v2, 8, v24
	s_delay_alu instid0(VALU_DEP_2) | instskip(NEXT) | instid1(VALU_DEP_3)
	v_lshl_add_u32 v1, v1, 10, 0x2000
	v_lshlrev_b32_e32 v0, 23, v0
	s_delay_alu instid0(VALU_DEP_2) | instskip(NEXT) | instid1(VALU_DEP_1)
	v_and_or_b32 v1, 0x8000, v2, v1
	v_lshl_or_b32 v68, v1, 16, v0
.LBB272_103:                            ;   in Loop: Header=BB272_9 Depth=1
	s_or_b32 exec_lo, exec_lo, s19
.LBB272_104:                            ;   in Loop: Header=BB272_9 Depth=1
	s_delay_alu instid0(SALU_CYCLE_1)
	s_or_b32 exec_lo, exec_lo, s18
.LBB272_105:                            ;   in Loop: Header=BB272_9 Depth=1
	s_delay_alu instid0(SALU_CYCLE_1)
	s_or_b32 exec_lo, exec_lo, s17
	flat_load_b32 v8, v[28:29] offset:264
	v_dual_mov_b32 v70, 0 :: v_dual_mov_b32 v1, 0
	s_mov_b32 s17, exec_lo
	scratch_store_b32 off, v1, s32 offset:220 ; 4-byte Folded Spill
	s_wait_loadcnt_dscnt 0x0
	v_and_b32_e32 v0, 0xff, v8
	s_wait_xcnt 0x0
	s_delay_alu instid0(VALU_DEP_1)
	v_cmpx_ne_u16_e32 0, v0
	s_cbranch_execz .LBB272_113
; %bb.106:                              ;   in Loop: Header=BB272_9 Depth=1
	v_cmp_ne_u16_e64 s3, 0x80, v0
	v_mov_b32_e32 v0, 0x8000
	s_and_saveexec_b32 s18, s3
	s_cbranch_execz .LBB272_112
; %bb.107:                              ;   in Loop: Header=BB272_9 Depth=1
	v_and_b32_e32 v2, 0x7f, v8
	v_mov_b32_e32 v0, 0x7c01
	s_mov_b32 s19, exec_lo
	s_delay_alu instid0(VALU_DEP_2)
	v_cmpx_ne_u32_e32 0x7f, v2
	s_cbranch_execz .LBB272_111
; %bb.108:                              ;   in Loop: Header=BB272_9 Depth=1
	v_dual_lshrrev_b32 v1, 3, v2 :: v_dual_bitop2_b32 v0, 7, v8 bitop3:0x40
	s_mov_b32 s20, exec_lo
	v_cmpx_gt_u32_e32 8, v2
; %bb.109:                              ;   in Loop: Header=BB272_9 Depth=1
	s_delay_alu instid0(VALU_DEP_2) | instskip(NEXT) | instid1(VALU_DEP_1)
	v_clz_i32_u32_e32 v0, v0
	v_min_u32_e32 v2, 32, v0
	s_delay_alu instid0(VALU_DEP_1) | instskip(NEXT) | instid1(VALU_DEP_1)
	v_subrev_nc_u32_e32 v0, 28, v2
	v_lshlrev_b64_e32 v[0:1], v0, v[8:9]
	s_delay_alu instid0(VALU_DEP_1)
	v_dual_sub_nc_u32 v1, 29, v2 :: v_dual_bitop2_b32 v0, 7, v0 bitop3:0x40
; %bb.110:                              ;   in Loop: Header=BB272_9 Depth=1
	s_or_b32 exec_lo, exec_lo, s20
	v_lshlrev_b32_e32 v2, 8, v8
	s_delay_alu instid0(VALU_DEP_2) | instskip(NEXT) | instid1(VALU_DEP_3)
	v_lshl_add_u32 v1, v1, 10, 0x2000
	v_lshlrev_b32_e32 v0, 7, v0
	s_delay_alu instid0(VALU_DEP_3) | instskip(NEXT) | instid1(VALU_DEP_3)
	v_and_b32_e32 v2, 0x8000, v2
	v_and_b32_e32 v1, 0xfc00, v1
	s_delay_alu instid0(VALU_DEP_1)
	v_or3_b32 v0, v2, v1, v0
.LBB272_111:                            ;   in Loop: Header=BB272_9 Depth=1
	s_or_b32 exec_lo, exec_lo, s19
.LBB272_112:                            ;   in Loop: Header=BB272_9 Depth=1
	s_delay_alu instid0(SALU_CYCLE_1)
	s_or_b32 exec_lo, exec_lo, s18
	scratch_store_b32 off, v0, s32 offset:220 ; 4-byte Folded Spill
.LBB272_113:                            ;   in Loop: Header=BB272_9 Depth=1
	s_wait_xcnt 0x0
	s_or_b32 exec_lo, exec_lo, s17
	v_lshrrev_b16 v24, 8, v8
	s_mov_b32 s17, exec_lo
	s_delay_alu instid0(VALU_DEP_1)
	v_cmpx_ne_u16_e32 0, v24
	s_cbranch_execz .LBB272_121
; %bb.114:                              ;   in Loop: Header=BB272_9 Depth=1
	v_bfrev_b32_e32 v70, 1
	s_mov_b32 s18, exec_lo
	v_cmpx_ne_u16_e32 0x80, v24
	s_cbranch_execz .LBB272_120
; %bb.115:                              ;   in Loop: Header=BB272_9 Depth=1
	v_and_b32_e32 v0, 0xffff, v24
	v_mov_b32_e32 v70, 0x7c010000
	s_mov_b32 s19, exec_lo
	s_delay_alu instid0(VALU_DEP_2) | instskip(NEXT) | instid1(VALU_DEP_1)
	v_and_b32_e32 v3, 0x7f, v0
	v_cmpx_ne_u32_e32 0x7f, v3
	s_cbranch_execz .LBB272_119
; %bb.116:                              ;   in Loop: Header=BB272_9 Depth=1
	v_dual_lshrrev_b32 v2, 3, v3 :: v_dual_bitop2_b32 v1, 7, v0 bitop3:0x40
	s_mov_b32 s20, exec_lo
	v_cmpx_gt_u32_e32 8, v3
; %bb.117:                              ;   in Loop: Header=BB272_9 Depth=1
	s_delay_alu instid0(VALU_DEP_2) | instskip(NEXT) | instid1(VALU_DEP_1)
	v_clz_i32_u32_e32 v1, v1
	v_min_u32_e32 v1, 32, v1
	s_delay_alu instid0(VALU_DEP_1) | instskip(NEXT) | instid1(VALU_DEP_1)
	v_subrev_nc_u32_e32 v2, 28, v1
	v_lshlrev_b64_e32 v[4:5], v2, v[24:25]
	s_delay_alu instid0(VALU_DEP_1)
	v_dual_sub_nc_u32 v2, 29, v1 :: v_dual_bitop2_b32 v1, 7, v4 bitop3:0x40
; %bb.118:                              ;   in Loop: Header=BB272_9 Depth=1
	s_or_b32 exec_lo, exec_lo, s20
	s_delay_alu instid0(VALU_DEP_1) | instskip(NEXT) | instid1(VALU_DEP_2)
	v_dual_lshlrev_b32 v0, 8, v0 :: v_dual_lshlrev_b32 v1, 23, v1
	v_lshl_add_u32 v2, v2, 10, 0x2000
	s_delay_alu instid0(VALU_DEP_1) | instskip(NEXT) | instid1(VALU_DEP_1)
	v_and_or_b32 v0, 0x8000, v0, v2
	v_lshl_or_b32 v70, v0, 16, v1
.LBB272_119:                            ;   in Loop: Header=BB272_9 Depth=1
	s_or_b32 exec_lo, exec_lo, s19
.LBB272_120:                            ;   in Loop: Header=BB272_9 Depth=1
	s_delay_alu instid0(SALU_CYCLE_1)
	s_or_b32 exec_lo, exec_lo, s18
.LBB272_121:                            ;   in Loop: Header=BB272_9 Depth=1
	s_delay_alu instid0(SALU_CYCLE_1) | instskip(SKIP_3) | instid1(VALU_DEP_2)
	s_or_b32 exec_lo, exec_lo, s17
	v_dual_lshrrev_b32 v24, 16, v8 :: v_dual_mov_b32 v80, 0
	v_mov_b32_e32 v1, 0
	s_mov_b32 s17, exec_lo
	v_and_b32_e32 v0, 0xff, v24
	scratch_store_b32 off, v1, s32 offset:224 ; 4-byte Folded Spill
	s_wait_xcnt 0x0
	v_cmpx_ne_u16_e32 0, v0
	s_cbranch_execz .LBB272_129
; %bb.122:                              ;   in Loop: Header=BB272_9 Depth=1
	v_cmp_ne_u16_e64 s3, 0x80, v0
	v_mov_b32_e32 v0, 0x8000
	s_and_saveexec_b32 s18, s3
	s_cbranch_execz .LBB272_128
; %bb.123:                              ;   in Loop: Header=BB272_9 Depth=1
	v_bfe_u32 v2, v8, 16, 7
	v_mov_b32_e32 v0, 0x7c01
	s_mov_b32 s19, exec_lo
	s_delay_alu instid0(VALU_DEP_2)
	v_cmpx_ne_u32_e32 0x7f, v2
	s_cbranch_execz .LBB272_127
; %bb.124:                              ;   in Loop: Header=BB272_9 Depth=1
	v_dual_lshrrev_b32 v1, 3, v2 :: v_dual_bitop2_b32 v0, 7, v24 bitop3:0x40
	s_mov_b32 s20, exec_lo
	v_cmpx_gt_u32_e32 8, v2
; %bb.125:                              ;   in Loop: Header=BB272_9 Depth=1
	s_delay_alu instid0(VALU_DEP_2) | instskip(NEXT) | instid1(VALU_DEP_1)
	v_clz_i32_u32_e32 v0, v0
	v_min_u32_e32 v2, 32, v0
	s_delay_alu instid0(VALU_DEP_1) | instskip(NEXT) | instid1(VALU_DEP_1)
	v_subrev_nc_u32_e32 v0, 28, v2
	v_lshlrev_b64_e32 v[0:1], v0, v[24:25]
	s_delay_alu instid0(VALU_DEP_1)
	v_dual_sub_nc_u32 v1, 29, v2 :: v_dual_bitop2_b32 v0, 7, v0 bitop3:0x40
; %bb.126:                              ;   in Loop: Header=BB272_9 Depth=1
	s_or_b32 exec_lo, exec_lo, s20
	v_lshlrev_b32_e32 v2, 8, v24
	s_delay_alu instid0(VALU_DEP_2) | instskip(NEXT) | instid1(VALU_DEP_3)
	v_lshl_add_u32 v1, v1, 10, 0x2000
	v_lshlrev_b32_e32 v0, 7, v0
	s_delay_alu instid0(VALU_DEP_3) | instskip(NEXT) | instid1(VALU_DEP_3)
	v_and_b32_e32 v2, 0x8000, v2
	v_and_b32_e32 v1, 0xfc00, v1
	s_delay_alu instid0(VALU_DEP_1)
	v_or3_b32 v0, v2, v1, v0
.LBB272_127:                            ;   in Loop: Header=BB272_9 Depth=1
	s_or_b32 exec_lo, exec_lo, s19
.LBB272_128:                            ;   in Loop: Header=BB272_9 Depth=1
	s_delay_alu instid0(SALU_CYCLE_1)
	s_or_b32 exec_lo, exec_lo, s18
	scratch_store_b32 off, v0, s32 offset:224 ; 4-byte Folded Spill
.LBB272_129:                            ;   in Loop: Header=BB272_9 Depth=1
	s_wait_xcnt 0x0
	s_or_b32 exec_lo, exec_lo, s17
	s_delay_alu instid0(SALU_CYCLE_1)
	s_mov_b32 s17, exec_lo
	v_cmpx_lt_u32_e32 0xffffff, v8
	s_cbranch_execz .LBB272_137
; %bb.130:                              ;   in Loop: Header=BB272_9 Depth=1
	v_lshrrev_b32_e32 v24, 24, v8
	v_bfrev_b32_e32 v80, 1
	s_mov_b32 s18, exec_lo
	s_delay_alu instid0(VALU_DEP_2)
	v_cmpx_ne_u32_e32 0x80, v24
	s_cbranch_execz .LBB272_136
; %bb.131:                              ;   in Loop: Header=BB272_9 Depth=1
	v_and_b32_e32 v2, 0x7f, v24
	v_mov_b32_e32 v80, 0x7c010000
	s_mov_b32 s19, exec_lo
	s_delay_alu instid0(VALU_DEP_2)
	v_cmpx_ne_u32_e32 0x7f, v2
	s_cbranch_execz .LBB272_135
; %bb.132:                              ;   in Loop: Header=BB272_9 Depth=1
	v_dual_lshrrev_b32 v1, 3, v2 :: v_dual_bitop2_b32 v0, 7, v24 bitop3:0x40
	s_mov_b32 s20, exec_lo
	v_cmpx_gt_u32_e32 8, v2
; %bb.133:                              ;   in Loop: Header=BB272_9 Depth=1
	s_delay_alu instid0(VALU_DEP_2) | instskip(NEXT) | instid1(VALU_DEP_1)
	v_clz_i32_u32_e32 v0, v0
	v_min_u32_e32 v2, 32, v0
	s_delay_alu instid0(VALU_DEP_1) | instskip(NEXT) | instid1(VALU_DEP_1)
	v_subrev_nc_u32_e32 v0, 28, v2
	v_lshlrev_b64_e32 v[0:1], v0, v[24:25]
	s_delay_alu instid0(VALU_DEP_1)
	v_dual_sub_nc_u32 v1, 29, v2 :: v_dual_bitop2_b32 v0, 7, v0 bitop3:0x40
; %bb.134:                              ;   in Loop: Header=BB272_9 Depth=1
	s_or_b32 exec_lo, exec_lo, s20
	v_lshlrev_b32_e32 v2, 8, v24
	s_delay_alu instid0(VALU_DEP_2) | instskip(NEXT) | instid1(VALU_DEP_3)
	v_lshl_add_u32 v1, v1, 10, 0x2000
	v_lshlrev_b32_e32 v0, 23, v0
	s_delay_alu instid0(VALU_DEP_2) | instskip(NEXT) | instid1(VALU_DEP_1)
	v_and_or_b32 v1, 0x8000, v2, v1
	v_lshl_or_b32 v80, v1, 16, v0
.LBB272_135:                            ;   in Loop: Header=BB272_9 Depth=1
	s_or_b32 exec_lo, exec_lo, s19
.LBB272_136:                            ;   in Loop: Header=BB272_9 Depth=1
	s_delay_alu instid0(SALU_CYCLE_1)
	s_or_b32 exec_lo, exec_lo, s18
.LBB272_137:                            ;   in Loop: Header=BB272_9 Depth=1
	s_delay_alu instid0(SALU_CYCLE_1)
	s_or_b32 exec_lo, exec_lo, s17
	flat_load_b32 v8, v[28:29] offset:512
	v_dual_mov_b32 v82, 0 :: v_dual_mov_b32 v1, 0
	s_mov_b32 s17, exec_lo
	scratch_store_b32 off, v1, s32 offset:228 ; 4-byte Folded Spill
	s_wait_loadcnt_dscnt 0x0
	v_and_b32_e32 v0, 0xff, v8
	s_wait_xcnt 0x0
	s_delay_alu instid0(VALU_DEP_1)
	v_cmpx_ne_u16_e32 0, v0
	s_cbranch_execz .LBB272_145
; %bb.138:                              ;   in Loop: Header=BB272_9 Depth=1
	v_cmp_ne_u16_e64 s3, 0x80, v0
	v_mov_b32_e32 v0, 0x8000
	s_and_saveexec_b32 s18, s3
	s_cbranch_execz .LBB272_144
; %bb.139:                              ;   in Loop: Header=BB272_9 Depth=1
	v_and_b32_e32 v2, 0x7f, v8
	v_mov_b32_e32 v0, 0x7c01
	s_mov_b32 s19, exec_lo
	s_delay_alu instid0(VALU_DEP_2)
	v_cmpx_ne_u32_e32 0x7f, v2
	s_cbranch_execz .LBB272_143
; %bb.140:                              ;   in Loop: Header=BB272_9 Depth=1
	v_dual_lshrrev_b32 v1, 3, v2 :: v_dual_bitop2_b32 v0, 7, v8 bitop3:0x40
	s_mov_b32 s20, exec_lo
	v_cmpx_gt_u32_e32 8, v2
; %bb.141:                              ;   in Loop: Header=BB272_9 Depth=1
	s_delay_alu instid0(VALU_DEP_2) | instskip(NEXT) | instid1(VALU_DEP_1)
	v_clz_i32_u32_e32 v0, v0
	v_min_u32_e32 v2, 32, v0
	s_delay_alu instid0(VALU_DEP_1) | instskip(NEXT) | instid1(VALU_DEP_1)
	v_subrev_nc_u32_e32 v0, 28, v2
	v_lshlrev_b64_e32 v[0:1], v0, v[8:9]
	s_delay_alu instid0(VALU_DEP_1)
	v_dual_sub_nc_u32 v1, 29, v2 :: v_dual_bitop2_b32 v0, 7, v0 bitop3:0x40
; %bb.142:                              ;   in Loop: Header=BB272_9 Depth=1
	s_or_b32 exec_lo, exec_lo, s20
	v_lshlrev_b32_e32 v2, 8, v8
	s_delay_alu instid0(VALU_DEP_2) | instskip(NEXT) | instid1(VALU_DEP_3)
	v_lshl_add_u32 v1, v1, 10, 0x2000
	v_lshlrev_b32_e32 v0, 7, v0
	s_delay_alu instid0(VALU_DEP_3) | instskip(NEXT) | instid1(VALU_DEP_3)
	v_and_b32_e32 v2, 0x8000, v2
	v_and_b32_e32 v1, 0xfc00, v1
	s_delay_alu instid0(VALU_DEP_1)
	v_or3_b32 v0, v2, v1, v0
.LBB272_143:                            ;   in Loop: Header=BB272_9 Depth=1
	s_or_b32 exec_lo, exec_lo, s19
.LBB272_144:                            ;   in Loop: Header=BB272_9 Depth=1
	s_delay_alu instid0(SALU_CYCLE_1)
	s_or_b32 exec_lo, exec_lo, s18
	scratch_store_b32 off, v0, s32 offset:228 ; 4-byte Folded Spill
.LBB272_145:                            ;   in Loop: Header=BB272_9 Depth=1
	s_wait_xcnt 0x0
	s_or_b32 exec_lo, exec_lo, s17
	v_lshrrev_b16 v24, 8, v8
	s_mov_b32 s17, exec_lo
	s_delay_alu instid0(VALU_DEP_1)
	v_cmpx_ne_u16_e32 0, v24
	s_cbranch_execz .LBB272_153
; %bb.146:                              ;   in Loop: Header=BB272_9 Depth=1
	v_bfrev_b32_e32 v82, 1
	s_mov_b32 s18, exec_lo
	v_cmpx_ne_u16_e32 0x80, v24
	s_cbranch_execz .LBB272_152
; %bb.147:                              ;   in Loop: Header=BB272_9 Depth=1
	v_and_b32_e32 v0, 0xffff, v24
	v_mov_b32_e32 v82, 0x7c010000
	s_mov_b32 s19, exec_lo
	s_delay_alu instid0(VALU_DEP_2) | instskip(NEXT) | instid1(VALU_DEP_1)
	v_and_b32_e32 v3, 0x7f, v0
	v_cmpx_ne_u32_e32 0x7f, v3
	s_cbranch_execz .LBB272_151
; %bb.148:                              ;   in Loop: Header=BB272_9 Depth=1
	v_dual_lshrrev_b32 v2, 3, v3 :: v_dual_bitop2_b32 v1, 7, v0 bitop3:0x40
	s_mov_b32 s20, exec_lo
	v_cmpx_gt_u32_e32 8, v3
; %bb.149:                              ;   in Loop: Header=BB272_9 Depth=1
	s_delay_alu instid0(VALU_DEP_2) | instskip(NEXT) | instid1(VALU_DEP_1)
	v_clz_i32_u32_e32 v1, v1
	v_min_u32_e32 v1, 32, v1
	s_delay_alu instid0(VALU_DEP_1) | instskip(NEXT) | instid1(VALU_DEP_1)
	v_subrev_nc_u32_e32 v2, 28, v1
	v_lshlrev_b64_e32 v[4:5], v2, v[24:25]
	s_delay_alu instid0(VALU_DEP_1)
	v_dual_sub_nc_u32 v2, 29, v1 :: v_dual_bitop2_b32 v1, 7, v4 bitop3:0x40
; %bb.150:                              ;   in Loop: Header=BB272_9 Depth=1
	s_or_b32 exec_lo, exec_lo, s20
	s_delay_alu instid0(VALU_DEP_1) | instskip(NEXT) | instid1(VALU_DEP_2)
	v_dual_lshlrev_b32 v0, 8, v0 :: v_dual_lshlrev_b32 v1, 23, v1
	v_lshl_add_u32 v2, v2, 10, 0x2000
	s_delay_alu instid0(VALU_DEP_1) | instskip(NEXT) | instid1(VALU_DEP_1)
	v_and_or_b32 v0, 0x8000, v0, v2
	v_lshl_or_b32 v82, v0, 16, v1
.LBB272_151:                            ;   in Loop: Header=BB272_9 Depth=1
	s_or_b32 exec_lo, exec_lo, s19
.LBB272_152:                            ;   in Loop: Header=BB272_9 Depth=1
	s_delay_alu instid0(SALU_CYCLE_1)
	s_or_b32 exec_lo, exec_lo, s18
.LBB272_153:                            ;   in Loop: Header=BB272_9 Depth=1
	s_delay_alu instid0(SALU_CYCLE_1) | instskip(SKIP_3) | instid1(VALU_DEP_2)
	s_or_b32 exec_lo, exec_lo, s17
	v_dual_lshrrev_b32 v24, 16, v8 :: v_dual_mov_b32 v84, 0
	v_mov_b32_e32 v1, 0
	s_mov_b32 s17, exec_lo
	v_and_b32_e32 v0, 0xff, v24
	scratch_store_b32 off, v1, s32 offset:232 ; 4-byte Folded Spill
	s_wait_xcnt 0x0
	v_cmpx_ne_u16_e32 0, v0
	s_cbranch_execz .LBB272_161
; %bb.154:                              ;   in Loop: Header=BB272_9 Depth=1
	v_cmp_ne_u16_e64 s3, 0x80, v0
	v_mov_b32_e32 v0, 0x8000
	s_and_saveexec_b32 s18, s3
	s_cbranch_execz .LBB272_160
; %bb.155:                              ;   in Loop: Header=BB272_9 Depth=1
	v_bfe_u32 v2, v8, 16, 7
	v_mov_b32_e32 v0, 0x7c01
	s_mov_b32 s19, exec_lo
	s_delay_alu instid0(VALU_DEP_2)
	v_cmpx_ne_u32_e32 0x7f, v2
	s_cbranch_execz .LBB272_159
; %bb.156:                              ;   in Loop: Header=BB272_9 Depth=1
	v_dual_lshrrev_b32 v1, 3, v2 :: v_dual_bitop2_b32 v0, 7, v24 bitop3:0x40
	s_mov_b32 s20, exec_lo
	v_cmpx_gt_u32_e32 8, v2
; %bb.157:                              ;   in Loop: Header=BB272_9 Depth=1
	s_delay_alu instid0(VALU_DEP_2) | instskip(NEXT) | instid1(VALU_DEP_1)
	v_clz_i32_u32_e32 v0, v0
	v_min_u32_e32 v2, 32, v0
	s_delay_alu instid0(VALU_DEP_1) | instskip(NEXT) | instid1(VALU_DEP_1)
	v_subrev_nc_u32_e32 v0, 28, v2
	v_lshlrev_b64_e32 v[0:1], v0, v[24:25]
	s_delay_alu instid0(VALU_DEP_1)
	v_dual_sub_nc_u32 v1, 29, v2 :: v_dual_bitop2_b32 v0, 7, v0 bitop3:0x40
; %bb.158:                              ;   in Loop: Header=BB272_9 Depth=1
	s_or_b32 exec_lo, exec_lo, s20
	v_lshlrev_b32_e32 v2, 8, v24
	s_delay_alu instid0(VALU_DEP_2) | instskip(NEXT) | instid1(VALU_DEP_3)
	v_lshl_add_u32 v1, v1, 10, 0x2000
	v_lshlrev_b32_e32 v0, 7, v0
	s_delay_alu instid0(VALU_DEP_3) | instskip(NEXT) | instid1(VALU_DEP_3)
	v_and_b32_e32 v2, 0x8000, v2
	v_and_b32_e32 v1, 0xfc00, v1
	s_delay_alu instid0(VALU_DEP_1)
	v_or3_b32 v0, v2, v1, v0
.LBB272_159:                            ;   in Loop: Header=BB272_9 Depth=1
	s_or_b32 exec_lo, exec_lo, s19
.LBB272_160:                            ;   in Loop: Header=BB272_9 Depth=1
	s_delay_alu instid0(SALU_CYCLE_1)
	s_or_b32 exec_lo, exec_lo, s18
	scratch_store_b32 off, v0, s32 offset:232 ; 4-byte Folded Spill
.LBB272_161:                            ;   in Loop: Header=BB272_9 Depth=1
	s_wait_xcnt 0x0
	s_or_b32 exec_lo, exec_lo, s17
	s_delay_alu instid0(SALU_CYCLE_1)
	s_mov_b32 s17, exec_lo
	v_cmpx_lt_u32_e32 0xffffff, v8
	s_cbranch_execz .LBB272_169
; %bb.162:                              ;   in Loop: Header=BB272_9 Depth=1
	v_lshrrev_b32_e32 v24, 24, v8
	v_bfrev_b32_e32 v84, 1
	s_mov_b32 s18, exec_lo
	s_delay_alu instid0(VALU_DEP_2)
	v_cmpx_ne_u32_e32 0x80, v24
	s_cbranch_execz .LBB272_168
; %bb.163:                              ;   in Loop: Header=BB272_9 Depth=1
	v_and_b32_e32 v2, 0x7f, v24
	v_mov_b32_e32 v84, 0x7c010000
	s_mov_b32 s19, exec_lo
	s_delay_alu instid0(VALU_DEP_2)
	v_cmpx_ne_u32_e32 0x7f, v2
	s_cbranch_execz .LBB272_167
; %bb.164:                              ;   in Loop: Header=BB272_9 Depth=1
	v_dual_lshrrev_b32 v1, 3, v2 :: v_dual_bitop2_b32 v0, 7, v24 bitop3:0x40
	s_mov_b32 s20, exec_lo
	v_cmpx_gt_u32_e32 8, v2
; %bb.165:                              ;   in Loop: Header=BB272_9 Depth=1
	s_delay_alu instid0(VALU_DEP_2) | instskip(NEXT) | instid1(VALU_DEP_1)
	v_clz_i32_u32_e32 v0, v0
	v_min_u32_e32 v2, 32, v0
	s_delay_alu instid0(VALU_DEP_1) | instskip(NEXT) | instid1(VALU_DEP_1)
	v_subrev_nc_u32_e32 v0, 28, v2
	v_lshlrev_b64_e32 v[0:1], v0, v[24:25]
	s_delay_alu instid0(VALU_DEP_1)
	v_dual_sub_nc_u32 v1, 29, v2 :: v_dual_bitop2_b32 v0, 7, v0 bitop3:0x40
; %bb.166:                              ;   in Loop: Header=BB272_9 Depth=1
	s_or_b32 exec_lo, exec_lo, s20
	v_lshlrev_b32_e32 v2, 8, v24
	s_delay_alu instid0(VALU_DEP_2) | instskip(NEXT) | instid1(VALU_DEP_3)
	v_lshl_add_u32 v1, v1, 10, 0x2000
	v_lshlrev_b32_e32 v0, 23, v0
	s_delay_alu instid0(VALU_DEP_2) | instskip(NEXT) | instid1(VALU_DEP_1)
	v_and_or_b32 v1, 0x8000, v2, v1
	v_lshl_or_b32 v84, v1, 16, v0
.LBB272_167:                            ;   in Loop: Header=BB272_9 Depth=1
	s_or_b32 exec_lo, exec_lo, s19
.LBB272_168:                            ;   in Loop: Header=BB272_9 Depth=1
	s_delay_alu instid0(SALU_CYCLE_1)
	s_or_b32 exec_lo, exec_lo, s18
.LBB272_169:                            ;   in Loop: Header=BB272_9 Depth=1
	s_delay_alu instid0(SALU_CYCLE_1)
	s_or_b32 exec_lo, exec_lo, s17
	flat_load_b32 v8, v[28:29] offset:520
	v_dual_mov_b32 v86, 0 :: v_dual_mov_b32 v1, 0
	s_mov_b32 s17, exec_lo
	scratch_store_b32 off, v1, s32 offset:236 ; 4-byte Folded Spill
	s_wait_loadcnt_dscnt 0x0
	v_and_b32_e32 v0, 0xff, v8
	s_wait_xcnt 0x0
	s_delay_alu instid0(VALU_DEP_1)
	v_cmpx_ne_u16_e32 0, v0
	s_cbranch_execz .LBB272_177
; %bb.170:                              ;   in Loop: Header=BB272_9 Depth=1
	v_cmp_ne_u16_e64 s3, 0x80, v0
	v_mov_b32_e32 v0, 0x8000
	s_and_saveexec_b32 s18, s3
	s_cbranch_execz .LBB272_176
; %bb.171:                              ;   in Loop: Header=BB272_9 Depth=1
	v_and_b32_e32 v2, 0x7f, v8
	v_mov_b32_e32 v0, 0x7c01
	s_mov_b32 s19, exec_lo
	s_delay_alu instid0(VALU_DEP_2)
	v_cmpx_ne_u32_e32 0x7f, v2
	s_cbranch_execz .LBB272_175
; %bb.172:                              ;   in Loop: Header=BB272_9 Depth=1
	v_dual_lshrrev_b32 v1, 3, v2 :: v_dual_bitop2_b32 v0, 7, v8 bitop3:0x40
	s_mov_b32 s20, exec_lo
	v_cmpx_gt_u32_e32 8, v2
; %bb.173:                              ;   in Loop: Header=BB272_9 Depth=1
	s_delay_alu instid0(VALU_DEP_2) | instskip(NEXT) | instid1(VALU_DEP_1)
	v_clz_i32_u32_e32 v0, v0
	v_min_u32_e32 v2, 32, v0
	s_delay_alu instid0(VALU_DEP_1) | instskip(NEXT) | instid1(VALU_DEP_1)
	v_subrev_nc_u32_e32 v0, 28, v2
	v_lshlrev_b64_e32 v[0:1], v0, v[8:9]
	s_delay_alu instid0(VALU_DEP_1)
	v_dual_sub_nc_u32 v1, 29, v2 :: v_dual_bitop2_b32 v0, 7, v0 bitop3:0x40
; %bb.174:                              ;   in Loop: Header=BB272_9 Depth=1
	s_or_b32 exec_lo, exec_lo, s20
	v_lshlrev_b32_e32 v2, 8, v8
	s_delay_alu instid0(VALU_DEP_2) | instskip(NEXT) | instid1(VALU_DEP_3)
	v_lshl_add_u32 v1, v1, 10, 0x2000
	v_lshlrev_b32_e32 v0, 7, v0
	s_delay_alu instid0(VALU_DEP_3) | instskip(NEXT) | instid1(VALU_DEP_3)
	v_and_b32_e32 v2, 0x8000, v2
	v_and_b32_e32 v1, 0xfc00, v1
	s_delay_alu instid0(VALU_DEP_1)
	v_or3_b32 v0, v2, v1, v0
.LBB272_175:                            ;   in Loop: Header=BB272_9 Depth=1
	s_or_b32 exec_lo, exec_lo, s19
.LBB272_176:                            ;   in Loop: Header=BB272_9 Depth=1
	s_delay_alu instid0(SALU_CYCLE_1)
	s_or_b32 exec_lo, exec_lo, s18
	scratch_store_b32 off, v0, s32 offset:236 ; 4-byte Folded Spill
.LBB272_177:                            ;   in Loop: Header=BB272_9 Depth=1
	s_wait_xcnt 0x0
	s_or_b32 exec_lo, exec_lo, s17
	v_lshrrev_b16 v24, 8, v8
	s_mov_b32 s17, exec_lo
	s_delay_alu instid0(VALU_DEP_1)
	v_cmpx_ne_u16_e32 0, v24
	s_cbranch_execz .LBB272_185
; %bb.178:                              ;   in Loop: Header=BB272_9 Depth=1
	v_bfrev_b32_e32 v86, 1
	s_mov_b32 s18, exec_lo
	v_cmpx_ne_u16_e32 0x80, v24
	s_cbranch_execz .LBB272_184
; %bb.179:                              ;   in Loop: Header=BB272_9 Depth=1
	v_and_b32_e32 v0, 0xffff, v24
	v_mov_b32_e32 v86, 0x7c010000
	s_mov_b32 s19, exec_lo
	s_delay_alu instid0(VALU_DEP_2) | instskip(NEXT) | instid1(VALU_DEP_1)
	v_and_b32_e32 v3, 0x7f, v0
	v_cmpx_ne_u32_e32 0x7f, v3
	s_cbranch_execz .LBB272_183
; %bb.180:                              ;   in Loop: Header=BB272_9 Depth=1
	v_dual_lshrrev_b32 v2, 3, v3 :: v_dual_bitop2_b32 v1, 7, v0 bitop3:0x40
	s_mov_b32 s20, exec_lo
	v_cmpx_gt_u32_e32 8, v3
; %bb.181:                              ;   in Loop: Header=BB272_9 Depth=1
	s_delay_alu instid0(VALU_DEP_2) | instskip(NEXT) | instid1(VALU_DEP_1)
	v_clz_i32_u32_e32 v1, v1
	v_min_u32_e32 v1, 32, v1
	s_delay_alu instid0(VALU_DEP_1) | instskip(NEXT) | instid1(VALU_DEP_1)
	v_subrev_nc_u32_e32 v2, 28, v1
	v_lshlrev_b64_e32 v[4:5], v2, v[24:25]
	s_delay_alu instid0(VALU_DEP_1)
	v_dual_sub_nc_u32 v2, 29, v1 :: v_dual_bitop2_b32 v1, 7, v4 bitop3:0x40
; %bb.182:                              ;   in Loop: Header=BB272_9 Depth=1
	s_or_b32 exec_lo, exec_lo, s20
	s_delay_alu instid0(VALU_DEP_1) | instskip(NEXT) | instid1(VALU_DEP_2)
	v_dual_lshlrev_b32 v0, 8, v0 :: v_dual_lshlrev_b32 v1, 23, v1
	v_lshl_add_u32 v2, v2, 10, 0x2000
	s_delay_alu instid0(VALU_DEP_1) | instskip(NEXT) | instid1(VALU_DEP_1)
	v_and_or_b32 v0, 0x8000, v0, v2
	v_lshl_or_b32 v86, v0, 16, v1
.LBB272_183:                            ;   in Loop: Header=BB272_9 Depth=1
	s_or_b32 exec_lo, exec_lo, s19
.LBB272_184:                            ;   in Loop: Header=BB272_9 Depth=1
	s_delay_alu instid0(SALU_CYCLE_1)
	s_or_b32 exec_lo, exec_lo, s18
.LBB272_185:                            ;   in Loop: Header=BB272_9 Depth=1
	s_delay_alu instid0(SALU_CYCLE_1) | instskip(SKIP_3) | instid1(VALU_DEP_2)
	s_or_b32 exec_lo, exec_lo, s17
	v_dual_lshrrev_b32 v24, 16, v8 :: v_dual_mov_b32 v96, 0
	v_mov_b32_e32 v1, 0
	s_mov_b32 s17, exec_lo
	v_and_b32_e32 v0, 0xff, v24
	scratch_store_b32 off, v1, s32 offset:240 ; 4-byte Folded Spill
	s_wait_xcnt 0x0
	v_cmpx_ne_u16_e32 0, v0
	s_cbranch_execz .LBB272_193
; %bb.186:                              ;   in Loop: Header=BB272_9 Depth=1
	v_cmp_ne_u16_e64 s3, 0x80, v0
	v_mov_b32_e32 v0, 0x8000
	s_and_saveexec_b32 s18, s3
	s_cbranch_execz .LBB272_192
; %bb.187:                              ;   in Loop: Header=BB272_9 Depth=1
	v_bfe_u32 v2, v8, 16, 7
	v_mov_b32_e32 v0, 0x7c01
	s_mov_b32 s19, exec_lo
	s_delay_alu instid0(VALU_DEP_2)
	v_cmpx_ne_u32_e32 0x7f, v2
	s_cbranch_execz .LBB272_191
; %bb.188:                              ;   in Loop: Header=BB272_9 Depth=1
	v_dual_lshrrev_b32 v1, 3, v2 :: v_dual_bitop2_b32 v0, 7, v24 bitop3:0x40
	s_mov_b32 s20, exec_lo
	v_cmpx_gt_u32_e32 8, v2
; %bb.189:                              ;   in Loop: Header=BB272_9 Depth=1
	s_delay_alu instid0(VALU_DEP_2) | instskip(NEXT) | instid1(VALU_DEP_1)
	v_clz_i32_u32_e32 v0, v0
	v_min_u32_e32 v2, 32, v0
	s_delay_alu instid0(VALU_DEP_1) | instskip(NEXT) | instid1(VALU_DEP_1)
	v_subrev_nc_u32_e32 v0, 28, v2
	v_lshlrev_b64_e32 v[0:1], v0, v[24:25]
	s_delay_alu instid0(VALU_DEP_1)
	v_dual_sub_nc_u32 v1, 29, v2 :: v_dual_bitop2_b32 v0, 7, v0 bitop3:0x40
; %bb.190:                              ;   in Loop: Header=BB272_9 Depth=1
	s_or_b32 exec_lo, exec_lo, s20
	v_lshlrev_b32_e32 v2, 8, v24
	s_delay_alu instid0(VALU_DEP_2) | instskip(NEXT) | instid1(VALU_DEP_3)
	v_lshl_add_u32 v1, v1, 10, 0x2000
	v_lshlrev_b32_e32 v0, 7, v0
	s_delay_alu instid0(VALU_DEP_3) | instskip(NEXT) | instid1(VALU_DEP_3)
	v_and_b32_e32 v2, 0x8000, v2
	v_and_b32_e32 v1, 0xfc00, v1
	s_delay_alu instid0(VALU_DEP_1)
	v_or3_b32 v0, v2, v1, v0
.LBB272_191:                            ;   in Loop: Header=BB272_9 Depth=1
	s_or_b32 exec_lo, exec_lo, s19
.LBB272_192:                            ;   in Loop: Header=BB272_9 Depth=1
	s_delay_alu instid0(SALU_CYCLE_1)
	s_or_b32 exec_lo, exec_lo, s18
	scratch_store_b32 off, v0, s32 offset:240 ; 4-byte Folded Spill
.LBB272_193:                            ;   in Loop: Header=BB272_9 Depth=1
	s_wait_xcnt 0x0
	s_or_b32 exec_lo, exec_lo, s17
	s_delay_alu instid0(SALU_CYCLE_1)
	s_mov_b32 s17, exec_lo
	v_cmpx_lt_u32_e32 0xffffff, v8
	s_cbranch_execz .LBB272_201
; %bb.194:                              ;   in Loop: Header=BB272_9 Depth=1
	v_lshrrev_b32_e32 v24, 24, v8
	v_bfrev_b32_e32 v96, 1
	s_mov_b32 s18, exec_lo
	s_delay_alu instid0(VALU_DEP_2)
	v_cmpx_ne_u32_e32 0x80, v24
	s_cbranch_execz .LBB272_200
; %bb.195:                              ;   in Loop: Header=BB272_9 Depth=1
	v_and_b32_e32 v2, 0x7f, v24
	v_mov_b32_e32 v96, 0x7c010000
	s_mov_b32 s19, exec_lo
	s_delay_alu instid0(VALU_DEP_2)
	v_cmpx_ne_u32_e32 0x7f, v2
	s_cbranch_execz .LBB272_199
; %bb.196:                              ;   in Loop: Header=BB272_9 Depth=1
	v_dual_lshrrev_b32 v1, 3, v2 :: v_dual_bitop2_b32 v0, 7, v24 bitop3:0x40
	s_mov_b32 s20, exec_lo
	v_cmpx_gt_u32_e32 8, v2
; %bb.197:                              ;   in Loop: Header=BB272_9 Depth=1
	s_delay_alu instid0(VALU_DEP_2) | instskip(NEXT) | instid1(VALU_DEP_1)
	v_clz_i32_u32_e32 v0, v0
	v_min_u32_e32 v2, 32, v0
	s_delay_alu instid0(VALU_DEP_1) | instskip(NEXT) | instid1(VALU_DEP_1)
	v_subrev_nc_u32_e32 v0, 28, v2
	v_lshlrev_b64_e32 v[0:1], v0, v[24:25]
	s_delay_alu instid0(VALU_DEP_1)
	v_dual_sub_nc_u32 v1, 29, v2 :: v_dual_bitop2_b32 v0, 7, v0 bitop3:0x40
; %bb.198:                              ;   in Loop: Header=BB272_9 Depth=1
	s_or_b32 exec_lo, exec_lo, s20
	v_lshlrev_b32_e32 v2, 8, v24
	s_delay_alu instid0(VALU_DEP_2) | instskip(NEXT) | instid1(VALU_DEP_3)
	v_lshl_add_u32 v1, v1, 10, 0x2000
	v_lshlrev_b32_e32 v0, 23, v0
	s_delay_alu instid0(VALU_DEP_2) | instskip(NEXT) | instid1(VALU_DEP_1)
	v_and_or_b32 v1, 0x8000, v2, v1
	v_lshl_or_b32 v96, v1, 16, v0
.LBB272_199:                            ;   in Loop: Header=BB272_9 Depth=1
	s_or_b32 exec_lo, exec_lo, s19
.LBB272_200:                            ;   in Loop: Header=BB272_9 Depth=1
	s_delay_alu instid0(SALU_CYCLE_1)
	s_or_b32 exec_lo, exec_lo, s18
.LBB272_201:                            ;   in Loop: Header=BB272_9 Depth=1
	s_delay_alu instid0(SALU_CYCLE_1)
	s_or_b32 exec_lo, exec_lo, s17
	flat_load_b32 v8, v[28:29] offset:768
	v_dual_mov_b32 v98, 0 :: v_dual_mov_b32 v1, 0
	s_mov_b32 s17, exec_lo
	scratch_store_b32 off, v1, s32 offset:244 ; 4-byte Folded Spill
	s_wait_loadcnt_dscnt 0x0
	v_and_b32_e32 v0, 0xff, v8
	s_wait_xcnt 0x0
	s_delay_alu instid0(VALU_DEP_1)
	v_cmpx_ne_u16_e32 0, v0
	s_cbranch_execz .LBB272_209
; %bb.202:                              ;   in Loop: Header=BB272_9 Depth=1
	v_cmp_ne_u16_e64 s3, 0x80, v0
	v_mov_b32_e32 v0, 0x8000
	s_and_saveexec_b32 s18, s3
	s_cbranch_execz .LBB272_208
; %bb.203:                              ;   in Loop: Header=BB272_9 Depth=1
	v_and_b32_e32 v2, 0x7f, v8
	v_mov_b32_e32 v0, 0x7c01
	s_mov_b32 s19, exec_lo
	s_delay_alu instid0(VALU_DEP_2)
	v_cmpx_ne_u32_e32 0x7f, v2
	s_cbranch_execz .LBB272_207
; %bb.204:                              ;   in Loop: Header=BB272_9 Depth=1
	v_dual_lshrrev_b32 v1, 3, v2 :: v_dual_bitop2_b32 v0, 7, v8 bitop3:0x40
	s_mov_b32 s20, exec_lo
	v_cmpx_gt_u32_e32 8, v2
; %bb.205:                              ;   in Loop: Header=BB272_9 Depth=1
	s_delay_alu instid0(VALU_DEP_2) | instskip(NEXT) | instid1(VALU_DEP_1)
	v_clz_i32_u32_e32 v0, v0
	v_min_u32_e32 v2, 32, v0
	s_delay_alu instid0(VALU_DEP_1) | instskip(NEXT) | instid1(VALU_DEP_1)
	v_subrev_nc_u32_e32 v0, 28, v2
	v_lshlrev_b64_e32 v[0:1], v0, v[8:9]
	s_delay_alu instid0(VALU_DEP_1)
	v_dual_sub_nc_u32 v1, 29, v2 :: v_dual_bitop2_b32 v0, 7, v0 bitop3:0x40
; %bb.206:                              ;   in Loop: Header=BB272_9 Depth=1
	s_or_b32 exec_lo, exec_lo, s20
	v_lshlrev_b32_e32 v2, 8, v8
	s_delay_alu instid0(VALU_DEP_2) | instskip(NEXT) | instid1(VALU_DEP_3)
	v_lshl_add_u32 v1, v1, 10, 0x2000
	v_lshlrev_b32_e32 v0, 7, v0
	s_delay_alu instid0(VALU_DEP_3) | instskip(NEXT) | instid1(VALU_DEP_3)
	v_and_b32_e32 v2, 0x8000, v2
	v_and_b32_e32 v1, 0xfc00, v1
	s_delay_alu instid0(VALU_DEP_1)
	v_or3_b32 v0, v2, v1, v0
.LBB272_207:                            ;   in Loop: Header=BB272_9 Depth=1
	s_or_b32 exec_lo, exec_lo, s19
.LBB272_208:                            ;   in Loop: Header=BB272_9 Depth=1
	s_delay_alu instid0(SALU_CYCLE_1)
	s_or_b32 exec_lo, exec_lo, s18
	scratch_store_b32 off, v0, s32 offset:244 ; 4-byte Folded Spill
.LBB272_209:                            ;   in Loop: Header=BB272_9 Depth=1
	s_wait_xcnt 0x0
	s_or_b32 exec_lo, exec_lo, s17
	v_lshrrev_b16 v24, 8, v8
	s_mov_b32 s17, exec_lo
	s_delay_alu instid0(VALU_DEP_1)
	v_cmpx_ne_u16_e32 0, v24
	s_cbranch_execz .LBB272_217
; %bb.210:                              ;   in Loop: Header=BB272_9 Depth=1
	v_bfrev_b32_e32 v98, 1
	s_mov_b32 s18, exec_lo
	v_cmpx_ne_u16_e32 0x80, v24
	s_cbranch_execz .LBB272_216
; %bb.211:                              ;   in Loop: Header=BB272_9 Depth=1
	v_and_b32_e32 v0, 0xffff, v24
	v_mov_b32_e32 v98, 0x7c010000
	s_mov_b32 s19, exec_lo
	s_delay_alu instid0(VALU_DEP_2) | instskip(NEXT) | instid1(VALU_DEP_1)
	v_and_b32_e32 v3, 0x7f, v0
	v_cmpx_ne_u32_e32 0x7f, v3
	s_cbranch_execz .LBB272_215
; %bb.212:                              ;   in Loop: Header=BB272_9 Depth=1
	v_dual_lshrrev_b32 v2, 3, v3 :: v_dual_bitop2_b32 v1, 7, v0 bitop3:0x40
	s_mov_b32 s20, exec_lo
	v_cmpx_gt_u32_e32 8, v3
; %bb.213:                              ;   in Loop: Header=BB272_9 Depth=1
	s_delay_alu instid0(VALU_DEP_2) | instskip(NEXT) | instid1(VALU_DEP_1)
	v_clz_i32_u32_e32 v1, v1
	v_min_u32_e32 v1, 32, v1
	s_delay_alu instid0(VALU_DEP_1) | instskip(NEXT) | instid1(VALU_DEP_1)
	v_subrev_nc_u32_e32 v2, 28, v1
	v_lshlrev_b64_e32 v[4:5], v2, v[24:25]
	s_delay_alu instid0(VALU_DEP_1)
	v_dual_sub_nc_u32 v2, 29, v1 :: v_dual_bitop2_b32 v1, 7, v4 bitop3:0x40
; %bb.214:                              ;   in Loop: Header=BB272_9 Depth=1
	s_or_b32 exec_lo, exec_lo, s20
	s_delay_alu instid0(VALU_DEP_1) | instskip(NEXT) | instid1(VALU_DEP_2)
	v_dual_lshlrev_b32 v0, 8, v0 :: v_dual_lshlrev_b32 v1, 23, v1
	v_lshl_add_u32 v2, v2, 10, 0x2000
	s_delay_alu instid0(VALU_DEP_1) | instskip(NEXT) | instid1(VALU_DEP_1)
	v_and_or_b32 v0, 0x8000, v0, v2
	v_lshl_or_b32 v98, v0, 16, v1
.LBB272_215:                            ;   in Loop: Header=BB272_9 Depth=1
	s_or_b32 exec_lo, exec_lo, s19
.LBB272_216:                            ;   in Loop: Header=BB272_9 Depth=1
	s_delay_alu instid0(SALU_CYCLE_1)
	s_or_b32 exec_lo, exec_lo, s18
.LBB272_217:                            ;   in Loop: Header=BB272_9 Depth=1
	s_delay_alu instid0(SALU_CYCLE_1) | instskip(SKIP_3) | instid1(VALU_DEP_2)
	s_or_b32 exec_lo, exec_lo, s17
	v_dual_lshrrev_b32 v24, 16, v8 :: v_dual_mov_b32 v100, 0
	v_mov_b32_e32 v1, 0
	s_mov_b32 s17, exec_lo
	v_and_b32_e32 v0, 0xff, v24
	scratch_store_b32 off, v1, s32 offset:248 ; 4-byte Folded Spill
	s_wait_xcnt 0x0
	v_cmpx_ne_u16_e32 0, v0
	s_cbranch_execz .LBB272_225
; %bb.218:                              ;   in Loop: Header=BB272_9 Depth=1
	v_cmp_ne_u16_e64 s3, 0x80, v0
	v_mov_b32_e32 v0, 0x8000
	s_and_saveexec_b32 s18, s3
	s_cbranch_execz .LBB272_224
; %bb.219:                              ;   in Loop: Header=BB272_9 Depth=1
	v_bfe_u32 v2, v8, 16, 7
	v_mov_b32_e32 v0, 0x7c01
	s_mov_b32 s19, exec_lo
	s_delay_alu instid0(VALU_DEP_2)
	v_cmpx_ne_u32_e32 0x7f, v2
	s_cbranch_execz .LBB272_223
; %bb.220:                              ;   in Loop: Header=BB272_9 Depth=1
	v_dual_lshrrev_b32 v1, 3, v2 :: v_dual_bitop2_b32 v0, 7, v24 bitop3:0x40
	s_mov_b32 s20, exec_lo
	v_cmpx_gt_u32_e32 8, v2
; %bb.221:                              ;   in Loop: Header=BB272_9 Depth=1
	s_delay_alu instid0(VALU_DEP_2) | instskip(NEXT) | instid1(VALU_DEP_1)
	v_clz_i32_u32_e32 v0, v0
	v_min_u32_e32 v2, 32, v0
	s_delay_alu instid0(VALU_DEP_1) | instskip(NEXT) | instid1(VALU_DEP_1)
	v_subrev_nc_u32_e32 v0, 28, v2
	v_lshlrev_b64_e32 v[0:1], v0, v[24:25]
	s_delay_alu instid0(VALU_DEP_1)
	v_dual_sub_nc_u32 v1, 29, v2 :: v_dual_bitop2_b32 v0, 7, v0 bitop3:0x40
; %bb.222:                              ;   in Loop: Header=BB272_9 Depth=1
	s_or_b32 exec_lo, exec_lo, s20
	v_lshlrev_b32_e32 v2, 8, v24
	s_delay_alu instid0(VALU_DEP_2) | instskip(NEXT) | instid1(VALU_DEP_3)
	v_lshl_add_u32 v1, v1, 10, 0x2000
	v_lshlrev_b32_e32 v0, 7, v0
	s_delay_alu instid0(VALU_DEP_3) | instskip(NEXT) | instid1(VALU_DEP_3)
	v_and_b32_e32 v2, 0x8000, v2
	v_and_b32_e32 v1, 0xfc00, v1
	s_delay_alu instid0(VALU_DEP_1)
	v_or3_b32 v0, v2, v1, v0
.LBB272_223:                            ;   in Loop: Header=BB272_9 Depth=1
	s_or_b32 exec_lo, exec_lo, s19
.LBB272_224:                            ;   in Loop: Header=BB272_9 Depth=1
	s_delay_alu instid0(SALU_CYCLE_1)
	s_or_b32 exec_lo, exec_lo, s18
	scratch_store_b32 off, v0, s32 offset:248 ; 4-byte Folded Spill
.LBB272_225:                            ;   in Loop: Header=BB272_9 Depth=1
	s_wait_xcnt 0x0
	s_or_b32 exec_lo, exec_lo, s17
	s_delay_alu instid0(SALU_CYCLE_1)
	s_mov_b32 s17, exec_lo
	v_cmpx_lt_u32_e32 0xffffff, v8
	s_cbranch_execz .LBB272_233
; %bb.226:                              ;   in Loop: Header=BB272_9 Depth=1
	v_lshrrev_b32_e32 v24, 24, v8
	v_bfrev_b32_e32 v100, 1
	s_mov_b32 s18, exec_lo
	s_delay_alu instid0(VALU_DEP_2)
	v_cmpx_ne_u32_e32 0x80, v24
	s_cbranch_execz .LBB272_232
; %bb.227:                              ;   in Loop: Header=BB272_9 Depth=1
	v_and_b32_e32 v2, 0x7f, v24
	v_mov_b32_e32 v100, 0x7c010000
	s_mov_b32 s19, exec_lo
	s_delay_alu instid0(VALU_DEP_2)
	v_cmpx_ne_u32_e32 0x7f, v2
	s_cbranch_execz .LBB272_231
; %bb.228:                              ;   in Loop: Header=BB272_9 Depth=1
	v_dual_lshrrev_b32 v1, 3, v2 :: v_dual_bitop2_b32 v0, 7, v24 bitop3:0x40
	s_mov_b32 s20, exec_lo
	v_cmpx_gt_u32_e32 8, v2
; %bb.229:                              ;   in Loop: Header=BB272_9 Depth=1
	s_delay_alu instid0(VALU_DEP_2) | instskip(NEXT) | instid1(VALU_DEP_1)
	v_clz_i32_u32_e32 v0, v0
	v_min_u32_e32 v2, 32, v0
	s_delay_alu instid0(VALU_DEP_1) | instskip(NEXT) | instid1(VALU_DEP_1)
	v_subrev_nc_u32_e32 v0, 28, v2
	v_lshlrev_b64_e32 v[0:1], v0, v[24:25]
	s_delay_alu instid0(VALU_DEP_1)
	v_dual_sub_nc_u32 v1, 29, v2 :: v_dual_bitop2_b32 v0, 7, v0 bitop3:0x40
; %bb.230:                              ;   in Loop: Header=BB272_9 Depth=1
	s_or_b32 exec_lo, exec_lo, s20
	v_lshlrev_b32_e32 v2, 8, v24
	s_delay_alu instid0(VALU_DEP_2) | instskip(NEXT) | instid1(VALU_DEP_3)
	v_lshl_add_u32 v1, v1, 10, 0x2000
	v_lshlrev_b32_e32 v0, 23, v0
	s_delay_alu instid0(VALU_DEP_2) | instskip(NEXT) | instid1(VALU_DEP_1)
	v_and_or_b32 v1, 0x8000, v2, v1
	v_lshl_or_b32 v100, v1, 16, v0
.LBB272_231:                            ;   in Loop: Header=BB272_9 Depth=1
	s_or_b32 exec_lo, exec_lo, s19
.LBB272_232:                            ;   in Loop: Header=BB272_9 Depth=1
	s_delay_alu instid0(SALU_CYCLE_1)
	s_or_b32 exec_lo, exec_lo, s18
.LBB272_233:                            ;   in Loop: Header=BB272_9 Depth=1
	s_delay_alu instid0(SALU_CYCLE_1)
	s_or_b32 exec_lo, exec_lo, s17
	flat_load_b32 v8, v[28:29] offset:776
	v_dual_mov_b32 v102, 0 :: v_dual_mov_b32 v103, 0
	s_mov_b32 s17, exec_lo
	s_wait_loadcnt_dscnt 0x0
	v_and_b32_e32 v0, 0xff, v8
	s_wait_xcnt 0x0
	s_delay_alu instid0(VALU_DEP_1)
	v_cmpx_ne_u16_e32 0, v0
	s_cbranch_execz .LBB272_241
; %bb.234:                              ;   in Loop: Header=BB272_9 Depth=1
	v_mov_b32_e32 v103, 0x8000
	s_mov_b32 s18, exec_lo
	v_cmpx_ne_u16_e32 0x80, v0
	s_cbranch_execz .LBB272_240
; %bb.235:                              ;   in Loop: Header=BB272_9 Depth=1
	v_and_b32_e32 v2, 0x7f, v8
	v_mov_b32_e32 v103, 0x7c01
	s_mov_b32 s19, exec_lo
	s_delay_alu instid0(VALU_DEP_2)
	v_cmpx_ne_u32_e32 0x7f, v2
	s_cbranch_execz .LBB272_239
; %bb.236:                              ;   in Loop: Header=BB272_9 Depth=1
	v_dual_lshrrev_b32 v1, 3, v2 :: v_dual_bitop2_b32 v0, 7, v8 bitop3:0x40
	s_mov_b32 s20, exec_lo
	v_cmpx_gt_u32_e32 8, v2
; %bb.237:                              ;   in Loop: Header=BB272_9 Depth=1
	s_delay_alu instid0(VALU_DEP_2) | instskip(NEXT) | instid1(VALU_DEP_1)
	v_clz_i32_u32_e32 v0, v0
	v_min_u32_e32 v2, 32, v0
	s_delay_alu instid0(VALU_DEP_1) | instskip(NEXT) | instid1(VALU_DEP_1)
	v_subrev_nc_u32_e32 v0, 28, v2
	v_lshlrev_b64_e32 v[0:1], v0, v[8:9]
	s_delay_alu instid0(VALU_DEP_1)
	v_dual_sub_nc_u32 v1, 29, v2 :: v_dual_bitop2_b32 v0, 7, v0 bitop3:0x40
; %bb.238:                              ;   in Loop: Header=BB272_9 Depth=1
	s_or_b32 exec_lo, exec_lo, s20
	v_lshlrev_b32_e32 v2, 8, v8
	s_delay_alu instid0(VALU_DEP_2) | instskip(NEXT) | instid1(VALU_DEP_3)
	v_lshl_add_u32 v1, v1, 10, 0x2000
	v_lshlrev_b32_e32 v0, 7, v0
	s_delay_alu instid0(VALU_DEP_3) | instskip(NEXT) | instid1(VALU_DEP_3)
	v_and_b32_e32 v2, 0x8000, v2
	v_and_b32_e32 v1, 0xfc00, v1
	s_delay_alu instid0(VALU_DEP_1)
	v_or3_b32 v103, v2, v1, v0
.LBB272_239:                            ;   in Loop: Header=BB272_9 Depth=1
	s_or_b32 exec_lo, exec_lo, s19
.LBB272_240:                            ;   in Loop: Header=BB272_9 Depth=1
	s_delay_alu instid0(SALU_CYCLE_1)
	s_or_b32 exec_lo, exec_lo, s18
.LBB272_241:                            ;   in Loop: Header=BB272_9 Depth=1
	s_delay_alu instid0(SALU_CYCLE_1) | instskip(SKIP_2) | instid1(VALU_DEP_1)
	s_or_b32 exec_lo, exec_lo, s17
	v_lshrrev_b16 v24, 8, v8
	s_mov_b32 s17, exec_lo
	v_cmpx_ne_u16_e32 0, v24
	s_cbranch_execz .LBB272_249
; %bb.242:                              ;   in Loop: Header=BB272_9 Depth=1
	v_bfrev_b32_e32 v102, 1
	s_mov_b32 s18, exec_lo
	v_cmpx_ne_u16_e32 0x80, v24
	s_cbranch_execz .LBB272_248
; %bb.243:                              ;   in Loop: Header=BB272_9 Depth=1
	v_and_b32_e32 v0, 0xffff, v24
	v_mov_b32_e32 v102, 0x7c010000
	s_mov_b32 s19, exec_lo
	s_delay_alu instid0(VALU_DEP_2) | instskip(NEXT) | instid1(VALU_DEP_1)
	v_and_b32_e32 v3, 0x7f, v0
	v_cmpx_ne_u32_e32 0x7f, v3
	s_cbranch_execz .LBB272_247
; %bb.244:                              ;   in Loop: Header=BB272_9 Depth=1
	v_dual_lshrrev_b32 v2, 3, v3 :: v_dual_bitop2_b32 v1, 7, v0 bitop3:0x40
	s_mov_b32 s20, exec_lo
	v_cmpx_gt_u32_e32 8, v3
; %bb.245:                              ;   in Loop: Header=BB272_9 Depth=1
	s_delay_alu instid0(VALU_DEP_2) | instskip(NEXT) | instid1(VALU_DEP_1)
	v_clz_i32_u32_e32 v1, v1
	v_min_u32_e32 v1, 32, v1
	s_delay_alu instid0(VALU_DEP_1) | instskip(NEXT) | instid1(VALU_DEP_1)
	v_subrev_nc_u32_e32 v2, 28, v1
	v_lshlrev_b64_e32 v[4:5], v2, v[24:25]
	s_delay_alu instid0(VALU_DEP_1)
	v_dual_sub_nc_u32 v2, 29, v1 :: v_dual_bitop2_b32 v1, 7, v4 bitop3:0x40
; %bb.246:                              ;   in Loop: Header=BB272_9 Depth=1
	s_or_b32 exec_lo, exec_lo, s20
	s_delay_alu instid0(VALU_DEP_1) | instskip(NEXT) | instid1(VALU_DEP_2)
	v_dual_lshlrev_b32 v0, 8, v0 :: v_dual_lshlrev_b32 v1, 23, v1
	v_lshl_add_u32 v2, v2, 10, 0x2000
	s_delay_alu instid0(VALU_DEP_1) | instskip(NEXT) | instid1(VALU_DEP_1)
	v_and_or_b32 v0, 0x8000, v0, v2
	v_lshl_or_b32 v102, v0, 16, v1
.LBB272_247:                            ;   in Loop: Header=BB272_9 Depth=1
	s_or_b32 exec_lo, exec_lo, s19
.LBB272_248:                            ;   in Loop: Header=BB272_9 Depth=1
	s_delay_alu instid0(SALU_CYCLE_1)
	s_or_b32 exec_lo, exec_lo, s18
.LBB272_249:                            ;   in Loop: Header=BB272_9 Depth=1
	s_delay_alu instid0(SALU_CYCLE_1) | instskip(SKIP_3) | instid1(VALU_DEP_2)
	s_or_b32 exec_lo, exec_lo, s17
	v_dual_lshrrev_b32 v24, 16, v8 :: v_dual_mov_b32 v112, 0
	v_mov_b32_e32 v113, 0
	s_mov_b32 s17, exec_lo
	v_and_b32_e32 v0, 0xff, v24
	s_delay_alu instid0(VALU_DEP_1)
	v_cmpx_ne_u16_e32 0, v0
	s_cbranch_execz .LBB272_257
; %bb.250:                              ;   in Loop: Header=BB272_9 Depth=1
	v_mov_b32_e32 v113, 0x8000
	s_mov_b32 s18, exec_lo
	v_cmpx_ne_u16_e32 0x80, v0
	s_cbranch_execz .LBB272_256
; %bb.251:                              ;   in Loop: Header=BB272_9 Depth=1
	v_bfe_u32 v2, v8, 16, 7
	v_mov_b32_e32 v113, 0x7c01
	s_mov_b32 s19, exec_lo
	s_delay_alu instid0(VALU_DEP_2)
	v_cmpx_ne_u32_e32 0x7f, v2
	s_cbranch_execz .LBB272_255
; %bb.252:                              ;   in Loop: Header=BB272_9 Depth=1
	v_dual_lshrrev_b32 v1, 3, v2 :: v_dual_bitop2_b32 v0, 7, v24 bitop3:0x40
	s_mov_b32 s20, exec_lo
	v_cmpx_gt_u32_e32 8, v2
; %bb.253:                              ;   in Loop: Header=BB272_9 Depth=1
	s_delay_alu instid0(VALU_DEP_2) | instskip(NEXT) | instid1(VALU_DEP_1)
	v_clz_i32_u32_e32 v0, v0
	v_min_u32_e32 v2, 32, v0
	s_delay_alu instid0(VALU_DEP_1) | instskip(NEXT) | instid1(VALU_DEP_1)
	v_subrev_nc_u32_e32 v0, 28, v2
	v_lshlrev_b64_e32 v[0:1], v0, v[24:25]
	s_delay_alu instid0(VALU_DEP_1)
	v_dual_sub_nc_u32 v1, 29, v2 :: v_dual_bitop2_b32 v0, 7, v0 bitop3:0x40
; %bb.254:                              ;   in Loop: Header=BB272_9 Depth=1
	s_or_b32 exec_lo, exec_lo, s20
	v_lshlrev_b32_e32 v2, 8, v24
	s_delay_alu instid0(VALU_DEP_2) | instskip(NEXT) | instid1(VALU_DEP_3)
	v_lshl_add_u32 v1, v1, 10, 0x2000
	v_lshlrev_b32_e32 v0, 7, v0
	s_delay_alu instid0(VALU_DEP_3) | instskip(NEXT) | instid1(VALU_DEP_3)
	v_and_b32_e32 v2, 0x8000, v2
	v_and_b32_e32 v1, 0xfc00, v1
	s_delay_alu instid0(VALU_DEP_1)
	v_or3_b32 v113, v2, v1, v0
.LBB272_255:                            ;   in Loop: Header=BB272_9 Depth=1
	s_or_b32 exec_lo, exec_lo, s19
.LBB272_256:                            ;   in Loop: Header=BB272_9 Depth=1
	s_delay_alu instid0(SALU_CYCLE_1)
	s_or_b32 exec_lo, exec_lo, s18
.LBB272_257:                            ;   in Loop: Header=BB272_9 Depth=1
	s_delay_alu instid0(SALU_CYCLE_1) | instskip(NEXT) | instid1(SALU_CYCLE_1)
	s_or_b32 exec_lo, exec_lo, s17
	s_mov_b32 s17, exec_lo
	v_cmpx_lt_u32_e32 0xffffff, v8
	s_cbranch_execz .LBB272_265
; %bb.258:                              ;   in Loop: Header=BB272_9 Depth=1
	v_lshrrev_b32_e32 v24, 24, v8
	v_bfrev_b32_e32 v112, 1
	s_mov_b32 s18, exec_lo
	s_delay_alu instid0(VALU_DEP_2)
	v_cmpx_ne_u32_e32 0x80, v24
	s_cbranch_execz .LBB272_264
; %bb.259:                              ;   in Loop: Header=BB272_9 Depth=1
	v_and_b32_e32 v2, 0x7f, v24
	v_mov_b32_e32 v112, 0x7c010000
	s_mov_b32 s19, exec_lo
	s_delay_alu instid0(VALU_DEP_2)
	v_cmpx_ne_u32_e32 0x7f, v2
	s_cbranch_execz .LBB272_263
; %bb.260:                              ;   in Loop: Header=BB272_9 Depth=1
	v_dual_lshrrev_b32 v1, 3, v2 :: v_dual_bitop2_b32 v0, 7, v24 bitop3:0x40
	s_mov_b32 s20, exec_lo
	v_cmpx_gt_u32_e32 8, v2
; %bb.261:                              ;   in Loop: Header=BB272_9 Depth=1
	s_delay_alu instid0(VALU_DEP_2) | instskip(NEXT) | instid1(VALU_DEP_1)
	v_clz_i32_u32_e32 v0, v0
	v_min_u32_e32 v2, 32, v0
	s_delay_alu instid0(VALU_DEP_1) | instskip(NEXT) | instid1(VALU_DEP_1)
	v_subrev_nc_u32_e32 v0, 28, v2
	v_lshlrev_b64_e32 v[0:1], v0, v[24:25]
	s_delay_alu instid0(VALU_DEP_1)
	v_dual_sub_nc_u32 v1, 29, v2 :: v_dual_bitop2_b32 v0, 7, v0 bitop3:0x40
; %bb.262:                              ;   in Loop: Header=BB272_9 Depth=1
	s_or_b32 exec_lo, exec_lo, s20
	v_lshlrev_b32_e32 v2, 8, v24
	s_delay_alu instid0(VALU_DEP_2) | instskip(NEXT) | instid1(VALU_DEP_3)
	v_lshl_add_u32 v1, v1, 10, 0x2000
	v_lshlrev_b32_e32 v0, 23, v0
	s_delay_alu instid0(VALU_DEP_2) | instskip(NEXT) | instid1(VALU_DEP_1)
	v_and_or_b32 v1, 0x8000, v2, v1
	v_lshl_or_b32 v112, v1, 16, v0
.LBB272_263:                            ;   in Loop: Header=BB272_9 Depth=1
	s_or_b32 exec_lo, exec_lo, s19
.LBB272_264:                            ;   in Loop: Header=BB272_9 Depth=1
	s_delay_alu instid0(SALU_CYCLE_1)
	s_or_b32 exec_lo, exec_lo, s18
.LBB272_265:                            ;   in Loop: Header=BB272_9 Depth=1
	s_delay_alu instid0(SALU_CYCLE_1)
	s_or_b32 exec_lo, exec_lo, s17
	flat_load_b32 v8, v[28:29] offset:1024
	v_dual_mov_b32 v114, 0 :: v_dual_mov_b32 v115, 0
	s_mov_b32 s17, exec_lo
	s_wait_loadcnt_dscnt 0x0
	v_and_b32_e32 v0, 0xff, v8
	s_wait_xcnt 0x0
	s_delay_alu instid0(VALU_DEP_1)
	v_cmpx_ne_u16_e32 0, v0
	s_cbranch_execz .LBB272_273
; %bb.266:                              ;   in Loop: Header=BB272_9 Depth=1
	v_mov_b32_e32 v115, 0x8000
	s_mov_b32 s18, exec_lo
	v_cmpx_ne_u16_e32 0x80, v0
	s_cbranch_execz .LBB272_272
; %bb.267:                              ;   in Loop: Header=BB272_9 Depth=1
	v_and_b32_e32 v2, 0x7f, v8
	v_mov_b32_e32 v115, 0x7c01
	s_mov_b32 s19, exec_lo
	s_delay_alu instid0(VALU_DEP_2)
	v_cmpx_ne_u32_e32 0x7f, v2
	s_cbranch_execz .LBB272_271
; %bb.268:                              ;   in Loop: Header=BB272_9 Depth=1
	v_dual_lshrrev_b32 v1, 3, v2 :: v_dual_bitop2_b32 v0, 7, v8 bitop3:0x40
	s_mov_b32 s20, exec_lo
	v_cmpx_gt_u32_e32 8, v2
; %bb.269:                              ;   in Loop: Header=BB272_9 Depth=1
	s_delay_alu instid0(VALU_DEP_2) | instskip(NEXT) | instid1(VALU_DEP_1)
	v_clz_i32_u32_e32 v0, v0
	v_min_u32_e32 v2, 32, v0
	s_delay_alu instid0(VALU_DEP_1) | instskip(NEXT) | instid1(VALU_DEP_1)
	v_subrev_nc_u32_e32 v0, 28, v2
	v_lshlrev_b64_e32 v[0:1], v0, v[8:9]
	s_delay_alu instid0(VALU_DEP_1)
	v_dual_sub_nc_u32 v1, 29, v2 :: v_dual_bitop2_b32 v0, 7, v0 bitop3:0x40
; %bb.270:                              ;   in Loop: Header=BB272_9 Depth=1
	s_or_b32 exec_lo, exec_lo, s20
	v_lshlrev_b32_e32 v2, 8, v8
	s_delay_alu instid0(VALU_DEP_2) | instskip(NEXT) | instid1(VALU_DEP_3)
	v_lshl_add_u32 v1, v1, 10, 0x2000
	v_lshlrev_b32_e32 v0, 7, v0
	s_delay_alu instid0(VALU_DEP_3) | instskip(NEXT) | instid1(VALU_DEP_3)
	v_and_b32_e32 v2, 0x8000, v2
	v_and_b32_e32 v1, 0xfc00, v1
	s_delay_alu instid0(VALU_DEP_1)
	v_or3_b32 v115, v2, v1, v0
.LBB272_271:                            ;   in Loop: Header=BB272_9 Depth=1
	s_or_b32 exec_lo, exec_lo, s19
.LBB272_272:                            ;   in Loop: Header=BB272_9 Depth=1
	s_delay_alu instid0(SALU_CYCLE_1)
	s_or_b32 exec_lo, exec_lo, s18
.LBB272_273:                            ;   in Loop: Header=BB272_9 Depth=1
	s_delay_alu instid0(SALU_CYCLE_1) | instskip(SKIP_2) | instid1(VALU_DEP_1)
	s_or_b32 exec_lo, exec_lo, s17
	v_lshrrev_b16 v24, 8, v8
	s_mov_b32 s17, exec_lo
	v_cmpx_ne_u16_e32 0, v24
	s_cbranch_execz .LBB272_281
; %bb.274:                              ;   in Loop: Header=BB272_9 Depth=1
	v_bfrev_b32_e32 v114, 1
	s_mov_b32 s18, exec_lo
	v_cmpx_ne_u16_e32 0x80, v24
	s_cbranch_execz .LBB272_280
; %bb.275:                              ;   in Loop: Header=BB272_9 Depth=1
	v_and_b32_e32 v0, 0xffff, v24
	v_mov_b32_e32 v114, 0x7c010000
	s_mov_b32 s19, exec_lo
	s_delay_alu instid0(VALU_DEP_2) | instskip(NEXT) | instid1(VALU_DEP_1)
	v_and_b32_e32 v3, 0x7f, v0
	v_cmpx_ne_u32_e32 0x7f, v3
	s_cbranch_execz .LBB272_279
; %bb.276:                              ;   in Loop: Header=BB272_9 Depth=1
	v_dual_lshrrev_b32 v2, 3, v3 :: v_dual_bitop2_b32 v1, 7, v0 bitop3:0x40
	s_mov_b32 s20, exec_lo
	v_cmpx_gt_u32_e32 8, v3
; %bb.277:                              ;   in Loop: Header=BB272_9 Depth=1
	s_delay_alu instid0(VALU_DEP_2) | instskip(NEXT) | instid1(VALU_DEP_1)
	v_clz_i32_u32_e32 v1, v1
	v_min_u32_e32 v1, 32, v1
	s_delay_alu instid0(VALU_DEP_1) | instskip(NEXT) | instid1(VALU_DEP_1)
	v_subrev_nc_u32_e32 v2, 28, v1
	v_lshlrev_b64_e32 v[4:5], v2, v[24:25]
	s_delay_alu instid0(VALU_DEP_1)
	v_dual_sub_nc_u32 v2, 29, v1 :: v_dual_bitop2_b32 v1, 7, v4 bitop3:0x40
; %bb.278:                              ;   in Loop: Header=BB272_9 Depth=1
	s_or_b32 exec_lo, exec_lo, s20
	s_delay_alu instid0(VALU_DEP_1) | instskip(NEXT) | instid1(VALU_DEP_2)
	v_dual_lshlrev_b32 v0, 8, v0 :: v_dual_lshlrev_b32 v1, 23, v1
	v_lshl_add_u32 v2, v2, 10, 0x2000
	s_delay_alu instid0(VALU_DEP_1) | instskip(NEXT) | instid1(VALU_DEP_1)
	v_and_or_b32 v0, 0x8000, v0, v2
	v_lshl_or_b32 v114, v0, 16, v1
.LBB272_279:                            ;   in Loop: Header=BB272_9 Depth=1
	s_or_b32 exec_lo, exec_lo, s19
.LBB272_280:                            ;   in Loop: Header=BB272_9 Depth=1
	s_delay_alu instid0(SALU_CYCLE_1)
	s_or_b32 exec_lo, exec_lo, s18
.LBB272_281:                            ;   in Loop: Header=BB272_9 Depth=1
	s_delay_alu instid0(SALU_CYCLE_1) | instskip(SKIP_3) | instid1(VALU_DEP_2)
	s_or_b32 exec_lo, exec_lo, s17
	v_dual_lshrrev_b32 v24, 16, v8 :: v_dual_mov_b32 v116, 0
	v_mov_b32_e32 v117, 0
	s_mov_b32 s17, exec_lo
	v_and_b32_e32 v0, 0xff, v24
	s_delay_alu instid0(VALU_DEP_1)
	v_cmpx_ne_u16_e32 0, v0
	s_cbranch_execz .LBB272_289
; %bb.282:                              ;   in Loop: Header=BB272_9 Depth=1
	v_mov_b32_e32 v117, 0x8000
	s_mov_b32 s18, exec_lo
	v_cmpx_ne_u16_e32 0x80, v0
	s_cbranch_execz .LBB272_288
; %bb.283:                              ;   in Loop: Header=BB272_9 Depth=1
	v_bfe_u32 v2, v8, 16, 7
	v_mov_b32_e32 v117, 0x7c01
	s_mov_b32 s19, exec_lo
	s_delay_alu instid0(VALU_DEP_2)
	v_cmpx_ne_u32_e32 0x7f, v2
	s_cbranch_execz .LBB272_287
; %bb.284:                              ;   in Loop: Header=BB272_9 Depth=1
	v_dual_lshrrev_b32 v1, 3, v2 :: v_dual_bitop2_b32 v0, 7, v24 bitop3:0x40
	s_mov_b32 s20, exec_lo
	v_cmpx_gt_u32_e32 8, v2
; %bb.285:                              ;   in Loop: Header=BB272_9 Depth=1
	s_delay_alu instid0(VALU_DEP_2) | instskip(NEXT) | instid1(VALU_DEP_1)
	v_clz_i32_u32_e32 v0, v0
	v_min_u32_e32 v2, 32, v0
	s_delay_alu instid0(VALU_DEP_1) | instskip(NEXT) | instid1(VALU_DEP_1)
	v_subrev_nc_u32_e32 v0, 28, v2
	v_lshlrev_b64_e32 v[0:1], v0, v[24:25]
	s_delay_alu instid0(VALU_DEP_1)
	v_dual_sub_nc_u32 v1, 29, v2 :: v_dual_bitop2_b32 v0, 7, v0 bitop3:0x40
; %bb.286:                              ;   in Loop: Header=BB272_9 Depth=1
	s_or_b32 exec_lo, exec_lo, s20
	v_lshlrev_b32_e32 v2, 8, v24
	s_delay_alu instid0(VALU_DEP_2) | instskip(NEXT) | instid1(VALU_DEP_3)
	v_lshl_add_u32 v1, v1, 10, 0x2000
	v_lshlrev_b32_e32 v0, 7, v0
	s_delay_alu instid0(VALU_DEP_3) | instskip(NEXT) | instid1(VALU_DEP_3)
	v_and_b32_e32 v2, 0x8000, v2
	v_and_b32_e32 v1, 0xfc00, v1
	s_delay_alu instid0(VALU_DEP_1)
	v_or3_b32 v117, v2, v1, v0
.LBB272_287:                            ;   in Loop: Header=BB272_9 Depth=1
	s_or_b32 exec_lo, exec_lo, s19
.LBB272_288:                            ;   in Loop: Header=BB272_9 Depth=1
	s_delay_alu instid0(SALU_CYCLE_1)
	s_or_b32 exec_lo, exec_lo, s18
.LBB272_289:                            ;   in Loop: Header=BB272_9 Depth=1
	s_delay_alu instid0(SALU_CYCLE_1) | instskip(NEXT) | instid1(SALU_CYCLE_1)
	s_or_b32 exec_lo, exec_lo, s17
	s_mov_b32 s17, exec_lo
	v_cmpx_lt_u32_e32 0xffffff, v8
	s_cbranch_execz .LBB272_297
; %bb.290:                              ;   in Loop: Header=BB272_9 Depth=1
	v_lshrrev_b32_e32 v24, 24, v8
	v_bfrev_b32_e32 v116, 1
	s_mov_b32 s18, exec_lo
	s_delay_alu instid0(VALU_DEP_2)
	v_cmpx_ne_u32_e32 0x80, v24
	s_cbranch_execz .LBB272_296
; %bb.291:                              ;   in Loop: Header=BB272_9 Depth=1
	v_and_b32_e32 v2, 0x7f, v24
	v_mov_b32_e32 v116, 0x7c010000
	s_mov_b32 s19, exec_lo
	s_delay_alu instid0(VALU_DEP_2)
	v_cmpx_ne_u32_e32 0x7f, v2
	s_cbranch_execz .LBB272_295
; %bb.292:                              ;   in Loop: Header=BB272_9 Depth=1
	v_dual_lshrrev_b32 v1, 3, v2 :: v_dual_bitop2_b32 v0, 7, v24 bitop3:0x40
	s_mov_b32 s20, exec_lo
	v_cmpx_gt_u32_e32 8, v2
; %bb.293:                              ;   in Loop: Header=BB272_9 Depth=1
	s_delay_alu instid0(VALU_DEP_2) | instskip(NEXT) | instid1(VALU_DEP_1)
	v_clz_i32_u32_e32 v0, v0
	v_min_u32_e32 v2, 32, v0
	s_delay_alu instid0(VALU_DEP_1) | instskip(NEXT) | instid1(VALU_DEP_1)
	v_subrev_nc_u32_e32 v0, 28, v2
	v_lshlrev_b64_e32 v[0:1], v0, v[24:25]
	s_delay_alu instid0(VALU_DEP_1)
	v_dual_sub_nc_u32 v1, 29, v2 :: v_dual_bitop2_b32 v0, 7, v0 bitop3:0x40
; %bb.294:                              ;   in Loop: Header=BB272_9 Depth=1
	s_or_b32 exec_lo, exec_lo, s20
	v_lshlrev_b32_e32 v2, 8, v24
	s_delay_alu instid0(VALU_DEP_2) | instskip(NEXT) | instid1(VALU_DEP_3)
	v_lshl_add_u32 v1, v1, 10, 0x2000
	v_lshlrev_b32_e32 v0, 23, v0
	s_delay_alu instid0(VALU_DEP_2) | instskip(NEXT) | instid1(VALU_DEP_1)
	v_and_or_b32 v1, 0x8000, v2, v1
	v_lshl_or_b32 v116, v1, 16, v0
.LBB272_295:                            ;   in Loop: Header=BB272_9 Depth=1
	s_or_b32 exec_lo, exec_lo, s19
.LBB272_296:                            ;   in Loop: Header=BB272_9 Depth=1
	s_delay_alu instid0(SALU_CYCLE_1)
	s_or_b32 exec_lo, exec_lo, s18
.LBB272_297:                            ;   in Loop: Header=BB272_9 Depth=1
	s_delay_alu instid0(SALU_CYCLE_1)
	s_or_b32 exec_lo, exec_lo, s17
	flat_load_b32 v8, v[28:29] offset:1032
	v_dual_mov_b32 v118, 0 :: v_dual_mov_b32 v119, 0
	s_mov_b32 s17, exec_lo
	s_wait_loadcnt_dscnt 0x0
	v_and_b32_e32 v0, 0xff, v8
	s_wait_xcnt 0x0
	s_delay_alu instid0(VALU_DEP_1)
	v_cmpx_ne_u16_e32 0, v0
	s_cbranch_execz .LBB272_305
; %bb.298:                              ;   in Loop: Header=BB272_9 Depth=1
	v_mov_b32_e32 v119, 0x8000
	s_mov_b32 s18, exec_lo
	v_cmpx_ne_u16_e32 0x80, v0
	s_cbranch_execz .LBB272_304
; %bb.299:                              ;   in Loop: Header=BB272_9 Depth=1
	v_and_b32_e32 v2, 0x7f, v8
	v_mov_b32_e32 v119, 0x7c01
	s_mov_b32 s19, exec_lo
	s_delay_alu instid0(VALU_DEP_2)
	v_cmpx_ne_u32_e32 0x7f, v2
	s_cbranch_execz .LBB272_303
; %bb.300:                              ;   in Loop: Header=BB272_9 Depth=1
	v_dual_lshrrev_b32 v1, 3, v2 :: v_dual_bitop2_b32 v0, 7, v8 bitop3:0x40
	s_mov_b32 s20, exec_lo
	v_cmpx_gt_u32_e32 8, v2
; %bb.301:                              ;   in Loop: Header=BB272_9 Depth=1
	s_delay_alu instid0(VALU_DEP_2) | instskip(NEXT) | instid1(VALU_DEP_1)
	v_clz_i32_u32_e32 v0, v0
	v_min_u32_e32 v2, 32, v0
	s_delay_alu instid0(VALU_DEP_1) | instskip(NEXT) | instid1(VALU_DEP_1)
	v_subrev_nc_u32_e32 v0, 28, v2
	v_lshlrev_b64_e32 v[0:1], v0, v[8:9]
	s_delay_alu instid0(VALU_DEP_1)
	v_dual_sub_nc_u32 v1, 29, v2 :: v_dual_bitop2_b32 v0, 7, v0 bitop3:0x40
; %bb.302:                              ;   in Loop: Header=BB272_9 Depth=1
	s_or_b32 exec_lo, exec_lo, s20
	v_lshlrev_b32_e32 v2, 8, v8
	s_delay_alu instid0(VALU_DEP_2) | instskip(NEXT) | instid1(VALU_DEP_3)
	v_lshl_add_u32 v1, v1, 10, 0x2000
	v_lshlrev_b32_e32 v0, 7, v0
	s_delay_alu instid0(VALU_DEP_3) | instskip(NEXT) | instid1(VALU_DEP_3)
	v_and_b32_e32 v2, 0x8000, v2
	v_and_b32_e32 v1, 0xfc00, v1
	s_delay_alu instid0(VALU_DEP_1)
	v_or3_b32 v119, v2, v1, v0
.LBB272_303:                            ;   in Loop: Header=BB272_9 Depth=1
	s_or_b32 exec_lo, exec_lo, s19
.LBB272_304:                            ;   in Loop: Header=BB272_9 Depth=1
	s_delay_alu instid0(SALU_CYCLE_1)
	s_or_b32 exec_lo, exec_lo, s18
.LBB272_305:                            ;   in Loop: Header=BB272_9 Depth=1
	s_delay_alu instid0(SALU_CYCLE_1) | instskip(SKIP_2) | instid1(VALU_DEP_1)
	s_or_b32 exec_lo, exec_lo, s17
	v_lshrrev_b16 v24, 8, v8
	s_mov_b32 s17, exec_lo
	v_cmpx_ne_u16_e32 0, v24
	s_cbranch_execz .LBB272_313
; %bb.306:                              ;   in Loop: Header=BB272_9 Depth=1
	v_bfrev_b32_e32 v118, 1
	s_mov_b32 s18, exec_lo
	v_cmpx_ne_u16_e32 0x80, v24
	s_cbranch_execz .LBB272_312
; %bb.307:                              ;   in Loop: Header=BB272_9 Depth=1
	v_and_b32_e32 v0, 0xffff, v24
	v_mov_b32_e32 v118, 0x7c010000
	s_mov_b32 s19, exec_lo
	s_delay_alu instid0(VALU_DEP_2) | instskip(NEXT) | instid1(VALU_DEP_1)
	v_and_b32_e32 v3, 0x7f, v0
	v_cmpx_ne_u32_e32 0x7f, v3
	s_cbranch_execz .LBB272_311
; %bb.308:                              ;   in Loop: Header=BB272_9 Depth=1
	v_dual_lshrrev_b32 v2, 3, v3 :: v_dual_bitop2_b32 v1, 7, v0 bitop3:0x40
	s_mov_b32 s20, exec_lo
	v_cmpx_gt_u32_e32 8, v3
; %bb.309:                              ;   in Loop: Header=BB272_9 Depth=1
	s_delay_alu instid0(VALU_DEP_2) | instskip(NEXT) | instid1(VALU_DEP_1)
	v_clz_i32_u32_e32 v1, v1
	v_min_u32_e32 v1, 32, v1
	s_delay_alu instid0(VALU_DEP_1) | instskip(NEXT) | instid1(VALU_DEP_1)
	v_subrev_nc_u32_e32 v2, 28, v1
	v_lshlrev_b64_e32 v[4:5], v2, v[24:25]
	s_delay_alu instid0(VALU_DEP_1)
	v_dual_sub_nc_u32 v2, 29, v1 :: v_dual_bitop2_b32 v1, 7, v4 bitop3:0x40
; %bb.310:                              ;   in Loop: Header=BB272_9 Depth=1
	s_or_b32 exec_lo, exec_lo, s20
	s_delay_alu instid0(VALU_DEP_1) | instskip(NEXT) | instid1(VALU_DEP_2)
	v_dual_lshlrev_b32 v0, 8, v0 :: v_dual_lshlrev_b32 v1, 23, v1
	v_lshl_add_u32 v2, v2, 10, 0x2000
	s_delay_alu instid0(VALU_DEP_1) | instskip(NEXT) | instid1(VALU_DEP_1)
	v_and_or_b32 v0, 0x8000, v0, v2
	v_lshl_or_b32 v118, v0, 16, v1
.LBB272_311:                            ;   in Loop: Header=BB272_9 Depth=1
	s_or_b32 exec_lo, exec_lo, s19
.LBB272_312:                            ;   in Loop: Header=BB272_9 Depth=1
	s_delay_alu instid0(SALU_CYCLE_1)
	s_or_b32 exec_lo, exec_lo, s18
.LBB272_313:                            ;   in Loop: Header=BB272_9 Depth=1
	s_delay_alu instid0(SALU_CYCLE_1) | instskip(SKIP_3) | instid1(VALU_DEP_2)
	s_or_b32 exec_lo, exec_lo, s17
	v_dual_lshrrev_b32 v24, 16, v8 :: v_dual_mov_b32 v40, 0
	v_mov_b32_e32 v41, 0
	s_mov_b32 s17, exec_lo
	v_and_b32_e32 v0, 0xff, v24
	s_delay_alu instid0(VALU_DEP_1)
	v_cmpx_ne_u16_e32 0, v0
	s_cbranch_execz .LBB272_321
; %bb.314:                              ;   in Loop: Header=BB272_9 Depth=1
	v_mov_b32_e32 v41, 0x8000
	s_mov_b32 s18, exec_lo
	v_cmpx_ne_u16_e32 0x80, v0
	s_cbranch_execz .LBB272_320
; %bb.315:                              ;   in Loop: Header=BB272_9 Depth=1
	v_bfe_u32 v2, v8, 16, 7
	v_mov_b32_e32 v41, 0x7c01
	s_mov_b32 s19, exec_lo
	s_delay_alu instid0(VALU_DEP_2)
	v_cmpx_ne_u32_e32 0x7f, v2
	s_cbranch_execz .LBB272_319
; %bb.316:                              ;   in Loop: Header=BB272_9 Depth=1
	v_dual_lshrrev_b32 v1, 3, v2 :: v_dual_bitop2_b32 v0, 7, v24 bitop3:0x40
	s_mov_b32 s20, exec_lo
	v_cmpx_gt_u32_e32 8, v2
; %bb.317:                              ;   in Loop: Header=BB272_9 Depth=1
	s_delay_alu instid0(VALU_DEP_2) | instskip(NEXT) | instid1(VALU_DEP_1)
	v_clz_i32_u32_e32 v0, v0
	v_min_u32_e32 v2, 32, v0
	s_delay_alu instid0(VALU_DEP_1) | instskip(NEXT) | instid1(VALU_DEP_1)
	v_subrev_nc_u32_e32 v0, 28, v2
	v_lshlrev_b64_e32 v[0:1], v0, v[24:25]
	s_delay_alu instid0(VALU_DEP_1)
	v_dual_sub_nc_u32 v1, 29, v2 :: v_dual_bitop2_b32 v0, 7, v0 bitop3:0x40
; %bb.318:                              ;   in Loop: Header=BB272_9 Depth=1
	s_or_b32 exec_lo, exec_lo, s20
	v_lshlrev_b32_e32 v2, 8, v24
	s_delay_alu instid0(VALU_DEP_2) | instskip(NEXT) | instid1(VALU_DEP_3)
	v_lshl_add_u32 v1, v1, 10, 0x2000
	v_lshlrev_b32_e32 v0, 7, v0
	s_delay_alu instid0(VALU_DEP_3) | instskip(NEXT) | instid1(VALU_DEP_3)
	v_and_b32_e32 v2, 0x8000, v2
	v_and_b32_e32 v1, 0xfc00, v1
	s_delay_alu instid0(VALU_DEP_1)
	v_or3_b32 v41, v2, v1, v0
.LBB272_319:                            ;   in Loop: Header=BB272_9 Depth=1
	s_or_b32 exec_lo, exec_lo, s19
.LBB272_320:                            ;   in Loop: Header=BB272_9 Depth=1
	s_delay_alu instid0(SALU_CYCLE_1)
	s_or_b32 exec_lo, exec_lo, s18
.LBB272_321:                            ;   in Loop: Header=BB272_9 Depth=1
	s_delay_alu instid0(SALU_CYCLE_1) | instskip(NEXT) | instid1(SALU_CYCLE_1)
	s_or_b32 exec_lo, exec_lo, s17
	s_mov_b32 s17, exec_lo
	v_cmpx_lt_u32_e32 0xffffff, v8
	s_cbranch_execz .LBB272_329
; %bb.322:                              ;   in Loop: Header=BB272_9 Depth=1
	v_lshrrev_b32_e32 v24, 24, v8
	v_bfrev_b32_e32 v40, 1
	s_mov_b32 s18, exec_lo
	s_delay_alu instid0(VALU_DEP_2)
	v_cmpx_ne_u32_e32 0x80, v24
	s_cbranch_execz .LBB272_328
; %bb.323:                              ;   in Loop: Header=BB272_9 Depth=1
	v_and_b32_e32 v2, 0x7f, v24
	v_mov_b32_e32 v40, 0x7c010000
	s_mov_b32 s19, exec_lo
	s_delay_alu instid0(VALU_DEP_2)
	v_cmpx_ne_u32_e32 0x7f, v2
	s_cbranch_execz .LBB272_327
; %bb.324:                              ;   in Loop: Header=BB272_9 Depth=1
	v_dual_lshrrev_b32 v1, 3, v2 :: v_dual_bitop2_b32 v0, 7, v24 bitop3:0x40
	s_mov_b32 s20, exec_lo
	v_cmpx_gt_u32_e32 8, v2
; %bb.325:                              ;   in Loop: Header=BB272_9 Depth=1
	s_delay_alu instid0(VALU_DEP_2) | instskip(NEXT) | instid1(VALU_DEP_1)
	v_clz_i32_u32_e32 v0, v0
	v_min_u32_e32 v2, 32, v0
	s_delay_alu instid0(VALU_DEP_1) | instskip(NEXT) | instid1(VALU_DEP_1)
	v_subrev_nc_u32_e32 v0, 28, v2
	v_lshlrev_b64_e32 v[0:1], v0, v[24:25]
	s_delay_alu instid0(VALU_DEP_1)
	v_dual_sub_nc_u32 v1, 29, v2 :: v_dual_bitop2_b32 v0, 7, v0 bitop3:0x40
; %bb.326:                              ;   in Loop: Header=BB272_9 Depth=1
	s_or_b32 exec_lo, exec_lo, s20
	v_lshlrev_b32_e32 v2, 8, v24
	s_delay_alu instid0(VALU_DEP_2) | instskip(NEXT) | instid1(VALU_DEP_3)
	v_lshl_add_u32 v1, v1, 10, 0x2000
	v_lshlrev_b32_e32 v0, 23, v0
	s_delay_alu instid0(VALU_DEP_2) | instskip(NEXT) | instid1(VALU_DEP_1)
	v_and_or_b32 v1, 0x8000, v2, v1
	v_lshl_or_b32 v40, v1, 16, v0
.LBB272_327:                            ;   in Loop: Header=BB272_9 Depth=1
	s_or_b32 exec_lo, exec_lo, s19
.LBB272_328:                            ;   in Loop: Header=BB272_9 Depth=1
	s_delay_alu instid0(SALU_CYCLE_1)
	s_or_b32 exec_lo, exec_lo, s18
.LBB272_329:                            ;   in Loop: Header=BB272_9 Depth=1
	s_delay_alu instid0(SALU_CYCLE_1)
	s_or_b32 exec_lo, exec_lo, s17
	flat_load_b32 v8, v[28:29] offset:1280
	v_dual_mov_b32 v42, 0 :: v_dual_mov_b32 v43, 0
	s_mov_b32 s17, exec_lo
	s_wait_loadcnt_dscnt 0x0
	v_and_b32_e32 v0, 0xff, v8
	s_wait_xcnt 0x0
	s_delay_alu instid0(VALU_DEP_1)
	v_cmpx_ne_u16_e32 0, v0
	s_cbranch_execz .LBB272_337
; %bb.330:                              ;   in Loop: Header=BB272_9 Depth=1
	v_mov_b32_e32 v43, 0x8000
	s_mov_b32 s18, exec_lo
	v_cmpx_ne_u16_e32 0x80, v0
	s_cbranch_execz .LBB272_336
; %bb.331:                              ;   in Loop: Header=BB272_9 Depth=1
	v_and_b32_e32 v2, 0x7f, v8
	v_mov_b32_e32 v43, 0x7c01
	s_mov_b32 s19, exec_lo
	s_delay_alu instid0(VALU_DEP_2)
	v_cmpx_ne_u32_e32 0x7f, v2
	s_cbranch_execz .LBB272_335
; %bb.332:                              ;   in Loop: Header=BB272_9 Depth=1
	v_dual_lshrrev_b32 v1, 3, v2 :: v_dual_bitop2_b32 v0, 7, v8 bitop3:0x40
	s_mov_b32 s20, exec_lo
	v_cmpx_gt_u32_e32 8, v2
; %bb.333:                              ;   in Loop: Header=BB272_9 Depth=1
	s_delay_alu instid0(VALU_DEP_2) | instskip(NEXT) | instid1(VALU_DEP_1)
	v_clz_i32_u32_e32 v0, v0
	v_min_u32_e32 v2, 32, v0
	s_delay_alu instid0(VALU_DEP_1) | instskip(NEXT) | instid1(VALU_DEP_1)
	v_subrev_nc_u32_e32 v0, 28, v2
	v_lshlrev_b64_e32 v[0:1], v0, v[8:9]
	s_delay_alu instid0(VALU_DEP_1)
	v_dual_sub_nc_u32 v1, 29, v2 :: v_dual_bitop2_b32 v0, 7, v0 bitop3:0x40
; %bb.334:                              ;   in Loop: Header=BB272_9 Depth=1
	s_or_b32 exec_lo, exec_lo, s20
	v_lshlrev_b32_e32 v2, 8, v8
	s_delay_alu instid0(VALU_DEP_2) | instskip(NEXT) | instid1(VALU_DEP_3)
	v_lshl_add_u32 v1, v1, 10, 0x2000
	v_lshlrev_b32_e32 v0, 7, v0
	s_delay_alu instid0(VALU_DEP_3) | instskip(NEXT) | instid1(VALU_DEP_3)
	v_and_b32_e32 v2, 0x8000, v2
	v_and_b32_e32 v1, 0xfc00, v1
	s_delay_alu instid0(VALU_DEP_1)
	v_or3_b32 v43, v2, v1, v0
.LBB272_335:                            ;   in Loop: Header=BB272_9 Depth=1
	s_or_b32 exec_lo, exec_lo, s19
.LBB272_336:                            ;   in Loop: Header=BB272_9 Depth=1
	s_delay_alu instid0(SALU_CYCLE_1)
	s_or_b32 exec_lo, exec_lo, s18
.LBB272_337:                            ;   in Loop: Header=BB272_9 Depth=1
	s_delay_alu instid0(SALU_CYCLE_1) | instskip(SKIP_2) | instid1(VALU_DEP_1)
	s_or_b32 exec_lo, exec_lo, s17
	v_lshrrev_b16 v24, 8, v8
	s_mov_b32 s17, exec_lo
	v_cmpx_ne_u16_e32 0, v24
	s_cbranch_execz .LBB272_345
; %bb.338:                              ;   in Loop: Header=BB272_9 Depth=1
	v_bfrev_b32_e32 v42, 1
	s_mov_b32 s18, exec_lo
	v_cmpx_ne_u16_e32 0x80, v24
	s_cbranch_execz .LBB272_344
; %bb.339:                              ;   in Loop: Header=BB272_9 Depth=1
	v_and_b32_e32 v0, 0xffff, v24
	v_mov_b32_e32 v42, 0x7c010000
	s_mov_b32 s19, exec_lo
	s_delay_alu instid0(VALU_DEP_2) | instskip(NEXT) | instid1(VALU_DEP_1)
	v_and_b32_e32 v3, 0x7f, v0
	v_cmpx_ne_u32_e32 0x7f, v3
	s_cbranch_execz .LBB272_343
; %bb.340:                              ;   in Loop: Header=BB272_9 Depth=1
	v_dual_lshrrev_b32 v2, 3, v3 :: v_dual_bitop2_b32 v1, 7, v0 bitop3:0x40
	s_mov_b32 s20, exec_lo
	v_cmpx_gt_u32_e32 8, v3
; %bb.341:                              ;   in Loop: Header=BB272_9 Depth=1
	s_delay_alu instid0(VALU_DEP_2) | instskip(NEXT) | instid1(VALU_DEP_1)
	v_clz_i32_u32_e32 v1, v1
	v_min_u32_e32 v1, 32, v1
	s_delay_alu instid0(VALU_DEP_1) | instskip(NEXT) | instid1(VALU_DEP_1)
	v_subrev_nc_u32_e32 v2, 28, v1
	v_lshlrev_b64_e32 v[4:5], v2, v[24:25]
	s_delay_alu instid0(VALU_DEP_1)
	v_dual_sub_nc_u32 v2, 29, v1 :: v_dual_bitop2_b32 v1, 7, v4 bitop3:0x40
; %bb.342:                              ;   in Loop: Header=BB272_9 Depth=1
	s_or_b32 exec_lo, exec_lo, s20
	s_delay_alu instid0(VALU_DEP_1) | instskip(NEXT) | instid1(VALU_DEP_2)
	v_dual_lshlrev_b32 v0, 8, v0 :: v_dual_lshlrev_b32 v1, 23, v1
	v_lshl_add_u32 v2, v2, 10, 0x2000
	s_delay_alu instid0(VALU_DEP_1) | instskip(NEXT) | instid1(VALU_DEP_1)
	v_and_or_b32 v0, 0x8000, v0, v2
	v_lshl_or_b32 v42, v0, 16, v1
.LBB272_343:                            ;   in Loop: Header=BB272_9 Depth=1
	s_or_b32 exec_lo, exec_lo, s19
.LBB272_344:                            ;   in Loop: Header=BB272_9 Depth=1
	s_delay_alu instid0(SALU_CYCLE_1)
	s_or_b32 exec_lo, exec_lo, s18
.LBB272_345:                            ;   in Loop: Header=BB272_9 Depth=1
	s_delay_alu instid0(SALU_CYCLE_1) | instskip(SKIP_3) | instid1(VALU_DEP_2)
	s_or_b32 exec_lo, exec_lo, s17
	v_dual_lshrrev_b32 v24, 16, v8 :: v_dual_mov_b32 v44, 0
	v_mov_b32_e32 v45, 0
	s_mov_b32 s17, exec_lo
	v_and_b32_e32 v0, 0xff, v24
	s_delay_alu instid0(VALU_DEP_1)
	v_cmpx_ne_u16_e32 0, v0
	s_cbranch_execz .LBB272_353
; %bb.346:                              ;   in Loop: Header=BB272_9 Depth=1
	v_mov_b32_e32 v45, 0x8000
	s_mov_b32 s18, exec_lo
	v_cmpx_ne_u16_e32 0x80, v0
	s_cbranch_execz .LBB272_352
; %bb.347:                              ;   in Loop: Header=BB272_9 Depth=1
	v_bfe_u32 v2, v8, 16, 7
	v_mov_b32_e32 v45, 0x7c01
	s_mov_b32 s19, exec_lo
	s_delay_alu instid0(VALU_DEP_2)
	v_cmpx_ne_u32_e32 0x7f, v2
	s_cbranch_execz .LBB272_351
; %bb.348:                              ;   in Loop: Header=BB272_9 Depth=1
	v_dual_lshrrev_b32 v1, 3, v2 :: v_dual_bitop2_b32 v0, 7, v24 bitop3:0x40
	s_mov_b32 s20, exec_lo
	v_cmpx_gt_u32_e32 8, v2
; %bb.349:                              ;   in Loop: Header=BB272_9 Depth=1
	s_delay_alu instid0(VALU_DEP_2) | instskip(NEXT) | instid1(VALU_DEP_1)
	v_clz_i32_u32_e32 v0, v0
	v_min_u32_e32 v2, 32, v0
	s_delay_alu instid0(VALU_DEP_1) | instskip(NEXT) | instid1(VALU_DEP_1)
	v_subrev_nc_u32_e32 v0, 28, v2
	v_lshlrev_b64_e32 v[0:1], v0, v[24:25]
	s_delay_alu instid0(VALU_DEP_1)
	v_dual_sub_nc_u32 v1, 29, v2 :: v_dual_bitop2_b32 v0, 7, v0 bitop3:0x40
; %bb.350:                              ;   in Loop: Header=BB272_9 Depth=1
	s_or_b32 exec_lo, exec_lo, s20
	v_lshlrev_b32_e32 v2, 8, v24
	s_delay_alu instid0(VALU_DEP_2) | instskip(NEXT) | instid1(VALU_DEP_3)
	v_lshl_add_u32 v1, v1, 10, 0x2000
	v_lshlrev_b32_e32 v0, 7, v0
	s_delay_alu instid0(VALU_DEP_3) | instskip(NEXT) | instid1(VALU_DEP_3)
	v_and_b32_e32 v2, 0x8000, v2
	v_and_b32_e32 v1, 0xfc00, v1
	s_delay_alu instid0(VALU_DEP_1)
	v_or3_b32 v45, v2, v1, v0
.LBB272_351:                            ;   in Loop: Header=BB272_9 Depth=1
	s_or_b32 exec_lo, exec_lo, s19
.LBB272_352:                            ;   in Loop: Header=BB272_9 Depth=1
	s_delay_alu instid0(SALU_CYCLE_1)
	s_or_b32 exec_lo, exec_lo, s18
.LBB272_353:                            ;   in Loop: Header=BB272_9 Depth=1
	s_delay_alu instid0(SALU_CYCLE_1) | instskip(NEXT) | instid1(SALU_CYCLE_1)
	s_or_b32 exec_lo, exec_lo, s17
	s_mov_b32 s17, exec_lo
	v_cmpx_lt_u32_e32 0xffffff, v8
	s_cbranch_execz .LBB272_361
; %bb.354:                              ;   in Loop: Header=BB272_9 Depth=1
	v_lshrrev_b32_e32 v24, 24, v8
	v_bfrev_b32_e32 v44, 1
	s_mov_b32 s18, exec_lo
	s_delay_alu instid0(VALU_DEP_2)
	v_cmpx_ne_u32_e32 0x80, v24
	s_cbranch_execz .LBB272_360
; %bb.355:                              ;   in Loop: Header=BB272_9 Depth=1
	v_and_b32_e32 v2, 0x7f, v24
	v_mov_b32_e32 v44, 0x7c010000
	s_mov_b32 s19, exec_lo
	s_delay_alu instid0(VALU_DEP_2)
	v_cmpx_ne_u32_e32 0x7f, v2
	s_cbranch_execz .LBB272_359
; %bb.356:                              ;   in Loop: Header=BB272_9 Depth=1
	v_dual_lshrrev_b32 v1, 3, v2 :: v_dual_bitop2_b32 v0, 7, v24 bitop3:0x40
	s_mov_b32 s20, exec_lo
	v_cmpx_gt_u32_e32 8, v2
; %bb.357:                              ;   in Loop: Header=BB272_9 Depth=1
	s_delay_alu instid0(VALU_DEP_2) | instskip(NEXT) | instid1(VALU_DEP_1)
	v_clz_i32_u32_e32 v0, v0
	v_min_u32_e32 v2, 32, v0
	s_delay_alu instid0(VALU_DEP_1) | instskip(NEXT) | instid1(VALU_DEP_1)
	v_subrev_nc_u32_e32 v0, 28, v2
	v_lshlrev_b64_e32 v[0:1], v0, v[24:25]
	s_delay_alu instid0(VALU_DEP_1)
	v_dual_sub_nc_u32 v1, 29, v2 :: v_dual_bitop2_b32 v0, 7, v0 bitop3:0x40
; %bb.358:                              ;   in Loop: Header=BB272_9 Depth=1
	s_or_b32 exec_lo, exec_lo, s20
	v_lshlrev_b32_e32 v2, 8, v24
	s_delay_alu instid0(VALU_DEP_2) | instskip(NEXT) | instid1(VALU_DEP_3)
	v_lshl_add_u32 v1, v1, 10, 0x2000
	v_lshlrev_b32_e32 v0, 23, v0
	s_delay_alu instid0(VALU_DEP_2) | instskip(NEXT) | instid1(VALU_DEP_1)
	v_and_or_b32 v1, 0x8000, v2, v1
	v_lshl_or_b32 v44, v1, 16, v0
.LBB272_359:                            ;   in Loop: Header=BB272_9 Depth=1
	s_or_b32 exec_lo, exec_lo, s19
.LBB272_360:                            ;   in Loop: Header=BB272_9 Depth=1
	s_delay_alu instid0(SALU_CYCLE_1)
	s_or_b32 exec_lo, exec_lo, s18
.LBB272_361:                            ;   in Loop: Header=BB272_9 Depth=1
	s_delay_alu instid0(SALU_CYCLE_1)
	s_or_b32 exec_lo, exec_lo, s17
	flat_load_b32 v8, v[28:29] offset:1288
	v_dual_mov_b32 v46, 0 :: v_dual_mov_b32 v47, 0
	s_mov_b32 s17, exec_lo
	s_wait_loadcnt_dscnt 0x0
	v_and_b32_e32 v0, 0xff, v8
	s_wait_xcnt 0x0
	s_delay_alu instid0(VALU_DEP_1)
	v_cmpx_ne_u16_e32 0, v0
	s_cbranch_execz .LBB272_369
; %bb.362:                              ;   in Loop: Header=BB272_9 Depth=1
	v_mov_b32_e32 v47, 0x8000
	s_mov_b32 s18, exec_lo
	v_cmpx_ne_u16_e32 0x80, v0
	s_cbranch_execz .LBB272_368
; %bb.363:                              ;   in Loop: Header=BB272_9 Depth=1
	v_and_b32_e32 v2, 0x7f, v8
	v_mov_b32_e32 v47, 0x7c01
	s_mov_b32 s19, exec_lo
	s_delay_alu instid0(VALU_DEP_2)
	v_cmpx_ne_u32_e32 0x7f, v2
	s_cbranch_execz .LBB272_367
; %bb.364:                              ;   in Loop: Header=BB272_9 Depth=1
	v_dual_lshrrev_b32 v1, 3, v2 :: v_dual_bitop2_b32 v0, 7, v8 bitop3:0x40
	s_mov_b32 s20, exec_lo
	v_cmpx_gt_u32_e32 8, v2
; %bb.365:                              ;   in Loop: Header=BB272_9 Depth=1
	s_delay_alu instid0(VALU_DEP_2) | instskip(NEXT) | instid1(VALU_DEP_1)
	v_clz_i32_u32_e32 v0, v0
	v_min_u32_e32 v2, 32, v0
	s_delay_alu instid0(VALU_DEP_1) | instskip(NEXT) | instid1(VALU_DEP_1)
	v_subrev_nc_u32_e32 v0, 28, v2
	v_lshlrev_b64_e32 v[0:1], v0, v[8:9]
	s_delay_alu instid0(VALU_DEP_1)
	v_dual_sub_nc_u32 v1, 29, v2 :: v_dual_bitop2_b32 v0, 7, v0 bitop3:0x40
; %bb.366:                              ;   in Loop: Header=BB272_9 Depth=1
	s_or_b32 exec_lo, exec_lo, s20
	v_lshlrev_b32_e32 v2, 8, v8
	s_delay_alu instid0(VALU_DEP_2) | instskip(NEXT) | instid1(VALU_DEP_3)
	v_lshl_add_u32 v1, v1, 10, 0x2000
	v_lshlrev_b32_e32 v0, 7, v0
	s_delay_alu instid0(VALU_DEP_3) | instskip(NEXT) | instid1(VALU_DEP_3)
	v_and_b32_e32 v2, 0x8000, v2
	v_and_b32_e32 v1, 0xfc00, v1
	s_delay_alu instid0(VALU_DEP_1)
	v_or3_b32 v47, v2, v1, v0
.LBB272_367:                            ;   in Loop: Header=BB272_9 Depth=1
	s_or_b32 exec_lo, exec_lo, s19
.LBB272_368:                            ;   in Loop: Header=BB272_9 Depth=1
	s_delay_alu instid0(SALU_CYCLE_1)
	s_or_b32 exec_lo, exec_lo, s18
.LBB272_369:                            ;   in Loop: Header=BB272_9 Depth=1
	s_delay_alu instid0(SALU_CYCLE_1) | instskip(SKIP_2) | instid1(VALU_DEP_1)
	s_or_b32 exec_lo, exec_lo, s17
	v_lshrrev_b16 v24, 8, v8
	s_mov_b32 s17, exec_lo
	v_cmpx_ne_u16_e32 0, v24
	s_cbranch_execz .LBB272_377
; %bb.370:                              ;   in Loop: Header=BB272_9 Depth=1
	v_bfrev_b32_e32 v46, 1
	s_mov_b32 s18, exec_lo
	v_cmpx_ne_u16_e32 0x80, v24
	s_cbranch_execz .LBB272_376
; %bb.371:                              ;   in Loop: Header=BB272_9 Depth=1
	v_and_b32_e32 v0, 0xffff, v24
	v_mov_b32_e32 v46, 0x7c010000
	s_mov_b32 s19, exec_lo
	s_delay_alu instid0(VALU_DEP_2) | instskip(NEXT) | instid1(VALU_DEP_1)
	v_and_b32_e32 v3, 0x7f, v0
	v_cmpx_ne_u32_e32 0x7f, v3
	s_cbranch_execz .LBB272_375
; %bb.372:                              ;   in Loop: Header=BB272_9 Depth=1
	v_dual_lshrrev_b32 v2, 3, v3 :: v_dual_bitop2_b32 v1, 7, v0 bitop3:0x40
	s_mov_b32 s20, exec_lo
	v_cmpx_gt_u32_e32 8, v3
; %bb.373:                              ;   in Loop: Header=BB272_9 Depth=1
	s_delay_alu instid0(VALU_DEP_2) | instskip(NEXT) | instid1(VALU_DEP_1)
	v_clz_i32_u32_e32 v1, v1
	v_min_u32_e32 v1, 32, v1
	s_delay_alu instid0(VALU_DEP_1) | instskip(NEXT) | instid1(VALU_DEP_1)
	v_subrev_nc_u32_e32 v2, 28, v1
	v_lshlrev_b64_e32 v[4:5], v2, v[24:25]
	s_delay_alu instid0(VALU_DEP_1)
	v_dual_sub_nc_u32 v2, 29, v1 :: v_dual_bitop2_b32 v1, 7, v4 bitop3:0x40
; %bb.374:                              ;   in Loop: Header=BB272_9 Depth=1
	s_or_b32 exec_lo, exec_lo, s20
	s_delay_alu instid0(VALU_DEP_1) | instskip(NEXT) | instid1(VALU_DEP_2)
	v_dual_lshlrev_b32 v0, 8, v0 :: v_dual_lshlrev_b32 v1, 23, v1
	v_lshl_add_u32 v2, v2, 10, 0x2000
	s_delay_alu instid0(VALU_DEP_1) | instskip(NEXT) | instid1(VALU_DEP_1)
	v_and_or_b32 v0, 0x8000, v0, v2
	v_lshl_or_b32 v46, v0, 16, v1
.LBB272_375:                            ;   in Loop: Header=BB272_9 Depth=1
	s_or_b32 exec_lo, exec_lo, s19
.LBB272_376:                            ;   in Loop: Header=BB272_9 Depth=1
	s_delay_alu instid0(SALU_CYCLE_1)
	s_or_b32 exec_lo, exec_lo, s18
.LBB272_377:                            ;   in Loop: Header=BB272_9 Depth=1
	s_delay_alu instid0(SALU_CYCLE_1) | instskip(SKIP_3) | instid1(VALU_DEP_2)
	s_or_b32 exec_lo, exec_lo, s17
	v_dual_lshrrev_b32 v24, 16, v8 :: v_dual_mov_b32 v56, 0
	v_mov_b32_e32 v57, 0
	s_mov_b32 s17, exec_lo
	v_and_b32_e32 v0, 0xff, v24
	s_delay_alu instid0(VALU_DEP_1)
	v_cmpx_ne_u16_e32 0, v0
	s_cbranch_execz .LBB272_385
; %bb.378:                              ;   in Loop: Header=BB272_9 Depth=1
	v_mov_b32_e32 v57, 0x8000
	s_mov_b32 s18, exec_lo
	v_cmpx_ne_u16_e32 0x80, v0
	s_cbranch_execz .LBB272_384
; %bb.379:                              ;   in Loop: Header=BB272_9 Depth=1
	v_bfe_u32 v2, v8, 16, 7
	v_mov_b32_e32 v57, 0x7c01
	s_mov_b32 s19, exec_lo
	s_delay_alu instid0(VALU_DEP_2)
	v_cmpx_ne_u32_e32 0x7f, v2
	s_cbranch_execz .LBB272_383
; %bb.380:                              ;   in Loop: Header=BB272_9 Depth=1
	v_dual_lshrrev_b32 v1, 3, v2 :: v_dual_bitop2_b32 v0, 7, v24 bitop3:0x40
	s_mov_b32 s20, exec_lo
	v_cmpx_gt_u32_e32 8, v2
; %bb.381:                              ;   in Loop: Header=BB272_9 Depth=1
	s_delay_alu instid0(VALU_DEP_2) | instskip(NEXT) | instid1(VALU_DEP_1)
	v_clz_i32_u32_e32 v0, v0
	v_min_u32_e32 v2, 32, v0
	s_delay_alu instid0(VALU_DEP_1) | instskip(NEXT) | instid1(VALU_DEP_1)
	v_subrev_nc_u32_e32 v0, 28, v2
	v_lshlrev_b64_e32 v[0:1], v0, v[24:25]
	s_delay_alu instid0(VALU_DEP_1)
	v_dual_sub_nc_u32 v1, 29, v2 :: v_dual_bitop2_b32 v0, 7, v0 bitop3:0x40
; %bb.382:                              ;   in Loop: Header=BB272_9 Depth=1
	s_or_b32 exec_lo, exec_lo, s20
	v_lshlrev_b32_e32 v2, 8, v24
	s_delay_alu instid0(VALU_DEP_2) | instskip(NEXT) | instid1(VALU_DEP_3)
	v_lshl_add_u32 v1, v1, 10, 0x2000
	v_lshlrev_b32_e32 v0, 7, v0
	s_delay_alu instid0(VALU_DEP_3) | instskip(NEXT) | instid1(VALU_DEP_3)
	v_and_b32_e32 v2, 0x8000, v2
	v_and_b32_e32 v1, 0xfc00, v1
	s_delay_alu instid0(VALU_DEP_1)
	v_or3_b32 v57, v2, v1, v0
.LBB272_383:                            ;   in Loop: Header=BB272_9 Depth=1
	s_or_b32 exec_lo, exec_lo, s19
.LBB272_384:                            ;   in Loop: Header=BB272_9 Depth=1
	s_delay_alu instid0(SALU_CYCLE_1)
	s_or_b32 exec_lo, exec_lo, s18
.LBB272_385:                            ;   in Loop: Header=BB272_9 Depth=1
	s_delay_alu instid0(SALU_CYCLE_1) | instskip(NEXT) | instid1(SALU_CYCLE_1)
	s_or_b32 exec_lo, exec_lo, s17
	s_mov_b32 s17, exec_lo
	v_cmpx_lt_u32_e32 0xffffff, v8
	s_cbranch_execz .LBB272_393
; %bb.386:                              ;   in Loop: Header=BB272_9 Depth=1
	v_lshrrev_b32_e32 v24, 24, v8
	v_bfrev_b32_e32 v56, 1
	s_mov_b32 s18, exec_lo
	s_delay_alu instid0(VALU_DEP_2)
	v_cmpx_ne_u32_e32 0x80, v24
	s_cbranch_execz .LBB272_392
; %bb.387:                              ;   in Loop: Header=BB272_9 Depth=1
	v_and_b32_e32 v2, 0x7f, v24
	v_mov_b32_e32 v56, 0x7c010000
	s_mov_b32 s19, exec_lo
	s_delay_alu instid0(VALU_DEP_2)
	v_cmpx_ne_u32_e32 0x7f, v2
	s_cbranch_execz .LBB272_391
; %bb.388:                              ;   in Loop: Header=BB272_9 Depth=1
	v_dual_lshrrev_b32 v1, 3, v2 :: v_dual_bitop2_b32 v0, 7, v24 bitop3:0x40
	s_mov_b32 s20, exec_lo
	v_cmpx_gt_u32_e32 8, v2
; %bb.389:                              ;   in Loop: Header=BB272_9 Depth=1
	s_delay_alu instid0(VALU_DEP_2) | instskip(NEXT) | instid1(VALU_DEP_1)
	v_clz_i32_u32_e32 v0, v0
	v_min_u32_e32 v2, 32, v0
	s_delay_alu instid0(VALU_DEP_1) | instskip(NEXT) | instid1(VALU_DEP_1)
	v_subrev_nc_u32_e32 v0, 28, v2
	v_lshlrev_b64_e32 v[0:1], v0, v[24:25]
	s_delay_alu instid0(VALU_DEP_1)
	v_dual_sub_nc_u32 v1, 29, v2 :: v_dual_bitop2_b32 v0, 7, v0 bitop3:0x40
; %bb.390:                              ;   in Loop: Header=BB272_9 Depth=1
	s_or_b32 exec_lo, exec_lo, s20
	v_lshlrev_b32_e32 v2, 8, v24
	s_delay_alu instid0(VALU_DEP_2) | instskip(NEXT) | instid1(VALU_DEP_3)
	v_lshl_add_u32 v1, v1, 10, 0x2000
	v_lshlrev_b32_e32 v0, 23, v0
	s_delay_alu instid0(VALU_DEP_2) | instskip(NEXT) | instid1(VALU_DEP_1)
	v_and_or_b32 v1, 0x8000, v2, v1
	v_lshl_or_b32 v56, v1, 16, v0
.LBB272_391:                            ;   in Loop: Header=BB272_9 Depth=1
	s_or_b32 exec_lo, exec_lo, s19
.LBB272_392:                            ;   in Loop: Header=BB272_9 Depth=1
	s_delay_alu instid0(SALU_CYCLE_1)
	s_or_b32 exec_lo, exec_lo, s18
.LBB272_393:                            ;   in Loop: Header=BB272_9 Depth=1
	s_delay_alu instid0(SALU_CYCLE_1)
	s_or_b32 exec_lo, exec_lo, s17
	flat_load_b32 v8, v[28:29] offset:1536
	v_dual_mov_b32 v62, 0 :: v_dual_mov_b32 v63, 0
	s_mov_b32 s17, exec_lo
	s_wait_loadcnt_dscnt 0x0
	v_and_b32_e32 v0, 0xff, v8
	s_wait_xcnt 0x0
	s_delay_alu instid0(VALU_DEP_1)
	v_cmpx_ne_u16_e32 0, v0
	s_cbranch_execz .LBB272_401
; %bb.394:                              ;   in Loop: Header=BB272_9 Depth=1
	v_mov_b32_e32 v63, 0x8000
	s_mov_b32 s18, exec_lo
	v_cmpx_ne_u16_e32 0x80, v0
	s_cbranch_execz .LBB272_400
; %bb.395:                              ;   in Loop: Header=BB272_9 Depth=1
	v_and_b32_e32 v2, 0x7f, v8
	v_mov_b32_e32 v63, 0x7c01
	s_mov_b32 s19, exec_lo
	s_delay_alu instid0(VALU_DEP_2)
	v_cmpx_ne_u32_e32 0x7f, v2
	s_cbranch_execz .LBB272_399
; %bb.396:                              ;   in Loop: Header=BB272_9 Depth=1
	v_dual_lshrrev_b32 v1, 3, v2 :: v_dual_bitop2_b32 v0, 7, v8 bitop3:0x40
	s_mov_b32 s20, exec_lo
	v_cmpx_gt_u32_e32 8, v2
; %bb.397:                              ;   in Loop: Header=BB272_9 Depth=1
	s_delay_alu instid0(VALU_DEP_2) | instskip(NEXT) | instid1(VALU_DEP_1)
	v_clz_i32_u32_e32 v0, v0
	v_min_u32_e32 v2, 32, v0
	s_delay_alu instid0(VALU_DEP_1) | instskip(NEXT) | instid1(VALU_DEP_1)
	v_subrev_nc_u32_e32 v0, 28, v2
	v_lshlrev_b64_e32 v[0:1], v0, v[8:9]
	s_delay_alu instid0(VALU_DEP_1)
	v_dual_sub_nc_u32 v1, 29, v2 :: v_dual_bitop2_b32 v0, 7, v0 bitop3:0x40
; %bb.398:                              ;   in Loop: Header=BB272_9 Depth=1
	s_or_b32 exec_lo, exec_lo, s20
	v_lshlrev_b32_e32 v2, 8, v8
	s_delay_alu instid0(VALU_DEP_2) | instskip(NEXT) | instid1(VALU_DEP_3)
	v_lshl_add_u32 v1, v1, 10, 0x2000
	v_lshlrev_b32_e32 v0, 7, v0
	s_delay_alu instid0(VALU_DEP_3) | instskip(NEXT) | instid1(VALU_DEP_3)
	v_and_b32_e32 v2, 0x8000, v2
	v_and_b32_e32 v1, 0xfc00, v1
	s_delay_alu instid0(VALU_DEP_1)
	v_or3_b32 v63, v2, v1, v0
.LBB272_399:                            ;   in Loop: Header=BB272_9 Depth=1
	s_or_b32 exec_lo, exec_lo, s19
.LBB272_400:                            ;   in Loop: Header=BB272_9 Depth=1
	s_delay_alu instid0(SALU_CYCLE_1)
	s_or_b32 exec_lo, exec_lo, s18
.LBB272_401:                            ;   in Loop: Header=BB272_9 Depth=1
	s_delay_alu instid0(SALU_CYCLE_1) | instskip(SKIP_2) | instid1(VALU_DEP_1)
	s_or_b32 exec_lo, exec_lo, s17
	v_lshrrev_b16 v24, 8, v8
	s_mov_b32 s17, exec_lo
	v_cmpx_ne_u16_e32 0, v24
	s_cbranch_execz .LBB272_409
; %bb.402:                              ;   in Loop: Header=BB272_9 Depth=1
	v_bfrev_b32_e32 v62, 1
	s_mov_b32 s18, exec_lo
	v_cmpx_ne_u16_e32 0x80, v24
	s_cbranch_execz .LBB272_408
; %bb.403:                              ;   in Loop: Header=BB272_9 Depth=1
	v_and_b32_e32 v0, 0xffff, v24
	v_mov_b32_e32 v62, 0x7c010000
	s_mov_b32 s19, exec_lo
	s_delay_alu instid0(VALU_DEP_2) | instskip(NEXT) | instid1(VALU_DEP_1)
	v_and_b32_e32 v3, 0x7f, v0
	v_cmpx_ne_u32_e32 0x7f, v3
	s_cbranch_execz .LBB272_407
; %bb.404:                              ;   in Loop: Header=BB272_9 Depth=1
	v_dual_lshrrev_b32 v2, 3, v3 :: v_dual_bitop2_b32 v1, 7, v0 bitop3:0x40
	s_mov_b32 s20, exec_lo
	v_cmpx_gt_u32_e32 8, v3
; %bb.405:                              ;   in Loop: Header=BB272_9 Depth=1
	s_delay_alu instid0(VALU_DEP_2) | instskip(NEXT) | instid1(VALU_DEP_1)
	v_clz_i32_u32_e32 v1, v1
	v_min_u32_e32 v1, 32, v1
	s_delay_alu instid0(VALU_DEP_1) | instskip(NEXT) | instid1(VALU_DEP_1)
	v_subrev_nc_u32_e32 v2, 28, v1
	v_lshlrev_b64_e32 v[4:5], v2, v[24:25]
	s_delay_alu instid0(VALU_DEP_1)
	v_dual_sub_nc_u32 v2, 29, v1 :: v_dual_bitop2_b32 v1, 7, v4 bitop3:0x40
; %bb.406:                              ;   in Loop: Header=BB272_9 Depth=1
	s_or_b32 exec_lo, exec_lo, s20
	s_delay_alu instid0(VALU_DEP_1) | instskip(NEXT) | instid1(VALU_DEP_2)
	v_dual_lshlrev_b32 v0, 8, v0 :: v_dual_lshlrev_b32 v1, 23, v1
	v_lshl_add_u32 v2, v2, 10, 0x2000
	s_delay_alu instid0(VALU_DEP_1) | instskip(NEXT) | instid1(VALU_DEP_1)
	v_and_or_b32 v0, 0x8000, v0, v2
	v_lshl_or_b32 v62, v0, 16, v1
.LBB272_407:                            ;   in Loop: Header=BB272_9 Depth=1
	s_or_b32 exec_lo, exec_lo, s19
.LBB272_408:                            ;   in Loop: Header=BB272_9 Depth=1
	s_delay_alu instid0(SALU_CYCLE_1)
	s_or_b32 exec_lo, exec_lo, s18
.LBB272_409:                            ;   in Loop: Header=BB272_9 Depth=1
	s_delay_alu instid0(SALU_CYCLE_1) | instskip(SKIP_3) | instid1(VALU_DEP_2)
	s_or_b32 exec_lo, exec_lo, s17
	v_dual_mov_b32 v75, 0 :: v_dual_lshrrev_b32 v24, 16, v8
	v_mov_b32_e32 v76, 0
	s_mov_b32 s17, exec_lo
	v_and_b32_e32 v0, 0xff, v24
	s_delay_alu instid0(VALU_DEP_1)
	v_cmpx_ne_u16_e32 0, v0
	s_cbranch_execz .LBB272_417
; %bb.410:                              ;   in Loop: Header=BB272_9 Depth=1
	v_mov_b32_e32 v76, 0x8000
	s_mov_b32 s18, exec_lo
	v_cmpx_ne_u16_e32 0x80, v0
	s_cbranch_execz .LBB272_416
; %bb.411:                              ;   in Loop: Header=BB272_9 Depth=1
	v_bfe_u32 v2, v8, 16, 7
	v_mov_b32_e32 v76, 0x7c01
	s_mov_b32 s19, exec_lo
	s_delay_alu instid0(VALU_DEP_2)
	v_cmpx_ne_u32_e32 0x7f, v2
	s_cbranch_execz .LBB272_415
; %bb.412:                              ;   in Loop: Header=BB272_9 Depth=1
	v_dual_lshrrev_b32 v1, 3, v2 :: v_dual_bitop2_b32 v0, 7, v24 bitop3:0x40
	s_mov_b32 s20, exec_lo
	v_cmpx_gt_u32_e32 8, v2
; %bb.413:                              ;   in Loop: Header=BB272_9 Depth=1
	s_delay_alu instid0(VALU_DEP_2) | instskip(NEXT) | instid1(VALU_DEP_1)
	v_clz_i32_u32_e32 v0, v0
	v_min_u32_e32 v2, 32, v0
	s_delay_alu instid0(VALU_DEP_1) | instskip(NEXT) | instid1(VALU_DEP_1)
	v_subrev_nc_u32_e32 v0, 28, v2
	v_lshlrev_b64_e32 v[0:1], v0, v[24:25]
	s_delay_alu instid0(VALU_DEP_1)
	v_dual_sub_nc_u32 v1, 29, v2 :: v_dual_bitop2_b32 v0, 7, v0 bitop3:0x40
; %bb.414:                              ;   in Loop: Header=BB272_9 Depth=1
	s_or_b32 exec_lo, exec_lo, s20
	v_lshlrev_b32_e32 v2, 8, v24
	s_delay_alu instid0(VALU_DEP_2) | instskip(NEXT) | instid1(VALU_DEP_3)
	v_lshl_add_u32 v1, v1, 10, 0x2000
	v_lshlrev_b32_e32 v0, 7, v0
	s_delay_alu instid0(VALU_DEP_3) | instskip(NEXT) | instid1(VALU_DEP_3)
	v_and_b32_e32 v2, 0x8000, v2
	v_and_b32_e32 v1, 0xfc00, v1
	s_delay_alu instid0(VALU_DEP_1)
	v_or3_b32 v76, v2, v1, v0
.LBB272_415:                            ;   in Loop: Header=BB272_9 Depth=1
	s_or_b32 exec_lo, exec_lo, s19
.LBB272_416:                            ;   in Loop: Header=BB272_9 Depth=1
	s_delay_alu instid0(SALU_CYCLE_1)
	s_or_b32 exec_lo, exec_lo, s18
.LBB272_417:                            ;   in Loop: Header=BB272_9 Depth=1
	s_delay_alu instid0(SALU_CYCLE_1) | instskip(NEXT) | instid1(SALU_CYCLE_1)
	s_or_b32 exec_lo, exec_lo, s17
	s_mov_b32 s17, exec_lo
	v_cmpx_lt_u32_e32 0xffffff, v8
	s_cbranch_execz .LBB272_425
; %bb.418:                              ;   in Loop: Header=BB272_9 Depth=1
	v_lshrrev_b32_e32 v24, 24, v8
	v_bfrev_b32_e32 v75, 1
	s_mov_b32 s18, exec_lo
	s_delay_alu instid0(VALU_DEP_2)
	v_cmpx_ne_u32_e32 0x80, v24
	s_cbranch_execz .LBB272_424
; %bb.419:                              ;   in Loop: Header=BB272_9 Depth=1
	v_and_b32_e32 v2, 0x7f, v24
	v_mov_b32_e32 v75, 0x7c010000
	s_mov_b32 s19, exec_lo
	s_delay_alu instid0(VALU_DEP_2)
	v_cmpx_ne_u32_e32 0x7f, v2
	s_cbranch_execz .LBB272_423
; %bb.420:                              ;   in Loop: Header=BB272_9 Depth=1
	v_dual_lshrrev_b32 v1, 3, v2 :: v_dual_bitop2_b32 v0, 7, v24 bitop3:0x40
	s_mov_b32 s20, exec_lo
	v_cmpx_gt_u32_e32 8, v2
; %bb.421:                              ;   in Loop: Header=BB272_9 Depth=1
	s_delay_alu instid0(VALU_DEP_2) | instskip(NEXT) | instid1(VALU_DEP_1)
	v_clz_i32_u32_e32 v0, v0
	v_min_u32_e32 v2, 32, v0
	s_delay_alu instid0(VALU_DEP_1) | instskip(NEXT) | instid1(VALU_DEP_1)
	v_subrev_nc_u32_e32 v0, 28, v2
	v_lshlrev_b64_e32 v[0:1], v0, v[24:25]
	s_delay_alu instid0(VALU_DEP_1)
	v_dual_sub_nc_u32 v1, 29, v2 :: v_dual_bitop2_b32 v0, 7, v0 bitop3:0x40
; %bb.422:                              ;   in Loop: Header=BB272_9 Depth=1
	s_or_b32 exec_lo, exec_lo, s20
	v_lshlrev_b32_e32 v2, 8, v24
	s_delay_alu instid0(VALU_DEP_2) | instskip(NEXT) | instid1(VALU_DEP_3)
	v_lshl_add_u32 v1, v1, 10, 0x2000
	v_lshlrev_b32_e32 v0, 23, v0
	s_delay_alu instid0(VALU_DEP_2) | instskip(NEXT) | instid1(VALU_DEP_1)
	v_and_or_b32 v1, 0x8000, v2, v1
	v_lshl_or_b32 v75, v1, 16, v0
.LBB272_423:                            ;   in Loop: Header=BB272_9 Depth=1
	s_or_b32 exec_lo, exec_lo, s19
.LBB272_424:                            ;   in Loop: Header=BB272_9 Depth=1
	s_delay_alu instid0(SALU_CYCLE_1)
	s_or_b32 exec_lo, exec_lo, s18
.LBB272_425:                            ;   in Loop: Header=BB272_9 Depth=1
	s_delay_alu instid0(SALU_CYCLE_1)
	s_or_b32 exec_lo, exec_lo, s17
	flat_load_b32 v8, v[28:29] offset:1544
	v_dual_mov_b32 v79, 0 :: v_dual_mov_b32 v89, 0
	s_mov_b32 s17, exec_lo
	s_wait_loadcnt_dscnt 0x0
	v_and_b32_e32 v0, 0xff, v8
	s_wait_xcnt 0x0
	s_delay_alu instid0(VALU_DEP_1)
	v_cmpx_ne_u16_e32 0, v0
	s_cbranch_execz .LBB272_433
; %bb.426:                              ;   in Loop: Header=BB272_9 Depth=1
	v_mov_b32_e32 v89, 0x8000
	s_mov_b32 s18, exec_lo
	v_cmpx_ne_u16_e32 0x80, v0
	s_cbranch_execz .LBB272_432
; %bb.427:                              ;   in Loop: Header=BB272_9 Depth=1
	v_and_b32_e32 v2, 0x7f, v8
	v_mov_b32_e32 v89, 0x7c01
	s_mov_b32 s19, exec_lo
	s_delay_alu instid0(VALU_DEP_2)
	v_cmpx_ne_u32_e32 0x7f, v2
	s_cbranch_execz .LBB272_431
; %bb.428:                              ;   in Loop: Header=BB272_9 Depth=1
	v_dual_lshrrev_b32 v1, 3, v2 :: v_dual_bitop2_b32 v0, 7, v8 bitop3:0x40
	s_mov_b32 s20, exec_lo
	v_cmpx_gt_u32_e32 8, v2
; %bb.429:                              ;   in Loop: Header=BB272_9 Depth=1
	s_delay_alu instid0(VALU_DEP_2) | instskip(NEXT) | instid1(VALU_DEP_1)
	v_clz_i32_u32_e32 v0, v0
	v_min_u32_e32 v2, 32, v0
	s_delay_alu instid0(VALU_DEP_1) | instskip(NEXT) | instid1(VALU_DEP_1)
	v_subrev_nc_u32_e32 v0, 28, v2
	v_lshlrev_b64_e32 v[0:1], v0, v[8:9]
	s_delay_alu instid0(VALU_DEP_1)
	v_dual_sub_nc_u32 v1, 29, v2 :: v_dual_bitop2_b32 v0, 7, v0 bitop3:0x40
; %bb.430:                              ;   in Loop: Header=BB272_9 Depth=1
	s_or_b32 exec_lo, exec_lo, s20
	v_lshlrev_b32_e32 v2, 8, v8
	s_delay_alu instid0(VALU_DEP_2) | instskip(NEXT) | instid1(VALU_DEP_3)
	v_lshl_add_u32 v1, v1, 10, 0x2000
	v_lshlrev_b32_e32 v0, 7, v0
	s_delay_alu instid0(VALU_DEP_3) | instskip(NEXT) | instid1(VALU_DEP_3)
	v_and_b32_e32 v2, 0x8000, v2
	v_and_b32_e32 v1, 0xfc00, v1
	s_delay_alu instid0(VALU_DEP_1)
	v_or3_b32 v89, v2, v1, v0
.LBB272_431:                            ;   in Loop: Header=BB272_9 Depth=1
	s_or_b32 exec_lo, exec_lo, s19
.LBB272_432:                            ;   in Loop: Header=BB272_9 Depth=1
	s_delay_alu instid0(SALU_CYCLE_1)
	s_or_b32 exec_lo, exec_lo, s18
.LBB272_433:                            ;   in Loop: Header=BB272_9 Depth=1
	s_delay_alu instid0(SALU_CYCLE_1) | instskip(SKIP_2) | instid1(VALU_DEP_1)
	s_or_b32 exec_lo, exec_lo, s17
	v_lshrrev_b16 v24, 8, v8
	s_mov_b32 s17, exec_lo
	v_cmpx_ne_u16_e32 0, v24
	s_cbranch_execz .LBB272_441
; %bb.434:                              ;   in Loop: Header=BB272_9 Depth=1
	v_bfrev_b32_e32 v79, 1
	s_mov_b32 s18, exec_lo
	v_cmpx_ne_u16_e32 0x80, v24
	s_cbranch_execz .LBB272_440
; %bb.435:                              ;   in Loop: Header=BB272_9 Depth=1
	v_and_b32_e32 v0, 0xffff, v24
	v_mov_b32_e32 v79, 0x7c010000
	s_mov_b32 s19, exec_lo
	s_delay_alu instid0(VALU_DEP_2) | instskip(NEXT) | instid1(VALU_DEP_1)
	v_and_b32_e32 v3, 0x7f, v0
	v_cmpx_ne_u32_e32 0x7f, v3
	s_cbranch_execz .LBB272_439
; %bb.436:                              ;   in Loop: Header=BB272_9 Depth=1
	v_dual_lshrrev_b32 v2, 3, v3 :: v_dual_bitop2_b32 v1, 7, v0 bitop3:0x40
	s_mov_b32 s20, exec_lo
	v_cmpx_gt_u32_e32 8, v3
; %bb.437:                              ;   in Loop: Header=BB272_9 Depth=1
	s_delay_alu instid0(VALU_DEP_2) | instskip(NEXT) | instid1(VALU_DEP_1)
	v_clz_i32_u32_e32 v1, v1
	v_min_u32_e32 v1, 32, v1
	s_delay_alu instid0(VALU_DEP_1) | instskip(NEXT) | instid1(VALU_DEP_1)
	v_subrev_nc_u32_e32 v2, 28, v1
	v_lshlrev_b64_e32 v[4:5], v2, v[24:25]
	s_delay_alu instid0(VALU_DEP_1)
	v_dual_sub_nc_u32 v2, 29, v1 :: v_dual_bitop2_b32 v1, 7, v4 bitop3:0x40
; %bb.438:                              ;   in Loop: Header=BB272_9 Depth=1
	s_or_b32 exec_lo, exec_lo, s20
	s_delay_alu instid0(VALU_DEP_1) | instskip(NEXT) | instid1(VALU_DEP_2)
	v_dual_lshlrev_b32 v0, 8, v0 :: v_dual_lshlrev_b32 v1, 23, v1
	v_lshl_add_u32 v2, v2, 10, 0x2000
	s_delay_alu instid0(VALU_DEP_1) | instskip(NEXT) | instid1(VALU_DEP_1)
	v_and_or_b32 v0, 0x8000, v0, v2
	v_lshl_or_b32 v79, v0, 16, v1
.LBB272_439:                            ;   in Loop: Header=BB272_9 Depth=1
	s_or_b32 exec_lo, exec_lo, s19
.LBB272_440:                            ;   in Loop: Header=BB272_9 Depth=1
	s_delay_alu instid0(SALU_CYCLE_1)
	s_or_b32 exec_lo, exec_lo, s18
.LBB272_441:                            ;   in Loop: Header=BB272_9 Depth=1
	s_delay_alu instid0(SALU_CYCLE_1) | instskip(SKIP_3) | instid1(VALU_DEP_2)
	s_or_b32 exec_lo, exec_lo, s17
	v_dual_lshrrev_b32 v24, 16, v8 :: v_dual_mov_b32 v92, 0
	v_mov_b32_e32 v93, 0
	s_mov_b32 s17, exec_lo
	v_and_b32_e32 v0, 0xff, v24
	s_delay_alu instid0(VALU_DEP_1)
	v_cmpx_ne_u16_e32 0, v0
	s_cbranch_execz .LBB272_449
; %bb.442:                              ;   in Loop: Header=BB272_9 Depth=1
	v_mov_b32_e32 v93, 0x8000
	s_mov_b32 s18, exec_lo
	v_cmpx_ne_u16_e32 0x80, v0
	s_cbranch_execz .LBB272_448
; %bb.443:                              ;   in Loop: Header=BB272_9 Depth=1
	v_bfe_u32 v2, v8, 16, 7
	v_mov_b32_e32 v93, 0x7c01
	s_mov_b32 s19, exec_lo
	s_delay_alu instid0(VALU_DEP_2)
	v_cmpx_ne_u32_e32 0x7f, v2
	s_cbranch_execz .LBB272_447
; %bb.444:                              ;   in Loop: Header=BB272_9 Depth=1
	v_dual_lshrrev_b32 v1, 3, v2 :: v_dual_bitop2_b32 v0, 7, v24 bitop3:0x40
	s_mov_b32 s20, exec_lo
	v_cmpx_gt_u32_e32 8, v2
; %bb.445:                              ;   in Loop: Header=BB272_9 Depth=1
	s_delay_alu instid0(VALU_DEP_2) | instskip(NEXT) | instid1(VALU_DEP_1)
	v_clz_i32_u32_e32 v0, v0
	v_min_u32_e32 v2, 32, v0
	s_delay_alu instid0(VALU_DEP_1) | instskip(NEXT) | instid1(VALU_DEP_1)
	v_subrev_nc_u32_e32 v0, 28, v2
	v_lshlrev_b64_e32 v[0:1], v0, v[24:25]
	s_delay_alu instid0(VALU_DEP_1)
	v_dual_sub_nc_u32 v1, 29, v2 :: v_dual_bitop2_b32 v0, 7, v0 bitop3:0x40
; %bb.446:                              ;   in Loop: Header=BB272_9 Depth=1
	s_or_b32 exec_lo, exec_lo, s20
	v_lshlrev_b32_e32 v2, 8, v24
	s_delay_alu instid0(VALU_DEP_2) | instskip(NEXT) | instid1(VALU_DEP_3)
	v_lshl_add_u32 v1, v1, 10, 0x2000
	v_lshlrev_b32_e32 v0, 7, v0
	s_delay_alu instid0(VALU_DEP_3) | instskip(NEXT) | instid1(VALU_DEP_3)
	v_and_b32_e32 v2, 0x8000, v2
	v_and_b32_e32 v1, 0xfc00, v1
	s_delay_alu instid0(VALU_DEP_1)
	v_or3_b32 v93, v2, v1, v0
.LBB272_447:                            ;   in Loop: Header=BB272_9 Depth=1
	s_or_b32 exec_lo, exec_lo, s19
.LBB272_448:                            ;   in Loop: Header=BB272_9 Depth=1
	s_delay_alu instid0(SALU_CYCLE_1)
	s_or_b32 exec_lo, exec_lo, s18
.LBB272_449:                            ;   in Loop: Header=BB272_9 Depth=1
	s_delay_alu instid0(SALU_CYCLE_1) | instskip(NEXT) | instid1(SALU_CYCLE_1)
	s_or_b32 exec_lo, exec_lo, s17
	s_mov_b32 s17, exec_lo
	v_cmpx_lt_u32_e32 0xffffff, v8
	s_cbranch_execz .LBB272_457
; %bb.450:                              ;   in Loop: Header=BB272_9 Depth=1
	v_lshrrev_b32_e32 v24, 24, v8
	v_bfrev_b32_e32 v92, 1
	s_mov_b32 s18, exec_lo
	s_delay_alu instid0(VALU_DEP_2)
	v_cmpx_ne_u32_e32 0x80, v24
	s_cbranch_execz .LBB272_456
; %bb.451:                              ;   in Loop: Header=BB272_9 Depth=1
	v_and_b32_e32 v2, 0x7f, v24
	v_mov_b32_e32 v92, 0x7c010000
	s_mov_b32 s19, exec_lo
	s_delay_alu instid0(VALU_DEP_2)
	v_cmpx_ne_u32_e32 0x7f, v2
	s_cbranch_execz .LBB272_455
; %bb.452:                              ;   in Loop: Header=BB272_9 Depth=1
	v_dual_lshrrev_b32 v1, 3, v2 :: v_dual_bitop2_b32 v0, 7, v24 bitop3:0x40
	s_mov_b32 s20, exec_lo
	v_cmpx_gt_u32_e32 8, v2
; %bb.453:                              ;   in Loop: Header=BB272_9 Depth=1
	s_delay_alu instid0(VALU_DEP_2) | instskip(NEXT) | instid1(VALU_DEP_1)
	v_clz_i32_u32_e32 v0, v0
	v_min_u32_e32 v2, 32, v0
	s_delay_alu instid0(VALU_DEP_1) | instskip(NEXT) | instid1(VALU_DEP_1)
	v_subrev_nc_u32_e32 v0, 28, v2
	v_lshlrev_b64_e32 v[0:1], v0, v[24:25]
	s_delay_alu instid0(VALU_DEP_1)
	v_dual_sub_nc_u32 v1, 29, v2 :: v_dual_bitop2_b32 v0, 7, v0 bitop3:0x40
; %bb.454:                              ;   in Loop: Header=BB272_9 Depth=1
	s_or_b32 exec_lo, exec_lo, s20
	v_lshlrev_b32_e32 v2, 8, v24
	s_delay_alu instid0(VALU_DEP_2) | instskip(NEXT) | instid1(VALU_DEP_3)
	v_lshl_add_u32 v1, v1, 10, 0x2000
	v_lshlrev_b32_e32 v0, 23, v0
	s_delay_alu instid0(VALU_DEP_2) | instskip(NEXT) | instid1(VALU_DEP_1)
	v_and_or_b32 v1, 0x8000, v2, v1
	v_lshl_or_b32 v92, v1, 16, v0
.LBB272_455:                            ;   in Loop: Header=BB272_9 Depth=1
	s_or_b32 exec_lo, exec_lo, s19
.LBB272_456:                            ;   in Loop: Header=BB272_9 Depth=1
	s_delay_alu instid0(SALU_CYCLE_1)
	s_or_b32 exec_lo, exec_lo, s18
.LBB272_457:                            ;   in Loop: Header=BB272_9 Depth=1
	s_delay_alu instid0(SALU_CYCLE_1)
	s_or_b32 exec_lo, exec_lo, s17
	flat_load_b32 v8, v[28:29] offset:1792
	v_dual_mov_b32 v95, 0 :: v_dual_mov_b32 v104, 0
	s_mov_b32 s17, exec_lo
	s_wait_loadcnt_dscnt 0x0
	v_and_b32_e32 v0, 0xff, v8
	s_wait_xcnt 0x0
	s_delay_alu instid0(VALU_DEP_1)
	v_cmpx_ne_u16_e32 0, v0
	s_cbranch_execz .LBB272_465
; %bb.458:                              ;   in Loop: Header=BB272_9 Depth=1
	v_mov_b32_e32 v104, 0x8000
	s_mov_b32 s18, exec_lo
	v_cmpx_ne_u16_e32 0x80, v0
	s_cbranch_execz .LBB272_464
; %bb.459:                              ;   in Loop: Header=BB272_9 Depth=1
	v_and_b32_e32 v2, 0x7f, v8
	v_mov_b32_e32 v104, 0x7c01
	s_mov_b32 s19, exec_lo
	s_delay_alu instid0(VALU_DEP_2)
	v_cmpx_ne_u32_e32 0x7f, v2
	s_cbranch_execz .LBB272_463
; %bb.460:                              ;   in Loop: Header=BB272_9 Depth=1
	v_dual_lshrrev_b32 v1, 3, v2 :: v_dual_bitop2_b32 v0, 7, v8 bitop3:0x40
	s_mov_b32 s20, exec_lo
	v_cmpx_gt_u32_e32 8, v2
; %bb.461:                              ;   in Loop: Header=BB272_9 Depth=1
	s_delay_alu instid0(VALU_DEP_2) | instskip(NEXT) | instid1(VALU_DEP_1)
	v_clz_i32_u32_e32 v0, v0
	v_min_u32_e32 v2, 32, v0
	s_delay_alu instid0(VALU_DEP_1) | instskip(NEXT) | instid1(VALU_DEP_1)
	v_subrev_nc_u32_e32 v0, 28, v2
	v_lshlrev_b64_e32 v[0:1], v0, v[8:9]
	s_delay_alu instid0(VALU_DEP_1)
	v_dual_sub_nc_u32 v1, 29, v2 :: v_dual_bitop2_b32 v0, 7, v0 bitop3:0x40
; %bb.462:                              ;   in Loop: Header=BB272_9 Depth=1
	s_or_b32 exec_lo, exec_lo, s20
	v_lshlrev_b32_e32 v2, 8, v8
	s_delay_alu instid0(VALU_DEP_2) | instskip(NEXT) | instid1(VALU_DEP_3)
	v_lshl_add_u32 v1, v1, 10, 0x2000
	v_lshlrev_b32_e32 v0, 7, v0
	s_delay_alu instid0(VALU_DEP_3) | instskip(NEXT) | instid1(VALU_DEP_3)
	v_and_b32_e32 v2, 0x8000, v2
	v_and_b32_e32 v1, 0xfc00, v1
	s_delay_alu instid0(VALU_DEP_1)
	v_or3_b32 v104, v2, v1, v0
.LBB272_463:                            ;   in Loop: Header=BB272_9 Depth=1
	s_or_b32 exec_lo, exec_lo, s19
.LBB272_464:                            ;   in Loop: Header=BB272_9 Depth=1
	s_delay_alu instid0(SALU_CYCLE_1)
	s_or_b32 exec_lo, exec_lo, s18
.LBB272_465:                            ;   in Loop: Header=BB272_9 Depth=1
	s_delay_alu instid0(SALU_CYCLE_1) | instskip(SKIP_2) | instid1(VALU_DEP_1)
	s_or_b32 exec_lo, exec_lo, s17
	v_lshrrev_b16 v24, 8, v8
	s_mov_b32 s17, exec_lo
	v_cmpx_ne_u16_e32 0, v24
	s_cbranch_execz .LBB272_473
; %bb.466:                              ;   in Loop: Header=BB272_9 Depth=1
	v_bfrev_b32_e32 v95, 1
	s_mov_b32 s18, exec_lo
	v_cmpx_ne_u16_e32 0x80, v24
	s_cbranch_execz .LBB272_472
; %bb.467:                              ;   in Loop: Header=BB272_9 Depth=1
	v_and_b32_e32 v0, 0xffff, v24
	v_mov_b32_e32 v95, 0x7c010000
	s_mov_b32 s19, exec_lo
	s_delay_alu instid0(VALU_DEP_2) | instskip(NEXT) | instid1(VALU_DEP_1)
	v_and_b32_e32 v3, 0x7f, v0
	v_cmpx_ne_u32_e32 0x7f, v3
	s_cbranch_execz .LBB272_471
; %bb.468:                              ;   in Loop: Header=BB272_9 Depth=1
	v_dual_lshrrev_b32 v2, 3, v3 :: v_dual_bitop2_b32 v1, 7, v0 bitop3:0x40
	s_mov_b32 s20, exec_lo
	v_cmpx_gt_u32_e32 8, v3
; %bb.469:                              ;   in Loop: Header=BB272_9 Depth=1
	s_delay_alu instid0(VALU_DEP_2) | instskip(NEXT) | instid1(VALU_DEP_1)
	v_clz_i32_u32_e32 v1, v1
	v_min_u32_e32 v1, 32, v1
	s_delay_alu instid0(VALU_DEP_1) | instskip(NEXT) | instid1(VALU_DEP_1)
	v_subrev_nc_u32_e32 v2, 28, v1
	v_lshlrev_b64_e32 v[4:5], v2, v[24:25]
	s_delay_alu instid0(VALU_DEP_1)
	v_dual_sub_nc_u32 v2, 29, v1 :: v_dual_bitop2_b32 v1, 7, v4 bitop3:0x40
; %bb.470:                              ;   in Loop: Header=BB272_9 Depth=1
	s_or_b32 exec_lo, exec_lo, s20
	s_delay_alu instid0(VALU_DEP_1) | instskip(NEXT) | instid1(VALU_DEP_2)
	v_dual_lshlrev_b32 v0, 8, v0 :: v_dual_lshlrev_b32 v1, 23, v1
	v_lshl_add_u32 v2, v2, 10, 0x2000
	s_delay_alu instid0(VALU_DEP_1) | instskip(NEXT) | instid1(VALU_DEP_1)
	v_and_or_b32 v0, 0x8000, v0, v2
	v_lshl_or_b32 v95, v0, 16, v1
.LBB272_471:                            ;   in Loop: Header=BB272_9 Depth=1
	s_or_b32 exec_lo, exec_lo, s19
.LBB272_472:                            ;   in Loop: Header=BB272_9 Depth=1
	s_delay_alu instid0(SALU_CYCLE_1)
	s_or_b32 exec_lo, exec_lo, s18
.LBB272_473:                            ;   in Loop: Header=BB272_9 Depth=1
	s_delay_alu instid0(SALU_CYCLE_1) | instskip(SKIP_3) | instid1(VALU_DEP_2)
	s_or_b32 exec_lo, exec_lo, s17
	v_dual_mov_b32 v109, 0 :: v_dual_lshrrev_b32 v24, 16, v8
	v_mov_b32_e32 v110, 0
	s_mov_b32 s17, exec_lo
	v_and_b32_e32 v0, 0xff, v24
	s_delay_alu instid0(VALU_DEP_1)
	v_cmpx_ne_u16_e32 0, v0
	s_cbranch_execz .LBB272_481
; %bb.474:                              ;   in Loop: Header=BB272_9 Depth=1
	v_mov_b32_e32 v110, 0x8000
	s_mov_b32 s18, exec_lo
	v_cmpx_ne_u16_e32 0x80, v0
	s_cbranch_execz .LBB272_480
; %bb.475:                              ;   in Loop: Header=BB272_9 Depth=1
	v_bfe_u32 v2, v8, 16, 7
	v_mov_b32_e32 v110, 0x7c01
	s_mov_b32 s19, exec_lo
	s_delay_alu instid0(VALU_DEP_2)
	v_cmpx_ne_u32_e32 0x7f, v2
	s_cbranch_execz .LBB272_479
; %bb.476:                              ;   in Loop: Header=BB272_9 Depth=1
	v_dual_lshrrev_b32 v1, 3, v2 :: v_dual_bitop2_b32 v0, 7, v24 bitop3:0x40
	s_mov_b32 s20, exec_lo
	v_cmpx_gt_u32_e32 8, v2
; %bb.477:                              ;   in Loop: Header=BB272_9 Depth=1
	s_delay_alu instid0(VALU_DEP_2) | instskip(NEXT) | instid1(VALU_DEP_1)
	v_clz_i32_u32_e32 v0, v0
	v_min_u32_e32 v2, 32, v0
	s_delay_alu instid0(VALU_DEP_1) | instskip(NEXT) | instid1(VALU_DEP_1)
	v_subrev_nc_u32_e32 v0, 28, v2
	v_lshlrev_b64_e32 v[0:1], v0, v[24:25]
	s_delay_alu instid0(VALU_DEP_1)
	v_dual_sub_nc_u32 v1, 29, v2 :: v_dual_bitop2_b32 v0, 7, v0 bitop3:0x40
; %bb.478:                              ;   in Loop: Header=BB272_9 Depth=1
	s_or_b32 exec_lo, exec_lo, s20
	v_lshlrev_b32_e32 v2, 8, v24
	s_delay_alu instid0(VALU_DEP_2) | instskip(NEXT) | instid1(VALU_DEP_3)
	v_lshl_add_u32 v1, v1, 10, 0x2000
	v_lshlrev_b32_e32 v0, 7, v0
	s_delay_alu instid0(VALU_DEP_3) | instskip(NEXT) | instid1(VALU_DEP_3)
	v_and_b32_e32 v2, 0x8000, v2
	v_and_b32_e32 v1, 0xfc00, v1
	s_delay_alu instid0(VALU_DEP_1)
	v_or3_b32 v110, v2, v1, v0
.LBB272_479:                            ;   in Loop: Header=BB272_9 Depth=1
	s_or_b32 exec_lo, exec_lo, s19
.LBB272_480:                            ;   in Loop: Header=BB272_9 Depth=1
	s_delay_alu instid0(SALU_CYCLE_1)
	s_or_b32 exec_lo, exec_lo, s18
.LBB272_481:                            ;   in Loop: Header=BB272_9 Depth=1
	s_delay_alu instid0(SALU_CYCLE_1) | instskip(NEXT) | instid1(SALU_CYCLE_1)
	s_or_b32 exec_lo, exec_lo, s17
	s_mov_b32 s17, exec_lo
	v_cmpx_lt_u32_e32 0xffffff, v8
	s_cbranch_execz .LBB272_489
; %bb.482:                              ;   in Loop: Header=BB272_9 Depth=1
	v_lshrrev_b32_e32 v24, 24, v8
	v_bfrev_b32_e32 v109, 1
	s_mov_b32 s18, exec_lo
	s_delay_alu instid0(VALU_DEP_2)
	v_cmpx_ne_u32_e32 0x80, v24
	s_cbranch_execz .LBB272_488
; %bb.483:                              ;   in Loop: Header=BB272_9 Depth=1
	v_and_b32_e32 v2, 0x7f, v24
	v_mov_b32_e32 v109, 0x7c010000
	s_mov_b32 s19, exec_lo
	s_delay_alu instid0(VALU_DEP_2)
	v_cmpx_ne_u32_e32 0x7f, v2
	s_cbranch_execz .LBB272_487
; %bb.484:                              ;   in Loop: Header=BB272_9 Depth=1
	v_dual_lshrrev_b32 v1, 3, v2 :: v_dual_bitop2_b32 v0, 7, v24 bitop3:0x40
	s_mov_b32 s20, exec_lo
	v_cmpx_gt_u32_e32 8, v2
; %bb.485:                              ;   in Loop: Header=BB272_9 Depth=1
	s_delay_alu instid0(VALU_DEP_2) | instskip(NEXT) | instid1(VALU_DEP_1)
	v_clz_i32_u32_e32 v0, v0
	v_min_u32_e32 v2, 32, v0
	s_delay_alu instid0(VALU_DEP_1) | instskip(NEXT) | instid1(VALU_DEP_1)
	v_subrev_nc_u32_e32 v0, 28, v2
	v_lshlrev_b64_e32 v[0:1], v0, v[24:25]
	s_delay_alu instid0(VALU_DEP_1)
	v_dual_sub_nc_u32 v1, 29, v2 :: v_dual_bitop2_b32 v0, 7, v0 bitop3:0x40
; %bb.486:                              ;   in Loop: Header=BB272_9 Depth=1
	s_or_b32 exec_lo, exec_lo, s20
	v_lshlrev_b32_e32 v2, 8, v24
	s_delay_alu instid0(VALU_DEP_2) | instskip(NEXT) | instid1(VALU_DEP_3)
	v_lshl_add_u32 v1, v1, 10, 0x2000
	v_lshlrev_b32_e32 v0, 23, v0
	s_delay_alu instid0(VALU_DEP_2) | instskip(NEXT) | instid1(VALU_DEP_1)
	v_and_or_b32 v1, 0x8000, v2, v1
	v_lshl_or_b32 v109, v1, 16, v0
.LBB272_487:                            ;   in Loop: Header=BB272_9 Depth=1
	s_or_b32 exec_lo, exec_lo, s19
.LBB272_488:                            ;   in Loop: Header=BB272_9 Depth=1
	s_delay_alu instid0(SALU_CYCLE_1)
	s_or_b32 exec_lo, exec_lo, s18
.LBB272_489:                            ;   in Loop: Header=BB272_9 Depth=1
	s_delay_alu instid0(SALU_CYCLE_1)
	s_or_b32 exec_lo, exec_lo, s17
	flat_load_b32 v8, v[28:29] offset:1800
	v_dual_mov_b32 v122, 0 :: v_dual_mov_b32 v123, 0
	s_mov_b32 s17, exec_lo
	s_wait_loadcnt_dscnt 0x0
	v_and_b32_e32 v0, 0xff, v8
	s_wait_xcnt 0x0
	s_delay_alu instid0(VALU_DEP_1)
	v_cmpx_ne_u16_e32 0, v0
	s_cbranch_execz .LBB272_497
; %bb.490:                              ;   in Loop: Header=BB272_9 Depth=1
	v_mov_b32_e32 v123, 0x8000
	s_mov_b32 s18, exec_lo
	v_cmpx_ne_u16_e32 0x80, v0
	s_cbranch_execz .LBB272_496
; %bb.491:                              ;   in Loop: Header=BB272_9 Depth=1
	v_and_b32_e32 v2, 0x7f, v8
	v_mov_b32_e32 v123, 0x7c01
	s_mov_b32 s19, exec_lo
	s_delay_alu instid0(VALU_DEP_2)
	v_cmpx_ne_u32_e32 0x7f, v2
	s_cbranch_execz .LBB272_495
; %bb.492:                              ;   in Loop: Header=BB272_9 Depth=1
	v_dual_lshrrev_b32 v1, 3, v2 :: v_dual_bitop2_b32 v0, 7, v8 bitop3:0x40
	s_mov_b32 s20, exec_lo
	v_cmpx_gt_u32_e32 8, v2
; %bb.493:                              ;   in Loop: Header=BB272_9 Depth=1
	s_delay_alu instid0(VALU_DEP_2) | instskip(NEXT) | instid1(VALU_DEP_1)
	v_clz_i32_u32_e32 v0, v0
	v_min_u32_e32 v2, 32, v0
	s_delay_alu instid0(VALU_DEP_1) | instskip(NEXT) | instid1(VALU_DEP_1)
	v_subrev_nc_u32_e32 v0, 28, v2
	v_lshlrev_b64_e32 v[0:1], v0, v[8:9]
	s_delay_alu instid0(VALU_DEP_1)
	v_dual_sub_nc_u32 v1, 29, v2 :: v_dual_bitop2_b32 v0, 7, v0 bitop3:0x40
; %bb.494:                              ;   in Loop: Header=BB272_9 Depth=1
	s_or_b32 exec_lo, exec_lo, s20
	v_lshlrev_b32_e32 v2, 8, v8
	s_delay_alu instid0(VALU_DEP_2) | instskip(NEXT) | instid1(VALU_DEP_3)
	v_lshl_add_u32 v1, v1, 10, 0x2000
	v_lshlrev_b32_e32 v0, 7, v0
	s_delay_alu instid0(VALU_DEP_3) | instskip(NEXT) | instid1(VALU_DEP_3)
	v_and_b32_e32 v2, 0x8000, v2
	v_and_b32_e32 v1, 0xfc00, v1
	s_delay_alu instid0(VALU_DEP_1)
	v_or3_b32 v123, v2, v1, v0
.LBB272_495:                            ;   in Loop: Header=BB272_9 Depth=1
	s_or_b32 exec_lo, exec_lo, s19
.LBB272_496:                            ;   in Loop: Header=BB272_9 Depth=1
	s_delay_alu instid0(SALU_CYCLE_1)
	s_or_b32 exec_lo, exec_lo, s18
.LBB272_497:                            ;   in Loop: Header=BB272_9 Depth=1
	s_delay_alu instid0(SALU_CYCLE_1) | instskip(SKIP_2) | instid1(VALU_DEP_1)
	s_or_b32 exec_lo, exec_lo, s17
	v_lshrrev_b16 v24, 8, v8
	s_mov_b32 s17, exec_lo
	v_cmpx_ne_u16_e32 0, v24
	s_cbranch_execz .LBB272_505
; %bb.498:                              ;   in Loop: Header=BB272_9 Depth=1
	v_bfrev_b32_e32 v122, 1
	s_mov_b32 s18, exec_lo
	v_cmpx_ne_u16_e32 0x80, v24
	s_cbranch_execz .LBB272_504
; %bb.499:                              ;   in Loop: Header=BB272_9 Depth=1
	v_and_b32_e32 v0, 0xffff, v24
	v_mov_b32_e32 v122, 0x7c010000
	s_mov_b32 s19, exec_lo
	s_delay_alu instid0(VALU_DEP_2) | instskip(NEXT) | instid1(VALU_DEP_1)
	v_and_b32_e32 v3, 0x7f, v0
	v_cmpx_ne_u32_e32 0x7f, v3
	s_cbranch_execz .LBB272_503
; %bb.500:                              ;   in Loop: Header=BB272_9 Depth=1
	v_dual_lshrrev_b32 v2, 3, v3 :: v_dual_bitop2_b32 v1, 7, v0 bitop3:0x40
	s_mov_b32 s20, exec_lo
	v_cmpx_gt_u32_e32 8, v3
; %bb.501:                              ;   in Loop: Header=BB272_9 Depth=1
	s_delay_alu instid0(VALU_DEP_2) | instskip(NEXT) | instid1(VALU_DEP_1)
	v_clz_i32_u32_e32 v1, v1
	v_min_u32_e32 v1, 32, v1
	s_delay_alu instid0(VALU_DEP_1) | instskip(NEXT) | instid1(VALU_DEP_1)
	v_subrev_nc_u32_e32 v2, 28, v1
	v_lshlrev_b64_e32 v[4:5], v2, v[24:25]
	s_delay_alu instid0(VALU_DEP_1)
	v_dual_sub_nc_u32 v2, 29, v1 :: v_dual_bitop2_b32 v1, 7, v4 bitop3:0x40
; %bb.502:                              ;   in Loop: Header=BB272_9 Depth=1
	s_or_b32 exec_lo, exec_lo, s20
	s_delay_alu instid0(VALU_DEP_1) | instskip(NEXT) | instid1(VALU_DEP_2)
	v_dual_lshlrev_b32 v0, 8, v0 :: v_dual_lshlrev_b32 v1, 23, v1
	v_lshl_add_u32 v2, v2, 10, 0x2000
	s_delay_alu instid0(VALU_DEP_1) | instskip(NEXT) | instid1(VALU_DEP_1)
	v_and_or_b32 v0, 0x8000, v0, v2
	v_lshl_or_b32 v122, v0, 16, v1
.LBB272_503:                            ;   in Loop: Header=BB272_9 Depth=1
	s_or_b32 exec_lo, exec_lo, s19
.LBB272_504:                            ;   in Loop: Header=BB272_9 Depth=1
	s_delay_alu instid0(SALU_CYCLE_1)
	s_or_b32 exec_lo, exec_lo, s18
.LBB272_505:                            ;   in Loop: Header=BB272_9 Depth=1
	s_delay_alu instid0(SALU_CYCLE_1) | instskip(SKIP_3) | instid1(VALU_DEP_2)
	s_or_b32 exec_lo, exec_lo, s17
	v_dual_lshrrev_b32 v24, 16, v8 :: v_dual_mov_b32 v50, 0
	v_mov_b32_e32 v17, 0
	s_mov_b32 s17, exec_lo
	v_and_b32_e32 v0, 0xff, v24
	s_delay_alu instid0(VALU_DEP_1)
	v_cmpx_ne_u16_e32 0, v0
	s_cbranch_execz .LBB272_513
; %bb.506:                              ;   in Loop: Header=BB272_9 Depth=1
	v_mov_b32_e32 v17, 0x8000
	s_mov_b32 s18, exec_lo
	v_cmpx_ne_u16_e32 0x80, v0
	s_cbranch_execz .LBB272_512
; %bb.507:                              ;   in Loop: Header=BB272_9 Depth=1
	v_bfe_u32 v2, v8, 16, 7
	v_mov_b32_e32 v17, 0x7c01
	s_mov_b32 s19, exec_lo
	s_delay_alu instid0(VALU_DEP_2)
	v_cmpx_ne_u32_e32 0x7f, v2
	s_cbranch_execz .LBB272_511
; %bb.508:                              ;   in Loop: Header=BB272_9 Depth=1
	v_dual_lshrrev_b32 v1, 3, v2 :: v_dual_bitop2_b32 v0, 7, v24 bitop3:0x40
	s_mov_b32 s20, exec_lo
	v_cmpx_gt_u32_e32 8, v2
; %bb.509:                              ;   in Loop: Header=BB272_9 Depth=1
	s_delay_alu instid0(VALU_DEP_2) | instskip(NEXT) | instid1(VALU_DEP_1)
	v_clz_i32_u32_e32 v0, v0
	v_min_u32_e32 v2, 32, v0
	s_delay_alu instid0(VALU_DEP_1) | instskip(NEXT) | instid1(VALU_DEP_1)
	v_subrev_nc_u32_e32 v0, 28, v2
	v_lshlrev_b64_e32 v[0:1], v0, v[24:25]
	s_delay_alu instid0(VALU_DEP_1)
	v_dual_sub_nc_u32 v1, 29, v2 :: v_dual_bitop2_b32 v0, 7, v0 bitop3:0x40
; %bb.510:                              ;   in Loop: Header=BB272_9 Depth=1
	s_or_b32 exec_lo, exec_lo, s20
	v_lshlrev_b32_e32 v2, 8, v24
	s_delay_alu instid0(VALU_DEP_2) | instskip(NEXT) | instid1(VALU_DEP_3)
	v_lshl_add_u32 v1, v1, 10, 0x2000
	v_lshlrev_b32_e32 v0, 7, v0
	s_delay_alu instid0(VALU_DEP_3) | instskip(NEXT) | instid1(VALU_DEP_3)
	v_and_b32_e32 v2, 0x8000, v2
	v_and_b32_e32 v1, 0xfc00, v1
	s_delay_alu instid0(VALU_DEP_1)
	v_or3_b32 v17, v2, v1, v0
.LBB272_511:                            ;   in Loop: Header=BB272_9 Depth=1
	s_or_b32 exec_lo, exec_lo, s19
.LBB272_512:                            ;   in Loop: Header=BB272_9 Depth=1
	s_delay_alu instid0(SALU_CYCLE_1)
	s_or_b32 exec_lo, exec_lo, s18
.LBB272_513:                            ;   in Loop: Header=BB272_9 Depth=1
	s_delay_alu instid0(SALU_CYCLE_1) | instskip(NEXT) | instid1(SALU_CYCLE_1)
	s_or_b32 exec_lo, exec_lo, s17
	s_mov_b32 s17, exec_lo
	v_cmpx_lt_u32_e32 0xffffff, v8
	s_cbranch_execz .LBB272_521
; %bb.514:                              ;   in Loop: Header=BB272_9 Depth=1
	v_lshrrev_b32_e32 v24, 24, v8
	v_bfrev_b32_e32 v50, 1
	s_mov_b32 s18, exec_lo
	s_delay_alu instid0(VALU_DEP_2)
	v_cmpx_ne_u32_e32 0x80, v24
	s_cbranch_execz .LBB272_520
; %bb.515:                              ;   in Loop: Header=BB272_9 Depth=1
	v_and_b32_e32 v2, 0x7f, v24
	v_mov_b32_e32 v50, 0x7c010000
	s_mov_b32 s19, exec_lo
	s_delay_alu instid0(VALU_DEP_2)
	v_cmpx_ne_u32_e32 0x7f, v2
	s_cbranch_execz .LBB272_519
; %bb.516:                              ;   in Loop: Header=BB272_9 Depth=1
	v_dual_lshrrev_b32 v1, 3, v2 :: v_dual_bitop2_b32 v0, 7, v24 bitop3:0x40
	s_mov_b32 s20, exec_lo
	v_cmpx_gt_u32_e32 8, v2
; %bb.517:                              ;   in Loop: Header=BB272_9 Depth=1
	s_delay_alu instid0(VALU_DEP_2) | instskip(NEXT) | instid1(VALU_DEP_1)
	v_clz_i32_u32_e32 v0, v0
	v_min_u32_e32 v2, 32, v0
	s_delay_alu instid0(VALU_DEP_1) | instskip(NEXT) | instid1(VALU_DEP_1)
	v_subrev_nc_u32_e32 v0, 28, v2
	v_lshlrev_b64_e32 v[0:1], v0, v[24:25]
	s_delay_alu instid0(VALU_DEP_1)
	v_dual_sub_nc_u32 v1, 29, v2 :: v_dual_bitop2_b32 v0, 7, v0 bitop3:0x40
; %bb.518:                              ;   in Loop: Header=BB272_9 Depth=1
	s_or_b32 exec_lo, exec_lo, s20
	v_lshlrev_b32_e32 v2, 8, v24
	s_delay_alu instid0(VALU_DEP_2) | instskip(NEXT) | instid1(VALU_DEP_3)
	v_lshl_add_u32 v1, v1, 10, 0x2000
	v_lshlrev_b32_e32 v0, 23, v0
	s_delay_alu instid0(VALU_DEP_2) | instskip(NEXT) | instid1(VALU_DEP_1)
	v_and_or_b32 v1, 0x8000, v2, v1
	v_lshl_or_b32 v50, v1, 16, v0
.LBB272_519:                            ;   in Loop: Header=BB272_9 Depth=1
	s_or_b32 exec_lo, exec_lo, s19
.LBB272_520:                            ;   in Loop: Header=BB272_9 Depth=1
	s_delay_alu instid0(SALU_CYCLE_1)
	s_or_b32 exec_lo, exec_lo, s18
.LBB272_521:                            ;   in Loop: Header=BB272_9 Depth=1
	s_delay_alu instid0(SALU_CYCLE_1)
	s_or_b32 exec_lo, exec_lo, s17
	flat_load_b32 v8, v[28:29] offset:2048
	v_dual_mov_b32 v52, 0 :: v_dual_mov_b32 v16, 0
	s_mov_b32 s17, exec_lo
	s_wait_loadcnt_dscnt 0x0
	v_and_b32_e32 v0, 0xff, v8
	s_wait_xcnt 0x0
	s_delay_alu instid0(VALU_DEP_1)
	v_cmpx_ne_u16_e32 0, v0
	s_cbranch_execz .LBB272_529
; %bb.522:                              ;   in Loop: Header=BB272_9 Depth=1
	v_mov_b32_e32 v16, 0x8000
	s_mov_b32 s18, exec_lo
	v_cmpx_ne_u16_e32 0x80, v0
	s_cbranch_execz .LBB272_528
; %bb.523:                              ;   in Loop: Header=BB272_9 Depth=1
	v_and_b32_e32 v2, 0x7f, v8
	v_mov_b32_e32 v16, 0x7c01
	s_mov_b32 s19, exec_lo
	s_delay_alu instid0(VALU_DEP_2)
	v_cmpx_ne_u32_e32 0x7f, v2
	s_cbranch_execz .LBB272_527
; %bb.524:                              ;   in Loop: Header=BB272_9 Depth=1
	v_dual_lshrrev_b32 v1, 3, v2 :: v_dual_bitop2_b32 v0, 7, v8 bitop3:0x40
	s_mov_b32 s20, exec_lo
	v_cmpx_gt_u32_e32 8, v2
; %bb.525:                              ;   in Loop: Header=BB272_9 Depth=1
	s_delay_alu instid0(VALU_DEP_2) | instskip(NEXT) | instid1(VALU_DEP_1)
	v_clz_i32_u32_e32 v0, v0
	v_min_u32_e32 v2, 32, v0
	s_delay_alu instid0(VALU_DEP_1) | instskip(NEXT) | instid1(VALU_DEP_1)
	v_subrev_nc_u32_e32 v0, 28, v2
	v_lshlrev_b64_e32 v[0:1], v0, v[8:9]
	s_delay_alu instid0(VALU_DEP_1)
	v_dual_sub_nc_u32 v1, 29, v2 :: v_dual_bitop2_b32 v0, 7, v0 bitop3:0x40
; %bb.526:                              ;   in Loop: Header=BB272_9 Depth=1
	s_or_b32 exec_lo, exec_lo, s20
	v_lshlrev_b32_e32 v2, 8, v8
	s_delay_alu instid0(VALU_DEP_2) | instskip(NEXT) | instid1(VALU_DEP_3)
	v_lshl_add_u32 v1, v1, 10, 0x2000
	v_lshlrev_b32_e32 v0, 7, v0
	s_delay_alu instid0(VALU_DEP_3) | instskip(NEXT) | instid1(VALU_DEP_3)
	v_and_b32_e32 v2, 0x8000, v2
	v_and_b32_e32 v1, 0xfc00, v1
	s_delay_alu instid0(VALU_DEP_1)
	v_or3_b32 v16, v2, v1, v0
.LBB272_527:                            ;   in Loop: Header=BB272_9 Depth=1
	s_or_b32 exec_lo, exec_lo, s19
.LBB272_528:                            ;   in Loop: Header=BB272_9 Depth=1
	s_delay_alu instid0(SALU_CYCLE_1)
	s_or_b32 exec_lo, exec_lo, s18
.LBB272_529:                            ;   in Loop: Header=BB272_9 Depth=1
	s_delay_alu instid0(SALU_CYCLE_1) | instskip(SKIP_2) | instid1(VALU_DEP_1)
	s_or_b32 exec_lo, exec_lo, s17
	v_lshrrev_b16 v24, 8, v8
	s_mov_b32 s17, exec_lo
	v_cmpx_ne_u16_e32 0, v24
	s_cbranch_execz .LBB272_537
; %bb.530:                              ;   in Loop: Header=BB272_9 Depth=1
	v_bfrev_b32_e32 v52, 1
	s_mov_b32 s18, exec_lo
	v_cmpx_ne_u16_e32 0x80, v24
	s_cbranch_execz .LBB272_536
; %bb.531:                              ;   in Loop: Header=BB272_9 Depth=1
	v_and_b32_e32 v0, 0xffff, v24
	v_mov_b32_e32 v52, 0x7c010000
	s_mov_b32 s19, exec_lo
	s_delay_alu instid0(VALU_DEP_2) | instskip(NEXT) | instid1(VALU_DEP_1)
	v_and_b32_e32 v3, 0x7f, v0
	v_cmpx_ne_u32_e32 0x7f, v3
	s_cbranch_execz .LBB272_535
; %bb.532:                              ;   in Loop: Header=BB272_9 Depth=1
	v_dual_lshrrev_b32 v2, 3, v3 :: v_dual_bitop2_b32 v1, 7, v0 bitop3:0x40
	s_mov_b32 s20, exec_lo
	v_cmpx_gt_u32_e32 8, v3
; %bb.533:                              ;   in Loop: Header=BB272_9 Depth=1
	s_delay_alu instid0(VALU_DEP_2) | instskip(NEXT) | instid1(VALU_DEP_1)
	v_clz_i32_u32_e32 v1, v1
	v_min_u32_e32 v1, 32, v1
	s_delay_alu instid0(VALU_DEP_1) | instskip(NEXT) | instid1(VALU_DEP_1)
	v_subrev_nc_u32_e32 v2, 28, v1
	v_lshlrev_b64_e32 v[4:5], v2, v[24:25]
	s_delay_alu instid0(VALU_DEP_1)
	v_dual_sub_nc_u32 v2, 29, v1 :: v_dual_bitop2_b32 v1, 7, v4 bitop3:0x40
; %bb.534:                              ;   in Loop: Header=BB272_9 Depth=1
	s_or_b32 exec_lo, exec_lo, s20
	s_delay_alu instid0(VALU_DEP_1) | instskip(NEXT) | instid1(VALU_DEP_2)
	v_dual_lshlrev_b32 v0, 8, v0 :: v_dual_lshlrev_b32 v1, 23, v1
	v_lshl_add_u32 v2, v2, 10, 0x2000
	s_delay_alu instid0(VALU_DEP_1) | instskip(NEXT) | instid1(VALU_DEP_1)
	v_and_or_b32 v0, 0x8000, v0, v2
	v_lshl_or_b32 v52, v0, 16, v1
.LBB272_535:                            ;   in Loop: Header=BB272_9 Depth=1
	s_or_b32 exec_lo, exec_lo, s19
.LBB272_536:                            ;   in Loop: Header=BB272_9 Depth=1
	s_delay_alu instid0(SALU_CYCLE_1)
	s_or_b32 exec_lo, exec_lo, s18
.LBB272_537:                            ;   in Loop: Header=BB272_9 Depth=1
	s_delay_alu instid0(SALU_CYCLE_1) | instskip(SKIP_3) | instid1(VALU_DEP_2)
	s_or_b32 exec_lo, exec_lo, s17
	v_dual_mov_b32 v11, 0 :: v_dual_lshrrev_b32 v24, 16, v8
	v_mov_b32_e32 v14, 0
	s_mov_b32 s17, exec_lo
	v_and_b32_e32 v0, 0xff, v24
	s_delay_alu instid0(VALU_DEP_1)
	v_cmpx_ne_u16_e32 0, v0
	s_cbranch_execz .LBB272_545
; %bb.538:                              ;   in Loop: Header=BB272_9 Depth=1
	v_mov_b32_e32 v14, 0x8000
	s_mov_b32 s18, exec_lo
	v_cmpx_ne_u16_e32 0x80, v0
	s_cbranch_execz .LBB272_544
; %bb.539:                              ;   in Loop: Header=BB272_9 Depth=1
	v_bfe_u32 v2, v8, 16, 7
	v_mov_b32_e32 v14, 0x7c01
	s_mov_b32 s19, exec_lo
	s_delay_alu instid0(VALU_DEP_2)
	v_cmpx_ne_u32_e32 0x7f, v2
	s_cbranch_execz .LBB272_543
; %bb.540:                              ;   in Loop: Header=BB272_9 Depth=1
	v_dual_lshrrev_b32 v1, 3, v2 :: v_dual_bitop2_b32 v0, 7, v24 bitop3:0x40
	s_mov_b32 s20, exec_lo
	v_cmpx_gt_u32_e32 8, v2
; %bb.541:                              ;   in Loop: Header=BB272_9 Depth=1
	s_delay_alu instid0(VALU_DEP_2) | instskip(NEXT) | instid1(VALU_DEP_1)
	v_clz_i32_u32_e32 v0, v0
	v_min_u32_e32 v2, 32, v0
	s_delay_alu instid0(VALU_DEP_1) | instskip(NEXT) | instid1(VALU_DEP_1)
	v_subrev_nc_u32_e32 v0, 28, v2
	v_lshlrev_b64_e32 v[0:1], v0, v[24:25]
	s_delay_alu instid0(VALU_DEP_1)
	v_dual_sub_nc_u32 v1, 29, v2 :: v_dual_bitop2_b32 v0, 7, v0 bitop3:0x40
; %bb.542:                              ;   in Loop: Header=BB272_9 Depth=1
	s_or_b32 exec_lo, exec_lo, s20
	v_lshlrev_b32_e32 v2, 8, v24
	s_delay_alu instid0(VALU_DEP_2) | instskip(NEXT) | instid1(VALU_DEP_3)
	v_lshl_add_u32 v1, v1, 10, 0x2000
	v_lshlrev_b32_e32 v0, 7, v0
	s_delay_alu instid0(VALU_DEP_3) | instskip(NEXT) | instid1(VALU_DEP_3)
	v_and_b32_e32 v2, 0x8000, v2
	v_and_b32_e32 v1, 0xfc00, v1
	s_delay_alu instid0(VALU_DEP_1)
	v_or3_b32 v14, v2, v1, v0
.LBB272_543:                            ;   in Loop: Header=BB272_9 Depth=1
	s_or_b32 exec_lo, exec_lo, s19
.LBB272_544:                            ;   in Loop: Header=BB272_9 Depth=1
	s_delay_alu instid0(SALU_CYCLE_1)
	s_or_b32 exec_lo, exec_lo, s18
.LBB272_545:                            ;   in Loop: Header=BB272_9 Depth=1
	s_delay_alu instid0(SALU_CYCLE_1) | instskip(NEXT) | instid1(SALU_CYCLE_1)
	s_or_b32 exec_lo, exec_lo, s17
	s_mov_b32 s17, exec_lo
	v_cmpx_lt_u32_e32 0xffffff, v8
	s_cbranch_execz .LBB272_553
; %bb.546:                              ;   in Loop: Header=BB272_9 Depth=1
	v_lshrrev_b32_e32 v24, 24, v8
	v_bfrev_b32_e32 v11, 1
	s_mov_b32 s18, exec_lo
	s_delay_alu instid0(VALU_DEP_2)
	v_cmpx_ne_u32_e32 0x80, v24
	s_cbranch_execz .LBB272_552
; %bb.547:                              ;   in Loop: Header=BB272_9 Depth=1
	v_and_b32_e32 v2, 0x7f, v24
	v_mov_b32_e32 v11, 0x7c010000
	s_mov_b32 s19, exec_lo
	s_delay_alu instid0(VALU_DEP_2)
	v_cmpx_ne_u32_e32 0x7f, v2
	s_cbranch_execz .LBB272_551
; %bb.548:                              ;   in Loop: Header=BB272_9 Depth=1
	v_dual_lshrrev_b32 v1, 3, v2 :: v_dual_bitop2_b32 v0, 7, v24 bitop3:0x40
	s_mov_b32 s20, exec_lo
	v_cmpx_gt_u32_e32 8, v2
; %bb.549:                              ;   in Loop: Header=BB272_9 Depth=1
	s_delay_alu instid0(VALU_DEP_2) | instskip(NEXT) | instid1(VALU_DEP_1)
	v_clz_i32_u32_e32 v0, v0
	v_min_u32_e32 v2, 32, v0
	s_delay_alu instid0(VALU_DEP_1) | instskip(NEXT) | instid1(VALU_DEP_1)
	v_subrev_nc_u32_e32 v0, 28, v2
	v_lshlrev_b64_e32 v[0:1], v0, v[24:25]
	s_delay_alu instid0(VALU_DEP_1)
	v_dual_sub_nc_u32 v1, 29, v2 :: v_dual_bitop2_b32 v0, 7, v0 bitop3:0x40
; %bb.550:                              ;   in Loop: Header=BB272_9 Depth=1
	s_or_b32 exec_lo, exec_lo, s20
	v_lshlrev_b32_e32 v2, 8, v24
	s_delay_alu instid0(VALU_DEP_2) | instskip(NEXT) | instid1(VALU_DEP_3)
	v_lshl_add_u32 v1, v1, 10, 0x2000
	v_lshlrev_b32_e32 v0, 23, v0
	s_delay_alu instid0(VALU_DEP_2) | instskip(NEXT) | instid1(VALU_DEP_1)
	v_and_or_b32 v1, 0x8000, v2, v1
	v_lshl_or_b32 v11, v1, 16, v0
.LBB272_551:                            ;   in Loop: Header=BB272_9 Depth=1
	s_or_b32 exec_lo, exec_lo, s19
.LBB272_552:                            ;   in Loop: Header=BB272_9 Depth=1
	s_delay_alu instid0(SALU_CYCLE_1)
	s_or_b32 exec_lo, exec_lo, s18
.LBB272_553:                            ;   in Loop: Header=BB272_9 Depth=1
	s_delay_alu instid0(SALU_CYCLE_1)
	s_or_b32 exec_lo, exec_lo, s17
	flat_load_b32 v8, v[28:29] offset:2056
	v_dual_mov_b32 v51, 0 :: v_dual_mov_b32 v30, 0
	s_mov_b32 s17, exec_lo
	s_wait_loadcnt_dscnt 0x0
	v_and_b32_e32 v0, 0xff, v8
	s_wait_xcnt 0x0
	s_delay_alu instid0(VALU_DEP_1)
	v_cmpx_ne_u16_e32 0, v0
	s_cbranch_execz .LBB272_561
; %bb.554:                              ;   in Loop: Header=BB272_9 Depth=1
	v_mov_b32_e32 v30, 0x8000
	s_mov_b32 s18, exec_lo
	v_cmpx_ne_u16_e32 0x80, v0
	s_cbranch_execz .LBB272_560
; %bb.555:                              ;   in Loop: Header=BB272_9 Depth=1
	v_and_b32_e32 v2, 0x7f, v8
	v_mov_b32_e32 v30, 0x7c01
	s_mov_b32 s19, exec_lo
	s_delay_alu instid0(VALU_DEP_2)
	v_cmpx_ne_u32_e32 0x7f, v2
	s_cbranch_execz .LBB272_559
; %bb.556:                              ;   in Loop: Header=BB272_9 Depth=1
	v_dual_lshrrev_b32 v1, 3, v2 :: v_dual_bitop2_b32 v0, 7, v8 bitop3:0x40
	s_mov_b32 s20, exec_lo
	v_cmpx_gt_u32_e32 8, v2
; %bb.557:                              ;   in Loop: Header=BB272_9 Depth=1
	s_delay_alu instid0(VALU_DEP_2) | instskip(NEXT) | instid1(VALU_DEP_1)
	v_clz_i32_u32_e32 v0, v0
	v_min_u32_e32 v2, 32, v0
	s_delay_alu instid0(VALU_DEP_1) | instskip(NEXT) | instid1(VALU_DEP_1)
	v_subrev_nc_u32_e32 v0, 28, v2
	v_lshlrev_b64_e32 v[0:1], v0, v[8:9]
	s_delay_alu instid0(VALU_DEP_1)
	v_dual_sub_nc_u32 v1, 29, v2 :: v_dual_bitop2_b32 v0, 7, v0 bitop3:0x40
; %bb.558:                              ;   in Loop: Header=BB272_9 Depth=1
	s_or_b32 exec_lo, exec_lo, s20
	v_lshlrev_b32_e32 v2, 8, v8
	s_delay_alu instid0(VALU_DEP_2) | instskip(NEXT) | instid1(VALU_DEP_3)
	v_lshl_add_u32 v1, v1, 10, 0x2000
	v_lshlrev_b32_e32 v0, 7, v0
	s_delay_alu instid0(VALU_DEP_3) | instskip(NEXT) | instid1(VALU_DEP_3)
	v_and_b32_e32 v2, 0x8000, v2
	v_and_b32_e32 v1, 0xfc00, v1
	s_delay_alu instid0(VALU_DEP_1)
	v_or3_b32 v30, v2, v1, v0
.LBB272_559:                            ;   in Loop: Header=BB272_9 Depth=1
	s_or_b32 exec_lo, exec_lo, s19
.LBB272_560:                            ;   in Loop: Header=BB272_9 Depth=1
	s_delay_alu instid0(SALU_CYCLE_1)
	s_or_b32 exec_lo, exec_lo, s18
.LBB272_561:                            ;   in Loop: Header=BB272_9 Depth=1
	s_delay_alu instid0(SALU_CYCLE_1) | instskip(SKIP_2) | instid1(VALU_DEP_1)
	s_or_b32 exec_lo, exec_lo, s17
	v_lshrrev_b16 v24, 8, v8
	s_mov_b32 s17, exec_lo
	v_cmpx_ne_u16_e32 0, v24
	s_cbranch_execz .LBB272_569
; %bb.562:                              ;   in Loop: Header=BB272_9 Depth=1
	v_bfrev_b32_e32 v51, 1
	s_mov_b32 s18, exec_lo
	v_cmpx_ne_u16_e32 0x80, v24
	s_cbranch_execz .LBB272_568
; %bb.563:                              ;   in Loop: Header=BB272_9 Depth=1
	v_and_b32_e32 v0, 0xffff, v24
	v_mov_b32_e32 v51, 0x7c010000
	s_mov_b32 s19, exec_lo
	s_delay_alu instid0(VALU_DEP_2) | instskip(NEXT) | instid1(VALU_DEP_1)
	v_and_b32_e32 v3, 0x7f, v0
	v_cmpx_ne_u32_e32 0x7f, v3
	s_cbranch_execz .LBB272_567
; %bb.564:                              ;   in Loop: Header=BB272_9 Depth=1
	v_dual_lshrrev_b32 v2, 3, v3 :: v_dual_bitop2_b32 v1, 7, v0 bitop3:0x40
	s_mov_b32 s20, exec_lo
	v_cmpx_gt_u32_e32 8, v3
; %bb.565:                              ;   in Loop: Header=BB272_9 Depth=1
	s_delay_alu instid0(VALU_DEP_2) | instskip(NEXT) | instid1(VALU_DEP_1)
	v_clz_i32_u32_e32 v1, v1
	v_min_u32_e32 v1, 32, v1
	s_delay_alu instid0(VALU_DEP_1) | instskip(NEXT) | instid1(VALU_DEP_1)
	v_subrev_nc_u32_e32 v2, 28, v1
	v_lshlrev_b64_e32 v[4:5], v2, v[24:25]
	s_delay_alu instid0(VALU_DEP_1)
	v_dual_sub_nc_u32 v2, 29, v1 :: v_dual_bitop2_b32 v1, 7, v4 bitop3:0x40
; %bb.566:                              ;   in Loop: Header=BB272_9 Depth=1
	s_or_b32 exec_lo, exec_lo, s20
	s_delay_alu instid0(VALU_DEP_1) | instskip(NEXT) | instid1(VALU_DEP_2)
	v_dual_lshlrev_b32 v0, 8, v0 :: v_dual_lshlrev_b32 v1, 23, v1
	v_lshl_add_u32 v2, v2, 10, 0x2000
	s_delay_alu instid0(VALU_DEP_1) | instskip(NEXT) | instid1(VALU_DEP_1)
	v_and_or_b32 v0, 0x8000, v0, v2
	v_lshl_or_b32 v51, v0, 16, v1
.LBB272_567:                            ;   in Loop: Header=BB272_9 Depth=1
	s_or_b32 exec_lo, exec_lo, s19
.LBB272_568:                            ;   in Loop: Header=BB272_9 Depth=1
	s_delay_alu instid0(SALU_CYCLE_1)
	s_or_b32 exec_lo, exec_lo, s18
.LBB272_569:                            ;   in Loop: Header=BB272_9 Depth=1
	s_delay_alu instid0(SALU_CYCLE_1) | instskip(SKIP_3) | instid1(VALU_DEP_2)
	s_or_b32 exec_lo, exec_lo, s17
	v_dual_lshrrev_b32 v24, 16, v8 :: v_dual_mov_b32 v54, 0
	v_mov_b32_e32 v18, 0
	s_mov_b32 s17, exec_lo
	v_and_b32_e32 v0, 0xff, v24
	s_delay_alu instid0(VALU_DEP_1)
	v_cmpx_ne_u16_e32 0, v0
	s_cbranch_execz .LBB272_577
; %bb.570:                              ;   in Loop: Header=BB272_9 Depth=1
	v_mov_b32_e32 v18, 0x8000
	s_mov_b32 s18, exec_lo
	v_cmpx_ne_u16_e32 0x80, v0
	s_cbranch_execz .LBB272_576
; %bb.571:                              ;   in Loop: Header=BB272_9 Depth=1
	v_bfe_u32 v2, v8, 16, 7
	v_mov_b32_e32 v18, 0x7c01
	s_mov_b32 s19, exec_lo
	s_delay_alu instid0(VALU_DEP_2)
	v_cmpx_ne_u32_e32 0x7f, v2
	s_cbranch_execz .LBB272_575
; %bb.572:                              ;   in Loop: Header=BB272_9 Depth=1
	v_dual_lshrrev_b32 v1, 3, v2 :: v_dual_bitop2_b32 v0, 7, v24 bitop3:0x40
	s_mov_b32 s20, exec_lo
	v_cmpx_gt_u32_e32 8, v2
; %bb.573:                              ;   in Loop: Header=BB272_9 Depth=1
	s_delay_alu instid0(VALU_DEP_2) | instskip(NEXT) | instid1(VALU_DEP_1)
	v_clz_i32_u32_e32 v0, v0
	v_min_u32_e32 v2, 32, v0
	s_delay_alu instid0(VALU_DEP_1) | instskip(NEXT) | instid1(VALU_DEP_1)
	v_subrev_nc_u32_e32 v0, 28, v2
	v_lshlrev_b64_e32 v[0:1], v0, v[24:25]
	s_delay_alu instid0(VALU_DEP_1)
	v_dual_sub_nc_u32 v1, 29, v2 :: v_dual_bitop2_b32 v0, 7, v0 bitop3:0x40
; %bb.574:                              ;   in Loop: Header=BB272_9 Depth=1
	s_or_b32 exec_lo, exec_lo, s20
	v_lshlrev_b32_e32 v2, 8, v24
	s_delay_alu instid0(VALU_DEP_2) | instskip(NEXT) | instid1(VALU_DEP_3)
	v_lshl_add_u32 v1, v1, 10, 0x2000
	v_lshlrev_b32_e32 v0, 7, v0
	s_delay_alu instid0(VALU_DEP_3) | instskip(NEXT) | instid1(VALU_DEP_3)
	v_and_b32_e32 v2, 0x8000, v2
	v_and_b32_e32 v1, 0xfc00, v1
	s_delay_alu instid0(VALU_DEP_1)
	v_or3_b32 v18, v2, v1, v0
.LBB272_575:                            ;   in Loop: Header=BB272_9 Depth=1
	s_or_b32 exec_lo, exec_lo, s19
.LBB272_576:                            ;   in Loop: Header=BB272_9 Depth=1
	s_delay_alu instid0(SALU_CYCLE_1)
	s_or_b32 exec_lo, exec_lo, s18
.LBB272_577:                            ;   in Loop: Header=BB272_9 Depth=1
	s_delay_alu instid0(SALU_CYCLE_1) | instskip(NEXT) | instid1(SALU_CYCLE_1)
	s_or_b32 exec_lo, exec_lo, s17
	s_mov_b32 s17, exec_lo
	v_cmpx_lt_u32_e32 0xffffff, v8
	s_cbranch_execz .LBB272_585
; %bb.578:                              ;   in Loop: Header=BB272_9 Depth=1
	v_lshrrev_b32_e32 v24, 24, v8
	v_bfrev_b32_e32 v54, 1
	s_mov_b32 s18, exec_lo
	s_delay_alu instid0(VALU_DEP_2)
	v_cmpx_ne_u32_e32 0x80, v24
	s_cbranch_execz .LBB272_584
; %bb.579:                              ;   in Loop: Header=BB272_9 Depth=1
	v_and_b32_e32 v2, 0x7f, v24
	v_mov_b32_e32 v54, 0x7c010000
	s_mov_b32 s19, exec_lo
	s_delay_alu instid0(VALU_DEP_2)
	v_cmpx_ne_u32_e32 0x7f, v2
	s_cbranch_execz .LBB272_583
; %bb.580:                              ;   in Loop: Header=BB272_9 Depth=1
	v_dual_lshrrev_b32 v1, 3, v2 :: v_dual_bitop2_b32 v0, 7, v24 bitop3:0x40
	s_mov_b32 s20, exec_lo
	v_cmpx_gt_u32_e32 8, v2
; %bb.581:                              ;   in Loop: Header=BB272_9 Depth=1
	s_delay_alu instid0(VALU_DEP_2) | instskip(NEXT) | instid1(VALU_DEP_1)
	v_clz_i32_u32_e32 v0, v0
	v_min_u32_e32 v2, 32, v0
	s_delay_alu instid0(VALU_DEP_1) | instskip(NEXT) | instid1(VALU_DEP_1)
	v_subrev_nc_u32_e32 v0, 28, v2
	v_lshlrev_b64_e32 v[0:1], v0, v[24:25]
	s_delay_alu instid0(VALU_DEP_1)
	v_dual_sub_nc_u32 v1, 29, v2 :: v_dual_bitop2_b32 v0, 7, v0 bitop3:0x40
; %bb.582:                              ;   in Loop: Header=BB272_9 Depth=1
	s_or_b32 exec_lo, exec_lo, s20
	v_lshlrev_b32_e32 v2, 8, v24
	s_delay_alu instid0(VALU_DEP_2) | instskip(NEXT) | instid1(VALU_DEP_3)
	v_lshl_add_u32 v1, v1, 10, 0x2000
	v_lshlrev_b32_e32 v0, 23, v0
	s_delay_alu instid0(VALU_DEP_2) | instskip(NEXT) | instid1(VALU_DEP_1)
	v_and_or_b32 v1, 0x8000, v2, v1
	v_lshl_or_b32 v54, v1, 16, v0
.LBB272_583:                            ;   in Loop: Header=BB272_9 Depth=1
	s_or_b32 exec_lo, exec_lo, s19
.LBB272_584:                            ;   in Loop: Header=BB272_9 Depth=1
	s_delay_alu instid0(SALU_CYCLE_1)
	s_or_b32 exec_lo, exec_lo, s18
.LBB272_585:                            ;   in Loop: Header=BB272_9 Depth=1
	s_delay_alu instid0(SALU_CYCLE_1)
	s_or_b32 exec_lo, exec_lo, s17
	flat_load_b32 v8, v[28:29] offset:2304
	v_dual_mov_b32 v38, 0 :: v_dual_mov_b32 v48, 0
	s_mov_b32 s17, exec_lo
	s_wait_loadcnt_dscnt 0x0
	v_and_b32_e32 v0, 0xff, v8
	s_wait_xcnt 0x0
	s_delay_alu instid0(VALU_DEP_1)
	v_cmpx_ne_u16_e32 0, v0
	s_cbranch_execz .LBB272_593
; %bb.586:                              ;   in Loop: Header=BB272_9 Depth=1
	v_mov_b32_e32 v48, 0x8000
	s_mov_b32 s18, exec_lo
	v_cmpx_ne_u16_e32 0x80, v0
	s_cbranch_execz .LBB272_592
; %bb.587:                              ;   in Loop: Header=BB272_9 Depth=1
	v_and_b32_e32 v2, 0x7f, v8
	v_mov_b32_e32 v48, 0x7c01
	s_mov_b32 s19, exec_lo
	s_delay_alu instid0(VALU_DEP_2)
	v_cmpx_ne_u32_e32 0x7f, v2
	s_cbranch_execz .LBB272_591
; %bb.588:                              ;   in Loop: Header=BB272_9 Depth=1
	v_dual_lshrrev_b32 v1, 3, v2 :: v_dual_bitop2_b32 v0, 7, v8 bitop3:0x40
	s_mov_b32 s20, exec_lo
	v_cmpx_gt_u32_e32 8, v2
; %bb.589:                              ;   in Loop: Header=BB272_9 Depth=1
	s_delay_alu instid0(VALU_DEP_2) | instskip(NEXT) | instid1(VALU_DEP_1)
	v_clz_i32_u32_e32 v0, v0
	v_min_u32_e32 v2, 32, v0
	s_delay_alu instid0(VALU_DEP_1) | instskip(NEXT) | instid1(VALU_DEP_1)
	v_subrev_nc_u32_e32 v0, 28, v2
	v_lshlrev_b64_e32 v[0:1], v0, v[8:9]
	s_delay_alu instid0(VALU_DEP_1)
	v_dual_sub_nc_u32 v1, 29, v2 :: v_dual_bitop2_b32 v0, 7, v0 bitop3:0x40
; %bb.590:                              ;   in Loop: Header=BB272_9 Depth=1
	s_or_b32 exec_lo, exec_lo, s20
	v_lshlrev_b32_e32 v2, 8, v8
	s_delay_alu instid0(VALU_DEP_2) | instskip(NEXT) | instid1(VALU_DEP_3)
	v_lshl_add_u32 v1, v1, 10, 0x2000
	v_lshlrev_b32_e32 v0, 7, v0
	s_delay_alu instid0(VALU_DEP_3) | instskip(NEXT) | instid1(VALU_DEP_3)
	v_and_b32_e32 v2, 0x8000, v2
	v_and_b32_e32 v1, 0xfc00, v1
	s_delay_alu instid0(VALU_DEP_1)
	v_or3_b32 v48, v2, v1, v0
.LBB272_591:                            ;   in Loop: Header=BB272_9 Depth=1
	s_or_b32 exec_lo, exec_lo, s19
.LBB272_592:                            ;   in Loop: Header=BB272_9 Depth=1
	s_delay_alu instid0(SALU_CYCLE_1)
	s_or_b32 exec_lo, exec_lo, s18
.LBB272_593:                            ;   in Loop: Header=BB272_9 Depth=1
	s_delay_alu instid0(SALU_CYCLE_1) | instskip(SKIP_2) | instid1(VALU_DEP_1)
	s_or_b32 exec_lo, exec_lo, s17
	v_lshrrev_b16 v24, 8, v8
	s_mov_b32 s17, exec_lo
	v_cmpx_ne_u16_e32 0, v24
	s_cbranch_execz .LBB272_601
; %bb.594:                              ;   in Loop: Header=BB272_9 Depth=1
	v_bfrev_b32_e32 v38, 1
	s_mov_b32 s18, exec_lo
	v_cmpx_ne_u16_e32 0x80, v24
	s_cbranch_execz .LBB272_600
; %bb.595:                              ;   in Loop: Header=BB272_9 Depth=1
	v_and_b32_e32 v0, 0xffff, v24
	v_mov_b32_e32 v38, 0x7c010000
	s_mov_b32 s19, exec_lo
	s_delay_alu instid0(VALU_DEP_2) | instskip(NEXT) | instid1(VALU_DEP_1)
	v_and_b32_e32 v3, 0x7f, v0
	v_cmpx_ne_u32_e32 0x7f, v3
	s_cbranch_execz .LBB272_599
; %bb.596:                              ;   in Loop: Header=BB272_9 Depth=1
	v_dual_lshrrev_b32 v2, 3, v3 :: v_dual_bitop2_b32 v1, 7, v0 bitop3:0x40
	s_mov_b32 s20, exec_lo
	v_cmpx_gt_u32_e32 8, v3
; %bb.597:                              ;   in Loop: Header=BB272_9 Depth=1
	s_delay_alu instid0(VALU_DEP_2) | instskip(NEXT) | instid1(VALU_DEP_1)
	v_clz_i32_u32_e32 v1, v1
	v_min_u32_e32 v1, 32, v1
	s_delay_alu instid0(VALU_DEP_1) | instskip(NEXT) | instid1(VALU_DEP_1)
	v_subrev_nc_u32_e32 v2, 28, v1
	v_lshlrev_b64_e32 v[4:5], v2, v[24:25]
	s_delay_alu instid0(VALU_DEP_1)
	v_dual_sub_nc_u32 v2, 29, v1 :: v_dual_bitop2_b32 v1, 7, v4 bitop3:0x40
; %bb.598:                              ;   in Loop: Header=BB272_9 Depth=1
	s_or_b32 exec_lo, exec_lo, s20
	s_delay_alu instid0(VALU_DEP_1) | instskip(NEXT) | instid1(VALU_DEP_2)
	v_dual_lshlrev_b32 v0, 8, v0 :: v_dual_lshlrev_b32 v1, 23, v1
	v_lshl_add_u32 v2, v2, 10, 0x2000
	s_delay_alu instid0(VALU_DEP_1) | instskip(NEXT) | instid1(VALU_DEP_1)
	v_and_or_b32 v0, 0x8000, v0, v2
	v_lshl_or_b32 v38, v0, 16, v1
.LBB272_599:                            ;   in Loop: Header=BB272_9 Depth=1
	s_or_b32 exec_lo, exec_lo, s19
.LBB272_600:                            ;   in Loop: Header=BB272_9 Depth=1
	s_delay_alu instid0(SALU_CYCLE_1)
	s_or_b32 exec_lo, exec_lo, s18
.LBB272_601:                            ;   in Loop: Header=BB272_9 Depth=1
	s_delay_alu instid0(SALU_CYCLE_1) | instskip(SKIP_3) | instid1(VALU_DEP_2)
	s_or_b32 exec_lo, exec_lo, s17
	v_dual_mov_b32 v69, 0 :: v_dual_lshrrev_b32 v24, 16, v8
	v_mov_b32_e32 v58, 0
	s_mov_b32 s17, exec_lo
	v_and_b32_e32 v0, 0xff, v24
	s_delay_alu instid0(VALU_DEP_1)
	v_cmpx_ne_u16_e32 0, v0
	s_cbranch_execz .LBB272_609
; %bb.602:                              ;   in Loop: Header=BB272_9 Depth=1
	v_mov_b32_e32 v58, 0x8000
	s_mov_b32 s18, exec_lo
	v_cmpx_ne_u16_e32 0x80, v0
	s_cbranch_execz .LBB272_608
; %bb.603:                              ;   in Loop: Header=BB272_9 Depth=1
	v_bfe_u32 v2, v8, 16, 7
	v_mov_b32_e32 v58, 0x7c01
	s_mov_b32 s19, exec_lo
	s_delay_alu instid0(VALU_DEP_2)
	v_cmpx_ne_u32_e32 0x7f, v2
	s_cbranch_execz .LBB272_607
; %bb.604:                              ;   in Loop: Header=BB272_9 Depth=1
	v_dual_lshrrev_b32 v1, 3, v2 :: v_dual_bitop2_b32 v0, 7, v24 bitop3:0x40
	s_mov_b32 s20, exec_lo
	v_cmpx_gt_u32_e32 8, v2
; %bb.605:                              ;   in Loop: Header=BB272_9 Depth=1
	s_delay_alu instid0(VALU_DEP_2) | instskip(NEXT) | instid1(VALU_DEP_1)
	v_clz_i32_u32_e32 v0, v0
	v_min_u32_e32 v2, 32, v0
	s_delay_alu instid0(VALU_DEP_1) | instskip(NEXT) | instid1(VALU_DEP_1)
	v_subrev_nc_u32_e32 v0, 28, v2
	v_lshlrev_b64_e32 v[0:1], v0, v[24:25]
	s_delay_alu instid0(VALU_DEP_1)
	v_dual_sub_nc_u32 v1, 29, v2 :: v_dual_bitop2_b32 v0, 7, v0 bitop3:0x40
; %bb.606:                              ;   in Loop: Header=BB272_9 Depth=1
	s_or_b32 exec_lo, exec_lo, s20
	v_lshlrev_b32_e32 v2, 8, v24
	s_delay_alu instid0(VALU_DEP_2) | instskip(NEXT) | instid1(VALU_DEP_3)
	v_lshl_add_u32 v1, v1, 10, 0x2000
	v_lshlrev_b32_e32 v0, 7, v0
	s_delay_alu instid0(VALU_DEP_3) | instskip(NEXT) | instid1(VALU_DEP_3)
	v_and_b32_e32 v2, 0x8000, v2
	v_and_b32_e32 v1, 0xfc00, v1
	s_delay_alu instid0(VALU_DEP_1)
	v_or3_b32 v58, v2, v1, v0
.LBB272_607:                            ;   in Loop: Header=BB272_9 Depth=1
	s_or_b32 exec_lo, exec_lo, s19
.LBB272_608:                            ;   in Loop: Header=BB272_9 Depth=1
	s_delay_alu instid0(SALU_CYCLE_1)
	s_or_b32 exec_lo, exec_lo, s18
.LBB272_609:                            ;   in Loop: Header=BB272_9 Depth=1
	s_delay_alu instid0(SALU_CYCLE_1) | instskip(NEXT) | instid1(SALU_CYCLE_1)
	s_or_b32 exec_lo, exec_lo, s17
	s_mov_b32 s17, exec_lo
	v_cmpx_lt_u32_e32 0xffffff, v8
	s_cbranch_execz .LBB272_617
; %bb.610:                              ;   in Loop: Header=BB272_9 Depth=1
	v_lshrrev_b32_e32 v24, 24, v8
	v_bfrev_b32_e32 v69, 1
	s_mov_b32 s18, exec_lo
	s_delay_alu instid0(VALU_DEP_2)
	v_cmpx_ne_u32_e32 0x80, v24
	s_cbranch_execz .LBB272_616
; %bb.611:                              ;   in Loop: Header=BB272_9 Depth=1
	v_and_b32_e32 v2, 0x7f, v24
	v_mov_b32_e32 v69, 0x7c010000
	s_mov_b32 s19, exec_lo
	s_delay_alu instid0(VALU_DEP_2)
	v_cmpx_ne_u32_e32 0x7f, v2
	s_cbranch_execz .LBB272_615
; %bb.612:                              ;   in Loop: Header=BB272_9 Depth=1
	v_dual_lshrrev_b32 v1, 3, v2 :: v_dual_bitop2_b32 v0, 7, v24 bitop3:0x40
	s_mov_b32 s20, exec_lo
	v_cmpx_gt_u32_e32 8, v2
; %bb.613:                              ;   in Loop: Header=BB272_9 Depth=1
	s_delay_alu instid0(VALU_DEP_2) | instskip(NEXT) | instid1(VALU_DEP_1)
	v_clz_i32_u32_e32 v0, v0
	v_min_u32_e32 v2, 32, v0
	s_delay_alu instid0(VALU_DEP_1) | instskip(NEXT) | instid1(VALU_DEP_1)
	v_subrev_nc_u32_e32 v0, 28, v2
	v_lshlrev_b64_e32 v[0:1], v0, v[24:25]
	s_delay_alu instid0(VALU_DEP_1)
	v_dual_sub_nc_u32 v1, 29, v2 :: v_dual_bitop2_b32 v0, 7, v0 bitop3:0x40
; %bb.614:                              ;   in Loop: Header=BB272_9 Depth=1
	s_or_b32 exec_lo, exec_lo, s20
	v_lshlrev_b32_e32 v2, 8, v24
	s_delay_alu instid0(VALU_DEP_2) | instskip(NEXT) | instid1(VALU_DEP_3)
	v_lshl_add_u32 v1, v1, 10, 0x2000
	v_lshlrev_b32_e32 v0, 23, v0
	s_delay_alu instid0(VALU_DEP_2) | instskip(NEXT) | instid1(VALU_DEP_1)
	v_and_or_b32 v1, 0x8000, v2, v1
	v_lshl_or_b32 v69, v1, 16, v0
.LBB272_615:                            ;   in Loop: Header=BB272_9 Depth=1
	s_or_b32 exec_lo, exec_lo, s19
.LBB272_616:                            ;   in Loop: Header=BB272_9 Depth=1
	s_delay_alu instid0(SALU_CYCLE_1)
	s_or_b32 exec_lo, exec_lo, s18
.LBB272_617:                            ;   in Loop: Header=BB272_9 Depth=1
	s_delay_alu instid0(SALU_CYCLE_1)
	s_or_b32 exec_lo, exec_lo, s17
	flat_load_b32 v8, v[28:29] offset:2312
	v_dual_mov_b32 v65, 0 :: v_dual_mov_b32 v67, 0
	s_mov_b32 s17, exec_lo
	s_wait_loadcnt_dscnt 0x0
	v_and_b32_e32 v0, 0xff, v8
	s_wait_xcnt 0x0
	s_delay_alu instid0(VALU_DEP_1)
	v_cmpx_ne_u16_e32 0, v0
	s_cbranch_execz .LBB272_625
; %bb.618:                              ;   in Loop: Header=BB272_9 Depth=1
	v_mov_b32_e32 v67, 0x8000
	s_mov_b32 s18, exec_lo
	v_cmpx_ne_u16_e32 0x80, v0
	s_cbranch_execz .LBB272_624
; %bb.619:                              ;   in Loop: Header=BB272_9 Depth=1
	v_and_b32_e32 v2, 0x7f, v8
	v_mov_b32_e32 v67, 0x7c01
	s_mov_b32 s19, exec_lo
	s_delay_alu instid0(VALU_DEP_2)
	v_cmpx_ne_u32_e32 0x7f, v2
	s_cbranch_execz .LBB272_623
; %bb.620:                              ;   in Loop: Header=BB272_9 Depth=1
	v_dual_lshrrev_b32 v1, 3, v2 :: v_dual_bitop2_b32 v0, 7, v8 bitop3:0x40
	s_mov_b32 s20, exec_lo
	v_cmpx_gt_u32_e32 8, v2
; %bb.621:                              ;   in Loop: Header=BB272_9 Depth=1
	s_delay_alu instid0(VALU_DEP_2) | instskip(NEXT) | instid1(VALU_DEP_1)
	v_clz_i32_u32_e32 v0, v0
	v_min_u32_e32 v2, 32, v0
	s_delay_alu instid0(VALU_DEP_1) | instskip(NEXT) | instid1(VALU_DEP_1)
	v_subrev_nc_u32_e32 v0, 28, v2
	v_lshlrev_b64_e32 v[0:1], v0, v[8:9]
	s_delay_alu instid0(VALU_DEP_1)
	v_dual_sub_nc_u32 v1, 29, v2 :: v_dual_bitop2_b32 v0, 7, v0 bitop3:0x40
; %bb.622:                              ;   in Loop: Header=BB272_9 Depth=1
	s_or_b32 exec_lo, exec_lo, s20
	v_lshlrev_b32_e32 v2, 8, v8
	s_delay_alu instid0(VALU_DEP_2) | instskip(NEXT) | instid1(VALU_DEP_3)
	v_lshl_add_u32 v1, v1, 10, 0x2000
	v_lshlrev_b32_e32 v0, 7, v0
	s_delay_alu instid0(VALU_DEP_3) | instskip(NEXT) | instid1(VALU_DEP_3)
	v_and_b32_e32 v2, 0x8000, v2
	v_and_b32_e32 v1, 0xfc00, v1
	s_delay_alu instid0(VALU_DEP_1)
	v_or3_b32 v67, v2, v1, v0
.LBB272_623:                            ;   in Loop: Header=BB272_9 Depth=1
	s_or_b32 exec_lo, exec_lo, s19
.LBB272_624:                            ;   in Loop: Header=BB272_9 Depth=1
	s_delay_alu instid0(SALU_CYCLE_1)
	s_or_b32 exec_lo, exec_lo, s18
.LBB272_625:                            ;   in Loop: Header=BB272_9 Depth=1
	s_delay_alu instid0(SALU_CYCLE_1) | instskip(SKIP_2) | instid1(VALU_DEP_1)
	s_or_b32 exec_lo, exec_lo, s17
	v_lshrrev_b16 v24, 8, v8
	s_mov_b32 s17, exec_lo
	v_cmpx_ne_u16_e32 0, v24
	s_cbranch_execz .LBB272_633
; %bb.626:                              ;   in Loop: Header=BB272_9 Depth=1
	v_bfrev_b32_e32 v65, 1
	s_mov_b32 s18, exec_lo
	v_cmpx_ne_u16_e32 0x80, v24
	s_cbranch_execz .LBB272_632
; %bb.627:                              ;   in Loop: Header=BB272_9 Depth=1
	v_and_b32_e32 v0, 0xffff, v24
	v_mov_b32_e32 v65, 0x7c010000
	s_mov_b32 s19, exec_lo
	s_delay_alu instid0(VALU_DEP_2) | instskip(NEXT) | instid1(VALU_DEP_1)
	v_and_b32_e32 v3, 0x7f, v0
	v_cmpx_ne_u32_e32 0x7f, v3
	s_cbranch_execz .LBB272_631
; %bb.628:                              ;   in Loop: Header=BB272_9 Depth=1
	v_dual_lshrrev_b32 v2, 3, v3 :: v_dual_bitop2_b32 v1, 7, v0 bitop3:0x40
	s_mov_b32 s20, exec_lo
	v_cmpx_gt_u32_e32 8, v3
; %bb.629:                              ;   in Loop: Header=BB272_9 Depth=1
	s_delay_alu instid0(VALU_DEP_2) | instskip(NEXT) | instid1(VALU_DEP_1)
	v_clz_i32_u32_e32 v1, v1
	v_min_u32_e32 v1, 32, v1
	s_delay_alu instid0(VALU_DEP_1) | instskip(NEXT) | instid1(VALU_DEP_1)
	v_subrev_nc_u32_e32 v2, 28, v1
	v_lshlrev_b64_e32 v[4:5], v2, v[24:25]
	s_delay_alu instid0(VALU_DEP_1)
	v_dual_sub_nc_u32 v2, 29, v1 :: v_dual_bitop2_b32 v1, 7, v4 bitop3:0x40
; %bb.630:                              ;   in Loop: Header=BB272_9 Depth=1
	s_or_b32 exec_lo, exec_lo, s20
	s_delay_alu instid0(VALU_DEP_1) | instskip(NEXT) | instid1(VALU_DEP_2)
	v_dual_lshlrev_b32 v0, 8, v0 :: v_dual_lshlrev_b32 v1, 23, v1
	v_lshl_add_u32 v2, v2, 10, 0x2000
	s_delay_alu instid0(VALU_DEP_1) | instskip(NEXT) | instid1(VALU_DEP_1)
	v_and_or_b32 v0, 0x8000, v0, v2
	v_lshl_or_b32 v65, v0, 16, v1
.LBB272_631:                            ;   in Loop: Header=BB272_9 Depth=1
	s_or_b32 exec_lo, exec_lo, s19
.LBB272_632:                            ;   in Loop: Header=BB272_9 Depth=1
	s_delay_alu instid0(SALU_CYCLE_1)
	s_or_b32 exec_lo, exec_lo, s18
.LBB272_633:                            ;   in Loop: Header=BB272_9 Depth=1
	s_delay_alu instid0(SALU_CYCLE_1) | instskip(SKIP_3) | instid1(VALU_DEP_2)
	s_or_b32 exec_lo, exec_lo, s17
	v_dual_mov_b32 v59, 0 :: v_dual_lshrrev_b32 v24, 16, v8
	v_mov_b32_e32 v60, 0
	s_mov_b32 s17, exec_lo
	v_and_b32_e32 v0, 0xff, v24
	s_delay_alu instid0(VALU_DEP_1)
	v_cmpx_ne_u16_e32 0, v0
	s_cbranch_execz .LBB272_641
; %bb.634:                              ;   in Loop: Header=BB272_9 Depth=1
	v_mov_b32_e32 v60, 0x8000
	s_mov_b32 s18, exec_lo
	v_cmpx_ne_u16_e32 0x80, v0
	s_cbranch_execz .LBB272_640
; %bb.635:                              ;   in Loop: Header=BB272_9 Depth=1
	v_bfe_u32 v2, v8, 16, 7
	v_mov_b32_e32 v60, 0x7c01
	s_mov_b32 s19, exec_lo
	s_delay_alu instid0(VALU_DEP_2)
	v_cmpx_ne_u32_e32 0x7f, v2
	s_cbranch_execz .LBB272_639
; %bb.636:                              ;   in Loop: Header=BB272_9 Depth=1
	v_dual_lshrrev_b32 v1, 3, v2 :: v_dual_bitop2_b32 v0, 7, v24 bitop3:0x40
	s_mov_b32 s20, exec_lo
	v_cmpx_gt_u32_e32 8, v2
; %bb.637:                              ;   in Loop: Header=BB272_9 Depth=1
	s_delay_alu instid0(VALU_DEP_2) | instskip(NEXT) | instid1(VALU_DEP_1)
	v_clz_i32_u32_e32 v0, v0
	v_min_u32_e32 v2, 32, v0
	s_delay_alu instid0(VALU_DEP_1) | instskip(NEXT) | instid1(VALU_DEP_1)
	v_subrev_nc_u32_e32 v0, 28, v2
	v_lshlrev_b64_e32 v[0:1], v0, v[24:25]
	s_delay_alu instid0(VALU_DEP_1)
	v_dual_sub_nc_u32 v1, 29, v2 :: v_dual_bitop2_b32 v0, 7, v0 bitop3:0x40
; %bb.638:                              ;   in Loop: Header=BB272_9 Depth=1
	s_or_b32 exec_lo, exec_lo, s20
	v_lshlrev_b32_e32 v2, 8, v24
	s_delay_alu instid0(VALU_DEP_2) | instskip(NEXT) | instid1(VALU_DEP_3)
	v_lshl_add_u32 v1, v1, 10, 0x2000
	v_lshlrev_b32_e32 v0, 7, v0
	s_delay_alu instid0(VALU_DEP_3) | instskip(NEXT) | instid1(VALU_DEP_3)
	v_and_b32_e32 v2, 0x8000, v2
	v_and_b32_e32 v1, 0xfc00, v1
	s_delay_alu instid0(VALU_DEP_1)
	v_or3_b32 v60, v2, v1, v0
.LBB272_639:                            ;   in Loop: Header=BB272_9 Depth=1
	s_or_b32 exec_lo, exec_lo, s19
.LBB272_640:                            ;   in Loop: Header=BB272_9 Depth=1
	s_delay_alu instid0(SALU_CYCLE_1)
	s_or_b32 exec_lo, exec_lo, s18
.LBB272_641:                            ;   in Loop: Header=BB272_9 Depth=1
	s_delay_alu instid0(SALU_CYCLE_1) | instskip(NEXT) | instid1(SALU_CYCLE_1)
	s_or_b32 exec_lo, exec_lo, s17
	s_mov_b32 s17, exec_lo
	v_cmpx_lt_u32_e32 0xffffff, v8
	s_cbranch_execz .LBB272_649
; %bb.642:                              ;   in Loop: Header=BB272_9 Depth=1
	v_lshrrev_b32_e32 v24, 24, v8
	v_bfrev_b32_e32 v59, 1
	s_mov_b32 s18, exec_lo
	s_delay_alu instid0(VALU_DEP_2)
	v_cmpx_ne_u32_e32 0x80, v24
	s_cbranch_execz .LBB272_648
; %bb.643:                              ;   in Loop: Header=BB272_9 Depth=1
	v_and_b32_e32 v2, 0x7f, v24
	v_mov_b32_e32 v59, 0x7c010000
	s_mov_b32 s19, exec_lo
	s_delay_alu instid0(VALU_DEP_2)
	v_cmpx_ne_u32_e32 0x7f, v2
	s_cbranch_execz .LBB272_647
; %bb.644:                              ;   in Loop: Header=BB272_9 Depth=1
	v_dual_lshrrev_b32 v1, 3, v2 :: v_dual_bitop2_b32 v0, 7, v24 bitop3:0x40
	s_mov_b32 s20, exec_lo
	v_cmpx_gt_u32_e32 8, v2
; %bb.645:                              ;   in Loop: Header=BB272_9 Depth=1
	s_delay_alu instid0(VALU_DEP_2) | instskip(NEXT) | instid1(VALU_DEP_1)
	v_clz_i32_u32_e32 v0, v0
	v_min_u32_e32 v2, 32, v0
	s_delay_alu instid0(VALU_DEP_1) | instskip(NEXT) | instid1(VALU_DEP_1)
	v_subrev_nc_u32_e32 v0, 28, v2
	v_lshlrev_b64_e32 v[0:1], v0, v[24:25]
	s_delay_alu instid0(VALU_DEP_1)
	v_dual_sub_nc_u32 v1, 29, v2 :: v_dual_bitop2_b32 v0, 7, v0 bitop3:0x40
; %bb.646:                              ;   in Loop: Header=BB272_9 Depth=1
	s_or_b32 exec_lo, exec_lo, s20
	v_lshlrev_b32_e32 v2, 8, v24
	s_delay_alu instid0(VALU_DEP_2) | instskip(NEXT) | instid1(VALU_DEP_3)
	v_lshl_add_u32 v1, v1, 10, 0x2000
	v_lshlrev_b32_e32 v0, 23, v0
	s_delay_alu instid0(VALU_DEP_2) | instskip(NEXT) | instid1(VALU_DEP_1)
	v_and_or_b32 v1, 0x8000, v2, v1
	v_lshl_or_b32 v59, v1, 16, v0
.LBB272_647:                            ;   in Loop: Header=BB272_9 Depth=1
	s_or_b32 exec_lo, exec_lo, s19
.LBB272_648:                            ;   in Loop: Header=BB272_9 Depth=1
	s_delay_alu instid0(SALU_CYCLE_1)
	s_or_b32 exec_lo, exec_lo, s18
.LBB272_649:                            ;   in Loop: Header=BB272_9 Depth=1
	s_delay_alu instid0(SALU_CYCLE_1)
	s_or_b32 exec_lo, exec_lo, s17
	flat_load_b32 v8, v[28:29] offset:2560
	v_dual_mov_b32 v13, 0 :: v_dual_mov_b32 v20, 0
	s_mov_b32 s17, exec_lo
	s_wait_loadcnt_dscnt 0x0
	v_and_b32_e32 v0, 0xff, v8
	s_wait_xcnt 0x0
	s_delay_alu instid0(VALU_DEP_1)
	v_cmpx_ne_u16_e32 0, v0
	s_cbranch_execz .LBB272_657
; %bb.650:                              ;   in Loop: Header=BB272_9 Depth=1
	v_mov_b32_e32 v20, 0x8000
	s_mov_b32 s18, exec_lo
	v_cmpx_ne_u16_e32 0x80, v0
	s_cbranch_execz .LBB272_656
; %bb.651:                              ;   in Loop: Header=BB272_9 Depth=1
	v_and_b32_e32 v2, 0x7f, v8
	v_mov_b32_e32 v20, 0x7c01
	s_mov_b32 s19, exec_lo
	s_delay_alu instid0(VALU_DEP_2)
	v_cmpx_ne_u32_e32 0x7f, v2
	s_cbranch_execz .LBB272_655
; %bb.652:                              ;   in Loop: Header=BB272_9 Depth=1
	v_dual_lshrrev_b32 v1, 3, v2 :: v_dual_bitop2_b32 v0, 7, v8 bitop3:0x40
	s_mov_b32 s20, exec_lo
	v_cmpx_gt_u32_e32 8, v2
; %bb.653:                              ;   in Loop: Header=BB272_9 Depth=1
	s_delay_alu instid0(VALU_DEP_2) | instskip(NEXT) | instid1(VALU_DEP_1)
	v_clz_i32_u32_e32 v0, v0
	v_min_u32_e32 v2, 32, v0
	s_delay_alu instid0(VALU_DEP_1) | instskip(NEXT) | instid1(VALU_DEP_1)
	v_subrev_nc_u32_e32 v0, 28, v2
	v_lshlrev_b64_e32 v[0:1], v0, v[8:9]
	s_delay_alu instid0(VALU_DEP_1)
	v_dual_sub_nc_u32 v1, 29, v2 :: v_dual_bitop2_b32 v0, 7, v0 bitop3:0x40
; %bb.654:                              ;   in Loop: Header=BB272_9 Depth=1
	s_or_b32 exec_lo, exec_lo, s20
	v_lshlrev_b32_e32 v2, 8, v8
	s_delay_alu instid0(VALU_DEP_2) | instskip(NEXT) | instid1(VALU_DEP_3)
	v_lshl_add_u32 v1, v1, 10, 0x2000
	v_lshlrev_b32_e32 v0, 7, v0
	s_delay_alu instid0(VALU_DEP_3) | instskip(NEXT) | instid1(VALU_DEP_3)
	v_and_b32_e32 v2, 0x8000, v2
	v_and_b32_e32 v1, 0xfc00, v1
	s_delay_alu instid0(VALU_DEP_1)
	v_or3_b32 v20, v2, v1, v0
.LBB272_655:                            ;   in Loop: Header=BB272_9 Depth=1
	s_or_b32 exec_lo, exec_lo, s19
.LBB272_656:                            ;   in Loop: Header=BB272_9 Depth=1
	s_delay_alu instid0(SALU_CYCLE_1)
	s_or_b32 exec_lo, exec_lo, s18
.LBB272_657:                            ;   in Loop: Header=BB272_9 Depth=1
	s_delay_alu instid0(SALU_CYCLE_1) | instskip(SKIP_2) | instid1(VALU_DEP_1)
	s_or_b32 exec_lo, exec_lo, s17
	v_lshrrev_b16 v24, 8, v8
	s_mov_b32 s17, exec_lo
	v_cmpx_ne_u16_e32 0, v24
	s_cbranch_execz .LBB272_665
; %bb.658:                              ;   in Loop: Header=BB272_9 Depth=1
	v_bfrev_b32_e32 v13, 1
	s_mov_b32 s18, exec_lo
	v_cmpx_ne_u16_e32 0x80, v24
	s_cbranch_execz .LBB272_664
; %bb.659:                              ;   in Loop: Header=BB272_9 Depth=1
	v_and_b32_e32 v0, 0xffff, v24
	v_mov_b32_e32 v13, 0x7c010000
	s_mov_b32 s19, exec_lo
	s_delay_alu instid0(VALU_DEP_2) | instskip(NEXT) | instid1(VALU_DEP_1)
	v_and_b32_e32 v3, 0x7f, v0
	v_cmpx_ne_u32_e32 0x7f, v3
	s_cbranch_execz .LBB272_663
; %bb.660:                              ;   in Loop: Header=BB272_9 Depth=1
	v_dual_lshrrev_b32 v2, 3, v3 :: v_dual_bitop2_b32 v1, 7, v0 bitop3:0x40
	s_mov_b32 s20, exec_lo
	v_cmpx_gt_u32_e32 8, v3
; %bb.661:                              ;   in Loop: Header=BB272_9 Depth=1
	s_delay_alu instid0(VALU_DEP_2) | instskip(NEXT) | instid1(VALU_DEP_1)
	v_clz_i32_u32_e32 v1, v1
	v_min_u32_e32 v1, 32, v1
	s_delay_alu instid0(VALU_DEP_1) | instskip(NEXT) | instid1(VALU_DEP_1)
	v_subrev_nc_u32_e32 v2, 28, v1
	v_lshlrev_b64_e32 v[4:5], v2, v[24:25]
	s_delay_alu instid0(VALU_DEP_1)
	v_dual_sub_nc_u32 v2, 29, v1 :: v_dual_bitop2_b32 v1, 7, v4 bitop3:0x40
; %bb.662:                              ;   in Loop: Header=BB272_9 Depth=1
	s_or_b32 exec_lo, exec_lo, s20
	s_delay_alu instid0(VALU_DEP_1) | instskip(NEXT) | instid1(VALU_DEP_2)
	v_dual_lshlrev_b32 v0, 8, v0 :: v_dual_lshlrev_b32 v1, 23, v1
	v_lshl_add_u32 v2, v2, 10, 0x2000
	s_delay_alu instid0(VALU_DEP_1) | instskip(NEXT) | instid1(VALU_DEP_1)
	v_and_or_b32 v0, 0x8000, v0, v2
	v_lshl_or_b32 v13, v0, 16, v1
.LBB272_663:                            ;   in Loop: Header=BB272_9 Depth=1
	s_or_b32 exec_lo, exec_lo, s19
.LBB272_664:                            ;   in Loop: Header=BB272_9 Depth=1
	s_delay_alu instid0(SALU_CYCLE_1)
	s_or_b32 exec_lo, exec_lo, s18
.LBB272_665:                            ;   in Loop: Header=BB272_9 Depth=1
	s_delay_alu instid0(SALU_CYCLE_1) | instskip(SKIP_3) | instid1(VALU_DEP_2)
	s_or_b32 exec_lo, exec_lo, s17
	v_dual_mov_b32 v21, 0 :: v_dual_lshrrev_b32 v24, 16, v8
	v_mov_b32_e32 v71, 0
	s_mov_b32 s17, exec_lo
	v_and_b32_e32 v0, 0xff, v24
	s_delay_alu instid0(VALU_DEP_1)
	v_cmpx_ne_u16_e32 0, v0
	s_cbranch_execz .LBB272_673
; %bb.666:                              ;   in Loop: Header=BB272_9 Depth=1
	v_mov_b32_e32 v71, 0x8000
	s_mov_b32 s18, exec_lo
	v_cmpx_ne_u16_e32 0x80, v0
	s_cbranch_execz .LBB272_672
; %bb.667:                              ;   in Loop: Header=BB272_9 Depth=1
	v_bfe_u32 v2, v8, 16, 7
	v_mov_b32_e32 v71, 0x7c01
	s_mov_b32 s19, exec_lo
	s_delay_alu instid0(VALU_DEP_2)
	v_cmpx_ne_u32_e32 0x7f, v2
	s_cbranch_execz .LBB272_671
; %bb.668:                              ;   in Loop: Header=BB272_9 Depth=1
	v_dual_lshrrev_b32 v1, 3, v2 :: v_dual_bitop2_b32 v0, 7, v24 bitop3:0x40
	s_mov_b32 s20, exec_lo
	v_cmpx_gt_u32_e32 8, v2
; %bb.669:                              ;   in Loop: Header=BB272_9 Depth=1
	s_delay_alu instid0(VALU_DEP_2) | instskip(NEXT) | instid1(VALU_DEP_1)
	v_clz_i32_u32_e32 v0, v0
	v_min_u32_e32 v2, 32, v0
	s_delay_alu instid0(VALU_DEP_1) | instskip(NEXT) | instid1(VALU_DEP_1)
	v_subrev_nc_u32_e32 v0, 28, v2
	v_lshlrev_b64_e32 v[0:1], v0, v[24:25]
	s_delay_alu instid0(VALU_DEP_1)
	v_dual_sub_nc_u32 v1, 29, v2 :: v_dual_bitop2_b32 v0, 7, v0 bitop3:0x40
; %bb.670:                              ;   in Loop: Header=BB272_9 Depth=1
	s_or_b32 exec_lo, exec_lo, s20
	v_lshlrev_b32_e32 v2, 8, v24
	s_delay_alu instid0(VALU_DEP_2) | instskip(NEXT) | instid1(VALU_DEP_3)
	v_lshl_add_u32 v1, v1, 10, 0x2000
	v_lshlrev_b32_e32 v0, 7, v0
	s_delay_alu instid0(VALU_DEP_3) | instskip(NEXT) | instid1(VALU_DEP_3)
	v_and_b32_e32 v2, 0x8000, v2
	v_and_b32_e32 v1, 0xfc00, v1
	s_delay_alu instid0(VALU_DEP_1)
	v_or3_b32 v71, v2, v1, v0
.LBB272_671:                            ;   in Loop: Header=BB272_9 Depth=1
	s_or_b32 exec_lo, exec_lo, s19
.LBB272_672:                            ;   in Loop: Header=BB272_9 Depth=1
	s_delay_alu instid0(SALU_CYCLE_1)
	s_or_b32 exec_lo, exec_lo, s18
.LBB272_673:                            ;   in Loop: Header=BB272_9 Depth=1
	s_delay_alu instid0(SALU_CYCLE_1) | instskip(NEXT) | instid1(SALU_CYCLE_1)
	s_or_b32 exec_lo, exec_lo, s17
	s_mov_b32 s17, exec_lo
	v_cmpx_lt_u32_e32 0xffffff, v8
	s_cbranch_execz .LBB272_681
; %bb.674:                              ;   in Loop: Header=BB272_9 Depth=1
	v_lshrrev_b32_e32 v24, 24, v8
	v_bfrev_b32_e32 v21, 1
	s_mov_b32 s18, exec_lo
	s_delay_alu instid0(VALU_DEP_2)
	v_cmpx_ne_u32_e32 0x80, v24
	s_cbranch_execz .LBB272_680
; %bb.675:                              ;   in Loop: Header=BB272_9 Depth=1
	v_and_b32_e32 v2, 0x7f, v24
	v_mov_b32_e32 v21, 0x7c010000
	s_mov_b32 s19, exec_lo
	s_delay_alu instid0(VALU_DEP_2)
	v_cmpx_ne_u32_e32 0x7f, v2
	s_cbranch_execz .LBB272_679
; %bb.676:                              ;   in Loop: Header=BB272_9 Depth=1
	v_dual_lshrrev_b32 v1, 3, v2 :: v_dual_bitop2_b32 v0, 7, v24 bitop3:0x40
	s_mov_b32 s20, exec_lo
	v_cmpx_gt_u32_e32 8, v2
; %bb.677:                              ;   in Loop: Header=BB272_9 Depth=1
	s_delay_alu instid0(VALU_DEP_2) | instskip(NEXT) | instid1(VALU_DEP_1)
	v_clz_i32_u32_e32 v0, v0
	v_min_u32_e32 v2, 32, v0
	s_delay_alu instid0(VALU_DEP_1) | instskip(NEXT) | instid1(VALU_DEP_1)
	v_subrev_nc_u32_e32 v0, 28, v2
	v_lshlrev_b64_e32 v[0:1], v0, v[24:25]
	s_delay_alu instid0(VALU_DEP_1)
	v_dual_sub_nc_u32 v1, 29, v2 :: v_dual_bitop2_b32 v0, 7, v0 bitop3:0x40
; %bb.678:                              ;   in Loop: Header=BB272_9 Depth=1
	s_or_b32 exec_lo, exec_lo, s20
	v_lshlrev_b32_e32 v2, 8, v24
	s_delay_alu instid0(VALU_DEP_2) | instskip(NEXT) | instid1(VALU_DEP_3)
	v_lshl_add_u32 v1, v1, 10, 0x2000
	v_lshlrev_b32_e32 v0, 23, v0
	s_delay_alu instid0(VALU_DEP_2) | instskip(NEXT) | instid1(VALU_DEP_1)
	v_and_or_b32 v1, 0x8000, v2, v1
	v_lshl_or_b32 v21, v1, 16, v0
.LBB272_679:                            ;   in Loop: Header=BB272_9 Depth=1
	s_or_b32 exec_lo, exec_lo, s19
.LBB272_680:                            ;   in Loop: Header=BB272_9 Depth=1
	s_delay_alu instid0(SALU_CYCLE_1)
	s_or_b32 exec_lo, exec_lo, s18
.LBB272_681:                            ;   in Loop: Header=BB272_9 Depth=1
	s_delay_alu instid0(SALU_CYCLE_1)
	s_or_b32 exec_lo, exec_lo, s17
	flat_load_b32 v8, v[28:29] offset:2568
	v_dual_mov_b32 v4, 0 :: v_dual_mov_b32 v5, 0
	s_mov_b32 s17, exec_lo
	s_wait_loadcnt_dscnt 0x0
	v_and_b32_e32 v0, 0xff, v8
	s_wait_xcnt 0x0
	s_delay_alu instid0(VALU_DEP_1)
	v_cmpx_ne_u16_e32 0, v0
	s_cbranch_execz .LBB272_689
; %bb.682:                              ;   in Loop: Header=BB272_9 Depth=1
	v_mov_b32_e32 v5, 0x8000
	s_mov_b32 s18, exec_lo
	v_cmpx_ne_u16_e32 0x80, v0
	s_cbranch_execz .LBB272_688
; %bb.683:                              ;   in Loop: Header=BB272_9 Depth=1
	v_and_b32_e32 v2, 0x7f, v8
	v_mov_b32_e32 v5, 0x7c01
	s_mov_b32 s19, exec_lo
	s_delay_alu instid0(VALU_DEP_2)
	v_cmpx_ne_u32_e32 0x7f, v2
	s_cbranch_execz .LBB272_687
; %bb.684:                              ;   in Loop: Header=BB272_9 Depth=1
	v_dual_lshrrev_b32 v1, 3, v2 :: v_dual_bitop2_b32 v0, 7, v8 bitop3:0x40
	s_mov_b32 s20, exec_lo
	v_cmpx_gt_u32_e32 8, v2
; %bb.685:                              ;   in Loop: Header=BB272_9 Depth=1
	s_delay_alu instid0(VALU_DEP_2) | instskip(NEXT) | instid1(VALU_DEP_1)
	v_clz_i32_u32_e32 v0, v0
	v_min_u32_e32 v2, 32, v0
	s_delay_alu instid0(VALU_DEP_1) | instskip(NEXT) | instid1(VALU_DEP_1)
	v_subrev_nc_u32_e32 v0, 28, v2
	v_lshlrev_b64_e32 v[0:1], v0, v[8:9]
	s_delay_alu instid0(VALU_DEP_1)
	v_dual_sub_nc_u32 v1, 29, v2 :: v_dual_bitop2_b32 v0, 7, v0 bitop3:0x40
; %bb.686:                              ;   in Loop: Header=BB272_9 Depth=1
	s_or_b32 exec_lo, exec_lo, s20
	v_lshlrev_b32_e32 v2, 8, v8
	s_delay_alu instid0(VALU_DEP_2) | instskip(NEXT) | instid1(VALU_DEP_3)
	v_lshl_add_u32 v1, v1, 10, 0x2000
	v_lshlrev_b32_e32 v0, 7, v0
	s_delay_alu instid0(VALU_DEP_3) | instskip(NEXT) | instid1(VALU_DEP_3)
	v_and_b32_e32 v2, 0x8000, v2
	v_and_b32_e32 v1, 0xfc00, v1
	s_delay_alu instid0(VALU_DEP_1)
	v_or3_b32 v5, v2, v1, v0
.LBB272_687:                            ;   in Loop: Header=BB272_9 Depth=1
	s_or_b32 exec_lo, exec_lo, s19
.LBB272_688:                            ;   in Loop: Header=BB272_9 Depth=1
	s_delay_alu instid0(SALU_CYCLE_1)
	s_or_b32 exec_lo, exec_lo, s18
.LBB272_689:                            ;   in Loop: Header=BB272_9 Depth=1
	s_delay_alu instid0(SALU_CYCLE_1) | instskip(SKIP_2) | instid1(VALU_DEP_1)
	s_or_b32 exec_lo, exec_lo, s17
	v_lshrrev_b16 v24, 8, v8
	s_mov_b32 s17, exec_lo
	v_cmpx_ne_u16_e32 0, v24
	s_cbranch_execz .LBB272_697
; %bb.690:                              ;   in Loop: Header=BB272_9 Depth=1
	v_bfrev_b32_e32 v4, 1
	s_mov_b32 s18, exec_lo
	v_cmpx_ne_u16_e32 0x80, v24
	s_cbranch_execz .LBB272_696
; %bb.691:                              ;   in Loop: Header=BB272_9 Depth=1
	v_and_b32_e32 v0, 0xffff, v24
	v_mov_b32_e32 v4, 0x7c010000
	s_mov_b32 s19, exec_lo
	s_delay_alu instid0(VALU_DEP_2) | instskip(NEXT) | instid1(VALU_DEP_1)
	v_and_b32_e32 v3, 0x7f, v0
	v_cmpx_ne_u32_e32 0x7f, v3
	s_cbranch_execz .LBB272_695
; %bb.692:                              ;   in Loop: Header=BB272_9 Depth=1
	v_dual_lshrrev_b32 v2, 3, v3 :: v_dual_bitop2_b32 v1, 7, v0 bitop3:0x40
	s_mov_b32 s20, exec_lo
	v_cmpx_gt_u32_e32 8, v3
; %bb.693:                              ;   in Loop: Header=BB272_9 Depth=1
	s_delay_alu instid0(VALU_DEP_2) | instskip(NEXT) | instid1(VALU_DEP_1)
	v_clz_i32_u32_e32 v1, v1
	v_min_u32_e32 v1, 32, v1
	s_delay_alu instid0(VALU_DEP_1) | instskip(NEXT) | instid1(VALU_DEP_1)
	v_subrev_nc_u32_e32 v2, 28, v1
	v_lshlrev_b64_e32 v[6:7], v2, v[24:25]
	s_delay_alu instid0(VALU_DEP_1)
	v_dual_sub_nc_u32 v2, 29, v1 :: v_dual_bitop2_b32 v1, 7, v6 bitop3:0x40
; %bb.694:                              ;   in Loop: Header=BB272_9 Depth=1
	s_or_b32 exec_lo, exec_lo, s20
	s_delay_alu instid0(VALU_DEP_1) | instskip(NEXT) | instid1(VALU_DEP_2)
	v_dual_lshlrev_b32 v0, 8, v0 :: v_dual_lshlrev_b32 v1, 23, v1
	v_lshl_add_u32 v2, v2, 10, 0x2000
	s_delay_alu instid0(VALU_DEP_1) | instskip(NEXT) | instid1(VALU_DEP_1)
	v_and_or_b32 v0, 0x8000, v0, v2
	v_lshl_or_b32 v4, v0, 16, v1
.LBB272_695:                            ;   in Loop: Header=BB272_9 Depth=1
	s_or_b32 exec_lo, exec_lo, s19
.LBB272_696:                            ;   in Loop: Header=BB272_9 Depth=1
	s_delay_alu instid0(SALU_CYCLE_1)
	s_or_b32 exec_lo, exec_lo, s18
.LBB272_697:                            ;   in Loop: Header=BB272_9 Depth=1
	s_delay_alu instid0(SALU_CYCLE_1) | instskip(SKIP_3) | instid1(VALU_DEP_2)
	s_or_b32 exec_lo, exec_lo, s17
	v_dual_mov_b32 v9, 0 :: v_dual_lshrrev_b32 v24, 16, v8
	v_mov_b32_e32 v55, 0
	s_mov_b32 s17, exec_lo
	v_and_b32_e32 v0, 0xff, v24
	s_delay_alu instid0(VALU_DEP_1)
	v_cmpx_ne_u16_e32 0, v0
	s_cbranch_execz .LBB272_705
; %bb.698:                              ;   in Loop: Header=BB272_9 Depth=1
	v_mov_b32_e32 v55, 0x8000
	s_mov_b32 s18, exec_lo
	v_cmpx_ne_u16_e32 0x80, v0
	s_cbranch_execz .LBB272_704
; %bb.699:                              ;   in Loop: Header=BB272_9 Depth=1
	v_bfe_u32 v2, v8, 16, 7
	v_mov_b32_e32 v55, 0x7c01
	s_mov_b32 s19, exec_lo
	s_delay_alu instid0(VALU_DEP_2)
	v_cmpx_ne_u32_e32 0x7f, v2
	s_cbranch_execz .LBB272_703
; %bb.700:                              ;   in Loop: Header=BB272_9 Depth=1
	v_dual_lshrrev_b32 v1, 3, v2 :: v_dual_bitop2_b32 v0, 7, v24 bitop3:0x40
	s_mov_b32 s20, exec_lo
	v_cmpx_gt_u32_e32 8, v2
; %bb.701:                              ;   in Loop: Header=BB272_9 Depth=1
	s_delay_alu instid0(VALU_DEP_2) | instskip(NEXT) | instid1(VALU_DEP_1)
	v_clz_i32_u32_e32 v0, v0
	v_min_u32_e32 v2, 32, v0
	s_delay_alu instid0(VALU_DEP_1) | instskip(NEXT) | instid1(VALU_DEP_1)
	v_subrev_nc_u32_e32 v0, 28, v2
	v_lshlrev_b64_e32 v[0:1], v0, v[24:25]
	s_delay_alu instid0(VALU_DEP_1)
	v_dual_sub_nc_u32 v1, 29, v2 :: v_dual_bitop2_b32 v0, 7, v0 bitop3:0x40
; %bb.702:                              ;   in Loop: Header=BB272_9 Depth=1
	s_or_b32 exec_lo, exec_lo, s20
	v_lshlrev_b32_e32 v2, 8, v24
	s_delay_alu instid0(VALU_DEP_2) | instskip(NEXT) | instid1(VALU_DEP_3)
	v_lshl_add_u32 v1, v1, 10, 0x2000
	v_lshlrev_b32_e32 v0, 7, v0
	s_delay_alu instid0(VALU_DEP_3) | instskip(NEXT) | instid1(VALU_DEP_3)
	v_and_b32_e32 v2, 0x8000, v2
	v_and_b32_e32 v1, 0xfc00, v1
	s_delay_alu instid0(VALU_DEP_1)
	v_or3_b32 v55, v2, v1, v0
.LBB272_703:                            ;   in Loop: Header=BB272_9 Depth=1
	s_or_b32 exec_lo, exec_lo, s19
.LBB272_704:                            ;   in Loop: Header=BB272_9 Depth=1
	s_delay_alu instid0(SALU_CYCLE_1)
	s_or_b32 exec_lo, exec_lo, s18
.LBB272_705:                            ;   in Loop: Header=BB272_9 Depth=1
	s_delay_alu instid0(SALU_CYCLE_1) | instskip(NEXT) | instid1(SALU_CYCLE_1)
	s_or_b32 exec_lo, exec_lo, s17
	s_mov_b32 s17, exec_lo
	v_cmpx_lt_u32_e32 0xffffff, v8
	s_cbranch_execz .LBB272_713
; %bb.706:                              ;   in Loop: Header=BB272_9 Depth=1
	v_lshrrev_b32_e32 v24, 24, v8
	v_bfrev_b32_e32 v9, 1
	s_mov_b32 s18, exec_lo
	s_delay_alu instid0(VALU_DEP_2)
	v_cmpx_ne_u32_e32 0x80, v24
	s_cbranch_execz .LBB272_712
; %bb.707:                              ;   in Loop: Header=BB272_9 Depth=1
	v_and_b32_e32 v2, 0x7f, v24
	v_mov_b32_e32 v9, 0x7c010000
	s_mov_b32 s19, exec_lo
	s_delay_alu instid0(VALU_DEP_2)
	v_cmpx_ne_u32_e32 0x7f, v2
	s_cbranch_execz .LBB272_711
; %bb.708:                              ;   in Loop: Header=BB272_9 Depth=1
	v_dual_lshrrev_b32 v1, 3, v2 :: v_dual_bitop2_b32 v0, 7, v24 bitop3:0x40
	s_mov_b32 s20, exec_lo
	v_cmpx_gt_u32_e32 8, v2
; %bb.709:                              ;   in Loop: Header=BB272_9 Depth=1
	s_delay_alu instid0(VALU_DEP_2) | instskip(NEXT) | instid1(VALU_DEP_1)
	v_clz_i32_u32_e32 v0, v0
	v_min_u32_e32 v2, 32, v0
	s_delay_alu instid0(VALU_DEP_1) | instskip(NEXT) | instid1(VALU_DEP_1)
	v_subrev_nc_u32_e32 v0, 28, v2
	v_lshlrev_b64_e32 v[0:1], v0, v[24:25]
	s_delay_alu instid0(VALU_DEP_1)
	v_dual_sub_nc_u32 v1, 29, v2 :: v_dual_bitop2_b32 v0, 7, v0 bitop3:0x40
; %bb.710:                              ;   in Loop: Header=BB272_9 Depth=1
	s_or_b32 exec_lo, exec_lo, s20
	v_lshlrev_b32_e32 v2, 8, v24
	s_delay_alu instid0(VALU_DEP_2) | instskip(NEXT) | instid1(VALU_DEP_3)
	v_lshl_add_u32 v1, v1, 10, 0x2000
	v_lshlrev_b32_e32 v0, 23, v0
	s_delay_alu instid0(VALU_DEP_2) | instskip(NEXT) | instid1(VALU_DEP_1)
	v_and_or_b32 v1, 0x8000, v2, v1
	v_lshl_or_b32 v9, v1, 16, v0
.LBB272_711:                            ;   in Loop: Header=BB272_9 Depth=1
	s_or_b32 exec_lo, exec_lo, s19
.LBB272_712:                            ;   in Loop: Header=BB272_9 Depth=1
	s_delay_alu instid0(SALU_CYCLE_1)
	s_or_b32 exec_lo, exec_lo, s18
.LBB272_713:                            ;   in Loop: Header=BB272_9 Depth=1
	s_delay_alu instid0(SALU_CYCLE_1)
	s_or_b32 exec_lo, exec_lo, s17
	flat_load_b32 v8, v[28:29] offset:2816
	v_dual_mov_b32 v6, 0 :: v_dual_mov_b32 v7, 0
	s_mov_b32 s17, exec_lo
	s_wait_loadcnt_dscnt 0x0
	v_and_b32_e32 v0, 0xff, v8
	s_wait_xcnt 0x0
	s_delay_alu instid0(VALU_DEP_1)
	v_cmpx_ne_u16_e32 0, v0
	s_cbranch_execz .LBB272_721
; %bb.714:                              ;   in Loop: Header=BB272_9 Depth=1
	v_mov_b32_e32 v7, 0x8000
	s_mov_b32 s18, exec_lo
	v_cmpx_ne_u16_e32 0x80, v0
	s_cbranch_execz .LBB272_720
; %bb.715:                              ;   in Loop: Header=BB272_9 Depth=1
	v_and_b32_e32 v2, 0x7f, v8
	v_mov_b32_e32 v7, 0x7c01
	s_mov_b32 s19, exec_lo
	s_delay_alu instid0(VALU_DEP_2)
	v_cmpx_ne_u32_e32 0x7f, v2
	s_cbranch_execz .LBB272_719
; %bb.716:                              ;   in Loop: Header=BB272_9 Depth=1
	v_dual_lshrrev_b32 v1, 3, v2 :: v_dual_bitop2_b32 v0, 7, v8 bitop3:0x40
	s_mov_b32 s20, exec_lo
	v_cmpx_gt_u32_e32 8, v2
; %bb.717:                              ;   in Loop: Header=BB272_9 Depth=1
	s_delay_alu instid0(VALU_DEP_2) | instskip(NEXT) | instid1(VALU_DEP_1)
	v_clz_i32_u32_e32 v0, v0
	v_min_u32_e32 v2, 32, v0
	s_delay_alu instid0(VALU_DEP_1) | instskip(NEXT) | instid1(VALU_DEP_1)
	v_subrev_nc_u32_e32 v0, 28, v2
	v_lshlrev_b64_e32 v[0:1], v0, v[8:9]
	s_delay_alu instid0(VALU_DEP_1)
	v_dual_sub_nc_u32 v1, 29, v2 :: v_dual_bitop2_b32 v0, 7, v0 bitop3:0x40
; %bb.718:                              ;   in Loop: Header=BB272_9 Depth=1
	s_or_b32 exec_lo, exec_lo, s20
	v_lshlrev_b32_e32 v2, 8, v8
	s_delay_alu instid0(VALU_DEP_2) | instskip(NEXT) | instid1(VALU_DEP_3)
	v_lshl_add_u32 v1, v1, 10, 0x2000
	v_lshlrev_b32_e32 v0, 7, v0
	s_delay_alu instid0(VALU_DEP_3) | instskip(NEXT) | instid1(VALU_DEP_3)
	v_and_b32_e32 v2, 0x8000, v2
	v_and_b32_e32 v1, 0xfc00, v1
	s_delay_alu instid0(VALU_DEP_1)
	v_or3_b32 v7, v2, v1, v0
.LBB272_719:                            ;   in Loop: Header=BB272_9 Depth=1
	s_or_b32 exec_lo, exec_lo, s19
.LBB272_720:                            ;   in Loop: Header=BB272_9 Depth=1
	s_delay_alu instid0(SALU_CYCLE_1)
	s_or_b32 exec_lo, exec_lo, s18
.LBB272_721:                            ;   in Loop: Header=BB272_9 Depth=1
	s_delay_alu instid0(SALU_CYCLE_1) | instskip(SKIP_2) | instid1(VALU_DEP_1)
	s_or_b32 exec_lo, exec_lo, s17
	v_lshrrev_b16 v24, 8, v8
	s_mov_b32 s17, exec_lo
	v_cmpx_ne_u16_e32 0, v24
	s_cbranch_execz .LBB272_729
; %bb.722:                              ;   in Loop: Header=BB272_9 Depth=1
	v_bfrev_b32_e32 v6, 1
	s_mov_b32 s18, exec_lo
	v_cmpx_ne_u16_e32 0x80, v24
	s_cbranch_execz .LBB272_728
; %bb.723:                              ;   in Loop: Header=BB272_9 Depth=1
	v_and_b32_e32 v0, 0xffff, v24
	v_mov_b32_e32 v6, 0x7c010000
	s_mov_b32 s19, exec_lo
	s_delay_alu instid0(VALU_DEP_2) | instskip(NEXT) | instid1(VALU_DEP_1)
	v_and_b32_e32 v3, 0x7f, v0
	v_cmpx_ne_u32_e32 0x7f, v3
	s_cbranch_execz .LBB272_727
; %bb.724:                              ;   in Loop: Header=BB272_9 Depth=1
	v_dual_lshrrev_b32 v2, 3, v3 :: v_dual_bitop2_b32 v1, 7, v0 bitop3:0x40
	s_mov_b32 s20, exec_lo
	v_cmpx_gt_u32_e32 8, v3
; %bb.725:                              ;   in Loop: Header=BB272_9 Depth=1
	s_delay_alu instid0(VALU_DEP_2) | instskip(NEXT) | instid1(VALU_DEP_1)
	v_clz_i32_u32_e32 v1, v1
	v_min_u32_e32 v1, 32, v1
	s_delay_alu instid0(VALU_DEP_1) | instskip(NEXT) | instid1(VALU_DEP_1)
	v_subrev_nc_u32_e32 v2, 28, v1
	v_lshlrev_b64_e32 v[72:73], v2, v[24:25]
	s_delay_alu instid0(VALU_DEP_1)
	v_dual_sub_nc_u32 v2, 29, v1 :: v_dual_bitop2_b32 v1, 7, v72 bitop3:0x40
; %bb.726:                              ;   in Loop: Header=BB272_9 Depth=1
	s_or_b32 exec_lo, exec_lo, s20
	s_delay_alu instid0(VALU_DEP_1) | instskip(NEXT) | instid1(VALU_DEP_2)
	v_dual_lshlrev_b32 v0, 8, v0 :: v_dual_lshlrev_b32 v1, 23, v1
	v_lshl_add_u32 v2, v2, 10, 0x2000
	s_delay_alu instid0(VALU_DEP_1) | instskip(NEXT) | instid1(VALU_DEP_1)
	v_and_or_b32 v0, 0x8000, v0, v2
	v_lshl_or_b32 v6, v0, 16, v1
.LBB272_727:                            ;   in Loop: Header=BB272_9 Depth=1
	s_or_b32 exec_lo, exec_lo, s19
.LBB272_728:                            ;   in Loop: Header=BB272_9 Depth=1
	s_delay_alu instid0(SALU_CYCLE_1)
	s_or_b32 exec_lo, exec_lo, s18
.LBB272_729:                            ;   in Loop: Header=BB272_9 Depth=1
	s_delay_alu instid0(SALU_CYCLE_1) | instskip(SKIP_3) | instid1(VALU_DEP_2)
	s_or_b32 exec_lo, exec_lo, s17
	v_dual_mov_b32 v15, 0 :: v_dual_lshrrev_b32 v24, 16, v8
	v_mov_b32_e32 v19, 0
	s_mov_b32 s17, exec_lo
	v_and_b32_e32 v0, 0xff, v24
	s_delay_alu instid0(VALU_DEP_1)
	v_cmpx_ne_u16_e32 0, v0
	s_cbranch_execz .LBB272_737
; %bb.730:                              ;   in Loop: Header=BB272_9 Depth=1
	v_mov_b32_e32 v19, 0x8000
	s_mov_b32 s18, exec_lo
	v_cmpx_ne_u16_e32 0x80, v0
	s_cbranch_execz .LBB272_736
; %bb.731:                              ;   in Loop: Header=BB272_9 Depth=1
	v_bfe_u32 v2, v8, 16, 7
	v_mov_b32_e32 v19, 0x7c01
	s_mov_b32 s19, exec_lo
	s_delay_alu instid0(VALU_DEP_2)
	v_cmpx_ne_u32_e32 0x7f, v2
	s_cbranch_execz .LBB272_735
; %bb.732:                              ;   in Loop: Header=BB272_9 Depth=1
	v_dual_lshrrev_b32 v1, 3, v2 :: v_dual_bitop2_b32 v0, 7, v24 bitop3:0x40
	s_mov_b32 s20, exec_lo
	v_cmpx_gt_u32_e32 8, v2
; %bb.733:                              ;   in Loop: Header=BB272_9 Depth=1
	s_delay_alu instid0(VALU_DEP_2) | instskip(NEXT) | instid1(VALU_DEP_1)
	v_clz_i32_u32_e32 v0, v0
	v_min_u32_e32 v2, 32, v0
	s_delay_alu instid0(VALU_DEP_1) | instskip(NEXT) | instid1(VALU_DEP_1)
	v_subrev_nc_u32_e32 v0, 28, v2
	v_lshlrev_b64_e32 v[0:1], v0, v[24:25]
	s_delay_alu instid0(VALU_DEP_1)
	v_dual_sub_nc_u32 v1, 29, v2 :: v_dual_bitop2_b32 v0, 7, v0 bitop3:0x40
; %bb.734:                              ;   in Loop: Header=BB272_9 Depth=1
	s_or_b32 exec_lo, exec_lo, s20
	v_lshlrev_b32_e32 v2, 8, v24
	s_delay_alu instid0(VALU_DEP_2) | instskip(NEXT) | instid1(VALU_DEP_3)
	v_lshl_add_u32 v1, v1, 10, 0x2000
	v_lshlrev_b32_e32 v0, 7, v0
	s_delay_alu instid0(VALU_DEP_3) | instskip(NEXT) | instid1(VALU_DEP_3)
	v_and_b32_e32 v2, 0x8000, v2
	v_and_b32_e32 v1, 0xfc00, v1
	s_delay_alu instid0(VALU_DEP_1)
	v_or3_b32 v19, v2, v1, v0
.LBB272_735:                            ;   in Loop: Header=BB272_9 Depth=1
	s_or_b32 exec_lo, exec_lo, s19
.LBB272_736:                            ;   in Loop: Header=BB272_9 Depth=1
	s_delay_alu instid0(SALU_CYCLE_1)
	s_or_b32 exec_lo, exec_lo, s18
.LBB272_737:                            ;   in Loop: Header=BB272_9 Depth=1
	s_delay_alu instid0(SALU_CYCLE_1) | instskip(NEXT) | instid1(SALU_CYCLE_1)
	s_or_b32 exec_lo, exec_lo, s17
	s_mov_b32 s17, exec_lo
	v_cmpx_lt_u32_e32 0xffffff, v8
	s_cbranch_execz .LBB272_745
; %bb.738:                              ;   in Loop: Header=BB272_9 Depth=1
	v_lshrrev_b32_e32 v24, 24, v8
	v_bfrev_b32_e32 v15, 1
	s_mov_b32 s18, exec_lo
	s_delay_alu instid0(VALU_DEP_2)
	v_cmpx_ne_u32_e32 0x80, v24
	s_cbranch_execz .LBB272_744
; %bb.739:                              ;   in Loop: Header=BB272_9 Depth=1
	v_and_b32_e32 v2, 0x7f, v24
	v_mov_b32_e32 v15, 0x7c010000
	s_mov_b32 s19, exec_lo
	s_delay_alu instid0(VALU_DEP_2)
	v_cmpx_ne_u32_e32 0x7f, v2
	s_cbranch_execz .LBB272_743
; %bb.740:                              ;   in Loop: Header=BB272_9 Depth=1
	v_dual_lshrrev_b32 v1, 3, v2 :: v_dual_bitop2_b32 v0, 7, v24 bitop3:0x40
	s_mov_b32 s20, exec_lo
	v_cmpx_gt_u32_e32 8, v2
; %bb.741:                              ;   in Loop: Header=BB272_9 Depth=1
	s_delay_alu instid0(VALU_DEP_2) | instskip(NEXT) | instid1(VALU_DEP_1)
	v_clz_i32_u32_e32 v0, v0
	v_min_u32_e32 v2, 32, v0
	s_delay_alu instid0(VALU_DEP_1) | instskip(NEXT) | instid1(VALU_DEP_1)
	v_subrev_nc_u32_e32 v0, 28, v2
	v_lshlrev_b64_e32 v[0:1], v0, v[24:25]
	s_delay_alu instid0(VALU_DEP_1)
	v_dual_sub_nc_u32 v1, 29, v2 :: v_dual_bitop2_b32 v0, 7, v0 bitop3:0x40
; %bb.742:                              ;   in Loop: Header=BB272_9 Depth=1
	s_or_b32 exec_lo, exec_lo, s20
	v_lshlrev_b32_e32 v2, 8, v24
	s_delay_alu instid0(VALU_DEP_2) | instskip(NEXT) | instid1(VALU_DEP_3)
	v_lshl_add_u32 v1, v1, 10, 0x2000
	v_lshlrev_b32_e32 v0, 23, v0
	s_delay_alu instid0(VALU_DEP_2) | instskip(NEXT) | instid1(VALU_DEP_1)
	v_and_or_b32 v1, 0x8000, v2, v1
	v_lshl_or_b32 v15, v1, 16, v0
.LBB272_743:                            ;   in Loop: Header=BB272_9 Depth=1
	s_or_b32 exec_lo, exec_lo, s19
.LBB272_744:                            ;   in Loop: Header=BB272_9 Depth=1
	s_delay_alu instid0(SALU_CYCLE_1)
	s_or_b32 exec_lo, exec_lo, s18
.LBB272_745:                            ;   in Loop: Header=BB272_9 Depth=1
	s_delay_alu instid0(SALU_CYCLE_1)
	s_or_b32 exec_lo, exec_lo, s17
	flat_load_b32 v8, v[28:29] offset:2824
	v_dual_mov_b32 v2, 0 :: v_dual_mov_b32 v3, 0
	s_mov_b32 s17, exec_lo
	s_wait_loadcnt_dscnt 0x0
	v_and_b32_e32 v0, 0xff, v8
	s_wait_xcnt 0x0
	s_delay_alu instid0(VALU_DEP_1)
	v_cmpx_ne_u16_e32 0, v0
	s_cbranch_execz .LBB272_753
; %bb.746:                              ;   in Loop: Header=BB272_9 Depth=1
	v_mov_b32_e32 v3, 0x8000
	s_mov_b32 s18, exec_lo
	v_cmpx_ne_u16_e32 0x80, v0
	s_cbranch_execz .LBB272_752
; %bb.747:                              ;   in Loop: Header=BB272_9 Depth=1
	v_and_b32_e32 v10, 0x7f, v8
	v_mov_b32_e32 v3, 0x7c01
	s_mov_b32 s19, exec_lo
	s_delay_alu instid0(VALU_DEP_2)
	v_cmpx_ne_u32_e32 0x7f, v10
	s_cbranch_execz .LBB272_751
; %bb.748:                              ;   in Loop: Header=BB272_9 Depth=1
	v_dual_lshrrev_b32 v1, 3, v10 :: v_dual_bitop2_b32 v0, 7, v8 bitop3:0x40
	s_mov_b32 s20, exec_lo
	v_cmpx_gt_u32_e32 8, v10
; %bb.749:                              ;   in Loop: Header=BB272_9 Depth=1
	s_delay_alu instid0(VALU_DEP_2) | instskip(NEXT) | instid1(VALU_DEP_1)
	v_clz_i32_u32_e32 v0, v0
	v_min_u32_e32 v3, 32, v0
	s_delay_alu instid0(VALU_DEP_1) | instskip(NEXT) | instid1(VALU_DEP_1)
	v_subrev_nc_u32_e32 v0, 28, v3
	v_lshlrev_b64_e32 v[0:1], v0, v[8:9]
	s_delay_alu instid0(VALU_DEP_1)
	v_dual_sub_nc_u32 v1, 29, v3 :: v_dual_bitop2_b32 v0, 7, v0 bitop3:0x40
; %bb.750:                              ;   in Loop: Header=BB272_9 Depth=1
	s_or_b32 exec_lo, exec_lo, s20
	v_lshlrev_b32_e32 v3, 8, v8
	s_delay_alu instid0(VALU_DEP_2) | instskip(NEXT) | instid1(VALU_DEP_3)
	v_lshl_add_u32 v1, v1, 10, 0x2000
	v_lshlrev_b32_e32 v0, 7, v0
	s_delay_alu instid0(VALU_DEP_3) | instskip(NEXT) | instid1(VALU_DEP_3)
	v_and_b32_e32 v3, 0x8000, v3
	v_and_b32_e32 v1, 0xfc00, v1
	s_delay_alu instid0(VALU_DEP_1)
	v_or3_b32 v3, v3, v1, v0
.LBB272_751:                            ;   in Loop: Header=BB272_9 Depth=1
	s_or_b32 exec_lo, exec_lo, s19
.LBB272_752:                            ;   in Loop: Header=BB272_9 Depth=1
	s_delay_alu instid0(SALU_CYCLE_1)
	s_or_b32 exec_lo, exec_lo, s18
.LBB272_753:                            ;   in Loop: Header=BB272_9 Depth=1
	s_delay_alu instid0(SALU_CYCLE_1) | instskip(SKIP_2) | instid1(VALU_DEP_1)
	s_or_b32 exec_lo, exec_lo, s17
	v_lshrrev_b16 v24, 8, v8
	s_mov_b32 s17, exec_lo
	v_cmpx_ne_u16_e32 0, v24
	s_cbranch_execz .LBB272_761
; %bb.754:                              ;   in Loop: Header=BB272_9 Depth=1
	v_bfrev_b32_e32 v2, 1
	s_mov_b32 s18, exec_lo
	v_cmpx_ne_u16_e32 0x80, v24
	s_cbranch_execz .LBB272_760
; %bb.755:                              ;   in Loop: Header=BB272_9 Depth=1
	v_and_b32_e32 v0, 0xffff, v24
	v_mov_b32_e32 v2, 0x7c010000
	s_mov_b32 s19, exec_lo
	s_delay_alu instid0(VALU_DEP_2) | instskip(NEXT) | instid1(VALU_DEP_1)
	v_and_b32_e32 v10, 0x7f, v0
	v_cmpx_ne_u32_e32 0x7f, v10
	s_cbranch_execz .LBB272_759
; %bb.756:                              ;   in Loop: Header=BB272_9 Depth=1
	v_dual_lshrrev_b32 v2, 3, v10 :: v_dual_bitop2_b32 v1, 7, v0 bitop3:0x40
	s_mov_b32 s20, exec_lo
	v_cmpx_gt_u32_e32 8, v10
; %bb.757:                              ;   in Loop: Header=BB272_9 Depth=1
	s_delay_alu instid0(VALU_DEP_2) | instskip(NEXT) | instid1(VALU_DEP_1)
	v_clz_i32_u32_e32 v1, v1
	v_min_u32_e32 v1, 32, v1
	s_delay_alu instid0(VALU_DEP_1) | instskip(NEXT) | instid1(VALU_DEP_1)
	v_subrev_nc_u32_e32 v2, 28, v1
	v_lshlrev_b64_e32 v[72:73], v2, v[24:25]
	s_delay_alu instid0(VALU_DEP_1)
	v_dual_sub_nc_u32 v2, 29, v1 :: v_dual_bitop2_b32 v1, 7, v72 bitop3:0x40
; %bb.758:                              ;   in Loop: Header=BB272_9 Depth=1
	s_or_b32 exec_lo, exec_lo, s20
	s_delay_alu instid0(VALU_DEP_1) | instskip(NEXT) | instid1(VALU_DEP_2)
	v_dual_lshlrev_b32 v0, 8, v0 :: v_dual_lshlrev_b32 v1, 23, v1
	v_lshl_add_u32 v2, v2, 10, 0x2000
	s_delay_alu instid0(VALU_DEP_1) | instskip(NEXT) | instid1(VALU_DEP_1)
	v_and_or_b32 v0, 0x8000, v0, v2
	v_lshl_or_b32 v2, v0, 16, v1
.LBB272_759:                            ;   in Loop: Header=BB272_9 Depth=1
	s_or_b32 exec_lo, exec_lo, s19
.LBB272_760:                            ;   in Loop: Header=BB272_9 Depth=1
	s_delay_alu instid0(SALU_CYCLE_1)
	s_or_b32 exec_lo, exec_lo, s18
.LBB272_761:                            ;   in Loop: Header=BB272_9 Depth=1
	s_delay_alu instid0(SALU_CYCLE_1) | instskip(SKIP_3) | instid1(VALU_DEP_2)
	s_or_b32 exec_lo, exec_lo, s17
	v_dual_mov_b32 v31, 0 :: v_dual_lshrrev_b32 v24, 16, v8
	v_mov_b32_e32 v53, 0
	s_mov_b32 s17, exec_lo
	v_and_b32_e32 v0, 0xff, v24
	s_delay_alu instid0(VALU_DEP_1)
	v_cmpx_ne_u16_e32 0, v0
	s_cbranch_execz .LBB272_769
; %bb.762:                              ;   in Loop: Header=BB272_9 Depth=1
	v_mov_b32_e32 v53, 0x8000
	s_mov_b32 s18, exec_lo
	v_cmpx_ne_u16_e32 0x80, v0
	s_cbranch_execz .LBB272_768
; %bb.763:                              ;   in Loop: Header=BB272_9 Depth=1
	v_bfe_u32 v10, v8, 16, 7
	v_mov_b32_e32 v53, 0x7c01
	s_mov_b32 s19, exec_lo
	s_delay_alu instid0(VALU_DEP_2)
	v_cmpx_ne_u32_e32 0x7f, v10
	s_cbranch_execz .LBB272_767
; %bb.764:                              ;   in Loop: Header=BB272_9 Depth=1
	v_dual_lshrrev_b32 v1, 3, v10 :: v_dual_bitop2_b32 v0, 7, v24 bitop3:0x40
	s_mov_b32 s20, exec_lo
	v_cmpx_gt_u32_e32 8, v10
; %bb.765:                              ;   in Loop: Header=BB272_9 Depth=1
	s_delay_alu instid0(VALU_DEP_2) | instskip(NEXT) | instid1(VALU_DEP_1)
	v_clz_i32_u32_e32 v0, v0
	v_min_u32_e32 v10, 32, v0
	s_delay_alu instid0(VALU_DEP_1) | instskip(NEXT) | instid1(VALU_DEP_1)
	v_subrev_nc_u32_e32 v0, 28, v10
	v_lshlrev_b64_e32 v[0:1], v0, v[24:25]
	s_delay_alu instid0(VALU_DEP_1)
	v_dual_sub_nc_u32 v1, 29, v10 :: v_dual_bitop2_b32 v0, 7, v0 bitop3:0x40
; %bb.766:                              ;   in Loop: Header=BB272_9 Depth=1
	s_or_b32 exec_lo, exec_lo, s20
	v_lshlrev_b32_e32 v10, 8, v24
	s_delay_alu instid0(VALU_DEP_2) | instskip(NEXT) | instid1(VALU_DEP_3)
	v_lshl_add_u32 v1, v1, 10, 0x2000
	v_lshlrev_b32_e32 v0, 7, v0
	s_delay_alu instid0(VALU_DEP_3) | instskip(NEXT) | instid1(VALU_DEP_3)
	v_and_b32_e32 v10, 0x8000, v10
	v_and_b32_e32 v1, 0xfc00, v1
	s_delay_alu instid0(VALU_DEP_1)
	v_or3_b32 v53, v10, v1, v0
.LBB272_767:                            ;   in Loop: Header=BB272_9 Depth=1
	s_or_b32 exec_lo, exec_lo, s19
.LBB272_768:                            ;   in Loop: Header=BB272_9 Depth=1
	s_delay_alu instid0(SALU_CYCLE_1)
	s_or_b32 exec_lo, exec_lo, s18
.LBB272_769:                            ;   in Loop: Header=BB272_9 Depth=1
	s_delay_alu instid0(SALU_CYCLE_1) | instskip(NEXT) | instid1(SALU_CYCLE_1)
	s_or_b32 exec_lo, exec_lo, s17
	s_mov_b32 s17, exec_lo
	v_cmpx_lt_u32_e32 0xffffff, v8
	s_cbranch_execz .LBB272_777
; %bb.770:                              ;   in Loop: Header=BB272_9 Depth=1
	v_lshrrev_b32_e32 v24, 24, v8
	v_bfrev_b32_e32 v31, 1
	s_mov_b32 s18, exec_lo
	s_delay_alu instid0(VALU_DEP_2)
	v_cmpx_ne_u32_e32 0x80, v24
	s_cbranch_execz .LBB272_776
; %bb.771:                              ;   in Loop: Header=BB272_9 Depth=1
	v_and_b32_e32 v8, 0x7f, v24
	v_mov_b32_e32 v31, 0x7c010000
	s_mov_b32 s19, exec_lo
	s_delay_alu instid0(VALU_DEP_2)
	v_cmpx_ne_u32_e32 0x7f, v8
	s_cbranch_execz .LBB272_775
; %bb.772:                              ;   in Loop: Header=BB272_9 Depth=1
	v_and_b32_e32 v0, 7, v24
	v_lshrrev_b32_e32 v1, 3, v8
	s_mov_b32 s20, exec_lo
	v_cmpx_gt_u32_e32 8, v8
; %bb.773:                              ;   in Loop: Header=BB272_9 Depth=1
	s_delay_alu instid0(VALU_DEP_3) | instskip(NEXT) | instid1(VALU_DEP_1)
	v_clz_i32_u32_e32 v0, v0
	v_min_u32_e32 v8, 32, v0
	s_delay_alu instid0(VALU_DEP_1) | instskip(NEXT) | instid1(VALU_DEP_1)
	v_subrev_nc_u32_e32 v0, 28, v8
	v_lshlrev_b64_e32 v[0:1], v0, v[24:25]
	v_sub_nc_u32_e32 v1, 29, v8
	s_delay_alu instid0(VALU_DEP_2)
	v_and_b32_e32 v0, 7, v0
; %bb.774:                              ;   in Loop: Header=BB272_9 Depth=1
	s_or_b32 exec_lo, exec_lo, s20
	v_lshlrev_b32_e32 v8, 8, v24
	s_delay_alu instid0(VALU_DEP_3) | instskip(NEXT) | instid1(VALU_DEP_3)
	v_lshl_add_u32 v1, v1, 10, 0x2000
	v_lshlrev_b32_e32 v0, 23, v0
	s_delay_alu instid0(VALU_DEP_2) | instskip(NEXT) | instid1(VALU_DEP_1)
	v_and_or_b32 v1, 0x8000, v8, v1
	v_lshl_or_b32 v31, v1, 16, v0
.LBB272_775:                            ;   in Loop: Header=BB272_9 Depth=1
	s_or_b32 exec_lo, exec_lo, s19
.LBB272_776:                            ;   in Loop: Header=BB272_9 Depth=1
	s_delay_alu instid0(SALU_CYCLE_1)
	s_or_b32 exec_lo, exec_lo, s18
.LBB272_777:                            ;   in Loop: Header=BB272_9 Depth=1
	s_delay_alu instid0(SALU_CYCLE_1)
	s_or_b32 exec_lo, exec_lo, s17
	flat_load_b32 v8, v[28:29] offset:3072
	v_dual_mov_b32 v0, 0 :: v_dual_mov_b32 v1, 0
	s_mov_b32 s17, exec_lo
	s_wait_loadcnt_dscnt 0x0
	v_and_b32_e32 v10, 0xff, v8
	s_wait_xcnt 0x0
	s_delay_alu instid0(VALU_DEP_1)
	v_cmpx_ne_u16_e32 0, v10
	s_cbranch_execz .LBB272_785
; %bb.778:                              ;   in Loop: Header=BB272_9 Depth=1
	v_mov_b32_e32 v1, 0x8000
	s_mov_b32 s18, exec_lo
	v_cmpx_ne_u16_e32 0x80, v10
	s_cbranch_execz .LBB272_784
; %bb.779:                              ;   in Loop: Header=BB272_9 Depth=1
	v_and_b32_e32 v24, 0x7f, v8
	v_mov_b32_e32 v1, 0x7c01
	s_mov_b32 s19, exec_lo
	s_delay_alu instid0(VALU_DEP_2)
	v_cmpx_ne_u32_e32 0x7f, v24
	s_cbranch_execz .LBB272_783
; %bb.780:                              ;   in Loop: Header=BB272_9 Depth=1
	v_and_b32_e32 v1, 7, v8
	v_lshrrev_b32_e32 v10, 3, v24
	s_mov_b32 s20, exec_lo
	v_cmpx_gt_u32_e32 8, v24
; %bb.781:                              ;   in Loop: Header=BB272_9 Depth=1
	s_delay_alu instid0(VALU_DEP_3) | instskip(NEXT) | instid1(VALU_DEP_1)
	v_clz_i32_u32_e32 v1, v1
	v_min_u32_e32 v1, 32, v1
	s_delay_alu instid0(VALU_DEP_1) | instskip(NEXT) | instid1(VALU_DEP_1)
	v_subrev_nc_u32_e32 v10, 28, v1
	v_lshlrev_b64_e32 v[72:73], v10, v[8:9]
	s_delay_alu instid0(VALU_DEP_1)
	v_dual_sub_nc_u32 v10, 29, v1 :: v_dual_bitop2_b32 v1, 7, v72 bitop3:0x40
; %bb.782:                              ;   in Loop: Header=BB272_9 Depth=1
	s_or_b32 exec_lo, exec_lo, s20
	s_delay_alu instid0(VALU_DEP_1) | instskip(NEXT) | instid1(VALU_DEP_2)
	v_dual_lshlrev_b32 v24, 8, v8 :: v_dual_lshlrev_b32 v1, 7, v1
	v_lshl_add_u32 v10, v10, 10, 0x2000
	s_delay_alu instid0(VALU_DEP_2) | instskip(NEXT) | instid1(VALU_DEP_2)
	v_and_b32_e32 v24, 0x8000, v24
	v_and_b32_e32 v10, 0xfc00, v10
	s_delay_alu instid0(VALU_DEP_1)
	v_or3_b32 v1, v24, v10, v1
.LBB272_783:                            ;   in Loop: Header=BB272_9 Depth=1
	s_or_b32 exec_lo, exec_lo, s19
.LBB272_784:                            ;   in Loop: Header=BB272_9 Depth=1
	s_delay_alu instid0(SALU_CYCLE_1)
	s_or_b32 exec_lo, exec_lo, s18
.LBB272_785:                            ;   in Loop: Header=BB272_9 Depth=1
	s_delay_alu instid0(SALU_CYCLE_1) | instskip(SKIP_2) | instid1(VALU_DEP_1)
	s_or_b32 exec_lo, exec_lo, s17
	v_lshrrev_b16 v24, 8, v8
	s_mov_b32 s17, exec_lo
	v_cmpx_ne_u16_e32 0, v24
	s_cbranch_execz .LBB272_793
; %bb.786:                              ;   in Loop: Header=BB272_9 Depth=1
	v_bfrev_b32_e32 v0, 1
	s_mov_b32 s18, exec_lo
	v_cmpx_ne_u16_e32 0x80, v24
	s_cbranch_execz .LBB272_792
; %bb.787:                              ;   in Loop: Header=BB272_9 Depth=1
	v_and_b32_e32 v10, 0xffff, v24
	v_mov_b32_e32 v0, 0x7c010000
	s_mov_b32 s19, exec_lo
	s_delay_alu instid0(VALU_DEP_2) | instskip(NEXT) | instid1(VALU_DEP_1)
	v_and_b32_e32 v37, 0x7f, v10
	v_cmpx_ne_u32_e32 0x7f, v37
	s_cbranch_execz .LBB272_791
; %bb.788:                              ;   in Loop: Header=BB272_9 Depth=1
	v_dual_lshrrev_b32 v34, 3, v37 :: v_dual_bitop2_b32 v0, 7, v10 bitop3:0x40
	s_mov_b32 s20, exec_lo
	v_cmpx_gt_u32_e32 8, v37
; %bb.789:                              ;   in Loop: Header=BB272_9 Depth=1
	s_delay_alu instid0(VALU_DEP_2) | instskip(NEXT) | instid1(VALU_DEP_1)
	v_clz_i32_u32_e32 v0, v0
	v_min_u32_e32 v0, 32, v0
	s_delay_alu instid0(VALU_DEP_1) | instskip(SKIP_1) | instid1(VALU_DEP_2)
	v_subrev_nc_u32_e32 v26, 28, v0
	v_sub_nc_u32_e32 v34, 29, v0
	v_lshlrev_b64_e32 v[72:73], v26, v[24:25]
	s_delay_alu instid0(VALU_DEP_1)
	v_and_b32_e32 v0, 7, v72
; %bb.790:                              ;   in Loop: Header=BB272_9 Depth=1
	s_or_b32 exec_lo, exec_lo, s20
	s_delay_alu instid0(VALU_DEP_1) | instskip(SKIP_1) | instid1(VALU_DEP_1)
	v_dual_lshlrev_b32 v10, 8, v10 :: v_dual_lshlrev_b32 v0, 23, v0
	v_lshl_add_u32 v24, v34, 10, 0x2000
	v_and_or_b32 v10, 0x8000, v10, v24
	s_delay_alu instid0(VALU_DEP_1)
	v_lshl_or_b32 v0, v10, 16, v0
.LBB272_791:                            ;   in Loop: Header=BB272_9 Depth=1
	s_or_b32 exec_lo, exec_lo, s19
.LBB272_792:                            ;   in Loop: Header=BB272_9 Depth=1
	s_delay_alu instid0(SALU_CYCLE_1)
	s_or_b32 exec_lo, exec_lo, s18
.LBB272_793:                            ;   in Loop: Header=BB272_9 Depth=1
	s_delay_alu instid0(SALU_CYCLE_1) | instskip(SKIP_3) | instid1(VALU_DEP_2)
	s_or_b32 exec_lo, exec_lo, s17
	v_dual_lshrrev_b32 v24, 16, v8 :: v_dual_mov_b32 v10, 0
	v_mov_b32_e32 v81, 0
	s_mov_b32 s17, exec_lo
	v_and_b32_e32 v34, 0xff, v24
	s_delay_alu instid0(VALU_DEP_1)
	v_cmpx_ne_u16_e32 0, v34
	s_cbranch_execz .LBB272_801
; %bb.794:                              ;   in Loop: Header=BB272_9 Depth=1
	v_mov_b32_e32 v81, 0x8000
	s_mov_b32 s18, exec_lo
	v_cmpx_ne_u16_e32 0x80, v34
	s_cbranch_execz .LBB272_800
; %bb.795:                              ;   in Loop: Header=BB272_9 Depth=1
	v_bfe_u32 v39, v8, 16, 7
	v_mov_b32_e32 v81, 0x7c01
	s_mov_b32 s19, exec_lo
	s_delay_alu instid0(VALU_DEP_2)
	v_cmpx_ne_u32_e32 0x7f, v39
	s_cbranch_execz .LBB272_799
; %bb.796:                              ;   in Loop: Header=BB272_9 Depth=1
	v_dual_lshrrev_b32 v37, 3, v39 :: v_dual_bitop2_b32 v34, 7, v24 bitop3:0x40
	s_mov_b32 s20, exec_lo
	v_cmpx_gt_u32_e32 8, v39
; %bb.797:                              ;   in Loop: Header=BB272_9 Depth=1
	s_delay_alu instid0(VALU_DEP_2) | instskip(NEXT) | instid1(VALU_DEP_1)
	v_clz_i32_u32_e32 v26, v34
	v_min_u32_e32 v26, 32, v26
	s_delay_alu instid0(VALU_DEP_1) | instskip(NEXT) | instid1(VALU_DEP_1)
	v_subrev_nc_u32_e32 v27, 28, v26
	v_lshlrev_b64_e32 v[72:73], v27, v[24:25]
	s_delay_alu instid0(VALU_DEP_1)
	v_dual_sub_nc_u32 v37, 29, v26 :: v_dual_bitop2_b32 v34, 7, v72 bitop3:0x40
; %bb.798:                              ;   in Loop: Header=BB272_9 Depth=1
	s_or_b32 exec_lo, exec_lo, s20
	s_delay_alu instid0(VALU_DEP_1) | instskip(NEXT) | instid1(VALU_DEP_2)
	v_dual_lshlrev_b32 v24, 8, v24 :: v_dual_lshlrev_b32 v27, 7, v34
	v_lshl_add_u32 v26, v37, 10, 0x2000
	s_delay_alu instid0(VALU_DEP_2) | instskip(NEXT) | instid1(VALU_DEP_2)
	v_and_b32_e32 v24, 0x8000, v24
	v_and_b32_e32 v26, 0xfc00, v26
	s_delay_alu instid0(VALU_DEP_1)
	v_or3_b32 v81, v24, v26, v27
.LBB272_799:                            ;   in Loop: Header=BB272_9 Depth=1
	s_or_b32 exec_lo, exec_lo, s19
.LBB272_800:                            ;   in Loop: Header=BB272_9 Depth=1
	s_delay_alu instid0(SALU_CYCLE_1)
	s_or_b32 exec_lo, exec_lo, s18
.LBB272_801:                            ;   in Loop: Header=BB272_9 Depth=1
	s_delay_alu instid0(SALU_CYCLE_1) | instskip(NEXT) | instid1(SALU_CYCLE_1)
	s_or_b32 exec_lo, exec_lo, s17
	s_mov_b32 s17, exec_lo
	v_cmpx_lt_u32_e32 0xffffff, v8
	s_cbranch_execz .LBB272_809
; %bb.802:                              ;   in Loop: Header=BB272_9 Depth=1
	v_lshrrev_b32_e32 v24, 24, v8
	v_bfrev_b32_e32 v10, 1
	s_mov_b32 s18, exec_lo
	s_delay_alu instid0(VALU_DEP_2)
	v_cmpx_ne_u32_e32 0x80, v24
	s_cbranch_execz .LBB272_808
; %bb.803:                              ;   in Loop: Header=BB272_9 Depth=1
	v_and_b32_e32 v34, 0x7f, v24
	v_mov_b32_e32 v10, 0x7c010000
	s_mov_b32 s19, exec_lo
	s_delay_alu instid0(VALU_DEP_2)
	v_cmpx_ne_u32_e32 0x7f, v34
	s_cbranch_execz .LBB272_807
; %bb.804:                              ;   in Loop: Header=BB272_9 Depth=1
	v_dual_lshrrev_b32 v10, 3, v34 :: v_dual_bitop2_b32 v8, 7, v24 bitop3:0x40
	s_mov_b32 s20, exec_lo
	v_cmpx_gt_u32_e32 8, v34
; %bb.805:                              ;   in Loop: Header=BB272_9 Depth=1
	s_delay_alu instid0(VALU_DEP_2) | instskip(NEXT) | instid1(VALU_DEP_1)
	v_clz_i32_u32_e32 v8, v8
	v_min_u32_e32 v8, 32, v8
	s_delay_alu instid0(VALU_DEP_1) | instskip(NEXT) | instid1(VALU_DEP_1)
	v_subrev_nc_u32_e32 v10, 28, v8
	v_lshlrev_b64_e32 v[72:73], v10, v[24:25]
	v_sub_nc_u32_e32 v10, 29, v8
	s_delay_alu instid0(VALU_DEP_2)
	v_and_b32_e32 v8, 7, v72
; %bb.806:                              ;   in Loop: Header=BB272_9 Depth=1
	s_or_b32 exec_lo, exec_lo, s20
	v_lshlrev_b32_e32 v24, 8, v24
	s_delay_alu instid0(VALU_DEP_3) | instskip(NEXT) | instid1(VALU_DEP_3)
	v_lshl_add_u32 v10, v10, 10, 0x2000
	v_lshlrev_b32_e32 v8, 23, v8
	s_delay_alu instid0(VALU_DEP_2) | instskip(NEXT) | instid1(VALU_DEP_1)
	v_and_or_b32 v10, 0x8000, v24, v10
	v_lshl_or_b32 v10, v10, 16, v8
.LBB272_807:                            ;   in Loop: Header=BB272_9 Depth=1
	s_or_b32 exec_lo, exec_lo, s19
.LBB272_808:                            ;   in Loop: Header=BB272_9 Depth=1
	s_delay_alu instid0(SALU_CYCLE_1)
	s_or_b32 exec_lo, exec_lo, s18
.LBB272_809:                            ;   in Loop: Header=BB272_9 Depth=1
	s_delay_alu instid0(SALU_CYCLE_1)
	s_or_b32 exec_lo, exec_lo, s17
	flat_load_b32 v8, v[28:29] offset:3080
	v_dual_mov_b32 v120, 0 :: v_dual_mov_b32 v121, 0
	s_mov_b32 s17, exec_lo
	s_wait_loadcnt_dscnt 0x0
	v_and_b32_e32 v24, 0xff, v8
	s_wait_xcnt 0x0
	s_delay_alu instid0(VALU_DEP_1)
	v_cmpx_ne_u16_e32 0, v24
	s_cbranch_execz .LBB272_817
; %bb.810:                              ;   in Loop: Header=BB272_9 Depth=1
	v_mov_b32_e32 v121, 0x8000
	s_mov_b32 s18, exec_lo
	v_cmpx_ne_u16_e32 0x80, v24
	s_cbranch_execz .LBB272_816
; %bb.811:                              ;   in Loop: Header=BB272_9 Depth=1
	v_and_b32_e32 v37, 0x7f, v8
	v_mov_b32_e32 v121, 0x7c01
	s_mov_b32 s19, exec_lo
	s_delay_alu instid0(VALU_DEP_2)
	v_cmpx_ne_u32_e32 0x7f, v37
	s_cbranch_execz .LBB272_815
; %bb.812:                              ;   in Loop: Header=BB272_9 Depth=1
	v_dual_lshrrev_b32 v34, 3, v37 :: v_dual_bitop2_b32 v24, 7, v8 bitop3:0x40
	s_mov_b32 s20, exec_lo
	v_cmpx_gt_u32_e32 8, v37
; %bb.813:                              ;   in Loop: Header=BB272_9 Depth=1
	s_delay_alu instid0(VALU_DEP_2) | instskip(NEXT) | instid1(VALU_DEP_1)
	v_clz_i32_u32_e32 v24, v24
	v_min_u32_e32 v24, 32, v24
	s_delay_alu instid0(VALU_DEP_1) | instskip(SKIP_1) | instid1(VALU_DEP_2)
	v_subrev_nc_u32_e32 v26, 28, v24
	v_sub_nc_u32_e32 v34, 29, v24
	v_lshlrev_b64_e32 v[72:73], v26, v[8:9]
	s_delay_alu instid0(VALU_DEP_1)
	v_and_b32_e32 v24, 7, v72
; %bb.814:                              ;   in Loop: Header=BB272_9 Depth=1
	s_or_b32 exec_lo, exec_lo, s20
	v_lshlrev_b32_e32 v26, 8, v8
	v_lshl_add_u32 v27, v34, 10, 0x2000
	s_delay_alu instid0(VALU_DEP_3) | instskip(NEXT) | instid1(VALU_DEP_3)
	v_lshlrev_b32_e32 v24, 7, v24
	v_and_b32_e32 v26, 0x8000, v26
	s_delay_alu instid0(VALU_DEP_3) | instskip(NEXT) | instid1(VALU_DEP_1)
	v_and_b32_e32 v27, 0xfc00, v27
	v_or3_b32 v121, v26, v27, v24
.LBB272_815:                            ;   in Loop: Header=BB272_9 Depth=1
	s_or_b32 exec_lo, exec_lo, s19
.LBB272_816:                            ;   in Loop: Header=BB272_9 Depth=1
	s_delay_alu instid0(SALU_CYCLE_1)
	s_or_b32 exec_lo, exec_lo, s18
.LBB272_817:                            ;   in Loop: Header=BB272_9 Depth=1
	s_delay_alu instid0(SALU_CYCLE_1) | instskip(SKIP_2) | instid1(VALU_DEP_1)
	s_or_b32 exec_lo, exec_lo, s17
	v_lshrrev_b16 v24, 8, v8
	s_mov_b32 s17, exec_lo
	v_cmpx_ne_u16_e32 0, v24
	s_cbranch_execz .LBB272_825
; %bb.818:                              ;   in Loop: Header=BB272_9 Depth=1
	v_bfrev_b32_e32 v120, 1
	s_mov_b32 s18, exec_lo
	v_cmpx_ne_u16_e32 0x80, v24
	s_cbranch_execz .LBB272_824
; %bb.819:                              ;   in Loop: Header=BB272_9 Depth=1
	v_and_b32_e32 v34, 0xffff, v24
	v_mov_b32_e32 v120, 0x7c010000
	s_mov_b32 s19, exec_lo
	s_delay_alu instid0(VALU_DEP_2) | instskip(NEXT) | instid1(VALU_DEP_1)
	v_and_b32_e32 v83, 0x7f, v34
	v_cmpx_ne_u32_e32 0x7f, v83
	s_cbranch_execz .LBB272_823
; %bb.820:                              ;   in Loop: Header=BB272_9 Depth=1
	v_dual_lshrrev_b32 v39, 3, v83 :: v_dual_bitop2_b32 v37, 7, v34 bitop3:0x40
	s_mov_b32 s20, exec_lo
	v_cmpx_gt_u32_e32 8, v83
; %bb.821:                              ;   in Loop: Header=BB272_9 Depth=1
	s_delay_alu instid0(VALU_DEP_2) | instskip(NEXT) | instid1(VALU_DEP_1)
	v_clz_i32_u32_e32 v26, v37
	v_min_u32_e32 v26, 32, v26
	s_delay_alu instid0(VALU_DEP_1) | instskip(NEXT) | instid1(VALU_DEP_1)
	v_subrev_nc_u32_e32 v27, 28, v26
	v_lshlrev_b64_e32 v[72:73], v27, v[24:25]
	s_delay_alu instid0(VALU_DEP_1)
	v_dual_sub_nc_u32 v39, 29, v26 :: v_dual_bitop2_b32 v37, 7, v72 bitop3:0x40
; %bb.822:                              ;   in Loop: Header=BB272_9 Depth=1
	s_or_b32 exec_lo, exec_lo, s20
	v_lshlrev_b32_e32 v24, 8, v34
	s_delay_alu instid0(VALU_DEP_2) | instskip(NEXT) | instid1(VALU_DEP_1)
	v_lshl_add_u32 v26, v39, 10, 0x2000
	v_and_or_b32 v24, 0x8000, v24, v26
	v_lshlrev_b32_e32 v26, 23, v37
	s_delay_alu instid0(VALU_DEP_1)
	v_lshl_or_b32 v120, v24, 16, v26
.LBB272_823:                            ;   in Loop: Header=BB272_9 Depth=1
	s_or_b32 exec_lo, exec_lo, s19
.LBB272_824:                            ;   in Loop: Header=BB272_9 Depth=1
	s_delay_alu instid0(SALU_CYCLE_1)
	s_or_b32 exec_lo, exec_lo, s18
.LBB272_825:                            ;   in Loop: Header=BB272_9 Depth=1
	s_delay_alu instid0(SALU_CYCLE_1) | instskip(SKIP_3) | instid1(VALU_DEP_2)
	s_or_b32 exec_lo, exec_lo, s17
	v_dual_lshrrev_b32 v24, 16, v8 :: v_dual_mov_b32 v126, 0
	v_mov_b32_e32 v127, 0
	s_mov_b32 s17, exec_lo
	v_and_b32_e32 v34, 0xff, v24
	s_delay_alu instid0(VALU_DEP_1)
	v_cmpx_ne_u16_e32 0, v34
	s_cbranch_execz .LBB272_833
; %bb.826:                              ;   in Loop: Header=BB272_9 Depth=1
	v_mov_b32_e32 v127, 0x8000
	s_mov_b32 s18, exec_lo
	v_cmpx_ne_u16_e32 0x80, v34
	s_cbranch_execz .LBB272_832
; %bb.827:                              ;   in Loop: Header=BB272_9 Depth=1
	v_bfe_u32 v39, v8, 16, 7
	v_mov_b32_e32 v127, 0x7c01
	s_mov_b32 s19, exec_lo
	s_delay_alu instid0(VALU_DEP_2)
	v_cmpx_ne_u32_e32 0x7f, v39
	s_cbranch_execz .LBB272_831
; %bb.828:                              ;   in Loop: Header=BB272_9 Depth=1
	v_dual_lshrrev_b32 v37, 3, v39 :: v_dual_bitop2_b32 v34, 7, v24 bitop3:0x40
	s_mov_b32 s20, exec_lo
	v_cmpx_gt_u32_e32 8, v39
; %bb.829:                              ;   in Loop: Header=BB272_9 Depth=1
	s_delay_alu instid0(VALU_DEP_2) | instskip(NEXT) | instid1(VALU_DEP_1)
	v_clz_i32_u32_e32 v26, v34
	v_min_u32_e32 v26, 32, v26
	s_delay_alu instid0(VALU_DEP_1) | instskip(NEXT) | instid1(VALU_DEP_1)
	v_subrev_nc_u32_e32 v27, 28, v26
	v_lshlrev_b64_e32 v[72:73], v27, v[24:25]
	s_delay_alu instid0(VALU_DEP_1)
	v_dual_sub_nc_u32 v37, 29, v26 :: v_dual_bitop2_b32 v34, 7, v72 bitop3:0x40
; %bb.830:                              ;   in Loop: Header=BB272_9 Depth=1
	s_or_b32 exec_lo, exec_lo, s20
	s_delay_alu instid0(VALU_DEP_1) | instskip(NEXT) | instid1(VALU_DEP_2)
	v_dual_lshlrev_b32 v24, 8, v24 :: v_dual_lshlrev_b32 v27, 7, v34
	v_lshl_add_u32 v26, v37, 10, 0x2000
	s_delay_alu instid0(VALU_DEP_2) | instskip(NEXT) | instid1(VALU_DEP_2)
	v_and_b32_e32 v24, 0x8000, v24
	v_and_b32_e32 v26, 0xfc00, v26
	s_delay_alu instid0(VALU_DEP_1)
	v_or3_b32 v127, v24, v26, v27
.LBB272_831:                            ;   in Loop: Header=BB272_9 Depth=1
	s_or_b32 exec_lo, exec_lo, s19
.LBB272_832:                            ;   in Loop: Header=BB272_9 Depth=1
	s_delay_alu instid0(SALU_CYCLE_1)
	s_or_b32 exec_lo, exec_lo, s18
.LBB272_833:                            ;   in Loop: Header=BB272_9 Depth=1
	s_delay_alu instid0(SALU_CYCLE_1) | instskip(NEXT) | instid1(SALU_CYCLE_1)
	s_or_b32 exec_lo, exec_lo, s17
	s_mov_b32 s17, exec_lo
	v_cmpx_lt_u32_e32 0xffffff, v8
	s_cbranch_execz .LBB272_841
; %bb.834:                              ;   in Loop: Header=BB272_9 Depth=1
	v_lshrrev_b32_e32 v24, 24, v8
	v_bfrev_b32_e32 v126, 1
	s_mov_b32 s18, exec_lo
	s_delay_alu instid0(VALU_DEP_2)
	v_cmpx_ne_u32_e32 0x80, v24
	s_cbranch_execz .LBB272_840
; %bb.835:                              ;   in Loop: Header=BB272_9 Depth=1
	v_and_b32_e32 v37, 0x7f, v24
	v_mov_b32_e32 v126, 0x7c010000
	s_mov_b32 s19, exec_lo
	s_delay_alu instid0(VALU_DEP_2)
	v_cmpx_ne_u32_e32 0x7f, v37
	s_cbranch_execz .LBB272_839
; %bb.836:                              ;   in Loop: Header=BB272_9 Depth=1
	v_dual_lshrrev_b32 v34, 3, v37 :: v_dual_bitop2_b32 v8, 7, v24 bitop3:0x40
	s_mov_b32 s20, exec_lo
	v_cmpx_gt_u32_e32 8, v37
; %bb.837:                              ;   in Loop: Header=BB272_9 Depth=1
	s_delay_alu instid0(VALU_DEP_2) | instskip(NEXT) | instid1(VALU_DEP_1)
	v_clz_i32_u32_e32 v8, v8
	v_min_u32_e32 v8, 32, v8
	s_delay_alu instid0(VALU_DEP_1) | instskip(SKIP_1) | instid1(VALU_DEP_2)
	v_subrev_nc_u32_e32 v26, 28, v8
	v_sub_nc_u32_e32 v34, 29, v8
	v_lshlrev_b64_e32 v[72:73], v26, v[24:25]
	s_delay_alu instid0(VALU_DEP_1)
	v_and_b32_e32 v8, 7, v72
; %bb.838:                              ;   in Loop: Header=BB272_9 Depth=1
	s_or_b32 exec_lo, exec_lo, s20
	v_lshlrev_b32_e32 v24, 8, v24
	v_lshl_add_u32 v26, v34, 10, 0x2000
	s_delay_alu instid0(VALU_DEP_3) | instskip(NEXT) | instid1(VALU_DEP_2)
	v_lshlrev_b32_e32 v8, 23, v8
	v_and_or_b32 v24, 0x8000, v24, v26
	s_delay_alu instid0(VALU_DEP_1)
	v_lshl_or_b32 v126, v24, 16, v8
.LBB272_839:                            ;   in Loop: Header=BB272_9 Depth=1
	s_or_b32 exec_lo, exec_lo, s19
.LBB272_840:                            ;   in Loop: Header=BB272_9 Depth=1
	s_delay_alu instid0(SALU_CYCLE_1)
	s_or_b32 exec_lo, exec_lo, s18
.LBB272_841:                            ;   in Loop: Header=BB272_9 Depth=1
	s_delay_alu instid0(SALU_CYCLE_1)
	s_or_b32 exec_lo, exec_lo, s17
	flat_load_b32 v8, v[28:29] offset:3328
	v_dual_mov_b32 v106, 0 :: v_dual_mov_b32 v107, 0
	s_mov_b32 s17, exec_lo
	s_wait_loadcnt_dscnt 0x0
	v_and_b32_e32 v24, 0xff, v8
	s_wait_xcnt 0x0
	s_delay_alu instid0(VALU_DEP_1)
	v_cmpx_ne_u16_e32 0, v24
	s_cbranch_execz .LBB272_849
; %bb.842:                              ;   in Loop: Header=BB272_9 Depth=1
	v_mov_b32_e32 v107, 0x8000
	s_mov_b32 s18, exec_lo
	v_cmpx_ne_u16_e32 0x80, v24
	s_cbranch_execz .LBB272_848
; %bb.843:                              ;   in Loop: Header=BB272_9 Depth=1
	v_and_b32_e32 v37, 0x7f, v8
	v_mov_b32_e32 v107, 0x7c01
	s_mov_b32 s19, exec_lo
	s_delay_alu instid0(VALU_DEP_2)
	v_cmpx_ne_u32_e32 0x7f, v37
	s_cbranch_execz .LBB272_847
; %bb.844:                              ;   in Loop: Header=BB272_9 Depth=1
	v_dual_lshrrev_b32 v34, 3, v37 :: v_dual_bitop2_b32 v24, 7, v8 bitop3:0x40
	s_mov_b32 s20, exec_lo
	v_cmpx_gt_u32_e32 8, v37
; %bb.845:                              ;   in Loop: Header=BB272_9 Depth=1
	s_delay_alu instid0(VALU_DEP_2) | instskip(NEXT) | instid1(VALU_DEP_1)
	v_clz_i32_u32_e32 v24, v24
	v_min_u32_e32 v24, 32, v24
	s_delay_alu instid0(VALU_DEP_1) | instskip(SKIP_1) | instid1(VALU_DEP_2)
	v_subrev_nc_u32_e32 v26, 28, v24
	v_sub_nc_u32_e32 v34, 29, v24
	v_lshlrev_b64_e32 v[72:73], v26, v[8:9]
	s_delay_alu instid0(VALU_DEP_1)
	v_and_b32_e32 v24, 7, v72
; %bb.846:                              ;   in Loop: Header=BB272_9 Depth=1
	s_or_b32 exec_lo, exec_lo, s20
	v_lshlrev_b32_e32 v26, 8, v8
	v_lshl_add_u32 v27, v34, 10, 0x2000
	s_delay_alu instid0(VALU_DEP_3) | instskip(NEXT) | instid1(VALU_DEP_3)
	v_lshlrev_b32_e32 v24, 7, v24
	v_and_b32_e32 v26, 0x8000, v26
	s_delay_alu instid0(VALU_DEP_3) | instskip(NEXT) | instid1(VALU_DEP_1)
	v_and_b32_e32 v27, 0xfc00, v27
	v_or3_b32 v107, v26, v27, v24
.LBB272_847:                            ;   in Loop: Header=BB272_9 Depth=1
	s_or_b32 exec_lo, exec_lo, s19
.LBB272_848:                            ;   in Loop: Header=BB272_9 Depth=1
	s_delay_alu instid0(SALU_CYCLE_1)
	s_or_b32 exec_lo, exec_lo, s18
.LBB272_849:                            ;   in Loop: Header=BB272_9 Depth=1
	s_delay_alu instid0(SALU_CYCLE_1) | instskip(SKIP_2) | instid1(VALU_DEP_1)
	s_or_b32 exec_lo, exec_lo, s17
	v_lshrrev_b16 v24, 8, v8
	s_mov_b32 s17, exec_lo
	v_cmpx_ne_u16_e32 0, v24
	s_cbranch_execz .LBB272_857
; %bb.850:                              ;   in Loop: Header=BB272_9 Depth=1
	v_bfrev_b32_e32 v106, 1
	s_mov_b32 s18, exec_lo
	v_cmpx_ne_u16_e32 0x80, v24
	s_cbranch_execz .LBB272_856
; %bb.851:                              ;   in Loop: Header=BB272_9 Depth=1
	v_and_b32_e32 v34, 0xffff, v24
	v_mov_b32_e32 v106, 0x7c010000
	s_mov_b32 s19, exec_lo
	s_delay_alu instid0(VALU_DEP_2) | instskip(NEXT) | instid1(VALU_DEP_1)
	v_and_b32_e32 v83, 0x7f, v34
	v_cmpx_ne_u32_e32 0x7f, v83
	s_cbranch_execz .LBB272_855
; %bb.852:                              ;   in Loop: Header=BB272_9 Depth=1
	v_dual_lshrrev_b32 v39, 3, v83 :: v_dual_bitop2_b32 v37, 7, v34 bitop3:0x40
	s_mov_b32 s20, exec_lo
	v_cmpx_gt_u32_e32 8, v83
; %bb.853:                              ;   in Loop: Header=BB272_9 Depth=1
	s_delay_alu instid0(VALU_DEP_2) | instskip(NEXT) | instid1(VALU_DEP_1)
	v_clz_i32_u32_e32 v26, v37
	v_min_u32_e32 v26, 32, v26
	s_delay_alu instid0(VALU_DEP_1) | instskip(NEXT) | instid1(VALU_DEP_1)
	v_subrev_nc_u32_e32 v27, 28, v26
	v_lshlrev_b64_e32 v[72:73], v27, v[24:25]
	s_delay_alu instid0(VALU_DEP_1)
	v_dual_sub_nc_u32 v39, 29, v26 :: v_dual_bitop2_b32 v37, 7, v72 bitop3:0x40
; %bb.854:                              ;   in Loop: Header=BB272_9 Depth=1
	s_or_b32 exec_lo, exec_lo, s20
	v_lshlrev_b32_e32 v24, 8, v34
	s_delay_alu instid0(VALU_DEP_2) | instskip(NEXT) | instid1(VALU_DEP_1)
	v_lshl_add_u32 v26, v39, 10, 0x2000
	v_and_or_b32 v24, 0x8000, v24, v26
	v_lshlrev_b32_e32 v26, 23, v37
	s_delay_alu instid0(VALU_DEP_1)
	v_lshl_or_b32 v106, v24, 16, v26
.LBB272_855:                            ;   in Loop: Header=BB272_9 Depth=1
	s_or_b32 exec_lo, exec_lo, s19
.LBB272_856:                            ;   in Loop: Header=BB272_9 Depth=1
	s_delay_alu instid0(SALU_CYCLE_1)
	s_or_b32 exec_lo, exec_lo, s18
.LBB272_857:                            ;   in Loop: Header=BB272_9 Depth=1
	s_delay_alu instid0(SALU_CYCLE_1) | instskip(SKIP_3) | instid1(VALU_DEP_2)
	s_or_b32 exec_lo, exec_lo, s17
	v_dual_lshrrev_b32 v24, 16, v8 :: v_dual_mov_b32 v124, 0
	v_mov_b32_e32 v125, 0
	s_mov_b32 s17, exec_lo
	v_and_b32_e32 v34, 0xff, v24
	s_delay_alu instid0(VALU_DEP_1)
	v_cmpx_ne_u16_e32 0, v34
	s_cbranch_execz .LBB272_865
; %bb.858:                              ;   in Loop: Header=BB272_9 Depth=1
	v_mov_b32_e32 v125, 0x8000
	s_mov_b32 s18, exec_lo
	v_cmpx_ne_u16_e32 0x80, v34
	s_cbranch_execz .LBB272_864
; %bb.859:                              ;   in Loop: Header=BB272_9 Depth=1
	v_bfe_u32 v39, v8, 16, 7
	v_mov_b32_e32 v125, 0x7c01
	s_mov_b32 s19, exec_lo
	s_delay_alu instid0(VALU_DEP_2)
	v_cmpx_ne_u32_e32 0x7f, v39
	s_cbranch_execz .LBB272_863
; %bb.860:                              ;   in Loop: Header=BB272_9 Depth=1
	v_dual_lshrrev_b32 v37, 3, v39 :: v_dual_bitop2_b32 v34, 7, v24 bitop3:0x40
	s_mov_b32 s20, exec_lo
	v_cmpx_gt_u32_e32 8, v39
; %bb.861:                              ;   in Loop: Header=BB272_9 Depth=1
	s_delay_alu instid0(VALU_DEP_2) | instskip(NEXT) | instid1(VALU_DEP_1)
	v_clz_i32_u32_e32 v26, v34
	v_min_u32_e32 v26, 32, v26
	s_delay_alu instid0(VALU_DEP_1) | instskip(NEXT) | instid1(VALU_DEP_1)
	v_subrev_nc_u32_e32 v27, 28, v26
	v_lshlrev_b64_e32 v[72:73], v27, v[24:25]
	s_delay_alu instid0(VALU_DEP_1)
	v_dual_sub_nc_u32 v37, 29, v26 :: v_dual_bitop2_b32 v34, 7, v72 bitop3:0x40
; %bb.862:                              ;   in Loop: Header=BB272_9 Depth=1
	s_or_b32 exec_lo, exec_lo, s20
	s_delay_alu instid0(VALU_DEP_1) | instskip(NEXT) | instid1(VALU_DEP_2)
	v_dual_lshlrev_b32 v24, 8, v24 :: v_dual_lshlrev_b32 v27, 7, v34
	v_lshl_add_u32 v26, v37, 10, 0x2000
	s_delay_alu instid0(VALU_DEP_2) | instskip(NEXT) | instid1(VALU_DEP_2)
	v_and_b32_e32 v24, 0x8000, v24
	v_and_b32_e32 v26, 0xfc00, v26
	s_delay_alu instid0(VALU_DEP_1)
	v_or3_b32 v125, v24, v26, v27
.LBB272_863:                            ;   in Loop: Header=BB272_9 Depth=1
	s_or_b32 exec_lo, exec_lo, s19
.LBB272_864:                            ;   in Loop: Header=BB272_9 Depth=1
	s_delay_alu instid0(SALU_CYCLE_1)
	s_or_b32 exec_lo, exec_lo, s18
.LBB272_865:                            ;   in Loop: Header=BB272_9 Depth=1
	s_delay_alu instid0(SALU_CYCLE_1) | instskip(NEXT) | instid1(SALU_CYCLE_1)
	s_or_b32 exec_lo, exec_lo, s17
	s_mov_b32 s17, exec_lo
	v_cmpx_lt_u32_e32 0xffffff, v8
	s_cbranch_execz .LBB272_873
; %bb.866:                              ;   in Loop: Header=BB272_9 Depth=1
	v_lshrrev_b32_e32 v24, 24, v8
	v_bfrev_b32_e32 v124, 1
	s_mov_b32 s18, exec_lo
	s_delay_alu instid0(VALU_DEP_2)
	v_cmpx_ne_u32_e32 0x80, v24
	s_cbranch_execz .LBB272_872
; %bb.867:                              ;   in Loop: Header=BB272_9 Depth=1
	v_and_b32_e32 v37, 0x7f, v24
	v_mov_b32_e32 v124, 0x7c010000
	s_mov_b32 s19, exec_lo
	s_delay_alu instid0(VALU_DEP_2)
	v_cmpx_ne_u32_e32 0x7f, v37
	s_cbranch_execz .LBB272_871
; %bb.868:                              ;   in Loop: Header=BB272_9 Depth=1
	v_dual_lshrrev_b32 v34, 3, v37 :: v_dual_bitop2_b32 v8, 7, v24 bitop3:0x40
	s_mov_b32 s20, exec_lo
	v_cmpx_gt_u32_e32 8, v37
; %bb.869:                              ;   in Loop: Header=BB272_9 Depth=1
	s_delay_alu instid0(VALU_DEP_2) | instskip(NEXT) | instid1(VALU_DEP_1)
	v_clz_i32_u32_e32 v8, v8
	v_min_u32_e32 v8, 32, v8
	s_delay_alu instid0(VALU_DEP_1) | instskip(SKIP_1) | instid1(VALU_DEP_2)
	v_subrev_nc_u32_e32 v26, 28, v8
	v_sub_nc_u32_e32 v34, 29, v8
	v_lshlrev_b64_e32 v[72:73], v26, v[24:25]
	s_delay_alu instid0(VALU_DEP_1)
	v_and_b32_e32 v8, 7, v72
; %bb.870:                              ;   in Loop: Header=BB272_9 Depth=1
	s_or_b32 exec_lo, exec_lo, s20
	v_lshlrev_b32_e32 v24, 8, v24
	v_lshl_add_u32 v26, v34, 10, 0x2000
	s_delay_alu instid0(VALU_DEP_3) | instskip(NEXT) | instid1(VALU_DEP_2)
	v_lshlrev_b32_e32 v8, 23, v8
	v_and_or_b32 v24, 0x8000, v24, v26
	s_delay_alu instid0(VALU_DEP_1)
	v_lshl_or_b32 v124, v24, 16, v8
.LBB272_871:                            ;   in Loop: Header=BB272_9 Depth=1
	s_or_b32 exec_lo, exec_lo, s19
.LBB272_872:                            ;   in Loop: Header=BB272_9 Depth=1
	s_delay_alu instid0(SALU_CYCLE_1)
	s_or_b32 exec_lo, exec_lo, s18
.LBB272_873:                            ;   in Loop: Header=BB272_9 Depth=1
	s_delay_alu instid0(SALU_CYCLE_1)
	s_or_b32 exec_lo, exec_lo, s17
	flat_load_b32 v8, v[28:29] offset:3336
	v_dual_mov_b32 v94, 0 :: v_dual_mov_b32 v105, 0
	s_mov_b32 s17, exec_lo
	s_wait_loadcnt_dscnt 0x0
	v_and_b32_e32 v24, 0xff, v8
	s_wait_xcnt 0x0
	s_delay_alu instid0(VALU_DEP_1)
	v_cmpx_ne_u16_e32 0, v24
	s_cbranch_execz .LBB272_881
; %bb.874:                              ;   in Loop: Header=BB272_9 Depth=1
	v_mov_b32_e32 v105, 0x8000
	s_mov_b32 s18, exec_lo
	v_cmpx_ne_u16_e32 0x80, v24
	s_cbranch_execz .LBB272_880
; %bb.875:                              ;   in Loop: Header=BB272_9 Depth=1
	v_and_b32_e32 v37, 0x7f, v8
	v_mov_b32_e32 v105, 0x7c01
	s_mov_b32 s19, exec_lo
	s_delay_alu instid0(VALU_DEP_2)
	v_cmpx_ne_u32_e32 0x7f, v37
	s_cbranch_execz .LBB272_879
; %bb.876:                              ;   in Loop: Header=BB272_9 Depth=1
	v_dual_lshrrev_b32 v34, 3, v37 :: v_dual_bitop2_b32 v24, 7, v8 bitop3:0x40
	s_mov_b32 s20, exec_lo
	v_cmpx_gt_u32_e32 8, v37
; %bb.877:                              ;   in Loop: Header=BB272_9 Depth=1
	s_delay_alu instid0(VALU_DEP_2) | instskip(NEXT) | instid1(VALU_DEP_1)
	v_clz_i32_u32_e32 v24, v24
	v_min_u32_e32 v24, 32, v24
	s_delay_alu instid0(VALU_DEP_1) | instskip(SKIP_1) | instid1(VALU_DEP_2)
	v_subrev_nc_u32_e32 v26, 28, v24
	v_sub_nc_u32_e32 v34, 29, v24
	v_lshlrev_b64_e32 v[72:73], v26, v[8:9]
	s_delay_alu instid0(VALU_DEP_1)
	v_and_b32_e32 v24, 7, v72
; %bb.878:                              ;   in Loop: Header=BB272_9 Depth=1
	s_or_b32 exec_lo, exec_lo, s20
	v_lshlrev_b32_e32 v26, 8, v8
	v_lshl_add_u32 v27, v34, 10, 0x2000
	s_delay_alu instid0(VALU_DEP_3) | instskip(NEXT) | instid1(VALU_DEP_3)
	v_lshlrev_b32_e32 v24, 7, v24
	v_and_b32_e32 v26, 0x8000, v26
	s_delay_alu instid0(VALU_DEP_3) | instskip(NEXT) | instid1(VALU_DEP_1)
	v_and_b32_e32 v27, 0xfc00, v27
	v_or3_b32 v105, v26, v27, v24
.LBB272_879:                            ;   in Loop: Header=BB272_9 Depth=1
	s_or_b32 exec_lo, exec_lo, s19
.LBB272_880:                            ;   in Loop: Header=BB272_9 Depth=1
	s_delay_alu instid0(SALU_CYCLE_1)
	s_or_b32 exec_lo, exec_lo, s18
.LBB272_881:                            ;   in Loop: Header=BB272_9 Depth=1
	s_delay_alu instid0(SALU_CYCLE_1) | instskip(SKIP_2) | instid1(VALU_DEP_1)
	s_or_b32 exec_lo, exec_lo, s17
	v_lshrrev_b16 v24, 8, v8
	s_mov_b32 s17, exec_lo
	v_cmpx_ne_u16_e32 0, v24
	s_cbranch_execz .LBB272_889
; %bb.882:                              ;   in Loop: Header=BB272_9 Depth=1
	v_bfrev_b32_e32 v94, 1
	s_mov_b32 s18, exec_lo
	v_cmpx_ne_u16_e32 0x80, v24
	s_cbranch_execz .LBB272_888
; %bb.883:                              ;   in Loop: Header=BB272_9 Depth=1
	v_and_b32_e32 v34, 0xffff, v24
	v_mov_b32_e32 v94, 0x7c010000
	s_mov_b32 s19, exec_lo
	s_delay_alu instid0(VALU_DEP_2) | instskip(NEXT) | instid1(VALU_DEP_1)
	v_and_b32_e32 v83, 0x7f, v34
	v_cmpx_ne_u32_e32 0x7f, v83
	s_cbranch_execz .LBB272_887
; %bb.884:                              ;   in Loop: Header=BB272_9 Depth=1
	v_dual_lshrrev_b32 v39, 3, v83 :: v_dual_bitop2_b32 v37, 7, v34 bitop3:0x40
	s_mov_b32 s20, exec_lo
	v_cmpx_gt_u32_e32 8, v83
; %bb.885:                              ;   in Loop: Header=BB272_9 Depth=1
	s_delay_alu instid0(VALU_DEP_2) | instskip(NEXT) | instid1(VALU_DEP_1)
	v_clz_i32_u32_e32 v26, v37
	v_min_u32_e32 v26, 32, v26
	s_delay_alu instid0(VALU_DEP_1) | instskip(NEXT) | instid1(VALU_DEP_1)
	v_subrev_nc_u32_e32 v27, 28, v26
	v_lshlrev_b64_e32 v[72:73], v27, v[24:25]
	s_delay_alu instid0(VALU_DEP_1)
	v_dual_sub_nc_u32 v39, 29, v26 :: v_dual_bitop2_b32 v37, 7, v72 bitop3:0x40
; %bb.886:                              ;   in Loop: Header=BB272_9 Depth=1
	s_or_b32 exec_lo, exec_lo, s20
	v_lshlrev_b32_e32 v24, 8, v34
	s_delay_alu instid0(VALU_DEP_2) | instskip(NEXT) | instid1(VALU_DEP_1)
	v_lshl_add_u32 v26, v39, 10, 0x2000
	v_and_or_b32 v24, 0x8000, v24, v26
	v_lshlrev_b32_e32 v26, 23, v37
	s_delay_alu instid0(VALU_DEP_1)
	v_lshl_or_b32 v94, v24, 16, v26
.LBB272_887:                            ;   in Loop: Header=BB272_9 Depth=1
	s_or_b32 exec_lo, exec_lo, s19
.LBB272_888:                            ;   in Loop: Header=BB272_9 Depth=1
	s_delay_alu instid0(SALU_CYCLE_1)
	s_or_b32 exec_lo, exec_lo, s18
.LBB272_889:                            ;   in Loop: Header=BB272_9 Depth=1
	s_delay_alu instid0(SALU_CYCLE_1) | instskip(SKIP_3) | instid1(VALU_DEP_2)
	s_or_b32 exec_lo, exec_lo, s17
	v_dual_lshrrev_b32 v24, 16, v8 :: v_dual_mov_b32 v108, 0
	v_mov_b32_e32 v111, 0
	s_mov_b32 s17, exec_lo
	v_and_b32_e32 v34, 0xff, v24
	s_delay_alu instid0(VALU_DEP_1)
	v_cmpx_ne_u16_e32 0, v34
	s_cbranch_execz .LBB272_897
; %bb.890:                              ;   in Loop: Header=BB272_9 Depth=1
	v_mov_b32_e32 v111, 0x8000
	s_mov_b32 s18, exec_lo
	v_cmpx_ne_u16_e32 0x80, v34
	s_cbranch_execz .LBB272_896
; %bb.891:                              ;   in Loop: Header=BB272_9 Depth=1
	v_bfe_u32 v39, v8, 16, 7
	v_mov_b32_e32 v111, 0x7c01
	s_mov_b32 s19, exec_lo
	s_delay_alu instid0(VALU_DEP_2)
	v_cmpx_ne_u32_e32 0x7f, v39
	s_cbranch_execz .LBB272_895
; %bb.892:                              ;   in Loop: Header=BB272_9 Depth=1
	v_dual_lshrrev_b32 v37, 3, v39 :: v_dual_bitop2_b32 v34, 7, v24 bitop3:0x40
	s_mov_b32 s20, exec_lo
	v_cmpx_gt_u32_e32 8, v39
; %bb.893:                              ;   in Loop: Header=BB272_9 Depth=1
	s_delay_alu instid0(VALU_DEP_2) | instskip(NEXT) | instid1(VALU_DEP_1)
	v_clz_i32_u32_e32 v26, v34
	v_min_u32_e32 v26, 32, v26
	s_delay_alu instid0(VALU_DEP_1) | instskip(NEXT) | instid1(VALU_DEP_1)
	v_subrev_nc_u32_e32 v27, 28, v26
	v_lshlrev_b64_e32 v[72:73], v27, v[24:25]
	s_delay_alu instid0(VALU_DEP_1)
	v_dual_sub_nc_u32 v37, 29, v26 :: v_dual_bitop2_b32 v34, 7, v72 bitop3:0x40
; %bb.894:                              ;   in Loop: Header=BB272_9 Depth=1
	s_or_b32 exec_lo, exec_lo, s20
	s_delay_alu instid0(VALU_DEP_1) | instskip(NEXT) | instid1(VALU_DEP_2)
	v_dual_lshlrev_b32 v24, 8, v24 :: v_dual_lshlrev_b32 v27, 7, v34
	v_lshl_add_u32 v26, v37, 10, 0x2000
	s_delay_alu instid0(VALU_DEP_2) | instskip(NEXT) | instid1(VALU_DEP_2)
	v_and_b32_e32 v24, 0x8000, v24
	v_and_b32_e32 v26, 0xfc00, v26
	s_delay_alu instid0(VALU_DEP_1)
	v_or3_b32 v111, v24, v26, v27
.LBB272_895:                            ;   in Loop: Header=BB272_9 Depth=1
	s_or_b32 exec_lo, exec_lo, s19
.LBB272_896:                            ;   in Loop: Header=BB272_9 Depth=1
	s_delay_alu instid0(SALU_CYCLE_1)
	s_or_b32 exec_lo, exec_lo, s18
.LBB272_897:                            ;   in Loop: Header=BB272_9 Depth=1
	s_delay_alu instid0(SALU_CYCLE_1) | instskip(NEXT) | instid1(SALU_CYCLE_1)
	s_or_b32 exec_lo, exec_lo, s17
	s_mov_b32 s17, exec_lo
	v_cmpx_lt_u32_e32 0xffffff, v8
	s_cbranch_execz .LBB272_905
; %bb.898:                              ;   in Loop: Header=BB272_9 Depth=1
	v_lshrrev_b32_e32 v24, 24, v8
	v_bfrev_b32_e32 v108, 1
	s_mov_b32 s18, exec_lo
	s_delay_alu instid0(VALU_DEP_2)
	v_cmpx_ne_u32_e32 0x80, v24
	s_cbranch_execz .LBB272_904
; %bb.899:                              ;   in Loop: Header=BB272_9 Depth=1
	v_and_b32_e32 v37, 0x7f, v24
	v_mov_b32_e32 v108, 0x7c010000
	s_mov_b32 s19, exec_lo
	s_delay_alu instid0(VALU_DEP_2)
	v_cmpx_ne_u32_e32 0x7f, v37
	s_cbranch_execz .LBB272_903
; %bb.900:                              ;   in Loop: Header=BB272_9 Depth=1
	v_dual_lshrrev_b32 v34, 3, v37 :: v_dual_bitop2_b32 v8, 7, v24 bitop3:0x40
	s_mov_b32 s20, exec_lo
	v_cmpx_gt_u32_e32 8, v37
; %bb.901:                              ;   in Loop: Header=BB272_9 Depth=1
	s_delay_alu instid0(VALU_DEP_2) | instskip(NEXT) | instid1(VALU_DEP_1)
	v_clz_i32_u32_e32 v8, v8
	v_min_u32_e32 v8, 32, v8
	s_delay_alu instid0(VALU_DEP_1) | instskip(SKIP_1) | instid1(VALU_DEP_2)
	v_subrev_nc_u32_e32 v26, 28, v8
	v_sub_nc_u32_e32 v34, 29, v8
	v_lshlrev_b64_e32 v[72:73], v26, v[24:25]
	s_delay_alu instid0(VALU_DEP_1)
	v_and_b32_e32 v8, 7, v72
; %bb.902:                              ;   in Loop: Header=BB272_9 Depth=1
	s_or_b32 exec_lo, exec_lo, s20
	v_lshlrev_b32_e32 v24, 8, v24
	v_lshl_add_u32 v26, v34, 10, 0x2000
	s_delay_alu instid0(VALU_DEP_3) | instskip(NEXT) | instid1(VALU_DEP_2)
	v_lshlrev_b32_e32 v8, 23, v8
	v_and_or_b32 v24, 0x8000, v24, v26
	s_delay_alu instid0(VALU_DEP_1)
	v_lshl_or_b32 v108, v24, 16, v8
.LBB272_903:                            ;   in Loop: Header=BB272_9 Depth=1
	s_or_b32 exec_lo, exec_lo, s19
.LBB272_904:                            ;   in Loop: Header=BB272_9 Depth=1
	s_delay_alu instid0(SALU_CYCLE_1)
	s_or_b32 exec_lo, exec_lo, s18
.LBB272_905:                            ;   in Loop: Header=BB272_9 Depth=1
	s_delay_alu instid0(SALU_CYCLE_1)
	s_or_b32 exec_lo, exec_lo, s17
	flat_load_b32 v8, v[28:29] offset:3584
	v_dual_mov_b32 v34, 0 :: v_dual_mov_b32 v61, 0
	s_mov_b32 s17, exec_lo
	s_wait_loadcnt_dscnt 0x0
	v_and_b32_e32 v24, 0xff, v8
	s_wait_xcnt 0x0
	s_delay_alu instid0(VALU_DEP_1)
	v_cmpx_ne_u16_e32 0, v24
	s_cbranch_execz .LBB272_913
; %bb.906:                              ;   in Loop: Header=BB272_9 Depth=1
	v_mov_b32_e32 v61, 0x8000
	s_mov_b32 s18, exec_lo
	v_cmpx_ne_u16_e32 0x80, v24
	s_cbranch_execz .LBB272_912
; %bb.907:                              ;   in Loop: Header=BB272_9 Depth=1
	v_and_b32_e32 v39, 0x7f, v8
	v_mov_b32_e32 v61, 0x7c01
	s_mov_b32 s19, exec_lo
	s_delay_alu instid0(VALU_DEP_2)
	v_cmpx_ne_u32_e32 0x7f, v39
	s_cbranch_execz .LBB272_911
; %bb.908:                              ;   in Loop: Header=BB272_9 Depth=1
	v_dual_lshrrev_b32 v37, 3, v39 :: v_dual_bitop2_b32 v24, 7, v8 bitop3:0x40
	s_mov_b32 s20, exec_lo
	v_cmpx_gt_u32_e32 8, v39
; %bb.909:                              ;   in Loop: Header=BB272_9 Depth=1
	s_delay_alu instid0(VALU_DEP_2) | instskip(NEXT) | instid1(VALU_DEP_1)
	v_clz_i32_u32_e32 v24, v24
	v_min_u32_e32 v24, 32, v24
	s_delay_alu instid0(VALU_DEP_1) | instskip(SKIP_1) | instid1(VALU_DEP_2)
	v_subrev_nc_u32_e32 v26, 28, v24
	v_sub_nc_u32_e32 v37, 29, v24
	v_lshlrev_b64_e32 v[72:73], v26, v[8:9]
	s_delay_alu instid0(VALU_DEP_1)
	v_and_b32_e32 v24, 7, v72
; %bb.910:                              ;   in Loop: Header=BB272_9 Depth=1
	s_or_b32 exec_lo, exec_lo, s20
	v_lshlrev_b32_e32 v26, 8, v8
	v_lshl_add_u32 v27, v37, 10, 0x2000
	s_delay_alu instid0(VALU_DEP_3) | instskip(NEXT) | instid1(VALU_DEP_3)
	v_lshlrev_b32_e32 v24, 7, v24
	v_and_b32_e32 v26, 0x8000, v26
	s_delay_alu instid0(VALU_DEP_3) | instskip(NEXT) | instid1(VALU_DEP_1)
	v_and_b32_e32 v27, 0xfc00, v27
	v_or3_b32 v61, v26, v27, v24
.LBB272_911:                            ;   in Loop: Header=BB272_9 Depth=1
	s_or_b32 exec_lo, exec_lo, s19
.LBB272_912:                            ;   in Loop: Header=BB272_9 Depth=1
	s_delay_alu instid0(SALU_CYCLE_1)
	s_or_b32 exec_lo, exec_lo, s18
.LBB272_913:                            ;   in Loop: Header=BB272_9 Depth=1
	s_delay_alu instid0(SALU_CYCLE_1) | instskip(SKIP_2) | instid1(VALU_DEP_1)
	s_or_b32 exec_lo, exec_lo, s17
	v_lshrrev_b16 v24, 8, v8
	s_mov_b32 s17, exec_lo
	v_cmpx_ne_u16_e32 0, v24
	s_cbranch_execz .LBB272_921
; %bb.914:                              ;   in Loop: Header=BB272_9 Depth=1
	v_bfrev_b32_e32 v34, 1
	s_mov_b32 s18, exec_lo
	v_cmpx_ne_u16_e32 0x80, v24
	s_cbranch_execz .LBB272_920
; %bb.915:                              ;   in Loop: Header=BB272_9 Depth=1
	v_and_b32_e32 v37, 0xffff, v24
	v_mov_b32_e32 v34, 0x7c010000
	s_mov_b32 s19, exec_lo
	s_delay_alu instid0(VALU_DEP_2) | instskip(NEXT) | instid1(VALU_DEP_1)
	v_and_b32_e32 v83, 0x7f, v37
	v_cmpx_ne_u32_e32 0x7f, v83
	s_cbranch_execz .LBB272_919
; %bb.916:                              ;   in Loop: Header=BB272_9 Depth=1
	v_dual_lshrrev_b32 v39, 3, v83 :: v_dual_bitop2_b32 v34, 7, v37 bitop3:0x40
	s_mov_b32 s20, exec_lo
	v_cmpx_gt_u32_e32 8, v83
; %bb.917:                              ;   in Loop: Header=BB272_9 Depth=1
	s_delay_alu instid0(VALU_DEP_2) | instskip(NEXT) | instid1(VALU_DEP_1)
	v_clz_i32_u32_e32 v26, v34
	v_min_u32_e32 v26, 32, v26
	s_delay_alu instid0(VALU_DEP_1) | instskip(NEXT) | instid1(VALU_DEP_1)
	v_subrev_nc_u32_e32 v27, 28, v26
	v_lshlrev_b64_e32 v[72:73], v27, v[24:25]
	s_delay_alu instid0(VALU_DEP_1)
	v_dual_sub_nc_u32 v39, 29, v26 :: v_dual_bitop2_b32 v34, 7, v72 bitop3:0x40
; %bb.918:                              ;   in Loop: Header=BB272_9 Depth=1
	s_or_b32 exec_lo, exec_lo, s20
	v_lshlrev_b32_e32 v24, 8, v37
	s_delay_alu instid0(VALU_DEP_2) | instskip(NEXT) | instid1(VALU_DEP_1)
	v_lshl_add_u32 v26, v39, 10, 0x2000
	v_and_or_b32 v24, 0x8000, v24, v26
	v_lshlrev_b32_e32 v26, 23, v34
	s_delay_alu instid0(VALU_DEP_1)
	v_lshl_or_b32 v34, v24, 16, v26
.LBB272_919:                            ;   in Loop: Header=BB272_9 Depth=1
	s_or_b32 exec_lo, exec_lo, s19
.LBB272_920:                            ;   in Loop: Header=BB272_9 Depth=1
	s_delay_alu instid0(SALU_CYCLE_1)
	s_or_b32 exec_lo, exec_lo, s18
.LBB272_921:                            ;   in Loop: Header=BB272_9 Depth=1
	s_delay_alu instid0(SALU_CYCLE_1) | instskip(SKIP_3) | instid1(VALU_DEP_2)
	s_or_b32 exec_lo, exec_lo, s17
	v_dual_lshrrev_b32 v24, 16, v8 :: v_dual_mov_b32 v72, 0
	v_mov_b32_e32 v73, 0
	s_mov_b32 s17, exec_lo
	v_and_b32_e32 v37, 0xff, v24
	s_delay_alu instid0(VALU_DEP_1)
	v_cmpx_ne_u16_e32 0, v37
	s_cbranch_execz .LBB272_929
; %bb.922:                              ;   in Loop: Header=BB272_9 Depth=1
	v_mov_b32_e32 v73, 0x8000
	s_mov_b32 s18, exec_lo
	v_cmpx_ne_u16_e32 0x80, v37
	s_cbranch_execz .LBB272_928
; %bb.923:                              ;   in Loop: Header=BB272_9 Depth=1
	v_bfe_u32 v83, v8, 16, 7
	v_mov_b32_e32 v73, 0x7c01
	s_mov_b32 s19, exec_lo
	s_delay_alu instid0(VALU_DEP_2)
	v_cmpx_ne_u32_e32 0x7f, v83
	s_cbranch_execz .LBB272_927
; %bb.924:                              ;   in Loop: Header=BB272_9 Depth=1
	v_dual_lshrrev_b32 v39, 3, v83 :: v_dual_bitop2_b32 v37, 7, v24 bitop3:0x40
	s_mov_b32 s20, exec_lo
	v_cmpx_gt_u32_e32 8, v83
; %bb.925:                              ;   in Loop: Header=BB272_9 Depth=1
	s_delay_alu instid0(VALU_DEP_2) | instskip(NEXT) | instid1(VALU_DEP_1)
	v_clz_i32_u32_e32 v26, v37
	v_min_u32_e32 v26, 32, v26
	s_delay_alu instid0(VALU_DEP_1) | instskip(SKIP_1) | instid1(VALU_DEP_1)
	v_dual_mov_b32 v37, v91 :: v_dual_sub_nc_u32 v39, 29, v26
	v_subrev_nc_u32_e32 v27, 28, v26
	v_lshlrev_b64_e32 v[90:91], v27, v[24:25]
	s_delay_alu instid0(VALU_DEP_1)
	v_dual_mov_b32 v91, v37 :: v_dual_bitop2_b32 v37, 7, v90 bitop3:0x40
; %bb.926:                              ;   in Loop: Header=BB272_9 Depth=1
	s_or_b32 exec_lo, exec_lo, s20
	s_delay_alu instid0(VALU_DEP_1) | instskip(SKIP_1) | instid1(VALU_DEP_2)
	v_dual_lshlrev_b32 v24, 8, v24 :: v_dual_lshlrev_b32 v27, 7, v37
	v_lshl_add_u32 v26, v39, 10, 0x2000
	v_and_b32_e32 v24, 0x8000, v24
	s_delay_alu instid0(VALU_DEP_2) | instskip(NEXT) | instid1(VALU_DEP_1)
	v_and_b32_e32 v26, 0xfc00, v26
	v_or3_b32 v73, v24, v26, v27
.LBB272_927:                            ;   in Loop: Header=BB272_9 Depth=1
	s_or_b32 exec_lo, exec_lo, s19
.LBB272_928:                            ;   in Loop: Header=BB272_9 Depth=1
	s_delay_alu instid0(SALU_CYCLE_1)
	s_or_b32 exec_lo, exec_lo, s18
.LBB272_929:                            ;   in Loop: Header=BB272_9 Depth=1
	s_delay_alu instid0(SALU_CYCLE_1) | instskip(NEXT) | instid1(SALU_CYCLE_1)
	s_or_b32 exec_lo, exec_lo, s17
	s_mov_b32 s17, exec_lo
	v_cmpx_lt_u32_e32 0xffffff, v8
	s_cbranch_execz .LBB272_937
; %bb.930:                              ;   in Loop: Header=BB272_9 Depth=1
	v_lshrrev_b32_e32 v24, 24, v8
	v_bfrev_b32_e32 v72, 1
	s_mov_b32 s18, exec_lo
	s_delay_alu instid0(VALU_DEP_2)
	v_cmpx_ne_u32_e32 0x80, v24
	s_cbranch_execz .LBB272_936
; %bb.931:                              ;   in Loop: Header=BB272_9 Depth=1
	v_and_b32_e32 v39, 0x7f, v24
	v_mov_b32_e32 v72, 0x7c010000
	s_mov_b32 s19, exec_lo
	s_delay_alu instid0(VALU_DEP_2)
	v_cmpx_ne_u32_e32 0x7f, v39
	s_cbranch_execz .LBB272_935
; %bb.932:                              ;   in Loop: Header=BB272_9 Depth=1
	v_dual_lshrrev_b32 v37, 3, v39 :: v_dual_bitop2_b32 v8, 7, v24 bitop3:0x40
	s_mov_b32 s20, exec_lo
	v_cmpx_gt_u32_e32 8, v39
; %bb.933:                              ;   in Loop: Header=BB272_9 Depth=1
	s_delay_alu instid0(VALU_DEP_2) | instskip(NEXT) | instid1(VALU_DEP_1)
	v_clz_i32_u32_e32 v8, v8
	v_min_u32_e32 v8, 32, v8
	s_delay_alu instid0(VALU_DEP_1) | instskip(SKIP_1) | instid1(VALU_DEP_1)
	v_dual_mov_b32 v27, v91 :: v_dual_sub_nc_u32 v37, 29, v8
	v_subrev_nc_u32_e32 v26, 28, v8
	v_lshlrev_b64_e32 v[90:91], v26, v[24:25]
	s_delay_alu instid0(VALU_DEP_1)
	v_dual_mov_b32 v91, v27 :: v_dual_bitop2_b32 v8, 7, v90 bitop3:0x40
; %bb.934:                              ;   in Loop: Header=BB272_9 Depth=1
	s_or_b32 exec_lo, exec_lo, s20
	v_lshlrev_b32_e32 v24, 8, v24
	v_lshl_add_u32 v26, v37, 10, 0x2000
	s_delay_alu instid0(VALU_DEP_3) | instskip(NEXT) | instid1(VALU_DEP_2)
	v_lshlrev_b32_e32 v8, 23, v8
	v_and_or_b32 v24, 0x8000, v24, v26
	s_delay_alu instid0(VALU_DEP_1)
	v_lshl_or_b32 v72, v24, 16, v8
.LBB272_935:                            ;   in Loop: Header=BB272_9 Depth=1
	s_or_b32 exec_lo, exec_lo, s19
.LBB272_936:                            ;   in Loop: Header=BB272_9 Depth=1
	s_delay_alu instid0(SALU_CYCLE_1)
	s_or_b32 exec_lo, exec_lo, s18
.LBB272_937:                            ;   in Loop: Header=BB272_9 Depth=1
	s_delay_alu instid0(SALU_CYCLE_1)
	s_or_b32 exec_lo, exec_lo, s17
	flat_load_b32 v8, v[28:29] offset:3592
	v_dual_mov_b32 v39, 0 :: v_dual_mov_b32 v74, 0
	s_mov_b32 s17, exec_lo
	s_wait_loadcnt_dscnt 0x0
	v_and_b32_e32 v24, 0xff, v8
	s_wait_xcnt 0x0
	s_delay_alu instid0(VALU_DEP_1)
	v_cmpx_ne_u16_e32 0, v24
	s_cbranch_execz .LBB272_945
; %bb.938:                              ;   in Loop: Header=BB272_9 Depth=1
	v_mov_b32_e32 v74, 0x8000
	s_mov_b32 s18, exec_lo
	v_cmpx_ne_u16_e32 0x80, v24
	s_cbranch_execz .LBB272_944
; %bb.939:                              ;   in Loop: Header=BB272_9 Depth=1
	v_and_b32_e32 v83, 0x7f, v8
	v_mov_b32_e32 v74, 0x7c01
	s_mov_b32 s19, exec_lo
	s_delay_alu instid0(VALU_DEP_2)
	v_cmpx_ne_u32_e32 0x7f, v83
	s_cbranch_execz .LBB272_943
; %bb.940:                              ;   in Loop: Header=BB272_9 Depth=1
	v_dual_lshrrev_b32 v37, 3, v83 :: v_dual_bitop2_b32 v24, 7, v8 bitop3:0x40
	s_mov_b32 s20, exec_lo
	v_cmpx_gt_u32_e32 8, v83
; %bb.941:                              ;   in Loop: Header=BB272_9 Depth=1
	s_delay_alu instid0(VALU_DEP_2) | instskip(NEXT) | instid1(VALU_DEP_1)
	v_clz_i32_u32_e32 v24, v24
	v_min_u32_e32 v24, 32, v24
	s_delay_alu instid0(VALU_DEP_1) | instskip(SKIP_1) | instid1(VALU_DEP_1)
	v_dual_mov_b32 v27, v91 :: v_dual_sub_nc_u32 v37, 29, v24
	v_subrev_nc_u32_e32 v26, 28, v24
	v_lshlrev_b64_e32 v[90:91], v26, v[8:9]
	s_delay_alu instid0(VALU_DEP_1)
	v_dual_mov_b32 v91, v27 :: v_dual_bitop2_b32 v24, 7, v90 bitop3:0x40
; %bb.942:                              ;   in Loop: Header=BB272_9 Depth=1
	s_or_b32 exec_lo, exec_lo, s20
	v_lshlrev_b32_e32 v26, 8, v8
	v_lshl_add_u32 v27, v37, 10, 0x2000
	s_delay_alu instid0(VALU_DEP_3) | instskip(NEXT) | instid1(VALU_DEP_3)
	v_lshlrev_b32_e32 v24, 7, v24
	v_and_b32_e32 v26, 0x8000, v26
	s_delay_alu instid0(VALU_DEP_3) | instskip(NEXT) | instid1(VALU_DEP_1)
	v_and_b32_e32 v27, 0xfc00, v27
	v_or3_b32 v74, v26, v27, v24
.LBB272_943:                            ;   in Loop: Header=BB272_9 Depth=1
	s_or_b32 exec_lo, exec_lo, s19
.LBB272_944:                            ;   in Loop: Header=BB272_9 Depth=1
	s_delay_alu instid0(SALU_CYCLE_1)
	s_or_b32 exec_lo, exec_lo, s18
.LBB272_945:                            ;   in Loop: Header=BB272_9 Depth=1
	s_delay_alu instid0(SALU_CYCLE_1) | instskip(SKIP_2) | instid1(VALU_DEP_1)
	s_or_b32 exec_lo, exec_lo, s17
	v_lshrrev_b16 v24, 8, v8
	s_mov_b32 s17, exec_lo
	v_cmpx_ne_u16_e32 0, v24
	s_cbranch_execz .LBB272_953
; %bb.946:                              ;   in Loop: Header=BB272_9 Depth=1
	v_bfrev_b32_e32 v39, 1
	s_mov_b32 s18, exec_lo
	v_cmpx_ne_u16_e32 0x80, v24
	s_cbranch_execz .LBB272_952
; %bb.947:                              ;   in Loop: Header=BB272_9 Depth=1
	v_and_b32_e32 v37, 0xffff, v24
	v_mov_b32_e32 v39, 0x7c010000
	s_mov_b32 s19, exec_lo
	s_delay_alu instid0(VALU_DEP_2) | instskip(NEXT) | instid1(VALU_DEP_1)
	v_and_b32_e32 v85, 0x7f, v37
	v_cmpx_ne_u32_e32 0x7f, v85
	s_cbranch_execz .LBB272_951
; %bb.948:                              ;   in Loop: Header=BB272_9 Depth=1
	v_and_b32_e32 v39, 7, v37
	v_lshrrev_b32_e32 v83, 3, v85
	s_mov_b32 s20, exec_lo
	v_cmpx_gt_u32_e32 8, v85
; %bb.949:                              ;   in Loop: Header=BB272_9 Depth=1
	s_delay_alu instid0(VALU_DEP_3) | instskip(NEXT) | instid1(VALU_DEP_1)
	v_clz_i32_u32_e32 v26, v39
	v_min_u32_e32 v26, 32, v26
	s_delay_alu instid0(VALU_DEP_1) | instskip(SKIP_1) | instid1(VALU_DEP_1)
	v_dual_mov_b32 v39, v91 :: v_dual_sub_nc_u32 v83, 29, v26
	v_subrev_nc_u32_e32 v27, 28, v26
	v_lshlrev_b64_e32 v[90:91], v27, v[24:25]
	s_delay_alu instid0(VALU_DEP_1)
	v_dual_mov_b32 v91, v39 :: v_dual_bitop2_b32 v39, 7, v90 bitop3:0x40
; %bb.950:                              ;   in Loop: Header=BB272_9 Depth=1
	s_or_b32 exec_lo, exec_lo, s20
	v_lshlrev_b32_e32 v24, 8, v37
	v_lshl_add_u32 v26, v83, 10, 0x2000
	s_delay_alu instid0(VALU_DEP_1) | instskip(SKIP_1) | instid1(VALU_DEP_1)
	v_and_or_b32 v24, 0x8000, v24, v26
	v_lshlrev_b32_e32 v26, 23, v39
	v_lshl_or_b32 v39, v24, 16, v26
.LBB272_951:                            ;   in Loop: Header=BB272_9 Depth=1
	s_or_b32 exec_lo, exec_lo, s19
.LBB272_952:                            ;   in Loop: Header=BB272_9 Depth=1
	s_delay_alu instid0(SALU_CYCLE_1)
	s_or_b32 exec_lo, exec_lo, s18
.LBB272_953:                            ;   in Loop: Header=BB272_9 Depth=1
	s_delay_alu instid0(SALU_CYCLE_1) | instskip(SKIP_3) | instid1(VALU_DEP_2)
	s_or_b32 exec_lo, exec_lo, s17
	v_dual_lshrrev_b32 v24, 16, v8 :: v_dual_mov_b32 v78, 0
	v_mov_b32_e32 v88, 0
	s_mov_b32 s17, exec_lo
	v_and_b32_e32 v37, 0xff, v24
	s_delay_alu instid0(VALU_DEP_1)
	v_cmpx_ne_u16_e32 0, v37
	s_cbranch_execz .LBB272_961
; %bb.954:                              ;   in Loop: Header=BB272_9 Depth=1
	v_mov_b32_e32 v88, 0x8000
	s_mov_b32 s18, exec_lo
	v_cmpx_ne_u16_e32 0x80, v37
	s_cbranch_execz .LBB272_960
; %bb.955:                              ;   in Loop: Header=BB272_9 Depth=1
	v_bfe_u32 v85, v8, 16, 7
	v_mov_b32_e32 v88, 0x7c01
	s_mov_b32 s19, exec_lo
	s_delay_alu instid0(VALU_DEP_2)
	v_cmpx_ne_u32_e32 0x7f, v85
	s_cbranch_execz .LBB272_959
; %bb.956:                              ;   in Loop: Header=BB272_9 Depth=1
	v_dual_lshrrev_b32 v83, 3, v85 :: v_dual_bitop2_b32 v37, 7, v24 bitop3:0x40
	s_mov_b32 s20, exec_lo
	v_cmpx_gt_u32_e32 8, v85
; %bb.957:                              ;   in Loop: Header=BB272_9 Depth=1
	s_delay_alu instid0(VALU_DEP_2) | instskip(NEXT) | instid1(VALU_DEP_1)
	v_clz_i32_u32_e32 v26, v37
	v_min_u32_e32 v26, 32, v26
	s_delay_alu instid0(VALU_DEP_1) | instskip(SKIP_1) | instid1(VALU_DEP_1)
	v_dual_mov_b32 v37, v91 :: v_dual_sub_nc_u32 v83, 29, v26
	v_subrev_nc_u32_e32 v27, 28, v26
	v_lshlrev_b64_e32 v[90:91], v27, v[24:25]
	s_delay_alu instid0(VALU_DEP_1)
	v_dual_mov_b32 v91, v37 :: v_dual_bitop2_b32 v37, 7, v90 bitop3:0x40
; %bb.958:                              ;   in Loop: Header=BB272_9 Depth=1
	s_or_b32 exec_lo, exec_lo, s20
	s_delay_alu instid0(VALU_DEP_1) | instskip(SKIP_1) | instid1(VALU_DEP_2)
	v_dual_lshlrev_b32 v24, 8, v24 :: v_dual_lshlrev_b32 v27, 7, v37
	v_lshl_add_u32 v26, v83, 10, 0x2000
	v_and_b32_e32 v24, 0x8000, v24
	s_delay_alu instid0(VALU_DEP_2) | instskip(NEXT) | instid1(VALU_DEP_1)
	v_and_b32_e32 v26, 0xfc00, v26
	v_or3_b32 v88, v24, v26, v27
.LBB272_959:                            ;   in Loop: Header=BB272_9 Depth=1
	s_or_b32 exec_lo, exec_lo, s19
.LBB272_960:                            ;   in Loop: Header=BB272_9 Depth=1
	s_delay_alu instid0(SALU_CYCLE_1)
	s_or_b32 exec_lo, exec_lo, s18
.LBB272_961:                            ;   in Loop: Header=BB272_9 Depth=1
	s_delay_alu instid0(SALU_CYCLE_1) | instskip(NEXT) | instid1(SALU_CYCLE_1)
	s_or_b32 exec_lo, exec_lo, s17
	s_mov_b32 s17, exec_lo
	v_cmpx_lt_u32_e32 0xffffff, v8
	s_cbranch_execz .LBB272_969
; %bb.962:                              ;   in Loop: Header=BB272_9 Depth=1
	v_lshrrev_b32_e32 v24, 24, v8
	v_bfrev_b32_e32 v78, 1
	s_mov_b32 s18, exec_lo
	s_delay_alu instid0(VALU_DEP_2)
	v_cmpx_ne_u32_e32 0x80, v24
	s_cbranch_execz .LBB272_968
; %bb.963:                              ;   in Loop: Header=BB272_9 Depth=1
	v_and_b32_e32 v83, 0x7f, v24
	v_mov_b32_e32 v78, 0x7c010000
	s_mov_b32 s19, exec_lo
	s_delay_alu instid0(VALU_DEP_2)
	v_cmpx_ne_u32_e32 0x7f, v83
	s_cbranch_execz .LBB272_967
; %bb.964:                              ;   in Loop: Header=BB272_9 Depth=1
	v_dual_lshrrev_b32 v37, 3, v83 :: v_dual_bitop2_b32 v8, 7, v24 bitop3:0x40
	s_mov_b32 s20, exec_lo
	v_cmpx_gt_u32_e32 8, v83
; %bb.965:                              ;   in Loop: Header=BB272_9 Depth=1
	s_delay_alu instid0(VALU_DEP_2) | instskip(NEXT) | instid1(VALU_DEP_1)
	v_clz_i32_u32_e32 v8, v8
	v_min_u32_e32 v8, 32, v8
	s_delay_alu instid0(VALU_DEP_1) | instskip(SKIP_1) | instid1(VALU_DEP_1)
	v_dual_mov_b32 v27, v91 :: v_dual_sub_nc_u32 v37, 29, v8
	v_subrev_nc_u32_e32 v26, 28, v8
	v_lshlrev_b64_e32 v[90:91], v26, v[24:25]
	s_delay_alu instid0(VALU_DEP_1)
	v_dual_mov_b32 v91, v27 :: v_dual_bitop2_b32 v8, 7, v90 bitop3:0x40
; %bb.966:                              ;   in Loop: Header=BB272_9 Depth=1
	s_or_b32 exec_lo, exec_lo, s20
	v_lshlrev_b32_e32 v24, 8, v24
	v_lshl_add_u32 v26, v37, 10, 0x2000
	s_delay_alu instid0(VALU_DEP_3) | instskip(NEXT) | instid1(VALU_DEP_2)
	v_lshlrev_b32_e32 v8, 23, v8
	v_and_or_b32 v24, 0x8000, v24, v26
	s_delay_alu instid0(VALU_DEP_1)
	v_lshl_or_b32 v78, v24, 16, v8
.LBB272_967:                            ;   in Loop: Header=BB272_9 Depth=1
	s_or_b32 exec_lo, exec_lo, s19
.LBB272_968:                            ;   in Loop: Header=BB272_9 Depth=1
	s_delay_alu instid0(SALU_CYCLE_1)
	s_or_b32 exec_lo, exec_lo, s18
.LBB272_969:                            ;   in Loop: Header=BB272_9 Depth=1
	s_delay_alu instid0(SALU_CYCLE_1)
	s_or_b32 exec_lo, exec_lo, s17
	flat_load_b32 v8, v[28:29] offset:3840
	v_dual_mov_b32 v90, 0 :: v_dual_mov_b32 v83, 0
	s_mov_b32 s17, exec_lo
	s_wait_loadcnt_dscnt 0x0
	v_and_b32_e32 v24, 0xff, v8
	s_wait_xcnt 0x0
	s_delay_alu instid0(VALU_DEP_1)
	v_cmpx_ne_u16_e32 0, v24
	s_cbranch_execz .LBB272_977
; %bb.970:                              ;   in Loop: Header=BB272_9 Depth=1
	v_mov_b32_e32 v83, 0x8000
	s_mov_b32 s18, exec_lo
	v_cmpx_ne_u16_e32 0x80, v24
	s_cbranch_execz .LBB272_976
; %bb.971:                              ;   in Loop: Header=BB272_9 Depth=1
	v_and_b32_e32 v85, 0x7f, v8
	v_mov_b32_e32 v83, 0x7c01
	s_mov_b32 s19, exec_lo
	s_delay_alu instid0(VALU_DEP_2)
	v_cmpx_ne_u32_e32 0x7f, v85
	s_cbranch_execz .LBB272_975
; %bb.972:                              ;   in Loop: Header=BB272_9 Depth=1
	v_dual_lshrrev_b32 v37, 3, v85 :: v_dual_bitop2_b32 v24, 7, v8 bitop3:0x40
	s_mov_b32 s20, exec_lo
	v_cmpx_gt_u32_e32 8, v85
; %bb.973:                              ;   in Loop: Header=BB272_9 Depth=1
	s_delay_alu instid0(VALU_DEP_2) | instskip(NEXT) | instid1(VALU_DEP_1)
	v_clz_i32_u32_e32 v24, v24
	v_min_u32_e32 v24, 32, v24
	s_delay_alu instid0(VALU_DEP_1) | instskip(NEXT) | instid1(VALU_DEP_1)
	v_subrev_nc_u32_e32 v26, 28, v24
	v_lshlrev_b64_e32 v[26:27], v26, v[8:9]
	s_delay_alu instid0(VALU_DEP_1)
	v_dual_sub_nc_u32 v37, 29, v24 :: v_dual_bitop2_b32 v24, 7, v26 bitop3:0x40
; %bb.974:                              ;   in Loop: Header=BB272_9 Depth=1
	s_or_b32 exec_lo, exec_lo, s20
	v_lshlrev_b32_e32 v26, 8, v8
	s_delay_alu instid0(VALU_DEP_2) | instskip(NEXT) | instid1(VALU_DEP_3)
	v_lshl_add_u32 v27, v37, 10, 0x2000
	v_lshlrev_b32_e32 v24, 7, v24
	s_delay_alu instid0(VALU_DEP_3) | instskip(NEXT) | instid1(VALU_DEP_3)
	v_and_b32_e32 v26, 0x8000, v26
	v_and_b32_e32 v27, 0xfc00, v27
	s_delay_alu instid0(VALU_DEP_1)
	v_or3_b32 v83, v26, v27, v24
.LBB272_975:                            ;   in Loop: Header=BB272_9 Depth=1
	s_or_b32 exec_lo, exec_lo, s19
.LBB272_976:                            ;   in Loop: Header=BB272_9 Depth=1
	s_delay_alu instid0(SALU_CYCLE_1)
	s_or_b32 exec_lo, exec_lo, s18
.LBB272_977:                            ;   in Loop: Header=BB272_9 Depth=1
	s_delay_alu instid0(SALU_CYCLE_1) | instskip(SKIP_2) | instid1(VALU_DEP_1)
	s_or_b32 exec_lo, exec_lo, s17
	v_lshrrev_b16 v24, 8, v8
	s_mov_b32 s17, exec_lo
	v_cmpx_ne_u16_e32 0, v24
	s_cbranch_execz .LBB272_985
; %bb.978:                              ;   in Loop: Header=BB272_9 Depth=1
	v_bfrev_b32_e32 v90, 1
	s_mov_b32 s18, exec_lo
	v_cmpx_ne_u16_e32 0x80, v24
	s_cbranch_execz .LBB272_984
; %bb.979:                              ;   in Loop: Header=BB272_9 Depth=1
	v_and_b32_e32 v37, 0xffff, v24
	v_mov_b32_e32 v90, 0x7c010000
	s_mov_b32 s19, exec_lo
	s_delay_alu instid0(VALU_DEP_2) | instskip(NEXT) | instid1(VALU_DEP_1)
	v_and_b32_e32 v97, 0x7f, v37
	v_cmpx_ne_u32_e32 0x7f, v97
	s_cbranch_execz .LBB272_983
; %bb.980:                              ;   in Loop: Header=BB272_9 Depth=1
	v_and_b32_e32 v85, 7, v37
	v_lshrrev_b32_e32 v87, 3, v97
	s_mov_b32 s20, exec_lo
	v_cmpx_gt_u32_e32 8, v97
; %bb.981:                              ;   in Loop: Header=BB272_9 Depth=1
	s_delay_alu instid0(VALU_DEP_3) | instskip(NEXT) | instid1(VALU_DEP_1)
	v_clz_i32_u32_e32 v26, v85
	v_min_u32_e32 v85, 32, v26
	s_delay_alu instid0(VALU_DEP_1) | instskip(NEXT) | instid1(VALU_DEP_1)
	v_subrev_nc_u32_e32 v26, 28, v85
	v_lshlrev_b64_e32 v[26:27], v26, v[24:25]
	s_delay_alu instid0(VALU_DEP_1)
	v_dual_sub_nc_u32 v87, 29, v85 :: v_dual_bitop2_b32 v85, 7, v26 bitop3:0x40
; %bb.982:                              ;   in Loop: Header=BB272_9 Depth=1
	s_or_b32 exec_lo, exec_lo, s20
	v_lshlrev_b32_e32 v24, 8, v37
	s_delay_alu instid0(VALU_DEP_2) | instskip(NEXT) | instid1(VALU_DEP_1)
	v_lshl_add_u32 v26, v87, 10, 0x2000
	v_and_or_b32 v24, 0x8000, v24, v26
	v_lshlrev_b32_e32 v26, 23, v85
	s_delay_alu instid0(VALU_DEP_1)
	v_lshl_or_b32 v90, v24, 16, v26
.LBB272_983:                            ;   in Loop: Header=BB272_9 Depth=1
	s_or_b32 exec_lo, exec_lo, s19
.LBB272_984:                            ;   in Loop: Header=BB272_9 Depth=1
	s_delay_alu instid0(SALU_CYCLE_1)
	s_or_b32 exec_lo, exec_lo, s18
.LBB272_985:                            ;   in Loop: Header=BB272_9 Depth=1
	s_delay_alu instid0(SALU_CYCLE_1) | instskip(SKIP_3) | instid1(VALU_DEP_2)
	s_or_b32 exec_lo, exec_lo, s17
	v_dual_mov_b32 v85, 0 :: v_dual_lshrrev_b32 v24, 16, v8
	v_mov_b32_e32 v87, 0
	s_mov_b32 s17, exec_lo
	v_and_b32_e32 v37, 0xff, v24
	s_delay_alu instid0(VALU_DEP_1)
	v_cmpx_ne_u16_e32 0, v37
	s_cbranch_execz .LBB272_993
; %bb.986:                              ;   in Loop: Header=BB272_9 Depth=1
	v_mov_b32_e32 v87, 0x8000
	s_mov_b32 s18, exec_lo
	v_cmpx_ne_u16_e32 0x80, v37
	s_cbranch_execz .LBB272_992
; %bb.987:                              ;   in Loop: Header=BB272_9 Depth=1
	v_bfe_u32 v97, v8, 16, 7
	v_mov_b32_e32 v87, 0x7c01
	s_mov_b32 s19, exec_lo
	s_delay_alu instid0(VALU_DEP_2)
	v_cmpx_ne_u32_e32 0x7f, v97
	s_cbranch_execz .LBB272_991
; %bb.988:                              ;   in Loop: Header=BB272_9 Depth=1
	v_dual_lshrrev_b32 v87, 3, v97 :: v_dual_bitop2_b32 v37, 7, v24 bitop3:0x40
	s_mov_b32 s20, exec_lo
	v_cmpx_gt_u32_e32 8, v97
; %bb.989:                              ;   in Loop: Header=BB272_9 Depth=1
	s_delay_alu instid0(VALU_DEP_2) | instskip(NEXT) | instid1(VALU_DEP_1)
	v_clz_i32_u32_e32 v26, v37
	v_min_u32_e32 v37, 32, v26
	s_delay_alu instid0(VALU_DEP_1) | instskip(NEXT) | instid1(VALU_DEP_1)
	v_subrev_nc_u32_e32 v26, 28, v37
	v_lshlrev_b64_e32 v[26:27], v26, v[24:25]
	s_delay_alu instid0(VALU_DEP_1)
	v_dual_sub_nc_u32 v87, 29, v37 :: v_dual_bitop2_b32 v37, 7, v26 bitop3:0x40
; %bb.990:                              ;   in Loop: Header=BB272_9 Depth=1
	s_or_b32 exec_lo, exec_lo, s20
	s_delay_alu instid0(VALU_DEP_1) | instskip(NEXT) | instid1(VALU_DEP_2)
	v_dual_lshlrev_b32 v24, 8, v24 :: v_dual_lshlrev_b32 v27, 7, v37
	v_lshl_add_u32 v26, v87, 10, 0x2000
	s_delay_alu instid0(VALU_DEP_2) | instskip(NEXT) | instid1(VALU_DEP_2)
	v_and_b32_e32 v24, 0x8000, v24
	v_and_b32_e32 v26, 0xfc00, v26
	s_delay_alu instid0(VALU_DEP_1)
	v_or3_b32 v87, v24, v26, v27
.LBB272_991:                            ;   in Loop: Header=BB272_9 Depth=1
	s_or_b32 exec_lo, exec_lo, s19
.LBB272_992:                            ;   in Loop: Header=BB272_9 Depth=1
	s_delay_alu instid0(SALU_CYCLE_1)
	s_or_b32 exec_lo, exec_lo, s18
.LBB272_993:                            ;   in Loop: Header=BB272_9 Depth=1
	s_delay_alu instid0(SALU_CYCLE_1) | instskip(NEXT) | instid1(SALU_CYCLE_1)
	s_or_b32 exec_lo, exec_lo, s17
	s_mov_b32 s17, exec_lo
	v_cmpx_lt_u32_e32 0xffffff, v8
	s_cbranch_execz .LBB272_1001
; %bb.994:                              ;   in Loop: Header=BB272_9 Depth=1
	v_lshrrev_b32_e32 v24, 24, v8
	v_bfrev_b32_e32 v85, 1
	s_mov_b32 s18, exec_lo
	s_delay_alu instid0(VALU_DEP_2)
	v_cmpx_ne_u32_e32 0x80, v24
	s_cbranch_execz .LBB272_1000
; %bb.995:                              ;   in Loop: Header=BB272_9 Depth=1
	v_and_b32_e32 v97, 0x7f, v24
	v_mov_b32_e32 v85, 0x7c010000
	s_mov_b32 s19, exec_lo
	s_delay_alu instid0(VALU_DEP_2)
	v_cmpx_ne_u32_e32 0x7f, v97
	s_cbranch_execz .LBB272_999
; %bb.996:                              ;   in Loop: Header=BB272_9 Depth=1
	v_dual_lshrrev_b32 v37, 3, v97 :: v_dual_bitop2_b32 v8, 7, v24 bitop3:0x40
	s_mov_b32 s20, exec_lo
	v_cmpx_gt_u32_e32 8, v97
; %bb.997:                              ;   in Loop: Header=BB272_9 Depth=1
	s_delay_alu instid0(VALU_DEP_2) | instskip(NEXT) | instid1(VALU_DEP_1)
	v_clz_i32_u32_e32 v8, v8
	v_min_u32_e32 v8, 32, v8
	s_delay_alu instid0(VALU_DEP_1) | instskip(NEXT) | instid1(VALU_DEP_1)
	v_subrev_nc_u32_e32 v26, 28, v8
	v_lshlrev_b64_e32 v[26:27], v26, v[24:25]
	s_delay_alu instid0(VALU_DEP_1)
	v_dual_sub_nc_u32 v37, 29, v8 :: v_dual_bitop2_b32 v8, 7, v26 bitop3:0x40
; %bb.998:                              ;   in Loop: Header=BB272_9 Depth=1
	s_or_b32 exec_lo, exec_lo, s20
	v_lshlrev_b32_e32 v24, 8, v24
	s_delay_alu instid0(VALU_DEP_2) | instskip(NEXT) | instid1(VALU_DEP_3)
	v_lshl_add_u32 v26, v37, 10, 0x2000
	v_lshlrev_b32_e32 v8, 23, v8
	s_delay_alu instid0(VALU_DEP_2) | instskip(NEXT) | instid1(VALU_DEP_1)
	v_and_or_b32 v24, 0x8000, v24, v26
	v_lshl_or_b32 v85, v24, 16, v8
.LBB272_999:                            ;   in Loop: Header=BB272_9 Depth=1
	s_or_b32 exec_lo, exec_lo, s19
.LBB272_1000:                           ;   in Loop: Header=BB272_9 Depth=1
	s_delay_alu instid0(SALU_CYCLE_1)
	s_or_b32 exec_lo, exec_lo, s18
.LBB272_1001:                           ;   in Loop: Header=BB272_9 Depth=1
	s_delay_alu instid0(SALU_CYCLE_1)
	s_or_b32 exec_lo, exec_lo, s17
	flat_load_b32 v8, v[28:29] offset:3848
	s_wait_xcnt 0x0
	v_dual_mov_b32 v28, 0 :: v_dual_mov_b32 v29, 0
	s_mov_b32 s17, exec_lo
	s_wait_loadcnt_dscnt 0x0
	v_and_b32_e32 v24, 0xff, v8
	s_delay_alu instid0(VALU_DEP_1)
	v_cmpx_ne_u16_e32 0, v24
	s_cbranch_execz .LBB272_1009
; %bb.1002:                             ;   in Loop: Header=BB272_9 Depth=1
	v_mov_b32_e32 v29, 0x8000
	s_mov_b32 s18, exec_lo
	v_cmpx_ne_u16_e32 0x80, v24
	s_cbranch_execz .LBB272_1008
; %bb.1003:                             ;   in Loop: Header=BB272_9 Depth=1
	v_and_b32_e32 v37, 0x7f, v8
	v_mov_b32_e32 v29, 0x7c01
	s_mov_b32 s19, exec_lo
	s_delay_alu instid0(VALU_DEP_2)
	v_cmpx_ne_u32_e32 0x7f, v37
	s_cbranch_execz .LBB272_1007
; %bb.1004:                             ;   in Loop: Header=BB272_9 Depth=1
	v_dual_lshrrev_b32 v29, 3, v37 :: v_dual_bitop2_b32 v24, 7, v8 bitop3:0x40
	s_mov_b32 s20, exec_lo
	v_cmpx_gt_u32_e32 8, v37
; %bb.1005:                             ;   in Loop: Header=BB272_9 Depth=1
	s_delay_alu instid0(VALU_DEP_2) | instskip(NEXT) | instid1(VALU_DEP_1)
	v_clz_i32_u32_e32 v24, v24
	v_min_u32_e32 v24, 32, v24
	s_delay_alu instid0(VALU_DEP_1) | instskip(NEXT) | instid1(VALU_DEP_1)
	v_subrev_nc_u32_e32 v26, 28, v24
	v_lshlrev_b64_e32 v[26:27], v26, v[8:9]
	s_delay_alu instid0(VALU_DEP_1)
	v_dual_sub_nc_u32 v29, 29, v24 :: v_dual_bitop2_b32 v24, 7, v26 bitop3:0x40
; %bb.1006:                             ;   in Loop: Header=BB272_9 Depth=1
	s_or_b32 exec_lo, exec_lo, s20
	v_lshlrev_b32_e32 v26, 8, v8
	s_delay_alu instid0(VALU_DEP_2) | instskip(NEXT) | instid1(VALU_DEP_3)
	v_lshl_add_u32 v27, v29, 10, 0x2000
	v_lshlrev_b32_e32 v24, 7, v24
	s_delay_alu instid0(VALU_DEP_3) | instskip(NEXT) | instid1(VALU_DEP_3)
	v_and_b32_e32 v26, 0x8000, v26
	v_and_b32_e32 v27, 0xfc00, v27
	s_delay_alu instid0(VALU_DEP_1)
	v_or3_b32 v29, v26, v27, v24
.LBB272_1007:                           ;   in Loop: Header=BB272_9 Depth=1
	s_or_b32 exec_lo, exec_lo, s19
.LBB272_1008:                           ;   in Loop: Header=BB272_9 Depth=1
	s_delay_alu instid0(SALU_CYCLE_1)
	s_or_b32 exec_lo, exec_lo, s18
.LBB272_1009:                           ;   in Loop: Header=BB272_9 Depth=1
	s_delay_alu instid0(SALU_CYCLE_1) | instskip(SKIP_2) | instid1(VALU_DEP_1)
	s_or_b32 exec_lo, exec_lo, s17
	v_lshrrev_b16 v24, 8, v8
	s_mov_b32 s17, exec_lo
	v_cmpx_ne_u16_e32 0, v24
	s_cbranch_execz .LBB272_1017
; %bb.1010:                             ;   in Loop: Header=BB272_9 Depth=1
	v_bfrev_b32_e32 v28, 1
	s_mov_b32 s18, exec_lo
	v_cmpx_ne_u16_e32 0x80, v24
	s_cbranch_execz .LBB272_1016
; %bb.1011:                             ;   in Loop: Header=BB272_9 Depth=1
	v_and_b32_e32 v37, 0xffff, v24
	v_mov_b32_e32 v28, 0x7c010000
	s_mov_b32 s19, exec_lo
	s_delay_alu instid0(VALU_DEP_2) | instskip(NEXT) | instid1(VALU_DEP_1)
	v_and_b32_e32 v77, 0x7f, v37
	v_cmpx_ne_u32_e32 0x7f, v77
	s_cbranch_execz .LBB272_1015
; %bb.1012:                             ;   in Loop: Header=BB272_9 Depth=1
	v_and_b32_e32 v28, 7, v37
	v_lshrrev_b32_e32 v97, 3, v77
	s_mov_b32 s20, exec_lo
	v_cmpx_gt_u32_e32 8, v77
; %bb.1013:                             ;   in Loop: Header=BB272_9 Depth=1
	s_delay_alu instid0(VALU_DEP_3) | instskip(NEXT) | instid1(VALU_DEP_1)
	v_clz_i32_u32_e32 v26, v28
	v_min_u32_e32 v28, 32, v26
	s_delay_alu instid0(VALU_DEP_1) | instskip(NEXT) | instid1(VALU_DEP_1)
	v_subrev_nc_u32_e32 v26, 28, v28
	v_lshlrev_b64_e32 v[26:27], v26, v[24:25]
	s_delay_alu instid0(VALU_DEP_1)
	v_dual_sub_nc_u32 v97, 29, v28 :: v_dual_bitop2_b32 v28, 7, v26 bitop3:0x40
; %bb.1014:                             ;   in Loop: Header=BB272_9 Depth=1
	s_or_b32 exec_lo, exec_lo, s20
	v_lshlrev_b32_e32 v24, 8, v37
	s_delay_alu instid0(VALU_DEP_2) | instskip(NEXT) | instid1(VALU_DEP_1)
	v_lshl_add_u32 v26, v97, 10, 0x2000
	v_and_or_b32 v24, 0x8000, v24, v26
	v_lshlrev_b32_e32 v26, 23, v28
	s_delay_alu instid0(VALU_DEP_1)
	v_lshl_or_b32 v28, v24, 16, v26
.LBB272_1015:                           ;   in Loop: Header=BB272_9 Depth=1
	s_or_b32 exec_lo, exec_lo, s19
.LBB272_1016:                           ;   in Loop: Header=BB272_9 Depth=1
	s_delay_alu instid0(SALU_CYCLE_1)
	s_or_b32 exec_lo, exec_lo, s18
.LBB272_1017:                           ;   in Loop: Header=BB272_9 Depth=1
	s_delay_alu instid0(SALU_CYCLE_1) | instskip(SKIP_3) | instid1(VALU_DEP_2)
	s_or_b32 exec_lo, exec_lo, s17
	v_dual_mov_b32 v37, 0 :: v_dual_lshrrev_b32 v24, 16, v8
	v_mov_b32_e32 v77, 0
	s_mov_b32 s17, exec_lo
	v_and_b32_e32 v97, 0xff, v24
	s_delay_alu instid0(VALU_DEP_1)
	v_cmpx_ne_u16_e32 0, v97
	s_cbranch_execz .LBB272_1025
; %bb.1018:                             ;   in Loop: Header=BB272_9 Depth=1
	v_mov_b32_e32 v77, 0x8000
	s_mov_b32 s18, exec_lo
	v_cmpx_ne_u16_e32 0x80, v97
	s_cbranch_execz .LBB272_1024
; %bb.1019:                             ;   in Loop: Header=BB272_9 Depth=1
	v_mov_b32_e32 v101, v99
	v_bfe_u32 v99, v8, 16, 7
	v_mov_b32_e32 v77, 0x7c01
	s_mov_b32 s19, exec_lo
	s_delay_alu instid0(VALU_DEP_2)
	v_cmpx_ne_u32_e32 0x7f, v99
	s_cbranch_execz .LBB272_1023
; %bb.1020:                             ;   in Loop: Header=BB272_9 Depth=1
	v_dual_lshrrev_b32 v97, 3, v99 :: v_dual_bitop2_b32 v77, 7, v24 bitop3:0x40
	s_mov_b32 s20, exec_lo
	v_cmpx_gt_u32_e32 8, v99
; %bb.1021:                             ;   in Loop: Header=BB272_9 Depth=1
	s_delay_alu instid0(VALU_DEP_2) | instskip(NEXT) | instid1(VALU_DEP_1)
	v_clz_i32_u32_e32 v26, v77
	v_min_u32_e32 v97, 32, v26
	s_delay_alu instid0(VALU_DEP_1) | instskip(NEXT) | instid1(VALU_DEP_1)
	v_subrev_nc_u32_e32 v26, 28, v97
	v_lshlrev_b64_e32 v[26:27], v26, v[24:25]
	s_delay_alu instid0(VALU_DEP_1)
	v_dual_sub_nc_u32 v97, 29, v97 :: v_dual_bitop2_b32 v77, 7, v26 bitop3:0x40
; %bb.1022:                             ;   in Loop: Header=BB272_9 Depth=1
	s_or_b32 exec_lo, exec_lo, s20
	s_delay_alu instid0(VALU_DEP_1) | instskip(NEXT) | instid1(VALU_DEP_2)
	v_dual_lshlrev_b32 v24, 8, v24 :: v_dual_lshlrev_b32 v27, 7, v77
	v_lshl_add_u32 v26, v97, 10, 0x2000
	s_delay_alu instid0(VALU_DEP_2) | instskip(NEXT) | instid1(VALU_DEP_2)
	v_and_b32_e32 v24, 0x8000, v24
	v_and_b32_e32 v26, 0xfc00, v26
	s_delay_alu instid0(VALU_DEP_1)
	v_or3_b32 v77, v24, v26, v27
.LBB272_1023:                           ;   in Loop: Header=BB272_9 Depth=1
	s_or_b32 exec_lo, exec_lo, s19
	v_mov_b32_e32 v99, v101
.LBB272_1024:                           ;   in Loop: Header=BB272_9 Depth=1
	s_or_b32 exec_lo, exec_lo, s18
.LBB272_1025:                           ;   in Loop: Header=BB272_9 Depth=1
	s_delay_alu instid0(SALU_CYCLE_1) | instskip(NEXT) | instid1(SALU_CYCLE_1)
	s_or_b32 exec_lo, exec_lo, s17
	s_mov_b32 s17, exec_lo
	v_cmpx_lt_u32_e32 0xffffff, v8
	s_cbranch_execz .LBB272_1033
; %bb.1026:                             ;   in Loop: Header=BB272_9 Depth=1
	v_lshrrev_b32_e32 v24, 24, v8
	v_bfrev_b32_e32 v37, 1
	s_mov_b32 s18, exec_lo
	s_delay_alu instid0(VALU_DEP_2)
	v_cmpx_ne_u32_e32 0x80, v24
	s_cbranch_execz .LBB272_1032
; %bb.1027:                             ;   in Loop: Header=BB272_9 Depth=1
	v_and_b32_e32 v97, 0x7f, v24
	v_mov_b32_e32 v37, 0x7c010000
	s_mov_b32 s19, exec_lo
	s_delay_alu instid0(VALU_DEP_2)
	v_cmpx_ne_u32_e32 0x7f, v97
	s_cbranch_execz .LBB272_1031
; %bb.1028:                             ;   in Loop: Header=BB272_9 Depth=1
	v_dual_lshrrev_b32 v37, 3, v97 :: v_dual_bitop2_b32 v8, 7, v24 bitop3:0x40
	s_mov_b32 s20, exec_lo
	v_cmpx_gt_u32_e32 8, v97
; %bb.1029:                             ;   in Loop: Header=BB272_9 Depth=1
	s_delay_alu instid0(VALU_DEP_2) | instskip(NEXT) | instid1(VALU_DEP_1)
	v_clz_i32_u32_e32 v8, v8
	v_min_u32_e32 v8, 32, v8
	s_delay_alu instid0(VALU_DEP_1) | instskip(NEXT) | instid1(VALU_DEP_1)
	v_subrev_nc_u32_e32 v26, 28, v8
	v_lshlrev_b64_e32 v[26:27], v26, v[24:25]
	s_delay_alu instid0(VALU_DEP_1)
	v_dual_sub_nc_u32 v37, 29, v8 :: v_dual_bitop2_b32 v8, 7, v26 bitop3:0x40
; %bb.1030:                             ;   in Loop: Header=BB272_9 Depth=1
	s_or_b32 exec_lo, exec_lo, s20
	v_lshlrev_b32_e32 v24, 8, v24
	s_delay_alu instid0(VALU_DEP_2) | instskip(NEXT) | instid1(VALU_DEP_3)
	v_lshl_add_u32 v26, v37, 10, 0x2000
	v_lshlrev_b32_e32 v8, 23, v8
	s_delay_alu instid0(VALU_DEP_2) | instskip(NEXT) | instid1(VALU_DEP_1)
	v_and_or_b32 v24, 0x8000, v24, v26
	v_lshl_or_b32 v37, v24, 16, v8
.LBB272_1031:                           ;   in Loop: Header=BB272_9 Depth=1
	s_or_b32 exec_lo, exec_lo, s19
.LBB272_1032:                           ;   in Loop: Header=BB272_9 Depth=1
	s_delay_alu instid0(SALU_CYCLE_1)
	s_or_b32 exec_lo, exec_lo, s18
.LBB272_1033:                           ;   in Loop: Header=BB272_9 Depth=1
	s_delay_alu instid0(SALU_CYCLE_1)
	s_or_b32 exec_lo, exec_lo, s17
	v_or_b32_e32 v8, v90, v83
	v_fma_mixlo_f16 v24, v36, v90, 0 op_sel:[0,1,0] op_sel_hi:[0,1,0]
	v_or_b32_e32 v20, v13, v20
	v_or_b32_e32 v26, v65, v67
	;; [unrolled: 1-line block ×3, first 2 shown]
	v_fma_mixlo_f16 v8, v36, v8, 0 op_sel_hi:[0,1,0]
	v_or_b32_e32 v14, v11, v14
	v_fma_mixlo_f16 v13, v36, v13, 0 op_sel:[0,1,0] op_sel_hi:[0,1,0]
	scratch_store_b32 off, v8, s32 offset:284 ; 4-byte Folded Spill
	s_wait_xcnt 0x0
	v_or_b32_e32 v8, v85, v87
	v_and_b32_e32 v13, 0xffff, v13
	s_delay_alu instid0(VALU_DEP_2)
	v_fma_mixlo_f16 v8, v36, v8, 0 op_sel_hi:[0,1,0]
	scratch_store_b32 off, v8, s32 offset:276 ; 4-byte Folded Spill
	s_wait_xcnt 0x0
	v_fma_mixlo_f16 v8, v36, v85, 0 op_sel:[0,1,0] op_sel_hi:[0,1,0]
	scratch_store_b32 off, v24, s32 offset:280 ; 4-byte Folded Spill
	s_wait_xcnt 0x0
	v_fma_mixlo_f16 v24, v36, v39, 0 op_sel:[0,1,0] op_sel_hi:[0,1,0]
	v_fma_mixlo_f16 v85, v36, v70, 0 op_sel:[0,1,0] op_sel_hi:[0,1,0]
	scratch_store_b32 off, v8, s32 offset:272 ; 4-byte Folded Spill
	s_wait_xcnt 0x0
	v_or_b32_e32 v8, v39, v74
	v_fma_mixlo_f16 v39, v36, v49, 0 op_sel:[0,1,0] op_sel_hi:[0,1,0]
	v_fma_mixlo_f16 v74, v36, v99, 0 op_sel:[0,1,0] op_sel_hi:[0,1,0]
	s_delay_alu instid0(VALU_DEP_3) | instskip(NEXT) | instid1(VALU_DEP_3)
	v_fma_mixlo_f16 v8, v36, v8, 0 op_sel_hi:[0,1,0]
	v_and_b32_e32 v39, 0xffff, v39
	scratch_store_b32 off, v8, s32 offset:300 ; 4-byte Folded Spill
	s_wait_xcnt 0x0
	v_or_b32_e32 v8, v78, v88
	v_fma_mixlo_f16 v88, v36, v91, 0 op_sel:[0,1,0] op_sel_hi:[0,1,0]
	s_delay_alu instid0(VALU_DEP_2)
	v_fma_mixlo_f16 v8, v36, v8, 0 op_sel_hi:[0,1,0]
	scratch_store_b32 off, v8, s32 offset:292 ; 4-byte Folded Spill
	s_wait_xcnt 0x0
	v_fma_mixlo_f16 v8, v36, v78, 0 op_sel:[0,1,0] op_sel_hi:[0,1,0]
	scratch_store_b32 off, v24, s32 offset:296 ; 4-byte Folded Spill
	s_wait_xcnt 0x0
	v_fma_mixlo_f16 v24, v36, v34, 0 op_sel:[0,1,0] op_sel_hi:[0,1,0]
	scratch_store_b32 off, v8, s32 offset:288 ; 4-byte Folded Spill
	s_wait_xcnt 0x0
	v_or_b32_e32 v8, v34, v61
	s_delay_alu instid0(VALU_DEP_1) | instskip(SKIP_3) | instid1(VALU_DEP_1)
	v_fma_mixlo_f16 v8, v36, v8, 0 op_sel_hi:[0,1,0]
	scratch_store_b32 off, v8, s32 offset:316 ; 4-byte Folded Spill
	s_wait_xcnt 0x0
	v_or_b32_e32 v8, v72, v73
	v_fma_mixlo_f16 v8, v36, v8, 0 op_sel_hi:[0,1,0]
	scratch_store_b32 off, v8, s32 offset:308 ; 4-byte Folded Spill
	s_wait_xcnt 0x0
	v_fma_mixlo_f16 v8, v36, v72, 0 op_sel:[0,1,0] op_sel_hi:[0,1,0]
	scratch_store_b32 off, v24, s32 offset:312 ; 4-byte Folded Spill
	s_wait_xcnt 0x0
	v_fma_mixlo_f16 v24, v36, v94, 0 op_sel:[0,1,0] op_sel_hi:[0,1,0]
	v_fma_mixlo_f16 v72, v36, v66, 0 op_sel:[0,1,0] op_sel_hi:[0,1,0]
	scratch_store_b32 off, v8, s32 offset:304 ; 4-byte Folded Spill
	s_wait_xcnt 0x0
	v_or_b32_e32 v8, v94, v105
	v_fma_mixlo_f16 v94, v36, v0, 0 op_sel:[0,1,0] op_sel_hi:[0,1,0]
	s_delay_alu instid0(VALU_DEP_2) | instskip(SKIP_1) | instid1(VALU_DEP_1)
	v_fma_mixlo_f16 v105, v36, v8, 0 op_sel_hi:[0,1,0]
	v_or_b32_e32 v8, v108, v111
	v_fma_mixlo_f16 v8, v36, v8, 0 op_sel_hi:[0,1,0]
	scratch_store_b32 off, v8, s32 offset:324 ; 4-byte Folded Spill
	s_wait_xcnt 0x0
	v_fma_mixlo_f16 v8, v36, v108, 0 op_sel:[0,1,0] op_sel_hi:[0,1,0]
	scratch_store_b32 off, v24, s32 offset:328 ; 4-byte Folded Spill
	s_wait_xcnt 0x0
	v_or_b32_e32 v24, v106, v107
	v_fma_mixlo_f16 v108, v36, v106, 0 op_sel:[0,1,0] op_sel_hi:[0,1,0]
	v_fma_mixlo_f16 v106, v36, v124, 0 op_sel:[0,1,0] op_sel_hi:[0,1,0]
	scratch_store_b32 off, v8, s32 offset:320 ; 4-byte Folded Spill
	v_fma_mixlo_f16 v111, v36, v24, 0 op_sel_hi:[0,1,0]
	v_or_b32_e32 v24, v124, v125
	v_fma_mixlo_f16 v124, v36, v120, 0 op_sel:[0,1,0] op_sel_hi:[0,1,0]
	s_delay_alu instid0(VALU_DEP_2) | instskip(SKIP_2) | instid1(VALU_DEP_2)
	v_fma_mixlo_f16 v107, v36, v24, 0 op_sel_hi:[0,1,0]
	v_or_b32_e32 v24, v120, v121
	v_fma_mixlo_f16 v120, v36, v126, 0 op_sel:[0,1,0] op_sel_hi:[0,1,0]
	v_fma_mixlo_f16 v125, v36, v24, 0 op_sel_hi:[0,1,0]
	v_or_b32_e32 v24, v126, v127
	v_fma_mixlo_f16 v126, v36, v10, 0 op_sel:[0,1,0] op_sel_hi:[0,1,0]
	s_delay_alu instid0(VALU_DEP_2)
	v_fma_mixlo_f16 v121, v36, v24, 0 op_sel_hi:[0,1,0]
	v_or_b32_e32 v24, v0, v1
	scratch_load_b32 v0, off, s32 offset:244 th:TH_LOAD_LU ; 4-byte Folded Reload
	s_wait_xcnt 0x1
	v_fma_mixlo_f16 v8, v36, v24, 0 op_sel_hi:[0,1,0]
	v_or_b32_e32 v24, v10, v81
	v_or_b32_e32 v10, v2, v3
	v_fma_mixlo_f16 v3, v36, v2, 0 op_sel:[0,1,0] op_sel_hi:[0,1,0]
	v_or_b32_e32 v2, v31, v53
	v_fma_mixlo_f16 v53, v36, v31, 0 op_sel:[0,1,0] op_sel_hi:[0,1,0]
	v_fma_mixlo_f16 v127, v36, v24, 0 op_sel_hi:[0,1,0]
	v_or_b32_e32 v24, v6, v7
	v_fma_mixlo_f16 v7, v36, v6, 0 op_sel:[0,1,0] op_sel_hi:[0,1,0]
	v_or_b32_e32 v6, v15, v19
	v_or_b32_e32 v19, v4, v5
	v_fma_mixlo_f16 v5, v36, v4, 0 op_sel:[0,1,0] op_sel_hi:[0,1,0]
	v_or_b32_e32 v4, v9, v55
	v_fma_mixlo_f16 v55, v36, v20, 0 op_sel_hi:[0,1,0]
	v_or_b32_e32 v20, v21, v71
	v_fma_mixlo_f16 v71, v36, v26, 0 op_sel_hi:[0,1,0]
	v_or_b32_e32 v26, v59, v60
	v_fma_mixlo_f16 v31, v36, v24, 0 op_sel_hi:[0,1,0]
	v_fma_mixlo_f16 v24, v36, v65, 0 op_sel:[0,1,0] op_sel_hi:[0,1,0]
	v_fma_mixlo_f16 v65, v36, v59, 0 op_sel:[0,1,0] op_sel_hi:[0,1,0]
	;; [unrolled: 1-line block ×3, first 2 shown]
	v_fma_mixlo_f16 v67, v36, v26, 0 op_sel_hi:[0,1,0]
	v_or_b32_e32 v26, v38, v48
	v_fma_mixlo_f16 v10, v36, v10, 0 op_sel_hi:[0,1,0]
	v_fma_mixlo_f16 v2, v36, v2, 0 op_sel_hi:[0,1,0]
	;; [unrolled: 1-line block ×3, first 2 shown]
	v_fma_mixlo_f16 v15, v36, v15, 0 op_sel:[0,1,0] op_sel_hi:[0,1,0]
	v_fma_mixlo_f16 v60, v36, v26, 0 op_sel_hi:[0,1,0]
	v_or_b32_e32 v26, v69, v58
	v_fma_mixlo_f16 v19, v36, v19, 0 op_sel_hi:[0,1,0]
	v_fma_mixlo_f16 v4, v36, v4, 0 op_sel_hi:[0,1,0]
	v_fma_mixlo_f16 v9, v36, v9, 0 op_sel:[0,1,0] op_sel_hi:[0,1,0]
	v_fma_mixlo_f16 v20, v36, v20, 0 op_sel_hi:[0,1,0]
	v_fma_mixlo_f16 v58, v36, v26, 0 op_sel_hi:[0,1,0]
	v_or_b32_e32 v26, v51, v30
	v_fma_mixlo_f16 v30, v36, v18, 0 op_sel_hi:[0,1,0]
	v_fma_mixlo_f16 v18, v36, v54, 0 op_sel:[0,1,0] op_sel_hi:[0,1,0]
	v_fma_mixlo_f16 v54, v36, v14, 0 op_sel_hi:[0,1,0]
	v_or_b32_e32 v14, v50, v17
	v_fma_mixlo_f16 v38, v36, v26, 0 op_sel_hi:[0,1,0]
	v_or_b32_e32 v26, v52, v16
	v_or_b32_e32 v17, v95, v104
	v_fma_mixlo_f16 v16, v36, v52, 0 op_sel:[0,1,0] op_sel_hi:[0,1,0]
	v_fma_mixlo_f16 v52, v36, v11, 0 op_sel:[0,1,0] op_sel_hi:[0,1,0]
	v_or_b32_e32 v11, v122, v123
	v_fma_mixlo_f16 v81, v36, v26, 0 op_sel_hi:[0,1,0]
	v_or_b32_e32 v26, v109, v110
	v_fma_mixlo_f16 v123, v36, v122, 0 op_sel:[0,1,0] op_sel_hi:[0,1,0]
	v_fma_mixlo_f16 v122, v36, v14, 0 op_sel_hi:[0,1,0]
	v_fma_mixlo_f16 v14, v36, v95, 0 op_sel:[0,1,0] op_sel_hi:[0,1,0]
	v_fma_mixlo_f16 v95, v36, v109, 0 op_sel:[0,1,0] op_sel_hi:[0,1,0]
	v_fma_mixlo_f16 v104, v36, v26, 0 op_sel_hi:[0,1,0]
	v_or_b32_e32 v26, v79, v89
	v_fma_mixlo_f16 v109, v36, v79, 0 op_sel:[0,1,0] op_sel_hi:[0,1,0]
	v_fma_mixlo_f16 v79, v36, v92, 0 op_sel:[0,1,0] op_sel_hi:[0,1,0]
	;; [unrolled: 1-line block ×4, first 2 shown]
	v_fma_mixlo_f16 v110, v36, v26, 0 op_sel_hi:[0,1,0]
	v_or_b32_e32 v26, v92, v93
	v_fma_mixlo_f16 v92, v36, v62, 0 op_sel:[0,1,0] op_sel_hi:[0,1,0]
	v_fma_mixlo_f16 v51, v36, v51, 0 op_sel:[0,1,0] op_sel_hi:[0,1,0]
	v_fma_mixlo_f16 v11, v36, v11, 0 op_sel_hi:[0,1,0]
	v_fma_mixlo_f16 v50, v36, v50, 0 op_sel:[0,1,0] op_sel_hi:[0,1,0]
	v_fma_mixlo_f16 v89, v36, v26, 0 op_sel_hi:[0,1,0]
	v_or_b32_e32 v26, v62, v63
	v_fma_mixlo_f16 v62, v36, v75, 0 op_sel:[0,1,0] op_sel_hi:[0,1,0]
	v_fma_mixlo_f16 v17, v36, v17, 0 op_sel_hi:[0,1,0]
	v_fma_mixlo_f16 v48, v36, v33, 0 op_sel:[0,1,0] op_sel_hi:[0,1,0]
	v_and_b32_e32 v14, 0xffff, v14
	v_fma_mixlo_f16 v93, v36, v26, 0 op_sel_hi:[0,1,0]
	v_or_b32_e32 v26, v75, v76
	v_fma_mixlo_f16 v75, v36, v46, 0 op_sel:[0,1,0] op_sel_hi:[0,1,0]
	v_and_b32_e32 v17, 0xffff, v17
	v_and_b32_e32 v11, 0xffff, v11
	v_and_b32_e32 v16, 0xffff, v16
	v_fma_mixlo_f16 v63, v36, v26, 0 op_sel_hi:[0,1,0]
	v_or_b32_e32 v26, v46, v47
	v_fma_mixlo_f16 v46, v36, v56, 0 op_sel:[0,1,0] op_sel_hi:[0,1,0]
	v_and_b32_e32 v5, 0xffff, v5
	v_and_b32_e32 v4, 0xffff, v4
	;; [unrolled: 6-line block ×3, first 2 shown]
	v_and_b32_e32 v2, 0xffff, v2
	v_fma_mixlo_f16 v47, v36, v26, 0 op_sel_hi:[0,1,0]
	v_or_b32_e32 v26, v42, v43
	v_fma_mixlo_f16 v42, v36, v44, 0 op_sel:[0,1,0] op_sel_hi:[0,1,0]
	s_delay_alu instid0(VALU_DEP_2) | instskip(SKIP_2) | instid1(VALU_DEP_2)
	v_fma_mixlo_f16 v57, v36, v26, 0 op_sel_hi:[0,1,0]
	v_or_b32_e32 v26, v44, v45
	v_fma_mixlo_f16 v44, v36, v118, 0 op_sel:[0,1,0] op_sel_hi:[0,1,0]
	v_fma_mixlo_f16 v43, v36, v26, 0 op_sel_hi:[0,1,0]
	v_or_b32_e32 v26, v118, v119
	v_fma_mixlo_f16 v118, v36, v40, 0 op_sel:[0,1,0] op_sel_hi:[0,1,0]
	s_delay_alu instid0(VALU_DEP_2) | instskip(SKIP_2) | instid1(VALU_DEP_2)
	v_fma_mixlo_f16 v45, v36, v26, 0 op_sel_hi:[0,1,0]
	v_or_b32_e32 v26, v40, v41
	v_fma_mixlo_f16 v40, v36, v114, 0 op_sel:[0,1,0] op_sel_hi:[0,1,0]
	;; [unrolled: 7-line block ×4, first 2 shown]
	v_fma_mixlo_f16 v103, v36, v26, 0 op_sel_hi:[0,1,0]
	s_wait_loadcnt 0x0
	v_or_b32_e32 v26, v98, v0
	scratch_load_b32 v0, off, s32 offset:248 th:TH_LOAD_LU ; 4-byte Folded Reload
	v_fma_mixlo_f16 v98, v36, v100, 0 op_sel:[0,1,0] op_sel_hi:[0,1,0]
	v_fma_mixlo_f16 v113, v36, v26, 0 op_sel_hi:[0,1,0]
	s_wait_loadcnt 0x0
	v_or_b32_e32 v26, v100, v0
	scratch_load_b32 v0, off, s32 offset:236 th:TH_LOAD_LU ; 4-byte Folded Reload
	v_fma_mixlo_f16 v100, v36, v86, 0 op_sel:[0,1,0] op_sel_hi:[0,1,0]
	;; [unrolled: 5-line block ×5, first 2 shown]
	v_fma_mixlo_f16 v97, v36, v26, 0 op_sel_hi:[0,1,0]
	s_wait_loadcnt 0x0
	v_or_b32_e32 v26, v84, v0
	scratch_load_b32 v0, off, s32 offset:220 th:TH_LOAD_LU ; 4-byte Folded Reload
	v_fma_mixlo_f16 v83, v36, v26, 0 op_sel_hi:[0,1,0]
	s_wait_loadcnt 0x0
	v_or_b32_e32 v26, v70, v0
	scratch_load_b32 v0, off, s32 offset:224 th:TH_LOAD_LU ; 4-byte Folded Reload
	v_fma_mixlo_f16 v70, v36, v80, 0 op_sel:[0,1,0] op_sel_hi:[0,1,0]
	v_fma_mixlo_f16 v61, v36, v26, 0 op_sel_hi:[0,1,0]
	s_wait_loadcnt 0x0
	v_or_b32_e32 v26, v80, v0
	scratch_load_b32 v0, off, s32 offset:212 th:TH_LOAD_LU ; 4-byte Folded Reload
	v_fma_mixlo_f16 v80, v36, v68, 0 op_sel:[0,1,0] op_sel_hi:[0,1,0]
	v_fma_mixlo_f16 v84, v36, v26, 0 op_sel_hi:[0,1,0]
	s_wait_loadcnt 0x0
	v_or_b32_e32 v26, v66, v0
	scratch_load_b32 v0, off, s32 offset:216 th:TH_LOAD_LU ; 4-byte Folded Reload
	v_fma_mixlo_f16 v73, v36, v26, 0 op_sel_hi:[0,1,0]
	s_wait_loadcnt 0x0
	v_or_b32_e32 v26, v68, v0
	scratch_load_b32 v0, off, s32 offset:204 th:TH_LOAD_LU ; 4-byte Folded Reload
	;; [unrolled: 4-line block ×5, first 2 shown]
	v_fma_mixlo_f16 v90, v36, v26, 0 op_sel_hi:[0,1,0]
	s_wait_loadcnt 0x0
	v_or_b32_e32 v26, v99, v0
	v_fma_mixlo_f16 v99, v36, v28, 0 op_sel:[0,1,0] op_sel_hi:[0,1,0]
	s_delay_alu instid0(VALU_DEP_2) | instskip(SKIP_1) | instid1(VALU_DEP_1)
	v_fma_mixlo_f16 v78, v36, v26, 0 op_sel_hi:[0,1,0]
	v_or_b32_e32 v26, v28, v29
	v_fma_mixlo_f16 v68, v36, v26, 0 op_sel_hi:[0,1,0]
	v_or_b32_e32 v26, v37, v77
	v_fma_mixlo_f16 v37, v36, v37, 0 op_sel:[0,1,0] op_sel_hi:[0,1,0]
	s_delay_alu instid0(VALU_DEP_2)
	v_fma_mixlo_f16 v77, v36, v26, 0 op_sel_hi:[0,1,0]
	ds_load_b64 v[26:27], v32
	s_wait_dscnt 0x0
	v_lshrrev_b32_e32 v28, 16, v26
	v_and_b32_e32 v26, 0xffff, v26
	;;#ASMSTART
	v_cvt_f32_f16 v29, v26;
	;;#ASMEND
	v_and_b32_e32 v26, 0xffff, v90
	;;#ASMSTART
	v_cvt_f32_f16 v28, v28;
	;;#ASMEND
	;;#ASMSTART
	v_cvt_f32_f16 v90, v26;
	;;#ASMEND
	v_and_b32_e32 v26, 0xffff, v88
	;;#ASMSTART
	v_cvt_f32_f16 v88, v26;
	;;#ASMEND
	v_lshrrev_b32_e32 v26, 16, v27
	v_and_b32_e32 v27, 0xffff, v27
	;;#ASMSTART
	v_cvt_f32_f16 v91, v27;
	;;#ASMEND
	;;#ASMSTART
	v_cvt_f32_f16 v0, v26;
	;;#ASMEND
	v_and_b32_e32 v26, 0xffff, v78
	;;#ASMSTART
	v_cvt_f32_f16 v78, v26;
	;;#ASMEND
	v_and_b32_e32 v26, 0xffff, v74
	;;#ASMSTART
	v_cvt_f32_f16 v74, v26;
	;;#ASMEND
	ds_load_b64 v[26:27], v32 offset:8
	s_wait_dscnt 0x0
	v_lshrrev_b32_e32 v36, 16, v26
	v_and_b32_e32 v26, 0xffff, v26
	;;#ASMSTART
	v_cvt_f32_f16 v26, v26;
	;;#ASMEND
	;;#ASMSTART
	v_cvt_f32_f16 v33, v36;
	;;#ASMEND
	v_and_b32_e32 v36, 0xffff, v66
	;;#ASMSTART
	v_cvt_f32_f16 v36, v36;
	;;#ASMEND
	;;#ASMSTART
	v_cvt_f32_f16 v39, v39;
	;;#ASMEND
	s_delay_alu instid0(VALU_DEP_1) | instskip(SKIP_3) | instid1(VALU_DEP_3)
	v_dual_mul_f32 v36, v26, v36 :: v_dual_mul_f32 v39, v33, v39
	v_lshrrev_b32_e32 v26, 16, v27
	v_and_b32_e32 v27, 0xffff, v27
	;;#ASMSTART
	v_cvt_f32_f16 v27, v27;
	;;#ASMEND
	v_dual_fmac_f32 v36, v29, v90 :: v_dual_fmac_f32 v39, v28, v88
	;;#ASMSTART
	v_cvt_f32_f16 v26, v26;
	;;#ASMEND
	v_and_b32_e32 v28, 0xffff, v49
	v_and_b32_e32 v29, 0xffff, v48
	;;#ASMSTART
	v_cvt_f32_f16 v28, v28;
	;;#ASMEND
	;;#ASMSTART
	v_cvt_f32_f16 v29, v29;
	;;#ASMEND
	s_delay_alu instid0(VALU_DEP_1)
	v_dual_mul_f32 v48, v27, v28 :: v_dual_mul_f32 v49, v26, v29
	ds_load_b64 v[26:27], v32 offset:16
	v_and_b32_e32 v28, 0xffff, v73
	v_and_b32_e32 v29, 0xffff, v72
	v_fmac_f32_e32 v48, v91, v78
	v_fmac_f32_e32 v49, v0, v74
	s_wait_dscnt 0x0
	v_lshrrev_b32_e32 v0, 16, v26
	v_and_b32_e32 v26, 0xffff, v26
	;;#ASMSTART
	v_cvt_f32_f16 v26, v26;
	;;#ASMEND
	;;#ASMSTART
	v_cvt_f32_f16 v0, v0;
	;;#ASMEND
	;;#ASMSTART
	v_cvt_f32_f16 v28, v28;
	;;#ASMEND
	;;#ASMSTART
	v_cvt_f32_f16 v29, v29;
	;;#ASMEND
	v_dual_fmac_f32 v36, v26, v28 :: v_dual_fmac_f32 v39, v0, v29
	v_lshrrev_b32_e32 v0, 16, v27
	v_and_b32_e32 v26, 0xffff, v27
	v_and_b32_e32 v27, 0xffff, v34
	;;#ASMSTART
	v_cvt_f32_f16 v26, v26;
	;;#ASMEND
	;;#ASMSTART
	v_cvt_f32_f16 v0, v0;
	;;#ASMEND
	;;#ASMSTART
	v_cvt_f32_f16 v27, v27;
	;;#ASMEND
	v_and_b32_e32 v28, 0xffff, v80
	;;#ASMSTART
	v_cvt_f32_f16 v28, v28;
	;;#ASMEND
	v_fmac_f32_e32 v48, v26, v27
	ds_load_b64 v[26:27], v32 offset:24
	v_fmac_f32_e32 v49, v0, v28
	v_and_b32_e32 v28, 0xffff, v61
	v_and_b32_e32 v29, 0xffff, v85
	s_wait_dscnt 0x0
	v_lshrrev_b32_e32 v0, 16, v26
	v_and_b32_e32 v26, 0xffff, v26
	;;#ASMSTART
	v_cvt_f32_f16 v26, v26;
	;;#ASMEND
	;;#ASMSTART
	v_cvt_f32_f16 v0, v0;
	;;#ASMEND
	;;#ASMSTART
	v_cvt_f32_f16 v28, v28;
	;;#ASMEND
	;;#ASMSTART
	v_cvt_f32_f16 v29, v29;
	;;#ASMEND
	v_dual_fmac_f32 v36, v26, v28 :: v_dual_fmac_f32 v39, v0, v29
	v_lshrrev_b32_e32 v0, 16, v27
	v_and_b32_e32 v26, 0xffff, v27
	v_and_b32_e32 v27, 0xffff, v84
	;;#ASMSTART
	v_cvt_f32_f16 v26, v26;
	;;#ASMEND
	;;#ASMSTART
	v_cvt_f32_f16 v0, v0;
	;;#ASMEND
	;;#ASMSTART
	v_cvt_f32_f16 v27, v27;
	;;#ASMEND
	v_and_b32_e32 v28, 0xffff, v70
	;;#ASMSTART
	v_cvt_f32_f16 v28, v28;
	;;#ASMEND
	v_fmac_f32_e32 v48, v26, v27
	ds_load_b64 v[26:27], v32 offset:32
	v_fmac_f32_e32 v49, v0, v28
	v_and_b32_e32 v28, 0xffff, v97
	v_and_b32_e32 v29, 0xffff, v96
	;; [unrolled: 37-line block ×5, first 2 shown]
	v_and_b32_e32 v1, 0xffff, v8
	s_wait_dscnt 0x0
	v_lshrrev_b32_e32 v0, 16, v26
	v_and_b32_e32 v26, 0xffff, v26
	;;#ASMSTART
	v_cvt_f32_f16 v26, v26;
	;;#ASMEND
	;;#ASMSTART
	v_cvt_f32_f16 v0, v0;
	;;#ASMEND
	;;#ASMSTART
	v_cvt_f32_f16 v28, v28;
	;;#ASMEND
	;;#ASMSTART
	v_cvt_f32_f16 v29, v29;
	;;#ASMEND
	v_dual_fmac_f32 v36, v26, v28 :: v_dual_fmac_f32 v39, v0, v29
	v_lshrrev_b32_e32 v0, 16, v27
	v_and_b32_e32 v26, 0xffff, v27
	v_and_b32_e32 v27, 0xffff, v103
	;;#ASMSTART
	v_cvt_f32_f16 v26, v26;
	;;#ASMEND
	;;#ASMSTART
	v_cvt_f32_f16 v0, v0;
	;;#ASMEND
	;;#ASMSTART
	v_cvt_f32_f16 v27, v27;
	;;#ASMEND
	v_and_b32_e32 v28, 0xffff, v102
	;;#ASMSTART
	v_cvt_f32_f16 v28, v28;
	;;#ASMEND
	v_fmac_f32_e32 v48, v26, v27
	ds_load_b64 v[26:27], v32 offset:64
	v_fmac_f32_e32 v49, v0, v28
	v_and_b32_e32 v28, 0xffff, v41
	v_and_b32_e32 v29, 0xffff, v40
	s_wait_dscnt 0x0
	v_lshrrev_b32_e32 v0, 16, v26
	v_and_b32_e32 v26, 0xffff, v26
	;;#ASMSTART
	v_cvt_f32_f16 v26, v26;
	;;#ASMEND
	;;#ASMSTART
	v_cvt_f32_f16 v0, v0;
	;;#ASMEND
	;;#ASMSTART
	v_cvt_f32_f16 v28, v28;
	;;#ASMEND
	;;#ASMSTART
	v_cvt_f32_f16 v29, v29;
	;;#ASMEND
	v_dual_fmac_f32 v36, v26, v28 :: v_dual_fmac_f32 v39, v0, v29
	v_lshrrev_b32_e32 v0, 16, v27
	v_and_b32_e32 v26, 0xffff, v27
	v_and_b32_e32 v27, 0xffff, v115
	;;#ASMSTART
	v_cvt_f32_f16 v26, v26;
	;;#ASMEND
	;;#ASMSTART
	v_cvt_f32_f16 v0, v0;
	;;#ASMEND
	;;#ASMSTART
	v_cvt_f32_f16 v27, v27;
	;;#ASMEND
	v_and_b32_e32 v28, 0xffff, v114
	;;#ASMSTART
	v_cvt_f32_f16 v28, v28;
	;;#ASMEND
	v_fmac_f32_e32 v48, v26, v27
	ds_load_b64 v[26:27], v32 offset:72
	v_fmac_f32_e32 v49, v0, v28
	v_and_b32_e32 v28, 0xffff, v45
	;; [unrolled: 37-line block ×6, first 2 shown]
	v_and_b32_e32 v29, 0xffff, v109
	s_wait_dscnt 0x0
	v_lshrrev_b32_e32 v0, 16, v26
	v_and_b32_e32 v26, 0xffff, v26
	;;#ASMSTART
	v_cvt_f32_f16 v26, v26;
	;;#ASMEND
	;;#ASMSTART
	v_cvt_f32_f16 v0, v0;
	;;#ASMEND
	;; [unrolled: 3-line block ×4, first 2 shown]
	v_dual_fmac_f32 v36, v26, v28 :: v_dual_fmac_f32 v39, v0, v29
	v_lshrrev_b32_e32 v0, 16, v27
	v_and_b32_e32 v26, 0xffff, v27
	v_and_b32_e32 v27, 0xffff, v89
	;;#ASMSTART
	v_cvt_f32_f16 v26, v26;
	;;#ASMEND
	;;#ASMSTART
	v_cvt_f32_f16 v0, v0;
	;;#ASMEND
	;; [unrolled: 3-line block ×3, first 2 shown]
	v_and_b32_e32 v28, 0xffff, v79
	;;#ASMSTART
	v_cvt_f32_f16 v28, v28;
	;;#ASMEND
	v_fmac_f32_e32 v48, v26, v27
	ds_load_b64 v[26:27], v32 offset:112
	s_wait_dscnt 0x0
	v_dual_fmac_f32 v49, v0, v28 :: v_dual_lshrrev_b32 v0, 16, v26
	v_and_b32_e32 v26, 0xffff, v26
	;;#ASMSTART
	v_cvt_f32_f16 v26, v26;
	;;#ASMEND
	;;#ASMSTART
	v_cvt_f32_f16 v0, v0;
	;;#ASMEND
	;; [unrolled: 3-line block ×4, first 2 shown]
	v_dual_fmac_f32 v36, v26, v17 :: v_dual_fmac_f32 v39, v0, v14
	v_lshrrev_b32_e32 v0, 16, v27
	v_and_b32_e32 v14, 0xffff, v27
	v_and_b32_e32 v17, 0xffff, v104
	;; [unrolled: 1-line block ×3, first 2 shown]
	;;#ASMSTART
	v_cvt_f32_f16 v14, v14;
	;;#ASMEND
	;;#ASMSTART
	v_cvt_f32_f16 v0, v0;
	;;#ASMEND
	;; [unrolled: 3-line block ×4, first 2 shown]
	v_fmac_f32_e32 v49, v0, v26
	ds_load_b64 v[26:27], v32 offset:120
	v_fmac_f32_e32 v48, v14, v17
	v_and_b32_e32 v17, 0xffff, v123
	s_wait_dscnt 0x0
	v_lshrrev_b32_e32 v0, 16, v26
	v_and_b32_e32 v14, 0xffff, v26
	;;#ASMSTART
	v_cvt_f32_f16 v14, v14;
	;;#ASMEND
	;;#ASMSTART
	v_cvt_f32_f16 v0, v0;
	;;#ASMEND
	;; [unrolled: 3-line block ×4, first 2 shown]
	v_dual_fmac_f32 v36, v14, v11 :: v_dual_fmac_f32 v39, v0, v17
	v_lshrrev_b32_e32 v0, 16, v27
	v_and_b32_e32 v11, 0xffff, v27
	v_and_b32_e32 v14, 0xffff, v122
	;; [unrolled: 1-line block ×3, first 2 shown]
	;;#ASMSTART
	v_cvt_f32_f16 v11, v11;
	;;#ASMEND
	;;#ASMSTART
	v_cvt_f32_f16 v0, v0;
	;;#ASMEND
	;; [unrolled: 3-line block ×4, first 2 shown]
	ds_load_b64 v[26:27], v32 offset:128
	v_dual_fmac_f32 v49, v0, v17 :: v_dual_fmac_f32 v48, v11, v14
	v_and_b32_e32 v14, 0xffff, v81
	s_wait_dscnt 0x0
	v_lshrrev_b32_e32 v0, 16, v26
	v_and_b32_e32 v11, 0xffff, v26
	;;#ASMSTART
	v_cvt_f32_f16 v11, v11;
	;;#ASMEND
	;;#ASMSTART
	v_cvt_f32_f16 v0, v0;
	;;#ASMEND
	;; [unrolled: 3-line block ×4, first 2 shown]
	v_dual_fmac_f32 v36, v11, v14 :: v_dual_fmac_f32 v39, v0, v16
	v_lshrrev_b32_e32 v0, 16, v27
	v_and_b32_e32 v11, 0xffff, v27
	v_and_b32_e32 v14, 0xffff, v54
	;; [unrolled: 1-line block ×3, first 2 shown]
	;;#ASMSTART
	v_cvt_f32_f16 v11, v11;
	;;#ASMEND
	;;#ASMSTART
	v_cvt_f32_f16 v0, v0;
	;;#ASMEND
	;; [unrolled: 3-line block ×4, first 2 shown]
	v_fmac_f32_e32 v49, v0, v16
	ds_load_b64 v[16:17], v32 offset:136
	v_fmac_f32_e32 v48, v11, v14
	v_and_b32_e32 v14, 0xffff, v38
	s_wait_dscnt 0x0
	v_lshrrev_b32_e32 v0, 16, v16
	v_and_b32_e32 v11, 0xffff, v16
	v_and_b32_e32 v16, 0xffff, v51
	;;#ASMSTART
	v_cvt_f32_f16 v11, v11;
	;;#ASMEND
	;;#ASMSTART
	v_cvt_f32_f16 v0, v0;
	;;#ASMEND
	;; [unrolled: 3-line block ×4, first 2 shown]
	v_dual_fmac_f32 v36, v11, v14 :: v_dual_fmac_f32 v39, v0, v16
	v_lshrrev_b32_e32 v0, 16, v17
	v_and_b32_e32 v11, 0xffff, v17
	v_and_b32_e32 v14, 0xffff, v30
	v_and_b32_e32 v16, 0xffff, v18
	;;#ASMSTART
	v_cvt_f32_f16 v11, v11;
	;;#ASMEND
	;;#ASMSTART
	v_cvt_f32_f16 v0, v0;
	;;#ASMEND
	;; [unrolled: 3-line block ×4, first 2 shown]
	v_fmac_f32_e32 v49, v0, v16
	ds_load_b64 v[16:17], v32 offset:144
	v_fmac_f32_e32 v48, v11, v14
	v_and_b32_e32 v14, 0xffff, v60
	s_wait_dscnt 0x0
	v_lshrrev_b32_e32 v0, 16, v16
	v_and_b32_e32 v11, 0xffff, v16
	v_and_b32_e32 v16, 0xffff, v59
	;;#ASMSTART
	v_cvt_f32_f16 v11, v11;
	;;#ASMEND
	;;#ASMSTART
	v_cvt_f32_f16 v0, v0;
	;;#ASMEND
	;;#ASMSTART
	v_cvt_f32_f16 v14, v14;
	;;#ASMEND
	;;#ASMSTART
	v_cvt_f32_f16 v16, v16;
	;;#ASMEND
	v_dual_fmac_f32 v36, v11, v14 :: v_dual_fmac_f32 v39, v0, v16
	v_lshrrev_b32_e32 v0, 16, v17
	v_and_b32_e32 v11, 0xffff, v17
	v_and_b32_e32 v14, 0xffff, v58
	;; [unrolled: 1-line block ×3, first 2 shown]
	;;#ASMSTART
	v_cvt_f32_f16 v11, v11;
	;;#ASMEND
	;;#ASMSTART
	v_cvt_f32_f16 v0, v0;
	;;#ASMEND
	;; [unrolled: 3-line block ×4, first 2 shown]
	v_dual_fmac_f32 v48, v11, v14 :: v_dual_fmac_f32 v49, v0, v16
	ds_load_b64 v[16:17], v32 offset:152
	v_and_b32_e32 v14, 0xffff, v71
	s_wait_dscnt 0x0
	v_and_b32_e32 v11, 0xffff, v16
	;;#ASMSTART
	v_cvt_f32_f16 v11, v11;
	;;#ASMEND
	v_lshrrev_b32_e32 v0, 16, v16
	v_and_b32_e32 v16, 0xffff, v24
	;;#ASMSTART
	v_cvt_f32_f16 v0, v0;
	;;#ASMEND
	;;#ASMSTART
	v_cvt_f32_f16 v14, v14;
	;;#ASMEND
	;; [unrolled: 3-line block ×3, first 2 shown]
	s_delay_alu instid0(VALU_DEP_1)
	v_dual_fmac_f32 v36, v11, v14 :: v_dual_fmac_f32 v39, v0, v16
	v_lshrrev_b32_e32 v0, 16, v17
	v_and_b32_e32 v11, 0xffff, v17
	v_and_b32_e32 v14, 0xffff, v67
	;; [unrolled: 1-line block ×3, first 2 shown]
	;;#ASMSTART
	v_cvt_f32_f16 v11, v11;
	;;#ASMEND
	;;#ASMSTART
	v_cvt_f32_f16 v0, v0;
	;;#ASMEND
	;; [unrolled: 3-line block ×4, first 2 shown]
	v_dual_fmac_f32 v48, v11, v14 :: v_dual_fmac_f32 v49, v0, v16
	ds_load_b64 v[16:17], v32 offset:160
	v_and_b32_e32 v14, 0xffff, v55
	s_wait_dscnt 0x0
	v_and_b32_e32 v11, 0xffff, v16
	;;#ASMSTART
	v_cvt_f32_f16 v11, v11;
	;;#ASMEND
	v_lshrrev_b32_e32 v0, 16, v16
	;;#ASMSTART
	v_cvt_f32_f16 v0, v0;
	;;#ASMEND
	;;#ASMSTART
	v_cvt_f32_f16 v14, v14;
	;;#ASMEND
	;; [unrolled: 3-line block ×3, first 2 shown]
	v_fmac_f32_e32 v36, v11, v14
	v_and_b32_e32 v11, 0xffff, v17
	;;#ASMSTART
	v_cvt_f32_f16 v11, v11;
	;;#ASMEND
	v_fmac_f32_e32 v39, v0, v13
	v_lshrrev_b32_e32 v0, 16, v17
	v_and_b32_e32 v13, 0xffff, v20
	v_and_b32_e32 v14, 0xffff, v21
	;;#ASMSTART
	v_cvt_f32_f16 v0, v0;
	;;#ASMEND
	;;#ASMSTART
	v_cvt_f32_f16 v13, v13;
	;;#ASMEND
	;; [unrolled: 3-line block ×3, first 2 shown]
	ds_load_b64 v[16:17], v32 offset:168
	v_dual_fmac_f32 v48, v11, v13 :: v_dual_fmac_f32 v49, v0, v14
	v_and_b32_e32 v13, 0xffff, v19
	s_wait_dscnt 0x0
	v_lshrrev_b32_e32 v0, 16, v16
	v_and_b32_e32 v11, 0xffff, v16
	;;#ASMSTART
	v_cvt_f32_f16 v11, v11;
	;;#ASMEND
	;;#ASMSTART
	v_cvt_f32_f16 v0, v0;
	;;#ASMEND
	;; [unrolled: 3-line block ×4, first 2 shown]
	v_fmac_f32_e32 v39, v0, v5
	v_lshrrev_b32_e32 v0, 16, v17
	v_and_b32_e32 v5, 0xffff, v17
	;;#ASMSTART
	v_cvt_f32_f16 v5, v5;
	;;#ASMEND
	;;#ASMSTART
	v_cvt_f32_f16 v0, v0;
	;;#ASMEND
	;; [unrolled: 3-line block ×4, first 2 shown]
	v_fmac_f32_e32 v48, v5, v4
	ds_load_b64 v[4:5], v32 offset:176
	v_fmac_f32_e32 v36, v11, v13
	v_fmac_f32_e32 v49, v0, v9
	v_and_b32_e32 v9, 0xffff, v31
	s_wait_dscnt 0x0
	v_lshrrev_b32_e32 v0, 16, v4
	v_and_b32_e32 v4, 0xffff, v4
	;;#ASMSTART
	v_cvt_f32_f16 v4, v4;
	;;#ASMEND
	;;#ASMSTART
	v_cvt_f32_f16 v0, v0;
	;;#ASMEND
	;; [unrolled: 3-line block ×4, first 2 shown]
	v_fmac_f32_e32 v36, v4, v9
	v_dual_fmac_f32 v39, v0, v7 :: v_dual_lshrrev_b32 v0, 16, v5
	v_and_b32_e32 v4, 0xffff, v5
	v_and_b32_e32 v5, 0xffff, v6
	;;#ASMSTART
	v_cvt_f32_f16 v4, v4;
	;;#ASMEND
	;;#ASMSTART
	v_cvt_f32_f16 v0, v0;
	;;#ASMEND
	;; [unrolled: 3-line block ×3, first 2 shown]
	v_and_b32_e32 v6, 0xffff, v15
	;;#ASMSTART
	v_cvt_f32_f16 v6, v6;
	;;#ASMEND
	v_fmac_f32_e32 v48, v4, v5
	ds_load_b64 v[4:5], v32 offset:184
	v_fmac_f32_e32 v49, v0, v6
	v_and_b32_e32 v6, 0xffff, v10
	s_wait_dscnt 0x0
	v_lshrrev_b32_e32 v0, 16, v4
	v_and_b32_e32 v4, 0xffff, v4
	;;#ASMSTART
	v_cvt_f32_f16 v4, v4;
	;;#ASMEND
	;;#ASMSTART
	v_cvt_f32_f16 v0, v0;
	;;#ASMEND
	;;#ASMSTART
	v_cvt_f32_f16 v6, v6;
	;;#ASMEND
	;;#ASMSTART
	v_cvt_f32_f16 v3, v3;
	;;#ASMEND
	v_dual_fmac_f32 v39, v0, v3 :: v_dual_lshrrev_b32 v0, 16, v5
	v_and_b32_e32 v3, 0xffff, v5
	v_fmac_f32_e32 v36, v4, v6
	;;#ASMSTART
	v_cvt_f32_f16 v3, v3;
	;;#ASMEND
	;;#ASMSTART
	v_cvt_f32_f16 v0, v0;
	;;#ASMEND
	;; [unrolled: 3-line block ×3, first 2 shown]
	v_and_b32_e32 v4, 0xffff, v53
	;;#ASMSTART
	v_cvt_f32_f16 v4, v4;
	;;#ASMEND
	s_delay_alu instid0(VALU_DEP_1)
	v_dual_fmac_f32 v48, v3, v2 :: v_dual_fmac_f32 v49, v0, v4
	ds_load_b64 v[2:3], v32 offset:192
	v_and_b32_e32 v4, 0xffff, v94
	s_wait_dscnt 0x0
	v_lshrrev_b32_e32 v0, 16, v2
	v_and_b32_e32 v2, 0xffff, v2
	;;#ASMSTART
	v_cvt_f32_f16 v2, v2;
	;;#ASMEND
	;;#ASMSTART
	v_cvt_f32_f16 v0, v0;
	;;#ASMEND
	;;#ASMSTART
	v_cvt_f32_f16 v1, v1;
	;;#ASMEND
	;;#ASMSTART
	v_cvt_f32_f16 v4, v4;
	;;#ASMEND
	v_dual_fmac_f32 v36, v2, v1 :: v_dual_fmac_f32 v39, v0, v4
	v_lshrrev_b32_e32 v0, 16, v3
	v_and_b32_e32 v1, 0xffff, v3
	;;#ASMSTART
	v_cvt_f32_f16 v1, v1;
	;;#ASMEND
	;;#ASMSTART
	v_cvt_f32_f16 v0, v0;
	;;#ASMEND
	v_and_b32_e32 v2, 0xffff, v127
	v_and_b32_e32 v3, 0xffff, v126
	;;#ASMSTART
	v_cvt_f32_f16 v2, v2;
	;;#ASMEND
	;;#ASMSTART
	v_cvt_f32_f16 v3, v3;
	;;#ASMEND
	s_delay_alu instid0(VALU_DEP_1)
	v_dual_fmac_f32 v48, v1, v2 :: v_dual_fmac_f32 v49, v0, v3
	ds_load_b64 v[0:1], v32 offset:200
	v_and_b32_e32 v3, 0xffff, v125
	v_and_b32_e32 v4, 0xffff, v124
	s_wait_dscnt 0x0
	v_lshrrev_b32_e32 v2, 16, v0
	v_and_b32_e32 v0, 0xffff, v0
	;;#ASMSTART
	v_cvt_f32_f16 v0, v0;
	;;#ASMEND
	;;#ASMSTART
	v_cvt_f32_f16 v2, v2;
	;;#ASMEND
	;;#ASMSTART
	v_cvt_f32_f16 v3, v3;
	;;#ASMEND
	;;#ASMSTART
	v_cvt_f32_f16 v4, v4;
	;;#ASMEND
	v_dual_fmac_f32 v36, v0, v3 :: v_dual_fmac_f32 v39, v2, v4
	v_lshrrev_b32_e32 v0, 16, v1
	v_and_b32_e32 v1, 0xffff, v1
	;;#ASMSTART
	v_cvt_f32_f16 v1, v1;
	;;#ASMEND
	;;#ASMSTART
	v_cvt_f32_f16 v0, v0;
	;;#ASMEND
	v_and_b32_e32 v2, 0xffff, v121
	v_and_b32_e32 v3, 0xffff, v120
	;;#ASMSTART
	v_cvt_f32_f16 v2, v2;
	;;#ASMEND
	;;#ASMSTART
	v_cvt_f32_f16 v3, v3;
	;;#ASMEND
	s_delay_alu instid0(VALU_DEP_1)
	v_dual_fmac_f32 v48, v1, v2 :: v_dual_fmac_f32 v49, v0, v3
	ds_load_b64 v[0:1], v32 offset:208
	v_and_b32_e32 v3, 0xffff, v111
	;; [unrolled: 37-line block ×3, first 2 shown]
	s_wait_dscnt 0x0
	v_lshrrev_b32_e32 v2, 16, v0
	v_and_b32_e32 v0, 0xffff, v0
	;;#ASMSTART
	v_cvt_f32_f16 v0, v0;
	;;#ASMEND
	;;#ASMSTART
	v_cvt_f32_f16 v2, v2;
	;;#ASMEND
	;;#ASMSTART
	v_cvt_f32_f16 v3, v3;
	;;#ASMEND
	scratch_load_b32 v4, off, s32 offset:328 th:TH_LOAD_LU ; 4-byte Folded Reload
	v_dual_fmac_f32 v36, v0, v3 :: v_dual_lshrrev_b32 v0, 16, v1
	v_and_b32_e32 v1, 0xffff, v1
	s_wait_loadcnt 0x0
	v_and_b32_e32 v4, 0xffff, v4
	;;#ASMSTART
	v_cvt_f32_f16 v4, v4;
	;;#ASMEND
	s_delay_alu instid0(VALU_DEP_1)
	v_fmac_f32_e32 v39, v2, v4
	;;#ASMSTART
	v_cvt_f32_f16 v1, v1;
	;;#ASMEND
	;;#ASMSTART
	v_cvt_f32_f16 v0, v0;
	;;#ASMEND
	scratch_load_b32 v2, off, s32 offset:324 th:TH_LOAD_LU ; 4-byte Folded Reload
	s_wait_loadcnt 0x0
	v_and_b32_e32 v2, 0xffff, v2
	;;#ASMSTART
	v_cvt_f32_f16 v2, v2;
	;;#ASMEND
	scratch_load_b32 v3, off, s32 offset:320 th:TH_LOAD_LU ; 4-byte Folded Reload
	s_wait_loadcnt 0x0
	v_and_b32_e32 v3, 0xffff, v3
	;;#ASMSTART
	v_cvt_f32_f16 v3, v3;
	;;#ASMEND
	ds_load_b64 v[28:29], v32 offset:224
	v_dual_fmac_f32 v48, v1, v2 :: v_dual_fmac_f32 v49, v0, v3
	s_wait_dscnt 0x0
	v_and_b32_e32 v1, 0xffff, v28
	;;#ASMSTART
	v_cvt_f32_f16 v1, v1;
	;;#ASMEND
	v_lshrrev_b32_e32 v0, 16, v28
	;;#ASMSTART
	v_cvt_f32_f16 v0, v0;
	;;#ASMEND
	scratch_load_b32 v2, off, s32 offset:316 th:TH_LOAD_LU ; 4-byte Folded Reload
	s_wait_loadcnt 0x0
	v_and_b32_e32 v2, 0xffff, v2
	;;#ASMSTART
	v_cvt_f32_f16 v2, v2;
	;;#ASMEND
	scratch_load_b32 v3, off, s32 offset:312 th:TH_LOAD_LU ; 4-byte Folded Reload
	v_fmac_f32_e32 v36, v1, v2
	v_and_b32_e32 v1, 0xffff, v29
	s_wait_loadcnt 0x0
	v_and_b32_e32 v3, 0xffff, v3
	;;#ASMSTART
	v_cvt_f32_f16 v3, v3;
	;;#ASMEND
	s_delay_alu instid0(VALU_DEP_1)
	v_dual_fmac_f32 v39, v0, v3 :: v_dual_lshrrev_b32 v0, 16, v29
	;;#ASMSTART
	v_cvt_f32_f16 v1, v1;
	;;#ASMEND
	;;#ASMSTART
	v_cvt_f32_f16 v0, v0;
	;;#ASMEND
	scratch_load_b32 v2, off, s32 offset:308 th:TH_LOAD_LU ; 4-byte Folded Reload
	s_wait_loadcnt 0x0
	v_and_b32_e32 v2, 0xffff, v2
	;;#ASMSTART
	v_cvt_f32_f16 v2, v2;
	;;#ASMEND
	scratch_load_b32 v3, off, s32 offset:304 th:TH_LOAD_LU ; 4-byte Folded Reload
	s_wait_loadcnt 0x0
	v_and_b32_e32 v3, 0xffff, v3
	;;#ASMSTART
	v_cvt_f32_f16 v3, v3;
	;;#ASMEND
	ds_load_b64 v[28:29], v32 offset:232
	v_dual_fmac_f32 v48, v1, v2 :: v_dual_fmac_f32 v49, v0, v3
	s_wait_dscnt 0x0
	v_and_b32_e32 v1, 0xffff, v28
	;;#ASMSTART
	v_cvt_f32_f16 v1, v1;
	;;#ASMEND
	v_lshrrev_b32_e32 v0, 16, v28
	;;#ASMSTART
	v_cvt_f32_f16 v0, v0;
	;;#ASMEND
	scratch_load_b32 v2, off, s32 offset:300 th:TH_LOAD_LU ; 4-byte Folded Reload
	s_wait_loadcnt 0x0
	v_and_b32_e32 v2, 0xffff, v2
	;;#ASMSTART
	v_cvt_f32_f16 v2, v2;
	;;#ASMEND
	scratch_load_b32 v3, off, s32 offset:296 th:TH_LOAD_LU ; 4-byte Folded Reload
	v_fmac_f32_e32 v36, v1, v2
	v_and_b32_e32 v1, 0xffff, v29
	s_wait_loadcnt 0x0
	v_and_b32_e32 v3, 0xffff, v3
	;;#ASMSTART
	v_cvt_f32_f16 v3, v3;
	;;#ASMEND
	s_delay_alu instid0(VALU_DEP_1)
	v_dual_fmac_f32 v39, v0, v3 :: v_dual_lshrrev_b32 v0, 16, v29
	;; [unrolled: 45-line block ×3, first 2 shown]
	;;#ASMSTART
	v_cvt_f32_f16 v1, v1;
	;;#ASMEND
	;;#ASMSTART
	v_cvt_f32_f16 v0, v0;
	;;#ASMEND
	scratch_load_b32 v2, off, s32 offset:276 th:TH_LOAD_LU ; 4-byte Folded Reload
	s_wait_loadcnt 0x0
	v_and_b32_e32 v2, 0xffff, v2
	;;#ASMSTART
	v_cvt_f32_f16 v2, v2;
	;;#ASMEND
	scratch_load_b32 v3, off, s32 offset:272 th:TH_LOAD_LU ; 4-byte Folded Reload
	s_wait_loadcnt 0x0
	v_and_b32_e32 v3, 0xffff, v3
	;;#ASMSTART
	v_cvt_f32_f16 v3, v3;
	;;#ASMEND
	ds_load_b64 v[28:29], v32 offset:248
	v_dual_fmac_f32 v48, v1, v2 :: v_dual_fmac_f32 v49, v0, v3
	v_and_b32_e32 v2, 0xffff, v68
	v_and_b32_e32 v3, 0xffff, v99
	s_wait_dscnt 0x0
	v_and_b32_e32 v1, 0xffff, v28
	;;#ASMSTART
	v_cvt_f32_f16 v1, v1;
	;;#ASMEND
	v_lshrrev_b32_e32 v0, 16, v28
	;;#ASMSTART
	v_cvt_f32_f16 v0, v0;
	;;#ASMEND
	;;#ASMSTART
	v_cvt_f32_f16 v2, v2;
	;;#ASMEND
	;; [unrolled: 3-line block ×3, first 2 shown]
	s_delay_alu instid0(VALU_DEP_1)
	v_dual_fmac_f32 v36, v1, v2 :: v_dual_fmac_f32 v39, v0, v3
	v_lshrrev_b32_e32 v0, 16, v29
	v_and_b32_e32 v1, 0xffff, v29
	v_and_b32_e32 v2, 0xffff, v77
	;;#ASMSTART
	v_cvt_f32_f16 v1, v1;
	;;#ASMEND
	;;#ASMSTART
	v_cvt_f32_f16 v0, v0;
	;;#ASMEND
	;; [unrolled: 3-line block ×3, first 2 shown]
	v_and_b32_e32 v3, 0xffff, v37
	;;#ASMSTART
	v_cvt_f32_f16 v3, v3;
	;;#ASMEND
	s_delay_alu instid0(VALU_DEP_1) | instskip(SKIP_3) | instid1(VALU_DEP_1)
	v_dual_fmac_f32 v48, v1, v2 :: v_dual_fmac_f32 v49, v0, v3
	scratch_load_b32 v2, off, s32 offset:332 ; 4-byte Folded Reload
	s_wait_loadcnt 0x0
	v_dual_add_f32 v0, v36, v39 :: v_dual_bitop2_b32 v1, 1, v2 bitop3:0x14
	v_cmp_gt_i32_e64 s3, 32, v1
	s_delay_alu instid0(VALU_DEP_1) | instskip(NEXT) | instid1(VALU_DEP_1)
	v_dual_add_f32 v0, v0, v48 :: v_dual_cndmask_b32 v1, v2, v1, s3
	v_dual_add_f32 v0, v49, v0 :: v_dual_lshlrev_b32 v1, 2, v1
	ds_bpermute_b32 v1, v1, v0
	s_wait_xcnt 0x0
	s_and_saveexec_b32 s17, vcc_lo
	s_cbranch_execz .LBB272_8
; %bb.1034:                             ;   in Loop: Header=BB272_9 Depth=1
	scratch_load_b32 v3, off, s32 offset:356 ; 4-byte Folded Reload
	s_wait_dscnt 0x0
	v_dual_sub_nc_u32 v2, 1, v12 :: v_dual_add_f32 v0, v0, v1
	s_load_b32 s18, s[4:5], 0x0
	v_cmp_lt_i32_e64 s3, v64, v12
	s_delay_alu instid0(VALU_DEP_2) | instskip(NEXT) | instid1(VALU_DEP_1)
	v_add_nc_u32_e32 v2, v2, v64
	v_cvt_f32_i32_e32 v2, v2
	s_wait_loadcnt 0x0
	s_delay_alu instid0(VALU_DEP_1)
	v_mul_f32_e32 v2, v3, v2
	scratch_load_b32 v3, off, s32 offset:344 ; 4-byte Folded Reload
	v_cndmask_b32_e64 v1, 0, v2, s2
	scratch_load_b32 v2, off, s32 offset:360 ; 4-byte Folded Reload
	s_wait_loadcnt 0x0
	v_fmac_f32_e32 v1, v2, v0
	scratch_load_b32 v2, off, s32 offset:192 ; 4-byte Folded Reload
	v_max_num_f32_e32 v0, v3, v3
	s_delay_alu instid0(VALU_DEP_1) | instskip(NEXT) | instid1(VALU_DEP_1)
	v_max_num_f32_e32 v0, v0, v1
	v_dual_cndmask_b32 v3, v3, v0, s3 :: v_dual_cndmask_b32 v1, 0, v1, s3
	scratch_store_b32 off, v3, s32 offset:344 ; 4-byte Folded Spill
	s_wait_loadcnt 0x0
	s_wait_kmcnt 0x0
	v_add_nc_u32_e32 v2, s18, v2
	ds_store_b32 v2, v1
	s_branch .LBB272_8
.LBB272_1035:
	s_or_b32 exec_lo, exec_lo, s11
	s_clause 0x2
	scratch_load_b32 v9, off, s32 offset:364
	scratch_load_b64 v[36:37], off, s32 offset:424
	scratch_load_b32 v3, off, s32 offset:344
	v_mov_b32_e32 v10, 32
.LBB272_1036:
	s_wait_xcnt 0x0
	s_or_b32 exec_lo, exec_lo, s16
	scratch_load_b32 v6, off, s32 offset:332 ; 4-byte Folded Reload
	s_wait_loadcnt 0x1
	v_dual_max_num_f32 v4, v3, v3 :: v_dual_bitop2_b32 v55, 31, v9 bitop3:0x40
	s_wait_loadcnt 0x0
	v_xor_b32_e32 v0, 16, v6
	s_wait_dscnt 0x0
	v_xor_b32_e32 v1, 8, v6
	s_delay_alu instid0(VALU_DEP_2) | instskip(SKIP_1) | instid1(VALU_DEP_3)
	v_cmp_lt_i32_e32 vcc_lo, v0, v10
	v_cndmask_b32_e32 v0, v6, v0, vcc_lo
	v_cmp_lt_i32_e32 vcc_lo, v1, v10
	s_delay_alu instid0(VALU_DEP_2) | instskip(SKIP_3) | instid1(VALU_DEP_1)
	v_dual_cndmask_b32 v1, v6, v1 :: v_dual_lshlrev_b32 v2, 2, v0
	ds_bpermute_b32 v0, v2, v3
	s_wait_dscnt 0x0
	v_dual_max_num_f32 v0, v0, v0 :: v_dual_lshlrev_b32 v3, 2, v1
	v_dual_max_num_f32 v0, v4, v0 :: v_dual_bitop2_b32 v4, 4, v6 bitop3:0x14
	ds_bpermute_b32 v1, v3, v0
	v_cmp_lt_i32_e32 vcc_lo, v4, v10
	s_wait_dscnt 0x0
	v_dual_cndmask_b32 v4, v6, v4 :: v_dual_max_num_f32 v1, v1, v1
	s_delay_alu instid0(VALU_DEP_1) | instskip(SKIP_3) | instid1(VALU_DEP_1)
	v_dual_lshlrev_b32 v4, 2, v4 :: v_dual_max_num_f32 v0, v0, v1
	ds_bpermute_b32 v1, v4, v0
	s_wait_dscnt 0x0
	v_dual_max_num_f32 v1, v1, v1 :: v_dual_bitop2_b32 v5, 2, v6 bitop3:0x14
	v_cmp_lt_i32_e32 vcc_lo, v5, v10
	s_delay_alu instid0(VALU_DEP_2) | instskip(SKIP_2) | instid1(VALU_DEP_2)
	v_max_num_f32_e32 v0, v0, v1
	v_cndmask_b32_e32 v5, v6, v5, vcc_lo
	v_cmp_eq_u32_e32 vcc_lo, 0, v55
	v_lshlrev_b32_e32 v1, 2, v5
	scratch_load_b32 v5, off, s32 offset:368 ; 4-byte Folded Reload
	s_wait_loadcnt 0x0
	v_lshlrev_b32_e32 v5, 2, v5
	ds_bpermute_b32 v6, v1, v0
	s_wait_xcnt 0x0
	s_and_saveexec_b32 s2, vcc_lo
	s_cbranch_execz .LBB272_1038
; %bb.1037:
	s_wait_dscnt 0x0
	v_dual_max_num_f32 v6, v6, v6 :: v_dual_max_num_f32 v0, v0, v0
	s_delay_alu instid0(VALU_DEP_1)
	v_max_num_f32_e32 v0, v0, v6
	ds_store_b32 v5, v0 offset:512
.LBB272_1038:
	s_or_b32 exec_lo, exec_lo, s2
	v_cmp_gt_u32_e64 s2, 4, v55
	v_mov_b32_e32 v0, 0xff7fffff
	s_wait_dscnt 0x0
	v_lshlrev_b32_e32 v6, 2, v55
	s_wait_storecnt 0x0
	s_barrier_signal -1
	s_barrier_wait -1
	s_and_saveexec_b32 s3, s2
; %bb.1039:
	ds_load_b32 v0, v6 offset:512
; %bb.1040:
	s_or_b32 exec_lo, exec_lo, s3
	scratch_load_b32 v9, off, s32 offset:332 ; 4-byte Folded Reload
	s_wait_dscnt 0x0
	ds_bpermute_b32 v7, v1, v0
	s_wait_dscnt 0x0
	v_dual_max_num_f32 v0, v0, v0 :: v_dual_max_num_f32 v7, v7, v7
	s_wait_loadcnt 0x0
	s_delay_alu instid0(VALU_DEP_1) | instskip(NEXT) | instid1(VALU_DEP_1)
	v_dual_max_num_f32 v0, v0, v7 :: v_dual_bitop2_b32 v8, 1, v9 bitop3:0x14
	v_cmp_lt_i32_e64 s3, v8, v10
	s_delay_alu instid0(VALU_DEP_1) | instskip(NEXT) | instid1(VALU_DEP_1)
	v_cndmask_b32_e64 v8, v9, v8, s3
	v_lshlrev_b32_e32 v64, 2, v8
	scratch_load_b32 v8, off, s32 offset:364 ; 4-byte Folded Reload
	ds_bpermute_b32 v7, v64, v0
	s_wait_dscnt 0x0
	v_max_num_f32_e32 v7, v7, v7
	s_delay_alu instid0(VALU_DEP_1) | instskip(SKIP_4) | instid1(VALU_DEP_1)
	v_dual_max_num_f32 v0, v0, v7 :: v_dual_lshlrev_b32 v7, 2, v25
	ds_bpermute_b32 v7, v7, v0
	scratch_load_b32 v0, off, s32 offset:252 ; 4-byte Folded Reload
	s_wait_loadcnt 0x0
	v_lshlrev_b32_e32 v0, 4, v0
	v_min_i32_e32 v0, v0, v12
	s_delay_alu instid0(VALU_DEP_1)
	v_cmp_lt_i32_e64 s3, v8, v0
	v_mov_b32_e32 v8, 0
	s_and_saveexec_b32 s5, s3
	s_cbranch_execz .LBB272_1044
; %bb.1041:
	scratch_load_b32 v10, off, s32 offset:364 ; 4-byte Folded Reload
	s_ashr_i32 s11, s10, 31
	v_mov_b32_e32 v8, 0
	s_lshl_b64 s[16:17], s[10:11], 2
	s_mov_b32 s11, 0
	s_add_nc_u64 s[16:17], s[8:9], s[16:17]
	s_load_b32 s4, s[16:17], 0x0
	s_wait_loadcnt 0x0
	s_wait_kmcnt 0x0
	v_lshl_add_u32 v9, v10, 2, s4
.LBB272_1042:                           ; =>This Inner Loop Header: Depth=1
	ds_load_b32 v11, v9
	v_add_nc_u32_e32 v10, 0x80, v10
	s_delay_alu instid0(VALU_DEP_1) | instskip(SKIP_3) | instid1(VALU_DEP_1)
	v_cmp_ge_i32_e64 s4, v10, v0
	s_or_b32 s11, s4, s11
	s_wait_dscnt 0x0
	v_sub_f32_e32 v11, v11, v7
	v_mul_f32_e32 v11, 0x3fb8aa3b, v11
	s_delay_alu instid0(VALU_DEP_1)
	v_exp_f32_e32 v11, v11
	ds_store_b32 v9, v11
	v_nop
	v_dual_add_f32 v8, v8, v11 :: v_dual_add_nc_u32 v9, 0x200, v9
	s_and_not1_b32 exec_lo, exec_lo, s11
	s_cbranch_execnz .LBB272_1042
; %bb.1043:
	s_or_b32 exec_lo, exec_lo, s11
.LBB272_1044:
	s_delay_alu instid0(SALU_CYCLE_1)
	s_or_b32 exec_lo, exec_lo, s5
	ds_bpermute_b32 v2, v2, v8
	s_wait_dscnt 0x0
	v_add_f32_e32 v2, v8, v2
	ds_bpermute_b32 v3, v3, v2
	s_wait_dscnt 0x0
	v_add_f32_e32 v2, v2, v3
	;; [unrolled: 3-line block ×5, first 2 shown]
	s_and_saveexec_b32 s4, vcc_lo
; %bb.1045:
	ds_store_b32 v5, v2 offset:528
; %bb.1046:
	s_or_b32 exec_lo, exec_lo, s4
	s_wait_dscnt 0x0
	s_barrier_signal -1
	s_barrier_wait -1
	s_and_saveexec_b32 s4, s2
; %bb.1047:
	ds_load_b32 v2, v6 offset:528
; %bb.1048:
	s_or_b32 exec_lo, exec_lo, s4
	scratch_load_b32 v3, off, s32 offset:332 th:TH_LOAD_LU ; 4-byte Folded Reload
	s_wait_dscnt 0x0
	ds_bpermute_b32 v1, v1, v2
	s_wait_loadcnt_dscnt 0x0
	v_dual_add_f32 v1, v2, v1 :: v_dual_lshlrev_b32 v3, 2, v3
	ds_bpermute_b32 v2, v64, v1
	s_wait_dscnt 0x0
	v_add_f32_e32 v1, v1, v2
	v_and_b32_e32 v2, 0xffffff80, v3
	ds_bpermute_b32 v1, v2, v1
	s_and_saveexec_b32 s2, s3
	s_cbranch_execz .LBB272_1061
; %bb.1049:
	s_wait_dscnt 0x0
	v_add_f32_e32 v1, 0x358637bd, v1
	s_mov_b32 s4, -1
	s_mov_b32 s3, exec_lo
	s_delay_alu instid0(VALU_DEP_1) | instskip(SKIP_1) | instid1(VALU_DEP_2)
	v_div_scale_f32 v2, null, v1, v1, 1.0
	v_div_scale_f32 v5, vcc_lo, 1.0, v1, 1.0
	v_rcp_f32_e32 v3, v2
	v_nop
	s_delay_alu instid0(TRANS32_DEP_1) | instskip(NEXT) | instid1(VALU_DEP_1)
	v_fma_f32 v4, -v2, v3, 1.0
	v_fmac_f32_e32 v3, v4, v3
	s_delay_alu instid0(VALU_DEP_1) | instskip(NEXT) | instid1(VALU_DEP_1)
	v_mul_f32_e32 v4, v5, v3
	v_fma_f32 v6, -v2, v4, v5
	s_delay_alu instid0(VALU_DEP_1) | instskip(SKIP_2) | instid1(VALU_DEP_1)
	v_fmac_f32_e32 v4, v6, v3
	scratch_load_b32 v6, off, s32 offset:364 ; 4-byte Folded Reload
	v_fma_f32 v5, -v2, v4, v5
	v_div_fmas_f32 v3, v5, v3, v4
	s_delay_alu instid0(VALU_DEP_1) | instskip(SKIP_3) | instid1(VALU_DEP_2)
	v_div_fixup_f32 v4, v3, v1, 1.0
	s_wait_loadcnt 0x0
	v_xad_u32 v2, v6, -1, v0
	v_mov_b32_e32 v1, v6
	v_cmpx_lt_u32_e32 0x7f, v2
	s_cbranch_execz .LBB272_1058
; %bb.1050:
	v_dual_lshrrev_b32 v1, 7, v2 :: v_dual_mov_b32 v5, v4
	s_delay_alu instid0(VALU_DEP_1) | instskip(NEXT) | instid1(VALU_DEP_1)
	v_dual_mov_b32 v7, 0 :: v_dual_add_nc_u32 v2, -1, v1
	v_lshrrev_b32_e32 v3, 1, v2
	v_cmp_lt_u32_e32 vcc_lo, 13, v2
	s_delay_alu instid0(VALU_DEP_2)
	v_add_nc_u32_e32 v2, 1, v3
	s_and_saveexec_b32 s4, vcc_lo
	s_cbranch_execz .LBB272_1054
; %bb.1051:
	scratch_load_b32 v6, off, s32 offset:364 ; 4-byte Folded Reload
	s_ashr_i32 s11, s10, 31
	v_and_b32_e32 v3, -8, v2
	s_lshl_b64 s[16:17], s[10:11], 2
	s_mov_b32 s11, 0
	s_add_nc_u64 s[16:17], s[8:9], s[16:17]
	s_load_b32 s5, s[16:17], 0x0
	s_wait_loadcnt 0x0
	s_wait_kmcnt 0x0
	v_lshl_add_u32 v6, v6, 2, s5
	s_mov_b32 s5, 0
.LBB272_1052:                           ; =>This Inner Loop Header: Depth=1
	ds_load_2addr_stride64_b32 v[8:9], v6 offset1:2
	ds_load_2addr_stride64_b32 v[10:11], v6 offset0:4 offset1:6
	ds_load_2addr_stride64_b32 v[14:15], v6 offset0:8 offset1:10
	;; [unrolled: 1-line block ×7, first 2 shown]
	s_add_co_i32 s11, s11, 16
	s_delay_alu instid0(SALU_CYCLE_1) | instskip(NEXT) | instid1(VALU_DEP_1)
	v_dual_add_nc_u32 v3, -8, v3 :: v_dual_mov_b32 v7, s11
	v_cmp_eq_u32_e32 vcc_lo, 0, v3
	s_or_b32 s5, vcc_lo, s5
	s_wait_dscnt 0x7
	v_pk_mul_f32 v[8:9], v[4:5], v[8:9]
	s_wait_dscnt 0x6
	v_pk_mul_f32 v[10:11], v[4:5], v[10:11]
	;; [unrolled: 2-line block ×8, first 2 shown]
	ds_store_2addr_stride64_b32 v6, v8, v9 offset1:2
	ds_store_2addr_stride64_b32 v6, v10, v11 offset0:4 offset1:6
	ds_store_2addr_stride64_b32 v6, v14, v15 offset0:8 offset1:10
	ds_store_2addr_stride64_b32 v6, v16, v17 offset0:12 offset1:14
	ds_store_2addr_stride64_b32 v6, v18, v19 offset0:16 offset1:18
	ds_store_2addr_stride64_b32 v6, v20, v21 offset0:20 offset1:22
	ds_store_2addr_stride64_b32 v6, v24, v25 offset0:24 offset1:26
	ds_store_2addr_stride64_b32 v6, v26, v27 offset0:28 offset1:30
	v_add_nc_u32_e32 v6, 0x2000, v6
	s_and_not1_b32 exec_lo, exec_lo, s5
	s_cbranch_execnz .LBB272_1052
; %bb.1053:
	s_or_b32 exec_lo, exec_lo, s5
.LBB272_1054:
	s_delay_alu instid0(SALU_CYCLE_1) | instskip(NEXT) | instid1(VALU_DEP_1)
	s_or_b32 exec_lo, exec_lo, s4
	v_and_b32_e32 v2, 7, v2
	s_mov_b32 s5, 0
	s_mov_b32 s4, exec_lo
	s_delay_alu instid0(VALU_DEP_1)
	v_cmpx_ne_u32_e32 0, v2
	s_cbranch_execz .LBB272_1057
; %bb.1055:
	scratch_load_b32 v6, off, s32 offset:364 ; 4-byte Folded Reload
	s_ashr_i32 s11, s10, 31
	v_lshlrev_b32_e32 v3, 9, v7
	s_lshl_b64 s[16:17], s[10:11], 2
	s_delay_alu instid0(SALU_CYCLE_1) | instskip(SKIP_4) | instid1(VALU_DEP_1)
	s_add_nc_u64 s[16:17], s[8:9], s[16:17]
	s_load_b32 s11, s[16:17], 0x0
	s_wait_loadcnt 0x0
	v_lshlrev_b32_e32 v6, 2, v6
	s_wait_kmcnt 0x0
	v_add3_u32 v3, v3, v6, s11
.LBB272_1056:                           ; =>This Inner Loop Header: Depth=1
	ds_load_2addr_stride64_b32 v[6:7], v3 offset1:2
	v_add_nc_u32_e32 v2, -1, v2
	s_delay_alu instid0(VALU_DEP_1)
	v_cmp_eq_u32_e32 vcc_lo, 0, v2
	s_or_b32 s5, vcc_lo, s5
	s_wait_dscnt 0x0
	v_pk_mul_f32 v[6:7], v[4:5], v[6:7]
	ds_store_2addr_stride64_b32 v3, v6, v7 offset1:2
	v_add_nc_u32_e32 v3, 0x400, v3
	s_and_not1_b32 exec_lo, exec_lo, s5
	s_cbranch_execnz .LBB272_1056
.LBB272_1057:
	s_or_b32 exec_lo, exec_lo, s4
	v_add_nc_u32_e32 v1, 1, v1
	s_delay_alu instid0(VALU_DEP_1) | instskip(NEXT) | instid1(VALU_DEP_1)
	v_and_b32_e32 v2, 0x3fffffe, v1
	v_cmp_ne_u32_e32 vcc_lo, v1, v2
	scratch_load_b32 v1, off, s32 offset:364 ; 4-byte Folded Reload
	s_or_not1_b32 s4, vcc_lo, exec_lo
	s_wait_loadcnt 0x0
	v_lshl_add_u32 v1, v2, 7, v1
.LBB272_1058:
	s_or_b32 exec_lo, exec_lo, s3
	s_delay_alu instid0(SALU_CYCLE_1)
	s_and_b32 exec_lo, exec_lo, s4
	s_cbranch_execz .LBB272_1061
; %bb.1059:
	s_ashr_i32 s11, s10, 31
	s_delay_alu instid0(SALU_CYCLE_1) | instskip(NEXT) | instid1(SALU_CYCLE_1)
	s_lshl_b64 s[4:5], s[10:11], 2
	s_add_nc_u64 s[4:5], s[8:9], s[4:5]
	s_load_b32 s3, s[4:5], 0x0
	s_wait_kmcnt 0x0
	v_lshl_add_u32 v2, v1, 2, s3
	s_mov_b32 s3, 0
.LBB272_1060:                           ; =>This Inner Loop Header: Depth=1
	ds_load_b32 v3, v2
	v_add_nc_u32_e32 v1, 0x80, v1
	s_delay_alu instid0(VALU_DEP_1)
	v_cmp_ge_i32_e32 vcc_lo, v1, v0
	s_or_b32 s3, vcc_lo, s3
	s_wait_dscnt 0x0
	v_mul_f32_e32 v3, v4, v3
	ds_store_b32 v2, v3
	v_add_nc_u32_e32 v2, 0x200, v2
	s_and_not1_b32 exec_lo, exec_lo, s3
	s_cbranch_execnz .LBB272_1060
.LBB272_1061:
	s_or_b32 exec_lo, exec_lo, s2
	s_wait_dscnt 0x0
	s_barrier_signal -1
	s_barrier_wait -1
	s_and_saveexec_b32 s2, s1
	s_delay_alu instid0(SALU_CYCLE_1)
	s_xor_b32 s1, exec_lo, s2
	s_cbranch_execz .LBB272_1063
; %bb.1062:
	s_ashr_i32 s11, s10, 31
                                        ; implicit-def: $vgpr0
                                        ; kill: killed $vgpr0
                                        ; implicit-def: $vgpr0
                                        ; implicit-def: $vgpr12
	s_clause 0x2
	scratch_store_b64 off, v[0:1], s32 offset:256
	; meta instruction
	; meta instruction
	;; [unrolled: 1-line block ×7, first 2 shown]
	scratch_store_b64 off, v[0:1], s32 offset:384
	; meta instruction
	; meta instruction
	;; [unrolled: 1-line block ×3, first 2 shown]
	scratch_store_b64 off, v[0:1], s32 offset:376
.LBB272_1063:
	s_wait_xcnt 0x0
	s_or_saveexec_b32 s4, s1
	v_mov_b32_e32 v5, 0
	v_mov_b64_e32 v[34:35], s[10:11]
	s_delay_alu instid0(VALU_DEP_2)
	v_dual_mov_b32 v4, v5 :: v_dual_mov_b32 v9, v5
	v_dual_mov_b32 v8, v5 :: v_dual_mov_b32 v21, v5
	;; [unrolled: 1-line block ×7, first 2 shown]
	v_mov_b32_e32 v32, v5
	s_xor_b32 exec_lo, exec_lo, s4
	s_cbranch_execz .LBB272_2123
; %bb.1064:
	s_clause 0x2
	scratch_load_b64 v[0:1], off, s32 offset:376 th:TH_LOAD_LU
	scratch_load_b32 v3, off, s32 offset:252
	scratch_load_b32 v68, off, s32 offset:368
	s_ashr_i32 s11, s10, 31
	v_dual_mov_b32 v8, 0 :: v_dual_mov_b32 v21, 0
	s_lshl_b64 s[2:3], s[10:11], 2
	v_dual_mov_b32 v25, 0 :: v_dual_mov_b32 v24, 0
	s_add_nc_u64 s[2:3], s[8:9], s[2:3]
	v_dual_mov_b32 v27, 0 :: v_dual_mov_b32 v26, 0
	s_load_b32 s1, s[2:3], 0x0
	v_dual_mov_b32 v29, 0 :: v_dual_mov_b32 v28, 0
	v_dual_mov_b32 v31, 0 :: v_dual_mov_b32 v30, 0
	;; [unrolled: 1-line block ×3, first 2 shown]
	s_wait_xcnt 0x0
	s_mov_b64 s[2:3], 0xffffffffffffff
	s_mov_b32 s5, 0
	v_dual_mov_b32 v7, 0 :: v_dual_mov_b32 v13, v12
	s_wait_loadcnt 0x1
	v_dual_mov_b32 v9, 0 :: v_dual_add_nc_u32 v65, -1, v3
	scratch_load_b32 v3, off, s32 offset:364 ; 4-byte Folded Reload
	v_mov_b32_e32 v4, v0
	scratch_load_b64 v[0:1], off, s32 offset:384 th:TH_LOAD_LU ; 8-byte Folded Reload
	v_and_b32_e32 v6, 0xf8, v4
	v_dual_mov_b32 v4, 0 :: v_dual_bitop2_b32 v2, 8, v4 bitop3:0x40
	s_wait_loadcnt 0x2
	s_delay_alu instid0(VALU_DEP_1) | instskip(SKIP_4) | instid1(VALU_DEP_2)
	v_lshl_or_b32 v66, v68, 4, v2
	s_wait_loadcnt 0x1
	v_dual_mov_b32 v5, 0 :: v_dual_bitop2_b32 v3, 1, v3 bitop3:0x40
	s_wait_loadcnt 0x0
	v_add_nc_u64_e32 v[0:1], v[36:37], v[0:1]
	v_lshlrev_b32_e32 v3, 5, v3
	s_delay_alu instid0(VALU_DEP_2)
	v_add_nc_u64_e32 v[14:15], v[0:1], v[6:7]
	scratch_load_b32 v0, off, s32 offset:412 th:TH_LOAD_LU ; 4-byte Folded Reload
	s_wait_loadcnt 0x0
	v_and_b32_e32 v6, 0x7c, v0
	scratch_load_b64 v[0:1], off, s32 offset:404 th:TH_LOAD_LU ; 8-byte Folded Reload
	s_wait_loadcnt 0x0
	v_lshl_add_u64 v[0:1], v[0:1], 2, v[6:7]
	v_lshl_or_b32 v6, v68, 6, v3
	scratch_load_b64 v[2:3], off, s32 offset:396 th:TH_LOAD_LU ; 8-byte Folded Reload
	s_wait_kmcnt 0x0
	v_dual_mov_b32 v20, 0 :: v_dual_add_nc_u32 v67, s1, v6
	s_wait_loadcnt 0x0
	v_add_nc_u64_e32 v[2:3], v[2:3], v[0:1]
	s_branch .LBB272_1066
.LBB272_1065:                           ;   in Loop: Header=BB272_1066 Depth=1
	s_or_b32 exec_lo, exec_lo, s1
	v_dual_add_f32 v0, v48, v49 :: v_dual_add_f32 v1, v45, v46
	v_dual_add_f32 v16, v43, v44 :: v_dual_add_f32 v18, v41, v42
	v_add_f32_e32 v19, v115, v116
	s_delay_alu instid0(VALU_DEP_3) | instskip(SKIP_1) | instid1(VALU_DEP_4)
	v_dual_add_f32 v4, v4, v0 :: v_dual_add_f32 v9, v9, v1
	v_dual_add_f32 v0, v119, v40 :: v_dual_add_f32 v1, v117, v118
	;; [unrolled: 1-line block ×3, first 2 shown]
	s_delay_alu instid0(VALU_DEP_4) | instskip(NEXT) | instid1(VALU_DEP_3)
	v_add_f32_e32 v24, v24, v19
	v_dual_add_f32 v20, v20, v0 :: v_dual_add_f32 v0, v113, v114
	s_delay_alu instid0(VALU_DEP_4) | instskip(SKIP_2) | instid1(VALU_DEP_4)
	v_dual_add_f32 v25, v25, v1 :: v_dual_add_f32 v1, v103, v112
	v_add_f32_e32 v19, v97, v98
	v_dual_add_f32 v16, v101, v102 :: v_dual_add_f32 v18, v99, v100
	v_add_f32_e32 v27, v27, v0
	;;#ASMSTART
	v_pk_mul_f16 v0, v53, v17;

	;;#ASMEND
	s_delay_alu instid0(VALU_DEP_2)
	v_dual_add_f32 v26, v26, v1 :: v_dual_add_f32 v29, v29, v16
	;;#ASMSTART
	v_pk_mul_f16 v1, v52, v10;

	;;#ASMEND
	;;#ASMSTART
	v_pk_mul_f16 v10, v51, v11;

	;;#ASMEND
	;; [unrolled: 4-line block ×3, first 2 shown]
	;;#ASMSTART
	v_pk_add_f16 v0, v0, v1;

	;;#ASMEND
	;;#ASMSTART
	v_pk_add_f16 v0, v0, v10;

	;;#ASMEND
	;; [unrolled: 4-line block ×3, first 2 shown]
	v_and_b32_e32 v10, 0xffff, v0
	v_dual_lshrrev_b32 v11, 16, v0 :: v_dual_add_f32 v1, v85, v86
	;;#ASMSTART
	v_cvt_f32_f16 v10, v10;
	;;#ASMEND
	;;#ASMSTART
	v_cvt_f32_f16 v11, v11;
	;;#ASMEND
	s_delay_alu instid0(VALU_DEP_1) | instskip(NEXT) | instid1(VALU_DEP_2)
	v_dual_add_f32 v0, v87, v96 :: v_dual_add_f32 v10, v10, v11
	v_dual_add_f32 v6, v54, v84 :: v_dual_add_f32 v33, v33, v1
	v_add_nc_u32_e32 v68, 4, v68
	s_delay_alu instid0(VALU_DEP_3)
	v_dual_add_f32 v30, v30, v0 :: v_dual_add_f32 v5, v5, v10
	scratch_load_b32 v0, off, s32 offset:252 ; 4-byte Folded Reload
	v_add_f32_e32 v32, v32, v6
	v_add_nc_u64_e32 v[2:3], 16, v[2:3]
	v_dual_add_f32 v28, v28, v18 :: v_dual_add_f32 v31, v31, v19
	v_add_nc_u32_e32 v66, 64, v66
	v_add_nc_u32_e32 v67, 0x100, v67
	s_wait_loadcnt 0x0
	v_cmp_ge_i32_e32 vcc_lo, v68, v0
	s_or_b32 s5, vcc_lo, s5
	s_wait_xcnt 0x0
	s_and_not1_b32 exec_lo, exec_lo, s5
	s_cbranch_execz .LBB272_2122
.LBB272_1066:                           ; =>This Inner Loop Header: Depth=1
	flat_load_b32 v0, v[2:3]
	ds_load_2addr_b64 v[16:19], v67 offset1:1
	ds_load_2addr_b64 v[34:37], v67 offset0:2 offset1:3
	scratch_load_b64 v[10:11], off, s32 offset:256 ; 8-byte Folded Reload
	s_mov_b32 s1, exec_lo
	s_wait_dscnt 0x1
	;;#ASMSTART
	v_cvt_f16_f32 v52, v16;

	;;#ASMEND
	;;#ASMSTART
	v_cvt_f16_f32 v50, v17;

	;;#ASMEND
	;; [unrolled: 4-line block ×4, first 2 shown]
	s_wait_dscnt 0x0
	;;#ASMSTART
	v_cvt_f16_f32 v85, v34;

	;;#ASMEND
	;;#ASMSTART
	v_cvt_f16_f32 v54, v35;

	;;#ASMEND
	;;#ASMSTART
	v_cvt_f16_f32 v86, v36;

	;;#ASMEND
	;;#ASMSTART
	v_cvt_f16_f32 v84, v37;

	;;#ASMEND
	s_wait_loadcnt 0x0
	v_mad_nc_i64_i32 v[10:11], v0, v10, v[14:15]
	v_mov_b32_e32 v0, 0
	flat_load_b64 v[34:35], v[10:11]
	flat_load_b32 v16, v[22:23]
	s_wait_loadcnt_dscnt 0x101
	v_and_b32_e32 v1, 0xff, v34
	s_wait_xcnt 0x0
	s_delay_alu instid0(VALU_DEP_1)
	v_cmpx_ne_u16_e32 0, v1
	s_cbranch_execz .LBB272_1074
; %bb.1067:                             ;   in Loop: Header=BB272_1066 Depth=1
	v_mov_b32_e32 v0, 0x8000
	s_mov_b32 s16, exec_lo
	v_cmpx_ne_u16_e32 0x80, v1
	s_cbranch_execz .LBB272_1073
; %bb.1068:                             ;   in Loop: Header=BB272_1066 Depth=1
	v_and_b32_e32 v6, 0x7f, v34
	v_mov_b32_e32 v0, 0x7c01
	s_mov_b32 s17, exec_lo
	s_delay_alu instid0(VALU_DEP_2)
	v_cmpx_ne_u32_e32 0x7f, v6
	s_cbranch_execz .LBB272_1072
; %bb.1069:                             ;   in Loop: Header=BB272_1066 Depth=1
	v_and_b32_e32 v0, 7, v34
	v_lshrrev_b32_e32 v1, 3, v6
	s_mov_b32 s18, exec_lo
	v_cmpx_gt_u32_e32 8, v6
; %bb.1070:                             ;   in Loop: Header=BB272_1066 Depth=1
	s_delay_alu instid0(VALU_DEP_3) | instskip(NEXT) | instid1(VALU_DEP_1)
	v_clz_i32_u32_e32 v0, v0
	v_min_u32_e32 v6, 32, v0
	s_delay_alu instid0(VALU_DEP_1) | instskip(NEXT) | instid1(VALU_DEP_1)
	v_subrev_nc_u32_e32 v0, 28, v6
	v_lshlrev_b64_e32 v[0:1], v0, v[34:35]
	s_delay_alu instid0(VALU_DEP_1)
	v_dual_sub_nc_u32 v1, 29, v6 :: v_dual_bitop2_b32 v0, 7, v0 bitop3:0x40
; %bb.1071:                             ;   in Loop: Header=BB272_1066 Depth=1
	s_or_b32 exec_lo, exec_lo, s18
	s_delay_alu instid0(VALU_DEP_1) | instskip(NEXT) | instid1(VALU_DEP_2)
	v_dual_lshlrev_b32 v6, 8, v34 :: v_dual_lshlrev_b32 v0, 7, v0
	v_lshl_add_u32 v1, v1, 10, 0x2000
	s_delay_alu instid0(VALU_DEP_2) | instskip(NEXT) | instid1(VALU_DEP_2)
	v_and_b32_e32 v6, 0x8000, v6
	v_and_b32_e32 v1, 0xfc00, v1
	s_delay_alu instid0(VALU_DEP_1)
	v_or3_b32 v0, v6, v1, v0
.LBB272_1072:                           ;   in Loop: Header=BB272_1066 Depth=1
	s_or_b32 exec_lo, exec_lo, s17
.LBB272_1073:                           ;   in Loop: Header=BB272_1066 Depth=1
	s_delay_alu instid0(SALU_CYCLE_1)
	s_or_b32 exec_lo, exec_lo, s16
.LBB272_1074:                           ;   in Loop: Header=BB272_1066 Depth=1
	s_delay_alu instid0(SALU_CYCLE_1) | instskip(SKIP_3) | instid1(VALU_DEP_2)
	s_or_b32 exec_lo, exec_lo, s1
	v_lshrrev_b16 v6, 8, v34
	v_dual_mov_b32 v1, 0 :: v_dual_mov_b32 v17, 0
	s_mov_b32 s1, exec_lo
	v_cmpx_ne_u16_e32 0, v6
	s_cbranch_execz .LBB272_1082
; %bb.1075:                             ;   in Loop: Header=BB272_1066 Depth=1
	v_bfrev_b32_e32 v17, 1
	s_mov_b32 s16, exec_lo
	v_cmpx_ne_u16_e32 0x80, v6
	s_cbranch_execz .LBB272_1081
; %bb.1076:                             ;   in Loop: Header=BB272_1066 Depth=1
	v_and_b32_e32 v18, 0xffff, v6
	v_mov_b32_e32 v17, 0x7c010000
	s_mov_b32 s17, exec_lo
	s_delay_alu instid0(VALU_DEP_2) | instskip(NEXT) | instid1(VALU_DEP_1)
	v_and_b32_e32 v36, 0x7f, v18
	v_cmpx_ne_u32_e32 0x7f, v36
	s_cbranch_execz .LBB272_1080
; %bb.1077:                             ;   in Loop: Header=BB272_1066 Depth=1
	v_dual_lshrrev_b32 v19, 3, v36 :: v_dual_bitop2_b32 v17, 7, v18 bitop3:0x40
	s_mov_b32 s18, exec_lo
	v_cmpx_gt_u32_e32 8, v36
; %bb.1078:                             ;   in Loop: Header=BB272_1066 Depth=1
	s_delay_alu instid0(VALU_DEP_2) | instskip(NEXT) | instid1(VALU_DEP_1)
	v_clz_i32_u32_e32 v17, v17
	v_min_u32_e32 v17, 32, v17
	s_delay_alu instid0(VALU_DEP_1) | instskip(NEXT) | instid1(VALU_DEP_1)
	v_subrev_nc_u32_e32 v19, 28, v17
	v_lshlrev_b64_e32 v[36:37], v19, v[6:7]
	s_delay_alu instid0(VALU_DEP_1)
	v_dual_sub_nc_u32 v19, 29, v17 :: v_dual_bitop2_b32 v17, 7, v36 bitop3:0x40
; %bb.1079:                             ;   in Loop: Header=BB272_1066 Depth=1
	s_or_b32 exec_lo, exec_lo, s18
	s_delay_alu instid0(VALU_DEP_1) | instskip(NEXT) | instid1(VALU_DEP_2)
	v_dual_lshlrev_b32 v6, 8, v18 :: v_dual_lshlrev_b32 v17, 23, v17
	v_lshl_add_u32 v18, v19, 10, 0x2000
	s_delay_alu instid0(VALU_DEP_1) | instskip(NEXT) | instid1(VALU_DEP_1)
	v_and_or_b32 v6, 0x8000, v6, v18
	v_lshl_or_b32 v17, v6, 16, v17
.LBB272_1080:                           ;   in Loop: Header=BB272_1066 Depth=1
	s_or_b32 exec_lo, exec_lo, s17
.LBB272_1081:                           ;   in Loop: Header=BB272_1066 Depth=1
	s_delay_alu instid0(SALU_CYCLE_1)
	s_or_b32 exec_lo, exec_lo, s16
.LBB272_1082:                           ;   in Loop: Header=BB272_1066 Depth=1
	s_delay_alu instid0(SALU_CYCLE_1) | instskip(SKIP_2) | instid1(VALU_DEP_1)
	s_or_b32 exec_lo, exec_lo, s1
	v_lshrrev_b32_e32 v6, 16, v34
	s_mov_b32 s1, exec_lo
	v_and_b32_e32 v18, 0xff, v6
	s_delay_alu instid0(VALU_DEP_1)
	v_cmpx_ne_u16_e32 0, v18
	s_cbranch_execz .LBB272_1090
; %bb.1083:                             ;   in Loop: Header=BB272_1066 Depth=1
	v_mov_b32_e32 v1, 0x8000
	s_mov_b32 s16, exec_lo
	v_cmpx_ne_u16_e32 0x80, v18
	s_cbranch_execz .LBB272_1089
; %bb.1084:                             ;   in Loop: Header=BB272_1066 Depth=1
	v_bfe_u32 v19, v34, 16, 7
	v_mov_b32_e32 v1, 0x7c01
	s_mov_b32 s17, exec_lo
	s_delay_alu instid0(VALU_DEP_2)
	v_cmpx_ne_u32_e32 0x7f, v19
	s_cbranch_execz .LBB272_1088
; %bb.1085:                             ;   in Loop: Header=BB272_1066 Depth=1
	v_dual_lshrrev_b32 v18, 3, v19 :: v_dual_bitop2_b32 v1, 7, v6 bitop3:0x40
	s_mov_b32 s18, exec_lo
	v_cmpx_gt_u32_e32 8, v19
; %bb.1086:                             ;   in Loop: Header=BB272_1066 Depth=1
	s_delay_alu instid0(VALU_DEP_2) | instskip(NEXT) | instid1(VALU_DEP_1)
	v_clz_i32_u32_e32 v1, v1
	v_min_u32_e32 v1, 32, v1
	s_delay_alu instid0(VALU_DEP_1) | instskip(NEXT) | instid1(VALU_DEP_1)
	v_subrev_nc_u32_e32 v18, 28, v1
	v_lshlrev_b64_e32 v[36:37], v18, v[6:7]
	s_delay_alu instid0(VALU_DEP_1)
	v_dual_sub_nc_u32 v18, 29, v1 :: v_dual_bitop2_b32 v1, 7, v36 bitop3:0x40
; %bb.1087:                             ;   in Loop: Header=BB272_1066 Depth=1
	s_or_b32 exec_lo, exec_lo, s18
	s_delay_alu instid0(VALU_DEP_1) | instskip(NEXT) | instid1(VALU_DEP_2)
	v_dual_lshlrev_b32 v6, 8, v6 :: v_dual_lshlrev_b32 v1, 7, v1
	v_lshl_add_u32 v18, v18, 10, 0x2000
	s_delay_alu instid0(VALU_DEP_2) | instskip(NEXT) | instid1(VALU_DEP_2)
	v_and_b32_e32 v6, 0x8000, v6
	v_and_b32_e32 v18, 0xfc00, v18
	s_delay_alu instid0(VALU_DEP_1)
	v_or3_b32 v1, v6, v18, v1
.LBB272_1088:                           ;   in Loop: Header=BB272_1066 Depth=1
	s_or_b32 exec_lo, exec_lo, s17
.LBB272_1089:                           ;   in Loop: Header=BB272_1066 Depth=1
	s_delay_alu instid0(SALU_CYCLE_1)
	s_or_b32 exec_lo, exec_lo, s16
.LBB272_1090:                           ;   in Loop: Header=BB272_1066 Depth=1
	s_delay_alu instid0(SALU_CYCLE_1)
	s_or_b32 exec_lo, exec_lo, s1
	v_dual_mov_b32 v18, 0 :: v_dual_mov_b32 v19, 0
	s_mov_b32 s1, exec_lo
	v_cmpx_lt_u32_e32 0xffffff, v34
	s_cbranch_execz .LBB272_1098
; %bb.1091:                             ;   in Loop: Header=BB272_1066 Depth=1
	v_lshrrev_b32_e32 v6, 24, v34
	v_bfrev_b32_e32 v19, 1
	s_mov_b32 s16, exec_lo
	s_delay_alu instid0(VALU_DEP_2)
	v_cmpx_ne_u32_e32 0x80, v6
	s_cbranch_execz .LBB272_1097
; %bb.1092:                             ;   in Loop: Header=BB272_1066 Depth=1
	v_and_b32_e32 v37, 0x7f, v6
	v_mov_b32_e32 v19, 0x7c010000
	s_mov_b32 s17, exec_lo
	s_delay_alu instid0(VALU_DEP_2)
	v_cmpx_ne_u32_e32 0x7f, v37
	s_cbranch_execz .LBB272_1096
; %bb.1093:                             ;   in Loop: Header=BB272_1066 Depth=1
	v_dual_lshrrev_b32 v36, 3, v37 :: v_dual_bitop2_b32 v19, 7, v6 bitop3:0x40
	s_mov_b32 s18, exec_lo
	v_cmpx_gt_u32_e32 8, v37
; %bb.1094:                             ;   in Loop: Header=BB272_1066 Depth=1
	s_delay_alu instid0(VALU_DEP_2) | instskip(NEXT) | instid1(VALU_DEP_1)
	v_clz_i32_u32_e32 v19, v19
	v_min_u32_e32 v19, 32, v19
	s_delay_alu instid0(VALU_DEP_1) | instskip(NEXT) | instid1(VALU_DEP_1)
	v_subrev_nc_u32_e32 v36, 28, v19
	v_lshlrev_b64_e32 v[38:39], v36, v[6:7]
	s_delay_alu instid0(VALU_DEP_1)
	v_dual_sub_nc_u32 v36, 29, v19 :: v_dual_bitop2_b32 v19, 7, v38 bitop3:0x40
; %bb.1095:                             ;   in Loop: Header=BB272_1066 Depth=1
	s_or_b32 exec_lo, exec_lo, s18
	s_delay_alu instid0(VALU_DEP_1) | instskip(NEXT) | instid1(VALU_DEP_2)
	v_dual_lshlrev_b32 v6, 8, v6 :: v_dual_lshlrev_b32 v19, 23, v19
	v_lshl_add_u32 v36, v36, 10, 0x2000
	s_delay_alu instid0(VALU_DEP_1) | instskip(NEXT) | instid1(VALU_DEP_1)
	v_and_or_b32 v6, 0x8000, v6, v36
	v_lshl_or_b32 v19, v6, 16, v19
.LBB272_1096:                           ;   in Loop: Header=BB272_1066 Depth=1
	s_or_b32 exec_lo, exec_lo, s17
.LBB272_1097:                           ;   in Loop: Header=BB272_1066 Depth=1
	s_delay_alu instid0(SALU_CYCLE_1)
	s_or_b32 exec_lo, exec_lo, s16
.LBB272_1098:                           ;   in Loop: Header=BB272_1066 Depth=1
	s_delay_alu instid0(SALU_CYCLE_1) | instskip(SKIP_3) | instid1(VALU_DEP_2)
	s_or_b32 exec_lo, exec_lo, s1
	v_and_b32_e32 v36, 0xff, v35
	v_mov_b32_e32 v6, v35
	s_mov_b32 s1, exec_lo
	v_cmpx_ne_u16_e32 0, v36
	s_cbranch_execz .LBB272_1106
; %bb.1099:                             ;   in Loop: Header=BB272_1066 Depth=1
	v_mov_b32_e32 v18, 0x8000
	s_mov_b32 s16, exec_lo
	v_cmpx_ne_u16_e32 0x80, v36
	s_cbranch_execz .LBB272_1105
; %bb.1100:                             ;   in Loop: Header=BB272_1066 Depth=1
	v_and_b32_e32 v37, 0x7f, v35
	v_mov_b32_e32 v18, 0x7c01
	s_mov_b32 s17, exec_lo
	s_delay_alu instid0(VALU_DEP_2)
	v_cmpx_ne_u32_e32 0x7f, v37
	s_cbranch_execz .LBB272_1104
; %bb.1101:                             ;   in Loop: Header=BB272_1066 Depth=1
	v_dual_lshrrev_b32 v36, 3, v37 :: v_dual_bitop2_b32 v18, 7, v35 bitop3:0x40
	s_mov_b32 s18, exec_lo
	v_cmpx_gt_u32_e32 8, v37
; %bb.1102:                             ;   in Loop: Header=BB272_1066 Depth=1
	s_delay_alu instid0(VALU_DEP_2) | instskip(NEXT) | instid1(VALU_DEP_1)
	v_clz_i32_u32_e32 v18, v18
	v_min_u32_e32 v18, 32, v18
	s_delay_alu instid0(VALU_DEP_1) | instskip(NEXT) | instid1(VALU_DEP_1)
	v_subrev_nc_u32_e32 v36, 28, v18
	v_lshlrev_b64_e32 v[38:39], v36, v[6:7]
	v_sub_nc_u32_e32 v36, 29, v18
	s_delay_alu instid0(VALU_DEP_2)
	v_and_b32_e32 v18, 7, v38
; %bb.1103:                             ;   in Loop: Header=BB272_1066 Depth=1
	s_or_b32 exec_lo, exec_lo, s18
	s_delay_alu instid0(VALU_DEP_1) | instskip(NEXT) | instid1(VALU_DEP_3)
	v_dual_lshlrev_b32 v37, 8, v35 :: v_dual_lshlrev_b32 v18, 7, v18
	v_lshl_add_u32 v36, v36, 10, 0x2000
	s_delay_alu instid0(VALU_DEP_2) | instskip(NEXT) | instid1(VALU_DEP_2)
	v_and_b32_e32 v37, 0x8000, v37
	v_and_b32_e32 v36, 0xfc00, v36
	s_delay_alu instid0(VALU_DEP_1)
	v_or3_b32 v18, v37, v36, v18
.LBB272_1104:                           ;   in Loop: Header=BB272_1066 Depth=1
	s_or_b32 exec_lo, exec_lo, s17
.LBB272_1105:                           ;   in Loop: Header=BB272_1066 Depth=1
	s_delay_alu instid0(SALU_CYCLE_1)
	s_or_b32 exec_lo, exec_lo, s16
.LBB272_1106:                           ;   in Loop: Header=BB272_1066 Depth=1
	s_delay_alu instid0(SALU_CYCLE_1) | instskip(SKIP_3) | instid1(VALU_DEP_2)
	s_or_b32 exec_lo, exec_lo, s1
	v_lshrrev_b16 v6, 8, v6
	v_dual_mov_b32 v37, 0 :: v_dual_mov_b32 v36, 0
	s_mov_b32 s1, exec_lo
	v_cmpx_ne_u16_e32 0, v6
	s_cbranch_execz .LBB272_1114
; %bb.1107:                             ;   in Loop: Header=BB272_1066 Depth=1
	v_bfrev_b32_e32 v36, 1
	s_mov_b32 s16, exec_lo
	v_cmpx_ne_u16_e32 0x80, v6
	s_cbranch_execz .LBB272_1113
; %bb.1108:                             ;   in Loop: Header=BB272_1066 Depth=1
	v_and_b32_e32 v38, 0xffff, v6
	v_mov_b32_e32 v36, 0x7c010000
	s_mov_b32 s17, exec_lo
	s_delay_alu instid0(VALU_DEP_2) | instskip(NEXT) | instid1(VALU_DEP_1)
	v_and_b32_e32 v48, 0x7f, v38
	v_cmpx_ne_u32_e32 0x7f, v48
	s_cbranch_execz .LBB272_1112
; %bb.1109:                             ;   in Loop: Header=BB272_1066 Depth=1
	v_dual_lshrrev_b32 v39, 3, v48 :: v_dual_bitop2_b32 v36, 7, v38 bitop3:0x40
	s_mov_b32 s18, exec_lo
	v_cmpx_gt_u32_e32 8, v48
; %bb.1110:                             ;   in Loop: Header=BB272_1066 Depth=1
	s_delay_alu instid0(VALU_DEP_2) | instskip(NEXT) | instid1(VALU_DEP_1)
	v_clz_i32_u32_e32 v36, v36
	v_min_u32_e32 v36, 32, v36
	s_delay_alu instid0(VALU_DEP_1) | instskip(NEXT) | instid1(VALU_DEP_1)
	v_subrev_nc_u32_e32 v39, 28, v36
	v_lshlrev_b64_e32 v[48:49], v39, v[6:7]
	v_sub_nc_u32_e32 v39, 29, v36
	s_delay_alu instid0(VALU_DEP_2)
	v_and_b32_e32 v36, 7, v48
; %bb.1111:                             ;   in Loop: Header=BB272_1066 Depth=1
	s_or_b32 exec_lo, exec_lo, s18
	s_delay_alu instid0(VALU_DEP_1) | instskip(NEXT) | instid1(VALU_DEP_3)
	v_dual_lshlrev_b32 v6, 8, v38 :: v_dual_lshlrev_b32 v36, 23, v36
	v_lshl_add_u32 v38, v39, 10, 0x2000
	s_delay_alu instid0(VALU_DEP_1) | instskip(NEXT) | instid1(VALU_DEP_1)
	v_and_or_b32 v6, 0x8000, v6, v38
	v_lshl_or_b32 v36, v6, 16, v36
.LBB272_1112:                           ;   in Loop: Header=BB272_1066 Depth=1
	s_or_b32 exec_lo, exec_lo, s17
.LBB272_1113:                           ;   in Loop: Header=BB272_1066 Depth=1
	s_delay_alu instid0(SALU_CYCLE_1)
	s_or_b32 exec_lo, exec_lo, s16
.LBB272_1114:                           ;   in Loop: Header=BB272_1066 Depth=1
	s_delay_alu instid0(SALU_CYCLE_1) | instskip(SKIP_2) | instid1(VALU_DEP_1)
	s_or_b32 exec_lo, exec_lo, s1
	v_lshrrev_b32_e32 v6, 16, v35
	s_mov_b32 s1, exec_lo
	v_and_b32_e32 v38, 0xff, v6
	s_delay_alu instid0(VALU_DEP_1)
	v_cmpx_ne_u16_e32 0, v38
	s_cbranch_execz .LBB272_1122
; %bb.1115:                             ;   in Loop: Header=BB272_1066 Depth=1
	v_mov_b32_e32 v37, 0x8000
	s_mov_b32 s16, exec_lo
	v_cmpx_ne_u16_e32 0x80, v38
	s_cbranch_execz .LBB272_1121
; %bb.1116:                             ;   in Loop: Header=BB272_1066 Depth=1
	v_bfe_u32 v39, v35, 16, 7
	v_mov_b32_e32 v37, 0x7c01
	s_mov_b32 s17, exec_lo
	s_delay_alu instid0(VALU_DEP_2)
	v_cmpx_ne_u32_e32 0x7f, v39
	s_cbranch_execz .LBB272_1120
; %bb.1117:                             ;   in Loop: Header=BB272_1066 Depth=1
	v_dual_lshrrev_b32 v38, 3, v39 :: v_dual_bitop2_b32 v37, 7, v6 bitop3:0x40
	s_mov_b32 s18, exec_lo
	v_cmpx_gt_u32_e32 8, v39
; %bb.1118:                             ;   in Loop: Header=BB272_1066 Depth=1
	s_delay_alu instid0(VALU_DEP_2) | instskip(NEXT) | instid1(VALU_DEP_1)
	v_clz_i32_u32_e32 v37, v37
	v_min_u32_e32 v37, 32, v37
	s_delay_alu instid0(VALU_DEP_1) | instskip(NEXT) | instid1(VALU_DEP_1)
	v_subrev_nc_u32_e32 v38, 28, v37
	v_lshlrev_b64_e32 v[48:49], v38, v[6:7]
	s_delay_alu instid0(VALU_DEP_1)
	v_dual_sub_nc_u32 v38, 29, v37 :: v_dual_bitop2_b32 v37, 7, v48 bitop3:0x40
; %bb.1119:                             ;   in Loop: Header=BB272_1066 Depth=1
	s_or_b32 exec_lo, exec_lo, s18
	s_delay_alu instid0(VALU_DEP_1) | instskip(NEXT) | instid1(VALU_DEP_2)
	v_dual_lshlrev_b32 v6, 8, v6 :: v_dual_lshlrev_b32 v37, 7, v37
	v_lshl_add_u32 v38, v38, 10, 0x2000
	s_delay_alu instid0(VALU_DEP_2) | instskip(NEXT) | instid1(VALU_DEP_2)
	v_and_b32_e32 v6, 0x8000, v6
	v_and_b32_e32 v38, 0xfc00, v38
	s_delay_alu instid0(VALU_DEP_1)
	v_or3_b32 v37, v6, v38, v37
.LBB272_1120:                           ;   in Loop: Header=BB272_1066 Depth=1
	s_or_b32 exec_lo, exec_lo, s17
.LBB272_1121:                           ;   in Loop: Header=BB272_1066 Depth=1
	s_delay_alu instid0(SALU_CYCLE_1)
	s_or_b32 exec_lo, exec_lo, s16
.LBB272_1122:                           ;   in Loop: Header=BB272_1066 Depth=1
	s_delay_alu instid0(SALU_CYCLE_1)
	s_or_b32 exec_lo, exec_lo, s1
	v_cmp_lt_u64_e32 vcc_lo, s[2:3], v[34:35]
	v_mov_b32_e32 v34, 0
	s_and_saveexec_b32 s1, vcc_lo
	s_cbranch_execz .LBB272_1130
; %bb.1123:                             ;   in Loop: Header=BB272_1066 Depth=1
	v_lshrrev_b32_e32 v6, 24, v35
	v_bfrev_b32_e32 v34, 1
	s_mov_b32 s16, exec_lo
	s_delay_alu instid0(VALU_DEP_2)
	v_cmpx_ne_u32_e32 0x80, v6
	s_cbranch_execz .LBB272_1129
; %bb.1124:                             ;   in Loop: Header=BB272_1066 Depth=1
	v_and_b32_e32 v38, 0x7f, v6
	v_mov_b32_e32 v34, 0x7c010000
	s_mov_b32 s17, exec_lo
	s_delay_alu instid0(VALU_DEP_2)
	v_cmpx_ne_u32_e32 0x7f, v38
	s_cbranch_execz .LBB272_1128
; %bb.1125:                             ;   in Loop: Header=BB272_1066 Depth=1
	v_and_b32_e32 v34, 7, v6
	v_lshrrev_b32_e32 v35, 3, v38
	s_mov_b32 s18, exec_lo
	v_cmpx_gt_u32_e32 8, v38
; %bb.1126:                             ;   in Loop: Header=BB272_1066 Depth=1
	s_delay_alu instid0(VALU_DEP_3) | instskip(NEXT) | instid1(VALU_DEP_1)
	v_clz_i32_u32_e32 v34, v34
	v_min_u32_e32 v38, 32, v34
	s_delay_alu instid0(VALU_DEP_1) | instskip(NEXT) | instid1(VALU_DEP_1)
	v_subrev_nc_u32_e32 v34, 28, v38
	v_lshlrev_b64_e32 v[34:35], v34, v[6:7]
	v_sub_nc_u32_e32 v35, 29, v38
	s_delay_alu instid0(VALU_DEP_2)
	v_and_b32_e32 v34, 7, v34
; %bb.1127:                             ;   in Loop: Header=BB272_1066 Depth=1
	s_or_b32 exec_lo, exec_lo, s18
	v_lshlrev_b32_e32 v6, 8, v6
	s_delay_alu instid0(VALU_DEP_3) | instskip(NEXT) | instid1(VALU_DEP_3)
	v_lshl_add_u32 v35, v35, 10, 0x2000
	v_lshlrev_b32_e32 v34, 23, v34
	s_delay_alu instid0(VALU_DEP_2) | instskip(NEXT) | instid1(VALU_DEP_1)
	v_and_or_b32 v6, 0x8000, v6, v35
	v_lshl_or_b32 v34, v6, 16, v34
.LBB272_1128:                           ;   in Loop: Header=BB272_1066 Depth=1
	s_or_b32 exec_lo, exec_lo, s17
.LBB272_1129:                           ;   in Loop: Header=BB272_1066 Depth=1
	s_delay_alu instid0(SALU_CYCLE_1)
	s_or_b32 exec_lo, exec_lo, s16
.LBB272_1130:                           ;   in Loop: Header=BB272_1066 Depth=1
	s_delay_alu instid0(SALU_CYCLE_1) | instskip(SKIP_3) | instid1(VALU_DEP_3)
	s_or_b32 exec_lo, exec_lo, s1
	v_dual_lshrrev_b32 v6, 16, v17 :: v_dual_lshrrev_b32 v35, 16, v19
	v_dual_lshrrev_b32 v38, 16, v34 :: v_dual_bitop2_b32 v17, v17, v0 bitop3:0x54
	v_or_b32_e32 v19, v19, v1
	v_cvt_f32_f16_e32 v1, v6
	s_delay_alu instid0(VALU_DEP_4)
	v_cvt_f32_f16_e32 v0, v35
	v_dual_lshrrev_b32 v37, 16, v36 :: v_dual_bitop2_b32 v6, v34, v37 bitop3:0x54
	v_or_b32_e32 v39, v36, v18
	v_cvt_f32_f16_e32 v34, v19
	s_wait_loadcnt_dscnt 0x0
	v_pk_mul_f32 v[0:1], v[16:17], v[0:1] op_sel_hi:[0,1]
	v_cvt_f32_f16_e32 v35, v17
	v_cvt_f32_f16_e32 v19, v37
	;; [unrolled: 1-line block ×5, first 2 shown]
	v_pk_mul_f32 v[34:35], v[16:17], v[34:35] op_sel_hi:[0,1]
	v_cvt_pk_f16_f32 v6, v0, v1
	v_pk_mul_f32 v[0:1], v[16:17], v[18:19] op_sel_hi:[0,1]
	v_cmp_eq_u32_e32 vcc_lo, v65, v68
	v_pk_mul_f32 v[16:17], v[16:17], v[36:37] op_sel_hi:[0,1]
	v_cvt_pk_f16_f32 v18, v34, v35
	v_and_b32_e32 v39, 0xffff0000, v6
	v_cvt_pk_f16_f32 v0, v0, v1
	v_add_nc_u32_e32 v83, 2, v66
	v_cvt_pk_f16_f32 v1, v16, v17
	v_lshlrev_b32_e32 v38, 16, v6
	v_lshrrev_b32_e32 v49, 16, v18
	v_and_b32_e32 v48, 0xffff, v18
	v_and_b32_e32 v17, 0xffff0000, v0
	v_dual_lshlrev_b32 v6, 16, v0 :: v_dual_lshrrev_b32 v37, 16, v1
	v_and_b32_e32 v36, 0xffff, v1
	v_or_b32_e32 v35, v39, v49
	v_or_b32_e32 v34, v38, v48
	;; [unrolled: 1-line block ×10, first 2 shown]
	s_and_saveexec_b32 s16, vcc_lo
	s_cbranch_execz .LBB272_1132
; %bb.1131:                             ;   in Loop: Header=BB272_1066 Depth=1
	v_cmp_lt_i32_e64 s1, v66, v13
	s_delay_alu instid0(VALU_DEP_1) | instskip(SKIP_1) | instid1(VALU_DEP_1)
	v_cndmask_b32_e64 v0, 0, v49, s1
	v_cmp_lt_i32_e64 s1, v83, v12
	v_cndmask_b32_e64 v1, 0, v48, s1
	v_cmp_lt_i32_e64 s1, v82, v13
	s_delay_alu instid0(VALU_DEP_1) | instskip(SKIP_1) | instid1(VALU_DEP_1)
	v_cndmask_b32_e64 v16, 0, v39, s1
	v_cmp_lt_i32_e64 s1, v81, v12
	v_cndmask_b32_e64 v18, 0, v38, s1
	v_cmp_lt_i32_e64 s1, v80, v13
	s_delay_alu instid0(VALU_DEP_4) | instskip(NEXT) | instid1(VALU_DEP_2)
	v_or_b32_e32 v35, v0, v16
	v_dual_cndmask_b32 v19, 0, v37, s1 :: v_dual_bitop2_b32 v34, v1, v18 bitop3:0x54
	v_cmp_lt_i32_e64 s1, v71, v12
	s_delay_alu instid0(VALU_DEP_1) | instskip(SKIP_1) | instid1(VALU_DEP_1)
	v_cndmask_b32_e64 v36, 0, v36, s1
	v_cmp_lt_i32_e64 s1, v70, v13
	v_cndmask_b32_e64 v17, 0, v17, s1
	v_cmp_lt_i32_e64 s1, v69, v12
	s_delay_alu instid0(VALU_DEP_1) | instskip(NEXT) | instid1(VALU_DEP_1)
	v_dual_cndmask_b32 v6, 0, v6, s1 :: v_dual_bitop2_b32 v19, v19, v17 bitop3:0x54
	v_or_b32_e32 v16, v36, v6
.LBB272_1132:                           ;   in Loop: Header=BB272_1066 Depth=1
	s_or_b32 exec_lo, exec_lo, s16
	v_and_b32_e32 v0, 0xffff, v52
	v_and_b32_e32 v1, 0xffff, v53
	v_and_b32_e32 v6, 0xffff, v85
	v_and_b32_e32 v17, 0xffff, v86
	s_mov_b32 s16, exec_lo
	v_lshl_or_b32 v53, v50, 16, v0
	;;#ASMSTART
	v_pk_mul_f16 v0, v53, v35;

	;;#ASMEND
	v_lshl_or_b32 v52, v51, 16, v1
	v_lshl_or_b32 v51, v54, 16, v6
	;; [unrolled: 1-line block ×3, first 2 shown]
	;;#ASMSTART
	v_pk_mul_f16 v1, v52, v34;

	;;#ASMEND
	;;#ASMSTART
	v_pk_mul_f16 v6, v51, v19;

	;;#ASMEND
	;; [unrolled: 4-line block ×3, first 2 shown]
	;;#ASMSTART
	v_pk_add_f16 v0, v0, v1;

	;;#ASMEND
	;;#ASMSTART
	v_pk_add_f16 v0, v0, v6;

	;;#ASMEND
	;; [unrolled: 4-line block ×3, first 2 shown]
	v_and_b32_e32 v1, 0xffff, v0
	v_lshrrev_b32_e32 v0, 16, v0
	;;#ASMSTART
	v_cvt_f32_f16 v54, v1;
	;;#ASMEND
	v_mov_b32_e32 v1, 0
	;;#ASMSTART
	v_cvt_f32_f16 v84, v0;
	;;#ASMEND
	flat_load_b64 v[34:35], v[10:11] offset:256
	flat_load_b32 v16, v[22:23]
	v_mov_b32_e32 v0, 0
	s_wait_loadcnt_dscnt 0x101
	v_and_b32_e32 v6, 0xff, v34
	s_wait_xcnt 0x0
	s_delay_alu instid0(VALU_DEP_1)
	v_cmpx_ne_u16_e32 0, v6
	s_cbranch_execz .LBB272_1140
; %bb.1133:                             ;   in Loop: Header=BB272_1066 Depth=1
	v_mov_b32_e32 v1, 0x8000
	s_mov_b32 s17, exec_lo
	v_cmpx_ne_u16_e32 0x80, v6
	s_cbranch_execz .LBB272_1139
; %bb.1134:                             ;   in Loop: Header=BB272_1066 Depth=1
	v_and_b32_e32 v17, 0x7f, v34
	v_mov_b32_e32 v1, 0x7c01
	s_mov_b32 s18, exec_lo
	s_delay_alu instid0(VALU_DEP_2)
	v_cmpx_ne_u32_e32 0x7f, v17
	s_cbranch_execz .LBB272_1138
; %bb.1135:                             ;   in Loop: Header=BB272_1066 Depth=1
	v_dual_lshrrev_b32 v6, 3, v17 :: v_dual_bitop2_b32 v1, 7, v34 bitop3:0x40
	s_mov_b32 s19, exec_lo
	v_cmpx_gt_u32_e32 8, v17
; %bb.1136:                             ;   in Loop: Header=BB272_1066 Depth=1
	s_delay_alu instid0(VALU_DEP_2) | instskip(NEXT) | instid1(VALU_DEP_1)
	v_clz_i32_u32_e32 v1, v1
	v_min_u32_e32 v1, 32, v1
	s_delay_alu instid0(VALU_DEP_1) | instskip(NEXT) | instid1(VALU_DEP_1)
	v_subrev_nc_u32_e32 v6, 28, v1
	v_lshlrev_b64_e32 v[18:19], v6, v[34:35]
	s_delay_alu instid0(VALU_DEP_1)
	v_dual_sub_nc_u32 v6, 29, v1 :: v_dual_bitop2_b32 v1, 7, v18 bitop3:0x40
; %bb.1137:                             ;   in Loop: Header=BB272_1066 Depth=1
	s_or_b32 exec_lo, exec_lo, s19
	s_delay_alu instid0(VALU_DEP_1) | instskip(NEXT) | instid1(VALU_DEP_2)
	v_dual_lshlrev_b32 v17, 8, v34 :: v_dual_lshlrev_b32 v1, 7, v1
	v_lshl_add_u32 v6, v6, 10, 0x2000
	s_delay_alu instid0(VALU_DEP_2) | instskip(NEXT) | instid1(VALU_DEP_2)
	v_and_b32_e32 v17, 0x8000, v17
	v_and_b32_e32 v6, 0xfc00, v6
	s_delay_alu instid0(VALU_DEP_1)
	v_or3_b32 v1, v17, v6, v1
.LBB272_1138:                           ;   in Loop: Header=BB272_1066 Depth=1
	s_or_b32 exec_lo, exec_lo, s18
.LBB272_1139:                           ;   in Loop: Header=BB272_1066 Depth=1
	s_delay_alu instid0(SALU_CYCLE_1)
	s_or_b32 exec_lo, exec_lo, s17
.LBB272_1140:                           ;   in Loop: Header=BB272_1066 Depth=1
	s_delay_alu instid0(SALU_CYCLE_1) | instskip(SKIP_2) | instid1(VALU_DEP_1)
	s_or_b32 exec_lo, exec_lo, s16
	v_lshrrev_b16 v6, 8, v34
	s_mov_b32 s16, exec_lo
	v_cmpx_ne_u16_e32 0, v6
	s_cbranch_execz .LBB272_1148
; %bb.1141:                             ;   in Loop: Header=BB272_1066 Depth=1
	v_bfrev_b32_e32 v0, 1
	s_mov_b32 s17, exec_lo
	v_cmpx_ne_u16_e32 0x80, v6
	s_cbranch_execz .LBB272_1147
; %bb.1142:                             ;   in Loop: Header=BB272_1066 Depth=1
	v_and_b32_e32 v17, 0xffff, v6
	v_mov_b32_e32 v0, 0x7c010000
	s_mov_b32 s18, exec_lo
	s_delay_alu instid0(VALU_DEP_2) | instskip(NEXT) | instid1(VALU_DEP_1)
	v_and_b32_e32 v19, 0x7f, v17
	v_cmpx_ne_u32_e32 0x7f, v19
	s_cbranch_execz .LBB272_1146
; %bb.1143:                             ;   in Loop: Header=BB272_1066 Depth=1
	v_dual_lshrrev_b32 v18, 3, v19 :: v_dual_bitop2_b32 v0, 7, v17 bitop3:0x40
	s_mov_b32 s19, exec_lo
	v_cmpx_gt_u32_e32 8, v19
; %bb.1144:                             ;   in Loop: Header=BB272_1066 Depth=1
	s_delay_alu instid0(VALU_DEP_2) | instskip(NEXT) | instid1(VALU_DEP_1)
	v_clz_i32_u32_e32 v0, v0
	v_min_u32_e32 v0, 32, v0
	s_delay_alu instid0(VALU_DEP_1) | instskip(NEXT) | instid1(VALU_DEP_1)
	v_subrev_nc_u32_e32 v18, 28, v0
	v_lshlrev_b64_e32 v[36:37], v18, v[6:7]
	v_sub_nc_u32_e32 v18, 29, v0
	s_delay_alu instid0(VALU_DEP_2)
	v_and_b32_e32 v0, 7, v36
; %bb.1145:                             ;   in Loop: Header=BB272_1066 Depth=1
	s_or_b32 exec_lo, exec_lo, s19
	s_delay_alu instid0(VALU_DEP_1) | instskip(NEXT) | instid1(VALU_DEP_3)
	v_dual_lshlrev_b32 v6, 8, v17 :: v_dual_lshlrev_b32 v0, 23, v0
	v_lshl_add_u32 v17, v18, 10, 0x2000
	s_delay_alu instid0(VALU_DEP_1) | instskip(NEXT) | instid1(VALU_DEP_1)
	v_and_or_b32 v6, 0x8000, v6, v17
	v_lshl_or_b32 v0, v6, 16, v0
.LBB272_1146:                           ;   in Loop: Header=BB272_1066 Depth=1
	s_or_b32 exec_lo, exec_lo, s18
.LBB272_1147:                           ;   in Loop: Header=BB272_1066 Depth=1
	s_delay_alu instid0(SALU_CYCLE_1)
	s_or_b32 exec_lo, exec_lo, s17
.LBB272_1148:                           ;   in Loop: Header=BB272_1066 Depth=1
	s_delay_alu instid0(SALU_CYCLE_1) | instskip(SKIP_3) | instid1(VALU_DEP_2)
	s_or_b32 exec_lo, exec_lo, s16
	v_dual_mov_b32 v17, 0 :: v_dual_lshrrev_b32 v6, 16, v34
	v_mov_b32_e32 v18, 0
	s_mov_b32 s16, exec_lo
	v_and_b32_e32 v19, 0xff, v6
	s_delay_alu instid0(VALU_DEP_1)
	v_cmpx_ne_u16_e32 0, v19
	s_cbranch_execz .LBB272_1156
; %bb.1149:                             ;   in Loop: Header=BB272_1066 Depth=1
	v_mov_b32_e32 v18, 0x8000
	s_mov_b32 s17, exec_lo
	v_cmpx_ne_u16_e32 0x80, v19
	s_cbranch_execz .LBB272_1155
; %bb.1150:                             ;   in Loop: Header=BB272_1066 Depth=1
	v_bfe_u32 v36, v34, 16, 7
	v_mov_b32_e32 v18, 0x7c01
	s_mov_b32 s18, exec_lo
	s_delay_alu instid0(VALU_DEP_2)
	v_cmpx_ne_u32_e32 0x7f, v36
	s_cbranch_execz .LBB272_1154
; %bb.1151:                             ;   in Loop: Header=BB272_1066 Depth=1
	v_dual_lshrrev_b32 v19, 3, v36 :: v_dual_bitop2_b32 v18, 7, v6 bitop3:0x40
	s_mov_b32 s19, exec_lo
	v_cmpx_gt_u32_e32 8, v36
; %bb.1152:                             ;   in Loop: Header=BB272_1066 Depth=1
	s_delay_alu instid0(VALU_DEP_2) | instskip(NEXT) | instid1(VALU_DEP_1)
	v_clz_i32_u32_e32 v18, v18
	v_min_u32_e32 v36, 32, v18
	s_delay_alu instid0(VALU_DEP_1) | instskip(NEXT) | instid1(VALU_DEP_1)
	v_subrev_nc_u32_e32 v18, 28, v36
	v_lshlrev_b64_e32 v[18:19], v18, v[6:7]
	s_delay_alu instid0(VALU_DEP_1)
	v_dual_sub_nc_u32 v19, 29, v36 :: v_dual_bitop2_b32 v18, 7, v18 bitop3:0x40
; %bb.1153:                             ;   in Loop: Header=BB272_1066 Depth=1
	s_or_b32 exec_lo, exec_lo, s19
	v_lshlrev_b32_e32 v6, 8, v6
	s_delay_alu instid0(VALU_DEP_2) | instskip(NEXT) | instid1(VALU_DEP_3)
	v_lshl_add_u32 v19, v19, 10, 0x2000
	v_lshlrev_b32_e32 v18, 7, v18
	s_delay_alu instid0(VALU_DEP_3) | instskip(NEXT) | instid1(VALU_DEP_3)
	v_and_b32_e32 v6, 0x8000, v6
	v_and_b32_e32 v19, 0xfc00, v19
	s_delay_alu instid0(VALU_DEP_1)
	v_or3_b32 v18, v6, v19, v18
.LBB272_1154:                           ;   in Loop: Header=BB272_1066 Depth=1
	s_or_b32 exec_lo, exec_lo, s18
.LBB272_1155:                           ;   in Loop: Header=BB272_1066 Depth=1
	s_delay_alu instid0(SALU_CYCLE_1)
	s_or_b32 exec_lo, exec_lo, s17
.LBB272_1156:                           ;   in Loop: Header=BB272_1066 Depth=1
	s_delay_alu instid0(SALU_CYCLE_1) | instskip(NEXT) | instid1(SALU_CYCLE_1)
	s_or_b32 exec_lo, exec_lo, s16
	s_mov_b32 s16, exec_lo
	v_cmpx_lt_u32_e32 0xffffff, v34
	s_cbranch_execz .LBB272_1164
; %bb.1157:                             ;   in Loop: Header=BB272_1066 Depth=1
	v_lshrrev_b32_e32 v6, 24, v34
	v_bfrev_b32_e32 v17, 1
	s_mov_b32 s17, exec_lo
	s_delay_alu instid0(VALU_DEP_2)
	v_cmpx_ne_u32_e32 0x80, v6
	s_cbranch_execz .LBB272_1163
; %bb.1158:                             ;   in Loop: Header=BB272_1066 Depth=1
	v_and_b32_e32 v36, 0x7f, v6
	v_mov_b32_e32 v17, 0x7c010000
	s_mov_b32 s18, exec_lo
	s_delay_alu instid0(VALU_DEP_2)
	v_cmpx_ne_u32_e32 0x7f, v36
	s_cbranch_execz .LBB272_1162
; %bb.1159:                             ;   in Loop: Header=BB272_1066 Depth=1
	v_dual_lshrrev_b32 v19, 3, v36 :: v_dual_bitop2_b32 v17, 7, v6 bitop3:0x40
	s_mov_b32 s19, exec_lo
	v_cmpx_gt_u32_e32 8, v36
; %bb.1160:                             ;   in Loop: Header=BB272_1066 Depth=1
	s_delay_alu instid0(VALU_DEP_2) | instskip(NEXT) | instid1(VALU_DEP_1)
	v_clz_i32_u32_e32 v17, v17
	v_min_u32_e32 v17, 32, v17
	s_delay_alu instid0(VALU_DEP_1) | instskip(NEXT) | instid1(VALU_DEP_1)
	v_subrev_nc_u32_e32 v19, 28, v17
	v_lshlrev_b64_e32 v[36:37], v19, v[6:7]
	s_delay_alu instid0(VALU_DEP_1)
	v_dual_sub_nc_u32 v19, 29, v17 :: v_dual_bitop2_b32 v17, 7, v36 bitop3:0x40
; %bb.1161:                             ;   in Loop: Header=BB272_1066 Depth=1
	s_or_b32 exec_lo, exec_lo, s19
	s_delay_alu instid0(VALU_DEP_1) | instskip(NEXT) | instid1(VALU_DEP_2)
	v_dual_lshlrev_b32 v6, 8, v6 :: v_dual_lshlrev_b32 v17, 23, v17
	v_lshl_add_u32 v19, v19, 10, 0x2000
	s_delay_alu instid0(VALU_DEP_1) | instskip(NEXT) | instid1(VALU_DEP_1)
	v_and_or_b32 v6, 0x8000, v6, v19
	v_lshl_or_b32 v17, v6, 16, v17
.LBB272_1162:                           ;   in Loop: Header=BB272_1066 Depth=1
	s_or_b32 exec_lo, exec_lo, s18
.LBB272_1163:                           ;   in Loop: Header=BB272_1066 Depth=1
	s_delay_alu instid0(SALU_CYCLE_1)
	s_or_b32 exec_lo, exec_lo, s17
.LBB272_1164:                           ;   in Loop: Header=BB272_1066 Depth=1
	s_delay_alu instid0(SALU_CYCLE_1) | instskip(SKIP_4) | instid1(VALU_DEP_3)
	s_or_b32 exec_lo, exec_lo, s16
	v_and_b32_e32 v37, 0xff, v35
	v_dual_mov_b32 v6, v35 :: v_dual_mov_b32 v36, 0
	v_mov_b32_e32 v19, 0
	s_mov_b32 s16, exec_lo
	v_cmpx_ne_u16_e32 0, v37
	s_cbranch_execz .LBB272_1172
; %bb.1165:                             ;   in Loop: Header=BB272_1066 Depth=1
	v_mov_b32_e32 v19, 0x8000
	s_mov_b32 s17, exec_lo
	v_cmpx_ne_u16_e32 0x80, v37
	s_cbranch_execz .LBB272_1171
; %bb.1166:                             ;   in Loop: Header=BB272_1066 Depth=1
	v_and_b32_e32 v38, 0x7f, v35
	v_mov_b32_e32 v19, 0x7c01
	s_mov_b32 s18, exec_lo
	s_delay_alu instid0(VALU_DEP_2)
	v_cmpx_ne_u32_e32 0x7f, v38
	s_cbranch_execz .LBB272_1170
; %bb.1167:                             ;   in Loop: Header=BB272_1066 Depth=1
	v_dual_lshrrev_b32 v37, 3, v38 :: v_dual_bitop2_b32 v19, 7, v35 bitop3:0x40
	s_mov_b32 s19, exec_lo
	v_cmpx_gt_u32_e32 8, v38
; %bb.1168:                             ;   in Loop: Header=BB272_1066 Depth=1
	s_delay_alu instid0(VALU_DEP_2) | instskip(NEXT) | instid1(VALU_DEP_1)
	v_clz_i32_u32_e32 v19, v19
	v_min_u32_e32 v19, 32, v19
	s_delay_alu instid0(VALU_DEP_1) | instskip(NEXT) | instid1(VALU_DEP_1)
	v_subrev_nc_u32_e32 v37, 28, v19
	v_lshlrev_b64_e32 v[38:39], v37, v[6:7]
	s_delay_alu instid0(VALU_DEP_1)
	v_dual_sub_nc_u32 v37, 29, v19 :: v_dual_bitop2_b32 v19, 7, v38 bitop3:0x40
; %bb.1169:                             ;   in Loop: Header=BB272_1066 Depth=1
	s_or_b32 exec_lo, exec_lo, s19
	v_lshlrev_b32_e32 v38, 8, v35
	s_delay_alu instid0(VALU_DEP_2) | instskip(NEXT) | instid1(VALU_DEP_3)
	v_lshl_add_u32 v37, v37, 10, 0x2000
	v_lshlrev_b32_e32 v19, 7, v19
	s_delay_alu instid0(VALU_DEP_3) | instskip(NEXT) | instid1(VALU_DEP_3)
	v_and_b32_e32 v38, 0x8000, v38
	v_and_b32_e32 v37, 0xfc00, v37
	s_delay_alu instid0(VALU_DEP_1)
	v_or3_b32 v19, v38, v37, v19
.LBB272_1170:                           ;   in Loop: Header=BB272_1066 Depth=1
	s_or_b32 exec_lo, exec_lo, s18
.LBB272_1171:                           ;   in Loop: Header=BB272_1066 Depth=1
	s_delay_alu instid0(SALU_CYCLE_1)
	s_or_b32 exec_lo, exec_lo, s17
.LBB272_1172:                           ;   in Loop: Header=BB272_1066 Depth=1
	s_delay_alu instid0(SALU_CYCLE_1) | instskip(SKIP_3) | instid1(VALU_DEP_2)
	s_or_b32 exec_lo, exec_lo, s16
	v_lshrrev_b16 v6, 8, v6
	v_mov_b32_e32 v37, 0
	s_mov_b32 s16, exec_lo
	v_cmpx_ne_u16_e32 0, v6
	s_cbranch_execz .LBB272_1180
; %bb.1173:                             ;   in Loop: Header=BB272_1066 Depth=1
	v_bfrev_b32_e32 v37, 1
	s_mov_b32 s17, exec_lo
	v_cmpx_ne_u16_e32 0x80, v6
	s_cbranch_execz .LBB272_1179
; %bb.1174:                             ;   in Loop: Header=BB272_1066 Depth=1
	v_and_b32_e32 v38, 0xffff, v6
	v_mov_b32_e32 v37, 0x7c010000
	s_mov_b32 s18, exec_lo
	s_delay_alu instid0(VALU_DEP_2) | instskip(NEXT) | instid1(VALU_DEP_1)
	v_and_b32_e32 v48, 0x7f, v38
	v_cmpx_ne_u32_e32 0x7f, v48
	s_cbranch_execz .LBB272_1178
; %bb.1175:                             ;   in Loop: Header=BB272_1066 Depth=1
	v_dual_lshrrev_b32 v39, 3, v48 :: v_dual_bitop2_b32 v37, 7, v38 bitop3:0x40
	s_mov_b32 s19, exec_lo
	v_cmpx_gt_u32_e32 8, v48
; %bb.1176:                             ;   in Loop: Header=BB272_1066 Depth=1
	s_delay_alu instid0(VALU_DEP_2) | instskip(NEXT) | instid1(VALU_DEP_1)
	v_clz_i32_u32_e32 v37, v37
	v_min_u32_e32 v37, 32, v37
	s_delay_alu instid0(VALU_DEP_1) | instskip(NEXT) | instid1(VALU_DEP_1)
	v_subrev_nc_u32_e32 v39, 28, v37
	v_lshlrev_b64_e32 v[48:49], v39, v[6:7]
	s_delay_alu instid0(VALU_DEP_1)
	v_dual_sub_nc_u32 v39, 29, v37 :: v_dual_bitop2_b32 v37, 7, v48 bitop3:0x40
; %bb.1177:                             ;   in Loop: Header=BB272_1066 Depth=1
	s_or_b32 exec_lo, exec_lo, s19
	s_delay_alu instid0(VALU_DEP_1) | instskip(NEXT) | instid1(VALU_DEP_2)
	v_dual_lshlrev_b32 v6, 8, v38 :: v_dual_lshlrev_b32 v37, 23, v37
	v_lshl_add_u32 v38, v39, 10, 0x2000
	s_delay_alu instid0(VALU_DEP_1) | instskip(NEXT) | instid1(VALU_DEP_1)
	v_and_or_b32 v6, 0x8000, v6, v38
	v_lshl_or_b32 v37, v6, 16, v37
.LBB272_1178:                           ;   in Loop: Header=BB272_1066 Depth=1
	s_or_b32 exec_lo, exec_lo, s18
.LBB272_1179:                           ;   in Loop: Header=BB272_1066 Depth=1
	s_delay_alu instid0(SALU_CYCLE_1)
	s_or_b32 exec_lo, exec_lo, s17
.LBB272_1180:                           ;   in Loop: Header=BB272_1066 Depth=1
	s_delay_alu instid0(SALU_CYCLE_1) | instskip(SKIP_2) | instid1(VALU_DEP_1)
	s_or_b32 exec_lo, exec_lo, s16
	v_lshrrev_b32_e32 v6, 16, v35
	s_mov_b32 s16, exec_lo
	v_and_b32_e32 v38, 0xff, v6
	s_delay_alu instid0(VALU_DEP_1)
	v_cmpx_ne_u16_e32 0, v38
	s_cbranch_execz .LBB272_1188
; %bb.1181:                             ;   in Loop: Header=BB272_1066 Depth=1
	v_mov_b32_e32 v36, 0x8000
	s_mov_b32 s17, exec_lo
	v_cmpx_ne_u16_e32 0x80, v38
	s_cbranch_execz .LBB272_1187
; %bb.1182:                             ;   in Loop: Header=BB272_1066 Depth=1
	v_bfe_u32 v39, v35, 16, 7
	v_mov_b32_e32 v36, 0x7c01
	s_mov_b32 s18, exec_lo
	s_delay_alu instid0(VALU_DEP_2)
	v_cmpx_ne_u32_e32 0x7f, v39
	s_cbranch_execz .LBB272_1186
; %bb.1183:                             ;   in Loop: Header=BB272_1066 Depth=1
	v_dual_lshrrev_b32 v38, 3, v39 :: v_dual_bitop2_b32 v36, 7, v6 bitop3:0x40
	s_mov_b32 s19, exec_lo
	v_cmpx_gt_u32_e32 8, v39
; %bb.1184:                             ;   in Loop: Header=BB272_1066 Depth=1
	s_delay_alu instid0(VALU_DEP_2) | instskip(NEXT) | instid1(VALU_DEP_1)
	v_clz_i32_u32_e32 v36, v36
	v_min_u32_e32 v36, 32, v36
	s_delay_alu instid0(VALU_DEP_1) | instskip(NEXT) | instid1(VALU_DEP_1)
	v_subrev_nc_u32_e32 v38, 28, v36
	v_lshlrev_b64_e32 v[48:49], v38, v[6:7]
	v_sub_nc_u32_e32 v38, 29, v36
	s_delay_alu instid0(VALU_DEP_2)
	v_and_b32_e32 v36, 7, v48
; %bb.1185:                             ;   in Loop: Header=BB272_1066 Depth=1
	s_or_b32 exec_lo, exec_lo, s19
	s_delay_alu instid0(VALU_DEP_1) | instskip(NEXT) | instid1(VALU_DEP_3)
	v_dual_lshlrev_b32 v6, 8, v6 :: v_dual_lshlrev_b32 v36, 7, v36
	v_lshl_add_u32 v38, v38, 10, 0x2000
	s_delay_alu instid0(VALU_DEP_2) | instskip(NEXT) | instid1(VALU_DEP_2)
	v_and_b32_e32 v6, 0x8000, v6
	v_and_b32_e32 v38, 0xfc00, v38
	s_delay_alu instid0(VALU_DEP_1)
	v_or3_b32 v36, v6, v38, v36
.LBB272_1186:                           ;   in Loop: Header=BB272_1066 Depth=1
	s_or_b32 exec_lo, exec_lo, s18
.LBB272_1187:                           ;   in Loop: Header=BB272_1066 Depth=1
	s_delay_alu instid0(SALU_CYCLE_1)
	s_or_b32 exec_lo, exec_lo, s17
.LBB272_1188:                           ;   in Loop: Header=BB272_1066 Depth=1
	s_delay_alu instid0(SALU_CYCLE_1)
	s_or_b32 exec_lo, exec_lo, s16
	v_cmp_lt_u64_e64 s1, s[2:3], v[34:35]
	v_mov_b32_e32 v34, 0
	s_and_saveexec_b32 s16, s1
	s_cbranch_execz .LBB272_1196
; %bb.1189:                             ;   in Loop: Header=BB272_1066 Depth=1
	v_lshrrev_b32_e32 v6, 24, v35
	v_bfrev_b32_e32 v34, 1
	s_mov_b32 s17, exec_lo
	s_delay_alu instid0(VALU_DEP_2)
	v_cmpx_ne_u32_e32 0x80, v6
	s_cbranch_execz .LBB272_1195
; %bb.1190:                             ;   in Loop: Header=BB272_1066 Depth=1
	v_and_b32_e32 v38, 0x7f, v6
	v_mov_b32_e32 v34, 0x7c010000
	s_mov_b32 s18, exec_lo
	s_delay_alu instid0(VALU_DEP_2)
	v_cmpx_ne_u32_e32 0x7f, v38
	s_cbranch_execz .LBB272_1194
; %bb.1191:                             ;   in Loop: Header=BB272_1066 Depth=1
	v_and_b32_e32 v34, 7, v6
	v_lshrrev_b32_e32 v35, 3, v38
	s_mov_b32 s19, exec_lo
	v_cmpx_gt_u32_e32 8, v38
; %bb.1192:                             ;   in Loop: Header=BB272_1066 Depth=1
	s_delay_alu instid0(VALU_DEP_3) | instskip(NEXT) | instid1(VALU_DEP_1)
	v_clz_i32_u32_e32 v34, v34
	v_min_u32_e32 v38, 32, v34
	s_delay_alu instid0(VALU_DEP_1) | instskip(NEXT) | instid1(VALU_DEP_1)
	v_subrev_nc_u32_e32 v34, 28, v38
	v_lshlrev_b64_e32 v[34:35], v34, v[6:7]
	v_sub_nc_u32_e32 v35, 29, v38
	s_delay_alu instid0(VALU_DEP_2)
	v_and_b32_e32 v34, 7, v34
; %bb.1193:                             ;   in Loop: Header=BB272_1066 Depth=1
	s_or_b32 exec_lo, exec_lo, s19
	v_lshlrev_b32_e32 v6, 8, v6
	s_delay_alu instid0(VALU_DEP_3) | instskip(NEXT) | instid1(VALU_DEP_3)
	v_lshl_add_u32 v35, v35, 10, 0x2000
	v_lshlrev_b32_e32 v34, 23, v34
	s_delay_alu instid0(VALU_DEP_2) | instskip(NEXT) | instid1(VALU_DEP_1)
	v_and_or_b32 v6, 0x8000, v6, v35
	v_lshl_or_b32 v34, v6, 16, v34
.LBB272_1194:                           ;   in Loop: Header=BB272_1066 Depth=1
	s_or_b32 exec_lo, exec_lo, s18
.LBB272_1195:                           ;   in Loop: Header=BB272_1066 Depth=1
	s_delay_alu instid0(SALU_CYCLE_1)
	s_or_b32 exec_lo, exec_lo, s17
.LBB272_1196:                           ;   in Loop: Header=BB272_1066 Depth=1
	s_delay_alu instid0(SALU_CYCLE_1) | instskip(SKIP_3) | instid1(VALU_DEP_3)
	s_or_b32 exec_lo, exec_lo, s16
	v_dual_lshrrev_b32 v6, 16, v0 :: v_dual_lshrrev_b32 v35, 16, v17
	v_or_b32_e32 v38, v0, v1
	v_or_b32_e32 v17, v17, v18
	v_cvt_f32_f16_e32 v1, v6
	s_delay_alu instid0(VALU_DEP_4)
	v_cvt_f32_f16_e32 v0, v35
	v_dual_lshrrev_b32 v35, 16, v37 :: v_dual_bitop2_b32 v6, v34, v36 bitop3:0x54
	v_lshrrev_b32_e32 v34, 16, v34
	v_cvt_f32_f16_e32 v18, v17
	s_wait_loadcnt_dscnt 0x0
	v_pk_mul_f32 v[0:1], v[16:17], v[0:1] op_sel_hi:[0,1]
	v_or_b32_e32 v17, v37, v19
	v_cvt_f32_f16_e32 v19, v38
	v_cvt_f32_f16_e32 v35, v35
	v_cvt_f32_f16_e32 v34, v34
	s_delay_alu instid0(VALU_DEP_3) | instskip(NEXT) | instid1(VALU_DEP_1)
	v_pk_mul_f32 v[18:19], v[16:17], v[18:19] op_sel_hi:[0,1]
	v_cvt_pk_f16_f32 v18, v18, v19
	s_delay_alu instid0(VALU_DEP_1) | instskip(SKIP_4) | instid1(VALU_DEP_3)
	v_lshrrev_b32_e32 v49, 16, v18
	v_cvt_f32_f16_e32 v36, v6
	v_cvt_pk_f16_f32 v6, v0, v1
	v_pk_mul_f32 v[0:1], v[16:17], v[34:35] op_sel_hi:[0,1]
	v_and_b32_e32 v48, 0xffff, v18
	v_lshlrev_b32_e32 v34, 16, v6
	v_cvt_f32_f16_e32 v37, v17
	s_delay_alu instid0(VALU_DEP_4) | instskip(SKIP_1) | instid1(VALU_DEP_4)
	v_cvt_pk_f16_f32 v0, v0, v1
	v_and_b32_e32 v35, 0xffff0000, v6
	v_or_b32_e32 v38, v34, v48
	s_delay_alu instid0(VALU_DEP_4) | instskip(NEXT) | instid1(VALU_DEP_3)
	v_pk_mul_f32 v[16:17], v[16:17], v[36:37] op_sel_hi:[0,1]
	v_or_b32_e32 v39, v35, v49
	s_delay_alu instid0(VALU_DEP_2) | instskip(SKIP_1) | instid1(VALU_DEP_2)
	v_cvt_pk_f16_f32 v1, v16, v17
	v_and_b32_e32 v17, 0xffff0000, v0
	v_dual_lshlrev_b32 v6, 16, v0 :: v_dual_lshrrev_b32 v19, 16, v1
	v_and_b32_e32 v16, 0xffff, v1
	s_delay_alu instid0(VALU_DEP_2) | instskip(NEXT) | instid1(VALU_DEP_2)
	v_or_b32_e32 v37, v17, v19
	v_or_b32_e32 v36, v6, v16
	s_and_saveexec_b32 s16, vcc_lo
	s_cbranch_execz .LBB272_1198
; %bb.1197:                             ;   in Loop: Header=BB272_1066 Depth=1
	v_cmp_lt_i32_e64 s1, v66, v13
	s_delay_alu instid0(VALU_DEP_1) | instskip(SKIP_1) | instid1(VALU_DEP_1)
	v_cndmask_b32_e64 v0, 0, v49, s1
	v_cmp_lt_i32_e64 s1, v83, v12
	v_cndmask_b32_e64 v1, 0, v48, s1
	v_cmp_lt_i32_e64 s1, v82, v13
	s_delay_alu instid0(VALU_DEP_1) | instskip(SKIP_1) | instid1(VALU_DEP_1)
	v_cndmask_b32_e64 v18, 0, v35, s1
	v_cmp_lt_i32_e64 s1, v81, v12
	v_cndmask_b32_e64 v34, 0, v34, s1
	v_cmp_lt_i32_e64 s1, v80, v13
	s_delay_alu instid0(VALU_DEP_4) | instskip(NEXT) | instid1(VALU_DEP_2)
	v_or_b32_e32 v39, v0, v18
	v_dual_cndmask_b32 v19, 0, v19, s1 :: v_dual_bitop2_b32 v38, v1, v34 bitop3:0x54
	v_cmp_lt_i32_e64 s1, v71, v12
	s_delay_alu instid0(VALU_DEP_1) | instskip(SKIP_1) | instid1(VALU_DEP_1)
	v_cndmask_b32_e64 v16, 0, v16, s1
	v_cmp_lt_i32_e64 s1, v70, v13
	v_cndmask_b32_e64 v17, 0, v17, s1
	v_cmp_lt_i32_e64 s1, v69, v12
	s_delay_alu instid0(VALU_DEP_1) | instskip(NEXT) | instid1(VALU_DEP_1)
	v_dual_cndmask_b32 v6, 0, v6, s1 :: v_dual_bitop2_b32 v37, v19, v17 bitop3:0x54
	v_or_b32_e32 v36, v16, v6
.LBB272_1198:                           ;   in Loop: Header=BB272_1066 Depth=1
	s_or_b32 exec_lo, exec_lo, s16
	;;#ASMSTART
	v_pk_mul_f16 v0, v53, v39;

	;;#ASMEND
	;;#ASMSTART
	v_pk_mul_f16 v1, v52, v38;

	;;#ASMEND
	;; [unrolled: 4-line block ×4, first 2 shown]
	;;#ASMSTART
	v_pk_add_f16 v0, v0, v1;

	;;#ASMEND
	;;#ASMSTART
	v_pk_add_f16 v0, v0, v6;

	;;#ASMEND
	;;#ASMSTART
	v_pk_add_f16 v0, v0, v16;

	;;#ASMEND
	v_and_b32_e32 v1, 0xffff, v0
	v_lshrrev_b32_e32 v0, 16, v0
	;;#ASMSTART
	v_cvt_f32_f16 v85, v1;
	;;#ASMEND
	v_mov_b32_e32 v1, 0
	;;#ASMSTART
	v_cvt_f32_f16 v86, v0;
	;;#ASMEND
	flat_load_b64 v[34:35], v[10:11] offset:512
	flat_load_b32 v16, v[22:23]
	v_mov_b32_e32 v0, 0
	s_mov_b32 s16, exec_lo
	s_wait_loadcnt_dscnt 0x101
	v_and_b32_e32 v6, 0xff, v34
	s_wait_xcnt 0x0
	s_delay_alu instid0(VALU_DEP_1)
	v_cmpx_ne_u16_e32 0, v6
	s_cbranch_execz .LBB272_1206
; %bb.1199:                             ;   in Loop: Header=BB272_1066 Depth=1
	v_mov_b32_e32 v1, 0x8000
	s_mov_b32 s17, exec_lo
	v_cmpx_ne_u16_e32 0x80, v6
	s_cbranch_execz .LBB272_1205
; %bb.1200:                             ;   in Loop: Header=BB272_1066 Depth=1
	v_and_b32_e32 v17, 0x7f, v34
	v_mov_b32_e32 v1, 0x7c01
	s_mov_b32 s18, exec_lo
	s_delay_alu instid0(VALU_DEP_2)
	v_cmpx_ne_u32_e32 0x7f, v17
	s_cbranch_execz .LBB272_1204
; %bb.1201:                             ;   in Loop: Header=BB272_1066 Depth=1
	v_dual_lshrrev_b32 v6, 3, v17 :: v_dual_bitop2_b32 v1, 7, v34 bitop3:0x40
	s_mov_b32 s19, exec_lo
	v_cmpx_gt_u32_e32 8, v17
; %bb.1202:                             ;   in Loop: Header=BB272_1066 Depth=1
	s_delay_alu instid0(VALU_DEP_2) | instskip(NEXT) | instid1(VALU_DEP_1)
	v_clz_i32_u32_e32 v1, v1
	v_min_u32_e32 v1, 32, v1
	s_delay_alu instid0(VALU_DEP_1) | instskip(NEXT) | instid1(VALU_DEP_1)
	v_subrev_nc_u32_e32 v6, 28, v1
	v_lshlrev_b64_e32 v[18:19], v6, v[34:35]
	s_delay_alu instid0(VALU_DEP_1)
	v_dual_sub_nc_u32 v6, 29, v1 :: v_dual_bitop2_b32 v1, 7, v18 bitop3:0x40
; %bb.1203:                             ;   in Loop: Header=BB272_1066 Depth=1
	s_or_b32 exec_lo, exec_lo, s19
	s_delay_alu instid0(VALU_DEP_1) | instskip(NEXT) | instid1(VALU_DEP_2)
	v_dual_lshlrev_b32 v17, 8, v34 :: v_dual_lshlrev_b32 v1, 7, v1
	v_lshl_add_u32 v6, v6, 10, 0x2000
	s_delay_alu instid0(VALU_DEP_2) | instskip(NEXT) | instid1(VALU_DEP_2)
	v_and_b32_e32 v17, 0x8000, v17
	v_and_b32_e32 v6, 0xfc00, v6
	s_delay_alu instid0(VALU_DEP_1)
	v_or3_b32 v1, v17, v6, v1
.LBB272_1204:                           ;   in Loop: Header=BB272_1066 Depth=1
	s_or_b32 exec_lo, exec_lo, s18
.LBB272_1205:                           ;   in Loop: Header=BB272_1066 Depth=1
	s_delay_alu instid0(SALU_CYCLE_1)
	s_or_b32 exec_lo, exec_lo, s17
.LBB272_1206:                           ;   in Loop: Header=BB272_1066 Depth=1
	s_delay_alu instid0(SALU_CYCLE_1) | instskip(SKIP_2) | instid1(VALU_DEP_1)
	s_or_b32 exec_lo, exec_lo, s16
	v_lshrrev_b16 v6, 8, v34
	s_mov_b32 s16, exec_lo
	v_cmpx_ne_u16_e32 0, v6
	s_cbranch_execz .LBB272_1214
; %bb.1207:                             ;   in Loop: Header=BB272_1066 Depth=1
	v_bfrev_b32_e32 v0, 1
	s_mov_b32 s17, exec_lo
	v_cmpx_ne_u16_e32 0x80, v6
	s_cbranch_execz .LBB272_1213
; %bb.1208:                             ;   in Loop: Header=BB272_1066 Depth=1
	v_and_b32_e32 v17, 0xffff, v6
	v_mov_b32_e32 v0, 0x7c010000
	s_mov_b32 s18, exec_lo
	s_delay_alu instid0(VALU_DEP_2) | instskip(NEXT) | instid1(VALU_DEP_1)
	v_and_b32_e32 v19, 0x7f, v17
	v_cmpx_ne_u32_e32 0x7f, v19
	s_cbranch_execz .LBB272_1212
; %bb.1209:                             ;   in Loop: Header=BB272_1066 Depth=1
	v_dual_lshrrev_b32 v18, 3, v19 :: v_dual_bitop2_b32 v0, 7, v17 bitop3:0x40
	s_mov_b32 s19, exec_lo
	v_cmpx_gt_u32_e32 8, v19
; %bb.1210:                             ;   in Loop: Header=BB272_1066 Depth=1
	s_delay_alu instid0(VALU_DEP_2) | instskip(NEXT) | instid1(VALU_DEP_1)
	v_clz_i32_u32_e32 v0, v0
	v_min_u32_e32 v0, 32, v0
	s_delay_alu instid0(VALU_DEP_1) | instskip(NEXT) | instid1(VALU_DEP_1)
	v_subrev_nc_u32_e32 v18, 28, v0
	v_lshlrev_b64_e32 v[36:37], v18, v[6:7]
	v_sub_nc_u32_e32 v18, 29, v0
	s_delay_alu instid0(VALU_DEP_2)
	v_and_b32_e32 v0, 7, v36
; %bb.1211:                             ;   in Loop: Header=BB272_1066 Depth=1
	s_or_b32 exec_lo, exec_lo, s19
	s_delay_alu instid0(VALU_DEP_1) | instskip(NEXT) | instid1(VALU_DEP_3)
	v_dual_lshlrev_b32 v6, 8, v17 :: v_dual_lshlrev_b32 v0, 23, v0
	v_lshl_add_u32 v17, v18, 10, 0x2000
	s_delay_alu instid0(VALU_DEP_1) | instskip(NEXT) | instid1(VALU_DEP_1)
	v_and_or_b32 v6, 0x8000, v6, v17
	v_lshl_or_b32 v0, v6, 16, v0
.LBB272_1212:                           ;   in Loop: Header=BB272_1066 Depth=1
	s_or_b32 exec_lo, exec_lo, s18
.LBB272_1213:                           ;   in Loop: Header=BB272_1066 Depth=1
	s_delay_alu instid0(SALU_CYCLE_1)
	s_or_b32 exec_lo, exec_lo, s17
.LBB272_1214:                           ;   in Loop: Header=BB272_1066 Depth=1
	s_delay_alu instid0(SALU_CYCLE_1) | instskip(SKIP_3) | instid1(VALU_DEP_2)
	s_or_b32 exec_lo, exec_lo, s16
	v_dual_mov_b32 v17, 0 :: v_dual_lshrrev_b32 v6, 16, v34
	v_mov_b32_e32 v18, 0
	s_mov_b32 s16, exec_lo
	v_and_b32_e32 v19, 0xff, v6
	s_delay_alu instid0(VALU_DEP_1)
	v_cmpx_ne_u16_e32 0, v19
	s_cbranch_execz .LBB272_1222
; %bb.1215:                             ;   in Loop: Header=BB272_1066 Depth=1
	v_mov_b32_e32 v18, 0x8000
	s_mov_b32 s17, exec_lo
	v_cmpx_ne_u16_e32 0x80, v19
	s_cbranch_execz .LBB272_1221
; %bb.1216:                             ;   in Loop: Header=BB272_1066 Depth=1
	v_bfe_u32 v36, v34, 16, 7
	v_mov_b32_e32 v18, 0x7c01
	s_mov_b32 s18, exec_lo
	s_delay_alu instid0(VALU_DEP_2)
	v_cmpx_ne_u32_e32 0x7f, v36
	s_cbranch_execz .LBB272_1220
; %bb.1217:                             ;   in Loop: Header=BB272_1066 Depth=1
	v_dual_lshrrev_b32 v19, 3, v36 :: v_dual_bitop2_b32 v18, 7, v6 bitop3:0x40
	s_mov_b32 s19, exec_lo
	v_cmpx_gt_u32_e32 8, v36
; %bb.1218:                             ;   in Loop: Header=BB272_1066 Depth=1
	s_delay_alu instid0(VALU_DEP_2) | instskip(NEXT) | instid1(VALU_DEP_1)
	v_clz_i32_u32_e32 v18, v18
	v_min_u32_e32 v36, 32, v18
	s_delay_alu instid0(VALU_DEP_1) | instskip(NEXT) | instid1(VALU_DEP_1)
	v_subrev_nc_u32_e32 v18, 28, v36
	v_lshlrev_b64_e32 v[18:19], v18, v[6:7]
	s_delay_alu instid0(VALU_DEP_1)
	v_dual_sub_nc_u32 v19, 29, v36 :: v_dual_bitop2_b32 v18, 7, v18 bitop3:0x40
; %bb.1219:                             ;   in Loop: Header=BB272_1066 Depth=1
	s_or_b32 exec_lo, exec_lo, s19
	v_lshlrev_b32_e32 v6, 8, v6
	s_delay_alu instid0(VALU_DEP_2) | instskip(NEXT) | instid1(VALU_DEP_3)
	v_lshl_add_u32 v19, v19, 10, 0x2000
	v_lshlrev_b32_e32 v18, 7, v18
	s_delay_alu instid0(VALU_DEP_3) | instskip(NEXT) | instid1(VALU_DEP_3)
	v_and_b32_e32 v6, 0x8000, v6
	v_and_b32_e32 v19, 0xfc00, v19
	s_delay_alu instid0(VALU_DEP_1)
	v_or3_b32 v18, v6, v19, v18
.LBB272_1220:                           ;   in Loop: Header=BB272_1066 Depth=1
	s_or_b32 exec_lo, exec_lo, s18
.LBB272_1221:                           ;   in Loop: Header=BB272_1066 Depth=1
	s_delay_alu instid0(SALU_CYCLE_1)
	s_or_b32 exec_lo, exec_lo, s17
.LBB272_1222:                           ;   in Loop: Header=BB272_1066 Depth=1
	s_delay_alu instid0(SALU_CYCLE_1) | instskip(NEXT) | instid1(SALU_CYCLE_1)
	s_or_b32 exec_lo, exec_lo, s16
	s_mov_b32 s16, exec_lo
	v_cmpx_lt_u32_e32 0xffffff, v34
	s_cbranch_execz .LBB272_1230
; %bb.1223:                             ;   in Loop: Header=BB272_1066 Depth=1
	v_lshrrev_b32_e32 v6, 24, v34
	v_bfrev_b32_e32 v17, 1
	s_mov_b32 s17, exec_lo
	s_delay_alu instid0(VALU_DEP_2)
	v_cmpx_ne_u32_e32 0x80, v6
	s_cbranch_execz .LBB272_1229
; %bb.1224:                             ;   in Loop: Header=BB272_1066 Depth=1
	v_and_b32_e32 v36, 0x7f, v6
	v_mov_b32_e32 v17, 0x7c010000
	s_mov_b32 s18, exec_lo
	s_delay_alu instid0(VALU_DEP_2)
	v_cmpx_ne_u32_e32 0x7f, v36
	s_cbranch_execz .LBB272_1228
; %bb.1225:                             ;   in Loop: Header=BB272_1066 Depth=1
	v_dual_lshrrev_b32 v19, 3, v36 :: v_dual_bitop2_b32 v17, 7, v6 bitop3:0x40
	s_mov_b32 s19, exec_lo
	v_cmpx_gt_u32_e32 8, v36
; %bb.1226:                             ;   in Loop: Header=BB272_1066 Depth=1
	s_delay_alu instid0(VALU_DEP_2) | instskip(NEXT) | instid1(VALU_DEP_1)
	v_clz_i32_u32_e32 v17, v17
	v_min_u32_e32 v17, 32, v17
	s_delay_alu instid0(VALU_DEP_1) | instskip(NEXT) | instid1(VALU_DEP_1)
	v_subrev_nc_u32_e32 v19, 28, v17
	v_lshlrev_b64_e32 v[36:37], v19, v[6:7]
	s_delay_alu instid0(VALU_DEP_1)
	v_dual_sub_nc_u32 v19, 29, v17 :: v_dual_bitop2_b32 v17, 7, v36 bitop3:0x40
; %bb.1227:                             ;   in Loop: Header=BB272_1066 Depth=1
	s_or_b32 exec_lo, exec_lo, s19
	s_delay_alu instid0(VALU_DEP_1) | instskip(NEXT) | instid1(VALU_DEP_2)
	v_dual_lshlrev_b32 v6, 8, v6 :: v_dual_lshlrev_b32 v17, 23, v17
	v_lshl_add_u32 v19, v19, 10, 0x2000
	s_delay_alu instid0(VALU_DEP_1) | instskip(NEXT) | instid1(VALU_DEP_1)
	v_and_or_b32 v6, 0x8000, v6, v19
	v_lshl_or_b32 v17, v6, 16, v17
.LBB272_1228:                           ;   in Loop: Header=BB272_1066 Depth=1
	s_or_b32 exec_lo, exec_lo, s18
.LBB272_1229:                           ;   in Loop: Header=BB272_1066 Depth=1
	s_delay_alu instid0(SALU_CYCLE_1)
	s_or_b32 exec_lo, exec_lo, s17
.LBB272_1230:                           ;   in Loop: Header=BB272_1066 Depth=1
	s_delay_alu instid0(SALU_CYCLE_1) | instskip(SKIP_4) | instid1(VALU_DEP_3)
	s_or_b32 exec_lo, exec_lo, s16
	v_and_b32_e32 v37, 0xff, v35
	v_dual_mov_b32 v6, v35 :: v_dual_mov_b32 v36, 0
	v_mov_b32_e32 v19, 0
	s_mov_b32 s16, exec_lo
	v_cmpx_ne_u16_e32 0, v37
	s_cbranch_execz .LBB272_1238
; %bb.1231:                             ;   in Loop: Header=BB272_1066 Depth=1
	v_mov_b32_e32 v19, 0x8000
	s_mov_b32 s17, exec_lo
	v_cmpx_ne_u16_e32 0x80, v37
	s_cbranch_execz .LBB272_1237
; %bb.1232:                             ;   in Loop: Header=BB272_1066 Depth=1
	v_and_b32_e32 v38, 0x7f, v35
	v_mov_b32_e32 v19, 0x7c01
	s_mov_b32 s18, exec_lo
	s_delay_alu instid0(VALU_DEP_2)
	v_cmpx_ne_u32_e32 0x7f, v38
	s_cbranch_execz .LBB272_1236
; %bb.1233:                             ;   in Loop: Header=BB272_1066 Depth=1
	v_dual_lshrrev_b32 v37, 3, v38 :: v_dual_bitop2_b32 v19, 7, v35 bitop3:0x40
	s_mov_b32 s19, exec_lo
	v_cmpx_gt_u32_e32 8, v38
; %bb.1234:                             ;   in Loop: Header=BB272_1066 Depth=1
	s_delay_alu instid0(VALU_DEP_2) | instskip(NEXT) | instid1(VALU_DEP_1)
	v_clz_i32_u32_e32 v19, v19
	v_min_u32_e32 v19, 32, v19
	s_delay_alu instid0(VALU_DEP_1) | instskip(NEXT) | instid1(VALU_DEP_1)
	v_subrev_nc_u32_e32 v37, 28, v19
	v_lshlrev_b64_e32 v[38:39], v37, v[6:7]
	s_delay_alu instid0(VALU_DEP_1)
	v_dual_sub_nc_u32 v37, 29, v19 :: v_dual_bitop2_b32 v19, 7, v38 bitop3:0x40
; %bb.1235:                             ;   in Loop: Header=BB272_1066 Depth=1
	s_or_b32 exec_lo, exec_lo, s19
	v_lshlrev_b32_e32 v38, 8, v35
	s_delay_alu instid0(VALU_DEP_2) | instskip(NEXT) | instid1(VALU_DEP_3)
	v_lshl_add_u32 v37, v37, 10, 0x2000
	v_lshlrev_b32_e32 v19, 7, v19
	s_delay_alu instid0(VALU_DEP_3) | instskip(NEXT) | instid1(VALU_DEP_3)
	v_and_b32_e32 v38, 0x8000, v38
	v_and_b32_e32 v37, 0xfc00, v37
	s_delay_alu instid0(VALU_DEP_1)
	v_or3_b32 v19, v38, v37, v19
.LBB272_1236:                           ;   in Loop: Header=BB272_1066 Depth=1
	s_or_b32 exec_lo, exec_lo, s18
.LBB272_1237:                           ;   in Loop: Header=BB272_1066 Depth=1
	s_delay_alu instid0(SALU_CYCLE_1)
	s_or_b32 exec_lo, exec_lo, s17
.LBB272_1238:                           ;   in Loop: Header=BB272_1066 Depth=1
	s_delay_alu instid0(SALU_CYCLE_1) | instskip(SKIP_3) | instid1(VALU_DEP_2)
	s_or_b32 exec_lo, exec_lo, s16
	v_lshrrev_b16 v6, 8, v6
	v_mov_b32_e32 v37, 0
	s_mov_b32 s16, exec_lo
	v_cmpx_ne_u16_e32 0, v6
	s_cbranch_execz .LBB272_1246
; %bb.1239:                             ;   in Loop: Header=BB272_1066 Depth=1
	v_bfrev_b32_e32 v37, 1
	s_mov_b32 s17, exec_lo
	v_cmpx_ne_u16_e32 0x80, v6
	s_cbranch_execz .LBB272_1245
; %bb.1240:                             ;   in Loop: Header=BB272_1066 Depth=1
	v_and_b32_e32 v38, 0xffff, v6
	v_mov_b32_e32 v37, 0x7c010000
	s_mov_b32 s18, exec_lo
	s_delay_alu instid0(VALU_DEP_2) | instskip(NEXT) | instid1(VALU_DEP_1)
	v_and_b32_e32 v48, 0x7f, v38
	v_cmpx_ne_u32_e32 0x7f, v48
	s_cbranch_execz .LBB272_1244
; %bb.1241:                             ;   in Loop: Header=BB272_1066 Depth=1
	v_dual_lshrrev_b32 v39, 3, v48 :: v_dual_bitop2_b32 v37, 7, v38 bitop3:0x40
	s_mov_b32 s19, exec_lo
	v_cmpx_gt_u32_e32 8, v48
; %bb.1242:                             ;   in Loop: Header=BB272_1066 Depth=1
	s_delay_alu instid0(VALU_DEP_2) | instskip(NEXT) | instid1(VALU_DEP_1)
	v_clz_i32_u32_e32 v37, v37
	v_min_u32_e32 v37, 32, v37
	s_delay_alu instid0(VALU_DEP_1) | instskip(NEXT) | instid1(VALU_DEP_1)
	v_subrev_nc_u32_e32 v39, 28, v37
	v_lshlrev_b64_e32 v[48:49], v39, v[6:7]
	s_delay_alu instid0(VALU_DEP_1)
	v_dual_sub_nc_u32 v39, 29, v37 :: v_dual_bitop2_b32 v37, 7, v48 bitop3:0x40
; %bb.1243:                             ;   in Loop: Header=BB272_1066 Depth=1
	s_or_b32 exec_lo, exec_lo, s19
	s_delay_alu instid0(VALU_DEP_1) | instskip(NEXT) | instid1(VALU_DEP_2)
	v_dual_lshlrev_b32 v6, 8, v38 :: v_dual_lshlrev_b32 v37, 23, v37
	v_lshl_add_u32 v38, v39, 10, 0x2000
	s_delay_alu instid0(VALU_DEP_1) | instskip(NEXT) | instid1(VALU_DEP_1)
	v_and_or_b32 v6, 0x8000, v6, v38
	v_lshl_or_b32 v37, v6, 16, v37
.LBB272_1244:                           ;   in Loop: Header=BB272_1066 Depth=1
	s_or_b32 exec_lo, exec_lo, s18
.LBB272_1245:                           ;   in Loop: Header=BB272_1066 Depth=1
	s_delay_alu instid0(SALU_CYCLE_1)
	s_or_b32 exec_lo, exec_lo, s17
.LBB272_1246:                           ;   in Loop: Header=BB272_1066 Depth=1
	s_delay_alu instid0(SALU_CYCLE_1) | instskip(SKIP_2) | instid1(VALU_DEP_1)
	s_or_b32 exec_lo, exec_lo, s16
	v_lshrrev_b32_e32 v6, 16, v35
	s_mov_b32 s16, exec_lo
	v_and_b32_e32 v38, 0xff, v6
	s_delay_alu instid0(VALU_DEP_1)
	v_cmpx_ne_u16_e32 0, v38
	s_cbranch_execz .LBB272_1254
; %bb.1247:                             ;   in Loop: Header=BB272_1066 Depth=1
	v_mov_b32_e32 v36, 0x8000
	s_mov_b32 s17, exec_lo
	v_cmpx_ne_u16_e32 0x80, v38
	s_cbranch_execz .LBB272_1253
; %bb.1248:                             ;   in Loop: Header=BB272_1066 Depth=1
	v_bfe_u32 v39, v35, 16, 7
	v_mov_b32_e32 v36, 0x7c01
	s_mov_b32 s18, exec_lo
	s_delay_alu instid0(VALU_DEP_2)
	v_cmpx_ne_u32_e32 0x7f, v39
	s_cbranch_execz .LBB272_1252
; %bb.1249:                             ;   in Loop: Header=BB272_1066 Depth=1
	v_dual_lshrrev_b32 v38, 3, v39 :: v_dual_bitop2_b32 v36, 7, v6 bitop3:0x40
	s_mov_b32 s19, exec_lo
	v_cmpx_gt_u32_e32 8, v39
; %bb.1250:                             ;   in Loop: Header=BB272_1066 Depth=1
	s_delay_alu instid0(VALU_DEP_2) | instskip(NEXT) | instid1(VALU_DEP_1)
	v_clz_i32_u32_e32 v36, v36
	v_min_u32_e32 v36, 32, v36
	s_delay_alu instid0(VALU_DEP_1) | instskip(NEXT) | instid1(VALU_DEP_1)
	v_subrev_nc_u32_e32 v38, 28, v36
	v_lshlrev_b64_e32 v[48:49], v38, v[6:7]
	v_sub_nc_u32_e32 v38, 29, v36
	s_delay_alu instid0(VALU_DEP_2)
	v_and_b32_e32 v36, 7, v48
; %bb.1251:                             ;   in Loop: Header=BB272_1066 Depth=1
	s_or_b32 exec_lo, exec_lo, s19
	s_delay_alu instid0(VALU_DEP_1) | instskip(NEXT) | instid1(VALU_DEP_3)
	v_dual_lshlrev_b32 v6, 8, v6 :: v_dual_lshlrev_b32 v36, 7, v36
	v_lshl_add_u32 v38, v38, 10, 0x2000
	s_delay_alu instid0(VALU_DEP_2) | instskip(NEXT) | instid1(VALU_DEP_2)
	v_and_b32_e32 v6, 0x8000, v6
	v_and_b32_e32 v38, 0xfc00, v38
	s_delay_alu instid0(VALU_DEP_1)
	v_or3_b32 v36, v6, v38, v36
.LBB272_1252:                           ;   in Loop: Header=BB272_1066 Depth=1
	s_or_b32 exec_lo, exec_lo, s18
.LBB272_1253:                           ;   in Loop: Header=BB272_1066 Depth=1
	s_delay_alu instid0(SALU_CYCLE_1)
	s_or_b32 exec_lo, exec_lo, s17
.LBB272_1254:                           ;   in Loop: Header=BB272_1066 Depth=1
	s_delay_alu instid0(SALU_CYCLE_1)
	s_or_b32 exec_lo, exec_lo, s16
	v_cmp_lt_u64_e64 s1, s[2:3], v[34:35]
	v_mov_b32_e32 v34, 0
	s_and_saveexec_b32 s16, s1
	s_cbranch_execz .LBB272_1262
; %bb.1255:                             ;   in Loop: Header=BB272_1066 Depth=1
	v_lshrrev_b32_e32 v6, 24, v35
	v_bfrev_b32_e32 v34, 1
	s_mov_b32 s17, exec_lo
	s_delay_alu instid0(VALU_DEP_2)
	v_cmpx_ne_u32_e32 0x80, v6
	s_cbranch_execz .LBB272_1261
; %bb.1256:                             ;   in Loop: Header=BB272_1066 Depth=1
	v_and_b32_e32 v38, 0x7f, v6
	v_mov_b32_e32 v34, 0x7c010000
	s_mov_b32 s18, exec_lo
	s_delay_alu instid0(VALU_DEP_2)
	v_cmpx_ne_u32_e32 0x7f, v38
	s_cbranch_execz .LBB272_1260
; %bb.1257:                             ;   in Loop: Header=BB272_1066 Depth=1
	v_and_b32_e32 v34, 7, v6
	v_lshrrev_b32_e32 v35, 3, v38
	s_mov_b32 s19, exec_lo
	v_cmpx_gt_u32_e32 8, v38
; %bb.1258:                             ;   in Loop: Header=BB272_1066 Depth=1
	s_delay_alu instid0(VALU_DEP_3) | instskip(NEXT) | instid1(VALU_DEP_1)
	v_clz_i32_u32_e32 v34, v34
	v_min_u32_e32 v38, 32, v34
	s_delay_alu instid0(VALU_DEP_1) | instskip(NEXT) | instid1(VALU_DEP_1)
	v_subrev_nc_u32_e32 v34, 28, v38
	v_lshlrev_b64_e32 v[34:35], v34, v[6:7]
	v_sub_nc_u32_e32 v35, 29, v38
	s_delay_alu instid0(VALU_DEP_2)
	v_and_b32_e32 v34, 7, v34
; %bb.1259:                             ;   in Loop: Header=BB272_1066 Depth=1
	s_or_b32 exec_lo, exec_lo, s19
	v_lshlrev_b32_e32 v6, 8, v6
	s_delay_alu instid0(VALU_DEP_3) | instskip(NEXT) | instid1(VALU_DEP_3)
	v_lshl_add_u32 v35, v35, 10, 0x2000
	v_lshlrev_b32_e32 v34, 23, v34
	s_delay_alu instid0(VALU_DEP_2) | instskip(NEXT) | instid1(VALU_DEP_1)
	v_and_or_b32 v6, 0x8000, v6, v35
	v_lshl_or_b32 v34, v6, 16, v34
.LBB272_1260:                           ;   in Loop: Header=BB272_1066 Depth=1
	s_or_b32 exec_lo, exec_lo, s18
.LBB272_1261:                           ;   in Loop: Header=BB272_1066 Depth=1
	s_delay_alu instid0(SALU_CYCLE_1)
	s_or_b32 exec_lo, exec_lo, s17
.LBB272_1262:                           ;   in Loop: Header=BB272_1066 Depth=1
	s_delay_alu instid0(SALU_CYCLE_1) | instskip(SKIP_3) | instid1(VALU_DEP_3)
	s_or_b32 exec_lo, exec_lo, s16
	v_dual_lshrrev_b32 v6, 16, v0 :: v_dual_lshrrev_b32 v35, 16, v17
	v_or_b32_e32 v38, v0, v1
	v_or_b32_e32 v17, v17, v18
	v_cvt_f32_f16_e32 v1, v6
	s_delay_alu instid0(VALU_DEP_4)
	v_cvt_f32_f16_e32 v0, v35
	v_dual_lshrrev_b32 v35, 16, v37 :: v_dual_bitop2_b32 v6, v34, v36 bitop3:0x54
	v_lshrrev_b32_e32 v34, 16, v34
	v_cvt_f32_f16_e32 v18, v17
	s_wait_loadcnt_dscnt 0x0
	v_pk_mul_f32 v[0:1], v[16:17], v[0:1] op_sel_hi:[0,1]
	v_or_b32_e32 v17, v37, v19
	v_cvt_f32_f16_e32 v19, v38
	v_cvt_f32_f16_e32 v35, v35
	;; [unrolled: 1-line block ×3, first 2 shown]
	s_delay_alu instid0(VALU_DEP_3) | instskip(NEXT) | instid1(VALU_DEP_1)
	v_pk_mul_f32 v[18:19], v[16:17], v[18:19] op_sel_hi:[0,1]
	v_cvt_pk_f16_f32 v18, v18, v19
	s_delay_alu instid0(VALU_DEP_1) | instskip(SKIP_4) | instid1(VALU_DEP_3)
	v_lshrrev_b32_e32 v49, 16, v18
	v_cvt_f32_f16_e32 v36, v6
	v_cvt_pk_f16_f32 v6, v0, v1
	v_pk_mul_f32 v[0:1], v[16:17], v[34:35] op_sel_hi:[0,1]
	v_and_b32_e32 v48, 0xffff, v18
	v_lshlrev_b32_e32 v34, 16, v6
	v_cvt_f32_f16_e32 v37, v17
	s_delay_alu instid0(VALU_DEP_4) | instskip(SKIP_1) | instid1(VALU_DEP_4)
	v_cvt_pk_f16_f32 v0, v0, v1
	v_and_b32_e32 v35, 0xffff0000, v6
	v_or_b32_e32 v38, v34, v48
	s_delay_alu instid0(VALU_DEP_4) | instskip(NEXT) | instid1(VALU_DEP_3)
	v_pk_mul_f32 v[16:17], v[16:17], v[36:37] op_sel_hi:[0,1]
	v_or_b32_e32 v39, v35, v49
	s_delay_alu instid0(VALU_DEP_2) | instskip(SKIP_1) | instid1(VALU_DEP_2)
	v_cvt_pk_f16_f32 v1, v16, v17
	v_and_b32_e32 v17, 0xffff0000, v0
	v_dual_lshlrev_b32 v6, 16, v0 :: v_dual_lshrrev_b32 v19, 16, v1
	v_and_b32_e32 v16, 0xffff, v1
	s_delay_alu instid0(VALU_DEP_2) | instskip(NEXT) | instid1(VALU_DEP_2)
	v_or_b32_e32 v37, v17, v19
	v_or_b32_e32 v36, v6, v16
	s_and_saveexec_b32 s16, vcc_lo
	s_cbranch_execz .LBB272_1264
; %bb.1263:                             ;   in Loop: Header=BB272_1066 Depth=1
	v_cmp_lt_i32_e64 s1, v66, v13
	s_delay_alu instid0(VALU_DEP_1) | instskip(SKIP_1) | instid1(VALU_DEP_1)
	v_cndmask_b32_e64 v0, 0, v49, s1
	v_cmp_lt_i32_e64 s1, v83, v12
	v_cndmask_b32_e64 v1, 0, v48, s1
	v_cmp_lt_i32_e64 s1, v82, v13
	s_delay_alu instid0(VALU_DEP_1) | instskip(SKIP_1) | instid1(VALU_DEP_1)
	v_cndmask_b32_e64 v18, 0, v35, s1
	v_cmp_lt_i32_e64 s1, v81, v12
	v_cndmask_b32_e64 v34, 0, v34, s1
	v_cmp_lt_i32_e64 s1, v80, v13
	s_delay_alu instid0(VALU_DEP_4) | instskip(NEXT) | instid1(VALU_DEP_2)
	v_or_b32_e32 v39, v0, v18
	v_dual_cndmask_b32 v19, 0, v19, s1 :: v_dual_bitop2_b32 v38, v1, v34 bitop3:0x54
	v_cmp_lt_i32_e64 s1, v71, v12
	s_delay_alu instid0(VALU_DEP_1) | instskip(SKIP_1) | instid1(VALU_DEP_1)
	v_cndmask_b32_e64 v16, 0, v16, s1
	v_cmp_lt_i32_e64 s1, v70, v13
	v_cndmask_b32_e64 v17, 0, v17, s1
	v_cmp_lt_i32_e64 s1, v69, v12
	s_delay_alu instid0(VALU_DEP_1) | instskip(NEXT) | instid1(VALU_DEP_1)
	v_dual_cndmask_b32 v6, 0, v6, s1 :: v_dual_bitop2_b32 v37, v19, v17 bitop3:0x54
	v_or_b32_e32 v36, v16, v6
.LBB272_1264:                           ;   in Loop: Header=BB272_1066 Depth=1
	s_or_b32 exec_lo, exec_lo, s16
	;;#ASMSTART
	v_pk_mul_f16 v0, v53, v39;

	;;#ASMEND
	;;#ASMSTART
	v_pk_mul_f16 v1, v52, v38;

	;;#ASMEND
	;; [unrolled: 4-line block ×4, first 2 shown]
	;;#ASMSTART
	v_pk_add_f16 v0, v0, v1;

	;;#ASMEND
	;;#ASMSTART
	v_pk_add_f16 v0, v0, v6;

	;;#ASMEND
	;; [unrolled: 4-line block ×3, first 2 shown]
	v_and_b32_e32 v1, 0xffff, v0
	v_lshrrev_b32_e32 v0, 16, v0
	;;#ASMSTART
	v_cvt_f32_f16 v87, v1;
	;;#ASMEND
	v_mov_b32_e32 v1, 0
	;;#ASMSTART
	v_cvt_f32_f16 v96, v0;
	;;#ASMEND
	flat_load_b64 v[34:35], v[10:11] offset:768
	flat_load_b32 v16, v[22:23]
	v_mov_b32_e32 v0, 0
	s_mov_b32 s16, exec_lo
	s_wait_loadcnt_dscnt 0x101
	v_and_b32_e32 v6, 0xff, v34
	s_wait_xcnt 0x0
	s_delay_alu instid0(VALU_DEP_1)
	v_cmpx_ne_u16_e32 0, v6
	s_cbranch_execz .LBB272_1272
; %bb.1265:                             ;   in Loop: Header=BB272_1066 Depth=1
	v_mov_b32_e32 v1, 0x8000
	s_mov_b32 s17, exec_lo
	v_cmpx_ne_u16_e32 0x80, v6
	s_cbranch_execz .LBB272_1271
; %bb.1266:                             ;   in Loop: Header=BB272_1066 Depth=1
	v_and_b32_e32 v17, 0x7f, v34
	v_mov_b32_e32 v1, 0x7c01
	s_mov_b32 s18, exec_lo
	s_delay_alu instid0(VALU_DEP_2)
	v_cmpx_ne_u32_e32 0x7f, v17
	s_cbranch_execz .LBB272_1270
; %bb.1267:                             ;   in Loop: Header=BB272_1066 Depth=1
	v_dual_lshrrev_b32 v6, 3, v17 :: v_dual_bitop2_b32 v1, 7, v34 bitop3:0x40
	s_mov_b32 s19, exec_lo
	v_cmpx_gt_u32_e32 8, v17
; %bb.1268:                             ;   in Loop: Header=BB272_1066 Depth=1
	s_delay_alu instid0(VALU_DEP_2) | instskip(NEXT) | instid1(VALU_DEP_1)
	v_clz_i32_u32_e32 v1, v1
	v_min_u32_e32 v1, 32, v1
	s_delay_alu instid0(VALU_DEP_1) | instskip(NEXT) | instid1(VALU_DEP_1)
	v_subrev_nc_u32_e32 v6, 28, v1
	v_lshlrev_b64_e32 v[18:19], v6, v[34:35]
	s_delay_alu instid0(VALU_DEP_1)
	v_dual_sub_nc_u32 v6, 29, v1 :: v_dual_bitop2_b32 v1, 7, v18 bitop3:0x40
; %bb.1269:                             ;   in Loop: Header=BB272_1066 Depth=1
	s_or_b32 exec_lo, exec_lo, s19
	s_delay_alu instid0(VALU_DEP_1) | instskip(NEXT) | instid1(VALU_DEP_2)
	v_dual_lshlrev_b32 v17, 8, v34 :: v_dual_lshlrev_b32 v1, 7, v1
	v_lshl_add_u32 v6, v6, 10, 0x2000
	s_delay_alu instid0(VALU_DEP_2) | instskip(NEXT) | instid1(VALU_DEP_2)
	v_and_b32_e32 v17, 0x8000, v17
	v_and_b32_e32 v6, 0xfc00, v6
	s_delay_alu instid0(VALU_DEP_1)
	v_or3_b32 v1, v17, v6, v1
.LBB272_1270:                           ;   in Loop: Header=BB272_1066 Depth=1
	s_or_b32 exec_lo, exec_lo, s18
.LBB272_1271:                           ;   in Loop: Header=BB272_1066 Depth=1
	s_delay_alu instid0(SALU_CYCLE_1)
	s_or_b32 exec_lo, exec_lo, s17
.LBB272_1272:                           ;   in Loop: Header=BB272_1066 Depth=1
	s_delay_alu instid0(SALU_CYCLE_1) | instskip(SKIP_2) | instid1(VALU_DEP_1)
	s_or_b32 exec_lo, exec_lo, s16
	v_lshrrev_b16 v6, 8, v34
	s_mov_b32 s16, exec_lo
	v_cmpx_ne_u16_e32 0, v6
	s_cbranch_execz .LBB272_1280
; %bb.1273:                             ;   in Loop: Header=BB272_1066 Depth=1
	v_bfrev_b32_e32 v0, 1
	s_mov_b32 s17, exec_lo
	v_cmpx_ne_u16_e32 0x80, v6
	s_cbranch_execz .LBB272_1279
; %bb.1274:                             ;   in Loop: Header=BB272_1066 Depth=1
	v_and_b32_e32 v17, 0xffff, v6
	v_mov_b32_e32 v0, 0x7c010000
	s_mov_b32 s18, exec_lo
	s_delay_alu instid0(VALU_DEP_2) | instskip(NEXT) | instid1(VALU_DEP_1)
	v_and_b32_e32 v19, 0x7f, v17
	v_cmpx_ne_u32_e32 0x7f, v19
	s_cbranch_execz .LBB272_1278
; %bb.1275:                             ;   in Loop: Header=BB272_1066 Depth=1
	v_dual_lshrrev_b32 v18, 3, v19 :: v_dual_bitop2_b32 v0, 7, v17 bitop3:0x40
	s_mov_b32 s19, exec_lo
	v_cmpx_gt_u32_e32 8, v19
; %bb.1276:                             ;   in Loop: Header=BB272_1066 Depth=1
	s_delay_alu instid0(VALU_DEP_2) | instskip(NEXT) | instid1(VALU_DEP_1)
	v_clz_i32_u32_e32 v0, v0
	v_min_u32_e32 v0, 32, v0
	s_delay_alu instid0(VALU_DEP_1) | instskip(NEXT) | instid1(VALU_DEP_1)
	v_subrev_nc_u32_e32 v18, 28, v0
	v_lshlrev_b64_e32 v[36:37], v18, v[6:7]
	v_sub_nc_u32_e32 v18, 29, v0
	s_delay_alu instid0(VALU_DEP_2)
	v_and_b32_e32 v0, 7, v36
; %bb.1277:                             ;   in Loop: Header=BB272_1066 Depth=1
	s_or_b32 exec_lo, exec_lo, s19
	s_delay_alu instid0(VALU_DEP_1) | instskip(NEXT) | instid1(VALU_DEP_3)
	v_dual_lshlrev_b32 v6, 8, v17 :: v_dual_lshlrev_b32 v0, 23, v0
	v_lshl_add_u32 v17, v18, 10, 0x2000
	s_delay_alu instid0(VALU_DEP_1) | instskip(NEXT) | instid1(VALU_DEP_1)
	v_and_or_b32 v6, 0x8000, v6, v17
	v_lshl_or_b32 v0, v6, 16, v0
.LBB272_1278:                           ;   in Loop: Header=BB272_1066 Depth=1
	s_or_b32 exec_lo, exec_lo, s18
.LBB272_1279:                           ;   in Loop: Header=BB272_1066 Depth=1
	s_delay_alu instid0(SALU_CYCLE_1)
	s_or_b32 exec_lo, exec_lo, s17
.LBB272_1280:                           ;   in Loop: Header=BB272_1066 Depth=1
	s_delay_alu instid0(SALU_CYCLE_1) | instskip(SKIP_3) | instid1(VALU_DEP_2)
	s_or_b32 exec_lo, exec_lo, s16
	v_dual_mov_b32 v17, 0 :: v_dual_lshrrev_b32 v6, 16, v34
	v_mov_b32_e32 v18, 0
	s_mov_b32 s16, exec_lo
	v_and_b32_e32 v19, 0xff, v6
	s_delay_alu instid0(VALU_DEP_1)
	v_cmpx_ne_u16_e32 0, v19
	s_cbranch_execz .LBB272_1288
; %bb.1281:                             ;   in Loop: Header=BB272_1066 Depth=1
	v_mov_b32_e32 v18, 0x8000
	s_mov_b32 s17, exec_lo
	v_cmpx_ne_u16_e32 0x80, v19
	s_cbranch_execz .LBB272_1287
; %bb.1282:                             ;   in Loop: Header=BB272_1066 Depth=1
	v_bfe_u32 v36, v34, 16, 7
	v_mov_b32_e32 v18, 0x7c01
	s_mov_b32 s18, exec_lo
	s_delay_alu instid0(VALU_DEP_2)
	v_cmpx_ne_u32_e32 0x7f, v36
	s_cbranch_execz .LBB272_1286
; %bb.1283:                             ;   in Loop: Header=BB272_1066 Depth=1
	v_dual_lshrrev_b32 v19, 3, v36 :: v_dual_bitop2_b32 v18, 7, v6 bitop3:0x40
	s_mov_b32 s19, exec_lo
	v_cmpx_gt_u32_e32 8, v36
; %bb.1284:                             ;   in Loop: Header=BB272_1066 Depth=1
	s_delay_alu instid0(VALU_DEP_2) | instskip(NEXT) | instid1(VALU_DEP_1)
	v_clz_i32_u32_e32 v18, v18
	v_min_u32_e32 v36, 32, v18
	s_delay_alu instid0(VALU_DEP_1) | instskip(NEXT) | instid1(VALU_DEP_1)
	v_subrev_nc_u32_e32 v18, 28, v36
	v_lshlrev_b64_e32 v[18:19], v18, v[6:7]
	s_delay_alu instid0(VALU_DEP_1)
	v_dual_sub_nc_u32 v19, 29, v36 :: v_dual_bitop2_b32 v18, 7, v18 bitop3:0x40
; %bb.1285:                             ;   in Loop: Header=BB272_1066 Depth=1
	s_or_b32 exec_lo, exec_lo, s19
	v_lshlrev_b32_e32 v6, 8, v6
	s_delay_alu instid0(VALU_DEP_2) | instskip(NEXT) | instid1(VALU_DEP_3)
	v_lshl_add_u32 v19, v19, 10, 0x2000
	v_lshlrev_b32_e32 v18, 7, v18
	s_delay_alu instid0(VALU_DEP_3) | instskip(NEXT) | instid1(VALU_DEP_3)
	v_and_b32_e32 v6, 0x8000, v6
	v_and_b32_e32 v19, 0xfc00, v19
	s_delay_alu instid0(VALU_DEP_1)
	v_or3_b32 v18, v6, v19, v18
.LBB272_1286:                           ;   in Loop: Header=BB272_1066 Depth=1
	s_or_b32 exec_lo, exec_lo, s18
.LBB272_1287:                           ;   in Loop: Header=BB272_1066 Depth=1
	s_delay_alu instid0(SALU_CYCLE_1)
	s_or_b32 exec_lo, exec_lo, s17
.LBB272_1288:                           ;   in Loop: Header=BB272_1066 Depth=1
	s_delay_alu instid0(SALU_CYCLE_1) | instskip(NEXT) | instid1(SALU_CYCLE_1)
	s_or_b32 exec_lo, exec_lo, s16
	s_mov_b32 s16, exec_lo
	v_cmpx_lt_u32_e32 0xffffff, v34
	s_cbranch_execz .LBB272_1296
; %bb.1289:                             ;   in Loop: Header=BB272_1066 Depth=1
	v_lshrrev_b32_e32 v6, 24, v34
	v_bfrev_b32_e32 v17, 1
	s_mov_b32 s17, exec_lo
	s_delay_alu instid0(VALU_DEP_2)
	v_cmpx_ne_u32_e32 0x80, v6
	s_cbranch_execz .LBB272_1295
; %bb.1290:                             ;   in Loop: Header=BB272_1066 Depth=1
	v_and_b32_e32 v36, 0x7f, v6
	v_mov_b32_e32 v17, 0x7c010000
	s_mov_b32 s18, exec_lo
	s_delay_alu instid0(VALU_DEP_2)
	v_cmpx_ne_u32_e32 0x7f, v36
	s_cbranch_execz .LBB272_1294
; %bb.1291:                             ;   in Loop: Header=BB272_1066 Depth=1
	v_dual_lshrrev_b32 v19, 3, v36 :: v_dual_bitop2_b32 v17, 7, v6 bitop3:0x40
	s_mov_b32 s19, exec_lo
	v_cmpx_gt_u32_e32 8, v36
; %bb.1292:                             ;   in Loop: Header=BB272_1066 Depth=1
	s_delay_alu instid0(VALU_DEP_2) | instskip(NEXT) | instid1(VALU_DEP_1)
	v_clz_i32_u32_e32 v17, v17
	v_min_u32_e32 v17, 32, v17
	s_delay_alu instid0(VALU_DEP_1) | instskip(NEXT) | instid1(VALU_DEP_1)
	v_subrev_nc_u32_e32 v19, 28, v17
	v_lshlrev_b64_e32 v[36:37], v19, v[6:7]
	s_delay_alu instid0(VALU_DEP_1)
	v_dual_sub_nc_u32 v19, 29, v17 :: v_dual_bitop2_b32 v17, 7, v36 bitop3:0x40
; %bb.1293:                             ;   in Loop: Header=BB272_1066 Depth=1
	s_or_b32 exec_lo, exec_lo, s19
	s_delay_alu instid0(VALU_DEP_1) | instskip(NEXT) | instid1(VALU_DEP_2)
	v_dual_lshlrev_b32 v6, 8, v6 :: v_dual_lshlrev_b32 v17, 23, v17
	v_lshl_add_u32 v19, v19, 10, 0x2000
	s_delay_alu instid0(VALU_DEP_1) | instskip(NEXT) | instid1(VALU_DEP_1)
	v_and_or_b32 v6, 0x8000, v6, v19
	v_lshl_or_b32 v17, v6, 16, v17
.LBB272_1294:                           ;   in Loop: Header=BB272_1066 Depth=1
	s_or_b32 exec_lo, exec_lo, s18
.LBB272_1295:                           ;   in Loop: Header=BB272_1066 Depth=1
	s_delay_alu instid0(SALU_CYCLE_1)
	s_or_b32 exec_lo, exec_lo, s17
.LBB272_1296:                           ;   in Loop: Header=BB272_1066 Depth=1
	s_delay_alu instid0(SALU_CYCLE_1) | instskip(SKIP_4) | instid1(VALU_DEP_3)
	s_or_b32 exec_lo, exec_lo, s16
	v_and_b32_e32 v37, 0xff, v35
	v_dual_mov_b32 v6, v35 :: v_dual_mov_b32 v36, 0
	v_mov_b32_e32 v19, 0
	s_mov_b32 s16, exec_lo
	v_cmpx_ne_u16_e32 0, v37
	s_cbranch_execz .LBB272_1304
; %bb.1297:                             ;   in Loop: Header=BB272_1066 Depth=1
	v_mov_b32_e32 v19, 0x8000
	s_mov_b32 s17, exec_lo
	v_cmpx_ne_u16_e32 0x80, v37
	s_cbranch_execz .LBB272_1303
; %bb.1298:                             ;   in Loop: Header=BB272_1066 Depth=1
	v_and_b32_e32 v38, 0x7f, v35
	v_mov_b32_e32 v19, 0x7c01
	s_mov_b32 s18, exec_lo
	s_delay_alu instid0(VALU_DEP_2)
	v_cmpx_ne_u32_e32 0x7f, v38
	s_cbranch_execz .LBB272_1302
; %bb.1299:                             ;   in Loop: Header=BB272_1066 Depth=1
	v_dual_lshrrev_b32 v37, 3, v38 :: v_dual_bitop2_b32 v19, 7, v35 bitop3:0x40
	s_mov_b32 s19, exec_lo
	v_cmpx_gt_u32_e32 8, v38
; %bb.1300:                             ;   in Loop: Header=BB272_1066 Depth=1
	s_delay_alu instid0(VALU_DEP_2) | instskip(NEXT) | instid1(VALU_DEP_1)
	v_clz_i32_u32_e32 v19, v19
	v_min_u32_e32 v19, 32, v19
	s_delay_alu instid0(VALU_DEP_1) | instskip(NEXT) | instid1(VALU_DEP_1)
	v_subrev_nc_u32_e32 v37, 28, v19
	v_lshlrev_b64_e32 v[38:39], v37, v[6:7]
	s_delay_alu instid0(VALU_DEP_1)
	v_dual_sub_nc_u32 v37, 29, v19 :: v_dual_bitop2_b32 v19, 7, v38 bitop3:0x40
; %bb.1301:                             ;   in Loop: Header=BB272_1066 Depth=1
	s_or_b32 exec_lo, exec_lo, s19
	v_lshlrev_b32_e32 v38, 8, v35
	s_delay_alu instid0(VALU_DEP_2) | instskip(NEXT) | instid1(VALU_DEP_3)
	v_lshl_add_u32 v37, v37, 10, 0x2000
	v_lshlrev_b32_e32 v19, 7, v19
	s_delay_alu instid0(VALU_DEP_3) | instskip(NEXT) | instid1(VALU_DEP_3)
	v_and_b32_e32 v38, 0x8000, v38
	v_and_b32_e32 v37, 0xfc00, v37
	s_delay_alu instid0(VALU_DEP_1)
	v_or3_b32 v19, v38, v37, v19
.LBB272_1302:                           ;   in Loop: Header=BB272_1066 Depth=1
	s_or_b32 exec_lo, exec_lo, s18
.LBB272_1303:                           ;   in Loop: Header=BB272_1066 Depth=1
	s_delay_alu instid0(SALU_CYCLE_1)
	s_or_b32 exec_lo, exec_lo, s17
.LBB272_1304:                           ;   in Loop: Header=BB272_1066 Depth=1
	s_delay_alu instid0(SALU_CYCLE_1) | instskip(SKIP_3) | instid1(VALU_DEP_2)
	s_or_b32 exec_lo, exec_lo, s16
	v_lshrrev_b16 v6, 8, v6
	v_mov_b32_e32 v37, 0
	s_mov_b32 s16, exec_lo
	v_cmpx_ne_u16_e32 0, v6
	s_cbranch_execz .LBB272_1312
; %bb.1305:                             ;   in Loop: Header=BB272_1066 Depth=1
	v_bfrev_b32_e32 v37, 1
	s_mov_b32 s17, exec_lo
	v_cmpx_ne_u16_e32 0x80, v6
	s_cbranch_execz .LBB272_1311
; %bb.1306:                             ;   in Loop: Header=BB272_1066 Depth=1
	v_and_b32_e32 v38, 0xffff, v6
	v_mov_b32_e32 v37, 0x7c010000
	s_mov_b32 s18, exec_lo
	s_delay_alu instid0(VALU_DEP_2) | instskip(NEXT) | instid1(VALU_DEP_1)
	v_and_b32_e32 v48, 0x7f, v38
	v_cmpx_ne_u32_e32 0x7f, v48
	s_cbranch_execz .LBB272_1310
; %bb.1307:                             ;   in Loop: Header=BB272_1066 Depth=1
	v_dual_lshrrev_b32 v39, 3, v48 :: v_dual_bitop2_b32 v37, 7, v38 bitop3:0x40
	s_mov_b32 s19, exec_lo
	v_cmpx_gt_u32_e32 8, v48
; %bb.1308:                             ;   in Loop: Header=BB272_1066 Depth=1
	s_delay_alu instid0(VALU_DEP_2) | instskip(NEXT) | instid1(VALU_DEP_1)
	v_clz_i32_u32_e32 v37, v37
	v_min_u32_e32 v37, 32, v37
	s_delay_alu instid0(VALU_DEP_1) | instskip(NEXT) | instid1(VALU_DEP_1)
	v_subrev_nc_u32_e32 v39, 28, v37
	v_lshlrev_b64_e32 v[48:49], v39, v[6:7]
	s_delay_alu instid0(VALU_DEP_1)
	v_dual_sub_nc_u32 v39, 29, v37 :: v_dual_bitop2_b32 v37, 7, v48 bitop3:0x40
; %bb.1309:                             ;   in Loop: Header=BB272_1066 Depth=1
	s_or_b32 exec_lo, exec_lo, s19
	s_delay_alu instid0(VALU_DEP_1) | instskip(NEXT) | instid1(VALU_DEP_2)
	v_dual_lshlrev_b32 v6, 8, v38 :: v_dual_lshlrev_b32 v37, 23, v37
	v_lshl_add_u32 v38, v39, 10, 0x2000
	s_delay_alu instid0(VALU_DEP_1) | instskip(NEXT) | instid1(VALU_DEP_1)
	v_and_or_b32 v6, 0x8000, v6, v38
	v_lshl_or_b32 v37, v6, 16, v37
.LBB272_1310:                           ;   in Loop: Header=BB272_1066 Depth=1
	s_or_b32 exec_lo, exec_lo, s18
.LBB272_1311:                           ;   in Loop: Header=BB272_1066 Depth=1
	s_delay_alu instid0(SALU_CYCLE_1)
	s_or_b32 exec_lo, exec_lo, s17
.LBB272_1312:                           ;   in Loop: Header=BB272_1066 Depth=1
	s_delay_alu instid0(SALU_CYCLE_1) | instskip(SKIP_2) | instid1(VALU_DEP_1)
	s_or_b32 exec_lo, exec_lo, s16
	v_lshrrev_b32_e32 v6, 16, v35
	s_mov_b32 s16, exec_lo
	v_and_b32_e32 v38, 0xff, v6
	s_delay_alu instid0(VALU_DEP_1)
	v_cmpx_ne_u16_e32 0, v38
	s_cbranch_execz .LBB272_1320
; %bb.1313:                             ;   in Loop: Header=BB272_1066 Depth=1
	v_mov_b32_e32 v36, 0x8000
	s_mov_b32 s17, exec_lo
	v_cmpx_ne_u16_e32 0x80, v38
	s_cbranch_execz .LBB272_1319
; %bb.1314:                             ;   in Loop: Header=BB272_1066 Depth=1
	v_bfe_u32 v39, v35, 16, 7
	v_mov_b32_e32 v36, 0x7c01
	s_mov_b32 s18, exec_lo
	s_delay_alu instid0(VALU_DEP_2)
	v_cmpx_ne_u32_e32 0x7f, v39
	s_cbranch_execz .LBB272_1318
; %bb.1315:                             ;   in Loop: Header=BB272_1066 Depth=1
	v_dual_lshrrev_b32 v38, 3, v39 :: v_dual_bitop2_b32 v36, 7, v6 bitop3:0x40
	s_mov_b32 s19, exec_lo
	v_cmpx_gt_u32_e32 8, v39
; %bb.1316:                             ;   in Loop: Header=BB272_1066 Depth=1
	s_delay_alu instid0(VALU_DEP_2) | instskip(NEXT) | instid1(VALU_DEP_1)
	v_clz_i32_u32_e32 v36, v36
	v_min_u32_e32 v36, 32, v36
	s_delay_alu instid0(VALU_DEP_1) | instskip(NEXT) | instid1(VALU_DEP_1)
	v_subrev_nc_u32_e32 v38, 28, v36
	v_lshlrev_b64_e32 v[48:49], v38, v[6:7]
	v_sub_nc_u32_e32 v38, 29, v36
	s_delay_alu instid0(VALU_DEP_2)
	v_and_b32_e32 v36, 7, v48
; %bb.1317:                             ;   in Loop: Header=BB272_1066 Depth=1
	s_or_b32 exec_lo, exec_lo, s19
	s_delay_alu instid0(VALU_DEP_1) | instskip(NEXT) | instid1(VALU_DEP_3)
	v_dual_lshlrev_b32 v6, 8, v6 :: v_dual_lshlrev_b32 v36, 7, v36
	v_lshl_add_u32 v38, v38, 10, 0x2000
	s_delay_alu instid0(VALU_DEP_2) | instskip(NEXT) | instid1(VALU_DEP_2)
	v_and_b32_e32 v6, 0x8000, v6
	v_and_b32_e32 v38, 0xfc00, v38
	s_delay_alu instid0(VALU_DEP_1)
	v_or3_b32 v36, v6, v38, v36
.LBB272_1318:                           ;   in Loop: Header=BB272_1066 Depth=1
	s_or_b32 exec_lo, exec_lo, s18
.LBB272_1319:                           ;   in Loop: Header=BB272_1066 Depth=1
	s_delay_alu instid0(SALU_CYCLE_1)
	s_or_b32 exec_lo, exec_lo, s17
.LBB272_1320:                           ;   in Loop: Header=BB272_1066 Depth=1
	s_delay_alu instid0(SALU_CYCLE_1)
	s_or_b32 exec_lo, exec_lo, s16
	v_cmp_lt_u64_e64 s1, s[2:3], v[34:35]
	v_mov_b32_e32 v34, 0
	s_and_saveexec_b32 s16, s1
	s_cbranch_execz .LBB272_1328
; %bb.1321:                             ;   in Loop: Header=BB272_1066 Depth=1
	v_lshrrev_b32_e32 v6, 24, v35
	v_bfrev_b32_e32 v34, 1
	s_mov_b32 s17, exec_lo
	s_delay_alu instid0(VALU_DEP_2)
	v_cmpx_ne_u32_e32 0x80, v6
	s_cbranch_execz .LBB272_1327
; %bb.1322:                             ;   in Loop: Header=BB272_1066 Depth=1
	v_and_b32_e32 v38, 0x7f, v6
	v_mov_b32_e32 v34, 0x7c010000
	s_mov_b32 s18, exec_lo
	s_delay_alu instid0(VALU_DEP_2)
	v_cmpx_ne_u32_e32 0x7f, v38
	s_cbranch_execz .LBB272_1326
; %bb.1323:                             ;   in Loop: Header=BB272_1066 Depth=1
	v_and_b32_e32 v34, 7, v6
	v_lshrrev_b32_e32 v35, 3, v38
	s_mov_b32 s19, exec_lo
	v_cmpx_gt_u32_e32 8, v38
; %bb.1324:                             ;   in Loop: Header=BB272_1066 Depth=1
	s_delay_alu instid0(VALU_DEP_3) | instskip(NEXT) | instid1(VALU_DEP_1)
	v_clz_i32_u32_e32 v34, v34
	v_min_u32_e32 v38, 32, v34
	s_delay_alu instid0(VALU_DEP_1) | instskip(NEXT) | instid1(VALU_DEP_1)
	v_subrev_nc_u32_e32 v34, 28, v38
	v_lshlrev_b64_e32 v[34:35], v34, v[6:7]
	v_sub_nc_u32_e32 v35, 29, v38
	s_delay_alu instid0(VALU_DEP_2)
	v_and_b32_e32 v34, 7, v34
; %bb.1325:                             ;   in Loop: Header=BB272_1066 Depth=1
	s_or_b32 exec_lo, exec_lo, s19
	v_lshlrev_b32_e32 v6, 8, v6
	s_delay_alu instid0(VALU_DEP_3) | instskip(NEXT) | instid1(VALU_DEP_3)
	v_lshl_add_u32 v35, v35, 10, 0x2000
	v_lshlrev_b32_e32 v34, 23, v34
	s_delay_alu instid0(VALU_DEP_2) | instskip(NEXT) | instid1(VALU_DEP_1)
	v_and_or_b32 v6, 0x8000, v6, v35
	v_lshl_or_b32 v34, v6, 16, v34
.LBB272_1326:                           ;   in Loop: Header=BB272_1066 Depth=1
	s_or_b32 exec_lo, exec_lo, s18
.LBB272_1327:                           ;   in Loop: Header=BB272_1066 Depth=1
	s_delay_alu instid0(SALU_CYCLE_1)
	s_or_b32 exec_lo, exec_lo, s17
.LBB272_1328:                           ;   in Loop: Header=BB272_1066 Depth=1
	s_delay_alu instid0(SALU_CYCLE_1) | instskip(SKIP_3) | instid1(VALU_DEP_3)
	s_or_b32 exec_lo, exec_lo, s16
	v_dual_lshrrev_b32 v6, 16, v0 :: v_dual_lshrrev_b32 v35, 16, v17
	v_or_b32_e32 v38, v0, v1
	v_or_b32_e32 v17, v17, v18
	v_cvt_f32_f16_e32 v1, v6
	s_delay_alu instid0(VALU_DEP_4)
	v_cvt_f32_f16_e32 v0, v35
	v_dual_lshrrev_b32 v35, 16, v37 :: v_dual_bitop2_b32 v6, v34, v36 bitop3:0x54
	v_lshrrev_b32_e32 v34, 16, v34
	v_cvt_f32_f16_e32 v18, v17
	s_wait_loadcnt_dscnt 0x0
	v_pk_mul_f32 v[0:1], v[16:17], v[0:1] op_sel_hi:[0,1]
	v_or_b32_e32 v17, v37, v19
	v_cvt_f32_f16_e32 v19, v38
	v_cvt_f32_f16_e32 v35, v35
	;; [unrolled: 1-line block ×3, first 2 shown]
	s_delay_alu instid0(VALU_DEP_3) | instskip(NEXT) | instid1(VALU_DEP_1)
	v_pk_mul_f32 v[18:19], v[16:17], v[18:19] op_sel_hi:[0,1]
	v_cvt_pk_f16_f32 v18, v18, v19
	s_delay_alu instid0(VALU_DEP_1) | instskip(SKIP_4) | instid1(VALU_DEP_3)
	v_lshrrev_b32_e32 v49, 16, v18
	v_cvt_f32_f16_e32 v36, v6
	v_cvt_pk_f16_f32 v6, v0, v1
	v_pk_mul_f32 v[0:1], v[16:17], v[34:35] op_sel_hi:[0,1]
	v_and_b32_e32 v48, 0xffff, v18
	v_lshlrev_b32_e32 v34, 16, v6
	v_cvt_f32_f16_e32 v37, v17
	s_delay_alu instid0(VALU_DEP_4) | instskip(SKIP_1) | instid1(VALU_DEP_4)
	v_cvt_pk_f16_f32 v0, v0, v1
	v_and_b32_e32 v35, 0xffff0000, v6
	v_or_b32_e32 v38, v34, v48
	s_delay_alu instid0(VALU_DEP_4) | instskip(NEXT) | instid1(VALU_DEP_3)
	v_pk_mul_f32 v[16:17], v[16:17], v[36:37] op_sel_hi:[0,1]
	v_or_b32_e32 v39, v35, v49
	s_delay_alu instid0(VALU_DEP_2) | instskip(SKIP_1) | instid1(VALU_DEP_2)
	v_cvt_pk_f16_f32 v1, v16, v17
	v_and_b32_e32 v17, 0xffff0000, v0
	v_dual_lshlrev_b32 v6, 16, v0 :: v_dual_lshrrev_b32 v19, 16, v1
	v_and_b32_e32 v16, 0xffff, v1
	s_delay_alu instid0(VALU_DEP_2) | instskip(NEXT) | instid1(VALU_DEP_2)
	v_or_b32_e32 v37, v17, v19
	v_or_b32_e32 v36, v6, v16
	s_and_saveexec_b32 s16, vcc_lo
	s_cbranch_execz .LBB272_1330
; %bb.1329:                             ;   in Loop: Header=BB272_1066 Depth=1
	v_cmp_lt_i32_e64 s1, v66, v13
	s_delay_alu instid0(VALU_DEP_1) | instskip(SKIP_1) | instid1(VALU_DEP_1)
	v_cndmask_b32_e64 v0, 0, v49, s1
	v_cmp_lt_i32_e64 s1, v83, v12
	v_cndmask_b32_e64 v1, 0, v48, s1
	v_cmp_lt_i32_e64 s1, v82, v13
	s_delay_alu instid0(VALU_DEP_1) | instskip(SKIP_1) | instid1(VALU_DEP_1)
	v_cndmask_b32_e64 v18, 0, v35, s1
	v_cmp_lt_i32_e64 s1, v81, v12
	v_cndmask_b32_e64 v34, 0, v34, s1
	v_cmp_lt_i32_e64 s1, v80, v13
	s_delay_alu instid0(VALU_DEP_4) | instskip(NEXT) | instid1(VALU_DEP_2)
	v_or_b32_e32 v39, v0, v18
	v_dual_cndmask_b32 v19, 0, v19, s1 :: v_dual_bitop2_b32 v38, v1, v34 bitop3:0x54
	v_cmp_lt_i32_e64 s1, v71, v12
	s_delay_alu instid0(VALU_DEP_1) | instskip(SKIP_1) | instid1(VALU_DEP_1)
	v_cndmask_b32_e64 v16, 0, v16, s1
	v_cmp_lt_i32_e64 s1, v70, v13
	v_cndmask_b32_e64 v17, 0, v17, s1
	v_cmp_lt_i32_e64 s1, v69, v12
	s_delay_alu instid0(VALU_DEP_1) | instskip(NEXT) | instid1(VALU_DEP_1)
	v_dual_cndmask_b32 v6, 0, v6, s1 :: v_dual_bitop2_b32 v37, v19, v17 bitop3:0x54
	v_or_b32_e32 v36, v16, v6
.LBB272_1330:                           ;   in Loop: Header=BB272_1066 Depth=1
	s_or_b32 exec_lo, exec_lo, s16
	;;#ASMSTART
	v_pk_mul_f16 v0, v53, v39;

	;;#ASMEND
	;;#ASMSTART
	v_pk_mul_f16 v1, v52, v38;

	;;#ASMEND
	;; [unrolled: 4-line block ×4, first 2 shown]
	;;#ASMSTART
	v_pk_add_f16 v0, v0, v1;

	;;#ASMEND
	;;#ASMSTART
	v_pk_add_f16 v0, v0, v6;

	;;#ASMEND
	;; [unrolled: 4-line block ×3, first 2 shown]
	v_and_b32_e32 v1, 0xffff, v0
	v_lshrrev_b32_e32 v0, 16, v0
	;;#ASMSTART
	v_cvt_f32_f16 v97, v1;
	;;#ASMEND
	v_mov_b32_e32 v1, 0
	;;#ASMSTART
	v_cvt_f32_f16 v98, v0;
	;;#ASMEND
	flat_load_b64 v[34:35], v[10:11] offset:1024
	flat_load_b32 v16, v[22:23]
	v_mov_b32_e32 v0, 0
	s_mov_b32 s16, exec_lo
	s_wait_loadcnt_dscnt 0x101
	v_and_b32_e32 v6, 0xff, v34
	s_wait_xcnt 0x0
	s_delay_alu instid0(VALU_DEP_1)
	v_cmpx_ne_u16_e32 0, v6
	s_cbranch_execz .LBB272_1338
; %bb.1331:                             ;   in Loop: Header=BB272_1066 Depth=1
	v_mov_b32_e32 v1, 0x8000
	s_mov_b32 s17, exec_lo
	v_cmpx_ne_u16_e32 0x80, v6
	s_cbranch_execz .LBB272_1337
; %bb.1332:                             ;   in Loop: Header=BB272_1066 Depth=1
	v_and_b32_e32 v17, 0x7f, v34
	v_mov_b32_e32 v1, 0x7c01
	s_mov_b32 s18, exec_lo
	s_delay_alu instid0(VALU_DEP_2)
	v_cmpx_ne_u32_e32 0x7f, v17
	s_cbranch_execz .LBB272_1336
; %bb.1333:                             ;   in Loop: Header=BB272_1066 Depth=1
	v_dual_lshrrev_b32 v6, 3, v17 :: v_dual_bitop2_b32 v1, 7, v34 bitop3:0x40
	s_mov_b32 s19, exec_lo
	v_cmpx_gt_u32_e32 8, v17
; %bb.1334:                             ;   in Loop: Header=BB272_1066 Depth=1
	s_delay_alu instid0(VALU_DEP_2) | instskip(NEXT) | instid1(VALU_DEP_1)
	v_clz_i32_u32_e32 v1, v1
	v_min_u32_e32 v1, 32, v1
	s_delay_alu instid0(VALU_DEP_1) | instskip(NEXT) | instid1(VALU_DEP_1)
	v_subrev_nc_u32_e32 v6, 28, v1
	v_lshlrev_b64_e32 v[18:19], v6, v[34:35]
	s_delay_alu instid0(VALU_DEP_1)
	v_dual_sub_nc_u32 v6, 29, v1 :: v_dual_bitop2_b32 v1, 7, v18 bitop3:0x40
; %bb.1335:                             ;   in Loop: Header=BB272_1066 Depth=1
	s_or_b32 exec_lo, exec_lo, s19
	s_delay_alu instid0(VALU_DEP_1) | instskip(NEXT) | instid1(VALU_DEP_2)
	v_dual_lshlrev_b32 v17, 8, v34 :: v_dual_lshlrev_b32 v1, 7, v1
	v_lshl_add_u32 v6, v6, 10, 0x2000
	s_delay_alu instid0(VALU_DEP_2) | instskip(NEXT) | instid1(VALU_DEP_2)
	v_and_b32_e32 v17, 0x8000, v17
	v_and_b32_e32 v6, 0xfc00, v6
	s_delay_alu instid0(VALU_DEP_1)
	v_or3_b32 v1, v17, v6, v1
.LBB272_1336:                           ;   in Loop: Header=BB272_1066 Depth=1
	s_or_b32 exec_lo, exec_lo, s18
.LBB272_1337:                           ;   in Loop: Header=BB272_1066 Depth=1
	s_delay_alu instid0(SALU_CYCLE_1)
	s_or_b32 exec_lo, exec_lo, s17
.LBB272_1338:                           ;   in Loop: Header=BB272_1066 Depth=1
	s_delay_alu instid0(SALU_CYCLE_1) | instskip(SKIP_2) | instid1(VALU_DEP_1)
	s_or_b32 exec_lo, exec_lo, s16
	v_lshrrev_b16 v6, 8, v34
	s_mov_b32 s16, exec_lo
	v_cmpx_ne_u16_e32 0, v6
	s_cbranch_execz .LBB272_1346
; %bb.1339:                             ;   in Loop: Header=BB272_1066 Depth=1
	v_bfrev_b32_e32 v0, 1
	s_mov_b32 s17, exec_lo
	v_cmpx_ne_u16_e32 0x80, v6
	s_cbranch_execz .LBB272_1345
; %bb.1340:                             ;   in Loop: Header=BB272_1066 Depth=1
	v_and_b32_e32 v17, 0xffff, v6
	v_mov_b32_e32 v0, 0x7c010000
	s_mov_b32 s18, exec_lo
	s_delay_alu instid0(VALU_DEP_2) | instskip(NEXT) | instid1(VALU_DEP_1)
	v_and_b32_e32 v19, 0x7f, v17
	v_cmpx_ne_u32_e32 0x7f, v19
	s_cbranch_execz .LBB272_1344
; %bb.1341:                             ;   in Loop: Header=BB272_1066 Depth=1
	v_dual_lshrrev_b32 v18, 3, v19 :: v_dual_bitop2_b32 v0, 7, v17 bitop3:0x40
	s_mov_b32 s19, exec_lo
	v_cmpx_gt_u32_e32 8, v19
; %bb.1342:                             ;   in Loop: Header=BB272_1066 Depth=1
	s_delay_alu instid0(VALU_DEP_2) | instskip(NEXT) | instid1(VALU_DEP_1)
	v_clz_i32_u32_e32 v0, v0
	v_min_u32_e32 v0, 32, v0
	s_delay_alu instid0(VALU_DEP_1) | instskip(NEXT) | instid1(VALU_DEP_1)
	v_subrev_nc_u32_e32 v18, 28, v0
	v_lshlrev_b64_e32 v[36:37], v18, v[6:7]
	v_sub_nc_u32_e32 v18, 29, v0
	s_delay_alu instid0(VALU_DEP_2)
	v_and_b32_e32 v0, 7, v36
; %bb.1343:                             ;   in Loop: Header=BB272_1066 Depth=1
	s_or_b32 exec_lo, exec_lo, s19
	s_delay_alu instid0(VALU_DEP_1) | instskip(NEXT) | instid1(VALU_DEP_3)
	v_dual_lshlrev_b32 v6, 8, v17 :: v_dual_lshlrev_b32 v0, 23, v0
	v_lshl_add_u32 v17, v18, 10, 0x2000
	s_delay_alu instid0(VALU_DEP_1) | instskip(NEXT) | instid1(VALU_DEP_1)
	v_and_or_b32 v6, 0x8000, v6, v17
	v_lshl_or_b32 v0, v6, 16, v0
.LBB272_1344:                           ;   in Loop: Header=BB272_1066 Depth=1
	s_or_b32 exec_lo, exec_lo, s18
.LBB272_1345:                           ;   in Loop: Header=BB272_1066 Depth=1
	s_delay_alu instid0(SALU_CYCLE_1)
	s_or_b32 exec_lo, exec_lo, s17
.LBB272_1346:                           ;   in Loop: Header=BB272_1066 Depth=1
	s_delay_alu instid0(SALU_CYCLE_1) | instskip(SKIP_3) | instid1(VALU_DEP_2)
	s_or_b32 exec_lo, exec_lo, s16
	v_dual_mov_b32 v17, 0 :: v_dual_lshrrev_b32 v6, 16, v34
	v_mov_b32_e32 v18, 0
	s_mov_b32 s16, exec_lo
	v_and_b32_e32 v19, 0xff, v6
	s_delay_alu instid0(VALU_DEP_1)
	v_cmpx_ne_u16_e32 0, v19
	s_cbranch_execz .LBB272_1354
; %bb.1347:                             ;   in Loop: Header=BB272_1066 Depth=1
	v_mov_b32_e32 v18, 0x8000
	s_mov_b32 s17, exec_lo
	v_cmpx_ne_u16_e32 0x80, v19
	s_cbranch_execz .LBB272_1353
; %bb.1348:                             ;   in Loop: Header=BB272_1066 Depth=1
	v_bfe_u32 v36, v34, 16, 7
	v_mov_b32_e32 v18, 0x7c01
	s_mov_b32 s18, exec_lo
	s_delay_alu instid0(VALU_DEP_2)
	v_cmpx_ne_u32_e32 0x7f, v36
	s_cbranch_execz .LBB272_1352
; %bb.1349:                             ;   in Loop: Header=BB272_1066 Depth=1
	v_dual_lshrrev_b32 v19, 3, v36 :: v_dual_bitop2_b32 v18, 7, v6 bitop3:0x40
	s_mov_b32 s19, exec_lo
	v_cmpx_gt_u32_e32 8, v36
; %bb.1350:                             ;   in Loop: Header=BB272_1066 Depth=1
	s_delay_alu instid0(VALU_DEP_2) | instskip(NEXT) | instid1(VALU_DEP_1)
	v_clz_i32_u32_e32 v18, v18
	v_min_u32_e32 v36, 32, v18
	s_delay_alu instid0(VALU_DEP_1) | instskip(NEXT) | instid1(VALU_DEP_1)
	v_subrev_nc_u32_e32 v18, 28, v36
	v_lshlrev_b64_e32 v[18:19], v18, v[6:7]
	s_delay_alu instid0(VALU_DEP_1)
	v_dual_sub_nc_u32 v19, 29, v36 :: v_dual_bitop2_b32 v18, 7, v18 bitop3:0x40
; %bb.1351:                             ;   in Loop: Header=BB272_1066 Depth=1
	s_or_b32 exec_lo, exec_lo, s19
	v_lshlrev_b32_e32 v6, 8, v6
	s_delay_alu instid0(VALU_DEP_2) | instskip(NEXT) | instid1(VALU_DEP_3)
	v_lshl_add_u32 v19, v19, 10, 0x2000
	v_lshlrev_b32_e32 v18, 7, v18
	s_delay_alu instid0(VALU_DEP_3) | instskip(NEXT) | instid1(VALU_DEP_3)
	v_and_b32_e32 v6, 0x8000, v6
	v_and_b32_e32 v19, 0xfc00, v19
	s_delay_alu instid0(VALU_DEP_1)
	v_or3_b32 v18, v6, v19, v18
.LBB272_1352:                           ;   in Loop: Header=BB272_1066 Depth=1
	s_or_b32 exec_lo, exec_lo, s18
.LBB272_1353:                           ;   in Loop: Header=BB272_1066 Depth=1
	s_delay_alu instid0(SALU_CYCLE_1)
	s_or_b32 exec_lo, exec_lo, s17
.LBB272_1354:                           ;   in Loop: Header=BB272_1066 Depth=1
	s_delay_alu instid0(SALU_CYCLE_1) | instskip(NEXT) | instid1(SALU_CYCLE_1)
	s_or_b32 exec_lo, exec_lo, s16
	s_mov_b32 s16, exec_lo
	v_cmpx_lt_u32_e32 0xffffff, v34
	s_cbranch_execz .LBB272_1362
; %bb.1355:                             ;   in Loop: Header=BB272_1066 Depth=1
	v_lshrrev_b32_e32 v6, 24, v34
	v_bfrev_b32_e32 v17, 1
	s_mov_b32 s17, exec_lo
	s_delay_alu instid0(VALU_DEP_2)
	v_cmpx_ne_u32_e32 0x80, v6
	s_cbranch_execz .LBB272_1361
; %bb.1356:                             ;   in Loop: Header=BB272_1066 Depth=1
	v_and_b32_e32 v36, 0x7f, v6
	v_mov_b32_e32 v17, 0x7c010000
	s_mov_b32 s18, exec_lo
	s_delay_alu instid0(VALU_DEP_2)
	v_cmpx_ne_u32_e32 0x7f, v36
	s_cbranch_execz .LBB272_1360
; %bb.1357:                             ;   in Loop: Header=BB272_1066 Depth=1
	v_dual_lshrrev_b32 v19, 3, v36 :: v_dual_bitop2_b32 v17, 7, v6 bitop3:0x40
	s_mov_b32 s19, exec_lo
	v_cmpx_gt_u32_e32 8, v36
; %bb.1358:                             ;   in Loop: Header=BB272_1066 Depth=1
	s_delay_alu instid0(VALU_DEP_2) | instskip(NEXT) | instid1(VALU_DEP_1)
	v_clz_i32_u32_e32 v17, v17
	v_min_u32_e32 v17, 32, v17
	s_delay_alu instid0(VALU_DEP_1) | instskip(NEXT) | instid1(VALU_DEP_1)
	v_subrev_nc_u32_e32 v19, 28, v17
	v_lshlrev_b64_e32 v[36:37], v19, v[6:7]
	s_delay_alu instid0(VALU_DEP_1)
	v_dual_sub_nc_u32 v19, 29, v17 :: v_dual_bitop2_b32 v17, 7, v36 bitop3:0x40
; %bb.1359:                             ;   in Loop: Header=BB272_1066 Depth=1
	s_or_b32 exec_lo, exec_lo, s19
	s_delay_alu instid0(VALU_DEP_1) | instskip(NEXT) | instid1(VALU_DEP_2)
	v_dual_lshlrev_b32 v6, 8, v6 :: v_dual_lshlrev_b32 v17, 23, v17
	v_lshl_add_u32 v19, v19, 10, 0x2000
	s_delay_alu instid0(VALU_DEP_1) | instskip(NEXT) | instid1(VALU_DEP_1)
	v_and_or_b32 v6, 0x8000, v6, v19
	v_lshl_or_b32 v17, v6, 16, v17
.LBB272_1360:                           ;   in Loop: Header=BB272_1066 Depth=1
	s_or_b32 exec_lo, exec_lo, s18
.LBB272_1361:                           ;   in Loop: Header=BB272_1066 Depth=1
	s_delay_alu instid0(SALU_CYCLE_1)
	s_or_b32 exec_lo, exec_lo, s17
.LBB272_1362:                           ;   in Loop: Header=BB272_1066 Depth=1
	s_delay_alu instid0(SALU_CYCLE_1) | instskip(SKIP_4) | instid1(VALU_DEP_3)
	s_or_b32 exec_lo, exec_lo, s16
	v_and_b32_e32 v37, 0xff, v35
	v_dual_mov_b32 v6, v35 :: v_dual_mov_b32 v36, 0
	v_mov_b32_e32 v19, 0
	s_mov_b32 s16, exec_lo
	v_cmpx_ne_u16_e32 0, v37
	s_cbranch_execz .LBB272_1370
; %bb.1363:                             ;   in Loop: Header=BB272_1066 Depth=1
	v_mov_b32_e32 v19, 0x8000
	s_mov_b32 s17, exec_lo
	v_cmpx_ne_u16_e32 0x80, v37
	s_cbranch_execz .LBB272_1369
; %bb.1364:                             ;   in Loop: Header=BB272_1066 Depth=1
	v_and_b32_e32 v38, 0x7f, v35
	v_mov_b32_e32 v19, 0x7c01
	s_mov_b32 s18, exec_lo
	s_delay_alu instid0(VALU_DEP_2)
	v_cmpx_ne_u32_e32 0x7f, v38
	s_cbranch_execz .LBB272_1368
; %bb.1365:                             ;   in Loop: Header=BB272_1066 Depth=1
	v_dual_lshrrev_b32 v37, 3, v38 :: v_dual_bitop2_b32 v19, 7, v35 bitop3:0x40
	s_mov_b32 s19, exec_lo
	v_cmpx_gt_u32_e32 8, v38
; %bb.1366:                             ;   in Loop: Header=BB272_1066 Depth=1
	s_delay_alu instid0(VALU_DEP_2) | instskip(NEXT) | instid1(VALU_DEP_1)
	v_clz_i32_u32_e32 v19, v19
	v_min_u32_e32 v19, 32, v19
	s_delay_alu instid0(VALU_DEP_1) | instskip(NEXT) | instid1(VALU_DEP_1)
	v_subrev_nc_u32_e32 v37, 28, v19
	v_lshlrev_b64_e32 v[38:39], v37, v[6:7]
	s_delay_alu instid0(VALU_DEP_1)
	v_dual_sub_nc_u32 v37, 29, v19 :: v_dual_bitop2_b32 v19, 7, v38 bitop3:0x40
; %bb.1367:                             ;   in Loop: Header=BB272_1066 Depth=1
	s_or_b32 exec_lo, exec_lo, s19
	v_lshlrev_b32_e32 v38, 8, v35
	s_delay_alu instid0(VALU_DEP_2) | instskip(NEXT) | instid1(VALU_DEP_3)
	v_lshl_add_u32 v37, v37, 10, 0x2000
	v_lshlrev_b32_e32 v19, 7, v19
	s_delay_alu instid0(VALU_DEP_3) | instskip(NEXT) | instid1(VALU_DEP_3)
	v_and_b32_e32 v38, 0x8000, v38
	v_and_b32_e32 v37, 0xfc00, v37
	s_delay_alu instid0(VALU_DEP_1)
	v_or3_b32 v19, v38, v37, v19
.LBB272_1368:                           ;   in Loop: Header=BB272_1066 Depth=1
	s_or_b32 exec_lo, exec_lo, s18
.LBB272_1369:                           ;   in Loop: Header=BB272_1066 Depth=1
	s_delay_alu instid0(SALU_CYCLE_1)
	s_or_b32 exec_lo, exec_lo, s17
.LBB272_1370:                           ;   in Loop: Header=BB272_1066 Depth=1
	s_delay_alu instid0(SALU_CYCLE_1) | instskip(SKIP_3) | instid1(VALU_DEP_2)
	s_or_b32 exec_lo, exec_lo, s16
	v_lshrrev_b16 v6, 8, v6
	v_mov_b32_e32 v37, 0
	s_mov_b32 s16, exec_lo
	v_cmpx_ne_u16_e32 0, v6
	s_cbranch_execz .LBB272_1378
; %bb.1371:                             ;   in Loop: Header=BB272_1066 Depth=1
	v_bfrev_b32_e32 v37, 1
	s_mov_b32 s17, exec_lo
	v_cmpx_ne_u16_e32 0x80, v6
	s_cbranch_execz .LBB272_1377
; %bb.1372:                             ;   in Loop: Header=BB272_1066 Depth=1
	v_and_b32_e32 v38, 0xffff, v6
	v_mov_b32_e32 v37, 0x7c010000
	s_mov_b32 s18, exec_lo
	s_delay_alu instid0(VALU_DEP_2) | instskip(NEXT) | instid1(VALU_DEP_1)
	v_and_b32_e32 v48, 0x7f, v38
	v_cmpx_ne_u32_e32 0x7f, v48
	s_cbranch_execz .LBB272_1376
; %bb.1373:                             ;   in Loop: Header=BB272_1066 Depth=1
	v_dual_lshrrev_b32 v39, 3, v48 :: v_dual_bitop2_b32 v37, 7, v38 bitop3:0x40
	s_mov_b32 s19, exec_lo
	v_cmpx_gt_u32_e32 8, v48
; %bb.1374:                             ;   in Loop: Header=BB272_1066 Depth=1
	s_delay_alu instid0(VALU_DEP_2) | instskip(NEXT) | instid1(VALU_DEP_1)
	v_clz_i32_u32_e32 v37, v37
	v_min_u32_e32 v37, 32, v37
	s_delay_alu instid0(VALU_DEP_1) | instskip(NEXT) | instid1(VALU_DEP_1)
	v_subrev_nc_u32_e32 v39, 28, v37
	v_lshlrev_b64_e32 v[48:49], v39, v[6:7]
	s_delay_alu instid0(VALU_DEP_1)
	v_dual_sub_nc_u32 v39, 29, v37 :: v_dual_bitop2_b32 v37, 7, v48 bitop3:0x40
; %bb.1375:                             ;   in Loop: Header=BB272_1066 Depth=1
	s_or_b32 exec_lo, exec_lo, s19
	s_delay_alu instid0(VALU_DEP_1) | instskip(NEXT) | instid1(VALU_DEP_2)
	v_dual_lshlrev_b32 v6, 8, v38 :: v_dual_lshlrev_b32 v37, 23, v37
	v_lshl_add_u32 v38, v39, 10, 0x2000
	s_delay_alu instid0(VALU_DEP_1) | instskip(NEXT) | instid1(VALU_DEP_1)
	v_and_or_b32 v6, 0x8000, v6, v38
	v_lshl_or_b32 v37, v6, 16, v37
.LBB272_1376:                           ;   in Loop: Header=BB272_1066 Depth=1
	s_or_b32 exec_lo, exec_lo, s18
.LBB272_1377:                           ;   in Loop: Header=BB272_1066 Depth=1
	s_delay_alu instid0(SALU_CYCLE_1)
	s_or_b32 exec_lo, exec_lo, s17
.LBB272_1378:                           ;   in Loop: Header=BB272_1066 Depth=1
	s_delay_alu instid0(SALU_CYCLE_1) | instskip(SKIP_2) | instid1(VALU_DEP_1)
	s_or_b32 exec_lo, exec_lo, s16
	v_lshrrev_b32_e32 v6, 16, v35
	s_mov_b32 s16, exec_lo
	v_and_b32_e32 v38, 0xff, v6
	s_delay_alu instid0(VALU_DEP_1)
	v_cmpx_ne_u16_e32 0, v38
	s_cbranch_execz .LBB272_1386
; %bb.1379:                             ;   in Loop: Header=BB272_1066 Depth=1
	v_mov_b32_e32 v36, 0x8000
	s_mov_b32 s17, exec_lo
	v_cmpx_ne_u16_e32 0x80, v38
	s_cbranch_execz .LBB272_1385
; %bb.1380:                             ;   in Loop: Header=BB272_1066 Depth=1
	v_bfe_u32 v39, v35, 16, 7
	v_mov_b32_e32 v36, 0x7c01
	s_mov_b32 s18, exec_lo
	s_delay_alu instid0(VALU_DEP_2)
	v_cmpx_ne_u32_e32 0x7f, v39
	s_cbranch_execz .LBB272_1384
; %bb.1381:                             ;   in Loop: Header=BB272_1066 Depth=1
	v_dual_lshrrev_b32 v38, 3, v39 :: v_dual_bitop2_b32 v36, 7, v6 bitop3:0x40
	s_mov_b32 s19, exec_lo
	v_cmpx_gt_u32_e32 8, v39
; %bb.1382:                             ;   in Loop: Header=BB272_1066 Depth=1
	s_delay_alu instid0(VALU_DEP_2) | instskip(NEXT) | instid1(VALU_DEP_1)
	v_clz_i32_u32_e32 v36, v36
	v_min_u32_e32 v36, 32, v36
	s_delay_alu instid0(VALU_DEP_1) | instskip(NEXT) | instid1(VALU_DEP_1)
	v_subrev_nc_u32_e32 v38, 28, v36
	v_lshlrev_b64_e32 v[48:49], v38, v[6:7]
	v_sub_nc_u32_e32 v38, 29, v36
	s_delay_alu instid0(VALU_DEP_2)
	v_and_b32_e32 v36, 7, v48
; %bb.1383:                             ;   in Loop: Header=BB272_1066 Depth=1
	s_or_b32 exec_lo, exec_lo, s19
	s_delay_alu instid0(VALU_DEP_1) | instskip(NEXT) | instid1(VALU_DEP_3)
	v_dual_lshlrev_b32 v6, 8, v6 :: v_dual_lshlrev_b32 v36, 7, v36
	v_lshl_add_u32 v38, v38, 10, 0x2000
	s_delay_alu instid0(VALU_DEP_2) | instskip(NEXT) | instid1(VALU_DEP_2)
	v_and_b32_e32 v6, 0x8000, v6
	v_and_b32_e32 v38, 0xfc00, v38
	s_delay_alu instid0(VALU_DEP_1)
	v_or3_b32 v36, v6, v38, v36
.LBB272_1384:                           ;   in Loop: Header=BB272_1066 Depth=1
	s_or_b32 exec_lo, exec_lo, s18
.LBB272_1385:                           ;   in Loop: Header=BB272_1066 Depth=1
	s_delay_alu instid0(SALU_CYCLE_1)
	s_or_b32 exec_lo, exec_lo, s17
.LBB272_1386:                           ;   in Loop: Header=BB272_1066 Depth=1
	s_delay_alu instid0(SALU_CYCLE_1)
	s_or_b32 exec_lo, exec_lo, s16
	v_cmp_lt_u64_e64 s1, s[2:3], v[34:35]
	v_mov_b32_e32 v34, 0
	s_and_saveexec_b32 s16, s1
	s_cbranch_execz .LBB272_1394
; %bb.1387:                             ;   in Loop: Header=BB272_1066 Depth=1
	v_lshrrev_b32_e32 v6, 24, v35
	v_bfrev_b32_e32 v34, 1
	s_mov_b32 s17, exec_lo
	s_delay_alu instid0(VALU_DEP_2)
	v_cmpx_ne_u32_e32 0x80, v6
	s_cbranch_execz .LBB272_1393
; %bb.1388:                             ;   in Loop: Header=BB272_1066 Depth=1
	v_and_b32_e32 v38, 0x7f, v6
	v_mov_b32_e32 v34, 0x7c010000
	s_mov_b32 s18, exec_lo
	s_delay_alu instid0(VALU_DEP_2)
	v_cmpx_ne_u32_e32 0x7f, v38
	s_cbranch_execz .LBB272_1392
; %bb.1389:                             ;   in Loop: Header=BB272_1066 Depth=1
	v_and_b32_e32 v34, 7, v6
	v_lshrrev_b32_e32 v35, 3, v38
	s_mov_b32 s19, exec_lo
	v_cmpx_gt_u32_e32 8, v38
; %bb.1390:                             ;   in Loop: Header=BB272_1066 Depth=1
	s_delay_alu instid0(VALU_DEP_3) | instskip(NEXT) | instid1(VALU_DEP_1)
	v_clz_i32_u32_e32 v34, v34
	v_min_u32_e32 v38, 32, v34
	s_delay_alu instid0(VALU_DEP_1) | instskip(NEXT) | instid1(VALU_DEP_1)
	v_subrev_nc_u32_e32 v34, 28, v38
	v_lshlrev_b64_e32 v[34:35], v34, v[6:7]
	v_sub_nc_u32_e32 v35, 29, v38
	s_delay_alu instid0(VALU_DEP_2)
	v_and_b32_e32 v34, 7, v34
; %bb.1391:                             ;   in Loop: Header=BB272_1066 Depth=1
	s_or_b32 exec_lo, exec_lo, s19
	v_lshlrev_b32_e32 v6, 8, v6
	s_delay_alu instid0(VALU_DEP_3) | instskip(NEXT) | instid1(VALU_DEP_3)
	v_lshl_add_u32 v35, v35, 10, 0x2000
	v_lshlrev_b32_e32 v34, 23, v34
	s_delay_alu instid0(VALU_DEP_2) | instskip(NEXT) | instid1(VALU_DEP_1)
	v_and_or_b32 v6, 0x8000, v6, v35
	v_lshl_or_b32 v34, v6, 16, v34
.LBB272_1392:                           ;   in Loop: Header=BB272_1066 Depth=1
	s_or_b32 exec_lo, exec_lo, s18
.LBB272_1393:                           ;   in Loop: Header=BB272_1066 Depth=1
	s_delay_alu instid0(SALU_CYCLE_1)
	s_or_b32 exec_lo, exec_lo, s17
.LBB272_1394:                           ;   in Loop: Header=BB272_1066 Depth=1
	s_delay_alu instid0(SALU_CYCLE_1) | instskip(SKIP_3) | instid1(VALU_DEP_3)
	s_or_b32 exec_lo, exec_lo, s16
	v_dual_lshrrev_b32 v6, 16, v0 :: v_dual_lshrrev_b32 v35, 16, v17
	v_or_b32_e32 v38, v0, v1
	v_or_b32_e32 v17, v17, v18
	v_cvt_f32_f16_e32 v1, v6
	s_delay_alu instid0(VALU_DEP_4)
	v_cvt_f32_f16_e32 v0, v35
	v_dual_lshrrev_b32 v35, 16, v37 :: v_dual_bitop2_b32 v6, v34, v36 bitop3:0x54
	v_lshrrev_b32_e32 v34, 16, v34
	v_cvt_f32_f16_e32 v18, v17
	s_wait_loadcnt_dscnt 0x0
	v_pk_mul_f32 v[0:1], v[16:17], v[0:1] op_sel_hi:[0,1]
	v_or_b32_e32 v17, v37, v19
	v_cvt_f32_f16_e32 v19, v38
	v_cvt_f32_f16_e32 v35, v35
	;; [unrolled: 1-line block ×3, first 2 shown]
	s_delay_alu instid0(VALU_DEP_3) | instskip(NEXT) | instid1(VALU_DEP_1)
	v_pk_mul_f32 v[18:19], v[16:17], v[18:19] op_sel_hi:[0,1]
	v_cvt_pk_f16_f32 v18, v18, v19
	s_delay_alu instid0(VALU_DEP_1) | instskip(SKIP_4) | instid1(VALU_DEP_3)
	v_lshrrev_b32_e32 v49, 16, v18
	v_cvt_f32_f16_e32 v36, v6
	v_cvt_pk_f16_f32 v6, v0, v1
	v_pk_mul_f32 v[0:1], v[16:17], v[34:35] op_sel_hi:[0,1]
	v_and_b32_e32 v48, 0xffff, v18
	v_lshlrev_b32_e32 v34, 16, v6
	v_cvt_f32_f16_e32 v37, v17
	s_delay_alu instid0(VALU_DEP_4) | instskip(SKIP_1) | instid1(VALU_DEP_4)
	v_cvt_pk_f16_f32 v0, v0, v1
	v_and_b32_e32 v35, 0xffff0000, v6
	v_or_b32_e32 v38, v34, v48
	s_delay_alu instid0(VALU_DEP_4) | instskip(NEXT) | instid1(VALU_DEP_3)
	v_pk_mul_f32 v[16:17], v[16:17], v[36:37] op_sel_hi:[0,1]
	v_or_b32_e32 v39, v35, v49
	s_delay_alu instid0(VALU_DEP_2) | instskip(SKIP_1) | instid1(VALU_DEP_2)
	v_cvt_pk_f16_f32 v1, v16, v17
	v_and_b32_e32 v17, 0xffff0000, v0
	v_dual_lshlrev_b32 v6, 16, v0 :: v_dual_lshrrev_b32 v19, 16, v1
	v_and_b32_e32 v16, 0xffff, v1
	s_delay_alu instid0(VALU_DEP_2) | instskip(NEXT) | instid1(VALU_DEP_2)
	v_or_b32_e32 v37, v17, v19
	v_or_b32_e32 v36, v6, v16
	s_and_saveexec_b32 s16, vcc_lo
	s_cbranch_execz .LBB272_1396
; %bb.1395:                             ;   in Loop: Header=BB272_1066 Depth=1
	v_cmp_lt_i32_e64 s1, v66, v13
	s_delay_alu instid0(VALU_DEP_1) | instskip(SKIP_1) | instid1(VALU_DEP_1)
	v_cndmask_b32_e64 v0, 0, v49, s1
	v_cmp_lt_i32_e64 s1, v83, v12
	v_cndmask_b32_e64 v1, 0, v48, s1
	v_cmp_lt_i32_e64 s1, v82, v13
	s_delay_alu instid0(VALU_DEP_1) | instskip(SKIP_1) | instid1(VALU_DEP_1)
	v_cndmask_b32_e64 v18, 0, v35, s1
	v_cmp_lt_i32_e64 s1, v81, v12
	v_cndmask_b32_e64 v34, 0, v34, s1
	v_cmp_lt_i32_e64 s1, v80, v13
	s_delay_alu instid0(VALU_DEP_4) | instskip(NEXT) | instid1(VALU_DEP_2)
	v_or_b32_e32 v39, v0, v18
	v_dual_cndmask_b32 v19, 0, v19, s1 :: v_dual_bitop2_b32 v38, v1, v34 bitop3:0x54
	v_cmp_lt_i32_e64 s1, v71, v12
	s_delay_alu instid0(VALU_DEP_1) | instskip(SKIP_1) | instid1(VALU_DEP_1)
	v_cndmask_b32_e64 v16, 0, v16, s1
	v_cmp_lt_i32_e64 s1, v70, v13
	v_cndmask_b32_e64 v17, 0, v17, s1
	v_cmp_lt_i32_e64 s1, v69, v12
	s_delay_alu instid0(VALU_DEP_1) | instskip(NEXT) | instid1(VALU_DEP_1)
	v_dual_cndmask_b32 v6, 0, v6, s1 :: v_dual_bitop2_b32 v37, v19, v17 bitop3:0x54
	v_or_b32_e32 v36, v16, v6
.LBB272_1396:                           ;   in Loop: Header=BB272_1066 Depth=1
	s_or_b32 exec_lo, exec_lo, s16
	;;#ASMSTART
	v_pk_mul_f16 v0, v53, v39;

	;;#ASMEND
	;;#ASMSTART
	v_pk_mul_f16 v1, v52, v38;

	;;#ASMEND
	;;#ASMSTART
	v_pk_mul_f16 v6, v51, v37;

	;;#ASMEND
	;;#ASMSTART
	v_pk_mul_f16 v16, v50, v36;

	;;#ASMEND
	;;#ASMSTART
	v_pk_add_f16 v0, v0, v1;

	;;#ASMEND
	;;#ASMSTART
	v_pk_add_f16 v0, v0, v6;

	;;#ASMEND
	;; [unrolled: 4-line block ×3, first 2 shown]
	v_and_b32_e32 v1, 0xffff, v0
	v_lshrrev_b32_e32 v0, 16, v0
	;;#ASMSTART
	v_cvt_f32_f16 v99, v1;
	;;#ASMEND
	v_mov_b32_e32 v1, 0
	;;#ASMSTART
	v_cvt_f32_f16 v100, v0;
	;;#ASMEND
	flat_load_b64 v[34:35], v[10:11] offset:1280
	flat_load_b32 v16, v[22:23]
	v_mov_b32_e32 v0, 0
	s_mov_b32 s16, exec_lo
	s_wait_loadcnt_dscnt 0x101
	v_and_b32_e32 v6, 0xff, v34
	s_wait_xcnt 0x0
	s_delay_alu instid0(VALU_DEP_1)
	v_cmpx_ne_u16_e32 0, v6
	s_cbranch_execz .LBB272_1404
; %bb.1397:                             ;   in Loop: Header=BB272_1066 Depth=1
	v_mov_b32_e32 v1, 0x8000
	s_mov_b32 s17, exec_lo
	v_cmpx_ne_u16_e32 0x80, v6
	s_cbranch_execz .LBB272_1403
; %bb.1398:                             ;   in Loop: Header=BB272_1066 Depth=1
	v_and_b32_e32 v17, 0x7f, v34
	v_mov_b32_e32 v1, 0x7c01
	s_mov_b32 s18, exec_lo
	s_delay_alu instid0(VALU_DEP_2)
	v_cmpx_ne_u32_e32 0x7f, v17
	s_cbranch_execz .LBB272_1402
; %bb.1399:                             ;   in Loop: Header=BB272_1066 Depth=1
	v_dual_lshrrev_b32 v6, 3, v17 :: v_dual_bitop2_b32 v1, 7, v34 bitop3:0x40
	s_mov_b32 s19, exec_lo
	v_cmpx_gt_u32_e32 8, v17
; %bb.1400:                             ;   in Loop: Header=BB272_1066 Depth=1
	s_delay_alu instid0(VALU_DEP_2) | instskip(NEXT) | instid1(VALU_DEP_1)
	v_clz_i32_u32_e32 v1, v1
	v_min_u32_e32 v1, 32, v1
	s_delay_alu instid0(VALU_DEP_1) | instskip(NEXT) | instid1(VALU_DEP_1)
	v_subrev_nc_u32_e32 v6, 28, v1
	v_lshlrev_b64_e32 v[18:19], v6, v[34:35]
	s_delay_alu instid0(VALU_DEP_1)
	v_dual_sub_nc_u32 v6, 29, v1 :: v_dual_bitop2_b32 v1, 7, v18 bitop3:0x40
; %bb.1401:                             ;   in Loop: Header=BB272_1066 Depth=1
	s_or_b32 exec_lo, exec_lo, s19
	s_delay_alu instid0(VALU_DEP_1) | instskip(NEXT) | instid1(VALU_DEP_2)
	v_dual_lshlrev_b32 v17, 8, v34 :: v_dual_lshlrev_b32 v1, 7, v1
	v_lshl_add_u32 v6, v6, 10, 0x2000
	s_delay_alu instid0(VALU_DEP_2) | instskip(NEXT) | instid1(VALU_DEP_2)
	v_and_b32_e32 v17, 0x8000, v17
	v_and_b32_e32 v6, 0xfc00, v6
	s_delay_alu instid0(VALU_DEP_1)
	v_or3_b32 v1, v17, v6, v1
.LBB272_1402:                           ;   in Loop: Header=BB272_1066 Depth=1
	s_or_b32 exec_lo, exec_lo, s18
.LBB272_1403:                           ;   in Loop: Header=BB272_1066 Depth=1
	s_delay_alu instid0(SALU_CYCLE_1)
	s_or_b32 exec_lo, exec_lo, s17
.LBB272_1404:                           ;   in Loop: Header=BB272_1066 Depth=1
	s_delay_alu instid0(SALU_CYCLE_1) | instskip(SKIP_2) | instid1(VALU_DEP_1)
	s_or_b32 exec_lo, exec_lo, s16
	v_lshrrev_b16 v6, 8, v34
	s_mov_b32 s16, exec_lo
	v_cmpx_ne_u16_e32 0, v6
	s_cbranch_execz .LBB272_1412
; %bb.1405:                             ;   in Loop: Header=BB272_1066 Depth=1
	v_bfrev_b32_e32 v0, 1
	s_mov_b32 s17, exec_lo
	v_cmpx_ne_u16_e32 0x80, v6
	s_cbranch_execz .LBB272_1411
; %bb.1406:                             ;   in Loop: Header=BB272_1066 Depth=1
	v_and_b32_e32 v17, 0xffff, v6
	v_mov_b32_e32 v0, 0x7c010000
	s_mov_b32 s18, exec_lo
	s_delay_alu instid0(VALU_DEP_2) | instskip(NEXT) | instid1(VALU_DEP_1)
	v_and_b32_e32 v19, 0x7f, v17
	v_cmpx_ne_u32_e32 0x7f, v19
	s_cbranch_execz .LBB272_1410
; %bb.1407:                             ;   in Loop: Header=BB272_1066 Depth=1
	v_dual_lshrrev_b32 v18, 3, v19 :: v_dual_bitop2_b32 v0, 7, v17 bitop3:0x40
	s_mov_b32 s19, exec_lo
	v_cmpx_gt_u32_e32 8, v19
; %bb.1408:                             ;   in Loop: Header=BB272_1066 Depth=1
	s_delay_alu instid0(VALU_DEP_2) | instskip(NEXT) | instid1(VALU_DEP_1)
	v_clz_i32_u32_e32 v0, v0
	v_min_u32_e32 v0, 32, v0
	s_delay_alu instid0(VALU_DEP_1) | instskip(NEXT) | instid1(VALU_DEP_1)
	v_subrev_nc_u32_e32 v18, 28, v0
	v_lshlrev_b64_e32 v[36:37], v18, v[6:7]
	v_sub_nc_u32_e32 v18, 29, v0
	s_delay_alu instid0(VALU_DEP_2)
	v_and_b32_e32 v0, 7, v36
; %bb.1409:                             ;   in Loop: Header=BB272_1066 Depth=1
	s_or_b32 exec_lo, exec_lo, s19
	s_delay_alu instid0(VALU_DEP_1) | instskip(NEXT) | instid1(VALU_DEP_3)
	v_dual_lshlrev_b32 v6, 8, v17 :: v_dual_lshlrev_b32 v0, 23, v0
	v_lshl_add_u32 v17, v18, 10, 0x2000
	s_delay_alu instid0(VALU_DEP_1) | instskip(NEXT) | instid1(VALU_DEP_1)
	v_and_or_b32 v6, 0x8000, v6, v17
	v_lshl_or_b32 v0, v6, 16, v0
.LBB272_1410:                           ;   in Loop: Header=BB272_1066 Depth=1
	s_or_b32 exec_lo, exec_lo, s18
.LBB272_1411:                           ;   in Loop: Header=BB272_1066 Depth=1
	s_delay_alu instid0(SALU_CYCLE_1)
	s_or_b32 exec_lo, exec_lo, s17
.LBB272_1412:                           ;   in Loop: Header=BB272_1066 Depth=1
	s_delay_alu instid0(SALU_CYCLE_1) | instskip(SKIP_3) | instid1(VALU_DEP_2)
	s_or_b32 exec_lo, exec_lo, s16
	v_dual_mov_b32 v17, 0 :: v_dual_lshrrev_b32 v6, 16, v34
	v_mov_b32_e32 v18, 0
	s_mov_b32 s16, exec_lo
	v_and_b32_e32 v19, 0xff, v6
	s_delay_alu instid0(VALU_DEP_1)
	v_cmpx_ne_u16_e32 0, v19
	s_cbranch_execz .LBB272_1420
; %bb.1413:                             ;   in Loop: Header=BB272_1066 Depth=1
	v_mov_b32_e32 v18, 0x8000
	s_mov_b32 s17, exec_lo
	v_cmpx_ne_u16_e32 0x80, v19
	s_cbranch_execz .LBB272_1419
; %bb.1414:                             ;   in Loop: Header=BB272_1066 Depth=1
	v_bfe_u32 v36, v34, 16, 7
	v_mov_b32_e32 v18, 0x7c01
	s_mov_b32 s18, exec_lo
	s_delay_alu instid0(VALU_DEP_2)
	v_cmpx_ne_u32_e32 0x7f, v36
	s_cbranch_execz .LBB272_1418
; %bb.1415:                             ;   in Loop: Header=BB272_1066 Depth=1
	v_dual_lshrrev_b32 v19, 3, v36 :: v_dual_bitop2_b32 v18, 7, v6 bitop3:0x40
	s_mov_b32 s19, exec_lo
	v_cmpx_gt_u32_e32 8, v36
; %bb.1416:                             ;   in Loop: Header=BB272_1066 Depth=1
	s_delay_alu instid0(VALU_DEP_2) | instskip(NEXT) | instid1(VALU_DEP_1)
	v_clz_i32_u32_e32 v18, v18
	v_min_u32_e32 v36, 32, v18
	s_delay_alu instid0(VALU_DEP_1) | instskip(NEXT) | instid1(VALU_DEP_1)
	v_subrev_nc_u32_e32 v18, 28, v36
	v_lshlrev_b64_e32 v[18:19], v18, v[6:7]
	s_delay_alu instid0(VALU_DEP_1)
	v_dual_sub_nc_u32 v19, 29, v36 :: v_dual_bitop2_b32 v18, 7, v18 bitop3:0x40
; %bb.1417:                             ;   in Loop: Header=BB272_1066 Depth=1
	s_or_b32 exec_lo, exec_lo, s19
	v_lshlrev_b32_e32 v6, 8, v6
	s_delay_alu instid0(VALU_DEP_2) | instskip(NEXT) | instid1(VALU_DEP_3)
	v_lshl_add_u32 v19, v19, 10, 0x2000
	v_lshlrev_b32_e32 v18, 7, v18
	s_delay_alu instid0(VALU_DEP_3) | instskip(NEXT) | instid1(VALU_DEP_3)
	v_and_b32_e32 v6, 0x8000, v6
	v_and_b32_e32 v19, 0xfc00, v19
	s_delay_alu instid0(VALU_DEP_1)
	v_or3_b32 v18, v6, v19, v18
.LBB272_1418:                           ;   in Loop: Header=BB272_1066 Depth=1
	s_or_b32 exec_lo, exec_lo, s18
.LBB272_1419:                           ;   in Loop: Header=BB272_1066 Depth=1
	s_delay_alu instid0(SALU_CYCLE_1)
	s_or_b32 exec_lo, exec_lo, s17
.LBB272_1420:                           ;   in Loop: Header=BB272_1066 Depth=1
	s_delay_alu instid0(SALU_CYCLE_1) | instskip(NEXT) | instid1(SALU_CYCLE_1)
	s_or_b32 exec_lo, exec_lo, s16
	s_mov_b32 s16, exec_lo
	v_cmpx_lt_u32_e32 0xffffff, v34
	s_cbranch_execz .LBB272_1428
; %bb.1421:                             ;   in Loop: Header=BB272_1066 Depth=1
	v_lshrrev_b32_e32 v6, 24, v34
	v_bfrev_b32_e32 v17, 1
	s_mov_b32 s17, exec_lo
	s_delay_alu instid0(VALU_DEP_2)
	v_cmpx_ne_u32_e32 0x80, v6
	s_cbranch_execz .LBB272_1427
; %bb.1422:                             ;   in Loop: Header=BB272_1066 Depth=1
	v_and_b32_e32 v36, 0x7f, v6
	v_mov_b32_e32 v17, 0x7c010000
	s_mov_b32 s18, exec_lo
	s_delay_alu instid0(VALU_DEP_2)
	v_cmpx_ne_u32_e32 0x7f, v36
	s_cbranch_execz .LBB272_1426
; %bb.1423:                             ;   in Loop: Header=BB272_1066 Depth=1
	v_dual_lshrrev_b32 v19, 3, v36 :: v_dual_bitop2_b32 v17, 7, v6 bitop3:0x40
	s_mov_b32 s19, exec_lo
	v_cmpx_gt_u32_e32 8, v36
; %bb.1424:                             ;   in Loop: Header=BB272_1066 Depth=1
	s_delay_alu instid0(VALU_DEP_2) | instskip(NEXT) | instid1(VALU_DEP_1)
	v_clz_i32_u32_e32 v17, v17
	v_min_u32_e32 v17, 32, v17
	s_delay_alu instid0(VALU_DEP_1) | instskip(NEXT) | instid1(VALU_DEP_1)
	v_subrev_nc_u32_e32 v19, 28, v17
	v_lshlrev_b64_e32 v[36:37], v19, v[6:7]
	s_delay_alu instid0(VALU_DEP_1)
	v_dual_sub_nc_u32 v19, 29, v17 :: v_dual_bitop2_b32 v17, 7, v36 bitop3:0x40
; %bb.1425:                             ;   in Loop: Header=BB272_1066 Depth=1
	s_or_b32 exec_lo, exec_lo, s19
	s_delay_alu instid0(VALU_DEP_1) | instskip(NEXT) | instid1(VALU_DEP_2)
	v_dual_lshlrev_b32 v6, 8, v6 :: v_dual_lshlrev_b32 v17, 23, v17
	v_lshl_add_u32 v19, v19, 10, 0x2000
	s_delay_alu instid0(VALU_DEP_1) | instskip(NEXT) | instid1(VALU_DEP_1)
	v_and_or_b32 v6, 0x8000, v6, v19
	v_lshl_or_b32 v17, v6, 16, v17
.LBB272_1426:                           ;   in Loop: Header=BB272_1066 Depth=1
	s_or_b32 exec_lo, exec_lo, s18
.LBB272_1427:                           ;   in Loop: Header=BB272_1066 Depth=1
	s_delay_alu instid0(SALU_CYCLE_1)
	s_or_b32 exec_lo, exec_lo, s17
.LBB272_1428:                           ;   in Loop: Header=BB272_1066 Depth=1
	s_delay_alu instid0(SALU_CYCLE_1) | instskip(SKIP_4) | instid1(VALU_DEP_3)
	s_or_b32 exec_lo, exec_lo, s16
	v_and_b32_e32 v37, 0xff, v35
	v_dual_mov_b32 v6, v35 :: v_dual_mov_b32 v36, 0
	v_mov_b32_e32 v19, 0
	s_mov_b32 s16, exec_lo
	v_cmpx_ne_u16_e32 0, v37
	s_cbranch_execz .LBB272_1436
; %bb.1429:                             ;   in Loop: Header=BB272_1066 Depth=1
	v_mov_b32_e32 v19, 0x8000
	s_mov_b32 s17, exec_lo
	v_cmpx_ne_u16_e32 0x80, v37
	s_cbranch_execz .LBB272_1435
; %bb.1430:                             ;   in Loop: Header=BB272_1066 Depth=1
	v_and_b32_e32 v38, 0x7f, v35
	v_mov_b32_e32 v19, 0x7c01
	s_mov_b32 s18, exec_lo
	s_delay_alu instid0(VALU_DEP_2)
	v_cmpx_ne_u32_e32 0x7f, v38
	s_cbranch_execz .LBB272_1434
; %bb.1431:                             ;   in Loop: Header=BB272_1066 Depth=1
	v_dual_lshrrev_b32 v37, 3, v38 :: v_dual_bitop2_b32 v19, 7, v35 bitop3:0x40
	s_mov_b32 s19, exec_lo
	v_cmpx_gt_u32_e32 8, v38
; %bb.1432:                             ;   in Loop: Header=BB272_1066 Depth=1
	s_delay_alu instid0(VALU_DEP_2) | instskip(NEXT) | instid1(VALU_DEP_1)
	v_clz_i32_u32_e32 v19, v19
	v_min_u32_e32 v19, 32, v19
	s_delay_alu instid0(VALU_DEP_1) | instskip(NEXT) | instid1(VALU_DEP_1)
	v_subrev_nc_u32_e32 v37, 28, v19
	v_lshlrev_b64_e32 v[38:39], v37, v[6:7]
	s_delay_alu instid0(VALU_DEP_1)
	v_dual_sub_nc_u32 v37, 29, v19 :: v_dual_bitop2_b32 v19, 7, v38 bitop3:0x40
; %bb.1433:                             ;   in Loop: Header=BB272_1066 Depth=1
	s_or_b32 exec_lo, exec_lo, s19
	v_lshlrev_b32_e32 v38, 8, v35
	s_delay_alu instid0(VALU_DEP_2) | instskip(NEXT) | instid1(VALU_DEP_3)
	v_lshl_add_u32 v37, v37, 10, 0x2000
	v_lshlrev_b32_e32 v19, 7, v19
	s_delay_alu instid0(VALU_DEP_3) | instskip(NEXT) | instid1(VALU_DEP_3)
	v_and_b32_e32 v38, 0x8000, v38
	v_and_b32_e32 v37, 0xfc00, v37
	s_delay_alu instid0(VALU_DEP_1)
	v_or3_b32 v19, v38, v37, v19
.LBB272_1434:                           ;   in Loop: Header=BB272_1066 Depth=1
	s_or_b32 exec_lo, exec_lo, s18
.LBB272_1435:                           ;   in Loop: Header=BB272_1066 Depth=1
	s_delay_alu instid0(SALU_CYCLE_1)
	s_or_b32 exec_lo, exec_lo, s17
.LBB272_1436:                           ;   in Loop: Header=BB272_1066 Depth=1
	s_delay_alu instid0(SALU_CYCLE_1) | instskip(SKIP_3) | instid1(VALU_DEP_2)
	s_or_b32 exec_lo, exec_lo, s16
	v_lshrrev_b16 v6, 8, v6
	v_mov_b32_e32 v37, 0
	s_mov_b32 s16, exec_lo
	v_cmpx_ne_u16_e32 0, v6
	s_cbranch_execz .LBB272_1444
; %bb.1437:                             ;   in Loop: Header=BB272_1066 Depth=1
	v_bfrev_b32_e32 v37, 1
	s_mov_b32 s17, exec_lo
	v_cmpx_ne_u16_e32 0x80, v6
	s_cbranch_execz .LBB272_1443
; %bb.1438:                             ;   in Loop: Header=BB272_1066 Depth=1
	v_and_b32_e32 v38, 0xffff, v6
	v_mov_b32_e32 v37, 0x7c010000
	s_mov_b32 s18, exec_lo
	s_delay_alu instid0(VALU_DEP_2) | instskip(NEXT) | instid1(VALU_DEP_1)
	v_and_b32_e32 v48, 0x7f, v38
	v_cmpx_ne_u32_e32 0x7f, v48
	s_cbranch_execz .LBB272_1442
; %bb.1439:                             ;   in Loop: Header=BB272_1066 Depth=1
	v_dual_lshrrev_b32 v39, 3, v48 :: v_dual_bitop2_b32 v37, 7, v38 bitop3:0x40
	s_mov_b32 s19, exec_lo
	v_cmpx_gt_u32_e32 8, v48
; %bb.1440:                             ;   in Loop: Header=BB272_1066 Depth=1
	s_delay_alu instid0(VALU_DEP_2) | instskip(NEXT) | instid1(VALU_DEP_1)
	v_clz_i32_u32_e32 v37, v37
	v_min_u32_e32 v37, 32, v37
	s_delay_alu instid0(VALU_DEP_1) | instskip(NEXT) | instid1(VALU_DEP_1)
	v_subrev_nc_u32_e32 v39, 28, v37
	v_lshlrev_b64_e32 v[48:49], v39, v[6:7]
	s_delay_alu instid0(VALU_DEP_1)
	v_dual_sub_nc_u32 v39, 29, v37 :: v_dual_bitop2_b32 v37, 7, v48 bitop3:0x40
; %bb.1441:                             ;   in Loop: Header=BB272_1066 Depth=1
	s_or_b32 exec_lo, exec_lo, s19
	s_delay_alu instid0(VALU_DEP_1) | instskip(NEXT) | instid1(VALU_DEP_2)
	v_dual_lshlrev_b32 v6, 8, v38 :: v_dual_lshlrev_b32 v37, 23, v37
	v_lshl_add_u32 v38, v39, 10, 0x2000
	s_delay_alu instid0(VALU_DEP_1) | instskip(NEXT) | instid1(VALU_DEP_1)
	v_and_or_b32 v6, 0x8000, v6, v38
	v_lshl_or_b32 v37, v6, 16, v37
.LBB272_1442:                           ;   in Loop: Header=BB272_1066 Depth=1
	s_or_b32 exec_lo, exec_lo, s18
.LBB272_1443:                           ;   in Loop: Header=BB272_1066 Depth=1
	s_delay_alu instid0(SALU_CYCLE_1)
	s_or_b32 exec_lo, exec_lo, s17
.LBB272_1444:                           ;   in Loop: Header=BB272_1066 Depth=1
	s_delay_alu instid0(SALU_CYCLE_1) | instskip(SKIP_2) | instid1(VALU_DEP_1)
	s_or_b32 exec_lo, exec_lo, s16
	v_lshrrev_b32_e32 v6, 16, v35
	s_mov_b32 s16, exec_lo
	v_and_b32_e32 v38, 0xff, v6
	s_delay_alu instid0(VALU_DEP_1)
	v_cmpx_ne_u16_e32 0, v38
	s_cbranch_execz .LBB272_1452
; %bb.1445:                             ;   in Loop: Header=BB272_1066 Depth=1
	v_mov_b32_e32 v36, 0x8000
	s_mov_b32 s17, exec_lo
	v_cmpx_ne_u16_e32 0x80, v38
	s_cbranch_execz .LBB272_1451
; %bb.1446:                             ;   in Loop: Header=BB272_1066 Depth=1
	v_bfe_u32 v39, v35, 16, 7
	v_mov_b32_e32 v36, 0x7c01
	s_mov_b32 s18, exec_lo
	s_delay_alu instid0(VALU_DEP_2)
	v_cmpx_ne_u32_e32 0x7f, v39
	s_cbranch_execz .LBB272_1450
; %bb.1447:                             ;   in Loop: Header=BB272_1066 Depth=1
	v_dual_lshrrev_b32 v38, 3, v39 :: v_dual_bitop2_b32 v36, 7, v6 bitop3:0x40
	s_mov_b32 s19, exec_lo
	v_cmpx_gt_u32_e32 8, v39
; %bb.1448:                             ;   in Loop: Header=BB272_1066 Depth=1
	s_delay_alu instid0(VALU_DEP_2) | instskip(NEXT) | instid1(VALU_DEP_1)
	v_clz_i32_u32_e32 v36, v36
	v_min_u32_e32 v36, 32, v36
	s_delay_alu instid0(VALU_DEP_1) | instskip(NEXT) | instid1(VALU_DEP_1)
	v_subrev_nc_u32_e32 v38, 28, v36
	v_lshlrev_b64_e32 v[48:49], v38, v[6:7]
	v_sub_nc_u32_e32 v38, 29, v36
	s_delay_alu instid0(VALU_DEP_2)
	v_and_b32_e32 v36, 7, v48
; %bb.1449:                             ;   in Loop: Header=BB272_1066 Depth=1
	s_or_b32 exec_lo, exec_lo, s19
	s_delay_alu instid0(VALU_DEP_1) | instskip(NEXT) | instid1(VALU_DEP_3)
	v_dual_lshlrev_b32 v6, 8, v6 :: v_dual_lshlrev_b32 v36, 7, v36
	v_lshl_add_u32 v38, v38, 10, 0x2000
	s_delay_alu instid0(VALU_DEP_2) | instskip(NEXT) | instid1(VALU_DEP_2)
	v_and_b32_e32 v6, 0x8000, v6
	v_and_b32_e32 v38, 0xfc00, v38
	s_delay_alu instid0(VALU_DEP_1)
	v_or3_b32 v36, v6, v38, v36
.LBB272_1450:                           ;   in Loop: Header=BB272_1066 Depth=1
	s_or_b32 exec_lo, exec_lo, s18
.LBB272_1451:                           ;   in Loop: Header=BB272_1066 Depth=1
	s_delay_alu instid0(SALU_CYCLE_1)
	s_or_b32 exec_lo, exec_lo, s17
.LBB272_1452:                           ;   in Loop: Header=BB272_1066 Depth=1
	s_delay_alu instid0(SALU_CYCLE_1)
	s_or_b32 exec_lo, exec_lo, s16
	v_cmp_lt_u64_e64 s1, s[2:3], v[34:35]
	v_mov_b32_e32 v34, 0
	s_and_saveexec_b32 s16, s1
	s_cbranch_execz .LBB272_1460
; %bb.1453:                             ;   in Loop: Header=BB272_1066 Depth=1
	v_lshrrev_b32_e32 v6, 24, v35
	v_bfrev_b32_e32 v34, 1
	s_mov_b32 s17, exec_lo
	s_delay_alu instid0(VALU_DEP_2)
	v_cmpx_ne_u32_e32 0x80, v6
	s_cbranch_execz .LBB272_1459
; %bb.1454:                             ;   in Loop: Header=BB272_1066 Depth=1
	v_and_b32_e32 v38, 0x7f, v6
	v_mov_b32_e32 v34, 0x7c010000
	s_mov_b32 s18, exec_lo
	s_delay_alu instid0(VALU_DEP_2)
	v_cmpx_ne_u32_e32 0x7f, v38
	s_cbranch_execz .LBB272_1458
; %bb.1455:                             ;   in Loop: Header=BB272_1066 Depth=1
	v_and_b32_e32 v34, 7, v6
	v_lshrrev_b32_e32 v35, 3, v38
	s_mov_b32 s19, exec_lo
	v_cmpx_gt_u32_e32 8, v38
; %bb.1456:                             ;   in Loop: Header=BB272_1066 Depth=1
	s_delay_alu instid0(VALU_DEP_3) | instskip(NEXT) | instid1(VALU_DEP_1)
	v_clz_i32_u32_e32 v34, v34
	v_min_u32_e32 v38, 32, v34
	s_delay_alu instid0(VALU_DEP_1) | instskip(NEXT) | instid1(VALU_DEP_1)
	v_subrev_nc_u32_e32 v34, 28, v38
	v_lshlrev_b64_e32 v[34:35], v34, v[6:7]
	v_sub_nc_u32_e32 v35, 29, v38
	s_delay_alu instid0(VALU_DEP_2)
	v_and_b32_e32 v34, 7, v34
; %bb.1457:                             ;   in Loop: Header=BB272_1066 Depth=1
	s_or_b32 exec_lo, exec_lo, s19
	v_lshlrev_b32_e32 v6, 8, v6
	s_delay_alu instid0(VALU_DEP_3) | instskip(NEXT) | instid1(VALU_DEP_3)
	v_lshl_add_u32 v35, v35, 10, 0x2000
	v_lshlrev_b32_e32 v34, 23, v34
	s_delay_alu instid0(VALU_DEP_2) | instskip(NEXT) | instid1(VALU_DEP_1)
	v_and_or_b32 v6, 0x8000, v6, v35
	v_lshl_or_b32 v34, v6, 16, v34
.LBB272_1458:                           ;   in Loop: Header=BB272_1066 Depth=1
	s_or_b32 exec_lo, exec_lo, s18
.LBB272_1459:                           ;   in Loop: Header=BB272_1066 Depth=1
	s_delay_alu instid0(SALU_CYCLE_1)
	s_or_b32 exec_lo, exec_lo, s17
.LBB272_1460:                           ;   in Loop: Header=BB272_1066 Depth=1
	s_delay_alu instid0(SALU_CYCLE_1) | instskip(SKIP_3) | instid1(VALU_DEP_3)
	s_or_b32 exec_lo, exec_lo, s16
	v_dual_lshrrev_b32 v6, 16, v0 :: v_dual_lshrrev_b32 v35, 16, v17
	v_or_b32_e32 v38, v0, v1
	v_or_b32_e32 v17, v17, v18
	v_cvt_f32_f16_e32 v1, v6
	s_delay_alu instid0(VALU_DEP_4)
	v_cvt_f32_f16_e32 v0, v35
	v_dual_lshrrev_b32 v35, 16, v37 :: v_dual_bitop2_b32 v6, v34, v36 bitop3:0x54
	v_lshrrev_b32_e32 v34, 16, v34
	v_cvt_f32_f16_e32 v18, v17
	s_wait_loadcnt_dscnt 0x0
	v_pk_mul_f32 v[0:1], v[16:17], v[0:1] op_sel_hi:[0,1]
	v_or_b32_e32 v17, v37, v19
	v_cvt_f32_f16_e32 v19, v38
	v_cvt_f32_f16_e32 v35, v35
	v_cvt_f32_f16_e32 v34, v34
	s_delay_alu instid0(VALU_DEP_3) | instskip(NEXT) | instid1(VALU_DEP_1)
	v_pk_mul_f32 v[18:19], v[16:17], v[18:19] op_sel_hi:[0,1]
	v_cvt_pk_f16_f32 v18, v18, v19
	s_delay_alu instid0(VALU_DEP_1) | instskip(SKIP_4) | instid1(VALU_DEP_3)
	v_lshrrev_b32_e32 v49, 16, v18
	v_cvt_f32_f16_e32 v36, v6
	v_cvt_pk_f16_f32 v6, v0, v1
	v_pk_mul_f32 v[0:1], v[16:17], v[34:35] op_sel_hi:[0,1]
	v_and_b32_e32 v48, 0xffff, v18
	v_lshlrev_b32_e32 v34, 16, v6
	v_cvt_f32_f16_e32 v37, v17
	s_delay_alu instid0(VALU_DEP_4) | instskip(SKIP_1) | instid1(VALU_DEP_4)
	v_cvt_pk_f16_f32 v0, v0, v1
	v_and_b32_e32 v35, 0xffff0000, v6
	v_or_b32_e32 v38, v34, v48
	s_delay_alu instid0(VALU_DEP_4) | instskip(NEXT) | instid1(VALU_DEP_3)
	v_pk_mul_f32 v[16:17], v[16:17], v[36:37] op_sel_hi:[0,1]
	v_or_b32_e32 v39, v35, v49
	s_delay_alu instid0(VALU_DEP_2) | instskip(SKIP_1) | instid1(VALU_DEP_2)
	v_cvt_pk_f16_f32 v1, v16, v17
	v_and_b32_e32 v17, 0xffff0000, v0
	v_dual_lshlrev_b32 v6, 16, v0 :: v_dual_lshrrev_b32 v19, 16, v1
	v_and_b32_e32 v16, 0xffff, v1
	s_delay_alu instid0(VALU_DEP_2) | instskip(NEXT) | instid1(VALU_DEP_2)
	v_or_b32_e32 v37, v17, v19
	v_or_b32_e32 v36, v6, v16
	s_and_saveexec_b32 s16, vcc_lo
	s_cbranch_execz .LBB272_1462
; %bb.1461:                             ;   in Loop: Header=BB272_1066 Depth=1
	v_cmp_lt_i32_e64 s1, v66, v13
	s_delay_alu instid0(VALU_DEP_1) | instskip(SKIP_1) | instid1(VALU_DEP_1)
	v_cndmask_b32_e64 v0, 0, v49, s1
	v_cmp_lt_i32_e64 s1, v83, v12
	v_cndmask_b32_e64 v1, 0, v48, s1
	v_cmp_lt_i32_e64 s1, v82, v13
	s_delay_alu instid0(VALU_DEP_1) | instskip(SKIP_1) | instid1(VALU_DEP_1)
	v_cndmask_b32_e64 v18, 0, v35, s1
	v_cmp_lt_i32_e64 s1, v81, v12
	v_cndmask_b32_e64 v34, 0, v34, s1
	v_cmp_lt_i32_e64 s1, v80, v13
	s_delay_alu instid0(VALU_DEP_4) | instskip(NEXT) | instid1(VALU_DEP_2)
	v_or_b32_e32 v39, v0, v18
	v_dual_cndmask_b32 v19, 0, v19, s1 :: v_dual_bitop2_b32 v38, v1, v34 bitop3:0x54
	v_cmp_lt_i32_e64 s1, v71, v12
	s_delay_alu instid0(VALU_DEP_1) | instskip(SKIP_1) | instid1(VALU_DEP_1)
	v_cndmask_b32_e64 v16, 0, v16, s1
	v_cmp_lt_i32_e64 s1, v70, v13
	v_cndmask_b32_e64 v17, 0, v17, s1
	v_cmp_lt_i32_e64 s1, v69, v12
	s_delay_alu instid0(VALU_DEP_1) | instskip(NEXT) | instid1(VALU_DEP_1)
	v_dual_cndmask_b32 v6, 0, v6, s1 :: v_dual_bitop2_b32 v37, v19, v17 bitop3:0x54
	v_or_b32_e32 v36, v16, v6
.LBB272_1462:                           ;   in Loop: Header=BB272_1066 Depth=1
	s_or_b32 exec_lo, exec_lo, s16
	;;#ASMSTART
	v_pk_mul_f16 v0, v53, v39;

	;;#ASMEND
	;;#ASMSTART
	v_pk_mul_f16 v1, v52, v38;

	;;#ASMEND
	;; [unrolled: 4-line block ×4, first 2 shown]
	;;#ASMSTART
	v_pk_add_f16 v0, v0, v1;

	;;#ASMEND
	;;#ASMSTART
	v_pk_add_f16 v0, v0, v6;

	;;#ASMEND
	;; [unrolled: 4-line block ×3, first 2 shown]
	v_and_b32_e32 v1, 0xffff, v0
	v_lshrrev_b32_e32 v0, 16, v0
	;;#ASMSTART
	v_cvt_f32_f16 v101, v1;
	;;#ASMEND
	v_mov_b32_e32 v1, 0
	;;#ASMSTART
	v_cvt_f32_f16 v102, v0;
	;;#ASMEND
	flat_load_b64 v[34:35], v[10:11] offset:1536
	flat_load_b32 v16, v[22:23]
	v_mov_b32_e32 v0, 0
	s_mov_b32 s16, exec_lo
	s_wait_loadcnt_dscnt 0x101
	v_and_b32_e32 v6, 0xff, v34
	s_wait_xcnt 0x0
	s_delay_alu instid0(VALU_DEP_1)
	v_cmpx_ne_u16_e32 0, v6
	s_cbranch_execz .LBB272_1470
; %bb.1463:                             ;   in Loop: Header=BB272_1066 Depth=1
	v_mov_b32_e32 v1, 0x8000
	s_mov_b32 s17, exec_lo
	v_cmpx_ne_u16_e32 0x80, v6
	s_cbranch_execz .LBB272_1469
; %bb.1464:                             ;   in Loop: Header=BB272_1066 Depth=1
	v_and_b32_e32 v17, 0x7f, v34
	v_mov_b32_e32 v1, 0x7c01
	s_mov_b32 s18, exec_lo
	s_delay_alu instid0(VALU_DEP_2)
	v_cmpx_ne_u32_e32 0x7f, v17
	s_cbranch_execz .LBB272_1468
; %bb.1465:                             ;   in Loop: Header=BB272_1066 Depth=1
	v_dual_lshrrev_b32 v6, 3, v17 :: v_dual_bitop2_b32 v1, 7, v34 bitop3:0x40
	s_mov_b32 s19, exec_lo
	v_cmpx_gt_u32_e32 8, v17
; %bb.1466:                             ;   in Loop: Header=BB272_1066 Depth=1
	s_delay_alu instid0(VALU_DEP_2) | instskip(NEXT) | instid1(VALU_DEP_1)
	v_clz_i32_u32_e32 v1, v1
	v_min_u32_e32 v1, 32, v1
	s_delay_alu instid0(VALU_DEP_1) | instskip(NEXT) | instid1(VALU_DEP_1)
	v_subrev_nc_u32_e32 v6, 28, v1
	v_lshlrev_b64_e32 v[18:19], v6, v[34:35]
	s_delay_alu instid0(VALU_DEP_1)
	v_dual_sub_nc_u32 v6, 29, v1 :: v_dual_bitop2_b32 v1, 7, v18 bitop3:0x40
; %bb.1467:                             ;   in Loop: Header=BB272_1066 Depth=1
	s_or_b32 exec_lo, exec_lo, s19
	s_delay_alu instid0(VALU_DEP_1) | instskip(NEXT) | instid1(VALU_DEP_2)
	v_dual_lshlrev_b32 v17, 8, v34 :: v_dual_lshlrev_b32 v1, 7, v1
	v_lshl_add_u32 v6, v6, 10, 0x2000
	s_delay_alu instid0(VALU_DEP_2) | instskip(NEXT) | instid1(VALU_DEP_2)
	v_and_b32_e32 v17, 0x8000, v17
	v_and_b32_e32 v6, 0xfc00, v6
	s_delay_alu instid0(VALU_DEP_1)
	v_or3_b32 v1, v17, v6, v1
.LBB272_1468:                           ;   in Loop: Header=BB272_1066 Depth=1
	s_or_b32 exec_lo, exec_lo, s18
.LBB272_1469:                           ;   in Loop: Header=BB272_1066 Depth=1
	s_delay_alu instid0(SALU_CYCLE_1)
	s_or_b32 exec_lo, exec_lo, s17
.LBB272_1470:                           ;   in Loop: Header=BB272_1066 Depth=1
	s_delay_alu instid0(SALU_CYCLE_1) | instskip(SKIP_2) | instid1(VALU_DEP_1)
	s_or_b32 exec_lo, exec_lo, s16
	v_lshrrev_b16 v6, 8, v34
	s_mov_b32 s16, exec_lo
	v_cmpx_ne_u16_e32 0, v6
	s_cbranch_execz .LBB272_1478
; %bb.1471:                             ;   in Loop: Header=BB272_1066 Depth=1
	v_bfrev_b32_e32 v0, 1
	s_mov_b32 s17, exec_lo
	v_cmpx_ne_u16_e32 0x80, v6
	s_cbranch_execz .LBB272_1477
; %bb.1472:                             ;   in Loop: Header=BB272_1066 Depth=1
	v_and_b32_e32 v17, 0xffff, v6
	v_mov_b32_e32 v0, 0x7c010000
	s_mov_b32 s18, exec_lo
	s_delay_alu instid0(VALU_DEP_2) | instskip(NEXT) | instid1(VALU_DEP_1)
	v_and_b32_e32 v19, 0x7f, v17
	v_cmpx_ne_u32_e32 0x7f, v19
	s_cbranch_execz .LBB272_1476
; %bb.1473:                             ;   in Loop: Header=BB272_1066 Depth=1
	v_dual_lshrrev_b32 v18, 3, v19 :: v_dual_bitop2_b32 v0, 7, v17 bitop3:0x40
	s_mov_b32 s19, exec_lo
	v_cmpx_gt_u32_e32 8, v19
; %bb.1474:                             ;   in Loop: Header=BB272_1066 Depth=1
	s_delay_alu instid0(VALU_DEP_2) | instskip(NEXT) | instid1(VALU_DEP_1)
	v_clz_i32_u32_e32 v0, v0
	v_min_u32_e32 v0, 32, v0
	s_delay_alu instid0(VALU_DEP_1) | instskip(NEXT) | instid1(VALU_DEP_1)
	v_subrev_nc_u32_e32 v18, 28, v0
	v_lshlrev_b64_e32 v[36:37], v18, v[6:7]
	v_sub_nc_u32_e32 v18, 29, v0
	s_delay_alu instid0(VALU_DEP_2)
	v_and_b32_e32 v0, 7, v36
; %bb.1475:                             ;   in Loop: Header=BB272_1066 Depth=1
	s_or_b32 exec_lo, exec_lo, s19
	s_delay_alu instid0(VALU_DEP_1) | instskip(NEXT) | instid1(VALU_DEP_3)
	v_dual_lshlrev_b32 v6, 8, v17 :: v_dual_lshlrev_b32 v0, 23, v0
	v_lshl_add_u32 v17, v18, 10, 0x2000
	s_delay_alu instid0(VALU_DEP_1) | instskip(NEXT) | instid1(VALU_DEP_1)
	v_and_or_b32 v6, 0x8000, v6, v17
	v_lshl_or_b32 v0, v6, 16, v0
.LBB272_1476:                           ;   in Loop: Header=BB272_1066 Depth=1
	s_or_b32 exec_lo, exec_lo, s18
.LBB272_1477:                           ;   in Loop: Header=BB272_1066 Depth=1
	s_delay_alu instid0(SALU_CYCLE_1)
	s_or_b32 exec_lo, exec_lo, s17
.LBB272_1478:                           ;   in Loop: Header=BB272_1066 Depth=1
	s_delay_alu instid0(SALU_CYCLE_1) | instskip(SKIP_3) | instid1(VALU_DEP_2)
	s_or_b32 exec_lo, exec_lo, s16
	v_dual_mov_b32 v17, 0 :: v_dual_lshrrev_b32 v6, 16, v34
	v_mov_b32_e32 v18, 0
	s_mov_b32 s16, exec_lo
	v_and_b32_e32 v19, 0xff, v6
	s_delay_alu instid0(VALU_DEP_1)
	v_cmpx_ne_u16_e32 0, v19
	s_cbranch_execz .LBB272_1486
; %bb.1479:                             ;   in Loop: Header=BB272_1066 Depth=1
	v_mov_b32_e32 v18, 0x8000
	s_mov_b32 s17, exec_lo
	v_cmpx_ne_u16_e32 0x80, v19
	s_cbranch_execz .LBB272_1485
; %bb.1480:                             ;   in Loop: Header=BB272_1066 Depth=1
	v_bfe_u32 v36, v34, 16, 7
	v_mov_b32_e32 v18, 0x7c01
	s_mov_b32 s18, exec_lo
	s_delay_alu instid0(VALU_DEP_2)
	v_cmpx_ne_u32_e32 0x7f, v36
	s_cbranch_execz .LBB272_1484
; %bb.1481:                             ;   in Loop: Header=BB272_1066 Depth=1
	v_dual_lshrrev_b32 v19, 3, v36 :: v_dual_bitop2_b32 v18, 7, v6 bitop3:0x40
	s_mov_b32 s19, exec_lo
	v_cmpx_gt_u32_e32 8, v36
; %bb.1482:                             ;   in Loop: Header=BB272_1066 Depth=1
	s_delay_alu instid0(VALU_DEP_2) | instskip(NEXT) | instid1(VALU_DEP_1)
	v_clz_i32_u32_e32 v18, v18
	v_min_u32_e32 v36, 32, v18
	s_delay_alu instid0(VALU_DEP_1) | instskip(NEXT) | instid1(VALU_DEP_1)
	v_subrev_nc_u32_e32 v18, 28, v36
	v_lshlrev_b64_e32 v[18:19], v18, v[6:7]
	s_delay_alu instid0(VALU_DEP_1)
	v_dual_sub_nc_u32 v19, 29, v36 :: v_dual_bitop2_b32 v18, 7, v18 bitop3:0x40
; %bb.1483:                             ;   in Loop: Header=BB272_1066 Depth=1
	s_or_b32 exec_lo, exec_lo, s19
	v_lshlrev_b32_e32 v6, 8, v6
	s_delay_alu instid0(VALU_DEP_2) | instskip(NEXT) | instid1(VALU_DEP_3)
	v_lshl_add_u32 v19, v19, 10, 0x2000
	v_lshlrev_b32_e32 v18, 7, v18
	s_delay_alu instid0(VALU_DEP_3) | instskip(NEXT) | instid1(VALU_DEP_3)
	v_and_b32_e32 v6, 0x8000, v6
	v_and_b32_e32 v19, 0xfc00, v19
	s_delay_alu instid0(VALU_DEP_1)
	v_or3_b32 v18, v6, v19, v18
.LBB272_1484:                           ;   in Loop: Header=BB272_1066 Depth=1
	s_or_b32 exec_lo, exec_lo, s18
.LBB272_1485:                           ;   in Loop: Header=BB272_1066 Depth=1
	s_delay_alu instid0(SALU_CYCLE_1)
	s_or_b32 exec_lo, exec_lo, s17
.LBB272_1486:                           ;   in Loop: Header=BB272_1066 Depth=1
	s_delay_alu instid0(SALU_CYCLE_1) | instskip(NEXT) | instid1(SALU_CYCLE_1)
	s_or_b32 exec_lo, exec_lo, s16
	s_mov_b32 s16, exec_lo
	v_cmpx_lt_u32_e32 0xffffff, v34
	s_cbranch_execz .LBB272_1494
; %bb.1487:                             ;   in Loop: Header=BB272_1066 Depth=1
	v_lshrrev_b32_e32 v6, 24, v34
	v_bfrev_b32_e32 v17, 1
	s_mov_b32 s17, exec_lo
	s_delay_alu instid0(VALU_DEP_2)
	v_cmpx_ne_u32_e32 0x80, v6
	s_cbranch_execz .LBB272_1493
; %bb.1488:                             ;   in Loop: Header=BB272_1066 Depth=1
	v_and_b32_e32 v36, 0x7f, v6
	v_mov_b32_e32 v17, 0x7c010000
	s_mov_b32 s18, exec_lo
	s_delay_alu instid0(VALU_DEP_2)
	v_cmpx_ne_u32_e32 0x7f, v36
	s_cbranch_execz .LBB272_1492
; %bb.1489:                             ;   in Loop: Header=BB272_1066 Depth=1
	v_dual_lshrrev_b32 v19, 3, v36 :: v_dual_bitop2_b32 v17, 7, v6 bitop3:0x40
	s_mov_b32 s19, exec_lo
	v_cmpx_gt_u32_e32 8, v36
; %bb.1490:                             ;   in Loop: Header=BB272_1066 Depth=1
	s_delay_alu instid0(VALU_DEP_2) | instskip(NEXT) | instid1(VALU_DEP_1)
	v_clz_i32_u32_e32 v17, v17
	v_min_u32_e32 v17, 32, v17
	s_delay_alu instid0(VALU_DEP_1) | instskip(NEXT) | instid1(VALU_DEP_1)
	v_subrev_nc_u32_e32 v19, 28, v17
	v_lshlrev_b64_e32 v[36:37], v19, v[6:7]
	s_delay_alu instid0(VALU_DEP_1)
	v_dual_sub_nc_u32 v19, 29, v17 :: v_dual_bitop2_b32 v17, 7, v36 bitop3:0x40
; %bb.1491:                             ;   in Loop: Header=BB272_1066 Depth=1
	s_or_b32 exec_lo, exec_lo, s19
	s_delay_alu instid0(VALU_DEP_1) | instskip(NEXT) | instid1(VALU_DEP_2)
	v_dual_lshlrev_b32 v6, 8, v6 :: v_dual_lshlrev_b32 v17, 23, v17
	v_lshl_add_u32 v19, v19, 10, 0x2000
	s_delay_alu instid0(VALU_DEP_1) | instskip(NEXT) | instid1(VALU_DEP_1)
	v_and_or_b32 v6, 0x8000, v6, v19
	v_lshl_or_b32 v17, v6, 16, v17
.LBB272_1492:                           ;   in Loop: Header=BB272_1066 Depth=1
	s_or_b32 exec_lo, exec_lo, s18
.LBB272_1493:                           ;   in Loop: Header=BB272_1066 Depth=1
	s_delay_alu instid0(SALU_CYCLE_1)
	s_or_b32 exec_lo, exec_lo, s17
.LBB272_1494:                           ;   in Loop: Header=BB272_1066 Depth=1
	s_delay_alu instid0(SALU_CYCLE_1) | instskip(SKIP_4) | instid1(VALU_DEP_3)
	s_or_b32 exec_lo, exec_lo, s16
	v_and_b32_e32 v37, 0xff, v35
	v_dual_mov_b32 v6, v35 :: v_dual_mov_b32 v36, 0
	v_mov_b32_e32 v19, 0
	s_mov_b32 s16, exec_lo
	v_cmpx_ne_u16_e32 0, v37
	s_cbranch_execz .LBB272_1502
; %bb.1495:                             ;   in Loop: Header=BB272_1066 Depth=1
	v_mov_b32_e32 v19, 0x8000
	s_mov_b32 s17, exec_lo
	v_cmpx_ne_u16_e32 0x80, v37
	s_cbranch_execz .LBB272_1501
; %bb.1496:                             ;   in Loop: Header=BB272_1066 Depth=1
	v_and_b32_e32 v38, 0x7f, v35
	v_mov_b32_e32 v19, 0x7c01
	s_mov_b32 s18, exec_lo
	s_delay_alu instid0(VALU_DEP_2)
	v_cmpx_ne_u32_e32 0x7f, v38
	s_cbranch_execz .LBB272_1500
; %bb.1497:                             ;   in Loop: Header=BB272_1066 Depth=1
	v_dual_lshrrev_b32 v37, 3, v38 :: v_dual_bitop2_b32 v19, 7, v35 bitop3:0x40
	s_mov_b32 s19, exec_lo
	v_cmpx_gt_u32_e32 8, v38
; %bb.1498:                             ;   in Loop: Header=BB272_1066 Depth=1
	s_delay_alu instid0(VALU_DEP_2) | instskip(NEXT) | instid1(VALU_DEP_1)
	v_clz_i32_u32_e32 v19, v19
	v_min_u32_e32 v19, 32, v19
	s_delay_alu instid0(VALU_DEP_1) | instskip(NEXT) | instid1(VALU_DEP_1)
	v_subrev_nc_u32_e32 v37, 28, v19
	v_lshlrev_b64_e32 v[38:39], v37, v[6:7]
	s_delay_alu instid0(VALU_DEP_1)
	v_dual_sub_nc_u32 v37, 29, v19 :: v_dual_bitop2_b32 v19, 7, v38 bitop3:0x40
; %bb.1499:                             ;   in Loop: Header=BB272_1066 Depth=1
	s_or_b32 exec_lo, exec_lo, s19
	v_lshlrev_b32_e32 v38, 8, v35
	s_delay_alu instid0(VALU_DEP_2) | instskip(NEXT) | instid1(VALU_DEP_3)
	v_lshl_add_u32 v37, v37, 10, 0x2000
	v_lshlrev_b32_e32 v19, 7, v19
	s_delay_alu instid0(VALU_DEP_3) | instskip(NEXT) | instid1(VALU_DEP_3)
	v_and_b32_e32 v38, 0x8000, v38
	v_and_b32_e32 v37, 0xfc00, v37
	s_delay_alu instid0(VALU_DEP_1)
	v_or3_b32 v19, v38, v37, v19
.LBB272_1500:                           ;   in Loop: Header=BB272_1066 Depth=1
	s_or_b32 exec_lo, exec_lo, s18
.LBB272_1501:                           ;   in Loop: Header=BB272_1066 Depth=1
	s_delay_alu instid0(SALU_CYCLE_1)
	s_or_b32 exec_lo, exec_lo, s17
.LBB272_1502:                           ;   in Loop: Header=BB272_1066 Depth=1
	s_delay_alu instid0(SALU_CYCLE_1) | instskip(SKIP_3) | instid1(VALU_DEP_2)
	s_or_b32 exec_lo, exec_lo, s16
	v_lshrrev_b16 v6, 8, v6
	v_mov_b32_e32 v37, 0
	s_mov_b32 s16, exec_lo
	v_cmpx_ne_u16_e32 0, v6
	s_cbranch_execz .LBB272_1510
; %bb.1503:                             ;   in Loop: Header=BB272_1066 Depth=1
	v_bfrev_b32_e32 v37, 1
	s_mov_b32 s17, exec_lo
	v_cmpx_ne_u16_e32 0x80, v6
	s_cbranch_execz .LBB272_1509
; %bb.1504:                             ;   in Loop: Header=BB272_1066 Depth=1
	v_and_b32_e32 v38, 0xffff, v6
	v_mov_b32_e32 v37, 0x7c010000
	s_mov_b32 s18, exec_lo
	s_delay_alu instid0(VALU_DEP_2) | instskip(NEXT) | instid1(VALU_DEP_1)
	v_and_b32_e32 v48, 0x7f, v38
	v_cmpx_ne_u32_e32 0x7f, v48
	s_cbranch_execz .LBB272_1508
; %bb.1505:                             ;   in Loop: Header=BB272_1066 Depth=1
	v_dual_lshrrev_b32 v39, 3, v48 :: v_dual_bitop2_b32 v37, 7, v38 bitop3:0x40
	s_mov_b32 s19, exec_lo
	v_cmpx_gt_u32_e32 8, v48
; %bb.1506:                             ;   in Loop: Header=BB272_1066 Depth=1
	s_delay_alu instid0(VALU_DEP_2) | instskip(NEXT) | instid1(VALU_DEP_1)
	v_clz_i32_u32_e32 v37, v37
	v_min_u32_e32 v37, 32, v37
	s_delay_alu instid0(VALU_DEP_1) | instskip(NEXT) | instid1(VALU_DEP_1)
	v_subrev_nc_u32_e32 v39, 28, v37
	v_lshlrev_b64_e32 v[48:49], v39, v[6:7]
	s_delay_alu instid0(VALU_DEP_1)
	v_dual_sub_nc_u32 v39, 29, v37 :: v_dual_bitop2_b32 v37, 7, v48 bitop3:0x40
; %bb.1507:                             ;   in Loop: Header=BB272_1066 Depth=1
	s_or_b32 exec_lo, exec_lo, s19
	s_delay_alu instid0(VALU_DEP_1) | instskip(NEXT) | instid1(VALU_DEP_2)
	v_dual_lshlrev_b32 v6, 8, v38 :: v_dual_lshlrev_b32 v37, 23, v37
	v_lshl_add_u32 v38, v39, 10, 0x2000
	s_delay_alu instid0(VALU_DEP_1) | instskip(NEXT) | instid1(VALU_DEP_1)
	v_and_or_b32 v6, 0x8000, v6, v38
	v_lshl_or_b32 v37, v6, 16, v37
.LBB272_1508:                           ;   in Loop: Header=BB272_1066 Depth=1
	s_or_b32 exec_lo, exec_lo, s18
.LBB272_1509:                           ;   in Loop: Header=BB272_1066 Depth=1
	s_delay_alu instid0(SALU_CYCLE_1)
	s_or_b32 exec_lo, exec_lo, s17
.LBB272_1510:                           ;   in Loop: Header=BB272_1066 Depth=1
	s_delay_alu instid0(SALU_CYCLE_1) | instskip(SKIP_2) | instid1(VALU_DEP_1)
	s_or_b32 exec_lo, exec_lo, s16
	v_lshrrev_b32_e32 v6, 16, v35
	s_mov_b32 s16, exec_lo
	v_and_b32_e32 v38, 0xff, v6
	s_delay_alu instid0(VALU_DEP_1)
	v_cmpx_ne_u16_e32 0, v38
	s_cbranch_execz .LBB272_1518
; %bb.1511:                             ;   in Loop: Header=BB272_1066 Depth=1
	v_mov_b32_e32 v36, 0x8000
	s_mov_b32 s17, exec_lo
	v_cmpx_ne_u16_e32 0x80, v38
	s_cbranch_execz .LBB272_1517
; %bb.1512:                             ;   in Loop: Header=BB272_1066 Depth=1
	v_bfe_u32 v39, v35, 16, 7
	v_mov_b32_e32 v36, 0x7c01
	s_mov_b32 s18, exec_lo
	s_delay_alu instid0(VALU_DEP_2)
	v_cmpx_ne_u32_e32 0x7f, v39
	s_cbranch_execz .LBB272_1516
; %bb.1513:                             ;   in Loop: Header=BB272_1066 Depth=1
	v_dual_lshrrev_b32 v38, 3, v39 :: v_dual_bitop2_b32 v36, 7, v6 bitop3:0x40
	s_mov_b32 s19, exec_lo
	v_cmpx_gt_u32_e32 8, v39
; %bb.1514:                             ;   in Loop: Header=BB272_1066 Depth=1
	s_delay_alu instid0(VALU_DEP_2) | instskip(NEXT) | instid1(VALU_DEP_1)
	v_clz_i32_u32_e32 v36, v36
	v_min_u32_e32 v36, 32, v36
	s_delay_alu instid0(VALU_DEP_1) | instskip(NEXT) | instid1(VALU_DEP_1)
	v_subrev_nc_u32_e32 v38, 28, v36
	v_lshlrev_b64_e32 v[48:49], v38, v[6:7]
	v_sub_nc_u32_e32 v38, 29, v36
	s_delay_alu instid0(VALU_DEP_2)
	v_and_b32_e32 v36, 7, v48
; %bb.1515:                             ;   in Loop: Header=BB272_1066 Depth=1
	s_or_b32 exec_lo, exec_lo, s19
	s_delay_alu instid0(VALU_DEP_1) | instskip(NEXT) | instid1(VALU_DEP_3)
	v_dual_lshlrev_b32 v6, 8, v6 :: v_dual_lshlrev_b32 v36, 7, v36
	v_lshl_add_u32 v38, v38, 10, 0x2000
	s_delay_alu instid0(VALU_DEP_2) | instskip(NEXT) | instid1(VALU_DEP_2)
	v_and_b32_e32 v6, 0x8000, v6
	v_and_b32_e32 v38, 0xfc00, v38
	s_delay_alu instid0(VALU_DEP_1)
	v_or3_b32 v36, v6, v38, v36
.LBB272_1516:                           ;   in Loop: Header=BB272_1066 Depth=1
	s_or_b32 exec_lo, exec_lo, s18
.LBB272_1517:                           ;   in Loop: Header=BB272_1066 Depth=1
	s_delay_alu instid0(SALU_CYCLE_1)
	s_or_b32 exec_lo, exec_lo, s17
.LBB272_1518:                           ;   in Loop: Header=BB272_1066 Depth=1
	s_delay_alu instid0(SALU_CYCLE_1)
	s_or_b32 exec_lo, exec_lo, s16
	v_cmp_lt_u64_e64 s1, s[2:3], v[34:35]
	v_mov_b32_e32 v34, 0
	s_and_saveexec_b32 s16, s1
	s_cbranch_execz .LBB272_1526
; %bb.1519:                             ;   in Loop: Header=BB272_1066 Depth=1
	v_lshrrev_b32_e32 v6, 24, v35
	v_bfrev_b32_e32 v34, 1
	s_mov_b32 s17, exec_lo
	s_delay_alu instid0(VALU_DEP_2)
	v_cmpx_ne_u32_e32 0x80, v6
	s_cbranch_execz .LBB272_1525
; %bb.1520:                             ;   in Loop: Header=BB272_1066 Depth=1
	v_and_b32_e32 v38, 0x7f, v6
	v_mov_b32_e32 v34, 0x7c010000
	s_mov_b32 s18, exec_lo
	s_delay_alu instid0(VALU_DEP_2)
	v_cmpx_ne_u32_e32 0x7f, v38
	s_cbranch_execz .LBB272_1524
; %bb.1521:                             ;   in Loop: Header=BB272_1066 Depth=1
	v_and_b32_e32 v34, 7, v6
	v_lshrrev_b32_e32 v35, 3, v38
	s_mov_b32 s19, exec_lo
	v_cmpx_gt_u32_e32 8, v38
; %bb.1522:                             ;   in Loop: Header=BB272_1066 Depth=1
	s_delay_alu instid0(VALU_DEP_3) | instskip(NEXT) | instid1(VALU_DEP_1)
	v_clz_i32_u32_e32 v34, v34
	v_min_u32_e32 v38, 32, v34
	s_delay_alu instid0(VALU_DEP_1) | instskip(NEXT) | instid1(VALU_DEP_1)
	v_subrev_nc_u32_e32 v34, 28, v38
	v_lshlrev_b64_e32 v[34:35], v34, v[6:7]
	v_sub_nc_u32_e32 v35, 29, v38
	s_delay_alu instid0(VALU_DEP_2)
	v_and_b32_e32 v34, 7, v34
; %bb.1523:                             ;   in Loop: Header=BB272_1066 Depth=1
	s_or_b32 exec_lo, exec_lo, s19
	v_lshlrev_b32_e32 v6, 8, v6
	s_delay_alu instid0(VALU_DEP_3) | instskip(NEXT) | instid1(VALU_DEP_3)
	v_lshl_add_u32 v35, v35, 10, 0x2000
	v_lshlrev_b32_e32 v34, 23, v34
	s_delay_alu instid0(VALU_DEP_2) | instskip(NEXT) | instid1(VALU_DEP_1)
	v_and_or_b32 v6, 0x8000, v6, v35
	v_lshl_or_b32 v34, v6, 16, v34
.LBB272_1524:                           ;   in Loop: Header=BB272_1066 Depth=1
	s_or_b32 exec_lo, exec_lo, s18
.LBB272_1525:                           ;   in Loop: Header=BB272_1066 Depth=1
	s_delay_alu instid0(SALU_CYCLE_1)
	s_or_b32 exec_lo, exec_lo, s17
.LBB272_1526:                           ;   in Loop: Header=BB272_1066 Depth=1
	s_delay_alu instid0(SALU_CYCLE_1) | instskip(SKIP_3) | instid1(VALU_DEP_3)
	s_or_b32 exec_lo, exec_lo, s16
	v_dual_lshrrev_b32 v6, 16, v0 :: v_dual_lshrrev_b32 v35, 16, v17
	v_or_b32_e32 v38, v0, v1
	v_or_b32_e32 v17, v17, v18
	v_cvt_f32_f16_e32 v1, v6
	s_delay_alu instid0(VALU_DEP_4)
	v_cvt_f32_f16_e32 v0, v35
	v_dual_lshrrev_b32 v35, 16, v37 :: v_dual_bitop2_b32 v6, v34, v36 bitop3:0x54
	v_lshrrev_b32_e32 v34, 16, v34
	v_cvt_f32_f16_e32 v18, v17
	s_wait_loadcnt_dscnt 0x0
	v_pk_mul_f32 v[0:1], v[16:17], v[0:1] op_sel_hi:[0,1]
	v_or_b32_e32 v17, v37, v19
	v_cvt_f32_f16_e32 v19, v38
	v_cvt_f32_f16_e32 v35, v35
	v_cvt_f32_f16_e32 v34, v34
	s_delay_alu instid0(VALU_DEP_3) | instskip(NEXT) | instid1(VALU_DEP_1)
	v_pk_mul_f32 v[18:19], v[16:17], v[18:19] op_sel_hi:[0,1]
	v_cvt_pk_f16_f32 v18, v18, v19
	s_delay_alu instid0(VALU_DEP_1) | instskip(SKIP_4) | instid1(VALU_DEP_3)
	v_lshrrev_b32_e32 v49, 16, v18
	v_cvt_f32_f16_e32 v36, v6
	v_cvt_pk_f16_f32 v6, v0, v1
	v_pk_mul_f32 v[0:1], v[16:17], v[34:35] op_sel_hi:[0,1]
	v_and_b32_e32 v48, 0xffff, v18
	v_lshlrev_b32_e32 v34, 16, v6
	v_cvt_f32_f16_e32 v37, v17
	s_delay_alu instid0(VALU_DEP_4) | instskip(SKIP_1) | instid1(VALU_DEP_4)
	v_cvt_pk_f16_f32 v0, v0, v1
	v_and_b32_e32 v35, 0xffff0000, v6
	v_or_b32_e32 v38, v34, v48
	s_delay_alu instid0(VALU_DEP_4) | instskip(NEXT) | instid1(VALU_DEP_3)
	v_pk_mul_f32 v[16:17], v[16:17], v[36:37] op_sel_hi:[0,1]
	v_or_b32_e32 v39, v35, v49
	s_delay_alu instid0(VALU_DEP_2) | instskip(SKIP_1) | instid1(VALU_DEP_2)
	v_cvt_pk_f16_f32 v1, v16, v17
	v_and_b32_e32 v17, 0xffff0000, v0
	v_dual_lshlrev_b32 v6, 16, v0 :: v_dual_lshrrev_b32 v19, 16, v1
	v_and_b32_e32 v16, 0xffff, v1
	s_delay_alu instid0(VALU_DEP_2) | instskip(NEXT) | instid1(VALU_DEP_2)
	v_or_b32_e32 v37, v17, v19
	v_or_b32_e32 v36, v6, v16
	s_and_saveexec_b32 s16, vcc_lo
	s_cbranch_execz .LBB272_1528
; %bb.1527:                             ;   in Loop: Header=BB272_1066 Depth=1
	v_cmp_lt_i32_e64 s1, v66, v13
	s_delay_alu instid0(VALU_DEP_1) | instskip(SKIP_1) | instid1(VALU_DEP_1)
	v_cndmask_b32_e64 v0, 0, v49, s1
	v_cmp_lt_i32_e64 s1, v83, v12
	v_cndmask_b32_e64 v1, 0, v48, s1
	v_cmp_lt_i32_e64 s1, v82, v13
	s_delay_alu instid0(VALU_DEP_1) | instskip(SKIP_1) | instid1(VALU_DEP_1)
	v_cndmask_b32_e64 v18, 0, v35, s1
	v_cmp_lt_i32_e64 s1, v81, v12
	v_cndmask_b32_e64 v34, 0, v34, s1
	v_cmp_lt_i32_e64 s1, v80, v13
	s_delay_alu instid0(VALU_DEP_4) | instskip(NEXT) | instid1(VALU_DEP_2)
	v_or_b32_e32 v39, v0, v18
	v_dual_cndmask_b32 v19, 0, v19, s1 :: v_dual_bitop2_b32 v38, v1, v34 bitop3:0x54
	v_cmp_lt_i32_e64 s1, v71, v12
	s_delay_alu instid0(VALU_DEP_1) | instskip(SKIP_1) | instid1(VALU_DEP_1)
	v_cndmask_b32_e64 v16, 0, v16, s1
	v_cmp_lt_i32_e64 s1, v70, v13
	v_cndmask_b32_e64 v17, 0, v17, s1
	v_cmp_lt_i32_e64 s1, v69, v12
	s_delay_alu instid0(VALU_DEP_1) | instskip(NEXT) | instid1(VALU_DEP_1)
	v_dual_cndmask_b32 v6, 0, v6, s1 :: v_dual_bitop2_b32 v37, v19, v17 bitop3:0x54
	v_or_b32_e32 v36, v16, v6
.LBB272_1528:                           ;   in Loop: Header=BB272_1066 Depth=1
	s_or_b32 exec_lo, exec_lo, s16
	;;#ASMSTART
	v_pk_mul_f16 v0, v53, v39;

	;;#ASMEND
	;;#ASMSTART
	v_pk_mul_f16 v1, v52, v38;

	;;#ASMEND
	;; [unrolled: 4-line block ×4, first 2 shown]
	;;#ASMSTART
	v_pk_add_f16 v0, v0, v1;

	;;#ASMEND
	;;#ASMSTART
	v_pk_add_f16 v0, v0, v6;

	;;#ASMEND
	;; [unrolled: 4-line block ×3, first 2 shown]
	v_and_b32_e32 v1, 0xffff, v0
	v_lshrrev_b32_e32 v0, 16, v0
	;;#ASMSTART
	v_cvt_f32_f16 v103, v1;
	;;#ASMEND
	v_mov_b32_e32 v1, 0
	;;#ASMSTART
	v_cvt_f32_f16 v112, v0;
	;;#ASMEND
	flat_load_b64 v[34:35], v[10:11] offset:1792
	flat_load_b32 v16, v[22:23]
	v_mov_b32_e32 v0, 0
	s_mov_b32 s16, exec_lo
	s_wait_loadcnt_dscnt 0x101
	v_and_b32_e32 v6, 0xff, v34
	s_wait_xcnt 0x0
	s_delay_alu instid0(VALU_DEP_1)
	v_cmpx_ne_u16_e32 0, v6
	s_cbranch_execz .LBB272_1536
; %bb.1529:                             ;   in Loop: Header=BB272_1066 Depth=1
	v_mov_b32_e32 v1, 0x8000
	s_mov_b32 s17, exec_lo
	v_cmpx_ne_u16_e32 0x80, v6
	s_cbranch_execz .LBB272_1535
; %bb.1530:                             ;   in Loop: Header=BB272_1066 Depth=1
	v_and_b32_e32 v17, 0x7f, v34
	v_mov_b32_e32 v1, 0x7c01
	s_mov_b32 s18, exec_lo
	s_delay_alu instid0(VALU_DEP_2)
	v_cmpx_ne_u32_e32 0x7f, v17
	s_cbranch_execz .LBB272_1534
; %bb.1531:                             ;   in Loop: Header=BB272_1066 Depth=1
	v_dual_lshrrev_b32 v6, 3, v17 :: v_dual_bitop2_b32 v1, 7, v34 bitop3:0x40
	s_mov_b32 s19, exec_lo
	v_cmpx_gt_u32_e32 8, v17
; %bb.1532:                             ;   in Loop: Header=BB272_1066 Depth=1
	s_delay_alu instid0(VALU_DEP_2) | instskip(NEXT) | instid1(VALU_DEP_1)
	v_clz_i32_u32_e32 v1, v1
	v_min_u32_e32 v1, 32, v1
	s_delay_alu instid0(VALU_DEP_1) | instskip(NEXT) | instid1(VALU_DEP_1)
	v_subrev_nc_u32_e32 v6, 28, v1
	v_lshlrev_b64_e32 v[18:19], v6, v[34:35]
	s_delay_alu instid0(VALU_DEP_1)
	v_dual_sub_nc_u32 v6, 29, v1 :: v_dual_bitop2_b32 v1, 7, v18 bitop3:0x40
; %bb.1533:                             ;   in Loop: Header=BB272_1066 Depth=1
	s_or_b32 exec_lo, exec_lo, s19
	s_delay_alu instid0(VALU_DEP_1) | instskip(NEXT) | instid1(VALU_DEP_2)
	v_dual_lshlrev_b32 v17, 8, v34 :: v_dual_lshlrev_b32 v1, 7, v1
	v_lshl_add_u32 v6, v6, 10, 0x2000
	s_delay_alu instid0(VALU_DEP_2) | instskip(NEXT) | instid1(VALU_DEP_2)
	v_and_b32_e32 v17, 0x8000, v17
	v_and_b32_e32 v6, 0xfc00, v6
	s_delay_alu instid0(VALU_DEP_1)
	v_or3_b32 v1, v17, v6, v1
.LBB272_1534:                           ;   in Loop: Header=BB272_1066 Depth=1
	s_or_b32 exec_lo, exec_lo, s18
.LBB272_1535:                           ;   in Loop: Header=BB272_1066 Depth=1
	s_delay_alu instid0(SALU_CYCLE_1)
	s_or_b32 exec_lo, exec_lo, s17
.LBB272_1536:                           ;   in Loop: Header=BB272_1066 Depth=1
	s_delay_alu instid0(SALU_CYCLE_1) | instskip(SKIP_2) | instid1(VALU_DEP_1)
	s_or_b32 exec_lo, exec_lo, s16
	v_lshrrev_b16 v6, 8, v34
	s_mov_b32 s16, exec_lo
	v_cmpx_ne_u16_e32 0, v6
	s_cbranch_execz .LBB272_1544
; %bb.1537:                             ;   in Loop: Header=BB272_1066 Depth=1
	v_bfrev_b32_e32 v0, 1
	s_mov_b32 s17, exec_lo
	v_cmpx_ne_u16_e32 0x80, v6
	s_cbranch_execz .LBB272_1543
; %bb.1538:                             ;   in Loop: Header=BB272_1066 Depth=1
	v_and_b32_e32 v17, 0xffff, v6
	v_mov_b32_e32 v0, 0x7c010000
	s_mov_b32 s18, exec_lo
	s_delay_alu instid0(VALU_DEP_2) | instskip(NEXT) | instid1(VALU_DEP_1)
	v_and_b32_e32 v19, 0x7f, v17
	v_cmpx_ne_u32_e32 0x7f, v19
	s_cbranch_execz .LBB272_1542
; %bb.1539:                             ;   in Loop: Header=BB272_1066 Depth=1
	v_dual_lshrrev_b32 v18, 3, v19 :: v_dual_bitop2_b32 v0, 7, v17 bitop3:0x40
	s_mov_b32 s19, exec_lo
	v_cmpx_gt_u32_e32 8, v19
; %bb.1540:                             ;   in Loop: Header=BB272_1066 Depth=1
	s_delay_alu instid0(VALU_DEP_2) | instskip(NEXT) | instid1(VALU_DEP_1)
	v_clz_i32_u32_e32 v0, v0
	v_min_u32_e32 v0, 32, v0
	s_delay_alu instid0(VALU_DEP_1) | instskip(NEXT) | instid1(VALU_DEP_1)
	v_subrev_nc_u32_e32 v18, 28, v0
	v_lshlrev_b64_e32 v[36:37], v18, v[6:7]
	v_sub_nc_u32_e32 v18, 29, v0
	s_delay_alu instid0(VALU_DEP_2)
	v_and_b32_e32 v0, 7, v36
; %bb.1541:                             ;   in Loop: Header=BB272_1066 Depth=1
	s_or_b32 exec_lo, exec_lo, s19
	s_delay_alu instid0(VALU_DEP_1) | instskip(NEXT) | instid1(VALU_DEP_3)
	v_dual_lshlrev_b32 v6, 8, v17 :: v_dual_lshlrev_b32 v0, 23, v0
	v_lshl_add_u32 v17, v18, 10, 0x2000
	s_delay_alu instid0(VALU_DEP_1) | instskip(NEXT) | instid1(VALU_DEP_1)
	v_and_or_b32 v6, 0x8000, v6, v17
	v_lshl_or_b32 v0, v6, 16, v0
.LBB272_1542:                           ;   in Loop: Header=BB272_1066 Depth=1
	s_or_b32 exec_lo, exec_lo, s18
.LBB272_1543:                           ;   in Loop: Header=BB272_1066 Depth=1
	s_delay_alu instid0(SALU_CYCLE_1)
	s_or_b32 exec_lo, exec_lo, s17
.LBB272_1544:                           ;   in Loop: Header=BB272_1066 Depth=1
	s_delay_alu instid0(SALU_CYCLE_1) | instskip(SKIP_3) | instid1(VALU_DEP_2)
	s_or_b32 exec_lo, exec_lo, s16
	v_dual_mov_b32 v17, 0 :: v_dual_lshrrev_b32 v6, 16, v34
	v_mov_b32_e32 v18, 0
	s_mov_b32 s16, exec_lo
	v_and_b32_e32 v19, 0xff, v6
	s_delay_alu instid0(VALU_DEP_1)
	v_cmpx_ne_u16_e32 0, v19
	s_cbranch_execz .LBB272_1552
; %bb.1545:                             ;   in Loop: Header=BB272_1066 Depth=1
	v_mov_b32_e32 v18, 0x8000
	s_mov_b32 s17, exec_lo
	v_cmpx_ne_u16_e32 0x80, v19
	s_cbranch_execz .LBB272_1551
; %bb.1546:                             ;   in Loop: Header=BB272_1066 Depth=1
	v_bfe_u32 v36, v34, 16, 7
	v_mov_b32_e32 v18, 0x7c01
	s_mov_b32 s18, exec_lo
	s_delay_alu instid0(VALU_DEP_2)
	v_cmpx_ne_u32_e32 0x7f, v36
	s_cbranch_execz .LBB272_1550
; %bb.1547:                             ;   in Loop: Header=BB272_1066 Depth=1
	v_dual_lshrrev_b32 v19, 3, v36 :: v_dual_bitop2_b32 v18, 7, v6 bitop3:0x40
	s_mov_b32 s19, exec_lo
	v_cmpx_gt_u32_e32 8, v36
; %bb.1548:                             ;   in Loop: Header=BB272_1066 Depth=1
	s_delay_alu instid0(VALU_DEP_2) | instskip(NEXT) | instid1(VALU_DEP_1)
	v_clz_i32_u32_e32 v18, v18
	v_min_u32_e32 v36, 32, v18
	s_delay_alu instid0(VALU_DEP_1) | instskip(NEXT) | instid1(VALU_DEP_1)
	v_subrev_nc_u32_e32 v18, 28, v36
	v_lshlrev_b64_e32 v[18:19], v18, v[6:7]
	s_delay_alu instid0(VALU_DEP_1)
	v_dual_sub_nc_u32 v19, 29, v36 :: v_dual_bitop2_b32 v18, 7, v18 bitop3:0x40
; %bb.1549:                             ;   in Loop: Header=BB272_1066 Depth=1
	s_or_b32 exec_lo, exec_lo, s19
	v_lshlrev_b32_e32 v6, 8, v6
	s_delay_alu instid0(VALU_DEP_2) | instskip(NEXT) | instid1(VALU_DEP_3)
	v_lshl_add_u32 v19, v19, 10, 0x2000
	v_lshlrev_b32_e32 v18, 7, v18
	s_delay_alu instid0(VALU_DEP_3) | instskip(NEXT) | instid1(VALU_DEP_3)
	v_and_b32_e32 v6, 0x8000, v6
	v_and_b32_e32 v19, 0xfc00, v19
	s_delay_alu instid0(VALU_DEP_1)
	v_or3_b32 v18, v6, v19, v18
.LBB272_1550:                           ;   in Loop: Header=BB272_1066 Depth=1
	s_or_b32 exec_lo, exec_lo, s18
.LBB272_1551:                           ;   in Loop: Header=BB272_1066 Depth=1
	s_delay_alu instid0(SALU_CYCLE_1)
	s_or_b32 exec_lo, exec_lo, s17
.LBB272_1552:                           ;   in Loop: Header=BB272_1066 Depth=1
	s_delay_alu instid0(SALU_CYCLE_1) | instskip(NEXT) | instid1(SALU_CYCLE_1)
	s_or_b32 exec_lo, exec_lo, s16
	s_mov_b32 s16, exec_lo
	v_cmpx_lt_u32_e32 0xffffff, v34
	s_cbranch_execz .LBB272_1560
; %bb.1553:                             ;   in Loop: Header=BB272_1066 Depth=1
	v_lshrrev_b32_e32 v6, 24, v34
	v_bfrev_b32_e32 v17, 1
	s_mov_b32 s17, exec_lo
	s_delay_alu instid0(VALU_DEP_2)
	v_cmpx_ne_u32_e32 0x80, v6
	s_cbranch_execz .LBB272_1559
; %bb.1554:                             ;   in Loop: Header=BB272_1066 Depth=1
	v_and_b32_e32 v36, 0x7f, v6
	v_mov_b32_e32 v17, 0x7c010000
	s_mov_b32 s18, exec_lo
	s_delay_alu instid0(VALU_DEP_2)
	v_cmpx_ne_u32_e32 0x7f, v36
	s_cbranch_execz .LBB272_1558
; %bb.1555:                             ;   in Loop: Header=BB272_1066 Depth=1
	v_dual_lshrrev_b32 v19, 3, v36 :: v_dual_bitop2_b32 v17, 7, v6 bitop3:0x40
	s_mov_b32 s19, exec_lo
	v_cmpx_gt_u32_e32 8, v36
; %bb.1556:                             ;   in Loop: Header=BB272_1066 Depth=1
	s_delay_alu instid0(VALU_DEP_2) | instskip(NEXT) | instid1(VALU_DEP_1)
	v_clz_i32_u32_e32 v17, v17
	v_min_u32_e32 v17, 32, v17
	s_delay_alu instid0(VALU_DEP_1) | instskip(NEXT) | instid1(VALU_DEP_1)
	v_subrev_nc_u32_e32 v19, 28, v17
	v_lshlrev_b64_e32 v[36:37], v19, v[6:7]
	s_delay_alu instid0(VALU_DEP_1)
	v_dual_sub_nc_u32 v19, 29, v17 :: v_dual_bitop2_b32 v17, 7, v36 bitop3:0x40
; %bb.1557:                             ;   in Loop: Header=BB272_1066 Depth=1
	s_or_b32 exec_lo, exec_lo, s19
	s_delay_alu instid0(VALU_DEP_1) | instskip(NEXT) | instid1(VALU_DEP_2)
	v_dual_lshlrev_b32 v6, 8, v6 :: v_dual_lshlrev_b32 v17, 23, v17
	v_lshl_add_u32 v19, v19, 10, 0x2000
	s_delay_alu instid0(VALU_DEP_1) | instskip(NEXT) | instid1(VALU_DEP_1)
	v_and_or_b32 v6, 0x8000, v6, v19
	v_lshl_or_b32 v17, v6, 16, v17
.LBB272_1558:                           ;   in Loop: Header=BB272_1066 Depth=1
	s_or_b32 exec_lo, exec_lo, s18
.LBB272_1559:                           ;   in Loop: Header=BB272_1066 Depth=1
	s_delay_alu instid0(SALU_CYCLE_1)
	s_or_b32 exec_lo, exec_lo, s17
.LBB272_1560:                           ;   in Loop: Header=BB272_1066 Depth=1
	s_delay_alu instid0(SALU_CYCLE_1) | instskip(SKIP_4) | instid1(VALU_DEP_3)
	s_or_b32 exec_lo, exec_lo, s16
	v_and_b32_e32 v37, 0xff, v35
	v_dual_mov_b32 v6, v35 :: v_dual_mov_b32 v36, 0
	v_mov_b32_e32 v19, 0
	s_mov_b32 s16, exec_lo
	v_cmpx_ne_u16_e32 0, v37
	s_cbranch_execz .LBB272_1568
; %bb.1561:                             ;   in Loop: Header=BB272_1066 Depth=1
	v_mov_b32_e32 v19, 0x8000
	s_mov_b32 s17, exec_lo
	v_cmpx_ne_u16_e32 0x80, v37
	s_cbranch_execz .LBB272_1567
; %bb.1562:                             ;   in Loop: Header=BB272_1066 Depth=1
	v_and_b32_e32 v38, 0x7f, v35
	v_mov_b32_e32 v19, 0x7c01
	s_mov_b32 s18, exec_lo
	s_delay_alu instid0(VALU_DEP_2)
	v_cmpx_ne_u32_e32 0x7f, v38
	s_cbranch_execz .LBB272_1566
; %bb.1563:                             ;   in Loop: Header=BB272_1066 Depth=1
	v_dual_lshrrev_b32 v37, 3, v38 :: v_dual_bitop2_b32 v19, 7, v35 bitop3:0x40
	s_mov_b32 s19, exec_lo
	v_cmpx_gt_u32_e32 8, v38
; %bb.1564:                             ;   in Loop: Header=BB272_1066 Depth=1
	s_delay_alu instid0(VALU_DEP_2) | instskip(NEXT) | instid1(VALU_DEP_1)
	v_clz_i32_u32_e32 v19, v19
	v_min_u32_e32 v19, 32, v19
	s_delay_alu instid0(VALU_DEP_1) | instskip(NEXT) | instid1(VALU_DEP_1)
	v_subrev_nc_u32_e32 v37, 28, v19
	v_lshlrev_b64_e32 v[38:39], v37, v[6:7]
	s_delay_alu instid0(VALU_DEP_1)
	v_dual_sub_nc_u32 v37, 29, v19 :: v_dual_bitop2_b32 v19, 7, v38 bitop3:0x40
; %bb.1565:                             ;   in Loop: Header=BB272_1066 Depth=1
	s_or_b32 exec_lo, exec_lo, s19
	v_lshlrev_b32_e32 v38, 8, v35
	s_delay_alu instid0(VALU_DEP_2) | instskip(NEXT) | instid1(VALU_DEP_3)
	v_lshl_add_u32 v37, v37, 10, 0x2000
	v_lshlrev_b32_e32 v19, 7, v19
	s_delay_alu instid0(VALU_DEP_3) | instskip(NEXT) | instid1(VALU_DEP_3)
	v_and_b32_e32 v38, 0x8000, v38
	v_and_b32_e32 v37, 0xfc00, v37
	s_delay_alu instid0(VALU_DEP_1)
	v_or3_b32 v19, v38, v37, v19
.LBB272_1566:                           ;   in Loop: Header=BB272_1066 Depth=1
	s_or_b32 exec_lo, exec_lo, s18
.LBB272_1567:                           ;   in Loop: Header=BB272_1066 Depth=1
	s_delay_alu instid0(SALU_CYCLE_1)
	s_or_b32 exec_lo, exec_lo, s17
.LBB272_1568:                           ;   in Loop: Header=BB272_1066 Depth=1
	s_delay_alu instid0(SALU_CYCLE_1) | instskip(SKIP_3) | instid1(VALU_DEP_2)
	s_or_b32 exec_lo, exec_lo, s16
	v_lshrrev_b16 v6, 8, v6
	v_mov_b32_e32 v37, 0
	s_mov_b32 s16, exec_lo
	v_cmpx_ne_u16_e32 0, v6
	s_cbranch_execz .LBB272_1576
; %bb.1569:                             ;   in Loop: Header=BB272_1066 Depth=1
	v_bfrev_b32_e32 v37, 1
	s_mov_b32 s17, exec_lo
	v_cmpx_ne_u16_e32 0x80, v6
	s_cbranch_execz .LBB272_1575
; %bb.1570:                             ;   in Loop: Header=BB272_1066 Depth=1
	v_and_b32_e32 v38, 0xffff, v6
	v_mov_b32_e32 v37, 0x7c010000
	s_mov_b32 s18, exec_lo
	s_delay_alu instid0(VALU_DEP_2) | instskip(NEXT) | instid1(VALU_DEP_1)
	v_and_b32_e32 v48, 0x7f, v38
	v_cmpx_ne_u32_e32 0x7f, v48
	s_cbranch_execz .LBB272_1574
; %bb.1571:                             ;   in Loop: Header=BB272_1066 Depth=1
	v_dual_lshrrev_b32 v39, 3, v48 :: v_dual_bitop2_b32 v37, 7, v38 bitop3:0x40
	s_mov_b32 s19, exec_lo
	v_cmpx_gt_u32_e32 8, v48
; %bb.1572:                             ;   in Loop: Header=BB272_1066 Depth=1
	s_delay_alu instid0(VALU_DEP_2) | instskip(NEXT) | instid1(VALU_DEP_1)
	v_clz_i32_u32_e32 v37, v37
	v_min_u32_e32 v37, 32, v37
	s_delay_alu instid0(VALU_DEP_1) | instskip(NEXT) | instid1(VALU_DEP_1)
	v_subrev_nc_u32_e32 v39, 28, v37
	v_lshlrev_b64_e32 v[48:49], v39, v[6:7]
	s_delay_alu instid0(VALU_DEP_1)
	v_dual_sub_nc_u32 v39, 29, v37 :: v_dual_bitop2_b32 v37, 7, v48 bitop3:0x40
; %bb.1573:                             ;   in Loop: Header=BB272_1066 Depth=1
	s_or_b32 exec_lo, exec_lo, s19
	s_delay_alu instid0(VALU_DEP_1) | instskip(NEXT) | instid1(VALU_DEP_2)
	v_dual_lshlrev_b32 v6, 8, v38 :: v_dual_lshlrev_b32 v37, 23, v37
	v_lshl_add_u32 v38, v39, 10, 0x2000
	s_delay_alu instid0(VALU_DEP_1) | instskip(NEXT) | instid1(VALU_DEP_1)
	v_and_or_b32 v6, 0x8000, v6, v38
	v_lshl_or_b32 v37, v6, 16, v37
.LBB272_1574:                           ;   in Loop: Header=BB272_1066 Depth=1
	s_or_b32 exec_lo, exec_lo, s18
.LBB272_1575:                           ;   in Loop: Header=BB272_1066 Depth=1
	s_delay_alu instid0(SALU_CYCLE_1)
	s_or_b32 exec_lo, exec_lo, s17
.LBB272_1576:                           ;   in Loop: Header=BB272_1066 Depth=1
	s_delay_alu instid0(SALU_CYCLE_1) | instskip(SKIP_2) | instid1(VALU_DEP_1)
	s_or_b32 exec_lo, exec_lo, s16
	v_lshrrev_b32_e32 v6, 16, v35
	s_mov_b32 s16, exec_lo
	v_and_b32_e32 v38, 0xff, v6
	s_delay_alu instid0(VALU_DEP_1)
	v_cmpx_ne_u16_e32 0, v38
	s_cbranch_execz .LBB272_1584
; %bb.1577:                             ;   in Loop: Header=BB272_1066 Depth=1
	v_mov_b32_e32 v36, 0x8000
	s_mov_b32 s17, exec_lo
	v_cmpx_ne_u16_e32 0x80, v38
	s_cbranch_execz .LBB272_1583
; %bb.1578:                             ;   in Loop: Header=BB272_1066 Depth=1
	v_bfe_u32 v39, v35, 16, 7
	v_mov_b32_e32 v36, 0x7c01
	s_mov_b32 s18, exec_lo
	s_delay_alu instid0(VALU_DEP_2)
	v_cmpx_ne_u32_e32 0x7f, v39
	s_cbranch_execz .LBB272_1582
; %bb.1579:                             ;   in Loop: Header=BB272_1066 Depth=1
	v_dual_lshrrev_b32 v38, 3, v39 :: v_dual_bitop2_b32 v36, 7, v6 bitop3:0x40
	s_mov_b32 s19, exec_lo
	v_cmpx_gt_u32_e32 8, v39
; %bb.1580:                             ;   in Loop: Header=BB272_1066 Depth=1
	s_delay_alu instid0(VALU_DEP_2) | instskip(NEXT) | instid1(VALU_DEP_1)
	v_clz_i32_u32_e32 v36, v36
	v_min_u32_e32 v36, 32, v36
	s_delay_alu instid0(VALU_DEP_1) | instskip(NEXT) | instid1(VALU_DEP_1)
	v_subrev_nc_u32_e32 v38, 28, v36
	v_lshlrev_b64_e32 v[48:49], v38, v[6:7]
	v_sub_nc_u32_e32 v38, 29, v36
	s_delay_alu instid0(VALU_DEP_2)
	v_and_b32_e32 v36, 7, v48
; %bb.1581:                             ;   in Loop: Header=BB272_1066 Depth=1
	s_or_b32 exec_lo, exec_lo, s19
	s_delay_alu instid0(VALU_DEP_1) | instskip(NEXT) | instid1(VALU_DEP_3)
	v_dual_lshlrev_b32 v6, 8, v6 :: v_dual_lshlrev_b32 v36, 7, v36
	v_lshl_add_u32 v38, v38, 10, 0x2000
	s_delay_alu instid0(VALU_DEP_2) | instskip(NEXT) | instid1(VALU_DEP_2)
	v_and_b32_e32 v6, 0x8000, v6
	v_and_b32_e32 v38, 0xfc00, v38
	s_delay_alu instid0(VALU_DEP_1)
	v_or3_b32 v36, v6, v38, v36
.LBB272_1582:                           ;   in Loop: Header=BB272_1066 Depth=1
	s_or_b32 exec_lo, exec_lo, s18
.LBB272_1583:                           ;   in Loop: Header=BB272_1066 Depth=1
	s_delay_alu instid0(SALU_CYCLE_1)
	s_or_b32 exec_lo, exec_lo, s17
.LBB272_1584:                           ;   in Loop: Header=BB272_1066 Depth=1
	s_delay_alu instid0(SALU_CYCLE_1)
	s_or_b32 exec_lo, exec_lo, s16
	v_cmp_lt_u64_e64 s1, s[2:3], v[34:35]
	v_mov_b32_e32 v34, 0
	s_and_saveexec_b32 s16, s1
	s_cbranch_execz .LBB272_1592
; %bb.1585:                             ;   in Loop: Header=BB272_1066 Depth=1
	v_lshrrev_b32_e32 v6, 24, v35
	v_bfrev_b32_e32 v34, 1
	s_mov_b32 s17, exec_lo
	s_delay_alu instid0(VALU_DEP_2)
	v_cmpx_ne_u32_e32 0x80, v6
	s_cbranch_execz .LBB272_1591
; %bb.1586:                             ;   in Loop: Header=BB272_1066 Depth=1
	v_and_b32_e32 v38, 0x7f, v6
	v_mov_b32_e32 v34, 0x7c010000
	s_mov_b32 s18, exec_lo
	s_delay_alu instid0(VALU_DEP_2)
	v_cmpx_ne_u32_e32 0x7f, v38
	s_cbranch_execz .LBB272_1590
; %bb.1587:                             ;   in Loop: Header=BB272_1066 Depth=1
	v_and_b32_e32 v34, 7, v6
	v_lshrrev_b32_e32 v35, 3, v38
	s_mov_b32 s19, exec_lo
	v_cmpx_gt_u32_e32 8, v38
; %bb.1588:                             ;   in Loop: Header=BB272_1066 Depth=1
	s_delay_alu instid0(VALU_DEP_3) | instskip(NEXT) | instid1(VALU_DEP_1)
	v_clz_i32_u32_e32 v34, v34
	v_min_u32_e32 v38, 32, v34
	s_delay_alu instid0(VALU_DEP_1) | instskip(NEXT) | instid1(VALU_DEP_1)
	v_subrev_nc_u32_e32 v34, 28, v38
	v_lshlrev_b64_e32 v[34:35], v34, v[6:7]
	v_sub_nc_u32_e32 v35, 29, v38
	s_delay_alu instid0(VALU_DEP_2)
	v_and_b32_e32 v34, 7, v34
; %bb.1589:                             ;   in Loop: Header=BB272_1066 Depth=1
	s_or_b32 exec_lo, exec_lo, s19
	v_lshlrev_b32_e32 v6, 8, v6
	s_delay_alu instid0(VALU_DEP_3) | instskip(NEXT) | instid1(VALU_DEP_3)
	v_lshl_add_u32 v35, v35, 10, 0x2000
	v_lshlrev_b32_e32 v34, 23, v34
	s_delay_alu instid0(VALU_DEP_2) | instskip(NEXT) | instid1(VALU_DEP_1)
	v_and_or_b32 v6, 0x8000, v6, v35
	v_lshl_or_b32 v34, v6, 16, v34
.LBB272_1590:                           ;   in Loop: Header=BB272_1066 Depth=1
	s_or_b32 exec_lo, exec_lo, s18
.LBB272_1591:                           ;   in Loop: Header=BB272_1066 Depth=1
	s_delay_alu instid0(SALU_CYCLE_1)
	s_or_b32 exec_lo, exec_lo, s17
.LBB272_1592:                           ;   in Loop: Header=BB272_1066 Depth=1
	s_delay_alu instid0(SALU_CYCLE_1) | instskip(SKIP_3) | instid1(VALU_DEP_3)
	s_or_b32 exec_lo, exec_lo, s16
	v_dual_lshrrev_b32 v6, 16, v0 :: v_dual_lshrrev_b32 v35, 16, v17
	v_or_b32_e32 v38, v0, v1
	v_or_b32_e32 v17, v17, v18
	v_cvt_f32_f16_e32 v1, v6
	s_delay_alu instid0(VALU_DEP_4)
	v_cvt_f32_f16_e32 v0, v35
	v_dual_lshrrev_b32 v35, 16, v37 :: v_dual_bitop2_b32 v6, v34, v36 bitop3:0x54
	v_lshrrev_b32_e32 v34, 16, v34
	v_cvt_f32_f16_e32 v18, v17
	s_wait_loadcnt_dscnt 0x0
	v_pk_mul_f32 v[0:1], v[16:17], v[0:1] op_sel_hi:[0,1]
	v_or_b32_e32 v17, v37, v19
	v_cvt_f32_f16_e32 v19, v38
	v_cvt_f32_f16_e32 v35, v35
	v_cvt_f32_f16_e32 v34, v34
	s_delay_alu instid0(VALU_DEP_3) | instskip(NEXT) | instid1(VALU_DEP_1)
	v_pk_mul_f32 v[18:19], v[16:17], v[18:19] op_sel_hi:[0,1]
	v_cvt_pk_f16_f32 v18, v18, v19
	s_delay_alu instid0(VALU_DEP_1) | instskip(SKIP_4) | instid1(VALU_DEP_3)
	v_lshrrev_b32_e32 v49, 16, v18
	v_cvt_f32_f16_e32 v36, v6
	v_cvt_pk_f16_f32 v6, v0, v1
	v_pk_mul_f32 v[0:1], v[16:17], v[34:35] op_sel_hi:[0,1]
	v_and_b32_e32 v48, 0xffff, v18
	v_lshlrev_b32_e32 v34, 16, v6
	v_cvt_f32_f16_e32 v37, v17
	s_delay_alu instid0(VALU_DEP_4) | instskip(SKIP_1) | instid1(VALU_DEP_4)
	v_cvt_pk_f16_f32 v0, v0, v1
	v_and_b32_e32 v35, 0xffff0000, v6
	v_or_b32_e32 v38, v34, v48
	s_delay_alu instid0(VALU_DEP_4) | instskip(NEXT) | instid1(VALU_DEP_3)
	v_pk_mul_f32 v[16:17], v[16:17], v[36:37] op_sel_hi:[0,1]
	v_or_b32_e32 v39, v35, v49
	s_delay_alu instid0(VALU_DEP_2) | instskip(SKIP_1) | instid1(VALU_DEP_2)
	v_cvt_pk_f16_f32 v1, v16, v17
	v_and_b32_e32 v17, 0xffff0000, v0
	v_dual_lshlrev_b32 v6, 16, v0 :: v_dual_lshrrev_b32 v19, 16, v1
	v_and_b32_e32 v16, 0xffff, v1
	s_delay_alu instid0(VALU_DEP_2) | instskip(NEXT) | instid1(VALU_DEP_2)
	v_or_b32_e32 v37, v17, v19
	v_or_b32_e32 v36, v6, v16
	s_and_saveexec_b32 s16, vcc_lo
	s_cbranch_execz .LBB272_1594
; %bb.1593:                             ;   in Loop: Header=BB272_1066 Depth=1
	v_cmp_lt_i32_e64 s1, v66, v13
	s_delay_alu instid0(VALU_DEP_1) | instskip(SKIP_1) | instid1(VALU_DEP_1)
	v_cndmask_b32_e64 v0, 0, v49, s1
	v_cmp_lt_i32_e64 s1, v83, v12
	v_cndmask_b32_e64 v1, 0, v48, s1
	v_cmp_lt_i32_e64 s1, v82, v13
	s_delay_alu instid0(VALU_DEP_1) | instskip(SKIP_1) | instid1(VALU_DEP_1)
	v_cndmask_b32_e64 v18, 0, v35, s1
	v_cmp_lt_i32_e64 s1, v81, v12
	v_cndmask_b32_e64 v34, 0, v34, s1
	v_cmp_lt_i32_e64 s1, v80, v13
	s_delay_alu instid0(VALU_DEP_4) | instskip(NEXT) | instid1(VALU_DEP_2)
	v_or_b32_e32 v39, v0, v18
	v_dual_cndmask_b32 v19, 0, v19, s1 :: v_dual_bitop2_b32 v38, v1, v34 bitop3:0x54
	v_cmp_lt_i32_e64 s1, v71, v12
	s_delay_alu instid0(VALU_DEP_1) | instskip(SKIP_1) | instid1(VALU_DEP_1)
	v_cndmask_b32_e64 v16, 0, v16, s1
	v_cmp_lt_i32_e64 s1, v70, v13
	v_cndmask_b32_e64 v17, 0, v17, s1
	v_cmp_lt_i32_e64 s1, v69, v12
	s_delay_alu instid0(VALU_DEP_1) | instskip(NEXT) | instid1(VALU_DEP_1)
	v_dual_cndmask_b32 v6, 0, v6, s1 :: v_dual_bitop2_b32 v37, v19, v17 bitop3:0x54
	v_or_b32_e32 v36, v16, v6
.LBB272_1594:                           ;   in Loop: Header=BB272_1066 Depth=1
	s_or_b32 exec_lo, exec_lo, s16
	;;#ASMSTART
	v_pk_mul_f16 v0, v53, v39;

	;;#ASMEND
	;;#ASMSTART
	v_pk_mul_f16 v1, v52, v38;

	;;#ASMEND
	;; [unrolled: 4-line block ×4, first 2 shown]
	;;#ASMSTART
	v_pk_add_f16 v0, v0, v1;

	;;#ASMEND
	;;#ASMSTART
	v_pk_add_f16 v0, v0, v6;

	;;#ASMEND
	;; [unrolled: 4-line block ×3, first 2 shown]
	v_and_b32_e32 v1, 0xffff, v0
	v_lshrrev_b32_e32 v0, 16, v0
	;;#ASMSTART
	v_cvt_f32_f16 v113, v1;
	;;#ASMEND
	v_mov_b32_e32 v1, 0
	;;#ASMSTART
	v_cvt_f32_f16 v114, v0;
	;;#ASMEND
	flat_load_b64 v[34:35], v[10:11] offset:2048
	flat_load_b32 v16, v[22:23]
	v_mov_b32_e32 v0, 0
	s_mov_b32 s16, exec_lo
	s_wait_loadcnt_dscnt 0x101
	v_and_b32_e32 v6, 0xff, v34
	s_wait_xcnt 0x0
	s_delay_alu instid0(VALU_DEP_1)
	v_cmpx_ne_u16_e32 0, v6
	s_cbranch_execz .LBB272_1602
; %bb.1595:                             ;   in Loop: Header=BB272_1066 Depth=1
	v_mov_b32_e32 v1, 0x8000
	s_mov_b32 s17, exec_lo
	v_cmpx_ne_u16_e32 0x80, v6
	s_cbranch_execz .LBB272_1601
; %bb.1596:                             ;   in Loop: Header=BB272_1066 Depth=1
	v_and_b32_e32 v17, 0x7f, v34
	v_mov_b32_e32 v1, 0x7c01
	s_mov_b32 s18, exec_lo
	s_delay_alu instid0(VALU_DEP_2)
	v_cmpx_ne_u32_e32 0x7f, v17
	s_cbranch_execz .LBB272_1600
; %bb.1597:                             ;   in Loop: Header=BB272_1066 Depth=1
	v_dual_lshrrev_b32 v6, 3, v17 :: v_dual_bitop2_b32 v1, 7, v34 bitop3:0x40
	s_mov_b32 s19, exec_lo
	v_cmpx_gt_u32_e32 8, v17
; %bb.1598:                             ;   in Loop: Header=BB272_1066 Depth=1
	s_delay_alu instid0(VALU_DEP_2) | instskip(NEXT) | instid1(VALU_DEP_1)
	v_clz_i32_u32_e32 v1, v1
	v_min_u32_e32 v1, 32, v1
	s_delay_alu instid0(VALU_DEP_1) | instskip(NEXT) | instid1(VALU_DEP_1)
	v_subrev_nc_u32_e32 v6, 28, v1
	v_lshlrev_b64_e32 v[18:19], v6, v[34:35]
	s_delay_alu instid0(VALU_DEP_1)
	v_dual_sub_nc_u32 v6, 29, v1 :: v_dual_bitop2_b32 v1, 7, v18 bitop3:0x40
; %bb.1599:                             ;   in Loop: Header=BB272_1066 Depth=1
	s_or_b32 exec_lo, exec_lo, s19
	s_delay_alu instid0(VALU_DEP_1) | instskip(NEXT) | instid1(VALU_DEP_2)
	v_dual_lshlrev_b32 v17, 8, v34 :: v_dual_lshlrev_b32 v1, 7, v1
	v_lshl_add_u32 v6, v6, 10, 0x2000
	s_delay_alu instid0(VALU_DEP_2) | instskip(NEXT) | instid1(VALU_DEP_2)
	v_and_b32_e32 v17, 0x8000, v17
	v_and_b32_e32 v6, 0xfc00, v6
	s_delay_alu instid0(VALU_DEP_1)
	v_or3_b32 v1, v17, v6, v1
.LBB272_1600:                           ;   in Loop: Header=BB272_1066 Depth=1
	s_or_b32 exec_lo, exec_lo, s18
.LBB272_1601:                           ;   in Loop: Header=BB272_1066 Depth=1
	s_delay_alu instid0(SALU_CYCLE_1)
	s_or_b32 exec_lo, exec_lo, s17
.LBB272_1602:                           ;   in Loop: Header=BB272_1066 Depth=1
	s_delay_alu instid0(SALU_CYCLE_1) | instskip(SKIP_2) | instid1(VALU_DEP_1)
	s_or_b32 exec_lo, exec_lo, s16
	v_lshrrev_b16 v6, 8, v34
	s_mov_b32 s16, exec_lo
	v_cmpx_ne_u16_e32 0, v6
	s_cbranch_execz .LBB272_1610
; %bb.1603:                             ;   in Loop: Header=BB272_1066 Depth=1
	v_bfrev_b32_e32 v0, 1
	s_mov_b32 s17, exec_lo
	v_cmpx_ne_u16_e32 0x80, v6
	s_cbranch_execz .LBB272_1609
; %bb.1604:                             ;   in Loop: Header=BB272_1066 Depth=1
	v_and_b32_e32 v17, 0xffff, v6
	v_mov_b32_e32 v0, 0x7c010000
	s_mov_b32 s18, exec_lo
	s_delay_alu instid0(VALU_DEP_2) | instskip(NEXT) | instid1(VALU_DEP_1)
	v_and_b32_e32 v19, 0x7f, v17
	v_cmpx_ne_u32_e32 0x7f, v19
	s_cbranch_execz .LBB272_1608
; %bb.1605:                             ;   in Loop: Header=BB272_1066 Depth=1
	v_dual_lshrrev_b32 v18, 3, v19 :: v_dual_bitop2_b32 v0, 7, v17 bitop3:0x40
	s_mov_b32 s19, exec_lo
	v_cmpx_gt_u32_e32 8, v19
; %bb.1606:                             ;   in Loop: Header=BB272_1066 Depth=1
	s_delay_alu instid0(VALU_DEP_2) | instskip(NEXT) | instid1(VALU_DEP_1)
	v_clz_i32_u32_e32 v0, v0
	v_min_u32_e32 v0, 32, v0
	s_delay_alu instid0(VALU_DEP_1) | instskip(NEXT) | instid1(VALU_DEP_1)
	v_subrev_nc_u32_e32 v18, 28, v0
	v_lshlrev_b64_e32 v[36:37], v18, v[6:7]
	v_sub_nc_u32_e32 v18, 29, v0
	s_delay_alu instid0(VALU_DEP_2)
	v_and_b32_e32 v0, 7, v36
; %bb.1607:                             ;   in Loop: Header=BB272_1066 Depth=1
	s_or_b32 exec_lo, exec_lo, s19
	s_delay_alu instid0(VALU_DEP_1) | instskip(NEXT) | instid1(VALU_DEP_3)
	v_dual_lshlrev_b32 v6, 8, v17 :: v_dual_lshlrev_b32 v0, 23, v0
	v_lshl_add_u32 v17, v18, 10, 0x2000
	s_delay_alu instid0(VALU_DEP_1) | instskip(NEXT) | instid1(VALU_DEP_1)
	v_and_or_b32 v6, 0x8000, v6, v17
	v_lshl_or_b32 v0, v6, 16, v0
.LBB272_1608:                           ;   in Loop: Header=BB272_1066 Depth=1
	s_or_b32 exec_lo, exec_lo, s18
.LBB272_1609:                           ;   in Loop: Header=BB272_1066 Depth=1
	s_delay_alu instid0(SALU_CYCLE_1)
	s_or_b32 exec_lo, exec_lo, s17
.LBB272_1610:                           ;   in Loop: Header=BB272_1066 Depth=1
	s_delay_alu instid0(SALU_CYCLE_1) | instskip(SKIP_3) | instid1(VALU_DEP_2)
	s_or_b32 exec_lo, exec_lo, s16
	v_dual_mov_b32 v17, 0 :: v_dual_lshrrev_b32 v6, 16, v34
	v_mov_b32_e32 v18, 0
	s_mov_b32 s16, exec_lo
	v_and_b32_e32 v19, 0xff, v6
	s_delay_alu instid0(VALU_DEP_1)
	v_cmpx_ne_u16_e32 0, v19
	s_cbranch_execz .LBB272_1618
; %bb.1611:                             ;   in Loop: Header=BB272_1066 Depth=1
	v_mov_b32_e32 v18, 0x8000
	s_mov_b32 s17, exec_lo
	v_cmpx_ne_u16_e32 0x80, v19
	s_cbranch_execz .LBB272_1617
; %bb.1612:                             ;   in Loop: Header=BB272_1066 Depth=1
	v_bfe_u32 v36, v34, 16, 7
	v_mov_b32_e32 v18, 0x7c01
	s_mov_b32 s18, exec_lo
	s_delay_alu instid0(VALU_DEP_2)
	v_cmpx_ne_u32_e32 0x7f, v36
	s_cbranch_execz .LBB272_1616
; %bb.1613:                             ;   in Loop: Header=BB272_1066 Depth=1
	v_dual_lshrrev_b32 v19, 3, v36 :: v_dual_bitop2_b32 v18, 7, v6 bitop3:0x40
	s_mov_b32 s19, exec_lo
	v_cmpx_gt_u32_e32 8, v36
; %bb.1614:                             ;   in Loop: Header=BB272_1066 Depth=1
	s_delay_alu instid0(VALU_DEP_2) | instskip(NEXT) | instid1(VALU_DEP_1)
	v_clz_i32_u32_e32 v18, v18
	v_min_u32_e32 v36, 32, v18
	s_delay_alu instid0(VALU_DEP_1) | instskip(NEXT) | instid1(VALU_DEP_1)
	v_subrev_nc_u32_e32 v18, 28, v36
	v_lshlrev_b64_e32 v[18:19], v18, v[6:7]
	s_delay_alu instid0(VALU_DEP_1)
	v_dual_sub_nc_u32 v19, 29, v36 :: v_dual_bitop2_b32 v18, 7, v18 bitop3:0x40
; %bb.1615:                             ;   in Loop: Header=BB272_1066 Depth=1
	s_or_b32 exec_lo, exec_lo, s19
	v_lshlrev_b32_e32 v6, 8, v6
	s_delay_alu instid0(VALU_DEP_2) | instskip(NEXT) | instid1(VALU_DEP_3)
	v_lshl_add_u32 v19, v19, 10, 0x2000
	v_lshlrev_b32_e32 v18, 7, v18
	s_delay_alu instid0(VALU_DEP_3) | instskip(NEXT) | instid1(VALU_DEP_3)
	v_and_b32_e32 v6, 0x8000, v6
	v_and_b32_e32 v19, 0xfc00, v19
	s_delay_alu instid0(VALU_DEP_1)
	v_or3_b32 v18, v6, v19, v18
.LBB272_1616:                           ;   in Loop: Header=BB272_1066 Depth=1
	s_or_b32 exec_lo, exec_lo, s18
.LBB272_1617:                           ;   in Loop: Header=BB272_1066 Depth=1
	s_delay_alu instid0(SALU_CYCLE_1)
	s_or_b32 exec_lo, exec_lo, s17
.LBB272_1618:                           ;   in Loop: Header=BB272_1066 Depth=1
	s_delay_alu instid0(SALU_CYCLE_1) | instskip(NEXT) | instid1(SALU_CYCLE_1)
	s_or_b32 exec_lo, exec_lo, s16
	s_mov_b32 s16, exec_lo
	v_cmpx_lt_u32_e32 0xffffff, v34
	s_cbranch_execz .LBB272_1626
; %bb.1619:                             ;   in Loop: Header=BB272_1066 Depth=1
	v_lshrrev_b32_e32 v6, 24, v34
	v_bfrev_b32_e32 v17, 1
	s_mov_b32 s17, exec_lo
	s_delay_alu instid0(VALU_DEP_2)
	v_cmpx_ne_u32_e32 0x80, v6
	s_cbranch_execz .LBB272_1625
; %bb.1620:                             ;   in Loop: Header=BB272_1066 Depth=1
	v_and_b32_e32 v36, 0x7f, v6
	v_mov_b32_e32 v17, 0x7c010000
	s_mov_b32 s18, exec_lo
	s_delay_alu instid0(VALU_DEP_2)
	v_cmpx_ne_u32_e32 0x7f, v36
	s_cbranch_execz .LBB272_1624
; %bb.1621:                             ;   in Loop: Header=BB272_1066 Depth=1
	v_dual_lshrrev_b32 v19, 3, v36 :: v_dual_bitop2_b32 v17, 7, v6 bitop3:0x40
	s_mov_b32 s19, exec_lo
	v_cmpx_gt_u32_e32 8, v36
; %bb.1622:                             ;   in Loop: Header=BB272_1066 Depth=1
	s_delay_alu instid0(VALU_DEP_2) | instskip(NEXT) | instid1(VALU_DEP_1)
	v_clz_i32_u32_e32 v17, v17
	v_min_u32_e32 v17, 32, v17
	s_delay_alu instid0(VALU_DEP_1) | instskip(NEXT) | instid1(VALU_DEP_1)
	v_subrev_nc_u32_e32 v19, 28, v17
	v_lshlrev_b64_e32 v[36:37], v19, v[6:7]
	s_delay_alu instid0(VALU_DEP_1)
	v_dual_sub_nc_u32 v19, 29, v17 :: v_dual_bitop2_b32 v17, 7, v36 bitop3:0x40
; %bb.1623:                             ;   in Loop: Header=BB272_1066 Depth=1
	s_or_b32 exec_lo, exec_lo, s19
	s_delay_alu instid0(VALU_DEP_1) | instskip(NEXT) | instid1(VALU_DEP_2)
	v_dual_lshlrev_b32 v6, 8, v6 :: v_dual_lshlrev_b32 v17, 23, v17
	v_lshl_add_u32 v19, v19, 10, 0x2000
	s_delay_alu instid0(VALU_DEP_1) | instskip(NEXT) | instid1(VALU_DEP_1)
	v_and_or_b32 v6, 0x8000, v6, v19
	v_lshl_or_b32 v17, v6, 16, v17
.LBB272_1624:                           ;   in Loop: Header=BB272_1066 Depth=1
	s_or_b32 exec_lo, exec_lo, s18
.LBB272_1625:                           ;   in Loop: Header=BB272_1066 Depth=1
	s_delay_alu instid0(SALU_CYCLE_1)
	s_or_b32 exec_lo, exec_lo, s17
.LBB272_1626:                           ;   in Loop: Header=BB272_1066 Depth=1
	s_delay_alu instid0(SALU_CYCLE_1) | instskip(SKIP_4) | instid1(VALU_DEP_3)
	s_or_b32 exec_lo, exec_lo, s16
	v_and_b32_e32 v37, 0xff, v35
	v_dual_mov_b32 v6, v35 :: v_dual_mov_b32 v36, 0
	v_mov_b32_e32 v19, 0
	s_mov_b32 s16, exec_lo
	v_cmpx_ne_u16_e32 0, v37
	s_cbranch_execz .LBB272_1634
; %bb.1627:                             ;   in Loop: Header=BB272_1066 Depth=1
	v_mov_b32_e32 v19, 0x8000
	s_mov_b32 s17, exec_lo
	v_cmpx_ne_u16_e32 0x80, v37
	s_cbranch_execz .LBB272_1633
; %bb.1628:                             ;   in Loop: Header=BB272_1066 Depth=1
	v_and_b32_e32 v38, 0x7f, v35
	v_mov_b32_e32 v19, 0x7c01
	s_mov_b32 s18, exec_lo
	s_delay_alu instid0(VALU_DEP_2)
	v_cmpx_ne_u32_e32 0x7f, v38
	s_cbranch_execz .LBB272_1632
; %bb.1629:                             ;   in Loop: Header=BB272_1066 Depth=1
	v_dual_lshrrev_b32 v37, 3, v38 :: v_dual_bitop2_b32 v19, 7, v35 bitop3:0x40
	s_mov_b32 s19, exec_lo
	v_cmpx_gt_u32_e32 8, v38
; %bb.1630:                             ;   in Loop: Header=BB272_1066 Depth=1
	s_delay_alu instid0(VALU_DEP_2) | instskip(NEXT) | instid1(VALU_DEP_1)
	v_clz_i32_u32_e32 v19, v19
	v_min_u32_e32 v19, 32, v19
	s_delay_alu instid0(VALU_DEP_1) | instskip(NEXT) | instid1(VALU_DEP_1)
	v_subrev_nc_u32_e32 v37, 28, v19
	v_lshlrev_b64_e32 v[38:39], v37, v[6:7]
	s_delay_alu instid0(VALU_DEP_1)
	v_dual_sub_nc_u32 v37, 29, v19 :: v_dual_bitop2_b32 v19, 7, v38 bitop3:0x40
; %bb.1631:                             ;   in Loop: Header=BB272_1066 Depth=1
	s_or_b32 exec_lo, exec_lo, s19
	v_lshlrev_b32_e32 v38, 8, v35
	s_delay_alu instid0(VALU_DEP_2) | instskip(NEXT) | instid1(VALU_DEP_3)
	v_lshl_add_u32 v37, v37, 10, 0x2000
	v_lshlrev_b32_e32 v19, 7, v19
	s_delay_alu instid0(VALU_DEP_3) | instskip(NEXT) | instid1(VALU_DEP_3)
	v_and_b32_e32 v38, 0x8000, v38
	v_and_b32_e32 v37, 0xfc00, v37
	s_delay_alu instid0(VALU_DEP_1)
	v_or3_b32 v19, v38, v37, v19
.LBB272_1632:                           ;   in Loop: Header=BB272_1066 Depth=1
	s_or_b32 exec_lo, exec_lo, s18
.LBB272_1633:                           ;   in Loop: Header=BB272_1066 Depth=1
	s_delay_alu instid0(SALU_CYCLE_1)
	s_or_b32 exec_lo, exec_lo, s17
.LBB272_1634:                           ;   in Loop: Header=BB272_1066 Depth=1
	s_delay_alu instid0(SALU_CYCLE_1) | instskip(SKIP_3) | instid1(VALU_DEP_2)
	s_or_b32 exec_lo, exec_lo, s16
	v_lshrrev_b16 v6, 8, v6
	v_mov_b32_e32 v37, 0
	s_mov_b32 s16, exec_lo
	v_cmpx_ne_u16_e32 0, v6
	s_cbranch_execz .LBB272_1642
; %bb.1635:                             ;   in Loop: Header=BB272_1066 Depth=1
	v_bfrev_b32_e32 v37, 1
	s_mov_b32 s17, exec_lo
	v_cmpx_ne_u16_e32 0x80, v6
	s_cbranch_execz .LBB272_1641
; %bb.1636:                             ;   in Loop: Header=BB272_1066 Depth=1
	v_and_b32_e32 v38, 0xffff, v6
	v_mov_b32_e32 v37, 0x7c010000
	s_mov_b32 s18, exec_lo
	s_delay_alu instid0(VALU_DEP_2) | instskip(NEXT) | instid1(VALU_DEP_1)
	v_and_b32_e32 v48, 0x7f, v38
	v_cmpx_ne_u32_e32 0x7f, v48
	s_cbranch_execz .LBB272_1640
; %bb.1637:                             ;   in Loop: Header=BB272_1066 Depth=1
	v_dual_lshrrev_b32 v39, 3, v48 :: v_dual_bitop2_b32 v37, 7, v38 bitop3:0x40
	s_mov_b32 s19, exec_lo
	v_cmpx_gt_u32_e32 8, v48
; %bb.1638:                             ;   in Loop: Header=BB272_1066 Depth=1
	s_delay_alu instid0(VALU_DEP_2) | instskip(NEXT) | instid1(VALU_DEP_1)
	v_clz_i32_u32_e32 v37, v37
	v_min_u32_e32 v37, 32, v37
	s_delay_alu instid0(VALU_DEP_1) | instskip(NEXT) | instid1(VALU_DEP_1)
	v_subrev_nc_u32_e32 v39, 28, v37
	v_lshlrev_b64_e32 v[48:49], v39, v[6:7]
	s_delay_alu instid0(VALU_DEP_1)
	v_dual_sub_nc_u32 v39, 29, v37 :: v_dual_bitop2_b32 v37, 7, v48 bitop3:0x40
; %bb.1639:                             ;   in Loop: Header=BB272_1066 Depth=1
	s_or_b32 exec_lo, exec_lo, s19
	s_delay_alu instid0(VALU_DEP_1) | instskip(NEXT) | instid1(VALU_DEP_2)
	v_dual_lshlrev_b32 v6, 8, v38 :: v_dual_lshlrev_b32 v37, 23, v37
	v_lshl_add_u32 v38, v39, 10, 0x2000
	s_delay_alu instid0(VALU_DEP_1) | instskip(NEXT) | instid1(VALU_DEP_1)
	v_and_or_b32 v6, 0x8000, v6, v38
	v_lshl_or_b32 v37, v6, 16, v37
.LBB272_1640:                           ;   in Loop: Header=BB272_1066 Depth=1
	s_or_b32 exec_lo, exec_lo, s18
.LBB272_1641:                           ;   in Loop: Header=BB272_1066 Depth=1
	s_delay_alu instid0(SALU_CYCLE_1)
	s_or_b32 exec_lo, exec_lo, s17
.LBB272_1642:                           ;   in Loop: Header=BB272_1066 Depth=1
	s_delay_alu instid0(SALU_CYCLE_1) | instskip(SKIP_2) | instid1(VALU_DEP_1)
	s_or_b32 exec_lo, exec_lo, s16
	v_lshrrev_b32_e32 v6, 16, v35
	s_mov_b32 s16, exec_lo
	v_and_b32_e32 v38, 0xff, v6
	s_delay_alu instid0(VALU_DEP_1)
	v_cmpx_ne_u16_e32 0, v38
	s_cbranch_execz .LBB272_1650
; %bb.1643:                             ;   in Loop: Header=BB272_1066 Depth=1
	v_mov_b32_e32 v36, 0x8000
	s_mov_b32 s17, exec_lo
	v_cmpx_ne_u16_e32 0x80, v38
	s_cbranch_execz .LBB272_1649
; %bb.1644:                             ;   in Loop: Header=BB272_1066 Depth=1
	v_bfe_u32 v39, v35, 16, 7
	v_mov_b32_e32 v36, 0x7c01
	s_mov_b32 s18, exec_lo
	s_delay_alu instid0(VALU_DEP_2)
	v_cmpx_ne_u32_e32 0x7f, v39
	s_cbranch_execz .LBB272_1648
; %bb.1645:                             ;   in Loop: Header=BB272_1066 Depth=1
	v_dual_lshrrev_b32 v38, 3, v39 :: v_dual_bitop2_b32 v36, 7, v6 bitop3:0x40
	s_mov_b32 s19, exec_lo
	v_cmpx_gt_u32_e32 8, v39
; %bb.1646:                             ;   in Loop: Header=BB272_1066 Depth=1
	s_delay_alu instid0(VALU_DEP_2) | instskip(NEXT) | instid1(VALU_DEP_1)
	v_clz_i32_u32_e32 v36, v36
	v_min_u32_e32 v36, 32, v36
	s_delay_alu instid0(VALU_DEP_1) | instskip(NEXT) | instid1(VALU_DEP_1)
	v_subrev_nc_u32_e32 v38, 28, v36
	v_lshlrev_b64_e32 v[48:49], v38, v[6:7]
	v_sub_nc_u32_e32 v38, 29, v36
	s_delay_alu instid0(VALU_DEP_2)
	v_and_b32_e32 v36, 7, v48
; %bb.1647:                             ;   in Loop: Header=BB272_1066 Depth=1
	s_or_b32 exec_lo, exec_lo, s19
	s_delay_alu instid0(VALU_DEP_1) | instskip(NEXT) | instid1(VALU_DEP_3)
	v_dual_lshlrev_b32 v6, 8, v6 :: v_dual_lshlrev_b32 v36, 7, v36
	v_lshl_add_u32 v38, v38, 10, 0x2000
	s_delay_alu instid0(VALU_DEP_2) | instskip(NEXT) | instid1(VALU_DEP_2)
	v_and_b32_e32 v6, 0x8000, v6
	v_and_b32_e32 v38, 0xfc00, v38
	s_delay_alu instid0(VALU_DEP_1)
	v_or3_b32 v36, v6, v38, v36
.LBB272_1648:                           ;   in Loop: Header=BB272_1066 Depth=1
	s_or_b32 exec_lo, exec_lo, s18
.LBB272_1649:                           ;   in Loop: Header=BB272_1066 Depth=1
	s_delay_alu instid0(SALU_CYCLE_1)
	s_or_b32 exec_lo, exec_lo, s17
.LBB272_1650:                           ;   in Loop: Header=BB272_1066 Depth=1
	s_delay_alu instid0(SALU_CYCLE_1)
	s_or_b32 exec_lo, exec_lo, s16
	v_cmp_lt_u64_e64 s1, s[2:3], v[34:35]
	v_mov_b32_e32 v34, 0
	s_and_saveexec_b32 s16, s1
	s_cbranch_execz .LBB272_1658
; %bb.1651:                             ;   in Loop: Header=BB272_1066 Depth=1
	v_lshrrev_b32_e32 v6, 24, v35
	v_bfrev_b32_e32 v34, 1
	s_mov_b32 s17, exec_lo
	s_delay_alu instid0(VALU_DEP_2)
	v_cmpx_ne_u32_e32 0x80, v6
	s_cbranch_execz .LBB272_1657
; %bb.1652:                             ;   in Loop: Header=BB272_1066 Depth=1
	v_and_b32_e32 v38, 0x7f, v6
	v_mov_b32_e32 v34, 0x7c010000
	s_mov_b32 s18, exec_lo
	s_delay_alu instid0(VALU_DEP_2)
	v_cmpx_ne_u32_e32 0x7f, v38
	s_cbranch_execz .LBB272_1656
; %bb.1653:                             ;   in Loop: Header=BB272_1066 Depth=1
	v_and_b32_e32 v34, 7, v6
	v_lshrrev_b32_e32 v35, 3, v38
	s_mov_b32 s19, exec_lo
	v_cmpx_gt_u32_e32 8, v38
; %bb.1654:                             ;   in Loop: Header=BB272_1066 Depth=1
	s_delay_alu instid0(VALU_DEP_3) | instskip(NEXT) | instid1(VALU_DEP_1)
	v_clz_i32_u32_e32 v34, v34
	v_min_u32_e32 v38, 32, v34
	s_delay_alu instid0(VALU_DEP_1) | instskip(NEXT) | instid1(VALU_DEP_1)
	v_subrev_nc_u32_e32 v34, 28, v38
	v_lshlrev_b64_e32 v[34:35], v34, v[6:7]
	v_sub_nc_u32_e32 v35, 29, v38
	s_delay_alu instid0(VALU_DEP_2)
	v_and_b32_e32 v34, 7, v34
; %bb.1655:                             ;   in Loop: Header=BB272_1066 Depth=1
	s_or_b32 exec_lo, exec_lo, s19
	v_lshlrev_b32_e32 v6, 8, v6
	s_delay_alu instid0(VALU_DEP_3) | instskip(NEXT) | instid1(VALU_DEP_3)
	v_lshl_add_u32 v35, v35, 10, 0x2000
	v_lshlrev_b32_e32 v34, 23, v34
	s_delay_alu instid0(VALU_DEP_2) | instskip(NEXT) | instid1(VALU_DEP_1)
	v_and_or_b32 v6, 0x8000, v6, v35
	v_lshl_or_b32 v34, v6, 16, v34
.LBB272_1656:                           ;   in Loop: Header=BB272_1066 Depth=1
	s_or_b32 exec_lo, exec_lo, s18
.LBB272_1657:                           ;   in Loop: Header=BB272_1066 Depth=1
	s_delay_alu instid0(SALU_CYCLE_1)
	s_or_b32 exec_lo, exec_lo, s17
.LBB272_1658:                           ;   in Loop: Header=BB272_1066 Depth=1
	s_delay_alu instid0(SALU_CYCLE_1) | instskip(SKIP_3) | instid1(VALU_DEP_3)
	s_or_b32 exec_lo, exec_lo, s16
	v_dual_lshrrev_b32 v6, 16, v0 :: v_dual_lshrrev_b32 v35, 16, v17
	v_or_b32_e32 v38, v0, v1
	v_or_b32_e32 v17, v17, v18
	v_cvt_f32_f16_e32 v1, v6
	s_delay_alu instid0(VALU_DEP_4)
	v_cvt_f32_f16_e32 v0, v35
	v_dual_lshrrev_b32 v35, 16, v37 :: v_dual_bitop2_b32 v6, v34, v36 bitop3:0x54
	v_lshrrev_b32_e32 v34, 16, v34
	v_cvt_f32_f16_e32 v18, v17
	s_wait_loadcnt_dscnt 0x0
	v_pk_mul_f32 v[0:1], v[16:17], v[0:1] op_sel_hi:[0,1]
	v_or_b32_e32 v17, v37, v19
	v_cvt_f32_f16_e32 v19, v38
	v_cvt_f32_f16_e32 v35, v35
	;; [unrolled: 1-line block ×3, first 2 shown]
	s_delay_alu instid0(VALU_DEP_3) | instskip(NEXT) | instid1(VALU_DEP_1)
	v_pk_mul_f32 v[18:19], v[16:17], v[18:19] op_sel_hi:[0,1]
	v_cvt_pk_f16_f32 v18, v18, v19
	s_delay_alu instid0(VALU_DEP_1) | instskip(SKIP_4) | instid1(VALU_DEP_3)
	v_lshrrev_b32_e32 v49, 16, v18
	v_cvt_f32_f16_e32 v36, v6
	v_cvt_pk_f16_f32 v6, v0, v1
	v_pk_mul_f32 v[0:1], v[16:17], v[34:35] op_sel_hi:[0,1]
	v_and_b32_e32 v48, 0xffff, v18
	v_lshlrev_b32_e32 v34, 16, v6
	v_cvt_f32_f16_e32 v37, v17
	s_delay_alu instid0(VALU_DEP_4) | instskip(SKIP_1) | instid1(VALU_DEP_4)
	v_cvt_pk_f16_f32 v0, v0, v1
	v_and_b32_e32 v35, 0xffff0000, v6
	v_or_b32_e32 v38, v34, v48
	s_delay_alu instid0(VALU_DEP_4) | instskip(NEXT) | instid1(VALU_DEP_3)
	v_pk_mul_f32 v[16:17], v[16:17], v[36:37] op_sel_hi:[0,1]
	v_or_b32_e32 v39, v35, v49
	s_delay_alu instid0(VALU_DEP_2) | instskip(SKIP_1) | instid1(VALU_DEP_2)
	v_cvt_pk_f16_f32 v1, v16, v17
	v_and_b32_e32 v17, 0xffff0000, v0
	v_dual_lshlrev_b32 v6, 16, v0 :: v_dual_lshrrev_b32 v19, 16, v1
	v_and_b32_e32 v16, 0xffff, v1
	s_delay_alu instid0(VALU_DEP_2) | instskip(NEXT) | instid1(VALU_DEP_2)
	v_or_b32_e32 v37, v17, v19
	v_or_b32_e32 v36, v6, v16
	s_and_saveexec_b32 s16, vcc_lo
	s_cbranch_execz .LBB272_1660
; %bb.1659:                             ;   in Loop: Header=BB272_1066 Depth=1
	v_cmp_lt_i32_e64 s1, v66, v13
	s_delay_alu instid0(VALU_DEP_1) | instskip(SKIP_1) | instid1(VALU_DEP_1)
	v_cndmask_b32_e64 v0, 0, v49, s1
	v_cmp_lt_i32_e64 s1, v83, v12
	v_cndmask_b32_e64 v1, 0, v48, s1
	v_cmp_lt_i32_e64 s1, v82, v13
	s_delay_alu instid0(VALU_DEP_1) | instskip(SKIP_1) | instid1(VALU_DEP_1)
	v_cndmask_b32_e64 v18, 0, v35, s1
	v_cmp_lt_i32_e64 s1, v81, v12
	v_cndmask_b32_e64 v34, 0, v34, s1
	v_cmp_lt_i32_e64 s1, v80, v13
	s_delay_alu instid0(VALU_DEP_4) | instskip(NEXT) | instid1(VALU_DEP_2)
	v_or_b32_e32 v39, v0, v18
	v_dual_cndmask_b32 v19, 0, v19, s1 :: v_dual_bitop2_b32 v38, v1, v34 bitop3:0x54
	v_cmp_lt_i32_e64 s1, v71, v12
	s_delay_alu instid0(VALU_DEP_1) | instskip(SKIP_1) | instid1(VALU_DEP_1)
	v_cndmask_b32_e64 v16, 0, v16, s1
	v_cmp_lt_i32_e64 s1, v70, v13
	v_cndmask_b32_e64 v17, 0, v17, s1
	v_cmp_lt_i32_e64 s1, v69, v12
	s_delay_alu instid0(VALU_DEP_1) | instskip(NEXT) | instid1(VALU_DEP_1)
	v_dual_cndmask_b32 v6, 0, v6, s1 :: v_dual_bitop2_b32 v37, v19, v17 bitop3:0x54
	v_or_b32_e32 v36, v16, v6
.LBB272_1660:                           ;   in Loop: Header=BB272_1066 Depth=1
	s_or_b32 exec_lo, exec_lo, s16
	;;#ASMSTART
	v_pk_mul_f16 v0, v53, v39;

	;;#ASMEND
	;;#ASMSTART
	v_pk_mul_f16 v1, v52, v38;

	;;#ASMEND
	;; [unrolled: 4-line block ×4, first 2 shown]
	;;#ASMSTART
	v_pk_add_f16 v0, v0, v1;

	;;#ASMEND
	;;#ASMSTART
	v_pk_add_f16 v0, v0, v6;

	;;#ASMEND
	;; [unrolled: 4-line block ×3, first 2 shown]
	v_and_b32_e32 v1, 0xffff, v0
	v_lshrrev_b32_e32 v0, 16, v0
	;;#ASMSTART
	v_cvt_f32_f16 v115, v1;
	;;#ASMEND
	v_mov_b32_e32 v1, 0
	;;#ASMSTART
	v_cvt_f32_f16 v116, v0;
	;;#ASMEND
	flat_load_b64 v[34:35], v[10:11] offset:2304
	flat_load_b32 v16, v[22:23]
	v_mov_b32_e32 v0, 0
	s_mov_b32 s16, exec_lo
	s_wait_loadcnt_dscnt 0x101
	v_and_b32_e32 v6, 0xff, v34
	s_wait_xcnt 0x0
	s_delay_alu instid0(VALU_DEP_1)
	v_cmpx_ne_u16_e32 0, v6
	s_cbranch_execz .LBB272_1668
; %bb.1661:                             ;   in Loop: Header=BB272_1066 Depth=1
	v_mov_b32_e32 v1, 0x8000
	s_mov_b32 s17, exec_lo
	v_cmpx_ne_u16_e32 0x80, v6
	s_cbranch_execz .LBB272_1667
; %bb.1662:                             ;   in Loop: Header=BB272_1066 Depth=1
	v_and_b32_e32 v17, 0x7f, v34
	v_mov_b32_e32 v1, 0x7c01
	s_mov_b32 s18, exec_lo
	s_delay_alu instid0(VALU_DEP_2)
	v_cmpx_ne_u32_e32 0x7f, v17
	s_cbranch_execz .LBB272_1666
; %bb.1663:                             ;   in Loop: Header=BB272_1066 Depth=1
	v_dual_lshrrev_b32 v6, 3, v17 :: v_dual_bitop2_b32 v1, 7, v34 bitop3:0x40
	s_mov_b32 s19, exec_lo
	v_cmpx_gt_u32_e32 8, v17
; %bb.1664:                             ;   in Loop: Header=BB272_1066 Depth=1
	s_delay_alu instid0(VALU_DEP_2) | instskip(NEXT) | instid1(VALU_DEP_1)
	v_clz_i32_u32_e32 v1, v1
	v_min_u32_e32 v1, 32, v1
	s_delay_alu instid0(VALU_DEP_1) | instskip(NEXT) | instid1(VALU_DEP_1)
	v_subrev_nc_u32_e32 v6, 28, v1
	v_lshlrev_b64_e32 v[18:19], v6, v[34:35]
	s_delay_alu instid0(VALU_DEP_1)
	v_dual_sub_nc_u32 v6, 29, v1 :: v_dual_bitop2_b32 v1, 7, v18 bitop3:0x40
; %bb.1665:                             ;   in Loop: Header=BB272_1066 Depth=1
	s_or_b32 exec_lo, exec_lo, s19
	s_delay_alu instid0(VALU_DEP_1) | instskip(NEXT) | instid1(VALU_DEP_2)
	v_dual_lshlrev_b32 v17, 8, v34 :: v_dual_lshlrev_b32 v1, 7, v1
	v_lshl_add_u32 v6, v6, 10, 0x2000
	s_delay_alu instid0(VALU_DEP_2) | instskip(NEXT) | instid1(VALU_DEP_2)
	v_and_b32_e32 v17, 0x8000, v17
	v_and_b32_e32 v6, 0xfc00, v6
	s_delay_alu instid0(VALU_DEP_1)
	v_or3_b32 v1, v17, v6, v1
.LBB272_1666:                           ;   in Loop: Header=BB272_1066 Depth=1
	s_or_b32 exec_lo, exec_lo, s18
.LBB272_1667:                           ;   in Loop: Header=BB272_1066 Depth=1
	s_delay_alu instid0(SALU_CYCLE_1)
	s_or_b32 exec_lo, exec_lo, s17
.LBB272_1668:                           ;   in Loop: Header=BB272_1066 Depth=1
	s_delay_alu instid0(SALU_CYCLE_1) | instskip(SKIP_2) | instid1(VALU_DEP_1)
	s_or_b32 exec_lo, exec_lo, s16
	v_lshrrev_b16 v6, 8, v34
	s_mov_b32 s16, exec_lo
	v_cmpx_ne_u16_e32 0, v6
	s_cbranch_execz .LBB272_1676
; %bb.1669:                             ;   in Loop: Header=BB272_1066 Depth=1
	v_bfrev_b32_e32 v0, 1
	s_mov_b32 s17, exec_lo
	v_cmpx_ne_u16_e32 0x80, v6
	s_cbranch_execz .LBB272_1675
; %bb.1670:                             ;   in Loop: Header=BB272_1066 Depth=1
	v_and_b32_e32 v17, 0xffff, v6
	v_mov_b32_e32 v0, 0x7c010000
	s_mov_b32 s18, exec_lo
	s_delay_alu instid0(VALU_DEP_2) | instskip(NEXT) | instid1(VALU_DEP_1)
	v_and_b32_e32 v19, 0x7f, v17
	v_cmpx_ne_u32_e32 0x7f, v19
	s_cbranch_execz .LBB272_1674
; %bb.1671:                             ;   in Loop: Header=BB272_1066 Depth=1
	v_dual_lshrrev_b32 v18, 3, v19 :: v_dual_bitop2_b32 v0, 7, v17 bitop3:0x40
	s_mov_b32 s19, exec_lo
	v_cmpx_gt_u32_e32 8, v19
; %bb.1672:                             ;   in Loop: Header=BB272_1066 Depth=1
	s_delay_alu instid0(VALU_DEP_2) | instskip(NEXT) | instid1(VALU_DEP_1)
	v_clz_i32_u32_e32 v0, v0
	v_min_u32_e32 v0, 32, v0
	s_delay_alu instid0(VALU_DEP_1) | instskip(NEXT) | instid1(VALU_DEP_1)
	v_subrev_nc_u32_e32 v18, 28, v0
	v_lshlrev_b64_e32 v[36:37], v18, v[6:7]
	v_sub_nc_u32_e32 v18, 29, v0
	s_delay_alu instid0(VALU_DEP_2)
	v_and_b32_e32 v0, 7, v36
; %bb.1673:                             ;   in Loop: Header=BB272_1066 Depth=1
	s_or_b32 exec_lo, exec_lo, s19
	s_delay_alu instid0(VALU_DEP_1) | instskip(NEXT) | instid1(VALU_DEP_3)
	v_dual_lshlrev_b32 v6, 8, v17 :: v_dual_lshlrev_b32 v0, 23, v0
	v_lshl_add_u32 v17, v18, 10, 0x2000
	s_delay_alu instid0(VALU_DEP_1) | instskip(NEXT) | instid1(VALU_DEP_1)
	v_and_or_b32 v6, 0x8000, v6, v17
	v_lshl_or_b32 v0, v6, 16, v0
.LBB272_1674:                           ;   in Loop: Header=BB272_1066 Depth=1
	s_or_b32 exec_lo, exec_lo, s18
.LBB272_1675:                           ;   in Loop: Header=BB272_1066 Depth=1
	s_delay_alu instid0(SALU_CYCLE_1)
	s_or_b32 exec_lo, exec_lo, s17
.LBB272_1676:                           ;   in Loop: Header=BB272_1066 Depth=1
	s_delay_alu instid0(SALU_CYCLE_1) | instskip(SKIP_3) | instid1(VALU_DEP_2)
	s_or_b32 exec_lo, exec_lo, s16
	v_dual_mov_b32 v17, 0 :: v_dual_lshrrev_b32 v6, 16, v34
	v_mov_b32_e32 v18, 0
	s_mov_b32 s16, exec_lo
	v_and_b32_e32 v19, 0xff, v6
	s_delay_alu instid0(VALU_DEP_1)
	v_cmpx_ne_u16_e32 0, v19
	s_cbranch_execz .LBB272_1684
; %bb.1677:                             ;   in Loop: Header=BB272_1066 Depth=1
	v_mov_b32_e32 v18, 0x8000
	s_mov_b32 s17, exec_lo
	v_cmpx_ne_u16_e32 0x80, v19
	s_cbranch_execz .LBB272_1683
; %bb.1678:                             ;   in Loop: Header=BB272_1066 Depth=1
	v_bfe_u32 v36, v34, 16, 7
	v_mov_b32_e32 v18, 0x7c01
	s_mov_b32 s18, exec_lo
	s_delay_alu instid0(VALU_DEP_2)
	v_cmpx_ne_u32_e32 0x7f, v36
	s_cbranch_execz .LBB272_1682
; %bb.1679:                             ;   in Loop: Header=BB272_1066 Depth=1
	v_dual_lshrrev_b32 v19, 3, v36 :: v_dual_bitop2_b32 v18, 7, v6 bitop3:0x40
	s_mov_b32 s19, exec_lo
	v_cmpx_gt_u32_e32 8, v36
; %bb.1680:                             ;   in Loop: Header=BB272_1066 Depth=1
	s_delay_alu instid0(VALU_DEP_2) | instskip(NEXT) | instid1(VALU_DEP_1)
	v_clz_i32_u32_e32 v18, v18
	v_min_u32_e32 v36, 32, v18
	s_delay_alu instid0(VALU_DEP_1) | instskip(NEXT) | instid1(VALU_DEP_1)
	v_subrev_nc_u32_e32 v18, 28, v36
	v_lshlrev_b64_e32 v[18:19], v18, v[6:7]
	s_delay_alu instid0(VALU_DEP_1)
	v_dual_sub_nc_u32 v19, 29, v36 :: v_dual_bitop2_b32 v18, 7, v18 bitop3:0x40
; %bb.1681:                             ;   in Loop: Header=BB272_1066 Depth=1
	s_or_b32 exec_lo, exec_lo, s19
	v_lshlrev_b32_e32 v6, 8, v6
	s_delay_alu instid0(VALU_DEP_2) | instskip(NEXT) | instid1(VALU_DEP_3)
	v_lshl_add_u32 v19, v19, 10, 0x2000
	v_lshlrev_b32_e32 v18, 7, v18
	s_delay_alu instid0(VALU_DEP_3) | instskip(NEXT) | instid1(VALU_DEP_3)
	v_and_b32_e32 v6, 0x8000, v6
	v_and_b32_e32 v19, 0xfc00, v19
	s_delay_alu instid0(VALU_DEP_1)
	v_or3_b32 v18, v6, v19, v18
.LBB272_1682:                           ;   in Loop: Header=BB272_1066 Depth=1
	s_or_b32 exec_lo, exec_lo, s18
.LBB272_1683:                           ;   in Loop: Header=BB272_1066 Depth=1
	s_delay_alu instid0(SALU_CYCLE_1)
	s_or_b32 exec_lo, exec_lo, s17
.LBB272_1684:                           ;   in Loop: Header=BB272_1066 Depth=1
	s_delay_alu instid0(SALU_CYCLE_1) | instskip(NEXT) | instid1(SALU_CYCLE_1)
	s_or_b32 exec_lo, exec_lo, s16
	s_mov_b32 s16, exec_lo
	v_cmpx_lt_u32_e32 0xffffff, v34
	s_cbranch_execz .LBB272_1692
; %bb.1685:                             ;   in Loop: Header=BB272_1066 Depth=1
	v_lshrrev_b32_e32 v6, 24, v34
	v_bfrev_b32_e32 v17, 1
	s_mov_b32 s17, exec_lo
	s_delay_alu instid0(VALU_DEP_2)
	v_cmpx_ne_u32_e32 0x80, v6
	s_cbranch_execz .LBB272_1691
; %bb.1686:                             ;   in Loop: Header=BB272_1066 Depth=1
	v_and_b32_e32 v36, 0x7f, v6
	v_mov_b32_e32 v17, 0x7c010000
	s_mov_b32 s18, exec_lo
	s_delay_alu instid0(VALU_DEP_2)
	v_cmpx_ne_u32_e32 0x7f, v36
	s_cbranch_execz .LBB272_1690
; %bb.1687:                             ;   in Loop: Header=BB272_1066 Depth=1
	v_dual_lshrrev_b32 v19, 3, v36 :: v_dual_bitop2_b32 v17, 7, v6 bitop3:0x40
	s_mov_b32 s19, exec_lo
	v_cmpx_gt_u32_e32 8, v36
; %bb.1688:                             ;   in Loop: Header=BB272_1066 Depth=1
	s_delay_alu instid0(VALU_DEP_2) | instskip(NEXT) | instid1(VALU_DEP_1)
	v_clz_i32_u32_e32 v17, v17
	v_min_u32_e32 v17, 32, v17
	s_delay_alu instid0(VALU_DEP_1) | instskip(NEXT) | instid1(VALU_DEP_1)
	v_subrev_nc_u32_e32 v19, 28, v17
	v_lshlrev_b64_e32 v[36:37], v19, v[6:7]
	s_delay_alu instid0(VALU_DEP_1)
	v_dual_sub_nc_u32 v19, 29, v17 :: v_dual_bitop2_b32 v17, 7, v36 bitop3:0x40
; %bb.1689:                             ;   in Loop: Header=BB272_1066 Depth=1
	s_or_b32 exec_lo, exec_lo, s19
	s_delay_alu instid0(VALU_DEP_1) | instskip(NEXT) | instid1(VALU_DEP_2)
	v_dual_lshlrev_b32 v6, 8, v6 :: v_dual_lshlrev_b32 v17, 23, v17
	v_lshl_add_u32 v19, v19, 10, 0x2000
	s_delay_alu instid0(VALU_DEP_1) | instskip(NEXT) | instid1(VALU_DEP_1)
	v_and_or_b32 v6, 0x8000, v6, v19
	v_lshl_or_b32 v17, v6, 16, v17
.LBB272_1690:                           ;   in Loop: Header=BB272_1066 Depth=1
	s_or_b32 exec_lo, exec_lo, s18
.LBB272_1691:                           ;   in Loop: Header=BB272_1066 Depth=1
	s_delay_alu instid0(SALU_CYCLE_1)
	s_or_b32 exec_lo, exec_lo, s17
.LBB272_1692:                           ;   in Loop: Header=BB272_1066 Depth=1
	s_delay_alu instid0(SALU_CYCLE_1) | instskip(SKIP_4) | instid1(VALU_DEP_3)
	s_or_b32 exec_lo, exec_lo, s16
	v_and_b32_e32 v37, 0xff, v35
	v_dual_mov_b32 v6, v35 :: v_dual_mov_b32 v36, 0
	v_mov_b32_e32 v19, 0
	s_mov_b32 s16, exec_lo
	v_cmpx_ne_u16_e32 0, v37
	s_cbranch_execz .LBB272_1700
; %bb.1693:                             ;   in Loop: Header=BB272_1066 Depth=1
	v_mov_b32_e32 v19, 0x8000
	s_mov_b32 s17, exec_lo
	v_cmpx_ne_u16_e32 0x80, v37
	s_cbranch_execz .LBB272_1699
; %bb.1694:                             ;   in Loop: Header=BB272_1066 Depth=1
	v_and_b32_e32 v38, 0x7f, v35
	v_mov_b32_e32 v19, 0x7c01
	s_mov_b32 s18, exec_lo
	s_delay_alu instid0(VALU_DEP_2)
	v_cmpx_ne_u32_e32 0x7f, v38
	s_cbranch_execz .LBB272_1698
; %bb.1695:                             ;   in Loop: Header=BB272_1066 Depth=1
	v_dual_lshrrev_b32 v37, 3, v38 :: v_dual_bitop2_b32 v19, 7, v35 bitop3:0x40
	s_mov_b32 s19, exec_lo
	v_cmpx_gt_u32_e32 8, v38
; %bb.1696:                             ;   in Loop: Header=BB272_1066 Depth=1
	s_delay_alu instid0(VALU_DEP_2) | instskip(NEXT) | instid1(VALU_DEP_1)
	v_clz_i32_u32_e32 v19, v19
	v_min_u32_e32 v19, 32, v19
	s_delay_alu instid0(VALU_DEP_1) | instskip(NEXT) | instid1(VALU_DEP_1)
	v_subrev_nc_u32_e32 v37, 28, v19
	v_lshlrev_b64_e32 v[38:39], v37, v[6:7]
	s_delay_alu instid0(VALU_DEP_1)
	v_dual_sub_nc_u32 v37, 29, v19 :: v_dual_bitop2_b32 v19, 7, v38 bitop3:0x40
; %bb.1697:                             ;   in Loop: Header=BB272_1066 Depth=1
	s_or_b32 exec_lo, exec_lo, s19
	v_lshlrev_b32_e32 v38, 8, v35
	s_delay_alu instid0(VALU_DEP_2) | instskip(NEXT) | instid1(VALU_DEP_3)
	v_lshl_add_u32 v37, v37, 10, 0x2000
	v_lshlrev_b32_e32 v19, 7, v19
	s_delay_alu instid0(VALU_DEP_3) | instskip(NEXT) | instid1(VALU_DEP_3)
	v_and_b32_e32 v38, 0x8000, v38
	v_and_b32_e32 v37, 0xfc00, v37
	s_delay_alu instid0(VALU_DEP_1)
	v_or3_b32 v19, v38, v37, v19
.LBB272_1698:                           ;   in Loop: Header=BB272_1066 Depth=1
	s_or_b32 exec_lo, exec_lo, s18
.LBB272_1699:                           ;   in Loop: Header=BB272_1066 Depth=1
	s_delay_alu instid0(SALU_CYCLE_1)
	s_or_b32 exec_lo, exec_lo, s17
.LBB272_1700:                           ;   in Loop: Header=BB272_1066 Depth=1
	s_delay_alu instid0(SALU_CYCLE_1) | instskip(SKIP_3) | instid1(VALU_DEP_2)
	s_or_b32 exec_lo, exec_lo, s16
	v_lshrrev_b16 v6, 8, v6
	v_mov_b32_e32 v37, 0
	s_mov_b32 s16, exec_lo
	v_cmpx_ne_u16_e32 0, v6
	s_cbranch_execz .LBB272_1708
; %bb.1701:                             ;   in Loop: Header=BB272_1066 Depth=1
	v_bfrev_b32_e32 v37, 1
	s_mov_b32 s17, exec_lo
	v_cmpx_ne_u16_e32 0x80, v6
	s_cbranch_execz .LBB272_1707
; %bb.1702:                             ;   in Loop: Header=BB272_1066 Depth=1
	v_and_b32_e32 v38, 0xffff, v6
	v_mov_b32_e32 v37, 0x7c010000
	s_mov_b32 s18, exec_lo
	s_delay_alu instid0(VALU_DEP_2) | instskip(NEXT) | instid1(VALU_DEP_1)
	v_and_b32_e32 v48, 0x7f, v38
	v_cmpx_ne_u32_e32 0x7f, v48
	s_cbranch_execz .LBB272_1706
; %bb.1703:                             ;   in Loop: Header=BB272_1066 Depth=1
	v_dual_lshrrev_b32 v39, 3, v48 :: v_dual_bitop2_b32 v37, 7, v38 bitop3:0x40
	s_mov_b32 s19, exec_lo
	v_cmpx_gt_u32_e32 8, v48
; %bb.1704:                             ;   in Loop: Header=BB272_1066 Depth=1
	s_delay_alu instid0(VALU_DEP_2) | instskip(NEXT) | instid1(VALU_DEP_1)
	v_clz_i32_u32_e32 v37, v37
	v_min_u32_e32 v37, 32, v37
	s_delay_alu instid0(VALU_DEP_1) | instskip(NEXT) | instid1(VALU_DEP_1)
	v_subrev_nc_u32_e32 v39, 28, v37
	v_lshlrev_b64_e32 v[48:49], v39, v[6:7]
	s_delay_alu instid0(VALU_DEP_1)
	v_dual_sub_nc_u32 v39, 29, v37 :: v_dual_bitop2_b32 v37, 7, v48 bitop3:0x40
; %bb.1705:                             ;   in Loop: Header=BB272_1066 Depth=1
	s_or_b32 exec_lo, exec_lo, s19
	s_delay_alu instid0(VALU_DEP_1) | instskip(NEXT) | instid1(VALU_DEP_2)
	v_dual_lshlrev_b32 v6, 8, v38 :: v_dual_lshlrev_b32 v37, 23, v37
	v_lshl_add_u32 v38, v39, 10, 0x2000
	s_delay_alu instid0(VALU_DEP_1) | instskip(NEXT) | instid1(VALU_DEP_1)
	v_and_or_b32 v6, 0x8000, v6, v38
	v_lshl_or_b32 v37, v6, 16, v37
.LBB272_1706:                           ;   in Loop: Header=BB272_1066 Depth=1
	s_or_b32 exec_lo, exec_lo, s18
.LBB272_1707:                           ;   in Loop: Header=BB272_1066 Depth=1
	s_delay_alu instid0(SALU_CYCLE_1)
	s_or_b32 exec_lo, exec_lo, s17
.LBB272_1708:                           ;   in Loop: Header=BB272_1066 Depth=1
	s_delay_alu instid0(SALU_CYCLE_1) | instskip(SKIP_2) | instid1(VALU_DEP_1)
	s_or_b32 exec_lo, exec_lo, s16
	v_lshrrev_b32_e32 v6, 16, v35
	s_mov_b32 s16, exec_lo
	v_and_b32_e32 v38, 0xff, v6
	s_delay_alu instid0(VALU_DEP_1)
	v_cmpx_ne_u16_e32 0, v38
	s_cbranch_execz .LBB272_1716
; %bb.1709:                             ;   in Loop: Header=BB272_1066 Depth=1
	v_mov_b32_e32 v36, 0x8000
	s_mov_b32 s17, exec_lo
	v_cmpx_ne_u16_e32 0x80, v38
	s_cbranch_execz .LBB272_1715
; %bb.1710:                             ;   in Loop: Header=BB272_1066 Depth=1
	v_bfe_u32 v39, v35, 16, 7
	v_mov_b32_e32 v36, 0x7c01
	s_mov_b32 s18, exec_lo
	s_delay_alu instid0(VALU_DEP_2)
	v_cmpx_ne_u32_e32 0x7f, v39
	s_cbranch_execz .LBB272_1714
; %bb.1711:                             ;   in Loop: Header=BB272_1066 Depth=1
	v_dual_lshrrev_b32 v38, 3, v39 :: v_dual_bitop2_b32 v36, 7, v6 bitop3:0x40
	s_mov_b32 s19, exec_lo
	v_cmpx_gt_u32_e32 8, v39
; %bb.1712:                             ;   in Loop: Header=BB272_1066 Depth=1
	s_delay_alu instid0(VALU_DEP_2) | instskip(NEXT) | instid1(VALU_DEP_1)
	v_clz_i32_u32_e32 v36, v36
	v_min_u32_e32 v36, 32, v36
	s_delay_alu instid0(VALU_DEP_1) | instskip(NEXT) | instid1(VALU_DEP_1)
	v_subrev_nc_u32_e32 v38, 28, v36
	v_lshlrev_b64_e32 v[48:49], v38, v[6:7]
	v_sub_nc_u32_e32 v38, 29, v36
	s_delay_alu instid0(VALU_DEP_2)
	v_and_b32_e32 v36, 7, v48
; %bb.1713:                             ;   in Loop: Header=BB272_1066 Depth=1
	s_or_b32 exec_lo, exec_lo, s19
	s_delay_alu instid0(VALU_DEP_1) | instskip(NEXT) | instid1(VALU_DEP_3)
	v_dual_lshlrev_b32 v6, 8, v6 :: v_dual_lshlrev_b32 v36, 7, v36
	v_lshl_add_u32 v38, v38, 10, 0x2000
	s_delay_alu instid0(VALU_DEP_2) | instskip(NEXT) | instid1(VALU_DEP_2)
	v_and_b32_e32 v6, 0x8000, v6
	v_and_b32_e32 v38, 0xfc00, v38
	s_delay_alu instid0(VALU_DEP_1)
	v_or3_b32 v36, v6, v38, v36
.LBB272_1714:                           ;   in Loop: Header=BB272_1066 Depth=1
	s_or_b32 exec_lo, exec_lo, s18
.LBB272_1715:                           ;   in Loop: Header=BB272_1066 Depth=1
	s_delay_alu instid0(SALU_CYCLE_1)
	s_or_b32 exec_lo, exec_lo, s17
.LBB272_1716:                           ;   in Loop: Header=BB272_1066 Depth=1
	s_delay_alu instid0(SALU_CYCLE_1)
	s_or_b32 exec_lo, exec_lo, s16
	v_cmp_lt_u64_e64 s1, s[2:3], v[34:35]
	v_mov_b32_e32 v34, 0
	s_and_saveexec_b32 s16, s1
	s_cbranch_execz .LBB272_1724
; %bb.1717:                             ;   in Loop: Header=BB272_1066 Depth=1
	v_lshrrev_b32_e32 v6, 24, v35
	v_bfrev_b32_e32 v34, 1
	s_mov_b32 s17, exec_lo
	s_delay_alu instid0(VALU_DEP_2)
	v_cmpx_ne_u32_e32 0x80, v6
	s_cbranch_execz .LBB272_1723
; %bb.1718:                             ;   in Loop: Header=BB272_1066 Depth=1
	v_and_b32_e32 v38, 0x7f, v6
	v_mov_b32_e32 v34, 0x7c010000
	s_mov_b32 s18, exec_lo
	s_delay_alu instid0(VALU_DEP_2)
	v_cmpx_ne_u32_e32 0x7f, v38
	s_cbranch_execz .LBB272_1722
; %bb.1719:                             ;   in Loop: Header=BB272_1066 Depth=1
	v_and_b32_e32 v34, 7, v6
	v_lshrrev_b32_e32 v35, 3, v38
	s_mov_b32 s19, exec_lo
	v_cmpx_gt_u32_e32 8, v38
; %bb.1720:                             ;   in Loop: Header=BB272_1066 Depth=1
	s_delay_alu instid0(VALU_DEP_3) | instskip(NEXT) | instid1(VALU_DEP_1)
	v_clz_i32_u32_e32 v34, v34
	v_min_u32_e32 v38, 32, v34
	s_delay_alu instid0(VALU_DEP_1) | instskip(NEXT) | instid1(VALU_DEP_1)
	v_subrev_nc_u32_e32 v34, 28, v38
	v_lshlrev_b64_e32 v[34:35], v34, v[6:7]
	v_sub_nc_u32_e32 v35, 29, v38
	s_delay_alu instid0(VALU_DEP_2)
	v_and_b32_e32 v34, 7, v34
; %bb.1721:                             ;   in Loop: Header=BB272_1066 Depth=1
	s_or_b32 exec_lo, exec_lo, s19
	v_lshlrev_b32_e32 v6, 8, v6
	s_delay_alu instid0(VALU_DEP_3) | instskip(NEXT) | instid1(VALU_DEP_3)
	v_lshl_add_u32 v35, v35, 10, 0x2000
	v_lshlrev_b32_e32 v34, 23, v34
	s_delay_alu instid0(VALU_DEP_2) | instskip(NEXT) | instid1(VALU_DEP_1)
	v_and_or_b32 v6, 0x8000, v6, v35
	v_lshl_or_b32 v34, v6, 16, v34
.LBB272_1722:                           ;   in Loop: Header=BB272_1066 Depth=1
	s_or_b32 exec_lo, exec_lo, s18
.LBB272_1723:                           ;   in Loop: Header=BB272_1066 Depth=1
	s_delay_alu instid0(SALU_CYCLE_1)
	s_or_b32 exec_lo, exec_lo, s17
.LBB272_1724:                           ;   in Loop: Header=BB272_1066 Depth=1
	s_delay_alu instid0(SALU_CYCLE_1) | instskip(SKIP_3) | instid1(VALU_DEP_3)
	s_or_b32 exec_lo, exec_lo, s16
	v_dual_lshrrev_b32 v6, 16, v0 :: v_dual_lshrrev_b32 v35, 16, v17
	v_or_b32_e32 v38, v0, v1
	v_or_b32_e32 v17, v17, v18
	v_cvt_f32_f16_e32 v1, v6
	s_delay_alu instid0(VALU_DEP_4)
	v_cvt_f32_f16_e32 v0, v35
	v_dual_lshrrev_b32 v35, 16, v37 :: v_dual_bitop2_b32 v6, v34, v36 bitop3:0x54
	v_lshrrev_b32_e32 v34, 16, v34
	v_cvt_f32_f16_e32 v18, v17
	s_wait_loadcnt_dscnt 0x0
	v_pk_mul_f32 v[0:1], v[16:17], v[0:1] op_sel_hi:[0,1]
	v_or_b32_e32 v17, v37, v19
	v_cvt_f32_f16_e32 v19, v38
	v_cvt_f32_f16_e32 v35, v35
	;; [unrolled: 1-line block ×3, first 2 shown]
	s_delay_alu instid0(VALU_DEP_3) | instskip(NEXT) | instid1(VALU_DEP_1)
	v_pk_mul_f32 v[18:19], v[16:17], v[18:19] op_sel_hi:[0,1]
	v_cvt_pk_f16_f32 v18, v18, v19
	s_delay_alu instid0(VALU_DEP_1) | instskip(SKIP_4) | instid1(VALU_DEP_3)
	v_lshrrev_b32_e32 v49, 16, v18
	v_cvt_f32_f16_e32 v36, v6
	v_cvt_pk_f16_f32 v6, v0, v1
	v_pk_mul_f32 v[0:1], v[16:17], v[34:35] op_sel_hi:[0,1]
	v_and_b32_e32 v48, 0xffff, v18
	v_lshlrev_b32_e32 v34, 16, v6
	v_cvt_f32_f16_e32 v37, v17
	s_delay_alu instid0(VALU_DEP_4) | instskip(SKIP_1) | instid1(VALU_DEP_4)
	v_cvt_pk_f16_f32 v0, v0, v1
	v_and_b32_e32 v35, 0xffff0000, v6
	v_or_b32_e32 v38, v34, v48
	s_delay_alu instid0(VALU_DEP_4) | instskip(NEXT) | instid1(VALU_DEP_3)
	v_pk_mul_f32 v[16:17], v[16:17], v[36:37] op_sel_hi:[0,1]
	v_or_b32_e32 v39, v35, v49
	s_delay_alu instid0(VALU_DEP_2) | instskip(SKIP_1) | instid1(VALU_DEP_2)
	v_cvt_pk_f16_f32 v1, v16, v17
	v_and_b32_e32 v17, 0xffff0000, v0
	v_dual_lshlrev_b32 v6, 16, v0 :: v_dual_lshrrev_b32 v19, 16, v1
	v_and_b32_e32 v16, 0xffff, v1
	s_delay_alu instid0(VALU_DEP_2) | instskip(NEXT) | instid1(VALU_DEP_2)
	v_or_b32_e32 v37, v17, v19
	v_or_b32_e32 v36, v6, v16
	s_and_saveexec_b32 s16, vcc_lo
	s_cbranch_execz .LBB272_1726
; %bb.1725:                             ;   in Loop: Header=BB272_1066 Depth=1
	v_cmp_lt_i32_e64 s1, v66, v13
	s_delay_alu instid0(VALU_DEP_1) | instskip(SKIP_1) | instid1(VALU_DEP_1)
	v_cndmask_b32_e64 v0, 0, v49, s1
	v_cmp_lt_i32_e64 s1, v83, v12
	v_cndmask_b32_e64 v1, 0, v48, s1
	v_cmp_lt_i32_e64 s1, v82, v13
	s_delay_alu instid0(VALU_DEP_1) | instskip(SKIP_1) | instid1(VALU_DEP_1)
	v_cndmask_b32_e64 v18, 0, v35, s1
	v_cmp_lt_i32_e64 s1, v81, v12
	v_cndmask_b32_e64 v34, 0, v34, s1
	v_cmp_lt_i32_e64 s1, v80, v13
	s_delay_alu instid0(VALU_DEP_4) | instskip(NEXT) | instid1(VALU_DEP_2)
	v_or_b32_e32 v39, v0, v18
	v_dual_cndmask_b32 v19, 0, v19, s1 :: v_dual_bitop2_b32 v38, v1, v34 bitop3:0x54
	v_cmp_lt_i32_e64 s1, v71, v12
	s_delay_alu instid0(VALU_DEP_1) | instskip(SKIP_1) | instid1(VALU_DEP_1)
	v_cndmask_b32_e64 v16, 0, v16, s1
	v_cmp_lt_i32_e64 s1, v70, v13
	v_cndmask_b32_e64 v17, 0, v17, s1
	v_cmp_lt_i32_e64 s1, v69, v12
	s_delay_alu instid0(VALU_DEP_1) | instskip(NEXT) | instid1(VALU_DEP_1)
	v_dual_cndmask_b32 v6, 0, v6, s1 :: v_dual_bitop2_b32 v37, v19, v17 bitop3:0x54
	v_or_b32_e32 v36, v16, v6
.LBB272_1726:                           ;   in Loop: Header=BB272_1066 Depth=1
	s_or_b32 exec_lo, exec_lo, s16
	;;#ASMSTART
	v_pk_mul_f16 v0, v53, v39;

	;;#ASMEND
	;;#ASMSTART
	v_pk_mul_f16 v1, v52, v38;

	;;#ASMEND
	;; [unrolled: 4-line block ×4, first 2 shown]
	;;#ASMSTART
	v_pk_add_f16 v0, v0, v1;

	;;#ASMEND
	;;#ASMSTART
	v_pk_add_f16 v0, v0, v6;

	;;#ASMEND
	;;#ASMSTART
	v_pk_add_f16 v0, v0, v16;

	;;#ASMEND
	v_and_b32_e32 v1, 0xffff, v0
	v_lshrrev_b32_e32 v0, 16, v0
	;;#ASMSTART
	v_cvt_f32_f16 v117, v1;
	;;#ASMEND
	v_mov_b32_e32 v1, 0
	;;#ASMSTART
	v_cvt_f32_f16 v118, v0;
	;;#ASMEND
	flat_load_b64 v[34:35], v[10:11] offset:2560
	flat_load_b32 v16, v[22:23]
	v_mov_b32_e32 v0, 0
	s_mov_b32 s16, exec_lo
	s_wait_loadcnt_dscnt 0x101
	v_and_b32_e32 v6, 0xff, v34
	s_wait_xcnt 0x0
	s_delay_alu instid0(VALU_DEP_1)
	v_cmpx_ne_u16_e32 0, v6
	s_cbranch_execz .LBB272_1734
; %bb.1727:                             ;   in Loop: Header=BB272_1066 Depth=1
	v_mov_b32_e32 v1, 0x8000
	s_mov_b32 s17, exec_lo
	v_cmpx_ne_u16_e32 0x80, v6
	s_cbranch_execz .LBB272_1733
; %bb.1728:                             ;   in Loop: Header=BB272_1066 Depth=1
	v_and_b32_e32 v17, 0x7f, v34
	v_mov_b32_e32 v1, 0x7c01
	s_mov_b32 s18, exec_lo
	s_delay_alu instid0(VALU_DEP_2)
	v_cmpx_ne_u32_e32 0x7f, v17
	s_cbranch_execz .LBB272_1732
; %bb.1729:                             ;   in Loop: Header=BB272_1066 Depth=1
	v_dual_lshrrev_b32 v6, 3, v17 :: v_dual_bitop2_b32 v1, 7, v34 bitop3:0x40
	s_mov_b32 s19, exec_lo
	v_cmpx_gt_u32_e32 8, v17
; %bb.1730:                             ;   in Loop: Header=BB272_1066 Depth=1
	s_delay_alu instid0(VALU_DEP_2) | instskip(NEXT) | instid1(VALU_DEP_1)
	v_clz_i32_u32_e32 v1, v1
	v_min_u32_e32 v1, 32, v1
	s_delay_alu instid0(VALU_DEP_1) | instskip(NEXT) | instid1(VALU_DEP_1)
	v_subrev_nc_u32_e32 v6, 28, v1
	v_lshlrev_b64_e32 v[18:19], v6, v[34:35]
	s_delay_alu instid0(VALU_DEP_1)
	v_dual_sub_nc_u32 v6, 29, v1 :: v_dual_bitop2_b32 v1, 7, v18 bitop3:0x40
; %bb.1731:                             ;   in Loop: Header=BB272_1066 Depth=1
	s_or_b32 exec_lo, exec_lo, s19
	s_delay_alu instid0(VALU_DEP_1) | instskip(NEXT) | instid1(VALU_DEP_2)
	v_dual_lshlrev_b32 v17, 8, v34 :: v_dual_lshlrev_b32 v1, 7, v1
	v_lshl_add_u32 v6, v6, 10, 0x2000
	s_delay_alu instid0(VALU_DEP_2) | instskip(NEXT) | instid1(VALU_DEP_2)
	v_and_b32_e32 v17, 0x8000, v17
	v_and_b32_e32 v6, 0xfc00, v6
	s_delay_alu instid0(VALU_DEP_1)
	v_or3_b32 v1, v17, v6, v1
.LBB272_1732:                           ;   in Loop: Header=BB272_1066 Depth=1
	s_or_b32 exec_lo, exec_lo, s18
.LBB272_1733:                           ;   in Loop: Header=BB272_1066 Depth=1
	s_delay_alu instid0(SALU_CYCLE_1)
	s_or_b32 exec_lo, exec_lo, s17
.LBB272_1734:                           ;   in Loop: Header=BB272_1066 Depth=1
	s_delay_alu instid0(SALU_CYCLE_1) | instskip(SKIP_2) | instid1(VALU_DEP_1)
	s_or_b32 exec_lo, exec_lo, s16
	v_lshrrev_b16 v6, 8, v34
	s_mov_b32 s16, exec_lo
	v_cmpx_ne_u16_e32 0, v6
	s_cbranch_execz .LBB272_1742
; %bb.1735:                             ;   in Loop: Header=BB272_1066 Depth=1
	v_bfrev_b32_e32 v0, 1
	s_mov_b32 s17, exec_lo
	v_cmpx_ne_u16_e32 0x80, v6
	s_cbranch_execz .LBB272_1741
; %bb.1736:                             ;   in Loop: Header=BB272_1066 Depth=1
	v_and_b32_e32 v17, 0xffff, v6
	v_mov_b32_e32 v0, 0x7c010000
	s_mov_b32 s18, exec_lo
	s_delay_alu instid0(VALU_DEP_2) | instskip(NEXT) | instid1(VALU_DEP_1)
	v_and_b32_e32 v19, 0x7f, v17
	v_cmpx_ne_u32_e32 0x7f, v19
	s_cbranch_execz .LBB272_1740
; %bb.1737:                             ;   in Loop: Header=BB272_1066 Depth=1
	v_dual_lshrrev_b32 v18, 3, v19 :: v_dual_bitop2_b32 v0, 7, v17 bitop3:0x40
	s_mov_b32 s19, exec_lo
	v_cmpx_gt_u32_e32 8, v19
; %bb.1738:                             ;   in Loop: Header=BB272_1066 Depth=1
	s_delay_alu instid0(VALU_DEP_2) | instskip(NEXT) | instid1(VALU_DEP_1)
	v_clz_i32_u32_e32 v0, v0
	v_min_u32_e32 v0, 32, v0
	s_delay_alu instid0(VALU_DEP_1) | instskip(NEXT) | instid1(VALU_DEP_1)
	v_subrev_nc_u32_e32 v18, 28, v0
	v_lshlrev_b64_e32 v[36:37], v18, v[6:7]
	v_sub_nc_u32_e32 v18, 29, v0
	s_delay_alu instid0(VALU_DEP_2)
	v_and_b32_e32 v0, 7, v36
; %bb.1739:                             ;   in Loop: Header=BB272_1066 Depth=1
	s_or_b32 exec_lo, exec_lo, s19
	s_delay_alu instid0(VALU_DEP_1) | instskip(NEXT) | instid1(VALU_DEP_3)
	v_dual_lshlrev_b32 v6, 8, v17 :: v_dual_lshlrev_b32 v0, 23, v0
	v_lshl_add_u32 v17, v18, 10, 0x2000
	s_delay_alu instid0(VALU_DEP_1) | instskip(NEXT) | instid1(VALU_DEP_1)
	v_and_or_b32 v6, 0x8000, v6, v17
	v_lshl_or_b32 v0, v6, 16, v0
.LBB272_1740:                           ;   in Loop: Header=BB272_1066 Depth=1
	s_or_b32 exec_lo, exec_lo, s18
.LBB272_1741:                           ;   in Loop: Header=BB272_1066 Depth=1
	s_delay_alu instid0(SALU_CYCLE_1)
	s_or_b32 exec_lo, exec_lo, s17
.LBB272_1742:                           ;   in Loop: Header=BB272_1066 Depth=1
	s_delay_alu instid0(SALU_CYCLE_1) | instskip(SKIP_3) | instid1(VALU_DEP_2)
	s_or_b32 exec_lo, exec_lo, s16
	v_dual_mov_b32 v17, 0 :: v_dual_lshrrev_b32 v6, 16, v34
	v_mov_b32_e32 v18, 0
	s_mov_b32 s16, exec_lo
	v_and_b32_e32 v19, 0xff, v6
	s_delay_alu instid0(VALU_DEP_1)
	v_cmpx_ne_u16_e32 0, v19
	s_cbranch_execz .LBB272_1750
; %bb.1743:                             ;   in Loop: Header=BB272_1066 Depth=1
	v_mov_b32_e32 v18, 0x8000
	s_mov_b32 s17, exec_lo
	v_cmpx_ne_u16_e32 0x80, v19
	s_cbranch_execz .LBB272_1749
; %bb.1744:                             ;   in Loop: Header=BB272_1066 Depth=1
	v_bfe_u32 v36, v34, 16, 7
	v_mov_b32_e32 v18, 0x7c01
	s_mov_b32 s18, exec_lo
	s_delay_alu instid0(VALU_DEP_2)
	v_cmpx_ne_u32_e32 0x7f, v36
	s_cbranch_execz .LBB272_1748
; %bb.1745:                             ;   in Loop: Header=BB272_1066 Depth=1
	v_dual_lshrrev_b32 v19, 3, v36 :: v_dual_bitop2_b32 v18, 7, v6 bitop3:0x40
	s_mov_b32 s19, exec_lo
	v_cmpx_gt_u32_e32 8, v36
; %bb.1746:                             ;   in Loop: Header=BB272_1066 Depth=1
	s_delay_alu instid0(VALU_DEP_2) | instskip(NEXT) | instid1(VALU_DEP_1)
	v_clz_i32_u32_e32 v18, v18
	v_min_u32_e32 v36, 32, v18
	s_delay_alu instid0(VALU_DEP_1) | instskip(NEXT) | instid1(VALU_DEP_1)
	v_subrev_nc_u32_e32 v18, 28, v36
	v_lshlrev_b64_e32 v[18:19], v18, v[6:7]
	s_delay_alu instid0(VALU_DEP_1)
	v_dual_sub_nc_u32 v19, 29, v36 :: v_dual_bitop2_b32 v18, 7, v18 bitop3:0x40
; %bb.1747:                             ;   in Loop: Header=BB272_1066 Depth=1
	s_or_b32 exec_lo, exec_lo, s19
	v_lshlrev_b32_e32 v6, 8, v6
	s_delay_alu instid0(VALU_DEP_2) | instskip(NEXT) | instid1(VALU_DEP_3)
	v_lshl_add_u32 v19, v19, 10, 0x2000
	v_lshlrev_b32_e32 v18, 7, v18
	s_delay_alu instid0(VALU_DEP_3) | instskip(NEXT) | instid1(VALU_DEP_3)
	v_and_b32_e32 v6, 0x8000, v6
	v_and_b32_e32 v19, 0xfc00, v19
	s_delay_alu instid0(VALU_DEP_1)
	v_or3_b32 v18, v6, v19, v18
.LBB272_1748:                           ;   in Loop: Header=BB272_1066 Depth=1
	s_or_b32 exec_lo, exec_lo, s18
.LBB272_1749:                           ;   in Loop: Header=BB272_1066 Depth=1
	s_delay_alu instid0(SALU_CYCLE_1)
	s_or_b32 exec_lo, exec_lo, s17
.LBB272_1750:                           ;   in Loop: Header=BB272_1066 Depth=1
	s_delay_alu instid0(SALU_CYCLE_1) | instskip(NEXT) | instid1(SALU_CYCLE_1)
	s_or_b32 exec_lo, exec_lo, s16
	s_mov_b32 s16, exec_lo
	v_cmpx_lt_u32_e32 0xffffff, v34
	s_cbranch_execz .LBB272_1758
; %bb.1751:                             ;   in Loop: Header=BB272_1066 Depth=1
	v_lshrrev_b32_e32 v6, 24, v34
	v_bfrev_b32_e32 v17, 1
	s_mov_b32 s17, exec_lo
	s_delay_alu instid0(VALU_DEP_2)
	v_cmpx_ne_u32_e32 0x80, v6
	s_cbranch_execz .LBB272_1757
; %bb.1752:                             ;   in Loop: Header=BB272_1066 Depth=1
	v_and_b32_e32 v36, 0x7f, v6
	v_mov_b32_e32 v17, 0x7c010000
	s_mov_b32 s18, exec_lo
	s_delay_alu instid0(VALU_DEP_2)
	v_cmpx_ne_u32_e32 0x7f, v36
	s_cbranch_execz .LBB272_1756
; %bb.1753:                             ;   in Loop: Header=BB272_1066 Depth=1
	v_dual_lshrrev_b32 v19, 3, v36 :: v_dual_bitop2_b32 v17, 7, v6 bitop3:0x40
	s_mov_b32 s19, exec_lo
	v_cmpx_gt_u32_e32 8, v36
; %bb.1754:                             ;   in Loop: Header=BB272_1066 Depth=1
	s_delay_alu instid0(VALU_DEP_2) | instskip(NEXT) | instid1(VALU_DEP_1)
	v_clz_i32_u32_e32 v17, v17
	v_min_u32_e32 v17, 32, v17
	s_delay_alu instid0(VALU_DEP_1) | instskip(NEXT) | instid1(VALU_DEP_1)
	v_subrev_nc_u32_e32 v19, 28, v17
	v_lshlrev_b64_e32 v[36:37], v19, v[6:7]
	s_delay_alu instid0(VALU_DEP_1)
	v_dual_sub_nc_u32 v19, 29, v17 :: v_dual_bitop2_b32 v17, 7, v36 bitop3:0x40
; %bb.1755:                             ;   in Loop: Header=BB272_1066 Depth=1
	s_or_b32 exec_lo, exec_lo, s19
	s_delay_alu instid0(VALU_DEP_1) | instskip(NEXT) | instid1(VALU_DEP_2)
	v_dual_lshlrev_b32 v6, 8, v6 :: v_dual_lshlrev_b32 v17, 23, v17
	v_lshl_add_u32 v19, v19, 10, 0x2000
	s_delay_alu instid0(VALU_DEP_1) | instskip(NEXT) | instid1(VALU_DEP_1)
	v_and_or_b32 v6, 0x8000, v6, v19
	v_lshl_or_b32 v17, v6, 16, v17
.LBB272_1756:                           ;   in Loop: Header=BB272_1066 Depth=1
	s_or_b32 exec_lo, exec_lo, s18
.LBB272_1757:                           ;   in Loop: Header=BB272_1066 Depth=1
	s_delay_alu instid0(SALU_CYCLE_1)
	s_or_b32 exec_lo, exec_lo, s17
.LBB272_1758:                           ;   in Loop: Header=BB272_1066 Depth=1
	s_delay_alu instid0(SALU_CYCLE_1) | instskip(SKIP_4) | instid1(VALU_DEP_3)
	s_or_b32 exec_lo, exec_lo, s16
	v_and_b32_e32 v37, 0xff, v35
	v_dual_mov_b32 v6, v35 :: v_dual_mov_b32 v36, 0
	v_mov_b32_e32 v19, 0
	s_mov_b32 s16, exec_lo
	v_cmpx_ne_u16_e32 0, v37
	s_cbranch_execz .LBB272_1766
; %bb.1759:                             ;   in Loop: Header=BB272_1066 Depth=1
	v_mov_b32_e32 v19, 0x8000
	s_mov_b32 s17, exec_lo
	v_cmpx_ne_u16_e32 0x80, v37
	s_cbranch_execz .LBB272_1765
; %bb.1760:                             ;   in Loop: Header=BB272_1066 Depth=1
	v_and_b32_e32 v38, 0x7f, v35
	v_mov_b32_e32 v19, 0x7c01
	s_mov_b32 s18, exec_lo
	s_delay_alu instid0(VALU_DEP_2)
	v_cmpx_ne_u32_e32 0x7f, v38
	s_cbranch_execz .LBB272_1764
; %bb.1761:                             ;   in Loop: Header=BB272_1066 Depth=1
	v_dual_lshrrev_b32 v37, 3, v38 :: v_dual_bitop2_b32 v19, 7, v35 bitop3:0x40
	s_mov_b32 s19, exec_lo
	v_cmpx_gt_u32_e32 8, v38
; %bb.1762:                             ;   in Loop: Header=BB272_1066 Depth=1
	s_delay_alu instid0(VALU_DEP_2) | instskip(NEXT) | instid1(VALU_DEP_1)
	v_clz_i32_u32_e32 v19, v19
	v_min_u32_e32 v19, 32, v19
	s_delay_alu instid0(VALU_DEP_1) | instskip(NEXT) | instid1(VALU_DEP_1)
	v_subrev_nc_u32_e32 v37, 28, v19
	v_lshlrev_b64_e32 v[38:39], v37, v[6:7]
	s_delay_alu instid0(VALU_DEP_1)
	v_dual_sub_nc_u32 v37, 29, v19 :: v_dual_bitop2_b32 v19, 7, v38 bitop3:0x40
; %bb.1763:                             ;   in Loop: Header=BB272_1066 Depth=1
	s_or_b32 exec_lo, exec_lo, s19
	v_lshlrev_b32_e32 v38, 8, v35
	s_delay_alu instid0(VALU_DEP_2) | instskip(NEXT) | instid1(VALU_DEP_3)
	v_lshl_add_u32 v37, v37, 10, 0x2000
	v_lshlrev_b32_e32 v19, 7, v19
	s_delay_alu instid0(VALU_DEP_3) | instskip(NEXT) | instid1(VALU_DEP_3)
	v_and_b32_e32 v38, 0x8000, v38
	v_and_b32_e32 v37, 0xfc00, v37
	s_delay_alu instid0(VALU_DEP_1)
	v_or3_b32 v19, v38, v37, v19
.LBB272_1764:                           ;   in Loop: Header=BB272_1066 Depth=1
	s_or_b32 exec_lo, exec_lo, s18
.LBB272_1765:                           ;   in Loop: Header=BB272_1066 Depth=1
	s_delay_alu instid0(SALU_CYCLE_1)
	s_or_b32 exec_lo, exec_lo, s17
.LBB272_1766:                           ;   in Loop: Header=BB272_1066 Depth=1
	s_delay_alu instid0(SALU_CYCLE_1) | instskip(SKIP_3) | instid1(VALU_DEP_2)
	s_or_b32 exec_lo, exec_lo, s16
	v_lshrrev_b16 v6, 8, v6
	v_mov_b32_e32 v37, 0
	s_mov_b32 s16, exec_lo
	v_cmpx_ne_u16_e32 0, v6
	s_cbranch_execz .LBB272_1774
; %bb.1767:                             ;   in Loop: Header=BB272_1066 Depth=1
	v_bfrev_b32_e32 v37, 1
	s_mov_b32 s17, exec_lo
	v_cmpx_ne_u16_e32 0x80, v6
	s_cbranch_execz .LBB272_1773
; %bb.1768:                             ;   in Loop: Header=BB272_1066 Depth=1
	v_and_b32_e32 v38, 0xffff, v6
	v_mov_b32_e32 v37, 0x7c010000
	s_mov_b32 s18, exec_lo
	s_delay_alu instid0(VALU_DEP_2) | instskip(NEXT) | instid1(VALU_DEP_1)
	v_and_b32_e32 v48, 0x7f, v38
	v_cmpx_ne_u32_e32 0x7f, v48
	s_cbranch_execz .LBB272_1772
; %bb.1769:                             ;   in Loop: Header=BB272_1066 Depth=1
	v_dual_lshrrev_b32 v39, 3, v48 :: v_dual_bitop2_b32 v37, 7, v38 bitop3:0x40
	s_mov_b32 s19, exec_lo
	v_cmpx_gt_u32_e32 8, v48
; %bb.1770:                             ;   in Loop: Header=BB272_1066 Depth=1
	s_delay_alu instid0(VALU_DEP_2) | instskip(NEXT) | instid1(VALU_DEP_1)
	v_clz_i32_u32_e32 v37, v37
	v_min_u32_e32 v37, 32, v37
	s_delay_alu instid0(VALU_DEP_1) | instskip(NEXT) | instid1(VALU_DEP_1)
	v_subrev_nc_u32_e32 v39, 28, v37
	v_lshlrev_b64_e32 v[48:49], v39, v[6:7]
	s_delay_alu instid0(VALU_DEP_1)
	v_dual_sub_nc_u32 v39, 29, v37 :: v_dual_bitop2_b32 v37, 7, v48 bitop3:0x40
; %bb.1771:                             ;   in Loop: Header=BB272_1066 Depth=1
	s_or_b32 exec_lo, exec_lo, s19
	s_delay_alu instid0(VALU_DEP_1) | instskip(NEXT) | instid1(VALU_DEP_2)
	v_dual_lshlrev_b32 v6, 8, v38 :: v_dual_lshlrev_b32 v37, 23, v37
	v_lshl_add_u32 v38, v39, 10, 0x2000
	s_delay_alu instid0(VALU_DEP_1) | instskip(NEXT) | instid1(VALU_DEP_1)
	v_and_or_b32 v6, 0x8000, v6, v38
	v_lshl_or_b32 v37, v6, 16, v37
.LBB272_1772:                           ;   in Loop: Header=BB272_1066 Depth=1
	s_or_b32 exec_lo, exec_lo, s18
.LBB272_1773:                           ;   in Loop: Header=BB272_1066 Depth=1
	s_delay_alu instid0(SALU_CYCLE_1)
	s_or_b32 exec_lo, exec_lo, s17
.LBB272_1774:                           ;   in Loop: Header=BB272_1066 Depth=1
	s_delay_alu instid0(SALU_CYCLE_1) | instskip(SKIP_2) | instid1(VALU_DEP_1)
	s_or_b32 exec_lo, exec_lo, s16
	v_lshrrev_b32_e32 v6, 16, v35
	s_mov_b32 s16, exec_lo
	v_and_b32_e32 v38, 0xff, v6
	s_delay_alu instid0(VALU_DEP_1)
	v_cmpx_ne_u16_e32 0, v38
	s_cbranch_execz .LBB272_1782
; %bb.1775:                             ;   in Loop: Header=BB272_1066 Depth=1
	v_mov_b32_e32 v36, 0x8000
	s_mov_b32 s17, exec_lo
	v_cmpx_ne_u16_e32 0x80, v38
	s_cbranch_execz .LBB272_1781
; %bb.1776:                             ;   in Loop: Header=BB272_1066 Depth=1
	v_bfe_u32 v39, v35, 16, 7
	v_mov_b32_e32 v36, 0x7c01
	s_mov_b32 s18, exec_lo
	s_delay_alu instid0(VALU_DEP_2)
	v_cmpx_ne_u32_e32 0x7f, v39
	s_cbranch_execz .LBB272_1780
; %bb.1777:                             ;   in Loop: Header=BB272_1066 Depth=1
	v_dual_lshrrev_b32 v38, 3, v39 :: v_dual_bitop2_b32 v36, 7, v6 bitop3:0x40
	s_mov_b32 s19, exec_lo
	v_cmpx_gt_u32_e32 8, v39
; %bb.1778:                             ;   in Loop: Header=BB272_1066 Depth=1
	s_delay_alu instid0(VALU_DEP_2) | instskip(NEXT) | instid1(VALU_DEP_1)
	v_clz_i32_u32_e32 v36, v36
	v_min_u32_e32 v36, 32, v36
	s_delay_alu instid0(VALU_DEP_1) | instskip(NEXT) | instid1(VALU_DEP_1)
	v_subrev_nc_u32_e32 v38, 28, v36
	v_lshlrev_b64_e32 v[48:49], v38, v[6:7]
	v_sub_nc_u32_e32 v38, 29, v36
	s_delay_alu instid0(VALU_DEP_2)
	v_and_b32_e32 v36, 7, v48
; %bb.1779:                             ;   in Loop: Header=BB272_1066 Depth=1
	s_or_b32 exec_lo, exec_lo, s19
	s_delay_alu instid0(VALU_DEP_1) | instskip(NEXT) | instid1(VALU_DEP_3)
	v_dual_lshlrev_b32 v6, 8, v6 :: v_dual_lshlrev_b32 v36, 7, v36
	v_lshl_add_u32 v38, v38, 10, 0x2000
	s_delay_alu instid0(VALU_DEP_2) | instskip(NEXT) | instid1(VALU_DEP_2)
	v_and_b32_e32 v6, 0x8000, v6
	v_and_b32_e32 v38, 0xfc00, v38
	s_delay_alu instid0(VALU_DEP_1)
	v_or3_b32 v36, v6, v38, v36
.LBB272_1780:                           ;   in Loop: Header=BB272_1066 Depth=1
	s_or_b32 exec_lo, exec_lo, s18
.LBB272_1781:                           ;   in Loop: Header=BB272_1066 Depth=1
	s_delay_alu instid0(SALU_CYCLE_1)
	s_or_b32 exec_lo, exec_lo, s17
.LBB272_1782:                           ;   in Loop: Header=BB272_1066 Depth=1
	s_delay_alu instid0(SALU_CYCLE_1)
	s_or_b32 exec_lo, exec_lo, s16
	v_cmp_lt_u64_e64 s1, s[2:3], v[34:35]
	v_mov_b32_e32 v34, 0
	s_and_saveexec_b32 s16, s1
	s_cbranch_execz .LBB272_1790
; %bb.1783:                             ;   in Loop: Header=BB272_1066 Depth=1
	v_lshrrev_b32_e32 v6, 24, v35
	v_bfrev_b32_e32 v34, 1
	s_mov_b32 s17, exec_lo
	s_delay_alu instid0(VALU_DEP_2)
	v_cmpx_ne_u32_e32 0x80, v6
	s_cbranch_execz .LBB272_1789
; %bb.1784:                             ;   in Loop: Header=BB272_1066 Depth=1
	v_and_b32_e32 v38, 0x7f, v6
	v_mov_b32_e32 v34, 0x7c010000
	s_mov_b32 s18, exec_lo
	s_delay_alu instid0(VALU_DEP_2)
	v_cmpx_ne_u32_e32 0x7f, v38
	s_cbranch_execz .LBB272_1788
; %bb.1785:                             ;   in Loop: Header=BB272_1066 Depth=1
	v_and_b32_e32 v34, 7, v6
	v_lshrrev_b32_e32 v35, 3, v38
	s_mov_b32 s19, exec_lo
	v_cmpx_gt_u32_e32 8, v38
; %bb.1786:                             ;   in Loop: Header=BB272_1066 Depth=1
	s_delay_alu instid0(VALU_DEP_3) | instskip(NEXT) | instid1(VALU_DEP_1)
	v_clz_i32_u32_e32 v34, v34
	v_min_u32_e32 v38, 32, v34
	s_delay_alu instid0(VALU_DEP_1) | instskip(NEXT) | instid1(VALU_DEP_1)
	v_subrev_nc_u32_e32 v34, 28, v38
	v_lshlrev_b64_e32 v[34:35], v34, v[6:7]
	v_sub_nc_u32_e32 v35, 29, v38
	s_delay_alu instid0(VALU_DEP_2)
	v_and_b32_e32 v34, 7, v34
; %bb.1787:                             ;   in Loop: Header=BB272_1066 Depth=1
	s_or_b32 exec_lo, exec_lo, s19
	v_lshlrev_b32_e32 v6, 8, v6
	s_delay_alu instid0(VALU_DEP_3) | instskip(NEXT) | instid1(VALU_DEP_3)
	v_lshl_add_u32 v35, v35, 10, 0x2000
	v_lshlrev_b32_e32 v34, 23, v34
	s_delay_alu instid0(VALU_DEP_2) | instskip(NEXT) | instid1(VALU_DEP_1)
	v_and_or_b32 v6, 0x8000, v6, v35
	v_lshl_or_b32 v34, v6, 16, v34
.LBB272_1788:                           ;   in Loop: Header=BB272_1066 Depth=1
	s_or_b32 exec_lo, exec_lo, s18
.LBB272_1789:                           ;   in Loop: Header=BB272_1066 Depth=1
	s_delay_alu instid0(SALU_CYCLE_1)
	s_or_b32 exec_lo, exec_lo, s17
.LBB272_1790:                           ;   in Loop: Header=BB272_1066 Depth=1
	s_delay_alu instid0(SALU_CYCLE_1) | instskip(SKIP_3) | instid1(VALU_DEP_3)
	s_or_b32 exec_lo, exec_lo, s16
	v_dual_lshrrev_b32 v6, 16, v0 :: v_dual_lshrrev_b32 v35, 16, v17
	v_or_b32_e32 v38, v0, v1
	v_or_b32_e32 v17, v17, v18
	v_cvt_f32_f16_e32 v1, v6
	s_delay_alu instid0(VALU_DEP_4)
	v_cvt_f32_f16_e32 v0, v35
	v_dual_lshrrev_b32 v35, 16, v37 :: v_dual_bitop2_b32 v6, v34, v36 bitop3:0x54
	v_lshrrev_b32_e32 v34, 16, v34
	v_cvt_f32_f16_e32 v18, v17
	s_wait_loadcnt_dscnt 0x0
	v_pk_mul_f32 v[0:1], v[16:17], v[0:1] op_sel_hi:[0,1]
	v_or_b32_e32 v17, v37, v19
	v_cvt_f32_f16_e32 v19, v38
	v_cvt_f32_f16_e32 v35, v35
	;; [unrolled: 1-line block ×3, first 2 shown]
	s_delay_alu instid0(VALU_DEP_3) | instskip(NEXT) | instid1(VALU_DEP_1)
	v_pk_mul_f32 v[18:19], v[16:17], v[18:19] op_sel_hi:[0,1]
	v_cvt_pk_f16_f32 v18, v18, v19
	s_delay_alu instid0(VALU_DEP_1) | instskip(SKIP_4) | instid1(VALU_DEP_3)
	v_lshrrev_b32_e32 v49, 16, v18
	v_cvt_f32_f16_e32 v36, v6
	v_cvt_pk_f16_f32 v6, v0, v1
	v_pk_mul_f32 v[0:1], v[16:17], v[34:35] op_sel_hi:[0,1]
	v_and_b32_e32 v48, 0xffff, v18
	v_lshlrev_b32_e32 v34, 16, v6
	v_cvt_f32_f16_e32 v37, v17
	s_delay_alu instid0(VALU_DEP_4) | instskip(SKIP_1) | instid1(VALU_DEP_4)
	v_cvt_pk_f16_f32 v0, v0, v1
	v_and_b32_e32 v35, 0xffff0000, v6
	v_or_b32_e32 v38, v34, v48
	s_delay_alu instid0(VALU_DEP_4) | instskip(NEXT) | instid1(VALU_DEP_3)
	v_pk_mul_f32 v[16:17], v[16:17], v[36:37] op_sel_hi:[0,1]
	v_or_b32_e32 v39, v35, v49
	s_delay_alu instid0(VALU_DEP_2) | instskip(SKIP_1) | instid1(VALU_DEP_2)
	v_cvt_pk_f16_f32 v1, v16, v17
	v_and_b32_e32 v17, 0xffff0000, v0
	v_dual_lshlrev_b32 v6, 16, v0 :: v_dual_lshrrev_b32 v19, 16, v1
	v_and_b32_e32 v16, 0xffff, v1
	s_delay_alu instid0(VALU_DEP_2) | instskip(NEXT) | instid1(VALU_DEP_2)
	v_or_b32_e32 v37, v17, v19
	v_or_b32_e32 v36, v6, v16
	s_and_saveexec_b32 s16, vcc_lo
	s_cbranch_execz .LBB272_1792
; %bb.1791:                             ;   in Loop: Header=BB272_1066 Depth=1
	v_cmp_lt_i32_e64 s1, v66, v13
	s_delay_alu instid0(VALU_DEP_1) | instskip(SKIP_1) | instid1(VALU_DEP_1)
	v_cndmask_b32_e64 v0, 0, v49, s1
	v_cmp_lt_i32_e64 s1, v83, v12
	v_cndmask_b32_e64 v1, 0, v48, s1
	v_cmp_lt_i32_e64 s1, v82, v13
	s_delay_alu instid0(VALU_DEP_1) | instskip(SKIP_1) | instid1(VALU_DEP_1)
	v_cndmask_b32_e64 v18, 0, v35, s1
	v_cmp_lt_i32_e64 s1, v81, v12
	v_cndmask_b32_e64 v34, 0, v34, s1
	v_cmp_lt_i32_e64 s1, v80, v13
	s_delay_alu instid0(VALU_DEP_4) | instskip(NEXT) | instid1(VALU_DEP_2)
	v_or_b32_e32 v39, v0, v18
	v_dual_cndmask_b32 v19, 0, v19, s1 :: v_dual_bitop2_b32 v38, v1, v34 bitop3:0x54
	v_cmp_lt_i32_e64 s1, v71, v12
	s_delay_alu instid0(VALU_DEP_1) | instskip(SKIP_1) | instid1(VALU_DEP_1)
	v_cndmask_b32_e64 v16, 0, v16, s1
	v_cmp_lt_i32_e64 s1, v70, v13
	v_cndmask_b32_e64 v17, 0, v17, s1
	v_cmp_lt_i32_e64 s1, v69, v12
	s_delay_alu instid0(VALU_DEP_1) | instskip(NEXT) | instid1(VALU_DEP_1)
	v_dual_cndmask_b32 v6, 0, v6, s1 :: v_dual_bitop2_b32 v37, v19, v17 bitop3:0x54
	v_or_b32_e32 v36, v16, v6
.LBB272_1792:                           ;   in Loop: Header=BB272_1066 Depth=1
	s_or_b32 exec_lo, exec_lo, s16
	;;#ASMSTART
	v_pk_mul_f16 v0, v53, v39;

	;;#ASMEND
	;;#ASMSTART
	v_pk_mul_f16 v1, v52, v38;

	;;#ASMEND
	;; [unrolled: 4-line block ×4, first 2 shown]
	;;#ASMSTART
	v_pk_add_f16 v0, v0, v1;

	;;#ASMEND
	;;#ASMSTART
	v_pk_add_f16 v0, v0, v6;

	;;#ASMEND
	;; [unrolled: 4-line block ×3, first 2 shown]
	v_and_b32_e32 v1, 0xffff, v0
	v_lshrrev_b32_e32 v0, 16, v0
	;;#ASMSTART
	v_cvt_f32_f16 v119, v1;
	;;#ASMEND
	v_mov_b32_e32 v1, 0
	;;#ASMSTART
	v_cvt_f32_f16 v40, v0;
	;;#ASMEND
	flat_load_b64 v[34:35], v[10:11] offset:2816
	flat_load_b32 v16, v[22:23]
	v_mov_b32_e32 v0, 0
	s_mov_b32 s16, exec_lo
	s_wait_loadcnt_dscnt 0x101
	v_and_b32_e32 v6, 0xff, v34
	s_wait_xcnt 0x0
	s_delay_alu instid0(VALU_DEP_1)
	v_cmpx_ne_u16_e32 0, v6
	s_cbranch_execz .LBB272_1800
; %bb.1793:                             ;   in Loop: Header=BB272_1066 Depth=1
	v_mov_b32_e32 v1, 0x8000
	s_mov_b32 s17, exec_lo
	v_cmpx_ne_u16_e32 0x80, v6
	s_cbranch_execz .LBB272_1799
; %bb.1794:                             ;   in Loop: Header=BB272_1066 Depth=1
	v_and_b32_e32 v17, 0x7f, v34
	v_mov_b32_e32 v1, 0x7c01
	s_mov_b32 s18, exec_lo
	s_delay_alu instid0(VALU_DEP_2)
	v_cmpx_ne_u32_e32 0x7f, v17
	s_cbranch_execz .LBB272_1798
; %bb.1795:                             ;   in Loop: Header=BB272_1066 Depth=1
	v_dual_lshrrev_b32 v6, 3, v17 :: v_dual_bitop2_b32 v1, 7, v34 bitop3:0x40
	s_mov_b32 s19, exec_lo
	v_cmpx_gt_u32_e32 8, v17
; %bb.1796:                             ;   in Loop: Header=BB272_1066 Depth=1
	s_delay_alu instid0(VALU_DEP_2) | instskip(NEXT) | instid1(VALU_DEP_1)
	v_clz_i32_u32_e32 v1, v1
	v_min_u32_e32 v1, 32, v1
	s_delay_alu instid0(VALU_DEP_1) | instskip(NEXT) | instid1(VALU_DEP_1)
	v_subrev_nc_u32_e32 v6, 28, v1
	v_lshlrev_b64_e32 v[18:19], v6, v[34:35]
	s_delay_alu instid0(VALU_DEP_1)
	v_dual_sub_nc_u32 v6, 29, v1 :: v_dual_bitop2_b32 v1, 7, v18 bitop3:0x40
; %bb.1797:                             ;   in Loop: Header=BB272_1066 Depth=1
	s_or_b32 exec_lo, exec_lo, s19
	s_delay_alu instid0(VALU_DEP_1) | instskip(NEXT) | instid1(VALU_DEP_2)
	v_dual_lshlrev_b32 v17, 8, v34 :: v_dual_lshlrev_b32 v1, 7, v1
	v_lshl_add_u32 v6, v6, 10, 0x2000
	s_delay_alu instid0(VALU_DEP_2) | instskip(NEXT) | instid1(VALU_DEP_2)
	v_and_b32_e32 v17, 0x8000, v17
	v_and_b32_e32 v6, 0xfc00, v6
	s_delay_alu instid0(VALU_DEP_1)
	v_or3_b32 v1, v17, v6, v1
.LBB272_1798:                           ;   in Loop: Header=BB272_1066 Depth=1
	s_or_b32 exec_lo, exec_lo, s18
.LBB272_1799:                           ;   in Loop: Header=BB272_1066 Depth=1
	s_delay_alu instid0(SALU_CYCLE_1)
	s_or_b32 exec_lo, exec_lo, s17
.LBB272_1800:                           ;   in Loop: Header=BB272_1066 Depth=1
	s_delay_alu instid0(SALU_CYCLE_1) | instskip(SKIP_2) | instid1(VALU_DEP_1)
	s_or_b32 exec_lo, exec_lo, s16
	v_lshrrev_b16 v6, 8, v34
	s_mov_b32 s16, exec_lo
	v_cmpx_ne_u16_e32 0, v6
	s_cbranch_execz .LBB272_1808
; %bb.1801:                             ;   in Loop: Header=BB272_1066 Depth=1
	v_bfrev_b32_e32 v0, 1
	s_mov_b32 s17, exec_lo
	v_cmpx_ne_u16_e32 0x80, v6
	s_cbranch_execz .LBB272_1807
; %bb.1802:                             ;   in Loop: Header=BB272_1066 Depth=1
	v_and_b32_e32 v17, 0xffff, v6
	v_mov_b32_e32 v0, 0x7c010000
	s_mov_b32 s18, exec_lo
	s_delay_alu instid0(VALU_DEP_2) | instskip(NEXT) | instid1(VALU_DEP_1)
	v_and_b32_e32 v19, 0x7f, v17
	v_cmpx_ne_u32_e32 0x7f, v19
	s_cbranch_execz .LBB272_1806
; %bb.1803:                             ;   in Loop: Header=BB272_1066 Depth=1
	v_dual_lshrrev_b32 v18, 3, v19 :: v_dual_bitop2_b32 v0, 7, v17 bitop3:0x40
	s_mov_b32 s19, exec_lo
	v_cmpx_gt_u32_e32 8, v19
; %bb.1804:                             ;   in Loop: Header=BB272_1066 Depth=1
	s_delay_alu instid0(VALU_DEP_2) | instskip(NEXT) | instid1(VALU_DEP_1)
	v_clz_i32_u32_e32 v0, v0
	v_min_u32_e32 v0, 32, v0
	s_delay_alu instid0(VALU_DEP_1) | instskip(NEXT) | instid1(VALU_DEP_1)
	v_subrev_nc_u32_e32 v18, 28, v0
	v_lshlrev_b64_e32 v[36:37], v18, v[6:7]
	v_sub_nc_u32_e32 v18, 29, v0
	s_delay_alu instid0(VALU_DEP_2)
	v_and_b32_e32 v0, 7, v36
; %bb.1805:                             ;   in Loop: Header=BB272_1066 Depth=1
	s_or_b32 exec_lo, exec_lo, s19
	s_delay_alu instid0(VALU_DEP_1) | instskip(NEXT) | instid1(VALU_DEP_3)
	v_dual_lshlrev_b32 v6, 8, v17 :: v_dual_lshlrev_b32 v0, 23, v0
	v_lshl_add_u32 v17, v18, 10, 0x2000
	s_delay_alu instid0(VALU_DEP_1) | instskip(NEXT) | instid1(VALU_DEP_1)
	v_and_or_b32 v6, 0x8000, v6, v17
	v_lshl_or_b32 v0, v6, 16, v0
.LBB272_1806:                           ;   in Loop: Header=BB272_1066 Depth=1
	s_or_b32 exec_lo, exec_lo, s18
.LBB272_1807:                           ;   in Loop: Header=BB272_1066 Depth=1
	s_delay_alu instid0(SALU_CYCLE_1)
	s_or_b32 exec_lo, exec_lo, s17
.LBB272_1808:                           ;   in Loop: Header=BB272_1066 Depth=1
	s_delay_alu instid0(SALU_CYCLE_1) | instskip(SKIP_3) | instid1(VALU_DEP_2)
	s_or_b32 exec_lo, exec_lo, s16
	v_dual_mov_b32 v17, 0 :: v_dual_lshrrev_b32 v6, 16, v34
	v_mov_b32_e32 v18, 0
	s_mov_b32 s16, exec_lo
	v_and_b32_e32 v19, 0xff, v6
	s_delay_alu instid0(VALU_DEP_1)
	v_cmpx_ne_u16_e32 0, v19
	s_cbranch_execz .LBB272_1816
; %bb.1809:                             ;   in Loop: Header=BB272_1066 Depth=1
	v_mov_b32_e32 v18, 0x8000
	s_mov_b32 s17, exec_lo
	v_cmpx_ne_u16_e32 0x80, v19
	s_cbranch_execz .LBB272_1815
; %bb.1810:                             ;   in Loop: Header=BB272_1066 Depth=1
	v_bfe_u32 v36, v34, 16, 7
	v_mov_b32_e32 v18, 0x7c01
	s_mov_b32 s18, exec_lo
	s_delay_alu instid0(VALU_DEP_2)
	v_cmpx_ne_u32_e32 0x7f, v36
	s_cbranch_execz .LBB272_1814
; %bb.1811:                             ;   in Loop: Header=BB272_1066 Depth=1
	v_dual_lshrrev_b32 v19, 3, v36 :: v_dual_bitop2_b32 v18, 7, v6 bitop3:0x40
	s_mov_b32 s19, exec_lo
	v_cmpx_gt_u32_e32 8, v36
; %bb.1812:                             ;   in Loop: Header=BB272_1066 Depth=1
	s_delay_alu instid0(VALU_DEP_2) | instskip(NEXT) | instid1(VALU_DEP_1)
	v_clz_i32_u32_e32 v18, v18
	v_min_u32_e32 v36, 32, v18
	s_delay_alu instid0(VALU_DEP_1) | instskip(NEXT) | instid1(VALU_DEP_1)
	v_subrev_nc_u32_e32 v18, 28, v36
	v_lshlrev_b64_e32 v[18:19], v18, v[6:7]
	s_delay_alu instid0(VALU_DEP_1)
	v_dual_sub_nc_u32 v19, 29, v36 :: v_dual_bitop2_b32 v18, 7, v18 bitop3:0x40
; %bb.1813:                             ;   in Loop: Header=BB272_1066 Depth=1
	s_or_b32 exec_lo, exec_lo, s19
	v_lshlrev_b32_e32 v6, 8, v6
	s_delay_alu instid0(VALU_DEP_2) | instskip(NEXT) | instid1(VALU_DEP_3)
	v_lshl_add_u32 v19, v19, 10, 0x2000
	v_lshlrev_b32_e32 v18, 7, v18
	s_delay_alu instid0(VALU_DEP_3) | instskip(NEXT) | instid1(VALU_DEP_3)
	v_and_b32_e32 v6, 0x8000, v6
	v_and_b32_e32 v19, 0xfc00, v19
	s_delay_alu instid0(VALU_DEP_1)
	v_or3_b32 v18, v6, v19, v18
.LBB272_1814:                           ;   in Loop: Header=BB272_1066 Depth=1
	s_or_b32 exec_lo, exec_lo, s18
.LBB272_1815:                           ;   in Loop: Header=BB272_1066 Depth=1
	s_delay_alu instid0(SALU_CYCLE_1)
	s_or_b32 exec_lo, exec_lo, s17
.LBB272_1816:                           ;   in Loop: Header=BB272_1066 Depth=1
	s_delay_alu instid0(SALU_CYCLE_1) | instskip(NEXT) | instid1(SALU_CYCLE_1)
	s_or_b32 exec_lo, exec_lo, s16
	s_mov_b32 s16, exec_lo
	v_cmpx_lt_u32_e32 0xffffff, v34
	s_cbranch_execz .LBB272_1824
; %bb.1817:                             ;   in Loop: Header=BB272_1066 Depth=1
	v_lshrrev_b32_e32 v6, 24, v34
	v_bfrev_b32_e32 v17, 1
	s_mov_b32 s17, exec_lo
	s_delay_alu instid0(VALU_DEP_2)
	v_cmpx_ne_u32_e32 0x80, v6
	s_cbranch_execz .LBB272_1823
; %bb.1818:                             ;   in Loop: Header=BB272_1066 Depth=1
	v_and_b32_e32 v36, 0x7f, v6
	v_mov_b32_e32 v17, 0x7c010000
	s_mov_b32 s18, exec_lo
	s_delay_alu instid0(VALU_DEP_2)
	v_cmpx_ne_u32_e32 0x7f, v36
	s_cbranch_execz .LBB272_1822
; %bb.1819:                             ;   in Loop: Header=BB272_1066 Depth=1
	v_dual_lshrrev_b32 v19, 3, v36 :: v_dual_bitop2_b32 v17, 7, v6 bitop3:0x40
	s_mov_b32 s19, exec_lo
	v_cmpx_gt_u32_e32 8, v36
; %bb.1820:                             ;   in Loop: Header=BB272_1066 Depth=1
	s_delay_alu instid0(VALU_DEP_2) | instskip(NEXT) | instid1(VALU_DEP_1)
	v_clz_i32_u32_e32 v17, v17
	v_min_u32_e32 v17, 32, v17
	s_delay_alu instid0(VALU_DEP_1) | instskip(NEXT) | instid1(VALU_DEP_1)
	v_subrev_nc_u32_e32 v19, 28, v17
	v_lshlrev_b64_e32 v[36:37], v19, v[6:7]
	s_delay_alu instid0(VALU_DEP_1)
	v_dual_sub_nc_u32 v19, 29, v17 :: v_dual_bitop2_b32 v17, 7, v36 bitop3:0x40
; %bb.1821:                             ;   in Loop: Header=BB272_1066 Depth=1
	s_or_b32 exec_lo, exec_lo, s19
	s_delay_alu instid0(VALU_DEP_1) | instskip(NEXT) | instid1(VALU_DEP_2)
	v_dual_lshlrev_b32 v6, 8, v6 :: v_dual_lshlrev_b32 v17, 23, v17
	v_lshl_add_u32 v19, v19, 10, 0x2000
	s_delay_alu instid0(VALU_DEP_1) | instskip(NEXT) | instid1(VALU_DEP_1)
	v_and_or_b32 v6, 0x8000, v6, v19
	v_lshl_or_b32 v17, v6, 16, v17
.LBB272_1822:                           ;   in Loop: Header=BB272_1066 Depth=1
	s_or_b32 exec_lo, exec_lo, s18
.LBB272_1823:                           ;   in Loop: Header=BB272_1066 Depth=1
	s_delay_alu instid0(SALU_CYCLE_1)
	s_or_b32 exec_lo, exec_lo, s17
.LBB272_1824:                           ;   in Loop: Header=BB272_1066 Depth=1
	s_delay_alu instid0(SALU_CYCLE_1) | instskip(SKIP_4) | instid1(VALU_DEP_3)
	s_or_b32 exec_lo, exec_lo, s16
	v_and_b32_e32 v37, 0xff, v35
	v_dual_mov_b32 v6, v35 :: v_dual_mov_b32 v36, 0
	v_mov_b32_e32 v19, 0
	s_mov_b32 s16, exec_lo
	v_cmpx_ne_u16_e32 0, v37
	s_cbranch_execz .LBB272_1832
; %bb.1825:                             ;   in Loop: Header=BB272_1066 Depth=1
	v_mov_b32_e32 v19, 0x8000
	s_mov_b32 s17, exec_lo
	v_cmpx_ne_u16_e32 0x80, v37
	s_cbranch_execz .LBB272_1831
; %bb.1826:                             ;   in Loop: Header=BB272_1066 Depth=1
	v_and_b32_e32 v38, 0x7f, v35
	v_mov_b32_e32 v19, 0x7c01
	s_mov_b32 s18, exec_lo
	s_delay_alu instid0(VALU_DEP_2)
	v_cmpx_ne_u32_e32 0x7f, v38
	s_cbranch_execz .LBB272_1830
; %bb.1827:                             ;   in Loop: Header=BB272_1066 Depth=1
	v_dual_lshrrev_b32 v37, 3, v38 :: v_dual_bitop2_b32 v19, 7, v35 bitop3:0x40
	s_mov_b32 s19, exec_lo
	v_cmpx_gt_u32_e32 8, v38
; %bb.1828:                             ;   in Loop: Header=BB272_1066 Depth=1
	s_delay_alu instid0(VALU_DEP_2) | instskip(NEXT) | instid1(VALU_DEP_1)
	v_clz_i32_u32_e32 v19, v19
	v_min_u32_e32 v19, 32, v19
	s_delay_alu instid0(VALU_DEP_1) | instskip(NEXT) | instid1(VALU_DEP_1)
	v_subrev_nc_u32_e32 v37, 28, v19
	v_lshlrev_b64_e32 v[38:39], v37, v[6:7]
	s_delay_alu instid0(VALU_DEP_1)
	v_dual_sub_nc_u32 v37, 29, v19 :: v_dual_bitop2_b32 v19, 7, v38 bitop3:0x40
; %bb.1829:                             ;   in Loop: Header=BB272_1066 Depth=1
	s_or_b32 exec_lo, exec_lo, s19
	v_lshlrev_b32_e32 v38, 8, v35
	s_delay_alu instid0(VALU_DEP_2) | instskip(NEXT) | instid1(VALU_DEP_3)
	v_lshl_add_u32 v37, v37, 10, 0x2000
	v_lshlrev_b32_e32 v19, 7, v19
	s_delay_alu instid0(VALU_DEP_3) | instskip(NEXT) | instid1(VALU_DEP_3)
	v_and_b32_e32 v38, 0x8000, v38
	v_and_b32_e32 v37, 0xfc00, v37
	s_delay_alu instid0(VALU_DEP_1)
	v_or3_b32 v19, v38, v37, v19
.LBB272_1830:                           ;   in Loop: Header=BB272_1066 Depth=1
	s_or_b32 exec_lo, exec_lo, s18
.LBB272_1831:                           ;   in Loop: Header=BB272_1066 Depth=1
	s_delay_alu instid0(SALU_CYCLE_1)
	s_or_b32 exec_lo, exec_lo, s17
.LBB272_1832:                           ;   in Loop: Header=BB272_1066 Depth=1
	s_delay_alu instid0(SALU_CYCLE_1) | instskip(SKIP_3) | instid1(VALU_DEP_2)
	s_or_b32 exec_lo, exec_lo, s16
	v_lshrrev_b16 v6, 8, v6
	v_mov_b32_e32 v37, 0
	s_mov_b32 s16, exec_lo
	v_cmpx_ne_u16_e32 0, v6
	s_cbranch_execz .LBB272_1840
; %bb.1833:                             ;   in Loop: Header=BB272_1066 Depth=1
	v_bfrev_b32_e32 v37, 1
	s_mov_b32 s17, exec_lo
	v_cmpx_ne_u16_e32 0x80, v6
	s_cbranch_execz .LBB272_1839
; %bb.1834:                             ;   in Loop: Header=BB272_1066 Depth=1
	v_and_b32_e32 v38, 0xffff, v6
	v_mov_b32_e32 v37, 0x7c010000
	s_mov_b32 s18, exec_lo
	s_delay_alu instid0(VALU_DEP_2) | instskip(NEXT) | instid1(VALU_DEP_1)
	v_and_b32_e32 v48, 0x7f, v38
	v_cmpx_ne_u32_e32 0x7f, v48
	s_cbranch_execz .LBB272_1838
; %bb.1835:                             ;   in Loop: Header=BB272_1066 Depth=1
	v_dual_lshrrev_b32 v39, 3, v48 :: v_dual_bitop2_b32 v37, 7, v38 bitop3:0x40
	s_mov_b32 s19, exec_lo
	v_cmpx_gt_u32_e32 8, v48
; %bb.1836:                             ;   in Loop: Header=BB272_1066 Depth=1
	s_delay_alu instid0(VALU_DEP_2) | instskip(NEXT) | instid1(VALU_DEP_1)
	v_clz_i32_u32_e32 v37, v37
	v_min_u32_e32 v37, 32, v37
	s_delay_alu instid0(VALU_DEP_1) | instskip(NEXT) | instid1(VALU_DEP_1)
	v_subrev_nc_u32_e32 v39, 28, v37
	v_lshlrev_b64_e32 v[48:49], v39, v[6:7]
	s_delay_alu instid0(VALU_DEP_1)
	v_dual_sub_nc_u32 v39, 29, v37 :: v_dual_bitop2_b32 v37, 7, v48 bitop3:0x40
; %bb.1837:                             ;   in Loop: Header=BB272_1066 Depth=1
	s_or_b32 exec_lo, exec_lo, s19
	s_delay_alu instid0(VALU_DEP_1) | instskip(NEXT) | instid1(VALU_DEP_2)
	v_dual_lshlrev_b32 v6, 8, v38 :: v_dual_lshlrev_b32 v37, 23, v37
	v_lshl_add_u32 v38, v39, 10, 0x2000
	s_delay_alu instid0(VALU_DEP_1) | instskip(NEXT) | instid1(VALU_DEP_1)
	v_and_or_b32 v6, 0x8000, v6, v38
	v_lshl_or_b32 v37, v6, 16, v37
.LBB272_1838:                           ;   in Loop: Header=BB272_1066 Depth=1
	s_or_b32 exec_lo, exec_lo, s18
.LBB272_1839:                           ;   in Loop: Header=BB272_1066 Depth=1
	s_delay_alu instid0(SALU_CYCLE_1)
	s_or_b32 exec_lo, exec_lo, s17
.LBB272_1840:                           ;   in Loop: Header=BB272_1066 Depth=1
	s_delay_alu instid0(SALU_CYCLE_1) | instskip(SKIP_2) | instid1(VALU_DEP_1)
	s_or_b32 exec_lo, exec_lo, s16
	v_lshrrev_b32_e32 v6, 16, v35
	s_mov_b32 s16, exec_lo
	v_and_b32_e32 v38, 0xff, v6
	s_delay_alu instid0(VALU_DEP_1)
	v_cmpx_ne_u16_e32 0, v38
	s_cbranch_execz .LBB272_1848
; %bb.1841:                             ;   in Loop: Header=BB272_1066 Depth=1
	v_mov_b32_e32 v36, 0x8000
	s_mov_b32 s17, exec_lo
	v_cmpx_ne_u16_e32 0x80, v38
	s_cbranch_execz .LBB272_1847
; %bb.1842:                             ;   in Loop: Header=BB272_1066 Depth=1
	v_bfe_u32 v39, v35, 16, 7
	v_mov_b32_e32 v36, 0x7c01
	s_mov_b32 s18, exec_lo
	s_delay_alu instid0(VALU_DEP_2)
	v_cmpx_ne_u32_e32 0x7f, v39
	s_cbranch_execz .LBB272_1846
; %bb.1843:                             ;   in Loop: Header=BB272_1066 Depth=1
	v_dual_lshrrev_b32 v38, 3, v39 :: v_dual_bitop2_b32 v36, 7, v6 bitop3:0x40
	s_mov_b32 s19, exec_lo
	v_cmpx_gt_u32_e32 8, v39
; %bb.1844:                             ;   in Loop: Header=BB272_1066 Depth=1
	s_delay_alu instid0(VALU_DEP_2) | instskip(NEXT) | instid1(VALU_DEP_1)
	v_clz_i32_u32_e32 v36, v36
	v_min_u32_e32 v36, 32, v36
	s_delay_alu instid0(VALU_DEP_1) | instskip(NEXT) | instid1(VALU_DEP_1)
	v_subrev_nc_u32_e32 v38, 28, v36
	v_lshlrev_b64_e32 v[48:49], v38, v[6:7]
	v_sub_nc_u32_e32 v38, 29, v36
	s_delay_alu instid0(VALU_DEP_2)
	v_and_b32_e32 v36, 7, v48
; %bb.1845:                             ;   in Loop: Header=BB272_1066 Depth=1
	s_or_b32 exec_lo, exec_lo, s19
	s_delay_alu instid0(VALU_DEP_1) | instskip(NEXT) | instid1(VALU_DEP_3)
	v_dual_lshlrev_b32 v6, 8, v6 :: v_dual_lshlrev_b32 v36, 7, v36
	v_lshl_add_u32 v38, v38, 10, 0x2000
	s_delay_alu instid0(VALU_DEP_2) | instskip(NEXT) | instid1(VALU_DEP_2)
	v_and_b32_e32 v6, 0x8000, v6
	v_and_b32_e32 v38, 0xfc00, v38
	s_delay_alu instid0(VALU_DEP_1)
	v_or3_b32 v36, v6, v38, v36
.LBB272_1846:                           ;   in Loop: Header=BB272_1066 Depth=1
	s_or_b32 exec_lo, exec_lo, s18
.LBB272_1847:                           ;   in Loop: Header=BB272_1066 Depth=1
	s_delay_alu instid0(SALU_CYCLE_1)
	s_or_b32 exec_lo, exec_lo, s17
.LBB272_1848:                           ;   in Loop: Header=BB272_1066 Depth=1
	s_delay_alu instid0(SALU_CYCLE_1)
	s_or_b32 exec_lo, exec_lo, s16
	v_cmp_lt_u64_e64 s1, s[2:3], v[34:35]
	v_mov_b32_e32 v34, 0
	s_and_saveexec_b32 s16, s1
	s_cbranch_execz .LBB272_1856
; %bb.1849:                             ;   in Loop: Header=BB272_1066 Depth=1
	v_lshrrev_b32_e32 v6, 24, v35
	v_bfrev_b32_e32 v34, 1
	s_mov_b32 s17, exec_lo
	s_delay_alu instid0(VALU_DEP_2)
	v_cmpx_ne_u32_e32 0x80, v6
	s_cbranch_execz .LBB272_1855
; %bb.1850:                             ;   in Loop: Header=BB272_1066 Depth=1
	v_and_b32_e32 v38, 0x7f, v6
	v_mov_b32_e32 v34, 0x7c010000
	s_mov_b32 s18, exec_lo
	s_delay_alu instid0(VALU_DEP_2)
	v_cmpx_ne_u32_e32 0x7f, v38
	s_cbranch_execz .LBB272_1854
; %bb.1851:                             ;   in Loop: Header=BB272_1066 Depth=1
	v_and_b32_e32 v34, 7, v6
	v_lshrrev_b32_e32 v35, 3, v38
	s_mov_b32 s19, exec_lo
	v_cmpx_gt_u32_e32 8, v38
; %bb.1852:                             ;   in Loop: Header=BB272_1066 Depth=1
	s_delay_alu instid0(VALU_DEP_3) | instskip(NEXT) | instid1(VALU_DEP_1)
	v_clz_i32_u32_e32 v34, v34
	v_min_u32_e32 v38, 32, v34
	s_delay_alu instid0(VALU_DEP_1) | instskip(NEXT) | instid1(VALU_DEP_1)
	v_subrev_nc_u32_e32 v34, 28, v38
	v_lshlrev_b64_e32 v[34:35], v34, v[6:7]
	v_sub_nc_u32_e32 v35, 29, v38
	s_delay_alu instid0(VALU_DEP_2)
	v_and_b32_e32 v34, 7, v34
; %bb.1853:                             ;   in Loop: Header=BB272_1066 Depth=1
	s_or_b32 exec_lo, exec_lo, s19
	v_lshlrev_b32_e32 v6, 8, v6
	s_delay_alu instid0(VALU_DEP_3) | instskip(NEXT) | instid1(VALU_DEP_3)
	v_lshl_add_u32 v35, v35, 10, 0x2000
	v_lshlrev_b32_e32 v34, 23, v34
	s_delay_alu instid0(VALU_DEP_2) | instskip(NEXT) | instid1(VALU_DEP_1)
	v_and_or_b32 v6, 0x8000, v6, v35
	v_lshl_or_b32 v34, v6, 16, v34
.LBB272_1854:                           ;   in Loop: Header=BB272_1066 Depth=1
	s_or_b32 exec_lo, exec_lo, s18
.LBB272_1855:                           ;   in Loop: Header=BB272_1066 Depth=1
	s_delay_alu instid0(SALU_CYCLE_1)
	s_or_b32 exec_lo, exec_lo, s17
.LBB272_1856:                           ;   in Loop: Header=BB272_1066 Depth=1
	s_delay_alu instid0(SALU_CYCLE_1) | instskip(SKIP_3) | instid1(VALU_DEP_3)
	s_or_b32 exec_lo, exec_lo, s16
	v_dual_lshrrev_b32 v6, 16, v0 :: v_dual_lshrrev_b32 v35, 16, v17
	v_or_b32_e32 v38, v0, v1
	v_or_b32_e32 v17, v17, v18
	v_cvt_f32_f16_e32 v1, v6
	s_delay_alu instid0(VALU_DEP_4)
	v_cvt_f32_f16_e32 v0, v35
	v_dual_lshrrev_b32 v35, 16, v37 :: v_dual_bitop2_b32 v6, v34, v36 bitop3:0x54
	v_lshrrev_b32_e32 v34, 16, v34
	v_cvt_f32_f16_e32 v18, v17
	s_wait_loadcnt_dscnt 0x0
	v_pk_mul_f32 v[0:1], v[16:17], v[0:1] op_sel_hi:[0,1]
	v_or_b32_e32 v17, v37, v19
	v_cvt_f32_f16_e32 v19, v38
	v_cvt_f32_f16_e32 v35, v35
	;; [unrolled: 1-line block ×3, first 2 shown]
	s_delay_alu instid0(VALU_DEP_3) | instskip(NEXT) | instid1(VALU_DEP_1)
	v_pk_mul_f32 v[18:19], v[16:17], v[18:19] op_sel_hi:[0,1]
	v_cvt_pk_f16_f32 v18, v18, v19
	s_delay_alu instid0(VALU_DEP_1) | instskip(SKIP_4) | instid1(VALU_DEP_3)
	v_lshrrev_b32_e32 v49, 16, v18
	v_cvt_f32_f16_e32 v36, v6
	v_cvt_pk_f16_f32 v6, v0, v1
	v_pk_mul_f32 v[0:1], v[16:17], v[34:35] op_sel_hi:[0,1]
	v_and_b32_e32 v48, 0xffff, v18
	v_lshlrev_b32_e32 v34, 16, v6
	v_cvt_f32_f16_e32 v37, v17
	s_delay_alu instid0(VALU_DEP_4) | instskip(SKIP_1) | instid1(VALU_DEP_4)
	v_cvt_pk_f16_f32 v0, v0, v1
	v_and_b32_e32 v35, 0xffff0000, v6
	v_or_b32_e32 v38, v34, v48
	s_delay_alu instid0(VALU_DEP_4) | instskip(NEXT) | instid1(VALU_DEP_3)
	v_pk_mul_f32 v[16:17], v[16:17], v[36:37] op_sel_hi:[0,1]
	v_or_b32_e32 v39, v35, v49
	s_delay_alu instid0(VALU_DEP_2) | instskip(SKIP_1) | instid1(VALU_DEP_2)
	v_cvt_pk_f16_f32 v1, v16, v17
	v_and_b32_e32 v17, 0xffff0000, v0
	v_dual_lshlrev_b32 v6, 16, v0 :: v_dual_lshrrev_b32 v19, 16, v1
	v_and_b32_e32 v16, 0xffff, v1
	s_delay_alu instid0(VALU_DEP_2) | instskip(NEXT) | instid1(VALU_DEP_2)
	v_or_b32_e32 v37, v17, v19
	v_or_b32_e32 v36, v6, v16
	s_and_saveexec_b32 s16, vcc_lo
	s_cbranch_execz .LBB272_1858
; %bb.1857:                             ;   in Loop: Header=BB272_1066 Depth=1
	v_cmp_lt_i32_e64 s1, v66, v13
	s_delay_alu instid0(VALU_DEP_1) | instskip(SKIP_1) | instid1(VALU_DEP_1)
	v_cndmask_b32_e64 v0, 0, v49, s1
	v_cmp_lt_i32_e64 s1, v83, v12
	v_cndmask_b32_e64 v1, 0, v48, s1
	v_cmp_lt_i32_e64 s1, v82, v13
	s_delay_alu instid0(VALU_DEP_1) | instskip(SKIP_1) | instid1(VALU_DEP_1)
	v_cndmask_b32_e64 v18, 0, v35, s1
	v_cmp_lt_i32_e64 s1, v81, v12
	v_cndmask_b32_e64 v34, 0, v34, s1
	v_cmp_lt_i32_e64 s1, v80, v13
	s_delay_alu instid0(VALU_DEP_4) | instskip(NEXT) | instid1(VALU_DEP_2)
	v_or_b32_e32 v39, v0, v18
	v_dual_cndmask_b32 v19, 0, v19, s1 :: v_dual_bitop2_b32 v38, v1, v34 bitop3:0x54
	v_cmp_lt_i32_e64 s1, v71, v12
	s_delay_alu instid0(VALU_DEP_1) | instskip(SKIP_1) | instid1(VALU_DEP_1)
	v_cndmask_b32_e64 v16, 0, v16, s1
	v_cmp_lt_i32_e64 s1, v70, v13
	v_cndmask_b32_e64 v17, 0, v17, s1
	v_cmp_lt_i32_e64 s1, v69, v12
	s_delay_alu instid0(VALU_DEP_1) | instskip(NEXT) | instid1(VALU_DEP_1)
	v_dual_cndmask_b32 v6, 0, v6, s1 :: v_dual_bitop2_b32 v37, v19, v17 bitop3:0x54
	v_or_b32_e32 v36, v16, v6
.LBB272_1858:                           ;   in Loop: Header=BB272_1066 Depth=1
	s_or_b32 exec_lo, exec_lo, s16
	;;#ASMSTART
	v_pk_mul_f16 v0, v53, v39;

	;;#ASMEND
	;;#ASMSTART
	v_pk_mul_f16 v1, v52, v38;

	;;#ASMEND
	;; [unrolled: 4-line block ×4, first 2 shown]
	;;#ASMSTART
	v_pk_add_f16 v0, v0, v1;

	;;#ASMEND
	;;#ASMSTART
	v_pk_add_f16 v0, v0, v6;

	;;#ASMEND
	;; [unrolled: 4-line block ×3, first 2 shown]
	v_and_b32_e32 v1, 0xffff, v0
	v_lshrrev_b32_e32 v0, 16, v0
	;;#ASMSTART
	v_cvt_f32_f16 v41, v1;
	;;#ASMEND
	v_mov_b32_e32 v1, 0
	;;#ASMSTART
	v_cvt_f32_f16 v42, v0;
	;;#ASMEND
	flat_load_b64 v[34:35], v[10:11] offset:3072
	flat_load_b32 v16, v[22:23]
	v_mov_b32_e32 v0, 0
	s_mov_b32 s16, exec_lo
	s_wait_loadcnt_dscnt 0x101
	v_and_b32_e32 v6, 0xff, v34
	s_wait_xcnt 0x0
	s_delay_alu instid0(VALU_DEP_1)
	v_cmpx_ne_u16_e32 0, v6
	s_cbranch_execz .LBB272_1866
; %bb.1859:                             ;   in Loop: Header=BB272_1066 Depth=1
	v_mov_b32_e32 v1, 0x8000
	s_mov_b32 s17, exec_lo
	v_cmpx_ne_u16_e32 0x80, v6
	s_cbranch_execz .LBB272_1865
; %bb.1860:                             ;   in Loop: Header=BB272_1066 Depth=1
	v_and_b32_e32 v17, 0x7f, v34
	v_mov_b32_e32 v1, 0x7c01
	s_mov_b32 s18, exec_lo
	s_delay_alu instid0(VALU_DEP_2)
	v_cmpx_ne_u32_e32 0x7f, v17
	s_cbranch_execz .LBB272_1864
; %bb.1861:                             ;   in Loop: Header=BB272_1066 Depth=1
	v_dual_lshrrev_b32 v6, 3, v17 :: v_dual_bitop2_b32 v1, 7, v34 bitop3:0x40
	s_mov_b32 s19, exec_lo
	v_cmpx_gt_u32_e32 8, v17
; %bb.1862:                             ;   in Loop: Header=BB272_1066 Depth=1
	s_delay_alu instid0(VALU_DEP_2) | instskip(NEXT) | instid1(VALU_DEP_1)
	v_clz_i32_u32_e32 v1, v1
	v_min_u32_e32 v1, 32, v1
	s_delay_alu instid0(VALU_DEP_1) | instskip(NEXT) | instid1(VALU_DEP_1)
	v_subrev_nc_u32_e32 v6, 28, v1
	v_lshlrev_b64_e32 v[18:19], v6, v[34:35]
	s_delay_alu instid0(VALU_DEP_1)
	v_dual_sub_nc_u32 v6, 29, v1 :: v_dual_bitop2_b32 v1, 7, v18 bitop3:0x40
; %bb.1863:                             ;   in Loop: Header=BB272_1066 Depth=1
	s_or_b32 exec_lo, exec_lo, s19
	s_delay_alu instid0(VALU_DEP_1) | instskip(NEXT) | instid1(VALU_DEP_2)
	v_dual_lshlrev_b32 v17, 8, v34 :: v_dual_lshlrev_b32 v1, 7, v1
	v_lshl_add_u32 v6, v6, 10, 0x2000
	s_delay_alu instid0(VALU_DEP_2) | instskip(NEXT) | instid1(VALU_DEP_2)
	v_and_b32_e32 v17, 0x8000, v17
	v_and_b32_e32 v6, 0xfc00, v6
	s_delay_alu instid0(VALU_DEP_1)
	v_or3_b32 v1, v17, v6, v1
.LBB272_1864:                           ;   in Loop: Header=BB272_1066 Depth=1
	s_or_b32 exec_lo, exec_lo, s18
.LBB272_1865:                           ;   in Loop: Header=BB272_1066 Depth=1
	s_delay_alu instid0(SALU_CYCLE_1)
	s_or_b32 exec_lo, exec_lo, s17
.LBB272_1866:                           ;   in Loop: Header=BB272_1066 Depth=1
	s_delay_alu instid0(SALU_CYCLE_1) | instskip(SKIP_2) | instid1(VALU_DEP_1)
	s_or_b32 exec_lo, exec_lo, s16
	v_lshrrev_b16 v6, 8, v34
	s_mov_b32 s16, exec_lo
	v_cmpx_ne_u16_e32 0, v6
	s_cbranch_execz .LBB272_1874
; %bb.1867:                             ;   in Loop: Header=BB272_1066 Depth=1
	v_bfrev_b32_e32 v0, 1
	s_mov_b32 s17, exec_lo
	v_cmpx_ne_u16_e32 0x80, v6
	s_cbranch_execz .LBB272_1873
; %bb.1868:                             ;   in Loop: Header=BB272_1066 Depth=1
	v_and_b32_e32 v17, 0xffff, v6
	v_mov_b32_e32 v0, 0x7c010000
	s_mov_b32 s18, exec_lo
	s_delay_alu instid0(VALU_DEP_2) | instskip(NEXT) | instid1(VALU_DEP_1)
	v_and_b32_e32 v19, 0x7f, v17
	v_cmpx_ne_u32_e32 0x7f, v19
	s_cbranch_execz .LBB272_1872
; %bb.1869:                             ;   in Loop: Header=BB272_1066 Depth=1
	v_dual_lshrrev_b32 v18, 3, v19 :: v_dual_bitop2_b32 v0, 7, v17 bitop3:0x40
	s_mov_b32 s19, exec_lo
	v_cmpx_gt_u32_e32 8, v19
; %bb.1870:                             ;   in Loop: Header=BB272_1066 Depth=1
	s_delay_alu instid0(VALU_DEP_2) | instskip(NEXT) | instid1(VALU_DEP_1)
	v_clz_i32_u32_e32 v0, v0
	v_min_u32_e32 v0, 32, v0
	s_delay_alu instid0(VALU_DEP_1) | instskip(NEXT) | instid1(VALU_DEP_1)
	v_subrev_nc_u32_e32 v18, 28, v0
	v_lshlrev_b64_e32 v[36:37], v18, v[6:7]
	v_sub_nc_u32_e32 v18, 29, v0
	s_delay_alu instid0(VALU_DEP_2)
	v_and_b32_e32 v0, 7, v36
; %bb.1871:                             ;   in Loop: Header=BB272_1066 Depth=1
	s_or_b32 exec_lo, exec_lo, s19
	s_delay_alu instid0(VALU_DEP_1) | instskip(NEXT) | instid1(VALU_DEP_3)
	v_dual_lshlrev_b32 v6, 8, v17 :: v_dual_lshlrev_b32 v0, 23, v0
	v_lshl_add_u32 v17, v18, 10, 0x2000
	s_delay_alu instid0(VALU_DEP_1) | instskip(NEXT) | instid1(VALU_DEP_1)
	v_and_or_b32 v6, 0x8000, v6, v17
	v_lshl_or_b32 v0, v6, 16, v0
.LBB272_1872:                           ;   in Loop: Header=BB272_1066 Depth=1
	s_or_b32 exec_lo, exec_lo, s18
.LBB272_1873:                           ;   in Loop: Header=BB272_1066 Depth=1
	s_delay_alu instid0(SALU_CYCLE_1)
	s_or_b32 exec_lo, exec_lo, s17
.LBB272_1874:                           ;   in Loop: Header=BB272_1066 Depth=1
	s_delay_alu instid0(SALU_CYCLE_1) | instskip(SKIP_3) | instid1(VALU_DEP_2)
	s_or_b32 exec_lo, exec_lo, s16
	v_dual_mov_b32 v17, 0 :: v_dual_lshrrev_b32 v6, 16, v34
	v_mov_b32_e32 v18, 0
	s_mov_b32 s16, exec_lo
	v_and_b32_e32 v19, 0xff, v6
	s_delay_alu instid0(VALU_DEP_1)
	v_cmpx_ne_u16_e32 0, v19
	s_cbranch_execz .LBB272_1882
; %bb.1875:                             ;   in Loop: Header=BB272_1066 Depth=1
	v_mov_b32_e32 v18, 0x8000
	s_mov_b32 s17, exec_lo
	v_cmpx_ne_u16_e32 0x80, v19
	s_cbranch_execz .LBB272_1881
; %bb.1876:                             ;   in Loop: Header=BB272_1066 Depth=1
	v_bfe_u32 v36, v34, 16, 7
	v_mov_b32_e32 v18, 0x7c01
	s_mov_b32 s18, exec_lo
	s_delay_alu instid0(VALU_DEP_2)
	v_cmpx_ne_u32_e32 0x7f, v36
	s_cbranch_execz .LBB272_1880
; %bb.1877:                             ;   in Loop: Header=BB272_1066 Depth=1
	v_dual_lshrrev_b32 v19, 3, v36 :: v_dual_bitop2_b32 v18, 7, v6 bitop3:0x40
	s_mov_b32 s19, exec_lo
	v_cmpx_gt_u32_e32 8, v36
; %bb.1878:                             ;   in Loop: Header=BB272_1066 Depth=1
	s_delay_alu instid0(VALU_DEP_2) | instskip(NEXT) | instid1(VALU_DEP_1)
	v_clz_i32_u32_e32 v18, v18
	v_min_u32_e32 v36, 32, v18
	s_delay_alu instid0(VALU_DEP_1) | instskip(NEXT) | instid1(VALU_DEP_1)
	v_subrev_nc_u32_e32 v18, 28, v36
	v_lshlrev_b64_e32 v[18:19], v18, v[6:7]
	s_delay_alu instid0(VALU_DEP_1)
	v_dual_sub_nc_u32 v19, 29, v36 :: v_dual_bitop2_b32 v18, 7, v18 bitop3:0x40
; %bb.1879:                             ;   in Loop: Header=BB272_1066 Depth=1
	s_or_b32 exec_lo, exec_lo, s19
	v_lshlrev_b32_e32 v6, 8, v6
	s_delay_alu instid0(VALU_DEP_2) | instskip(NEXT) | instid1(VALU_DEP_3)
	v_lshl_add_u32 v19, v19, 10, 0x2000
	v_lshlrev_b32_e32 v18, 7, v18
	s_delay_alu instid0(VALU_DEP_3) | instskip(NEXT) | instid1(VALU_DEP_3)
	v_and_b32_e32 v6, 0x8000, v6
	v_and_b32_e32 v19, 0xfc00, v19
	s_delay_alu instid0(VALU_DEP_1)
	v_or3_b32 v18, v6, v19, v18
.LBB272_1880:                           ;   in Loop: Header=BB272_1066 Depth=1
	s_or_b32 exec_lo, exec_lo, s18
.LBB272_1881:                           ;   in Loop: Header=BB272_1066 Depth=1
	s_delay_alu instid0(SALU_CYCLE_1)
	s_or_b32 exec_lo, exec_lo, s17
.LBB272_1882:                           ;   in Loop: Header=BB272_1066 Depth=1
	s_delay_alu instid0(SALU_CYCLE_1) | instskip(NEXT) | instid1(SALU_CYCLE_1)
	s_or_b32 exec_lo, exec_lo, s16
	s_mov_b32 s16, exec_lo
	v_cmpx_lt_u32_e32 0xffffff, v34
	s_cbranch_execz .LBB272_1890
; %bb.1883:                             ;   in Loop: Header=BB272_1066 Depth=1
	v_lshrrev_b32_e32 v6, 24, v34
	v_bfrev_b32_e32 v17, 1
	s_mov_b32 s17, exec_lo
	s_delay_alu instid0(VALU_DEP_2)
	v_cmpx_ne_u32_e32 0x80, v6
	s_cbranch_execz .LBB272_1889
; %bb.1884:                             ;   in Loop: Header=BB272_1066 Depth=1
	v_and_b32_e32 v36, 0x7f, v6
	v_mov_b32_e32 v17, 0x7c010000
	s_mov_b32 s18, exec_lo
	s_delay_alu instid0(VALU_DEP_2)
	v_cmpx_ne_u32_e32 0x7f, v36
	s_cbranch_execz .LBB272_1888
; %bb.1885:                             ;   in Loop: Header=BB272_1066 Depth=1
	v_dual_lshrrev_b32 v19, 3, v36 :: v_dual_bitop2_b32 v17, 7, v6 bitop3:0x40
	s_mov_b32 s19, exec_lo
	v_cmpx_gt_u32_e32 8, v36
; %bb.1886:                             ;   in Loop: Header=BB272_1066 Depth=1
	s_delay_alu instid0(VALU_DEP_2) | instskip(NEXT) | instid1(VALU_DEP_1)
	v_clz_i32_u32_e32 v17, v17
	v_min_u32_e32 v17, 32, v17
	s_delay_alu instid0(VALU_DEP_1) | instskip(NEXT) | instid1(VALU_DEP_1)
	v_subrev_nc_u32_e32 v19, 28, v17
	v_lshlrev_b64_e32 v[36:37], v19, v[6:7]
	s_delay_alu instid0(VALU_DEP_1)
	v_dual_sub_nc_u32 v19, 29, v17 :: v_dual_bitop2_b32 v17, 7, v36 bitop3:0x40
; %bb.1887:                             ;   in Loop: Header=BB272_1066 Depth=1
	s_or_b32 exec_lo, exec_lo, s19
	s_delay_alu instid0(VALU_DEP_1) | instskip(NEXT) | instid1(VALU_DEP_2)
	v_dual_lshlrev_b32 v6, 8, v6 :: v_dual_lshlrev_b32 v17, 23, v17
	v_lshl_add_u32 v19, v19, 10, 0x2000
	s_delay_alu instid0(VALU_DEP_1) | instskip(NEXT) | instid1(VALU_DEP_1)
	v_and_or_b32 v6, 0x8000, v6, v19
	v_lshl_or_b32 v17, v6, 16, v17
.LBB272_1888:                           ;   in Loop: Header=BB272_1066 Depth=1
	s_or_b32 exec_lo, exec_lo, s18
.LBB272_1889:                           ;   in Loop: Header=BB272_1066 Depth=1
	s_delay_alu instid0(SALU_CYCLE_1)
	s_or_b32 exec_lo, exec_lo, s17
.LBB272_1890:                           ;   in Loop: Header=BB272_1066 Depth=1
	s_delay_alu instid0(SALU_CYCLE_1) | instskip(SKIP_4) | instid1(VALU_DEP_3)
	s_or_b32 exec_lo, exec_lo, s16
	v_and_b32_e32 v37, 0xff, v35
	v_dual_mov_b32 v6, v35 :: v_dual_mov_b32 v36, 0
	v_mov_b32_e32 v19, 0
	s_mov_b32 s16, exec_lo
	v_cmpx_ne_u16_e32 0, v37
	s_cbranch_execz .LBB272_1898
; %bb.1891:                             ;   in Loop: Header=BB272_1066 Depth=1
	v_mov_b32_e32 v19, 0x8000
	s_mov_b32 s17, exec_lo
	v_cmpx_ne_u16_e32 0x80, v37
	s_cbranch_execz .LBB272_1897
; %bb.1892:                             ;   in Loop: Header=BB272_1066 Depth=1
	v_and_b32_e32 v38, 0x7f, v35
	v_mov_b32_e32 v19, 0x7c01
	s_mov_b32 s18, exec_lo
	s_delay_alu instid0(VALU_DEP_2)
	v_cmpx_ne_u32_e32 0x7f, v38
	s_cbranch_execz .LBB272_1896
; %bb.1893:                             ;   in Loop: Header=BB272_1066 Depth=1
	v_dual_lshrrev_b32 v37, 3, v38 :: v_dual_bitop2_b32 v19, 7, v35 bitop3:0x40
	s_mov_b32 s19, exec_lo
	v_cmpx_gt_u32_e32 8, v38
; %bb.1894:                             ;   in Loop: Header=BB272_1066 Depth=1
	s_delay_alu instid0(VALU_DEP_2) | instskip(NEXT) | instid1(VALU_DEP_1)
	v_clz_i32_u32_e32 v19, v19
	v_min_u32_e32 v19, 32, v19
	s_delay_alu instid0(VALU_DEP_1) | instskip(NEXT) | instid1(VALU_DEP_1)
	v_subrev_nc_u32_e32 v37, 28, v19
	v_lshlrev_b64_e32 v[38:39], v37, v[6:7]
	s_delay_alu instid0(VALU_DEP_1)
	v_dual_sub_nc_u32 v37, 29, v19 :: v_dual_bitop2_b32 v19, 7, v38 bitop3:0x40
; %bb.1895:                             ;   in Loop: Header=BB272_1066 Depth=1
	s_or_b32 exec_lo, exec_lo, s19
	v_lshlrev_b32_e32 v38, 8, v35
	s_delay_alu instid0(VALU_DEP_2) | instskip(NEXT) | instid1(VALU_DEP_3)
	v_lshl_add_u32 v37, v37, 10, 0x2000
	v_lshlrev_b32_e32 v19, 7, v19
	s_delay_alu instid0(VALU_DEP_3) | instskip(NEXT) | instid1(VALU_DEP_3)
	v_and_b32_e32 v38, 0x8000, v38
	v_and_b32_e32 v37, 0xfc00, v37
	s_delay_alu instid0(VALU_DEP_1)
	v_or3_b32 v19, v38, v37, v19
.LBB272_1896:                           ;   in Loop: Header=BB272_1066 Depth=1
	s_or_b32 exec_lo, exec_lo, s18
.LBB272_1897:                           ;   in Loop: Header=BB272_1066 Depth=1
	s_delay_alu instid0(SALU_CYCLE_1)
	s_or_b32 exec_lo, exec_lo, s17
.LBB272_1898:                           ;   in Loop: Header=BB272_1066 Depth=1
	s_delay_alu instid0(SALU_CYCLE_1) | instskip(SKIP_3) | instid1(VALU_DEP_2)
	s_or_b32 exec_lo, exec_lo, s16
	v_lshrrev_b16 v6, 8, v6
	v_mov_b32_e32 v37, 0
	s_mov_b32 s16, exec_lo
	v_cmpx_ne_u16_e32 0, v6
	s_cbranch_execz .LBB272_1906
; %bb.1899:                             ;   in Loop: Header=BB272_1066 Depth=1
	v_bfrev_b32_e32 v37, 1
	s_mov_b32 s17, exec_lo
	v_cmpx_ne_u16_e32 0x80, v6
	s_cbranch_execz .LBB272_1905
; %bb.1900:                             ;   in Loop: Header=BB272_1066 Depth=1
	v_and_b32_e32 v38, 0xffff, v6
	v_mov_b32_e32 v37, 0x7c010000
	s_mov_b32 s18, exec_lo
	s_delay_alu instid0(VALU_DEP_2) | instskip(NEXT) | instid1(VALU_DEP_1)
	v_and_b32_e32 v48, 0x7f, v38
	v_cmpx_ne_u32_e32 0x7f, v48
	s_cbranch_execz .LBB272_1904
; %bb.1901:                             ;   in Loop: Header=BB272_1066 Depth=1
	v_dual_lshrrev_b32 v39, 3, v48 :: v_dual_bitop2_b32 v37, 7, v38 bitop3:0x40
	s_mov_b32 s19, exec_lo
	v_cmpx_gt_u32_e32 8, v48
; %bb.1902:                             ;   in Loop: Header=BB272_1066 Depth=1
	s_delay_alu instid0(VALU_DEP_2) | instskip(NEXT) | instid1(VALU_DEP_1)
	v_clz_i32_u32_e32 v37, v37
	v_min_u32_e32 v37, 32, v37
	s_delay_alu instid0(VALU_DEP_1) | instskip(NEXT) | instid1(VALU_DEP_1)
	v_subrev_nc_u32_e32 v39, 28, v37
	v_lshlrev_b64_e32 v[48:49], v39, v[6:7]
	s_delay_alu instid0(VALU_DEP_1)
	v_dual_sub_nc_u32 v39, 29, v37 :: v_dual_bitop2_b32 v37, 7, v48 bitop3:0x40
; %bb.1903:                             ;   in Loop: Header=BB272_1066 Depth=1
	s_or_b32 exec_lo, exec_lo, s19
	s_delay_alu instid0(VALU_DEP_1) | instskip(NEXT) | instid1(VALU_DEP_2)
	v_dual_lshlrev_b32 v6, 8, v38 :: v_dual_lshlrev_b32 v37, 23, v37
	v_lshl_add_u32 v38, v39, 10, 0x2000
	s_delay_alu instid0(VALU_DEP_1) | instskip(NEXT) | instid1(VALU_DEP_1)
	v_and_or_b32 v6, 0x8000, v6, v38
	v_lshl_or_b32 v37, v6, 16, v37
.LBB272_1904:                           ;   in Loop: Header=BB272_1066 Depth=1
	s_or_b32 exec_lo, exec_lo, s18
.LBB272_1905:                           ;   in Loop: Header=BB272_1066 Depth=1
	s_delay_alu instid0(SALU_CYCLE_1)
	s_or_b32 exec_lo, exec_lo, s17
.LBB272_1906:                           ;   in Loop: Header=BB272_1066 Depth=1
	s_delay_alu instid0(SALU_CYCLE_1) | instskip(SKIP_2) | instid1(VALU_DEP_1)
	s_or_b32 exec_lo, exec_lo, s16
	v_lshrrev_b32_e32 v6, 16, v35
	s_mov_b32 s16, exec_lo
	v_and_b32_e32 v38, 0xff, v6
	s_delay_alu instid0(VALU_DEP_1)
	v_cmpx_ne_u16_e32 0, v38
	s_cbranch_execz .LBB272_1914
; %bb.1907:                             ;   in Loop: Header=BB272_1066 Depth=1
	v_mov_b32_e32 v36, 0x8000
	s_mov_b32 s17, exec_lo
	v_cmpx_ne_u16_e32 0x80, v38
	s_cbranch_execz .LBB272_1913
; %bb.1908:                             ;   in Loop: Header=BB272_1066 Depth=1
	v_bfe_u32 v39, v35, 16, 7
	v_mov_b32_e32 v36, 0x7c01
	s_mov_b32 s18, exec_lo
	s_delay_alu instid0(VALU_DEP_2)
	v_cmpx_ne_u32_e32 0x7f, v39
	s_cbranch_execz .LBB272_1912
; %bb.1909:                             ;   in Loop: Header=BB272_1066 Depth=1
	v_dual_lshrrev_b32 v38, 3, v39 :: v_dual_bitop2_b32 v36, 7, v6 bitop3:0x40
	s_mov_b32 s19, exec_lo
	v_cmpx_gt_u32_e32 8, v39
; %bb.1910:                             ;   in Loop: Header=BB272_1066 Depth=1
	s_delay_alu instid0(VALU_DEP_2) | instskip(NEXT) | instid1(VALU_DEP_1)
	v_clz_i32_u32_e32 v36, v36
	v_min_u32_e32 v36, 32, v36
	s_delay_alu instid0(VALU_DEP_1) | instskip(NEXT) | instid1(VALU_DEP_1)
	v_subrev_nc_u32_e32 v38, 28, v36
	v_lshlrev_b64_e32 v[48:49], v38, v[6:7]
	v_sub_nc_u32_e32 v38, 29, v36
	s_delay_alu instid0(VALU_DEP_2)
	v_and_b32_e32 v36, 7, v48
; %bb.1911:                             ;   in Loop: Header=BB272_1066 Depth=1
	s_or_b32 exec_lo, exec_lo, s19
	s_delay_alu instid0(VALU_DEP_1) | instskip(NEXT) | instid1(VALU_DEP_3)
	v_dual_lshlrev_b32 v6, 8, v6 :: v_dual_lshlrev_b32 v36, 7, v36
	v_lshl_add_u32 v38, v38, 10, 0x2000
	s_delay_alu instid0(VALU_DEP_2) | instskip(NEXT) | instid1(VALU_DEP_2)
	v_and_b32_e32 v6, 0x8000, v6
	v_and_b32_e32 v38, 0xfc00, v38
	s_delay_alu instid0(VALU_DEP_1)
	v_or3_b32 v36, v6, v38, v36
.LBB272_1912:                           ;   in Loop: Header=BB272_1066 Depth=1
	s_or_b32 exec_lo, exec_lo, s18
.LBB272_1913:                           ;   in Loop: Header=BB272_1066 Depth=1
	s_delay_alu instid0(SALU_CYCLE_1)
	s_or_b32 exec_lo, exec_lo, s17
.LBB272_1914:                           ;   in Loop: Header=BB272_1066 Depth=1
	s_delay_alu instid0(SALU_CYCLE_1)
	s_or_b32 exec_lo, exec_lo, s16
	v_cmp_lt_u64_e64 s1, s[2:3], v[34:35]
	v_mov_b32_e32 v34, 0
	s_and_saveexec_b32 s16, s1
	s_cbranch_execz .LBB272_1922
; %bb.1915:                             ;   in Loop: Header=BB272_1066 Depth=1
	v_lshrrev_b32_e32 v6, 24, v35
	v_bfrev_b32_e32 v34, 1
	s_mov_b32 s17, exec_lo
	s_delay_alu instid0(VALU_DEP_2)
	v_cmpx_ne_u32_e32 0x80, v6
	s_cbranch_execz .LBB272_1921
; %bb.1916:                             ;   in Loop: Header=BB272_1066 Depth=1
	v_and_b32_e32 v38, 0x7f, v6
	v_mov_b32_e32 v34, 0x7c010000
	s_mov_b32 s18, exec_lo
	s_delay_alu instid0(VALU_DEP_2)
	v_cmpx_ne_u32_e32 0x7f, v38
	s_cbranch_execz .LBB272_1920
; %bb.1917:                             ;   in Loop: Header=BB272_1066 Depth=1
	v_and_b32_e32 v34, 7, v6
	v_lshrrev_b32_e32 v35, 3, v38
	s_mov_b32 s19, exec_lo
	v_cmpx_gt_u32_e32 8, v38
; %bb.1918:                             ;   in Loop: Header=BB272_1066 Depth=1
	s_delay_alu instid0(VALU_DEP_3) | instskip(NEXT) | instid1(VALU_DEP_1)
	v_clz_i32_u32_e32 v34, v34
	v_min_u32_e32 v38, 32, v34
	s_delay_alu instid0(VALU_DEP_1) | instskip(NEXT) | instid1(VALU_DEP_1)
	v_subrev_nc_u32_e32 v34, 28, v38
	v_lshlrev_b64_e32 v[34:35], v34, v[6:7]
	v_sub_nc_u32_e32 v35, 29, v38
	s_delay_alu instid0(VALU_DEP_2)
	v_and_b32_e32 v34, 7, v34
; %bb.1919:                             ;   in Loop: Header=BB272_1066 Depth=1
	s_or_b32 exec_lo, exec_lo, s19
	v_lshlrev_b32_e32 v6, 8, v6
	s_delay_alu instid0(VALU_DEP_3) | instskip(NEXT) | instid1(VALU_DEP_3)
	v_lshl_add_u32 v35, v35, 10, 0x2000
	v_lshlrev_b32_e32 v34, 23, v34
	s_delay_alu instid0(VALU_DEP_2) | instskip(NEXT) | instid1(VALU_DEP_1)
	v_and_or_b32 v6, 0x8000, v6, v35
	v_lshl_or_b32 v34, v6, 16, v34
.LBB272_1920:                           ;   in Loop: Header=BB272_1066 Depth=1
	s_or_b32 exec_lo, exec_lo, s18
.LBB272_1921:                           ;   in Loop: Header=BB272_1066 Depth=1
	s_delay_alu instid0(SALU_CYCLE_1)
	s_or_b32 exec_lo, exec_lo, s17
.LBB272_1922:                           ;   in Loop: Header=BB272_1066 Depth=1
	s_delay_alu instid0(SALU_CYCLE_1) | instskip(SKIP_3) | instid1(VALU_DEP_3)
	s_or_b32 exec_lo, exec_lo, s16
	v_dual_lshrrev_b32 v6, 16, v0 :: v_dual_lshrrev_b32 v35, 16, v17
	v_or_b32_e32 v38, v0, v1
	v_or_b32_e32 v17, v17, v18
	v_cvt_f32_f16_e32 v1, v6
	s_delay_alu instid0(VALU_DEP_4)
	v_cvt_f32_f16_e32 v0, v35
	v_dual_lshrrev_b32 v35, 16, v37 :: v_dual_bitop2_b32 v6, v34, v36 bitop3:0x54
	v_lshrrev_b32_e32 v34, 16, v34
	v_cvt_f32_f16_e32 v18, v17
	s_wait_loadcnt_dscnt 0x0
	v_pk_mul_f32 v[0:1], v[16:17], v[0:1] op_sel_hi:[0,1]
	v_or_b32_e32 v17, v37, v19
	v_cvt_f32_f16_e32 v19, v38
	v_cvt_f32_f16_e32 v35, v35
	;; [unrolled: 1-line block ×3, first 2 shown]
	s_delay_alu instid0(VALU_DEP_3) | instskip(NEXT) | instid1(VALU_DEP_1)
	v_pk_mul_f32 v[18:19], v[16:17], v[18:19] op_sel_hi:[0,1]
	v_cvt_pk_f16_f32 v18, v18, v19
	s_delay_alu instid0(VALU_DEP_1) | instskip(SKIP_4) | instid1(VALU_DEP_3)
	v_lshrrev_b32_e32 v49, 16, v18
	v_cvt_f32_f16_e32 v36, v6
	v_cvt_pk_f16_f32 v6, v0, v1
	v_pk_mul_f32 v[0:1], v[16:17], v[34:35] op_sel_hi:[0,1]
	v_and_b32_e32 v48, 0xffff, v18
	v_lshlrev_b32_e32 v34, 16, v6
	v_cvt_f32_f16_e32 v37, v17
	s_delay_alu instid0(VALU_DEP_4) | instskip(SKIP_1) | instid1(VALU_DEP_4)
	v_cvt_pk_f16_f32 v0, v0, v1
	v_and_b32_e32 v35, 0xffff0000, v6
	v_or_b32_e32 v38, v34, v48
	s_delay_alu instid0(VALU_DEP_4) | instskip(NEXT) | instid1(VALU_DEP_3)
	v_pk_mul_f32 v[16:17], v[16:17], v[36:37] op_sel_hi:[0,1]
	v_or_b32_e32 v39, v35, v49
	s_delay_alu instid0(VALU_DEP_2) | instskip(SKIP_1) | instid1(VALU_DEP_2)
	v_cvt_pk_f16_f32 v1, v16, v17
	v_and_b32_e32 v17, 0xffff0000, v0
	v_dual_lshlrev_b32 v6, 16, v0 :: v_dual_lshrrev_b32 v19, 16, v1
	v_and_b32_e32 v16, 0xffff, v1
	s_delay_alu instid0(VALU_DEP_2) | instskip(NEXT) | instid1(VALU_DEP_2)
	v_or_b32_e32 v37, v17, v19
	v_or_b32_e32 v36, v6, v16
	s_and_saveexec_b32 s16, vcc_lo
	s_cbranch_execz .LBB272_1924
; %bb.1923:                             ;   in Loop: Header=BB272_1066 Depth=1
	v_cmp_lt_i32_e64 s1, v66, v13
	s_delay_alu instid0(VALU_DEP_1) | instskip(SKIP_1) | instid1(VALU_DEP_1)
	v_cndmask_b32_e64 v0, 0, v49, s1
	v_cmp_lt_i32_e64 s1, v83, v12
	v_cndmask_b32_e64 v1, 0, v48, s1
	v_cmp_lt_i32_e64 s1, v82, v13
	s_delay_alu instid0(VALU_DEP_1) | instskip(SKIP_1) | instid1(VALU_DEP_1)
	v_cndmask_b32_e64 v18, 0, v35, s1
	v_cmp_lt_i32_e64 s1, v81, v12
	v_cndmask_b32_e64 v34, 0, v34, s1
	v_cmp_lt_i32_e64 s1, v80, v13
	s_delay_alu instid0(VALU_DEP_4) | instskip(NEXT) | instid1(VALU_DEP_2)
	v_or_b32_e32 v39, v0, v18
	v_dual_cndmask_b32 v19, 0, v19, s1 :: v_dual_bitop2_b32 v38, v1, v34 bitop3:0x54
	v_cmp_lt_i32_e64 s1, v71, v12
	s_delay_alu instid0(VALU_DEP_1) | instskip(SKIP_1) | instid1(VALU_DEP_1)
	v_cndmask_b32_e64 v16, 0, v16, s1
	v_cmp_lt_i32_e64 s1, v70, v13
	v_cndmask_b32_e64 v17, 0, v17, s1
	v_cmp_lt_i32_e64 s1, v69, v12
	s_delay_alu instid0(VALU_DEP_1) | instskip(NEXT) | instid1(VALU_DEP_1)
	v_dual_cndmask_b32 v6, 0, v6, s1 :: v_dual_bitop2_b32 v37, v19, v17 bitop3:0x54
	v_or_b32_e32 v36, v16, v6
.LBB272_1924:                           ;   in Loop: Header=BB272_1066 Depth=1
	s_or_b32 exec_lo, exec_lo, s16
	;;#ASMSTART
	v_pk_mul_f16 v0, v53, v39;

	;;#ASMEND
	;;#ASMSTART
	v_pk_mul_f16 v1, v52, v38;

	;;#ASMEND
	;;#ASMSTART
	v_pk_mul_f16 v6, v51, v37;

	;;#ASMEND
	;;#ASMSTART
	v_pk_mul_f16 v16, v50, v36;

	;;#ASMEND
	;;#ASMSTART
	v_pk_add_f16 v0, v0, v1;

	;;#ASMEND
	;;#ASMSTART
	v_pk_add_f16 v0, v0, v6;

	;;#ASMEND
	;; [unrolled: 4-line block ×3, first 2 shown]
	v_and_b32_e32 v1, 0xffff, v0
	v_lshrrev_b32_e32 v0, 16, v0
	;;#ASMSTART
	v_cvt_f32_f16 v43, v1;
	;;#ASMEND
	v_mov_b32_e32 v1, 0
	;;#ASMSTART
	v_cvt_f32_f16 v44, v0;
	;;#ASMEND
	flat_load_b64 v[34:35], v[10:11] offset:3328
	flat_load_b32 v16, v[22:23]
	v_mov_b32_e32 v0, 0
	s_mov_b32 s16, exec_lo
	s_wait_loadcnt_dscnt 0x101
	v_and_b32_e32 v6, 0xff, v34
	s_wait_xcnt 0x0
	s_delay_alu instid0(VALU_DEP_1)
	v_cmpx_ne_u16_e32 0, v6
	s_cbranch_execz .LBB272_1932
; %bb.1925:                             ;   in Loop: Header=BB272_1066 Depth=1
	v_mov_b32_e32 v1, 0x8000
	s_mov_b32 s17, exec_lo
	v_cmpx_ne_u16_e32 0x80, v6
	s_cbranch_execz .LBB272_1931
; %bb.1926:                             ;   in Loop: Header=BB272_1066 Depth=1
	v_and_b32_e32 v17, 0x7f, v34
	v_mov_b32_e32 v1, 0x7c01
	s_mov_b32 s18, exec_lo
	s_delay_alu instid0(VALU_DEP_2)
	v_cmpx_ne_u32_e32 0x7f, v17
	s_cbranch_execz .LBB272_1930
; %bb.1927:                             ;   in Loop: Header=BB272_1066 Depth=1
	v_dual_lshrrev_b32 v6, 3, v17 :: v_dual_bitop2_b32 v1, 7, v34 bitop3:0x40
	s_mov_b32 s19, exec_lo
	v_cmpx_gt_u32_e32 8, v17
; %bb.1928:                             ;   in Loop: Header=BB272_1066 Depth=1
	s_delay_alu instid0(VALU_DEP_2) | instskip(NEXT) | instid1(VALU_DEP_1)
	v_clz_i32_u32_e32 v1, v1
	v_min_u32_e32 v1, 32, v1
	s_delay_alu instid0(VALU_DEP_1) | instskip(NEXT) | instid1(VALU_DEP_1)
	v_subrev_nc_u32_e32 v6, 28, v1
	v_lshlrev_b64_e32 v[18:19], v6, v[34:35]
	s_delay_alu instid0(VALU_DEP_1)
	v_dual_sub_nc_u32 v6, 29, v1 :: v_dual_bitop2_b32 v1, 7, v18 bitop3:0x40
; %bb.1929:                             ;   in Loop: Header=BB272_1066 Depth=1
	s_or_b32 exec_lo, exec_lo, s19
	s_delay_alu instid0(VALU_DEP_1) | instskip(NEXT) | instid1(VALU_DEP_2)
	v_dual_lshlrev_b32 v17, 8, v34 :: v_dual_lshlrev_b32 v1, 7, v1
	v_lshl_add_u32 v6, v6, 10, 0x2000
	s_delay_alu instid0(VALU_DEP_2) | instskip(NEXT) | instid1(VALU_DEP_2)
	v_and_b32_e32 v17, 0x8000, v17
	v_and_b32_e32 v6, 0xfc00, v6
	s_delay_alu instid0(VALU_DEP_1)
	v_or3_b32 v1, v17, v6, v1
.LBB272_1930:                           ;   in Loop: Header=BB272_1066 Depth=1
	s_or_b32 exec_lo, exec_lo, s18
.LBB272_1931:                           ;   in Loop: Header=BB272_1066 Depth=1
	s_delay_alu instid0(SALU_CYCLE_1)
	s_or_b32 exec_lo, exec_lo, s17
.LBB272_1932:                           ;   in Loop: Header=BB272_1066 Depth=1
	s_delay_alu instid0(SALU_CYCLE_1) | instskip(SKIP_2) | instid1(VALU_DEP_1)
	s_or_b32 exec_lo, exec_lo, s16
	v_lshrrev_b16 v6, 8, v34
	s_mov_b32 s16, exec_lo
	v_cmpx_ne_u16_e32 0, v6
	s_cbranch_execz .LBB272_1940
; %bb.1933:                             ;   in Loop: Header=BB272_1066 Depth=1
	v_bfrev_b32_e32 v0, 1
	s_mov_b32 s17, exec_lo
	v_cmpx_ne_u16_e32 0x80, v6
	s_cbranch_execz .LBB272_1939
; %bb.1934:                             ;   in Loop: Header=BB272_1066 Depth=1
	v_and_b32_e32 v17, 0xffff, v6
	v_mov_b32_e32 v0, 0x7c010000
	s_mov_b32 s18, exec_lo
	s_delay_alu instid0(VALU_DEP_2) | instskip(NEXT) | instid1(VALU_DEP_1)
	v_and_b32_e32 v19, 0x7f, v17
	v_cmpx_ne_u32_e32 0x7f, v19
	s_cbranch_execz .LBB272_1938
; %bb.1935:                             ;   in Loop: Header=BB272_1066 Depth=1
	v_dual_lshrrev_b32 v18, 3, v19 :: v_dual_bitop2_b32 v0, 7, v17 bitop3:0x40
	s_mov_b32 s19, exec_lo
	v_cmpx_gt_u32_e32 8, v19
; %bb.1936:                             ;   in Loop: Header=BB272_1066 Depth=1
	s_delay_alu instid0(VALU_DEP_2) | instskip(NEXT) | instid1(VALU_DEP_1)
	v_clz_i32_u32_e32 v0, v0
	v_min_u32_e32 v0, 32, v0
	s_delay_alu instid0(VALU_DEP_1) | instskip(NEXT) | instid1(VALU_DEP_1)
	v_subrev_nc_u32_e32 v18, 28, v0
	v_lshlrev_b64_e32 v[36:37], v18, v[6:7]
	v_sub_nc_u32_e32 v18, 29, v0
	s_delay_alu instid0(VALU_DEP_2)
	v_and_b32_e32 v0, 7, v36
; %bb.1937:                             ;   in Loop: Header=BB272_1066 Depth=1
	s_or_b32 exec_lo, exec_lo, s19
	s_delay_alu instid0(VALU_DEP_1) | instskip(NEXT) | instid1(VALU_DEP_3)
	v_dual_lshlrev_b32 v6, 8, v17 :: v_dual_lshlrev_b32 v0, 23, v0
	v_lshl_add_u32 v17, v18, 10, 0x2000
	s_delay_alu instid0(VALU_DEP_1) | instskip(NEXT) | instid1(VALU_DEP_1)
	v_and_or_b32 v6, 0x8000, v6, v17
	v_lshl_or_b32 v0, v6, 16, v0
.LBB272_1938:                           ;   in Loop: Header=BB272_1066 Depth=1
	s_or_b32 exec_lo, exec_lo, s18
.LBB272_1939:                           ;   in Loop: Header=BB272_1066 Depth=1
	s_delay_alu instid0(SALU_CYCLE_1)
	s_or_b32 exec_lo, exec_lo, s17
.LBB272_1940:                           ;   in Loop: Header=BB272_1066 Depth=1
	s_delay_alu instid0(SALU_CYCLE_1) | instskip(SKIP_3) | instid1(VALU_DEP_2)
	s_or_b32 exec_lo, exec_lo, s16
	v_dual_mov_b32 v17, 0 :: v_dual_lshrrev_b32 v6, 16, v34
	v_mov_b32_e32 v18, 0
	s_mov_b32 s16, exec_lo
	v_and_b32_e32 v19, 0xff, v6
	s_delay_alu instid0(VALU_DEP_1)
	v_cmpx_ne_u16_e32 0, v19
	s_cbranch_execz .LBB272_1948
; %bb.1941:                             ;   in Loop: Header=BB272_1066 Depth=1
	v_mov_b32_e32 v18, 0x8000
	s_mov_b32 s17, exec_lo
	v_cmpx_ne_u16_e32 0x80, v19
	s_cbranch_execz .LBB272_1947
; %bb.1942:                             ;   in Loop: Header=BB272_1066 Depth=1
	v_bfe_u32 v36, v34, 16, 7
	v_mov_b32_e32 v18, 0x7c01
	s_mov_b32 s18, exec_lo
	s_delay_alu instid0(VALU_DEP_2)
	v_cmpx_ne_u32_e32 0x7f, v36
	s_cbranch_execz .LBB272_1946
; %bb.1943:                             ;   in Loop: Header=BB272_1066 Depth=1
	v_dual_lshrrev_b32 v19, 3, v36 :: v_dual_bitop2_b32 v18, 7, v6 bitop3:0x40
	s_mov_b32 s19, exec_lo
	v_cmpx_gt_u32_e32 8, v36
; %bb.1944:                             ;   in Loop: Header=BB272_1066 Depth=1
	s_delay_alu instid0(VALU_DEP_2) | instskip(NEXT) | instid1(VALU_DEP_1)
	v_clz_i32_u32_e32 v18, v18
	v_min_u32_e32 v36, 32, v18
	s_delay_alu instid0(VALU_DEP_1) | instskip(NEXT) | instid1(VALU_DEP_1)
	v_subrev_nc_u32_e32 v18, 28, v36
	v_lshlrev_b64_e32 v[18:19], v18, v[6:7]
	s_delay_alu instid0(VALU_DEP_1)
	v_dual_sub_nc_u32 v19, 29, v36 :: v_dual_bitop2_b32 v18, 7, v18 bitop3:0x40
; %bb.1945:                             ;   in Loop: Header=BB272_1066 Depth=1
	s_or_b32 exec_lo, exec_lo, s19
	v_lshlrev_b32_e32 v6, 8, v6
	s_delay_alu instid0(VALU_DEP_2) | instskip(NEXT) | instid1(VALU_DEP_3)
	v_lshl_add_u32 v19, v19, 10, 0x2000
	v_lshlrev_b32_e32 v18, 7, v18
	s_delay_alu instid0(VALU_DEP_3) | instskip(NEXT) | instid1(VALU_DEP_3)
	v_and_b32_e32 v6, 0x8000, v6
	v_and_b32_e32 v19, 0xfc00, v19
	s_delay_alu instid0(VALU_DEP_1)
	v_or3_b32 v18, v6, v19, v18
.LBB272_1946:                           ;   in Loop: Header=BB272_1066 Depth=1
	s_or_b32 exec_lo, exec_lo, s18
.LBB272_1947:                           ;   in Loop: Header=BB272_1066 Depth=1
	s_delay_alu instid0(SALU_CYCLE_1)
	s_or_b32 exec_lo, exec_lo, s17
.LBB272_1948:                           ;   in Loop: Header=BB272_1066 Depth=1
	s_delay_alu instid0(SALU_CYCLE_1) | instskip(NEXT) | instid1(SALU_CYCLE_1)
	s_or_b32 exec_lo, exec_lo, s16
	s_mov_b32 s16, exec_lo
	v_cmpx_lt_u32_e32 0xffffff, v34
	s_cbranch_execz .LBB272_1956
; %bb.1949:                             ;   in Loop: Header=BB272_1066 Depth=1
	v_lshrrev_b32_e32 v6, 24, v34
	v_bfrev_b32_e32 v17, 1
	s_mov_b32 s17, exec_lo
	s_delay_alu instid0(VALU_DEP_2)
	v_cmpx_ne_u32_e32 0x80, v6
	s_cbranch_execz .LBB272_1955
; %bb.1950:                             ;   in Loop: Header=BB272_1066 Depth=1
	v_and_b32_e32 v36, 0x7f, v6
	v_mov_b32_e32 v17, 0x7c010000
	s_mov_b32 s18, exec_lo
	s_delay_alu instid0(VALU_DEP_2)
	v_cmpx_ne_u32_e32 0x7f, v36
	s_cbranch_execz .LBB272_1954
; %bb.1951:                             ;   in Loop: Header=BB272_1066 Depth=1
	v_dual_lshrrev_b32 v19, 3, v36 :: v_dual_bitop2_b32 v17, 7, v6 bitop3:0x40
	s_mov_b32 s19, exec_lo
	v_cmpx_gt_u32_e32 8, v36
; %bb.1952:                             ;   in Loop: Header=BB272_1066 Depth=1
	s_delay_alu instid0(VALU_DEP_2) | instskip(NEXT) | instid1(VALU_DEP_1)
	v_clz_i32_u32_e32 v17, v17
	v_min_u32_e32 v17, 32, v17
	s_delay_alu instid0(VALU_DEP_1) | instskip(NEXT) | instid1(VALU_DEP_1)
	v_subrev_nc_u32_e32 v19, 28, v17
	v_lshlrev_b64_e32 v[36:37], v19, v[6:7]
	s_delay_alu instid0(VALU_DEP_1)
	v_dual_sub_nc_u32 v19, 29, v17 :: v_dual_bitop2_b32 v17, 7, v36 bitop3:0x40
; %bb.1953:                             ;   in Loop: Header=BB272_1066 Depth=1
	s_or_b32 exec_lo, exec_lo, s19
	s_delay_alu instid0(VALU_DEP_1) | instskip(NEXT) | instid1(VALU_DEP_2)
	v_dual_lshlrev_b32 v6, 8, v6 :: v_dual_lshlrev_b32 v17, 23, v17
	v_lshl_add_u32 v19, v19, 10, 0x2000
	s_delay_alu instid0(VALU_DEP_1) | instskip(NEXT) | instid1(VALU_DEP_1)
	v_and_or_b32 v6, 0x8000, v6, v19
	v_lshl_or_b32 v17, v6, 16, v17
.LBB272_1954:                           ;   in Loop: Header=BB272_1066 Depth=1
	s_or_b32 exec_lo, exec_lo, s18
.LBB272_1955:                           ;   in Loop: Header=BB272_1066 Depth=1
	s_delay_alu instid0(SALU_CYCLE_1)
	s_or_b32 exec_lo, exec_lo, s17
.LBB272_1956:                           ;   in Loop: Header=BB272_1066 Depth=1
	s_delay_alu instid0(SALU_CYCLE_1) | instskip(SKIP_4) | instid1(VALU_DEP_3)
	s_or_b32 exec_lo, exec_lo, s16
	v_and_b32_e32 v37, 0xff, v35
	v_dual_mov_b32 v6, v35 :: v_dual_mov_b32 v36, 0
	v_mov_b32_e32 v19, 0
	s_mov_b32 s16, exec_lo
	v_cmpx_ne_u16_e32 0, v37
	s_cbranch_execz .LBB272_1964
; %bb.1957:                             ;   in Loop: Header=BB272_1066 Depth=1
	v_mov_b32_e32 v19, 0x8000
	s_mov_b32 s17, exec_lo
	v_cmpx_ne_u16_e32 0x80, v37
	s_cbranch_execz .LBB272_1963
; %bb.1958:                             ;   in Loop: Header=BB272_1066 Depth=1
	v_and_b32_e32 v38, 0x7f, v35
	v_mov_b32_e32 v19, 0x7c01
	s_mov_b32 s18, exec_lo
	s_delay_alu instid0(VALU_DEP_2)
	v_cmpx_ne_u32_e32 0x7f, v38
	s_cbranch_execz .LBB272_1962
; %bb.1959:                             ;   in Loop: Header=BB272_1066 Depth=1
	v_dual_lshrrev_b32 v37, 3, v38 :: v_dual_bitop2_b32 v19, 7, v35 bitop3:0x40
	s_mov_b32 s19, exec_lo
	v_cmpx_gt_u32_e32 8, v38
; %bb.1960:                             ;   in Loop: Header=BB272_1066 Depth=1
	s_delay_alu instid0(VALU_DEP_2) | instskip(NEXT) | instid1(VALU_DEP_1)
	v_clz_i32_u32_e32 v19, v19
	v_min_u32_e32 v19, 32, v19
	s_delay_alu instid0(VALU_DEP_1) | instskip(NEXT) | instid1(VALU_DEP_1)
	v_subrev_nc_u32_e32 v37, 28, v19
	v_lshlrev_b64_e32 v[38:39], v37, v[6:7]
	s_delay_alu instid0(VALU_DEP_1)
	v_dual_sub_nc_u32 v37, 29, v19 :: v_dual_bitop2_b32 v19, 7, v38 bitop3:0x40
; %bb.1961:                             ;   in Loop: Header=BB272_1066 Depth=1
	s_or_b32 exec_lo, exec_lo, s19
	v_lshlrev_b32_e32 v38, 8, v35
	s_delay_alu instid0(VALU_DEP_2) | instskip(NEXT) | instid1(VALU_DEP_3)
	v_lshl_add_u32 v37, v37, 10, 0x2000
	v_lshlrev_b32_e32 v19, 7, v19
	s_delay_alu instid0(VALU_DEP_3) | instskip(NEXT) | instid1(VALU_DEP_3)
	v_and_b32_e32 v38, 0x8000, v38
	v_and_b32_e32 v37, 0xfc00, v37
	s_delay_alu instid0(VALU_DEP_1)
	v_or3_b32 v19, v38, v37, v19
.LBB272_1962:                           ;   in Loop: Header=BB272_1066 Depth=1
	s_or_b32 exec_lo, exec_lo, s18
.LBB272_1963:                           ;   in Loop: Header=BB272_1066 Depth=1
	s_delay_alu instid0(SALU_CYCLE_1)
	s_or_b32 exec_lo, exec_lo, s17
.LBB272_1964:                           ;   in Loop: Header=BB272_1066 Depth=1
	s_delay_alu instid0(SALU_CYCLE_1) | instskip(SKIP_3) | instid1(VALU_DEP_2)
	s_or_b32 exec_lo, exec_lo, s16
	v_lshrrev_b16 v6, 8, v6
	v_mov_b32_e32 v37, 0
	s_mov_b32 s16, exec_lo
	v_cmpx_ne_u16_e32 0, v6
	s_cbranch_execz .LBB272_1972
; %bb.1965:                             ;   in Loop: Header=BB272_1066 Depth=1
	v_bfrev_b32_e32 v37, 1
	s_mov_b32 s17, exec_lo
	v_cmpx_ne_u16_e32 0x80, v6
	s_cbranch_execz .LBB272_1971
; %bb.1966:                             ;   in Loop: Header=BB272_1066 Depth=1
	v_and_b32_e32 v38, 0xffff, v6
	v_mov_b32_e32 v37, 0x7c010000
	s_mov_b32 s18, exec_lo
	s_delay_alu instid0(VALU_DEP_2) | instskip(NEXT) | instid1(VALU_DEP_1)
	v_and_b32_e32 v48, 0x7f, v38
	v_cmpx_ne_u32_e32 0x7f, v48
	s_cbranch_execz .LBB272_1970
; %bb.1967:                             ;   in Loop: Header=BB272_1066 Depth=1
	v_dual_lshrrev_b32 v39, 3, v48 :: v_dual_bitop2_b32 v37, 7, v38 bitop3:0x40
	s_mov_b32 s19, exec_lo
	v_cmpx_gt_u32_e32 8, v48
; %bb.1968:                             ;   in Loop: Header=BB272_1066 Depth=1
	s_delay_alu instid0(VALU_DEP_2) | instskip(NEXT) | instid1(VALU_DEP_1)
	v_clz_i32_u32_e32 v37, v37
	v_min_u32_e32 v37, 32, v37
	s_delay_alu instid0(VALU_DEP_1) | instskip(NEXT) | instid1(VALU_DEP_1)
	v_subrev_nc_u32_e32 v39, 28, v37
	v_lshlrev_b64_e32 v[48:49], v39, v[6:7]
	s_delay_alu instid0(VALU_DEP_1)
	v_dual_sub_nc_u32 v39, 29, v37 :: v_dual_bitop2_b32 v37, 7, v48 bitop3:0x40
; %bb.1969:                             ;   in Loop: Header=BB272_1066 Depth=1
	s_or_b32 exec_lo, exec_lo, s19
	s_delay_alu instid0(VALU_DEP_1) | instskip(NEXT) | instid1(VALU_DEP_2)
	v_dual_lshlrev_b32 v6, 8, v38 :: v_dual_lshlrev_b32 v37, 23, v37
	v_lshl_add_u32 v38, v39, 10, 0x2000
	s_delay_alu instid0(VALU_DEP_1) | instskip(NEXT) | instid1(VALU_DEP_1)
	v_and_or_b32 v6, 0x8000, v6, v38
	v_lshl_or_b32 v37, v6, 16, v37
.LBB272_1970:                           ;   in Loop: Header=BB272_1066 Depth=1
	s_or_b32 exec_lo, exec_lo, s18
.LBB272_1971:                           ;   in Loop: Header=BB272_1066 Depth=1
	s_delay_alu instid0(SALU_CYCLE_1)
	s_or_b32 exec_lo, exec_lo, s17
.LBB272_1972:                           ;   in Loop: Header=BB272_1066 Depth=1
	s_delay_alu instid0(SALU_CYCLE_1) | instskip(SKIP_2) | instid1(VALU_DEP_1)
	s_or_b32 exec_lo, exec_lo, s16
	v_lshrrev_b32_e32 v6, 16, v35
	s_mov_b32 s16, exec_lo
	v_and_b32_e32 v38, 0xff, v6
	s_delay_alu instid0(VALU_DEP_1)
	v_cmpx_ne_u16_e32 0, v38
	s_cbranch_execz .LBB272_1980
; %bb.1973:                             ;   in Loop: Header=BB272_1066 Depth=1
	v_mov_b32_e32 v36, 0x8000
	s_mov_b32 s17, exec_lo
	v_cmpx_ne_u16_e32 0x80, v38
	s_cbranch_execz .LBB272_1979
; %bb.1974:                             ;   in Loop: Header=BB272_1066 Depth=1
	v_bfe_u32 v39, v35, 16, 7
	v_mov_b32_e32 v36, 0x7c01
	s_mov_b32 s18, exec_lo
	s_delay_alu instid0(VALU_DEP_2)
	v_cmpx_ne_u32_e32 0x7f, v39
	s_cbranch_execz .LBB272_1978
; %bb.1975:                             ;   in Loop: Header=BB272_1066 Depth=1
	v_dual_lshrrev_b32 v38, 3, v39 :: v_dual_bitop2_b32 v36, 7, v6 bitop3:0x40
	s_mov_b32 s19, exec_lo
	v_cmpx_gt_u32_e32 8, v39
; %bb.1976:                             ;   in Loop: Header=BB272_1066 Depth=1
	s_delay_alu instid0(VALU_DEP_2) | instskip(NEXT) | instid1(VALU_DEP_1)
	v_clz_i32_u32_e32 v36, v36
	v_min_u32_e32 v36, 32, v36
	s_delay_alu instid0(VALU_DEP_1) | instskip(NEXT) | instid1(VALU_DEP_1)
	v_subrev_nc_u32_e32 v38, 28, v36
	v_lshlrev_b64_e32 v[48:49], v38, v[6:7]
	v_sub_nc_u32_e32 v38, 29, v36
	s_delay_alu instid0(VALU_DEP_2)
	v_and_b32_e32 v36, 7, v48
; %bb.1977:                             ;   in Loop: Header=BB272_1066 Depth=1
	s_or_b32 exec_lo, exec_lo, s19
	s_delay_alu instid0(VALU_DEP_1) | instskip(NEXT) | instid1(VALU_DEP_3)
	v_dual_lshlrev_b32 v6, 8, v6 :: v_dual_lshlrev_b32 v36, 7, v36
	v_lshl_add_u32 v38, v38, 10, 0x2000
	s_delay_alu instid0(VALU_DEP_2) | instskip(NEXT) | instid1(VALU_DEP_2)
	v_and_b32_e32 v6, 0x8000, v6
	v_and_b32_e32 v38, 0xfc00, v38
	s_delay_alu instid0(VALU_DEP_1)
	v_or3_b32 v36, v6, v38, v36
.LBB272_1978:                           ;   in Loop: Header=BB272_1066 Depth=1
	s_or_b32 exec_lo, exec_lo, s18
.LBB272_1979:                           ;   in Loop: Header=BB272_1066 Depth=1
	s_delay_alu instid0(SALU_CYCLE_1)
	s_or_b32 exec_lo, exec_lo, s17
.LBB272_1980:                           ;   in Loop: Header=BB272_1066 Depth=1
	s_delay_alu instid0(SALU_CYCLE_1)
	s_or_b32 exec_lo, exec_lo, s16
	v_cmp_lt_u64_e64 s1, s[2:3], v[34:35]
	v_mov_b32_e32 v34, 0
	s_and_saveexec_b32 s16, s1
	s_cbranch_execz .LBB272_1988
; %bb.1981:                             ;   in Loop: Header=BB272_1066 Depth=1
	v_lshrrev_b32_e32 v6, 24, v35
	v_bfrev_b32_e32 v34, 1
	s_mov_b32 s17, exec_lo
	s_delay_alu instid0(VALU_DEP_2)
	v_cmpx_ne_u32_e32 0x80, v6
	s_cbranch_execz .LBB272_1987
; %bb.1982:                             ;   in Loop: Header=BB272_1066 Depth=1
	v_and_b32_e32 v38, 0x7f, v6
	v_mov_b32_e32 v34, 0x7c010000
	s_mov_b32 s18, exec_lo
	s_delay_alu instid0(VALU_DEP_2)
	v_cmpx_ne_u32_e32 0x7f, v38
	s_cbranch_execz .LBB272_1986
; %bb.1983:                             ;   in Loop: Header=BB272_1066 Depth=1
	v_and_b32_e32 v34, 7, v6
	v_lshrrev_b32_e32 v35, 3, v38
	s_mov_b32 s19, exec_lo
	v_cmpx_gt_u32_e32 8, v38
; %bb.1984:                             ;   in Loop: Header=BB272_1066 Depth=1
	s_delay_alu instid0(VALU_DEP_3) | instskip(NEXT) | instid1(VALU_DEP_1)
	v_clz_i32_u32_e32 v34, v34
	v_min_u32_e32 v38, 32, v34
	s_delay_alu instid0(VALU_DEP_1) | instskip(NEXT) | instid1(VALU_DEP_1)
	v_subrev_nc_u32_e32 v34, 28, v38
	v_lshlrev_b64_e32 v[34:35], v34, v[6:7]
	v_sub_nc_u32_e32 v35, 29, v38
	s_delay_alu instid0(VALU_DEP_2)
	v_and_b32_e32 v34, 7, v34
; %bb.1985:                             ;   in Loop: Header=BB272_1066 Depth=1
	s_or_b32 exec_lo, exec_lo, s19
	v_lshlrev_b32_e32 v6, 8, v6
	s_delay_alu instid0(VALU_DEP_3) | instskip(NEXT) | instid1(VALU_DEP_3)
	v_lshl_add_u32 v35, v35, 10, 0x2000
	v_lshlrev_b32_e32 v34, 23, v34
	s_delay_alu instid0(VALU_DEP_2) | instskip(NEXT) | instid1(VALU_DEP_1)
	v_and_or_b32 v6, 0x8000, v6, v35
	v_lshl_or_b32 v34, v6, 16, v34
.LBB272_1986:                           ;   in Loop: Header=BB272_1066 Depth=1
	s_or_b32 exec_lo, exec_lo, s18
.LBB272_1987:                           ;   in Loop: Header=BB272_1066 Depth=1
	s_delay_alu instid0(SALU_CYCLE_1)
	s_or_b32 exec_lo, exec_lo, s17
.LBB272_1988:                           ;   in Loop: Header=BB272_1066 Depth=1
	s_delay_alu instid0(SALU_CYCLE_1) | instskip(SKIP_3) | instid1(VALU_DEP_3)
	s_or_b32 exec_lo, exec_lo, s16
	v_dual_lshrrev_b32 v6, 16, v0 :: v_dual_lshrrev_b32 v35, 16, v17
	v_or_b32_e32 v38, v0, v1
	v_or_b32_e32 v17, v17, v18
	v_cvt_f32_f16_e32 v1, v6
	s_delay_alu instid0(VALU_DEP_4)
	v_cvt_f32_f16_e32 v0, v35
	v_dual_lshrrev_b32 v35, 16, v37 :: v_dual_bitop2_b32 v6, v34, v36 bitop3:0x54
	v_lshrrev_b32_e32 v34, 16, v34
	v_cvt_f32_f16_e32 v18, v17
	s_wait_loadcnt_dscnt 0x0
	v_pk_mul_f32 v[0:1], v[16:17], v[0:1] op_sel_hi:[0,1]
	v_or_b32_e32 v17, v37, v19
	v_cvt_f32_f16_e32 v19, v38
	v_cvt_f32_f16_e32 v35, v35
	;; [unrolled: 1-line block ×3, first 2 shown]
	s_delay_alu instid0(VALU_DEP_3) | instskip(NEXT) | instid1(VALU_DEP_1)
	v_pk_mul_f32 v[18:19], v[16:17], v[18:19] op_sel_hi:[0,1]
	v_cvt_pk_f16_f32 v18, v18, v19
	s_delay_alu instid0(VALU_DEP_1) | instskip(SKIP_4) | instid1(VALU_DEP_3)
	v_lshrrev_b32_e32 v49, 16, v18
	v_cvt_f32_f16_e32 v36, v6
	v_cvt_pk_f16_f32 v6, v0, v1
	v_pk_mul_f32 v[0:1], v[16:17], v[34:35] op_sel_hi:[0,1]
	v_and_b32_e32 v48, 0xffff, v18
	v_lshlrev_b32_e32 v34, 16, v6
	v_cvt_f32_f16_e32 v37, v17
	s_delay_alu instid0(VALU_DEP_4) | instskip(SKIP_1) | instid1(VALU_DEP_4)
	v_cvt_pk_f16_f32 v0, v0, v1
	v_and_b32_e32 v35, 0xffff0000, v6
	v_or_b32_e32 v38, v34, v48
	s_delay_alu instid0(VALU_DEP_4) | instskip(NEXT) | instid1(VALU_DEP_3)
	v_pk_mul_f32 v[16:17], v[16:17], v[36:37] op_sel_hi:[0,1]
	v_or_b32_e32 v39, v35, v49
	s_delay_alu instid0(VALU_DEP_2) | instskip(SKIP_1) | instid1(VALU_DEP_2)
	v_cvt_pk_f16_f32 v1, v16, v17
	v_and_b32_e32 v17, 0xffff0000, v0
	v_dual_lshlrev_b32 v6, 16, v0 :: v_dual_lshrrev_b32 v19, 16, v1
	v_and_b32_e32 v16, 0xffff, v1
	s_delay_alu instid0(VALU_DEP_2) | instskip(NEXT) | instid1(VALU_DEP_2)
	v_or_b32_e32 v37, v17, v19
	v_or_b32_e32 v36, v6, v16
	s_and_saveexec_b32 s16, vcc_lo
	s_cbranch_execz .LBB272_1990
; %bb.1989:                             ;   in Loop: Header=BB272_1066 Depth=1
	v_cmp_lt_i32_e64 s1, v66, v13
	s_delay_alu instid0(VALU_DEP_1) | instskip(SKIP_1) | instid1(VALU_DEP_1)
	v_cndmask_b32_e64 v0, 0, v49, s1
	v_cmp_lt_i32_e64 s1, v83, v12
	v_cndmask_b32_e64 v1, 0, v48, s1
	v_cmp_lt_i32_e64 s1, v82, v13
	s_delay_alu instid0(VALU_DEP_1) | instskip(SKIP_1) | instid1(VALU_DEP_1)
	v_cndmask_b32_e64 v18, 0, v35, s1
	v_cmp_lt_i32_e64 s1, v81, v12
	v_cndmask_b32_e64 v34, 0, v34, s1
	v_cmp_lt_i32_e64 s1, v80, v13
	s_delay_alu instid0(VALU_DEP_4) | instskip(NEXT) | instid1(VALU_DEP_2)
	v_or_b32_e32 v39, v0, v18
	v_dual_cndmask_b32 v19, 0, v19, s1 :: v_dual_bitop2_b32 v38, v1, v34 bitop3:0x54
	v_cmp_lt_i32_e64 s1, v71, v12
	s_delay_alu instid0(VALU_DEP_1) | instskip(SKIP_1) | instid1(VALU_DEP_1)
	v_cndmask_b32_e64 v16, 0, v16, s1
	v_cmp_lt_i32_e64 s1, v70, v13
	v_cndmask_b32_e64 v17, 0, v17, s1
	v_cmp_lt_i32_e64 s1, v69, v12
	s_delay_alu instid0(VALU_DEP_1) | instskip(NEXT) | instid1(VALU_DEP_1)
	v_dual_cndmask_b32 v6, 0, v6, s1 :: v_dual_bitop2_b32 v37, v19, v17 bitop3:0x54
	v_or_b32_e32 v36, v16, v6
.LBB272_1990:                           ;   in Loop: Header=BB272_1066 Depth=1
	s_or_b32 exec_lo, exec_lo, s16
	;;#ASMSTART
	v_pk_mul_f16 v0, v53, v39;

	;;#ASMEND
	;;#ASMSTART
	v_pk_mul_f16 v1, v52, v38;

	;;#ASMEND
	;; [unrolled: 4-line block ×4, first 2 shown]
	;;#ASMSTART
	v_pk_add_f16 v0, v0, v1;

	;;#ASMEND
	;;#ASMSTART
	v_pk_add_f16 v0, v0, v6;

	;;#ASMEND
	;; [unrolled: 4-line block ×3, first 2 shown]
	v_and_b32_e32 v1, 0xffff, v0
	v_lshrrev_b32_e32 v0, 16, v0
	;;#ASMSTART
	v_cvt_f32_f16 v45, v1;
	;;#ASMEND
	v_mov_b32_e32 v1, 0
	;;#ASMSTART
	v_cvt_f32_f16 v46, v0;
	;;#ASMEND
	flat_load_b64 v[34:35], v[10:11] offset:3584
	flat_load_b32 v16, v[22:23]
	v_mov_b32_e32 v0, 0
	s_mov_b32 s16, exec_lo
	s_wait_loadcnt_dscnt 0x101
	v_and_b32_e32 v6, 0xff, v34
	s_wait_xcnt 0x0
	s_delay_alu instid0(VALU_DEP_1)
	v_cmpx_ne_u16_e32 0, v6
	s_cbranch_execz .LBB272_1998
; %bb.1991:                             ;   in Loop: Header=BB272_1066 Depth=1
	v_mov_b32_e32 v1, 0x8000
	s_mov_b32 s17, exec_lo
	v_cmpx_ne_u16_e32 0x80, v6
	s_cbranch_execz .LBB272_1997
; %bb.1992:                             ;   in Loop: Header=BB272_1066 Depth=1
	v_and_b32_e32 v17, 0x7f, v34
	v_mov_b32_e32 v1, 0x7c01
	s_mov_b32 s18, exec_lo
	s_delay_alu instid0(VALU_DEP_2)
	v_cmpx_ne_u32_e32 0x7f, v17
	s_cbranch_execz .LBB272_1996
; %bb.1993:                             ;   in Loop: Header=BB272_1066 Depth=1
	v_dual_lshrrev_b32 v6, 3, v17 :: v_dual_bitop2_b32 v1, 7, v34 bitop3:0x40
	s_mov_b32 s19, exec_lo
	v_cmpx_gt_u32_e32 8, v17
; %bb.1994:                             ;   in Loop: Header=BB272_1066 Depth=1
	s_delay_alu instid0(VALU_DEP_2) | instskip(NEXT) | instid1(VALU_DEP_1)
	v_clz_i32_u32_e32 v1, v1
	v_min_u32_e32 v1, 32, v1
	s_delay_alu instid0(VALU_DEP_1) | instskip(NEXT) | instid1(VALU_DEP_1)
	v_subrev_nc_u32_e32 v6, 28, v1
	v_lshlrev_b64_e32 v[18:19], v6, v[34:35]
	s_delay_alu instid0(VALU_DEP_1)
	v_dual_sub_nc_u32 v6, 29, v1 :: v_dual_bitop2_b32 v1, 7, v18 bitop3:0x40
; %bb.1995:                             ;   in Loop: Header=BB272_1066 Depth=1
	s_or_b32 exec_lo, exec_lo, s19
	s_delay_alu instid0(VALU_DEP_1) | instskip(NEXT) | instid1(VALU_DEP_2)
	v_dual_lshlrev_b32 v17, 8, v34 :: v_dual_lshlrev_b32 v1, 7, v1
	v_lshl_add_u32 v6, v6, 10, 0x2000
	s_delay_alu instid0(VALU_DEP_2) | instskip(NEXT) | instid1(VALU_DEP_2)
	v_and_b32_e32 v17, 0x8000, v17
	v_and_b32_e32 v6, 0xfc00, v6
	s_delay_alu instid0(VALU_DEP_1)
	v_or3_b32 v1, v17, v6, v1
.LBB272_1996:                           ;   in Loop: Header=BB272_1066 Depth=1
	s_or_b32 exec_lo, exec_lo, s18
.LBB272_1997:                           ;   in Loop: Header=BB272_1066 Depth=1
	s_delay_alu instid0(SALU_CYCLE_1)
	s_or_b32 exec_lo, exec_lo, s17
.LBB272_1998:                           ;   in Loop: Header=BB272_1066 Depth=1
	s_delay_alu instid0(SALU_CYCLE_1) | instskip(SKIP_2) | instid1(VALU_DEP_1)
	s_or_b32 exec_lo, exec_lo, s16
	v_lshrrev_b16 v6, 8, v34
	s_mov_b32 s16, exec_lo
	v_cmpx_ne_u16_e32 0, v6
	s_cbranch_execz .LBB272_2006
; %bb.1999:                             ;   in Loop: Header=BB272_1066 Depth=1
	v_bfrev_b32_e32 v0, 1
	s_mov_b32 s17, exec_lo
	v_cmpx_ne_u16_e32 0x80, v6
	s_cbranch_execz .LBB272_2005
; %bb.2000:                             ;   in Loop: Header=BB272_1066 Depth=1
	v_and_b32_e32 v17, 0xffff, v6
	v_mov_b32_e32 v0, 0x7c010000
	s_mov_b32 s18, exec_lo
	s_delay_alu instid0(VALU_DEP_2) | instskip(NEXT) | instid1(VALU_DEP_1)
	v_and_b32_e32 v19, 0x7f, v17
	v_cmpx_ne_u32_e32 0x7f, v19
	s_cbranch_execz .LBB272_2004
; %bb.2001:                             ;   in Loop: Header=BB272_1066 Depth=1
	v_dual_lshrrev_b32 v18, 3, v19 :: v_dual_bitop2_b32 v0, 7, v17 bitop3:0x40
	s_mov_b32 s19, exec_lo
	v_cmpx_gt_u32_e32 8, v19
; %bb.2002:                             ;   in Loop: Header=BB272_1066 Depth=1
	s_delay_alu instid0(VALU_DEP_2) | instskip(NEXT) | instid1(VALU_DEP_1)
	v_clz_i32_u32_e32 v0, v0
	v_min_u32_e32 v0, 32, v0
	s_delay_alu instid0(VALU_DEP_1) | instskip(NEXT) | instid1(VALU_DEP_1)
	v_subrev_nc_u32_e32 v18, 28, v0
	v_lshlrev_b64_e32 v[36:37], v18, v[6:7]
	v_sub_nc_u32_e32 v18, 29, v0
	s_delay_alu instid0(VALU_DEP_2)
	v_and_b32_e32 v0, 7, v36
; %bb.2003:                             ;   in Loop: Header=BB272_1066 Depth=1
	s_or_b32 exec_lo, exec_lo, s19
	s_delay_alu instid0(VALU_DEP_1) | instskip(NEXT) | instid1(VALU_DEP_3)
	v_dual_lshlrev_b32 v6, 8, v17 :: v_dual_lshlrev_b32 v0, 23, v0
	v_lshl_add_u32 v17, v18, 10, 0x2000
	s_delay_alu instid0(VALU_DEP_1) | instskip(NEXT) | instid1(VALU_DEP_1)
	v_and_or_b32 v6, 0x8000, v6, v17
	v_lshl_or_b32 v0, v6, 16, v0
.LBB272_2004:                           ;   in Loop: Header=BB272_1066 Depth=1
	s_or_b32 exec_lo, exec_lo, s18
.LBB272_2005:                           ;   in Loop: Header=BB272_1066 Depth=1
	s_delay_alu instid0(SALU_CYCLE_1)
	s_or_b32 exec_lo, exec_lo, s17
.LBB272_2006:                           ;   in Loop: Header=BB272_1066 Depth=1
	s_delay_alu instid0(SALU_CYCLE_1) | instskip(SKIP_3) | instid1(VALU_DEP_2)
	s_or_b32 exec_lo, exec_lo, s16
	v_dual_mov_b32 v17, 0 :: v_dual_lshrrev_b32 v6, 16, v34
	v_mov_b32_e32 v18, 0
	s_mov_b32 s16, exec_lo
	v_and_b32_e32 v19, 0xff, v6
	s_delay_alu instid0(VALU_DEP_1)
	v_cmpx_ne_u16_e32 0, v19
	s_cbranch_execz .LBB272_2014
; %bb.2007:                             ;   in Loop: Header=BB272_1066 Depth=1
	v_mov_b32_e32 v18, 0x8000
	s_mov_b32 s17, exec_lo
	v_cmpx_ne_u16_e32 0x80, v19
	s_cbranch_execz .LBB272_2013
; %bb.2008:                             ;   in Loop: Header=BB272_1066 Depth=1
	v_bfe_u32 v36, v34, 16, 7
	v_mov_b32_e32 v18, 0x7c01
	s_mov_b32 s18, exec_lo
	s_delay_alu instid0(VALU_DEP_2)
	v_cmpx_ne_u32_e32 0x7f, v36
	s_cbranch_execz .LBB272_2012
; %bb.2009:                             ;   in Loop: Header=BB272_1066 Depth=1
	v_dual_lshrrev_b32 v19, 3, v36 :: v_dual_bitop2_b32 v18, 7, v6 bitop3:0x40
	s_mov_b32 s19, exec_lo
	v_cmpx_gt_u32_e32 8, v36
; %bb.2010:                             ;   in Loop: Header=BB272_1066 Depth=1
	s_delay_alu instid0(VALU_DEP_2) | instskip(NEXT) | instid1(VALU_DEP_1)
	v_clz_i32_u32_e32 v18, v18
	v_min_u32_e32 v36, 32, v18
	s_delay_alu instid0(VALU_DEP_1) | instskip(NEXT) | instid1(VALU_DEP_1)
	v_subrev_nc_u32_e32 v18, 28, v36
	v_lshlrev_b64_e32 v[18:19], v18, v[6:7]
	s_delay_alu instid0(VALU_DEP_1)
	v_dual_sub_nc_u32 v19, 29, v36 :: v_dual_bitop2_b32 v18, 7, v18 bitop3:0x40
; %bb.2011:                             ;   in Loop: Header=BB272_1066 Depth=1
	s_or_b32 exec_lo, exec_lo, s19
	v_lshlrev_b32_e32 v6, 8, v6
	s_delay_alu instid0(VALU_DEP_2) | instskip(NEXT) | instid1(VALU_DEP_3)
	v_lshl_add_u32 v19, v19, 10, 0x2000
	v_lshlrev_b32_e32 v18, 7, v18
	s_delay_alu instid0(VALU_DEP_3) | instskip(NEXT) | instid1(VALU_DEP_3)
	v_and_b32_e32 v6, 0x8000, v6
	v_and_b32_e32 v19, 0xfc00, v19
	s_delay_alu instid0(VALU_DEP_1)
	v_or3_b32 v18, v6, v19, v18
.LBB272_2012:                           ;   in Loop: Header=BB272_1066 Depth=1
	s_or_b32 exec_lo, exec_lo, s18
.LBB272_2013:                           ;   in Loop: Header=BB272_1066 Depth=1
	s_delay_alu instid0(SALU_CYCLE_1)
	s_or_b32 exec_lo, exec_lo, s17
.LBB272_2014:                           ;   in Loop: Header=BB272_1066 Depth=1
	s_delay_alu instid0(SALU_CYCLE_1) | instskip(NEXT) | instid1(SALU_CYCLE_1)
	s_or_b32 exec_lo, exec_lo, s16
	s_mov_b32 s16, exec_lo
	v_cmpx_lt_u32_e32 0xffffff, v34
	s_cbranch_execz .LBB272_2022
; %bb.2015:                             ;   in Loop: Header=BB272_1066 Depth=1
	v_lshrrev_b32_e32 v6, 24, v34
	v_bfrev_b32_e32 v17, 1
	s_mov_b32 s17, exec_lo
	s_delay_alu instid0(VALU_DEP_2)
	v_cmpx_ne_u32_e32 0x80, v6
	s_cbranch_execz .LBB272_2021
; %bb.2016:                             ;   in Loop: Header=BB272_1066 Depth=1
	v_and_b32_e32 v36, 0x7f, v6
	v_mov_b32_e32 v17, 0x7c010000
	s_mov_b32 s18, exec_lo
	s_delay_alu instid0(VALU_DEP_2)
	v_cmpx_ne_u32_e32 0x7f, v36
	s_cbranch_execz .LBB272_2020
; %bb.2017:                             ;   in Loop: Header=BB272_1066 Depth=1
	v_dual_lshrrev_b32 v19, 3, v36 :: v_dual_bitop2_b32 v17, 7, v6 bitop3:0x40
	s_mov_b32 s19, exec_lo
	v_cmpx_gt_u32_e32 8, v36
; %bb.2018:                             ;   in Loop: Header=BB272_1066 Depth=1
	s_delay_alu instid0(VALU_DEP_2) | instskip(NEXT) | instid1(VALU_DEP_1)
	v_clz_i32_u32_e32 v17, v17
	v_min_u32_e32 v17, 32, v17
	s_delay_alu instid0(VALU_DEP_1) | instskip(NEXT) | instid1(VALU_DEP_1)
	v_subrev_nc_u32_e32 v19, 28, v17
	v_lshlrev_b64_e32 v[36:37], v19, v[6:7]
	s_delay_alu instid0(VALU_DEP_1)
	v_dual_sub_nc_u32 v19, 29, v17 :: v_dual_bitop2_b32 v17, 7, v36 bitop3:0x40
; %bb.2019:                             ;   in Loop: Header=BB272_1066 Depth=1
	s_or_b32 exec_lo, exec_lo, s19
	s_delay_alu instid0(VALU_DEP_1) | instskip(NEXT) | instid1(VALU_DEP_2)
	v_dual_lshlrev_b32 v6, 8, v6 :: v_dual_lshlrev_b32 v17, 23, v17
	v_lshl_add_u32 v19, v19, 10, 0x2000
	s_delay_alu instid0(VALU_DEP_1) | instskip(NEXT) | instid1(VALU_DEP_1)
	v_and_or_b32 v6, 0x8000, v6, v19
	v_lshl_or_b32 v17, v6, 16, v17
.LBB272_2020:                           ;   in Loop: Header=BB272_1066 Depth=1
	s_or_b32 exec_lo, exec_lo, s18
.LBB272_2021:                           ;   in Loop: Header=BB272_1066 Depth=1
	s_delay_alu instid0(SALU_CYCLE_1)
	s_or_b32 exec_lo, exec_lo, s17
.LBB272_2022:                           ;   in Loop: Header=BB272_1066 Depth=1
	s_delay_alu instid0(SALU_CYCLE_1) | instskip(SKIP_4) | instid1(VALU_DEP_3)
	s_or_b32 exec_lo, exec_lo, s16
	v_and_b32_e32 v37, 0xff, v35
	v_dual_mov_b32 v6, v35 :: v_dual_mov_b32 v36, 0
	v_mov_b32_e32 v19, 0
	s_mov_b32 s16, exec_lo
	v_cmpx_ne_u16_e32 0, v37
	s_cbranch_execz .LBB272_2030
; %bb.2023:                             ;   in Loop: Header=BB272_1066 Depth=1
	v_mov_b32_e32 v19, 0x8000
	s_mov_b32 s17, exec_lo
	v_cmpx_ne_u16_e32 0x80, v37
	s_cbranch_execz .LBB272_2029
; %bb.2024:                             ;   in Loop: Header=BB272_1066 Depth=1
	v_and_b32_e32 v38, 0x7f, v35
	v_mov_b32_e32 v19, 0x7c01
	s_mov_b32 s18, exec_lo
	s_delay_alu instid0(VALU_DEP_2)
	v_cmpx_ne_u32_e32 0x7f, v38
	s_cbranch_execz .LBB272_2028
; %bb.2025:                             ;   in Loop: Header=BB272_1066 Depth=1
	v_dual_lshrrev_b32 v37, 3, v38 :: v_dual_bitop2_b32 v19, 7, v35 bitop3:0x40
	s_mov_b32 s19, exec_lo
	v_cmpx_gt_u32_e32 8, v38
; %bb.2026:                             ;   in Loop: Header=BB272_1066 Depth=1
	s_delay_alu instid0(VALU_DEP_2) | instskip(NEXT) | instid1(VALU_DEP_1)
	v_clz_i32_u32_e32 v19, v19
	v_min_u32_e32 v19, 32, v19
	s_delay_alu instid0(VALU_DEP_1) | instskip(NEXT) | instid1(VALU_DEP_1)
	v_subrev_nc_u32_e32 v37, 28, v19
	v_lshlrev_b64_e32 v[38:39], v37, v[6:7]
	s_delay_alu instid0(VALU_DEP_1)
	v_dual_sub_nc_u32 v37, 29, v19 :: v_dual_bitop2_b32 v19, 7, v38 bitop3:0x40
; %bb.2027:                             ;   in Loop: Header=BB272_1066 Depth=1
	s_or_b32 exec_lo, exec_lo, s19
	v_lshlrev_b32_e32 v38, 8, v35
	s_delay_alu instid0(VALU_DEP_2) | instskip(NEXT) | instid1(VALU_DEP_3)
	v_lshl_add_u32 v37, v37, 10, 0x2000
	v_lshlrev_b32_e32 v19, 7, v19
	s_delay_alu instid0(VALU_DEP_3) | instskip(NEXT) | instid1(VALU_DEP_3)
	v_and_b32_e32 v38, 0x8000, v38
	v_and_b32_e32 v37, 0xfc00, v37
	s_delay_alu instid0(VALU_DEP_1)
	v_or3_b32 v19, v38, v37, v19
.LBB272_2028:                           ;   in Loop: Header=BB272_1066 Depth=1
	s_or_b32 exec_lo, exec_lo, s18
.LBB272_2029:                           ;   in Loop: Header=BB272_1066 Depth=1
	s_delay_alu instid0(SALU_CYCLE_1)
	s_or_b32 exec_lo, exec_lo, s17
.LBB272_2030:                           ;   in Loop: Header=BB272_1066 Depth=1
	s_delay_alu instid0(SALU_CYCLE_1) | instskip(SKIP_3) | instid1(VALU_DEP_2)
	s_or_b32 exec_lo, exec_lo, s16
	v_lshrrev_b16 v6, 8, v6
	v_mov_b32_e32 v37, 0
	s_mov_b32 s16, exec_lo
	v_cmpx_ne_u16_e32 0, v6
	s_cbranch_execz .LBB272_2038
; %bb.2031:                             ;   in Loop: Header=BB272_1066 Depth=1
	v_bfrev_b32_e32 v37, 1
	s_mov_b32 s17, exec_lo
	v_cmpx_ne_u16_e32 0x80, v6
	s_cbranch_execz .LBB272_2037
; %bb.2032:                             ;   in Loop: Header=BB272_1066 Depth=1
	v_and_b32_e32 v38, 0xffff, v6
	v_mov_b32_e32 v37, 0x7c010000
	s_mov_b32 s18, exec_lo
	s_delay_alu instid0(VALU_DEP_2) | instskip(NEXT) | instid1(VALU_DEP_1)
	v_and_b32_e32 v48, 0x7f, v38
	v_cmpx_ne_u32_e32 0x7f, v48
	s_cbranch_execz .LBB272_2036
; %bb.2033:                             ;   in Loop: Header=BB272_1066 Depth=1
	v_dual_lshrrev_b32 v39, 3, v48 :: v_dual_bitop2_b32 v37, 7, v38 bitop3:0x40
	s_mov_b32 s19, exec_lo
	v_cmpx_gt_u32_e32 8, v48
; %bb.2034:                             ;   in Loop: Header=BB272_1066 Depth=1
	s_delay_alu instid0(VALU_DEP_2) | instskip(NEXT) | instid1(VALU_DEP_1)
	v_clz_i32_u32_e32 v37, v37
	v_min_u32_e32 v37, 32, v37
	s_delay_alu instid0(VALU_DEP_1) | instskip(NEXT) | instid1(VALU_DEP_1)
	v_subrev_nc_u32_e32 v39, 28, v37
	v_lshlrev_b64_e32 v[48:49], v39, v[6:7]
	s_delay_alu instid0(VALU_DEP_1)
	v_dual_sub_nc_u32 v39, 29, v37 :: v_dual_bitop2_b32 v37, 7, v48 bitop3:0x40
; %bb.2035:                             ;   in Loop: Header=BB272_1066 Depth=1
	s_or_b32 exec_lo, exec_lo, s19
	s_delay_alu instid0(VALU_DEP_1) | instskip(NEXT) | instid1(VALU_DEP_2)
	v_dual_lshlrev_b32 v6, 8, v38 :: v_dual_lshlrev_b32 v37, 23, v37
	v_lshl_add_u32 v38, v39, 10, 0x2000
	s_delay_alu instid0(VALU_DEP_1) | instskip(NEXT) | instid1(VALU_DEP_1)
	v_and_or_b32 v6, 0x8000, v6, v38
	v_lshl_or_b32 v37, v6, 16, v37
.LBB272_2036:                           ;   in Loop: Header=BB272_1066 Depth=1
	s_or_b32 exec_lo, exec_lo, s18
.LBB272_2037:                           ;   in Loop: Header=BB272_1066 Depth=1
	s_delay_alu instid0(SALU_CYCLE_1)
	s_or_b32 exec_lo, exec_lo, s17
.LBB272_2038:                           ;   in Loop: Header=BB272_1066 Depth=1
	s_delay_alu instid0(SALU_CYCLE_1) | instskip(SKIP_2) | instid1(VALU_DEP_1)
	s_or_b32 exec_lo, exec_lo, s16
	v_lshrrev_b32_e32 v6, 16, v35
	s_mov_b32 s16, exec_lo
	v_and_b32_e32 v38, 0xff, v6
	s_delay_alu instid0(VALU_DEP_1)
	v_cmpx_ne_u16_e32 0, v38
	s_cbranch_execz .LBB272_2046
; %bb.2039:                             ;   in Loop: Header=BB272_1066 Depth=1
	v_mov_b32_e32 v36, 0x8000
	s_mov_b32 s17, exec_lo
	v_cmpx_ne_u16_e32 0x80, v38
	s_cbranch_execz .LBB272_2045
; %bb.2040:                             ;   in Loop: Header=BB272_1066 Depth=1
	v_bfe_u32 v39, v35, 16, 7
	v_mov_b32_e32 v36, 0x7c01
	s_mov_b32 s18, exec_lo
	s_delay_alu instid0(VALU_DEP_2)
	v_cmpx_ne_u32_e32 0x7f, v39
	s_cbranch_execz .LBB272_2044
; %bb.2041:                             ;   in Loop: Header=BB272_1066 Depth=1
	v_dual_lshrrev_b32 v38, 3, v39 :: v_dual_bitop2_b32 v36, 7, v6 bitop3:0x40
	s_mov_b32 s19, exec_lo
	v_cmpx_gt_u32_e32 8, v39
; %bb.2042:                             ;   in Loop: Header=BB272_1066 Depth=1
	s_delay_alu instid0(VALU_DEP_2) | instskip(NEXT) | instid1(VALU_DEP_1)
	v_clz_i32_u32_e32 v36, v36
	v_min_u32_e32 v36, 32, v36
	s_delay_alu instid0(VALU_DEP_1) | instskip(NEXT) | instid1(VALU_DEP_1)
	v_subrev_nc_u32_e32 v38, 28, v36
	v_lshlrev_b64_e32 v[48:49], v38, v[6:7]
	v_sub_nc_u32_e32 v38, 29, v36
	s_delay_alu instid0(VALU_DEP_2)
	v_and_b32_e32 v36, 7, v48
; %bb.2043:                             ;   in Loop: Header=BB272_1066 Depth=1
	s_or_b32 exec_lo, exec_lo, s19
	s_delay_alu instid0(VALU_DEP_1) | instskip(NEXT) | instid1(VALU_DEP_3)
	v_dual_lshlrev_b32 v6, 8, v6 :: v_dual_lshlrev_b32 v36, 7, v36
	v_lshl_add_u32 v38, v38, 10, 0x2000
	s_delay_alu instid0(VALU_DEP_2) | instskip(NEXT) | instid1(VALU_DEP_2)
	v_and_b32_e32 v6, 0x8000, v6
	v_and_b32_e32 v38, 0xfc00, v38
	s_delay_alu instid0(VALU_DEP_1)
	v_or3_b32 v36, v6, v38, v36
.LBB272_2044:                           ;   in Loop: Header=BB272_1066 Depth=1
	s_or_b32 exec_lo, exec_lo, s18
.LBB272_2045:                           ;   in Loop: Header=BB272_1066 Depth=1
	s_delay_alu instid0(SALU_CYCLE_1)
	s_or_b32 exec_lo, exec_lo, s17
.LBB272_2046:                           ;   in Loop: Header=BB272_1066 Depth=1
	s_delay_alu instid0(SALU_CYCLE_1)
	s_or_b32 exec_lo, exec_lo, s16
	v_cmp_lt_u64_e64 s1, s[2:3], v[34:35]
	v_mov_b32_e32 v34, 0
	s_and_saveexec_b32 s16, s1
	s_cbranch_execz .LBB272_2054
; %bb.2047:                             ;   in Loop: Header=BB272_1066 Depth=1
	v_lshrrev_b32_e32 v6, 24, v35
	v_bfrev_b32_e32 v34, 1
	s_mov_b32 s17, exec_lo
	s_delay_alu instid0(VALU_DEP_2)
	v_cmpx_ne_u32_e32 0x80, v6
	s_cbranch_execz .LBB272_2053
; %bb.2048:                             ;   in Loop: Header=BB272_1066 Depth=1
	v_and_b32_e32 v38, 0x7f, v6
	v_mov_b32_e32 v34, 0x7c010000
	s_mov_b32 s18, exec_lo
	s_delay_alu instid0(VALU_DEP_2)
	v_cmpx_ne_u32_e32 0x7f, v38
	s_cbranch_execz .LBB272_2052
; %bb.2049:                             ;   in Loop: Header=BB272_1066 Depth=1
	v_and_b32_e32 v34, 7, v6
	v_lshrrev_b32_e32 v35, 3, v38
	s_mov_b32 s19, exec_lo
	v_cmpx_gt_u32_e32 8, v38
; %bb.2050:                             ;   in Loop: Header=BB272_1066 Depth=1
	s_delay_alu instid0(VALU_DEP_3) | instskip(NEXT) | instid1(VALU_DEP_1)
	v_clz_i32_u32_e32 v34, v34
	v_min_u32_e32 v38, 32, v34
	s_delay_alu instid0(VALU_DEP_1) | instskip(NEXT) | instid1(VALU_DEP_1)
	v_subrev_nc_u32_e32 v34, 28, v38
	v_lshlrev_b64_e32 v[34:35], v34, v[6:7]
	v_sub_nc_u32_e32 v35, 29, v38
	s_delay_alu instid0(VALU_DEP_2)
	v_and_b32_e32 v34, 7, v34
; %bb.2051:                             ;   in Loop: Header=BB272_1066 Depth=1
	s_or_b32 exec_lo, exec_lo, s19
	v_lshlrev_b32_e32 v6, 8, v6
	s_delay_alu instid0(VALU_DEP_3) | instskip(NEXT) | instid1(VALU_DEP_3)
	v_lshl_add_u32 v35, v35, 10, 0x2000
	v_lshlrev_b32_e32 v34, 23, v34
	s_delay_alu instid0(VALU_DEP_2) | instskip(NEXT) | instid1(VALU_DEP_1)
	v_and_or_b32 v6, 0x8000, v6, v35
	v_lshl_or_b32 v34, v6, 16, v34
.LBB272_2052:                           ;   in Loop: Header=BB272_1066 Depth=1
	s_or_b32 exec_lo, exec_lo, s18
.LBB272_2053:                           ;   in Loop: Header=BB272_1066 Depth=1
	s_delay_alu instid0(SALU_CYCLE_1)
	s_or_b32 exec_lo, exec_lo, s17
.LBB272_2054:                           ;   in Loop: Header=BB272_1066 Depth=1
	s_delay_alu instid0(SALU_CYCLE_1) | instskip(SKIP_3) | instid1(VALU_DEP_3)
	s_or_b32 exec_lo, exec_lo, s16
	v_dual_lshrrev_b32 v6, 16, v0 :: v_dual_lshrrev_b32 v35, 16, v17
	v_or_b32_e32 v38, v0, v1
	v_or_b32_e32 v17, v17, v18
	v_cvt_f32_f16_e32 v1, v6
	s_delay_alu instid0(VALU_DEP_4)
	v_cvt_f32_f16_e32 v0, v35
	v_dual_lshrrev_b32 v35, 16, v37 :: v_dual_bitop2_b32 v6, v34, v36 bitop3:0x54
	v_lshrrev_b32_e32 v34, 16, v34
	v_cvt_f32_f16_e32 v18, v17
	s_wait_loadcnt_dscnt 0x0
	v_pk_mul_f32 v[0:1], v[16:17], v[0:1] op_sel_hi:[0,1]
	v_or_b32_e32 v17, v37, v19
	v_cvt_f32_f16_e32 v19, v38
	v_cvt_f32_f16_e32 v35, v35
	;; [unrolled: 1-line block ×3, first 2 shown]
	s_delay_alu instid0(VALU_DEP_3) | instskip(NEXT) | instid1(VALU_DEP_1)
	v_pk_mul_f32 v[18:19], v[16:17], v[18:19] op_sel_hi:[0,1]
	v_cvt_pk_f16_f32 v18, v18, v19
	s_delay_alu instid0(VALU_DEP_1) | instskip(SKIP_4) | instid1(VALU_DEP_3)
	v_lshrrev_b32_e32 v49, 16, v18
	v_cvt_f32_f16_e32 v36, v6
	v_cvt_pk_f16_f32 v6, v0, v1
	v_pk_mul_f32 v[0:1], v[16:17], v[34:35] op_sel_hi:[0,1]
	v_and_b32_e32 v48, 0xffff, v18
	v_lshlrev_b32_e32 v34, 16, v6
	v_cvt_f32_f16_e32 v37, v17
	s_delay_alu instid0(VALU_DEP_4) | instskip(SKIP_1) | instid1(VALU_DEP_4)
	v_cvt_pk_f16_f32 v0, v0, v1
	v_and_b32_e32 v35, 0xffff0000, v6
	v_or_b32_e32 v38, v34, v48
	s_delay_alu instid0(VALU_DEP_4) | instskip(NEXT) | instid1(VALU_DEP_3)
	v_pk_mul_f32 v[16:17], v[16:17], v[36:37] op_sel_hi:[0,1]
	v_or_b32_e32 v39, v35, v49
	s_delay_alu instid0(VALU_DEP_2) | instskip(SKIP_1) | instid1(VALU_DEP_2)
	v_cvt_pk_f16_f32 v1, v16, v17
	v_and_b32_e32 v17, 0xffff0000, v0
	v_dual_lshlrev_b32 v6, 16, v0 :: v_dual_lshrrev_b32 v19, 16, v1
	v_and_b32_e32 v16, 0xffff, v1
	s_delay_alu instid0(VALU_DEP_2) | instskip(NEXT) | instid1(VALU_DEP_2)
	v_or_b32_e32 v37, v17, v19
	v_or_b32_e32 v36, v6, v16
	s_and_saveexec_b32 s16, vcc_lo
	s_cbranch_execz .LBB272_2056
; %bb.2055:                             ;   in Loop: Header=BB272_1066 Depth=1
	v_cmp_lt_i32_e64 s1, v66, v13
	s_delay_alu instid0(VALU_DEP_1) | instskip(SKIP_1) | instid1(VALU_DEP_1)
	v_cndmask_b32_e64 v0, 0, v49, s1
	v_cmp_lt_i32_e64 s1, v83, v12
	v_cndmask_b32_e64 v1, 0, v48, s1
	v_cmp_lt_i32_e64 s1, v82, v13
	s_delay_alu instid0(VALU_DEP_1) | instskip(SKIP_1) | instid1(VALU_DEP_1)
	v_cndmask_b32_e64 v18, 0, v35, s1
	v_cmp_lt_i32_e64 s1, v81, v12
	v_cndmask_b32_e64 v34, 0, v34, s1
	v_cmp_lt_i32_e64 s1, v80, v13
	s_delay_alu instid0(VALU_DEP_4) | instskip(NEXT) | instid1(VALU_DEP_2)
	v_or_b32_e32 v39, v0, v18
	v_dual_cndmask_b32 v19, 0, v19, s1 :: v_dual_bitop2_b32 v38, v1, v34 bitop3:0x54
	v_cmp_lt_i32_e64 s1, v71, v12
	s_delay_alu instid0(VALU_DEP_1) | instskip(SKIP_1) | instid1(VALU_DEP_1)
	v_cndmask_b32_e64 v16, 0, v16, s1
	v_cmp_lt_i32_e64 s1, v70, v13
	v_cndmask_b32_e64 v17, 0, v17, s1
	v_cmp_lt_i32_e64 s1, v69, v12
	s_delay_alu instid0(VALU_DEP_1) | instskip(NEXT) | instid1(VALU_DEP_1)
	v_dual_cndmask_b32 v6, 0, v6, s1 :: v_dual_bitop2_b32 v37, v19, v17 bitop3:0x54
	v_or_b32_e32 v36, v16, v6
.LBB272_2056:                           ;   in Loop: Header=BB272_1066 Depth=1
	s_or_b32 exec_lo, exec_lo, s16
	;;#ASMSTART
	v_pk_mul_f16 v0, v53, v39;

	;;#ASMEND
	;;#ASMSTART
	v_pk_mul_f16 v1, v52, v38;

	;;#ASMEND
	;; [unrolled: 4-line block ×4, first 2 shown]
	;;#ASMSTART
	v_pk_add_f16 v0, v0, v1;

	;;#ASMEND
	;;#ASMSTART
	v_pk_add_f16 v0, v0, v6;

	;;#ASMEND
	;; [unrolled: 4-line block ×3, first 2 shown]
	v_and_b32_e32 v1, 0xffff, v0
	v_lshrrev_b32_e32 v0, 16, v0
	;;#ASMSTART
	v_cvt_f32_f16 v48, v1;
	;;#ASMEND
	v_mov_b32_e32 v1, 0
	;;#ASMSTART
	v_cvt_f32_f16 v49, v0;
	;;#ASMEND
	flat_load_b64 v[16:17], v[10:11] offset:3840
	flat_load_b32 v10, v[22:23]
	v_mov_b32_e32 v0, 0
	s_mov_b32 s16, exec_lo
	s_wait_loadcnt_dscnt 0x101
	v_and_b32_e32 v6, 0xff, v16
	s_wait_xcnt 0x0
	s_delay_alu instid0(VALU_DEP_1)
	v_cmpx_ne_u16_e32 0, v6
	s_cbranch_execz .LBB272_2064
; %bb.2057:                             ;   in Loop: Header=BB272_1066 Depth=1
	v_mov_b32_e32 v1, 0x8000
	s_mov_b32 s17, exec_lo
	v_cmpx_ne_u16_e32 0x80, v6
	s_cbranch_execz .LBB272_2063
; %bb.2058:                             ;   in Loop: Header=BB272_1066 Depth=1
	v_and_b32_e32 v11, 0x7f, v16
	v_mov_b32_e32 v1, 0x7c01
	s_mov_b32 s18, exec_lo
	s_delay_alu instid0(VALU_DEP_2)
	v_cmpx_ne_u32_e32 0x7f, v11
	s_cbranch_execz .LBB272_2062
; %bb.2059:                             ;   in Loop: Header=BB272_1066 Depth=1
	v_dual_lshrrev_b32 v6, 3, v11 :: v_dual_bitop2_b32 v1, 7, v16 bitop3:0x40
	s_mov_b32 s19, exec_lo
	v_cmpx_gt_u32_e32 8, v11
; %bb.2060:                             ;   in Loop: Header=BB272_1066 Depth=1
	s_delay_alu instid0(VALU_DEP_2) | instskip(NEXT) | instid1(VALU_DEP_1)
	v_clz_i32_u32_e32 v1, v1
	v_min_u32_e32 v1, 32, v1
	s_delay_alu instid0(VALU_DEP_1) | instskip(NEXT) | instid1(VALU_DEP_1)
	v_subrev_nc_u32_e32 v6, 28, v1
	v_lshlrev_b64_e32 v[18:19], v6, v[16:17]
	s_delay_alu instid0(VALU_DEP_1)
	v_dual_sub_nc_u32 v6, 29, v1 :: v_dual_bitop2_b32 v1, 7, v18 bitop3:0x40
; %bb.2061:                             ;   in Loop: Header=BB272_1066 Depth=1
	s_or_b32 exec_lo, exec_lo, s19
	s_delay_alu instid0(VALU_DEP_1) | instskip(NEXT) | instid1(VALU_DEP_2)
	v_dual_lshlrev_b32 v11, 8, v16 :: v_dual_lshlrev_b32 v1, 7, v1
	v_lshl_add_u32 v6, v6, 10, 0x2000
	s_delay_alu instid0(VALU_DEP_2) | instskip(NEXT) | instid1(VALU_DEP_2)
	v_and_b32_e32 v11, 0x8000, v11
	v_and_b32_e32 v6, 0xfc00, v6
	s_delay_alu instid0(VALU_DEP_1)
	v_or3_b32 v1, v11, v6, v1
.LBB272_2062:                           ;   in Loop: Header=BB272_1066 Depth=1
	s_or_b32 exec_lo, exec_lo, s18
.LBB272_2063:                           ;   in Loop: Header=BB272_1066 Depth=1
	s_delay_alu instid0(SALU_CYCLE_1)
	s_or_b32 exec_lo, exec_lo, s17
.LBB272_2064:                           ;   in Loop: Header=BB272_1066 Depth=1
	s_delay_alu instid0(SALU_CYCLE_1) | instskip(SKIP_2) | instid1(VALU_DEP_1)
	s_or_b32 exec_lo, exec_lo, s16
	v_lshrrev_b16 v6, 8, v16
	s_mov_b32 s16, exec_lo
	v_cmpx_ne_u16_e32 0, v6
	s_cbranch_execz .LBB272_2072
; %bb.2065:                             ;   in Loop: Header=BB272_1066 Depth=1
	v_bfrev_b32_e32 v0, 1
	s_mov_b32 s17, exec_lo
	v_cmpx_ne_u16_e32 0x80, v6
	s_cbranch_execz .LBB272_2071
; %bb.2066:                             ;   in Loop: Header=BB272_1066 Depth=1
	v_and_b32_e32 v11, 0xffff, v6
	v_mov_b32_e32 v0, 0x7c010000
	s_mov_b32 s18, exec_lo
	s_delay_alu instid0(VALU_DEP_2) | instskip(NEXT) | instid1(VALU_DEP_1)
	v_and_b32_e32 v19, 0x7f, v11
	v_cmpx_ne_u32_e32 0x7f, v19
	s_cbranch_execz .LBB272_2070
; %bb.2067:                             ;   in Loop: Header=BB272_1066 Depth=1
	v_and_b32_e32 v0, 7, v11
	v_lshrrev_b32_e32 v18, 3, v19
	s_mov_b32 s19, exec_lo
	v_cmpx_gt_u32_e32 8, v19
; %bb.2068:                             ;   in Loop: Header=BB272_1066 Depth=1
	s_delay_alu instid0(VALU_DEP_3) | instskip(NEXT) | instid1(VALU_DEP_1)
	v_clz_i32_u32_e32 v0, v0
	v_min_u32_e32 v0, 32, v0
	s_delay_alu instid0(VALU_DEP_1) | instskip(NEXT) | instid1(VALU_DEP_1)
	v_subrev_nc_u32_e32 v18, 28, v0
	v_lshlrev_b64_e32 v[34:35], v18, v[6:7]
	s_delay_alu instid0(VALU_DEP_1)
	v_dual_sub_nc_u32 v18, 29, v0 :: v_dual_bitop2_b32 v0, 7, v34 bitop3:0x40
; %bb.2069:                             ;   in Loop: Header=BB272_1066 Depth=1
	s_or_b32 exec_lo, exec_lo, s19
	s_delay_alu instid0(VALU_DEP_1) | instskip(NEXT) | instid1(VALU_DEP_2)
	v_dual_lshlrev_b32 v6, 8, v11 :: v_dual_lshlrev_b32 v0, 23, v0
	v_lshl_add_u32 v11, v18, 10, 0x2000
	s_delay_alu instid0(VALU_DEP_1) | instskip(NEXT) | instid1(VALU_DEP_1)
	v_and_or_b32 v6, 0x8000, v6, v11
	v_lshl_or_b32 v0, v6, 16, v0
.LBB272_2070:                           ;   in Loop: Header=BB272_1066 Depth=1
	s_or_b32 exec_lo, exec_lo, s18
.LBB272_2071:                           ;   in Loop: Header=BB272_1066 Depth=1
	s_delay_alu instid0(SALU_CYCLE_1)
	s_or_b32 exec_lo, exec_lo, s17
.LBB272_2072:                           ;   in Loop: Header=BB272_1066 Depth=1
	s_delay_alu instid0(SALU_CYCLE_1) | instskip(SKIP_3) | instid1(VALU_DEP_2)
	s_or_b32 exec_lo, exec_lo, s16
	v_dual_mov_b32 v11, 0 :: v_dual_lshrrev_b32 v6, 16, v16
	v_mov_b32_e32 v18, 0
	s_mov_b32 s16, exec_lo
	v_and_b32_e32 v19, 0xff, v6
	s_delay_alu instid0(VALU_DEP_1)
	v_cmpx_ne_u16_e32 0, v19
	s_cbranch_execz .LBB272_2080
; %bb.2073:                             ;   in Loop: Header=BB272_1066 Depth=1
	v_mov_b32_e32 v18, 0x8000
	s_mov_b32 s17, exec_lo
	v_cmpx_ne_u16_e32 0x80, v19
	s_cbranch_execz .LBB272_2079
; %bb.2074:                             ;   in Loop: Header=BB272_1066 Depth=1
	v_bfe_u32 v34, v16, 16, 7
	v_mov_b32_e32 v18, 0x7c01
	s_mov_b32 s18, exec_lo
	s_delay_alu instid0(VALU_DEP_2)
	v_cmpx_ne_u32_e32 0x7f, v34
	s_cbranch_execz .LBB272_2078
; %bb.2075:                             ;   in Loop: Header=BB272_1066 Depth=1
	v_and_b32_e32 v18, 7, v6
	v_lshrrev_b32_e32 v19, 3, v34
	s_mov_b32 s19, exec_lo
	v_cmpx_gt_u32_e32 8, v34
; %bb.2076:                             ;   in Loop: Header=BB272_1066 Depth=1
	s_delay_alu instid0(VALU_DEP_3) | instskip(NEXT) | instid1(VALU_DEP_1)
	v_clz_i32_u32_e32 v18, v18
	v_min_u32_e32 v34, 32, v18
	s_delay_alu instid0(VALU_DEP_1) | instskip(NEXT) | instid1(VALU_DEP_1)
	v_subrev_nc_u32_e32 v18, 28, v34
	v_lshlrev_b64_e32 v[18:19], v18, v[6:7]
	v_sub_nc_u32_e32 v19, 29, v34
	s_delay_alu instid0(VALU_DEP_2)
	v_and_b32_e32 v18, 7, v18
; %bb.2077:                             ;   in Loop: Header=BB272_1066 Depth=1
	s_or_b32 exec_lo, exec_lo, s19
	v_lshlrev_b32_e32 v6, 8, v6
	s_delay_alu instid0(VALU_DEP_3) | instskip(NEXT) | instid1(VALU_DEP_3)
	v_lshl_add_u32 v19, v19, 10, 0x2000
	v_lshlrev_b32_e32 v18, 7, v18
	s_delay_alu instid0(VALU_DEP_3) | instskip(NEXT) | instid1(VALU_DEP_3)
	v_and_b32_e32 v6, 0x8000, v6
	v_and_b32_e32 v19, 0xfc00, v19
	s_delay_alu instid0(VALU_DEP_1)
	v_or3_b32 v18, v6, v19, v18
.LBB272_2078:                           ;   in Loop: Header=BB272_1066 Depth=1
	s_or_b32 exec_lo, exec_lo, s18
.LBB272_2079:                           ;   in Loop: Header=BB272_1066 Depth=1
	s_delay_alu instid0(SALU_CYCLE_1)
	s_or_b32 exec_lo, exec_lo, s17
.LBB272_2080:                           ;   in Loop: Header=BB272_1066 Depth=1
	s_delay_alu instid0(SALU_CYCLE_1) | instskip(NEXT) | instid1(SALU_CYCLE_1)
	s_or_b32 exec_lo, exec_lo, s16
	s_mov_b32 s16, exec_lo
	v_cmpx_lt_u32_e32 0xffffff, v16
	s_cbranch_execz .LBB272_2088
; %bb.2081:                             ;   in Loop: Header=BB272_1066 Depth=1
	v_lshrrev_b32_e32 v6, 24, v16
	v_bfrev_b32_e32 v11, 1
	s_mov_b32 s17, exec_lo
	s_delay_alu instid0(VALU_DEP_2)
	v_cmpx_ne_u32_e32 0x80, v6
	s_cbranch_execz .LBB272_2087
; %bb.2082:                             ;   in Loop: Header=BB272_1066 Depth=1
	v_and_b32_e32 v34, 0x7f, v6
	v_mov_b32_e32 v11, 0x7c010000
	s_mov_b32 s18, exec_lo
	s_delay_alu instid0(VALU_DEP_2)
	v_cmpx_ne_u32_e32 0x7f, v34
	s_cbranch_execz .LBB272_2086
; %bb.2083:                             ;   in Loop: Header=BB272_1066 Depth=1
	v_and_b32_e32 v11, 7, v6
	v_lshrrev_b32_e32 v19, 3, v34
	s_mov_b32 s19, exec_lo
	v_cmpx_gt_u32_e32 8, v34
; %bb.2084:                             ;   in Loop: Header=BB272_1066 Depth=1
	s_delay_alu instid0(VALU_DEP_3) | instskip(NEXT) | instid1(VALU_DEP_1)
	v_clz_i32_u32_e32 v11, v11
	v_min_u32_e32 v11, 32, v11
	s_delay_alu instid0(VALU_DEP_1) | instskip(NEXT) | instid1(VALU_DEP_1)
	v_subrev_nc_u32_e32 v19, 28, v11
	v_lshlrev_b64_e32 v[34:35], v19, v[6:7]
	s_delay_alu instid0(VALU_DEP_1)
	v_dual_sub_nc_u32 v19, 29, v11 :: v_dual_bitop2_b32 v11, 7, v34 bitop3:0x40
; %bb.2085:                             ;   in Loop: Header=BB272_1066 Depth=1
	s_or_b32 exec_lo, exec_lo, s19
	s_delay_alu instid0(VALU_DEP_1) | instskip(NEXT) | instid1(VALU_DEP_2)
	v_dual_lshlrev_b32 v6, 8, v6 :: v_dual_lshlrev_b32 v11, 23, v11
	v_lshl_add_u32 v19, v19, 10, 0x2000
	s_delay_alu instid0(VALU_DEP_1) | instskip(NEXT) | instid1(VALU_DEP_1)
	v_and_or_b32 v6, 0x8000, v6, v19
	v_lshl_or_b32 v11, v6, 16, v11
.LBB272_2086:                           ;   in Loop: Header=BB272_1066 Depth=1
	s_or_b32 exec_lo, exec_lo, s18
.LBB272_2087:                           ;   in Loop: Header=BB272_1066 Depth=1
	s_delay_alu instid0(SALU_CYCLE_1)
	s_or_b32 exec_lo, exec_lo, s17
.LBB272_2088:                           ;   in Loop: Header=BB272_1066 Depth=1
	s_delay_alu instid0(SALU_CYCLE_1) | instskip(SKIP_4) | instid1(VALU_DEP_3)
	s_or_b32 exec_lo, exec_lo, s16
	v_and_b32_e32 v35, 0xff, v17
	v_dual_mov_b32 v6, v17 :: v_dual_mov_b32 v34, 0
	v_mov_b32_e32 v19, 0
	s_mov_b32 s16, exec_lo
	v_cmpx_ne_u16_e32 0, v35
	s_cbranch_execz .LBB272_2096
; %bb.2089:                             ;   in Loop: Header=BB272_1066 Depth=1
	v_mov_b32_e32 v19, 0x8000
	s_mov_b32 s17, exec_lo
	v_cmpx_ne_u16_e32 0x80, v35
	s_cbranch_execz .LBB272_2095
; %bb.2090:                             ;   in Loop: Header=BB272_1066 Depth=1
	v_and_b32_e32 v36, 0x7f, v17
	v_mov_b32_e32 v19, 0x7c01
	s_mov_b32 s18, exec_lo
	s_delay_alu instid0(VALU_DEP_2)
	v_cmpx_ne_u32_e32 0x7f, v36
	s_cbranch_execz .LBB272_2094
; %bb.2091:                             ;   in Loop: Header=BB272_1066 Depth=1
	v_dual_lshrrev_b32 v35, 3, v36 :: v_dual_bitop2_b32 v19, 7, v17 bitop3:0x40
	s_mov_b32 s19, exec_lo
	v_cmpx_gt_u32_e32 8, v36
; %bb.2092:                             ;   in Loop: Header=BB272_1066 Depth=1
	s_delay_alu instid0(VALU_DEP_2) | instskip(NEXT) | instid1(VALU_DEP_1)
	v_clz_i32_u32_e32 v19, v19
	v_min_u32_e32 v19, 32, v19
	s_delay_alu instid0(VALU_DEP_1) | instskip(NEXT) | instid1(VALU_DEP_1)
	v_subrev_nc_u32_e32 v35, 28, v19
	v_lshlrev_b64_e32 v[36:37], v35, v[6:7]
	s_delay_alu instid0(VALU_DEP_1)
	v_dual_sub_nc_u32 v35, 29, v19 :: v_dual_bitop2_b32 v19, 7, v36 bitop3:0x40
; %bb.2093:                             ;   in Loop: Header=BB272_1066 Depth=1
	s_or_b32 exec_lo, exec_lo, s19
	s_delay_alu instid0(VALU_DEP_1) | instskip(NEXT) | instid1(VALU_DEP_2)
	v_dual_lshlrev_b32 v36, 8, v17 :: v_dual_lshlrev_b32 v19, 7, v19
	v_lshl_add_u32 v35, v35, 10, 0x2000
	s_delay_alu instid0(VALU_DEP_2) | instskip(NEXT) | instid1(VALU_DEP_2)
	v_and_b32_e32 v36, 0x8000, v36
	v_and_b32_e32 v35, 0xfc00, v35
	s_delay_alu instid0(VALU_DEP_1)
	v_or3_b32 v19, v36, v35, v19
.LBB272_2094:                           ;   in Loop: Header=BB272_1066 Depth=1
	s_or_b32 exec_lo, exec_lo, s18
.LBB272_2095:                           ;   in Loop: Header=BB272_1066 Depth=1
	s_delay_alu instid0(SALU_CYCLE_1)
	s_or_b32 exec_lo, exec_lo, s17
.LBB272_2096:                           ;   in Loop: Header=BB272_1066 Depth=1
	s_delay_alu instid0(SALU_CYCLE_1) | instskip(SKIP_3) | instid1(VALU_DEP_2)
	s_or_b32 exec_lo, exec_lo, s16
	v_lshrrev_b16 v6, 8, v6
	v_mov_b32_e32 v35, 0
	s_mov_b32 s16, exec_lo
	v_cmpx_ne_u16_e32 0, v6
	s_cbranch_execz .LBB272_2104
; %bb.2097:                             ;   in Loop: Header=BB272_1066 Depth=1
	v_bfrev_b32_e32 v35, 1
	s_mov_b32 s17, exec_lo
	v_cmpx_ne_u16_e32 0x80, v6
	s_cbranch_execz .LBB272_2103
; %bb.2098:                             ;   in Loop: Header=BB272_1066 Depth=1
	v_and_b32_e32 v36, 0xffff, v6
	v_mov_b32_e32 v35, 0x7c010000
	s_mov_b32 s18, exec_lo
	s_delay_alu instid0(VALU_DEP_2) | instskip(NEXT) | instid1(VALU_DEP_1)
	v_and_b32_e32 v38, 0x7f, v36
	v_cmpx_ne_u32_e32 0x7f, v38
	s_cbranch_execz .LBB272_2102
; %bb.2099:                             ;   in Loop: Header=BB272_1066 Depth=1
	v_dual_lshrrev_b32 v37, 3, v38 :: v_dual_bitop2_b32 v35, 7, v36 bitop3:0x40
	s_mov_b32 s19, exec_lo
	v_cmpx_gt_u32_e32 8, v38
; %bb.2100:                             ;   in Loop: Header=BB272_1066 Depth=1
	s_delay_alu instid0(VALU_DEP_2) | instskip(NEXT) | instid1(VALU_DEP_1)
	v_clz_i32_u32_e32 v35, v35
	v_min_u32_e32 v35, 32, v35
	s_delay_alu instid0(VALU_DEP_1) | instskip(NEXT) | instid1(VALU_DEP_1)
	v_subrev_nc_u32_e32 v37, 28, v35
	v_lshlrev_b64_e32 v[38:39], v37, v[6:7]
	s_delay_alu instid0(VALU_DEP_1)
	v_dual_sub_nc_u32 v37, 29, v35 :: v_dual_bitop2_b32 v35, 7, v38 bitop3:0x40
; %bb.2101:                             ;   in Loop: Header=BB272_1066 Depth=1
	s_or_b32 exec_lo, exec_lo, s19
	s_delay_alu instid0(VALU_DEP_1) | instskip(NEXT) | instid1(VALU_DEP_2)
	v_dual_lshlrev_b32 v6, 8, v36 :: v_dual_lshlrev_b32 v35, 23, v35
	v_lshl_add_u32 v36, v37, 10, 0x2000
	s_delay_alu instid0(VALU_DEP_1) | instskip(NEXT) | instid1(VALU_DEP_1)
	v_and_or_b32 v6, 0x8000, v6, v36
	v_lshl_or_b32 v35, v6, 16, v35
.LBB272_2102:                           ;   in Loop: Header=BB272_1066 Depth=1
	s_or_b32 exec_lo, exec_lo, s18
.LBB272_2103:                           ;   in Loop: Header=BB272_1066 Depth=1
	s_delay_alu instid0(SALU_CYCLE_1)
	s_or_b32 exec_lo, exec_lo, s17
.LBB272_2104:                           ;   in Loop: Header=BB272_1066 Depth=1
	s_delay_alu instid0(SALU_CYCLE_1) | instskip(SKIP_2) | instid1(VALU_DEP_1)
	s_or_b32 exec_lo, exec_lo, s16
	v_lshrrev_b32_e32 v6, 16, v17
	s_mov_b32 s16, exec_lo
	v_and_b32_e32 v36, 0xff, v6
	s_delay_alu instid0(VALU_DEP_1)
	v_cmpx_ne_u16_e32 0, v36
	s_cbranch_execz .LBB272_2112
; %bb.2105:                             ;   in Loop: Header=BB272_1066 Depth=1
	v_mov_b32_e32 v34, 0x8000
	s_mov_b32 s17, exec_lo
	v_cmpx_ne_u16_e32 0x80, v36
	s_cbranch_execz .LBB272_2111
; %bb.2106:                             ;   in Loop: Header=BB272_1066 Depth=1
	v_bfe_u32 v37, v17, 16, 7
	v_mov_b32_e32 v34, 0x7c01
	s_mov_b32 s18, exec_lo
	s_delay_alu instid0(VALU_DEP_2)
	v_cmpx_ne_u32_e32 0x7f, v37
	s_cbranch_execz .LBB272_2110
; %bb.2107:                             ;   in Loop: Header=BB272_1066 Depth=1
	v_dual_lshrrev_b32 v36, 3, v37 :: v_dual_bitop2_b32 v34, 7, v6 bitop3:0x40
	s_mov_b32 s19, exec_lo
	v_cmpx_gt_u32_e32 8, v37
; %bb.2108:                             ;   in Loop: Header=BB272_1066 Depth=1
	s_delay_alu instid0(VALU_DEP_2) | instskip(NEXT) | instid1(VALU_DEP_1)
	v_clz_i32_u32_e32 v34, v34
	v_min_u32_e32 v34, 32, v34
	s_delay_alu instid0(VALU_DEP_1) | instskip(NEXT) | instid1(VALU_DEP_1)
	v_subrev_nc_u32_e32 v36, 28, v34
	v_lshlrev_b64_e32 v[38:39], v36, v[6:7]
	v_sub_nc_u32_e32 v36, 29, v34
	s_delay_alu instid0(VALU_DEP_2)
	v_and_b32_e32 v34, 7, v38
; %bb.2109:                             ;   in Loop: Header=BB272_1066 Depth=1
	s_or_b32 exec_lo, exec_lo, s19
	v_lshlrev_b32_e32 v6, 8, v6
	s_delay_alu instid0(VALU_DEP_3) | instskip(NEXT) | instid1(VALU_DEP_3)
	v_lshl_add_u32 v36, v36, 10, 0x2000
	v_lshlrev_b32_e32 v34, 7, v34
	s_delay_alu instid0(VALU_DEP_3) | instskip(NEXT) | instid1(VALU_DEP_3)
	v_and_b32_e32 v6, 0x8000, v6
	v_and_b32_e32 v36, 0xfc00, v36
	s_delay_alu instid0(VALU_DEP_1)
	v_or3_b32 v34, v6, v36, v34
.LBB272_2110:                           ;   in Loop: Header=BB272_1066 Depth=1
	s_or_b32 exec_lo, exec_lo, s18
.LBB272_2111:                           ;   in Loop: Header=BB272_1066 Depth=1
	s_delay_alu instid0(SALU_CYCLE_1)
	s_or_b32 exec_lo, exec_lo, s17
.LBB272_2112:                           ;   in Loop: Header=BB272_1066 Depth=1
	s_delay_alu instid0(SALU_CYCLE_1)
	s_or_b32 exec_lo, exec_lo, s16
	v_cmp_lt_u64_e64 s1, s[2:3], v[16:17]
	v_mov_b32_e32 v16, 0
	s_and_saveexec_b32 s16, s1
	s_cbranch_execz .LBB272_2120
; %bb.2113:                             ;   in Loop: Header=BB272_1066 Depth=1
	v_lshrrev_b32_e32 v6, 24, v17
	v_bfrev_b32_e32 v16, 1
	s_mov_b32 s17, exec_lo
	s_delay_alu instid0(VALU_DEP_2)
	v_cmpx_ne_u32_e32 0x80, v6
	s_cbranch_execz .LBB272_2119
; %bb.2114:                             ;   in Loop: Header=BB272_1066 Depth=1
	v_and_b32_e32 v36, 0x7f, v6
	v_mov_b32_e32 v16, 0x7c010000
	s_mov_b32 s18, exec_lo
	s_delay_alu instid0(VALU_DEP_2)
	v_cmpx_ne_u32_e32 0x7f, v36
	s_cbranch_execz .LBB272_2118
; %bb.2115:                             ;   in Loop: Header=BB272_1066 Depth=1
	v_dual_lshrrev_b32 v17, 3, v36 :: v_dual_bitop2_b32 v16, 7, v6 bitop3:0x40
	s_mov_b32 s19, exec_lo
	v_cmpx_gt_u32_e32 8, v36
; %bb.2116:                             ;   in Loop: Header=BB272_1066 Depth=1
	s_delay_alu instid0(VALU_DEP_2) | instskip(NEXT) | instid1(VALU_DEP_1)
	v_clz_i32_u32_e32 v16, v16
	v_min_u32_e32 v36, 32, v16
	s_delay_alu instid0(VALU_DEP_1) | instskip(NEXT) | instid1(VALU_DEP_1)
	v_subrev_nc_u32_e32 v16, 28, v36
	v_lshlrev_b64_e32 v[16:17], v16, v[6:7]
	v_sub_nc_u32_e32 v17, 29, v36
	s_delay_alu instid0(VALU_DEP_2)
	v_and_b32_e32 v16, 7, v16
; %bb.2117:                             ;   in Loop: Header=BB272_1066 Depth=1
	s_or_b32 exec_lo, exec_lo, s19
	s_delay_alu instid0(VALU_DEP_1) | instskip(NEXT) | instid1(VALU_DEP_3)
	v_dual_lshlrev_b32 v6, 8, v6 :: v_dual_lshlrev_b32 v16, 23, v16
	v_lshl_add_u32 v17, v17, 10, 0x2000
	s_delay_alu instid0(VALU_DEP_1) | instskip(NEXT) | instid1(VALU_DEP_1)
	v_and_or_b32 v6, 0x8000, v6, v17
	v_lshl_or_b32 v16, v6, 16, v16
.LBB272_2118:                           ;   in Loop: Header=BB272_1066 Depth=1
	s_or_b32 exec_lo, exec_lo, s18
.LBB272_2119:                           ;   in Loop: Header=BB272_1066 Depth=1
	s_delay_alu instid0(SALU_CYCLE_1)
	s_or_b32 exec_lo, exec_lo, s17
.LBB272_2120:                           ;   in Loop: Header=BB272_1066 Depth=1
	s_delay_alu instid0(SALU_CYCLE_1) | instskip(SKIP_3) | instid1(VALU_DEP_3)
	s_or_b32 exec_lo, exec_lo, s16
	v_dual_lshrrev_b32 v6, 16, v0 :: v_dual_lshrrev_b32 v17, 16, v11
	v_or_b32_e32 v36, v0, v1
	v_dual_lshrrev_b32 v18, 16, v35 :: v_dual_bitop2_b32 v11, v11, v18 bitop3:0x54
	v_cvt_f32_f16_e32 v1, v6
	s_delay_alu instid0(VALU_DEP_4) | instskip(SKIP_1) | instid1(VALU_DEP_4)
	v_cvt_f32_f16_e32 v0, v17
	v_dual_lshrrev_b32 v34, 16, v16 :: v_dual_bitop2_b32 v6, v16, v34 bitop3:0x54
	v_cvt_f32_f16_e32 v16, v11
	v_cvt_f32_f16_e32 v17, v36
	s_wait_loadcnt_dscnt 0x0
	v_pk_mul_f32 v[0:1], v[10:11], v[0:1] op_sel_hi:[0,1]
	v_or_b32_e32 v11, v35, v19
	v_cvt_f32_f16_e32 v19, v18
	v_cvt_f32_f16_e32 v18, v34
	s_delay_alu instid0(VALU_DEP_3) | instskip(NEXT) | instid1(VALU_DEP_1)
	v_pk_mul_f32 v[16:17], v[10:11], v[16:17] op_sel_hi:[0,1]
	v_cvt_pk_f16_f32 v16, v16, v17
	s_delay_alu instid0(VALU_DEP_1) | instskip(SKIP_3) | instid1(VALU_DEP_2)
	v_lshrrev_b32_e32 v39, 16, v16
	v_cvt_f32_f16_e32 v34, v6
	v_cvt_pk_f16_f32 v6, v0, v1
	v_and_b32_e32 v38, 0xffff, v16
	v_lshlrev_b32_e32 v36, 16, v6
	v_cvt_f32_f16_e32 v35, v11
	v_pk_mul_f32 v[0:1], v[10:11], v[18:19] op_sel_hi:[0,1]
	v_and_b32_e32 v37, 0xffff0000, v6
	s_delay_alu instid0(VALU_DEP_3) | instskip(NEXT) | instid1(VALU_DEP_3)
	v_pk_mul_f32 v[10:11], v[10:11], v[34:35] op_sel_hi:[0,1]
	v_cvt_pk_f16_f32 v0, v0, v1
	s_delay_alu instid0(VALU_DEP_3) | instskip(NEXT) | instid1(VALU_DEP_3)
	v_or_b32_e32 v17, v37, v39
	v_cvt_pk_f16_f32 v1, v10, v11
	s_delay_alu instid0(VALU_DEP_3) | instskip(SKIP_1) | instid1(VALU_DEP_3)
	v_and_b32_e32 v19, 0xffff0000, v0
	v_dual_lshlrev_b32 v16, 16, v0 :: v_dual_bitop2_b32 v10, v36, v38 bitop3:0x54
	v_lshrrev_b32_e32 v35, 16, v1
	v_and_b32_e32 v34, 0xffff, v1
	s_delay_alu instid0(VALU_DEP_2) | instskip(NEXT) | instid1(VALU_DEP_2)
	v_or_b32_e32 v11, v19, v35
	v_or_b32_e32 v6, v16, v34
	s_and_saveexec_b32 s1, vcc_lo
	s_cbranch_execz .LBB272_1065
; %bb.2121:                             ;   in Loop: Header=BB272_1066 Depth=1
	v_cmp_lt_i32_e32 vcc_lo, v66, v13
	v_cndmask_b32_e32 v0, 0, v39, vcc_lo
	v_cmp_lt_i32_e32 vcc_lo, v83, v12
	v_cndmask_b32_e32 v1, 0, v38, vcc_lo
	;; [unrolled: 2-line block ×4, first 2 shown]
	v_cmp_lt_i32_e32 vcc_lo, v80, v13
	s_delay_alu instid0(VALU_DEP_4) | instskip(NEXT) | instid1(VALU_DEP_3)
	v_or_b32_e32 v17, v0, v6
	v_dual_cndmask_b32 v11, 0, v35, vcc_lo :: v_dual_bitop2_b32 v10, v1, v10 bitop3:0x54
	v_cmp_lt_i32_e32 vcc_lo, v71, v12
	v_cndmask_b32_e32 v18, 0, v34, vcc_lo
	v_cmp_lt_i32_e32 vcc_lo, v70, v13
	v_cndmask_b32_e32 v19, 0, v19, vcc_lo
	v_cmp_lt_i32_e32 vcc_lo, v69, v12
	s_delay_alu instid0(VALU_DEP_2) | instskip(NEXT) | instid1(VALU_DEP_1)
	v_dual_cndmask_b32 v16, 0, v16, vcc_lo :: v_dual_bitop2_b32 v11, v11, v19 bitop3:0x54
	v_or_b32_e32 v6, v18, v16
	s_branch .LBB272_1065
.LBB272_2122:
	s_or_b32 exec_lo, exec_lo, s5
	v_mov_b64_e32 v[34:35], s[10:11]
.LBB272_2123:
	s_or_b32 exec_lo, exec_lo, s4
	ds_bpermute_b32 v10, v64, v28
	ds_bpermute_b32 v11, v64, v29
	v_lshl_add_u64 v[0:1], v[34:35], 2, s[8:9]
	s_wait_storecnt_dscnt 0x0
	s_barrier_signal -1
	s_barrier_wait -1
	global_load_b32 v0, v[0:1], off
	ds_bpermute_b32 v2, v64, v32
	ds_bpermute_b32 v3, v64, v33
	;; [unrolled: 1-line block ×12, first 2 shown]
	s_mov_b32 s1, exec_lo
	v_pk_add_f32 v[14:15], v[28:29], v[10:11]
	scratch_load_b32 v29, off, s32 offset:364 ; 4-byte Folded Reload
	ds_bpermute_b32 v22, v64, v4
	ds_bpermute_b32 v23, v64, v5
	s_wait_dscnt 0xc
	v_pk_add_f32 v[18:19], v[32:33], v[2:3]
	s_wait_dscnt 0xa
	v_pk_add_f32 v[16:17], v[30:31], v[6:7]
	;; [unrolled: 2-line block ×6, first 2 shown]
	v_lshrrev_b32_e32 v8, 1, v55
	s_wait_loadcnt 0x0
	v_and_b32_e32 v1, 0x3c1, v29
	s_delay_alu instid0(VALU_DEP_1) | instskip(SKIP_1) | instid1(SALU_CYCLE_1)
	v_cmpx_ne_u32_e32 64, v1
	s_xor_b32 s1, exec_lo, s1
	s_or_saveexec_b32 s1, s1
	scratch_load_b32 v9, off, s32 offset:368 th:TH_LOAD_LU ; 4-byte Folded Reload
	s_wait_dscnt 0x0
	v_pk_add_f32 v[4:5], v[4:5], v[22:23]
	v_lshl_add_u32 v1, v8, 2, v0
	s_wait_loadcnt 0x0
	v_lshlrev_b32_e32 v9, 10, v9
	s_xor_b32 exec_lo, exec_lo, s1
	s_cbranch_execz .LBB272_2125
; %bb.2124:
	s_delay_alu instid0(VALU_DEP_1) | instskip(NEXT) | instid1(VALU_DEP_1)
	v_add_nc_u32_e32 v20, v1, v9
	v_add_nc_u32_e32 v21, 0xfffff800, v20
	;; [unrolled: 1-line block ×9, first 2 shown]
	ds_store_b32 v21, v18
	ds_store_b32 v22, v19
	;; [unrolled: 1-line block ×8, first 2 shown]
	v_add_nc_u32_e32 v21, 0xfffffa00, v20
	v_add_nc_u32_e32 v22, 0xfffffa40, v20
	;; [unrolled: 1-line block ×8, first 2 shown]
	ds_store_b32 v21, v10
	ds_store_b32 v22, v11
	;; [unrolled: 1-line block ×8, first 2 shown]
.LBB272_2125:
	s_or_b32 exec_lo, exec_lo, s1
	scratch_load_b32 v20, off, s32 offset:372 th:TH_LOAD_LU ; 4-byte Folded Reload
	v_lshlrev_b32_e32 v8, 2, v8
	s_wait_loadcnt_dscnt 0x0
	s_barrier_signal -1
	s_barrier_wait -1
	s_delay_alu instid0(VALU_DEP_1)
	v_add3_u32 v0, v0, v9, v8
	v_cmp_eq_u32_e32 vcc_lo, 0, v20
	s_and_saveexec_b32 s1, s0
	s_cbranch_execz .LBB272_2144
; %bb.2126:
	s_and_saveexec_b32 s0, vcc_lo
	s_cbranch_execnz .LBB272_2168
; %bb.2127:
	s_or_b32 exec_lo, exec_lo, s0
	s_and_saveexec_b32 s0, vcc_lo
	s_cbranch_execnz .LBB272_2169
.LBB272_2128:
	s_or_b32 exec_lo, exec_lo, s0
	s_and_saveexec_b32 s0, vcc_lo
	s_cbranch_execnz .LBB272_2170
.LBB272_2129:
	s_or_b32 exec_lo, exec_lo, s0
	s_and_saveexec_b32 s0, vcc_lo
	s_cbranch_execnz .LBB272_2171
.LBB272_2130:
	s_or_b32 exec_lo, exec_lo, s0
	s_and_saveexec_b32 s0, vcc_lo
	s_cbranch_execnz .LBB272_2172
.LBB272_2131:
	s_or_b32 exec_lo, exec_lo, s0
	s_and_saveexec_b32 s0, vcc_lo
	s_cbranch_execnz .LBB272_2173
.LBB272_2132:
	s_or_b32 exec_lo, exec_lo, s0
	s_and_saveexec_b32 s0, vcc_lo
	s_cbranch_execnz .LBB272_2174
.LBB272_2133:
	s_or_b32 exec_lo, exec_lo, s0
	s_and_saveexec_b32 s0, vcc_lo
	s_cbranch_execnz .LBB272_2175
.LBB272_2134:
	s_or_b32 exec_lo, exec_lo, s0
	s_and_saveexec_b32 s0, vcc_lo
	s_cbranch_execnz .LBB272_2176
.LBB272_2135:
	s_or_b32 exec_lo, exec_lo, s0
	s_and_saveexec_b32 s0, vcc_lo
	s_cbranch_execnz .LBB272_2177
.LBB272_2136:
	s_or_b32 exec_lo, exec_lo, s0
	s_and_saveexec_b32 s0, vcc_lo
	s_cbranch_execnz .LBB272_2178
.LBB272_2137:
	s_or_b32 exec_lo, exec_lo, s0
	s_and_saveexec_b32 s0, vcc_lo
	s_cbranch_execnz .LBB272_2179
.LBB272_2138:
	s_or_b32 exec_lo, exec_lo, s0
	s_and_saveexec_b32 s0, vcc_lo
	s_cbranch_execnz .LBB272_2180
.LBB272_2139:
	s_or_b32 exec_lo, exec_lo, s0
	s_and_saveexec_b32 s0, vcc_lo
	s_cbranch_execnz .LBB272_2181
.LBB272_2140:
	s_or_b32 exec_lo, exec_lo, s0
	s_and_saveexec_b32 s0, vcc_lo
	s_cbranch_execnz .LBB272_2182
.LBB272_2141:
	s_or_b32 exec_lo, exec_lo, s0
	s_and_saveexec_b32 s0, vcc_lo
	s_cbranch_execz .LBB272_2143
.LBB272_2142:
	ds_load_b32 v8, v0 offset:960
	s_wait_dscnt 0x0
	v_add_f32_e32 v5, v8, v5
.LBB272_2143:
	s_or_b32 exec_lo, exec_lo, s0
.LBB272_2144:
	s_delay_alu instid0(SALU_CYCLE_1) | instskip(SKIP_4) | instid1(VALU_DEP_1)
	s_or_b32 exec_lo, exec_lo, s1
	v_and_b32_e32 v8, 0x3e1, v29
	s_mov_b32 s1, exec_lo
	s_barrier_signal -1
	s_barrier_wait -1
	v_cmpx_eq_u32_e32 32, v8
	s_cbranch_execz .LBB272_2146
; %bb.2145:
	ds_store_2addr_b32 v1, v18, v19 offset1:16
	ds_store_2addr_b32 v1, v16, v17 offset0:32 offset1:48
	ds_store_2addr_b32 v1, v14, v15 offset0:64 offset1:80
	;; [unrolled: 1-line block ×7, first 2 shown]
.LBB272_2146:
	s_or_b32 exec_lo, exec_lo, s1
	s_delay_alu instid0(SALU_CYCLE_1)
	s_mov_b32 s1, exec_lo
	s_wait_dscnt 0x0
	s_barrier_signal -1
	s_barrier_wait -1
	v_cmpx_gt_u32_e32 32, v29
	s_cbranch_execz .LBB272_2165
; %bb.2147:
	s_and_saveexec_b32 s0, vcc_lo
	s_cbranch_execnz .LBB272_2183
; %bb.2148:
	s_or_b32 exec_lo, exec_lo, s0
	s_and_saveexec_b32 s0, vcc_lo
	s_cbranch_execnz .LBB272_2184
.LBB272_2149:
	s_or_b32 exec_lo, exec_lo, s0
	s_and_saveexec_b32 s0, vcc_lo
	s_cbranch_execnz .LBB272_2185
.LBB272_2150:
	s_or_b32 exec_lo, exec_lo, s0
	s_and_saveexec_b32 s0, vcc_lo
	s_cbranch_execnz .LBB272_2186
.LBB272_2151:
	s_or_b32 exec_lo, exec_lo, s0
	s_and_saveexec_b32 s0, vcc_lo
	s_cbranch_execnz .LBB272_2187
.LBB272_2152:
	s_or_b32 exec_lo, exec_lo, s0
	s_and_saveexec_b32 s0, vcc_lo
	s_cbranch_execnz .LBB272_2188
.LBB272_2153:
	s_or_b32 exec_lo, exec_lo, s0
	s_and_saveexec_b32 s0, vcc_lo
	s_cbranch_execnz .LBB272_2189
.LBB272_2154:
	s_or_b32 exec_lo, exec_lo, s0
	s_and_saveexec_b32 s0, vcc_lo
	s_cbranch_execnz .LBB272_2190
.LBB272_2155:
	s_or_b32 exec_lo, exec_lo, s0
	s_and_saveexec_b32 s0, vcc_lo
	s_cbranch_execnz .LBB272_2191
.LBB272_2156:
	s_or_b32 exec_lo, exec_lo, s0
	s_and_saveexec_b32 s0, vcc_lo
	s_cbranch_execnz .LBB272_2192
.LBB272_2157:
	s_or_b32 exec_lo, exec_lo, s0
	s_and_saveexec_b32 s0, vcc_lo
	s_cbranch_execnz .LBB272_2193
.LBB272_2158:
	s_or_b32 exec_lo, exec_lo, s0
	s_and_saveexec_b32 s0, vcc_lo
	s_cbranch_execnz .LBB272_2194
.LBB272_2159:
	s_or_b32 exec_lo, exec_lo, s0
	s_and_saveexec_b32 s0, vcc_lo
	s_cbranch_execnz .LBB272_2195
.LBB272_2160:
	s_or_b32 exec_lo, exec_lo, s0
	s_and_saveexec_b32 s0, vcc_lo
	s_cbranch_execnz .LBB272_2196
.LBB272_2161:
	s_or_b32 exec_lo, exec_lo, s0
	s_and_saveexec_b32 s0, vcc_lo
	s_cbranch_execnz .LBB272_2197
.LBB272_2162:
	s_or_b32 exec_lo, exec_lo, s0
	s_and_saveexec_b32 s0, vcc_lo
	s_cbranch_execz .LBB272_2164
.LBB272_2163:
	ds_load_b32 v0, v0 offset:960
	s_wait_dscnt 0x0
	v_add_f32_e32 v5, v0, v5
.LBB272_2164:
	s_or_b32 exec_lo, exec_lo, s0
.LBB272_2165:
	s_delay_alu instid0(SALU_CYCLE_1)
	s_or_b32 exec_lo, exec_lo, s1
	s_mov_b32 s1, 0
	s_mov_b32 s2, exec_lo
	s_barrier_signal -1
	s_barrier_wait -1
	v_cmpx_eq_u32_e32 0, v8
	s_cbranch_execz .LBB272_2167
; %bb.2166:
	s_clause 0x1
	scratch_load_b64 v[0:1], off, s32 offset:416 th:TH_LOAD_LU
	scratch_load_b32 v8, off, s32 offset:392 th:TH_LOAD_LU
	s_and_b32 s0, 0xffff, s15
	v_mov_b32_e32 v9, 0
	s_cmp_lg_u32 s0, 0
	s_cselect_b32 s0, -1, 0
	s_delay_alu instid0(SALU_CYCLE_1)
	s_cmp_lg_u32 s0, 0
	s_wait_kmcnt 0x0
	s_add_co_ci_u32 s0, s7, 0
	s_bfe_u32 s7, ttmp6, 0x40014
	s_mul_i32 s4, s13, s0
	s_lshr_b32 s3, ttmp7, 16
	s_mul_i32 s4, s4, s14
	s_add_co_i32 s7, s7, 1
	s_lshl_b32 s4, s4, 8
	s_bfe_u32 s8, ttmp6, 0x40008
	s_ashr_i32 s5, s4, 31
	s_mul_i32 s6, s6, s0
	s_mul_i32 s0, s3, s7
	s_ashr_i32 s7, s6, 31
	s_add_co_i32 s8, s8, s0
	s_cmp_eq_u32 s12, 0
	s_cselect_b32 s0, s3, s8
	s_delay_alu instid0(SALU_CYCLE_1) | instskip(SKIP_4) | instid1(VALU_DEP_2)
	s_lshl_b32 s0, s0, 9
	s_wait_loadcnt 0x1
	v_lshl_add_u64 v[0:1], s[4:5], 1, v[0:1]
	s_wait_loadcnt 0x0
	v_lshlrev_b32_e32 v8, 1, v8
	v_lshl_add_u64 v[0:1], s[6:7], 1, v[0:1]
	s_delay_alu instid0(VALU_DEP_1) | instskip(NEXT) | instid1(VALU_DEP_1)
	v_add_nc_u64_e32 v[0:1], s[0:1], v[0:1]
	v_add_nc_u64_e32 v[0:1], v[0:1], v[8:9]
	;;#ASMSTART
	v_cvt_f16_f32 v8, v18;

	;;#ASMEND
	flat_store_b16 v[0:1], v8
	s_wait_xcnt 0x0
	;;#ASMSTART
	v_cvt_f16_f32 v8, v19;

	;;#ASMEND
	flat_store_b16 v[0:1], v8 offset:32
	s_wait_xcnt 0x0
	;;#ASMSTART
	v_cvt_f16_f32 v8, v16;

	;;#ASMEND
	flat_store_b16 v[0:1], v8 offset:64
	;; [unrolled: 6-line block ×9, first 2 shown]
	;;#ASMSTART
	v_cvt_f16_f32 v6, v6;

	;;#ASMEND
	flat_store_b16 v[0:1], v6 offset:320
	s_wait_xcnt 0x0
	;;#ASMSTART
	v_cvt_f16_f32 v6, v7;

	;;#ASMEND
	flat_store_b16 v[0:1], v6 offset:352
	;;#ASMSTART
	v_cvt_f16_f32 v2, v2;

	;;#ASMEND
	flat_store_b16 v[0:1], v2 offset:384
	s_wait_xcnt 0x0
	;;#ASMSTART
	v_cvt_f16_f32 v2, v3;

	;;#ASMEND
	flat_store_b16 v[0:1], v2 offset:416
	s_wait_xcnt 0x0
	;; [unrolled: 6-line block ×3, first 2 shown]
	;;#ASMSTART
	v_cvt_f16_f32 v2, v5;

	;;#ASMEND
	flat_store_b16 v[0:1], v2 offset:480
.LBB272_2167:
	s_wait_xcnt 0x0
	s_or_b32 exec_lo, exec_lo, s2
	s_clause 0x2f
	scratch_load_b32 v127, off, s32
	scratch_load_b32 v126, off, s32 offset:4
	scratch_load_b32 v125, off, s32 offset:8
	;; [unrolled: 1-line block ×47, first 2 shown]
	s_wait_loadcnt_dscnt 0x0
	s_wait_kmcnt 0x0
	s_set_pc_i64 s[30:31]
.LBB272_2168:
	ds_load_b32 v8, v0
	s_wait_dscnt 0x0
	v_add_f32_e32 v18, v8, v18
	s_or_b32 exec_lo, exec_lo, s0
	s_and_saveexec_b32 s0, vcc_lo
	s_cbranch_execz .LBB272_2128
.LBB272_2169:
	ds_load_b32 v8, v0 offset:64
	s_wait_dscnt 0x0
	v_add_f32_e32 v19, v8, v19
	s_or_b32 exec_lo, exec_lo, s0
	s_and_saveexec_b32 s0, vcc_lo
	s_cbranch_execz .LBB272_2129
.LBB272_2170:
	ds_load_b32 v8, v0 offset:128
	s_wait_dscnt 0x0
	v_add_f32_e32 v16, v8, v16
	s_or_b32 exec_lo, exec_lo, s0
	s_and_saveexec_b32 s0, vcc_lo
	s_cbranch_execz .LBB272_2130
.LBB272_2171:
	ds_load_b32 v8, v0 offset:192
	s_wait_dscnt 0x0
	v_add_f32_e32 v17, v8, v17
	s_or_b32 exec_lo, exec_lo, s0
	s_and_saveexec_b32 s0, vcc_lo
	s_cbranch_execz .LBB272_2131
.LBB272_2172:
	ds_load_b32 v8, v0 offset:256
	s_wait_dscnt 0x0
	v_add_f32_e32 v14, v8, v14
	s_or_b32 exec_lo, exec_lo, s0
	s_and_saveexec_b32 s0, vcc_lo
	s_cbranch_execz .LBB272_2132
.LBB272_2173:
	ds_load_b32 v8, v0 offset:320
	s_wait_dscnt 0x0
	v_add_f32_e32 v15, v8, v15
	s_or_b32 exec_lo, exec_lo, s0
	s_and_saveexec_b32 s0, vcc_lo
	s_cbranch_execz .LBB272_2133
.LBB272_2174:
	ds_load_b32 v8, v0 offset:384
	s_wait_dscnt 0x0
	v_add_f32_e32 v12, v8, v12
	s_or_b32 exec_lo, exec_lo, s0
	s_and_saveexec_b32 s0, vcc_lo
	s_cbranch_execz .LBB272_2134
.LBB272_2175:
	ds_load_b32 v8, v0 offset:448
	s_wait_dscnt 0x0
	v_add_f32_e32 v13, v8, v13
	s_or_b32 exec_lo, exec_lo, s0
	s_and_saveexec_b32 s0, vcc_lo
	s_cbranch_execz .LBB272_2135
.LBB272_2176:
	ds_load_b32 v8, v0 offset:512
	s_wait_dscnt 0x0
	v_add_f32_e32 v10, v8, v10
	s_or_b32 exec_lo, exec_lo, s0
	s_and_saveexec_b32 s0, vcc_lo
	s_cbranch_execz .LBB272_2136
.LBB272_2177:
	ds_load_b32 v8, v0 offset:576
	s_wait_dscnt 0x0
	v_add_f32_e32 v11, v8, v11
	s_or_b32 exec_lo, exec_lo, s0
	s_and_saveexec_b32 s0, vcc_lo
	s_cbranch_execz .LBB272_2137
.LBB272_2178:
	ds_load_b32 v8, v0 offset:640
	s_wait_dscnt 0x0
	v_add_f32_e32 v6, v8, v6
	s_or_b32 exec_lo, exec_lo, s0
	s_and_saveexec_b32 s0, vcc_lo
	s_cbranch_execz .LBB272_2138
.LBB272_2179:
	ds_load_b32 v8, v0 offset:704
	s_wait_dscnt 0x0
	v_add_f32_e32 v7, v8, v7
	s_or_b32 exec_lo, exec_lo, s0
	s_and_saveexec_b32 s0, vcc_lo
	s_cbranch_execz .LBB272_2139
.LBB272_2180:
	ds_load_b32 v8, v0 offset:768
	s_wait_dscnt 0x0
	v_add_f32_e32 v2, v8, v2
	s_or_b32 exec_lo, exec_lo, s0
	s_and_saveexec_b32 s0, vcc_lo
	s_cbranch_execz .LBB272_2140
.LBB272_2181:
	ds_load_b32 v8, v0 offset:832
	s_wait_dscnt 0x0
	v_add_f32_e32 v3, v8, v3
	s_or_b32 exec_lo, exec_lo, s0
	s_and_saveexec_b32 s0, vcc_lo
	s_cbranch_execz .LBB272_2141
.LBB272_2182:
	ds_load_b32 v8, v0 offset:896
	s_wait_dscnt 0x0
	v_add_f32_e32 v4, v8, v4
	s_or_b32 exec_lo, exec_lo, s0
	s_and_saveexec_b32 s0, vcc_lo
	s_cbranch_execnz .LBB272_2142
	s_branch .LBB272_2143
.LBB272_2183:
	ds_load_b32 v1, v0
	s_wait_dscnt 0x0
	v_add_f32_e32 v18, v1, v18
	s_or_b32 exec_lo, exec_lo, s0
	s_and_saveexec_b32 s0, vcc_lo
	s_cbranch_execz .LBB272_2149
.LBB272_2184:
	ds_load_b32 v1, v0 offset:64
	s_wait_dscnt 0x0
	v_add_f32_e32 v19, v1, v19
	s_or_b32 exec_lo, exec_lo, s0
	s_and_saveexec_b32 s0, vcc_lo
	s_cbranch_execz .LBB272_2150
.LBB272_2185:
	ds_load_b32 v1, v0 offset:128
	s_wait_dscnt 0x0
	v_add_f32_e32 v16, v1, v16
	s_or_b32 exec_lo, exec_lo, s0
	s_and_saveexec_b32 s0, vcc_lo
	s_cbranch_execz .LBB272_2151
.LBB272_2186:
	ds_load_b32 v1, v0 offset:192
	s_wait_dscnt 0x0
	v_add_f32_e32 v17, v1, v17
	s_or_b32 exec_lo, exec_lo, s0
	s_and_saveexec_b32 s0, vcc_lo
	s_cbranch_execz .LBB272_2152
.LBB272_2187:
	ds_load_b32 v1, v0 offset:256
	s_wait_dscnt 0x0
	v_add_f32_e32 v14, v1, v14
	s_or_b32 exec_lo, exec_lo, s0
	s_and_saveexec_b32 s0, vcc_lo
	s_cbranch_execz .LBB272_2153
.LBB272_2188:
	ds_load_b32 v1, v0 offset:320
	s_wait_dscnt 0x0
	v_add_f32_e32 v15, v1, v15
	s_or_b32 exec_lo, exec_lo, s0
	s_and_saveexec_b32 s0, vcc_lo
	s_cbranch_execz .LBB272_2154
.LBB272_2189:
	ds_load_b32 v1, v0 offset:384
	s_wait_dscnt 0x0
	v_add_f32_e32 v12, v1, v12
	s_or_b32 exec_lo, exec_lo, s0
	s_and_saveexec_b32 s0, vcc_lo
	s_cbranch_execz .LBB272_2155
.LBB272_2190:
	ds_load_b32 v1, v0 offset:448
	s_wait_dscnt 0x0
	v_add_f32_e32 v13, v1, v13
	s_or_b32 exec_lo, exec_lo, s0
	s_and_saveexec_b32 s0, vcc_lo
	s_cbranch_execz .LBB272_2156
.LBB272_2191:
	ds_load_b32 v1, v0 offset:512
	s_wait_dscnt 0x0
	v_add_f32_e32 v10, v1, v10
	s_or_b32 exec_lo, exec_lo, s0
	s_and_saveexec_b32 s0, vcc_lo
	s_cbranch_execz .LBB272_2157
.LBB272_2192:
	ds_load_b32 v1, v0 offset:576
	s_wait_dscnt 0x0
	v_add_f32_e32 v11, v1, v11
	s_or_b32 exec_lo, exec_lo, s0
	s_and_saveexec_b32 s0, vcc_lo
	s_cbranch_execz .LBB272_2158
.LBB272_2193:
	ds_load_b32 v1, v0 offset:640
	s_wait_dscnt 0x0
	v_add_f32_e32 v6, v1, v6
	s_or_b32 exec_lo, exec_lo, s0
	s_and_saveexec_b32 s0, vcc_lo
	s_cbranch_execz .LBB272_2159
.LBB272_2194:
	ds_load_b32 v1, v0 offset:704
	s_wait_dscnt 0x0
	v_add_f32_e32 v7, v1, v7
	s_or_b32 exec_lo, exec_lo, s0
	s_and_saveexec_b32 s0, vcc_lo
	s_cbranch_execz .LBB272_2160
.LBB272_2195:
	ds_load_b32 v1, v0 offset:768
	s_wait_dscnt 0x0
	v_add_f32_e32 v2, v1, v2
	s_or_b32 exec_lo, exec_lo, s0
	s_and_saveexec_b32 s0, vcc_lo
	s_cbranch_execz .LBB272_2161
.LBB272_2196:
	ds_load_b32 v1, v0 offset:832
	s_wait_dscnt 0x0
	v_add_f32_e32 v3, v1, v3
	s_or_b32 exec_lo, exec_lo, s0
	s_and_saveexec_b32 s0, vcc_lo
	s_cbranch_execz .LBB272_2162
.LBB272_2197:
	ds_load_b32 v1, v0 offset:896
	s_wait_dscnt 0x0
	v_add_f32_e32 v4, v1, v4
	s_or_b32 exec_lo, exec_lo, s0
	s_and_saveexec_b32 s0, vcc_lo
	s_cbranch_execnz .LBB272_2163
	s_branch .LBB272_2164
.Lfunc_end272:
	.size	_ZN4vllm22paged_attention_kernelIthLi256ELi16ELi128ELNS_18Fp8KVCacheDataTypeE1ELb0ELi0EEEvPfS2_PT_PKS3_PKT0_S9_ifPKiSB_iPKfiiiSD_SD_iiiii, .Lfunc_end272-_ZN4vllm22paged_attention_kernelIthLi256ELi16ELi128ELNS_18Fp8KVCacheDataTypeE1ELb0ELi0EEEvPfS2_PT_PKS3_PKT0_S9_ifPKiSB_iPKfiiiSD_SD_iiiii
                                        ; -- End function
	.set .L_ZN4vllm22paged_attention_kernelIthLi256ELi16ELi128ELNS_18Fp8KVCacheDataTypeE1ELb0ELi0EEEvPfS2_PT_PKS3_PKT0_S9_ifPKiSB_iPKfiiiSD_SD_iiiii.num_vgpr, 128
	.set .L_ZN4vllm22paged_attention_kernelIthLi256ELi16ELi128ELNS_18Fp8KVCacheDataTypeE1ELb0ELi0EEEvPfS2_PT_PKS3_PKT0_S9_ifPKiSB_iPKfiiiSD_SD_iiiii.num_agpr, 0
	.set .L_ZN4vllm22paged_attention_kernelIthLi256ELi16ELi128ELNS_18Fp8KVCacheDataTypeE1ELb0ELi0EEEvPfS2_PT_PKS3_PKT0_S9_ifPKiSB_iPKfiiiSD_SD_iiiii.numbered_sgpr, 33
	.set .L_ZN4vllm22paged_attention_kernelIthLi256ELi16ELi128ELNS_18Fp8KVCacheDataTypeE1ELb0ELi0EEEvPfS2_PT_PKS3_PKT0_S9_ifPKiSB_iPKfiiiSD_SD_iiiii.num_named_barrier, 0
	.set .L_ZN4vllm22paged_attention_kernelIthLi256ELi16ELi128ELNS_18Fp8KVCacheDataTypeE1ELb0ELi0EEEvPfS2_PT_PKS3_PKT0_S9_ifPKiSB_iPKfiiiSD_SD_iiiii.private_seg_size, 436
	.set .L_ZN4vllm22paged_attention_kernelIthLi256ELi16ELi128ELNS_18Fp8KVCacheDataTypeE1ELb0ELi0EEEvPfS2_PT_PKS3_PKT0_S9_ifPKiSB_iPKfiiiSD_SD_iiiii.uses_vcc, 1
	.set .L_ZN4vllm22paged_attention_kernelIthLi256ELi16ELi128ELNS_18Fp8KVCacheDataTypeE1ELb0ELi0EEEvPfS2_PT_PKS3_PKT0_S9_ifPKiSB_iPKfiiiSD_SD_iiiii.uses_flat_scratch, 1
	.set .L_ZN4vllm22paged_attention_kernelIthLi256ELi16ELi128ELNS_18Fp8KVCacheDataTypeE1ELb0ELi0EEEvPfS2_PT_PKS3_PKT0_S9_ifPKiSB_iPKfiiiSD_SD_iiiii.has_dyn_sized_stack, 0
	.set .L_ZN4vllm22paged_attention_kernelIthLi256ELi16ELi128ELNS_18Fp8KVCacheDataTypeE1ELb0ELi0EEEvPfS2_PT_PKS3_PKT0_S9_ifPKiSB_iPKfiiiSD_SD_iiiii.has_recursion, 0
	.set .L_ZN4vllm22paged_attention_kernelIthLi256ELi16ELi128ELNS_18Fp8KVCacheDataTypeE1ELb0ELi0EEEvPfS2_PT_PKS3_PKT0_S9_ifPKiSB_iPKfiiiSD_SD_iiiii.has_indirect_call, 0
	.section	.AMDGPU.csdata,"",@progbits
; Function info:
; codeLenInByte = 85944
; TotalNumSgprs: 35
; NumVgprs: 128
; ScratchSize: 436
; MemoryBound: 0
	.section	.text._ZN4vllm25paged_attention_v1_kernelIthLi256ELi16ELi128ELNS_18Fp8KVCacheDataTypeE1ELb0EEEvPT_PKS2_PKT0_S8_ifPKiSA_iPKfiiiSC_SC_iiiii,"axG",@progbits,_ZN4vllm25paged_attention_v1_kernelIthLi256ELi16ELi128ELNS_18Fp8KVCacheDataTypeE1ELb0EEEvPT_PKS2_PKT0_S8_ifPKiSA_iPKfiiiSC_SC_iiiii,comdat
	.protected	_ZN4vllm25paged_attention_v1_kernelIthLi256ELi16ELi128ELNS_18Fp8KVCacheDataTypeE1ELb0EEEvPT_PKS2_PKT0_S8_ifPKiSA_iPKfiiiSC_SC_iiiii ; -- Begin function _ZN4vllm25paged_attention_v1_kernelIthLi256ELi16ELi128ELNS_18Fp8KVCacheDataTypeE1ELb0EEEvPT_PKS2_PKT0_S8_ifPKiSA_iPKfiiiSC_SC_iiiii
	.globl	_ZN4vllm25paged_attention_v1_kernelIthLi256ELi16ELi128ELNS_18Fp8KVCacheDataTypeE1ELb0EEEvPT_PKS2_PKT0_S8_ifPKiSA_iPKfiiiSC_SC_iiiii
	.p2align	8
	.type	_ZN4vllm25paged_attention_v1_kernelIthLi256ELi16ELi128ELNS_18Fp8KVCacheDataTypeE1ELb0EEEvPT_PKS2_PKT0_S8_ifPKiSA_iPKfiiiSC_SC_iiiii,@function
_ZN4vllm25paged_attention_v1_kernelIthLi256ELi16ELi128ELNS_18Fp8KVCacheDataTypeE1ELb0EEEvPT_PKS2_PKT0_S8_ifPKiSA_iPKfiiiSC_SC_iiiii: ; @_ZN4vllm25paged_attention_v1_kernelIthLi256ELi16ELi128ELNS_18Fp8KVCacheDataTypeE1ELb0EEEvPT_PKS2_PKT0_S8_ifPKiSA_iPKfiiiSC_SC_iiiii
; %bb.0:
	s_clause 0x5
	s_load_b256 s[12:19], s[0:1], 0x0
	s_load_b128 s[4:7], s[0:1], 0x20
	s_load_b96 s[20:22], s[0:1], 0x30
	s_load_b64 s[10:11], s[0:1], 0x40
	s_load_b96 s[28:30], s[0:1], 0x48
	s_load_b128 s[24:27], s[0:1], 0x58
	v_mov_b32_e32 v31, v0
	s_get_pc_i64 s[2:3]
	s_add_nc_u64 s[2:3], s[2:3], _ZN4vllm22paged_attention_kernelIthLi256ELi16ELi128ELNS_18Fp8KVCacheDataTypeE1ELb0ELi0EEEvPfS2_PT_PKS3_PKT0_S9_ifPKiSB_iPKfiiiSD_SD_iiiii@rel64+4
	s_add_nc_u64 s[8:9], s[0:1], 0x80
	s_mov_b32 s32, 0
	s_wait_kmcnt 0x0
	v_dual_mov_b32 v0, s12 :: v_dual_mov_b32 v1, s13
	v_dual_mov_b32 v2, s14 :: v_dual_mov_b32 v3, s15
	;; [unrolled: 1-line block ×12, first 2 shown]
	s_mov_b32 s15, 44
	s_swap_pc_i64 s[30:31], s[2:3]
	s_endpgm
	.section	.rodata,"a",@progbits
	.p2align	6, 0x0
	.amdhsa_kernel _ZN4vllm25paged_attention_v1_kernelIthLi256ELi16ELi128ELNS_18Fp8KVCacheDataTypeE1ELb0EEEvPT_PKS2_PKT0_S8_ifPKiSA_iPKfiiiSC_SC_iiiii
		.amdhsa_group_segment_fixed_size 544
		.amdhsa_private_segment_fixed_size 436
		.amdhsa_kernarg_size 384
		.amdhsa_user_sgpr_count 2
		.amdhsa_user_sgpr_dispatch_ptr 0
		.amdhsa_user_sgpr_queue_ptr 0
		.amdhsa_user_sgpr_kernarg_segment_ptr 1
		.amdhsa_user_sgpr_dispatch_id 0
		.amdhsa_user_sgpr_kernarg_preload_length 0
		.amdhsa_user_sgpr_kernarg_preload_offset 0
		.amdhsa_user_sgpr_private_segment_size 0
		.amdhsa_wavefront_size32 1
		.amdhsa_uses_dynamic_stack 0
		.amdhsa_enable_private_segment 1
		.amdhsa_system_sgpr_workgroup_id_x 1
		.amdhsa_system_sgpr_workgroup_id_y 1
		.amdhsa_system_sgpr_workgroup_id_z 1
		.amdhsa_system_sgpr_workgroup_info 0
		.amdhsa_system_vgpr_workitem_id 0
		.amdhsa_next_free_vgpr 128
		.amdhsa_next_free_sgpr 33
		.amdhsa_named_barrier_count 0
		.amdhsa_reserve_vcc 1
		.amdhsa_float_round_mode_32 0
		.amdhsa_float_round_mode_16_64 0
		.amdhsa_float_denorm_mode_32 3
		.amdhsa_float_denorm_mode_16_64 3
		.amdhsa_fp16_overflow 0
		.amdhsa_memory_ordered 1
		.amdhsa_forward_progress 1
		.amdhsa_inst_pref_size 2
		.amdhsa_round_robin_scheduling 0
		.amdhsa_exception_fp_ieee_invalid_op 0
		.amdhsa_exception_fp_denorm_src 0
		.amdhsa_exception_fp_ieee_div_zero 0
		.amdhsa_exception_fp_ieee_overflow 0
		.amdhsa_exception_fp_ieee_underflow 0
		.amdhsa_exception_fp_ieee_inexact 0
		.amdhsa_exception_int_div_zero 0
	.end_amdhsa_kernel
	.section	.text._ZN4vllm25paged_attention_v1_kernelIthLi256ELi16ELi128ELNS_18Fp8KVCacheDataTypeE1ELb0EEEvPT_PKS2_PKT0_S8_ifPKiSA_iPKfiiiSC_SC_iiiii,"axG",@progbits,_ZN4vllm25paged_attention_v1_kernelIthLi256ELi16ELi128ELNS_18Fp8KVCacheDataTypeE1ELb0EEEvPT_PKS2_PKT0_S8_ifPKiSA_iPKfiiiSC_SC_iiiii,comdat
.Lfunc_end273:
	.size	_ZN4vllm25paged_attention_v1_kernelIthLi256ELi16ELi128ELNS_18Fp8KVCacheDataTypeE1ELb0EEEvPT_PKS2_PKT0_S8_ifPKiSA_iPKfiiiSC_SC_iiiii, .Lfunc_end273-_ZN4vllm25paged_attention_v1_kernelIthLi256ELi16ELi128ELNS_18Fp8KVCacheDataTypeE1ELb0EEEvPT_PKS2_PKT0_S8_ifPKiSA_iPKfiiiSC_SC_iiiii
                                        ; -- End function
	.set _ZN4vllm25paged_attention_v1_kernelIthLi256ELi16ELi128ELNS_18Fp8KVCacheDataTypeE1ELb0EEEvPT_PKS2_PKT0_S8_ifPKiSA_iPKfiiiSC_SC_iiiii.num_vgpr, max(32, .L_ZN4vllm22paged_attention_kernelIthLi256ELi16ELi128ELNS_18Fp8KVCacheDataTypeE1ELb0ELi0EEEvPfS2_PT_PKS3_PKT0_S9_ifPKiSB_iPKfiiiSD_SD_iiiii.num_vgpr)
	.set _ZN4vllm25paged_attention_v1_kernelIthLi256ELi16ELi128ELNS_18Fp8KVCacheDataTypeE1ELb0EEEvPT_PKS2_PKT0_S8_ifPKiSA_iPKfiiiSC_SC_iiiii.num_agpr, max(0, .L_ZN4vllm22paged_attention_kernelIthLi256ELi16ELi128ELNS_18Fp8KVCacheDataTypeE1ELb0ELi0EEEvPfS2_PT_PKS3_PKT0_S9_ifPKiSB_iPKfiiiSD_SD_iiiii.num_agpr)
	.set _ZN4vllm25paged_attention_v1_kernelIthLi256ELi16ELi128ELNS_18Fp8KVCacheDataTypeE1ELb0EEEvPT_PKS2_PKT0_S8_ifPKiSA_iPKfiiiSC_SC_iiiii.numbered_sgpr, max(33, .L_ZN4vllm22paged_attention_kernelIthLi256ELi16ELi128ELNS_18Fp8KVCacheDataTypeE1ELb0ELi0EEEvPfS2_PT_PKS3_PKT0_S9_ifPKiSB_iPKfiiiSD_SD_iiiii.numbered_sgpr)
	.set _ZN4vllm25paged_attention_v1_kernelIthLi256ELi16ELi128ELNS_18Fp8KVCacheDataTypeE1ELb0EEEvPT_PKS2_PKT0_S8_ifPKiSA_iPKfiiiSC_SC_iiiii.num_named_barrier, max(0, .L_ZN4vllm22paged_attention_kernelIthLi256ELi16ELi128ELNS_18Fp8KVCacheDataTypeE1ELb0ELi0EEEvPfS2_PT_PKS3_PKT0_S9_ifPKiSB_iPKfiiiSD_SD_iiiii.num_named_barrier)
	.set _ZN4vllm25paged_attention_v1_kernelIthLi256ELi16ELi128ELNS_18Fp8KVCacheDataTypeE1ELb0EEEvPT_PKS2_PKT0_S8_ifPKiSA_iPKfiiiSC_SC_iiiii.private_seg_size, 0+max(.L_ZN4vllm22paged_attention_kernelIthLi256ELi16ELi128ELNS_18Fp8KVCacheDataTypeE1ELb0ELi0EEEvPfS2_PT_PKS3_PKT0_S9_ifPKiSB_iPKfiiiSD_SD_iiiii.private_seg_size)
	.set _ZN4vllm25paged_attention_v1_kernelIthLi256ELi16ELi128ELNS_18Fp8KVCacheDataTypeE1ELb0EEEvPT_PKS2_PKT0_S8_ifPKiSA_iPKfiiiSC_SC_iiiii.uses_vcc, or(1, .L_ZN4vllm22paged_attention_kernelIthLi256ELi16ELi128ELNS_18Fp8KVCacheDataTypeE1ELb0ELi0EEEvPfS2_PT_PKS3_PKT0_S9_ifPKiSB_iPKfiiiSD_SD_iiiii.uses_vcc)
	.set _ZN4vllm25paged_attention_v1_kernelIthLi256ELi16ELi128ELNS_18Fp8KVCacheDataTypeE1ELb0EEEvPT_PKS2_PKT0_S8_ifPKiSA_iPKfiiiSC_SC_iiiii.uses_flat_scratch, or(0, .L_ZN4vllm22paged_attention_kernelIthLi256ELi16ELi128ELNS_18Fp8KVCacheDataTypeE1ELb0ELi0EEEvPfS2_PT_PKS3_PKT0_S9_ifPKiSB_iPKfiiiSD_SD_iiiii.uses_flat_scratch)
	.set _ZN4vllm25paged_attention_v1_kernelIthLi256ELi16ELi128ELNS_18Fp8KVCacheDataTypeE1ELb0EEEvPT_PKS2_PKT0_S8_ifPKiSA_iPKfiiiSC_SC_iiiii.has_dyn_sized_stack, or(0, .L_ZN4vllm22paged_attention_kernelIthLi256ELi16ELi128ELNS_18Fp8KVCacheDataTypeE1ELb0ELi0EEEvPfS2_PT_PKS3_PKT0_S9_ifPKiSB_iPKfiiiSD_SD_iiiii.has_dyn_sized_stack)
	.set _ZN4vllm25paged_attention_v1_kernelIthLi256ELi16ELi128ELNS_18Fp8KVCacheDataTypeE1ELb0EEEvPT_PKS2_PKT0_S8_ifPKiSA_iPKfiiiSC_SC_iiiii.has_recursion, or(0, .L_ZN4vllm22paged_attention_kernelIthLi256ELi16ELi128ELNS_18Fp8KVCacheDataTypeE1ELb0ELi0EEEvPfS2_PT_PKS3_PKT0_S9_ifPKiSB_iPKfiiiSD_SD_iiiii.has_recursion)
	.set _ZN4vllm25paged_attention_v1_kernelIthLi256ELi16ELi128ELNS_18Fp8KVCacheDataTypeE1ELb0EEEvPT_PKS2_PKT0_S8_ifPKiSA_iPKfiiiSC_SC_iiiii.has_indirect_call, or(0, .L_ZN4vllm22paged_attention_kernelIthLi256ELi16ELi128ELNS_18Fp8KVCacheDataTypeE1ELb0ELi0EEEvPfS2_PT_PKS3_PKT0_S9_ifPKiSB_iPKfiiiSD_SD_iiiii.has_indirect_call)
	.section	.AMDGPU.csdata,"",@progbits
; Kernel info:
; codeLenInByte = 196
; TotalNumSgprs: 35
; NumVgprs: 128
; ScratchSize: 436
; MemoryBound: 0
; FloatMode: 240
; IeeeMode: 1
; LDSByteSize: 544 bytes/workgroup (compile time only)
; SGPRBlocks: 0
; VGPRBlocks: 7
; NumSGPRsForWavesPerEU: 35
; NumVGPRsForWavesPerEU: 128
; NamedBarCnt: 0
; Occupancy: 8
; WaveLimiterHint : 1
; COMPUTE_PGM_RSRC2:SCRATCH_EN: 1
; COMPUTE_PGM_RSRC2:USER_SGPR: 2
; COMPUTE_PGM_RSRC2:TRAP_HANDLER: 0
; COMPUTE_PGM_RSRC2:TGID_X_EN: 1
; COMPUTE_PGM_RSRC2:TGID_Y_EN: 1
; COMPUTE_PGM_RSRC2:TGID_Z_EN: 1
; COMPUTE_PGM_RSRC2:TIDIG_COMP_CNT: 0
	.section	.text._ZN4vllm25paged_attention_v1_kernelIthLi32ELi32ELi128ELNS_18Fp8KVCacheDataTypeE1ELb1EEEvPT_PKS2_PKT0_S8_ifPKiSA_iPKfiiiSC_SC_iiiii,"axG",@progbits,_ZN4vllm25paged_attention_v1_kernelIthLi32ELi32ELi128ELNS_18Fp8KVCacheDataTypeE1ELb1EEEvPT_PKS2_PKT0_S8_ifPKiSA_iPKfiiiSC_SC_iiiii,comdat
	.protected	_ZN4vllm25paged_attention_v1_kernelIthLi32ELi32ELi128ELNS_18Fp8KVCacheDataTypeE1ELb1EEEvPT_PKS2_PKT0_S8_ifPKiSA_iPKfiiiSC_SC_iiiii ; -- Begin function _ZN4vllm25paged_attention_v1_kernelIthLi32ELi32ELi128ELNS_18Fp8KVCacheDataTypeE1ELb1EEEvPT_PKS2_PKT0_S8_ifPKiSA_iPKfiiiSC_SC_iiiii
	.globl	_ZN4vllm25paged_attention_v1_kernelIthLi32ELi32ELi128ELNS_18Fp8KVCacheDataTypeE1ELb1EEEvPT_PKS2_PKT0_S8_ifPKiSA_iPKfiiiSC_SC_iiiii
	.p2align	8
	.type	_ZN4vllm25paged_attention_v1_kernelIthLi32ELi32ELi128ELNS_18Fp8KVCacheDataTypeE1ELb1EEEvPT_PKS2_PKT0_S8_ifPKiSA_iPKfiiiSC_SC_iiiii,@function
_ZN4vllm25paged_attention_v1_kernelIthLi32ELi32ELi128ELNS_18Fp8KVCacheDataTypeE1ELb1EEEvPT_PKS2_PKT0_S8_ifPKiSA_iPKfiiiSC_SC_iiiii: ; @_ZN4vllm25paged_attention_v1_kernelIthLi32ELi32ELi128ELNS_18Fp8KVCacheDataTypeE1ELb1EEEvPT_PKS2_PKT0_S8_ifPKiSA_iPKfiiiSC_SC_iiiii
; %bb.0:
	s_load_b64 s[24:25], s[0:1], 0x20
	s_bfe_u32 s3, ttmp6, 0x4000c
	s_bfe_u32 s4, ttmp6, 0x40010
	s_and_b32 s6, ttmp7, 0xffff
	s_add_co_i32 s3, s3, 1
	s_add_co_i32 s4, s4, 1
	s_and_b32 s2, ttmp6, 15
	s_bfe_u32 s5, ttmp6, 0x40004
	s_mul_i32 s3, ttmp9, s3
	s_mul_i32 s4, s6, s4
	s_getreg_b32 s30, hwreg(HW_REG_IB_STS2, 6, 4)
	s_add_co_i32 s2, s2, s3
	s_add_co_i32 s3, s5, s4
	s_cmp_eq_u32 s30, 0
	s_clause 0x1
	s_load_b32 s31, s[0:1], 0x80
	s_load_b64 s[4:5], s[0:1], 0x30
	s_cselect_b32 s33, s6, s3
	s_cselect_b32 s2, ttmp9, s2
	s_wait_kmcnt 0x0
	s_abs_i32 s3, s24
	s_delay_alu instid0(SALU_CYCLE_1) | instskip(SKIP_1) | instid1(SALU_CYCLE_2)
	s_cvt_f32_u32 s6, s3
	s_sub_co_i32 s7, 0, s3
	v_rcp_iflag_f32_e32 v1, s6
	s_abs_i32 s8, s31
	v_nop
	s_delay_alu instid0(TRANS32_DEP_1) | instskip(SKIP_1) | instid1(SALU_CYCLE_3)
	v_readfirstlane_b32 s6, v1
	s_mul_f32 s6, s6, 0x4f7ffffe
	s_cvt_u32_f32 s6, s6
	s_delay_alu instid0(SALU_CYCLE_3) | instskip(NEXT) | instid1(SALU_CYCLE_1)
	s_mul_i32 s7, s7, s6
	s_mul_hi_u32 s7, s6, s7
	s_delay_alu instid0(SALU_CYCLE_1) | instskip(SKIP_4) | instid1(SALU_CYCLE_1)
	s_add_co_i32 s6, s6, s7
	s_xor_b32 s7, s31, s24
	s_mul_hi_u32 s6, s8, s6
	s_ashr_i32 s7, s7, 31
	s_mul_i32 s9, s6, s3
	s_sub_co_i32 s8, s8, s9
	s_add_co_i32 s9, s6, 1
	s_sub_co_i32 s10, s8, s3
	s_cmp_ge_u32 s8, s3
	s_cselect_b32 s6, s9, s6
	s_cselect_b32 s8, s10, s8
	s_add_co_i32 s9, s6, 1
	s_cmp_ge_u32 s8, s3
	s_load_b64 s[10:11], s[0:1], 0x40
	s_cselect_b32 s3, s9, s6
	s_mov_b32 s9, 0
	s_xor_b32 s3, s3, s7
	s_abs_i32 s8, s2
	s_sub_co_i32 s16, s3, s7
	s_mov_b32 s7, s9
	s_abs_i32 s15, s16
	s_mov_b32 s38, s9
	s_cvt_f32_u32 s3, s15
	s_sub_co_i32 s6, 0, s15
	s_delay_alu instid0(SALU_CYCLE_2) | instskip(SKIP_1) | instid1(TRANS32_DEP_1)
	v_rcp_iflag_f32_e32 v1, s3
	v_nop
	v_readfirstlane_b32 s3, v1
	s_mul_f32 s3, s3, 0x4f7ffffe
	s_delay_alu instid0(SALU_CYCLE_3) | instskip(NEXT) | instid1(SALU_CYCLE_3)
	s_cvt_u32_f32 s3, s3
	s_mul_i32 s6, s6, s3
	s_delay_alu instid0(SALU_CYCLE_1) | instskip(NEXT) | instid1(SALU_CYCLE_1)
	s_mul_hi_u32 s6, s3, s6
	s_add_co_i32 s6, s3, s6
	s_wait_kmcnt 0x0
	s_cmp_eq_u64 s[10:11], 0
	s_cbranch_scc1 .LBB274_2
; %bb.1:
	s_ashr_i32 s3, s2, 31
	s_delay_alu instid0(SALU_CYCLE_1) | instskip(NEXT) | instid1(SALU_CYCLE_1)
	s_lshl_b64 s[12:13], s[2:3], 2
	s_add_nc_u64 s[10:11], s[10:11], s[12:13]
	s_load_b32 s38, s[10:11], 0x0
.LBB274_2:
	s_load_b32 s34, s[4:5], s33 offset:0x0 scale_offset
	s_load_b96 s[12:14], s[0:1], 0x48
	s_ashr_i32 s3, s2, 31
	s_ashr_i32 s18, s16, 31
	s_wait_xcnt 0x0
	s_mul_u64 s[10:11], s[8:9], s[6:7]
	s_lshl_b32 s16, s2, 5
	s_mov_b32 s4, exec_lo
	v_cmpx_gt_u32_e32 4, v0
	s_cbranch_execz .LBB274_4
; %bb.3:
	s_load_b64 s[6:7], s[0:1], 0x8
	s_wait_kmcnt 0x0
	s_mul_i32 s20, s12, s33
	s_ashr_i32 s17, s16, 31
	s_ashr_i32 s21, s20, 31
	v_lshlrev_b32_e32 v1, 4, v0
	s_lshl_b64 s[20:21], s[20:21], 1
	s_delay_alu instid0(SALU_CYCLE_1) | instskip(SKIP_1) | instid1(SALU_CYCLE_1)
	s_add_nc_u64 s[6:7], s[6:7], s[20:21]
	s_lshl_b64 s[20:21], s[16:17], 1
	s_add_nc_u64 s[6:7], s[6:7], s[20:21]
	global_load_b128 v[2:5], v0, s[6:7] scale_offset
	s_wait_loadcnt 0x0
	ds_store_b128 v1, v[2:5]
.LBB274_4:
	s_or_b32 exec_lo, exec_lo, s4
	s_load_b128 s[4:7], s[0:1], 0x68
	s_mul_i32 s9, s11, s15
	s_xor_b32 s3, s3, s18
	s_sub_co_i32 s8, s8, s9
	s_add_co_i32 s9, s11, 1
	s_sub_co_i32 s10, s8, s15
	s_cmp_ge_u32 s8, s15
	s_wait_dscnt 0x0
	s_cselect_b32 s9, s9, s11
	s_cselect_b32 s8, s10, s8
	s_add_co_i32 s11, s9, 1
	s_cmp_ge_u32 s8, s15
	s_load_b32 s10, s[0:1], 0x78
	s_cselect_b32 s8, s11, s9
	s_wait_kmcnt 0x0
	s_add_co_i32 s11, s34, -1
	s_xor_b32 s8, s8, s3
	s_mov_b32 s15, -1
	s_sub_co_i32 s3, s8, s3
	s_barrier_signal -1
	s_barrier_wait -1
	s_abs_i32 s12, s7
	s_delay_alu instid0(SALU_CYCLE_1) | instskip(NEXT) | instid1(SALU_CYCLE_3)
	s_cvt_f32_u32 s9, s12
	v_rcp_iflag_f32_e32 v1, s9
	v_nop
	s_delay_alu instid0(TRANS32_DEP_1) | instskip(SKIP_1) | instid1(SALU_CYCLE_3)
	v_readfirstlane_b32 s9, v1
	s_mul_f32 s8, s9, 0x4f7ffffe
	s_cvt_u32_f32 s17, s8
	s_sub_co_i32 s8, 0, s12
	s_delay_alu instid0(SALU_CYCLE_2)
	s_mul_i32 s9, s8, s17
	s_abs_i32 s8, s11
	s_mul_hi_u32 s18, s17, s9
	s_mov_b32 s9, 0
	s_add_co_i32 s18, s17, s18
	s_cmp_lt_i32 s10, 0
	s_mov_b32 s19, s9
                                        ; implicit-def: $sgpr17
	s_cbranch_scc0 .LBB274_6
; %bb.5:
	s_mul_i32 s15, s4, s24
	s_delay_alu instid0(SALU_CYCLE_1) | instskip(NEXT) | instid1(SALU_CYCLE_1)
	s_add_co_i32 s15, s3, s15
	s_mul_i32 s15, s15, s10
	s_delay_alu instid0(SALU_CYCLE_1)
	s_sub_co_i32 s17, 1, s15
	s_mov_b32 s15, s9
.LBB274_6:
	s_ashr_i32 s11, s11, 31
	s_ashr_i32 s35, s7, 31
	s_and_not1_b32 vcc_lo, exec_lo, s15
	s_mul_u64 s[26:27], s[8:9], s[18:19]
	s_cbranch_vccnz .LBB274_8
; %bb.7:
	s_mul_i32 s4, s31, s4
	s_delay_alu instid0(SALU_CYCLE_1) | instskip(NEXT) | instid1(SALU_CYCLE_1)
	s_add_co_i32 s2, s4, s2
	s_mul_i32 s2, s2, s10
	s_delay_alu instid0(SALU_CYCLE_1)
	s_add_co_i32 s17, s2, 1
.LBB274_8:
	s_clause 0x1
	s_load_b32 s2, s[0:1], 0x38
	s_load_b64 s[20:21], s[0:1], 0x28
	s_mul_i32 s7, s27, s12
	s_xor_b32 s4, s11, s35
	s_sub_co_i32 s24, s8, s7
	s_add_co_i32 s15, s27, 1
	s_clause 0x1
	s_load_b32 s7, s[0:1], 0x88
	s_load_b128 s[8:11], s[0:1], 0x58
	v_dual_lshrrev_b32 v58, 5, v0 :: v_dual_bitop2_b32 v59, 31, v0 bitop3:0x40
	v_dual_mov_b32 v60, 0xff7fffff :: v_dual_lshrrev_b32 v1, 3, v0
	s_mul_i32 s14, s3, s14
	s_delay_alu instid0(VALU_DEP_2)
	v_dual_lshlrev_b32 v6, 5, v58 :: v_dual_lshlrev_b32 v7, 2, v59
	s_wait_kmcnt 0x0
	s_mul_i32 s22, s2, s33
	s_sub_co_i32 s2, s24, s12
	s_ashr_i32 s23, s22, 31
	s_cmp_ge_u32 s24, s12
	s_cselect_b32 s15, s15, s27
	s_cselect_b32 s2, s2, s24
	s_add_co_i32 s24, s15, 1
	s_cmp_ge_u32 s2, s12
	s_cselect_b32 s2, s24, s15
	s_add_co_i32 s15, s34, 31
	s_delay_alu instid0(SALU_CYCLE_1) | instskip(NEXT) | instid1(SALU_CYCLE_1)
	s_ashr_i32 s24, s15, 31
	s_lshr_b32 s24, s24, 27
	s_delay_alu instid0(SALU_CYCLE_1) | instskip(NEXT) | instid1(SALU_CYCLE_1)
	s_add_co_i32 s15, s15, s24
	s_ashr_i32 s36, s15, 5
	s_xor_b32 s15, s2, s4
	v_cmp_gt_i32_e64 s2, s36, v58
	s_sub_co_i32 s37, s15, s4
	s_and_saveexec_b32 s24, s2
	s_cbranch_execz .LBB274_272
; %bb.9:
	s_sub_co_i32 s39, s37, s5
	s_ashr_i32 s15, s14, 31
	s_cmp_neq_f32 s38, 0
	s_load_b64 s[28:29], s[0:1], 0x10
	v_dual_mov_b32 v9, 0 :: v_dual_lshlrev_b32 v8, 4, v59
	s_cselect_b32 vcc_lo, -1, 0
	s_abs_i32 s40, s6
	s_lshl_b64 s[42:43], s[22:23], 2
	s_cvt_f32_u32 s3, s40
	v_subrev_nc_u32_e32 v3, s34, v59
	v_lshl_or_b32 v4, v58, 7, v7
	s_sub_co_i32 s4, 0, s40
	v_rcp_iflag_f32_e32 v2, s3
	v_dual_mov_b32 v61, 0xff7fffff :: v_dual_lshlrev_b32 v10, 5, v58
	v_dual_mov_b32 v60, 0xff7fffff :: v_dual_add_nc_u32 v63, 1, v3
	v_mov_b32_e32 v62, v58
	v_add_nc_u32_e32 v64, 0x60, v4
	s_delay_alu instid0(TRANS32_DEP_1)
	v_readfirstlane_b32 s3, v2
	s_mov_b32 s41, s13
	s_mov_b64 s[26:27], 0xffffffffffffff
	s_wait_kmcnt 0x0
	s_add_nc_u64 s[28:29], s[28:29], s[14:15]
	s_mul_f32 s3, s3, 0x4f7ffffe
	v_add_nc_u64_e32 v[12:13], s[28:29], v[8:9]
	v_and_b32_e32 v8, 0x7c, v1
	s_add_nc_u64 s[28:29], s[20:21], s[42:43]
	s_cvt_u32_f32 s3, s3
	s_delay_alu instid0(VALU_DEP_1) | instskip(NEXT) | instid1(SALU_CYCLE_2)
	v_add_nc_u64_e32 v[14:15], s[28:29], v[8:9]
	s_mul_i32 s4, s4, s3
	s_mov_b32 s29, 0
	s_mul_hi_u32 s4, s3, s4
	s_mov_b32 s15, s29
	s_add_co_i32 s28, s3, s4
	s_branch .LBB274_15
.LBB274_10:                             ;   in Loop: Header=BB274_15 Depth=1
	s_or_b32 exec_lo, exec_lo, s45
	s_delay_alu instid0(VALU_DEP_1) | instskip(NEXT) | instid1(VALU_DEP_2)
	v_dual_lshlrev_b32 v4, 8, v8 :: v_dual_lshlrev_b32 v2, 23, v2
	v_lshl_add_u32 v3, v3, 10, 0x2000
	s_delay_alu instid0(VALU_DEP_1) | instskip(NEXT) | instid1(VALU_DEP_1)
	v_and_or_b32 v3, 0x8000, v4, v3
	v_lshl_or_b32 v72, v3, 16, v2
.LBB274_11:                             ;   in Loop: Header=BB274_15 Depth=1
	s_or_b32 exec_lo, exec_lo, s44
.LBB274_12:                             ;   in Loop: Header=BB274_15 Depth=1
	s_delay_alu instid0(SALU_CYCLE_1)
	s_or_b32 exec_lo, exec_lo, s43
.LBB274_13:                             ;   in Loop: Header=BB274_15 Depth=1
	s_delay_alu instid0(SALU_CYCLE_1)
	s_or_b32 exec_lo, exec_lo, s42
	ds_load_b128 v[2:5], v9
	v_or_b32_e32 v17, v16, v17
	v_or_b32_e32 v8, v18, v19
	v_fma_mixlo_f16 v16, v11, v16, 0 op_sel:[0,1,0] op_sel_hi:[0,1,0]
	v_or_b32_e32 v19, v22, v21
	v_or_b32_e32 v20, v23, v20
	v_fma_mixlo_f16 v18, v11, v18, 0 op_sel:[0,1,0] op_sel_hi:[0,1,0]
	v_fma_mixlo_f16 v22, v11, v22, 0 op_sel:[0,1,0] op_sel_hi:[0,1,0]
	v_and_b32_e32 v16, 0xffff, v16
	v_fma_mixlo_f16 v40, v11, v23, 0 op_sel:[0,1,0] op_sel_hi:[0,1,0]
	v_fma_mixlo_f16 v41, v11, v20, 0 op_sel_hi:[0,1,0]
	s_wait_dscnt 0x0
	v_lshrrev_b32_e32 v21, 16, v3
	v_fma_mixlo_f16 v17, v11, v17, 0 op_sel_hi:[0,1,0]
	v_and_b32_e32 v3, 0xffff, v3
	v_and_b32_e32 v20, 0xffff, v2
	v_lshrrev_b32_e32 v2, 16, v2
	v_fma_mixlo_f16 v8, v11, v8, 0 op_sel_hi:[0,1,0]
	v_and_b32_e32 v17, 0xffff, v17
	;;#ASMSTART
	v_cvt_f32_f16 v36, v20;
	;;#ASMEND
	;;#ASMSTART
	v_cvt_f32_f16 v37, v2;
	;;#ASMEND
	;; [unrolled: 3-line block ×5, first 2 shown]
	v_and_b32_e32 v3, 0xffff, v4
	v_lshrrev_b32_e32 v4, 16, v4
	v_fma_mixlo_f16 v19, v11, v19, 0 op_sel_hi:[0,1,0]
	v_and_b32_e32 v8, 0xffff, v8
	v_and_b32_e32 v2, 0xffff, v18
	;;#ASMSTART
	v_cvt_f32_f16 v24, v21;
	;;#ASMEND
	;;#ASMSTART
	v_cvt_f32_f16 v31, v8;
	;;#ASMEND
	v_and_b32_e32 v16, 0xffff, v19
	;;#ASMSTART
	v_cvt_f32_f16 v30, v2;
	;;#ASMEND
	;;#ASMSTART
	v_cvt_f32_f16 v21, v3;
	;;#ASMEND
	;;#ASMSTART
	v_cvt_f32_f16 v20, v4;
	;;#ASMEND
	;;#ASMSTART
	v_cvt_f32_f16 v23, v16;
	;;#ASMEND
	v_and_b32_e32 v2, 0xffff, v22
	v_and_b32_e32 v3, 0xffff, v5
	v_lshrrev_b32_e32 v4, 16, v5
	v_and_b32_e32 v5, 0xffff, v41
	v_and_b32_e32 v8, 0xffff, v40
	;;#ASMSTART
	v_cvt_f32_f16 v22, v2;
	;;#ASMEND
	;;#ASMSTART
	v_cvt_f32_f16 v17, v3;
	;;#ASMEND
	;;#ASMSTART
	v_cvt_f32_f16 v16, v4;
	;;#ASMEND
	;;#ASMSTART
	v_cvt_f32_f16 v19, v5;
	;;#ASMEND
	;;#ASMSTART
	v_cvt_f32_f16 v18, v8;
	;;#ASMEND
	ds_load_b128 v[52:55], v9 offset:16
	v_or_b32_e32 v2, v32, v28
	v_or_b32_e32 v3, v27, v26
	;; [unrolled: 1-line block ×3, first 2 shown]
	v_fma_mixlo_f16 v8, v11, v32, 0 op_sel:[0,1,0] op_sel_hi:[0,1,0]
	v_fma_mixlo_f16 v5, v11, v27, 0 op_sel:[0,1,0] op_sel_hi:[0,1,0]
	v_fma_mixlo_f16 v26, v11, v2, 0 op_sel_hi:[0,1,0]
	v_or_b32_e32 v2, v33, v29
	v_fma_mixlo_f16 v29, v11, v4, 0 op_sel_hi:[0,1,0]
	v_fma_mixlo_f16 v27, v11, v33, 0 op_sel:[0,1,0] op_sel_hi:[0,1,0]
	v_fma_mixlo_f16 v34, v11, v35, 0 op_sel:[0,1,0] op_sel_hi:[0,1,0]
	v_and_b32_e32 v5, 0xffff, v5
	v_fma_mixlo_f16 v28, v11, v2, 0 op_sel_hi:[0,1,0]
	v_and_b32_e32 v26, 0xffff, v26
	v_and_b32_e32 v8, 0xffff, v8
	s_wait_dscnt 0x0
	v_lshrrev_b32_e32 v4, 16, v52
	v_fma_mixlo_f16 v3, v11, v3, 0 op_sel_hi:[0,1,0]
	v_and_b32_e32 v2, 0xffff, v52
	;;#ASMSTART
	v_cvt_f32_f16 v2, v2;
	;;#ASMEND
	v_and_b32_e32 v33, 0xffff, v53
	v_and_b32_e32 v52, 0xffff, v34
	;; [unrolled: 1-line block ×3, first 2 shown]
	;;#ASMSTART
	v_cvt_f32_f16 v3, v4;
	;;#ASMEND
	;;#ASMSTART
	v_cvt_f32_f16 v4, v32;
	;;#ASMEND
	v_lshrrev_b32_e32 v32, 16, v53
	;;#ASMSTART
	v_cvt_f32_f16 v5, v5;
	;;#ASMEND
	;;#ASMSTART
	v_cvt_f32_f16 v41, v33;
	;;#ASMEND
	v_and_b32_e32 v33, 0xffff, v54
	;;#ASMSTART
	v_cvt_f32_f16 v40, v32;
	;;#ASMEND
	v_lshrrev_b32_e32 v32, 16, v54
	;;#ASMSTART
	v_cvt_f32_f16 v43, v26;
	;;#ASMEND
	;;#ASMSTART
	v_cvt_f32_f16 v42, v8;
	;;#ASMEND
	v_and_b32_e32 v8, 0xffff, v28
	v_and_b32_e32 v26, 0xffff, v27
	v_lshrrev_b32_e32 v28, 16, v55
	v_and_b32_e32 v27, 0xffff, v55
	;;#ASMSTART
	v_cvt_f32_f16 v33, v33;
	;;#ASMEND
	;;#ASMSTART
	v_cvt_f32_f16 v32, v32;
	;;#ASMEND
	;;#ASMSTART
	v_cvt_f32_f16 v35, v8;
	;;#ASMEND
	v_and_b32_e32 v8, 0xffff, v29
	;;#ASMSTART
	v_cvt_f32_f16 v34, v26;
	;;#ASMEND
	;;#ASMSTART
	v_cvt_f32_f16 v27, v27;
	;;#ASMEND
	;; [unrolled: 3-line block ×5, first 2 shown]
	ds_load_b128 v[52:55], v9 offset:32
	v_pk_mul_f32 v[56:57], v[2:3], v[4:5]
	v_or_b32_e32 v3, v45, v44
	v_or_b32_e32 v2, v48, v46
	;; [unrolled: 1-line block ×4, first 2 shown]
	v_fma_mixlo_f16 v4, v11, v48, 0 op_sel:[0,1,0] op_sel_hi:[0,1,0]
	v_fma_mixlo_f16 v3, v11, v3, 0 op_sel_hi:[0,1,0]
	v_fma_mixlo_f16 v2, v11, v2, 0 op_sel_hi:[0,1,0]
	v_fma_mixlo_f16 v44, v11, v45, 0 op_sel:[0,1,0] op_sel_hi:[0,1,0]
	v_fma_mixlo_f16 v5, v11, v5, 0 op_sel_hi:[0,1,0]
	v_fma_mixlo_f16 v45, v11, v49, 0 op_sel:[0,1,0] op_sel_hi:[0,1,0]
	v_fma_mixlo_f16 v8, v11, v8, 0 op_sel_hi:[0,1,0]
	v_and_b32_e32 v47, 0xffff, v3
	v_fma_mixlo_f16 v3, v11, v51, 0 op_sel:[0,1,0] op_sel_hi:[0,1,0]
	v_and_b32_e32 v2, 0xffff, v2
	v_and_b32_e32 v44, 0xffff, v44
	;; [unrolled: 1-line block ×3, first 2 shown]
	v_pk_fma_f32 v[36:37], v[36:37], v[38:39], v[56:57]
	v_and_b32_e32 v3, 0xffff, v3
	s_wait_dscnt 0x0
	v_dual_lshrrev_b32 v73, 16, v52 :: v_dual_lshrrev_b32 v78, 16, v53
	v_and_b32_e32 v52, 0xffff, v52
	v_and_b32_e32 v53, 0xffff, v53
	v_dual_lshrrev_b32 v79, 16, v54 :: v_dual_lshrrev_b32 v46, 16, v55
	v_and_b32_e32 v81, 0xffff, v55
	;;#ASMSTART
	v_cvt_f32_f16 v74, v52;
	;;#ASMEND
	;;#ASMSTART
	v_cvt_f32_f16 v75, v73;
	;;#ASMEND
	;; [unrolled: 3-line block ×7, first 2 shown]
	v_and_b32_e32 v2, 0xffff, v5
	v_and_b32_e32 v80, 0xffff, v54
	;;#ASMSTART
	v_cvt_f32_f16 v54, v4;
	;;#ASMEND
	;;#ASMSTART
	v_cvt_f32_f16 v49, v80;
	;;#ASMEND
	v_and_b32_e32 v4, 0xffff, v45
	;;#ASMSTART
	v_cvt_f32_f16 v48, v79;
	;;#ASMEND
	;;#ASMSTART
	v_cvt_f32_f16 v51, v2;
	;;#ASMEND
	;; [unrolled: 7-line block ×3, first 2 shown]
	;;#ASMSTART
	v_cvt_f32_f16 v44, v46;
	;;#ASMEND
	;;#ASMSTART
	v_cvt_f32_f16 v47, v2;
	;;#ASMEND
	;; [unrolled: 3-line block ×3, first 2 shown]
	ds_load_b128 v[2:5], v9 offset:48
	v_or_b32_e32 v38, v69, v67
	v_or_b32_e32 v39, v66, v65
	v_fma_mixlo_f16 v66, v11, v66, 0 op_sel:[0,1,0] op_sel_hi:[0,1,0]
	v_pk_fma_f32 v[36:37], v[74:75], v[76:77], v[36:37]
	v_fma_mixlo_f16 v56, v11, v69, 0 op_sel:[0,1,0] op_sel_hi:[0,1,0]
	v_fma_mixlo_f16 v57, v11, v38, 0 op_sel_hi:[0,1,0]
	v_or_b32_e32 v38, v70, v68
	v_fma_mixlo_f16 v67, v11, v39, 0 op_sel_hi:[0,1,0]
	v_pk_mul_f32 v[32:33], v[32:33], v[34:35]
	v_fma_mixlo_f16 v68, v11, v70, 0 op_sel:[0,1,0] op_sel_hi:[0,1,0]
	v_add_nc_u32_e32 v8, v63, v10
	v_fma_mixlo_f16 v69, v11, v38, 0 op_sel_hi:[0,1,0]
	v_pk_mul_f32 v[38:39], v[40:41], v[42:43]
	v_and_b32_e32 v42, 0xffff, v67
	v_and_b32_e32 v43, 0xffff, v66
	v_pk_fma_f32 v[20:21], v[20:21], v[22:23], v[32:33]
	v_and_b32_e32 v22, 0xffff, v68
	v_cvt_f32_i32_e32 v8, v8
	v_pk_mul_f32 v[26:27], v[26:27], v[28:29]
	s_wait_dscnt 0x0
	v_and_b32_e32 v40, 0xffff, v2
	v_lshrrev_b32_e32 v2, 16, v2
	;;#ASMSTART
	v_cvt_f32_f16 v40, v40;
	;;#ASMEND
	;;#ASMSTART
	v_cvt_f32_f16 v41, v2;
	;;#ASMEND
	;;#ASMSTART
	v_cvt_f32_f16 v42, v42;
	;;#ASMEND
	;;#ASMSTART
	v_cvt_f32_f16 v43, v43;
	;;#ASMEND
	v_and_b32_e32 v66, 0xffff, v3
	v_pk_fma_f32 v[36:37], v[40:41], v[42:43], v[36:37]
	v_lshrrev_b32_e32 v40, 16, v3
	v_pk_fma_f32 v[2:3], v[24:25], v[30:31], v[38:39]
	v_and_b32_e32 v30, 0xffff, v57
	;;#ASMSTART
	v_cvt_f32_f16 v25, v66;
	;;#ASMEND
	;;#ASMSTART
	v_cvt_f32_f16 v24, v40;
	;;#ASMEND
	v_and_b32_e32 v39, 0xffff, v4
	v_pk_fma_f32 v[2:3], v[52:53], v[54:55], v[2:3]
	v_lshrrev_b32_e32 v4, 16, v4
	v_and_b32_e32 v38, 0xffff, v56
	;;#ASMSTART
	v_cvt_f32_f16 v31, v30;
	;;#ASMEND
	;;#ASMSTART
	v_cvt_f32_f16 v30, v38;
	;;#ASMEND
	v_pk_fma_f32 v[2:3], v[24:25], v[30:31], v[2:3]
	;;#ASMSTART
	v_cvt_f32_f16 v25, v39;
	;;#ASMEND
	;;#ASMSTART
	v_cvt_f32_f16 v24, v4;
	;;#ASMEND
	v_add_f32_e32 v4, v36, v37
	v_pk_fma_f32 v[20:21], v[48:49], v[50:51], v[20:21]
	v_and_b32_e32 v30, 0xffff, v69
	;;#ASMSTART
	v_cvt_f32_f16 v23, v30;
	;;#ASMEND
	;;#ASMSTART
	v_cvt_f32_f16 v22, v22;
	;;#ASMEND
	v_add_f32_e32 v3, v4, v3
	v_pk_fma_f32 v[20:21], v[24:25], v[22:23], v[20:21]
	v_and_b32_e32 v28, 0xffff, v5
	v_lshrrev_b32_e32 v22, 16, v5
	v_pk_fma_f32 v[4:5], v[16:17], v[18:19], v[26:27]
	v_add_f32_e32 v2, v2, v3
	v_or_b32_e32 v65, v72, v71
	;;#ASMSTART
	v_cvt_f32_f16 v3, v28;
	;;#ASMEND
	s_delay_alu instid0(VALU_DEP_3) | instskip(NEXT) | instid1(VALU_DEP_2)
	v_pk_fma_f32 v[4:5], v[44:45], v[46:47], v[4:5]
	v_fma_mixlo_f16 v65, v11, v65, 0 op_sel_hi:[0,1,0]
	v_fma_mixlo_f16 v11, v11, v72, 0 op_sel:[0,1,0] op_sel_hi:[0,1,0]
	s_delay_alu instid0(VALU_DEP_2) | instskip(NEXT) | instid1(VALU_DEP_2)
	v_and_b32_e32 v16, 0xffff, v65
	v_and_b32_e32 v18, 0xffff, v11
	v_add_f32_e32 v11, v2, v21
	;;#ASMSTART
	v_cvt_f32_f16 v2, v22;
	;;#ASMEND
	;;#ASMSTART
	v_cvt_f32_f16 v17, v16;
	;;#ASMEND
	;; [unrolled: 3-line block ×3, first 2 shown]
	v_pk_fma_f32 v[2:3], v[2:3], v[16:17], v[4:5]
	v_dual_add_f32 v4, v20, v11 :: v_dual_mul_f32 v5, s38, v8
	s_delay_alu instid0(VALU_DEP_1) | instskip(NEXT) | instid1(VALU_DEP_1)
	v_dual_add_f32 v3, v4, v3 :: v_dual_cndmask_b32 v4, 0, v5
	v_dual_add_f32 v2, v2, v3 :: v_dual_add_nc_u32 v3, v59, v10
	s_delay_alu instid0(VALU_DEP_1) | instskip(NEXT) | instid1(VALU_DEP_2)
	v_dual_fmac_f32 v4, s25, v2 :: v_dual_max_num_f32 v2, v60, v60
	v_cmp_gt_i32_e64 s3, s34, v3
	s_delay_alu instid0(VALU_DEP_1) | instskip(NEXT) | instid1(VALU_DEP_1)
	v_dual_max_num_f32 v2, v2, v4 :: v_dual_cndmask_b32 v3, 0, v4, s3
	v_cndmask_b32_e64 v60, v60, v2, s3
	ds_store_b32 v64, v3
.LBB274_14:                             ;   in Loop: Header=BB274_15 Depth=1
	s_or_b32 exec_lo, exec_lo, s4
	v_add_nc_u32_e32 v62, 4, v62
	v_add_nc_u64_e32 v[14:15], 16, v[14:15]
	v_add_nc_u32_e32 v10, 0x80, v10
	v_add_nc_u32_e32 v64, 0x200, v64
	s_delay_alu instid0(VALU_DEP_4) | instskip(SKIP_1) | instid1(SALU_CYCLE_1)
	v_cmp_le_i32_e64 s3, s36, v62
	s_or_b32 s15, s3, s15
	s_and_not1_b32 exec_lo, exec_lo, s15
	s_cbranch_execz .LBB274_271
.LBB274_15:                             ; =>This Inner Loop Header: Depth=1
	v_mov_b32_e32 v11, v9
	s_delay_alu instid0(VALU_DEP_1) | instskip(NEXT) | instid1(VALU_DEP_1)
	v_mul_u64_e32 v[2:3], s[18:19], v[10:11]
	v_mul_lo_u32 v2, v3, s12
	s_delay_alu instid0(VALU_DEP_1) | instskip(NEXT) | instid1(VALU_DEP_1)
	v_sub_nc_u32_e32 v2, v10, v2
	v_subrev_nc_u32_e32 v5, s12, v2
	v_cmp_le_u32_e64 s3, s12, v2
	s_delay_alu instid0(VALU_DEP_1) | instskip(NEXT) | instid1(VALU_DEP_1)
	v_dual_add_nc_u32 v4, 1, v3 :: v_dual_cndmask_b32 v2, v2, v5, s3
	v_cndmask_b32_e64 v3, v3, v4, s3
	s_delay_alu instid0(VALU_DEP_2) | instskip(NEXT) | instid1(VALU_DEP_2)
	v_cmp_le_u32_e64 s3, s12, v2
	v_add_nc_u32_e32 v4, 1, v3
	s_delay_alu instid0(VALU_DEP_1) | instskip(NEXT) | instid1(VALU_DEP_1)
	v_cndmask_b32_e64 v2, v3, v4, s3
	v_xor_b32_e32 v2, s35, v2
	s_delay_alu instid0(VALU_DEP_1) | instskip(NEXT) | instid1(VALU_DEP_1)
	v_subrev_nc_u32_e32 v4, s35, v2
	v_add_nc_u32_e32 v5, s17, v4
	v_cmp_ge_i32_e64 s4, s39, v4
	s_delay_alu instid0(VALU_DEP_2) | instskip(NEXT) | instid1(VALU_DEP_1)
	v_sub_nc_u32_e32 v2, 0, v5
	v_dual_ashrrev_i32 v5, 31, v5 :: v_dual_max_i32 v8, v5, v2
	s_delay_alu instid0(VALU_DEP_1) | instskip(NEXT) | instid1(VALU_DEP_1)
	v_mul_u64_e32 v[2:3], s[28:29], v[8:9]
	v_mul_lo_u32 v2, v3, s40
	s_delay_alu instid0(VALU_DEP_1) | instskip(NEXT) | instid1(VALU_DEP_1)
	v_sub_nc_u32_e32 v2, v8, v2
	v_subrev_nc_u32_e32 v3, s40, v2
	v_cmp_le_u32_e64 s3, s40, v2
	s_delay_alu instid0(VALU_DEP_1) | instskip(NEXT) | instid1(VALU_DEP_1)
	v_cndmask_b32_e64 v2, v2, v3, s3
	v_subrev_nc_u32_e32 v3, s40, v2
	v_cmp_le_u32_e64 s3, s40, v2
	s_delay_alu instid0(VALU_DEP_1) | instskip(NEXT) | instid1(VALU_DEP_1)
	v_cndmask_b32_e64 v2, v2, v3, s3
	v_xor_b32_e32 v2, v2, v5
	s_delay_alu instid0(VALU_DEP_1) | instskip(NEXT) | instid1(VALU_DEP_1)
	v_sub_nc_u32_e32 v2, v2, v5
	v_cmp_ne_u32_e64 s3, 0, v2
	s_and_b32 s3, s3, s4
	s_delay_alu instid0(SALU_CYCLE_1) | instskip(NEXT) | instid1(SALU_CYCLE_1)
	s_and_saveexec_b32 s4, s3
	s_xor_b32 s3, exec_lo, s4
; %bb.16:                               ;   in Loop: Header=BB274_15 Depth=1
	ds_store_b32 v64, v61
; %bb.17:                               ;   in Loop: Header=BB274_15 Depth=1
	s_and_not1_saveexec_b32 s4, s3
	s_cbranch_execz .LBB274_14
; %bb.18:                               ;   in Loop: Header=BB274_15 Depth=1
	global_load_b32 v2, v[14:15], off
	v_dual_mov_b32 v16, 0 :: v_dual_mov_b32 v17, 0
	s_mov_b32 s42, exec_lo
	global_load_b32 v11, v16, s[8:9]
	s_wait_loadcnt 0x1
	v_mad_nc_i64_i32 v[2:3], v2, s41, v[12:13]
	global_load_b64 v[4:5], v[2:3], off
	s_wait_loadcnt 0x0
	v_and_b32_e32 v8, 0xff, v4
	s_delay_alu instid0(VALU_DEP_1)
	v_cmpx_ne_u16_e32 0, v8
	s_cbranch_execz .LBB274_26
; %bb.19:                               ;   in Loop: Header=BB274_15 Depth=1
	v_mov_b32_e32 v17, 0x8000
	s_mov_b32 s43, exec_lo
	v_cmpx_ne_u16_e32 0x80, v8
	s_cbranch_execz .LBB274_25
; %bb.20:                               ;   in Loop: Header=BB274_15 Depth=1
	v_and_b32_e32 v18, 0x7f, v4
	v_mov_b32_e32 v17, 0x7c01
	s_mov_b32 s44, exec_lo
	s_delay_alu instid0(VALU_DEP_2)
	v_cmpx_ne_u32_e32 0x7f, v18
	s_cbranch_execz .LBB274_24
; %bb.21:                               ;   in Loop: Header=BB274_15 Depth=1
	v_dual_lshrrev_b32 v17, 3, v18 :: v_dual_bitop2_b32 v8, 7, v4 bitop3:0x40
	s_mov_b32 s45, exec_lo
	v_cmpx_gt_u32_e32 8, v18
; %bb.22:                               ;   in Loop: Header=BB274_15 Depth=1
	s_delay_alu instid0(VALU_DEP_2) | instskip(NEXT) | instid1(VALU_DEP_1)
	v_clz_i32_u32_e32 v8, v8
	v_min_u32_e32 v8, 32, v8
	s_delay_alu instid0(VALU_DEP_1) | instskip(NEXT) | instid1(VALU_DEP_1)
	v_subrev_nc_u32_e32 v17, 28, v8
	v_lshlrev_b64_e32 v[18:19], v17, v[4:5]
	s_delay_alu instid0(VALU_DEP_1)
	v_dual_sub_nc_u32 v17, 29, v8 :: v_dual_bitop2_b32 v8, 7, v18 bitop3:0x40
; %bb.23:                               ;   in Loop: Header=BB274_15 Depth=1
	s_or_b32 exec_lo, exec_lo, s45
	v_lshlrev_b32_e32 v18, 8, v4
	s_delay_alu instid0(VALU_DEP_2) | instskip(NEXT) | instid1(VALU_DEP_3)
	v_lshl_add_u32 v17, v17, 10, 0x2000
	v_lshlrev_b32_e32 v8, 7, v8
	s_delay_alu instid0(VALU_DEP_3) | instskip(NEXT) | instid1(VALU_DEP_3)
	v_and_b32_e32 v18, 0x8000, v18
	v_and_b32_e32 v17, 0xfc00, v17
	s_delay_alu instid0(VALU_DEP_1)
	v_or3_b32 v17, v18, v17, v8
.LBB274_24:                             ;   in Loop: Header=BB274_15 Depth=1
	s_or_b32 exec_lo, exec_lo, s44
.LBB274_25:                             ;   in Loop: Header=BB274_15 Depth=1
	s_delay_alu instid0(SALU_CYCLE_1)
	s_or_b32 exec_lo, exec_lo, s43
.LBB274_26:                             ;   in Loop: Header=BB274_15 Depth=1
	s_delay_alu instid0(SALU_CYCLE_1) | instskip(SKIP_2) | instid1(VALU_DEP_1)
	s_or_b32 exec_lo, exec_lo, s42
	v_lshrrev_b16 v8, 8, v4
	s_mov_b32 s42, exec_lo
	v_cmpx_ne_u16_e32 0, v8
	s_cbranch_execz .LBB274_34
; %bb.27:                               ;   in Loop: Header=BB274_15 Depth=1
	v_bfrev_b32_e32 v16, 1
	s_mov_b32 s43, exec_lo
	v_cmpx_ne_u16_e32 0x80, v8
	s_cbranch_execz .LBB274_33
; %bb.28:                               ;   in Loop: Header=BB274_15 Depth=1
	v_and_b32_e32 v18, 0xffff, v8
	v_mov_b32_e32 v16, 0x7c010000
	s_mov_b32 s44, exec_lo
	s_delay_alu instid0(VALU_DEP_2) | instskip(NEXT) | instid1(VALU_DEP_1)
	v_and_b32_e32 v20, 0x7f, v18
	v_cmpx_ne_u32_e32 0x7f, v20
	s_cbranch_execz .LBB274_32
; %bb.29:                               ;   in Loop: Header=BB274_15 Depth=1
	v_dual_lshrrev_b32 v19, 3, v20 :: v_dual_bitop2_b32 v16, 7, v18 bitop3:0x40
	s_mov_b32 s45, exec_lo
	v_cmpx_gt_u32_e32 8, v20
; %bb.30:                               ;   in Loop: Header=BB274_15 Depth=1
	s_delay_alu instid0(VALU_DEP_2) | instskip(NEXT) | instid1(VALU_DEP_1)
	v_clz_i32_u32_e32 v16, v16
	v_min_u32_e32 v16, 32, v16
	s_delay_alu instid0(VALU_DEP_1) | instskip(NEXT) | instid1(VALU_DEP_1)
	v_subrev_nc_u32_e32 v19, 28, v16
	v_lshlrev_b64_e32 v[20:21], v19, v[8:9]
	v_sub_nc_u32_e32 v19, 29, v16
	s_delay_alu instid0(VALU_DEP_2)
	v_and_b32_e32 v16, 7, v20
; %bb.31:                               ;   in Loop: Header=BB274_15 Depth=1
	s_or_b32 exec_lo, exec_lo, s45
	s_delay_alu instid0(VALU_DEP_1) | instskip(NEXT) | instid1(VALU_DEP_3)
	v_dual_lshlrev_b32 v8, 8, v18 :: v_dual_lshlrev_b32 v16, 23, v16
	v_lshl_add_u32 v18, v19, 10, 0x2000
	s_delay_alu instid0(VALU_DEP_1) | instskip(NEXT) | instid1(VALU_DEP_1)
	v_and_or_b32 v8, 0x8000, v8, v18
	v_lshl_or_b32 v16, v8, 16, v16
.LBB274_32:                             ;   in Loop: Header=BB274_15 Depth=1
	s_or_b32 exec_lo, exec_lo, s44
.LBB274_33:                             ;   in Loop: Header=BB274_15 Depth=1
	s_delay_alu instid0(SALU_CYCLE_1)
	s_or_b32 exec_lo, exec_lo, s43
.LBB274_34:                             ;   in Loop: Header=BB274_15 Depth=1
	s_delay_alu instid0(SALU_CYCLE_1) | instskip(SKIP_3) | instid1(VALU_DEP_2)
	s_or_b32 exec_lo, exec_lo, s42
	v_dual_lshrrev_b32 v8, 16, v4 :: v_dual_mov_b32 v18, 0
	v_mov_b32_e32 v19, 0
	s_mov_b32 s42, exec_lo
	v_and_b32_e32 v20, 0xff, v8
	s_delay_alu instid0(VALU_DEP_1)
	v_cmpx_ne_u16_e32 0, v20
	s_cbranch_execz .LBB274_42
; %bb.35:                               ;   in Loop: Header=BB274_15 Depth=1
	v_mov_b32_e32 v19, 0x8000
	s_mov_b32 s43, exec_lo
	v_cmpx_ne_u16_e32 0x80, v20
	s_cbranch_execz .LBB274_41
; %bb.36:                               ;   in Loop: Header=BB274_15 Depth=1
	v_bfe_u32 v21, v4, 16, 7
	v_mov_b32_e32 v19, 0x7c01
	s_mov_b32 s44, exec_lo
	s_delay_alu instid0(VALU_DEP_2)
	v_cmpx_ne_u32_e32 0x7f, v21
	s_cbranch_execz .LBB274_40
; %bb.37:                               ;   in Loop: Header=BB274_15 Depth=1
	v_dual_lshrrev_b32 v20, 3, v21 :: v_dual_bitop2_b32 v19, 7, v8 bitop3:0x40
	s_mov_b32 s45, exec_lo
	v_cmpx_gt_u32_e32 8, v21
; %bb.38:                               ;   in Loop: Header=BB274_15 Depth=1
	s_delay_alu instid0(VALU_DEP_2) | instskip(NEXT) | instid1(VALU_DEP_1)
	v_clz_i32_u32_e32 v19, v19
	v_min_u32_e32 v19, 32, v19
	s_delay_alu instid0(VALU_DEP_1) | instskip(NEXT) | instid1(VALU_DEP_1)
	v_subrev_nc_u32_e32 v20, 28, v19
	v_lshlrev_b64_e32 v[22:23], v20, v[8:9]
	s_delay_alu instid0(VALU_DEP_1)
	v_dual_sub_nc_u32 v20, 29, v19 :: v_dual_bitop2_b32 v19, 7, v22 bitop3:0x40
; %bb.39:                               ;   in Loop: Header=BB274_15 Depth=1
	s_or_b32 exec_lo, exec_lo, s45
	s_delay_alu instid0(VALU_DEP_1) | instskip(NEXT) | instid1(VALU_DEP_2)
	v_dual_lshlrev_b32 v8, 8, v8 :: v_dual_lshlrev_b32 v19, 7, v19
	v_lshl_add_u32 v20, v20, 10, 0x2000
	s_delay_alu instid0(VALU_DEP_2) | instskip(NEXT) | instid1(VALU_DEP_2)
	v_and_b32_e32 v8, 0x8000, v8
	v_and_b32_e32 v20, 0xfc00, v20
	s_delay_alu instid0(VALU_DEP_1)
	v_or3_b32 v19, v8, v20, v19
.LBB274_40:                             ;   in Loop: Header=BB274_15 Depth=1
	s_or_b32 exec_lo, exec_lo, s44
.LBB274_41:                             ;   in Loop: Header=BB274_15 Depth=1
	s_delay_alu instid0(SALU_CYCLE_1)
	s_or_b32 exec_lo, exec_lo, s43
.LBB274_42:                             ;   in Loop: Header=BB274_15 Depth=1
	s_delay_alu instid0(SALU_CYCLE_1) | instskip(NEXT) | instid1(SALU_CYCLE_1)
	s_or_b32 exec_lo, exec_lo, s42
	s_mov_b32 s42, exec_lo
	v_cmpx_lt_u32_e32 0xffffff, v4
	s_cbranch_execz .LBB274_50
; %bb.43:                               ;   in Loop: Header=BB274_15 Depth=1
	v_lshrrev_b32_e32 v8, 24, v4
	v_bfrev_b32_e32 v18, 1
	s_mov_b32 s43, exec_lo
	s_delay_alu instid0(VALU_DEP_2)
	v_cmpx_ne_u32_e32 0x80, v8
	s_cbranch_execz .LBB274_49
; %bb.44:                               ;   in Loop: Header=BB274_15 Depth=1
	v_and_b32_e32 v21, 0x7f, v8
	v_mov_b32_e32 v18, 0x7c010000
	s_mov_b32 s44, exec_lo
	s_delay_alu instid0(VALU_DEP_2)
	v_cmpx_ne_u32_e32 0x7f, v21
	s_cbranch_execz .LBB274_48
; %bb.45:                               ;   in Loop: Header=BB274_15 Depth=1
	v_dual_lshrrev_b32 v20, 3, v21 :: v_dual_bitop2_b32 v18, 7, v8 bitop3:0x40
	s_mov_b32 s45, exec_lo
	v_cmpx_gt_u32_e32 8, v21
; %bb.46:                               ;   in Loop: Header=BB274_15 Depth=1
	s_delay_alu instid0(VALU_DEP_2) | instskip(NEXT) | instid1(VALU_DEP_1)
	v_clz_i32_u32_e32 v18, v18
	v_min_u32_e32 v18, 32, v18
	s_delay_alu instid0(VALU_DEP_1) | instskip(NEXT) | instid1(VALU_DEP_1)
	v_subrev_nc_u32_e32 v20, 28, v18
	v_lshlrev_b64_e32 v[22:23], v20, v[8:9]
	v_sub_nc_u32_e32 v20, 29, v18
	s_delay_alu instid0(VALU_DEP_2)
	v_and_b32_e32 v18, 7, v22
; %bb.47:                               ;   in Loop: Header=BB274_15 Depth=1
	s_or_b32 exec_lo, exec_lo, s45
	s_delay_alu instid0(VALU_DEP_1) | instskip(NEXT) | instid1(VALU_DEP_3)
	v_dual_lshlrev_b32 v8, 8, v8 :: v_dual_lshlrev_b32 v18, 23, v18
	v_lshl_add_u32 v20, v20, 10, 0x2000
	s_delay_alu instid0(VALU_DEP_1) | instskip(NEXT) | instid1(VALU_DEP_1)
	v_and_or_b32 v8, 0x8000, v8, v20
	v_lshl_or_b32 v18, v8, 16, v18
.LBB274_48:                             ;   in Loop: Header=BB274_15 Depth=1
	s_or_b32 exec_lo, exec_lo, s44
.LBB274_49:                             ;   in Loop: Header=BB274_15 Depth=1
	s_delay_alu instid0(SALU_CYCLE_1)
	s_or_b32 exec_lo, exec_lo, s43
.LBB274_50:                             ;   in Loop: Header=BB274_15 Depth=1
	s_delay_alu instid0(SALU_CYCLE_1) | instskip(SKIP_4) | instid1(VALU_DEP_3)
	s_or_b32 exec_lo, exec_lo, s42
	v_and_b32_e32 v22, 0xff, v5
	v_dual_mov_b32 v8, v5 :: v_dual_mov_b32 v20, 0
	v_mov_b32_e32 v21, 0
	s_mov_b32 s42, exec_lo
	v_cmpx_ne_u16_e32 0, v22
	s_cbranch_execz .LBB274_58
; %bb.51:                               ;   in Loop: Header=BB274_15 Depth=1
	v_mov_b32_e32 v21, 0x8000
	s_mov_b32 s43, exec_lo
	v_cmpx_ne_u16_e32 0x80, v22
	s_cbranch_execz .LBB274_57
; %bb.52:                               ;   in Loop: Header=BB274_15 Depth=1
	v_and_b32_e32 v23, 0x7f, v5
	v_mov_b32_e32 v21, 0x7c01
	s_mov_b32 s44, exec_lo
	s_delay_alu instid0(VALU_DEP_2)
	v_cmpx_ne_u32_e32 0x7f, v23
	s_cbranch_execz .LBB274_56
; %bb.53:                               ;   in Loop: Header=BB274_15 Depth=1
	v_dual_lshrrev_b32 v22, 3, v23 :: v_dual_bitop2_b32 v21, 7, v5 bitop3:0x40
	s_mov_b32 s45, exec_lo
	v_cmpx_gt_u32_e32 8, v23
; %bb.54:                               ;   in Loop: Header=BB274_15 Depth=1
	s_delay_alu instid0(VALU_DEP_2) | instskip(NEXT) | instid1(VALU_DEP_1)
	v_clz_i32_u32_e32 v21, v21
	v_min_u32_e32 v21, 32, v21
	s_delay_alu instid0(VALU_DEP_1) | instskip(NEXT) | instid1(VALU_DEP_1)
	v_subrev_nc_u32_e32 v22, 28, v21
	v_lshlrev_b64_e32 v[24:25], v22, v[8:9]
	s_delay_alu instid0(VALU_DEP_1)
	v_dual_sub_nc_u32 v22, 29, v21 :: v_dual_bitop2_b32 v21, 7, v24 bitop3:0x40
; %bb.55:                               ;   in Loop: Header=BB274_15 Depth=1
	s_or_b32 exec_lo, exec_lo, s45
	v_lshlrev_b32_e32 v23, 8, v5
	s_delay_alu instid0(VALU_DEP_2) | instskip(NEXT) | instid1(VALU_DEP_3)
	v_lshl_add_u32 v22, v22, 10, 0x2000
	v_lshlrev_b32_e32 v21, 7, v21
	s_delay_alu instid0(VALU_DEP_3) | instskip(NEXT) | instid1(VALU_DEP_3)
	v_and_b32_e32 v23, 0x8000, v23
	v_and_b32_e32 v22, 0xfc00, v22
	s_delay_alu instid0(VALU_DEP_1)
	v_or3_b32 v21, v23, v22, v21
.LBB274_56:                             ;   in Loop: Header=BB274_15 Depth=1
	s_or_b32 exec_lo, exec_lo, s44
.LBB274_57:                             ;   in Loop: Header=BB274_15 Depth=1
	s_delay_alu instid0(SALU_CYCLE_1)
	s_or_b32 exec_lo, exec_lo, s43
.LBB274_58:                             ;   in Loop: Header=BB274_15 Depth=1
	s_delay_alu instid0(SALU_CYCLE_1) | instskip(SKIP_3) | instid1(VALU_DEP_2)
	s_or_b32 exec_lo, exec_lo, s42
	v_lshrrev_b16 v8, 8, v8
	v_mov_b32_e32 v22, 0
	s_mov_b32 s42, exec_lo
	v_cmpx_ne_u16_e32 0, v8
	s_cbranch_execz .LBB274_66
; %bb.59:                               ;   in Loop: Header=BB274_15 Depth=1
	v_bfrev_b32_e32 v22, 1
	s_mov_b32 s43, exec_lo
	v_cmpx_ne_u16_e32 0x80, v8
	s_cbranch_execz .LBB274_65
; %bb.60:                               ;   in Loop: Header=BB274_15 Depth=1
	v_and_b32_e32 v23, 0xffff, v8
	v_mov_b32_e32 v22, 0x7c010000
	s_mov_b32 s44, exec_lo
	s_delay_alu instid0(VALU_DEP_2) | instskip(NEXT) | instid1(VALU_DEP_1)
	v_and_b32_e32 v25, 0x7f, v23
	v_cmpx_ne_u32_e32 0x7f, v25
	s_cbranch_execz .LBB274_64
; %bb.61:                               ;   in Loop: Header=BB274_15 Depth=1
	v_dual_lshrrev_b32 v24, 3, v25 :: v_dual_bitop2_b32 v22, 7, v23 bitop3:0x40
	s_mov_b32 s45, exec_lo
	v_cmpx_gt_u32_e32 8, v25
; %bb.62:                               ;   in Loop: Header=BB274_15 Depth=1
	s_delay_alu instid0(VALU_DEP_2) | instskip(NEXT) | instid1(VALU_DEP_1)
	v_clz_i32_u32_e32 v22, v22
	v_min_u32_e32 v22, 32, v22
	s_delay_alu instid0(VALU_DEP_1) | instskip(NEXT) | instid1(VALU_DEP_1)
	v_subrev_nc_u32_e32 v24, 28, v22
	v_lshlrev_b64_e32 v[26:27], v24, v[8:9]
	v_sub_nc_u32_e32 v24, 29, v22
	s_delay_alu instid0(VALU_DEP_2)
	v_and_b32_e32 v22, 7, v26
; %bb.63:                               ;   in Loop: Header=BB274_15 Depth=1
	s_or_b32 exec_lo, exec_lo, s45
	s_delay_alu instid0(VALU_DEP_1) | instskip(NEXT) | instid1(VALU_DEP_3)
	v_dual_lshlrev_b32 v8, 8, v23 :: v_dual_lshlrev_b32 v22, 23, v22
	v_lshl_add_u32 v23, v24, 10, 0x2000
	s_delay_alu instid0(VALU_DEP_1) | instskip(NEXT) | instid1(VALU_DEP_1)
	v_and_or_b32 v8, 0x8000, v8, v23
	v_lshl_or_b32 v22, v8, 16, v22
.LBB274_64:                             ;   in Loop: Header=BB274_15 Depth=1
	s_or_b32 exec_lo, exec_lo, s44
.LBB274_65:                             ;   in Loop: Header=BB274_15 Depth=1
	s_delay_alu instid0(SALU_CYCLE_1)
	s_or_b32 exec_lo, exec_lo, s43
.LBB274_66:                             ;   in Loop: Header=BB274_15 Depth=1
	s_delay_alu instid0(SALU_CYCLE_1) | instskip(SKIP_2) | instid1(VALU_DEP_1)
	s_or_b32 exec_lo, exec_lo, s42
	v_lshrrev_b32_e32 v8, 16, v5
	s_mov_b32 s42, exec_lo
	v_and_b32_e32 v23, 0xff, v8
	s_delay_alu instid0(VALU_DEP_1)
	v_cmpx_ne_u16_e32 0, v23
	s_cbranch_execz .LBB274_74
; %bb.67:                               ;   in Loop: Header=BB274_15 Depth=1
	v_mov_b32_e32 v20, 0x8000
	s_mov_b32 s43, exec_lo
	v_cmpx_ne_u16_e32 0x80, v23
	s_cbranch_execz .LBB274_73
; %bb.68:                               ;   in Loop: Header=BB274_15 Depth=1
	v_bfe_u32 v24, v5, 16, 7
	v_mov_b32_e32 v20, 0x7c01
	s_mov_b32 s44, exec_lo
	s_delay_alu instid0(VALU_DEP_2)
	v_cmpx_ne_u32_e32 0x7f, v24
	s_cbranch_execz .LBB274_72
; %bb.69:                               ;   in Loop: Header=BB274_15 Depth=1
	v_and_b32_e32 v20, 7, v8
	v_lshrrev_b32_e32 v23, 3, v24
	s_mov_b32 s45, exec_lo
	v_cmpx_gt_u32_e32 8, v24
; %bb.70:                               ;   in Loop: Header=BB274_15 Depth=1
	s_delay_alu instid0(VALU_DEP_3) | instskip(NEXT) | instid1(VALU_DEP_1)
	v_clz_i32_u32_e32 v20, v20
	v_min_u32_e32 v20, 32, v20
	s_delay_alu instid0(VALU_DEP_1) | instskip(NEXT) | instid1(VALU_DEP_1)
	v_subrev_nc_u32_e32 v23, 28, v20
	v_lshlrev_b64_e32 v[24:25], v23, v[8:9]
	v_sub_nc_u32_e32 v23, 29, v20
	s_delay_alu instid0(VALU_DEP_2)
	v_and_b32_e32 v20, 7, v24
; %bb.71:                               ;   in Loop: Header=BB274_15 Depth=1
	s_or_b32 exec_lo, exec_lo, s45
	v_lshlrev_b32_e32 v8, 8, v8
	s_delay_alu instid0(VALU_DEP_3) | instskip(NEXT) | instid1(VALU_DEP_3)
	v_lshl_add_u32 v23, v23, 10, 0x2000
	v_lshlrev_b32_e32 v20, 7, v20
	s_delay_alu instid0(VALU_DEP_3) | instskip(NEXT) | instid1(VALU_DEP_3)
	v_and_b32_e32 v8, 0x8000, v8
	v_and_b32_e32 v23, 0xfc00, v23
	s_delay_alu instid0(VALU_DEP_1)
	v_or3_b32 v20, v8, v23, v20
.LBB274_72:                             ;   in Loop: Header=BB274_15 Depth=1
	s_or_b32 exec_lo, exec_lo, s44
.LBB274_73:                             ;   in Loop: Header=BB274_15 Depth=1
	s_delay_alu instid0(SALU_CYCLE_1)
	s_or_b32 exec_lo, exec_lo, s43
.LBB274_74:                             ;   in Loop: Header=BB274_15 Depth=1
	s_delay_alu instid0(SALU_CYCLE_1)
	s_or_b32 exec_lo, exec_lo, s42
	v_dual_mov_b32 v26, 0 :: v_dual_mov_b32 v23, 0
	s_mov_b32 s42, exec_lo
	v_cmpx_lt_u64_e64 s[26:27], v[4:5]
	s_cbranch_execz .LBB274_82
; %bb.75:                               ;   in Loop: Header=BB274_15 Depth=1
	v_lshrrev_b32_e32 v8, 24, v5
	v_bfrev_b32_e32 v23, 1
	s_mov_b32 s43, exec_lo
	s_delay_alu instid0(VALU_DEP_2)
	v_cmpx_ne_u32_e32 0x80, v8
	s_cbranch_execz .LBB274_81
; %bb.76:                               ;   in Loop: Header=BB274_15 Depth=1
	v_and_b32_e32 v24, 0x7f, v8
	v_mov_b32_e32 v23, 0x7c010000
	s_mov_b32 s44, exec_lo
	s_delay_alu instid0(VALU_DEP_2)
	v_cmpx_ne_u32_e32 0x7f, v24
	s_cbranch_execz .LBB274_80
; %bb.77:                               ;   in Loop: Header=BB274_15 Depth=1
	v_and_b32_e32 v4, 7, v8
	v_lshrrev_b32_e32 v5, 3, v24
	s_mov_b32 s45, exec_lo
	v_cmpx_gt_u32_e32 8, v24
; %bb.78:                               ;   in Loop: Header=BB274_15 Depth=1
	s_delay_alu instid0(VALU_DEP_3) | instskip(NEXT) | instid1(VALU_DEP_1)
	v_clz_i32_u32_e32 v4, v4
	v_min_u32_e32 v23, 32, v4
	s_delay_alu instid0(VALU_DEP_1) | instskip(NEXT) | instid1(VALU_DEP_1)
	v_subrev_nc_u32_e32 v4, 28, v23
	v_lshlrev_b64_e32 v[4:5], v4, v[8:9]
	s_delay_alu instid0(VALU_DEP_1)
	v_dual_sub_nc_u32 v5, 29, v23 :: v_dual_bitop2_b32 v4, 7, v4 bitop3:0x40
; %bb.79:                               ;   in Loop: Header=BB274_15 Depth=1
	s_or_b32 exec_lo, exec_lo, s45
	v_lshlrev_b32_e32 v8, 8, v8
	s_delay_alu instid0(VALU_DEP_2) | instskip(NEXT) | instid1(VALU_DEP_3)
	v_lshl_add_u32 v5, v5, 10, 0x2000
	v_lshlrev_b32_e32 v4, 23, v4
	s_delay_alu instid0(VALU_DEP_2) | instskip(NEXT) | instid1(VALU_DEP_1)
	v_and_or_b32 v5, 0x8000, v8, v5
	v_lshl_or_b32 v23, v5, 16, v4
.LBB274_80:                             ;   in Loop: Header=BB274_15 Depth=1
	s_or_b32 exec_lo, exec_lo, s44
.LBB274_81:                             ;   in Loop: Header=BB274_15 Depth=1
	s_delay_alu instid0(SALU_CYCLE_1)
	s_or_b32 exec_lo, exec_lo, s43
.LBB274_82:                             ;   in Loop: Header=BB274_15 Depth=1
	s_delay_alu instid0(SALU_CYCLE_1) | instskip(SKIP_4) | instid1(VALU_DEP_1)
	s_or_b32 exec_lo, exec_lo, s42
	global_load_b64 v[4:5], v[2:3], off offset:8
	s_mov_b32 s42, exec_lo
	s_wait_loadcnt 0x0
	v_and_b32_e32 v8, 0xff, v4
	v_cmpx_ne_u16_e32 0, v8
	s_cbranch_execz .LBB274_90
; %bb.83:                               ;   in Loop: Header=BB274_15 Depth=1
	v_mov_b32_e32 v26, 0x8000
	s_mov_b32 s43, exec_lo
	v_cmpx_ne_u16_e32 0x80, v8
	s_cbranch_execz .LBB274_89
; %bb.84:                               ;   in Loop: Header=BB274_15 Depth=1
	v_and_b32_e32 v25, 0x7f, v4
	v_mov_b32_e32 v26, 0x7c01
	s_mov_b32 s44, exec_lo
	s_delay_alu instid0(VALU_DEP_2)
	v_cmpx_ne_u32_e32 0x7f, v25
	s_cbranch_execz .LBB274_88
; %bb.85:                               ;   in Loop: Header=BB274_15 Depth=1
	v_dual_lshrrev_b32 v24, 3, v25 :: v_dual_bitop2_b32 v8, 7, v4 bitop3:0x40
	s_mov_b32 s45, exec_lo
	v_cmpx_gt_u32_e32 8, v25
; %bb.86:                               ;   in Loop: Header=BB274_15 Depth=1
	s_delay_alu instid0(VALU_DEP_2) | instskip(NEXT) | instid1(VALU_DEP_1)
	v_clz_i32_u32_e32 v8, v8
	v_min_u32_e32 v8, 32, v8
	s_delay_alu instid0(VALU_DEP_1) | instskip(NEXT) | instid1(VALU_DEP_1)
	v_subrev_nc_u32_e32 v24, 28, v8
	v_lshlrev_b64_e32 v[26:27], v24, v[4:5]
	s_delay_alu instid0(VALU_DEP_1)
	v_dual_sub_nc_u32 v24, 29, v8 :: v_dual_bitop2_b32 v8, 7, v26 bitop3:0x40
; %bb.87:                               ;   in Loop: Header=BB274_15 Depth=1
	s_or_b32 exec_lo, exec_lo, s45
	v_lshlrev_b32_e32 v25, 8, v4
	s_delay_alu instid0(VALU_DEP_2) | instskip(NEXT) | instid1(VALU_DEP_3)
	v_lshl_add_u32 v24, v24, 10, 0x2000
	v_lshlrev_b32_e32 v8, 7, v8
	s_delay_alu instid0(VALU_DEP_3) | instskip(NEXT) | instid1(VALU_DEP_3)
	v_and_b32_e32 v25, 0x8000, v25
	v_and_b32_e32 v24, 0xfc00, v24
	s_delay_alu instid0(VALU_DEP_1)
	v_or3_b32 v26, v25, v24, v8
.LBB274_88:                             ;   in Loop: Header=BB274_15 Depth=1
	s_or_b32 exec_lo, exec_lo, s44
.LBB274_89:                             ;   in Loop: Header=BB274_15 Depth=1
	s_delay_alu instid0(SALU_CYCLE_1)
	s_or_b32 exec_lo, exec_lo, s43
.LBB274_90:                             ;   in Loop: Header=BB274_15 Depth=1
	s_delay_alu instid0(SALU_CYCLE_1) | instskip(SKIP_3) | instid1(VALU_DEP_2)
	s_or_b32 exec_lo, exec_lo, s42
	v_lshrrev_b16 v8, 8, v4
	v_dual_mov_b32 v28, 0 :: v_dual_mov_b32 v27, 0
	s_mov_b32 s42, exec_lo
	v_cmpx_ne_u16_e32 0, v8
	s_cbranch_execz .LBB274_98
; %bb.91:                               ;   in Loop: Header=BB274_15 Depth=1
	v_bfrev_b32_e32 v27, 1
	s_mov_b32 s43, exec_lo
	v_cmpx_ne_u16_e32 0x80, v8
	s_cbranch_execz .LBB274_97
; %bb.92:                               ;   in Loop: Header=BB274_15 Depth=1
	v_and_b32_e32 v24, 0xffff, v8
	v_mov_b32_e32 v27, 0x7c010000
	s_mov_b32 s44, exec_lo
	s_delay_alu instid0(VALU_DEP_2) | instskip(NEXT) | instid1(VALU_DEP_1)
	v_and_b32_e32 v29, 0x7f, v24
	v_cmpx_ne_u32_e32 0x7f, v29
	s_cbranch_execz .LBB274_96
; %bb.93:                               ;   in Loop: Header=BB274_15 Depth=1
	v_dual_lshrrev_b32 v27, 3, v29 :: v_dual_bitop2_b32 v25, 7, v24 bitop3:0x40
	s_mov_b32 s45, exec_lo
	v_cmpx_gt_u32_e32 8, v29
; %bb.94:                               ;   in Loop: Header=BB274_15 Depth=1
	s_delay_alu instid0(VALU_DEP_2) | instskip(NEXT) | instid1(VALU_DEP_1)
	v_clz_i32_u32_e32 v25, v25
	v_min_u32_e32 v25, 32, v25
	s_delay_alu instid0(VALU_DEP_1) | instskip(NEXT) | instid1(VALU_DEP_1)
	v_subrev_nc_u32_e32 v27, 28, v25
	v_lshlrev_b64_e32 v[30:31], v27, v[8:9]
	s_delay_alu instid0(VALU_DEP_1)
	v_dual_sub_nc_u32 v27, 29, v25 :: v_dual_bitop2_b32 v25, 7, v30 bitop3:0x40
; %bb.95:                               ;   in Loop: Header=BB274_15 Depth=1
	s_or_b32 exec_lo, exec_lo, s45
	v_lshlrev_b32_e32 v8, 8, v24
	s_delay_alu instid0(VALU_DEP_2) | instskip(NEXT) | instid1(VALU_DEP_1)
	v_lshl_add_u32 v24, v27, 10, 0x2000
	v_and_or_b32 v8, 0x8000, v8, v24
	v_lshlrev_b32_e32 v24, 23, v25
	s_delay_alu instid0(VALU_DEP_1)
	v_lshl_or_b32 v27, v8, 16, v24
.LBB274_96:                             ;   in Loop: Header=BB274_15 Depth=1
	s_or_b32 exec_lo, exec_lo, s44
.LBB274_97:                             ;   in Loop: Header=BB274_15 Depth=1
	s_delay_alu instid0(SALU_CYCLE_1)
	s_or_b32 exec_lo, exec_lo, s43
.LBB274_98:                             ;   in Loop: Header=BB274_15 Depth=1
	s_delay_alu instid0(SALU_CYCLE_1) | instskip(SKIP_2) | instid1(VALU_DEP_1)
	s_or_b32 exec_lo, exec_lo, s42
	v_lshrrev_b32_e32 v8, 16, v4
	s_mov_b32 s42, exec_lo
	v_and_b32_e32 v24, 0xff, v8
	s_delay_alu instid0(VALU_DEP_1)
	v_cmpx_ne_u16_e32 0, v24
	s_cbranch_execz .LBB274_106
; %bb.99:                               ;   in Loop: Header=BB274_15 Depth=1
	v_mov_b32_e32 v28, 0x8000
	s_mov_b32 s43, exec_lo
	v_cmpx_ne_u16_e32 0x80, v24
	s_cbranch_execz .LBB274_105
; %bb.100:                              ;   in Loop: Header=BB274_15 Depth=1
	v_bfe_u32 v29, v4, 16, 7
	v_mov_b32_e32 v28, 0x7c01
	s_mov_b32 s44, exec_lo
	s_delay_alu instid0(VALU_DEP_2)
	v_cmpx_ne_u32_e32 0x7f, v29
	s_cbranch_execz .LBB274_104
; %bb.101:                              ;   in Loop: Header=BB274_15 Depth=1
	v_dual_lshrrev_b32 v25, 3, v29 :: v_dual_bitop2_b32 v24, 7, v8 bitop3:0x40
	s_mov_b32 s45, exec_lo
	v_cmpx_gt_u32_e32 8, v29
; %bb.102:                              ;   in Loop: Header=BB274_15 Depth=1
	s_delay_alu instid0(VALU_DEP_2) | instskip(NEXT) | instid1(VALU_DEP_1)
	v_clz_i32_u32_e32 v24, v24
	v_min_u32_e32 v28, 32, v24
	s_delay_alu instid0(VALU_DEP_1) | instskip(NEXT) | instid1(VALU_DEP_1)
	v_subrev_nc_u32_e32 v24, 28, v28
	v_lshlrev_b64_e32 v[24:25], v24, v[8:9]
	v_sub_nc_u32_e32 v25, 29, v28
	s_delay_alu instid0(VALU_DEP_2)
	v_and_b32_e32 v24, 7, v24
; %bb.103:                              ;   in Loop: Header=BB274_15 Depth=1
	s_or_b32 exec_lo, exec_lo, s45
	v_lshlrev_b32_e32 v8, 8, v8
	s_delay_alu instid0(VALU_DEP_3) | instskip(NEXT) | instid1(VALU_DEP_3)
	v_lshl_add_u32 v25, v25, 10, 0x2000
	v_lshlrev_b32_e32 v24, 7, v24
	s_delay_alu instid0(VALU_DEP_3) | instskip(NEXT) | instid1(VALU_DEP_3)
	v_and_b32_e32 v8, 0x8000, v8
	v_and_b32_e32 v25, 0xfc00, v25
	s_delay_alu instid0(VALU_DEP_1)
	v_or3_b32 v28, v8, v25, v24
.LBB274_104:                            ;   in Loop: Header=BB274_15 Depth=1
	s_or_b32 exec_lo, exec_lo, s44
.LBB274_105:                            ;   in Loop: Header=BB274_15 Depth=1
	s_delay_alu instid0(SALU_CYCLE_1)
	s_or_b32 exec_lo, exec_lo, s43
.LBB274_106:                            ;   in Loop: Header=BB274_15 Depth=1
	s_delay_alu instid0(SALU_CYCLE_1)
	s_or_b32 exec_lo, exec_lo, s42
	v_dual_mov_b32 v29, 0 :: v_dual_mov_b32 v32, 0
	s_mov_b32 s42, exec_lo
	v_cmpx_lt_u32_e32 0xffffff, v4
	s_cbranch_execz .LBB274_114
; %bb.107:                              ;   in Loop: Header=BB274_15 Depth=1
	v_lshrrev_b32_e32 v8, 24, v4
	v_bfrev_b32_e32 v32, 1
	s_mov_b32 s43, exec_lo
	s_delay_alu instid0(VALU_DEP_2)
	v_cmpx_ne_u32_e32 0x80, v8
	s_cbranch_execz .LBB274_113
; %bb.108:                              ;   in Loop: Header=BB274_15 Depth=1
	v_and_b32_e32 v30, 0x7f, v8
	v_mov_b32_e32 v32, 0x7c010000
	s_mov_b32 s44, exec_lo
	s_delay_alu instid0(VALU_DEP_2)
	v_cmpx_ne_u32_e32 0x7f, v30
	s_cbranch_execz .LBB274_112
; %bb.109:                              ;   in Loop: Header=BB274_15 Depth=1
	v_dual_lshrrev_b32 v25, 3, v30 :: v_dual_bitop2_b32 v24, 7, v8 bitop3:0x40
	s_mov_b32 s45, exec_lo
	v_cmpx_gt_u32_e32 8, v30
; %bb.110:                              ;   in Loop: Header=BB274_15 Depth=1
	s_delay_alu instid0(VALU_DEP_2) | instskip(NEXT) | instid1(VALU_DEP_1)
	v_clz_i32_u32_e32 v24, v24
	v_min_u32_e32 v30, 32, v24
	s_delay_alu instid0(VALU_DEP_1) | instskip(NEXT) | instid1(VALU_DEP_1)
	v_subrev_nc_u32_e32 v24, 28, v30
	v_lshlrev_b64_e32 v[24:25], v24, v[8:9]
	s_delay_alu instid0(VALU_DEP_1)
	v_dual_sub_nc_u32 v25, 29, v30 :: v_dual_bitop2_b32 v24, 7, v24 bitop3:0x40
; %bb.111:                              ;   in Loop: Header=BB274_15 Depth=1
	s_or_b32 exec_lo, exec_lo, s45
	v_lshlrev_b32_e32 v8, 8, v8
	s_delay_alu instid0(VALU_DEP_2) | instskip(NEXT) | instid1(VALU_DEP_3)
	v_lshl_add_u32 v25, v25, 10, 0x2000
	v_lshlrev_b32_e32 v24, 23, v24
	s_delay_alu instid0(VALU_DEP_2) | instskip(NEXT) | instid1(VALU_DEP_1)
	v_and_or_b32 v8, 0x8000, v8, v25
	v_lshl_or_b32 v32, v8, 16, v24
.LBB274_112:                            ;   in Loop: Header=BB274_15 Depth=1
	s_or_b32 exec_lo, exec_lo, s44
.LBB274_113:                            ;   in Loop: Header=BB274_15 Depth=1
	s_delay_alu instid0(SALU_CYCLE_1)
	s_or_b32 exec_lo, exec_lo, s43
.LBB274_114:                            ;   in Loop: Header=BB274_15 Depth=1
	s_delay_alu instid0(SALU_CYCLE_1) | instskip(SKIP_3) | instid1(VALU_DEP_2)
	s_or_b32 exec_lo, exec_lo, s42
	v_and_b32_e32 v24, 0xff, v5
	v_mov_b32_e32 v8, v5
	s_mov_b32 s42, exec_lo
	v_cmpx_ne_u16_e32 0, v24
	s_cbranch_execz .LBB274_122
; %bb.115:                              ;   in Loop: Header=BB274_15 Depth=1
	v_mov_b32_e32 v29, 0x8000
	s_mov_b32 s43, exec_lo
	v_cmpx_ne_u16_e32 0x80, v24
	s_cbranch_execz .LBB274_121
; %bb.116:                              ;   in Loop: Header=BB274_15 Depth=1
	v_and_b32_e32 v30, 0x7f, v5
	v_mov_b32_e32 v29, 0x7c01
	s_mov_b32 s44, exec_lo
	s_delay_alu instid0(VALU_DEP_2)
	v_cmpx_ne_u32_e32 0x7f, v30
	s_cbranch_execz .LBB274_120
; %bb.117:                              ;   in Loop: Header=BB274_15 Depth=1
	v_dual_lshrrev_b32 v25, 3, v30 :: v_dual_bitop2_b32 v24, 7, v5 bitop3:0x40
	s_mov_b32 s45, exec_lo
	v_cmpx_gt_u32_e32 8, v30
; %bb.118:                              ;   in Loop: Header=BB274_15 Depth=1
	s_delay_alu instid0(VALU_DEP_2) | instskip(NEXT) | instid1(VALU_DEP_1)
	v_clz_i32_u32_e32 v24, v24
	v_min_u32_e32 v29, 32, v24
	s_delay_alu instid0(VALU_DEP_1) | instskip(NEXT) | instid1(VALU_DEP_1)
	v_subrev_nc_u32_e32 v24, 28, v29
	v_lshlrev_b64_e32 v[24:25], v24, v[8:9]
	s_delay_alu instid0(VALU_DEP_1)
	v_dual_sub_nc_u32 v25, 29, v29 :: v_dual_bitop2_b32 v24, 7, v24 bitop3:0x40
; %bb.119:                              ;   in Loop: Header=BB274_15 Depth=1
	s_or_b32 exec_lo, exec_lo, s45
	s_delay_alu instid0(VALU_DEP_1) | instskip(NEXT) | instid1(VALU_DEP_2)
	v_dual_lshlrev_b32 v29, 8, v5 :: v_dual_lshlrev_b32 v24, 7, v24
	v_lshl_add_u32 v25, v25, 10, 0x2000
	s_delay_alu instid0(VALU_DEP_2) | instskip(NEXT) | instid1(VALU_DEP_2)
	v_and_b32_e32 v29, 0x8000, v29
	v_and_b32_e32 v25, 0xfc00, v25
	s_delay_alu instid0(VALU_DEP_1)
	v_or3_b32 v29, v29, v25, v24
.LBB274_120:                            ;   in Loop: Header=BB274_15 Depth=1
	s_or_b32 exec_lo, exec_lo, s44
.LBB274_121:                            ;   in Loop: Header=BB274_15 Depth=1
	s_delay_alu instid0(SALU_CYCLE_1)
	s_or_b32 exec_lo, exec_lo, s43
.LBB274_122:                            ;   in Loop: Header=BB274_15 Depth=1
	s_delay_alu instid0(SALU_CYCLE_1) | instskip(SKIP_3) | instid1(VALU_DEP_2)
	s_or_b32 exec_lo, exec_lo, s42
	v_lshrrev_b16 v8, 8, v8
	v_dual_mov_b32 v34, 0 :: v_dual_mov_b32 v33, 0
	s_mov_b32 s42, exec_lo
	v_cmpx_ne_u16_e32 0, v8
	s_cbranch_execz .LBB274_130
; %bb.123:                              ;   in Loop: Header=BB274_15 Depth=1
	v_bfrev_b32_e32 v33, 1
	s_mov_b32 s43, exec_lo
	v_cmpx_ne_u16_e32 0x80, v8
	s_cbranch_execz .LBB274_129
; %bb.124:                              ;   in Loop: Header=BB274_15 Depth=1
	v_and_b32_e32 v24, 0xffff, v8
	v_mov_b32_e32 v33, 0x7c010000
	s_mov_b32 s44, exec_lo
	s_delay_alu instid0(VALU_DEP_2) | instskip(NEXT) | instid1(VALU_DEP_1)
	v_and_b32_e32 v31, 0x7f, v24
	v_cmpx_ne_u32_e32 0x7f, v31
	s_cbranch_execz .LBB274_128
; %bb.125:                              ;   in Loop: Header=BB274_15 Depth=1
	v_dual_lshrrev_b32 v30, 3, v31 :: v_dual_bitop2_b32 v25, 7, v24 bitop3:0x40
	s_mov_b32 s45, exec_lo
	v_cmpx_gt_u32_e32 8, v31
; %bb.126:                              ;   in Loop: Header=BB274_15 Depth=1
	s_delay_alu instid0(VALU_DEP_2) | instskip(NEXT) | instid1(VALU_DEP_1)
	v_clz_i32_u32_e32 v25, v25
	v_min_u32_e32 v25, 32, v25
	s_delay_alu instid0(VALU_DEP_1) | instskip(NEXT) | instid1(VALU_DEP_1)
	v_subrev_nc_u32_e32 v30, 28, v25
	v_lshlrev_b64_e32 v[36:37], v30, v[8:9]
	s_delay_alu instid0(VALU_DEP_1)
	v_dual_sub_nc_u32 v30, 29, v25 :: v_dual_bitop2_b32 v25, 7, v36 bitop3:0x40
; %bb.127:                              ;   in Loop: Header=BB274_15 Depth=1
	s_or_b32 exec_lo, exec_lo, s45
	v_lshlrev_b32_e32 v8, 8, v24
	s_delay_alu instid0(VALU_DEP_2) | instskip(NEXT) | instid1(VALU_DEP_1)
	v_lshl_add_u32 v24, v30, 10, 0x2000
	v_and_or_b32 v8, 0x8000, v8, v24
	v_lshlrev_b32_e32 v24, 23, v25
	s_delay_alu instid0(VALU_DEP_1)
	v_lshl_or_b32 v33, v8, 16, v24
.LBB274_128:                            ;   in Loop: Header=BB274_15 Depth=1
	s_or_b32 exec_lo, exec_lo, s44
.LBB274_129:                            ;   in Loop: Header=BB274_15 Depth=1
	s_delay_alu instid0(SALU_CYCLE_1)
	s_or_b32 exec_lo, exec_lo, s43
.LBB274_130:                            ;   in Loop: Header=BB274_15 Depth=1
	s_delay_alu instid0(SALU_CYCLE_1) | instskip(SKIP_2) | instid1(VALU_DEP_1)
	s_or_b32 exec_lo, exec_lo, s42
	v_lshrrev_b32_e32 v8, 16, v5
	s_mov_b32 s42, exec_lo
	v_and_b32_e32 v24, 0xff, v8
	s_delay_alu instid0(VALU_DEP_1)
	v_cmpx_ne_u16_e32 0, v24
	s_cbranch_execz .LBB274_138
; %bb.131:                              ;   in Loop: Header=BB274_15 Depth=1
	v_mov_b32_e32 v34, 0x8000
	s_mov_b32 s43, exec_lo
	v_cmpx_ne_u16_e32 0x80, v24
	s_cbranch_execz .LBB274_137
; %bb.132:                              ;   in Loop: Header=BB274_15 Depth=1
	v_bfe_u32 v30, v5, 16, 7
	v_mov_b32_e32 v34, 0x7c01
	s_mov_b32 s44, exec_lo
	s_delay_alu instid0(VALU_DEP_2)
	v_cmpx_ne_u32_e32 0x7f, v30
	s_cbranch_execz .LBB274_136
; %bb.133:                              ;   in Loop: Header=BB274_15 Depth=1
	v_dual_lshrrev_b32 v25, 3, v30 :: v_dual_bitop2_b32 v24, 7, v8 bitop3:0x40
	s_mov_b32 s45, exec_lo
	v_cmpx_gt_u32_e32 8, v30
; %bb.134:                              ;   in Loop: Header=BB274_15 Depth=1
	s_delay_alu instid0(VALU_DEP_2) | instskip(NEXT) | instid1(VALU_DEP_1)
	v_clz_i32_u32_e32 v24, v24
	v_min_u32_e32 v30, 32, v24
	s_delay_alu instid0(VALU_DEP_1) | instskip(NEXT) | instid1(VALU_DEP_1)
	v_subrev_nc_u32_e32 v24, 28, v30
	v_lshlrev_b64_e32 v[24:25], v24, v[8:9]
	s_delay_alu instid0(VALU_DEP_1)
	v_dual_sub_nc_u32 v25, 29, v30 :: v_dual_bitop2_b32 v24, 7, v24 bitop3:0x40
; %bb.135:                              ;   in Loop: Header=BB274_15 Depth=1
	s_or_b32 exec_lo, exec_lo, s45
	v_lshlrev_b32_e32 v8, 8, v8
	s_delay_alu instid0(VALU_DEP_2) | instskip(NEXT) | instid1(VALU_DEP_3)
	v_lshl_add_u32 v25, v25, 10, 0x2000
	v_lshlrev_b32_e32 v24, 7, v24
	s_delay_alu instid0(VALU_DEP_3) | instskip(NEXT) | instid1(VALU_DEP_3)
	v_and_b32_e32 v8, 0x8000, v8
	v_and_b32_e32 v25, 0xfc00, v25
	s_delay_alu instid0(VALU_DEP_1)
	v_or3_b32 v34, v8, v25, v24
.LBB274_136:                            ;   in Loop: Header=BB274_15 Depth=1
	s_or_b32 exec_lo, exec_lo, s44
.LBB274_137:                            ;   in Loop: Header=BB274_15 Depth=1
	s_delay_alu instid0(SALU_CYCLE_1)
	s_or_b32 exec_lo, exec_lo, s43
.LBB274_138:                            ;   in Loop: Header=BB274_15 Depth=1
	s_delay_alu instid0(SALU_CYCLE_1)
	s_or_b32 exec_lo, exec_lo, s42
	v_dual_mov_b32 v44, 0 :: v_dual_mov_b32 v35, 0
	s_mov_b32 s42, exec_lo
	v_cmpx_lt_u64_e64 s[26:27], v[4:5]
	s_cbranch_execz .LBB274_146
; %bb.139:                              ;   in Loop: Header=BB274_15 Depth=1
	v_lshrrev_b32_e32 v8, 24, v5
	v_bfrev_b32_e32 v35, 1
	s_mov_b32 s43, exec_lo
	s_delay_alu instid0(VALU_DEP_2)
	v_cmpx_ne_u32_e32 0x80, v8
	s_cbranch_execz .LBB274_145
; %bb.140:                              ;   in Loop: Header=BB274_15 Depth=1
	v_and_b32_e32 v24, 0x7f, v8
	v_mov_b32_e32 v35, 0x7c010000
	s_mov_b32 s44, exec_lo
	s_delay_alu instid0(VALU_DEP_2)
	v_cmpx_ne_u32_e32 0x7f, v24
	s_cbranch_execz .LBB274_144
; %bb.141:                              ;   in Loop: Header=BB274_15 Depth=1
	v_and_b32_e32 v4, 7, v8
	v_lshrrev_b32_e32 v5, 3, v24
	s_mov_b32 s45, exec_lo
	v_cmpx_gt_u32_e32 8, v24
; %bb.142:                              ;   in Loop: Header=BB274_15 Depth=1
	s_delay_alu instid0(VALU_DEP_3) | instskip(NEXT) | instid1(VALU_DEP_1)
	v_clz_i32_u32_e32 v4, v4
	v_min_u32_e32 v24, 32, v4
	s_delay_alu instid0(VALU_DEP_1) | instskip(NEXT) | instid1(VALU_DEP_1)
	v_subrev_nc_u32_e32 v4, 28, v24
	v_lshlrev_b64_e32 v[4:5], v4, v[8:9]
	v_sub_nc_u32_e32 v5, 29, v24
	s_delay_alu instid0(VALU_DEP_2)
	v_and_b32_e32 v4, 7, v4
; %bb.143:                              ;   in Loop: Header=BB274_15 Depth=1
	s_or_b32 exec_lo, exec_lo, s45
	v_lshlrev_b32_e32 v8, 8, v8
	s_delay_alu instid0(VALU_DEP_3) | instskip(NEXT) | instid1(VALU_DEP_3)
	v_lshl_add_u32 v5, v5, 10, 0x2000
	v_lshlrev_b32_e32 v4, 23, v4
	s_delay_alu instid0(VALU_DEP_2) | instskip(NEXT) | instid1(VALU_DEP_1)
	v_and_or_b32 v5, 0x8000, v8, v5
	v_lshl_or_b32 v35, v5, 16, v4
.LBB274_144:                            ;   in Loop: Header=BB274_15 Depth=1
	s_or_b32 exec_lo, exec_lo, s44
.LBB274_145:                            ;   in Loop: Header=BB274_15 Depth=1
	s_delay_alu instid0(SALU_CYCLE_1)
	s_or_b32 exec_lo, exec_lo, s43
.LBB274_146:                            ;   in Loop: Header=BB274_15 Depth=1
	s_delay_alu instid0(SALU_CYCLE_1) | instskip(SKIP_4) | instid1(VALU_DEP_1)
	s_or_b32 exec_lo, exec_lo, s42
	global_load_b64 v[4:5], v[2:3], off offset:512
	s_mov_b32 s42, exec_lo
	s_wait_loadcnt 0x0
	v_and_b32_e32 v8, 0xff, v4
	v_cmpx_ne_u16_e32 0, v8
	s_cbranch_execz .LBB274_154
; %bb.147:                              ;   in Loop: Header=BB274_15 Depth=1
	v_mov_b32_e32 v44, 0x8000
	s_mov_b32 s43, exec_lo
	v_cmpx_ne_u16_e32 0x80, v8
	s_cbranch_execz .LBB274_153
; %bb.148:                              ;   in Loop: Header=BB274_15 Depth=1
	v_and_b32_e32 v25, 0x7f, v4
	v_mov_b32_e32 v44, 0x7c01
	s_mov_b32 s44, exec_lo
	s_delay_alu instid0(VALU_DEP_2)
	v_cmpx_ne_u32_e32 0x7f, v25
	s_cbranch_execz .LBB274_152
; %bb.149:                              ;   in Loop: Header=BB274_15 Depth=1
	v_dual_lshrrev_b32 v24, 3, v25 :: v_dual_bitop2_b32 v8, 7, v4 bitop3:0x40
	s_mov_b32 s45, exec_lo
	v_cmpx_gt_u32_e32 8, v25
; %bb.150:                              ;   in Loop: Header=BB274_15 Depth=1
	s_delay_alu instid0(VALU_DEP_2) | instskip(NEXT) | instid1(VALU_DEP_1)
	v_clz_i32_u32_e32 v8, v8
	v_min_u32_e32 v8, 32, v8
	s_delay_alu instid0(VALU_DEP_1) | instskip(NEXT) | instid1(VALU_DEP_1)
	v_subrev_nc_u32_e32 v24, 28, v8
	v_lshlrev_b64_e32 v[30:31], v24, v[4:5]
	s_delay_alu instid0(VALU_DEP_1)
	v_dual_sub_nc_u32 v24, 29, v8 :: v_dual_bitop2_b32 v8, 7, v30 bitop3:0x40
; %bb.151:                              ;   in Loop: Header=BB274_15 Depth=1
	s_or_b32 exec_lo, exec_lo, s45
	v_lshlrev_b32_e32 v25, 8, v4
	s_delay_alu instid0(VALU_DEP_2) | instskip(NEXT) | instid1(VALU_DEP_3)
	v_lshl_add_u32 v24, v24, 10, 0x2000
	v_lshlrev_b32_e32 v8, 7, v8
	s_delay_alu instid0(VALU_DEP_3) | instskip(NEXT) | instid1(VALU_DEP_3)
	v_and_b32_e32 v25, 0x8000, v25
	v_and_b32_e32 v24, 0xfc00, v24
	s_delay_alu instid0(VALU_DEP_1)
	v_or3_b32 v44, v25, v24, v8
.LBB274_152:                            ;   in Loop: Header=BB274_15 Depth=1
	s_or_b32 exec_lo, exec_lo, s44
.LBB274_153:                            ;   in Loop: Header=BB274_15 Depth=1
	s_delay_alu instid0(SALU_CYCLE_1)
	s_or_b32 exec_lo, exec_lo, s43
.LBB274_154:                            ;   in Loop: Header=BB274_15 Depth=1
	s_delay_alu instid0(SALU_CYCLE_1) | instskip(SKIP_3) | instid1(VALU_DEP_2)
	s_or_b32 exec_lo, exec_lo, s42
	v_lshrrev_b16 v8, 8, v4
	v_dual_mov_b32 v46, 0 :: v_dual_mov_b32 v45, 0
	s_mov_b32 s42, exec_lo
	v_cmpx_ne_u16_e32 0, v8
	s_cbranch_execz .LBB274_162
; %bb.155:                              ;   in Loop: Header=BB274_15 Depth=1
	v_bfrev_b32_e32 v45, 1
	s_mov_b32 s43, exec_lo
	v_cmpx_ne_u16_e32 0x80, v8
	s_cbranch_execz .LBB274_161
; %bb.156:                              ;   in Loop: Header=BB274_15 Depth=1
	v_and_b32_e32 v24, 0xffff, v8
	v_mov_b32_e32 v45, 0x7c010000
	s_mov_b32 s44, exec_lo
	s_delay_alu instid0(VALU_DEP_2) | instskip(NEXT) | instid1(VALU_DEP_1)
	v_and_b32_e32 v31, 0x7f, v24
	v_cmpx_ne_u32_e32 0x7f, v31
	s_cbranch_execz .LBB274_160
; %bb.157:                              ;   in Loop: Header=BB274_15 Depth=1
	v_dual_lshrrev_b32 v30, 3, v31 :: v_dual_bitop2_b32 v25, 7, v24 bitop3:0x40
	s_mov_b32 s45, exec_lo
	v_cmpx_gt_u32_e32 8, v31
; %bb.158:                              ;   in Loop: Header=BB274_15 Depth=1
	s_delay_alu instid0(VALU_DEP_2) | instskip(NEXT) | instid1(VALU_DEP_1)
	v_clz_i32_u32_e32 v25, v25
	v_min_u32_e32 v25, 32, v25
	s_delay_alu instid0(VALU_DEP_1) | instskip(NEXT) | instid1(VALU_DEP_1)
	v_subrev_nc_u32_e32 v30, 28, v25
	v_lshlrev_b64_e32 v[36:37], v30, v[8:9]
	s_delay_alu instid0(VALU_DEP_1)
	v_dual_sub_nc_u32 v30, 29, v25 :: v_dual_bitop2_b32 v25, 7, v36 bitop3:0x40
; %bb.159:                              ;   in Loop: Header=BB274_15 Depth=1
	s_or_b32 exec_lo, exec_lo, s45
	v_lshlrev_b32_e32 v8, 8, v24
	s_delay_alu instid0(VALU_DEP_2) | instskip(NEXT) | instid1(VALU_DEP_1)
	v_lshl_add_u32 v24, v30, 10, 0x2000
	v_and_or_b32 v8, 0x8000, v8, v24
	v_lshlrev_b32_e32 v24, 23, v25
	s_delay_alu instid0(VALU_DEP_1)
	v_lshl_or_b32 v45, v8, 16, v24
.LBB274_160:                            ;   in Loop: Header=BB274_15 Depth=1
	s_or_b32 exec_lo, exec_lo, s44
.LBB274_161:                            ;   in Loop: Header=BB274_15 Depth=1
	s_delay_alu instid0(SALU_CYCLE_1)
	s_or_b32 exec_lo, exec_lo, s43
.LBB274_162:                            ;   in Loop: Header=BB274_15 Depth=1
	s_delay_alu instid0(SALU_CYCLE_1) | instskip(SKIP_2) | instid1(VALU_DEP_1)
	s_or_b32 exec_lo, exec_lo, s42
	v_lshrrev_b32_e32 v8, 16, v4
	s_mov_b32 s42, exec_lo
	v_and_b32_e32 v24, 0xff, v8
	s_delay_alu instid0(VALU_DEP_1)
	v_cmpx_ne_u16_e32 0, v24
	s_cbranch_execz .LBB274_170
; %bb.163:                              ;   in Loop: Header=BB274_15 Depth=1
	v_mov_b32_e32 v46, 0x8000
	s_mov_b32 s43, exec_lo
	v_cmpx_ne_u16_e32 0x80, v24
	s_cbranch_execz .LBB274_169
; %bb.164:                              ;   in Loop: Header=BB274_15 Depth=1
	v_bfe_u32 v30, v4, 16, 7
	v_mov_b32_e32 v46, 0x7c01
	s_mov_b32 s44, exec_lo
	s_delay_alu instid0(VALU_DEP_2)
	v_cmpx_ne_u32_e32 0x7f, v30
	s_cbranch_execz .LBB274_168
; %bb.165:                              ;   in Loop: Header=BB274_15 Depth=1
	v_dual_lshrrev_b32 v25, 3, v30 :: v_dual_bitop2_b32 v24, 7, v8 bitop3:0x40
	s_mov_b32 s45, exec_lo
	v_cmpx_gt_u32_e32 8, v30
; %bb.166:                              ;   in Loop: Header=BB274_15 Depth=1
	s_delay_alu instid0(VALU_DEP_2) | instskip(NEXT) | instid1(VALU_DEP_1)
	v_clz_i32_u32_e32 v24, v24
	v_min_u32_e32 v30, 32, v24
	s_delay_alu instid0(VALU_DEP_1) | instskip(NEXT) | instid1(VALU_DEP_1)
	v_subrev_nc_u32_e32 v24, 28, v30
	v_lshlrev_b64_e32 v[24:25], v24, v[8:9]
	s_delay_alu instid0(VALU_DEP_1)
	v_dual_sub_nc_u32 v25, 29, v30 :: v_dual_bitop2_b32 v24, 7, v24 bitop3:0x40
; %bb.167:                              ;   in Loop: Header=BB274_15 Depth=1
	s_or_b32 exec_lo, exec_lo, s45
	v_lshlrev_b32_e32 v8, 8, v8
	s_delay_alu instid0(VALU_DEP_2) | instskip(NEXT) | instid1(VALU_DEP_3)
	v_lshl_add_u32 v25, v25, 10, 0x2000
	v_lshlrev_b32_e32 v24, 7, v24
	s_delay_alu instid0(VALU_DEP_3) | instskip(NEXT) | instid1(VALU_DEP_3)
	v_and_b32_e32 v8, 0x8000, v8
	v_and_b32_e32 v25, 0xfc00, v25
	s_delay_alu instid0(VALU_DEP_1)
	v_or3_b32 v46, v8, v25, v24
.LBB274_168:                            ;   in Loop: Header=BB274_15 Depth=1
	s_or_b32 exec_lo, exec_lo, s44
.LBB274_169:                            ;   in Loop: Header=BB274_15 Depth=1
	s_delay_alu instid0(SALU_CYCLE_1)
	s_or_b32 exec_lo, exec_lo, s43
.LBB274_170:                            ;   in Loop: Header=BB274_15 Depth=1
	s_delay_alu instid0(SALU_CYCLE_1)
	s_or_b32 exec_lo, exec_lo, s42
	v_dual_mov_b32 v47, 0 :: v_dual_mov_b32 v48, 0
	s_mov_b32 s42, exec_lo
	v_cmpx_lt_u32_e32 0xffffff, v4
	s_cbranch_execz .LBB274_178
; %bb.171:                              ;   in Loop: Header=BB274_15 Depth=1
	v_lshrrev_b32_e32 v8, 24, v4
	v_bfrev_b32_e32 v48, 1
	s_mov_b32 s43, exec_lo
	s_delay_alu instid0(VALU_DEP_2)
	v_cmpx_ne_u32_e32 0x80, v8
	s_cbranch_execz .LBB274_177
; %bb.172:                              ;   in Loop: Header=BB274_15 Depth=1
	v_and_b32_e32 v30, 0x7f, v8
	v_mov_b32_e32 v48, 0x7c010000
	s_mov_b32 s44, exec_lo
	s_delay_alu instid0(VALU_DEP_2)
	v_cmpx_ne_u32_e32 0x7f, v30
	s_cbranch_execz .LBB274_176
; %bb.173:                              ;   in Loop: Header=BB274_15 Depth=1
	v_dual_lshrrev_b32 v25, 3, v30 :: v_dual_bitop2_b32 v24, 7, v8 bitop3:0x40
	s_mov_b32 s45, exec_lo
	v_cmpx_gt_u32_e32 8, v30
; %bb.174:                              ;   in Loop: Header=BB274_15 Depth=1
	s_delay_alu instid0(VALU_DEP_2) | instskip(NEXT) | instid1(VALU_DEP_1)
	v_clz_i32_u32_e32 v24, v24
	v_min_u32_e32 v30, 32, v24
	s_delay_alu instid0(VALU_DEP_1) | instskip(NEXT) | instid1(VALU_DEP_1)
	v_subrev_nc_u32_e32 v24, 28, v30
	v_lshlrev_b64_e32 v[24:25], v24, v[8:9]
	s_delay_alu instid0(VALU_DEP_1)
	v_dual_sub_nc_u32 v25, 29, v30 :: v_dual_bitop2_b32 v24, 7, v24 bitop3:0x40
; %bb.175:                              ;   in Loop: Header=BB274_15 Depth=1
	s_or_b32 exec_lo, exec_lo, s45
	v_lshlrev_b32_e32 v8, 8, v8
	s_delay_alu instid0(VALU_DEP_2) | instskip(NEXT) | instid1(VALU_DEP_3)
	v_lshl_add_u32 v25, v25, 10, 0x2000
	v_lshlrev_b32_e32 v24, 23, v24
	s_delay_alu instid0(VALU_DEP_2) | instskip(NEXT) | instid1(VALU_DEP_1)
	v_and_or_b32 v8, 0x8000, v8, v25
	v_lshl_or_b32 v48, v8, 16, v24
.LBB274_176:                            ;   in Loop: Header=BB274_15 Depth=1
	s_or_b32 exec_lo, exec_lo, s44
.LBB274_177:                            ;   in Loop: Header=BB274_15 Depth=1
	s_delay_alu instid0(SALU_CYCLE_1)
	s_or_b32 exec_lo, exec_lo, s43
.LBB274_178:                            ;   in Loop: Header=BB274_15 Depth=1
	s_delay_alu instid0(SALU_CYCLE_1) | instskip(SKIP_3) | instid1(VALU_DEP_2)
	s_or_b32 exec_lo, exec_lo, s42
	v_and_b32_e32 v24, 0xff, v5
	v_mov_b32_e32 v8, v5
	s_mov_b32 s42, exec_lo
	v_cmpx_ne_u16_e32 0, v24
	s_cbranch_execz .LBB274_186
; %bb.179:                              ;   in Loop: Header=BB274_15 Depth=1
	v_mov_b32_e32 v47, 0x8000
	s_mov_b32 s43, exec_lo
	v_cmpx_ne_u16_e32 0x80, v24
	s_cbranch_execz .LBB274_185
; %bb.180:                              ;   in Loop: Header=BB274_15 Depth=1
	v_and_b32_e32 v30, 0x7f, v5
	v_mov_b32_e32 v47, 0x7c01
	s_mov_b32 s44, exec_lo
	s_delay_alu instid0(VALU_DEP_2)
	v_cmpx_ne_u32_e32 0x7f, v30
	s_cbranch_execz .LBB274_184
; %bb.181:                              ;   in Loop: Header=BB274_15 Depth=1
	v_dual_lshrrev_b32 v25, 3, v30 :: v_dual_bitop2_b32 v24, 7, v5 bitop3:0x40
	s_mov_b32 s45, exec_lo
	v_cmpx_gt_u32_e32 8, v30
; %bb.182:                              ;   in Loop: Header=BB274_15 Depth=1
	s_delay_alu instid0(VALU_DEP_2) | instskip(NEXT) | instid1(VALU_DEP_1)
	v_clz_i32_u32_e32 v24, v24
	v_min_u32_e32 v30, 32, v24
	s_delay_alu instid0(VALU_DEP_1) | instskip(NEXT) | instid1(VALU_DEP_1)
	v_subrev_nc_u32_e32 v24, 28, v30
	v_lshlrev_b64_e32 v[24:25], v24, v[8:9]
	s_delay_alu instid0(VALU_DEP_1)
	v_dual_sub_nc_u32 v25, 29, v30 :: v_dual_bitop2_b32 v24, 7, v24 bitop3:0x40
; %bb.183:                              ;   in Loop: Header=BB274_15 Depth=1
	s_or_b32 exec_lo, exec_lo, s45
	s_delay_alu instid0(VALU_DEP_1) | instskip(NEXT) | instid1(VALU_DEP_2)
	v_dual_lshlrev_b32 v30, 8, v5 :: v_dual_lshlrev_b32 v24, 7, v24
	v_lshl_add_u32 v25, v25, 10, 0x2000
	s_delay_alu instid0(VALU_DEP_2) | instskip(NEXT) | instid1(VALU_DEP_2)
	v_and_b32_e32 v30, 0x8000, v30
	v_and_b32_e32 v25, 0xfc00, v25
	s_delay_alu instid0(VALU_DEP_1)
	v_or3_b32 v47, v30, v25, v24
.LBB274_184:                            ;   in Loop: Header=BB274_15 Depth=1
	s_or_b32 exec_lo, exec_lo, s44
.LBB274_185:                            ;   in Loop: Header=BB274_15 Depth=1
	s_delay_alu instid0(SALU_CYCLE_1)
	s_or_b32 exec_lo, exec_lo, s43
.LBB274_186:                            ;   in Loop: Header=BB274_15 Depth=1
	s_delay_alu instid0(SALU_CYCLE_1) | instskip(SKIP_3) | instid1(VALU_DEP_2)
	s_or_b32 exec_lo, exec_lo, s42
	v_lshrrev_b16 v8, 8, v8
	v_dual_mov_b32 v50, 0 :: v_dual_mov_b32 v49, 0
	s_mov_b32 s42, exec_lo
	v_cmpx_ne_u16_e32 0, v8
	s_cbranch_execz .LBB274_194
; %bb.187:                              ;   in Loop: Header=BB274_15 Depth=1
	v_bfrev_b32_e32 v49, 1
	s_mov_b32 s43, exec_lo
	v_cmpx_ne_u16_e32 0x80, v8
	s_cbranch_execz .LBB274_193
; %bb.188:                              ;   in Loop: Header=BB274_15 Depth=1
	v_and_b32_e32 v24, 0xffff, v8
	v_mov_b32_e32 v49, 0x7c010000
	s_mov_b32 s44, exec_lo
	s_delay_alu instid0(VALU_DEP_2) | instskip(NEXT) | instid1(VALU_DEP_1)
	v_and_b32_e32 v31, 0x7f, v24
	v_cmpx_ne_u32_e32 0x7f, v31
	s_cbranch_execz .LBB274_192
; %bb.189:                              ;   in Loop: Header=BB274_15 Depth=1
	v_dual_lshrrev_b32 v30, 3, v31 :: v_dual_bitop2_b32 v25, 7, v24 bitop3:0x40
	s_mov_b32 s45, exec_lo
	v_cmpx_gt_u32_e32 8, v31
; %bb.190:                              ;   in Loop: Header=BB274_15 Depth=1
	s_delay_alu instid0(VALU_DEP_2) | instskip(NEXT) | instid1(VALU_DEP_1)
	v_clz_i32_u32_e32 v25, v25
	v_min_u32_e32 v25, 32, v25
	s_delay_alu instid0(VALU_DEP_1) | instskip(NEXT) | instid1(VALU_DEP_1)
	v_subrev_nc_u32_e32 v30, 28, v25
	v_lshlrev_b64_e32 v[36:37], v30, v[8:9]
	s_delay_alu instid0(VALU_DEP_1)
	v_dual_sub_nc_u32 v30, 29, v25 :: v_dual_bitop2_b32 v25, 7, v36 bitop3:0x40
; %bb.191:                              ;   in Loop: Header=BB274_15 Depth=1
	s_or_b32 exec_lo, exec_lo, s45
	v_lshlrev_b32_e32 v8, 8, v24
	s_delay_alu instid0(VALU_DEP_2) | instskip(NEXT) | instid1(VALU_DEP_1)
	v_lshl_add_u32 v24, v30, 10, 0x2000
	v_and_or_b32 v8, 0x8000, v8, v24
	v_lshlrev_b32_e32 v24, 23, v25
	s_delay_alu instid0(VALU_DEP_1)
	v_lshl_or_b32 v49, v8, 16, v24
.LBB274_192:                            ;   in Loop: Header=BB274_15 Depth=1
	s_or_b32 exec_lo, exec_lo, s44
.LBB274_193:                            ;   in Loop: Header=BB274_15 Depth=1
	s_delay_alu instid0(SALU_CYCLE_1)
	s_or_b32 exec_lo, exec_lo, s43
.LBB274_194:                            ;   in Loop: Header=BB274_15 Depth=1
	s_delay_alu instid0(SALU_CYCLE_1) | instskip(SKIP_2) | instid1(VALU_DEP_1)
	s_or_b32 exec_lo, exec_lo, s42
	v_lshrrev_b32_e32 v8, 16, v5
	s_mov_b32 s42, exec_lo
	v_and_b32_e32 v24, 0xff, v8
	s_delay_alu instid0(VALU_DEP_1)
	v_cmpx_ne_u16_e32 0, v24
	s_cbranch_execz .LBB274_202
; %bb.195:                              ;   in Loop: Header=BB274_15 Depth=1
	v_mov_b32_e32 v50, 0x8000
	s_mov_b32 s43, exec_lo
	v_cmpx_ne_u16_e32 0x80, v24
	s_cbranch_execz .LBB274_201
; %bb.196:                              ;   in Loop: Header=BB274_15 Depth=1
	v_bfe_u32 v30, v5, 16, 7
	v_mov_b32_e32 v50, 0x7c01
	s_mov_b32 s44, exec_lo
	s_delay_alu instid0(VALU_DEP_2)
	v_cmpx_ne_u32_e32 0x7f, v30
	s_cbranch_execz .LBB274_200
; %bb.197:                              ;   in Loop: Header=BB274_15 Depth=1
	v_dual_lshrrev_b32 v25, 3, v30 :: v_dual_bitop2_b32 v24, 7, v8 bitop3:0x40
	s_mov_b32 s45, exec_lo
	v_cmpx_gt_u32_e32 8, v30
; %bb.198:                              ;   in Loop: Header=BB274_15 Depth=1
	s_delay_alu instid0(VALU_DEP_2) | instskip(NEXT) | instid1(VALU_DEP_1)
	v_clz_i32_u32_e32 v24, v24
	v_min_u32_e32 v30, 32, v24
	s_delay_alu instid0(VALU_DEP_1) | instskip(NEXT) | instid1(VALU_DEP_1)
	v_subrev_nc_u32_e32 v24, 28, v30
	v_lshlrev_b64_e32 v[24:25], v24, v[8:9]
	s_delay_alu instid0(VALU_DEP_1)
	v_dual_sub_nc_u32 v25, 29, v30 :: v_dual_bitop2_b32 v24, 7, v24 bitop3:0x40
; %bb.199:                              ;   in Loop: Header=BB274_15 Depth=1
	s_or_b32 exec_lo, exec_lo, s45
	v_lshlrev_b32_e32 v8, 8, v8
	s_delay_alu instid0(VALU_DEP_2) | instskip(NEXT) | instid1(VALU_DEP_3)
	v_lshl_add_u32 v25, v25, 10, 0x2000
	v_lshlrev_b32_e32 v24, 7, v24
	s_delay_alu instid0(VALU_DEP_3) | instskip(NEXT) | instid1(VALU_DEP_3)
	v_and_b32_e32 v8, 0x8000, v8
	v_and_b32_e32 v25, 0xfc00, v25
	s_delay_alu instid0(VALU_DEP_1)
	v_or3_b32 v50, v8, v25, v24
.LBB274_200:                            ;   in Loop: Header=BB274_15 Depth=1
	s_or_b32 exec_lo, exec_lo, s44
.LBB274_201:                            ;   in Loop: Header=BB274_15 Depth=1
	s_delay_alu instid0(SALU_CYCLE_1)
	s_or_b32 exec_lo, exec_lo, s43
.LBB274_202:                            ;   in Loop: Header=BB274_15 Depth=1
	s_delay_alu instid0(SALU_CYCLE_1)
	s_or_b32 exec_lo, exec_lo, s42
	v_dual_mov_b32 v65, 0 :: v_dual_mov_b32 v51, 0
	s_mov_b32 s42, exec_lo
	v_cmpx_lt_u64_e64 s[26:27], v[4:5]
	s_cbranch_execz .LBB274_210
; %bb.203:                              ;   in Loop: Header=BB274_15 Depth=1
	v_lshrrev_b32_e32 v8, 24, v5
	v_bfrev_b32_e32 v51, 1
	s_mov_b32 s43, exec_lo
	s_delay_alu instid0(VALU_DEP_2)
	v_cmpx_ne_u32_e32 0x80, v8
	s_cbranch_execz .LBB274_209
; %bb.204:                              ;   in Loop: Header=BB274_15 Depth=1
	v_and_b32_e32 v24, 0x7f, v8
	v_mov_b32_e32 v51, 0x7c010000
	s_mov_b32 s44, exec_lo
	s_delay_alu instid0(VALU_DEP_2)
	v_cmpx_ne_u32_e32 0x7f, v24
	s_cbranch_execz .LBB274_208
; %bb.205:                              ;   in Loop: Header=BB274_15 Depth=1
	v_and_b32_e32 v4, 7, v8
	v_lshrrev_b32_e32 v5, 3, v24
	s_mov_b32 s45, exec_lo
	v_cmpx_gt_u32_e32 8, v24
; %bb.206:                              ;   in Loop: Header=BB274_15 Depth=1
	s_delay_alu instid0(VALU_DEP_3) | instskip(NEXT) | instid1(VALU_DEP_1)
	v_clz_i32_u32_e32 v4, v4
	v_min_u32_e32 v24, 32, v4
	s_delay_alu instid0(VALU_DEP_1) | instskip(NEXT) | instid1(VALU_DEP_1)
	v_subrev_nc_u32_e32 v4, 28, v24
	v_lshlrev_b64_e32 v[4:5], v4, v[8:9]
	v_sub_nc_u32_e32 v5, 29, v24
	s_delay_alu instid0(VALU_DEP_2)
	v_and_b32_e32 v4, 7, v4
; %bb.207:                              ;   in Loop: Header=BB274_15 Depth=1
	s_or_b32 exec_lo, exec_lo, s45
	v_lshlrev_b32_e32 v8, 8, v8
	s_delay_alu instid0(VALU_DEP_3) | instskip(NEXT) | instid1(VALU_DEP_3)
	v_lshl_add_u32 v5, v5, 10, 0x2000
	v_lshlrev_b32_e32 v4, 23, v4
	s_delay_alu instid0(VALU_DEP_2) | instskip(NEXT) | instid1(VALU_DEP_1)
	v_and_or_b32 v5, 0x8000, v8, v5
	v_lshl_or_b32 v51, v5, 16, v4
.LBB274_208:                            ;   in Loop: Header=BB274_15 Depth=1
	s_or_b32 exec_lo, exec_lo, s44
.LBB274_209:                            ;   in Loop: Header=BB274_15 Depth=1
	s_delay_alu instid0(SALU_CYCLE_1)
	s_or_b32 exec_lo, exec_lo, s43
.LBB274_210:                            ;   in Loop: Header=BB274_15 Depth=1
	s_delay_alu instid0(SALU_CYCLE_1) | instskip(SKIP_4) | instid1(VALU_DEP_1)
	s_or_b32 exec_lo, exec_lo, s42
	global_load_b64 v[2:3], v[2:3], off offset:520
	s_mov_b32 s42, exec_lo
	s_wait_loadcnt 0x0
	v_and_b32_e32 v4, 0xff, v2
	v_cmpx_ne_u16_e32 0, v4
	s_cbranch_execz .LBB274_218
; %bb.211:                              ;   in Loop: Header=BB274_15 Depth=1
	v_mov_b32_e32 v65, 0x8000
	s_mov_b32 s43, exec_lo
	v_cmpx_ne_u16_e32 0x80, v4
	s_cbranch_execz .LBB274_217
; %bb.212:                              ;   in Loop: Header=BB274_15 Depth=1
	v_and_b32_e32 v8, 0x7f, v2
	v_mov_b32_e32 v65, 0x7c01
	s_mov_b32 s44, exec_lo
	s_delay_alu instid0(VALU_DEP_2)
	v_cmpx_ne_u32_e32 0x7f, v8
	s_cbranch_execz .LBB274_216
; %bb.213:                              ;   in Loop: Header=BB274_15 Depth=1
	v_dual_lshrrev_b32 v5, 3, v8 :: v_dual_bitop2_b32 v4, 7, v2 bitop3:0x40
	s_mov_b32 s45, exec_lo
	v_cmpx_gt_u32_e32 8, v8
; %bb.214:                              ;   in Loop: Header=BB274_15 Depth=1
	s_delay_alu instid0(VALU_DEP_2) | instskip(NEXT) | instid1(VALU_DEP_1)
	v_clz_i32_u32_e32 v4, v4
	v_min_u32_e32 v8, 32, v4
	s_delay_alu instid0(VALU_DEP_1) | instskip(NEXT) | instid1(VALU_DEP_1)
	v_subrev_nc_u32_e32 v4, 28, v8
	v_lshlrev_b64_e32 v[4:5], v4, v[2:3]
	v_sub_nc_u32_e32 v5, 29, v8
	s_delay_alu instid0(VALU_DEP_2)
	v_and_b32_e32 v4, 7, v4
; %bb.215:                              ;   in Loop: Header=BB274_15 Depth=1
	s_or_b32 exec_lo, exec_lo, s45
	s_delay_alu instid0(VALU_DEP_1) | instskip(NEXT) | instid1(VALU_DEP_3)
	v_dual_lshlrev_b32 v8, 8, v2 :: v_dual_lshlrev_b32 v4, 7, v4
	v_lshl_add_u32 v5, v5, 10, 0x2000
	s_delay_alu instid0(VALU_DEP_2) | instskip(NEXT) | instid1(VALU_DEP_2)
	v_and_b32_e32 v8, 0x8000, v8
	v_and_b32_e32 v5, 0xfc00, v5
	s_delay_alu instid0(VALU_DEP_1)
	v_or3_b32 v65, v8, v5, v4
.LBB274_216:                            ;   in Loop: Header=BB274_15 Depth=1
	s_or_b32 exec_lo, exec_lo, s44
.LBB274_217:                            ;   in Loop: Header=BB274_15 Depth=1
	s_delay_alu instid0(SALU_CYCLE_1)
	s_or_b32 exec_lo, exec_lo, s43
.LBB274_218:                            ;   in Loop: Header=BB274_15 Depth=1
	s_delay_alu instid0(SALU_CYCLE_1) | instskip(SKIP_3) | instid1(VALU_DEP_2)
	s_or_b32 exec_lo, exec_lo, s42
	v_lshrrev_b16 v8, 8, v2
	v_dual_mov_b32 v67, 0 :: v_dual_mov_b32 v66, 0
	s_mov_b32 s42, exec_lo
	v_cmpx_ne_u16_e32 0, v8
	s_cbranch_execz .LBB274_226
; %bb.219:                              ;   in Loop: Header=BB274_15 Depth=1
	v_bfrev_b32_e32 v66, 1
	s_mov_b32 s43, exec_lo
	v_cmpx_ne_u16_e32 0x80, v8
	s_cbranch_execz .LBB274_225
; %bb.220:                              ;   in Loop: Header=BB274_15 Depth=1
	v_and_b32_e32 v4, 0xffff, v8
	v_mov_b32_e32 v66, 0x7c010000
	s_mov_b32 s44, exec_lo
	s_delay_alu instid0(VALU_DEP_2) | instskip(NEXT) | instid1(VALU_DEP_1)
	v_and_b32_e32 v25, 0x7f, v4
	v_cmpx_ne_u32_e32 0x7f, v25
	s_cbranch_execz .LBB274_224
; %bb.221:                              ;   in Loop: Header=BB274_15 Depth=1
	v_dual_lshrrev_b32 v24, 3, v25 :: v_dual_bitop2_b32 v5, 7, v4 bitop3:0x40
	s_mov_b32 s45, exec_lo
	v_cmpx_gt_u32_e32 8, v25
; %bb.222:                              ;   in Loop: Header=BB274_15 Depth=1
	s_delay_alu instid0(VALU_DEP_2) | instskip(NEXT) | instid1(VALU_DEP_1)
	v_clz_i32_u32_e32 v5, v5
	v_min_u32_e32 v5, 32, v5
	s_delay_alu instid0(VALU_DEP_1) | instskip(NEXT) | instid1(VALU_DEP_1)
	v_subrev_nc_u32_e32 v24, 28, v5
	v_lshlrev_b64_e32 v[30:31], v24, v[8:9]
	s_delay_alu instid0(VALU_DEP_1)
	v_dual_sub_nc_u32 v24, 29, v5 :: v_dual_bitop2_b32 v5, 7, v30 bitop3:0x40
; %bb.223:                              ;   in Loop: Header=BB274_15 Depth=1
	s_or_b32 exec_lo, exec_lo, s45
	s_delay_alu instid0(VALU_DEP_1) | instskip(NEXT) | instid1(VALU_DEP_2)
	v_dual_lshlrev_b32 v4, 8, v4 :: v_dual_lshlrev_b32 v5, 23, v5
	v_lshl_add_u32 v8, v24, 10, 0x2000
	s_delay_alu instid0(VALU_DEP_1) | instskip(NEXT) | instid1(VALU_DEP_1)
	v_and_or_b32 v4, 0x8000, v4, v8
	v_lshl_or_b32 v66, v4, 16, v5
.LBB274_224:                            ;   in Loop: Header=BB274_15 Depth=1
	s_or_b32 exec_lo, exec_lo, s44
.LBB274_225:                            ;   in Loop: Header=BB274_15 Depth=1
	s_delay_alu instid0(SALU_CYCLE_1)
	s_or_b32 exec_lo, exec_lo, s43
.LBB274_226:                            ;   in Loop: Header=BB274_15 Depth=1
	s_delay_alu instid0(SALU_CYCLE_1) | instskip(SKIP_2) | instid1(VALU_DEP_1)
	s_or_b32 exec_lo, exec_lo, s42
	v_lshrrev_b32_e32 v4, 16, v2
	s_mov_b32 s42, exec_lo
	v_and_b32_e32 v5, 0xff, v4
	s_delay_alu instid0(VALU_DEP_1)
	v_cmpx_ne_u16_e32 0, v5
	s_cbranch_execz .LBB274_234
; %bb.227:                              ;   in Loop: Header=BB274_15 Depth=1
	v_mov_b32_e32 v67, 0x8000
	s_mov_b32 s43, exec_lo
	v_cmpx_ne_u16_e32 0x80, v5
	s_cbranch_execz .LBB274_233
; %bb.228:                              ;   in Loop: Header=BB274_15 Depth=1
	v_bfe_u32 v24, v2, 16, 7
	v_mov_b32_e32 v67, 0x7c01
	s_mov_b32 s44, exec_lo
	s_delay_alu instid0(VALU_DEP_2)
	v_cmpx_ne_u32_e32 0x7f, v24
	s_cbranch_execz .LBB274_232
; %bb.229:                              ;   in Loop: Header=BB274_15 Depth=1
	v_and_b32_e32 v5, 7, v4
	v_lshrrev_b32_e32 v8, 3, v24
	s_mov_b32 s45, exec_lo
	v_cmpx_gt_u32_e32 8, v24
; %bb.230:                              ;   in Loop: Header=BB274_15 Depth=1
	s_delay_alu instid0(VALU_DEP_3) | instskip(NEXT) | instid1(VALU_DEP_1)
	v_clz_i32_u32_e32 v5, v5
	v_min_u32_e32 v5, 32, v5
	s_delay_alu instid0(VALU_DEP_1) | instskip(NEXT) | instid1(VALU_DEP_1)
	v_subrev_nc_u32_e32 v8, 28, v5
	v_lshlrev_b64_e32 v[24:25], v8, v[4:5]
	s_delay_alu instid0(VALU_DEP_1)
	v_dual_sub_nc_u32 v8, 29, v5 :: v_dual_bitop2_b32 v5, 7, v24 bitop3:0x40
; %bb.231:                              ;   in Loop: Header=BB274_15 Depth=1
	s_or_b32 exec_lo, exec_lo, s45
	s_delay_alu instid0(VALU_DEP_1) | instskip(NEXT) | instid1(VALU_DEP_2)
	v_dual_lshlrev_b32 v4, 8, v4 :: v_dual_lshlrev_b32 v5, 7, v5
	v_lshl_add_u32 v8, v8, 10, 0x2000
	s_delay_alu instid0(VALU_DEP_2) | instskip(NEXT) | instid1(VALU_DEP_2)
	v_and_b32_e32 v4, 0x8000, v4
	v_and_b32_e32 v8, 0xfc00, v8
	s_delay_alu instid0(VALU_DEP_1)
	v_or3_b32 v67, v4, v8, v5
.LBB274_232:                            ;   in Loop: Header=BB274_15 Depth=1
	s_or_b32 exec_lo, exec_lo, s44
.LBB274_233:                            ;   in Loop: Header=BB274_15 Depth=1
	s_delay_alu instid0(SALU_CYCLE_1)
	s_or_b32 exec_lo, exec_lo, s43
.LBB274_234:                            ;   in Loop: Header=BB274_15 Depth=1
	s_delay_alu instid0(SALU_CYCLE_1)
	s_or_b32 exec_lo, exec_lo, s42
	v_dual_mov_b32 v68, 0 :: v_dual_mov_b32 v69, 0
	s_mov_b32 s42, exec_lo
	v_cmpx_lt_u32_e32 0xffffff, v2
	s_cbranch_execz .LBB274_242
; %bb.235:                              ;   in Loop: Header=BB274_15 Depth=1
	v_lshrrev_b32_e32 v8, 24, v2
	v_bfrev_b32_e32 v69, 1
	s_mov_b32 s43, exec_lo
	s_delay_alu instid0(VALU_DEP_2)
	v_cmpx_ne_u32_e32 0x80, v8
	s_cbranch_execz .LBB274_241
; %bb.236:                              ;   in Loop: Header=BB274_15 Depth=1
	v_and_b32_e32 v24, 0x7f, v8
	v_mov_b32_e32 v69, 0x7c010000
	s_mov_b32 s44, exec_lo
	s_delay_alu instid0(VALU_DEP_2)
	v_cmpx_ne_u32_e32 0x7f, v24
	s_cbranch_execz .LBB274_240
; %bb.237:                              ;   in Loop: Header=BB274_15 Depth=1
	v_and_b32_e32 v4, 7, v8
	v_lshrrev_b32_e32 v5, 3, v24
	s_mov_b32 s45, exec_lo
	v_cmpx_gt_u32_e32 8, v24
; %bb.238:                              ;   in Loop: Header=BB274_15 Depth=1
	s_delay_alu instid0(VALU_DEP_3) | instskip(NEXT) | instid1(VALU_DEP_1)
	v_clz_i32_u32_e32 v4, v4
	v_min_u32_e32 v24, 32, v4
	s_delay_alu instid0(VALU_DEP_1) | instskip(NEXT) | instid1(VALU_DEP_1)
	v_subrev_nc_u32_e32 v4, 28, v24
	v_lshlrev_b64_e32 v[4:5], v4, v[8:9]
	v_sub_nc_u32_e32 v5, 29, v24
	s_delay_alu instid0(VALU_DEP_2)
	v_and_b32_e32 v4, 7, v4
; %bb.239:                              ;   in Loop: Header=BB274_15 Depth=1
	s_or_b32 exec_lo, exec_lo, s45
	v_lshlrev_b32_e32 v8, 8, v8
	s_delay_alu instid0(VALU_DEP_3) | instskip(NEXT) | instid1(VALU_DEP_3)
	v_lshl_add_u32 v5, v5, 10, 0x2000
	v_lshlrev_b32_e32 v4, 23, v4
	s_delay_alu instid0(VALU_DEP_2) | instskip(NEXT) | instid1(VALU_DEP_1)
	v_and_or_b32 v5, 0x8000, v8, v5
	v_lshl_or_b32 v69, v5, 16, v4
.LBB274_240:                            ;   in Loop: Header=BB274_15 Depth=1
	s_or_b32 exec_lo, exec_lo, s44
.LBB274_241:                            ;   in Loop: Header=BB274_15 Depth=1
	s_delay_alu instid0(SALU_CYCLE_1)
	s_or_b32 exec_lo, exec_lo, s43
.LBB274_242:                            ;   in Loop: Header=BB274_15 Depth=1
	s_delay_alu instid0(SALU_CYCLE_1) | instskip(SKIP_3) | instid1(VALU_DEP_2)
	s_or_b32 exec_lo, exec_lo, s42
	v_and_b32_e32 v4, 0xff, v3
	v_mov_b32_e32 v8, v3
	s_mov_b32 s42, exec_lo
	v_cmpx_ne_u16_e32 0, v4
	s_cbranch_execz .LBB274_250
; %bb.243:                              ;   in Loop: Header=BB274_15 Depth=1
	v_mov_b32_e32 v68, 0x8000
	s_mov_b32 s43, exec_lo
	v_cmpx_ne_u16_e32 0x80, v4
	s_cbranch_execz .LBB274_249
; %bb.244:                              ;   in Loop: Header=BB274_15 Depth=1
	v_and_b32_e32 v24, 0x7f, v3
	v_mov_b32_e32 v68, 0x7c01
	s_mov_b32 s44, exec_lo
	s_delay_alu instid0(VALU_DEP_2)
	v_cmpx_ne_u32_e32 0x7f, v24
	s_cbranch_execz .LBB274_248
; %bb.245:                              ;   in Loop: Header=BB274_15 Depth=1
	v_dual_lshrrev_b32 v5, 3, v24 :: v_dual_bitop2_b32 v4, 7, v3 bitop3:0x40
	s_mov_b32 s45, exec_lo
	v_cmpx_gt_u32_e32 8, v24
; %bb.246:                              ;   in Loop: Header=BB274_15 Depth=1
	s_delay_alu instid0(VALU_DEP_2) | instskip(NEXT) | instid1(VALU_DEP_1)
	v_clz_i32_u32_e32 v4, v4
	v_min_u32_e32 v24, 32, v4
	s_delay_alu instid0(VALU_DEP_1) | instskip(NEXT) | instid1(VALU_DEP_1)
	v_subrev_nc_u32_e32 v4, 28, v24
	v_lshlrev_b64_e32 v[4:5], v4, v[8:9]
	v_sub_nc_u32_e32 v5, 29, v24
	s_delay_alu instid0(VALU_DEP_2)
	v_and_b32_e32 v4, 7, v4
; %bb.247:                              ;   in Loop: Header=BB274_15 Depth=1
	s_or_b32 exec_lo, exec_lo, s45
	s_delay_alu instid0(VALU_DEP_1) | instskip(NEXT) | instid1(VALU_DEP_3)
	v_dual_lshlrev_b32 v24, 8, v3 :: v_dual_lshlrev_b32 v4, 7, v4
	v_lshl_add_u32 v5, v5, 10, 0x2000
	s_delay_alu instid0(VALU_DEP_2) | instskip(NEXT) | instid1(VALU_DEP_2)
	v_and_b32_e32 v24, 0x8000, v24
	v_and_b32_e32 v5, 0xfc00, v5
	s_delay_alu instid0(VALU_DEP_1)
	v_or3_b32 v68, v24, v5, v4
.LBB274_248:                            ;   in Loop: Header=BB274_15 Depth=1
	s_or_b32 exec_lo, exec_lo, s44
.LBB274_249:                            ;   in Loop: Header=BB274_15 Depth=1
	s_delay_alu instid0(SALU_CYCLE_1)
	s_or_b32 exec_lo, exec_lo, s43
.LBB274_250:                            ;   in Loop: Header=BB274_15 Depth=1
	s_delay_alu instid0(SALU_CYCLE_1) | instskip(SKIP_3) | instid1(VALU_DEP_2)
	s_or_b32 exec_lo, exec_lo, s42
	v_lshrrev_b16 v8, 8, v8
	v_dual_mov_b32 v71, 0 :: v_dual_mov_b32 v70, 0
	s_mov_b32 s42, exec_lo
	v_cmpx_ne_u16_e32 0, v8
	s_cbranch_execz .LBB274_258
; %bb.251:                              ;   in Loop: Header=BB274_15 Depth=1
	v_bfrev_b32_e32 v70, 1
	s_mov_b32 s43, exec_lo
	v_cmpx_ne_u16_e32 0x80, v8
	s_cbranch_execz .LBB274_257
; %bb.252:                              ;   in Loop: Header=BB274_15 Depth=1
	v_and_b32_e32 v4, 0xffff, v8
	v_mov_b32_e32 v70, 0x7c010000
	s_mov_b32 s44, exec_lo
	s_delay_alu instid0(VALU_DEP_2) | instskip(NEXT) | instid1(VALU_DEP_1)
	v_and_b32_e32 v25, 0x7f, v4
	v_cmpx_ne_u32_e32 0x7f, v25
	s_cbranch_execz .LBB274_256
; %bb.253:                              ;   in Loop: Header=BB274_15 Depth=1
	v_dual_lshrrev_b32 v24, 3, v25 :: v_dual_bitop2_b32 v5, 7, v4 bitop3:0x40
	s_mov_b32 s45, exec_lo
	v_cmpx_gt_u32_e32 8, v25
; %bb.254:                              ;   in Loop: Header=BB274_15 Depth=1
	s_delay_alu instid0(VALU_DEP_2) | instskip(NEXT) | instid1(VALU_DEP_1)
	v_clz_i32_u32_e32 v5, v5
	v_min_u32_e32 v5, 32, v5
	s_delay_alu instid0(VALU_DEP_1) | instskip(NEXT) | instid1(VALU_DEP_1)
	v_subrev_nc_u32_e32 v24, 28, v5
	v_lshlrev_b64_e32 v[30:31], v24, v[8:9]
	s_delay_alu instid0(VALU_DEP_1)
	v_dual_sub_nc_u32 v24, 29, v5 :: v_dual_bitop2_b32 v5, 7, v30 bitop3:0x40
; %bb.255:                              ;   in Loop: Header=BB274_15 Depth=1
	s_or_b32 exec_lo, exec_lo, s45
	s_delay_alu instid0(VALU_DEP_1) | instskip(NEXT) | instid1(VALU_DEP_2)
	v_dual_lshlrev_b32 v4, 8, v4 :: v_dual_lshlrev_b32 v5, 23, v5
	v_lshl_add_u32 v8, v24, 10, 0x2000
	s_delay_alu instid0(VALU_DEP_1) | instskip(NEXT) | instid1(VALU_DEP_1)
	v_and_or_b32 v4, 0x8000, v4, v8
	v_lshl_or_b32 v70, v4, 16, v5
.LBB274_256:                            ;   in Loop: Header=BB274_15 Depth=1
	s_or_b32 exec_lo, exec_lo, s44
.LBB274_257:                            ;   in Loop: Header=BB274_15 Depth=1
	s_delay_alu instid0(SALU_CYCLE_1)
	s_or_b32 exec_lo, exec_lo, s43
.LBB274_258:                            ;   in Loop: Header=BB274_15 Depth=1
	s_delay_alu instid0(SALU_CYCLE_1) | instskip(SKIP_2) | instid1(VALU_DEP_1)
	s_or_b32 exec_lo, exec_lo, s42
	v_lshrrev_b32_e32 v4, 16, v3
	s_mov_b32 s42, exec_lo
	v_and_b32_e32 v5, 0xff, v4
	s_delay_alu instid0(VALU_DEP_1)
	v_cmpx_ne_u16_e32 0, v5
	s_cbranch_execz .LBB274_266
; %bb.259:                              ;   in Loop: Header=BB274_15 Depth=1
	v_mov_b32_e32 v71, 0x8000
	s_mov_b32 s43, exec_lo
	v_cmpx_ne_u16_e32 0x80, v5
	s_cbranch_execz .LBB274_265
; %bb.260:                              ;   in Loop: Header=BB274_15 Depth=1
	v_bfe_u32 v24, v3, 16, 7
	v_mov_b32_e32 v71, 0x7c01
	s_mov_b32 s44, exec_lo
	s_delay_alu instid0(VALU_DEP_2)
	v_cmpx_ne_u32_e32 0x7f, v24
	s_cbranch_execz .LBB274_264
; %bb.261:                              ;   in Loop: Header=BB274_15 Depth=1
	v_and_b32_e32 v5, 7, v4
	v_lshrrev_b32_e32 v8, 3, v24
	s_mov_b32 s45, exec_lo
	v_cmpx_gt_u32_e32 8, v24
; %bb.262:                              ;   in Loop: Header=BB274_15 Depth=1
	s_delay_alu instid0(VALU_DEP_3) | instskip(NEXT) | instid1(VALU_DEP_1)
	v_clz_i32_u32_e32 v5, v5
	v_min_u32_e32 v5, 32, v5
	s_delay_alu instid0(VALU_DEP_1) | instskip(NEXT) | instid1(VALU_DEP_1)
	v_subrev_nc_u32_e32 v8, 28, v5
	v_lshlrev_b64_e32 v[24:25], v8, v[4:5]
	s_delay_alu instid0(VALU_DEP_1)
	v_dual_sub_nc_u32 v8, 29, v5 :: v_dual_bitop2_b32 v5, 7, v24 bitop3:0x40
; %bb.263:                              ;   in Loop: Header=BB274_15 Depth=1
	s_or_b32 exec_lo, exec_lo, s45
	s_delay_alu instid0(VALU_DEP_1) | instskip(NEXT) | instid1(VALU_DEP_2)
	v_dual_lshlrev_b32 v4, 8, v4 :: v_dual_lshlrev_b32 v5, 7, v5
	v_lshl_add_u32 v8, v8, 10, 0x2000
	s_delay_alu instid0(VALU_DEP_2) | instskip(NEXT) | instid1(VALU_DEP_2)
	v_and_b32_e32 v4, 0x8000, v4
	v_and_b32_e32 v8, 0xfc00, v8
	s_delay_alu instid0(VALU_DEP_1)
	v_or3_b32 v71, v4, v8, v5
.LBB274_264:                            ;   in Loop: Header=BB274_15 Depth=1
	s_or_b32 exec_lo, exec_lo, s44
.LBB274_265:                            ;   in Loop: Header=BB274_15 Depth=1
	s_delay_alu instid0(SALU_CYCLE_1)
	s_or_b32 exec_lo, exec_lo, s43
.LBB274_266:                            ;   in Loop: Header=BB274_15 Depth=1
	s_delay_alu instid0(SALU_CYCLE_1)
	s_or_b32 exec_lo, exec_lo, s42
	v_mov_b32_e32 v72, 0
	s_mov_b32 s42, exec_lo
	v_cmpx_lt_u64_e64 s[26:27], v[2:3]
	s_cbranch_execz .LBB274_13
; %bb.267:                              ;   in Loop: Header=BB274_15 Depth=1
	v_lshrrev_b32_e32 v8, 24, v3
	v_bfrev_b32_e32 v72, 1
	s_mov_b32 s43, exec_lo
	s_delay_alu instid0(VALU_DEP_2)
	v_cmpx_ne_u32_e32 0x80, v8
	s_cbranch_execz .LBB274_12
; %bb.268:                              ;   in Loop: Header=BB274_15 Depth=1
	v_and_b32_e32 v4, 0x7f, v8
	v_mov_b32_e32 v72, 0x7c010000
	s_mov_b32 s44, exec_lo
	s_delay_alu instid0(VALU_DEP_2)
	v_cmpx_ne_u32_e32 0x7f, v4
	s_cbranch_execz .LBB274_11
; %bb.269:                              ;   in Loop: Header=BB274_15 Depth=1
	v_and_b32_e32 v2, 7, v8
	v_lshrrev_b32_e32 v3, 3, v4
	s_mov_b32 s45, exec_lo
	v_cmpx_gt_u32_e32 8, v4
	s_cbranch_execz .LBB274_10
; %bb.270:                              ;   in Loop: Header=BB274_15 Depth=1
	v_clz_i32_u32_e32 v2, v2
	s_delay_alu instid0(VALU_DEP_1) | instskip(NEXT) | instid1(VALU_DEP_1)
	v_min_u32_e32 v4, 32, v2
	v_subrev_nc_u32_e32 v2, 28, v4
	s_delay_alu instid0(VALU_DEP_1) | instskip(NEXT) | instid1(VALU_DEP_1)
	v_lshlrev_b64_e32 v[2:3], v2, v[8:9]
	v_dual_sub_nc_u32 v3, 29, v4 :: v_dual_bitop2_b32 v2, 7, v2 bitop3:0x40
	s_branch .LBB274_10
.LBB274_271:
	s_or_b32 exec_lo, exec_lo, s15
.LBB274_272:
	s_delay_alu instid0(SALU_CYCLE_1) | instskip(SKIP_4) | instid1(VALU_DEP_1)
	s_or_b32 exec_lo, exec_lo, s24
	v_mbcnt_lo_u32_b32 v5, -1, 0
	s_clause 0x1
	s_load_b64 s[8:9], s[0:1], 0x0
	s_load_b64 s[24:25], s[0:1], 0x18
	v_dual_max_num_f32 v8, v60, v60 :: v_dual_bitop2_b32 v2, 16, v5 bitop3:0x14
	v_xor_b32_e32 v4, 8, v5
	s_delay_alu instid0(VALU_DEP_2) | instskip(SKIP_1) | instid1(VALU_DEP_3)
	v_cmp_gt_i32_e32 vcc_lo, 32, v2
	v_cndmask_b32_e32 v2, v5, v2, vcc_lo
	v_cmp_gt_i32_e32 vcc_lo, 32, v4
	s_delay_alu instid0(VALU_DEP_2) | instskip(SKIP_3) | instid1(VALU_DEP_1)
	v_dual_lshlrev_b32 v2, 2, v2 :: v_dual_cndmask_b32 v4, v5, v4, vcc_lo
	ds_bpermute_b32 v3, v2, v60
	s_wait_dscnt 0x0
	v_dual_max_num_f32 v9, v3, v3 :: v_dual_lshlrev_b32 v3, 2, v4
	v_max_num_f32_e32 v8, v8, v9
	v_xor_b32_e32 v9, 4, v5
	s_delay_alu instid0(VALU_DEP_1) | instskip(SKIP_4) | instid1(VALU_DEP_1)
	v_cmp_gt_i32_e32 vcc_lo, 32, v9
	v_cndmask_b32_e32 v9, v5, v9, vcc_lo
	ds_bpermute_b32 v4, v3, v8
	s_wait_dscnt 0x0
	v_dual_max_num_f32 v10, v4, v4 :: v_dual_lshlrev_b32 v4, 2, v9
	v_dual_max_num_f32 v8, v8, v10 :: v_dual_bitop2_b32 v10, 2, v5 bitop3:0x14
	ds_bpermute_b32 v9, v4, v8
	v_cmp_gt_i32_e32 vcc_lo, 32, v10
	s_wait_dscnt 0x0
	v_max_num_f32_e32 v9, v9, v9
	s_delay_alu instid0(VALU_DEP_1) | instskip(NEXT) | instid1(VALU_DEP_1)
	v_dual_cndmask_b32 v10, v5, v10, vcc_lo :: v_dual_max_num_f32 v8, v8, v9
	v_dual_lshlrev_b32 v25, 2, v10 :: v_dual_bitop2_b32 v10, 1, v5 bitop3:0x14
	ds_bpermute_b32 v9, v25, v8
	v_cmp_gt_i32_e32 vcc_lo, 32, v10
	s_wait_dscnt 0x0
	v_max_num_f32_e32 v9, v9, v9
	v_cndmask_b32_e32 v5, v5, v10, vcc_lo
	v_cmp_eq_u32_e32 vcc_lo, 0, v59
	s_delay_alu instid0(VALU_DEP_3) | instskip(NEXT) | instid1(VALU_DEP_3)
	v_max_num_f32_e32 v8, v8, v9
	v_dual_lshlrev_b32 v26, 2, v5 :: v_dual_lshlrev_b32 v5, 2, v58
	ds_bpermute_b32 v9, v26, v8
	s_wait_xcnt 0x0
	s_and_saveexec_b32 s0, vcc_lo
	s_cbranch_execz .LBB274_274
; %bb.273:
	s_wait_dscnt 0x0
	v_dual_max_num_f32 v9, v9, v9 :: v_dual_max_num_f32 v8, v8, v8
	s_delay_alu instid0(VALU_DEP_1)
	v_max_num_f32_e32 v8, v8, v9
	ds_store_b32 v5, v8 offset:64
.LBB274_274:
	s_or_b32 exec_lo, exec_lo, s0
	v_cmp_gt_u32_e64 s0, 4, v59
	v_mov_b32_e32 v8, 0xff7fffff
	s_wait_dscnt 0x0
	s_barrier_signal -1
	s_barrier_wait -1
	s_and_saveexec_b32 s1, s0
; %bb.275:
	ds_load_b32 v8, v7 offset:64
; %bb.276:
	s_or_b32 exec_lo, exec_lo, s1
	s_wait_dscnt 0x0
	ds_bpermute_b32 v9, v25, v8
	v_max_num_f32_e32 v8, v8, v8
	s_lshl_b32 s1, s36, 5
	s_delay_alu instid0(SALU_CYCLE_1) | instskip(NEXT) | instid1(SALU_CYCLE_1)
	s_min_i32 s4, s1, s34
	v_cmp_gt_i32_e64 s1, s4, v0
	s_wait_dscnt 0x0
	v_max_num_f32_e32 v9, v9, v9
	s_delay_alu instid0(VALU_DEP_1) | instskip(SKIP_3) | instid1(VALU_DEP_1)
	v_max_num_f32_e32 v8, v8, v9
	ds_bpermute_b32 v9, v26, v8
	s_wait_dscnt 0x0
	v_max_num_f32_e32 v9, v9, v9
	v_dual_max_num_f32 v9, v8, v9 :: v_dual_mov_b32 v8, 0
	ds_bpermute_b32 v9, v8, v9
	s_and_saveexec_b32 s15, s1
	s_cbranch_execz .LBB274_280
; %bb.277:
	v_lshl_add_u32 v10, v0, 2, 0x60
	v_dual_mov_b32 v8, 0 :: v_dual_mov_b32 v11, v0
	s_mov_b32 s26, 0
.LBB274_278:                            ; =>This Inner Loop Header: Depth=1
	ds_load_b32 v12, v10
	v_add_nc_u32_e32 v11, 0x80, v11
	s_delay_alu instid0(VALU_DEP_1) | instskip(SKIP_3) | instid1(VALU_DEP_1)
	v_cmp_le_i32_e64 s3, s4, v11
	s_or_b32 s26, s3, s26
	s_wait_dscnt 0x0
	v_sub_f32_e32 v12, v12, v9
	v_mul_f32_e32 v12, 0x3fb8aa3b, v12
	s_delay_alu instid0(VALU_DEP_1)
	v_exp_f32_e32 v12, v12
	ds_store_b32 v10, v12
	v_nop
	v_add_f32_e32 v8, v8, v12
	v_add_nc_u32_e32 v10, 0x200, v10
	s_and_not1_b32 exec_lo, exec_lo, s26
	s_cbranch_execnz .LBB274_278
; %bb.279:
	s_or_b32 exec_lo, exec_lo, s26
.LBB274_280:
	s_delay_alu instid0(SALU_CYCLE_1)
	s_or_b32 exec_lo, exec_lo, s15
	ds_bpermute_b32 v2, v2, v8
	s_wait_dscnt 0x0
	v_add_f32_e32 v2, v8, v2
	ds_bpermute_b32 v3, v3, v2
	s_wait_dscnt 0x0
	v_add_f32_e32 v2, v2, v3
	;; [unrolled: 3-line block ×5, first 2 shown]
	s_and_saveexec_b32 s3, vcc_lo
; %bb.281:
	ds_store_b32 v5, v2 offset:80
; %bb.282:
	s_or_b32 exec_lo, exec_lo, s3
	s_wait_dscnt 0x0
	s_barrier_signal -1
	s_barrier_wait -1
	s_and_saveexec_b32 s3, s0
; %bb.283:
	ds_load_b32 v2, v7 offset:80
; %bb.284:
	s_or_b32 exec_lo, exec_lo, s3
	s_wait_dscnt 0x0
	ds_bpermute_b32 v3, v25, v2
	s_wait_dscnt 0x0
	v_add_f32_e32 v2, v2, v3
	ds_bpermute_b32 v3, v26, v2
	s_wait_dscnt 0x0
	v_dual_add_f32 v2, v2, v3 :: v_dual_mov_b32 v3, 0
	ds_bpermute_b32 v2, v3, v2
	s_and_saveexec_b32 s0, s1
	s_cbranch_execz .LBB274_297
; %bb.285:
	s_wait_dscnt 0x0
	v_add_f32_e32 v2, 0x358637bd, v2
	s_mov_b32 s3, -1
	s_mov_b32 s1, exec_lo
	s_delay_alu instid0(VALU_DEP_1) | instskip(NEXT) | instid1(VALU_DEP_1)
	v_div_scale_f32 v4, null, v2, v2, 1.0
	v_rcp_f32_e32 v7, v4
	v_nop
	s_delay_alu instid0(TRANS32_DEP_1) | instskip(NEXT) | instid1(VALU_DEP_1)
	v_fma_f32 v5, -v4, v7, 1.0
	v_fmac_f32_e32 v7, v5, v7
	v_div_scale_f32 v8, vcc_lo, 1.0, v2, 1.0
	s_delay_alu instid0(VALU_DEP_1) | instskip(NEXT) | instid1(VALU_DEP_1)
	v_mul_f32_e32 v9, v8, v7
	v_fma_f32 v5, -v4, v9, v8
	s_delay_alu instid0(VALU_DEP_1) | instskip(SKIP_1) | instid1(VALU_DEP_2)
	v_fmac_f32_e32 v9, v5, v7
	v_xad_u32 v5, v0, -1, s4
	v_fma_f32 v4, -v4, v9, v8
	s_delay_alu instid0(VALU_DEP_1) | instskip(NEXT) | instid1(VALU_DEP_1)
	v_div_fmas_f32 v4, v4, v7, v9
	v_div_fixup_f32 v4, v4, v2, 1.0
	v_mov_b32_e32 v2, v0
	v_cmpx_lt_u32_e32 0x7f, v5
	s_cbranch_execz .LBB274_294
; %bb.286:
	s_delay_alu instid0(VALU_DEP_3) | instskip(NEXT) | instid1(VALU_DEP_1)
	v_dual_mov_b32 v5, v4 :: v_dual_lshrrev_b32 v2, 7, v5
	v_dual_mov_b32 v10, 0 :: v_dual_add_nc_u32 v7, -1, v2
	s_delay_alu instid0(VALU_DEP_1) | instskip(SKIP_1) | instid1(VALU_DEP_2)
	v_lshrrev_b32_e32 v8, 1, v7
	v_cmp_lt_u32_e32 vcc_lo, 13, v7
	v_add_nc_u32_e32 v7, 1, v8
	s_and_saveexec_b32 s3, vcc_lo
	s_cbranch_execz .LBB274_290
; %bb.287:
	s_delay_alu instid0(VALU_DEP_1)
	v_and_b32_e32 v8, -8, v7
	v_lshl_add_u32 v9, v0, 2, 0x60
	s_mov_b32 s15, 0
	s_mov_b32 s26, 0
.LBB274_288:                            ; =>This Inner Loop Header: Depth=1
	ds_load_2addr_stride64_b32 v[10:11], v9 offset1:2
	ds_load_2addr_stride64_b32 v[12:13], v9 offset0:4 offset1:6
	ds_load_2addr_stride64_b32 v[14:15], v9 offset0:8 offset1:10
	;; [unrolled: 1-line block ×7, first 2 shown]
	s_add_co_i32 s26, s26, 16
	v_add_nc_u32_e32 v8, -8, v8
	s_wait_dscnt 0x7
	v_pk_mul_f32 v[10:11], v[4:5], v[10:11]
	s_wait_dscnt 0x6
	v_pk_mul_f32 v[12:13], v[4:5], v[12:13]
	;; [unrolled: 2-line block ×8, first 2 shown]
	ds_store_2addr_stride64_b32 v9, v10, v11 offset1:2
	ds_store_2addr_stride64_b32 v9, v12, v13 offset0:4 offset1:6
	ds_store_2addr_stride64_b32 v9, v14, v15 offset0:8 offset1:10
	;; [unrolled: 1-line block ×7, first 2 shown]
	v_mov_b32_e32 v10, s26
	v_cmp_eq_u32_e32 vcc_lo, 0, v8
	v_add_nc_u32_e32 v9, 0x2000, v9
	s_or_b32 s15, vcc_lo, s15
	s_delay_alu instid0(SALU_CYCLE_1)
	s_and_not1_b32 exec_lo, exec_lo, s15
	s_cbranch_execnz .LBB274_288
; %bb.289:
	s_or_b32 exec_lo, exec_lo, s15
.LBB274_290:
	s_delay_alu instid0(SALU_CYCLE_1) | instskip(NEXT) | instid1(VALU_DEP_1)
	s_or_b32 exec_lo, exec_lo, s3
	v_and_b32_e32 v7, 7, v7
	s_mov_b32 s15, 0
	s_mov_b32 s3, exec_lo
	s_delay_alu instid0(VALU_DEP_1)
	v_cmpx_ne_u32_e32 0, v7
	s_cbranch_execz .LBB274_293
; %bb.291:
	v_dual_lshlrev_b32 v8, 9, v10 :: v_dual_lshlrev_b32 v9, 2, v0
	s_delay_alu instid0(VALU_DEP_1)
	v_add3_u32 v8, v8, v9, 0x60
.LBB274_292:                            ; =>This Inner Loop Header: Depth=1
	ds_load_2addr_stride64_b32 v[10:11], v8 offset1:2
	v_add_nc_u32_e32 v7, -1, v7
	s_delay_alu instid0(VALU_DEP_1)
	v_cmp_eq_u32_e32 vcc_lo, 0, v7
	s_or_b32 s15, vcc_lo, s15
	s_wait_dscnt 0x0
	v_pk_mul_f32 v[10:11], v[4:5], v[10:11]
	ds_store_2addr_stride64_b32 v8, v10, v11 offset1:2
	v_add_nc_u32_e32 v8, 0x400, v8
	s_and_not1_b32 exec_lo, exec_lo, s15
	s_cbranch_execnz .LBB274_292
.LBB274_293:
	s_or_b32 exec_lo, exec_lo, s3
	v_add_nc_u32_e32 v2, 1, v2
	s_delay_alu instid0(VALU_DEP_1) | instskip(NEXT) | instid1(VALU_DEP_1)
	v_and_b32_e32 v5, 0x3fffffe, v2
	v_cmp_ne_u32_e32 vcc_lo, v2, v5
	v_lshl_add_u32 v2, v5, 7, v0
	s_or_not1_b32 s3, vcc_lo, exec_lo
.LBB274_294:
	s_or_b32 exec_lo, exec_lo, s1
	s_delay_alu instid0(SALU_CYCLE_1)
	s_and_b32 exec_lo, exec_lo, s3
	s_cbranch_execz .LBB274_297
; %bb.295:
	v_lshl_add_u32 v5, v2, 2, 0x60
	s_mov_b32 s1, 0
.LBB274_296:                            ; =>This Inner Loop Header: Depth=1
	ds_load_b32 v7, v5
	s_wait_dscnt 0x0
	v_dual_mul_f32 v7, v4, v7 :: v_dual_add_nc_u32 v2, 0x80, v2
	s_delay_alu instid0(VALU_DEP_1) | instskip(SKIP_3) | instid1(SALU_CYCLE_1)
	v_cmp_le_i32_e32 vcc_lo, s4, v2
	ds_store_b32 v5, v7
	v_add_nc_u32_e32 v5, 0x200, v5
	s_or_b32 s1, vcc_lo, s1
	s_and_not1_b32 exec_lo, exec_lo, s1
	s_cbranch_execnz .LBB274_296
.LBB274_297:
	s_or_b32 exec_lo, exec_lo, s0
	s_wait_dscnt 0x0
	v_dual_mov_b32 v2, 0 :: v_dual_bitop2_b32 v27, 3, v0 bitop3:0x40
	v_dual_mov_b32 v5, 0 :: v_dual_mov_b32 v4, 0
	s_barrier_signal -1
	s_barrier_wait -1
	s_and_saveexec_b32 s1, s2
	s_cbranch_execz .LBB274_567
; %bb.298:
	s_abs_i32 s6, s6
	v_dual_mov_b32 v9, 0 :: v_dual_lshlrev_b32 v2, 3, v0
	s_cvt_f32_u32 s0, s6
	s_ashr_i32 s15, s14, 31
	s_delay_alu instid0(VALU_DEP_1) | instskip(NEXT) | instid1(SALU_CYCLE_1)
	v_dual_lshlrev_b32 v4, 5, v27 :: v_dual_bitop2_b32 v28, 24, v2 bitop3:0x40
	v_rcp_iflag_f32_e32 v3, s0
	v_and_b32_e32 v8, 0xf8, v2
	s_wait_kmcnt 0x0
	s_add_nc_u64 s[14:15], s[24:25], s[14:15]
	s_lshl_b64 s[22:23], s[22:23], 2
	s_sub_co_i32 s2, 0, s6
	v_mov_b32_e32 v2, 0
	v_add_nc_u64_e32 v[10:11], s[14:15], v[8:9]
	v_readfirstlane_b32 s0, v3
	v_and_b32_e32 v8, 0x7c, v1
	v_lshl_or_b32 v3, v58, 7, v4
	s_add_nc_u64 s[14:15], s[20:21], s[22:23]
	v_mov_b32_e32 v30, v58
	s_mul_f32 s0, s0, 0x4f7ffffe
	v_add_nc_u64_e32 v[12:13], s[14:15], v[8:9]
	v_dual_mov_b32 v4, 0 :: v_dual_add_nc_u32 v29, 0x60, v3
	v_mov_b32_e32 v5, 0
	s_cvt_u32_f32 s0, s0
	v_mov_b32_e32 v3, 0
	s_mov_b32 s3, 0
	s_sub_co_i32 s26, s37, s5
	s_mul_i32 s2, s2, s0
	s_add_co_i32 s27, s36, -1
	s_mul_hi_u32 s2, s0, s2
	s_mov_b64 s[4:5], 0xffffffffffffff
	s_mov_b32 s14, s34
	s_add_co_i32 s2, s0, s2
	s_mov_b32 s15, s3
	s_branch .LBB274_301
.LBB274_299:                            ;   in Loop: Header=BB274_301 Depth=1
	s_or_b32 exec_lo, exec_lo, s0
	;;#ASMSTART
	v_pk_mul_f16 v1, v45, v15;

	;;#ASMEND
	;;#ASMSTART
	v_pk_mul_f16 v8, v43, v16;

	;;#ASMEND
	;; [unrolled: 4-line block ×4, first 2 shown]
	;;#ASMSTART
	v_pk_add_f16 v1, v1, v8;

	;;#ASMEND
	;;#ASMSTART
	v_pk_add_f16 v1, v1, v7;

	;;#ASMEND
	;; [unrolled: 4-line block ×3, first 2 shown]
	v_and_b32_e32 v14, 0xffff, v1
	v_dual_lshrrev_b32 v15, 16, v1 :: v_dual_add_f32 v1, v39, v40
	;;#ASMSTART
	v_cvt_f32_f16 v14, v14;
	;;#ASMEND
	v_dual_add_f32 v7, v47, v48 :: v_dual_add_f32 v8, v44, v46
	;;#ASMSTART
	v_cvt_f32_f16 v15, v15;
	;;#ASMEND
	s_delay_alu instid0(VALU_DEP_2) | instskip(NEXT) | instid1(VALU_DEP_2)
	v_add_f32_e32 v14, v14, v15
	v_dual_add_f32 v2, v2, v1 :: v_dual_add_f32 v5, v5, v7
	s_delay_alu instid0(VALU_DEP_2)
	v_dual_add_f32 v4, v4, v8 :: v_dual_add_f32 v3, v3, v14
.LBB274_300:                            ;   in Loop: Header=BB274_301 Depth=1
	s_or_b32 exec_lo, exec_lo, s20
	v_add_nc_u32_e32 v30, 4, v30
	v_add_nc_u64_e32 v[12:13], 16, v[12:13]
	v_add_nc_u32_e32 v6, 0x80, v6
	v_add_nc_u32_e32 v29, 0x200, v29
	s_delay_alu instid0(VALU_DEP_4) | instskip(SKIP_1) | instid1(SALU_CYCLE_1)
	v_cmp_le_i32_e32 vcc_lo, s36, v30
	s_or_b32 s15, vcc_lo, s15
	s_and_not1_b32 exec_lo, exec_lo, s15
	s_cbranch_execz .LBB274_566
.LBB274_301:                            ; =>This Inner Loop Header: Depth=1
	v_mov_b32_e32 v7, v9
	s_delay_alu instid0(VALU_DEP_1) | instskip(NEXT) | instid1(VALU_DEP_1)
	v_mul_u64_e32 v[14:15], s[18:19], v[6:7]
	v_mul_lo_u32 v1, v15, s12
	s_delay_alu instid0(VALU_DEP_1) | instskip(NEXT) | instid1(VALU_DEP_1)
	v_sub_nc_u32_e32 v1, v6, v1
	v_subrev_nc_u32_e32 v8, s12, v1
	v_cmp_le_u32_e32 vcc_lo, s12, v1
	s_delay_alu instid0(VALU_DEP_2) | instskip(NEXT) | instid1(VALU_DEP_1)
	v_dual_add_nc_u32 v7, 1, v15 :: v_dual_cndmask_b32 v1, v1, v8, vcc_lo
	v_cndmask_b32_e32 v7, v15, v7, vcc_lo
	s_delay_alu instid0(VALU_DEP_2) | instskip(NEXT) | instid1(VALU_DEP_2)
	v_cmp_le_u32_e32 vcc_lo, s12, v1
	v_add_nc_u32_e32 v8, 1, v7
	s_delay_alu instid0(VALU_DEP_1) | instskip(NEXT) | instid1(VALU_DEP_1)
	v_cndmask_b32_e32 v1, v7, v8, vcc_lo
	v_xor_b32_e32 v1, s35, v1
	s_delay_alu instid0(VALU_DEP_1) | instskip(NEXT) | instid1(VALU_DEP_1)
	v_subrev_nc_u32_e32 v1, s35, v1
	v_add_nc_u32_e32 v7, s17, v1
	v_cmp_lt_i32_e64 s0, s26, v1
	s_delay_alu instid0(VALU_DEP_2) | instskip(NEXT) | instid1(VALU_DEP_1)
	v_sub_nc_u32_e32 v8, 0, v7
	v_dual_ashrrev_i32 v7, 31, v7 :: v_dual_max_i32 v8, v7, v8
	s_delay_alu instid0(VALU_DEP_1) | instskip(NEXT) | instid1(VALU_DEP_1)
	v_mul_u64_e32 v[14:15], s[2:3], v[8:9]
	v_mul_lo_u32 v14, v15, s6
	s_delay_alu instid0(VALU_DEP_1) | instskip(NEXT) | instid1(VALU_DEP_1)
	v_sub_nc_u32_e32 v8, v8, v14
	v_subrev_nc_u32_e32 v14, s6, v8
	v_cmp_le_u32_e32 vcc_lo, s6, v8
	s_delay_alu instid0(VALU_DEP_2) | instskip(NEXT) | instid1(VALU_DEP_1)
	v_cndmask_b32_e32 v8, v8, v14, vcc_lo
	v_subrev_nc_u32_e32 v14, s6, v8
	v_cmp_le_u32_e32 vcc_lo, s6, v8
	s_delay_alu instid0(VALU_DEP_2) | instskip(NEXT) | instid1(VALU_DEP_1)
	v_cndmask_b32_e32 v8, v8, v14, vcc_lo
	v_xor_b32_e32 v8, v8, v7
	s_delay_alu instid0(VALU_DEP_1) | instskip(NEXT) | instid1(VALU_DEP_1)
	v_sub_nc_u32_e32 v7, v8, v7
	v_cmp_eq_u32_e32 vcc_lo, 0, v7
	s_or_b32 s0, vcc_lo, s0
	s_delay_alu instid0(SALU_CYCLE_1)
	s_and_saveexec_b32 s20, s0
	s_cbranch_execz .LBB274_300
; %bb.302:                              ;   in Loop: Header=BB274_301 Depth=1
	global_load_b32 v1, v[12:13], off
	ds_load_2addr_b64 v[16:19], v29 offset1:1
	ds_load_2addr_b64 v[20:23], v29 offset0:2 offset1:3
	s_mov_b32 s0, exec_lo
	s_wait_dscnt 0x1
	;;#ASMSTART
	v_cvt_f16_f32 v42, v16;

	;;#ASMEND
	;;#ASMSTART
	v_cvt_f16_f32 v39, v17;

	;;#ASMEND
	;; [unrolled: 4-line block ×4, first 2 shown]
	s_wait_dscnt 0x0
	;;#ASMSTART
	v_cvt_f16_f32 v45, v20;

	;;#ASMEND
	;;#ASMSTART
	v_cvt_f16_f32 v41, v21;

	;;#ASMEND
	;; [unrolled: 4-line block ×4, first 2 shown]
	v_mov_b32_e32 v7, 0
	s_wait_loadcnt 0x0
	v_mad_nc_i64_i32 v[14:15], v1, s13, v[10:11]
	v_mov_b32_e32 v1, 0
	global_load_b32 v16, v1, s[10:11]
	global_load_b64 v[18:19], v[14:15], off
	s_wait_loadcnt 0x0
	v_and_b32_e32 v8, 0xff, v18
	s_delay_alu instid0(VALU_DEP_1)
	v_cmpx_ne_u16_e32 0, v8
	s_cbranch_execz .LBB274_310
; %bb.303:                              ;   in Loop: Header=BB274_301 Depth=1
	v_mov_b32_e32 v7, 0x8000
	s_mov_b32 s21, exec_lo
	v_cmpx_ne_u16_e32 0x80, v8
	s_cbranch_execz .LBB274_309
; %bb.304:                              ;   in Loop: Header=BB274_301 Depth=1
	v_and_b32_e32 v17, 0x7f, v18
	v_mov_b32_e32 v7, 0x7c01
	s_mov_b32 s22, exec_lo
	s_delay_alu instid0(VALU_DEP_2)
	v_cmpx_ne_u32_e32 0x7f, v17
	s_cbranch_execz .LBB274_308
; %bb.305:                              ;   in Loop: Header=BB274_301 Depth=1
	v_dual_lshrrev_b32 v8, 3, v17 :: v_dual_bitop2_b32 v7, 7, v18 bitop3:0x40
	s_mov_b32 s23, exec_lo
	v_cmpx_gt_u32_e32 8, v17
; %bb.306:                              ;   in Loop: Header=BB274_301 Depth=1
	s_delay_alu instid0(VALU_DEP_2) | instskip(NEXT) | instid1(VALU_DEP_1)
	v_clz_i32_u32_e32 v7, v7
	v_min_u32_e32 v7, 32, v7
	s_delay_alu instid0(VALU_DEP_1) | instskip(NEXT) | instid1(VALU_DEP_1)
	v_subrev_nc_u32_e32 v8, 28, v7
	v_lshlrev_b64_e32 v[20:21], v8, v[18:19]
	s_delay_alu instid0(VALU_DEP_1)
	v_dual_sub_nc_u32 v8, 29, v7 :: v_dual_bitop2_b32 v7, 7, v20 bitop3:0x40
; %bb.307:                              ;   in Loop: Header=BB274_301 Depth=1
	s_or_b32 exec_lo, exec_lo, s23
	s_delay_alu instid0(VALU_DEP_1) | instskip(NEXT) | instid1(VALU_DEP_2)
	v_dual_lshlrev_b32 v17, 8, v18 :: v_dual_lshlrev_b32 v7, 7, v7
	v_lshl_add_u32 v8, v8, 10, 0x2000
	s_delay_alu instid0(VALU_DEP_2) | instskip(NEXT) | instid1(VALU_DEP_2)
	v_and_b32_e32 v17, 0x8000, v17
	v_and_b32_e32 v8, 0xfc00, v8
	s_delay_alu instid0(VALU_DEP_1)
	v_or3_b32 v7, v17, v8, v7
.LBB274_308:                            ;   in Loop: Header=BB274_301 Depth=1
	s_or_b32 exec_lo, exec_lo, s22
.LBB274_309:                            ;   in Loop: Header=BB274_301 Depth=1
	s_delay_alu instid0(SALU_CYCLE_1)
	s_or_b32 exec_lo, exec_lo, s21
.LBB274_310:                            ;   in Loop: Header=BB274_301 Depth=1
	s_delay_alu instid0(SALU_CYCLE_1) | instskip(SKIP_2) | instid1(VALU_DEP_1)
	s_or_b32 exec_lo, exec_lo, s0
	v_lshrrev_b16 v8, 8, v18
	s_mov_b32 s0, exec_lo
	v_cmpx_ne_u16_e32 0, v8
	s_cbranch_execz .LBB274_318
; %bb.311:                              ;   in Loop: Header=BB274_301 Depth=1
	v_bfrev_b32_e32 v1, 1
	s_mov_b32 s21, exec_lo
	v_cmpx_ne_u16_e32 0x80, v8
	s_cbranch_execz .LBB274_317
; %bb.312:                              ;   in Loop: Header=BB274_301 Depth=1
	v_and_b32_e32 v17, 0xffff, v8
	v_mov_b32_e32 v1, 0x7c010000
	s_mov_b32 s22, exec_lo
	s_delay_alu instid0(VALU_DEP_2) | instskip(NEXT) | instid1(VALU_DEP_1)
	v_and_b32_e32 v21, 0x7f, v17
	v_cmpx_ne_u32_e32 0x7f, v21
	s_cbranch_execz .LBB274_316
; %bb.313:                              ;   in Loop: Header=BB274_301 Depth=1
	v_and_b32_e32 v1, 7, v17
	v_lshrrev_b32_e32 v20, 3, v21
	s_mov_b32 s23, exec_lo
	v_cmpx_gt_u32_e32 8, v21
; %bb.314:                              ;   in Loop: Header=BB274_301 Depth=1
	s_delay_alu instid0(VALU_DEP_3) | instskip(NEXT) | instid1(VALU_DEP_1)
	v_clz_i32_u32_e32 v1, v1
	v_min_u32_e32 v1, 32, v1
	s_delay_alu instid0(VALU_DEP_1) | instskip(NEXT) | instid1(VALU_DEP_1)
	v_subrev_nc_u32_e32 v20, 28, v1
	v_lshlrev_b64_e32 v[22:23], v20, v[8:9]
	s_delay_alu instid0(VALU_DEP_1)
	v_dual_sub_nc_u32 v20, 29, v1 :: v_dual_bitop2_b32 v1, 7, v22 bitop3:0x40
; %bb.315:                              ;   in Loop: Header=BB274_301 Depth=1
	s_or_b32 exec_lo, exec_lo, s23
	v_lshlrev_b32_e32 v8, 8, v17
	s_delay_alu instid0(VALU_DEP_2) | instskip(NEXT) | instid1(VALU_DEP_3)
	v_lshl_add_u32 v17, v20, 10, 0x2000
	v_lshlrev_b32_e32 v1, 23, v1
	s_delay_alu instid0(VALU_DEP_2) | instskip(NEXT) | instid1(VALU_DEP_1)
	v_and_or_b32 v8, 0x8000, v8, v17
	v_lshl_or_b32 v1, v8, 16, v1
.LBB274_316:                            ;   in Loop: Header=BB274_301 Depth=1
	s_or_b32 exec_lo, exec_lo, s22
.LBB274_317:                            ;   in Loop: Header=BB274_301 Depth=1
	s_delay_alu instid0(SALU_CYCLE_1)
	s_or_b32 exec_lo, exec_lo, s21
.LBB274_318:                            ;   in Loop: Header=BB274_301 Depth=1
	s_delay_alu instid0(SALU_CYCLE_1) | instskip(SKIP_3) | instid1(VALU_DEP_2)
	s_or_b32 exec_lo, exec_lo, s0
	v_dual_mov_b32 v17, 0 :: v_dual_lshrrev_b32 v8, 16, v18
	v_mov_b32_e32 v20, 0
	s_mov_b32 s0, exec_lo
	v_and_b32_e32 v21, 0xff, v8
	s_delay_alu instid0(VALU_DEP_1)
	v_cmpx_ne_u16_e32 0, v21
	s_cbranch_execz .LBB274_326
; %bb.319:                              ;   in Loop: Header=BB274_301 Depth=1
	v_mov_b32_e32 v20, 0x8000
	s_mov_b32 s21, exec_lo
	v_cmpx_ne_u16_e32 0x80, v21
	s_cbranch_execz .LBB274_325
; %bb.320:                              ;   in Loop: Header=BB274_301 Depth=1
	v_bfe_u32 v22, v18, 16, 7
	v_mov_b32_e32 v20, 0x7c01
	s_mov_b32 s22, exec_lo
	s_delay_alu instid0(VALU_DEP_2)
	v_cmpx_ne_u32_e32 0x7f, v22
	s_cbranch_execz .LBB274_324
; %bb.321:                              ;   in Loop: Header=BB274_301 Depth=1
	v_dual_lshrrev_b32 v21, 3, v22 :: v_dual_bitop2_b32 v20, 7, v8 bitop3:0x40
	s_mov_b32 s23, exec_lo
	v_cmpx_gt_u32_e32 8, v22
; %bb.322:                              ;   in Loop: Header=BB274_301 Depth=1
	s_delay_alu instid0(VALU_DEP_2) | instskip(NEXT) | instid1(VALU_DEP_1)
	v_clz_i32_u32_e32 v20, v20
	v_min_u32_e32 v22, 32, v20
	s_delay_alu instid0(VALU_DEP_1) | instskip(NEXT) | instid1(VALU_DEP_1)
	v_subrev_nc_u32_e32 v20, 28, v22
	v_lshlrev_b64_e32 v[20:21], v20, v[8:9]
	s_delay_alu instid0(VALU_DEP_1)
	v_dual_sub_nc_u32 v21, 29, v22 :: v_dual_bitop2_b32 v20, 7, v20 bitop3:0x40
; %bb.323:                              ;   in Loop: Header=BB274_301 Depth=1
	s_or_b32 exec_lo, exec_lo, s23
	v_lshlrev_b32_e32 v8, 8, v8
	s_delay_alu instid0(VALU_DEP_2) | instskip(NEXT) | instid1(VALU_DEP_3)
	v_lshl_add_u32 v21, v21, 10, 0x2000
	v_lshlrev_b32_e32 v20, 7, v20
	s_delay_alu instid0(VALU_DEP_3) | instskip(NEXT) | instid1(VALU_DEP_3)
	v_and_b32_e32 v8, 0x8000, v8
	v_and_b32_e32 v21, 0xfc00, v21
	s_delay_alu instid0(VALU_DEP_1)
	v_or3_b32 v20, v8, v21, v20
.LBB274_324:                            ;   in Loop: Header=BB274_301 Depth=1
	s_or_b32 exec_lo, exec_lo, s22
.LBB274_325:                            ;   in Loop: Header=BB274_301 Depth=1
	s_delay_alu instid0(SALU_CYCLE_1)
	s_or_b32 exec_lo, exec_lo, s21
.LBB274_326:                            ;   in Loop: Header=BB274_301 Depth=1
	s_delay_alu instid0(SALU_CYCLE_1) | instskip(NEXT) | instid1(SALU_CYCLE_1)
	s_or_b32 exec_lo, exec_lo, s0
	s_mov_b32 s0, exec_lo
	v_cmpx_lt_u32_e32 0xffffff, v18
	s_cbranch_execz .LBB274_334
; %bb.327:                              ;   in Loop: Header=BB274_301 Depth=1
	v_lshrrev_b32_e32 v8, 24, v18
	v_bfrev_b32_e32 v17, 1
	s_mov_b32 s21, exec_lo
	s_delay_alu instid0(VALU_DEP_2)
	v_cmpx_ne_u32_e32 0x80, v8
	s_cbranch_execz .LBB274_333
; %bb.328:                              ;   in Loop: Header=BB274_301 Depth=1
	v_and_b32_e32 v22, 0x7f, v8
	v_mov_b32_e32 v17, 0x7c010000
	s_mov_b32 s22, exec_lo
	s_delay_alu instid0(VALU_DEP_2)
	v_cmpx_ne_u32_e32 0x7f, v22
	s_cbranch_execz .LBB274_332
; %bb.329:                              ;   in Loop: Header=BB274_301 Depth=1
	v_dual_lshrrev_b32 v21, 3, v22 :: v_dual_bitop2_b32 v17, 7, v8 bitop3:0x40
	s_mov_b32 s23, exec_lo
	v_cmpx_gt_u32_e32 8, v22
; %bb.330:                              ;   in Loop: Header=BB274_301 Depth=1
	s_delay_alu instid0(VALU_DEP_2) | instskip(NEXT) | instid1(VALU_DEP_1)
	v_clz_i32_u32_e32 v17, v17
	v_min_u32_e32 v17, 32, v17
	s_delay_alu instid0(VALU_DEP_1) | instskip(NEXT) | instid1(VALU_DEP_1)
	v_subrev_nc_u32_e32 v21, 28, v17
	v_lshlrev_b64_e32 v[22:23], v21, v[8:9]
	s_delay_alu instid0(VALU_DEP_1)
	v_dual_sub_nc_u32 v21, 29, v17 :: v_dual_bitop2_b32 v17, 7, v22 bitop3:0x40
; %bb.331:                              ;   in Loop: Header=BB274_301 Depth=1
	s_or_b32 exec_lo, exec_lo, s23
	s_delay_alu instid0(VALU_DEP_1) | instskip(NEXT) | instid1(VALU_DEP_2)
	v_dual_lshlrev_b32 v8, 8, v8 :: v_dual_lshlrev_b32 v17, 23, v17
	v_lshl_add_u32 v21, v21, 10, 0x2000
	s_delay_alu instid0(VALU_DEP_1) | instskip(NEXT) | instid1(VALU_DEP_1)
	v_and_or_b32 v8, 0x8000, v8, v21
	v_lshl_or_b32 v17, v8, 16, v17
.LBB274_332:                            ;   in Loop: Header=BB274_301 Depth=1
	s_or_b32 exec_lo, exec_lo, s22
.LBB274_333:                            ;   in Loop: Header=BB274_301 Depth=1
	s_delay_alu instid0(SALU_CYCLE_1)
	s_or_b32 exec_lo, exec_lo, s21
.LBB274_334:                            ;   in Loop: Header=BB274_301 Depth=1
	s_delay_alu instid0(SALU_CYCLE_1) | instskip(SKIP_4) | instid1(VALU_DEP_3)
	s_or_b32 exec_lo, exec_lo, s0
	v_and_b32_e32 v23, 0xff, v19
	v_dual_mov_b32 v8, v19 :: v_dual_mov_b32 v22, 0
	v_mov_b32_e32 v21, 0
	s_mov_b32 s0, exec_lo
	v_cmpx_ne_u16_e32 0, v23
	s_cbranch_execz .LBB274_342
; %bb.335:                              ;   in Loop: Header=BB274_301 Depth=1
	v_mov_b32_e32 v21, 0x8000
	s_mov_b32 s21, exec_lo
	v_cmpx_ne_u16_e32 0x80, v23
	s_cbranch_execz .LBB274_341
; %bb.336:                              ;   in Loop: Header=BB274_301 Depth=1
	v_and_b32_e32 v24, 0x7f, v19
	v_mov_b32_e32 v21, 0x7c01
	s_mov_b32 s22, exec_lo
	s_delay_alu instid0(VALU_DEP_2)
	v_cmpx_ne_u32_e32 0x7f, v24
	s_cbranch_execz .LBB274_340
; %bb.337:                              ;   in Loop: Header=BB274_301 Depth=1
	v_dual_lshrrev_b32 v23, 3, v24 :: v_dual_bitop2_b32 v21, 7, v19 bitop3:0x40
	s_mov_b32 s23, exec_lo
	v_cmpx_gt_u32_e32 8, v24
; %bb.338:                              ;   in Loop: Header=BB274_301 Depth=1
	s_delay_alu instid0(VALU_DEP_2) | instskip(NEXT) | instid1(VALU_DEP_1)
	v_clz_i32_u32_e32 v21, v21
	v_min_u32_e32 v21, 32, v21
	s_delay_alu instid0(VALU_DEP_1) | instskip(NEXT) | instid1(VALU_DEP_1)
	v_subrev_nc_u32_e32 v23, 28, v21
	v_lshlrev_b64_e32 v[32:33], v23, v[8:9]
	s_delay_alu instid0(VALU_DEP_1)
	v_dual_sub_nc_u32 v23, 29, v21 :: v_dual_bitop2_b32 v21, 7, v32 bitop3:0x40
; %bb.339:                              ;   in Loop: Header=BB274_301 Depth=1
	s_or_b32 exec_lo, exec_lo, s23
	s_delay_alu instid0(VALU_DEP_1) | instskip(NEXT) | instid1(VALU_DEP_2)
	v_dual_lshlrev_b32 v24, 8, v19 :: v_dual_lshlrev_b32 v21, 7, v21
	v_lshl_add_u32 v23, v23, 10, 0x2000
	s_delay_alu instid0(VALU_DEP_2) | instskip(NEXT) | instid1(VALU_DEP_2)
	v_and_b32_e32 v24, 0x8000, v24
	v_and_b32_e32 v23, 0xfc00, v23
	s_delay_alu instid0(VALU_DEP_1)
	v_or3_b32 v21, v24, v23, v21
.LBB274_340:                            ;   in Loop: Header=BB274_301 Depth=1
	s_or_b32 exec_lo, exec_lo, s22
.LBB274_341:                            ;   in Loop: Header=BB274_301 Depth=1
	s_delay_alu instid0(SALU_CYCLE_1)
	s_or_b32 exec_lo, exec_lo, s21
.LBB274_342:                            ;   in Loop: Header=BB274_301 Depth=1
	s_delay_alu instid0(SALU_CYCLE_1) | instskip(SKIP_3) | instid1(VALU_DEP_2)
	s_or_b32 exec_lo, exec_lo, s0
	v_lshrrev_b16 v8, 8, v8
	v_mov_b32_e32 v23, 0
	s_mov_b32 s0, exec_lo
	v_cmpx_ne_u16_e32 0, v8
	s_cbranch_execz .LBB274_350
; %bb.343:                              ;   in Loop: Header=BB274_301 Depth=1
	v_bfrev_b32_e32 v23, 1
	s_mov_b32 s21, exec_lo
	v_cmpx_ne_u16_e32 0x80, v8
	s_cbranch_execz .LBB274_349
; %bb.344:                              ;   in Loop: Header=BB274_301 Depth=1
	v_and_b32_e32 v24, 0xffff, v8
	v_mov_b32_e32 v23, 0x7c010000
	s_mov_b32 s22, exec_lo
	s_delay_alu instid0(VALU_DEP_2) | instskip(NEXT) | instid1(VALU_DEP_1)
	v_and_b32_e32 v32, 0x7f, v24
	v_cmpx_ne_u32_e32 0x7f, v32
	s_cbranch_execz .LBB274_348
; %bb.345:                              ;   in Loop: Header=BB274_301 Depth=1
	v_and_b32_e32 v23, 7, v24
	v_lshrrev_b32_e32 v31, 3, v32
	s_mov_b32 s23, exec_lo
	v_cmpx_gt_u32_e32 8, v32
; %bb.346:                              ;   in Loop: Header=BB274_301 Depth=1
	s_delay_alu instid0(VALU_DEP_3) | instskip(NEXT) | instid1(VALU_DEP_1)
	v_clz_i32_u32_e32 v23, v23
	v_min_u32_e32 v23, 32, v23
	s_delay_alu instid0(VALU_DEP_1) | instskip(NEXT) | instid1(VALU_DEP_1)
	v_subrev_nc_u32_e32 v31, 28, v23
	v_lshlrev_b64_e32 v[32:33], v31, v[8:9]
	s_delay_alu instid0(VALU_DEP_1)
	v_dual_sub_nc_u32 v31, 29, v23 :: v_dual_bitop2_b32 v23, 7, v32 bitop3:0x40
; %bb.347:                              ;   in Loop: Header=BB274_301 Depth=1
	s_or_b32 exec_lo, exec_lo, s23
	s_delay_alu instid0(VALU_DEP_1) | instskip(NEXT) | instid1(VALU_DEP_2)
	v_dual_lshlrev_b32 v8, 8, v24 :: v_dual_lshlrev_b32 v23, 23, v23
	v_lshl_add_u32 v24, v31, 10, 0x2000
	s_delay_alu instid0(VALU_DEP_1) | instskip(NEXT) | instid1(VALU_DEP_1)
	v_and_or_b32 v8, 0x8000, v8, v24
	v_lshl_or_b32 v23, v8, 16, v23
.LBB274_348:                            ;   in Loop: Header=BB274_301 Depth=1
	s_or_b32 exec_lo, exec_lo, s22
.LBB274_349:                            ;   in Loop: Header=BB274_301 Depth=1
	s_delay_alu instid0(SALU_CYCLE_1)
	s_or_b32 exec_lo, exec_lo, s21
.LBB274_350:                            ;   in Loop: Header=BB274_301 Depth=1
	s_delay_alu instid0(SALU_CYCLE_1) | instskip(SKIP_2) | instid1(VALU_DEP_1)
	s_or_b32 exec_lo, exec_lo, s0
	v_lshrrev_b32_e32 v8, 16, v19
	s_mov_b32 s0, exec_lo
	v_and_b32_e32 v24, 0xff, v8
	s_delay_alu instid0(VALU_DEP_1)
	v_cmpx_ne_u16_e32 0, v24
	s_cbranch_execz .LBB274_358
; %bb.351:                              ;   in Loop: Header=BB274_301 Depth=1
	v_mov_b32_e32 v22, 0x8000
	s_mov_b32 s21, exec_lo
	v_cmpx_ne_u16_e32 0x80, v24
	s_cbranch_execz .LBB274_357
; %bb.352:                              ;   in Loop: Header=BB274_301 Depth=1
	v_bfe_u32 v31, v19, 16, 7
	v_mov_b32_e32 v22, 0x7c01
	s_mov_b32 s22, exec_lo
	s_delay_alu instid0(VALU_DEP_2)
	v_cmpx_ne_u32_e32 0x7f, v31
	s_cbranch_execz .LBB274_356
; %bb.353:                              ;   in Loop: Header=BB274_301 Depth=1
	v_dual_lshrrev_b32 v24, 3, v31 :: v_dual_bitop2_b32 v22, 7, v8 bitop3:0x40
	s_mov_b32 s23, exec_lo
	v_cmpx_gt_u32_e32 8, v31
; %bb.354:                              ;   in Loop: Header=BB274_301 Depth=1
	s_delay_alu instid0(VALU_DEP_2) | instskip(NEXT) | instid1(VALU_DEP_1)
	v_clz_i32_u32_e32 v22, v22
	v_min_u32_e32 v22, 32, v22
	s_delay_alu instid0(VALU_DEP_1) | instskip(NEXT) | instid1(VALU_DEP_1)
	v_subrev_nc_u32_e32 v24, 28, v22
	v_lshlrev_b64_e32 v[32:33], v24, v[8:9]
	s_delay_alu instid0(VALU_DEP_1)
	v_dual_sub_nc_u32 v24, 29, v22 :: v_dual_bitop2_b32 v22, 7, v32 bitop3:0x40
; %bb.355:                              ;   in Loop: Header=BB274_301 Depth=1
	s_or_b32 exec_lo, exec_lo, s23
	s_delay_alu instid0(VALU_DEP_1) | instskip(NEXT) | instid1(VALU_DEP_2)
	v_dual_lshlrev_b32 v8, 8, v8 :: v_dual_lshlrev_b32 v22, 7, v22
	v_lshl_add_u32 v24, v24, 10, 0x2000
	s_delay_alu instid0(VALU_DEP_2) | instskip(NEXT) | instid1(VALU_DEP_2)
	v_and_b32_e32 v8, 0x8000, v8
	v_and_b32_e32 v24, 0xfc00, v24
	s_delay_alu instid0(VALU_DEP_1)
	v_or3_b32 v22, v8, v24, v22
.LBB274_356:                            ;   in Loop: Header=BB274_301 Depth=1
	s_or_b32 exec_lo, exec_lo, s22
.LBB274_357:                            ;   in Loop: Header=BB274_301 Depth=1
	s_delay_alu instid0(SALU_CYCLE_1)
	s_or_b32 exec_lo, exec_lo, s21
.LBB274_358:                            ;   in Loop: Header=BB274_301 Depth=1
	s_delay_alu instid0(SALU_CYCLE_1)
	s_or_b32 exec_lo, exec_lo, s0
	v_cmp_lt_u64_e32 vcc_lo, s[4:5], v[18:19]
	v_mov_b32_e32 v18, 0
	s_and_saveexec_b32 s0, vcc_lo
	s_cbranch_execz .LBB274_366
; %bb.359:                              ;   in Loop: Header=BB274_301 Depth=1
	v_lshrrev_b32_e32 v8, 24, v19
	v_bfrev_b32_e32 v18, 1
	s_mov_b32 s21, exec_lo
	s_delay_alu instid0(VALU_DEP_2)
	v_cmpx_ne_u32_e32 0x80, v8
	s_cbranch_execz .LBB274_365
; %bb.360:                              ;   in Loop: Header=BB274_301 Depth=1
	v_and_b32_e32 v24, 0x7f, v8
	v_mov_b32_e32 v18, 0x7c010000
	s_mov_b32 s22, exec_lo
	s_delay_alu instid0(VALU_DEP_2)
	v_cmpx_ne_u32_e32 0x7f, v24
	s_cbranch_execz .LBB274_364
; %bb.361:                              ;   in Loop: Header=BB274_301 Depth=1
	v_and_b32_e32 v18, 7, v8
	v_lshrrev_b32_e32 v19, 3, v24
	s_mov_b32 s23, exec_lo
	v_cmpx_gt_u32_e32 8, v24
; %bb.362:                              ;   in Loop: Header=BB274_301 Depth=1
	s_delay_alu instid0(VALU_DEP_3) | instskip(NEXT) | instid1(VALU_DEP_1)
	v_clz_i32_u32_e32 v18, v18
	v_min_u32_e32 v24, 32, v18
	s_delay_alu instid0(VALU_DEP_1) | instskip(NEXT) | instid1(VALU_DEP_1)
	v_subrev_nc_u32_e32 v18, 28, v24
	v_lshlrev_b64_e32 v[18:19], v18, v[8:9]
	s_delay_alu instid0(VALU_DEP_1)
	v_dual_sub_nc_u32 v19, 29, v24 :: v_dual_bitop2_b32 v18, 7, v18 bitop3:0x40
; %bb.363:                              ;   in Loop: Header=BB274_301 Depth=1
	s_or_b32 exec_lo, exec_lo, s23
	s_delay_alu instid0(VALU_DEP_1) | instskip(NEXT) | instid1(VALU_DEP_2)
	v_dual_lshlrev_b32 v8, 8, v8 :: v_dual_lshlrev_b32 v18, 23, v18
	v_lshl_add_u32 v19, v19, 10, 0x2000
	s_delay_alu instid0(VALU_DEP_1) | instskip(NEXT) | instid1(VALU_DEP_1)
	v_and_or_b32 v8, 0x8000, v8, v19
	v_lshl_or_b32 v18, v8, 16, v18
.LBB274_364:                            ;   in Loop: Header=BB274_301 Depth=1
	s_or_b32 exec_lo, exec_lo, s22
.LBB274_365:                            ;   in Loop: Header=BB274_301 Depth=1
	s_delay_alu instid0(SALU_CYCLE_1)
	s_or_b32 exec_lo, exec_lo, s21
.LBB274_366:                            ;   in Loop: Header=BB274_301 Depth=1
	s_delay_alu instid0(SALU_CYCLE_1) | instskip(SKIP_3) | instid1(VALU_DEP_3)
	s_or_b32 exec_lo, exec_lo, s0
	v_dual_lshrrev_b32 v8, 16, v1 :: v_dual_bitop2_b32 v1, v1, v7 bitop3:0x54
	v_dual_lshrrev_b32 v19, 16, v17 :: v_dual_bitop2_b32 v7, v17, v20 bitop3:0x54
	v_lshrrev_b32_e32 v20, 16, v18
	v_cvt_f32_f16_e32 v33, v8
	v_dual_lshrrev_b32 v17, 16, v23 :: v_dual_bitop2_b32 v8, v18, v22 bitop3:0x54
	s_delay_alu instid0(VALU_DEP_4)
	v_cvt_f32_f16_e32 v32, v19
	v_cvt_f32_f16_e32 v18, v7
	v_or_b32_e32 v7, v23, v21
	v_cvt_f32_f16_e32 v19, v1
	v_cvt_f32_f16_e32 v21, v17
	v_pk_mul_f32 v[32:33], v[16:17], v[32:33] op_sel_hi:[0,1]
	v_cvt_f32_f16_e32 v20, v20
	v_cvt_f32_f16_e32 v22, v8
	;; [unrolled: 1-line block ×3, first 2 shown]
	v_pk_mul_f32 v[18:19], v[16:17], v[18:19] op_sel_hi:[0,1]
	v_cvt_pk_f16_f32 v1, v32, v33
	v_pk_mul_f32 v[32:33], v[16:17], v[20:21] op_sel_hi:[0,1]
	v_add_nc_u32_e32 v31, v28, v6
	v_pk_mul_f32 v[16:17], v[16:17], v[22:23] op_sel_hi:[0,1]
	v_cvt_pk_f16_f32 v7, v18, v19
	v_and_b32_e32 v21, 0xffff0000, v1
	v_cvt_pk_f16_f32 v8, v32, v33
	v_lshlrev_b32_e32 v22, 16, v1
	v_cvt_pk_f16_f32 v16, v16, v17
	v_lshrrev_b32_e32 v23, 16, v7
	v_and_b32_e32 v24, 0xffff, v7
	v_and_b32_e32 v1, 0xffff0000, v8
	v_lshlrev_b32_e32 v8, 16, v8
	s_delay_alu instid0(VALU_DEP_4) | instskip(SKIP_3) | instid1(VALU_DEP_4)
	v_dual_lshrrev_b32 v19, 16, v16 :: v_dual_bitop2_b32 v17, v21, v23 bitop3:0x54
	v_and_b32_e32 v20, 0xffff, v16
	v_cmp_eq_u32_e32 vcc_lo, s27, v30
	v_dual_add_nc_u32 v38, 2, v31 :: v_dual_bitop2_b32 v18, v22, v24 bitop3:0x54
	v_or_b32_e32 v7, v1, v19
	s_delay_alu instid0(VALU_DEP_4)
	v_or_b32_e32 v16, v8, v20
	v_or_b32_e32 v37, 1, v31
	;; [unrolled: 1-line block ×7, first 2 shown]
	s_and_saveexec_b32 s21, vcc_lo
	s_cbranch_execz .LBB274_368
; %bb.367:                              ;   in Loop: Header=BB274_301 Depth=1
	v_cmp_gt_i32_e64 s0, s14, v31
	s_delay_alu instid0(VALU_DEP_1) | instskip(SKIP_1) | instid1(VALU_DEP_1)
	v_cndmask_b32_e64 v7, 0, v23, s0
	v_cmp_gt_i32_e64 s0, s34, v38
	v_cndmask_b32_e64 v16, 0, v24, s0
	v_cmp_gt_i32_e64 s0, s14, v37
	s_delay_alu instid0(VALU_DEP_1) | instskip(SKIP_1) | instid1(VALU_DEP_1)
	v_cndmask_b32_e64 v17, 0, v21, s0
	v_cmp_gt_i32_e64 s0, s34, v36
	v_cndmask_b32_e64 v18, 0, v22, s0
	v_cmp_gt_i32_e64 s0, s14, v35
	s_delay_alu instid0(VALU_DEP_4) | instskip(NEXT) | instid1(VALU_DEP_2)
	v_or_b32_e32 v17, v17, v7
	v_dual_cndmask_b32 v19, 0, v19, s0 :: v_dual_bitop2_b32 v18, v18, v16 bitop3:0x54
	v_cmp_gt_i32_e64 s0, s34, v34
	s_delay_alu instid0(VALU_DEP_1) | instskip(SKIP_1) | instid1(VALU_DEP_1)
	v_cndmask_b32_e64 v20, 0, v20, s0
	v_cmp_gt_i32_e64 s0, s14, v33
	v_cndmask_b32_e64 v1, 0, v1, s0
	v_cmp_gt_i32_e64 s0, s34, v32
	s_delay_alu instid0(VALU_DEP_1) | instskip(NEXT) | instid1(VALU_DEP_1)
	v_dual_cndmask_b32 v8, 0, v8, s0 :: v_dual_bitop2_b32 v7, v1, v19 bitop3:0x54
	v_or_b32_e32 v16, v8, v20
.LBB274_368:                            ;   in Loop: Header=BB274_301 Depth=1
	s_or_b32 exec_lo, exec_lo, s21
	v_and_b32_e32 v1, 0xffff, v42
	v_and_b32_e32 v8, 0xffff, v43
	;; [unrolled: 1-line block ×4, first 2 shown]
	s_mov_b32 s21, exec_lo
	v_lshl_or_b32 v45, v39, 16, v1
	;;#ASMSTART
	v_pk_mul_f16 v1, v45, v17;

	;;#ASMEND
	v_lshl_or_b32 v43, v40, 16, v8
	v_lshl_or_b32 v42, v41, 16, v19
	;; [unrolled: 1-line block ×3, first 2 shown]
	;;#ASMSTART
	v_pk_mul_f16 v8, v43, v18;

	;;#ASMEND
	;;#ASMSTART
	v_pk_mul_f16 v7, v42, v7;

	;;#ASMEND
	;; [unrolled: 4-line block ×3, first 2 shown]
	;;#ASMSTART
	v_pk_add_f16 v1, v1, v8;

	;;#ASMEND
	;;#ASMSTART
	v_pk_add_f16 v1, v1, v7;

	;;#ASMEND
	;; [unrolled: 4-line block ×3, first 2 shown]
	v_and_b32_e32 v7, 0xffff, v1
	v_lshrrev_b32_e32 v1, 16, v1
	;;#ASMSTART
	v_cvt_f32_f16 v44, v7;
	;;#ASMEND
	v_mov_b32_e32 v7, 0
	;;#ASMSTART
	v_cvt_f32_f16 v46, v1;
	;;#ASMEND
	global_load_b64 v[18:19], v[14:15], off offset:256
	v_mov_b32_e32 v1, 0
	global_load_b32 v16, v1, s[10:11]
	s_wait_loadcnt 0x1
	v_and_b32_e32 v8, 0xff, v18
	s_wait_xcnt 0x0
	s_delay_alu instid0(VALU_DEP_1)
	v_cmpx_ne_u16_e32 0, v8
	s_cbranch_execz .LBB274_376
; %bb.369:                              ;   in Loop: Header=BB274_301 Depth=1
	v_mov_b32_e32 v7, 0x8000
	s_mov_b32 s22, exec_lo
	v_cmpx_ne_u16_e32 0x80, v8
	s_cbranch_execz .LBB274_375
; %bb.370:                              ;   in Loop: Header=BB274_301 Depth=1
	v_and_b32_e32 v17, 0x7f, v18
	v_mov_b32_e32 v7, 0x7c01
	s_mov_b32 s23, exec_lo
	s_delay_alu instid0(VALU_DEP_2)
	v_cmpx_ne_u32_e32 0x7f, v17
	s_cbranch_execz .LBB274_374
; %bb.371:                              ;   in Loop: Header=BB274_301 Depth=1
	v_dual_lshrrev_b32 v8, 3, v17 :: v_dual_bitop2_b32 v7, 7, v18 bitop3:0x40
	s_mov_b32 s24, exec_lo
	v_cmpx_gt_u32_e32 8, v17
; %bb.372:                              ;   in Loop: Header=BB274_301 Depth=1
	s_delay_alu instid0(VALU_DEP_2) | instskip(NEXT) | instid1(VALU_DEP_1)
	v_clz_i32_u32_e32 v7, v7
	v_min_u32_e32 v7, 32, v7
	s_delay_alu instid0(VALU_DEP_1) | instskip(NEXT) | instid1(VALU_DEP_1)
	v_subrev_nc_u32_e32 v8, 28, v7
	v_lshlrev_b64_e32 v[20:21], v8, v[18:19]
	s_delay_alu instid0(VALU_DEP_1)
	v_dual_sub_nc_u32 v8, 29, v7 :: v_dual_bitop2_b32 v7, 7, v20 bitop3:0x40
; %bb.373:                              ;   in Loop: Header=BB274_301 Depth=1
	s_or_b32 exec_lo, exec_lo, s24
	s_delay_alu instid0(VALU_DEP_1) | instskip(NEXT) | instid1(VALU_DEP_2)
	v_dual_lshlrev_b32 v17, 8, v18 :: v_dual_lshlrev_b32 v7, 7, v7
	v_lshl_add_u32 v8, v8, 10, 0x2000
	s_delay_alu instid0(VALU_DEP_2) | instskip(NEXT) | instid1(VALU_DEP_2)
	v_and_b32_e32 v17, 0x8000, v17
	v_and_b32_e32 v8, 0xfc00, v8
	s_delay_alu instid0(VALU_DEP_1)
	v_or3_b32 v7, v17, v8, v7
.LBB274_374:                            ;   in Loop: Header=BB274_301 Depth=1
	s_or_b32 exec_lo, exec_lo, s23
.LBB274_375:                            ;   in Loop: Header=BB274_301 Depth=1
	s_delay_alu instid0(SALU_CYCLE_1)
	s_or_b32 exec_lo, exec_lo, s22
.LBB274_376:                            ;   in Loop: Header=BB274_301 Depth=1
	s_delay_alu instid0(SALU_CYCLE_1) | instskip(SKIP_2) | instid1(VALU_DEP_1)
	s_or_b32 exec_lo, exec_lo, s21
	v_lshrrev_b16 v8, 8, v18
	s_mov_b32 s21, exec_lo
	v_cmpx_ne_u16_e32 0, v8
	s_cbranch_execz .LBB274_384
; %bb.377:                              ;   in Loop: Header=BB274_301 Depth=1
	v_bfrev_b32_e32 v1, 1
	s_mov_b32 s22, exec_lo
	v_cmpx_ne_u16_e32 0x80, v8
	s_cbranch_execz .LBB274_383
; %bb.378:                              ;   in Loop: Header=BB274_301 Depth=1
	v_and_b32_e32 v17, 0xffff, v8
	v_mov_b32_e32 v1, 0x7c010000
	s_mov_b32 s23, exec_lo
	s_delay_alu instid0(VALU_DEP_2) | instskip(NEXT) | instid1(VALU_DEP_1)
	v_and_b32_e32 v21, 0x7f, v17
	v_cmpx_ne_u32_e32 0x7f, v21
	s_cbranch_execz .LBB274_382
; %bb.379:                              ;   in Loop: Header=BB274_301 Depth=1
	v_and_b32_e32 v1, 7, v17
	v_lshrrev_b32_e32 v20, 3, v21
	s_mov_b32 s24, exec_lo
	v_cmpx_gt_u32_e32 8, v21
; %bb.380:                              ;   in Loop: Header=BB274_301 Depth=1
	s_delay_alu instid0(VALU_DEP_3) | instskip(NEXT) | instid1(VALU_DEP_1)
	v_clz_i32_u32_e32 v1, v1
	v_min_u32_e32 v1, 32, v1
	s_delay_alu instid0(VALU_DEP_1) | instskip(NEXT) | instid1(VALU_DEP_1)
	v_subrev_nc_u32_e32 v20, 28, v1
	v_lshlrev_b64_e32 v[22:23], v20, v[8:9]
	s_delay_alu instid0(VALU_DEP_1)
	v_dual_sub_nc_u32 v20, 29, v1 :: v_dual_bitop2_b32 v1, 7, v22 bitop3:0x40
; %bb.381:                              ;   in Loop: Header=BB274_301 Depth=1
	s_or_b32 exec_lo, exec_lo, s24
	v_lshlrev_b32_e32 v8, 8, v17
	s_delay_alu instid0(VALU_DEP_2) | instskip(NEXT) | instid1(VALU_DEP_3)
	v_lshl_add_u32 v17, v20, 10, 0x2000
	v_lshlrev_b32_e32 v1, 23, v1
	s_delay_alu instid0(VALU_DEP_2) | instskip(NEXT) | instid1(VALU_DEP_1)
	v_and_or_b32 v8, 0x8000, v8, v17
	v_lshl_or_b32 v1, v8, 16, v1
.LBB274_382:                            ;   in Loop: Header=BB274_301 Depth=1
	s_or_b32 exec_lo, exec_lo, s23
.LBB274_383:                            ;   in Loop: Header=BB274_301 Depth=1
	s_delay_alu instid0(SALU_CYCLE_1)
	s_or_b32 exec_lo, exec_lo, s22
.LBB274_384:                            ;   in Loop: Header=BB274_301 Depth=1
	s_delay_alu instid0(SALU_CYCLE_1) | instskip(SKIP_3) | instid1(VALU_DEP_2)
	s_or_b32 exec_lo, exec_lo, s21
	v_dual_mov_b32 v17, 0 :: v_dual_lshrrev_b32 v8, 16, v18
	v_mov_b32_e32 v20, 0
	s_mov_b32 s21, exec_lo
	v_and_b32_e32 v21, 0xff, v8
	s_delay_alu instid0(VALU_DEP_1)
	v_cmpx_ne_u16_e32 0, v21
	s_cbranch_execz .LBB274_392
; %bb.385:                              ;   in Loop: Header=BB274_301 Depth=1
	v_mov_b32_e32 v20, 0x8000
	s_mov_b32 s22, exec_lo
	v_cmpx_ne_u16_e32 0x80, v21
	s_cbranch_execz .LBB274_391
; %bb.386:                              ;   in Loop: Header=BB274_301 Depth=1
	v_bfe_u32 v22, v18, 16, 7
	v_mov_b32_e32 v20, 0x7c01
	s_mov_b32 s23, exec_lo
	s_delay_alu instid0(VALU_DEP_2)
	v_cmpx_ne_u32_e32 0x7f, v22
	s_cbranch_execz .LBB274_390
; %bb.387:                              ;   in Loop: Header=BB274_301 Depth=1
	v_dual_lshrrev_b32 v21, 3, v22 :: v_dual_bitop2_b32 v20, 7, v8 bitop3:0x40
	s_mov_b32 s24, exec_lo
	v_cmpx_gt_u32_e32 8, v22
; %bb.388:                              ;   in Loop: Header=BB274_301 Depth=1
	s_delay_alu instid0(VALU_DEP_2) | instskip(NEXT) | instid1(VALU_DEP_1)
	v_clz_i32_u32_e32 v20, v20
	v_min_u32_e32 v22, 32, v20
	s_delay_alu instid0(VALU_DEP_1) | instskip(NEXT) | instid1(VALU_DEP_1)
	v_subrev_nc_u32_e32 v20, 28, v22
	v_lshlrev_b64_e32 v[20:21], v20, v[8:9]
	s_delay_alu instid0(VALU_DEP_1)
	v_dual_sub_nc_u32 v21, 29, v22 :: v_dual_bitop2_b32 v20, 7, v20 bitop3:0x40
; %bb.389:                              ;   in Loop: Header=BB274_301 Depth=1
	s_or_b32 exec_lo, exec_lo, s24
	v_lshlrev_b32_e32 v8, 8, v8
	s_delay_alu instid0(VALU_DEP_2) | instskip(NEXT) | instid1(VALU_DEP_3)
	v_lshl_add_u32 v21, v21, 10, 0x2000
	v_lshlrev_b32_e32 v20, 7, v20
	s_delay_alu instid0(VALU_DEP_3) | instskip(NEXT) | instid1(VALU_DEP_3)
	v_and_b32_e32 v8, 0x8000, v8
	v_and_b32_e32 v21, 0xfc00, v21
	s_delay_alu instid0(VALU_DEP_1)
	v_or3_b32 v20, v8, v21, v20
.LBB274_390:                            ;   in Loop: Header=BB274_301 Depth=1
	s_or_b32 exec_lo, exec_lo, s23
.LBB274_391:                            ;   in Loop: Header=BB274_301 Depth=1
	s_delay_alu instid0(SALU_CYCLE_1)
	s_or_b32 exec_lo, exec_lo, s22
.LBB274_392:                            ;   in Loop: Header=BB274_301 Depth=1
	s_delay_alu instid0(SALU_CYCLE_1) | instskip(NEXT) | instid1(SALU_CYCLE_1)
	s_or_b32 exec_lo, exec_lo, s21
	s_mov_b32 s21, exec_lo
	v_cmpx_lt_u32_e32 0xffffff, v18
	s_cbranch_execz .LBB274_400
; %bb.393:                              ;   in Loop: Header=BB274_301 Depth=1
	v_lshrrev_b32_e32 v8, 24, v18
	v_bfrev_b32_e32 v17, 1
	s_mov_b32 s22, exec_lo
	s_delay_alu instid0(VALU_DEP_2)
	v_cmpx_ne_u32_e32 0x80, v8
	s_cbranch_execz .LBB274_399
; %bb.394:                              ;   in Loop: Header=BB274_301 Depth=1
	v_and_b32_e32 v22, 0x7f, v8
	v_mov_b32_e32 v17, 0x7c010000
	s_mov_b32 s23, exec_lo
	s_delay_alu instid0(VALU_DEP_2)
	v_cmpx_ne_u32_e32 0x7f, v22
	s_cbranch_execz .LBB274_398
; %bb.395:                              ;   in Loop: Header=BB274_301 Depth=1
	v_dual_lshrrev_b32 v21, 3, v22 :: v_dual_bitop2_b32 v17, 7, v8 bitop3:0x40
	s_mov_b32 s24, exec_lo
	v_cmpx_gt_u32_e32 8, v22
; %bb.396:                              ;   in Loop: Header=BB274_301 Depth=1
	s_delay_alu instid0(VALU_DEP_2) | instskip(NEXT) | instid1(VALU_DEP_1)
	v_clz_i32_u32_e32 v17, v17
	v_min_u32_e32 v17, 32, v17
	s_delay_alu instid0(VALU_DEP_1) | instskip(NEXT) | instid1(VALU_DEP_1)
	v_subrev_nc_u32_e32 v21, 28, v17
	v_lshlrev_b64_e32 v[22:23], v21, v[8:9]
	s_delay_alu instid0(VALU_DEP_1)
	v_dual_sub_nc_u32 v21, 29, v17 :: v_dual_bitop2_b32 v17, 7, v22 bitop3:0x40
; %bb.397:                              ;   in Loop: Header=BB274_301 Depth=1
	s_or_b32 exec_lo, exec_lo, s24
	s_delay_alu instid0(VALU_DEP_1) | instskip(NEXT) | instid1(VALU_DEP_2)
	v_dual_lshlrev_b32 v8, 8, v8 :: v_dual_lshlrev_b32 v17, 23, v17
	v_lshl_add_u32 v21, v21, 10, 0x2000
	s_delay_alu instid0(VALU_DEP_1) | instskip(NEXT) | instid1(VALU_DEP_1)
	v_and_or_b32 v8, 0x8000, v8, v21
	v_lshl_or_b32 v17, v8, 16, v17
.LBB274_398:                            ;   in Loop: Header=BB274_301 Depth=1
	s_or_b32 exec_lo, exec_lo, s23
.LBB274_399:                            ;   in Loop: Header=BB274_301 Depth=1
	s_delay_alu instid0(SALU_CYCLE_1)
	s_or_b32 exec_lo, exec_lo, s22
.LBB274_400:                            ;   in Loop: Header=BB274_301 Depth=1
	s_delay_alu instid0(SALU_CYCLE_1) | instskip(SKIP_4) | instid1(VALU_DEP_3)
	s_or_b32 exec_lo, exec_lo, s21
	v_and_b32_e32 v23, 0xff, v19
	v_dual_mov_b32 v8, v19 :: v_dual_mov_b32 v22, 0
	v_mov_b32_e32 v21, 0
	s_mov_b32 s21, exec_lo
	v_cmpx_ne_u16_e32 0, v23
	s_cbranch_execz .LBB274_408
; %bb.401:                              ;   in Loop: Header=BB274_301 Depth=1
	v_mov_b32_e32 v21, 0x8000
	s_mov_b32 s22, exec_lo
	v_cmpx_ne_u16_e32 0x80, v23
	s_cbranch_execz .LBB274_407
; %bb.402:                              ;   in Loop: Header=BB274_301 Depth=1
	v_and_b32_e32 v24, 0x7f, v19
	v_mov_b32_e32 v21, 0x7c01
	s_mov_b32 s23, exec_lo
	s_delay_alu instid0(VALU_DEP_2)
	v_cmpx_ne_u32_e32 0x7f, v24
	s_cbranch_execz .LBB274_406
; %bb.403:                              ;   in Loop: Header=BB274_301 Depth=1
	v_dual_lshrrev_b32 v23, 3, v24 :: v_dual_bitop2_b32 v21, 7, v19 bitop3:0x40
	s_mov_b32 s24, exec_lo
	v_cmpx_gt_u32_e32 8, v24
; %bb.404:                              ;   in Loop: Header=BB274_301 Depth=1
	s_delay_alu instid0(VALU_DEP_2) | instskip(NEXT) | instid1(VALU_DEP_1)
	v_clz_i32_u32_e32 v21, v21
	v_min_u32_e32 v21, 32, v21
	s_delay_alu instid0(VALU_DEP_1) | instskip(NEXT) | instid1(VALU_DEP_1)
	v_subrev_nc_u32_e32 v23, 28, v21
	v_lshlrev_b64_e32 v[48:49], v23, v[8:9]
	s_delay_alu instid0(VALU_DEP_1)
	v_dual_sub_nc_u32 v23, 29, v21 :: v_dual_bitop2_b32 v21, 7, v48 bitop3:0x40
; %bb.405:                              ;   in Loop: Header=BB274_301 Depth=1
	s_or_b32 exec_lo, exec_lo, s24
	s_delay_alu instid0(VALU_DEP_1) | instskip(NEXT) | instid1(VALU_DEP_2)
	v_dual_lshlrev_b32 v24, 8, v19 :: v_dual_lshlrev_b32 v21, 7, v21
	v_lshl_add_u32 v23, v23, 10, 0x2000
	s_delay_alu instid0(VALU_DEP_2) | instskip(NEXT) | instid1(VALU_DEP_2)
	v_and_b32_e32 v24, 0x8000, v24
	v_and_b32_e32 v23, 0xfc00, v23
	s_delay_alu instid0(VALU_DEP_1)
	v_or3_b32 v21, v24, v23, v21
.LBB274_406:                            ;   in Loop: Header=BB274_301 Depth=1
	s_or_b32 exec_lo, exec_lo, s23
.LBB274_407:                            ;   in Loop: Header=BB274_301 Depth=1
	s_delay_alu instid0(SALU_CYCLE_1)
	s_or_b32 exec_lo, exec_lo, s22
.LBB274_408:                            ;   in Loop: Header=BB274_301 Depth=1
	s_delay_alu instid0(SALU_CYCLE_1) | instskip(SKIP_3) | instid1(VALU_DEP_2)
	s_or_b32 exec_lo, exec_lo, s21
	v_lshrrev_b16 v8, 8, v8
	v_mov_b32_e32 v23, 0
	s_mov_b32 s21, exec_lo
	v_cmpx_ne_u16_e32 0, v8
	s_cbranch_execz .LBB274_416
; %bb.409:                              ;   in Loop: Header=BB274_301 Depth=1
	v_bfrev_b32_e32 v23, 1
	s_mov_b32 s22, exec_lo
	v_cmpx_ne_u16_e32 0x80, v8
	s_cbranch_execz .LBB274_415
; %bb.410:                              ;   in Loop: Header=BB274_301 Depth=1
	v_and_b32_e32 v24, 0xffff, v8
	v_mov_b32_e32 v23, 0x7c010000
	s_mov_b32 s23, exec_lo
	s_delay_alu instid0(VALU_DEP_2) | instskip(NEXT) | instid1(VALU_DEP_1)
	v_and_b32_e32 v40, 0x7f, v24
	v_cmpx_ne_u32_e32 0x7f, v40
	s_cbranch_execz .LBB274_414
; %bb.411:                              ;   in Loop: Header=BB274_301 Depth=1
	v_and_b32_e32 v23, 7, v24
	v_lshrrev_b32_e32 v39, 3, v40
	s_mov_b32 s24, exec_lo
	v_cmpx_gt_u32_e32 8, v40
; %bb.412:                              ;   in Loop: Header=BB274_301 Depth=1
	s_delay_alu instid0(VALU_DEP_3) | instskip(NEXT) | instid1(VALU_DEP_1)
	v_clz_i32_u32_e32 v23, v23
	v_min_u32_e32 v23, 32, v23
	s_delay_alu instid0(VALU_DEP_1) | instskip(NEXT) | instid1(VALU_DEP_1)
	v_subrev_nc_u32_e32 v39, 28, v23
	v_lshlrev_b64_e32 v[48:49], v39, v[8:9]
	s_delay_alu instid0(VALU_DEP_1)
	v_dual_sub_nc_u32 v39, 29, v23 :: v_dual_bitop2_b32 v23, 7, v48 bitop3:0x40
; %bb.413:                              ;   in Loop: Header=BB274_301 Depth=1
	s_or_b32 exec_lo, exec_lo, s24
	s_delay_alu instid0(VALU_DEP_1) | instskip(NEXT) | instid1(VALU_DEP_2)
	v_dual_lshlrev_b32 v8, 8, v24 :: v_dual_lshlrev_b32 v23, 23, v23
	v_lshl_add_u32 v24, v39, 10, 0x2000
	s_delay_alu instid0(VALU_DEP_1) | instskip(NEXT) | instid1(VALU_DEP_1)
	v_and_or_b32 v8, 0x8000, v8, v24
	v_lshl_or_b32 v23, v8, 16, v23
.LBB274_414:                            ;   in Loop: Header=BB274_301 Depth=1
	s_or_b32 exec_lo, exec_lo, s23
.LBB274_415:                            ;   in Loop: Header=BB274_301 Depth=1
	s_delay_alu instid0(SALU_CYCLE_1)
	s_or_b32 exec_lo, exec_lo, s22
.LBB274_416:                            ;   in Loop: Header=BB274_301 Depth=1
	s_delay_alu instid0(SALU_CYCLE_1) | instskip(SKIP_2) | instid1(VALU_DEP_1)
	s_or_b32 exec_lo, exec_lo, s21
	v_lshrrev_b32_e32 v8, 16, v19
	s_mov_b32 s21, exec_lo
	v_and_b32_e32 v24, 0xff, v8
	s_delay_alu instid0(VALU_DEP_1)
	v_cmpx_ne_u16_e32 0, v24
	s_cbranch_execz .LBB274_424
; %bb.417:                              ;   in Loop: Header=BB274_301 Depth=1
	v_mov_b32_e32 v22, 0x8000
	s_mov_b32 s22, exec_lo
	v_cmpx_ne_u16_e32 0x80, v24
	s_cbranch_execz .LBB274_423
; %bb.418:                              ;   in Loop: Header=BB274_301 Depth=1
	v_bfe_u32 v39, v19, 16, 7
	v_mov_b32_e32 v22, 0x7c01
	s_mov_b32 s23, exec_lo
	s_delay_alu instid0(VALU_DEP_2)
	v_cmpx_ne_u32_e32 0x7f, v39
	s_cbranch_execz .LBB274_422
; %bb.419:                              ;   in Loop: Header=BB274_301 Depth=1
	v_dual_lshrrev_b32 v24, 3, v39 :: v_dual_bitop2_b32 v22, 7, v8 bitop3:0x40
	s_mov_b32 s24, exec_lo
	v_cmpx_gt_u32_e32 8, v39
; %bb.420:                              ;   in Loop: Header=BB274_301 Depth=1
	s_delay_alu instid0(VALU_DEP_2) | instskip(NEXT) | instid1(VALU_DEP_1)
	v_clz_i32_u32_e32 v22, v22
	v_min_u32_e32 v22, 32, v22
	s_delay_alu instid0(VALU_DEP_1) | instskip(NEXT) | instid1(VALU_DEP_1)
	v_subrev_nc_u32_e32 v24, 28, v22
	v_lshlrev_b64_e32 v[48:49], v24, v[8:9]
	s_delay_alu instid0(VALU_DEP_1)
	v_dual_sub_nc_u32 v24, 29, v22 :: v_dual_bitop2_b32 v22, 7, v48 bitop3:0x40
; %bb.421:                              ;   in Loop: Header=BB274_301 Depth=1
	s_or_b32 exec_lo, exec_lo, s24
	s_delay_alu instid0(VALU_DEP_1) | instskip(NEXT) | instid1(VALU_DEP_2)
	v_dual_lshlrev_b32 v8, 8, v8 :: v_dual_lshlrev_b32 v22, 7, v22
	v_lshl_add_u32 v24, v24, 10, 0x2000
	s_delay_alu instid0(VALU_DEP_2) | instskip(NEXT) | instid1(VALU_DEP_2)
	v_and_b32_e32 v8, 0x8000, v8
	v_and_b32_e32 v24, 0xfc00, v24
	s_delay_alu instid0(VALU_DEP_1)
	v_or3_b32 v22, v8, v24, v22
.LBB274_422:                            ;   in Loop: Header=BB274_301 Depth=1
	s_or_b32 exec_lo, exec_lo, s23
.LBB274_423:                            ;   in Loop: Header=BB274_301 Depth=1
	s_delay_alu instid0(SALU_CYCLE_1)
	s_or_b32 exec_lo, exec_lo, s22
.LBB274_424:                            ;   in Loop: Header=BB274_301 Depth=1
	s_delay_alu instid0(SALU_CYCLE_1)
	s_or_b32 exec_lo, exec_lo, s21
	v_cmp_lt_u64_e64 s0, s[4:5], v[18:19]
	v_mov_b32_e32 v18, 0
	s_and_saveexec_b32 s21, s0
	s_cbranch_execz .LBB274_432
; %bb.425:                              ;   in Loop: Header=BB274_301 Depth=1
	v_lshrrev_b32_e32 v8, 24, v19
	v_bfrev_b32_e32 v18, 1
	s_mov_b32 s22, exec_lo
	s_delay_alu instid0(VALU_DEP_2)
	v_cmpx_ne_u32_e32 0x80, v8
	s_cbranch_execz .LBB274_431
; %bb.426:                              ;   in Loop: Header=BB274_301 Depth=1
	v_and_b32_e32 v24, 0x7f, v8
	v_mov_b32_e32 v18, 0x7c010000
	s_mov_b32 s23, exec_lo
	s_delay_alu instid0(VALU_DEP_2)
	v_cmpx_ne_u32_e32 0x7f, v24
	s_cbranch_execz .LBB274_430
; %bb.427:                              ;   in Loop: Header=BB274_301 Depth=1
	v_and_b32_e32 v18, 7, v8
	v_lshrrev_b32_e32 v19, 3, v24
	s_mov_b32 s24, exec_lo
	v_cmpx_gt_u32_e32 8, v24
; %bb.428:                              ;   in Loop: Header=BB274_301 Depth=1
	s_delay_alu instid0(VALU_DEP_3) | instskip(NEXT) | instid1(VALU_DEP_1)
	v_clz_i32_u32_e32 v18, v18
	v_min_u32_e32 v24, 32, v18
	s_delay_alu instid0(VALU_DEP_1) | instskip(NEXT) | instid1(VALU_DEP_1)
	v_subrev_nc_u32_e32 v18, 28, v24
	v_lshlrev_b64_e32 v[18:19], v18, v[8:9]
	s_delay_alu instid0(VALU_DEP_1)
	v_dual_sub_nc_u32 v19, 29, v24 :: v_dual_bitop2_b32 v18, 7, v18 bitop3:0x40
; %bb.429:                              ;   in Loop: Header=BB274_301 Depth=1
	s_or_b32 exec_lo, exec_lo, s24
	s_delay_alu instid0(VALU_DEP_1) | instskip(NEXT) | instid1(VALU_DEP_2)
	v_dual_lshlrev_b32 v8, 8, v8 :: v_dual_lshlrev_b32 v18, 23, v18
	v_lshl_add_u32 v19, v19, 10, 0x2000
	s_delay_alu instid0(VALU_DEP_1) | instskip(NEXT) | instid1(VALU_DEP_1)
	v_and_or_b32 v8, 0x8000, v8, v19
	v_lshl_or_b32 v18, v8, 16, v18
.LBB274_430:                            ;   in Loop: Header=BB274_301 Depth=1
	s_or_b32 exec_lo, exec_lo, s23
.LBB274_431:                            ;   in Loop: Header=BB274_301 Depth=1
	s_delay_alu instid0(SALU_CYCLE_1)
	s_or_b32 exec_lo, exec_lo, s22
.LBB274_432:                            ;   in Loop: Header=BB274_301 Depth=1
	s_delay_alu instid0(SALU_CYCLE_1) | instskip(SKIP_3) | instid1(VALU_DEP_3)
	s_or_b32 exec_lo, exec_lo, s21
	v_dual_lshrrev_b32 v8, 16, v1 :: v_dual_bitop2_b32 v1, v1, v7 bitop3:0x54
	v_dual_lshrrev_b32 v19, 16, v17 :: v_dual_bitop2_b32 v7, v17, v20 bitop3:0x54
	v_lshrrev_b32_e32 v20, 16, v18
	v_cvt_f32_f16_e32 v49, v8
	v_dual_lshrrev_b32 v17, 16, v23 :: v_dual_bitop2_b32 v8, v18, v22 bitop3:0x54
	s_delay_alu instid0(VALU_DEP_4)
	v_cvt_f32_f16_e32 v48, v19
	v_cvt_f32_f16_e32 v18, v7
	v_or_b32_e32 v7, v23, v21
	v_cvt_f32_f16_e32 v19, v1
	v_cvt_f32_f16_e32 v21, v17
	s_wait_loadcnt 0x0
	v_pk_mul_f32 v[48:49], v[16:17], v[48:49] op_sel_hi:[0,1]
	v_cvt_f32_f16_e32 v20, v20
	v_cvt_f32_f16_e32 v22, v8
	;; [unrolled: 1-line block ×3, first 2 shown]
	v_pk_mul_f32 v[18:19], v[16:17], v[18:19] op_sel_hi:[0,1]
	v_cvt_pk_f16_f32 v1, v48, v49
	v_pk_mul_f32 v[20:21], v[16:17], v[20:21] op_sel_hi:[0,1]
	s_delay_alu instid0(VALU_DEP_4) | instskip(NEXT) | instid1(VALU_DEP_4)
	v_pk_mul_f32 v[22:23], v[16:17], v[22:23] op_sel_hi:[0,1]
	v_cvt_pk_f16_f32 v7, v18, v19
	s_delay_alu instid0(VALU_DEP_4) | instskip(NEXT) | instid1(VALU_DEP_4)
	v_and_b32_e32 v17, 0xffff0000, v1
	v_cvt_pk_f16_f32 v8, v20, v21
	v_lshlrev_b32_e32 v18, 16, v1
	v_cvt_pk_f16_f32 v16, v22, v23
	v_lshrrev_b32_e32 v23, 16, v7
	v_and_b32_e32 v24, 0xffff, v7
	v_and_b32_e32 v1, 0xffff0000, v8
	s_delay_alu instid0(VALU_DEP_3) | instskip(SKIP_3) | instid1(VALU_DEP_2)
	v_dual_lshlrev_b32 v8, 16, v8 :: v_dual_bitop2_b32 v21, v17, v23 bitop3:0x54
	v_lshrrev_b32_e32 v7, 16, v16
	v_and_b32_e32 v16, 0xffff, v16
	v_or_b32_e32 v22, v18, v24
	v_or_b32_e32 v20, v8, v16
	s_delay_alu instid0(VALU_DEP_4)
	v_or_b32_e32 v19, v1, v7
	s_and_saveexec_b32 s21, vcc_lo
	s_cbranch_execz .LBB274_434
; %bb.433:                              ;   in Loop: Header=BB274_301 Depth=1
	v_cmp_gt_i32_e64 s0, s14, v31
	s_delay_alu instid0(VALU_DEP_1) | instskip(SKIP_1) | instid1(VALU_DEP_1)
	v_cndmask_b32_e64 v19, 0, v23, s0
	v_cmp_gt_i32_e64 s0, s34, v38
	v_cndmask_b32_e64 v20, 0, v24, s0
	v_cmp_gt_i32_e64 s0, s14, v37
	s_delay_alu instid0(VALU_DEP_1) | instskip(SKIP_1) | instid1(VALU_DEP_1)
	v_cndmask_b32_e64 v17, 0, v17, s0
	v_cmp_gt_i32_e64 s0, s34, v36
	v_cndmask_b32_e64 v18, 0, v18, s0
	v_cmp_gt_i32_e64 s0, s14, v35
	s_delay_alu instid0(VALU_DEP_4) | instskip(NEXT) | instid1(VALU_DEP_2)
	v_or_b32_e32 v21, v17, v19
	v_dual_cndmask_b32 v7, 0, v7, s0 :: v_dual_bitop2_b32 v22, v18, v20 bitop3:0x54
	v_cmp_gt_i32_e64 s0, s34, v34
	s_delay_alu instid0(VALU_DEP_1) | instskip(SKIP_1) | instid1(VALU_DEP_1)
	v_cndmask_b32_e64 v16, 0, v16, s0
	v_cmp_gt_i32_e64 s0, s14, v33
	v_cndmask_b32_e64 v1, 0, v1, s0
	v_cmp_gt_i32_e64 s0, s34, v32
	s_delay_alu instid0(VALU_DEP_1) | instskip(NEXT) | instid1(VALU_DEP_1)
	v_dual_cndmask_b32 v8, 0, v8, s0 :: v_dual_bitop2_b32 v19, v1, v7 bitop3:0x54
	v_or_b32_e32 v20, v8, v16
.LBB274_434:                            ;   in Loop: Header=BB274_301 Depth=1
	s_or_b32 exec_lo, exec_lo, s21
	;;#ASMSTART
	v_pk_mul_f16 v1, v45, v21;

	;;#ASMEND
	;;#ASMSTART
	v_pk_mul_f16 v7, v43, v22;

	;;#ASMEND
	;; [unrolled: 4-line block ×4, first 2 shown]
	;;#ASMSTART
	v_pk_add_f16 v1, v1, v7;

	;;#ASMEND
	;;#ASMSTART
	v_pk_add_f16 v1, v1, v8;

	;;#ASMEND
	;;#ASMSTART
	v_pk_add_f16 v1, v1, v16;

	;;#ASMEND
	v_and_b32_e32 v7, 0xffff, v1
	v_lshrrev_b32_e32 v1, 16, v1
	;;#ASMSTART
	v_cvt_f32_f16 v47, v7;
	;;#ASMEND
	v_mov_b32_e32 v7, 0
	;;#ASMSTART
	v_cvt_f32_f16 v48, v1;
	;;#ASMEND
	global_load_b64 v[18:19], v[14:15], off offset:512
	v_mov_b32_e32 v1, 0
	s_mov_b32 s21, exec_lo
	global_load_b32 v16, v1, s[10:11]
	s_wait_loadcnt 0x1
	v_and_b32_e32 v8, 0xff, v18
	s_wait_xcnt 0x0
	s_delay_alu instid0(VALU_DEP_1)
	v_cmpx_ne_u16_e32 0, v8
	s_cbranch_execz .LBB274_442
; %bb.435:                              ;   in Loop: Header=BB274_301 Depth=1
	v_mov_b32_e32 v7, 0x8000
	s_mov_b32 s22, exec_lo
	v_cmpx_ne_u16_e32 0x80, v8
	s_cbranch_execz .LBB274_441
; %bb.436:                              ;   in Loop: Header=BB274_301 Depth=1
	v_and_b32_e32 v17, 0x7f, v18
	v_mov_b32_e32 v7, 0x7c01
	s_mov_b32 s23, exec_lo
	s_delay_alu instid0(VALU_DEP_2)
	v_cmpx_ne_u32_e32 0x7f, v17
	s_cbranch_execz .LBB274_440
; %bb.437:                              ;   in Loop: Header=BB274_301 Depth=1
	v_dual_lshrrev_b32 v8, 3, v17 :: v_dual_bitop2_b32 v7, 7, v18 bitop3:0x40
	s_mov_b32 s24, exec_lo
	v_cmpx_gt_u32_e32 8, v17
; %bb.438:                              ;   in Loop: Header=BB274_301 Depth=1
	s_delay_alu instid0(VALU_DEP_2) | instskip(NEXT) | instid1(VALU_DEP_1)
	v_clz_i32_u32_e32 v7, v7
	v_min_u32_e32 v7, 32, v7
	s_delay_alu instid0(VALU_DEP_1) | instskip(NEXT) | instid1(VALU_DEP_1)
	v_subrev_nc_u32_e32 v8, 28, v7
	v_lshlrev_b64_e32 v[20:21], v8, v[18:19]
	s_delay_alu instid0(VALU_DEP_1)
	v_dual_sub_nc_u32 v8, 29, v7 :: v_dual_bitop2_b32 v7, 7, v20 bitop3:0x40
; %bb.439:                              ;   in Loop: Header=BB274_301 Depth=1
	s_or_b32 exec_lo, exec_lo, s24
	s_delay_alu instid0(VALU_DEP_1) | instskip(NEXT) | instid1(VALU_DEP_2)
	v_dual_lshlrev_b32 v17, 8, v18 :: v_dual_lshlrev_b32 v7, 7, v7
	v_lshl_add_u32 v8, v8, 10, 0x2000
	s_delay_alu instid0(VALU_DEP_2) | instskip(NEXT) | instid1(VALU_DEP_2)
	v_and_b32_e32 v17, 0x8000, v17
	v_and_b32_e32 v8, 0xfc00, v8
	s_delay_alu instid0(VALU_DEP_1)
	v_or3_b32 v7, v17, v8, v7
.LBB274_440:                            ;   in Loop: Header=BB274_301 Depth=1
	s_or_b32 exec_lo, exec_lo, s23
.LBB274_441:                            ;   in Loop: Header=BB274_301 Depth=1
	s_delay_alu instid0(SALU_CYCLE_1)
	s_or_b32 exec_lo, exec_lo, s22
.LBB274_442:                            ;   in Loop: Header=BB274_301 Depth=1
	s_delay_alu instid0(SALU_CYCLE_1) | instskip(SKIP_2) | instid1(VALU_DEP_1)
	s_or_b32 exec_lo, exec_lo, s21
	v_lshrrev_b16 v8, 8, v18
	s_mov_b32 s21, exec_lo
	v_cmpx_ne_u16_e32 0, v8
	s_cbranch_execz .LBB274_450
; %bb.443:                              ;   in Loop: Header=BB274_301 Depth=1
	v_bfrev_b32_e32 v1, 1
	s_mov_b32 s22, exec_lo
	v_cmpx_ne_u16_e32 0x80, v8
	s_cbranch_execz .LBB274_449
; %bb.444:                              ;   in Loop: Header=BB274_301 Depth=1
	v_and_b32_e32 v17, 0xffff, v8
	v_mov_b32_e32 v1, 0x7c010000
	s_mov_b32 s23, exec_lo
	s_delay_alu instid0(VALU_DEP_2) | instskip(NEXT) | instid1(VALU_DEP_1)
	v_and_b32_e32 v21, 0x7f, v17
	v_cmpx_ne_u32_e32 0x7f, v21
	s_cbranch_execz .LBB274_448
; %bb.445:                              ;   in Loop: Header=BB274_301 Depth=1
	v_and_b32_e32 v1, 7, v17
	v_lshrrev_b32_e32 v20, 3, v21
	s_mov_b32 s24, exec_lo
	v_cmpx_gt_u32_e32 8, v21
; %bb.446:                              ;   in Loop: Header=BB274_301 Depth=1
	s_delay_alu instid0(VALU_DEP_3) | instskip(NEXT) | instid1(VALU_DEP_1)
	v_clz_i32_u32_e32 v1, v1
	v_min_u32_e32 v1, 32, v1
	s_delay_alu instid0(VALU_DEP_1) | instskip(NEXT) | instid1(VALU_DEP_1)
	v_subrev_nc_u32_e32 v20, 28, v1
	v_lshlrev_b64_e32 v[22:23], v20, v[8:9]
	s_delay_alu instid0(VALU_DEP_1)
	v_dual_sub_nc_u32 v20, 29, v1 :: v_dual_bitop2_b32 v1, 7, v22 bitop3:0x40
; %bb.447:                              ;   in Loop: Header=BB274_301 Depth=1
	s_or_b32 exec_lo, exec_lo, s24
	v_lshlrev_b32_e32 v8, 8, v17
	s_delay_alu instid0(VALU_DEP_2) | instskip(NEXT) | instid1(VALU_DEP_3)
	v_lshl_add_u32 v17, v20, 10, 0x2000
	v_lshlrev_b32_e32 v1, 23, v1
	s_delay_alu instid0(VALU_DEP_2) | instskip(NEXT) | instid1(VALU_DEP_1)
	v_and_or_b32 v8, 0x8000, v8, v17
	v_lshl_or_b32 v1, v8, 16, v1
.LBB274_448:                            ;   in Loop: Header=BB274_301 Depth=1
	s_or_b32 exec_lo, exec_lo, s23
.LBB274_449:                            ;   in Loop: Header=BB274_301 Depth=1
	s_delay_alu instid0(SALU_CYCLE_1)
	s_or_b32 exec_lo, exec_lo, s22
.LBB274_450:                            ;   in Loop: Header=BB274_301 Depth=1
	s_delay_alu instid0(SALU_CYCLE_1) | instskip(SKIP_3) | instid1(VALU_DEP_2)
	s_or_b32 exec_lo, exec_lo, s21
	v_dual_mov_b32 v17, 0 :: v_dual_lshrrev_b32 v8, 16, v18
	v_mov_b32_e32 v20, 0
	s_mov_b32 s21, exec_lo
	v_and_b32_e32 v21, 0xff, v8
	s_delay_alu instid0(VALU_DEP_1)
	v_cmpx_ne_u16_e32 0, v21
	s_cbranch_execz .LBB274_458
; %bb.451:                              ;   in Loop: Header=BB274_301 Depth=1
	v_mov_b32_e32 v20, 0x8000
	s_mov_b32 s22, exec_lo
	v_cmpx_ne_u16_e32 0x80, v21
	s_cbranch_execz .LBB274_457
; %bb.452:                              ;   in Loop: Header=BB274_301 Depth=1
	v_bfe_u32 v22, v18, 16, 7
	v_mov_b32_e32 v20, 0x7c01
	s_mov_b32 s23, exec_lo
	s_delay_alu instid0(VALU_DEP_2)
	v_cmpx_ne_u32_e32 0x7f, v22
	s_cbranch_execz .LBB274_456
; %bb.453:                              ;   in Loop: Header=BB274_301 Depth=1
	v_dual_lshrrev_b32 v21, 3, v22 :: v_dual_bitop2_b32 v20, 7, v8 bitop3:0x40
	s_mov_b32 s24, exec_lo
	v_cmpx_gt_u32_e32 8, v22
; %bb.454:                              ;   in Loop: Header=BB274_301 Depth=1
	s_delay_alu instid0(VALU_DEP_2) | instskip(NEXT) | instid1(VALU_DEP_1)
	v_clz_i32_u32_e32 v20, v20
	v_min_u32_e32 v22, 32, v20
	s_delay_alu instid0(VALU_DEP_1) | instskip(NEXT) | instid1(VALU_DEP_1)
	v_subrev_nc_u32_e32 v20, 28, v22
	v_lshlrev_b64_e32 v[20:21], v20, v[8:9]
	s_delay_alu instid0(VALU_DEP_1)
	v_dual_sub_nc_u32 v21, 29, v22 :: v_dual_bitop2_b32 v20, 7, v20 bitop3:0x40
; %bb.455:                              ;   in Loop: Header=BB274_301 Depth=1
	s_or_b32 exec_lo, exec_lo, s24
	v_lshlrev_b32_e32 v8, 8, v8
	s_delay_alu instid0(VALU_DEP_2) | instskip(NEXT) | instid1(VALU_DEP_3)
	v_lshl_add_u32 v21, v21, 10, 0x2000
	v_lshlrev_b32_e32 v20, 7, v20
	s_delay_alu instid0(VALU_DEP_3) | instskip(NEXT) | instid1(VALU_DEP_3)
	v_and_b32_e32 v8, 0x8000, v8
	v_and_b32_e32 v21, 0xfc00, v21
	s_delay_alu instid0(VALU_DEP_1)
	v_or3_b32 v20, v8, v21, v20
.LBB274_456:                            ;   in Loop: Header=BB274_301 Depth=1
	s_or_b32 exec_lo, exec_lo, s23
.LBB274_457:                            ;   in Loop: Header=BB274_301 Depth=1
	s_delay_alu instid0(SALU_CYCLE_1)
	s_or_b32 exec_lo, exec_lo, s22
.LBB274_458:                            ;   in Loop: Header=BB274_301 Depth=1
	s_delay_alu instid0(SALU_CYCLE_1) | instskip(NEXT) | instid1(SALU_CYCLE_1)
	s_or_b32 exec_lo, exec_lo, s21
	s_mov_b32 s21, exec_lo
	v_cmpx_lt_u32_e32 0xffffff, v18
	s_cbranch_execz .LBB274_466
; %bb.459:                              ;   in Loop: Header=BB274_301 Depth=1
	v_lshrrev_b32_e32 v8, 24, v18
	v_bfrev_b32_e32 v17, 1
	s_mov_b32 s22, exec_lo
	s_delay_alu instid0(VALU_DEP_2)
	v_cmpx_ne_u32_e32 0x80, v8
	s_cbranch_execz .LBB274_465
; %bb.460:                              ;   in Loop: Header=BB274_301 Depth=1
	v_and_b32_e32 v22, 0x7f, v8
	v_mov_b32_e32 v17, 0x7c010000
	s_mov_b32 s23, exec_lo
	s_delay_alu instid0(VALU_DEP_2)
	v_cmpx_ne_u32_e32 0x7f, v22
	s_cbranch_execz .LBB274_464
; %bb.461:                              ;   in Loop: Header=BB274_301 Depth=1
	v_dual_lshrrev_b32 v21, 3, v22 :: v_dual_bitop2_b32 v17, 7, v8 bitop3:0x40
	s_mov_b32 s24, exec_lo
	v_cmpx_gt_u32_e32 8, v22
; %bb.462:                              ;   in Loop: Header=BB274_301 Depth=1
	s_delay_alu instid0(VALU_DEP_2) | instskip(NEXT) | instid1(VALU_DEP_1)
	v_clz_i32_u32_e32 v17, v17
	v_min_u32_e32 v17, 32, v17
	s_delay_alu instid0(VALU_DEP_1) | instskip(NEXT) | instid1(VALU_DEP_1)
	v_subrev_nc_u32_e32 v21, 28, v17
	v_lshlrev_b64_e32 v[22:23], v21, v[8:9]
	s_delay_alu instid0(VALU_DEP_1)
	v_dual_sub_nc_u32 v21, 29, v17 :: v_dual_bitop2_b32 v17, 7, v22 bitop3:0x40
; %bb.463:                              ;   in Loop: Header=BB274_301 Depth=1
	s_or_b32 exec_lo, exec_lo, s24
	s_delay_alu instid0(VALU_DEP_1) | instskip(NEXT) | instid1(VALU_DEP_2)
	v_dual_lshlrev_b32 v8, 8, v8 :: v_dual_lshlrev_b32 v17, 23, v17
	v_lshl_add_u32 v21, v21, 10, 0x2000
	s_delay_alu instid0(VALU_DEP_1) | instskip(NEXT) | instid1(VALU_DEP_1)
	v_and_or_b32 v8, 0x8000, v8, v21
	v_lshl_or_b32 v17, v8, 16, v17
.LBB274_464:                            ;   in Loop: Header=BB274_301 Depth=1
	s_or_b32 exec_lo, exec_lo, s23
.LBB274_465:                            ;   in Loop: Header=BB274_301 Depth=1
	s_delay_alu instid0(SALU_CYCLE_1)
	s_or_b32 exec_lo, exec_lo, s22
.LBB274_466:                            ;   in Loop: Header=BB274_301 Depth=1
	s_delay_alu instid0(SALU_CYCLE_1) | instskip(SKIP_4) | instid1(VALU_DEP_3)
	s_or_b32 exec_lo, exec_lo, s21
	v_and_b32_e32 v23, 0xff, v19
	v_dual_mov_b32 v8, v19 :: v_dual_mov_b32 v22, 0
	v_mov_b32_e32 v21, 0
	s_mov_b32 s21, exec_lo
	v_cmpx_ne_u16_e32 0, v23
	s_cbranch_execz .LBB274_474
; %bb.467:                              ;   in Loop: Header=BB274_301 Depth=1
	v_mov_b32_e32 v21, 0x8000
	s_mov_b32 s22, exec_lo
	v_cmpx_ne_u16_e32 0x80, v23
	s_cbranch_execz .LBB274_473
; %bb.468:                              ;   in Loop: Header=BB274_301 Depth=1
	v_and_b32_e32 v24, 0x7f, v19
	v_mov_b32_e32 v21, 0x7c01
	s_mov_b32 s23, exec_lo
	s_delay_alu instid0(VALU_DEP_2)
	v_cmpx_ne_u32_e32 0x7f, v24
	s_cbranch_execz .LBB274_472
; %bb.469:                              ;   in Loop: Header=BB274_301 Depth=1
	v_dual_lshrrev_b32 v23, 3, v24 :: v_dual_bitop2_b32 v21, 7, v19 bitop3:0x40
	s_mov_b32 s24, exec_lo
	v_cmpx_gt_u32_e32 8, v24
; %bb.470:                              ;   in Loop: Header=BB274_301 Depth=1
	s_delay_alu instid0(VALU_DEP_2) | instskip(NEXT) | instid1(VALU_DEP_1)
	v_clz_i32_u32_e32 v21, v21
	v_min_u32_e32 v21, 32, v21
	s_delay_alu instid0(VALU_DEP_1) | instskip(NEXT) | instid1(VALU_DEP_1)
	v_subrev_nc_u32_e32 v23, 28, v21
	v_lshlrev_b64_e32 v[50:51], v23, v[8:9]
	s_delay_alu instid0(VALU_DEP_1)
	v_dual_sub_nc_u32 v23, 29, v21 :: v_dual_bitop2_b32 v21, 7, v50 bitop3:0x40
; %bb.471:                              ;   in Loop: Header=BB274_301 Depth=1
	s_or_b32 exec_lo, exec_lo, s24
	s_delay_alu instid0(VALU_DEP_1) | instskip(NEXT) | instid1(VALU_DEP_2)
	v_dual_lshlrev_b32 v24, 8, v19 :: v_dual_lshlrev_b32 v21, 7, v21
	v_lshl_add_u32 v23, v23, 10, 0x2000
	s_delay_alu instid0(VALU_DEP_2) | instskip(NEXT) | instid1(VALU_DEP_2)
	v_and_b32_e32 v24, 0x8000, v24
	v_and_b32_e32 v23, 0xfc00, v23
	s_delay_alu instid0(VALU_DEP_1)
	v_or3_b32 v21, v24, v23, v21
.LBB274_472:                            ;   in Loop: Header=BB274_301 Depth=1
	s_or_b32 exec_lo, exec_lo, s23
.LBB274_473:                            ;   in Loop: Header=BB274_301 Depth=1
	s_delay_alu instid0(SALU_CYCLE_1)
	s_or_b32 exec_lo, exec_lo, s22
.LBB274_474:                            ;   in Loop: Header=BB274_301 Depth=1
	s_delay_alu instid0(SALU_CYCLE_1) | instskip(SKIP_3) | instid1(VALU_DEP_2)
	s_or_b32 exec_lo, exec_lo, s21
	v_lshrrev_b16 v8, 8, v8
	v_mov_b32_e32 v23, 0
	s_mov_b32 s21, exec_lo
	v_cmpx_ne_u16_e32 0, v8
	s_cbranch_execz .LBB274_482
; %bb.475:                              ;   in Loop: Header=BB274_301 Depth=1
	v_bfrev_b32_e32 v23, 1
	s_mov_b32 s22, exec_lo
	v_cmpx_ne_u16_e32 0x80, v8
	s_cbranch_execz .LBB274_481
; %bb.476:                              ;   in Loop: Header=BB274_301 Depth=1
	v_and_b32_e32 v24, 0xffff, v8
	v_mov_b32_e32 v23, 0x7c010000
	s_mov_b32 s23, exec_lo
	s_delay_alu instid0(VALU_DEP_2) | instskip(NEXT) | instid1(VALU_DEP_1)
	v_and_b32_e32 v40, 0x7f, v24
	v_cmpx_ne_u32_e32 0x7f, v40
	s_cbranch_execz .LBB274_480
; %bb.477:                              ;   in Loop: Header=BB274_301 Depth=1
	v_and_b32_e32 v23, 7, v24
	v_lshrrev_b32_e32 v39, 3, v40
	s_mov_b32 s24, exec_lo
	v_cmpx_gt_u32_e32 8, v40
; %bb.478:                              ;   in Loop: Header=BB274_301 Depth=1
	s_delay_alu instid0(VALU_DEP_3) | instskip(NEXT) | instid1(VALU_DEP_1)
	v_clz_i32_u32_e32 v23, v23
	v_min_u32_e32 v23, 32, v23
	s_delay_alu instid0(VALU_DEP_1) | instskip(NEXT) | instid1(VALU_DEP_1)
	v_subrev_nc_u32_e32 v39, 28, v23
	v_lshlrev_b64_e32 v[50:51], v39, v[8:9]
	s_delay_alu instid0(VALU_DEP_1)
	v_dual_sub_nc_u32 v39, 29, v23 :: v_dual_bitop2_b32 v23, 7, v50 bitop3:0x40
; %bb.479:                              ;   in Loop: Header=BB274_301 Depth=1
	s_or_b32 exec_lo, exec_lo, s24
	s_delay_alu instid0(VALU_DEP_1) | instskip(NEXT) | instid1(VALU_DEP_2)
	v_dual_lshlrev_b32 v8, 8, v24 :: v_dual_lshlrev_b32 v23, 23, v23
	v_lshl_add_u32 v24, v39, 10, 0x2000
	s_delay_alu instid0(VALU_DEP_1) | instskip(NEXT) | instid1(VALU_DEP_1)
	v_and_or_b32 v8, 0x8000, v8, v24
	v_lshl_or_b32 v23, v8, 16, v23
.LBB274_480:                            ;   in Loop: Header=BB274_301 Depth=1
	s_or_b32 exec_lo, exec_lo, s23
.LBB274_481:                            ;   in Loop: Header=BB274_301 Depth=1
	s_delay_alu instid0(SALU_CYCLE_1)
	s_or_b32 exec_lo, exec_lo, s22
.LBB274_482:                            ;   in Loop: Header=BB274_301 Depth=1
	s_delay_alu instid0(SALU_CYCLE_1) | instskip(SKIP_2) | instid1(VALU_DEP_1)
	s_or_b32 exec_lo, exec_lo, s21
	v_lshrrev_b32_e32 v8, 16, v19
	s_mov_b32 s21, exec_lo
	v_and_b32_e32 v24, 0xff, v8
	s_delay_alu instid0(VALU_DEP_1)
	v_cmpx_ne_u16_e32 0, v24
	s_cbranch_execz .LBB274_490
; %bb.483:                              ;   in Loop: Header=BB274_301 Depth=1
	v_mov_b32_e32 v22, 0x8000
	s_mov_b32 s22, exec_lo
	v_cmpx_ne_u16_e32 0x80, v24
	s_cbranch_execz .LBB274_489
; %bb.484:                              ;   in Loop: Header=BB274_301 Depth=1
	v_bfe_u32 v39, v19, 16, 7
	v_mov_b32_e32 v22, 0x7c01
	s_mov_b32 s23, exec_lo
	s_delay_alu instid0(VALU_DEP_2)
	v_cmpx_ne_u32_e32 0x7f, v39
	s_cbranch_execz .LBB274_488
; %bb.485:                              ;   in Loop: Header=BB274_301 Depth=1
	v_dual_lshrrev_b32 v24, 3, v39 :: v_dual_bitop2_b32 v22, 7, v8 bitop3:0x40
	s_mov_b32 s24, exec_lo
	v_cmpx_gt_u32_e32 8, v39
; %bb.486:                              ;   in Loop: Header=BB274_301 Depth=1
	s_delay_alu instid0(VALU_DEP_2) | instskip(NEXT) | instid1(VALU_DEP_1)
	v_clz_i32_u32_e32 v22, v22
	v_min_u32_e32 v22, 32, v22
	s_delay_alu instid0(VALU_DEP_1) | instskip(NEXT) | instid1(VALU_DEP_1)
	v_subrev_nc_u32_e32 v24, 28, v22
	v_lshlrev_b64_e32 v[50:51], v24, v[8:9]
	v_sub_nc_u32_e32 v24, 29, v22
	s_delay_alu instid0(VALU_DEP_2)
	v_and_b32_e32 v22, 7, v50
; %bb.487:                              ;   in Loop: Header=BB274_301 Depth=1
	s_or_b32 exec_lo, exec_lo, s24
	s_delay_alu instid0(VALU_DEP_1) | instskip(NEXT) | instid1(VALU_DEP_3)
	v_dual_lshlrev_b32 v8, 8, v8 :: v_dual_lshlrev_b32 v22, 7, v22
	v_lshl_add_u32 v24, v24, 10, 0x2000
	s_delay_alu instid0(VALU_DEP_2) | instskip(NEXT) | instid1(VALU_DEP_2)
	v_and_b32_e32 v8, 0x8000, v8
	v_and_b32_e32 v24, 0xfc00, v24
	s_delay_alu instid0(VALU_DEP_1)
	v_or3_b32 v22, v8, v24, v22
.LBB274_488:                            ;   in Loop: Header=BB274_301 Depth=1
	s_or_b32 exec_lo, exec_lo, s23
.LBB274_489:                            ;   in Loop: Header=BB274_301 Depth=1
	s_delay_alu instid0(SALU_CYCLE_1)
	s_or_b32 exec_lo, exec_lo, s22
.LBB274_490:                            ;   in Loop: Header=BB274_301 Depth=1
	s_delay_alu instid0(SALU_CYCLE_1)
	s_or_b32 exec_lo, exec_lo, s21
	v_cmp_lt_u64_e64 s0, s[4:5], v[18:19]
	v_mov_b32_e32 v18, 0
	s_and_saveexec_b32 s21, s0
	s_cbranch_execz .LBB274_498
; %bb.491:                              ;   in Loop: Header=BB274_301 Depth=1
	v_lshrrev_b32_e32 v8, 24, v19
	v_bfrev_b32_e32 v18, 1
	s_mov_b32 s22, exec_lo
	s_delay_alu instid0(VALU_DEP_2)
	v_cmpx_ne_u32_e32 0x80, v8
	s_cbranch_execz .LBB274_497
; %bb.492:                              ;   in Loop: Header=BB274_301 Depth=1
	v_and_b32_e32 v24, 0x7f, v8
	v_mov_b32_e32 v18, 0x7c010000
	s_mov_b32 s23, exec_lo
	s_delay_alu instid0(VALU_DEP_2)
	v_cmpx_ne_u32_e32 0x7f, v24
	s_cbranch_execz .LBB274_496
; %bb.493:                              ;   in Loop: Header=BB274_301 Depth=1
	v_and_b32_e32 v18, 7, v8
	v_lshrrev_b32_e32 v19, 3, v24
	s_mov_b32 s24, exec_lo
	v_cmpx_gt_u32_e32 8, v24
; %bb.494:                              ;   in Loop: Header=BB274_301 Depth=1
	s_delay_alu instid0(VALU_DEP_3) | instskip(NEXT) | instid1(VALU_DEP_1)
	v_clz_i32_u32_e32 v18, v18
	v_min_u32_e32 v24, 32, v18
	s_delay_alu instid0(VALU_DEP_1) | instskip(NEXT) | instid1(VALU_DEP_1)
	v_subrev_nc_u32_e32 v18, 28, v24
	v_lshlrev_b64_e32 v[18:19], v18, v[8:9]
	s_delay_alu instid0(VALU_DEP_1)
	v_dual_sub_nc_u32 v19, 29, v24 :: v_dual_bitop2_b32 v18, 7, v18 bitop3:0x40
; %bb.495:                              ;   in Loop: Header=BB274_301 Depth=1
	s_or_b32 exec_lo, exec_lo, s24
	s_delay_alu instid0(VALU_DEP_1) | instskip(NEXT) | instid1(VALU_DEP_2)
	v_dual_lshlrev_b32 v8, 8, v8 :: v_dual_lshlrev_b32 v18, 23, v18
	v_lshl_add_u32 v19, v19, 10, 0x2000
	s_delay_alu instid0(VALU_DEP_1) | instskip(NEXT) | instid1(VALU_DEP_1)
	v_and_or_b32 v8, 0x8000, v8, v19
	v_lshl_or_b32 v18, v8, 16, v18
.LBB274_496:                            ;   in Loop: Header=BB274_301 Depth=1
	s_or_b32 exec_lo, exec_lo, s23
.LBB274_497:                            ;   in Loop: Header=BB274_301 Depth=1
	s_delay_alu instid0(SALU_CYCLE_1)
	s_or_b32 exec_lo, exec_lo, s22
.LBB274_498:                            ;   in Loop: Header=BB274_301 Depth=1
	s_delay_alu instid0(SALU_CYCLE_1) | instskip(SKIP_3) | instid1(VALU_DEP_3)
	s_or_b32 exec_lo, exec_lo, s21
	v_dual_lshrrev_b32 v8, 16, v1 :: v_dual_bitop2_b32 v1, v1, v7 bitop3:0x54
	v_dual_lshrrev_b32 v19, 16, v17 :: v_dual_bitop2_b32 v7, v17, v20 bitop3:0x54
	v_lshrrev_b32_e32 v20, 16, v18
	v_cvt_f32_f16_e32 v51, v8
	v_dual_lshrrev_b32 v17, 16, v23 :: v_dual_bitop2_b32 v8, v18, v22 bitop3:0x54
	s_delay_alu instid0(VALU_DEP_4)
	v_cvt_f32_f16_e32 v50, v19
	v_cvt_f32_f16_e32 v18, v7
	v_or_b32_e32 v7, v23, v21
	v_cvt_f32_f16_e32 v19, v1
	v_cvt_f32_f16_e32 v21, v17
	s_wait_loadcnt 0x0
	v_pk_mul_f32 v[50:51], v[16:17], v[50:51] op_sel_hi:[0,1]
	v_cvt_f32_f16_e32 v20, v20
	v_cvt_f32_f16_e32 v22, v8
	;; [unrolled: 1-line block ×3, first 2 shown]
	v_pk_mul_f32 v[18:19], v[16:17], v[18:19] op_sel_hi:[0,1]
	v_cvt_pk_f16_f32 v1, v50, v51
	v_pk_mul_f32 v[20:21], v[16:17], v[20:21] op_sel_hi:[0,1]
	s_delay_alu instid0(VALU_DEP_4) | instskip(NEXT) | instid1(VALU_DEP_4)
	v_pk_mul_f32 v[22:23], v[16:17], v[22:23] op_sel_hi:[0,1]
	v_cvt_pk_f16_f32 v7, v18, v19
	s_delay_alu instid0(VALU_DEP_4) | instskip(NEXT) | instid1(VALU_DEP_4)
	v_and_b32_e32 v17, 0xffff0000, v1
	v_cvt_pk_f16_f32 v8, v20, v21
	v_lshlrev_b32_e32 v18, 16, v1
	v_cvt_pk_f16_f32 v16, v22, v23
	v_lshrrev_b32_e32 v23, 16, v7
	v_and_b32_e32 v24, 0xffff, v7
	v_and_b32_e32 v1, 0xffff0000, v8
	s_delay_alu instid0(VALU_DEP_3) | instskip(SKIP_3) | instid1(VALU_DEP_2)
	v_dual_lshlrev_b32 v8, 16, v8 :: v_dual_bitop2_b32 v21, v17, v23 bitop3:0x54
	v_lshrrev_b32_e32 v7, 16, v16
	v_and_b32_e32 v16, 0xffff, v16
	v_or_b32_e32 v22, v18, v24
	v_or_b32_e32 v20, v8, v16
	s_delay_alu instid0(VALU_DEP_4)
	v_or_b32_e32 v19, v1, v7
	s_and_saveexec_b32 s21, vcc_lo
	s_cbranch_execz .LBB274_500
; %bb.499:                              ;   in Loop: Header=BB274_301 Depth=1
	v_cmp_gt_i32_e64 s0, s14, v31
	s_delay_alu instid0(VALU_DEP_1) | instskip(SKIP_1) | instid1(VALU_DEP_1)
	v_cndmask_b32_e64 v19, 0, v23, s0
	v_cmp_gt_i32_e64 s0, s34, v38
	v_cndmask_b32_e64 v20, 0, v24, s0
	v_cmp_gt_i32_e64 s0, s14, v37
	s_delay_alu instid0(VALU_DEP_1) | instskip(SKIP_1) | instid1(VALU_DEP_1)
	v_cndmask_b32_e64 v17, 0, v17, s0
	v_cmp_gt_i32_e64 s0, s34, v36
	v_cndmask_b32_e64 v18, 0, v18, s0
	v_cmp_gt_i32_e64 s0, s14, v35
	s_delay_alu instid0(VALU_DEP_4) | instskip(NEXT) | instid1(VALU_DEP_2)
	v_or_b32_e32 v21, v17, v19
	v_dual_cndmask_b32 v7, 0, v7, s0 :: v_dual_bitop2_b32 v22, v18, v20 bitop3:0x54
	v_cmp_gt_i32_e64 s0, s34, v34
	s_delay_alu instid0(VALU_DEP_1) | instskip(SKIP_1) | instid1(VALU_DEP_1)
	v_cndmask_b32_e64 v16, 0, v16, s0
	v_cmp_gt_i32_e64 s0, s14, v33
	v_cndmask_b32_e64 v1, 0, v1, s0
	v_cmp_gt_i32_e64 s0, s34, v32
	s_delay_alu instid0(VALU_DEP_1) | instskip(NEXT) | instid1(VALU_DEP_1)
	v_dual_cndmask_b32 v8, 0, v8, s0 :: v_dual_bitop2_b32 v19, v1, v7 bitop3:0x54
	v_or_b32_e32 v20, v8, v16
.LBB274_500:                            ;   in Loop: Header=BB274_301 Depth=1
	s_or_b32 exec_lo, exec_lo, s21
	;;#ASMSTART
	v_pk_mul_f16 v1, v45, v21;

	;;#ASMEND
	;;#ASMSTART
	v_pk_mul_f16 v7, v43, v22;

	;;#ASMEND
	;; [unrolled: 4-line block ×4, first 2 shown]
	;;#ASMSTART
	v_pk_add_f16 v1, v1, v7;

	;;#ASMEND
	;;#ASMSTART
	v_pk_add_f16 v1, v1, v8;

	;;#ASMEND
	;; [unrolled: 4-line block ×3, first 2 shown]
	v_and_b32_e32 v7, 0xffff, v1
	v_lshrrev_b32_e32 v1, 16, v1
	;;#ASMSTART
	v_cvt_f32_f16 v39, v7;
	;;#ASMEND
	v_mov_b32_e32 v7, 0
	;;#ASMSTART
	v_cvt_f32_f16 v40, v1;
	;;#ASMEND
	global_load_b64 v[16:17], v[14:15], off offset:768
	v_mov_b32_e32 v1, 0
	s_mov_b32 s21, exec_lo
	global_load_b32 v14, v1, s[10:11]
	s_wait_loadcnt 0x1
	v_and_b32_e32 v8, 0xff, v16
	s_wait_xcnt 0x0
	s_delay_alu instid0(VALU_DEP_1)
	v_cmpx_ne_u16_e32 0, v8
	s_cbranch_execz .LBB274_508
; %bb.501:                              ;   in Loop: Header=BB274_301 Depth=1
	v_mov_b32_e32 v7, 0x8000
	s_mov_b32 s22, exec_lo
	v_cmpx_ne_u16_e32 0x80, v8
	s_cbranch_execz .LBB274_507
; %bb.502:                              ;   in Loop: Header=BB274_301 Depth=1
	v_and_b32_e32 v15, 0x7f, v16
	v_mov_b32_e32 v7, 0x7c01
	s_mov_b32 s23, exec_lo
	s_delay_alu instid0(VALU_DEP_2)
	v_cmpx_ne_u32_e32 0x7f, v15
	s_cbranch_execz .LBB274_506
; %bb.503:                              ;   in Loop: Header=BB274_301 Depth=1
	v_dual_lshrrev_b32 v8, 3, v15 :: v_dual_bitop2_b32 v7, 7, v16 bitop3:0x40
	s_mov_b32 s24, exec_lo
	v_cmpx_gt_u32_e32 8, v15
; %bb.504:                              ;   in Loop: Header=BB274_301 Depth=1
	s_delay_alu instid0(VALU_DEP_2) | instskip(NEXT) | instid1(VALU_DEP_1)
	v_clz_i32_u32_e32 v7, v7
	v_min_u32_e32 v7, 32, v7
	s_delay_alu instid0(VALU_DEP_1) | instskip(NEXT) | instid1(VALU_DEP_1)
	v_subrev_nc_u32_e32 v8, 28, v7
	v_lshlrev_b64_e32 v[18:19], v8, v[16:17]
	s_delay_alu instid0(VALU_DEP_1)
	v_dual_sub_nc_u32 v8, 29, v7 :: v_dual_bitop2_b32 v7, 7, v18 bitop3:0x40
; %bb.505:                              ;   in Loop: Header=BB274_301 Depth=1
	s_or_b32 exec_lo, exec_lo, s24
	s_delay_alu instid0(VALU_DEP_1) | instskip(NEXT) | instid1(VALU_DEP_2)
	v_dual_lshlrev_b32 v15, 8, v16 :: v_dual_lshlrev_b32 v7, 7, v7
	v_lshl_add_u32 v8, v8, 10, 0x2000
	s_delay_alu instid0(VALU_DEP_2) | instskip(NEXT) | instid1(VALU_DEP_2)
	v_and_b32_e32 v15, 0x8000, v15
	v_and_b32_e32 v8, 0xfc00, v8
	s_delay_alu instid0(VALU_DEP_1)
	v_or3_b32 v7, v15, v8, v7
.LBB274_506:                            ;   in Loop: Header=BB274_301 Depth=1
	s_or_b32 exec_lo, exec_lo, s23
.LBB274_507:                            ;   in Loop: Header=BB274_301 Depth=1
	s_delay_alu instid0(SALU_CYCLE_1)
	s_or_b32 exec_lo, exec_lo, s22
.LBB274_508:                            ;   in Loop: Header=BB274_301 Depth=1
	s_delay_alu instid0(SALU_CYCLE_1) | instskip(SKIP_2) | instid1(VALU_DEP_1)
	s_or_b32 exec_lo, exec_lo, s21
	v_lshrrev_b16 v8, 8, v16
	s_mov_b32 s21, exec_lo
	v_cmpx_ne_u16_e32 0, v8
	s_cbranch_execz .LBB274_516
; %bb.509:                              ;   in Loop: Header=BB274_301 Depth=1
	v_bfrev_b32_e32 v1, 1
	s_mov_b32 s22, exec_lo
	v_cmpx_ne_u16_e32 0x80, v8
	s_cbranch_execz .LBB274_515
; %bb.510:                              ;   in Loop: Header=BB274_301 Depth=1
	v_and_b32_e32 v15, 0xffff, v8
	v_mov_b32_e32 v1, 0x7c010000
	s_mov_b32 s23, exec_lo
	s_delay_alu instid0(VALU_DEP_2) | instskip(NEXT) | instid1(VALU_DEP_1)
	v_and_b32_e32 v19, 0x7f, v15
	v_cmpx_ne_u32_e32 0x7f, v19
	s_cbranch_execz .LBB274_514
; %bb.511:                              ;   in Loop: Header=BB274_301 Depth=1
	v_and_b32_e32 v1, 7, v15
	v_lshrrev_b32_e32 v18, 3, v19
	s_mov_b32 s24, exec_lo
	v_cmpx_gt_u32_e32 8, v19
; %bb.512:                              ;   in Loop: Header=BB274_301 Depth=1
	s_delay_alu instid0(VALU_DEP_3) | instskip(NEXT) | instid1(VALU_DEP_1)
	v_clz_i32_u32_e32 v1, v1
	v_min_u32_e32 v1, 32, v1
	s_delay_alu instid0(VALU_DEP_1) | instskip(NEXT) | instid1(VALU_DEP_1)
	v_subrev_nc_u32_e32 v18, 28, v1
	v_lshlrev_b64_e32 v[20:21], v18, v[8:9]
	s_delay_alu instid0(VALU_DEP_1)
	v_dual_sub_nc_u32 v18, 29, v1 :: v_dual_bitop2_b32 v1, 7, v20 bitop3:0x40
; %bb.513:                              ;   in Loop: Header=BB274_301 Depth=1
	s_or_b32 exec_lo, exec_lo, s24
	s_delay_alu instid0(VALU_DEP_1) | instskip(NEXT) | instid1(VALU_DEP_2)
	v_dual_lshlrev_b32 v8, 8, v15 :: v_dual_lshlrev_b32 v1, 23, v1
	v_lshl_add_u32 v15, v18, 10, 0x2000
	s_delay_alu instid0(VALU_DEP_1) | instskip(NEXT) | instid1(VALU_DEP_1)
	v_and_or_b32 v8, 0x8000, v8, v15
	v_lshl_or_b32 v1, v8, 16, v1
.LBB274_514:                            ;   in Loop: Header=BB274_301 Depth=1
	s_or_b32 exec_lo, exec_lo, s23
.LBB274_515:                            ;   in Loop: Header=BB274_301 Depth=1
	s_delay_alu instid0(SALU_CYCLE_1)
	s_or_b32 exec_lo, exec_lo, s22
.LBB274_516:                            ;   in Loop: Header=BB274_301 Depth=1
	s_delay_alu instid0(SALU_CYCLE_1) | instskip(SKIP_3) | instid1(VALU_DEP_2)
	s_or_b32 exec_lo, exec_lo, s21
	v_dual_mov_b32 v15, 0 :: v_dual_lshrrev_b32 v8, 16, v16
	v_mov_b32_e32 v18, 0
	s_mov_b32 s21, exec_lo
	v_and_b32_e32 v19, 0xff, v8
	s_delay_alu instid0(VALU_DEP_1)
	v_cmpx_ne_u16_e32 0, v19
	s_cbranch_execz .LBB274_524
; %bb.517:                              ;   in Loop: Header=BB274_301 Depth=1
	v_mov_b32_e32 v18, 0x8000
	s_mov_b32 s22, exec_lo
	v_cmpx_ne_u16_e32 0x80, v19
	s_cbranch_execz .LBB274_523
; %bb.518:                              ;   in Loop: Header=BB274_301 Depth=1
	v_bfe_u32 v20, v16, 16, 7
	v_mov_b32_e32 v18, 0x7c01
	s_mov_b32 s23, exec_lo
	s_delay_alu instid0(VALU_DEP_2)
	v_cmpx_ne_u32_e32 0x7f, v20
	s_cbranch_execz .LBB274_522
; %bb.519:                              ;   in Loop: Header=BB274_301 Depth=1
	v_and_b32_e32 v18, 7, v8
	v_lshrrev_b32_e32 v19, 3, v20
	s_mov_b32 s24, exec_lo
	v_cmpx_gt_u32_e32 8, v20
; %bb.520:                              ;   in Loop: Header=BB274_301 Depth=1
	s_delay_alu instid0(VALU_DEP_3) | instskip(NEXT) | instid1(VALU_DEP_1)
	v_clz_i32_u32_e32 v18, v18
	v_min_u32_e32 v20, 32, v18
	s_delay_alu instid0(VALU_DEP_1) | instskip(NEXT) | instid1(VALU_DEP_1)
	v_subrev_nc_u32_e32 v18, 28, v20
	v_lshlrev_b64_e32 v[18:19], v18, v[8:9]
	s_delay_alu instid0(VALU_DEP_1)
	v_dual_sub_nc_u32 v19, 29, v20 :: v_dual_bitop2_b32 v18, 7, v18 bitop3:0x40
; %bb.521:                              ;   in Loop: Header=BB274_301 Depth=1
	s_or_b32 exec_lo, exec_lo, s24
	s_delay_alu instid0(VALU_DEP_1) | instskip(NEXT) | instid1(VALU_DEP_2)
	v_dual_lshlrev_b32 v8, 8, v8 :: v_dual_lshlrev_b32 v18, 7, v18
	v_lshl_add_u32 v19, v19, 10, 0x2000
	s_delay_alu instid0(VALU_DEP_2) | instskip(NEXT) | instid1(VALU_DEP_2)
	v_and_b32_e32 v8, 0x8000, v8
	v_and_b32_e32 v19, 0xfc00, v19
	s_delay_alu instid0(VALU_DEP_1)
	v_or3_b32 v18, v8, v19, v18
.LBB274_522:                            ;   in Loop: Header=BB274_301 Depth=1
	s_or_b32 exec_lo, exec_lo, s23
.LBB274_523:                            ;   in Loop: Header=BB274_301 Depth=1
	s_delay_alu instid0(SALU_CYCLE_1)
	s_or_b32 exec_lo, exec_lo, s22
.LBB274_524:                            ;   in Loop: Header=BB274_301 Depth=1
	s_delay_alu instid0(SALU_CYCLE_1) | instskip(NEXT) | instid1(SALU_CYCLE_1)
	s_or_b32 exec_lo, exec_lo, s21
	s_mov_b32 s21, exec_lo
	v_cmpx_lt_u32_e32 0xffffff, v16
	s_cbranch_execz .LBB274_532
; %bb.525:                              ;   in Loop: Header=BB274_301 Depth=1
	v_lshrrev_b32_e32 v8, 24, v16
	v_bfrev_b32_e32 v15, 1
	s_mov_b32 s22, exec_lo
	s_delay_alu instid0(VALU_DEP_2)
	v_cmpx_ne_u32_e32 0x80, v8
	s_cbranch_execz .LBB274_531
; %bb.526:                              ;   in Loop: Header=BB274_301 Depth=1
	v_and_b32_e32 v20, 0x7f, v8
	v_mov_b32_e32 v15, 0x7c010000
	s_mov_b32 s23, exec_lo
	s_delay_alu instid0(VALU_DEP_2)
	v_cmpx_ne_u32_e32 0x7f, v20
	s_cbranch_execz .LBB274_530
; %bb.527:                              ;   in Loop: Header=BB274_301 Depth=1
	v_and_b32_e32 v15, 7, v8
	v_lshrrev_b32_e32 v19, 3, v20
	s_mov_b32 s24, exec_lo
	v_cmpx_gt_u32_e32 8, v20
; %bb.528:                              ;   in Loop: Header=BB274_301 Depth=1
	s_delay_alu instid0(VALU_DEP_3) | instskip(NEXT) | instid1(VALU_DEP_1)
	v_clz_i32_u32_e32 v15, v15
	v_min_u32_e32 v15, 32, v15
	s_delay_alu instid0(VALU_DEP_1) | instskip(NEXT) | instid1(VALU_DEP_1)
	v_subrev_nc_u32_e32 v19, 28, v15
	v_lshlrev_b64_e32 v[20:21], v19, v[8:9]
	s_delay_alu instid0(VALU_DEP_1)
	v_dual_sub_nc_u32 v19, 29, v15 :: v_dual_bitop2_b32 v15, 7, v20 bitop3:0x40
; %bb.529:                              ;   in Loop: Header=BB274_301 Depth=1
	s_or_b32 exec_lo, exec_lo, s24
	s_delay_alu instid0(VALU_DEP_1) | instskip(NEXT) | instid1(VALU_DEP_2)
	v_dual_lshlrev_b32 v8, 8, v8 :: v_dual_lshlrev_b32 v15, 23, v15
	v_lshl_add_u32 v19, v19, 10, 0x2000
	s_delay_alu instid0(VALU_DEP_1) | instskip(NEXT) | instid1(VALU_DEP_1)
	v_and_or_b32 v8, 0x8000, v8, v19
	v_lshl_or_b32 v15, v8, 16, v15
.LBB274_530:                            ;   in Loop: Header=BB274_301 Depth=1
	s_or_b32 exec_lo, exec_lo, s23
.LBB274_531:                            ;   in Loop: Header=BB274_301 Depth=1
	s_delay_alu instid0(SALU_CYCLE_1)
	s_or_b32 exec_lo, exec_lo, s22
.LBB274_532:                            ;   in Loop: Header=BB274_301 Depth=1
	s_delay_alu instid0(SALU_CYCLE_1) | instskip(SKIP_4) | instid1(VALU_DEP_3)
	s_or_b32 exec_lo, exec_lo, s21
	v_and_b32_e32 v21, 0xff, v17
	v_dual_mov_b32 v8, v17 :: v_dual_mov_b32 v20, 0
	v_mov_b32_e32 v19, 0
	s_mov_b32 s21, exec_lo
	v_cmpx_ne_u16_e32 0, v21
	s_cbranch_execz .LBB274_540
; %bb.533:                              ;   in Loop: Header=BB274_301 Depth=1
	v_mov_b32_e32 v19, 0x8000
	s_mov_b32 s22, exec_lo
	v_cmpx_ne_u16_e32 0x80, v21
	s_cbranch_execz .LBB274_539
; %bb.534:                              ;   in Loop: Header=BB274_301 Depth=1
	v_and_b32_e32 v22, 0x7f, v17
	v_mov_b32_e32 v19, 0x7c01
	s_mov_b32 s23, exec_lo
	s_delay_alu instid0(VALU_DEP_2)
	v_cmpx_ne_u32_e32 0x7f, v22
	s_cbranch_execz .LBB274_538
; %bb.535:                              ;   in Loop: Header=BB274_301 Depth=1
	v_dual_lshrrev_b32 v21, 3, v22 :: v_dual_bitop2_b32 v19, 7, v17 bitop3:0x40
	s_mov_b32 s24, exec_lo
	v_cmpx_gt_u32_e32 8, v22
; %bb.536:                              ;   in Loop: Header=BB274_301 Depth=1
	s_delay_alu instid0(VALU_DEP_2) | instskip(NEXT) | instid1(VALU_DEP_1)
	v_clz_i32_u32_e32 v19, v19
	v_min_u32_e32 v19, 32, v19
	s_delay_alu instid0(VALU_DEP_1) | instskip(NEXT) | instid1(VALU_DEP_1)
	v_subrev_nc_u32_e32 v21, 28, v19
	v_lshlrev_b64_e32 v[22:23], v21, v[8:9]
	s_delay_alu instid0(VALU_DEP_1)
	v_dual_sub_nc_u32 v21, 29, v19 :: v_dual_bitop2_b32 v19, 7, v22 bitop3:0x40
; %bb.537:                              ;   in Loop: Header=BB274_301 Depth=1
	s_or_b32 exec_lo, exec_lo, s24
	s_delay_alu instid0(VALU_DEP_1) | instskip(NEXT) | instid1(VALU_DEP_2)
	v_dual_lshlrev_b32 v22, 8, v17 :: v_dual_lshlrev_b32 v19, 7, v19
	v_lshl_add_u32 v21, v21, 10, 0x2000
	s_delay_alu instid0(VALU_DEP_2) | instskip(NEXT) | instid1(VALU_DEP_2)
	v_and_b32_e32 v22, 0x8000, v22
	v_and_b32_e32 v21, 0xfc00, v21
	s_delay_alu instid0(VALU_DEP_1)
	v_or3_b32 v19, v22, v21, v19
.LBB274_538:                            ;   in Loop: Header=BB274_301 Depth=1
	s_or_b32 exec_lo, exec_lo, s23
.LBB274_539:                            ;   in Loop: Header=BB274_301 Depth=1
	s_delay_alu instid0(SALU_CYCLE_1)
	s_or_b32 exec_lo, exec_lo, s22
.LBB274_540:                            ;   in Loop: Header=BB274_301 Depth=1
	s_delay_alu instid0(SALU_CYCLE_1) | instskip(SKIP_3) | instid1(VALU_DEP_2)
	s_or_b32 exec_lo, exec_lo, s21
	v_lshrrev_b16 v8, 8, v8
	v_mov_b32_e32 v21, 0
	s_mov_b32 s21, exec_lo
	v_cmpx_ne_u16_e32 0, v8
	s_cbranch_execz .LBB274_548
; %bb.541:                              ;   in Loop: Header=BB274_301 Depth=1
	v_bfrev_b32_e32 v21, 1
	s_mov_b32 s22, exec_lo
	v_cmpx_ne_u16_e32 0x80, v8
	s_cbranch_execz .LBB274_547
; %bb.542:                              ;   in Loop: Header=BB274_301 Depth=1
	v_and_b32_e32 v22, 0xffff, v8
	v_mov_b32_e32 v21, 0x7c010000
	s_mov_b32 s23, exec_lo
	s_delay_alu instid0(VALU_DEP_2) | instskip(NEXT) | instid1(VALU_DEP_1)
	v_and_b32_e32 v24, 0x7f, v22
	v_cmpx_ne_u32_e32 0x7f, v24
	s_cbranch_execz .LBB274_546
; %bb.543:                              ;   in Loop: Header=BB274_301 Depth=1
	v_dual_lshrrev_b32 v23, 3, v24 :: v_dual_bitop2_b32 v21, 7, v22 bitop3:0x40
	s_mov_b32 s24, exec_lo
	v_cmpx_gt_u32_e32 8, v24
; %bb.544:                              ;   in Loop: Header=BB274_301 Depth=1
	s_delay_alu instid0(VALU_DEP_2) | instskip(NEXT) | instid1(VALU_DEP_1)
	v_clz_i32_u32_e32 v21, v21
	v_min_u32_e32 v21, 32, v21
	s_delay_alu instid0(VALU_DEP_1) | instskip(NEXT) | instid1(VALU_DEP_1)
	v_subrev_nc_u32_e32 v23, 28, v21
	v_lshlrev_b64_e32 v[50:51], v23, v[8:9]
	s_delay_alu instid0(VALU_DEP_1)
	v_dual_sub_nc_u32 v23, 29, v21 :: v_dual_bitop2_b32 v21, 7, v50 bitop3:0x40
; %bb.545:                              ;   in Loop: Header=BB274_301 Depth=1
	s_or_b32 exec_lo, exec_lo, s24
	s_delay_alu instid0(VALU_DEP_1) | instskip(NEXT) | instid1(VALU_DEP_2)
	v_dual_lshlrev_b32 v8, 8, v22 :: v_dual_lshlrev_b32 v21, 23, v21
	v_lshl_add_u32 v22, v23, 10, 0x2000
	s_delay_alu instid0(VALU_DEP_1) | instskip(NEXT) | instid1(VALU_DEP_1)
	v_and_or_b32 v8, 0x8000, v8, v22
	v_lshl_or_b32 v21, v8, 16, v21
.LBB274_546:                            ;   in Loop: Header=BB274_301 Depth=1
	s_or_b32 exec_lo, exec_lo, s23
.LBB274_547:                            ;   in Loop: Header=BB274_301 Depth=1
	s_delay_alu instid0(SALU_CYCLE_1)
	s_or_b32 exec_lo, exec_lo, s22
.LBB274_548:                            ;   in Loop: Header=BB274_301 Depth=1
	s_delay_alu instid0(SALU_CYCLE_1) | instskip(SKIP_2) | instid1(VALU_DEP_1)
	s_or_b32 exec_lo, exec_lo, s21
	v_lshrrev_b32_e32 v8, 16, v17
	s_mov_b32 s21, exec_lo
	v_and_b32_e32 v22, 0xff, v8
	s_delay_alu instid0(VALU_DEP_1)
	v_cmpx_ne_u16_e32 0, v22
	s_cbranch_execz .LBB274_556
; %bb.549:                              ;   in Loop: Header=BB274_301 Depth=1
	v_mov_b32_e32 v20, 0x8000
	s_mov_b32 s22, exec_lo
	v_cmpx_ne_u16_e32 0x80, v22
	s_cbranch_execz .LBB274_555
; %bb.550:                              ;   in Loop: Header=BB274_301 Depth=1
	v_bfe_u32 v23, v17, 16, 7
	v_mov_b32_e32 v20, 0x7c01
	s_mov_b32 s23, exec_lo
	s_delay_alu instid0(VALU_DEP_2)
	v_cmpx_ne_u32_e32 0x7f, v23
	s_cbranch_execz .LBB274_554
; %bb.551:                              ;   in Loop: Header=BB274_301 Depth=1
	v_dual_lshrrev_b32 v22, 3, v23 :: v_dual_bitop2_b32 v20, 7, v8 bitop3:0x40
	s_mov_b32 s24, exec_lo
	v_cmpx_gt_u32_e32 8, v23
; %bb.552:                              ;   in Loop: Header=BB274_301 Depth=1
	s_delay_alu instid0(VALU_DEP_2) | instskip(NEXT) | instid1(VALU_DEP_1)
	v_clz_i32_u32_e32 v20, v20
	v_min_u32_e32 v20, 32, v20
	s_delay_alu instid0(VALU_DEP_1) | instskip(NEXT) | instid1(VALU_DEP_1)
	v_subrev_nc_u32_e32 v22, 28, v20
	v_lshlrev_b64_e32 v[50:51], v22, v[8:9]
	s_delay_alu instid0(VALU_DEP_1)
	v_dual_sub_nc_u32 v22, 29, v20 :: v_dual_bitop2_b32 v20, 7, v50 bitop3:0x40
; %bb.553:                              ;   in Loop: Header=BB274_301 Depth=1
	s_or_b32 exec_lo, exec_lo, s24
	v_lshlrev_b32_e32 v8, 8, v8
	s_delay_alu instid0(VALU_DEP_2) | instskip(NEXT) | instid1(VALU_DEP_3)
	v_lshl_add_u32 v22, v22, 10, 0x2000
	v_lshlrev_b32_e32 v20, 7, v20
	s_delay_alu instid0(VALU_DEP_3) | instskip(NEXT) | instid1(VALU_DEP_3)
	v_and_b32_e32 v8, 0x8000, v8
	v_and_b32_e32 v22, 0xfc00, v22
	s_delay_alu instid0(VALU_DEP_1)
	v_or3_b32 v20, v8, v22, v20
.LBB274_554:                            ;   in Loop: Header=BB274_301 Depth=1
	s_or_b32 exec_lo, exec_lo, s23
.LBB274_555:                            ;   in Loop: Header=BB274_301 Depth=1
	s_delay_alu instid0(SALU_CYCLE_1)
	s_or_b32 exec_lo, exec_lo, s22
.LBB274_556:                            ;   in Loop: Header=BB274_301 Depth=1
	s_delay_alu instid0(SALU_CYCLE_1)
	s_or_b32 exec_lo, exec_lo, s21
	v_cmp_lt_u64_e64 s0, s[4:5], v[16:17]
	v_mov_b32_e32 v16, 0
	s_and_saveexec_b32 s21, s0
	s_cbranch_execz .LBB274_564
; %bb.557:                              ;   in Loop: Header=BB274_301 Depth=1
	v_lshrrev_b32_e32 v8, 24, v17
	v_bfrev_b32_e32 v16, 1
	s_mov_b32 s22, exec_lo
	s_delay_alu instid0(VALU_DEP_2)
	v_cmpx_ne_u32_e32 0x80, v8
	s_cbranch_execz .LBB274_563
; %bb.558:                              ;   in Loop: Header=BB274_301 Depth=1
	v_and_b32_e32 v22, 0x7f, v8
	v_mov_b32_e32 v16, 0x7c010000
	s_mov_b32 s23, exec_lo
	s_delay_alu instid0(VALU_DEP_2)
	v_cmpx_ne_u32_e32 0x7f, v22
	s_cbranch_execz .LBB274_562
; %bb.559:                              ;   in Loop: Header=BB274_301 Depth=1
	v_dual_lshrrev_b32 v17, 3, v22 :: v_dual_bitop2_b32 v16, 7, v8 bitop3:0x40
	s_mov_b32 s24, exec_lo
	v_cmpx_gt_u32_e32 8, v22
; %bb.560:                              ;   in Loop: Header=BB274_301 Depth=1
	s_delay_alu instid0(VALU_DEP_2) | instskip(NEXT) | instid1(VALU_DEP_1)
	v_clz_i32_u32_e32 v16, v16
	v_min_u32_e32 v22, 32, v16
	s_delay_alu instid0(VALU_DEP_1) | instskip(NEXT) | instid1(VALU_DEP_1)
	v_subrev_nc_u32_e32 v16, 28, v22
	v_lshlrev_b64_e32 v[16:17], v16, v[8:9]
	s_delay_alu instid0(VALU_DEP_1)
	v_dual_sub_nc_u32 v17, 29, v22 :: v_dual_bitop2_b32 v16, 7, v16 bitop3:0x40
; %bb.561:                              ;   in Loop: Header=BB274_301 Depth=1
	s_or_b32 exec_lo, exec_lo, s24
	v_lshlrev_b32_e32 v8, 8, v8
	s_delay_alu instid0(VALU_DEP_2) | instskip(NEXT) | instid1(VALU_DEP_3)
	v_lshl_add_u32 v17, v17, 10, 0x2000
	v_lshlrev_b32_e32 v16, 23, v16
	s_delay_alu instid0(VALU_DEP_2) | instskip(NEXT) | instid1(VALU_DEP_1)
	v_and_or_b32 v8, 0x8000, v8, v17
	v_lshl_or_b32 v16, v8, 16, v16
.LBB274_562:                            ;   in Loop: Header=BB274_301 Depth=1
	s_or_b32 exec_lo, exec_lo, s23
.LBB274_563:                            ;   in Loop: Header=BB274_301 Depth=1
	s_delay_alu instid0(SALU_CYCLE_1)
	s_or_b32 exec_lo, exec_lo, s22
.LBB274_564:                            ;   in Loop: Header=BB274_301 Depth=1
	s_delay_alu instid0(SALU_CYCLE_1) | instskip(SKIP_3) | instid1(VALU_DEP_3)
	s_or_b32 exec_lo, exec_lo, s21
	v_dual_lshrrev_b32 v8, 16, v1 :: v_dual_lshrrev_b32 v17, 16, v15
	v_or_b32_e32 v1, v1, v7
	v_dual_lshrrev_b32 v18, 16, v16 :: v_dual_bitop2_b32 v7, v15, v18 bitop3:0x54
	v_cvt_f32_f16_e32 v23, v8
	s_delay_alu instid0(VALU_DEP_4) | instskip(SKIP_4) | instid1(VALU_DEP_3)
	v_cvt_f32_f16_e32 v22, v17
	v_lshrrev_b32_e32 v15, 16, v21
	v_cvt_f32_f16_e32 v17, v1
	v_cvt_f32_f16_e32 v18, v18
	s_wait_loadcnt 0x0
	v_pk_mul_f32 v[22:23], v[14:15], v[22:23] op_sel_hi:[0,1]
	s_delay_alu instid0(VALU_DEP_1) | instskip(SKIP_4) | instid1(VALU_DEP_4)
	v_cvt_pk_f16_f32 v1, v22, v23
	v_or_b32_e32 v8, v16, v20
	v_cvt_f32_f16_e32 v16, v7
	v_or_b32_e32 v7, v21, v19
	v_cvt_f32_f16_e32 v19, v15
	v_cvt_f32_f16_e32 v20, v8
	s_delay_alu instid0(VALU_DEP_4) | instskip(NEXT) | instid1(VALU_DEP_4)
	v_pk_mul_f32 v[16:17], v[14:15], v[16:17] op_sel_hi:[0,1]
	v_cvt_f32_f16_e32 v21, v7
	s_delay_alu instid0(VALU_DEP_4) | instskip(SKIP_1) | instid1(VALU_DEP_4)
	v_pk_mul_f32 v[22:23], v[14:15], v[18:19] op_sel_hi:[0,1]
	v_and_b32_e32 v19, 0xffff0000, v1
	v_cvt_pk_f16_f32 v7, v16, v17
	s_delay_alu instid0(VALU_DEP_4) | instskip(NEXT) | instid1(VALU_DEP_4)
	v_pk_mul_f32 v[14:15], v[14:15], v[20:21] op_sel_hi:[0,1]
	v_cvt_pk_f16_f32 v8, v22, v23
	v_lshlrev_b32_e32 v20, 16, v1
	s_delay_alu instid0(VALU_DEP_4) | instskip(NEXT) | instid1(VALU_DEP_4)
	v_and_b32_e32 v22, 0xffff, v7
	v_cvt_pk_f16_f32 v14, v14, v15
	v_lshrrev_b32_e32 v21, 16, v7
	v_and_b32_e32 v1, 0xffff0000, v8
	s_delay_alu instid0(VALU_DEP_4) | instskip(NEXT) | instid1(VALU_DEP_4)
	v_dual_lshlrev_b32 v8, 16, v8 :: v_dual_bitop2_b32 v16, v20, v22 bitop3:0x54
	v_lshrrev_b32_e32 v17, 16, v14
	v_and_b32_e32 v18, 0xffff, v14
	v_or_b32_e32 v15, v19, v21
	s_delay_alu instid0(VALU_DEP_3) | instskip(NEXT) | instid1(VALU_DEP_3)
	v_or_b32_e32 v7, v1, v17
	v_or_b32_e32 v14, v8, v18
	s_and_saveexec_b32 s0, vcc_lo
	s_cbranch_execz .LBB274_299
; %bb.565:                              ;   in Loop: Header=BB274_301 Depth=1
	v_cmp_gt_i32_e32 vcc_lo, s14, v31
	v_cndmask_b32_e32 v7, 0, v21, vcc_lo
	v_cmp_gt_i32_e32 vcc_lo, s34, v38
	v_cndmask_b32_e32 v14, 0, v22, vcc_lo
	v_cmp_gt_i32_e32 vcc_lo, s14, v37
	v_cndmask_b32_e32 v15, 0, v19, vcc_lo
	v_cmp_gt_i32_e32 vcc_lo, s34, v36
	v_cndmask_b32_e32 v16, 0, v20, vcc_lo
	v_cmp_gt_i32_e32 vcc_lo, s14, v35
	s_delay_alu instid0(VALU_DEP_4) | instskip(NEXT) | instid1(VALU_DEP_3)
	v_or_b32_e32 v15, v15, v7
	v_dual_cndmask_b32 v17, 0, v17, vcc_lo :: v_dual_bitop2_b32 v16, v16, v14 bitop3:0x54
	v_cmp_gt_i32_e32 vcc_lo, s34, v34
	v_cndmask_b32_e32 v18, 0, v18, vcc_lo
	v_cmp_gt_i32_e32 vcc_lo, s14, v33
	v_cndmask_b32_e32 v1, 0, v1, vcc_lo
	v_cmp_gt_i32_e32 vcc_lo, s34, v32
	s_delay_alu instid0(VALU_DEP_2) | instskip(NEXT) | instid1(VALU_DEP_1)
	v_dual_cndmask_b32 v8, 0, v8, vcc_lo :: v_dual_bitop2_b32 v7, v1, v17 bitop3:0x54
	v_or_b32_e32 v14, v8, v18
	s_branch .LBB274_299
.LBB274_566:
	s_or_b32 exec_lo, exec_lo, s15
.LBB274_567:
	s_delay_alu instid0(SALU_CYCLE_1)
	s_or_b32 exec_lo, exec_lo, s1
	ds_bpermute_b32 v6, v25, v4
	ds_bpermute_b32 v7, v25, v5
	;; [unrolled: 1-line block ×4, first 2 shown]
	v_and_b32_e32 v1, 28, v59
	s_mov_b32 s0, exec_lo
	s_wait_dscnt 0x0
	s_barrier_signal -1
	s_barrier_wait -1
	v_pk_add_f32 v[10:11], v[4:5], v[6:7]
	v_pk_add_f32 v[4:5], v[2:3], v[8:9]
	v_and_b32_e32 v8, 0x3c3, v0
	ds_bpermute_b32 v2, v26, v10
	ds_bpermute_b32 v3, v26, v11
	;; [unrolled: 1-line block ×4, first 2 shown]
	s_wait_dscnt 0x2
	v_pk_add_f32 v[2:3], v[10:11], v[2:3]
	v_cmpx_ne_u32_e32 64, v8
	s_xor_b32 s0, exec_lo, s0
; %bb.568:
                                        ; implicit-def: $vgpr58
; %bb.569:
	s_delay_alu instid0(SALU_CYCLE_1)
	s_or_saveexec_b32 s0, s0
	s_wait_dscnt 0x0
	v_pk_add_f32 v[4:5], v[4:5], v[6:7]
	v_lshrrev_b32_e32 v7, 2, v59
	v_add_nc_u32_e32 v6, 0x60, v1
	s_xor_b32 exec_lo, exec_lo, s0
	s_cbranch_execz .LBB274_571
; %bb.570:
	s_delay_alu instid0(VALU_DEP_1) | instskip(NEXT) | instid1(VALU_DEP_1)
	v_lshl_add_u32 v1, v58, 7, v6
	v_add_nc_u32_e32 v8, 0xffffff00, v1
	v_add_nc_u32_e32 v9, 0xffffff20, v1
	;; [unrolled: 1-line block ×4, first 2 shown]
	ds_store_b32 v8, v2
	ds_store_b32 v9, v3
	;; [unrolled: 1-line block ×4, first 2 shown]
.LBB274_571:
	s_or_b32 exec_lo, exec_lo, s0
	v_and_b32_e32 v1, 0x3e0, v0
	v_lshlrev_b32_e32 v7, 2, v7
	s_mov_b32 s1, exec_lo
	v_cmp_eq_u32_e32 vcc_lo, 0, v27
	s_wait_dscnt 0x0
	v_lshlrev_b32_e32 v1, 2, v1
	s_barrier_signal -1
	s_barrier_wait -1
	s_delay_alu instid0(VALU_DEP_1)
	v_add3_u32 v1, 0x60, v1, v7
	v_cmpx_gt_u32_e32 64, v0
	s_cbranch_execz .LBB274_578
; %bb.572:
	s_and_saveexec_b32 s0, vcc_lo
	s_cbranch_execnz .LBB274_590
; %bb.573:
	s_or_b32 exec_lo, exec_lo, s0
	s_and_saveexec_b32 s0, vcc_lo
	s_cbranch_execnz .LBB274_591
.LBB274_574:
	s_or_b32 exec_lo, exec_lo, s0
	s_and_saveexec_b32 s0, vcc_lo
	s_cbranch_execnz .LBB274_592
.LBB274_575:
	s_or_b32 exec_lo, exec_lo, s0
	s_and_saveexec_b32 s0, vcc_lo
	s_cbranch_execz .LBB274_577
.LBB274_576:
	ds_load_b32 v7, v1 offset:96
	s_wait_dscnt 0x0
	v_add_f32_e32 v5, v5, v7
.LBB274_577:
	s_or_b32 exec_lo, exec_lo, s0
.LBB274_578:
	s_delay_alu instid0(SALU_CYCLE_1) | instskip(SKIP_4) | instid1(VALU_DEP_1)
	s_or_b32 exec_lo, exec_lo, s1
	v_and_b32_e32 v7, 0x3e3, v0
	s_mov_b32 s1, exec_lo
	s_barrier_signal -1
	s_barrier_wait -1
	v_cmpx_eq_u32_e32 32, v7
	s_cbranch_execz .LBB274_580
; %bb.579:
	ds_store_2addr_b32 v6, v2, v3 offset1:8
	ds_store_2addr_b32 v6, v4, v5 offset0:16 offset1:24
.LBB274_580:
	s_or_b32 exec_lo, exec_lo, s1
	s_delay_alu instid0(SALU_CYCLE_1)
	s_mov_b32 s1, exec_lo
	s_wait_dscnt 0x0
	s_barrier_signal -1
	s_barrier_wait -1
	v_cmpx_gt_u32_e32 32, v0
	s_cbranch_execz .LBB274_587
; %bb.581:
	s_and_saveexec_b32 s0, vcc_lo
	s_cbranch_execnz .LBB274_593
; %bb.582:
	s_or_b32 exec_lo, exec_lo, s0
	s_and_saveexec_b32 s0, vcc_lo
	s_cbranch_execnz .LBB274_594
.LBB274_583:
	s_or_b32 exec_lo, exec_lo, s0
	s_and_saveexec_b32 s0, vcc_lo
	s_cbranch_execnz .LBB274_595
.LBB274_584:
	s_or_b32 exec_lo, exec_lo, s0
	s_and_saveexec_b32 s0, vcc_lo
	s_cbranch_execz .LBB274_586
.LBB274_585:
	ds_load_b32 v1, v1 offset:96
	s_wait_dscnt 0x0
	v_add_f32_e32 v5, v5, v1
.LBB274_586:
	s_or_b32 exec_lo, exec_lo, s0
.LBB274_587:
	s_delay_alu instid0(SALU_CYCLE_1)
	s_or_b32 exec_lo, exec_lo, s1
	s_mov_b32 s1, 0
	s_barrier_signal -1
	s_barrier_wait -1
	s_mov_b32 s0, exec_lo
	v_cmpx_eq_u32_e32 0, v7
	s_cbranch_execz .LBB274_589
; %bb.588:
	s_mul_i32 s0, s33, s7
	s_mul_i32 s2, s7, s16
	s_mul_i32 s0, s0, s31
	s_lshr_b32 s6, ttmp7, 16
	s_lshl_b32 s4, s0, 5
	s_bfe_u32 s0, ttmp6, 0x40014
	s_ashr_i32 s5, s4, 31
	s_add_co_i32 s0, s0, 1
	s_ashr_i32 s3, s2, 31
	s_mul_i32 s0, s6, s0
	s_bfe_u32 s7, ttmp6, 0x40008
	s_lshl_b64 s[4:5], s[4:5], 1
	s_lshl_b64 s[2:3], s[2:3], 1
	s_add_co_i32 s7, s7, s0
	s_cmp_eq_u32 s30, 0
	s_wait_kmcnt 0x0
	s_add_nc_u64 s[4:5], s[8:9], s[4:5]
	s_cselect_b32 s0, s6, s7
	v_lshrrev_b32_e32 v0, 1, v0
	s_add_nc_u64 s[2:3], s[4:5], s[2:3]
	s_lshl_b32 s0, s0, 6
	;;#ASMSTART
	v_cvt_f16_f32 v1, v2;

	;;#ASMEND
	s_add_nc_u64 s[0:1], s[2:3], s[0:1]
	global_store_b16 v0, v1, s[0:1]
	s_wait_xcnt 0x0
	;;#ASMSTART
	v_cvt_f16_f32 v1, v3;

	;;#ASMEND
	global_store_b16 v0, v1, s[0:1] offset:16
	s_wait_xcnt 0x0
	;;#ASMSTART
	v_cvt_f16_f32 v1, v4;

	;;#ASMEND
	global_store_b16 v0, v1, s[0:1] offset:32
	;; [unrolled: 6-line block ×3, first 2 shown]
.LBB274_589:
	s_sendmsg sendmsg(MSG_DEALLOC_VGPRS)
	s_endpgm
.LBB274_590:
	ds_load_b32 v7, v1
	s_wait_dscnt 0x0
	v_add_f32_e32 v2, v2, v7
	s_or_b32 exec_lo, exec_lo, s0
	s_and_saveexec_b32 s0, vcc_lo
	s_cbranch_execz .LBB274_574
.LBB274_591:
	ds_load_b32 v7, v1 offset:32
	s_wait_dscnt 0x0
	v_add_f32_e32 v3, v3, v7
	s_or_b32 exec_lo, exec_lo, s0
	s_and_saveexec_b32 s0, vcc_lo
	s_cbranch_execz .LBB274_575
.LBB274_592:
	ds_load_b32 v7, v1 offset:64
	s_wait_dscnt 0x0
	v_add_f32_e32 v4, v4, v7
	s_or_b32 exec_lo, exec_lo, s0
	s_and_saveexec_b32 s0, vcc_lo
	s_cbranch_execnz .LBB274_576
	s_branch .LBB274_577
.LBB274_593:
	ds_load_b32 v6, v1
	s_wait_dscnt 0x0
	v_add_f32_e32 v2, v2, v6
	s_or_b32 exec_lo, exec_lo, s0
	s_and_saveexec_b32 s0, vcc_lo
	s_cbranch_execz .LBB274_583
.LBB274_594:
	ds_load_b32 v6, v1 offset:32
	s_wait_dscnt 0x0
	v_add_f32_e32 v3, v3, v6
	s_or_b32 exec_lo, exec_lo, s0
	s_and_saveexec_b32 s0, vcc_lo
	s_cbranch_execz .LBB274_584
.LBB274_595:
	ds_load_b32 v6, v1 offset:64
	s_wait_dscnt 0x0
	v_add_f32_e32 v4, v4, v6
	s_or_b32 exec_lo, exec_lo, s0
	s_and_saveexec_b32 s0, vcc_lo
	s_cbranch_execnz .LBB274_585
	s_branch .LBB274_586
	.section	.rodata,"a",@progbits
	.p2align	6, 0x0
	.amdhsa_kernel _ZN4vllm25paged_attention_v1_kernelIthLi32ELi32ELi128ELNS_18Fp8KVCacheDataTypeE1ELb1EEEvPT_PKS2_PKT0_S8_ifPKiSA_iPKfiiiSC_SC_iiiii
		.amdhsa_group_segment_fixed_size 96
		.amdhsa_private_segment_fixed_size 0
		.amdhsa_kernarg_size 384
		.amdhsa_user_sgpr_count 2
		.amdhsa_user_sgpr_dispatch_ptr 0
		.amdhsa_user_sgpr_queue_ptr 0
		.amdhsa_user_sgpr_kernarg_segment_ptr 1
		.amdhsa_user_sgpr_dispatch_id 0
		.amdhsa_user_sgpr_kernarg_preload_length 0
		.amdhsa_user_sgpr_kernarg_preload_offset 0
		.amdhsa_user_sgpr_private_segment_size 0
		.amdhsa_wavefront_size32 1
		.amdhsa_uses_dynamic_stack 0
		.amdhsa_enable_private_segment 0
		.amdhsa_system_sgpr_workgroup_id_x 1
		.amdhsa_system_sgpr_workgroup_id_y 1
		.amdhsa_system_sgpr_workgroup_id_z 1
		.amdhsa_system_sgpr_workgroup_info 0
		.amdhsa_system_vgpr_workitem_id 0
		.amdhsa_next_free_vgpr 82
		.amdhsa_next_free_sgpr 46
		.amdhsa_named_barrier_count 0
		.amdhsa_reserve_vcc 1
		.amdhsa_float_round_mode_32 0
		.amdhsa_float_round_mode_16_64 0
		.amdhsa_float_denorm_mode_32 3
		.amdhsa_float_denorm_mode_16_64 3
		.amdhsa_fp16_overflow 0
		.amdhsa_memory_ordered 1
		.amdhsa_forward_progress 1
		.amdhsa_inst_pref_size 171
		.amdhsa_round_robin_scheduling 0
		.amdhsa_exception_fp_ieee_invalid_op 0
		.amdhsa_exception_fp_denorm_src 0
		.amdhsa_exception_fp_ieee_div_zero 0
		.amdhsa_exception_fp_ieee_overflow 0
		.amdhsa_exception_fp_ieee_underflow 0
		.amdhsa_exception_fp_ieee_inexact 0
		.amdhsa_exception_int_div_zero 0
	.end_amdhsa_kernel
	.section	.text._ZN4vllm25paged_attention_v1_kernelIthLi32ELi32ELi128ELNS_18Fp8KVCacheDataTypeE1ELb1EEEvPT_PKS2_PKT0_S8_ifPKiSA_iPKfiiiSC_SC_iiiii,"axG",@progbits,_ZN4vllm25paged_attention_v1_kernelIthLi32ELi32ELi128ELNS_18Fp8KVCacheDataTypeE1ELb1EEEvPT_PKS2_PKT0_S8_ifPKiSA_iPKfiiiSC_SC_iiiii,comdat
.Lfunc_end274:
	.size	_ZN4vllm25paged_attention_v1_kernelIthLi32ELi32ELi128ELNS_18Fp8KVCacheDataTypeE1ELb1EEEvPT_PKS2_PKT0_S8_ifPKiSA_iPKfiiiSC_SC_iiiii, .Lfunc_end274-_ZN4vllm25paged_attention_v1_kernelIthLi32ELi32ELi128ELNS_18Fp8KVCacheDataTypeE1ELb1EEEvPT_PKS2_PKT0_S8_ifPKiSA_iPKfiiiSC_SC_iiiii
                                        ; -- End function
	.set _ZN4vllm25paged_attention_v1_kernelIthLi32ELi32ELi128ELNS_18Fp8KVCacheDataTypeE1ELb1EEEvPT_PKS2_PKT0_S8_ifPKiSA_iPKfiiiSC_SC_iiiii.num_vgpr, 82
	.set _ZN4vllm25paged_attention_v1_kernelIthLi32ELi32ELi128ELNS_18Fp8KVCacheDataTypeE1ELb1EEEvPT_PKS2_PKT0_S8_ifPKiSA_iPKfiiiSC_SC_iiiii.num_agpr, 0
	.set _ZN4vllm25paged_attention_v1_kernelIthLi32ELi32ELi128ELNS_18Fp8KVCacheDataTypeE1ELb1EEEvPT_PKS2_PKT0_S8_ifPKiSA_iPKfiiiSC_SC_iiiii.numbered_sgpr, 46
	.set _ZN4vllm25paged_attention_v1_kernelIthLi32ELi32ELi128ELNS_18Fp8KVCacheDataTypeE1ELb1EEEvPT_PKS2_PKT0_S8_ifPKiSA_iPKfiiiSC_SC_iiiii.num_named_barrier, 0
	.set _ZN4vllm25paged_attention_v1_kernelIthLi32ELi32ELi128ELNS_18Fp8KVCacheDataTypeE1ELb1EEEvPT_PKS2_PKT0_S8_ifPKiSA_iPKfiiiSC_SC_iiiii.private_seg_size, 0
	.set _ZN4vllm25paged_attention_v1_kernelIthLi32ELi32ELi128ELNS_18Fp8KVCacheDataTypeE1ELb1EEEvPT_PKS2_PKT0_S8_ifPKiSA_iPKfiiiSC_SC_iiiii.uses_vcc, 1
	.set _ZN4vllm25paged_attention_v1_kernelIthLi32ELi32ELi128ELNS_18Fp8KVCacheDataTypeE1ELb1EEEvPT_PKS2_PKT0_S8_ifPKiSA_iPKfiiiSC_SC_iiiii.uses_flat_scratch, 0
	.set _ZN4vllm25paged_attention_v1_kernelIthLi32ELi32ELi128ELNS_18Fp8KVCacheDataTypeE1ELb1EEEvPT_PKS2_PKT0_S8_ifPKiSA_iPKfiiiSC_SC_iiiii.has_dyn_sized_stack, 0
	.set _ZN4vllm25paged_attention_v1_kernelIthLi32ELi32ELi128ELNS_18Fp8KVCacheDataTypeE1ELb1EEEvPT_PKS2_PKT0_S8_ifPKiSA_iPKfiiiSC_SC_iiiii.has_recursion, 0
	.set _ZN4vllm25paged_attention_v1_kernelIthLi32ELi32ELi128ELNS_18Fp8KVCacheDataTypeE1ELb1EEEvPT_PKS2_PKT0_S8_ifPKiSA_iPKfiiiSC_SC_iiiii.has_indirect_call, 0
	.section	.AMDGPU.csdata,"",@progbits
; Kernel info:
; codeLenInByte = 21768
; TotalNumSgprs: 48
; NumVgprs: 82
; ScratchSize: 0
; MemoryBound: 0
; FloatMode: 240
; IeeeMode: 1
; LDSByteSize: 96 bytes/workgroup (compile time only)
; SGPRBlocks: 0
; VGPRBlocks: 5
; NumSGPRsForWavesPerEU: 48
; NumVGPRsForWavesPerEU: 82
; NamedBarCnt: 0
; Occupancy: 10
; WaveLimiterHint : 1
; COMPUTE_PGM_RSRC2:SCRATCH_EN: 0
; COMPUTE_PGM_RSRC2:USER_SGPR: 2
; COMPUTE_PGM_RSRC2:TRAP_HANDLER: 0
; COMPUTE_PGM_RSRC2:TGID_X_EN: 1
; COMPUTE_PGM_RSRC2:TGID_Y_EN: 1
; COMPUTE_PGM_RSRC2:TGID_Z_EN: 1
; COMPUTE_PGM_RSRC2:TIDIG_COMP_CNT: 0
	.section	.text._ZN4vllm25paged_attention_v1_kernelIthLi64ELi32ELi128ELNS_18Fp8KVCacheDataTypeE1ELb1EEEvPT_PKS2_PKT0_S8_ifPKiSA_iPKfiiiSC_SC_iiiii,"axG",@progbits,_ZN4vllm25paged_attention_v1_kernelIthLi64ELi32ELi128ELNS_18Fp8KVCacheDataTypeE1ELb1EEEvPT_PKS2_PKT0_S8_ifPKiSA_iPKfiiiSC_SC_iiiii,comdat
	.protected	_ZN4vllm25paged_attention_v1_kernelIthLi64ELi32ELi128ELNS_18Fp8KVCacheDataTypeE1ELb1EEEvPT_PKS2_PKT0_S8_ifPKiSA_iPKfiiiSC_SC_iiiii ; -- Begin function _ZN4vllm25paged_attention_v1_kernelIthLi64ELi32ELi128ELNS_18Fp8KVCacheDataTypeE1ELb1EEEvPT_PKS2_PKT0_S8_ifPKiSA_iPKfiiiSC_SC_iiiii
	.globl	_ZN4vllm25paged_attention_v1_kernelIthLi64ELi32ELi128ELNS_18Fp8KVCacheDataTypeE1ELb1EEEvPT_PKS2_PKT0_S8_ifPKiSA_iPKfiiiSC_SC_iiiii
	.p2align	8
	.type	_ZN4vllm25paged_attention_v1_kernelIthLi64ELi32ELi128ELNS_18Fp8KVCacheDataTypeE1ELb1EEEvPT_PKS2_PKT0_S8_ifPKiSA_iPKfiiiSC_SC_iiiii,@function
_ZN4vllm25paged_attention_v1_kernelIthLi64ELi32ELi128ELNS_18Fp8KVCacheDataTypeE1ELb1EEEvPT_PKS2_PKT0_S8_ifPKiSA_iPKfiiiSC_SC_iiiii: ; @_ZN4vllm25paged_attention_v1_kernelIthLi64ELi32ELi128ELNS_18Fp8KVCacheDataTypeE1ELb1EEEvPT_PKS2_PKT0_S8_ifPKiSA_iPKfiiiSC_SC_iiiii
; %bb.0:
	s_load_b64 s[24:25], s[0:1], 0x20
	s_bfe_u32 s3, ttmp6, 0x4000c
	s_bfe_u32 s4, ttmp6, 0x40010
	s_and_b32 s6, ttmp7, 0xffff
	s_add_co_i32 s3, s3, 1
	s_add_co_i32 s4, s4, 1
	s_and_b32 s2, ttmp6, 15
	s_bfe_u32 s5, ttmp6, 0x40004
	s_mul_i32 s3, ttmp9, s3
	s_mul_i32 s4, s6, s4
	s_getreg_b32 s30, hwreg(HW_REG_IB_STS2, 6, 4)
	s_add_co_i32 s2, s2, s3
	s_add_co_i32 s3, s5, s4
	s_cmp_eq_u32 s30, 0
	s_clause 0x1
	s_load_b32 s31, s[0:1], 0x80
	s_load_b64 s[4:5], s[0:1], 0x30
	s_cselect_b32 s33, s6, s3
	s_cselect_b32 s2, ttmp9, s2
	s_wait_kmcnt 0x0
	s_abs_i32 s3, s24
	s_delay_alu instid0(SALU_CYCLE_1) | instskip(SKIP_1) | instid1(SALU_CYCLE_2)
	s_cvt_f32_u32 s6, s3
	s_sub_co_i32 s7, 0, s3
	v_rcp_iflag_f32_e32 v1, s6
	s_abs_i32 s8, s31
	v_nop
	s_delay_alu instid0(TRANS32_DEP_1) | instskip(SKIP_1) | instid1(SALU_CYCLE_3)
	v_readfirstlane_b32 s6, v1
	s_mul_f32 s6, s6, 0x4f7ffffe
	s_cvt_u32_f32 s6, s6
	s_delay_alu instid0(SALU_CYCLE_3) | instskip(NEXT) | instid1(SALU_CYCLE_1)
	s_mul_i32 s7, s7, s6
	s_mul_hi_u32 s7, s6, s7
	s_delay_alu instid0(SALU_CYCLE_1) | instskip(SKIP_4) | instid1(SALU_CYCLE_1)
	s_add_co_i32 s6, s6, s7
	s_xor_b32 s7, s31, s24
	s_mul_hi_u32 s6, s8, s6
	s_ashr_i32 s7, s7, 31
	s_mul_i32 s9, s6, s3
	s_sub_co_i32 s8, s8, s9
	s_add_co_i32 s9, s6, 1
	s_sub_co_i32 s10, s8, s3
	s_cmp_ge_u32 s8, s3
	s_cselect_b32 s6, s9, s6
	s_cselect_b32 s8, s10, s8
	s_add_co_i32 s9, s6, 1
	s_cmp_ge_u32 s8, s3
	s_load_b64 s[10:11], s[0:1], 0x40
	s_cselect_b32 s3, s9, s6
	s_mov_b32 s9, 0
	s_xor_b32 s3, s3, s7
	s_abs_i32 s8, s2
	s_sub_co_i32 s16, s3, s7
	s_mov_b32 s7, s9
	s_abs_i32 s15, s16
	s_mov_b32 s38, s9
	s_cvt_f32_u32 s3, s15
	s_sub_co_i32 s6, 0, s15
	s_delay_alu instid0(SALU_CYCLE_2) | instskip(SKIP_1) | instid1(TRANS32_DEP_1)
	v_rcp_iflag_f32_e32 v1, s3
	v_nop
	v_readfirstlane_b32 s3, v1
	s_mul_f32 s3, s3, 0x4f7ffffe
	s_delay_alu instid0(SALU_CYCLE_3) | instskip(NEXT) | instid1(SALU_CYCLE_3)
	s_cvt_u32_f32 s3, s3
	s_mul_i32 s6, s6, s3
	s_delay_alu instid0(SALU_CYCLE_1) | instskip(NEXT) | instid1(SALU_CYCLE_1)
	s_mul_hi_u32 s6, s3, s6
	s_add_co_i32 s6, s3, s6
	s_wait_kmcnt 0x0
	s_cmp_eq_u64 s[10:11], 0
	s_cbranch_scc1 .LBB275_2
; %bb.1:
	s_ashr_i32 s3, s2, 31
	s_delay_alu instid0(SALU_CYCLE_1) | instskip(NEXT) | instid1(SALU_CYCLE_1)
	s_lshl_b64 s[12:13], s[2:3], 2
	s_add_nc_u64 s[10:11], s[10:11], s[12:13]
	s_load_b32 s38, s[10:11], 0x0
.LBB275_2:
	s_load_b32 s34, s[4:5], s33 offset:0x0 scale_offset
	s_load_b96 s[12:14], s[0:1], 0x48
	s_ashr_i32 s3, s2, 31
	s_ashr_i32 s18, s16, 31
	s_wait_xcnt 0x0
	s_mul_u64 s[10:11], s[8:9], s[6:7]
	s_lshl_b32 s16, s2, 6
	s_mov_b32 s4, exec_lo
	v_cmpx_gt_u32_e32 8, v0
	s_cbranch_execz .LBB275_4
; %bb.3:
	s_load_b64 s[6:7], s[0:1], 0x8
	s_wait_kmcnt 0x0
	s_mul_i32 s20, s12, s33
	s_ashr_i32 s17, s16, 31
	s_ashr_i32 s21, s20, 31
	v_lshlrev_b32_e32 v1, 4, v0
	s_lshl_b64 s[20:21], s[20:21], 1
	s_delay_alu instid0(SALU_CYCLE_1) | instskip(SKIP_1) | instid1(SALU_CYCLE_1)
	s_add_nc_u64 s[6:7], s[6:7], s[20:21]
	s_lshl_b64 s[20:21], s[16:17], 1
	s_add_nc_u64 s[6:7], s[6:7], s[20:21]
	global_load_b128 v[2:5], v0, s[6:7] scale_offset
	s_wait_loadcnt 0x0
	ds_store_b128 v1, v[2:5]
.LBB275_4:
	s_or_b32 exec_lo, exec_lo, s4
	s_load_b128 s[4:7], s[0:1], 0x68
	s_mul_i32 s9, s11, s15
	s_xor_b32 s3, s3, s18
	s_sub_co_i32 s8, s8, s9
	s_add_co_i32 s9, s11, 1
	s_sub_co_i32 s10, s8, s15
	s_cmp_ge_u32 s8, s15
	s_wait_dscnt 0x0
	s_cselect_b32 s9, s9, s11
	s_cselect_b32 s8, s10, s8
	s_add_co_i32 s11, s9, 1
	s_cmp_ge_u32 s8, s15
	s_load_b32 s10, s[0:1], 0x78
	s_cselect_b32 s8, s11, s9
	s_wait_kmcnt 0x0
	s_add_co_i32 s11, s34, -1
	s_xor_b32 s8, s8, s3
	s_mov_b32 s15, -1
	s_sub_co_i32 s3, s8, s3
	s_barrier_signal -1
	s_barrier_wait -1
	s_abs_i32 s12, s7
	s_delay_alu instid0(SALU_CYCLE_1) | instskip(NEXT) | instid1(SALU_CYCLE_3)
	s_cvt_f32_u32 s9, s12
	v_rcp_iflag_f32_e32 v1, s9
	v_nop
	s_delay_alu instid0(TRANS32_DEP_1) | instskip(SKIP_1) | instid1(SALU_CYCLE_3)
	v_readfirstlane_b32 s9, v1
	s_mul_f32 s8, s9, 0x4f7ffffe
	s_cvt_u32_f32 s17, s8
	s_sub_co_i32 s8, 0, s12
	s_delay_alu instid0(SALU_CYCLE_2)
	s_mul_i32 s9, s8, s17
	s_abs_i32 s8, s11
	s_mul_hi_u32 s18, s17, s9
	s_mov_b32 s9, 0
	s_add_co_i32 s18, s17, s18
	s_cmp_lt_i32 s10, 0
	s_mov_b32 s19, s9
                                        ; implicit-def: $sgpr17
	s_cbranch_scc0 .LBB275_6
; %bb.5:
	s_mul_i32 s15, s4, s24
	s_delay_alu instid0(SALU_CYCLE_1) | instskip(NEXT) | instid1(SALU_CYCLE_1)
	s_add_co_i32 s15, s3, s15
	s_mul_i32 s15, s15, s10
	s_delay_alu instid0(SALU_CYCLE_1)
	s_sub_co_i32 s17, 1, s15
	s_mov_b32 s15, s9
.LBB275_6:
	s_ashr_i32 s11, s11, 31
	s_ashr_i32 s35, s7, 31
	s_and_not1_b32 vcc_lo, exec_lo, s15
	s_mul_u64 s[26:27], s[8:9], s[18:19]
	s_cbranch_vccnz .LBB275_8
; %bb.7:
	s_mul_i32 s4, s31, s4
	s_delay_alu instid0(SALU_CYCLE_1) | instskip(NEXT) | instid1(SALU_CYCLE_1)
	s_add_co_i32 s2, s4, s2
	s_mul_i32 s2, s2, s10
	s_delay_alu instid0(SALU_CYCLE_1)
	s_add_co_i32 s17, s2, 1
.LBB275_8:
	s_clause 0x1
	s_load_b32 s2, s[0:1], 0x38
	s_load_b64 s[20:21], s[0:1], 0x28
	s_mul_i32 s7, s27, s12
	s_xor_b32 s4, s11, s35
	s_sub_co_i32 s24, s8, s7
	s_add_co_i32 s15, s27, 1
	s_clause 0x1
	s_load_b32 s7, s[0:1], 0x88
	s_load_b128 s[8:11], s[0:1], 0x58
	v_dual_lshrrev_b32 v92, 5, v0 :: v_dual_bitop2_b32 v93, 31, v0 bitop3:0x40
	v_dual_mov_b32 v94, 0xff7fffff :: v_dual_lshrrev_b32 v1, 3, v0
	s_mul_i32 s14, s3, s14
	s_delay_alu instid0(VALU_DEP_2)
	v_dual_lshlrev_b32 v6, 5, v92 :: v_dual_lshlrev_b32 v7, 2, v93
	s_wait_kmcnt 0x0
	s_mul_i32 s22, s2, s33
	s_sub_co_i32 s2, s24, s12
	s_ashr_i32 s23, s22, 31
	s_cmp_ge_u32 s24, s12
	s_cselect_b32 s15, s15, s27
	s_cselect_b32 s2, s2, s24
	s_add_co_i32 s24, s15, 1
	s_cmp_ge_u32 s2, s12
	s_cselect_b32 s2, s24, s15
	s_add_co_i32 s15, s34, 31
	s_delay_alu instid0(SALU_CYCLE_1) | instskip(NEXT) | instid1(SALU_CYCLE_1)
	s_ashr_i32 s24, s15, 31
	s_lshr_b32 s24, s24, 27
	s_delay_alu instid0(SALU_CYCLE_1) | instskip(NEXT) | instid1(SALU_CYCLE_1)
	s_add_co_i32 s15, s15, s24
	s_ashr_i32 s36, s15, 5
	s_xor_b32 s15, s2, s4
	v_cmp_gt_i32_e64 s2, s36, v92
	s_sub_co_i32 s37, s15, s4
	s_and_saveexec_b32 s24, s2
	s_cbranch_execz .LBB275_528
; %bb.9:
	s_sub_co_i32 s39, s37, s5
	s_ashr_i32 s15, s14, 31
	s_cmp_neq_f32 s38, 0
	s_load_b64 s[28:29], s[0:1], 0x10
	v_dual_mov_b32 v9, 0 :: v_dual_lshlrev_b32 v8, 4, v93
	s_cselect_b32 vcc_lo, -1, 0
	s_abs_i32 s40, s6
	s_lshl_b64 s[42:43], s[22:23], 2
	s_cvt_f32_u32 s3, s40
	v_subrev_nc_u32_e32 v3, s34, v93
	v_lshl_or_b32 v4, v92, 7, v7
	s_sub_co_i32 s4, 0, s40
	v_rcp_iflag_f32_e32 v2, s3
	v_dual_mov_b32 v95, 0xff7fffff :: v_dual_lshlrev_b32 v10, 5, v92
	v_dual_mov_b32 v94, 0xff7fffff :: v_dual_add_nc_u32 v97, 1, v3
	v_mov_b32_e32 v96, v92
	v_add_nc_u32_e32 v98, 0xa0, v4
	s_delay_alu instid0(TRANS32_DEP_1)
	v_readfirstlane_b32 s3, v2
	s_mov_b32 s41, s13
	s_mov_b64 s[26:27], 0xffffffffffffff
	s_wait_kmcnt 0x0
	s_add_nc_u64 s[28:29], s[28:29], s[14:15]
	s_mul_f32 s3, s3, 0x4f7ffffe
	v_add_nc_u64_e32 v[12:13], s[28:29], v[8:9]
	v_and_b32_e32 v8, 0x7c, v1
	s_add_nc_u64 s[28:29], s[20:21], s[42:43]
	s_cvt_u32_f32 s3, s3
	s_delay_alu instid0(VALU_DEP_1) | instskip(NEXT) | instid1(SALU_CYCLE_2)
	v_add_nc_u64_e32 v[14:15], s[28:29], v[8:9]
	s_mul_i32 s4, s4, s3
	s_mov_b32 s29, 0
	s_mul_hi_u32 s4, s3, s4
	s_mov_b32 s15, s29
	s_add_co_i32 s28, s3, s4
	s_branch .LBB275_15
.LBB275_10:                             ;   in Loop: Header=BB275_15 Depth=1
	s_or_b32 exec_lo, exec_lo, s45
	s_delay_alu instid0(VALU_DEP_1) | instskip(NEXT) | instid1(VALU_DEP_2)
	v_dual_lshlrev_b32 v4, 8, v8 :: v_dual_lshlrev_b32 v2, 23, v2
	v_lshl_add_u32 v3, v3, 10, 0x2000
	s_delay_alu instid0(VALU_DEP_1) | instskip(NEXT) | instid1(VALU_DEP_1)
	v_and_or_b32 v3, 0x8000, v4, v3
	v_lshl_or_b32 v117, v3, 16, v2
.LBB275_11:                             ;   in Loop: Header=BB275_15 Depth=1
	s_or_b32 exec_lo, exec_lo, s44
.LBB275_12:                             ;   in Loop: Header=BB275_15 Depth=1
	s_delay_alu instid0(SALU_CYCLE_1)
	s_or_b32 exec_lo, exec_lo, s43
.LBB275_13:                             ;   in Loop: Header=BB275_15 Depth=1
	s_delay_alu instid0(SALU_CYCLE_1)
	s_or_b32 exec_lo, exec_lo, s42
	ds_load_b128 v[2:5], v9
	v_or_b32_e32 v17, v16, v17
	v_or_b32_e32 v8, v18, v19
	v_fma_mixlo_f16 v16, v11, v16, 0 op_sel:[0,1,0] op_sel_hi:[0,1,0]
	v_or_b32_e32 v19, v22, v21
	v_or_b32_e32 v20, v23, v20
	v_fma_mixlo_f16 v18, v11, v18, 0 op_sel:[0,1,0] op_sel_hi:[0,1,0]
	v_fma_mixlo_f16 v22, v11, v22, 0 op_sel:[0,1,0] op_sel_hi:[0,1,0]
	v_and_b32_e32 v16, 0xffff, v16
	v_fma_mixlo_f16 v48, v11, v23, 0 op_sel:[0,1,0] op_sel_hi:[0,1,0]
	v_fma_mixlo_f16 v49, v11, v20, 0 op_sel_hi:[0,1,0]
	s_wait_dscnt 0x0
	v_lshrrev_b32_e32 v21, 16, v3
	v_fma_mixlo_f16 v17, v11, v17, 0 op_sel_hi:[0,1,0]
	v_and_b32_e32 v3, 0xffff, v3
	v_and_b32_e32 v20, 0xffff, v2
	v_lshrrev_b32_e32 v2, 16, v2
	v_fma_mixlo_f16 v8, v11, v8, 0 op_sel_hi:[0,1,0]
	v_and_b32_e32 v17, 0xffff, v17
	;;#ASMSTART
	v_cvt_f32_f16 v40, v20;
	;;#ASMEND
	;;#ASMSTART
	v_cvt_f32_f16 v41, v2;
	;;#ASMEND
	;;#ASMSTART
	v_cvt_f32_f16 v42, v17;
	;;#ASMEND
	;;#ASMSTART
	v_cvt_f32_f16 v43, v16;
	;;#ASMEND
	;;#ASMSTART
	v_cvt_f32_f16 v25, v3;
	;;#ASMEND
	v_and_b32_e32 v3, 0xffff, v4
	v_lshrrev_b32_e32 v4, 16, v4
	v_fma_mixlo_f16 v19, v11, v19, 0 op_sel_hi:[0,1,0]
	v_and_b32_e32 v2, 0xffff, v18
	v_and_b32_e32 v8, 0xffff, v8
	;;#ASMSTART
	v_cvt_f32_f16 v24, v21;
	;;#ASMEND
	;;#ASMSTART
	v_cvt_f32_f16 v27, v8;
	;;#ASMEND
	v_and_b32_e32 v16, 0xffff, v19
	;;#ASMSTART
	v_cvt_f32_f16 v26, v2;
	;;#ASMEND
	;;#ASMSTART
	v_cvt_f32_f16 v21, v3;
	;;#ASMEND
	;; [unrolled: 3-line block ×3, first 2 shown]
	v_and_b32_e32 v2, 0xffff, v22
	v_and_b32_e32 v3, 0xffff, v5
	v_lshrrev_b32_e32 v4, 16, v5
	v_and_b32_e32 v5, 0xffff, v49
	;;#ASMSTART
	v_cvt_f32_f16 v23, v16;
	;;#ASMEND
	v_and_b32_e32 v8, 0xffff, v48
	;;#ASMSTART
	v_cvt_f32_f16 v22, v2;
	;;#ASMEND
	;;#ASMSTART
	v_cvt_f32_f16 v17, v3;
	;;#ASMEND
	;; [unrolled: 3-line block ×5, first 2 shown]
	ds_load_b128 v[2:5], v9 offset:16
	v_or_b32_e32 v8, v34, v31
	v_fma_mixlo_f16 v31, v11, v34, 0 op_sel:[0,1,0] op_sel_hi:[0,1,0]
	s_delay_alu instid0(VALU_DEP_1)
	v_and_b32_e32 v31, 0xffff, v31
	s_wait_dscnt 0x0
	v_and_b32_e32 v34, 0xffff, v2
	v_lshrrev_b32_e32 v2, 16, v2
	v_fma_mixlo_f16 v8, v11, v8, 0 op_sel_hi:[0,1,0]
	;;#ASMSTART
	v_cvt_f32_f16 v48, v34;
	;;#ASMEND
	;;#ASMSTART
	v_cvt_f32_f16 v49, v2;
	;;#ASMEND
	v_dual_lshrrev_b32 v34, 16, v3 :: v_dual_lshrrev_b32 v57, 16, v4
	s_delay_alu instid0(VALU_DEP_2)
	v_and_b32_e32 v8, 0xffff, v8
	;;#ASMSTART
	v_cvt_f32_f16 v50, v8;
	;;#ASMEND
	;;#ASMSTART
	v_cvt_f32_f16 v51, v31;
	;;#ASMEND
	v_and_b32_e32 v31, 0xffff, v3
	v_and_b32_e32 v56, 0xffff, v4
	v_dual_lshrrev_b32 v58, 16, v5 :: v_dual_bitop2_b32 v2, v29, v28 bitop3:0x54
	v_or_b32_e32 v3, v32, v30
	v_or_b32_e32 v4, v35, v33
	v_and_b32_e32 v59, 0xffff, v5
	s_delay_alu instid0(VALU_DEP_4)
	v_fma_mixlo_f16 v2, v11, v2, 0 op_sel_hi:[0,1,0]
	v_fma_mixlo_f16 v5, v11, v29, 0 op_sel:[0,1,0] op_sel_hi:[0,1,0]
	v_fma_mixlo_f16 v28, v11, v3, 0 op_sel_hi:[0,1,0]
	v_fma_mixlo_f16 v29, v11, v4, 0 op_sel_hi:[0,1,0]
	v_fma_mixlo_f16 v30, v11, v35, 0 op_sel:[0,1,0] op_sel_hi:[0,1,0]
	v_fma_mixlo_f16 v8, v11, v32, 0 op_sel:[0,1,0] op_sel_hi:[0,1,0]
	v_and_b32_e32 v4, 0xffff, v2
	v_and_b32_e32 v32, 0xffff, v5
	;;#ASMSTART
	v_cvt_f32_f16 v3, v31;
	;;#ASMEND
	v_and_b32_e32 v28, 0xffff, v28
	v_and_b32_e32 v31, 0xffff, v29
	;; [unrolled: 1-line block ×3, first 2 shown]
	;;#ASMSTART
	v_cvt_f32_f16 v2, v34;
	;;#ASMEND
	;;#ASMSTART
	v_cvt_f32_f16 v5, v4;
	;;#ASMEND
	;; [unrolled: 3-line block ×4, first 2 shown]
	v_and_b32_e32 v8, 0xffff, v8
	;;#ASMSTART
	v_cvt_f32_f16 v32, v57;
	;;#ASMEND
	;;#ASMSTART
	v_cvt_f32_f16 v35, v28;
	;;#ASMEND
	;; [unrolled: 3-line block ×7, first 2 shown]
	ds_load_b128 v[56:59], v9 offset:32
	v_or_b32_e32 v8, v38, v36
	v_fma_mixlo_f16 v36, v11, v38, 0 op_sel:[0,1,0] op_sel_hi:[0,1,0]
	v_pk_mul_f32 v[122:123], v[48:49], v[50:51]
	v_pk_mul_f32 v[2:3], v[2:3], v[4:5]
	;; [unrolled: 1-line block ×3, first 2 shown]
	v_fma_mixlo_f16 v8, v11, v8, 0 op_sel_hi:[0,1,0]
	v_and_b32_e32 v36, 0xffff, v36
	v_pk_fma_f32 v[40:41], v[40:41], v[42:43], v[122:123]
	v_fma_mixlo_f16 v42, v11, v76, 0 op_sel:[0,1,0] op_sel_hi:[0,1,0]
	v_pk_fma_f32 v[20:21], v[20:21], v[22:23], v[32:33]
	v_and_b32_e32 v8, 0xffff, v8
	v_fma_mixlo_f16 v22, v11, v114, 0 op_sel:[0,1,0] op_sel_hi:[0,1,0]
	v_or_b32_e32 v23, v117, v115
	v_pk_mul_f32 v[28:29], v[28:29], v[30:31]
	s_delay_alu instid0(VALU_DEP_1)
	v_pk_fma_f32 v[16:17], v[16:17], v[18:19], v[28:29]
	s_wait_dscnt 0x0
	v_and_b32_e32 v38, 0xffff, v56
	v_lshrrev_b32_e32 v56, 16, v56
	;;#ASMSTART
	v_cvt_f32_f16 v64, v38;
	;;#ASMEND
	;;#ASMSTART
	v_cvt_f32_f16 v65, v56;
	;;#ASMEND
	;; [unrolled: 3-line block ×3, first 2 shown]
	v_dual_lshrrev_b32 v72, 16, v59 :: v_dual_bitop2_b32 v8, v44, v37 bitop3:0x54
	;;#ASMSTART
	v_cvt_f32_f16 v67, v36;
	;;#ASMEND
	v_fma_mixlo_f16 v36, v11, v44, 0 op_sel:[0,1,0] op_sel_hi:[0,1,0]
	v_and_b32_e32 v38, 0xffff, v57
	s_delay_alu instid0(VALU_DEP_3)
	v_fma_mixlo_f16 v8, v11, v8, 0 op_sel_hi:[0,1,0]
	v_lshrrev_b32_e32 v37, 16, v57
	;;#ASMSTART
	v_cvt_f32_f16 v57, v38;
	;;#ASMEND
	v_and_b32_e32 v38, 0xffff, v36
	v_or_b32_e32 v36, v47, v46
	v_and_b32_e32 v44, 0xffff, v8
	v_dual_lshrrev_b32 v61, 16, v58 :: v_dual_bitop2_b32 v8, v45, v39 bitop3:0x54
	v_and_b32_e32 v63, 0xffff, v58
	v_and_b32_e32 v73, 0xffff, v59
	;;#ASMSTART
	v_cvt_f32_f16 v56, v37;
	;;#ASMEND
	s_delay_alu instid0(VALU_DEP_3)
	v_fma_mixlo_f16 v8, v11, v8, 0 op_sel_hi:[0,1,0]
	;;#ASMSTART
	v_cvt_f32_f16 v59, v44;
	;;#ASMEND
	;;#ASMSTART
	v_cvt_f32_f16 v58, v38;
	;;#ASMEND
	v_fma_mixlo_f16 v37, v11, v45, 0 op_sel:[0,1,0] op_sel_hi:[0,1,0]
	;;#ASMSTART
	v_cvt_f32_f16 v45, v63;
	;;#ASMEND
	v_and_b32_e32 v38, 0xffff, v8
	v_fma_mixlo_f16 v8, v11, v36, 0 op_sel_hi:[0,1,0]
	v_fma_mixlo_f16 v36, v11, v47, 0 op_sel:[0,1,0] op_sel_hi:[0,1,0]
	v_and_b32_e32 v37, 0xffff, v37
	;;#ASMSTART
	v_cvt_f32_f16 v44, v61;
	;;#ASMEND
	;;#ASMSTART
	v_cvt_f32_f16 v47, v38;
	;;#ASMEND
	v_and_b32_e32 v8, 0xffff, v8
	v_and_b32_e32 v38, 0xffff, v36
	;;#ASMSTART
	v_cvt_f32_f16 v46, v37;
	;;#ASMEND
	;;#ASMSTART
	v_cvt_f32_f16 v37, v73;
	;;#ASMEND
	;; [unrolled: 3-line block ×5, first 2 shown]
	ds_load_b128 v[78:81], v9 offset:48
	v_or_b32_e32 v8, v54, v52
	v_fma_mixlo_f16 v52, v11, v54, 0 op_sel:[0,1,0] op_sel_hi:[0,1,0]
	v_pk_fma_f32 v[20:21], v[44:45], v[46:47], v[20:21]
	v_pk_fma_f32 v[16:17], v[36:37], v[38:39], v[16:17]
	s_delay_alu instid0(VALU_DEP_3)
	v_and_b32_e32 v48, 0xffff, v52
	s_wait_dscnt 0x0
	v_lshrrev_b32_e32 v77, 16, v81
	v_fma_mixlo_f16 v8, v11, v8, 0 op_sel_hi:[0,1,0]
	v_and_b32_e32 v54, 0xffff, v78
	v_lshrrev_b32_e32 v61, 16, v78
	;;#ASMSTART
	v_cvt_f32_f16 v72, v54;
	;;#ASMEND
	;;#ASMSTART
	v_cvt_f32_f16 v73, v61;
	;;#ASMEND
	v_and_b32_e32 v8, 0xffff, v8
	;;#ASMSTART
	v_cvt_f32_f16 v74, v8;
	;;#ASMEND
	v_dual_lshrrev_b32 v51, 16, v80 :: v_dual_bitop2_b32 v8, v60, v53 bitop3:0x54
	;;#ASMSTART
	v_cvt_f32_f16 v75, v48;
	;;#ASMEND
	v_fma_mixlo_f16 v48, v11, v60, 0 op_sel:[0,1,0] op_sel_hi:[0,1,0]
	v_and_b32_e32 v50, 0xffff, v79
	s_delay_alu instid0(VALU_DEP_3)
	v_fma_mixlo_f16 v8, v11, v8, 0 op_sel_hi:[0,1,0]
	v_lshrrev_b32_e32 v49, 16, v79
	;;#ASMSTART
	v_cvt_f32_f16 v61, v50;
	;;#ASMEND
	v_and_b32_e32 v50, 0xffff, v48
	v_or_b32_e32 v48, v70, v62
	v_and_b32_e32 v53, 0xffff, v8
	v_or_b32_e32 v8, v68, v55
	;;#ASMSTART
	v_cvt_f32_f16 v60, v49;
	;;#ASMEND
	;;#ASMSTART
	v_cvt_f32_f16 v63, v53;
	;;#ASMEND
	;; [unrolled: 3-line block ×3, first 2 shown]
	v_fma_mixlo_f16 v49, v11, v68, 0 op_sel:[0,1,0] op_sel_hi:[0,1,0]
	v_fma_mixlo_f16 v8, v11, v8, 0 op_sel_hi:[0,1,0]
	v_and_b32_e32 v52, 0xffff, v80
	;;#ASMSTART
	v_cvt_f32_f16 v53, v52;
	;;#ASMEND
	;;#ASMSTART
	v_cvt_f32_f16 v52, v51;
	;;#ASMEND
	v_and_b32_e32 v49, 0xffff, v49
	v_and_b32_e32 v50, 0xffff, v8
	v_fma_mixlo_f16 v8, v11, v48, 0 op_sel_hi:[0,1,0]
	v_fma_mixlo_f16 v48, v11, v70, 0 op_sel:[0,1,0] op_sel_hi:[0,1,0]
	;;#ASMSTART
	v_cvt_f32_f16 v55, v50;
	;;#ASMEND
	v_and_b32_e32 v78, 0xffff, v81
	;;#ASMSTART
	v_cvt_f32_f16 v54, v49;
	;;#ASMEND
	v_and_b32_e32 v8, 0xffff, v8
	v_and_b32_e32 v50, 0xffff, v48
	;;#ASMSTART
	v_cvt_f32_f16 v49, v78;
	;;#ASMEND
	;;#ASMSTART
	v_cvt_f32_f16 v48, v77;
	;;#ASMEND
	;; [unrolled: 3-line block ×4, first 2 shown]
	ds_load_b128 v[118:121], v9 offset:64
	v_or_b32_e32 v8, v76, v69
	v_pk_fma_f32 v[80:81], v[64:65], v[66:67], v[40:41]
	v_and_b32_e32 v40, 0xffff, v42
	v_pk_fma_f32 v[20:21], v[52:53], v[54:55], v[20:21]
	v_pk_fma_f32 v[16:17], v[48:49], v[50:51], v[16:17]
	s_delay_alu instid0(VALU_DEP_4)
	v_pk_fma_f32 v[72:73], v[72:73], v[74:75], v[80:81]
	v_fma_mixlo_f16 v74, v11, v89, 0 op_sel:[0,1,0] op_sel_hi:[0,1,0]
	s_wait_dscnt 0x0
	v_and_b32_e32 v43, 0xffff, v118
	;;#ASMSTART
	v_cvt_f32_f16 v76, v43;
	;;#ASMEND
	v_lshrrev_b32_e32 v43, 16, v120
	v_fma_mixlo_f16 v8, v11, v8, 0 op_sel_hi:[0,1,0]
	v_lshrrev_b32_e32 v68, 16, v118
	;;#ASMSTART
	v_cvt_f32_f16 v77, v68;
	;;#ASMEND
	v_lshrrev_b32_e32 v118, 16, v121
	v_and_b32_e32 v42, 0xffff, v119
	v_and_b32_e32 v8, 0xffff, v8
	;;#ASMSTART
	v_cvt_f32_f16 v78, v8;
	;;#ASMEND
	v_or_b32_e32 v8, v83, v71
	;;#ASMSTART
	v_cvt_f32_f16 v79, v40;
	;;#ASMEND
	v_fma_mixlo_f16 v40, v11, v83, 0 op_sel:[0,1,0] op_sel_hi:[0,1,0]
	v_lshrrev_b32_e32 v41, 16, v119
	;;#ASMSTART
	v_cvt_f32_f16 v69, v42;
	;;#ASMEND
	v_fma_mixlo_f16 v8, v11, v8, 0 op_sel_hi:[0,1,0]
	;;#ASMSTART
	v_cvt_f32_f16 v68, v41;
	;;#ASMEND
	v_and_b32_e32 v42, 0xffff, v40
	v_or_b32_e32 v40, v87, v85
	v_fma_mixlo_f16 v41, v11, v84, 0 op_sel:[0,1,0] op_sel_hi:[0,1,0]
	v_and_b32_e32 v65, 0xffff, v8
	v_or_b32_e32 v8, v84, v82
	;;#ASMSTART
	v_cvt_f32_f16 v71, v65;
	;;#ASMEND
	;;#ASMSTART
	v_cvt_f32_f16 v70, v42;
	;;#ASMEND
	v_and_b32_e32 v64, 0xffff, v120
	v_and_b32_e32 v83, 0xffff, v121
	v_fma_mixlo_f16 v8, v11, v8, 0 op_sel_hi:[0,1,0]
	;;#ASMSTART
	v_cvt_f32_f16 v65, v64;
	;;#ASMEND
	v_and_b32_e32 v41, 0xffff, v41
	;;#ASMSTART
	v_cvt_f32_f16 v64, v43;
	;;#ASMEND
	s_delay_alu instid0(VALU_DEP_2)
	v_and_b32_e32 v42, 0xffff, v8
	v_fma_mixlo_f16 v8, v11, v40, 0 op_sel_hi:[0,1,0]
	v_fma_mixlo_f16 v40, v11, v87, 0 op_sel:[0,1,0] op_sel_hi:[0,1,0]
	;;#ASMSTART
	v_cvt_f32_f16 v67, v42;
	;;#ASMEND
	;;#ASMSTART
	v_cvt_f32_f16 v66, v41;
	;;#ASMEND
	;; [unrolled: 3-line block ×3, first 2 shown]
	v_and_b32_e32 v8, 0xffff, v8
	v_and_b32_e32 v42, 0xffff, v40
	;;#ASMSTART
	v_cvt_f32_f16 v40, v118;
	;;#ASMEND
	;;#ASMSTART
	v_cvt_f32_f16 v43, v8;
	;;#ASMEND
	;; [unrolled: 3-line block ×3, first 2 shown]
	ds_load_b128 v[82:85], v9 offset:80
	v_or_b32_e32 v8, v89, v86
	v_pk_fma_f32 v[118:119], v[76:77], v[78:79], v[72:73]
	v_and_b32_e32 v72, 0xffff, v74
	v_pk_fma_f32 v[18:19], v[64:65], v[66:67], v[20:21]
	v_pk_fma_f32 v[16:17], v[40:41], v[42:43], v[16:17]
	s_wait_dscnt 0x0
	v_and_b32_e32 v75, 0xffff, v82
	;;#ASMSTART
	v_cvt_f32_f16 v120, v75;
	;;#ASMEND
	v_lshrrev_b32_e32 v75, 16, v84
	v_fma_mixlo_f16 v8, v11, v8, 0 op_sel_hi:[0,1,0]
	v_lshrrev_b32_e32 v80, 16, v82
	;;#ASMSTART
	v_cvt_f32_f16 v121, v80;
	;;#ASMEND
	v_and_b32_e32 v76, 0xffff, v84
	v_lshrrev_b32_e32 v84, 16, v85
	v_and_b32_e32 v8, 0xffff, v8
	;;#ASMSTART
	v_cvt_f32_f16 v122, v8;
	;;#ASMEND
	v_or_b32_e32 v8, v91, v88
	;;#ASMSTART
	v_cvt_f32_f16 v123, v72;
	;;#ASMEND
	v_fma_mixlo_f16 v72, v11, v91, 0 op_sel:[0,1,0] op_sel_hi:[0,1,0]
	v_and_b32_e32 v74, 0xffff, v83
	v_lshrrev_b32_e32 v73, 16, v83
	v_fma_mixlo_f16 v8, v11, v8, 0 op_sel_hi:[0,1,0]
	;;#ASMSTART
	v_cvt_f32_f16 v81, v74;
	;;#ASMEND
	v_and_b32_e32 v74, 0xffff, v72
	v_or_b32_e32 v72, v102, v100
	;;#ASMSTART
	v_cvt_f32_f16 v80, v73;
	;;#ASMEND
	v_and_b32_e32 v77, 0xffff, v8
	v_or_b32_e32 v8, v99, v90
	;;#ASMSTART
	v_cvt_f32_f16 v83, v77;
	;;#ASMEND
	;;#ASMSTART
	v_cvt_f32_f16 v82, v74;
	;;#ASMEND
	v_fma_mixlo_f16 v73, v11, v99, 0 op_sel:[0,1,0] op_sel_hi:[0,1,0]
	v_and_b32_e32 v85, 0xffff, v85
	v_fma_mixlo_f16 v8, v11, v8, 0 op_sel_hi:[0,1,0]
	;;#ASMSTART
	v_cvt_f32_f16 v77, v76;
	;;#ASMEND
	;;#ASMSTART
	v_cvt_f32_f16 v76, v75;
	;;#ASMEND
	v_and_b32_e32 v73, 0xffff, v73
	v_pk_fma_f32 v[118:119], v[120:121], v[122:123], v[118:119]
	v_and_b32_e32 v74, 0xffff, v8
	v_fma_mixlo_f16 v8, v11, v72, 0 op_sel_hi:[0,1,0]
	v_fma_mixlo_f16 v72, v11, v102, 0 op_sel:[0,1,0] op_sel_hi:[0,1,0]
	;;#ASMSTART
	v_cvt_f32_f16 v79, v74;
	;;#ASMEND
	;;#ASMSTART
	v_cvt_f32_f16 v78, v73;
	;;#ASMEND
	;; [unrolled: 3-line block ×3, first 2 shown]
	v_and_b32_e32 v8, 0xffff, v8
	v_and_b32_e32 v74, 0xffff, v72
	;;#ASMSTART
	v_cvt_f32_f16 v72, v84;
	;;#ASMEND
	;;#ASMSTART
	v_cvt_f32_f16 v75, v8;
	;;#ASMEND
	;; [unrolled: 3-line block ×3, first 2 shown]
	ds_load_b128 v[84:87], v9 offset:96
	v_or_b32_e32 v8, v104, v101
	v_pk_fma_f32 v[100:101], v[24:25], v[26:27], v[2:3]
	v_fma_mixlo_f16 v2, v11, v104, 0 op_sel:[0,1,0] op_sel_hi:[0,1,0]
	v_fma_mixlo_f16 v99, v11, v112, 0 op_sel:[0,1,0] op_sel_hi:[0,1,0]
	v_pk_fma_f32 v[18:19], v[76:77], v[78:79], v[18:19]
	s_delay_alu instid0(VALU_DEP_4) | instskip(NEXT) | instid1(VALU_DEP_3)
	v_pk_fma_f32 v[56:57], v[56:57], v[58:59], v[100:101]
	v_and_b32_e32 v99, 0xffff, v99
	s_delay_alu instid0(VALU_DEP_2) | instskip(NEXT) | instid1(VALU_DEP_1)
	v_pk_fma_f32 v[56:57], v[60:61], v[62:63], v[56:57]
	v_pk_fma_f32 v[56:57], v[68:69], v[70:71], v[56:57]
	s_wait_dscnt 0x0
	v_lshrrev_b32_e32 v26, 16, v87
	v_fma_mixlo_f16 v4, v11, v8, 0 op_sel_hi:[0,1,0]
	v_and_b32_e32 v8, 0xffff, v2
	v_or_b32_e32 v2, v106, v103
	v_and_b32_e32 v3, 0xffff, v84
	v_lshrrev_b32_e32 v5, 16, v84
	v_and_b32_e32 v4, 0xffff, v4
	;;#ASMSTART
	v_cvt_f32_f16 v120, v3;
	;;#ASMEND
	;;#ASMSTART
	v_cvt_f32_f16 v121, v5;
	;;#ASMEND
	;; [unrolled: 3-line block ×4, first 2 shown]
	v_lshrrev_b32_e32 v8, 16, v86
	v_fma_mixlo_f16 v2, v11, v2, 0 op_sel_hi:[0,1,0]
	v_fma_mixlo_f16 v3, v11, v106, 0 op_sel:[0,1,0] op_sel_hi:[0,1,0]
	v_and_b32_e32 v5, 0xffff, v85
	v_lshrrev_b32_e32 v4, 16, v85
	;;#ASMSTART
	v_cvt_f32_f16 v89, v5;
	;;#ASMEND
	v_and_b32_e32 v27, 0xffff, v2
	v_or_b32_e32 v2, v107, v105
	v_and_b32_e32 v5, 0xffff, v3
	v_or_b32_e32 v3, v110, v108
	;;#ASMSTART
	v_cvt_f32_f16 v88, v4;
	;;#ASMEND
	;;#ASMSTART
	v_cvt_f32_f16 v91, v27;
	;;#ASMEND
	v_fma_mixlo_f16 v2, v11, v2, 0 op_sel_hi:[0,1,0]
	;;#ASMSTART
	v_cvt_f32_f16 v90, v5;
	;;#ASMEND
	v_fma_mixlo_f16 v4, v11, v107, 0 op_sel:[0,1,0] op_sel_hi:[0,1,0]
	v_and_b32_e32 v24, 0xffff, v86
	v_and_b32_e32 v25, 0xffff, v87
	;; [unrolled: 1-line block ×3, first 2 shown]
	v_fma_mixlo_f16 v2, v11, v3, 0 op_sel_hi:[0,1,0]
	v_fma_mixlo_f16 v3, v11, v110, 0 op_sel:[0,1,0] op_sel_hi:[0,1,0]
	v_and_b32_e32 v4, 0xffff, v4
	;;#ASMSTART
	v_cvt_f32_f16 v85, v24;
	;;#ASMEND
	;;#ASMSTART
	v_cvt_f32_f16 v84, v8;
	;;#ASMEND
	v_and_b32_e32 v2, 0xffff, v2
	v_and_b32_e32 v3, 0xffff, v3
	;;#ASMSTART
	v_cvt_f32_f16 v87, v5;
	;;#ASMEND
	;;#ASMSTART
	v_cvt_f32_f16 v86, v4;
	;;#ASMEND
	;; [unrolled: 3-line block ×6, first 2 shown]
	ds_load_b128 v[2:5], v9 offset:112
	v_or_b32_e32 v8, v112, v109
	v_pk_fma_f32 v[58:59], v[120:121], v[102:103], v[118:119]
	v_pk_fma_f32 v[18:19], v[84:85], v[86:87], v[18:19]
	s_wait_dscnt 0x0
	v_and_b32_e32 v100, 0xffff, v2
	v_lshrrev_b32_e32 v2, 16, v2
	;;#ASMSTART
	v_cvt_f32_f16 v60, v100;
	;;#ASMEND
	;;#ASMSTART
	v_cvt_f32_f16 v61, v2;
	;;#ASMEND
	v_add_nc_u32_e32 v2, v97, v10
	v_fma_mixlo_f16 v8, v11, v8, 0 op_sel_hi:[0,1,0]
	v_and_b32_e32 v32, 0xffff, v3
	s_delay_alu instid0(VALU_DEP_2)
	v_and_b32_e32 v8, 0xffff, v8
	;;#ASMSTART
	v_cvt_f32_f16 v62, v8;
	;;#ASMEND
	;;#ASMSTART
	v_cvt_f32_f16 v63, v99;
	;;#ASMEND
	v_pk_fma_f32 v[34:35], v[60:61], v[62:63], v[58:59]
	v_cvt_f32_i32_e32 v58, v2
	v_or_b32_e32 v2, v116, v113
	v_or_b32_e32 v8, v114, v111
	v_fma_mixlo_f16 v61, v11, v23, 0 op_sel_hi:[0,1,0]
	v_fma_mixlo_f16 v59, v11, v116, 0 op_sel:[0,1,0] op_sel_hi:[0,1,0]
	s_delay_alu instid0(VALU_DEP_4)
	v_fma_mixlo_f16 v60, v11, v2, 0 op_sel_hi:[0,1,0]
	v_lshrrev_b32_e32 v2, 16, v3
	;;#ASMSTART
	v_cvt_f32_f16 v3, v32;
	;;#ASMEND
	v_and_b32_e32 v32, 0xffff, v22
	v_pk_fma_f32 v[22:23], v[80:81], v[82:83], v[56:57]
	v_fma_mixlo_f16 v8, v11, v8, 0 op_sel_hi:[0,1,0]
	;;#ASMSTART
	v_cvt_f32_f16 v2, v2;
	;;#ASMEND
	v_fma_mixlo_f16 v11, v11, v117, 0 op_sel:[0,1,0] op_sel_hi:[0,1,0]
	s_delay_alu instid0(VALU_DEP_3) | instskip(NEXT) | instid1(VALU_DEP_3)
	v_pk_fma_f32 v[22:23], v[88:89], v[90:91], v[22:23]
	v_and_b32_e32 v8, 0xffff, v8
	;;#ASMSTART
	v_cvt_f32_f16 v33, v8;
	;;#ASMEND
	v_and_b32_e32 v8, 0xffff, v4
	v_lshrrev_b32_e32 v4, 16, v4
	;;#ASMSTART
	v_cvt_f32_f16 v32, v32;
	;;#ASMEND
	v_pk_fma_f32 v[2:3], v[2:3], v[32:33], v[22:23]
	;;#ASMSTART
	v_cvt_f32_f16 v21, v8;
	;;#ASMEND
	;;#ASMSTART
	v_cvt_f32_f16 v20, v4;
	;;#ASMEND
	v_add_f32_e32 v4, v34, v35
	v_and_b32_e32 v8, 0xffff, v60
	v_and_b32_e32 v22, 0xffff, v59
	;;#ASMSTART
	v_cvt_f32_f16 v23, v8;
	;;#ASMEND
	;;#ASMSTART
	v_cvt_f32_f16 v22, v22;
	;;#ASMEND
	v_add_f32_e32 v3, v4, v3
	v_and_b32_e32 v8, 0xffff, v5
	v_pk_fma_f32 v[18:19], v[20:21], v[22:23], v[18:19]
	v_lshrrev_b32_e32 v20, 16, v5
	v_pk_fma_f32 v[4:5], v[72:73], v[74:75], v[16:17]
	v_add_f32_e32 v2, v2, v3
	;;#ASMSTART
	v_cvt_f32_f16 v3, v8;
	;;#ASMEND
	v_and_b32_e32 v16, 0xffff, v61
	v_and_b32_e32 v11, 0xffff, v11
	v_pk_fma_f32 v[4:5], v[24:25], v[26:27], v[4:5]
	v_add_f32_e32 v8, v2, v19
	;;#ASMSTART
	v_cvt_f32_f16 v2, v20;
	;;#ASMEND
	;;#ASMSTART
	v_cvt_f32_f16 v17, v16;
	;;#ASMEND
	;; [unrolled: 3-line block ×3, first 2 shown]
	v_pk_fma_f32 v[2:3], v[2:3], v[16:17], v[4:5]
	v_dual_add_f32 v4, v18, v8 :: v_dual_mul_f32 v5, s38, v58
	s_delay_alu instid0(VALU_DEP_1) | instskip(NEXT) | instid1(VALU_DEP_1)
	v_dual_add_f32 v3, v4, v3 :: v_dual_cndmask_b32 v4, 0, v5
	v_dual_add_f32 v2, v2, v3 :: v_dual_add_nc_u32 v3, v93, v10
	s_delay_alu instid0(VALU_DEP_1) | instskip(NEXT) | instid1(VALU_DEP_2)
	v_fmac_f32_e32 v4, s25, v2
	v_cmp_gt_i32_e64 s3, s34, v3
	s_delay_alu instid0(VALU_DEP_1) | instskip(NEXT) | instid1(VALU_DEP_1)
	v_dual_max_num_f32 v2, v94, v94 :: v_dual_cndmask_b32 v3, 0, v4, s3
	v_max_num_f32_e32 v2, v2, v4
	ds_store_b32 v98, v3
	v_cndmask_b32_e64 v94, v94, v2, s3
.LBB275_14:                             ;   in Loop: Header=BB275_15 Depth=1
	s_or_b32 exec_lo, exec_lo, s4
	v_add_nc_u32_e32 v96, 4, v96
	v_add_nc_u64_e32 v[14:15], 16, v[14:15]
	v_add_nc_u32_e32 v10, 0x80, v10
	v_add_nc_u32_e32 v98, 0x200, v98
	s_delay_alu instid0(VALU_DEP_4) | instskip(SKIP_1) | instid1(SALU_CYCLE_1)
	v_cmp_le_i32_e64 s3, s36, v96
	s_or_b32 s15, s3, s15
	s_and_not1_b32 exec_lo, exec_lo, s15
	s_cbranch_execz .LBB275_527
.LBB275_15:                             ; =>This Inner Loop Header: Depth=1
	v_mov_b32_e32 v11, v9
	s_delay_alu instid0(VALU_DEP_1) | instskip(NEXT) | instid1(VALU_DEP_1)
	v_mul_u64_e32 v[2:3], s[18:19], v[10:11]
	v_mul_lo_u32 v2, v3, s12
	s_delay_alu instid0(VALU_DEP_1) | instskip(NEXT) | instid1(VALU_DEP_1)
	v_sub_nc_u32_e32 v2, v10, v2
	v_subrev_nc_u32_e32 v5, s12, v2
	v_cmp_le_u32_e64 s3, s12, v2
	s_delay_alu instid0(VALU_DEP_1) | instskip(NEXT) | instid1(VALU_DEP_1)
	v_dual_add_nc_u32 v4, 1, v3 :: v_dual_cndmask_b32 v2, v2, v5, s3
	v_cndmask_b32_e64 v3, v3, v4, s3
	s_delay_alu instid0(VALU_DEP_2) | instskip(NEXT) | instid1(VALU_DEP_2)
	v_cmp_le_u32_e64 s3, s12, v2
	v_add_nc_u32_e32 v4, 1, v3
	s_delay_alu instid0(VALU_DEP_1) | instskip(NEXT) | instid1(VALU_DEP_1)
	v_cndmask_b32_e64 v2, v3, v4, s3
	v_xor_b32_e32 v2, s35, v2
	s_delay_alu instid0(VALU_DEP_1) | instskip(NEXT) | instid1(VALU_DEP_1)
	v_subrev_nc_u32_e32 v4, s35, v2
	v_add_nc_u32_e32 v5, s17, v4
	v_cmp_ge_i32_e64 s4, s39, v4
	s_delay_alu instid0(VALU_DEP_2) | instskip(NEXT) | instid1(VALU_DEP_1)
	v_sub_nc_u32_e32 v2, 0, v5
	v_dual_ashrrev_i32 v5, 31, v5 :: v_dual_max_i32 v8, v5, v2
	s_delay_alu instid0(VALU_DEP_1) | instskip(NEXT) | instid1(VALU_DEP_1)
	v_mul_u64_e32 v[2:3], s[28:29], v[8:9]
	v_mul_lo_u32 v2, v3, s40
	s_delay_alu instid0(VALU_DEP_1) | instskip(NEXT) | instid1(VALU_DEP_1)
	v_sub_nc_u32_e32 v2, v8, v2
	v_subrev_nc_u32_e32 v3, s40, v2
	v_cmp_le_u32_e64 s3, s40, v2
	s_delay_alu instid0(VALU_DEP_1) | instskip(NEXT) | instid1(VALU_DEP_1)
	v_cndmask_b32_e64 v2, v2, v3, s3
	v_subrev_nc_u32_e32 v3, s40, v2
	v_cmp_le_u32_e64 s3, s40, v2
	s_delay_alu instid0(VALU_DEP_1) | instskip(NEXT) | instid1(VALU_DEP_1)
	v_cndmask_b32_e64 v2, v2, v3, s3
	v_xor_b32_e32 v2, v2, v5
	s_delay_alu instid0(VALU_DEP_1) | instskip(NEXT) | instid1(VALU_DEP_1)
	v_sub_nc_u32_e32 v2, v2, v5
	v_cmp_ne_u32_e64 s3, 0, v2
	s_and_b32 s3, s3, s4
	s_delay_alu instid0(SALU_CYCLE_1) | instskip(NEXT) | instid1(SALU_CYCLE_1)
	s_and_saveexec_b32 s4, s3
	s_xor_b32 s3, exec_lo, s4
; %bb.16:                               ;   in Loop: Header=BB275_15 Depth=1
	ds_store_b32 v98, v95
; %bb.17:                               ;   in Loop: Header=BB275_15 Depth=1
	s_and_not1_saveexec_b32 s4, s3
	s_cbranch_execz .LBB275_14
; %bb.18:                               ;   in Loop: Header=BB275_15 Depth=1
	global_load_b32 v2, v[14:15], off
	v_dual_mov_b32 v16, 0 :: v_dual_mov_b32 v17, 0
	s_mov_b32 s42, exec_lo
	global_load_b32 v11, v16, s[8:9]
	s_wait_loadcnt 0x1
	v_mad_nc_i64_i32 v[2:3], v2, s41, v[12:13]
	global_load_b64 v[4:5], v[2:3], off
	s_wait_loadcnt 0x0
	v_and_b32_e32 v8, 0xff, v4
	s_delay_alu instid0(VALU_DEP_1)
	v_cmpx_ne_u16_e32 0, v8
	s_cbranch_execz .LBB275_26
; %bb.19:                               ;   in Loop: Header=BB275_15 Depth=1
	v_mov_b32_e32 v17, 0x8000
	s_mov_b32 s43, exec_lo
	v_cmpx_ne_u16_e32 0x80, v8
	s_cbranch_execz .LBB275_25
; %bb.20:                               ;   in Loop: Header=BB275_15 Depth=1
	v_and_b32_e32 v18, 0x7f, v4
	v_mov_b32_e32 v17, 0x7c01
	s_mov_b32 s44, exec_lo
	s_delay_alu instid0(VALU_DEP_2)
	v_cmpx_ne_u32_e32 0x7f, v18
	s_cbranch_execz .LBB275_24
; %bb.21:                               ;   in Loop: Header=BB275_15 Depth=1
	v_dual_lshrrev_b32 v17, 3, v18 :: v_dual_bitop2_b32 v8, 7, v4 bitop3:0x40
	s_mov_b32 s45, exec_lo
	v_cmpx_gt_u32_e32 8, v18
; %bb.22:                               ;   in Loop: Header=BB275_15 Depth=1
	s_delay_alu instid0(VALU_DEP_2) | instskip(NEXT) | instid1(VALU_DEP_1)
	v_clz_i32_u32_e32 v8, v8
	v_min_u32_e32 v8, 32, v8
	s_delay_alu instid0(VALU_DEP_1) | instskip(NEXT) | instid1(VALU_DEP_1)
	v_subrev_nc_u32_e32 v17, 28, v8
	v_lshlrev_b64_e32 v[18:19], v17, v[4:5]
	s_delay_alu instid0(VALU_DEP_1)
	v_dual_sub_nc_u32 v17, 29, v8 :: v_dual_bitop2_b32 v8, 7, v18 bitop3:0x40
; %bb.23:                               ;   in Loop: Header=BB275_15 Depth=1
	s_or_b32 exec_lo, exec_lo, s45
	v_lshlrev_b32_e32 v18, 8, v4
	s_delay_alu instid0(VALU_DEP_2) | instskip(NEXT) | instid1(VALU_DEP_3)
	v_lshl_add_u32 v17, v17, 10, 0x2000
	v_lshlrev_b32_e32 v8, 7, v8
	s_delay_alu instid0(VALU_DEP_3) | instskip(NEXT) | instid1(VALU_DEP_3)
	v_and_b32_e32 v18, 0x8000, v18
	v_and_b32_e32 v17, 0xfc00, v17
	s_delay_alu instid0(VALU_DEP_1)
	v_or3_b32 v17, v18, v17, v8
.LBB275_24:                             ;   in Loop: Header=BB275_15 Depth=1
	s_or_b32 exec_lo, exec_lo, s44
.LBB275_25:                             ;   in Loop: Header=BB275_15 Depth=1
	s_delay_alu instid0(SALU_CYCLE_1)
	s_or_b32 exec_lo, exec_lo, s43
.LBB275_26:                             ;   in Loop: Header=BB275_15 Depth=1
	s_delay_alu instid0(SALU_CYCLE_1) | instskip(SKIP_2) | instid1(VALU_DEP_1)
	s_or_b32 exec_lo, exec_lo, s42
	v_lshrrev_b16 v8, 8, v4
	s_mov_b32 s42, exec_lo
	v_cmpx_ne_u16_e32 0, v8
	s_cbranch_execz .LBB275_34
; %bb.27:                               ;   in Loop: Header=BB275_15 Depth=1
	v_bfrev_b32_e32 v16, 1
	s_mov_b32 s43, exec_lo
	v_cmpx_ne_u16_e32 0x80, v8
	s_cbranch_execz .LBB275_33
; %bb.28:                               ;   in Loop: Header=BB275_15 Depth=1
	v_and_b32_e32 v18, 0xffff, v8
	v_mov_b32_e32 v16, 0x7c010000
	s_mov_b32 s44, exec_lo
	s_delay_alu instid0(VALU_DEP_2) | instskip(NEXT) | instid1(VALU_DEP_1)
	v_and_b32_e32 v20, 0x7f, v18
	v_cmpx_ne_u32_e32 0x7f, v20
	s_cbranch_execz .LBB275_32
; %bb.29:                               ;   in Loop: Header=BB275_15 Depth=1
	v_dual_lshrrev_b32 v19, 3, v20 :: v_dual_bitop2_b32 v16, 7, v18 bitop3:0x40
	s_mov_b32 s45, exec_lo
	v_cmpx_gt_u32_e32 8, v20
; %bb.30:                               ;   in Loop: Header=BB275_15 Depth=1
	s_delay_alu instid0(VALU_DEP_2) | instskip(NEXT) | instid1(VALU_DEP_1)
	v_clz_i32_u32_e32 v16, v16
	v_min_u32_e32 v16, 32, v16
	s_delay_alu instid0(VALU_DEP_1) | instskip(NEXT) | instid1(VALU_DEP_1)
	v_subrev_nc_u32_e32 v19, 28, v16
	v_lshlrev_b64_e32 v[20:21], v19, v[8:9]
	v_sub_nc_u32_e32 v19, 29, v16
	s_delay_alu instid0(VALU_DEP_2)
	v_and_b32_e32 v16, 7, v20
; %bb.31:                               ;   in Loop: Header=BB275_15 Depth=1
	s_or_b32 exec_lo, exec_lo, s45
	s_delay_alu instid0(VALU_DEP_1) | instskip(NEXT) | instid1(VALU_DEP_3)
	v_dual_lshlrev_b32 v8, 8, v18 :: v_dual_lshlrev_b32 v16, 23, v16
	v_lshl_add_u32 v18, v19, 10, 0x2000
	s_delay_alu instid0(VALU_DEP_1) | instskip(NEXT) | instid1(VALU_DEP_1)
	v_and_or_b32 v8, 0x8000, v8, v18
	v_lshl_or_b32 v16, v8, 16, v16
.LBB275_32:                             ;   in Loop: Header=BB275_15 Depth=1
	s_or_b32 exec_lo, exec_lo, s44
.LBB275_33:                             ;   in Loop: Header=BB275_15 Depth=1
	s_delay_alu instid0(SALU_CYCLE_1)
	s_or_b32 exec_lo, exec_lo, s43
.LBB275_34:                             ;   in Loop: Header=BB275_15 Depth=1
	s_delay_alu instid0(SALU_CYCLE_1) | instskip(SKIP_3) | instid1(VALU_DEP_2)
	s_or_b32 exec_lo, exec_lo, s42
	v_dual_lshrrev_b32 v8, 16, v4 :: v_dual_mov_b32 v18, 0
	v_mov_b32_e32 v19, 0
	s_mov_b32 s42, exec_lo
	v_and_b32_e32 v20, 0xff, v8
	s_delay_alu instid0(VALU_DEP_1)
	v_cmpx_ne_u16_e32 0, v20
	s_cbranch_execz .LBB275_42
; %bb.35:                               ;   in Loop: Header=BB275_15 Depth=1
	v_mov_b32_e32 v19, 0x8000
	s_mov_b32 s43, exec_lo
	v_cmpx_ne_u16_e32 0x80, v20
	s_cbranch_execz .LBB275_41
; %bb.36:                               ;   in Loop: Header=BB275_15 Depth=1
	v_bfe_u32 v21, v4, 16, 7
	v_mov_b32_e32 v19, 0x7c01
	s_mov_b32 s44, exec_lo
	s_delay_alu instid0(VALU_DEP_2)
	v_cmpx_ne_u32_e32 0x7f, v21
	s_cbranch_execz .LBB275_40
; %bb.37:                               ;   in Loop: Header=BB275_15 Depth=1
	v_dual_lshrrev_b32 v20, 3, v21 :: v_dual_bitop2_b32 v19, 7, v8 bitop3:0x40
	s_mov_b32 s45, exec_lo
	v_cmpx_gt_u32_e32 8, v21
; %bb.38:                               ;   in Loop: Header=BB275_15 Depth=1
	s_delay_alu instid0(VALU_DEP_2) | instskip(NEXT) | instid1(VALU_DEP_1)
	v_clz_i32_u32_e32 v19, v19
	v_min_u32_e32 v19, 32, v19
	s_delay_alu instid0(VALU_DEP_1) | instskip(NEXT) | instid1(VALU_DEP_1)
	v_subrev_nc_u32_e32 v20, 28, v19
	v_lshlrev_b64_e32 v[22:23], v20, v[8:9]
	s_delay_alu instid0(VALU_DEP_1)
	v_dual_sub_nc_u32 v20, 29, v19 :: v_dual_bitop2_b32 v19, 7, v22 bitop3:0x40
; %bb.39:                               ;   in Loop: Header=BB275_15 Depth=1
	s_or_b32 exec_lo, exec_lo, s45
	s_delay_alu instid0(VALU_DEP_1) | instskip(NEXT) | instid1(VALU_DEP_2)
	v_dual_lshlrev_b32 v8, 8, v8 :: v_dual_lshlrev_b32 v19, 7, v19
	v_lshl_add_u32 v20, v20, 10, 0x2000
	s_delay_alu instid0(VALU_DEP_2) | instskip(NEXT) | instid1(VALU_DEP_2)
	v_and_b32_e32 v8, 0x8000, v8
	v_and_b32_e32 v20, 0xfc00, v20
	s_delay_alu instid0(VALU_DEP_1)
	v_or3_b32 v19, v8, v20, v19
.LBB275_40:                             ;   in Loop: Header=BB275_15 Depth=1
	s_or_b32 exec_lo, exec_lo, s44
.LBB275_41:                             ;   in Loop: Header=BB275_15 Depth=1
	s_delay_alu instid0(SALU_CYCLE_1)
	s_or_b32 exec_lo, exec_lo, s43
.LBB275_42:                             ;   in Loop: Header=BB275_15 Depth=1
	s_delay_alu instid0(SALU_CYCLE_1) | instskip(NEXT) | instid1(SALU_CYCLE_1)
	s_or_b32 exec_lo, exec_lo, s42
	s_mov_b32 s42, exec_lo
	v_cmpx_lt_u32_e32 0xffffff, v4
	s_cbranch_execz .LBB275_50
; %bb.43:                               ;   in Loop: Header=BB275_15 Depth=1
	v_lshrrev_b32_e32 v8, 24, v4
	v_bfrev_b32_e32 v18, 1
	s_mov_b32 s43, exec_lo
	s_delay_alu instid0(VALU_DEP_2)
	v_cmpx_ne_u32_e32 0x80, v8
	s_cbranch_execz .LBB275_49
; %bb.44:                               ;   in Loop: Header=BB275_15 Depth=1
	v_and_b32_e32 v21, 0x7f, v8
	v_mov_b32_e32 v18, 0x7c010000
	s_mov_b32 s44, exec_lo
	s_delay_alu instid0(VALU_DEP_2)
	v_cmpx_ne_u32_e32 0x7f, v21
	s_cbranch_execz .LBB275_48
; %bb.45:                               ;   in Loop: Header=BB275_15 Depth=1
	v_dual_lshrrev_b32 v20, 3, v21 :: v_dual_bitop2_b32 v18, 7, v8 bitop3:0x40
	s_mov_b32 s45, exec_lo
	v_cmpx_gt_u32_e32 8, v21
; %bb.46:                               ;   in Loop: Header=BB275_15 Depth=1
	s_delay_alu instid0(VALU_DEP_2) | instskip(NEXT) | instid1(VALU_DEP_1)
	v_clz_i32_u32_e32 v18, v18
	v_min_u32_e32 v18, 32, v18
	s_delay_alu instid0(VALU_DEP_1) | instskip(NEXT) | instid1(VALU_DEP_1)
	v_subrev_nc_u32_e32 v20, 28, v18
	v_lshlrev_b64_e32 v[22:23], v20, v[8:9]
	v_sub_nc_u32_e32 v20, 29, v18
	s_delay_alu instid0(VALU_DEP_2)
	v_and_b32_e32 v18, 7, v22
; %bb.47:                               ;   in Loop: Header=BB275_15 Depth=1
	s_or_b32 exec_lo, exec_lo, s45
	s_delay_alu instid0(VALU_DEP_1) | instskip(NEXT) | instid1(VALU_DEP_3)
	v_dual_lshlrev_b32 v8, 8, v8 :: v_dual_lshlrev_b32 v18, 23, v18
	v_lshl_add_u32 v20, v20, 10, 0x2000
	s_delay_alu instid0(VALU_DEP_1) | instskip(NEXT) | instid1(VALU_DEP_1)
	v_and_or_b32 v8, 0x8000, v8, v20
	v_lshl_or_b32 v18, v8, 16, v18
.LBB275_48:                             ;   in Loop: Header=BB275_15 Depth=1
	s_or_b32 exec_lo, exec_lo, s44
.LBB275_49:                             ;   in Loop: Header=BB275_15 Depth=1
	s_delay_alu instid0(SALU_CYCLE_1)
	s_or_b32 exec_lo, exec_lo, s43
.LBB275_50:                             ;   in Loop: Header=BB275_15 Depth=1
	s_delay_alu instid0(SALU_CYCLE_1) | instskip(SKIP_4) | instid1(VALU_DEP_3)
	s_or_b32 exec_lo, exec_lo, s42
	v_and_b32_e32 v22, 0xff, v5
	v_dual_mov_b32 v8, v5 :: v_dual_mov_b32 v20, 0
	v_mov_b32_e32 v21, 0
	s_mov_b32 s42, exec_lo
	v_cmpx_ne_u16_e32 0, v22
	s_cbranch_execz .LBB275_58
; %bb.51:                               ;   in Loop: Header=BB275_15 Depth=1
	v_mov_b32_e32 v21, 0x8000
	s_mov_b32 s43, exec_lo
	v_cmpx_ne_u16_e32 0x80, v22
	s_cbranch_execz .LBB275_57
; %bb.52:                               ;   in Loop: Header=BB275_15 Depth=1
	v_and_b32_e32 v23, 0x7f, v5
	v_mov_b32_e32 v21, 0x7c01
	s_mov_b32 s44, exec_lo
	s_delay_alu instid0(VALU_DEP_2)
	v_cmpx_ne_u32_e32 0x7f, v23
	s_cbranch_execz .LBB275_56
; %bb.53:                               ;   in Loop: Header=BB275_15 Depth=1
	v_dual_lshrrev_b32 v22, 3, v23 :: v_dual_bitop2_b32 v21, 7, v5 bitop3:0x40
	s_mov_b32 s45, exec_lo
	v_cmpx_gt_u32_e32 8, v23
; %bb.54:                               ;   in Loop: Header=BB275_15 Depth=1
	s_delay_alu instid0(VALU_DEP_2) | instskip(NEXT) | instid1(VALU_DEP_1)
	v_clz_i32_u32_e32 v21, v21
	v_min_u32_e32 v21, 32, v21
	s_delay_alu instid0(VALU_DEP_1) | instskip(NEXT) | instid1(VALU_DEP_1)
	v_subrev_nc_u32_e32 v22, 28, v21
	v_lshlrev_b64_e32 v[24:25], v22, v[8:9]
	s_delay_alu instid0(VALU_DEP_1)
	v_dual_sub_nc_u32 v22, 29, v21 :: v_dual_bitop2_b32 v21, 7, v24 bitop3:0x40
; %bb.55:                               ;   in Loop: Header=BB275_15 Depth=1
	s_or_b32 exec_lo, exec_lo, s45
	v_lshlrev_b32_e32 v23, 8, v5
	s_delay_alu instid0(VALU_DEP_2) | instskip(NEXT) | instid1(VALU_DEP_3)
	v_lshl_add_u32 v22, v22, 10, 0x2000
	v_lshlrev_b32_e32 v21, 7, v21
	s_delay_alu instid0(VALU_DEP_3) | instskip(NEXT) | instid1(VALU_DEP_3)
	v_and_b32_e32 v23, 0x8000, v23
	v_and_b32_e32 v22, 0xfc00, v22
	s_delay_alu instid0(VALU_DEP_1)
	v_or3_b32 v21, v23, v22, v21
.LBB275_56:                             ;   in Loop: Header=BB275_15 Depth=1
	s_or_b32 exec_lo, exec_lo, s44
.LBB275_57:                             ;   in Loop: Header=BB275_15 Depth=1
	s_delay_alu instid0(SALU_CYCLE_1)
	s_or_b32 exec_lo, exec_lo, s43
.LBB275_58:                             ;   in Loop: Header=BB275_15 Depth=1
	s_delay_alu instid0(SALU_CYCLE_1) | instskip(SKIP_3) | instid1(VALU_DEP_2)
	s_or_b32 exec_lo, exec_lo, s42
	v_lshrrev_b16 v8, 8, v8
	v_mov_b32_e32 v22, 0
	s_mov_b32 s42, exec_lo
	v_cmpx_ne_u16_e32 0, v8
	s_cbranch_execz .LBB275_66
; %bb.59:                               ;   in Loop: Header=BB275_15 Depth=1
	v_bfrev_b32_e32 v22, 1
	s_mov_b32 s43, exec_lo
	v_cmpx_ne_u16_e32 0x80, v8
	s_cbranch_execz .LBB275_65
; %bb.60:                               ;   in Loop: Header=BB275_15 Depth=1
	v_and_b32_e32 v23, 0xffff, v8
	v_mov_b32_e32 v22, 0x7c010000
	s_mov_b32 s44, exec_lo
	s_delay_alu instid0(VALU_DEP_2) | instskip(NEXT) | instid1(VALU_DEP_1)
	v_and_b32_e32 v25, 0x7f, v23
	v_cmpx_ne_u32_e32 0x7f, v25
	s_cbranch_execz .LBB275_64
; %bb.61:                               ;   in Loop: Header=BB275_15 Depth=1
	v_dual_lshrrev_b32 v24, 3, v25 :: v_dual_bitop2_b32 v22, 7, v23 bitop3:0x40
	s_mov_b32 s45, exec_lo
	v_cmpx_gt_u32_e32 8, v25
; %bb.62:                               ;   in Loop: Header=BB275_15 Depth=1
	s_delay_alu instid0(VALU_DEP_2) | instskip(NEXT) | instid1(VALU_DEP_1)
	v_clz_i32_u32_e32 v22, v22
	v_min_u32_e32 v22, 32, v22
	s_delay_alu instid0(VALU_DEP_1) | instskip(NEXT) | instid1(VALU_DEP_1)
	v_subrev_nc_u32_e32 v24, 28, v22
	v_lshlrev_b64_e32 v[26:27], v24, v[8:9]
	v_sub_nc_u32_e32 v24, 29, v22
	s_delay_alu instid0(VALU_DEP_2)
	v_and_b32_e32 v22, 7, v26
; %bb.63:                               ;   in Loop: Header=BB275_15 Depth=1
	s_or_b32 exec_lo, exec_lo, s45
	s_delay_alu instid0(VALU_DEP_1) | instskip(NEXT) | instid1(VALU_DEP_3)
	v_dual_lshlrev_b32 v8, 8, v23 :: v_dual_lshlrev_b32 v22, 23, v22
	v_lshl_add_u32 v23, v24, 10, 0x2000
	s_delay_alu instid0(VALU_DEP_1) | instskip(NEXT) | instid1(VALU_DEP_1)
	v_and_or_b32 v8, 0x8000, v8, v23
	v_lshl_or_b32 v22, v8, 16, v22
.LBB275_64:                             ;   in Loop: Header=BB275_15 Depth=1
	s_or_b32 exec_lo, exec_lo, s44
.LBB275_65:                             ;   in Loop: Header=BB275_15 Depth=1
	s_delay_alu instid0(SALU_CYCLE_1)
	s_or_b32 exec_lo, exec_lo, s43
.LBB275_66:                             ;   in Loop: Header=BB275_15 Depth=1
	s_delay_alu instid0(SALU_CYCLE_1) | instskip(SKIP_2) | instid1(VALU_DEP_1)
	s_or_b32 exec_lo, exec_lo, s42
	v_lshrrev_b32_e32 v8, 16, v5
	s_mov_b32 s42, exec_lo
	v_and_b32_e32 v23, 0xff, v8
	s_delay_alu instid0(VALU_DEP_1)
	v_cmpx_ne_u16_e32 0, v23
	s_cbranch_execz .LBB275_74
; %bb.67:                               ;   in Loop: Header=BB275_15 Depth=1
	v_mov_b32_e32 v20, 0x8000
	s_mov_b32 s43, exec_lo
	v_cmpx_ne_u16_e32 0x80, v23
	s_cbranch_execz .LBB275_73
; %bb.68:                               ;   in Loop: Header=BB275_15 Depth=1
	v_bfe_u32 v24, v5, 16, 7
	v_mov_b32_e32 v20, 0x7c01
	s_mov_b32 s44, exec_lo
	s_delay_alu instid0(VALU_DEP_2)
	v_cmpx_ne_u32_e32 0x7f, v24
	s_cbranch_execz .LBB275_72
; %bb.69:                               ;   in Loop: Header=BB275_15 Depth=1
	v_and_b32_e32 v20, 7, v8
	v_lshrrev_b32_e32 v23, 3, v24
	s_mov_b32 s45, exec_lo
	v_cmpx_gt_u32_e32 8, v24
; %bb.70:                               ;   in Loop: Header=BB275_15 Depth=1
	s_delay_alu instid0(VALU_DEP_3) | instskip(NEXT) | instid1(VALU_DEP_1)
	v_clz_i32_u32_e32 v20, v20
	v_min_u32_e32 v20, 32, v20
	s_delay_alu instid0(VALU_DEP_1) | instskip(NEXT) | instid1(VALU_DEP_1)
	v_subrev_nc_u32_e32 v23, 28, v20
	v_lshlrev_b64_e32 v[24:25], v23, v[8:9]
	v_sub_nc_u32_e32 v23, 29, v20
	s_delay_alu instid0(VALU_DEP_2)
	v_and_b32_e32 v20, 7, v24
; %bb.71:                               ;   in Loop: Header=BB275_15 Depth=1
	s_or_b32 exec_lo, exec_lo, s45
	v_lshlrev_b32_e32 v8, 8, v8
	s_delay_alu instid0(VALU_DEP_3) | instskip(NEXT) | instid1(VALU_DEP_3)
	v_lshl_add_u32 v23, v23, 10, 0x2000
	v_lshlrev_b32_e32 v20, 7, v20
	s_delay_alu instid0(VALU_DEP_3) | instskip(NEXT) | instid1(VALU_DEP_3)
	v_and_b32_e32 v8, 0x8000, v8
	v_and_b32_e32 v23, 0xfc00, v23
	s_delay_alu instid0(VALU_DEP_1)
	v_or3_b32 v20, v8, v23, v20
.LBB275_72:                             ;   in Loop: Header=BB275_15 Depth=1
	s_or_b32 exec_lo, exec_lo, s44
.LBB275_73:                             ;   in Loop: Header=BB275_15 Depth=1
	s_delay_alu instid0(SALU_CYCLE_1)
	s_or_b32 exec_lo, exec_lo, s43
.LBB275_74:                             ;   in Loop: Header=BB275_15 Depth=1
	s_delay_alu instid0(SALU_CYCLE_1)
	s_or_b32 exec_lo, exec_lo, s42
	v_dual_mov_b32 v31, 0 :: v_dual_mov_b32 v23, 0
	s_mov_b32 s42, exec_lo
	v_cmpx_lt_u64_e64 s[26:27], v[4:5]
	s_cbranch_execz .LBB275_82
; %bb.75:                               ;   in Loop: Header=BB275_15 Depth=1
	v_lshrrev_b32_e32 v8, 24, v5
	v_bfrev_b32_e32 v23, 1
	s_mov_b32 s43, exec_lo
	s_delay_alu instid0(VALU_DEP_2)
	v_cmpx_ne_u32_e32 0x80, v8
	s_cbranch_execz .LBB275_81
; %bb.76:                               ;   in Loop: Header=BB275_15 Depth=1
	v_and_b32_e32 v24, 0x7f, v8
	v_mov_b32_e32 v23, 0x7c010000
	s_mov_b32 s44, exec_lo
	s_delay_alu instid0(VALU_DEP_2)
	v_cmpx_ne_u32_e32 0x7f, v24
	s_cbranch_execz .LBB275_80
; %bb.77:                               ;   in Loop: Header=BB275_15 Depth=1
	v_and_b32_e32 v4, 7, v8
	v_lshrrev_b32_e32 v5, 3, v24
	s_mov_b32 s45, exec_lo
	v_cmpx_gt_u32_e32 8, v24
; %bb.78:                               ;   in Loop: Header=BB275_15 Depth=1
	s_delay_alu instid0(VALU_DEP_3) | instskip(NEXT) | instid1(VALU_DEP_1)
	v_clz_i32_u32_e32 v4, v4
	v_min_u32_e32 v23, 32, v4
	s_delay_alu instid0(VALU_DEP_1) | instskip(NEXT) | instid1(VALU_DEP_1)
	v_subrev_nc_u32_e32 v4, 28, v23
	v_lshlrev_b64_e32 v[4:5], v4, v[8:9]
	s_delay_alu instid0(VALU_DEP_1)
	v_dual_sub_nc_u32 v5, 29, v23 :: v_dual_bitop2_b32 v4, 7, v4 bitop3:0x40
; %bb.79:                               ;   in Loop: Header=BB275_15 Depth=1
	s_or_b32 exec_lo, exec_lo, s45
	v_lshlrev_b32_e32 v8, 8, v8
	s_delay_alu instid0(VALU_DEP_2) | instskip(NEXT) | instid1(VALU_DEP_3)
	v_lshl_add_u32 v5, v5, 10, 0x2000
	v_lshlrev_b32_e32 v4, 23, v4
	s_delay_alu instid0(VALU_DEP_2) | instskip(NEXT) | instid1(VALU_DEP_1)
	v_and_or_b32 v5, 0x8000, v8, v5
	v_lshl_or_b32 v23, v5, 16, v4
.LBB275_80:                             ;   in Loop: Header=BB275_15 Depth=1
	s_or_b32 exec_lo, exec_lo, s44
.LBB275_81:                             ;   in Loop: Header=BB275_15 Depth=1
	s_delay_alu instid0(SALU_CYCLE_1)
	s_or_b32 exec_lo, exec_lo, s43
.LBB275_82:                             ;   in Loop: Header=BB275_15 Depth=1
	s_delay_alu instid0(SALU_CYCLE_1) | instskip(SKIP_4) | instid1(VALU_DEP_1)
	s_or_b32 exec_lo, exec_lo, s42
	global_load_b64 v[4:5], v[2:3], off offset:8
	s_mov_b32 s42, exec_lo
	s_wait_loadcnt 0x0
	v_and_b32_e32 v8, 0xff, v4
	v_cmpx_ne_u16_e32 0, v8
	s_cbranch_execz .LBB275_90
; %bb.83:                               ;   in Loop: Header=BB275_15 Depth=1
	v_mov_b32_e32 v31, 0x8000
	s_mov_b32 s43, exec_lo
	v_cmpx_ne_u16_e32 0x80, v8
	s_cbranch_execz .LBB275_89
; %bb.84:                               ;   in Loop: Header=BB275_15 Depth=1
	v_and_b32_e32 v25, 0x7f, v4
	v_mov_b32_e32 v31, 0x7c01
	s_mov_b32 s44, exec_lo
	s_delay_alu instid0(VALU_DEP_2)
	v_cmpx_ne_u32_e32 0x7f, v25
	s_cbranch_execz .LBB275_88
; %bb.85:                               ;   in Loop: Header=BB275_15 Depth=1
	v_dual_lshrrev_b32 v24, 3, v25 :: v_dual_bitop2_b32 v8, 7, v4 bitop3:0x40
	s_mov_b32 s45, exec_lo
	v_cmpx_gt_u32_e32 8, v25
; %bb.86:                               ;   in Loop: Header=BB275_15 Depth=1
	s_delay_alu instid0(VALU_DEP_2) | instskip(NEXT) | instid1(VALU_DEP_1)
	v_clz_i32_u32_e32 v8, v8
	v_min_u32_e32 v8, 32, v8
	s_delay_alu instid0(VALU_DEP_1) | instskip(NEXT) | instid1(VALU_DEP_1)
	v_subrev_nc_u32_e32 v24, 28, v8
	v_lshlrev_b64_e32 v[26:27], v24, v[4:5]
	s_delay_alu instid0(VALU_DEP_1)
	v_dual_sub_nc_u32 v24, 29, v8 :: v_dual_bitop2_b32 v8, 7, v26 bitop3:0x40
; %bb.87:                               ;   in Loop: Header=BB275_15 Depth=1
	s_or_b32 exec_lo, exec_lo, s45
	v_lshlrev_b32_e32 v25, 8, v4
	s_delay_alu instid0(VALU_DEP_2) | instskip(NEXT) | instid1(VALU_DEP_3)
	v_lshl_add_u32 v24, v24, 10, 0x2000
	v_lshlrev_b32_e32 v8, 7, v8
	s_delay_alu instid0(VALU_DEP_3) | instskip(NEXT) | instid1(VALU_DEP_3)
	v_and_b32_e32 v25, 0x8000, v25
	v_and_b32_e32 v24, 0xfc00, v24
	s_delay_alu instid0(VALU_DEP_1)
	v_or3_b32 v31, v25, v24, v8
.LBB275_88:                             ;   in Loop: Header=BB275_15 Depth=1
	s_or_b32 exec_lo, exec_lo, s44
.LBB275_89:                             ;   in Loop: Header=BB275_15 Depth=1
	s_delay_alu instid0(SALU_CYCLE_1)
	s_or_b32 exec_lo, exec_lo, s43
.LBB275_90:                             ;   in Loop: Header=BB275_15 Depth=1
	s_delay_alu instid0(SALU_CYCLE_1) | instskip(SKIP_3) | instid1(VALU_DEP_2)
	s_or_b32 exec_lo, exec_lo, s42
	v_lshrrev_b16 v8, 8, v4
	v_dual_mov_b32 v28, 0 :: v_dual_mov_b32 v34, 0
	s_mov_b32 s42, exec_lo
	v_cmpx_ne_u16_e32 0, v8
	s_cbranch_execz .LBB275_98
; %bb.91:                               ;   in Loop: Header=BB275_15 Depth=1
	v_bfrev_b32_e32 v34, 1
	s_mov_b32 s43, exec_lo
	v_cmpx_ne_u16_e32 0x80, v8
	s_cbranch_execz .LBB275_97
; %bb.92:                               ;   in Loop: Header=BB275_15 Depth=1
	v_and_b32_e32 v24, 0xffff, v8
	v_mov_b32_e32 v34, 0x7c010000
	s_mov_b32 s44, exec_lo
	s_delay_alu instid0(VALU_DEP_2) | instskip(NEXT) | instid1(VALU_DEP_1)
	v_and_b32_e32 v27, 0x7f, v24
	v_cmpx_ne_u32_e32 0x7f, v27
	s_cbranch_execz .LBB275_96
; %bb.93:                               ;   in Loop: Header=BB275_15 Depth=1
	v_dual_lshrrev_b32 v26, 3, v27 :: v_dual_bitop2_b32 v25, 7, v24 bitop3:0x40
	s_mov_b32 s45, exec_lo
	v_cmpx_gt_u32_e32 8, v27
; %bb.94:                               ;   in Loop: Header=BB275_15 Depth=1
	s_delay_alu instid0(VALU_DEP_2) | instskip(NEXT) | instid1(VALU_DEP_1)
	v_clz_i32_u32_e32 v25, v25
	v_min_u32_e32 v25, 32, v25
	s_delay_alu instid0(VALU_DEP_1) | instskip(NEXT) | instid1(VALU_DEP_1)
	v_subrev_nc_u32_e32 v26, 28, v25
	v_lshlrev_b64_e32 v[32:33], v26, v[8:9]
	s_delay_alu instid0(VALU_DEP_1)
	v_dual_sub_nc_u32 v26, 29, v25 :: v_dual_bitop2_b32 v25, 7, v32 bitop3:0x40
; %bb.95:                               ;   in Loop: Header=BB275_15 Depth=1
	s_or_b32 exec_lo, exec_lo, s45
	v_lshlrev_b32_e32 v8, 8, v24
	s_delay_alu instid0(VALU_DEP_2) | instskip(NEXT) | instid1(VALU_DEP_1)
	v_lshl_add_u32 v24, v26, 10, 0x2000
	v_and_or_b32 v8, 0x8000, v8, v24
	v_lshlrev_b32_e32 v24, 23, v25
	s_delay_alu instid0(VALU_DEP_1)
	v_lshl_or_b32 v34, v8, 16, v24
.LBB275_96:                             ;   in Loop: Header=BB275_15 Depth=1
	s_or_b32 exec_lo, exec_lo, s44
.LBB275_97:                             ;   in Loop: Header=BB275_15 Depth=1
	s_delay_alu instid0(SALU_CYCLE_1)
	s_or_b32 exec_lo, exec_lo, s43
.LBB275_98:                             ;   in Loop: Header=BB275_15 Depth=1
	s_delay_alu instid0(SALU_CYCLE_1) | instskip(SKIP_2) | instid1(VALU_DEP_1)
	s_or_b32 exec_lo, exec_lo, s42
	v_lshrrev_b32_e32 v8, 16, v4
	s_mov_b32 s42, exec_lo
	v_and_b32_e32 v24, 0xff, v8
	s_delay_alu instid0(VALU_DEP_1)
	v_cmpx_ne_u16_e32 0, v24
	s_cbranch_execz .LBB275_106
; %bb.99:                               ;   in Loop: Header=BB275_15 Depth=1
	v_mov_b32_e32 v28, 0x8000
	s_mov_b32 s43, exec_lo
	v_cmpx_ne_u16_e32 0x80, v24
	s_cbranch_execz .LBB275_105
; %bb.100:                              ;   in Loop: Header=BB275_15 Depth=1
	v_bfe_u32 v26, v4, 16, 7
	v_mov_b32_e32 v28, 0x7c01
	s_mov_b32 s44, exec_lo
	s_delay_alu instid0(VALU_DEP_2)
	v_cmpx_ne_u32_e32 0x7f, v26
	s_cbranch_execz .LBB275_104
; %bb.101:                              ;   in Loop: Header=BB275_15 Depth=1
	v_dual_lshrrev_b32 v25, 3, v26 :: v_dual_bitop2_b32 v24, 7, v8 bitop3:0x40
	s_mov_b32 s45, exec_lo
	v_cmpx_gt_u32_e32 8, v26
; %bb.102:                              ;   in Loop: Header=BB275_15 Depth=1
	s_delay_alu instid0(VALU_DEP_2) | instskip(NEXT) | instid1(VALU_DEP_1)
	v_clz_i32_u32_e32 v24, v24
	v_min_u32_e32 v26, 32, v24
	s_delay_alu instid0(VALU_DEP_1) | instskip(NEXT) | instid1(VALU_DEP_1)
	v_subrev_nc_u32_e32 v24, 28, v26
	v_lshlrev_b64_e32 v[24:25], v24, v[8:9]
	s_delay_alu instid0(VALU_DEP_1)
	v_dual_sub_nc_u32 v25, 29, v26 :: v_dual_bitop2_b32 v24, 7, v24 bitop3:0x40
; %bb.103:                              ;   in Loop: Header=BB275_15 Depth=1
	s_or_b32 exec_lo, exec_lo, s45
	v_lshlrev_b32_e32 v8, 8, v8
	s_delay_alu instid0(VALU_DEP_2) | instskip(NEXT) | instid1(VALU_DEP_3)
	v_lshl_add_u32 v25, v25, 10, 0x2000
	v_lshlrev_b32_e32 v24, 7, v24
	s_delay_alu instid0(VALU_DEP_3) | instskip(NEXT) | instid1(VALU_DEP_3)
	v_and_b32_e32 v8, 0x8000, v8
	v_and_b32_e32 v25, 0xfc00, v25
	s_delay_alu instid0(VALU_DEP_1)
	v_or3_b32 v28, v8, v25, v24
.LBB275_104:                            ;   in Loop: Header=BB275_15 Depth=1
	s_or_b32 exec_lo, exec_lo, s44
.LBB275_105:                            ;   in Loop: Header=BB275_15 Depth=1
	s_delay_alu instid0(SALU_CYCLE_1)
	s_or_b32 exec_lo, exec_lo, s43
.LBB275_106:                            ;   in Loop: Header=BB275_15 Depth=1
	s_delay_alu instid0(SALU_CYCLE_1)
	s_or_b32 exec_lo, exec_lo, s42
	v_dual_mov_b32 v30, 0 :: v_dual_mov_b32 v29, 0
	s_mov_b32 s42, exec_lo
	v_cmpx_lt_u32_e32 0xffffff, v4
	s_cbranch_execz .LBB275_114
; %bb.107:                              ;   in Loop: Header=BB275_15 Depth=1
	v_lshrrev_b32_e32 v8, 24, v4
	v_bfrev_b32_e32 v29, 1
	s_mov_b32 s43, exec_lo
	s_delay_alu instid0(VALU_DEP_2)
	v_cmpx_ne_u32_e32 0x80, v8
	s_cbranch_execz .LBB275_113
; %bb.108:                              ;   in Loop: Header=BB275_15 Depth=1
	v_and_b32_e32 v26, 0x7f, v8
	v_mov_b32_e32 v29, 0x7c010000
	s_mov_b32 s44, exec_lo
	s_delay_alu instid0(VALU_DEP_2)
	v_cmpx_ne_u32_e32 0x7f, v26
	s_cbranch_execz .LBB275_112
; %bb.109:                              ;   in Loop: Header=BB275_15 Depth=1
	v_dual_lshrrev_b32 v25, 3, v26 :: v_dual_bitop2_b32 v24, 7, v8 bitop3:0x40
	s_mov_b32 s45, exec_lo
	v_cmpx_gt_u32_e32 8, v26
; %bb.110:                              ;   in Loop: Header=BB275_15 Depth=1
	s_delay_alu instid0(VALU_DEP_2) | instskip(NEXT) | instid1(VALU_DEP_1)
	v_clz_i32_u32_e32 v24, v24
	v_min_u32_e32 v26, 32, v24
	s_delay_alu instid0(VALU_DEP_1) | instskip(NEXT) | instid1(VALU_DEP_1)
	v_subrev_nc_u32_e32 v24, 28, v26
	v_lshlrev_b64_e32 v[24:25], v24, v[8:9]
	s_delay_alu instid0(VALU_DEP_1)
	v_dual_sub_nc_u32 v25, 29, v26 :: v_dual_bitop2_b32 v24, 7, v24 bitop3:0x40
; %bb.111:                              ;   in Loop: Header=BB275_15 Depth=1
	s_or_b32 exec_lo, exec_lo, s45
	v_lshlrev_b32_e32 v8, 8, v8
	s_delay_alu instid0(VALU_DEP_2) | instskip(NEXT) | instid1(VALU_DEP_3)
	v_lshl_add_u32 v25, v25, 10, 0x2000
	v_lshlrev_b32_e32 v24, 23, v24
	s_delay_alu instid0(VALU_DEP_2) | instskip(NEXT) | instid1(VALU_DEP_1)
	v_and_or_b32 v8, 0x8000, v8, v25
	v_lshl_or_b32 v29, v8, 16, v24
.LBB275_112:                            ;   in Loop: Header=BB275_15 Depth=1
	s_or_b32 exec_lo, exec_lo, s44
.LBB275_113:                            ;   in Loop: Header=BB275_15 Depth=1
	s_delay_alu instid0(SALU_CYCLE_1)
	s_or_b32 exec_lo, exec_lo, s43
.LBB275_114:                            ;   in Loop: Header=BB275_15 Depth=1
	s_delay_alu instid0(SALU_CYCLE_1) | instskip(SKIP_3) | instid1(VALU_DEP_2)
	s_or_b32 exec_lo, exec_lo, s42
	v_and_b32_e32 v24, 0xff, v5
	v_mov_b32_e32 v8, v5
	s_mov_b32 s42, exec_lo
	v_cmpx_ne_u16_e32 0, v24
	s_cbranch_execz .LBB275_122
; %bb.115:                              ;   in Loop: Header=BB275_15 Depth=1
	v_mov_b32_e32 v30, 0x8000
	s_mov_b32 s43, exec_lo
	v_cmpx_ne_u16_e32 0x80, v24
	s_cbranch_execz .LBB275_121
; %bb.116:                              ;   in Loop: Header=BB275_15 Depth=1
	v_and_b32_e32 v26, 0x7f, v5
	v_mov_b32_e32 v30, 0x7c01
	s_mov_b32 s44, exec_lo
	s_delay_alu instid0(VALU_DEP_2)
	v_cmpx_ne_u32_e32 0x7f, v26
	s_cbranch_execz .LBB275_120
; %bb.117:                              ;   in Loop: Header=BB275_15 Depth=1
	v_dual_lshrrev_b32 v25, 3, v26 :: v_dual_bitop2_b32 v24, 7, v5 bitop3:0x40
	s_mov_b32 s45, exec_lo
	v_cmpx_gt_u32_e32 8, v26
; %bb.118:                              ;   in Loop: Header=BB275_15 Depth=1
	s_delay_alu instid0(VALU_DEP_2) | instskip(NEXT) | instid1(VALU_DEP_1)
	v_clz_i32_u32_e32 v24, v24
	v_min_u32_e32 v26, 32, v24
	s_delay_alu instid0(VALU_DEP_1) | instskip(NEXT) | instid1(VALU_DEP_1)
	v_subrev_nc_u32_e32 v24, 28, v26
	v_lshlrev_b64_e32 v[24:25], v24, v[8:9]
	s_delay_alu instid0(VALU_DEP_1)
	v_dual_sub_nc_u32 v25, 29, v26 :: v_dual_bitop2_b32 v24, 7, v24 bitop3:0x40
; %bb.119:                              ;   in Loop: Header=BB275_15 Depth=1
	s_or_b32 exec_lo, exec_lo, s45
	s_delay_alu instid0(VALU_DEP_1) | instskip(NEXT) | instid1(VALU_DEP_2)
	v_dual_lshlrev_b32 v26, 8, v5 :: v_dual_lshlrev_b32 v24, 7, v24
	v_lshl_add_u32 v25, v25, 10, 0x2000
	s_delay_alu instid0(VALU_DEP_2) | instskip(NEXT) | instid1(VALU_DEP_2)
	v_and_b32_e32 v26, 0x8000, v26
	v_and_b32_e32 v25, 0xfc00, v25
	s_delay_alu instid0(VALU_DEP_1)
	v_or3_b32 v30, v26, v25, v24
.LBB275_120:                            ;   in Loop: Header=BB275_15 Depth=1
	s_or_b32 exec_lo, exec_lo, s44
.LBB275_121:                            ;   in Loop: Header=BB275_15 Depth=1
	s_delay_alu instid0(SALU_CYCLE_1)
	s_or_b32 exec_lo, exec_lo, s43
.LBB275_122:                            ;   in Loop: Header=BB275_15 Depth=1
	s_delay_alu instid0(SALU_CYCLE_1) | instskip(SKIP_3) | instid1(VALU_DEP_2)
	s_or_b32 exec_lo, exec_lo, s42
	v_lshrrev_b16 v8, 8, v8
	v_dual_mov_b32 v33, 0 :: v_dual_mov_b32 v32, 0
	s_mov_b32 s42, exec_lo
	v_cmpx_ne_u16_e32 0, v8
	s_cbranch_execz .LBB275_130
; %bb.123:                              ;   in Loop: Header=BB275_15 Depth=1
	v_bfrev_b32_e32 v32, 1
	s_mov_b32 s43, exec_lo
	v_cmpx_ne_u16_e32 0x80, v8
	s_cbranch_execz .LBB275_129
; %bb.124:                              ;   in Loop: Header=BB275_15 Depth=1
	v_and_b32_e32 v24, 0xffff, v8
	v_mov_b32_e32 v32, 0x7c010000
	s_mov_b32 s44, exec_lo
	s_delay_alu instid0(VALU_DEP_2) | instskip(NEXT) | instid1(VALU_DEP_1)
	v_and_b32_e32 v27, 0x7f, v24
	v_cmpx_ne_u32_e32 0x7f, v27
	s_cbranch_execz .LBB275_128
; %bb.125:                              ;   in Loop: Header=BB275_15 Depth=1
	v_dual_lshrrev_b32 v26, 3, v27 :: v_dual_bitop2_b32 v25, 7, v24 bitop3:0x40
	s_mov_b32 s45, exec_lo
	v_cmpx_gt_u32_e32 8, v27
; %bb.126:                              ;   in Loop: Header=BB275_15 Depth=1
	s_delay_alu instid0(VALU_DEP_2) | instskip(NEXT) | instid1(VALU_DEP_1)
	v_clz_i32_u32_e32 v25, v25
	v_min_u32_e32 v25, 32, v25
	s_delay_alu instid0(VALU_DEP_1) | instskip(NEXT) | instid1(VALU_DEP_1)
	v_subrev_nc_u32_e32 v26, 28, v25
	v_lshlrev_b64_e32 v[36:37], v26, v[8:9]
	s_delay_alu instid0(VALU_DEP_1)
	v_dual_sub_nc_u32 v26, 29, v25 :: v_dual_bitop2_b32 v25, 7, v36 bitop3:0x40
; %bb.127:                              ;   in Loop: Header=BB275_15 Depth=1
	s_or_b32 exec_lo, exec_lo, s45
	v_lshlrev_b32_e32 v8, 8, v24
	s_delay_alu instid0(VALU_DEP_2) | instskip(NEXT) | instid1(VALU_DEP_1)
	v_lshl_add_u32 v24, v26, 10, 0x2000
	v_and_or_b32 v8, 0x8000, v8, v24
	v_lshlrev_b32_e32 v24, 23, v25
	s_delay_alu instid0(VALU_DEP_1)
	v_lshl_or_b32 v32, v8, 16, v24
.LBB275_128:                            ;   in Loop: Header=BB275_15 Depth=1
	s_or_b32 exec_lo, exec_lo, s44
.LBB275_129:                            ;   in Loop: Header=BB275_15 Depth=1
	s_delay_alu instid0(SALU_CYCLE_1)
	s_or_b32 exec_lo, exec_lo, s43
.LBB275_130:                            ;   in Loop: Header=BB275_15 Depth=1
	s_delay_alu instid0(SALU_CYCLE_1) | instskip(SKIP_2) | instid1(VALU_DEP_1)
	s_or_b32 exec_lo, exec_lo, s42
	v_lshrrev_b32_e32 v8, 16, v5
	s_mov_b32 s42, exec_lo
	v_and_b32_e32 v24, 0xff, v8
	s_delay_alu instid0(VALU_DEP_1)
	v_cmpx_ne_u16_e32 0, v24
	s_cbranch_execz .LBB275_138
; %bb.131:                              ;   in Loop: Header=BB275_15 Depth=1
	v_mov_b32_e32 v33, 0x8000
	s_mov_b32 s43, exec_lo
	v_cmpx_ne_u16_e32 0x80, v24
	s_cbranch_execz .LBB275_137
; %bb.132:                              ;   in Loop: Header=BB275_15 Depth=1
	v_bfe_u32 v26, v5, 16, 7
	v_mov_b32_e32 v33, 0x7c01
	s_mov_b32 s44, exec_lo
	s_delay_alu instid0(VALU_DEP_2)
	v_cmpx_ne_u32_e32 0x7f, v26
	s_cbranch_execz .LBB275_136
; %bb.133:                              ;   in Loop: Header=BB275_15 Depth=1
	v_dual_lshrrev_b32 v25, 3, v26 :: v_dual_bitop2_b32 v24, 7, v8 bitop3:0x40
	s_mov_b32 s45, exec_lo
	v_cmpx_gt_u32_e32 8, v26
; %bb.134:                              ;   in Loop: Header=BB275_15 Depth=1
	s_delay_alu instid0(VALU_DEP_2) | instskip(NEXT) | instid1(VALU_DEP_1)
	v_clz_i32_u32_e32 v24, v24
	v_min_u32_e32 v26, 32, v24
	s_delay_alu instid0(VALU_DEP_1) | instskip(NEXT) | instid1(VALU_DEP_1)
	v_subrev_nc_u32_e32 v24, 28, v26
	v_lshlrev_b64_e32 v[24:25], v24, v[8:9]
	s_delay_alu instid0(VALU_DEP_1)
	v_dual_sub_nc_u32 v25, 29, v26 :: v_dual_bitop2_b32 v24, 7, v24 bitop3:0x40
; %bb.135:                              ;   in Loop: Header=BB275_15 Depth=1
	s_or_b32 exec_lo, exec_lo, s45
	v_lshlrev_b32_e32 v8, 8, v8
	s_delay_alu instid0(VALU_DEP_2) | instskip(NEXT) | instid1(VALU_DEP_3)
	v_lshl_add_u32 v25, v25, 10, 0x2000
	v_lshlrev_b32_e32 v24, 7, v24
	s_delay_alu instid0(VALU_DEP_3) | instskip(NEXT) | instid1(VALU_DEP_3)
	v_and_b32_e32 v8, 0x8000, v8
	v_and_b32_e32 v25, 0xfc00, v25
	s_delay_alu instid0(VALU_DEP_1)
	v_or3_b32 v33, v8, v25, v24
.LBB275_136:                            ;   in Loop: Header=BB275_15 Depth=1
	s_or_b32 exec_lo, exec_lo, s44
.LBB275_137:                            ;   in Loop: Header=BB275_15 Depth=1
	s_delay_alu instid0(SALU_CYCLE_1)
	s_or_b32 exec_lo, exec_lo, s43
.LBB275_138:                            ;   in Loop: Header=BB275_15 Depth=1
	s_delay_alu instid0(SALU_CYCLE_1)
	s_or_b32 exec_lo, exec_lo, s42
	v_dual_mov_b32 v36, 0 :: v_dual_mov_b32 v35, 0
	s_mov_b32 s42, exec_lo
	v_cmpx_lt_u64_e64 s[26:27], v[4:5]
	s_cbranch_execz .LBB275_146
; %bb.139:                              ;   in Loop: Header=BB275_15 Depth=1
	v_lshrrev_b32_e32 v8, 24, v5
	v_bfrev_b32_e32 v35, 1
	s_mov_b32 s43, exec_lo
	s_delay_alu instid0(VALU_DEP_2)
	v_cmpx_ne_u32_e32 0x80, v8
	s_cbranch_execz .LBB275_145
; %bb.140:                              ;   in Loop: Header=BB275_15 Depth=1
	v_and_b32_e32 v24, 0x7f, v8
	v_mov_b32_e32 v35, 0x7c010000
	s_mov_b32 s44, exec_lo
	s_delay_alu instid0(VALU_DEP_2)
	v_cmpx_ne_u32_e32 0x7f, v24
	s_cbranch_execz .LBB275_144
; %bb.141:                              ;   in Loop: Header=BB275_15 Depth=1
	v_and_b32_e32 v4, 7, v8
	v_lshrrev_b32_e32 v5, 3, v24
	s_mov_b32 s45, exec_lo
	v_cmpx_gt_u32_e32 8, v24
; %bb.142:                              ;   in Loop: Header=BB275_15 Depth=1
	s_delay_alu instid0(VALU_DEP_3) | instskip(NEXT) | instid1(VALU_DEP_1)
	v_clz_i32_u32_e32 v4, v4
	v_min_u32_e32 v24, 32, v4
	s_delay_alu instid0(VALU_DEP_1) | instskip(NEXT) | instid1(VALU_DEP_1)
	v_subrev_nc_u32_e32 v4, 28, v24
	v_lshlrev_b64_e32 v[4:5], v4, v[8:9]
	v_sub_nc_u32_e32 v5, 29, v24
	s_delay_alu instid0(VALU_DEP_2)
	v_and_b32_e32 v4, 7, v4
; %bb.143:                              ;   in Loop: Header=BB275_15 Depth=1
	s_or_b32 exec_lo, exec_lo, s45
	v_lshlrev_b32_e32 v8, 8, v8
	s_delay_alu instid0(VALU_DEP_3) | instskip(NEXT) | instid1(VALU_DEP_3)
	v_lshl_add_u32 v5, v5, 10, 0x2000
	v_lshlrev_b32_e32 v4, 23, v4
	s_delay_alu instid0(VALU_DEP_2) | instskip(NEXT) | instid1(VALU_DEP_1)
	v_and_or_b32 v5, 0x8000, v8, v5
	v_lshl_or_b32 v35, v5, 16, v4
.LBB275_144:                            ;   in Loop: Header=BB275_15 Depth=1
	s_or_b32 exec_lo, exec_lo, s44
.LBB275_145:                            ;   in Loop: Header=BB275_15 Depth=1
	s_delay_alu instid0(SALU_CYCLE_1)
	s_or_b32 exec_lo, exec_lo, s43
.LBB275_146:                            ;   in Loop: Header=BB275_15 Depth=1
	s_delay_alu instid0(SALU_CYCLE_1) | instskip(SKIP_4) | instid1(VALU_DEP_1)
	s_or_b32 exec_lo, exec_lo, s42
	global_load_b64 v[4:5], v[2:3], off offset:512
	s_mov_b32 s42, exec_lo
	s_wait_loadcnt 0x0
	v_and_b32_e32 v8, 0xff, v4
	v_cmpx_ne_u16_e32 0, v8
	s_cbranch_execz .LBB275_154
; %bb.147:                              ;   in Loop: Header=BB275_15 Depth=1
	v_mov_b32_e32 v36, 0x8000
	s_mov_b32 s43, exec_lo
	v_cmpx_ne_u16_e32 0x80, v8
	s_cbranch_execz .LBB275_153
; %bb.148:                              ;   in Loop: Header=BB275_15 Depth=1
	v_and_b32_e32 v25, 0x7f, v4
	v_mov_b32_e32 v36, 0x7c01
	s_mov_b32 s44, exec_lo
	s_delay_alu instid0(VALU_DEP_2)
	v_cmpx_ne_u32_e32 0x7f, v25
	s_cbranch_execz .LBB275_152
; %bb.149:                              ;   in Loop: Header=BB275_15 Depth=1
	v_dual_lshrrev_b32 v24, 3, v25 :: v_dual_bitop2_b32 v8, 7, v4 bitop3:0x40
	s_mov_b32 s45, exec_lo
	v_cmpx_gt_u32_e32 8, v25
; %bb.150:                              ;   in Loop: Header=BB275_15 Depth=1
	s_delay_alu instid0(VALU_DEP_2) | instskip(NEXT) | instid1(VALU_DEP_1)
	v_clz_i32_u32_e32 v8, v8
	v_min_u32_e32 v8, 32, v8
	s_delay_alu instid0(VALU_DEP_1) | instskip(NEXT) | instid1(VALU_DEP_1)
	v_subrev_nc_u32_e32 v24, 28, v8
	v_lshlrev_b64_e32 v[26:27], v24, v[4:5]
	s_delay_alu instid0(VALU_DEP_1)
	v_dual_sub_nc_u32 v24, 29, v8 :: v_dual_bitop2_b32 v8, 7, v26 bitop3:0x40
; %bb.151:                              ;   in Loop: Header=BB275_15 Depth=1
	s_or_b32 exec_lo, exec_lo, s45
	v_lshlrev_b32_e32 v25, 8, v4
	s_delay_alu instid0(VALU_DEP_2) | instskip(NEXT) | instid1(VALU_DEP_3)
	v_lshl_add_u32 v24, v24, 10, 0x2000
	v_lshlrev_b32_e32 v8, 7, v8
	s_delay_alu instid0(VALU_DEP_3) | instskip(NEXT) | instid1(VALU_DEP_3)
	v_and_b32_e32 v25, 0x8000, v25
	v_and_b32_e32 v24, 0xfc00, v24
	s_delay_alu instid0(VALU_DEP_1)
	v_or3_b32 v36, v25, v24, v8
.LBB275_152:                            ;   in Loop: Header=BB275_15 Depth=1
	s_or_b32 exec_lo, exec_lo, s44
.LBB275_153:                            ;   in Loop: Header=BB275_15 Depth=1
	s_delay_alu instid0(SALU_CYCLE_1)
	s_or_b32 exec_lo, exec_lo, s43
.LBB275_154:                            ;   in Loop: Header=BB275_15 Depth=1
	s_delay_alu instid0(SALU_CYCLE_1) | instskip(SKIP_3) | instid1(VALU_DEP_2)
	s_or_b32 exec_lo, exec_lo, s42
	v_lshrrev_b16 v8, 8, v4
	v_dual_mov_b32 v37, 0 :: v_dual_mov_b32 v38, 0
	s_mov_b32 s42, exec_lo
	v_cmpx_ne_u16_e32 0, v8
	s_cbranch_execz .LBB275_162
; %bb.155:                              ;   in Loop: Header=BB275_15 Depth=1
	v_bfrev_b32_e32 v38, 1
	s_mov_b32 s43, exec_lo
	v_cmpx_ne_u16_e32 0x80, v8
	s_cbranch_execz .LBB275_161
; %bb.156:                              ;   in Loop: Header=BB275_15 Depth=1
	v_and_b32_e32 v24, 0xffff, v8
	v_mov_b32_e32 v38, 0x7c010000
	s_mov_b32 s44, exec_lo
	s_delay_alu instid0(VALU_DEP_2) | instskip(NEXT) | instid1(VALU_DEP_1)
	v_and_b32_e32 v27, 0x7f, v24
	v_cmpx_ne_u32_e32 0x7f, v27
	s_cbranch_execz .LBB275_160
; %bb.157:                              ;   in Loop: Header=BB275_15 Depth=1
	v_dual_lshrrev_b32 v26, 3, v27 :: v_dual_bitop2_b32 v25, 7, v24 bitop3:0x40
	s_mov_b32 s45, exec_lo
	v_cmpx_gt_u32_e32 8, v27
; %bb.158:                              ;   in Loop: Header=BB275_15 Depth=1
	s_delay_alu instid0(VALU_DEP_2) | instskip(NEXT) | instid1(VALU_DEP_1)
	v_clz_i32_u32_e32 v25, v25
	v_min_u32_e32 v25, 32, v25
	s_delay_alu instid0(VALU_DEP_1) | instskip(NEXT) | instid1(VALU_DEP_1)
	v_subrev_nc_u32_e32 v26, 28, v25
	v_lshlrev_b64_e32 v[38:39], v26, v[8:9]
	s_delay_alu instid0(VALU_DEP_1)
	v_dual_sub_nc_u32 v26, 29, v25 :: v_dual_bitop2_b32 v25, 7, v38 bitop3:0x40
; %bb.159:                              ;   in Loop: Header=BB275_15 Depth=1
	s_or_b32 exec_lo, exec_lo, s45
	v_lshlrev_b32_e32 v8, 8, v24
	s_delay_alu instid0(VALU_DEP_2) | instskip(NEXT) | instid1(VALU_DEP_1)
	v_lshl_add_u32 v24, v26, 10, 0x2000
	v_and_or_b32 v8, 0x8000, v8, v24
	v_lshlrev_b32_e32 v24, 23, v25
	s_delay_alu instid0(VALU_DEP_1)
	v_lshl_or_b32 v38, v8, 16, v24
.LBB275_160:                            ;   in Loop: Header=BB275_15 Depth=1
	s_or_b32 exec_lo, exec_lo, s44
.LBB275_161:                            ;   in Loop: Header=BB275_15 Depth=1
	s_delay_alu instid0(SALU_CYCLE_1)
	s_or_b32 exec_lo, exec_lo, s43
.LBB275_162:                            ;   in Loop: Header=BB275_15 Depth=1
	s_delay_alu instid0(SALU_CYCLE_1) | instskip(SKIP_2) | instid1(VALU_DEP_1)
	s_or_b32 exec_lo, exec_lo, s42
	v_lshrrev_b32_e32 v8, 16, v4
	s_mov_b32 s42, exec_lo
	v_and_b32_e32 v24, 0xff, v8
	s_delay_alu instid0(VALU_DEP_1)
	v_cmpx_ne_u16_e32 0, v24
	s_cbranch_execz .LBB275_170
; %bb.163:                              ;   in Loop: Header=BB275_15 Depth=1
	v_mov_b32_e32 v37, 0x8000
	s_mov_b32 s43, exec_lo
	v_cmpx_ne_u16_e32 0x80, v24
	s_cbranch_execz .LBB275_169
; %bb.164:                              ;   in Loop: Header=BB275_15 Depth=1
	v_bfe_u32 v26, v4, 16, 7
	v_mov_b32_e32 v37, 0x7c01
	s_mov_b32 s44, exec_lo
	s_delay_alu instid0(VALU_DEP_2)
	v_cmpx_ne_u32_e32 0x7f, v26
	s_cbranch_execz .LBB275_168
; %bb.165:                              ;   in Loop: Header=BB275_15 Depth=1
	v_dual_lshrrev_b32 v25, 3, v26 :: v_dual_bitop2_b32 v24, 7, v8 bitop3:0x40
	s_mov_b32 s45, exec_lo
	v_cmpx_gt_u32_e32 8, v26
; %bb.166:                              ;   in Loop: Header=BB275_15 Depth=1
	s_delay_alu instid0(VALU_DEP_2) | instskip(NEXT) | instid1(VALU_DEP_1)
	v_clz_i32_u32_e32 v24, v24
	v_min_u32_e32 v26, 32, v24
	s_delay_alu instid0(VALU_DEP_1) | instskip(NEXT) | instid1(VALU_DEP_1)
	v_subrev_nc_u32_e32 v24, 28, v26
	v_lshlrev_b64_e32 v[24:25], v24, v[8:9]
	s_delay_alu instid0(VALU_DEP_1)
	v_dual_sub_nc_u32 v25, 29, v26 :: v_dual_bitop2_b32 v24, 7, v24 bitop3:0x40
; %bb.167:                              ;   in Loop: Header=BB275_15 Depth=1
	s_or_b32 exec_lo, exec_lo, s45
	v_lshlrev_b32_e32 v8, 8, v8
	s_delay_alu instid0(VALU_DEP_2) | instskip(NEXT) | instid1(VALU_DEP_3)
	v_lshl_add_u32 v25, v25, 10, 0x2000
	v_lshlrev_b32_e32 v24, 7, v24
	s_delay_alu instid0(VALU_DEP_3) | instskip(NEXT) | instid1(VALU_DEP_3)
	v_and_b32_e32 v8, 0x8000, v8
	v_and_b32_e32 v25, 0xfc00, v25
	s_delay_alu instid0(VALU_DEP_1)
	v_or3_b32 v37, v8, v25, v24
.LBB275_168:                            ;   in Loop: Header=BB275_15 Depth=1
	s_or_b32 exec_lo, exec_lo, s44
.LBB275_169:                            ;   in Loop: Header=BB275_15 Depth=1
	s_delay_alu instid0(SALU_CYCLE_1)
	s_or_b32 exec_lo, exec_lo, s43
.LBB275_170:                            ;   in Loop: Header=BB275_15 Depth=1
	s_delay_alu instid0(SALU_CYCLE_1)
	s_or_b32 exec_lo, exec_lo, s42
	v_dual_mov_b32 v39, 0 :: v_dual_mov_b32 v44, 0
	s_mov_b32 s42, exec_lo
	v_cmpx_lt_u32_e32 0xffffff, v4
	s_cbranch_execz .LBB275_178
; %bb.171:                              ;   in Loop: Header=BB275_15 Depth=1
	v_lshrrev_b32_e32 v8, 24, v4
	v_bfrev_b32_e32 v44, 1
	s_mov_b32 s43, exec_lo
	s_delay_alu instid0(VALU_DEP_2)
	v_cmpx_ne_u32_e32 0x80, v8
	s_cbranch_execz .LBB275_177
; %bb.172:                              ;   in Loop: Header=BB275_15 Depth=1
	v_and_b32_e32 v26, 0x7f, v8
	v_mov_b32_e32 v44, 0x7c010000
	s_mov_b32 s44, exec_lo
	s_delay_alu instid0(VALU_DEP_2)
	v_cmpx_ne_u32_e32 0x7f, v26
	s_cbranch_execz .LBB275_176
; %bb.173:                              ;   in Loop: Header=BB275_15 Depth=1
	v_dual_lshrrev_b32 v25, 3, v26 :: v_dual_bitop2_b32 v24, 7, v8 bitop3:0x40
	s_mov_b32 s45, exec_lo
	v_cmpx_gt_u32_e32 8, v26
; %bb.174:                              ;   in Loop: Header=BB275_15 Depth=1
	s_delay_alu instid0(VALU_DEP_2) | instskip(NEXT) | instid1(VALU_DEP_1)
	v_clz_i32_u32_e32 v24, v24
	v_min_u32_e32 v26, 32, v24
	s_delay_alu instid0(VALU_DEP_1) | instskip(NEXT) | instid1(VALU_DEP_1)
	v_subrev_nc_u32_e32 v24, 28, v26
	v_lshlrev_b64_e32 v[24:25], v24, v[8:9]
	s_delay_alu instid0(VALU_DEP_1)
	v_dual_sub_nc_u32 v25, 29, v26 :: v_dual_bitop2_b32 v24, 7, v24 bitop3:0x40
; %bb.175:                              ;   in Loop: Header=BB275_15 Depth=1
	s_or_b32 exec_lo, exec_lo, s45
	v_lshlrev_b32_e32 v8, 8, v8
	s_delay_alu instid0(VALU_DEP_2) | instskip(NEXT) | instid1(VALU_DEP_3)
	v_lshl_add_u32 v25, v25, 10, 0x2000
	v_lshlrev_b32_e32 v24, 23, v24
	s_delay_alu instid0(VALU_DEP_2) | instskip(NEXT) | instid1(VALU_DEP_1)
	v_and_or_b32 v8, 0x8000, v8, v25
	v_lshl_or_b32 v44, v8, 16, v24
.LBB275_176:                            ;   in Loop: Header=BB275_15 Depth=1
	s_or_b32 exec_lo, exec_lo, s44
.LBB275_177:                            ;   in Loop: Header=BB275_15 Depth=1
	s_delay_alu instid0(SALU_CYCLE_1)
	s_or_b32 exec_lo, exec_lo, s43
.LBB275_178:                            ;   in Loop: Header=BB275_15 Depth=1
	s_delay_alu instid0(SALU_CYCLE_1) | instskip(SKIP_3) | instid1(VALU_DEP_2)
	s_or_b32 exec_lo, exec_lo, s42
	v_and_b32_e32 v24, 0xff, v5
	v_mov_b32_e32 v8, v5
	s_mov_b32 s42, exec_lo
	v_cmpx_ne_u16_e32 0, v24
	s_cbranch_execz .LBB275_186
; %bb.179:                              ;   in Loop: Header=BB275_15 Depth=1
	v_mov_b32_e32 v39, 0x8000
	s_mov_b32 s43, exec_lo
	v_cmpx_ne_u16_e32 0x80, v24
	s_cbranch_execz .LBB275_185
; %bb.180:                              ;   in Loop: Header=BB275_15 Depth=1
	v_and_b32_e32 v26, 0x7f, v5
	v_mov_b32_e32 v39, 0x7c01
	s_mov_b32 s44, exec_lo
	s_delay_alu instid0(VALU_DEP_2)
	v_cmpx_ne_u32_e32 0x7f, v26
	s_cbranch_execz .LBB275_184
; %bb.181:                              ;   in Loop: Header=BB275_15 Depth=1
	v_dual_lshrrev_b32 v25, 3, v26 :: v_dual_bitop2_b32 v24, 7, v5 bitop3:0x40
	s_mov_b32 s45, exec_lo
	v_cmpx_gt_u32_e32 8, v26
; %bb.182:                              ;   in Loop: Header=BB275_15 Depth=1
	s_delay_alu instid0(VALU_DEP_2) | instskip(NEXT) | instid1(VALU_DEP_1)
	v_clz_i32_u32_e32 v24, v24
	v_min_u32_e32 v26, 32, v24
	s_delay_alu instid0(VALU_DEP_1) | instskip(NEXT) | instid1(VALU_DEP_1)
	v_subrev_nc_u32_e32 v24, 28, v26
	v_lshlrev_b64_e32 v[24:25], v24, v[8:9]
	s_delay_alu instid0(VALU_DEP_1)
	v_dual_sub_nc_u32 v25, 29, v26 :: v_dual_bitop2_b32 v24, 7, v24 bitop3:0x40
; %bb.183:                              ;   in Loop: Header=BB275_15 Depth=1
	s_or_b32 exec_lo, exec_lo, s45
	s_delay_alu instid0(VALU_DEP_1) | instskip(NEXT) | instid1(VALU_DEP_2)
	v_dual_lshlrev_b32 v26, 8, v5 :: v_dual_lshlrev_b32 v24, 7, v24
	v_lshl_add_u32 v25, v25, 10, 0x2000
	s_delay_alu instid0(VALU_DEP_2) | instskip(NEXT) | instid1(VALU_DEP_2)
	v_and_b32_e32 v26, 0x8000, v26
	v_and_b32_e32 v25, 0xfc00, v25
	s_delay_alu instid0(VALU_DEP_1)
	v_or3_b32 v39, v26, v25, v24
.LBB275_184:                            ;   in Loop: Header=BB275_15 Depth=1
	s_or_b32 exec_lo, exec_lo, s44
.LBB275_185:                            ;   in Loop: Header=BB275_15 Depth=1
	s_delay_alu instid0(SALU_CYCLE_1)
	s_or_b32 exec_lo, exec_lo, s43
.LBB275_186:                            ;   in Loop: Header=BB275_15 Depth=1
	s_delay_alu instid0(SALU_CYCLE_1) | instskip(SKIP_3) | instid1(VALU_DEP_2)
	s_or_b32 exec_lo, exec_lo, s42
	v_lshrrev_b16 v8, 8, v8
	v_dual_mov_b32 v46, 0 :: v_dual_mov_b32 v45, 0
	s_mov_b32 s42, exec_lo
	v_cmpx_ne_u16_e32 0, v8
	s_cbranch_execz .LBB275_194
; %bb.187:                              ;   in Loop: Header=BB275_15 Depth=1
	v_bfrev_b32_e32 v45, 1
	s_mov_b32 s43, exec_lo
	v_cmpx_ne_u16_e32 0x80, v8
	s_cbranch_execz .LBB275_193
; %bb.188:                              ;   in Loop: Header=BB275_15 Depth=1
	v_and_b32_e32 v24, 0xffff, v8
	v_mov_b32_e32 v45, 0x7c010000
	s_mov_b32 s44, exec_lo
	s_delay_alu instid0(VALU_DEP_2) | instskip(NEXT) | instid1(VALU_DEP_1)
	v_and_b32_e32 v27, 0x7f, v24
	v_cmpx_ne_u32_e32 0x7f, v27
	s_cbranch_execz .LBB275_192
; %bb.189:                              ;   in Loop: Header=BB275_15 Depth=1
	v_dual_lshrrev_b32 v26, 3, v27 :: v_dual_bitop2_b32 v25, 7, v24 bitop3:0x40
	s_mov_b32 s45, exec_lo
	v_cmpx_gt_u32_e32 8, v27
; %bb.190:                              ;   in Loop: Header=BB275_15 Depth=1
	s_delay_alu instid0(VALU_DEP_2) | instskip(NEXT) | instid1(VALU_DEP_1)
	v_clz_i32_u32_e32 v25, v25
	v_min_u32_e32 v25, 32, v25
	s_delay_alu instid0(VALU_DEP_1) | instskip(NEXT) | instid1(VALU_DEP_1)
	v_subrev_nc_u32_e32 v26, 28, v25
	v_lshlrev_b64_e32 v[40:41], v26, v[8:9]
	s_delay_alu instid0(VALU_DEP_1)
	v_dual_sub_nc_u32 v26, 29, v25 :: v_dual_bitop2_b32 v25, 7, v40 bitop3:0x40
; %bb.191:                              ;   in Loop: Header=BB275_15 Depth=1
	s_or_b32 exec_lo, exec_lo, s45
	v_lshlrev_b32_e32 v8, 8, v24
	s_delay_alu instid0(VALU_DEP_2) | instskip(NEXT) | instid1(VALU_DEP_1)
	v_lshl_add_u32 v24, v26, 10, 0x2000
	v_and_or_b32 v8, 0x8000, v8, v24
	v_lshlrev_b32_e32 v24, 23, v25
	s_delay_alu instid0(VALU_DEP_1)
	v_lshl_or_b32 v45, v8, 16, v24
.LBB275_192:                            ;   in Loop: Header=BB275_15 Depth=1
	s_or_b32 exec_lo, exec_lo, s44
.LBB275_193:                            ;   in Loop: Header=BB275_15 Depth=1
	s_delay_alu instid0(SALU_CYCLE_1)
	s_or_b32 exec_lo, exec_lo, s43
.LBB275_194:                            ;   in Loop: Header=BB275_15 Depth=1
	s_delay_alu instid0(SALU_CYCLE_1) | instskip(SKIP_2) | instid1(VALU_DEP_1)
	s_or_b32 exec_lo, exec_lo, s42
	v_lshrrev_b32_e32 v8, 16, v5
	s_mov_b32 s42, exec_lo
	v_and_b32_e32 v24, 0xff, v8
	s_delay_alu instid0(VALU_DEP_1)
	v_cmpx_ne_u16_e32 0, v24
	s_cbranch_execz .LBB275_202
; %bb.195:                              ;   in Loop: Header=BB275_15 Depth=1
	v_mov_b32_e32 v46, 0x8000
	s_mov_b32 s43, exec_lo
	v_cmpx_ne_u16_e32 0x80, v24
	s_cbranch_execz .LBB275_201
; %bb.196:                              ;   in Loop: Header=BB275_15 Depth=1
	v_bfe_u32 v26, v5, 16, 7
	v_mov_b32_e32 v46, 0x7c01
	s_mov_b32 s44, exec_lo
	s_delay_alu instid0(VALU_DEP_2)
	v_cmpx_ne_u32_e32 0x7f, v26
	s_cbranch_execz .LBB275_200
; %bb.197:                              ;   in Loop: Header=BB275_15 Depth=1
	v_dual_lshrrev_b32 v25, 3, v26 :: v_dual_bitop2_b32 v24, 7, v8 bitop3:0x40
	s_mov_b32 s45, exec_lo
	v_cmpx_gt_u32_e32 8, v26
; %bb.198:                              ;   in Loop: Header=BB275_15 Depth=1
	s_delay_alu instid0(VALU_DEP_2) | instskip(NEXT) | instid1(VALU_DEP_1)
	v_clz_i32_u32_e32 v24, v24
	v_min_u32_e32 v26, 32, v24
	s_delay_alu instid0(VALU_DEP_1) | instskip(NEXT) | instid1(VALU_DEP_1)
	v_subrev_nc_u32_e32 v24, 28, v26
	v_lshlrev_b64_e32 v[24:25], v24, v[8:9]
	s_delay_alu instid0(VALU_DEP_1)
	v_dual_sub_nc_u32 v25, 29, v26 :: v_dual_bitop2_b32 v24, 7, v24 bitop3:0x40
; %bb.199:                              ;   in Loop: Header=BB275_15 Depth=1
	s_or_b32 exec_lo, exec_lo, s45
	v_lshlrev_b32_e32 v8, 8, v8
	s_delay_alu instid0(VALU_DEP_2) | instskip(NEXT) | instid1(VALU_DEP_3)
	v_lshl_add_u32 v25, v25, 10, 0x2000
	v_lshlrev_b32_e32 v24, 7, v24
	s_delay_alu instid0(VALU_DEP_3) | instskip(NEXT) | instid1(VALU_DEP_3)
	v_and_b32_e32 v8, 0x8000, v8
	v_and_b32_e32 v25, 0xfc00, v25
	s_delay_alu instid0(VALU_DEP_1)
	v_or3_b32 v46, v8, v25, v24
.LBB275_200:                            ;   in Loop: Header=BB275_15 Depth=1
	s_or_b32 exec_lo, exec_lo, s44
.LBB275_201:                            ;   in Loop: Header=BB275_15 Depth=1
	s_delay_alu instid0(SALU_CYCLE_1)
	s_or_b32 exec_lo, exec_lo, s43
.LBB275_202:                            ;   in Loop: Header=BB275_15 Depth=1
	s_delay_alu instid0(SALU_CYCLE_1)
	s_or_b32 exec_lo, exec_lo, s42
	v_dual_mov_b32 v52, 0 :: v_dual_mov_b32 v47, 0
	s_mov_b32 s42, exec_lo
	v_cmpx_lt_u64_e64 s[26:27], v[4:5]
	s_cbranch_execz .LBB275_210
; %bb.203:                              ;   in Loop: Header=BB275_15 Depth=1
	v_lshrrev_b32_e32 v8, 24, v5
	v_bfrev_b32_e32 v47, 1
	s_mov_b32 s43, exec_lo
	s_delay_alu instid0(VALU_DEP_2)
	v_cmpx_ne_u32_e32 0x80, v8
	s_cbranch_execz .LBB275_209
; %bb.204:                              ;   in Loop: Header=BB275_15 Depth=1
	v_and_b32_e32 v24, 0x7f, v8
	v_mov_b32_e32 v47, 0x7c010000
	s_mov_b32 s44, exec_lo
	s_delay_alu instid0(VALU_DEP_2)
	v_cmpx_ne_u32_e32 0x7f, v24
	s_cbranch_execz .LBB275_208
; %bb.205:                              ;   in Loop: Header=BB275_15 Depth=1
	v_and_b32_e32 v4, 7, v8
	v_lshrrev_b32_e32 v5, 3, v24
	s_mov_b32 s45, exec_lo
	v_cmpx_gt_u32_e32 8, v24
; %bb.206:                              ;   in Loop: Header=BB275_15 Depth=1
	s_delay_alu instid0(VALU_DEP_3) | instskip(NEXT) | instid1(VALU_DEP_1)
	v_clz_i32_u32_e32 v4, v4
	v_min_u32_e32 v24, 32, v4
	s_delay_alu instid0(VALU_DEP_1) | instskip(NEXT) | instid1(VALU_DEP_1)
	v_subrev_nc_u32_e32 v4, 28, v24
	v_lshlrev_b64_e32 v[4:5], v4, v[8:9]
	v_sub_nc_u32_e32 v5, 29, v24
	s_delay_alu instid0(VALU_DEP_2)
	v_and_b32_e32 v4, 7, v4
; %bb.207:                              ;   in Loop: Header=BB275_15 Depth=1
	s_or_b32 exec_lo, exec_lo, s45
	v_lshlrev_b32_e32 v8, 8, v8
	s_delay_alu instid0(VALU_DEP_3) | instskip(NEXT) | instid1(VALU_DEP_3)
	v_lshl_add_u32 v5, v5, 10, 0x2000
	v_lshlrev_b32_e32 v4, 23, v4
	s_delay_alu instid0(VALU_DEP_2) | instskip(NEXT) | instid1(VALU_DEP_1)
	v_and_or_b32 v5, 0x8000, v8, v5
	v_lshl_or_b32 v47, v5, 16, v4
.LBB275_208:                            ;   in Loop: Header=BB275_15 Depth=1
	s_or_b32 exec_lo, exec_lo, s44
.LBB275_209:                            ;   in Loop: Header=BB275_15 Depth=1
	s_delay_alu instid0(SALU_CYCLE_1)
	s_or_b32 exec_lo, exec_lo, s43
.LBB275_210:                            ;   in Loop: Header=BB275_15 Depth=1
	s_delay_alu instid0(SALU_CYCLE_1) | instskip(SKIP_4) | instid1(VALU_DEP_1)
	s_or_b32 exec_lo, exec_lo, s42
	global_load_b64 v[4:5], v[2:3], off offset:520
	s_mov_b32 s42, exec_lo
	s_wait_loadcnt 0x0
	v_and_b32_e32 v8, 0xff, v4
	v_cmpx_ne_u16_e32 0, v8
	s_cbranch_execz .LBB275_218
; %bb.211:                              ;   in Loop: Header=BB275_15 Depth=1
	v_mov_b32_e32 v52, 0x8000
	s_mov_b32 s43, exec_lo
	v_cmpx_ne_u16_e32 0x80, v8
	s_cbranch_execz .LBB275_217
; %bb.212:                              ;   in Loop: Header=BB275_15 Depth=1
	v_and_b32_e32 v25, 0x7f, v4
	v_mov_b32_e32 v52, 0x7c01
	s_mov_b32 s44, exec_lo
	s_delay_alu instid0(VALU_DEP_2)
	v_cmpx_ne_u32_e32 0x7f, v25
	s_cbranch_execz .LBB275_216
; %bb.213:                              ;   in Loop: Header=BB275_15 Depth=1
	v_dual_lshrrev_b32 v24, 3, v25 :: v_dual_bitop2_b32 v8, 7, v4 bitop3:0x40
	s_mov_b32 s45, exec_lo
	v_cmpx_gt_u32_e32 8, v25
; %bb.214:                              ;   in Loop: Header=BB275_15 Depth=1
	s_delay_alu instid0(VALU_DEP_2) | instskip(NEXT) | instid1(VALU_DEP_1)
	v_clz_i32_u32_e32 v8, v8
	v_min_u32_e32 v8, 32, v8
	s_delay_alu instid0(VALU_DEP_1) | instskip(NEXT) | instid1(VALU_DEP_1)
	v_subrev_nc_u32_e32 v24, 28, v8
	v_lshlrev_b64_e32 v[26:27], v24, v[4:5]
	s_delay_alu instid0(VALU_DEP_1)
	v_dual_sub_nc_u32 v24, 29, v8 :: v_dual_bitop2_b32 v8, 7, v26 bitop3:0x40
; %bb.215:                              ;   in Loop: Header=BB275_15 Depth=1
	s_or_b32 exec_lo, exec_lo, s45
	v_lshlrev_b32_e32 v25, 8, v4
	s_delay_alu instid0(VALU_DEP_2) | instskip(NEXT) | instid1(VALU_DEP_3)
	v_lshl_add_u32 v24, v24, 10, 0x2000
	v_lshlrev_b32_e32 v8, 7, v8
	s_delay_alu instid0(VALU_DEP_3) | instskip(NEXT) | instid1(VALU_DEP_3)
	v_and_b32_e32 v25, 0x8000, v25
	v_and_b32_e32 v24, 0xfc00, v24
	s_delay_alu instid0(VALU_DEP_1)
	v_or3_b32 v52, v25, v24, v8
.LBB275_216:                            ;   in Loop: Header=BB275_15 Depth=1
	s_or_b32 exec_lo, exec_lo, s44
.LBB275_217:                            ;   in Loop: Header=BB275_15 Depth=1
	s_delay_alu instid0(SALU_CYCLE_1)
	s_or_b32 exec_lo, exec_lo, s43
.LBB275_218:                            ;   in Loop: Header=BB275_15 Depth=1
	s_delay_alu instid0(SALU_CYCLE_1) | instskip(SKIP_3) | instid1(VALU_DEP_2)
	s_or_b32 exec_lo, exec_lo, s42
	v_lshrrev_b16 v8, 8, v4
	v_dual_mov_b32 v53, 0 :: v_dual_mov_b32 v54, 0
	s_mov_b32 s42, exec_lo
	v_cmpx_ne_u16_e32 0, v8
	s_cbranch_execz .LBB275_226
; %bb.219:                              ;   in Loop: Header=BB275_15 Depth=1
	v_bfrev_b32_e32 v54, 1
	s_mov_b32 s43, exec_lo
	v_cmpx_ne_u16_e32 0x80, v8
	s_cbranch_execz .LBB275_225
; %bb.220:                              ;   in Loop: Header=BB275_15 Depth=1
	v_and_b32_e32 v24, 0xffff, v8
	v_mov_b32_e32 v54, 0x7c010000
	s_mov_b32 s44, exec_lo
	s_delay_alu instid0(VALU_DEP_2) | instskip(NEXT) | instid1(VALU_DEP_1)
	v_and_b32_e32 v27, 0x7f, v24
	v_cmpx_ne_u32_e32 0x7f, v27
	s_cbranch_execz .LBB275_224
; %bb.221:                              ;   in Loop: Header=BB275_15 Depth=1
	v_dual_lshrrev_b32 v26, 3, v27 :: v_dual_bitop2_b32 v25, 7, v24 bitop3:0x40
	s_mov_b32 s45, exec_lo
	v_cmpx_gt_u32_e32 8, v27
; %bb.222:                              ;   in Loop: Header=BB275_15 Depth=1
	s_delay_alu instid0(VALU_DEP_2) | instskip(NEXT) | instid1(VALU_DEP_1)
	v_clz_i32_u32_e32 v25, v25
	v_min_u32_e32 v25, 32, v25
	s_delay_alu instid0(VALU_DEP_1) | instskip(NEXT) | instid1(VALU_DEP_1)
	v_subrev_nc_u32_e32 v26, 28, v25
	v_lshlrev_b64_e32 v[40:41], v26, v[8:9]
	s_delay_alu instid0(VALU_DEP_1)
	v_dual_sub_nc_u32 v26, 29, v25 :: v_dual_bitop2_b32 v25, 7, v40 bitop3:0x40
; %bb.223:                              ;   in Loop: Header=BB275_15 Depth=1
	s_or_b32 exec_lo, exec_lo, s45
	v_lshlrev_b32_e32 v8, 8, v24
	s_delay_alu instid0(VALU_DEP_2) | instskip(NEXT) | instid1(VALU_DEP_1)
	v_lshl_add_u32 v24, v26, 10, 0x2000
	v_and_or_b32 v8, 0x8000, v8, v24
	v_lshlrev_b32_e32 v24, 23, v25
	s_delay_alu instid0(VALU_DEP_1)
	v_lshl_or_b32 v54, v8, 16, v24
.LBB275_224:                            ;   in Loop: Header=BB275_15 Depth=1
	s_or_b32 exec_lo, exec_lo, s44
.LBB275_225:                            ;   in Loop: Header=BB275_15 Depth=1
	s_delay_alu instid0(SALU_CYCLE_1)
	s_or_b32 exec_lo, exec_lo, s43
.LBB275_226:                            ;   in Loop: Header=BB275_15 Depth=1
	s_delay_alu instid0(SALU_CYCLE_1) | instskip(SKIP_2) | instid1(VALU_DEP_1)
	s_or_b32 exec_lo, exec_lo, s42
	v_lshrrev_b32_e32 v8, 16, v4
	s_mov_b32 s42, exec_lo
	v_and_b32_e32 v24, 0xff, v8
	s_delay_alu instid0(VALU_DEP_1)
	v_cmpx_ne_u16_e32 0, v24
	s_cbranch_execz .LBB275_234
; %bb.227:                              ;   in Loop: Header=BB275_15 Depth=1
	v_mov_b32_e32 v53, 0x8000
	s_mov_b32 s43, exec_lo
	v_cmpx_ne_u16_e32 0x80, v24
	s_cbranch_execz .LBB275_233
; %bb.228:                              ;   in Loop: Header=BB275_15 Depth=1
	v_bfe_u32 v26, v4, 16, 7
	v_mov_b32_e32 v53, 0x7c01
	s_mov_b32 s44, exec_lo
	s_delay_alu instid0(VALU_DEP_2)
	v_cmpx_ne_u32_e32 0x7f, v26
	s_cbranch_execz .LBB275_232
; %bb.229:                              ;   in Loop: Header=BB275_15 Depth=1
	v_dual_lshrrev_b32 v25, 3, v26 :: v_dual_bitop2_b32 v24, 7, v8 bitop3:0x40
	s_mov_b32 s45, exec_lo
	v_cmpx_gt_u32_e32 8, v26
; %bb.230:                              ;   in Loop: Header=BB275_15 Depth=1
	s_delay_alu instid0(VALU_DEP_2) | instskip(NEXT) | instid1(VALU_DEP_1)
	v_clz_i32_u32_e32 v24, v24
	v_min_u32_e32 v26, 32, v24
	s_delay_alu instid0(VALU_DEP_1) | instskip(NEXT) | instid1(VALU_DEP_1)
	v_subrev_nc_u32_e32 v24, 28, v26
	v_lshlrev_b64_e32 v[24:25], v24, v[8:9]
	s_delay_alu instid0(VALU_DEP_1)
	v_dual_sub_nc_u32 v25, 29, v26 :: v_dual_bitop2_b32 v24, 7, v24 bitop3:0x40
; %bb.231:                              ;   in Loop: Header=BB275_15 Depth=1
	s_or_b32 exec_lo, exec_lo, s45
	v_lshlrev_b32_e32 v8, 8, v8
	s_delay_alu instid0(VALU_DEP_2) | instskip(NEXT) | instid1(VALU_DEP_3)
	v_lshl_add_u32 v25, v25, 10, 0x2000
	v_lshlrev_b32_e32 v24, 7, v24
	s_delay_alu instid0(VALU_DEP_3) | instskip(NEXT) | instid1(VALU_DEP_3)
	v_and_b32_e32 v8, 0x8000, v8
	v_and_b32_e32 v25, 0xfc00, v25
	s_delay_alu instid0(VALU_DEP_1)
	v_or3_b32 v53, v8, v25, v24
.LBB275_232:                            ;   in Loop: Header=BB275_15 Depth=1
	s_or_b32 exec_lo, exec_lo, s44
.LBB275_233:                            ;   in Loop: Header=BB275_15 Depth=1
	s_delay_alu instid0(SALU_CYCLE_1)
	s_or_b32 exec_lo, exec_lo, s43
.LBB275_234:                            ;   in Loop: Header=BB275_15 Depth=1
	s_delay_alu instid0(SALU_CYCLE_1)
	s_or_b32 exec_lo, exec_lo, s42
	v_dual_mov_b32 v55, 0 :: v_dual_mov_b32 v60, 0
	s_mov_b32 s42, exec_lo
	v_cmpx_lt_u32_e32 0xffffff, v4
	s_cbranch_execz .LBB275_242
; %bb.235:                              ;   in Loop: Header=BB275_15 Depth=1
	v_lshrrev_b32_e32 v8, 24, v4
	v_bfrev_b32_e32 v60, 1
	s_mov_b32 s43, exec_lo
	s_delay_alu instid0(VALU_DEP_2)
	v_cmpx_ne_u32_e32 0x80, v8
	s_cbranch_execz .LBB275_241
; %bb.236:                              ;   in Loop: Header=BB275_15 Depth=1
	v_and_b32_e32 v26, 0x7f, v8
	v_mov_b32_e32 v60, 0x7c010000
	s_mov_b32 s44, exec_lo
	s_delay_alu instid0(VALU_DEP_2)
	v_cmpx_ne_u32_e32 0x7f, v26
	s_cbranch_execz .LBB275_240
; %bb.237:                              ;   in Loop: Header=BB275_15 Depth=1
	v_dual_lshrrev_b32 v25, 3, v26 :: v_dual_bitop2_b32 v24, 7, v8 bitop3:0x40
	s_mov_b32 s45, exec_lo
	v_cmpx_gt_u32_e32 8, v26
; %bb.238:                              ;   in Loop: Header=BB275_15 Depth=1
	s_delay_alu instid0(VALU_DEP_2) | instskip(NEXT) | instid1(VALU_DEP_1)
	v_clz_i32_u32_e32 v24, v24
	v_min_u32_e32 v26, 32, v24
	s_delay_alu instid0(VALU_DEP_1) | instskip(NEXT) | instid1(VALU_DEP_1)
	v_subrev_nc_u32_e32 v24, 28, v26
	v_lshlrev_b64_e32 v[24:25], v24, v[8:9]
	s_delay_alu instid0(VALU_DEP_1)
	v_dual_sub_nc_u32 v25, 29, v26 :: v_dual_bitop2_b32 v24, 7, v24 bitop3:0x40
; %bb.239:                              ;   in Loop: Header=BB275_15 Depth=1
	s_or_b32 exec_lo, exec_lo, s45
	v_lshlrev_b32_e32 v8, 8, v8
	s_delay_alu instid0(VALU_DEP_2) | instskip(NEXT) | instid1(VALU_DEP_3)
	v_lshl_add_u32 v25, v25, 10, 0x2000
	v_lshlrev_b32_e32 v24, 23, v24
	s_delay_alu instid0(VALU_DEP_2) | instskip(NEXT) | instid1(VALU_DEP_1)
	v_and_or_b32 v8, 0x8000, v8, v25
	v_lshl_or_b32 v60, v8, 16, v24
.LBB275_240:                            ;   in Loop: Header=BB275_15 Depth=1
	s_or_b32 exec_lo, exec_lo, s44
.LBB275_241:                            ;   in Loop: Header=BB275_15 Depth=1
	s_delay_alu instid0(SALU_CYCLE_1)
	s_or_b32 exec_lo, exec_lo, s43
.LBB275_242:                            ;   in Loop: Header=BB275_15 Depth=1
	s_delay_alu instid0(SALU_CYCLE_1) | instskip(SKIP_3) | instid1(VALU_DEP_2)
	s_or_b32 exec_lo, exec_lo, s42
	v_and_b32_e32 v24, 0xff, v5
	v_mov_b32_e32 v8, v5
	s_mov_b32 s42, exec_lo
	v_cmpx_ne_u16_e32 0, v24
	s_cbranch_execz .LBB275_250
; %bb.243:                              ;   in Loop: Header=BB275_15 Depth=1
	v_mov_b32_e32 v55, 0x8000
	s_mov_b32 s43, exec_lo
	v_cmpx_ne_u16_e32 0x80, v24
	s_cbranch_execz .LBB275_249
; %bb.244:                              ;   in Loop: Header=BB275_15 Depth=1
	v_and_b32_e32 v26, 0x7f, v5
	v_mov_b32_e32 v55, 0x7c01
	s_mov_b32 s44, exec_lo
	s_delay_alu instid0(VALU_DEP_2)
	v_cmpx_ne_u32_e32 0x7f, v26
	s_cbranch_execz .LBB275_248
; %bb.245:                              ;   in Loop: Header=BB275_15 Depth=1
	v_dual_lshrrev_b32 v25, 3, v26 :: v_dual_bitop2_b32 v24, 7, v5 bitop3:0x40
	s_mov_b32 s45, exec_lo
	v_cmpx_gt_u32_e32 8, v26
; %bb.246:                              ;   in Loop: Header=BB275_15 Depth=1
	s_delay_alu instid0(VALU_DEP_2) | instskip(NEXT) | instid1(VALU_DEP_1)
	v_clz_i32_u32_e32 v24, v24
	v_min_u32_e32 v26, 32, v24
	s_delay_alu instid0(VALU_DEP_1) | instskip(NEXT) | instid1(VALU_DEP_1)
	v_subrev_nc_u32_e32 v24, 28, v26
	v_lshlrev_b64_e32 v[24:25], v24, v[8:9]
	s_delay_alu instid0(VALU_DEP_1)
	v_dual_sub_nc_u32 v25, 29, v26 :: v_dual_bitop2_b32 v24, 7, v24 bitop3:0x40
; %bb.247:                              ;   in Loop: Header=BB275_15 Depth=1
	s_or_b32 exec_lo, exec_lo, s45
	s_delay_alu instid0(VALU_DEP_1) | instskip(NEXT) | instid1(VALU_DEP_2)
	v_dual_lshlrev_b32 v26, 8, v5 :: v_dual_lshlrev_b32 v24, 7, v24
	v_lshl_add_u32 v25, v25, 10, 0x2000
	s_delay_alu instid0(VALU_DEP_2) | instskip(NEXT) | instid1(VALU_DEP_2)
	v_and_b32_e32 v26, 0x8000, v26
	v_and_b32_e32 v25, 0xfc00, v25
	s_delay_alu instid0(VALU_DEP_1)
	v_or3_b32 v55, v26, v25, v24
.LBB275_248:                            ;   in Loop: Header=BB275_15 Depth=1
	s_or_b32 exec_lo, exec_lo, s44
.LBB275_249:                            ;   in Loop: Header=BB275_15 Depth=1
	s_delay_alu instid0(SALU_CYCLE_1)
	s_or_b32 exec_lo, exec_lo, s43
.LBB275_250:                            ;   in Loop: Header=BB275_15 Depth=1
	s_delay_alu instid0(SALU_CYCLE_1) | instskip(SKIP_3) | instid1(VALU_DEP_2)
	s_or_b32 exec_lo, exec_lo, s42
	v_lshrrev_b16 v8, 8, v8
	v_dual_mov_b32 v62, 0 :: v_dual_mov_b32 v68, 0
	s_mov_b32 s42, exec_lo
	v_cmpx_ne_u16_e32 0, v8
	s_cbranch_execz .LBB275_258
; %bb.251:                              ;   in Loop: Header=BB275_15 Depth=1
	v_bfrev_b32_e32 v68, 1
	s_mov_b32 s43, exec_lo
	v_cmpx_ne_u16_e32 0x80, v8
	s_cbranch_execz .LBB275_257
; %bb.252:                              ;   in Loop: Header=BB275_15 Depth=1
	v_and_b32_e32 v24, 0xffff, v8
	v_mov_b32_e32 v68, 0x7c010000
	s_mov_b32 s44, exec_lo
	s_delay_alu instid0(VALU_DEP_2) | instskip(NEXT) | instid1(VALU_DEP_1)
	v_and_b32_e32 v27, 0x7f, v24
	v_cmpx_ne_u32_e32 0x7f, v27
	s_cbranch_execz .LBB275_256
; %bb.253:                              ;   in Loop: Header=BB275_15 Depth=1
	v_dual_lshrrev_b32 v26, 3, v27 :: v_dual_bitop2_b32 v25, 7, v24 bitop3:0x40
	s_mov_b32 s45, exec_lo
	v_cmpx_gt_u32_e32 8, v27
; %bb.254:                              ;   in Loop: Header=BB275_15 Depth=1
	s_delay_alu instid0(VALU_DEP_2) | instskip(NEXT) | instid1(VALU_DEP_1)
	v_clz_i32_u32_e32 v25, v25
	v_min_u32_e32 v25, 32, v25
	s_delay_alu instid0(VALU_DEP_1) | instskip(NEXT) | instid1(VALU_DEP_1)
	v_subrev_nc_u32_e32 v26, 28, v25
	v_lshlrev_b64_e32 v[40:41], v26, v[8:9]
	s_delay_alu instid0(VALU_DEP_1)
	v_dual_sub_nc_u32 v26, 29, v25 :: v_dual_bitop2_b32 v25, 7, v40 bitop3:0x40
; %bb.255:                              ;   in Loop: Header=BB275_15 Depth=1
	s_or_b32 exec_lo, exec_lo, s45
	v_lshlrev_b32_e32 v8, 8, v24
	s_delay_alu instid0(VALU_DEP_2) | instskip(NEXT) | instid1(VALU_DEP_1)
	v_lshl_add_u32 v24, v26, 10, 0x2000
	v_and_or_b32 v8, 0x8000, v8, v24
	v_lshlrev_b32_e32 v24, 23, v25
	s_delay_alu instid0(VALU_DEP_1)
	v_lshl_or_b32 v68, v8, 16, v24
.LBB275_256:                            ;   in Loop: Header=BB275_15 Depth=1
	s_or_b32 exec_lo, exec_lo, s44
.LBB275_257:                            ;   in Loop: Header=BB275_15 Depth=1
	s_delay_alu instid0(SALU_CYCLE_1)
	s_or_b32 exec_lo, exec_lo, s43
.LBB275_258:                            ;   in Loop: Header=BB275_15 Depth=1
	s_delay_alu instid0(SALU_CYCLE_1) | instskip(SKIP_2) | instid1(VALU_DEP_1)
	s_or_b32 exec_lo, exec_lo, s42
	v_lshrrev_b32_e32 v8, 16, v5
	s_mov_b32 s42, exec_lo
	v_and_b32_e32 v24, 0xff, v8
	s_delay_alu instid0(VALU_DEP_1)
	v_cmpx_ne_u16_e32 0, v24
	s_cbranch_execz .LBB275_266
; %bb.259:                              ;   in Loop: Header=BB275_15 Depth=1
	v_mov_b32_e32 v62, 0x8000
	s_mov_b32 s43, exec_lo
	v_cmpx_ne_u16_e32 0x80, v24
	s_cbranch_execz .LBB275_265
; %bb.260:                              ;   in Loop: Header=BB275_15 Depth=1
	v_bfe_u32 v26, v5, 16, 7
	v_mov_b32_e32 v62, 0x7c01
	s_mov_b32 s44, exec_lo
	s_delay_alu instid0(VALU_DEP_2)
	v_cmpx_ne_u32_e32 0x7f, v26
	s_cbranch_execz .LBB275_264
; %bb.261:                              ;   in Loop: Header=BB275_15 Depth=1
	v_dual_lshrrev_b32 v25, 3, v26 :: v_dual_bitop2_b32 v24, 7, v8 bitop3:0x40
	s_mov_b32 s45, exec_lo
	v_cmpx_gt_u32_e32 8, v26
; %bb.262:                              ;   in Loop: Header=BB275_15 Depth=1
	s_delay_alu instid0(VALU_DEP_2) | instskip(NEXT) | instid1(VALU_DEP_1)
	v_clz_i32_u32_e32 v24, v24
	v_min_u32_e32 v26, 32, v24
	s_delay_alu instid0(VALU_DEP_1) | instskip(NEXT) | instid1(VALU_DEP_1)
	v_subrev_nc_u32_e32 v24, 28, v26
	v_lshlrev_b64_e32 v[24:25], v24, v[8:9]
	s_delay_alu instid0(VALU_DEP_1)
	v_dual_sub_nc_u32 v25, 29, v26 :: v_dual_bitop2_b32 v24, 7, v24 bitop3:0x40
; %bb.263:                              ;   in Loop: Header=BB275_15 Depth=1
	s_or_b32 exec_lo, exec_lo, s45
	v_lshlrev_b32_e32 v8, 8, v8
	s_delay_alu instid0(VALU_DEP_2) | instskip(NEXT) | instid1(VALU_DEP_3)
	v_lshl_add_u32 v25, v25, 10, 0x2000
	v_lshlrev_b32_e32 v24, 7, v24
	s_delay_alu instid0(VALU_DEP_3) | instskip(NEXT) | instid1(VALU_DEP_3)
	v_and_b32_e32 v8, 0x8000, v8
	v_and_b32_e32 v25, 0xfc00, v25
	s_delay_alu instid0(VALU_DEP_1)
	v_or3_b32 v62, v8, v25, v24
.LBB275_264:                            ;   in Loop: Header=BB275_15 Depth=1
	s_or_b32 exec_lo, exec_lo, s44
.LBB275_265:                            ;   in Loop: Header=BB275_15 Depth=1
	s_delay_alu instid0(SALU_CYCLE_1)
	s_or_b32 exec_lo, exec_lo, s43
.LBB275_266:                            ;   in Loop: Header=BB275_15 Depth=1
	s_delay_alu instid0(SALU_CYCLE_1)
	s_or_b32 exec_lo, exec_lo, s42
	v_dual_mov_b32 v69, 0 :: v_dual_mov_b32 v70, 0
	s_mov_b32 s42, exec_lo
	v_cmpx_lt_u64_e64 s[26:27], v[4:5]
	s_cbranch_execz .LBB275_274
; %bb.267:                              ;   in Loop: Header=BB275_15 Depth=1
	v_lshrrev_b32_e32 v8, 24, v5
	v_bfrev_b32_e32 v70, 1
	s_mov_b32 s43, exec_lo
	s_delay_alu instid0(VALU_DEP_2)
	v_cmpx_ne_u32_e32 0x80, v8
	s_cbranch_execz .LBB275_273
; %bb.268:                              ;   in Loop: Header=BB275_15 Depth=1
	v_and_b32_e32 v24, 0x7f, v8
	v_mov_b32_e32 v70, 0x7c010000
	s_mov_b32 s44, exec_lo
	s_delay_alu instid0(VALU_DEP_2)
	v_cmpx_ne_u32_e32 0x7f, v24
	s_cbranch_execz .LBB275_272
; %bb.269:                              ;   in Loop: Header=BB275_15 Depth=1
	v_and_b32_e32 v4, 7, v8
	v_lshrrev_b32_e32 v5, 3, v24
	s_mov_b32 s45, exec_lo
	v_cmpx_gt_u32_e32 8, v24
; %bb.270:                              ;   in Loop: Header=BB275_15 Depth=1
	s_delay_alu instid0(VALU_DEP_3) | instskip(NEXT) | instid1(VALU_DEP_1)
	v_clz_i32_u32_e32 v4, v4
	v_min_u32_e32 v24, 32, v4
	s_delay_alu instid0(VALU_DEP_1) | instskip(NEXT) | instid1(VALU_DEP_1)
	v_subrev_nc_u32_e32 v4, 28, v24
	v_lshlrev_b64_e32 v[4:5], v4, v[8:9]
	v_sub_nc_u32_e32 v5, 29, v24
	s_delay_alu instid0(VALU_DEP_2)
	v_and_b32_e32 v4, 7, v4
; %bb.271:                              ;   in Loop: Header=BB275_15 Depth=1
	s_or_b32 exec_lo, exec_lo, s45
	v_lshlrev_b32_e32 v8, 8, v8
	s_delay_alu instid0(VALU_DEP_3) | instskip(NEXT) | instid1(VALU_DEP_3)
	v_lshl_add_u32 v5, v5, 10, 0x2000
	v_lshlrev_b32_e32 v4, 23, v4
	s_delay_alu instid0(VALU_DEP_2) | instskip(NEXT) | instid1(VALU_DEP_1)
	v_and_or_b32 v5, 0x8000, v8, v5
	v_lshl_or_b32 v70, v5, 16, v4
.LBB275_272:                            ;   in Loop: Header=BB275_15 Depth=1
	s_or_b32 exec_lo, exec_lo, s44
.LBB275_273:                            ;   in Loop: Header=BB275_15 Depth=1
	s_delay_alu instid0(SALU_CYCLE_1)
	s_or_b32 exec_lo, exec_lo, s43
.LBB275_274:                            ;   in Loop: Header=BB275_15 Depth=1
	s_delay_alu instid0(SALU_CYCLE_1) | instskip(SKIP_4) | instid1(VALU_DEP_1)
	s_or_b32 exec_lo, exec_lo, s42
	global_load_b64 v[4:5], v[2:3], off offset:1024
	s_mov_b32 s42, exec_lo
	s_wait_loadcnt 0x0
	v_and_b32_e32 v8, 0xff, v4
	v_cmpx_ne_u16_e32 0, v8
	s_cbranch_execz .LBB275_282
; %bb.275:                              ;   in Loop: Header=BB275_15 Depth=1
	v_mov_b32_e32 v69, 0x8000
	s_mov_b32 s43, exec_lo
	v_cmpx_ne_u16_e32 0x80, v8
	s_cbranch_execz .LBB275_281
; %bb.276:                              ;   in Loop: Header=BB275_15 Depth=1
	v_and_b32_e32 v25, 0x7f, v4
	v_mov_b32_e32 v69, 0x7c01
	s_mov_b32 s44, exec_lo
	s_delay_alu instid0(VALU_DEP_2)
	v_cmpx_ne_u32_e32 0x7f, v25
	s_cbranch_execz .LBB275_280
; %bb.277:                              ;   in Loop: Header=BB275_15 Depth=1
	v_dual_lshrrev_b32 v24, 3, v25 :: v_dual_bitop2_b32 v8, 7, v4 bitop3:0x40
	s_mov_b32 s45, exec_lo
	v_cmpx_gt_u32_e32 8, v25
; %bb.278:                              ;   in Loop: Header=BB275_15 Depth=1
	s_delay_alu instid0(VALU_DEP_2) | instskip(NEXT) | instid1(VALU_DEP_1)
	v_clz_i32_u32_e32 v8, v8
	v_min_u32_e32 v8, 32, v8
	s_delay_alu instid0(VALU_DEP_1) | instskip(NEXT) | instid1(VALU_DEP_1)
	v_subrev_nc_u32_e32 v24, 28, v8
	v_lshlrev_b64_e32 v[26:27], v24, v[4:5]
	s_delay_alu instid0(VALU_DEP_1)
	v_dual_sub_nc_u32 v24, 29, v8 :: v_dual_bitop2_b32 v8, 7, v26 bitop3:0x40
; %bb.279:                              ;   in Loop: Header=BB275_15 Depth=1
	s_or_b32 exec_lo, exec_lo, s45
	v_lshlrev_b32_e32 v25, 8, v4
	s_delay_alu instid0(VALU_DEP_2) | instskip(NEXT) | instid1(VALU_DEP_3)
	v_lshl_add_u32 v24, v24, 10, 0x2000
	v_lshlrev_b32_e32 v8, 7, v8
	s_delay_alu instid0(VALU_DEP_3) | instskip(NEXT) | instid1(VALU_DEP_3)
	v_and_b32_e32 v25, 0x8000, v25
	v_and_b32_e32 v24, 0xfc00, v24
	s_delay_alu instid0(VALU_DEP_1)
	v_or3_b32 v69, v25, v24, v8
.LBB275_280:                            ;   in Loop: Header=BB275_15 Depth=1
	s_or_b32 exec_lo, exec_lo, s44
.LBB275_281:                            ;   in Loop: Header=BB275_15 Depth=1
	s_delay_alu instid0(SALU_CYCLE_1)
	s_or_b32 exec_lo, exec_lo, s43
.LBB275_282:                            ;   in Loop: Header=BB275_15 Depth=1
	s_delay_alu instid0(SALU_CYCLE_1) | instskip(SKIP_3) | instid1(VALU_DEP_2)
	s_or_b32 exec_lo, exec_lo, s42
	v_lshrrev_b16 v8, 8, v4
	v_dual_mov_b32 v71, 0 :: v_dual_mov_b32 v76, 0
	s_mov_b32 s42, exec_lo
	v_cmpx_ne_u16_e32 0, v8
	s_cbranch_execz .LBB275_290
; %bb.283:                              ;   in Loop: Header=BB275_15 Depth=1
	v_bfrev_b32_e32 v76, 1
	s_mov_b32 s43, exec_lo
	v_cmpx_ne_u16_e32 0x80, v8
	s_cbranch_execz .LBB275_289
; %bb.284:                              ;   in Loop: Header=BB275_15 Depth=1
	v_and_b32_e32 v24, 0xffff, v8
	v_mov_b32_e32 v76, 0x7c010000
	s_mov_b32 s44, exec_lo
	s_delay_alu instid0(VALU_DEP_2) | instskip(NEXT) | instid1(VALU_DEP_1)
	v_and_b32_e32 v27, 0x7f, v24
	v_cmpx_ne_u32_e32 0x7f, v27
	s_cbranch_execz .LBB275_288
; %bb.285:                              ;   in Loop: Header=BB275_15 Depth=1
	v_dual_lshrrev_b32 v26, 3, v27 :: v_dual_bitop2_b32 v25, 7, v24 bitop3:0x40
	s_mov_b32 s45, exec_lo
	v_cmpx_gt_u32_e32 8, v27
; %bb.286:                              ;   in Loop: Header=BB275_15 Depth=1
	s_delay_alu instid0(VALU_DEP_2) | instskip(NEXT) | instid1(VALU_DEP_1)
	v_clz_i32_u32_e32 v25, v25
	v_min_u32_e32 v25, 32, v25
	s_delay_alu instid0(VALU_DEP_1) | instskip(NEXT) | instid1(VALU_DEP_1)
	v_subrev_nc_u32_e32 v26, 28, v25
	v_lshlrev_b64_e32 v[40:41], v26, v[8:9]
	s_delay_alu instid0(VALU_DEP_1)
	v_dual_sub_nc_u32 v26, 29, v25 :: v_dual_bitop2_b32 v25, 7, v40 bitop3:0x40
; %bb.287:                              ;   in Loop: Header=BB275_15 Depth=1
	s_or_b32 exec_lo, exec_lo, s45
	v_lshlrev_b32_e32 v8, 8, v24
	s_delay_alu instid0(VALU_DEP_2) | instskip(NEXT) | instid1(VALU_DEP_1)
	v_lshl_add_u32 v24, v26, 10, 0x2000
	v_and_or_b32 v8, 0x8000, v8, v24
	v_lshlrev_b32_e32 v24, 23, v25
	s_delay_alu instid0(VALU_DEP_1)
	v_lshl_or_b32 v76, v8, 16, v24
.LBB275_288:                            ;   in Loop: Header=BB275_15 Depth=1
	s_or_b32 exec_lo, exec_lo, s44
.LBB275_289:                            ;   in Loop: Header=BB275_15 Depth=1
	s_delay_alu instid0(SALU_CYCLE_1)
	s_or_b32 exec_lo, exec_lo, s43
.LBB275_290:                            ;   in Loop: Header=BB275_15 Depth=1
	s_delay_alu instid0(SALU_CYCLE_1) | instskip(SKIP_2) | instid1(VALU_DEP_1)
	s_or_b32 exec_lo, exec_lo, s42
	v_lshrrev_b32_e32 v8, 16, v4
	s_mov_b32 s42, exec_lo
	v_and_b32_e32 v24, 0xff, v8
	s_delay_alu instid0(VALU_DEP_1)
	v_cmpx_ne_u16_e32 0, v24
	s_cbranch_execz .LBB275_298
; %bb.291:                              ;   in Loop: Header=BB275_15 Depth=1
	v_mov_b32_e32 v71, 0x8000
	s_mov_b32 s43, exec_lo
	v_cmpx_ne_u16_e32 0x80, v24
	s_cbranch_execz .LBB275_297
; %bb.292:                              ;   in Loop: Header=BB275_15 Depth=1
	v_bfe_u32 v26, v4, 16, 7
	v_mov_b32_e32 v71, 0x7c01
	s_mov_b32 s44, exec_lo
	s_delay_alu instid0(VALU_DEP_2)
	v_cmpx_ne_u32_e32 0x7f, v26
	s_cbranch_execz .LBB275_296
; %bb.293:                              ;   in Loop: Header=BB275_15 Depth=1
	v_dual_lshrrev_b32 v25, 3, v26 :: v_dual_bitop2_b32 v24, 7, v8 bitop3:0x40
	s_mov_b32 s45, exec_lo
	v_cmpx_gt_u32_e32 8, v26
; %bb.294:                              ;   in Loop: Header=BB275_15 Depth=1
	s_delay_alu instid0(VALU_DEP_2) | instskip(NEXT) | instid1(VALU_DEP_1)
	v_clz_i32_u32_e32 v24, v24
	v_min_u32_e32 v26, 32, v24
	s_delay_alu instid0(VALU_DEP_1) | instskip(NEXT) | instid1(VALU_DEP_1)
	v_subrev_nc_u32_e32 v24, 28, v26
	v_lshlrev_b64_e32 v[24:25], v24, v[8:9]
	s_delay_alu instid0(VALU_DEP_1)
	v_dual_sub_nc_u32 v25, 29, v26 :: v_dual_bitop2_b32 v24, 7, v24 bitop3:0x40
; %bb.295:                              ;   in Loop: Header=BB275_15 Depth=1
	s_or_b32 exec_lo, exec_lo, s45
	v_lshlrev_b32_e32 v8, 8, v8
	s_delay_alu instid0(VALU_DEP_2) | instskip(NEXT) | instid1(VALU_DEP_3)
	v_lshl_add_u32 v25, v25, 10, 0x2000
	v_lshlrev_b32_e32 v24, 7, v24
	s_delay_alu instid0(VALU_DEP_3) | instskip(NEXT) | instid1(VALU_DEP_3)
	v_and_b32_e32 v8, 0x8000, v8
	v_and_b32_e32 v25, 0xfc00, v25
	s_delay_alu instid0(VALU_DEP_1)
	v_or3_b32 v71, v8, v25, v24
.LBB275_296:                            ;   in Loop: Header=BB275_15 Depth=1
	s_or_b32 exec_lo, exec_lo, s44
.LBB275_297:                            ;   in Loop: Header=BB275_15 Depth=1
	s_delay_alu instid0(SALU_CYCLE_1)
	s_or_b32 exec_lo, exec_lo, s43
.LBB275_298:                            ;   in Loop: Header=BB275_15 Depth=1
	s_delay_alu instid0(SALU_CYCLE_1)
	s_or_b32 exec_lo, exec_lo, s42
	v_dual_mov_b32 v82, 0 :: v_dual_mov_b32 v83, 0
	s_mov_b32 s42, exec_lo
	v_cmpx_lt_u32_e32 0xffffff, v4
	s_cbranch_execz .LBB275_306
; %bb.299:                              ;   in Loop: Header=BB275_15 Depth=1
	v_lshrrev_b32_e32 v8, 24, v4
	v_bfrev_b32_e32 v83, 1
	s_mov_b32 s43, exec_lo
	s_delay_alu instid0(VALU_DEP_2)
	v_cmpx_ne_u32_e32 0x80, v8
	s_cbranch_execz .LBB275_305
; %bb.300:                              ;   in Loop: Header=BB275_15 Depth=1
	v_and_b32_e32 v26, 0x7f, v8
	v_mov_b32_e32 v83, 0x7c010000
	s_mov_b32 s44, exec_lo
	s_delay_alu instid0(VALU_DEP_2)
	v_cmpx_ne_u32_e32 0x7f, v26
	s_cbranch_execz .LBB275_304
; %bb.301:                              ;   in Loop: Header=BB275_15 Depth=1
	v_dual_lshrrev_b32 v25, 3, v26 :: v_dual_bitop2_b32 v24, 7, v8 bitop3:0x40
	s_mov_b32 s45, exec_lo
	v_cmpx_gt_u32_e32 8, v26
; %bb.302:                              ;   in Loop: Header=BB275_15 Depth=1
	s_delay_alu instid0(VALU_DEP_2) | instskip(NEXT) | instid1(VALU_DEP_1)
	v_clz_i32_u32_e32 v24, v24
	v_min_u32_e32 v26, 32, v24
	s_delay_alu instid0(VALU_DEP_1) | instskip(NEXT) | instid1(VALU_DEP_1)
	v_subrev_nc_u32_e32 v24, 28, v26
	v_lshlrev_b64_e32 v[24:25], v24, v[8:9]
	s_delay_alu instid0(VALU_DEP_1)
	v_dual_sub_nc_u32 v25, 29, v26 :: v_dual_bitop2_b32 v24, 7, v24 bitop3:0x40
; %bb.303:                              ;   in Loop: Header=BB275_15 Depth=1
	s_or_b32 exec_lo, exec_lo, s45
	v_lshlrev_b32_e32 v8, 8, v8
	s_delay_alu instid0(VALU_DEP_2) | instskip(NEXT) | instid1(VALU_DEP_3)
	v_lshl_add_u32 v25, v25, 10, 0x2000
	v_lshlrev_b32_e32 v24, 23, v24
	s_delay_alu instid0(VALU_DEP_2) | instskip(NEXT) | instid1(VALU_DEP_1)
	v_and_or_b32 v8, 0x8000, v8, v25
	v_lshl_or_b32 v83, v8, 16, v24
.LBB275_304:                            ;   in Loop: Header=BB275_15 Depth=1
	s_or_b32 exec_lo, exec_lo, s44
.LBB275_305:                            ;   in Loop: Header=BB275_15 Depth=1
	s_delay_alu instid0(SALU_CYCLE_1)
	s_or_b32 exec_lo, exec_lo, s43
.LBB275_306:                            ;   in Loop: Header=BB275_15 Depth=1
	s_delay_alu instid0(SALU_CYCLE_1) | instskip(SKIP_3) | instid1(VALU_DEP_2)
	s_or_b32 exec_lo, exec_lo, s42
	v_and_b32_e32 v24, 0xff, v5
	v_mov_b32_e32 v8, v5
	s_mov_b32 s42, exec_lo
	v_cmpx_ne_u16_e32 0, v24
	s_cbranch_execz .LBB275_314
; %bb.307:                              ;   in Loop: Header=BB275_15 Depth=1
	v_mov_b32_e32 v82, 0x8000
	s_mov_b32 s43, exec_lo
	v_cmpx_ne_u16_e32 0x80, v24
	s_cbranch_execz .LBB275_313
; %bb.308:                              ;   in Loop: Header=BB275_15 Depth=1
	v_and_b32_e32 v26, 0x7f, v5
	v_mov_b32_e32 v82, 0x7c01
	s_mov_b32 s44, exec_lo
	s_delay_alu instid0(VALU_DEP_2)
	v_cmpx_ne_u32_e32 0x7f, v26
	s_cbranch_execz .LBB275_312
; %bb.309:                              ;   in Loop: Header=BB275_15 Depth=1
	v_dual_lshrrev_b32 v25, 3, v26 :: v_dual_bitop2_b32 v24, 7, v5 bitop3:0x40
	s_mov_b32 s45, exec_lo
	v_cmpx_gt_u32_e32 8, v26
; %bb.310:                              ;   in Loop: Header=BB275_15 Depth=1
	s_delay_alu instid0(VALU_DEP_2) | instskip(NEXT) | instid1(VALU_DEP_1)
	v_clz_i32_u32_e32 v24, v24
	v_min_u32_e32 v26, 32, v24
	s_delay_alu instid0(VALU_DEP_1) | instskip(NEXT) | instid1(VALU_DEP_1)
	v_subrev_nc_u32_e32 v24, 28, v26
	v_lshlrev_b64_e32 v[24:25], v24, v[8:9]
	s_delay_alu instid0(VALU_DEP_1)
	v_dual_sub_nc_u32 v25, 29, v26 :: v_dual_bitop2_b32 v24, 7, v24 bitop3:0x40
; %bb.311:                              ;   in Loop: Header=BB275_15 Depth=1
	s_or_b32 exec_lo, exec_lo, s45
	s_delay_alu instid0(VALU_DEP_1) | instskip(NEXT) | instid1(VALU_DEP_2)
	v_dual_lshlrev_b32 v26, 8, v5 :: v_dual_lshlrev_b32 v24, 7, v24
	v_lshl_add_u32 v25, v25, 10, 0x2000
	s_delay_alu instid0(VALU_DEP_2) | instskip(NEXT) | instid1(VALU_DEP_2)
	v_and_b32_e32 v26, 0x8000, v26
	v_and_b32_e32 v25, 0xfc00, v25
	s_delay_alu instid0(VALU_DEP_1)
	v_or3_b32 v82, v26, v25, v24
.LBB275_312:                            ;   in Loop: Header=BB275_15 Depth=1
	s_or_b32 exec_lo, exec_lo, s44
.LBB275_313:                            ;   in Loop: Header=BB275_15 Depth=1
	s_delay_alu instid0(SALU_CYCLE_1)
	s_or_b32 exec_lo, exec_lo, s43
.LBB275_314:                            ;   in Loop: Header=BB275_15 Depth=1
	s_delay_alu instid0(SALU_CYCLE_1) | instskip(SKIP_3) | instid1(VALU_DEP_2)
	s_or_b32 exec_lo, exec_lo, s42
	v_lshrrev_b16 v8, 8, v8
	v_dual_mov_b32 v85, 0 :: v_dual_mov_b32 v84, 0
	s_mov_b32 s42, exec_lo
	v_cmpx_ne_u16_e32 0, v8
	s_cbranch_execz .LBB275_322
; %bb.315:                              ;   in Loop: Header=BB275_15 Depth=1
	v_bfrev_b32_e32 v84, 1
	s_mov_b32 s43, exec_lo
	v_cmpx_ne_u16_e32 0x80, v8
	s_cbranch_execz .LBB275_321
; %bb.316:                              ;   in Loop: Header=BB275_15 Depth=1
	v_and_b32_e32 v24, 0xffff, v8
	v_mov_b32_e32 v84, 0x7c010000
	s_mov_b32 s44, exec_lo
	s_delay_alu instid0(VALU_DEP_2) | instskip(NEXT) | instid1(VALU_DEP_1)
	v_and_b32_e32 v27, 0x7f, v24
	v_cmpx_ne_u32_e32 0x7f, v27
	s_cbranch_execz .LBB275_320
; %bb.317:                              ;   in Loop: Header=BB275_15 Depth=1
	v_dual_lshrrev_b32 v26, 3, v27 :: v_dual_bitop2_b32 v25, 7, v24 bitop3:0x40
	s_mov_b32 s45, exec_lo
	v_cmpx_gt_u32_e32 8, v27
; %bb.318:                              ;   in Loop: Header=BB275_15 Depth=1
	s_delay_alu instid0(VALU_DEP_2) | instskip(NEXT) | instid1(VALU_DEP_1)
	v_clz_i32_u32_e32 v25, v25
	v_min_u32_e32 v25, 32, v25
	s_delay_alu instid0(VALU_DEP_1) | instskip(NEXT) | instid1(VALU_DEP_1)
	v_subrev_nc_u32_e32 v26, 28, v25
	v_lshlrev_b64_e32 v[40:41], v26, v[8:9]
	s_delay_alu instid0(VALU_DEP_1)
	v_dual_sub_nc_u32 v26, 29, v25 :: v_dual_bitop2_b32 v25, 7, v40 bitop3:0x40
; %bb.319:                              ;   in Loop: Header=BB275_15 Depth=1
	s_or_b32 exec_lo, exec_lo, s45
	v_lshlrev_b32_e32 v8, 8, v24
	s_delay_alu instid0(VALU_DEP_2) | instskip(NEXT) | instid1(VALU_DEP_1)
	v_lshl_add_u32 v24, v26, 10, 0x2000
	v_and_or_b32 v8, 0x8000, v8, v24
	v_lshlrev_b32_e32 v24, 23, v25
	s_delay_alu instid0(VALU_DEP_1)
	v_lshl_or_b32 v84, v8, 16, v24
.LBB275_320:                            ;   in Loop: Header=BB275_15 Depth=1
	s_or_b32 exec_lo, exec_lo, s44
.LBB275_321:                            ;   in Loop: Header=BB275_15 Depth=1
	s_delay_alu instid0(SALU_CYCLE_1)
	s_or_b32 exec_lo, exec_lo, s43
.LBB275_322:                            ;   in Loop: Header=BB275_15 Depth=1
	s_delay_alu instid0(SALU_CYCLE_1) | instskip(SKIP_2) | instid1(VALU_DEP_1)
	s_or_b32 exec_lo, exec_lo, s42
	v_lshrrev_b32_e32 v8, 16, v5
	s_mov_b32 s42, exec_lo
	v_and_b32_e32 v24, 0xff, v8
	s_delay_alu instid0(VALU_DEP_1)
	v_cmpx_ne_u16_e32 0, v24
	s_cbranch_execz .LBB275_330
; %bb.323:                              ;   in Loop: Header=BB275_15 Depth=1
	v_mov_b32_e32 v85, 0x8000
	s_mov_b32 s43, exec_lo
	v_cmpx_ne_u16_e32 0x80, v24
	s_cbranch_execz .LBB275_329
; %bb.324:                              ;   in Loop: Header=BB275_15 Depth=1
	v_bfe_u32 v26, v5, 16, 7
	v_mov_b32_e32 v85, 0x7c01
	s_mov_b32 s44, exec_lo
	s_delay_alu instid0(VALU_DEP_2)
	v_cmpx_ne_u32_e32 0x7f, v26
	s_cbranch_execz .LBB275_328
; %bb.325:                              ;   in Loop: Header=BB275_15 Depth=1
	v_dual_lshrrev_b32 v25, 3, v26 :: v_dual_bitop2_b32 v24, 7, v8 bitop3:0x40
	s_mov_b32 s45, exec_lo
	v_cmpx_gt_u32_e32 8, v26
; %bb.326:                              ;   in Loop: Header=BB275_15 Depth=1
	s_delay_alu instid0(VALU_DEP_2) | instskip(NEXT) | instid1(VALU_DEP_1)
	v_clz_i32_u32_e32 v24, v24
	v_min_u32_e32 v26, 32, v24
	s_delay_alu instid0(VALU_DEP_1) | instskip(NEXT) | instid1(VALU_DEP_1)
	v_subrev_nc_u32_e32 v24, 28, v26
	v_lshlrev_b64_e32 v[24:25], v24, v[8:9]
	s_delay_alu instid0(VALU_DEP_1)
	v_dual_sub_nc_u32 v25, 29, v26 :: v_dual_bitop2_b32 v24, 7, v24 bitop3:0x40
; %bb.327:                              ;   in Loop: Header=BB275_15 Depth=1
	s_or_b32 exec_lo, exec_lo, s45
	v_lshlrev_b32_e32 v8, 8, v8
	s_delay_alu instid0(VALU_DEP_2) | instskip(NEXT) | instid1(VALU_DEP_3)
	v_lshl_add_u32 v25, v25, 10, 0x2000
	v_lshlrev_b32_e32 v24, 7, v24
	s_delay_alu instid0(VALU_DEP_3) | instskip(NEXT) | instid1(VALU_DEP_3)
	v_and_b32_e32 v8, 0x8000, v8
	v_and_b32_e32 v25, 0xfc00, v25
	s_delay_alu instid0(VALU_DEP_1)
	v_or3_b32 v85, v8, v25, v24
.LBB275_328:                            ;   in Loop: Header=BB275_15 Depth=1
	s_or_b32 exec_lo, exec_lo, s44
.LBB275_329:                            ;   in Loop: Header=BB275_15 Depth=1
	s_delay_alu instid0(SALU_CYCLE_1)
	s_or_b32 exec_lo, exec_lo, s43
.LBB275_330:                            ;   in Loop: Header=BB275_15 Depth=1
	s_delay_alu instid0(SALU_CYCLE_1)
	s_or_b32 exec_lo, exec_lo, s42
	v_dual_mov_b32 v86, 0 :: v_dual_mov_b32 v87, 0
	s_mov_b32 s42, exec_lo
	v_cmpx_lt_u64_e64 s[26:27], v[4:5]
	s_cbranch_execz .LBB275_338
; %bb.331:                              ;   in Loop: Header=BB275_15 Depth=1
	v_lshrrev_b32_e32 v8, 24, v5
	v_bfrev_b32_e32 v87, 1
	s_mov_b32 s43, exec_lo
	s_delay_alu instid0(VALU_DEP_2)
	v_cmpx_ne_u32_e32 0x80, v8
	s_cbranch_execz .LBB275_337
; %bb.332:                              ;   in Loop: Header=BB275_15 Depth=1
	v_and_b32_e32 v24, 0x7f, v8
	v_mov_b32_e32 v87, 0x7c010000
	s_mov_b32 s44, exec_lo
	s_delay_alu instid0(VALU_DEP_2)
	v_cmpx_ne_u32_e32 0x7f, v24
	s_cbranch_execz .LBB275_336
; %bb.333:                              ;   in Loop: Header=BB275_15 Depth=1
	v_and_b32_e32 v4, 7, v8
	v_lshrrev_b32_e32 v5, 3, v24
	s_mov_b32 s45, exec_lo
	v_cmpx_gt_u32_e32 8, v24
; %bb.334:                              ;   in Loop: Header=BB275_15 Depth=1
	s_delay_alu instid0(VALU_DEP_3) | instskip(NEXT) | instid1(VALU_DEP_1)
	v_clz_i32_u32_e32 v4, v4
	v_min_u32_e32 v24, 32, v4
	s_delay_alu instid0(VALU_DEP_1) | instskip(NEXT) | instid1(VALU_DEP_1)
	v_subrev_nc_u32_e32 v4, 28, v24
	v_lshlrev_b64_e32 v[4:5], v4, v[8:9]
	v_sub_nc_u32_e32 v5, 29, v24
	s_delay_alu instid0(VALU_DEP_2)
	v_and_b32_e32 v4, 7, v4
; %bb.335:                              ;   in Loop: Header=BB275_15 Depth=1
	s_or_b32 exec_lo, exec_lo, s45
	v_lshlrev_b32_e32 v8, 8, v8
	s_delay_alu instid0(VALU_DEP_3) | instskip(NEXT) | instid1(VALU_DEP_3)
	v_lshl_add_u32 v5, v5, 10, 0x2000
	v_lshlrev_b32_e32 v4, 23, v4
	s_delay_alu instid0(VALU_DEP_2) | instskip(NEXT) | instid1(VALU_DEP_1)
	v_and_or_b32 v5, 0x8000, v8, v5
	v_lshl_or_b32 v87, v5, 16, v4
.LBB275_336:                            ;   in Loop: Header=BB275_15 Depth=1
	s_or_b32 exec_lo, exec_lo, s44
.LBB275_337:                            ;   in Loop: Header=BB275_15 Depth=1
	s_delay_alu instid0(SALU_CYCLE_1)
	s_or_b32 exec_lo, exec_lo, s43
.LBB275_338:                            ;   in Loop: Header=BB275_15 Depth=1
	s_delay_alu instid0(SALU_CYCLE_1) | instskip(SKIP_4) | instid1(VALU_DEP_1)
	s_or_b32 exec_lo, exec_lo, s42
	global_load_b64 v[4:5], v[2:3], off offset:1032
	s_mov_b32 s42, exec_lo
	s_wait_loadcnt 0x0
	v_and_b32_e32 v8, 0xff, v4
	v_cmpx_ne_u16_e32 0, v8
	s_cbranch_execz .LBB275_346
; %bb.339:                              ;   in Loop: Header=BB275_15 Depth=1
	v_mov_b32_e32 v86, 0x8000
	s_mov_b32 s43, exec_lo
	v_cmpx_ne_u16_e32 0x80, v8
	s_cbranch_execz .LBB275_345
; %bb.340:                              ;   in Loop: Header=BB275_15 Depth=1
	v_and_b32_e32 v25, 0x7f, v4
	v_mov_b32_e32 v86, 0x7c01
	s_mov_b32 s44, exec_lo
	s_delay_alu instid0(VALU_DEP_2)
	v_cmpx_ne_u32_e32 0x7f, v25
	s_cbranch_execz .LBB275_344
; %bb.341:                              ;   in Loop: Header=BB275_15 Depth=1
	v_dual_lshrrev_b32 v24, 3, v25 :: v_dual_bitop2_b32 v8, 7, v4 bitop3:0x40
	s_mov_b32 s45, exec_lo
	v_cmpx_gt_u32_e32 8, v25
; %bb.342:                              ;   in Loop: Header=BB275_15 Depth=1
	s_delay_alu instid0(VALU_DEP_2) | instskip(NEXT) | instid1(VALU_DEP_1)
	v_clz_i32_u32_e32 v8, v8
	v_min_u32_e32 v8, 32, v8
	s_delay_alu instid0(VALU_DEP_1) | instskip(NEXT) | instid1(VALU_DEP_1)
	v_subrev_nc_u32_e32 v24, 28, v8
	v_lshlrev_b64_e32 v[26:27], v24, v[4:5]
	s_delay_alu instid0(VALU_DEP_1)
	v_dual_sub_nc_u32 v24, 29, v8 :: v_dual_bitop2_b32 v8, 7, v26 bitop3:0x40
; %bb.343:                              ;   in Loop: Header=BB275_15 Depth=1
	s_or_b32 exec_lo, exec_lo, s45
	v_lshlrev_b32_e32 v25, 8, v4
	s_delay_alu instid0(VALU_DEP_2) | instskip(NEXT) | instid1(VALU_DEP_3)
	v_lshl_add_u32 v24, v24, 10, 0x2000
	v_lshlrev_b32_e32 v8, 7, v8
	s_delay_alu instid0(VALU_DEP_3) | instskip(NEXT) | instid1(VALU_DEP_3)
	v_and_b32_e32 v25, 0x8000, v25
	v_and_b32_e32 v24, 0xfc00, v24
	s_delay_alu instid0(VALU_DEP_1)
	v_or3_b32 v86, v25, v24, v8
.LBB275_344:                            ;   in Loop: Header=BB275_15 Depth=1
	s_or_b32 exec_lo, exec_lo, s44
.LBB275_345:                            ;   in Loop: Header=BB275_15 Depth=1
	s_delay_alu instid0(SALU_CYCLE_1)
	s_or_b32 exec_lo, exec_lo, s43
.LBB275_346:                            ;   in Loop: Header=BB275_15 Depth=1
	s_delay_alu instid0(SALU_CYCLE_1) | instskip(SKIP_3) | instid1(VALU_DEP_2)
	s_or_b32 exec_lo, exec_lo, s42
	v_lshrrev_b16 v8, 8, v4
	v_dual_mov_b32 v88, 0 :: v_dual_mov_b32 v89, 0
	s_mov_b32 s42, exec_lo
	v_cmpx_ne_u16_e32 0, v8
	s_cbranch_execz .LBB275_354
; %bb.347:                              ;   in Loop: Header=BB275_15 Depth=1
	v_bfrev_b32_e32 v89, 1
	s_mov_b32 s43, exec_lo
	v_cmpx_ne_u16_e32 0x80, v8
	s_cbranch_execz .LBB275_353
; %bb.348:                              ;   in Loop: Header=BB275_15 Depth=1
	v_and_b32_e32 v24, 0xffff, v8
	v_mov_b32_e32 v89, 0x7c010000
	s_mov_b32 s44, exec_lo
	s_delay_alu instid0(VALU_DEP_2) | instskip(NEXT) | instid1(VALU_DEP_1)
	v_and_b32_e32 v27, 0x7f, v24
	v_cmpx_ne_u32_e32 0x7f, v27
	s_cbranch_execz .LBB275_352
; %bb.349:                              ;   in Loop: Header=BB275_15 Depth=1
	v_dual_lshrrev_b32 v26, 3, v27 :: v_dual_bitop2_b32 v25, 7, v24 bitop3:0x40
	s_mov_b32 s45, exec_lo
	v_cmpx_gt_u32_e32 8, v27
; %bb.350:                              ;   in Loop: Header=BB275_15 Depth=1
	s_delay_alu instid0(VALU_DEP_2) | instskip(NEXT) | instid1(VALU_DEP_1)
	v_clz_i32_u32_e32 v25, v25
	v_min_u32_e32 v25, 32, v25
	s_delay_alu instid0(VALU_DEP_1) | instskip(NEXT) | instid1(VALU_DEP_1)
	v_subrev_nc_u32_e32 v26, 28, v25
	v_lshlrev_b64_e32 v[40:41], v26, v[8:9]
	s_delay_alu instid0(VALU_DEP_1)
	v_dual_sub_nc_u32 v26, 29, v25 :: v_dual_bitop2_b32 v25, 7, v40 bitop3:0x40
; %bb.351:                              ;   in Loop: Header=BB275_15 Depth=1
	s_or_b32 exec_lo, exec_lo, s45
	v_lshlrev_b32_e32 v8, 8, v24
	s_delay_alu instid0(VALU_DEP_2) | instskip(NEXT) | instid1(VALU_DEP_1)
	v_lshl_add_u32 v24, v26, 10, 0x2000
	v_and_or_b32 v8, 0x8000, v8, v24
	v_lshlrev_b32_e32 v24, 23, v25
	s_delay_alu instid0(VALU_DEP_1)
	v_lshl_or_b32 v89, v8, 16, v24
.LBB275_352:                            ;   in Loop: Header=BB275_15 Depth=1
	s_or_b32 exec_lo, exec_lo, s44
.LBB275_353:                            ;   in Loop: Header=BB275_15 Depth=1
	s_delay_alu instid0(SALU_CYCLE_1)
	s_or_b32 exec_lo, exec_lo, s43
.LBB275_354:                            ;   in Loop: Header=BB275_15 Depth=1
	s_delay_alu instid0(SALU_CYCLE_1) | instskip(SKIP_2) | instid1(VALU_DEP_1)
	s_or_b32 exec_lo, exec_lo, s42
	v_lshrrev_b32_e32 v8, 16, v4
	s_mov_b32 s42, exec_lo
	v_and_b32_e32 v24, 0xff, v8
	s_delay_alu instid0(VALU_DEP_1)
	v_cmpx_ne_u16_e32 0, v24
	s_cbranch_execz .LBB275_362
; %bb.355:                              ;   in Loop: Header=BB275_15 Depth=1
	v_mov_b32_e32 v88, 0x8000
	s_mov_b32 s43, exec_lo
	v_cmpx_ne_u16_e32 0x80, v24
	s_cbranch_execz .LBB275_361
; %bb.356:                              ;   in Loop: Header=BB275_15 Depth=1
	v_bfe_u32 v26, v4, 16, 7
	v_mov_b32_e32 v88, 0x7c01
	s_mov_b32 s44, exec_lo
	s_delay_alu instid0(VALU_DEP_2)
	v_cmpx_ne_u32_e32 0x7f, v26
	s_cbranch_execz .LBB275_360
; %bb.357:                              ;   in Loop: Header=BB275_15 Depth=1
	v_dual_lshrrev_b32 v25, 3, v26 :: v_dual_bitop2_b32 v24, 7, v8 bitop3:0x40
	s_mov_b32 s45, exec_lo
	v_cmpx_gt_u32_e32 8, v26
; %bb.358:                              ;   in Loop: Header=BB275_15 Depth=1
	s_delay_alu instid0(VALU_DEP_2) | instskip(NEXT) | instid1(VALU_DEP_1)
	v_clz_i32_u32_e32 v24, v24
	v_min_u32_e32 v26, 32, v24
	s_delay_alu instid0(VALU_DEP_1) | instskip(NEXT) | instid1(VALU_DEP_1)
	v_subrev_nc_u32_e32 v24, 28, v26
	v_lshlrev_b64_e32 v[24:25], v24, v[8:9]
	s_delay_alu instid0(VALU_DEP_1)
	v_dual_sub_nc_u32 v25, 29, v26 :: v_dual_bitop2_b32 v24, 7, v24 bitop3:0x40
; %bb.359:                              ;   in Loop: Header=BB275_15 Depth=1
	s_or_b32 exec_lo, exec_lo, s45
	v_lshlrev_b32_e32 v8, 8, v8
	s_delay_alu instid0(VALU_DEP_2) | instskip(NEXT) | instid1(VALU_DEP_3)
	v_lshl_add_u32 v25, v25, 10, 0x2000
	v_lshlrev_b32_e32 v24, 7, v24
	s_delay_alu instid0(VALU_DEP_3) | instskip(NEXT) | instid1(VALU_DEP_3)
	v_and_b32_e32 v8, 0x8000, v8
	v_and_b32_e32 v25, 0xfc00, v25
	s_delay_alu instid0(VALU_DEP_1)
	v_or3_b32 v88, v8, v25, v24
.LBB275_360:                            ;   in Loop: Header=BB275_15 Depth=1
	s_or_b32 exec_lo, exec_lo, s44
.LBB275_361:                            ;   in Loop: Header=BB275_15 Depth=1
	s_delay_alu instid0(SALU_CYCLE_1)
	s_or_b32 exec_lo, exec_lo, s43
.LBB275_362:                            ;   in Loop: Header=BB275_15 Depth=1
	s_delay_alu instid0(SALU_CYCLE_1)
	s_or_b32 exec_lo, exec_lo, s42
	v_dual_mov_b32 v90, 0 :: v_dual_mov_b32 v91, 0
	s_mov_b32 s42, exec_lo
	v_cmpx_lt_u32_e32 0xffffff, v4
	s_cbranch_execz .LBB275_370
; %bb.363:                              ;   in Loop: Header=BB275_15 Depth=1
	v_lshrrev_b32_e32 v8, 24, v4
	v_bfrev_b32_e32 v91, 1
	s_mov_b32 s43, exec_lo
	s_delay_alu instid0(VALU_DEP_2)
	v_cmpx_ne_u32_e32 0x80, v8
	s_cbranch_execz .LBB275_369
; %bb.364:                              ;   in Loop: Header=BB275_15 Depth=1
	v_and_b32_e32 v26, 0x7f, v8
	v_mov_b32_e32 v91, 0x7c010000
	s_mov_b32 s44, exec_lo
	s_delay_alu instid0(VALU_DEP_2)
	v_cmpx_ne_u32_e32 0x7f, v26
	s_cbranch_execz .LBB275_368
; %bb.365:                              ;   in Loop: Header=BB275_15 Depth=1
	v_dual_lshrrev_b32 v25, 3, v26 :: v_dual_bitop2_b32 v24, 7, v8 bitop3:0x40
	s_mov_b32 s45, exec_lo
	v_cmpx_gt_u32_e32 8, v26
; %bb.366:                              ;   in Loop: Header=BB275_15 Depth=1
	s_delay_alu instid0(VALU_DEP_2) | instskip(NEXT) | instid1(VALU_DEP_1)
	v_clz_i32_u32_e32 v24, v24
	v_min_u32_e32 v26, 32, v24
	s_delay_alu instid0(VALU_DEP_1) | instskip(NEXT) | instid1(VALU_DEP_1)
	v_subrev_nc_u32_e32 v24, 28, v26
	v_lshlrev_b64_e32 v[24:25], v24, v[8:9]
	s_delay_alu instid0(VALU_DEP_1)
	v_dual_sub_nc_u32 v25, 29, v26 :: v_dual_bitop2_b32 v24, 7, v24 bitop3:0x40
; %bb.367:                              ;   in Loop: Header=BB275_15 Depth=1
	s_or_b32 exec_lo, exec_lo, s45
	v_lshlrev_b32_e32 v8, 8, v8
	s_delay_alu instid0(VALU_DEP_2) | instskip(NEXT) | instid1(VALU_DEP_3)
	v_lshl_add_u32 v25, v25, 10, 0x2000
	v_lshlrev_b32_e32 v24, 23, v24
	s_delay_alu instid0(VALU_DEP_2) | instskip(NEXT) | instid1(VALU_DEP_1)
	v_and_or_b32 v8, 0x8000, v8, v25
	v_lshl_or_b32 v91, v8, 16, v24
.LBB275_368:                            ;   in Loop: Header=BB275_15 Depth=1
	s_or_b32 exec_lo, exec_lo, s44
.LBB275_369:                            ;   in Loop: Header=BB275_15 Depth=1
	s_delay_alu instid0(SALU_CYCLE_1)
	s_or_b32 exec_lo, exec_lo, s43
.LBB275_370:                            ;   in Loop: Header=BB275_15 Depth=1
	s_delay_alu instid0(SALU_CYCLE_1) | instskip(SKIP_3) | instid1(VALU_DEP_2)
	s_or_b32 exec_lo, exec_lo, s42
	v_and_b32_e32 v24, 0xff, v5
	v_mov_b32_e32 v8, v5
	s_mov_b32 s42, exec_lo
	v_cmpx_ne_u16_e32 0, v24
	s_cbranch_execz .LBB275_378
; %bb.371:                              ;   in Loop: Header=BB275_15 Depth=1
	v_mov_b32_e32 v90, 0x8000
	s_mov_b32 s43, exec_lo
	v_cmpx_ne_u16_e32 0x80, v24
	s_cbranch_execz .LBB275_377
; %bb.372:                              ;   in Loop: Header=BB275_15 Depth=1
	v_and_b32_e32 v26, 0x7f, v5
	v_mov_b32_e32 v90, 0x7c01
	s_mov_b32 s44, exec_lo
	s_delay_alu instid0(VALU_DEP_2)
	v_cmpx_ne_u32_e32 0x7f, v26
	s_cbranch_execz .LBB275_376
; %bb.373:                              ;   in Loop: Header=BB275_15 Depth=1
	v_dual_lshrrev_b32 v25, 3, v26 :: v_dual_bitop2_b32 v24, 7, v5 bitop3:0x40
	s_mov_b32 s45, exec_lo
	v_cmpx_gt_u32_e32 8, v26
; %bb.374:                              ;   in Loop: Header=BB275_15 Depth=1
	s_delay_alu instid0(VALU_DEP_2) | instskip(NEXT) | instid1(VALU_DEP_1)
	v_clz_i32_u32_e32 v24, v24
	v_min_u32_e32 v26, 32, v24
	s_delay_alu instid0(VALU_DEP_1) | instskip(NEXT) | instid1(VALU_DEP_1)
	v_subrev_nc_u32_e32 v24, 28, v26
	v_lshlrev_b64_e32 v[24:25], v24, v[8:9]
	s_delay_alu instid0(VALU_DEP_1)
	v_dual_sub_nc_u32 v25, 29, v26 :: v_dual_bitop2_b32 v24, 7, v24 bitop3:0x40
; %bb.375:                              ;   in Loop: Header=BB275_15 Depth=1
	s_or_b32 exec_lo, exec_lo, s45
	s_delay_alu instid0(VALU_DEP_1) | instskip(NEXT) | instid1(VALU_DEP_2)
	v_dual_lshlrev_b32 v26, 8, v5 :: v_dual_lshlrev_b32 v24, 7, v24
	v_lshl_add_u32 v25, v25, 10, 0x2000
	s_delay_alu instid0(VALU_DEP_2) | instskip(NEXT) | instid1(VALU_DEP_2)
	v_and_b32_e32 v26, 0x8000, v26
	v_and_b32_e32 v25, 0xfc00, v25
	s_delay_alu instid0(VALU_DEP_1)
	v_or3_b32 v90, v26, v25, v24
.LBB275_376:                            ;   in Loop: Header=BB275_15 Depth=1
	s_or_b32 exec_lo, exec_lo, s44
.LBB275_377:                            ;   in Loop: Header=BB275_15 Depth=1
	s_delay_alu instid0(SALU_CYCLE_1)
	s_or_b32 exec_lo, exec_lo, s43
.LBB275_378:                            ;   in Loop: Header=BB275_15 Depth=1
	s_delay_alu instid0(SALU_CYCLE_1) | instskip(SKIP_3) | instid1(VALU_DEP_2)
	s_or_b32 exec_lo, exec_lo, s42
	v_lshrrev_b16 v8, 8, v8
	v_dual_mov_b32 v100, 0 :: v_dual_mov_b32 v99, 0
	s_mov_b32 s42, exec_lo
	v_cmpx_ne_u16_e32 0, v8
	s_cbranch_execz .LBB275_386
; %bb.379:                              ;   in Loop: Header=BB275_15 Depth=1
	v_bfrev_b32_e32 v99, 1
	s_mov_b32 s43, exec_lo
	v_cmpx_ne_u16_e32 0x80, v8
	s_cbranch_execz .LBB275_385
; %bb.380:                              ;   in Loop: Header=BB275_15 Depth=1
	v_and_b32_e32 v24, 0xffff, v8
	v_mov_b32_e32 v99, 0x7c010000
	s_mov_b32 s44, exec_lo
	s_delay_alu instid0(VALU_DEP_2) | instskip(NEXT) | instid1(VALU_DEP_1)
	v_and_b32_e32 v27, 0x7f, v24
	v_cmpx_ne_u32_e32 0x7f, v27
	s_cbranch_execz .LBB275_384
; %bb.381:                              ;   in Loop: Header=BB275_15 Depth=1
	v_dual_lshrrev_b32 v26, 3, v27 :: v_dual_bitop2_b32 v25, 7, v24 bitop3:0x40
	s_mov_b32 s45, exec_lo
	v_cmpx_gt_u32_e32 8, v27
; %bb.382:                              ;   in Loop: Header=BB275_15 Depth=1
	s_delay_alu instid0(VALU_DEP_2) | instskip(NEXT) | instid1(VALU_DEP_1)
	v_clz_i32_u32_e32 v25, v25
	v_min_u32_e32 v25, 32, v25
	s_delay_alu instid0(VALU_DEP_1) | instskip(NEXT) | instid1(VALU_DEP_1)
	v_subrev_nc_u32_e32 v26, 28, v25
	v_lshlrev_b64_e32 v[40:41], v26, v[8:9]
	s_delay_alu instid0(VALU_DEP_1)
	v_dual_sub_nc_u32 v26, 29, v25 :: v_dual_bitop2_b32 v25, 7, v40 bitop3:0x40
; %bb.383:                              ;   in Loop: Header=BB275_15 Depth=1
	s_or_b32 exec_lo, exec_lo, s45
	v_lshlrev_b32_e32 v8, 8, v24
	s_delay_alu instid0(VALU_DEP_2) | instskip(NEXT) | instid1(VALU_DEP_1)
	v_lshl_add_u32 v24, v26, 10, 0x2000
	v_and_or_b32 v8, 0x8000, v8, v24
	v_lshlrev_b32_e32 v24, 23, v25
	s_delay_alu instid0(VALU_DEP_1)
	v_lshl_or_b32 v99, v8, 16, v24
.LBB275_384:                            ;   in Loop: Header=BB275_15 Depth=1
	s_or_b32 exec_lo, exec_lo, s44
.LBB275_385:                            ;   in Loop: Header=BB275_15 Depth=1
	s_delay_alu instid0(SALU_CYCLE_1)
	s_or_b32 exec_lo, exec_lo, s43
.LBB275_386:                            ;   in Loop: Header=BB275_15 Depth=1
	s_delay_alu instid0(SALU_CYCLE_1) | instskip(SKIP_2) | instid1(VALU_DEP_1)
	s_or_b32 exec_lo, exec_lo, s42
	v_lshrrev_b32_e32 v8, 16, v5
	s_mov_b32 s42, exec_lo
	v_and_b32_e32 v24, 0xff, v8
	s_delay_alu instid0(VALU_DEP_1)
	v_cmpx_ne_u16_e32 0, v24
	s_cbranch_execz .LBB275_394
; %bb.387:                              ;   in Loop: Header=BB275_15 Depth=1
	v_mov_b32_e32 v100, 0x8000
	s_mov_b32 s43, exec_lo
	v_cmpx_ne_u16_e32 0x80, v24
	s_cbranch_execz .LBB275_393
; %bb.388:                              ;   in Loop: Header=BB275_15 Depth=1
	v_bfe_u32 v26, v5, 16, 7
	v_mov_b32_e32 v100, 0x7c01
	s_mov_b32 s44, exec_lo
	s_delay_alu instid0(VALU_DEP_2)
	v_cmpx_ne_u32_e32 0x7f, v26
	s_cbranch_execz .LBB275_392
; %bb.389:                              ;   in Loop: Header=BB275_15 Depth=1
	v_dual_lshrrev_b32 v25, 3, v26 :: v_dual_bitop2_b32 v24, 7, v8 bitop3:0x40
	s_mov_b32 s45, exec_lo
	v_cmpx_gt_u32_e32 8, v26
; %bb.390:                              ;   in Loop: Header=BB275_15 Depth=1
	s_delay_alu instid0(VALU_DEP_2) | instskip(NEXT) | instid1(VALU_DEP_1)
	v_clz_i32_u32_e32 v24, v24
	v_min_u32_e32 v26, 32, v24
	s_delay_alu instid0(VALU_DEP_1) | instskip(NEXT) | instid1(VALU_DEP_1)
	v_subrev_nc_u32_e32 v24, 28, v26
	v_lshlrev_b64_e32 v[24:25], v24, v[8:9]
	s_delay_alu instid0(VALU_DEP_1)
	v_dual_sub_nc_u32 v25, 29, v26 :: v_dual_bitop2_b32 v24, 7, v24 bitop3:0x40
; %bb.391:                              ;   in Loop: Header=BB275_15 Depth=1
	s_or_b32 exec_lo, exec_lo, s45
	v_lshlrev_b32_e32 v8, 8, v8
	s_delay_alu instid0(VALU_DEP_2) | instskip(NEXT) | instid1(VALU_DEP_3)
	v_lshl_add_u32 v25, v25, 10, 0x2000
	v_lshlrev_b32_e32 v24, 7, v24
	s_delay_alu instid0(VALU_DEP_3) | instskip(NEXT) | instid1(VALU_DEP_3)
	v_and_b32_e32 v8, 0x8000, v8
	v_and_b32_e32 v25, 0xfc00, v25
	s_delay_alu instid0(VALU_DEP_1)
	v_or3_b32 v100, v8, v25, v24
.LBB275_392:                            ;   in Loop: Header=BB275_15 Depth=1
	s_or_b32 exec_lo, exec_lo, s44
.LBB275_393:                            ;   in Loop: Header=BB275_15 Depth=1
	s_delay_alu instid0(SALU_CYCLE_1)
	s_or_b32 exec_lo, exec_lo, s43
.LBB275_394:                            ;   in Loop: Header=BB275_15 Depth=1
	s_delay_alu instid0(SALU_CYCLE_1)
	s_or_b32 exec_lo, exec_lo, s42
	v_dual_mov_b32 v101, 0 :: v_dual_mov_b32 v102, 0
	s_mov_b32 s42, exec_lo
	v_cmpx_lt_u64_e64 s[26:27], v[4:5]
	s_cbranch_execz .LBB275_402
; %bb.395:                              ;   in Loop: Header=BB275_15 Depth=1
	v_lshrrev_b32_e32 v8, 24, v5
	v_bfrev_b32_e32 v102, 1
	s_mov_b32 s43, exec_lo
	s_delay_alu instid0(VALU_DEP_2)
	v_cmpx_ne_u32_e32 0x80, v8
	s_cbranch_execz .LBB275_401
; %bb.396:                              ;   in Loop: Header=BB275_15 Depth=1
	v_and_b32_e32 v24, 0x7f, v8
	v_mov_b32_e32 v102, 0x7c010000
	s_mov_b32 s44, exec_lo
	s_delay_alu instid0(VALU_DEP_2)
	v_cmpx_ne_u32_e32 0x7f, v24
	s_cbranch_execz .LBB275_400
; %bb.397:                              ;   in Loop: Header=BB275_15 Depth=1
	v_and_b32_e32 v4, 7, v8
	v_lshrrev_b32_e32 v5, 3, v24
	s_mov_b32 s45, exec_lo
	v_cmpx_gt_u32_e32 8, v24
; %bb.398:                              ;   in Loop: Header=BB275_15 Depth=1
	s_delay_alu instid0(VALU_DEP_3) | instskip(NEXT) | instid1(VALU_DEP_1)
	v_clz_i32_u32_e32 v4, v4
	v_min_u32_e32 v24, 32, v4
	s_delay_alu instid0(VALU_DEP_1) | instskip(NEXT) | instid1(VALU_DEP_1)
	v_subrev_nc_u32_e32 v4, 28, v24
	v_lshlrev_b64_e32 v[4:5], v4, v[8:9]
	v_sub_nc_u32_e32 v5, 29, v24
	s_delay_alu instid0(VALU_DEP_2)
	v_and_b32_e32 v4, 7, v4
; %bb.399:                              ;   in Loop: Header=BB275_15 Depth=1
	s_or_b32 exec_lo, exec_lo, s45
	v_lshlrev_b32_e32 v8, 8, v8
	s_delay_alu instid0(VALU_DEP_3) | instskip(NEXT) | instid1(VALU_DEP_3)
	v_lshl_add_u32 v5, v5, 10, 0x2000
	v_lshlrev_b32_e32 v4, 23, v4
	s_delay_alu instid0(VALU_DEP_2) | instskip(NEXT) | instid1(VALU_DEP_1)
	v_and_or_b32 v5, 0x8000, v8, v5
	v_lshl_or_b32 v102, v5, 16, v4
.LBB275_400:                            ;   in Loop: Header=BB275_15 Depth=1
	s_or_b32 exec_lo, exec_lo, s44
.LBB275_401:                            ;   in Loop: Header=BB275_15 Depth=1
	s_delay_alu instid0(SALU_CYCLE_1)
	s_or_b32 exec_lo, exec_lo, s43
.LBB275_402:                            ;   in Loop: Header=BB275_15 Depth=1
	s_delay_alu instid0(SALU_CYCLE_1) | instskip(SKIP_4) | instid1(VALU_DEP_1)
	s_or_b32 exec_lo, exec_lo, s42
	global_load_b64 v[4:5], v[2:3], off offset:1536
	s_mov_b32 s42, exec_lo
	s_wait_loadcnt 0x0
	v_and_b32_e32 v8, 0xff, v4
	v_cmpx_ne_u16_e32 0, v8
	s_cbranch_execz .LBB275_410
; %bb.403:                              ;   in Loop: Header=BB275_15 Depth=1
	v_mov_b32_e32 v101, 0x8000
	s_mov_b32 s43, exec_lo
	v_cmpx_ne_u16_e32 0x80, v8
	s_cbranch_execz .LBB275_409
; %bb.404:                              ;   in Loop: Header=BB275_15 Depth=1
	v_and_b32_e32 v25, 0x7f, v4
	v_mov_b32_e32 v101, 0x7c01
	s_mov_b32 s44, exec_lo
	s_delay_alu instid0(VALU_DEP_2)
	v_cmpx_ne_u32_e32 0x7f, v25
	s_cbranch_execz .LBB275_408
; %bb.405:                              ;   in Loop: Header=BB275_15 Depth=1
	v_dual_lshrrev_b32 v24, 3, v25 :: v_dual_bitop2_b32 v8, 7, v4 bitop3:0x40
	s_mov_b32 s45, exec_lo
	v_cmpx_gt_u32_e32 8, v25
; %bb.406:                              ;   in Loop: Header=BB275_15 Depth=1
	s_delay_alu instid0(VALU_DEP_2) | instskip(NEXT) | instid1(VALU_DEP_1)
	v_clz_i32_u32_e32 v8, v8
	v_min_u32_e32 v8, 32, v8
	s_delay_alu instid0(VALU_DEP_1) | instskip(NEXT) | instid1(VALU_DEP_1)
	v_subrev_nc_u32_e32 v24, 28, v8
	v_lshlrev_b64_e32 v[26:27], v24, v[4:5]
	s_delay_alu instid0(VALU_DEP_1)
	v_dual_sub_nc_u32 v24, 29, v8 :: v_dual_bitop2_b32 v8, 7, v26 bitop3:0x40
; %bb.407:                              ;   in Loop: Header=BB275_15 Depth=1
	s_or_b32 exec_lo, exec_lo, s45
	v_lshlrev_b32_e32 v25, 8, v4
	s_delay_alu instid0(VALU_DEP_2) | instskip(NEXT) | instid1(VALU_DEP_3)
	v_lshl_add_u32 v24, v24, 10, 0x2000
	v_lshlrev_b32_e32 v8, 7, v8
	s_delay_alu instid0(VALU_DEP_3) | instskip(NEXT) | instid1(VALU_DEP_3)
	v_and_b32_e32 v25, 0x8000, v25
	v_and_b32_e32 v24, 0xfc00, v24
	s_delay_alu instid0(VALU_DEP_1)
	v_or3_b32 v101, v25, v24, v8
.LBB275_408:                            ;   in Loop: Header=BB275_15 Depth=1
	s_or_b32 exec_lo, exec_lo, s44
.LBB275_409:                            ;   in Loop: Header=BB275_15 Depth=1
	s_delay_alu instid0(SALU_CYCLE_1)
	s_or_b32 exec_lo, exec_lo, s43
.LBB275_410:                            ;   in Loop: Header=BB275_15 Depth=1
	s_delay_alu instid0(SALU_CYCLE_1) | instskip(SKIP_3) | instid1(VALU_DEP_2)
	s_or_b32 exec_lo, exec_lo, s42
	v_lshrrev_b16 v8, 8, v4
	v_dual_mov_b32 v103, 0 :: v_dual_mov_b32 v104, 0
	s_mov_b32 s42, exec_lo
	v_cmpx_ne_u16_e32 0, v8
	s_cbranch_execz .LBB275_418
; %bb.411:                              ;   in Loop: Header=BB275_15 Depth=1
	v_bfrev_b32_e32 v104, 1
	s_mov_b32 s43, exec_lo
	v_cmpx_ne_u16_e32 0x80, v8
	s_cbranch_execz .LBB275_417
; %bb.412:                              ;   in Loop: Header=BB275_15 Depth=1
	v_and_b32_e32 v24, 0xffff, v8
	v_mov_b32_e32 v104, 0x7c010000
	s_mov_b32 s44, exec_lo
	s_delay_alu instid0(VALU_DEP_2) | instskip(NEXT) | instid1(VALU_DEP_1)
	v_and_b32_e32 v27, 0x7f, v24
	v_cmpx_ne_u32_e32 0x7f, v27
	s_cbranch_execz .LBB275_416
; %bb.413:                              ;   in Loop: Header=BB275_15 Depth=1
	v_dual_lshrrev_b32 v26, 3, v27 :: v_dual_bitop2_b32 v25, 7, v24 bitop3:0x40
	s_mov_b32 s45, exec_lo
	v_cmpx_gt_u32_e32 8, v27
; %bb.414:                              ;   in Loop: Header=BB275_15 Depth=1
	s_delay_alu instid0(VALU_DEP_2) | instskip(NEXT) | instid1(VALU_DEP_1)
	v_clz_i32_u32_e32 v25, v25
	v_min_u32_e32 v25, 32, v25
	s_delay_alu instid0(VALU_DEP_1) | instskip(NEXT) | instid1(VALU_DEP_1)
	v_subrev_nc_u32_e32 v26, 28, v25
	v_lshlrev_b64_e32 v[40:41], v26, v[8:9]
	s_delay_alu instid0(VALU_DEP_1)
	v_dual_sub_nc_u32 v26, 29, v25 :: v_dual_bitop2_b32 v25, 7, v40 bitop3:0x40
; %bb.415:                              ;   in Loop: Header=BB275_15 Depth=1
	s_or_b32 exec_lo, exec_lo, s45
	v_lshlrev_b32_e32 v8, 8, v24
	s_delay_alu instid0(VALU_DEP_2) | instskip(NEXT) | instid1(VALU_DEP_1)
	v_lshl_add_u32 v24, v26, 10, 0x2000
	v_and_or_b32 v8, 0x8000, v8, v24
	v_lshlrev_b32_e32 v24, 23, v25
	s_delay_alu instid0(VALU_DEP_1)
	v_lshl_or_b32 v104, v8, 16, v24
.LBB275_416:                            ;   in Loop: Header=BB275_15 Depth=1
	s_or_b32 exec_lo, exec_lo, s44
.LBB275_417:                            ;   in Loop: Header=BB275_15 Depth=1
	s_delay_alu instid0(SALU_CYCLE_1)
	s_or_b32 exec_lo, exec_lo, s43
.LBB275_418:                            ;   in Loop: Header=BB275_15 Depth=1
	s_delay_alu instid0(SALU_CYCLE_1) | instskip(SKIP_2) | instid1(VALU_DEP_1)
	s_or_b32 exec_lo, exec_lo, s42
	v_lshrrev_b32_e32 v8, 16, v4
	s_mov_b32 s42, exec_lo
	v_and_b32_e32 v24, 0xff, v8
	s_delay_alu instid0(VALU_DEP_1)
	v_cmpx_ne_u16_e32 0, v24
	s_cbranch_execz .LBB275_426
; %bb.419:                              ;   in Loop: Header=BB275_15 Depth=1
	v_mov_b32_e32 v103, 0x8000
	s_mov_b32 s43, exec_lo
	v_cmpx_ne_u16_e32 0x80, v24
	s_cbranch_execz .LBB275_425
; %bb.420:                              ;   in Loop: Header=BB275_15 Depth=1
	v_bfe_u32 v26, v4, 16, 7
	v_mov_b32_e32 v103, 0x7c01
	s_mov_b32 s44, exec_lo
	s_delay_alu instid0(VALU_DEP_2)
	v_cmpx_ne_u32_e32 0x7f, v26
	s_cbranch_execz .LBB275_424
; %bb.421:                              ;   in Loop: Header=BB275_15 Depth=1
	v_dual_lshrrev_b32 v25, 3, v26 :: v_dual_bitop2_b32 v24, 7, v8 bitop3:0x40
	s_mov_b32 s45, exec_lo
	v_cmpx_gt_u32_e32 8, v26
; %bb.422:                              ;   in Loop: Header=BB275_15 Depth=1
	s_delay_alu instid0(VALU_DEP_2) | instskip(NEXT) | instid1(VALU_DEP_1)
	v_clz_i32_u32_e32 v24, v24
	v_min_u32_e32 v26, 32, v24
	s_delay_alu instid0(VALU_DEP_1) | instskip(NEXT) | instid1(VALU_DEP_1)
	v_subrev_nc_u32_e32 v24, 28, v26
	v_lshlrev_b64_e32 v[24:25], v24, v[8:9]
	s_delay_alu instid0(VALU_DEP_1)
	v_dual_sub_nc_u32 v25, 29, v26 :: v_dual_bitop2_b32 v24, 7, v24 bitop3:0x40
; %bb.423:                              ;   in Loop: Header=BB275_15 Depth=1
	s_or_b32 exec_lo, exec_lo, s45
	v_lshlrev_b32_e32 v8, 8, v8
	s_delay_alu instid0(VALU_DEP_2) | instskip(NEXT) | instid1(VALU_DEP_3)
	v_lshl_add_u32 v25, v25, 10, 0x2000
	v_lshlrev_b32_e32 v24, 7, v24
	s_delay_alu instid0(VALU_DEP_3) | instskip(NEXT) | instid1(VALU_DEP_3)
	v_and_b32_e32 v8, 0x8000, v8
	v_and_b32_e32 v25, 0xfc00, v25
	s_delay_alu instid0(VALU_DEP_1)
	v_or3_b32 v103, v8, v25, v24
.LBB275_424:                            ;   in Loop: Header=BB275_15 Depth=1
	s_or_b32 exec_lo, exec_lo, s44
.LBB275_425:                            ;   in Loop: Header=BB275_15 Depth=1
	s_delay_alu instid0(SALU_CYCLE_1)
	s_or_b32 exec_lo, exec_lo, s43
.LBB275_426:                            ;   in Loop: Header=BB275_15 Depth=1
	s_delay_alu instid0(SALU_CYCLE_1)
	s_or_b32 exec_lo, exec_lo, s42
	v_dual_mov_b32 v105, 0 :: v_dual_mov_b32 v106, 0
	s_mov_b32 s42, exec_lo
	v_cmpx_lt_u32_e32 0xffffff, v4
	s_cbranch_execz .LBB275_434
; %bb.427:                              ;   in Loop: Header=BB275_15 Depth=1
	v_lshrrev_b32_e32 v8, 24, v4
	v_bfrev_b32_e32 v106, 1
	s_mov_b32 s43, exec_lo
	s_delay_alu instid0(VALU_DEP_2)
	v_cmpx_ne_u32_e32 0x80, v8
	s_cbranch_execz .LBB275_433
; %bb.428:                              ;   in Loop: Header=BB275_15 Depth=1
	v_and_b32_e32 v26, 0x7f, v8
	v_mov_b32_e32 v106, 0x7c010000
	s_mov_b32 s44, exec_lo
	s_delay_alu instid0(VALU_DEP_2)
	v_cmpx_ne_u32_e32 0x7f, v26
	s_cbranch_execz .LBB275_432
; %bb.429:                              ;   in Loop: Header=BB275_15 Depth=1
	v_dual_lshrrev_b32 v25, 3, v26 :: v_dual_bitop2_b32 v24, 7, v8 bitop3:0x40
	s_mov_b32 s45, exec_lo
	v_cmpx_gt_u32_e32 8, v26
; %bb.430:                              ;   in Loop: Header=BB275_15 Depth=1
	s_delay_alu instid0(VALU_DEP_2) | instskip(NEXT) | instid1(VALU_DEP_1)
	v_clz_i32_u32_e32 v24, v24
	v_min_u32_e32 v26, 32, v24
	s_delay_alu instid0(VALU_DEP_1) | instskip(NEXT) | instid1(VALU_DEP_1)
	v_subrev_nc_u32_e32 v24, 28, v26
	v_lshlrev_b64_e32 v[24:25], v24, v[8:9]
	s_delay_alu instid0(VALU_DEP_1)
	v_dual_sub_nc_u32 v25, 29, v26 :: v_dual_bitop2_b32 v24, 7, v24 bitop3:0x40
; %bb.431:                              ;   in Loop: Header=BB275_15 Depth=1
	s_or_b32 exec_lo, exec_lo, s45
	v_lshlrev_b32_e32 v8, 8, v8
	s_delay_alu instid0(VALU_DEP_2) | instskip(NEXT) | instid1(VALU_DEP_3)
	v_lshl_add_u32 v25, v25, 10, 0x2000
	v_lshlrev_b32_e32 v24, 23, v24
	s_delay_alu instid0(VALU_DEP_2) | instskip(NEXT) | instid1(VALU_DEP_1)
	v_and_or_b32 v8, 0x8000, v8, v25
	v_lshl_or_b32 v106, v8, 16, v24
.LBB275_432:                            ;   in Loop: Header=BB275_15 Depth=1
	s_or_b32 exec_lo, exec_lo, s44
.LBB275_433:                            ;   in Loop: Header=BB275_15 Depth=1
	s_delay_alu instid0(SALU_CYCLE_1)
	s_or_b32 exec_lo, exec_lo, s43
.LBB275_434:                            ;   in Loop: Header=BB275_15 Depth=1
	s_delay_alu instid0(SALU_CYCLE_1) | instskip(SKIP_3) | instid1(VALU_DEP_2)
	s_or_b32 exec_lo, exec_lo, s42
	v_and_b32_e32 v24, 0xff, v5
	v_mov_b32_e32 v8, v5
	s_mov_b32 s42, exec_lo
	v_cmpx_ne_u16_e32 0, v24
	s_cbranch_execz .LBB275_442
; %bb.435:                              ;   in Loop: Header=BB275_15 Depth=1
	v_mov_b32_e32 v105, 0x8000
	s_mov_b32 s43, exec_lo
	v_cmpx_ne_u16_e32 0x80, v24
	s_cbranch_execz .LBB275_441
; %bb.436:                              ;   in Loop: Header=BB275_15 Depth=1
	v_and_b32_e32 v26, 0x7f, v5
	v_mov_b32_e32 v105, 0x7c01
	s_mov_b32 s44, exec_lo
	s_delay_alu instid0(VALU_DEP_2)
	v_cmpx_ne_u32_e32 0x7f, v26
	s_cbranch_execz .LBB275_440
; %bb.437:                              ;   in Loop: Header=BB275_15 Depth=1
	v_dual_lshrrev_b32 v25, 3, v26 :: v_dual_bitop2_b32 v24, 7, v5 bitop3:0x40
	s_mov_b32 s45, exec_lo
	v_cmpx_gt_u32_e32 8, v26
; %bb.438:                              ;   in Loop: Header=BB275_15 Depth=1
	s_delay_alu instid0(VALU_DEP_2) | instskip(NEXT) | instid1(VALU_DEP_1)
	v_clz_i32_u32_e32 v24, v24
	v_min_u32_e32 v26, 32, v24
	s_delay_alu instid0(VALU_DEP_1) | instskip(NEXT) | instid1(VALU_DEP_1)
	v_subrev_nc_u32_e32 v24, 28, v26
	v_lshlrev_b64_e32 v[24:25], v24, v[8:9]
	s_delay_alu instid0(VALU_DEP_1)
	v_dual_sub_nc_u32 v25, 29, v26 :: v_dual_bitop2_b32 v24, 7, v24 bitop3:0x40
; %bb.439:                              ;   in Loop: Header=BB275_15 Depth=1
	s_or_b32 exec_lo, exec_lo, s45
	s_delay_alu instid0(VALU_DEP_1) | instskip(NEXT) | instid1(VALU_DEP_2)
	v_dual_lshlrev_b32 v26, 8, v5 :: v_dual_lshlrev_b32 v24, 7, v24
	v_lshl_add_u32 v25, v25, 10, 0x2000
	s_delay_alu instid0(VALU_DEP_2) | instskip(NEXT) | instid1(VALU_DEP_2)
	v_and_b32_e32 v26, 0x8000, v26
	v_and_b32_e32 v25, 0xfc00, v25
	s_delay_alu instid0(VALU_DEP_1)
	v_or3_b32 v105, v26, v25, v24
.LBB275_440:                            ;   in Loop: Header=BB275_15 Depth=1
	s_or_b32 exec_lo, exec_lo, s44
.LBB275_441:                            ;   in Loop: Header=BB275_15 Depth=1
	s_delay_alu instid0(SALU_CYCLE_1)
	s_or_b32 exec_lo, exec_lo, s43
.LBB275_442:                            ;   in Loop: Header=BB275_15 Depth=1
	s_delay_alu instid0(SALU_CYCLE_1) | instskip(SKIP_3) | instid1(VALU_DEP_2)
	s_or_b32 exec_lo, exec_lo, s42
	v_lshrrev_b16 v8, 8, v8
	v_dual_mov_b32 v108, 0 :: v_dual_mov_b32 v107, 0
	s_mov_b32 s42, exec_lo
	v_cmpx_ne_u16_e32 0, v8
	s_cbranch_execz .LBB275_450
; %bb.443:                              ;   in Loop: Header=BB275_15 Depth=1
	v_bfrev_b32_e32 v107, 1
	s_mov_b32 s43, exec_lo
	v_cmpx_ne_u16_e32 0x80, v8
	s_cbranch_execz .LBB275_449
; %bb.444:                              ;   in Loop: Header=BB275_15 Depth=1
	v_and_b32_e32 v24, 0xffff, v8
	v_mov_b32_e32 v107, 0x7c010000
	s_mov_b32 s44, exec_lo
	s_delay_alu instid0(VALU_DEP_2) | instskip(NEXT) | instid1(VALU_DEP_1)
	v_and_b32_e32 v27, 0x7f, v24
	v_cmpx_ne_u32_e32 0x7f, v27
	s_cbranch_execz .LBB275_448
; %bb.445:                              ;   in Loop: Header=BB275_15 Depth=1
	v_dual_lshrrev_b32 v26, 3, v27 :: v_dual_bitop2_b32 v25, 7, v24 bitop3:0x40
	s_mov_b32 s45, exec_lo
	v_cmpx_gt_u32_e32 8, v27
; %bb.446:                              ;   in Loop: Header=BB275_15 Depth=1
	s_delay_alu instid0(VALU_DEP_2) | instskip(NEXT) | instid1(VALU_DEP_1)
	v_clz_i32_u32_e32 v25, v25
	v_min_u32_e32 v25, 32, v25
	s_delay_alu instid0(VALU_DEP_1) | instskip(NEXT) | instid1(VALU_DEP_1)
	v_subrev_nc_u32_e32 v26, 28, v25
	v_lshlrev_b64_e32 v[40:41], v26, v[8:9]
	s_delay_alu instid0(VALU_DEP_1)
	v_dual_sub_nc_u32 v26, 29, v25 :: v_dual_bitop2_b32 v25, 7, v40 bitop3:0x40
; %bb.447:                              ;   in Loop: Header=BB275_15 Depth=1
	s_or_b32 exec_lo, exec_lo, s45
	v_lshlrev_b32_e32 v8, 8, v24
	s_delay_alu instid0(VALU_DEP_2) | instskip(NEXT) | instid1(VALU_DEP_1)
	v_lshl_add_u32 v24, v26, 10, 0x2000
	v_and_or_b32 v8, 0x8000, v8, v24
	v_lshlrev_b32_e32 v24, 23, v25
	s_delay_alu instid0(VALU_DEP_1)
	v_lshl_or_b32 v107, v8, 16, v24
.LBB275_448:                            ;   in Loop: Header=BB275_15 Depth=1
	s_or_b32 exec_lo, exec_lo, s44
.LBB275_449:                            ;   in Loop: Header=BB275_15 Depth=1
	s_delay_alu instid0(SALU_CYCLE_1)
	s_or_b32 exec_lo, exec_lo, s43
.LBB275_450:                            ;   in Loop: Header=BB275_15 Depth=1
	s_delay_alu instid0(SALU_CYCLE_1) | instskip(SKIP_2) | instid1(VALU_DEP_1)
	s_or_b32 exec_lo, exec_lo, s42
	v_lshrrev_b32_e32 v8, 16, v5
	s_mov_b32 s42, exec_lo
	v_and_b32_e32 v24, 0xff, v8
	s_delay_alu instid0(VALU_DEP_1)
	v_cmpx_ne_u16_e32 0, v24
	s_cbranch_execz .LBB275_458
; %bb.451:                              ;   in Loop: Header=BB275_15 Depth=1
	v_mov_b32_e32 v108, 0x8000
	s_mov_b32 s43, exec_lo
	v_cmpx_ne_u16_e32 0x80, v24
	s_cbranch_execz .LBB275_457
; %bb.452:                              ;   in Loop: Header=BB275_15 Depth=1
	v_bfe_u32 v26, v5, 16, 7
	v_mov_b32_e32 v108, 0x7c01
	s_mov_b32 s44, exec_lo
	s_delay_alu instid0(VALU_DEP_2)
	v_cmpx_ne_u32_e32 0x7f, v26
	s_cbranch_execz .LBB275_456
; %bb.453:                              ;   in Loop: Header=BB275_15 Depth=1
	v_dual_lshrrev_b32 v25, 3, v26 :: v_dual_bitop2_b32 v24, 7, v8 bitop3:0x40
	s_mov_b32 s45, exec_lo
	v_cmpx_gt_u32_e32 8, v26
; %bb.454:                              ;   in Loop: Header=BB275_15 Depth=1
	s_delay_alu instid0(VALU_DEP_2) | instskip(NEXT) | instid1(VALU_DEP_1)
	v_clz_i32_u32_e32 v24, v24
	v_min_u32_e32 v26, 32, v24
	s_delay_alu instid0(VALU_DEP_1) | instskip(NEXT) | instid1(VALU_DEP_1)
	v_subrev_nc_u32_e32 v24, 28, v26
	v_lshlrev_b64_e32 v[24:25], v24, v[8:9]
	s_delay_alu instid0(VALU_DEP_1)
	v_dual_sub_nc_u32 v25, 29, v26 :: v_dual_bitop2_b32 v24, 7, v24 bitop3:0x40
; %bb.455:                              ;   in Loop: Header=BB275_15 Depth=1
	s_or_b32 exec_lo, exec_lo, s45
	v_lshlrev_b32_e32 v8, 8, v8
	s_delay_alu instid0(VALU_DEP_2) | instskip(NEXT) | instid1(VALU_DEP_3)
	v_lshl_add_u32 v25, v25, 10, 0x2000
	v_lshlrev_b32_e32 v24, 7, v24
	s_delay_alu instid0(VALU_DEP_3) | instskip(NEXT) | instid1(VALU_DEP_3)
	v_and_b32_e32 v8, 0x8000, v8
	v_and_b32_e32 v25, 0xfc00, v25
	s_delay_alu instid0(VALU_DEP_1)
	v_or3_b32 v108, v8, v25, v24
.LBB275_456:                            ;   in Loop: Header=BB275_15 Depth=1
	s_or_b32 exec_lo, exec_lo, s44
.LBB275_457:                            ;   in Loop: Header=BB275_15 Depth=1
	s_delay_alu instid0(SALU_CYCLE_1)
	s_or_b32 exec_lo, exec_lo, s43
.LBB275_458:                            ;   in Loop: Header=BB275_15 Depth=1
	s_delay_alu instid0(SALU_CYCLE_1)
	s_or_b32 exec_lo, exec_lo, s42
	v_dual_mov_b32 v109, 0 :: v_dual_mov_b32 v110, 0
	s_mov_b32 s42, exec_lo
	v_cmpx_lt_u64_e64 s[26:27], v[4:5]
	s_cbranch_execz .LBB275_466
; %bb.459:                              ;   in Loop: Header=BB275_15 Depth=1
	v_lshrrev_b32_e32 v8, 24, v5
	v_bfrev_b32_e32 v110, 1
	s_mov_b32 s43, exec_lo
	s_delay_alu instid0(VALU_DEP_2)
	v_cmpx_ne_u32_e32 0x80, v8
	s_cbranch_execz .LBB275_465
; %bb.460:                              ;   in Loop: Header=BB275_15 Depth=1
	v_and_b32_e32 v24, 0x7f, v8
	v_mov_b32_e32 v110, 0x7c010000
	s_mov_b32 s44, exec_lo
	s_delay_alu instid0(VALU_DEP_2)
	v_cmpx_ne_u32_e32 0x7f, v24
	s_cbranch_execz .LBB275_464
; %bb.461:                              ;   in Loop: Header=BB275_15 Depth=1
	v_and_b32_e32 v4, 7, v8
	v_lshrrev_b32_e32 v5, 3, v24
	s_mov_b32 s45, exec_lo
	v_cmpx_gt_u32_e32 8, v24
; %bb.462:                              ;   in Loop: Header=BB275_15 Depth=1
	s_delay_alu instid0(VALU_DEP_3) | instskip(NEXT) | instid1(VALU_DEP_1)
	v_clz_i32_u32_e32 v4, v4
	v_min_u32_e32 v24, 32, v4
	s_delay_alu instid0(VALU_DEP_1) | instskip(NEXT) | instid1(VALU_DEP_1)
	v_subrev_nc_u32_e32 v4, 28, v24
	v_lshlrev_b64_e32 v[4:5], v4, v[8:9]
	v_sub_nc_u32_e32 v5, 29, v24
	s_delay_alu instid0(VALU_DEP_2)
	v_and_b32_e32 v4, 7, v4
; %bb.463:                              ;   in Loop: Header=BB275_15 Depth=1
	s_or_b32 exec_lo, exec_lo, s45
	v_lshlrev_b32_e32 v8, 8, v8
	s_delay_alu instid0(VALU_DEP_3) | instskip(NEXT) | instid1(VALU_DEP_3)
	v_lshl_add_u32 v5, v5, 10, 0x2000
	v_lshlrev_b32_e32 v4, 23, v4
	s_delay_alu instid0(VALU_DEP_2) | instskip(NEXT) | instid1(VALU_DEP_1)
	v_and_or_b32 v5, 0x8000, v8, v5
	v_lshl_or_b32 v110, v5, 16, v4
.LBB275_464:                            ;   in Loop: Header=BB275_15 Depth=1
	s_or_b32 exec_lo, exec_lo, s44
.LBB275_465:                            ;   in Loop: Header=BB275_15 Depth=1
	s_delay_alu instid0(SALU_CYCLE_1)
	s_or_b32 exec_lo, exec_lo, s43
.LBB275_466:                            ;   in Loop: Header=BB275_15 Depth=1
	s_delay_alu instid0(SALU_CYCLE_1) | instskip(SKIP_4) | instid1(VALU_DEP_1)
	s_or_b32 exec_lo, exec_lo, s42
	global_load_b64 v[2:3], v[2:3], off offset:1544
	s_mov_b32 s42, exec_lo
	s_wait_loadcnt 0x0
	v_and_b32_e32 v4, 0xff, v2
	v_cmpx_ne_u16_e32 0, v4
	s_cbranch_execz .LBB275_474
; %bb.467:                              ;   in Loop: Header=BB275_15 Depth=1
	v_mov_b32_e32 v109, 0x8000
	s_mov_b32 s43, exec_lo
	v_cmpx_ne_u16_e32 0x80, v4
	s_cbranch_execz .LBB275_473
; %bb.468:                              ;   in Loop: Header=BB275_15 Depth=1
	v_and_b32_e32 v8, 0x7f, v2
	v_mov_b32_e32 v109, 0x7c01
	s_mov_b32 s44, exec_lo
	s_delay_alu instid0(VALU_DEP_2)
	v_cmpx_ne_u32_e32 0x7f, v8
	s_cbranch_execz .LBB275_472
; %bb.469:                              ;   in Loop: Header=BB275_15 Depth=1
	v_dual_lshrrev_b32 v5, 3, v8 :: v_dual_bitop2_b32 v4, 7, v2 bitop3:0x40
	s_mov_b32 s45, exec_lo
	v_cmpx_gt_u32_e32 8, v8
; %bb.470:                              ;   in Loop: Header=BB275_15 Depth=1
	s_delay_alu instid0(VALU_DEP_2) | instskip(NEXT) | instid1(VALU_DEP_1)
	v_clz_i32_u32_e32 v4, v4
	v_min_u32_e32 v8, 32, v4
	s_delay_alu instid0(VALU_DEP_1) | instskip(NEXT) | instid1(VALU_DEP_1)
	v_subrev_nc_u32_e32 v4, 28, v8
	v_lshlrev_b64_e32 v[4:5], v4, v[2:3]
	v_sub_nc_u32_e32 v5, 29, v8
	s_delay_alu instid0(VALU_DEP_2)
	v_and_b32_e32 v4, 7, v4
; %bb.471:                              ;   in Loop: Header=BB275_15 Depth=1
	s_or_b32 exec_lo, exec_lo, s45
	s_delay_alu instid0(VALU_DEP_1) | instskip(NEXT) | instid1(VALU_DEP_3)
	v_dual_lshlrev_b32 v8, 8, v2 :: v_dual_lshlrev_b32 v4, 7, v4
	v_lshl_add_u32 v5, v5, 10, 0x2000
	s_delay_alu instid0(VALU_DEP_2) | instskip(NEXT) | instid1(VALU_DEP_2)
	v_and_b32_e32 v8, 0x8000, v8
	v_and_b32_e32 v5, 0xfc00, v5
	s_delay_alu instid0(VALU_DEP_1)
	v_or3_b32 v109, v8, v5, v4
.LBB275_472:                            ;   in Loop: Header=BB275_15 Depth=1
	s_or_b32 exec_lo, exec_lo, s44
.LBB275_473:                            ;   in Loop: Header=BB275_15 Depth=1
	s_delay_alu instid0(SALU_CYCLE_1)
	s_or_b32 exec_lo, exec_lo, s43
.LBB275_474:                            ;   in Loop: Header=BB275_15 Depth=1
	s_delay_alu instid0(SALU_CYCLE_1) | instskip(SKIP_3) | instid1(VALU_DEP_2)
	s_or_b32 exec_lo, exec_lo, s42
	v_lshrrev_b16 v8, 8, v2
	v_dual_mov_b32 v111, 0 :: v_dual_mov_b32 v112, 0
	s_mov_b32 s42, exec_lo
	v_cmpx_ne_u16_e32 0, v8
	s_cbranch_execz .LBB275_482
; %bb.475:                              ;   in Loop: Header=BB275_15 Depth=1
	v_bfrev_b32_e32 v112, 1
	s_mov_b32 s43, exec_lo
	v_cmpx_ne_u16_e32 0x80, v8
	s_cbranch_execz .LBB275_481
; %bb.476:                              ;   in Loop: Header=BB275_15 Depth=1
	v_and_b32_e32 v4, 0xffff, v8
	v_mov_b32_e32 v112, 0x7c010000
	s_mov_b32 s44, exec_lo
	s_delay_alu instid0(VALU_DEP_2) | instskip(NEXT) | instid1(VALU_DEP_1)
	v_and_b32_e32 v25, 0x7f, v4
	v_cmpx_ne_u32_e32 0x7f, v25
	s_cbranch_execz .LBB275_480
; %bb.477:                              ;   in Loop: Header=BB275_15 Depth=1
	v_dual_lshrrev_b32 v24, 3, v25 :: v_dual_bitop2_b32 v5, 7, v4 bitop3:0x40
	s_mov_b32 s45, exec_lo
	v_cmpx_gt_u32_e32 8, v25
; %bb.478:                              ;   in Loop: Header=BB275_15 Depth=1
	s_delay_alu instid0(VALU_DEP_2) | instskip(NEXT) | instid1(VALU_DEP_1)
	v_clz_i32_u32_e32 v5, v5
	v_min_u32_e32 v5, 32, v5
	s_delay_alu instid0(VALU_DEP_1) | instskip(NEXT) | instid1(VALU_DEP_1)
	v_subrev_nc_u32_e32 v24, 28, v5
	v_lshlrev_b64_e32 v[26:27], v24, v[8:9]
	s_delay_alu instid0(VALU_DEP_1)
	v_dual_sub_nc_u32 v24, 29, v5 :: v_dual_bitop2_b32 v5, 7, v26 bitop3:0x40
; %bb.479:                              ;   in Loop: Header=BB275_15 Depth=1
	s_or_b32 exec_lo, exec_lo, s45
	s_delay_alu instid0(VALU_DEP_1) | instskip(NEXT) | instid1(VALU_DEP_2)
	v_dual_lshlrev_b32 v4, 8, v4 :: v_dual_lshlrev_b32 v5, 23, v5
	v_lshl_add_u32 v8, v24, 10, 0x2000
	s_delay_alu instid0(VALU_DEP_1) | instskip(NEXT) | instid1(VALU_DEP_1)
	v_and_or_b32 v4, 0x8000, v4, v8
	v_lshl_or_b32 v112, v4, 16, v5
.LBB275_480:                            ;   in Loop: Header=BB275_15 Depth=1
	s_or_b32 exec_lo, exec_lo, s44
.LBB275_481:                            ;   in Loop: Header=BB275_15 Depth=1
	s_delay_alu instid0(SALU_CYCLE_1)
	s_or_b32 exec_lo, exec_lo, s43
.LBB275_482:                            ;   in Loop: Header=BB275_15 Depth=1
	s_delay_alu instid0(SALU_CYCLE_1) | instskip(SKIP_2) | instid1(VALU_DEP_1)
	s_or_b32 exec_lo, exec_lo, s42
	v_lshrrev_b32_e32 v4, 16, v2
	s_mov_b32 s42, exec_lo
	v_and_b32_e32 v5, 0xff, v4
	s_delay_alu instid0(VALU_DEP_1)
	v_cmpx_ne_u16_e32 0, v5
	s_cbranch_execz .LBB275_490
; %bb.483:                              ;   in Loop: Header=BB275_15 Depth=1
	v_mov_b32_e32 v111, 0x8000
	s_mov_b32 s43, exec_lo
	v_cmpx_ne_u16_e32 0x80, v5
	s_cbranch_execz .LBB275_489
; %bb.484:                              ;   in Loop: Header=BB275_15 Depth=1
	v_bfe_u32 v24, v2, 16, 7
	v_mov_b32_e32 v111, 0x7c01
	s_mov_b32 s44, exec_lo
	s_delay_alu instid0(VALU_DEP_2)
	v_cmpx_ne_u32_e32 0x7f, v24
	s_cbranch_execz .LBB275_488
; %bb.485:                              ;   in Loop: Header=BB275_15 Depth=1
	v_and_b32_e32 v5, 7, v4
	v_lshrrev_b32_e32 v8, 3, v24
	s_mov_b32 s45, exec_lo
	v_cmpx_gt_u32_e32 8, v24
; %bb.486:                              ;   in Loop: Header=BB275_15 Depth=1
	s_delay_alu instid0(VALU_DEP_3) | instskip(NEXT) | instid1(VALU_DEP_1)
	v_clz_i32_u32_e32 v5, v5
	v_min_u32_e32 v5, 32, v5
	s_delay_alu instid0(VALU_DEP_1) | instskip(NEXT) | instid1(VALU_DEP_1)
	v_subrev_nc_u32_e32 v8, 28, v5
	v_lshlrev_b64_e32 v[24:25], v8, v[4:5]
	s_delay_alu instid0(VALU_DEP_1)
	v_dual_sub_nc_u32 v8, 29, v5 :: v_dual_bitop2_b32 v5, 7, v24 bitop3:0x40
; %bb.487:                              ;   in Loop: Header=BB275_15 Depth=1
	s_or_b32 exec_lo, exec_lo, s45
	s_delay_alu instid0(VALU_DEP_1) | instskip(NEXT) | instid1(VALU_DEP_2)
	v_dual_lshlrev_b32 v4, 8, v4 :: v_dual_lshlrev_b32 v5, 7, v5
	v_lshl_add_u32 v8, v8, 10, 0x2000
	s_delay_alu instid0(VALU_DEP_2) | instskip(NEXT) | instid1(VALU_DEP_2)
	v_and_b32_e32 v4, 0x8000, v4
	v_and_b32_e32 v8, 0xfc00, v8
	s_delay_alu instid0(VALU_DEP_1)
	v_or3_b32 v111, v4, v8, v5
.LBB275_488:                            ;   in Loop: Header=BB275_15 Depth=1
	s_or_b32 exec_lo, exec_lo, s44
.LBB275_489:                            ;   in Loop: Header=BB275_15 Depth=1
	s_delay_alu instid0(SALU_CYCLE_1)
	s_or_b32 exec_lo, exec_lo, s43
.LBB275_490:                            ;   in Loop: Header=BB275_15 Depth=1
	s_delay_alu instid0(SALU_CYCLE_1)
	s_or_b32 exec_lo, exec_lo, s42
	v_dual_mov_b32 v113, 0 :: v_dual_mov_b32 v114, 0
	s_mov_b32 s42, exec_lo
	v_cmpx_lt_u32_e32 0xffffff, v2
	s_cbranch_execz .LBB275_498
; %bb.491:                              ;   in Loop: Header=BB275_15 Depth=1
	v_lshrrev_b32_e32 v8, 24, v2
	v_bfrev_b32_e32 v114, 1
	s_mov_b32 s43, exec_lo
	s_delay_alu instid0(VALU_DEP_2)
	v_cmpx_ne_u32_e32 0x80, v8
	s_cbranch_execz .LBB275_497
; %bb.492:                              ;   in Loop: Header=BB275_15 Depth=1
	v_and_b32_e32 v24, 0x7f, v8
	v_mov_b32_e32 v114, 0x7c010000
	s_mov_b32 s44, exec_lo
	s_delay_alu instid0(VALU_DEP_2)
	v_cmpx_ne_u32_e32 0x7f, v24
	s_cbranch_execz .LBB275_496
; %bb.493:                              ;   in Loop: Header=BB275_15 Depth=1
	v_and_b32_e32 v4, 7, v8
	v_lshrrev_b32_e32 v5, 3, v24
	s_mov_b32 s45, exec_lo
	v_cmpx_gt_u32_e32 8, v24
; %bb.494:                              ;   in Loop: Header=BB275_15 Depth=1
	s_delay_alu instid0(VALU_DEP_3) | instskip(NEXT) | instid1(VALU_DEP_1)
	v_clz_i32_u32_e32 v4, v4
	v_min_u32_e32 v24, 32, v4
	s_delay_alu instid0(VALU_DEP_1) | instskip(NEXT) | instid1(VALU_DEP_1)
	v_subrev_nc_u32_e32 v4, 28, v24
	v_lshlrev_b64_e32 v[4:5], v4, v[8:9]
	v_sub_nc_u32_e32 v5, 29, v24
	s_delay_alu instid0(VALU_DEP_2)
	v_and_b32_e32 v4, 7, v4
; %bb.495:                              ;   in Loop: Header=BB275_15 Depth=1
	s_or_b32 exec_lo, exec_lo, s45
	v_lshlrev_b32_e32 v8, 8, v8
	s_delay_alu instid0(VALU_DEP_3) | instskip(NEXT) | instid1(VALU_DEP_3)
	v_lshl_add_u32 v5, v5, 10, 0x2000
	v_lshlrev_b32_e32 v4, 23, v4
	s_delay_alu instid0(VALU_DEP_2) | instskip(NEXT) | instid1(VALU_DEP_1)
	v_and_or_b32 v5, 0x8000, v8, v5
	v_lshl_or_b32 v114, v5, 16, v4
.LBB275_496:                            ;   in Loop: Header=BB275_15 Depth=1
	s_or_b32 exec_lo, exec_lo, s44
.LBB275_497:                            ;   in Loop: Header=BB275_15 Depth=1
	s_delay_alu instid0(SALU_CYCLE_1)
	s_or_b32 exec_lo, exec_lo, s43
.LBB275_498:                            ;   in Loop: Header=BB275_15 Depth=1
	s_delay_alu instid0(SALU_CYCLE_1) | instskip(SKIP_3) | instid1(VALU_DEP_2)
	s_or_b32 exec_lo, exec_lo, s42
	v_and_b32_e32 v4, 0xff, v3
	v_mov_b32_e32 v8, v3
	s_mov_b32 s42, exec_lo
	v_cmpx_ne_u16_e32 0, v4
	s_cbranch_execz .LBB275_506
; %bb.499:                              ;   in Loop: Header=BB275_15 Depth=1
	v_mov_b32_e32 v113, 0x8000
	s_mov_b32 s43, exec_lo
	v_cmpx_ne_u16_e32 0x80, v4
	s_cbranch_execz .LBB275_505
; %bb.500:                              ;   in Loop: Header=BB275_15 Depth=1
	v_and_b32_e32 v24, 0x7f, v3
	v_mov_b32_e32 v113, 0x7c01
	s_mov_b32 s44, exec_lo
	s_delay_alu instid0(VALU_DEP_2)
	v_cmpx_ne_u32_e32 0x7f, v24
	s_cbranch_execz .LBB275_504
; %bb.501:                              ;   in Loop: Header=BB275_15 Depth=1
	v_dual_lshrrev_b32 v5, 3, v24 :: v_dual_bitop2_b32 v4, 7, v3 bitop3:0x40
	s_mov_b32 s45, exec_lo
	v_cmpx_gt_u32_e32 8, v24
; %bb.502:                              ;   in Loop: Header=BB275_15 Depth=1
	s_delay_alu instid0(VALU_DEP_2) | instskip(NEXT) | instid1(VALU_DEP_1)
	v_clz_i32_u32_e32 v4, v4
	v_min_u32_e32 v24, 32, v4
	s_delay_alu instid0(VALU_DEP_1) | instskip(NEXT) | instid1(VALU_DEP_1)
	v_subrev_nc_u32_e32 v4, 28, v24
	v_lshlrev_b64_e32 v[4:5], v4, v[8:9]
	v_sub_nc_u32_e32 v5, 29, v24
	s_delay_alu instid0(VALU_DEP_2)
	v_and_b32_e32 v4, 7, v4
; %bb.503:                              ;   in Loop: Header=BB275_15 Depth=1
	s_or_b32 exec_lo, exec_lo, s45
	s_delay_alu instid0(VALU_DEP_1) | instskip(NEXT) | instid1(VALU_DEP_3)
	v_dual_lshlrev_b32 v24, 8, v3 :: v_dual_lshlrev_b32 v4, 7, v4
	v_lshl_add_u32 v5, v5, 10, 0x2000
	s_delay_alu instid0(VALU_DEP_2) | instskip(NEXT) | instid1(VALU_DEP_2)
	v_and_b32_e32 v24, 0x8000, v24
	v_and_b32_e32 v5, 0xfc00, v5
	s_delay_alu instid0(VALU_DEP_1)
	v_or3_b32 v113, v24, v5, v4
.LBB275_504:                            ;   in Loop: Header=BB275_15 Depth=1
	s_or_b32 exec_lo, exec_lo, s44
.LBB275_505:                            ;   in Loop: Header=BB275_15 Depth=1
	s_delay_alu instid0(SALU_CYCLE_1)
	s_or_b32 exec_lo, exec_lo, s43
.LBB275_506:                            ;   in Loop: Header=BB275_15 Depth=1
	s_delay_alu instid0(SALU_CYCLE_1) | instskip(SKIP_3) | instid1(VALU_DEP_2)
	s_or_b32 exec_lo, exec_lo, s42
	v_lshrrev_b16 v8, 8, v8
	v_dual_mov_b32 v115, 0 :: v_dual_mov_b32 v116, 0
	s_mov_b32 s42, exec_lo
	v_cmpx_ne_u16_e32 0, v8
	s_cbranch_execz .LBB275_514
; %bb.507:                              ;   in Loop: Header=BB275_15 Depth=1
	v_bfrev_b32_e32 v116, 1
	s_mov_b32 s43, exec_lo
	v_cmpx_ne_u16_e32 0x80, v8
	s_cbranch_execz .LBB275_513
; %bb.508:                              ;   in Loop: Header=BB275_15 Depth=1
	v_and_b32_e32 v4, 0xffff, v8
	v_mov_b32_e32 v116, 0x7c010000
	s_mov_b32 s44, exec_lo
	s_delay_alu instid0(VALU_DEP_2) | instskip(NEXT) | instid1(VALU_DEP_1)
	v_and_b32_e32 v25, 0x7f, v4
	v_cmpx_ne_u32_e32 0x7f, v25
	s_cbranch_execz .LBB275_512
; %bb.509:                              ;   in Loop: Header=BB275_15 Depth=1
	v_dual_lshrrev_b32 v24, 3, v25 :: v_dual_bitop2_b32 v5, 7, v4 bitop3:0x40
	s_mov_b32 s45, exec_lo
	v_cmpx_gt_u32_e32 8, v25
; %bb.510:                              ;   in Loop: Header=BB275_15 Depth=1
	s_delay_alu instid0(VALU_DEP_2) | instskip(NEXT) | instid1(VALU_DEP_1)
	v_clz_i32_u32_e32 v5, v5
	v_min_u32_e32 v5, 32, v5
	s_delay_alu instid0(VALU_DEP_1) | instskip(NEXT) | instid1(VALU_DEP_1)
	v_subrev_nc_u32_e32 v24, 28, v5
	v_lshlrev_b64_e32 v[26:27], v24, v[8:9]
	s_delay_alu instid0(VALU_DEP_1)
	v_dual_sub_nc_u32 v24, 29, v5 :: v_dual_bitop2_b32 v5, 7, v26 bitop3:0x40
; %bb.511:                              ;   in Loop: Header=BB275_15 Depth=1
	s_or_b32 exec_lo, exec_lo, s45
	s_delay_alu instid0(VALU_DEP_1) | instskip(NEXT) | instid1(VALU_DEP_2)
	v_dual_lshlrev_b32 v4, 8, v4 :: v_dual_lshlrev_b32 v5, 23, v5
	v_lshl_add_u32 v8, v24, 10, 0x2000
	s_delay_alu instid0(VALU_DEP_1) | instskip(NEXT) | instid1(VALU_DEP_1)
	v_and_or_b32 v4, 0x8000, v4, v8
	v_lshl_or_b32 v116, v4, 16, v5
.LBB275_512:                            ;   in Loop: Header=BB275_15 Depth=1
	s_or_b32 exec_lo, exec_lo, s44
.LBB275_513:                            ;   in Loop: Header=BB275_15 Depth=1
	s_delay_alu instid0(SALU_CYCLE_1)
	s_or_b32 exec_lo, exec_lo, s43
.LBB275_514:                            ;   in Loop: Header=BB275_15 Depth=1
	s_delay_alu instid0(SALU_CYCLE_1) | instskip(SKIP_2) | instid1(VALU_DEP_1)
	s_or_b32 exec_lo, exec_lo, s42
	v_lshrrev_b32_e32 v4, 16, v3
	s_mov_b32 s42, exec_lo
	v_and_b32_e32 v5, 0xff, v4
	s_delay_alu instid0(VALU_DEP_1)
	v_cmpx_ne_u16_e32 0, v5
	s_cbranch_execz .LBB275_522
; %bb.515:                              ;   in Loop: Header=BB275_15 Depth=1
	v_mov_b32_e32 v115, 0x8000
	s_mov_b32 s43, exec_lo
	v_cmpx_ne_u16_e32 0x80, v5
	s_cbranch_execz .LBB275_521
; %bb.516:                              ;   in Loop: Header=BB275_15 Depth=1
	v_bfe_u32 v24, v3, 16, 7
	v_mov_b32_e32 v115, 0x7c01
	s_mov_b32 s44, exec_lo
	s_delay_alu instid0(VALU_DEP_2)
	v_cmpx_ne_u32_e32 0x7f, v24
	s_cbranch_execz .LBB275_520
; %bb.517:                              ;   in Loop: Header=BB275_15 Depth=1
	v_and_b32_e32 v5, 7, v4
	v_lshrrev_b32_e32 v8, 3, v24
	s_mov_b32 s45, exec_lo
	v_cmpx_gt_u32_e32 8, v24
; %bb.518:                              ;   in Loop: Header=BB275_15 Depth=1
	s_delay_alu instid0(VALU_DEP_3) | instskip(NEXT) | instid1(VALU_DEP_1)
	v_clz_i32_u32_e32 v5, v5
	v_min_u32_e32 v5, 32, v5
	s_delay_alu instid0(VALU_DEP_1) | instskip(NEXT) | instid1(VALU_DEP_1)
	v_subrev_nc_u32_e32 v8, 28, v5
	v_lshlrev_b64_e32 v[24:25], v8, v[4:5]
	s_delay_alu instid0(VALU_DEP_1)
	v_dual_sub_nc_u32 v8, 29, v5 :: v_dual_bitop2_b32 v5, 7, v24 bitop3:0x40
; %bb.519:                              ;   in Loop: Header=BB275_15 Depth=1
	s_or_b32 exec_lo, exec_lo, s45
	s_delay_alu instid0(VALU_DEP_1) | instskip(NEXT) | instid1(VALU_DEP_2)
	v_dual_lshlrev_b32 v4, 8, v4 :: v_dual_lshlrev_b32 v5, 7, v5
	v_lshl_add_u32 v8, v8, 10, 0x2000
	s_delay_alu instid0(VALU_DEP_2) | instskip(NEXT) | instid1(VALU_DEP_2)
	v_and_b32_e32 v4, 0x8000, v4
	v_and_b32_e32 v8, 0xfc00, v8
	s_delay_alu instid0(VALU_DEP_1)
	v_or3_b32 v115, v4, v8, v5
.LBB275_520:                            ;   in Loop: Header=BB275_15 Depth=1
	s_or_b32 exec_lo, exec_lo, s44
.LBB275_521:                            ;   in Loop: Header=BB275_15 Depth=1
	s_delay_alu instid0(SALU_CYCLE_1)
	s_or_b32 exec_lo, exec_lo, s43
.LBB275_522:                            ;   in Loop: Header=BB275_15 Depth=1
	s_delay_alu instid0(SALU_CYCLE_1)
	s_or_b32 exec_lo, exec_lo, s42
	v_mov_b32_e32 v117, 0
	s_mov_b32 s42, exec_lo
	v_cmpx_lt_u64_e64 s[26:27], v[2:3]
	s_cbranch_execz .LBB275_13
; %bb.523:                              ;   in Loop: Header=BB275_15 Depth=1
	v_lshrrev_b32_e32 v8, 24, v3
	v_bfrev_b32_e32 v117, 1
	s_mov_b32 s43, exec_lo
	s_delay_alu instid0(VALU_DEP_2)
	v_cmpx_ne_u32_e32 0x80, v8
	s_cbranch_execz .LBB275_12
; %bb.524:                              ;   in Loop: Header=BB275_15 Depth=1
	v_and_b32_e32 v4, 0x7f, v8
	v_mov_b32_e32 v117, 0x7c010000
	s_mov_b32 s44, exec_lo
	s_delay_alu instid0(VALU_DEP_2)
	v_cmpx_ne_u32_e32 0x7f, v4
	s_cbranch_execz .LBB275_11
; %bb.525:                              ;   in Loop: Header=BB275_15 Depth=1
	v_and_b32_e32 v2, 7, v8
	v_lshrrev_b32_e32 v3, 3, v4
	s_mov_b32 s45, exec_lo
	v_cmpx_gt_u32_e32 8, v4
	s_cbranch_execz .LBB275_10
; %bb.526:                              ;   in Loop: Header=BB275_15 Depth=1
	v_clz_i32_u32_e32 v2, v2
	s_delay_alu instid0(VALU_DEP_1) | instskip(NEXT) | instid1(VALU_DEP_1)
	v_min_u32_e32 v4, 32, v2
	v_subrev_nc_u32_e32 v2, 28, v4
	s_delay_alu instid0(VALU_DEP_1) | instskip(NEXT) | instid1(VALU_DEP_1)
	v_lshlrev_b64_e32 v[2:3], v2, v[8:9]
	v_dual_sub_nc_u32 v3, 29, v4 :: v_dual_bitop2_b32 v2, 7, v2 bitop3:0x40
	s_branch .LBB275_10
.LBB275_527:
	s_or_b32 exec_lo, exec_lo, s15
.LBB275_528:
	s_delay_alu instid0(SALU_CYCLE_1) | instskip(SKIP_4) | instid1(VALU_DEP_1)
	s_or_b32 exec_lo, exec_lo, s24
	v_mbcnt_lo_u32_b32 v5, -1, 0
	s_clause 0x1
	s_load_b64 s[8:9], s[0:1], 0x0
	s_load_b64 s[24:25], s[0:1], 0x18
	v_dual_max_num_f32 v8, v94, v94 :: v_dual_bitop2_b32 v2, 16, v5 bitop3:0x14
	v_xor_b32_e32 v4, 8, v5
	s_delay_alu instid0(VALU_DEP_2) | instskip(SKIP_1) | instid1(VALU_DEP_3)
	v_cmp_gt_i32_e32 vcc_lo, 32, v2
	v_cndmask_b32_e32 v2, v5, v2, vcc_lo
	v_cmp_gt_i32_e32 vcc_lo, 32, v4
	s_delay_alu instid0(VALU_DEP_2) | instskip(SKIP_3) | instid1(VALU_DEP_1)
	v_dual_lshlrev_b32 v2, 2, v2 :: v_dual_cndmask_b32 v4, v5, v4, vcc_lo
	ds_bpermute_b32 v3, v2, v94
	s_wait_dscnt 0x0
	v_dual_max_num_f32 v9, v3, v3 :: v_dual_lshlrev_b32 v3, 2, v4
	v_max_num_f32_e32 v8, v8, v9
	v_xor_b32_e32 v9, 4, v5
	s_delay_alu instid0(VALU_DEP_1) | instskip(SKIP_4) | instid1(VALU_DEP_1)
	v_cmp_gt_i32_e32 vcc_lo, 32, v9
	v_cndmask_b32_e32 v9, v5, v9, vcc_lo
	ds_bpermute_b32 v4, v3, v8
	s_wait_dscnt 0x0
	v_dual_max_num_f32 v10, v4, v4 :: v_dual_lshlrev_b32 v4, 2, v9
	v_dual_max_num_f32 v8, v8, v10 :: v_dual_bitop2_b32 v10, 2, v5 bitop3:0x14
	ds_bpermute_b32 v9, v4, v8
	v_cmp_gt_i32_e32 vcc_lo, 32, v10
	s_wait_dscnt 0x0
	v_max_num_f32_e32 v9, v9, v9
	s_delay_alu instid0(VALU_DEP_1) | instskip(NEXT) | instid1(VALU_DEP_1)
	v_dual_cndmask_b32 v10, v5, v10, vcc_lo :: v_dual_max_num_f32 v8, v8, v9
	v_dual_lshlrev_b32 v30, 2, v10 :: v_dual_bitop2_b32 v10, 1, v5 bitop3:0x14
	ds_bpermute_b32 v9, v30, v8
	v_cmp_gt_i32_e32 vcc_lo, 32, v10
	s_wait_dscnt 0x0
	v_max_num_f32_e32 v9, v9, v9
	v_cndmask_b32_e32 v5, v5, v10, vcc_lo
	v_cmp_eq_u32_e32 vcc_lo, 0, v93
	s_delay_alu instid0(VALU_DEP_3) | instskip(NEXT) | instid1(VALU_DEP_3)
	v_max_num_f32_e32 v8, v8, v9
	v_dual_lshlrev_b32 v29, 2, v5 :: v_dual_lshlrev_b32 v5, 2, v92
	ds_bpermute_b32 v9, v29, v8
	s_wait_xcnt 0x0
	s_and_saveexec_b32 s0, vcc_lo
	s_cbranch_execz .LBB275_530
; %bb.529:
	s_wait_dscnt 0x0
	v_dual_max_num_f32 v9, v9, v9 :: v_dual_max_num_f32 v8, v8, v8
	s_delay_alu instid0(VALU_DEP_1)
	v_max_num_f32_e32 v8, v8, v9
	ds_store_b32 v5, v8 offset:128
.LBB275_530:
	s_or_b32 exec_lo, exec_lo, s0
	v_cmp_gt_u32_e64 s0, 4, v93
	v_mov_b32_e32 v8, 0xff7fffff
	s_wait_dscnt 0x0
	s_barrier_signal -1
	s_barrier_wait -1
	s_and_saveexec_b32 s1, s0
; %bb.531:
	ds_load_b32 v8, v7 offset:128
; %bb.532:
	s_or_b32 exec_lo, exec_lo, s1
	s_wait_dscnt 0x0
	ds_bpermute_b32 v9, v30, v8
	v_max_num_f32_e32 v8, v8, v8
	s_lshl_b32 s1, s36, 5
	s_delay_alu instid0(SALU_CYCLE_1) | instskip(NEXT) | instid1(SALU_CYCLE_1)
	s_min_i32 s4, s1, s34
	v_cmp_gt_i32_e64 s1, s4, v0
	s_wait_dscnt 0x0
	v_max_num_f32_e32 v9, v9, v9
	s_delay_alu instid0(VALU_DEP_1) | instskip(SKIP_3) | instid1(VALU_DEP_1)
	v_max_num_f32_e32 v8, v8, v9
	ds_bpermute_b32 v9, v29, v8
	s_wait_dscnt 0x0
	v_max_num_f32_e32 v9, v9, v9
	v_dual_max_num_f32 v9, v8, v9 :: v_dual_mov_b32 v8, 0
	ds_bpermute_b32 v9, v8, v9
	s_and_saveexec_b32 s15, s1
	s_cbranch_execz .LBB275_536
; %bb.533:
	v_lshl_add_u32 v10, v0, 2, 0xa0
	v_dual_mov_b32 v8, 0 :: v_dual_mov_b32 v11, v0
	s_mov_b32 s26, 0
.LBB275_534:                            ; =>This Inner Loop Header: Depth=1
	ds_load_b32 v12, v10
	v_add_nc_u32_e32 v11, 0x80, v11
	s_delay_alu instid0(VALU_DEP_1) | instskip(SKIP_3) | instid1(VALU_DEP_1)
	v_cmp_le_i32_e64 s3, s4, v11
	s_or_b32 s26, s3, s26
	s_wait_dscnt 0x0
	v_sub_f32_e32 v12, v12, v9
	v_mul_f32_e32 v12, 0x3fb8aa3b, v12
	s_delay_alu instid0(VALU_DEP_1)
	v_exp_f32_e32 v12, v12
	ds_store_b32 v10, v12
	v_nop
	v_add_f32_e32 v8, v8, v12
	v_add_nc_u32_e32 v10, 0x200, v10
	s_and_not1_b32 exec_lo, exec_lo, s26
	s_cbranch_execnz .LBB275_534
; %bb.535:
	s_or_b32 exec_lo, exec_lo, s26
.LBB275_536:
	s_delay_alu instid0(SALU_CYCLE_1)
	s_or_b32 exec_lo, exec_lo, s15
	ds_bpermute_b32 v2, v2, v8
	s_wait_dscnt 0x0
	v_add_f32_e32 v2, v8, v2
	ds_bpermute_b32 v3, v3, v2
	s_wait_dscnt 0x0
	v_add_f32_e32 v2, v2, v3
	;; [unrolled: 3-line block ×5, first 2 shown]
	s_and_saveexec_b32 s3, vcc_lo
; %bb.537:
	ds_store_b32 v5, v2 offset:144
; %bb.538:
	s_or_b32 exec_lo, exec_lo, s3
	s_wait_dscnt 0x0
	s_barrier_signal -1
	s_barrier_wait -1
	s_and_saveexec_b32 s3, s0
; %bb.539:
	ds_load_b32 v2, v7 offset:144
; %bb.540:
	s_or_b32 exec_lo, exec_lo, s3
	s_wait_dscnt 0x0
	ds_bpermute_b32 v3, v30, v2
	s_wait_dscnt 0x0
	v_add_f32_e32 v2, v2, v3
	ds_bpermute_b32 v3, v29, v2
	s_wait_dscnt 0x0
	v_dual_add_f32 v2, v2, v3 :: v_dual_mov_b32 v3, 0
	ds_bpermute_b32 v2, v3, v2
	s_and_saveexec_b32 s0, s1
	s_cbranch_execz .LBB275_553
; %bb.541:
	s_wait_dscnt 0x0
	v_add_f32_e32 v2, 0x358637bd, v2
	s_mov_b32 s3, -1
	s_mov_b32 s1, exec_lo
	s_delay_alu instid0(VALU_DEP_1) | instskip(NEXT) | instid1(VALU_DEP_1)
	v_div_scale_f32 v4, null, v2, v2, 1.0
	v_rcp_f32_e32 v7, v4
	v_nop
	s_delay_alu instid0(TRANS32_DEP_1) | instskip(NEXT) | instid1(VALU_DEP_1)
	v_fma_f32 v5, -v4, v7, 1.0
	v_fmac_f32_e32 v7, v5, v7
	v_div_scale_f32 v8, vcc_lo, 1.0, v2, 1.0
	s_delay_alu instid0(VALU_DEP_1) | instskip(NEXT) | instid1(VALU_DEP_1)
	v_mul_f32_e32 v9, v8, v7
	v_fma_f32 v5, -v4, v9, v8
	s_delay_alu instid0(VALU_DEP_1) | instskip(SKIP_1) | instid1(VALU_DEP_2)
	v_fmac_f32_e32 v9, v5, v7
	v_xad_u32 v5, v0, -1, s4
	v_fma_f32 v4, -v4, v9, v8
	s_delay_alu instid0(VALU_DEP_1) | instskip(NEXT) | instid1(VALU_DEP_1)
	v_div_fmas_f32 v4, v4, v7, v9
	v_div_fixup_f32 v4, v4, v2, 1.0
	v_mov_b32_e32 v2, v0
	v_cmpx_lt_u32_e32 0x7f, v5
	s_cbranch_execz .LBB275_550
; %bb.542:
	s_delay_alu instid0(VALU_DEP_3) | instskip(NEXT) | instid1(VALU_DEP_1)
	v_dual_mov_b32 v5, v4 :: v_dual_lshrrev_b32 v2, 7, v5
	v_dual_mov_b32 v10, 0 :: v_dual_add_nc_u32 v7, -1, v2
	s_delay_alu instid0(VALU_DEP_1) | instskip(SKIP_1) | instid1(VALU_DEP_2)
	v_lshrrev_b32_e32 v8, 1, v7
	v_cmp_lt_u32_e32 vcc_lo, 13, v7
	v_add_nc_u32_e32 v7, 1, v8
	s_and_saveexec_b32 s3, vcc_lo
	s_cbranch_execz .LBB275_546
; %bb.543:
	s_delay_alu instid0(VALU_DEP_1)
	v_and_b32_e32 v8, -8, v7
	v_lshl_add_u32 v9, v0, 2, 0xa0
	s_mov_b32 s15, 0
	s_mov_b32 s26, 0
.LBB275_544:                            ; =>This Inner Loop Header: Depth=1
	ds_load_2addr_stride64_b32 v[10:11], v9 offset1:2
	ds_load_2addr_stride64_b32 v[12:13], v9 offset0:4 offset1:6
	ds_load_2addr_stride64_b32 v[14:15], v9 offset0:8 offset1:10
	;; [unrolled: 1-line block ×7, first 2 shown]
	s_add_co_i32 s26, s26, 16
	v_add_nc_u32_e32 v8, -8, v8
	s_wait_dscnt 0x7
	v_pk_mul_f32 v[10:11], v[4:5], v[10:11]
	s_wait_dscnt 0x6
	v_pk_mul_f32 v[12:13], v[4:5], v[12:13]
	;; [unrolled: 2-line block ×8, first 2 shown]
	ds_store_2addr_stride64_b32 v9, v10, v11 offset1:2
	ds_store_2addr_stride64_b32 v9, v12, v13 offset0:4 offset1:6
	ds_store_2addr_stride64_b32 v9, v14, v15 offset0:8 offset1:10
	;; [unrolled: 1-line block ×7, first 2 shown]
	v_mov_b32_e32 v10, s26
	v_cmp_eq_u32_e32 vcc_lo, 0, v8
	v_add_nc_u32_e32 v9, 0x2000, v9
	s_or_b32 s15, vcc_lo, s15
	s_delay_alu instid0(SALU_CYCLE_1)
	s_and_not1_b32 exec_lo, exec_lo, s15
	s_cbranch_execnz .LBB275_544
; %bb.545:
	s_or_b32 exec_lo, exec_lo, s15
.LBB275_546:
	s_delay_alu instid0(SALU_CYCLE_1) | instskip(NEXT) | instid1(VALU_DEP_1)
	s_or_b32 exec_lo, exec_lo, s3
	v_and_b32_e32 v7, 7, v7
	s_mov_b32 s15, 0
	s_mov_b32 s3, exec_lo
	s_delay_alu instid0(VALU_DEP_1)
	v_cmpx_ne_u32_e32 0, v7
	s_cbranch_execz .LBB275_549
; %bb.547:
	v_dual_lshlrev_b32 v8, 9, v10 :: v_dual_lshlrev_b32 v9, 2, v0
	s_delay_alu instid0(VALU_DEP_1)
	v_add3_u32 v8, v8, v9, 0xa0
.LBB275_548:                            ; =>This Inner Loop Header: Depth=1
	ds_load_2addr_stride64_b32 v[10:11], v8 offset1:2
	v_add_nc_u32_e32 v7, -1, v7
	s_delay_alu instid0(VALU_DEP_1)
	v_cmp_eq_u32_e32 vcc_lo, 0, v7
	s_or_b32 s15, vcc_lo, s15
	s_wait_dscnt 0x0
	v_pk_mul_f32 v[10:11], v[4:5], v[10:11]
	ds_store_2addr_stride64_b32 v8, v10, v11 offset1:2
	v_add_nc_u32_e32 v8, 0x400, v8
	s_and_not1_b32 exec_lo, exec_lo, s15
	s_cbranch_execnz .LBB275_548
.LBB275_549:
	s_or_b32 exec_lo, exec_lo, s3
	v_add_nc_u32_e32 v2, 1, v2
	s_delay_alu instid0(VALU_DEP_1) | instskip(NEXT) | instid1(VALU_DEP_1)
	v_and_b32_e32 v5, 0x3fffffe, v2
	v_cmp_ne_u32_e32 vcc_lo, v2, v5
	v_lshl_add_u32 v2, v5, 7, v0
	s_or_not1_b32 s3, vcc_lo, exec_lo
.LBB275_550:
	s_or_b32 exec_lo, exec_lo, s1
	s_delay_alu instid0(SALU_CYCLE_1)
	s_and_b32 exec_lo, exec_lo, s3
	s_cbranch_execz .LBB275_553
; %bb.551:
	v_lshl_add_u32 v5, v2, 2, 0xa0
	s_mov_b32 s1, 0
.LBB275_552:                            ; =>This Inner Loop Header: Depth=1
	ds_load_b32 v7, v5
	s_wait_dscnt 0x0
	v_dual_mul_f32 v7, v4, v7 :: v_dual_add_nc_u32 v2, 0x80, v2
	s_delay_alu instid0(VALU_DEP_1) | instskip(SKIP_3) | instid1(SALU_CYCLE_1)
	v_cmp_le_i32_e32 vcc_lo, s4, v2
	ds_store_b32 v5, v7
	v_add_nc_u32_e32 v5, 0x200, v5
	s_or_b32 s1, vcc_lo, s1
	s_and_not1_b32 exec_lo, exec_lo, s1
	s_cbranch_execnz .LBB275_552
.LBB275_553:
	s_or_b32 exec_lo, exec_lo, s0
	s_wait_dscnt 0x0
	v_dual_mov_b32 v2, 0 :: v_dual_bitop2_b32 v31, 3, v0 bitop3:0x40
	v_dual_mov_b32 v5, 0 :: v_dual_mov_b32 v4, 0
	v_dual_mov_b32 v9, 0 :: v_dual_mov_b32 v8, 0
	;; [unrolled: 1-line block ×3, first 2 shown]
	s_barrier_signal -1
	s_barrier_wait -1
	s_and_saveexec_b32 s1, s2
	s_cbranch_execz .LBB275_1087
; %bb.554:
	s_abs_i32 s6, s6
	v_dual_mov_b32 v13, 0 :: v_dual_lshlrev_b32 v2, 3, v0
	s_cvt_f32_u32 s0, s6
	s_ashr_i32 s15, s14, 31
	s_delay_alu instid0(VALU_DEP_1) | instskip(NEXT) | instid1(SALU_CYCLE_1)
	v_dual_lshlrev_b32 v4, 5, v31 :: v_dual_bitop2_b32 v32, 24, v2 bitop3:0x40
	v_rcp_iflag_f32_e32 v3, s0
	v_and_b32_e32 v12, 0xf8, v2
	s_wait_kmcnt 0x0
	s_add_nc_u64 s[14:15], s[24:25], s[14:15]
	s_lshl_b64 s[22:23], s[22:23], 2
	s_sub_co_i32 s2, 0, s6
	v_dual_mov_b32 v10, 0 :: v_dual_mov_b32 v11, 0
	v_readfirstlane_b32 s0, v3
	v_add_nc_u64_e32 v[14:15], s[14:15], v[12:13]
	v_and_b32_e32 v12, 0x7c, v1
	v_lshl_or_b32 v3, v92, 7, v4
	s_add_nc_u64 s[14:15], s[20:21], s[22:23]
	s_mul_f32 s0, s0, 0x4f7ffffe
	v_mov_b32_e32 v34, v92
	v_add_nc_u64_e32 v[16:17], s[14:15], v[12:13]
	v_add_nc_u32_e32 v33, 0xa0, v3
	s_cvt_u32_f32 s0, s0
	v_dual_mov_b32 v8, 0 :: v_dual_mov_b32 v9, 0
	v_dual_mov_b32 v4, 0 :: v_dual_mov_b32 v5, 0
	s_delay_alu instid0(SALU_CYCLE_1)
	s_mul_i32 s2, s2, s0
	v_dual_mov_b32 v2, 0 :: v_dual_mov_b32 v3, 0
	s_mov_b32 s3, 0
	s_mul_hi_u32 s2, s0, s2
	s_sub_co_i32 s26, s37, s5
	s_add_co_i32 s27, s36, -1
	s_mov_b64 s[4:5], 0xffffffffffffff
	s_mov_b32 s14, s34
	s_add_co_i32 s2, s0, s2
	s_mov_b32 s15, s3
	s_branch .LBB275_557
.LBB275_555:                            ;   in Loop: Header=BB275_557 Depth=1
	s_or_b32 exec_lo, exec_lo, s0
	v_dual_add_f32 v19, v43, v44 :: v_dual_add_f32 v21, v57, v58
	v_add_f32_e32 v20, v59, v60
	;;#ASMSTART
	v_pk_mul_f16 v7, v49, v7;

	;;#ASMEND
	;;#ASMSTART
	v_pk_mul_f16 v18, v47, v18;

	;;#ASMEND
	;; [unrolled: 4-line block ×4, first 2 shown]
	;;#ASMSTART
	v_pk_add_f16 v7, v7, v18;

	;;#ASMEND
	;;#ASMSTART
	v_pk_add_f16 v1, v7, v1;

	;;#ASMEND
	;; [unrolled: 4-line block ×3, first 2 shown]
	v_and_b32_e32 v18, 0xffff, v1
	v_dual_add_f32 v2, v2, v19 :: v_dual_add_f32 v5, v5, v20
	v_dual_add_f32 v4, v4, v21 :: v_dual_add_f32 v19, v55, v56
	v_lshrrev_b32_e32 v20, 16, v1
	;;#ASMSTART
	v_cvt_f32_f16 v18, v18;
	;;#ASMEND
	v_dual_add_f32 v1, v53, v54 :: v_dual_add_f32 v7, v51, v52
	;;#ASMSTART
	v_cvt_f32_f16 v20, v20;
	;;#ASMEND
	s_delay_alu instid0(VALU_DEP_2) | instskip(NEXT) | instid1(VALU_DEP_2)
	v_dual_add_f32 v12, v48, v50 :: v_dual_add_f32 v18, v18, v20
	v_dual_add_f32 v9, v9, v19 :: v_dual_add_f32 v8, v8, v1
	s_delay_alu instid0(VALU_DEP_2) | instskip(NEXT) | instid1(VALU_DEP_3)
	v_dual_add_f32 v11, v11, v7 :: v_dual_add_f32 v10, v10, v12
	v_add_f32_e32 v3, v3, v18
.LBB275_556:                            ;   in Loop: Header=BB275_557 Depth=1
	s_or_b32 exec_lo, exec_lo, s20
	v_add_nc_u32_e32 v34, 4, v34
	v_add_nc_u64_e32 v[16:17], 16, v[16:17]
	v_add_nc_u32_e32 v6, 0x80, v6
	v_add_nc_u32_e32 v33, 0x200, v33
	s_delay_alu instid0(VALU_DEP_4) | instskip(SKIP_1) | instid1(SALU_CYCLE_1)
	v_cmp_le_i32_e32 vcc_lo, s36, v34
	s_or_b32 s15, vcc_lo, s15
	s_and_not1_b32 exec_lo, exec_lo, s15
	s_cbranch_execz .LBB275_1086
.LBB275_557:                            ; =>This Inner Loop Header: Depth=1
	v_mov_b32_e32 v7, v13
	s_delay_alu instid0(VALU_DEP_1) | instskip(NEXT) | instid1(VALU_DEP_1)
	v_mul_u64_e32 v[18:19], s[18:19], v[6:7]
	v_mul_lo_u32 v1, v19, s12
	s_delay_alu instid0(VALU_DEP_1) | instskip(NEXT) | instid1(VALU_DEP_1)
	v_sub_nc_u32_e32 v1, v6, v1
	v_subrev_nc_u32_e32 v12, s12, v1
	v_cmp_le_u32_e32 vcc_lo, s12, v1
	s_delay_alu instid0(VALU_DEP_2) | instskip(NEXT) | instid1(VALU_DEP_1)
	v_dual_add_nc_u32 v7, 1, v19 :: v_dual_cndmask_b32 v1, v1, v12, vcc_lo
	v_cndmask_b32_e32 v7, v19, v7, vcc_lo
	s_delay_alu instid0(VALU_DEP_2) | instskip(NEXT) | instid1(VALU_DEP_2)
	v_cmp_le_u32_e32 vcc_lo, s12, v1
	v_add_nc_u32_e32 v12, 1, v7
	s_delay_alu instid0(VALU_DEP_1) | instskip(NEXT) | instid1(VALU_DEP_1)
	v_cndmask_b32_e32 v1, v7, v12, vcc_lo
	v_xor_b32_e32 v1, s35, v1
	s_delay_alu instid0(VALU_DEP_1) | instskip(NEXT) | instid1(VALU_DEP_1)
	v_subrev_nc_u32_e32 v1, s35, v1
	v_add_nc_u32_e32 v7, s17, v1
	v_cmp_lt_i32_e64 s0, s26, v1
	s_delay_alu instid0(VALU_DEP_2) | instskip(NEXT) | instid1(VALU_DEP_1)
	v_sub_nc_u32_e32 v12, 0, v7
	v_dual_ashrrev_i32 v7, 31, v7 :: v_dual_max_i32 v12, v7, v12
	s_delay_alu instid0(VALU_DEP_1) | instskip(NEXT) | instid1(VALU_DEP_1)
	v_mul_u64_e32 v[18:19], s[2:3], v[12:13]
	v_mul_lo_u32 v18, v19, s6
	s_delay_alu instid0(VALU_DEP_1) | instskip(NEXT) | instid1(VALU_DEP_1)
	v_sub_nc_u32_e32 v12, v12, v18
	v_subrev_nc_u32_e32 v18, s6, v12
	v_cmp_le_u32_e32 vcc_lo, s6, v12
	s_delay_alu instid0(VALU_DEP_2) | instskip(NEXT) | instid1(VALU_DEP_1)
	v_cndmask_b32_e32 v12, v12, v18, vcc_lo
	v_subrev_nc_u32_e32 v18, s6, v12
	v_cmp_le_u32_e32 vcc_lo, s6, v12
	s_delay_alu instid0(VALU_DEP_2) | instskip(NEXT) | instid1(VALU_DEP_1)
	v_cndmask_b32_e32 v12, v12, v18, vcc_lo
	v_xor_b32_e32 v12, v12, v7
	s_delay_alu instid0(VALU_DEP_1) | instskip(NEXT) | instid1(VALU_DEP_1)
	v_sub_nc_u32_e32 v7, v12, v7
	v_cmp_eq_u32_e32 vcc_lo, 0, v7
	s_or_b32 s0, vcc_lo, s0
	s_delay_alu instid0(SALU_CYCLE_1)
	s_and_saveexec_b32 s20, s0
	s_cbranch_execz .LBB275_556
; %bb.558:                              ;   in Loop: Header=BB275_557 Depth=1
	global_load_b32 v1, v[16:17], off
	ds_load_2addr_b64 v[20:23], v33 offset1:1
	ds_load_2addr_b64 v[24:27], v33 offset0:2 offset1:3
	s_mov_b32 s0, exec_lo
	s_wait_dscnt 0x1
	;;#ASMSTART
	v_cvt_f16_f32 v46, v20;

	;;#ASMEND
	;;#ASMSTART
	v_cvt_f16_f32 v43, v21;

	;;#ASMEND
	;; [unrolled: 4-line block ×4, first 2 shown]
	s_wait_dscnt 0x0
	;;#ASMSTART
	v_cvt_f16_f32 v49, v24;

	;;#ASMEND
	;;#ASMSTART
	v_cvt_f16_f32 v45, v25;

	;;#ASMEND
	;; [unrolled: 4-line block ×4, first 2 shown]
	v_mov_b32_e32 v7, 0
	s_wait_loadcnt 0x0
	v_mad_nc_i64_i32 v[18:19], v1, s13, v[14:15]
	v_mov_b32_e32 v1, 0
	global_load_b32 v20, v1, s[10:11]
	global_load_b64 v[22:23], v[18:19], off
	s_wait_loadcnt 0x0
	v_and_b32_e32 v12, 0xff, v22
	s_delay_alu instid0(VALU_DEP_1)
	v_cmpx_ne_u16_e32 0, v12
	s_cbranch_execz .LBB275_566
; %bb.559:                              ;   in Loop: Header=BB275_557 Depth=1
	v_mov_b32_e32 v7, 0x8000
	s_mov_b32 s21, exec_lo
	v_cmpx_ne_u16_e32 0x80, v12
	s_cbranch_execz .LBB275_565
; %bb.560:                              ;   in Loop: Header=BB275_557 Depth=1
	v_and_b32_e32 v21, 0x7f, v22
	v_mov_b32_e32 v7, 0x7c01
	s_mov_b32 s22, exec_lo
	s_delay_alu instid0(VALU_DEP_2)
	v_cmpx_ne_u32_e32 0x7f, v21
	s_cbranch_execz .LBB275_564
; %bb.561:                              ;   in Loop: Header=BB275_557 Depth=1
	v_dual_lshrrev_b32 v12, 3, v21 :: v_dual_bitop2_b32 v7, 7, v22 bitop3:0x40
	s_mov_b32 s23, exec_lo
	v_cmpx_gt_u32_e32 8, v21
; %bb.562:                              ;   in Loop: Header=BB275_557 Depth=1
	s_delay_alu instid0(VALU_DEP_2) | instskip(NEXT) | instid1(VALU_DEP_1)
	v_clz_i32_u32_e32 v7, v7
	v_min_u32_e32 v7, 32, v7
	s_delay_alu instid0(VALU_DEP_1) | instskip(NEXT) | instid1(VALU_DEP_1)
	v_subrev_nc_u32_e32 v12, 28, v7
	v_lshlrev_b64_e32 v[24:25], v12, v[22:23]
	s_delay_alu instid0(VALU_DEP_1)
	v_dual_sub_nc_u32 v12, 29, v7 :: v_dual_bitop2_b32 v7, 7, v24 bitop3:0x40
; %bb.563:                              ;   in Loop: Header=BB275_557 Depth=1
	s_or_b32 exec_lo, exec_lo, s23
	s_delay_alu instid0(VALU_DEP_1) | instskip(NEXT) | instid1(VALU_DEP_2)
	v_dual_lshlrev_b32 v21, 8, v22 :: v_dual_lshlrev_b32 v7, 7, v7
	v_lshl_add_u32 v12, v12, 10, 0x2000
	s_delay_alu instid0(VALU_DEP_2) | instskip(NEXT) | instid1(VALU_DEP_2)
	v_and_b32_e32 v21, 0x8000, v21
	v_and_b32_e32 v12, 0xfc00, v12
	s_delay_alu instid0(VALU_DEP_1)
	v_or3_b32 v7, v21, v12, v7
.LBB275_564:                            ;   in Loop: Header=BB275_557 Depth=1
	s_or_b32 exec_lo, exec_lo, s22
.LBB275_565:                            ;   in Loop: Header=BB275_557 Depth=1
	s_delay_alu instid0(SALU_CYCLE_1)
	s_or_b32 exec_lo, exec_lo, s21
.LBB275_566:                            ;   in Loop: Header=BB275_557 Depth=1
	s_delay_alu instid0(SALU_CYCLE_1) | instskip(SKIP_2) | instid1(VALU_DEP_1)
	s_or_b32 exec_lo, exec_lo, s0
	v_lshrrev_b16 v12, 8, v22
	s_mov_b32 s0, exec_lo
	v_cmpx_ne_u16_e32 0, v12
	s_cbranch_execz .LBB275_574
; %bb.567:                              ;   in Loop: Header=BB275_557 Depth=1
	v_bfrev_b32_e32 v1, 1
	s_mov_b32 s21, exec_lo
	v_cmpx_ne_u16_e32 0x80, v12
	s_cbranch_execz .LBB275_573
; %bb.568:                              ;   in Loop: Header=BB275_557 Depth=1
	v_and_b32_e32 v21, 0xffff, v12
	v_mov_b32_e32 v1, 0x7c010000
	s_mov_b32 s22, exec_lo
	s_delay_alu instid0(VALU_DEP_2) | instskip(NEXT) | instid1(VALU_DEP_1)
	v_and_b32_e32 v25, 0x7f, v21
	v_cmpx_ne_u32_e32 0x7f, v25
	s_cbranch_execz .LBB275_572
; %bb.569:                              ;   in Loop: Header=BB275_557 Depth=1
	v_and_b32_e32 v1, 7, v21
	v_lshrrev_b32_e32 v24, 3, v25
	s_mov_b32 s23, exec_lo
	v_cmpx_gt_u32_e32 8, v25
; %bb.570:                              ;   in Loop: Header=BB275_557 Depth=1
	s_delay_alu instid0(VALU_DEP_3) | instskip(NEXT) | instid1(VALU_DEP_1)
	v_clz_i32_u32_e32 v1, v1
	v_min_u32_e32 v1, 32, v1
	s_delay_alu instid0(VALU_DEP_1) | instskip(NEXT) | instid1(VALU_DEP_1)
	v_subrev_nc_u32_e32 v24, 28, v1
	v_lshlrev_b64_e32 v[26:27], v24, v[12:13]
	s_delay_alu instid0(VALU_DEP_1)
	v_dual_sub_nc_u32 v24, 29, v1 :: v_dual_bitop2_b32 v1, 7, v26 bitop3:0x40
; %bb.571:                              ;   in Loop: Header=BB275_557 Depth=1
	s_or_b32 exec_lo, exec_lo, s23
	v_lshlrev_b32_e32 v12, 8, v21
	s_delay_alu instid0(VALU_DEP_2) | instskip(NEXT) | instid1(VALU_DEP_3)
	v_lshl_add_u32 v21, v24, 10, 0x2000
	v_lshlrev_b32_e32 v1, 23, v1
	s_delay_alu instid0(VALU_DEP_2) | instskip(NEXT) | instid1(VALU_DEP_1)
	v_and_or_b32 v12, 0x8000, v12, v21
	v_lshl_or_b32 v1, v12, 16, v1
.LBB275_572:                            ;   in Loop: Header=BB275_557 Depth=1
	s_or_b32 exec_lo, exec_lo, s22
.LBB275_573:                            ;   in Loop: Header=BB275_557 Depth=1
	s_delay_alu instid0(SALU_CYCLE_1)
	s_or_b32 exec_lo, exec_lo, s21
.LBB275_574:                            ;   in Loop: Header=BB275_557 Depth=1
	s_delay_alu instid0(SALU_CYCLE_1) | instskip(SKIP_3) | instid1(VALU_DEP_2)
	s_or_b32 exec_lo, exec_lo, s0
	v_dual_mov_b32 v21, 0 :: v_dual_lshrrev_b32 v12, 16, v22
	v_mov_b32_e32 v24, 0
	s_mov_b32 s0, exec_lo
	v_and_b32_e32 v25, 0xff, v12
	s_delay_alu instid0(VALU_DEP_1)
	v_cmpx_ne_u16_e32 0, v25
	s_cbranch_execz .LBB275_582
; %bb.575:                              ;   in Loop: Header=BB275_557 Depth=1
	v_mov_b32_e32 v24, 0x8000
	s_mov_b32 s21, exec_lo
	v_cmpx_ne_u16_e32 0x80, v25
	s_cbranch_execz .LBB275_581
; %bb.576:                              ;   in Loop: Header=BB275_557 Depth=1
	v_bfe_u32 v26, v22, 16, 7
	v_mov_b32_e32 v24, 0x7c01
	s_mov_b32 s22, exec_lo
	s_delay_alu instid0(VALU_DEP_2)
	v_cmpx_ne_u32_e32 0x7f, v26
	s_cbranch_execz .LBB275_580
; %bb.577:                              ;   in Loop: Header=BB275_557 Depth=1
	v_dual_lshrrev_b32 v25, 3, v26 :: v_dual_bitop2_b32 v24, 7, v12 bitop3:0x40
	s_mov_b32 s23, exec_lo
	v_cmpx_gt_u32_e32 8, v26
; %bb.578:                              ;   in Loop: Header=BB275_557 Depth=1
	s_delay_alu instid0(VALU_DEP_2) | instskip(NEXT) | instid1(VALU_DEP_1)
	v_clz_i32_u32_e32 v24, v24
	v_min_u32_e32 v26, 32, v24
	s_delay_alu instid0(VALU_DEP_1) | instskip(NEXT) | instid1(VALU_DEP_1)
	v_subrev_nc_u32_e32 v24, 28, v26
	v_lshlrev_b64_e32 v[24:25], v24, v[12:13]
	s_delay_alu instid0(VALU_DEP_1)
	v_dual_sub_nc_u32 v25, 29, v26 :: v_dual_bitop2_b32 v24, 7, v24 bitop3:0x40
; %bb.579:                              ;   in Loop: Header=BB275_557 Depth=1
	s_or_b32 exec_lo, exec_lo, s23
	v_lshlrev_b32_e32 v12, 8, v12
	s_delay_alu instid0(VALU_DEP_2) | instskip(NEXT) | instid1(VALU_DEP_3)
	v_lshl_add_u32 v25, v25, 10, 0x2000
	v_lshlrev_b32_e32 v24, 7, v24
	s_delay_alu instid0(VALU_DEP_3) | instskip(NEXT) | instid1(VALU_DEP_3)
	v_and_b32_e32 v12, 0x8000, v12
	v_and_b32_e32 v25, 0xfc00, v25
	s_delay_alu instid0(VALU_DEP_1)
	v_or3_b32 v24, v12, v25, v24
.LBB275_580:                            ;   in Loop: Header=BB275_557 Depth=1
	s_or_b32 exec_lo, exec_lo, s22
.LBB275_581:                            ;   in Loop: Header=BB275_557 Depth=1
	s_delay_alu instid0(SALU_CYCLE_1)
	s_or_b32 exec_lo, exec_lo, s21
.LBB275_582:                            ;   in Loop: Header=BB275_557 Depth=1
	s_delay_alu instid0(SALU_CYCLE_1) | instskip(NEXT) | instid1(SALU_CYCLE_1)
	s_or_b32 exec_lo, exec_lo, s0
	s_mov_b32 s0, exec_lo
	v_cmpx_lt_u32_e32 0xffffff, v22
	s_cbranch_execz .LBB275_590
; %bb.583:                              ;   in Loop: Header=BB275_557 Depth=1
	v_lshrrev_b32_e32 v12, 24, v22
	v_bfrev_b32_e32 v21, 1
	s_mov_b32 s21, exec_lo
	s_delay_alu instid0(VALU_DEP_2)
	v_cmpx_ne_u32_e32 0x80, v12
	s_cbranch_execz .LBB275_589
; %bb.584:                              ;   in Loop: Header=BB275_557 Depth=1
	v_and_b32_e32 v26, 0x7f, v12
	v_mov_b32_e32 v21, 0x7c010000
	s_mov_b32 s22, exec_lo
	s_delay_alu instid0(VALU_DEP_2)
	v_cmpx_ne_u32_e32 0x7f, v26
	s_cbranch_execz .LBB275_588
; %bb.585:                              ;   in Loop: Header=BB275_557 Depth=1
	v_dual_lshrrev_b32 v25, 3, v26 :: v_dual_bitop2_b32 v21, 7, v12 bitop3:0x40
	s_mov_b32 s23, exec_lo
	v_cmpx_gt_u32_e32 8, v26
; %bb.586:                              ;   in Loop: Header=BB275_557 Depth=1
	s_delay_alu instid0(VALU_DEP_2) | instskip(NEXT) | instid1(VALU_DEP_1)
	v_clz_i32_u32_e32 v21, v21
	v_min_u32_e32 v21, 32, v21
	s_delay_alu instid0(VALU_DEP_1) | instskip(NEXT) | instid1(VALU_DEP_1)
	v_subrev_nc_u32_e32 v25, 28, v21
	v_lshlrev_b64_e32 v[26:27], v25, v[12:13]
	s_delay_alu instid0(VALU_DEP_1)
	v_dual_sub_nc_u32 v25, 29, v21 :: v_dual_bitop2_b32 v21, 7, v26 bitop3:0x40
; %bb.587:                              ;   in Loop: Header=BB275_557 Depth=1
	s_or_b32 exec_lo, exec_lo, s23
	s_delay_alu instid0(VALU_DEP_1) | instskip(NEXT) | instid1(VALU_DEP_2)
	v_dual_lshlrev_b32 v12, 8, v12 :: v_dual_lshlrev_b32 v21, 23, v21
	v_lshl_add_u32 v25, v25, 10, 0x2000
	s_delay_alu instid0(VALU_DEP_1) | instskip(NEXT) | instid1(VALU_DEP_1)
	v_and_or_b32 v12, 0x8000, v12, v25
	v_lshl_or_b32 v21, v12, 16, v21
.LBB275_588:                            ;   in Loop: Header=BB275_557 Depth=1
	s_or_b32 exec_lo, exec_lo, s22
.LBB275_589:                            ;   in Loop: Header=BB275_557 Depth=1
	s_delay_alu instid0(SALU_CYCLE_1)
	s_or_b32 exec_lo, exec_lo, s21
.LBB275_590:                            ;   in Loop: Header=BB275_557 Depth=1
	s_delay_alu instid0(SALU_CYCLE_1) | instskip(SKIP_4) | instid1(VALU_DEP_3)
	s_or_b32 exec_lo, exec_lo, s0
	v_and_b32_e32 v27, 0xff, v23
	v_dual_mov_b32 v12, v23 :: v_dual_mov_b32 v26, 0
	v_mov_b32_e32 v25, 0
	s_mov_b32 s0, exec_lo
	v_cmpx_ne_u16_e32 0, v27
	s_cbranch_execz .LBB275_598
; %bb.591:                              ;   in Loop: Header=BB275_557 Depth=1
	v_mov_b32_e32 v25, 0x8000
	s_mov_b32 s21, exec_lo
	v_cmpx_ne_u16_e32 0x80, v27
	s_cbranch_execz .LBB275_597
; %bb.592:                              ;   in Loop: Header=BB275_557 Depth=1
	v_and_b32_e32 v28, 0x7f, v23
	v_mov_b32_e32 v25, 0x7c01
	s_mov_b32 s22, exec_lo
	s_delay_alu instid0(VALU_DEP_2)
	v_cmpx_ne_u32_e32 0x7f, v28
	s_cbranch_execz .LBB275_596
; %bb.593:                              ;   in Loop: Header=BB275_557 Depth=1
	v_dual_lshrrev_b32 v27, 3, v28 :: v_dual_bitop2_b32 v25, 7, v23 bitop3:0x40
	s_mov_b32 s23, exec_lo
	v_cmpx_gt_u32_e32 8, v28
; %bb.594:                              ;   in Loop: Header=BB275_557 Depth=1
	s_delay_alu instid0(VALU_DEP_2) | instskip(NEXT) | instid1(VALU_DEP_1)
	v_clz_i32_u32_e32 v25, v25
	v_min_u32_e32 v25, 32, v25
	s_delay_alu instid0(VALU_DEP_1) | instskip(NEXT) | instid1(VALU_DEP_1)
	v_subrev_nc_u32_e32 v27, 28, v25
	v_lshlrev_b64_e32 v[36:37], v27, v[12:13]
	s_delay_alu instid0(VALU_DEP_1)
	v_dual_sub_nc_u32 v27, 29, v25 :: v_dual_bitop2_b32 v25, 7, v36 bitop3:0x40
; %bb.595:                              ;   in Loop: Header=BB275_557 Depth=1
	s_or_b32 exec_lo, exec_lo, s23
	s_delay_alu instid0(VALU_DEP_1) | instskip(NEXT) | instid1(VALU_DEP_2)
	v_dual_lshlrev_b32 v28, 8, v23 :: v_dual_lshlrev_b32 v25, 7, v25
	v_lshl_add_u32 v27, v27, 10, 0x2000
	s_delay_alu instid0(VALU_DEP_2) | instskip(NEXT) | instid1(VALU_DEP_2)
	v_and_b32_e32 v28, 0x8000, v28
	v_and_b32_e32 v27, 0xfc00, v27
	s_delay_alu instid0(VALU_DEP_1)
	v_or3_b32 v25, v28, v27, v25
.LBB275_596:                            ;   in Loop: Header=BB275_557 Depth=1
	s_or_b32 exec_lo, exec_lo, s22
.LBB275_597:                            ;   in Loop: Header=BB275_557 Depth=1
	s_delay_alu instid0(SALU_CYCLE_1)
	s_or_b32 exec_lo, exec_lo, s21
.LBB275_598:                            ;   in Loop: Header=BB275_557 Depth=1
	s_delay_alu instid0(SALU_CYCLE_1) | instskip(SKIP_3) | instid1(VALU_DEP_2)
	s_or_b32 exec_lo, exec_lo, s0
	v_lshrrev_b16 v12, 8, v12
	v_mov_b32_e32 v27, 0
	s_mov_b32 s0, exec_lo
	v_cmpx_ne_u16_e32 0, v12
	s_cbranch_execz .LBB275_606
; %bb.599:                              ;   in Loop: Header=BB275_557 Depth=1
	v_bfrev_b32_e32 v27, 1
	s_mov_b32 s21, exec_lo
	v_cmpx_ne_u16_e32 0x80, v12
	s_cbranch_execz .LBB275_605
; %bb.600:                              ;   in Loop: Header=BB275_557 Depth=1
	v_and_b32_e32 v28, 0xffff, v12
	v_mov_b32_e32 v27, 0x7c010000
	s_mov_b32 s22, exec_lo
	s_delay_alu instid0(VALU_DEP_2) | instskip(NEXT) | instid1(VALU_DEP_1)
	v_and_b32_e32 v36, 0x7f, v28
	v_cmpx_ne_u32_e32 0x7f, v36
	s_cbranch_execz .LBB275_604
; %bb.601:                              ;   in Loop: Header=BB275_557 Depth=1
	v_and_b32_e32 v27, 7, v28
	v_lshrrev_b32_e32 v35, 3, v36
	s_mov_b32 s23, exec_lo
	v_cmpx_gt_u32_e32 8, v36
; %bb.602:                              ;   in Loop: Header=BB275_557 Depth=1
	s_delay_alu instid0(VALU_DEP_3) | instskip(NEXT) | instid1(VALU_DEP_1)
	v_clz_i32_u32_e32 v27, v27
	v_min_u32_e32 v27, 32, v27
	s_delay_alu instid0(VALU_DEP_1) | instskip(NEXT) | instid1(VALU_DEP_1)
	v_subrev_nc_u32_e32 v35, 28, v27
	v_lshlrev_b64_e32 v[36:37], v35, v[12:13]
	s_delay_alu instid0(VALU_DEP_1)
	v_dual_sub_nc_u32 v35, 29, v27 :: v_dual_bitop2_b32 v27, 7, v36 bitop3:0x40
; %bb.603:                              ;   in Loop: Header=BB275_557 Depth=1
	s_or_b32 exec_lo, exec_lo, s23
	s_delay_alu instid0(VALU_DEP_1) | instskip(NEXT) | instid1(VALU_DEP_2)
	v_dual_lshlrev_b32 v12, 8, v28 :: v_dual_lshlrev_b32 v27, 23, v27
	v_lshl_add_u32 v28, v35, 10, 0x2000
	s_delay_alu instid0(VALU_DEP_1) | instskip(NEXT) | instid1(VALU_DEP_1)
	v_and_or_b32 v12, 0x8000, v12, v28
	v_lshl_or_b32 v27, v12, 16, v27
.LBB275_604:                            ;   in Loop: Header=BB275_557 Depth=1
	s_or_b32 exec_lo, exec_lo, s22
.LBB275_605:                            ;   in Loop: Header=BB275_557 Depth=1
	s_delay_alu instid0(SALU_CYCLE_1)
	s_or_b32 exec_lo, exec_lo, s21
.LBB275_606:                            ;   in Loop: Header=BB275_557 Depth=1
	s_delay_alu instid0(SALU_CYCLE_1) | instskip(SKIP_2) | instid1(VALU_DEP_1)
	s_or_b32 exec_lo, exec_lo, s0
	v_lshrrev_b32_e32 v12, 16, v23
	s_mov_b32 s0, exec_lo
	v_and_b32_e32 v28, 0xff, v12
	s_delay_alu instid0(VALU_DEP_1)
	v_cmpx_ne_u16_e32 0, v28
	s_cbranch_execz .LBB275_614
; %bb.607:                              ;   in Loop: Header=BB275_557 Depth=1
	v_mov_b32_e32 v26, 0x8000
	s_mov_b32 s21, exec_lo
	v_cmpx_ne_u16_e32 0x80, v28
	s_cbranch_execz .LBB275_613
; %bb.608:                              ;   in Loop: Header=BB275_557 Depth=1
	v_bfe_u32 v35, v23, 16, 7
	v_mov_b32_e32 v26, 0x7c01
	s_mov_b32 s22, exec_lo
	s_delay_alu instid0(VALU_DEP_2)
	v_cmpx_ne_u32_e32 0x7f, v35
	s_cbranch_execz .LBB275_612
; %bb.609:                              ;   in Loop: Header=BB275_557 Depth=1
	v_dual_lshrrev_b32 v28, 3, v35 :: v_dual_bitop2_b32 v26, 7, v12 bitop3:0x40
	s_mov_b32 s23, exec_lo
	v_cmpx_gt_u32_e32 8, v35
; %bb.610:                              ;   in Loop: Header=BB275_557 Depth=1
	s_delay_alu instid0(VALU_DEP_2) | instskip(NEXT) | instid1(VALU_DEP_1)
	v_clz_i32_u32_e32 v26, v26
	v_min_u32_e32 v26, 32, v26
	s_delay_alu instid0(VALU_DEP_1) | instskip(NEXT) | instid1(VALU_DEP_1)
	v_subrev_nc_u32_e32 v28, 28, v26
	v_lshlrev_b64_e32 v[36:37], v28, v[12:13]
	s_delay_alu instid0(VALU_DEP_1)
	v_dual_sub_nc_u32 v28, 29, v26 :: v_dual_bitop2_b32 v26, 7, v36 bitop3:0x40
; %bb.611:                              ;   in Loop: Header=BB275_557 Depth=1
	s_or_b32 exec_lo, exec_lo, s23
	s_delay_alu instid0(VALU_DEP_1) | instskip(NEXT) | instid1(VALU_DEP_2)
	v_dual_lshlrev_b32 v12, 8, v12 :: v_dual_lshlrev_b32 v26, 7, v26
	v_lshl_add_u32 v28, v28, 10, 0x2000
	s_delay_alu instid0(VALU_DEP_2) | instskip(NEXT) | instid1(VALU_DEP_2)
	v_and_b32_e32 v12, 0x8000, v12
	v_and_b32_e32 v28, 0xfc00, v28
	s_delay_alu instid0(VALU_DEP_1)
	v_or3_b32 v26, v12, v28, v26
.LBB275_612:                            ;   in Loop: Header=BB275_557 Depth=1
	s_or_b32 exec_lo, exec_lo, s22
.LBB275_613:                            ;   in Loop: Header=BB275_557 Depth=1
	s_delay_alu instid0(SALU_CYCLE_1)
	s_or_b32 exec_lo, exec_lo, s21
.LBB275_614:                            ;   in Loop: Header=BB275_557 Depth=1
	s_delay_alu instid0(SALU_CYCLE_1)
	s_or_b32 exec_lo, exec_lo, s0
	v_cmp_lt_u64_e32 vcc_lo, s[4:5], v[22:23]
	v_mov_b32_e32 v22, 0
	s_and_saveexec_b32 s0, vcc_lo
	s_cbranch_execz .LBB275_622
; %bb.615:                              ;   in Loop: Header=BB275_557 Depth=1
	v_lshrrev_b32_e32 v12, 24, v23
	v_bfrev_b32_e32 v22, 1
	s_mov_b32 s21, exec_lo
	s_delay_alu instid0(VALU_DEP_2)
	v_cmpx_ne_u32_e32 0x80, v12
	s_cbranch_execz .LBB275_621
; %bb.616:                              ;   in Loop: Header=BB275_557 Depth=1
	v_and_b32_e32 v28, 0x7f, v12
	v_mov_b32_e32 v22, 0x7c010000
	s_mov_b32 s22, exec_lo
	s_delay_alu instid0(VALU_DEP_2)
	v_cmpx_ne_u32_e32 0x7f, v28
	s_cbranch_execz .LBB275_620
; %bb.617:                              ;   in Loop: Header=BB275_557 Depth=1
	v_and_b32_e32 v22, 7, v12
	v_lshrrev_b32_e32 v23, 3, v28
	s_mov_b32 s23, exec_lo
	v_cmpx_gt_u32_e32 8, v28
; %bb.618:                              ;   in Loop: Header=BB275_557 Depth=1
	s_delay_alu instid0(VALU_DEP_3) | instskip(NEXT) | instid1(VALU_DEP_1)
	v_clz_i32_u32_e32 v22, v22
	v_min_u32_e32 v28, 32, v22
	s_delay_alu instid0(VALU_DEP_1) | instskip(NEXT) | instid1(VALU_DEP_1)
	v_subrev_nc_u32_e32 v22, 28, v28
	v_lshlrev_b64_e32 v[22:23], v22, v[12:13]
	s_delay_alu instid0(VALU_DEP_1)
	v_dual_sub_nc_u32 v23, 29, v28 :: v_dual_bitop2_b32 v22, 7, v22 bitop3:0x40
; %bb.619:                              ;   in Loop: Header=BB275_557 Depth=1
	s_or_b32 exec_lo, exec_lo, s23
	s_delay_alu instid0(VALU_DEP_1) | instskip(NEXT) | instid1(VALU_DEP_2)
	v_dual_lshlrev_b32 v12, 8, v12 :: v_dual_lshlrev_b32 v22, 23, v22
	v_lshl_add_u32 v23, v23, 10, 0x2000
	s_delay_alu instid0(VALU_DEP_1) | instskip(NEXT) | instid1(VALU_DEP_1)
	v_and_or_b32 v12, 0x8000, v12, v23
	v_lshl_or_b32 v22, v12, 16, v22
.LBB275_620:                            ;   in Loop: Header=BB275_557 Depth=1
	s_or_b32 exec_lo, exec_lo, s22
.LBB275_621:                            ;   in Loop: Header=BB275_557 Depth=1
	s_delay_alu instid0(SALU_CYCLE_1)
	s_or_b32 exec_lo, exec_lo, s21
.LBB275_622:                            ;   in Loop: Header=BB275_557 Depth=1
	s_delay_alu instid0(SALU_CYCLE_1) | instskip(SKIP_3) | instid1(VALU_DEP_3)
	s_or_b32 exec_lo, exec_lo, s0
	v_dual_lshrrev_b32 v12, 16, v1 :: v_dual_bitop2_b32 v1, v1, v7 bitop3:0x54
	v_dual_lshrrev_b32 v23, 16, v21 :: v_dual_bitop2_b32 v7, v21, v24 bitop3:0x54
	v_lshrrev_b32_e32 v24, 16, v22
	v_cvt_f32_f16_e32 v37, v12
	v_dual_lshrrev_b32 v21, 16, v27 :: v_dual_bitop2_b32 v12, v22, v26 bitop3:0x54
	s_delay_alu instid0(VALU_DEP_4)
	v_cvt_f32_f16_e32 v36, v23
	v_cvt_f32_f16_e32 v22, v7
	v_or_b32_e32 v7, v27, v25
	v_cvt_f32_f16_e32 v23, v1
	v_cvt_f32_f16_e32 v25, v21
	v_pk_mul_f32 v[36:37], v[20:21], v[36:37] op_sel_hi:[0,1]
	v_cvt_f32_f16_e32 v24, v24
	v_cvt_f32_f16_e32 v26, v12
	;; [unrolled: 1-line block ×3, first 2 shown]
	v_pk_mul_f32 v[22:23], v[20:21], v[22:23] op_sel_hi:[0,1]
	v_cvt_pk_f16_f32 v1, v36, v37
	v_pk_mul_f32 v[36:37], v[20:21], v[24:25] op_sel_hi:[0,1]
	v_add_nc_u32_e32 v35, v32, v6
	v_pk_mul_f32 v[20:21], v[20:21], v[26:27] op_sel_hi:[0,1]
	v_cvt_pk_f16_f32 v7, v22, v23
	v_and_b32_e32 v25, 0xffff0000, v1
	v_cvt_pk_f16_f32 v12, v36, v37
	v_lshlrev_b32_e32 v26, 16, v1
	v_cvt_pk_f16_f32 v20, v20, v21
	v_lshrrev_b32_e32 v27, 16, v7
	v_and_b32_e32 v28, 0xffff, v7
	v_and_b32_e32 v1, 0xffff0000, v12
	v_lshlrev_b32_e32 v12, 16, v12
	s_delay_alu instid0(VALU_DEP_4) | instskip(SKIP_3) | instid1(VALU_DEP_4)
	v_dual_lshrrev_b32 v23, 16, v20 :: v_dual_bitop2_b32 v21, v25, v27 bitop3:0x54
	v_and_b32_e32 v24, 0xffff, v20
	v_cmp_eq_u32_e32 vcc_lo, s27, v34
	v_dual_add_nc_u32 v42, 2, v35 :: v_dual_bitop2_b32 v22, v26, v28 bitop3:0x54
	v_or_b32_e32 v7, v1, v23
	s_delay_alu instid0(VALU_DEP_4)
	v_or_b32_e32 v20, v12, v24
	v_or_b32_e32 v41, 1, v35
	;; [unrolled: 1-line block ×7, first 2 shown]
	s_and_saveexec_b32 s21, vcc_lo
	s_cbranch_execz .LBB275_624
; %bb.623:                              ;   in Loop: Header=BB275_557 Depth=1
	v_cmp_gt_i32_e64 s0, s14, v35
	s_delay_alu instid0(VALU_DEP_1) | instskip(SKIP_1) | instid1(VALU_DEP_1)
	v_cndmask_b32_e64 v7, 0, v27, s0
	v_cmp_gt_i32_e64 s0, s34, v42
	v_cndmask_b32_e64 v20, 0, v28, s0
	v_cmp_gt_i32_e64 s0, s14, v41
	s_delay_alu instid0(VALU_DEP_1) | instskip(SKIP_1) | instid1(VALU_DEP_1)
	v_cndmask_b32_e64 v21, 0, v25, s0
	v_cmp_gt_i32_e64 s0, s34, v40
	v_cndmask_b32_e64 v22, 0, v26, s0
	v_cmp_gt_i32_e64 s0, s14, v39
	s_delay_alu instid0(VALU_DEP_4) | instskip(NEXT) | instid1(VALU_DEP_2)
	v_or_b32_e32 v21, v21, v7
	v_dual_cndmask_b32 v23, 0, v23, s0 :: v_dual_bitop2_b32 v22, v22, v20 bitop3:0x54
	v_cmp_gt_i32_e64 s0, s34, v38
	s_delay_alu instid0(VALU_DEP_1) | instskip(SKIP_1) | instid1(VALU_DEP_1)
	v_cndmask_b32_e64 v24, 0, v24, s0
	v_cmp_gt_i32_e64 s0, s14, v37
	v_cndmask_b32_e64 v1, 0, v1, s0
	v_cmp_gt_i32_e64 s0, s34, v36
	s_delay_alu instid0(VALU_DEP_1) | instskip(NEXT) | instid1(VALU_DEP_1)
	v_dual_cndmask_b32 v12, 0, v12, s0 :: v_dual_bitop2_b32 v7, v1, v23 bitop3:0x54
	v_or_b32_e32 v20, v12, v24
.LBB275_624:                            ;   in Loop: Header=BB275_557 Depth=1
	s_or_b32 exec_lo, exec_lo, s21
	v_and_b32_e32 v1, 0xffff, v46
	v_and_b32_e32 v12, 0xffff, v47
	;; [unrolled: 1-line block ×4, first 2 shown]
	s_mov_b32 s21, exec_lo
	v_lshl_or_b32 v49, v43, 16, v1
	;;#ASMSTART
	v_pk_mul_f16 v1, v49, v21;

	;;#ASMEND
	v_lshl_or_b32 v47, v44, 16, v12
	v_lshl_or_b32 v46, v45, 16, v23
	;; [unrolled: 1-line block ×3, first 2 shown]
	;;#ASMSTART
	v_pk_mul_f16 v12, v47, v22;

	;;#ASMEND
	;;#ASMSTART
	v_pk_mul_f16 v7, v46, v7;

	;;#ASMEND
	;; [unrolled: 4-line block ×3, first 2 shown]
	;;#ASMSTART
	v_pk_add_f16 v1, v1, v12;

	;;#ASMEND
	;;#ASMSTART
	v_pk_add_f16 v1, v1, v7;

	;;#ASMEND
	;; [unrolled: 4-line block ×3, first 2 shown]
	v_and_b32_e32 v7, 0xffff, v1
	v_lshrrev_b32_e32 v1, 16, v1
	;;#ASMSTART
	v_cvt_f32_f16 v48, v7;
	;;#ASMEND
	v_mov_b32_e32 v7, 0
	;;#ASMSTART
	v_cvt_f32_f16 v50, v1;
	;;#ASMEND
	global_load_b64 v[22:23], v[18:19], off offset:256
	v_mov_b32_e32 v1, 0
	global_load_b32 v20, v1, s[10:11]
	s_wait_loadcnt 0x1
	v_and_b32_e32 v12, 0xff, v22
	s_wait_xcnt 0x0
	s_delay_alu instid0(VALU_DEP_1)
	v_cmpx_ne_u16_e32 0, v12
	s_cbranch_execz .LBB275_632
; %bb.625:                              ;   in Loop: Header=BB275_557 Depth=1
	v_mov_b32_e32 v7, 0x8000
	s_mov_b32 s22, exec_lo
	v_cmpx_ne_u16_e32 0x80, v12
	s_cbranch_execz .LBB275_631
; %bb.626:                              ;   in Loop: Header=BB275_557 Depth=1
	v_and_b32_e32 v21, 0x7f, v22
	v_mov_b32_e32 v7, 0x7c01
	s_mov_b32 s23, exec_lo
	s_delay_alu instid0(VALU_DEP_2)
	v_cmpx_ne_u32_e32 0x7f, v21
	s_cbranch_execz .LBB275_630
; %bb.627:                              ;   in Loop: Header=BB275_557 Depth=1
	v_dual_lshrrev_b32 v12, 3, v21 :: v_dual_bitop2_b32 v7, 7, v22 bitop3:0x40
	s_mov_b32 s24, exec_lo
	v_cmpx_gt_u32_e32 8, v21
; %bb.628:                              ;   in Loop: Header=BB275_557 Depth=1
	s_delay_alu instid0(VALU_DEP_2) | instskip(NEXT) | instid1(VALU_DEP_1)
	v_clz_i32_u32_e32 v7, v7
	v_min_u32_e32 v7, 32, v7
	s_delay_alu instid0(VALU_DEP_1) | instskip(NEXT) | instid1(VALU_DEP_1)
	v_subrev_nc_u32_e32 v12, 28, v7
	v_lshlrev_b64_e32 v[24:25], v12, v[22:23]
	s_delay_alu instid0(VALU_DEP_1)
	v_dual_sub_nc_u32 v12, 29, v7 :: v_dual_bitop2_b32 v7, 7, v24 bitop3:0x40
; %bb.629:                              ;   in Loop: Header=BB275_557 Depth=1
	s_or_b32 exec_lo, exec_lo, s24
	s_delay_alu instid0(VALU_DEP_1) | instskip(NEXT) | instid1(VALU_DEP_2)
	v_dual_lshlrev_b32 v21, 8, v22 :: v_dual_lshlrev_b32 v7, 7, v7
	v_lshl_add_u32 v12, v12, 10, 0x2000
	s_delay_alu instid0(VALU_DEP_2) | instskip(NEXT) | instid1(VALU_DEP_2)
	v_and_b32_e32 v21, 0x8000, v21
	v_and_b32_e32 v12, 0xfc00, v12
	s_delay_alu instid0(VALU_DEP_1)
	v_or3_b32 v7, v21, v12, v7
.LBB275_630:                            ;   in Loop: Header=BB275_557 Depth=1
	s_or_b32 exec_lo, exec_lo, s23
.LBB275_631:                            ;   in Loop: Header=BB275_557 Depth=1
	s_delay_alu instid0(SALU_CYCLE_1)
	s_or_b32 exec_lo, exec_lo, s22
.LBB275_632:                            ;   in Loop: Header=BB275_557 Depth=1
	s_delay_alu instid0(SALU_CYCLE_1) | instskip(SKIP_2) | instid1(VALU_DEP_1)
	s_or_b32 exec_lo, exec_lo, s21
	v_lshrrev_b16 v12, 8, v22
	s_mov_b32 s21, exec_lo
	v_cmpx_ne_u16_e32 0, v12
	s_cbranch_execz .LBB275_640
; %bb.633:                              ;   in Loop: Header=BB275_557 Depth=1
	v_bfrev_b32_e32 v1, 1
	s_mov_b32 s22, exec_lo
	v_cmpx_ne_u16_e32 0x80, v12
	s_cbranch_execz .LBB275_639
; %bb.634:                              ;   in Loop: Header=BB275_557 Depth=1
	v_and_b32_e32 v21, 0xffff, v12
	v_mov_b32_e32 v1, 0x7c010000
	s_mov_b32 s23, exec_lo
	s_delay_alu instid0(VALU_DEP_2) | instskip(NEXT) | instid1(VALU_DEP_1)
	v_and_b32_e32 v25, 0x7f, v21
	v_cmpx_ne_u32_e32 0x7f, v25
	s_cbranch_execz .LBB275_638
; %bb.635:                              ;   in Loop: Header=BB275_557 Depth=1
	v_and_b32_e32 v1, 7, v21
	v_lshrrev_b32_e32 v24, 3, v25
	s_mov_b32 s24, exec_lo
	v_cmpx_gt_u32_e32 8, v25
; %bb.636:                              ;   in Loop: Header=BB275_557 Depth=1
	s_delay_alu instid0(VALU_DEP_3) | instskip(NEXT) | instid1(VALU_DEP_1)
	v_clz_i32_u32_e32 v1, v1
	v_min_u32_e32 v1, 32, v1
	s_delay_alu instid0(VALU_DEP_1) | instskip(NEXT) | instid1(VALU_DEP_1)
	v_subrev_nc_u32_e32 v24, 28, v1
	v_lshlrev_b64_e32 v[26:27], v24, v[12:13]
	s_delay_alu instid0(VALU_DEP_1)
	v_dual_sub_nc_u32 v24, 29, v1 :: v_dual_bitop2_b32 v1, 7, v26 bitop3:0x40
; %bb.637:                              ;   in Loop: Header=BB275_557 Depth=1
	s_or_b32 exec_lo, exec_lo, s24
	v_lshlrev_b32_e32 v12, 8, v21
	s_delay_alu instid0(VALU_DEP_2) | instskip(NEXT) | instid1(VALU_DEP_3)
	v_lshl_add_u32 v21, v24, 10, 0x2000
	v_lshlrev_b32_e32 v1, 23, v1
	s_delay_alu instid0(VALU_DEP_2) | instskip(NEXT) | instid1(VALU_DEP_1)
	v_and_or_b32 v12, 0x8000, v12, v21
	v_lshl_or_b32 v1, v12, 16, v1
.LBB275_638:                            ;   in Loop: Header=BB275_557 Depth=1
	s_or_b32 exec_lo, exec_lo, s23
.LBB275_639:                            ;   in Loop: Header=BB275_557 Depth=1
	s_delay_alu instid0(SALU_CYCLE_1)
	s_or_b32 exec_lo, exec_lo, s22
.LBB275_640:                            ;   in Loop: Header=BB275_557 Depth=1
	s_delay_alu instid0(SALU_CYCLE_1) | instskip(SKIP_3) | instid1(VALU_DEP_2)
	s_or_b32 exec_lo, exec_lo, s21
	v_dual_mov_b32 v21, 0 :: v_dual_lshrrev_b32 v12, 16, v22
	v_mov_b32_e32 v24, 0
	s_mov_b32 s21, exec_lo
	v_and_b32_e32 v25, 0xff, v12
	s_delay_alu instid0(VALU_DEP_1)
	v_cmpx_ne_u16_e32 0, v25
	s_cbranch_execz .LBB275_648
; %bb.641:                              ;   in Loop: Header=BB275_557 Depth=1
	v_mov_b32_e32 v24, 0x8000
	s_mov_b32 s22, exec_lo
	v_cmpx_ne_u16_e32 0x80, v25
	s_cbranch_execz .LBB275_647
; %bb.642:                              ;   in Loop: Header=BB275_557 Depth=1
	v_bfe_u32 v26, v22, 16, 7
	v_mov_b32_e32 v24, 0x7c01
	s_mov_b32 s23, exec_lo
	s_delay_alu instid0(VALU_DEP_2)
	v_cmpx_ne_u32_e32 0x7f, v26
	s_cbranch_execz .LBB275_646
; %bb.643:                              ;   in Loop: Header=BB275_557 Depth=1
	v_dual_lshrrev_b32 v25, 3, v26 :: v_dual_bitop2_b32 v24, 7, v12 bitop3:0x40
	s_mov_b32 s24, exec_lo
	v_cmpx_gt_u32_e32 8, v26
; %bb.644:                              ;   in Loop: Header=BB275_557 Depth=1
	s_delay_alu instid0(VALU_DEP_2) | instskip(NEXT) | instid1(VALU_DEP_1)
	v_clz_i32_u32_e32 v24, v24
	v_min_u32_e32 v26, 32, v24
	s_delay_alu instid0(VALU_DEP_1) | instskip(NEXT) | instid1(VALU_DEP_1)
	v_subrev_nc_u32_e32 v24, 28, v26
	v_lshlrev_b64_e32 v[24:25], v24, v[12:13]
	s_delay_alu instid0(VALU_DEP_1)
	v_dual_sub_nc_u32 v25, 29, v26 :: v_dual_bitop2_b32 v24, 7, v24 bitop3:0x40
; %bb.645:                              ;   in Loop: Header=BB275_557 Depth=1
	s_or_b32 exec_lo, exec_lo, s24
	v_lshlrev_b32_e32 v12, 8, v12
	s_delay_alu instid0(VALU_DEP_2) | instskip(NEXT) | instid1(VALU_DEP_3)
	v_lshl_add_u32 v25, v25, 10, 0x2000
	v_lshlrev_b32_e32 v24, 7, v24
	s_delay_alu instid0(VALU_DEP_3) | instskip(NEXT) | instid1(VALU_DEP_3)
	v_and_b32_e32 v12, 0x8000, v12
	v_and_b32_e32 v25, 0xfc00, v25
	s_delay_alu instid0(VALU_DEP_1)
	v_or3_b32 v24, v12, v25, v24
.LBB275_646:                            ;   in Loop: Header=BB275_557 Depth=1
	s_or_b32 exec_lo, exec_lo, s23
.LBB275_647:                            ;   in Loop: Header=BB275_557 Depth=1
	s_delay_alu instid0(SALU_CYCLE_1)
	s_or_b32 exec_lo, exec_lo, s22
.LBB275_648:                            ;   in Loop: Header=BB275_557 Depth=1
	s_delay_alu instid0(SALU_CYCLE_1) | instskip(NEXT) | instid1(SALU_CYCLE_1)
	s_or_b32 exec_lo, exec_lo, s21
	s_mov_b32 s21, exec_lo
	v_cmpx_lt_u32_e32 0xffffff, v22
	s_cbranch_execz .LBB275_656
; %bb.649:                              ;   in Loop: Header=BB275_557 Depth=1
	v_lshrrev_b32_e32 v12, 24, v22
	v_bfrev_b32_e32 v21, 1
	s_mov_b32 s22, exec_lo
	s_delay_alu instid0(VALU_DEP_2)
	v_cmpx_ne_u32_e32 0x80, v12
	s_cbranch_execz .LBB275_655
; %bb.650:                              ;   in Loop: Header=BB275_557 Depth=1
	v_and_b32_e32 v26, 0x7f, v12
	v_mov_b32_e32 v21, 0x7c010000
	s_mov_b32 s23, exec_lo
	s_delay_alu instid0(VALU_DEP_2)
	v_cmpx_ne_u32_e32 0x7f, v26
	s_cbranch_execz .LBB275_654
; %bb.651:                              ;   in Loop: Header=BB275_557 Depth=1
	v_dual_lshrrev_b32 v25, 3, v26 :: v_dual_bitop2_b32 v21, 7, v12 bitop3:0x40
	s_mov_b32 s24, exec_lo
	v_cmpx_gt_u32_e32 8, v26
; %bb.652:                              ;   in Loop: Header=BB275_557 Depth=1
	s_delay_alu instid0(VALU_DEP_2) | instskip(NEXT) | instid1(VALU_DEP_1)
	v_clz_i32_u32_e32 v21, v21
	v_min_u32_e32 v21, 32, v21
	s_delay_alu instid0(VALU_DEP_1) | instskip(NEXT) | instid1(VALU_DEP_1)
	v_subrev_nc_u32_e32 v25, 28, v21
	v_lshlrev_b64_e32 v[26:27], v25, v[12:13]
	s_delay_alu instid0(VALU_DEP_1)
	v_dual_sub_nc_u32 v25, 29, v21 :: v_dual_bitop2_b32 v21, 7, v26 bitop3:0x40
; %bb.653:                              ;   in Loop: Header=BB275_557 Depth=1
	s_or_b32 exec_lo, exec_lo, s24
	s_delay_alu instid0(VALU_DEP_1) | instskip(NEXT) | instid1(VALU_DEP_2)
	v_dual_lshlrev_b32 v12, 8, v12 :: v_dual_lshlrev_b32 v21, 23, v21
	v_lshl_add_u32 v25, v25, 10, 0x2000
	s_delay_alu instid0(VALU_DEP_1) | instskip(NEXT) | instid1(VALU_DEP_1)
	v_and_or_b32 v12, 0x8000, v12, v25
	v_lshl_or_b32 v21, v12, 16, v21
.LBB275_654:                            ;   in Loop: Header=BB275_557 Depth=1
	s_or_b32 exec_lo, exec_lo, s23
.LBB275_655:                            ;   in Loop: Header=BB275_557 Depth=1
	s_delay_alu instid0(SALU_CYCLE_1)
	s_or_b32 exec_lo, exec_lo, s22
.LBB275_656:                            ;   in Loop: Header=BB275_557 Depth=1
	s_delay_alu instid0(SALU_CYCLE_1) | instskip(SKIP_4) | instid1(VALU_DEP_3)
	s_or_b32 exec_lo, exec_lo, s21
	v_and_b32_e32 v27, 0xff, v23
	v_dual_mov_b32 v12, v23 :: v_dual_mov_b32 v26, 0
	v_mov_b32_e32 v25, 0
	s_mov_b32 s21, exec_lo
	v_cmpx_ne_u16_e32 0, v27
	s_cbranch_execz .LBB275_664
; %bb.657:                              ;   in Loop: Header=BB275_557 Depth=1
	v_mov_b32_e32 v25, 0x8000
	s_mov_b32 s22, exec_lo
	v_cmpx_ne_u16_e32 0x80, v27
	s_cbranch_execz .LBB275_663
; %bb.658:                              ;   in Loop: Header=BB275_557 Depth=1
	v_and_b32_e32 v28, 0x7f, v23
	v_mov_b32_e32 v25, 0x7c01
	s_mov_b32 s23, exec_lo
	s_delay_alu instid0(VALU_DEP_2)
	v_cmpx_ne_u32_e32 0x7f, v28
	s_cbranch_execz .LBB275_662
; %bb.659:                              ;   in Loop: Header=BB275_557 Depth=1
	v_dual_lshrrev_b32 v27, 3, v28 :: v_dual_bitop2_b32 v25, 7, v23 bitop3:0x40
	s_mov_b32 s24, exec_lo
	v_cmpx_gt_u32_e32 8, v28
; %bb.660:                              ;   in Loop: Header=BB275_557 Depth=1
	s_delay_alu instid0(VALU_DEP_2) | instskip(NEXT) | instid1(VALU_DEP_1)
	v_clz_i32_u32_e32 v25, v25
	v_min_u32_e32 v25, 32, v25
	s_delay_alu instid0(VALU_DEP_1) | instskip(NEXT) | instid1(VALU_DEP_1)
	v_subrev_nc_u32_e32 v27, 28, v25
	v_lshlrev_b64_e32 v[52:53], v27, v[12:13]
	s_delay_alu instid0(VALU_DEP_1)
	v_dual_sub_nc_u32 v27, 29, v25 :: v_dual_bitop2_b32 v25, 7, v52 bitop3:0x40
; %bb.661:                              ;   in Loop: Header=BB275_557 Depth=1
	s_or_b32 exec_lo, exec_lo, s24
	s_delay_alu instid0(VALU_DEP_1) | instskip(NEXT) | instid1(VALU_DEP_2)
	v_dual_lshlrev_b32 v28, 8, v23 :: v_dual_lshlrev_b32 v25, 7, v25
	v_lshl_add_u32 v27, v27, 10, 0x2000
	s_delay_alu instid0(VALU_DEP_2) | instskip(NEXT) | instid1(VALU_DEP_2)
	v_and_b32_e32 v28, 0x8000, v28
	v_and_b32_e32 v27, 0xfc00, v27
	s_delay_alu instid0(VALU_DEP_1)
	v_or3_b32 v25, v28, v27, v25
.LBB275_662:                            ;   in Loop: Header=BB275_557 Depth=1
	s_or_b32 exec_lo, exec_lo, s23
.LBB275_663:                            ;   in Loop: Header=BB275_557 Depth=1
	s_delay_alu instid0(SALU_CYCLE_1)
	s_or_b32 exec_lo, exec_lo, s22
.LBB275_664:                            ;   in Loop: Header=BB275_557 Depth=1
	s_delay_alu instid0(SALU_CYCLE_1) | instskip(SKIP_3) | instid1(VALU_DEP_2)
	s_or_b32 exec_lo, exec_lo, s21
	v_lshrrev_b16 v12, 8, v12
	v_mov_b32_e32 v27, 0
	s_mov_b32 s21, exec_lo
	v_cmpx_ne_u16_e32 0, v12
	s_cbranch_execz .LBB275_672
; %bb.665:                              ;   in Loop: Header=BB275_557 Depth=1
	v_bfrev_b32_e32 v27, 1
	s_mov_b32 s22, exec_lo
	v_cmpx_ne_u16_e32 0x80, v12
	s_cbranch_execz .LBB275_671
; %bb.666:                              ;   in Loop: Header=BB275_557 Depth=1
	v_and_b32_e32 v28, 0xffff, v12
	v_mov_b32_e32 v27, 0x7c010000
	s_mov_b32 s23, exec_lo
	s_delay_alu instid0(VALU_DEP_2) | instskip(NEXT) | instid1(VALU_DEP_1)
	v_and_b32_e32 v44, 0x7f, v28
	v_cmpx_ne_u32_e32 0x7f, v44
	s_cbranch_execz .LBB275_670
; %bb.667:                              ;   in Loop: Header=BB275_557 Depth=1
	v_and_b32_e32 v27, 7, v28
	v_lshrrev_b32_e32 v43, 3, v44
	s_mov_b32 s24, exec_lo
	v_cmpx_gt_u32_e32 8, v44
; %bb.668:                              ;   in Loop: Header=BB275_557 Depth=1
	s_delay_alu instid0(VALU_DEP_3) | instskip(NEXT) | instid1(VALU_DEP_1)
	v_clz_i32_u32_e32 v27, v27
	v_min_u32_e32 v27, 32, v27
	s_delay_alu instid0(VALU_DEP_1) | instskip(NEXT) | instid1(VALU_DEP_1)
	v_subrev_nc_u32_e32 v43, 28, v27
	v_lshlrev_b64_e32 v[52:53], v43, v[12:13]
	s_delay_alu instid0(VALU_DEP_1)
	v_dual_sub_nc_u32 v43, 29, v27 :: v_dual_bitop2_b32 v27, 7, v52 bitop3:0x40
; %bb.669:                              ;   in Loop: Header=BB275_557 Depth=1
	s_or_b32 exec_lo, exec_lo, s24
	s_delay_alu instid0(VALU_DEP_1) | instskip(NEXT) | instid1(VALU_DEP_2)
	v_dual_lshlrev_b32 v12, 8, v28 :: v_dual_lshlrev_b32 v27, 23, v27
	v_lshl_add_u32 v28, v43, 10, 0x2000
	s_delay_alu instid0(VALU_DEP_1) | instskip(NEXT) | instid1(VALU_DEP_1)
	v_and_or_b32 v12, 0x8000, v12, v28
	v_lshl_or_b32 v27, v12, 16, v27
.LBB275_670:                            ;   in Loop: Header=BB275_557 Depth=1
	s_or_b32 exec_lo, exec_lo, s23
.LBB275_671:                            ;   in Loop: Header=BB275_557 Depth=1
	s_delay_alu instid0(SALU_CYCLE_1)
	s_or_b32 exec_lo, exec_lo, s22
.LBB275_672:                            ;   in Loop: Header=BB275_557 Depth=1
	s_delay_alu instid0(SALU_CYCLE_1) | instskip(SKIP_2) | instid1(VALU_DEP_1)
	s_or_b32 exec_lo, exec_lo, s21
	v_lshrrev_b32_e32 v12, 16, v23
	s_mov_b32 s21, exec_lo
	v_and_b32_e32 v28, 0xff, v12
	s_delay_alu instid0(VALU_DEP_1)
	v_cmpx_ne_u16_e32 0, v28
	s_cbranch_execz .LBB275_680
; %bb.673:                              ;   in Loop: Header=BB275_557 Depth=1
	v_mov_b32_e32 v26, 0x8000
	s_mov_b32 s22, exec_lo
	v_cmpx_ne_u16_e32 0x80, v28
	s_cbranch_execz .LBB275_679
; %bb.674:                              ;   in Loop: Header=BB275_557 Depth=1
	v_bfe_u32 v43, v23, 16, 7
	v_mov_b32_e32 v26, 0x7c01
	s_mov_b32 s23, exec_lo
	s_delay_alu instid0(VALU_DEP_2)
	v_cmpx_ne_u32_e32 0x7f, v43
	s_cbranch_execz .LBB275_678
; %bb.675:                              ;   in Loop: Header=BB275_557 Depth=1
	v_dual_lshrrev_b32 v28, 3, v43 :: v_dual_bitop2_b32 v26, 7, v12 bitop3:0x40
	s_mov_b32 s24, exec_lo
	v_cmpx_gt_u32_e32 8, v43
; %bb.676:                              ;   in Loop: Header=BB275_557 Depth=1
	s_delay_alu instid0(VALU_DEP_2) | instskip(NEXT) | instid1(VALU_DEP_1)
	v_clz_i32_u32_e32 v26, v26
	v_min_u32_e32 v26, 32, v26
	s_delay_alu instid0(VALU_DEP_1) | instskip(NEXT) | instid1(VALU_DEP_1)
	v_subrev_nc_u32_e32 v28, 28, v26
	v_lshlrev_b64_e32 v[52:53], v28, v[12:13]
	s_delay_alu instid0(VALU_DEP_1)
	v_dual_sub_nc_u32 v28, 29, v26 :: v_dual_bitop2_b32 v26, 7, v52 bitop3:0x40
; %bb.677:                              ;   in Loop: Header=BB275_557 Depth=1
	s_or_b32 exec_lo, exec_lo, s24
	s_delay_alu instid0(VALU_DEP_1) | instskip(NEXT) | instid1(VALU_DEP_2)
	v_dual_lshlrev_b32 v12, 8, v12 :: v_dual_lshlrev_b32 v26, 7, v26
	v_lshl_add_u32 v28, v28, 10, 0x2000
	s_delay_alu instid0(VALU_DEP_2) | instskip(NEXT) | instid1(VALU_DEP_2)
	v_and_b32_e32 v12, 0x8000, v12
	v_and_b32_e32 v28, 0xfc00, v28
	s_delay_alu instid0(VALU_DEP_1)
	v_or3_b32 v26, v12, v28, v26
.LBB275_678:                            ;   in Loop: Header=BB275_557 Depth=1
	s_or_b32 exec_lo, exec_lo, s23
.LBB275_679:                            ;   in Loop: Header=BB275_557 Depth=1
	s_delay_alu instid0(SALU_CYCLE_1)
	s_or_b32 exec_lo, exec_lo, s22
.LBB275_680:                            ;   in Loop: Header=BB275_557 Depth=1
	s_delay_alu instid0(SALU_CYCLE_1)
	s_or_b32 exec_lo, exec_lo, s21
	v_cmp_lt_u64_e64 s0, s[4:5], v[22:23]
	v_mov_b32_e32 v22, 0
	s_and_saveexec_b32 s21, s0
	s_cbranch_execz .LBB275_688
; %bb.681:                              ;   in Loop: Header=BB275_557 Depth=1
	v_lshrrev_b32_e32 v12, 24, v23
	v_bfrev_b32_e32 v22, 1
	s_mov_b32 s22, exec_lo
	s_delay_alu instid0(VALU_DEP_2)
	v_cmpx_ne_u32_e32 0x80, v12
	s_cbranch_execz .LBB275_687
; %bb.682:                              ;   in Loop: Header=BB275_557 Depth=1
	v_and_b32_e32 v28, 0x7f, v12
	v_mov_b32_e32 v22, 0x7c010000
	s_mov_b32 s23, exec_lo
	s_delay_alu instid0(VALU_DEP_2)
	v_cmpx_ne_u32_e32 0x7f, v28
	s_cbranch_execz .LBB275_686
; %bb.683:                              ;   in Loop: Header=BB275_557 Depth=1
	v_and_b32_e32 v22, 7, v12
	v_lshrrev_b32_e32 v23, 3, v28
	s_mov_b32 s24, exec_lo
	v_cmpx_gt_u32_e32 8, v28
; %bb.684:                              ;   in Loop: Header=BB275_557 Depth=1
	s_delay_alu instid0(VALU_DEP_3) | instskip(NEXT) | instid1(VALU_DEP_1)
	v_clz_i32_u32_e32 v22, v22
	v_min_u32_e32 v28, 32, v22
	s_delay_alu instid0(VALU_DEP_1) | instskip(NEXT) | instid1(VALU_DEP_1)
	v_subrev_nc_u32_e32 v22, 28, v28
	v_lshlrev_b64_e32 v[22:23], v22, v[12:13]
	s_delay_alu instid0(VALU_DEP_1)
	v_dual_sub_nc_u32 v23, 29, v28 :: v_dual_bitop2_b32 v22, 7, v22 bitop3:0x40
; %bb.685:                              ;   in Loop: Header=BB275_557 Depth=1
	s_or_b32 exec_lo, exec_lo, s24
	s_delay_alu instid0(VALU_DEP_1) | instskip(NEXT) | instid1(VALU_DEP_2)
	v_dual_lshlrev_b32 v12, 8, v12 :: v_dual_lshlrev_b32 v22, 23, v22
	v_lshl_add_u32 v23, v23, 10, 0x2000
	s_delay_alu instid0(VALU_DEP_1) | instskip(NEXT) | instid1(VALU_DEP_1)
	v_and_or_b32 v12, 0x8000, v12, v23
	v_lshl_or_b32 v22, v12, 16, v22
.LBB275_686:                            ;   in Loop: Header=BB275_557 Depth=1
	s_or_b32 exec_lo, exec_lo, s23
.LBB275_687:                            ;   in Loop: Header=BB275_557 Depth=1
	s_delay_alu instid0(SALU_CYCLE_1)
	s_or_b32 exec_lo, exec_lo, s22
.LBB275_688:                            ;   in Loop: Header=BB275_557 Depth=1
	s_delay_alu instid0(SALU_CYCLE_1) | instskip(SKIP_3) | instid1(VALU_DEP_3)
	s_or_b32 exec_lo, exec_lo, s21
	v_dual_lshrrev_b32 v12, 16, v1 :: v_dual_bitop2_b32 v1, v1, v7 bitop3:0x54
	v_dual_lshrrev_b32 v23, 16, v21 :: v_dual_bitop2_b32 v7, v21, v24 bitop3:0x54
	v_lshrrev_b32_e32 v24, 16, v22
	v_cvt_f32_f16_e32 v53, v12
	v_dual_lshrrev_b32 v21, 16, v27 :: v_dual_bitop2_b32 v12, v22, v26 bitop3:0x54
	s_delay_alu instid0(VALU_DEP_4)
	v_cvt_f32_f16_e32 v52, v23
	v_cvt_f32_f16_e32 v22, v7
	v_or_b32_e32 v7, v27, v25
	v_cvt_f32_f16_e32 v23, v1
	v_cvt_f32_f16_e32 v25, v21
	s_wait_loadcnt 0x0
	v_pk_mul_f32 v[52:53], v[20:21], v[52:53] op_sel_hi:[0,1]
	v_cvt_f32_f16_e32 v24, v24
	v_cvt_f32_f16_e32 v26, v12
	;; [unrolled: 1-line block ×3, first 2 shown]
	v_pk_mul_f32 v[22:23], v[20:21], v[22:23] op_sel_hi:[0,1]
	v_cvt_pk_f16_f32 v1, v52, v53
	v_pk_mul_f32 v[24:25], v[20:21], v[24:25] op_sel_hi:[0,1]
	s_delay_alu instid0(VALU_DEP_4) | instskip(NEXT) | instid1(VALU_DEP_4)
	v_pk_mul_f32 v[26:27], v[20:21], v[26:27] op_sel_hi:[0,1]
	v_cvt_pk_f16_f32 v7, v22, v23
	s_delay_alu instid0(VALU_DEP_4) | instskip(NEXT) | instid1(VALU_DEP_4)
	v_and_b32_e32 v21, 0xffff0000, v1
	v_cvt_pk_f16_f32 v12, v24, v25
	v_lshlrev_b32_e32 v22, 16, v1
	v_cvt_pk_f16_f32 v20, v26, v27
	v_lshrrev_b32_e32 v27, 16, v7
	v_and_b32_e32 v28, 0xffff, v7
	v_and_b32_e32 v1, 0xffff0000, v12
	s_delay_alu instid0(VALU_DEP_3) | instskip(SKIP_3) | instid1(VALU_DEP_2)
	v_dual_lshlrev_b32 v12, 16, v12 :: v_dual_bitop2_b32 v25, v21, v27 bitop3:0x54
	v_lshrrev_b32_e32 v7, 16, v20
	v_and_b32_e32 v20, 0xffff, v20
	v_or_b32_e32 v26, v22, v28
	v_or_b32_e32 v24, v12, v20
	s_delay_alu instid0(VALU_DEP_4)
	v_or_b32_e32 v23, v1, v7
	s_and_saveexec_b32 s21, vcc_lo
	s_cbranch_execz .LBB275_690
; %bb.689:                              ;   in Loop: Header=BB275_557 Depth=1
	v_cmp_gt_i32_e64 s0, s14, v35
	s_delay_alu instid0(VALU_DEP_1) | instskip(SKIP_1) | instid1(VALU_DEP_1)
	v_cndmask_b32_e64 v23, 0, v27, s0
	v_cmp_gt_i32_e64 s0, s34, v42
	v_cndmask_b32_e64 v24, 0, v28, s0
	v_cmp_gt_i32_e64 s0, s14, v41
	s_delay_alu instid0(VALU_DEP_1) | instskip(SKIP_1) | instid1(VALU_DEP_1)
	v_cndmask_b32_e64 v21, 0, v21, s0
	v_cmp_gt_i32_e64 s0, s34, v40
	v_cndmask_b32_e64 v22, 0, v22, s0
	v_cmp_gt_i32_e64 s0, s14, v39
	s_delay_alu instid0(VALU_DEP_4) | instskip(NEXT) | instid1(VALU_DEP_2)
	v_or_b32_e32 v25, v21, v23
	v_dual_cndmask_b32 v7, 0, v7, s0 :: v_dual_bitop2_b32 v26, v22, v24 bitop3:0x54
	v_cmp_gt_i32_e64 s0, s34, v38
	s_delay_alu instid0(VALU_DEP_1) | instskip(SKIP_1) | instid1(VALU_DEP_1)
	v_cndmask_b32_e64 v20, 0, v20, s0
	v_cmp_gt_i32_e64 s0, s14, v37
	v_cndmask_b32_e64 v1, 0, v1, s0
	v_cmp_gt_i32_e64 s0, s34, v36
	s_delay_alu instid0(VALU_DEP_1) | instskip(NEXT) | instid1(VALU_DEP_1)
	v_dual_cndmask_b32 v12, 0, v12, s0 :: v_dual_bitop2_b32 v23, v1, v7 bitop3:0x54
	v_or_b32_e32 v24, v12, v20
.LBB275_690:                            ;   in Loop: Header=BB275_557 Depth=1
	s_or_b32 exec_lo, exec_lo, s21
	;;#ASMSTART
	v_pk_mul_f16 v1, v49, v25;

	;;#ASMEND
	;;#ASMSTART
	v_pk_mul_f16 v7, v47, v26;

	;;#ASMEND
	;;#ASMSTART
	v_pk_mul_f16 v12, v46, v23;

	;;#ASMEND
	;;#ASMSTART
	v_pk_mul_f16 v20, v45, v24;

	;;#ASMEND
	;;#ASMSTART
	v_pk_add_f16 v1, v1, v7;

	;;#ASMEND
	;;#ASMSTART
	v_pk_add_f16 v1, v1, v12;

	;;#ASMEND
	;; [unrolled: 4-line block ×3, first 2 shown]
	v_and_b32_e32 v7, 0xffff, v1
	v_lshrrev_b32_e32 v1, 16, v1
	;;#ASMSTART
	v_cvt_f32_f16 v51, v7;
	;;#ASMEND
	v_mov_b32_e32 v7, 0
	;;#ASMSTART
	v_cvt_f32_f16 v52, v1;
	;;#ASMEND
	global_load_b64 v[22:23], v[18:19], off offset:512
	v_mov_b32_e32 v1, 0
	s_mov_b32 s21, exec_lo
	global_load_b32 v20, v1, s[10:11]
	s_wait_loadcnt 0x1
	v_and_b32_e32 v12, 0xff, v22
	s_wait_xcnt 0x0
	s_delay_alu instid0(VALU_DEP_1)
	v_cmpx_ne_u16_e32 0, v12
	s_cbranch_execz .LBB275_698
; %bb.691:                              ;   in Loop: Header=BB275_557 Depth=1
	v_mov_b32_e32 v7, 0x8000
	s_mov_b32 s22, exec_lo
	v_cmpx_ne_u16_e32 0x80, v12
	s_cbranch_execz .LBB275_697
; %bb.692:                              ;   in Loop: Header=BB275_557 Depth=1
	v_and_b32_e32 v21, 0x7f, v22
	v_mov_b32_e32 v7, 0x7c01
	s_mov_b32 s23, exec_lo
	s_delay_alu instid0(VALU_DEP_2)
	v_cmpx_ne_u32_e32 0x7f, v21
	s_cbranch_execz .LBB275_696
; %bb.693:                              ;   in Loop: Header=BB275_557 Depth=1
	v_dual_lshrrev_b32 v12, 3, v21 :: v_dual_bitop2_b32 v7, 7, v22 bitop3:0x40
	s_mov_b32 s24, exec_lo
	v_cmpx_gt_u32_e32 8, v21
; %bb.694:                              ;   in Loop: Header=BB275_557 Depth=1
	s_delay_alu instid0(VALU_DEP_2) | instskip(NEXT) | instid1(VALU_DEP_1)
	v_clz_i32_u32_e32 v7, v7
	v_min_u32_e32 v7, 32, v7
	s_delay_alu instid0(VALU_DEP_1) | instskip(NEXT) | instid1(VALU_DEP_1)
	v_subrev_nc_u32_e32 v12, 28, v7
	v_lshlrev_b64_e32 v[24:25], v12, v[22:23]
	s_delay_alu instid0(VALU_DEP_1)
	v_dual_sub_nc_u32 v12, 29, v7 :: v_dual_bitop2_b32 v7, 7, v24 bitop3:0x40
; %bb.695:                              ;   in Loop: Header=BB275_557 Depth=1
	s_or_b32 exec_lo, exec_lo, s24
	s_delay_alu instid0(VALU_DEP_1) | instskip(NEXT) | instid1(VALU_DEP_2)
	v_dual_lshlrev_b32 v21, 8, v22 :: v_dual_lshlrev_b32 v7, 7, v7
	v_lshl_add_u32 v12, v12, 10, 0x2000
	s_delay_alu instid0(VALU_DEP_2) | instskip(NEXT) | instid1(VALU_DEP_2)
	v_and_b32_e32 v21, 0x8000, v21
	v_and_b32_e32 v12, 0xfc00, v12
	s_delay_alu instid0(VALU_DEP_1)
	v_or3_b32 v7, v21, v12, v7
.LBB275_696:                            ;   in Loop: Header=BB275_557 Depth=1
	s_or_b32 exec_lo, exec_lo, s23
.LBB275_697:                            ;   in Loop: Header=BB275_557 Depth=1
	s_delay_alu instid0(SALU_CYCLE_1)
	s_or_b32 exec_lo, exec_lo, s22
.LBB275_698:                            ;   in Loop: Header=BB275_557 Depth=1
	s_delay_alu instid0(SALU_CYCLE_1) | instskip(SKIP_2) | instid1(VALU_DEP_1)
	s_or_b32 exec_lo, exec_lo, s21
	v_lshrrev_b16 v12, 8, v22
	s_mov_b32 s21, exec_lo
	v_cmpx_ne_u16_e32 0, v12
	s_cbranch_execz .LBB275_706
; %bb.699:                              ;   in Loop: Header=BB275_557 Depth=1
	v_bfrev_b32_e32 v1, 1
	s_mov_b32 s22, exec_lo
	v_cmpx_ne_u16_e32 0x80, v12
	s_cbranch_execz .LBB275_705
; %bb.700:                              ;   in Loop: Header=BB275_557 Depth=1
	v_and_b32_e32 v21, 0xffff, v12
	v_mov_b32_e32 v1, 0x7c010000
	s_mov_b32 s23, exec_lo
	s_delay_alu instid0(VALU_DEP_2) | instskip(NEXT) | instid1(VALU_DEP_1)
	v_and_b32_e32 v25, 0x7f, v21
	v_cmpx_ne_u32_e32 0x7f, v25
	s_cbranch_execz .LBB275_704
; %bb.701:                              ;   in Loop: Header=BB275_557 Depth=1
	v_and_b32_e32 v1, 7, v21
	v_lshrrev_b32_e32 v24, 3, v25
	s_mov_b32 s24, exec_lo
	v_cmpx_gt_u32_e32 8, v25
; %bb.702:                              ;   in Loop: Header=BB275_557 Depth=1
	s_delay_alu instid0(VALU_DEP_3) | instskip(NEXT) | instid1(VALU_DEP_1)
	v_clz_i32_u32_e32 v1, v1
	v_min_u32_e32 v1, 32, v1
	s_delay_alu instid0(VALU_DEP_1) | instskip(NEXT) | instid1(VALU_DEP_1)
	v_subrev_nc_u32_e32 v24, 28, v1
	v_lshlrev_b64_e32 v[26:27], v24, v[12:13]
	s_delay_alu instid0(VALU_DEP_1)
	v_dual_sub_nc_u32 v24, 29, v1 :: v_dual_bitop2_b32 v1, 7, v26 bitop3:0x40
; %bb.703:                              ;   in Loop: Header=BB275_557 Depth=1
	s_or_b32 exec_lo, exec_lo, s24
	v_lshlrev_b32_e32 v12, 8, v21
	s_delay_alu instid0(VALU_DEP_2) | instskip(NEXT) | instid1(VALU_DEP_3)
	v_lshl_add_u32 v21, v24, 10, 0x2000
	v_lshlrev_b32_e32 v1, 23, v1
	s_delay_alu instid0(VALU_DEP_2) | instskip(NEXT) | instid1(VALU_DEP_1)
	v_and_or_b32 v12, 0x8000, v12, v21
	v_lshl_or_b32 v1, v12, 16, v1
.LBB275_704:                            ;   in Loop: Header=BB275_557 Depth=1
	s_or_b32 exec_lo, exec_lo, s23
.LBB275_705:                            ;   in Loop: Header=BB275_557 Depth=1
	s_delay_alu instid0(SALU_CYCLE_1)
	s_or_b32 exec_lo, exec_lo, s22
.LBB275_706:                            ;   in Loop: Header=BB275_557 Depth=1
	s_delay_alu instid0(SALU_CYCLE_1) | instskip(SKIP_3) | instid1(VALU_DEP_2)
	s_or_b32 exec_lo, exec_lo, s21
	v_dual_mov_b32 v21, 0 :: v_dual_lshrrev_b32 v12, 16, v22
	v_mov_b32_e32 v24, 0
	s_mov_b32 s21, exec_lo
	v_and_b32_e32 v25, 0xff, v12
	s_delay_alu instid0(VALU_DEP_1)
	v_cmpx_ne_u16_e32 0, v25
	s_cbranch_execz .LBB275_714
; %bb.707:                              ;   in Loop: Header=BB275_557 Depth=1
	v_mov_b32_e32 v24, 0x8000
	s_mov_b32 s22, exec_lo
	v_cmpx_ne_u16_e32 0x80, v25
	s_cbranch_execz .LBB275_713
; %bb.708:                              ;   in Loop: Header=BB275_557 Depth=1
	v_bfe_u32 v26, v22, 16, 7
	v_mov_b32_e32 v24, 0x7c01
	s_mov_b32 s23, exec_lo
	s_delay_alu instid0(VALU_DEP_2)
	v_cmpx_ne_u32_e32 0x7f, v26
	s_cbranch_execz .LBB275_712
; %bb.709:                              ;   in Loop: Header=BB275_557 Depth=1
	v_dual_lshrrev_b32 v25, 3, v26 :: v_dual_bitop2_b32 v24, 7, v12 bitop3:0x40
	s_mov_b32 s24, exec_lo
	v_cmpx_gt_u32_e32 8, v26
; %bb.710:                              ;   in Loop: Header=BB275_557 Depth=1
	s_delay_alu instid0(VALU_DEP_2) | instskip(NEXT) | instid1(VALU_DEP_1)
	v_clz_i32_u32_e32 v24, v24
	v_min_u32_e32 v26, 32, v24
	s_delay_alu instid0(VALU_DEP_1) | instskip(NEXT) | instid1(VALU_DEP_1)
	v_subrev_nc_u32_e32 v24, 28, v26
	v_lshlrev_b64_e32 v[24:25], v24, v[12:13]
	s_delay_alu instid0(VALU_DEP_1)
	v_dual_sub_nc_u32 v25, 29, v26 :: v_dual_bitop2_b32 v24, 7, v24 bitop3:0x40
; %bb.711:                              ;   in Loop: Header=BB275_557 Depth=1
	s_or_b32 exec_lo, exec_lo, s24
	v_lshlrev_b32_e32 v12, 8, v12
	s_delay_alu instid0(VALU_DEP_2) | instskip(NEXT) | instid1(VALU_DEP_3)
	v_lshl_add_u32 v25, v25, 10, 0x2000
	v_lshlrev_b32_e32 v24, 7, v24
	s_delay_alu instid0(VALU_DEP_3) | instskip(NEXT) | instid1(VALU_DEP_3)
	v_and_b32_e32 v12, 0x8000, v12
	v_and_b32_e32 v25, 0xfc00, v25
	s_delay_alu instid0(VALU_DEP_1)
	v_or3_b32 v24, v12, v25, v24
.LBB275_712:                            ;   in Loop: Header=BB275_557 Depth=1
	s_or_b32 exec_lo, exec_lo, s23
.LBB275_713:                            ;   in Loop: Header=BB275_557 Depth=1
	s_delay_alu instid0(SALU_CYCLE_1)
	s_or_b32 exec_lo, exec_lo, s22
.LBB275_714:                            ;   in Loop: Header=BB275_557 Depth=1
	s_delay_alu instid0(SALU_CYCLE_1) | instskip(NEXT) | instid1(SALU_CYCLE_1)
	s_or_b32 exec_lo, exec_lo, s21
	s_mov_b32 s21, exec_lo
	v_cmpx_lt_u32_e32 0xffffff, v22
	s_cbranch_execz .LBB275_722
; %bb.715:                              ;   in Loop: Header=BB275_557 Depth=1
	v_lshrrev_b32_e32 v12, 24, v22
	v_bfrev_b32_e32 v21, 1
	s_mov_b32 s22, exec_lo
	s_delay_alu instid0(VALU_DEP_2)
	v_cmpx_ne_u32_e32 0x80, v12
	s_cbranch_execz .LBB275_721
; %bb.716:                              ;   in Loop: Header=BB275_557 Depth=1
	v_and_b32_e32 v26, 0x7f, v12
	v_mov_b32_e32 v21, 0x7c010000
	s_mov_b32 s23, exec_lo
	s_delay_alu instid0(VALU_DEP_2)
	v_cmpx_ne_u32_e32 0x7f, v26
	s_cbranch_execz .LBB275_720
; %bb.717:                              ;   in Loop: Header=BB275_557 Depth=1
	v_dual_lshrrev_b32 v25, 3, v26 :: v_dual_bitop2_b32 v21, 7, v12 bitop3:0x40
	s_mov_b32 s24, exec_lo
	v_cmpx_gt_u32_e32 8, v26
; %bb.718:                              ;   in Loop: Header=BB275_557 Depth=1
	s_delay_alu instid0(VALU_DEP_2) | instskip(NEXT) | instid1(VALU_DEP_1)
	v_clz_i32_u32_e32 v21, v21
	v_min_u32_e32 v21, 32, v21
	s_delay_alu instid0(VALU_DEP_1) | instskip(NEXT) | instid1(VALU_DEP_1)
	v_subrev_nc_u32_e32 v25, 28, v21
	v_lshlrev_b64_e32 v[26:27], v25, v[12:13]
	s_delay_alu instid0(VALU_DEP_1)
	v_dual_sub_nc_u32 v25, 29, v21 :: v_dual_bitop2_b32 v21, 7, v26 bitop3:0x40
; %bb.719:                              ;   in Loop: Header=BB275_557 Depth=1
	s_or_b32 exec_lo, exec_lo, s24
	s_delay_alu instid0(VALU_DEP_1) | instskip(NEXT) | instid1(VALU_DEP_2)
	v_dual_lshlrev_b32 v12, 8, v12 :: v_dual_lshlrev_b32 v21, 23, v21
	v_lshl_add_u32 v25, v25, 10, 0x2000
	s_delay_alu instid0(VALU_DEP_1) | instskip(NEXT) | instid1(VALU_DEP_1)
	v_and_or_b32 v12, 0x8000, v12, v25
	v_lshl_or_b32 v21, v12, 16, v21
.LBB275_720:                            ;   in Loop: Header=BB275_557 Depth=1
	s_or_b32 exec_lo, exec_lo, s23
.LBB275_721:                            ;   in Loop: Header=BB275_557 Depth=1
	s_delay_alu instid0(SALU_CYCLE_1)
	s_or_b32 exec_lo, exec_lo, s22
.LBB275_722:                            ;   in Loop: Header=BB275_557 Depth=1
	s_delay_alu instid0(SALU_CYCLE_1) | instskip(SKIP_4) | instid1(VALU_DEP_3)
	s_or_b32 exec_lo, exec_lo, s21
	v_and_b32_e32 v27, 0xff, v23
	v_dual_mov_b32 v12, v23 :: v_dual_mov_b32 v26, 0
	v_mov_b32_e32 v25, 0
	s_mov_b32 s21, exec_lo
	v_cmpx_ne_u16_e32 0, v27
	s_cbranch_execz .LBB275_730
; %bb.723:                              ;   in Loop: Header=BB275_557 Depth=1
	v_mov_b32_e32 v25, 0x8000
	s_mov_b32 s22, exec_lo
	v_cmpx_ne_u16_e32 0x80, v27
	s_cbranch_execz .LBB275_729
; %bb.724:                              ;   in Loop: Header=BB275_557 Depth=1
	v_and_b32_e32 v28, 0x7f, v23
	v_mov_b32_e32 v25, 0x7c01
	s_mov_b32 s23, exec_lo
	s_delay_alu instid0(VALU_DEP_2)
	v_cmpx_ne_u32_e32 0x7f, v28
	s_cbranch_execz .LBB275_728
; %bb.725:                              ;   in Loop: Header=BB275_557 Depth=1
	v_dual_lshrrev_b32 v27, 3, v28 :: v_dual_bitop2_b32 v25, 7, v23 bitop3:0x40
	s_mov_b32 s24, exec_lo
	v_cmpx_gt_u32_e32 8, v28
; %bb.726:                              ;   in Loop: Header=BB275_557 Depth=1
	s_delay_alu instid0(VALU_DEP_2) | instskip(NEXT) | instid1(VALU_DEP_1)
	v_clz_i32_u32_e32 v25, v25
	v_min_u32_e32 v25, 32, v25
	s_delay_alu instid0(VALU_DEP_1) | instskip(NEXT) | instid1(VALU_DEP_1)
	v_subrev_nc_u32_e32 v27, 28, v25
	v_lshlrev_b64_e32 v[54:55], v27, v[12:13]
	s_delay_alu instid0(VALU_DEP_1)
	v_dual_sub_nc_u32 v27, 29, v25 :: v_dual_bitop2_b32 v25, 7, v54 bitop3:0x40
; %bb.727:                              ;   in Loop: Header=BB275_557 Depth=1
	s_or_b32 exec_lo, exec_lo, s24
	s_delay_alu instid0(VALU_DEP_1) | instskip(NEXT) | instid1(VALU_DEP_2)
	v_dual_lshlrev_b32 v28, 8, v23 :: v_dual_lshlrev_b32 v25, 7, v25
	v_lshl_add_u32 v27, v27, 10, 0x2000
	s_delay_alu instid0(VALU_DEP_2) | instskip(NEXT) | instid1(VALU_DEP_2)
	v_and_b32_e32 v28, 0x8000, v28
	v_and_b32_e32 v27, 0xfc00, v27
	s_delay_alu instid0(VALU_DEP_1)
	v_or3_b32 v25, v28, v27, v25
.LBB275_728:                            ;   in Loop: Header=BB275_557 Depth=1
	s_or_b32 exec_lo, exec_lo, s23
.LBB275_729:                            ;   in Loop: Header=BB275_557 Depth=1
	s_delay_alu instid0(SALU_CYCLE_1)
	s_or_b32 exec_lo, exec_lo, s22
.LBB275_730:                            ;   in Loop: Header=BB275_557 Depth=1
	s_delay_alu instid0(SALU_CYCLE_1) | instskip(SKIP_3) | instid1(VALU_DEP_2)
	s_or_b32 exec_lo, exec_lo, s21
	v_lshrrev_b16 v12, 8, v12
	v_mov_b32_e32 v27, 0
	s_mov_b32 s21, exec_lo
	v_cmpx_ne_u16_e32 0, v12
	s_cbranch_execz .LBB275_738
; %bb.731:                              ;   in Loop: Header=BB275_557 Depth=1
	v_bfrev_b32_e32 v27, 1
	s_mov_b32 s22, exec_lo
	v_cmpx_ne_u16_e32 0x80, v12
	s_cbranch_execz .LBB275_737
; %bb.732:                              ;   in Loop: Header=BB275_557 Depth=1
	v_and_b32_e32 v28, 0xffff, v12
	v_mov_b32_e32 v27, 0x7c010000
	s_mov_b32 s23, exec_lo
	s_delay_alu instid0(VALU_DEP_2) | instskip(NEXT) | instid1(VALU_DEP_1)
	v_and_b32_e32 v44, 0x7f, v28
	v_cmpx_ne_u32_e32 0x7f, v44
	s_cbranch_execz .LBB275_736
; %bb.733:                              ;   in Loop: Header=BB275_557 Depth=1
	v_and_b32_e32 v27, 7, v28
	v_lshrrev_b32_e32 v43, 3, v44
	s_mov_b32 s24, exec_lo
	v_cmpx_gt_u32_e32 8, v44
; %bb.734:                              ;   in Loop: Header=BB275_557 Depth=1
	s_delay_alu instid0(VALU_DEP_3) | instskip(NEXT) | instid1(VALU_DEP_1)
	v_clz_i32_u32_e32 v27, v27
	v_min_u32_e32 v27, 32, v27
	s_delay_alu instid0(VALU_DEP_1) | instskip(NEXT) | instid1(VALU_DEP_1)
	v_subrev_nc_u32_e32 v43, 28, v27
	v_lshlrev_b64_e32 v[54:55], v43, v[12:13]
	s_delay_alu instid0(VALU_DEP_1)
	v_dual_sub_nc_u32 v43, 29, v27 :: v_dual_bitop2_b32 v27, 7, v54 bitop3:0x40
; %bb.735:                              ;   in Loop: Header=BB275_557 Depth=1
	s_or_b32 exec_lo, exec_lo, s24
	s_delay_alu instid0(VALU_DEP_1) | instskip(NEXT) | instid1(VALU_DEP_2)
	v_dual_lshlrev_b32 v12, 8, v28 :: v_dual_lshlrev_b32 v27, 23, v27
	v_lshl_add_u32 v28, v43, 10, 0x2000
	s_delay_alu instid0(VALU_DEP_1) | instskip(NEXT) | instid1(VALU_DEP_1)
	v_and_or_b32 v12, 0x8000, v12, v28
	v_lshl_or_b32 v27, v12, 16, v27
.LBB275_736:                            ;   in Loop: Header=BB275_557 Depth=1
	s_or_b32 exec_lo, exec_lo, s23
.LBB275_737:                            ;   in Loop: Header=BB275_557 Depth=1
	s_delay_alu instid0(SALU_CYCLE_1)
	s_or_b32 exec_lo, exec_lo, s22
.LBB275_738:                            ;   in Loop: Header=BB275_557 Depth=1
	s_delay_alu instid0(SALU_CYCLE_1) | instskip(SKIP_2) | instid1(VALU_DEP_1)
	s_or_b32 exec_lo, exec_lo, s21
	v_lshrrev_b32_e32 v12, 16, v23
	s_mov_b32 s21, exec_lo
	v_and_b32_e32 v28, 0xff, v12
	s_delay_alu instid0(VALU_DEP_1)
	v_cmpx_ne_u16_e32 0, v28
	s_cbranch_execz .LBB275_746
; %bb.739:                              ;   in Loop: Header=BB275_557 Depth=1
	v_mov_b32_e32 v26, 0x8000
	s_mov_b32 s22, exec_lo
	v_cmpx_ne_u16_e32 0x80, v28
	s_cbranch_execz .LBB275_745
; %bb.740:                              ;   in Loop: Header=BB275_557 Depth=1
	v_bfe_u32 v43, v23, 16, 7
	v_mov_b32_e32 v26, 0x7c01
	s_mov_b32 s23, exec_lo
	s_delay_alu instid0(VALU_DEP_2)
	v_cmpx_ne_u32_e32 0x7f, v43
	s_cbranch_execz .LBB275_744
; %bb.741:                              ;   in Loop: Header=BB275_557 Depth=1
	v_dual_lshrrev_b32 v28, 3, v43 :: v_dual_bitop2_b32 v26, 7, v12 bitop3:0x40
	s_mov_b32 s24, exec_lo
	v_cmpx_gt_u32_e32 8, v43
; %bb.742:                              ;   in Loop: Header=BB275_557 Depth=1
	s_delay_alu instid0(VALU_DEP_2) | instskip(NEXT) | instid1(VALU_DEP_1)
	v_clz_i32_u32_e32 v26, v26
	v_min_u32_e32 v26, 32, v26
	s_delay_alu instid0(VALU_DEP_1) | instskip(NEXT) | instid1(VALU_DEP_1)
	v_subrev_nc_u32_e32 v28, 28, v26
	v_lshlrev_b64_e32 v[54:55], v28, v[12:13]
	v_sub_nc_u32_e32 v28, 29, v26
	s_delay_alu instid0(VALU_DEP_2)
	v_and_b32_e32 v26, 7, v54
; %bb.743:                              ;   in Loop: Header=BB275_557 Depth=1
	s_or_b32 exec_lo, exec_lo, s24
	s_delay_alu instid0(VALU_DEP_1) | instskip(NEXT) | instid1(VALU_DEP_3)
	v_dual_lshlrev_b32 v12, 8, v12 :: v_dual_lshlrev_b32 v26, 7, v26
	v_lshl_add_u32 v28, v28, 10, 0x2000
	s_delay_alu instid0(VALU_DEP_2) | instskip(NEXT) | instid1(VALU_DEP_2)
	v_and_b32_e32 v12, 0x8000, v12
	v_and_b32_e32 v28, 0xfc00, v28
	s_delay_alu instid0(VALU_DEP_1)
	v_or3_b32 v26, v12, v28, v26
.LBB275_744:                            ;   in Loop: Header=BB275_557 Depth=1
	s_or_b32 exec_lo, exec_lo, s23
.LBB275_745:                            ;   in Loop: Header=BB275_557 Depth=1
	s_delay_alu instid0(SALU_CYCLE_1)
	s_or_b32 exec_lo, exec_lo, s22
.LBB275_746:                            ;   in Loop: Header=BB275_557 Depth=1
	s_delay_alu instid0(SALU_CYCLE_1)
	s_or_b32 exec_lo, exec_lo, s21
	v_cmp_lt_u64_e64 s0, s[4:5], v[22:23]
	v_mov_b32_e32 v22, 0
	s_and_saveexec_b32 s21, s0
	s_cbranch_execz .LBB275_754
; %bb.747:                              ;   in Loop: Header=BB275_557 Depth=1
	v_lshrrev_b32_e32 v12, 24, v23
	v_bfrev_b32_e32 v22, 1
	s_mov_b32 s22, exec_lo
	s_delay_alu instid0(VALU_DEP_2)
	v_cmpx_ne_u32_e32 0x80, v12
	s_cbranch_execz .LBB275_753
; %bb.748:                              ;   in Loop: Header=BB275_557 Depth=1
	v_and_b32_e32 v28, 0x7f, v12
	v_mov_b32_e32 v22, 0x7c010000
	s_mov_b32 s23, exec_lo
	s_delay_alu instid0(VALU_DEP_2)
	v_cmpx_ne_u32_e32 0x7f, v28
	s_cbranch_execz .LBB275_752
; %bb.749:                              ;   in Loop: Header=BB275_557 Depth=1
	v_and_b32_e32 v22, 7, v12
	v_lshrrev_b32_e32 v23, 3, v28
	s_mov_b32 s24, exec_lo
	v_cmpx_gt_u32_e32 8, v28
; %bb.750:                              ;   in Loop: Header=BB275_557 Depth=1
	s_delay_alu instid0(VALU_DEP_3) | instskip(NEXT) | instid1(VALU_DEP_1)
	v_clz_i32_u32_e32 v22, v22
	v_min_u32_e32 v28, 32, v22
	s_delay_alu instid0(VALU_DEP_1) | instskip(NEXT) | instid1(VALU_DEP_1)
	v_subrev_nc_u32_e32 v22, 28, v28
	v_lshlrev_b64_e32 v[22:23], v22, v[12:13]
	s_delay_alu instid0(VALU_DEP_1)
	v_dual_sub_nc_u32 v23, 29, v28 :: v_dual_bitop2_b32 v22, 7, v22 bitop3:0x40
; %bb.751:                              ;   in Loop: Header=BB275_557 Depth=1
	s_or_b32 exec_lo, exec_lo, s24
	s_delay_alu instid0(VALU_DEP_1) | instskip(NEXT) | instid1(VALU_DEP_2)
	v_dual_lshlrev_b32 v12, 8, v12 :: v_dual_lshlrev_b32 v22, 23, v22
	v_lshl_add_u32 v23, v23, 10, 0x2000
	s_delay_alu instid0(VALU_DEP_1) | instskip(NEXT) | instid1(VALU_DEP_1)
	v_and_or_b32 v12, 0x8000, v12, v23
	v_lshl_or_b32 v22, v12, 16, v22
.LBB275_752:                            ;   in Loop: Header=BB275_557 Depth=1
	s_or_b32 exec_lo, exec_lo, s23
.LBB275_753:                            ;   in Loop: Header=BB275_557 Depth=1
	s_delay_alu instid0(SALU_CYCLE_1)
	s_or_b32 exec_lo, exec_lo, s22
.LBB275_754:                            ;   in Loop: Header=BB275_557 Depth=1
	s_delay_alu instid0(SALU_CYCLE_1) | instskip(SKIP_3) | instid1(VALU_DEP_3)
	s_or_b32 exec_lo, exec_lo, s21
	v_dual_lshrrev_b32 v12, 16, v1 :: v_dual_bitop2_b32 v1, v1, v7 bitop3:0x54
	v_dual_lshrrev_b32 v23, 16, v21 :: v_dual_bitop2_b32 v7, v21, v24 bitop3:0x54
	v_lshrrev_b32_e32 v24, 16, v22
	v_cvt_f32_f16_e32 v55, v12
	v_dual_lshrrev_b32 v21, 16, v27 :: v_dual_bitop2_b32 v12, v22, v26 bitop3:0x54
	s_delay_alu instid0(VALU_DEP_4)
	v_cvt_f32_f16_e32 v54, v23
	v_cvt_f32_f16_e32 v22, v7
	v_or_b32_e32 v7, v27, v25
	v_cvt_f32_f16_e32 v23, v1
	v_cvt_f32_f16_e32 v25, v21
	s_wait_loadcnt 0x0
	v_pk_mul_f32 v[54:55], v[20:21], v[54:55] op_sel_hi:[0,1]
	v_cvt_f32_f16_e32 v24, v24
	v_cvt_f32_f16_e32 v26, v12
	;; [unrolled: 1-line block ×3, first 2 shown]
	v_pk_mul_f32 v[22:23], v[20:21], v[22:23] op_sel_hi:[0,1]
	v_cvt_pk_f16_f32 v1, v54, v55
	v_pk_mul_f32 v[24:25], v[20:21], v[24:25] op_sel_hi:[0,1]
	s_delay_alu instid0(VALU_DEP_4) | instskip(NEXT) | instid1(VALU_DEP_4)
	v_pk_mul_f32 v[26:27], v[20:21], v[26:27] op_sel_hi:[0,1]
	v_cvt_pk_f16_f32 v7, v22, v23
	s_delay_alu instid0(VALU_DEP_4) | instskip(NEXT) | instid1(VALU_DEP_4)
	v_and_b32_e32 v21, 0xffff0000, v1
	v_cvt_pk_f16_f32 v12, v24, v25
	v_lshlrev_b32_e32 v22, 16, v1
	v_cvt_pk_f16_f32 v20, v26, v27
	v_lshrrev_b32_e32 v27, 16, v7
	v_and_b32_e32 v28, 0xffff, v7
	v_and_b32_e32 v1, 0xffff0000, v12
	s_delay_alu instid0(VALU_DEP_3) | instskip(SKIP_3) | instid1(VALU_DEP_2)
	v_dual_lshlrev_b32 v12, 16, v12 :: v_dual_bitop2_b32 v25, v21, v27 bitop3:0x54
	v_lshrrev_b32_e32 v7, 16, v20
	v_and_b32_e32 v20, 0xffff, v20
	v_or_b32_e32 v26, v22, v28
	v_or_b32_e32 v24, v12, v20
	s_delay_alu instid0(VALU_DEP_4)
	v_or_b32_e32 v23, v1, v7
	s_and_saveexec_b32 s21, vcc_lo
	s_cbranch_execz .LBB275_756
; %bb.755:                              ;   in Loop: Header=BB275_557 Depth=1
	v_cmp_gt_i32_e64 s0, s14, v35
	s_delay_alu instid0(VALU_DEP_1) | instskip(SKIP_1) | instid1(VALU_DEP_1)
	v_cndmask_b32_e64 v23, 0, v27, s0
	v_cmp_gt_i32_e64 s0, s34, v42
	v_cndmask_b32_e64 v24, 0, v28, s0
	v_cmp_gt_i32_e64 s0, s14, v41
	s_delay_alu instid0(VALU_DEP_1) | instskip(SKIP_1) | instid1(VALU_DEP_1)
	v_cndmask_b32_e64 v21, 0, v21, s0
	v_cmp_gt_i32_e64 s0, s34, v40
	v_cndmask_b32_e64 v22, 0, v22, s0
	v_cmp_gt_i32_e64 s0, s14, v39
	s_delay_alu instid0(VALU_DEP_4) | instskip(NEXT) | instid1(VALU_DEP_2)
	v_or_b32_e32 v25, v21, v23
	v_dual_cndmask_b32 v7, 0, v7, s0 :: v_dual_bitop2_b32 v26, v22, v24 bitop3:0x54
	v_cmp_gt_i32_e64 s0, s34, v38
	s_delay_alu instid0(VALU_DEP_1) | instskip(SKIP_1) | instid1(VALU_DEP_1)
	v_cndmask_b32_e64 v20, 0, v20, s0
	v_cmp_gt_i32_e64 s0, s14, v37
	v_cndmask_b32_e64 v1, 0, v1, s0
	v_cmp_gt_i32_e64 s0, s34, v36
	s_delay_alu instid0(VALU_DEP_1) | instskip(NEXT) | instid1(VALU_DEP_1)
	v_dual_cndmask_b32 v12, 0, v12, s0 :: v_dual_bitop2_b32 v23, v1, v7 bitop3:0x54
	v_or_b32_e32 v24, v12, v20
.LBB275_756:                            ;   in Loop: Header=BB275_557 Depth=1
	s_or_b32 exec_lo, exec_lo, s21
	;;#ASMSTART
	v_pk_mul_f16 v1, v49, v25;

	;;#ASMEND
	;;#ASMSTART
	v_pk_mul_f16 v7, v47, v26;

	;;#ASMEND
	;; [unrolled: 4-line block ×4, first 2 shown]
	;;#ASMSTART
	v_pk_add_f16 v1, v1, v7;

	;;#ASMEND
	;;#ASMSTART
	v_pk_add_f16 v1, v1, v12;

	;;#ASMEND
	;; [unrolled: 4-line block ×3, first 2 shown]
	v_and_b32_e32 v7, 0xffff, v1
	v_lshrrev_b32_e32 v1, 16, v1
	;;#ASMSTART
	v_cvt_f32_f16 v53, v7;
	;;#ASMEND
	v_mov_b32_e32 v7, 0
	;;#ASMSTART
	v_cvt_f32_f16 v54, v1;
	;;#ASMEND
	global_load_b64 v[22:23], v[18:19], off offset:768
	v_mov_b32_e32 v1, 0
	s_mov_b32 s21, exec_lo
	global_load_b32 v20, v1, s[10:11]
	s_wait_loadcnt 0x1
	v_and_b32_e32 v12, 0xff, v22
	s_wait_xcnt 0x0
	s_delay_alu instid0(VALU_DEP_1)
	v_cmpx_ne_u16_e32 0, v12
	s_cbranch_execz .LBB275_764
; %bb.757:                              ;   in Loop: Header=BB275_557 Depth=1
	v_mov_b32_e32 v7, 0x8000
	s_mov_b32 s22, exec_lo
	v_cmpx_ne_u16_e32 0x80, v12
	s_cbranch_execz .LBB275_763
; %bb.758:                              ;   in Loop: Header=BB275_557 Depth=1
	v_and_b32_e32 v21, 0x7f, v22
	v_mov_b32_e32 v7, 0x7c01
	s_mov_b32 s23, exec_lo
	s_delay_alu instid0(VALU_DEP_2)
	v_cmpx_ne_u32_e32 0x7f, v21
	s_cbranch_execz .LBB275_762
; %bb.759:                              ;   in Loop: Header=BB275_557 Depth=1
	v_dual_lshrrev_b32 v12, 3, v21 :: v_dual_bitop2_b32 v7, 7, v22 bitop3:0x40
	s_mov_b32 s24, exec_lo
	v_cmpx_gt_u32_e32 8, v21
; %bb.760:                              ;   in Loop: Header=BB275_557 Depth=1
	s_delay_alu instid0(VALU_DEP_2) | instskip(NEXT) | instid1(VALU_DEP_1)
	v_clz_i32_u32_e32 v7, v7
	v_min_u32_e32 v7, 32, v7
	s_delay_alu instid0(VALU_DEP_1) | instskip(NEXT) | instid1(VALU_DEP_1)
	v_subrev_nc_u32_e32 v12, 28, v7
	v_lshlrev_b64_e32 v[24:25], v12, v[22:23]
	s_delay_alu instid0(VALU_DEP_1)
	v_dual_sub_nc_u32 v12, 29, v7 :: v_dual_bitop2_b32 v7, 7, v24 bitop3:0x40
; %bb.761:                              ;   in Loop: Header=BB275_557 Depth=1
	s_or_b32 exec_lo, exec_lo, s24
	s_delay_alu instid0(VALU_DEP_1) | instskip(NEXT) | instid1(VALU_DEP_2)
	v_dual_lshlrev_b32 v21, 8, v22 :: v_dual_lshlrev_b32 v7, 7, v7
	v_lshl_add_u32 v12, v12, 10, 0x2000
	s_delay_alu instid0(VALU_DEP_2) | instskip(NEXT) | instid1(VALU_DEP_2)
	v_and_b32_e32 v21, 0x8000, v21
	v_and_b32_e32 v12, 0xfc00, v12
	s_delay_alu instid0(VALU_DEP_1)
	v_or3_b32 v7, v21, v12, v7
.LBB275_762:                            ;   in Loop: Header=BB275_557 Depth=1
	s_or_b32 exec_lo, exec_lo, s23
.LBB275_763:                            ;   in Loop: Header=BB275_557 Depth=1
	s_delay_alu instid0(SALU_CYCLE_1)
	s_or_b32 exec_lo, exec_lo, s22
.LBB275_764:                            ;   in Loop: Header=BB275_557 Depth=1
	s_delay_alu instid0(SALU_CYCLE_1) | instskip(SKIP_2) | instid1(VALU_DEP_1)
	s_or_b32 exec_lo, exec_lo, s21
	v_lshrrev_b16 v12, 8, v22
	s_mov_b32 s21, exec_lo
	v_cmpx_ne_u16_e32 0, v12
	s_cbranch_execz .LBB275_772
; %bb.765:                              ;   in Loop: Header=BB275_557 Depth=1
	v_bfrev_b32_e32 v1, 1
	s_mov_b32 s22, exec_lo
	v_cmpx_ne_u16_e32 0x80, v12
	s_cbranch_execz .LBB275_771
; %bb.766:                              ;   in Loop: Header=BB275_557 Depth=1
	v_and_b32_e32 v21, 0xffff, v12
	v_mov_b32_e32 v1, 0x7c010000
	s_mov_b32 s23, exec_lo
	s_delay_alu instid0(VALU_DEP_2) | instskip(NEXT) | instid1(VALU_DEP_1)
	v_and_b32_e32 v25, 0x7f, v21
	v_cmpx_ne_u32_e32 0x7f, v25
	s_cbranch_execz .LBB275_770
; %bb.767:                              ;   in Loop: Header=BB275_557 Depth=1
	v_and_b32_e32 v1, 7, v21
	v_lshrrev_b32_e32 v24, 3, v25
	s_mov_b32 s24, exec_lo
	v_cmpx_gt_u32_e32 8, v25
; %bb.768:                              ;   in Loop: Header=BB275_557 Depth=1
	s_delay_alu instid0(VALU_DEP_3) | instskip(NEXT) | instid1(VALU_DEP_1)
	v_clz_i32_u32_e32 v1, v1
	v_min_u32_e32 v1, 32, v1
	s_delay_alu instid0(VALU_DEP_1) | instskip(NEXT) | instid1(VALU_DEP_1)
	v_subrev_nc_u32_e32 v24, 28, v1
	v_lshlrev_b64_e32 v[26:27], v24, v[12:13]
	s_delay_alu instid0(VALU_DEP_1)
	v_dual_sub_nc_u32 v24, 29, v1 :: v_dual_bitop2_b32 v1, 7, v26 bitop3:0x40
; %bb.769:                              ;   in Loop: Header=BB275_557 Depth=1
	s_or_b32 exec_lo, exec_lo, s24
	v_lshlrev_b32_e32 v12, 8, v21
	s_delay_alu instid0(VALU_DEP_2) | instskip(NEXT) | instid1(VALU_DEP_3)
	v_lshl_add_u32 v21, v24, 10, 0x2000
	v_lshlrev_b32_e32 v1, 23, v1
	s_delay_alu instid0(VALU_DEP_2) | instskip(NEXT) | instid1(VALU_DEP_1)
	v_and_or_b32 v12, 0x8000, v12, v21
	v_lshl_or_b32 v1, v12, 16, v1
.LBB275_770:                            ;   in Loop: Header=BB275_557 Depth=1
	s_or_b32 exec_lo, exec_lo, s23
.LBB275_771:                            ;   in Loop: Header=BB275_557 Depth=1
	s_delay_alu instid0(SALU_CYCLE_1)
	s_or_b32 exec_lo, exec_lo, s22
.LBB275_772:                            ;   in Loop: Header=BB275_557 Depth=1
	s_delay_alu instid0(SALU_CYCLE_1) | instskip(SKIP_3) | instid1(VALU_DEP_2)
	s_or_b32 exec_lo, exec_lo, s21
	v_dual_mov_b32 v21, 0 :: v_dual_lshrrev_b32 v12, 16, v22
	v_mov_b32_e32 v24, 0
	s_mov_b32 s21, exec_lo
	v_and_b32_e32 v25, 0xff, v12
	s_delay_alu instid0(VALU_DEP_1)
	v_cmpx_ne_u16_e32 0, v25
	s_cbranch_execz .LBB275_780
; %bb.773:                              ;   in Loop: Header=BB275_557 Depth=1
	v_mov_b32_e32 v24, 0x8000
	s_mov_b32 s22, exec_lo
	v_cmpx_ne_u16_e32 0x80, v25
	s_cbranch_execz .LBB275_779
; %bb.774:                              ;   in Loop: Header=BB275_557 Depth=1
	v_bfe_u32 v26, v22, 16, 7
	v_mov_b32_e32 v24, 0x7c01
	s_mov_b32 s23, exec_lo
	s_delay_alu instid0(VALU_DEP_2)
	v_cmpx_ne_u32_e32 0x7f, v26
	s_cbranch_execz .LBB275_778
; %bb.775:                              ;   in Loop: Header=BB275_557 Depth=1
	v_dual_lshrrev_b32 v25, 3, v26 :: v_dual_bitop2_b32 v24, 7, v12 bitop3:0x40
	s_mov_b32 s24, exec_lo
	v_cmpx_gt_u32_e32 8, v26
; %bb.776:                              ;   in Loop: Header=BB275_557 Depth=1
	s_delay_alu instid0(VALU_DEP_2) | instskip(NEXT) | instid1(VALU_DEP_1)
	v_clz_i32_u32_e32 v24, v24
	v_min_u32_e32 v26, 32, v24
	s_delay_alu instid0(VALU_DEP_1) | instskip(NEXT) | instid1(VALU_DEP_1)
	v_subrev_nc_u32_e32 v24, 28, v26
	v_lshlrev_b64_e32 v[24:25], v24, v[12:13]
	s_delay_alu instid0(VALU_DEP_1)
	v_dual_sub_nc_u32 v25, 29, v26 :: v_dual_bitop2_b32 v24, 7, v24 bitop3:0x40
; %bb.777:                              ;   in Loop: Header=BB275_557 Depth=1
	s_or_b32 exec_lo, exec_lo, s24
	v_lshlrev_b32_e32 v12, 8, v12
	s_delay_alu instid0(VALU_DEP_2) | instskip(NEXT) | instid1(VALU_DEP_3)
	v_lshl_add_u32 v25, v25, 10, 0x2000
	v_lshlrev_b32_e32 v24, 7, v24
	s_delay_alu instid0(VALU_DEP_3) | instskip(NEXT) | instid1(VALU_DEP_3)
	v_and_b32_e32 v12, 0x8000, v12
	v_and_b32_e32 v25, 0xfc00, v25
	s_delay_alu instid0(VALU_DEP_1)
	v_or3_b32 v24, v12, v25, v24
.LBB275_778:                            ;   in Loop: Header=BB275_557 Depth=1
	s_or_b32 exec_lo, exec_lo, s23
.LBB275_779:                            ;   in Loop: Header=BB275_557 Depth=1
	s_delay_alu instid0(SALU_CYCLE_1)
	s_or_b32 exec_lo, exec_lo, s22
.LBB275_780:                            ;   in Loop: Header=BB275_557 Depth=1
	s_delay_alu instid0(SALU_CYCLE_1) | instskip(NEXT) | instid1(SALU_CYCLE_1)
	s_or_b32 exec_lo, exec_lo, s21
	s_mov_b32 s21, exec_lo
	v_cmpx_lt_u32_e32 0xffffff, v22
	s_cbranch_execz .LBB275_788
; %bb.781:                              ;   in Loop: Header=BB275_557 Depth=1
	v_lshrrev_b32_e32 v12, 24, v22
	v_bfrev_b32_e32 v21, 1
	s_mov_b32 s22, exec_lo
	s_delay_alu instid0(VALU_DEP_2)
	v_cmpx_ne_u32_e32 0x80, v12
	s_cbranch_execz .LBB275_787
; %bb.782:                              ;   in Loop: Header=BB275_557 Depth=1
	v_and_b32_e32 v26, 0x7f, v12
	v_mov_b32_e32 v21, 0x7c010000
	s_mov_b32 s23, exec_lo
	s_delay_alu instid0(VALU_DEP_2)
	v_cmpx_ne_u32_e32 0x7f, v26
	s_cbranch_execz .LBB275_786
; %bb.783:                              ;   in Loop: Header=BB275_557 Depth=1
	v_dual_lshrrev_b32 v25, 3, v26 :: v_dual_bitop2_b32 v21, 7, v12 bitop3:0x40
	s_mov_b32 s24, exec_lo
	v_cmpx_gt_u32_e32 8, v26
; %bb.784:                              ;   in Loop: Header=BB275_557 Depth=1
	s_delay_alu instid0(VALU_DEP_2) | instskip(NEXT) | instid1(VALU_DEP_1)
	v_clz_i32_u32_e32 v21, v21
	v_min_u32_e32 v21, 32, v21
	s_delay_alu instid0(VALU_DEP_1) | instskip(NEXT) | instid1(VALU_DEP_1)
	v_subrev_nc_u32_e32 v25, 28, v21
	v_lshlrev_b64_e32 v[26:27], v25, v[12:13]
	s_delay_alu instid0(VALU_DEP_1)
	v_dual_sub_nc_u32 v25, 29, v21 :: v_dual_bitop2_b32 v21, 7, v26 bitop3:0x40
; %bb.785:                              ;   in Loop: Header=BB275_557 Depth=1
	s_or_b32 exec_lo, exec_lo, s24
	s_delay_alu instid0(VALU_DEP_1) | instskip(NEXT) | instid1(VALU_DEP_2)
	v_dual_lshlrev_b32 v12, 8, v12 :: v_dual_lshlrev_b32 v21, 23, v21
	v_lshl_add_u32 v25, v25, 10, 0x2000
	s_delay_alu instid0(VALU_DEP_1) | instskip(NEXT) | instid1(VALU_DEP_1)
	v_and_or_b32 v12, 0x8000, v12, v25
	v_lshl_or_b32 v21, v12, 16, v21
.LBB275_786:                            ;   in Loop: Header=BB275_557 Depth=1
	s_or_b32 exec_lo, exec_lo, s23
.LBB275_787:                            ;   in Loop: Header=BB275_557 Depth=1
	s_delay_alu instid0(SALU_CYCLE_1)
	s_or_b32 exec_lo, exec_lo, s22
.LBB275_788:                            ;   in Loop: Header=BB275_557 Depth=1
	s_delay_alu instid0(SALU_CYCLE_1) | instskip(SKIP_4) | instid1(VALU_DEP_3)
	s_or_b32 exec_lo, exec_lo, s21
	v_and_b32_e32 v27, 0xff, v23
	v_dual_mov_b32 v12, v23 :: v_dual_mov_b32 v26, 0
	v_mov_b32_e32 v25, 0
	s_mov_b32 s21, exec_lo
	v_cmpx_ne_u16_e32 0, v27
	s_cbranch_execz .LBB275_796
; %bb.789:                              ;   in Loop: Header=BB275_557 Depth=1
	v_mov_b32_e32 v25, 0x8000
	s_mov_b32 s22, exec_lo
	v_cmpx_ne_u16_e32 0x80, v27
	s_cbranch_execz .LBB275_795
; %bb.790:                              ;   in Loop: Header=BB275_557 Depth=1
	v_and_b32_e32 v28, 0x7f, v23
	v_mov_b32_e32 v25, 0x7c01
	s_mov_b32 s23, exec_lo
	s_delay_alu instid0(VALU_DEP_2)
	v_cmpx_ne_u32_e32 0x7f, v28
	s_cbranch_execz .LBB275_794
; %bb.791:                              ;   in Loop: Header=BB275_557 Depth=1
	v_dual_lshrrev_b32 v27, 3, v28 :: v_dual_bitop2_b32 v25, 7, v23 bitop3:0x40
	s_mov_b32 s24, exec_lo
	v_cmpx_gt_u32_e32 8, v28
; %bb.792:                              ;   in Loop: Header=BB275_557 Depth=1
	s_delay_alu instid0(VALU_DEP_2) | instskip(NEXT) | instid1(VALU_DEP_1)
	v_clz_i32_u32_e32 v25, v25
	v_min_u32_e32 v25, 32, v25
	s_delay_alu instid0(VALU_DEP_1) | instskip(NEXT) | instid1(VALU_DEP_1)
	v_subrev_nc_u32_e32 v27, 28, v25
	v_lshlrev_b64_e32 v[56:57], v27, v[12:13]
	s_delay_alu instid0(VALU_DEP_1)
	v_dual_sub_nc_u32 v27, 29, v25 :: v_dual_bitop2_b32 v25, 7, v56 bitop3:0x40
; %bb.793:                              ;   in Loop: Header=BB275_557 Depth=1
	s_or_b32 exec_lo, exec_lo, s24
	s_delay_alu instid0(VALU_DEP_1) | instskip(NEXT) | instid1(VALU_DEP_2)
	v_dual_lshlrev_b32 v28, 8, v23 :: v_dual_lshlrev_b32 v25, 7, v25
	v_lshl_add_u32 v27, v27, 10, 0x2000
	s_delay_alu instid0(VALU_DEP_2) | instskip(NEXT) | instid1(VALU_DEP_2)
	v_and_b32_e32 v28, 0x8000, v28
	v_and_b32_e32 v27, 0xfc00, v27
	s_delay_alu instid0(VALU_DEP_1)
	v_or3_b32 v25, v28, v27, v25
.LBB275_794:                            ;   in Loop: Header=BB275_557 Depth=1
	s_or_b32 exec_lo, exec_lo, s23
.LBB275_795:                            ;   in Loop: Header=BB275_557 Depth=1
	s_delay_alu instid0(SALU_CYCLE_1)
	s_or_b32 exec_lo, exec_lo, s22
.LBB275_796:                            ;   in Loop: Header=BB275_557 Depth=1
	s_delay_alu instid0(SALU_CYCLE_1) | instskip(SKIP_3) | instid1(VALU_DEP_2)
	s_or_b32 exec_lo, exec_lo, s21
	v_lshrrev_b16 v12, 8, v12
	v_mov_b32_e32 v27, 0
	s_mov_b32 s21, exec_lo
	v_cmpx_ne_u16_e32 0, v12
	s_cbranch_execz .LBB275_804
; %bb.797:                              ;   in Loop: Header=BB275_557 Depth=1
	v_bfrev_b32_e32 v27, 1
	s_mov_b32 s22, exec_lo
	v_cmpx_ne_u16_e32 0x80, v12
	s_cbranch_execz .LBB275_803
; %bb.798:                              ;   in Loop: Header=BB275_557 Depth=1
	v_and_b32_e32 v28, 0xffff, v12
	v_mov_b32_e32 v27, 0x7c010000
	s_mov_b32 s23, exec_lo
	s_delay_alu instid0(VALU_DEP_2) | instskip(NEXT) | instid1(VALU_DEP_1)
	v_and_b32_e32 v44, 0x7f, v28
	v_cmpx_ne_u32_e32 0x7f, v44
	s_cbranch_execz .LBB275_802
; %bb.799:                              ;   in Loop: Header=BB275_557 Depth=1
	v_and_b32_e32 v27, 7, v28
	v_lshrrev_b32_e32 v43, 3, v44
	s_mov_b32 s24, exec_lo
	v_cmpx_gt_u32_e32 8, v44
; %bb.800:                              ;   in Loop: Header=BB275_557 Depth=1
	s_delay_alu instid0(VALU_DEP_3) | instskip(NEXT) | instid1(VALU_DEP_1)
	v_clz_i32_u32_e32 v27, v27
	v_min_u32_e32 v27, 32, v27
	s_delay_alu instid0(VALU_DEP_1) | instskip(NEXT) | instid1(VALU_DEP_1)
	v_subrev_nc_u32_e32 v43, 28, v27
	v_lshlrev_b64_e32 v[56:57], v43, v[12:13]
	s_delay_alu instid0(VALU_DEP_1)
	v_dual_sub_nc_u32 v43, 29, v27 :: v_dual_bitop2_b32 v27, 7, v56 bitop3:0x40
; %bb.801:                              ;   in Loop: Header=BB275_557 Depth=1
	s_or_b32 exec_lo, exec_lo, s24
	s_delay_alu instid0(VALU_DEP_1) | instskip(NEXT) | instid1(VALU_DEP_2)
	v_dual_lshlrev_b32 v12, 8, v28 :: v_dual_lshlrev_b32 v27, 23, v27
	v_lshl_add_u32 v28, v43, 10, 0x2000
	s_delay_alu instid0(VALU_DEP_1) | instskip(NEXT) | instid1(VALU_DEP_1)
	v_and_or_b32 v12, 0x8000, v12, v28
	v_lshl_or_b32 v27, v12, 16, v27
.LBB275_802:                            ;   in Loop: Header=BB275_557 Depth=1
	s_or_b32 exec_lo, exec_lo, s23
.LBB275_803:                            ;   in Loop: Header=BB275_557 Depth=1
	s_delay_alu instid0(SALU_CYCLE_1)
	s_or_b32 exec_lo, exec_lo, s22
.LBB275_804:                            ;   in Loop: Header=BB275_557 Depth=1
	s_delay_alu instid0(SALU_CYCLE_1) | instskip(SKIP_2) | instid1(VALU_DEP_1)
	s_or_b32 exec_lo, exec_lo, s21
	v_lshrrev_b32_e32 v12, 16, v23
	s_mov_b32 s21, exec_lo
	v_and_b32_e32 v28, 0xff, v12
	s_delay_alu instid0(VALU_DEP_1)
	v_cmpx_ne_u16_e32 0, v28
	s_cbranch_execz .LBB275_812
; %bb.805:                              ;   in Loop: Header=BB275_557 Depth=1
	v_mov_b32_e32 v26, 0x8000
	s_mov_b32 s22, exec_lo
	v_cmpx_ne_u16_e32 0x80, v28
	s_cbranch_execz .LBB275_811
; %bb.806:                              ;   in Loop: Header=BB275_557 Depth=1
	v_bfe_u32 v43, v23, 16, 7
	v_mov_b32_e32 v26, 0x7c01
	s_mov_b32 s23, exec_lo
	s_delay_alu instid0(VALU_DEP_2)
	v_cmpx_ne_u32_e32 0x7f, v43
	s_cbranch_execz .LBB275_810
; %bb.807:                              ;   in Loop: Header=BB275_557 Depth=1
	v_dual_lshrrev_b32 v28, 3, v43 :: v_dual_bitop2_b32 v26, 7, v12 bitop3:0x40
	s_mov_b32 s24, exec_lo
	v_cmpx_gt_u32_e32 8, v43
; %bb.808:                              ;   in Loop: Header=BB275_557 Depth=1
	s_delay_alu instid0(VALU_DEP_2) | instskip(NEXT) | instid1(VALU_DEP_1)
	v_clz_i32_u32_e32 v26, v26
	v_min_u32_e32 v26, 32, v26
	s_delay_alu instid0(VALU_DEP_1) | instskip(NEXT) | instid1(VALU_DEP_1)
	v_subrev_nc_u32_e32 v28, 28, v26
	v_lshlrev_b64_e32 v[56:57], v28, v[12:13]
	s_delay_alu instid0(VALU_DEP_1)
	v_dual_sub_nc_u32 v28, 29, v26 :: v_dual_bitop2_b32 v26, 7, v56 bitop3:0x40
; %bb.809:                              ;   in Loop: Header=BB275_557 Depth=1
	s_or_b32 exec_lo, exec_lo, s24
	s_delay_alu instid0(VALU_DEP_1) | instskip(NEXT) | instid1(VALU_DEP_2)
	v_dual_lshlrev_b32 v12, 8, v12 :: v_dual_lshlrev_b32 v26, 7, v26
	v_lshl_add_u32 v28, v28, 10, 0x2000
	s_delay_alu instid0(VALU_DEP_2) | instskip(NEXT) | instid1(VALU_DEP_2)
	v_and_b32_e32 v12, 0x8000, v12
	v_and_b32_e32 v28, 0xfc00, v28
	s_delay_alu instid0(VALU_DEP_1)
	v_or3_b32 v26, v12, v28, v26
.LBB275_810:                            ;   in Loop: Header=BB275_557 Depth=1
	s_or_b32 exec_lo, exec_lo, s23
.LBB275_811:                            ;   in Loop: Header=BB275_557 Depth=1
	s_delay_alu instid0(SALU_CYCLE_1)
	s_or_b32 exec_lo, exec_lo, s22
.LBB275_812:                            ;   in Loop: Header=BB275_557 Depth=1
	s_delay_alu instid0(SALU_CYCLE_1)
	s_or_b32 exec_lo, exec_lo, s21
	v_cmp_lt_u64_e64 s0, s[4:5], v[22:23]
	v_mov_b32_e32 v22, 0
	s_and_saveexec_b32 s21, s0
	s_cbranch_execz .LBB275_820
; %bb.813:                              ;   in Loop: Header=BB275_557 Depth=1
	v_lshrrev_b32_e32 v12, 24, v23
	v_bfrev_b32_e32 v22, 1
	s_mov_b32 s22, exec_lo
	s_delay_alu instid0(VALU_DEP_2)
	v_cmpx_ne_u32_e32 0x80, v12
	s_cbranch_execz .LBB275_819
; %bb.814:                              ;   in Loop: Header=BB275_557 Depth=1
	v_and_b32_e32 v28, 0x7f, v12
	v_mov_b32_e32 v22, 0x7c010000
	s_mov_b32 s23, exec_lo
	s_delay_alu instid0(VALU_DEP_2)
	v_cmpx_ne_u32_e32 0x7f, v28
	s_cbranch_execz .LBB275_818
; %bb.815:                              ;   in Loop: Header=BB275_557 Depth=1
	v_and_b32_e32 v22, 7, v12
	v_lshrrev_b32_e32 v23, 3, v28
	s_mov_b32 s24, exec_lo
	v_cmpx_gt_u32_e32 8, v28
; %bb.816:                              ;   in Loop: Header=BB275_557 Depth=1
	s_delay_alu instid0(VALU_DEP_3) | instskip(NEXT) | instid1(VALU_DEP_1)
	v_clz_i32_u32_e32 v22, v22
	v_min_u32_e32 v28, 32, v22
	s_delay_alu instid0(VALU_DEP_1) | instskip(NEXT) | instid1(VALU_DEP_1)
	v_subrev_nc_u32_e32 v22, 28, v28
	v_lshlrev_b64_e32 v[22:23], v22, v[12:13]
	s_delay_alu instid0(VALU_DEP_1)
	v_dual_sub_nc_u32 v23, 29, v28 :: v_dual_bitop2_b32 v22, 7, v22 bitop3:0x40
; %bb.817:                              ;   in Loop: Header=BB275_557 Depth=1
	s_or_b32 exec_lo, exec_lo, s24
	s_delay_alu instid0(VALU_DEP_1) | instskip(NEXT) | instid1(VALU_DEP_2)
	v_dual_lshlrev_b32 v12, 8, v12 :: v_dual_lshlrev_b32 v22, 23, v22
	v_lshl_add_u32 v23, v23, 10, 0x2000
	s_delay_alu instid0(VALU_DEP_1) | instskip(NEXT) | instid1(VALU_DEP_1)
	v_and_or_b32 v12, 0x8000, v12, v23
	v_lshl_or_b32 v22, v12, 16, v22
.LBB275_818:                            ;   in Loop: Header=BB275_557 Depth=1
	s_or_b32 exec_lo, exec_lo, s23
.LBB275_819:                            ;   in Loop: Header=BB275_557 Depth=1
	s_delay_alu instid0(SALU_CYCLE_1)
	s_or_b32 exec_lo, exec_lo, s22
.LBB275_820:                            ;   in Loop: Header=BB275_557 Depth=1
	s_delay_alu instid0(SALU_CYCLE_1) | instskip(SKIP_3) | instid1(VALU_DEP_3)
	s_or_b32 exec_lo, exec_lo, s21
	v_dual_lshrrev_b32 v12, 16, v1 :: v_dual_bitop2_b32 v1, v1, v7 bitop3:0x54
	v_dual_lshrrev_b32 v23, 16, v21 :: v_dual_bitop2_b32 v7, v21, v24 bitop3:0x54
	v_lshrrev_b32_e32 v24, 16, v22
	v_cvt_f32_f16_e32 v57, v12
	v_dual_lshrrev_b32 v21, 16, v27 :: v_dual_bitop2_b32 v12, v22, v26 bitop3:0x54
	s_delay_alu instid0(VALU_DEP_4)
	v_cvt_f32_f16_e32 v56, v23
	v_cvt_f32_f16_e32 v22, v7
	v_or_b32_e32 v7, v27, v25
	v_cvt_f32_f16_e32 v23, v1
	v_cvt_f32_f16_e32 v25, v21
	s_wait_loadcnt 0x0
	v_pk_mul_f32 v[56:57], v[20:21], v[56:57] op_sel_hi:[0,1]
	v_cvt_f32_f16_e32 v24, v24
	v_cvt_f32_f16_e32 v26, v12
	;; [unrolled: 1-line block ×3, first 2 shown]
	v_pk_mul_f32 v[22:23], v[20:21], v[22:23] op_sel_hi:[0,1]
	v_cvt_pk_f16_f32 v1, v56, v57
	v_pk_mul_f32 v[24:25], v[20:21], v[24:25] op_sel_hi:[0,1]
	s_delay_alu instid0(VALU_DEP_4) | instskip(NEXT) | instid1(VALU_DEP_4)
	v_pk_mul_f32 v[26:27], v[20:21], v[26:27] op_sel_hi:[0,1]
	v_cvt_pk_f16_f32 v7, v22, v23
	s_delay_alu instid0(VALU_DEP_4) | instskip(NEXT) | instid1(VALU_DEP_4)
	v_and_b32_e32 v21, 0xffff0000, v1
	v_cvt_pk_f16_f32 v12, v24, v25
	v_lshlrev_b32_e32 v22, 16, v1
	v_cvt_pk_f16_f32 v20, v26, v27
	v_lshrrev_b32_e32 v27, 16, v7
	v_and_b32_e32 v28, 0xffff, v7
	v_and_b32_e32 v1, 0xffff0000, v12
	s_delay_alu instid0(VALU_DEP_3) | instskip(SKIP_3) | instid1(VALU_DEP_2)
	v_dual_lshlrev_b32 v12, 16, v12 :: v_dual_bitop2_b32 v25, v21, v27 bitop3:0x54
	v_lshrrev_b32_e32 v7, 16, v20
	v_and_b32_e32 v20, 0xffff, v20
	v_or_b32_e32 v26, v22, v28
	v_or_b32_e32 v24, v12, v20
	s_delay_alu instid0(VALU_DEP_4)
	v_or_b32_e32 v23, v1, v7
	s_and_saveexec_b32 s21, vcc_lo
	s_cbranch_execz .LBB275_822
; %bb.821:                              ;   in Loop: Header=BB275_557 Depth=1
	v_cmp_gt_i32_e64 s0, s14, v35
	s_delay_alu instid0(VALU_DEP_1) | instskip(SKIP_1) | instid1(VALU_DEP_1)
	v_cndmask_b32_e64 v23, 0, v27, s0
	v_cmp_gt_i32_e64 s0, s34, v42
	v_cndmask_b32_e64 v24, 0, v28, s0
	v_cmp_gt_i32_e64 s0, s14, v41
	s_delay_alu instid0(VALU_DEP_1) | instskip(SKIP_1) | instid1(VALU_DEP_1)
	v_cndmask_b32_e64 v21, 0, v21, s0
	v_cmp_gt_i32_e64 s0, s34, v40
	v_cndmask_b32_e64 v22, 0, v22, s0
	v_cmp_gt_i32_e64 s0, s14, v39
	s_delay_alu instid0(VALU_DEP_4) | instskip(NEXT) | instid1(VALU_DEP_2)
	v_or_b32_e32 v25, v21, v23
	v_dual_cndmask_b32 v7, 0, v7, s0 :: v_dual_bitop2_b32 v26, v22, v24 bitop3:0x54
	v_cmp_gt_i32_e64 s0, s34, v38
	s_delay_alu instid0(VALU_DEP_1) | instskip(SKIP_1) | instid1(VALU_DEP_1)
	v_cndmask_b32_e64 v20, 0, v20, s0
	v_cmp_gt_i32_e64 s0, s14, v37
	v_cndmask_b32_e64 v1, 0, v1, s0
	v_cmp_gt_i32_e64 s0, s34, v36
	s_delay_alu instid0(VALU_DEP_1) | instskip(NEXT) | instid1(VALU_DEP_1)
	v_dual_cndmask_b32 v12, 0, v12, s0 :: v_dual_bitop2_b32 v23, v1, v7 bitop3:0x54
	v_or_b32_e32 v24, v12, v20
.LBB275_822:                            ;   in Loop: Header=BB275_557 Depth=1
	s_or_b32 exec_lo, exec_lo, s21
	;;#ASMSTART
	v_pk_mul_f16 v1, v49, v25;

	;;#ASMEND
	;;#ASMSTART
	v_pk_mul_f16 v7, v47, v26;

	;;#ASMEND
	;; [unrolled: 4-line block ×4, first 2 shown]
	;;#ASMSTART
	v_pk_add_f16 v1, v1, v7;

	;;#ASMEND
	;;#ASMSTART
	v_pk_add_f16 v1, v1, v12;

	;;#ASMEND
	;; [unrolled: 4-line block ×3, first 2 shown]
	v_and_b32_e32 v7, 0xffff, v1
	v_lshrrev_b32_e32 v1, 16, v1
	;;#ASMSTART
	v_cvt_f32_f16 v55, v7;
	;;#ASMEND
	v_mov_b32_e32 v7, 0
	;;#ASMSTART
	v_cvt_f32_f16 v56, v1;
	;;#ASMEND
	global_load_b64 v[22:23], v[18:19], off offset:1024
	v_mov_b32_e32 v1, 0
	s_mov_b32 s21, exec_lo
	global_load_b32 v20, v1, s[10:11]
	s_wait_loadcnt 0x1
	v_and_b32_e32 v12, 0xff, v22
	s_wait_xcnt 0x0
	s_delay_alu instid0(VALU_DEP_1)
	v_cmpx_ne_u16_e32 0, v12
	s_cbranch_execz .LBB275_830
; %bb.823:                              ;   in Loop: Header=BB275_557 Depth=1
	v_mov_b32_e32 v7, 0x8000
	s_mov_b32 s22, exec_lo
	v_cmpx_ne_u16_e32 0x80, v12
	s_cbranch_execz .LBB275_829
; %bb.824:                              ;   in Loop: Header=BB275_557 Depth=1
	v_and_b32_e32 v21, 0x7f, v22
	v_mov_b32_e32 v7, 0x7c01
	s_mov_b32 s23, exec_lo
	s_delay_alu instid0(VALU_DEP_2)
	v_cmpx_ne_u32_e32 0x7f, v21
	s_cbranch_execz .LBB275_828
; %bb.825:                              ;   in Loop: Header=BB275_557 Depth=1
	v_dual_lshrrev_b32 v12, 3, v21 :: v_dual_bitop2_b32 v7, 7, v22 bitop3:0x40
	s_mov_b32 s24, exec_lo
	v_cmpx_gt_u32_e32 8, v21
; %bb.826:                              ;   in Loop: Header=BB275_557 Depth=1
	s_delay_alu instid0(VALU_DEP_2) | instskip(NEXT) | instid1(VALU_DEP_1)
	v_clz_i32_u32_e32 v7, v7
	v_min_u32_e32 v7, 32, v7
	s_delay_alu instid0(VALU_DEP_1) | instskip(NEXT) | instid1(VALU_DEP_1)
	v_subrev_nc_u32_e32 v12, 28, v7
	v_lshlrev_b64_e32 v[24:25], v12, v[22:23]
	s_delay_alu instid0(VALU_DEP_1)
	v_dual_sub_nc_u32 v12, 29, v7 :: v_dual_bitop2_b32 v7, 7, v24 bitop3:0x40
; %bb.827:                              ;   in Loop: Header=BB275_557 Depth=1
	s_or_b32 exec_lo, exec_lo, s24
	s_delay_alu instid0(VALU_DEP_1) | instskip(NEXT) | instid1(VALU_DEP_2)
	v_dual_lshlrev_b32 v21, 8, v22 :: v_dual_lshlrev_b32 v7, 7, v7
	v_lshl_add_u32 v12, v12, 10, 0x2000
	s_delay_alu instid0(VALU_DEP_2) | instskip(NEXT) | instid1(VALU_DEP_2)
	v_and_b32_e32 v21, 0x8000, v21
	v_and_b32_e32 v12, 0xfc00, v12
	s_delay_alu instid0(VALU_DEP_1)
	v_or3_b32 v7, v21, v12, v7
.LBB275_828:                            ;   in Loop: Header=BB275_557 Depth=1
	s_or_b32 exec_lo, exec_lo, s23
.LBB275_829:                            ;   in Loop: Header=BB275_557 Depth=1
	s_delay_alu instid0(SALU_CYCLE_1)
	s_or_b32 exec_lo, exec_lo, s22
.LBB275_830:                            ;   in Loop: Header=BB275_557 Depth=1
	s_delay_alu instid0(SALU_CYCLE_1) | instskip(SKIP_2) | instid1(VALU_DEP_1)
	s_or_b32 exec_lo, exec_lo, s21
	v_lshrrev_b16 v12, 8, v22
	s_mov_b32 s21, exec_lo
	v_cmpx_ne_u16_e32 0, v12
	s_cbranch_execz .LBB275_838
; %bb.831:                              ;   in Loop: Header=BB275_557 Depth=1
	v_bfrev_b32_e32 v1, 1
	s_mov_b32 s22, exec_lo
	v_cmpx_ne_u16_e32 0x80, v12
	s_cbranch_execz .LBB275_837
; %bb.832:                              ;   in Loop: Header=BB275_557 Depth=1
	v_and_b32_e32 v21, 0xffff, v12
	v_mov_b32_e32 v1, 0x7c010000
	s_mov_b32 s23, exec_lo
	s_delay_alu instid0(VALU_DEP_2) | instskip(NEXT) | instid1(VALU_DEP_1)
	v_and_b32_e32 v25, 0x7f, v21
	v_cmpx_ne_u32_e32 0x7f, v25
	s_cbranch_execz .LBB275_836
; %bb.833:                              ;   in Loop: Header=BB275_557 Depth=1
	v_and_b32_e32 v1, 7, v21
	v_lshrrev_b32_e32 v24, 3, v25
	s_mov_b32 s24, exec_lo
	v_cmpx_gt_u32_e32 8, v25
; %bb.834:                              ;   in Loop: Header=BB275_557 Depth=1
	s_delay_alu instid0(VALU_DEP_3) | instskip(NEXT) | instid1(VALU_DEP_1)
	v_clz_i32_u32_e32 v1, v1
	v_min_u32_e32 v1, 32, v1
	s_delay_alu instid0(VALU_DEP_1) | instskip(NEXT) | instid1(VALU_DEP_1)
	v_subrev_nc_u32_e32 v24, 28, v1
	v_lshlrev_b64_e32 v[26:27], v24, v[12:13]
	s_delay_alu instid0(VALU_DEP_1)
	v_dual_sub_nc_u32 v24, 29, v1 :: v_dual_bitop2_b32 v1, 7, v26 bitop3:0x40
; %bb.835:                              ;   in Loop: Header=BB275_557 Depth=1
	s_or_b32 exec_lo, exec_lo, s24
	v_lshlrev_b32_e32 v12, 8, v21
	s_delay_alu instid0(VALU_DEP_2) | instskip(NEXT) | instid1(VALU_DEP_3)
	v_lshl_add_u32 v21, v24, 10, 0x2000
	v_lshlrev_b32_e32 v1, 23, v1
	s_delay_alu instid0(VALU_DEP_2) | instskip(NEXT) | instid1(VALU_DEP_1)
	v_and_or_b32 v12, 0x8000, v12, v21
	v_lshl_or_b32 v1, v12, 16, v1
.LBB275_836:                            ;   in Loop: Header=BB275_557 Depth=1
	s_or_b32 exec_lo, exec_lo, s23
.LBB275_837:                            ;   in Loop: Header=BB275_557 Depth=1
	s_delay_alu instid0(SALU_CYCLE_1)
	s_or_b32 exec_lo, exec_lo, s22
.LBB275_838:                            ;   in Loop: Header=BB275_557 Depth=1
	s_delay_alu instid0(SALU_CYCLE_1) | instskip(SKIP_3) | instid1(VALU_DEP_2)
	s_or_b32 exec_lo, exec_lo, s21
	v_dual_mov_b32 v21, 0 :: v_dual_lshrrev_b32 v12, 16, v22
	v_mov_b32_e32 v24, 0
	s_mov_b32 s21, exec_lo
	v_and_b32_e32 v25, 0xff, v12
	s_delay_alu instid0(VALU_DEP_1)
	v_cmpx_ne_u16_e32 0, v25
	s_cbranch_execz .LBB275_846
; %bb.839:                              ;   in Loop: Header=BB275_557 Depth=1
	v_mov_b32_e32 v24, 0x8000
	s_mov_b32 s22, exec_lo
	v_cmpx_ne_u16_e32 0x80, v25
	s_cbranch_execz .LBB275_845
; %bb.840:                              ;   in Loop: Header=BB275_557 Depth=1
	v_bfe_u32 v26, v22, 16, 7
	v_mov_b32_e32 v24, 0x7c01
	s_mov_b32 s23, exec_lo
	s_delay_alu instid0(VALU_DEP_2)
	v_cmpx_ne_u32_e32 0x7f, v26
	s_cbranch_execz .LBB275_844
; %bb.841:                              ;   in Loop: Header=BB275_557 Depth=1
	v_dual_lshrrev_b32 v25, 3, v26 :: v_dual_bitop2_b32 v24, 7, v12 bitop3:0x40
	s_mov_b32 s24, exec_lo
	v_cmpx_gt_u32_e32 8, v26
; %bb.842:                              ;   in Loop: Header=BB275_557 Depth=1
	s_delay_alu instid0(VALU_DEP_2) | instskip(NEXT) | instid1(VALU_DEP_1)
	v_clz_i32_u32_e32 v24, v24
	v_min_u32_e32 v26, 32, v24
	s_delay_alu instid0(VALU_DEP_1) | instskip(NEXT) | instid1(VALU_DEP_1)
	v_subrev_nc_u32_e32 v24, 28, v26
	v_lshlrev_b64_e32 v[24:25], v24, v[12:13]
	s_delay_alu instid0(VALU_DEP_1)
	v_dual_sub_nc_u32 v25, 29, v26 :: v_dual_bitop2_b32 v24, 7, v24 bitop3:0x40
; %bb.843:                              ;   in Loop: Header=BB275_557 Depth=1
	s_or_b32 exec_lo, exec_lo, s24
	v_lshlrev_b32_e32 v12, 8, v12
	s_delay_alu instid0(VALU_DEP_2) | instskip(NEXT) | instid1(VALU_DEP_3)
	v_lshl_add_u32 v25, v25, 10, 0x2000
	v_lshlrev_b32_e32 v24, 7, v24
	s_delay_alu instid0(VALU_DEP_3) | instskip(NEXT) | instid1(VALU_DEP_3)
	v_and_b32_e32 v12, 0x8000, v12
	v_and_b32_e32 v25, 0xfc00, v25
	s_delay_alu instid0(VALU_DEP_1)
	v_or3_b32 v24, v12, v25, v24
.LBB275_844:                            ;   in Loop: Header=BB275_557 Depth=1
	s_or_b32 exec_lo, exec_lo, s23
.LBB275_845:                            ;   in Loop: Header=BB275_557 Depth=1
	s_delay_alu instid0(SALU_CYCLE_1)
	s_or_b32 exec_lo, exec_lo, s22
.LBB275_846:                            ;   in Loop: Header=BB275_557 Depth=1
	s_delay_alu instid0(SALU_CYCLE_1) | instskip(NEXT) | instid1(SALU_CYCLE_1)
	s_or_b32 exec_lo, exec_lo, s21
	s_mov_b32 s21, exec_lo
	v_cmpx_lt_u32_e32 0xffffff, v22
	s_cbranch_execz .LBB275_854
; %bb.847:                              ;   in Loop: Header=BB275_557 Depth=1
	v_lshrrev_b32_e32 v12, 24, v22
	v_bfrev_b32_e32 v21, 1
	s_mov_b32 s22, exec_lo
	s_delay_alu instid0(VALU_DEP_2)
	v_cmpx_ne_u32_e32 0x80, v12
	s_cbranch_execz .LBB275_853
; %bb.848:                              ;   in Loop: Header=BB275_557 Depth=1
	v_and_b32_e32 v26, 0x7f, v12
	v_mov_b32_e32 v21, 0x7c010000
	s_mov_b32 s23, exec_lo
	s_delay_alu instid0(VALU_DEP_2)
	v_cmpx_ne_u32_e32 0x7f, v26
	s_cbranch_execz .LBB275_852
; %bb.849:                              ;   in Loop: Header=BB275_557 Depth=1
	v_dual_lshrrev_b32 v25, 3, v26 :: v_dual_bitop2_b32 v21, 7, v12 bitop3:0x40
	s_mov_b32 s24, exec_lo
	v_cmpx_gt_u32_e32 8, v26
; %bb.850:                              ;   in Loop: Header=BB275_557 Depth=1
	s_delay_alu instid0(VALU_DEP_2) | instskip(NEXT) | instid1(VALU_DEP_1)
	v_clz_i32_u32_e32 v21, v21
	v_min_u32_e32 v21, 32, v21
	s_delay_alu instid0(VALU_DEP_1) | instskip(NEXT) | instid1(VALU_DEP_1)
	v_subrev_nc_u32_e32 v25, 28, v21
	v_lshlrev_b64_e32 v[26:27], v25, v[12:13]
	s_delay_alu instid0(VALU_DEP_1)
	v_dual_sub_nc_u32 v25, 29, v21 :: v_dual_bitop2_b32 v21, 7, v26 bitop3:0x40
; %bb.851:                              ;   in Loop: Header=BB275_557 Depth=1
	s_or_b32 exec_lo, exec_lo, s24
	s_delay_alu instid0(VALU_DEP_1) | instskip(NEXT) | instid1(VALU_DEP_2)
	v_dual_lshlrev_b32 v12, 8, v12 :: v_dual_lshlrev_b32 v21, 23, v21
	v_lshl_add_u32 v25, v25, 10, 0x2000
	s_delay_alu instid0(VALU_DEP_1) | instskip(NEXT) | instid1(VALU_DEP_1)
	v_and_or_b32 v12, 0x8000, v12, v25
	v_lshl_or_b32 v21, v12, 16, v21
.LBB275_852:                            ;   in Loop: Header=BB275_557 Depth=1
	s_or_b32 exec_lo, exec_lo, s23
.LBB275_853:                            ;   in Loop: Header=BB275_557 Depth=1
	s_delay_alu instid0(SALU_CYCLE_1)
	s_or_b32 exec_lo, exec_lo, s22
.LBB275_854:                            ;   in Loop: Header=BB275_557 Depth=1
	s_delay_alu instid0(SALU_CYCLE_1) | instskip(SKIP_4) | instid1(VALU_DEP_3)
	s_or_b32 exec_lo, exec_lo, s21
	v_and_b32_e32 v27, 0xff, v23
	v_dual_mov_b32 v12, v23 :: v_dual_mov_b32 v26, 0
	v_mov_b32_e32 v25, 0
	s_mov_b32 s21, exec_lo
	v_cmpx_ne_u16_e32 0, v27
	s_cbranch_execz .LBB275_862
; %bb.855:                              ;   in Loop: Header=BB275_557 Depth=1
	v_mov_b32_e32 v25, 0x8000
	s_mov_b32 s22, exec_lo
	v_cmpx_ne_u16_e32 0x80, v27
	s_cbranch_execz .LBB275_861
; %bb.856:                              ;   in Loop: Header=BB275_557 Depth=1
	v_and_b32_e32 v28, 0x7f, v23
	v_mov_b32_e32 v25, 0x7c01
	s_mov_b32 s23, exec_lo
	s_delay_alu instid0(VALU_DEP_2)
	v_cmpx_ne_u32_e32 0x7f, v28
	s_cbranch_execz .LBB275_860
; %bb.857:                              ;   in Loop: Header=BB275_557 Depth=1
	v_dual_lshrrev_b32 v27, 3, v28 :: v_dual_bitop2_b32 v25, 7, v23 bitop3:0x40
	s_mov_b32 s24, exec_lo
	v_cmpx_gt_u32_e32 8, v28
; %bb.858:                              ;   in Loop: Header=BB275_557 Depth=1
	s_delay_alu instid0(VALU_DEP_2) | instskip(NEXT) | instid1(VALU_DEP_1)
	v_clz_i32_u32_e32 v25, v25
	v_min_u32_e32 v25, 32, v25
	s_delay_alu instid0(VALU_DEP_1) | instskip(NEXT) | instid1(VALU_DEP_1)
	v_subrev_nc_u32_e32 v27, 28, v25
	v_lshlrev_b64_e32 v[58:59], v27, v[12:13]
	s_delay_alu instid0(VALU_DEP_1)
	v_dual_sub_nc_u32 v27, 29, v25 :: v_dual_bitop2_b32 v25, 7, v58 bitop3:0x40
; %bb.859:                              ;   in Loop: Header=BB275_557 Depth=1
	s_or_b32 exec_lo, exec_lo, s24
	s_delay_alu instid0(VALU_DEP_1) | instskip(NEXT) | instid1(VALU_DEP_2)
	v_dual_lshlrev_b32 v28, 8, v23 :: v_dual_lshlrev_b32 v25, 7, v25
	v_lshl_add_u32 v27, v27, 10, 0x2000
	s_delay_alu instid0(VALU_DEP_2) | instskip(NEXT) | instid1(VALU_DEP_2)
	v_and_b32_e32 v28, 0x8000, v28
	v_and_b32_e32 v27, 0xfc00, v27
	s_delay_alu instid0(VALU_DEP_1)
	v_or3_b32 v25, v28, v27, v25
.LBB275_860:                            ;   in Loop: Header=BB275_557 Depth=1
	s_or_b32 exec_lo, exec_lo, s23
.LBB275_861:                            ;   in Loop: Header=BB275_557 Depth=1
	s_delay_alu instid0(SALU_CYCLE_1)
	s_or_b32 exec_lo, exec_lo, s22
.LBB275_862:                            ;   in Loop: Header=BB275_557 Depth=1
	s_delay_alu instid0(SALU_CYCLE_1) | instskip(SKIP_3) | instid1(VALU_DEP_2)
	s_or_b32 exec_lo, exec_lo, s21
	v_lshrrev_b16 v12, 8, v12
	v_mov_b32_e32 v27, 0
	s_mov_b32 s21, exec_lo
	v_cmpx_ne_u16_e32 0, v12
	s_cbranch_execz .LBB275_870
; %bb.863:                              ;   in Loop: Header=BB275_557 Depth=1
	v_bfrev_b32_e32 v27, 1
	s_mov_b32 s22, exec_lo
	v_cmpx_ne_u16_e32 0x80, v12
	s_cbranch_execz .LBB275_869
; %bb.864:                              ;   in Loop: Header=BB275_557 Depth=1
	v_and_b32_e32 v28, 0xffff, v12
	v_mov_b32_e32 v27, 0x7c010000
	s_mov_b32 s23, exec_lo
	s_delay_alu instid0(VALU_DEP_2) | instskip(NEXT) | instid1(VALU_DEP_1)
	v_and_b32_e32 v44, 0x7f, v28
	v_cmpx_ne_u32_e32 0x7f, v44
	s_cbranch_execz .LBB275_868
; %bb.865:                              ;   in Loop: Header=BB275_557 Depth=1
	v_and_b32_e32 v27, 7, v28
	v_lshrrev_b32_e32 v43, 3, v44
	s_mov_b32 s24, exec_lo
	v_cmpx_gt_u32_e32 8, v44
; %bb.866:                              ;   in Loop: Header=BB275_557 Depth=1
	s_delay_alu instid0(VALU_DEP_3) | instskip(NEXT) | instid1(VALU_DEP_1)
	v_clz_i32_u32_e32 v27, v27
	v_min_u32_e32 v27, 32, v27
	s_delay_alu instid0(VALU_DEP_1) | instskip(NEXT) | instid1(VALU_DEP_1)
	v_subrev_nc_u32_e32 v43, 28, v27
	v_lshlrev_b64_e32 v[58:59], v43, v[12:13]
	s_delay_alu instid0(VALU_DEP_1)
	v_dual_sub_nc_u32 v43, 29, v27 :: v_dual_bitop2_b32 v27, 7, v58 bitop3:0x40
; %bb.867:                              ;   in Loop: Header=BB275_557 Depth=1
	s_or_b32 exec_lo, exec_lo, s24
	s_delay_alu instid0(VALU_DEP_1) | instskip(NEXT) | instid1(VALU_DEP_2)
	v_dual_lshlrev_b32 v12, 8, v28 :: v_dual_lshlrev_b32 v27, 23, v27
	v_lshl_add_u32 v28, v43, 10, 0x2000
	s_delay_alu instid0(VALU_DEP_1) | instskip(NEXT) | instid1(VALU_DEP_1)
	v_and_or_b32 v12, 0x8000, v12, v28
	v_lshl_or_b32 v27, v12, 16, v27
.LBB275_868:                            ;   in Loop: Header=BB275_557 Depth=1
	s_or_b32 exec_lo, exec_lo, s23
.LBB275_869:                            ;   in Loop: Header=BB275_557 Depth=1
	s_delay_alu instid0(SALU_CYCLE_1)
	s_or_b32 exec_lo, exec_lo, s22
.LBB275_870:                            ;   in Loop: Header=BB275_557 Depth=1
	s_delay_alu instid0(SALU_CYCLE_1) | instskip(SKIP_2) | instid1(VALU_DEP_1)
	s_or_b32 exec_lo, exec_lo, s21
	v_lshrrev_b32_e32 v12, 16, v23
	s_mov_b32 s21, exec_lo
	v_and_b32_e32 v28, 0xff, v12
	s_delay_alu instid0(VALU_DEP_1)
	v_cmpx_ne_u16_e32 0, v28
	s_cbranch_execz .LBB275_878
; %bb.871:                              ;   in Loop: Header=BB275_557 Depth=1
	v_mov_b32_e32 v26, 0x8000
	s_mov_b32 s22, exec_lo
	v_cmpx_ne_u16_e32 0x80, v28
	s_cbranch_execz .LBB275_877
; %bb.872:                              ;   in Loop: Header=BB275_557 Depth=1
	v_bfe_u32 v43, v23, 16, 7
	v_mov_b32_e32 v26, 0x7c01
	s_mov_b32 s23, exec_lo
	s_delay_alu instid0(VALU_DEP_2)
	v_cmpx_ne_u32_e32 0x7f, v43
	s_cbranch_execz .LBB275_876
; %bb.873:                              ;   in Loop: Header=BB275_557 Depth=1
	v_dual_lshrrev_b32 v28, 3, v43 :: v_dual_bitop2_b32 v26, 7, v12 bitop3:0x40
	s_mov_b32 s24, exec_lo
	v_cmpx_gt_u32_e32 8, v43
; %bb.874:                              ;   in Loop: Header=BB275_557 Depth=1
	s_delay_alu instid0(VALU_DEP_2) | instskip(NEXT) | instid1(VALU_DEP_1)
	v_clz_i32_u32_e32 v26, v26
	v_min_u32_e32 v26, 32, v26
	s_delay_alu instid0(VALU_DEP_1) | instskip(NEXT) | instid1(VALU_DEP_1)
	v_subrev_nc_u32_e32 v28, 28, v26
	v_lshlrev_b64_e32 v[58:59], v28, v[12:13]
	v_sub_nc_u32_e32 v28, 29, v26
	s_delay_alu instid0(VALU_DEP_2)
	v_and_b32_e32 v26, 7, v58
; %bb.875:                              ;   in Loop: Header=BB275_557 Depth=1
	s_or_b32 exec_lo, exec_lo, s24
	s_delay_alu instid0(VALU_DEP_1) | instskip(NEXT) | instid1(VALU_DEP_3)
	v_dual_lshlrev_b32 v12, 8, v12 :: v_dual_lshlrev_b32 v26, 7, v26
	v_lshl_add_u32 v28, v28, 10, 0x2000
	s_delay_alu instid0(VALU_DEP_2) | instskip(NEXT) | instid1(VALU_DEP_2)
	v_and_b32_e32 v12, 0x8000, v12
	v_and_b32_e32 v28, 0xfc00, v28
	s_delay_alu instid0(VALU_DEP_1)
	v_or3_b32 v26, v12, v28, v26
.LBB275_876:                            ;   in Loop: Header=BB275_557 Depth=1
	s_or_b32 exec_lo, exec_lo, s23
.LBB275_877:                            ;   in Loop: Header=BB275_557 Depth=1
	s_delay_alu instid0(SALU_CYCLE_1)
	s_or_b32 exec_lo, exec_lo, s22
.LBB275_878:                            ;   in Loop: Header=BB275_557 Depth=1
	s_delay_alu instid0(SALU_CYCLE_1)
	s_or_b32 exec_lo, exec_lo, s21
	v_cmp_lt_u64_e64 s0, s[4:5], v[22:23]
	v_mov_b32_e32 v22, 0
	s_and_saveexec_b32 s21, s0
	s_cbranch_execz .LBB275_886
; %bb.879:                              ;   in Loop: Header=BB275_557 Depth=1
	v_lshrrev_b32_e32 v12, 24, v23
	v_bfrev_b32_e32 v22, 1
	s_mov_b32 s22, exec_lo
	s_delay_alu instid0(VALU_DEP_2)
	v_cmpx_ne_u32_e32 0x80, v12
	s_cbranch_execz .LBB275_885
; %bb.880:                              ;   in Loop: Header=BB275_557 Depth=1
	v_and_b32_e32 v28, 0x7f, v12
	v_mov_b32_e32 v22, 0x7c010000
	s_mov_b32 s23, exec_lo
	s_delay_alu instid0(VALU_DEP_2)
	v_cmpx_ne_u32_e32 0x7f, v28
	s_cbranch_execz .LBB275_884
; %bb.881:                              ;   in Loop: Header=BB275_557 Depth=1
	v_and_b32_e32 v22, 7, v12
	v_lshrrev_b32_e32 v23, 3, v28
	s_mov_b32 s24, exec_lo
	v_cmpx_gt_u32_e32 8, v28
; %bb.882:                              ;   in Loop: Header=BB275_557 Depth=1
	s_delay_alu instid0(VALU_DEP_3) | instskip(NEXT) | instid1(VALU_DEP_1)
	v_clz_i32_u32_e32 v22, v22
	v_min_u32_e32 v28, 32, v22
	s_delay_alu instid0(VALU_DEP_1) | instskip(NEXT) | instid1(VALU_DEP_1)
	v_subrev_nc_u32_e32 v22, 28, v28
	v_lshlrev_b64_e32 v[22:23], v22, v[12:13]
	s_delay_alu instid0(VALU_DEP_1)
	v_dual_sub_nc_u32 v23, 29, v28 :: v_dual_bitop2_b32 v22, 7, v22 bitop3:0x40
; %bb.883:                              ;   in Loop: Header=BB275_557 Depth=1
	s_or_b32 exec_lo, exec_lo, s24
	s_delay_alu instid0(VALU_DEP_1) | instskip(NEXT) | instid1(VALU_DEP_2)
	v_dual_lshlrev_b32 v12, 8, v12 :: v_dual_lshlrev_b32 v22, 23, v22
	v_lshl_add_u32 v23, v23, 10, 0x2000
	s_delay_alu instid0(VALU_DEP_1) | instskip(NEXT) | instid1(VALU_DEP_1)
	v_and_or_b32 v12, 0x8000, v12, v23
	v_lshl_or_b32 v22, v12, 16, v22
.LBB275_884:                            ;   in Loop: Header=BB275_557 Depth=1
	s_or_b32 exec_lo, exec_lo, s23
.LBB275_885:                            ;   in Loop: Header=BB275_557 Depth=1
	s_delay_alu instid0(SALU_CYCLE_1)
	s_or_b32 exec_lo, exec_lo, s22
.LBB275_886:                            ;   in Loop: Header=BB275_557 Depth=1
	s_delay_alu instid0(SALU_CYCLE_1) | instskip(SKIP_3) | instid1(VALU_DEP_3)
	s_or_b32 exec_lo, exec_lo, s21
	v_dual_lshrrev_b32 v12, 16, v1 :: v_dual_bitop2_b32 v1, v1, v7 bitop3:0x54
	v_dual_lshrrev_b32 v23, 16, v21 :: v_dual_bitop2_b32 v7, v21, v24 bitop3:0x54
	v_lshrrev_b32_e32 v24, 16, v22
	v_cvt_f32_f16_e32 v59, v12
	v_dual_lshrrev_b32 v21, 16, v27 :: v_dual_bitop2_b32 v12, v22, v26 bitop3:0x54
	s_delay_alu instid0(VALU_DEP_4)
	v_cvt_f32_f16_e32 v58, v23
	v_cvt_f32_f16_e32 v22, v7
	v_or_b32_e32 v7, v27, v25
	v_cvt_f32_f16_e32 v23, v1
	v_cvt_f32_f16_e32 v25, v21
	s_wait_loadcnt 0x0
	v_pk_mul_f32 v[58:59], v[20:21], v[58:59] op_sel_hi:[0,1]
	v_cvt_f32_f16_e32 v24, v24
	v_cvt_f32_f16_e32 v26, v12
	;; [unrolled: 1-line block ×3, first 2 shown]
	v_pk_mul_f32 v[22:23], v[20:21], v[22:23] op_sel_hi:[0,1]
	v_cvt_pk_f16_f32 v1, v58, v59
	v_pk_mul_f32 v[24:25], v[20:21], v[24:25] op_sel_hi:[0,1]
	s_delay_alu instid0(VALU_DEP_4) | instskip(NEXT) | instid1(VALU_DEP_4)
	v_pk_mul_f32 v[26:27], v[20:21], v[26:27] op_sel_hi:[0,1]
	v_cvt_pk_f16_f32 v7, v22, v23
	s_delay_alu instid0(VALU_DEP_4) | instskip(NEXT) | instid1(VALU_DEP_4)
	v_and_b32_e32 v21, 0xffff0000, v1
	v_cvt_pk_f16_f32 v12, v24, v25
	v_lshlrev_b32_e32 v22, 16, v1
	v_cvt_pk_f16_f32 v20, v26, v27
	v_lshrrev_b32_e32 v27, 16, v7
	v_and_b32_e32 v28, 0xffff, v7
	v_and_b32_e32 v1, 0xffff0000, v12
	s_delay_alu instid0(VALU_DEP_3) | instskip(SKIP_3) | instid1(VALU_DEP_2)
	v_dual_lshlrev_b32 v12, 16, v12 :: v_dual_bitop2_b32 v25, v21, v27 bitop3:0x54
	v_lshrrev_b32_e32 v7, 16, v20
	v_and_b32_e32 v20, 0xffff, v20
	v_or_b32_e32 v26, v22, v28
	v_or_b32_e32 v24, v12, v20
	s_delay_alu instid0(VALU_DEP_4)
	v_or_b32_e32 v23, v1, v7
	s_and_saveexec_b32 s21, vcc_lo
	s_cbranch_execz .LBB275_888
; %bb.887:                              ;   in Loop: Header=BB275_557 Depth=1
	v_cmp_gt_i32_e64 s0, s14, v35
	s_delay_alu instid0(VALU_DEP_1) | instskip(SKIP_1) | instid1(VALU_DEP_1)
	v_cndmask_b32_e64 v23, 0, v27, s0
	v_cmp_gt_i32_e64 s0, s34, v42
	v_cndmask_b32_e64 v24, 0, v28, s0
	v_cmp_gt_i32_e64 s0, s14, v41
	s_delay_alu instid0(VALU_DEP_1) | instskip(SKIP_1) | instid1(VALU_DEP_1)
	v_cndmask_b32_e64 v21, 0, v21, s0
	v_cmp_gt_i32_e64 s0, s34, v40
	v_cndmask_b32_e64 v22, 0, v22, s0
	v_cmp_gt_i32_e64 s0, s14, v39
	s_delay_alu instid0(VALU_DEP_4) | instskip(NEXT) | instid1(VALU_DEP_2)
	v_or_b32_e32 v25, v21, v23
	v_dual_cndmask_b32 v7, 0, v7, s0 :: v_dual_bitop2_b32 v26, v22, v24 bitop3:0x54
	v_cmp_gt_i32_e64 s0, s34, v38
	s_delay_alu instid0(VALU_DEP_1) | instskip(SKIP_1) | instid1(VALU_DEP_1)
	v_cndmask_b32_e64 v20, 0, v20, s0
	v_cmp_gt_i32_e64 s0, s14, v37
	v_cndmask_b32_e64 v1, 0, v1, s0
	v_cmp_gt_i32_e64 s0, s34, v36
	s_delay_alu instid0(VALU_DEP_1) | instskip(NEXT) | instid1(VALU_DEP_1)
	v_dual_cndmask_b32 v12, 0, v12, s0 :: v_dual_bitop2_b32 v23, v1, v7 bitop3:0x54
	v_or_b32_e32 v24, v12, v20
.LBB275_888:                            ;   in Loop: Header=BB275_557 Depth=1
	s_or_b32 exec_lo, exec_lo, s21
	;;#ASMSTART
	v_pk_mul_f16 v1, v49, v25;

	;;#ASMEND
	;;#ASMSTART
	v_pk_mul_f16 v7, v47, v26;

	;;#ASMEND
	;; [unrolled: 4-line block ×4, first 2 shown]
	;;#ASMSTART
	v_pk_add_f16 v1, v1, v7;

	;;#ASMEND
	;;#ASMSTART
	v_pk_add_f16 v1, v1, v12;

	;;#ASMEND
	;; [unrolled: 4-line block ×3, first 2 shown]
	v_and_b32_e32 v7, 0xffff, v1
	v_lshrrev_b32_e32 v1, 16, v1
	;;#ASMSTART
	v_cvt_f32_f16 v57, v7;
	;;#ASMEND
	v_mov_b32_e32 v7, 0
	;;#ASMSTART
	v_cvt_f32_f16 v58, v1;
	;;#ASMEND
	global_load_b64 v[22:23], v[18:19], off offset:1280
	v_mov_b32_e32 v1, 0
	s_mov_b32 s21, exec_lo
	global_load_b32 v20, v1, s[10:11]
	s_wait_loadcnt 0x1
	v_and_b32_e32 v12, 0xff, v22
	s_wait_xcnt 0x0
	s_delay_alu instid0(VALU_DEP_1)
	v_cmpx_ne_u16_e32 0, v12
	s_cbranch_execz .LBB275_896
; %bb.889:                              ;   in Loop: Header=BB275_557 Depth=1
	v_mov_b32_e32 v7, 0x8000
	s_mov_b32 s22, exec_lo
	v_cmpx_ne_u16_e32 0x80, v12
	s_cbranch_execz .LBB275_895
; %bb.890:                              ;   in Loop: Header=BB275_557 Depth=1
	v_and_b32_e32 v21, 0x7f, v22
	v_mov_b32_e32 v7, 0x7c01
	s_mov_b32 s23, exec_lo
	s_delay_alu instid0(VALU_DEP_2)
	v_cmpx_ne_u32_e32 0x7f, v21
	s_cbranch_execz .LBB275_894
; %bb.891:                              ;   in Loop: Header=BB275_557 Depth=1
	v_dual_lshrrev_b32 v12, 3, v21 :: v_dual_bitop2_b32 v7, 7, v22 bitop3:0x40
	s_mov_b32 s24, exec_lo
	v_cmpx_gt_u32_e32 8, v21
; %bb.892:                              ;   in Loop: Header=BB275_557 Depth=1
	s_delay_alu instid0(VALU_DEP_2) | instskip(NEXT) | instid1(VALU_DEP_1)
	v_clz_i32_u32_e32 v7, v7
	v_min_u32_e32 v7, 32, v7
	s_delay_alu instid0(VALU_DEP_1) | instskip(NEXT) | instid1(VALU_DEP_1)
	v_subrev_nc_u32_e32 v12, 28, v7
	v_lshlrev_b64_e32 v[24:25], v12, v[22:23]
	s_delay_alu instid0(VALU_DEP_1)
	v_dual_sub_nc_u32 v12, 29, v7 :: v_dual_bitop2_b32 v7, 7, v24 bitop3:0x40
; %bb.893:                              ;   in Loop: Header=BB275_557 Depth=1
	s_or_b32 exec_lo, exec_lo, s24
	s_delay_alu instid0(VALU_DEP_1) | instskip(NEXT) | instid1(VALU_DEP_2)
	v_dual_lshlrev_b32 v21, 8, v22 :: v_dual_lshlrev_b32 v7, 7, v7
	v_lshl_add_u32 v12, v12, 10, 0x2000
	s_delay_alu instid0(VALU_DEP_2) | instskip(NEXT) | instid1(VALU_DEP_2)
	v_and_b32_e32 v21, 0x8000, v21
	v_and_b32_e32 v12, 0xfc00, v12
	s_delay_alu instid0(VALU_DEP_1)
	v_or3_b32 v7, v21, v12, v7
.LBB275_894:                            ;   in Loop: Header=BB275_557 Depth=1
	s_or_b32 exec_lo, exec_lo, s23
.LBB275_895:                            ;   in Loop: Header=BB275_557 Depth=1
	s_delay_alu instid0(SALU_CYCLE_1)
	s_or_b32 exec_lo, exec_lo, s22
.LBB275_896:                            ;   in Loop: Header=BB275_557 Depth=1
	s_delay_alu instid0(SALU_CYCLE_1) | instskip(SKIP_2) | instid1(VALU_DEP_1)
	s_or_b32 exec_lo, exec_lo, s21
	v_lshrrev_b16 v12, 8, v22
	s_mov_b32 s21, exec_lo
	v_cmpx_ne_u16_e32 0, v12
	s_cbranch_execz .LBB275_904
; %bb.897:                              ;   in Loop: Header=BB275_557 Depth=1
	v_bfrev_b32_e32 v1, 1
	s_mov_b32 s22, exec_lo
	v_cmpx_ne_u16_e32 0x80, v12
	s_cbranch_execz .LBB275_903
; %bb.898:                              ;   in Loop: Header=BB275_557 Depth=1
	v_and_b32_e32 v21, 0xffff, v12
	v_mov_b32_e32 v1, 0x7c010000
	s_mov_b32 s23, exec_lo
	s_delay_alu instid0(VALU_DEP_2) | instskip(NEXT) | instid1(VALU_DEP_1)
	v_and_b32_e32 v25, 0x7f, v21
	v_cmpx_ne_u32_e32 0x7f, v25
	s_cbranch_execz .LBB275_902
; %bb.899:                              ;   in Loop: Header=BB275_557 Depth=1
	v_and_b32_e32 v1, 7, v21
	v_lshrrev_b32_e32 v24, 3, v25
	s_mov_b32 s24, exec_lo
	v_cmpx_gt_u32_e32 8, v25
; %bb.900:                              ;   in Loop: Header=BB275_557 Depth=1
	s_delay_alu instid0(VALU_DEP_3) | instskip(NEXT) | instid1(VALU_DEP_1)
	v_clz_i32_u32_e32 v1, v1
	v_min_u32_e32 v1, 32, v1
	s_delay_alu instid0(VALU_DEP_1) | instskip(NEXT) | instid1(VALU_DEP_1)
	v_subrev_nc_u32_e32 v24, 28, v1
	v_lshlrev_b64_e32 v[26:27], v24, v[12:13]
	s_delay_alu instid0(VALU_DEP_1)
	v_dual_sub_nc_u32 v24, 29, v1 :: v_dual_bitop2_b32 v1, 7, v26 bitop3:0x40
; %bb.901:                              ;   in Loop: Header=BB275_557 Depth=1
	s_or_b32 exec_lo, exec_lo, s24
	v_lshlrev_b32_e32 v12, 8, v21
	s_delay_alu instid0(VALU_DEP_2) | instskip(NEXT) | instid1(VALU_DEP_3)
	v_lshl_add_u32 v21, v24, 10, 0x2000
	v_lshlrev_b32_e32 v1, 23, v1
	s_delay_alu instid0(VALU_DEP_2) | instskip(NEXT) | instid1(VALU_DEP_1)
	v_and_or_b32 v12, 0x8000, v12, v21
	v_lshl_or_b32 v1, v12, 16, v1
.LBB275_902:                            ;   in Loop: Header=BB275_557 Depth=1
	s_or_b32 exec_lo, exec_lo, s23
.LBB275_903:                            ;   in Loop: Header=BB275_557 Depth=1
	s_delay_alu instid0(SALU_CYCLE_1)
	s_or_b32 exec_lo, exec_lo, s22
.LBB275_904:                            ;   in Loop: Header=BB275_557 Depth=1
	s_delay_alu instid0(SALU_CYCLE_1) | instskip(SKIP_3) | instid1(VALU_DEP_2)
	s_or_b32 exec_lo, exec_lo, s21
	v_dual_mov_b32 v21, 0 :: v_dual_lshrrev_b32 v12, 16, v22
	v_mov_b32_e32 v24, 0
	s_mov_b32 s21, exec_lo
	v_and_b32_e32 v25, 0xff, v12
	s_delay_alu instid0(VALU_DEP_1)
	v_cmpx_ne_u16_e32 0, v25
	s_cbranch_execz .LBB275_912
; %bb.905:                              ;   in Loop: Header=BB275_557 Depth=1
	v_mov_b32_e32 v24, 0x8000
	s_mov_b32 s22, exec_lo
	v_cmpx_ne_u16_e32 0x80, v25
	s_cbranch_execz .LBB275_911
; %bb.906:                              ;   in Loop: Header=BB275_557 Depth=1
	v_bfe_u32 v26, v22, 16, 7
	v_mov_b32_e32 v24, 0x7c01
	s_mov_b32 s23, exec_lo
	s_delay_alu instid0(VALU_DEP_2)
	v_cmpx_ne_u32_e32 0x7f, v26
	s_cbranch_execz .LBB275_910
; %bb.907:                              ;   in Loop: Header=BB275_557 Depth=1
	v_dual_lshrrev_b32 v25, 3, v26 :: v_dual_bitop2_b32 v24, 7, v12 bitop3:0x40
	s_mov_b32 s24, exec_lo
	v_cmpx_gt_u32_e32 8, v26
; %bb.908:                              ;   in Loop: Header=BB275_557 Depth=1
	s_delay_alu instid0(VALU_DEP_2) | instskip(NEXT) | instid1(VALU_DEP_1)
	v_clz_i32_u32_e32 v24, v24
	v_min_u32_e32 v26, 32, v24
	s_delay_alu instid0(VALU_DEP_1) | instskip(NEXT) | instid1(VALU_DEP_1)
	v_subrev_nc_u32_e32 v24, 28, v26
	v_lshlrev_b64_e32 v[24:25], v24, v[12:13]
	s_delay_alu instid0(VALU_DEP_1)
	v_dual_sub_nc_u32 v25, 29, v26 :: v_dual_bitop2_b32 v24, 7, v24 bitop3:0x40
; %bb.909:                              ;   in Loop: Header=BB275_557 Depth=1
	s_or_b32 exec_lo, exec_lo, s24
	v_lshlrev_b32_e32 v12, 8, v12
	s_delay_alu instid0(VALU_DEP_2) | instskip(NEXT) | instid1(VALU_DEP_3)
	v_lshl_add_u32 v25, v25, 10, 0x2000
	v_lshlrev_b32_e32 v24, 7, v24
	s_delay_alu instid0(VALU_DEP_3) | instskip(NEXT) | instid1(VALU_DEP_3)
	v_and_b32_e32 v12, 0x8000, v12
	v_and_b32_e32 v25, 0xfc00, v25
	s_delay_alu instid0(VALU_DEP_1)
	v_or3_b32 v24, v12, v25, v24
.LBB275_910:                            ;   in Loop: Header=BB275_557 Depth=1
	s_or_b32 exec_lo, exec_lo, s23
.LBB275_911:                            ;   in Loop: Header=BB275_557 Depth=1
	s_delay_alu instid0(SALU_CYCLE_1)
	s_or_b32 exec_lo, exec_lo, s22
.LBB275_912:                            ;   in Loop: Header=BB275_557 Depth=1
	s_delay_alu instid0(SALU_CYCLE_1) | instskip(NEXT) | instid1(SALU_CYCLE_1)
	s_or_b32 exec_lo, exec_lo, s21
	s_mov_b32 s21, exec_lo
	v_cmpx_lt_u32_e32 0xffffff, v22
	s_cbranch_execz .LBB275_920
; %bb.913:                              ;   in Loop: Header=BB275_557 Depth=1
	v_lshrrev_b32_e32 v12, 24, v22
	v_bfrev_b32_e32 v21, 1
	s_mov_b32 s22, exec_lo
	s_delay_alu instid0(VALU_DEP_2)
	v_cmpx_ne_u32_e32 0x80, v12
	s_cbranch_execz .LBB275_919
; %bb.914:                              ;   in Loop: Header=BB275_557 Depth=1
	v_and_b32_e32 v26, 0x7f, v12
	v_mov_b32_e32 v21, 0x7c010000
	s_mov_b32 s23, exec_lo
	s_delay_alu instid0(VALU_DEP_2)
	v_cmpx_ne_u32_e32 0x7f, v26
	s_cbranch_execz .LBB275_918
; %bb.915:                              ;   in Loop: Header=BB275_557 Depth=1
	v_dual_lshrrev_b32 v25, 3, v26 :: v_dual_bitop2_b32 v21, 7, v12 bitop3:0x40
	s_mov_b32 s24, exec_lo
	v_cmpx_gt_u32_e32 8, v26
; %bb.916:                              ;   in Loop: Header=BB275_557 Depth=1
	s_delay_alu instid0(VALU_DEP_2) | instskip(NEXT) | instid1(VALU_DEP_1)
	v_clz_i32_u32_e32 v21, v21
	v_min_u32_e32 v21, 32, v21
	s_delay_alu instid0(VALU_DEP_1) | instskip(NEXT) | instid1(VALU_DEP_1)
	v_subrev_nc_u32_e32 v25, 28, v21
	v_lshlrev_b64_e32 v[26:27], v25, v[12:13]
	s_delay_alu instid0(VALU_DEP_1)
	v_dual_sub_nc_u32 v25, 29, v21 :: v_dual_bitop2_b32 v21, 7, v26 bitop3:0x40
; %bb.917:                              ;   in Loop: Header=BB275_557 Depth=1
	s_or_b32 exec_lo, exec_lo, s24
	s_delay_alu instid0(VALU_DEP_1) | instskip(NEXT) | instid1(VALU_DEP_2)
	v_dual_lshlrev_b32 v12, 8, v12 :: v_dual_lshlrev_b32 v21, 23, v21
	v_lshl_add_u32 v25, v25, 10, 0x2000
	s_delay_alu instid0(VALU_DEP_1) | instskip(NEXT) | instid1(VALU_DEP_1)
	v_and_or_b32 v12, 0x8000, v12, v25
	v_lshl_or_b32 v21, v12, 16, v21
.LBB275_918:                            ;   in Loop: Header=BB275_557 Depth=1
	s_or_b32 exec_lo, exec_lo, s23
.LBB275_919:                            ;   in Loop: Header=BB275_557 Depth=1
	s_delay_alu instid0(SALU_CYCLE_1)
	s_or_b32 exec_lo, exec_lo, s22
.LBB275_920:                            ;   in Loop: Header=BB275_557 Depth=1
	s_delay_alu instid0(SALU_CYCLE_1) | instskip(SKIP_4) | instid1(VALU_DEP_3)
	s_or_b32 exec_lo, exec_lo, s21
	v_and_b32_e32 v27, 0xff, v23
	v_dual_mov_b32 v12, v23 :: v_dual_mov_b32 v26, 0
	v_mov_b32_e32 v25, 0
	s_mov_b32 s21, exec_lo
	v_cmpx_ne_u16_e32 0, v27
	s_cbranch_execz .LBB275_928
; %bb.921:                              ;   in Loop: Header=BB275_557 Depth=1
	v_mov_b32_e32 v25, 0x8000
	s_mov_b32 s22, exec_lo
	v_cmpx_ne_u16_e32 0x80, v27
	s_cbranch_execz .LBB275_927
; %bb.922:                              ;   in Loop: Header=BB275_557 Depth=1
	v_and_b32_e32 v28, 0x7f, v23
	v_mov_b32_e32 v25, 0x7c01
	s_mov_b32 s23, exec_lo
	s_delay_alu instid0(VALU_DEP_2)
	v_cmpx_ne_u32_e32 0x7f, v28
	s_cbranch_execz .LBB275_926
; %bb.923:                              ;   in Loop: Header=BB275_557 Depth=1
	v_dual_lshrrev_b32 v27, 3, v28 :: v_dual_bitop2_b32 v25, 7, v23 bitop3:0x40
	s_mov_b32 s24, exec_lo
	v_cmpx_gt_u32_e32 8, v28
; %bb.924:                              ;   in Loop: Header=BB275_557 Depth=1
	s_delay_alu instid0(VALU_DEP_2) | instskip(NEXT) | instid1(VALU_DEP_1)
	v_clz_i32_u32_e32 v25, v25
	v_min_u32_e32 v25, 32, v25
	s_delay_alu instid0(VALU_DEP_1) | instskip(NEXT) | instid1(VALU_DEP_1)
	v_subrev_nc_u32_e32 v27, 28, v25
	v_lshlrev_b64_e32 v[60:61], v27, v[12:13]
	s_delay_alu instid0(VALU_DEP_1)
	v_dual_sub_nc_u32 v27, 29, v25 :: v_dual_bitop2_b32 v25, 7, v60 bitop3:0x40
; %bb.925:                              ;   in Loop: Header=BB275_557 Depth=1
	s_or_b32 exec_lo, exec_lo, s24
	s_delay_alu instid0(VALU_DEP_1) | instskip(NEXT) | instid1(VALU_DEP_2)
	v_dual_lshlrev_b32 v28, 8, v23 :: v_dual_lshlrev_b32 v25, 7, v25
	v_lshl_add_u32 v27, v27, 10, 0x2000
	s_delay_alu instid0(VALU_DEP_2) | instskip(NEXT) | instid1(VALU_DEP_2)
	v_and_b32_e32 v28, 0x8000, v28
	v_and_b32_e32 v27, 0xfc00, v27
	s_delay_alu instid0(VALU_DEP_1)
	v_or3_b32 v25, v28, v27, v25
.LBB275_926:                            ;   in Loop: Header=BB275_557 Depth=1
	s_or_b32 exec_lo, exec_lo, s23
.LBB275_927:                            ;   in Loop: Header=BB275_557 Depth=1
	s_delay_alu instid0(SALU_CYCLE_1)
	s_or_b32 exec_lo, exec_lo, s22
.LBB275_928:                            ;   in Loop: Header=BB275_557 Depth=1
	s_delay_alu instid0(SALU_CYCLE_1) | instskip(SKIP_3) | instid1(VALU_DEP_2)
	s_or_b32 exec_lo, exec_lo, s21
	v_lshrrev_b16 v12, 8, v12
	v_mov_b32_e32 v27, 0
	s_mov_b32 s21, exec_lo
	v_cmpx_ne_u16_e32 0, v12
	s_cbranch_execz .LBB275_936
; %bb.929:                              ;   in Loop: Header=BB275_557 Depth=1
	v_bfrev_b32_e32 v27, 1
	s_mov_b32 s22, exec_lo
	v_cmpx_ne_u16_e32 0x80, v12
	s_cbranch_execz .LBB275_935
; %bb.930:                              ;   in Loop: Header=BB275_557 Depth=1
	v_and_b32_e32 v28, 0xffff, v12
	v_mov_b32_e32 v27, 0x7c010000
	s_mov_b32 s23, exec_lo
	s_delay_alu instid0(VALU_DEP_2) | instskip(NEXT) | instid1(VALU_DEP_1)
	v_and_b32_e32 v44, 0x7f, v28
	v_cmpx_ne_u32_e32 0x7f, v44
	s_cbranch_execz .LBB275_934
; %bb.931:                              ;   in Loop: Header=BB275_557 Depth=1
	v_and_b32_e32 v27, 7, v28
	v_lshrrev_b32_e32 v43, 3, v44
	s_mov_b32 s24, exec_lo
	v_cmpx_gt_u32_e32 8, v44
; %bb.932:                              ;   in Loop: Header=BB275_557 Depth=1
	s_delay_alu instid0(VALU_DEP_3) | instskip(NEXT) | instid1(VALU_DEP_1)
	v_clz_i32_u32_e32 v27, v27
	v_min_u32_e32 v27, 32, v27
	s_delay_alu instid0(VALU_DEP_1) | instskip(NEXT) | instid1(VALU_DEP_1)
	v_subrev_nc_u32_e32 v43, 28, v27
	v_lshlrev_b64_e32 v[60:61], v43, v[12:13]
	s_delay_alu instid0(VALU_DEP_1)
	v_dual_sub_nc_u32 v43, 29, v27 :: v_dual_bitop2_b32 v27, 7, v60 bitop3:0x40
; %bb.933:                              ;   in Loop: Header=BB275_557 Depth=1
	s_or_b32 exec_lo, exec_lo, s24
	s_delay_alu instid0(VALU_DEP_1) | instskip(NEXT) | instid1(VALU_DEP_2)
	v_dual_lshlrev_b32 v12, 8, v28 :: v_dual_lshlrev_b32 v27, 23, v27
	v_lshl_add_u32 v28, v43, 10, 0x2000
	s_delay_alu instid0(VALU_DEP_1) | instskip(NEXT) | instid1(VALU_DEP_1)
	v_and_or_b32 v12, 0x8000, v12, v28
	v_lshl_or_b32 v27, v12, 16, v27
.LBB275_934:                            ;   in Loop: Header=BB275_557 Depth=1
	s_or_b32 exec_lo, exec_lo, s23
.LBB275_935:                            ;   in Loop: Header=BB275_557 Depth=1
	s_delay_alu instid0(SALU_CYCLE_1)
	s_or_b32 exec_lo, exec_lo, s22
.LBB275_936:                            ;   in Loop: Header=BB275_557 Depth=1
	s_delay_alu instid0(SALU_CYCLE_1) | instskip(SKIP_2) | instid1(VALU_DEP_1)
	s_or_b32 exec_lo, exec_lo, s21
	v_lshrrev_b32_e32 v12, 16, v23
	s_mov_b32 s21, exec_lo
	v_and_b32_e32 v28, 0xff, v12
	s_delay_alu instid0(VALU_DEP_1)
	v_cmpx_ne_u16_e32 0, v28
	s_cbranch_execz .LBB275_944
; %bb.937:                              ;   in Loop: Header=BB275_557 Depth=1
	v_mov_b32_e32 v26, 0x8000
	s_mov_b32 s22, exec_lo
	v_cmpx_ne_u16_e32 0x80, v28
	s_cbranch_execz .LBB275_943
; %bb.938:                              ;   in Loop: Header=BB275_557 Depth=1
	v_bfe_u32 v43, v23, 16, 7
	v_mov_b32_e32 v26, 0x7c01
	s_mov_b32 s23, exec_lo
	s_delay_alu instid0(VALU_DEP_2)
	v_cmpx_ne_u32_e32 0x7f, v43
	s_cbranch_execz .LBB275_942
; %bb.939:                              ;   in Loop: Header=BB275_557 Depth=1
	v_dual_lshrrev_b32 v28, 3, v43 :: v_dual_bitop2_b32 v26, 7, v12 bitop3:0x40
	s_mov_b32 s24, exec_lo
	v_cmpx_gt_u32_e32 8, v43
; %bb.940:                              ;   in Loop: Header=BB275_557 Depth=1
	s_delay_alu instid0(VALU_DEP_2) | instskip(NEXT) | instid1(VALU_DEP_1)
	v_clz_i32_u32_e32 v26, v26
	v_min_u32_e32 v26, 32, v26
	s_delay_alu instid0(VALU_DEP_1) | instskip(NEXT) | instid1(VALU_DEP_1)
	v_subrev_nc_u32_e32 v28, 28, v26
	v_lshlrev_b64_e32 v[60:61], v28, v[12:13]
	s_delay_alu instid0(VALU_DEP_1)
	v_dual_sub_nc_u32 v28, 29, v26 :: v_dual_bitop2_b32 v26, 7, v60 bitop3:0x40
; %bb.941:                              ;   in Loop: Header=BB275_557 Depth=1
	s_or_b32 exec_lo, exec_lo, s24
	s_delay_alu instid0(VALU_DEP_1) | instskip(NEXT) | instid1(VALU_DEP_2)
	v_dual_lshlrev_b32 v12, 8, v12 :: v_dual_lshlrev_b32 v26, 7, v26
	v_lshl_add_u32 v28, v28, 10, 0x2000
	s_delay_alu instid0(VALU_DEP_2) | instskip(NEXT) | instid1(VALU_DEP_2)
	v_and_b32_e32 v12, 0x8000, v12
	v_and_b32_e32 v28, 0xfc00, v28
	s_delay_alu instid0(VALU_DEP_1)
	v_or3_b32 v26, v12, v28, v26
.LBB275_942:                            ;   in Loop: Header=BB275_557 Depth=1
	s_or_b32 exec_lo, exec_lo, s23
.LBB275_943:                            ;   in Loop: Header=BB275_557 Depth=1
	s_delay_alu instid0(SALU_CYCLE_1)
	s_or_b32 exec_lo, exec_lo, s22
.LBB275_944:                            ;   in Loop: Header=BB275_557 Depth=1
	s_delay_alu instid0(SALU_CYCLE_1)
	s_or_b32 exec_lo, exec_lo, s21
	v_cmp_lt_u64_e64 s0, s[4:5], v[22:23]
	v_mov_b32_e32 v22, 0
	s_and_saveexec_b32 s21, s0
	s_cbranch_execz .LBB275_952
; %bb.945:                              ;   in Loop: Header=BB275_557 Depth=1
	v_lshrrev_b32_e32 v12, 24, v23
	v_bfrev_b32_e32 v22, 1
	s_mov_b32 s22, exec_lo
	s_delay_alu instid0(VALU_DEP_2)
	v_cmpx_ne_u32_e32 0x80, v12
	s_cbranch_execz .LBB275_951
; %bb.946:                              ;   in Loop: Header=BB275_557 Depth=1
	v_and_b32_e32 v28, 0x7f, v12
	v_mov_b32_e32 v22, 0x7c010000
	s_mov_b32 s23, exec_lo
	s_delay_alu instid0(VALU_DEP_2)
	v_cmpx_ne_u32_e32 0x7f, v28
	s_cbranch_execz .LBB275_950
; %bb.947:                              ;   in Loop: Header=BB275_557 Depth=1
	v_and_b32_e32 v22, 7, v12
	v_lshrrev_b32_e32 v23, 3, v28
	s_mov_b32 s24, exec_lo
	v_cmpx_gt_u32_e32 8, v28
; %bb.948:                              ;   in Loop: Header=BB275_557 Depth=1
	s_delay_alu instid0(VALU_DEP_3) | instskip(NEXT) | instid1(VALU_DEP_1)
	v_clz_i32_u32_e32 v22, v22
	v_min_u32_e32 v28, 32, v22
	s_delay_alu instid0(VALU_DEP_1) | instskip(NEXT) | instid1(VALU_DEP_1)
	v_subrev_nc_u32_e32 v22, 28, v28
	v_lshlrev_b64_e32 v[22:23], v22, v[12:13]
	s_delay_alu instid0(VALU_DEP_1)
	v_dual_sub_nc_u32 v23, 29, v28 :: v_dual_bitop2_b32 v22, 7, v22 bitop3:0x40
; %bb.949:                              ;   in Loop: Header=BB275_557 Depth=1
	s_or_b32 exec_lo, exec_lo, s24
	s_delay_alu instid0(VALU_DEP_1) | instskip(NEXT) | instid1(VALU_DEP_2)
	v_dual_lshlrev_b32 v12, 8, v12 :: v_dual_lshlrev_b32 v22, 23, v22
	v_lshl_add_u32 v23, v23, 10, 0x2000
	s_delay_alu instid0(VALU_DEP_1) | instskip(NEXT) | instid1(VALU_DEP_1)
	v_and_or_b32 v12, 0x8000, v12, v23
	v_lshl_or_b32 v22, v12, 16, v22
.LBB275_950:                            ;   in Loop: Header=BB275_557 Depth=1
	s_or_b32 exec_lo, exec_lo, s23
.LBB275_951:                            ;   in Loop: Header=BB275_557 Depth=1
	s_delay_alu instid0(SALU_CYCLE_1)
	s_or_b32 exec_lo, exec_lo, s22
.LBB275_952:                            ;   in Loop: Header=BB275_557 Depth=1
	s_delay_alu instid0(SALU_CYCLE_1) | instskip(SKIP_3) | instid1(VALU_DEP_3)
	s_or_b32 exec_lo, exec_lo, s21
	v_dual_lshrrev_b32 v12, 16, v1 :: v_dual_bitop2_b32 v1, v1, v7 bitop3:0x54
	v_dual_lshrrev_b32 v23, 16, v21 :: v_dual_bitop2_b32 v7, v21, v24 bitop3:0x54
	v_lshrrev_b32_e32 v24, 16, v22
	v_cvt_f32_f16_e32 v61, v12
	v_dual_lshrrev_b32 v21, 16, v27 :: v_dual_bitop2_b32 v12, v22, v26 bitop3:0x54
	s_delay_alu instid0(VALU_DEP_4)
	v_cvt_f32_f16_e32 v60, v23
	v_cvt_f32_f16_e32 v22, v7
	v_or_b32_e32 v7, v27, v25
	v_cvt_f32_f16_e32 v23, v1
	v_cvt_f32_f16_e32 v25, v21
	s_wait_loadcnt 0x0
	v_pk_mul_f32 v[60:61], v[20:21], v[60:61] op_sel_hi:[0,1]
	v_cvt_f32_f16_e32 v24, v24
	v_cvt_f32_f16_e32 v26, v12
	v_cvt_f32_f16_e32 v27, v7
	v_pk_mul_f32 v[22:23], v[20:21], v[22:23] op_sel_hi:[0,1]
	v_cvt_pk_f16_f32 v1, v60, v61
	v_pk_mul_f32 v[24:25], v[20:21], v[24:25] op_sel_hi:[0,1]
	s_delay_alu instid0(VALU_DEP_4) | instskip(NEXT) | instid1(VALU_DEP_4)
	v_pk_mul_f32 v[26:27], v[20:21], v[26:27] op_sel_hi:[0,1]
	v_cvt_pk_f16_f32 v7, v22, v23
	s_delay_alu instid0(VALU_DEP_4) | instskip(NEXT) | instid1(VALU_DEP_4)
	v_and_b32_e32 v21, 0xffff0000, v1
	v_cvt_pk_f16_f32 v12, v24, v25
	v_lshlrev_b32_e32 v22, 16, v1
	v_cvt_pk_f16_f32 v20, v26, v27
	v_lshrrev_b32_e32 v27, 16, v7
	v_and_b32_e32 v28, 0xffff, v7
	v_and_b32_e32 v1, 0xffff0000, v12
	s_delay_alu instid0(VALU_DEP_3) | instskip(SKIP_3) | instid1(VALU_DEP_2)
	v_dual_lshlrev_b32 v12, 16, v12 :: v_dual_bitop2_b32 v25, v21, v27 bitop3:0x54
	v_lshrrev_b32_e32 v7, 16, v20
	v_and_b32_e32 v20, 0xffff, v20
	v_or_b32_e32 v26, v22, v28
	v_or_b32_e32 v24, v12, v20
	s_delay_alu instid0(VALU_DEP_4)
	v_or_b32_e32 v23, v1, v7
	s_and_saveexec_b32 s21, vcc_lo
	s_cbranch_execz .LBB275_954
; %bb.953:                              ;   in Loop: Header=BB275_557 Depth=1
	v_cmp_gt_i32_e64 s0, s14, v35
	s_delay_alu instid0(VALU_DEP_1) | instskip(SKIP_1) | instid1(VALU_DEP_1)
	v_cndmask_b32_e64 v23, 0, v27, s0
	v_cmp_gt_i32_e64 s0, s34, v42
	v_cndmask_b32_e64 v24, 0, v28, s0
	v_cmp_gt_i32_e64 s0, s14, v41
	s_delay_alu instid0(VALU_DEP_1) | instskip(SKIP_1) | instid1(VALU_DEP_1)
	v_cndmask_b32_e64 v21, 0, v21, s0
	v_cmp_gt_i32_e64 s0, s34, v40
	v_cndmask_b32_e64 v22, 0, v22, s0
	v_cmp_gt_i32_e64 s0, s14, v39
	s_delay_alu instid0(VALU_DEP_4) | instskip(NEXT) | instid1(VALU_DEP_2)
	v_or_b32_e32 v25, v21, v23
	v_dual_cndmask_b32 v7, 0, v7, s0 :: v_dual_bitop2_b32 v26, v22, v24 bitop3:0x54
	v_cmp_gt_i32_e64 s0, s34, v38
	s_delay_alu instid0(VALU_DEP_1) | instskip(SKIP_1) | instid1(VALU_DEP_1)
	v_cndmask_b32_e64 v20, 0, v20, s0
	v_cmp_gt_i32_e64 s0, s14, v37
	v_cndmask_b32_e64 v1, 0, v1, s0
	v_cmp_gt_i32_e64 s0, s34, v36
	s_delay_alu instid0(VALU_DEP_1) | instskip(NEXT) | instid1(VALU_DEP_1)
	v_dual_cndmask_b32 v12, 0, v12, s0 :: v_dual_bitop2_b32 v23, v1, v7 bitop3:0x54
	v_or_b32_e32 v24, v12, v20
.LBB275_954:                            ;   in Loop: Header=BB275_557 Depth=1
	s_or_b32 exec_lo, exec_lo, s21
	;;#ASMSTART
	v_pk_mul_f16 v1, v49, v25;

	;;#ASMEND
	;;#ASMSTART
	v_pk_mul_f16 v7, v47, v26;

	;;#ASMEND
	;; [unrolled: 4-line block ×4, first 2 shown]
	;;#ASMSTART
	v_pk_add_f16 v1, v1, v7;

	;;#ASMEND
	;;#ASMSTART
	v_pk_add_f16 v1, v1, v12;

	;;#ASMEND
	;; [unrolled: 4-line block ×3, first 2 shown]
	v_and_b32_e32 v7, 0xffff, v1
	v_lshrrev_b32_e32 v1, 16, v1
	;;#ASMSTART
	v_cvt_f32_f16 v59, v7;
	;;#ASMEND
	v_mov_b32_e32 v7, 0
	;;#ASMSTART
	v_cvt_f32_f16 v60, v1;
	;;#ASMEND
	global_load_b64 v[22:23], v[18:19], off offset:1536
	v_mov_b32_e32 v1, 0
	s_mov_b32 s21, exec_lo
	global_load_b32 v20, v1, s[10:11]
	s_wait_loadcnt 0x1
	v_and_b32_e32 v12, 0xff, v22
	s_wait_xcnt 0x0
	s_delay_alu instid0(VALU_DEP_1)
	v_cmpx_ne_u16_e32 0, v12
	s_cbranch_execz .LBB275_962
; %bb.955:                              ;   in Loop: Header=BB275_557 Depth=1
	v_mov_b32_e32 v7, 0x8000
	s_mov_b32 s22, exec_lo
	v_cmpx_ne_u16_e32 0x80, v12
	s_cbranch_execz .LBB275_961
; %bb.956:                              ;   in Loop: Header=BB275_557 Depth=1
	v_and_b32_e32 v21, 0x7f, v22
	v_mov_b32_e32 v7, 0x7c01
	s_mov_b32 s23, exec_lo
	s_delay_alu instid0(VALU_DEP_2)
	v_cmpx_ne_u32_e32 0x7f, v21
	s_cbranch_execz .LBB275_960
; %bb.957:                              ;   in Loop: Header=BB275_557 Depth=1
	v_dual_lshrrev_b32 v12, 3, v21 :: v_dual_bitop2_b32 v7, 7, v22 bitop3:0x40
	s_mov_b32 s24, exec_lo
	v_cmpx_gt_u32_e32 8, v21
; %bb.958:                              ;   in Loop: Header=BB275_557 Depth=1
	s_delay_alu instid0(VALU_DEP_2) | instskip(NEXT) | instid1(VALU_DEP_1)
	v_clz_i32_u32_e32 v7, v7
	v_min_u32_e32 v7, 32, v7
	s_delay_alu instid0(VALU_DEP_1) | instskip(NEXT) | instid1(VALU_DEP_1)
	v_subrev_nc_u32_e32 v12, 28, v7
	v_lshlrev_b64_e32 v[24:25], v12, v[22:23]
	s_delay_alu instid0(VALU_DEP_1)
	v_dual_sub_nc_u32 v12, 29, v7 :: v_dual_bitop2_b32 v7, 7, v24 bitop3:0x40
; %bb.959:                              ;   in Loop: Header=BB275_557 Depth=1
	s_or_b32 exec_lo, exec_lo, s24
	s_delay_alu instid0(VALU_DEP_1) | instskip(NEXT) | instid1(VALU_DEP_2)
	v_dual_lshlrev_b32 v21, 8, v22 :: v_dual_lshlrev_b32 v7, 7, v7
	v_lshl_add_u32 v12, v12, 10, 0x2000
	s_delay_alu instid0(VALU_DEP_2) | instskip(NEXT) | instid1(VALU_DEP_2)
	v_and_b32_e32 v21, 0x8000, v21
	v_and_b32_e32 v12, 0xfc00, v12
	s_delay_alu instid0(VALU_DEP_1)
	v_or3_b32 v7, v21, v12, v7
.LBB275_960:                            ;   in Loop: Header=BB275_557 Depth=1
	s_or_b32 exec_lo, exec_lo, s23
.LBB275_961:                            ;   in Loop: Header=BB275_557 Depth=1
	s_delay_alu instid0(SALU_CYCLE_1)
	s_or_b32 exec_lo, exec_lo, s22
.LBB275_962:                            ;   in Loop: Header=BB275_557 Depth=1
	s_delay_alu instid0(SALU_CYCLE_1) | instskip(SKIP_2) | instid1(VALU_DEP_1)
	s_or_b32 exec_lo, exec_lo, s21
	v_lshrrev_b16 v12, 8, v22
	s_mov_b32 s21, exec_lo
	v_cmpx_ne_u16_e32 0, v12
	s_cbranch_execz .LBB275_970
; %bb.963:                              ;   in Loop: Header=BB275_557 Depth=1
	v_bfrev_b32_e32 v1, 1
	s_mov_b32 s22, exec_lo
	v_cmpx_ne_u16_e32 0x80, v12
	s_cbranch_execz .LBB275_969
; %bb.964:                              ;   in Loop: Header=BB275_557 Depth=1
	v_and_b32_e32 v21, 0xffff, v12
	v_mov_b32_e32 v1, 0x7c010000
	s_mov_b32 s23, exec_lo
	s_delay_alu instid0(VALU_DEP_2) | instskip(NEXT) | instid1(VALU_DEP_1)
	v_and_b32_e32 v25, 0x7f, v21
	v_cmpx_ne_u32_e32 0x7f, v25
	s_cbranch_execz .LBB275_968
; %bb.965:                              ;   in Loop: Header=BB275_557 Depth=1
	v_and_b32_e32 v1, 7, v21
	v_lshrrev_b32_e32 v24, 3, v25
	s_mov_b32 s24, exec_lo
	v_cmpx_gt_u32_e32 8, v25
; %bb.966:                              ;   in Loop: Header=BB275_557 Depth=1
	s_delay_alu instid0(VALU_DEP_3) | instskip(NEXT) | instid1(VALU_DEP_1)
	v_clz_i32_u32_e32 v1, v1
	v_min_u32_e32 v1, 32, v1
	s_delay_alu instid0(VALU_DEP_1) | instskip(NEXT) | instid1(VALU_DEP_1)
	v_subrev_nc_u32_e32 v24, 28, v1
	v_lshlrev_b64_e32 v[26:27], v24, v[12:13]
	s_delay_alu instid0(VALU_DEP_1)
	v_dual_sub_nc_u32 v24, 29, v1 :: v_dual_bitop2_b32 v1, 7, v26 bitop3:0x40
; %bb.967:                              ;   in Loop: Header=BB275_557 Depth=1
	s_or_b32 exec_lo, exec_lo, s24
	v_lshlrev_b32_e32 v12, 8, v21
	s_delay_alu instid0(VALU_DEP_2) | instskip(NEXT) | instid1(VALU_DEP_3)
	v_lshl_add_u32 v21, v24, 10, 0x2000
	v_lshlrev_b32_e32 v1, 23, v1
	s_delay_alu instid0(VALU_DEP_2) | instskip(NEXT) | instid1(VALU_DEP_1)
	v_and_or_b32 v12, 0x8000, v12, v21
	v_lshl_or_b32 v1, v12, 16, v1
.LBB275_968:                            ;   in Loop: Header=BB275_557 Depth=1
	s_or_b32 exec_lo, exec_lo, s23
.LBB275_969:                            ;   in Loop: Header=BB275_557 Depth=1
	s_delay_alu instid0(SALU_CYCLE_1)
	s_or_b32 exec_lo, exec_lo, s22
.LBB275_970:                            ;   in Loop: Header=BB275_557 Depth=1
	s_delay_alu instid0(SALU_CYCLE_1) | instskip(SKIP_3) | instid1(VALU_DEP_2)
	s_or_b32 exec_lo, exec_lo, s21
	v_dual_mov_b32 v21, 0 :: v_dual_lshrrev_b32 v12, 16, v22
	v_mov_b32_e32 v24, 0
	s_mov_b32 s21, exec_lo
	v_and_b32_e32 v25, 0xff, v12
	s_delay_alu instid0(VALU_DEP_1)
	v_cmpx_ne_u16_e32 0, v25
	s_cbranch_execz .LBB275_978
; %bb.971:                              ;   in Loop: Header=BB275_557 Depth=1
	v_mov_b32_e32 v24, 0x8000
	s_mov_b32 s22, exec_lo
	v_cmpx_ne_u16_e32 0x80, v25
	s_cbranch_execz .LBB275_977
; %bb.972:                              ;   in Loop: Header=BB275_557 Depth=1
	v_bfe_u32 v26, v22, 16, 7
	v_mov_b32_e32 v24, 0x7c01
	s_mov_b32 s23, exec_lo
	s_delay_alu instid0(VALU_DEP_2)
	v_cmpx_ne_u32_e32 0x7f, v26
	s_cbranch_execz .LBB275_976
; %bb.973:                              ;   in Loop: Header=BB275_557 Depth=1
	v_dual_lshrrev_b32 v25, 3, v26 :: v_dual_bitop2_b32 v24, 7, v12 bitop3:0x40
	s_mov_b32 s24, exec_lo
	v_cmpx_gt_u32_e32 8, v26
; %bb.974:                              ;   in Loop: Header=BB275_557 Depth=1
	s_delay_alu instid0(VALU_DEP_2) | instskip(NEXT) | instid1(VALU_DEP_1)
	v_clz_i32_u32_e32 v24, v24
	v_min_u32_e32 v26, 32, v24
	s_delay_alu instid0(VALU_DEP_1) | instskip(NEXT) | instid1(VALU_DEP_1)
	v_subrev_nc_u32_e32 v24, 28, v26
	v_lshlrev_b64_e32 v[24:25], v24, v[12:13]
	s_delay_alu instid0(VALU_DEP_1)
	v_dual_sub_nc_u32 v25, 29, v26 :: v_dual_bitop2_b32 v24, 7, v24 bitop3:0x40
; %bb.975:                              ;   in Loop: Header=BB275_557 Depth=1
	s_or_b32 exec_lo, exec_lo, s24
	v_lshlrev_b32_e32 v12, 8, v12
	s_delay_alu instid0(VALU_DEP_2) | instskip(NEXT) | instid1(VALU_DEP_3)
	v_lshl_add_u32 v25, v25, 10, 0x2000
	v_lshlrev_b32_e32 v24, 7, v24
	s_delay_alu instid0(VALU_DEP_3) | instskip(NEXT) | instid1(VALU_DEP_3)
	v_and_b32_e32 v12, 0x8000, v12
	v_and_b32_e32 v25, 0xfc00, v25
	s_delay_alu instid0(VALU_DEP_1)
	v_or3_b32 v24, v12, v25, v24
.LBB275_976:                            ;   in Loop: Header=BB275_557 Depth=1
	s_or_b32 exec_lo, exec_lo, s23
.LBB275_977:                            ;   in Loop: Header=BB275_557 Depth=1
	s_delay_alu instid0(SALU_CYCLE_1)
	s_or_b32 exec_lo, exec_lo, s22
.LBB275_978:                            ;   in Loop: Header=BB275_557 Depth=1
	s_delay_alu instid0(SALU_CYCLE_1) | instskip(NEXT) | instid1(SALU_CYCLE_1)
	s_or_b32 exec_lo, exec_lo, s21
	s_mov_b32 s21, exec_lo
	v_cmpx_lt_u32_e32 0xffffff, v22
	s_cbranch_execz .LBB275_986
; %bb.979:                              ;   in Loop: Header=BB275_557 Depth=1
	v_lshrrev_b32_e32 v12, 24, v22
	v_bfrev_b32_e32 v21, 1
	s_mov_b32 s22, exec_lo
	s_delay_alu instid0(VALU_DEP_2)
	v_cmpx_ne_u32_e32 0x80, v12
	s_cbranch_execz .LBB275_985
; %bb.980:                              ;   in Loop: Header=BB275_557 Depth=1
	v_and_b32_e32 v26, 0x7f, v12
	v_mov_b32_e32 v21, 0x7c010000
	s_mov_b32 s23, exec_lo
	s_delay_alu instid0(VALU_DEP_2)
	v_cmpx_ne_u32_e32 0x7f, v26
	s_cbranch_execz .LBB275_984
; %bb.981:                              ;   in Loop: Header=BB275_557 Depth=1
	v_dual_lshrrev_b32 v25, 3, v26 :: v_dual_bitop2_b32 v21, 7, v12 bitop3:0x40
	s_mov_b32 s24, exec_lo
	v_cmpx_gt_u32_e32 8, v26
; %bb.982:                              ;   in Loop: Header=BB275_557 Depth=1
	s_delay_alu instid0(VALU_DEP_2) | instskip(NEXT) | instid1(VALU_DEP_1)
	v_clz_i32_u32_e32 v21, v21
	v_min_u32_e32 v21, 32, v21
	s_delay_alu instid0(VALU_DEP_1) | instskip(NEXT) | instid1(VALU_DEP_1)
	v_subrev_nc_u32_e32 v25, 28, v21
	v_lshlrev_b64_e32 v[26:27], v25, v[12:13]
	s_delay_alu instid0(VALU_DEP_1)
	v_dual_sub_nc_u32 v25, 29, v21 :: v_dual_bitop2_b32 v21, 7, v26 bitop3:0x40
; %bb.983:                              ;   in Loop: Header=BB275_557 Depth=1
	s_or_b32 exec_lo, exec_lo, s24
	s_delay_alu instid0(VALU_DEP_1) | instskip(NEXT) | instid1(VALU_DEP_2)
	v_dual_lshlrev_b32 v12, 8, v12 :: v_dual_lshlrev_b32 v21, 23, v21
	v_lshl_add_u32 v25, v25, 10, 0x2000
	s_delay_alu instid0(VALU_DEP_1) | instskip(NEXT) | instid1(VALU_DEP_1)
	v_and_or_b32 v12, 0x8000, v12, v25
	v_lshl_or_b32 v21, v12, 16, v21
.LBB275_984:                            ;   in Loop: Header=BB275_557 Depth=1
	s_or_b32 exec_lo, exec_lo, s23
.LBB275_985:                            ;   in Loop: Header=BB275_557 Depth=1
	s_delay_alu instid0(SALU_CYCLE_1)
	s_or_b32 exec_lo, exec_lo, s22
.LBB275_986:                            ;   in Loop: Header=BB275_557 Depth=1
	s_delay_alu instid0(SALU_CYCLE_1) | instskip(SKIP_4) | instid1(VALU_DEP_3)
	s_or_b32 exec_lo, exec_lo, s21
	v_and_b32_e32 v27, 0xff, v23
	v_dual_mov_b32 v12, v23 :: v_dual_mov_b32 v26, 0
	v_mov_b32_e32 v25, 0
	s_mov_b32 s21, exec_lo
	v_cmpx_ne_u16_e32 0, v27
	s_cbranch_execz .LBB275_994
; %bb.987:                              ;   in Loop: Header=BB275_557 Depth=1
	v_mov_b32_e32 v25, 0x8000
	s_mov_b32 s22, exec_lo
	v_cmpx_ne_u16_e32 0x80, v27
	s_cbranch_execz .LBB275_993
; %bb.988:                              ;   in Loop: Header=BB275_557 Depth=1
	v_and_b32_e32 v28, 0x7f, v23
	v_mov_b32_e32 v25, 0x7c01
	s_mov_b32 s23, exec_lo
	s_delay_alu instid0(VALU_DEP_2)
	v_cmpx_ne_u32_e32 0x7f, v28
	s_cbranch_execz .LBB275_992
; %bb.989:                              ;   in Loop: Header=BB275_557 Depth=1
	v_dual_lshrrev_b32 v27, 3, v28 :: v_dual_bitop2_b32 v25, 7, v23 bitop3:0x40
	s_mov_b32 s24, exec_lo
	v_cmpx_gt_u32_e32 8, v28
; %bb.990:                              ;   in Loop: Header=BB275_557 Depth=1
	s_delay_alu instid0(VALU_DEP_2) | instskip(NEXT) | instid1(VALU_DEP_1)
	v_clz_i32_u32_e32 v25, v25
	v_min_u32_e32 v25, 32, v25
	s_delay_alu instid0(VALU_DEP_1) | instskip(NEXT) | instid1(VALU_DEP_1)
	v_subrev_nc_u32_e32 v27, 28, v25
	v_lshlrev_b64_e32 v[62:63], v27, v[12:13]
	s_delay_alu instid0(VALU_DEP_1)
	v_dual_sub_nc_u32 v27, 29, v25 :: v_dual_bitop2_b32 v25, 7, v62 bitop3:0x40
; %bb.991:                              ;   in Loop: Header=BB275_557 Depth=1
	s_or_b32 exec_lo, exec_lo, s24
	s_delay_alu instid0(VALU_DEP_1) | instskip(NEXT) | instid1(VALU_DEP_2)
	v_dual_lshlrev_b32 v28, 8, v23 :: v_dual_lshlrev_b32 v25, 7, v25
	v_lshl_add_u32 v27, v27, 10, 0x2000
	s_delay_alu instid0(VALU_DEP_2) | instskip(NEXT) | instid1(VALU_DEP_2)
	v_and_b32_e32 v28, 0x8000, v28
	v_and_b32_e32 v27, 0xfc00, v27
	s_delay_alu instid0(VALU_DEP_1)
	v_or3_b32 v25, v28, v27, v25
.LBB275_992:                            ;   in Loop: Header=BB275_557 Depth=1
	s_or_b32 exec_lo, exec_lo, s23
.LBB275_993:                            ;   in Loop: Header=BB275_557 Depth=1
	s_delay_alu instid0(SALU_CYCLE_1)
	s_or_b32 exec_lo, exec_lo, s22
.LBB275_994:                            ;   in Loop: Header=BB275_557 Depth=1
	s_delay_alu instid0(SALU_CYCLE_1) | instskip(SKIP_3) | instid1(VALU_DEP_2)
	s_or_b32 exec_lo, exec_lo, s21
	v_lshrrev_b16 v12, 8, v12
	v_mov_b32_e32 v27, 0
	s_mov_b32 s21, exec_lo
	v_cmpx_ne_u16_e32 0, v12
	s_cbranch_execz .LBB275_1002
; %bb.995:                              ;   in Loop: Header=BB275_557 Depth=1
	v_bfrev_b32_e32 v27, 1
	s_mov_b32 s22, exec_lo
	v_cmpx_ne_u16_e32 0x80, v12
	s_cbranch_execz .LBB275_1001
; %bb.996:                              ;   in Loop: Header=BB275_557 Depth=1
	v_and_b32_e32 v28, 0xffff, v12
	v_mov_b32_e32 v27, 0x7c010000
	s_mov_b32 s23, exec_lo
	s_delay_alu instid0(VALU_DEP_2) | instskip(NEXT) | instid1(VALU_DEP_1)
	v_and_b32_e32 v44, 0x7f, v28
	v_cmpx_ne_u32_e32 0x7f, v44
	s_cbranch_execz .LBB275_1000
; %bb.997:                              ;   in Loop: Header=BB275_557 Depth=1
	v_and_b32_e32 v27, 7, v28
	v_lshrrev_b32_e32 v43, 3, v44
	s_mov_b32 s24, exec_lo
	v_cmpx_gt_u32_e32 8, v44
; %bb.998:                              ;   in Loop: Header=BB275_557 Depth=1
	s_delay_alu instid0(VALU_DEP_3) | instskip(NEXT) | instid1(VALU_DEP_1)
	v_clz_i32_u32_e32 v27, v27
	v_min_u32_e32 v27, 32, v27
	s_delay_alu instid0(VALU_DEP_1) | instskip(NEXT) | instid1(VALU_DEP_1)
	v_subrev_nc_u32_e32 v43, 28, v27
	v_lshlrev_b64_e32 v[62:63], v43, v[12:13]
	s_delay_alu instid0(VALU_DEP_1)
	v_dual_sub_nc_u32 v43, 29, v27 :: v_dual_bitop2_b32 v27, 7, v62 bitop3:0x40
; %bb.999:                              ;   in Loop: Header=BB275_557 Depth=1
	s_or_b32 exec_lo, exec_lo, s24
	s_delay_alu instid0(VALU_DEP_1) | instskip(NEXT) | instid1(VALU_DEP_2)
	v_dual_lshlrev_b32 v12, 8, v28 :: v_dual_lshlrev_b32 v27, 23, v27
	v_lshl_add_u32 v28, v43, 10, 0x2000
	s_delay_alu instid0(VALU_DEP_1) | instskip(NEXT) | instid1(VALU_DEP_1)
	v_and_or_b32 v12, 0x8000, v12, v28
	v_lshl_or_b32 v27, v12, 16, v27
.LBB275_1000:                           ;   in Loop: Header=BB275_557 Depth=1
	s_or_b32 exec_lo, exec_lo, s23
.LBB275_1001:                           ;   in Loop: Header=BB275_557 Depth=1
	s_delay_alu instid0(SALU_CYCLE_1)
	s_or_b32 exec_lo, exec_lo, s22
.LBB275_1002:                           ;   in Loop: Header=BB275_557 Depth=1
	s_delay_alu instid0(SALU_CYCLE_1) | instskip(SKIP_2) | instid1(VALU_DEP_1)
	s_or_b32 exec_lo, exec_lo, s21
	v_lshrrev_b32_e32 v12, 16, v23
	s_mov_b32 s21, exec_lo
	v_and_b32_e32 v28, 0xff, v12
	s_delay_alu instid0(VALU_DEP_1)
	v_cmpx_ne_u16_e32 0, v28
	s_cbranch_execz .LBB275_1010
; %bb.1003:                             ;   in Loop: Header=BB275_557 Depth=1
	v_mov_b32_e32 v26, 0x8000
	s_mov_b32 s22, exec_lo
	v_cmpx_ne_u16_e32 0x80, v28
	s_cbranch_execz .LBB275_1009
; %bb.1004:                             ;   in Loop: Header=BB275_557 Depth=1
	v_bfe_u32 v43, v23, 16, 7
	v_mov_b32_e32 v26, 0x7c01
	s_mov_b32 s23, exec_lo
	s_delay_alu instid0(VALU_DEP_2)
	v_cmpx_ne_u32_e32 0x7f, v43
	s_cbranch_execz .LBB275_1008
; %bb.1005:                             ;   in Loop: Header=BB275_557 Depth=1
	v_dual_lshrrev_b32 v28, 3, v43 :: v_dual_bitop2_b32 v26, 7, v12 bitop3:0x40
	s_mov_b32 s24, exec_lo
	v_cmpx_gt_u32_e32 8, v43
; %bb.1006:                             ;   in Loop: Header=BB275_557 Depth=1
	s_delay_alu instid0(VALU_DEP_2) | instskip(NEXT) | instid1(VALU_DEP_1)
	v_clz_i32_u32_e32 v26, v26
	v_min_u32_e32 v26, 32, v26
	s_delay_alu instid0(VALU_DEP_1) | instskip(NEXT) | instid1(VALU_DEP_1)
	v_subrev_nc_u32_e32 v28, 28, v26
	v_lshlrev_b64_e32 v[62:63], v28, v[12:13]
	v_sub_nc_u32_e32 v28, 29, v26
	s_delay_alu instid0(VALU_DEP_2)
	v_and_b32_e32 v26, 7, v62
; %bb.1007:                             ;   in Loop: Header=BB275_557 Depth=1
	s_or_b32 exec_lo, exec_lo, s24
	s_delay_alu instid0(VALU_DEP_1) | instskip(NEXT) | instid1(VALU_DEP_3)
	v_dual_lshlrev_b32 v12, 8, v12 :: v_dual_lshlrev_b32 v26, 7, v26
	v_lshl_add_u32 v28, v28, 10, 0x2000
	s_delay_alu instid0(VALU_DEP_2) | instskip(NEXT) | instid1(VALU_DEP_2)
	v_and_b32_e32 v12, 0x8000, v12
	v_and_b32_e32 v28, 0xfc00, v28
	s_delay_alu instid0(VALU_DEP_1)
	v_or3_b32 v26, v12, v28, v26
.LBB275_1008:                           ;   in Loop: Header=BB275_557 Depth=1
	s_or_b32 exec_lo, exec_lo, s23
.LBB275_1009:                           ;   in Loop: Header=BB275_557 Depth=1
	s_delay_alu instid0(SALU_CYCLE_1)
	s_or_b32 exec_lo, exec_lo, s22
.LBB275_1010:                           ;   in Loop: Header=BB275_557 Depth=1
	s_delay_alu instid0(SALU_CYCLE_1)
	s_or_b32 exec_lo, exec_lo, s21
	v_cmp_lt_u64_e64 s0, s[4:5], v[22:23]
	v_mov_b32_e32 v22, 0
	s_and_saveexec_b32 s21, s0
	s_cbranch_execz .LBB275_1018
; %bb.1011:                             ;   in Loop: Header=BB275_557 Depth=1
	v_lshrrev_b32_e32 v12, 24, v23
	v_bfrev_b32_e32 v22, 1
	s_mov_b32 s22, exec_lo
	s_delay_alu instid0(VALU_DEP_2)
	v_cmpx_ne_u32_e32 0x80, v12
	s_cbranch_execz .LBB275_1017
; %bb.1012:                             ;   in Loop: Header=BB275_557 Depth=1
	v_and_b32_e32 v28, 0x7f, v12
	v_mov_b32_e32 v22, 0x7c010000
	s_mov_b32 s23, exec_lo
	s_delay_alu instid0(VALU_DEP_2)
	v_cmpx_ne_u32_e32 0x7f, v28
	s_cbranch_execz .LBB275_1016
; %bb.1013:                             ;   in Loop: Header=BB275_557 Depth=1
	v_and_b32_e32 v22, 7, v12
	v_lshrrev_b32_e32 v23, 3, v28
	s_mov_b32 s24, exec_lo
	v_cmpx_gt_u32_e32 8, v28
; %bb.1014:                             ;   in Loop: Header=BB275_557 Depth=1
	s_delay_alu instid0(VALU_DEP_3) | instskip(NEXT) | instid1(VALU_DEP_1)
	v_clz_i32_u32_e32 v22, v22
	v_min_u32_e32 v28, 32, v22
	s_delay_alu instid0(VALU_DEP_1) | instskip(NEXT) | instid1(VALU_DEP_1)
	v_subrev_nc_u32_e32 v22, 28, v28
	v_lshlrev_b64_e32 v[22:23], v22, v[12:13]
	s_delay_alu instid0(VALU_DEP_1)
	v_dual_sub_nc_u32 v23, 29, v28 :: v_dual_bitop2_b32 v22, 7, v22 bitop3:0x40
; %bb.1015:                             ;   in Loop: Header=BB275_557 Depth=1
	s_or_b32 exec_lo, exec_lo, s24
	s_delay_alu instid0(VALU_DEP_1) | instskip(NEXT) | instid1(VALU_DEP_2)
	v_dual_lshlrev_b32 v12, 8, v12 :: v_dual_lshlrev_b32 v22, 23, v22
	v_lshl_add_u32 v23, v23, 10, 0x2000
	s_delay_alu instid0(VALU_DEP_1) | instskip(NEXT) | instid1(VALU_DEP_1)
	v_and_or_b32 v12, 0x8000, v12, v23
	v_lshl_or_b32 v22, v12, 16, v22
.LBB275_1016:                           ;   in Loop: Header=BB275_557 Depth=1
	s_or_b32 exec_lo, exec_lo, s23
.LBB275_1017:                           ;   in Loop: Header=BB275_557 Depth=1
	s_delay_alu instid0(SALU_CYCLE_1)
	s_or_b32 exec_lo, exec_lo, s22
.LBB275_1018:                           ;   in Loop: Header=BB275_557 Depth=1
	s_delay_alu instid0(SALU_CYCLE_1) | instskip(SKIP_3) | instid1(VALU_DEP_3)
	s_or_b32 exec_lo, exec_lo, s21
	v_dual_lshrrev_b32 v12, 16, v1 :: v_dual_bitop2_b32 v1, v1, v7 bitop3:0x54
	v_dual_lshrrev_b32 v23, 16, v21 :: v_dual_bitop2_b32 v7, v21, v24 bitop3:0x54
	v_lshrrev_b32_e32 v24, 16, v22
	v_cvt_f32_f16_e32 v63, v12
	v_dual_lshrrev_b32 v21, 16, v27 :: v_dual_bitop2_b32 v12, v22, v26 bitop3:0x54
	s_delay_alu instid0(VALU_DEP_4)
	v_cvt_f32_f16_e32 v62, v23
	v_cvt_f32_f16_e32 v22, v7
	v_or_b32_e32 v7, v27, v25
	v_cvt_f32_f16_e32 v23, v1
	v_cvt_f32_f16_e32 v25, v21
	s_wait_loadcnt 0x0
	v_pk_mul_f32 v[62:63], v[20:21], v[62:63] op_sel_hi:[0,1]
	v_cvt_f32_f16_e32 v24, v24
	v_cvt_f32_f16_e32 v26, v12
	;; [unrolled: 1-line block ×3, first 2 shown]
	v_pk_mul_f32 v[22:23], v[20:21], v[22:23] op_sel_hi:[0,1]
	v_cvt_pk_f16_f32 v1, v62, v63
	v_pk_mul_f32 v[24:25], v[20:21], v[24:25] op_sel_hi:[0,1]
	s_delay_alu instid0(VALU_DEP_4) | instskip(NEXT) | instid1(VALU_DEP_4)
	v_pk_mul_f32 v[26:27], v[20:21], v[26:27] op_sel_hi:[0,1]
	v_cvt_pk_f16_f32 v7, v22, v23
	s_delay_alu instid0(VALU_DEP_4) | instskip(NEXT) | instid1(VALU_DEP_4)
	v_and_b32_e32 v21, 0xffff0000, v1
	v_cvt_pk_f16_f32 v12, v24, v25
	v_lshlrev_b32_e32 v22, 16, v1
	v_cvt_pk_f16_f32 v20, v26, v27
	v_lshrrev_b32_e32 v27, 16, v7
	v_and_b32_e32 v28, 0xffff, v7
	v_and_b32_e32 v1, 0xffff0000, v12
	s_delay_alu instid0(VALU_DEP_3) | instskip(SKIP_3) | instid1(VALU_DEP_2)
	v_dual_lshlrev_b32 v12, 16, v12 :: v_dual_bitop2_b32 v25, v21, v27 bitop3:0x54
	v_lshrrev_b32_e32 v7, 16, v20
	v_and_b32_e32 v20, 0xffff, v20
	v_or_b32_e32 v26, v22, v28
	v_or_b32_e32 v24, v12, v20
	s_delay_alu instid0(VALU_DEP_4)
	v_or_b32_e32 v23, v1, v7
	s_and_saveexec_b32 s21, vcc_lo
	s_cbranch_execz .LBB275_1020
; %bb.1019:                             ;   in Loop: Header=BB275_557 Depth=1
	v_cmp_gt_i32_e64 s0, s14, v35
	s_delay_alu instid0(VALU_DEP_1) | instskip(SKIP_1) | instid1(VALU_DEP_1)
	v_cndmask_b32_e64 v23, 0, v27, s0
	v_cmp_gt_i32_e64 s0, s34, v42
	v_cndmask_b32_e64 v24, 0, v28, s0
	v_cmp_gt_i32_e64 s0, s14, v41
	s_delay_alu instid0(VALU_DEP_1) | instskip(SKIP_1) | instid1(VALU_DEP_1)
	v_cndmask_b32_e64 v21, 0, v21, s0
	v_cmp_gt_i32_e64 s0, s34, v40
	v_cndmask_b32_e64 v22, 0, v22, s0
	v_cmp_gt_i32_e64 s0, s14, v39
	s_delay_alu instid0(VALU_DEP_4) | instskip(NEXT) | instid1(VALU_DEP_2)
	v_or_b32_e32 v25, v21, v23
	v_dual_cndmask_b32 v7, 0, v7, s0 :: v_dual_bitop2_b32 v26, v22, v24 bitop3:0x54
	v_cmp_gt_i32_e64 s0, s34, v38
	s_delay_alu instid0(VALU_DEP_1) | instskip(SKIP_1) | instid1(VALU_DEP_1)
	v_cndmask_b32_e64 v20, 0, v20, s0
	v_cmp_gt_i32_e64 s0, s14, v37
	v_cndmask_b32_e64 v1, 0, v1, s0
	v_cmp_gt_i32_e64 s0, s34, v36
	s_delay_alu instid0(VALU_DEP_1) | instskip(NEXT) | instid1(VALU_DEP_1)
	v_dual_cndmask_b32 v12, 0, v12, s0 :: v_dual_bitop2_b32 v23, v1, v7 bitop3:0x54
	v_or_b32_e32 v24, v12, v20
.LBB275_1020:                           ;   in Loop: Header=BB275_557 Depth=1
	s_or_b32 exec_lo, exec_lo, s21
	;;#ASMSTART
	v_pk_mul_f16 v1, v49, v25;

	;;#ASMEND
	;;#ASMSTART
	v_pk_mul_f16 v7, v47, v26;

	;;#ASMEND
	;; [unrolled: 4-line block ×4, first 2 shown]
	;;#ASMSTART
	v_pk_add_f16 v1, v1, v7;

	;;#ASMEND
	;;#ASMSTART
	v_pk_add_f16 v1, v1, v12;

	;;#ASMEND
	;; [unrolled: 4-line block ×3, first 2 shown]
	v_and_b32_e32 v7, 0xffff, v1
	v_lshrrev_b32_e32 v1, 16, v1
	;;#ASMSTART
	v_cvt_f32_f16 v43, v7;
	;;#ASMEND
	v_mov_b32_e32 v7, 0
	;;#ASMSTART
	v_cvt_f32_f16 v44, v1;
	;;#ASMEND
	global_load_b64 v[20:21], v[18:19], off offset:1792
	v_mov_b32_e32 v1, 0
	s_mov_b32 s21, exec_lo
	global_load_b32 v18, v1, s[10:11]
	s_wait_loadcnt 0x1
	v_and_b32_e32 v12, 0xff, v20
	s_wait_xcnt 0x0
	s_delay_alu instid0(VALU_DEP_1)
	v_cmpx_ne_u16_e32 0, v12
	s_cbranch_execz .LBB275_1028
; %bb.1021:                             ;   in Loop: Header=BB275_557 Depth=1
	v_mov_b32_e32 v7, 0x8000
	s_mov_b32 s22, exec_lo
	v_cmpx_ne_u16_e32 0x80, v12
	s_cbranch_execz .LBB275_1027
; %bb.1022:                             ;   in Loop: Header=BB275_557 Depth=1
	v_and_b32_e32 v19, 0x7f, v20
	v_mov_b32_e32 v7, 0x7c01
	s_mov_b32 s23, exec_lo
	s_delay_alu instid0(VALU_DEP_2)
	v_cmpx_ne_u32_e32 0x7f, v19
	s_cbranch_execz .LBB275_1026
; %bb.1023:                             ;   in Loop: Header=BB275_557 Depth=1
	v_dual_lshrrev_b32 v12, 3, v19 :: v_dual_bitop2_b32 v7, 7, v20 bitop3:0x40
	s_mov_b32 s24, exec_lo
	v_cmpx_gt_u32_e32 8, v19
; %bb.1024:                             ;   in Loop: Header=BB275_557 Depth=1
	s_delay_alu instid0(VALU_DEP_2) | instskip(NEXT) | instid1(VALU_DEP_1)
	v_clz_i32_u32_e32 v7, v7
	v_min_u32_e32 v7, 32, v7
	s_delay_alu instid0(VALU_DEP_1) | instskip(NEXT) | instid1(VALU_DEP_1)
	v_subrev_nc_u32_e32 v12, 28, v7
	v_lshlrev_b64_e32 v[22:23], v12, v[20:21]
	s_delay_alu instid0(VALU_DEP_1)
	v_dual_sub_nc_u32 v12, 29, v7 :: v_dual_bitop2_b32 v7, 7, v22 bitop3:0x40
; %bb.1025:                             ;   in Loop: Header=BB275_557 Depth=1
	s_or_b32 exec_lo, exec_lo, s24
	s_delay_alu instid0(VALU_DEP_1) | instskip(NEXT) | instid1(VALU_DEP_2)
	v_dual_lshlrev_b32 v19, 8, v20 :: v_dual_lshlrev_b32 v7, 7, v7
	v_lshl_add_u32 v12, v12, 10, 0x2000
	s_delay_alu instid0(VALU_DEP_2) | instskip(NEXT) | instid1(VALU_DEP_2)
	v_and_b32_e32 v19, 0x8000, v19
	v_and_b32_e32 v12, 0xfc00, v12
	s_delay_alu instid0(VALU_DEP_1)
	v_or3_b32 v7, v19, v12, v7
.LBB275_1026:                           ;   in Loop: Header=BB275_557 Depth=1
	s_or_b32 exec_lo, exec_lo, s23
.LBB275_1027:                           ;   in Loop: Header=BB275_557 Depth=1
	s_delay_alu instid0(SALU_CYCLE_1)
	s_or_b32 exec_lo, exec_lo, s22
.LBB275_1028:                           ;   in Loop: Header=BB275_557 Depth=1
	s_delay_alu instid0(SALU_CYCLE_1) | instskip(SKIP_2) | instid1(VALU_DEP_1)
	s_or_b32 exec_lo, exec_lo, s21
	v_lshrrev_b16 v12, 8, v20
	s_mov_b32 s21, exec_lo
	v_cmpx_ne_u16_e32 0, v12
	s_cbranch_execz .LBB275_1036
; %bb.1029:                             ;   in Loop: Header=BB275_557 Depth=1
	v_bfrev_b32_e32 v1, 1
	s_mov_b32 s22, exec_lo
	v_cmpx_ne_u16_e32 0x80, v12
	s_cbranch_execz .LBB275_1035
; %bb.1030:                             ;   in Loop: Header=BB275_557 Depth=1
	v_and_b32_e32 v19, 0xffff, v12
	v_mov_b32_e32 v1, 0x7c010000
	s_mov_b32 s23, exec_lo
	s_delay_alu instid0(VALU_DEP_2) | instskip(NEXT) | instid1(VALU_DEP_1)
	v_and_b32_e32 v23, 0x7f, v19
	v_cmpx_ne_u32_e32 0x7f, v23
	s_cbranch_execz .LBB275_1034
; %bb.1031:                             ;   in Loop: Header=BB275_557 Depth=1
	v_and_b32_e32 v1, 7, v19
	v_lshrrev_b32_e32 v22, 3, v23
	s_mov_b32 s24, exec_lo
	v_cmpx_gt_u32_e32 8, v23
; %bb.1032:                             ;   in Loop: Header=BB275_557 Depth=1
	s_delay_alu instid0(VALU_DEP_3) | instskip(NEXT) | instid1(VALU_DEP_1)
	v_clz_i32_u32_e32 v1, v1
	v_min_u32_e32 v1, 32, v1
	s_delay_alu instid0(VALU_DEP_1) | instskip(NEXT) | instid1(VALU_DEP_1)
	v_subrev_nc_u32_e32 v22, 28, v1
	v_lshlrev_b64_e32 v[24:25], v22, v[12:13]
	s_delay_alu instid0(VALU_DEP_1)
	v_dual_sub_nc_u32 v22, 29, v1 :: v_dual_bitop2_b32 v1, 7, v24 bitop3:0x40
; %bb.1033:                             ;   in Loop: Header=BB275_557 Depth=1
	s_or_b32 exec_lo, exec_lo, s24
	s_delay_alu instid0(VALU_DEP_1) | instskip(NEXT) | instid1(VALU_DEP_2)
	v_dual_lshlrev_b32 v12, 8, v19 :: v_dual_lshlrev_b32 v1, 23, v1
	v_lshl_add_u32 v19, v22, 10, 0x2000
	s_delay_alu instid0(VALU_DEP_1) | instskip(NEXT) | instid1(VALU_DEP_1)
	v_and_or_b32 v12, 0x8000, v12, v19
	v_lshl_or_b32 v1, v12, 16, v1
.LBB275_1034:                           ;   in Loop: Header=BB275_557 Depth=1
	s_or_b32 exec_lo, exec_lo, s23
.LBB275_1035:                           ;   in Loop: Header=BB275_557 Depth=1
	s_delay_alu instid0(SALU_CYCLE_1)
	s_or_b32 exec_lo, exec_lo, s22
.LBB275_1036:                           ;   in Loop: Header=BB275_557 Depth=1
	s_delay_alu instid0(SALU_CYCLE_1) | instskip(SKIP_3) | instid1(VALU_DEP_2)
	s_or_b32 exec_lo, exec_lo, s21
	v_dual_mov_b32 v19, 0 :: v_dual_lshrrev_b32 v12, 16, v20
	v_mov_b32_e32 v22, 0
	s_mov_b32 s21, exec_lo
	v_and_b32_e32 v23, 0xff, v12
	s_delay_alu instid0(VALU_DEP_1)
	v_cmpx_ne_u16_e32 0, v23
	s_cbranch_execz .LBB275_1044
; %bb.1037:                             ;   in Loop: Header=BB275_557 Depth=1
	v_mov_b32_e32 v22, 0x8000
	s_mov_b32 s22, exec_lo
	v_cmpx_ne_u16_e32 0x80, v23
	s_cbranch_execz .LBB275_1043
; %bb.1038:                             ;   in Loop: Header=BB275_557 Depth=1
	v_bfe_u32 v24, v20, 16, 7
	v_mov_b32_e32 v22, 0x7c01
	s_mov_b32 s23, exec_lo
	s_delay_alu instid0(VALU_DEP_2)
	v_cmpx_ne_u32_e32 0x7f, v24
	s_cbranch_execz .LBB275_1042
; %bb.1039:                             ;   in Loop: Header=BB275_557 Depth=1
	v_and_b32_e32 v22, 7, v12
	v_lshrrev_b32_e32 v23, 3, v24
	s_mov_b32 s24, exec_lo
	v_cmpx_gt_u32_e32 8, v24
; %bb.1040:                             ;   in Loop: Header=BB275_557 Depth=1
	s_delay_alu instid0(VALU_DEP_3) | instskip(NEXT) | instid1(VALU_DEP_1)
	v_clz_i32_u32_e32 v22, v22
	v_min_u32_e32 v24, 32, v22
	s_delay_alu instid0(VALU_DEP_1) | instskip(NEXT) | instid1(VALU_DEP_1)
	v_subrev_nc_u32_e32 v22, 28, v24
	v_lshlrev_b64_e32 v[22:23], v22, v[12:13]
	s_delay_alu instid0(VALU_DEP_1)
	v_dual_sub_nc_u32 v23, 29, v24 :: v_dual_bitop2_b32 v22, 7, v22 bitop3:0x40
; %bb.1041:                             ;   in Loop: Header=BB275_557 Depth=1
	s_or_b32 exec_lo, exec_lo, s24
	s_delay_alu instid0(VALU_DEP_1) | instskip(NEXT) | instid1(VALU_DEP_2)
	v_dual_lshlrev_b32 v12, 8, v12 :: v_dual_lshlrev_b32 v22, 7, v22
	v_lshl_add_u32 v23, v23, 10, 0x2000
	s_delay_alu instid0(VALU_DEP_2) | instskip(NEXT) | instid1(VALU_DEP_2)
	v_and_b32_e32 v12, 0x8000, v12
	v_and_b32_e32 v23, 0xfc00, v23
	s_delay_alu instid0(VALU_DEP_1)
	v_or3_b32 v22, v12, v23, v22
.LBB275_1042:                           ;   in Loop: Header=BB275_557 Depth=1
	s_or_b32 exec_lo, exec_lo, s23
.LBB275_1043:                           ;   in Loop: Header=BB275_557 Depth=1
	s_delay_alu instid0(SALU_CYCLE_1)
	s_or_b32 exec_lo, exec_lo, s22
.LBB275_1044:                           ;   in Loop: Header=BB275_557 Depth=1
	s_delay_alu instid0(SALU_CYCLE_1) | instskip(NEXT) | instid1(SALU_CYCLE_1)
	s_or_b32 exec_lo, exec_lo, s21
	s_mov_b32 s21, exec_lo
	v_cmpx_lt_u32_e32 0xffffff, v20
	s_cbranch_execz .LBB275_1052
; %bb.1045:                             ;   in Loop: Header=BB275_557 Depth=1
	v_lshrrev_b32_e32 v12, 24, v20
	v_bfrev_b32_e32 v19, 1
	s_mov_b32 s22, exec_lo
	s_delay_alu instid0(VALU_DEP_2)
	v_cmpx_ne_u32_e32 0x80, v12
	s_cbranch_execz .LBB275_1051
; %bb.1046:                             ;   in Loop: Header=BB275_557 Depth=1
	v_and_b32_e32 v24, 0x7f, v12
	v_mov_b32_e32 v19, 0x7c010000
	s_mov_b32 s23, exec_lo
	s_delay_alu instid0(VALU_DEP_2)
	v_cmpx_ne_u32_e32 0x7f, v24
	s_cbranch_execz .LBB275_1050
; %bb.1047:                             ;   in Loop: Header=BB275_557 Depth=1
	v_and_b32_e32 v19, 7, v12
	v_lshrrev_b32_e32 v23, 3, v24
	s_mov_b32 s24, exec_lo
	v_cmpx_gt_u32_e32 8, v24
; %bb.1048:                             ;   in Loop: Header=BB275_557 Depth=1
	s_delay_alu instid0(VALU_DEP_3) | instskip(NEXT) | instid1(VALU_DEP_1)
	v_clz_i32_u32_e32 v19, v19
	v_min_u32_e32 v19, 32, v19
	s_delay_alu instid0(VALU_DEP_1) | instskip(NEXT) | instid1(VALU_DEP_1)
	v_subrev_nc_u32_e32 v23, 28, v19
	v_lshlrev_b64_e32 v[24:25], v23, v[12:13]
	s_delay_alu instid0(VALU_DEP_1)
	v_dual_sub_nc_u32 v23, 29, v19 :: v_dual_bitop2_b32 v19, 7, v24 bitop3:0x40
; %bb.1049:                             ;   in Loop: Header=BB275_557 Depth=1
	s_or_b32 exec_lo, exec_lo, s24
	s_delay_alu instid0(VALU_DEP_1) | instskip(NEXT) | instid1(VALU_DEP_2)
	v_dual_lshlrev_b32 v12, 8, v12 :: v_dual_lshlrev_b32 v19, 23, v19
	v_lshl_add_u32 v23, v23, 10, 0x2000
	s_delay_alu instid0(VALU_DEP_1) | instskip(NEXT) | instid1(VALU_DEP_1)
	v_and_or_b32 v12, 0x8000, v12, v23
	v_lshl_or_b32 v19, v12, 16, v19
.LBB275_1050:                           ;   in Loop: Header=BB275_557 Depth=1
	s_or_b32 exec_lo, exec_lo, s23
.LBB275_1051:                           ;   in Loop: Header=BB275_557 Depth=1
	s_delay_alu instid0(SALU_CYCLE_1)
	s_or_b32 exec_lo, exec_lo, s22
.LBB275_1052:                           ;   in Loop: Header=BB275_557 Depth=1
	s_delay_alu instid0(SALU_CYCLE_1) | instskip(SKIP_4) | instid1(VALU_DEP_3)
	s_or_b32 exec_lo, exec_lo, s21
	v_and_b32_e32 v25, 0xff, v21
	v_dual_mov_b32 v12, v21 :: v_dual_mov_b32 v24, 0
	v_mov_b32_e32 v23, 0
	s_mov_b32 s21, exec_lo
	v_cmpx_ne_u16_e32 0, v25
	s_cbranch_execz .LBB275_1060
; %bb.1053:                             ;   in Loop: Header=BB275_557 Depth=1
	v_mov_b32_e32 v23, 0x8000
	s_mov_b32 s22, exec_lo
	v_cmpx_ne_u16_e32 0x80, v25
	s_cbranch_execz .LBB275_1059
; %bb.1054:                             ;   in Loop: Header=BB275_557 Depth=1
	v_and_b32_e32 v26, 0x7f, v21
	v_mov_b32_e32 v23, 0x7c01
	s_mov_b32 s23, exec_lo
	s_delay_alu instid0(VALU_DEP_2)
	v_cmpx_ne_u32_e32 0x7f, v26
	s_cbranch_execz .LBB275_1058
; %bb.1055:                             ;   in Loop: Header=BB275_557 Depth=1
	v_dual_lshrrev_b32 v25, 3, v26 :: v_dual_bitop2_b32 v23, 7, v21 bitop3:0x40
	s_mov_b32 s24, exec_lo
	v_cmpx_gt_u32_e32 8, v26
; %bb.1056:                             ;   in Loop: Header=BB275_557 Depth=1
	s_delay_alu instid0(VALU_DEP_2) | instskip(NEXT) | instid1(VALU_DEP_1)
	v_clz_i32_u32_e32 v23, v23
	v_min_u32_e32 v23, 32, v23
	s_delay_alu instid0(VALU_DEP_1) | instskip(NEXT) | instid1(VALU_DEP_1)
	v_subrev_nc_u32_e32 v25, 28, v23
	v_lshlrev_b64_e32 v[26:27], v25, v[12:13]
	s_delay_alu instid0(VALU_DEP_1)
	v_dual_sub_nc_u32 v25, 29, v23 :: v_dual_bitop2_b32 v23, 7, v26 bitop3:0x40
; %bb.1057:                             ;   in Loop: Header=BB275_557 Depth=1
	s_or_b32 exec_lo, exec_lo, s24
	s_delay_alu instid0(VALU_DEP_1) | instskip(NEXT) | instid1(VALU_DEP_2)
	v_dual_lshlrev_b32 v26, 8, v21 :: v_dual_lshlrev_b32 v23, 7, v23
	v_lshl_add_u32 v25, v25, 10, 0x2000
	s_delay_alu instid0(VALU_DEP_2) | instskip(NEXT) | instid1(VALU_DEP_2)
	v_and_b32_e32 v26, 0x8000, v26
	v_and_b32_e32 v25, 0xfc00, v25
	s_delay_alu instid0(VALU_DEP_1)
	v_or3_b32 v23, v26, v25, v23
.LBB275_1058:                           ;   in Loop: Header=BB275_557 Depth=1
	s_or_b32 exec_lo, exec_lo, s23
.LBB275_1059:                           ;   in Loop: Header=BB275_557 Depth=1
	s_delay_alu instid0(SALU_CYCLE_1)
	s_or_b32 exec_lo, exec_lo, s22
.LBB275_1060:                           ;   in Loop: Header=BB275_557 Depth=1
	s_delay_alu instid0(SALU_CYCLE_1) | instskip(SKIP_3) | instid1(VALU_DEP_2)
	s_or_b32 exec_lo, exec_lo, s21
	v_lshrrev_b16 v12, 8, v12
	v_mov_b32_e32 v25, 0
	s_mov_b32 s21, exec_lo
	v_cmpx_ne_u16_e32 0, v12
	s_cbranch_execz .LBB275_1068
; %bb.1061:                             ;   in Loop: Header=BB275_557 Depth=1
	v_bfrev_b32_e32 v25, 1
	s_mov_b32 s22, exec_lo
	v_cmpx_ne_u16_e32 0x80, v12
	s_cbranch_execz .LBB275_1067
; %bb.1062:                             ;   in Loop: Header=BB275_557 Depth=1
	v_and_b32_e32 v26, 0xffff, v12
	v_mov_b32_e32 v25, 0x7c010000
	s_mov_b32 s23, exec_lo
	s_delay_alu instid0(VALU_DEP_2) | instskip(NEXT) | instid1(VALU_DEP_1)
	v_and_b32_e32 v28, 0x7f, v26
	v_cmpx_ne_u32_e32 0x7f, v28
	s_cbranch_execz .LBB275_1066
; %bb.1063:                             ;   in Loop: Header=BB275_557 Depth=1
	v_dual_lshrrev_b32 v27, 3, v28 :: v_dual_bitop2_b32 v25, 7, v26 bitop3:0x40
	s_mov_b32 s24, exec_lo
	v_cmpx_gt_u32_e32 8, v28
; %bb.1064:                             ;   in Loop: Header=BB275_557 Depth=1
	s_delay_alu instid0(VALU_DEP_2) | instskip(NEXT) | instid1(VALU_DEP_1)
	v_clz_i32_u32_e32 v25, v25
	v_min_u32_e32 v25, 32, v25
	s_delay_alu instid0(VALU_DEP_1) | instskip(NEXT) | instid1(VALU_DEP_1)
	v_subrev_nc_u32_e32 v27, 28, v25
	v_lshlrev_b64_e32 v[62:63], v27, v[12:13]
	s_delay_alu instid0(VALU_DEP_1)
	v_dual_sub_nc_u32 v27, 29, v25 :: v_dual_bitop2_b32 v25, 7, v62 bitop3:0x40
; %bb.1065:                             ;   in Loop: Header=BB275_557 Depth=1
	s_or_b32 exec_lo, exec_lo, s24
	s_delay_alu instid0(VALU_DEP_1) | instskip(NEXT) | instid1(VALU_DEP_2)
	v_dual_lshlrev_b32 v12, 8, v26 :: v_dual_lshlrev_b32 v25, 23, v25
	v_lshl_add_u32 v26, v27, 10, 0x2000
	s_delay_alu instid0(VALU_DEP_1) | instskip(NEXT) | instid1(VALU_DEP_1)
	v_and_or_b32 v12, 0x8000, v12, v26
	v_lshl_or_b32 v25, v12, 16, v25
.LBB275_1066:                           ;   in Loop: Header=BB275_557 Depth=1
	s_or_b32 exec_lo, exec_lo, s23
.LBB275_1067:                           ;   in Loop: Header=BB275_557 Depth=1
	s_delay_alu instid0(SALU_CYCLE_1)
	s_or_b32 exec_lo, exec_lo, s22
.LBB275_1068:                           ;   in Loop: Header=BB275_557 Depth=1
	s_delay_alu instid0(SALU_CYCLE_1) | instskip(SKIP_2) | instid1(VALU_DEP_1)
	s_or_b32 exec_lo, exec_lo, s21
	v_lshrrev_b32_e32 v12, 16, v21
	s_mov_b32 s21, exec_lo
	v_and_b32_e32 v26, 0xff, v12
	s_delay_alu instid0(VALU_DEP_1)
	v_cmpx_ne_u16_e32 0, v26
	s_cbranch_execz .LBB275_1076
; %bb.1069:                             ;   in Loop: Header=BB275_557 Depth=1
	v_mov_b32_e32 v24, 0x8000
	s_mov_b32 s22, exec_lo
	v_cmpx_ne_u16_e32 0x80, v26
	s_cbranch_execz .LBB275_1075
; %bb.1070:                             ;   in Loop: Header=BB275_557 Depth=1
	v_bfe_u32 v27, v21, 16, 7
	v_mov_b32_e32 v24, 0x7c01
	s_mov_b32 s23, exec_lo
	s_delay_alu instid0(VALU_DEP_2)
	v_cmpx_ne_u32_e32 0x7f, v27
	s_cbranch_execz .LBB275_1074
; %bb.1071:                             ;   in Loop: Header=BB275_557 Depth=1
	v_dual_lshrrev_b32 v26, 3, v27 :: v_dual_bitop2_b32 v24, 7, v12 bitop3:0x40
	s_mov_b32 s24, exec_lo
	v_cmpx_gt_u32_e32 8, v27
; %bb.1072:                             ;   in Loop: Header=BB275_557 Depth=1
	s_delay_alu instid0(VALU_DEP_2) | instskip(NEXT) | instid1(VALU_DEP_1)
	v_clz_i32_u32_e32 v24, v24
	v_min_u32_e32 v24, 32, v24
	s_delay_alu instid0(VALU_DEP_1) | instskip(NEXT) | instid1(VALU_DEP_1)
	v_subrev_nc_u32_e32 v26, 28, v24
	v_lshlrev_b64_e32 v[62:63], v26, v[12:13]
	s_delay_alu instid0(VALU_DEP_1)
	v_dual_sub_nc_u32 v26, 29, v24 :: v_dual_bitop2_b32 v24, 7, v62 bitop3:0x40
; %bb.1073:                             ;   in Loop: Header=BB275_557 Depth=1
	s_or_b32 exec_lo, exec_lo, s24
	v_lshlrev_b32_e32 v12, 8, v12
	s_delay_alu instid0(VALU_DEP_2) | instskip(NEXT) | instid1(VALU_DEP_3)
	v_lshl_add_u32 v26, v26, 10, 0x2000
	v_lshlrev_b32_e32 v24, 7, v24
	s_delay_alu instid0(VALU_DEP_3) | instskip(NEXT) | instid1(VALU_DEP_3)
	v_and_b32_e32 v12, 0x8000, v12
	v_and_b32_e32 v26, 0xfc00, v26
	s_delay_alu instid0(VALU_DEP_1)
	v_or3_b32 v24, v12, v26, v24
.LBB275_1074:                           ;   in Loop: Header=BB275_557 Depth=1
	s_or_b32 exec_lo, exec_lo, s23
.LBB275_1075:                           ;   in Loop: Header=BB275_557 Depth=1
	s_delay_alu instid0(SALU_CYCLE_1)
	s_or_b32 exec_lo, exec_lo, s22
.LBB275_1076:                           ;   in Loop: Header=BB275_557 Depth=1
	s_delay_alu instid0(SALU_CYCLE_1)
	s_or_b32 exec_lo, exec_lo, s21
	v_cmp_lt_u64_e64 s0, s[4:5], v[20:21]
	v_mov_b32_e32 v20, 0
	s_and_saveexec_b32 s21, s0
	s_cbranch_execz .LBB275_1084
; %bb.1077:                             ;   in Loop: Header=BB275_557 Depth=1
	v_lshrrev_b32_e32 v12, 24, v21
	v_bfrev_b32_e32 v20, 1
	s_mov_b32 s22, exec_lo
	s_delay_alu instid0(VALU_DEP_2)
	v_cmpx_ne_u32_e32 0x80, v12
	s_cbranch_execz .LBB275_1083
; %bb.1078:                             ;   in Loop: Header=BB275_557 Depth=1
	v_and_b32_e32 v26, 0x7f, v12
	v_mov_b32_e32 v20, 0x7c010000
	s_mov_b32 s23, exec_lo
	s_delay_alu instid0(VALU_DEP_2)
	v_cmpx_ne_u32_e32 0x7f, v26
	s_cbranch_execz .LBB275_1082
; %bb.1079:                             ;   in Loop: Header=BB275_557 Depth=1
	v_dual_lshrrev_b32 v21, 3, v26 :: v_dual_bitop2_b32 v20, 7, v12 bitop3:0x40
	s_mov_b32 s24, exec_lo
	v_cmpx_gt_u32_e32 8, v26
; %bb.1080:                             ;   in Loop: Header=BB275_557 Depth=1
	s_delay_alu instid0(VALU_DEP_2) | instskip(NEXT) | instid1(VALU_DEP_1)
	v_clz_i32_u32_e32 v20, v20
	v_min_u32_e32 v26, 32, v20
	s_delay_alu instid0(VALU_DEP_1) | instskip(NEXT) | instid1(VALU_DEP_1)
	v_subrev_nc_u32_e32 v20, 28, v26
	v_lshlrev_b64_e32 v[20:21], v20, v[12:13]
	s_delay_alu instid0(VALU_DEP_1)
	v_dual_sub_nc_u32 v21, 29, v26 :: v_dual_bitop2_b32 v20, 7, v20 bitop3:0x40
; %bb.1081:                             ;   in Loop: Header=BB275_557 Depth=1
	s_or_b32 exec_lo, exec_lo, s24
	v_lshlrev_b32_e32 v12, 8, v12
	s_delay_alu instid0(VALU_DEP_2) | instskip(NEXT) | instid1(VALU_DEP_3)
	v_lshl_add_u32 v21, v21, 10, 0x2000
	v_lshlrev_b32_e32 v20, 23, v20
	s_delay_alu instid0(VALU_DEP_2) | instskip(NEXT) | instid1(VALU_DEP_1)
	v_and_or_b32 v12, 0x8000, v12, v21
	v_lshl_or_b32 v20, v12, 16, v20
.LBB275_1082:                           ;   in Loop: Header=BB275_557 Depth=1
	s_or_b32 exec_lo, exec_lo, s23
.LBB275_1083:                           ;   in Loop: Header=BB275_557 Depth=1
	s_delay_alu instid0(SALU_CYCLE_1)
	s_or_b32 exec_lo, exec_lo, s22
.LBB275_1084:                           ;   in Loop: Header=BB275_557 Depth=1
	s_delay_alu instid0(SALU_CYCLE_1) | instskip(SKIP_3) | instid1(VALU_DEP_3)
	s_or_b32 exec_lo, exec_lo, s21
	v_dual_lshrrev_b32 v12, 16, v1 :: v_dual_lshrrev_b32 v21, 16, v19
	v_or_b32_e32 v1, v1, v7
	v_dual_lshrrev_b32 v22, 16, v20 :: v_dual_bitop2_b32 v7, v19, v22 bitop3:0x54
	v_cvt_f32_f16_e32 v27, v12
	s_delay_alu instid0(VALU_DEP_4) | instskip(SKIP_4) | instid1(VALU_DEP_3)
	v_cvt_f32_f16_e32 v26, v21
	v_lshrrev_b32_e32 v19, 16, v25
	v_cvt_f32_f16_e32 v21, v1
	v_cvt_f32_f16_e32 v22, v22
	s_wait_loadcnt 0x0
	v_pk_mul_f32 v[26:27], v[18:19], v[26:27] op_sel_hi:[0,1]
	s_delay_alu instid0(VALU_DEP_1) | instskip(SKIP_4) | instid1(VALU_DEP_4)
	v_cvt_pk_f16_f32 v1, v26, v27
	v_or_b32_e32 v12, v20, v24
	v_cvt_f32_f16_e32 v20, v7
	v_or_b32_e32 v7, v25, v23
	v_cvt_f32_f16_e32 v23, v19
	v_cvt_f32_f16_e32 v24, v12
	s_delay_alu instid0(VALU_DEP_4) | instskip(NEXT) | instid1(VALU_DEP_4)
	v_pk_mul_f32 v[20:21], v[18:19], v[20:21] op_sel_hi:[0,1]
	v_cvt_f32_f16_e32 v25, v7
	s_delay_alu instid0(VALU_DEP_4) | instskip(SKIP_1) | instid1(VALU_DEP_4)
	v_pk_mul_f32 v[26:27], v[18:19], v[22:23] op_sel_hi:[0,1]
	v_and_b32_e32 v23, 0xffff0000, v1
	v_cvt_pk_f16_f32 v7, v20, v21
	s_delay_alu instid0(VALU_DEP_4) | instskip(NEXT) | instid1(VALU_DEP_4)
	v_pk_mul_f32 v[18:19], v[18:19], v[24:25] op_sel_hi:[0,1]
	v_cvt_pk_f16_f32 v12, v26, v27
	v_lshlrev_b32_e32 v24, 16, v1
	s_delay_alu instid0(VALU_DEP_4) | instskip(NEXT) | instid1(VALU_DEP_4)
	v_and_b32_e32 v26, 0xffff, v7
	v_cvt_pk_f16_f32 v1, v18, v19
	v_lshrrev_b32_e32 v25, 16, v7
	v_and_b32_e32 v19, 0xffff0000, v12
	s_delay_alu instid0(VALU_DEP_4) | instskip(NEXT) | instid1(VALU_DEP_4)
	v_dual_lshlrev_b32 v20, 16, v12 :: v_dual_bitop2_b32 v18, v24, v26 bitop3:0x54
	v_lshrrev_b32_e32 v21, 16, v1
	v_and_b32_e32 v22, 0xffff, v1
	v_or_b32_e32 v7, v23, v25
	s_delay_alu instid0(VALU_DEP_3) | instskip(NEXT) | instid1(VALU_DEP_3)
	v_or_b32_e32 v1, v19, v21
	v_or_b32_e32 v12, v20, v22
	s_and_saveexec_b32 s0, vcc_lo
	s_cbranch_execz .LBB275_555
; %bb.1085:                             ;   in Loop: Header=BB275_557 Depth=1
	v_cmp_gt_i32_e32 vcc_lo, s14, v35
	v_cndmask_b32_e32 v1, 0, v25, vcc_lo
	v_cmp_gt_i32_e32 vcc_lo, s34, v42
	v_cndmask_b32_e32 v12, 0, v26, vcc_lo
	;; [unrolled: 2-line block ×4, first 2 shown]
	v_cmp_gt_i32_e32 vcc_lo, s14, v39
	s_delay_alu instid0(VALU_DEP_4) | instskip(NEXT) | instid1(VALU_DEP_3)
	v_or_b32_e32 v7, v7, v1
	v_dual_cndmask_b32 v21, 0, v21, vcc_lo :: v_dual_bitop2_b32 v18, v18, v12 bitop3:0x54
	v_cmp_gt_i32_e32 vcc_lo, s34, v38
	v_cndmask_b32_e32 v22, 0, v22, vcc_lo
	v_cmp_gt_i32_e32 vcc_lo, s14, v37
	v_cndmask_b32_e32 v19, 0, v19, vcc_lo
	v_cmp_gt_i32_e32 vcc_lo, s34, v36
	s_delay_alu instid0(VALU_DEP_2) | instskip(NEXT) | instid1(VALU_DEP_1)
	v_dual_cndmask_b32 v20, 0, v20, vcc_lo :: v_dual_bitop2_b32 v1, v19, v21 bitop3:0x54
	v_or_b32_e32 v12, v20, v22
	s_branch .LBB275_555
.LBB275_1086:
	s_or_b32 exec_lo, exec_lo, s15
.LBB275_1087:
	s_delay_alu instid0(SALU_CYCLE_1)
	s_or_b32 exec_lo, exec_lo, s1
	ds_bpermute_b32 v6, v30, v10
	ds_bpermute_b32 v7, v30, v11
	ds_bpermute_b32 v12, v30, v8
	ds_bpermute_b32 v13, v30, v9
	ds_bpermute_b32 v14, v30, v4
	ds_bpermute_b32 v15, v30, v5
	ds_bpermute_b32 v16, v30, v2
	ds_bpermute_b32 v17, v30, v3
	v_and_b32_e32 v18, 0x3c3, v0
	v_and_b32_e32 v1, 28, v93
	s_mov_b32 s0, exec_lo
	s_wait_dscnt 0x0
	s_barrier_signal -1
	s_barrier_wait -1
	v_pk_add_f32 v[6:7], v[10:11], v[6:7]
	v_pk_add_f32 v[12:13], v[8:9], v[12:13]
	;; [unrolled: 1-line block ×4, first 2 shown]
	ds_bpermute_b32 v2, v29, v6
	ds_bpermute_b32 v3, v29, v7
	;; [unrolled: 1-line block ×8, first 2 shown]
	s_wait_dscnt 0x6
	v_pk_add_f32 v[6:7], v[6:7], v[2:3]
	s_wait_dscnt 0x4
	v_pk_add_f32 v[4:5], v[12:13], v[4:5]
	;; [unrolled: 2-line block ×3, first 2 shown]
	v_cmpx_ne_u32_e32 64, v18
	s_xor_b32 s0, exec_lo, s0
	s_delay_alu instid0(SALU_CYCLE_1)
	s_or_saveexec_b32 s0, s0
	s_wait_dscnt 0x0
	v_pk_add_f32 v[8:9], v[8:9], v[10:11]
	v_lshrrev_b32_e32 v11, 2, v93
	v_add_nc_u32_e32 v10, 0xa0, v1
	v_lshlrev_b32_e32 v1, 8, v92
	s_xor_b32 exec_lo, exec_lo, s0
	s_cbranch_execz .LBB275_1089
; %bb.1088:
	s_delay_alu instid0(VALU_DEP_1) | instskip(NEXT) | instid1(VALU_DEP_1)
	v_add_nc_u32_e32 v12, v10, v1
	v_add_nc_u32_e32 v13, 0xfffffe00, v12
	;; [unrolled: 1-line block ×9, first 2 shown]
	ds_store_b32 v13, v6
	ds_store_b32 v14, v7
	;; [unrolled: 1-line block ×8, first 2 shown]
.LBB275_1089:
	s_or_b32 exec_lo, exec_lo, s0
	v_lshlrev_b32_e32 v11, 2, v11
	s_mov_b32 s1, exec_lo
	v_cmp_eq_u32_e32 vcc_lo, 0, v31
	s_wait_dscnt 0x0
	s_barrier_signal -1
	v_add3_u32 v1, 0xa0, v1, v11
	s_barrier_wait -1
	v_cmpx_gt_u32_e32 64, v0
	s_cbranch_execz .LBB275_1100
; %bb.1090:
	s_and_saveexec_b32 s0, vcc_lo
	s_cbranch_execnz .LBB275_1116
; %bb.1091:
	s_or_b32 exec_lo, exec_lo, s0
	s_and_saveexec_b32 s0, vcc_lo
	s_cbranch_execnz .LBB275_1117
.LBB275_1092:
	s_or_b32 exec_lo, exec_lo, s0
	s_and_saveexec_b32 s0, vcc_lo
	s_cbranch_execnz .LBB275_1118
.LBB275_1093:
	s_or_b32 exec_lo, exec_lo, s0
	s_and_saveexec_b32 s0, vcc_lo
	s_cbranch_execnz .LBB275_1119
.LBB275_1094:
	s_or_b32 exec_lo, exec_lo, s0
	s_and_saveexec_b32 s0, vcc_lo
	s_cbranch_execnz .LBB275_1120
.LBB275_1095:
	s_or_b32 exec_lo, exec_lo, s0
	s_and_saveexec_b32 s0, vcc_lo
	s_cbranch_execnz .LBB275_1121
.LBB275_1096:
	s_or_b32 exec_lo, exec_lo, s0
	s_and_saveexec_b32 s0, vcc_lo
	s_cbranch_execnz .LBB275_1122
.LBB275_1097:
	s_or_b32 exec_lo, exec_lo, s0
	s_and_saveexec_b32 s0, vcc_lo
	s_cbranch_execz .LBB275_1099
.LBB275_1098:
	ds_load_b32 v11, v1 offset:224
	s_wait_dscnt 0x0
	v_add_f32_e32 v9, v9, v11
.LBB275_1099:
	s_or_b32 exec_lo, exec_lo, s0
.LBB275_1100:
	s_delay_alu instid0(SALU_CYCLE_1) | instskip(SKIP_4) | instid1(VALU_DEP_1)
	s_or_b32 exec_lo, exec_lo, s1
	v_and_b32_e32 v11, 0x3e3, v0
	s_mov_b32 s1, exec_lo
	s_barrier_signal -1
	s_barrier_wait -1
	v_cmpx_eq_u32_e32 32, v11
	s_cbranch_execz .LBB275_1102
; %bb.1101:
	ds_store_2addr_b32 v10, v6, v7 offset1:8
	ds_store_2addr_b32 v10, v4, v5 offset0:16 offset1:24
	ds_store_2addr_b32 v10, v2, v3 offset0:32 offset1:40
	;; [unrolled: 1-line block ×3, first 2 shown]
.LBB275_1102:
	s_or_b32 exec_lo, exec_lo, s1
	s_delay_alu instid0(SALU_CYCLE_1)
	s_mov_b32 s1, exec_lo
	s_wait_dscnt 0x0
	s_barrier_signal -1
	s_barrier_wait -1
	v_cmpx_gt_u32_e32 32, v0
	s_cbranch_execz .LBB275_1113
; %bb.1103:
	s_and_saveexec_b32 s0, vcc_lo
	s_cbranch_execnz .LBB275_1123
; %bb.1104:
	s_or_b32 exec_lo, exec_lo, s0
	s_and_saveexec_b32 s0, vcc_lo
	s_cbranch_execnz .LBB275_1124
.LBB275_1105:
	s_or_b32 exec_lo, exec_lo, s0
	s_and_saveexec_b32 s0, vcc_lo
	s_cbranch_execnz .LBB275_1125
.LBB275_1106:
	s_or_b32 exec_lo, exec_lo, s0
	s_and_saveexec_b32 s0, vcc_lo
	s_cbranch_execnz .LBB275_1126
.LBB275_1107:
	s_or_b32 exec_lo, exec_lo, s0
	s_and_saveexec_b32 s0, vcc_lo
	s_cbranch_execnz .LBB275_1127
.LBB275_1108:
	s_or_b32 exec_lo, exec_lo, s0
	s_and_saveexec_b32 s0, vcc_lo
	s_cbranch_execnz .LBB275_1128
.LBB275_1109:
	s_or_b32 exec_lo, exec_lo, s0
	s_and_saveexec_b32 s0, vcc_lo
	s_cbranch_execnz .LBB275_1129
.LBB275_1110:
	s_or_b32 exec_lo, exec_lo, s0
	s_and_saveexec_b32 s0, vcc_lo
	s_cbranch_execz .LBB275_1112
.LBB275_1111:
	ds_load_b32 v1, v1 offset:224
	s_wait_dscnt 0x0
	v_add_f32_e32 v9, v9, v1
.LBB275_1112:
	s_or_b32 exec_lo, exec_lo, s0
.LBB275_1113:
	s_delay_alu instid0(SALU_CYCLE_1)
	s_or_b32 exec_lo, exec_lo, s1
	s_mov_b32 s1, 0
	s_barrier_signal -1
	s_barrier_wait -1
	s_mov_b32 s0, exec_lo
	v_cmpx_eq_u32_e32 0, v11
	s_cbranch_execz .LBB275_1115
; %bb.1114:
	s_mul_i32 s0, s33, s7
	s_mul_i32 s2, s7, s16
	;; [unrolled: 1-line block ×3, first 2 shown]
	s_lshr_b32 s6, ttmp7, 16
	s_lshl_b32 s4, s0, 6
	s_bfe_u32 s0, ttmp6, 0x40014
	s_ashr_i32 s5, s4, 31
	s_add_co_i32 s0, s0, 1
	s_ashr_i32 s3, s2, 31
	s_mul_i32 s0, s6, s0
	s_bfe_u32 s7, ttmp6, 0x40008
	s_lshl_b64 s[4:5], s[4:5], 1
	s_lshl_b64 s[2:3], s[2:3], 1
	s_add_co_i32 s7, s7, s0
	s_cmp_eq_u32 s30, 0
	s_wait_kmcnt 0x0
	s_add_nc_u64 s[4:5], s[8:9], s[4:5]
	s_cselect_b32 s0, s6, s7
	v_lshrrev_b32_e32 v0, 1, v0
	s_add_nc_u64 s[2:3], s[4:5], s[2:3]
	s_lshl_b32 s0, s0, 7
	;;#ASMSTART
	v_cvt_f16_f32 v1, v6;

	;;#ASMEND
	s_add_nc_u64 s[0:1], s[2:3], s[0:1]
	global_store_b16 v0, v1, s[0:1]
	s_wait_xcnt 0x0
	;;#ASMSTART
	v_cvt_f16_f32 v1, v7;

	;;#ASMEND
	global_store_b16 v0, v1, s[0:1] offset:16
	s_wait_xcnt 0x0
	;;#ASMSTART
	v_cvt_f16_f32 v1, v4;

	;;#ASMEND
	global_store_b16 v0, v1, s[0:1] offset:32
	;; [unrolled: 6-line block ×7, first 2 shown]
.LBB275_1115:
	s_sendmsg sendmsg(MSG_DEALLOC_VGPRS)
	s_endpgm
.LBB275_1116:
	ds_load_b32 v11, v1
	s_wait_dscnt 0x0
	v_add_f32_e32 v6, v6, v11
	s_or_b32 exec_lo, exec_lo, s0
	s_and_saveexec_b32 s0, vcc_lo
	s_cbranch_execz .LBB275_1092
.LBB275_1117:
	ds_load_b32 v11, v1 offset:32
	s_wait_dscnt 0x0
	v_add_f32_e32 v7, v7, v11
	s_or_b32 exec_lo, exec_lo, s0
	s_and_saveexec_b32 s0, vcc_lo
	s_cbranch_execz .LBB275_1093
.LBB275_1118:
	ds_load_b32 v11, v1 offset:64
	s_wait_dscnt 0x0
	v_add_f32_e32 v4, v4, v11
	s_or_b32 exec_lo, exec_lo, s0
	s_and_saveexec_b32 s0, vcc_lo
	s_cbranch_execz .LBB275_1094
.LBB275_1119:
	ds_load_b32 v11, v1 offset:96
	s_wait_dscnt 0x0
	v_add_f32_e32 v5, v5, v11
	s_or_b32 exec_lo, exec_lo, s0
	s_and_saveexec_b32 s0, vcc_lo
	s_cbranch_execz .LBB275_1095
.LBB275_1120:
	ds_load_b32 v11, v1 offset:128
	s_wait_dscnt 0x0
	v_add_f32_e32 v2, v2, v11
	s_or_b32 exec_lo, exec_lo, s0
	s_and_saveexec_b32 s0, vcc_lo
	s_cbranch_execz .LBB275_1096
.LBB275_1121:
	ds_load_b32 v11, v1 offset:160
	s_wait_dscnt 0x0
	v_add_f32_e32 v3, v3, v11
	s_or_b32 exec_lo, exec_lo, s0
	s_and_saveexec_b32 s0, vcc_lo
	s_cbranch_execz .LBB275_1097
.LBB275_1122:
	ds_load_b32 v11, v1 offset:192
	s_wait_dscnt 0x0
	v_add_f32_e32 v8, v8, v11
	s_or_b32 exec_lo, exec_lo, s0
	s_and_saveexec_b32 s0, vcc_lo
	s_cbranch_execnz .LBB275_1098
	s_branch .LBB275_1099
.LBB275_1123:
	ds_load_b32 v10, v1
	s_wait_dscnt 0x0
	v_add_f32_e32 v6, v6, v10
	s_or_b32 exec_lo, exec_lo, s0
	s_and_saveexec_b32 s0, vcc_lo
	s_cbranch_execz .LBB275_1105
.LBB275_1124:
	ds_load_b32 v10, v1 offset:32
	s_wait_dscnt 0x0
	v_add_f32_e32 v7, v7, v10
	s_or_b32 exec_lo, exec_lo, s0
	s_and_saveexec_b32 s0, vcc_lo
	s_cbranch_execz .LBB275_1106
.LBB275_1125:
	ds_load_b32 v10, v1 offset:64
	s_wait_dscnt 0x0
	v_add_f32_e32 v4, v4, v10
	s_or_b32 exec_lo, exec_lo, s0
	s_and_saveexec_b32 s0, vcc_lo
	s_cbranch_execz .LBB275_1107
.LBB275_1126:
	ds_load_b32 v10, v1 offset:96
	s_wait_dscnt 0x0
	v_add_f32_e32 v5, v5, v10
	s_or_b32 exec_lo, exec_lo, s0
	s_and_saveexec_b32 s0, vcc_lo
	s_cbranch_execz .LBB275_1108
.LBB275_1127:
	ds_load_b32 v10, v1 offset:128
	s_wait_dscnt 0x0
	v_add_f32_e32 v2, v2, v10
	s_or_b32 exec_lo, exec_lo, s0
	s_and_saveexec_b32 s0, vcc_lo
	s_cbranch_execz .LBB275_1109
.LBB275_1128:
	ds_load_b32 v10, v1 offset:160
	s_wait_dscnt 0x0
	v_add_f32_e32 v3, v3, v10
	s_or_b32 exec_lo, exec_lo, s0
	s_and_saveexec_b32 s0, vcc_lo
	s_cbranch_execz .LBB275_1110
.LBB275_1129:
	ds_load_b32 v10, v1 offset:192
	s_wait_dscnt 0x0
	v_add_f32_e32 v8, v8, v10
	s_or_b32 exec_lo, exec_lo, s0
	s_and_saveexec_b32 s0, vcc_lo
	s_cbranch_execnz .LBB275_1111
	s_branch .LBB275_1112
	.section	.rodata,"a",@progbits
	.p2align	6, 0x0
	.amdhsa_kernel _ZN4vllm25paged_attention_v1_kernelIthLi64ELi32ELi128ELNS_18Fp8KVCacheDataTypeE1ELb1EEEvPT_PKS2_PKT0_S8_ifPKiSA_iPKfiiiSC_SC_iiiii
		.amdhsa_group_segment_fixed_size 160
		.amdhsa_private_segment_fixed_size 0
		.amdhsa_kernarg_size 384
		.amdhsa_user_sgpr_count 2
		.amdhsa_user_sgpr_dispatch_ptr 0
		.amdhsa_user_sgpr_queue_ptr 0
		.amdhsa_user_sgpr_kernarg_segment_ptr 1
		.amdhsa_user_sgpr_dispatch_id 0
		.amdhsa_user_sgpr_kernarg_preload_length 0
		.amdhsa_user_sgpr_kernarg_preload_offset 0
		.amdhsa_user_sgpr_private_segment_size 0
		.amdhsa_wavefront_size32 1
		.amdhsa_uses_dynamic_stack 0
		.amdhsa_enable_private_segment 0
		.amdhsa_system_sgpr_workgroup_id_x 1
		.amdhsa_system_sgpr_workgroup_id_y 1
		.amdhsa_system_sgpr_workgroup_id_z 1
		.amdhsa_system_sgpr_workgroup_info 0
		.amdhsa_system_vgpr_workitem_id 0
		.amdhsa_next_free_vgpr 124
		.amdhsa_next_free_sgpr 46
		.amdhsa_named_barrier_count 0
		.amdhsa_reserve_vcc 1
		.amdhsa_float_round_mode_32 0
		.amdhsa_float_round_mode_16_64 0
		.amdhsa_float_denorm_mode_32 3
		.amdhsa_float_denorm_mode_16_64 3
		.amdhsa_fp16_overflow 0
		.amdhsa_memory_ordered 1
		.amdhsa_forward_progress 1
		.amdhsa_inst_pref_size 255
		.amdhsa_round_robin_scheduling 0
		.amdhsa_exception_fp_ieee_invalid_op 0
		.amdhsa_exception_fp_denorm_src 0
		.amdhsa_exception_fp_ieee_div_zero 0
		.amdhsa_exception_fp_ieee_overflow 0
		.amdhsa_exception_fp_ieee_underflow 0
		.amdhsa_exception_fp_ieee_inexact 0
		.amdhsa_exception_int_div_zero 0
	.end_amdhsa_kernel
	.section	.text._ZN4vllm25paged_attention_v1_kernelIthLi64ELi32ELi128ELNS_18Fp8KVCacheDataTypeE1ELb1EEEvPT_PKS2_PKT0_S8_ifPKiSA_iPKfiiiSC_SC_iiiii,"axG",@progbits,_ZN4vllm25paged_attention_v1_kernelIthLi64ELi32ELi128ELNS_18Fp8KVCacheDataTypeE1ELb1EEEvPT_PKS2_PKT0_S8_ifPKiSA_iPKfiiiSC_SC_iiiii,comdat
.Lfunc_end275:
	.size	_ZN4vllm25paged_attention_v1_kernelIthLi64ELi32ELi128ELNS_18Fp8KVCacheDataTypeE1ELb1EEEvPT_PKS2_PKT0_S8_ifPKiSA_iPKfiiiSC_SC_iiiii, .Lfunc_end275-_ZN4vllm25paged_attention_v1_kernelIthLi64ELi32ELi128ELNS_18Fp8KVCacheDataTypeE1ELb1EEEvPT_PKS2_PKT0_S8_ifPKiSA_iPKfiiiSC_SC_iiiii
                                        ; -- End function
	.set _ZN4vllm25paged_attention_v1_kernelIthLi64ELi32ELi128ELNS_18Fp8KVCacheDataTypeE1ELb1EEEvPT_PKS2_PKT0_S8_ifPKiSA_iPKfiiiSC_SC_iiiii.num_vgpr, 124
	.set _ZN4vllm25paged_attention_v1_kernelIthLi64ELi32ELi128ELNS_18Fp8KVCacheDataTypeE1ELb1EEEvPT_PKS2_PKT0_S8_ifPKiSA_iPKfiiiSC_SC_iiiii.num_agpr, 0
	.set _ZN4vllm25paged_attention_v1_kernelIthLi64ELi32ELi128ELNS_18Fp8KVCacheDataTypeE1ELb1EEEvPT_PKS2_PKT0_S8_ifPKiSA_iPKfiiiSC_SC_iiiii.numbered_sgpr, 46
	.set _ZN4vllm25paged_attention_v1_kernelIthLi64ELi32ELi128ELNS_18Fp8KVCacheDataTypeE1ELb1EEEvPT_PKS2_PKT0_S8_ifPKiSA_iPKfiiiSC_SC_iiiii.num_named_barrier, 0
	.set _ZN4vllm25paged_attention_v1_kernelIthLi64ELi32ELi128ELNS_18Fp8KVCacheDataTypeE1ELb1EEEvPT_PKS2_PKT0_S8_ifPKiSA_iPKfiiiSC_SC_iiiii.private_seg_size, 0
	.set _ZN4vllm25paged_attention_v1_kernelIthLi64ELi32ELi128ELNS_18Fp8KVCacheDataTypeE1ELb1EEEvPT_PKS2_PKT0_S8_ifPKiSA_iPKfiiiSC_SC_iiiii.uses_vcc, 1
	.set _ZN4vllm25paged_attention_v1_kernelIthLi64ELi32ELi128ELNS_18Fp8KVCacheDataTypeE1ELb1EEEvPT_PKS2_PKT0_S8_ifPKiSA_iPKfiiiSC_SC_iiiii.uses_flat_scratch, 0
	.set _ZN4vllm25paged_attention_v1_kernelIthLi64ELi32ELi128ELNS_18Fp8KVCacheDataTypeE1ELb1EEEvPT_PKS2_PKT0_S8_ifPKiSA_iPKfiiiSC_SC_iiiii.has_dyn_sized_stack, 0
	.set _ZN4vllm25paged_attention_v1_kernelIthLi64ELi32ELi128ELNS_18Fp8KVCacheDataTypeE1ELb1EEEvPT_PKS2_PKT0_S8_ifPKiSA_iPKfiiiSC_SC_iiiii.has_recursion, 0
	.set _ZN4vllm25paged_attention_v1_kernelIthLi64ELi32ELi128ELNS_18Fp8KVCacheDataTypeE1ELb1EEEvPT_PKS2_PKT0_S8_ifPKiSA_iPKfiiiSC_SC_iiiii.has_indirect_call, 0
	.section	.AMDGPU.csdata,"",@progbits
; Kernel info:
; codeLenInByte = 39644
; TotalNumSgprs: 48
; NumVgprs: 124
; ScratchSize: 0
; MemoryBound: 0
; FloatMode: 240
; IeeeMode: 1
; LDSByteSize: 160 bytes/workgroup (compile time only)
; SGPRBlocks: 0
; VGPRBlocks: 7
; NumSGPRsForWavesPerEU: 48
; NumVGPRsForWavesPerEU: 124
; NamedBarCnt: 0
; Occupancy: 8
; WaveLimiterHint : 1
; COMPUTE_PGM_RSRC2:SCRATCH_EN: 0
; COMPUTE_PGM_RSRC2:USER_SGPR: 2
; COMPUTE_PGM_RSRC2:TRAP_HANDLER: 0
; COMPUTE_PGM_RSRC2:TGID_X_EN: 1
; COMPUTE_PGM_RSRC2:TGID_Y_EN: 1
; COMPUTE_PGM_RSRC2:TGID_Z_EN: 1
; COMPUTE_PGM_RSRC2:TIDIG_COMP_CNT: 0
	.section	.text._ZN4vllm25paged_attention_v1_kernelIthLi80ELi32ELi128ELNS_18Fp8KVCacheDataTypeE1ELb1EEEvPT_PKS2_PKT0_S8_ifPKiSA_iPKfiiiSC_SC_iiiii,"axG",@progbits,_ZN4vllm25paged_attention_v1_kernelIthLi80ELi32ELi128ELNS_18Fp8KVCacheDataTypeE1ELb1EEEvPT_PKS2_PKT0_S8_ifPKiSA_iPKfiiiSC_SC_iiiii,comdat
	.protected	_ZN4vllm25paged_attention_v1_kernelIthLi80ELi32ELi128ELNS_18Fp8KVCacheDataTypeE1ELb1EEEvPT_PKS2_PKT0_S8_ifPKiSA_iPKfiiiSC_SC_iiiii ; -- Begin function _ZN4vllm25paged_attention_v1_kernelIthLi80ELi32ELi128ELNS_18Fp8KVCacheDataTypeE1ELb1EEEvPT_PKS2_PKT0_S8_ifPKiSA_iPKfiiiSC_SC_iiiii
	.globl	_ZN4vllm25paged_attention_v1_kernelIthLi80ELi32ELi128ELNS_18Fp8KVCacheDataTypeE1ELb1EEEvPT_PKS2_PKT0_S8_ifPKiSA_iPKfiiiSC_SC_iiiii
	.p2align	8
	.type	_ZN4vllm25paged_attention_v1_kernelIthLi80ELi32ELi128ELNS_18Fp8KVCacheDataTypeE1ELb1EEEvPT_PKS2_PKT0_S8_ifPKiSA_iPKfiiiSC_SC_iiiii,@function
_ZN4vllm25paged_attention_v1_kernelIthLi80ELi32ELi128ELNS_18Fp8KVCacheDataTypeE1ELb1EEEvPT_PKS2_PKT0_S8_ifPKiSA_iPKfiiiSC_SC_iiiii: ; @_ZN4vllm25paged_attention_v1_kernelIthLi80ELi32ELi128ELNS_18Fp8KVCacheDataTypeE1ELb1EEEvPT_PKS2_PKT0_S8_ifPKiSA_iPKfiiiSC_SC_iiiii
; %bb.0:
	s_load_b64 s[24:25], s[0:1], 0x20
	s_bfe_u32 s3, ttmp6, 0x4000c
	s_bfe_u32 s4, ttmp6, 0x40010
	s_and_b32 s6, ttmp7, 0xffff
	s_add_co_i32 s3, s3, 1
	s_add_co_i32 s4, s4, 1
	s_and_b32 s2, ttmp6, 15
	s_bfe_u32 s5, ttmp6, 0x40004
	s_mul_i32 s3, ttmp9, s3
	s_mul_i32 s4, s6, s4
	s_getreg_b32 s30, hwreg(HW_REG_IB_STS2, 6, 4)
	s_add_co_i32 s2, s2, s3
	s_add_co_i32 s3, s5, s4
	s_cmp_eq_u32 s30, 0
	s_clause 0x1
	s_load_b32 s31, s[0:1], 0x80
	s_load_b64 s[4:5], s[0:1], 0x30
	s_cselect_b32 s33, s6, s3
	s_cselect_b32 s2, ttmp9, s2
	s_wait_kmcnt 0x0
	s_abs_i32 s3, s24
	s_delay_alu instid0(SALU_CYCLE_1) | instskip(SKIP_1) | instid1(SALU_CYCLE_2)
	s_cvt_f32_u32 s6, s3
	s_sub_co_i32 s7, 0, s3
	v_rcp_iflag_f32_e32 v1, s6
	s_abs_i32 s8, s31
	v_nop
	s_delay_alu instid0(TRANS32_DEP_1) | instskip(SKIP_1) | instid1(SALU_CYCLE_3)
	v_readfirstlane_b32 s6, v1
	s_mul_f32 s6, s6, 0x4f7ffffe
	s_cvt_u32_f32 s6, s6
	s_delay_alu instid0(SALU_CYCLE_3) | instskip(NEXT) | instid1(SALU_CYCLE_1)
	s_mul_i32 s7, s7, s6
	s_mul_hi_u32 s7, s6, s7
	s_delay_alu instid0(SALU_CYCLE_1) | instskip(SKIP_4) | instid1(SALU_CYCLE_1)
	s_add_co_i32 s6, s6, s7
	s_xor_b32 s7, s31, s24
	s_mul_hi_u32 s6, s8, s6
	s_ashr_i32 s7, s7, 31
	s_mul_i32 s9, s6, s3
	s_sub_co_i32 s8, s8, s9
	s_add_co_i32 s9, s6, 1
	s_sub_co_i32 s10, s8, s3
	s_cmp_ge_u32 s8, s3
	s_cselect_b32 s6, s9, s6
	s_cselect_b32 s8, s10, s8
	s_add_co_i32 s9, s6, 1
	s_cmp_ge_u32 s8, s3
	s_load_b64 s[10:11], s[0:1], 0x40
	s_cselect_b32 s3, s9, s6
	s_mov_b32 s9, 0
	s_xor_b32 s3, s3, s7
	s_abs_i32 s8, s2
	s_sub_co_i32 s16, s3, s7
	s_mov_b32 s7, s9
	s_abs_i32 s15, s16
	s_mov_b32 s38, s9
	s_cvt_f32_u32 s3, s15
	s_sub_co_i32 s6, 0, s15
	s_delay_alu instid0(SALU_CYCLE_2) | instskip(SKIP_1) | instid1(TRANS32_DEP_1)
	v_rcp_iflag_f32_e32 v1, s3
	v_nop
	v_readfirstlane_b32 s3, v1
	s_mul_f32 s3, s3, 0x4f7ffffe
	s_delay_alu instid0(SALU_CYCLE_3) | instskip(NEXT) | instid1(SALU_CYCLE_3)
	s_cvt_u32_f32 s3, s3
	s_mul_i32 s6, s6, s3
	s_delay_alu instid0(SALU_CYCLE_1) | instskip(NEXT) | instid1(SALU_CYCLE_1)
	s_mul_hi_u32 s6, s3, s6
	s_add_co_i32 s6, s3, s6
	s_wait_kmcnt 0x0
	s_cmp_eq_u64 s[10:11], 0
	s_cbranch_scc1 .LBB276_2
; %bb.1:
	s_ashr_i32 s3, s2, 31
	s_delay_alu instid0(SALU_CYCLE_1) | instskip(NEXT) | instid1(SALU_CYCLE_1)
	s_lshl_b64 s[12:13], s[2:3], 2
	s_add_nc_u64 s[10:11], s[10:11], s[12:13]
	s_load_b32 s38, s[10:11], 0x0
.LBB276_2:
	s_load_b32 s34, s[4:5], s33 offset:0x0 scale_offset
	s_load_b96 s[12:14], s[0:1], 0x48
	s_ashr_i32 s3, s2, 31
	s_ashr_i32 s18, s16, 31
	s_wait_xcnt 0x0
	s_mul_u64 s[10:11], s[8:9], s[6:7]
	s_mul_i32 s16, s2, 0x50
	s_mov_b32 s4, exec_lo
	v_cmpx_gt_u32_e32 10, v0
	s_cbranch_execz .LBB276_4
; %bb.3:
	s_load_b64 s[6:7], s[0:1], 0x8
	s_wait_kmcnt 0x0
	s_mul_i32 s20, s12, s33
	s_ashr_i32 s17, s16, 31
	s_ashr_i32 s21, s20, 31
	v_lshlrev_b32_e32 v1, 4, v0
	s_lshl_b64 s[20:21], s[20:21], 1
	s_delay_alu instid0(SALU_CYCLE_1) | instskip(SKIP_1) | instid1(SALU_CYCLE_1)
	s_add_nc_u64 s[6:7], s[6:7], s[20:21]
	s_lshl_b64 s[20:21], s[16:17], 1
	s_add_nc_u64 s[6:7], s[6:7], s[20:21]
	global_load_b128 v[2:5], v0, s[6:7] scale_offset
	s_wait_loadcnt 0x0
	ds_store_b128 v1, v[2:5]
.LBB276_4:
	s_or_b32 exec_lo, exec_lo, s4
	s_load_b128 s[4:7], s[0:1], 0x68
	s_mul_i32 s9, s11, s15
	s_xor_b32 s3, s3, s18
	s_sub_co_i32 s8, s8, s9
	s_add_co_i32 s9, s11, 1
	s_sub_co_i32 s10, s8, s15
	s_cmp_ge_u32 s8, s15
	s_wait_dscnt 0x0
	s_cselect_b32 s9, s9, s11
	s_cselect_b32 s8, s10, s8
	s_add_co_i32 s11, s9, 1
	s_cmp_ge_u32 s8, s15
	s_load_b32 s10, s[0:1], 0x78
	s_cselect_b32 s8, s11, s9
	s_wait_kmcnt 0x0
	s_add_co_i32 s11, s34, -1
	s_xor_b32 s8, s8, s3
	s_mov_b32 s15, -1
	s_sub_co_i32 s3, s8, s3
	s_barrier_signal -1
	s_barrier_wait -1
	s_abs_i32 s12, s7
	s_delay_alu instid0(SALU_CYCLE_1) | instskip(NEXT) | instid1(SALU_CYCLE_3)
	s_cvt_f32_u32 s9, s12
	v_rcp_iflag_f32_e32 v1, s9
	v_nop
	s_delay_alu instid0(TRANS32_DEP_1) | instskip(SKIP_1) | instid1(SALU_CYCLE_3)
	v_readfirstlane_b32 s9, v1
	s_mul_f32 s8, s9, 0x4f7ffffe
	s_cvt_u32_f32 s17, s8
	s_sub_co_i32 s8, 0, s12
	s_delay_alu instid0(SALU_CYCLE_2)
	s_mul_i32 s9, s8, s17
	s_abs_i32 s8, s11
	s_mul_hi_u32 s18, s17, s9
	s_mov_b32 s9, 0
	s_add_co_i32 s18, s17, s18
	s_cmp_lt_i32 s10, 0
	s_mov_b32 s19, s9
                                        ; implicit-def: $sgpr17
	s_cbranch_scc0 .LBB276_6
; %bb.5:
	s_mul_i32 s15, s4, s24
	s_delay_alu instid0(SALU_CYCLE_1) | instskip(NEXT) | instid1(SALU_CYCLE_1)
	s_add_co_i32 s15, s3, s15
	s_mul_i32 s15, s15, s10
	s_delay_alu instid0(SALU_CYCLE_1)
	s_sub_co_i32 s17, 1, s15
	s_mov_b32 s15, s9
.LBB276_6:
	s_ashr_i32 s11, s11, 31
	s_ashr_i32 s35, s7, 31
	s_and_not1_b32 vcc_lo, exec_lo, s15
	s_mul_u64 s[26:27], s[8:9], s[18:19]
	s_cbranch_vccnz .LBB276_8
; %bb.7:
	s_mul_i32 s4, s31, s4
	s_delay_alu instid0(SALU_CYCLE_1) | instskip(NEXT) | instid1(SALU_CYCLE_1)
	s_add_co_i32 s2, s4, s2
	s_mul_i32 s2, s2, s10
	s_delay_alu instid0(SALU_CYCLE_1)
	s_add_co_i32 s17, s2, 1
.LBB276_8:
	s_clause 0x1
	s_load_b32 s2, s[0:1], 0x38
	s_load_b64 s[20:21], s[0:1], 0x28
	s_mul_i32 s7, s27, s12
	s_xor_b32 s4, s11, s35
	s_sub_co_i32 s24, s8, s7
	s_add_co_i32 s15, s27, 1
	s_clause 0x1
	s_load_b32 s7, s[0:1], 0x88
	s_load_b128 s[8:11], s[0:1], 0x58
	v_dual_lshrrev_b32 v115, 5, v0 :: v_dual_bitop2_b32 v113, 31, v0 bitop3:0x40
	v_mov_b32_e32 v114, 0xff7fffff
	v_lshrrev_b32_e32 v26, 3, v0
	s_mul_i32 s14, s3, s14
	s_delay_alu instid0(VALU_DEP_3)
	v_dual_lshlrev_b32 v6, 5, v115 :: v_dual_lshlrev_b32 v11, 2, v113
	s_wait_kmcnt 0x0
	s_mul_i32 s22, s2, s33
	s_sub_co_i32 s2, s24, s12
	s_ashr_i32 s23, s22, 31
	s_cmp_ge_u32 s24, s12
	s_cselect_b32 s15, s15, s27
	s_cselect_b32 s2, s2, s24
	s_add_co_i32 s24, s15, 1
	s_cmp_ge_u32 s2, s12
	s_cselect_b32 s2, s24, s15
	s_add_co_i32 s15, s34, 31
	s_delay_alu instid0(SALU_CYCLE_1) | instskip(NEXT) | instid1(SALU_CYCLE_1)
	s_ashr_i32 s24, s15, 31
	s_lshr_b32 s24, s24, 27
	s_delay_alu instid0(SALU_CYCLE_1) | instskip(NEXT) | instid1(SALU_CYCLE_1)
	s_add_co_i32 s15, s15, s24
	s_ashr_i32 s36, s15, 5
	s_xor_b32 s15, s2, s4
	v_cmp_gt_i32_e64 s2, s36, v115
	s_sub_co_i32 s37, s15, s4
	s_and_saveexec_b32 s24, s2
	s_cbranch_execz .LBB276_656
; %bb.9:
	s_sub_co_i32 s39, s37, s5
	s_ashr_i32 s15, s14, 31
	s_cmp_neq_f32 s38, 0
	s_load_b64 s[28:29], s[0:1], 0x10
	v_dual_mov_b32 v9, 0 :: v_dual_lshlrev_b32 v8, 4, v113
	s_cselect_b32 vcc_lo, -1, 0
	s_abs_i32 s40, s6
	s_lshl_b64 s[42:43], s[22:23], 2
	s_cvt_f32_u32 s3, s40
	v_subrev_nc_u32_e32 v2, s34, v113
	v_lshl_or_b32 v3, v115, 7, v11
	s_sub_co_i32 s4, 0, s40
	v_rcp_iflag_f32_e32 v1, s3
	s_delay_alu instid0(VALU_DEP_2) | instskip(SKIP_4) | instid1(TRANS32_DEP_1)
	v_dual_lshlrev_b32 v10, 5, v115 :: v_dual_add_nc_u32 v116, 1, v2
	v_mov_b32_e32 v114, 0xff7fffff
	v_add_nc_u32_e32 v117, 0xc0, v3
	s_mov_b32 s41, s13
	s_mov_b64 s[26:27], 0xffffffffffffff
	v_readfirstlane_b32 s3, v1
	s_wait_kmcnt 0x0
	s_add_nc_u64 s[28:29], s[28:29], s[14:15]
	s_mul_f32 s3, s3, 0x4f7ffffe
	v_add_nc_u64_e32 v[4:5], s[28:29], v[8:9]
	v_and_b32_e32 v8, 0x7c, v26
	s_add_nc_u64 s[28:29], s[20:21], s[42:43]
	s_cvt_u32_f32 s3, s3
	s_delay_alu instid0(VALU_DEP_1) | instskip(NEXT) | instid1(SALU_CYCLE_2)
	v_add_nc_u64_e32 v[14:15], s[28:29], v[8:9]
	s_mul_i32 s4, s4, s3
	s_mov_b32 s29, 0
	s_mul_hi_u32 s4, s3, s4
	s_mov_b32 s15, s29
	s_add_co_i32 s28, s3, s4
	scratch_store_b64 off, v[4:5], off      ; 8-byte Folded Spill
	s_branch .LBB276_15
.LBB276_10:                             ;   in Loop: Header=BB276_15 Depth=1
	s_or_b32 exec_lo, exec_lo, s45
	s_delay_alu instid0(VALU_DEP_1) | instskip(NEXT) | instid1(VALU_DEP_2)
	v_dual_lshlrev_b32 v4, 8, v8 :: v_dual_lshlrev_b32 v2, 23, v2
	v_lshl_add_u32 v3, v3, 10, 0x2000
	s_delay_alu instid0(VALU_DEP_1) | instskip(NEXT) | instid1(VALU_DEP_1)
	v_and_or_b32 v3, 0x8000, v4, v3
	v_lshl_or_b32 v112, v3, 16, v2
.LBB276_11:                             ;   in Loop: Header=BB276_15 Depth=1
	s_or_b32 exec_lo, exec_lo, s44
.LBB276_12:                             ;   in Loop: Header=BB276_15 Depth=1
	s_delay_alu instid0(SALU_CYCLE_1)
	s_or_b32 exec_lo, exec_lo, s43
.LBB276_13:                             ;   in Loop: Header=BB276_15 Depth=1
	s_delay_alu instid0(SALU_CYCLE_1)
	s_or_b32 exec_lo, exec_lo, s42
	ds_load_b128 v[2:5], v9
	v_or_b32_e32 v13, v16, v17
	v_or_b32_e32 v8, v18, v19
	v_fma_mixlo_f16 v16, v11, v16, 0 op_sel:[0,1,0] op_sel_hi:[0,1,0]
	v_or_b32_e32 v17, v22, v21
	v_fma_mixlo_f16 v12, v11, v18, 0 op_sel:[0,1,0] op_sel_hi:[0,1,0]
	v_or_b32_e32 v19, v23, v20
	v_fma_mixlo_f16 v18, v11, v22, 0 op_sel:[0,1,0] op_sel_hi:[0,1,0]
	v_and_b32_e32 v16, 0xffff, v16
	v_fma_mixlo_f16 v22, v11, v23, 0 op_sel:[0,1,0] op_sel_hi:[0,1,0]
	s_wait_dscnt 0x0
	v_lshrrev_b32_e32 v21, 16, v3
	v_fma_mixlo_f16 v13, v11, v13, 0 op_sel_hi:[0,1,0]
	v_and_b32_e32 v20, 0xffff, v2
	v_lshrrev_b32_e32 v2, 16, v2
	v_fma_mixlo_f16 v8, v11, v8, 0 op_sel_hi:[0,1,0]
	v_and_b32_e32 v3, 0xffff, v3
	v_and_b32_e32 v13, 0xffff, v13
	;;#ASMSTART
	v_cvt_f32_f16 v52, v20;
	;;#ASMEND
	;;#ASMSTART
	v_cvt_f32_f16 v53, v2;
	;;#ASMEND
	;; [unrolled: 3-line block ×5, first 2 shown]
	v_and_b32_e32 v3, 0xffff, v4
	v_lshrrev_b32_e32 v4, 16, v4
	v_and_b32_e32 v8, 0xffff, v8
	;;#ASMSTART
	v_cvt_f32_f16 v40, v21;
	;;#ASMEND
	v_and_b32_e32 v2, 0xffff, v12
	;;#ASMSTART
	v_cvt_f32_f16 v43, v8;
	;;#ASMEND
	;;#ASMSTART
	v_cvt_f32_f16 v42, v2;
	;;#ASMEND
	;; [unrolled: 3-line block ×4, first 2 shown]
	v_lshrrev_b32_e32 v4, 16, v5
	v_fma_mixlo_f16 v19, v11, v19, 0 op_sel_hi:[0,1,0]
	v_fma_mixlo_f16 v17, v11, v17, 0 op_sel_hi:[0,1,0]
	v_and_b32_e32 v2, 0xffff, v18
	v_and_b32_e32 v3, 0xffff, v5
	;; [unrolled: 1-line block ×5, first 2 shown]
	;;#ASMSTART
	v_cvt_f32_f16 v23, v12;
	;;#ASMEND
	;;#ASMSTART
	v_cvt_f32_f16 v22, v2;
	;;#ASMEND
	;; [unrolled: 3-line block ×6, first 2 shown]
	ds_load_b128 v[2:5], v9 offset:16
	v_or_b32_e32 v13, v25, v24
	v_or_b32_e32 v8, v28, v26
	;; [unrolled: 1-line block ×3, first 2 shown]
	v_fma_mixlo_f16 v25, v11, v25, 0 op_sel:[0,1,0] op_sel_hi:[0,1,0]
	v_fma_mixlo_f16 v27, v11, v29, 0 op_sel:[0,1,0] op_sel_hi:[0,1,0]
	v_fma_mixlo_f16 v12, v11, v28, 0 op_sel:[0,1,0] op_sel_hi:[0,1,0]
	v_or_b32_e32 v26, v32, v30
	v_fma_mixlo_f16 v28, v11, v32, 0 op_sel:[0,1,0] op_sel_hi:[0,1,0]
	v_and_b32_e32 v25, 0xffff, v25
	s_wait_dscnt 0x0
	v_and_b32_e32 v29, 0xffff, v2
	v_lshrrev_b32_e32 v2, 16, v2
	v_fma_mixlo_f16 v13, v11, v13, 0 op_sel_hi:[0,1,0]
	;;#ASMSTART
	v_cvt_f32_f16 v56, v29;
	;;#ASMEND
	;;#ASMSTART
	v_cvt_f32_f16 v57, v2;
	;;#ASMEND
	v_lshrrev_b32_e32 v2, 16, v3
	v_fma_mixlo_f16 v8, v11, v8, 0 op_sel_hi:[0,1,0]
	v_and_b32_e32 v13, 0xffff, v13
	v_and_b32_e32 v29, 0xffff, v3
	;;#ASMSTART
	v_cvt_f32_f16 v58, v13;
	;;#ASMEND
	;;#ASMSTART
	v_cvt_f32_f16 v59, v25;
	;;#ASMEND
	;; [unrolled: 3-line block ×4, first 2 shown]
	v_lshrrev_b32_e32 v2, 16, v4
	v_fma_mixlo_f16 v24, v11, v24, 0 op_sel_hi:[0,1,0]
	v_and_b32_e32 v3, 0xffff, v8
	v_and_b32_e32 v8, 0xffff, v12
	;; [unrolled: 1-line block ×3, first 2 shown]
	v_lshrrev_b32_e32 v4, 16, v5
	v_fma_mixlo_f16 v26, v11, v26, 0 op_sel_hi:[0,1,0]
	;;#ASMSTART
	v_cvt_f32_f16 v51, v3;
	;;#ASMEND
	v_and_b32_e32 v3, 0xffff, v24
	;;#ASMSTART
	v_cvt_f32_f16 v50, v8;
	;;#ASMEND
	;;#ASMSTART
	v_cvt_f32_f16 v37, v12;
	;;#ASMEND
	;; [unrolled: 3-line block ×3, first 2 shown]
	v_and_b32_e32 v2, 0xffff, v27
	v_and_b32_e32 v5, 0xffff, v5
	;;#ASMSTART
	v_cvt_f32_f16 v39, v3;
	;;#ASMEND
	v_and_b32_e32 v3, 0xffff, v26
	v_and_b32_e32 v8, 0xffff, v28
	;;#ASMSTART
	v_cvt_f32_f16 v38, v2;
	;;#ASMEND
	;;#ASMSTART
	v_cvt_f32_f16 v25, v5;
	;;#ASMEND
	;; [unrolled: 3-line block ×5, first 2 shown]
	ds_load_b128 v[2:5], v9 offset:32
	v_or_b32_e32 v8, v47, v46
	v_fma_mixlo_f16 v12, v11, v33, 0 op_sel:[0,1,0] op_sel_hi:[0,1,0]
	v_fma_mixlo_f16 v13, v11, v45, 0 op_sel:[0,1,0] op_sel_hi:[0,1,0]
	v_pk_mul_f32 v[56:57], v[56:57], v[58:59]
	s_delay_alu instid0(VALU_DEP_4) | instskip(NEXT) | instid1(VALU_DEP_4)
	v_fma_mixlo_f16 v8, v11, v8, 0 op_sel_hi:[0,1,0]
	v_and_b32_e32 v12, 0xffff, v12
	s_delay_alu instid0(VALU_DEP_3)
	v_pk_fma_f32 v[52:53], v[52:53], v[54:55], v[56:57]
	s_wait_dscnt 0x0
	v_dual_lshrrev_b32 v28, 16, v2 :: v_dual_lshrrev_b32 v30, 16, v3
	v_and_b32_e32 v32, 0xffff, v3
	v_dual_lshrrev_b32 v87, 16, v5 :: v_dual_bitop2_b32 v3, v33, v31 bitop3:0x54
	v_and_b32_e32 v29, 0xffff, v2
	v_dual_lshrrev_b32 v72, 16, v4 :: v_dual_bitop2_b32 v2, v44, v34 bitop3:0x54
	v_and_b32_e32 v90, 0xffff, v5
	v_or_b32_e32 v5, v45, v35
	v_fma_mixlo_f16 v3, v11, v3, 0 op_sel_hi:[0,1,0]
	v_and_b32_e32 v73, 0xffff, v4
	v_fma_mixlo_f16 v2, v11, v2, 0 op_sel_hi:[0,1,0]
	v_fma_mixlo_f16 v4, v11, v44, 0 op_sel:[0,1,0] op_sel_hi:[0,1,0]
	v_fma_mixlo_f16 v5, v11, v5, 0 op_sel_hi:[0,1,0]
	v_and_b32_e32 v31, 0xffff, v3
	v_fma_mixlo_f16 v3, v11, v47, 0 op_sel:[0,1,0] op_sel_hi:[0,1,0]
	v_and_b32_e32 v2, 0xffff, v2
	;;#ASMSTART
	v_cvt_f32_f16 v60, v29;
	;;#ASMEND
	;;#ASMSTART
	v_cvt_f32_f16 v61, v28;
	;;#ASMEND
	;; [unrolled: 3-line block ×4, first 2 shown]
	v_and_b32_e32 v4, 0xffff, v4
	;;#ASMSTART
	v_cvt_f32_f16 v45, v32;
	;;#ASMEND
	;;#ASMSTART
	v_cvt_f32_f16 v44, v30;
	;;#ASMEND
	;; [unrolled: 3-line block ×3, first 2 shown]
	v_and_b32_e32 v2, 0xffff, v5
	;;#ASMSTART
	v_cvt_f32_f16 v46, v4;
	;;#ASMEND
	;;#ASMSTART
	v_cvt_f32_f16 v33, v73;
	;;#ASMEND
	v_and_b32_e32 v4, 0xffff, v13
	;;#ASMSTART
	v_cvt_f32_f16 v32, v72;
	;;#ASMEND
	;;#ASMSTART
	v_cvt_f32_f16 v35, v2;
	;;#ASMEND
	v_and_b32_e32 v2, 0xffff, v8
	v_and_b32_e32 v3, 0xffff, v3
	;;#ASMSTART
	v_cvt_f32_f16 v34, v4;
	;;#ASMEND
	;;#ASMSTART
	v_cvt_f32_f16 v29, v90;
	;;#ASMEND
	;; [unrolled: 3-line block ×5, first 2 shown]
	ds_load_b128 v[2:5], v9 offset:48
	v_or_b32_e32 v8, v65, v70
	v_fma_mixlo_f16 v12, v11, v65, 0 op_sel:[0,1,0] op_sel_hi:[0,1,0]
	v_pk_fma_f32 v[60:61], v[60:61], v[62:63], v[52:53]
	s_delay_alu instid0(VALU_DEP_3) | instskip(NEXT) | instid1(VALU_DEP_3)
	v_fma_mixlo_f16 v8, v11, v8, 0 op_sel_hi:[0,1,0]
	v_and_b32_e32 v54, 0xffff, v12
	s_delay_alu instid0(VALU_DEP_2)
	v_and_b32_e32 v8, 0xffff, v8
	s_wait_dscnt 0x0
	v_and_b32_e32 v13, 0xffff, v2
	v_lshrrev_b32_e32 v2, 16, v2
	;;#ASMSTART
	v_cvt_f32_f16 v62, v13;
	;;#ASMEND
	;;#ASMSTART
	v_cvt_f32_f16 v63, v2;
	;;#ASMEND
	v_dual_lshrrev_b32 v64, 16, v5 :: v_dual_bitop2_b32 v2, v66, v64 bitop3:0x54
	v_lshrrev_b32_e32 v52, 16, v3
	v_and_b32_e32 v53, 0xffff, v3
	v_or_b32_e32 v3, v68, v67
	;;#ASMSTART
	v_cvt_f32_f16 v12, v8;
	;;#ASMEND
	;;#ASMSTART
	v_cvt_f32_f16 v13, v54;
	;;#ASMEND
	v_lshrrev_b32_e32 v54, 16, v4
	v_and_b32_e32 v55, 0xffff, v4
	v_or_b32_e32 v4, v71, v69
	v_fma_mixlo_f16 v2, v11, v2, 0 op_sel_hi:[0,1,0]
	v_and_b32_e32 v65, 0xffff, v5
	v_fma_mixlo_f16 v5, v11, v66, 0 op_sel:[0,1,0] op_sel_hi:[0,1,0]
	v_fma_mixlo_f16 v3, v11, v3, 0 op_sel_hi:[0,1,0]
	v_fma_mixlo_f16 v8, v11, v68, 0 op_sel:[0,1,0] op_sel_hi:[0,1,0]
	v_fma_mixlo_f16 v4, v11, v4, 0 op_sel_hi:[0,1,0]
	v_and_b32_e32 v56, 0xffff, v2
	v_fma_mixlo_f16 v2, v11, v71, 0 op_sel:[0,1,0] op_sel_hi:[0,1,0]
	v_and_b32_e32 v5, 0xffff, v5
	v_and_b32_e32 v3, 0xffff, v3
	;;#ASMSTART
	v_cvt_f32_f16 v71, v53;
	;;#ASMEND
	;;#ASMSTART
	v_cvt_f32_f16 v70, v52;
	;;#ASMEND
	;; [unrolled: 3-line block ×5, first 2 shown]
	v_and_b32_e32 v5, 0xffff, v8
	;;#ASMSTART
	v_cvt_f32_f16 v56, v54;
	;;#ASMEND
	;;#ASMSTART
	v_cvt_f32_f16 v59, v3;
	;;#ASMEND
	v_and_b32_e32 v3, 0xffff, v4
	v_and_b32_e32 v2, 0xffff, v2
	;;#ASMSTART
	v_cvt_f32_f16 v58, v5;
	;;#ASMEND
	;;#ASMSTART
	v_cvt_f32_f16 v53, v65;
	;;#ASMEND
	;; [unrolled: 3-line block ×5, first 2 shown]
	ds_load_b128 v[2:5], v9 offset:64
	v_or_b32_e32 v8, v76, v74
	v_fma_mixlo_f16 v64, v11, v76, 0 op_sel:[0,1,0] op_sel_hi:[0,1,0]
	v_pk_fma_f32 v[12:13], v[62:63], v[12:13], v[60:61]
	s_delay_alu instid0(VALU_DEP_3) | instskip(NEXT) | instid1(VALU_DEP_3)
	v_fma_mixlo_f16 v8, v11, v8, 0 op_sel_hi:[0,1,0]
	v_and_b32_e32 v64, 0xffff, v64
	s_delay_alu instid0(VALU_DEP_2)
	v_and_b32_e32 v8, 0xffff, v8
	s_wait_dscnt 0x0
	v_and_b32_e32 v65, 0xffff, v2
	v_lshrrev_b32_e32 v2, 16, v2
	;;#ASMSTART
	v_cvt_f32_f16 v60, v65;
	;;#ASMEND
	;;#ASMSTART
	v_cvt_f32_f16 v61, v2;
	;;#ASMEND
	v_or_b32_e32 v2, v78, v75
	;;#ASMSTART
	v_cvt_f32_f16 v62, v8;
	;;#ASMEND
	;;#ASMSTART
	v_cvt_f32_f16 v63, v64;
	;;#ASMEND
	v_lshrrev_b32_e32 v64, 16, v5
	v_pk_fma_f32 v[12:13], v[60:61], v[62:63], v[12:13]
	v_fma_mixlo_f16 v2, v11, v2, 0 op_sel_hi:[0,1,0]
	v_lshrrev_b32_e32 v8, 16, v3
	v_and_b32_e32 v60, 0xffff, v3
	v_lshrrev_b32_e32 v61, 16, v4
	v_and_b32_e32 v62, 0xffff, v4
	v_fma_mixlo_f16 v3, v11, v78, 0 op_sel:[0,1,0] op_sel_hi:[0,1,0]
	v_and_b32_e32 v4, 0xffff, v2
	v_or_b32_e32 v2, v79, v77
	;;#ASMSTART
	v_cvt_f32_f16 v69, v60;
	;;#ASMEND
	;;#ASMSTART
	v_cvt_f32_f16 v68, v8;
	;;#ASMEND
	v_and_b32_e32 v60, 0xffff, v3
	v_or_b32_e32 v3, v82, v80
	v_fma_mixlo_f16 v2, v11, v2, 0 op_sel_hi:[0,1,0]
	;;#ASMSTART
	v_cvt_f32_f16 v75, v4;
	;;#ASMEND
	v_fma_mixlo_f16 v4, v11, v79, 0 op_sel:[0,1,0] op_sel_hi:[0,1,0]
	v_and_b32_e32 v5, 0xffff, v5
	;;#ASMSTART
	v_cvt_f32_f16 v74, v60;
	;;#ASMEND
	v_and_b32_e32 v8, 0xffff, v2
	v_fma_mixlo_f16 v2, v11, v3, 0 op_sel_hi:[0,1,0]
	v_fma_mixlo_f16 v3, v11, v82, 0 op_sel:[0,1,0] op_sel_hi:[0,1,0]
	v_and_b32_e32 v4, 0xffff, v4
	;;#ASMSTART
	v_cvt_f32_f16 v63, v62;
	;;#ASMEND
	;;#ASMSTART
	v_cvt_f32_f16 v62, v61;
	;;#ASMEND
	v_and_b32_e32 v2, 0xffff, v2
	v_and_b32_e32 v3, 0xffff, v3
	;;#ASMSTART
	v_cvt_f32_f16 v67, v8;
	;;#ASMEND
	;;#ASMSTART
	v_cvt_f32_f16 v66, v4;
	;;#ASMEND
	;; [unrolled: 3-line block ×6, first 2 shown]
	ds_load_b128 v[2:5], v9 offset:80
	s_wait_dscnt 0x0
	v_and_b32_e32 v8, 0xffff, v2
	v_lshrrev_b32_e32 v2, 16, v2
	;;#ASMSTART
	v_cvt_f32_f16 v76, v8;
	;;#ASMEND
	;;#ASMSTART
	v_cvt_f32_f16 v77, v2;
	;;#ASMEND
	v_or_b32_e32 v2, v84, v81
	v_lshrrev_b32_e32 v80, 16, v5
	v_fma_mixlo_f16 v8, v11, v84, 0 op_sel:[0,1,0] op_sel_hi:[0,1,0]
	v_and_b32_e32 v5, 0xffff, v5
	s_delay_alu instid0(VALU_DEP_4) | instskip(NEXT) | instid1(VALU_DEP_3)
	v_fma_mixlo_f16 v2, v11, v2, 0 op_sel_hi:[0,1,0]
	v_and_b32_e32 v8, 0xffff, v8
	s_delay_alu instid0(VALU_DEP_2)
	v_and_b32_e32 v2, 0xffff, v2
	;;#ASMSTART
	v_cvt_f32_f16 v78, v2;
	;;#ASMEND
	v_or_b32_e32 v2, v86, v83
	;;#ASMSTART
	v_cvt_f32_f16 v79, v8;
	;;#ASMEND
	v_pk_fma_f32 v[12:13], v[76:77], v[78:79], v[12:13]
	v_lshrrev_b32_e32 v8, 16, v3
	v_and_b32_e32 v76, 0xffff, v3
	v_fma_mixlo_f16 v2, v11, v2, 0 op_sel_hi:[0,1,0]
	v_lshrrev_b32_e32 v77, 16, v4
	v_and_b32_e32 v78, 0xffff, v4
	v_fma_mixlo_f16 v3, v11, v86, 0 op_sel:[0,1,0] op_sel_hi:[0,1,0]
	s_delay_alu instid0(VALU_DEP_4) | instskip(SKIP_2) | instid1(VALU_DEP_3)
	v_and_b32_e32 v4, 0xffff, v2
	v_or_b32_e32 v2, v88, v85
	;;#ASMSTART
	v_cvt_f32_f16 v85, v76;
	;;#ASMEND
	v_and_b32_e32 v76, 0xffff, v3
	v_or_b32_e32 v3, v91, v89
	;;#ASMSTART
	v_cvt_f32_f16 v84, v8;
	;;#ASMEND
	v_fma_mixlo_f16 v2, v11, v2, 0 op_sel_hi:[0,1,0]
	;;#ASMSTART
	v_cvt_f32_f16 v87, v4;
	;;#ASMEND
	v_fma_mixlo_f16 v4, v11, v88, 0 op_sel:[0,1,0] op_sel_hi:[0,1,0]
	;;#ASMSTART
	v_cvt_f32_f16 v86, v76;
	;;#ASMEND
	;;#ASMSTART
	v_cvt_f32_f16 v79, v78;
	;;#ASMEND
	v_and_b32_e32 v8, 0xffff, v2
	v_fma_mixlo_f16 v2, v11, v3, 0 op_sel_hi:[0,1,0]
	v_fma_mixlo_f16 v3, v11, v91, 0 op_sel:[0,1,0] op_sel_hi:[0,1,0]
	v_and_b32_e32 v4, 0xffff, v4
	;;#ASMSTART
	v_cvt_f32_f16 v78, v77;
	;;#ASMEND
	;;#ASMSTART
	v_cvt_f32_f16 v83, v8;
	;;#ASMEND
	v_and_b32_e32 v2, 0xffff, v2
	v_and_b32_e32 v3, 0xffff, v3
	;;#ASMSTART
	v_cvt_f32_f16 v82, v4;
	;;#ASMEND
	;;#ASMSTART
	v_cvt_f32_f16 v77, v5;
	;;#ASMEND
	;; [unrolled: 3-line block ×5, first 2 shown]
	ds_load_b128 v[88:91], v9 offset:96
	v_or_b32_e32 v4, v93, v109
	v_fma_mixlo_f16 v5, v11, v93, 0 op_sel:[0,1,0] op_sel_hi:[0,1,0]
	v_or_b32_e32 v8, v95, v92
	s_delay_alu instid0(VALU_DEP_3) | instskip(NEXT) | instid1(VALU_DEP_3)
	v_fma_mixlo_f16 v4, v11, v4, 0 op_sel_hi:[0,1,0]
	v_and_b32_e32 v5, 0xffff, v5
	s_delay_alu instid0(VALU_DEP_2)
	v_and_b32_e32 v4, 0xffff, v4
	s_wait_dscnt 0x0
	v_and_b32_e32 v2, 0xffff, v88
	v_lshrrev_b32_e32 v3, 16, v88
	;;#ASMSTART
	v_cvt_f32_f16 v2, v2;
	;;#ASMEND
	;;#ASMSTART
	v_cvt_f32_f16 v3, v3;
	;;#ASMEND
	;; [unrolled: 3-line block ×4, first 2 shown]
	v_pk_fma_f32 v[2:3], v[2:3], v[4:5], v[12:13]
	v_pk_mul_f32 v[4:5], v[48:49], v[50:51]
	v_fma_mixlo_f16 v12, v11, v95, 0 op_sel:[0,1,0] op_sel_hi:[0,1,0]
	v_lshrrev_b32_e32 v13, 16, v89
	v_and_b32_e32 v92, 0xffff, v91
	s_delay_alu instid0(VALU_DEP_4)
	v_pk_fma_f32 v[4:5], v[40:41], v[42:43], v[4:5]
	v_lshrrev_b32_e32 v43, 16, v91
	v_fma_mixlo_f16 v8, v11, v8, 0 op_sel_hi:[0,1,0]
	v_and_b32_e32 v40, 0xffff, v89
	;;#ASMSTART
	v_cvt_f32_f16 v51, v40;
	;;#ASMEND
	v_and_b32_e32 v40, 0xffff, v12
	v_or_b32_e32 v12, v99, v97
	v_and_b32_e32 v48, 0xffff, v8
	v_or_b32_e32 v8, v96, v94
	;;#ASMSTART
	v_cvt_f32_f16 v50, v13;
	;;#ASMEND
	;;#ASMSTART
	v_cvt_f32_f16 v89, v48;
	;;#ASMEND
	;; [unrolled: 3-line block ×3, first 2 shown]
	v_fma_mixlo_f16 v13, v11, v96, 0 op_sel:[0,1,0] op_sel_hi:[0,1,0]
	v_fma_mixlo_f16 v8, v11, v8, 0 op_sel_hi:[0,1,0]
	v_lshrrev_b32_e32 v41, 16, v90
	v_and_b32_e32 v42, 0xffff, v90
	;;#ASMSTART
	v_cvt_f32_f16 v49, v42;
	;;#ASMEND
	v_and_b32_e32 v13, 0xffff, v13
	v_and_b32_e32 v40, 0xffff, v8
	v_fma_mixlo_f16 v8, v11, v12, 0 op_sel_hi:[0,1,0]
	v_fma_mixlo_f16 v12, v11, v99, 0 op_sel:[0,1,0] op_sel_hi:[0,1,0]
	;;#ASMSTART
	v_cvt_f32_f16 v48, v41;
	;;#ASMEND
	;;#ASMSTART
	v_cvt_f32_f16 v91, v40;
	;;#ASMEND
	;; [unrolled: 3-line block ×3, first 2 shown]
	v_and_b32_e32 v8, 0xffff, v8
	v_and_b32_e32 v12, 0xffff, v12
	;;#ASMSTART
	v_cvt_f32_f16 v41, v92;
	;;#ASMEND
	;;#ASMSTART
	v_cvt_f32_f16 v40, v43;
	;;#ASMEND
	;; [unrolled: 3-line block ×4, first 2 shown]
	ds_load_b128 v[92:95], v9 offset:112
	s_wait_dscnt 0x0
	v_and_b32_e32 v8, 0xffff, v92
	;;#ASMSTART
	v_cvt_f32_f16 v12, v8;
	;;#ASMEND
	v_dual_lshrrev_b32 v13, 16, v92 :: v_dual_bitop2_b32 v8, v101, v98 bitop3:0x54
	v_fma_mixlo_f16 v92, v11, v101, 0 op_sel:[0,1,0] op_sel_hi:[0,1,0]
	;;#ASMSTART
	v_cvt_f32_f16 v13, v13;
	;;#ASMEND
	s_delay_alu instid0(VALU_DEP_2) | instskip(NEXT) | instid1(VALU_DEP_2)
	v_fma_mixlo_f16 v8, v11, v8, 0 op_sel_hi:[0,1,0]
	v_and_b32_e32 v92, 0xffff, v92
	s_delay_alu instid0(VALU_DEP_2)
	v_and_b32_e32 v8, 0xffff, v8
	;;#ASMSTART
	v_cvt_f32_f16 v96, v8;
	;;#ASMEND
	;;#ASMSTART
	v_cvt_f32_f16 v97, v92;
	;;#ASMEND
	v_pk_fma_f32 v[12:13], v[12:13], v[96:97], v[2:3]
	v_or_b32_e32 v2, v103, v100
	v_pk_fma_f32 v[100:101], v[44:45], v[46:47], v[4:5]
	v_lshrrev_b32_e32 v46, 16, v95
	v_fma_mixlo_f16 v3, v11, v103, 0 op_sel:[0,1,0] op_sel_hi:[0,1,0]
	v_and_b32_e32 v5, 0xffff, v93
	v_fma_mixlo_f16 v2, v11, v2, 0 op_sel_hi:[0,1,0]
	v_lshrrev_b32_e32 v4, 16, v93
	v_and_b32_e32 v45, 0xffff, v95
	;;#ASMSTART
	v_cvt_f32_f16 v95, v5;
	;;#ASMEND
	v_and_b32_e32 v5, 0xffff, v3
	v_and_b32_e32 v47, 0xffff, v2
	v_or_b32_e32 v2, v104, v102
	v_dual_lshrrev_b32 v8, 16, v94 :: v_dual_bitop2_b32 v3, v107, v105 bitop3:0x54
	v_and_b32_e32 v44, 0xffff, v94
	;;#ASMSTART
	v_cvt_f32_f16 v94, v4;
	;;#ASMEND
	s_delay_alu instid0(VALU_DEP_3)
	v_fma_mixlo_f16 v2, v11, v2, 0 op_sel_hi:[0,1,0]
	;;#ASMSTART
	v_cvt_f32_f16 v97, v47;
	;;#ASMEND
	;;#ASMSTART
	v_cvt_f32_f16 v96, v5;
	;;#ASMEND
	v_fma_mixlo_f16 v4, v11, v104, 0 op_sel:[0,1,0] op_sel_hi:[0,1,0]
	;;#ASMSTART
	v_cvt_f32_f16 v93, v44;
	;;#ASMEND
	v_and_b32_e32 v5, 0xffff, v2
	v_fma_mixlo_f16 v2, v11, v3, 0 op_sel_hi:[0,1,0]
	v_fma_mixlo_f16 v3, v11, v107, 0 op_sel:[0,1,0] op_sel_hi:[0,1,0]
	v_and_b32_e32 v4, 0xffff, v4
	;;#ASMSTART
	v_cvt_f32_f16 v92, v8;
	;;#ASMEND
	;;#ASMSTART
	v_cvt_f32_f16 v99, v5;
	;;#ASMEND
	v_and_b32_e32 v2, 0xffff, v2
	v_and_b32_e32 v3, 0xffff, v3
	;;#ASMSTART
	v_cvt_f32_f16 v98, v4;
	;;#ASMEND
	;;#ASMSTART
	v_cvt_f32_f16 v45, v45;
	;;#ASMEND
	;; [unrolled: 3-line block ×5, first 2 shown]
	ds_load_b128 v[2:5], v9 offset:128
	s_wait_dscnt 0x0
	v_and_b32_e32 v8, 0xffff, v2
	v_lshrrev_b32_e32 v2, 16, v2
	;;#ASMSTART
	v_cvt_f32_f16 v102, v8;
	;;#ASMEND
	;;#ASMSTART
	v_cvt_f32_f16 v103, v2;
	;;#ASMEND
	v_or_b32_e32 v2, v108, v106
	v_fma_mixlo_f16 v8, v11, v108, 0 op_sel:[0,1,0] op_sel_hi:[0,1,0]
	s_delay_alu instid0(VALU_DEP_2) | instskip(NEXT) | instid1(VALU_DEP_2)
	v_fma_mixlo_f16 v2, v11, v2, 0 op_sel_hi:[0,1,0]
	v_and_b32_e32 v8, 0xffff, v8
	s_delay_alu instid0(VALU_DEP_2)
	v_and_b32_e32 v2, 0xffff, v2
	;;#ASMSTART
	v_cvt_f32_f16 v104, v2;
	;;#ASMEND
	v_or_b32_e32 v2, v119, v110
	v_pk_fma_f32 v[110:111], v[70:71], v[72:73], v[100:101]
	v_lshrrev_b32_e32 v72, 16, v5
	;;#ASMSTART
	v_cvt_f32_f16 v105, v8;
	;;#ASMEND
	v_pk_fma_f32 v[108:109], v[102:103], v[104:105], v[12:13]
	v_fma_mixlo_f16 v2, v11, v2, 0 op_sel_hi:[0,1,0]
	v_lshrrev_b32_e32 v8, 16, v3
	v_and_b32_e32 v12, 0xffff, v3
	v_lshrrev_b32_e32 v13, 16, v4
	v_and_b32_e32 v70, 0xffff, v4
	v_fma_mixlo_f16 v3, v11, v119, 0 op_sel:[0,1,0] op_sel_hi:[0,1,0]
	v_and_b32_e32 v4, 0xffff, v2
	v_or_b32_e32 v2, v120, v118
	;;#ASMSTART
	v_cvt_f32_f16 v105, v12;
	;;#ASMEND
	;;#ASMSTART
	v_cvt_f32_f16 v104, v8;
	;;#ASMEND
	v_and_b32_e32 v12, 0xffff, v3
	v_or_b32_e32 v3, v123, v121
	v_fma_mixlo_f16 v2, v11, v2, 0 op_sel_hi:[0,1,0]
	;;#ASMSTART
	v_cvt_f32_f16 v107, v4;
	;;#ASMEND
	v_fma_mixlo_f16 v4, v11, v120, 0 op_sel:[0,1,0] op_sel_hi:[0,1,0]
	v_and_b32_e32 v5, 0xffff, v5
	;;#ASMSTART
	v_cvt_f32_f16 v106, v12;
	;;#ASMEND
	v_and_b32_e32 v8, 0xffff, v2
	v_fma_mixlo_f16 v2, v11, v3, 0 op_sel_hi:[0,1,0]
	v_fma_mixlo_f16 v3, v11, v123, 0 op_sel:[0,1,0] op_sel_hi:[0,1,0]
	v_and_b32_e32 v4, 0xffff, v4
	;;#ASMSTART
	v_cvt_f32_f16 v71, v70;
	;;#ASMEND
	;;#ASMSTART
	v_cvt_f32_f16 v70, v13;
	;;#ASMEND
	v_and_b32_e32 v2, 0xffff, v2
	v_and_b32_e32 v3, 0xffff, v3
	;;#ASMSTART
	v_cvt_f32_f16 v101, v8;
	;;#ASMEND
	;;#ASMSTART
	v_cvt_f32_f16 v100, v4;
	;;#ASMEND
	;; [unrolled: 3-line block ×6, first 2 shown]
	ds_load_b128 v[2:5], v9 offset:144
	v_pk_mul_f32 v[12:13], v[36:37], v[38:39]
	v_or_b32_e32 v7, v112, v7
	s_delay_alu instid0(VALU_DEP_2) | instskip(SKIP_1) | instid1(VALU_DEP_2)
	v_pk_fma_f32 v[12:13], v[20:21], v[22:23], v[12:13]
	v_pk_mul_f32 v[22:23], v[24:25], v[26:27]
	v_pk_fma_f32 v[12:13], v[32:33], v[34:35], v[12:13]
	s_delay_alu instid0(VALU_DEP_2) | instskip(NEXT) | instid1(VALU_DEP_2)
	v_pk_fma_f32 v[16:17], v[16:17], v[18:19], v[22:23]
	v_pk_fma_f32 v[12:13], v[56:57], v[58:59], v[12:13]
	s_delay_alu instid0(VALU_DEP_2)
	v_pk_fma_f32 v[16:17], v[28:29], v[30:31], v[16:17]
	s_wait_dscnt 0x0
	v_and_b32_e32 v8, 0xffff, v2
	v_lshrrev_b32_e32 v2, 16, v2
	;;#ASMSTART
	v_cvt_f32_f16 v36, v8;
	;;#ASMEND
	;;#ASMSTART
	v_cvt_f32_f16 v37, v2;
	;;#ASMEND
	v_or_b32_e32 v2, v125, v122
	v_fma_mixlo_f16 v8, v11, v125, 0 op_sel:[0,1,0] op_sel_hi:[0,1,0]
	v_and_b32_e32 v20, 0xffff, v3
	v_pk_fma_f32 v[12:13], v[62:63], v[66:67], v[12:13]
	v_pk_fma_f32 v[16:17], v[52:53], v[54:55], v[16:17]
	v_fma_mixlo_f16 v2, v11, v2, 0 op_sel_hi:[0,1,0]
	v_and_b32_e32 v8, 0xffff, v8
	s_delay_alu instid0(VALU_DEP_4) | instskip(NEXT) | instid1(VALU_DEP_4)
	v_pk_fma_f32 v[12:13], v[78:79], v[82:83], v[12:13]
	v_pk_fma_f32 v[16:17], v[60:61], v[64:65], v[16:17]
	s_delay_alu instid0(VALU_DEP_4)
	v_and_b32_e32 v2, 0xffff, v2
	;;#ASMSTART
	v_cvt_f32_f16 v38, v2;
	;;#ASMEND
	v_add_nc_u32_e32 v2, v116, v10
	;;#ASMSTART
	v_cvt_f32_f16 v39, v8;
	;;#ASMEND
	v_pk_fma_f32 v[36:37], v[36:37], v[38:39], v[108:109]
	v_pk_fma_f32 v[38:39], v[68:69], v[74:75], v[110:111]
	v_or_b32_e32 v8, v126, v124
	v_cvt_f32_i32_e32 v68, v2
	v_or_b32_e32 v2, v1, v127
	v_lshrrev_b32_e32 v75, 16, v3
	v_fma_mixlo_f16 v69, v11, v126, 0 op_sel:[0,1,0] op_sel_hi:[0,1,0]
	v_fma_mixlo_f16 v8, v11, v8, 0 op_sel_hi:[0,1,0]
	v_fma_mixlo_f16 v1, v11, v1, 0 op_sel:[0,1,0] op_sel_hi:[0,1,0]
	v_fma_mixlo_f16 v74, v11, v2, 0 op_sel_hi:[0,1,0]
	v_pk_fma_f32 v[2:3], v[84:85], v[86:87], v[38:39]
	v_pk_fma_f32 v[12:13], v[48:49], v[90:91], v[12:13]
	v_and_b32_e32 v8, 0xffff, v8
	;;#ASMSTART
	v_cvt_f32_f16 v21, v20;
	;;#ASMEND
	;;#ASMSTART
	v_cvt_f32_f16 v20, v75;
	;;#ASMEND
	v_pk_fma_f32 v[2:3], v[50:51], v[88:89], v[2:3]
	v_and_b32_e32 v18, 0xffff, v69
	;;#ASMSTART
	v_cvt_f32_f16 v19, v8;
	;;#ASMEND
	v_and_b32_e32 v8, 0xffff, v4
	;;#ASMSTART
	v_cvt_f32_f16 v18, v18;
	;;#ASMEND
	v_pk_fma_f32 v[2:3], v[94:95], v[96:97], v[2:3]
	v_pk_fma_f32 v[12:13], v[92:93], v[98:99], v[12:13]
	;; [unrolled: 1-line block ×3, first 2 shown]
	v_lshrrev_b32_e32 v4, 16, v4
	s_delay_alu instid0(VALU_DEP_4) | instskip(NEXT) | instid1(VALU_DEP_4)
	v_pk_fma_f32 v[2:3], v[104:105], v[106:107], v[2:3]
	v_pk_fma_f32 v[12:13], v[70:71], v[100:101], v[12:13]
	s_delay_alu instid0(VALU_DEP_4) | instskip(NEXT) | instid1(VALU_DEP_3)
	v_pk_fma_f32 v[16:17], v[40:41], v[42:43], v[16:17]
	v_pk_fma_f32 v[2:3], v[20:21], v[18:19], v[2:3]
	;;#ASMSTART
	v_cvt_f32_f16 v19, v8;
	;;#ASMEND
	v_and_b32_e32 v8, 0xffff, v1
	v_add_f32_e32 v1, v36, v37
	;;#ASMSTART
	v_cvt_f32_f16 v18, v4;
	;;#ASMEND
	v_and_b32_e32 v4, 0xffff, v74
	;;#ASMSTART
	v_cvt_f32_f16 v21, v4;
	;;#ASMEND
	;;#ASMSTART
	v_cvt_f32_f16 v20, v8;
	;;#ASMEND
	v_add_f32_e32 v1, v1, v3
	v_and_b32_e32 v3, 0xffff, v5
	v_pk_fma_f32 v[12:13], v[18:19], v[20:21], v[12:13]
	v_lshrrev_b32_e32 v8, 16, v5
	v_pk_fma_f32 v[4:5], v[44:45], v[46:47], v[16:17]
	v_add_f32_e32 v1, v2, v1
	v_fma_mixlo_f16 v7, v11, v7, 0 op_sel_hi:[0,1,0]
	v_fma_mixlo_f16 v11, v11, v112, 0 op_sel:[0,1,0] op_sel_hi:[0,1,0]
	;;#ASMSTART
	v_cvt_f32_f16 v3, v3;
	;;#ASMEND
	v_pk_fma_f32 v[4:5], v[72:73], v[102:103], v[4:5]
	v_add_f32_e32 v1, v1, v13
	;;#ASMSTART
	v_cvt_f32_f16 v2, v8;
	;;#ASMEND
	v_and_b32_e32 v7, 0xffff, v7
	v_and_b32_e32 v11, 0xffff, v11
	;;#ASMSTART
	v_cvt_f32_f16 v17, v7;
	;;#ASMEND
	;;#ASMSTART
	v_cvt_f32_f16 v16, v11;
	;;#ASMEND
	v_pk_fma_f32 v[2:3], v[2:3], v[16:17], v[4:5]
	v_dual_add_f32 v1, v12, v1 :: v_dual_mul_f32 v4, s38, v68
	s_delay_alu instid0(VALU_DEP_1) | instskip(NEXT) | instid1(VALU_DEP_1)
	v_dual_add_f32 v1, v1, v3 :: v_dual_cndmask_b32 v3, 0, v4, vcc_lo
	v_add_f32_e32 v1, v2, v1
	s_delay_alu instid0(VALU_DEP_1) | instskip(SKIP_1) | instid1(VALU_DEP_1)
	v_dual_max_num_f32 v2, v114, v114 :: v_dual_fmac_f32 v3, s25, v1
	v_add_nc_u32_e32 v1, v113, v10
	v_cmp_gt_i32_e64 s3, s34, v1
	s_delay_alu instid0(VALU_DEP_1) | instskip(NEXT) | instid1(VALU_DEP_1)
	v_dual_max_num_f32 v1, v2, v3 :: v_dual_cndmask_b32 v2, 0, v3, s3
	v_cndmask_b32_e64 v114, v114, v1, s3
	ds_store_b32 v117, v2
.LBB276_14:                             ;   in Loop: Header=BB276_15 Depth=1
	s_or_b32 exec_lo, exec_lo, s4
	v_add_nc_u32_e32 v115, 4, v115
	v_add_nc_u64_e32 v[14:15], 16, v[14:15]
	v_add_nc_u32_e32 v10, 0x80, v10
	v_add_nc_u32_e32 v117, 0x200, v117
	s_delay_alu instid0(VALU_DEP_4) | instskip(SKIP_1) | instid1(SALU_CYCLE_1)
	v_cmp_le_i32_e64 s3, s36, v115
	s_or_b32 s15, s3, s15
	s_and_not1_b32 exec_lo, exec_lo, s15
	s_cbranch_execz .LBB276_655
.LBB276_15:                             ; =>This Inner Loop Header: Depth=1
	v_mov_b32_e32 v11, v9
	s_delay_alu instid0(VALU_DEP_1) | instskip(NEXT) | instid1(VALU_DEP_1)
	v_mul_u64_e32 v[2:3], s[18:19], v[10:11]
	v_mul_lo_u32 v1, v3, s12
	s_delay_alu instid0(VALU_DEP_1) | instskip(SKIP_1) | instid1(VALU_DEP_1)
	v_sub_nc_u32_e32 v1, v10, v1
	s_wait_xcnt 0x0
	v_subrev_nc_u32_e32 v4, s12, v1
	v_cmp_le_u32_e64 s3, s12, v1
	s_delay_alu instid0(VALU_DEP_1) | instskip(NEXT) | instid1(VALU_DEP_1)
	v_dual_add_nc_u32 v2, 1, v3 :: v_dual_cndmask_b32 v1, v1, v4, s3
	v_cndmask_b32_e64 v2, v3, v2, s3
	s_delay_alu instid0(VALU_DEP_2) | instskip(NEXT) | instid1(VALU_DEP_2)
	v_cmp_le_u32_e64 s3, s12, v1
	v_add_nc_u32_e32 v3, 1, v2
	s_delay_alu instid0(VALU_DEP_1) | instskip(NEXT) | instid1(VALU_DEP_1)
	v_cndmask_b32_e64 v1, v2, v3, s3
	v_xor_b32_e32 v1, s35, v1
	s_delay_alu instid0(VALU_DEP_1) | instskip(NEXT) | instid1(VALU_DEP_1)
	v_subrev_nc_u32_e32 v1, s35, v1
	v_add_nc_u32_e32 v4, s17, v1
	v_cmp_ge_i32_e64 s4, s39, v1
	s_delay_alu instid0(VALU_DEP_2) | instskip(NEXT) | instid1(VALU_DEP_1)
	v_sub_nc_u32_e32 v2, 0, v4
	v_dual_ashrrev_i32 v4, 31, v4 :: v_dual_max_i32 v8, v4, v2
	s_delay_alu instid0(VALU_DEP_1) | instskip(NEXT) | instid1(VALU_DEP_1)
	v_mul_u64_e32 v[2:3], s[28:29], v[8:9]
	v_mul_lo_u32 v2, v3, s40
	s_delay_alu instid0(VALU_DEP_1) | instskip(NEXT) | instid1(VALU_DEP_1)
	v_sub_nc_u32_e32 v2, v8, v2
	v_subrev_nc_u32_e32 v3, s40, v2
	v_cmp_le_u32_e64 s3, s40, v2
	s_delay_alu instid0(VALU_DEP_1) | instskip(NEXT) | instid1(VALU_DEP_1)
	v_cndmask_b32_e64 v2, v2, v3, s3
	v_subrev_nc_u32_e32 v3, s40, v2
	v_cmp_le_u32_e64 s3, s40, v2
	s_delay_alu instid0(VALU_DEP_1) | instskip(NEXT) | instid1(VALU_DEP_1)
	v_cndmask_b32_e64 v2, v2, v3, s3
	v_xor_b32_e32 v2, v2, v4
	s_delay_alu instid0(VALU_DEP_1) | instskip(NEXT) | instid1(VALU_DEP_1)
	v_sub_nc_u32_e32 v2, v2, v4
	v_cmp_ne_u32_e64 s3, 0, v2
	s_and_b32 s3, s3, s4
	s_delay_alu instid0(SALU_CYCLE_1) | instskip(NEXT) | instid1(SALU_CYCLE_1)
	s_and_saveexec_b32 s4, s3
	s_xor_b32 s3, exec_lo, s4
; %bb.16:                               ;   in Loop: Header=BB276_15 Depth=1
	v_mov_b32_e32 v1, 0xff7fffff
	ds_store_b32 v117, v1
; %bb.17:                               ;   in Loop: Header=BB276_15 Depth=1
	s_and_not1_saveexec_b32 s4, s3
	s_cbranch_execz .LBB276_14
; %bb.18:                               ;   in Loop: Header=BB276_15 Depth=1
	global_load_b32 v1, v[14:15], off
	scratch_load_b64 v[2:3], off, off       ; 8-byte Folded Reload
	v_dual_mov_b32 v16, 0 :: v_dual_mov_b32 v17, 0
	s_mov_b32 s42, exec_lo
	global_load_b32 v11, v16, s[8:9]
	s_wait_loadcnt 0x1
	v_mad_nc_i64_i32 v[2:3], v1, s41, v[2:3]
	global_load_b64 v[4:5], v[2:3], off
	s_wait_loadcnt 0x0
	v_and_b32_e32 v1, 0xff, v4
	s_wait_xcnt 0x0
	s_delay_alu instid0(VALU_DEP_1)
	v_cmpx_ne_u16_e32 0, v1
	s_cbranch_execz .LBB276_26
; %bb.19:                               ;   in Loop: Header=BB276_15 Depth=1
	v_mov_b32_e32 v17, 0x8000
	s_mov_b32 s43, exec_lo
	v_cmpx_ne_u16_e32 0x80, v1
	s_cbranch_execz .LBB276_25
; %bb.20:                               ;   in Loop: Header=BB276_15 Depth=1
	v_and_b32_e32 v8, 0x7f, v4
	v_mov_b32_e32 v17, 0x7c01
	s_mov_b32 s44, exec_lo
	s_delay_alu instid0(VALU_DEP_2)
	v_cmpx_ne_u32_e32 0x7f, v8
	s_cbranch_execz .LBB276_24
; %bb.21:                               ;   in Loop: Header=BB276_15 Depth=1
	v_and_b32_e32 v1, 7, v4
	v_lshrrev_b32_e32 v7, 3, v8
	s_mov_b32 s45, exec_lo
	v_cmpx_gt_u32_e32 8, v8
; %bb.22:                               ;   in Loop: Header=BB276_15 Depth=1
	s_delay_alu instid0(VALU_DEP_3) | instskip(NEXT) | instid1(VALU_DEP_1)
	v_clz_i32_u32_e32 v1, v1
	v_min_u32_e32 v1, 32, v1
	s_delay_alu instid0(VALU_DEP_1) | instskip(NEXT) | instid1(VALU_DEP_1)
	v_subrev_nc_u32_e32 v7, 28, v1
	v_lshlrev_b64_e32 v[18:19], v7, v[4:5]
	s_delay_alu instid0(VALU_DEP_1)
	v_dual_sub_nc_u32 v7, 29, v1 :: v_dual_bitop2_b32 v1, 7, v18 bitop3:0x40
; %bb.23:                               ;   in Loop: Header=BB276_15 Depth=1
	s_or_b32 exec_lo, exec_lo, s45
	s_delay_alu instid0(VALU_DEP_1) | instskip(NEXT) | instid1(VALU_DEP_2)
	v_dual_lshlrev_b32 v8, 8, v4 :: v_dual_lshlrev_b32 v1, 7, v1
	v_lshl_add_u32 v7, v7, 10, 0x2000
	s_delay_alu instid0(VALU_DEP_2) | instskip(NEXT) | instid1(VALU_DEP_2)
	v_and_b32_e32 v8, 0x8000, v8
	v_and_b32_e32 v7, 0xfc00, v7
	s_delay_alu instid0(VALU_DEP_1)
	v_or3_b32 v17, v8, v7, v1
.LBB276_24:                             ;   in Loop: Header=BB276_15 Depth=1
	s_or_b32 exec_lo, exec_lo, s44
.LBB276_25:                             ;   in Loop: Header=BB276_15 Depth=1
	s_delay_alu instid0(SALU_CYCLE_1)
	s_or_b32 exec_lo, exec_lo, s43
.LBB276_26:                             ;   in Loop: Header=BB276_15 Depth=1
	s_delay_alu instid0(SALU_CYCLE_1) | instskip(SKIP_2) | instid1(VALU_DEP_1)
	s_or_b32 exec_lo, exec_lo, s42
	v_lshrrev_b16 v8, 8, v4
	s_mov_b32 s42, exec_lo
	v_cmpx_ne_u16_e32 0, v8
	s_cbranch_execz .LBB276_34
; %bb.27:                               ;   in Loop: Header=BB276_15 Depth=1
	v_bfrev_b32_e32 v16, 1
	s_mov_b32 s43, exec_lo
	v_cmpx_ne_u16_e32 0x80, v8
	s_cbranch_execz .LBB276_33
; %bb.28:                               ;   in Loop: Header=BB276_15 Depth=1
	v_and_b32_e32 v1, 0xffff, v8
	v_mov_b32_e32 v16, 0x7c010000
	s_mov_b32 s44, exec_lo
	s_delay_alu instid0(VALU_DEP_2) | instskip(NEXT) | instid1(VALU_DEP_1)
	v_and_b32_e32 v18, 0x7f, v1
	v_cmpx_ne_u32_e32 0x7f, v18
	s_cbranch_execz .LBB276_32
; %bb.29:                               ;   in Loop: Header=BB276_15 Depth=1
	v_dual_lshrrev_b32 v16, 3, v18 :: v_dual_bitop2_b32 v7, 7, v1 bitop3:0x40
	s_mov_b32 s45, exec_lo
	v_cmpx_gt_u32_e32 8, v18
; %bb.30:                               ;   in Loop: Header=BB276_15 Depth=1
	s_delay_alu instid0(VALU_DEP_2) | instskip(NEXT) | instid1(VALU_DEP_1)
	v_clz_i32_u32_e32 v7, v7
	v_min_u32_e32 v7, 32, v7
	s_delay_alu instid0(VALU_DEP_1) | instskip(NEXT) | instid1(VALU_DEP_1)
	v_subrev_nc_u32_e32 v12, 28, v7
	v_lshlrev_b64_e32 v[18:19], v12, v[8:9]
	s_delay_alu instid0(VALU_DEP_1)
	v_dual_sub_nc_u32 v16, 29, v7 :: v_dual_bitop2_b32 v7, 7, v18 bitop3:0x40
; %bb.31:                               ;   in Loop: Header=BB276_15 Depth=1
	s_or_b32 exec_lo, exec_lo, s45
	s_delay_alu instid0(VALU_DEP_1) | instskip(NEXT) | instid1(VALU_DEP_2)
	v_dual_lshlrev_b32 v1, 8, v1 :: v_dual_lshlrev_b32 v7, 23, v7
	v_lshl_add_u32 v8, v16, 10, 0x2000
	s_delay_alu instid0(VALU_DEP_1) | instskip(NEXT) | instid1(VALU_DEP_1)
	v_and_or_b32 v1, 0x8000, v1, v8
	v_lshl_or_b32 v16, v1, 16, v7
.LBB276_32:                             ;   in Loop: Header=BB276_15 Depth=1
	s_or_b32 exec_lo, exec_lo, s44
.LBB276_33:                             ;   in Loop: Header=BB276_15 Depth=1
	s_delay_alu instid0(SALU_CYCLE_1)
	s_or_b32 exec_lo, exec_lo, s43
.LBB276_34:                             ;   in Loop: Header=BB276_15 Depth=1
	s_delay_alu instid0(SALU_CYCLE_1) | instskip(SKIP_3) | instid1(VALU_DEP_2)
	s_or_b32 exec_lo, exec_lo, s42
	v_dual_lshrrev_b32 v8, 16, v4 :: v_dual_mov_b32 v18, 0
	v_mov_b32_e32 v19, 0
	s_mov_b32 s42, exec_lo
	v_and_b32_e32 v1, 0xff, v8
	s_delay_alu instid0(VALU_DEP_1)
	v_cmpx_ne_u16_e32 0, v1
	s_cbranch_execz .LBB276_42
; %bb.35:                               ;   in Loop: Header=BB276_15 Depth=1
	v_mov_b32_e32 v19, 0x8000
	s_mov_b32 s43, exec_lo
	v_cmpx_ne_u16_e32 0x80, v1
	s_cbranch_execz .LBB276_41
; %bb.36:                               ;   in Loop: Header=BB276_15 Depth=1
	v_bfe_u32 v20, v4, 16, 7
	v_mov_b32_e32 v19, 0x7c01
	s_mov_b32 s44, exec_lo
	s_delay_alu instid0(VALU_DEP_2)
	v_cmpx_ne_u32_e32 0x7f, v20
	s_cbranch_execz .LBB276_40
; %bb.37:                               ;   in Loop: Header=BB276_15 Depth=1
	v_and_b32_e32 v1, 7, v8
	v_lshrrev_b32_e32 v7, 3, v20
	s_mov_b32 s45, exec_lo
	v_cmpx_gt_u32_e32 8, v20
; %bb.38:                               ;   in Loop: Header=BB276_15 Depth=1
	s_delay_alu instid0(VALU_DEP_3) | instskip(NEXT) | instid1(VALU_DEP_1)
	v_clz_i32_u32_e32 v1, v1
	v_min_u32_e32 v1, 32, v1
	s_delay_alu instid0(VALU_DEP_1) | instskip(NEXT) | instid1(VALU_DEP_1)
	v_subrev_nc_u32_e32 v7, 28, v1
	v_lshlrev_b64_e32 v[20:21], v7, v[8:9]
	s_delay_alu instid0(VALU_DEP_1)
	v_dual_sub_nc_u32 v7, 29, v1 :: v_dual_bitop2_b32 v1, 7, v20 bitop3:0x40
; %bb.39:                               ;   in Loop: Header=BB276_15 Depth=1
	s_or_b32 exec_lo, exec_lo, s45
	s_delay_alu instid0(VALU_DEP_1) | instskip(NEXT) | instid1(VALU_DEP_2)
	v_dual_lshlrev_b32 v8, 8, v8 :: v_dual_lshlrev_b32 v1, 7, v1
	v_lshl_add_u32 v7, v7, 10, 0x2000
	s_delay_alu instid0(VALU_DEP_2) | instskip(NEXT) | instid1(VALU_DEP_2)
	v_and_b32_e32 v8, 0x8000, v8
	v_and_b32_e32 v7, 0xfc00, v7
	s_delay_alu instid0(VALU_DEP_1)
	v_or3_b32 v19, v8, v7, v1
.LBB276_40:                             ;   in Loop: Header=BB276_15 Depth=1
	s_or_b32 exec_lo, exec_lo, s44
.LBB276_41:                             ;   in Loop: Header=BB276_15 Depth=1
	s_delay_alu instid0(SALU_CYCLE_1)
	s_or_b32 exec_lo, exec_lo, s43
.LBB276_42:                             ;   in Loop: Header=BB276_15 Depth=1
	s_delay_alu instid0(SALU_CYCLE_1) | instskip(NEXT) | instid1(SALU_CYCLE_1)
	s_or_b32 exec_lo, exec_lo, s42
	s_mov_b32 s42, exec_lo
	v_cmpx_lt_u32_e32 0xffffff, v4
	s_cbranch_execz .LBB276_50
; %bb.43:                               ;   in Loop: Header=BB276_15 Depth=1
	v_lshrrev_b32_e32 v8, 24, v4
	v_bfrev_b32_e32 v18, 1
	s_mov_b32 s43, exec_lo
	s_delay_alu instid0(VALU_DEP_2)
	v_cmpx_ne_u32_e32 0x80, v8
	s_cbranch_execz .LBB276_49
; %bb.44:                               ;   in Loop: Header=BB276_15 Depth=1
	v_and_b32_e32 v20, 0x7f, v8
	v_mov_b32_e32 v18, 0x7c010000
	s_mov_b32 s44, exec_lo
	s_delay_alu instid0(VALU_DEP_2)
	v_cmpx_ne_u32_e32 0x7f, v20
	s_cbranch_execz .LBB276_48
; %bb.45:                               ;   in Loop: Header=BB276_15 Depth=1
	v_and_b32_e32 v1, 7, v8
	v_lshrrev_b32_e32 v7, 3, v20
	s_mov_b32 s45, exec_lo
	v_cmpx_gt_u32_e32 8, v20
; %bb.46:                               ;   in Loop: Header=BB276_15 Depth=1
	s_delay_alu instid0(VALU_DEP_3) | instskip(NEXT) | instid1(VALU_DEP_1)
	v_clz_i32_u32_e32 v1, v1
	v_min_u32_e32 v1, 32, v1
	s_delay_alu instid0(VALU_DEP_1) | instskip(NEXT) | instid1(VALU_DEP_1)
	v_subrev_nc_u32_e32 v7, 28, v1
	v_lshlrev_b64_e32 v[20:21], v7, v[8:9]
	s_delay_alu instid0(VALU_DEP_1)
	v_dual_sub_nc_u32 v7, 29, v1 :: v_dual_bitop2_b32 v1, 7, v20 bitop3:0x40
; %bb.47:                               ;   in Loop: Header=BB276_15 Depth=1
	s_or_b32 exec_lo, exec_lo, s45
	s_delay_alu instid0(VALU_DEP_1) | instskip(NEXT) | instid1(VALU_DEP_2)
	v_dual_lshlrev_b32 v8, 8, v8 :: v_dual_lshlrev_b32 v1, 23, v1
	v_lshl_add_u32 v7, v7, 10, 0x2000
	s_delay_alu instid0(VALU_DEP_1) | instskip(NEXT) | instid1(VALU_DEP_1)
	v_and_or_b32 v7, 0x8000, v8, v7
	v_lshl_or_b32 v18, v7, 16, v1
.LBB276_48:                             ;   in Loop: Header=BB276_15 Depth=1
	s_or_b32 exec_lo, exec_lo, s44
.LBB276_49:                             ;   in Loop: Header=BB276_15 Depth=1
	s_delay_alu instid0(SALU_CYCLE_1)
	s_or_b32 exec_lo, exec_lo, s43
.LBB276_50:                             ;   in Loop: Header=BB276_15 Depth=1
	s_delay_alu instid0(SALU_CYCLE_1) | instskip(SKIP_4) | instid1(VALU_DEP_3)
	s_or_b32 exec_lo, exec_lo, s42
	v_and_b32_e32 v1, 0xff, v5
	v_dual_mov_b32 v8, v5 :: v_dual_mov_b32 v20, 0
	v_mov_b32_e32 v21, 0
	s_mov_b32 s42, exec_lo
	v_cmpx_ne_u16_e32 0, v1
	s_cbranch_execz .LBB276_58
; %bb.51:                               ;   in Loop: Header=BB276_15 Depth=1
	v_mov_b32_e32 v21, 0x8000
	s_mov_b32 s43, exec_lo
	v_cmpx_ne_u16_e32 0x80, v1
	s_cbranch_execz .LBB276_57
; %bb.52:                               ;   in Loop: Header=BB276_15 Depth=1
	v_and_b32_e32 v22, 0x7f, v5
	v_mov_b32_e32 v21, 0x7c01
	s_mov_b32 s44, exec_lo
	s_delay_alu instid0(VALU_DEP_2)
	v_cmpx_ne_u32_e32 0x7f, v22
	s_cbranch_execz .LBB276_56
; %bb.53:                               ;   in Loop: Header=BB276_15 Depth=1
	v_dual_lshrrev_b32 v7, 3, v22 :: v_dual_bitop2_b32 v1, 7, v5 bitop3:0x40
	s_mov_b32 s45, exec_lo
	v_cmpx_gt_u32_e32 8, v22
; %bb.54:                               ;   in Loop: Header=BB276_15 Depth=1
	s_delay_alu instid0(VALU_DEP_2) | instskip(NEXT) | instid1(VALU_DEP_1)
	v_clz_i32_u32_e32 v1, v1
	v_min_u32_e32 v1, 32, v1
	s_delay_alu instid0(VALU_DEP_1) | instskip(NEXT) | instid1(VALU_DEP_1)
	v_subrev_nc_u32_e32 v7, 28, v1
	v_lshlrev_b64_e32 v[22:23], v7, v[8:9]
	s_delay_alu instid0(VALU_DEP_1)
	v_dual_sub_nc_u32 v7, 29, v1 :: v_dual_bitop2_b32 v1, 7, v22 bitop3:0x40
; %bb.55:                               ;   in Loop: Header=BB276_15 Depth=1
	s_or_b32 exec_lo, exec_lo, s45
	v_lshlrev_b32_e32 v12, 8, v5
	s_delay_alu instid0(VALU_DEP_2) | instskip(NEXT) | instid1(VALU_DEP_3)
	v_lshl_add_u32 v7, v7, 10, 0x2000
	v_lshlrev_b32_e32 v1, 7, v1
	s_delay_alu instid0(VALU_DEP_3) | instskip(NEXT) | instid1(VALU_DEP_3)
	v_and_b32_e32 v12, 0x8000, v12
	v_and_b32_e32 v7, 0xfc00, v7
	s_delay_alu instid0(VALU_DEP_1)
	v_or3_b32 v21, v12, v7, v1
.LBB276_56:                             ;   in Loop: Header=BB276_15 Depth=1
	s_or_b32 exec_lo, exec_lo, s44
.LBB276_57:                             ;   in Loop: Header=BB276_15 Depth=1
	s_delay_alu instid0(SALU_CYCLE_1)
	s_or_b32 exec_lo, exec_lo, s43
.LBB276_58:                             ;   in Loop: Header=BB276_15 Depth=1
	s_delay_alu instid0(SALU_CYCLE_1) | instskip(SKIP_3) | instid1(VALU_DEP_2)
	s_or_b32 exec_lo, exec_lo, s42
	v_lshrrev_b16 v8, 8, v8
	v_mov_b32_e32 v22, 0
	s_mov_b32 s42, exec_lo
	v_cmpx_ne_u16_e32 0, v8
	s_cbranch_execz .LBB276_66
; %bb.59:                               ;   in Loop: Header=BB276_15 Depth=1
	v_bfrev_b32_e32 v22, 1
	s_mov_b32 s43, exec_lo
	v_cmpx_ne_u16_e32 0x80, v8
	s_cbranch_execz .LBB276_65
; %bb.60:                               ;   in Loop: Header=BB276_15 Depth=1
	v_and_b32_e32 v1, 0xffff, v8
	v_mov_b32_e32 v22, 0x7c010000
	s_mov_b32 s44, exec_lo
	s_delay_alu instid0(VALU_DEP_2) | instskip(NEXT) | instid1(VALU_DEP_1)
	v_and_b32_e32 v23, 0x7f, v1
	v_cmpx_ne_u32_e32 0x7f, v23
	s_cbranch_execz .LBB276_64
; %bb.61:                               ;   in Loop: Header=BB276_15 Depth=1
	v_dual_lshrrev_b32 v22, 3, v23 :: v_dual_bitop2_b32 v7, 7, v1 bitop3:0x40
	s_mov_b32 s45, exec_lo
	v_cmpx_gt_u32_e32 8, v23
; %bb.62:                               ;   in Loop: Header=BB276_15 Depth=1
	s_delay_alu instid0(VALU_DEP_2) | instskip(NEXT) | instid1(VALU_DEP_1)
	v_clz_i32_u32_e32 v7, v7
	v_min_u32_e32 v7, 32, v7
	s_delay_alu instid0(VALU_DEP_1) | instskip(NEXT) | instid1(VALU_DEP_1)
	v_subrev_nc_u32_e32 v12, 28, v7
	v_lshlrev_b64_e32 v[24:25], v12, v[8:9]
	s_delay_alu instid0(VALU_DEP_1)
	v_dual_sub_nc_u32 v22, 29, v7 :: v_dual_bitop2_b32 v7, 7, v24 bitop3:0x40
; %bb.63:                               ;   in Loop: Header=BB276_15 Depth=1
	s_or_b32 exec_lo, exec_lo, s45
	s_delay_alu instid0(VALU_DEP_1) | instskip(NEXT) | instid1(VALU_DEP_2)
	v_dual_lshlrev_b32 v1, 8, v1 :: v_dual_lshlrev_b32 v7, 23, v7
	v_lshl_add_u32 v8, v22, 10, 0x2000
	s_delay_alu instid0(VALU_DEP_1) | instskip(NEXT) | instid1(VALU_DEP_1)
	v_and_or_b32 v1, 0x8000, v1, v8
	v_lshl_or_b32 v22, v1, 16, v7
.LBB276_64:                             ;   in Loop: Header=BB276_15 Depth=1
	s_or_b32 exec_lo, exec_lo, s44
.LBB276_65:                             ;   in Loop: Header=BB276_15 Depth=1
	s_delay_alu instid0(SALU_CYCLE_1)
	s_or_b32 exec_lo, exec_lo, s43
.LBB276_66:                             ;   in Loop: Header=BB276_15 Depth=1
	s_delay_alu instid0(SALU_CYCLE_1) | instskip(SKIP_2) | instid1(VALU_DEP_1)
	s_or_b32 exec_lo, exec_lo, s42
	v_lshrrev_b32_e32 v8, 16, v5
	s_mov_b32 s42, exec_lo
	v_and_b32_e32 v1, 0xff, v8
	s_delay_alu instid0(VALU_DEP_1)
	v_cmpx_ne_u16_e32 0, v1
	s_cbranch_execz .LBB276_74
; %bb.67:                               ;   in Loop: Header=BB276_15 Depth=1
	v_mov_b32_e32 v20, 0x8000
	s_mov_b32 s43, exec_lo
	v_cmpx_ne_u16_e32 0x80, v1
	s_cbranch_execz .LBB276_73
; %bb.68:                               ;   in Loop: Header=BB276_15 Depth=1
	v_bfe_u32 v23, v5, 16, 7
	v_mov_b32_e32 v20, 0x7c01
	s_mov_b32 s44, exec_lo
	s_delay_alu instid0(VALU_DEP_2)
	v_cmpx_ne_u32_e32 0x7f, v23
	s_cbranch_execz .LBB276_72
; %bb.69:                               ;   in Loop: Header=BB276_15 Depth=1
	v_dual_lshrrev_b32 v7, 3, v23 :: v_dual_bitop2_b32 v1, 7, v8 bitop3:0x40
	s_mov_b32 s45, exec_lo
	v_cmpx_gt_u32_e32 8, v23
; %bb.70:                               ;   in Loop: Header=BB276_15 Depth=1
	s_delay_alu instid0(VALU_DEP_2) | instskip(NEXT) | instid1(VALU_DEP_1)
	v_clz_i32_u32_e32 v1, v1
	v_min_u32_e32 v1, 32, v1
	s_delay_alu instid0(VALU_DEP_1) | instskip(NEXT) | instid1(VALU_DEP_1)
	v_subrev_nc_u32_e32 v7, 28, v1
	v_lshlrev_b64_e32 v[24:25], v7, v[8:9]
	s_delay_alu instid0(VALU_DEP_1)
	v_dual_sub_nc_u32 v7, 29, v1 :: v_dual_bitop2_b32 v1, 7, v24 bitop3:0x40
; %bb.71:                               ;   in Loop: Header=BB276_15 Depth=1
	s_or_b32 exec_lo, exec_lo, s45
	s_delay_alu instid0(VALU_DEP_1) | instskip(NEXT) | instid1(VALU_DEP_2)
	v_dual_lshlrev_b32 v8, 8, v8 :: v_dual_lshlrev_b32 v1, 7, v1
	v_lshl_add_u32 v7, v7, 10, 0x2000
	s_delay_alu instid0(VALU_DEP_2) | instskip(NEXT) | instid1(VALU_DEP_2)
	v_and_b32_e32 v8, 0x8000, v8
	v_and_b32_e32 v7, 0xfc00, v7
	s_delay_alu instid0(VALU_DEP_1)
	v_or3_b32 v20, v8, v7, v1
.LBB276_72:                             ;   in Loop: Header=BB276_15 Depth=1
	s_or_b32 exec_lo, exec_lo, s44
.LBB276_73:                             ;   in Loop: Header=BB276_15 Depth=1
	s_delay_alu instid0(SALU_CYCLE_1)
	s_or_b32 exec_lo, exec_lo, s43
.LBB276_74:                             ;   in Loop: Header=BB276_15 Depth=1
	s_delay_alu instid0(SALU_CYCLE_1)
	s_or_b32 exec_lo, exec_lo, s42
	v_dual_mov_b32 v24, 0 :: v_dual_mov_b32 v23, 0
	s_mov_b32 s42, exec_lo
	v_cmpx_lt_u64_e64 s[26:27], v[4:5]
	s_cbranch_execz .LBB276_82
; %bb.75:                               ;   in Loop: Header=BB276_15 Depth=1
	v_lshrrev_b32_e32 v8, 24, v5
	v_bfrev_b32_e32 v23, 1
	s_mov_b32 s43, exec_lo
	s_delay_alu instid0(VALU_DEP_2)
	v_cmpx_ne_u32_e32 0x80, v8
	s_cbranch_execz .LBB276_81
; %bb.76:                               ;   in Loop: Header=BB276_15 Depth=1
	v_and_b32_e32 v5, 0x7f, v8
	v_mov_b32_e32 v23, 0x7c010000
	s_mov_b32 s44, exec_lo
	s_delay_alu instid0(VALU_DEP_2)
	v_cmpx_ne_u32_e32 0x7f, v5
	s_cbranch_execz .LBB276_80
; %bb.77:                               ;   in Loop: Header=BB276_15 Depth=1
	v_dual_lshrrev_b32 v4, 3, v5 :: v_dual_bitop2_b32 v1, 7, v8 bitop3:0x40
	s_mov_b32 s45, exec_lo
	v_cmpx_gt_u32_e32 8, v5
; %bb.78:                               ;   in Loop: Header=BB276_15 Depth=1
	s_delay_alu instid0(VALU_DEP_2) | instskip(NEXT) | instid1(VALU_DEP_1)
	v_clz_i32_u32_e32 v1, v1
	v_min_u32_e32 v1, 32, v1
	s_delay_alu instid0(VALU_DEP_1) | instskip(NEXT) | instid1(VALU_DEP_1)
	v_subrev_nc_u32_e32 v4, 28, v1
	v_lshlrev_b64_e32 v[26:27], v4, v[8:9]
	s_delay_alu instid0(VALU_DEP_1)
	v_dual_sub_nc_u32 v4, 29, v1 :: v_dual_bitop2_b32 v1, 7, v26 bitop3:0x40
; %bb.79:                               ;   in Loop: Header=BB276_15 Depth=1
	s_or_b32 exec_lo, exec_lo, s45
	s_delay_alu instid0(VALU_DEP_1) | instskip(NEXT) | instid1(VALU_DEP_2)
	v_dual_lshlrev_b32 v5, 8, v8 :: v_dual_lshlrev_b32 v1, 23, v1
	v_lshl_add_u32 v4, v4, 10, 0x2000
	s_delay_alu instid0(VALU_DEP_1) | instskip(NEXT) | instid1(VALU_DEP_1)
	v_and_or_b32 v4, 0x8000, v5, v4
	v_lshl_or_b32 v23, v4, 16, v1
.LBB276_80:                             ;   in Loop: Header=BB276_15 Depth=1
	s_or_b32 exec_lo, exec_lo, s44
.LBB276_81:                             ;   in Loop: Header=BB276_15 Depth=1
	s_delay_alu instid0(SALU_CYCLE_1)
	s_or_b32 exec_lo, exec_lo, s43
.LBB276_82:                             ;   in Loop: Header=BB276_15 Depth=1
	s_delay_alu instid0(SALU_CYCLE_1)
	s_or_b32 exec_lo, exec_lo, s42
	global_load_b64 v[4:5], v[2:3], off offset:8
	s_mov_b32 s42, exec_lo
	s_wait_loadcnt 0x0
	v_and_b32_e32 v1, 0xff, v4
	s_wait_xcnt 0x0
	s_delay_alu instid0(VALU_DEP_1)
	v_cmpx_ne_u16_e32 0, v1
	s_cbranch_execz .LBB276_90
; %bb.83:                               ;   in Loop: Header=BB276_15 Depth=1
	v_mov_b32_e32 v24, 0x8000
	s_mov_b32 s43, exec_lo
	v_cmpx_ne_u16_e32 0x80, v1
	s_cbranch_execz .LBB276_89
; %bb.84:                               ;   in Loop: Header=BB276_15 Depth=1
	v_and_b32_e32 v8, 0x7f, v4
	v_mov_b32_e32 v24, 0x7c01
	s_mov_b32 s44, exec_lo
	s_delay_alu instid0(VALU_DEP_2)
	v_cmpx_ne_u32_e32 0x7f, v8
	s_cbranch_execz .LBB276_88
; %bb.85:                               ;   in Loop: Header=BB276_15 Depth=1
	v_and_b32_e32 v1, 7, v4
	v_lshrrev_b32_e32 v7, 3, v8
	s_mov_b32 s45, exec_lo
	v_cmpx_gt_u32_e32 8, v8
; %bb.86:                               ;   in Loop: Header=BB276_15 Depth=1
	s_delay_alu instid0(VALU_DEP_3) | instskip(NEXT) | instid1(VALU_DEP_1)
	v_clz_i32_u32_e32 v1, v1
	v_min_u32_e32 v1, 32, v1
	s_delay_alu instid0(VALU_DEP_1) | instskip(NEXT) | instid1(VALU_DEP_1)
	v_subrev_nc_u32_e32 v7, 28, v1
	v_lshlrev_b64_e32 v[24:25], v7, v[4:5]
	s_delay_alu instid0(VALU_DEP_1)
	v_dual_sub_nc_u32 v7, 29, v1 :: v_dual_bitop2_b32 v1, 7, v24 bitop3:0x40
; %bb.87:                               ;   in Loop: Header=BB276_15 Depth=1
	s_or_b32 exec_lo, exec_lo, s45
	s_delay_alu instid0(VALU_DEP_1) | instskip(NEXT) | instid1(VALU_DEP_2)
	v_dual_lshlrev_b32 v8, 8, v4 :: v_dual_lshlrev_b32 v1, 7, v1
	v_lshl_add_u32 v7, v7, 10, 0x2000
	s_delay_alu instid0(VALU_DEP_2) | instskip(NEXT) | instid1(VALU_DEP_2)
	v_and_b32_e32 v8, 0x8000, v8
	v_and_b32_e32 v7, 0xfc00, v7
	s_delay_alu instid0(VALU_DEP_1)
	v_or3_b32 v24, v8, v7, v1
.LBB276_88:                             ;   in Loop: Header=BB276_15 Depth=1
	s_or_b32 exec_lo, exec_lo, s44
.LBB276_89:                             ;   in Loop: Header=BB276_15 Depth=1
	s_delay_alu instid0(SALU_CYCLE_1)
	s_or_b32 exec_lo, exec_lo, s43
.LBB276_90:                             ;   in Loop: Header=BB276_15 Depth=1
	s_delay_alu instid0(SALU_CYCLE_1) | instskip(SKIP_3) | instid1(VALU_DEP_2)
	s_or_b32 exec_lo, exec_lo, s42
	v_lshrrev_b16 v8, 8, v4
	v_dual_mov_b32 v26, 0 :: v_dual_mov_b32 v25, 0
	s_mov_b32 s42, exec_lo
	v_cmpx_ne_u16_e32 0, v8
	s_cbranch_execz .LBB276_98
; %bb.91:                               ;   in Loop: Header=BB276_15 Depth=1
	v_bfrev_b32_e32 v25, 1
	s_mov_b32 s43, exec_lo
	v_cmpx_ne_u16_e32 0x80, v8
	s_cbranch_execz .LBB276_97
; %bb.92:                               ;   in Loop: Header=BB276_15 Depth=1
	v_and_b32_e32 v1, 0xffff, v8
	v_mov_b32_e32 v25, 0x7c010000
	s_mov_b32 s44, exec_lo
	s_delay_alu instid0(VALU_DEP_2) | instskip(NEXT) | instid1(VALU_DEP_1)
	v_and_b32_e32 v27, 0x7f, v1
	v_cmpx_ne_u32_e32 0x7f, v27
	s_cbranch_execz .LBB276_96
; %bb.93:                               ;   in Loop: Header=BB276_15 Depth=1
	v_dual_lshrrev_b32 v25, 3, v27 :: v_dual_bitop2_b32 v7, 7, v1 bitop3:0x40
	s_mov_b32 s45, exec_lo
	v_cmpx_gt_u32_e32 8, v27
; %bb.94:                               ;   in Loop: Header=BB276_15 Depth=1
	s_delay_alu instid0(VALU_DEP_2) | instskip(NEXT) | instid1(VALU_DEP_1)
	v_clz_i32_u32_e32 v7, v7
	v_min_u32_e32 v7, 32, v7
	s_delay_alu instid0(VALU_DEP_1) | instskip(NEXT) | instid1(VALU_DEP_1)
	v_subrev_nc_u32_e32 v12, 28, v7
	v_lshlrev_b64_e32 v[28:29], v12, v[8:9]
	s_delay_alu instid0(VALU_DEP_1)
	v_dual_sub_nc_u32 v25, 29, v7 :: v_dual_bitop2_b32 v7, 7, v28 bitop3:0x40
; %bb.95:                               ;   in Loop: Header=BB276_15 Depth=1
	s_or_b32 exec_lo, exec_lo, s45
	s_delay_alu instid0(VALU_DEP_1) | instskip(NEXT) | instid1(VALU_DEP_2)
	v_dual_lshlrev_b32 v1, 8, v1 :: v_dual_lshlrev_b32 v7, 23, v7
	v_lshl_add_u32 v8, v25, 10, 0x2000
	s_delay_alu instid0(VALU_DEP_1) | instskip(NEXT) | instid1(VALU_DEP_1)
	v_and_or_b32 v1, 0x8000, v1, v8
	v_lshl_or_b32 v25, v1, 16, v7
.LBB276_96:                             ;   in Loop: Header=BB276_15 Depth=1
	s_or_b32 exec_lo, exec_lo, s44
.LBB276_97:                             ;   in Loop: Header=BB276_15 Depth=1
	s_delay_alu instid0(SALU_CYCLE_1)
	s_or_b32 exec_lo, exec_lo, s43
.LBB276_98:                             ;   in Loop: Header=BB276_15 Depth=1
	s_delay_alu instid0(SALU_CYCLE_1) | instskip(SKIP_2) | instid1(VALU_DEP_1)
	s_or_b32 exec_lo, exec_lo, s42
	v_lshrrev_b32_e32 v8, 16, v4
	s_mov_b32 s42, exec_lo
	v_and_b32_e32 v1, 0xff, v8
	s_delay_alu instid0(VALU_DEP_1)
	v_cmpx_ne_u16_e32 0, v1
	s_cbranch_execz .LBB276_106
; %bb.99:                               ;   in Loop: Header=BB276_15 Depth=1
	v_mov_b32_e32 v26, 0x8000
	s_mov_b32 s43, exec_lo
	v_cmpx_ne_u16_e32 0x80, v1
	s_cbranch_execz .LBB276_105
; %bb.100:                              ;   in Loop: Header=BB276_15 Depth=1
	v_bfe_u32 v27, v4, 16, 7
	v_mov_b32_e32 v26, 0x7c01
	s_mov_b32 s44, exec_lo
	s_delay_alu instid0(VALU_DEP_2)
	v_cmpx_ne_u32_e32 0x7f, v27
	s_cbranch_execz .LBB276_104
; %bb.101:                              ;   in Loop: Header=BB276_15 Depth=1
	v_dual_lshrrev_b32 v7, 3, v27 :: v_dual_bitop2_b32 v1, 7, v8 bitop3:0x40
	s_mov_b32 s45, exec_lo
	v_cmpx_gt_u32_e32 8, v27
; %bb.102:                              ;   in Loop: Header=BB276_15 Depth=1
	s_delay_alu instid0(VALU_DEP_2) | instskip(NEXT) | instid1(VALU_DEP_1)
	v_clz_i32_u32_e32 v1, v1
	v_min_u32_e32 v1, 32, v1
	s_delay_alu instid0(VALU_DEP_1) | instskip(NEXT) | instid1(VALU_DEP_1)
	v_subrev_nc_u32_e32 v7, 28, v1
	v_lshlrev_b64_e32 v[26:27], v7, v[8:9]
	s_delay_alu instid0(VALU_DEP_1)
	v_dual_sub_nc_u32 v7, 29, v1 :: v_dual_bitop2_b32 v1, 7, v26 bitop3:0x40
; %bb.103:                              ;   in Loop: Header=BB276_15 Depth=1
	s_or_b32 exec_lo, exec_lo, s45
	s_delay_alu instid0(VALU_DEP_1) | instskip(NEXT) | instid1(VALU_DEP_2)
	v_dual_lshlrev_b32 v8, 8, v8 :: v_dual_lshlrev_b32 v1, 7, v1
	v_lshl_add_u32 v7, v7, 10, 0x2000
	s_delay_alu instid0(VALU_DEP_2) | instskip(NEXT) | instid1(VALU_DEP_2)
	v_and_b32_e32 v8, 0x8000, v8
	v_and_b32_e32 v7, 0xfc00, v7
	s_delay_alu instid0(VALU_DEP_1)
	v_or3_b32 v26, v8, v7, v1
.LBB276_104:                            ;   in Loop: Header=BB276_15 Depth=1
	s_or_b32 exec_lo, exec_lo, s44
.LBB276_105:                            ;   in Loop: Header=BB276_15 Depth=1
	s_delay_alu instid0(SALU_CYCLE_1)
	s_or_b32 exec_lo, exec_lo, s43
.LBB276_106:                            ;   in Loop: Header=BB276_15 Depth=1
	s_delay_alu instid0(SALU_CYCLE_1)
	s_or_b32 exec_lo, exec_lo, s42
	v_dual_mov_b32 v27, 0 :: v_dual_mov_b32 v28, 0
	s_mov_b32 s42, exec_lo
	v_cmpx_lt_u32_e32 0xffffff, v4
	s_cbranch_execz .LBB276_114
; %bb.107:                              ;   in Loop: Header=BB276_15 Depth=1
	v_lshrrev_b32_e32 v8, 24, v4
	v_bfrev_b32_e32 v28, 1
	s_mov_b32 s43, exec_lo
	s_delay_alu instid0(VALU_DEP_2)
	v_cmpx_ne_u32_e32 0x80, v8
	s_cbranch_execz .LBB276_113
; %bb.108:                              ;   in Loop: Header=BB276_15 Depth=1
	v_and_b32_e32 v29, 0x7f, v8
	v_mov_b32_e32 v28, 0x7c010000
	s_mov_b32 s44, exec_lo
	s_delay_alu instid0(VALU_DEP_2)
	v_cmpx_ne_u32_e32 0x7f, v29
	s_cbranch_execz .LBB276_112
; %bb.109:                              ;   in Loop: Header=BB276_15 Depth=1
	v_dual_lshrrev_b32 v7, 3, v29 :: v_dual_bitop2_b32 v1, 7, v8 bitop3:0x40
	s_mov_b32 s45, exec_lo
	v_cmpx_gt_u32_e32 8, v29
; %bb.110:                              ;   in Loop: Header=BB276_15 Depth=1
	s_delay_alu instid0(VALU_DEP_2) | instskip(NEXT) | instid1(VALU_DEP_1)
	v_clz_i32_u32_e32 v1, v1
	v_min_u32_e32 v1, 32, v1
	s_delay_alu instid0(VALU_DEP_1) | instskip(NEXT) | instid1(VALU_DEP_1)
	v_subrev_nc_u32_e32 v7, 28, v1
	v_lshlrev_b64_e32 v[28:29], v7, v[8:9]
	s_delay_alu instid0(VALU_DEP_1)
	v_dual_sub_nc_u32 v7, 29, v1 :: v_dual_bitop2_b32 v1, 7, v28 bitop3:0x40
; %bb.111:                              ;   in Loop: Header=BB276_15 Depth=1
	s_or_b32 exec_lo, exec_lo, s45
	s_delay_alu instid0(VALU_DEP_1) | instskip(NEXT) | instid1(VALU_DEP_2)
	v_dual_lshlrev_b32 v8, 8, v8 :: v_dual_lshlrev_b32 v1, 23, v1
	v_lshl_add_u32 v7, v7, 10, 0x2000
	s_delay_alu instid0(VALU_DEP_1) | instskip(NEXT) | instid1(VALU_DEP_1)
	v_and_or_b32 v7, 0x8000, v8, v7
	v_lshl_or_b32 v28, v7, 16, v1
.LBB276_112:                            ;   in Loop: Header=BB276_15 Depth=1
	s_or_b32 exec_lo, exec_lo, s44
.LBB276_113:                            ;   in Loop: Header=BB276_15 Depth=1
	s_delay_alu instid0(SALU_CYCLE_1)
	s_or_b32 exec_lo, exec_lo, s43
.LBB276_114:                            ;   in Loop: Header=BB276_15 Depth=1
	s_delay_alu instid0(SALU_CYCLE_1) | instskip(SKIP_3) | instid1(VALU_DEP_2)
	s_or_b32 exec_lo, exec_lo, s42
	v_and_b32_e32 v1, 0xff, v5
	v_mov_b32_e32 v8, v5
	s_mov_b32 s42, exec_lo
	v_cmpx_ne_u16_e32 0, v1
	s_cbranch_execz .LBB276_122
; %bb.115:                              ;   in Loop: Header=BB276_15 Depth=1
	v_mov_b32_e32 v27, 0x8000
	s_mov_b32 s43, exec_lo
	v_cmpx_ne_u16_e32 0x80, v1
	s_cbranch_execz .LBB276_121
; %bb.116:                              ;   in Loop: Header=BB276_15 Depth=1
	v_and_b32_e32 v29, 0x7f, v5
	v_mov_b32_e32 v27, 0x7c01
	s_mov_b32 s44, exec_lo
	s_delay_alu instid0(VALU_DEP_2)
	v_cmpx_ne_u32_e32 0x7f, v29
	s_cbranch_execz .LBB276_120
; %bb.117:                              ;   in Loop: Header=BB276_15 Depth=1
	v_and_b32_e32 v1, 7, v5
	v_lshrrev_b32_e32 v7, 3, v29
	s_mov_b32 s45, exec_lo
	v_cmpx_gt_u32_e32 8, v29
; %bb.118:                              ;   in Loop: Header=BB276_15 Depth=1
	s_delay_alu instid0(VALU_DEP_3) | instskip(NEXT) | instid1(VALU_DEP_1)
	v_clz_i32_u32_e32 v1, v1
	v_min_u32_e32 v1, 32, v1
	s_delay_alu instid0(VALU_DEP_1) | instskip(NEXT) | instid1(VALU_DEP_1)
	v_subrev_nc_u32_e32 v7, 28, v1
	v_lshlrev_b64_e32 v[30:31], v7, v[8:9]
	s_delay_alu instid0(VALU_DEP_1)
	v_dual_sub_nc_u32 v7, 29, v1 :: v_dual_bitop2_b32 v1, 7, v30 bitop3:0x40
; %bb.119:                              ;   in Loop: Header=BB276_15 Depth=1
	s_or_b32 exec_lo, exec_lo, s45
	v_lshlrev_b32_e32 v12, 8, v5
	s_delay_alu instid0(VALU_DEP_2) | instskip(NEXT) | instid1(VALU_DEP_3)
	v_lshl_add_u32 v7, v7, 10, 0x2000
	v_lshlrev_b32_e32 v1, 7, v1
	s_delay_alu instid0(VALU_DEP_3) | instskip(NEXT) | instid1(VALU_DEP_3)
	v_and_b32_e32 v12, 0x8000, v12
	v_and_b32_e32 v7, 0xfc00, v7
	s_delay_alu instid0(VALU_DEP_1)
	v_or3_b32 v27, v12, v7, v1
.LBB276_120:                            ;   in Loop: Header=BB276_15 Depth=1
	s_or_b32 exec_lo, exec_lo, s44
.LBB276_121:                            ;   in Loop: Header=BB276_15 Depth=1
	s_delay_alu instid0(SALU_CYCLE_1)
	s_or_b32 exec_lo, exec_lo, s43
.LBB276_122:                            ;   in Loop: Header=BB276_15 Depth=1
	s_delay_alu instid0(SALU_CYCLE_1) | instskip(SKIP_3) | instid1(VALU_DEP_2)
	s_or_b32 exec_lo, exec_lo, s42
	v_lshrrev_b16 v8, 8, v8
	v_dual_mov_b32 v30, 0 :: v_dual_mov_b32 v29, 0
	s_mov_b32 s42, exec_lo
	v_cmpx_ne_u16_e32 0, v8
	s_cbranch_execz .LBB276_130
; %bb.123:                              ;   in Loop: Header=BB276_15 Depth=1
	v_bfrev_b32_e32 v29, 1
	s_mov_b32 s43, exec_lo
	v_cmpx_ne_u16_e32 0x80, v8
	s_cbranch_execz .LBB276_129
; %bb.124:                              ;   in Loop: Header=BB276_15 Depth=1
	v_and_b32_e32 v1, 0xffff, v8
	v_mov_b32_e32 v29, 0x7c010000
	s_mov_b32 s44, exec_lo
	s_delay_alu instid0(VALU_DEP_2) | instskip(NEXT) | instid1(VALU_DEP_1)
	v_and_b32_e32 v31, 0x7f, v1
	v_cmpx_ne_u32_e32 0x7f, v31
	s_cbranch_execz .LBB276_128
; %bb.125:                              ;   in Loop: Header=BB276_15 Depth=1
	v_dual_lshrrev_b32 v29, 3, v31 :: v_dual_bitop2_b32 v7, 7, v1 bitop3:0x40
	s_mov_b32 s45, exec_lo
	v_cmpx_gt_u32_e32 8, v31
; %bb.126:                              ;   in Loop: Header=BB276_15 Depth=1
	s_delay_alu instid0(VALU_DEP_2) | instskip(NEXT) | instid1(VALU_DEP_1)
	v_clz_i32_u32_e32 v7, v7
	v_min_u32_e32 v7, 32, v7
	s_delay_alu instid0(VALU_DEP_1) | instskip(NEXT) | instid1(VALU_DEP_1)
	v_subrev_nc_u32_e32 v12, 28, v7
	v_lshlrev_b64_e32 v[32:33], v12, v[8:9]
	s_delay_alu instid0(VALU_DEP_1)
	v_dual_sub_nc_u32 v29, 29, v7 :: v_dual_bitop2_b32 v7, 7, v32 bitop3:0x40
; %bb.127:                              ;   in Loop: Header=BB276_15 Depth=1
	s_or_b32 exec_lo, exec_lo, s45
	s_delay_alu instid0(VALU_DEP_1) | instskip(NEXT) | instid1(VALU_DEP_2)
	v_dual_lshlrev_b32 v1, 8, v1 :: v_dual_lshlrev_b32 v7, 23, v7
	v_lshl_add_u32 v8, v29, 10, 0x2000
	s_delay_alu instid0(VALU_DEP_1) | instskip(NEXT) | instid1(VALU_DEP_1)
	v_and_or_b32 v1, 0x8000, v1, v8
	v_lshl_or_b32 v29, v1, 16, v7
.LBB276_128:                            ;   in Loop: Header=BB276_15 Depth=1
	s_or_b32 exec_lo, exec_lo, s44
.LBB276_129:                            ;   in Loop: Header=BB276_15 Depth=1
	s_delay_alu instid0(SALU_CYCLE_1)
	s_or_b32 exec_lo, exec_lo, s43
.LBB276_130:                            ;   in Loop: Header=BB276_15 Depth=1
	s_delay_alu instid0(SALU_CYCLE_1) | instskip(SKIP_2) | instid1(VALU_DEP_1)
	s_or_b32 exec_lo, exec_lo, s42
	v_lshrrev_b32_e32 v8, 16, v5
	s_mov_b32 s42, exec_lo
	v_and_b32_e32 v1, 0xff, v8
	s_delay_alu instid0(VALU_DEP_1)
	v_cmpx_ne_u16_e32 0, v1
	s_cbranch_execz .LBB276_138
; %bb.131:                              ;   in Loop: Header=BB276_15 Depth=1
	v_mov_b32_e32 v30, 0x8000
	s_mov_b32 s43, exec_lo
	v_cmpx_ne_u16_e32 0x80, v1
	s_cbranch_execz .LBB276_137
; %bb.132:                              ;   in Loop: Header=BB276_15 Depth=1
	v_bfe_u32 v31, v5, 16, 7
	v_mov_b32_e32 v30, 0x7c01
	s_mov_b32 s44, exec_lo
	s_delay_alu instid0(VALU_DEP_2)
	v_cmpx_ne_u32_e32 0x7f, v31
	s_cbranch_execz .LBB276_136
; %bb.133:                              ;   in Loop: Header=BB276_15 Depth=1
	v_dual_lshrrev_b32 v7, 3, v31 :: v_dual_bitop2_b32 v1, 7, v8 bitop3:0x40
	s_mov_b32 s45, exec_lo
	v_cmpx_gt_u32_e32 8, v31
; %bb.134:                              ;   in Loop: Header=BB276_15 Depth=1
	s_delay_alu instid0(VALU_DEP_2) | instskip(NEXT) | instid1(VALU_DEP_1)
	v_clz_i32_u32_e32 v1, v1
	v_min_u32_e32 v1, 32, v1
	s_delay_alu instid0(VALU_DEP_1) | instskip(NEXT) | instid1(VALU_DEP_1)
	v_subrev_nc_u32_e32 v7, 28, v1
	v_lshlrev_b64_e32 v[30:31], v7, v[8:9]
	s_delay_alu instid0(VALU_DEP_1)
	v_dual_sub_nc_u32 v7, 29, v1 :: v_dual_bitop2_b32 v1, 7, v30 bitop3:0x40
; %bb.135:                              ;   in Loop: Header=BB276_15 Depth=1
	s_or_b32 exec_lo, exec_lo, s45
	s_delay_alu instid0(VALU_DEP_1) | instskip(NEXT) | instid1(VALU_DEP_2)
	v_dual_lshlrev_b32 v8, 8, v8 :: v_dual_lshlrev_b32 v1, 7, v1
	v_lshl_add_u32 v7, v7, 10, 0x2000
	s_delay_alu instid0(VALU_DEP_2) | instskip(NEXT) | instid1(VALU_DEP_2)
	v_and_b32_e32 v8, 0x8000, v8
	v_and_b32_e32 v7, 0xfc00, v7
	s_delay_alu instid0(VALU_DEP_1)
	v_or3_b32 v30, v8, v7, v1
.LBB276_136:                            ;   in Loop: Header=BB276_15 Depth=1
	s_or_b32 exec_lo, exec_lo, s44
.LBB276_137:                            ;   in Loop: Header=BB276_15 Depth=1
	s_delay_alu instid0(SALU_CYCLE_1)
	s_or_b32 exec_lo, exec_lo, s43
.LBB276_138:                            ;   in Loop: Header=BB276_15 Depth=1
	s_delay_alu instid0(SALU_CYCLE_1)
	s_or_b32 exec_lo, exec_lo, s42
	v_dual_mov_b32 v31, 0 :: v_dual_mov_b32 v32, 0
	s_mov_b32 s42, exec_lo
	v_cmpx_lt_u64_e64 s[26:27], v[4:5]
	s_cbranch_execz .LBB276_146
; %bb.139:                              ;   in Loop: Header=BB276_15 Depth=1
	v_lshrrev_b32_e32 v8, 24, v5
	v_bfrev_b32_e32 v32, 1
	s_mov_b32 s43, exec_lo
	s_delay_alu instid0(VALU_DEP_2)
	v_cmpx_ne_u32_e32 0x80, v8
	s_cbranch_execz .LBB276_145
; %bb.140:                              ;   in Loop: Header=BB276_15 Depth=1
	v_and_b32_e32 v5, 0x7f, v8
	v_mov_b32_e32 v32, 0x7c010000
	s_mov_b32 s44, exec_lo
	s_delay_alu instid0(VALU_DEP_2)
	v_cmpx_ne_u32_e32 0x7f, v5
	s_cbranch_execz .LBB276_144
; %bb.141:                              ;   in Loop: Header=BB276_15 Depth=1
	v_dual_lshrrev_b32 v4, 3, v5 :: v_dual_bitop2_b32 v1, 7, v8 bitop3:0x40
	s_mov_b32 s45, exec_lo
	v_cmpx_gt_u32_e32 8, v5
; %bb.142:                              ;   in Loop: Header=BB276_15 Depth=1
	s_delay_alu instid0(VALU_DEP_2) | instskip(NEXT) | instid1(VALU_DEP_1)
	v_clz_i32_u32_e32 v1, v1
	v_min_u32_e32 v1, 32, v1
	s_delay_alu instid0(VALU_DEP_1) | instskip(NEXT) | instid1(VALU_DEP_1)
	v_subrev_nc_u32_e32 v4, 28, v1
	v_lshlrev_b64_e32 v[32:33], v4, v[8:9]
	s_delay_alu instid0(VALU_DEP_1)
	v_dual_sub_nc_u32 v4, 29, v1 :: v_dual_bitop2_b32 v1, 7, v32 bitop3:0x40
; %bb.143:                              ;   in Loop: Header=BB276_15 Depth=1
	s_or_b32 exec_lo, exec_lo, s45
	s_delay_alu instid0(VALU_DEP_1) | instskip(NEXT) | instid1(VALU_DEP_2)
	v_dual_lshlrev_b32 v5, 8, v8 :: v_dual_lshlrev_b32 v1, 23, v1
	v_lshl_add_u32 v4, v4, 10, 0x2000
	s_delay_alu instid0(VALU_DEP_1) | instskip(NEXT) | instid1(VALU_DEP_1)
	v_and_or_b32 v4, 0x8000, v5, v4
	v_lshl_or_b32 v32, v4, 16, v1
.LBB276_144:                            ;   in Loop: Header=BB276_15 Depth=1
	s_or_b32 exec_lo, exec_lo, s44
.LBB276_145:                            ;   in Loop: Header=BB276_15 Depth=1
	s_delay_alu instid0(SALU_CYCLE_1)
	s_or_b32 exec_lo, exec_lo, s43
.LBB276_146:                            ;   in Loop: Header=BB276_15 Depth=1
	s_delay_alu instid0(SALU_CYCLE_1)
	s_or_b32 exec_lo, exec_lo, s42
	global_load_b64 v[4:5], v[2:3], off offset:512
	s_mov_b32 s42, exec_lo
	s_wait_loadcnt 0x0
	v_and_b32_e32 v1, 0xff, v4
	s_wait_xcnt 0x0
	s_delay_alu instid0(VALU_DEP_1)
	v_cmpx_ne_u16_e32 0, v1
	s_cbranch_execz .LBB276_154
; %bb.147:                              ;   in Loop: Header=BB276_15 Depth=1
	v_mov_b32_e32 v31, 0x8000
	s_mov_b32 s43, exec_lo
	v_cmpx_ne_u16_e32 0x80, v1
	s_cbranch_execz .LBB276_153
; %bb.148:                              ;   in Loop: Header=BB276_15 Depth=1
	v_and_b32_e32 v8, 0x7f, v4
	v_mov_b32_e32 v31, 0x7c01
	s_mov_b32 s44, exec_lo
	s_delay_alu instid0(VALU_DEP_2)
	v_cmpx_ne_u32_e32 0x7f, v8
	s_cbranch_execz .LBB276_152
; %bb.149:                              ;   in Loop: Header=BB276_15 Depth=1
	v_and_b32_e32 v1, 7, v4
	v_lshrrev_b32_e32 v7, 3, v8
	s_mov_b32 s45, exec_lo
	v_cmpx_gt_u32_e32 8, v8
; %bb.150:                              ;   in Loop: Header=BB276_15 Depth=1
	s_delay_alu instid0(VALU_DEP_3) | instskip(NEXT) | instid1(VALU_DEP_1)
	v_clz_i32_u32_e32 v1, v1
	v_min_u32_e32 v1, 32, v1
	s_delay_alu instid0(VALU_DEP_1) | instskip(NEXT) | instid1(VALU_DEP_1)
	v_subrev_nc_u32_e32 v7, 28, v1
	v_lshlrev_b64_e32 v[34:35], v7, v[4:5]
	s_delay_alu instid0(VALU_DEP_1)
	v_dual_sub_nc_u32 v7, 29, v1 :: v_dual_bitop2_b32 v1, 7, v34 bitop3:0x40
; %bb.151:                              ;   in Loop: Header=BB276_15 Depth=1
	s_or_b32 exec_lo, exec_lo, s45
	s_delay_alu instid0(VALU_DEP_1) | instskip(NEXT) | instid1(VALU_DEP_2)
	v_dual_lshlrev_b32 v8, 8, v4 :: v_dual_lshlrev_b32 v1, 7, v1
	v_lshl_add_u32 v7, v7, 10, 0x2000
	s_delay_alu instid0(VALU_DEP_2) | instskip(NEXT) | instid1(VALU_DEP_2)
	v_and_b32_e32 v8, 0x8000, v8
	v_and_b32_e32 v7, 0xfc00, v7
	s_delay_alu instid0(VALU_DEP_1)
	v_or3_b32 v31, v8, v7, v1
.LBB276_152:                            ;   in Loop: Header=BB276_15 Depth=1
	s_or_b32 exec_lo, exec_lo, s44
.LBB276_153:                            ;   in Loop: Header=BB276_15 Depth=1
	s_delay_alu instid0(SALU_CYCLE_1)
	s_or_b32 exec_lo, exec_lo, s43
.LBB276_154:                            ;   in Loop: Header=BB276_15 Depth=1
	s_delay_alu instid0(SALU_CYCLE_1) | instskip(SKIP_3) | instid1(VALU_DEP_2)
	s_or_b32 exec_lo, exec_lo, s42
	v_lshrrev_b16 v8, 8, v4
	v_dual_mov_b32 v34, 0 :: v_dual_mov_b32 v33, 0
	s_mov_b32 s42, exec_lo
	v_cmpx_ne_u16_e32 0, v8
	s_cbranch_execz .LBB276_162
; %bb.155:                              ;   in Loop: Header=BB276_15 Depth=1
	v_bfrev_b32_e32 v33, 1
	s_mov_b32 s43, exec_lo
	v_cmpx_ne_u16_e32 0x80, v8
	s_cbranch_execz .LBB276_161
; %bb.156:                              ;   in Loop: Header=BB276_15 Depth=1
	v_and_b32_e32 v1, 0xffff, v8
	v_mov_b32_e32 v33, 0x7c010000
	s_mov_b32 s44, exec_lo
	s_delay_alu instid0(VALU_DEP_2) | instskip(NEXT) | instid1(VALU_DEP_1)
	v_and_b32_e32 v35, 0x7f, v1
	v_cmpx_ne_u32_e32 0x7f, v35
	s_cbranch_execz .LBB276_160
; %bb.157:                              ;   in Loop: Header=BB276_15 Depth=1
	v_dual_lshrrev_b32 v33, 3, v35 :: v_dual_bitop2_b32 v7, 7, v1 bitop3:0x40
	s_mov_b32 s45, exec_lo
	v_cmpx_gt_u32_e32 8, v35
; %bb.158:                              ;   in Loop: Header=BB276_15 Depth=1
	s_delay_alu instid0(VALU_DEP_2) | instskip(NEXT) | instid1(VALU_DEP_1)
	v_clz_i32_u32_e32 v7, v7
	v_min_u32_e32 v7, 32, v7
	s_delay_alu instid0(VALU_DEP_1) | instskip(NEXT) | instid1(VALU_DEP_1)
	v_subrev_nc_u32_e32 v12, 28, v7
	v_lshlrev_b64_e32 v[36:37], v12, v[8:9]
	s_delay_alu instid0(VALU_DEP_1)
	v_dual_sub_nc_u32 v33, 29, v7 :: v_dual_bitop2_b32 v7, 7, v36 bitop3:0x40
; %bb.159:                              ;   in Loop: Header=BB276_15 Depth=1
	s_or_b32 exec_lo, exec_lo, s45
	s_delay_alu instid0(VALU_DEP_1) | instskip(NEXT) | instid1(VALU_DEP_2)
	v_dual_lshlrev_b32 v1, 8, v1 :: v_dual_lshlrev_b32 v7, 23, v7
	v_lshl_add_u32 v8, v33, 10, 0x2000
	s_delay_alu instid0(VALU_DEP_1) | instskip(NEXT) | instid1(VALU_DEP_1)
	v_and_or_b32 v1, 0x8000, v1, v8
	v_lshl_or_b32 v33, v1, 16, v7
.LBB276_160:                            ;   in Loop: Header=BB276_15 Depth=1
	s_or_b32 exec_lo, exec_lo, s44
.LBB276_161:                            ;   in Loop: Header=BB276_15 Depth=1
	s_delay_alu instid0(SALU_CYCLE_1)
	s_or_b32 exec_lo, exec_lo, s43
.LBB276_162:                            ;   in Loop: Header=BB276_15 Depth=1
	s_delay_alu instid0(SALU_CYCLE_1) | instskip(SKIP_2) | instid1(VALU_DEP_1)
	s_or_b32 exec_lo, exec_lo, s42
	v_lshrrev_b32_e32 v8, 16, v4
	s_mov_b32 s42, exec_lo
	v_and_b32_e32 v1, 0xff, v8
	s_delay_alu instid0(VALU_DEP_1)
	v_cmpx_ne_u16_e32 0, v1
	s_cbranch_execz .LBB276_170
; %bb.163:                              ;   in Loop: Header=BB276_15 Depth=1
	v_mov_b32_e32 v34, 0x8000
	s_mov_b32 s43, exec_lo
	v_cmpx_ne_u16_e32 0x80, v1
	s_cbranch_execz .LBB276_169
; %bb.164:                              ;   in Loop: Header=BB276_15 Depth=1
	v_bfe_u32 v35, v4, 16, 7
	v_mov_b32_e32 v34, 0x7c01
	s_mov_b32 s44, exec_lo
	s_delay_alu instid0(VALU_DEP_2)
	v_cmpx_ne_u32_e32 0x7f, v35
	s_cbranch_execz .LBB276_168
; %bb.165:                              ;   in Loop: Header=BB276_15 Depth=1
	v_dual_lshrrev_b32 v7, 3, v35 :: v_dual_bitop2_b32 v1, 7, v8 bitop3:0x40
	s_mov_b32 s45, exec_lo
	v_cmpx_gt_u32_e32 8, v35
; %bb.166:                              ;   in Loop: Header=BB276_15 Depth=1
	s_delay_alu instid0(VALU_DEP_2) | instskip(NEXT) | instid1(VALU_DEP_1)
	v_clz_i32_u32_e32 v1, v1
	v_min_u32_e32 v1, 32, v1
	s_delay_alu instid0(VALU_DEP_1) | instskip(NEXT) | instid1(VALU_DEP_1)
	v_subrev_nc_u32_e32 v7, 28, v1
	v_lshlrev_b64_e32 v[34:35], v7, v[8:9]
	s_delay_alu instid0(VALU_DEP_1)
	v_dual_sub_nc_u32 v7, 29, v1 :: v_dual_bitop2_b32 v1, 7, v34 bitop3:0x40
; %bb.167:                              ;   in Loop: Header=BB276_15 Depth=1
	s_or_b32 exec_lo, exec_lo, s45
	s_delay_alu instid0(VALU_DEP_1) | instskip(NEXT) | instid1(VALU_DEP_2)
	v_dual_lshlrev_b32 v8, 8, v8 :: v_dual_lshlrev_b32 v1, 7, v1
	v_lshl_add_u32 v7, v7, 10, 0x2000
	s_delay_alu instid0(VALU_DEP_2) | instskip(NEXT) | instid1(VALU_DEP_2)
	v_and_b32_e32 v8, 0x8000, v8
	v_and_b32_e32 v7, 0xfc00, v7
	s_delay_alu instid0(VALU_DEP_1)
	v_or3_b32 v34, v8, v7, v1
.LBB276_168:                            ;   in Loop: Header=BB276_15 Depth=1
	s_or_b32 exec_lo, exec_lo, s44
.LBB276_169:                            ;   in Loop: Header=BB276_15 Depth=1
	s_delay_alu instid0(SALU_CYCLE_1)
	s_or_b32 exec_lo, exec_lo, s43
.LBB276_170:                            ;   in Loop: Header=BB276_15 Depth=1
	s_delay_alu instid0(SALU_CYCLE_1)
	s_or_b32 exec_lo, exec_lo, s42
	v_dual_mov_b32 v35, 0 :: v_dual_mov_b32 v44, 0
	s_mov_b32 s42, exec_lo
	v_cmpx_lt_u32_e32 0xffffff, v4
	s_cbranch_execz .LBB276_178
; %bb.171:                              ;   in Loop: Header=BB276_15 Depth=1
	v_lshrrev_b32_e32 v8, 24, v4
	v_bfrev_b32_e32 v44, 1
	s_mov_b32 s43, exec_lo
	s_delay_alu instid0(VALU_DEP_2)
	v_cmpx_ne_u32_e32 0x80, v8
	s_cbranch_execz .LBB276_177
; %bb.172:                              ;   in Loop: Header=BB276_15 Depth=1
	v_and_b32_e32 v36, 0x7f, v8
	v_mov_b32_e32 v44, 0x7c010000
	s_mov_b32 s44, exec_lo
	s_delay_alu instid0(VALU_DEP_2)
	v_cmpx_ne_u32_e32 0x7f, v36
	s_cbranch_execz .LBB276_176
; %bb.173:                              ;   in Loop: Header=BB276_15 Depth=1
	v_and_b32_e32 v1, 7, v8
	v_lshrrev_b32_e32 v7, 3, v36
	s_mov_b32 s45, exec_lo
	v_cmpx_gt_u32_e32 8, v36
; %bb.174:                              ;   in Loop: Header=BB276_15 Depth=1
	s_delay_alu instid0(VALU_DEP_3) | instskip(NEXT) | instid1(VALU_DEP_1)
	v_clz_i32_u32_e32 v1, v1
	v_min_u32_e32 v1, 32, v1
	s_delay_alu instid0(VALU_DEP_1) | instskip(NEXT) | instid1(VALU_DEP_1)
	v_subrev_nc_u32_e32 v7, 28, v1
	v_lshlrev_b64_e32 v[36:37], v7, v[8:9]
	s_delay_alu instid0(VALU_DEP_1)
	v_dual_sub_nc_u32 v7, 29, v1 :: v_dual_bitop2_b32 v1, 7, v36 bitop3:0x40
; %bb.175:                              ;   in Loop: Header=BB276_15 Depth=1
	s_or_b32 exec_lo, exec_lo, s45
	s_delay_alu instid0(VALU_DEP_1) | instskip(NEXT) | instid1(VALU_DEP_2)
	v_dual_lshlrev_b32 v8, 8, v8 :: v_dual_lshlrev_b32 v1, 23, v1
	v_lshl_add_u32 v7, v7, 10, 0x2000
	s_delay_alu instid0(VALU_DEP_1) | instskip(NEXT) | instid1(VALU_DEP_1)
	v_and_or_b32 v7, 0x8000, v8, v7
	v_lshl_or_b32 v44, v7, 16, v1
.LBB276_176:                            ;   in Loop: Header=BB276_15 Depth=1
	s_or_b32 exec_lo, exec_lo, s44
.LBB276_177:                            ;   in Loop: Header=BB276_15 Depth=1
	s_delay_alu instid0(SALU_CYCLE_1)
	s_or_b32 exec_lo, exec_lo, s43
.LBB276_178:                            ;   in Loop: Header=BB276_15 Depth=1
	s_delay_alu instid0(SALU_CYCLE_1) | instskip(SKIP_3) | instid1(VALU_DEP_2)
	s_or_b32 exec_lo, exec_lo, s42
	v_and_b32_e32 v1, 0xff, v5
	v_mov_b32_e32 v8, v5
	s_mov_b32 s42, exec_lo
	v_cmpx_ne_u16_e32 0, v1
	s_cbranch_execz .LBB276_186
; %bb.179:                              ;   in Loop: Header=BB276_15 Depth=1
	v_mov_b32_e32 v35, 0x8000
	s_mov_b32 s43, exec_lo
	v_cmpx_ne_u16_e32 0x80, v1
	s_cbranch_execz .LBB276_185
; %bb.180:                              ;   in Loop: Header=BB276_15 Depth=1
	v_and_b32_e32 v36, 0x7f, v5
	v_mov_b32_e32 v35, 0x7c01
	s_mov_b32 s44, exec_lo
	s_delay_alu instid0(VALU_DEP_2)
	v_cmpx_ne_u32_e32 0x7f, v36
	s_cbranch_execz .LBB276_184
; %bb.181:                              ;   in Loop: Header=BB276_15 Depth=1
	v_dual_lshrrev_b32 v7, 3, v36 :: v_dual_bitop2_b32 v1, 7, v5 bitop3:0x40
	s_mov_b32 s45, exec_lo
	v_cmpx_gt_u32_e32 8, v36
; %bb.182:                              ;   in Loop: Header=BB276_15 Depth=1
	s_delay_alu instid0(VALU_DEP_2) | instskip(NEXT) | instid1(VALU_DEP_1)
	v_clz_i32_u32_e32 v1, v1
	v_min_u32_e32 v1, 32, v1
	s_delay_alu instid0(VALU_DEP_1) | instskip(NEXT) | instid1(VALU_DEP_1)
	v_subrev_nc_u32_e32 v7, 28, v1
	v_lshlrev_b64_e32 v[36:37], v7, v[8:9]
	s_delay_alu instid0(VALU_DEP_1)
	v_dual_sub_nc_u32 v7, 29, v1 :: v_dual_bitop2_b32 v1, 7, v36 bitop3:0x40
; %bb.183:                              ;   in Loop: Header=BB276_15 Depth=1
	s_or_b32 exec_lo, exec_lo, s45
	v_lshlrev_b32_e32 v12, 8, v5
	s_delay_alu instid0(VALU_DEP_2) | instskip(NEXT) | instid1(VALU_DEP_3)
	v_lshl_add_u32 v7, v7, 10, 0x2000
	v_lshlrev_b32_e32 v1, 7, v1
	s_delay_alu instid0(VALU_DEP_3) | instskip(NEXT) | instid1(VALU_DEP_3)
	v_and_b32_e32 v12, 0x8000, v12
	v_and_b32_e32 v7, 0xfc00, v7
	s_delay_alu instid0(VALU_DEP_1)
	v_or3_b32 v35, v12, v7, v1
.LBB276_184:                            ;   in Loop: Header=BB276_15 Depth=1
	s_or_b32 exec_lo, exec_lo, s44
.LBB276_185:                            ;   in Loop: Header=BB276_15 Depth=1
	s_delay_alu instid0(SALU_CYCLE_1)
	s_or_b32 exec_lo, exec_lo, s43
.LBB276_186:                            ;   in Loop: Header=BB276_15 Depth=1
	s_delay_alu instid0(SALU_CYCLE_1) | instskip(SKIP_3) | instid1(VALU_DEP_2)
	s_or_b32 exec_lo, exec_lo, s42
	v_lshrrev_b16 v8, 8, v8
	v_dual_mov_b32 v46, 0 :: v_dual_mov_b32 v45, 0
	s_mov_b32 s42, exec_lo
	v_cmpx_ne_u16_e32 0, v8
	s_cbranch_execz .LBB276_194
; %bb.187:                              ;   in Loop: Header=BB276_15 Depth=1
	v_bfrev_b32_e32 v45, 1
	s_mov_b32 s43, exec_lo
	v_cmpx_ne_u16_e32 0x80, v8
	s_cbranch_execz .LBB276_193
; %bb.188:                              ;   in Loop: Header=BB276_15 Depth=1
	v_and_b32_e32 v1, 0xffff, v8
	v_mov_b32_e32 v45, 0x7c010000
	s_mov_b32 s44, exec_lo
	s_delay_alu instid0(VALU_DEP_2) | instskip(NEXT) | instid1(VALU_DEP_1)
	v_and_b32_e32 v37, 0x7f, v1
	v_cmpx_ne_u32_e32 0x7f, v37
	s_cbranch_execz .LBB276_192
; %bb.189:                              ;   in Loop: Header=BB276_15 Depth=1
	v_and_b32_e32 v7, 7, v1
	v_lshrrev_b32_e32 v36, 3, v37
	s_mov_b32 s45, exec_lo
	v_cmpx_gt_u32_e32 8, v37
; %bb.190:                              ;   in Loop: Header=BB276_15 Depth=1
	s_delay_alu instid0(VALU_DEP_3) | instskip(NEXT) | instid1(VALU_DEP_1)
	v_clz_i32_u32_e32 v7, v7
	v_min_u32_e32 v7, 32, v7
	s_delay_alu instid0(VALU_DEP_1) | instskip(NEXT) | instid1(VALU_DEP_1)
	v_subrev_nc_u32_e32 v12, 28, v7
	v_lshlrev_b64_e32 v[38:39], v12, v[8:9]
	s_delay_alu instid0(VALU_DEP_1)
	v_dual_sub_nc_u32 v36, 29, v7 :: v_dual_bitop2_b32 v7, 7, v38 bitop3:0x40
; %bb.191:                              ;   in Loop: Header=BB276_15 Depth=1
	s_or_b32 exec_lo, exec_lo, s45
	s_delay_alu instid0(VALU_DEP_1) | instskip(NEXT) | instid1(VALU_DEP_2)
	v_dual_lshlrev_b32 v1, 8, v1 :: v_dual_lshlrev_b32 v7, 23, v7
	v_lshl_add_u32 v8, v36, 10, 0x2000
	s_delay_alu instid0(VALU_DEP_1) | instskip(NEXT) | instid1(VALU_DEP_1)
	v_and_or_b32 v1, 0x8000, v1, v8
	v_lshl_or_b32 v45, v1, 16, v7
.LBB276_192:                            ;   in Loop: Header=BB276_15 Depth=1
	s_or_b32 exec_lo, exec_lo, s44
.LBB276_193:                            ;   in Loop: Header=BB276_15 Depth=1
	s_delay_alu instid0(SALU_CYCLE_1)
	s_or_b32 exec_lo, exec_lo, s43
.LBB276_194:                            ;   in Loop: Header=BB276_15 Depth=1
	s_delay_alu instid0(SALU_CYCLE_1) | instskip(SKIP_2) | instid1(VALU_DEP_1)
	s_or_b32 exec_lo, exec_lo, s42
	v_lshrrev_b32_e32 v8, 16, v5
	s_mov_b32 s42, exec_lo
	v_and_b32_e32 v1, 0xff, v8
	s_delay_alu instid0(VALU_DEP_1)
	v_cmpx_ne_u16_e32 0, v1
	s_cbranch_execz .LBB276_202
; %bb.195:                              ;   in Loop: Header=BB276_15 Depth=1
	v_mov_b32_e32 v46, 0x8000
	s_mov_b32 s43, exec_lo
	v_cmpx_ne_u16_e32 0x80, v1
	s_cbranch_execz .LBB276_201
; %bb.196:                              ;   in Loop: Header=BB276_15 Depth=1
	v_bfe_u32 v36, v5, 16, 7
	v_mov_b32_e32 v46, 0x7c01
	s_mov_b32 s44, exec_lo
	s_delay_alu instid0(VALU_DEP_2)
	v_cmpx_ne_u32_e32 0x7f, v36
	s_cbranch_execz .LBB276_200
; %bb.197:                              ;   in Loop: Header=BB276_15 Depth=1
	v_and_b32_e32 v1, 7, v8
	v_lshrrev_b32_e32 v7, 3, v36
	s_mov_b32 s45, exec_lo
	v_cmpx_gt_u32_e32 8, v36
; %bb.198:                              ;   in Loop: Header=BB276_15 Depth=1
	s_delay_alu instid0(VALU_DEP_3) | instskip(NEXT) | instid1(VALU_DEP_1)
	v_clz_i32_u32_e32 v1, v1
	v_min_u32_e32 v1, 32, v1
	s_delay_alu instid0(VALU_DEP_1) | instskip(NEXT) | instid1(VALU_DEP_1)
	v_subrev_nc_u32_e32 v7, 28, v1
	v_lshlrev_b64_e32 v[36:37], v7, v[8:9]
	s_delay_alu instid0(VALU_DEP_1)
	v_dual_sub_nc_u32 v7, 29, v1 :: v_dual_bitop2_b32 v1, 7, v36 bitop3:0x40
; %bb.199:                              ;   in Loop: Header=BB276_15 Depth=1
	s_or_b32 exec_lo, exec_lo, s45
	s_delay_alu instid0(VALU_DEP_1) | instskip(NEXT) | instid1(VALU_DEP_2)
	v_dual_lshlrev_b32 v8, 8, v8 :: v_dual_lshlrev_b32 v1, 7, v1
	v_lshl_add_u32 v7, v7, 10, 0x2000
	s_delay_alu instid0(VALU_DEP_2) | instskip(NEXT) | instid1(VALU_DEP_2)
	v_and_b32_e32 v8, 0x8000, v8
	v_and_b32_e32 v7, 0xfc00, v7
	s_delay_alu instid0(VALU_DEP_1)
	v_or3_b32 v46, v8, v7, v1
.LBB276_200:                            ;   in Loop: Header=BB276_15 Depth=1
	s_or_b32 exec_lo, exec_lo, s44
.LBB276_201:                            ;   in Loop: Header=BB276_15 Depth=1
	s_delay_alu instid0(SALU_CYCLE_1)
	s_or_b32 exec_lo, exec_lo, s43
.LBB276_202:                            ;   in Loop: Header=BB276_15 Depth=1
	s_delay_alu instid0(SALU_CYCLE_1)
	s_or_b32 exec_lo, exec_lo, s42
	v_dual_mov_b32 v70, 0 :: v_dual_mov_b32 v47, 0
	s_mov_b32 s42, exec_lo
	v_cmpx_lt_u64_e64 s[26:27], v[4:5]
	s_cbranch_execz .LBB276_210
; %bb.203:                              ;   in Loop: Header=BB276_15 Depth=1
	v_lshrrev_b32_e32 v8, 24, v5
	v_bfrev_b32_e32 v47, 1
	s_mov_b32 s43, exec_lo
	s_delay_alu instid0(VALU_DEP_2)
	v_cmpx_ne_u32_e32 0x80, v8
	s_cbranch_execz .LBB276_209
; %bb.204:                              ;   in Loop: Header=BB276_15 Depth=1
	v_and_b32_e32 v5, 0x7f, v8
	v_mov_b32_e32 v47, 0x7c010000
	s_mov_b32 s44, exec_lo
	s_delay_alu instid0(VALU_DEP_2)
	v_cmpx_ne_u32_e32 0x7f, v5
	s_cbranch_execz .LBB276_208
; %bb.205:                              ;   in Loop: Header=BB276_15 Depth=1
	v_dual_lshrrev_b32 v4, 3, v5 :: v_dual_bitop2_b32 v1, 7, v8 bitop3:0x40
	s_mov_b32 s45, exec_lo
	v_cmpx_gt_u32_e32 8, v5
; %bb.206:                              ;   in Loop: Header=BB276_15 Depth=1
	s_delay_alu instid0(VALU_DEP_2) | instskip(NEXT) | instid1(VALU_DEP_1)
	v_clz_i32_u32_e32 v1, v1
	v_min_u32_e32 v1, 32, v1
	s_delay_alu instid0(VALU_DEP_1) | instskip(NEXT) | instid1(VALU_DEP_1)
	v_subrev_nc_u32_e32 v4, 28, v1
	v_lshlrev_b64_e32 v[36:37], v4, v[8:9]
	s_delay_alu instid0(VALU_DEP_1)
	v_dual_sub_nc_u32 v4, 29, v1 :: v_dual_bitop2_b32 v1, 7, v36 bitop3:0x40
; %bb.207:                              ;   in Loop: Header=BB276_15 Depth=1
	s_or_b32 exec_lo, exec_lo, s45
	s_delay_alu instid0(VALU_DEP_1) | instskip(NEXT) | instid1(VALU_DEP_2)
	v_dual_lshlrev_b32 v5, 8, v8 :: v_dual_lshlrev_b32 v1, 23, v1
	v_lshl_add_u32 v4, v4, 10, 0x2000
	s_delay_alu instid0(VALU_DEP_1) | instskip(NEXT) | instid1(VALU_DEP_1)
	v_and_or_b32 v4, 0x8000, v5, v4
	v_lshl_or_b32 v47, v4, 16, v1
.LBB276_208:                            ;   in Loop: Header=BB276_15 Depth=1
	s_or_b32 exec_lo, exec_lo, s44
.LBB276_209:                            ;   in Loop: Header=BB276_15 Depth=1
	s_delay_alu instid0(SALU_CYCLE_1)
	s_or_b32 exec_lo, exec_lo, s43
.LBB276_210:                            ;   in Loop: Header=BB276_15 Depth=1
	s_delay_alu instid0(SALU_CYCLE_1)
	s_or_b32 exec_lo, exec_lo, s42
	global_load_b64 v[4:5], v[2:3], off offset:520
	s_mov_b32 s42, exec_lo
	s_wait_loadcnt 0x0
	v_and_b32_e32 v1, 0xff, v4
	s_wait_xcnt 0x0
	s_delay_alu instid0(VALU_DEP_1)
	v_cmpx_ne_u16_e32 0, v1
	s_cbranch_execz .LBB276_218
; %bb.211:                              ;   in Loop: Header=BB276_15 Depth=1
	v_mov_b32_e32 v70, 0x8000
	s_mov_b32 s43, exec_lo
	v_cmpx_ne_u16_e32 0x80, v1
	s_cbranch_execz .LBB276_217
; %bb.212:                              ;   in Loop: Header=BB276_15 Depth=1
	v_and_b32_e32 v8, 0x7f, v4
	v_mov_b32_e32 v70, 0x7c01
	s_mov_b32 s44, exec_lo
	s_delay_alu instid0(VALU_DEP_2)
	v_cmpx_ne_u32_e32 0x7f, v8
	s_cbranch_execz .LBB276_216
; %bb.213:                              ;   in Loop: Header=BB276_15 Depth=1
	v_and_b32_e32 v1, 7, v4
	v_lshrrev_b32_e32 v7, 3, v8
	s_mov_b32 s45, exec_lo
	v_cmpx_gt_u32_e32 8, v8
; %bb.214:                              ;   in Loop: Header=BB276_15 Depth=1
	s_delay_alu instid0(VALU_DEP_3) | instskip(NEXT) | instid1(VALU_DEP_1)
	v_clz_i32_u32_e32 v1, v1
	v_min_u32_e32 v1, 32, v1
	s_delay_alu instid0(VALU_DEP_1) | instskip(NEXT) | instid1(VALU_DEP_1)
	v_subrev_nc_u32_e32 v7, 28, v1
	v_lshlrev_b64_e32 v[36:37], v7, v[4:5]
	s_delay_alu instid0(VALU_DEP_1)
	v_dual_sub_nc_u32 v7, 29, v1 :: v_dual_bitop2_b32 v1, 7, v36 bitop3:0x40
; %bb.215:                              ;   in Loop: Header=BB276_15 Depth=1
	s_or_b32 exec_lo, exec_lo, s45
	s_delay_alu instid0(VALU_DEP_1) | instskip(NEXT) | instid1(VALU_DEP_2)
	v_dual_lshlrev_b32 v8, 8, v4 :: v_dual_lshlrev_b32 v1, 7, v1
	v_lshl_add_u32 v7, v7, 10, 0x2000
	s_delay_alu instid0(VALU_DEP_2) | instskip(NEXT) | instid1(VALU_DEP_2)
	v_and_b32_e32 v8, 0x8000, v8
	v_and_b32_e32 v7, 0xfc00, v7
	s_delay_alu instid0(VALU_DEP_1)
	v_or3_b32 v70, v8, v7, v1
.LBB276_216:                            ;   in Loop: Header=BB276_15 Depth=1
	s_or_b32 exec_lo, exec_lo, s44
.LBB276_217:                            ;   in Loop: Header=BB276_15 Depth=1
	s_delay_alu instid0(SALU_CYCLE_1)
	s_or_b32 exec_lo, exec_lo, s43
.LBB276_218:                            ;   in Loop: Header=BB276_15 Depth=1
	s_delay_alu instid0(SALU_CYCLE_1) | instskip(SKIP_3) | instid1(VALU_DEP_2)
	s_or_b32 exec_lo, exec_lo, s42
	v_lshrrev_b16 v8, 8, v4
	v_dual_mov_b32 v64, 0 :: v_dual_mov_b32 v65, 0
	s_mov_b32 s42, exec_lo
	v_cmpx_ne_u16_e32 0, v8
	s_cbranch_execz .LBB276_226
; %bb.219:                              ;   in Loop: Header=BB276_15 Depth=1
	v_bfrev_b32_e32 v65, 1
	s_mov_b32 s43, exec_lo
	v_cmpx_ne_u16_e32 0x80, v8
	s_cbranch_execz .LBB276_225
; %bb.220:                              ;   in Loop: Header=BB276_15 Depth=1
	v_and_b32_e32 v1, 0xffff, v8
	v_mov_b32_e32 v65, 0x7c010000
	s_mov_b32 s44, exec_lo
	s_delay_alu instid0(VALU_DEP_2) | instskip(NEXT) | instid1(VALU_DEP_1)
	v_and_b32_e32 v37, 0x7f, v1
	v_cmpx_ne_u32_e32 0x7f, v37
	s_cbranch_execz .LBB276_224
; %bb.221:                              ;   in Loop: Header=BB276_15 Depth=1
	v_and_b32_e32 v7, 7, v1
	v_lshrrev_b32_e32 v36, 3, v37
	s_mov_b32 s45, exec_lo
	v_cmpx_gt_u32_e32 8, v37
; %bb.222:                              ;   in Loop: Header=BB276_15 Depth=1
	s_delay_alu instid0(VALU_DEP_3) | instskip(NEXT) | instid1(VALU_DEP_1)
	v_clz_i32_u32_e32 v7, v7
	v_min_u32_e32 v7, 32, v7
	s_delay_alu instid0(VALU_DEP_1) | instskip(NEXT) | instid1(VALU_DEP_1)
	v_subrev_nc_u32_e32 v12, 28, v7
	v_lshlrev_b64_e32 v[38:39], v12, v[8:9]
	s_delay_alu instid0(VALU_DEP_1)
	v_dual_sub_nc_u32 v36, 29, v7 :: v_dual_bitop2_b32 v7, 7, v38 bitop3:0x40
; %bb.223:                              ;   in Loop: Header=BB276_15 Depth=1
	s_or_b32 exec_lo, exec_lo, s45
	s_delay_alu instid0(VALU_DEP_1) | instskip(NEXT) | instid1(VALU_DEP_2)
	v_dual_lshlrev_b32 v1, 8, v1 :: v_dual_lshlrev_b32 v7, 23, v7
	v_lshl_add_u32 v8, v36, 10, 0x2000
	s_delay_alu instid0(VALU_DEP_1) | instskip(NEXT) | instid1(VALU_DEP_1)
	v_and_or_b32 v1, 0x8000, v1, v8
	v_lshl_or_b32 v65, v1, 16, v7
.LBB276_224:                            ;   in Loop: Header=BB276_15 Depth=1
	s_or_b32 exec_lo, exec_lo, s44
.LBB276_225:                            ;   in Loop: Header=BB276_15 Depth=1
	s_delay_alu instid0(SALU_CYCLE_1)
	s_or_b32 exec_lo, exec_lo, s43
.LBB276_226:                            ;   in Loop: Header=BB276_15 Depth=1
	s_delay_alu instid0(SALU_CYCLE_1) | instskip(SKIP_2) | instid1(VALU_DEP_1)
	s_or_b32 exec_lo, exec_lo, s42
	v_lshrrev_b32_e32 v8, 16, v4
	s_mov_b32 s42, exec_lo
	v_and_b32_e32 v1, 0xff, v8
	s_delay_alu instid0(VALU_DEP_1)
	v_cmpx_ne_u16_e32 0, v1
	s_cbranch_execz .LBB276_234
; %bb.227:                              ;   in Loop: Header=BB276_15 Depth=1
	v_mov_b32_e32 v64, 0x8000
	s_mov_b32 s43, exec_lo
	v_cmpx_ne_u16_e32 0x80, v1
	s_cbranch_execz .LBB276_233
; %bb.228:                              ;   in Loop: Header=BB276_15 Depth=1
	v_bfe_u32 v36, v4, 16, 7
	v_mov_b32_e32 v64, 0x7c01
	s_mov_b32 s44, exec_lo
	s_delay_alu instid0(VALU_DEP_2)
	v_cmpx_ne_u32_e32 0x7f, v36
	s_cbranch_execz .LBB276_232
; %bb.229:                              ;   in Loop: Header=BB276_15 Depth=1
	v_and_b32_e32 v1, 7, v8
	v_lshrrev_b32_e32 v7, 3, v36
	s_mov_b32 s45, exec_lo
	v_cmpx_gt_u32_e32 8, v36
; %bb.230:                              ;   in Loop: Header=BB276_15 Depth=1
	s_delay_alu instid0(VALU_DEP_3) | instskip(NEXT) | instid1(VALU_DEP_1)
	v_clz_i32_u32_e32 v1, v1
	v_min_u32_e32 v1, 32, v1
	s_delay_alu instid0(VALU_DEP_1) | instskip(NEXT) | instid1(VALU_DEP_1)
	v_subrev_nc_u32_e32 v7, 28, v1
	v_lshlrev_b64_e32 v[36:37], v7, v[8:9]
	s_delay_alu instid0(VALU_DEP_1)
	v_dual_sub_nc_u32 v7, 29, v1 :: v_dual_bitop2_b32 v1, 7, v36 bitop3:0x40
; %bb.231:                              ;   in Loop: Header=BB276_15 Depth=1
	s_or_b32 exec_lo, exec_lo, s45
	s_delay_alu instid0(VALU_DEP_1) | instskip(NEXT) | instid1(VALU_DEP_2)
	v_dual_lshlrev_b32 v8, 8, v8 :: v_dual_lshlrev_b32 v1, 7, v1
	v_lshl_add_u32 v7, v7, 10, 0x2000
	s_delay_alu instid0(VALU_DEP_2) | instskip(NEXT) | instid1(VALU_DEP_2)
	v_and_b32_e32 v8, 0x8000, v8
	v_and_b32_e32 v7, 0xfc00, v7
	s_delay_alu instid0(VALU_DEP_1)
	v_or3_b32 v64, v8, v7, v1
.LBB276_232:                            ;   in Loop: Header=BB276_15 Depth=1
	s_or_b32 exec_lo, exec_lo, s44
.LBB276_233:                            ;   in Loop: Header=BB276_15 Depth=1
	s_delay_alu instid0(SALU_CYCLE_1)
	s_or_b32 exec_lo, exec_lo, s43
.LBB276_234:                            ;   in Loop: Header=BB276_15 Depth=1
	s_delay_alu instid0(SALU_CYCLE_1)
	s_or_b32 exec_lo, exec_lo, s42
	v_dual_mov_b32 v67, 0 :: v_dual_mov_b32 v66, 0
	s_mov_b32 s42, exec_lo
	v_cmpx_lt_u32_e32 0xffffff, v4
	s_cbranch_execz .LBB276_242
; %bb.235:                              ;   in Loop: Header=BB276_15 Depth=1
	v_lshrrev_b32_e32 v8, 24, v4
	v_bfrev_b32_e32 v66, 1
	s_mov_b32 s43, exec_lo
	s_delay_alu instid0(VALU_DEP_2)
	v_cmpx_ne_u32_e32 0x80, v8
	s_cbranch_execz .LBB276_241
; %bb.236:                              ;   in Loop: Header=BB276_15 Depth=1
	v_and_b32_e32 v36, 0x7f, v8
	v_mov_b32_e32 v66, 0x7c010000
	s_mov_b32 s44, exec_lo
	s_delay_alu instid0(VALU_DEP_2)
	v_cmpx_ne_u32_e32 0x7f, v36
	s_cbranch_execz .LBB276_240
; %bb.237:                              ;   in Loop: Header=BB276_15 Depth=1
	v_and_b32_e32 v1, 7, v8
	v_lshrrev_b32_e32 v7, 3, v36
	s_mov_b32 s45, exec_lo
	v_cmpx_gt_u32_e32 8, v36
; %bb.238:                              ;   in Loop: Header=BB276_15 Depth=1
	s_delay_alu instid0(VALU_DEP_3) | instskip(NEXT) | instid1(VALU_DEP_1)
	v_clz_i32_u32_e32 v1, v1
	v_min_u32_e32 v1, 32, v1
	s_delay_alu instid0(VALU_DEP_1) | instskip(NEXT) | instid1(VALU_DEP_1)
	v_subrev_nc_u32_e32 v7, 28, v1
	v_lshlrev_b64_e32 v[36:37], v7, v[8:9]
	s_delay_alu instid0(VALU_DEP_1)
	v_dual_sub_nc_u32 v7, 29, v1 :: v_dual_bitop2_b32 v1, 7, v36 bitop3:0x40
; %bb.239:                              ;   in Loop: Header=BB276_15 Depth=1
	s_or_b32 exec_lo, exec_lo, s45
	s_delay_alu instid0(VALU_DEP_1) | instskip(NEXT) | instid1(VALU_DEP_2)
	v_dual_lshlrev_b32 v8, 8, v8 :: v_dual_lshlrev_b32 v1, 23, v1
	v_lshl_add_u32 v7, v7, 10, 0x2000
	s_delay_alu instid0(VALU_DEP_1) | instskip(NEXT) | instid1(VALU_DEP_1)
	v_and_or_b32 v7, 0x8000, v8, v7
	v_lshl_or_b32 v66, v7, 16, v1
.LBB276_240:                            ;   in Loop: Header=BB276_15 Depth=1
	s_or_b32 exec_lo, exec_lo, s44
.LBB276_241:                            ;   in Loop: Header=BB276_15 Depth=1
	s_delay_alu instid0(SALU_CYCLE_1)
	s_or_b32 exec_lo, exec_lo, s43
.LBB276_242:                            ;   in Loop: Header=BB276_15 Depth=1
	s_delay_alu instid0(SALU_CYCLE_1) | instskip(SKIP_3) | instid1(VALU_DEP_2)
	s_or_b32 exec_lo, exec_lo, s42
	v_and_b32_e32 v1, 0xff, v5
	v_mov_b32_e32 v8, v5
	s_mov_b32 s42, exec_lo
	v_cmpx_ne_u16_e32 0, v1
	s_cbranch_execz .LBB276_250
; %bb.243:                              ;   in Loop: Header=BB276_15 Depth=1
	v_mov_b32_e32 v67, 0x8000
	s_mov_b32 s43, exec_lo
	v_cmpx_ne_u16_e32 0x80, v1
	s_cbranch_execz .LBB276_249
; %bb.244:                              ;   in Loop: Header=BB276_15 Depth=1
	v_and_b32_e32 v36, 0x7f, v5
	v_mov_b32_e32 v67, 0x7c01
	s_mov_b32 s44, exec_lo
	s_delay_alu instid0(VALU_DEP_2)
	v_cmpx_ne_u32_e32 0x7f, v36
	s_cbranch_execz .LBB276_248
; %bb.245:                              ;   in Loop: Header=BB276_15 Depth=1
	v_dual_lshrrev_b32 v7, 3, v36 :: v_dual_bitop2_b32 v1, 7, v5 bitop3:0x40
	s_mov_b32 s45, exec_lo
	v_cmpx_gt_u32_e32 8, v36
; %bb.246:                              ;   in Loop: Header=BB276_15 Depth=1
	s_delay_alu instid0(VALU_DEP_2) | instskip(NEXT) | instid1(VALU_DEP_1)
	v_clz_i32_u32_e32 v1, v1
	v_min_u32_e32 v1, 32, v1
	s_delay_alu instid0(VALU_DEP_1) | instskip(NEXT) | instid1(VALU_DEP_1)
	v_subrev_nc_u32_e32 v7, 28, v1
	v_lshlrev_b64_e32 v[36:37], v7, v[8:9]
	s_delay_alu instid0(VALU_DEP_1)
	v_dual_sub_nc_u32 v7, 29, v1 :: v_dual_bitop2_b32 v1, 7, v36 bitop3:0x40
; %bb.247:                              ;   in Loop: Header=BB276_15 Depth=1
	s_or_b32 exec_lo, exec_lo, s45
	v_lshlrev_b32_e32 v12, 8, v5
	s_delay_alu instid0(VALU_DEP_2) | instskip(NEXT) | instid1(VALU_DEP_3)
	v_lshl_add_u32 v7, v7, 10, 0x2000
	v_lshlrev_b32_e32 v1, 7, v1
	s_delay_alu instid0(VALU_DEP_3) | instskip(NEXT) | instid1(VALU_DEP_3)
	v_and_b32_e32 v12, 0x8000, v12
	v_and_b32_e32 v7, 0xfc00, v7
	s_delay_alu instid0(VALU_DEP_1)
	v_or3_b32 v67, v12, v7, v1
.LBB276_248:                            ;   in Loop: Header=BB276_15 Depth=1
	s_or_b32 exec_lo, exec_lo, s44
.LBB276_249:                            ;   in Loop: Header=BB276_15 Depth=1
	s_delay_alu instid0(SALU_CYCLE_1)
	s_or_b32 exec_lo, exec_lo, s43
.LBB276_250:                            ;   in Loop: Header=BB276_15 Depth=1
	s_delay_alu instid0(SALU_CYCLE_1) | instskip(SKIP_3) | instid1(VALU_DEP_2)
	s_or_b32 exec_lo, exec_lo, s42
	v_lshrrev_b16 v8, 8, v8
	v_dual_mov_b32 v69, 0 :: v_dual_mov_b32 v68, 0
	s_mov_b32 s42, exec_lo
	v_cmpx_ne_u16_e32 0, v8
	s_cbranch_execz .LBB276_258
; %bb.251:                              ;   in Loop: Header=BB276_15 Depth=1
	v_bfrev_b32_e32 v68, 1
	s_mov_b32 s43, exec_lo
	v_cmpx_ne_u16_e32 0x80, v8
	s_cbranch_execz .LBB276_257
; %bb.252:                              ;   in Loop: Header=BB276_15 Depth=1
	v_and_b32_e32 v1, 0xffff, v8
	v_mov_b32_e32 v68, 0x7c010000
	s_mov_b32 s44, exec_lo
	s_delay_alu instid0(VALU_DEP_2) | instskip(NEXT) | instid1(VALU_DEP_1)
	v_and_b32_e32 v37, 0x7f, v1
	v_cmpx_ne_u32_e32 0x7f, v37
	s_cbranch_execz .LBB276_256
; %bb.253:                              ;   in Loop: Header=BB276_15 Depth=1
	v_and_b32_e32 v7, 7, v1
	v_lshrrev_b32_e32 v36, 3, v37
	s_mov_b32 s45, exec_lo
	v_cmpx_gt_u32_e32 8, v37
; %bb.254:                              ;   in Loop: Header=BB276_15 Depth=1
	s_delay_alu instid0(VALU_DEP_3) | instskip(NEXT) | instid1(VALU_DEP_1)
	v_clz_i32_u32_e32 v7, v7
	v_min_u32_e32 v7, 32, v7
	s_delay_alu instid0(VALU_DEP_1) | instskip(NEXT) | instid1(VALU_DEP_1)
	v_subrev_nc_u32_e32 v12, 28, v7
	v_lshlrev_b64_e32 v[38:39], v12, v[8:9]
	s_delay_alu instid0(VALU_DEP_1)
	v_dual_sub_nc_u32 v36, 29, v7 :: v_dual_bitop2_b32 v7, 7, v38 bitop3:0x40
; %bb.255:                              ;   in Loop: Header=BB276_15 Depth=1
	s_or_b32 exec_lo, exec_lo, s45
	s_delay_alu instid0(VALU_DEP_1) | instskip(NEXT) | instid1(VALU_DEP_2)
	v_dual_lshlrev_b32 v1, 8, v1 :: v_dual_lshlrev_b32 v7, 23, v7
	v_lshl_add_u32 v8, v36, 10, 0x2000
	s_delay_alu instid0(VALU_DEP_1) | instskip(NEXT) | instid1(VALU_DEP_1)
	v_and_or_b32 v1, 0x8000, v1, v8
	v_lshl_or_b32 v68, v1, 16, v7
.LBB276_256:                            ;   in Loop: Header=BB276_15 Depth=1
	s_or_b32 exec_lo, exec_lo, s44
.LBB276_257:                            ;   in Loop: Header=BB276_15 Depth=1
	s_delay_alu instid0(SALU_CYCLE_1)
	s_or_b32 exec_lo, exec_lo, s43
.LBB276_258:                            ;   in Loop: Header=BB276_15 Depth=1
	s_delay_alu instid0(SALU_CYCLE_1) | instskip(SKIP_2) | instid1(VALU_DEP_1)
	s_or_b32 exec_lo, exec_lo, s42
	v_lshrrev_b32_e32 v8, 16, v5
	s_mov_b32 s42, exec_lo
	v_and_b32_e32 v1, 0xff, v8
	s_delay_alu instid0(VALU_DEP_1)
	v_cmpx_ne_u16_e32 0, v1
	s_cbranch_execz .LBB276_266
; %bb.259:                              ;   in Loop: Header=BB276_15 Depth=1
	v_mov_b32_e32 v69, 0x8000
	s_mov_b32 s43, exec_lo
	v_cmpx_ne_u16_e32 0x80, v1
	s_cbranch_execz .LBB276_265
; %bb.260:                              ;   in Loop: Header=BB276_15 Depth=1
	v_bfe_u32 v36, v5, 16, 7
	v_mov_b32_e32 v69, 0x7c01
	s_mov_b32 s44, exec_lo
	s_delay_alu instid0(VALU_DEP_2)
	v_cmpx_ne_u32_e32 0x7f, v36
	s_cbranch_execz .LBB276_264
; %bb.261:                              ;   in Loop: Header=BB276_15 Depth=1
	v_and_b32_e32 v1, 7, v8
	v_lshrrev_b32_e32 v7, 3, v36
	s_mov_b32 s45, exec_lo
	v_cmpx_gt_u32_e32 8, v36
; %bb.262:                              ;   in Loop: Header=BB276_15 Depth=1
	s_delay_alu instid0(VALU_DEP_3) | instskip(NEXT) | instid1(VALU_DEP_1)
	v_clz_i32_u32_e32 v1, v1
	v_min_u32_e32 v1, 32, v1
	s_delay_alu instid0(VALU_DEP_1) | instskip(NEXT) | instid1(VALU_DEP_1)
	v_subrev_nc_u32_e32 v7, 28, v1
	v_lshlrev_b64_e32 v[36:37], v7, v[8:9]
	s_delay_alu instid0(VALU_DEP_1)
	v_dual_sub_nc_u32 v7, 29, v1 :: v_dual_bitop2_b32 v1, 7, v36 bitop3:0x40
; %bb.263:                              ;   in Loop: Header=BB276_15 Depth=1
	s_or_b32 exec_lo, exec_lo, s45
	s_delay_alu instid0(VALU_DEP_1) | instskip(NEXT) | instid1(VALU_DEP_2)
	v_dual_lshlrev_b32 v8, 8, v8 :: v_dual_lshlrev_b32 v1, 7, v1
	v_lshl_add_u32 v7, v7, 10, 0x2000
	s_delay_alu instid0(VALU_DEP_2) | instskip(NEXT) | instid1(VALU_DEP_2)
	v_and_b32_e32 v8, 0x8000, v8
	v_and_b32_e32 v7, 0xfc00, v7
	s_delay_alu instid0(VALU_DEP_1)
	v_or3_b32 v69, v8, v7, v1
.LBB276_264:                            ;   in Loop: Header=BB276_15 Depth=1
	s_or_b32 exec_lo, exec_lo, s44
.LBB276_265:                            ;   in Loop: Header=BB276_15 Depth=1
	s_delay_alu instid0(SALU_CYCLE_1)
	s_or_b32 exec_lo, exec_lo, s43
.LBB276_266:                            ;   in Loop: Header=BB276_15 Depth=1
	s_delay_alu instid0(SALU_CYCLE_1)
	s_or_b32 exec_lo, exec_lo, s42
	v_dual_mov_b32 v74, 0 :: v_dual_mov_b32 v71, 0
	s_mov_b32 s42, exec_lo
	v_cmpx_lt_u64_e64 s[26:27], v[4:5]
	s_cbranch_execz .LBB276_274
; %bb.267:                              ;   in Loop: Header=BB276_15 Depth=1
	v_lshrrev_b32_e32 v8, 24, v5
	v_bfrev_b32_e32 v71, 1
	s_mov_b32 s43, exec_lo
	s_delay_alu instid0(VALU_DEP_2)
	v_cmpx_ne_u32_e32 0x80, v8
	s_cbranch_execz .LBB276_273
; %bb.268:                              ;   in Loop: Header=BB276_15 Depth=1
	v_and_b32_e32 v5, 0x7f, v8
	v_mov_b32_e32 v71, 0x7c010000
	s_mov_b32 s44, exec_lo
	s_delay_alu instid0(VALU_DEP_2)
	v_cmpx_ne_u32_e32 0x7f, v5
	s_cbranch_execz .LBB276_272
; %bb.269:                              ;   in Loop: Header=BB276_15 Depth=1
	v_dual_lshrrev_b32 v4, 3, v5 :: v_dual_bitop2_b32 v1, 7, v8 bitop3:0x40
	s_mov_b32 s45, exec_lo
	v_cmpx_gt_u32_e32 8, v5
; %bb.270:                              ;   in Loop: Header=BB276_15 Depth=1
	s_delay_alu instid0(VALU_DEP_2) | instskip(NEXT) | instid1(VALU_DEP_1)
	v_clz_i32_u32_e32 v1, v1
	v_min_u32_e32 v1, 32, v1
	s_delay_alu instid0(VALU_DEP_1) | instskip(NEXT) | instid1(VALU_DEP_1)
	v_subrev_nc_u32_e32 v4, 28, v1
	v_lshlrev_b64_e32 v[36:37], v4, v[8:9]
	s_delay_alu instid0(VALU_DEP_1)
	v_dual_sub_nc_u32 v4, 29, v1 :: v_dual_bitop2_b32 v1, 7, v36 bitop3:0x40
; %bb.271:                              ;   in Loop: Header=BB276_15 Depth=1
	s_or_b32 exec_lo, exec_lo, s45
	s_delay_alu instid0(VALU_DEP_1) | instskip(NEXT) | instid1(VALU_DEP_2)
	v_dual_lshlrev_b32 v5, 8, v8 :: v_dual_lshlrev_b32 v1, 23, v1
	v_lshl_add_u32 v4, v4, 10, 0x2000
	s_delay_alu instid0(VALU_DEP_1) | instskip(NEXT) | instid1(VALU_DEP_1)
	v_and_or_b32 v4, 0x8000, v5, v4
	v_lshl_or_b32 v71, v4, 16, v1
.LBB276_272:                            ;   in Loop: Header=BB276_15 Depth=1
	s_or_b32 exec_lo, exec_lo, s44
.LBB276_273:                            ;   in Loop: Header=BB276_15 Depth=1
	s_delay_alu instid0(SALU_CYCLE_1)
	s_or_b32 exec_lo, exec_lo, s43
.LBB276_274:                            ;   in Loop: Header=BB276_15 Depth=1
	s_delay_alu instid0(SALU_CYCLE_1)
	s_or_b32 exec_lo, exec_lo, s42
	global_load_b64 v[4:5], v[2:3], off offset:1024
	s_mov_b32 s42, exec_lo
	s_wait_loadcnt 0x0
	v_and_b32_e32 v1, 0xff, v4
	s_wait_xcnt 0x0
	s_delay_alu instid0(VALU_DEP_1)
	v_cmpx_ne_u16_e32 0, v1
	s_cbranch_execz .LBB276_282
; %bb.275:                              ;   in Loop: Header=BB276_15 Depth=1
	v_mov_b32_e32 v74, 0x8000
	s_mov_b32 s43, exec_lo
	v_cmpx_ne_u16_e32 0x80, v1
	s_cbranch_execz .LBB276_281
; %bb.276:                              ;   in Loop: Header=BB276_15 Depth=1
	v_and_b32_e32 v8, 0x7f, v4
	v_mov_b32_e32 v74, 0x7c01
	s_mov_b32 s44, exec_lo
	s_delay_alu instid0(VALU_DEP_2)
	v_cmpx_ne_u32_e32 0x7f, v8
	s_cbranch_execz .LBB276_280
; %bb.277:                              ;   in Loop: Header=BB276_15 Depth=1
	v_and_b32_e32 v1, 7, v4
	v_lshrrev_b32_e32 v7, 3, v8
	s_mov_b32 s45, exec_lo
	v_cmpx_gt_u32_e32 8, v8
; %bb.278:                              ;   in Loop: Header=BB276_15 Depth=1
	s_delay_alu instid0(VALU_DEP_3) | instskip(NEXT) | instid1(VALU_DEP_1)
	v_clz_i32_u32_e32 v1, v1
	v_min_u32_e32 v1, 32, v1
	s_delay_alu instid0(VALU_DEP_1) | instskip(NEXT) | instid1(VALU_DEP_1)
	v_subrev_nc_u32_e32 v7, 28, v1
	v_lshlrev_b64_e32 v[36:37], v7, v[4:5]
	s_delay_alu instid0(VALU_DEP_1)
	v_dual_sub_nc_u32 v7, 29, v1 :: v_dual_bitop2_b32 v1, 7, v36 bitop3:0x40
; %bb.279:                              ;   in Loop: Header=BB276_15 Depth=1
	s_or_b32 exec_lo, exec_lo, s45
	s_delay_alu instid0(VALU_DEP_1) | instskip(NEXT) | instid1(VALU_DEP_2)
	v_dual_lshlrev_b32 v8, 8, v4 :: v_dual_lshlrev_b32 v1, 7, v1
	v_lshl_add_u32 v7, v7, 10, 0x2000
	s_delay_alu instid0(VALU_DEP_2) | instskip(NEXT) | instid1(VALU_DEP_2)
	v_and_b32_e32 v8, 0x8000, v8
	v_and_b32_e32 v7, 0xfc00, v7
	s_delay_alu instid0(VALU_DEP_1)
	v_or3_b32 v74, v8, v7, v1
.LBB276_280:                            ;   in Loop: Header=BB276_15 Depth=1
	s_or_b32 exec_lo, exec_lo, s44
.LBB276_281:                            ;   in Loop: Header=BB276_15 Depth=1
	s_delay_alu instid0(SALU_CYCLE_1)
	s_or_b32 exec_lo, exec_lo, s43
.LBB276_282:                            ;   in Loop: Header=BB276_15 Depth=1
	s_delay_alu instid0(SALU_CYCLE_1) | instskip(SKIP_3) | instid1(VALU_DEP_2)
	s_or_b32 exec_lo, exec_lo, s42
	v_lshrrev_b16 v8, 8, v4
	v_dual_mov_b32 v75, 0 :: v_dual_mov_b32 v76, 0
	s_mov_b32 s42, exec_lo
	v_cmpx_ne_u16_e32 0, v8
	s_cbranch_execz .LBB276_290
; %bb.283:                              ;   in Loop: Header=BB276_15 Depth=1
	v_bfrev_b32_e32 v76, 1
	s_mov_b32 s43, exec_lo
	v_cmpx_ne_u16_e32 0x80, v8
	s_cbranch_execz .LBB276_289
; %bb.284:                              ;   in Loop: Header=BB276_15 Depth=1
	v_and_b32_e32 v1, 0xffff, v8
	v_mov_b32_e32 v76, 0x7c010000
	s_mov_b32 s44, exec_lo
	s_delay_alu instid0(VALU_DEP_2) | instskip(NEXT) | instid1(VALU_DEP_1)
	v_and_b32_e32 v37, 0x7f, v1
	v_cmpx_ne_u32_e32 0x7f, v37
	s_cbranch_execz .LBB276_288
; %bb.285:                              ;   in Loop: Header=BB276_15 Depth=1
	v_and_b32_e32 v7, 7, v1
	v_lshrrev_b32_e32 v36, 3, v37
	s_mov_b32 s45, exec_lo
	v_cmpx_gt_u32_e32 8, v37
; %bb.286:                              ;   in Loop: Header=BB276_15 Depth=1
	s_delay_alu instid0(VALU_DEP_3) | instskip(NEXT) | instid1(VALU_DEP_1)
	v_clz_i32_u32_e32 v7, v7
	v_min_u32_e32 v7, 32, v7
	s_delay_alu instid0(VALU_DEP_1) | instskip(NEXT) | instid1(VALU_DEP_1)
	v_subrev_nc_u32_e32 v12, 28, v7
	v_lshlrev_b64_e32 v[38:39], v12, v[8:9]
	s_delay_alu instid0(VALU_DEP_1)
	v_dual_sub_nc_u32 v36, 29, v7 :: v_dual_bitop2_b32 v7, 7, v38 bitop3:0x40
; %bb.287:                              ;   in Loop: Header=BB276_15 Depth=1
	s_or_b32 exec_lo, exec_lo, s45
	s_delay_alu instid0(VALU_DEP_1) | instskip(NEXT) | instid1(VALU_DEP_2)
	v_dual_lshlrev_b32 v1, 8, v1 :: v_dual_lshlrev_b32 v7, 23, v7
	v_lshl_add_u32 v8, v36, 10, 0x2000
	s_delay_alu instid0(VALU_DEP_1) | instskip(NEXT) | instid1(VALU_DEP_1)
	v_and_or_b32 v1, 0x8000, v1, v8
	v_lshl_or_b32 v76, v1, 16, v7
.LBB276_288:                            ;   in Loop: Header=BB276_15 Depth=1
	s_or_b32 exec_lo, exec_lo, s44
.LBB276_289:                            ;   in Loop: Header=BB276_15 Depth=1
	s_delay_alu instid0(SALU_CYCLE_1)
	s_or_b32 exec_lo, exec_lo, s43
.LBB276_290:                            ;   in Loop: Header=BB276_15 Depth=1
	s_delay_alu instid0(SALU_CYCLE_1) | instskip(SKIP_2) | instid1(VALU_DEP_1)
	s_or_b32 exec_lo, exec_lo, s42
	v_lshrrev_b32_e32 v8, 16, v4
	s_mov_b32 s42, exec_lo
	v_and_b32_e32 v1, 0xff, v8
	s_delay_alu instid0(VALU_DEP_1)
	v_cmpx_ne_u16_e32 0, v1
	s_cbranch_execz .LBB276_298
; %bb.291:                              ;   in Loop: Header=BB276_15 Depth=1
	v_mov_b32_e32 v75, 0x8000
	s_mov_b32 s43, exec_lo
	v_cmpx_ne_u16_e32 0x80, v1
	s_cbranch_execz .LBB276_297
; %bb.292:                              ;   in Loop: Header=BB276_15 Depth=1
	v_bfe_u32 v36, v4, 16, 7
	v_mov_b32_e32 v75, 0x7c01
	s_mov_b32 s44, exec_lo
	s_delay_alu instid0(VALU_DEP_2)
	v_cmpx_ne_u32_e32 0x7f, v36
	s_cbranch_execz .LBB276_296
; %bb.293:                              ;   in Loop: Header=BB276_15 Depth=1
	v_and_b32_e32 v1, 7, v8
	v_lshrrev_b32_e32 v7, 3, v36
	s_mov_b32 s45, exec_lo
	v_cmpx_gt_u32_e32 8, v36
; %bb.294:                              ;   in Loop: Header=BB276_15 Depth=1
	s_delay_alu instid0(VALU_DEP_3) | instskip(NEXT) | instid1(VALU_DEP_1)
	v_clz_i32_u32_e32 v1, v1
	v_min_u32_e32 v1, 32, v1
	s_delay_alu instid0(VALU_DEP_1) | instskip(NEXT) | instid1(VALU_DEP_1)
	v_subrev_nc_u32_e32 v7, 28, v1
	v_lshlrev_b64_e32 v[36:37], v7, v[8:9]
	s_delay_alu instid0(VALU_DEP_1)
	v_dual_sub_nc_u32 v7, 29, v1 :: v_dual_bitop2_b32 v1, 7, v36 bitop3:0x40
; %bb.295:                              ;   in Loop: Header=BB276_15 Depth=1
	s_or_b32 exec_lo, exec_lo, s45
	s_delay_alu instid0(VALU_DEP_1) | instskip(NEXT) | instid1(VALU_DEP_2)
	v_dual_lshlrev_b32 v8, 8, v8 :: v_dual_lshlrev_b32 v1, 7, v1
	v_lshl_add_u32 v7, v7, 10, 0x2000
	s_delay_alu instid0(VALU_DEP_2) | instskip(NEXT) | instid1(VALU_DEP_2)
	v_and_b32_e32 v8, 0x8000, v8
	v_and_b32_e32 v7, 0xfc00, v7
	s_delay_alu instid0(VALU_DEP_1)
	v_or3_b32 v75, v8, v7, v1
.LBB276_296:                            ;   in Loop: Header=BB276_15 Depth=1
	s_or_b32 exec_lo, exec_lo, s44
.LBB276_297:                            ;   in Loop: Header=BB276_15 Depth=1
	s_delay_alu instid0(SALU_CYCLE_1)
	s_or_b32 exec_lo, exec_lo, s43
.LBB276_298:                            ;   in Loop: Header=BB276_15 Depth=1
	s_delay_alu instid0(SALU_CYCLE_1)
	s_or_b32 exec_lo, exec_lo, s42
	v_dual_mov_b32 v77, 0 :: v_dual_mov_b32 v78, 0
	s_mov_b32 s42, exec_lo
	v_cmpx_lt_u32_e32 0xffffff, v4
	s_cbranch_execz .LBB276_306
; %bb.299:                              ;   in Loop: Header=BB276_15 Depth=1
	v_lshrrev_b32_e32 v8, 24, v4
	v_bfrev_b32_e32 v78, 1
	s_mov_b32 s43, exec_lo
	s_delay_alu instid0(VALU_DEP_2)
	v_cmpx_ne_u32_e32 0x80, v8
	s_cbranch_execz .LBB276_305
; %bb.300:                              ;   in Loop: Header=BB276_15 Depth=1
	v_and_b32_e32 v36, 0x7f, v8
	v_mov_b32_e32 v78, 0x7c010000
	s_mov_b32 s44, exec_lo
	s_delay_alu instid0(VALU_DEP_2)
	v_cmpx_ne_u32_e32 0x7f, v36
	s_cbranch_execz .LBB276_304
; %bb.301:                              ;   in Loop: Header=BB276_15 Depth=1
	v_and_b32_e32 v1, 7, v8
	v_lshrrev_b32_e32 v7, 3, v36
	s_mov_b32 s45, exec_lo
	v_cmpx_gt_u32_e32 8, v36
; %bb.302:                              ;   in Loop: Header=BB276_15 Depth=1
	s_delay_alu instid0(VALU_DEP_3) | instskip(NEXT) | instid1(VALU_DEP_1)
	v_clz_i32_u32_e32 v1, v1
	v_min_u32_e32 v1, 32, v1
	s_delay_alu instid0(VALU_DEP_1) | instskip(NEXT) | instid1(VALU_DEP_1)
	v_subrev_nc_u32_e32 v7, 28, v1
	v_lshlrev_b64_e32 v[36:37], v7, v[8:9]
	s_delay_alu instid0(VALU_DEP_1)
	v_dual_sub_nc_u32 v7, 29, v1 :: v_dual_bitop2_b32 v1, 7, v36 bitop3:0x40
; %bb.303:                              ;   in Loop: Header=BB276_15 Depth=1
	s_or_b32 exec_lo, exec_lo, s45
	s_delay_alu instid0(VALU_DEP_1) | instskip(NEXT) | instid1(VALU_DEP_2)
	v_dual_lshlrev_b32 v8, 8, v8 :: v_dual_lshlrev_b32 v1, 23, v1
	v_lshl_add_u32 v7, v7, 10, 0x2000
	s_delay_alu instid0(VALU_DEP_1) | instskip(NEXT) | instid1(VALU_DEP_1)
	v_and_or_b32 v7, 0x8000, v8, v7
	v_lshl_or_b32 v78, v7, 16, v1
.LBB276_304:                            ;   in Loop: Header=BB276_15 Depth=1
	s_or_b32 exec_lo, exec_lo, s44
.LBB276_305:                            ;   in Loop: Header=BB276_15 Depth=1
	s_delay_alu instid0(SALU_CYCLE_1)
	s_or_b32 exec_lo, exec_lo, s43
.LBB276_306:                            ;   in Loop: Header=BB276_15 Depth=1
	s_delay_alu instid0(SALU_CYCLE_1) | instskip(SKIP_3) | instid1(VALU_DEP_2)
	s_or_b32 exec_lo, exec_lo, s42
	v_and_b32_e32 v1, 0xff, v5
	v_mov_b32_e32 v8, v5
	s_mov_b32 s42, exec_lo
	v_cmpx_ne_u16_e32 0, v1
	s_cbranch_execz .LBB276_314
; %bb.307:                              ;   in Loop: Header=BB276_15 Depth=1
	v_mov_b32_e32 v77, 0x8000
	s_mov_b32 s43, exec_lo
	v_cmpx_ne_u16_e32 0x80, v1
	s_cbranch_execz .LBB276_313
; %bb.308:                              ;   in Loop: Header=BB276_15 Depth=1
	v_and_b32_e32 v36, 0x7f, v5
	v_mov_b32_e32 v77, 0x7c01
	s_mov_b32 s44, exec_lo
	s_delay_alu instid0(VALU_DEP_2)
	v_cmpx_ne_u32_e32 0x7f, v36
	s_cbranch_execz .LBB276_312
; %bb.309:                              ;   in Loop: Header=BB276_15 Depth=1
	v_dual_lshrrev_b32 v7, 3, v36 :: v_dual_bitop2_b32 v1, 7, v5 bitop3:0x40
	s_mov_b32 s45, exec_lo
	v_cmpx_gt_u32_e32 8, v36
; %bb.310:                              ;   in Loop: Header=BB276_15 Depth=1
	s_delay_alu instid0(VALU_DEP_2) | instskip(NEXT) | instid1(VALU_DEP_1)
	v_clz_i32_u32_e32 v1, v1
	v_min_u32_e32 v1, 32, v1
	s_delay_alu instid0(VALU_DEP_1) | instskip(NEXT) | instid1(VALU_DEP_1)
	v_subrev_nc_u32_e32 v7, 28, v1
	v_lshlrev_b64_e32 v[36:37], v7, v[8:9]
	s_delay_alu instid0(VALU_DEP_1)
	v_dual_sub_nc_u32 v7, 29, v1 :: v_dual_bitop2_b32 v1, 7, v36 bitop3:0x40
; %bb.311:                              ;   in Loop: Header=BB276_15 Depth=1
	s_or_b32 exec_lo, exec_lo, s45
	v_lshlrev_b32_e32 v12, 8, v5
	s_delay_alu instid0(VALU_DEP_2) | instskip(NEXT) | instid1(VALU_DEP_3)
	v_lshl_add_u32 v7, v7, 10, 0x2000
	v_lshlrev_b32_e32 v1, 7, v1
	s_delay_alu instid0(VALU_DEP_3) | instskip(NEXT) | instid1(VALU_DEP_3)
	v_and_b32_e32 v12, 0x8000, v12
	v_and_b32_e32 v7, 0xfc00, v7
	s_delay_alu instid0(VALU_DEP_1)
	v_or3_b32 v77, v12, v7, v1
.LBB276_312:                            ;   in Loop: Header=BB276_15 Depth=1
	s_or_b32 exec_lo, exec_lo, s44
.LBB276_313:                            ;   in Loop: Header=BB276_15 Depth=1
	s_delay_alu instid0(SALU_CYCLE_1)
	s_or_b32 exec_lo, exec_lo, s43
.LBB276_314:                            ;   in Loop: Header=BB276_15 Depth=1
	s_delay_alu instid0(SALU_CYCLE_1) | instskip(SKIP_3) | instid1(VALU_DEP_2)
	s_or_b32 exec_lo, exec_lo, s42
	v_lshrrev_b16 v8, 8, v8
	v_dual_mov_b32 v80, 0 :: v_dual_mov_b32 v79, 0
	s_mov_b32 s42, exec_lo
	v_cmpx_ne_u16_e32 0, v8
	s_cbranch_execz .LBB276_322
; %bb.315:                              ;   in Loop: Header=BB276_15 Depth=1
	v_bfrev_b32_e32 v79, 1
	s_mov_b32 s43, exec_lo
	v_cmpx_ne_u16_e32 0x80, v8
	s_cbranch_execz .LBB276_321
; %bb.316:                              ;   in Loop: Header=BB276_15 Depth=1
	v_and_b32_e32 v1, 0xffff, v8
	v_mov_b32_e32 v79, 0x7c010000
	s_mov_b32 s44, exec_lo
	s_delay_alu instid0(VALU_DEP_2) | instskip(NEXT) | instid1(VALU_DEP_1)
	v_and_b32_e32 v37, 0x7f, v1
	v_cmpx_ne_u32_e32 0x7f, v37
	s_cbranch_execz .LBB276_320
; %bb.317:                              ;   in Loop: Header=BB276_15 Depth=1
	v_and_b32_e32 v7, 7, v1
	v_lshrrev_b32_e32 v36, 3, v37
	s_mov_b32 s45, exec_lo
	v_cmpx_gt_u32_e32 8, v37
; %bb.318:                              ;   in Loop: Header=BB276_15 Depth=1
	s_delay_alu instid0(VALU_DEP_3) | instskip(NEXT) | instid1(VALU_DEP_1)
	v_clz_i32_u32_e32 v7, v7
	v_min_u32_e32 v7, 32, v7
	s_delay_alu instid0(VALU_DEP_1) | instskip(NEXT) | instid1(VALU_DEP_1)
	v_subrev_nc_u32_e32 v12, 28, v7
	v_lshlrev_b64_e32 v[38:39], v12, v[8:9]
	s_delay_alu instid0(VALU_DEP_1)
	v_dual_sub_nc_u32 v36, 29, v7 :: v_dual_bitop2_b32 v7, 7, v38 bitop3:0x40
; %bb.319:                              ;   in Loop: Header=BB276_15 Depth=1
	s_or_b32 exec_lo, exec_lo, s45
	s_delay_alu instid0(VALU_DEP_1) | instskip(NEXT) | instid1(VALU_DEP_2)
	v_dual_lshlrev_b32 v1, 8, v1 :: v_dual_lshlrev_b32 v7, 23, v7
	v_lshl_add_u32 v8, v36, 10, 0x2000
	s_delay_alu instid0(VALU_DEP_1) | instskip(NEXT) | instid1(VALU_DEP_1)
	v_and_or_b32 v1, 0x8000, v1, v8
	v_lshl_or_b32 v79, v1, 16, v7
.LBB276_320:                            ;   in Loop: Header=BB276_15 Depth=1
	s_or_b32 exec_lo, exec_lo, s44
.LBB276_321:                            ;   in Loop: Header=BB276_15 Depth=1
	s_delay_alu instid0(SALU_CYCLE_1)
	s_or_b32 exec_lo, exec_lo, s43
.LBB276_322:                            ;   in Loop: Header=BB276_15 Depth=1
	s_delay_alu instid0(SALU_CYCLE_1) | instskip(SKIP_2) | instid1(VALU_DEP_1)
	s_or_b32 exec_lo, exec_lo, s42
	v_lshrrev_b32_e32 v8, 16, v5
	s_mov_b32 s42, exec_lo
	v_and_b32_e32 v1, 0xff, v8
	s_delay_alu instid0(VALU_DEP_1)
	v_cmpx_ne_u16_e32 0, v1
	s_cbranch_execz .LBB276_330
; %bb.323:                              ;   in Loop: Header=BB276_15 Depth=1
	v_mov_b32_e32 v80, 0x8000
	s_mov_b32 s43, exec_lo
	v_cmpx_ne_u16_e32 0x80, v1
	s_cbranch_execz .LBB276_329
; %bb.324:                              ;   in Loop: Header=BB276_15 Depth=1
	v_bfe_u32 v36, v5, 16, 7
	v_mov_b32_e32 v80, 0x7c01
	s_mov_b32 s44, exec_lo
	s_delay_alu instid0(VALU_DEP_2)
	v_cmpx_ne_u32_e32 0x7f, v36
	s_cbranch_execz .LBB276_328
; %bb.325:                              ;   in Loop: Header=BB276_15 Depth=1
	v_and_b32_e32 v1, 7, v8
	v_lshrrev_b32_e32 v7, 3, v36
	s_mov_b32 s45, exec_lo
	v_cmpx_gt_u32_e32 8, v36
; %bb.326:                              ;   in Loop: Header=BB276_15 Depth=1
	s_delay_alu instid0(VALU_DEP_3) | instskip(NEXT) | instid1(VALU_DEP_1)
	v_clz_i32_u32_e32 v1, v1
	v_min_u32_e32 v1, 32, v1
	s_delay_alu instid0(VALU_DEP_1) | instskip(NEXT) | instid1(VALU_DEP_1)
	v_subrev_nc_u32_e32 v7, 28, v1
	v_lshlrev_b64_e32 v[36:37], v7, v[8:9]
	s_delay_alu instid0(VALU_DEP_1)
	v_dual_sub_nc_u32 v7, 29, v1 :: v_dual_bitop2_b32 v1, 7, v36 bitop3:0x40
; %bb.327:                              ;   in Loop: Header=BB276_15 Depth=1
	s_or_b32 exec_lo, exec_lo, s45
	s_delay_alu instid0(VALU_DEP_1) | instskip(NEXT) | instid1(VALU_DEP_2)
	v_dual_lshlrev_b32 v8, 8, v8 :: v_dual_lshlrev_b32 v1, 7, v1
	v_lshl_add_u32 v7, v7, 10, 0x2000
	s_delay_alu instid0(VALU_DEP_2) | instskip(NEXT) | instid1(VALU_DEP_2)
	v_and_b32_e32 v8, 0x8000, v8
	v_and_b32_e32 v7, 0xfc00, v7
	s_delay_alu instid0(VALU_DEP_1)
	v_or3_b32 v80, v8, v7, v1
.LBB276_328:                            ;   in Loop: Header=BB276_15 Depth=1
	s_or_b32 exec_lo, exec_lo, s44
.LBB276_329:                            ;   in Loop: Header=BB276_15 Depth=1
	s_delay_alu instid0(SALU_CYCLE_1)
	s_or_b32 exec_lo, exec_lo, s43
.LBB276_330:                            ;   in Loop: Header=BB276_15 Depth=1
	s_delay_alu instid0(SALU_CYCLE_1)
	s_or_b32 exec_lo, exec_lo, s42
	v_dual_mov_b32 v81, 0 :: v_dual_mov_b32 v82, 0
	s_mov_b32 s42, exec_lo
	v_cmpx_lt_u64_e64 s[26:27], v[4:5]
	s_cbranch_execz .LBB276_338
; %bb.331:                              ;   in Loop: Header=BB276_15 Depth=1
	v_lshrrev_b32_e32 v8, 24, v5
	v_bfrev_b32_e32 v82, 1
	s_mov_b32 s43, exec_lo
	s_delay_alu instid0(VALU_DEP_2)
	v_cmpx_ne_u32_e32 0x80, v8
	s_cbranch_execz .LBB276_337
; %bb.332:                              ;   in Loop: Header=BB276_15 Depth=1
	v_and_b32_e32 v5, 0x7f, v8
	v_mov_b32_e32 v82, 0x7c010000
	s_mov_b32 s44, exec_lo
	s_delay_alu instid0(VALU_DEP_2)
	v_cmpx_ne_u32_e32 0x7f, v5
	s_cbranch_execz .LBB276_336
; %bb.333:                              ;   in Loop: Header=BB276_15 Depth=1
	v_dual_lshrrev_b32 v4, 3, v5 :: v_dual_bitop2_b32 v1, 7, v8 bitop3:0x40
	s_mov_b32 s45, exec_lo
	v_cmpx_gt_u32_e32 8, v5
; %bb.334:                              ;   in Loop: Header=BB276_15 Depth=1
	s_delay_alu instid0(VALU_DEP_2) | instskip(NEXT) | instid1(VALU_DEP_1)
	v_clz_i32_u32_e32 v1, v1
	v_min_u32_e32 v1, 32, v1
	s_delay_alu instid0(VALU_DEP_1) | instskip(NEXT) | instid1(VALU_DEP_1)
	v_subrev_nc_u32_e32 v4, 28, v1
	v_lshlrev_b64_e32 v[36:37], v4, v[8:9]
	s_delay_alu instid0(VALU_DEP_1)
	v_dual_sub_nc_u32 v4, 29, v1 :: v_dual_bitop2_b32 v1, 7, v36 bitop3:0x40
; %bb.335:                              ;   in Loop: Header=BB276_15 Depth=1
	s_or_b32 exec_lo, exec_lo, s45
	s_delay_alu instid0(VALU_DEP_1) | instskip(NEXT) | instid1(VALU_DEP_2)
	v_dual_lshlrev_b32 v5, 8, v8 :: v_dual_lshlrev_b32 v1, 23, v1
	v_lshl_add_u32 v4, v4, 10, 0x2000
	s_delay_alu instid0(VALU_DEP_1) | instskip(NEXT) | instid1(VALU_DEP_1)
	v_and_or_b32 v4, 0x8000, v5, v4
	v_lshl_or_b32 v82, v4, 16, v1
.LBB276_336:                            ;   in Loop: Header=BB276_15 Depth=1
	s_or_b32 exec_lo, exec_lo, s44
.LBB276_337:                            ;   in Loop: Header=BB276_15 Depth=1
	s_delay_alu instid0(SALU_CYCLE_1)
	s_or_b32 exec_lo, exec_lo, s43
.LBB276_338:                            ;   in Loop: Header=BB276_15 Depth=1
	s_delay_alu instid0(SALU_CYCLE_1)
	s_or_b32 exec_lo, exec_lo, s42
	global_load_b64 v[4:5], v[2:3], off offset:1032
	s_mov_b32 s42, exec_lo
	s_wait_loadcnt 0x0
	v_and_b32_e32 v1, 0xff, v4
	s_wait_xcnt 0x0
	s_delay_alu instid0(VALU_DEP_1)
	v_cmpx_ne_u16_e32 0, v1
	s_cbranch_execz .LBB276_346
; %bb.339:                              ;   in Loop: Header=BB276_15 Depth=1
	v_mov_b32_e32 v81, 0x8000
	s_mov_b32 s43, exec_lo
	v_cmpx_ne_u16_e32 0x80, v1
	s_cbranch_execz .LBB276_345
; %bb.340:                              ;   in Loop: Header=BB276_15 Depth=1
	v_and_b32_e32 v8, 0x7f, v4
	v_mov_b32_e32 v81, 0x7c01
	s_mov_b32 s44, exec_lo
	s_delay_alu instid0(VALU_DEP_2)
	v_cmpx_ne_u32_e32 0x7f, v8
	s_cbranch_execz .LBB276_344
; %bb.341:                              ;   in Loop: Header=BB276_15 Depth=1
	v_and_b32_e32 v1, 7, v4
	v_lshrrev_b32_e32 v7, 3, v8
	s_mov_b32 s45, exec_lo
	v_cmpx_gt_u32_e32 8, v8
; %bb.342:                              ;   in Loop: Header=BB276_15 Depth=1
	s_delay_alu instid0(VALU_DEP_3) | instskip(NEXT) | instid1(VALU_DEP_1)
	v_clz_i32_u32_e32 v1, v1
	v_min_u32_e32 v1, 32, v1
	s_delay_alu instid0(VALU_DEP_1) | instskip(NEXT) | instid1(VALU_DEP_1)
	v_subrev_nc_u32_e32 v7, 28, v1
	v_lshlrev_b64_e32 v[36:37], v7, v[4:5]
	s_delay_alu instid0(VALU_DEP_1)
	v_dual_sub_nc_u32 v7, 29, v1 :: v_dual_bitop2_b32 v1, 7, v36 bitop3:0x40
; %bb.343:                              ;   in Loop: Header=BB276_15 Depth=1
	s_or_b32 exec_lo, exec_lo, s45
	s_delay_alu instid0(VALU_DEP_1) | instskip(NEXT) | instid1(VALU_DEP_2)
	v_dual_lshlrev_b32 v8, 8, v4 :: v_dual_lshlrev_b32 v1, 7, v1
	v_lshl_add_u32 v7, v7, 10, 0x2000
	s_delay_alu instid0(VALU_DEP_2) | instskip(NEXT) | instid1(VALU_DEP_2)
	v_and_b32_e32 v8, 0x8000, v8
	v_and_b32_e32 v7, 0xfc00, v7
	s_delay_alu instid0(VALU_DEP_1)
	v_or3_b32 v81, v8, v7, v1
.LBB276_344:                            ;   in Loop: Header=BB276_15 Depth=1
	s_or_b32 exec_lo, exec_lo, s44
.LBB276_345:                            ;   in Loop: Header=BB276_15 Depth=1
	s_delay_alu instid0(SALU_CYCLE_1)
	s_or_b32 exec_lo, exec_lo, s43
.LBB276_346:                            ;   in Loop: Header=BB276_15 Depth=1
	s_delay_alu instid0(SALU_CYCLE_1) | instskip(SKIP_3) | instid1(VALU_DEP_2)
	s_or_b32 exec_lo, exec_lo, s42
	v_lshrrev_b16 v8, 8, v4
	v_dual_mov_b32 v83, 0 :: v_dual_mov_b32 v84, 0
	s_mov_b32 s42, exec_lo
	v_cmpx_ne_u16_e32 0, v8
	s_cbranch_execz .LBB276_354
; %bb.347:                              ;   in Loop: Header=BB276_15 Depth=1
	v_bfrev_b32_e32 v84, 1
	s_mov_b32 s43, exec_lo
	v_cmpx_ne_u16_e32 0x80, v8
	s_cbranch_execz .LBB276_353
; %bb.348:                              ;   in Loop: Header=BB276_15 Depth=1
	v_and_b32_e32 v1, 0xffff, v8
	v_mov_b32_e32 v84, 0x7c010000
	s_mov_b32 s44, exec_lo
	s_delay_alu instid0(VALU_DEP_2) | instskip(NEXT) | instid1(VALU_DEP_1)
	v_and_b32_e32 v37, 0x7f, v1
	v_cmpx_ne_u32_e32 0x7f, v37
	s_cbranch_execz .LBB276_352
; %bb.349:                              ;   in Loop: Header=BB276_15 Depth=1
	v_and_b32_e32 v7, 7, v1
	v_lshrrev_b32_e32 v36, 3, v37
	s_mov_b32 s45, exec_lo
	v_cmpx_gt_u32_e32 8, v37
; %bb.350:                              ;   in Loop: Header=BB276_15 Depth=1
	s_delay_alu instid0(VALU_DEP_3) | instskip(NEXT) | instid1(VALU_DEP_1)
	v_clz_i32_u32_e32 v7, v7
	v_min_u32_e32 v7, 32, v7
	s_delay_alu instid0(VALU_DEP_1) | instskip(NEXT) | instid1(VALU_DEP_1)
	v_subrev_nc_u32_e32 v12, 28, v7
	v_lshlrev_b64_e32 v[38:39], v12, v[8:9]
	s_delay_alu instid0(VALU_DEP_1)
	v_dual_sub_nc_u32 v36, 29, v7 :: v_dual_bitop2_b32 v7, 7, v38 bitop3:0x40
; %bb.351:                              ;   in Loop: Header=BB276_15 Depth=1
	s_or_b32 exec_lo, exec_lo, s45
	s_delay_alu instid0(VALU_DEP_1) | instskip(NEXT) | instid1(VALU_DEP_2)
	v_dual_lshlrev_b32 v1, 8, v1 :: v_dual_lshlrev_b32 v7, 23, v7
	v_lshl_add_u32 v8, v36, 10, 0x2000
	s_delay_alu instid0(VALU_DEP_1) | instskip(NEXT) | instid1(VALU_DEP_1)
	v_and_or_b32 v1, 0x8000, v1, v8
	v_lshl_or_b32 v84, v1, 16, v7
.LBB276_352:                            ;   in Loop: Header=BB276_15 Depth=1
	s_or_b32 exec_lo, exec_lo, s44
.LBB276_353:                            ;   in Loop: Header=BB276_15 Depth=1
	s_delay_alu instid0(SALU_CYCLE_1)
	s_or_b32 exec_lo, exec_lo, s43
.LBB276_354:                            ;   in Loop: Header=BB276_15 Depth=1
	s_delay_alu instid0(SALU_CYCLE_1) | instskip(SKIP_2) | instid1(VALU_DEP_1)
	s_or_b32 exec_lo, exec_lo, s42
	v_lshrrev_b32_e32 v8, 16, v4
	s_mov_b32 s42, exec_lo
	v_and_b32_e32 v1, 0xff, v8
	s_delay_alu instid0(VALU_DEP_1)
	v_cmpx_ne_u16_e32 0, v1
	s_cbranch_execz .LBB276_362
; %bb.355:                              ;   in Loop: Header=BB276_15 Depth=1
	v_mov_b32_e32 v83, 0x8000
	s_mov_b32 s43, exec_lo
	v_cmpx_ne_u16_e32 0x80, v1
	s_cbranch_execz .LBB276_361
; %bb.356:                              ;   in Loop: Header=BB276_15 Depth=1
	v_bfe_u32 v36, v4, 16, 7
	v_mov_b32_e32 v83, 0x7c01
	s_mov_b32 s44, exec_lo
	s_delay_alu instid0(VALU_DEP_2)
	v_cmpx_ne_u32_e32 0x7f, v36
	s_cbranch_execz .LBB276_360
; %bb.357:                              ;   in Loop: Header=BB276_15 Depth=1
	v_and_b32_e32 v1, 7, v8
	v_lshrrev_b32_e32 v7, 3, v36
	s_mov_b32 s45, exec_lo
	v_cmpx_gt_u32_e32 8, v36
; %bb.358:                              ;   in Loop: Header=BB276_15 Depth=1
	s_delay_alu instid0(VALU_DEP_3) | instskip(NEXT) | instid1(VALU_DEP_1)
	v_clz_i32_u32_e32 v1, v1
	v_min_u32_e32 v1, 32, v1
	s_delay_alu instid0(VALU_DEP_1) | instskip(NEXT) | instid1(VALU_DEP_1)
	v_subrev_nc_u32_e32 v7, 28, v1
	v_lshlrev_b64_e32 v[36:37], v7, v[8:9]
	s_delay_alu instid0(VALU_DEP_1)
	v_dual_sub_nc_u32 v7, 29, v1 :: v_dual_bitop2_b32 v1, 7, v36 bitop3:0x40
; %bb.359:                              ;   in Loop: Header=BB276_15 Depth=1
	s_or_b32 exec_lo, exec_lo, s45
	s_delay_alu instid0(VALU_DEP_1) | instskip(NEXT) | instid1(VALU_DEP_2)
	v_dual_lshlrev_b32 v8, 8, v8 :: v_dual_lshlrev_b32 v1, 7, v1
	v_lshl_add_u32 v7, v7, 10, 0x2000
	s_delay_alu instid0(VALU_DEP_2) | instskip(NEXT) | instid1(VALU_DEP_2)
	v_and_b32_e32 v8, 0x8000, v8
	v_and_b32_e32 v7, 0xfc00, v7
	s_delay_alu instid0(VALU_DEP_1)
	v_or3_b32 v83, v8, v7, v1
.LBB276_360:                            ;   in Loop: Header=BB276_15 Depth=1
	s_or_b32 exec_lo, exec_lo, s44
.LBB276_361:                            ;   in Loop: Header=BB276_15 Depth=1
	s_delay_alu instid0(SALU_CYCLE_1)
	s_or_b32 exec_lo, exec_lo, s43
.LBB276_362:                            ;   in Loop: Header=BB276_15 Depth=1
	s_delay_alu instid0(SALU_CYCLE_1)
	s_or_b32 exec_lo, exec_lo, s42
	v_dual_mov_b32 v85, 0 :: v_dual_mov_b32 v86, 0
	s_mov_b32 s42, exec_lo
	v_cmpx_lt_u32_e32 0xffffff, v4
	s_cbranch_execz .LBB276_370
; %bb.363:                              ;   in Loop: Header=BB276_15 Depth=1
	v_lshrrev_b32_e32 v8, 24, v4
	v_bfrev_b32_e32 v86, 1
	s_mov_b32 s43, exec_lo
	s_delay_alu instid0(VALU_DEP_2)
	v_cmpx_ne_u32_e32 0x80, v8
	s_cbranch_execz .LBB276_369
; %bb.364:                              ;   in Loop: Header=BB276_15 Depth=1
	v_and_b32_e32 v36, 0x7f, v8
	v_mov_b32_e32 v86, 0x7c010000
	s_mov_b32 s44, exec_lo
	s_delay_alu instid0(VALU_DEP_2)
	v_cmpx_ne_u32_e32 0x7f, v36
	s_cbranch_execz .LBB276_368
; %bb.365:                              ;   in Loop: Header=BB276_15 Depth=1
	v_and_b32_e32 v1, 7, v8
	v_lshrrev_b32_e32 v7, 3, v36
	s_mov_b32 s45, exec_lo
	v_cmpx_gt_u32_e32 8, v36
; %bb.366:                              ;   in Loop: Header=BB276_15 Depth=1
	s_delay_alu instid0(VALU_DEP_3) | instskip(NEXT) | instid1(VALU_DEP_1)
	v_clz_i32_u32_e32 v1, v1
	v_min_u32_e32 v1, 32, v1
	s_delay_alu instid0(VALU_DEP_1) | instskip(NEXT) | instid1(VALU_DEP_1)
	v_subrev_nc_u32_e32 v7, 28, v1
	v_lshlrev_b64_e32 v[36:37], v7, v[8:9]
	s_delay_alu instid0(VALU_DEP_1)
	v_dual_sub_nc_u32 v7, 29, v1 :: v_dual_bitop2_b32 v1, 7, v36 bitop3:0x40
; %bb.367:                              ;   in Loop: Header=BB276_15 Depth=1
	s_or_b32 exec_lo, exec_lo, s45
	s_delay_alu instid0(VALU_DEP_1) | instskip(NEXT) | instid1(VALU_DEP_2)
	v_dual_lshlrev_b32 v8, 8, v8 :: v_dual_lshlrev_b32 v1, 23, v1
	v_lshl_add_u32 v7, v7, 10, 0x2000
	s_delay_alu instid0(VALU_DEP_1) | instskip(NEXT) | instid1(VALU_DEP_1)
	v_and_or_b32 v7, 0x8000, v8, v7
	v_lshl_or_b32 v86, v7, 16, v1
.LBB276_368:                            ;   in Loop: Header=BB276_15 Depth=1
	s_or_b32 exec_lo, exec_lo, s44
.LBB276_369:                            ;   in Loop: Header=BB276_15 Depth=1
	s_delay_alu instid0(SALU_CYCLE_1)
	s_or_b32 exec_lo, exec_lo, s43
.LBB276_370:                            ;   in Loop: Header=BB276_15 Depth=1
	s_delay_alu instid0(SALU_CYCLE_1) | instskip(SKIP_3) | instid1(VALU_DEP_2)
	s_or_b32 exec_lo, exec_lo, s42
	v_and_b32_e32 v1, 0xff, v5
	v_mov_b32_e32 v8, v5
	s_mov_b32 s42, exec_lo
	v_cmpx_ne_u16_e32 0, v1
	s_cbranch_execz .LBB276_378
; %bb.371:                              ;   in Loop: Header=BB276_15 Depth=1
	v_mov_b32_e32 v85, 0x8000
	s_mov_b32 s43, exec_lo
	v_cmpx_ne_u16_e32 0x80, v1
	s_cbranch_execz .LBB276_377
; %bb.372:                              ;   in Loop: Header=BB276_15 Depth=1
	v_and_b32_e32 v36, 0x7f, v5
	v_mov_b32_e32 v85, 0x7c01
	s_mov_b32 s44, exec_lo
	s_delay_alu instid0(VALU_DEP_2)
	v_cmpx_ne_u32_e32 0x7f, v36
	s_cbranch_execz .LBB276_376
; %bb.373:                              ;   in Loop: Header=BB276_15 Depth=1
	v_dual_lshrrev_b32 v7, 3, v36 :: v_dual_bitop2_b32 v1, 7, v5 bitop3:0x40
	s_mov_b32 s45, exec_lo
	v_cmpx_gt_u32_e32 8, v36
; %bb.374:                              ;   in Loop: Header=BB276_15 Depth=1
	s_delay_alu instid0(VALU_DEP_2) | instskip(NEXT) | instid1(VALU_DEP_1)
	v_clz_i32_u32_e32 v1, v1
	v_min_u32_e32 v1, 32, v1
	s_delay_alu instid0(VALU_DEP_1) | instskip(NEXT) | instid1(VALU_DEP_1)
	v_subrev_nc_u32_e32 v7, 28, v1
	v_lshlrev_b64_e32 v[36:37], v7, v[8:9]
	s_delay_alu instid0(VALU_DEP_1)
	v_dual_sub_nc_u32 v7, 29, v1 :: v_dual_bitop2_b32 v1, 7, v36 bitop3:0x40
; %bb.375:                              ;   in Loop: Header=BB276_15 Depth=1
	s_or_b32 exec_lo, exec_lo, s45
	v_lshlrev_b32_e32 v12, 8, v5
	s_delay_alu instid0(VALU_DEP_2) | instskip(NEXT) | instid1(VALU_DEP_3)
	v_lshl_add_u32 v7, v7, 10, 0x2000
	v_lshlrev_b32_e32 v1, 7, v1
	s_delay_alu instid0(VALU_DEP_3) | instskip(NEXT) | instid1(VALU_DEP_3)
	v_and_b32_e32 v12, 0x8000, v12
	v_and_b32_e32 v7, 0xfc00, v7
	s_delay_alu instid0(VALU_DEP_1)
	v_or3_b32 v85, v12, v7, v1
.LBB276_376:                            ;   in Loop: Header=BB276_15 Depth=1
	s_or_b32 exec_lo, exec_lo, s44
.LBB276_377:                            ;   in Loop: Header=BB276_15 Depth=1
	s_delay_alu instid0(SALU_CYCLE_1)
	s_or_b32 exec_lo, exec_lo, s43
.LBB276_378:                            ;   in Loop: Header=BB276_15 Depth=1
	s_delay_alu instid0(SALU_CYCLE_1) | instskip(SKIP_3) | instid1(VALU_DEP_2)
	s_or_b32 exec_lo, exec_lo, s42
	v_lshrrev_b16 v8, 8, v8
	v_dual_mov_b32 v89, 0 :: v_dual_mov_b32 v88, 0
	s_mov_b32 s42, exec_lo
	v_cmpx_ne_u16_e32 0, v8
	s_cbranch_execz .LBB276_386
; %bb.379:                              ;   in Loop: Header=BB276_15 Depth=1
	v_bfrev_b32_e32 v88, 1
	s_mov_b32 s43, exec_lo
	v_cmpx_ne_u16_e32 0x80, v8
	s_cbranch_execz .LBB276_385
; %bb.380:                              ;   in Loop: Header=BB276_15 Depth=1
	v_and_b32_e32 v1, 0xffff, v8
	v_mov_b32_e32 v88, 0x7c010000
	s_mov_b32 s44, exec_lo
	s_delay_alu instid0(VALU_DEP_2) | instskip(NEXT) | instid1(VALU_DEP_1)
	v_and_b32_e32 v37, 0x7f, v1
	v_cmpx_ne_u32_e32 0x7f, v37
	s_cbranch_execz .LBB276_384
; %bb.381:                              ;   in Loop: Header=BB276_15 Depth=1
	v_and_b32_e32 v7, 7, v1
	v_lshrrev_b32_e32 v36, 3, v37
	s_mov_b32 s45, exec_lo
	v_cmpx_gt_u32_e32 8, v37
; %bb.382:                              ;   in Loop: Header=BB276_15 Depth=1
	s_delay_alu instid0(VALU_DEP_3) | instskip(NEXT) | instid1(VALU_DEP_1)
	v_clz_i32_u32_e32 v7, v7
	v_min_u32_e32 v7, 32, v7
	s_delay_alu instid0(VALU_DEP_1) | instskip(NEXT) | instid1(VALU_DEP_1)
	v_subrev_nc_u32_e32 v12, 28, v7
	v_lshlrev_b64_e32 v[38:39], v12, v[8:9]
	s_delay_alu instid0(VALU_DEP_1)
	v_dual_sub_nc_u32 v36, 29, v7 :: v_dual_bitop2_b32 v7, 7, v38 bitop3:0x40
; %bb.383:                              ;   in Loop: Header=BB276_15 Depth=1
	s_or_b32 exec_lo, exec_lo, s45
	s_delay_alu instid0(VALU_DEP_1) | instskip(NEXT) | instid1(VALU_DEP_2)
	v_dual_lshlrev_b32 v1, 8, v1 :: v_dual_lshlrev_b32 v7, 23, v7
	v_lshl_add_u32 v8, v36, 10, 0x2000
	s_delay_alu instid0(VALU_DEP_1) | instskip(NEXT) | instid1(VALU_DEP_1)
	v_and_or_b32 v1, 0x8000, v1, v8
	v_lshl_or_b32 v88, v1, 16, v7
.LBB276_384:                            ;   in Loop: Header=BB276_15 Depth=1
	s_or_b32 exec_lo, exec_lo, s44
.LBB276_385:                            ;   in Loop: Header=BB276_15 Depth=1
	s_delay_alu instid0(SALU_CYCLE_1)
	s_or_b32 exec_lo, exec_lo, s43
.LBB276_386:                            ;   in Loop: Header=BB276_15 Depth=1
	s_delay_alu instid0(SALU_CYCLE_1) | instskip(SKIP_2) | instid1(VALU_DEP_1)
	s_or_b32 exec_lo, exec_lo, s42
	v_lshrrev_b32_e32 v8, 16, v5
	s_mov_b32 s42, exec_lo
	v_and_b32_e32 v1, 0xff, v8
	s_delay_alu instid0(VALU_DEP_1)
	v_cmpx_ne_u16_e32 0, v1
	s_cbranch_execz .LBB276_394
; %bb.387:                              ;   in Loop: Header=BB276_15 Depth=1
	v_mov_b32_e32 v89, 0x8000
	s_mov_b32 s43, exec_lo
	v_cmpx_ne_u16_e32 0x80, v1
	s_cbranch_execz .LBB276_393
; %bb.388:                              ;   in Loop: Header=BB276_15 Depth=1
	v_bfe_u32 v36, v5, 16, 7
	v_mov_b32_e32 v89, 0x7c01
	s_mov_b32 s44, exec_lo
	s_delay_alu instid0(VALU_DEP_2)
	v_cmpx_ne_u32_e32 0x7f, v36
	s_cbranch_execz .LBB276_392
; %bb.389:                              ;   in Loop: Header=BB276_15 Depth=1
	v_and_b32_e32 v1, 7, v8
	v_lshrrev_b32_e32 v7, 3, v36
	s_mov_b32 s45, exec_lo
	v_cmpx_gt_u32_e32 8, v36
; %bb.390:                              ;   in Loop: Header=BB276_15 Depth=1
	s_delay_alu instid0(VALU_DEP_3) | instskip(NEXT) | instid1(VALU_DEP_1)
	v_clz_i32_u32_e32 v1, v1
	v_min_u32_e32 v1, 32, v1
	s_delay_alu instid0(VALU_DEP_1) | instskip(NEXT) | instid1(VALU_DEP_1)
	v_subrev_nc_u32_e32 v7, 28, v1
	v_lshlrev_b64_e32 v[36:37], v7, v[8:9]
	s_delay_alu instid0(VALU_DEP_1)
	v_dual_sub_nc_u32 v7, 29, v1 :: v_dual_bitop2_b32 v1, 7, v36 bitop3:0x40
; %bb.391:                              ;   in Loop: Header=BB276_15 Depth=1
	s_or_b32 exec_lo, exec_lo, s45
	s_delay_alu instid0(VALU_DEP_1) | instskip(NEXT) | instid1(VALU_DEP_2)
	v_dual_lshlrev_b32 v8, 8, v8 :: v_dual_lshlrev_b32 v1, 7, v1
	v_lshl_add_u32 v7, v7, 10, 0x2000
	s_delay_alu instid0(VALU_DEP_2) | instskip(NEXT) | instid1(VALU_DEP_2)
	v_and_b32_e32 v8, 0x8000, v8
	v_and_b32_e32 v7, 0xfc00, v7
	s_delay_alu instid0(VALU_DEP_1)
	v_or3_b32 v89, v8, v7, v1
.LBB276_392:                            ;   in Loop: Header=BB276_15 Depth=1
	s_or_b32 exec_lo, exec_lo, s44
.LBB276_393:                            ;   in Loop: Header=BB276_15 Depth=1
	s_delay_alu instid0(SALU_CYCLE_1)
	s_or_b32 exec_lo, exec_lo, s43
.LBB276_394:                            ;   in Loop: Header=BB276_15 Depth=1
	s_delay_alu instid0(SALU_CYCLE_1)
	s_or_b32 exec_lo, exec_lo, s42
	v_dual_mov_b32 v109, 0 :: v_dual_mov_b32 v91, 0
	s_mov_b32 s42, exec_lo
	v_cmpx_lt_u64_e64 s[26:27], v[4:5]
	s_cbranch_execz .LBB276_402
; %bb.395:                              ;   in Loop: Header=BB276_15 Depth=1
	v_lshrrev_b32_e32 v8, 24, v5
	v_bfrev_b32_e32 v91, 1
	s_mov_b32 s43, exec_lo
	s_delay_alu instid0(VALU_DEP_2)
	v_cmpx_ne_u32_e32 0x80, v8
	s_cbranch_execz .LBB276_401
; %bb.396:                              ;   in Loop: Header=BB276_15 Depth=1
	v_and_b32_e32 v5, 0x7f, v8
	v_mov_b32_e32 v91, 0x7c010000
	s_mov_b32 s44, exec_lo
	s_delay_alu instid0(VALU_DEP_2)
	v_cmpx_ne_u32_e32 0x7f, v5
	s_cbranch_execz .LBB276_400
; %bb.397:                              ;   in Loop: Header=BB276_15 Depth=1
	v_dual_lshrrev_b32 v4, 3, v5 :: v_dual_bitop2_b32 v1, 7, v8 bitop3:0x40
	s_mov_b32 s45, exec_lo
	v_cmpx_gt_u32_e32 8, v5
; %bb.398:                              ;   in Loop: Header=BB276_15 Depth=1
	s_delay_alu instid0(VALU_DEP_2) | instskip(NEXT) | instid1(VALU_DEP_1)
	v_clz_i32_u32_e32 v1, v1
	v_min_u32_e32 v1, 32, v1
	s_delay_alu instid0(VALU_DEP_1) | instskip(NEXT) | instid1(VALU_DEP_1)
	v_subrev_nc_u32_e32 v4, 28, v1
	v_lshlrev_b64_e32 v[36:37], v4, v[8:9]
	s_delay_alu instid0(VALU_DEP_1)
	v_dual_sub_nc_u32 v4, 29, v1 :: v_dual_bitop2_b32 v1, 7, v36 bitop3:0x40
; %bb.399:                              ;   in Loop: Header=BB276_15 Depth=1
	s_or_b32 exec_lo, exec_lo, s45
	s_delay_alu instid0(VALU_DEP_1) | instskip(NEXT) | instid1(VALU_DEP_2)
	v_dual_lshlrev_b32 v5, 8, v8 :: v_dual_lshlrev_b32 v1, 23, v1
	v_lshl_add_u32 v4, v4, 10, 0x2000
	s_delay_alu instid0(VALU_DEP_1) | instskip(NEXT) | instid1(VALU_DEP_1)
	v_and_or_b32 v4, 0x8000, v5, v4
	v_lshl_or_b32 v91, v4, 16, v1
.LBB276_400:                            ;   in Loop: Header=BB276_15 Depth=1
	s_or_b32 exec_lo, exec_lo, s44
.LBB276_401:                            ;   in Loop: Header=BB276_15 Depth=1
	s_delay_alu instid0(SALU_CYCLE_1)
	s_or_b32 exec_lo, exec_lo, s43
.LBB276_402:                            ;   in Loop: Header=BB276_15 Depth=1
	s_delay_alu instid0(SALU_CYCLE_1)
	s_or_b32 exec_lo, exec_lo, s42
	global_load_b64 v[4:5], v[2:3], off offset:1536
	s_mov_b32 s42, exec_lo
	s_wait_loadcnt 0x0
	v_and_b32_e32 v1, 0xff, v4
	s_wait_xcnt 0x0
	s_delay_alu instid0(VALU_DEP_1)
	v_cmpx_ne_u16_e32 0, v1
	s_cbranch_execz .LBB276_410
; %bb.403:                              ;   in Loop: Header=BB276_15 Depth=1
	v_mov_b32_e32 v109, 0x8000
	s_mov_b32 s43, exec_lo
	v_cmpx_ne_u16_e32 0x80, v1
	s_cbranch_execz .LBB276_409
; %bb.404:                              ;   in Loop: Header=BB276_15 Depth=1
	v_and_b32_e32 v8, 0x7f, v4
	v_mov_b32_e32 v109, 0x7c01
	s_mov_b32 s44, exec_lo
	s_delay_alu instid0(VALU_DEP_2)
	v_cmpx_ne_u32_e32 0x7f, v8
	s_cbranch_execz .LBB276_408
; %bb.405:                              ;   in Loop: Header=BB276_15 Depth=1
	v_and_b32_e32 v1, 7, v4
	v_lshrrev_b32_e32 v7, 3, v8
	s_mov_b32 s45, exec_lo
	v_cmpx_gt_u32_e32 8, v8
; %bb.406:                              ;   in Loop: Header=BB276_15 Depth=1
	s_delay_alu instid0(VALU_DEP_3) | instskip(NEXT) | instid1(VALU_DEP_1)
	v_clz_i32_u32_e32 v1, v1
	v_min_u32_e32 v1, 32, v1
	s_delay_alu instid0(VALU_DEP_1) | instskip(NEXT) | instid1(VALU_DEP_1)
	v_subrev_nc_u32_e32 v7, 28, v1
	v_lshlrev_b64_e32 v[36:37], v7, v[4:5]
	s_delay_alu instid0(VALU_DEP_1)
	v_dual_sub_nc_u32 v7, 29, v1 :: v_dual_bitop2_b32 v1, 7, v36 bitop3:0x40
; %bb.407:                              ;   in Loop: Header=BB276_15 Depth=1
	s_or_b32 exec_lo, exec_lo, s45
	s_delay_alu instid0(VALU_DEP_1) | instskip(NEXT) | instid1(VALU_DEP_2)
	v_dual_lshlrev_b32 v8, 8, v4 :: v_dual_lshlrev_b32 v1, 7, v1
	v_lshl_add_u32 v7, v7, 10, 0x2000
	s_delay_alu instid0(VALU_DEP_2) | instskip(NEXT) | instid1(VALU_DEP_2)
	v_and_b32_e32 v8, 0x8000, v8
	v_and_b32_e32 v7, 0xfc00, v7
	s_delay_alu instid0(VALU_DEP_1)
	v_or3_b32 v109, v8, v7, v1
.LBB276_408:                            ;   in Loop: Header=BB276_15 Depth=1
	s_or_b32 exec_lo, exec_lo, s44
.LBB276_409:                            ;   in Loop: Header=BB276_15 Depth=1
	s_delay_alu instid0(SALU_CYCLE_1)
	s_or_b32 exec_lo, exec_lo, s43
.LBB276_410:                            ;   in Loop: Header=BB276_15 Depth=1
	s_delay_alu instid0(SALU_CYCLE_1) | instskip(SKIP_3) | instid1(VALU_DEP_2)
	s_or_b32 exec_lo, exec_lo, s42
	v_lshrrev_b16 v8, 8, v4
	v_dual_mov_b32 v92, 0 :: v_dual_mov_b32 v93, 0
	s_mov_b32 s42, exec_lo
	v_cmpx_ne_u16_e32 0, v8
	s_cbranch_execz .LBB276_418
; %bb.411:                              ;   in Loop: Header=BB276_15 Depth=1
	v_bfrev_b32_e32 v93, 1
	s_mov_b32 s43, exec_lo
	v_cmpx_ne_u16_e32 0x80, v8
	s_cbranch_execz .LBB276_417
; %bb.412:                              ;   in Loop: Header=BB276_15 Depth=1
	v_and_b32_e32 v1, 0xffff, v8
	v_mov_b32_e32 v93, 0x7c010000
	s_mov_b32 s44, exec_lo
	s_delay_alu instid0(VALU_DEP_2) | instskip(NEXT) | instid1(VALU_DEP_1)
	v_and_b32_e32 v37, 0x7f, v1
	v_cmpx_ne_u32_e32 0x7f, v37
	s_cbranch_execz .LBB276_416
; %bb.413:                              ;   in Loop: Header=BB276_15 Depth=1
	v_and_b32_e32 v7, 7, v1
	v_lshrrev_b32_e32 v36, 3, v37
	s_mov_b32 s45, exec_lo
	v_cmpx_gt_u32_e32 8, v37
; %bb.414:                              ;   in Loop: Header=BB276_15 Depth=1
	s_delay_alu instid0(VALU_DEP_3) | instskip(NEXT) | instid1(VALU_DEP_1)
	v_clz_i32_u32_e32 v7, v7
	v_min_u32_e32 v7, 32, v7
	s_delay_alu instid0(VALU_DEP_1) | instskip(NEXT) | instid1(VALU_DEP_1)
	v_subrev_nc_u32_e32 v12, 28, v7
	v_lshlrev_b64_e32 v[38:39], v12, v[8:9]
	s_delay_alu instid0(VALU_DEP_1)
	v_dual_sub_nc_u32 v36, 29, v7 :: v_dual_bitop2_b32 v7, 7, v38 bitop3:0x40
; %bb.415:                              ;   in Loop: Header=BB276_15 Depth=1
	s_or_b32 exec_lo, exec_lo, s45
	s_delay_alu instid0(VALU_DEP_1) | instskip(NEXT) | instid1(VALU_DEP_2)
	v_dual_lshlrev_b32 v1, 8, v1 :: v_dual_lshlrev_b32 v7, 23, v7
	v_lshl_add_u32 v8, v36, 10, 0x2000
	s_delay_alu instid0(VALU_DEP_1) | instskip(NEXT) | instid1(VALU_DEP_1)
	v_and_or_b32 v1, 0x8000, v1, v8
	v_lshl_or_b32 v93, v1, 16, v7
.LBB276_416:                            ;   in Loop: Header=BB276_15 Depth=1
	s_or_b32 exec_lo, exec_lo, s44
.LBB276_417:                            ;   in Loop: Header=BB276_15 Depth=1
	s_delay_alu instid0(SALU_CYCLE_1)
	s_or_b32 exec_lo, exec_lo, s43
.LBB276_418:                            ;   in Loop: Header=BB276_15 Depth=1
	s_delay_alu instid0(SALU_CYCLE_1) | instskip(SKIP_2) | instid1(VALU_DEP_1)
	s_or_b32 exec_lo, exec_lo, s42
	v_lshrrev_b32_e32 v8, 16, v4
	s_mov_b32 s42, exec_lo
	v_and_b32_e32 v1, 0xff, v8
	s_delay_alu instid0(VALU_DEP_1)
	v_cmpx_ne_u16_e32 0, v1
	s_cbranch_execz .LBB276_426
; %bb.419:                              ;   in Loop: Header=BB276_15 Depth=1
	v_mov_b32_e32 v92, 0x8000
	s_mov_b32 s43, exec_lo
	v_cmpx_ne_u16_e32 0x80, v1
	s_cbranch_execz .LBB276_425
; %bb.420:                              ;   in Loop: Header=BB276_15 Depth=1
	v_bfe_u32 v36, v4, 16, 7
	v_mov_b32_e32 v92, 0x7c01
	s_mov_b32 s44, exec_lo
	s_delay_alu instid0(VALU_DEP_2)
	v_cmpx_ne_u32_e32 0x7f, v36
	s_cbranch_execz .LBB276_424
; %bb.421:                              ;   in Loop: Header=BB276_15 Depth=1
	v_and_b32_e32 v1, 7, v8
	v_lshrrev_b32_e32 v7, 3, v36
	s_mov_b32 s45, exec_lo
	v_cmpx_gt_u32_e32 8, v36
; %bb.422:                              ;   in Loop: Header=BB276_15 Depth=1
	s_delay_alu instid0(VALU_DEP_3) | instskip(NEXT) | instid1(VALU_DEP_1)
	v_clz_i32_u32_e32 v1, v1
	v_min_u32_e32 v1, 32, v1
	s_delay_alu instid0(VALU_DEP_1) | instskip(NEXT) | instid1(VALU_DEP_1)
	v_subrev_nc_u32_e32 v7, 28, v1
	v_lshlrev_b64_e32 v[36:37], v7, v[8:9]
	s_delay_alu instid0(VALU_DEP_1)
	v_dual_sub_nc_u32 v7, 29, v1 :: v_dual_bitop2_b32 v1, 7, v36 bitop3:0x40
; %bb.423:                              ;   in Loop: Header=BB276_15 Depth=1
	s_or_b32 exec_lo, exec_lo, s45
	s_delay_alu instid0(VALU_DEP_1) | instskip(NEXT) | instid1(VALU_DEP_2)
	v_dual_lshlrev_b32 v8, 8, v8 :: v_dual_lshlrev_b32 v1, 7, v1
	v_lshl_add_u32 v7, v7, 10, 0x2000
	s_delay_alu instid0(VALU_DEP_2) | instskip(NEXT) | instid1(VALU_DEP_2)
	v_and_b32_e32 v8, 0x8000, v8
	v_and_b32_e32 v7, 0xfc00, v7
	s_delay_alu instid0(VALU_DEP_1)
	v_or3_b32 v92, v8, v7, v1
.LBB276_424:                            ;   in Loop: Header=BB276_15 Depth=1
	s_or_b32 exec_lo, exec_lo, s44
.LBB276_425:                            ;   in Loop: Header=BB276_15 Depth=1
	s_delay_alu instid0(SALU_CYCLE_1)
	s_or_b32 exec_lo, exec_lo, s43
.LBB276_426:                            ;   in Loop: Header=BB276_15 Depth=1
	s_delay_alu instid0(SALU_CYCLE_1)
	s_or_b32 exec_lo, exec_lo, s42
	v_dual_mov_b32 v94, 0 :: v_dual_mov_b32 v95, 0
	s_mov_b32 s42, exec_lo
	v_cmpx_lt_u32_e32 0xffffff, v4
	s_cbranch_execz .LBB276_434
; %bb.427:                              ;   in Loop: Header=BB276_15 Depth=1
	v_lshrrev_b32_e32 v8, 24, v4
	v_bfrev_b32_e32 v95, 1
	s_mov_b32 s43, exec_lo
	s_delay_alu instid0(VALU_DEP_2)
	v_cmpx_ne_u32_e32 0x80, v8
	s_cbranch_execz .LBB276_433
; %bb.428:                              ;   in Loop: Header=BB276_15 Depth=1
	v_and_b32_e32 v36, 0x7f, v8
	v_mov_b32_e32 v95, 0x7c010000
	s_mov_b32 s44, exec_lo
	s_delay_alu instid0(VALU_DEP_2)
	v_cmpx_ne_u32_e32 0x7f, v36
	s_cbranch_execz .LBB276_432
; %bb.429:                              ;   in Loop: Header=BB276_15 Depth=1
	v_and_b32_e32 v1, 7, v8
	v_lshrrev_b32_e32 v7, 3, v36
	s_mov_b32 s45, exec_lo
	v_cmpx_gt_u32_e32 8, v36
; %bb.430:                              ;   in Loop: Header=BB276_15 Depth=1
	s_delay_alu instid0(VALU_DEP_3) | instskip(NEXT) | instid1(VALU_DEP_1)
	v_clz_i32_u32_e32 v1, v1
	v_min_u32_e32 v1, 32, v1
	s_delay_alu instid0(VALU_DEP_1) | instskip(NEXT) | instid1(VALU_DEP_1)
	v_subrev_nc_u32_e32 v7, 28, v1
	v_lshlrev_b64_e32 v[36:37], v7, v[8:9]
	s_delay_alu instid0(VALU_DEP_1)
	v_dual_sub_nc_u32 v7, 29, v1 :: v_dual_bitop2_b32 v1, 7, v36 bitop3:0x40
; %bb.431:                              ;   in Loop: Header=BB276_15 Depth=1
	s_or_b32 exec_lo, exec_lo, s45
	s_delay_alu instid0(VALU_DEP_1) | instskip(NEXT) | instid1(VALU_DEP_2)
	v_dual_lshlrev_b32 v8, 8, v8 :: v_dual_lshlrev_b32 v1, 23, v1
	v_lshl_add_u32 v7, v7, 10, 0x2000
	s_delay_alu instid0(VALU_DEP_1) | instskip(NEXT) | instid1(VALU_DEP_1)
	v_and_or_b32 v7, 0x8000, v8, v7
	v_lshl_or_b32 v95, v7, 16, v1
.LBB276_432:                            ;   in Loop: Header=BB276_15 Depth=1
	s_or_b32 exec_lo, exec_lo, s44
.LBB276_433:                            ;   in Loop: Header=BB276_15 Depth=1
	s_delay_alu instid0(SALU_CYCLE_1)
	s_or_b32 exec_lo, exec_lo, s43
.LBB276_434:                            ;   in Loop: Header=BB276_15 Depth=1
	s_delay_alu instid0(SALU_CYCLE_1) | instskip(SKIP_3) | instid1(VALU_DEP_2)
	s_or_b32 exec_lo, exec_lo, s42
	v_and_b32_e32 v1, 0xff, v5
	v_mov_b32_e32 v8, v5
	s_mov_b32 s42, exec_lo
	v_cmpx_ne_u16_e32 0, v1
	s_cbranch_execz .LBB276_442
; %bb.435:                              ;   in Loop: Header=BB276_15 Depth=1
	v_mov_b32_e32 v94, 0x8000
	s_mov_b32 s43, exec_lo
	v_cmpx_ne_u16_e32 0x80, v1
	s_cbranch_execz .LBB276_441
; %bb.436:                              ;   in Loop: Header=BB276_15 Depth=1
	v_and_b32_e32 v36, 0x7f, v5
	v_mov_b32_e32 v94, 0x7c01
	s_mov_b32 s44, exec_lo
	s_delay_alu instid0(VALU_DEP_2)
	v_cmpx_ne_u32_e32 0x7f, v36
	s_cbranch_execz .LBB276_440
; %bb.437:                              ;   in Loop: Header=BB276_15 Depth=1
	v_dual_lshrrev_b32 v7, 3, v36 :: v_dual_bitop2_b32 v1, 7, v5 bitop3:0x40
	s_mov_b32 s45, exec_lo
	v_cmpx_gt_u32_e32 8, v36
; %bb.438:                              ;   in Loop: Header=BB276_15 Depth=1
	s_delay_alu instid0(VALU_DEP_2) | instskip(NEXT) | instid1(VALU_DEP_1)
	v_clz_i32_u32_e32 v1, v1
	v_min_u32_e32 v1, 32, v1
	s_delay_alu instid0(VALU_DEP_1) | instskip(NEXT) | instid1(VALU_DEP_1)
	v_subrev_nc_u32_e32 v7, 28, v1
	v_lshlrev_b64_e32 v[36:37], v7, v[8:9]
	s_delay_alu instid0(VALU_DEP_1)
	v_dual_sub_nc_u32 v7, 29, v1 :: v_dual_bitop2_b32 v1, 7, v36 bitop3:0x40
; %bb.439:                              ;   in Loop: Header=BB276_15 Depth=1
	s_or_b32 exec_lo, exec_lo, s45
	v_lshlrev_b32_e32 v12, 8, v5
	s_delay_alu instid0(VALU_DEP_2) | instskip(NEXT) | instid1(VALU_DEP_3)
	v_lshl_add_u32 v7, v7, 10, 0x2000
	v_lshlrev_b32_e32 v1, 7, v1
	s_delay_alu instid0(VALU_DEP_3) | instskip(NEXT) | instid1(VALU_DEP_3)
	v_and_b32_e32 v12, 0x8000, v12
	v_and_b32_e32 v7, 0xfc00, v7
	s_delay_alu instid0(VALU_DEP_1)
	v_or3_b32 v94, v12, v7, v1
.LBB276_440:                            ;   in Loop: Header=BB276_15 Depth=1
	s_or_b32 exec_lo, exec_lo, s44
.LBB276_441:                            ;   in Loop: Header=BB276_15 Depth=1
	s_delay_alu instid0(SALU_CYCLE_1)
	s_or_b32 exec_lo, exec_lo, s43
.LBB276_442:                            ;   in Loop: Header=BB276_15 Depth=1
	s_delay_alu instid0(SALU_CYCLE_1) | instskip(SKIP_3) | instid1(VALU_DEP_2)
	s_or_b32 exec_lo, exec_lo, s42
	v_lshrrev_b16 v8, 8, v8
	v_dual_mov_b32 v97, 0 :: v_dual_mov_b32 v96, 0
	s_mov_b32 s42, exec_lo
	v_cmpx_ne_u16_e32 0, v8
	s_cbranch_execz .LBB276_450
; %bb.443:                              ;   in Loop: Header=BB276_15 Depth=1
	v_bfrev_b32_e32 v96, 1
	s_mov_b32 s43, exec_lo
	v_cmpx_ne_u16_e32 0x80, v8
	s_cbranch_execz .LBB276_449
; %bb.444:                              ;   in Loop: Header=BB276_15 Depth=1
	v_and_b32_e32 v1, 0xffff, v8
	v_mov_b32_e32 v96, 0x7c010000
	s_mov_b32 s44, exec_lo
	s_delay_alu instid0(VALU_DEP_2) | instskip(NEXT) | instid1(VALU_DEP_1)
	v_and_b32_e32 v37, 0x7f, v1
	v_cmpx_ne_u32_e32 0x7f, v37
	s_cbranch_execz .LBB276_448
; %bb.445:                              ;   in Loop: Header=BB276_15 Depth=1
	v_and_b32_e32 v7, 7, v1
	v_lshrrev_b32_e32 v36, 3, v37
	s_mov_b32 s45, exec_lo
	v_cmpx_gt_u32_e32 8, v37
; %bb.446:                              ;   in Loop: Header=BB276_15 Depth=1
	s_delay_alu instid0(VALU_DEP_3) | instskip(NEXT) | instid1(VALU_DEP_1)
	v_clz_i32_u32_e32 v7, v7
	v_min_u32_e32 v7, 32, v7
	s_delay_alu instid0(VALU_DEP_1) | instskip(NEXT) | instid1(VALU_DEP_1)
	v_subrev_nc_u32_e32 v12, 28, v7
	v_lshlrev_b64_e32 v[38:39], v12, v[8:9]
	s_delay_alu instid0(VALU_DEP_1)
	v_dual_sub_nc_u32 v36, 29, v7 :: v_dual_bitop2_b32 v7, 7, v38 bitop3:0x40
; %bb.447:                              ;   in Loop: Header=BB276_15 Depth=1
	s_or_b32 exec_lo, exec_lo, s45
	s_delay_alu instid0(VALU_DEP_1) | instskip(NEXT) | instid1(VALU_DEP_2)
	v_dual_lshlrev_b32 v1, 8, v1 :: v_dual_lshlrev_b32 v7, 23, v7
	v_lshl_add_u32 v8, v36, 10, 0x2000
	s_delay_alu instid0(VALU_DEP_1) | instskip(NEXT) | instid1(VALU_DEP_1)
	v_and_or_b32 v1, 0x8000, v1, v8
	v_lshl_or_b32 v96, v1, 16, v7
.LBB276_448:                            ;   in Loop: Header=BB276_15 Depth=1
	s_or_b32 exec_lo, exec_lo, s44
.LBB276_449:                            ;   in Loop: Header=BB276_15 Depth=1
	s_delay_alu instid0(SALU_CYCLE_1)
	s_or_b32 exec_lo, exec_lo, s43
.LBB276_450:                            ;   in Loop: Header=BB276_15 Depth=1
	s_delay_alu instid0(SALU_CYCLE_1) | instskip(SKIP_2) | instid1(VALU_DEP_1)
	s_or_b32 exec_lo, exec_lo, s42
	v_lshrrev_b32_e32 v8, 16, v5
	s_mov_b32 s42, exec_lo
	v_and_b32_e32 v1, 0xff, v8
	s_delay_alu instid0(VALU_DEP_1)
	v_cmpx_ne_u16_e32 0, v1
	s_cbranch_execz .LBB276_458
; %bb.451:                              ;   in Loop: Header=BB276_15 Depth=1
	v_mov_b32_e32 v97, 0x8000
	s_mov_b32 s43, exec_lo
	v_cmpx_ne_u16_e32 0x80, v1
	s_cbranch_execz .LBB276_457
; %bb.452:                              ;   in Loop: Header=BB276_15 Depth=1
	v_bfe_u32 v36, v5, 16, 7
	v_mov_b32_e32 v97, 0x7c01
	s_mov_b32 s44, exec_lo
	s_delay_alu instid0(VALU_DEP_2)
	v_cmpx_ne_u32_e32 0x7f, v36
	s_cbranch_execz .LBB276_456
; %bb.453:                              ;   in Loop: Header=BB276_15 Depth=1
	v_and_b32_e32 v1, 7, v8
	v_lshrrev_b32_e32 v7, 3, v36
	s_mov_b32 s45, exec_lo
	v_cmpx_gt_u32_e32 8, v36
; %bb.454:                              ;   in Loop: Header=BB276_15 Depth=1
	s_delay_alu instid0(VALU_DEP_3) | instskip(NEXT) | instid1(VALU_DEP_1)
	v_clz_i32_u32_e32 v1, v1
	v_min_u32_e32 v1, 32, v1
	s_delay_alu instid0(VALU_DEP_1) | instskip(NEXT) | instid1(VALU_DEP_1)
	v_subrev_nc_u32_e32 v7, 28, v1
	v_lshlrev_b64_e32 v[36:37], v7, v[8:9]
	s_delay_alu instid0(VALU_DEP_1)
	v_dual_sub_nc_u32 v7, 29, v1 :: v_dual_bitop2_b32 v1, 7, v36 bitop3:0x40
; %bb.455:                              ;   in Loop: Header=BB276_15 Depth=1
	s_or_b32 exec_lo, exec_lo, s45
	s_delay_alu instid0(VALU_DEP_1) | instskip(NEXT) | instid1(VALU_DEP_2)
	v_dual_lshlrev_b32 v8, 8, v8 :: v_dual_lshlrev_b32 v1, 7, v1
	v_lshl_add_u32 v7, v7, 10, 0x2000
	s_delay_alu instid0(VALU_DEP_2) | instskip(NEXT) | instid1(VALU_DEP_2)
	v_and_b32_e32 v8, 0x8000, v8
	v_and_b32_e32 v7, 0xfc00, v7
	s_delay_alu instid0(VALU_DEP_1)
	v_or3_b32 v97, v8, v7, v1
.LBB276_456:                            ;   in Loop: Header=BB276_15 Depth=1
	s_or_b32 exec_lo, exec_lo, s44
.LBB276_457:                            ;   in Loop: Header=BB276_15 Depth=1
	s_delay_alu instid0(SALU_CYCLE_1)
	s_or_b32 exec_lo, exec_lo, s43
.LBB276_458:                            ;   in Loop: Header=BB276_15 Depth=1
	s_delay_alu instid0(SALU_CYCLE_1)
	s_or_b32 exec_lo, exec_lo, s42
	v_dual_mov_b32 v98, 0 :: v_dual_mov_b32 v99, 0
	s_mov_b32 s42, exec_lo
	v_cmpx_lt_u64_e64 s[26:27], v[4:5]
	s_cbranch_execz .LBB276_466
; %bb.459:                              ;   in Loop: Header=BB276_15 Depth=1
	v_lshrrev_b32_e32 v8, 24, v5
	v_bfrev_b32_e32 v99, 1
	s_mov_b32 s43, exec_lo
	s_delay_alu instid0(VALU_DEP_2)
	v_cmpx_ne_u32_e32 0x80, v8
	s_cbranch_execz .LBB276_465
; %bb.460:                              ;   in Loop: Header=BB276_15 Depth=1
	v_and_b32_e32 v5, 0x7f, v8
	v_mov_b32_e32 v99, 0x7c010000
	s_mov_b32 s44, exec_lo
	s_delay_alu instid0(VALU_DEP_2)
	v_cmpx_ne_u32_e32 0x7f, v5
	s_cbranch_execz .LBB276_464
; %bb.461:                              ;   in Loop: Header=BB276_15 Depth=1
	v_dual_lshrrev_b32 v4, 3, v5 :: v_dual_bitop2_b32 v1, 7, v8 bitop3:0x40
	s_mov_b32 s45, exec_lo
	v_cmpx_gt_u32_e32 8, v5
; %bb.462:                              ;   in Loop: Header=BB276_15 Depth=1
	s_delay_alu instid0(VALU_DEP_2) | instskip(NEXT) | instid1(VALU_DEP_1)
	v_clz_i32_u32_e32 v1, v1
	v_min_u32_e32 v1, 32, v1
	s_delay_alu instid0(VALU_DEP_1) | instskip(NEXT) | instid1(VALU_DEP_1)
	v_subrev_nc_u32_e32 v4, 28, v1
	v_lshlrev_b64_e32 v[36:37], v4, v[8:9]
	s_delay_alu instid0(VALU_DEP_1)
	v_dual_sub_nc_u32 v4, 29, v1 :: v_dual_bitop2_b32 v1, 7, v36 bitop3:0x40
; %bb.463:                              ;   in Loop: Header=BB276_15 Depth=1
	s_or_b32 exec_lo, exec_lo, s45
	s_delay_alu instid0(VALU_DEP_1) | instskip(NEXT) | instid1(VALU_DEP_2)
	v_dual_lshlrev_b32 v5, 8, v8 :: v_dual_lshlrev_b32 v1, 23, v1
	v_lshl_add_u32 v4, v4, 10, 0x2000
	s_delay_alu instid0(VALU_DEP_1) | instskip(NEXT) | instid1(VALU_DEP_1)
	v_and_or_b32 v4, 0x8000, v5, v4
	v_lshl_or_b32 v99, v4, 16, v1
.LBB276_464:                            ;   in Loop: Header=BB276_15 Depth=1
	s_or_b32 exec_lo, exec_lo, s44
.LBB276_465:                            ;   in Loop: Header=BB276_15 Depth=1
	s_delay_alu instid0(SALU_CYCLE_1)
	s_or_b32 exec_lo, exec_lo, s43
.LBB276_466:                            ;   in Loop: Header=BB276_15 Depth=1
	s_delay_alu instid0(SALU_CYCLE_1)
	s_or_b32 exec_lo, exec_lo, s42
	global_load_b64 v[4:5], v[2:3], off offset:1544
	s_mov_b32 s42, exec_lo
	s_wait_loadcnt 0x0
	v_and_b32_e32 v1, 0xff, v4
	s_wait_xcnt 0x0
	s_delay_alu instid0(VALU_DEP_1)
	v_cmpx_ne_u16_e32 0, v1
	s_cbranch_execz .LBB276_474
; %bb.467:                              ;   in Loop: Header=BB276_15 Depth=1
	v_mov_b32_e32 v98, 0x8000
	s_mov_b32 s43, exec_lo
	v_cmpx_ne_u16_e32 0x80, v1
	s_cbranch_execz .LBB276_473
; %bb.468:                              ;   in Loop: Header=BB276_15 Depth=1
	v_and_b32_e32 v8, 0x7f, v4
	v_mov_b32_e32 v98, 0x7c01
	s_mov_b32 s44, exec_lo
	s_delay_alu instid0(VALU_DEP_2)
	v_cmpx_ne_u32_e32 0x7f, v8
	s_cbranch_execz .LBB276_472
; %bb.469:                              ;   in Loop: Header=BB276_15 Depth=1
	v_and_b32_e32 v1, 7, v4
	v_lshrrev_b32_e32 v7, 3, v8
	s_mov_b32 s45, exec_lo
	v_cmpx_gt_u32_e32 8, v8
; %bb.470:                              ;   in Loop: Header=BB276_15 Depth=1
	s_delay_alu instid0(VALU_DEP_3) | instskip(NEXT) | instid1(VALU_DEP_1)
	v_clz_i32_u32_e32 v1, v1
	v_min_u32_e32 v1, 32, v1
	s_delay_alu instid0(VALU_DEP_1) | instskip(NEXT) | instid1(VALU_DEP_1)
	v_subrev_nc_u32_e32 v7, 28, v1
	v_lshlrev_b64_e32 v[36:37], v7, v[4:5]
	s_delay_alu instid0(VALU_DEP_1)
	v_dual_sub_nc_u32 v7, 29, v1 :: v_dual_bitop2_b32 v1, 7, v36 bitop3:0x40
; %bb.471:                              ;   in Loop: Header=BB276_15 Depth=1
	s_or_b32 exec_lo, exec_lo, s45
	s_delay_alu instid0(VALU_DEP_1) | instskip(NEXT) | instid1(VALU_DEP_2)
	v_dual_lshlrev_b32 v8, 8, v4 :: v_dual_lshlrev_b32 v1, 7, v1
	v_lshl_add_u32 v7, v7, 10, 0x2000
	s_delay_alu instid0(VALU_DEP_2) | instskip(NEXT) | instid1(VALU_DEP_2)
	v_and_b32_e32 v8, 0x8000, v8
	v_and_b32_e32 v7, 0xfc00, v7
	s_delay_alu instid0(VALU_DEP_1)
	v_or3_b32 v98, v8, v7, v1
.LBB276_472:                            ;   in Loop: Header=BB276_15 Depth=1
	s_or_b32 exec_lo, exec_lo, s44
.LBB276_473:                            ;   in Loop: Header=BB276_15 Depth=1
	s_delay_alu instid0(SALU_CYCLE_1)
	s_or_b32 exec_lo, exec_lo, s43
.LBB276_474:                            ;   in Loop: Header=BB276_15 Depth=1
	s_delay_alu instid0(SALU_CYCLE_1) | instskip(SKIP_3) | instid1(VALU_DEP_2)
	s_or_b32 exec_lo, exec_lo, s42
	v_lshrrev_b16 v8, 8, v4
	v_dual_mov_b32 v100, 0 :: v_dual_mov_b32 v101, 0
	s_mov_b32 s42, exec_lo
	v_cmpx_ne_u16_e32 0, v8
	s_cbranch_execz .LBB276_482
; %bb.475:                              ;   in Loop: Header=BB276_15 Depth=1
	v_bfrev_b32_e32 v101, 1
	s_mov_b32 s43, exec_lo
	v_cmpx_ne_u16_e32 0x80, v8
	s_cbranch_execz .LBB276_481
; %bb.476:                              ;   in Loop: Header=BB276_15 Depth=1
	v_and_b32_e32 v1, 0xffff, v8
	v_mov_b32_e32 v101, 0x7c010000
	s_mov_b32 s44, exec_lo
	s_delay_alu instid0(VALU_DEP_2) | instskip(NEXT) | instid1(VALU_DEP_1)
	v_and_b32_e32 v37, 0x7f, v1
	v_cmpx_ne_u32_e32 0x7f, v37
	s_cbranch_execz .LBB276_480
; %bb.477:                              ;   in Loop: Header=BB276_15 Depth=1
	v_and_b32_e32 v7, 7, v1
	v_lshrrev_b32_e32 v36, 3, v37
	s_mov_b32 s45, exec_lo
	v_cmpx_gt_u32_e32 8, v37
; %bb.478:                              ;   in Loop: Header=BB276_15 Depth=1
	s_delay_alu instid0(VALU_DEP_3) | instskip(NEXT) | instid1(VALU_DEP_1)
	v_clz_i32_u32_e32 v7, v7
	v_min_u32_e32 v7, 32, v7
	s_delay_alu instid0(VALU_DEP_1) | instskip(NEXT) | instid1(VALU_DEP_1)
	v_subrev_nc_u32_e32 v12, 28, v7
	v_lshlrev_b64_e32 v[38:39], v12, v[8:9]
	s_delay_alu instid0(VALU_DEP_1)
	v_dual_sub_nc_u32 v36, 29, v7 :: v_dual_bitop2_b32 v7, 7, v38 bitop3:0x40
; %bb.479:                              ;   in Loop: Header=BB276_15 Depth=1
	s_or_b32 exec_lo, exec_lo, s45
	s_delay_alu instid0(VALU_DEP_1) | instskip(NEXT) | instid1(VALU_DEP_2)
	v_dual_lshlrev_b32 v1, 8, v1 :: v_dual_lshlrev_b32 v7, 23, v7
	v_lshl_add_u32 v8, v36, 10, 0x2000
	s_delay_alu instid0(VALU_DEP_1) | instskip(NEXT) | instid1(VALU_DEP_1)
	v_and_or_b32 v1, 0x8000, v1, v8
	v_lshl_or_b32 v101, v1, 16, v7
.LBB276_480:                            ;   in Loop: Header=BB276_15 Depth=1
	s_or_b32 exec_lo, exec_lo, s44
.LBB276_481:                            ;   in Loop: Header=BB276_15 Depth=1
	s_delay_alu instid0(SALU_CYCLE_1)
	s_or_b32 exec_lo, exec_lo, s43
.LBB276_482:                            ;   in Loop: Header=BB276_15 Depth=1
	s_delay_alu instid0(SALU_CYCLE_1) | instskip(SKIP_2) | instid1(VALU_DEP_1)
	s_or_b32 exec_lo, exec_lo, s42
	v_lshrrev_b32_e32 v8, 16, v4
	s_mov_b32 s42, exec_lo
	v_and_b32_e32 v1, 0xff, v8
	s_delay_alu instid0(VALU_DEP_1)
	v_cmpx_ne_u16_e32 0, v1
	s_cbranch_execz .LBB276_490
; %bb.483:                              ;   in Loop: Header=BB276_15 Depth=1
	v_mov_b32_e32 v100, 0x8000
	s_mov_b32 s43, exec_lo
	v_cmpx_ne_u16_e32 0x80, v1
	s_cbranch_execz .LBB276_489
; %bb.484:                              ;   in Loop: Header=BB276_15 Depth=1
	v_bfe_u32 v36, v4, 16, 7
	v_mov_b32_e32 v100, 0x7c01
	s_mov_b32 s44, exec_lo
	s_delay_alu instid0(VALU_DEP_2)
	v_cmpx_ne_u32_e32 0x7f, v36
	s_cbranch_execz .LBB276_488
; %bb.485:                              ;   in Loop: Header=BB276_15 Depth=1
	v_and_b32_e32 v1, 7, v8
	v_lshrrev_b32_e32 v7, 3, v36
	s_mov_b32 s45, exec_lo
	v_cmpx_gt_u32_e32 8, v36
; %bb.486:                              ;   in Loop: Header=BB276_15 Depth=1
	s_delay_alu instid0(VALU_DEP_3) | instskip(NEXT) | instid1(VALU_DEP_1)
	v_clz_i32_u32_e32 v1, v1
	v_min_u32_e32 v1, 32, v1
	s_delay_alu instid0(VALU_DEP_1) | instskip(NEXT) | instid1(VALU_DEP_1)
	v_subrev_nc_u32_e32 v7, 28, v1
	v_lshlrev_b64_e32 v[36:37], v7, v[8:9]
	s_delay_alu instid0(VALU_DEP_1)
	v_dual_sub_nc_u32 v7, 29, v1 :: v_dual_bitop2_b32 v1, 7, v36 bitop3:0x40
; %bb.487:                              ;   in Loop: Header=BB276_15 Depth=1
	s_or_b32 exec_lo, exec_lo, s45
	s_delay_alu instid0(VALU_DEP_1) | instskip(NEXT) | instid1(VALU_DEP_2)
	v_dual_lshlrev_b32 v8, 8, v8 :: v_dual_lshlrev_b32 v1, 7, v1
	v_lshl_add_u32 v7, v7, 10, 0x2000
	s_delay_alu instid0(VALU_DEP_2) | instskip(NEXT) | instid1(VALU_DEP_2)
	v_and_b32_e32 v8, 0x8000, v8
	v_and_b32_e32 v7, 0xfc00, v7
	s_delay_alu instid0(VALU_DEP_1)
	v_or3_b32 v100, v8, v7, v1
.LBB276_488:                            ;   in Loop: Header=BB276_15 Depth=1
	s_or_b32 exec_lo, exec_lo, s44
.LBB276_489:                            ;   in Loop: Header=BB276_15 Depth=1
	s_delay_alu instid0(SALU_CYCLE_1)
	s_or_b32 exec_lo, exec_lo, s43
.LBB276_490:                            ;   in Loop: Header=BB276_15 Depth=1
	s_delay_alu instid0(SALU_CYCLE_1)
	s_or_b32 exec_lo, exec_lo, s42
	v_dual_mov_b32 v102, 0 :: v_dual_mov_b32 v103, 0
	s_mov_b32 s42, exec_lo
	v_cmpx_lt_u32_e32 0xffffff, v4
	s_cbranch_execz .LBB276_498
; %bb.491:                              ;   in Loop: Header=BB276_15 Depth=1
	v_lshrrev_b32_e32 v8, 24, v4
	v_bfrev_b32_e32 v103, 1
	s_mov_b32 s43, exec_lo
	s_delay_alu instid0(VALU_DEP_2)
	v_cmpx_ne_u32_e32 0x80, v8
	s_cbranch_execz .LBB276_497
; %bb.492:                              ;   in Loop: Header=BB276_15 Depth=1
	v_and_b32_e32 v36, 0x7f, v8
	v_mov_b32_e32 v103, 0x7c010000
	s_mov_b32 s44, exec_lo
	s_delay_alu instid0(VALU_DEP_2)
	v_cmpx_ne_u32_e32 0x7f, v36
	s_cbranch_execz .LBB276_496
; %bb.493:                              ;   in Loop: Header=BB276_15 Depth=1
	v_and_b32_e32 v1, 7, v8
	v_lshrrev_b32_e32 v7, 3, v36
	s_mov_b32 s45, exec_lo
	v_cmpx_gt_u32_e32 8, v36
; %bb.494:                              ;   in Loop: Header=BB276_15 Depth=1
	s_delay_alu instid0(VALU_DEP_3) | instskip(NEXT) | instid1(VALU_DEP_1)
	v_clz_i32_u32_e32 v1, v1
	v_min_u32_e32 v1, 32, v1
	s_delay_alu instid0(VALU_DEP_1) | instskip(NEXT) | instid1(VALU_DEP_1)
	v_subrev_nc_u32_e32 v7, 28, v1
	v_lshlrev_b64_e32 v[36:37], v7, v[8:9]
	s_delay_alu instid0(VALU_DEP_1)
	v_dual_sub_nc_u32 v7, 29, v1 :: v_dual_bitop2_b32 v1, 7, v36 bitop3:0x40
; %bb.495:                              ;   in Loop: Header=BB276_15 Depth=1
	s_or_b32 exec_lo, exec_lo, s45
	s_delay_alu instid0(VALU_DEP_1) | instskip(NEXT) | instid1(VALU_DEP_2)
	v_dual_lshlrev_b32 v8, 8, v8 :: v_dual_lshlrev_b32 v1, 23, v1
	v_lshl_add_u32 v7, v7, 10, 0x2000
	s_delay_alu instid0(VALU_DEP_1) | instskip(NEXT) | instid1(VALU_DEP_1)
	v_and_or_b32 v7, 0x8000, v8, v7
	v_lshl_or_b32 v103, v7, 16, v1
.LBB276_496:                            ;   in Loop: Header=BB276_15 Depth=1
	s_or_b32 exec_lo, exec_lo, s44
.LBB276_497:                            ;   in Loop: Header=BB276_15 Depth=1
	s_delay_alu instid0(SALU_CYCLE_1)
	s_or_b32 exec_lo, exec_lo, s43
.LBB276_498:                            ;   in Loop: Header=BB276_15 Depth=1
	s_delay_alu instid0(SALU_CYCLE_1) | instskip(SKIP_3) | instid1(VALU_DEP_2)
	s_or_b32 exec_lo, exec_lo, s42
	v_and_b32_e32 v1, 0xff, v5
	v_mov_b32_e32 v8, v5
	s_mov_b32 s42, exec_lo
	v_cmpx_ne_u16_e32 0, v1
	s_cbranch_execz .LBB276_506
; %bb.499:                              ;   in Loop: Header=BB276_15 Depth=1
	v_mov_b32_e32 v102, 0x8000
	s_mov_b32 s43, exec_lo
	v_cmpx_ne_u16_e32 0x80, v1
	s_cbranch_execz .LBB276_505
; %bb.500:                              ;   in Loop: Header=BB276_15 Depth=1
	v_and_b32_e32 v36, 0x7f, v5
	v_mov_b32_e32 v102, 0x7c01
	s_mov_b32 s44, exec_lo
	s_delay_alu instid0(VALU_DEP_2)
	v_cmpx_ne_u32_e32 0x7f, v36
	s_cbranch_execz .LBB276_504
; %bb.501:                              ;   in Loop: Header=BB276_15 Depth=1
	v_dual_lshrrev_b32 v7, 3, v36 :: v_dual_bitop2_b32 v1, 7, v5 bitop3:0x40
	s_mov_b32 s45, exec_lo
	v_cmpx_gt_u32_e32 8, v36
; %bb.502:                              ;   in Loop: Header=BB276_15 Depth=1
	s_delay_alu instid0(VALU_DEP_2) | instskip(NEXT) | instid1(VALU_DEP_1)
	v_clz_i32_u32_e32 v1, v1
	v_min_u32_e32 v1, 32, v1
	s_delay_alu instid0(VALU_DEP_1) | instskip(NEXT) | instid1(VALU_DEP_1)
	v_subrev_nc_u32_e32 v7, 28, v1
	v_lshlrev_b64_e32 v[36:37], v7, v[8:9]
	s_delay_alu instid0(VALU_DEP_1)
	v_dual_sub_nc_u32 v7, 29, v1 :: v_dual_bitop2_b32 v1, 7, v36 bitop3:0x40
; %bb.503:                              ;   in Loop: Header=BB276_15 Depth=1
	s_or_b32 exec_lo, exec_lo, s45
	v_lshlrev_b32_e32 v12, 8, v5
	s_delay_alu instid0(VALU_DEP_2) | instskip(NEXT) | instid1(VALU_DEP_3)
	v_lshl_add_u32 v7, v7, 10, 0x2000
	v_lshlrev_b32_e32 v1, 7, v1
	s_delay_alu instid0(VALU_DEP_3) | instskip(NEXT) | instid1(VALU_DEP_3)
	v_and_b32_e32 v12, 0x8000, v12
	v_and_b32_e32 v7, 0xfc00, v7
	s_delay_alu instid0(VALU_DEP_1)
	v_or3_b32 v102, v12, v7, v1
.LBB276_504:                            ;   in Loop: Header=BB276_15 Depth=1
	s_or_b32 exec_lo, exec_lo, s44
.LBB276_505:                            ;   in Loop: Header=BB276_15 Depth=1
	s_delay_alu instid0(SALU_CYCLE_1)
	s_or_b32 exec_lo, exec_lo, s43
.LBB276_506:                            ;   in Loop: Header=BB276_15 Depth=1
	s_delay_alu instid0(SALU_CYCLE_1) | instskip(SKIP_3) | instid1(VALU_DEP_2)
	s_or_b32 exec_lo, exec_lo, s42
	v_lshrrev_b16 v8, 8, v8
	v_dual_mov_b32 v105, 0 :: v_dual_mov_b32 v104, 0
	s_mov_b32 s42, exec_lo
	v_cmpx_ne_u16_e32 0, v8
	s_cbranch_execz .LBB276_514
; %bb.507:                              ;   in Loop: Header=BB276_15 Depth=1
	v_bfrev_b32_e32 v104, 1
	s_mov_b32 s43, exec_lo
	v_cmpx_ne_u16_e32 0x80, v8
	s_cbranch_execz .LBB276_513
; %bb.508:                              ;   in Loop: Header=BB276_15 Depth=1
	v_and_b32_e32 v1, 0xffff, v8
	v_mov_b32_e32 v104, 0x7c010000
	s_mov_b32 s44, exec_lo
	s_delay_alu instid0(VALU_DEP_2) | instskip(NEXT) | instid1(VALU_DEP_1)
	v_and_b32_e32 v37, 0x7f, v1
	v_cmpx_ne_u32_e32 0x7f, v37
	s_cbranch_execz .LBB276_512
; %bb.509:                              ;   in Loop: Header=BB276_15 Depth=1
	v_and_b32_e32 v7, 7, v1
	v_lshrrev_b32_e32 v36, 3, v37
	s_mov_b32 s45, exec_lo
	v_cmpx_gt_u32_e32 8, v37
; %bb.510:                              ;   in Loop: Header=BB276_15 Depth=1
	s_delay_alu instid0(VALU_DEP_3) | instskip(NEXT) | instid1(VALU_DEP_1)
	v_clz_i32_u32_e32 v7, v7
	v_min_u32_e32 v7, 32, v7
	s_delay_alu instid0(VALU_DEP_1) | instskip(NEXT) | instid1(VALU_DEP_1)
	v_subrev_nc_u32_e32 v12, 28, v7
	v_lshlrev_b64_e32 v[38:39], v12, v[8:9]
	s_delay_alu instid0(VALU_DEP_1)
	v_dual_sub_nc_u32 v36, 29, v7 :: v_dual_bitop2_b32 v7, 7, v38 bitop3:0x40
; %bb.511:                              ;   in Loop: Header=BB276_15 Depth=1
	s_or_b32 exec_lo, exec_lo, s45
	s_delay_alu instid0(VALU_DEP_1) | instskip(NEXT) | instid1(VALU_DEP_2)
	v_dual_lshlrev_b32 v1, 8, v1 :: v_dual_lshlrev_b32 v7, 23, v7
	v_lshl_add_u32 v8, v36, 10, 0x2000
	s_delay_alu instid0(VALU_DEP_1) | instskip(NEXT) | instid1(VALU_DEP_1)
	v_and_or_b32 v1, 0x8000, v1, v8
	v_lshl_or_b32 v104, v1, 16, v7
.LBB276_512:                            ;   in Loop: Header=BB276_15 Depth=1
	s_or_b32 exec_lo, exec_lo, s44
.LBB276_513:                            ;   in Loop: Header=BB276_15 Depth=1
	s_delay_alu instid0(SALU_CYCLE_1)
	s_or_b32 exec_lo, exec_lo, s43
.LBB276_514:                            ;   in Loop: Header=BB276_15 Depth=1
	s_delay_alu instid0(SALU_CYCLE_1) | instskip(SKIP_2) | instid1(VALU_DEP_1)
	s_or_b32 exec_lo, exec_lo, s42
	v_lshrrev_b32_e32 v8, 16, v5
	s_mov_b32 s42, exec_lo
	v_and_b32_e32 v1, 0xff, v8
	s_delay_alu instid0(VALU_DEP_1)
	v_cmpx_ne_u16_e32 0, v1
	s_cbranch_execz .LBB276_522
; %bb.515:                              ;   in Loop: Header=BB276_15 Depth=1
	v_mov_b32_e32 v105, 0x8000
	s_mov_b32 s43, exec_lo
	v_cmpx_ne_u16_e32 0x80, v1
	s_cbranch_execz .LBB276_521
; %bb.516:                              ;   in Loop: Header=BB276_15 Depth=1
	v_bfe_u32 v36, v5, 16, 7
	v_mov_b32_e32 v105, 0x7c01
	s_mov_b32 s44, exec_lo
	s_delay_alu instid0(VALU_DEP_2)
	v_cmpx_ne_u32_e32 0x7f, v36
	s_cbranch_execz .LBB276_520
; %bb.517:                              ;   in Loop: Header=BB276_15 Depth=1
	v_and_b32_e32 v1, 7, v8
	v_lshrrev_b32_e32 v7, 3, v36
	s_mov_b32 s45, exec_lo
	v_cmpx_gt_u32_e32 8, v36
; %bb.518:                              ;   in Loop: Header=BB276_15 Depth=1
	s_delay_alu instid0(VALU_DEP_3) | instskip(NEXT) | instid1(VALU_DEP_1)
	v_clz_i32_u32_e32 v1, v1
	v_min_u32_e32 v1, 32, v1
	s_delay_alu instid0(VALU_DEP_1) | instskip(NEXT) | instid1(VALU_DEP_1)
	v_subrev_nc_u32_e32 v7, 28, v1
	v_lshlrev_b64_e32 v[36:37], v7, v[8:9]
	s_delay_alu instid0(VALU_DEP_1)
	v_dual_sub_nc_u32 v7, 29, v1 :: v_dual_bitop2_b32 v1, 7, v36 bitop3:0x40
; %bb.519:                              ;   in Loop: Header=BB276_15 Depth=1
	s_or_b32 exec_lo, exec_lo, s45
	s_delay_alu instid0(VALU_DEP_1) | instskip(NEXT) | instid1(VALU_DEP_2)
	v_dual_lshlrev_b32 v8, 8, v8 :: v_dual_lshlrev_b32 v1, 7, v1
	v_lshl_add_u32 v7, v7, 10, 0x2000
	s_delay_alu instid0(VALU_DEP_2) | instskip(NEXT) | instid1(VALU_DEP_2)
	v_and_b32_e32 v8, 0x8000, v8
	v_and_b32_e32 v7, 0xfc00, v7
	s_delay_alu instid0(VALU_DEP_1)
	v_or3_b32 v105, v8, v7, v1
.LBB276_520:                            ;   in Loop: Header=BB276_15 Depth=1
	s_or_b32 exec_lo, exec_lo, s44
.LBB276_521:                            ;   in Loop: Header=BB276_15 Depth=1
	s_delay_alu instid0(SALU_CYCLE_1)
	s_or_b32 exec_lo, exec_lo, s43
.LBB276_522:                            ;   in Loop: Header=BB276_15 Depth=1
	s_delay_alu instid0(SALU_CYCLE_1)
	s_or_b32 exec_lo, exec_lo, s42
	v_dual_mov_b32 v106, 0 :: v_dual_mov_b32 v107, 0
	s_mov_b32 s42, exec_lo
	v_cmpx_lt_u64_e64 s[26:27], v[4:5]
	s_cbranch_execz .LBB276_530
; %bb.523:                              ;   in Loop: Header=BB276_15 Depth=1
	v_lshrrev_b32_e32 v8, 24, v5
	v_bfrev_b32_e32 v107, 1
	s_mov_b32 s43, exec_lo
	s_delay_alu instid0(VALU_DEP_2)
	v_cmpx_ne_u32_e32 0x80, v8
	s_cbranch_execz .LBB276_529
; %bb.524:                              ;   in Loop: Header=BB276_15 Depth=1
	v_and_b32_e32 v5, 0x7f, v8
	v_mov_b32_e32 v107, 0x7c010000
	s_mov_b32 s44, exec_lo
	s_delay_alu instid0(VALU_DEP_2)
	v_cmpx_ne_u32_e32 0x7f, v5
	s_cbranch_execz .LBB276_528
; %bb.525:                              ;   in Loop: Header=BB276_15 Depth=1
	v_dual_lshrrev_b32 v4, 3, v5 :: v_dual_bitop2_b32 v1, 7, v8 bitop3:0x40
	s_mov_b32 s45, exec_lo
	v_cmpx_gt_u32_e32 8, v5
; %bb.526:                              ;   in Loop: Header=BB276_15 Depth=1
	s_delay_alu instid0(VALU_DEP_2) | instskip(NEXT) | instid1(VALU_DEP_1)
	v_clz_i32_u32_e32 v1, v1
	v_min_u32_e32 v1, 32, v1
	s_delay_alu instid0(VALU_DEP_1) | instskip(NEXT) | instid1(VALU_DEP_1)
	v_subrev_nc_u32_e32 v4, 28, v1
	v_lshlrev_b64_e32 v[36:37], v4, v[8:9]
	s_delay_alu instid0(VALU_DEP_1)
	v_dual_sub_nc_u32 v4, 29, v1 :: v_dual_bitop2_b32 v1, 7, v36 bitop3:0x40
; %bb.527:                              ;   in Loop: Header=BB276_15 Depth=1
	s_or_b32 exec_lo, exec_lo, s45
	s_delay_alu instid0(VALU_DEP_1) | instskip(NEXT) | instid1(VALU_DEP_2)
	v_dual_lshlrev_b32 v5, 8, v8 :: v_dual_lshlrev_b32 v1, 23, v1
	v_lshl_add_u32 v4, v4, 10, 0x2000
	s_delay_alu instid0(VALU_DEP_1) | instskip(NEXT) | instid1(VALU_DEP_1)
	v_and_or_b32 v4, 0x8000, v5, v4
	v_lshl_or_b32 v107, v4, 16, v1
.LBB276_528:                            ;   in Loop: Header=BB276_15 Depth=1
	s_or_b32 exec_lo, exec_lo, s44
.LBB276_529:                            ;   in Loop: Header=BB276_15 Depth=1
	s_delay_alu instid0(SALU_CYCLE_1)
	s_or_b32 exec_lo, exec_lo, s43
.LBB276_530:                            ;   in Loop: Header=BB276_15 Depth=1
	s_delay_alu instid0(SALU_CYCLE_1)
	s_or_b32 exec_lo, exec_lo, s42
	global_load_b64 v[4:5], v[2:3], off offset:2048
	s_mov_b32 s42, exec_lo
	s_wait_loadcnt 0x0
	v_and_b32_e32 v1, 0xff, v4
	s_wait_xcnt 0x0
	s_delay_alu instid0(VALU_DEP_1)
	v_cmpx_ne_u16_e32 0, v1
	s_cbranch_execz .LBB276_538
; %bb.531:                              ;   in Loop: Header=BB276_15 Depth=1
	v_mov_b32_e32 v106, 0x8000
	s_mov_b32 s43, exec_lo
	v_cmpx_ne_u16_e32 0x80, v1
	s_cbranch_execz .LBB276_537
; %bb.532:                              ;   in Loop: Header=BB276_15 Depth=1
	v_and_b32_e32 v8, 0x7f, v4
	v_mov_b32_e32 v106, 0x7c01
	s_mov_b32 s44, exec_lo
	s_delay_alu instid0(VALU_DEP_2)
	v_cmpx_ne_u32_e32 0x7f, v8
	s_cbranch_execz .LBB276_536
; %bb.533:                              ;   in Loop: Header=BB276_15 Depth=1
	v_and_b32_e32 v1, 7, v4
	v_lshrrev_b32_e32 v7, 3, v8
	s_mov_b32 s45, exec_lo
	v_cmpx_gt_u32_e32 8, v8
; %bb.534:                              ;   in Loop: Header=BB276_15 Depth=1
	s_delay_alu instid0(VALU_DEP_3) | instskip(NEXT) | instid1(VALU_DEP_1)
	v_clz_i32_u32_e32 v1, v1
	v_min_u32_e32 v1, 32, v1
	s_delay_alu instid0(VALU_DEP_1) | instskip(NEXT) | instid1(VALU_DEP_1)
	v_subrev_nc_u32_e32 v7, 28, v1
	v_lshlrev_b64_e32 v[36:37], v7, v[4:5]
	s_delay_alu instid0(VALU_DEP_1)
	v_dual_sub_nc_u32 v7, 29, v1 :: v_dual_bitop2_b32 v1, 7, v36 bitop3:0x40
; %bb.535:                              ;   in Loop: Header=BB276_15 Depth=1
	s_or_b32 exec_lo, exec_lo, s45
	s_delay_alu instid0(VALU_DEP_1) | instskip(NEXT) | instid1(VALU_DEP_2)
	v_dual_lshlrev_b32 v8, 8, v4 :: v_dual_lshlrev_b32 v1, 7, v1
	v_lshl_add_u32 v7, v7, 10, 0x2000
	s_delay_alu instid0(VALU_DEP_2) | instskip(NEXT) | instid1(VALU_DEP_2)
	v_and_b32_e32 v8, 0x8000, v8
	v_and_b32_e32 v7, 0xfc00, v7
	s_delay_alu instid0(VALU_DEP_1)
	v_or3_b32 v106, v8, v7, v1
.LBB276_536:                            ;   in Loop: Header=BB276_15 Depth=1
	s_or_b32 exec_lo, exec_lo, s44
.LBB276_537:                            ;   in Loop: Header=BB276_15 Depth=1
	s_delay_alu instid0(SALU_CYCLE_1)
	s_or_b32 exec_lo, exec_lo, s43
.LBB276_538:                            ;   in Loop: Header=BB276_15 Depth=1
	s_delay_alu instid0(SALU_CYCLE_1) | instskip(SKIP_3) | instid1(VALU_DEP_2)
	s_or_b32 exec_lo, exec_lo, s42
	v_lshrrev_b16 v8, 8, v4
	v_dual_mov_b32 v110, 0 :: v_dual_mov_b32 v108, 0
	s_mov_b32 s42, exec_lo
	v_cmpx_ne_u16_e32 0, v8
	s_cbranch_execz .LBB276_546
; %bb.539:                              ;   in Loop: Header=BB276_15 Depth=1
	v_bfrev_b32_e32 v108, 1
	s_mov_b32 s43, exec_lo
	v_cmpx_ne_u16_e32 0x80, v8
	s_cbranch_execz .LBB276_545
; %bb.540:                              ;   in Loop: Header=BB276_15 Depth=1
	v_and_b32_e32 v1, 0xffff, v8
	v_mov_b32_e32 v108, 0x7c010000
	s_mov_b32 s44, exec_lo
	s_delay_alu instid0(VALU_DEP_2) | instskip(NEXT) | instid1(VALU_DEP_1)
	v_and_b32_e32 v37, 0x7f, v1
	v_cmpx_ne_u32_e32 0x7f, v37
	s_cbranch_execz .LBB276_544
; %bb.541:                              ;   in Loop: Header=BB276_15 Depth=1
	v_and_b32_e32 v7, 7, v1
	v_lshrrev_b32_e32 v36, 3, v37
	s_mov_b32 s45, exec_lo
	v_cmpx_gt_u32_e32 8, v37
; %bb.542:                              ;   in Loop: Header=BB276_15 Depth=1
	s_delay_alu instid0(VALU_DEP_3) | instskip(NEXT) | instid1(VALU_DEP_1)
	v_clz_i32_u32_e32 v7, v7
	v_min_u32_e32 v7, 32, v7
	s_delay_alu instid0(VALU_DEP_1) | instskip(NEXT) | instid1(VALU_DEP_1)
	v_subrev_nc_u32_e32 v12, 28, v7
	v_lshlrev_b64_e32 v[38:39], v12, v[8:9]
	s_delay_alu instid0(VALU_DEP_1)
	v_dual_sub_nc_u32 v36, 29, v7 :: v_dual_bitop2_b32 v7, 7, v38 bitop3:0x40
; %bb.543:                              ;   in Loop: Header=BB276_15 Depth=1
	s_or_b32 exec_lo, exec_lo, s45
	s_delay_alu instid0(VALU_DEP_1) | instskip(NEXT) | instid1(VALU_DEP_2)
	v_dual_lshlrev_b32 v1, 8, v1 :: v_dual_lshlrev_b32 v7, 23, v7
	v_lshl_add_u32 v8, v36, 10, 0x2000
	s_delay_alu instid0(VALU_DEP_1) | instskip(NEXT) | instid1(VALU_DEP_1)
	v_and_or_b32 v1, 0x8000, v1, v8
	v_lshl_or_b32 v108, v1, 16, v7
.LBB276_544:                            ;   in Loop: Header=BB276_15 Depth=1
	s_or_b32 exec_lo, exec_lo, s44
.LBB276_545:                            ;   in Loop: Header=BB276_15 Depth=1
	s_delay_alu instid0(SALU_CYCLE_1)
	s_or_b32 exec_lo, exec_lo, s43
.LBB276_546:                            ;   in Loop: Header=BB276_15 Depth=1
	s_delay_alu instid0(SALU_CYCLE_1) | instskip(SKIP_2) | instid1(VALU_DEP_1)
	s_or_b32 exec_lo, exec_lo, s42
	v_lshrrev_b32_e32 v8, 16, v4
	s_mov_b32 s42, exec_lo
	v_and_b32_e32 v1, 0xff, v8
	s_delay_alu instid0(VALU_DEP_1)
	v_cmpx_ne_u16_e32 0, v1
	s_cbranch_execz .LBB276_554
; %bb.547:                              ;   in Loop: Header=BB276_15 Depth=1
	v_mov_b32_e32 v110, 0x8000
	s_mov_b32 s43, exec_lo
	v_cmpx_ne_u16_e32 0x80, v1
	s_cbranch_execz .LBB276_553
; %bb.548:                              ;   in Loop: Header=BB276_15 Depth=1
	v_bfe_u32 v36, v4, 16, 7
	v_mov_b32_e32 v110, 0x7c01
	s_mov_b32 s44, exec_lo
	s_delay_alu instid0(VALU_DEP_2)
	v_cmpx_ne_u32_e32 0x7f, v36
	s_cbranch_execz .LBB276_552
; %bb.549:                              ;   in Loop: Header=BB276_15 Depth=1
	v_and_b32_e32 v1, 7, v8
	v_lshrrev_b32_e32 v7, 3, v36
	s_mov_b32 s45, exec_lo
	v_cmpx_gt_u32_e32 8, v36
; %bb.550:                              ;   in Loop: Header=BB276_15 Depth=1
	s_delay_alu instid0(VALU_DEP_3) | instskip(NEXT) | instid1(VALU_DEP_1)
	v_clz_i32_u32_e32 v1, v1
	v_min_u32_e32 v1, 32, v1
	s_delay_alu instid0(VALU_DEP_1) | instskip(NEXT) | instid1(VALU_DEP_1)
	v_subrev_nc_u32_e32 v7, 28, v1
	v_lshlrev_b64_e32 v[36:37], v7, v[8:9]
	s_delay_alu instid0(VALU_DEP_1)
	v_dual_sub_nc_u32 v7, 29, v1 :: v_dual_bitop2_b32 v1, 7, v36 bitop3:0x40
; %bb.551:                              ;   in Loop: Header=BB276_15 Depth=1
	s_or_b32 exec_lo, exec_lo, s45
	s_delay_alu instid0(VALU_DEP_1) | instskip(NEXT) | instid1(VALU_DEP_2)
	v_dual_lshlrev_b32 v8, 8, v8 :: v_dual_lshlrev_b32 v1, 7, v1
	v_lshl_add_u32 v7, v7, 10, 0x2000
	s_delay_alu instid0(VALU_DEP_2) | instskip(NEXT) | instid1(VALU_DEP_2)
	v_and_b32_e32 v8, 0x8000, v8
	v_and_b32_e32 v7, 0xfc00, v7
	s_delay_alu instid0(VALU_DEP_1)
	v_or3_b32 v110, v8, v7, v1
.LBB276_552:                            ;   in Loop: Header=BB276_15 Depth=1
	s_or_b32 exec_lo, exec_lo, s44
.LBB276_553:                            ;   in Loop: Header=BB276_15 Depth=1
	s_delay_alu instid0(SALU_CYCLE_1)
	s_or_b32 exec_lo, exec_lo, s43
.LBB276_554:                            ;   in Loop: Header=BB276_15 Depth=1
	s_delay_alu instid0(SALU_CYCLE_1)
	s_or_b32 exec_lo, exec_lo, s42
	v_dual_mov_b32 v118, 0 :: v_dual_mov_b32 v119, 0
	s_mov_b32 s42, exec_lo
	v_cmpx_lt_u32_e32 0xffffff, v4
	s_cbranch_execz .LBB276_562
; %bb.555:                              ;   in Loop: Header=BB276_15 Depth=1
	v_lshrrev_b32_e32 v8, 24, v4
	v_bfrev_b32_e32 v119, 1
	s_mov_b32 s43, exec_lo
	s_delay_alu instid0(VALU_DEP_2)
	v_cmpx_ne_u32_e32 0x80, v8
	s_cbranch_execz .LBB276_561
; %bb.556:                              ;   in Loop: Header=BB276_15 Depth=1
	v_and_b32_e32 v36, 0x7f, v8
	v_mov_b32_e32 v119, 0x7c010000
	s_mov_b32 s44, exec_lo
	s_delay_alu instid0(VALU_DEP_2)
	v_cmpx_ne_u32_e32 0x7f, v36
	s_cbranch_execz .LBB276_560
; %bb.557:                              ;   in Loop: Header=BB276_15 Depth=1
	v_and_b32_e32 v1, 7, v8
	v_lshrrev_b32_e32 v7, 3, v36
	s_mov_b32 s45, exec_lo
	v_cmpx_gt_u32_e32 8, v36
; %bb.558:                              ;   in Loop: Header=BB276_15 Depth=1
	s_delay_alu instid0(VALU_DEP_3) | instskip(NEXT) | instid1(VALU_DEP_1)
	v_clz_i32_u32_e32 v1, v1
	v_min_u32_e32 v1, 32, v1
	s_delay_alu instid0(VALU_DEP_1) | instskip(NEXT) | instid1(VALU_DEP_1)
	v_subrev_nc_u32_e32 v7, 28, v1
	v_lshlrev_b64_e32 v[36:37], v7, v[8:9]
	s_delay_alu instid0(VALU_DEP_1)
	v_dual_sub_nc_u32 v7, 29, v1 :: v_dual_bitop2_b32 v1, 7, v36 bitop3:0x40
; %bb.559:                              ;   in Loop: Header=BB276_15 Depth=1
	s_or_b32 exec_lo, exec_lo, s45
	s_delay_alu instid0(VALU_DEP_1) | instskip(NEXT) | instid1(VALU_DEP_2)
	v_dual_lshlrev_b32 v8, 8, v8 :: v_dual_lshlrev_b32 v1, 23, v1
	v_lshl_add_u32 v7, v7, 10, 0x2000
	s_delay_alu instid0(VALU_DEP_1) | instskip(NEXT) | instid1(VALU_DEP_1)
	v_and_or_b32 v7, 0x8000, v8, v7
	v_lshl_or_b32 v119, v7, 16, v1
.LBB276_560:                            ;   in Loop: Header=BB276_15 Depth=1
	s_or_b32 exec_lo, exec_lo, s44
.LBB276_561:                            ;   in Loop: Header=BB276_15 Depth=1
	s_delay_alu instid0(SALU_CYCLE_1)
	s_or_b32 exec_lo, exec_lo, s43
.LBB276_562:                            ;   in Loop: Header=BB276_15 Depth=1
	s_delay_alu instid0(SALU_CYCLE_1) | instskip(SKIP_3) | instid1(VALU_DEP_2)
	s_or_b32 exec_lo, exec_lo, s42
	v_and_b32_e32 v1, 0xff, v5
	v_mov_b32_e32 v8, v5
	s_mov_b32 s42, exec_lo
	v_cmpx_ne_u16_e32 0, v1
	s_cbranch_execz .LBB276_570
; %bb.563:                              ;   in Loop: Header=BB276_15 Depth=1
	v_mov_b32_e32 v118, 0x8000
	s_mov_b32 s43, exec_lo
	v_cmpx_ne_u16_e32 0x80, v1
	s_cbranch_execz .LBB276_569
; %bb.564:                              ;   in Loop: Header=BB276_15 Depth=1
	v_and_b32_e32 v36, 0x7f, v5
	v_mov_b32_e32 v118, 0x7c01
	s_mov_b32 s44, exec_lo
	s_delay_alu instid0(VALU_DEP_2)
	v_cmpx_ne_u32_e32 0x7f, v36
	s_cbranch_execz .LBB276_568
; %bb.565:                              ;   in Loop: Header=BB276_15 Depth=1
	v_dual_lshrrev_b32 v7, 3, v36 :: v_dual_bitop2_b32 v1, 7, v5 bitop3:0x40
	s_mov_b32 s45, exec_lo
	v_cmpx_gt_u32_e32 8, v36
; %bb.566:                              ;   in Loop: Header=BB276_15 Depth=1
	s_delay_alu instid0(VALU_DEP_2) | instskip(NEXT) | instid1(VALU_DEP_1)
	v_clz_i32_u32_e32 v1, v1
	v_min_u32_e32 v1, 32, v1
	s_delay_alu instid0(VALU_DEP_1) | instskip(NEXT) | instid1(VALU_DEP_1)
	v_subrev_nc_u32_e32 v7, 28, v1
	v_lshlrev_b64_e32 v[36:37], v7, v[8:9]
	s_delay_alu instid0(VALU_DEP_1)
	v_dual_sub_nc_u32 v7, 29, v1 :: v_dual_bitop2_b32 v1, 7, v36 bitop3:0x40
; %bb.567:                              ;   in Loop: Header=BB276_15 Depth=1
	s_or_b32 exec_lo, exec_lo, s45
	v_lshlrev_b32_e32 v12, 8, v5
	s_delay_alu instid0(VALU_DEP_2) | instskip(NEXT) | instid1(VALU_DEP_3)
	v_lshl_add_u32 v7, v7, 10, 0x2000
	v_lshlrev_b32_e32 v1, 7, v1
	s_delay_alu instid0(VALU_DEP_3) | instskip(NEXT) | instid1(VALU_DEP_3)
	v_and_b32_e32 v12, 0x8000, v12
	v_and_b32_e32 v7, 0xfc00, v7
	s_delay_alu instid0(VALU_DEP_1)
	v_or3_b32 v118, v12, v7, v1
.LBB276_568:                            ;   in Loop: Header=BB276_15 Depth=1
	s_or_b32 exec_lo, exec_lo, s44
.LBB276_569:                            ;   in Loop: Header=BB276_15 Depth=1
	s_delay_alu instid0(SALU_CYCLE_1)
	s_or_b32 exec_lo, exec_lo, s43
.LBB276_570:                            ;   in Loop: Header=BB276_15 Depth=1
	s_delay_alu instid0(SALU_CYCLE_1) | instskip(SKIP_3) | instid1(VALU_DEP_2)
	s_or_b32 exec_lo, exec_lo, s42
	v_lshrrev_b16 v8, 8, v8
	v_dual_mov_b32 v121, 0 :: v_dual_mov_b32 v120, 0
	s_mov_b32 s42, exec_lo
	v_cmpx_ne_u16_e32 0, v8
	s_cbranch_execz .LBB276_578
; %bb.571:                              ;   in Loop: Header=BB276_15 Depth=1
	v_bfrev_b32_e32 v120, 1
	s_mov_b32 s43, exec_lo
	v_cmpx_ne_u16_e32 0x80, v8
	s_cbranch_execz .LBB276_577
; %bb.572:                              ;   in Loop: Header=BB276_15 Depth=1
	v_and_b32_e32 v1, 0xffff, v8
	v_mov_b32_e32 v120, 0x7c010000
	s_mov_b32 s44, exec_lo
	s_delay_alu instid0(VALU_DEP_2) | instskip(NEXT) | instid1(VALU_DEP_1)
	v_and_b32_e32 v37, 0x7f, v1
	v_cmpx_ne_u32_e32 0x7f, v37
	s_cbranch_execz .LBB276_576
; %bb.573:                              ;   in Loop: Header=BB276_15 Depth=1
	v_and_b32_e32 v7, 7, v1
	v_lshrrev_b32_e32 v36, 3, v37
	s_mov_b32 s45, exec_lo
	v_cmpx_gt_u32_e32 8, v37
; %bb.574:                              ;   in Loop: Header=BB276_15 Depth=1
	s_delay_alu instid0(VALU_DEP_3) | instskip(NEXT) | instid1(VALU_DEP_1)
	v_clz_i32_u32_e32 v7, v7
	v_min_u32_e32 v7, 32, v7
	s_delay_alu instid0(VALU_DEP_1) | instskip(NEXT) | instid1(VALU_DEP_1)
	v_subrev_nc_u32_e32 v12, 28, v7
	v_lshlrev_b64_e32 v[38:39], v12, v[8:9]
	s_delay_alu instid0(VALU_DEP_1)
	v_dual_sub_nc_u32 v36, 29, v7 :: v_dual_bitop2_b32 v7, 7, v38 bitop3:0x40
; %bb.575:                              ;   in Loop: Header=BB276_15 Depth=1
	s_or_b32 exec_lo, exec_lo, s45
	s_delay_alu instid0(VALU_DEP_1) | instskip(NEXT) | instid1(VALU_DEP_2)
	v_dual_lshlrev_b32 v1, 8, v1 :: v_dual_lshlrev_b32 v7, 23, v7
	v_lshl_add_u32 v8, v36, 10, 0x2000
	s_delay_alu instid0(VALU_DEP_1) | instskip(NEXT) | instid1(VALU_DEP_1)
	v_and_or_b32 v1, 0x8000, v1, v8
	v_lshl_or_b32 v120, v1, 16, v7
.LBB276_576:                            ;   in Loop: Header=BB276_15 Depth=1
	s_or_b32 exec_lo, exec_lo, s44
.LBB276_577:                            ;   in Loop: Header=BB276_15 Depth=1
	s_delay_alu instid0(SALU_CYCLE_1)
	s_or_b32 exec_lo, exec_lo, s43
.LBB276_578:                            ;   in Loop: Header=BB276_15 Depth=1
	s_delay_alu instid0(SALU_CYCLE_1) | instskip(SKIP_2) | instid1(VALU_DEP_1)
	s_or_b32 exec_lo, exec_lo, s42
	v_lshrrev_b32_e32 v8, 16, v5
	s_mov_b32 s42, exec_lo
	v_and_b32_e32 v1, 0xff, v8
	s_delay_alu instid0(VALU_DEP_1)
	v_cmpx_ne_u16_e32 0, v1
	s_cbranch_execz .LBB276_586
; %bb.579:                              ;   in Loop: Header=BB276_15 Depth=1
	v_mov_b32_e32 v121, 0x8000
	s_mov_b32 s43, exec_lo
	v_cmpx_ne_u16_e32 0x80, v1
	s_cbranch_execz .LBB276_585
; %bb.580:                              ;   in Loop: Header=BB276_15 Depth=1
	v_bfe_u32 v36, v5, 16, 7
	v_mov_b32_e32 v121, 0x7c01
	s_mov_b32 s44, exec_lo
	s_delay_alu instid0(VALU_DEP_2)
	v_cmpx_ne_u32_e32 0x7f, v36
	s_cbranch_execz .LBB276_584
; %bb.581:                              ;   in Loop: Header=BB276_15 Depth=1
	v_and_b32_e32 v1, 7, v8
	v_lshrrev_b32_e32 v7, 3, v36
	s_mov_b32 s45, exec_lo
	v_cmpx_gt_u32_e32 8, v36
; %bb.582:                              ;   in Loop: Header=BB276_15 Depth=1
	s_delay_alu instid0(VALU_DEP_3) | instskip(NEXT) | instid1(VALU_DEP_1)
	v_clz_i32_u32_e32 v1, v1
	v_min_u32_e32 v1, 32, v1
	s_delay_alu instid0(VALU_DEP_1) | instskip(NEXT) | instid1(VALU_DEP_1)
	v_subrev_nc_u32_e32 v7, 28, v1
	v_lshlrev_b64_e32 v[36:37], v7, v[8:9]
	s_delay_alu instid0(VALU_DEP_1)
	v_dual_sub_nc_u32 v7, 29, v1 :: v_dual_bitop2_b32 v1, 7, v36 bitop3:0x40
; %bb.583:                              ;   in Loop: Header=BB276_15 Depth=1
	s_or_b32 exec_lo, exec_lo, s45
	s_delay_alu instid0(VALU_DEP_1) | instskip(NEXT) | instid1(VALU_DEP_2)
	v_dual_lshlrev_b32 v8, 8, v8 :: v_dual_lshlrev_b32 v1, 7, v1
	v_lshl_add_u32 v7, v7, 10, 0x2000
	s_delay_alu instid0(VALU_DEP_2) | instskip(NEXT) | instid1(VALU_DEP_2)
	v_and_b32_e32 v8, 0x8000, v8
	v_and_b32_e32 v7, 0xfc00, v7
	s_delay_alu instid0(VALU_DEP_1)
	v_or3_b32 v121, v8, v7, v1
.LBB276_584:                            ;   in Loop: Header=BB276_15 Depth=1
	s_or_b32 exec_lo, exec_lo, s44
.LBB276_585:                            ;   in Loop: Header=BB276_15 Depth=1
	s_delay_alu instid0(SALU_CYCLE_1)
	s_or_b32 exec_lo, exec_lo, s43
.LBB276_586:                            ;   in Loop: Header=BB276_15 Depth=1
	s_delay_alu instid0(SALU_CYCLE_1)
	s_or_b32 exec_lo, exec_lo, s42
	v_dual_mov_b32 v122, 0 :: v_dual_mov_b32 v123, 0
	s_mov_b32 s42, exec_lo
	v_cmpx_lt_u64_e64 s[26:27], v[4:5]
	s_cbranch_execz .LBB276_594
; %bb.587:                              ;   in Loop: Header=BB276_15 Depth=1
	v_lshrrev_b32_e32 v8, 24, v5
	v_bfrev_b32_e32 v123, 1
	s_mov_b32 s43, exec_lo
	s_delay_alu instid0(VALU_DEP_2)
	v_cmpx_ne_u32_e32 0x80, v8
	s_cbranch_execz .LBB276_593
; %bb.588:                              ;   in Loop: Header=BB276_15 Depth=1
	v_and_b32_e32 v5, 0x7f, v8
	v_mov_b32_e32 v123, 0x7c010000
	s_mov_b32 s44, exec_lo
	s_delay_alu instid0(VALU_DEP_2)
	v_cmpx_ne_u32_e32 0x7f, v5
	s_cbranch_execz .LBB276_592
; %bb.589:                              ;   in Loop: Header=BB276_15 Depth=1
	v_dual_lshrrev_b32 v4, 3, v5 :: v_dual_bitop2_b32 v1, 7, v8 bitop3:0x40
	s_mov_b32 s45, exec_lo
	v_cmpx_gt_u32_e32 8, v5
; %bb.590:                              ;   in Loop: Header=BB276_15 Depth=1
	s_delay_alu instid0(VALU_DEP_2) | instskip(NEXT) | instid1(VALU_DEP_1)
	v_clz_i32_u32_e32 v1, v1
	v_min_u32_e32 v1, 32, v1
	s_delay_alu instid0(VALU_DEP_1) | instskip(NEXT) | instid1(VALU_DEP_1)
	v_subrev_nc_u32_e32 v4, 28, v1
	v_lshlrev_b64_e32 v[36:37], v4, v[8:9]
	s_delay_alu instid0(VALU_DEP_1)
	v_dual_sub_nc_u32 v4, 29, v1 :: v_dual_bitop2_b32 v1, 7, v36 bitop3:0x40
; %bb.591:                              ;   in Loop: Header=BB276_15 Depth=1
	s_or_b32 exec_lo, exec_lo, s45
	s_delay_alu instid0(VALU_DEP_1) | instskip(NEXT) | instid1(VALU_DEP_2)
	v_dual_lshlrev_b32 v5, 8, v8 :: v_dual_lshlrev_b32 v1, 23, v1
	v_lshl_add_u32 v4, v4, 10, 0x2000
	s_delay_alu instid0(VALU_DEP_1) | instskip(NEXT) | instid1(VALU_DEP_1)
	v_and_or_b32 v4, 0x8000, v5, v4
	v_lshl_or_b32 v123, v4, 16, v1
.LBB276_592:                            ;   in Loop: Header=BB276_15 Depth=1
	s_or_b32 exec_lo, exec_lo, s44
.LBB276_593:                            ;   in Loop: Header=BB276_15 Depth=1
	s_delay_alu instid0(SALU_CYCLE_1)
	s_or_b32 exec_lo, exec_lo, s43
.LBB276_594:                            ;   in Loop: Header=BB276_15 Depth=1
	s_delay_alu instid0(SALU_CYCLE_1)
	s_or_b32 exec_lo, exec_lo, s42
	global_load_b64 v[2:3], v[2:3], off offset:2056
	s_mov_b32 s42, exec_lo
	s_wait_loadcnt 0x0
	v_and_b32_e32 v1, 0xff, v2
	s_wait_xcnt 0x0
	s_delay_alu instid0(VALU_DEP_1)
	v_cmpx_ne_u16_e32 0, v1
	s_cbranch_execz .LBB276_602
; %bb.595:                              ;   in Loop: Header=BB276_15 Depth=1
	v_mov_b32_e32 v122, 0x8000
	s_mov_b32 s43, exec_lo
	v_cmpx_ne_u16_e32 0x80, v1
	s_cbranch_execz .LBB276_601
; %bb.596:                              ;   in Loop: Header=BB276_15 Depth=1
	v_and_b32_e32 v5, 0x7f, v2
	v_mov_b32_e32 v122, 0x7c01
	s_mov_b32 s44, exec_lo
	s_delay_alu instid0(VALU_DEP_2)
	v_cmpx_ne_u32_e32 0x7f, v5
	s_cbranch_execz .LBB276_600
; %bb.597:                              ;   in Loop: Header=BB276_15 Depth=1
	v_dual_lshrrev_b32 v4, 3, v5 :: v_dual_bitop2_b32 v1, 7, v2 bitop3:0x40
	s_mov_b32 s45, exec_lo
	v_cmpx_gt_u32_e32 8, v5
; %bb.598:                              ;   in Loop: Header=BB276_15 Depth=1
	s_delay_alu instid0(VALU_DEP_2) | instskip(NEXT) | instid1(VALU_DEP_1)
	v_clz_i32_u32_e32 v1, v1
	v_min_u32_e32 v1, 32, v1
	s_delay_alu instid0(VALU_DEP_1) | instskip(NEXT) | instid1(VALU_DEP_1)
	v_subrev_nc_u32_e32 v4, 28, v1
	v_lshlrev_b64_e32 v[36:37], v4, v[2:3]
	s_delay_alu instid0(VALU_DEP_1)
	v_dual_sub_nc_u32 v4, 29, v1 :: v_dual_bitop2_b32 v1, 7, v36 bitop3:0x40
; %bb.599:                              ;   in Loop: Header=BB276_15 Depth=1
	s_or_b32 exec_lo, exec_lo, s45
	s_delay_alu instid0(VALU_DEP_1) | instskip(NEXT) | instid1(VALU_DEP_2)
	v_dual_lshlrev_b32 v5, 8, v2 :: v_dual_lshlrev_b32 v1, 7, v1
	v_lshl_add_u32 v4, v4, 10, 0x2000
	s_delay_alu instid0(VALU_DEP_2) | instskip(NEXT) | instid1(VALU_DEP_2)
	v_and_b32_e32 v5, 0x8000, v5
	v_and_b32_e32 v4, 0xfc00, v4
	s_delay_alu instid0(VALU_DEP_1)
	v_or3_b32 v122, v5, v4, v1
.LBB276_600:                            ;   in Loop: Header=BB276_15 Depth=1
	s_or_b32 exec_lo, exec_lo, s44
.LBB276_601:                            ;   in Loop: Header=BB276_15 Depth=1
	s_delay_alu instid0(SALU_CYCLE_1)
	s_or_b32 exec_lo, exec_lo, s43
.LBB276_602:                            ;   in Loop: Header=BB276_15 Depth=1
	s_delay_alu instid0(SALU_CYCLE_1) | instskip(SKIP_3) | instid1(VALU_DEP_2)
	s_or_b32 exec_lo, exec_lo, s42
	v_lshrrev_b16 v8, 8, v2
	v_dual_mov_b32 v124, 0 :: v_dual_mov_b32 v125, 0
	s_mov_b32 s42, exec_lo
	v_cmpx_ne_u16_e32 0, v8
	s_cbranch_execz .LBB276_610
; %bb.603:                              ;   in Loop: Header=BB276_15 Depth=1
	v_bfrev_b32_e32 v125, 1
	s_mov_b32 s43, exec_lo
	v_cmpx_ne_u16_e32 0x80, v8
	s_cbranch_execz .LBB276_609
; %bb.604:                              ;   in Loop: Header=BB276_15 Depth=1
	v_and_b32_e32 v1, 0xffff, v8
	v_mov_b32_e32 v125, 0x7c010000
	s_mov_b32 s44, exec_lo
	s_delay_alu instid0(VALU_DEP_2) | instskip(NEXT) | instid1(VALU_DEP_1)
	v_and_b32_e32 v7, 0x7f, v1
	v_cmpx_ne_u32_e32 0x7f, v7
	s_cbranch_execz .LBB276_608
; %bb.605:                              ;   in Loop: Header=BB276_15 Depth=1
	v_dual_lshrrev_b32 v5, 3, v7 :: v_dual_bitop2_b32 v4, 7, v1 bitop3:0x40
	s_mov_b32 s45, exec_lo
	v_cmpx_gt_u32_e32 8, v7
; %bb.606:                              ;   in Loop: Header=BB276_15 Depth=1
	s_delay_alu instid0(VALU_DEP_2) | instskip(NEXT) | instid1(VALU_DEP_1)
	v_clz_i32_u32_e32 v4, v4
	v_min_u32_e32 v7, 32, v4
	s_delay_alu instid0(VALU_DEP_1) | instskip(NEXT) | instid1(VALU_DEP_1)
	v_subrev_nc_u32_e32 v4, 28, v7
	v_lshlrev_b64_e32 v[4:5], v4, v[8:9]
	s_delay_alu instid0(VALU_DEP_1)
	v_dual_sub_nc_u32 v5, 29, v7 :: v_dual_bitop2_b32 v4, 7, v4 bitop3:0x40
; %bb.607:                              ;   in Loop: Header=BB276_15 Depth=1
	s_or_b32 exec_lo, exec_lo, s45
	s_delay_alu instid0(VALU_DEP_1) | instskip(NEXT) | instid1(VALU_DEP_2)
	v_dual_lshlrev_b32 v1, 8, v1 :: v_dual_lshlrev_b32 v4, 23, v4
	v_lshl_add_u32 v5, v5, 10, 0x2000
	s_delay_alu instid0(VALU_DEP_1) | instskip(NEXT) | instid1(VALU_DEP_1)
	v_and_or_b32 v1, 0x8000, v1, v5
	v_lshl_or_b32 v125, v1, 16, v4
.LBB276_608:                            ;   in Loop: Header=BB276_15 Depth=1
	s_or_b32 exec_lo, exec_lo, s44
.LBB276_609:                            ;   in Loop: Header=BB276_15 Depth=1
	s_delay_alu instid0(SALU_CYCLE_1)
	s_or_b32 exec_lo, exec_lo, s43
.LBB276_610:                            ;   in Loop: Header=BB276_15 Depth=1
	s_delay_alu instid0(SALU_CYCLE_1) | instskip(SKIP_2) | instid1(VALU_DEP_1)
	s_or_b32 exec_lo, exec_lo, s42
	v_lshrrev_b32_e32 v4, 16, v2
	s_mov_b32 s42, exec_lo
	v_and_b32_e32 v1, 0xff, v4
	s_delay_alu instid0(VALU_DEP_1)
	v_cmpx_ne_u16_e32 0, v1
	s_cbranch_execz .LBB276_618
; %bb.611:                              ;   in Loop: Header=BB276_15 Depth=1
	v_mov_b32_e32 v124, 0x8000
	s_mov_b32 s43, exec_lo
	v_cmpx_ne_u16_e32 0x80, v1
	s_cbranch_execz .LBB276_617
; %bb.612:                              ;   in Loop: Header=BB276_15 Depth=1
	v_bfe_u32 v7, v2, 16, 7
	v_mov_b32_e32 v124, 0x7c01
	s_mov_b32 s44, exec_lo
	s_delay_alu instid0(VALU_DEP_2)
	v_cmpx_ne_u32_e32 0x7f, v7
	s_cbranch_execz .LBB276_616
; %bb.613:                              ;   in Loop: Header=BB276_15 Depth=1
	v_dual_lshrrev_b32 v5, 3, v7 :: v_dual_bitop2_b32 v1, 7, v4 bitop3:0x40
	s_mov_b32 s45, exec_lo
	v_cmpx_gt_u32_e32 8, v7
; %bb.614:                              ;   in Loop: Header=BB276_15 Depth=1
	s_delay_alu instid0(VALU_DEP_2) | instskip(NEXT) | instid1(VALU_DEP_1)
	v_clz_i32_u32_e32 v1, v1
	v_min_u32_e32 v1, 32, v1
	s_delay_alu instid0(VALU_DEP_1) | instskip(NEXT) | instid1(VALU_DEP_1)
	v_subrev_nc_u32_e32 v5, 28, v1
	v_lshlrev_b64_e32 v[36:37], v5, v[4:5]
	s_delay_alu instid0(VALU_DEP_1)
	v_dual_sub_nc_u32 v5, 29, v1 :: v_dual_bitop2_b32 v1, 7, v36 bitop3:0x40
; %bb.615:                              ;   in Loop: Header=BB276_15 Depth=1
	s_or_b32 exec_lo, exec_lo, s45
	s_delay_alu instid0(VALU_DEP_1) | instskip(NEXT) | instid1(VALU_DEP_2)
	v_dual_lshlrev_b32 v4, 8, v4 :: v_dual_lshlrev_b32 v1, 7, v1
	v_lshl_add_u32 v5, v5, 10, 0x2000
	s_delay_alu instid0(VALU_DEP_2) | instskip(NEXT) | instid1(VALU_DEP_2)
	v_and_b32_e32 v4, 0x8000, v4
	v_and_b32_e32 v5, 0xfc00, v5
	s_delay_alu instid0(VALU_DEP_1)
	v_or3_b32 v124, v4, v5, v1
.LBB276_616:                            ;   in Loop: Header=BB276_15 Depth=1
	s_or_b32 exec_lo, exec_lo, s44
.LBB276_617:                            ;   in Loop: Header=BB276_15 Depth=1
	s_delay_alu instid0(SALU_CYCLE_1)
	s_or_b32 exec_lo, exec_lo, s43
.LBB276_618:                            ;   in Loop: Header=BB276_15 Depth=1
	s_delay_alu instid0(SALU_CYCLE_1)
	s_or_b32 exec_lo, exec_lo, s42
	v_dual_mov_b32 v127, 0 :: v_dual_mov_b32 v126, 0
	s_mov_b32 s42, exec_lo
	v_cmpx_lt_u32_e32 0xffffff, v2
	s_cbranch_execz .LBB276_626
; %bb.619:                              ;   in Loop: Header=BB276_15 Depth=1
	v_lshrrev_b32_e32 v8, 24, v2
	v_bfrev_b32_e32 v126, 1
	s_mov_b32 s43, exec_lo
	s_delay_alu instid0(VALU_DEP_2)
	v_cmpx_ne_u32_e32 0x80, v8
	s_cbranch_execz .LBB276_625
; %bb.620:                              ;   in Loop: Header=BB276_15 Depth=1
	v_and_b32_e32 v5, 0x7f, v8
	v_mov_b32_e32 v126, 0x7c010000
	s_mov_b32 s44, exec_lo
	s_delay_alu instid0(VALU_DEP_2)
	v_cmpx_ne_u32_e32 0x7f, v5
	s_cbranch_execz .LBB276_624
; %bb.621:                              ;   in Loop: Header=BB276_15 Depth=1
	v_dual_lshrrev_b32 v4, 3, v5 :: v_dual_bitop2_b32 v1, 7, v8 bitop3:0x40
	s_mov_b32 s45, exec_lo
	v_cmpx_gt_u32_e32 8, v5
; %bb.622:                              ;   in Loop: Header=BB276_15 Depth=1
	s_delay_alu instid0(VALU_DEP_2) | instskip(NEXT) | instid1(VALU_DEP_1)
	v_clz_i32_u32_e32 v1, v1
	v_min_u32_e32 v1, 32, v1
	s_delay_alu instid0(VALU_DEP_1) | instskip(NEXT) | instid1(VALU_DEP_1)
	v_subrev_nc_u32_e32 v4, 28, v1
	v_lshlrev_b64_e32 v[36:37], v4, v[8:9]
	s_delay_alu instid0(VALU_DEP_1)
	v_dual_sub_nc_u32 v4, 29, v1 :: v_dual_bitop2_b32 v1, 7, v36 bitop3:0x40
; %bb.623:                              ;   in Loop: Header=BB276_15 Depth=1
	s_or_b32 exec_lo, exec_lo, s45
	s_delay_alu instid0(VALU_DEP_1) | instskip(NEXT) | instid1(VALU_DEP_2)
	v_dual_lshlrev_b32 v5, 8, v8 :: v_dual_lshlrev_b32 v1, 23, v1
	v_lshl_add_u32 v4, v4, 10, 0x2000
	s_delay_alu instid0(VALU_DEP_1) | instskip(NEXT) | instid1(VALU_DEP_1)
	v_and_or_b32 v4, 0x8000, v5, v4
	v_lshl_or_b32 v126, v4, 16, v1
.LBB276_624:                            ;   in Loop: Header=BB276_15 Depth=1
	s_or_b32 exec_lo, exec_lo, s44
.LBB276_625:                            ;   in Loop: Header=BB276_15 Depth=1
	s_delay_alu instid0(SALU_CYCLE_1)
	s_or_b32 exec_lo, exec_lo, s43
.LBB276_626:                            ;   in Loop: Header=BB276_15 Depth=1
	s_delay_alu instid0(SALU_CYCLE_1) | instskip(SKIP_3) | instid1(VALU_DEP_2)
	s_or_b32 exec_lo, exec_lo, s42
	v_and_b32_e32 v1, 0xff, v3
	v_mov_b32_e32 v8, v3
	s_mov_b32 s42, exec_lo
	v_cmpx_ne_u16_e32 0, v1
	s_cbranch_execz .LBB276_634
; %bb.627:                              ;   in Loop: Header=BB276_15 Depth=1
	v_mov_b32_e32 v127, 0x8000
	s_mov_b32 s43, exec_lo
	v_cmpx_ne_u16_e32 0x80, v1
	s_cbranch_execz .LBB276_633
; %bb.628:                              ;   in Loop: Header=BB276_15 Depth=1
	v_and_b32_e32 v5, 0x7f, v3
	v_mov_b32_e32 v127, 0x7c01
	s_mov_b32 s44, exec_lo
	s_delay_alu instid0(VALU_DEP_2)
	v_cmpx_ne_u32_e32 0x7f, v5
	s_cbranch_execz .LBB276_632
; %bb.629:                              ;   in Loop: Header=BB276_15 Depth=1
	v_dual_lshrrev_b32 v4, 3, v5 :: v_dual_bitop2_b32 v1, 7, v3 bitop3:0x40
	s_mov_b32 s45, exec_lo
	v_cmpx_gt_u32_e32 8, v5
; %bb.630:                              ;   in Loop: Header=BB276_15 Depth=1
	s_delay_alu instid0(VALU_DEP_2) | instskip(NEXT) | instid1(VALU_DEP_1)
	v_clz_i32_u32_e32 v1, v1
	v_min_u32_e32 v1, 32, v1
	s_delay_alu instid0(VALU_DEP_1) | instskip(NEXT) | instid1(VALU_DEP_1)
	v_subrev_nc_u32_e32 v4, 28, v1
	v_lshlrev_b64_e32 v[36:37], v4, v[8:9]
	s_delay_alu instid0(VALU_DEP_1)
	v_dual_sub_nc_u32 v4, 29, v1 :: v_dual_bitop2_b32 v1, 7, v36 bitop3:0x40
; %bb.631:                              ;   in Loop: Header=BB276_15 Depth=1
	s_or_b32 exec_lo, exec_lo, s45
	s_delay_alu instid0(VALU_DEP_1) | instskip(NEXT) | instid1(VALU_DEP_2)
	v_dual_lshlrev_b32 v5, 8, v3 :: v_dual_lshlrev_b32 v1, 7, v1
	v_lshl_add_u32 v4, v4, 10, 0x2000
	s_delay_alu instid0(VALU_DEP_2) | instskip(NEXT) | instid1(VALU_DEP_2)
	v_and_b32_e32 v5, 0x8000, v5
	v_and_b32_e32 v4, 0xfc00, v4
	s_delay_alu instid0(VALU_DEP_1)
	v_or3_b32 v127, v5, v4, v1
.LBB276_632:                            ;   in Loop: Header=BB276_15 Depth=1
	s_or_b32 exec_lo, exec_lo, s44
.LBB276_633:                            ;   in Loop: Header=BB276_15 Depth=1
	s_delay_alu instid0(SALU_CYCLE_1)
	s_or_b32 exec_lo, exec_lo, s43
.LBB276_634:                            ;   in Loop: Header=BB276_15 Depth=1
	s_delay_alu instid0(SALU_CYCLE_1) | instskip(SKIP_3) | instid1(VALU_DEP_2)
	s_or_b32 exec_lo, exec_lo, s42
	v_lshrrev_b16 v8, 8, v8
	v_dual_mov_b32 v7, 0 :: v_dual_mov_b32 v1, 0
	s_mov_b32 s42, exec_lo
	v_cmpx_ne_u16_e32 0, v8
	s_cbranch_execz .LBB276_642
; %bb.635:                              ;   in Loop: Header=BB276_15 Depth=1
	v_bfrev_b32_e32 v1, 1
	s_mov_b32 s43, exec_lo
	v_cmpx_ne_u16_e32 0x80, v8
	s_cbranch_execz .LBB276_641
; %bb.636:                              ;   in Loop: Header=BB276_15 Depth=1
	v_and_b32_e32 v4, 0xffff, v8
	v_mov_b32_e32 v1, 0x7c010000
	s_mov_b32 s44, exec_lo
	s_delay_alu instid0(VALU_DEP_2) | instskip(NEXT) | instid1(VALU_DEP_1)
	v_and_b32_e32 v36, 0x7f, v4
	v_cmpx_ne_u32_e32 0x7f, v36
	s_cbranch_execz .LBB276_640
; %bb.637:                              ;   in Loop: Header=BB276_15 Depth=1
	v_and_b32_e32 v1, 7, v4
	v_lshrrev_b32_e32 v5, 3, v36
	s_mov_b32 s45, exec_lo
	v_cmpx_gt_u32_e32 8, v36
; %bb.638:                              ;   in Loop: Header=BB276_15 Depth=1
	s_delay_alu instid0(VALU_DEP_3) | instskip(NEXT) | instid1(VALU_DEP_1)
	v_clz_i32_u32_e32 v1, v1
	v_min_u32_e32 v1, 32, v1
	s_delay_alu instid0(VALU_DEP_1) | instskip(NEXT) | instid1(VALU_DEP_1)
	v_subrev_nc_u32_e32 v5, 28, v1
	v_lshlrev_b64_e32 v[36:37], v5, v[8:9]
	s_delay_alu instid0(VALU_DEP_1)
	v_dual_sub_nc_u32 v5, 29, v1 :: v_dual_bitop2_b32 v1, 7, v36 bitop3:0x40
; %bb.639:                              ;   in Loop: Header=BB276_15 Depth=1
	s_or_b32 exec_lo, exec_lo, s45
	s_delay_alu instid0(VALU_DEP_1) | instskip(NEXT) | instid1(VALU_DEP_2)
	v_dual_lshlrev_b32 v4, 8, v4 :: v_dual_lshlrev_b32 v1, 23, v1
	v_lshl_add_u32 v5, v5, 10, 0x2000
	s_delay_alu instid0(VALU_DEP_1) | instskip(NEXT) | instid1(VALU_DEP_1)
	v_and_or_b32 v4, 0x8000, v4, v5
	v_lshl_or_b32 v1, v4, 16, v1
.LBB276_640:                            ;   in Loop: Header=BB276_15 Depth=1
	s_or_b32 exec_lo, exec_lo, s44
.LBB276_641:                            ;   in Loop: Header=BB276_15 Depth=1
	s_delay_alu instid0(SALU_CYCLE_1)
	s_or_b32 exec_lo, exec_lo, s43
.LBB276_642:                            ;   in Loop: Header=BB276_15 Depth=1
	s_delay_alu instid0(SALU_CYCLE_1) | instskip(SKIP_2) | instid1(VALU_DEP_1)
	s_or_b32 exec_lo, exec_lo, s42
	v_lshrrev_b32_e32 v4, 16, v3
	s_mov_b32 s42, exec_lo
	v_and_b32_e32 v5, 0xff, v4
	s_delay_alu instid0(VALU_DEP_1)
	v_cmpx_ne_u16_e32 0, v5
	s_cbranch_execz .LBB276_650
; %bb.643:                              ;   in Loop: Header=BB276_15 Depth=1
	v_mov_b32_e32 v7, 0x8000
	s_mov_b32 s43, exec_lo
	v_cmpx_ne_u16_e32 0x80, v5
	s_cbranch_execz .LBB276_649
; %bb.644:                              ;   in Loop: Header=BB276_15 Depth=1
	v_bfe_u32 v8, v3, 16, 7
	v_mov_b32_e32 v7, 0x7c01
	s_mov_b32 s44, exec_lo
	s_delay_alu instid0(VALU_DEP_2)
	v_cmpx_ne_u32_e32 0x7f, v8
	s_cbranch_execz .LBB276_648
; %bb.645:                              ;   in Loop: Header=BB276_15 Depth=1
	v_and_b32_e32 v5, 7, v4
	v_lshrrev_b32_e32 v7, 3, v8
	s_mov_b32 s45, exec_lo
	v_cmpx_gt_u32_e32 8, v8
; %bb.646:                              ;   in Loop: Header=BB276_15 Depth=1
	s_delay_alu instid0(VALU_DEP_3) | instskip(NEXT) | instid1(VALU_DEP_1)
	v_clz_i32_u32_e32 v5, v5
	v_min_u32_e32 v5, 32, v5
	s_delay_alu instid0(VALU_DEP_1) | instskip(NEXT) | instid1(VALU_DEP_1)
	v_subrev_nc_u32_e32 v7, 28, v5
	v_lshlrev_b64_e32 v[36:37], v7, v[4:5]
	s_delay_alu instid0(VALU_DEP_1)
	v_dual_sub_nc_u32 v7, 29, v5 :: v_dual_bitop2_b32 v5, 7, v36 bitop3:0x40
; %bb.647:                              ;   in Loop: Header=BB276_15 Depth=1
	s_or_b32 exec_lo, exec_lo, s45
	s_delay_alu instid0(VALU_DEP_1) | instskip(NEXT) | instid1(VALU_DEP_2)
	v_dual_lshlrev_b32 v4, 8, v4 :: v_dual_lshlrev_b32 v5, 7, v5
	v_lshl_add_u32 v7, v7, 10, 0x2000
	s_delay_alu instid0(VALU_DEP_2) | instskip(NEXT) | instid1(VALU_DEP_2)
	v_and_b32_e32 v4, 0x8000, v4
	v_and_b32_e32 v7, 0xfc00, v7
	s_delay_alu instid0(VALU_DEP_1)
	v_or3_b32 v7, v4, v7, v5
.LBB276_648:                            ;   in Loop: Header=BB276_15 Depth=1
	s_or_b32 exec_lo, exec_lo, s44
.LBB276_649:                            ;   in Loop: Header=BB276_15 Depth=1
	s_delay_alu instid0(SALU_CYCLE_1)
	s_or_b32 exec_lo, exec_lo, s43
.LBB276_650:                            ;   in Loop: Header=BB276_15 Depth=1
	s_delay_alu instid0(SALU_CYCLE_1)
	s_or_b32 exec_lo, exec_lo, s42
	v_mov_b32_e32 v112, 0
	s_mov_b32 s42, exec_lo
	v_cmpx_lt_u64_e64 s[26:27], v[2:3]
	s_cbranch_execz .LBB276_13
; %bb.651:                              ;   in Loop: Header=BB276_15 Depth=1
	v_lshrrev_b32_e32 v8, 24, v3
	v_bfrev_b32_e32 v112, 1
	s_mov_b32 s43, exec_lo
	s_delay_alu instid0(VALU_DEP_2)
	v_cmpx_ne_u32_e32 0x80, v8
	s_cbranch_execz .LBB276_12
; %bb.652:                              ;   in Loop: Header=BB276_15 Depth=1
	v_and_b32_e32 v4, 0x7f, v8
	v_mov_b32_e32 v112, 0x7c010000
	s_mov_b32 s44, exec_lo
	s_delay_alu instid0(VALU_DEP_2)
	v_cmpx_ne_u32_e32 0x7f, v4
	s_cbranch_execz .LBB276_11
; %bb.653:                              ;   in Loop: Header=BB276_15 Depth=1
	v_and_b32_e32 v2, 7, v8
	v_lshrrev_b32_e32 v3, 3, v4
	s_mov_b32 s45, exec_lo
	v_cmpx_gt_u32_e32 8, v4
	s_cbranch_execz .LBB276_10
; %bb.654:                              ;   in Loop: Header=BB276_15 Depth=1
	v_clz_i32_u32_e32 v2, v2
	s_delay_alu instid0(VALU_DEP_1) | instskip(NEXT) | instid1(VALU_DEP_1)
	v_min_u32_e32 v4, 32, v2
	v_subrev_nc_u32_e32 v2, 28, v4
	s_delay_alu instid0(VALU_DEP_1) | instskip(NEXT) | instid1(VALU_DEP_1)
	v_lshlrev_b64_e32 v[2:3], v2, v[8:9]
	v_dual_sub_nc_u32 v3, 29, v4 :: v_dual_bitop2_b32 v2, 7, v2 bitop3:0x40
	s_branch .LBB276_10
.LBB276_655:
	s_or_b32 exec_lo, exec_lo, s15
	v_dual_lshrrev_b32 v115, 5, v0 :: v_dual_lshrrev_b32 v26, 3, v0
	v_lshlrev_b32_e32 v11, 2, v113
.LBB276_656:
	s_or_b32 exec_lo, exec_lo, s24
	v_mbcnt_lo_u32_b32 v4, -1, 0
	s_clause 0x1
	s_load_b64 s[8:9], s[0:1], 0x0
	s_load_b64 s[24:25], s[0:1], 0x18
	s_delay_alu instid0(VALU_DEP_1) | instskip(SKIP_1) | instid1(VALU_DEP_2)
	v_dual_max_num_f32 v5, v114, v114 :: v_dual_bitop2_b32 v1, 16, v4 bitop3:0x14
	v_xor_b32_e32 v3, 8, v4
	v_cmp_gt_i32_e32 vcc_lo, 32, v1
	v_cndmask_b32_e32 v1, v4, v1, vcc_lo
	s_delay_alu instid0(VALU_DEP_3) | instskip(NEXT) | instid1(VALU_DEP_2)
	v_cmp_gt_i32_e32 vcc_lo, 32, v3
	v_dual_lshlrev_b32 v1, 2, v1 :: v_dual_cndmask_b32 v3, v4, v3, vcc_lo
	ds_bpermute_b32 v2, v1, v114
	s_wait_dscnt 0x0
	v_dual_max_num_f32 v7, v2, v2 :: v_dual_lshlrev_b32 v2, 2, v3
	s_delay_alu instid0(VALU_DEP_1) | instskip(SKIP_4) | instid1(VALU_DEP_1)
	v_dual_max_num_f32 v5, v5, v7 :: v_dual_bitop2_b32 v7, 4, v4 bitop3:0x14
	ds_bpermute_b32 v3, v2, v5
	v_cmp_gt_i32_e32 vcc_lo, 32, v7
	s_wait_dscnt 0x0
	v_max_num_f32_e32 v8, v3, v3
	v_dual_cndmask_b32 v7, v4, v7, vcc_lo :: v_dual_max_num_f32 v5, v5, v8
	s_delay_alu instid0(VALU_DEP_1) | instskip(SKIP_4) | instid1(VALU_DEP_1)
	v_dual_lshlrev_b32 v3, 2, v7 :: v_dual_bitop2_b32 v8, 2, v4 bitop3:0x14
	ds_bpermute_b32 v7, v3, v5
	v_cmp_gt_i32_e32 vcc_lo, 32, v8
	s_wait_dscnt 0x0
	v_dual_cndmask_b32 v8, v4, v8 :: v_dual_max_num_f32 v7, v7, v7
	v_dual_max_num_f32 v5, v5, v7 :: v_dual_lshlrev_b32 v32, 2, v8
	ds_bpermute_b32 v7, v32, v5
	s_wait_dscnt 0x0
	v_dual_max_num_f32 v7, v7, v7 :: v_dual_bitop2_b32 v8, 1, v4 bitop3:0x14
	s_delay_alu instid0(VALU_DEP_1) | instskip(NEXT) | instid1(VALU_DEP_2)
	v_cmp_gt_i32_e32 vcc_lo, 32, v8
	v_dual_max_num_f32 v5, v5, v7 :: v_dual_cndmask_b32 v4, v4, v8
	v_cmp_eq_u32_e32 vcc_lo, 0, v113
	s_delay_alu instid0(VALU_DEP_2)
	v_dual_lshlrev_b32 v31, 2, v4 :: v_dual_lshlrev_b32 v4, 2, v115
	ds_bpermute_b32 v7, v31, v5
	s_wait_xcnt 0x0
	s_and_saveexec_b32 s0, vcc_lo
	s_cbranch_execz .LBB276_658
; %bb.657:
	s_wait_dscnt 0x0
	v_dual_max_num_f32 v7, v7, v7 :: v_dual_max_num_f32 v5, v5, v5
	s_delay_alu instid0(VALU_DEP_1)
	v_max_num_f32_e32 v5, v5, v7
	ds_store_b32 v4, v5 offset:160
.LBB276_658:
	s_or_b32 exec_lo, exec_lo, s0
	v_cmp_gt_u32_e64 s0, 4, v113
	v_mov_b32_e32 v5, 0xff7fffff
	s_wait_storecnt_dscnt 0x0
	s_barrier_signal -1
	s_barrier_wait -1
	s_and_saveexec_b32 s1, s0
; %bb.659:
	ds_load_b32 v5, v11 offset:160
; %bb.660:
	s_or_b32 exec_lo, exec_lo, s1
	s_wait_dscnt 0x0
	ds_bpermute_b32 v7, v32, v5
	v_max_num_f32_e32 v5, v5, v5
	s_lshl_b32 s1, s36, 5
	s_delay_alu instid0(SALU_CYCLE_1) | instskip(NEXT) | instid1(SALU_CYCLE_1)
	s_min_i32 s4, s1, s34
	v_cmp_gt_i32_e64 s1, s4, v0
	s_wait_dscnt 0x0
	v_max_num_f32_e32 v7, v7, v7
	s_delay_alu instid0(VALU_DEP_1) | instskip(SKIP_3) | instid1(VALU_DEP_1)
	v_max_num_f32_e32 v5, v5, v7
	ds_bpermute_b32 v7, v31, v5
	s_wait_dscnt 0x0
	v_max_num_f32_e32 v7, v7, v7
	v_dual_max_num_f32 v7, v5, v7 :: v_dual_mov_b32 v5, 0
	ds_bpermute_b32 v7, v5, v7
	s_and_saveexec_b32 s15, s1
	s_cbranch_execz .LBB276_664
; %bb.661:
	v_lshl_add_u32 v8, v0, 2, 0xc0
	v_dual_mov_b32 v5, 0 :: v_dual_mov_b32 v9, v0
	s_mov_b32 s26, 0
.LBB276_662:                            ; =>This Inner Loop Header: Depth=1
	ds_load_b32 v10, v8
	v_add_nc_u32_e32 v9, 0x80, v9
	s_delay_alu instid0(VALU_DEP_1) | instskip(SKIP_3) | instid1(VALU_DEP_1)
	v_cmp_le_i32_e64 s3, s4, v9
	s_or_b32 s26, s3, s26
	s_wait_dscnt 0x0
	v_sub_f32_e32 v10, v10, v7
	v_mul_f32_e32 v10, 0x3fb8aa3b, v10
	s_delay_alu instid0(VALU_DEP_1)
	v_exp_f32_e32 v10, v10
	ds_store_b32 v8, v10
	v_nop
	v_dual_add_f32 v5, v5, v10 :: v_dual_add_nc_u32 v8, 0x200, v8
	s_and_not1_b32 exec_lo, exec_lo, s26
	s_cbranch_execnz .LBB276_662
; %bb.663:
	s_or_b32 exec_lo, exec_lo, s26
.LBB276_664:
	s_delay_alu instid0(SALU_CYCLE_1)
	s_or_b32 exec_lo, exec_lo, s15
	ds_bpermute_b32 v1, v1, v5
	s_wait_dscnt 0x0
	v_add_f32_e32 v1, v5, v1
	ds_bpermute_b32 v2, v2, v1
	s_wait_dscnt 0x0
	v_add_f32_e32 v1, v1, v2
	;; [unrolled: 3-line block ×5, first 2 shown]
	s_and_saveexec_b32 s3, vcc_lo
; %bb.665:
	ds_store_b32 v4, v1 offset:176
; %bb.666:
	s_or_b32 exec_lo, exec_lo, s3
	s_wait_dscnt 0x0
	s_barrier_signal -1
	s_barrier_wait -1
	s_and_saveexec_b32 s3, s0
; %bb.667:
	ds_load_b32 v1, v11 offset:176
; %bb.668:
	s_or_b32 exec_lo, exec_lo, s3
	s_wait_dscnt 0x0
	ds_bpermute_b32 v2, v32, v1
	s_wait_dscnt 0x0
	v_dual_mov_b32 v3, 0 :: v_dual_add_f32 v1, v1, v2
	ds_bpermute_b32 v2, v31, v1
	s_wait_dscnt 0x0
	v_add_f32_e32 v1, v1, v2
	ds_bpermute_b32 v1, v3, v1
	s_and_saveexec_b32 s0, s1
	s_cbranch_execz .LBB276_681
; %bb.669:
	s_wait_dscnt 0x0
	v_add_f32_e32 v1, 0x358637bd, v1
	s_mov_b32 s3, -1
	s_mov_b32 s1, exec_lo
	s_delay_alu instid0(VALU_DEP_1) | instskip(NEXT) | instid1(VALU_DEP_1)
	v_div_scale_f32 v2, null, v1, v1, 1.0
	v_rcp_f32_e32 v4, v2
	v_nop
	s_delay_alu instid0(TRANS32_DEP_1) | instskip(NEXT) | instid1(VALU_DEP_1)
	v_fma_f32 v5, -v2, v4, 1.0
	v_fmac_f32_e32 v4, v5, v4
	v_div_scale_f32 v7, vcc_lo, 1.0, v1, 1.0
	s_delay_alu instid0(VALU_DEP_1) | instskip(NEXT) | instid1(VALU_DEP_1)
	v_mul_f32_e32 v5, v7, v4
	v_fma_f32 v8, -v2, v5, v7
	s_delay_alu instid0(VALU_DEP_1) | instskip(NEXT) | instid1(VALU_DEP_1)
	v_fmac_f32_e32 v5, v8, v4
	v_fma_f32 v7, -v2, v5, v7
	v_xad_u32 v2, v0, -1, s4
	s_delay_alu instid0(VALU_DEP_2) | instskip(NEXT) | instid1(VALU_DEP_1)
	v_div_fmas_f32 v4, v7, v4, v5
	v_div_fixup_f32 v4, v4, v1, 1.0
	v_mov_b32_e32 v1, v0
	s_delay_alu instid0(VALU_DEP_4)
	v_cmpx_lt_u32_e32 0x7f, v2
	s_cbranch_execz .LBB276_678
; %bb.670:
	s_delay_alu instid0(VALU_DEP_3) | instskip(NEXT) | instid1(VALU_DEP_1)
	v_dual_lshrrev_b32 v1, 7, v2 :: v_dual_mov_b32 v5, v4
	v_dual_mov_b32 v9, 0 :: v_dual_add_nc_u32 v2, -1, v1
	s_delay_alu instid0(VALU_DEP_1) | instskip(SKIP_1) | instid1(VALU_DEP_2)
	v_lshrrev_b32_e32 v7, 1, v2
	v_cmp_lt_u32_e32 vcc_lo, 13, v2
	v_add_nc_u32_e32 v2, 1, v7
	s_and_saveexec_b32 s3, vcc_lo
	s_cbranch_execz .LBB276_674
; %bb.671:
	s_delay_alu instid0(VALU_DEP_1)
	v_and_b32_e32 v7, -8, v2
	v_lshl_add_u32 v8, v0, 2, 0xc0
	s_mov_b32 s15, 0
	s_mov_b32 s26, 0
.LBB276_672:                            ; =>This Inner Loop Header: Depth=1
	ds_load_2addr_stride64_b32 v[10:11], v8 offset1:2
	ds_load_2addr_stride64_b32 v[12:13], v8 offset0:4 offset1:6
	ds_load_2addr_stride64_b32 v[14:15], v8 offset0:8 offset1:10
	;; [unrolled: 1-line block ×7, first 2 shown]
	s_add_co_i32 s26, s26, 16
	s_delay_alu instid0(SALU_CYCLE_1) | instskip(NEXT) | instid1(VALU_DEP_1)
	v_dual_add_nc_u32 v7, -8, v7 :: v_dual_mov_b32 v9, s26
	v_cmp_eq_u32_e32 vcc_lo, 0, v7
	s_or_b32 s15, vcc_lo, s15
	s_wait_dscnt 0x7
	v_pk_mul_f32 v[10:11], v[4:5], v[10:11]
	s_wait_dscnt 0x6
	v_pk_mul_f32 v[12:13], v[4:5], v[12:13]
	;; [unrolled: 2-line block ×8, first 2 shown]
	ds_store_2addr_stride64_b32 v8, v10, v11 offset1:2
	ds_store_2addr_stride64_b32 v8, v12, v13 offset0:4 offset1:6
	ds_store_2addr_stride64_b32 v8, v14, v15 offset0:8 offset1:10
	ds_store_2addr_stride64_b32 v8, v16, v17 offset0:12 offset1:14
	ds_store_2addr_stride64_b32 v8, v18, v19 offset0:16 offset1:18
	ds_store_2addr_stride64_b32 v8, v20, v21 offset0:20 offset1:22
	ds_store_2addr_stride64_b32 v8, v22, v23 offset0:24 offset1:26
	ds_store_2addr_stride64_b32 v8, v24, v25 offset0:28 offset1:30
	v_add_nc_u32_e32 v8, 0x2000, v8
	s_and_not1_b32 exec_lo, exec_lo, s15
	s_cbranch_execnz .LBB276_672
; %bb.673:
	s_or_b32 exec_lo, exec_lo, s15
.LBB276_674:
	s_delay_alu instid0(SALU_CYCLE_1) | instskip(NEXT) | instid1(VALU_DEP_1)
	s_or_b32 exec_lo, exec_lo, s3
	v_and_b32_e32 v2, 7, v2
	s_mov_b32 s15, 0
	s_mov_b32 s3, exec_lo
	s_delay_alu instid0(VALU_DEP_1)
	v_cmpx_ne_u32_e32 0, v2
	s_cbranch_execz .LBB276_677
; %bb.675:
	v_dual_lshlrev_b32 v7, 9, v9 :: v_dual_lshlrev_b32 v8, 2, v0
	s_delay_alu instid0(VALU_DEP_1)
	v_add3_u32 v7, v7, v8, 0xc0
.LBB276_676:                            ; =>This Inner Loop Header: Depth=1
	ds_load_2addr_stride64_b32 v[8:9], v7 offset1:2
	v_add_nc_u32_e32 v2, -1, v2
	s_delay_alu instid0(VALU_DEP_1)
	v_cmp_eq_u32_e32 vcc_lo, 0, v2
	s_or_b32 s15, vcc_lo, s15
	s_wait_dscnt 0x0
	v_pk_mul_f32 v[8:9], v[4:5], v[8:9]
	ds_store_2addr_stride64_b32 v7, v8, v9 offset1:2
	v_add_nc_u32_e32 v7, 0x400, v7
	s_and_not1_b32 exec_lo, exec_lo, s15
	s_cbranch_execnz .LBB276_676
.LBB276_677:
	s_or_b32 exec_lo, exec_lo, s3
	v_add_nc_u32_e32 v1, 1, v1
	s_delay_alu instid0(VALU_DEP_1) | instskip(NEXT) | instid1(VALU_DEP_1)
	v_and_b32_e32 v2, 0x3fffffe, v1
	v_cmp_ne_u32_e32 vcc_lo, v1, v2
	v_lshl_add_u32 v1, v2, 7, v0
	s_or_not1_b32 s3, vcc_lo, exec_lo
.LBB276_678:
	s_or_b32 exec_lo, exec_lo, s1
	s_delay_alu instid0(SALU_CYCLE_1)
	s_and_b32 exec_lo, exec_lo, s3
	s_cbranch_execz .LBB276_681
; %bb.679:
	v_lshl_add_u32 v2, v1, 2, 0xc0
	s_mov_b32 s1, 0
.LBB276_680:                            ; =>This Inner Loop Header: Depth=1
	ds_load_b32 v5, v2
	v_add_nc_u32_e32 v1, 0x80, v1
	s_delay_alu instid0(VALU_DEP_1)
	v_cmp_le_i32_e32 vcc_lo, s4, v1
	s_or_b32 s1, vcc_lo, s1
	s_wait_dscnt 0x0
	v_mul_f32_e32 v5, v4, v5
	ds_store_b32 v2, v5
	v_add_nc_u32_e32 v2, 0x200, v2
	s_and_not1_b32 exec_lo, exec_lo, s1
	s_cbranch_execnz .LBB276_680
.LBB276_681:
	s_or_b32 exec_lo, exec_lo, s0
	v_dual_mov_b32 v2, 0 :: v_dual_bitop2_b32 v33, 3, v0 bitop3:0x40
	v_dual_mov_b32 v5, 0 :: v_dual_mov_b32 v4, 0
	v_dual_mov_b32 v9, 0 :: v_dual_mov_b32 v8, 0
	;; [unrolled: 1-line block ×4, first 2 shown]
	s_wait_dscnt 0x0
	s_barrier_signal -1
	s_barrier_wait -1
	s_and_saveexec_b32 s1, s2
	s_cbranch_execz .LBB276_1347
; %bb.682:
	s_abs_i32 s6, s6
	v_dual_lshlrev_b32 v1, 3, v0 :: v_dual_mov_b32 v15, 0
	s_cvt_f32_u32 s0, s6
	s_ashr_i32 s15, s14, 31
	v_dual_mov_b32 v36, v115 :: v_dual_lshlrev_b32 v3, 5, v33
	s_delay_alu instid0(SALU_CYCLE_1)
	v_rcp_iflag_f32_e32 v2, s0
	v_and_b32_e32 v14, 0xf8, v1
	s_wait_kmcnt 0x0
	s_add_nc_u64 s[14:15], s[24:25], s[14:15]
	s_lshl_b64 s[22:23], s[22:23], 2
	s_sub_co_i32 s2, 0, s6
	v_dual_mov_b32 v12, 0 :: v_dual_bitop2_b32 v34, 24, v1 bitop3:0x40
	v_readfirstlane_b32 s0, v2
	v_add_nc_u64_e32 v[16:17], s[14:15], v[14:15]
	v_and_b32_e32 v14, 0x7c, v26
	v_lshl_or_b32 v2, v115, 7, v3
	s_add_nc_u64 s[14:15], s[20:21], s[22:23]
	s_mul_f32 s0, s0, 0x4f7ffffe
	v_dual_mov_b32 v13, 0 :: v_dual_mov_b32 v11, 0
	v_add_nc_u64_e32 v[18:19], s[14:15], v[14:15]
	s_delay_alu instid0(SALU_CYCLE_1) | instskip(SKIP_2) | instid1(SALU_CYCLE_1)
	s_cvt_u32_f32 s0, s0
	v_dual_mov_b32 v10, 0 :: v_dual_add_nc_u32 v35, 0xc0, v2
	v_dual_mov_b32 v8, 0 :: v_dual_mov_b32 v9, 0
	s_mul_i32 s2, s2, s0
	v_dual_mov_b32 v4, 0 :: v_dual_mov_b32 v5, 0
	v_dual_mov_b32 v2, 0 :: v_dual_mov_b32 v3, 0
	s_mov_b32 s3, 0
	s_mul_hi_u32 s2, s0, s2
	s_sub_co_i32 s26, s37, s5
	s_add_co_i32 s27, s36, -1
	s_mov_b64 s[4:5], 0xffffffffffffff
	s_mov_b32 s14, s34
	s_add_co_i32 s2, s0, s2
	s_mov_b32 s15, s3
	s_branch .LBB276_685
.LBB276_683:                            ;   in Loop: Header=BB276_685 Depth=1
	s_or_b32 exec_lo, exec_lo, s0
	v_dual_add_f32 v21, v45, v46 :: v_dual_add_f32 v23, v63, v64
	v_dual_add_f32 v22, v65, v66 :: v_dual_add_f32 v25, v59, v60
	;;#ASMSTART
	v_pk_mul_f16 v7, v51, v7;

	;;#ASMEND
	;;#ASMSTART
	v_pk_mul_f16 v20, v49, v20;

	;;#ASMEND
	;; [unrolled: 4-line block ×4, first 2 shown]
	;;#ASMSTART
	v_pk_add_f16 v7, v7, v20;

	;;#ASMEND
	;;#ASMSTART
	v_pk_add_f16 v1, v7, v1;

	;;#ASMEND
	;; [unrolled: 4-line block ×3, first 2 shown]
	v_and_b32_e32 v20, 0xffff, v1
	v_dual_add_f32 v24, v61, v62 :: v_dual_add_f32 v2, v2, v21
	v_dual_add_f32 v5, v5, v22 :: v_dual_add_f32 v4, v4, v23
	v_dual_add_f32 v21, v57, v58 :: v_dual_lshrrev_b32 v22, 16, v1
	;;#ASMSTART
	v_cvt_f32_f16 v20, v20;
	;;#ASMEND
	v_dual_add_f32 v1, v55, v56 :: v_dual_add_f32 v7, v53, v54
	;;#ASMSTART
	v_cvt_f32_f16 v22, v22;
	;;#ASMEND
	s_delay_alu instid0(VALU_DEP_2) | instskip(SKIP_1) | instid1(VALU_DEP_3)
	v_dual_add_f32 v14, v50, v52 :: v_dual_add_f32 v20, v20, v22
	v_dual_add_f32 v9, v9, v24 :: v_dual_add_f32 v8, v8, v25
	;; [unrolled: 1-line block ×3, first 2 shown]
	s_delay_alu instid0(VALU_DEP_3) | instskip(NEXT) | instid1(VALU_DEP_4)
	v_dual_add_f32 v10, v10, v1 :: v_dual_add_f32 v12, v12, v14
	v_add_f32_e32 v3, v3, v20
.LBB276_684:                            ;   in Loop: Header=BB276_685 Depth=1
	s_or_b32 exec_lo, exec_lo, s20
	v_add_nc_u32_e32 v36, 4, v36
	v_add_nc_u64_e32 v[18:19], 16, v[18:19]
	v_add_nc_u32_e32 v6, 0x80, v6
	v_add_nc_u32_e32 v35, 0x200, v35
	s_delay_alu instid0(VALU_DEP_4) | instskip(SKIP_1) | instid1(SALU_CYCLE_1)
	v_cmp_le_i32_e32 vcc_lo, s36, v36
	s_or_b32 s15, vcc_lo, s15
	s_and_not1_b32 exec_lo, exec_lo, s15
	s_cbranch_execz .LBB276_1346
.LBB276_685:                            ; =>This Inner Loop Header: Depth=1
	v_mov_b32_e32 v7, v15
	s_delay_alu instid0(VALU_DEP_1) | instskip(NEXT) | instid1(VALU_DEP_1)
	v_mul_u64_e32 v[20:21], s[18:19], v[6:7]
	v_mul_lo_u32 v1, v21, s12
	s_delay_alu instid0(VALU_DEP_1) | instskip(NEXT) | instid1(VALU_DEP_1)
	v_sub_nc_u32_e32 v1, v6, v1
	v_subrev_nc_u32_e32 v14, s12, v1
	v_cmp_le_u32_e32 vcc_lo, s12, v1
	s_delay_alu instid0(VALU_DEP_2) | instskip(NEXT) | instid1(VALU_DEP_1)
	v_dual_add_nc_u32 v7, 1, v21 :: v_dual_cndmask_b32 v1, v1, v14, vcc_lo
	v_cndmask_b32_e32 v7, v21, v7, vcc_lo
	s_delay_alu instid0(VALU_DEP_2) | instskip(NEXT) | instid1(VALU_DEP_2)
	v_cmp_le_u32_e32 vcc_lo, s12, v1
	v_add_nc_u32_e32 v14, 1, v7
	s_delay_alu instid0(VALU_DEP_1) | instskip(NEXT) | instid1(VALU_DEP_1)
	v_cndmask_b32_e32 v1, v7, v14, vcc_lo
	v_xor_b32_e32 v1, s35, v1
	s_delay_alu instid0(VALU_DEP_1) | instskip(NEXT) | instid1(VALU_DEP_1)
	v_subrev_nc_u32_e32 v1, s35, v1
	v_add_nc_u32_e32 v7, s17, v1
	v_cmp_lt_i32_e64 s0, s26, v1
	s_delay_alu instid0(VALU_DEP_2) | instskip(NEXT) | instid1(VALU_DEP_1)
	v_sub_nc_u32_e32 v14, 0, v7
	v_dual_ashrrev_i32 v7, 31, v7 :: v_dual_max_i32 v14, v7, v14
	s_delay_alu instid0(VALU_DEP_1) | instskip(NEXT) | instid1(VALU_DEP_1)
	v_mul_u64_e32 v[20:21], s[2:3], v[14:15]
	v_mul_lo_u32 v20, v21, s6
	s_delay_alu instid0(VALU_DEP_1) | instskip(NEXT) | instid1(VALU_DEP_1)
	v_sub_nc_u32_e32 v14, v14, v20
	v_subrev_nc_u32_e32 v20, s6, v14
	v_cmp_le_u32_e32 vcc_lo, s6, v14
	s_delay_alu instid0(VALU_DEP_2) | instskip(NEXT) | instid1(VALU_DEP_1)
	v_cndmask_b32_e32 v14, v14, v20, vcc_lo
	v_subrev_nc_u32_e32 v20, s6, v14
	v_cmp_le_u32_e32 vcc_lo, s6, v14
	s_delay_alu instid0(VALU_DEP_2) | instskip(NEXT) | instid1(VALU_DEP_1)
	v_cndmask_b32_e32 v14, v14, v20, vcc_lo
	v_xor_b32_e32 v14, v14, v7
	s_delay_alu instid0(VALU_DEP_1) | instskip(NEXT) | instid1(VALU_DEP_1)
	v_sub_nc_u32_e32 v7, v14, v7
	v_cmp_eq_u32_e32 vcc_lo, 0, v7
	s_or_b32 s0, vcc_lo, s0
	s_delay_alu instid0(SALU_CYCLE_1)
	s_and_saveexec_b32 s20, s0
	s_cbranch_execz .LBB276_684
; %bb.686:                              ;   in Loop: Header=BB276_685 Depth=1
	global_load_b32 v1, v[18:19], off
	ds_load_2addr_b64 v[22:25], v35 offset1:1
	ds_load_2addr_b64 v[26:29], v35 offset0:2 offset1:3
	s_mov_b32 s0, exec_lo
	s_wait_dscnt 0x1
	;;#ASMSTART
	v_cvt_f16_f32 v48, v22;

	;;#ASMEND
	;;#ASMSTART
	v_cvt_f16_f32 v45, v23;

	;;#ASMEND
	;; [unrolled: 4-line block ×4, first 2 shown]
	s_wait_dscnt 0x0
	;;#ASMSTART
	v_cvt_f16_f32 v51, v26;

	;;#ASMEND
	;;#ASMSTART
	v_cvt_f16_f32 v47, v27;

	;;#ASMEND
	;; [unrolled: 4-line block ×4, first 2 shown]
	v_mov_b32_e32 v7, 0
	s_wait_loadcnt 0x0
	v_mad_nc_i64_i32 v[20:21], v1, s13, v[16:17]
	v_mov_b32_e32 v1, 0
	global_load_b32 v22, v1, s[10:11]
	global_load_b64 v[24:25], v[20:21], off
	s_wait_loadcnt 0x0
	v_and_b32_e32 v14, 0xff, v24
	s_delay_alu instid0(VALU_DEP_1)
	v_cmpx_ne_u16_e32 0, v14
	s_cbranch_execz .LBB276_694
; %bb.687:                              ;   in Loop: Header=BB276_685 Depth=1
	v_mov_b32_e32 v7, 0x8000
	s_mov_b32 s21, exec_lo
	v_cmpx_ne_u16_e32 0x80, v14
	s_cbranch_execz .LBB276_693
; %bb.688:                              ;   in Loop: Header=BB276_685 Depth=1
	v_and_b32_e32 v23, 0x7f, v24
	v_mov_b32_e32 v7, 0x7c01
	s_mov_b32 s22, exec_lo
	s_delay_alu instid0(VALU_DEP_2)
	v_cmpx_ne_u32_e32 0x7f, v23
	s_cbranch_execz .LBB276_692
; %bb.689:                              ;   in Loop: Header=BB276_685 Depth=1
	v_dual_lshrrev_b32 v14, 3, v23 :: v_dual_bitop2_b32 v7, 7, v24 bitop3:0x40
	s_mov_b32 s23, exec_lo
	v_cmpx_gt_u32_e32 8, v23
; %bb.690:                              ;   in Loop: Header=BB276_685 Depth=1
	s_delay_alu instid0(VALU_DEP_2) | instskip(NEXT) | instid1(VALU_DEP_1)
	v_clz_i32_u32_e32 v7, v7
	v_min_u32_e32 v7, 32, v7
	s_delay_alu instid0(VALU_DEP_1) | instskip(NEXT) | instid1(VALU_DEP_1)
	v_subrev_nc_u32_e32 v14, 28, v7
	v_lshlrev_b64_e32 v[26:27], v14, v[24:25]
	s_delay_alu instid0(VALU_DEP_1)
	v_dual_sub_nc_u32 v14, 29, v7 :: v_dual_bitop2_b32 v7, 7, v26 bitop3:0x40
; %bb.691:                              ;   in Loop: Header=BB276_685 Depth=1
	s_or_b32 exec_lo, exec_lo, s23
	s_delay_alu instid0(VALU_DEP_1) | instskip(NEXT) | instid1(VALU_DEP_2)
	v_dual_lshlrev_b32 v23, 8, v24 :: v_dual_lshlrev_b32 v7, 7, v7
	v_lshl_add_u32 v14, v14, 10, 0x2000
	s_delay_alu instid0(VALU_DEP_2) | instskip(NEXT) | instid1(VALU_DEP_2)
	v_and_b32_e32 v23, 0x8000, v23
	v_and_b32_e32 v14, 0xfc00, v14
	s_delay_alu instid0(VALU_DEP_1)
	v_or3_b32 v7, v23, v14, v7
.LBB276_692:                            ;   in Loop: Header=BB276_685 Depth=1
	s_or_b32 exec_lo, exec_lo, s22
.LBB276_693:                            ;   in Loop: Header=BB276_685 Depth=1
	s_delay_alu instid0(SALU_CYCLE_1)
	s_or_b32 exec_lo, exec_lo, s21
.LBB276_694:                            ;   in Loop: Header=BB276_685 Depth=1
	s_delay_alu instid0(SALU_CYCLE_1) | instskip(SKIP_2) | instid1(VALU_DEP_1)
	s_or_b32 exec_lo, exec_lo, s0
	v_lshrrev_b16 v14, 8, v24
	s_mov_b32 s0, exec_lo
	v_cmpx_ne_u16_e32 0, v14
	s_cbranch_execz .LBB276_702
; %bb.695:                              ;   in Loop: Header=BB276_685 Depth=1
	v_bfrev_b32_e32 v1, 1
	s_mov_b32 s21, exec_lo
	v_cmpx_ne_u16_e32 0x80, v14
	s_cbranch_execz .LBB276_701
; %bb.696:                              ;   in Loop: Header=BB276_685 Depth=1
	v_and_b32_e32 v23, 0xffff, v14
	v_mov_b32_e32 v1, 0x7c010000
	s_mov_b32 s22, exec_lo
	s_delay_alu instid0(VALU_DEP_2) | instskip(NEXT) | instid1(VALU_DEP_1)
	v_and_b32_e32 v27, 0x7f, v23
	v_cmpx_ne_u32_e32 0x7f, v27
	s_cbranch_execz .LBB276_700
; %bb.697:                              ;   in Loop: Header=BB276_685 Depth=1
	v_and_b32_e32 v1, 7, v23
	v_lshrrev_b32_e32 v26, 3, v27
	s_mov_b32 s23, exec_lo
	v_cmpx_gt_u32_e32 8, v27
; %bb.698:                              ;   in Loop: Header=BB276_685 Depth=1
	s_delay_alu instid0(VALU_DEP_3) | instskip(NEXT) | instid1(VALU_DEP_1)
	v_clz_i32_u32_e32 v1, v1
	v_min_u32_e32 v1, 32, v1
	s_delay_alu instid0(VALU_DEP_1) | instskip(NEXT) | instid1(VALU_DEP_1)
	v_subrev_nc_u32_e32 v26, 28, v1
	v_lshlrev_b64_e32 v[28:29], v26, v[14:15]
	s_delay_alu instid0(VALU_DEP_1)
	v_dual_sub_nc_u32 v26, 29, v1 :: v_dual_bitop2_b32 v1, 7, v28 bitop3:0x40
; %bb.699:                              ;   in Loop: Header=BB276_685 Depth=1
	s_or_b32 exec_lo, exec_lo, s23
	s_delay_alu instid0(VALU_DEP_1) | instskip(NEXT) | instid1(VALU_DEP_2)
	v_dual_lshlrev_b32 v14, 8, v23 :: v_dual_lshlrev_b32 v1, 23, v1
	v_lshl_add_u32 v23, v26, 10, 0x2000
	s_delay_alu instid0(VALU_DEP_1) | instskip(NEXT) | instid1(VALU_DEP_1)
	v_and_or_b32 v14, 0x8000, v14, v23
	v_lshl_or_b32 v1, v14, 16, v1
.LBB276_700:                            ;   in Loop: Header=BB276_685 Depth=1
	s_or_b32 exec_lo, exec_lo, s22
.LBB276_701:                            ;   in Loop: Header=BB276_685 Depth=1
	s_delay_alu instid0(SALU_CYCLE_1)
	s_or_b32 exec_lo, exec_lo, s21
.LBB276_702:                            ;   in Loop: Header=BB276_685 Depth=1
	s_delay_alu instid0(SALU_CYCLE_1) | instskip(SKIP_3) | instid1(VALU_DEP_2)
	s_or_b32 exec_lo, exec_lo, s0
	v_dual_mov_b32 v23, 0 :: v_dual_lshrrev_b32 v14, 16, v24
	v_mov_b32_e32 v26, 0
	s_mov_b32 s0, exec_lo
	v_and_b32_e32 v27, 0xff, v14
	s_delay_alu instid0(VALU_DEP_1)
	v_cmpx_ne_u16_e32 0, v27
	s_cbranch_execz .LBB276_710
; %bb.703:                              ;   in Loop: Header=BB276_685 Depth=1
	v_mov_b32_e32 v26, 0x8000
	s_mov_b32 s21, exec_lo
	v_cmpx_ne_u16_e32 0x80, v27
	s_cbranch_execz .LBB276_709
; %bb.704:                              ;   in Loop: Header=BB276_685 Depth=1
	v_bfe_u32 v28, v24, 16, 7
	v_mov_b32_e32 v26, 0x7c01
	s_mov_b32 s22, exec_lo
	s_delay_alu instid0(VALU_DEP_2)
	v_cmpx_ne_u32_e32 0x7f, v28
	s_cbranch_execz .LBB276_708
; %bb.705:                              ;   in Loop: Header=BB276_685 Depth=1
	v_dual_lshrrev_b32 v27, 3, v28 :: v_dual_bitop2_b32 v26, 7, v14 bitop3:0x40
	s_mov_b32 s23, exec_lo
	v_cmpx_gt_u32_e32 8, v28
; %bb.706:                              ;   in Loop: Header=BB276_685 Depth=1
	s_delay_alu instid0(VALU_DEP_2) | instskip(NEXT) | instid1(VALU_DEP_1)
	v_clz_i32_u32_e32 v26, v26
	v_min_u32_e32 v28, 32, v26
	s_delay_alu instid0(VALU_DEP_1) | instskip(NEXT) | instid1(VALU_DEP_1)
	v_subrev_nc_u32_e32 v26, 28, v28
	v_lshlrev_b64_e32 v[26:27], v26, v[14:15]
	s_delay_alu instid0(VALU_DEP_1)
	v_dual_sub_nc_u32 v27, 29, v28 :: v_dual_bitop2_b32 v26, 7, v26 bitop3:0x40
; %bb.707:                              ;   in Loop: Header=BB276_685 Depth=1
	s_or_b32 exec_lo, exec_lo, s23
	v_lshlrev_b32_e32 v14, 8, v14
	s_delay_alu instid0(VALU_DEP_2) | instskip(NEXT) | instid1(VALU_DEP_3)
	v_lshl_add_u32 v27, v27, 10, 0x2000
	v_lshlrev_b32_e32 v26, 7, v26
	s_delay_alu instid0(VALU_DEP_3) | instskip(NEXT) | instid1(VALU_DEP_3)
	v_and_b32_e32 v14, 0x8000, v14
	v_and_b32_e32 v27, 0xfc00, v27
	s_delay_alu instid0(VALU_DEP_1)
	v_or3_b32 v26, v14, v27, v26
.LBB276_708:                            ;   in Loop: Header=BB276_685 Depth=1
	s_or_b32 exec_lo, exec_lo, s22
.LBB276_709:                            ;   in Loop: Header=BB276_685 Depth=1
	s_delay_alu instid0(SALU_CYCLE_1)
	s_or_b32 exec_lo, exec_lo, s21
.LBB276_710:                            ;   in Loop: Header=BB276_685 Depth=1
	s_delay_alu instid0(SALU_CYCLE_1) | instskip(NEXT) | instid1(SALU_CYCLE_1)
	s_or_b32 exec_lo, exec_lo, s0
	s_mov_b32 s0, exec_lo
	v_cmpx_lt_u32_e32 0xffffff, v24
	s_cbranch_execz .LBB276_718
; %bb.711:                              ;   in Loop: Header=BB276_685 Depth=1
	v_lshrrev_b32_e32 v14, 24, v24
	v_bfrev_b32_e32 v23, 1
	s_mov_b32 s21, exec_lo
	s_delay_alu instid0(VALU_DEP_2)
	v_cmpx_ne_u32_e32 0x80, v14
	s_cbranch_execz .LBB276_717
; %bb.712:                              ;   in Loop: Header=BB276_685 Depth=1
	v_and_b32_e32 v28, 0x7f, v14
	v_mov_b32_e32 v23, 0x7c010000
	s_mov_b32 s22, exec_lo
	s_delay_alu instid0(VALU_DEP_2)
	v_cmpx_ne_u32_e32 0x7f, v28
	s_cbranch_execz .LBB276_716
; %bb.713:                              ;   in Loop: Header=BB276_685 Depth=1
	v_dual_lshrrev_b32 v27, 3, v28 :: v_dual_bitop2_b32 v23, 7, v14 bitop3:0x40
	s_mov_b32 s23, exec_lo
	v_cmpx_gt_u32_e32 8, v28
; %bb.714:                              ;   in Loop: Header=BB276_685 Depth=1
	s_delay_alu instid0(VALU_DEP_2) | instskip(NEXT) | instid1(VALU_DEP_1)
	v_clz_i32_u32_e32 v23, v23
	v_min_u32_e32 v23, 32, v23
	s_delay_alu instid0(VALU_DEP_1) | instskip(NEXT) | instid1(VALU_DEP_1)
	v_subrev_nc_u32_e32 v27, 28, v23
	v_lshlrev_b64_e32 v[28:29], v27, v[14:15]
	s_delay_alu instid0(VALU_DEP_1)
	v_dual_sub_nc_u32 v27, 29, v23 :: v_dual_bitop2_b32 v23, 7, v28 bitop3:0x40
; %bb.715:                              ;   in Loop: Header=BB276_685 Depth=1
	s_or_b32 exec_lo, exec_lo, s23
	s_delay_alu instid0(VALU_DEP_1) | instskip(NEXT) | instid1(VALU_DEP_2)
	v_dual_lshlrev_b32 v14, 8, v14 :: v_dual_lshlrev_b32 v23, 23, v23
	v_lshl_add_u32 v27, v27, 10, 0x2000
	s_delay_alu instid0(VALU_DEP_1) | instskip(NEXT) | instid1(VALU_DEP_1)
	v_and_or_b32 v14, 0x8000, v14, v27
	v_lshl_or_b32 v23, v14, 16, v23
.LBB276_716:                            ;   in Loop: Header=BB276_685 Depth=1
	s_or_b32 exec_lo, exec_lo, s22
.LBB276_717:                            ;   in Loop: Header=BB276_685 Depth=1
	s_delay_alu instid0(SALU_CYCLE_1)
	s_or_b32 exec_lo, exec_lo, s21
.LBB276_718:                            ;   in Loop: Header=BB276_685 Depth=1
	s_delay_alu instid0(SALU_CYCLE_1) | instskip(SKIP_4) | instid1(VALU_DEP_3)
	s_or_b32 exec_lo, exec_lo, s0
	v_and_b32_e32 v29, 0xff, v25
	v_dual_mov_b32 v14, v25 :: v_dual_mov_b32 v28, 0
	v_mov_b32_e32 v27, 0
	s_mov_b32 s0, exec_lo
	v_cmpx_ne_u16_e32 0, v29
	s_cbranch_execz .LBB276_726
; %bb.719:                              ;   in Loop: Header=BB276_685 Depth=1
	v_mov_b32_e32 v27, 0x8000
	s_mov_b32 s21, exec_lo
	v_cmpx_ne_u16_e32 0x80, v29
	s_cbranch_execz .LBB276_725
; %bb.720:                              ;   in Loop: Header=BB276_685 Depth=1
	v_and_b32_e32 v30, 0x7f, v25
	v_mov_b32_e32 v27, 0x7c01
	s_mov_b32 s22, exec_lo
	s_delay_alu instid0(VALU_DEP_2)
	v_cmpx_ne_u32_e32 0x7f, v30
	s_cbranch_execz .LBB276_724
; %bb.721:                              ;   in Loop: Header=BB276_685 Depth=1
	v_dual_lshrrev_b32 v29, 3, v30 :: v_dual_bitop2_b32 v27, 7, v25 bitop3:0x40
	s_mov_b32 s23, exec_lo
	v_cmpx_gt_u32_e32 8, v30
; %bb.722:                              ;   in Loop: Header=BB276_685 Depth=1
	s_delay_alu instid0(VALU_DEP_2) | instskip(NEXT) | instid1(VALU_DEP_1)
	v_clz_i32_u32_e32 v27, v27
	v_min_u32_e32 v27, 32, v27
	s_delay_alu instid0(VALU_DEP_1) | instskip(NEXT) | instid1(VALU_DEP_1)
	v_subrev_nc_u32_e32 v29, 28, v27
	v_lshlrev_b64_e32 v[38:39], v29, v[14:15]
	s_delay_alu instid0(VALU_DEP_1)
	v_dual_sub_nc_u32 v29, 29, v27 :: v_dual_bitop2_b32 v27, 7, v38 bitop3:0x40
; %bb.723:                              ;   in Loop: Header=BB276_685 Depth=1
	s_or_b32 exec_lo, exec_lo, s23
	s_delay_alu instid0(VALU_DEP_1) | instskip(NEXT) | instid1(VALU_DEP_2)
	v_dual_lshlrev_b32 v30, 8, v25 :: v_dual_lshlrev_b32 v27, 7, v27
	v_lshl_add_u32 v29, v29, 10, 0x2000
	s_delay_alu instid0(VALU_DEP_2) | instskip(NEXT) | instid1(VALU_DEP_2)
	v_and_b32_e32 v30, 0x8000, v30
	v_and_b32_e32 v29, 0xfc00, v29
	s_delay_alu instid0(VALU_DEP_1)
	v_or3_b32 v27, v30, v29, v27
.LBB276_724:                            ;   in Loop: Header=BB276_685 Depth=1
	s_or_b32 exec_lo, exec_lo, s22
.LBB276_725:                            ;   in Loop: Header=BB276_685 Depth=1
	s_delay_alu instid0(SALU_CYCLE_1)
	s_or_b32 exec_lo, exec_lo, s21
.LBB276_726:                            ;   in Loop: Header=BB276_685 Depth=1
	s_delay_alu instid0(SALU_CYCLE_1) | instskip(SKIP_3) | instid1(VALU_DEP_2)
	s_or_b32 exec_lo, exec_lo, s0
	v_lshrrev_b16 v14, 8, v14
	v_mov_b32_e32 v29, 0
	s_mov_b32 s0, exec_lo
	v_cmpx_ne_u16_e32 0, v14
	s_cbranch_execz .LBB276_734
; %bb.727:                              ;   in Loop: Header=BB276_685 Depth=1
	v_bfrev_b32_e32 v29, 1
	s_mov_b32 s21, exec_lo
	v_cmpx_ne_u16_e32 0x80, v14
	s_cbranch_execz .LBB276_733
; %bb.728:                              ;   in Loop: Header=BB276_685 Depth=1
	v_and_b32_e32 v30, 0xffff, v14
	v_mov_b32_e32 v29, 0x7c010000
	s_mov_b32 s22, exec_lo
	s_delay_alu instid0(VALU_DEP_2) | instskip(NEXT) | instid1(VALU_DEP_1)
	v_and_b32_e32 v38, 0x7f, v30
	v_cmpx_ne_u32_e32 0x7f, v38
	s_cbranch_execz .LBB276_732
; %bb.729:                              ;   in Loop: Header=BB276_685 Depth=1
	v_and_b32_e32 v29, 7, v30
	v_lshrrev_b32_e32 v37, 3, v38
	s_mov_b32 s23, exec_lo
	v_cmpx_gt_u32_e32 8, v38
; %bb.730:                              ;   in Loop: Header=BB276_685 Depth=1
	s_delay_alu instid0(VALU_DEP_3) | instskip(NEXT) | instid1(VALU_DEP_1)
	v_clz_i32_u32_e32 v29, v29
	v_min_u32_e32 v29, 32, v29
	s_delay_alu instid0(VALU_DEP_1) | instskip(NEXT) | instid1(VALU_DEP_1)
	v_subrev_nc_u32_e32 v37, 28, v29
	v_lshlrev_b64_e32 v[38:39], v37, v[14:15]
	s_delay_alu instid0(VALU_DEP_1)
	v_dual_sub_nc_u32 v37, 29, v29 :: v_dual_bitop2_b32 v29, 7, v38 bitop3:0x40
; %bb.731:                              ;   in Loop: Header=BB276_685 Depth=1
	s_or_b32 exec_lo, exec_lo, s23
	s_delay_alu instid0(VALU_DEP_1) | instskip(NEXT) | instid1(VALU_DEP_2)
	v_dual_lshlrev_b32 v14, 8, v30 :: v_dual_lshlrev_b32 v29, 23, v29
	v_lshl_add_u32 v30, v37, 10, 0x2000
	s_delay_alu instid0(VALU_DEP_1) | instskip(NEXT) | instid1(VALU_DEP_1)
	v_and_or_b32 v14, 0x8000, v14, v30
	v_lshl_or_b32 v29, v14, 16, v29
.LBB276_732:                            ;   in Loop: Header=BB276_685 Depth=1
	s_or_b32 exec_lo, exec_lo, s22
.LBB276_733:                            ;   in Loop: Header=BB276_685 Depth=1
	s_delay_alu instid0(SALU_CYCLE_1)
	s_or_b32 exec_lo, exec_lo, s21
.LBB276_734:                            ;   in Loop: Header=BB276_685 Depth=1
	s_delay_alu instid0(SALU_CYCLE_1) | instskip(SKIP_2) | instid1(VALU_DEP_1)
	s_or_b32 exec_lo, exec_lo, s0
	v_lshrrev_b32_e32 v14, 16, v25
	s_mov_b32 s0, exec_lo
	v_and_b32_e32 v30, 0xff, v14
	s_delay_alu instid0(VALU_DEP_1)
	v_cmpx_ne_u16_e32 0, v30
	s_cbranch_execz .LBB276_742
; %bb.735:                              ;   in Loop: Header=BB276_685 Depth=1
	v_mov_b32_e32 v28, 0x8000
	s_mov_b32 s21, exec_lo
	v_cmpx_ne_u16_e32 0x80, v30
	s_cbranch_execz .LBB276_741
; %bb.736:                              ;   in Loop: Header=BB276_685 Depth=1
	v_bfe_u32 v37, v25, 16, 7
	v_mov_b32_e32 v28, 0x7c01
	s_mov_b32 s22, exec_lo
	s_delay_alu instid0(VALU_DEP_2)
	v_cmpx_ne_u32_e32 0x7f, v37
	s_cbranch_execz .LBB276_740
; %bb.737:                              ;   in Loop: Header=BB276_685 Depth=1
	v_dual_lshrrev_b32 v30, 3, v37 :: v_dual_bitop2_b32 v28, 7, v14 bitop3:0x40
	s_mov_b32 s23, exec_lo
	v_cmpx_gt_u32_e32 8, v37
; %bb.738:                              ;   in Loop: Header=BB276_685 Depth=1
	s_delay_alu instid0(VALU_DEP_2) | instskip(NEXT) | instid1(VALU_DEP_1)
	v_clz_i32_u32_e32 v28, v28
	v_min_u32_e32 v28, 32, v28
	s_delay_alu instid0(VALU_DEP_1) | instskip(NEXT) | instid1(VALU_DEP_1)
	v_subrev_nc_u32_e32 v30, 28, v28
	v_lshlrev_b64_e32 v[38:39], v30, v[14:15]
	s_delay_alu instid0(VALU_DEP_1)
	v_dual_sub_nc_u32 v30, 29, v28 :: v_dual_bitop2_b32 v28, 7, v38 bitop3:0x40
; %bb.739:                              ;   in Loop: Header=BB276_685 Depth=1
	s_or_b32 exec_lo, exec_lo, s23
	s_delay_alu instid0(VALU_DEP_1) | instskip(NEXT) | instid1(VALU_DEP_2)
	v_dual_lshlrev_b32 v14, 8, v14 :: v_dual_lshlrev_b32 v28, 7, v28
	v_lshl_add_u32 v30, v30, 10, 0x2000
	s_delay_alu instid0(VALU_DEP_2) | instskip(NEXT) | instid1(VALU_DEP_2)
	v_and_b32_e32 v14, 0x8000, v14
	v_and_b32_e32 v30, 0xfc00, v30
	s_delay_alu instid0(VALU_DEP_1)
	v_or3_b32 v28, v14, v30, v28
.LBB276_740:                            ;   in Loop: Header=BB276_685 Depth=1
	s_or_b32 exec_lo, exec_lo, s22
.LBB276_741:                            ;   in Loop: Header=BB276_685 Depth=1
	s_delay_alu instid0(SALU_CYCLE_1)
	s_or_b32 exec_lo, exec_lo, s21
.LBB276_742:                            ;   in Loop: Header=BB276_685 Depth=1
	s_delay_alu instid0(SALU_CYCLE_1)
	s_or_b32 exec_lo, exec_lo, s0
	v_cmp_lt_u64_e32 vcc_lo, s[4:5], v[24:25]
	v_mov_b32_e32 v24, 0
	s_and_saveexec_b32 s0, vcc_lo
	s_cbranch_execz .LBB276_750
; %bb.743:                              ;   in Loop: Header=BB276_685 Depth=1
	v_lshrrev_b32_e32 v14, 24, v25
	v_bfrev_b32_e32 v24, 1
	s_mov_b32 s21, exec_lo
	s_delay_alu instid0(VALU_DEP_2)
	v_cmpx_ne_u32_e32 0x80, v14
	s_cbranch_execz .LBB276_749
; %bb.744:                              ;   in Loop: Header=BB276_685 Depth=1
	v_and_b32_e32 v30, 0x7f, v14
	v_mov_b32_e32 v24, 0x7c010000
	s_mov_b32 s22, exec_lo
	s_delay_alu instid0(VALU_DEP_2)
	v_cmpx_ne_u32_e32 0x7f, v30
	s_cbranch_execz .LBB276_748
; %bb.745:                              ;   in Loop: Header=BB276_685 Depth=1
	v_and_b32_e32 v24, 7, v14
	v_lshrrev_b32_e32 v25, 3, v30
	s_mov_b32 s23, exec_lo
	v_cmpx_gt_u32_e32 8, v30
; %bb.746:                              ;   in Loop: Header=BB276_685 Depth=1
	s_delay_alu instid0(VALU_DEP_3) | instskip(NEXT) | instid1(VALU_DEP_1)
	v_clz_i32_u32_e32 v24, v24
	v_min_u32_e32 v30, 32, v24
	s_delay_alu instid0(VALU_DEP_1) | instskip(NEXT) | instid1(VALU_DEP_1)
	v_subrev_nc_u32_e32 v24, 28, v30
	v_lshlrev_b64_e32 v[24:25], v24, v[14:15]
	s_delay_alu instid0(VALU_DEP_1)
	v_dual_sub_nc_u32 v25, 29, v30 :: v_dual_bitop2_b32 v24, 7, v24 bitop3:0x40
; %bb.747:                              ;   in Loop: Header=BB276_685 Depth=1
	s_or_b32 exec_lo, exec_lo, s23
	s_delay_alu instid0(VALU_DEP_1) | instskip(NEXT) | instid1(VALU_DEP_2)
	v_dual_lshlrev_b32 v14, 8, v14 :: v_dual_lshlrev_b32 v24, 23, v24
	v_lshl_add_u32 v25, v25, 10, 0x2000
	s_delay_alu instid0(VALU_DEP_1) | instskip(NEXT) | instid1(VALU_DEP_1)
	v_and_or_b32 v14, 0x8000, v14, v25
	v_lshl_or_b32 v24, v14, 16, v24
.LBB276_748:                            ;   in Loop: Header=BB276_685 Depth=1
	s_or_b32 exec_lo, exec_lo, s22
.LBB276_749:                            ;   in Loop: Header=BB276_685 Depth=1
	s_delay_alu instid0(SALU_CYCLE_1)
	s_or_b32 exec_lo, exec_lo, s21
.LBB276_750:                            ;   in Loop: Header=BB276_685 Depth=1
	s_delay_alu instid0(SALU_CYCLE_1) | instskip(SKIP_3) | instid1(VALU_DEP_3)
	s_or_b32 exec_lo, exec_lo, s0
	v_dual_lshrrev_b32 v14, 16, v1 :: v_dual_lshrrev_b32 v25, 16, v23
	v_or_b32_e32 v1, v1, v7
	v_dual_lshrrev_b32 v26, 16, v24 :: v_dual_bitop2_b32 v7, v23, v26 bitop3:0x54
	v_cvt_f32_f16_e32 v39, v14
	s_delay_alu instid0(VALU_DEP_4) | instskip(SKIP_4) | instid1(VALU_DEP_4)
	v_cvt_f32_f16_e32 v38, v25
	v_dual_lshrrev_b32 v23, 16, v29 :: v_dual_bitop2_b32 v14, v24, v28 bitop3:0x54
	v_add_nc_u32_e32 v37, v34, v6
	v_cvt_f32_f16_e32 v24, v7
	v_cvt_f32_f16_e32 v25, v1
	v_pk_mul_f32 v[38:39], v[22:23], v[38:39] op_sel_hi:[0,1]
	v_cvt_f32_f16_e32 v26, v26
	v_cvt_f32_f16_e32 v28, v14
	v_cmp_eq_u32_e32 vcc_lo, s27, v36
	v_pk_mul_f32 v[24:25], v[22:23], v[24:25] op_sel_hi:[0,1]
	v_cvt_pk_f16_f32 v1, v38, v39
	v_or_b32_e32 v7, v29, v27
	v_cvt_f32_f16_e32 v27, v23
	v_or_b32_e32 v43, 1, v37
	v_or_b32_e32 v42, 3, v37
	;; [unrolled: 1-line block ×3, first 2 shown]
	v_cvt_f32_f16_e32 v29, v7
	v_pk_mul_f32 v[38:39], v[22:23], v[26:27] op_sel_hi:[0,1]
	v_cvt_pk_f16_f32 v7, v24, v25
	v_and_b32_e32 v27, 0xffff0000, v1
	v_or_b32_e32 v40, 6, v37
	v_pk_mul_f32 v[22:23], v[22:23], v[28:29] op_sel_hi:[0,1]
	v_cvt_pk_f16_f32 v14, v38, v39
	v_dual_lshlrev_b32 v28, 16, v1 :: v_dual_lshrrev_b32 v29, 16, v7
	v_and_b32_e32 v30, 0xffff, v7
	s_delay_alu instid0(VALU_DEP_4) | instskip(NEXT) | instid1(VALU_DEP_4)
	v_cvt_pk_f16_f32 v22, v22, v23
	v_and_b32_e32 v1, 0xffff0000, v14
	s_delay_alu instid0(VALU_DEP_4) | instskip(NEXT) | instid1(VALU_DEP_4)
	v_dual_lshlrev_b32 v14, 16, v14 :: v_dual_bitop2_b32 v23, v27, v29 bitop3:0x54
	v_dual_add_nc_u32 v44, 2, v37 :: v_dual_bitop2_b32 v24, v28, v30 bitop3:0x54
	s_delay_alu instid0(VALU_DEP_4) | instskip(SKIP_3) | instid1(VALU_DEP_4)
	v_lshrrev_b32_e32 v25, 16, v22
	v_and_b32_e32 v26, 0xffff, v22
	v_or_b32_e32 v39, 5, v37
	v_or_b32_e32 v38, 7, v37
	;; [unrolled: 1-line block ×3, first 2 shown]
	s_delay_alu instid0(VALU_DEP_4)
	v_or_b32_e32 v22, v14, v26
	s_and_saveexec_b32 s21, vcc_lo
	s_cbranch_execz .LBB276_752
; %bb.751:                              ;   in Loop: Header=BB276_685 Depth=1
	v_cmp_gt_i32_e64 s0, s14, v37
	s_delay_alu instid0(VALU_DEP_1) | instskip(SKIP_1) | instid1(VALU_DEP_1)
	v_cndmask_b32_e64 v7, 0, v29, s0
	v_cmp_gt_i32_e64 s0, s34, v44
	v_cndmask_b32_e64 v22, 0, v30, s0
	v_cmp_gt_i32_e64 s0, s14, v43
	s_delay_alu instid0(VALU_DEP_1) | instskip(SKIP_1) | instid1(VALU_DEP_1)
	v_cndmask_b32_e64 v23, 0, v27, s0
	v_cmp_gt_i32_e64 s0, s34, v42
	v_cndmask_b32_e64 v24, 0, v28, s0
	v_cmp_gt_i32_e64 s0, s14, v41
	s_delay_alu instid0(VALU_DEP_4) | instskip(NEXT) | instid1(VALU_DEP_2)
	v_or_b32_e32 v23, v23, v7
	v_dual_cndmask_b32 v25, 0, v25, s0 :: v_dual_bitop2_b32 v24, v24, v22 bitop3:0x54
	v_cmp_gt_i32_e64 s0, s34, v40
	s_delay_alu instid0(VALU_DEP_1) | instskip(SKIP_1) | instid1(VALU_DEP_1)
	v_cndmask_b32_e64 v26, 0, v26, s0
	v_cmp_gt_i32_e64 s0, s14, v39
	v_cndmask_b32_e64 v1, 0, v1, s0
	v_cmp_gt_i32_e64 s0, s34, v38
	s_delay_alu instid0(VALU_DEP_1) | instskip(NEXT) | instid1(VALU_DEP_1)
	v_dual_cndmask_b32 v14, 0, v14, s0 :: v_dual_bitop2_b32 v7, v1, v25 bitop3:0x54
	v_or_b32_e32 v22, v14, v26
.LBB276_752:                            ;   in Loop: Header=BB276_685 Depth=1
	s_or_b32 exec_lo, exec_lo, s21
	v_and_b32_e32 v1, 0xffff, v48
	v_and_b32_e32 v14, 0xffff, v49
	;; [unrolled: 1-line block ×4, first 2 shown]
	s_mov_b32 s21, exec_lo
	v_lshl_or_b32 v51, v45, 16, v1
	;;#ASMSTART
	v_pk_mul_f16 v1, v51, v23;

	;;#ASMEND
	v_lshl_or_b32 v49, v46, 16, v14
	v_lshl_or_b32 v48, v47, 16, v25
	;; [unrolled: 1-line block ×3, first 2 shown]
	;;#ASMSTART
	v_pk_mul_f16 v14, v49, v24;

	;;#ASMEND
	;;#ASMSTART
	v_pk_mul_f16 v7, v48, v7;

	;;#ASMEND
	;; [unrolled: 4-line block ×3, first 2 shown]
	;;#ASMSTART
	v_pk_add_f16 v1, v1, v14;

	;;#ASMEND
	;;#ASMSTART
	v_pk_add_f16 v1, v1, v7;

	;;#ASMEND
	;; [unrolled: 4-line block ×3, first 2 shown]
	v_and_b32_e32 v7, 0xffff, v1
	v_lshrrev_b32_e32 v1, 16, v1
	;;#ASMSTART
	v_cvt_f32_f16 v50, v7;
	;;#ASMEND
	v_mov_b32_e32 v7, 0
	;;#ASMSTART
	v_cvt_f32_f16 v52, v1;
	;;#ASMEND
	global_load_b64 v[24:25], v[20:21], off offset:256
	v_mov_b32_e32 v1, 0
	global_load_b32 v22, v1, s[10:11]
	s_wait_loadcnt 0x1
	v_and_b32_e32 v14, 0xff, v24
	s_wait_xcnt 0x0
	s_delay_alu instid0(VALU_DEP_1)
	v_cmpx_ne_u16_e32 0, v14
	s_cbranch_execz .LBB276_760
; %bb.753:                              ;   in Loop: Header=BB276_685 Depth=1
	v_mov_b32_e32 v7, 0x8000
	s_mov_b32 s22, exec_lo
	v_cmpx_ne_u16_e32 0x80, v14
	s_cbranch_execz .LBB276_759
; %bb.754:                              ;   in Loop: Header=BB276_685 Depth=1
	v_and_b32_e32 v23, 0x7f, v24
	v_mov_b32_e32 v7, 0x7c01
	s_mov_b32 s23, exec_lo
	s_delay_alu instid0(VALU_DEP_2)
	v_cmpx_ne_u32_e32 0x7f, v23
	s_cbranch_execz .LBB276_758
; %bb.755:                              ;   in Loop: Header=BB276_685 Depth=1
	v_dual_lshrrev_b32 v14, 3, v23 :: v_dual_bitop2_b32 v7, 7, v24 bitop3:0x40
	s_mov_b32 s24, exec_lo
	v_cmpx_gt_u32_e32 8, v23
; %bb.756:                              ;   in Loop: Header=BB276_685 Depth=1
	s_delay_alu instid0(VALU_DEP_2) | instskip(NEXT) | instid1(VALU_DEP_1)
	v_clz_i32_u32_e32 v7, v7
	v_min_u32_e32 v7, 32, v7
	s_delay_alu instid0(VALU_DEP_1) | instskip(NEXT) | instid1(VALU_DEP_1)
	v_subrev_nc_u32_e32 v14, 28, v7
	v_lshlrev_b64_e32 v[26:27], v14, v[24:25]
	s_delay_alu instid0(VALU_DEP_1)
	v_dual_sub_nc_u32 v14, 29, v7 :: v_dual_bitop2_b32 v7, 7, v26 bitop3:0x40
; %bb.757:                              ;   in Loop: Header=BB276_685 Depth=1
	s_or_b32 exec_lo, exec_lo, s24
	s_delay_alu instid0(VALU_DEP_1) | instskip(NEXT) | instid1(VALU_DEP_2)
	v_dual_lshlrev_b32 v23, 8, v24 :: v_dual_lshlrev_b32 v7, 7, v7
	v_lshl_add_u32 v14, v14, 10, 0x2000
	s_delay_alu instid0(VALU_DEP_2) | instskip(NEXT) | instid1(VALU_DEP_2)
	v_and_b32_e32 v23, 0x8000, v23
	v_and_b32_e32 v14, 0xfc00, v14
	s_delay_alu instid0(VALU_DEP_1)
	v_or3_b32 v7, v23, v14, v7
.LBB276_758:                            ;   in Loop: Header=BB276_685 Depth=1
	s_or_b32 exec_lo, exec_lo, s23
.LBB276_759:                            ;   in Loop: Header=BB276_685 Depth=1
	s_delay_alu instid0(SALU_CYCLE_1)
	s_or_b32 exec_lo, exec_lo, s22
.LBB276_760:                            ;   in Loop: Header=BB276_685 Depth=1
	s_delay_alu instid0(SALU_CYCLE_1) | instskip(SKIP_2) | instid1(VALU_DEP_1)
	s_or_b32 exec_lo, exec_lo, s21
	v_lshrrev_b16 v14, 8, v24
	s_mov_b32 s21, exec_lo
	v_cmpx_ne_u16_e32 0, v14
	s_cbranch_execz .LBB276_768
; %bb.761:                              ;   in Loop: Header=BB276_685 Depth=1
	v_bfrev_b32_e32 v1, 1
	s_mov_b32 s22, exec_lo
	v_cmpx_ne_u16_e32 0x80, v14
	s_cbranch_execz .LBB276_767
; %bb.762:                              ;   in Loop: Header=BB276_685 Depth=1
	v_and_b32_e32 v23, 0xffff, v14
	v_mov_b32_e32 v1, 0x7c010000
	s_mov_b32 s23, exec_lo
	s_delay_alu instid0(VALU_DEP_2) | instskip(NEXT) | instid1(VALU_DEP_1)
	v_and_b32_e32 v27, 0x7f, v23
	v_cmpx_ne_u32_e32 0x7f, v27
	s_cbranch_execz .LBB276_766
; %bb.763:                              ;   in Loop: Header=BB276_685 Depth=1
	v_and_b32_e32 v1, 7, v23
	v_lshrrev_b32_e32 v26, 3, v27
	s_mov_b32 s24, exec_lo
	v_cmpx_gt_u32_e32 8, v27
; %bb.764:                              ;   in Loop: Header=BB276_685 Depth=1
	s_delay_alu instid0(VALU_DEP_3) | instskip(NEXT) | instid1(VALU_DEP_1)
	v_clz_i32_u32_e32 v1, v1
	v_min_u32_e32 v1, 32, v1
	s_delay_alu instid0(VALU_DEP_1) | instskip(NEXT) | instid1(VALU_DEP_1)
	v_subrev_nc_u32_e32 v26, 28, v1
	v_lshlrev_b64_e32 v[28:29], v26, v[14:15]
	s_delay_alu instid0(VALU_DEP_1)
	v_dual_sub_nc_u32 v26, 29, v1 :: v_dual_bitop2_b32 v1, 7, v28 bitop3:0x40
; %bb.765:                              ;   in Loop: Header=BB276_685 Depth=1
	s_or_b32 exec_lo, exec_lo, s24
	s_delay_alu instid0(VALU_DEP_1) | instskip(NEXT) | instid1(VALU_DEP_2)
	v_dual_lshlrev_b32 v14, 8, v23 :: v_dual_lshlrev_b32 v1, 23, v1
	v_lshl_add_u32 v23, v26, 10, 0x2000
	s_delay_alu instid0(VALU_DEP_1) | instskip(NEXT) | instid1(VALU_DEP_1)
	v_and_or_b32 v14, 0x8000, v14, v23
	v_lshl_or_b32 v1, v14, 16, v1
.LBB276_766:                            ;   in Loop: Header=BB276_685 Depth=1
	s_or_b32 exec_lo, exec_lo, s23
.LBB276_767:                            ;   in Loop: Header=BB276_685 Depth=1
	s_delay_alu instid0(SALU_CYCLE_1)
	s_or_b32 exec_lo, exec_lo, s22
.LBB276_768:                            ;   in Loop: Header=BB276_685 Depth=1
	s_delay_alu instid0(SALU_CYCLE_1) | instskip(SKIP_3) | instid1(VALU_DEP_2)
	s_or_b32 exec_lo, exec_lo, s21
	v_dual_mov_b32 v23, 0 :: v_dual_lshrrev_b32 v14, 16, v24
	v_mov_b32_e32 v26, 0
	s_mov_b32 s21, exec_lo
	v_and_b32_e32 v27, 0xff, v14
	s_delay_alu instid0(VALU_DEP_1)
	v_cmpx_ne_u16_e32 0, v27
	s_cbranch_execz .LBB276_776
; %bb.769:                              ;   in Loop: Header=BB276_685 Depth=1
	v_mov_b32_e32 v26, 0x8000
	s_mov_b32 s22, exec_lo
	v_cmpx_ne_u16_e32 0x80, v27
	s_cbranch_execz .LBB276_775
; %bb.770:                              ;   in Loop: Header=BB276_685 Depth=1
	v_bfe_u32 v28, v24, 16, 7
	v_mov_b32_e32 v26, 0x7c01
	s_mov_b32 s23, exec_lo
	s_delay_alu instid0(VALU_DEP_2)
	v_cmpx_ne_u32_e32 0x7f, v28
	s_cbranch_execz .LBB276_774
; %bb.771:                              ;   in Loop: Header=BB276_685 Depth=1
	v_dual_lshrrev_b32 v27, 3, v28 :: v_dual_bitop2_b32 v26, 7, v14 bitop3:0x40
	s_mov_b32 s24, exec_lo
	v_cmpx_gt_u32_e32 8, v28
; %bb.772:                              ;   in Loop: Header=BB276_685 Depth=1
	s_delay_alu instid0(VALU_DEP_2) | instskip(NEXT) | instid1(VALU_DEP_1)
	v_clz_i32_u32_e32 v26, v26
	v_min_u32_e32 v28, 32, v26
	s_delay_alu instid0(VALU_DEP_1) | instskip(NEXT) | instid1(VALU_DEP_1)
	v_subrev_nc_u32_e32 v26, 28, v28
	v_lshlrev_b64_e32 v[26:27], v26, v[14:15]
	s_delay_alu instid0(VALU_DEP_1)
	v_dual_sub_nc_u32 v27, 29, v28 :: v_dual_bitop2_b32 v26, 7, v26 bitop3:0x40
; %bb.773:                              ;   in Loop: Header=BB276_685 Depth=1
	s_or_b32 exec_lo, exec_lo, s24
	v_lshlrev_b32_e32 v14, 8, v14
	s_delay_alu instid0(VALU_DEP_2) | instskip(NEXT) | instid1(VALU_DEP_3)
	v_lshl_add_u32 v27, v27, 10, 0x2000
	v_lshlrev_b32_e32 v26, 7, v26
	s_delay_alu instid0(VALU_DEP_3) | instskip(NEXT) | instid1(VALU_DEP_3)
	v_and_b32_e32 v14, 0x8000, v14
	v_and_b32_e32 v27, 0xfc00, v27
	s_delay_alu instid0(VALU_DEP_1)
	v_or3_b32 v26, v14, v27, v26
.LBB276_774:                            ;   in Loop: Header=BB276_685 Depth=1
	s_or_b32 exec_lo, exec_lo, s23
.LBB276_775:                            ;   in Loop: Header=BB276_685 Depth=1
	s_delay_alu instid0(SALU_CYCLE_1)
	s_or_b32 exec_lo, exec_lo, s22
.LBB276_776:                            ;   in Loop: Header=BB276_685 Depth=1
	s_delay_alu instid0(SALU_CYCLE_1) | instskip(NEXT) | instid1(SALU_CYCLE_1)
	s_or_b32 exec_lo, exec_lo, s21
	s_mov_b32 s21, exec_lo
	v_cmpx_lt_u32_e32 0xffffff, v24
	s_cbranch_execz .LBB276_784
; %bb.777:                              ;   in Loop: Header=BB276_685 Depth=1
	v_lshrrev_b32_e32 v14, 24, v24
	v_bfrev_b32_e32 v23, 1
	s_mov_b32 s22, exec_lo
	s_delay_alu instid0(VALU_DEP_2)
	v_cmpx_ne_u32_e32 0x80, v14
	s_cbranch_execz .LBB276_783
; %bb.778:                              ;   in Loop: Header=BB276_685 Depth=1
	v_and_b32_e32 v28, 0x7f, v14
	v_mov_b32_e32 v23, 0x7c010000
	s_mov_b32 s23, exec_lo
	s_delay_alu instid0(VALU_DEP_2)
	v_cmpx_ne_u32_e32 0x7f, v28
	s_cbranch_execz .LBB276_782
; %bb.779:                              ;   in Loop: Header=BB276_685 Depth=1
	v_dual_lshrrev_b32 v27, 3, v28 :: v_dual_bitop2_b32 v23, 7, v14 bitop3:0x40
	s_mov_b32 s24, exec_lo
	v_cmpx_gt_u32_e32 8, v28
; %bb.780:                              ;   in Loop: Header=BB276_685 Depth=1
	s_delay_alu instid0(VALU_DEP_2) | instskip(NEXT) | instid1(VALU_DEP_1)
	v_clz_i32_u32_e32 v23, v23
	v_min_u32_e32 v23, 32, v23
	s_delay_alu instid0(VALU_DEP_1) | instskip(NEXT) | instid1(VALU_DEP_1)
	v_subrev_nc_u32_e32 v27, 28, v23
	v_lshlrev_b64_e32 v[28:29], v27, v[14:15]
	s_delay_alu instid0(VALU_DEP_1)
	v_dual_sub_nc_u32 v27, 29, v23 :: v_dual_bitop2_b32 v23, 7, v28 bitop3:0x40
; %bb.781:                              ;   in Loop: Header=BB276_685 Depth=1
	s_or_b32 exec_lo, exec_lo, s24
	s_delay_alu instid0(VALU_DEP_1) | instskip(NEXT) | instid1(VALU_DEP_2)
	v_dual_lshlrev_b32 v14, 8, v14 :: v_dual_lshlrev_b32 v23, 23, v23
	v_lshl_add_u32 v27, v27, 10, 0x2000
	s_delay_alu instid0(VALU_DEP_1) | instskip(NEXT) | instid1(VALU_DEP_1)
	v_and_or_b32 v14, 0x8000, v14, v27
	v_lshl_or_b32 v23, v14, 16, v23
.LBB276_782:                            ;   in Loop: Header=BB276_685 Depth=1
	s_or_b32 exec_lo, exec_lo, s23
.LBB276_783:                            ;   in Loop: Header=BB276_685 Depth=1
	s_delay_alu instid0(SALU_CYCLE_1)
	s_or_b32 exec_lo, exec_lo, s22
.LBB276_784:                            ;   in Loop: Header=BB276_685 Depth=1
	s_delay_alu instid0(SALU_CYCLE_1) | instskip(SKIP_4) | instid1(VALU_DEP_3)
	s_or_b32 exec_lo, exec_lo, s21
	v_and_b32_e32 v29, 0xff, v25
	v_dual_mov_b32 v14, v25 :: v_dual_mov_b32 v28, 0
	v_mov_b32_e32 v27, 0
	s_mov_b32 s21, exec_lo
	v_cmpx_ne_u16_e32 0, v29
	s_cbranch_execz .LBB276_792
; %bb.785:                              ;   in Loop: Header=BB276_685 Depth=1
	v_mov_b32_e32 v27, 0x8000
	s_mov_b32 s22, exec_lo
	v_cmpx_ne_u16_e32 0x80, v29
	s_cbranch_execz .LBB276_791
; %bb.786:                              ;   in Loop: Header=BB276_685 Depth=1
	v_and_b32_e32 v30, 0x7f, v25
	v_mov_b32_e32 v27, 0x7c01
	s_mov_b32 s23, exec_lo
	s_delay_alu instid0(VALU_DEP_2)
	v_cmpx_ne_u32_e32 0x7f, v30
	s_cbranch_execz .LBB276_790
; %bb.787:                              ;   in Loop: Header=BB276_685 Depth=1
	v_dual_lshrrev_b32 v29, 3, v30 :: v_dual_bitop2_b32 v27, 7, v25 bitop3:0x40
	s_mov_b32 s24, exec_lo
	v_cmpx_gt_u32_e32 8, v30
; %bb.788:                              ;   in Loop: Header=BB276_685 Depth=1
	s_delay_alu instid0(VALU_DEP_2) | instskip(NEXT) | instid1(VALU_DEP_1)
	v_clz_i32_u32_e32 v27, v27
	v_min_u32_e32 v27, 32, v27
	s_delay_alu instid0(VALU_DEP_1) | instskip(NEXT) | instid1(VALU_DEP_1)
	v_subrev_nc_u32_e32 v29, 28, v27
	v_lshlrev_b64_e32 v[54:55], v29, v[14:15]
	s_delay_alu instid0(VALU_DEP_1)
	v_dual_sub_nc_u32 v29, 29, v27 :: v_dual_bitop2_b32 v27, 7, v54 bitop3:0x40
; %bb.789:                              ;   in Loop: Header=BB276_685 Depth=1
	s_or_b32 exec_lo, exec_lo, s24
	s_delay_alu instid0(VALU_DEP_1) | instskip(NEXT) | instid1(VALU_DEP_2)
	v_dual_lshlrev_b32 v30, 8, v25 :: v_dual_lshlrev_b32 v27, 7, v27
	v_lshl_add_u32 v29, v29, 10, 0x2000
	s_delay_alu instid0(VALU_DEP_2) | instskip(NEXT) | instid1(VALU_DEP_2)
	v_and_b32_e32 v30, 0x8000, v30
	v_and_b32_e32 v29, 0xfc00, v29
	s_delay_alu instid0(VALU_DEP_1)
	v_or3_b32 v27, v30, v29, v27
.LBB276_790:                            ;   in Loop: Header=BB276_685 Depth=1
	s_or_b32 exec_lo, exec_lo, s23
.LBB276_791:                            ;   in Loop: Header=BB276_685 Depth=1
	s_delay_alu instid0(SALU_CYCLE_1)
	s_or_b32 exec_lo, exec_lo, s22
.LBB276_792:                            ;   in Loop: Header=BB276_685 Depth=1
	s_delay_alu instid0(SALU_CYCLE_1) | instskip(SKIP_3) | instid1(VALU_DEP_2)
	s_or_b32 exec_lo, exec_lo, s21
	v_lshrrev_b16 v14, 8, v14
	v_mov_b32_e32 v29, 0
	s_mov_b32 s21, exec_lo
	v_cmpx_ne_u16_e32 0, v14
	s_cbranch_execz .LBB276_800
; %bb.793:                              ;   in Loop: Header=BB276_685 Depth=1
	v_bfrev_b32_e32 v29, 1
	s_mov_b32 s22, exec_lo
	v_cmpx_ne_u16_e32 0x80, v14
	s_cbranch_execz .LBB276_799
; %bb.794:                              ;   in Loop: Header=BB276_685 Depth=1
	v_and_b32_e32 v30, 0xffff, v14
	v_mov_b32_e32 v29, 0x7c010000
	s_mov_b32 s23, exec_lo
	s_delay_alu instid0(VALU_DEP_2) | instskip(NEXT) | instid1(VALU_DEP_1)
	v_and_b32_e32 v46, 0x7f, v30
	v_cmpx_ne_u32_e32 0x7f, v46
	s_cbranch_execz .LBB276_798
; %bb.795:                              ;   in Loop: Header=BB276_685 Depth=1
	v_and_b32_e32 v29, 7, v30
	v_lshrrev_b32_e32 v45, 3, v46
	s_mov_b32 s24, exec_lo
	v_cmpx_gt_u32_e32 8, v46
; %bb.796:                              ;   in Loop: Header=BB276_685 Depth=1
	s_delay_alu instid0(VALU_DEP_3) | instskip(NEXT) | instid1(VALU_DEP_1)
	v_clz_i32_u32_e32 v29, v29
	v_min_u32_e32 v29, 32, v29
	s_delay_alu instid0(VALU_DEP_1) | instskip(NEXT) | instid1(VALU_DEP_1)
	v_subrev_nc_u32_e32 v45, 28, v29
	v_lshlrev_b64_e32 v[54:55], v45, v[14:15]
	s_delay_alu instid0(VALU_DEP_1)
	v_dual_sub_nc_u32 v45, 29, v29 :: v_dual_bitop2_b32 v29, 7, v54 bitop3:0x40
; %bb.797:                              ;   in Loop: Header=BB276_685 Depth=1
	s_or_b32 exec_lo, exec_lo, s24
	s_delay_alu instid0(VALU_DEP_1) | instskip(NEXT) | instid1(VALU_DEP_2)
	v_dual_lshlrev_b32 v14, 8, v30 :: v_dual_lshlrev_b32 v29, 23, v29
	v_lshl_add_u32 v30, v45, 10, 0x2000
	s_delay_alu instid0(VALU_DEP_1) | instskip(NEXT) | instid1(VALU_DEP_1)
	v_and_or_b32 v14, 0x8000, v14, v30
	v_lshl_or_b32 v29, v14, 16, v29
.LBB276_798:                            ;   in Loop: Header=BB276_685 Depth=1
	s_or_b32 exec_lo, exec_lo, s23
.LBB276_799:                            ;   in Loop: Header=BB276_685 Depth=1
	s_delay_alu instid0(SALU_CYCLE_1)
	s_or_b32 exec_lo, exec_lo, s22
.LBB276_800:                            ;   in Loop: Header=BB276_685 Depth=1
	s_delay_alu instid0(SALU_CYCLE_1) | instskip(SKIP_2) | instid1(VALU_DEP_1)
	s_or_b32 exec_lo, exec_lo, s21
	v_lshrrev_b32_e32 v14, 16, v25
	s_mov_b32 s21, exec_lo
	v_and_b32_e32 v30, 0xff, v14
	s_delay_alu instid0(VALU_DEP_1)
	v_cmpx_ne_u16_e32 0, v30
	s_cbranch_execz .LBB276_808
; %bb.801:                              ;   in Loop: Header=BB276_685 Depth=1
	v_mov_b32_e32 v28, 0x8000
	s_mov_b32 s22, exec_lo
	v_cmpx_ne_u16_e32 0x80, v30
	s_cbranch_execz .LBB276_807
; %bb.802:                              ;   in Loop: Header=BB276_685 Depth=1
	v_bfe_u32 v45, v25, 16, 7
	v_mov_b32_e32 v28, 0x7c01
	s_mov_b32 s23, exec_lo
	s_delay_alu instid0(VALU_DEP_2)
	v_cmpx_ne_u32_e32 0x7f, v45
	s_cbranch_execz .LBB276_806
; %bb.803:                              ;   in Loop: Header=BB276_685 Depth=1
	v_dual_lshrrev_b32 v30, 3, v45 :: v_dual_bitop2_b32 v28, 7, v14 bitop3:0x40
	s_mov_b32 s24, exec_lo
	v_cmpx_gt_u32_e32 8, v45
; %bb.804:                              ;   in Loop: Header=BB276_685 Depth=1
	s_delay_alu instid0(VALU_DEP_2) | instskip(NEXT) | instid1(VALU_DEP_1)
	v_clz_i32_u32_e32 v28, v28
	v_min_u32_e32 v28, 32, v28
	s_delay_alu instid0(VALU_DEP_1) | instskip(NEXT) | instid1(VALU_DEP_1)
	v_subrev_nc_u32_e32 v30, 28, v28
	v_lshlrev_b64_e32 v[54:55], v30, v[14:15]
	s_delay_alu instid0(VALU_DEP_1)
	v_dual_sub_nc_u32 v30, 29, v28 :: v_dual_bitop2_b32 v28, 7, v54 bitop3:0x40
; %bb.805:                              ;   in Loop: Header=BB276_685 Depth=1
	s_or_b32 exec_lo, exec_lo, s24
	s_delay_alu instid0(VALU_DEP_1) | instskip(NEXT) | instid1(VALU_DEP_2)
	v_dual_lshlrev_b32 v14, 8, v14 :: v_dual_lshlrev_b32 v28, 7, v28
	v_lshl_add_u32 v30, v30, 10, 0x2000
	s_delay_alu instid0(VALU_DEP_2) | instskip(NEXT) | instid1(VALU_DEP_2)
	v_and_b32_e32 v14, 0x8000, v14
	v_and_b32_e32 v30, 0xfc00, v30
	s_delay_alu instid0(VALU_DEP_1)
	v_or3_b32 v28, v14, v30, v28
.LBB276_806:                            ;   in Loop: Header=BB276_685 Depth=1
	s_or_b32 exec_lo, exec_lo, s23
.LBB276_807:                            ;   in Loop: Header=BB276_685 Depth=1
	s_delay_alu instid0(SALU_CYCLE_1)
	s_or_b32 exec_lo, exec_lo, s22
.LBB276_808:                            ;   in Loop: Header=BB276_685 Depth=1
	s_delay_alu instid0(SALU_CYCLE_1)
	s_or_b32 exec_lo, exec_lo, s21
	v_cmp_lt_u64_e64 s0, s[4:5], v[24:25]
	v_mov_b32_e32 v24, 0
	s_and_saveexec_b32 s21, s0
	s_cbranch_execz .LBB276_816
; %bb.809:                              ;   in Loop: Header=BB276_685 Depth=1
	v_lshrrev_b32_e32 v14, 24, v25
	v_bfrev_b32_e32 v24, 1
	s_mov_b32 s22, exec_lo
	s_delay_alu instid0(VALU_DEP_2)
	v_cmpx_ne_u32_e32 0x80, v14
	s_cbranch_execz .LBB276_815
; %bb.810:                              ;   in Loop: Header=BB276_685 Depth=1
	v_and_b32_e32 v30, 0x7f, v14
	v_mov_b32_e32 v24, 0x7c010000
	s_mov_b32 s23, exec_lo
	s_delay_alu instid0(VALU_DEP_2)
	v_cmpx_ne_u32_e32 0x7f, v30
	s_cbranch_execz .LBB276_814
; %bb.811:                              ;   in Loop: Header=BB276_685 Depth=1
	v_and_b32_e32 v24, 7, v14
	v_lshrrev_b32_e32 v25, 3, v30
	s_mov_b32 s24, exec_lo
	v_cmpx_gt_u32_e32 8, v30
; %bb.812:                              ;   in Loop: Header=BB276_685 Depth=1
	s_delay_alu instid0(VALU_DEP_3) | instskip(NEXT) | instid1(VALU_DEP_1)
	v_clz_i32_u32_e32 v24, v24
	v_min_u32_e32 v30, 32, v24
	s_delay_alu instid0(VALU_DEP_1) | instskip(NEXT) | instid1(VALU_DEP_1)
	v_subrev_nc_u32_e32 v24, 28, v30
	v_lshlrev_b64_e32 v[24:25], v24, v[14:15]
	s_delay_alu instid0(VALU_DEP_1)
	v_dual_sub_nc_u32 v25, 29, v30 :: v_dual_bitop2_b32 v24, 7, v24 bitop3:0x40
; %bb.813:                              ;   in Loop: Header=BB276_685 Depth=1
	s_or_b32 exec_lo, exec_lo, s24
	s_delay_alu instid0(VALU_DEP_1) | instskip(NEXT) | instid1(VALU_DEP_2)
	v_dual_lshlrev_b32 v14, 8, v14 :: v_dual_lshlrev_b32 v24, 23, v24
	v_lshl_add_u32 v25, v25, 10, 0x2000
	s_delay_alu instid0(VALU_DEP_1) | instskip(NEXT) | instid1(VALU_DEP_1)
	v_and_or_b32 v14, 0x8000, v14, v25
	v_lshl_or_b32 v24, v14, 16, v24
.LBB276_814:                            ;   in Loop: Header=BB276_685 Depth=1
	s_or_b32 exec_lo, exec_lo, s23
.LBB276_815:                            ;   in Loop: Header=BB276_685 Depth=1
	s_delay_alu instid0(SALU_CYCLE_1)
	s_or_b32 exec_lo, exec_lo, s22
.LBB276_816:                            ;   in Loop: Header=BB276_685 Depth=1
	s_delay_alu instid0(SALU_CYCLE_1) | instskip(SKIP_3) | instid1(VALU_DEP_3)
	s_or_b32 exec_lo, exec_lo, s21
	v_dual_lshrrev_b32 v14, 16, v1 :: v_dual_lshrrev_b32 v25, 16, v23
	v_or_b32_e32 v1, v1, v7
	v_dual_lshrrev_b32 v26, 16, v24 :: v_dual_bitop2_b32 v7, v23, v26 bitop3:0x54
	v_cvt_f32_f16_e32 v55, v14
	s_delay_alu instid0(VALU_DEP_4) | instskip(SKIP_4) | instid1(VALU_DEP_3)
	v_cvt_f32_f16_e32 v54, v25
	v_lshrrev_b32_e32 v23, 16, v29
	v_cvt_f32_f16_e32 v25, v1
	v_cvt_f32_f16_e32 v26, v26
	s_wait_loadcnt 0x0
	v_pk_mul_f32 v[54:55], v[22:23], v[54:55] op_sel_hi:[0,1]
	s_delay_alu instid0(VALU_DEP_1) | instskip(SKIP_4) | instid1(VALU_DEP_3)
	v_cvt_pk_f16_f32 v1, v54, v55
	v_or_b32_e32 v14, v24, v28
	v_cvt_f32_f16_e32 v24, v7
	v_or_b32_e32 v7, v29, v27
	v_cvt_f32_f16_e32 v27, v23
	v_pk_mul_f32 v[24:25], v[22:23], v[24:25] op_sel_hi:[0,1]
	s_delay_alu instid0(VALU_DEP_3) | instskip(NEXT) | instid1(VALU_DEP_3)
	v_cvt_f32_f16_e32 v29, v7
	v_pk_mul_f32 v[26:27], v[22:23], v[26:27] op_sel_hi:[0,1]
	s_delay_alu instid0(VALU_DEP_3) | instskip(SKIP_2) | instid1(VALU_DEP_4)
	v_cvt_pk_f16_f32 v7, v24, v25
	v_lshlrev_b32_e32 v24, 16, v1
	v_cvt_f32_f16_e32 v28, v14
	v_cvt_pk_f16_f32 v14, v26, v27
	s_delay_alu instid0(VALU_DEP_4) | instskip(NEXT) | instid1(VALU_DEP_3)
	v_and_b32_e32 v30, 0xffff, v7
	v_pk_mul_f32 v[28:29], v[22:23], v[28:29] op_sel_hi:[0,1]
	v_and_b32_e32 v23, 0xffff0000, v1
	s_delay_alu instid0(VALU_DEP_4) | instskip(SKIP_1) | instid1(VALU_DEP_4)
	v_and_b32_e32 v1, 0xffff0000, v14
	v_lshlrev_b32_e32 v14, 16, v14
	v_cvt_pk_f16_f32 v22, v28, v29
	v_dual_lshrrev_b32 v29, 16, v7 :: v_dual_bitop2_b32 v28, v24, v30 bitop3:0x54
	s_delay_alu instid0(VALU_DEP_2) | instskip(SKIP_1) | instid1(VALU_DEP_3)
	v_lshrrev_b32_e32 v7, 16, v22
	v_and_b32_e32 v22, 0xffff, v22
	v_or_b32_e32 v27, v23, v29
	s_delay_alu instid0(VALU_DEP_3) | instskip(NEXT) | instid1(VALU_DEP_3)
	v_or_b32_e32 v25, v1, v7
	v_or_b32_e32 v26, v14, v22
	s_and_saveexec_b32 s21, vcc_lo
	s_cbranch_execz .LBB276_818
; %bb.817:                              ;   in Loop: Header=BB276_685 Depth=1
	v_cmp_gt_i32_e64 s0, s14, v37
	s_delay_alu instid0(VALU_DEP_1) | instskip(SKIP_1) | instid1(VALU_DEP_1)
	v_cndmask_b32_e64 v25, 0, v29, s0
	v_cmp_gt_i32_e64 s0, s34, v44
	v_cndmask_b32_e64 v26, 0, v30, s0
	v_cmp_gt_i32_e64 s0, s14, v43
	s_delay_alu instid0(VALU_DEP_1) | instskip(SKIP_1) | instid1(VALU_DEP_1)
	v_cndmask_b32_e64 v23, 0, v23, s0
	v_cmp_gt_i32_e64 s0, s34, v42
	v_cndmask_b32_e64 v24, 0, v24, s0
	v_cmp_gt_i32_e64 s0, s14, v41
	s_delay_alu instid0(VALU_DEP_4) | instskip(NEXT) | instid1(VALU_DEP_2)
	v_or_b32_e32 v27, v23, v25
	v_dual_cndmask_b32 v7, 0, v7, s0 :: v_dual_bitop2_b32 v28, v24, v26 bitop3:0x54
	v_cmp_gt_i32_e64 s0, s34, v40
	s_delay_alu instid0(VALU_DEP_1) | instskip(SKIP_1) | instid1(VALU_DEP_1)
	v_cndmask_b32_e64 v22, 0, v22, s0
	v_cmp_gt_i32_e64 s0, s14, v39
	v_cndmask_b32_e64 v1, 0, v1, s0
	v_cmp_gt_i32_e64 s0, s34, v38
	s_delay_alu instid0(VALU_DEP_1) | instskip(NEXT) | instid1(VALU_DEP_1)
	v_dual_cndmask_b32 v14, 0, v14, s0 :: v_dual_bitop2_b32 v25, v1, v7 bitop3:0x54
	v_or_b32_e32 v26, v14, v22
.LBB276_818:                            ;   in Loop: Header=BB276_685 Depth=1
	s_or_b32 exec_lo, exec_lo, s21
	;;#ASMSTART
	v_pk_mul_f16 v1, v51, v27;

	;;#ASMEND
	;;#ASMSTART
	v_pk_mul_f16 v7, v49, v28;

	;;#ASMEND
	;; [unrolled: 4-line block ×4, first 2 shown]
	;;#ASMSTART
	v_pk_add_f16 v1, v1, v7;

	;;#ASMEND
	;;#ASMSTART
	v_pk_add_f16 v1, v1, v14;

	;;#ASMEND
	;; [unrolled: 4-line block ×3, first 2 shown]
	v_and_b32_e32 v7, 0xffff, v1
	v_lshrrev_b32_e32 v1, 16, v1
	;;#ASMSTART
	v_cvt_f32_f16 v53, v7;
	;;#ASMEND
	v_mov_b32_e32 v7, 0
	;;#ASMSTART
	v_cvt_f32_f16 v54, v1;
	;;#ASMEND
	global_load_b64 v[24:25], v[20:21], off offset:512
	v_mov_b32_e32 v1, 0
	s_mov_b32 s21, exec_lo
	global_load_b32 v22, v1, s[10:11]
	s_wait_loadcnt 0x1
	v_and_b32_e32 v14, 0xff, v24
	s_wait_xcnt 0x0
	s_delay_alu instid0(VALU_DEP_1)
	v_cmpx_ne_u16_e32 0, v14
	s_cbranch_execz .LBB276_826
; %bb.819:                              ;   in Loop: Header=BB276_685 Depth=1
	v_mov_b32_e32 v7, 0x8000
	s_mov_b32 s22, exec_lo
	v_cmpx_ne_u16_e32 0x80, v14
	s_cbranch_execz .LBB276_825
; %bb.820:                              ;   in Loop: Header=BB276_685 Depth=1
	v_and_b32_e32 v23, 0x7f, v24
	v_mov_b32_e32 v7, 0x7c01
	s_mov_b32 s23, exec_lo
	s_delay_alu instid0(VALU_DEP_2)
	v_cmpx_ne_u32_e32 0x7f, v23
	s_cbranch_execz .LBB276_824
; %bb.821:                              ;   in Loop: Header=BB276_685 Depth=1
	v_dual_lshrrev_b32 v14, 3, v23 :: v_dual_bitop2_b32 v7, 7, v24 bitop3:0x40
	s_mov_b32 s24, exec_lo
	v_cmpx_gt_u32_e32 8, v23
; %bb.822:                              ;   in Loop: Header=BB276_685 Depth=1
	s_delay_alu instid0(VALU_DEP_2) | instskip(NEXT) | instid1(VALU_DEP_1)
	v_clz_i32_u32_e32 v7, v7
	v_min_u32_e32 v7, 32, v7
	s_delay_alu instid0(VALU_DEP_1) | instskip(NEXT) | instid1(VALU_DEP_1)
	v_subrev_nc_u32_e32 v14, 28, v7
	v_lshlrev_b64_e32 v[26:27], v14, v[24:25]
	s_delay_alu instid0(VALU_DEP_1)
	v_dual_sub_nc_u32 v14, 29, v7 :: v_dual_bitop2_b32 v7, 7, v26 bitop3:0x40
; %bb.823:                              ;   in Loop: Header=BB276_685 Depth=1
	s_or_b32 exec_lo, exec_lo, s24
	s_delay_alu instid0(VALU_DEP_1) | instskip(NEXT) | instid1(VALU_DEP_2)
	v_dual_lshlrev_b32 v23, 8, v24 :: v_dual_lshlrev_b32 v7, 7, v7
	v_lshl_add_u32 v14, v14, 10, 0x2000
	s_delay_alu instid0(VALU_DEP_2) | instskip(NEXT) | instid1(VALU_DEP_2)
	v_and_b32_e32 v23, 0x8000, v23
	v_and_b32_e32 v14, 0xfc00, v14
	s_delay_alu instid0(VALU_DEP_1)
	v_or3_b32 v7, v23, v14, v7
.LBB276_824:                            ;   in Loop: Header=BB276_685 Depth=1
	s_or_b32 exec_lo, exec_lo, s23
.LBB276_825:                            ;   in Loop: Header=BB276_685 Depth=1
	s_delay_alu instid0(SALU_CYCLE_1)
	s_or_b32 exec_lo, exec_lo, s22
.LBB276_826:                            ;   in Loop: Header=BB276_685 Depth=1
	s_delay_alu instid0(SALU_CYCLE_1) | instskip(SKIP_2) | instid1(VALU_DEP_1)
	s_or_b32 exec_lo, exec_lo, s21
	v_lshrrev_b16 v14, 8, v24
	s_mov_b32 s21, exec_lo
	v_cmpx_ne_u16_e32 0, v14
	s_cbranch_execz .LBB276_834
; %bb.827:                              ;   in Loop: Header=BB276_685 Depth=1
	v_bfrev_b32_e32 v1, 1
	s_mov_b32 s22, exec_lo
	v_cmpx_ne_u16_e32 0x80, v14
	s_cbranch_execz .LBB276_833
; %bb.828:                              ;   in Loop: Header=BB276_685 Depth=1
	v_and_b32_e32 v23, 0xffff, v14
	v_mov_b32_e32 v1, 0x7c010000
	s_mov_b32 s23, exec_lo
	s_delay_alu instid0(VALU_DEP_2) | instskip(NEXT) | instid1(VALU_DEP_1)
	v_and_b32_e32 v27, 0x7f, v23
	v_cmpx_ne_u32_e32 0x7f, v27
	s_cbranch_execz .LBB276_832
; %bb.829:                              ;   in Loop: Header=BB276_685 Depth=1
	v_and_b32_e32 v1, 7, v23
	v_lshrrev_b32_e32 v26, 3, v27
	s_mov_b32 s24, exec_lo
	v_cmpx_gt_u32_e32 8, v27
; %bb.830:                              ;   in Loop: Header=BB276_685 Depth=1
	s_delay_alu instid0(VALU_DEP_3) | instskip(NEXT) | instid1(VALU_DEP_1)
	v_clz_i32_u32_e32 v1, v1
	v_min_u32_e32 v1, 32, v1
	s_delay_alu instid0(VALU_DEP_1) | instskip(NEXT) | instid1(VALU_DEP_1)
	v_subrev_nc_u32_e32 v26, 28, v1
	v_lshlrev_b64_e32 v[28:29], v26, v[14:15]
	s_delay_alu instid0(VALU_DEP_1)
	v_dual_sub_nc_u32 v26, 29, v1 :: v_dual_bitop2_b32 v1, 7, v28 bitop3:0x40
; %bb.831:                              ;   in Loop: Header=BB276_685 Depth=1
	s_or_b32 exec_lo, exec_lo, s24
	s_delay_alu instid0(VALU_DEP_1) | instskip(NEXT) | instid1(VALU_DEP_2)
	v_dual_lshlrev_b32 v14, 8, v23 :: v_dual_lshlrev_b32 v1, 23, v1
	v_lshl_add_u32 v23, v26, 10, 0x2000
	s_delay_alu instid0(VALU_DEP_1) | instskip(NEXT) | instid1(VALU_DEP_1)
	v_and_or_b32 v14, 0x8000, v14, v23
	v_lshl_or_b32 v1, v14, 16, v1
.LBB276_832:                            ;   in Loop: Header=BB276_685 Depth=1
	s_or_b32 exec_lo, exec_lo, s23
.LBB276_833:                            ;   in Loop: Header=BB276_685 Depth=1
	s_delay_alu instid0(SALU_CYCLE_1)
	s_or_b32 exec_lo, exec_lo, s22
.LBB276_834:                            ;   in Loop: Header=BB276_685 Depth=1
	s_delay_alu instid0(SALU_CYCLE_1) | instskip(SKIP_3) | instid1(VALU_DEP_2)
	s_or_b32 exec_lo, exec_lo, s21
	v_dual_mov_b32 v23, 0 :: v_dual_lshrrev_b32 v14, 16, v24
	v_mov_b32_e32 v26, 0
	s_mov_b32 s21, exec_lo
	v_and_b32_e32 v27, 0xff, v14
	s_delay_alu instid0(VALU_DEP_1)
	v_cmpx_ne_u16_e32 0, v27
	s_cbranch_execz .LBB276_842
; %bb.835:                              ;   in Loop: Header=BB276_685 Depth=1
	v_mov_b32_e32 v26, 0x8000
	s_mov_b32 s22, exec_lo
	v_cmpx_ne_u16_e32 0x80, v27
	s_cbranch_execz .LBB276_841
; %bb.836:                              ;   in Loop: Header=BB276_685 Depth=1
	v_bfe_u32 v28, v24, 16, 7
	v_mov_b32_e32 v26, 0x7c01
	s_mov_b32 s23, exec_lo
	s_delay_alu instid0(VALU_DEP_2)
	v_cmpx_ne_u32_e32 0x7f, v28
	s_cbranch_execz .LBB276_840
; %bb.837:                              ;   in Loop: Header=BB276_685 Depth=1
	v_dual_lshrrev_b32 v27, 3, v28 :: v_dual_bitop2_b32 v26, 7, v14 bitop3:0x40
	s_mov_b32 s24, exec_lo
	v_cmpx_gt_u32_e32 8, v28
; %bb.838:                              ;   in Loop: Header=BB276_685 Depth=1
	s_delay_alu instid0(VALU_DEP_2) | instskip(NEXT) | instid1(VALU_DEP_1)
	v_clz_i32_u32_e32 v26, v26
	v_min_u32_e32 v28, 32, v26
	s_delay_alu instid0(VALU_DEP_1) | instskip(NEXT) | instid1(VALU_DEP_1)
	v_subrev_nc_u32_e32 v26, 28, v28
	v_lshlrev_b64_e32 v[26:27], v26, v[14:15]
	s_delay_alu instid0(VALU_DEP_1)
	v_dual_sub_nc_u32 v27, 29, v28 :: v_dual_bitop2_b32 v26, 7, v26 bitop3:0x40
; %bb.839:                              ;   in Loop: Header=BB276_685 Depth=1
	s_or_b32 exec_lo, exec_lo, s24
	v_lshlrev_b32_e32 v14, 8, v14
	s_delay_alu instid0(VALU_DEP_2) | instskip(NEXT) | instid1(VALU_DEP_3)
	v_lshl_add_u32 v27, v27, 10, 0x2000
	v_lshlrev_b32_e32 v26, 7, v26
	s_delay_alu instid0(VALU_DEP_3) | instskip(NEXT) | instid1(VALU_DEP_3)
	v_and_b32_e32 v14, 0x8000, v14
	v_and_b32_e32 v27, 0xfc00, v27
	s_delay_alu instid0(VALU_DEP_1)
	v_or3_b32 v26, v14, v27, v26
.LBB276_840:                            ;   in Loop: Header=BB276_685 Depth=1
	s_or_b32 exec_lo, exec_lo, s23
.LBB276_841:                            ;   in Loop: Header=BB276_685 Depth=1
	s_delay_alu instid0(SALU_CYCLE_1)
	s_or_b32 exec_lo, exec_lo, s22
.LBB276_842:                            ;   in Loop: Header=BB276_685 Depth=1
	s_delay_alu instid0(SALU_CYCLE_1) | instskip(NEXT) | instid1(SALU_CYCLE_1)
	s_or_b32 exec_lo, exec_lo, s21
	s_mov_b32 s21, exec_lo
	v_cmpx_lt_u32_e32 0xffffff, v24
	s_cbranch_execz .LBB276_850
; %bb.843:                              ;   in Loop: Header=BB276_685 Depth=1
	v_lshrrev_b32_e32 v14, 24, v24
	v_bfrev_b32_e32 v23, 1
	s_mov_b32 s22, exec_lo
	s_delay_alu instid0(VALU_DEP_2)
	v_cmpx_ne_u32_e32 0x80, v14
	s_cbranch_execz .LBB276_849
; %bb.844:                              ;   in Loop: Header=BB276_685 Depth=1
	v_and_b32_e32 v28, 0x7f, v14
	v_mov_b32_e32 v23, 0x7c010000
	s_mov_b32 s23, exec_lo
	s_delay_alu instid0(VALU_DEP_2)
	v_cmpx_ne_u32_e32 0x7f, v28
	s_cbranch_execz .LBB276_848
; %bb.845:                              ;   in Loop: Header=BB276_685 Depth=1
	v_dual_lshrrev_b32 v27, 3, v28 :: v_dual_bitop2_b32 v23, 7, v14 bitop3:0x40
	s_mov_b32 s24, exec_lo
	v_cmpx_gt_u32_e32 8, v28
; %bb.846:                              ;   in Loop: Header=BB276_685 Depth=1
	s_delay_alu instid0(VALU_DEP_2) | instskip(NEXT) | instid1(VALU_DEP_1)
	v_clz_i32_u32_e32 v23, v23
	v_min_u32_e32 v23, 32, v23
	s_delay_alu instid0(VALU_DEP_1) | instskip(NEXT) | instid1(VALU_DEP_1)
	v_subrev_nc_u32_e32 v27, 28, v23
	v_lshlrev_b64_e32 v[28:29], v27, v[14:15]
	s_delay_alu instid0(VALU_DEP_1)
	v_dual_sub_nc_u32 v27, 29, v23 :: v_dual_bitop2_b32 v23, 7, v28 bitop3:0x40
; %bb.847:                              ;   in Loop: Header=BB276_685 Depth=1
	s_or_b32 exec_lo, exec_lo, s24
	s_delay_alu instid0(VALU_DEP_1) | instskip(NEXT) | instid1(VALU_DEP_2)
	v_dual_lshlrev_b32 v14, 8, v14 :: v_dual_lshlrev_b32 v23, 23, v23
	v_lshl_add_u32 v27, v27, 10, 0x2000
	s_delay_alu instid0(VALU_DEP_1) | instskip(NEXT) | instid1(VALU_DEP_1)
	v_and_or_b32 v14, 0x8000, v14, v27
	v_lshl_or_b32 v23, v14, 16, v23
.LBB276_848:                            ;   in Loop: Header=BB276_685 Depth=1
	s_or_b32 exec_lo, exec_lo, s23
.LBB276_849:                            ;   in Loop: Header=BB276_685 Depth=1
	s_delay_alu instid0(SALU_CYCLE_1)
	s_or_b32 exec_lo, exec_lo, s22
.LBB276_850:                            ;   in Loop: Header=BB276_685 Depth=1
	s_delay_alu instid0(SALU_CYCLE_1) | instskip(SKIP_4) | instid1(VALU_DEP_3)
	s_or_b32 exec_lo, exec_lo, s21
	v_and_b32_e32 v29, 0xff, v25
	v_dual_mov_b32 v14, v25 :: v_dual_mov_b32 v28, 0
	v_mov_b32_e32 v27, 0
	s_mov_b32 s21, exec_lo
	v_cmpx_ne_u16_e32 0, v29
	s_cbranch_execz .LBB276_858
; %bb.851:                              ;   in Loop: Header=BB276_685 Depth=1
	v_mov_b32_e32 v27, 0x8000
	s_mov_b32 s22, exec_lo
	v_cmpx_ne_u16_e32 0x80, v29
	s_cbranch_execz .LBB276_857
; %bb.852:                              ;   in Loop: Header=BB276_685 Depth=1
	v_and_b32_e32 v30, 0x7f, v25
	v_mov_b32_e32 v27, 0x7c01
	s_mov_b32 s23, exec_lo
	s_delay_alu instid0(VALU_DEP_2)
	v_cmpx_ne_u32_e32 0x7f, v30
	s_cbranch_execz .LBB276_856
; %bb.853:                              ;   in Loop: Header=BB276_685 Depth=1
	v_dual_lshrrev_b32 v29, 3, v30 :: v_dual_bitop2_b32 v27, 7, v25 bitop3:0x40
	s_mov_b32 s24, exec_lo
	v_cmpx_gt_u32_e32 8, v30
; %bb.854:                              ;   in Loop: Header=BB276_685 Depth=1
	s_delay_alu instid0(VALU_DEP_2) | instskip(NEXT) | instid1(VALU_DEP_1)
	v_clz_i32_u32_e32 v27, v27
	v_min_u32_e32 v27, 32, v27
	s_delay_alu instid0(VALU_DEP_1) | instskip(NEXT) | instid1(VALU_DEP_1)
	v_subrev_nc_u32_e32 v29, 28, v27
	v_lshlrev_b64_e32 v[56:57], v29, v[14:15]
	s_delay_alu instid0(VALU_DEP_1)
	v_dual_sub_nc_u32 v29, 29, v27 :: v_dual_bitop2_b32 v27, 7, v56 bitop3:0x40
; %bb.855:                              ;   in Loop: Header=BB276_685 Depth=1
	s_or_b32 exec_lo, exec_lo, s24
	s_delay_alu instid0(VALU_DEP_1) | instskip(NEXT) | instid1(VALU_DEP_2)
	v_dual_lshlrev_b32 v30, 8, v25 :: v_dual_lshlrev_b32 v27, 7, v27
	v_lshl_add_u32 v29, v29, 10, 0x2000
	s_delay_alu instid0(VALU_DEP_2) | instskip(NEXT) | instid1(VALU_DEP_2)
	v_and_b32_e32 v30, 0x8000, v30
	v_and_b32_e32 v29, 0xfc00, v29
	s_delay_alu instid0(VALU_DEP_1)
	v_or3_b32 v27, v30, v29, v27
.LBB276_856:                            ;   in Loop: Header=BB276_685 Depth=1
	s_or_b32 exec_lo, exec_lo, s23
.LBB276_857:                            ;   in Loop: Header=BB276_685 Depth=1
	s_delay_alu instid0(SALU_CYCLE_1)
	s_or_b32 exec_lo, exec_lo, s22
.LBB276_858:                            ;   in Loop: Header=BB276_685 Depth=1
	s_delay_alu instid0(SALU_CYCLE_1) | instskip(SKIP_3) | instid1(VALU_DEP_2)
	s_or_b32 exec_lo, exec_lo, s21
	v_lshrrev_b16 v14, 8, v14
	v_mov_b32_e32 v29, 0
	s_mov_b32 s21, exec_lo
	v_cmpx_ne_u16_e32 0, v14
	s_cbranch_execz .LBB276_866
; %bb.859:                              ;   in Loop: Header=BB276_685 Depth=1
	v_bfrev_b32_e32 v29, 1
	s_mov_b32 s22, exec_lo
	v_cmpx_ne_u16_e32 0x80, v14
	s_cbranch_execz .LBB276_865
; %bb.860:                              ;   in Loop: Header=BB276_685 Depth=1
	v_and_b32_e32 v30, 0xffff, v14
	v_mov_b32_e32 v29, 0x7c010000
	s_mov_b32 s23, exec_lo
	s_delay_alu instid0(VALU_DEP_2) | instskip(NEXT) | instid1(VALU_DEP_1)
	v_and_b32_e32 v46, 0x7f, v30
	v_cmpx_ne_u32_e32 0x7f, v46
	s_cbranch_execz .LBB276_864
; %bb.861:                              ;   in Loop: Header=BB276_685 Depth=1
	v_and_b32_e32 v29, 7, v30
	v_lshrrev_b32_e32 v45, 3, v46
	s_mov_b32 s24, exec_lo
	v_cmpx_gt_u32_e32 8, v46
; %bb.862:                              ;   in Loop: Header=BB276_685 Depth=1
	s_delay_alu instid0(VALU_DEP_3) | instskip(NEXT) | instid1(VALU_DEP_1)
	v_clz_i32_u32_e32 v29, v29
	v_min_u32_e32 v29, 32, v29
	s_delay_alu instid0(VALU_DEP_1) | instskip(NEXT) | instid1(VALU_DEP_1)
	v_subrev_nc_u32_e32 v45, 28, v29
	v_lshlrev_b64_e32 v[56:57], v45, v[14:15]
	s_delay_alu instid0(VALU_DEP_1)
	v_dual_sub_nc_u32 v45, 29, v29 :: v_dual_bitop2_b32 v29, 7, v56 bitop3:0x40
; %bb.863:                              ;   in Loop: Header=BB276_685 Depth=1
	s_or_b32 exec_lo, exec_lo, s24
	s_delay_alu instid0(VALU_DEP_1) | instskip(NEXT) | instid1(VALU_DEP_2)
	v_dual_lshlrev_b32 v14, 8, v30 :: v_dual_lshlrev_b32 v29, 23, v29
	v_lshl_add_u32 v30, v45, 10, 0x2000
	s_delay_alu instid0(VALU_DEP_1) | instskip(NEXT) | instid1(VALU_DEP_1)
	v_and_or_b32 v14, 0x8000, v14, v30
	v_lshl_or_b32 v29, v14, 16, v29
.LBB276_864:                            ;   in Loop: Header=BB276_685 Depth=1
	s_or_b32 exec_lo, exec_lo, s23
.LBB276_865:                            ;   in Loop: Header=BB276_685 Depth=1
	s_delay_alu instid0(SALU_CYCLE_1)
	s_or_b32 exec_lo, exec_lo, s22
.LBB276_866:                            ;   in Loop: Header=BB276_685 Depth=1
	s_delay_alu instid0(SALU_CYCLE_1) | instskip(SKIP_2) | instid1(VALU_DEP_1)
	s_or_b32 exec_lo, exec_lo, s21
	v_lshrrev_b32_e32 v14, 16, v25
	s_mov_b32 s21, exec_lo
	v_and_b32_e32 v30, 0xff, v14
	s_delay_alu instid0(VALU_DEP_1)
	v_cmpx_ne_u16_e32 0, v30
	s_cbranch_execz .LBB276_874
; %bb.867:                              ;   in Loop: Header=BB276_685 Depth=1
	v_mov_b32_e32 v28, 0x8000
	s_mov_b32 s22, exec_lo
	v_cmpx_ne_u16_e32 0x80, v30
	s_cbranch_execz .LBB276_873
; %bb.868:                              ;   in Loop: Header=BB276_685 Depth=1
	v_bfe_u32 v45, v25, 16, 7
	v_mov_b32_e32 v28, 0x7c01
	s_mov_b32 s23, exec_lo
	s_delay_alu instid0(VALU_DEP_2)
	v_cmpx_ne_u32_e32 0x7f, v45
	s_cbranch_execz .LBB276_872
; %bb.869:                              ;   in Loop: Header=BB276_685 Depth=1
	v_dual_lshrrev_b32 v30, 3, v45 :: v_dual_bitop2_b32 v28, 7, v14 bitop3:0x40
	s_mov_b32 s24, exec_lo
	v_cmpx_gt_u32_e32 8, v45
; %bb.870:                              ;   in Loop: Header=BB276_685 Depth=1
	s_delay_alu instid0(VALU_DEP_2) | instskip(NEXT) | instid1(VALU_DEP_1)
	v_clz_i32_u32_e32 v28, v28
	v_min_u32_e32 v28, 32, v28
	s_delay_alu instid0(VALU_DEP_1) | instskip(NEXT) | instid1(VALU_DEP_1)
	v_subrev_nc_u32_e32 v30, 28, v28
	v_lshlrev_b64_e32 v[56:57], v30, v[14:15]
	v_sub_nc_u32_e32 v30, 29, v28
	s_delay_alu instid0(VALU_DEP_2)
	v_and_b32_e32 v28, 7, v56
; %bb.871:                              ;   in Loop: Header=BB276_685 Depth=1
	s_or_b32 exec_lo, exec_lo, s24
	s_delay_alu instid0(VALU_DEP_1) | instskip(NEXT) | instid1(VALU_DEP_3)
	v_dual_lshlrev_b32 v14, 8, v14 :: v_dual_lshlrev_b32 v28, 7, v28
	v_lshl_add_u32 v30, v30, 10, 0x2000
	s_delay_alu instid0(VALU_DEP_2) | instskip(NEXT) | instid1(VALU_DEP_2)
	v_and_b32_e32 v14, 0x8000, v14
	v_and_b32_e32 v30, 0xfc00, v30
	s_delay_alu instid0(VALU_DEP_1)
	v_or3_b32 v28, v14, v30, v28
.LBB276_872:                            ;   in Loop: Header=BB276_685 Depth=1
	s_or_b32 exec_lo, exec_lo, s23
.LBB276_873:                            ;   in Loop: Header=BB276_685 Depth=1
	s_delay_alu instid0(SALU_CYCLE_1)
	s_or_b32 exec_lo, exec_lo, s22
.LBB276_874:                            ;   in Loop: Header=BB276_685 Depth=1
	s_delay_alu instid0(SALU_CYCLE_1)
	s_or_b32 exec_lo, exec_lo, s21
	v_cmp_lt_u64_e64 s0, s[4:5], v[24:25]
	v_mov_b32_e32 v24, 0
	s_and_saveexec_b32 s21, s0
	s_cbranch_execz .LBB276_882
; %bb.875:                              ;   in Loop: Header=BB276_685 Depth=1
	v_lshrrev_b32_e32 v14, 24, v25
	v_bfrev_b32_e32 v24, 1
	s_mov_b32 s22, exec_lo
	s_delay_alu instid0(VALU_DEP_2)
	v_cmpx_ne_u32_e32 0x80, v14
	s_cbranch_execz .LBB276_881
; %bb.876:                              ;   in Loop: Header=BB276_685 Depth=1
	v_and_b32_e32 v30, 0x7f, v14
	v_mov_b32_e32 v24, 0x7c010000
	s_mov_b32 s23, exec_lo
	s_delay_alu instid0(VALU_DEP_2)
	v_cmpx_ne_u32_e32 0x7f, v30
	s_cbranch_execz .LBB276_880
; %bb.877:                              ;   in Loop: Header=BB276_685 Depth=1
	v_and_b32_e32 v24, 7, v14
	v_lshrrev_b32_e32 v25, 3, v30
	s_mov_b32 s24, exec_lo
	v_cmpx_gt_u32_e32 8, v30
; %bb.878:                              ;   in Loop: Header=BB276_685 Depth=1
	s_delay_alu instid0(VALU_DEP_3) | instskip(NEXT) | instid1(VALU_DEP_1)
	v_clz_i32_u32_e32 v24, v24
	v_min_u32_e32 v30, 32, v24
	s_delay_alu instid0(VALU_DEP_1) | instskip(NEXT) | instid1(VALU_DEP_1)
	v_subrev_nc_u32_e32 v24, 28, v30
	v_lshlrev_b64_e32 v[24:25], v24, v[14:15]
	s_delay_alu instid0(VALU_DEP_1)
	v_dual_sub_nc_u32 v25, 29, v30 :: v_dual_bitop2_b32 v24, 7, v24 bitop3:0x40
; %bb.879:                              ;   in Loop: Header=BB276_685 Depth=1
	s_or_b32 exec_lo, exec_lo, s24
	s_delay_alu instid0(VALU_DEP_1) | instskip(NEXT) | instid1(VALU_DEP_2)
	v_dual_lshlrev_b32 v14, 8, v14 :: v_dual_lshlrev_b32 v24, 23, v24
	v_lshl_add_u32 v25, v25, 10, 0x2000
	s_delay_alu instid0(VALU_DEP_1) | instskip(NEXT) | instid1(VALU_DEP_1)
	v_and_or_b32 v14, 0x8000, v14, v25
	v_lshl_or_b32 v24, v14, 16, v24
.LBB276_880:                            ;   in Loop: Header=BB276_685 Depth=1
	s_or_b32 exec_lo, exec_lo, s23
.LBB276_881:                            ;   in Loop: Header=BB276_685 Depth=1
	s_delay_alu instid0(SALU_CYCLE_1)
	s_or_b32 exec_lo, exec_lo, s22
.LBB276_882:                            ;   in Loop: Header=BB276_685 Depth=1
	s_delay_alu instid0(SALU_CYCLE_1) | instskip(SKIP_3) | instid1(VALU_DEP_3)
	s_or_b32 exec_lo, exec_lo, s21
	v_dual_lshrrev_b32 v14, 16, v1 :: v_dual_lshrrev_b32 v25, 16, v23
	v_or_b32_e32 v1, v1, v7
	v_dual_lshrrev_b32 v26, 16, v24 :: v_dual_bitop2_b32 v7, v23, v26 bitop3:0x54
	v_cvt_f32_f16_e32 v57, v14
	s_delay_alu instid0(VALU_DEP_4) | instskip(SKIP_4) | instid1(VALU_DEP_3)
	v_cvt_f32_f16_e32 v56, v25
	v_lshrrev_b32_e32 v23, 16, v29
	v_cvt_f32_f16_e32 v25, v1
	v_cvt_f32_f16_e32 v26, v26
	s_wait_loadcnt 0x0
	v_pk_mul_f32 v[56:57], v[22:23], v[56:57] op_sel_hi:[0,1]
	s_delay_alu instid0(VALU_DEP_1) | instskip(SKIP_4) | instid1(VALU_DEP_3)
	v_cvt_pk_f16_f32 v1, v56, v57
	v_or_b32_e32 v14, v24, v28
	v_cvt_f32_f16_e32 v24, v7
	v_or_b32_e32 v7, v29, v27
	v_cvt_f32_f16_e32 v27, v23
	v_pk_mul_f32 v[24:25], v[22:23], v[24:25] op_sel_hi:[0,1]
	s_delay_alu instid0(VALU_DEP_3) | instskip(NEXT) | instid1(VALU_DEP_3)
	v_cvt_f32_f16_e32 v29, v7
	v_pk_mul_f32 v[26:27], v[22:23], v[26:27] op_sel_hi:[0,1]
	s_delay_alu instid0(VALU_DEP_3) | instskip(SKIP_2) | instid1(VALU_DEP_4)
	v_cvt_pk_f16_f32 v7, v24, v25
	v_lshlrev_b32_e32 v24, 16, v1
	v_cvt_f32_f16_e32 v28, v14
	v_cvt_pk_f16_f32 v14, v26, v27
	s_delay_alu instid0(VALU_DEP_4) | instskip(NEXT) | instid1(VALU_DEP_3)
	v_and_b32_e32 v30, 0xffff, v7
	v_pk_mul_f32 v[28:29], v[22:23], v[28:29] op_sel_hi:[0,1]
	v_and_b32_e32 v23, 0xffff0000, v1
	s_delay_alu instid0(VALU_DEP_4) | instskip(SKIP_1) | instid1(VALU_DEP_4)
	v_and_b32_e32 v1, 0xffff0000, v14
	v_lshlrev_b32_e32 v14, 16, v14
	v_cvt_pk_f16_f32 v22, v28, v29
	v_dual_lshrrev_b32 v29, 16, v7 :: v_dual_bitop2_b32 v28, v24, v30 bitop3:0x54
	s_delay_alu instid0(VALU_DEP_2) | instskip(SKIP_1) | instid1(VALU_DEP_3)
	v_lshrrev_b32_e32 v7, 16, v22
	v_and_b32_e32 v22, 0xffff, v22
	v_or_b32_e32 v27, v23, v29
	s_delay_alu instid0(VALU_DEP_3) | instskip(NEXT) | instid1(VALU_DEP_3)
	v_or_b32_e32 v25, v1, v7
	v_or_b32_e32 v26, v14, v22
	s_and_saveexec_b32 s21, vcc_lo
	s_cbranch_execz .LBB276_884
; %bb.883:                              ;   in Loop: Header=BB276_685 Depth=1
	v_cmp_gt_i32_e64 s0, s14, v37
	s_delay_alu instid0(VALU_DEP_1) | instskip(SKIP_1) | instid1(VALU_DEP_1)
	v_cndmask_b32_e64 v25, 0, v29, s0
	v_cmp_gt_i32_e64 s0, s34, v44
	v_cndmask_b32_e64 v26, 0, v30, s0
	v_cmp_gt_i32_e64 s0, s14, v43
	s_delay_alu instid0(VALU_DEP_1) | instskip(SKIP_1) | instid1(VALU_DEP_1)
	v_cndmask_b32_e64 v23, 0, v23, s0
	v_cmp_gt_i32_e64 s0, s34, v42
	v_cndmask_b32_e64 v24, 0, v24, s0
	v_cmp_gt_i32_e64 s0, s14, v41
	s_delay_alu instid0(VALU_DEP_4) | instskip(NEXT) | instid1(VALU_DEP_2)
	v_or_b32_e32 v27, v23, v25
	v_dual_cndmask_b32 v7, 0, v7, s0 :: v_dual_bitop2_b32 v28, v24, v26 bitop3:0x54
	v_cmp_gt_i32_e64 s0, s34, v40
	s_delay_alu instid0(VALU_DEP_1) | instskip(SKIP_1) | instid1(VALU_DEP_1)
	v_cndmask_b32_e64 v22, 0, v22, s0
	v_cmp_gt_i32_e64 s0, s14, v39
	v_cndmask_b32_e64 v1, 0, v1, s0
	v_cmp_gt_i32_e64 s0, s34, v38
	s_delay_alu instid0(VALU_DEP_1) | instskip(NEXT) | instid1(VALU_DEP_1)
	v_dual_cndmask_b32 v14, 0, v14, s0 :: v_dual_bitop2_b32 v25, v1, v7 bitop3:0x54
	v_or_b32_e32 v26, v14, v22
.LBB276_884:                            ;   in Loop: Header=BB276_685 Depth=1
	s_or_b32 exec_lo, exec_lo, s21
	;;#ASMSTART
	v_pk_mul_f16 v1, v51, v27;

	;;#ASMEND
	;;#ASMSTART
	v_pk_mul_f16 v7, v49, v28;

	;;#ASMEND
	;; [unrolled: 4-line block ×4, first 2 shown]
	;;#ASMSTART
	v_pk_add_f16 v1, v1, v7;

	;;#ASMEND
	;;#ASMSTART
	v_pk_add_f16 v1, v1, v14;

	;;#ASMEND
	;;#ASMSTART
	v_pk_add_f16 v1, v1, v22;

	;;#ASMEND
	v_and_b32_e32 v7, 0xffff, v1
	v_lshrrev_b32_e32 v1, 16, v1
	;;#ASMSTART
	v_cvt_f32_f16 v55, v7;
	;;#ASMEND
	v_mov_b32_e32 v7, 0
	;;#ASMSTART
	v_cvt_f32_f16 v56, v1;
	;;#ASMEND
	global_load_b64 v[24:25], v[20:21], off offset:768
	v_mov_b32_e32 v1, 0
	s_mov_b32 s21, exec_lo
	global_load_b32 v22, v1, s[10:11]
	s_wait_loadcnt 0x1
	v_and_b32_e32 v14, 0xff, v24
	s_wait_xcnt 0x0
	s_delay_alu instid0(VALU_DEP_1)
	v_cmpx_ne_u16_e32 0, v14
	s_cbranch_execz .LBB276_892
; %bb.885:                              ;   in Loop: Header=BB276_685 Depth=1
	v_mov_b32_e32 v7, 0x8000
	s_mov_b32 s22, exec_lo
	v_cmpx_ne_u16_e32 0x80, v14
	s_cbranch_execz .LBB276_891
; %bb.886:                              ;   in Loop: Header=BB276_685 Depth=1
	v_and_b32_e32 v23, 0x7f, v24
	v_mov_b32_e32 v7, 0x7c01
	s_mov_b32 s23, exec_lo
	s_delay_alu instid0(VALU_DEP_2)
	v_cmpx_ne_u32_e32 0x7f, v23
	s_cbranch_execz .LBB276_890
; %bb.887:                              ;   in Loop: Header=BB276_685 Depth=1
	v_dual_lshrrev_b32 v14, 3, v23 :: v_dual_bitop2_b32 v7, 7, v24 bitop3:0x40
	s_mov_b32 s24, exec_lo
	v_cmpx_gt_u32_e32 8, v23
; %bb.888:                              ;   in Loop: Header=BB276_685 Depth=1
	s_delay_alu instid0(VALU_DEP_2) | instskip(NEXT) | instid1(VALU_DEP_1)
	v_clz_i32_u32_e32 v7, v7
	v_min_u32_e32 v7, 32, v7
	s_delay_alu instid0(VALU_DEP_1) | instskip(NEXT) | instid1(VALU_DEP_1)
	v_subrev_nc_u32_e32 v14, 28, v7
	v_lshlrev_b64_e32 v[26:27], v14, v[24:25]
	s_delay_alu instid0(VALU_DEP_1)
	v_dual_sub_nc_u32 v14, 29, v7 :: v_dual_bitop2_b32 v7, 7, v26 bitop3:0x40
; %bb.889:                              ;   in Loop: Header=BB276_685 Depth=1
	s_or_b32 exec_lo, exec_lo, s24
	s_delay_alu instid0(VALU_DEP_1) | instskip(NEXT) | instid1(VALU_DEP_2)
	v_dual_lshlrev_b32 v23, 8, v24 :: v_dual_lshlrev_b32 v7, 7, v7
	v_lshl_add_u32 v14, v14, 10, 0x2000
	s_delay_alu instid0(VALU_DEP_2) | instskip(NEXT) | instid1(VALU_DEP_2)
	v_and_b32_e32 v23, 0x8000, v23
	v_and_b32_e32 v14, 0xfc00, v14
	s_delay_alu instid0(VALU_DEP_1)
	v_or3_b32 v7, v23, v14, v7
.LBB276_890:                            ;   in Loop: Header=BB276_685 Depth=1
	s_or_b32 exec_lo, exec_lo, s23
.LBB276_891:                            ;   in Loop: Header=BB276_685 Depth=1
	s_delay_alu instid0(SALU_CYCLE_1)
	s_or_b32 exec_lo, exec_lo, s22
.LBB276_892:                            ;   in Loop: Header=BB276_685 Depth=1
	s_delay_alu instid0(SALU_CYCLE_1) | instskip(SKIP_2) | instid1(VALU_DEP_1)
	s_or_b32 exec_lo, exec_lo, s21
	v_lshrrev_b16 v14, 8, v24
	s_mov_b32 s21, exec_lo
	v_cmpx_ne_u16_e32 0, v14
	s_cbranch_execz .LBB276_900
; %bb.893:                              ;   in Loop: Header=BB276_685 Depth=1
	v_bfrev_b32_e32 v1, 1
	s_mov_b32 s22, exec_lo
	v_cmpx_ne_u16_e32 0x80, v14
	s_cbranch_execz .LBB276_899
; %bb.894:                              ;   in Loop: Header=BB276_685 Depth=1
	v_and_b32_e32 v23, 0xffff, v14
	v_mov_b32_e32 v1, 0x7c010000
	s_mov_b32 s23, exec_lo
	s_delay_alu instid0(VALU_DEP_2) | instskip(NEXT) | instid1(VALU_DEP_1)
	v_and_b32_e32 v27, 0x7f, v23
	v_cmpx_ne_u32_e32 0x7f, v27
	s_cbranch_execz .LBB276_898
; %bb.895:                              ;   in Loop: Header=BB276_685 Depth=1
	v_and_b32_e32 v1, 7, v23
	v_lshrrev_b32_e32 v26, 3, v27
	s_mov_b32 s24, exec_lo
	v_cmpx_gt_u32_e32 8, v27
; %bb.896:                              ;   in Loop: Header=BB276_685 Depth=1
	s_delay_alu instid0(VALU_DEP_3) | instskip(NEXT) | instid1(VALU_DEP_1)
	v_clz_i32_u32_e32 v1, v1
	v_min_u32_e32 v1, 32, v1
	s_delay_alu instid0(VALU_DEP_1) | instskip(NEXT) | instid1(VALU_DEP_1)
	v_subrev_nc_u32_e32 v26, 28, v1
	v_lshlrev_b64_e32 v[28:29], v26, v[14:15]
	s_delay_alu instid0(VALU_DEP_1)
	v_dual_sub_nc_u32 v26, 29, v1 :: v_dual_bitop2_b32 v1, 7, v28 bitop3:0x40
; %bb.897:                              ;   in Loop: Header=BB276_685 Depth=1
	s_or_b32 exec_lo, exec_lo, s24
	s_delay_alu instid0(VALU_DEP_1) | instskip(NEXT) | instid1(VALU_DEP_2)
	v_dual_lshlrev_b32 v14, 8, v23 :: v_dual_lshlrev_b32 v1, 23, v1
	v_lshl_add_u32 v23, v26, 10, 0x2000
	s_delay_alu instid0(VALU_DEP_1) | instskip(NEXT) | instid1(VALU_DEP_1)
	v_and_or_b32 v14, 0x8000, v14, v23
	v_lshl_or_b32 v1, v14, 16, v1
.LBB276_898:                            ;   in Loop: Header=BB276_685 Depth=1
	s_or_b32 exec_lo, exec_lo, s23
.LBB276_899:                            ;   in Loop: Header=BB276_685 Depth=1
	s_delay_alu instid0(SALU_CYCLE_1)
	s_or_b32 exec_lo, exec_lo, s22
.LBB276_900:                            ;   in Loop: Header=BB276_685 Depth=1
	s_delay_alu instid0(SALU_CYCLE_1) | instskip(SKIP_3) | instid1(VALU_DEP_2)
	s_or_b32 exec_lo, exec_lo, s21
	v_dual_mov_b32 v23, 0 :: v_dual_lshrrev_b32 v14, 16, v24
	v_mov_b32_e32 v26, 0
	s_mov_b32 s21, exec_lo
	v_and_b32_e32 v27, 0xff, v14
	s_delay_alu instid0(VALU_DEP_1)
	v_cmpx_ne_u16_e32 0, v27
	s_cbranch_execz .LBB276_908
; %bb.901:                              ;   in Loop: Header=BB276_685 Depth=1
	v_mov_b32_e32 v26, 0x8000
	s_mov_b32 s22, exec_lo
	v_cmpx_ne_u16_e32 0x80, v27
	s_cbranch_execz .LBB276_907
; %bb.902:                              ;   in Loop: Header=BB276_685 Depth=1
	v_bfe_u32 v28, v24, 16, 7
	v_mov_b32_e32 v26, 0x7c01
	s_mov_b32 s23, exec_lo
	s_delay_alu instid0(VALU_DEP_2)
	v_cmpx_ne_u32_e32 0x7f, v28
	s_cbranch_execz .LBB276_906
; %bb.903:                              ;   in Loop: Header=BB276_685 Depth=1
	v_dual_lshrrev_b32 v27, 3, v28 :: v_dual_bitop2_b32 v26, 7, v14 bitop3:0x40
	s_mov_b32 s24, exec_lo
	v_cmpx_gt_u32_e32 8, v28
; %bb.904:                              ;   in Loop: Header=BB276_685 Depth=1
	s_delay_alu instid0(VALU_DEP_2) | instskip(NEXT) | instid1(VALU_DEP_1)
	v_clz_i32_u32_e32 v26, v26
	v_min_u32_e32 v28, 32, v26
	s_delay_alu instid0(VALU_DEP_1) | instskip(NEXT) | instid1(VALU_DEP_1)
	v_subrev_nc_u32_e32 v26, 28, v28
	v_lshlrev_b64_e32 v[26:27], v26, v[14:15]
	s_delay_alu instid0(VALU_DEP_1)
	v_dual_sub_nc_u32 v27, 29, v28 :: v_dual_bitop2_b32 v26, 7, v26 bitop3:0x40
; %bb.905:                              ;   in Loop: Header=BB276_685 Depth=1
	s_or_b32 exec_lo, exec_lo, s24
	v_lshlrev_b32_e32 v14, 8, v14
	s_delay_alu instid0(VALU_DEP_2) | instskip(NEXT) | instid1(VALU_DEP_3)
	v_lshl_add_u32 v27, v27, 10, 0x2000
	v_lshlrev_b32_e32 v26, 7, v26
	s_delay_alu instid0(VALU_DEP_3) | instskip(NEXT) | instid1(VALU_DEP_3)
	v_and_b32_e32 v14, 0x8000, v14
	v_and_b32_e32 v27, 0xfc00, v27
	s_delay_alu instid0(VALU_DEP_1)
	v_or3_b32 v26, v14, v27, v26
.LBB276_906:                            ;   in Loop: Header=BB276_685 Depth=1
	s_or_b32 exec_lo, exec_lo, s23
.LBB276_907:                            ;   in Loop: Header=BB276_685 Depth=1
	s_delay_alu instid0(SALU_CYCLE_1)
	s_or_b32 exec_lo, exec_lo, s22
.LBB276_908:                            ;   in Loop: Header=BB276_685 Depth=1
	s_delay_alu instid0(SALU_CYCLE_1) | instskip(NEXT) | instid1(SALU_CYCLE_1)
	s_or_b32 exec_lo, exec_lo, s21
	s_mov_b32 s21, exec_lo
	v_cmpx_lt_u32_e32 0xffffff, v24
	s_cbranch_execz .LBB276_916
; %bb.909:                              ;   in Loop: Header=BB276_685 Depth=1
	v_lshrrev_b32_e32 v14, 24, v24
	v_bfrev_b32_e32 v23, 1
	s_mov_b32 s22, exec_lo
	s_delay_alu instid0(VALU_DEP_2)
	v_cmpx_ne_u32_e32 0x80, v14
	s_cbranch_execz .LBB276_915
; %bb.910:                              ;   in Loop: Header=BB276_685 Depth=1
	v_and_b32_e32 v28, 0x7f, v14
	v_mov_b32_e32 v23, 0x7c010000
	s_mov_b32 s23, exec_lo
	s_delay_alu instid0(VALU_DEP_2)
	v_cmpx_ne_u32_e32 0x7f, v28
	s_cbranch_execz .LBB276_914
; %bb.911:                              ;   in Loop: Header=BB276_685 Depth=1
	v_dual_lshrrev_b32 v27, 3, v28 :: v_dual_bitop2_b32 v23, 7, v14 bitop3:0x40
	s_mov_b32 s24, exec_lo
	v_cmpx_gt_u32_e32 8, v28
; %bb.912:                              ;   in Loop: Header=BB276_685 Depth=1
	s_delay_alu instid0(VALU_DEP_2) | instskip(NEXT) | instid1(VALU_DEP_1)
	v_clz_i32_u32_e32 v23, v23
	v_min_u32_e32 v23, 32, v23
	s_delay_alu instid0(VALU_DEP_1) | instskip(NEXT) | instid1(VALU_DEP_1)
	v_subrev_nc_u32_e32 v27, 28, v23
	v_lshlrev_b64_e32 v[28:29], v27, v[14:15]
	s_delay_alu instid0(VALU_DEP_1)
	v_dual_sub_nc_u32 v27, 29, v23 :: v_dual_bitop2_b32 v23, 7, v28 bitop3:0x40
; %bb.913:                              ;   in Loop: Header=BB276_685 Depth=1
	s_or_b32 exec_lo, exec_lo, s24
	s_delay_alu instid0(VALU_DEP_1) | instskip(NEXT) | instid1(VALU_DEP_2)
	v_dual_lshlrev_b32 v14, 8, v14 :: v_dual_lshlrev_b32 v23, 23, v23
	v_lshl_add_u32 v27, v27, 10, 0x2000
	s_delay_alu instid0(VALU_DEP_1) | instskip(NEXT) | instid1(VALU_DEP_1)
	v_and_or_b32 v14, 0x8000, v14, v27
	v_lshl_or_b32 v23, v14, 16, v23
.LBB276_914:                            ;   in Loop: Header=BB276_685 Depth=1
	s_or_b32 exec_lo, exec_lo, s23
.LBB276_915:                            ;   in Loop: Header=BB276_685 Depth=1
	s_delay_alu instid0(SALU_CYCLE_1)
	s_or_b32 exec_lo, exec_lo, s22
.LBB276_916:                            ;   in Loop: Header=BB276_685 Depth=1
	s_delay_alu instid0(SALU_CYCLE_1) | instskip(SKIP_4) | instid1(VALU_DEP_3)
	s_or_b32 exec_lo, exec_lo, s21
	v_and_b32_e32 v29, 0xff, v25
	v_dual_mov_b32 v14, v25 :: v_dual_mov_b32 v28, 0
	v_mov_b32_e32 v27, 0
	s_mov_b32 s21, exec_lo
	v_cmpx_ne_u16_e32 0, v29
	s_cbranch_execz .LBB276_924
; %bb.917:                              ;   in Loop: Header=BB276_685 Depth=1
	v_mov_b32_e32 v27, 0x8000
	s_mov_b32 s22, exec_lo
	v_cmpx_ne_u16_e32 0x80, v29
	s_cbranch_execz .LBB276_923
; %bb.918:                              ;   in Loop: Header=BB276_685 Depth=1
	v_and_b32_e32 v30, 0x7f, v25
	v_mov_b32_e32 v27, 0x7c01
	s_mov_b32 s23, exec_lo
	s_delay_alu instid0(VALU_DEP_2)
	v_cmpx_ne_u32_e32 0x7f, v30
	s_cbranch_execz .LBB276_922
; %bb.919:                              ;   in Loop: Header=BB276_685 Depth=1
	v_dual_lshrrev_b32 v29, 3, v30 :: v_dual_bitop2_b32 v27, 7, v25 bitop3:0x40
	s_mov_b32 s24, exec_lo
	v_cmpx_gt_u32_e32 8, v30
; %bb.920:                              ;   in Loop: Header=BB276_685 Depth=1
	s_delay_alu instid0(VALU_DEP_2) | instskip(NEXT) | instid1(VALU_DEP_1)
	v_clz_i32_u32_e32 v27, v27
	v_min_u32_e32 v27, 32, v27
	s_delay_alu instid0(VALU_DEP_1) | instskip(NEXT) | instid1(VALU_DEP_1)
	v_subrev_nc_u32_e32 v29, 28, v27
	v_lshlrev_b64_e32 v[58:59], v29, v[14:15]
	s_delay_alu instid0(VALU_DEP_1)
	v_dual_sub_nc_u32 v29, 29, v27 :: v_dual_bitop2_b32 v27, 7, v58 bitop3:0x40
; %bb.921:                              ;   in Loop: Header=BB276_685 Depth=1
	s_or_b32 exec_lo, exec_lo, s24
	s_delay_alu instid0(VALU_DEP_1) | instskip(NEXT) | instid1(VALU_DEP_2)
	v_dual_lshlrev_b32 v30, 8, v25 :: v_dual_lshlrev_b32 v27, 7, v27
	v_lshl_add_u32 v29, v29, 10, 0x2000
	s_delay_alu instid0(VALU_DEP_2) | instskip(NEXT) | instid1(VALU_DEP_2)
	v_and_b32_e32 v30, 0x8000, v30
	v_and_b32_e32 v29, 0xfc00, v29
	s_delay_alu instid0(VALU_DEP_1)
	v_or3_b32 v27, v30, v29, v27
.LBB276_922:                            ;   in Loop: Header=BB276_685 Depth=1
	s_or_b32 exec_lo, exec_lo, s23
.LBB276_923:                            ;   in Loop: Header=BB276_685 Depth=1
	s_delay_alu instid0(SALU_CYCLE_1)
	s_or_b32 exec_lo, exec_lo, s22
.LBB276_924:                            ;   in Loop: Header=BB276_685 Depth=1
	s_delay_alu instid0(SALU_CYCLE_1) | instskip(SKIP_3) | instid1(VALU_DEP_2)
	s_or_b32 exec_lo, exec_lo, s21
	v_lshrrev_b16 v14, 8, v14
	v_mov_b32_e32 v29, 0
	s_mov_b32 s21, exec_lo
	v_cmpx_ne_u16_e32 0, v14
	s_cbranch_execz .LBB276_932
; %bb.925:                              ;   in Loop: Header=BB276_685 Depth=1
	v_bfrev_b32_e32 v29, 1
	s_mov_b32 s22, exec_lo
	v_cmpx_ne_u16_e32 0x80, v14
	s_cbranch_execz .LBB276_931
; %bb.926:                              ;   in Loop: Header=BB276_685 Depth=1
	v_and_b32_e32 v30, 0xffff, v14
	v_mov_b32_e32 v29, 0x7c010000
	s_mov_b32 s23, exec_lo
	s_delay_alu instid0(VALU_DEP_2) | instskip(NEXT) | instid1(VALU_DEP_1)
	v_and_b32_e32 v46, 0x7f, v30
	v_cmpx_ne_u32_e32 0x7f, v46
	s_cbranch_execz .LBB276_930
; %bb.927:                              ;   in Loop: Header=BB276_685 Depth=1
	v_and_b32_e32 v29, 7, v30
	v_lshrrev_b32_e32 v45, 3, v46
	s_mov_b32 s24, exec_lo
	v_cmpx_gt_u32_e32 8, v46
; %bb.928:                              ;   in Loop: Header=BB276_685 Depth=1
	s_delay_alu instid0(VALU_DEP_3) | instskip(NEXT) | instid1(VALU_DEP_1)
	v_clz_i32_u32_e32 v29, v29
	v_min_u32_e32 v29, 32, v29
	s_delay_alu instid0(VALU_DEP_1) | instskip(NEXT) | instid1(VALU_DEP_1)
	v_subrev_nc_u32_e32 v45, 28, v29
	v_lshlrev_b64_e32 v[58:59], v45, v[14:15]
	s_delay_alu instid0(VALU_DEP_1)
	v_dual_sub_nc_u32 v45, 29, v29 :: v_dual_bitop2_b32 v29, 7, v58 bitop3:0x40
; %bb.929:                              ;   in Loop: Header=BB276_685 Depth=1
	s_or_b32 exec_lo, exec_lo, s24
	s_delay_alu instid0(VALU_DEP_1) | instskip(NEXT) | instid1(VALU_DEP_2)
	v_dual_lshlrev_b32 v14, 8, v30 :: v_dual_lshlrev_b32 v29, 23, v29
	v_lshl_add_u32 v30, v45, 10, 0x2000
	s_delay_alu instid0(VALU_DEP_1) | instskip(NEXT) | instid1(VALU_DEP_1)
	v_and_or_b32 v14, 0x8000, v14, v30
	v_lshl_or_b32 v29, v14, 16, v29
.LBB276_930:                            ;   in Loop: Header=BB276_685 Depth=1
	s_or_b32 exec_lo, exec_lo, s23
.LBB276_931:                            ;   in Loop: Header=BB276_685 Depth=1
	s_delay_alu instid0(SALU_CYCLE_1)
	s_or_b32 exec_lo, exec_lo, s22
.LBB276_932:                            ;   in Loop: Header=BB276_685 Depth=1
	s_delay_alu instid0(SALU_CYCLE_1) | instskip(SKIP_2) | instid1(VALU_DEP_1)
	s_or_b32 exec_lo, exec_lo, s21
	v_lshrrev_b32_e32 v14, 16, v25
	s_mov_b32 s21, exec_lo
	v_and_b32_e32 v30, 0xff, v14
	s_delay_alu instid0(VALU_DEP_1)
	v_cmpx_ne_u16_e32 0, v30
	s_cbranch_execz .LBB276_940
; %bb.933:                              ;   in Loop: Header=BB276_685 Depth=1
	v_mov_b32_e32 v28, 0x8000
	s_mov_b32 s22, exec_lo
	v_cmpx_ne_u16_e32 0x80, v30
	s_cbranch_execz .LBB276_939
; %bb.934:                              ;   in Loop: Header=BB276_685 Depth=1
	v_bfe_u32 v45, v25, 16, 7
	v_mov_b32_e32 v28, 0x7c01
	s_mov_b32 s23, exec_lo
	s_delay_alu instid0(VALU_DEP_2)
	v_cmpx_ne_u32_e32 0x7f, v45
	s_cbranch_execz .LBB276_938
; %bb.935:                              ;   in Loop: Header=BB276_685 Depth=1
	v_dual_lshrrev_b32 v30, 3, v45 :: v_dual_bitop2_b32 v28, 7, v14 bitop3:0x40
	s_mov_b32 s24, exec_lo
	v_cmpx_gt_u32_e32 8, v45
; %bb.936:                              ;   in Loop: Header=BB276_685 Depth=1
	s_delay_alu instid0(VALU_DEP_2) | instskip(NEXT) | instid1(VALU_DEP_1)
	v_clz_i32_u32_e32 v28, v28
	v_min_u32_e32 v28, 32, v28
	s_delay_alu instid0(VALU_DEP_1) | instskip(NEXT) | instid1(VALU_DEP_1)
	v_subrev_nc_u32_e32 v30, 28, v28
	v_lshlrev_b64_e32 v[58:59], v30, v[14:15]
	s_delay_alu instid0(VALU_DEP_1)
	v_dual_sub_nc_u32 v30, 29, v28 :: v_dual_bitop2_b32 v28, 7, v58 bitop3:0x40
; %bb.937:                              ;   in Loop: Header=BB276_685 Depth=1
	s_or_b32 exec_lo, exec_lo, s24
	s_delay_alu instid0(VALU_DEP_1) | instskip(NEXT) | instid1(VALU_DEP_2)
	v_dual_lshlrev_b32 v14, 8, v14 :: v_dual_lshlrev_b32 v28, 7, v28
	v_lshl_add_u32 v30, v30, 10, 0x2000
	s_delay_alu instid0(VALU_DEP_2) | instskip(NEXT) | instid1(VALU_DEP_2)
	v_and_b32_e32 v14, 0x8000, v14
	v_and_b32_e32 v30, 0xfc00, v30
	s_delay_alu instid0(VALU_DEP_1)
	v_or3_b32 v28, v14, v30, v28
.LBB276_938:                            ;   in Loop: Header=BB276_685 Depth=1
	s_or_b32 exec_lo, exec_lo, s23
.LBB276_939:                            ;   in Loop: Header=BB276_685 Depth=1
	s_delay_alu instid0(SALU_CYCLE_1)
	s_or_b32 exec_lo, exec_lo, s22
.LBB276_940:                            ;   in Loop: Header=BB276_685 Depth=1
	s_delay_alu instid0(SALU_CYCLE_1)
	s_or_b32 exec_lo, exec_lo, s21
	v_cmp_lt_u64_e64 s0, s[4:5], v[24:25]
	v_mov_b32_e32 v24, 0
	s_and_saveexec_b32 s21, s0
	s_cbranch_execz .LBB276_948
; %bb.941:                              ;   in Loop: Header=BB276_685 Depth=1
	v_lshrrev_b32_e32 v14, 24, v25
	v_bfrev_b32_e32 v24, 1
	s_mov_b32 s22, exec_lo
	s_delay_alu instid0(VALU_DEP_2)
	v_cmpx_ne_u32_e32 0x80, v14
	s_cbranch_execz .LBB276_947
; %bb.942:                              ;   in Loop: Header=BB276_685 Depth=1
	v_and_b32_e32 v30, 0x7f, v14
	v_mov_b32_e32 v24, 0x7c010000
	s_mov_b32 s23, exec_lo
	s_delay_alu instid0(VALU_DEP_2)
	v_cmpx_ne_u32_e32 0x7f, v30
	s_cbranch_execz .LBB276_946
; %bb.943:                              ;   in Loop: Header=BB276_685 Depth=1
	v_and_b32_e32 v24, 7, v14
	v_lshrrev_b32_e32 v25, 3, v30
	s_mov_b32 s24, exec_lo
	v_cmpx_gt_u32_e32 8, v30
; %bb.944:                              ;   in Loop: Header=BB276_685 Depth=1
	s_delay_alu instid0(VALU_DEP_3) | instskip(NEXT) | instid1(VALU_DEP_1)
	v_clz_i32_u32_e32 v24, v24
	v_min_u32_e32 v30, 32, v24
	s_delay_alu instid0(VALU_DEP_1) | instskip(NEXT) | instid1(VALU_DEP_1)
	v_subrev_nc_u32_e32 v24, 28, v30
	v_lshlrev_b64_e32 v[24:25], v24, v[14:15]
	s_delay_alu instid0(VALU_DEP_1)
	v_dual_sub_nc_u32 v25, 29, v30 :: v_dual_bitop2_b32 v24, 7, v24 bitop3:0x40
; %bb.945:                              ;   in Loop: Header=BB276_685 Depth=1
	s_or_b32 exec_lo, exec_lo, s24
	s_delay_alu instid0(VALU_DEP_1) | instskip(NEXT) | instid1(VALU_DEP_2)
	v_dual_lshlrev_b32 v14, 8, v14 :: v_dual_lshlrev_b32 v24, 23, v24
	v_lshl_add_u32 v25, v25, 10, 0x2000
	s_delay_alu instid0(VALU_DEP_1) | instskip(NEXT) | instid1(VALU_DEP_1)
	v_and_or_b32 v14, 0x8000, v14, v25
	v_lshl_or_b32 v24, v14, 16, v24
.LBB276_946:                            ;   in Loop: Header=BB276_685 Depth=1
	s_or_b32 exec_lo, exec_lo, s23
.LBB276_947:                            ;   in Loop: Header=BB276_685 Depth=1
	s_delay_alu instid0(SALU_CYCLE_1)
	s_or_b32 exec_lo, exec_lo, s22
.LBB276_948:                            ;   in Loop: Header=BB276_685 Depth=1
	s_delay_alu instid0(SALU_CYCLE_1) | instskip(SKIP_3) | instid1(VALU_DEP_3)
	s_or_b32 exec_lo, exec_lo, s21
	v_dual_lshrrev_b32 v14, 16, v1 :: v_dual_lshrrev_b32 v25, 16, v23
	v_or_b32_e32 v1, v1, v7
	v_dual_lshrrev_b32 v26, 16, v24 :: v_dual_bitop2_b32 v7, v23, v26 bitop3:0x54
	v_cvt_f32_f16_e32 v59, v14
	s_delay_alu instid0(VALU_DEP_4) | instskip(SKIP_4) | instid1(VALU_DEP_3)
	v_cvt_f32_f16_e32 v58, v25
	v_lshrrev_b32_e32 v23, 16, v29
	v_cvt_f32_f16_e32 v25, v1
	v_cvt_f32_f16_e32 v26, v26
	s_wait_loadcnt 0x0
	v_pk_mul_f32 v[58:59], v[22:23], v[58:59] op_sel_hi:[0,1]
	s_delay_alu instid0(VALU_DEP_1) | instskip(SKIP_4) | instid1(VALU_DEP_3)
	v_cvt_pk_f16_f32 v1, v58, v59
	v_or_b32_e32 v14, v24, v28
	v_cvt_f32_f16_e32 v24, v7
	v_or_b32_e32 v7, v29, v27
	v_cvt_f32_f16_e32 v27, v23
	v_pk_mul_f32 v[24:25], v[22:23], v[24:25] op_sel_hi:[0,1]
	s_delay_alu instid0(VALU_DEP_3) | instskip(NEXT) | instid1(VALU_DEP_3)
	v_cvt_f32_f16_e32 v29, v7
	v_pk_mul_f32 v[26:27], v[22:23], v[26:27] op_sel_hi:[0,1]
	s_delay_alu instid0(VALU_DEP_3) | instskip(SKIP_2) | instid1(VALU_DEP_4)
	v_cvt_pk_f16_f32 v7, v24, v25
	v_lshlrev_b32_e32 v24, 16, v1
	v_cvt_f32_f16_e32 v28, v14
	v_cvt_pk_f16_f32 v14, v26, v27
	s_delay_alu instid0(VALU_DEP_4) | instskip(NEXT) | instid1(VALU_DEP_3)
	v_and_b32_e32 v30, 0xffff, v7
	v_pk_mul_f32 v[28:29], v[22:23], v[28:29] op_sel_hi:[0,1]
	v_and_b32_e32 v23, 0xffff0000, v1
	s_delay_alu instid0(VALU_DEP_4) | instskip(SKIP_1) | instid1(VALU_DEP_4)
	v_and_b32_e32 v1, 0xffff0000, v14
	v_lshlrev_b32_e32 v14, 16, v14
	v_cvt_pk_f16_f32 v22, v28, v29
	v_dual_lshrrev_b32 v29, 16, v7 :: v_dual_bitop2_b32 v28, v24, v30 bitop3:0x54
	s_delay_alu instid0(VALU_DEP_2) | instskip(SKIP_1) | instid1(VALU_DEP_3)
	v_lshrrev_b32_e32 v7, 16, v22
	v_and_b32_e32 v22, 0xffff, v22
	v_or_b32_e32 v27, v23, v29
	s_delay_alu instid0(VALU_DEP_3) | instskip(NEXT) | instid1(VALU_DEP_3)
	v_or_b32_e32 v25, v1, v7
	v_or_b32_e32 v26, v14, v22
	s_and_saveexec_b32 s21, vcc_lo
	s_cbranch_execz .LBB276_950
; %bb.949:                              ;   in Loop: Header=BB276_685 Depth=1
	v_cmp_gt_i32_e64 s0, s14, v37
	s_delay_alu instid0(VALU_DEP_1) | instskip(SKIP_1) | instid1(VALU_DEP_1)
	v_cndmask_b32_e64 v25, 0, v29, s0
	v_cmp_gt_i32_e64 s0, s34, v44
	v_cndmask_b32_e64 v26, 0, v30, s0
	v_cmp_gt_i32_e64 s0, s14, v43
	s_delay_alu instid0(VALU_DEP_1) | instskip(SKIP_1) | instid1(VALU_DEP_1)
	v_cndmask_b32_e64 v23, 0, v23, s0
	v_cmp_gt_i32_e64 s0, s34, v42
	v_cndmask_b32_e64 v24, 0, v24, s0
	v_cmp_gt_i32_e64 s0, s14, v41
	s_delay_alu instid0(VALU_DEP_4) | instskip(NEXT) | instid1(VALU_DEP_2)
	v_or_b32_e32 v27, v23, v25
	v_dual_cndmask_b32 v7, 0, v7, s0 :: v_dual_bitop2_b32 v28, v24, v26 bitop3:0x54
	v_cmp_gt_i32_e64 s0, s34, v40
	s_delay_alu instid0(VALU_DEP_1) | instskip(SKIP_1) | instid1(VALU_DEP_1)
	v_cndmask_b32_e64 v22, 0, v22, s0
	v_cmp_gt_i32_e64 s0, s14, v39
	v_cndmask_b32_e64 v1, 0, v1, s0
	v_cmp_gt_i32_e64 s0, s34, v38
	s_delay_alu instid0(VALU_DEP_1) | instskip(NEXT) | instid1(VALU_DEP_1)
	v_dual_cndmask_b32 v14, 0, v14, s0 :: v_dual_bitop2_b32 v25, v1, v7 bitop3:0x54
	v_or_b32_e32 v26, v14, v22
.LBB276_950:                            ;   in Loop: Header=BB276_685 Depth=1
	s_or_b32 exec_lo, exec_lo, s21
	;;#ASMSTART
	v_pk_mul_f16 v1, v51, v27;

	;;#ASMEND
	;;#ASMSTART
	v_pk_mul_f16 v7, v49, v28;

	;;#ASMEND
	;; [unrolled: 4-line block ×4, first 2 shown]
	;;#ASMSTART
	v_pk_add_f16 v1, v1, v7;

	;;#ASMEND
	;;#ASMSTART
	v_pk_add_f16 v1, v1, v14;

	;;#ASMEND
	;; [unrolled: 4-line block ×3, first 2 shown]
	v_and_b32_e32 v7, 0xffff, v1
	v_lshrrev_b32_e32 v1, 16, v1
	;;#ASMSTART
	v_cvt_f32_f16 v57, v7;
	;;#ASMEND
	v_mov_b32_e32 v7, 0
	;;#ASMSTART
	v_cvt_f32_f16 v58, v1;
	;;#ASMEND
	global_load_b64 v[24:25], v[20:21], off offset:1024
	v_mov_b32_e32 v1, 0
	s_mov_b32 s21, exec_lo
	global_load_b32 v22, v1, s[10:11]
	s_wait_loadcnt 0x1
	v_and_b32_e32 v14, 0xff, v24
	s_wait_xcnt 0x0
	s_delay_alu instid0(VALU_DEP_1)
	v_cmpx_ne_u16_e32 0, v14
	s_cbranch_execz .LBB276_958
; %bb.951:                              ;   in Loop: Header=BB276_685 Depth=1
	v_mov_b32_e32 v7, 0x8000
	s_mov_b32 s22, exec_lo
	v_cmpx_ne_u16_e32 0x80, v14
	s_cbranch_execz .LBB276_957
; %bb.952:                              ;   in Loop: Header=BB276_685 Depth=1
	v_and_b32_e32 v23, 0x7f, v24
	v_mov_b32_e32 v7, 0x7c01
	s_mov_b32 s23, exec_lo
	s_delay_alu instid0(VALU_DEP_2)
	v_cmpx_ne_u32_e32 0x7f, v23
	s_cbranch_execz .LBB276_956
; %bb.953:                              ;   in Loop: Header=BB276_685 Depth=1
	v_dual_lshrrev_b32 v14, 3, v23 :: v_dual_bitop2_b32 v7, 7, v24 bitop3:0x40
	s_mov_b32 s24, exec_lo
	v_cmpx_gt_u32_e32 8, v23
; %bb.954:                              ;   in Loop: Header=BB276_685 Depth=1
	s_delay_alu instid0(VALU_DEP_2) | instskip(NEXT) | instid1(VALU_DEP_1)
	v_clz_i32_u32_e32 v7, v7
	v_min_u32_e32 v7, 32, v7
	s_delay_alu instid0(VALU_DEP_1) | instskip(NEXT) | instid1(VALU_DEP_1)
	v_subrev_nc_u32_e32 v14, 28, v7
	v_lshlrev_b64_e32 v[26:27], v14, v[24:25]
	s_delay_alu instid0(VALU_DEP_1)
	v_dual_sub_nc_u32 v14, 29, v7 :: v_dual_bitop2_b32 v7, 7, v26 bitop3:0x40
; %bb.955:                              ;   in Loop: Header=BB276_685 Depth=1
	s_or_b32 exec_lo, exec_lo, s24
	s_delay_alu instid0(VALU_DEP_1) | instskip(NEXT) | instid1(VALU_DEP_2)
	v_dual_lshlrev_b32 v23, 8, v24 :: v_dual_lshlrev_b32 v7, 7, v7
	v_lshl_add_u32 v14, v14, 10, 0x2000
	s_delay_alu instid0(VALU_DEP_2) | instskip(NEXT) | instid1(VALU_DEP_2)
	v_and_b32_e32 v23, 0x8000, v23
	v_and_b32_e32 v14, 0xfc00, v14
	s_delay_alu instid0(VALU_DEP_1)
	v_or3_b32 v7, v23, v14, v7
.LBB276_956:                            ;   in Loop: Header=BB276_685 Depth=1
	s_or_b32 exec_lo, exec_lo, s23
.LBB276_957:                            ;   in Loop: Header=BB276_685 Depth=1
	s_delay_alu instid0(SALU_CYCLE_1)
	s_or_b32 exec_lo, exec_lo, s22
.LBB276_958:                            ;   in Loop: Header=BB276_685 Depth=1
	s_delay_alu instid0(SALU_CYCLE_1) | instskip(SKIP_2) | instid1(VALU_DEP_1)
	s_or_b32 exec_lo, exec_lo, s21
	v_lshrrev_b16 v14, 8, v24
	s_mov_b32 s21, exec_lo
	v_cmpx_ne_u16_e32 0, v14
	s_cbranch_execz .LBB276_966
; %bb.959:                              ;   in Loop: Header=BB276_685 Depth=1
	v_bfrev_b32_e32 v1, 1
	s_mov_b32 s22, exec_lo
	v_cmpx_ne_u16_e32 0x80, v14
	s_cbranch_execz .LBB276_965
; %bb.960:                              ;   in Loop: Header=BB276_685 Depth=1
	v_and_b32_e32 v23, 0xffff, v14
	v_mov_b32_e32 v1, 0x7c010000
	s_mov_b32 s23, exec_lo
	s_delay_alu instid0(VALU_DEP_2) | instskip(NEXT) | instid1(VALU_DEP_1)
	v_and_b32_e32 v27, 0x7f, v23
	v_cmpx_ne_u32_e32 0x7f, v27
	s_cbranch_execz .LBB276_964
; %bb.961:                              ;   in Loop: Header=BB276_685 Depth=1
	v_and_b32_e32 v1, 7, v23
	v_lshrrev_b32_e32 v26, 3, v27
	s_mov_b32 s24, exec_lo
	v_cmpx_gt_u32_e32 8, v27
; %bb.962:                              ;   in Loop: Header=BB276_685 Depth=1
	s_delay_alu instid0(VALU_DEP_3) | instskip(NEXT) | instid1(VALU_DEP_1)
	v_clz_i32_u32_e32 v1, v1
	v_min_u32_e32 v1, 32, v1
	s_delay_alu instid0(VALU_DEP_1) | instskip(NEXT) | instid1(VALU_DEP_1)
	v_subrev_nc_u32_e32 v26, 28, v1
	v_lshlrev_b64_e32 v[28:29], v26, v[14:15]
	s_delay_alu instid0(VALU_DEP_1)
	v_dual_sub_nc_u32 v26, 29, v1 :: v_dual_bitop2_b32 v1, 7, v28 bitop3:0x40
; %bb.963:                              ;   in Loop: Header=BB276_685 Depth=1
	s_or_b32 exec_lo, exec_lo, s24
	s_delay_alu instid0(VALU_DEP_1) | instskip(NEXT) | instid1(VALU_DEP_2)
	v_dual_lshlrev_b32 v14, 8, v23 :: v_dual_lshlrev_b32 v1, 23, v1
	v_lshl_add_u32 v23, v26, 10, 0x2000
	s_delay_alu instid0(VALU_DEP_1) | instskip(NEXT) | instid1(VALU_DEP_1)
	v_and_or_b32 v14, 0x8000, v14, v23
	v_lshl_or_b32 v1, v14, 16, v1
.LBB276_964:                            ;   in Loop: Header=BB276_685 Depth=1
	s_or_b32 exec_lo, exec_lo, s23
.LBB276_965:                            ;   in Loop: Header=BB276_685 Depth=1
	s_delay_alu instid0(SALU_CYCLE_1)
	s_or_b32 exec_lo, exec_lo, s22
.LBB276_966:                            ;   in Loop: Header=BB276_685 Depth=1
	s_delay_alu instid0(SALU_CYCLE_1) | instskip(SKIP_3) | instid1(VALU_DEP_2)
	s_or_b32 exec_lo, exec_lo, s21
	v_dual_mov_b32 v23, 0 :: v_dual_lshrrev_b32 v14, 16, v24
	v_mov_b32_e32 v26, 0
	s_mov_b32 s21, exec_lo
	v_and_b32_e32 v27, 0xff, v14
	s_delay_alu instid0(VALU_DEP_1)
	v_cmpx_ne_u16_e32 0, v27
	s_cbranch_execz .LBB276_974
; %bb.967:                              ;   in Loop: Header=BB276_685 Depth=1
	v_mov_b32_e32 v26, 0x8000
	s_mov_b32 s22, exec_lo
	v_cmpx_ne_u16_e32 0x80, v27
	s_cbranch_execz .LBB276_973
; %bb.968:                              ;   in Loop: Header=BB276_685 Depth=1
	v_bfe_u32 v28, v24, 16, 7
	v_mov_b32_e32 v26, 0x7c01
	s_mov_b32 s23, exec_lo
	s_delay_alu instid0(VALU_DEP_2)
	v_cmpx_ne_u32_e32 0x7f, v28
	s_cbranch_execz .LBB276_972
; %bb.969:                              ;   in Loop: Header=BB276_685 Depth=1
	v_dual_lshrrev_b32 v27, 3, v28 :: v_dual_bitop2_b32 v26, 7, v14 bitop3:0x40
	s_mov_b32 s24, exec_lo
	v_cmpx_gt_u32_e32 8, v28
; %bb.970:                              ;   in Loop: Header=BB276_685 Depth=1
	s_delay_alu instid0(VALU_DEP_2) | instskip(NEXT) | instid1(VALU_DEP_1)
	v_clz_i32_u32_e32 v26, v26
	v_min_u32_e32 v28, 32, v26
	s_delay_alu instid0(VALU_DEP_1) | instskip(NEXT) | instid1(VALU_DEP_1)
	v_subrev_nc_u32_e32 v26, 28, v28
	v_lshlrev_b64_e32 v[26:27], v26, v[14:15]
	s_delay_alu instid0(VALU_DEP_1)
	v_dual_sub_nc_u32 v27, 29, v28 :: v_dual_bitop2_b32 v26, 7, v26 bitop3:0x40
; %bb.971:                              ;   in Loop: Header=BB276_685 Depth=1
	s_or_b32 exec_lo, exec_lo, s24
	v_lshlrev_b32_e32 v14, 8, v14
	s_delay_alu instid0(VALU_DEP_2) | instskip(NEXT) | instid1(VALU_DEP_3)
	v_lshl_add_u32 v27, v27, 10, 0x2000
	v_lshlrev_b32_e32 v26, 7, v26
	s_delay_alu instid0(VALU_DEP_3) | instskip(NEXT) | instid1(VALU_DEP_3)
	v_and_b32_e32 v14, 0x8000, v14
	v_and_b32_e32 v27, 0xfc00, v27
	s_delay_alu instid0(VALU_DEP_1)
	v_or3_b32 v26, v14, v27, v26
.LBB276_972:                            ;   in Loop: Header=BB276_685 Depth=1
	s_or_b32 exec_lo, exec_lo, s23
.LBB276_973:                            ;   in Loop: Header=BB276_685 Depth=1
	s_delay_alu instid0(SALU_CYCLE_1)
	s_or_b32 exec_lo, exec_lo, s22
.LBB276_974:                            ;   in Loop: Header=BB276_685 Depth=1
	s_delay_alu instid0(SALU_CYCLE_1) | instskip(NEXT) | instid1(SALU_CYCLE_1)
	s_or_b32 exec_lo, exec_lo, s21
	s_mov_b32 s21, exec_lo
	v_cmpx_lt_u32_e32 0xffffff, v24
	s_cbranch_execz .LBB276_982
; %bb.975:                              ;   in Loop: Header=BB276_685 Depth=1
	v_lshrrev_b32_e32 v14, 24, v24
	v_bfrev_b32_e32 v23, 1
	s_mov_b32 s22, exec_lo
	s_delay_alu instid0(VALU_DEP_2)
	v_cmpx_ne_u32_e32 0x80, v14
	s_cbranch_execz .LBB276_981
; %bb.976:                              ;   in Loop: Header=BB276_685 Depth=1
	v_and_b32_e32 v28, 0x7f, v14
	v_mov_b32_e32 v23, 0x7c010000
	s_mov_b32 s23, exec_lo
	s_delay_alu instid0(VALU_DEP_2)
	v_cmpx_ne_u32_e32 0x7f, v28
	s_cbranch_execz .LBB276_980
; %bb.977:                              ;   in Loop: Header=BB276_685 Depth=1
	v_dual_lshrrev_b32 v27, 3, v28 :: v_dual_bitop2_b32 v23, 7, v14 bitop3:0x40
	s_mov_b32 s24, exec_lo
	v_cmpx_gt_u32_e32 8, v28
; %bb.978:                              ;   in Loop: Header=BB276_685 Depth=1
	s_delay_alu instid0(VALU_DEP_2) | instskip(NEXT) | instid1(VALU_DEP_1)
	v_clz_i32_u32_e32 v23, v23
	v_min_u32_e32 v23, 32, v23
	s_delay_alu instid0(VALU_DEP_1) | instskip(NEXT) | instid1(VALU_DEP_1)
	v_subrev_nc_u32_e32 v27, 28, v23
	v_lshlrev_b64_e32 v[28:29], v27, v[14:15]
	s_delay_alu instid0(VALU_DEP_1)
	v_dual_sub_nc_u32 v27, 29, v23 :: v_dual_bitop2_b32 v23, 7, v28 bitop3:0x40
; %bb.979:                              ;   in Loop: Header=BB276_685 Depth=1
	s_or_b32 exec_lo, exec_lo, s24
	s_delay_alu instid0(VALU_DEP_1) | instskip(NEXT) | instid1(VALU_DEP_2)
	v_dual_lshlrev_b32 v14, 8, v14 :: v_dual_lshlrev_b32 v23, 23, v23
	v_lshl_add_u32 v27, v27, 10, 0x2000
	s_delay_alu instid0(VALU_DEP_1) | instskip(NEXT) | instid1(VALU_DEP_1)
	v_and_or_b32 v14, 0x8000, v14, v27
	v_lshl_or_b32 v23, v14, 16, v23
.LBB276_980:                            ;   in Loop: Header=BB276_685 Depth=1
	s_or_b32 exec_lo, exec_lo, s23
.LBB276_981:                            ;   in Loop: Header=BB276_685 Depth=1
	s_delay_alu instid0(SALU_CYCLE_1)
	s_or_b32 exec_lo, exec_lo, s22
.LBB276_982:                            ;   in Loop: Header=BB276_685 Depth=1
	s_delay_alu instid0(SALU_CYCLE_1) | instskip(SKIP_4) | instid1(VALU_DEP_3)
	s_or_b32 exec_lo, exec_lo, s21
	v_and_b32_e32 v29, 0xff, v25
	v_dual_mov_b32 v14, v25 :: v_dual_mov_b32 v28, 0
	v_mov_b32_e32 v27, 0
	s_mov_b32 s21, exec_lo
	v_cmpx_ne_u16_e32 0, v29
	s_cbranch_execz .LBB276_990
; %bb.983:                              ;   in Loop: Header=BB276_685 Depth=1
	v_mov_b32_e32 v27, 0x8000
	s_mov_b32 s22, exec_lo
	v_cmpx_ne_u16_e32 0x80, v29
	s_cbranch_execz .LBB276_989
; %bb.984:                              ;   in Loop: Header=BB276_685 Depth=1
	v_and_b32_e32 v30, 0x7f, v25
	v_mov_b32_e32 v27, 0x7c01
	s_mov_b32 s23, exec_lo
	s_delay_alu instid0(VALU_DEP_2)
	v_cmpx_ne_u32_e32 0x7f, v30
	s_cbranch_execz .LBB276_988
; %bb.985:                              ;   in Loop: Header=BB276_685 Depth=1
	v_dual_lshrrev_b32 v29, 3, v30 :: v_dual_bitop2_b32 v27, 7, v25 bitop3:0x40
	s_mov_b32 s24, exec_lo
	v_cmpx_gt_u32_e32 8, v30
; %bb.986:                              ;   in Loop: Header=BB276_685 Depth=1
	s_delay_alu instid0(VALU_DEP_2) | instskip(NEXT) | instid1(VALU_DEP_1)
	v_clz_i32_u32_e32 v27, v27
	v_min_u32_e32 v27, 32, v27
	s_delay_alu instid0(VALU_DEP_1) | instskip(NEXT) | instid1(VALU_DEP_1)
	v_subrev_nc_u32_e32 v29, 28, v27
	v_lshlrev_b64_e32 v[60:61], v29, v[14:15]
	s_delay_alu instid0(VALU_DEP_1)
	v_dual_sub_nc_u32 v29, 29, v27 :: v_dual_bitop2_b32 v27, 7, v60 bitop3:0x40
; %bb.987:                              ;   in Loop: Header=BB276_685 Depth=1
	s_or_b32 exec_lo, exec_lo, s24
	s_delay_alu instid0(VALU_DEP_1) | instskip(NEXT) | instid1(VALU_DEP_2)
	v_dual_lshlrev_b32 v30, 8, v25 :: v_dual_lshlrev_b32 v27, 7, v27
	v_lshl_add_u32 v29, v29, 10, 0x2000
	s_delay_alu instid0(VALU_DEP_2) | instskip(NEXT) | instid1(VALU_DEP_2)
	v_and_b32_e32 v30, 0x8000, v30
	v_and_b32_e32 v29, 0xfc00, v29
	s_delay_alu instid0(VALU_DEP_1)
	v_or3_b32 v27, v30, v29, v27
.LBB276_988:                            ;   in Loop: Header=BB276_685 Depth=1
	s_or_b32 exec_lo, exec_lo, s23
.LBB276_989:                            ;   in Loop: Header=BB276_685 Depth=1
	s_delay_alu instid0(SALU_CYCLE_1)
	s_or_b32 exec_lo, exec_lo, s22
.LBB276_990:                            ;   in Loop: Header=BB276_685 Depth=1
	s_delay_alu instid0(SALU_CYCLE_1) | instskip(SKIP_3) | instid1(VALU_DEP_2)
	s_or_b32 exec_lo, exec_lo, s21
	v_lshrrev_b16 v14, 8, v14
	v_mov_b32_e32 v29, 0
	s_mov_b32 s21, exec_lo
	v_cmpx_ne_u16_e32 0, v14
	s_cbranch_execz .LBB276_998
; %bb.991:                              ;   in Loop: Header=BB276_685 Depth=1
	v_bfrev_b32_e32 v29, 1
	s_mov_b32 s22, exec_lo
	v_cmpx_ne_u16_e32 0x80, v14
	s_cbranch_execz .LBB276_997
; %bb.992:                              ;   in Loop: Header=BB276_685 Depth=1
	v_and_b32_e32 v30, 0xffff, v14
	v_mov_b32_e32 v29, 0x7c010000
	s_mov_b32 s23, exec_lo
	s_delay_alu instid0(VALU_DEP_2) | instskip(NEXT) | instid1(VALU_DEP_1)
	v_and_b32_e32 v46, 0x7f, v30
	v_cmpx_ne_u32_e32 0x7f, v46
	s_cbranch_execz .LBB276_996
; %bb.993:                              ;   in Loop: Header=BB276_685 Depth=1
	v_and_b32_e32 v29, 7, v30
	v_lshrrev_b32_e32 v45, 3, v46
	s_mov_b32 s24, exec_lo
	v_cmpx_gt_u32_e32 8, v46
; %bb.994:                              ;   in Loop: Header=BB276_685 Depth=1
	s_delay_alu instid0(VALU_DEP_3) | instskip(NEXT) | instid1(VALU_DEP_1)
	v_clz_i32_u32_e32 v29, v29
	v_min_u32_e32 v29, 32, v29
	s_delay_alu instid0(VALU_DEP_1) | instskip(NEXT) | instid1(VALU_DEP_1)
	v_subrev_nc_u32_e32 v45, 28, v29
	v_lshlrev_b64_e32 v[60:61], v45, v[14:15]
	s_delay_alu instid0(VALU_DEP_1)
	v_dual_sub_nc_u32 v45, 29, v29 :: v_dual_bitop2_b32 v29, 7, v60 bitop3:0x40
; %bb.995:                              ;   in Loop: Header=BB276_685 Depth=1
	s_or_b32 exec_lo, exec_lo, s24
	s_delay_alu instid0(VALU_DEP_1) | instskip(NEXT) | instid1(VALU_DEP_2)
	v_dual_lshlrev_b32 v14, 8, v30 :: v_dual_lshlrev_b32 v29, 23, v29
	v_lshl_add_u32 v30, v45, 10, 0x2000
	s_delay_alu instid0(VALU_DEP_1) | instskip(NEXT) | instid1(VALU_DEP_1)
	v_and_or_b32 v14, 0x8000, v14, v30
	v_lshl_or_b32 v29, v14, 16, v29
.LBB276_996:                            ;   in Loop: Header=BB276_685 Depth=1
	s_or_b32 exec_lo, exec_lo, s23
.LBB276_997:                            ;   in Loop: Header=BB276_685 Depth=1
	s_delay_alu instid0(SALU_CYCLE_1)
	s_or_b32 exec_lo, exec_lo, s22
.LBB276_998:                            ;   in Loop: Header=BB276_685 Depth=1
	s_delay_alu instid0(SALU_CYCLE_1) | instskip(SKIP_2) | instid1(VALU_DEP_1)
	s_or_b32 exec_lo, exec_lo, s21
	v_lshrrev_b32_e32 v14, 16, v25
	s_mov_b32 s21, exec_lo
	v_and_b32_e32 v30, 0xff, v14
	s_delay_alu instid0(VALU_DEP_1)
	v_cmpx_ne_u16_e32 0, v30
	s_cbranch_execz .LBB276_1006
; %bb.999:                              ;   in Loop: Header=BB276_685 Depth=1
	v_mov_b32_e32 v28, 0x8000
	s_mov_b32 s22, exec_lo
	v_cmpx_ne_u16_e32 0x80, v30
	s_cbranch_execz .LBB276_1005
; %bb.1000:                             ;   in Loop: Header=BB276_685 Depth=1
	v_bfe_u32 v45, v25, 16, 7
	v_mov_b32_e32 v28, 0x7c01
	s_mov_b32 s23, exec_lo
	s_delay_alu instid0(VALU_DEP_2)
	v_cmpx_ne_u32_e32 0x7f, v45
	s_cbranch_execz .LBB276_1004
; %bb.1001:                             ;   in Loop: Header=BB276_685 Depth=1
	v_dual_lshrrev_b32 v30, 3, v45 :: v_dual_bitop2_b32 v28, 7, v14 bitop3:0x40
	s_mov_b32 s24, exec_lo
	v_cmpx_gt_u32_e32 8, v45
; %bb.1002:                             ;   in Loop: Header=BB276_685 Depth=1
	s_delay_alu instid0(VALU_DEP_2) | instskip(NEXT) | instid1(VALU_DEP_1)
	v_clz_i32_u32_e32 v28, v28
	v_min_u32_e32 v28, 32, v28
	s_delay_alu instid0(VALU_DEP_1) | instskip(NEXT) | instid1(VALU_DEP_1)
	v_subrev_nc_u32_e32 v30, 28, v28
	v_lshlrev_b64_e32 v[60:61], v30, v[14:15]
	v_sub_nc_u32_e32 v30, 29, v28
	s_delay_alu instid0(VALU_DEP_2)
	v_and_b32_e32 v28, 7, v60
; %bb.1003:                             ;   in Loop: Header=BB276_685 Depth=1
	s_or_b32 exec_lo, exec_lo, s24
	s_delay_alu instid0(VALU_DEP_1) | instskip(NEXT) | instid1(VALU_DEP_3)
	v_dual_lshlrev_b32 v14, 8, v14 :: v_dual_lshlrev_b32 v28, 7, v28
	v_lshl_add_u32 v30, v30, 10, 0x2000
	s_delay_alu instid0(VALU_DEP_2) | instskip(NEXT) | instid1(VALU_DEP_2)
	v_and_b32_e32 v14, 0x8000, v14
	v_and_b32_e32 v30, 0xfc00, v30
	s_delay_alu instid0(VALU_DEP_1)
	v_or3_b32 v28, v14, v30, v28
.LBB276_1004:                           ;   in Loop: Header=BB276_685 Depth=1
	s_or_b32 exec_lo, exec_lo, s23
.LBB276_1005:                           ;   in Loop: Header=BB276_685 Depth=1
	s_delay_alu instid0(SALU_CYCLE_1)
	s_or_b32 exec_lo, exec_lo, s22
.LBB276_1006:                           ;   in Loop: Header=BB276_685 Depth=1
	s_delay_alu instid0(SALU_CYCLE_1)
	s_or_b32 exec_lo, exec_lo, s21
	v_cmp_lt_u64_e64 s0, s[4:5], v[24:25]
	v_mov_b32_e32 v24, 0
	s_and_saveexec_b32 s21, s0
	s_cbranch_execz .LBB276_1014
; %bb.1007:                             ;   in Loop: Header=BB276_685 Depth=1
	v_lshrrev_b32_e32 v14, 24, v25
	v_bfrev_b32_e32 v24, 1
	s_mov_b32 s22, exec_lo
	s_delay_alu instid0(VALU_DEP_2)
	v_cmpx_ne_u32_e32 0x80, v14
	s_cbranch_execz .LBB276_1013
; %bb.1008:                             ;   in Loop: Header=BB276_685 Depth=1
	v_and_b32_e32 v30, 0x7f, v14
	v_mov_b32_e32 v24, 0x7c010000
	s_mov_b32 s23, exec_lo
	s_delay_alu instid0(VALU_DEP_2)
	v_cmpx_ne_u32_e32 0x7f, v30
	s_cbranch_execz .LBB276_1012
; %bb.1009:                             ;   in Loop: Header=BB276_685 Depth=1
	v_and_b32_e32 v24, 7, v14
	v_lshrrev_b32_e32 v25, 3, v30
	s_mov_b32 s24, exec_lo
	v_cmpx_gt_u32_e32 8, v30
; %bb.1010:                             ;   in Loop: Header=BB276_685 Depth=1
	s_delay_alu instid0(VALU_DEP_3) | instskip(NEXT) | instid1(VALU_DEP_1)
	v_clz_i32_u32_e32 v24, v24
	v_min_u32_e32 v30, 32, v24
	s_delay_alu instid0(VALU_DEP_1) | instskip(NEXT) | instid1(VALU_DEP_1)
	v_subrev_nc_u32_e32 v24, 28, v30
	v_lshlrev_b64_e32 v[24:25], v24, v[14:15]
	s_delay_alu instid0(VALU_DEP_1)
	v_dual_sub_nc_u32 v25, 29, v30 :: v_dual_bitop2_b32 v24, 7, v24 bitop3:0x40
; %bb.1011:                             ;   in Loop: Header=BB276_685 Depth=1
	s_or_b32 exec_lo, exec_lo, s24
	s_delay_alu instid0(VALU_DEP_1) | instskip(NEXT) | instid1(VALU_DEP_2)
	v_dual_lshlrev_b32 v14, 8, v14 :: v_dual_lshlrev_b32 v24, 23, v24
	v_lshl_add_u32 v25, v25, 10, 0x2000
	s_delay_alu instid0(VALU_DEP_1) | instskip(NEXT) | instid1(VALU_DEP_1)
	v_and_or_b32 v14, 0x8000, v14, v25
	v_lshl_or_b32 v24, v14, 16, v24
.LBB276_1012:                           ;   in Loop: Header=BB276_685 Depth=1
	s_or_b32 exec_lo, exec_lo, s23
.LBB276_1013:                           ;   in Loop: Header=BB276_685 Depth=1
	s_delay_alu instid0(SALU_CYCLE_1)
	s_or_b32 exec_lo, exec_lo, s22
.LBB276_1014:                           ;   in Loop: Header=BB276_685 Depth=1
	s_delay_alu instid0(SALU_CYCLE_1) | instskip(SKIP_3) | instid1(VALU_DEP_3)
	s_or_b32 exec_lo, exec_lo, s21
	v_dual_lshrrev_b32 v14, 16, v1 :: v_dual_lshrrev_b32 v25, 16, v23
	v_or_b32_e32 v1, v1, v7
	v_dual_lshrrev_b32 v26, 16, v24 :: v_dual_bitop2_b32 v7, v23, v26 bitop3:0x54
	v_cvt_f32_f16_e32 v61, v14
	s_delay_alu instid0(VALU_DEP_4) | instskip(SKIP_4) | instid1(VALU_DEP_3)
	v_cvt_f32_f16_e32 v60, v25
	v_lshrrev_b32_e32 v23, 16, v29
	v_cvt_f32_f16_e32 v25, v1
	v_cvt_f32_f16_e32 v26, v26
	s_wait_loadcnt 0x0
	v_pk_mul_f32 v[60:61], v[22:23], v[60:61] op_sel_hi:[0,1]
	s_delay_alu instid0(VALU_DEP_1) | instskip(SKIP_4) | instid1(VALU_DEP_3)
	v_cvt_pk_f16_f32 v1, v60, v61
	v_or_b32_e32 v14, v24, v28
	v_cvt_f32_f16_e32 v24, v7
	v_or_b32_e32 v7, v29, v27
	v_cvt_f32_f16_e32 v27, v23
	v_pk_mul_f32 v[24:25], v[22:23], v[24:25] op_sel_hi:[0,1]
	s_delay_alu instid0(VALU_DEP_3) | instskip(NEXT) | instid1(VALU_DEP_3)
	v_cvt_f32_f16_e32 v29, v7
	v_pk_mul_f32 v[26:27], v[22:23], v[26:27] op_sel_hi:[0,1]
	s_delay_alu instid0(VALU_DEP_3) | instskip(SKIP_2) | instid1(VALU_DEP_4)
	v_cvt_pk_f16_f32 v7, v24, v25
	v_lshlrev_b32_e32 v24, 16, v1
	v_cvt_f32_f16_e32 v28, v14
	v_cvt_pk_f16_f32 v14, v26, v27
	s_delay_alu instid0(VALU_DEP_4) | instskip(NEXT) | instid1(VALU_DEP_3)
	v_and_b32_e32 v30, 0xffff, v7
	v_pk_mul_f32 v[28:29], v[22:23], v[28:29] op_sel_hi:[0,1]
	v_and_b32_e32 v23, 0xffff0000, v1
	s_delay_alu instid0(VALU_DEP_4) | instskip(SKIP_1) | instid1(VALU_DEP_4)
	v_and_b32_e32 v1, 0xffff0000, v14
	v_lshlrev_b32_e32 v14, 16, v14
	v_cvt_pk_f16_f32 v22, v28, v29
	v_dual_lshrrev_b32 v29, 16, v7 :: v_dual_bitop2_b32 v28, v24, v30 bitop3:0x54
	s_delay_alu instid0(VALU_DEP_2) | instskip(SKIP_1) | instid1(VALU_DEP_3)
	v_lshrrev_b32_e32 v7, 16, v22
	v_and_b32_e32 v22, 0xffff, v22
	v_or_b32_e32 v27, v23, v29
	s_delay_alu instid0(VALU_DEP_3) | instskip(NEXT) | instid1(VALU_DEP_3)
	v_or_b32_e32 v25, v1, v7
	v_or_b32_e32 v26, v14, v22
	s_and_saveexec_b32 s21, vcc_lo
	s_cbranch_execz .LBB276_1016
; %bb.1015:                             ;   in Loop: Header=BB276_685 Depth=1
	v_cmp_gt_i32_e64 s0, s14, v37
	s_delay_alu instid0(VALU_DEP_1) | instskip(SKIP_1) | instid1(VALU_DEP_1)
	v_cndmask_b32_e64 v25, 0, v29, s0
	v_cmp_gt_i32_e64 s0, s34, v44
	v_cndmask_b32_e64 v26, 0, v30, s0
	v_cmp_gt_i32_e64 s0, s14, v43
	s_delay_alu instid0(VALU_DEP_1) | instskip(SKIP_1) | instid1(VALU_DEP_1)
	v_cndmask_b32_e64 v23, 0, v23, s0
	v_cmp_gt_i32_e64 s0, s34, v42
	v_cndmask_b32_e64 v24, 0, v24, s0
	v_cmp_gt_i32_e64 s0, s14, v41
	s_delay_alu instid0(VALU_DEP_4) | instskip(NEXT) | instid1(VALU_DEP_2)
	v_or_b32_e32 v27, v23, v25
	v_dual_cndmask_b32 v7, 0, v7, s0 :: v_dual_bitop2_b32 v28, v24, v26 bitop3:0x54
	v_cmp_gt_i32_e64 s0, s34, v40
	s_delay_alu instid0(VALU_DEP_1) | instskip(SKIP_1) | instid1(VALU_DEP_1)
	v_cndmask_b32_e64 v22, 0, v22, s0
	v_cmp_gt_i32_e64 s0, s14, v39
	v_cndmask_b32_e64 v1, 0, v1, s0
	v_cmp_gt_i32_e64 s0, s34, v38
	s_delay_alu instid0(VALU_DEP_1) | instskip(NEXT) | instid1(VALU_DEP_1)
	v_dual_cndmask_b32 v14, 0, v14, s0 :: v_dual_bitop2_b32 v25, v1, v7 bitop3:0x54
	v_or_b32_e32 v26, v14, v22
.LBB276_1016:                           ;   in Loop: Header=BB276_685 Depth=1
	s_or_b32 exec_lo, exec_lo, s21
	;;#ASMSTART
	v_pk_mul_f16 v1, v51, v27;

	;;#ASMEND
	;;#ASMSTART
	v_pk_mul_f16 v7, v49, v28;

	;;#ASMEND
	;; [unrolled: 4-line block ×4, first 2 shown]
	;;#ASMSTART
	v_pk_add_f16 v1, v1, v7;

	;;#ASMEND
	;;#ASMSTART
	v_pk_add_f16 v1, v1, v14;

	;;#ASMEND
	;; [unrolled: 4-line block ×3, first 2 shown]
	v_and_b32_e32 v7, 0xffff, v1
	v_lshrrev_b32_e32 v1, 16, v1
	;;#ASMSTART
	v_cvt_f32_f16 v59, v7;
	;;#ASMEND
	v_mov_b32_e32 v7, 0
	;;#ASMSTART
	v_cvt_f32_f16 v60, v1;
	;;#ASMEND
	global_load_b64 v[24:25], v[20:21], off offset:1280
	v_mov_b32_e32 v1, 0
	s_mov_b32 s21, exec_lo
	global_load_b32 v22, v1, s[10:11]
	s_wait_loadcnt 0x1
	v_and_b32_e32 v14, 0xff, v24
	s_wait_xcnt 0x0
	s_delay_alu instid0(VALU_DEP_1)
	v_cmpx_ne_u16_e32 0, v14
	s_cbranch_execz .LBB276_1024
; %bb.1017:                             ;   in Loop: Header=BB276_685 Depth=1
	v_mov_b32_e32 v7, 0x8000
	s_mov_b32 s22, exec_lo
	v_cmpx_ne_u16_e32 0x80, v14
	s_cbranch_execz .LBB276_1023
; %bb.1018:                             ;   in Loop: Header=BB276_685 Depth=1
	v_and_b32_e32 v23, 0x7f, v24
	v_mov_b32_e32 v7, 0x7c01
	s_mov_b32 s23, exec_lo
	s_delay_alu instid0(VALU_DEP_2)
	v_cmpx_ne_u32_e32 0x7f, v23
	s_cbranch_execz .LBB276_1022
; %bb.1019:                             ;   in Loop: Header=BB276_685 Depth=1
	v_dual_lshrrev_b32 v14, 3, v23 :: v_dual_bitop2_b32 v7, 7, v24 bitop3:0x40
	s_mov_b32 s24, exec_lo
	v_cmpx_gt_u32_e32 8, v23
; %bb.1020:                             ;   in Loop: Header=BB276_685 Depth=1
	s_delay_alu instid0(VALU_DEP_2) | instskip(NEXT) | instid1(VALU_DEP_1)
	v_clz_i32_u32_e32 v7, v7
	v_min_u32_e32 v7, 32, v7
	s_delay_alu instid0(VALU_DEP_1) | instskip(NEXT) | instid1(VALU_DEP_1)
	v_subrev_nc_u32_e32 v14, 28, v7
	v_lshlrev_b64_e32 v[26:27], v14, v[24:25]
	s_delay_alu instid0(VALU_DEP_1)
	v_dual_sub_nc_u32 v14, 29, v7 :: v_dual_bitop2_b32 v7, 7, v26 bitop3:0x40
; %bb.1021:                             ;   in Loop: Header=BB276_685 Depth=1
	s_or_b32 exec_lo, exec_lo, s24
	s_delay_alu instid0(VALU_DEP_1) | instskip(NEXT) | instid1(VALU_DEP_2)
	v_dual_lshlrev_b32 v23, 8, v24 :: v_dual_lshlrev_b32 v7, 7, v7
	v_lshl_add_u32 v14, v14, 10, 0x2000
	s_delay_alu instid0(VALU_DEP_2) | instskip(NEXT) | instid1(VALU_DEP_2)
	v_and_b32_e32 v23, 0x8000, v23
	v_and_b32_e32 v14, 0xfc00, v14
	s_delay_alu instid0(VALU_DEP_1)
	v_or3_b32 v7, v23, v14, v7
.LBB276_1022:                           ;   in Loop: Header=BB276_685 Depth=1
	s_or_b32 exec_lo, exec_lo, s23
.LBB276_1023:                           ;   in Loop: Header=BB276_685 Depth=1
	s_delay_alu instid0(SALU_CYCLE_1)
	s_or_b32 exec_lo, exec_lo, s22
.LBB276_1024:                           ;   in Loop: Header=BB276_685 Depth=1
	s_delay_alu instid0(SALU_CYCLE_1) | instskip(SKIP_2) | instid1(VALU_DEP_1)
	s_or_b32 exec_lo, exec_lo, s21
	v_lshrrev_b16 v14, 8, v24
	s_mov_b32 s21, exec_lo
	v_cmpx_ne_u16_e32 0, v14
	s_cbranch_execz .LBB276_1032
; %bb.1025:                             ;   in Loop: Header=BB276_685 Depth=1
	v_bfrev_b32_e32 v1, 1
	s_mov_b32 s22, exec_lo
	v_cmpx_ne_u16_e32 0x80, v14
	s_cbranch_execz .LBB276_1031
; %bb.1026:                             ;   in Loop: Header=BB276_685 Depth=1
	v_and_b32_e32 v23, 0xffff, v14
	v_mov_b32_e32 v1, 0x7c010000
	s_mov_b32 s23, exec_lo
	s_delay_alu instid0(VALU_DEP_2) | instskip(NEXT) | instid1(VALU_DEP_1)
	v_and_b32_e32 v27, 0x7f, v23
	v_cmpx_ne_u32_e32 0x7f, v27
	s_cbranch_execz .LBB276_1030
; %bb.1027:                             ;   in Loop: Header=BB276_685 Depth=1
	v_and_b32_e32 v1, 7, v23
	v_lshrrev_b32_e32 v26, 3, v27
	s_mov_b32 s24, exec_lo
	v_cmpx_gt_u32_e32 8, v27
; %bb.1028:                             ;   in Loop: Header=BB276_685 Depth=1
	s_delay_alu instid0(VALU_DEP_3) | instskip(NEXT) | instid1(VALU_DEP_1)
	v_clz_i32_u32_e32 v1, v1
	v_min_u32_e32 v1, 32, v1
	s_delay_alu instid0(VALU_DEP_1) | instskip(NEXT) | instid1(VALU_DEP_1)
	v_subrev_nc_u32_e32 v26, 28, v1
	v_lshlrev_b64_e32 v[28:29], v26, v[14:15]
	s_delay_alu instid0(VALU_DEP_1)
	v_dual_sub_nc_u32 v26, 29, v1 :: v_dual_bitop2_b32 v1, 7, v28 bitop3:0x40
; %bb.1029:                             ;   in Loop: Header=BB276_685 Depth=1
	s_or_b32 exec_lo, exec_lo, s24
	s_delay_alu instid0(VALU_DEP_1) | instskip(NEXT) | instid1(VALU_DEP_2)
	v_dual_lshlrev_b32 v14, 8, v23 :: v_dual_lshlrev_b32 v1, 23, v1
	v_lshl_add_u32 v23, v26, 10, 0x2000
	s_delay_alu instid0(VALU_DEP_1) | instskip(NEXT) | instid1(VALU_DEP_1)
	v_and_or_b32 v14, 0x8000, v14, v23
	v_lshl_or_b32 v1, v14, 16, v1
.LBB276_1030:                           ;   in Loop: Header=BB276_685 Depth=1
	s_or_b32 exec_lo, exec_lo, s23
.LBB276_1031:                           ;   in Loop: Header=BB276_685 Depth=1
	s_delay_alu instid0(SALU_CYCLE_1)
	s_or_b32 exec_lo, exec_lo, s22
.LBB276_1032:                           ;   in Loop: Header=BB276_685 Depth=1
	s_delay_alu instid0(SALU_CYCLE_1) | instskip(SKIP_3) | instid1(VALU_DEP_2)
	s_or_b32 exec_lo, exec_lo, s21
	v_dual_mov_b32 v23, 0 :: v_dual_lshrrev_b32 v14, 16, v24
	v_mov_b32_e32 v26, 0
	s_mov_b32 s21, exec_lo
	v_and_b32_e32 v27, 0xff, v14
	s_delay_alu instid0(VALU_DEP_1)
	v_cmpx_ne_u16_e32 0, v27
	s_cbranch_execz .LBB276_1040
; %bb.1033:                             ;   in Loop: Header=BB276_685 Depth=1
	v_mov_b32_e32 v26, 0x8000
	s_mov_b32 s22, exec_lo
	v_cmpx_ne_u16_e32 0x80, v27
	s_cbranch_execz .LBB276_1039
; %bb.1034:                             ;   in Loop: Header=BB276_685 Depth=1
	v_bfe_u32 v28, v24, 16, 7
	v_mov_b32_e32 v26, 0x7c01
	s_mov_b32 s23, exec_lo
	s_delay_alu instid0(VALU_DEP_2)
	v_cmpx_ne_u32_e32 0x7f, v28
	s_cbranch_execz .LBB276_1038
; %bb.1035:                             ;   in Loop: Header=BB276_685 Depth=1
	v_dual_lshrrev_b32 v27, 3, v28 :: v_dual_bitop2_b32 v26, 7, v14 bitop3:0x40
	s_mov_b32 s24, exec_lo
	v_cmpx_gt_u32_e32 8, v28
; %bb.1036:                             ;   in Loop: Header=BB276_685 Depth=1
	s_delay_alu instid0(VALU_DEP_2) | instskip(NEXT) | instid1(VALU_DEP_1)
	v_clz_i32_u32_e32 v26, v26
	v_min_u32_e32 v28, 32, v26
	s_delay_alu instid0(VALU_DEP_1) | instskip(NEXT) | instid1(VALU_DEP_1)
	v_subrev_nc_u32_e32 v26, 28, v28
	v_lshlrev_b64_e32 v[26:27], v26, v[14:15]
	s_delay_alu instid0(VALU_DEP_1)
	v_dual_sub_nc_u32 v27, 29, v28 :: v_dual_bitop2_b32 v26, 7, v26 bitop3:0x40
; %bb.1037:                             ;   in Loop: Header=BB276_685 Depth=1
	s_or_b32 exec_lo, exec_lo, s24
	v_lshlrev_b32_e32 v14, 8, v14
	s_delay_alu instid0(VALU_DEP_2) | instskip(NEXT) | instid1(VALU_DEP_3)
	v_lshl_add_u32 v27, v27, 10, 0x2000
	v_lshlrev_b32_e32 v26, 7, v26
	s_delay_alu instid0(VALU_DEP_3) | instskip(NEXT) | instid1(VALU_DEP_3)
	v_and_b32_e32 v14, 0x8000, v14
	v_and_b32_e32 v27, 0xfc00, v27
	s_delay_alu instid0(VALU_DEP_1)
	v_or3_b32 v26, v14, v27, v26
.LBB276_1038:                           ;   in Loop: Header=BB276_685 Depth=1
	s_or_b32 exec_lo, exec_lo, s23
.LBB276_1039:                           ;   in Loop: Header=BB276_685 Depth=1
	s_delay_alu instid0(SALU_CYCLE_1)
	s_or_b32 exec_lo, exec_lo, s22
.LBB276_1040:                           ;   in Loop: Header=BB276_685 Depth=1
	s_delay_alu instid0(SALU_CYCLE_1) | instskip(NEXT) | instid1(SALU_CYCLE_1)
	s_or_b32 exec_lo, exec_lo, s21
	s_mov_b32 s21, exec_lo
	v_cmpx_lt_u32_e32 0xffffff, v24
	s_cbranch_execz .LBB276_1048
; %bb.1041:                             ;   in Loop: Header=BB276_685 Depth=1
	v_lshrrev_b32_e32 v14, 24, v24
	v_bfrev_b32_e32 v23, 1
	s_mov_b32 s22, exec_lo
	s_delay_alu instid0(VALU_DEP_2)
	v_cmpx_ne_u32_e32 0x80, v14
	s_cbranch_execz .LBB276_1047
; %bb.1042:                             ;   in Loop: Header=BB276_685 Depth=1
	v_and_b32_e32 v28, 0x7f, v14
	v_mov_b32_e32 v23, 0x7c010000
	s_mov_b32 s23, exec_lo
	s_delay_alu instid0(VALU_DEP_2)
	v_cmpx_ne_u32_e32 0x7f, v28
	s_cbranch_execz .LBB276_1046
; %bb.1043:                             ;   in Loop: Header=BB276_685 Depth=1
	v_dual_lshrrev_b32 v27, 3, v28 :: v_dual_bitop2_b32 v23, 7, v14 bitop3:0x40
	s_mov_b32 s24, exec_lo
	v_cmpx_gt_u32_e32 8, v28
; %bb.1044:                             ;   in Loop: Header=BB276_685 Depth=1
	s_delay_alu instid0(VALU_DEP_2) | instskip(NEXT) | instid1(VALU_DEP_1)
	v_clz_i32_u32_e32 v23, v23
	v_min_u32_e32 v23, 32, v23
	s_delay_alu instid0(VALU_DEP_1) | instskip(NEXT) | instid1(VALU_DEP_1)
	v_subrev_nc_u32_e32 v27, 28, v23
	v_lshlrev_b64_e32 v[28:29], v27, v[14:15]
	s_delay_alu instid0(VALU_DEP_1)
	v_dual_sub_nc_u32 v27, 29, v23 :: v_dual_bitop2_b32 v23, 7, v28 bitop3:0x40
; %bb.1045:                             ;   in Loop: Header=BB276_685 Depth=1
	s_or_b32 exec_lo, exec_lo, s24
	s_delay_alu instid0(VALU_DEP_1) | instskip(NEXT) | instid1(VALU_DEP_2)
	v_dual_lshlrev_b32 v14, 8, v14 :: v_dual_lshlrev_b32 v23, 23, v23
	v_lshl_add_u32 v27, v27, 10, 0x2000
	s_delay_alu instid0(VALU_DEP_1) | instskip(NEXT) | instid1(VALU_DEP_1)
	v_and_or_b32 v14, 0x8000, v14, v27
	v_lshl_or_b32 v23, v14, 16, v23
.LBB276_1046:                           ;   in Loop: Header=BB276_685 Depth=1
	s_or_b32 exec_lo, exec_lo, s23
.LBB276_1047:                           ;   in Loop: Header=BB276_685 Depth=1
	s_delay_alu instid0(SALU_CYCLE_1)
	s_or_b32 exec_lo, exec_lo, s22
.LBB276_1048:                           ;   in Loop: Header=BB276_685 Depth=1
	s_delay_alu instid0(SALU_CYCLE_1) | instskip(SKIP_4) | instid1(VALU_DEP_3)
	s_or_b32 exec_lo, exec_lo, s21
	v_and_b32_e32 v29, 0xff, v25
	v_dual_mov_b32 v14, v25 :: v_dual_mov_b32 v28, 0
	v_mov_b32_e32 v27, 0
	s_mov_b32 s21, exec_lo
	v_cmpx_ne_u16_e32 0, v29
	s_cbranch_execz .LBB276_1056
; %bb.1049:                             ;   in Loop: Header=BB276_685 Depth=1
	v_mov_b32_e32 v27, 0x8000
	s_mov_b32 s22, exec_lo
	v_cmpx_ne_u16_e32 0x80, v29
	s_cbranch_execz .LBB276_1055
; %bb.1050:                             ;   in Loop: Header=BB276_685 Depth=1
	v_and_b32_e32 v30, 0x7f, v25
	v_mov_b32_e32 v27, 0x7c01
	s_mov_b32 s23, exec_lo
	s_delay_alu instid0(VALU_DEP_2)
	v_cmpx_ne_u32_e32 0x7f, v30
	s_cbranch_execz .LBB276_1054
; %bb.1051:                             ;   in Loop: Header=BB276_685 Depth=1
	v_dual_lshrrev_b32 v29, 3, v30 :: v_dual_bitop2_b32 v27, 7, v25 bitop3:0x40
	s_mov_b32 s24, exec_lo
	v_cmpx_gt_u32_e32 8, v30
; %bb.1052:                             ;   in Loop: Header=BB276_685 Depth=1
	s_delay_alu instid0(VALU_DEP_2) | instskip(NEXT) | instid1(VALU_DEP_1)
	v_clz_i32_u32_e32 v27, v27
	v_min_u32_e32 v27, 32, v27
	s_delay_alu instid0(VALU_DEP_1) | instskip(NEXT) | instid1(VALU_DEP_1)
	v_subrev_nc_u32_e32 v29, 28, v27
	v_lshlrev_b64_e32 v[62:63], v29, v[14:15]
	s_delay_alu instid0(VALU_DEP_1)
	v_dual_sub_nc_u32 v29, 29, v27 :: v_dual_bitop2_b32 v27, 7, v62 bitop3:0x40
; %bb.1053:                             ;   in Loop: Header=BB276_685 Depth=1
	s_or_b32 exec_lo, exec_lo, s24
	s_delay_alu instid0(VALU_DEP_1) | instskip(NEXT) | instid1(VALU_DEP_2)
	v_dual_lshlrev_b32 v30, 8, v25 :: v_dual_lshlrev_b32 v27, 7, v27
	v_lshl_add_u32 v29, v29, 10, 0x2000
	s_delay_alu instid0(VALU_DEP_2) | instskip(NEXT) | instid1(VALU_DEP_2)
	v_and_b32_e32 v30, 0x8000, v30
	v_and_b32_e32 v29, 0xfc00, v29
	s_delay_alu instid0(VALU_DEP_1)
	v_or3_b32 v27, v30, v29, v27
.LBB276_1054:                           ;   in Loop: Header=BB276_685 Depth=1
	s_or_b32 exec_lo, exec_lo, s23
.LBB276_1055:                           ;   in Loop: Header=BB276_685 Depth=1
	s_delay_alu instid0(SALU_CYCLE_1)
	s_or_b32 exec_lo, exec_lo, s22
.LBB276_1056:                           ;   in Loop: Header=BB276_685 Depth=1
	s_delay_alu instid0(SALU_CYCLE_1) | instskip(SKIP_3) | instid1(VALU_DEP_2)
	s_or_b32 exec_lo, exec_lo, s21
	v_lshrrev_b16 v14, 8, v14
	v_mov_b32_e32 v29, 0
	s_mov_b32 s21, exec_lo
	v_cmpx_ne_u16_e32 0, v14
	s_cbranch_execz .LBB276_1064
; %bb.1057:                             ;   in Loop: Header=BB276_685 Depth=1
	v_bfrev_b32_e32 v29, 1
	s_mov_b32 s22, exec_lo
	v_cmpx_ne_u16_e32 0x80, v14
	s_cbranch_execz .LBB276_1063
; %bb.1058:                             ;   in Loop: Header=BB276_685 Depth=1
	v_and_b32_e32 v30, 0xffff, v14
	v_mov_b32_e32 v29, 0x7c010000
	s_mov_b32 s23, exec_lo
	s_delay_alu instid0(VALU_DEP_2) | instskip(NEXT) | instid1(VALU_DEP_1)
	v_and_b32_e32 v46, 0x7f, v30
	v_cmpx_ne_u32_e32 0x7f, v46
	s_cbranch_execz .LBB276_1062
; %bb.1059:                             ;   in Loop: Header=BB276_685 Depth=1
	v_and_b32_e32 v29, 7, v30
	v_lshrrev_b32_e32 v45, 3, v46
	s_mov_b32 s24, exec_lo
	v_cmpx_gt_u32_e32 8, v46
; %bb.1060:                             ;   in Loop: Header=BB276_685 Depth=1
	s_delay_alu instid0(VALU_DEP_3) | instskip(NEXT) | instid1(VALU_DEP_1)
	v_clz_i32_u32_e32 v29, v29
	v_min_u32_e32 v29, 32, v29
	s_delay_alu instid0(VALU_DEP_1) | instskip(NEXT) | instid1(VALU_DEP_1)
	v_subrev_nc_u32_e32 v45, 28, v29
	v_lshlrev_b64_e32 v[62:63], v45, v[14:15]
	s_delay_alu instid0(VALU_DEP_1)
	v_dual_sub_nc_u32 v45, 29, v29 :: v_dual_bitop2_b32 v29, 7, v62 bitop3:0x40
; %bb.1061:                             ;   in Loop: Header=BB276_685 Depth=1
	s_or_b32 exec_lo, exec_lo, s24
	s_delay_alu instid0(VALU_DEP_1) | instskip(NEXT) | instid1(VALU_DEP_2)
	v_dual_lshlrev_b32 v14, 8, v30 :: v_dual_lshlrev_b32 v29, 23, v29
	v_lshl_add_u32 v30, v45, 10, 0x2000
	s_delay_alu instid0(VALU_DEP_1) | instskip(NEXT) | instid1(VALU_DEP_1)
	v_and_or_b32 v14, 0x8000, v14, v30
	v_lshl_or_b32 v29, v14, 16, v29
.LBB276_1062:                           ;   in Loop: Header=BB276_685 Depth=1
	s_or_b32 exec_lo, exec_lo, s23
.LBB276_1063:                           ;   in Loop: Header=BB276_685 Depth=1
	s_delay_alu instid0(SALU_CYCLE_1)
	s_or_b32 exec_lo, exec_lo, s22
.LBB276_1064:                           ;   in Loop: Header=BB276_685 Depth=1
	s_delay_alu instid0(SALU_CYCLE_1) | instskip(SKIP_2) | instid1(VALU_DEP_1)
	s_or_b32 exec_lo, exec_lo, s21
	v_lshrrev_b32_e32 v14, 16, v25
	s_mov_b32 s21, exec_lo
	v_and_b32_e32 v30, 0xff, v14
	s_delay_alu instid0(VALU_DEP_1)
	v_cmpx_ne_u16_e32 0, v30
	s_cbranch_execz .LBB276_1072
; %bb.1065:                             ;   in Loop: Header=BB276_685 Depth=1
	v_mov_b32_e32 v28, 0x8000
	s_mov_b32 s22, exec_lo
	v_cmpx_ne_u16_e32 0x80, v30
	s_cbranch_execz .LBB276_1071
; %bb.1066:                             ;   in Loop: Header=BB276_685 Depth=1
	v_bfe_u32 v45, v25, 16, 7
	v_mov_b32_e32 v28, 0x7c01
	s_mov_b32 s23, exec_lo
	s_delay_alu instid0(VALU_DEP_2)
	v_cmpx_ne_u32_e32 0x7f, v45
	s_cbranch_execz .LBB276_1070
; %bb.1067:                             ;   in Loop: Header=BB276_685 Depth=1
	v_dual_lshrrev_b32 v30, 3, v45 :: v_dual_bitop2_b32 v28, 7, v14 bitop3:0x40
	s_mov_b32 s24, exec_lo
	v_cmpx_gt_u32_e32 8, v45
; %bb.1068:                             ;   in Loop: Header=BB276_685 Depth=1
	s_delay_alu instid0(VALU_DEP_2) | instskip(NEXT) | instid1(VALU_DEP_1)
	v_clz_i32_u32_e32 v28, v28
	v_min_u32_e32 v28, 32, v28
	s_delay_alu instid0(VALU_DEP_1) | instskip(NEXT) | instid1(VALU_DEP_1)
	v_subrev_nc_u32_e32 v30, 28, v28
	v_lshlrev_b64_e32 v[62:63], v30, v[14:15]
	s_delay_alu instid0(VALU_DEP_1)
	v_dual_sub_nc_u32 v30, 29, v28 :: v_dual_bitop2_b32 v28, 7, v62 bitop3:0x40
; %bb.1069:                             ;   in Loop: Header=BB276_685 Depth=1
	s_or_b32 exec_lo, exec_lo, s24
	s_delay_alu instid0(VALU_DEP_1) | instskip(NEXT) | instid1(VALU_DEP_2)
	v_dual_lshlrev_b32 v14, 8, v14 :: v_dual_lshlrev_b32 v28, 7, v28
	v_lshl_add_u32 v30, v30, 10, 0x2000
	s_delay_alu instid0(VALU_DEP_2) | instskip(NEXT) | instid1(VALU_DEP_2)
	v_and_b32_e32 v14, 0x8000, v14
	v_and_b32_e32 v30, 0xfc00, v30
	s_delay_alu instid0(VALU_DEP_1)
	v_or3_b32 v28, v14, v30, v28
.LBB276_1070:                           ;   in Loop: Header=BB276_685 Depth=1
	s_or_b32 exec_lo, exec_lo, s23
.LBB276_1071:                           ;   in Loop: Header=BB276_685 Depth=1
	s_delay_alu instid0(SALU_CYCLE_1)
	s_or_b32 exec_lo, exec_lo, s22
.LBB276_1072:                           ;   in Loop: Header=BB276_685 Depth=1
	s_delay_alu instid0(SALU_CYCLE_1)
	s_or_b32 exec_lo, exec_lo, s21
	v_cmp_lt_u64_e64 s0, s[4:5], v[24:25]
	v_mov_b32_e32 v24, 0
	s_and_saveexec_b32 s21, s0
	s_cbranch_execz .LBB276_1080
; %bb.1073:                             ;   in Loop: Header=BB276_685 Depth=1
	v_lshrrev_b32_e32 v14, 24, v25
	v_bfrev_b32_e32 v24, 1
	s_mov_b32 s22, exec_lo
	s_delay_alu instid0(VALU_DEP_2)
	v_cmpx_ne_u32_e32 0x80, v14
	s_cbranch_execz .LBB276_1079
; %bb.1074:                             ;   in Loop: Header=BB276_685 Depth=1
	v_and_b32_e32 v30, 0x7f, v14
	v_mov_b32_e32 v24, 0x7c010000
	s_mov_b32 s23, exec_lo
	s_delay_alu instid0(VALU_DEP_2)
	v_cmpx_ne_u32_e32 0x7f, v30
	s_cbranch_execz .LBB276_1078
; %bb.1075:                             ;   in Loop: Header=BB276_685 Depth=1
	v_and_b32_e32 v24, 7, v14
	v_lshrrev_b32_e32 v25, 3, v30
	s_mov_b32 s24, exec_lo
	v_cmpx_gt_u32_e32 8, v30
; %bb.1076:                             ;   in Loop: Header=BB276_685 Depth=1
	s_delay_alu instid0(VALU_DEP_3) | instskip(NEXT) | instid1(VALU_DEP_1)
	v_clz_i32_u32_e32 v24, v24
	v_min_u32_e32 v30, 32, v24
	s_delay_alu instid0(VALU_DEP_1) | instskip(NEXT) | instid1(VALU_DEP_1)
	v_subrev_nc_u32_e32 v24, 28, v30
	v_lshlrev_b64_e32 v[24:25], v24, v[14:15]
	s_delay_alu instid0(VALU_DEP_1)
	v_dual_sub_nc_u32 v25, 29, v30 :: v_dual_bitop2_b32 v24, 7, v24 bitop3:0x40
; %bb.1077:                             ;   in Loop: Header=BB276_685 Depth=1
	s_or_b32 exec_lo, exec_lo, s24
	s_delay_alu instid0(VALU_DEP_1) | instskip(NEXT) | instid1(VALU_DEP_2)
	v_dual_lshlrev_b32 v14, 8, v14 :: v_dual_lshlrev_b32 v24, 23, v24
	v_lshl_add_u32 v25, v25, 10, 0x2000
	s_delay_alu instid0(VALU_DEP_1) | instskip(NEXT) | instid1(VALU_DEP_1)
	v_and_or_b32 v14, 0x8000, v14, v25
	v_lshl_or_b32 v24, v14, 16, v24
.LBB276_1078:                           ;   in Loop: Header=BB276_685 Depth=1
	s_or_b32 exec_lo, exec_lo, s23
.LBB276_1079:                           ;   in Loop: Header=BB276_685 Depth=1
	s_delay_alu instid0(SALU_CYCLE_1)
	s_or_b32 exec_lo, exec_lo, s22
.LBB276_1080:                           ;   in Loop: Header=BB276_685 Depth=1
	s_delay_alu instid0(SALU_CYCLE_1) | instskip(SKIP_3) | instid1(VALU_DEP_3)
	s_or_b32 exec_lo, exec_lo, s21
	v_dual_lshrrev_b32 v14, 16, v1 :: v_dual_lshrrev_b32 v25, 16, v23
	v_or_b32_e32 v1, v1, v7
	v_dual_lshrrev_b32 v26, 16, v24 :: v_dual_bitop2_b32 v7, v23, v26 bitop3:0x54
	v_cvt_f32_f16_e32 v63, v14
	s_delay_alu instid0(VALU_DEP_4) | instskip(SKIP_4) | instid1(VALU_DEP_3)
	v_cvt_f32_f16_e32 v62, v25
	v_lshrrev_b32_e32 v23, 16, v29
	v_cvt_f32_f16_e32 v25, v1
	v_cvt_f32_f16_e32 v26, v26
	s_wait_loadcnt 0x0
	v_pk_mul_f32 v[62:63], v[22:23], v[62:63] op_sel_hi:[0,1]
	s_delay_alu instid0(VALU_DEP_1) | instskip(SKIP_4) | instid1(VALU_DEP_3)
	v_cvt_pk_f16_f32 v1, v62, v63
	v_or_b32_e32 v14, v24, v28
	v_cvt_f32_f16_e32 v24, v7
	v_or_b32_e32 v7, v29, v27
	v_cvt_f32_f16_e32 v27, v23
	v_pk_mul_f32 v[24:25], v[22:23], v[24:25] op_sel_hi:[0,1]
	s_delay_alu instid0(VALU_DEP_3) | instskip(NEXT) | instid1(VALU_DEP_3)
	v_cvt_f32_f16_e32 v29, v7
	v_pk_mul_f32 v[26:27], v[22:23], v[26:27] op_sel_hi:[0,1]
	s_delay_alu instid0(VALU_DEP_3) | instskip(SKIP_2) | instid1(VALU_DEP_4)
	v_cvt_pk_f16_f32 v7, v24, v25
	v_lshlrev_b32_e32 v24, 16, v1
	v_cvt_f32_f16_e32 v28, v14
	v_cvt_pk_f16_f32 v14, v26, v27
	s_delay_alu instid0(VALU_DEP_4) | instskip(NEXT) | instid1(VALU_DEP_3)
	v_and_b32_e32 v30, 0xffff, v7
	v_pk_mul_f32 v[28:29], v[22:23], v[28:29] op_sel_hi:[0,1]
	v_and_b32_e32 v23, 0xffff0000, v1
	s_delay_alu instid0(VALU_DEP_4) | instskip(SKIP_1) | instid1(VALU_DEP_4)
	v_and_b32_e32 v1, 0xffff0000, v14
	v_lshlrev_b32_e32 v14, 16, v14
	v_cvt_pk_f16_f32 v22, v28, v29
	v_dual_lshrrev_b32 v29, 16, v7 :: v_dual_bitop2_b32 v28, v24, v30 bitop3:0x54
	s_delay_alu instid0(VALU_DEP_2) | instskip(SKIP_1) | instid1(VALU_DEP_3)
	v_lshrrev_b32_e32 v7, 16, v22
	v_and_b32_e32 v22, 0xffff, v22
	v_or_b32_e32 v27, v23, v29
	s_delay_alu instid0(VALU_DEP_3) | instskip(NEXT) | instid1(VALU_DEP_3)
	v_or_b32_e32 v25, v1, v7
	v_or_b32_e32 v26, v14, v22
	s_and_saveexec_b32 s21, vcc_lo
	s_cbranch_execz .LBB276_1082
; %bb.1081:                             ;   in Loop: Header=BB276_685 Depth=1
	v_cmp_gt_i32_e64 s0, s14, v37
	s_delay_alu instid0(VALU_DEP_1) | instskip(SKIP_1) | instid1(VALU_DEP_1)
	v_cndmask_b32_e64 v25, 0, v29, s0
	v_cmp_gt_i32_e64 s0, s34, v44
	v_cndmask_b32_e64 v26, 0, v30, s0
	v_cmp_gt_i32_e64 s0, s14, v43
	s_delay_alu instid0(VALU_DEP_1) | instskip(SKIP_1) | instid1(VALU_DEP_1)
	v_cndmask_b32_e64 v23, 0, v23, s0
	v_cmp_gt_i32_e64 s0, s34, v42
	v_cndmask_b32_e64 v24, 0, v24, s0
	v_cmp_gt_i32_e64 s0, s14, v41
	s_delay_alu instid0(VALU_DEP_4) | instskip(NEXT) | instid1(VALU_DEP_2)
	v_or_b32_e32 v27, v23, v25
	v_dual_cndmask_b32 v7, 0, v7, s0 :: v_dual_bitop2_b32 v28, v24, v26 bitop3:0x54
	v_cmp_gt_i32_e64 s0, s34, v40
	s_delay_alu instid0(VALU_DEP_1) | instskip(SKIP_1) | instid1(VALU_DEP_1)
	v_cndmask_b32_e64 v22, 0, v22, s0
	v_cmp_gt_i32_e64 s0, s14, v39
	v_cndmask_b32_e64 v1, 0, v1, s0
	v_cmp_gt_i32_e64 s0, s34, v38
	s_delay_alu instid0(VALU_DEP_1) | instskip(NEXT) | instid1(VALU_DEP_1)
	v_dual_cndmask_b32 v14, 0, v14, s0 :: v_dual_bitop2_b32 v25, v1, v7 bitop3:0x54
	v_or_b32_e32 v26, v14, v22
.LBB276_1082:                           ;   in Loop: Header=BB276_685 Depth=1
	s_or_b32 exec_lo, exec_lo, s21
	;;#ASMSTART
	v_pk_mul_f16 v1, v51, v27;

	;;#ASMEND
	;;#ASMSTART
	v_pk_mul_f16 v7, v49, v28;

	;;#ASMEND
	;; [unrolled: 4-line block ×4, first 2 shown]
	;;#ASMSTART
	v_pk_add_f16 v1, v1, v7;

	;;#ASMEND
	;;#ASMSTART
	v_pk_add_f16 v1, v1, v14;

	;;#ASMEND
	;; [unrolled: 4-line block ×3, first 2 shown]
	v_and_b32_e32 v7, 0xffff, v1
	v_lshrrev_b32_e32 v1, 16, v1
	;;#ASMSTART
	v_cvt_f32_f16 v61, v7;
	;;#ASMEND
	v_mov_b32_e32 v7, 0
	;;#ASMSTART
	v_cvt_f32_f16 v62, v1;
	;;#ASMEND
	global_load_b64 v[24:25], v[20:21], off offset:1536
	v_mov_b32_e32 v1, 0
	s_mov_b32 s21, exec_lo
	global_load_b32 v22, v1, s[10:11]
	s_wait_loadcnt 0x1
	v_and_b32_e32 v14, 0xff, v24
	s_wait_xcnt 0x0
	s_delay_alu instid0(VALU_DEP_1)
	v_cmpx_ne_u16_e32 0, v14
	s_cbranch_execz .LBB276_1090
; %bb.1083:                             ;   in Loop: Header=BB276_685 Depth=1
	v_mov_b32_e32 v7, 0x8000
	s_mov_b32 s22, exec_lo
	v_cmpx_ne_u16_e32 0x80, v14
	s_cbranch_execz .LBB276_1089
; %bb.1084:                             ;   in Loop: Header=BB276_685 Depth=1
	v_and_b32_e32 v23, 0x7f, v24
	v_mov_b32_e32 v7, 0x7c01
	s_mov_b32 s23, exec_lo
	s_delay_alu instid0(VALU_DEP_2)
	v_cmpx_ne_u32_e32 0x7f, v23
	s_cbranch_execz .LBB276_1088
; %bb.1085:                             ;   in Loop: Header=BB276_685 Depth=1
	v_dual_lshrrev_b32 v14, 3, v23 :: v_dual_bitop2_b32 v7, 7, v24 bitop3:0x40
	s_mov_b32 s24, exec_lo
	v_cmpx_gt_u32_e32 8, v23
; %bb.1086:                             ;   in Loop: Header=BB276_685 Depth=1
	s_delay_alu instid0(VALU_DEP_2) | instskip(NEXT) | instid1(VALU_DEP_1)
	v_clz_i32_u32_e32 v7, v7
	v_min_u32_e32 v7, 32, v7
	s_delay_alu instid0(VALU_DEP_1) | instskip(NEXT) | instid1(VALU_DEP_1)
	v_subrev_nc_u32_e32 v14, 28, v7
	v_lshlrev_b64_e32 v[26:27], v14, v[24:25]
	s_delay_alu instid0(VALU_DEP_1)
	v_dual_sub_nc_u32 v14, 29, v7 :: v_dual_bitop2_b32 v7, 7, v26 bitop3:0x40
; %bb.1087:                             ;   in Loop: Header=BB276_685 Depth=1
	s_or_b32 exec_lo, exec_lo, s24
	s_delay_alu instid0(VALU_DEP_1) | instskip(NEXT) | instid1(VALU_DEP_2)
	v_dual_lshlrev_b32 v23, 8, v24 :: v_dual_lshlrev_b32 v7, 7, v7
	v_lshl_add_u32 v14, v14, 10, 0x2000
	s_delay_alu instid0(VALU_DEP_2) | instskip(NEXT) | instid1(VALU_DEP_2)
	v_and_b32_e32 v23, 0x8000, v23
	v_and_b32_e32 v14, 0xfc00, v14
	s_delay_alu instid0(VALU_DEP_1)
	v_or3_b32 v7, v23, v14, v7
.LBB276_1088:                           ;   in Loop: Header=BB276_685 Depth=1
	s_or_b32 exec_lo, exec_lo, s23
.LBB276_1089:                           ;   in Loop: Header=BB276_685 Depth=1
	s_delay_alu instid0(SALU_CYCLE_1)
	s_or_b32 exec_lo, exec_lo, s22
.LBB276_1090:                           ;   in Loop: Header=BB276_685 Depth=1
	s_delay_alu instid0(SALU_CYCLE_1) | instskip(SKIP_2) | instid1(VALU_DEP_1)
	s_or_b32 exec_lo, exec_lo, s21
	v_lshrrev_b16 v14, 8, v24
	s_mov_b32 s21, exec_lo
	v_cmpx_ne_u16_e32 0, v14
	s_cbranch_execz .LBB276_1098
; %bb.1091:                             ;   in Loop: Header=BB276_685 Depth=1
	v_bfrev_b32_e32 v1, 1
	s_mov_b32 s22, exec_lo
	v_cmpx_ne_u16_e32 0x80, v14
	s_cbranch_execz .LBB276_1097
; %bb.1092:                             ;   in Loop: Header=BB276_685 Depth=1
	v_and_b32_e32 v23, 0xffff, v14
	v_mov_b32_e32 v1, 0x7c010000
	s_mov_b32 s23, exec_lo
	s_delay_alu instid0(VALU_DEP_2) | instskip(NEXT) | instid1(VALU_DEP_1)
	v_and_b32_e32 v27, 0x7f, v23
	v_cmpx_ne_u32_e32 0x7f, v27
	s_cbranch_execz .LBB276_1096
; %bb.1093:                             ;   in Loop: Header=BB276_685 Depth=1
	v_and_b32_e32 v1, 7, v23
	v_lshrrev_b32_e32 v26, 3, v27
	s_mov_b32 s24, exec_lo
	v_cmpx_gt_u32_e32 8, v27
; %bb.1094:                             ;   in Loop: Header=BB276_685 Depth=1
	s_delay_alu instid0(VALU_DEP_3) | instskip(NEXT) | instid1(VALU_DEP_1)
	v_clz_i32_u32_e32 v1, v1
	v_min_u32_e32 v1, 32, v1
	s_delay_alu instid0(VALU_DEP_1) | instskip(NEXT) | instid1(VALU_DEP_1)
	v_subrev_nc_u32_e32 v26, 28, v1
	v_lshlrev_b64_e32 v[28:29], v26, v[14:15]
	s_delay_alu instid0(VALU_DEP_1)
	v_dual_sub_nc_u32 v26, 29, v1 :: v_dual_bitop2_b32 v1, 7, v28 bitop3:0x40
; %bb.1095:                             ;   in Loop: Header=BB276_685 Depth=1
	s_or_b32 exec_lo, exec_lo, s24
	s_delay_alu instid0(VALU_DEP_1) | instskip(NEXT) | instid1(VALU_DEP_2)
	v_dual_lshlrev_b32 v14, 8, v23 :: v_dual_lshlrev_b32 v1, 23, v1
	v_lshl_add_u32 v23, v26, 10, 0x2000
	s_delay_alu instid0(VALU_DEP_1) | instskip(NEXT) | instid1(VALU_DEP_1)
	v_and_or_b32 v14, 0x8000, v14, v23
	v_lshl_or_b32 v1, v14, 16, v1
.LBB276_1096:                           ;   in Loop: Header=BB276_685 Depth=1
	s_or_b32 exec_lo, exec_lo, s23
.LBB276_1097:                           ;   in Loop: Header=BB276_685 Depth=1
	s_delay_alu instid0(SALU_CYCLE_1)
	s_or_b32 exec_lo, exec_lo, s22
.LBB276_1098:                           ;   in Loop: Header=BB276_685 Depth=1
	s_delay_alu instid0(SALU_CYCLE_1) | instskip(SKIP_3) | instid1(VALU_DEP_2)
	s_or_b32 exec_lo, exec_lo, s21
	v_dual_mov_b32 v23, 0 :: v_dual_lshrrev_b32 v14, 16, v24
	v_mov_b32_e32 v26, 0
	s_mov_b32 s21, exec_lo
	v_and_b32_e32 v27, 0xff, v14
	s_delay_alu instid0(VALU_DEP_1)
	v_cmpx_ne_u16_e32 0, v27
	s_cbranch_execz .LBB276_1106
; %bb.1099:                             ;   in Loop: Header=BB276_685 Depth=1
	v_mov_b32_e32 v26, 0x8000
	s_mov_b32 s22, exec_lo
	v_cmpx_ne_u16_e32 0x80, v27
	s_cbranch_execz .LBB276_1105
; %bb.1100:                             ;   in Loop: Header=BB276_685 Depth=1
	v_bfe_u32 v28, v24, 16, 7
	v_mov_b32_e32 v26, 0x7c01
	s_mov_b32 s23, exec_lo
	s_delay_alu instid0(VALU_DEP_2)
	v_cmpx_ne_u32_e32 0x7f, v28
	s_cbranch_execz .LBB276_1104
; %bb.1101:                             ;   in Loop: Header=BB276_685 Depth=1
	v_dual_lshrrev_b32 v27, 3, v28 :: v_dual_bitop2_b32 v26, 7, v14 bitop3:0x40
	s_mov_b32 s24, exec_lo
	v_cmpx_gt_u32_e32 8, v28
; %bb.1102:                             ;   in Loop: Header=BB276_685 Depth=1
	s_delay_alu instid0(VALU_DEP_2) | instskip(NEXT) | instid1(VALU_DEP_1)
	v_clz_i32_u32_e32 v26, v26
	v_min_u32_e32 v28, 32, v26
	s_delay_alu instid0(VALU_DEP_1) | instskip(NEXT) | instid1(VALU_DEP_1)
	v_subrev_nc_u32_e32 v26, 28, v28
	v_lshlrev_b64_e32 v[26:27], v26, v[14:15]
	s_delay_alu instid0(VALU_DEP_1)
	v_dual_sub_nc_u32 v27, 29, v28 :: v_dual_bitop2_b32 v26, 7, v26 bitop3:0x40
; %bb.1103:                             ;   in Loop: Header=BB276_685 Depth=1
	s_or_b32 exec_lo, exec_lo, s24
	v_lshlrev_b32_e32 v14, 8, v14
	s_delay_alu instid0(VALU_DEP_2) | instskip(NEXT) | instid1(VALU_DEP_3)
	v_lshl_add_u32 v27, v27, 10, 0x2000
	v_lshlrev_b32_e32 v26, 7, v26
	s_delay_alu instid0(VALU_DEP_3) | instskip(NEXT) | instid1(VALU_DEP_3)
	v_and_b32_e32 v14, 0x8000, v14
	v_and_b32_e32 v27, 0xfc00, v27
	s_delay_alu instid0(VALU_DEP_1)
	v_or3_b32 v26, v14, v27, v26
.LBB276_1104:                           ;   in Loop: Header=BB276_685 Depth=1
	s_or_b32 exec_lo, exec_lo, s23
.LBB276_1105:                           ;   in Loop: Header=BB276_685 Depth=1
	s_delay_alu instid0(SALU_CYCLE_1)
	s_or_b32 exec_lo, exec_lo, s22
.LBB276_1106:                           ;   in Loop: Header=BB276_685 Depth=1
	s_delay_alu instid0(SALU_CYCLE_1) | instskip(NEXT) | instid1(SALU_CYCLE_1)
	s_or_b32 exec_lo, exec_lo, s21
	s_mov_b32 s21, exec_lo
	v_cmpx_lt_u32_e32 0xffffff, v24
	s_cbranch_execz .LBB276_1114
; %bb.1107:                             ;   in Loop: Header=BB276_685 Depth=1
	v_lshrrev_b32_e32 v14, 24, v24
	v_bfrev_b32_e32 v23, 1
	s_mov_b32 s22, exec_lo
	s_delay_alu instid0(VALU_DEP_2)
	v_cmpx_ne_u32_e32 0x80, v14
	s_cbranch_execz .LBB276_1113
; %bb.1108:                             ;   in Loop: Header=BB276_685 Depth=1
	v_and_b32_e32 v28, 0x7f, v14
	v_mov_b32_e32 v23, 0x7c010000
	s_mov_b32 s23, exec_lo
	s_delay_alu instid0(VALU_DEP_2)
	v_cmpx_ne_u32_e32 0x7f, v28
	s_cbranch_execz .LBB276_1112
; %bb.1109:                             ;   in Loop: Header=BB276_685 Depth=1
	v_dual_lshrrev_b32 v27, 3, v28 :: v_dual_bitop2_b32 v23, 7, v14 bitop3:0x40
	s_mov_b32 s24, exec_lo
	v_cmpx_gt_u32_e32 8, v28
; %bb.1110:                             ;   in Loop: Header=BB276_685 Depth=1
	s_delay_alu instid0(VALU_DEP_2) | instskip(NEXT) | instid1(VALU_DEP_1)
	v_clz_i32_u32_e32 v23, v23
	v_min_u32_e32 v23, 32, v23
	s_delay_alu instid0(VALU_DEP_1) | instskip(NEXT) | instid1(VALU_DEP_1)
	v_subrev_nc_u32_e32 v27, 28, v23
	v_lshlrev_b64_e32 v[28:29], v27, v[14:15]
	s_delay_alu instid0(VALU_DEP_1)
	v_dual_sub_nc_u32 v27, 29, v23 :: v_dual_bitop2_b32 v23, 7, v28 bitop3:0x40
; %bb.1111:                             ;   in Loop: Header=BB276_685 Depth=1
	s_or_b32 exec_lo, exec_lo, s24
	s_delay_alu instid0(VALU_DEP_1) | instskip(NEXT) | instid1(VALU_DEP_2)
	v_dual_lshlrev_b32 v14, 8, v14 :: v_dual_lshlrev_b32 v23, 23, v23
	v_lshl_add_u32 v27, v27, 10, 0x2000
	s_delay_alu instid0(VALU_DEP_1) | instskip(NEXT) | instid1(VALU_DEP_1)
	v_and_or_b32 v14, 0x8000, v14, v27
	v_lshl_or_b32 v23, v14, 16, v23
.LBB276_1112:                           ;   in Loop: Header=BB276_685 Depth=1
	s_or_b32 exec_lo, exec_lo, s23
.LBB276_1113:                           ;   in Loop: Header=BB276_685 Depth=1
	s_delay_alu instid0(SALU_CYCLE_1)
	s_or_b32 exec_lo, exec_lo, s22
.LBB276_1114:                           ;   in Loop: Header=BB276_685 Depth=1
	s_delay_alu instid0(SALU_CYCLE_1) | instskip(SKIP_4) | instid1(VALU_DEP_3)
	s_or_b32 exec_lo, exec_lo, s21
	v_and_b32_e32 v29, 0xff, v25
	v_dual_mov_b32 v14, v25 :: v_dual_mov_b32 v28, 0
	v_mov_b32_e32 v27, 0
	s_mov_b32 s21, exec_lo
	v_cmpx_ne_u16_e32 0, v29
	s_cbranch_execz .LBB276_1122
; %bb.1115:                             ;   in Loop: Header=BB276_685 Depth=1
	v_mov_b32_e32 v27, 0x8000
	s_mov_b32 s22, exec_lo
	v_cmpx_ne_u16_e32 0x80, v29
	s_cbranch_execz .LBB276_1121
; %bb.1116:                             ;   in Loop: Header=BB276_685 Depth=1
	v_and_b32_e32 v30, 0x7f, v25
	v_mov_b32_e32 v27, 0x7c01
	s_mov_b32 s23, exec_lo
	s_delay_alu instid0(VALU_DEP_2)
	v_cmpx_ne_u32_e32 0x7f, v30
	s_cbranch_execz .LBB276_1120
; %bb.1117:                             ;   in Loop: Header=BB276_685 Depth=1
	v_dual_lshrrev_b32 v29, 3, v30 :: v_dual_bitop2_b32 v27, 7, v25 bitop3:0x40
	s_mov_b32 s24, exec_lo
	v_cmpx_gt_u32_e32 8, v30
; %bb.1118:                             ;   in Loop: Header=BB276_685 Depth=1
	s_delay_alu instid0(VALU_DEP_2) | instskip(NEXT) | instid1(VALU_DEP_1)
	v_clz_i32_u32_e32 v27, v27
	v_min_u32_e32 v27, 32, v27
	s_delay_alu instid0(VALU_DEP_1) | instskip(NEXT) | instid1(VALU_DEP_1)
	v_subrev_nc_u32_e32 v29, 28, v27
	v_lshlrev_b64_e32 v[64:65], v29, v[14:15]
	s_delay_alu instid0(VALU_DEP_1)
	v_dual_sub_nc_u32 v29, 29, v27 :: v_dual_bitop2_b32 v27, 7, v64 bitop3:0x40
; %bb.1119:                             ;   in Loop: Header=BB276_685 Depth=1
	s_or_b32 exec_lo, exec_lo, s24
	s_delay_alu instid0(VALU_DEP_1) | instskip(NEXT) | instid1(VALU_DEP_2)
	v_dual_lshlrev_b32 v30, 8, v25 :: v_dual_lshlrev_b32 v27, 7, v27
	v_lshl_add_u32 v29, v29, 10, 0x2000
	s_delay_alu instid0(VALU_DEP_2) | instskip(NEXT) | instid1(VALU_DEP_2)
	v_and_b32_e32 v30, 0x8000, v30
	v_and_b32_e32 v29, 0xfc00, v29
	s_delay_alu instid0(VALU_DEP_1)
	v_or3_b32 v27, v30, v29, v27
.LBB276_1120:                           ;   in Loop: Header=BB276_685 Depth=1
	s_or_b32 exec_lo, exec_lo, s23
.LBB276_1121:                           ;   in Loop: Header=BB276_685 Depth=1
	s_delay_alu instid0(SALU_CYCLE_1)
	s_or_b32 exec_lo, exec_lo, s22
.LBB276_1122:                           ;   in Loop: Header=BB276_685 Depth=1
	s_delay_alu instid0(SALU_CYCLE_1) | instskip(SKIP_3) | instid1(VALU_DEP_2)
	s_or_b32 exec_lo, exec_lo, s21
	v_lshrrev_b16 v14, 8, v14
	v_mov_b32_e32 v29, 0
	s_mov_b32 s21, exec_lo
	v_cmpx_ne_u16_e32 0, v14
	s_cbranch_execz .LBB276_1130
; %bb.1123:                             ;   in Loop: Header=BB276_685 Depth=1
	v_bfrev_b32_e32 v29, 1
	s_mov_b32 s22, exec_lo
	v_cmpx_ne_u16_e32 0x80, v14
	s_cbranch_execz .LBB276_1129
; %bb.1124:                             ;   in Loop: Header=BB276_685 Depth=1
	v_and_b32_e32 v30, 0xffff, v14
	v_mov_b32_e32 v29, 0x7c010000
	s_mov_b32 s23, exec_lo
	s_delay_alu instid0(VALU_DEP_2) | instskip(NEXT) | instid1(VALU_DEP_1)
	v_and_b32_e32 v46, 0x7f, v30
	v_cmpx_ne_u32_e32 0x7f, v46
	s_cbranch_execz .LBB276_1128
; %bb.1125:                             ;   in Loop: Header=BB276_685 Depth=1
	v_and_b32_e32 v29, 7, v30
	v_lshrrev_b32_e32 v45, 3, v46
	s_mov_b32 s24, exec_lo
	v_cmpx_gt_u32_e32 8, v46
; %bb.1126:                             ;   in Loop: Header=BB276_685 Depth=1
	s_delay_alu instid0(VALU_DEP_3) | instskip(NEXT) | instid1(VALU_DEP_1)
	v_clz_i32_u32_e32 v29, v29
	v_min_u32_e32 v29, 32, v29
	s_delay_alu instid0(VALU_DEP_1) | instskip(NEXT) | instid1(VALU_DEP_1)
	v_subrev_nc_u32_e32 v45, 28, v29
	v_lshlrev_b64_e32 v[64:65], v45, v[14:15]
	s_delay_alu instid0(VALU_DEP_1)
	v_dual_sub_nc_u32 v45, 29, v29 :: v_dual_bitop2_b32 v29, 7, v64 bitop3:0x40
; %bb.1127:                             ;   in Loop: Header=BB276_685 Depth=1
	s_or_b32 exec_lo, exec_lo, s24
	s_delay_alu instid0(VALU_DEP_1) | instskip(NEXT) | instid1(VALU_DEP_2)
	v_dual_lshlrev_b32 v14, 8, v30 :: v_dual_lshlrev_b32 v29, 23, v29
	v_lshl_add_u32 v30, v45, 10, 0x2000
	s_delay_alu instid0(VALU_DEP_1) | instskip(NEXT) | instid1(VALU_DEP_1)
	v_and_or_b32 v14, 0x8000, v14, v30
	v_lshl_or_b32 v29, v14, 16, v29
.LBB276_1128:                           ;   in Loop: Header=BB276_685 Depth=1
	s_or_b32 exec_lo, exec_lo, s23
.LBB276_1129:                           ;   in Loop: Header=BB276_685 Depth=1
	s_delay_alu instid0(SALU_CYCLE_1)
	s_or_b32 exec_lo, exec_lo, s22
.LBB276_1130:                           ;   in Loop: Header=BB276_685 Depth=1
	s_delay_alu instid0(SALU_CYCLE_1) | instskip(SKIP_2) | instid1(VALU_DEP_1)
	s_or_b32 exec_lo, exec_lo, s21
	v_lshrrev_b32_e32 v14, 16, v25
	s_mov_b32 s21, exec_lo
	v_and_b32_e32 v30, 0xff, v14
	s_delay_alu instid0(VALU_DEP_1)
	v_cmpx_ne_u16_e32 0, v30
	s_cbranch_execz .LBB276_1138
; %bb.1131:                             ;   in Loop: Header=BB276_685 Depth=1
	v_mov_b32_e32 v28, 0x8000
	s_mov_b32 s22, exec_lo
	v_cmpx_ne_u16_e32 0x80, v30
	s_cbranch_execz .LBB276_1137
; %bb.1132:                             ;   in Loop: Header=BB276_685 Depth=1
	v_bfe_u32 v45, v25, 16, 7
	v_mov_b32_e32 v28, 0x7c01
	s_mov_b32 s23, exec_lo
	s_delay_alu instid0(VALU_DEP_2)
	v_cmpx_ne_u32_e32 0x7f, v45
	s_cbranch_execz .LBB276_1136
; %bb.1133:                             ;   in Loop: Header=BB276_685 Depth=1
	v_dual_lshrrev_b32 v30, 3, v45 :: v_dual_bitop2_b32 v28, 7, v14 bitop3:0x40
	s_mov_b32 s24, exec_lo
	v_cmpx_gt_u32_e32 8, v45
; %bb.1134:                             ;   in Loop: Header=BB276_685 Depth=1
	s_delay_alu instid0(VALU_DEP_2) | instskip(NEXT) | instid1(VALU_DEP_1)
	v_clz_i32_u32_e32 v28, v28
	v_min_u32_e32 v28, 32, v28
	s_delay_alu instid0(VALU_DEP_1) | instskip(NEXT) | instid1(VALU_DEP_1)
	v_subrev_nc_u32_e32 v30, 28, v28
	v_lshlrev_b64_e32 v[64:65], v30, v[14:15]
	v_sub_nc_u32_e32 v30, 29, v28
	s_delay_alu instid0(VALU_DEP_2)
	v_and_b32_e32 v28, 7, v64
; %bb.1135:                             ;   in Loop: Header=BB276_685 Depth=1
	s_or_b32 exec_lo, exec_lo, s24
	s_delay_alu instid0(VALU_DEP_1) | instskip(NEXT) | instid1(VALU_DEP_3)
	v_dual_lshlrev_b32 v14, 8, v14 :: v_dual_lshlrev_b32 v28, 7, v28
	v_lshl_add_u32 v30, v30, 10, 0x2000
	s_delay_alu instid0(VALU_DEP_2) | instskip(NEXT) | instid1(VALU_DEP_2)
	v_and_b32_e32 v14, 0x8000, v14
	v_and_b32_e32 v30, 0xfc00, v30
	s_delay_alu instid0(VALU_DEP_1)
	v_or3_b32 v28, v14, v30, v28
.LBB276_1136:                           ;   in Loop: Header=BB276_685 Depth=1
	s_or_b32 exec_lo, exec_lo, s23
.LBB276_1137:                           ;   in Loop: Header=BB276_685 Depth=1
	s_delay_alu instid0(SALU_CYCLE_1)
	s_or_b32 exec_lo, exec_lo, s22
.LBB276_1138:                           ;   in Loop: Header=BB276_685 Depth=1
	s_delay_alu instid0(SALU_CYCLE_1)
	s_or_b32 exec_lo, exec_lo, s21
	v_cmp_lt_u64_e64 s0, s[4:5], v[24:25]
	v_mov_b32_e32 v24, 0
	s_and_saveexec_b32 s21, s0
	s_cbranch_execz .LBB276_1146
; %bb.1139:                             ;   in Loop: Header=BB276_685 Depth=1
	v_lshrrev_b32_e32 v14, 24, v25
	v_bfrev_b32_e32 v24, 1
	s_mov_b32 s22, exec_lo
	s_delay_alu instid0(VALU_DEP_2)
	v_cmpx_ne_u32_e32 0x80, v14
	s_cbranch_execz .LBB276_1145
; %bb.1140:                             ;   in Loop: Header=BB276_685 Depth=1
	v_and_b32_e32 v30, 0x7f, v14
	v_mov_b32_e32 v24, 0x7c010000
	s_mov_b32 s23, exec_lo
	s_delay_alu instid0(VALU_DEP_2)
	v_cmpx_ne_u32_e32 0x7f, v30
	s_cbranch_execz .LBB276_1144
; %bb.1141:                             ;   in Loop: Header=BB276_685 Depth=1
	v_and_b32_e32 v24, 7, v14
	v_lshrrev_b32_e32 v25, 3, v30
	s_mov_b32 s24, exec_lo
	v_cmpx_gt_u32_e32 8, v30
; %bb.1142:                             ;   in Loop: Header=BB276_685 Depth=1
	s_delay_alu instid0(VALU_DEP_3) | instskip(NEXT) | instid1(VALU_DEP_1)
	v_clz_i32_u32_e32 v24, v24
	v_min_u32_e32 v30, 32, v24
	s_delay_alu instid0(VALU_DEP_1) | instskip(NEXT) | instid1(VALU_DEP_1)
	v_subrev_nc_u32_e32 v24, 28, v30
	v_lshlrev_b64_e32 v[24:25], v24, v[14:15]
	s_delay_alu instid0(VALU_DEP_1)
	v_dual_sub_nc_u32 v25, 29, v30 :: v_dual_bitop2_b32 v24, 7, v24 bitop3:0x40
; %bb.1143:                             ;   in Loop: Header=BB276_685 Depth=1
	s_or_b32 exec_lo, exec_lo, s24
	s_delay_alu instid0(VALU_DEP_1) | instskip(NEXT) | instid1(VALU_DEP_2)
	v_dual_lshlrev_b32 v14, 8, v14 :: v_dual_lshlrev_b32 v24, 23, v24
	v_lshl_add_u32 v25, v25, 10, 0x2000
	s_delay_alu instid0(VALU_DEP_1) | instskip(NEXT) | instid1(VALU_DEP_1)
	v_and_or_b32 v14, 0x8000, v14, v25
	v_lshl_or_b32 v24, v14, 16, v24
.LBB276_1144:                           ;   in Loop: Header=BB276_685 Depth=1
	s_or_b32 exec_lo, exec_lo, s23
.LBB276_1145:                           ;   in Loop: Header=BB276_685 Depth=1
	s_delay_alu instid0(SALU_CYCLE_1)
	s_or_b32 exec_lo, exec_lo, s22
.LBB276_1146:                           ;   in Loop: Header=BB276_685 Depth=1
	s_delay_alu instid0(SALU_CYCLE_1) | instskip(SKIP_3) | instid1(VALU_DEP_3)
	s_or_b32 exec_lo, exec_lo, s21
	v_dual_lshrrev_b32 v14, 16, v1 :: v_dual_lshrrev_b32 v25, 16, v23
	v_or_b32_e32 v1, v1, v7
	v_dual_lshrrev_b32 v26, 16, v24 :: v_dual_bitop2_b32 v7, v23, v26 bitop3:0x54
	v_cvt_f32_f16_e32 v65, v14
	s_delay_alu instid0(VALU_DEP_4) | instskip(SKIP_4) | instid1(VALU_DEP_3)
	v_cvt_f32_f16_e32 v64, v25
	v_lshrrev_b32_e32 v23, 16, v29
	v_cvt_f32_f16_e32 v25, v1
	v_cvt_f32_f16_e32 v26, v26
	s_wait_loadcnt 0x0
	v_pk_mul_f32 v[64:65], v[22:23], v[64:65] op_sel_hi:[0,1]
	s_delay_alu instid0(VALU_DEP_1) | instskip(SKIP_4) | instid1(VALU_DEP_3)
	v_cvt_pk_f16_f32 v1, v64, v65
	v_or_b32_e32 v14, v24, v28
	v_cvt_f32_f16_e32 v24, v7
	v_or_b32_e32 v7, v29, v27
	v_cvt_f32_f16_e32 v27, v23
	v_pk_mul_f32 v[24:25], v[22:23], v[24:25] op_sel_hi:[0,1]
	s_delay_alu instid0(VALU_DEP_3) | instskip(NEXT) | instid1(VALU_DEP_3)
	v_cvt_f32_f16_e32 v29, v7
	v_pk_mul_f32 v[26:27], v[22:23], v[26:27] op_sel_hi:[0,1]
	s_delay_alu instid0(VALU_DEP_3) | instskip(SKIP_2) | instid1(VALU_DEP_4)
	v_cvt_pk_f16_f32 v7, v24, v25
	v_lshlrev_b32_e32 v24, 16, v1
	v_cvt_f32_f16_e32 v28, v14
	v_cvt_pk_f16_f32 v14, v26, v27
	s_delay_alu instid0(VALU_DEP_4) | instskip(NEXT) | instid1(VALU_DEP_3)
	v_and_b32_e32 v30, 0xffff, v7
	v_pk_mul_f32 v[28:29], v[22:23], v[28:29] op_sel_hi:[0,1]
	v_and_b32_e32 v23, 0xffff0000, v1
	s_delay_alu instid0(VALU_DEP_4) | instskip(SKIP_1) | instid1(VALU_DEP_4)
	v_and_b32_e32 v1, 0xffff0000, v14
	v_lshlrev_b32_e32 v14, 16, v14
	v_cvt_pk_f16_f32 v22, v28, v29
	v_dual_lshrrev_b32 v29, 16, v7 :: v_dual_bitop2_b32 v28, v24, v30 bitop3:0x54
	s_delay_alu instid0(VALU_DEP_2) | instskip(SKIP_1) | instid1(VALU_DEP_3)
	v_lshrrev_b32_e32 v7, 16, v22
	v_and_b32_e32 v22, 0xffff, v22
	v_or_b32_e32 v27, v23, v29
	s_delay_alu instid0(VALU_DEP_3) | instskip(NEXT) | instid1(VALU_DEP_3)
	v_or_b32_e32 v25, v1, v7
	v_or_b32_e32 v26, v14, v22
	s_and_saveexec_b32 s21, vcc_lo
	s_cbranch_execz .LBB276_1148
; %bb.1147:                             ;   in Loop: Header=BB276_685 Depth=1
	v_cmp_gt_i32_e64 s0, s14, v37
	s_delay_alu instid0(VALU_DEP_1) | instskip(SKIP_1) | instid1(VALU_DEP_1)
	v_cndmask_b32_e64 v25, 0, v29, s0
	v_cmp_gt_i32_e64 s0, s34, v44
	v_cndmask_b32_e64 v26, 0, v30, s0
	v_cmp_gt_i32_e64 s0, s14, v43
	s_delay_alu instid0(VALU_DEP_1) | instskip(SKIP_1) | instid1(VALU_DEP_1)
	v_cndmask_b32_e64 v23, 0, v23, s0
	v_cmp_gt_i32_e64 s0, s34, v42
	v_cndmask_b32_e64 v24, 0, v24, s0
	v_cmp_gt_i32_e64 s0, s14, v41
	s_delay_alu instid0(VALU_DEP_4) | instskip(NEXT) | instid1(VALU_DEP_2)
	v_or_b32_e32 v27, v23, v25
	v_dual_cndmask_b32 v7, 0, v7, s0 :: v_dual_bitop2_b32 v28, v24, v26 bitop3:0x54
	v_cmp_gt_i32_e64 s0, s34, v40
	s_delay_alu instid0(VALU_DEP_1) | instskip(SKIP_1) | instid1(VALU_DEP_1)
	v_cndmask_b32_e64 v22, 0, v22, s0
	v_cmp_gt_i32_e64 s0, s14, v39
	v_cndmask_b32_e64 v1, 0, v1, s0
	v_cmp_gt_i32_e64 s0, s34, v38
	s_delay_alu instid0(VALU_DEP_1) | instskip(NEXT) | instid1(VALU_DEP_1)
	v_dual_cndmask_b32 v14, 0, v14, s0 :: v_dual_bitop2_b32 v25, v1, v7 bitop3:0x54
	v_or_b32_e32 v26, v14, v22
.LBB276_1148:                           ;   in Loop: Header=BB276_685 Depth=1
	s_or_b32 exec_lo, exec_lo, s21
	;;#ASMSTART
	v_pk_mul_f16 v1, v51, v27;

	;;#ASMEND
	;;#ASMSTART
	v_pk_mul_f16 v7, v49, v28;

	;;#ASMEND
	;; [unrolled: 4-line block ×4, first 2 shown]
	;;#ASMSTART
	v_pk_add_f16 v1, v1, v7;

	;;#ASMEND
	;;#ASMSTART
	v_pk_add_f16 v1, v1, v14;

	;;#ASMEND
	;; [unrolled: 4-line block ×3, first 2 shown]
	v_and_b32_e32 v7, 0xffff, v1
	v_lshrrev_b32_e32 v1, 16, v1
	;;#ASMSTART
	v_cvt_f32_f16 v63, v7;
	;;#ASMEND
	v_mov_b32_e32 v7, 0
	;;#ASMSTART
	v_cvt_f32_f16 v64, v1;
	;;#ASMEND
	global_load_b64 v[24:25], v[20:21], off offset:1792
	v_mov_b32_e32 v1, 0
	s_mov_b32 s21, exec_lo
	global_load_b32 v22, v1, s[10:11]
	s_wait_loadcnt 0x1
	v_and_b32_e32 v14, 0xff, v24
	s_wait_xcnt 0x0
	s_delay_alu instid0(VALU_DEP_1)
	v_cmpx_ne_u16_e32 0, v14
	s_cbranch_execz .LBB276_1156
; %bb.1149:                             ;   in Loop: Header=BB276_685 Depth=1
	v_mov_b32_e32 v7, 0x8000
	s_mov_b32 s22, exec_lo
	v_cmpx_ne_u16_e32 0x80, v14
	s_cbranch_execz .LBB276_1155
; %bb.1150:                             ;   in Loop: Header=BB276_685 Depth=1
	v_and_b32_e32 v23, 0x7f, v24
	v_mov_b32_e32 v7, 0x7c01
	s_mov_b32 s23, exec_lo
	s_delay_alu instid0(VALU_DEP_2)
	v_cmpx_ne_u32_e32 0x7f, v23
	s_cbranch_execz .LBB276_1154
; %bb.1151:                             ;   in Loop: Header=BB276_685 Depth=1
	v_dual_lshrrev_b32 v14, 3, v23 :: v_dual_bitop2_b32 v7, 7, v24 bitop3:0x40
	s_mov_b32 s24, exec_lo
	v_cmpx_gt_u32_e32 8, v23
; %bb.1152:                             ;   in Loop: Header=BB276_685 Depth=1
	s_delay_alu instid0(VALU_DEP_2) | instskip(NEXT) | instid1(VALU_DEP_1)
	v_clz_i32_u32_e32 v7, v7
	v_min_u32_e32 v7, 32, v7
	s_delay_alu instid0(VALU_DEP_1) | instskip(NEXT) | instid1(VALU_DEP_1)
	v_subrev_nc_u32_e32 v14, 28, v7
	v_lshlrev_b64_e32 v[26:27], v14, v[24:25]
	s_delay_alu instid0(VALU_DEP_1)
	v_dual_sub_nc_u32 v14, 29, v7 :: v_dual_bitop2_b32 v7, 7, v26 bitop3:0x40
; %bb.1153:                             ;   in Loop: Header=BB276_685 Depth=1
	s_or_b32 exec_lo, exec_lo, s24
	s_delay_alu instid0(VALU_DEP_1) | instskip(NEXT) | instid1(VALU_DEP_2)
	v_dual_lshlrev_b32 v23, 8, v24 :: v_dual_lshlrev_b32 v7, 7, v7
	v_lshl_add_u32 v14, v14, 10, 0x2000
	s_delay_alu instid0(VALU_DEP_2) | instskip(NEXT) | instid1(VALU_DEP_2)
	v_and_b32_e32 v23, 0x8000, v23
	v_and_b32_e32 v14, 0xfc00, v14
	s_delay_alu instid0(VALU_DEP_1)
	v_or3_b32 v7, v23, v14, v7
.LBB276_1154:                           ;   in Loop: Header=BB276_685 Depth=1
	s_or_b32 exec_lo, exec_lo, s23
.LBB276_1155:                           ;   in Loop: Header=BB276_685 Depth=1
	s_delay_alu instid0(SALU_CYCLE_1)
	s_or_b32 exec_lo, exec_lo, s22
.LBB276_1156:                           ;   in Loop: Header=BB276_685 Depth=1
	s_delay_alu instid0(SALU_CYCLE_1) | instskip(SKIP_2) | instid1(VALU_DEP_1)
	s_or_b32 exec_lo, exec_lo, s21
	v_lshrrev_b16 v14, 8, v24
	s_mov_b32 s21, exec_lo
	v_cmpx_ne_u16_e32 0, v14
	s_cbranch_execz .LBB276_1164
; %bb.1157:                             ;   in Loop: Header=BB276_685 Depth=1
	v_bfrev_b32_e32 v1, 1
	s_mov_b32 s22, exec_lo
	v_cmpx_ne_u16_e32 0x80, v14
	s_cbranch_execz .LBB276_1163
; %bb.1158:                             ;   in Loop: Header=BB276_685 Depth=1
	v_and_b32_e32 v23, 0xffff, v14
	v_mov_b32_e32 v1, 0x7c010000
	s_mov_b32 s23, exec_lo
	s_delay_alu instid0(VALU_DEP_2) | instskip(NEXT) | instid1(VALU_DEP_1)
	v_and_b32_e32 v27, 0x7f, v23
	v_cmpx_ne_u32_e32 0x7f, v27
	s_cbranch_execz .LBB276_1162
; %bb.1159:                             ;   in Loop: Header=BB276_685 Depth=1
	v_and_b32_e32 v1, 7, v23
	v_lshrrev_b32_e32 v26, 3, v27
	s_mov_b32 s24, exec_lo
	v_cmpx_gt_u32_e32 8, v27
; %bb.1160:                             ;   in Loop: Header=BB276_685 Depth=1
	s_delay_alu instid0(VALU_DEP_3) | instskip(NEXT) | instid1(VALU_DEP_1)
	v_clz_i32_u32_e32 v1, v1
	v_min_u32_e32 v1, 32, v1
	s_delay_alu instid0(VALU_DEP_1) | instskip(NEXT) | instid1(VALU_DEP_1)
	v_subrev_nc_u32_e32 v26, 28, v1
	v_lshlrev_b64_e32 v[28:29], v26, v[14:15]
	s_delay_alu instid0(VALU_DEP_1)
	v_dual_sub_nc_u32 v26, 29, v1 :: v_dual_bitop2_b32 v1, 7, v28 bitop3:0x40
; %bb.1161:                             ;   in Loop: Header=BB276_685 Depth=1
	s_or_b32 exec_lo, exec_lo, s24
	s_delay_alu instid0(VALU_DEP_1) | instskip(NEXT) | instid1(VALU_DEP_2)
	v_dual_lshlrev_b32 v14, 8, v23 :: v_dual_lshlrev_b32 v1, 23, v1
	v_lshl_add_u32 v23, v26, 10, 0x2000
	s_delay_alu instid0(VALU_DEP_1) | instskip(NEXT) | instid1(VALU_DEP_1)
	v_and_or_b32 v14, 0x8000, v14, v23
	v_lshl_or_b32 v1, v14, 16, v1
.LBB276_1162:                           ;   in Loop: Header=BB276_685 Depth=1
	s_or_b32 exec_lo, exec_lo, s23
.LBB276_1163:                           ;   in Loop: Header=BB276_685 Depth=1
	s_delay_alu instid0(SALU_CYCLE_1)
	s_or_b32 exec_lo, exec_lo, s22
.LBB276_1164:                           ;   in Loop: Header=BB276_685 Depth=1
	s_delay_alu instid0(SALU_CYCLE_1) | instskip(SKIP_3) | instid1(VALU_DEP_2)
	s_or_b32 exec_lo, exec_lo, s21
	v_dual_mov_b32 v23, 0 :: v_dual_lshrrev_b32 v14, 16, v24
	v_mov_b32_e32 v26, 0
	s_mov_b32 s21, exec_lo
	v_and_b32_e32 v27, 0xff, v14
	s_delay_alu instid0(VALU_DEP_1)
	v_cmpx_ne_u16_e32 0, v27
	s_cbranch_execz .LBB276_1172
; %bb.1165:                             ;   in Loop: Header=BB276_685 Depth=1
	v_mov_b32_e32 v26, 0x8000
	s_mov_b32 s22, exec_lo
	v_cmpx_ne_u16_e32 0x80, v27
	s_cbranch_execz .LBB276_1171
; %bb.1166:                             ;   in Loop: Header=BB276_685 Depth=1
	v_bfe_u32 v28, v24, 16, 7
	v_mov_b32_e32 v26, 0x7c01
	s_mov_b32 s23, exec_lo
	s_delay_alu instid0(VALU_DEP_2)
	v_cmpx_ne_u32_e32 0x7f, v28
	s_cbranch_execz .LBB276_1170
; %bb.1167:                             ;   in Loop: Header=BB276_685 Depth=1
	v_dual_lshrrev_b32 v27, 3, v28 :: v_dual_bitop2_b32 v26, 7, v14 bitop3:0x40
	s_mov_b32 s24, exec_lo
	v_cmpx_gt_u32_e32 8, v28
; %bb.1168:                             ;   in Loop: Header=BB276_685 Depth=1
	s_delay_alu instid0(VALU_DEP_2) | instskip(NEXT) | instid1(VALU_DEP_1)
	v_clz_i32_u32_e32 v26, v26
	v_min_u32_e32 v28, 32, v26
	s_delay_alu instid0(VALU_DEP_1) | instskip(NEXT) | instid1(VALU_DEP_1)
	v_subrev_nc_u32_e32 v26, 28, v28
	v_lshlrev_b64_e32 v[26:27], v26, v[14:15]
	s_delay_alu instid0(VALU_DEP_1)
	v_dual_sub_nc_u32 v27, 29, v28 :: v_dual_bitop2_b32 v26, 7, v26 bitop3:0x40
; %bb.1169:                             ;   in Loop: Header=BB276_685 Depth=1
	s_or_b32 exec_lo, exec_lo, s24
	v_lshlrev_b32_e32 v14, 8, v14
	s_delay_alu instid0(VALU_DEP_2) | instskip(NEXT) | instid1(VALU_DEP_3)
	v_lshl_add_u32 v27, v27, 10, 0x2000
	v_lshlrev_b32_e32 v26, 7, v26
	s_delay_alu instid0(VALU_DEP_3) | instskip(NEXT) | instid1(VALU_DEP_3)
	v_and_b32_e32 v14, 0x8000, v14
	v_and_b32_e32 v27, 0xfc00, v27
	s_delay_alu instid0(VALU_DEP_1)
	v_or3_b32 v26, v14, v27, v26
.LBB276_1170:                           ;   in Loop: Header=BB276_685 Depth=1
	s_or_b32 exec_lo, exec_lo, s23
.LBB276_1171:                           ;   in Loop: Header=BB276_685 Depth=1
	s_delay_alu instid0(SALU_CYCLE_1)
	s_or_b32 exec_lo, exec_lo, s22
.LBB276_1172:                           ;   in Loop: Header=BB276_685 Depth=1
	s_delay_alu instid0(SALU_CYCLE_1) | instskip(NEXT) | instid1(SALU_CYCLE_1)
	s_or_b32 exec_lo, exec_lo, s21
	s_mov_b32 s21, exec_lo
	v_cmpx_lt_u32_e32 0xffffff, v24
	s_cbranch_execz .LBB276_1180
; %bb.1173:                             ;   in Loop: Header=BB276_685 Depth=1
	v_lshrrev_b32_e32 v14, 24, v24
	v_bfrev_b32_e32 v23, 1
	s_mov_b32 s22, exec_lo
	s_delay_alu instid0(VALU_DEP_2)
	v_cmpx_ne_u32_e32 0x80, v14
	s_cbranch_execz .LBB276_1179
; %bb.1174:                             ;   in Loop: Header=BB276_685 Depth=1
	v_and_b32_e32 v28, 0x7f, v14
	v_mov_b32_e32 v23, 0x7c010000
	s_mov_b32 s23, exec_lo
	s_delay_alu instid0(VALU_DEP_2)
	v_cmpx_ne_u32_e32 0x7f, v28
	s_cbranch_execz .LBB276_1178
; %bb.1175:                             ;   in Loop: Header=BB276_685 Depth=1
	v_dual_lshrrev_b32 v27, 3, v28 :: v_dual_bitop2_b32 v23, 7, v14 bitop3:0x40
	s_mov_b32 s24, exec_lo
	v_cmpx_gt_u32_e32 8, v28
; %bb.1176:                             ;   in Loop: Header=BB276_685 Depth=1
	s_delay_alu instid0(VALU_DEP_2) | instskip(NEXT) | instid1(VALU_DEP_1)
	v_clz_i32_u32_e32 v23, v23
	v_min_u32_e32 v23, 32, v23
	s_delay_alu instid0(VALU_DEP_1) | instskip(NEXT) | instid1(VALU_DEP_1)
	v_subrev_nc_u32_e32 v27, 28, v23
	v_lshlrev_b64_e32 v[28:29], v27, v[14:15]
	s_delay_alu instid0(VALU_DEP_1)
	v_dual_sub_nc_u32 v27, 29, v23 :: v_dual_bitop2_b32 v23, 7, v28 bitop3:0x40
; %bb.1177:                             ;   in Loop: Header=BB276_685 Depth=1
	s_or_b32 exec_lo, exec_lo, s24
	s_delay_alu instid0(VALU_DEP_1) | instskip(NEXT) | instid1(VALU_DEP_2)
	v_dual_lshlrev_b32 v14, 8, v14 :: v_dual_lshlrev_b32 v23, 23, v23
	v_lshl_add_u32 v27, v27, 10, 0x2000
	s_delay_alu instid0(VALU_DEP_1) | instskip(NEXT) | instid1(VALU_DEP_1)
	v_and_or_b32 v14, 0x8000, v14, v27
	v_lshl_or_b32 v23, v14, 16, v23
.LBB276_1178:                           ;   in Loop: Header=BB276_685 Depth=1
	s_or_b32 exec_lo, exec_lo, s23
.LBB276_1179:                           ;   in Loop: Header=BB276_685 Depth=1
	s_delay_alu instid0(SALU_CYCLE_1)
	s_or_b32 exec_lo, exec_lo, s22
.LBB276_1180:                           ;   in Loop: Header=BB276_685 Depth=1
	s_delay_alu instid0(SALU_CYCLE_1) | instskip(SKIP_4) | instid1(VALU_DEP_3)
	s_or_b32 exec_lo, exec_lo, s21
	v_and_b32_e32 v29, 0xff, v25
	v_dual_mov_b32 v14, v25 :: v_dual_mov_b32 v28, 0
	v_mov_b32_e32 v27, 0
	s_mov_b32 s21, exec_lo
	v_cmpx_ne_u16_e32 0, v29
	s_cbranch_execz .LBB276_1188
; %bb.1181:                             ;   in Loop: Header=BB276_685 Depth=1
	v_mov_b32_e32 v27, 0x8000
	s_mov_b32 s22, exec_lo
	v_cmpx_ne_u16_e32 0x80, v29
	s_cbranch_execz .LBB276_1187
; %bb.1182:                             ;   in Loop: Header=BB276_685 Depth=1
	v_and_b32_e32 v30, 0x7f, v25
	v_mov_b32_e32 v27, 0x7c01
	s_mov_b32 s23, exec_lo
	s_delay_alu instid0(VALU_DEP_2)
	v_cmpx_ne_u32_e32 0x7f, v30
	s_cbranch_execz .LBB276_1186
; %bb.1183:                             ;   in Loop: Header=BB276_685 Depth=1
	v_dual_lshrrev_b32 v29, 3, v30 :: v_dual_bitop2_b32 v27, 7, v25 bitop3:0x40
	s_mov_b32 s24, exec_lo
	v_cmpx_gt_u32_e32 8, v30
; %bb.1184:                             ;   in Loop: Header=BB276_685 Depth=1
	s_delay_alu instid0(VALU_DEP_2) | instskip(NEXT) | instid1(VALU_DEP_1)
	v_clz_i32_u32_e32 v27, v27
	v_min_u32_e32 v27, 32, v27
	s_delay_alu instid0(VALU_DEP_1) | instskip(NEXT) | instid1(VALU_DEP_1)
	v_subrev_nc_u32_e32 v29, 28, v27
	v_lshlrev_b64_e32 v[66:67], v29, v[14:15]
	s_delay_alu instid0(VALU_DEP_1)
	v_dual_sub_nc_u32 v29, 29, v27 :: v_dual_bitop2_b32 v27, 7, v66 bitop3:0x40
; %bb.1185:                             ;   in Loop: Header=BB276_685 Depth=1
	s_or_b32 exec_lo, exec_lo, s24
	s_delay_alu instid0(VALU_DEP_1) | instskip(NEXT) | instid1(VALU_DEP_2)
	v_dual_lshlrev_b32 v30, 8, v25 :: v_dual_lshlrev_b32 v27, 7, v27
	v_lshl_add_u32 v29, v29, 10, 0x2000
	s_delay_alu instid0(VALU_DEP_2) | instskip(NEXT) | instid1(VALU_DEP_2)
	v_and_b32_e32 v30, 0x8000, v30
	v_and_b32_e32 v29, 0xfc00, v29
	s_delay_alu instid0(VALU_DEP_1)
	v_or3_b32 v27, v30, v29, v27
.LBB276_1186:                           ;   in Loop: Header=BB276_685 Depth=1
	s_or_b32 exec_lo, exec_lo, s23
.LBB276_1187:                           ;   in Loop: Header=BB276_685 Depth=1
	s_delay_alu instid0(SALU_CYCLE_1)
	s_or_b32 exec_lo, exec_lo, s22
.LBB276_1188:                           ;   in Loop: Header=BB276_685 Depth=1
	s_delay_alu instid0(SALU_CYCLE_1) | instskip(SKIP_3) | instid1(VALU_DEP_2)
	s_or_b32 exec_lo, exec_lo, s21
	v_lshrrev_b16 v14, 8, v14
	v_mov_b32_e32 v29, 0
	s_mov_b32 s21, exec_lo
	v_cmpx_ne_u16_e32 0, v14
	s_cbranch_execz .LBB276_1196
; %bb.1189:                             ;   in Loop: Header=BB276_685 Depth=1
	v_bfrev_b32_e32 v29, 1
	s_mov_b32 s22, exec_lo
	v_cmpx_ne_u16_e32 0x80, v14
	s_cbranch_execz .LBB276_1195
; %bb.1190:                             ;   in Loop: Header=BB276_685 Depth=1
	v_and_b32_e32 v30, 0xffff, v14
	v_mov_b32_e32 v29, 0x7c010000
	s_mov_b32 s23, exec_lo
	s_delay_alu instid0(VALU_DEP_2) | instskip(NEXT) | instid1(VALU_DEP_1)
	v_and_b32_e32 v46, 0x7f, v30
	v_cmpx_ne_u32_e32 0x7f, v46
	s_cbranch_execz .LBB276_1194
; %bb.1191:                             ;   in Loop: Header=BB276_685 Depth=1
	v_and_b32_e32 v29, 7, v30
	v_lshrrev_b32_e32 v45, 3, v46
	s_mov_b32 s24, exec_lo
	v_cmpx_gt_u32_e32 8, v46
; %bb.1192:                             ;   in Loop: Header=BB276_685 Depth=1
	s_delay_alu instid0(VALU_DEP_3) | instskip(NEXT) | instid1(VALU_DEP_1)
	v_clz_i32_u32_e32 v29, v29
	v_min_u32_e32 v29, 32, v29
	s_delay_alu instid0(VALU_DEP_1) | instskip(NEXT) | instid1(VALU_DEP_1)
	v_subrev_nc_u32_e32 v45, 28, v29
	v_lshlrev_b64_e32 v[66:67], v45, v[14:15]
	s_delay_alu instid0(VALU_DEP_1)
	v_dual_sub_nc_u32 v45, 29, v29 :: v_dual_bitop2_b32 v29, 7, v66 bitop3:0x40
; %bb.1193:                             ;   in Loop: Header=BB276_685 Depth=1
	s_or_b32 exec_lo, exec_lo, s24
	s_delay_alu instid0(VALU_DEP_1) | instskip(NEXT) | instid1(VALU_DEP_2)
	v_dual_lshlrev_b32 v14, 8, v30 :: v_dual_lshlrev_b32 v29, 23, v29
	v_lshl_add_u32 v30, v45, 10, 0x2000
	s_delay_alu instid0(VALU_DEP_1) | instskip(NEXT) | instid1(VALU_DEP_1)
	v_and_or_b32 v14, 0x8000, v14, v30
	v_lshl_or_b32 v29, v14, 16, v29
.LBB276_1194:                           ;   in Loop: Header=BB276_685 Depth=1
	s_or_b32 exec_lo, exec_lo, s23
.LBB276_1195:                           ;   in Loop: Header=BB276_685 Depth=1
	s_delay_alu instid0(SALU_CYCLE_1)
	s_or_b32 exec_lo, exec_lo, s22
.LBB276_1196:                           ;   in Loop: Header=BB276_685 Depth=1
	s_delay_alu instid0(SALU_CYCLE_1) | instskip(SKIP_2) | instid1(VALU_DEP_1)
	s_or_b32 exec_lo, exec_lo, s21
	v_lshrrev_b32_e32 v14, 16, v25
	s_mov_b32 s21, exec_lo
	v_and_b32_e32 v30, 0xff, v14
	s_delay_alu instid0(VALU_DEP_1)
	v_cmpx_ne_u16_e32 0, v30
	s_cbranch_execz .LBB276_1204
; %bb.1197:                             ;   in Loop: Header=BB276_685 Depth=1
	v_mov_b32_e32 v28, 0x8000
	s_mov_b32 s22, exec_lo
	v_cmpx_ne_u16_e32 0x80, v30
	s_cbranch_execz .LBB276_1203
; %bb.1198:                             ;   in Loop: Header=BB276_685 Depth=1
	v_bfe_u32 v45, v25, 16, 7
	v_mov_b32_e32 v28, 0x7c01
	s_mov_b32 s23, exec_lo
	s_delay_alu instid0(VALU_DEP_2)
	v_cmpx_ne_u32_e32 0x7f, v45
	s_cbranch_execz .LBB276_1202
; %bb.1199:                             ;   in Loop: Header=BB276_685 Depth=1
	v_dual_lshrrev_b32 v30, 3, v45 :: v_dual_bitop2_b32 v28, 7, v14 bitop3:0x40
	s_mov_b32 s24, exec_lo
	v_cmpx_gt_u32_e32 8, v45
; %bb.1200:                             ;   in Loop: Header=BB276_685 Depth=1
	s_delay_alu instid0(VALU_DEP_2) | instskip(NEXT) | instid1(VALU_DEP_1)
	v_clz_i32_u32_e32 v28, v28
	v_min_u32_e32 v28, 32, v28
	s_delay_alu instid0(VALU_DEP_1) | instskip(NEXT) | instid1(VALU_DEP_1)
	v_subrev_nc_u32_e32 v30, 28, v28
	v_lshlrev_b64_e32 v[66:67], v30, v[14:15]
	s_delay_alu instid0(VALU_DEP_1)
	v_dual_sub_nc_u32 v30, 29, v28 :: v_dual_bitop2_b32 v28, 7, v66 bitop3:0x40
; %bb.1201:                             ;   in Loop: Header=BB276_685 Depth=1
	s_or_b32 exec_lo, exec_lo, s24
	s_delay_alu instid0(VALU_DEP_1) | instskip(NEXT) | instid1(VALU_DEP_2)
	v_dual_lshlrev_b32 v14, 8, v14 :: v_dual_lshlrev_b32 v28, 7, v28
	v_lshl_add_u32 v30, v30, 10, 0x2000
	s_delay_alu instid0(VALU_DEP_2) | instskip(NEXT) | instid1(VALU_DEP_2)
	v_and_b32_e32 v14, 0x8000, v14
	v_and_b32_e32 v30, 0xfc00, v30
	s_delay_alu instid0(VALU_DEP_1)
	v_or3_b32 v28, v14, v30, v28
.LBB276_1202:                           ;   in Loop: Header=BB276_685 Depth=1
	s_or_b32 exec_lo, exec_lo, s23
.LBB276_1203:                           ;   in Loop: Header=BB276_685 Depth=1
	s_delay_alu instid0(SALU_CYCLE_1)
	s_or_b32 exec_lo, exec_lo, s22
.LBB276_1204:                           ;   in Loop: Header=BB276_685 Depth=1
	s_delay_alu instid0(SALU_CYCLE_1)
	s_or_b32 exec_lo, exec_lo, s21
	v_cmp_lt_u64_e64 s0, s[4:5], v[24:25]
	v_mov_b32_e32 v24, 0
	s_and_saveexec_b32 s21, s0
	s_cbranch_execz .LBB276_1212
; %bb.1205:                             ;   in Loop: Header=BB276_685 Depth=1
	v_lshrrev_b32_e32 v14, 24, v25
	v_bfrev_b32_e32 v24, 1
	s_mov_b32 s22, exec_lo
	s_delay_alu instid0(VALU_DEP_2)
	v_cmpx_ne_u32_e32 0x80, v14
	s_cbranch_execz .LBB276_1211
; %bb.1206:                             ;   in Loop: Header=BB276_685 Depth=1
	v_and_b32_e32 v30, 0x7f, v14
	v_mov_b32_e32 v24, 0x7c010000
	s_mov_b32 s23, exec_lo
	s_delay_alu instid0(VALU_DEP_2)
	v_cmpx_ne_u32_e32 0x7f, v30
	s_cbranch_execz .LBB276_1210
; %bb.1207:                             ;   in Loop: Header=BB276_685 Depth=1
	v_and_b32_e32 v24, 7, v14
	v_lshrrev_b32_e32 v25, 3, v30
	s_mov_b32 s24, exec_lo
	v_cmpx_gt_u32_e32 8, v30
; %bb.1208:                             ;   in Loop: Header=BB276_685 Depth=1
	s_delay_alu instid0(VALU_DEP_3) | instskip(NEXT) | instid1(VALU_DEP_1)
	v_clz_i32_u32_e32 v24, v24
	v_min_u32_e32 v30, 32, v24
	s_delay_alu instid0(VALU_DEP_1) | instskip(NEXT) | instid1(VALU_DEP_1)
	v_subrev_nc_u32_e32 v24, 28, v30
	v_lshlrev_b64_e32 v[24:25], v24, v[14:15]
	s_delay_alu instid0(VALU_DEP_1)
	v_dual_sub_nc_u32 v25, 29, v30 :: v_dual_bitop2_b32 v24, 7, v24 bitop3:0x40
; %bb.1209:                             ;   in Loop: Header=BB276_685 Depth=1
	s_or_b32 exec_lo, exec_lo, s24
	s_delay_alu instid0(VALU_DEP_1) | instskip(NEXT) | instid1(VALU_DEP_2)
	v_dual_lshlrev_b32 v14, 8, v14 :: v_dual_lshlrev_b32 v24, 23, v24
	v_lshl_add_u32 v25, v25, 10, 0x2000
	s_delay_alu instid0(VALU_DEP_1) | instskip(NEXT) | instid1(VALU_DEP_1)
	v_and_or_b32 v14, 0x8000, v14, v25
	v_lshl_or_b32 v24, v14, 16, v24
.LBB276_1210:                           ;   in Loop: Header=BB276_685 Depth=1
	s_or_b32 exec_lo, exec_lo, s23
.LBB276_1211:                           ;   in Loop: Header=BB276_685 Depth=1
	s_delay_alu instid0(SALU_CYCLE_1)
	s_or_b32 exec_lo, exec_lo, s22
.LBB276_1212:                           ;   in Loop: Header=BB276_685 Depth=1
	s_delay_alu instid0(SALU_CYCLE_1) | instskip(SKIP_3) | instid1(VALU_DEP_3)
	s_or_b32 exec_lo, exec_lo, s21
	v_dual_lshrrev_b32 v14, 16, v1 :: v_dual_lshrrev_b32 v25, 16, v23
	v_or_b32_e32 v1, v1, v7
	v_dual_lshrrev_b32 v26, 16, v24 :: v_dual_bitop2_b32 v7, v23, v26 bitop3:0x54
	v_cvt_f32_f16_e32 v67, v14
	s_delay_alu instid0(VALU_DEP_4) | instskip(SKIP_4) | instid1(VALU_DEP_3)
	v_cvt_f32_f16_e32 v66, v25
	v_lshrrev_b32_e32 v23, 16, v29
	v_cvt_f32_f16_e32 v25, v1
	v_cvt_f32_f16_e32 v26, v26
	s_wait_loadcnt 0x0
	v_pk_mul_f32 v[66:67], v[22:23], v[66:67] op_sel_hi:[0,1]
	s_delay_alu instid0(VALU_DEP_1) | instskip(SKIP_4) | instid1(VALU_DEP_3)
	v_cvt_pk_f16_f32 v1, v66, v67
	v_or_b32_e32 v14, v24, v28
	v_cvt_f32_f16_e32 v24, v7
	v_or_b32_e32 v7, v29, v27
	v_cvt_f32_f16_e32 v27, v23
	v_pk_mul_f32 v[24:25], v[22:23], v[24:25] op_sel_hi:[0,1]
	s_delay_alu instid0(VALU_DEP_3) | instskip(NEXT) | instid1(VALU_DEP_3)
	v_cvt_f32_f16_e32 v29, v7
	v_pk_mul_f32 v[26:27], v[22:23], v[26:27] op_sel_hi:[0,1]
	s_delay_alu instid0(VALU_DEP_3) | instskip(SKIP_2) | instid1(VALU_DEP_4)
	v_cvt_pk_f16_f32 v7, v24, v25
	v_lshlrev_b32_e32 v24, 16, v1
	v_cvt_f32_f16_e32 v28, v14
	v_cvt_pk_f16_f32 v14, v26, v27
	s_delay_alu instid0(VALU_DEP_4) | instskip(NEXT) | instid1(VALU_DEP_3)
	v_and_b32_e32 v30, 0xffff, v7
	v_pk_mul_f32 v[28:29], v[22:23], v[28:29] op_sel_hi:[0,1]
	v_and_b32_e32 v23, 0xffff0000, v1
	s_delay_alu instid0(VALU_DEP_4) | instskip(SKIP_1) | instid1(VALU_DEP_4)
	v_and_b32_e32 v1, 0xffff0000, v14
	v_lshlrev_b32_e32 v14, 16, v14
	v_cvt_pk_f16_f32 v22, v28, v29
	v_dual_lshrrev_b32 v29, 16, v7 :: v_dual_bitop2_b32 v28, v24, v30 bitop3:0x54
	s_delay_alu instid0(VALU_DEP_2) | instskip(SKIP_1) | instid1(VALU_DEP_3)
	v_lshrrev_b32_e32 v7, 16, v22
	v_and_b32_e32 v22, 0xffff, v22
	v_or_b32_e32 v27, v23, v29
	s_delay_alu instid0(VALU_DEP_3) | instskip(NEXT) | instid1(VALU_DEP_3)
	v_or_b32_e32 v25, v1, v7
	v_or_b32_e32 v26, v14, v22
	s_and_saveexec_b32 s21, vcc_lo
	s_cbranch_execz .LBB276_1214
; %bb.1213:                             ;   in Loop: Header=BB276_685 Depth=1
	v_cmp_gt_i32_e64 s0, s14, v37
	s_delay_alu instid0(VALU_DEP_1) | instskip(SKIP_1) | instid1(VALU_DEP_1)
	v_cndmask_b32_e64 v25, 0, v29, s0
	v_cmp_gt_i32_e64 s0, s34, v44
	v_cndmask_b32_e64 v26, 0, v30, s0
	v_cmp_gt_i32_e64 s0, s14, v43
	s_delay_alu instid0(VALU_DEP_1) | instskip(SKIP_1) | instid1(VALU_DEP_1)
	v_cndmask_b32_e64 v23, 0, v23, s0
	v_cmp_gt_i32_e64 s0, s34, v42
	v_cndmask_b32_e64 v24, 0, v24, s0
	v_cmp_gt_i32_e64 s0, s14, v41
	s_delay_alu instid0(VALU_DEP_4) | instskip(NEXT) | instid1(VALU_DEP_2)
	v_or_b32_e32 v27, v23, v25
	v_dual_cndmask_b32 v7, 0, v7, s0 :: v_dual_bitop2_b32 v28, v24, v26 bitop3:0x54
	v_cmp_gt_i32_e64 s0, s34, v40
	s_delay_alu instid0(VALU_DEP_1) | instskip(SKIP_1) | instid1(VALU_DEP_1)
	v_cndmask_b32_e64 v22, 0, v22, s0
	v_cmp_gt_i32_e64 s0, s14, v39
	v_cndmask_b32_e64 v1, 0, v1, s0
	v_cmp_gt_i32_e64 s0, s34, v38
	s_delay_alu instid0(VALU_DEP_1) | instskip(NEXT) | instid1(VALU_DEP_1)
	v_dual_cndmask_b32 v14, 0, v14, s0 :: v_dual_bitop2_b32 v25, v1, v7 bitop3:0x54
	v_or_b32_e32 v26, v14, v22
.LBB276_1214:                           ;   in Loop: Header=BB276_685 Depth=1
	s_or_b32 exec_lo, exec_lo, s21
	;;#ASMSTART
	v_pk_mul_f16 v1, v51, v27;

	;;#ASMEND
	;;#ASMSTART
	v_pk_mul_f16 v7, v49, v28;

	;;#ASMEND
	;; [unrolled: 4-line block ×4, first 2 shown]
	;;#ASMSTART
	v_pk_add_f16 v1, v1, v7;

	;;#ASMEND
	;;#ASMSTART
	v_pk_add_f16 v1, v1, v14;

	;;#ASMEND
	;; [unrolled: 4-line block ×3, first 2 shown]
	v_and_b32_e32 v7, 0xffff, v1
	v_lshrrev_b32_e32 v1, 16, v1
	;;#ASMSTART
	v_cvt_f32_f16 v65, v7;
	;;#ASMEND
	v_mov_b32_e32 v7, 0
	;;#ASMSTART
	v_cvt_f32_f16 v66, v1;
	;;#ASMEND
	global_load_b64 v[24:25], v[20:21], off offset:2048
	v_mov_b32_e32 v1, 0
	s_mov_b32 s21, exec_lo
	global_load_b32 v22, v1, s[10:11]
	s_wait_loadcnt 0x1
	v_and_b32_e32 v14, 0xff, v24
	s_wait_xcnt 0x0
	s_delay_alu instid0(VALU_DEP_1)
	v_cmpx_ne_u16_e32 0, v14
	s_cbranch_execz .LBB276_1222
; %bb.1215:                             ;   in Loop: Header=BB276_685 Depth=1
	v_mov_b32_e32 v7, 0x8000
	s_mov_b32 s22, exec_lo
	v_cmpx_ne_u16_e32 0x80, v14
	s_cbranch_execz .LBB276_1221
; %bb.1216:                             ;   in Loop: Header=BB276_685 Depth=1
	v_and_b32_e32 v23, 0x7f, v24
	v_mov_b32_e32 v7, 0x7c01
	s_mov_b32 s23, exec_lo
	s_delay_alu instid0(VALU_DEP_2)
	v_cmpx_ne_u32_e32 0x7f, v23
	s_cbranch_execz .LBB276_1220
; %bb.1217:                             ;   in Loop: Header=BB276_685 Depth=1
	v_dual_lshrrev_b32 v14, 3, v23 :: v_dual_bitop2_b32 v7, 7, v24 bitop3:0x40
	s_mov_b32 s24, exec_lo
	v_cmpx_gt_u32_e32 8, v23
; %bb.1218:                             ;   in Loop: Header=BB276_685 Depth=1
	s_delay_alu instid0(VALU_DEP_2) | instskip(NEXT) | instid1(VALU_DEP_1)
	v_clz_i32_u32_e32 v7, v7
	v_min_u32_e32 v7, 32, v7
	s_delay_alu instid0(VALU_DEP_1) | instskip(NEXT) | instid1(VALU_DEP_1)
	v_subrev_nc_u32_e32 v14, 28, v7
	v_lshlrev_b64_e32 v[26:27], v14, v[24:25]
	s_delay_alu instid0(VALU_DEP_1)
	v_dual_sub_nc_u32 v14, 29, v7 :: v_dual_bitop2_b32 v7, 7, v26 bitop3:0x40
; %bb.1219:                             ;   in Loop: Header=BB276_685 Depth=1
	s_or_b32 exec_lo, exec_lo, s24
	s_delay_alu instid0(VALU_DEP_1) | instskip(NEXT) | instid1(VALU_DEP_2)
	v_dual_lshlrev_b32 v23, 8, v24 :: v_dual_lshlrev_b32 v7, 7, v7
	v_lshl_add_u32 v14, v14, 10, 0x2000
	s_delay_alu instid0(VALU_DEP_2) | instskip(NEXT) | instid1(VALU_DEP_2)
	v_and_b32_e32 v23, 0x8000, v23
	v_and_b32_e32 v14, 0xfc00, v14
	s_delay_alu instid0(VALU_DEP_1)
	v_or3_b32 v7, v23, v14, v7
.LBB276_1220:                           ;   in Loop: Header=BB276_685 Depth=1
	s_or_b32 exec_lo, exec_lo, s23
.LBB276_1221:                           ;   in Loop: Header=BB276_685 Depth=1
	s_delay_alu instid0(SALU_CYCLE_1)
	s_or_b32 exec_lo, exec_lo, s22
.LBB276_1222:                           ;   in Loop: Header=BB276_685 Depth=1
	s_delay_alu instid0(SALU_CYCLE_1) | instskip(SKIP_2) | instid1(VALU_DEP_1)
	s_or_b32 exec_lo, exec_lo, s21
	v_lshrrev_b16 v14, 8, v24
	s_mov_b32 s21, exec_lo
	v_cmpx_ne_u16_e32 0, v14
	s_cbranch_execz .LBB276_1230
; %bb.1223:                             ;   in Loop: Header=BB276_685 Depth=1
	v_bfrev_b32_e32 v1, 1
	s_mov_b32 s22, exec_lo
	v_cmpx_ne_u16_e32 0x80, v14
	s_cbranch_execz .LBB276_1229
; %bb.1224:                             ;   in Loop: Header=BB276_685 Depth=1
	v_and_b32_e32 v23, 0xffff, v14
	v_mov_b32_e32 v1, 0x7c010000
	s_mov_b32 s23, exec_lo
	s_delay_alu instid0(VALU_DEP_2) | instskip(NEXT) | instid1(VALU_DEP_1)
	v_and_b32_e32 v27, 0x7f, v23
	v_cmpx_ne_u32_e32 0x7f, v27
	s_cbranch_execz .LBB276_1228
; %bb.1225:                             ;   in Loop: Header=BB276_685 Depth=1
	v_and_b32_e32 v1, 7, v23
	v_lshrrev_b32_e32 v26, 3, v27
	s_mov_b32 s24, exec_lo
	v_cmpx_gt_u32_e32 8, v27
; %bb.1226:                             ;   in Loop: Header=BB276_685 Depth=1
	s_delay_alu instid0(VALU_DEP_3) | instskip(NEXT) | instid1(VALU_DEP_1)
	v_clz_i32_u32_e32 v1, v1
	v_min_u32_e32 v1, 32, v1
	s_delay_alu instid0(VALU_DEP_1) | instskip(NEXT) | instid1(VALU_DEP_1)
	v_subrev_nc_u32_e32 v26, 28, v1
	v_lshlrev_b64_e32 v[28:29], v26, v[14:15]
	s_delay_alu instid0(VALU_DEP_1)
	v_dual_sub_nc_u32 v26, 29, v1 :: v_dual_bitop2_b32 v1, 7, v28 bitop3:0x40
; %bb.1227:                             ;   in Loop: Header=BB276_685 Depth=1
	s_or_b32 exec_lo, exec_lo, s24
	s_delay_alu instid0(VALU_DEP_1) | instskip(NEXT) | instid1(VALU_DEP_2)
	v_dual_lshlrev_b32 v14, 8, v23 :: v_dual_lshlrev_b32 v1, 23, v1
	v_lshl_add_u32 v23, v26, 10, 0x2000
	s_delay_alu instid0(VALU_DEP_1) | instskip(NEXT) | instid1(VALU_DEP_1)
	v_and_or_b32 v14, 0x8000, v14, v23
	v_lshl_or_b32 v1, v14, 16, v1
.LBB276_1228:                           ;   in Loop: Header=BB276_685 Depth=1
	s_or_b32 exec_lo, exec_lo, s23
.LBB276_1229:                           ;   in Loop: Header=BB276_685 Depth=1
	s_delay_alu instid0(SALU_CYCLE_1)
	s_or_b32 exec_lo, exec_lo, s22
.LBB276_1230:                           ;   in Loop: Header=BB276_685 Depth=1
	s_delay_alu instid0(SALU_CYCLE_1) | instskip(SKIP_3) | instid1(VALU_DEP_2)
	s_or_b32 exec_lo, exec_lo, s21
	v_dual_mov_b32 v23, 0 :: v_dual_lshrrev_b32 v14, 16, v24
	v_mov_b32_e32 v26, 0
	s_mov_b32 s21, exec_lo
	v_and_b32_e32 v27, 0xff, v14
	s_delay_alu instid0(VALU_DEP_1)
	v_cmpx_ne_u16_e32 0, v27
	s_cbranch_execz .LBB276_1238
; %bb.1231:                             ;   in Loop: Header=BB276_685 Depth=1
	v_mov_b32_e32 v26, 0x8000
	s_mov_b32 s22, exec_lo
	v_cmpx_ne_u16_e32 0x80, v27
	s_cbranch_execz .LBB276_1237
; %bb.1232:                             ;   in Loop: Header=BB276_685 Depth=1
	v_bfe_u32 v28, v24, 16, 7
	v_mov_b32_e32 v26, 0x7c01
	s_mov_b32 s23, exec_lo
	s_delay_alu instid0(VALU_DEP_2)
	v_cmpx_ne_u32_e32 0x7f, v28
	s_cbranch_execz .LBB276_1236
; %bb.1233:                             ;   in Loop: Header=BB276_685 Depth=1
	v_dual_lshrrev_b32 v27, 3, v28 :: v_dual_bitop2_b32 v26, 7, v14 bitop3:0x40
	s_mov_b32 s24, exec_lo
	v_cmpx_gt_u32_e32 8, v28
; %bb.1234:                             ;   in Loop: Header=BB276_685 Depth=1
	s_delay_alu instid0(VALU_DEP_2) | instskip(NEXT) | instid1(VALU_DEP_1)
	v_clz_i32_u32_e32 v26, v26
	v_min_u32_e32 v28, 32, v26
	s_delay_alu instid0(VALU_DEP_1) | instskip(NEXT) | instid1(VALU_DEP_1)
	v_subrev_nc_u32_e32 v26, 28, v28
	v_lshlrev_b64_e32 v[26:27], v26, v[14:15]
	s_delay_alu instid0(VALU_DEP_1)
	v_dual_sub_nc_u32 v27, 29, v28 :: v_dual_bitop2_b32 v26, 7, v26 bitop3:0x40
; %bb.1235:                             ;   in Loop: Header=BB276_685 Depth=1
	s_or_b32 exec_lo, exec_lo, s24
	v_lshlrev_b32_e32 v14, 8, v14
	s_delay_alu instid0(VALU_DEP_2) | instskip(NEXT) | instid1(VALU_DEP_3)
	v_lshl_add_u32 v27, v27, 10, 0x2000
	v_lshlrev_b32_e32 v26, 7, v26
	s_delay_alu instid0(VALU_DEP_3) | instskip(NEXT) | instid1(VALU_DEP_3)
	v_and_b32_e32 v14, 0x8000, v14
	v_and_b32_e32 v27, 0xfc00, v27
	s_delay_alu instid0(VALU_DEP_1)
	v_or3_b32 v26, v14, v27, v26
.LBB276_1236:                           ;   in Loop: Header=BB276_685 Depth=1
	s_or_b32 exec_lo, exec_lo, s23
.LBB276_1237:                           ;   in Loop: Header=BB276_685 Depth=1
	s_delay_alu instid0(SALU_CYCLE_1)
	s_or_b32 exec_lo, exec_lo, s22
.LBB276_1238:                           ;   in Loop: Header=BB276_685 Depth=1
	s_delay_alu instid0(SALU_CYCLE_1) | instskip(NEXT) | instid1(SALU_CYCLE_1)
	s_or_b32 exec_lo, exec_lo, s21
	s_mov_b32 s21, exec_lo
	v_cmpx_lt_u32_e32 0xffffff, v24
	s_cbranch_execz .LBB276_1246
; %bb.1239:                             ;   in Loop: Header=BB276_685 Depth=1
	v_lshrrev_b32_e32 v14, 24, v24
	v_bfrev_b32_e32 v23, 1
	s_mov_b32 s22, exec_lo
	s_delay_alu instid0(VALU_DEP_2)
	v_cmpx_ne_u32_e32 0x80, v14
	s_cbranch_execz .LBB276_1245
; %bb.1240:                             ;   in Loop: Header=BB276_685 Depth=1
	v_and_b32_e32 v28, 0x7f, v14
	v_mov_b32_e32 v23, 0x7c010000
	s_mov_b32 s23, exec_lo
	s_delay_alu instid0(VALU_DEP_2)
	v_cmpx_ne_u32_e32 0x7f, v28
	s_cbranch_execz .LBB276_1244
; %bb.1241:                             ;   in Loop: Header=BB276_685 Depth=1
	v_dual_lshrrev_b32 v27, 3, v28 :: v_dual_bitop2_b32 v23, 7, v14 bitop3:0x40
	s_mov_b32 s24, exec_lo
	v_cmpx_gt_u32_e32 8, v28
; %bb.1242:                             ;   in Loop: Header=BB276_685 Depth=1
	s_delay_alu instid0(VALU_DEP_2) | instskip(NEXT) | instid1(VALU_DEP_1)
	v_clz_i32_u32_e32 v23, v23
	v_min_u32_e32 v23, 32, v23
	s_delay_alu instid0(VALU_DEP_1) | instskip(NEXT) | instid1(VALU_DEP_1)
	v_subrev_nc_u32_e32 v27, 28, v23
	v_lshlrev_b64_e32 v[28:29], v27, v[14:15]
	s_delay_alu instid0(VALU_DEP_1)
	v_dual_sub_nc_u32 v27, 29, v23 :: v_dual_bitop2_b32 v23, 7, v28 bitop3:0x40
; %bb.1243:                             ;   in Loop: Header=BB276_685 Depth=1
	s_or_b32 exec_lo, exec_lo, s24
	s_delay_alu instid0(VALU_DEP_1) | instskip(NEXT) | instid1(VALU_DEP_2)
	v_dual_lshlrev_b32 v14, 8, v14 :: v_dual_lshlrev_b32 v23, 23, v23
	v_lshl_add_u32 v27, v27, 10, 0x2000
	s_delay_alu instid0(VALU_DEP_1) | instskip(NEXT) | instid1(VALU_DEP_1)
	v_and_or_b32 v14, 0x8000, v14, v27
	v_lshl_or_b32 v23, v14, 16, v23
.LBB276_1244:                           ;   in Loop: Header=BB276_685 Depth=1
	s_or_b32 exec_lo, exec_lo, s23
.LBB276_1245:                           ;   in Loop: Header=BB276_685 Depth=1
	s_delay_alu instid0(SALU_CYCLE_1)
	s_or_b32 exec_lo, exec_lo, s22
.LBB276_1246:                           ;   in Loop: Header=BB276_685 Depth=1
	s_delay_alu instid0(SALU_CYCLE_1) | instskip(SKIP_4) | instid1(VALU_DEP_3)
	s_or_b32 exec_lo, exec_lo, s21
	v_and_b32_e32 v29, 0xff, v25
	v_dual_mov_b32 v14, v25 :: v_dual_mov_b32 v28, 0
	v_mov_b32_e32 v27, 0
	s_mov_b32 s21, exec_lo
	v_cmpx_ne_u16_e32 0, v29
	s_cbranch_execz .LBB276_1254
; %bb.1247:                             ;   in Loop: Header=BB276_685 Depth=1
	v_mov_b32_e32 v27, 0x8000
	s_mov_b32 s22, exec_lo
	v_cmpx_ne_u16_e32 0x80, v29
	s_cbranch_execz .LBB276_1253
; %bb.1248:                             ;   in Loop: Header=BB276_685 Depth=1
	v_and_b32_e32 v30, 0x7f, v25
	v_mov_b32_e32 v27, 0x7c01
	s_mov_b32 s23, exec_lo
	s_delay_alu instid0(VALU_DEP_2)
	v_cmpx_ne_u32_e32 0x7f, v30
	s_cbranch_execz .LBB276_1252
; %bb.1249:                             ;   in Loop: Header=BB276_685 Depth=1
	v_dual_lshrrev_b32 v29, 3, v30 :: v_dual_bitop2_b32 v27, 7, v25 bitop3:0x40
	s_mov_b32 s24, exec_lo
	v_cmpx_gt_u32_e32 8, v30
; %bb.1250:                             ;   in Loop: Header=BB276_685 Depth=1
	s_delay_alu instid0(VALU_DEP_2) | instskip(NEXT) | instid1(VALU_DEP_1)
	v_clz_i32_u32_e32 v27, v27
	v_min_u32_e32 v27, 32, v27
	s_delay_alu instid0(VALU_DEP_1) | instskip(NEXT) | instid1(VALU_DEP_1)
	v_subrev_nc_u32_e32 v29, 28, v27
	v_lshlrev_b64_e32 v[68:69], v29, v[14:15]
	s_delay_alu instid0(VALU_DEP_1)
	v_dual_sub_nc_u32 v29, 29, v27 :: v_dual_bitop2_b32 v27, 7, v68 bitop3:0x40
; %bb.1251:                             ;   in Loop: Header=BB276_685 Depth=1
	s_or_b32 exec_lo, exec_lo, s24
	s_delay_alu instid0(VALU_DEP_1) | instskip(NEXT) | instid1(VALU_DEP_2)
	v_dual_lshlrev_b32 v30, 8, v25 :: v_dual_lshlrev_b32 v27, 7, v27
	v_lshl_add_u32 v29, v29, 10, 0x2000
	s_delay_alu instid0(VALU_DEP_2) | instskip(NEXT) | instid1(VALU_DEP_2)
	v_and_b32_e32 v30, 0x8000, v30
	v_and_b32_e32 v29, 0xfc00, v29
	s_delay_alu instid0(VALU_DEP_1)
	v_or3_b32 v27, v30, v29, v27
.LBB276_1252:                           ;   in Loop: Header=BB276_685 Depth=1
	s_or_b32 exec_lo, exec_lo, s23
.LBB276_1253:                           ;   in Loop: Header=BB276_685 Depth=1
	s_delay_alu instid0(SALU_CYCLE_1)
	s_or_b32 exec_lo, exec_lo, s22
.LBB276_1254:                           ;   in Loop: Header=BB276_685 Depth=1
	s_delay_alu instid0(SALU_CYCLE_1) | instskip(SKIP_3) | instid1(VALU_DEP_2)
	s_or_b32 exec_lo, exec_lo, s21
	v_lshrrev_b16 v14, 8, v14
	v_mov_b32_e32 v29, 0
	s_mov_b32 s21, exec_lo
	v_cmpx_ne_u16_e32 0, v14
	s_cbranch_execz .LBB276_1262
; %bb.1255:                             ;   in Loop: Header=BB276_685 Depth=1
	v_bfrev_b32_e32 v29, 1
	s_mov_b32 s22, exec_lo
	v_cmpx_ne_u16_e32 0x80, v14
	s_cbranch_execz .LBB276_1261
; %bb.1256:                             ;   in Loop: Header=BB276_685 Depth=1
	v_and_b32_e32 v30, 0xffff, v14
	v_mov_b32_e32 v29, 0x7c010000
	s_mov_b32 s23, exec_lo
	s_delay_alu instid0(VALU_DEP_2) | instskip(NEXT) | instid1(VALU_DEP_1)
	v_and_b32_e32 v46, 0x7f, v30
	v_cmpx_ne_u32_e32 0x7f, v46
	s_cbranch_execz .LBB276_1260
; %bb.1257:                             ;   in Loop: Header=BB276_685 Depth=1
	v_and_b32_e32 v29, 7, v30
	v_lshrrev_b32_e32 v45, 3, v46
	s_mov_b32 s24, exec_lo
	v_cmpx_gt_u32_e32 8, v46
; %bb.1258:                             ;   in Loop: Header=BB276_685 Depth=1
	s_delay_alu instid0(VALU_DEP_3) | instskip(NEXT) | instid1(VALU_DEP_1)
	v_clz_i32_u32_e32 v29, v29
	v_min_u32_e32 v29, 32, v29
	s_delay_alu instid0(VALU_DEP_1) | instskip(NEXT) | instid1(VALU_DEP_1)
	v_subrev_nc_u32_e32 v45, 28, v29
	v_lshlrev_b64_e32 v[68:69], v45, v[14:15]
	s_delay_alu instid0(VALU_DEP_1)
	v_dual_sub_nc_u32 v45, 29, v29 :: v_dual_bitop2_b32 v29, 7, v68 bitop3:0x40
; %bb.1259:                             ;   in Loop: Header=BB276_685 Depth=1
	s_or_b32 exec_lo, exec_lo, s24
	s_delay_alu instid0(VALU_DEP_1) | instskip(NEXT) | instid1(VALU_DEP_2)
	v_dual_lshlrev_b32 v14, 8, v30 :: v_dual_lshlrev_b32 v29, 23, v29
	v_lshl_add_u32 v30, v45, 10, 0x2000
	s_delay_alu instid0(VALU_DEP_1) | instskip(NEXT) | instid1(VALU_DEP_1)
	v_and_or_b32 v14, 0x8000, v14, v30
	v_lshl_or_b32 v29, v14, 16, v29
.LBB276_1260:                           ;   in Loop: Header=BB276_685 Depth=1
	s_or_b32 exec_lo, exec_lo, s23
.LBB276_1261:                           ;   in Loop: Header=BB276_685 Depth=1
	s_delay_alu instid0(SALU_CYCLE_1)
	s_or_b32 exec_lo, exec_lo, s22
.LBB276_1262:                           ;   in Loop: Header=BB276_685 Depth=1
	s_delay_alu instid0(SALU_CYCLE_1) | instskip(SKIP_2) | instid1(VALU_DEP_1)
	s_or_b32 exec_lo, exec_lo, s21
	v_lshrrev_b32_e32 v14, 16, v25
	s_mov_b32 s21, exec_lo
	v_and_b32_e32 v30, 0xff, v14
	s_delay_alu instid0(VALU_DEP_1)
	v_cmpx_ne_u16_e32 0, v30
	s_cbranch_execz .LBB276_1270
; %bb.1263:                             ;   in Loop: Header=BB276_685 Depth=1
	v_mov_b32_e32 v28, 0x8000
	s_mov_b32 s22, exec_lo
	v_cmpx_ne_u16_e32 0x80, v30
	s_cbranch_execz .LBB276_1269
; %bb.1264:                             ;   in Loop: Header=BB276_685 Depth=1
	v_bfe_u32 v45, v25, 16, 7
	v_mov_b32_e32 v28, 0x7c01
	s_mov_b32 s23, exec_lo
	s_delay_alu instid0(VALU_DEP_2)
	v_cmpx_ne_u32_e32 0x7f, v45
	s_cbranch_execz .LBB276_1268
; %bb.1265:                             ;   in Loop: Header=BB276_685 Depth=1
	v_dual_lshrrev_b32 v30, 3, v45 :: v_dual_bitop2_b32 v28, 7, v14 bitop3:0x40
	s_mov_b32 s24, exec_lo
	v_cmpx_gt_u32_e32 8, v45
; %bb.1266:                             ;   in Loop: Header=BB276_685 Depth=1
	s_delay_alu instid0(VALU_DEP_2) | instskip(NEXT) | instid1(VALU_DEP_1)
	v_clz_i32_u32_e32 v28, v28
	v_min_u32_e32 v28, 32, v28
	s_delay_alu instid0(VALU_DEP_1) | instskip(NEXT) | instid1(VALU_DEP_1)
	v_subrev_nc_u32_e32 v30, 28, v28
	v_lshlrev_b64_e32 v[68:69], v30, v[14:15]
	v_sub_nc_u32_e32 v30, 29, v28
	s_delay_alu instid0(VALU_DEP_2)
	v_and_b32_e32 v28, 7, v68
; %bb.1267:                             ;   in Loop: Header=BB276_685 Depth=1
	s_or_b32 exec_lo, exec_lo, s24
	s_delay_alu instid0(VALU_DEP_1) | instskip(NEXT) | instid1(VALU_DEP_3)
	v_dual_lshlrev_b32 v14, 8, v14 :: v_dual_lshlrev_b32 v28, 7, v28
	v_lshl_add_u32 v30, v30, 10, 0x2000
	s_delay_alu instid0(VALU_DEP_2) | instskip(NEXT) | instid1(VALU_DEP_2)
	v_and_b32_e32 v14, 0x8000, v14
	v_and_b32_e32 v30, 0xfc00, v30
	s_delay_alu instid0(VALU_DEP_1)
	v_or3_b32 v28, v14, v30, v28
.LBB276_1268:                           ;   in Loop: Header=BB276_685 Depth=1
	s_or_b32 exec_lo, exec_lo, s23
.LBB276_1269:                           ;   in Loop: Header=BB276_685 Depth=1
	s_delay_alu instid0(SALU_CYCLE_1)
	s_or_b32 exec_lo, exec_lo, s22
.LBB276_1270:                           ;   in Loop: Header=BB276_685 Depth=1
	s_delay_alu instid0(SALU_CYCLE_1)
	s_or_b32 exec_lo, exec_lo, s21
	v_cmp_lt_u64_e64 s0, s[4:5], v[24:25]
	v_mov_b32_e32 v24, 0
	s_and_saveexec_b32 s21, s0
	s_cbranch_execz .LBB276_1278
; %bb.1271:                             ;   in Loop: Header=BB276_685 Depth=1
	v_lshrrev_b32_e32 v14, 24, v25
	v_bfrev_b32_e32 v24, 1
	s_mov_b32 s22, exec_lo
	s_delay_alu instid0(VALU_DEP_2)
	v_cmpx_ne_u32_e32 0x80, v14
	s_cbranch_execz .LBB276_1277
; %bb.1272:                             ;   in Loop: Header=BB276_685 Depth=1
	v_and_b32_e32 v30, 0x7f, v14
	v_mov_b32_e32 v24, 0x7c010000
	s_mov_b32 s23, exec_lo
	s_delay_alu instid0(VALU_DEP_2)
	v_cmpx_ne_u32_e32 0x7f, v30
	s_cbranch_execz .LBB276_1276
; %bb.1273:                             ;   in Loop: Header=BB276_685 Depth=1
	v_and_b32_e32 v24, 7, v14
	v_lshrrev_b32_e32 v25, 3, v30
	s_mov_b32 s24, exec_lo
	v_cmpx_gt_u32_e32 8, v30
; %bb.1274:                             ;   in Loop: Header=BB276_685 Depth=1
	s_delay_alu instid0(VALU_DEP_3) | instskip(NEXT) | instid1(VALU_DEP_1)
	v_clz_i32_u32_e32 v24, v24
	v_min_u32_e32 v30, 32, v24
	s_delay_alu instid0(VALU_DEP_1) | instskip(NEXT) | instid1(VALU_DEP_1)
	v_subrev_nc_u32_e32 v24, 28, v30
	v_lshlrev_b64_e32 v[24:25], v24, v[14:15]
	s_delay_alu instid0(VALU_DEP_1)
	v_dual_sub_nc_u32 v25, 29, v30 :: v_dual_bitop2_b32 v24, 7, v24 bitop3:0x40
; %bb.1275:                             ;   in Loop: Header=BB276_685 Depth=1
	s_or_b32 exec_lo, exec_lo, s24
	s_delay_alu instid0(VALU_DEP_1) | instskip(NEXT) | instid1(VALU_DEP_2)
	v_dual_lshlrev_b32 v14, 8, v14 :: v_dual_lshlrev_b32 v24, 23, v24
	v_lshl_add_u32 v25, v25, 10, 0x2000
	s_delay_alu instid0(VALU_DEP_1) | instskip(NEXT) | instid1(VALU_DEP_1)
	v_and_or_b32 v14, 0x8000, v14, v25
	v_lshl_or_b32 v24, v14, 16, v24
.LBB276_1276:                           ;   in Loop: Header=BB276_685 Depth=1
	s_or_b32 exec_lo, exec_lo, s23
.LBB276_1277:                           ;   in Loop: Header=BB276_685 Depth=1
	s_delay_alu instid0(SALU_CYCLE_1)
	s_or_b32 exec_lo, exec_lo, s22
.LBB276_1278:                           ;   in Loop: Header=BB276_685 Depth=1
	s_delay_alu instid0(SALU_CYCLE_1) | instskip(SKIP_3) | instid1(VALU_DEP_3)
	s_or_b32 exec_lo, exec_lo, s21
	v_dual_lshrrev_b32 v14, 16, v1 :: v_dual_lshrrev_b32 v25, 16, v23
	v_or_b32_e32 v1, v1, v7
	v_dual_lshrrev_b32 v26, 16, v24 :: v_dual_bitop2_b32 v7, v23, v26 bitop3:0x54
	v_cvt_f32_f16_e32 v69, v14
	s_delay_alu instid0(VALU_DEP_4) | instskip(SKIP_4) | instid1(VALU_DEP_3)
	v_cvt_f32_f16_e32 v68, v25
	v_lshrrev_b32_e32 v23, 16, v29
	v_cvt_f32_f16_e32 v25, v1
	v_cvt_f32_f16_e32 v26, v26
	s_wait_loadcnt 0x0
	v_pk_mul_f32 v[68:69], v[22:23], v[68:69] op_sel_hi:[0,1]
	s_delay_alu instid0(VALU_DEP_1) | instskip(SKIP_4) | instid1(VALU_DEP_3)
	v_cvt_pk_f16_f32 v1, v68, v69
	v_or_b32_e32 v14, v24, v28
	v_cvt_f32_f16_e32 v24, v7
	v_or_b32_e32 v7, v29, v27
	v_cvt_f32_f16_e32 v27, v23
	v_pk_mul_f32 v[24:25], v[22:23], v[24:25] op_sel_hi:[0,1]
	s_delay_alu instid0(VALU_DEP_3) | instskip(NEXT) | instid1(VALU_DEP_3)
	v_cvt_f32_f16_e32 v29, v7
	v_pk_mul_f32 v[26:27], v[22:23], v[26:27] op_sel_hi:[0,1]
	s_delay_alu instid0(VALU_DEP_3) | instskip(SKIP_2) | instid1(VALU_DEP_4)
	v_cvt_pk_f16_f32 v7, v24, v25
	v_lshlrev_b32_e32 v24, 16, v1
	v_cvt_f32_f16_e32 v28, v14
	v_cvt_pk_f16_f32 v14, v26, v27
	s_delay_alu instid0(VALU_DEP_4) | instskip(NEXT) | instid1(VALU_DEP_3)
	v_and_b32_e32 v30, 0xffff, v7
	v_pk_mul_f32 v[28:29], v[22:23], v[28:29] op_sel_hi:[0,1]
	v_and_b32_e32 v23, 0xffff0000, v1
	s_delay_alu instid0(VALU_DEP_4) | instskip(SKIP_1) | instid1(VALU_DEP_4)
	v_and_b32_e32 v1, 0xffff0000, v14
	v_lshlrev_b32_e32 v14, 16, v14
	v_cvt_pk_f16_f32 v22, v28, v29
	v_dual_lshrrev_b32 v29, 16, v7 :: v_dual_bitop2_b32 v28, v24, v30 bitop3:0x54
	s_delay_alu instid0(VALU_DEP_2) | instskip(SKIP_1) | instid1(VALU_DEP_3)
	v_lshrrev_b32_e32 v7, 16, v22
	v_and_b32_e32 v22, 0xffff, v22
	v_or_b32_e32 v27, v23, v29
	s_delay_alu instid0(VALU_DEP_3) | instskip(NEXT) | instid1(VALU_DEP_3)
	v_or_b32_e32 v25, v1, v7
	v_or_b32_e32 v26, v14, v22
	s_and_saveexec_b32 s21, vcc_lo
	s_cbranch_execz .LBB276_1280
; %bb.1279:                             ;   in Loop: Header=BB276_685 Depth=1
	v_cmp_gt_i32_e64 s0, s14, v37
	s_delay_alu instid0(VALU_DEP_1) | instskip(SKIP_1) | instid1(VALU_DEP_1)
	v_cndmask_b32_e64 v25, 0, v29, s0
	v_cmp_gt_i32_e64 s0, s34, v44
	v_cndmask_b32_e64 v26, 0, v30, s0
	v_cmp_gt_i32_e64 s0, s14, v43
	s_delay_alu instid0(VALU_DEP_1) | instskip(SKIP_1) | instid1(VALU_DEP_1)
	v_cndmask_b32_e64 v23, 0, v23, s0
	v_cmp_gt_i32_e64 s0, s34, v42
	v_cndmask_b32_e64 v24, 0, v24, s0
	v_cmp_gt_i32_e64 s0, s14, v41
	s_delay_alu instid0(VALU_DEP_4) | instskip(NEXT) | instid1(VALU_DEP_2)
	v_or_b32_e32 v27, v23, v25
	v_dual_cndmask_b32 v7, 0, v7, s0 :: v_dual_bitop2_b32 v28, v24, v26 bitop3:0x54
	v_cmp_gt_i32_e64 s0, s34, v40
	s_delay_alu instid0(VALU_DEP_1) | instskip(SKIP_1) | instid1(VALU_DEP_1)
	v_cndmask_b32_e64 v22, 0, v22, s0
	v_cmp_gt_i32_e64 s0, s14, v39
	v_cndmask_b32_e64 v1, 0, v1, s0
	v_cmp_gt_i32_e64 s0, s34, v38
	s_delay_alu instid0(VALU_DEP_1) | instskip(NEXT) | instid1(VALU_DEP_1)
	v_dual_cndmask_b32 v14, 0, v14, s0 :: v_dual_bitop2_b32 v25, v1, v7 bitop3:0x54
	v_or_b32_e32 v26, v14, v22
.LBB276_1280:                           ;   in Loop: Header=BB276_685 Depth=1
	s_or_b32 exec_lo, exec_lo, s21
	;;#ASMSTART
	v_pk_mul_f16 v1, v51, v27;

	;;#ASMEND
	;;#ASMSTART
	v_pk_mul_f16 v7, v49, v28;

	;;#ASMEND
	;; [unrolled: 4-line block ×4, first 2 shown]
	;;#ASMSTART
	v_pk_add_f16 v1, v1, v7;

	;;#ASMEND
	;;#ASMSTART
	v_pk_add_f16 v1, v1, v14;

	;;#ASMEND
	;;#ASMSTART
	v_pk_add_f16 v1, v1, v22;

	;;#ASMEND
	v_and_b32_e32 v7, 0xffff, v1
	v_lshrrev_b32_e32 v1, 16, v1
	;;#ASMSTART
	v_cvt_f32_f16 v45, v7;
	;;#ASMEND
	v_mov_b32_e32 v7, 0
	;;#ASMSTART
	v_cvt_f32_f16 v46, v1;
	;;#ASMEND
	global_load_b64 v[22:23], v[20:21], off offset:2304
	v_mov_b32_e32 v1, 0
	s_mov_b32 s21, exec_lo
	global_load_b32 v20, v1, s[10:11]
	s_wait_loadcnt 0x1
	v_and_b32_e32 v14, 0xff, v22
	s_wait_xcnt 0x0
	s_delay_alu instid0(VALU_DEP_1)
	v_cmpx_ne_u16_e32 0, v14
	s_cbranch_execz .LBB276_1288
; %bb.1281:                             ;   in Loop: Header=BB276_685 Depth=1
	v_mov_b32_e32 v7, 0x8000
	s_mov_b32 s22, exec_lo
	v_cmpx_ne_u16_e32 0x80, v14
	s_cbranch_execz .LBB276_1287
; %bb.1282:                             ;   in Loop: Header=BB276_685 Depth=1
	v_and_b32_e32 v21, 0x7f, v22
	v_mov_b32_e32 v7, 0x7c01
	s_mov_b32 s23, exec_lo
	s_delay_alu instid0(VALU_DEP_2)
	v_cmpx_ne_u32_e32 0x7f, v21
	s_cbranch_execz .LBB276_1286
; %bb.1283:                             ;   in Loop: Header=BB276_685 Depth=1
	v_dual_lshrrev_b32 v14, 3, v21 :: v_dual_bitop2_b32 v7, 7, v22 bitop3:0x40
	s_mov_b32 s24, exec_lo
	v_cmpx_gt_u32_e32 8, v21
; %bb.1284:                             ;   in Loop: Header=BB276_685 Depth=1
	s_delay_alu instid0(VALU_DEP_2) | instskip(NEXT) | instid1(VALU_DEP_1)
	v_clz_i32_u32_e32 v7, v7
	v_min_u32_e32 v7, 32, v7
	s_delay_alu instid0(VALU_DEP_1) | instskip(NEXT) | instid1(VALU_DEP_1)
	v_subrev_nc_u32_e32 v14, 28, v7
	v_lshlrev_b64_e32 v[24:25], v14, v[22:23]
	s_delay_alu instid0(VALU_DEP_1)
	v_dual_sub_nc_u32 v14, 29, v7 :: v_dual_bitop2_b32 v7, 7, v24 bitop3:0x40
; %bb.1285:                             ;   in Loop: Header=BB276_685 Depth=1
	s_or_b32 exec_lo, exec_lo, s24
	s_delay_alu instid0(VALU_DEP_1) | instskip(NEXT) | instid1(VALU_DEP_2)
	v_dual_lshlrev_b32 v21, 8, v22 :: v_dual_lshlrev_b32 v7, 7, v7
	v_lshl_add_u32 v14, v14, 10, 0x2000
	s_delay_alu instid0(VALU_DEP_2) | instskip(NEXT) | instid1(VALU_DEP_2)
	v_and_b32_e32 v21, 0x8000, v21
	v_and_b32_e32 v14, 0xfc00, v14
	s_delay_alu instid0(VALU_DEP_1)
	v_or3_b32 v7, v21, v14, v7
.LBB276_1286:                           ;   in Loop: Header=BB276_685 Depth=1
	s_or_b32 exec_lo, exec_lo, s23
.LBB276_1287:                           ;   in Loop: Header=BB276_685 Depth=1
	s_delay_alu instid0(SALU_CYCLE_1)
	s_or_b32 exec_lo, exec_lo, s22
.LBB276_1288:                           ;   in Loop: Header=BB276_685 Depth=1
	s_delay_alu instid0(SALU_CYCLE_1) | instskip(SKIP_2) | instid1(VALU_DEP_1)
	s_or_b32 exec_lo, exec_lo, s21
	v_lshrrev_b16 v14, 8, v22
	s_mov_b32 s21, exec_lo
	v_cmpx_ne_u16_e32 0, v14
	s_cbranch_execz .LBB276_1296
; %bb.1289:                             ;   in Loop: Header=BB276_685 Depth=1
	v_bfrev_b32_e32 v1, 1
	s_mov_b32 s22, exec_lo
	v_cmpx_ne_u16_e32 0x80, v14
	s_cbranch_execz .LBB276_1295
; %bb.1290:                             ;   in Loop: Header=BB276_685 Depth=1
	v_and_b32_e32 v21, 0xffff, v14
	v_mov_b32_e32 v1, 0x7c010000
	s_mov_b32 s23, exec_lo
	s_delay_alu instid0(VALU_DEP_2) | instskip(NEXT) | instid1(VALU_DEP_1)
	v_and_b32_e32 v25, 0x7f, v21
	v_cmpx_ne_u32_e32 0x7f, v25
	s_cbranch_execz .LBB276_1294
; %bb.1291:                             ;   in Loop: Header=BB276_685 Depth=1
	v_and_b32_e32 v1, 7, v21
	v_lshrrev_b32_e32 v24, 3, v25
	s_mov_b32 s24, exec_lo
	v_cmpx_gt_u32_e32 8, v25
; %bb.1292:                             ;   in Loop: Header=BB276_685 Depth=1
	s_delay_alu instid0(VALU_DEP_3) | instskip(NEXT) | instid1(VALU_DEP_1)
	v_clz_i32_u32_e32 v1, v1
	v_min_u32_e32 v1, 32, v1
	s_delay_alu instid0(VALU_DEP_1) | instskip(NEXT) | instid1(VALU_DEP_1)
	v_subrev_nc_u32_e32 v24, 28, v1
	v_lshlrev_b64_e32 v[26:27], v24, v[14:15]
	s_delay_alu instid0(VALU_DEP_1)
	v_dual_sub_nc_u32 v24, 29, v1 :: v_dual_bitop2_b32 v1, 7, v26 bitop3:0x40
; %bb.1293:                             ;   in Loop: Header=BB276_685 Depth=1
	s_or_b32 exec_lo, exec_lo, s24
	v_lshlrev_b32_e32 v14, 8, v21
	s_delay_alu instid0(VALU_DEP_2) | instskip(NEXT) | instid1(VALU_DEP_3)
	v_lshl_add_u32 v21, v24, 10, 0x2000
	v_lshlrev_b32_e32 v1, 23, v1
	s_delay_alu instid0(VALU_DEP_2) | instskip(NEXT) | instid1(VALU_DEP_1)
	v_and_or_b32 v14, 0x8000, v14, v21
	v_lshl_or_b32 v1, v14, 16, v1
.LBB276_1294:                           ;   in Loop: Header=BB276_685 Depth=1
	s_or_b32 exec_lo, exec_lo, s23
.LBB276_1295:                           ;   in Loop: Header=BB276_685 Depth=1
	s_delay_alu instid0(SALU_CYCLE_1)
	s_or_b32 exec_lo, exec_lo, s22
.LBB276_1296:                           ;   in Loop: Header=BB276_685 Depth=1
	s_delay_alu instid0(SALU_CYCLE_1) | instskip(SKIP_3) | instid1(VALU_DEP_2)
	s_or_b32 exec_lo, exec_lo, s21
	v_dual_mov_b32 v21, 0 :: v_dual_lshrrev_b32 v14, 16, v22
	v_mov_b32_e32 v24, 0
	s_mov_b32 s21, exec_lo
	v_and_b32_e32 v25, 0xff, v14
	s_delay_alu instid0(VALU_DEP_1)
	v_cmpx_ne_u16_e32 0, v25
	s_cbranch_execz .LBB276_1304
; %bb.1297:                             ;   in Loop: Header=BB276_685 Depth=1
	v_mov_b32_e32 v24, 0x8000
	s_mov_b32 s22, exec_lo
	v_cmpx_ne_u16_e32 0x80, v25
	s_cbranch_execz .LBB276_1303
; %bb.1298:                             ;   in Loop: Header=BB276_685 Depth=1
	v_bfe_u32 v26, v22, 16, 7
	v_mov_b32_e32 v24, 0x7c01
	s_mov_b32 s23, exec_lo
	s_delay_alu instid0(VALU_DEP_2)
	v_cmpx_ne_u32_e32 0x7f, v26
	s_cbranch_execz .LBB276_1302
; %bb.1299:                             ;   in Loop: Header=BB276_685 Depth=1
	v_and_b32_e32 v24, 7, v14
	v_lshrrev_b32_e32 v25, 3, v26
	s_mov_b32 s24, exec_lo
	v_cmpx_gt_u32_e32 8, v26
; %bb.1300:                             ;   in Loop: Header=BB276_685 Depth=1
	s_delay_alu instid0(VALU_DEP_3) | instskip(NEXT) | instid1(VALU_DEP_1)
	v_clz_i32_u32_e32 v24, v24
	v_min_u32_e32 v26, 32, v24
	s_delay_alu instid0(VALU_DEP_1) | instskip(NEXT) | instid1(VALU_DEP_1)
	v_subrev_nc_u32_e32 v24, 28, v26
	v_lshlrev_b64_e32 v[24:25], v24, v[14:15]
	s_delay_alu instid0(VALU_DEP_1)
	v_dual_sub_nc_u32 v25, 29, v26 :: v_dual_bitop2_b32 v24, 7, v24 bitop3:0x40
; %bb.1301:                             ;   in Loop: Header=BB276_685 Depth=1
	s_or_b32 exec_lo, exec_lo, s24
	s_delay_alu instid0(VALU_DEP_1) | instskip(NEXT) | instid1(VALU_DEP_2)
	v_dual_lshlrev_b32 v14, 8, v14 :: v_dual_lshlrev_b32 v24, 7, v24
	v_lshl_add_u32 v25, v25, 10, 0x2000
	s_delay_alu instid0(VALU_DEP_2) | instskip(NEXT) | instid1(VALU_DEP_2)
	v_and_b32_e32 v14, 0x8000, v14
	v_and_b32_e32 v25, 0xfc00, v25
	s_delay_alu instid0(VALU_DEP_1)
	v_or3_b32 v24, v14, v25, v24
.LBB276_1302:                           ;   in Loop: Header=BB276_685 Depth=1
	s_or_b32 exec_lo, exec_lo, s23
.LBB276_1303:                           ;   in Loop: Header=BB276_685 Depth=1
	s_delay_alu instid0(SALU_CYCLE_1)
	s_or_b32 exec_lo, exec_lo, s22
.LBB276_1304:                           ;   in Loop: Header=BB276_685 Depth=1
	s_delay_alu instid0(SALU_CYCLE_1) | instskip(NEXT) | instid1(SALU_CYCLE_1)
	s_or_b32 exec_lo, exec_lo, s21
	s_mov_b32 s21, exec_lo
	v_cmpx_lt_u32_e32 0xffffff, v22
	s_cbranch_execz .LBB276_1312
; %bb.1305:                             ;   in Loop: Header=BB276_685 Depth=1
	v_lshrrev_b32_e32 v14, 24, v22
	v_bfrev_b32_e32 v21, 1
	s_mov_b32 s22, exec_lo
	s_delay_alu instid0(VALU_DEP_2)
	v_cmpx_ne_u32_e32 0x80, v14
	s_cbranch_execz .LBB276_1311
; %bb.1306:                             ;   in Loop: Header=BB276_685 Depth=1
	v_and_b32_e32 v26, 0x7f, v14
	v_mov_b32_e32 v21, 0x7c010000
	s_mov_b32 s23, exec_lo
	s_delay_alu instid0(VALU_DEP_2)
	v_cmpx_ne_u32_e32 0x7f, v26
	s_cbranch_execz .LBB276_1310
; %bb.1307:                             ;   in Loop: Header=BB276_685 Depth=1
	v_and_b32_e32 v21, 7, v14
	v_lshrrev_b32_e32 v25, 3, v26
	s_mov_b32 s24, exec_lo
	v_cmpx_gt_u32_e32 8, v26
; %bb.1308:                             ;   in Loop: Header=BB276_685 Depth=1
	s_delay_alu instid0(VALU_DEP_3) | instskip(NEXT) | instid1(VALU_DEP_1)
	v_clz_i32_u32_e32 v21, v21
	v_min_u32_e32 v21, 32, v21
	s_delay_alu instid0(VALU_DEP_1) | instskip(NEXT) | instid1(VALU_DEP_1)
	v_subrev_nc_u32_e32 v25, 28, v21
	v_lshlrev_b64_e32 v[26:27], v25, v[14:15]
	s_delay_alu instid0(VALU_DEP_1)
	v_dual_sub_nc_u32 v25, 29, v21 :: v_dual_bitop2_b32 v21, 7, v26 bitop3:0x40
; %bb.1309:                             ;   in Loop: Header=BB276_685 Depth=1
	s_or_b32 exec_lo, exec_lo, s24
	s_delay_alu instid0(VALU_DEP_1) | instskip(NEXT) | instid1(VALU_DEP_2)
	v_dual_lshlrev_b32 v14, 8, v14 :: v_dual_lshlrev_b32 v21, 23, v21
	v_lshl_add_u32 v25, v25, 10, 0x2000
	s_delay_alu instid0(VALU_DEP_1) | instskip(NEXT) | instid1(VALU_DEP_1)
	v_and_or_b32 v14, 0x8000, v14, v25
	v_lshl_or_b32 v21, v14, 16, v21
.LBB276_1310:                           ;   in Loop: Header=BB276_685 Depth=1
	s_or_b32 exec_lo, exec_lo, s23
.LBB276_1311:                           ;   in Loop: Header=BB276_685 Depth=1
	s_delay_alu instid0(SALU_CYCLE_1)
	s_or_b32 exec_lo, exec_lo, s22
.LBB276_1312:                           ;   in Loop: Header=BB276_685 Depth=1
	s_delay_alu instid0(SALU_CYCLE_1) | instskip(SKIP_4) | instid1(VALU_DEP_3)
	s_or_b32 exec_lo, exec_lo, s21
	v_and_b32_e32 v27, 0xff, v23
	v_dual_mov_b32 v14, v23 :: v_dual_mov_b32 v26, 0
	v_mov_b32_e32 v25, 0
	s_mov_b32 s21, exec_lo
	v_cmpx_ne_u16_e32 0, v27
	s_cbranch_execz .LBB276_1320
; %bb.1313:                             ;   in Loop: Header=BB276_685 Depth=1
	v_mov_b32_e32 v25, 0x8000
	s_mov_b32 s22, exec_lo
	v_cmpx_ne_u16_e32 0x80, v27
	s_cbranch_execz .LBB276_1319
; %bb.1314:                             ;   in Loop: Header=BB276_685 Depth=1
	v_and_b32_e32 v28, 0x7f, v23
	v_mov_b32_e32 v25, 0x7c01
	s_mov_b32 s23, exec_lo
	s_delay_alu instid0(VALU_DEP_2)
	v_cmpx_ne_u32_e32 0x7f, v28
	s_cbranch_execz .LBB276_1318
; %bb.1315:                             ;   in Loop: Header=BB276_685 Depth=1
	v_dual_lshrrev_b32 v27, 3, v28 :: v_dual_bitop2_b32 v25, 7, v23 bitop3:0x40
	s_mov_b32 s24, exec_lo
	v_cmpx_gt_u32_e32 8, v28
; %bb.1316:                             ;   in Loop: Header=BB276_685 Depth=1
	s_delay_alu instid0(VALU_DEP_2) | instskip(NEXT) | instid1(VALU_DEP_1)
	v_clz_i32_u32_e32 v25, v25
	v_min_u32_e32 v25, 32, v25
	s_delay_alu instid0(VALU_DEP_1) | instskip(NEXT) | instid1(VALU_DEP_1)
	v_subrev_nc_u32_e32 v27, 28, v25
	v_lshlrev_b64_e32 v[28:29], v27, v[14:15]
	s_delay_alu instid0(VALU_DEP_1)
	v_dual_sub_nc_u32 v27, 29, v25 :: v_dual_bitop2_b32 v25, 7, v28 bitop3:0x40
; %bb.1317:                             ;   in Loop: Header=BB276_685 Depth=1
	s_or_b32 exec_lo, exec_lo, s24
	s_delay_alu instid0(VALU_DEP_1) | instskip(NEXT) | instid1(VALU_DEP_2)
	v_dual_lshlrev_b32 v28, 8, v23 :: v_dual_lshlrev_b32 v25, 7, v25
	v_lshl_add_u32 v27, v27, 10, 0x2000
	s_delay_alu instid0(VALU_DEP_2) | instskip(NEXT) | instid1(VALU_DEP_2)
	v_and_b32_e32 v28, 0x8000, v28
	v_and_b32_e32 v27, 0xfc00, v27
	s_delay_alu instid0(VALU_DEP_1)
	v_or3_b32 v25, v28, v27, v25
.LBB276_1318:                           ;   in Loop: Header=BB276_685 Depth=1
	s_or_b32 exec_lo, exec_lo, s23
.LBB276_1319:                           ;   in Loop: Header=BB276_685 Depth=1
	s_delay_alu instid0(SALU_CYCLE_1)
	s_or_b32 exec_lo, exec_lo, s22
.LBB276_1320:                           ;   in Loop: Header=BB276_685 Depth=1
	s_delay_alu instid0(SALU_CYCLE_1) | instskip(SKIP_3) | instid1(VALU_DEP_2)
	s_or_b32 exec_lo, exec_lo, s21
	v_lshrrev_b16 v14, 8, v14
	v_mov_b32_e32 v27, 0
	s_mov_b32 s21, exec_lo
	v_cmpx_ne_u16_e32 0, v14
	s_cbranch_execz .LBB276_1328
; %bb.1321:                             ;   in Loop: Header=BB276_685 Depth=1
	v_bfrev_b32_e32 v27, 1
	s_mov_b32 s22, exec_lo
	v_cmpx_ne_u16_e32 0x80, v14
	s_cbranch_execz .LBB276_1327
; %bb.1322:                             ;   in Loop: Header=BB276_685 Depth=1
	v_and_b32_e32 v28, 0xffff, v14
	v_mov_b32_e32 v27, 0x7c010000
	s_mov_b32 s23, exec_lo
	s_delay_alu instid0(VALU_DEP_2) | instskip(NEXT) | instid1(VALU_DEP_1)
	v_and_b32_e32 v30, 0x7f, v28
	v_cmpx_ne_u32_e32 0x7f, v30
	s_cbranch_execz .LBB276_1326
; %bb.1323:                             ;   in Loop: Header=BB276_685 Depth=1
	v_dual_lshrrev_b32 v29, 3, v30 :: v_dual_bitop2_b32 v27, 7, v28 bitop3:0x40
	s_mov_b32 s24, exec_lo
	v_cmpx_gt_u32_e32 8, v30
; %bb.1324:                             ;   in Loop: Header=BB276_685 Depth=1
	s_delay_alu instid0(VALU_DEP_2) | instskip(NEXT) | instid1(VALU_DEP_1)
	v_clz_i32_u32_e32 v27, v27
	v_min_u32_e32 v27, 32, v27
	s_delay_alu instid0(VALU_DEP_1) | instskip(NEXT) | instid1(VALU_DEP_1)
	v_subrev_nc_u32_e32 v29, 28, v27
	v_lshlrev_b64_e32 v[68:69], v29, v[14:15]
	s_delay_alu instid0(VALU_DEP_1)
	v_dual_sub_nc_u32 v29, 29, v27 :: v_dual_bitop2_b32 v27, 7, v68 bitop3:0x40
; %bb.1325:                             ;   in Loop: Header=BB276_685 Depth=1
	s_or_b32 exec_lo, exec_lo, s24
	s_delay_alu instid0(VALU_DEP_1) | instskip(NEXT) | instid1(VALU_DEP_2)
	v_dual_lshlrev_b32 v14, 8, v28 :: v_dual_lshlrev_b32 v27, 23, v27
	v_lshl_add_u32 v28, v29, 10, 0x2000
	s_delay_alu instid0(VALU_DEP_1) | instskip(NEXT) | instid1(VALU_DEP_1)
	v_and_or_b32 v14, 0x8000, v14, v28
	v_lshl_or_b32 v27, v14, 16, v27
.LBB276_1326:                           ;   in Loop: Header=BB276_685 Depth=1
	s_or_b32 exec_lo, exec_lo, s23
.LBB276_1327:                           ;   in Loop: Header=BB276_685 Depth=1
	s_delay_alu instid0(SALU_CYCLE_1)
	s_or_b32 exec_lo, exec_lo, s22
.LBB276_1328:                           ;   in Loop: Header=BB276_685 Depth=1
	s_delay_alu instid0(SALU_CYCLE_1) | instskip(SKIP_2) | instid1(VALU_DEP_1)
	s_or_b32 exec_lo, exec_lo, s21
	v_lshrrev_b32_e32 v14, 16, v23
	s_mov_b32 s21, exec_lo
	v_and_b32_e32 v28, 0xff, v14
	s_delay_alu instid0(VALU_DEP_1)
	v_cmpx_ne_u16_e32 0, v28
	s_cbranch_execz .LBB276_1336
; %bb.1329:                             ;   in Loop: Header=BB276_685 Depth=1
	v_mov_b32_e32 v26, 0x8000
	s_mov_b32 s22, exec_lo
	v_cmpx_ne_u16_e32 0x80, v28
	s_cbranch_execz .LBB276_1335
; %bb.1330:                             ;   in Loop: Header=BB276_685 Depth=1
	v_bfe_u32 v29, v23, 16, 7
	v_mov_b32_e32 v26, 0x7c01
	s_mov_b32 s23, exec_lo
	s_delay_alu instid0(VALU_DEP_2)
	v_cmpx_ne_u32_e32 0x7f, v29
	s_cbranch_execz .LBB276_1334
; %bb.1331:                             ;   in Loop: Header=BB276_685 Depth=1
	v_dual_lshrrev_b32 v28, 3, v29 :: v_dual_bitop2_b32 v26, 7, v14 bitop3:0x40
	s_mov_b32 s24, exec_lo
	v_cmpx_gt_u32_e32 8, v29
; %bb.1332:                             ;   in Loop: Header=BB276_685 Depth=1
	s_delay_alu instid0(VALU_DEP_2) | instskip(NEXT) | instid1(VALU_DEP_1)
	v_clz_i32_u32_e32 v26, v26
	v_min_u32_e32 v26, 32, v26
	s_delay_alu instid0(VALU_DEP_1) | instskip(NEXT) | instid1(VALU_DEP_1)
	v_subrev_nc_u32_e32 v28, 28, v26
	v_lshlrev_b64_e32 v[68:69], v28, v[14:15]
	s_delay_alu instid0(VALU_DEP_1)
	v_dual_sub_nc_u32 v28, 29, v26 :: v_dual_bitop2_b32 v26, 7, v68 bitop3:0x40
; %bb.1333:                             ;   in Loop: Header=BB276_685 Depth=1
	s_or_b32 exec_lo, exec_lo, s24
	v_lshlrev_b32_e32 v14, 8, v14
	s_delay_alu instid0(VALU_DEP_2) | instskip(NEXT) | instid1(VALU_DEP_3)
	v_lshl_add_u32 v28, v28, 10, 0x2000
	v_lshlrev_b32_e32 v26, 7, v26
	s_delay_alu instid0(VALU_DEP_3) | instskip(NEXT) | instid1(VALU_DEP_3)
	v_and_b32_e32 v14, 0x8000, v14
	v_and_b32_e32 v28, 0xfc00, v28
	s_delay_alu instid0(VALU_DEP_1)
	v_or3_b32 v26, v14, v28, v26
.LBB276_1334:                           ;   in Loop: Header=BB276_685 Depth=1
	s_or_b32 exec_lo, exec_lo, s23
.LBB276_1335:                           ;   in Loop: Header=BB276_685 Depth=1
	s_delay_alu instid0(SALU_CYCLE_1)
	s_or_b32 exec_lo, exec_lo, s22
.LBB276_1336:                           ;   in Loop: Header=BB276_685 Depth=1
	s_delay_alu instid0(SALU_CYCLE_1)
	s_or_b32 exec_lo, exec_lo, s21
	v_cmp_lt_u64_e64 s0, s[4:5], v[22:23]
	v_mov_b32_e32 v22, 0
	s_and_saveexec_b32 s21, s0
	s_cbranch_execz .LBB276_1344
; %bb.1337:                             ;   in Loop: Header=BB276_685 Depth=1
	v_lshrrev_b32_e32 v14, 24, v23
	v_bfrev_b32_e32 v22, 1
	s_mov_b32 s22, exec_lo
	s_delay_alu instid0(VALU_DEP_2)
	v_cmpx_ne_u32_e32 0x80, v14
	s_cbranch_execz .LBB276_1343
; %bb.1338:                             ;   in Loop: Header=BB276_685 Depth=1
	v_and_b32_e32 v28, 0x7f, v14
	v_mov_b32_e32 v22, 0x7c010000
	s_mov_b32 s23, exec_lo
	s_delay_alu instid0(VALU_DEP_2)
	v_cmpx_ne_u32_e32 0x7f, v28
	s_cbranch_execz .LBB276_1342
; %bb.1339:                             ;   in Loop: Header=BB276_685 Depth=1
	v_dual_lshrrev_b32 v23, 3, v28 :: v_dual_bitop2_b32 v22, 7, v14 bitop3:0x40
	s_mov_b32 s24, exec_lo
	v_cmpx_gt_u32_e32 8, v28
; %bb.1340:                             ;   in Loop: Header=BB276_685 Depth=1
	s_delay_alu instid0(VALU_DEP_2) | instskip(NEXT) | instid1(VALU_DEP_1)
	v_clz_i32_u32_e32 v22, v22
	v_min_u32_e32 v28, 32, v22
	s_delay_alu instid0(VALU_DEP_1) | instskip(NEXT) | instid1(VALU_DEP_1)
	v_subrev_nc_u32_e32 v22, 28, v28
	v_lshlrev_b64_e32 v[22:23], v22, v[14:15]
	s_delay_alu instid0(VALU_DEP_1)
	v_dual_sub_nc_u32 v23, 29, v28 :: v_dual_bitop2_b32 v22, 7, v22 bitop3:0x40
; %bb.1341:                             ;   in Loop: Header=BB276_685 Depth=1
	s_or_b32 exec_lo, exec_lo, s24
	v_lshlrev_b32_e32 v14, 8, v14
	s_delay_alu instid0(VALU_DEP_2) | instskip(NEXT) | instid1(VALU_DEP_3)
	v_lshl_add_u32 v23, v23, 10, 0x2000
	v_lshlrev_b32_e32 v22, 23, v22
	s_delay_alu instid0(VALU_DEP_2) | instskip(NEXT) | instid1(VALU_DEP_1)
	v_and_or_b32 v14, 0x8000, v14, v23
	v_lshl_or_b32 v22, v14, 16, v22
.LBB276_1342:                           ;   in Loop: Header=BB276_685 Depth=1
	s_or_b32 exec_lo, exec_lo, s23
.LBB276_1343:                           ;   in Loop: Header=BB276_685 Depth=1
	s_delay_alu instid0(SALU_CYCLE_1)
	s_or_b32 exec_lo, exec_lo, s22
.LBB276_1344:                           ;   in Loop: Header=BB276_685 Depth=1
	s_delay_alu instid0(SALU_CYCLE_1) | instskip(SKIP_3) | instid1(VALU_DEP_3)
	s_or_b32 exec_lo, exec_lo, s21
	v_dual_lshrrev_b32 v14, 16, v1 :: v_dual_bitop2_b32 v1, v1, v7 bitop3:0x54
	v_dual_lshrrev_b32 v23, 16, v21 :: v_dual_bitop2_b32 v7, v21, v24 bitop3:0x54
	v_lshrrev_b32_e32 v24, 16, v22
	v_cvt_f32_f16_e32 v29, v14
	v_dual_lshrrev_b32 v21, 16, v27 :: v_dual_bitop2_b32 v14, v22, v26 bitop3:0x54
	s_delay_alu instid0(VALU_DEP_4)
	v_cvt_f32_f16_e32 v28, v23
	v_cvt_f32_f16_e32 v22, v7
	v_or_b32_e32 v7, v27, v25
	v_cvt_f32_f16_e32 v23, v1
	v_cvt_f32_f16_e32 v25, v21
	s_wait_loadcnt 0x0
	v_pk_mul_f32 v[28:29], v[20:21], v[28:29] op_sel_hi:[0,1]
	v_cvt_f32_f16_e32 v24, v24
	v_cvt_f32_f16_e32 v26, v14
	;; [unrolled: 1-line block ×3, first 2 shown]
	v_pk_mul_f32 v[22:23], v[20:21], v[22:23] op_sel_hi:[0,1]
	v_cvt_pk_f16_f32 v1, v28, v29
	v_pk_mul_f32 v[28:29], v[20:21], v[24:25] op_sel_hi:[0,1]
	s_delay_alu instid0(VALU_DEP_4) | instskip(NEXT) | instid1(VALU_DEP_4)
	v_pk_mul_f32 v[20:21], v[20:21], v[26:27] op_sel_hi:[0,1]
	v_cvt_pk_f16_f32 v7, v22, v23
	s_delay_alu instid0(VALU_DEP_4) | instskip(NEXT) | instid1(VALU_DEP_4)
	v_and_b32_e32 v25, 0xffff0000, v1
	v_cvt_pk_f16_f32 v14, v28, v29
	v_lshlrev_b32_e32 v26, 16, v1
	v_cvt_pk_f16_f32 v1, v20, v21
	v_lshrrev_b32_e32 v27, 16, v7
	v_and_b32_e32 v28, 0xffff, v7
	v_and_b32_e32 v21, 0xffff0000, v14
	s_delay_alu instid0(VALU_DEP_4) | instskip(SKIP_3) | instid1(VALU_DEP_4)
	v_dual_lshlrev_b32 v22, 16, v14 :: v_dual_lshrrev_b32 v23, 16, v1
	v_and_b32_e32 v24, 0xffff, v1
	v_or_b32_e32 v7, v25, v27
	v_or_b32_e32 v20, v26, v28
	;; [unrolled: 1-line block ×3, first 2 shown]
	s_delay_alu instid0(VALU_DEP_4)
	v_or_b32_e32 v14, v22, v24
	s_and_saveexec_b32 s0, vcc_lo
	s_cbranch_execz .LBB276_683
; %bb.1345:                             ;   in Loop: Header=BB276_685 Depth=1
	v_cmp_gt_i32_e32 vcc_lo, s14, v37
	v_cndmask_b32_e32 v1, 0, v27, vcc_lo
	v_cmp_gt_i32_e32 vcc_lo, s34, v44
	v_cndmask_b32_e32 v14, 0, v28, vcc_lo
	;; [unrolled: 2-line block ×4, first 2 shown]
	v_cmp_gt_i32_e32 vcc_lo, s14, v41
	s_delay_alu instid0(VALU_DEP_4) | instskip(NEXT) | instid1(VALU_DEP_3)
	v_or_b32_e32 v7, v7, v1
	v_dual_cndmask_b32 v23, 0, v23, vcc_lo :: v_dual_bitop2_b32 v20, v20, v14 bitop3:0x54
	v_cmp_gt_i32_e32 vcc_lo, s34, v40
	v_cndmask_b32_e32 v24, 0, v24, vcc_lo
	v_cmp_gt_i32_e32 vcc_lo, s14, v39
	v_cndmask_b32_e32 v21, 0, v21, vcc_lo
	v_cmp_gt_i32_e32 vcc_lo, s34, v38
	s_delay_alu instid0(VALU_DEP_2) | instskip(NEXT) | instid1(VALU_DEP_1)
	v_dual_cndmask_b32 v22, 0, v22, vcc_lo :: v_dual_bitop2_b32 v1, v21, v23 bitop3:0x54
	v_or_b32_e32 v14, v22, v24
	s_branch .LBB276_683
.LBB276_1346:
	s_or_b32 exec_lo, exec_lo, s15
.LBB276_1347:
	s_delay_alu instid0(SALU_CYCLE_1)
	s_or_b32 exec_lo, exec_lo, s1
	ds_bpermute_b32 v6, v32, v12
	ds_bpermute_b32 v7, v32, v13
	;; [unrolled: 1-line block ×10, first 2 shown]
	v_and_b32_e32 v1, 28, v113
	v_and_b32_e32 v24, 0x3c3, v0
	s_mov_b32 s0, exec_lo
	s_wait_dscnt 0x0
	s_barrier_signal -1
	s_barrier_wait -1
	v_pk_add_f32 v[6:7], v[12:13], v[6:7]
	v_pk_add_f32 v[14:15], v[10:11], v[14:15]
	;; [unrolled: 1-line block ×4, first 2 shown]
	ds_bpermute_b32 v4, v31, v14
	v_pk_add_f32 v[10:11], v[2:3], v[20:21]
	ds_bpermute_b32 v2, v31, v6
	ds_bpermute_b32 v3, v31, v7
	;; [unrolled: 1-line block ×9, first 2 shown]
	s_wait_dscnt 0x7
	v_pk_add_f32 v[8:9], v[6:7], v[2:3]
	s_wait_dscnt 0x6
	v_pk_add_f32 v[6:7], v[14:15], v[4:5]
	;; [unrolled: 2-line block ×4, first 2 shown]
	v_cmpx_ne_u32_e32 64, v24
	s_xor_b32 s0, exec_lo, s0
	s_delay_alu instid0(SALU_CYCLE_1)
	s_or_saveexec_b32 s0, s0
	s_wait_dscnt 0x0
	v_pk_add_f32 v[10:11], v[10:11], v[12:13]
	v_lshrrev_b32_e32 v13, 2, v113
	v_add_nc_u32_e32 v12, 0xc0, v1
	v_mul_u32_u24_e32 v1, 0x140, v115
	s_xor_b32 exec_lo, exec_lo, s0
	s_cbranch_execz .LBB276_1349
; %bb.1348:
	s_delay_alu instid0(VALU_DEP_1) | instskip(NEXT) | instid1(VALU_DEP_1)
	v_add_nc_u32_e32 v14, v12, v1
	v_add_nc_u32_e32 v15, 0xfffffd80, v14
	;; [unrolled: 1-line block ×11, first 2 shown]
	ds_store_b32 v15, v8
	ds_store_b32 v16, v9
	;; [unrolled: 1-line block ×10, first 2 shown]
.LBB276_1349:
	s_or_b32 exec_lo, exec_lo, s0
	v_lshlrev_b32_e32 v13, 2, v13
	s_mov_b32 s1, exec_lo
	v_cmp_eq_u32_e32 vcc_lo, 0, v33
	s_wait_dscnt 0x0
	s_barrier_signal -1
	v_add3_u32 v1, 0xc0, v1, v13
	s_barrier_wait -1
	v_cmpx_gt_u32_e32 64, v0
	s_cbranch_execz .LBB276_1362
; %bb.1350:
	s_and_saveexec_b32 s0, vcc_lo
	s_cbranch_execnz .LBB276_1380
; %bb.1351:
	s_or_b32 exec_lo, exec_lo, s0
	s_and_saveexec_b32 s0, vcc_lo
	s_cbranch_execnz .LBB276_1381
.LBB276_1352:
	s_or_b32 exec_lo, exec_lo, s0
	s_and_saveexec_b32 s0, vcc_lo
	s_cbranch_execnz .LBB276_1382
.LBB276_1353:
	s_or_b32 exec_lo, exec_lo, s0
	s_and_saveexec_b32 s0, vcc_lo
	s_cbranch_execnz .LBB276_1383
.LBB276_1354:
	s_or_b32 exec_lo, exec_lo, s0
	s_and_saveexec_b32 s0, vcc_lo
	s_cbranch_execnz .LBB276_1384
.LBB276_1355:
	s_or_b32 exec_lo, exec_lo, s0
	s_and_saveexec_b32 s0, vcc_lo
	s_cbranch_execnz .LBB276_1385
.LBB276_1356:
	s_or_b32 exec_lo, exec_lo, s0
	s_and_saveexec_b32 s0, vcc_lo
	s_cbranch_execnz .LBB276_1386
.LBB276_1357:
	s_or_b32 exec_lo, exec_lo, s0
	s_and_saveexec_b32 s0, vcc_lo
	s_cbranch_execnz .LBB276_1387
.LBB276_1358:
	s_or_b32 exec_lo, exec_lo, s0
	s_and_saveexec_b32 s0, vcc_lo
	s_cbranch_execnz .LBB276_1388
.LBB276_1359:
	s_or_b32 exec_lo, exec_lo, s0
	s_and_saveexec_b32 s0, vcc_lo
	s_cbranch_execz .LBB276_1361
.LBB276_1360:
	ds_load_b32 v13, v1 offset:288
	s_wait_dscnt 0x0
	v_add_f32_e32 v11, v11, v13
.LBB276_1361:
	s_or_b32 exec_lo, exec_lo, s0
.LBB276_1362:
	s_delay_alu instid0(SALU_CYCLE_1) | instskip(SKIP_4) | instid1(VALU_DEP_1)
	s_or_b32 exec_lo, exec_lo, s1
	v_and_b32_e32 v13, 0x3e3, v0
	s_mov_b32 s1, exec_lo
	s_barrier_signal -1
	s_barrier_wait -1
	v_cmpx_eq_u32_e32 32, v13
	s_cbranch_execz .LBB276_1364
; %bb.1363:
	ds_store_2addr_b32 v12, v8, v9 offset1:8
	ds_store_2addr_b32 v12, v6, v7 offset0:16 offset1:24
	ds_store_2addr_b32 v12, v4, v5 offset0:32 offset1:40
	;; [unrolled: 1-line block ×4, first 2 shown]
.LBB276_1364:
	s_or_b32 exec_lo, exec_lo, s1
	s_delay_alu instid0(SALU_CYCLE_1)
	s_mov_b32 s1, exec_lo
	s_wait_dscnt 0x0
	s_barrier_signal -1
	s_barrier_wait -1
	v_cmpx_gt_u32_e32 32, v0
	s_cbranch_execz .LBB276_1377
; %bb.1365:
	s_and_saveexec_b32 s0, vcc_lo
	s_cbranch_execnz .LBB276_1389
; %bb.1366:
	s_or_b32 exec_lo, exec_lo, s0
	s_and_saveexec_b32 s0, vcc_lo
	s_cbranch_execnz .LBB276_1390
.LBB276_1367:
	s_or_b32 exec_lo, exec_lo, s0
	s_and_saveexec_b32 s0, vcc_lo
	s_cbranch_execnz .LBB276_1391
.LBB276_1368:
	s_or_b32 exec_lo, exec_lo, s0
	s_and_saveexec_b32 s0, vcc_lo
	s_cbranch_execnz .LBB276_1392
.LBB276_1369:
	s_or_b32 exec_lo, exec_lo, s0
	s_and_saveexec_b32 s0, vcc_lo
	s_cbranch_execnz .LBB276_1393
.LBB276_1370:
	s_or_b32 exec_lo, exec_lo, s0
	s_and_saveexec_b32 s0, vcc_lo
	s_cbranch_execnz .LBB276_1394
.LBB276_1371:
	s_or_b32 exec_lo, exec_lo, s0
	s_and_saveexec_b32 s0, vcc_lo
	s_cbranch_execnz .LBB276_1395
.LBB276_1372:
	s_or_b32 exec_lo, exec_lo, s0
	s_and_saveexec_b32 s0, vcc_lo
	s_cbranch_execnz .LBB276_1396
.LBB276_1373:
	s_or_b32 exec_lo, exec_lo, s0
	s_and_saveexec_b32 s0, vcc_lo
	s_cbranch_execnz .LBB276_1397
.LBB276_1374:
	s_or_b32 exec_lo, exec_lo, s0
	s_and_saveexec_b32 s0, vcc_lo
	s_cbranch_execz .LBB276_1376
.LBB276_1375:
	ds_load_b32 v1, v1 offset:288
	s_wait_dscnt 0x0
	v_add_f32_e32 v11, v11, v1
.LBB276_1376:
	s_or_b32 exec_lo, exec_lo, s0
.LBB276_1377:
	s_delay_alu instid0(SALU_CYCLE_1)
	s_or_b32 exec_lo, exec_lo, s1
	s_mov_b32 s1, 0
	s_barrier_signal -1
	s_barrier_wait -1
	s_mov_b32 s0, exec_lo
	v_cmpx_eq_u32_e32 0, v13
	s_cbranch_execz .LBB276_1379
; %bb.1378:
	s_mul_i32 s0, s33, s7
	s_mul_i32 s2, s7, s16
	;; [unrolled: 1-line block ×3, first 2 shown]
	s_lshr_b32 s6, ttmp7, 16
	s_mul_i32 s4, s0, 0x50
	s_bfe_u32 s0, ttmp6, 0x40014
	s_ashr_i32 s5, s4, 31
	s_add_co_i32 s0, s0, 1
	s_ashr_i32 s3, s2, 31
	s_mul_i32 s0, s6, s0
	s_bfe_u32 s7, ttmp6, 0x40008
	s_lshl_b64 s[4:5], s[4:5], 1
	s_lshl_b64 s[2:3], s[2:3], 1
	s_add_co_i32 s7, s7, s0
	s_cmp_eq_u32 s30, 0
	s_wait_kmcnt 0x0
	s_add_nc_u64 s[4:5], s[8:9], s[4:5]
	s_cselect_b32 s0, s6, s7
	v_lshrrev_b32_e32 v0, 1, v0
	s_add_nc_u64 s[2:3], s[4:5], s[2:3]
	s_mulk_i32 s0, 0xa0
	;;#ASMSTART
	v_cvt_f16_f32 v1, v8;

	;;#ASMEND
	s_add_nc_u64 s[0:1], s[2:3], s[0:1]
	global_store_b16 v0, v1, s[0:1]
	s_wait_xcnt 0x0
	;;#ASMSTART
	v_cvt_f16_f32 v1, v9;

	;;#ASMEND
	global_store_b16 v0, v1, s[0:1] offset:16
	s_wait_xcnt 0x0
	;;#ASMSTART
	v_cvt_f16_f32 v1, v6;

	;;#ASMEND
	global_store_b16 v0, v1, s[0:1] offset:32
	;; [unrolled: 6-line block ×9, first 2 shown]
.LBB276_1379:
	s_sendmsg sendmsg(MSG_DEALLOC_VGPRS)
	s_endpgm
.LBB276_1380:
	ds_load_b32 v13, v1
	s_wait_dscnt 0x0
	v_add_f32_e32 v8, v8, v13
	s_or_b32 exec_lo, exec_lo, s0
	s_and_saveexec_b32 s0, vcc_lo
	s_cbranch_execz .LBB276_1352
.LBB276_1381:
	ds_load_b32 v13, v1 offset:32
	s_wait_dscnt 0x0
	v_add_f32_e32 v9, v9, v13
	s_or_b32 exec_lo, exec_lo, s0
	s_and_saveexec_b32 s0, vcc_lo
	s_cbranch_execz .LBB276_1353
.LBB276_1382:
	ds_load_b32 v13, v1 offset:64
	s_wait_dscnt 0x0
	v_add_f32_e32 v6, v6, v13
	s_or_b32 exec_lo, exec_lo, s0
	s_and_saveexec_b32 s0, vcc_lo
	s_cbranch_execz .LBB276_1354
.LBB276_1383:
	ds_load_b32 v13, v1 offset:96
	s_wait_dscnt 0x0
	v_add_f32_e32 v7, v7, v13
	s_or_b32 exec_lo, exec_lo, s0
	s_and_saveexec_b32 s0, vcc_lo
	s_cbranch_execz .LBB276_1355
.LBB276_1384:
	ds_load_b32 v13, v1 offset:128
	s_wait_dscnt 0x0
	v_add_f32_e32 v4, v4, v13
	s_or_b32 exec_lo, exec_lo, s0
	s_and_saveexec_b32 s0, vcc_lo
	s_cbranch_execz .LBB276_1356
.LBB276_1385:
	ds_load_b32 v13, v1 offset:160
	s_wait_dscnt 0x0
	v_add_f32_e32 v5, v5, v13
	s_or_b32 exec_lo, exec_lo, s0
	s_and_saveexec_b32 s0, vcc_lo
	s_cbranch_execz .LBB276_1357
.LBB276_1386:
	ds_load_b32 v13, v1 offset:192
	s_wait_dscnt 0x0
	v_add_f32_e32 v2, v2, v13
	s_or_b32 exec_lo, exec_lo, s0
	s_and_saveexec_b32 s0, vcc_lo
	s_cbranch_execz .LBB276_1358
.LBB276_1387:
	ds_load_b32 v13, v1 offset:224
	s_wait_dscnt 0x0
	v_add_f32_e32 v3, v3, v13
	s_or_b32 exec_lo, exec_lo, s0
	s_and_saveexec_b32 s0, vcc_lo
	s_cbranch_execz .LBB276_1359
.LBB276_1388:
	ds_load_b32 v13, v1 offset:256
	s_wait_dscnt 0x0
	v_add_f32_e32 v10, v10, v13
	s_or_b32 exec_lo, exec_lo, s0
	s_and_saveexec_b32 s0, vcc_lo
	s_cbranch_execnz .LBB276_1360
	s_branch .LBB276_1361
.LBB276_1389:
	ds_load_b32 v12, v1
	s_wait_dscnt 0x0
	v_add_f32_e32 v8, v8, v12
	s_or_b32 exec_lo, exec_lo, s0
	s_and_saveexec_b32 s0, vcc_lo
	s_cbranch_execz .LBB276_1367
.LBB276_1390:
	ds_load_b32 v12, v1 offset:32
	s_wait_dscnt 0x0
	v_add_f32_e32 v9, v9, v12
	s_or_b32 exec_lo, exec_lo, s0
	s_and_saveexec_b32 s0, vcc_lo
	s_cbranch_execz .LBB276_1368
.LBB276_1391:
	ds_load_b32 v12, v1 offset:64
	s_wait_dscnt 0x0
	v_add_f32_e32 v6, v6, v12
	s_or_b32 exec_lo, exec_lo, s0
	s_and_saveexec_b32 s0, vcc_lo
	s_cbranch_execz .LBB276_1369
.LBB276_1392:
	ds_load_b32 v12, v1 offset:96
	s_wait_dscnt 0x0
	v_add_f32_e32 v7, v7, v12
	s_or_b32 exec_lo, exec_lo, s0
	s_and_saveexec_b32 s0, vcc_lo
	s_cbranch_execz .LBB276_1370
.LBB276_1393:
	ds_load_b32 v12, v1 offset:128
	s_wait_dscnt 0x0
	v_add_f32_e32 v4, v4, v12
	s_or_b32 exec_lo, exec_lo, s0
	s_and_saveexec_b32 s0, vcc_lo
	s_cbranch_execz .LBB276_1371
.LBB276_1394:
	ds_load_b32 v12, v1 offset:160
	s_wait_dscnt 0x0
	v_add_f32_e32 v5, v5, v12
	s_or_b32 exec_lo, exec_lo, s0
	s_and_saveexec_b32 s0, vcc_lo
	s_cbranch_execz .LBB276_1372
.LBB276_1395:
	ds_load_b32 v12, v1 offset:192
	s_wait_dscnt 0x0
	v_add_f32_e32 v2, v2, v12
	s_or_b32 exec_lo, exec_lo, s0
	s_and_saveexec_b32 s0, vcc_lo
	s_cbranch_execz .LBB276_1373
.LBB276_1396:
	ds_load_b32 v12, v1 offset:224
	s_wait_dscnt 0x0
	v_add_f32_e32 v3, v3, v12
	s_or_b32 exec_lo, exec_lo, s0
	s_and_saveexec_b32 s0, vcc_lo
	s_cbranch_execz .LBB276_1374
.LBB276_1397:
	ds_load_b32 v12, v1 offset:256
	s_wait_dscnt 0x0
	v_add_f32_e32 v10, v10, v12
	s_or_b32 exec_lo, exec_lo, s0
	s_and_saveexec_b32 s0, vcc_lo
	s_cbranch_execnz .LBB276_1375
	s_branch .LBB276_1376
	.section	.rodata,"a",@progbits
	.p2align	6, 0x0
	.amdhsa_kernel _ZN4vllm25paged_attention_v1_kernelIthLi80ELi32ELi128ELNS_18Fp8KVCacheDataTypeE1ELb1EEEvPT_PKS2_PKT0_S8_ifPKiSA_iPKfiiiSC_SC_iiiii
		.amdhsa_group_segment_fixed_size 192
		.amdhsa_private_segment_fixed_size 12
		.amdhsa_kernarg_size 384
		.amdhsa_user_sgpr_count 2
		.amdhsa_user_sgpr_dispatch_ptr 0
		.amdhsa_user_sgpr_queue_ptr 0
		.amdhsa_user_sgpr_kernarg_segment_ptr 1
		.amdhsa_user_sgpr_dispatch_id 0
		.amdhsa_user_sgpr_kernarg_preload_length 0
		.amdhsa_user_sgpr_kernarg_preload_offset 0
		.amdhsa_user_sgpr_private_segment_size 0
		.amdhsa_wavefront_size32 1
		.amdhsa_uses_dynamic_stack 0
		.amdhsa_enable_private_segment 1
		.amdhsa_system_sgpr_workgroup_id_x 1
		.amdhsa_system_sgpr_workgroup_id_y 1
		.amdhsa_system_sgpr_workgroup_id_z 1
		.amdhsa_system_sgpr_workgroup_info 0
		.amdhsa_system_vgpr_workitem_id 0
		.amdhsa_next_free_vgpr 128
		.amdhsa_next_free_sgpr 46
		.amdhsa_named_barrier_count 0
		.amdhsa_reserve_vcc 1
		.amdhsa_float_round_mode_32 0
		.amdhsa_float_round_mode_16_64 0
		.amdhsa_float_denorm_mode_32 3
		.amdhsa_float_denorm_mode_16_64 3
		.amdhsa_fp16_overflow 0
		.amdhsa_memory_ordered 1
		.amdhsa_forward_progress 1
		.amdhsa_inst_pref_size 255
		.amdhsa_round_robin_scheduling 0
		.amdhsa_exception_fp_ieee_invalid_op 0
		.amdhsa_exception_fp_denorm_src 0
		.amdhsa_exception_fp_ieee_div_zero 0
		.amdhsa_exception_fp_ieee_overflow 0
		.amdhsa_exception_fp_ieee_underflow 0
		.amdhsa_exception_fp_ieee_inexact 0
		.amdhsa_exception_int_div_zero 0
	.end_amdhsa_kernel
	.section	.text._ZN4vllm25paged_attention_v1_kernelIthLi80ELi32ELi128ELNS_18Fp8KVCacheDataTypeE1ELb1EEEvPT_PKS2_PKT0_S8_ifPKiSA_iPKfiiiSC_SC_iiiii,"axG",@progbits,_ZN4vllm25paged_attention_v1_kernelIthLi80ELi32ELi128ELNS_18Fp8KVCacheDataTypeE1ELb1EEEvPT_PKS2_PKT0_S8_ifPKiSA_iPKfiiiSC_SC_iiiii,comdat
.Lfunc_end276:
	.size	_ZN4vllm25paged_attention_v1_kernelIthLi80ELi32ELi128ELNS_18Fp8KVCacheDataTypeE1ELb1EEEvPT_PKS2_PKT0_S8_ifPKiSA_iPKfiiiSC_SC_iiiii, .Lfunc_end276-_ZN4vllm25paged_attention_v1_kernelIthLi80ELi32ELi128ELNS_18Fp8KVCacheDataTypeE1ELb1EEEvPT_PKS2_PKT0_S8_ifPKiSA_iPKfiiiSC_SC_iiiii
                                        ; -- End function
	.set _ZN4vllm25paged_attention_v1_kernelIthLi80ELi32ELi128ELNS_18Fp8KVCacheDataTypeE1ELb1EEEvPT_PKS2_PKT0_S8_ifPKiSA_iPKfiiiSC_SC_iiiii.num_vgpr, 128
	.set _ZN4vllm25paged_attention_v1_kernelIthLi80ELi32ELi128ELNS_18Fp8KVCacheDataTypeE1ELb1EEEvPT_PKS2_PKT0_S8_ifPKiSA_iPKfiiiSC_SC_iiiii.num_agpr, 0
	.set _ZN4vllm25paged_attention_v1_kernelIthLi80ELi32ELi128ELNS_18Fp8KVCacheDataTypeE1ELb1EEEvPT_PKS2_PKT0_S8_ifPKiSA_iPKfiiiSC_SC_iiiii.numbered_sgpr, 46
	.set _ZN4vllm25paged_attention_v1_kernelIthLi80ELi32ELi128ELNS_18Fp8KVCacheDataTypeE1ELb1EEEvPT_PKS2_PKT0_S8_ifPKiSA_iPKfiiiSC_SC_iiiii.num_named_barrier, 0
	.set _ZN4vllm25paged_attention_v1_kernelIthLi80ELi32ELi128ELNS_18Fp8KVCacheDataTypeE1ELb1EEEvPT_PKS2_PKT0_S8_ifPKiSA_iPKfiiiSC_SC_iiiii.private_seg_size, 12
	.set _ZN4vllm25paged_attention_v1_kernelIthLi80ELi32ELi128ELNS_18Fp8KVCacheDataTypeE1ELb1EEEvPT_PKS2_PKT0_S8_ifPKiSA_iPKfiiiSC_SC_iiiii.uses_vcc, 1
	.set _ZN4vllm25paged_attention_v1_kernelIthLi80ELi32ELi128ELNS_18Fp8KVCacheDataTypeE1ELb1EEEvPT_PKS2_PKT0_S8_ifPKiSA_iPKfiiiSC_SC_iiiii.uses_flat_scratch, 0
	.set _ZN4vllm25paged_attention_v1_kernelIthLi80ELi32ELi128ELNS_18Fp8KVCacheDataTypeE1ELb1EEEvPT_PKS2_PKT0_S8_ifPKiSA_iPKfiiiSC_SC_iiiii.has_dyn_sized_stack, 0
	.set _ZN4vllm25paged_attention_v1_kernelIthLi80ELi32ELi128ELNS_18Fp8KVCacheDataTypeE1ELb1EEEvPT_PKS2_PKT0_S8_ifPKiSA_iPKfiiiSC_SC_iiiii.has_recursion, 0
	.set _ZN4vllm25paged_attention_v1_kernelIthLi80ELi32ELi128ELNS_18Fp8KVCacheDataTypeE1ELb1EEEvPT_PKS2_PKT0_S8_ifPKiSA_iPKfiiiSC_SC_iiiii.has_indirect_call, 0
	.section	.AMDGPU.csdata,"",@progbits
; Kernel info:
; codeLenInByte = 49000
; TotalNumSgprs: 48
; NumVgprs: 128
; ScratchSize: 12
; MemoryBound: 0
; FloatMode: 240
; IeeeMode: 1
; LDSByteSize: 192 bytes/workgroup (compile time only)
; SGPRBlocks: 0
; VGPRBlocks: 7
; NumSGPRsForWavesPerEU: 48
; NumVGPRsForWavesPerEU: 128
; NamedBarCnt: 0
; Occupancy: 8
; WaveLimiterHint : 1
; COMPUTE_PGM_RSRC2:SCRATCH_EN: 1
; COMPUTE_PGM_RSRC2:USER_SGPR: 2
; COMPUTE_PGM_RSRC2:TRAP_HANDLER: 0
; COMPUTE_PGM_RSRC2:TGID_X_EN: 1
; COMPUTE_PGM_RSRC2:TGID_Y_EN: 1
; COMPUTE_PGM_RSRC2:TGID_Z_EN: 1
; COMPUTE_PGM_RSRC2:TIDIG_COMP_CNT: 0
	.text
	.p2align	2                               ; -- Begin function _ZN4vllm22paged_attention_kernelIthLi96ELi32ELi128ELNS_18Fp8KVCacheDataTypeE1ELb1ELi0EEEvPfS2_PT_PKS3_PKT0_S9_ifPKiSB_iPKfiiiSD_SD_iiiii
	.type	_ZN4vllm22paged_attention_kernelIthLi96ELi32ELi128ELNS_18Fp8KVCacheDataTypeE1ELb1ELi0EEEvPfS2_PT_PKS3_PKT0_S9_ifPKiSB_iPKfiiiSD_SD_iiiii,@function
_ZN4vllm22paged_attention_kernelIthLi96ELi32ELi128ELNS_18Fp8KVCacheDataTypeE1ELb1ELi0EEEvPfS2_PT_PKS3_PKT0_S9_ifPKiSB_iPKfiiiSD_SD_iiiii: ; @_ZN4vllm22paged_attention_kernelIthLi96ELi32ELi128ELNS_18Fp8KVCacheDataTypeE1ELb1ELi0EEEvPfS2_PT_PKS3_PKT0_S9_ifPKiSB_iPKfiiiSD_SD_iiiii
; %bb.0:
	s_wait_loadcnt_dscnt 0x0
	s_wait_kmcnt 0x0
	s_clause 0x2f
	scratch_store_b32 off, v40, s32 offset:188
	; meta instruction
	scratch_store_b32 off, v41, s32 offset:184
	; meta instruction
	;; [unrolled: 2-line block ×47, first 2 shown]
	scratch_store_b32 off, v127, s32
	s_bfe_u32 s0, ttmp6, 0x4000c
	s_bfe_u32 s3, ttmp6, 0x40010
	s_add_co_i32 s0, s0, 1
	s_and_b32 s1, ttmp6, 15
	s_mul_i32 s0, ttmp9, s0
	s_and_b32 s4, ttmp7, 0xffff
	s_add_co_i32 s3, s3, 1
	s_add_co_i32 s1, s1, s0
	s_mul_i32 s0, s4, s3
	s_bfe_u32 s3, ttmp6, 0x40004
	s_getreg_b32 s10, hwreg(HW_REG_IB_STS2, 6, 4)
	s_add_co_i32 s3, s3, s0
	s_cmp_eq_u32 s10, 0
	s_mov_b32 s7, 0
	s_cselect_b32 s11, s4, s3
	s_cselect_b32 s0, ttmp9, s1
	s_lshl_b32 s6, s11, 2
	s_clause 0x7
	scratch_store_b32 off, v26, s32 offset:348
	scratch_store_b64 off, v[22:23], s32 offset:192
	scratch_store_b64 off, v[20:21], s32 offset:320
	;; [unrolled: 1-line block ×4, first 2 shown]
	scratch_store_b32 off, v9, s32 offset:328
	scratch_store_b64 off, v[6:7], s32 offset:400
	scratch_store_b64 off, v[0:1], s32 offset:384
	s_wait_xcnt 0x1
	v_add_nc_u64_e32 v[6:7], s[6:7], v[12:13]
	s_wait_xcnt 0x0
	v_mov_b32_e32 v1, 0
	s_clause 0x1
	s_load_u16 s1, s[8:9], 0x12
	s_load_b32 s3, s[8:9], 0x0
	v_dual_mov_b32 v33, v16 :: v_dual_mov_b32 v32, v15
	s_mov_b32 s2, s15
	flat_load_b32 v12, v[6:7]
	s_wait_xcnt 0x0
	v_sub_nc_u32_e32 v6, 0, v8
	global_load_u16 v0, v1, s[8:9] offset:22
	v_max_i32_e32 v6, v8, v6
	s_delay_alu instid0(VALU_DEP_1) | instskip(SKIP_2) | instid1(VALU_DEP_1)
	v_cvt_f32_u32_e32 v7, v6
	s_wait_kmcnt 0x0
	s_cmp_lg_u32 s1, 0
	v_rcp_iflag_f32_e32 v7, v7
	s_cselect_b32 s1, -1, 0
	s_delay_alu instid0(SALU_CYCLE_1) | instskip(SKIP_3) | instid1(TRANS32_DEP_1)
	s_cmp_lg_u32 s1, 0
	s_add_co_ci_u32 s12, s3, 0
	s_abs_i32 s6, s0
	v_nop
	v_mul_f32_e32 v7, 0x4f7ffffe, v7
	v_sub_nc_u32_e32 v9, 0, v6
	s_abs_i32 s1, s12
	s_mov_b32 s3, exec_lo
	s_delay_alu instid0(VALU_DEP_2) | instskip(NEXT) | instid1(VALU_DEP_1)
	v_cvt_u32_f32_e32 v7, v7
	v_mul_lo_u32 v9, v9, v7
	s_delay_alu instid0(VALU_DEP_1) | instskip(NEXT) | instid1(VALU_DEP_1)
	v_mul_hi_u32 v9, v7, v9
	v_add_nc_u32_e32 v7, v7, v9
	s_delay_alu instid0(VALU_DEP_1) | instskip(NEXT) | instid1(VALU_DEP_1)
	v_mul_hi_u32 v7, s1, v7
	v_mul_lo_u32 v9, v7, v6
	s_delay_alu instid0(VALU_DEP_1) | instskip(NEXT) | instid1(VALU_DEP_1)
	v_dual_add_nc_u32 v10, 1, v7 :: v_dual_sub_nc_u32 v9, s1, v9
	v_sub_nc_u32_e32 v11, v9, v6
	v_cmp_ge_u32_e32 vcc_lo, v9, v6
	s_delay_alu instid0(VALU_DEP_3) | instskip(NEXT) | instid1(VALU_DEP_3)
	v_dual_cndmask_b32 v7, v7, v10, vcc_lo :: v_dual_bitop2_b32 v10, s12, v8 bitop3:0x14
	v_cndmask_b32_e32 v9, v9, v11, vcc_lo
	s_delay_alu instid0(VALU_DEP_2) | instskip(NEXT) | instid1(VALU_DEP_2)
	v_dual_add_nc_u32 v11, 1, v7 :: v_dual_ashrrev_i32 v10, 31, v10
	v_cmp_ge_u32_e32 vcc_lo, v9, v6
	s_delay_alu instid0(VALU_DEP_2) | instskip(NEXT) | instid1(VALU_DEP_1)
	v_cndmask_b32_e32 v6, v7, v11, vcc_lo
	v_xor_b32_e32 v6, v6, v10
	s_delay_alu instid0(VALU_DEP_1) | instskip(NEXT) | instid1(VALU_DEP_1)
	v_sub_nc_u32_e32 v7, v6, v10
	v_sub_nc_u32_e32 v6, 0, v7
	s_delay_alu instid0(VALU_DEP_1) | instskip(NEXT) | instid1(VALU_DEP_1)
	v_max_i32_e32 v6, v7, v6
	v_cvt_f32_u32_e32 v9, v6
	v_sub_nc_u32_e32 v10, 0, v6
	s_delay_alu instid0(VALU_DEP_2) | instskip(SKIP_1) | instid1(TRANS32_DEP_1)
	v_rcp_iflag_f32_e32 v9, v9
	v_nop
	v_mul_f32_e32 v9, 0x4f7ffffe, v9
	s_delay_alu instid0(VALU_DEP_1) | instskip(NEXT) | instid1(VALU_DEP_1)
	v_cvt_u32_f32_e32 v9, v9
	v_mul_lo_u32 v10, v10, v9
	s_delay_alu instid0(VALU_DEP_1) | instskip(SKIP_2) | instid1(VALU_DEP_2)
	v_mul_hi_u32 v10, v9, v10
	s_wait_loadcnt 0x0
	v_readfirstlane_b32 s13, v0
	v_add_nc_u32_e32 v0, v9, v10
	v_mov_b32_e32 v9, v1
	scratch_store_b32 off, v9, s32 offset:316 ; 4-byte Folded Spill
	s_wait_xcnt 0x0
	v_cmpx_ne_u64_e32 0, v[32:33]
	s_cbranch_execz .LBB277_2
; %bb.1:
	s_ashr_i32 s1, s0, 31
	s_delay_alu instid0(SALU_CYCLE_1)
	v_lshl_add_u64 v[10:11], s[0:1], 2, v[32:33]
	flat_load_b32 v9, v[10:11]
	s_wait_loadcnt_dscnt 0x0
	scratch_store_b32 off, v9, s32 offset:316 ; 4-byte Folded Spill
.LBB277_2:
	s_wait_xcnt 0x0
	s_or_b32 exec_lo, exec_lo, s3
	v_mul_u64_e32 v[0:1], s[6:7], v[0:1]
	v_and_b32_e32 v13, 0x3ff, v31
	v_ashrrev_i32_e32 v0, 31, v7
	s_ashr_i32 s1, s0, 31
	s_mul_i32 s4, s0, 0x60
	s_mov_b32 s3, exec_lo
	v_cmpx_gt_u32_e32 12, v13
	s_cbranch_execz .LBB277_4
; %bb.3:
	v_mul_lo_u32 v10, v17, s11
	s_ashr_i32 s5, s4, 31
	s_delay_alu instid0(VALU_DEP_1) | instskip(NEXT) | instid1(VALU_DEP_1)
	v_ashrrev_i32_e32 v11, 31, v10
	v_lshl_add_u64 v[2:3], v[10:11], 1, v[2:3]
	v_dual_mov_b32 v11, 0 :: v_dual_lshlrev_b32 v10, 4, v13
	s_delay_alu instid0(VALU_DEP_2) | instskip(NEXT) | instid1(VALU_DEP_1)
	v_lshl_add_u64 v[2:3], s[4:5], 1, v[2:3]
	v_add_nc_u64_e32 v[2:3], v[2:3], v[10:11]
	flat_load_b128 v[20:23], v[2:3]
	s_wait_loadcnt_dscnt 0x0
	ds_store_b128 v10, v[20:23]
.LBB277_4:
	s_wait_xcnt 0x0
	s_or_b32 exec_lo, exec_lo, s3
	s_delay_alu instid0(VALU_DEP_4) | instskip(SKIP_3) | instid1(VALU_DEP_3)
	v_dual_sub_nc_u32 v2, 0, v27 :: v_dual_add_nc_u32 v9, 1, v1
	v_mul_lo_u32 v3, v1, v6
	v_xor_b32_e32 v11, s1, v0
	s_mov_b32 s1, exec_lo
	v_max_i32_e32 v7, v27, v2
	s_delay_alu instid0(VALU_DEP_1) | instskip(NEXT) | instid1(VALU_DEP_4)
	v_cvt_f32_u32_e32 v2, v7
	v_sub_nc_u32_e32 v3, s6, v3
	s_delay_alu instid0(VALU_DEP_2) | instskip(NEXT) | instid1(VALU_DEP_1)
	v_rcp_iflag_f32_e32 v2, v2
	v_cmp_ge_u32_e32 vcc_lo, v3, v6
	s_delay_alu instid0(TRANS32_DEP_1) | instskip(SKIP_4) | instid1(VALU_DEP_2)
	v_mul_f32_e32 v2, 0x4f7ffffe, v2
	scratch_store_b32 off, v7, s32 offset:212 ; 4-byte Folded Spill
	s_wait_xcnt 0x0
	v_dual_sub_nc_u32 v7, 0, v7 :: v_dual_cndmask_b32 v1, v1, v9, vcc_lo
	v_cvt_u32_f32_e32 v2, v2
	v_add_nc_u32_e32 v9, 1, v1
	s_delay_alu instid0(VALU_DEP_2) | instskip(SKIP_2) | instid1(VALU_DEP_1)
	v_mul_lo_u32 v10, v7, v2
	v_sub_nc_u32_e32 v7, v3, v6
	s_wait_dscnt 0x0
	v_dual_cndmask_b32 v3, v3, v7, vcc_lo :: v_dual_add_nc_u32 v7, -1, v12
	s_delay_alu instid0(VALU_DEP_1) | instskip(NEXT) | instid1(VALU_DEP_4)
	v_cmp_ge_u32_e32 vcc_lo, v3, v6
	v_mul_hi_u32 v10, v2, v10
	v_dual_cndmask_b32 v0, v1, v9 :: v_dual_mov_b32 v1, 0
	s_delay_alu instid0(VALU_DEP_4) | instskip(NEXT) | instid1(VALU_DEP_2)
	v_sub_nc_u32_e32 v3, 0, v7
	v_dual_mov_b32 v17, v1 :: v_dual_bitop2_b32 v6, v0, v11 bitop3:0x14
	s_delay_alu instid0(VALU_DEP_2) | instskip(NEXT) | instid1(VALU_DEP_2)
	v_dual_add_nc_u32 v16, v2, v10 :: v_dual_max_i32 v0, v7, v3
                                        ; implicit-def: $vgpr2
                                        ; kill: killed $vgpr2
	v_sub_nc_u32_e32 v6, v6, v11
	scratch_store_b64 off, v[16:17], s32 offset:216 ; 8-byte Folded Spill
	s_wait_storecnt 0x0
	s_barrier_signal -1
	s_barrier_wait -1
	s_wait_xcnt 0x0
	v_cmpx_gt_i32_e32 0, v28
	s_xor_b32 s1, exec_lo, s1
	s_cbranch_execz .LBB277_6
; %bb.5:
	v_mad_u32 v2, v24, v8, v6
                                        ; implicit-def: $vgpr24
	s_delay_alu instid0(VALU_DEP_1) | instskip(NEXT) | instid1(VALU_DEP_1)
	v_mul_lo_u32 v2, v2, v28
                                        ; implicit-def: $vgpr28
	v_sub_nc_u32_e32 v2, 1, v2
	scratch_store_b32 off, v2, s32 offset:228 ; 4-byte Folded Spill
.LBB277_6:
	s_wait_xcnt 0x0
	s_or_saveexec_b32 s1, s1
	scratch_load_b64 v[2:3], off, s32 offset:216 ; 8-byte Folded Reload
	s_wait_loadcnt 0x0
	v_mul_u64_e32 v[2:3], v[0:1], v[2:3]
	v_ashrrev_i32_e32 v1, 31, v7
	v_ashrrev_i32_e32 v2, 31, v27
	scratch_store_b32 off, v2, s32 offset:224 ; 4-byte Folded Spill
	s_wait_xcnt 0x0
	s_xor_b32 exec_lo, exec_lo, s1
	s_cbranch_execz .LBB277_8
; %bb.7:
	v_mad_u32 v2, s12, v24, s0
	s_delay_alu instid0(VALU_DEP_1)
	v_mad_u32 v2, v2, v28, 1
	scratch_store_b32 off, v2, s32 offset:228 ; 4-byte Folded Spill
.LBB277_8:
	s_wait_xcnt 0x0
	s_or_b32 exec_lo, exec_lo, s1
	scratch_load_b32 v11, off, s32 offset:212 ; 4-byte Folded Reload
	v_mul_lo_u32 v14, v14, s11
	v_mul_lo_u32 v16, v6, v19
	s_load_b32 s5, s[8:9], 0x8
	v_mov_b32_e32 v28, 0xff7fffff
	s_ashr_i32 s3, s2, 31
	s_get_pc_i64 s[6:7]
	s_add_nc_u64 s[6:7], s[6:7], llvm.amdgcn.dynlds.offset.table@rel64+4
	s_lshl_b64 s[2:3], s[2:3], 2
	v_lshrrev_b32_e32 v9, 5, v13
	s_add_nc_u64 s[6:7], s[6:7], s[2:3]
	s_delay_alu instid0(VALU_DEP_4) | instskip(SKIP_3) | instid1(VALU_DEP_1)
	v_ashrrev_i32_e32 v15, 31, v14
	scratch_store_b64 off, v[14:15], s32 offset:360 ; 8-byte Folded Spill
	s_wait_loadcnt 0x0
	v_mul_lo_u32 v2, v3, v11
	v_dual_sub_nc_u32 v0, v0, v2 :: v_dual_add_nc_u32 v2, 1, v3
	s_delay_alu instid0(VALU_DEP_1) | instskip(SKIP_1) | instid1(VALU_DEP_3)
	v_dual_add_nc_u32 v7, 31, v12 :: v_dual_sub_nc_u32 v8, v0, v11
	v_cmp_ge_u32_e32 vcc_lo, v0, v11
	v_cndmask_b32_e32 v2, v3, v2, vcc_lo
	scratch_load_b32 v3, off, s32 offset:224 ; 4-byte Folded Reload
	v_cndmask_b32_e32 v0, v0, v8, vcc_lo
	s_delay_alu instid0(VALU_DEP_1) | instskip(SKIP_3) | instid1(VALU_DEP_1)
	v_cmp_ge_u32_e32 vcc_lo, v0, v11
	s_wait_loadcnt 0x0
	v_xor_b32_e32 v1, v1, v3
	v_dual_ashrrev_i32 v3, 31, v7 :: v_dual_add_nc_u32 v8, 1, v2
	v_dual_lshrrev_b32 v3, 27, v3 :: v_dual_bitop2_b32 v10, 31, v13 bitop3:0x40
	s_delay_alu instid0(VALU_DEP_2)
	v_cndmask_b32_e32 v0, v2, v8, vcc_lo
	scratch_store_b32 off, v10, s32 offset:312 ; 4-byte Folded Spill
	s_wait_xcnt 0x0
	v_dual_lshlrev_b32 v10, 2, v10 :: v_dual_add_nc_u32 v2, v7, v3
	scratch_load_b32 v3, off, s32 offset:348 ; 4-byte Folded Reload
	v_xor_b32_e32 v0, v0, v1
	v_dual_lshlrev_b32 v6, 5, v9 :: v_dual_ashrrev_i32 v2, 5, v2
	scratch_store_b64 off, v[6:7], s32 offset:392 ; 8-byte Folded Spill
	v_cmp_lt_i32_e64 s0, v9, v2
	s_wait_loadcnt 0x0
	v_dual_sub_nc_u32 v3, 0, v3 :: v_dual_sub_nc_u32 v0, v0, v1
	v_ashrrev_i32_e32 v17, 31, v16
	scratch_store_b32 off, v3, s32 offset:380 ; 4-byte Folded Spill
	v_sub_nc_u32_e32 v0, v0, v25
	s_clause 0x3
	scratch_store_b64 off, v[16:17], s32 offset:372
	scratch_store_b32 off, v9, s32 offset:344
	scratch_store_b32 off, v2, s32 offset:208
	scratch_store_b32 off, v0, s32 offset:232
	s_wait_xcnt 0x0
	v_lshrrev_b32_e32 v0, 3, v13
	scratch_store_b32 off, v0, s32 offset:368 ; 4-byte Folded Spill
	s_wait_xcnt 0x0
	s_and_saveexec_b32 s3, s0
	s_cbranch_execz .LBB277_784
; %bb.9:
	s_clause 0x2
	scratch_store_b32 off, v13, s32 offset:408
	scratch_load_b32 v0, off, s32 offset:348
	scratch_load_b32 v1, off, s32 offset:380
	s_load_b32 s14, s[6:7], 0x0
	v_mov_b32_e32 v28, 0xff7fffff
	s_mov_b64 s[8:9], 0xffffffffffffff
	s_mov_b32 s15, 0
	s_clause 0x1
	scratch_store_b32 off, v10, s32 offset:412
	scratch_load_b32 v13, off, s32 offset:344
	s_wait_loadcnt 0x1
	v_dual_mov_b32 v25, 0 :: v_dual_max_i32 v1, v0, v1
	s_delay_alu instid0(VALU_DEP_1) | instskip(SKIP_1) | instid1(VALU_DEP_2)
	v_cvt_f32_u32_e32 v0, v1
	s_wait_loadcnt 0x0
	v_dual_mov_b32 v7, v25 :: v_dual_lshlrev_b32 v32, 5, v13
	v_lshl_or_b32 v31, v13, 7, v10
	s_delay_alu instid0(VALU_DEP_3) | instskip(SKIP_1) | instid1(TRANS32_DEP_1)
	v_rcp_iflag_f32_e32 v0, v0
	v_nop
	v_mul_f32_e32 v0, 0x4f7ffffe, v0
	scratch_store_b32 off, v1, s32 offset:244 ; 4-byte Folded Spill
	s_wait_xcnt 0x0
	v_sub_nc_u32_e32 v1, 0, v1
	v_cvt_u32_f32_e32 v2, v0
	s_delay_alu instid0(VALU_DEP_1) | instskip(SKIP_2) | instid1(VALU_DEP_1)
	v_mul_lo_u32 v3, v1, v2
	scratch_load_b64 v[0:1], off, s32 offset:372 ; 8-byte Folded Reload
	v_mul_hi_u32 v3, v2, v3
	v_add_nc_u32_e32 v6, v2, v3
	scratch_store_b64 off, v[6:7], s32 offset:248 ; 8-byte Folded Spill
	s_wait_loadcnt 0x0
	v_add_nc_u64_e32 v[0:1], v[4:5], v[0:1]
	s_clause 0x1
	scratch_load_b32 v4, off, s32 offset:312
	scratch_load_b32 v5, off, s32 offset:316
	s_wait_loadcnt 0x1
	v_lshlrev_b32_e32 v24, 4, v4
	v_sub_nc_u32_e32 v4, v4, v12
	s_wait_loadcnt 0x0
	v_cmp_neq_f32_e32 vcc_lo, 0, v5
	s_delay_alu instid0(VALU_DEP_3) | instskip(NEXT) | instid1(VALU_DEP_3)
	v_add_nc_u64_e32 v[0:1], v[0:1], v[24:25]
	v_add_nc_u32_e32 v4, 1, v4
	s_clause 0x3
	scratch_store_b32 off, v4, s32 offset:340
	scratch_store_b64 off, v[0:1], s32 offset:332
	scratch_load_b32 v0, off, s32 offset:368
	scratch_load_b64 v[4:5], off, s32 offset:352
	s_wait_loadcnt 0x1
	v_and_b32_e32 v24, 0x7c, v0
	scratch_load_b64 v[0:1], off, s32 offset:360 ; 8-byte Folded Reload
	s_wait_loadcnt 0x0
	v_lshl_add_u64 v[0:1], v[0:1], 2, v[24:25]
	s_delay_alu instid0(VALU_DEP_1)
	v_add_nc_u64_e32 v[0:1], v[4:5], v[0:1]
	scratch_store_b64 off, v[0:1], s32 offset:200 ; 8-byte Folded Spill
	s_branch .LBB277_15
.LBB277_10:                             ;   in Loop: Header=BB277_15 Depth=1
	s_or_b32 exec_lo, exec_lo, s19
	v_lshlrev_b32_e32 v3, 8, v24
	v_lshl_add_u32 v2, v2, 10, 0x2000
	v_lshlrev_b32_e32 v0, 23, v0
	s_delay_alu instid0(VALU_DEP_2) | instskip(NEXT) | instid1(VALU_DEP_1)
	v_and_or_b32 v2, 0x8000, v3, v2
	v_lshl_or_b32 v8, v2, 16, v0
.LBB277_11:                             ;   in Loop: Header=BB277_15 Depth=1
	s_or_b32 exec_lo, exec_lo, s18
.LBB277_12:                             ;   in Loop: Header=BB277_15 Depth=1
	s_delay_alu instid0(SALU_CYCLE_1)
	s_or_b32 exec_lo, exec_lo, s17
.LBB277_13:                             ;   in Loop: Header=BB277_15 Depth=1
	s_delay_alu instid0(SALU_CYCLE_1)
	s_or_b32 exec_lo, exec_lo, s16
	ds_load_b128 v[2:5], v25
	v_or_b32_e32 v0, v53, v48
	v_or_b32_e32 v7, v52, v49
	;; [unrolled: 1-line block ×3, first 2 shown]
	s_load_b32 s16, s[6:7], 0x0
	v_fma_mixlo_f16 v24, v33, v53, 0 op_sel:[0,1,0] op_sel_hi:[0,1,0]
	v_fma_mixlo_f16 v26, v33, v52, 0 op_sel:[0,1,0] op_sel_hi:[0,1,0]
	v_or_b32_e32 v16, v8, v16
	s_delay_alu instid0(VALU_DEP_3) | instskip(NEXT) | instid1(VALU_DEP_3)
	v_and_b32_e32 v24, 0xffff, v24
	v_and_b32_e32 v26, 0xffff, v26
	s_wait_dscnt 0x0
	v_and_b32_e32 v28, 0xffff, v2
	v_lshrrev_b32_e32 v2, 16, v2
	v_fma_mixlo_f16 v0, v33, v0, 0 op_sel_hi:[0,1,0]
	v_lshrrev_b32_e32 v29, 16, v3
	v_fma_mixlo_f16 v7, v33, v7, 0 op_sel_hi:[0,1,0]
	v_and_b32_e32 v3, 0xffff, v3
	v_and_b32_e32 v34, 0xffff, v4
	;; [unrolled: 1-line block ×3, first 2 shown]
	v_lshrrev_b32_e32 v4, 16, v4
	v_and_b32_e32 v35, 0xffff, v5
	v_lshrrev_b32_e32 v5, 16, v5
	;;#ASMSTART
	v_cvt_f32_f16 v66, v28;
	;;#ASMEND
	;;#ASMSTART
	v_cvt_f32_f16 v67, v2;
	;;#ASMEND
	;;#ASMSTART
	v_cvt_f32_f16 v68, v0;
	;;#ASMEND
	v_fma_mixlo_f16 v0, v33, v27, 0 op_sel_hi:[0,1,0]
	v_or_b32_e32 v2, v39, v50
	v_and_b32_e32 v7, 0xffff, v7
	;;#ASMSTART
	v_cvt_f32_f16 v69, v24;
	;;#ASMEND
	;;#ASMSTART
	v_cvt_f32_f16 v55, v3;
	;;#ASMEND
	;; [unrolled: 3-line block ×4, first 2 shown]
	v_fma_mixlo_f16 v3, v33, v38, 0 op_sel:[0,1,0] op_sel_hi:[0,1,0]
	v_and_b32_e32 v7, 0xffff, v0
	v_fma_mixlo_f16 v0, v33, v2, 0 op_sel_hi:[0,1,0]
	v_fma_mixlo_f16 v2, v33, v39, 0 op_sel:[0,1,0] op_sel_hi:[0,1,0]
	;;#ASMSTART
	v_cvt_f32_f16 v64, v26;
	;;#ASMEND
	v_and_b32_e32 v3, 0xffff, v3
	;;#ASMSTART
	v_cvt_f32_f16 v51, v34;
	;;#ASMEND
	;;#ASMSTART
	v_cvt_f32_f16 v50, v4;
	;;#ASMEND
	v_and_b32_e32 v2, 0xffff, v2
	;;#ASMSTART
	v_cvt_f32_f16 v53, v7;
	;;#ASMEND
	v_and_b32_e32 v0, 0xffff, v0
	;;#ASMSTART
	v_cvt_f32_f16 v52, v3;
	;;#ASMEND
	;;#ASMSTART
	v_cvt_f32_f16 v39, v35;
	;;#ASMEND
	;;#ASMSTART
	v_cvt_f32_f16 v38, v5;
	;;#ASMEND
	;;#ASMSTART
	v_cvt_f32_f16 v49, v0;
	;;#ASMEND
	;;#ASMSTART
	v_cvt_f32_f16 v48, v2;
	;;#ASMEND
	ds_load_b128 v[2:5], v25 offset:16
	v_or_b32_e32 v0, v71, v70
	v_fma_mixlo_f16 v7, v33, v71, 0 op_sel:[0,1,0] op_sel_hi:[0,1,0]
	s_delay_alu instid0(VALU_DEP_2) | instskip(NEXT) | instid1(VALU_DEP_2)
	v_fma_mixlo_f16 v0, v33, v0, 0 op_sel_hi:[0,1,0]
	v_and_b32_e32 v7, 0xffff, v7
	s_delay_alu instid0(VALU_DEP_2)
	v_and_b32_e32 v0, 0xffff, v0
	s_wait_dscnt 0x0
	v_and_b32_e32 v24, 0xffff, v2
	v_lshrrev_b32_e32 v2, 16, v2
	;;#ASMSTART
	v_cvt_f32_f16 v70, v24;
	;;#ASMEND
	v_lshrrev_b32_e32 v24, 16, v4
	;;#ASMSTART
	v_cvt_f32_f16 v71, v2;
	;;#ASMEND
	;;#ASMSTART
	v_cvt_f32_f16 v80, v0;
	;;#ASMEND
	v_dual_lshrrev_b32 v28, 16, v5 :: v_dual_bitop2_b32 v0, v45, v42 bitop3:0x54
	v_fma_mixlo_f16 v2, v33, v45, 0 op_sel:[0,1,0] op_sel_hi:[0,1,0]
	;;#ASMSTART
	v_cvt_f32_f16 v81, v7;
	;;#ASMEND
	v_lshrrev_b32_e32 v7, 16, v3
	s_delay_alu instid0(VALU_DEP_3)
	v_fma_mixlo_f16 v0, v33, v0, 0 op_sel_hi:[0,1,0]
	v_and_b32_e32 v3, 0xffff, v3
	;;#ASMSTART
	v_cvt_f32_f16 v47, v3;
	;;#ASMEND
	v_and_b32_e32 v3, 0xffff, v2
	v_or_b32_e32 v2, v83, v44
	v_and_b32_e32 v29, 0xffff, v0
	v_or_b32_e32 v0, v61, v43
	v_and_b32_e32 v4, 0xffff, v4
	;;#ASMSTART
	v_cvt_f32_f16 v46, v7;
	;;#ASMEND
	;;#ASMSTART
	v_cvt_f32_f16 v57, v29;
	;;#ASMEND
	;; [unrolled: 3-line block ×3, first 2 shown]
	v_fma_mixlo_f16 v0, v33, v0, 0 op_sel_hi:[0,1,0]
	v_fma_mixlo_f16 v3, v33, v61, 0 op_sel:[0,1,0] op_sel_hi:[0,1,0]
	;;#ASMSTART
	v_cvt_f32_f16 v43, v4;
	;;#ASMEND
	v_pk_mul_f32 v[26:27], v[70:71], v[80:81]
	v_and_b32_e32 v5, 0xffff, v5
	v_and_b32_e32 v4, 0xffff, v0
	v_fma_mixlo_f16 v0, v33, v2, 0 op_sel_hi:[0,1,0]
	v_fma_mixlo_f16 v2, v33, v83, 0 op_sel:[0,1,0] op_sel_hi:[0,1,0]
	v_and_b32_e32 v3, 0xffff, v3
	v_pk_fma_f32 v[26:27], v[66:67], v[68:69], v[26:27]
	;;#ASMSTART
	v_cvt_f32_f16 v42, v24;
	;;#ASMEND
	;;#ASMSTART
	v_cvt_f32_f16 v45, v4;
	;;#ASMEND
	v_and_b32_e32 v2, 0xffff, v2
	v_and_b32_e32 v0, 0xffff, v0
	;;#ASMSTART
	v_cvt_f32_f16 v44, v3;
	;;#ASMEND
	;;#ASMSTART
	v_cvt_f32_f16 v67, v5;
	;;#ASMEND
	;; [unrolled: 3-line block ×5, first 2 shown]
	ds_load_b128 v[2:5], v25 offset:32
	s_wait_dscnt 0x0
	v_and_b32_e32 v0, 0xffff, v2
	;;#ASMSTART
	v_cvt_f32_f16 v28, v0;
	;;#ASMEND
	v_dual_lshrrev_b32 v24, 16, v4 :: v_dual_bitop2_b32 v0, v85, v82 bitop3:0x54
	v_lshrrev_b32_e32 v2, 16, v2
	;;#ASMSTART
	v_cvt_f32_f16 v29, v2;
	;;#ASMEND
	v_lshrrev_b32_e32 v7, 16, v3
	s_delay_alu instid0(VALU_DEP_3) | instskip(SKIP_2) | instid1(VALU_DEP_3)
	v_fma_mixlo_f16 v0, v33, v0, 0 op_sel_hi:[0,1,0]
	v_and_b32_e32 v3, 0xffff, v3
	v_fma_mixlo_f16 v2, v33, v85, 0 op_sel:[0,1,0] op_sel_hi:[0,1,0]
	v_and_b32_e32 v0, 0xffff, v0
	;;#ASMSTART
	v_cvt_f32_f16 v34, v0;
	;;#ASMEND
	s_delay_alu instid0(VALU_DEP_2)
	v_and_b32_e32 v2, 0xffff, v2
	;;#ASMSTART
	v_cvt_f32_f16 v35, v2;
	;;#ASMEND
	v_pk_fma_f32 v[26:27], v[28:29], v[34:35], v[26:27]
	v_dual_lshrrev_b32 v29, 16, v5 :: v_dual_bitop2_b32 v0, v87, v84 bitop3:0x54
	v_and_b32_e32 v28, 0xffff, v4
	v_fma_mixlo_f16 v2, v33, v87, 0 op_sel:[0,1,0] op_sel_hi:[0,1,0]
	;;#ASMSTART
	v_cvt_f32_f16 v75, v3;
	;;#ASMEND
	;;#ASMSTART
	v_cvt_f32_f16 v74, v7;
	;;#ASMEND
	v_fma_mixlo_f16 v0, v33, v0, 0 op_sel_hi:[0,1,0]
	v_and_b32_e32 v34, 0xffff, v5
	v_and_b32_e32 v3, 0xffff, v2
	v_or_b32_e32 v2, v99, v97
	v_fma_mixlo_f16 v7, v33, v99, 0 op_sel:[0,1,0] op_sel_hi:[0,1,0]
	v_and_b32_e32 v4, 0xffff, v0
	v_or_b32_e32 v0, v96, v86
	;;#ASMSTART
	v_cvt_f32_f16 v77, v4;
	;;#ASMEND
	;;#ASMSTART
	v_cvt_f32_f16 v76, v3;
	;;#ASMEND
	;; [unrolled: 3-line block ×3, first 2 shown]
	v_fma_mixlo_f16 v4, v33, v96, 0 op_sel:[0,1,0] op_sel_hi:[0,1,0]
	v_fma_mixlo_f16 v0, v33, v0, 0 op_sel_hi:[0,1,0]
	v_and_b32_e32 v7, 0xffff, v7
	s_delay_alu instid0(VALU_DEP_3) | instskip(NEXT) | instid1(VALU_DEP_3)
	v_and_b32_e32 v4, 0xffff, v4
	v_and_b32_e32 v5, 0xffff, v0
	v_fma_mixlo_f16 v0, v33, v2, 0 op_sel_hi:[0,1,0]
	;;#ASMSTART
	v_cvt_f32_f16 v2, v24;
	;;#ASMEND
	;;#ASMSTART
	v_cvt_f32_f16 v5, v5;
	;;#ASMEND
	;; [unrolled: 3-line block ×4, first 2 shown]
	v_and_b32_e32 v0, 0xffff, v0
	;;#ASMSTART
	v_cvt_f32_f16 v70, v29;
	;;#ASMEND
	;;#ASMSTART
	v_cvt_f32_f16 v81, v0;
	;;#ASMEND
	;; [unrolled: 3-line block ×3, first 2 shown]
	ds_load_b128 v[82:85], v25 offset:48
	s_wait_dscnt 0x0
	v_and_b32_e32 v0, 0xffff, v82
	;;#ASMSTART
	v_cvt_f32_f16 v28, v0;
	;;#ASMEND
	v_or_b32_e32 v0, v101, v98
	v_lshrrev_b32_e32 v7, 16, v82
	;;#ASMSTART
	v_cvt_f32_f16 v29, v7;
	;;#ASMEND
	v_lshrrev_b32_e32 v24, 16, v84
	s_delay_alu instid0(VALU_DEP_3) | instskip(NEXT) | instid1(VALU_DEP_3)
	v_fma_mixlo_f16 v0, v33, v0, 0 op_sel_hi:[0,1,0]
	v_fma_mixlo_f16 v7, v33, v101, 0 op_sel:[0,1,0] op_sel_hi:[0,1,0]
	s_delay_alu instid0(VALU_DEP_2) | instskip(NEXT) | instid1(VALU_DEP_2)
	v_and_b32_e32 v0, 0xffff, v0
	v_and_b32_e32 v7, 0xffff, v7
	;;#ASMSTART
	v_cvt_f32_f16 v34, v0;
	;;#ASMEND
	v_lshrrev_b32_e32 v0, 16, v83
	;;#ASMSTART
	v_cvt_f32_f16 v35, v7;
	;;#ASMEND
	v_and_b32_e32 v7, 0xffff, v83
	;;#ASMSTART
	v_cvt_f32_f16 v107, v7;
	;;#ASMEND
	;;#ASMSTART
	v_cvt_f32_f16 v106, v0;
	;;#ASMEND
	v_or_b32_e32 v0, v103, v100
	v_pk_fma_f32 v[26:27], v[28:29], v[34:35], v[26:27]
	v_fma_mixlo_f16 v7, v33, v103, 0 op_sel:[0,1,0] op_sel_hi:[0,1,0]
	v_and_b32_e32 v28, 0xffff, v84
	v_lshrrev_b32_e32 v29, 16, v85
	v_fma_mixlo_f16 v0, v33, v0, 0 op_sel_hi:[0,1,0]
	v_and_b32_e32 v34, 0xffff, v85
	v_and_b32_e32 v7, 0xffff, v7
	s_delay_alu instid0(VALU_DEP_3)
	v_and_b32_e32 v0, 0xffff, v0
	;;#ASMSTART
	v_cvt_f32_f16 v109, v0;
	;;#ASMEND
	v_or_b32_e32 v0, v113, v102
	;;#ASMSTART
	v_cvt_f32_f16 v108, v7;
	;;#ASMEND
	v_fma_mixlo_f16 v7, v33, v113, 0 op_sel:[0,1,0] op_sel_hi:[0,1,0]
	;;#ASMSTART
	v_cvt_f32_f16 v87, v28;
	;;#ASMEND
	;;#ASMSTART
	v_cvt_f32_f16 v86, v24;
	;;#ASMEND
	v_fma_mixlo_f16 v0, v33, v0, 0 op_sel_hi:[0,1,0]
	s_delay_alu instid0(VALU_DEP_2) | instskip(NEXT) | instid1(VALU_DEP_2)
	v_and_b32_e32 v7, 0xffff, v7
	v_and_b32_e32 v0, 0xffff, v0
	;;#ASMSTART
	v_cvt_f32_f16 v97, v0;
	;;#ASMEND
	v_or_b32_e32 v0, v115, v112
	;;#ASMSTART
	v_cvt_f32_f16 v96, v7;
	;;#ASMEND
	v_fma_mixlo_f16 v7, v33, v115, 0 op_sel:[0,1,0] op_sel_hi:[0,1,0]
	;;#ASMSTART
	v_cvt_f32_f16 v83, v34;
	;;#ASMEND
	;;#ASMSTART
	v_cvt_f32_f16 v82, v29;
	;;#ASMEND
	v_fma_mixlo_f16 v0, v33, v0, 0 op_sel_hi:[0,1,0]
	s_delay_alu instid0(VALU_DEP_2) | instskip(NEXT) | instid1(VALU_DEP_2)
	v_and_b32_e32 v7, 0xffff, v7
	v_and_b32_e32 v0, 0xffff, v0
	;;#ASMSTART
	v_cvt_f32_f16 v85, v0;
	;;#ASMEND
	;;#ASMSTART
	v_cvt_f32_f16 v84, v7;
	;;#ASMEND
	ds_load_b128 v[98:101], v25 offset:64
	s_wait_dscnt 0x0
	v_and_b32_e32 v0, 0xffff, v98
	;;#ASMSTART
	v_cvt_f32_f16 v28, v0;
	;;#ASMEND
	v_or_b32_e32 v0, v117, v94
	v_lshrrev_b32_e32 v7, 16, v98
	;;#ASMSTART
	v_cvt_f32_f16 v29, v7;
	;;#ASMEND
	v_lshrrev_b32_e32 v24, 16, v100
	s_delay_alu instid0(VALU_DEP_3) | instskip(NEXT) | instid1(VALU_DEP_3)
	v_fma_mixlo_f16 v0, v33, v0, 0 op_sel_hi:[0,1,0]
	v_fma_mixlo_f16 v7, v33, v117, 0 op_sel:[0,1,0] op_sel_hi:[0,1,0]
	s_delay_alu instid0(VALU_DEP_2) | instskip(NEXT) | instid1(VALU_DEP_2)
	v_and_b32_e32 v0, 0xffff, v0
	v_and_b32_e32 v7, 0xffff, v7
	;;#ASMSTART
	v_cvt_f32_f16 v34, v0;
	;;#ASMEND
	v_lshrrev_b32_e32 v0, 16, v99
	;;#ASMSTART
	v_cvt_f32_f16 v35, v7;
	;;#ASMEND
	v_and_b32_e32 v7, 0xffff, v99
	;;#ASMSTART
	v_cvt_f32_f16 v95, v7;
	;;#ASMEND
	;;#ASMSTART
	v_cvt_f32_f16 v94, v0;
	;;#ASMEND
	v_or_b32_e32 v0, v119, v114
	v_pk_fma_f32 v[26:27], v[28:29], v[34:35], v[26:27]
	v_fma_mixlo_f16 v7, v33, v119, 0 op_sel:[0,1,0] op_sel_hi:[0,1,0]
	v_and_b32_e32 v28, 0xffff, v100
	v_lshrrev_b32_e32 v29, 16, v101
	v_fma_mixlo_f16 v0, v33, v0, 0 op_sel_hi:[0,1,0]
	v_and_b32_e32 v34, 0xffff, v101
	v_and_b32_e32 v7, 0xffff, v7
	s_delay_alu instid0(VALU_DEP_3)
	v_and_b32_e32 v0, 0xffff, v0
	;;#ASMSTART
	v_cvt_f32_f16 v105, v0;
	;;#ASMEND
	v_or_b32_e32 v0, v41, v116
	;;#ASMSTART
	v_cvt_f32_f16 v104, v7;
	;;#ASMEND
	v_fma_mixlo_f16 v7, v33, v41, 0 op_sel:[0,1,0] op_sel_hi:[0,1,0]
	;;#ASMSTART
	v_cvt_f32_f16 v103, v28;
	;;#ASMEND
	;;#ASMSTART
	v_cvt_f32_f16 v102, v24;
	;;#ASMEND
	v_fma_mixlo_f16 v0, v33, v0, 0 op_sel_hi:[0,1,0]
	s_delay_alu instid0(VALU_DEP_2) | instskip(NEXT) | instid1(VALU_DEP_2)
	v_and_b32_e32 v7, 0xffff, v7
	v_and_b32_e32 v0, 0xffff, v0
	;;#ASMSTART
	v_cvt_f32_f16 v113, v0;
	;;#ASMEND
	v_or_b32_e32 v0, v59, v40
	;;#ASMSTART
	v_cvt_f32_f16 v112, v7;
	;;#ASMEND
	v_fma_mixlo_f16 v7, v33, v59, 0 op_sel:[0,1,0] op_sel_hi:[0,1,0]
	;;#ASMSTART
	v_cvt_f32_f16 v99, v34;
	;;#ASMEND
	;;#ASMSTART
	v_cvt_f32_f16 v98, v29;
	;;#ASMEND
	v_fma_mixlo_f16 v0, v33, v0, 0 op_sel_hi:[0,1,0]
	s_delay_alu instid0(VALU_DEP_2) | instskip(NEXT) | instid1(VALU_DEP_2)
	v_and_b32_e32 v7, 0xffff, v7
	v_and_b32_e32 v0, 0xffff, v0
	;;#ASMSTART
	v_cvt_f32_f16 v101, v0;
	;;#ASMEND
	;;#ASMSTART
	v_cvt_f32_f16 v100, v7;
	;;#ASMEND
	ds_load_b128 v[114:117], v25 offset:80
	s_wait_dscnt 0x0
	v_and_b32_e32 v0, 0xffff, v114
	;;#ASMSTART
	v_cvt_f32_f16 v28, v0;
	;;#ASMEND
	v_or_b32_e32 v0, v60, v118
	v_lshrrev_b32_e32 v7, 16, v114
	;;#ASMSTART
	v_cvt_f32_f16 v29, v7;
	;;#ASMEND
	v_lshrrev_b32_e32 v24, 16, v116
	s_delay_alu instid0(VALU_DEP_3) | instskip(NEXT) | instid1(VALU_DEP_3)
	v_fma_mixlo_f16 v0, v33, v0, 0 op_sel_hi:[0,1,0]
	v_fma_mixlo_f16 v7, v33, v60, 0 op_sel:[0,1,0] op_sel_hi:[0,1,0]
	s_delay_alu instid0(VALU_DEP_2) | instskip(NEXT) | instid1(VALU_DEP_2)
	v_and_b32_e32 v0, 0xffff, v0
	v_and_b32_e32 v7, 0xffff, v7
	;;#ASMSTART
	v_cvt_f32_f16 v34, v0;
	;;#ASMEND
	v_lshrrev_b32_e32 v0, 16, v115
	;;#ASMSTART
	v_cvt_f32_f16 v35, v7;
	;;#ASMEND
	v_and_b32_e32 v7, 0xffff, v115
	;;#ASMSTART
	v_cvt_f32_f16 v61, v7;
	;;#ASMEND
	;;#ASMSTART
	v_cvt_f32_f16 v60, v0;
	;;#ASMEND
	v_or_b32_e32 v0, v72, v73
	v_pk_fma_f32 v[26:27], v[28:29], v[34:35], v[26:27]
	v_fma_mixlo_f16 v7, v33, v72, 0 op_sel:[0,1,0] op_sel_hi:[0,1,0]
	v_and_b32_e32 v28, 0xffff, v116
	v_lshrrev_b32_e32 v29, 16, v117
	v_fma_mixlo_f16 v0, v33, v0, 0 op_sel_hi:[0,1,0]
	v_and_b32_e32 v34, 0xffff, v117
	v_and_b32_e32 v7, 0xffff, v7
	s_delay_alu instid0(VALU_DEP_3)
	v_and_b32_e32 v0, 0xffff, v0
	;;#ASMSTART
	v_cvt_f32_f16 v73, v0;
	;;#ASMEND
	v_or_b32_e32 v0, v91, v90
	;;#ASMSTART
	v_cvt_f32_f16 v72, v7;
	;;#ASMEND
	v_fma_mixlo_f16 v7, v33, v91, 0 op_sel:[0,1,0] op_sel_hi:[0,1,0]
	;;#ASMSTART
	v_cvt_f32_f16 v119, v28;
	;;#ASMEND
	;;#ASMSTART
	v_cvt_f32_f16 v118, v24;
	;;#ASMEND
	v_fma_mixlo_f16 v0, v33, v0, 0 op_sel_hi:[0,1,0]
	s_delay_alu instid0(VALU_DEP_2) | instskip(NEXT) | instid1(VALU_DEP_2)
	v_and_b32_e32 v7, 0xffff, v7
	v_and_b32_e32 v0, 0xffff, v0
	;;#ASMSTART
	v_cvt_f32_f16 v41, v0;
	;;#ASMEND
	v_or_b32_e32 v0, v92, v58
	;;#ASMSTART
	v_cvt_f32_f16 v40, v7;
	;;#ASMEND
	v_fma_mixlo_f16 v7, v33, v92, 0 op_sel:[0,1,0] op_sel_hi:[0,1,0]
	;;#ASMSTART
	v_cvt_f32_f16 v115, v34;
	;;#ASMEND
	;;#ASMSTART
	v_cvt_f32_f16 v114, v29;
	;;#ASMEND
	v_fma_mixlo_f16 v0, v33, v0, 0 op_sel_hi:[0,1,0]
	s_delay_alu instid0(VALU_DEP_2) | instskip(NEXT) | instid1(VALU_DEP_2)
	v_and_b32_e32 v7, 0xffff, v7
	v_and_b32_e32 v0, 0xffff, v0
	;;#ASMSTART
	v_cvt_f32_f16 v117, v0;
	;;#ASMEND
	;;#ASMSTART
	v_cvt_f32_f16 v116, v7;
	;;#ASMEND
	ds_load_b128 v[90:93], v25 offset:96
	s_wait_dscnt 0x0
	v_and_b32_e32 v0, 0xffff, v90
	;;#ASMSTART
	v_cvt_f32_f16 v28, v0;
	;;#ASMEND
	v_or_b32_e32 v0, v63, v1
	v_fma_mixlo_f16 v1, v33, v63, 0 op_sel:[0,1,0] op_sel_hi:[0,1,0]
	v_lshrrev_b32_e32 v7, 16, v90
	;;#ASMSTART
	v_cvt_f32_f16 v29, v7;
	;;#ASMEND
	v_lshrrev_b32_e32 v7, 16, v91
	v_fma_mixlo_f16 v0, v33, v0, 0 op_sel_hi:[0,1,0]
	v_and_b32_e32 v1, 0xffff, v1
	v_and_b32_e32 v24, 0xffff, v91
	v_lshrrev_b32_e32 v34, 16, v93
	v_and_b32_e32 v35, 0xffff, v93
	v_and_b32_e32 v0, 0xffff, v0
	;;#ASMSTART
	v_cvt_f32_f16 v0, v0;
	;;#ASMEND
	;;#ASMSTART
	v_cvt_f32_f16 v1, v1;
	;;#ASMEND
	;; [unrolled: 3-line block ×4, first 2 shown]
	v_or_b32_e32 v7, v62, v37
	v_fma_mixlo_f16 v24, v33, v62, 0 op_sel:[0,1,0] op_sel_hi:[0,1,0]
	v_pk_fma_f32 v[0:1], v[28:29], v[0:1], v[26:27]
	v_pk_mul_f32 v[26:27], v[46:47], v[56:57]
	v_lshrrev_b32_e32 v28, 16, v92
	v_fma_mixlo_f16 v7, v33, v7, 0 op_sel_hi:[0,1,0]
	v_and_b32_e32 v24, 0xffff, v24
	v_and_b32_e32 v29, 0xffff, v92
	v_pk_fma_f32 v[26:27], v[54:55], v[64:65], v[26:27]
	s_delay_alu instid0(VALU_DEP_4)
	v_and_b32_e32 v7, 0xffff, v7
	;;#ASMSTART
	v_cvt_f32_f16 v63, v7;
	;;#ASMEND
	v_or_b32_e32 v7, v121, v120
	;;#ASMSTART
	v_cvt_f32_f16 v62, v24;
	;;#ASMEND
	v_fma_mixlo_f16 v24, v33, v121, 0 op_sel:[0,1,0] op_sel_hi:[0,1,0]
	;;#ASMSTART
	v_cvt_f32_f16 v47, v29;
	;;#ASMEND
	;;#ASMSTART
	v_cvt_f32_f16 v46, v28;
	;;#ASMEND
	v_fma_mixlo_f16 v7, v33, v7, 0 op_sel_hi:[0,1,0]
	v_pk_fma_f32 v[26:27], v[74:75], v[76:77], v[26:27]
	v_and_b32_e32 v24, 0xffff, v24
	s_delay_alu instid0(VALU_DEP_3)
	v_and_b32_e32 v7, 0xffff, v7
	;;#ASMSTART
	v_cvt_f32_f16 v57, v7;
	;;#ASMEND
	v_or_b32_e32 v7, v123, v36
	;;#ASMSTART
	v_cvt_f32_f16 v56, v24;
	;;#ASMEND
	v_fma_mixlo_f16 v24, v33, v123, 0 op_sel:[0,1,0] op_sel_hi:[0,1,0]
	;;#ASMSTART
	v_cvt_f32_f16 v55, v35;
	;;#ASMEND
	;;#ASMSTART
	v_cvt_f32_f16 v54, v34;
	;;#ASMEND
	v_fma_mixlo_f16 v7, v33, v7, 0 op_sel_hi:[0,1,0]
	s_delay_alu instid0(VALU_DEP_2) | instskip(NEXT) | instid1(VALU_DEP_2)
	v_and_b32_e32 v24, 0xffff, v24
	v_and_b32_e32 v7, 0xffff, v7
	;;#ASMSTART
	v_cvt_f32_f16 v65, v7;
	;;#ASMEND
	;;#ASMSTART
	v_cvt_f32_f16 v64, v24;
	;;#ASMEND
	ds_load_b128 v[90:93], v25 offset:112
	s_wait_dscnt 0x0
	v_and_b32_e32 v7, 0xffff, v90
	;;#ASMSTART
	v_cvt_f32_f16 v28, v7;
	;;#ASMEND
	v_dual_lshrrev_b32 v24, 16, v90 :: v_dual_bitop2_b32 v7, v125, v79 bitop3:0x54
	;;#ASMSTART
	v_cvt_f32_f16 v29, v24;
	;;#ASMEND
	s_delay_alu instid0(VALU_DEP_1) | instskip(NEXT) | instid1(VALU_DEP_2)
	v_fma_mixlo_f16 v7, v33, v7, 0 op_sel_hi:[0,1,0]
	v_fma_mixlo_f16 v24, v33, v125, 0 op_sel:[0,1,0] op_sel_hi:[0,1,0]
	s_delay_alu instid0(VALU_DEP_2) | instskip(NEXT) | instid1(VALU_DEP_2)
	v_and_b32_e32 v7, 0xffff, v7
	v_and_b32_e32 v24, 0xffff, v24
	;;#ASMSTART
	v_cvt_f32_f16 v34, v7;
	;;#ASMEND
	v_lshrrev_b32_e32 v7, 16, v91
	;;#ASMSTART
	v_cvt_f32_f16 v35, v24;
	;;#ASMEND
	v_and_b32_e32 v24, 0xffff, v91
	;;#ASMSTART
	v_cvt_f32_f16 v91, v24;
	;;#ASMEND
	;;#ASMSTART
	v_cvt_f32_f16 v90, v7;
	;;#ASMEND
	v_or_b32_e32 v7, v88, v78
	v_pk_fma_f32 v[0:1], v[28:29], v[34:35], v[0:1]
	v_fma_mixlo_f16 v24, v33, v88, 0 op_sel:[0,1,0] op_sel_hi:[0,1,0]
	v_lshrrev_b32_e32 v34, 16, v93
	v_and_b32_e32 v35, 0xffff, v93
	v_fma_mixlo_f16 v7, v33, v7, 0 op_sel_hi:[0,1,0]
	v_lshrrev_b32_e32 v28, 16, v92
	v_and_b32_e32 v24, 0xffff, v24
	v_and_b32_e32 v29, 0xffff, v92
	s_delay_alu instid0(VALU_DEP_4)
	v_and_b32_e32 v7, 0xffff, v7
	;;#ASMSTART
	v_cvt_f32_f16 v93, v7;
	;;#ASMEND
	v_or_b32_e32 v7, v122, v89
	;;#ASMSTART
	v_cvt_f32_f16 v92, v24;
	;;#ASMEND
	v_fma_mixlo_f16 v24, v33, v122, 0 op_sel:[0,1,0] op_sel_hi:[0,1,0]
	;;#ASMSTART
	v_cvt_f32_f16 v79, v29;
	;;#ASMEND
	;;#ASMSTART
	v_cvt_f32_f16 v78, v28;
	;;#ASMEND
	v_fma_mixlo_f16 v7, v33, v7, 0 op_sel_hi:[0,1,0]
	s_delay_alu instid0(VALU_DEP_2) | instskip(NEXT) | instid1(VALU_DEP_2)
	v_and_b32_e32 v24, 0xffff, v24
	v_and_b32_e32 v7, 0xffff, v7
	;;#ASMSTART
	v_cvt_f32_f16 v89, v7;
	;;#ASMEND
	v_or_b32_e32 v7, v124, v111
	;;#ASMSTART
	v_cvt_f32_f16 v88, v24;
	;;#ASMEND
	v_fma_mixlo_f16 v24, v33, v124, 0 op_sel:[0,1,0] op_sel_hi:[0,1,0]
	;;#ASMSTART
	v_cvt_f32_f16 v75, v35;
	;;#ASMEND
	;;#ASMSTART
	v_cvt_f32_f16 v74, v34;
	;;#ASMEND
	v_fma_mixlo_f16 v7, v33, v7, 0 op_sel_hi:[0,1,0]
	s_delay_alu instid0(VALU_DEP_2) | instskip(NEXT) | instid1(VALU_DEP_2)
	v_and_b32_e32 v24, 0xffff, v24
	v_and_b32_e32 v7, 0xffff, v7
	;;#ASMSTART
	v_cvt_f32_f16 v77, v7;
	;;#ASMEND
	;;#ASMSTART
	v_cvt_f32_f16 v76, v24;
	;;#ASMEND
	ds_load_b128 v[120:123], v25 offset:128
	s_wait_dscnt 0x0
	v_and_b32_e32 v7, 0xffff, v120
	;;#ASMSTART
	v_cvt_f32_f16 v28, v7;
	;;#ASMEND
	v_dual_lshrrev_b32 v24, 16, v120 :: v_dual_bitop2_b32 v7, v6, v110 bitop3:0x54
	;;#ASMSTART
	v_cvt_f32_f16 v29, v24;
	;;#ASMEND
	s_delay_alu instid0(VALU_DEP_1) | instskip(NEXT) | instid1(VALU_DEP_2)
	v_fma_mixlo_f16 v7, v33, v7, 0 op_sel_hi:[0,1,0]
	v_fma_mixlo_f16 v24, v33, v6, 0 op_sel:[0,1,0] op_sel_hi:[0,1,0]
	v_fma_mixlo_f16 v6, v33, v126, 0 op_sel:[0,1,0] op_sel_hi:[0,1,0]
	s_delay_alu instid0(VALU_DEP_3) | instskip(NEXT) | instid1(VALU_DEP_3)
	v_and_b32_e32 v7, 0xffff, v7
	v_and_b32_e32 v24, 0xffff, v24
	;;#ASMSTART
	v_cvt_f32_f16 v34, v7;
	;;#ASMEND
	;;#ASMSTART
	v_cvt_f32_f16 v35, v24;
	;;#ASMEND
	v_lshrrev_b32_e32 v7, 16, v121
	v_pk_fma_f32 v[0:1], v[28:29], v[34:35], v[0:1]
	v_pk_fma_f32 v[34:35], v[106:107], v[108:109], v[26:27]
	v_and_b32_e32 v24, 0xffff, v121
	v_lshrrev_b32_e32 v26, 16, v122
	v_and_b32_e32 v27, 0xffff, v122
	v_lshrrev_b32_e32 v28, 16, v123
	v_and_b32_e32 v29, 0xffff, v123
	;;#ASMSTART
	v_cvt_f32_f16 v123, v24;
	;;#ASMEND
	;;#ASMSTART
	v_cvt_f32_f16 v122, v7;
	;;#ASMEND
	v_or_b32_e32 v7, v11, v127
	v_fma_mixlo_f16 v24, v33, v11, 0 op_sel:[0,1,0] op_sel_hi:[0,1,0]
	v_and_b32_e32 v6, 0xffff, v6
	s_delay_alu instid0(VALU_DEP_3) | instskip(NEXT) | instid1(VALU_DEP_3)
	v_fma_mixlo_f16 v7, v33, v7, 0 op_sel_hi:[0,1,0]
	v_and_b32_e32 v24, 0xffff, v24
	s_delay_alu instid0(VALU_DEP_2)
	v_and_b32_e32 v7, 0xffff, v7
	;;#ASMSTART
	v_cvt_f32_f16 v125, v7;
	;;#ASMEND
	v_or_b32_e32 v7, v126, v14
	;;#ASMSTART
	v_cvt_f32_f16 v124, v24;
	;;#ASMEND
	;;#ASMSTART
	v_cvt_f32_f16 v111, v27;
	;;#ASMEND
	;; [unrolled: 3-line block ×3, first 2 shown]
	s_delay_alu instid0(VALU_DEP_1) | instskip(NEXT) | instid1(VALU_DEP_1)
	v_fma_mixlo_f16 v7, v33, v7, 0 op_sel_hi:[0,1,0]
	v_and_b32_e32 v7, 0xffff, v7
	;;#ASMSTART
	v_cvt_f32_f16 v121, v7;
	;;#ASMEND
	;;#ASMSTART
	v_cvt_f32_f16 v120, v6;
	;;#ASMEND
	v_or_b32_e32 v6, v15, v10
	;;#ASMSTART
	v_cvt_f32_f16 v107, v29;
	;;#ASMEND
	v_fma_mixlo_f16 v7, v33, v15, 0 op_sel:[0,1,0] op_sel_hi:[0,1,0]
	;;#ASMSTART
	v_cvt_f32_f16 v106, v28;
	;;#ASMEND
	s_delay_alu instid0(VALU_DEP_2) | instskip(NEXT) | instid1(VALU_DEP_2)
	v_fma_mixlo_f16 v6, v33, v6, 0 op_sel_hi:[0,1,0]
	v_and_b32_e32 v7, 0xffff, v7
	s_delay_alu instid0(VALU_DEP_2)
	v_and_b32_e32 v6, 0xffff, v6
	;;#ASMSTART
	v_cvt_f32_f16 v109, v6;
	;;#ASMEND
	;;#ASMSTART
	v_cvt_f32_f16 v108, v7;
	;;#ASMEND
	ds_load_b128 v[26:29], v25 offset:144
	s_wait_dscnt 0x0
	v_and_b32_e32 v6, 0xffff, v26
	v_lshrrev_b32_e32 v7, 16, v26
	;;#ASMSTART
	v_cvt_f32_f16 v36, v6;
	;;#ASMEND
	;;#ASMSTART
	v_cvt_f32_f16 v37, v7;
	;;#ASMEND
	s_clause 0x1
	scratch_load_b32 v6, off, s32 offset:260 th:TH_LOAD_LU
	scratch_load_b32 v7, off, s32 offset:268 th:TH_LOAD_LU
	v_lshrrev_b32_e32 v24, 16, v27
	v_and_b32_e32 v26, 0xffff, v27
	v_lshrrev_b32_e32 v27, 16, v28
	v_and_b32_e32 v28, 0xffff, v28
	s_wait_loadcnt 0x0
	v_or_b32_e32 v6, v7, v6
	v_fma_mixlo_f16 v7, v33, v7, 0 op_sel:[0,1,0] op_sel_hi:[0,1,0]
	s_delay_alu instid0(VALU_DEP_2) | instskip(NEXT) | instid1(VALU_DEP_2)
	v_fma_mixlo_f16 v6, v33, v6, 0 op_sel_hi:[0,1,0]
	v_and_b32_e32 v7, 0xffff, v7
	s_delay_alu instid0(VALU_DEP_2)
	v_and_b32_e32 v6, 0xffff, v6
	;;#ASMSTART
	v_cvt_f32_f16 v10, v6;
	;;#ASMEND
	;;#ASMSTART
	v_cvt_f32_f16 v11, v7;
	;;#ASMEND
	v_pk_fma_f32 v[0:1], v[36:37], v[10:11], v[0:1]
	v_pk_fma_f32 v[10:11], v[94:95], v[104:105], v[34:35]
	;;#ASMSTART
	v_cvt_f32_f16 v95, v26;
	;;#ASMEND
	;;#ASMSTART
	v_cvt_f32_f16 v94, v24;
	;;#ASMEND
	s_clause 0x1
	scratch_load_b32 v14, off, s32 offset:264 th:TH_LOAD_LU
	scratch_load_b32 v15, off, s32 offset:276 th:TH_LOAD_LU
	v_pk_mul_f32 v[34:35], v[42:43], v[44:45]
	s_delay_alu instid0(VALU_DEP_1) | instskip(SKIP_2) | instid1(VALU_DEP_3)
	v_pk_fma_f32 v[6:7], v[50:51], v[52:53], v[34:35]
	v_lshrrev_b32_e32 v34, 16, v29
	v_and_b32_e32 v29, 0xffff, v29
	v_pk_fma_f32 v[6:7], v[2:3], v[4:5], v[6:7]
	v_fma_mixlo_f16 v3, v33, v20, 0 op_sel:[0,1,0] op_sel_hi:[0,1,0]
	s_delay_alu instid0(VALU_DEP_2) | instskip(NEXT) | instid1(VALU_DEP_1)
	v_pk_fma_f32 v[6:7], v[86:87], v[96:97], v[6:7]
	v_pk_fma_f32 v[6:7], v[102:103], v[112:113], v[6:7]
	s_delay_alu instid0(VALU_DEP_1) | instskip(NEXT) | instid1(VALU_DEP_1)
	v_pk_fma_f32 v[6:7], v[118:119], v[40:41], v[6:7]
	v_pk_fma_f32 v[6:7], v[46:47], v[56:57], v[6:7]
	s_delay_alu instid0(VALU_DEP_1) | instskip(NEXT) | instid1(VALU_DEP_1)
	v_pk_fma_f32 v[6:7], v[78:79], v[88:89], v[6:7]
	v_pk_fma_f32 v[6:7], v[110:111], v[120:121], v[6:7]
	s_wait_loadcnt 0x0
	v_or_b32_e32 v24, v15, v14
	v_fma_mixlo_f16 v26, v33, v15, 0 op_sel:[0,1,0] op_sel_hi:[0,1,0]
	s_delay_alu instid0(VALU_DEP_2) | instskip(NEXT) | instid1(VALU_DEP_2)
	v_fma_mixlo_f16 v24, v33, v24, 0 op_sel_hi:[0,1,0]
	v_and_b32_e32 v26, 0xffff, v26
	s_delay_alu instid0(VALU_DEP_2)
	v_and_b32_e32 v24, 0xffff, v24
	;;#ASMSTART
	v_cvt_f32_f16 v105, v24;
	;;#ASMEND
	;;#ASMSTART
	v_cvt_f32_f16 v104, v26;
	;;#ASMEND
	;; [unrolled: 3-line block ×4, first 2 shown]
	s_clause 0x1
	scratch_load_b32 v14, off, s32 offset:272 th:TH_LOAD_LU
	scratch_load_b32 v15, off, s32 offset:284 th:TH_LOAD_LU
	s_wait_loadcnt 0x0
	v_or_b32_e32 v24, v15, v14
	v_fma_mixlo_f16 v15, v33, v15, 0 op_sel:[0,1,0] op_sel_hi:[0,1,0]
	s_delay_alu instid0(VALU_DEP_2) | instskip(NEXT) | instid1(VALU_DEP_2)
	v_fma_mixlo_f16 v24, v33, v24, 0 op_sel_hi:[0,1,0]
	v_and_b32_e32 v15, 0xffff, v15
	s_delay_alu instid0(VALU_DEP_2)
	v_and_b32_e32 v24, 0xffff, v24
	;;#ASMSTART
	v_cvt_f32_f16 v45, v24;
	;;#ASMEND
	;;#ASMSTART
	v_cvt_f32_f16 v44, v15;
	;;#ASMEND
	;; [unrolled: 3-line block ×4, first 2 shown]
	scratch_load_b32 v14, off, s32 offset:280 th:TH_LOAD_LU ; 4-byte Folded Reload
	v_fma_mixlo_f16 v24, v33, v30, 0 op_sel:[0,1,0] op_sel_hi:[0,1,0]
	v_pk_fma_f32 v[6:7], v[42:43], v[44:45], v[6:7]
	s_delay_alu instid0(VALU_DEP_2) | instskip(SKIP_2) | instid1(VALU_DEP_1)
	v_and_b32_e32 v24, 0xffff, v24
	s_wait_loadcnt 0x0
	v_or_b32_e32 v15, v30, v14
	v_fma_mixlo_f16 v15, v33, v15, 0 op_sel_hi:[0,1,0]
	s_delay_alu instid0(VALU_DEP_1)
	v_and_b32_e32 v15, 0xffff, v15
	;;#ASMSTART
	v_cvt_f32_f16 v53, v15;
	;;#ASMEND
	;;#ASMSTART
	v_cvt_f32_f16 v52, v24;
	;;#ASMEND
	ds_load_b128 v[34:37], v25 offset:160
	s_wait_dscnt 0x0
	v_and_b32_e32 v15, 0xffff, v34
	v_lshrrev_b32_e32 v24, 16, v34
	;;#ASMSTART
	v_cvt_f32_f16 v26, v15;
	;;#ASMEND
	;;#ASMSTART
	v_cvt_f32_f16 v27, v24;
	;;#ASMEND
	scratch_load_b32 v14, off, s32 offset:288 th:TH_LOAD_LU ; 4-byte Folded Reload
	v_and_b32_e32 v5, 0xffff, v35
	v_dual_lshrrev_b32 v4, 16, v35 :: v_dual_lshrrev_b32 v24, 16, v37
	v_and_b32_e32 v30, 0xffff, v37
	s_wait_loadcnt 0x0
	v_or_b32_e32 v15, v9, v14
	v_fma_mixlo_f16 v9, v33, v9, 0 op_sel:[0,1,0] op_sel_hi:[0,1,0]
	s_delay_alu instid0(VALU_DEP_2) | instskip(NEXT) | instid1(VALU_DEP_2)
	v_fma_mixlo_f16 v15, v33, v15, 0 op_sel_hi:[0,1,0]
	v_and_b32_e32 v9, 0xffff, v9
	s_delay_alu instid0(VALU_DEP_2)
	v_and_b32_e32 v15, 0xffff, v15
	;;#ASMSTART
	v_cvt_f32_f16 v28, v15;
	;;#ASMEND
	;;#ASMSTART
	v_cvt_f32_f16 v29, v9;
	;;#ASMEND
	scratch_load_b32 v2, off, s32 offset:292 th:TH_LOAD_LU ; 4-byte Folded Reload
	v_pk_fma_f32 v[0:1], v[26:27], v[28:29], v[0:1]
	v_pk_fma_f32 v[26:27], v[60:61], v[72:73], v[10:11]
	v_and_b32_e32 v15, 0xffff, v36
	v_lshrrev_b32_e32 v9, 16, v36
	s_delay_alu instid0(VALU_DEP_3) | instskip(SKIP_2) | instid1(VALU_DEP_1)
	v_pk_fma_f32 v[26:27], v[58:59], v[62:63], v[26:27]
	s_wait_loadcnt 0x0
	v_or_b32_e32 v2, v20, v2
	v_fma_mixlo_f16 v2, v33, v2, 0 op_sel_hi:[0,1,0]
	s_delay_alu instid0(VALU_DEP_1)
	v_and_b32_e32 v20, 0xffff, v2
	scratch_load_b32 v2, off, s32 offset:296 th:TH_LOAD_LU ; 4-byte Folded Reload
	;;#ASMSTART
	v_cvt_f32_f16 v11, v5;
	;;#ASMEND
	v_and_b32_e32 v5, 0xffff, v3
	;;#ASMSTART
	v_cvt_f32_f16 v10, v4;
	;;#ASMEND
	;;#ASMSTART
	v_cvt_f32_f16 v29, v20;
	;;#ASMEND
	scratch_load_b32 v3, off, s32 offset:300 th:TH_LOAD_LU ; 4-byte Folded Reload
	;;#ASMSTART
	v_cvt_f32_f16 v28, v5;
	;;#ASMEND
	v_fma_mixlo_f16 v4, v33, v19, 0 op_sel:[0,1,0] op_sel_hi:[0,1,0]
	;;#ASMSTART
	v_cvt_f32_f16 v127, v15;
	;;#ASMEND
	;;#ASMSTART
	v_cvt_f32_f16 v126, v9;
	;;#ASMEND
	s_delay_alu instid0(VALU_DEP_1) | instskip(SKIP_2) | instid1(VALU_DEP_1)
	v_and_b32_e32 v4, 0xffff, v4
	s_wait_loadcnt 0x1
	v_or_b32_e32 v2, v19, v2
	v_fma_mixlo_f16 v2, v33, v2, 0 op_sel_hi:[0,1,0]
	s_wait_loadcnt 0x0
	v_or_b32_e32 v3, v22, v3
	s_delay_alu instid0(VALU_DEP_2) | instskip(NEXT) | instid1(VALU_DEP_2)
	v_and_b32_e32 v5, 0xffff, v2
	v_fma_mixlo_f16 v2, v33, v3, 0 op_sel_hi:[0,1,0]
	v_fma_mixlo_f16 v3, v33, v22, 0 op_sel:[0,1,0] op_sel_hi:[0,1,0]
	;;#ASMSTART
	v_cvt_f32_f16 v15, v5;
	;;#ASMEND
	;;#ASMSTART
	v_cvt_f32_f16 v14, v4;
	;;#ASMEND
	;; [unrolled: 3-line block ×3, first 2 shown]
	v_and_b32_e32 v2, 0xffff, v2
	v_and_b32_e32 v3, 0xffff, v3
	;;#ASMSTART
	v_cvt_f32_f16 v60, v24;
	;;#ASMEND
	;;#ASMSTART
	v_cvt_f32_f16 v73, v2;
	;;#ASMEND
	;; [unrolled: 3-line block ×3, first 2 shown]
	ds_load_b128 v[2:5], v25 offset:176
	v_fma_mixlo_f16 v24, v33, v8, 0 op_sel:[0,1,0] op_sel_hi:[0,1,0]
	v_pk_fma_f32 v[6:7], v[126:127], v[14:15], v[6:7]
	s_wait_dscnt 0x0
	v_and_b32_e32 v9, 0xffff, v2
	v_lshrrev_b32_e32 v2, 16, v2
	;;#ASMSTART
	v_cvt_f32_f16 v34, v9;
	;;#ASMEND
	;;#ASMSTART
	v_cvt_f32_f16 v35, v2;
	;;#ASMEND
	scratch_load_b32 v2, off, s32 offset:304 th:TH_LOAD_LU ; 4-byte Folded Reload
	v_fma_mixlo_f16 v9, v33, v17, 0 op_sel:[0,1,0] op_sel_hi:[0,1,0]
	v_lshrrev_b32_e32 v30, 16, v3
	v_and_b32_e32 v14, 0xffff, v5
	s_delay_alu instid0(VALU_DEP_3) | instskip(SKIP_2) | instid1(VALU_DEP_1)
	v_and_b32_e32 v9, 0xffff, v9
	s_wait_loadcnt 0x0
	v_or_b32_e32 v2, v17, v2
	v_fma_mixlo_f16 v2, v33, v2, 0 op_sel_hi:[0,1,0]
	s_delay_alu instid0(VALU_DEP_1)
	v_and_b32_e32 v2, 0xffff, v2
	;;#ASMSTART
	v_cvt_f32_f16 v36, v2;
	;;#ASMEND
	;;#ASMSTART
	v_cvt_f32_f16 v37, v9;
	;;#ASMEND
	s_clause 0x1
	scratch_load_b32 v2, off, s32 offset:340
	scratch_load_b32 v9, off, s32 offset:308 th:TH_LOAD_LU
	v_pk_fma_f32 v[0:1], v[34:35], v[36:37], v[0:1]
	v_pk_mul_f32 v[34:35], v[66:67], v[68:69]
	s_wait_loadcnt 0x1
	v_add_nc_u32_e32 v2, v2, v32
	s_delay_alu instid0(VALU_DEP_1)
	v_cvt_f32_i32_e32 v20, v2
	s_wait_loadcnt 0x0
	v_or_b32_e32 v9, v18, v9
	v_or_b32_e32 v2, v21, v23
	v_fma_mixlo_f16 v23, v33, v16, 0 op_sel_hi:[0,1,0]
	v_and_b32_e32 v16, 0xffff, v3
	v_fma_mixlo_f16 v18, v33, v18, 0 op_sel:[0,1,0] op_sel_hi:[0,1,0]
	v_fma_mixlo_f16 v19, v33, v9, 0 op_sel_hi:[0,1,0]
	v_pk_fma_f32 v[8:9], v[38:39], v[48:49], v[34:35]
	v_fma_mixlo_f16 v22, v33, v2, 0 op_sel_hi:[0,1,0]
	v_pk_fma_f32 v[2:3], v[90:91], v[92:93], v[26:27]
	v_and_b32_e32 v18, 0xffff, v18
	v_and_b32_e32 v19, 0xffff, v19
	v_pk_fma_f32 v[8:9], v[70:71], v[80:81], v[8:9]
	;;#ASMSTART
	v_cvt_f32_f16 v17, v16;
	;;#ASMEND
	v_pk_fma_f32 v[2:3], v[122:123], v[124:125], v[2:3]
	;;#ASMSTART
	v_cvt_f32_f16 v16, v30;
	;;#ASMEND
	;;#ASMSTART
	v_cvt_f32_f16 v19, v19;
	;;#ASMEND
	v_pk_fma_f32 v[8:9], v[82:83], v[84:85], v[8:9]
	;;#ASMSTART
	v_cvt_f32_f16 v18, v18;
	;;#ASMEND
	v_pk_fma_f32 v[2:3], v[94:95], v[104:105], v[2:3]
	v_fma_mixlo_f16 v21, v33, v21, 0 op_sel:[0,1,0] op_sel_hi:[0,1,0]
	s_delay_alu instid0(VALU_DEP_3) | instskip(NEXT) | instid1(VALU_DEP_3)
	v_pk_fma_f32 v[8:9], v[98:99], v[100:101], v[8:9]
	v_pk_fma_f32 v[2:3], v[10:11], v[28:29], v[2:3]
	v_and_b32_e32 v10, 0xffff, v4
	v_lshrrev_b32_e32 v4, 16, v4
	s_delay_alu instid0(VALU_DEP_4)
	v_pk_fma_f32 v[8:9], v[114:115], v[116:117], v[8:9]
	;;#ASMSTART
	v_cvt_f32_f16 v11, v10;
	;;#ASMEND
	v_pk_fma_f32 v[2:3], v[16:17], v[18:19], v[2:3]
	;;#ASMSTART
	v_cvt_f32_f16 v10, v4;
	;;#ASMEND
	v_add_f32_e32 v4, v0, v1
	v_pk_fma_f32 v[8:9], v[54:55], v[64:65], v[8:9]
	v_and_b32_e32 v16, 0xffff, v22
	v_and_b32_e32 v17, 0xffff, v21
	;;#ASMSTART
	v_cvt_f32_f16 v1, v16;
	;;#ASMEND
	v_add_f32_e32 v3, v4, v3
	v_pk_fma_f32 v[8:9], v[74:75], v[76:77], v[8:9]
	;;#ASMSTART
	v_cvt_f32_f16 v0, v17;
	;;#ASMEND
	v_pk_fma_f32 v[0:1], v[10:11], v[0:1], v[6:7]
	s_delay_alu instid0(VALU_DEP_3) | instskip(NEXT) | instid1(VALU_DEP_3)
	v_dual_lshrrev_b32 v6, 16, v5 :: v_dual_add_f32 v2, v2, v3
	v_pk_fma_f32 v[8:9], v[106:107], v[108:109], v[8:9]
	;;#ASMSTART
	v_cvt_f32_f16 v3, v14;
	;;#ASMEND
	v_and_b32_e32 v7, 0xffff, v23
	s_delay_alu instid0(VALU_DEP_3) | instskip(NEXT) | instid1(VALU_DEP_3)
	v_add_f32_e32 v1, v2, v1
	v_pk_fma_f32 v[4:5], v[50:51], v[52:53], v[8:9]
	;;#ASMSTART
	v_cvt_f32_f16 v2, v6;
	;;#ASMEND
	v_and_b32_e32 v8, 0xffff, v24
	;;#ASMSTART
	v_cvt_f32_f16 v7, v7;
	;;#ASMEND
	;;#ASMSTART
	v_cvt_f32_f16 v6, v8;
	;;#ASMEND
	v_pk_fma_f32 v[4:5], v[60:61], v[72:73], v[4:5]
	v_add_f32_e32 v0, v0, v1
	s_clause 0x1
	scratch_load_b32 v1, off, s32 offset:316
	scratch_load_b32 v28, off, s32 offset:256 th:TH_LOAD_LU
	v_pk_fma_f32 v[2:3], v[2:3], v[6:7], v[4:5]
	s_delay_alu instid0(VALU_DEP_1)
	v_add_f32_e32 v0, v0, v3
	scratch_load_b32 v3, off, s32 offset:328 ; 4-byte Folded Reload
	v_add_f32_e32 v0, v2, v0
	scratch_load_b32 v2, off, s32 offset:312 ; 4-byte Folded Reload
	s_wait_loadcnt 0x3
	v_mul_f32_e32 v1, v1, v20
	s_delay_alu instid0(VALU_DEP_1) | instskip(SKIP_1) | instid1(VALU_DEP_1)
	v_cndmask_b32_e32 v1, 0, v1, vcc_lo
	s_wait_loadcnt 0x1
	v_fmac_f32_e32 v1, v3, v0
	v_max_num_f32_e32 v0, v28, v28
	s_wait_loadcnt 0x0
	s_delay_alu instid0(VALU_DEP_1) | instskip(NEXT) | instid1(VALU_DEP_1)
	v_dual_add_nc_u32 v2, v2, v32 :: v_dual_max_num_f32 v0, v0, v1
	v_cmp_lt_i32_e64 s1, v2, v12
	s_wait_kmcnt 0x0
	s_delay_alu instid0(VALU_DEP_1) | instskip(NEXT) | instid1(VALU_DEP_3)
	v_dual_add_nc_u32 v2, s16, v31 :: v_dual_cndmask_b32 v1, 0, v1, s1
	v_cndmask_b32_e64 v28, v28, v0, s1
	ds_store_b32 v2, v1
.LBB277_14:                             ;   in Loop: Header=BB277_15 Depth=1
	s_wait_xcnt 0x0
	s_or_b32 exec_lo, exec_lo, s2
	scratch_load_b32 v0, off, s32 offset:208 ; 4-byte Folded Reload
	v_add_nc_u32_e32 v13, 4, v13
	v_add_nc_u32_e32 v32, 0x80, v32
	;; [unrolled: 1-line block ×3, first 2 shown]
	s_wait_loadcnt 0x0
	s_delay_alu instid0(VALU_DEP_3)
	v_cmp_ge_i32_e64 s1, v13, v0
	scratch_load_b64 v[0:1], off, s32 offset:200 ; 8-byte Folded Reload
	s_or_b32 s15, s1, s15
	s_wait_loadcnt 0x0
	v_add_nc_u64_e32 v[0:1], 16, v[0:1]
	scratch_store_b64 off, v[0:1], s32 offset:200 ; 8-byte Folded Spill
	s_wait_xcnt 0x0
	s_and_not1_b32 exec_lo, exec_lo, s15
	s_cbranch_execz .LBB277_783
.LBB277_15:                             ; =>This Inner Loop Header: Depth=1
	s_clause 0x1
	scratch_load_b64 v[0:1], off, s32 offset:216
	scratch_load_b32 v4, off, s32 offset:212
	v_mov_b32_e32 v33, v25
	s_wait_loadcnt 0x1
	s_delay_alu instid0(VALU_DEP_1) | instskip(SKIP_1) | instid1(VALU_DEP_1)
	v_mul_u64_e32 v[0:1], v[32:33], v[0:1]
	s_wait_loadcnt 0x0
	v_mul_lo_u32 v0, v1, v4
	s_delay_alu instid0(VALU_DEP_1) | instskip(NEXT) | instid1(VALU_DEP_1)
	v_dual_sub_nc_u32 v0, v32, v0 :: v_dual_add_nc_u32 v2, 1, v1
	v_sub_nc_u32_e32 v3, v0, v4
	v_cmp_ge_u32_e64 s1, v0, v4
	s_delay_alu instid0(VALU_DEP_1) | instskip(NEXT) | instid1(VALU_DEP_1)
	v_dual_cndmask_b32 v1, v1, v2, s1 :: v_dual_cndmask_b32 v0, v0, v3, s1
	v_add_nc_u32_e32 v2, 1, v1
	s_delay_alu instid0(VALU_DEP_2)
	v_cmp_ge_u32_e64 s1, v0, v4
	scratch_load_b32 v4, off, s32 offset:244 ; 4-byte Folded Reload
	v_cndmask_b32_e64 v0, v1, v2, s1
	scratch_load_b32 v1, off, s32 offset:224 ; 4-byte Folded Reload
	s_wait_loadcnt 0x0
	v_xor_b32_e32 v0, v0, v1
	s_delay_alu instid0(VALU_DEP_1) | instskip(SKIP_3) | instid1(VALU_DEP_1)
	v_sub_nc_u32_e32 v2, v0, v1
	scratch_load_b32 v0, off, s32 offset:228 ; 4-byte Folded Reload
	s_wait_loadcnt 0x0
	v_add_nc_u32_e32 v3, v2, v0
	v_sub_nc_u32_e32 v0, 0, v3
	s_delay_alu instid0(VALU_DEP_1) | instskip(SKIP_3) | instid1(VALU_DEP_1)
	v_max_i32_e32 v24, v3, v0
	scratch_load_b64 v[0:1], off, s32 offset:248 ; 8-byte Folded Reload
	s_wait_loadcnt 0x0
	v_mul_u64_e32 v[0:1], v[24:25], v[0:1]
	v_mul_lo_u32 v0, v1, v4
	s_delay_alu instid0(VALU_DEP_1) | instskip(NEXT) | instid1(VALU_DEP_1)
	v_dual_sub_nc_u32 v0, v24, v0 :: v_dual_ashrrev_i32 v3, 31, v3
	v_sub_nc_u32_e32 v1, v0, v4
	v_cmp_ge_u32_e64 s1, v0, v4
	s_delay_alu instid0(VALU_DEP_1) | instskip(NEXT) | instid1(VALU_DEP_1)
	v_cndmask_b32_e64 v0, v0, v1, s1
	v_sub_nc_u32_e32 v1, v0, v4
	v_cmp_ge_u32_e64 s1, v0, v4
	s_delay_alu instid0(VALU_DEP_1) | instskip(NEXT) | instid1(VALU_DEP_1)
	v_cndmask_b32_e64 v0, v0, v1, s1
	v_xor_b32_e32 v0, v0, v3
	s_delay_alu instid0(VALU_DEP_1) | instskip(NEXT) | instid1(VALU_DEP_1)
	v_sub_nc_u32_e32 v0, v0, v3
	v_cmp_ne_u32_e64 s1, 0, v0
	scratch_load_b32 v0, off, s32 offset:232 ; 4-byte Folded Reload
	s_wait_loadcnt 0x0
	v_cmp_le_i32_e64 s2, v2, v0
	s_and_b32 s1, s1, s2
	s_wait_xcnt 0x0
	s_and_saveexec_b32 s2, s1
	s_delay_alu instid0(SALU_CYCLE_1)
	s_xor_b32 s1, exec_lo, s2
	s_cbranch_execz .LBB277_17
; %bb.16:                               ;   in Loop: Header=BB277_15 Depth=1
	s_wait_kmcnt 0x0
	v_dual_mov_b32 v1, 0xff7fffff :: v_dual_add_nc_u32 v0, s14, v31
	ds_store_b32 v0, v1
.LBB277_17:                             ;   in Loop: Header=BB277_15 Depth=1
	s_and_not1_saveexec_b32 s2, s1
	s_cbranch_execz .LBB277_14
; %bb.18:                               ;   in Loop: Header=BB277_15 Depth=1
	scratch_load_b64 v[0:1], off, s32 offset:200 ; 8-byte Folded Reload
	v_dual_mov_b32 v53, 0 :: v_dual_mov_b32 v48, 0
	s_mov_b32 s16, exec_lo
	s_wait_loadcnt 0x0
	flat_load_b32 v0, v[0:1]
	s_clause 0x1
	scratch_load_b64 v[2:3], off, s32 offset:236
	scratch_load_b64 v[4:5], off, s32 offset:332
	s_wait_loadcnt_dscnt 0x0
	v_mad_nc_i64_i32 v[2:3], v0, v2, v[4:5]
	flat_load_b64 v[4:5], v[2:3]
	scratch_load_b64 v[0:1], off, s32 offset:320 ; 8-byte Folded Reload
	s_wait_loadcnt 0x0
	flat_load_b32 v33, v[0:1]
	s_wait_dscnt 0x1
	s_wait_xcnt 0x0
	v_and_b32_e32 v0, 0xff, v4
	s_delay_alu instid0(VALU_DEP_1)
	v_cmpx_ne_u16_e32 0, v0
	s_cbranch_execz .LBB277_26
; %bb.19:                               ;   in Loop: Header=BB277_15 Depth=1
	v_mov_b32_e32 v48, 0x8000
	s_mov_b32 s17, exec_lo
	v_cmpx_ne_u16_e32 0x80, v0
	s_cbranch_execz .LBB277_25
; %bb.20:                               ;   in Loop: Header=BB277_15 Depth=1
	v_and_b32_e32 v6, 0x7f, v4
	v_mov_b32_e32 v48, 0x7c01
	s_mov_b32 s18, exec_lo
	s_delay_alu instid0(VALU_DEP_2)
	v_cmpx_ne_u32_e32 0x7f, v6
	s_cbranch_execz .LBB277_24
; %bb.21:                               ;   in Loop: Header=BB277_15 Depth=1
	v_dual_lshrrev_b32 v1, 3, v6 :: v_dual_bitop2_b32 v0, 7, v4 bitop3:0x40
	s_mov_b32 s19, exec_lo
	v_cmpx_gt_u32_e32 8, v6
; %bb.22:                               ;   in Loop: Header=BB277_15 Depth=1
	s_delay_alu instid0(VALU_DEP_2) | instskip(NEXT) | instid1(VALU_DEP_1)
	v_clz_i32_u32_e32 v0, v0
	v_min_u32_e32 v6, 32, v0
	s_delay_alu instid0(VALU_DEP_1) | instskip(NEXT) | instid1(VALU_DEP_1)
	v_subrev_nc_u32_e32 v0, 28, v6
	v_lshlrev_b64_e32 v[0:1], v0, v[4:5]
	s_delay_alu instid0(VALU_DEP_1)
	v_dual_sub_nc_u32 v1, 29, v6 :: v_dual_bitop2_b32 v0, 7, v0 bitop3:0x40
; %bb.23:                               ;   in Loop: Header=BB277_15 Depth=1
	s_or_b32 exec_lo, exec_lo, s19
	v_lshlrev_b32_e32 v6, 8, v4
	s_delay_alu instid0(VALU_DEP_2) | instskip(NEXT) | instid1(VALU_DEP_3)
	v_lshl_add_u32 v1, v1, 10, 0x2000
	v_lshlrev_b32_e32 v0, 7, v0
	s_delay_alu instid0(VALU_DEP_3) | instskip(NEXT) | instid1(VALU_DEP_3)
	v_and_b32_e32 v6, 0x8000, v6
	v_and_b32_e32 v1, 0xfc00, v1
	s_delay_alu instid0(VALU_DEP_1)
	v_or3_b32 v48, v6, v1, v0
.LBB277_24:                             ;   in Loop: Header=BB277_15 Depth=1
	s_or_b32 exec_lo, exec_lo, s18
.LBB277_25:                             ;   in Loop: Header=BB277_15 Depth=1
	s_delay_alu instid0(SALU_CYCLE_1)
	s_or_b32 exec_lo, exec_lo, s17
.LBB277_26:                             ;   in Loop: Header=BB277_15 Depth=1
	s_delay_alu instid0(SALU_CYCLE_1) | instskip(SKIP_2) | instid1(VALU_DEP_1)
	s_or_b32 exec_lo, exec_lo, s16
	v_lshrrev_b16 v24, 8, v4
	s_mov_b32 s16, exec_lo
	v_cmpx_ne_u16_e32 0, v24
	s_cbranch_execz .LBB277_34
; %bb.27:                               ;   in Loop: Header=BB277_15 Depth=1
	v_bfrev_b32_e32 v53, 1
	s_mov_b32 s17, exec_lo
	v_cmpx_ne_u16_e32 0x80, v24
	s_cbranch_execz .LBB277_33
; %bb.28:                               ;   in Loop: Header=BB277_15 Depth=1
	v_and_b32_e32 v0, 0xffff, v24
	v_mov_b32_e32 v53, 0x7c010000
	s_mov_b32 s18, exec_lo
	s_delay_alu instid0(VALU_DEP_2) | instskip(NEXT) | instid1(VALU_DEP_1)
	v_and_b32_e32 v7, 0x7f, v0
	v_cmpx_ne_u32_e32 0x7f, v7
	s_cbranch_execz .LBB277_32
; %bb.29:                               ;   in Loop: Header=BB277_15 Depth=1
	v_dual_lshrrev_b32 v6, 3, v7 :: v_dual_bitop2_b32 v1, 7, v0 bitop3:0x40
	s_mov_b32 s19, exec_lo
	v_cmpx_gt_u32_e32 8, v7
; %bb.30:                               ;   in Loop: Header=BB277_15 Depth=1
	s_delay_alu instid0(VALU_DEP_2) | instskip(NEXT) | instid1(VALU_DEP_1)
	v_clz_i32_u32_e32 v1, v1
	v_min_u32_e32 v1, 32, v1
	s_delay_alu instid0(VALU_DEP_1) | instskip(NEXT) | instid1(VALU_DEP_1)
	v_subrev_nc_u32_e32 v6, 28, v1
	v_lshlrev_b64_e32 v[8:9], v6, v[24:25]
	s_delay_alu instid0(VALU_DEP_1)
	v_dual_sub_nc_u32 v6, 29, v1 :: v_dual_bitop2_b32 v1, 7, v8 bitop3:0x40
; %bb.31:                               ;   in Loop: Header=BB277_15 Depth=1
	s_or_b32 exec_lo, exec_lo, s19
	s_delay_alu instid0(VALU_DEP_1) | instskip(NEXT) | instid1(VALU_DEP_2)
	v_dual_lshlrev_b32 v0, 8, v0 :: v_dual_lshlrev_b32 v1, 23, v1
	v_lshl_add_u32 v6, v6, 10, 0x2000
	s_delay_alu instid0(VALU_DEP_1) | instskip(NEXT) | instid1(VALU_DEP_1)
	v_and_or_b32 v0, 0x8000, v0, v6
	v_lshl_or_b32 v53, v0, 16, v1
.LBB277_32:                             ;   in Loop: Header=BB277_15 Depth=1
	s_or_b32 exec_lo, exec_lo, s18
.LBB277_33:                             ;   in Loop: Header=BB277_15 Depth=1
	s_delay_alu instid0(SALU_CYCLE_1)
	s_or_b32 exec_lo, exec_lo, s17
.LBB277_34:                             ;   in Loop: Header=BB277_15 Depth=1
	s_delay_alu instid0(SALU_CYCLE_1) | instskip(SKIP_3) | instid1(VALU_DEP_2)
	s_or_b32 exec_lo, exec_lo, s16
	v_dual_lshrrev_b32 v0, 16, v4 :: v_dual_mov_b32 v52, 0
	v_mov_b32_e32 v49, 0
	s_mov_b32 s16, exec_lo
	v_and_b32_e32 v1, 0xff, v0
	s_delay_alu instid0(VALU_DEP_1)
	v_cmpx_ne_u16_e32 0, v1
	s_cbranch_execz .LBB277_42
; %bb.35:                               ;   in Loop: Header=BB277_15 Depth=1
	v_mov_b32_e32 v49, 0x8000
	s_mov_b32 s17, exec_lo
	v_cmpx_ne_u16_e32 0x80, v1
	s_cbranch_execz .LBB277_41
; %bb.36:                               ;   in Loop: Header=BB277_15 Depth=1
	v_bfe_u32 v7, v4, 16, 7
	v_mov_b32_e32 v49, 0x7c01
	s_mov_b32 s18, exec_lo
	s_delay_alu instid0(VALU_DEP_2)
	v_cmpx_ne_u32_e32 0x7f, v7
	s_cbranch_execz .LBB277_40
; %bb.37:                               ;   in Loop: Header=BB277_15 Depth=1
	v_dual_lshrrev_b32 v6, 3, v7 :: v_dual_bitop2_b32 v1, 7, v0 bitop3:0x40
	s_mov_b32 s19, exec_lo
	v_cmpx_gt_u32_e32 8, v7
; %bb.38:                               ;   in Loop: Header=BB277_15 Depth=1
	s_delay_alu instid0(VALU_DEP_2) | instskip(NEXT) | instid1(VALU_DEP_1)
	v_clz_i32_u32_e32 v1, v1
	v_min_u32_e32 v1, 32, v1
	s_delay_alu instid0(VALU_DEP_1) | instskip(NEXT) | instid1(VALU_DEP_1)
	v_subrev_nc_u32_e32 v6, 28, v1
	v_lshlrev_b64_e32 v[8:9], v6, v[0:1]
	s_delay_alu instid0(VALU_DEP_1)
	v_dual_sub_nc_u32 v6, 29, v1 :: v_dual_bitop2_b32 v1, 7, v8 bitop3:0x40
; %bb.39:                               ;   in Loop: Header=BB277_15 Depth=1
	s_or_b32 exec_lo, exec_lo, s19
	s_delay_alu instid0(VALU_DEP_1) | instskip(NEXT) | instid1(VALU_DEP_2)
	v_dual_lshlrev_b32 v0, 8, v0 :: v_dual_lshlrev_b32 v1, 7, v1
	v_lshl_add_u32 v6, v6, 10, 0x2000
	s_delay_alu instid0(VALU_DEP_2) | instskip(NEXT) | instid1(VALU_DEP_2)
	v_and_b32_e32 v0, 0x8000, v0
	v_and_b32_e32 v6, 0xfc00, v6
	s_delay_alu instid0(VALU_DEP_1)
	v_or3_b32 v49, v0, v6, v1
.LBB277_40:                             ;   in Loop: Header=BB277_15 Depth=1
	s_or_b32 exec_lo, exec_lo, s18
.LBB277_41:                             ;   in Loop: Header=BB277_15 Depth=1
	s_delay_alu instid0(SALU_CYCLE_1)
	s_or_b32 exec_lo, exec_lo, s17
.LBB277_42:                             ;   in Loop: Header=BB277_15 Depth=1
	s_delay_alu instid0(SALU_CYCLE_1) | instskip(NEXT) | instid1(SALU_CYCLE_1)
	s_or_b32 exec_lo, exec_lo, s16
	s_mov_b32 s16, exec_lo
	v_cmpx_lt_u32_e32 0xffffff, v4
	s_cbranch_execz .LBB277_50
; %bb.43:                               ;   in Loop: Header=BB277_15 Depth=1
	v_lshrrev_b32_e32 v24, 24, v4
	v_bfrev_b32_e32 v52, 1
	s_mov_b32 s17, exec_lo
	s_delay_alu instid0(VALU_DEP_2)
	v_cmpx_ne_u32_e32 0x80, v24
	s_cbranch_execz .LBB277_49
; %bb.44:                               ;   in Loop: Header=BB277_15 Depth=1
	v_and_b32_e32 v6, 0x7f, v24
	v_mov_b32_e32 v52, 0x7c010000
	s_mov_b32 s18, exec_lo
	s_delay_alu instid0(VALU_DEP_2)
	v_cmpx_ne_u32_e32 0x7f, v6
	s_cbranch_execz .LBB277_48
; %bb.45:                               ;   in Loop: Header=BB277_15 Depth=1
	v_dual_lshrrev_b32 v1, 3, v6 :: v_dual_bitop2_b32 v0, 7, v24 bitop3:0x40
	s_mov_b32 s19, exec_lo
	v_cmpx_gt_u32_e32 8, v6
; %bb.46:                               ;   in Loop: Header=BB277_15 Depth=1
	s_delay_alu instid0(VALU_DEP_2) | instskip(NEXT) | instid1(VALU_DEP_1)
	v_clz_i32_u32_e32 v0, v0
	v_min_u32_e32 v6, 32, v0
	s_delay_alu instid0(VALU_DEP_1) | instskip(NEXT) | instid1(VALU_DEP_1)
	v_subrev_nc_u32_e32 v0, 28, v6
	v_lshlrev_b64_e32 v[0:1], v0, v[24:25]
	s_delay_alu instid0(VALU_DEP_1)
	v_dual_sub_nc_u32 v1, 29, v6 :: v_dual_bitop2_b32 v0, 7, v0 bitop3:0x40
; %bb.47:                               ;   in Loop: Header=BB277_15 Depth=1
	s_or_b32 exec_lo, exec_lo, s19
	v_lshlrev_b32_e32 v6, 8, v24
	s_delay_alu instid0(VALU_DEP_2) | instskip(NEXT) | instid1(VALU_DEP_3)
	v_lshl_add_u32 v1, v1, 10, 0x2000
	v_lshlrev_b32_e32 v0, 23, v0
	s_delay_alu instid0(VALU_DEP_2) | instskip(NEXT) | instid1(VALU_DEP_1)
	v_and_or_b32 v1, 0x8000, v6, v1
	v_lshl_or_b32 v52, v1, 16, v0
.LBB277_48:                             ;   in Loop: Header=BB277_15 Depth=1
	s_or_b32 exec_lo, exec_lo, s18
.LBB277_49:                             ;   in Loop: Header=BB277_15 Depth=1
	s_delay_alu instid0(SALU_CYCLE_1)
	s_or_b32 exec_lo, exec_lo, s17
.LBB277_50:                             ;   in Loop: Header=BB277_15 Depth=1
	s_delay_alu instid0(SALU_CYCLE_1) | instskip(SKIP_4) | instid1(VALU_DEP_3)
	s_or_b32 exec_lo, exec_lo, s16
	v_and_b32_e32 v0, 0xff, v5
	v_dual_mov_b32 v24, v5 :: v_dual_mov_b32 v50, 0
	v_mov_b32_e32 v51, 0
	s_mov_b32 s16, exec_lo
	v_cmpx_ne_u16_e32 0, v0
	s_cbranch_execz .LBB277_58
; %bb.51:                               ;   in Loop: Header=BB277_15 Depth=1
	v_mov_b32_e32 v51, 0x8000
	s_mov_b32 s17, exec_lo
	v_cmpx_ne_u16_e32 0x80, v0
	s_cbranch_execz .LBB277_57
; %bb.52:                               ;   in Loop: Header=BB277_15 Depth=1
	v_and_b32_e32 v6, 0x7f, v5
	v_mov_b32_e32 v51, 0x7c01
	s_mov_b32 s18, exec_lo
	s_delay_alu instid0(VALU_DEP_2)
	v_cmpx_ne_u32_e32 0x7f, v6
	s_cbranch_execz .LBB277_56
; %bb.53:                               ;   in Loop: Header=BB277_15 Depth=1
	v_dual_lshrrev_b32 v1, 3, v6 :: v_dual_bitop2_b32 v0, 7, v5 bitop3:0x40
	s_mov_b32 s19, exec_lo
	v_cmpx_gt_u32_e32 8, v6
; %bb.54:                               ;   in Loop: Header=BB277_15 Depth=1
	s_delay_alu instid0(VALU_DEP_2) | instskip(NEXT) | instid1(VALU_DEP_1)
	v_clz_i32_u32_e32 v0, v0
	v_min_u32_e32 v6, 32, v0
	s_delay_alu instid0(VALU_DEP_1) | instskip(NEXT) | instid1(VALU_DEP_1)
	v_subrev_nc_u32_e32 v0, 28, v6
	v_lshlrev_b64_e32 v[0:1], v0, v[24:25]
	s_delay_alu instid0(VALU_DEP_1)
	v_dual_sub_nc_u32 v1, 29, v6 :: v_dual_bitop2_b32 v0, 7, v0 bitop3:0x40
; %bb.55:                               ;   in Loop: Header=BB277_15 Depth=1
	s_or_b32 exec_lo, exec_lo, s19
	s_delay_alu instid0(VALU_DEP_1) | instskip(NEXT) | instid1(VALU_DEP_2)
	v_dual_lshlrev_b32 v6, 8, v5 :: v_dual_lshlrev_b32 v0, 7, v0
	v_lshl_add_u32 v1, v1, 10, 0x2000
	s_delay_alu instid0(VALU_DEP_2) | instskip(NEXT) | instid1(VALU_DEP_2)
	v_and_b32_e32 v6, 0x8000, v6
	v_and_b32_e32 v1, 0xfc00, v1
	s_delay_alu instid0(VALU_DEP_1)
	v_or3_b32 v51, v6, v1, v0
.LBB277_56:                             ;   in Loop: Header=BB277_15 Depth=1
	s_or_b32 exec_lo, exec_lo, s18
.LBB277_57:                             ;   in Loop: Header=BB277_15 Depth=1
	s_delay_alu instid0(SALU_CYCLE_1)
	s_or_b32 exec_lo, exec_lo, s17
.LBB277_58:                             ;   in Loop: Header=BB277_15 Depth=1
	s_delay_alu instid0(SALU_CYCLE_1) | instskip(SKIP_3) | instid1(VALU_DEP_2)
	s_or_b32 exec_lo, exec_lo, s16
	v_lshrrev_b16 v24, 8, v24
	v_mov_b32_e32 v38, 0
	s_mov_b32 s16, exec_lo
	v_cmpx_ne_u16_e32 0, v24
	s_cbranch_execz .LBB277_66
; %bb.59:                               ;   in Loop: Header=BB277_15 Depth=1
	v_bfrev_b32_e32 v38, 1
	s_mov_b32 s17, exec_lo
	v_cmpx_ne_u16_e32 0x80, v24
	s_cbranch_execz .LBB277_65
; %bb.60:                               ;   in Loop: Header=BB277_15 Depth=1
	v_and_b32_e32 v0, 0xffff, v24
	v_mov_b32_e32 v38, 0x7c010000
	s_mov_b32 s18, exec_lo
	s_delay_alu instid0(VALU_DEP_2) | instskip(NEXT) | instid1(VALU_DEP_1)
	v_and_b32_e32 v7, 0x7f, v0
	v_cmpx_ne_u32_e32 0x7f, v7
	s_cbranch_execz .LBB277_64
; %bb.61:                               ;   in Loop: Header=BB277_15 Depth=1
	v_dual_lshrrev_b32 v6, 3, v7 :: v_dual_bitop2_b32 v1, 7, v0 bitop3:0x40
	s_mov_b32 s19, exec_lo
	v_cmpx_gt_u32_e32 8, v7
; %bb.62:                               ;   in Loop: Header=BB277_15 Depth=1
	s_delay_alu instid0(VALU_DEP_2) | instskip(NEXT) | instid1(VALU_DEP_1)
	v_clz_i32_u32_e32 v1, v1
	v_min_u32_e32 v1, 32, v1
	s_delay_alu instid0(VALU_DEP_1) | instskip(NEXT) | instid1(VALU_DEP_1)
	v_subrev_nc_u32_e32 v6, 28, v1
	v_lshlrev_b64_e32 v[8:9], v6, v[24:25]
	s_delay_alu instid0(VALU_DEP_1)
	v_dual_sub_nc_u32 v6, 29, v1 :: v_dual_bitop2_b32 v1, 7, v8 bitop3:0x40
; %bb.63:                               ;   in Loop: Header=BB277_15 Depth=1
	s_or_b32 exec_lo, exec_lo, s19
	s_delay_alu instid0(VALU_DEP_1) | instskip(NEXT) | instid1(VALU_DEP_2)
	v_dual_lshlrev_b32 v0, 8, v0 :: v_dual_lshlrev_b32 v1, 23, v1
	v_lshl_add_u32 v6, v6, 10, 0x2000
	s_delay_alu instid0(VALU_DEP_1) | instskip(NEXT) | instid1(VALU_DEP_1)
	v_and_or_b32 v0, 0x8000, v0, v6
	v_lshl_or_b32 v38, v0, 16, v1
.LBB277_64:                             ;   in Loop: Header=BB277_15 Depth=1
	s_or_b32 exec_lo, exec_lo, s18
.LBB277_65:                             ;   in Loop: Header=BB277_15 Depth=1
	s_delay_alu instid0(SALU_CYCLE_1)
	s_or_b32 exec_lo, exec_lo, s17
.LBB277_66:                             ;   in Loop: Header=BB277_15 Depth=1
	s_delay_alu instid0(SALU_CYCLE_1) | instskip(SKIP_2) | instid1(VALU_DEP_1)
	s_or_b32 exec_lo, exec_lo, s16
	v_lshrrev_b32_e32 v0, 16, v5
	s_mov_b32 s16, exec_lo
	v_and_b32_e32 v1, 0xff, v0
	s_delay_alu instid0(VALU_DEP_1)
	v_cmpx_ne_u16_e32 0, v1
	s_cbranch_execz .LBB277_74
; %bb.67:                               ;   in Loop: Header=BB277_15 Depth=1
	v_mov_b32_e32 v50, 0x8000
	s_mov_b32 s17, exec_lo
	v_cmpx_ne_u16_e32 0x80, v1
	s_cbranch_execz .LBB277_73
; %bb.68:                               ;   in Loop: Header=BB277_15 Depth=1
	v_bfe_u32 v7, v5, 16, 7
	v_mov_b32_e32 v50, 0x7c01
	s_mov_b32 s18, exec_lo
	s_delay_alu instid0(VALU_DEP_2)
	v_cmpx_ne_u32_e32 0x7f, v7
	s_cbranch_execz .LBB277_72
; %bb.69:                               ;   in Loop: Header=BB277_15 Depth=1
	v_dual_lshrrev_b32 v6, 3, v7 :: v_dual_bitop2_b32 v1, 7, v0 bitop3:0x40
	s_mov_b32 s19, exec_lo
	v_cmpx_gt_u32_e32 8, v7
; %bb.70:                               ;   in Loop: Header=BB277_15 Depth=1
	s_delay_alu instid0(VALU_DEP_2) | instskip(NEXT) | instid1(VALU_DEP_1)
	v_clz_i32_u32_e32 v1, v1
	v_min_u32_e32 v1, 32, v1
	s_delay_alu instid0(VALU_DEP_1) | instskip(NEXT) | instid1(VALU_DEP_1)
	v_subrev_nc_u32_e32 v6, 28, v1
	v_lshlrev_b64_e32 v[8:9], v6, v[0:1]
	s_delay_alu instid0(VALU_DEP_1)
	v_dual_sub_nc_u32 v6, 29, v1 :: v_dual_bitop2_b32 v1, 7, v8 bitop3:0x40
; %bb.71:                               ;   in Loop: Header=BB277_15 Depth=1
	s_or_b32 exec_lo, exec_lo, s19
	s_delay_alu instid0(VALU_DEP_1) | instskip(NEXT) | instid1(VALU_DEP_2)
	v_dual_lshlrev_b32 v0, 8, v0 :: v_dual_lshlrev_b32 v1, 7, v1
	v_lshl_add_u32 v6, v6, 10, 0x2000
	s_delay_alu instid0(VALU_DEP_2) | instskip(NEXT) | instid1(VALU_DEP_2)
	v_and_b32_e32 v0, 0x8000, v0
	v_and_b32_e32 v6, 0xfc00, v6
	s_delay_alu instid0(VALU_DEP_1)
	v_or3_b32 v50, v0, v6, v1
.LBB277_72:                             ;   in Loop: Header=BB277_15 Depth=1
	s_or_b32 exec_lo, exec_lo, s18
.LBB277_73:                             ;   in Loop: Header=BB277_15 Depth=1
	s_delay_alu instid0(SALU_CYCLE_1)
	s_or_b32 exec_lo, exec_lo, s17
.LBB277_74:                             ;   in Loop: Header=BB277_15 Depth=1
	s_delay_alu instid0(SALU_CYCLE_1)
	s_or_b32 exec_lo, exec_lo, s16
	v_dual_mov_b32 v70, 0 :: v_dual_mov_b32 v39, 0
	s_mov_b32 s16, exec_lo
	v_cmpx_lt_u64_e64 s[8:9], v[4:5]
	s_cbranch_execz .LBB277_82
; %bb.75:                               ;   in Loop: Header=BB277_15 Depth=1
	v_lshrrev_b32_e32 v24, 24, v5
	v_bfrev_b32_e32 v39, 1
	s_mov_b32 s17, exec_lo
	s_delay_alu instid0(VALU_DEP_2)
	v_cmpx_ne_u32_e32 0x80, v24
	s_cbranch_execz .LBB277_81
; %bb.76:                               ;   in Loop: Header=BB277_15 Depth=1
	v_and_b32_e32 v4, 0x7f, v24
	v_mov_b32_e32 v39, 0x7c010000
	s_mov_b32 s18, exec_lo
	s_delay_alu instid0(VALU_DEP_2)
	v_cmpx_ne_u32_e32 0x7f, v4
	s_cbranch_execz .LBB277_80
; %bb.77:                               ;   in Loop: Header=BB277_15 Depth=1
	v_and_b32_e32 v0, 7, v24
	v_lshrrev_b32_e32 v1, 3, v4
	s_mov_b32 s19, exec_lo
	v_cmpx_gt_u32_e32 8, v4
; %bb.78:                               ;   in Loop: Header=BB277_15 Depth=1
	s_delay_alu instid0(VALU_DEP_3) | instskip(NEXT) | instid1(VALU_DEP_1)
	v_clz_i32_u32_e32 v0, v0
	v_min_u32_e32 v4, 32, v0
	s_delay_alu instid0(VALU_DEP_1) | instskip(NEXT) | instid1(VALU_DEP_1)
	v_subrev_nc_u32_e32 v0, 28, v4
	v_lshlrev_b64_e32 v[0:1], v0, v[24:25]
	v_sub_nc_u32_e32 v1, 29, v4
	s_delay_alu instid0(VALU_DEP_2)
	v_and_b32_e32 v0, 7, v0
; %bb.79:                               ;   in Loop: Header=BB277_15 Depth=1
	s_or_b32 exec_lo, exec_lo, s19
	v_lshlrev_b32_e32 v4, 8, v24
	s_delay_alu instid0(VALU_DEP_3) | instskip(NEXT) | instid1(VALU_DEP_3)
	v_lshl_add_u32 v1, v1, 10, 0x2000
	v_lshlrev_b32_e32 v0, 23, v0
	s_delay_alu instid0(VALU_DEP_2) | instskip(NEXT) | instid1(VALU_DEP_1)
	v_and_or_b32 v1, 0x8000, v4, v1
	v_lshl_or_b32 v39, v1, 16, v0
.LBB277_80:                             ;   in Loop: Header=BB277_15 Depth=1
	s_or_b32 exec_lo, exec_lo, s18
.LBB277_81:                             ;   in Loop: Header=BB277_15 Depth=1
	s_delay_alu instid0(SALU_CYCLE_1)
	s_or_b32 exec_lo, exec_lo, s17
.LBB277_82:                             ;   in Loop: Header=BB277_15 Depth=1
	s_delay_alu instid0(SALU_CYCLE_1)
	s_or_b32 exec_lo, exec_lo, s16
	flat_load_b64 v[4:5], v[2:3] offset:8
	s_mov_b32 s16, exec_lo
	s_wait_loadcnt_dscnt 0x0
	v_and_b32_e32 v0, 0xff, v4
	s_wait_xcnt 0x0
	s_delay_alu instid0(VALU_DEP_1)
	v_cmpx_ne_u16_e32 0, v0
	s_cbranch_execz .LBB277_90
; %bb.83:                               ;   in Loop: Header=BB277_15 Depth=1
	v_mov_b32_e32 v70, 0x8000
	s_mov_b32 s17, exec_lo
	v_cmpx_ne_u16_e32 0x80, v0
	s_cbranch_execz .LBB277_89
; %bb.84:                               ;   in Loop: Header=BB277_15 Depth=1
	v_and_b32_e32 v6, 0x7f, v4
	v_mov_b32_e32 v70, 0x7c01
	s_mov_b32 s18, exec_lo
	s_delay_alu instid0(VALU_DEP_2)
	v_cmpx_ne_u32_e32 0x7f, v6
	s_cbranch_execz .LBB277_88
; %bb.85:                               ;   in Loop: Header=BB277_15 Depth=1
	v_dual_lshrrev_b32 v1, 3, v6 :: v_dual_bitop2_b32 v0, 7, v4 bitop3:0x40
	s_mov_b32 s19, exec_lo
	v_cmpx_gt_u32_e32 8, v6
; %bb.86:                               ;   in Loop: Header=BB277_15 Depth=1
	s_delay_alu instid0(VALU_DEP_2) | instskip(NEXT) | instid1(VALU_DEP_1)
	v_clz_i32_u32_e32 v0, v0
	v_min_u32_e32 v6, 32, v0
	s_delay_alu instid0(VALU_DEP_1) | instskip(NEXT) | instid1(VALU_DEP_1)
	v_subrev_nc_u32_e32 v0, 28, v6
	v_lshlrev_b64_e32 v[0:1], v0, v[4:5]
	s_delay_alu instid0(VALU_DEP_1)
	v_dual_sub_nc_u32 v1, 29, v6 :: v_dual_bitop2_b32 v0, 7, v0 bitop3:0x40
; %bb.87:                               ;   in Loop: Header=BB277_15 Depth=1
	s_or_b32 exec_lo, exec_lo, s19
	v_lshlrev_b32_e32 v6, 8, v4
	s_delay_alu instid0(VALU_DEP_2) | instskip(NEXT) | instid1(VALU_DEP_3)
	v_lshl_add_u32 v1, v1, 10, 0x2000
	v_lshlrev_b32_e32 v0, 7, v0
	s_delay_alu instid0(VALU_DEP_3) | instskip(NEXT) | instid1(VALU_DEP_3)
	v_and_b32_e32 v6, 0x8000, v6
	v_and_b32_e32 v1, 0xfc00, v1
	s_delay_alu instid0(VALU_DEP_1)
	v_or3_b32 v70, v6, v1, v0
.LBB277_88:                             ;   in Loop: Header=BB277_15 Depth=1
	s_or_b32 exec_lo, exec_lo, s18
.LBB277_89:                             ;   in Loop: Header=BB277_15 Depth=1
	s_delay_alu instid0(SALU_CYCLE_1)
	s_or_b32 exec_lo, exec_lo, s17
.LBB277_90:                             ;   in Loop: Header=BB277_15 Depth=1
	s_delay_alu instid0(SALU_CYCLE_1) | instskip(SKIP_3) | instid1(VALU_DEP_2)
	s_or_b32 exec_lo, exec_lo, s16
	v_lshrrev_b16 v24, 8, v4
	v_dual_mov_b32 v42, 0 :: v_dual_mov_b32 v71, 0
	s_mov_b32 s16, exec_lo
	v_cmpx_ne_u16_e32 0, v24
	s_cbranch_execz .LBB277_98
; %bb.91:                               ;   in Loop: Header=BB277_15 Depth=1
	v_bfrev_b32_e32 v71, 1
	s_mov_b32 s17, exec_lo
	v_cmpx_ne_u16_e32 0x80, v24
	s_cbranch_execz .LBB277_97
; %bb.92:                               ;   in Loop: Header=BB277_15 Depth=1
	v_and_b32_e32 v0, 0xffff, v24
	v_mov_b32_e32 v71, 0x7c010000
	s_mov_b32 s18, exec_lo
	s_delay_alu instid0(VALU_DEP_2) | instskip(NEXT) | instid1(VALU_DEP_1)
	v_and_b32_e32 v7, 0x7f, v0
	v_cmpx_ne_u32_e32 0x7f, v7
	s_cbranch_execz .LBB277_96
; %bb.93:                               ;   in Loop: Header=BB277_15 Depth=1
	v_dual_lshrrev_b32 v6, 3, v7 :: v_dual_bitop2_b32 v1, 7, v0 bitop3:0x40
	s_mov_b32 s19, exec_lo
	v_cmpx_gt_u32_e32 8, v7
; %bb.94:                               ;   in Loop: Header=BB277_15 Depth=1
	s_delay_alu instid0(VALU_DEP_2) | instskip(NEXT) | instid1(VALU_DEP_1)
	v_clz_i32_u32_e32 v1, v1
	v_min_u32_e32 v1, 32, v1
	s_delay_alu instid0(VALU_DEP_1) | instskip(NEXT) | instid1(VALU_DEP_1)
	v_subrev_nc_u32_e32 v6, 28, v1
	v_lshlrev_b64_e32 v[8:9], v6, v[24:25]
	s_delay_alu instid0(VALU_DEP_1)
	v_dual_sub_nc_u32 v6, 29, v1 :: v_dual_bitop2_b32 v1, 7, v8 bitop3:0x40
; %bb.95:                               ;   in Loop: Header=BB277_15 Depth=1
	s_or_b32 exec_lo, exec_lo, s19
	s_delay_alu instid0(VALU_DEP_1) | instskip(NEXT) | instid1(VALU_DEP_2)
	v_dual_lshlrev_b32 v0, 8, v0 :: v_dual_lshlrev_b32 v1, 23, v1
	v_lshl_add_u32 v6, v6, 10, 0x2000
	s_delay_alu instid0(VALU_DEP_1) | instskip(NEXT) | instid1(VALU_DEP_1)
	v_and_or_b32 v0, 0x8000, v0, v6
	v_lshl_or_b32 v71, v0, 16, v1
.LBB277_96:                             ;   in Loop: Header=BB277_15 Depth=1
	s_or_b32 exec_lo, exec_lo, s18
.LBB277_97:                             ;   in Loop: Header=BB277_15 Depth=1
	s_delay_alu instid0(SALU_CYCLE_1)
	s_or_b32 exec_lo, exec_lo, s17
.LBB277_98:                             ;   in Loop: Header=BB277_15 Depth=1
	s_delay_alu instid0(SALU_CYCLE_1) | instskip(SKIP_2) | instid1(VALU_DEP_1)
	s_or_b32 exec_lo, exec_lo, s16
	v_lshrrev_b32_e32 v0, 16, v4
	s_mov_b32 s16, exec_lo
	v_and_b32_e32 v1, 0xff, v0
	s_delay_alu instid0(VALU_DEP_1)
	v_cmpx_ne_u16_e32 0, v1
	s_cbranch_execz .LBB277_106
; %bb.99:                               ;   in Loop: Header=BB277_15 Depth=1
	v_mov_b32_e32 v42, 0x8000
	s_mov_b32 s17, exec_lo
	v_cmpx_ne_u16_e32 0x80, v1
	s_cbranch_execz .LBB277_105
; %bb.100:                              ;   in Loop: Header=BB277_15 Depth=1
	v_bfe_u32 v7, v4, 16, 7
	v_mov_b32_e32 v42, 0x7c01
	s_mov_b32 s18, exec_lo
	s_delay_alu instid0(VALU_DEP_2)
	v_cmpx_ne_u32_e32 0x7f, v7
	s_cbranch_execz .LBB277_104
; %bb.101:                              ;   in Loop: Header=BB277_15 Depth=1
	v_dual_lshrrev_b32 v6, 3, v7 :: v_dual_bitop2_b32 v1, 7, v0 bitop3:0x40
	s_mov_b32 s19, exec_lo
	v_cmpx_gt_u32_e32 8, v7
; %bb.102:                              ;   in Loop: Header=BB277_15 Depth=1
	s_delay_alu instid0(VALU_DEP_2) | instskip(NEXT) | instid1(VALU_DEP_1)
	v_clz_i32_u32_e32 v1, v1
	v_min_u32_e32 v1, 32, v1
	s_delay_alu instid0(VALU_DEP_1) | instskip(NEXT) | instid1(VALU_DEP_1)
	v_subrev_nc_u32_e32 v6, 28, v1
	v_lshlrev_b64_e32 v[8:9], v6, v[0:1]
	s_delay_alu instid0(VALU_DEP_1)
	v_dual_sub_nc_u32 v6, 29, v1 :: v_dual_bitop2_b32 v1, 7, v8 bitop3:0x40
; %bb.103:                              ;   in Loop: Header=BB277_15 Depth=1
	s_or_b32 exec_lo, exec_lo, s19
	s_delay_alu instid0(VALU_DEP_1) | instskip(NEXT) | instid1(VALU_DEP_2)
	v_dual_lshlrev_b32 v0, 8, v0 :: v_dual_lshlrev_b32 v1, 7, v1
	v_lshl_add_u32 v6, v6, 10, 0x2000
	s_delay_alu instid0(VALU_DEP_2) | instskip(NEXT) | instid1(VALU_DEP_2)
	v_and_b32_e32 v0, 0x8000, v0
	v_and_b32_e32 v6, 0xfc00, v6
	s_delay_alu instid0(VALU_DEP_1)
	v_or3_b32 v42, v0, v6, v1
.LBB277_104:                            ;   in Loop: Header=BB277_15 Depth=1
	s_or_b32 exec_lo, exec_lo, s18
.LBB277_105:                            ;   in Loop: Header=BB277_15 Depth=1
	s_delay_alu instid0(SALU_CYCLE_1)
	s_or_b32 exec_lo, exec_lo, s17
.LBB277_106:                            ;   in Loop: Header=BB277_15 Depth=1
	s_delay_alu instid0(SALU_CYCLE_1)
	s_or_b32 exec_lo, exec_lo, s16
	v_dual_mov_b32 v43, 0 :: v_dual_mov_b32 v45, 0
	s_mov_b32 s16, exec_lo
	v_cmpx_lt_u32_e32 0xffffff, v4
	s_cbranch_execz .LBB277_114
; %bb.107:                              ;   in Loop: Header=BB277_15 Depth=1
	v_lshrrev_b32_e32 v24, 24, v4
	v_bfrev_b32_e32 v45, 1
	s_mov_b32 s17, exec_lo
	s_delay_alu instid0(VALU_DEP_2)
	v_cmpx_ne_u32_e32 0x80, v24
	s_cbranch_execz .LBB277_113
; %bb.108:                              ;   in Loop: Header=BB277_15 Depth=1
	v_and_b32_e32 v6, 0x7f, v24
	v_mov_b32_e32 v45, 0x7c010000
	s_mov_b32 s18, exec_lo
	s_delay_alu instid0(VALU_DEP_2)
	v_cmpx_ne_u32_e32 0x7f, v6
	s_cbranch_execz .LBB277_112
; %bb.109:                              ;   in Loop: Header=BB277_15 Depth=1
	v_dual_lshrrev_b32 v1, 3, v6 :: v_dual_bitop2_b32 v0, 7, v24 bitop3:0x40
	s_mov_b32 s19, exec_lo
	v_cmpx_gt_u32_e32 8, v6
; %bb.110:                              ;   in Loop: Header=BB277_15 Depth=1
	s_delay_alu instid0(VALU_DEP_2) | instskip(NEXT) | instid1(VALU_DEP_1)
	v_clz_i32_u32_e32 v0, v0
	v_min_u32_e32 v6, 32, v0
	s_delay_alu instid0(VALU_DEP_1) | instskip(NEXT) | instid1(VALU_DEP_1)
	v_subrev_nc_u32_e32 v0, 28, v6
	v_lshlrev_b64_e32 v[0:1], v0, v[24:25]
	s_delay_alu instid0(VALU_DEP_1)
	v_dual_sub_nc_u32 v1, 29, v6 :: v_dual_bitop2_b32 v0, 7, v0 bitop3:0x40
; %bb.111:                              ;   in Loop: Header=BB277_15 Depth=1
	s_or_b32 exec_lo, exec_lo, s19
	v_lshlrev_b32_e32 v6, 8, v24
	s_delay_alu instid0(VALU_DEP_2) | instskip(NEXT) | instid1(VALU_DEP_3)
	v_lshl_add_u32 v1, v1, 10, 0x2000
	v_lshlrev_b32_e32 v0, 23, v0
	s_delay_alu instid0(VALU_DEP_2) | instskip(NEXT) | instid1(VALU_DEP_1)
	v_and_or_b32 v1, 0x8000, v6, v1
	v_lshl_or_b32 v45, v1, 16, v0
.LBB277_112:                            ;   in Loop: Header=BB277_15 Depth=1
	s_or_b32 exec_lo, exec_lo, s18
.LBB277_113:                            ;   in Loop: Header=BB277_15 Depth=1
	s_delay_alu instid0(SALU_CYCLE_1)
	s_or_b32 exec_lo, exec_lo, s17
.LBB277_114:                            ;   in Loop: Header=BB277_15 Depth=1
	s_delay_alu instid0(SALU_CYCLE_1) | instskip(SKIP_3) | instid1(VALU_DEP_2)
	s_or_b32 exec_lo, exec_lo, s16
	v_and_b32_e32 v0, 0xff, v5
	v_mov_b32_e32 v24, v5
	s_mov_b32 s16, exec_lo
	v_cmpx_ne_u16_e32 0, v0
	s_cbranch_execz .LBB277_122
; %bb.115:                              ;   in Loop: Header=BB277_15 Depth=1
	v_mov_b32_e32 v43, 0x8000
	s_mov_b32 s17, exec_lo
	v_cmpx_ne_u16_e32 0x80, v0
	s_cbranch_execz .LBB277_121
; %bb.116:                              ;   in Loop: Header=BB277_15 Depth=1
	v_and_b32_e32 v6, 0x7f, v5
	v_mov_b32_e32 v43, 0x7c01
	s_mov_b32 s18, exec_lo
	s_delay_alu instid0(VALU_DEP_2)
	v_cmpx_ne_u32_e32 0x7f, v6
	s_cbranch_execz .LBB277_120
; %bb.117:                              ;   in Loop: Header=BB277_15 Depth=1
	v_dual_lshrrev_b32 v1, 3, v6 :: v_dual_bitop2_b32 v0, 7, v5 bitop3:0x40
	s_mov_b32 s19, exec_lo
	v_cmpx_gt_u32_e32 8, v6
; %bb.118:                              ;   in Loop: Header=BB277_15 Depth=1
	s_delay_alu instid0(VALU_DEP_2) | instskip(NEXT) | instid1(VALU_DEP_1)
	v_clz_i32_u32_e32 v0, v0
	v_min_u32_e32 v6, 32, v0
	s_delay_alu instid0(VALU_DEP_1) | instskip(NEXT) | instid1(VALU_DEP_1)
	v_subrev_nc_u32_e32 v0, 28, v6
	v_lshlrev_b64_e32 v[0:1], v0, v[24:25]
	s_delay_alu instid0(VALU_DEP_1)
	v_dual_sub_nc_u32 v1, 29, v6 :: v_dual_bitop2_b32 v0, 7, v0 bitop3:0x40
; %bb.119:                              ;   in Loop: Header=BB277_15 Depth=1
	s_or_b32 exec_lo, exec_lo, s19
	s_delay_alu instid0(VALU_DEP_1) | instskip(NEXT) | instid1(VALU_DEP_2)
	v_dual_lshlrev_b32 v6, 8, v5 :: v_dual_lshlrev_b32 v0, 7, v0
	v_lshl_add_u32 v1, v1, 10, 0x2000
	s_delay_alu instid0(VALU_DEP_2) | instskip(NEXT) | instid1(VALU_DEP_2)
	v_and_b32_e32 v6, 0x8000, v6
	v_and_b32_e32 v1, 0xfc00, v1
	s_delay_alu instid0(VALU_DEP_1)
	v_or3_b32 v43, v6, v1, v0
.LBB277_120:                            ;   in Loop: Header=BB277_15 Depth=1
	s_or_b32 exec_lo, exec_lo, s18
.LBB277_121:                            ;   in Loop: Header=BB277_15 Depth=1
	s_delay_alu instid0(SALU_CYCLE_1)
	s_or_b32 exec_lo, exec_lo, s17
.LBB277_122:                            ;   in Loop: Header=BB277_15 Depth=1
	s_delay_alu instid0(SALU_CYCLE_1) | instskip(SKIP_3) | instid1(VALU_DEP_2)
	s_or_b32 exec_lo, exec_lo, s16
	v_lshrrev_b16 v24, 8, v24
	v_dual_mov_b32 v44, 0 :: v_dual_mov_b32 v61, 0
	s_mov_b32 s16, exec_lo
	v_cmpx_ne_u16_e32 0, v24
	s_cbranch_execz .LBB277_130
; %bb.123:                              ;   in Loop: Header=BB277_15 Depth=1
	v_bfrev_b32_e32 v61, 1
	s_mov_b32 s17, exec_lo
	v_cmpx_ne_u16_e32 0x80, v24
	s_cbranch_execz .LBB277_129
; %bb.124:                              ;   in Loop: Header=BB277_15 Depth=1
	v_and_b32_e32 v0, 0xffff, v24
	v_mov_b32_e32 v61, 0x7c010000
	s_mov_b32 s18, exec_lo
	s_delay_alu instid0(VALU_DEP_2) | instskip(NEXT) | instid1(VALU_DEP_1)
	v_and_b32_e32 v7, 0x7f, v0
	v_cmpx_ne_u32_e32 0x7f, v7
	s_cbranch_execz .LBB277_128
; %bb.125:                              ;   in Loop: Header=BB277_15 Depth=1
	v_dual_lshrrev_b32 v6, 3, v7 :: v_dual_bitop2_b32 v1, 7, v0 bitop3:0x40
	s_mov_b32 s19, exec_lo
	v_cmpx_gt_u32_e32 8, v7
; %bb.126:                              ;   in Loop: Header=BB277_15 Depth=1
	s_delay_alu instid0(VALU_DEP_2) | instskip(NEXT) | instid1(VALU_DEP_1)
	v_clz_i32_u32_e32 v1, v1
	v_min_u32_e32 v1, 32, v1
	s_delay_alu instid0(VALU_DEP_1) | instskip(NEXT) | instid1(VALU_DEP_1)
	v_subrev_nc_u32_e32 v6, 28, v1
	v_lshlrev_b64_e32 v[8:9], v6, v[24:25]
	s_delay_alu instid0(VALU_DEP_1)
	v_dual_sub_nc_u32 v6, 29, v1 :: v_dual_bitop2_b32 v1, 7, v8 bitop3:0x40
; %bb.127:                              ;   in Loop: Header=BB277_15 Depth=1
	s_or_b32 exec_lo, exec_lo, s19
	s_delay_alu instid0(VALU_DEP_1) | instskip(NEXT) | instid1(VALU_DEP_2)
	v_dual_lshlrev_b32 v0, 8, v0 :: v_dual_lshlrev_b32 v1, 23, v1
	v_lshl_add_u32 v6, v6, 10, 0x2000
	s_delay_alu instid0(VALU_DEP_1) | instskip(NEXT) | instid1(VALU_DEP_1)
	v_and_or_b32 v0, 0x8000, v0, v6
	v_lshl_or_b32 v61, v0, 16, v1
.LBB277_128:                            ;   in Loop: Header=BB277_15 Depth=1
	s_or_b32 exec_lo, exec_lo, s18
.LBB277_129:                            ;   in Loop: Header=BB277_15 Depth=1
	s_delay_alu instid0(SALU_CYCLE_1)
	s_or_b32 exec_lo, exec_lo, s17
.LBB277_130:                            ;   in Loop: Header=BB277_15 Depth=1
	s_delay_alu instid0(SALU_CYCLE_1) | instskip(SKIP_2) | instid1(VALU_DEP_1)
	s_or_b32 exec_lo, exec_lo, s16
	v_lshrrev_b32_e32 v0, 16, v5
	s_mov_b32 s16, exec_lo
	v_and_b32_e32 v1, 0xff, v0
	s_delay_alu instid0(VALU_DEP_1)
	v_cmpx_ne_u16_e32 0, v1
	s_cbranch_execz .LBB277_138
; %bb.131:                              ;   in Loop: Header=BB277_15 Depth=1
	v_mov_b32_e32 v44, 0x8000
	s_mov_b32 s17, exec_lo
	v_cmpx_ne_u16_e32 0x80, v1
	s_cbranch_execz .LBB277_137
; %bb.132:                              ;   in Loop: Header=BB277_15 Depth=1
	v_bfe_u32 v7, v5, 16, 7
	v_mov_b32_e32 v44, 0x7c01
	s_mov_b32 s18, exec_lo
	s_delay_alu instid0(VALU_DEP_2)
	v_cmpx_ne_u32_e32 0x7f, v7
	s_cbranch_execz .LBB277_136
; %bb.133:                              ;   in Loop: Header=BB277_15 Depth=1
	v_dual_lshrrev_b32 v6, 3, v7 :: v_dual_bitop2_b32 v1, 7, v0 bitop3:0x40
	s_mov_b32 s19, exec_lo
	v_cmpx_gt_u32_e32 8, v7
; %bb.134:                              ;   in Loop: Header=BB277_15 Depth=1
	s_delay_alu instid0(VALU_DEP_2) | instskip(NEXT) | instid1(VALU_DEP_1)
	v_clz_i32_u32_e32 v1, v1
	v_min_u32_e32 v1, 32, v1
	s_delay_alu instid0(VALU_DEP_1) | instskip(NEXT) | instid1(VALU_DEP_1)
	v_subrev_nc_u32_e32 v6, 28, v1
	v_lshlrev_b64_e32 v[8:9], v6, v[0:1]
	s_delay_alu instid0(VALU_DEP_1)
	v_dual_sub_nc_u32 v6, 29, v1 :: v_dual_bitop2_b32 v1, 7, v8 bitop3:0x40
; %bb.135:                              ;   in Loop: Header=BB277_15 Depth=1
	s_or_b32 exec_lo, exec_lo, s19
	s_delay_alu instid0(VALU_DEP_1) | instskip(NEXT) | instid1(VALU_DEP_2)
	v_dual_lshlrev_b32 v0, 8, v0 :: v_dual_lshlrev_b32 v1, 7, v1
	v_lshl_add_u32 v6, v6, 10, 0x2000
	s_delay_alu instid0(VALU_DEP_2) | instskip(NEXT) | instid1(VALU_DEP_2)
	v_and_b32_e32 v0, 0x8000, v0
	v_and_b32_e32 v6, 0xfc00, v6
	s_delay_alu instid0(VALU_DEP_1)
	v_or3_b32 v44, v0, v6, v1
.LBB277_136:                            ;   in Loop: Header=BB277_15 Depth=1
	s_or_b32 exec_lo, exec_lo, s18
.LBB277_137:                            ;   in Loop: Header=BB277_15 Depth=1
	s_delay_alu instid0(SALU_CYCLE_1)
	s_or_b32 exec_lo, exec_lo, s17
.LBB277_138:                            ;   in Loop: Header=BB277_15 Depth=1
	s_delay_alu instid0(SALU_CYCLE_1)
	s_or_b32 exec_lo, exec_lo, s16
	v_dual_mov_b32 v82, 0 :: v_dual_mov_b32 v83, 0
	s_mov_b32 s16, exec_lo
	v_cmpx_lt_u64_e64 s[8:9], v[4:5]
	s_cbranch_execz .LBB277_146
; %bb.139:                              ;   in Loop: Header=BB277_15 Depth=1
	v_lshrrev_b32_e32 v24, 24, v5
	v_bfrev_b32_e32 v83, 1
	s_mov_b32 s17, exec_lo
	s_delay_alu instid0(VALU_DEP_2)
	v_cmpx_ne_u32_e32 0x80, v24
	s_cbranch_execz .LBB277_145
; %bb.140:                              ;   in Loop: Header=BB277_15 Depth=1
	v_and_b32_e32 v4, 0x7f, v24
	v_mov_b32_e32 v83, 0x7c010000
	s_mov_b32 s18, exec_lo
	s_delay_alu instid0(VALU_DEP_2)
	v_cmpx_ne_u32_e32 0x7f, v4
	s_cbranch_execz .LBB277_144
; %bb.141:                              ;   in Loop: Header=BB277_15 Depth=1
	v_and_b32_e32 v0, 7, v24
	v_lshrrev_b32_e32 v1, 3, v4
	s_mov_b32 s19, exec_lo
	v_cmpx_gt_u32_e32 8, v4
; %bb.142:                              ;   in Loop: Header=BB277_15 Depth=1
	s_delay_alu instid0(VALU_DEP_3) | instskip(NEXT) | instid1(VALU_DEP_1)
	v_clz_i32_u32_e32 v0, v0
	v_min_u32_e32 v4, 32, v0
	s_delay_alu instid0(VALU_DEP_1) | instskip(NEXT) | instid1(VALU_DEP_1)
	v_subrev_nc_u32_e32 v0, 28, v4
	v_lshlrev_b64_e32 v[0:1], v0, v[24:25]
	v_sub_nc_u32_e32 v1, 29, v4
	s_delay_alu instid0(VALU_DEP_2)
	v_and_b32_e32 v0, 7, v0
; %bb.143:                              ;   in Loop: Header=BB277_15 Depth=1
	s_or_b32 exec_lo, exec_lo, s19
	v_lshlrev_b32_e32 v4, 8, v24
	s_delay_alu instid0(VALU_DEP_3) | instskip(NEXT) | instid1(VALU_DEP_3)
	v_lshl_add_u32 v1, v1, 10, 0x2000
	v_lshlrev_b32_e32 v0, 23, v0
	s_delay_alu instid0(VALU_DEP_2) | instskip(NEXT) | instid1(VALU_DEP_1)
	v_and_or_b32 v1, 0x8000, v4, v1
	v_lshl_or_b32 v83, v1, 16, v0
.LBB277_144:                            ;   in Loop: Header=BB277_15 Depth=1
	s_or_b32 exec_lo, exec_lo, s18
.LBB277_145:                            ;   in Loop: Header=BB277_15 Depth=1
	s_delay_alu instid0(SALU_CYCLE_1)
	s_or_b32 exec_lo, exec_lo, s17
.LBB277_146:                            ;   in Loop: Header=BB277_15 Depth=1
	s_delay_alu instid0(SALU_CYCLE_1)
	s_or_b32 exec_lo, exec_lo, s16
	flat_load_b64 v[4:5], v[2:3] offset:512
	s_mov_b32 s16, exec_lo
	s_wait_loadcnt_dscnt 0x0
	v_and_b32_e32 v0, 0xff, v4
	s_wait_xcnt 0x0
	s_delay_alu instid0(VALU_DEP_1)
	v_cmpx_ne_u16_e32 0, v0
	s_cbranch_execz .LBB277_154
; %bb.147:                              ;   in Loop: Header=BB277_15 Depth=1
	v_mov_b32_e32 v82, 0x8000
	s_mov_b32 s17, exec_lo
	v_cmpx_ne_u16_e32 0x80, v0
	s_cbranch_execz .LBB277_153
; %bb.148:                              ;   in Loop: Header=BB277_15 Depth=1
	v_and_b32_e32 v6, 0x7f, v4
	v_mov_b32_e32 v82, 0x7c01
	s_mov_b32 s18, exec_lo
	s_delay_alu instid0(VALU_DEP_2)
	v_cmpx_ne_u32_e32 0x7f, v6
	s_cbranch_execz .LBB277_152
; %bb.149:                              ;   in Loop: Header=BB277_15 Depth=1
	v_dual_lshrrev_b32 v1, 3, v6 :: v_dual_bitop2_b32 v0, 7, v4 bitop3:0x40
	s_mov_b32 s19, exec_lo
	v_cmpx_gt_u32_e32 8, v6
; %bb.150:                              ;   in Loop: Header=BB277_15 Depth=1
	s_delay_alu instid0(VALU_DEP_2) | instskip(NEXT) | instid1(VALU_DEP_1)
	v_clz_i32_u32_e32 v0, v0
	v_min_u32_e32 v6, 32, v0
	s_delay_alu instid0(VALU_DEP_1) | instskip(NEXT) | instid1(VALU_DEP_1)
	v_subrev_nc_u32_e32 v0, 28, v6
	v_lshlrev_b64_e32 v[0:1], v0, v[4:5]
	s_delay_alu instid0(VALU_DEP_1)
	v_dual_sub_nc_u32 v1, 29, v6 :: v_dual_bitop2_b32 v0, 7, v0 bitop3:0x40
; %bb.151:                              ;   in Loop: Header=BB277_15 Depth=1
	s_or_b32 exec_lo, exec_lo, s19
	v_lshlrev_b32_e32 v6, 8, v4
	s_delay_alu instid0(VALU_DEP_2) | instskip(NEXT) | instid1(VALU_DEP_3)
	v_lshl_add_u32 v1, v1, 10, 0x2000
	v_lshlrev_b32_e32 v0, 7, v0
	s_delay_alu instid0(VALU_DEP_3) | instskip(NEXT) | instid1(VALU_DEP_3)
	v_and_b32_e32 v6, 0x8000, v6
	v_and_b32_e32 v1, 0xfc00, v1
	s_delay_alu instid0(VALU_DEP_1)
	v_or3_b32 v82, v6, v1, v0
.LBB277_152:                            ;   in Loop: Header=BB277_15 Depth=1
	s_or_b32 exec_lo, exec_lo, s18
.LBB277_153:                            ;   in Loop: Header=BB277_15 Depth=1
	s_delay_alu instid0(SALU_CYCLE_1)
	s_or_b32 exec_lo, exec_lo, s17
.LBB277_154:                            ;   in Loop: Header=BB277_15 Depth=1
	s_delay_alu instid0(SALU_CYCLE_1) | instskip(SKIP_3) | instid1(VALU_DEP_2)
	s_or_b32 exec_lo, exec_lo, s16
	v_lshrrev_b16 v24, 8, v4
	v_dual_mov_b32 v84, 0 :: v_dual_mov_b32 v85, 0
	s_mov_b32 s16, exec_lo
	v_cmpx_ne_u16_e32 0, v24
	s_cbranch_execz .LBB277_162
; %bb.155:                              ;   in Loop: Header=BB277_15 Depth=1
	v_bfrev_b32_e32 v85, 1
	s_mov_b32 s17, exec_lo
	v_cmpx_ne_u16_e32 0x80, v24
	s_cbranch_execz .LBB277_161
; %bb.156:                              ;   in Loop: Header=BB277_15 Depth=1
	v_and_b32_e32 v0, 0xffff, v24
	v_mov_b32_e32 v85, 0x7c010000
	s_mov_b32 s18, exec_lo
	s_delay_alu instid0(VALU_DEP_2) | instskip(NEXT) | instid1(VALU_DEP_1)
	v_and_b32_e32 v7, 0x7f, v0
	v_cmpx_ne_u32_e32 0x7f, v7
	s_cbranch_execz .LBB277_160
; %bb.157:                              ;   in Loop: Header=BB277_15 Depth=1
	v_dual_lshrrev_b32 v6, 3, v7 :: v_dual_bitop2_b32 v1, 7, v0 bitop3:0x40
	s_mov_b32 s19, exec_lo
	v_cmpx_gt_u32_e32 8, v7
; %bb.158:                              ;   in Loop: Header=BB277_15 Depth=1
	s_delay_alu instid0(VALU_DEP_2) | instskip(NEXT) | instid1(VALU_DEP_1)
	v_clz_i32_u32_e32 v1, v1
	v_min_u32_e32 v1, 32, v1
	s_delay_alu instid0(VALU_DEP_1) | instskip(NEXT) | instid1(VALU_DEP_1)
	v_subrev_nc_u32_e32 v6, 28, v1
	v_lshlrev_b64_e32 v[8:9], v6, v[24:25]
	s_delay_alu instid0(VALU_DEP_1)
	v_dual_sub_nc_u32 v6, 29, v1 :: v_dual_bitop2_b32 v1, 7, v8 bitop3:0x40
; %bb.159:                              ;   in Loop: Header=BB277_15 Depth=1
	s_or_b32 exec_lo, exec_lo, s19
	s_delay_alu instid0(VALU_DEP_1) | instskip(NEXT) | instid1(VALU_DEP_2)
	v_dual_lshlrev_b32 v0, 8, v0 :: v_dual_lshlrev_b32 v1, 23, v1
	v_lshl_add_u32 v6, v6, 10, 0x2000
	s_delay_alu instid0(VALU_DEP_1) | instskip(NEXT) | instid1(VALU_DEP_1)
	v_and_or_b32 v0, 0x8000, v0, v6
	v_lshl_or_b32 v85, v0, 16, v1
.LBB277_160:                            ;   in Loop: Header=BB277_15 Depth=1
	s_or_b32 exec_lo, exec_lo, s18
.LBB277_161:                            ;   in Loop: Header=BB277_15 Depth=1
	s_delay_alu instid0(SALU_CYCLE_1)
	s_or_b32 exec_lo, exec_lo, s17
.LBB277_162:                            ;   in Loop: Header=BB277_15 Depth=1
	s_delay_alu instid0(SALU_CYCLE_1) | instskip(SKIP_2) | instid1(VALU_DEP_1)
	s_or_b32 exec_lo, exec_lo, s16
	v_lshrrev_b32_e32 v0, 16, v4
	s_mov_b32 s16, exec_lo
	v_and_b32_e32 v1, 0xff, v0
	s_delay_alu instid0(VALU_DEP_1)
	v_cmpx_ne_u16_e32 0, v1
	s_cbranch_execz .LBB277_170
; %bb.163:                              ;   in Loop: Header=BB277_15 Depth=1
	v_mov_b32_e32 v84, 0x8000
	s_mov_b32 s17, exec_lo
	v_cmpx_ne_u16_e32 0x80, v1
	s_cbranch_execz .LBB277_169
; %bb.164:                              ;   in Loop: Header=BB277_15 Depth=1
	v_bfe_u32 v7, v4, 16, 7
	v_mov_b32_e32 v84, 0x7c01
	s_mov_b32 s18, exec_lo
	s_delay_alu instid0(VALU_DEP_2)
	v_cmpx_ne_u32_e32 0x7f, v7
	s_cbranch_execz .LBB277_168
; %bb.165:                              ;   in Loop: Header=BB277_15 Depth=1
	v_dual_lshrrev_b32 v6, 3, v7 :: v_dual_bitop2_b32 v1, 7, v0 bitop3:0x40
	s_mov_b32 s19, exec_lo
	v_cmpx_gt_u32_e32 8, v7
; %bb.166:                              ;   in Loop: Header=BB277_15 Depth=1
	s_delay_alu instid0(VALU_DEP_2) | instskip(NEXT) | instid1(VALU_DEP_1)
	v_clz_i32_u32_e32 v1, v1
	v_min_u32_e32 v1, 32, v1
	s_delay_alu instid0(VALU_DEP_1) | instskip(NEXT) | instid1(VALU_DEP_1)
	v_subrev_nc_u32_e32 v6, 28, v1
	v_lshlrev_b64_e32 v[8:9], v6, v[0:1]
	s_delay_alu instid0(VALU_DEP_1)
	v_dual_sub_nc_u32 v6, 29, v1 :: v_dual_bitop2_b32 v1, 7, v8 bitop3:0x40
; %bb.167:                              ;   in Loop: Header=BB277_15 Depth=1
	s_or_b32 exec_lo, exec_lo, s19
	s_delay_alu instid0(VALU_DEP_1) | instskip(NEXT) | instid1(VALU_DEP_2)
	v_dual_lshlrev_b32 v0, 8, v0 :: v_dual_lshlrev_b32 v1, 7, v1
	v_lshl_add_u32 v6, v6, 10, 0x2000
	s_delay_alu instid0(VALU_DEP_2) | instskip(NEXT) | instid1(VALU_DEP_2)
	v_and_b32_e32 v0, 0x8000, v0
	v_and_b32_e32 v6, 0xfc00, v6
	s_delay_alu instid0(VALU_DEP_1)
	v_or3_b32 v84, v0, v6, v1
.LBB277_168:                            ;   in Loop: Header=BB277_15 Depth=1
	s_or_b32 exec_lo, exec_lo, s18
.LBB277_169:                            ;   in Loop: Header=BB277_15 Depth=1
	s_delay_alu instid0(SALU_CYCLE_1)
	s_or_b32 exec_lo, exec_lo, s17
.LBB277_170:                            ;   in Loop: Header=BB277_15 Depth=1
	s_delay_alu instid0(SALU_CYCLE_1)
	s_or_b32 exec_lo, exec_lo, s16
	v_dual_mov_b32 v86, 0 :: v_dual_mov_b32 v87, 0
	s_mov_b32 s16, exec_lo
	v_cmpx_lt_u32_e32 0xffffff, v4
	s_cbranch_execz .LBB277_178
; %bb.171:                              ;   in Loop: Header=BB277_15 Depth=1
	v_lshrrev_b32_e32 v24, 24, v4
	v_bfrev_b32_e32 v87, 1
	s_mov_b32 s17, exec_lo
	s_delay_alu instid0(VALU_DEP_2)
	v_cmpx_ne_u32_e32 0x80, v24
	s_cbranch_execz .LBB277_177
; %bb.172:                              ;   in Loop: Header=BB277_15 Depth=1
	v_and_b32_e32 v6, 0x7f, v24
	v_mov_b32_e32 v87, 0x7c010000
	s_mov_b32 s18, exec_lo
	s_delay_alu instid0(VALU_DEP_2)
	v_cmpx_ne_u32_e32 0x7f, v6
	s_cbranch_execz .LBB277_176
; %bb.173:                              ;   in Loop: Header=BB277_15 Depth=1
	v_dual_lshrrev_b32 v1, 3, v6 :: v_dual_bitop2_b32 v0, 7, v24 bitop3:0x40
	s_mov_b32 s19, exec_lo
	v_cmpx_gt_u32_e32 8, v6
; %bb.174:                              ;   in Loop: Header=BB277_15 Depth=1
	s_delay_alu instid0(VALU_DEP_2) | instskip(NEXT) | instid1(VALU_DEP_1)
	v_clz_i32_u32_e32 v0, v0
	v_min_u32_e32 v6, 32, v0
	s_delay_alu instid0(VALU_DEP_1) | instskip(NEXT) | instid1(VALU_DEP_1)
	v_subrev_nc_u32_e32 v0, 28, v6
	v_lshlrev_b64_e32 v[0:1], v0, v[24:25]
	s_delay_alu instid0(VALU_DEP_1)
	v_dual_sub_nc_u32 v1, 29, v6 :: v_dual_bitop2_b32 v0, 7, v0 bitop3:0x40
; %bb.175:                              ;   in Loop: Header=BB277_15 Depth=1
	s_or_b32 exec_lo, exec_lo, s19
	v_lshlrev_b32_e32 v6, 8, v24
	s_delay_alu instid0(VALU_DEP_2) | instskip(NEXT) | instid1(VALU_DEP_3)
	v_lshl_add_u32 v1, v1, 10, 0x2000
	v_lshlrev_b32_e32 v0, 23, v0
	s_delay_alu instid0(VALU_DEP_2) | instskip(NEXT) | instid1(VALU_DEP_1)
	v_and_or_b32 v1, 0x8000, v6, v1
	v_lshl_or_b32 v87, v1, 16, v0
.LBB277_176:                            ;   in Loop: Header=BB277_15 Depth=1
	s_or_b32 exec_lo, exec_lo, s18
.LBB277_177:                            ;   in Loop: Header=BB277_15 Depth=1
	s_delay_alu instid0(SALU_CYCLE_1)
	s_or_b32 exec_lo, exec_lo, s17
.LBB277_178:                            ;   in Loop: Header=BB277_15 Depth=1
	s_delay_alu instid0(SALU_CYCLE_1) | instskip(SKIP_3) | instid1(VALU_DEP_2)
	s_or_b32 exec_lo, exec_lo, s16
	v_and_b32_e32 v0, 0xff, v5
	v_mov_b32_e32 v24, v5
	s_mov_b32 s16, exec_lo
	v_cmpx_ne_u16_e32 0, v0
	s_cbranch_execz .LBB277_186
; %bb.179:                              ;   in Loop: Header=BB277_15 Depth=1
	v_mov_b32_e32 v86, 0x8000
	s_mov_b32 s17, exec_lo
	v_cmpx_ne_u16_e32 0x80, v0
	s_cbranch_execz .LBB277_185
; %bb.180:                              ;   in Loop: Header=BB277_15 Depth=1
	v_and_b32_e32 v6, 0x7f, v5
	v_mov_b32_e32 v86, 0x7c01
	s_mov_b32 s18, exec_lo
	s_delay_alu instid0(VALU_DEP_2)
	v_cmpx_ne_u32_e32 0x7f, v6
	s_cbranch_execz .LBB277_184
; %bb.181:                              ;   in Loop: Header=BB277_15 Depth=1
	v_dual_lshrrev_b32 v1, 3, v6 :: v_dual_bitop2_b32 v0, 7, v5 bitop3:0x40
	s_mov_b32 s19, exec_lo
	v_cmpx_gt_u32_e32 8, v6
; %bb.182:                              ;   in Loop: Header=BB277_15 Depth=1
	s_delay_alu instid0(VALU_DEP_2) | instskip(NEXT) | instid1(VALU_DEP_1)
	v_clz_i32_u32_e32 v0, v0
	v_min_u32_e32 v6, 32, v0
	s_delay_alu instid0(VALU_DEP_1) | instskip(NEXT) | instid1(VALU_DEP_1)
	v_subrev_nc_u32_e32 v0, 28, v6
	v_lshlrev_b64_e32 v[0:1], v0, v[24:25]
	s_delay_alu instid0(VALU_DEP_1)
	v_dual_sub_nc_u32 v1, 29, v6 :: v_dual_bitop2_b32 v0, 7, v0 bitop3:0x40
; %bb.183:                              ;   in Loop: Header=BB277_15 Depth=1
	s_or_b32 exec_lo, exec_lo, s19
	s_delay_alu instid0(VALU_DEP_1) | instskip(NEXT) | instid1(VALU_DEP_2)
	v_dual_lshlrev_b32 v6, 8, v5 :: v_dual_lshlrev_b32 v0, 7, v0
	v_lshl_add_u32 v1, v1, 10, 0x2000
	s_delay_alu instid0(VALU_DEP_2) | instskip(NEXT) | instid1(VALU_DEP_2)
	v_and_b32_e32 v6, 0x8000, v6
	v_and_b32_e32 v1, 0xfc00, v1
	s_delay_alu instid0(VALU_DEP_1)
	v_or3_b32 v86, v6, v1, v0
.LBB277_184:                            ;   in Loop: Header=BB277_15 Depth=1
	s_or_b32 exec_lo, exec_lo, s18
.LBB277_185:                            ;   in Loop: Header=BB277_15 Depth=1
	s_delay_alu instid0(SALU_CYCLE_1)
	s_or_b32 exec_lo, exec_lo, s17
.LBB277_186:                            ;   in Loop: Header=BB277_15 Depth=1
	s_delay_alu instid0(SALU_CYCLE_1) | instskip(SKIP_3) | instid1(VALU_DEP_2)
	s_or_b32 exec_lo, exec_lo, s16
	v_lshrrev_b16 v24, 8, v24
	v_dual_mov_b32 v97, 0 :: v_dual_mov_b32 v96, 0
	s_mov_b32 s16, exec_lo
	v_cmpx_ne_u16_e32 0, v24
	s_cbranch_execz .LBB277_194
; %bb.187:                              ;   in Loop: Header=BB277_15 Depth=1
	v_bfrev_b32_e32 v96, 1
	s_mov_b32 s17, exec_lo
	v_cmpx_ne_u16_e32 0x80, v24
	s_cbranch_execz .LBB277_193
; %bb.188:                              ;   in Loop: Header=BB277_15 Depth=1
	v_and_b32_e32 v0, 0xffff, v24
	v_mov_b32_e32 v96, 0x7c010000
	s_mov_b32 s18, exec_lo
	s_delay_alu instid0(VALU_DEP_2) | instskip(NEXT) | instid1(VALU_DEP_1)
	v_and_b32_e32 v7, 0x7f, v0
	v_cmpx_ne_u32_e32 0x7f, v7
	s_cbranch_execz .LBB277_192
; %bb.189:                              ;   in Loop: Header=BB277_15 Depth=1
	v_dual_lshrrev_b32 v6, 3, v7 :: v_dual_bitop2_b32 v1, 7, v0 bitop3:0x40
	s_mov_b32 s19, exec_lo
	v_cmpx_gt_u32_e32 8, v7
; %bb.190:                              ;   in Loop: Header=BB277_15 Depth=1
	s_delay_alu instid0(VALU_DEP_2) | instskip(NEXT) | instid1(VALU_DEP_1)
	v_clz_i32_u32_e32 v1, v1
	v_min_u32_e32 v1, 32, v1
	s_delay_alu instid0(VALU_DEP_1) | instskip(NEXT) | instid1(VALU_DEP_1)
	v_subrev_nc_u32_e32 v6, 28, v1
	v_lshlrev_b64_e32 v[8:9], v6, v[24:25]
	s_delay_alu instid0(VALU_DEP_1)
	v_dual_sub_nc_u32 v6, 29, v1 :: v_dual_bitop2_b32 v1, 7, v8 bitop3:0x40
; %bb.191:                              ;   in Loop: Header=BB277_15 Depth=1
	s_or_b32 exec_lo, exec_lo, s19
	s_delay_alu instid0(VALU_DEP_1) | instskip(NEXT) | instid1(VALU_DEP_2)
	v_dual_lshlrev_b32 v0, 8, v0 :: v_dual_lshlrev_b32 v1, 23, v1
	v_lshl_add_u32 v6, v6, 10, 0x2000
	s_delay_alu instid0(VALU_DEP_1) | instskip(NEXT) | instid1(VALU_DEP_1)
	v_and_or_b32 v0, 0x8000, v0, v6
	v_lshl_or_b32 v96, v0, 16, v1
.LBB277_192:                            ;   in Loop: Header=BB277_15 Depth=1
	s_or_b32 exec_lo, exec_lo, s18
.LBB277_193:                            ;   in Loop: Header=BB277_15 Depth=1
	s_delay_alu instid0(SALU_CYCLE_1)
	s_or_b32 exec_lo, exec_lo, s17
.LBB277_194:                            ;   in Loop: Header=BB277_15 Depth=1
	s_delay_alu instid0(SALU_CYCLE_1) | instskip(SKIP_2) | instid1(VALU_DEP_1)
	s_or_b32 exec_lo, exec_lo, s16
	v_lshrrev_b32_e32 v0, 16, v5
	s_mov_b32 s16, exec_lo
	v_and_b32_e32 v1, 0xff, v0
	s_delay_alu instid0(VALU_DEP_1)
	v_cmpx_ne_u16_e32 0, v1
	s_cbranch_execz .LBB277_202
; %bb.195:                              ;   in Loop: Header=BB277_15 Depth=1
	v_mov_b32_e32 v97, 0x8000
	s_mov_b32 s17, exec_lo
	v_cmpx_ne_u16_e32 0x80, v1
	s_cbranch_execz .LBB277_201
; %bb.196:                              ;   in Loop: Header=BB277_15 Depth=1
	v_bfe_u32 v7, v5, 16, 7
	v_mov_b32_e32 v97, 0x7c01
	s_mov_b32 s18, exec_lo
	s_delay_alu instid0(VALU_DEP_2)
	v_cmpx_ne_u32_e32 0x7f, v7
	s_cbranch_execz .LBB277_200
; %bb.197:                              ;   in Loop: Header=BB277_15 Depth=1
	v_dual_lshrrev_b32 v6, 3, v7 :: v_dual_bitop2_b32 v1, 7, v0 bitop3:0x40
	s_mov_b32 s19, exec_lo
	v_cmpx_gt_u32_e32 8, v7
; %bb.198:                              ;   in Loop: Header=BB277_15 Depth=1
	s_delay_alu instid0(VALU_DEP_2) | instskip(NEXT) | instid1(VALU_DEP_1)
	v_clz_i32_u32_e32 v1, v1
	v_min_u32_e32 v1, 32, v1
	s_delay_alu instid0(VALU_DEP_1) | instskip(NEXT) | instid1(VALU_DEP_1)
	v_subrev_nc_u32_e32 v6, 28, v1
	v_lshlrev_b64_e32 v[8:9], v6, v[0:1]
	s_delay_alu instid0(VALU_DEP_1)
	v_dual_sub_nc_u32 v6, 29, v1 :: v_dual_bitop2_b32 v1, 7, v8 bitop3:0x40
; %bb.199:                              ;   in Loop: Header=BB277_15 Depth=1
	s_or_b32 exec_lo, exec_lo, s19
	s_delay_alu instid0(VALU_DEP_1) | instskip(NEXT) | instid1(VALU_DEP_2)
	v_dual_lshlrev_b32 v0, 8, v0 :: v_dual_lshlrev_b32 v1, 7, v1
	v_lshl_add_u32 v6, v6, 10, 0x2000
	s_delay_alu instid0(VALU_DEP_2) | instskip(NEXT) | instid1(VALU_DEP_2)
	v_and_b32_e32 v0, 0x8000, v0
	v_and_b32_e32 v6, 0xfc00, v6
	s_delay_alu instid0(VALU_DEP_1)
	v_or3_b32 v97, v0, v6, v1
.LBB277_200:                            ;   in Loop: Header=BB277_15 Depth=1
	s_or_b32 exec_lo, exec_lo, s18
.LBB277_201:                            ;   in Loop: Header=BB277_15 Depth=1
	s_delay_alu instid0(SALU_CYCLE_1)
	s_or_b32 exec_lo, exec_lo, s17
.LBB277_202:                            ;   in Loop: Header=BB277_15 Depth=1
	s_delay_alu instid0(SALU_CYCLE_1)
	s_or_b32 exec_lo, exec_lo, s16
	v_dual_mov_b32 v98, 0 :: v_dual_mov_b32 v99, 0
	s_mov_b32 s16, exec_lo
	v_cmpx_lt_u64_e64 s[8:9], v[4:5]
	s_cbranch_execz .LBB277_210
; %bb.203:                              ;   in Loop: Header=BB277_15 Depth=1
	v_lshrrev_b32_e32 v24, 24, v5
	v_bfrev_b32_e32 v99, 1
	s_mov_b32 s17, exec_lo
	s_delay_alu instid0(VALU_DEP_2)
	v_cmpx_ne_u32_e32 0x80, v24
	s_cbranch_execz .LBB277_209
; %bb.204:                              ;   in Loop: Header=BB277_15 Depth=1
	v_and_b32_e32 v4, 0x7f, v24
	v_mov_b32_e32 v99, 0x7c010000
	s_mov_b32 s18, exec_lo
	s_delay_alu instid0(VALU_DEP_2)
	v_cmpx_ne_u32_e32 0x7f, v4
	s_cbranch_execz .LBB277_208
; %bb.205:                              ;   in Loop: Header=BB277_15 Depth=1
	v_and_b32_e32 v0, 7, v24
	v_lshrrev_b32_e32 v1, 3, v4
	s_mov_b32 s19, exec_lo
	v_cmpx_gt_u32_e32 8, v4
; %bb.206:                              ;   in Loop: Header=BB277_15 Depth=1
	s_delay_alu instid0(VALU_DEP_3) | instskip(NEXT) | instid1(VALU_DEP_1)
	v_clz_i32_u32_e32 v0, v0
	v_min_u32_e32 v4, 32, v0
	s_delay_alu instid0(VALU_DEP_1) | instskip(NEXT) | instid1(VALU_DEP_1)
	v_subrev_nc_u32_e32 v0, 28, v4
	v_lshlrev_b64_e32 v[0:1], v0, v[24:25]
	v_sub_nc_u32_e32 v1, 29, v4
	s_delay_alu instid0(VALU_DEP_2)
	v_and_b32_e32 v0, 7, v0
; %bb.207:                              ;   in Loop: Header=BB277_15 Depth=1
	s_or_b32 exec_lo, exec_lo, s19
	v_lshlrev_b32_e32 v4, 8, v24
	s_delay_alu instid0(VALU_DEP_3) | instskip(NEXT) | instid1(VALU_DEP_3)
	v_lshl_add_u32 v1, v1, 10, 0x2000
	v_lshlrev_b32_e32 v0, 23, v0
	s_delay_alu instid0(VALU_DEP_2) | instskip(NEXT) | instid1(VALU_DEP_1)
	v_and_or_b32 v1, 0x8000, v4, v1
	v_lshl_or_b32 v99, v1, 16, v0
.LBB277_208:                            ;   in Loop: Header=BB277_15 Depth=1
	s_or_b32 exec_lo, exec_lo, s18
.LBB277_209:                            ;   in Loop: Header=BB277_15 Depth=1
	s_delay_alu instid0(SALU_CYCLE_1)
	s_or_b32 exec_lo, exec_lo, s17
.LBB277_210:                            ;   in Loop: Header=BB277_15 Depth=1
	s_delay_alu instid0(SALU_CYCLE_1)
	s_or_b32 exec_lo, exec_lo, s16
	flat_load_b64 v[4:5], v[2:3] offset:520
	s_mov_b32 s16, exec_lo
	s_wait_loadcnt_dscnt 0x0
	v_and_b32_e32 v0, 0xff, v4
	s_wait_xcnt 0x0
	s_delay_alu instid0(VALU_DEP_1)
	v_cmpx_ne_u16_e32 0, v0
	s_cbranch_execz .LBB277_218
; %bb.211:                              ;   in Loop: Header=BB277_15 Depth=1
	v_mov_b32_e32 v98, 0x8000
	s_mov_b32 s17, exec_lo
	v_cmpx_ne_u16_e32 0x80, v0
	s_cbranch_execz .LBB277_217
; %bb.212:                              ;   in Loop: Header=BB277_15 Depth=1
	v_and_b32_e32 v6, 0x7f, v4
	v_mov_b32_e32 v98, 0x7c01
	s_mov_b32 s18, exec_lo
	s_delay_alu instid0(VALU_DEP_2)
	v_cmpx_ne_u32_e32 0x7f, v6
	s_cbranch_execz .LBB277_216
; %bb.213:                              ;   in Loop: Header=BB277_15 Depth=1
	v_dual_lshrrev_b32 v1, 3, v6 :: v_dual_bitop2_b32 v0, 7, v4 bitop3:0x40
	s_mov_b32 s19, exec_lo
	v_cmpx_gt_u32_e32 8, v6
; %bb.214:                              ;   in Loop: Header=BB277_15 Depth=1
	s_delay_alu instid0(VALU_DEP_2) | instskip(NEXT) | instid1(VALU_DEP_1)
	v_clz_i32_u32_e32 v0, v0
	v_min_u32_e32 v6, 32, v0
	s_delay_alu instid0(VALU_DEP_1) | instskip(NEXT) | instid1(VALU_DEP_1)
	v_subrev_nc_u32_e32 v0, 28, v6
	v_lshlrev_b64_e32 v[0:1], v0, v[4:5]
	s_delay_alu instid0(VALU_DEP_1)
	v_dual_sub_nc_u32 v1, 29, v6 :: v_dual_bitop2_b32 v0, 7, v0 bitop3:0x40
; %bb.215:                              ;   in Loop: Header=BB277_15 Depth=1
	s_or_b32 exec_lo, exec_lo, s19
	v_lshlrev_b32_e32 v6, 8, v4
	s_delay_alu instid0(VALU_DEP_2) | instskip(NEXT) | instid1(VALU_DEP_3)
	v_lshl_add_u32 v1, v1, 10, 0x2000
	v_lshlrev_b32_e32 v0, 7, v0
	s_delay_alu instid0(VALU_DEP_3) | instskip(NEXT) | instid1(VALU_DEP_3)
	v_and_b32_e32 v6, 0x8000, v6
	v_and_b32_e32 v1, 0xfc00, v1
	s_delay_alu instid0(VALU_DEP_1)
	v_or3_b32 v98, v6, v1, v0
.LBB277_216:                            ;   in Loop: Header=BB277_15 Depth=1
	s_or_b32 exec_lo, exec_lo, s18
.LBB277_217:                            ;   in Loop: Header=BB277_15 Depth=1
	s_delay_alu instid0(SALU_CYCLE_1)
	s_or_b32 exec_lo, exec_lo, s17
.LBB277_218:                            ;   in Loop: Header=BB277_15 Depth=1
	s_delay_alu instid0(SALU_CYCLE_1) | instskip(SKIP_3) | instid1(VALU_DEP_2)
	s_or_b32 exec_lo, exec_lo, s16
	v_lshrrev_b16 v24, 8, v4
	v_dual_mov_b32 v100, 0 :: v_dual_mov_b32 v101, 0
	s_mov_b32 s16, exec_lo
	v_cmpx_ne_u16_e32 0, v24
	s_cbranch_execz .LBB277_226
; %bb.219:                              ;   in Loop: Header=BB277_15 Depth=1
	v_bfrev_b32_e32 v101, 1
	s_mov_b32 s17, exec_lo
	v_cmpx_ne_u16_e32 0x80, v24
	s_cbranch_execz .LBB277_225
; %bb.220:                              ;   in Loop: Header=BB277_15 Depth=1
	v_and_b32_e32 v0, 0xffff, v24
	v_mov_b32_e32 v101, 0x7c010000
	s_mov_b32 s18, exec_lo
	s_delay_alu instid0(VALU_DEP_2) | instskip(NEXT) | instid1(VALU_DEP_1)
	v_and_b32_e32 v7, 0x7f, v0
	v_cmpx_ne_u32_e32 0x7f, v7
	s_cbranch_execz .LBB277_224
; %bb.221:                              ;   in Loop: Header=BB277_15 Depth=1
	v_dual_lshrrev_b32 v6, 3, v7 :: v_dual_bitop2_b32 v1, 7, v0 bitop3:0x40
	s_mov_b32 s19, exec_lo
	v_cmpx_gt_u32_e32 8, v7
; %bb.222:                              ;   in Loop: Header=BB277_15 Depth=1
	s_delay_alu instid0(VALU_DEP_2) | instskip(NEXT) | instid1(VALU_DEP_1)
	v_clz_i32_u32_e32 v1, v1
	v_min_u32_e32 v1, 32, v1
	s_delay_alu instid0(VALU_DEP_1) | instskip(NEXT) | instid1(VALU_DEP_1)
	v_subrev_nc_u32_e32 v6, 28, v1
	v_lshlrev_b64_e32 v[8:9], v6, v[24:25]
	s_delay_alu instid0(VALU_DEP_1)
	v_dual_sub_nc_u32 v6, 29, v1 :: v_dual_bitop2_b32 v1, 7, v8 bitop3:0x40
; %bb.223:                              ;   in Loop: Header=BB277_15 Depth=1
	s_or_b32 exec_lo, exec_lo, s19
	s_delay_alu instid0(VALU_DEP_1) | instskip(NEXT) | instid1(VALU_DEP_2)
	v_dual_lshlrev_b32 v0, 8, v0 :: v_dual_lshlrev_b32 v1, 23, v1
	v_lshl_add_u32 v6, v6, 10, 0x2000
	s_delay_alu instid0(VALU_DEP_1) | instskip(NEXT) | instid1(VALU_DEP_1)
	v_and_or_b32 v0, 0x8000, v0, v6
	v_lshl_or_b32 v101, v0, 16, v1
.LBB277_224:                            ;   in Loop: Header=BB277_15 Depth=1
	s_or_b32 exec_lo, exec_lo, s18
.LBB277_225:                            ;   in Loop: Header=BB277_15 Depth=1
	s_delay_alu instid0(SALU_CYCLE_1)
	s_or_b32 exec_lo, exec_lo, s17
.LBB277_226:                            ;   in Loop: Header=BB277_15 Depth=1
	s_delay_alu instid0(SALU_CYCLE_1) | instskip(SKIP_2) | instid1(VALU_DEP_1)
	s_or_b32 exec_lo, exec_lo, s16
	v_lshrrev_b32_e32 v0, 16, v4
	s_mov_b32 s16, exec_lo
	v_and_b32_e32 v1, 0xff, v0
	s_delay_alu instid0(VALU_DEP_1)
	v_cmpx_ne_u16_e32 0, v1
	s_cbranch_execz .LBB277_234
; %bb.227:                              ;   in Loop: Header=BB277_15 Depth=1
	v_mov_b32_e32 v100, 0x8000
	s_mov_b32 s17, exec_lo
	v_cmpx_ne_u16_e32 0x80, v1
	s_cbranch_execz .LBB277_233
; %bb.228:                              ;   in Loop: Header=BB277_15 Depth=1
	v_bfe_u32 v7, v4, 16, 7
	v_mov_b32_e32 v100, 0x7c01
	s_mov_b32 s18, exec_lo
	s_delay_alu instid0(VALU_DEP_2)
	v_cmpx_ne_u32_e32 0x7f, v7
	s_cbranch_execz .LBB277_232
; %bb.229:                              ;   in Loop: Header=BB277_15 Depth=1
	v_dual_lshrrev_b32 v6, 3, v7 :: v_dual_bitop2_b32 v1, 7, v0 bitop3:0x40
	s_mov_b32 s19, exec_lo
	v_cmpx_gt_u32_e32 8, v7
; %bb.230:                              ;   in Loop: Header=BB277_15 Depth=1
	s_delay_alu instid0(VALU_DEP_2) | instskip(NEXT) | instid1(VALU_DEP_1)
	v_clz_i32_u32_e32 v1, v1
	v_min_u32_e32 v1, 32, v1
	s_delay_alu instid0(VALU_DEP_1) | instskip(NEXT) | instid1(VALU_DEP_1)
	v_subrev_nc_u32_e32 v6, 28, v1
	v_lshlrev_b64_e32 v[8:9], v6, v[0:1]
	s_delay_alu instid0(VALU_DEP_1)
	v_dual_sub_nc_u32 v6, 29, v1 :: v_dual_bitop2_b32 v1, 7, v8 bitop3:0x40
; %bb.231:                              ;   in Loop: Header=BB277_15 Depth=1
	s_or_b32 exec_lo, exec_lo, s19
	s_delay_alu instid0(VALU_DEP_1) | instskip(NEXT) | instid1(VALU_DEP_2)
	v_dual_lshlrev_b32 v0, 8, v0 :: v_dual_lshlrev_b32 v1, 7, v1
	v_lshl_add_u32 v6, v6, 10, 0x2000
	s_delay_alu instid0(VALU_DEP_2) | instskip(NEXT) | instid1(VALU_DEP_2)
	v_and_b32_e32 v0, 0x8000, v0
	v_and_b32_e32 v6, 0xfc00, v6
	s_delay_alu instid0(VALU_DEP_1)
	v_or3_b32 v100, v0, v6, v1
.LBB277_232:                            ;   in Loop: Header=BB277_15 Depth=1
	s_or_b32 exec_lo, exec_lo, s18
.LBB277_233:                            ;   in Loop: Header=BB277_15 Depth=1
	s_delay_alu instid0(SALU_CYCLE_1)
	s_or_b32 exec_lo, exec_lo, s17
.LBB277_234:                            ;   in Loop: Header=BB277_15 Depth=1
	s_delay_alu instid0(SALU_CYCLE_1)
	s_or_b32 exec_lo, exec_lo, s16
	v_dual_mov_b32 v102, 0 :: v_dual_mov_b32 v103, 0
	s_mov_b32 s16, exec_lo
	v_cmpx_lt_u32_e32 0xffffff, v4
	s_cbranch_execz .LBB277_242
; %bb.235:                              ;   in Loop: Header=BB277_15 Depth=1
	v_lshrrev_b32_e32 v24, 24, v4
	v_bfrev_b32_e32 v103, 1
	s_mov_b32 s17, exec_lo
	s_delay_alu instid0(VALU_DEP_2)
	v_cmpx_ne_u32_e32 0x80, v24
	s_cbranch_execz .LBB277_241
; %bb.236:                              ;   in Loop: Header=BB277_15 Depth=1
	v_and_b32_e32 v6, 0x7f, v24
	v_mov_b32_e32 v103, 0x7c010000
	s_mov_b32 s18, exec_lo
	s_delay_alu instid0(VALU_DEP_2)
	v_cmpx_ne_u32_e32 0x7f, v6
	s_cbranch_execz .LBB277_240
; %bb.237:                              ;   in Loop: Header=BB277_15 Depth=1
	v_dual_lshrrev_b32 v1, 3, v6 :: v_dual_bitop2_b32 v0, 7, v24 bitop3:0x40
	s_mov_b32 s19, exec_lo
	v_cmpx_gt_u32_e32 8, v6
; %bb.238:                              ;   in Loop: Header=BB277_15 Depth=1
	s_delay_alu instid0(VALU_DEP_2) | instskip(NEXT) | instid1(VALU_DEP_1)
	v_clz_i32_u32_e32 v0, v0
	v_min_u32_e32 v6, 32, v0
	s_delay_alu instid0(VALU_DEP_1) | instskip(NEXT) | instid1(VALU_DEP_1)
	v_subrev_nc_u32_e32 v0, 28, v6
	v_lshlrev_b64_e32 v[0:1], v0, v[24:25]
	s_delay_alu instid0(VALU_DEP_1)
	v_dual_sub_nc_u32 v1, 29, v6 :: v_dual_bitop2_b32 v0, 7, v0 bitop3:0x40
; %bb.239:                              ;   in Loop: Header=BB277_15 Depth=1
	s_or_b32 exec_lo, exec_lo, s19
	v_lshlrev_b32_e32 v6, 8, v24
	s_delay_alu instid0(VALU_DEP_2) | instskip(NEXT) | instid1(VALU_DEP_3)
	v_lshl_add_u32 v1, v1, 10, 0x2000
	v_lshlrev_b32_e32 v0, 23, v0
	s_delay_alu instid0(VALU_DEP_2) | instskip(NEXT) | instid1(VALU_DEP_1)
	v_and_or_b32 v1, 0x8000, v6, v1
	v_lshl_or_b32 v103, v1, 16, v0
.LBB277_240:                            ;   in Loop: Header=BB277_15 Depth=1
	s_or_b32 exec_lo, exec_lo, s18
.LBB277_241:                            ;   in Loop: Header=BB277_15 Depth=1
	s_delay_alu instid0(SALU_CYCLE_1)
	s_or_b32 exec_lo, exec_lo, s17
.LBB277_242:                            ;   in Loop: Header=BB277_15 Depth=1
	s_delay_alu instid0(SALU_CYCLE_1) | instskip(SKIP_3) | instid1(VALU_DEP_2)
	s_or_b32 exec_lo, exec_lo, s16
	v_and_b32_e32 v0, 0xff, v5
	v_mov_b32_e32 v24, v5
	s_mov_b32 s16, exec_lo
	v_cmpx_ne_u16_e32 0, v0
	s_cbranch_execz .LBB277_250
; %bb.243:                              ;   in Loop: Header=BB277_15 Depth=1
	v_mov_b32_e32 v102, 0x8000
	s_mov_b32 s17, exec_lo
	v_cmpx_ne_u16_e32 0x80, v0
	s_cbranch_execz .LBB277_249
; %bb.244:                              ;   in Loop: Header=BB277_15 Depth=1
	v_and_b32_e32 v6, 0x7f, v5
	v_mov_b32_e32 v102, 0x7c01
	s_mov_b32 s18, exec_lo
	s_delay_alu instid0(VALU_DEP_2)
	v_cmpx_ne_u32_e32 0x7f, v6
	s_cbranch_execz .LBB277_248
; %bb.245:                              ;   in Loop: Header=BB277_15 Depth=1
	v_dual_lshrrev_b32 v1, 3, v6 :: v_dual_bitop2_b32 v0, 7, v5 bitop3:0x40
	s_mov_b32 s19, exec_lo
	v_cmpx_gt_u32_e32 8, v6
; %bb.246:                              ;   in Loop: Header=BB277_15 Depth=1
	s_delay_alu instid0(VALU_DEP_2) | instskip(NEXT) | instid1(VALU_DEP_1)
	v_clz_i32_u32_e32 v0, v0
	v_min_u32_e32 v6, 32, v0
	s_delay_alu instid0(VALU_DEP_1) | instskip(NEXT) | instid1(VALU_DEP_1)
	v_subrev_nc_u32_e32 v0, 28, v6
	v_lshlrev_b64_e32 v[0:1], v0, v[24:25]
	s_delay_alu instid0(VALU_DEP_1)
	v_dual_sub_nc_u32 v1, 29, v6 :: v_dual_bitop2_b32 v0, 7, v0 bitop3:0x40
; %bb.247:                              ;   in Loop: Header=BB277_15 Depth=1
	s_or_b32 exec_lo, exec_lo, s19
	s_delay_alu instid0(VALU_DEP_1) | instskip(NEXT) | instid1(VALU_DEP_2)
	v_dual_lshlrev_b32 v6, 8, v5 :: v_dual_lshlrev_b32 v0, 7, v0
	v_lshl_add_u32 v1, v1, 10, 0x2000
	s_delay_alu instid0(VALU_DEP_2) | instskip(NEXT) | instid1(VALU_DEP_2)
	v_and_b32_e32 v6, 0x8000, v6
	v_and_b32_e32 v1, 0xfc00, v1
	s_delay_alu instid0(VALU_DEP_1)
	v_or3_b32 v102, v6, v1, v0
.LBB277_248:                            ;   in Loop: Header=BB277_15 Depth=1
	s_or_b32 exec_lo, exec_lo, s18
.LBB277_249:                            ;   in Loop: Header=BB277_15 Depth=1
	s_delay_alu instid0(SALU_CYCLE_1)
	s_or_b32 exec_lo, exec_lo, s17
.LBB277_250:                            ;   in Loop: Header=BB277_15 Depth=1
	s_delay_alu instid0(SALU_CYCLE_1) | instskip(SKIP_3) | instid1(VALU_DEP_2)
	s_or_b32 exec_lo, exec_lo, s16
	v_lshrrev_b16 v24, 8, v24
	v_dual_mov_b32 v112, 0 :: v_dual_mov_b32 v113, 0
	s_mov_b32 s16, exec_lo
	v_cmpx_ne_u16_e32 0, v24
	s_cbranch_execz .LBB277_258
; %bb.251:                              ;   in Loop: Header=BB277_15 Depth=1
	v_bfrev_b32_e32 v113, 1
	s_mov_b32 s17, exec_lo
	v_cmpx_ne_u16_e32 0x80, v24
	s_cbranch_execz .LBB277_257
; %bb.252:                              ;   in Loop: Header=BB277_15 Depth=1
	v_and_b32_e32 v0, 0xffff, v24
	v_mov_b32_e32 v113, 0x7c010000
	s_mov_b32 s18, exec_lo
	s_delay_alu instid0(VALU_DEP_2) | instskip(NEXT) | instid1(VALU_DEP_1)
	v_and_b32_e32 v7, 0x7f, v0
	v_cmpx_ne_u32_e32 0x7f, v7
	s_cbranch_execz .LBB277_256
; %bb.253:                              ;   in Loop: Header=BB277_15 Depth=1
	v_dual_lshrrev_b32 v6, 3, v7 :: v_dual_bitop2_b32 v1, 7, v0 bitop3:0x40
	s_mov_b32 s19, exec_lo
	v_cmpx_gt_u32_e32 8, v7
; %bb.254:                              ;   in Loop: Header=BB277_15 Depth=1
	s_delay_alu instid0(VALU_DEP_2) | instskip(NEXT) | instid1(VALU_DEP_1)
	v_clz_i32_u32_e32 v1, v1
	v_min_u32_e32 v1, 32, v1
	s_delay_alu instid0(VALU_DEP_1) | instskip(NEXT) | instid1(VALU_DEP_1)
	v_subrev_nc_u32_e32 v6, 28, v1
	v_lshlrev_b64_e32 v[8:9], v6, v[24:25]
	s_delay_alu instid0(VALU_DEP_1)
	v_dual_sub_nc_u32 v6, 29, v1 :: v_dual_bitop2_b32 v1, 7, v8 bitop3:0x40
; %bb.255:                              ;   in Loop: Header=BB277_15 Depth=1
	s_or_b32 exec_lo, exec_lo, s19
	s_delay_alu instid0(VALU_DEP_1) | instskip(NEXT) | instid1(VALU_DEP_2)
	v_dual_lshlrev_b32 v0, 8, v0 :: v_dual_lshlrev_b32 v1, 23, v1
	v_lshl_add_u32 v6, v6, 10, 0x2000
	s_delay_alu instid0(VALU_DEP_1) | instskip(NEXT) | instid1(VALU_DEP_1)
	v_and_or_b32 v0, 0x8000, v0, v6
	v_lshl_or_b32 v113, v0, 16, v1
.LBB277_256:                            ;   in Loop: Header=BB277_15 Depth=1
	s_or_b32 exec_lo, exec_lo, s18
.LBB277_257:                            ;   in Loop: Header=BB277_15 Depth=1
	s_delay_alu instid0(SALU_CYCLE_1)
	s_or_b32 exec_lo, exec_lo, s17
.LBB277_258:                            ;   in Loop: Header=BB277_15 Depth=1
	s_delay_alu instid0(SALU_CYCLE_1) | instskip(SKIP_2) | instid1(VALU_DEP_1)
	s_or_b32 exec_lo, exec_lo, s16
	v_lshrrev_b32_e32 v0, 16, v5
	s_mov_b32 s16, exec_lo
	v_and_b32_e32 v1, 0xff, v0
	s_delay_alu instid0(VALU_DEP_1)
	v_cmpx_ne_u16_e32 0, v1
	s_cbranch_execz .LBB277_266
; %bb.259:                              ;   in Loop: Header=BB277_15 Depth=1
	v_mov_b32_e32 v112, 0x8000
	s_mov_b32 s17, exec_lo
	v_cmpx_ne_u16_e32 0x80, v1
	s_cbranch_execz .LBB277_265
; %bb.260:                              ;   in Loop: Header=BB277_15 Depth=1
	v_bfe_u32 v7, v5, 16, 7
	v_mov_b32_e32 v112, 0x7c01
	s_mov_b32 s18, exec_lo
	s_delay_alu instid0(VALU_DEP_2)
	v_cmpx_ne_u32_e32 0x7f, v7
	s_cbranch_execz .LBB277_264
; %bb.261:                              ;   in Loop: Header=BB277_15 Depth=1
	v_dual_lshrrev_b32 v6, 3, v7 :: v_dual_bitop2_b32 v1, 7, v0 bitop3:0x40
	s_mov_b32 s19, exec_lo
	v_cmpx_gt_u32_e32 8, v7
; %bb.262:                              ;   in Loop: Header=BB277_15 Depth=1
	s_delay_alu instid0(VALU_DEP_2) | instskip(NEXT) | instid1(VALU_DEP_1)
	v_clz_i32_u32_e32 v1, v1
	v_min_u32_e32 v1, 32, v1
	s_delay_alu instid0(VALU_DEP_1) | instskip(NEXT) | instid1(VALU_DEP_1)
	v_subrev_nc_u32_e32 v6, 28, v1
	v_lshlrev_b64_e32 v[8:9], v6, v[0:1]
	s_delay_alu instid0(VALU_DEP_1)
	v_dual_sub_nc_u32 v6, 29, v1 :: v_dual_bitop2_b32 v1, 7, v8 bitop3:0x40
; %bb.263:                              ;   in Loop: Header=BB277_15 Depth=1
	s_or_b32 exec_lo, exec_lo, s19
	s_delay_alu instid0(VALU_DEP_1) | instskip(NEXT) | instid1(VALU_DEP_2)
	v_dual_lshlrev_b32 v0, 8, v0 :: v_dual_lshlrev_b32 v1, 7, v1
	v_lshl_add_u32 v6, v6, 10, 0x2000
	s_delay_alu instid0(VALU_DEP_2) | instskip(NEXT) | instid1(VALU_DEP_2)
	v_and_b32_e32 v0, 0x8000, v0
	v_and_b32_e32 v6, 0xfc00, v6
	s_delay_alu instid0(VALU_DEP_1)
	v_or3_b32 v112, v0, v6, v1
.LBB277_264:                            ;   in Loop: Header=BB277_15 Depth=1
	s_or_b32 exec_lo, exec_lo, s18
.LBB277_265:                            ;   in Loop: Header=BB277_15 Depth=1
	s_delay_alu instid0(SALU_CYCLE_1)
	s_or_b32 exec_lo, exec_lo, s17
.LBB277_266:                            ;   in Loop: Header=BB277_15 Depth=1
	s_delay_alu instid0(SALU_CYCLE_1)
	s_or_b32 exec_lo, exec_lo, s16
	v_dual_mov_b32 v94, 0 :: v_dual_mov_b32 v115, 0
	s_mov_b32 s16, exec_lo
	v_cmpx_lt_u64_e64 s[8:9], v[4:5]
	s_cbranch_execz .LBB277_274
; %bb.267:                              ;   in Loop: Header=BB277_15 Depth=1
	v_lshrrev_b32_e32 v24, 24, v5
	v_bfrev_b32_e32 v115, 1
	s_mov_b32 s17, exec_lo
	s_delay_alu instid0(VALU_DEP_2)
	v_cmpx_ne_u32_e32 0x80, v24
	s_cbranch_execz .LBB277_273
; %bb.268:                              ;   in Loop: Header=BB277_15 Depth=1
	v_and_b32_e32 v4, 0x7f, v24
	v_mov_b32_e32 v115, 0x7c010000
	s_mov_b32 s18, exec_lo
	s_delay_alu instid0(VALU_DEP_2)
	v_cmpx_ne_u32_e32 0x7f, v4
	s_cbranch_execz .LBB277_272
; %bb.269:                              ;   in Loop: Header=BB277_15 Depth=1
	v_and_b32_e32 v0, 7, v24
	v_lshrrev_b32_e32 v1, 3, v4
	s_mov_b32 s19, exec_lo
	v_cmpx_gt_u32_e32 8, v4
; %bb.270:                              ;   in Loop: Header=BB277_15 Depth=1
	s_delay_alu instid0(VALU_DEP_3) | instskip(NEXT) | instid1(VALU_DEP_1)
	v_clz_i32_u32_e32 v0, v0
	v_min_u32_e32 v4, 32, v0
	s_delay_alu instid0(VALU_DEP_1) | instskip(NEXT) | instid1(VALU_DEP_1)
	v_subrev_nc_u32_e32 v0, 28, v4
	v_lshlrev_b64_e32 v[0:1], v0, v[24:25]
	v_sub_nc_u32_e32 v1, 29, v4
	s_delay_alu instid0(VALU_DEP_2)
	v_and_b32_e32 v0, 7, v0
; %bb.271:                              ;   in Loop: Header=BB277_15 Depth=1
	s_or_b32 exec_lo, exec_lo, s19
	v_lshlrev_b32_e32 v4, 8, v24
	s_delay_alu instid0(VALU_DEP_3) | instskip(NEXT) | instid1(VALU_DEP_3)
	v_lshl_add_u32 v1, v1, 10, 0x2000
	v_lshlrev_b32_e32 v0, 23, v0
	s_delay_alu instid0(VALU_DEP_2) | instskip(NEXT) | instid1(VALU_DEP_1)
	v_and_or_b32 v1, 0x8000, v4, v1
	v_lshl_or_b32 v115, v1, 16, v0
.LBB277_272:                            ;   in Loop: Header=BB277_15 Depth=1
	s_or_b32 exec_lo, exec_lo, s18
.LBB277_273:                            ;   in Loop: Header=BB277_15 Depth=1
	s_delay_alu instid0(SALU_CYCLE_1)
	s_or_b32 exec_lo, exec_lo, s17
.LBB277_274:                            ;   in Loop: Header=BB277_15 Depth=1
	s_delay_alu instid0(SALU_CYCLE_1)
	s_or_b32 exec_lo, exec_lo, s16
	flat_load_b64 v[4:5], v[2:3] offset:1024
	s_mov_b32 s16, exec_lo
	s_wait_loadcnt_dscnt 0x0
	v_and_b32_e32 v0, 0xff, v4
	s_wait_xcnt 0x0
	s_delay_alu instid0(VALU_DEP_1)
	v_cmpx_ne_u16_e32 0, v0
	s_cbranch_execz .LBB277_282
; %bb.275:                              ;   in Loop: Header=BB277_15 Depth=1
	v_mov_b32_e32 v94, 0x8000
	s_mov_b32 s17, exec_lo
	v_cmpx_ne_u16_e32 0x80, v0
	s_cbranch_execz .LBB277_281
; %bb.276:                              ;   in Loop: Header=BB277_15 Depth=1
	v_and_b32_e32 v6, 0x7f, v4
	v_mov_b32_e32 v94, 0x7c01
	s_mov_b32 s18, exec_lo
	s_delay_alu instid0(VALU_DEP_2)
	v_cmpx_ne_u32_e32 0x7f, v6
	s_cbranch_execz .LBB277_280
; %bb.277:                              ;   in Loop: Header=BB277_15 Depth=1
	v_dual_lshrrev_b32 v1, 3, v6 :: v_dual_bitop2_b32 v0, 7, v4 bitop3:0x40
	s_mov_b32 s19, exec_lo
	v_cmpx_gt_u32_e32 8, v6
; %bb.278:                              ;   in Loop: Header=BB277_15 Depth=1
	s_delay_alu instid0(VALU_DEP_2) | instskip(NEXT) | instid1(VALU_DEP_1)
	v_clz_i32_u32_e32 v0, v0
	v_min_u32_e32 v6, 32, v0
	s_delay_alu instid0(VALU_DEP_1) | instskip(NEXT) | instid1(VALU_DEP_1)
	v_subrev_nc_u32_e32 v0, 28, v6
	v_lshlrev_b64_e32 v[0:1], v0, v[4:5]
	s_delay_alu instid0(VALU_DEP_1)
	v_dual_sub_nc_u32 v1, 29, v6 :: v_dual_bitop2_b32 v0, 7, v0 bitop3:0x40
; %bb.279:                              ;   in Loop: Header=BB277_15 Depth=1
	s_or_b32 exec_lo, exec_lo, s19
	v_lshlrev_b32_e32 v6, 8, v4
	s_delay_alu instid0(VALU_DEP_2) | instskip(NEXT) | instid1(VALU_DEP_3)
	v_lshl_add_u32 v1, v1, 10, 0x2000
	v_lshlrev_b32_e32 v0, 7, v0
	s_delay_alu instid0(VALU_DEP_3) | instskip(NEXT) | instid1(VALU_DEP_3)
	v_and_b32_e32 v6, 0x8000, v6
	v_and_b32_e32 v1, 0xfc00, v1
	s_delay_alu instid0(VALU_DEP_1)
	v_or3_b32 v94, v6, v1, v0
.LBB277_280:                            ;   in Loop: Header=BB277_15 Depth=1
	s_or_b32 exec_lo, exec_lo, s18
.LBB277_281:                            ;   in Loop: Header=BB277_15 Depth=1
	s_delay_alu instid0(SALU_CYCLE_1)
	s_or_b32 exec_lo, exec_lo, s17
.LBB277_282:                            ;   in Loop: Header=BB277_15 Depth=1
	s_delay_alu instid0(SALU_CYCLE_1) | instskip(SKIP_3) | instid1(VALU_DEP_2)
	s_or_b32 exec_lo, exec_lo, s16
	v_lshrrev_b16 v24, 8, v4
	v_dual_mov_b32 v114, 0 :: v_dual_mov_b32 v117, 0
	s_mov_b32 s16, exec_lo
	v_cmpx_ne_u16_e32 0, v24
	s_cbranch_execz .LBB277_290
; %bb.283:                              ;   in Loop: Header=BB277_15 Depth=1
	v_bfrev_b32_e32 v117, 1
	s_mov_b32 s17, exec_lo
	v_cmpx_ne_u16_e32 0x80, v24
	s_cbranch_execz .LBB277_289
; %bb.284:                              ;   in Loop: Header=BB277_15 Depth=1
	v_and_b32_e32 v0, 0xffff, v24
	v_mov_b32_e32 v117, 0x7c010000
	s_mov_b32 s18, exec_lo
	s_delay_alu instid0(VALU_DEP_2) | instskip(NEXT) | instid1(VALU_DEP_1)
	v_and_b32_e32 v7, 0x7f, v0
	v_cmpx_ne_u32_e32 0x7f, v7
	s_cbranch_execz .LBB277_288
; %bb.285:                              ;   in Loop: Header=BB277_15 Depth=1
	v_dual_lshrrev_b32 v6, 3, v7 :: v_dual_bitop2_b32 v1, 7, v0 bitop3:0x40
	s_mov_b32 s19, exec_lo
	v_cmpx_gt_u32_e32 8, v7
; %bb.286:                              ;   in Loop: Header=BB277_15 Depth=1
	s_delay_alu instid0(VALU_DEP_2) | instskip(NEXT) | instid1(VALU_DEP_1)
	v_clz_i32_u32_e32 v1, v1
	v_min_u32_e32 v1, 32, v1
	s_delay_alu instid0(VALU_DEP_1) | instskip(NEXT) | instid1(VALU_DEP_1)
	v_subrev_nc_u32_e32 v6, 28, v1
	v_lshlrev_b64_e32 v[8:9], v6, v[24:25]
	s_delay_alu instid0(VALU_DEP_1)
	v_dual_sub_nc_u32 v6, 29, v1 :: v_dual_bitop2_b32 v1, 7, v8 bitop3:0x40
; %bb.287:                              ;   in Loop: Header=BB277_15 Depth=1
	s_or_b32 exec_lo, exec_lo, s19
	s_delay_alu instid0(VALU_DEP_1) | instskip(NEXT) | instid1(VALU_DEP_2)
	v_dual_lshlrev_b32 v0, 8, v0 :: v_dual_lshlrev_b32 v1, 23, v1
	v_lshl_add_u32 v6, v6, 10, 0x2000
	s_delay_alu instid0(VALU_DEP_1) | instskip(NEXT) | instid1(VALU_DEP_1)
	v_and_or_b32 v0, 0x8000, v0, v6
	v_lshl_or_b32 v117, v0, 16, v1
.LBB277_288:                            ;   in Loop: Header=BB277_15 Depth=1
	s_or_b32 exec_lo, exec_lo, s18
.LBB277_289:                            ;   in Loop: Header=BB277_15 Depth=1
	s_delay_alu instid0(SALU_CYCLE_1)
	s_or_b32 exec_lo, exec_lo, s17
.LBB277_290:                            ;   in Loop: Header=BB277_15 Depth=1
	s_delay_alu instid0(SALU_CYCLE_1) | instskip(SKIP_2) | instid1(VALU_DEP_1)
	s_or_b32 exec_lo, exec_lo, s16
	v_lshrrev_b32_e32 v0, 16, v4
	s_mov_b32 s16, exec_lo
	v_and_b32_e32 v1, 0xff, v0
	s_delay_alu instid0(VALU_DEP_1)
	v_cmpx_ne_u16_e32 0, v1
	s_cbranch_execz .LBB277_298
; %bb.291:                              ;   in Loop: Header=BB277_15 Depth=1
	v_mov_b32_e32 v114, 0x8000
	s_mov_b32 s17, exec_lo
	v_cmpx_ne_u16_e32 0x80, v1
	s_cbranch_execz .LBB277_297
; %bb.292:                              ;   in Loop: Header=BB277_15 Depth=1
	v_bfe_u32 v7, v4, 16, 7
	v_mov_b32_e32 v114, 0x7c01
	s_mov_b32 s18, exec_lo
	s_delay_alu instid0(VALU_DEP_2)
	v_cmpx_ne_u32_e32 0x7f, v7
	s_cbranch_execz .LBB277_296
; %bb.293:                              ;   in Loop: Header=BB277_15 Depth=1
	v_dual_lshrrev_b32 v6, 3, v7 :: v_dual_bitop2_b32 v1, 7, v0 bitop3:0x40
	s_mov_b32 s19, exec_lo
	v_cmpx_gt_u32_e32 8, v7
; %bb.294:                              ;   in Loop: Header=BB277_15 Depth=1
	s_delay_alu instid0(VALU_DEP_2) | instskip(NEXT) | instid1(VALU_DEP_1)
	v_clz_i32_u32_e32 v1, v1
	v_min_u32_e32 v1, 32, v1
	s_delay_alu instid0(VALU_DEP_1) | instskip(NEXT) | instid1(VALU_DEP_1)
	v_subrev_nc_u32_e32 v6, 28, v1
	v_lshlrev_b64_e32 v[8:9], v6, v[0:1]
	s_delay_alu instid0(VALU_DEP_1)
	v_dual_sub_nc_u32 v6, 29, v1 :: v_dual_bitop2_b32 v1, 7, v8 bitop3:0x40
; %bb.295:                              ;   in Loop: Header=BB277_15 Depth=1
	s_or_b32 exec_lo, exec_lo, s19
	s_delay_alu instid0(VALU_DEP_1) | instskip(NEXT) | instid1(VALU_DEP_2)
	v_dual_lshlrev_b32 v0, 8, v0 :: v_dual_lshlrev_b32 v1, 7, v1
	v_lshl_add_u32 v6, v6, 10, 0x2000
	s_delay_alu instid0(VALU_DEP_2) | instskip(NEXT) | instid1(VALU_DEP_2)
	v_and_b32_e32 v0, 0x8000, v0
	v_and_b32_e32 v6, 0xfc00, v6
	s_delay_alu instid0(VALU_DEP_1)
	v_or3_b32 v114, v0, v6, v1
.LBB277_296:                            ;   in Loop: Header=BB277_15 Depth=1
	s_or_b32 exec_lo, exec_lo, s18
.LBB277_297:                            ;   in Loop: Header=BB277_15 Depth=1
	s_delay_alu instid0(SALU_CYCLE_1)
	s_or_b32 exec_lo, exec_lo, s17
.LBB277_298:                            ;   in Loop: Header=BB277_15 Depth=1
	s_delay_alu instid0(SALU_CYCLE_1)
	s_or_b32 exec_lo, exec_lo, s16
	v_dual_mov_b32 v116, 0 :: v_dual_mov_b32 v119, 0
	s_mov_b32 s16, exec_lo
	v_cmpx_lt_u32_e32 0xffffff, v4
	s_cbranch_execz .LBB277_306
; %bb.299:                              ;   in Loop: Header=BB277_15 Depth=1
	v_lshrrev_b32_e32 v24, 24, v4
	v_bfrev_b32_e32 v119, 1
	s_mov_b32 s17, exec_lo
	s_delay_alu instid0(VALU_DEP_2)
	v_cmpx_ne_u32_e32 0x80, v24
	s_cbranch_execz .LBB277_305
; %bb.300:                              ;   in Loop: Header=BB277_15 Depth=1
	v_and_b32_e32 v6, 0x7f, v24
	v_mov_b32_e32 v119, 0x7c010000
	s_mov_b32 s18, exec_lo
	s_delay_alu instid0(VALU_DEP_2)
	v_cmpx_ne_u32_e32 0x7f, v6
	s_cbranch_execz .LBB277_304
; %bb.301:                              ;   in Loop: Header=BB277_15 Depth=1
	v_dual_lshrrev_b32 v1, 3, v6 :: v_dual_bitop2_b32 v0, 7, v24 bitop3:0x40
	s_mov_b32 s19, exec_lo
	v_cmpx_gt_u32_e32 8, v6
; %bb.302:                              ;   in Loop: Header=BB277_15 Depth=1
	s_delay_alu instid0(VALU_DEP_2) | instskip(NEXT) | instid1(VALU_DEP_1)
	v_clz_i32_u32_e32 v0, v0
	v_min_u32_e32 v6, 32, v0
	s_delay_alu instid0(VALU_DEP_1) | instskip(NEXT) | instid1(VALU_DEP_1)
	v_subrev_nc_u32_e32 v0, 28, v6
	v_lshlrev_b64_e32 v[0:1], v0, v[24:25]
	s_delay_alu instid0(VALU_DEP_1)
	v_dual_sub_nc_u32 v1, 29, v6 :: v_dual_bitop2_b32 v0, 7, v0 bitop3:0x40
; %bb.303:                              ;   in Loop: Header=BB277_15 Depth=1
	s_or_b32 exec_lo, exec_lo, s19
	v_lshlrev_b32_e32 v6, 8, v24
	s_delay_alu instid0(VALU_DEP_2) | instskip(NEXT) | instid1(VALU_DEP_3)
	v_lshl_add_u32 v1, v1, 10, 0x2000
	v_lshlrev_b32_e32 v0, 23, v0
	s_delay_alu instid0(VALU_DEP_2) | instskip(NEXT) | instid1(VALU_DEP_1)
	v_and_or_b32 v1, 0x8000, v6, v1
	v_lshl_or_b32 v119, v1, 16, v0
.LBB277_304:                            ;   in Loop: Header=BB277_15 Depth=1
	s_or_b32 exec_lo, exec_lo, s18
.LBB277_305:                            ;   in Loop: Header=BB277_15 Depth=1
	s_delay_alu instid0(SALU_CYCLE_1)
	s_or_b32 exec_lo, exec_lo, s17
.LBB277_306:                            ;   in Loop: Header=BB277_15 Depth=1
	s_delay_alu instid0(SALU_CYCLE_1) | instskip(SKIP_3) | instid1(VALU_DEP_2)
	s_or_b32 exec_lo, exec_lo, s16
	v_and_b32_e32 v0, 0xff, v5
	v_mov_b32_e32 v24, v5
	s_mov_b32 s16, exec_lo
	v_cmpx_ne_u16_e32 0, v0
	s_cbranch_execz .LBB277_314
; %bb.307:                              ;   in Loop: Header=BB277_15 Depth=1
	v_mov_b32_e32 v116, 0x8000
	s_mov_b32 s17, exec_lo
	v_cmpx_ne_u16_e32 0x80, v0
	s_cbranch_execz .LBB277_313
; %bb.308:                              ;   in Loop: Header=BB277_15 Depth=1
	v_and_b32_e32 v6, 0x7f, v5
	v_mov_b32_e32 v116, 0x7c01
	s_mov_b32 s18, exec_lo
	s_delay_alu instid0(VALU_DEP_2)
	v_cmpx_ne_u32_e32 0x7f, v6
	s_cbranch_execz .LBB277_312
; %bb.309:                              ;   in Loop: Header=BB277_15 Depth=1
	v_dual_lshrrev_b32 v1, 3, v6 :: v_dual_bitop2_b32 v0, 7, v5 bitop3:0x40
	s_mov_b32 s19, exec_lo
	v_cmpx_gt_u32_e32 8, v6
; %bb.310:                              ;   in Loop: Header=BB277_15 Depth=1
	s_delay_alu instid0(VALU_DEP_2) | instskip(NEXT) | instid1(VALU_DEP_1)
	v_clz_i32_u32_e32 v0, v0
	v_min_u32_e32 v6, 32, v0
	s_delay_alu instid0(VALU_DEP_1) | instskip(NEXT) | instid1(VALU_DEP_1)
	v_subrev_nc_u32_e32 v0, 28, v6
	v_lshlrev_b64_e32 v[0:1], v0, v[24:25]
	s_delay_alu instid0(VALU_DEP_1)
	v_dual_sub_nc_u32 v1, 29, v6 :: v_dual_bitop2_b32 v0, 7, v0 bitop3:0x40
; %bb.311:                              ;   in Loop: Header=BB277_15 Depth=1
	s_or_b32 exec_lo, exec_lo, s19
	s_delay_alu instid0(VALU_DEP_1) | instskip(NEXT) | instid1(VALU_DEP_2)
	v_dual_lshlrev_b32 v6, 8, v5 :: v_dual_lshlrev_b32 v0, 7, v0
	v_lshl_add_u32 v1, v1, 10, 0x2000
	s_delay_alu instid0(VALU_DEP_2) | instskip(NEXT) | instid1(VALU_DEP_2)
	v_and_b32_e32 v6, 0x8000, v6
	v_and_b32_e32 v1, 0xfc00, v1
	s_delay_alu instid0(VALU_DEP_1)
	v_or3_b32 v116, v6, v1, v0
.LBB277_312:                            ;   in Loop: Header=BB277_15 Depth=1
	s_or_b32 exec_lo, exec_lo, s18
.LBB277_313:                            ;   in Loop: Header=BB277_15 Depth=1
	s_delay_alu instid0(SALU_CYCLE_1)
	s_or_b32 exec_lo, exec_lo, s17
.LBB277_314:                            ;   in Loop: Header=BB277_15 Depth=1
	s_delay_alu instid0(SALU_CYCLE_1) | instskip(SKIP_3) | instid1(VALU_DEP_2)
	s_or_b32 exec_lo, exec_lo, s16
	v_lshrrev_b16 v24, 8, v24
	v_dual_mov_b32 v40, 0 :: v_dual_mov_b32 v41, 0
	s_mov_b32 s16, exec_lo
	v_cmpx_ne_u16_e32 0, v24
	s_cbranch_execz .LBB277_322
; %bb.315:                              ;   in Loop: Header=BB277_15 Depth=1
	v_bfrev_b32_e32 v41, 1
	s_mov_b32 s17, exec_lo
	v_cmpx_ne_u16_e32 0x80, v24
	s_cbranch_execz .LBB277_321
; %bb.316:                              ;   in Loop: Header=BB277_15 Depth=1
	v_and_b32_e32 v0, 0xffff, v24
	v_mov_b32_e32 v41, 0x7c010000
	s_mov_b32 s18, exec_lo
	s_delay_alu instid0(VALU_DEP_2) | instskip(NEXT) | instid1(VALU_DEP_1)
	v_and_b32_e32 v7, 0x7f, v0
	v_cmpx_ne_u32_e32 0x7f, v7
	s_cbranch_execz .LBB277_320
; %bb.317:                              ;   in Loop: Header=BB277_15 Depth=1
	v_dual_lshrrev_b32 v6, 3, v7 :: v_dual_bitop2_b32 v1, 7, v0 bitop3:0x40
	s_mov_b32 s19, exec_lo
	v_cmpx_gt_u32_e32 8, v7
; %bb.318:                              ;   in Loop: Header=BB277_15 Depth=1
	s_delay_alu instid0(VALU_DEP_2) | instskip(NEXT) | instid1(VALU_DEP_1)
	v_clz_i32_u32_e32 v1, v1
	v_min_u32_e32 v1, 32, v1
	s_delay_alu instid0(VALU_DEP_1) | instskip(NEXT) | instid1(VALU_DEP_1)
	v_subrev_nc_u32_e32 v6, 28, v1
	v_lshlrev_b64_e32 v[8:9], v6, v[24:25]
	s_delay_alu instid0(VALU_DEP_1)
	v_dual_sub_nc_u32 v6, 29, v1 :: v_dual_bitop2_b32 v1, 7, v8 bitop3:0x40
; %bb.319:                              ;   in Loop: Header=BB277_15 Depth=1
	s_or_b32 exec_lo, exec_lo, s19
	s_delay_alu instid0(VALU_DEP_1) | instskip(NEXT) | instid1(VALU_DEP_2)
	v_dual_lshlrev_b32 v0, 8, v0 :: v_dual_lshlrev_b32 v1, 23, v1
	v_lshl_add_u32 v6, v6, 10, 0x2000
	s_delay_alu instid0(VALU_DEP_1) | instskip(NEXT) | instid1(VALU_DEP_1)
	v_and_or_b32 v0, 0x8000, v0, v6
	v_lshl_or_b32 v41, v0, 16, v1
.LBB277_320:                            ;   in Loop: Header=BB277_15 Depth=1
	s_or_b32 exec_lo, exec_lo, s18
.LBB277_321:                            ;   in Loop: Header=BB277_15 Depth=1
	s_delay_alu instid0(SALU_CYCLE_1)
	s_or_b32 exec_lo, exec_lo, s17
.LBB277_322:                            ;   in Loop: Header=BB277_15 Depth=1
	s_delay_alu instid0(SALU_CYCLE_1) | instskip(SKIP_2) | instid1(VALU_DEP_1)
	s_or_b32 exec_lo, exec_lo, s16
	v_lshrrev_b32_e32 v0, 16, v5
	s_mov_b32 s16, exec_lo
	v_and_b32_e32 v1, 0xff, v0
	s_delay_alu instid0(VALU_DEP_1)
	v_cmpx_ne_u16_e32 0, v1
	s_cbranch_execz .LBB277_330
; %bb.323:                              ;   in Loop: Header=BB277_15 Depth=1
	v_mov_b32_e32 v40, 0x8000
	s_mov_b32 s17, exec_lo
	v_cmpx_ne_u16_e32 0x80, v1
	s_cbranch_execz .LBB277_329
; %bb.324:                              ;   in Loop: Header=BB277_15 Depth=1
	v_bfe_u32 v7, v5, 16, 7
	v_mov_b32_e32 v40, 0x7c01
	s_mov_b32 s18, exec_lo
	s_delay_alu instid0(VALU_DEP_2)
	v_cmpx_ne_u32_e32 0x7f, v7
	s_cbranch_execz .LBB277_328
; %bb.325:                              ;   in Loop: Header=BB277_15 Depth=1
	v_dual_lshrrev_b32 v6, 3, v7 :: v_dual_bitop2_b32 v1, 7, v0 bitop3:0x40
	s_mov_b32 s19, exec_lo
	v_cmpx_gt_u32_e32 8, v7
; %bb.326:                              ;   in Loop: Header=BB277_15 Depth=1
	s_delay_alu instid0(VALU_DEP_2) | instskip(NEXT) | instid1(VALU_DEP_1)
	v_clz_i32_u32_e32 v1, v1
	v_min_u32_e32 v1, 32, v1
	s_delay_alu instid0(VALU_DEP_1) | instskip(NEXT) | instid1(VALU_DEP_1)
	v_subrev_nc_u32_e32 v6, 28, v1
	v_lshlrev_b64_e32 v[8:9], v6, v[0:1]
	s_delay_alu instid0(VALU_DEP_1)
	v_dual_sub_nc_u32 v6, 29, v1 :: v_dual_bitop2_b32 v1, 7, v8 bitop3:0x40
; %bb.327:                              ;   in Loop: Header=BB277_15 Depth=1
	s_or_b32 exec_lo, exec_lo, s19
	s_delay_alu instid0(VALU_DEP_1) | instskip(NEXT) | instid1(VALU_DEP_2)
	v_dual_lshlrev_b32 v0, 8, v0 :: v_dual_lshlrev_b32 v1, 7, v1
	v_lshl_add_u32 v6, v6, 10, 0x2000
	s_delay_alu instid0(VALU_DEP_2) | instskip(NEXT) | instid1(VALU_DEP_2)
	v_and_b32_e32 v0, 0x8000, v0
	v_and_b32_e32 v6, 0xfc00, v6
	s_delay_alu instid0(VALU_DEP_1)
	v_or3_b32 v40, v0, v6, v1
.LBB277_328:                            ;   in Loop: Header=BB277_15 Depth=1
	s_or_b32 exec_lo, exec_lo, s18
.LBB277_329:                            ;   in Loop: Header=BB277_15 Depth=1
	s_delay_alu instid0(SALU_CYCLE_1)
	s_or_b32 exec_lo, exec_lo, s17
.LBB277_330:                            ;   in Loop: Header=BB277_15 Depth=1
	s_delay_alu instid0(SALU_CYCLE_1)
	s_or_b32 exec_lo, exec_lo, s16
	v_dual_mov_b32 v118, 0 :: v_dual_mov_b32 v59, 0
	s_mov_b32 s16, exec_lo
	v_cmpx_lt_u64_e64 s[8:9], v[4:5]
	s_cbranch_execz .LBB277_338
; %bb.331:                              ;   in Loop: Header=BB277_15 Depth=1
	v_lshrrev_b32_e32 v24, 24, v5
	v_bfrev_b32_e32 v59, 1
	s_mov_b32 s17, exec_lo
	s_delay_alu instid0(VALU_DEP_2)
	v_cmpx_ne_u32_e32 0x80, v24
	s_cbranch_execz .LBB277_337
; %bb.332:                              ;   in Loop: Header=BB277_15 Depth=1
	v_and_b32_e32 v4, 0x7f, v24
	v_mov_b32_e32 v59, 0x7c010000
	s_mov_b32 s18, exec_lo
	s_delay_alu instid0(VALU_DEP_2)
	v_cmpx_ne_u32_e32 0x7f, v4
	s_cbranch_execz .LBB277_336
; %bb.333:                              ;   in Loop: Header=BB277_15 Depth=1
	v_and_b32_e32 v0, 7, v24
	v_lshrrev_b32_e32 v1, 3, v4
	s_mov_b32 s19, exec_lo
	v_cmpx_gt_u32_e32 8, v4
; %bb.334:                              ;   in Loop: Header=BB277_15 Depth=1
	s_delay_alu instid0(VALU_DEP_3) | instskip(NEXT) | instid1(VALU_DEP_1)
	v_clz_i32_u32_e32 v0, v0
	v_min_u32_e32 v4, 32, v0
	s_delay_alu instid0(VALU_DEP_1) | instskip(NEXT) | instid1(VALU_DEP_1)
	v_subrev_nc_u32_e32 v0, 28, v4
	v_lshlrev_b64_e32 v[0:1], v0, v[24:25]
	v_sub_nc_u32_e32 v1, 29, v4
	s_delay_alu instid0(VALU_DEP_2)
	v_and_b32_e32 v0, 7, v0
; %bb.335:                              ;   in Loop: Header=BB277_15 Depth=1
	s_or_b32 exec_lo, exec_lo, s19
	v_lshlrev_b32_e32 v4, 8, v24
	s_delay_alu instid0(VALU_DEP_3) | instskip(NEXT) | instid1(VALU_DEP_3)
	v_lshl_add_u32 v1, v1, 10, 0x2000
	v_lshlrev_b32_e32 v0, 23, v0
	s_delay_alu instid0(VALU_DEP_2) | instskip(NEXT) | instid1(VALU_DEP_1)
	v_and_or_b32 v1, 0x8000, v4, v1
	v_lshl_or_b32 v59, v1, 16, v0
.LBB277_336:                            ;   in Loop: Header=BB277_15 Depth=1
	s_or_b32 exec_lo, exec_lo, s18
.LBB277_337:                            ;   in Loop: Header=BB277_15 Depth=1
	s_delay_alu instid0(SALU_CYCLE_1)
	s_or_b32 exec_lo, exec_lo, s17
.LBB277_338:                            ;   in Loop: Header=BB277_15 Depth=1
	s_delay_alu instid0(SALU_CYCLE_1)
	s_or_b32 exec_lo, exec_lo, s16
	flat_load_b64 v[4:5], v[2:3] offset:1032
	s_mov_b32 s16, exec_lo
	s_wait_loadcnt_dscnt 0x0
	v_and_b32_e32 v0, 0xff, v4
	s_wait_xcnt 0x0
	s_delay_alu instid0(VALU_DEP_1)
	v_cmpx_ne_u16_e32 0, v0
	s_cbranch_execz .LBB277_346
; %bb.339:                              ;   in Loop: Header=BB277_15 Depth=1
	v_mov_b32_e32 v118, 0x8000
	s_mov_b32 s17, exec_lo
	v_cmpx_ne_u16_e32 0x80, v0
	s_cbranch_execz .LBB277_345
; %bb.340:                              ;   in Loop: Header=BB277_15 Depth=1
	v_and_b32_e32 v6, 0x7f, v4
	v_mov_b32_e32 v118, 0x7c01
	s_mov_b32 s18, exec_lo
	s_delay_alu instid0(VALU_DEP_2)
	v_cmpx_ne_u32_e32 0x7f, v6
	s_cbranch_execz .LBB277_344
; %bb.341:                              ;   in Loop: Header=BB277_15 Depth=1
	v_dual_lshrrev_b32 v1, 3, v6 :: v_dual_bitop2_b32 v0, 7, v4 bitop3:0x40
	s_mov_b32 s19, exec_lo
	v_cmpx_gt_u32_e32 8, v6
; %bb.342:                              ;   in Loop: Header=BB277_15 Depth=1
	s_delay_alu instid0(VALU_DEP_2) | instskip(NEXT) | instid1(VALU_DEP_1)
	v_clz_i32_u32_e32 v0, v0
	v_min_u32_e32 v6, 32, v0
	s_delay_alu instid0(VALU_DEP_1) | instskip(NEXT) | instid1(VALU_DEP_1)
	v_subrev_nc_u32_e32 v0, 28, v6
	v_lshlrev_b64_e32 v[0:1], v0, v[4:5]
	s_delay_alu instid0(VALU_DEP_1)
	v_dual_sub_nc_u32 v1, 29, v6 :: v_dual_bitop2_b32 v0, 7, v0 bitop3:0x40
; %bb.343:                              ;   in Loop: Header=BB277_15 Depth=1
	s_or_b32 exec_lo, exec_lo, s19
	v_lshlrev_b32_e32 v6, 8, v4
	s_delay_alu instid0(VALU_DEP_2) | instskip(NEXT) | instid1(VALU_DEP_3)
	v_lshl_add_u32 v1, v1, 10, 0x2000
	v_lshlrev_b32_e32 v0, 7, v0
	s_delay_alu instid0(VALU_DEP_3) | instskip(NEXT) | instid1(VALU_DEP_3)
	v_and_b32_e32 v6, 0x8000, v6
	v_and_b32_e32 v1, 0xfc00, v1
	s_delay_alu instid0(VALU_DEP_1)
	v_or3_b32 v118, v6, v1, v0
.LBB277_344:                            ;   in Loop: Header=BB277_15 Depth=1
	s_or_b32 exec_lo, exec_lo, s18
.LBB277_345:                            ;   in Loop: Header=BB277_15 Depth=1
	s_delay_alu instid0(SALU_CYCLE_1)
	s_or_b32 exec_lo, exec_lo, s17
.LBB277_346:                            ;   in Loop: Header=BB277_15 Depth=1
	s_delay_alu instid0(SALU_CYCLE_1) | instskip(SKIP_3) | instid1(VALU_DEP_2)
	s_or_b32 exec_lo, exec_lo, s16
	v_lshrrev_b16 v24, 8, v4
	v_dual_mov_b32 v73, 0 :: v_dual_mov_b32 v60, 0
	s_mov_b32 s16, exec_lo
	v_cmpx_ne_u16_e32 0, v24
	s_cbranch_execz .LBB277_354
; %bb.347:                              ;   in Loop: Header=BB277_15 Depth=1
	v_bfrev_b32_e32 v60, 1
	s_mov_b32 s17, exec_lo
	v_cmpx_ne_u16_e32 0x80, v24
	s_cbranch_execz .LBB277_353
; %bb.348:                              ;   in Loop: Header=BB277_15 Depth=1
	v_and_b32_e32 v0, 0xffff, v24
	v_mov_b32_e32 v60, 0x7c010000
	s_mov_b32 s18, exec_lo
	s_delay_alu instid0(VALU_DEP_2) | instskip(NEXT) | instid1(VALU_DEP_1)
	v_and_b32_e32 v7, 0x7f, v0
	v_cmpx_ne_u32_e32 0x7f, v7
	s_cbranch_execz .LBB277_352
; %bb.349:                              ;   in Loop: Header=BB277_15 Depth=1
	v_dual_lshrrev_b32 v6, 3, v7 :: v_dual_bitop2_b32 v1, 7, v0 bitop3:0x40
	s_mov_b32 s19, exec_lo
	v_cmpx_gt_u32_e32 8, v7
; %bb.350:                              ;   in Loop: Header=BB277_15 Depth=1
	s_delay_alu instid0(VALU_DEP_2) | instskip(NEXT) | instid1(VALU_DEP_1)
	v_clz_i32_u32_e32 v1, v1
	v_min_u32_e32 v1, 32, v1
	s_delay_alu instid0(VALU_DEP_1) | instskip(NEXT) | instid1(VALU_DEP_1)
	v_subrev_nc_u32_e32 v6, 28, v1
	v_lshlrev_b64_e32 v[8:9], v6, v[24:25]
	s_delay_alu instid0(VALU_DEP_1)
	v_dual_sub_nc_u32 v6, 29, v1 :: v_dual_bitop2_b32 v1, 7, v8 bitop3:0x40
; %bb.351:                              ;   in Loop: Header=BB277_15 Depth=1
	s_or_b32 exec_lo, exec_lo, s19
	s_delay_alu instid0(VALU_DEP_1) | instskip(NEXT) | instid1(VALU_DEP_2)
	v_dual_lshlrev_b32 v0, 8, v0 :: v_dual_lshlrev_b32 v1, 23, v1
	v_lshl_add_u32 v6, v6, 10, 0x2000
	s_delay_alu instid0(VALU_DEP_1) | instskip(NEXT) | instid1(VALU_DEP_1)
	v_and_or_b32 v0, 0x8000, v0, v6
	v_lshl_or_b32 v60, v0, 16, v1
.LBB277_352:                            ;   in Loop: Header=BB277_15 Depth=1
	s_or_b32 exec_lo, exec_lo, s18
.LBB277_353:                            ;   in Loop: Header=BB277_15 Depth=1
	s_delay_alu instid0(SALU_CYCLE_1)
	s_or_b32 exec_lo, exec_lo, s17
.LBB277_354:                            ;   in Loop: Header=BB277_15 Depth=1
	s_delay_alu instid0(SALU_CYCLE_1) | instskip(SKIP_2) | instid1(VALU_DEP_1)
	s_or_b32 exec_lo, exec_lo, s16
	v_lshrrev_b32_e32 v0, 16, v4
	s_mov_b32 s16, exec_lo
	v_and_b32_e32 v1, 0xff, v0
	s_delay_alu instid0(VALU_DEP_1)
	v_cmpx_ne_u16_e32 0, v1
	s_cbranch_execz .LBB277_362
; %bb.355:                              ;   in Loop: Header=BB277_15 Depth=1
	v_mov_b32_e32 v73, 0x8000
	s_mov_b32 s17, exec_lo
	v_cmpx_ne_u16_e32 0x80, v1
	s_cbranch_execz .LBB277_361
; %bb.356:                              ;   in Loop: Header=BB277_15 Depth=1
	v_bfe_u32 v7, v4, 16, 7
	v_mov_b32_e32 v73, 0x7c01
	s_mov_b32 s18, exec_lo
	s_delay_alu instid0(VALU_DEP_2)
	v_cmpx_ne_u32_e32 0x7f, v7
	s_cbranch_execz .LBB277_360
; %bb.357:                              ;   in Loop: Header=BB277_15 Depth=1
	v_dual_lshrrev_b32 v6, 3, v7 :: v_dual_bitop2_b32 v1, 7, v0 bitop3:0x40
	s_mov_b32 s19, exec_lo
	v_cmpx_gt_u32_e32 8, v7
; %bb.358:                              ;   in Loop: Header=BB277_15 Depth=1
	s_delay_alu instid0(VALU_DEP_2) | instskip(NEXT) | instid1(VALU_DEP_1)
	v_clz_i32_u32_e32 v1, v1
	v_min_u32_e32 v1, 32, v1
	s_delay_alu instid0(VALU_DEP_1) | instskip(NEXT) | instid1(VALU_DEP_1)
	v_subrev_nc_u32_e32 v6, 28, v1
	v_lshlrev_b64_e32 v[8:9], v6, v[0:1]
	s_delay_alu instid0(VALU_DEP_1)
	v_dual_sub_nc_u32 v6, 29, v1 :: v_dual_bitop2_b32 v1, 7, v8 bitop3:0x40
; %bb.359:                              ;   in Loop: Header=BB277_15 Depth=1
	s_or_b32 exec_lo, exec_lo, s19
	s_delay_alu instid0(VALU_DEP_1) | instskip(NEXT) | instid1(VALU_DEP_2)
	v_dual_lshlrev_b32 v0, 8, v0 :: v_dual_lshlrev_b32 v1, 7, v1
	v_lshl_add_u32 v6, v6, 10, 0x2000
	s_delay_alu instid0(VALU_DEP_2) | instskip(NEXT) | instid1(VALU_DEP_2)
	v_and_b32_e32 v0, 0x8000, v0
	v_and_b32_e32 v6, 0xfc00, v6
	s_delay_alu instid0(VALU_DEP_1)
	v_or3_b32 v73, v0, v6, v1
.LBB277_360:                            ;   in Loop: Header=BB277_15 Depth=1
	s_or_b32 exec_lo, exec_lo, s18
.LBB277_361:                            ;   in Loop: Header=BB277_15 Depth=1
	s_delay_alu instid0(SALU_CYCLE_1)
	s_or_b32 exec_lo, exec_lo, s17
.LBB277_362:                            ;   in Loop: Header=BB277_15 Depth=1
	s_delay_alu instid0(SALU_CYCLE_1)
	s_or_b32 exec_lo, exec_lo, s16
	v_dual_mov_b32 v90, 0 :: v_dual_mov_b32 v72, 0
	s_mov_b32 s16, exec_lo
	v_cmpx_lt_u32_e32 0xffffff, v4
	s_cbranch_execz .LBB277_370
; %bb.363:                              ;   in Loop: Header=BB277_15 Depth=1
	v_lshrrev_b32_e32 v24, 24, v4
	v_bfrev_b32_e32 v72, 1
	s_mov_b32 s17, exec_lo
	s_delay_alu instid0(VALU_DEP_2)
	v_cmpx_ne_u32_e32 0x80, v24
	s_cbranch_execz .LBB277_369
; %bb.364:                              ;   in Loop: Header=BB277_15 Depth=1
	v_and_b32_e32 v6, 0x7f, v24
	v_mov_b32_e32 v72, 0x7c010000
	s_mov_b32 s18, exec_lo
	s_delay_alu instid0(VALU_DEP_2)
	v_cmpx_ne_u32_e32 0x7f, v6
	s_cbranch_execz .LBB277_368
; %bb.365:                              ;   in Loop: Header=BB277_15 Depth=1
	v_dual_lshrrev_b32 v1, 3, v6 :: v_dual_bitop2_b32 v0, 7, v24 bitop3:0x40
	s_mov_b32 s19, exec_lo
	v_cmpx_gt_u32_e32 8, v6
; %bb.366:                              ;   in Loop: Header=BB277_15 Depth=1
	s_delay_alu instid0(VALU_DEP_2) | instskip(NEXT) | instid1(VALU_DEP_1)
	v_clz_i32_u32_e32 v0, v0
	v_min_u32_e32 v6, 32, v0
	s_delay_alu instid0(VALU_DEP_1) | instskip(NEXT) | instid1(VALU_DEP_1)
	v_subrev_nc_u32_e32 v0, 28, v6
	v_lshlrev_b64_e32 v[0:1], v0, v[24:25]
	s_delay_alu instid0(VALU_DEP_1)
	v_dual_sub_nc_u32 v1, 29, v6 :: v_dual_bitop2_b32 v0, 7, v0 bitop3:0x40
; %bb.367:                              ;   in Loop: Header=BB277_15 Depth=1
	s_or_b32 exec_lo, exec_lo, s19
	v_lshlrev_b32_e32 v6, 8, v24
	s_delay_alu instid0(VALU_DEP_2) | instskip(NEXT) | instid1(VALU_DEP_3)
	v_lshl_add_u32 v1, v1, 10, 0x2000
	v_lshlrev_b32_e32 v0, 23, v0
	s_delay_alu instid0(VALU_DEP_2) | instskip(NEXT) | instid1(VALU_DEP_1)
	v_and_or_b32 v1, 0x8000, v6, v1
	v_lshl_or_b32 v72, v1, 16, v0
.LBB277_368:                            ;   in Loop: Header=BB277_15 Depth=1
	s_or_b32 exec_lo, exec_lo, s18
.LBB277_369:                            ;   in Loop: Header=BB277_15 Depth=1
	s_delay_alu instid0(SALU_CYCLE_1)
	s_or_b32 exec_lo, exec_lo, s17
.LBB277_370:                            ;   in Loop: Header=BB277_15 Depth=1
	s_delay_alu instid0(SALU_CYCLE_1) | instskip(SKIP_3) | instid1(VALU_DEP_2)
	s_or_b32 exec_lo, exec_lo, s16
	v_and_b32_e32 v0, 0xff, v5
	v_mov_b32_e32 v24, v5
	s_mov_b32 s16, exec_lo
	v_cmpx_ne_u16_e32 0, v0
	s_cbranch_execz .LBB277_378
; %bb.371:                              ;   in Loop: Header=BB277_15 Depth=1
	v_mov_b32_e32 v90, 0x8000
	s_mov_b32 s17, exec_lo
	v_cmpx_ne_u16_e32 0x80, v0
	s_cbranch_execz .LBB277_377
; %bb.372:                              ;   in Loop: Header=BB277_15 Depth=1
	v_and_b32_e32 v6, 0x7f, v5
	v_mov_b32_e32 v90, 0x7c01
	s_mov_b32 s18, exec_lo
	s_delay_alu instid0(VALU_DEP_2)
	v_cmpx_ne_u32_e32 0x7f, v6
	s_cbranch_execz .LBB277_376
; %bb.373:                              ;   in Loop: Header=BB277_15 Depth=1
	v_dual_lshrrev_b32 v1, 3, v6 :: v_dual_bitop2_b32 v0, 7, v5 bitop3:0x40
	s_mov_b32 s19, exec_lo
	v_cmpx_gt_u32_e32 8, v6
; %bb.374:                              ;   in Loop: Header=BB277_15 Depth=1
	s_delay_alu instid0(VALU_DEP_2) | instskip(NEXT) | instid1(VALU_DEP_1)
	v_clz_i32_u32_e32 v0, v0
	v_min_u32_e32 v6, 32, v0
	s_delay_alu instid0(VALU_DEP_1) | instskip(NEXT) | instid1(VALU_DEP_1)
	v_subrev_nc_u32_e32 v0, 28, v6
	v_lshlrev_b64_e32 v[0:1], v0, v[24:25]
	s_delay_alu instid0(VALU_DEP_1)
	v_dual_sub_nc_u32 v1, 29, v6 :: v_dual_bitop2_b32 v0, 7, v0 bitop3:0x40
; %bb.375:                              ;   in Loop: Header=BB277_15 Depth=1
	s_or_b32 exec_lo, exec_lo, s19
	s_delay_alu instid0(VALU_DEP_1) | instskip(NEXT) | instid1(VALU_DEP_2)
	v_dual_lshlrev_b32 v6, 8, v5 :: v_dual_lshlrev_b32 v0, 7, v0
	v_lshl_add_u32 v1, v1, 10, 0x2000
	s_delay_alu instid0(VALU_DEP_2) | instskip(NEXT) | instid1(VALU_DEP_2)
	v_and_b32_e32 v6, 0x8000, v6
	v_and_b32_e32 v1, 0xfc00, v1
	s_delay_alu instid0(VALU_DEP_1)
	v_or3_b32 v90, v6, v1, v0
.LBB277_376:                            ;   in Loop: Header=BB277_15 Depth=1
	s_or_b32 exec_lo, exec_lo, s18
.LBB277_377:                            ;   in Loop: Header=BB277_15 Depth=1
	s_delay_alu instid0(SALU_CYCLE_1)
	s_or_b32 exec_lo, exec_lo, s17
.LBB277_378:                            ;   in Loop: Header=BB277_15 Depth=1
	s_delay_alu instid0(SALU_CYCLE_1) | instskip(SKIP_3) | instid1(VALU_DEP_2)
	s_or_b32 exec_lo, exec_lo, s16
	v_lshrrev_b16 v24, 8, v24
	v_dual_mov_b32 v58, 0 :: v_dual_mov_b32 v91, 0
	s_mov_b32 s16, exec_lo
	v_cmpx_ne_u16_e32 0, v24
	s_cbranch_execz .LBB277_386
; %bb.379:                              ;   in Loop: Header=BB277_15 Depth=1
	v_bfrev_b32_e32 v91, 1
	s_mov_b32 s17, exec_lo
	v_cmpx_ne_u16_e32 0x80, v24
	s_cbranch_execz .LBB277_385
; %bb.380:                              ;   in Loop: Header=BB277_15 Depth=1
	v_and_b32_e32 v0, 0xffff, v24
	v_mov_b32_e32 v91, 0x7c010000
	s_mov_b32 s18, exec_lo
	s_delay_alu instid0(VALU_DEP_2) | instskip(NEXT) | instid1(VALU_DEP_1)
	v_and_b32_e32 v7, 0x7f, v0
	v_cmpx_ne_u32_e32 0x7f, v7
	s_cbranch_execz .LBB277_384
; %bb.381:                              ;   in Loop: Header=BB277_15 Depth=1
	v_dual_lshrrev_b32 v6, 3, v7 :: v_dual_bitop2_b32 v1, 7, v0 bitop3:0x40
	s_mov_b32 s19, exec_lo
	v_cmpx_gt_u32_e32 8, v7
; %bb.382:                              ;   in Loop: Header=BB277_15 Depth=1
	s_delay_alu instid0(VALU_DEP_2) | instskip(NEXT) | instid1(VALU_DEP_1)
	v_clz_i32_u32_e32 v1, v1
	v_min_u32_e32 v1, 32, v1
	s_delay_alu instid0(VALU_DEP_1) | instskip(NEXT) | instid1(VALU_DEP_1)
	v_subrev_nc_u32_e32 v6, 28, v1
	v_lshlrev_b64_e32 v[8:9], v6, v[24:25]
	s_delay_alu instid0(VALU_DEP_1)
	v_dual_sub_nc_u32 v6, 29, v1 :: v_dual_bitop2_b32 v1, 7, v8 bitop3:0x40
; %bb.383:                              ;   in Loop: Header=BB277_15 Depth=1
	s_or_b32 exec_lo, exec_lo, s19
	s_delay_alu instid0(VALU_DEP_1) | instskip(NEXT) | instid1(VALU_DEP_2)
	v_dual_lshlrev_b32 v0, 8, v0 :: v_dual_lshlrev_b32 v1, 23, v1
	v_lshl_add_u32 v6, v6, 10, 0x2000
	s_delay_alu instid0(VALU_DEP_1) | instskip(NEXT) | instid1(VALU_DEP_1)
	v_and_or_b32 v0, 0x8000, v0, v6
	v_lshl_or_b32 v91, v0, 16, v1
.LBB277_384:                            ;   in Loop: Header=BB277_15 Depth=1
	s_or_b32 exec_lo, exec_lo, s18
.LBB277_385:                            ;   in Loop: Header=BB277_15 Depth=1
	s_delay_alu instid0(SALU_CYCLE_1)
	s_or_b32 exec_lo, exec_lo, s17
.LBB277_386:                            ;   in Loop: Header=BB277_15 Depth=1
	s_delay_alu instid0(SALU_CYCLE_1) | instskip(SKIP_2) | instid1(VALU_DEP_1)
	s_or_b32 exec_lo, exec_lo, s16
	v_lshrrev_b32_e32 v0, 16, v5
	s_mov_b32 s16, exec_lo
	v_and_b32_e32 v1, 0xff, v0
	s_delay_alu instid0(VALU_DEP_1)
	v_cmpx_ne_u16_e32 0, v1
	s_cbranch_execz .LBB277_394
; %bb.387:                              ;   in Loop: Header=BB277_15 Depth=1
	v_mov_b32_e32 v58, 0x8000
	s_mov_b32 s17, exec_lo
	v_cmpx_ne_u16_e32 0x80, v1
	s_cbranch_execz .LBB277_393
; %bb.388:                              ;   in Loop: Header=BB277_15 Depth=1
	v_bfe_u32 v7, v5, 16, 7
	v_mov_b32_e32 v58, 0x7c01
	s_mov_b32 s18, exec_lo
	s_delay_alu instid0(VALU_DEP_2)
	v_cmpx_ne_u32_e32 0x7f, v7
	s_cbranch_execz .LBB277_392
; %bb.389:                              ;   in Loop: Header=BB277_15 Depth=1
	v_dual_lshrrev_b32 v6, 3, v7 :: v_dual_bitop2_b32 v1, 7, v0 bitop3:0x40
	s_mov_b32 s19, exec_lo
	v_cmpx_gt_u32_e32 8, v7
; %bb.390:                              ;   in Loop: Header=BB277_15 Depth=1
	s_delay_alu instid0(VALU_DEP_2) | instskip(NEXT) | instid1(VALU_DEP_1)
	v_clz_i32_u32_e32 v1, v1
	v_min_u32_e32 v1, 32, v1
	s_delay_alu instid0(VALU_DEP_1) | instskip(NEXT) | instid1(VALU_DEP_1)
	v_subrev_nc_u32_e32 v6, 28, v1
	v_lshlrev_b64_e32 v[8:9], v6, v[0:1]
	s_delay_alu instid0(VALU_DEP_1)
	v_dual_sub_nc_u32 v6, 29, v1 :: v_dual_bitop2_b32 v1, 7, v8 bitop3:0x40
; %bb.391:                              ;   in Loop: Header=BB277_15 Depth=1
	s_or_b32 exec_lo, exec_lo, s19
	s_delay_alu instid0(VALU_DEP_1) | instskip(NEXT) | instid1(VALU_DEP_2)
	v_dual_lshlrev_b32 v0, 8, v0 :: v_dual_lshlrev_b32 v1, 7, v1
	v_lshl_add_u32 v6, v6, 10, 0x2000
	s_delay_alu instid0(VALU_DEP_2) | instskip(NEXT) | instid1(VALU_DEP_2)
	v_and_b32_e32 v0, 0x8000, v0
	v_and_b32_e32 v6, 0xfc00, v6
	s_delay_alu instid0(VALU_DEP_1)
	v_or3_b32 v58, v0, v6, v1
.LBB277_392:                            ;   in Loop: Header=BB277_15 Depth=1
	s_or_b32 exec_lo, exec_lo, s18
.LBB277_393:                            ;   in Loop: Header=BB277_15 Depth=1
	s_delay_alu instid0(SALU_CYCLE_1)
	s_or_b32 exec_lo, exec_lo, s17
.LBB277_394:                            ;   in Loop: Header=BB277_15 Depth=1
	s_delay_alu instid0(SALU_CYCLE_1)
	s_or_b32 exec_lo, exec_lo, s16
	v_dual_mov_b32 v1, 0 :: v_dual_mov_b32 v92, 0
	s_mov_b32 s16, exec_lo
	v_cmpx_lt_u64_e64 s[8:9], v[4:5]
	s_cbranch_execz .LBB277_402
; %bb.395:                              ;   in Loop: Header=BB277_15 Depth=1
	v_lshrrev_b32_e32 v24, 24, v5
	v_bfrev_b32_e32 v92, 1
	s_mov_b32 s17, exec_lo
	s_delay_alu instid0(VALU_DEP_2)
	v_cmpx_ne_u32_e32 0x80, v24
	s_cbranch_execz .LBB277_401
; %bb.396:                              ;   in Loop: Header=BB277_15 Depth=1
	v_and_b32_e32 v5, 0x7f, v24
	v_mov_b32_e32 v92, 0x7c010000
	s_mov_b32 s18, exec_lo
	s_delay_alu instid0(VALU_DEP_2)
	v_cmpx_ne_u32_e32 0x7f, v5
	s_cbranch_execz .LBB277_400
; %bb.397:                              ;   in Loop: Header=BB277_15 Depth=1
	v_dual_lshrrev_b32 v4, 3, v5 :: v_dual_bitop2_b32 v0, 7, v24 bitop3:0x40
	s_mov_b32 s19, exec_lo
	v_cmpx_gt_u32_e32 8, v5
; %bb.398:                              ;   in Loop: Header=BB277_15 Depth=1
	s_delay_alu instid0(VALU_DEP_2) | instskip(NEXT) | instid1(VALU_DEP_1)
	v_clz_i32_u32_e32 v0, v0
	v_min_u32_e32 v0, 32, v0
	s_delay_alu instid0(VALU_DEP_1) | instskip(NEXT) | instid1(VALU_DEP_1)
	v_subrev_nc_u32_e32 v4, 28, v0
	v_lshlrev_b64_e32 v[6:7], v4, v[24:25]
	s_delay_alu instid0(VALU_DEP_1)
	v_dual_sub_nc_u32 v4, 29, v0 :: v_dual_bitop2_b32 v0, 7, v6 bitop3:0x40
; %bb.399:                              ;   in Loop: Header=BB277_15 Depth=1
	s_or_b32 exec_lo, exec_lo, s19
	v_lshlrev_b32_e32 v5, 8, v24
	s_delay_alu instid0(VALU_DEP_2) | instskip(NEXT) | instid1(VALU_DEP_3)
	v_lshl_add_u32 v4, v4, 10, 0x2000
	v_lshlrev_b32_e32 v0, 23, v0
	s_delay_alu instid0(VALU_DEP_2) | instskip(NEXT) | instid1(VALU_DEP_1)
	v_and_or_b32 v4, 0x8000, v5, v4
	v_lshl_or_b32 v92, v4, 16, v0
.LBB277_400:                            ;   in Loop: Header=BB277_15 Depth=1
	s_or_b32 exec_lo, exec_lo, s18
.LBB277_401:                            ;   in Loop: Header=BB277_15 Depth=1
	s_delay_alu instid0(SALU_CYCLE_1)
	s_or_b32 exec_lo, exec_lo, s17
.LBB277_402:                            ;   in Loop: Header=BB277_15 Depth=1
	s_delay_alu instid0(SALU_CYCLE_1)
	s_or_b32 exec_lo, exec_lo, s16
	flat_load_b64 v[4:5], v[2:3] offset:1536
	s_mov_b32 s16, exec_lo
	s_wait_loadcnt_dscnt 0x0
	v_and_b32_e32 v0, 0xff, v4
	s_wait_xcnt 0x0
	s_delay_alu instid0(VALU_DEP_1)
	v_cmpx_ne_u16_e32 0, v0
	s_cbranch_execz .LBB277_410
; %bb.403:                              ;   in Loop: Header=BB277_15 Depth=1
	v_mov_b32_e32 v1, 0x8000
	s_mov_b32 s17, exec_lo
	v_cmpx_ne_u16_e32 0x80, v0
	s_cbranch_execz .LBB277_409
; %bb.404:                              ;   in Loop: Header=BB277_15 Depth=1
	v_and_b32_e32 v6, 0x7f, v4
	v_mov_b32_e32 v1, 0x7c01
	s_mov_b32 s18, exec_lo
	s_delay_alu instid0(VALU_DEP_2)
	v_cmpx_ne_u32_e32 0x7f, v6
	s_cbranch_execz .LBB277_408
; %bb.405:                              ;   in Loop: Header=BB277_15 Depth=1
	v_dual_lshrrev_b32 v1, 3, v6 :: v_dual_bitop2_b32 v0, 7, v4 bitop3:0x40
	s_mov_b32 s19, exec_lo
	v_cmpx_gt_u32_e32 8, v6
; %bb.406:                              ;   in Loop: Header=BB277_15 Depth=1
	s_delay_alu instid0(VALU_DEP_2) | instskip(NEXT) | instid1(VALU_DEP_1)
	v_clz_i32_u32_e32 v0, v0
	v_min_u32_e32 v6, 32, v0
	s_delay_alu instid0(VALU_DEP_1) | instskip(NEXT) | instid1(VALU_DEP_1)
	v_subrev_nc_u32_e32 v0, 28, v6
	v_lshlrev_b64_e32 v[0:1], v0, v[4:5]
	s_delay_alu instid0(VALU_DEP_1)
	v_dual_sub_nc_u32 v1, 29, v6 :: v_dual_bitop2_b32 v0, 7, v0 bitop3:0x40
; %bb.407:                              ;   in Loop: Header=BB277_15 Depth=1
	s_or_b32 exec_lo, exec_lo, s19
	v_lshlrev_b32_e32 v6, 8, v4
	s_delay_alu instid0(VALU_DEP_2) | instskip(NEXT) | instid1(VALU_DEP_3)
	v_lshl_add_u32 v1, v1, 10, 0x2000
	v_lshlrev_b32_e32 v0, 7, v0
	s_delay_alu instid0(VALU_DEP_3) | instskip(NEXT) | instid1(VALU_DEP_3)
	v_and_b32_e32 v6, 0x8000, v6
	v_and_b32_e32 v1, 0xfc00, v1
	s_delay_alu instid0(VALU_DEP_1)
	v_or3_b32 v1, v6, v1, v0
.LBB277_408:                            ;   in Loop: Header=BB277_15 Depth=1
	s_or_b32 exec_lo, exec_lo, s18
.LBB277_409:                            ;   in Loop: Header=BB277_15 Depth=1
	s_delay_alu instid0(SALU_CYCLE_1)
	s_or_b32 exec_lo, exec_lo, s17
.LBB277_410:                            ;   in Loop: Header=BB277_15 Depth=1
	s_delay_alu instid0(SALU_CYCLE_1) | instskip(SKIP_3) | instid1(VALU_DEP_2)
	s_or_b32 exec_lo, exec_lo, s16
	v_lshrrev_b16 v24, 8, v4
	v_dual_mov_b32 v34, 0 :: v_dual_mov_b32 v63, 0
	s_mov_b32 s16, exec_lo
	v_cmpx_ne_u16_e32 0, v24
	s_cbranch_execz .LBB277_418
; %bb.411:                              ;   in Loop: Header=BB277_15 Depth=1
	v_bfrev_b32_e32 v63, 1
	s_mov_b32 s17, exec_lo
	v_cmpx_ne_u16_e32 0x80, v24
	s_cbranch_execz .LBB277_417
; %bb.412:                              ;   in Loop: Header=BB277_15 Depth=1
	v_and_b32_e32 v0, 0xffff, v24
	v_mov_b32_e32 v63, 0x7c010000
	s_mov_b32 s18, exec_lo
	s_delay_alu instid0(VALU_DEP_2) | instskip(NEXT) | instid1(VALU_DEP_1)
	v_and_b32_e32 v8, 0x7f, v0
	v_cmpx_ne_u32_e32 0x7f, v8
	s_cbranch_execz .LBB277_416
; %bb.413:                              ;   in Loop: Header=BB277_15 Depth=1
	v_and_b32_e32 v6, 7, v0
	v_lshrrev_b32_e32 v7, 3, v8
	s_mov_b32 s19, exec_lo
	v_cmpx_gt_u32_e32 8, v8
; %bb.414:                              ;   in Loop: Header=BB277_15 Depth=1
	s_delay_alu instid0(VALU_DEP_3) | instskip(NEXT) | instid1(VALU_DEP_1)
	v_clz_i32_u32_e32 v6, v6
	v_min_u32_e32 v8, 32, v6
	s_delay_alu instid0(VALU_DEP_1) | instskip(NEXT) | instid1(VALU_DEP_1)
	v_subrev_nc_u32_e32 v6, 28, v8
	v_lshlrev_b64_e32 v[6:7], v6, v[24:25]
	s_delay_alu instid0(VALU_DEP_1)
	v_dual_sub_nc_u32 v7, 29, v8 :: v_dual_bitop2_b32 v6, 7, v6 bitop3:0x40
; %bb.415:                              ;   in Loop: Header=BB277_15 Depth=1
	s_or_b32 exec_lo, exec_lo, s19
	s_delay_alu instid0(VALU_DEP_1) | instskip(NEXT) | instid1(VALU_DEP_2)
	v_dual_lshlrev_b32 v0, 8, v0 :: v_dual_lshlrev_b32 v6, 23, v6
	v_lshl_add_u32 v7, v7, 10, 0x2000
	s_delay_alu instid0(VALU_DEP_1) | instskip(NEXT) | instid1(VALU_DEP_1)
	v_and_or_b32 v0, 0x8000, v0, v7
	v_lshl_or_b32 v63, v0, 16, v6
.LBB277_416:                            ;   in Loop: Header=BB277_15 Depth=1
	s_or_b32 exec_lo, exec_lo, s18
.LBB277_417:                            ;   in Loop: Header=BB277_15 Depth=1
	s_delay_alu instid0(SALU_CYCLE_1)
	s_or_b32 exec_lo, exec_lo, s17
.LBB277_418:                            ;   in Loop: Header=BB277_15 Depth=1
	s_delay_alu instid0(SALU_CYCLE_1) | instskip(SKIP_2) | instid1(VALU_DEP_1)
	s_or_b32 exec_lo, exec_lo, s16
	v_lshrrev_b32_e32 v0, 16, v4
	s_mov_b32 s16, exec_lo
	v_and_b32_e32 v6, 0xff, v0
	s_delay_alu instid0(VALU_DEP_1)
	v_cmpx_ne_u16_e32 0, v6
	s_cbranch_execz .LBB277_426
; %bb.419:                              ;   in Loop: Header=BB277_15 Depth=1
	v_mov_b32_e32 v34, 0x8000
	s_mov_b32 s17, exec_lo
	v_cmpx_ne_u16_e32 0x80, v6
	s_cbranch_execz .LBB277_425
; %bb.420:                              ;   in Loop: Header=BB277_15 Depth=1
	v_bfe_u32 v8, v4, 16, 7
	v_mov_b32_e32 v34, 0x7c01
	s_mov_b32 s18, exec_lo
	s_delay_alu instid0(VALU_DEP_2)
	v_cmpx_ne_u32_e32 0x7f, v8
	s_cbranch_execz .LBB277_424
; %bb.421:                              ;   in Loop: Header=BB277_15 Depth=1
	v_and_b32_e32 v6, 7, v0
	v_lshrrev_b32_e32 v7, 3, v8
	s_mov_b32 s19, exec_lo
	v_cmpx_gt_u32_e32 8, v8
; %bb.422:                              ;   in Loop: Header=BB277_15 Depth=1
	s_delay_alu instid0(VALU_DEP_3) | instskip(NEXT) | instid1(VALU_DEP_1)
	v_clz_i32_u32_e32 v6, v6
	v_min_u32_e32 v8, 32, v6
	s_delay_alu instid0(VALU_DEP_1) | instskip(NEXT) | instid1(VALU_DEP_1)
	v_subrev_nc_u32_e32 v6, 28, v8
	v_lshlrev_b64_e32 v[6:7], v6, v[0:1]
	s_delay_alu instid0(VALU_DEP_1)
	v_dual_sub_nc_u32 v7, 29, v8 :: v_dual_bitop2_b32 v6, 7, v6 bitop3:0x40
; %bb.423:                              ;   in Loop: Header=BB277_15 Depth=1
	s_or_b32 exec_lo, exec_lo, s19
	s_delay_alu instid0(VALU_DEP_1) | instskip(NEXT) | instid1(VALU_DEP_2)
	v_dual_lshlrev_b32 v0, 8, v0 :: v_dual_lshlrev_b32 v6, 7, v6
	v_lshl_add_u32 v7, v7, 10, 0x2000
	s_delay_alu instid0(VALU_DEP_2) | instskip(NEXT) | instid1(VALU_DEP_2)
	v_and_b32_e32 v0, 0x8000, v0
	v_and_b32_e32 v7, 0xfc00, v7
	s_delay_alu instid0(VALU_DEP_1)
	v_or3_b32 v34, v0, v7, v6
.LBB277_424:                            ;   in Loop: Header=BB277_15 Depth=1
	s_or_b32 exec_lo, exec_lo, s18
.LBB277_425:                            ;   in Loop: Header=BB277_15 Depth=1
	s_delay_alu instid0(SALU_CYCLE_1)
	s_or_b32 exec_lo, exec_lo, s17
.LBB277_426:                            ;   in Loop: Header=BB277_15 Depth=1
	s_delay_alu instid0(SALU_CYCLE_1)
	s_or_b32 exec_lo, exec_lo, s16
	v_dual_mov_b32 v120, 0 :: v_dual_mov_b32 v62, 0
	s_mov_b32 s16, exec_lo
	v_cmpx_lt_u32_e32 0xffffff, v4
	s_cbranch_execz .LBB277_434
; %bb.427:                              ;   in Loop: Header=BB277_15 Depth=1
	v_lshrrev_b32_e32 v24, 24, v4
	v_bfrev_b32_e32 v62, 1
	s_mov_b32 s17, exec_lo
	s_delay_alu instid0(VALU_DEP_2)
	v_cmpx_ne_u32_e32 0x80, v24
	s_cbranch_execz .LBB277_433
; %bb.428:                              ;   in Loop: Header=BB277_15 Depth=1
	v_and_b32_e32 v7, 0x7f, v24
	v_mov_b32_e32 v62, 0x7c010000
	s_mov_b32 s18, exec_lo
	s_delay_alu instid0(VALU_DEP_2)
	v_cmpx_ne_u32_e32 0x7f, v7
	s_cbranch_execz .LBB277_432
; %bb.429:                              ;   in Loop: Header=BB277_15 Depth=1
	v_dual_lshrrev_b32 v6, 3, v7 :: v_dual_bitop2_b32 v0, 7, v24 bitop3:0x40
	s_mov_b32 s19, exec_lo
	v_cmpx_gt_u32_e32 8, v7
; %bb.430:                              ;   in Loop: Header=BB277_15 Depth=1
	s_delay_alu instid0(VALU_DEP_2) | instskip(NEXT) | instid1(VALU_DEP_1)
	v_clz_i32_u32_e32 v0, v0
	v_min_u32_e32 v0, 32, v0
	s_delay_alu instid0(VALU_DEP_1) | instskip(NEXT) | instid1(VALU_DEP_1)
	v_subrev_nc_u32_e32 v6, 28, v0
	v_lshlrev_b64_e32 v[8:9], v6, v[24:25]
	v_sub_nc_u32_e32 v6, 29, v0
	s_delay_alu instid0(VALU_DEP_2)
	v_and_b32_e32 v0, 7, v8
; %bb.431:                              ;   in Loop: Header=BB277_15 Depth=1
	s_or_b32 exec_lo, exec_lo, s19
	v_lshlrev_b32_e32 v7, 8, v24
	s_delay_alu instid0(VALU_DEP_3) | instskip(NEXT) | instid1(VALU_DEP_3)
	v_lshl_add_u32 v6, v6, 10, 0x2000
	v_lshlrev_b32_e32 v0, 23, v0
	s_delay_alu instid0(VALU_DEP_2) | instskip(NEXT) | instid1(VALU_DEP_1)
	v_and_or_b32 v6, 0x8000, v7, v6
	v_lshl_or_b32 v62, v6, 16, v0
.LBB277_432:                            ;   in Loop: Header=BB277_15 Depth=1
	s_or_b32 exec_lo, exec_lo, s18
.LBB277_433:                            ;   in Loop: Header=BB277_15 Depth=1
	s_delay_alu instid0(SALU_CYCLE_1)
	s_or_b32 exec_lo, exec_lo, s17
.LBB277_434:                            ;   in Loop: Header=BB277_15 Depth=1
	s_delay_alu instid0(SALU_CYCLE_1) | instskip(SKIP_3) | instid1(VALU_DEP_2)
	s_or_b32 exec_lo, exec_lo, s16
	v_and_b32_e32 v0, 0xff, v5
	v_mov_b32_e32 v24, v5
	s_mov_b32 s16, exec_lo
	v_cmpx_ne_u16_e32 0, v0
	s_cbranch_execz .LBB277_442
; %bb.435:                              ;   in Loop: Header=BB277_15 Depth=1
	v_mov_b32_e32 v120, 0x8000
	s_mov_b32 s17, exec_lo
	v_cmpx_ne_u16_e32 0x80, v0
	s_cbranch_execz .LBB277_441
; %bb.436:                              ;   in Loop: Header=BB277_15 Depth=1
	v_and_b32_e32 v7, 0x7f, v5
	v_mov_b32_e32 v120, 0x7c01
	s_mov_b32 s18, exec_lo
	s_delay_alu instid0(VALU_DEP_2)
	v_cmpx_ne_u32_e32 0x7f, v7
	s_cbranch_execz .LBB277_440
; %bb.437:                              ;   in Loop: Header=BB277_15 Depth=1
	v_dual_lshrrev_b32 v6, 3, v7 :: v_dual_bitop2_b32 v0, 7, v5 bitop3:0x40
	s_mov_b32 s19, exec_lo
	v_cmpx_gt_u32_e32 8, v7
; %bb.438:                              ;   in Loop: Header=BB277_15 Depth=1
	s_delay_alu instid0(VALU_DEP_2) | instskip(NEXT) | instid1(VALU_DEP_1)
	v_clz_i32_u32_e32 v0, v0
	v_min_u32_e32 v0, 32, v0
	s_delay_alu instid0(VALU_DEP_1) | instskip(NEXT) | instid1(VALU_DEP_1)
	v_subrev_nc_u32_e32 v6, 28, v0
	v_lshlrev_b64_e32 v[8:9], v6, v[24:25]
	v_sub_nc_u32_e32 v6, 29, v0
	s_delay_alu instid0(VALU_DEP_2)
	v_and_b32_e32 v0, 7, v8
; %bb.439:                              ;   in Loop: Header=BB277_15 Depth=1
	s_or_b32 exec_lo, exec_lo, s19
	s_delay_alu instid0(VALU_DEP_1) | instskip(NEXT) | instid1(VALU_DEP_3)
	v_dual_lshlrev_b32 v7, 8, v5 :: v_dual_lshlrev_b32 v0, 7, v0
	v_lshl_add_u32 v6, v6, 10, 0x2000
	s_delay_alu instid0(VALU_DEP_2) | instskip(NEXT) | instid1(VALU_DEP_2)
	v_and_b32_e32 v7, 0x8000, v7
	v_and_b32_e32 v6, 0xfc00, v6
	s_delay_alu instid0(VALU_DEP_1)
	v_or3_b32 v120, v7, v6, v0
.LBB277_440:                            ;   in Loop: Header=BB277_15 Depth=1
	s_or_b32 exec_lo, exec_lo, s18
.LBB277_441:                            ;   in Loop: Header=BB277_15 Depth=1
	s_delay_alu instid0(SALU_CYCLE_1)
	s_or_b32 exec_lo, exec_lo, s17
.LBB277_442:                            ;   in Loop: Header=BB277_15 Depth=1
	s_delay_alu instid0(SALU_CYCLE_1) | instskip(SKIP_3) | instid1(VALU_DEP_2)
	s_or_b32 exec_lo, exec_lo, s16
	v_lshrrev_b16 v24, 8, v24
	v_dual_mov_b32 v36, 0 :: v_dual_mov_b32 v121, 0
	s_mov_b32 s16, exec_lo
	v_cmpx_ne_u16_e32 0, v24
	s_cbranch_execz .LBB277_450
; %bb.443:                              ;   in Loop: Header=BB277_15 Depth=1
	v_bfrev_b32_e32 v121, 1
	s_mov_b32 s17, exec_lo
	v_cmpx_ne_u16_e32 0x80, v24
	s_cbranch_execz .LBB277_449
; %bb.444:                              ;   in Loop: Header=BB277_15 Depth=1
	v_and_b32_e32 v0, 0xffff, v24
	v_mov_b32_e32 v121, 0x7c010000
	s_mov_b32 s18, exec_lo
	s_delay_alu instid0(VALU_DEP_2) | instskip(NEXT) | instid1(VALU_DEP_1)
	v_and_b32_e32 v8, 0x7f, v0
	v_cmpx_ne_u32_e32 0x7f, v8
	s_cbranch_execz .LBB277_448
; %bb.445:                              ;   in Loop: Header=BB277_15 Depth=1
	v_and_b32_e32 v6, 7, v0
	v_lshrrev_b32_e32 v7, 3, v8
	s_mov_b32 s19, exec_lo
	v_cmpx_gt_u32_e32 8, v8
; %bb.446:                              ;   in Loop: Header=BB277_15 Depth=1
	s_delay_alu instid0(VALU_DEP_3) | instskip(NEXT) | instid1(VALU_DEP_1)
	v_clz_i32_u32_e32 v6, v6
	v_min_u32_e32 v8, 32, v6
	s_delay_alu instid0(VALU_DEP_1) | instskip(NEXT) | instid1(VALU_DEP_1)
	v_subrev_nc_u32_e32 v6, 28, v8
	v_lshlrev_b64_e32 v[6:7], v6, v[24:25]
	s_delay_alu instid0(VALU_DEP_1)
	v_dual_sub_nc_u32 v7, 29, v8 :: v_dual_bitop2_b32 v6, 7, v6 bitop3:0x40
; %bb.447:                              ;   in Loop: Header=BB277_15 Depth=1
	s_or_b32 exec_lo, exec_lo, s19
	s_delay_alu instid0(VALU_DEP_1) | instskip(NEXT) | instid1(VALU_DEP_2)
	v_dual_lshlrev_b32 v0, 8, v0 :: v_dual_lshlrev_b32 v6, 23, v6
	v_lshl_add_u32 v7, v7, 10, 0x2000
	s_delay_alu instid0(VALU_DEP_1) | instskip(NEXT) | instid1(VALU_DEP_1)
	v_and_or_b32 v0, 0x8000, v0, v7
	v_lshl_or_b32 v121, v0, 16, v6
.LBB277_448:                            ;   in Loop: Header=BB277_15 Depth=1
	s_or_b32 exec_lo, exec_lo, s18
.LBB277_449:                            ;   in Loop: Header=BB277_15 Depth=1
	s_delay_alu instid0(SALU_CYCLE_1)
	s_or_b32 exec_lo, exec_lo, s17
.LBB277_450:                            ;   in Loop: Header=BB277_15 Depth=1
	s_delay_alu instid0(SALU_CYCLE_1) | instskip(SKIP_2) | instid1(VALU_DEP_1)
	s_or_b32 exec_lo, exec_lo, s16
	v_lshrrev_b32_e32 v0, 16, v5
	s_mov_b32 s16, exec_lo
	v_and_b32_e32 v6, 0xff, v0
	s_delay_alu instid0(VALU_DEP_1)
	v_cmpx_ne_u16_e32 0, v6
	s_cbranch_execz .LBB277_458
; %bb.451:                              ;   in Loop: Header=BB277_15 Depth=1
	v_mov_b32_e32 v36, 0x8000
	s_mov_b32 s17, exec_lo
	v_cmpx_ne_u16_e32 0x80, v6
	s_cbranch_execz .LBB277_457
; %bb.452:                              ;   in Loop: Header=BB277_15 Depth=1
	v_bfe_u32 v8, v5, 16, 7
	v_mov_b32_e32 v36, 0x7c01
	s_mov_b32 s18, exec_lo
	s_delay_alu instid0(VALU_DEP_2)
	v_cmpx_ne_u32_e32 0x7f, v8
	s_cbranch_execz .LBB277_456
; %bb.453:                              ;   in Loop: Header=BB277_15 Depth=1
	v_and_b32_e32 v6, 7, v0
	v_lshrrev_b32_e32 v7, 3, v8
	s_mov_b32 s19, exec_lo
	v_cmpx_gt_u32_e32 8, v8
; %bb.454:                              ;   in Loop: Header=BB277_15 Depth=1
	s_delay_alu instid0(VALU_DEP_3) | instskip(NEXT) | instid1(VALU_DEP_1)
	v_clz_i32_u32_e32 v6, v6
	v_min_u32_e32 v8, 32, v6
	s_delay_alu instid0(VALU_DEP_1) | instskip(NEXT) | instid1(VALU_DEP_1)
	v_subrev_nc_u32_e32 v6, 28, v8
	v_lshlrev_b64_e32 v[6:7], v6, v[0:1]
	s_delay_alu instid0(VALU_DEP_1)
	v_dual_sub_nc_u32 v7, 29, v8 :: v_dual_bitop2_b32 v6, 7, v6 bitop3:0x40
; %bb.455:                              ;   in Loop: Header=BB277_15 Depth=1
	s_or_b32 exec_lo, exec_lo, s19
	s_delay_alu instid0(VALU_DEP_1) | instskip(NEXT) | instid1(VALU_DEP_2)
	v_dual_lshlrev_b32 v0, 8, v0 :: v_dual_lshlrev_b32 v6, 7, v6
	v_lshl_add_u32 v7, v7, 10, 0x2000
	s_delay_alu instid0(VALU_DEP_2) | instskip(NEXT) | instid1(VALU_DEP_2)
	v_and_b32_e32 v0, 0x8000, v0
	v_and_b32_e32 v7, 0xfc00, v7
	s_delay_alu instid0(VALU_DEP_1)
	v_or3_b32 v36, v0, v7, v6
.LBB277_456:                            ;   in Loop: Header=BB277_15 Depth=1
	s_or_b32 exec_lo, exec_lo, s18
.LBB277_457:                            ;   in Loop: Header=BB277_15 Depth=1
	s_delay_alu instid0(SALU_CYCLE_1)
	s_or_b32 exec_lo, exec_lo, s17
.LBB277_458:                            ;   in Loop: Header=BB277_15 Depth=1
	s_delay_alu instid0(SALU_CYCLE_1)
	s_or_b32 exec_lo, exec_lo, s16
	v_dual_mov_b32 v37, 0 :: v_dual_mov_b32 v123, 0
	s_mov_b32 s16, exec_lo
	v_cmpx_lt_u64_e64 s[8:9], v[4:5]
	s_cbranch_execz .LBB277_466
; %bb.459:                              ;   in Loop: Header=BB277_15 Depth=1
	v_lshrrev_b32_e32 v24, 24, v5
	v_bfrev_b32_e32 v123, 1
	s_mov_b32 s17, exec_lo
	s_delay_alu instid0(VALU_DEP_2)
	v_cmpx_ne_u32_e32 0x80, v24
	s_cbranch_execz .LBB277_465
; %bb.460:                              ;   in Loop: Header=BB277_15 Depth=1
	v_and_b32_e32 v5, 0x7f, v24
	v_mov_b32_e32 v123, 0x7c010000
	s_mov_b32 s18, exec_lo
	s_delay_alu instid0(VALU_DEP_2)
	v_cmpx_ne_u32_e32 0x7f, v5
	s_cbranch_execz .LBB277_464
; %bb.461:                              ;   in Loop: Header=BB277_15 Depth=1
	v_dual_lshrrev_b32 v4, 3, v5 :: v_dual_bitop2_b32 v0, 7, v24 bitop3:0x40
	s_mov_b32 s19, exec_lo
	v_cmpx_gt_u32_e32 8, v5
; %bb.462:                              ;   in Loop: Header=BB277_15 Depth=1
	s_delay_alu instid0(VALU_DEP_2) | instskip(NEXT) | instid1(VALU_DEP_1)
	v_clz_i32_u32_e32 v0, v0
	v_min_u32_e32 v0, 32, v0
	s_delay_alu instid0(VALU_DEP_1) | instskip(NEXT) | instid1(VALU_DEP_1)
	v_subrev_nc_u32_e32 v4, 28, v0
	v_lshlrev_b64_e32 v[6:7], v4, v[24:25]
	s_delay_alu instid0(VALU_DEP_1)
	v_dual_sub_nc_u32 v4, 29, v0 :: v_dual_bitop2_b32 v0, 7, v6 bitop3:0x40
; %bb.463:                              ;   in Loop: Header=BB277_15 Depth=1
	s_or_b32 exec_lo, exec_lo, s19
	v_lshlrev_b32_e32 v5, 8, v24
	s_delay_alu instid0(VALU_DEP_2) | instskip(NEXT) | instid1(VALU_DEP_3)
	v_lshl_add_u32 v4, v4, 10, 0x2000
	v_lshlrev_b32_e32 v0, 23, v0
	s_delay_alu instid0(VALU_DEP_2) | instskip(NEXT) | instid1(VALU_DEP_1)
	v_and_or_b32 v4, 0x8000, v5, v4
	v_lshl_or_b32 v123, v4, 16, v0
.LBB277_464:                            ;   in Loop: Header=BB277_15 Depth=1
	s_or_b32 exec_lo, exec_lo, s18
.LBB277_465:                            ;   in Loop: Header=BB277_15 Depth=1
	s_delay_alu instid0(SALU_CYCLE_1)
	s_or_b32 exec_lo, exec_lo, s17
.LBB277_466:                            ;   in Loop: Header=BB277_15 Depth=1
	s_delay_alu instid0(SALU_CYCLE_1)
	s_or_b32 exec_lo, exec_lo, s16
	flat_load_b64 v[4:5], v[2:3] offset:1544
	s_mov_b32 s16, exec_lo
	s_wait_loadcnt_dscnt 0x0
	v_and_b32_e32 v0, 0xff, v4
	s_wait_xcnt 0x0
	s_delay_alu instid0(VALU_DEP_1)
	v_cmpx_ne_u16_e32 0, v0
	s_cbranch_execz .LBB277_474
; %bb.467:                              ;   in Loop: Header=BB277_15 Depth=1
	v_mov_b32_e32 v37, 0x8000
	s_mov_b32 s17, exec_lo
	v_cmpx_ne_u16_e32 0x80, v0
	s_cbranch_execz .LBB277_473
; %bb.468:                              ;   in Loop: Header=BB277_15 Depth=1
	v_and_b32_e32 v7, 0x7f, v4
	v_mov_b32_e32 v37, 0x7c01
	s_mov_b32 s18, exec_lo
	s_delay_alu instid0(VALU_DEP_2)
	v_cmpx_ne_u32_e32 0x7f, v7
	s_cbranch_execz .LBB277_472
; %bb.469:                              ;   in Loop: Header=BB277_15 Depth=1
	v_dual_lshrrev_b32 v6, 3, v7 :: v_dual_bitop2_b32 v0, 7, v4 bitop3:0x40
	s_mov_b32 s19, exec_lo
	v_cmpx_gt_u32_e32 8, v7
; %bb.470:                              ;   in Loop: Header=BB277_15 Depth=1
	s_delay_alu instid0(VALU_DEP_2) | instskip(NEXT) | instid1(VALU_DEP_1)
	v_clz_i32_u32_e32 v0, v0
	v_min_u32_e32 v0, 32, v0
	s_delay_alu instid0(VALU_DEP_1) | instskip(NEXT) | instid1(VALU_DEP_1)
	v_subrev_nc_u32_e32 v6, 28, v0
	v_lshlrev_b64_e32 v[8:9], v6, v[4:5]
	v_sub_nc_u32_e32 v6, 29, v0
	s_delay_alu instid0(VALU_DEP_2)
	v_and_b32_e32 v0, 7, v8
; %bb.471:                              ;   in Loop: Header=BB277_15 Depth=1
	s_or_b32 exec_lo, exec_lo, s19
	v_lshlrev_b32_e32 v7, 8, v4
	s_delay_alu instid0(VALU_DEP_3) | instskip(NEXT) | instid1(VALU_DEP_3)
	v_lshl_add_u32 v6, v6, 10, 0x2000
	v_lshlrev_b32_e32 v0, 7, v0
	s_delay_alu instid0(VALU_DEP_3) | instskip(NEXT) | instid1(VALU_DEP_3)
	v_and_b32_e32 v7, 0x8000, v7
	v_and_b32_e32 v6, 0xfc00, v6
	s_delay_alu instid0(VALU_DEP_1)
	v_or3_b32 v37, v7, v6, v0
.LBB277_472:                            ;   in Loop: Header=BB277_15 Depth=1
	s_or_b32 exec_lo, exec_lo, s18
.LBB277_473:                            ;   in Loop: Header=BB277_15 Depth=1
	s_delay_alu instid0(SALU_CYCLE_1)
	s_or_b32 exec_lo, exec_lo, s17
.LBB277_474:                            ;   in Loop: Header=BB277_15 Depth=1
	s_delay_alu instid0(SALU_CYCLE_1) | instskip(SKIP_3) | instid1(VALU_DEP_2)
	s_or_b32 exec_lo, exec_lo, s16
	v_lshrrev_b16 v24, 8, v4
	v_dual_mov_b32 v29, 0 :: v_dual_mov_b32 v125, 0
	s_mov_b32 s16, exec_lo
	v_cmpx_ne_u16_e32 0, v24
	s_cbranch_execz .LBB277_482
; %bb.475:                              ;   in Loop: Header=BB277_15 Depth=1
	v_bfrev_b32_e32 v125, 1
	s_mov_b32 s17, exec_lo
	v_cmpx_ne_u16_e32 0x80, v24
	s_cbranch_execz .LBB277_481
; %bb.476:                              ;   in Loop: Header=BB277_15 Depth=1
	v_and_b32_e32 v0, 0xffff, v24
	v_mov_b32_e32 v125, 0x7c010000
	s_mov_b32 s18, exec_lo
	s_delay_alu instid0(VALU_DEP_2) | instskip(NEXT) | instid1(VALU_DEP_1)
	v_and_b32_e32 v8, 0x7f, v0
	v_cmpx_ne_u32_e32 0x7f, v8
	s_cbranch_execz .LBB277_480
; %bb.477:                              ;   in Loop: Header=BB277_15 Depth=1
	v_and_b32_e32 v6, 7, v0
	v_lshrrev_b32_e32 v7, 3, v8
	s_mov_b32 s19, exec_lo
	v_cmpx_gt_u32_e32 8, v8
; %bb.478:                              ;   in Loop: Header=BB277_15 Depth=1
	s_delay_alu instid0(VALU_DEP_3) | instskip(NEXT) | instid1(VALU_DEP_1)
	v_clz_i32_u32_e32 v6, v6
	v_min_u32_e32 v8, 32, v6
	s_delay_alu instid0(VALU_DEP_1) | instskip(NEXT) | instid1(VALU_DEP_1)
	v_subrev_nc_u32_e32 v6, 28, v8
	v_lshlrev_b64_e32 v[6:7], v6, v[24:25]
	s_delay_alu instid0(VALU_DEP_1)
	v_dual_sub_nc_u32 v7, 29, v8 :: v_dual_bitop2_b32 v6, 7, v6 bitop3:0x40
; %bb.479:                              ;   in Loop: Header=BB277_15 Depth=1
	s_or_b32 exec_lo, exec_lo, s19
	s_delay_alu instid0(VALU_DEP_1) | instskip(NEXT) | instid1(VALU_DEP_2)
	v_dual_lshlrev_b32 v0, 8, v0 :: v_dual_lshlrev_b32 v6, 23, v6
	v_lshl_add_u32 v7, v7, 10, 0x2000
	s_delay_alu instid0(VALU_DEP_1) | instskip(NEXT) | instid1(VALU_DEP_1)
	v_and_or_b32 v0, 0x8000, v0, v7
	v_lshl_or_b32 v125, v0, 16, v6
.LBB277_480:                            ;   in Loop: Header=BB277_15 Depth=1
	s_or_b32 exec_lo, exec_lo, s18
.LBB277_481:                            ;   in Loop: Header=BB277_15 Depth=1
	s_delay_alu instid0(SALU_CYCLE_1)
	s_or_b32 exec_lo, exec_lo, s17
.LBB277_482:                            ;   in Loop: Header=BB277_15 Depth=1
	s_delay_alu instid0(SALU_CYCLE_1) | instskip(SKIP_2) | instid1(VALU_DEP_1)
	s_or_b32 exec_lo, exec_lo, s16
	v_lshrrev_b32_e32 v0, 16, v4
	s_mov_b32 s16, exec_lo
	v_and_b32_e32 v6, 0xff, v0
	s_delay_alu instid0(VALU_DEP_1)
	v_cmpx_ne_u16_e32 0, v6
	s_cbranch_execz .LBB277_490
; %bb.483:                              ;   in Loop: Header=BB277_15 Depth=1
	v_mov_b32_e32 v29, 0x8000
	s_mov_b32 s17, exec_lo
	v_cmpx_ne_u16_e32 0x80, v6
	s_cbranch_execz .LBB277_489
; %bb.484:                              ;   in Loop: Header=BB277_15 Depth=1
	v_bfe_u32 v8, v4, 16, 7
	v_mov_b32_e32 v29, 0x7c01
	s_mov_b32 s18, exec_lo
	s_delay_alu instid0(VALU_DEP_2)
	v_cmpx_ne_u32_e32 0x7f, v8
	s_cbranch_execz .LBB277_488
; %bb.485:                              ;   in Loop: Header=BB277_15 Depth=1
	v_and_b32_e32 v6, 7, v0
	v_lshrrev_b32_e32 v7, 3, v8
	s_mov_b32 s19, exec_lo
	v_cmpx_gt_u32_e32 8, v8
; %bb.486:                              ;   in Loop: Header=BB277_15 Depth=1
	s_delay_alu instid0(VALU_DEP_3) | instskip(NEXT) | instid1(VALU_DEP_1)
	v_clz_i32_u32_e32 v6, v6
	v_min_u32_e32 v8, 32, v6
	s_delay_alu instid0(VALU_DEP_1) | instskip(NEXT) | instid1(VALU_DEP_1)
	v_subrev_nc_u32_e32 v6, 28, v8
	v_lshlrev_b64_e32 v[6:7], v6, v[0:1]
	s_delay_alu instid0(VALU_DEP_1)
	v_dual_sub_nc_u32 v7, 29, v8 :: v_dual_bitop2_b32 v6, 7, v6 bitop3:0x40
; %bb.487:                              ;   in Loop: Header=BB277_15 Depth=1
	s_or_b32 exec_lo, exec_lo, s19
	s_delay_alu instid0(VALU_DEP_1) | instskip(NEXT) | instid1(VALU_DEP_2)
	v_dual_lshlrev_b32 v0, 8, v0 :: v_dual_lshlrev_b32 v6, 7, v6
	v_lshl_add_u32 v7, v7, 10, 0x2000
	s_delay_alu instid0(VALU_DEP_2) | instskip(NEXT) | instid1(VALU_DEP_2)
	v_and_b32_e32 v0, 0x8000, v0
	v_and_b32_e32 v7, 0xfc00, v7
	s_delay_alu instid0(VALU_DEP_1)
	v_or3_b32 v29, v0, v7, v6
.LBB277_488:                            ;   in Loop: Header=BB277_15 Depth=1
	s_or_b32 exec_lo, exec_lo, s18
.LBB277_489:                            ;   in Loop: Header=BB277_15 Depth=1
	s_delay_alu instid0(SALU_CYCLE_1)
	s_or_b32 exec_lo, exec_lo, s17
.LBB277_490:                            ;   in Loop: Header=BB277_15 Depth=1
	s_delay_alu instid0(SALU_CYCLE_1)
	s_or_b32 exec_lo, exec_lo, s16
	v_dual_mov_b32 v54, 0 :: v_dual_mov_b32 v67, 0
	s_mov_b32 s16, exec_lo
	v_cmpx_lt_u32_e32 0xffffff, v4
	s_cbranch_execz .LBB277_498
; %bb.491:                              ;   in Loop: Header=BB277_15 Depth=1
	v_lshrrev_b32_e32 v24, 24, v4
	v_bfrev_b32_e32 v67, 1
	s_mov_b32 s17, exec_lo
	s_delay_alu instid0(VALU_DEP_2)
	v_cmpx_ne_u32_e32 0x80, v24
	s_cbranch_execz .LBB277_497
; %bb.492:                              ;   in Loop: Header=BB277_15 Depth=1
	v_and_b32_e32 v7, 0x7f, v24
	v_mov_b32_e32 v67, 0x7c010000
	s_mov_b32 s18, exec_lo
	s_delay_alu instid0(VALU_DEP_2)
	v_cmpx_ne_u32_e32 0x7f, v7
	s_cbranch_execz .LBB277_496
; %bb.493:                              ;   in Loop: Header=BB277_15 Depth=1
	v_dual_lshrrev_b32 v6, 3, v7 :: v_dual_bitop2_b32 v0, 7, v24 bitop3:0x40
	s_mov_b32 s19, exec_lo
	v_cmpx_gt_u32_e32 8, v7
; %bb.494:                              ;   in Loop: Header=BB277_15 Depth=1
	s_delay_alu instid0(VALU_DEP_2) | instskip(NEXT) | instid1(VALU_DEP_1)
	v_clz_i32_u32_e32 v0, v0
	v_min_u32_e32 v0, 32, v0
	s_delay_alu instid0(VALU_DEP_1) | instskip(NEXT) | instid1(VALU_DEP_1)
	v_subrev_nc_u32_e32 v6, 28, v0
	v_lshlrev_b64_e32 v[8:9], v6, v[24:25]
	v_sub_nc_u32_e32 v6, 29, v0
	s_delay_alu instid0(VALU_DEP_2)
	v_and_b32_e32 v0, 7, v8
; %bb.495:                              ;   in Loop: Header=BB277_15 Depth=1
	s_or_b32 exec_lo, exec_lo, s19
	v_lshlrev_b32_e32 v7, 8, v24
	s_delay_alu instid0(VALU_DEP_3) | instskip(NEXT) | instid1(VALU_DEP_3)
	v_lshl_add_u32 v6, v6, 10, 0x2000
	v_lshlrev_b32_e32 v0, 23, v0
	s_delay_alu instid0(VALU_DEP_2) | instskip(NEXT) | instid1(VALU_DEP_1)
	v_and_or_b32 v6, 0x8000, v7, v6
	v_lshl_or_b32 v67, v6, 16, v0
.LBB277_496:                            ;   in Loop: Header=BB277_15 Depth=1
	s_or_b32 exec_lo, exec_lo, s18
.LBB277_497:                            ;   in Loop: Header=BB277_15 Depth=1
	s_delay_alu instid0(SALU_CYCLE_1)
	s_or_b32 exec_lo, exec_lo, s17
.LBB277_498:                            ;   in Loop: Header=BB277_15 Depth=1
	s_delay_alu instid0(SALU_CYCLE_1) | instskip(SKIP_3) | instid1(VALU_DEP_2)
	s_or_b32 exec_lo, exec_lo, s16
	v_and_b32_e32 v0, 0xff, v5
	v_mov_b32_e32 v24, v5
	s_mov_b32 s16, exec_lo
	v_cmpx_ne_u16_e32 0, v0
	s_cbranch_execz .LBB277_506
; %bb.499:                              ;   in Loop: Header=BB277_15 Depth=1
	v_mov_b32_e32 v54, 0x8000
	s_mov_b32 s17, exec_lo
	v_cmpx_ne_u16_e32 0x80, v0
	s_cbranch_execz .LBB277_505
; %bb.500:                              ;   in Loop: Header=BB277_15 Depth=1
	v_and_b32_e32 v7, 0x7f, v5
	v_mov_b32_e32 v54, 0x7c01
	s_mov_b32 s18, exec_lo
	s_delay_alu instid0(VALU_DEP_2)
	v_cmpx_ne_u32_e32 0x7f, v7
	s_cbranch_execz .LBB277_504
; %bb.501:                              ;   in Loop: Header=BB277_15 Depth=1
	v_dual_lshrrev_b32 v6, 3, v7 :: v_dual_bitop2_b32 v0, 7, v5 bitop3:0x40
	s_mov_b32 s19, exec_lo
	v_cmpx_gt_u32_e32 8, v7
; %bb.502:                              ;   in Loop: Header=BB277_15 Depth=1
	s_delay_alu instid0(VALU_DEP_2) | instskip(NEXT) | instid1(VALU_DEP_1)
	v_clz_i32_u32_e32 v0, v0
	v_min_u32_e32 v0, 32, v0
	s_delay_alu instid0(VALU_DEP_1) | instskip(NEXT) | instid1(VALU_DEP_1)
	v_subrev_nc_u32_e32 v6, 28, v0
	v_lshlrev_b64_e32 v[8:9], v6, v[24:25]
	v_sub_nc_u32_e32 v6, 29, v0
	s_delay_alu instid0(VALU_DEP_2)
	v_and_b32_e32 v0, 7, v8
; %bb.503:                              ;   in Loop: Header=BB277_15 Depth=1
	s_or_b32 exec_lo, exec_lo, s19
	s_delay_alu instid0(VALU_DEP_1) | instskip(NEXT) | instid1(VALU_DEP_3)
	v_dual_lshlrev_b32 v7, 8, v5 :: v_dual_lshlrev_b32 v0, 7, v0
	v_lshl_add_u32 v6, v6, 10, 0x2000
	s_delay_alu instid0(VALU_DEP_2) | instskip(NEXT) | instid1(VALU_DEP_2)
	v_and_b32_e32 v7, 0x8000, v7
	v_and_b32_e32 v6, 0xfc00, v6
	s_delay_alu instid0(VALU_DEP_1)
	v_or3_b32 v54, v7, v6, v0
.LBB277_504:                            ;   in Loop: Header=BB277_15 Depth=1
	s_or_b32 exec_lo, exec_lo, s18
.LBB277_505:                            ;   in Loop: Header=BB277_15 Depth=1
	s_delay_alu instid0(SALU_CYCLE_1)
	s_or_b32 exec_lo, exec_lo, s17
.LBB277_506:                            ;   in Loop: Header=BB277_15 Depth=1
	s_delay_alu instid0(SALU_CYCLE_1) | instskip(SKIP_3) | instid1(VALU_DEP_2)
	s_or_b32 exec_lo, exec_lo, s16
	v_lshrrev_b16 v24, 8, v24
	v_dual_mov_b32 v111, 0 :: v_dual_mov_b32 v122, 0
	s_mov_b32 s16, exec_lo
	v_cmpx_ne_u16_e32 0, v24
	s_cbranch_execz .LBB277_514
; %bb.507:                              ;   in Loop: Header=BB277_15 Depth=1
	v_bfrev_b32_e32 v122, 1
	s_mov_b32 s17, exec_lo
	v_cmpx_ne_u16_e32 0x80, v24
	s_cbranch_execz .LBB277_513
; %bb.508:                              ;   in Loop: Header=BB277_15 Depth=1
	v_and_b32_e32 v0, 0xffff, v24
	v_mov_b32_e32 v122, 0x7c010000
	s_mov_b32 s18, exec_lo
	s_delay_alu instid0(VALU_DEP_2) | instskip(NEXT) | instid1(VALU_DEP_1)
	v_and_b32_e32 v8, 0x7f, v0
	v_cmpx_ne_u32_e32 0x7f, v8
	s_cbranch_execz .LBB277_512
; %bb.509:                              ;   in Loop: Header=BB277_15 Depth=1
	v_and_b32_e32 v6, 7, v0
	v_lshrrev_b32_e32 v7, 3, v8
	s_mov_b32 s19, exec_lo
	v_cmpx_gt_u32_e32 8, v8
; %bb.510:                              ;   in Loop: Header=BB277_15 Depth=1
	s_delay_alu instid0(VALU_DEP_3) | instskip(NEXT) | instid1(VALU_DEP_1)
	v_clz_i32_u32_e32 v6, v6
	v_min_u32_e32 v8, 32, v6
	s_delay_alu instid0(VALU_DEP_1) | instskip(NEXT) | instid1(VALU_DEP_1)
	v_subrev_nc_u32_e32 v6, 28, v8
	v_lshlrev_b64_e32 v[6:7], v6, v[24:25]
	s_delay_alu instid0(VALU_DEP_1)
	v_dual_sub_nc_u32 v7, 29, v8 :: v_dual_bitop2_b32 v6, 7, v6 bitop3:0x40
; %bb.511:                              ;   in Loop: Header=BB277_15 Depth=1
	s_or_b32 exec_lo, exec_lo, s19
	s_delay_alu instid0(VALU_DEP_1) | instskip(NEXT) | instid1(VALU_DEP_2)
	v_dual_lshlrev_b32 v0, 8, v0 :: v_dual_lshlrev_b32 v6, 23, v6
	v_lshl_add_u32 v7, v7, 10, 0x2000
	s_delay_alu instid0(VALU_DEP_1) | instskip(NEXT) | instid1(VALU_DEP_1)
	v_and_or_b32 v0, 0x8000, v0, v7
	v_lshl_or_b32 v122, v0, 16, v6
.LBB277_512:                            ;   in Loop: Header=BB277_15 Depth=1
	s_or_b32 exec_lo, exec_lo, s18
.LBB277_513:                            ;   in Loop: Header=BB277_15 Depth=1
	s_delay_alu instid0(SALU_CYCLE_1)
	s_or_b32 exec_lo, exec_lo, s17
.LBB277_514:                            ;   in Loop: Header=BB277_15 Depth=1
	s_delay_alu instid0(SALU_CYCLE_1) | instskip(SKIP_2) | instid1(VALU_DEP_1)
	s_or_b32 exec_lo, exec_lo, s16
	v_lshrrev_b32_e32 v0, 16, v5
	s_mov_b32 s16, exec_lo
	v_and_b32_e32 v6, 0xff, v0
	s_delay_alu instid0(VALU_DEP_1)
	v_cmpx_ne_u16_e32 0, v6
	s_cbranch_execz .LBB277_522
; %bb.515:                              ;   in Loop: Header=BB277_15 Depth=1
	v_mov_b32_e32 v111, 0x8000
	s_mov_b32 s17, exec_lo
	v_cmpx_ne_u16_e32 0x80, v6
	s_cbranch_execz .LBB277_521
; %bb.516:                              ;   in Loop: Header=BB277_15 Depth=1
	v_bfe_u32 v8, v5, 16, 7
	v_mov_b32_e32 v111, 0x7c01
	s_mov_b32 s18, exec_lo
	s_delay_alu instid0(VALU_DEP_2)
	v_cmpx_ne_u32_e32 0x7f, v8
	s_cbranch_execz .LBB277_520
; %bb.517:                              ;   in Loop: Header=BB277_15 Depth=1
	v_and_b32_e32 v6, 7, v0
	v_lshrrev_b32_e32 v7, 3, v8
	s_mov_b32 s19, exec_lo
	v_cmpx_gt_u32_e32 8, v8
; %bb.518:                              ;   in Loop: Header=BB277_15 Depth=1
	s_delay_alu instid0(VALU_DEP_3) | instskip(NEXT) | instid1(VALU_DEP_1)
	v_clz_i32_u32_e32 v6, v6
	v_min_u32_e32 v8, 32, v6
	s_delay_alu instid0(VALU_DEP_1) | instskip(NEXT) | instid1(VALU_DEP_1)
	v_subrev_nc_u32_e32 v6, 28, v8
	v_lshlrev_b64_e32 v[6:7], v6, v[0:1]
	s_delay_alu instid0(VALU_DEP_1)
	v_dual_sub_nc_u32 v7, 29, v8 :: v_dual_bitop2_b32 v6, 7, v6 bitop3:0x40
; %bb.519:                              ;   in Loop: Header=BB277_15 Depth=1
	s_or_b32 exec_lo, exec_lo, s19
	s_delay_alu instid0(VALU_DEP_1) | instskip(NEXT) | instid1(VALU_DEP_2)
	v_dual_lshlrev_b32 v0, 8, v0 :: v_dual_lshlrev_b32 v6, 7, v6
	v_lshl_add_u32 v7, v7, 10, 0x2000
	s_delay_alu instid0(VALU_DEP_2) | instskip(NEXT) | instid1(VALU_DEP_2)
	v_and_b32_e32 v0, 0x8000, v0
	v_and_b32_e32 v7, 0xfc00, v7
	s_delay_alu instid0(VALU_DEP_1)
	v_or3_b32 v111, v0, v7, v6
.LBB277_520:                            ;   in Loop: Header=BB277_15 Depth=1
	s_or_b32 exec_lo, exec_lo, s18
.LBB277_521:                            ;   in Loop: Header=BB277_15 Depth=1
	s_delay_alu instid0(SALU_CYCLE_1)
	s_or_b32 exec_lo, exec_lo, s17
.LBB277_522:                            ;   in Loop: Header=BB277_15 Depth=1
	s_delay_alu instid0(SALU_CYCLE_1)
	s_or_b32 exec_lo, exec_lo, s16
	v_dual_mov_b32 v110, 0 :: v_dual_mov_b32 v124, 0
	s_mov_b32 s16, exec_lo
	v_cmpx_lt_u64_e64 s[8:9], v[4:5]
	s_cbranch_execz .LBB277_530
; %bb.523:                              ;   in Loop: Header=BB277_15 Depth=1
	v_lshrrev_b32_e32 v24, 24, v5
	v_bfrev_b32_e32 v124, 1
	s_mov_b32 s17, exec_lo
	s_delay_alu instid0(VALU_DEP_2)
	v_cmpx_ne_u32_e32 0x80, v24
	s_cbranch_execz .LBB277_529
; %bb.524:                              ;   in Loop: Header=BB277_15 Depth=1
	v_and_b32_e32 v5, 0x7f, v24
	v_mov_b32_e32 v124, 0x7c010000
	s_mov_b32 s18, exec_lo
	s_delay_alu instid0(VALU_DEP_2)
	v_cmpx_ne_u32_e32 0x7f, v5
	s_cbranch_execz .LBB277_528
; %bb.525:                              ;   in Loop: Header=BB277_15 Depth=1
	v_dual_lshrrev_b32 v4, 3, v5 :: v_dual_bitop2_b32 v0, 7, v24 bitop3:0x40
	s_mov_b32 s19, exec_lo
	v_cmpx_gt_u32_e32 8, v5
; %bb.526:                              ;   in Loop: Header=BB277_15 Depth=1
	s_delay_alu instid0(VALU_DEP_2) | instskip(NEXT) | instid1(VALU_DEP_1)
	v_clz_i32_u32_e32 v0, v0
	v_min_u32_e32 v0, 32, v0
	s_delay_alu instid0(VALU_DEP_1) | instskip(NEXT) | instid1(VALU_DEP_1)
	v_subrev_nc_u32_e32 v4, 28, v0
	v_lshlrev_b64_e32 v[6:7], v4, v[24:25]
	s_delay_alu instid0(VALU_DEP_1)
	v_dual_sub_nc_u32 v4, 29, v0 :: v_dual_bitop2_b32 v0, 7, v6 bitop3:0x40
; %bb.527:                              ;   in Loop: Header=BB277_15 Depth=1
	s_or_b32 exec_lo, exec_lo, s19
	v_lshlrev_b32_e32 v5, 8, v24
	s_delay_alu instid0(VALU_DEP_2) | instskip(NEXT) | instid1(VALU_DEP_3)
	v_lshl_add_u32 v4, v4, 10, 0x2000
	v_lshlrev_b32_e32 v0, 23, v0
	s_delay_alu instid0(VALU_DEP_2) | instskip(NEXT) | instid1(VALU_DEP_1)
	v_and_or_b32 v4, 0x8000, v5, v4
	v_lshl_or_b32 v124, v4, 16, v0
.LBB277_528:                            ;   in Loop: Header=BB277_15 Depth=1
	s_or_b32 exec_lo, exec_lo, s18
.LBB277_529:                            ;   in Loop: Header=BB277_15 Depth=1
	s_delay_alu instid0(SALU_CYCLE_1)
	s_or_b32 exec_lo, exec_lo, s17
.LBB277_530:                            ;   in Loop: Header=BB277_15 Depth=1
	s_delay_alu instid0(SALU_CYCLE_1)
	s_or_b32 exec_lo, exec_lo, s16
	flat_load_b64 v[4:5], v[2:3] offset:2048
	s_mov_b32 s16, exec_lo
	s_wait_loadcnt_dscnt 0x0
	v_and_b32_e32 v0, 0xff, v4
	s_wait_xcnt 0x0
	s_delay_alu instid0(VALU_DEP_1)
	v_cmpx_ne_u16_e32 0, v0
	s_cbranch_execz .LBB277_538
; %bb.531:                              ;   in Loop: Header=BB277_15 Depth=1
	v_mov_b32_e32 v110, 0x8000
	s_mov_b32 s17, exec_lo
	v_cmpx_ne_u16_e32 0x80, v0
	s_cbranch_execz .LBB277_537
; %bb.532:                              ;   in Loop: Header=BB277_15 Depth=1
	v_and_b32_e32 v7, 0x7f, v4
	v_mov_b32_e32 v110, 0x7c01
	s_mov_b32 s18, exec_lo
	s_delay_alu instid0(VALU_DEP_2)
	v_cmpx_ne_u32_e32 0x7f, v7
	s_cbranch_execz .LBB277_536
; %bb.533:                              ;   in Loop: Header=BB277_15 Depth=1
	v_dual_lshrrev_b32 v6, 3, v7 :: v_dual_bitop2_b32 v0, 7, v4 bitop3:0x40
	s_mov_b32 s19, exec_lo
	v_cmpx_gt_u32_e32 8, v7
; %bb.534:                              ;   in Loop: Header=BB277_15 Depth=1
	s_delay_alu instid0(VALU_DEP_2) | instskip(NEXT) | instid1(VALU_DEP_1)
	v_clz_i32_u32_e32 v0, v0
	v_min_u32_e32 v0, 32, v0
	s_delay_alu instid0(VALU_DEP_1) | instskip(NEXT) | instid1(VALU_DEP_1)
	v_subrev_nc_u32_e32 v6, 28, v0
	v_lshlrev_b64_e32 v[8:9], v6, v[4:5]
	v_sub_nc_u32_e32 v6, 29, v0
	s_delay_alu instid0(VALU_DEP_2)
	v_and_b32_e32 v0, 7, v8
; %bb.535:                              ;   in Loop: Header=BB277_15 Depth=1
	s_or_b32 exec_lo, exec_lo, s19
	v_lshlrev_b32_e32 v7, 8, v4
	s_delay_alu instid0(VALU_DEP_3) | instskip(NEXT) | instid1(VALU_DEP_3)
	v_lshl_add_u32 v6, v6, 10, 0x2000
	v_lshlrev_b32_e32 v0, 7, v0
	s_delay_alu instid0(VALU_DEP_3) | instskip(NEXT) | instid1(VALU_DEP_3)
	v_and_b32_e32 v7, 0x8000, v7
	v_and_b32_e32 v6, 0xfc00, v6
	s_delay_alu instid0(VALU_DEP_1)
	v_or3_b32 v110, v7, v6, v0
.LBB277_536:                            ;   in Loop: Header=BB277_15 Depth=1
	s_or_b32 exec_lo, exec_lo, s18
.LBB277_537:                            ;   in Loop: Header=BB277_15 Depth=1
	s_delay_alu instid0(SALU_CYCLE_1)
	s_or_b32 exec_lo, exec_lo, s17
.LBB277_538:                            ;   in Loop: Header=BB277_15 Depth=1
	s_delay_alu instid0(SALU_CYCLE_1) | instskip(SKIP_3) | instid1(VALU_DEP_2)
	s_or_b32 exec_lo, exec_lo, s16
	v_lshrrev_b16 v24, 8, v4
	v_dual_mov_b32 v127, 0 :: v_dual_mov_b32 v46, 0
	s_mov_b32 s16, exec_lo
	v_cmpx_ne_u16_e32 0, v24
	s_cbranch_execz .LBB277_546
; %bb.539:                              ;   in Loop: Header=BB277_15 Depth=1
	v_bfrev_b32_e32 v46, 1
	s_mov_b32 s17, exec_lo
	v_cmpx_ne_u16_e32 0x80, v24
	s_cbranch_execz .LBB277_545
; %bb.540:                              ;   in Loop: Header=BB277_15 Depth=1
	v_and_b32_e32 v0, 0xffff, v24
	v_mov_b32_e32 v46, 0x7c010000
	s_mov_b32 s18, exec_lo
	s_delay_alu instid0(VALU_DEP_2) | instskip(NEXT) | instid1(VALU_DEP_1)
	v_and_b32_e32 v8, 0x7f, v0
	v_cmpx_ne_u32_e32 0x7f, v8
	s_cbranch_execz .LBB277_544
; %bb.541:                              ;   in Loop: Header=BB277_15 Depth=1
	v_and_b32_e32 v6, 7, v0
	v_lshrrev_b32_e32 v7, 3, v8
	s_mov_b32 s19, exec_lo
	v_cmpx_gt_u32_e32 8, v8
; %bb.542:                              ;   in Loop: Header=BB277_15 Depth=1
	s_delay_alu instid0(VALU_DEP_3) | instskip(NEXT) | instid1(VALU_DEP_1)
	v_clz_i32_u32_e32 v6, v6
	v_min_u32_e32 v8, 32, v6
	s_delay_alu instid0(VALU_DEP_1) | instskip(NEXT) | instid1(VALU_DEP_1)
	v_subrev_nc_u32_e32 v6, 28, v8
	v_lshlrev_b64_e32 v[6:7], v6, v[24:25]
	s_delay_alu instid0(VALU_DEP_1)
	v_dual_sub_nc_u32 v7, 29, v8 :: v_dual_bitop2_b32 v6, 7, v6 bitop3:0x40
; %bb.543:                              ;   in Loop: Header=BB277_15 Depth=1
	s_or_b32 exec_lo, exec_lo, s19
	s_delay_alu instid0(VALU_DEP_1) | instskip(NEXT) | instid1(VALU_DEP_2)
	v_dual_lshlrev_b32 v0, 8, v0 :: v_dual_lshlrev_b32 v6, 23, v6
	v_lshl_add_u32 v7, v7, 10, 0x2000
	s_delay_alu instid0(VALU_DEP_1) | instskip(NEXT) | instid1(VALU_DEP_1)
	v_and_or_b32 v0, 0x8000, v0, v7
	v_lshl_or_b32 v46, v0, 16, v6
.LBB277_544:                            ;   in Loop: Header=BB277_15 Depth=1
	s_or_b32 exec_lo, exec_lo, s18
.LBB277_545:                            ;   in Loop: Header=BB277_15 Depth=1
	s_delay_alu instid0(SALU_CYCLE_1)
	s_or_b32 exec_lo, exec_lo, s17
.LBB277_546:                            ;   in Loop: Header=BB277_15 Depth=1
	s_delay_alu instid0(SALU_CYCLE_1) | instskip(SKIP_2) | instid1(VALU_DEP_1)
	s_or_b32 exec_lo, exec_lo, s16
	v_lshrrev_b32_e32 v0, 16, v4
	s_mov_b32 s16, exec_lo
	v_and_b32_e32 v6, 0xff, v0
	s_delay_alu instid0(VALU_DEP_1)
	v_cmpx_ne_u16_e32 0, v6
	s_cbranch_execz .LBB277_554
; %bb.547:                              ;   in Loop: Header=BB277_15 Depth=1
	v_mov_b32_e32 v127, 0x8000
	s_mov_b32 s17, exec_lo
	v_cmpx_ne_u16_e32 0x80, v6
	s_cbranch_execz .LBB277_553
; %bb.548:                              ;   in Loop: Header=BB277_15 Depth=1
	v_bfe_u32 v8, v4, 16, 7
	v_mov_b32_e32 v127, 0x7c01
	s_mov_b32 s18, exec_lo
	s_delay_alu instid0(VALU_DEP_2)
	v_cmpx_ne_u32_e32 0x7f, v8
	s_cbranch_execz .LBB277_552
; %bb.549:                              ;   in Loop: Header=BB277_15 Depth=1
	v_and_b32_e32 v6, 7, v0
	v_lshrrev_b32_e32 v7, 3, v8
	s_mov_b32 s19, exec_lo
	v_cmpx_gt_u32_e32 8, v8
; %bb.550:                              ;   in Loop: Header=BB277_15 Depth=1
	s_delay_alu instid0(VALU_DEP_3) | instskip(NEXT) | instid1(VALU_DEP_1)
	v_clz_i32_u32_e32 v6, v6
	v_min_u32_e32 v8, 32, v6
	s_delay_alu instid0(VALU_DEP_1) | instskip(NEXT) | instid1(VALU_DEP_1)
	v_subrev_nc_u32_e32 v6, 28, v8
	v_lshlrev_b64_e32 v[6:7], v6, v[0:1]
	s_delay_alu instid0(VALU_DEP_1)
	v_dual_sub_nc_u32 v7, 29, v8 :: v_dual_bitop2_b32 v6, 7, v6 bitop3:0x40
; %bb.551:                              ;   in Loop: Header=BB277_15 Depth=1
	s_or_b32 exec_lo, exec_lo, s19
	s_delay_alu instid0(VALU_DEP_1) | instskip(NEXT) | instid1(VALU_DEP_2)
	v_dual_lshlrev_b32 v0, 8, v0 :: v_dual_lshlrev_b32 v6, 7, v6
	v_lshl_add_u32 v7, v7, 10, 0x2000
	s_delay_alu instid0(VALU_DEP_2) | instskip(NEXT) | instid1(VALU_DEP_2)
	v_and_b32_e32 v0, 0x8000, v0
	v_and_b32_e32 v7, 0xfc00, v7
	s_delay_alu instid0(VALU_DEP_1)
	v_or3_b32 v127, v0, v7, v6
.LBB277_552:                            ;   in Loop: Header=BB277_15 Depth=1
	s_or_b32 exec_lo, exec_lo, s18
.LBB277_553:                            ;   in Loop: Header=BB277_15 Depth=1
	s_delay_alu instid0(SALU_CYCLE_1)
	s_or_b32 exec_lo, exec_lo, s17
.LBB277_554:                            ;   in Loop: Header=BB277_15 Depth=1
	s_delay_alu instid0(SALU_CYCLE_1)
	s_or_b32 exec_lo, exec_lo, s16
	v_dual_mov_b32 v47, 0 :: v_dual_mov_b32 v56, 0
	s_mov_b32 s16, exec_lo
	v_cmpx_lt_u32_e32 0xffffff, v4
	s_cbranch_execz .LBB277_562
; %bb.555:                              ;   in Loop: Header=BB277_15 Depth=1
	v_lshrrev_b32_e32 v24, 24, v4
	v_bfrev_b32_e32 v56, 1
	s_mov_b32 s17, exec_lo
	s_delay_alu instid0(VALU_DEP_2)
	v_cmpx_ne_u32_e32 0x80, v24
	s_cbranch_execz .LBB277_561
; %bb.556:                              ;   in Loop: Header=BB277_15 Depth=1
	v_and_b32_e32 v7, 0x7f, v24
	v_mov_b32_e32 v56, 0x7c010000
	s_mov_b32 s18, exec_lo
	s_delay_alu instid0(VALU_DEP_2)
	v_cmpx_ne_u32_e32 0x7f, v7
	s_cbranch_execz .LBB277_560
; %bb.557:                              ;   in Loop: Header=BB277_15 Depth=1
	v_dual_lshrrev_b32 v6, 3, v7 :: v_dual_bitop2_b32 v0, 7, v24 bitop3:0x40
	s_mov_b32 s19, exec_lo
	v_cmpx_gt_u32_e32 8, v7
; %bb.558:                              ;   in Loop: Header=BB277_15 Depth=1
	s_delay_alu instid0(VALU_DEP_2) | instskip(NEXT) | instid1(VALU_DEP_1)
	v_clz_i32_u32_e32 v0, v0
	v_min_u32_e32 v0, 32, v0
	s_delay_alu instid0(VALU_DEP_1) | instskip(NEXT) | instid1(VALU_DEP_1)
	v_subrev_nc_u32_e32 v6, 28, v0
	v_lshlrev_b64_e32 v[8:9], v6, v[24:25]
	v_sub_nc_u32_e32 v6, 29, v0
	s_delay_alu instid0(VALU_DEP_2)
	v_and_b32_e32 v0, 7, v8
; %bb.559:                              ;   in Loop: Header=BB277_15 Depth=1
	s_or_b32 exec_lo, exec_lo, s19
	v_lshlrev_b32_e32 v7, 8, v24
	s_delay_alu instid0(VALU_DEP_3) | instskip(NEXT) | instid1(VALU_DEP_3)
	v_lshl_add_u32 v6, v6, 10, 0x2000
	v_lshlrev_b32_e32 v0, 23, v0
	s_delay_alu instid0(VALU_DEP_2) | instskip(NEXT) | instid1(VALU_DEP_1)
	v_and_or_b32 v6, 0x8000, v7, v6
	v_lshl_or_b32 v56, v6, 16, v0
.LBB277_560:                            ;   in Loop: Header=BB277_15 Depth=1
	s_or_b32 exec_lo, exec_lo, s18
.LBB277_561:                            ;   in Loop: Header=BB277_15 Depth=1
	s_delay_alu instid0(SALU_CYCLE_1)
	s_or_b32 exec_lo, exec_lo, s17
.LBB277_562:                            ;   in Loop: Header=BB277_15 Depth=1
	s_delay_alu instid0(SALU_CYCLE_1) | instskip(SKIP_3) | instid1(VALU_DEP_2)
	s_or_b32 exec_lo, exec_lo, s16
	v_and_b32_e32 v0, 0xff, v5
	v_mov_b32_e32 v24, v5
	s_mov_b32 s16, exec_lo
	v_cmpx_ne_u16_e32 0, v0
	s_cbranch_execz .LBB277_570
; %bb.563:                              ;   in Loop: Header=BB277_15 Depth=1
	v_mov_b32_e32 v47, 0x8000
	s_mov_b32 s17, exec_lo
	v_cmpx_ne_u16_e32 0x80, v0
	s_cbranch_execz .LBB277_569
; %bb.564:                              ;   in Loop: Header=BB277_15 Depth=1
	v_and_b32_e32 v7, 0x7f, v5
	v_mov_b32_e32 v47, 0x7c01
	s_mov_b32 s18, exec_lo
	s_delay_alu instid0(VALU_DEP_2)
	v_cmpx_ne_u32_e32 0x7f, v7
	s_cbranch_execz .LBB277_568
; %bb.565:                              ;   in Loop: Header=BB277_15 Depth=1
	v_dual_lshrrev_b32 v6, 3, v7 :: v_dual_bitop2_b32 v0, 7, v5 bitop3:0x40
	s_mov_b32 s19, exec_lo
	v_cmpx_gt_u32_e32 8, v7
; %bb.566:                              ;   in Loop: Header=BB277_15 Depth=1
	s_delay_alu instid0(VALU_DEP_2) | instskip(NEXT) | instid1(VALU_DEP_1)
	v_clz_i32_u32_e32 v0, v0
	v_min_u32_e32 v0, 32, v0
	s_delay_alu instid0(VALU_DEP_1) | instskip(NEXT) | instid1(VALU_DEP_1)
	v_subrev_nc_u32_e32 v6, 28, v0
	v_lshlrev_b64_e32 v[8:9], v6, v[24:25]
	v_sub_nc_u32_e32 v6, 29, v0
	s_delay_alu instid0(VALU_DEP_2)
	v_and_b32_e32 v0, 7, v8
; %bb.567:                              ;   in Loop: Header=BB277_15 Depth=1
	s_or_b32 exec_lo, exec_lo, s19
	s_delay_alu instid0(VALU_DEP_1) | instskip(NEXT) | instid1(VALU_DEP_3)
	v_dual_lshlrev_b32 v7, 8, v5 :: v_dual_lshlrev_b32 v0, 7, v0
	v_lshl_add_u32 v6, v6, 10, 0x2000
	s_delay_alu instid0(VALU_DEP_2) | instskip(NEXT) | instid1(VALU_DEP_2)
	v_and_b32_e32 v7, 0x8000, v7
	v_and_b32_e32 v6, 0xfc00, v6
	s_delay_alu instid0(VALU_DEP_1)
	v_or3_b32 v47, v7, v6, v0
.LBB277_568:                            ;   in Loop: Header=BB277_15 Depth=1
	s_or_b32 exec_lo, exec_lo, s18
.LBB277_569:                            ;   in Loop: Header=BB277_15 Depth=1
	s_delay_alu instid0(SALU_CYCLE_1)
	s_or_b32 exec_lo, exec_lo, s17
.LBB277_570:                            ;   in Loop: Header=BB277_15 Depth=1
	s_delay_alu instid0(SALU_CYCLE_1) | instskip(SKIP_3) | instid1(VALU_DEP_2)
	s_or_b32 exec_lo, exec_lo, s16
	v_lshrrev_b16 v24, 8, v24
	v_dual_mov_b32 v11, 0 :: v_dual_mov_b32 v126, 0
	s_mov_b32 s16, exec_lo
	v_cmpx_ne_u16_e32 0, v24
	s_cbranch_execz .LBB277_578
; %bb.571:                              ;   in Loop: Header=BB277_15 Depth=1
	v_bfrev_b32_e32 v126, 1
	s_mov_b32 s17, exec_lo
	v_cmpx_ne_u16_e32 0x80, v24
	s_cbranch_execz .LBB277_577
; %bb.572:                              ;   in Loop: Header=BB277_15 Depth=1
	v_and_b32_e32 v0, 0xffff, v24
	v_mov_b32_e32 v126, 0x7c010000
	s_mov_b32 s18, exec_lo
	s_delay_alu instid0(VALU_DEP_2) | instskip(NEXT) | instid1(VALU_DEP_1)
	v_and_b32_e32 v8, 0x7f, v0
	v_cmpx_ne_u32_e32 0x7f, v8
	s_cbranch_execz .LBB277_576
; %bb.573:                              ;   in Loop: Header=BB277_15 Depth=1
	v_and_b32_e32 v6, 7, v0
	v_lshrrev_b32_e32 v7, 3, v8
	s_mov_b32 s19, exec_lo
	v_cmpx_gt_u32_e32 8, v8
; %bb.574:                              ;   in Loop: Header=BB277_15 Depth=1
	s_delay_alu instid0(VALU_DEP_3) | instskip(NEXT) | instid1(VALU_DEP_1)
	v_clz_i32_u32_e32 v6, v6
	v_min_u32_e32 v8, 32, v6
	s_delay_alu instid0(VALU_DEP_1) | instskip(NEXT) | instid1(VALU_DEP_1)
	v_subrev_nc_u32_e32 v6, 28, v8
	v_lshlrev_b64_e32 v[6:7], v6, v[24:25]
	s_delay_alu instid0(VALU_DEP_1)
	v_dual_sub_nc_u32 v7, 29, v8 :: v_dual_bitop2_b32 v6, 7, v6 bitop3:0x40
; %bb.575:                              ;   in Loop: Header=BB277_15 Depth=1
	s_or_b32 exec_lo, exec_lo, s19
	s_delay_alu instid0(VALU_DEP_1) | instskip(NEXT) | instid1(VALU_DEP_2)
	v_dual_lshlrev_b32 v0, 8, v0 :: v_dual_lshlrev_b32 v6, 23, v6
	v_lshl_add_u32 v7, v7, 10, 0x2000
	s_delay_alu instid0(VALU_DEP_1) | instskip(NEXT) | instid1(VALU_DEP_1)
	v_and_or_b32 v0, 0x8000, v0, v7
	v_lshl_or_b32 v126, v0, 16, v6
.LBB277_576:                            ;   in Loop: Header=BB277_15 Depth=1
	s_or_b32 exec_lo, exec_lo, s18
.LBB277_577:                            ;   in Loop: Header=BB277_15 Depth=1
	s_delay_alu instid0(SALU_CYCLE_1)
	s_or_b32 exec_lo, exec_lo, s17
.LBB277_578:                            ;   in Loop: Header=BB277_15 Depth=1
	s_delay_alu instid0(SALU_CYCLE_1) | instskip(SKIP_2) | instid1(VALU_DEP_1)
	s_or_b32 exec_lo, exec_lo, s16
	v_lshrrev_b32_e32 v0, 16, v5
	s_mov_b32 s16, exec_lo
	v_and_b32_e32 v7, 0xff, v0
	s_delay_alu instid0(VALU_DEP_1)
	v_cmpx_ne_u16_e32 0, v7
	s_cbranch_execz .LBB277_586
; %bb.579:                              ;   in Loop: Header=BB277_15 Depth=1
	v_mov_b32_e32 v11, 0x8000
	s_mov_b32 s17, exec_lo
	v_cmpx_ne_u16_e32 0x80, v7
	s_cbranch_execz .LBB277_585
; %bb.580:                              ;   in Loop: Header=BB277_15 Depth=1
	v_bfe_u32 v9, v5, 16, 7
	v_mov_b32_e32 v11, 0x7c01
	s_mov_b32 s18, exec_lo
	s_delay_alu instid0(VALU_DEP_2)
	v_cmpx_ne_u32_e32 0x7f, v9
	s_cbranch_execz .LBB277_584
; %bb.581:                              ;   in Loop: Header=BB277_15 Depth=1
	v_dual_lshrrev_b32 v8, 3, v9 :: v_dual_bitop2_b32 v7, 7, v0 bitop3:0x40
	s_mov_b32 s19, exec_lo
	v_cmpx_gt_u32_e32 8, v9
; %bb.582:                              ;   in Loop: Header=BB277_15 Depth=1
	s_delay_alu instid0(VALU_DEP_2) | instskip(NEXT) | instid1(VALU_DEP_1)
	v_clz_i32_u32_e32 v7, v7
	v_min_u32_e32 v7, 32, v7
	s_delay_alu instid0(VALU_DEP_1) | instskip(NEXT) | instid1(VALU_DEP_1)
	v_subrev_nc_u32_e32 v8, 28, v7
	v_lshlrev_b64_e32 v[10:11], v8, v[0:1]
	s_delay_alu instid0(VALU_DEP_1)
	v_dual_sub_nc_u32 v8, 29, v7 :: v_dual_bitop2_b32 v7, 7, v10 bitop3:0x40
; %bb.583:                              ;   in Loop: Header=BB277_15 Depth=1
	s_or_b32 exec_lo, exec_lo, s19
	s_delay_alu instid0(VALU_DEP_1) | instskip(NEXT) | instid1(VALU_DEP_2)
	v_dual_lshlrev_b32 v0, 8, v0 :: v_dual_lshlrev_b32 v7, 7, v7
	v_lshl_add_u32 v8, v8, 10, 0x2000
	s_delay_alu instid0(VALU_DEP_2) | instskip(NEXT) | instid1(VALU_DEP_2)
	v_and_b32_e32 v0, 0x8000, v0
	v_and_b32_e32 v8, 0xfc00, v8
	s_delay_alu instid0(VALU_DEP_1)
	v_or3_b32 v11, v0, v8, v7
.LBB277_584:                            ;   in Loop: Header=BB277_15 Depth=1
	s_or_b32 exec_lo, exec_lo, s18
.LBB277_585:                            ;   in Loop: Header=BB277_15 Depth=1
	s_delay_alu instid0(SALU_CYCLE_1)
	s_or_b32 exec_lo, exec_lo, s17
.LBB277_586:                            ;   in Loop: Header=BB277_15 Depth=1
	s_delay_alu instid0(SALU_CYCLE_1)
	s_or_b32 exec_lo, exec_lo, s16
	v_dual_mov_b32 v10, 0 :: v_dual_mov_b32 v57, 0
	s_mov_b32 s16, exec_lo
	v_cmpx_lt_u64_e64 s[8:9], v[4:5]
	s_cbranch_execz .LBB277_594
; %bb.587:                              ;   in Loop: Header=BB277_15 Depth=1
	v_lshrrev_b32_e32 v24, 24, v5
	v_bfrev_b32_e32 v57, 1
	s_mov_b32 s17, exec_lo
	s_delay_alu instid0(VALU_DEP_2)
	v_cmpx_ne_u32_e32 0x80, v24
	s_cbranch_execz .LBB277_593
; %bb.588:                              ;   in Loop: Header=BB277_15 Depth=1
	v_and_b32_e32 v5, 0x7f, v24
	v_mov_b32_e32 v57, 0x7c010000
	s_mov_b32 s18, exec_lo
	s_delay_alu instid0(VALU_DEP_2)
	v_cmpx_ne_u32_e32 0x7f, v5
	s_cbranch_execz .LBB277_592
; %bb.589:                              ;   in Loop: Header=BB277_15 Depth=1
	v_dual_lshrrev_b32 v4, 3, v5 :: v_dual_bitop2_b32 v0, 7, v24 bitop3:0x40
	s_mov_b32 s19, exec_lo
	v_cmpx_gt_u32_e32 8, v5
; %bb.590:                              ;   in Loop: Header=BB277_15 Depth=1
	s_delay_alu instid0(VALU_DEP_2) | instskip(NEXT) | instid1(VALU_DEP_1)
	v_clz_i32_u32_e32 v0, v0
	v_min_u32_e32 v0, 32, v0
	s_delay_alu instid0(VALU_DEP_1) | instskip(NEXT) | instid1(VALU_DEP_1)
	v_subrev_nc_u32_e32 v4, 28, v0
	v_lshlrev_b64_e32 v[8:9], v4, v[24:25]
	v_sub_nc_u32_e32 v4, 29, v0
	s_delay_alu instid0(VALU_DEP_2)
	v_and_b32_e32 v0, 7, v8
; %bb.591:                              ;   in Loop: Header=BB277_15 Depth=1
	s_or_b32 exec_lo, exec_lo, s19
	v_lshlrev_b32_e32 v5, 8, v24
	s_delay_alu instid0(VALU_DEP_3) | instskip(NEXT) | instid1(VALU_DEP_3)
	v_lshl_add_u32 v4, v4, 10, 0x2000
	v_lshlrev_b32_e32 v0, 23, v0
	s_delay_alu instid0(VALU_DEP_2) | instskip(NEXT) | instid1(VALU_DEP_1)
	v_and_or_b32 v4, 0x8000, v5, v4
	v_lshl_or_b32 v57, v4, 16, v0
.LBB277_592:                            ;   in Loop: Header=BB277_15 Depth=1
	s_or_b32 exec_lo, exec_lo, s18
.LBB277_593:                            ;   in Loop: Header=BB277_15 Depth=1
	s_delay_alu instid0(SALU_CYCLE_1)
	s_or_b32 exec_lo, exec_lo, s17
.LBB277_594:                            ;   in Loop: Header=BB277_15 Depth=1
	s_delay_alu instid0(SALU_CYCLE_1)
	s_or_b32 exec_lo, exec_lo, s16
	flat_load_b64 v[4:5], v[2:3] offset:2056
	s_mov_b32 s16, exec_lo
	s_wait_loadcnt_dscnt 0x0
	v_and_b32_e32 v0, 0xff, v4
	s_wait_xcnt 0x0
	s_delay_alu instid0(VALU_DEP_1)
	v_cmpx_ne_u16_e32 0, v0
	s_cbranch_execz .LBB277_602
; %bb.595:                              ;   in Loop: Header=BB277_15 Depth=1
	v_mov_b32_e32 v10, 0x8000
	s_mov_b32 s17, exec_lo
	v_cmpx_ne_u16_e32 0x80, v0
	s_cbranch_execz .LBB277_601
; %bb.596:                              ;   in Loop: Header=BB277_15 Depth=1
	v_and_b32_e32 v8, 0x7f, v4
	v_mov_b32_e32 v10, 0x7c01
	s_mov_b32 s18, exec_lo
	s_delay_alu instid0(VALU_DEP_2)
	v_cmpx_ne_u32_e32 0x7f, v8
	s_cbranch_execz .LBB277_600
; %bb.597:                              ;   in Loop: Header=BB277_15 Depth=1
	v_and_b32_e32 v0, 7, v4
	v_lshrrev_b32_e32 v7, 3, v8
	s_mov_b32 s19, exec_lo
	v_cmpx_gt_u32_e32 8, v8
; %bb.598:                              ;   in Loop: Header=BB277_15 Depth=1
	s_delay_alu instid0(VALU_DEP_3) | instskip(NEXT) | instid1(VALU_DEP_1)
	v_clz_i32_u32_e32 v0, v0
	v_min_u32_e32 v0, 32, v0
	s_delay_alu instid0(VALU_DEP_1) | instskip(NEXT) | instid1(VALU_DEP_1)
	v_subrev_nc_u32_e32 v7, 28, v0
	v_lshlrev_b64_e32 v[8:9], v7, v[4:5]
	v_sub_nc_u32_e32 v7, 29, v0
	s_delay_alu instid0(VALU_DEP_2)
	v_and_b32_e32 v0, 7, v8
; %bb.599:                              ;   in Loop: Header=BB277_15 Depth=1
	s_or_b32 exec_lo, exec_lo, s19
	v_lshlrev_b32_e32 v8, 8, v4
	s_delay_alu instid0(VALU_DEP_3) | instskip(NEXT) | instid1(VALU_DEP_3)
	v_lshl_add_u32 v7, v7, 10, 0x2000
	v_lshlrev_b32_e32 v0, 7, v0
	s_delay_alu instid0(VALU_DEP_3) | instskip(NEXT) | instid1(VALU_DEP_3)
	v_and_b32_e32 v8, 0x8000, v8
	v_and_b32_e32 v7, 0xfc00, v7
	s_delay_alu instid0(VALU_DEP_1)
	v_or3_b32 v10, v8, v7, v0
.LBB277_600:                            ;   in Loop: Header=BB277_15 Depth=1
	s_or_b32 exec_lo, exec_lo, s18
.LBB277_601:                            ;   in Loop: Header=BB277_15 Depth=1
	s_delay_alu instid0(SALU_CYCLE_1)
	s_or_b32 exec_lo, exec_lo, s17
.LBB277_602:                            ;   in Loop: Header=BB277_15 Depth=1
	s_delay_alu instid0(SALU_CYCLE_1) | instskip(SKIP_3) | instid1(VALU_DEP_2)
	s_or_b32 exec_lo, exec_lo, s16
	v_lshrrev_b16 v24, 8, v4
	v_dual_mov_b32 v74, 0 :: v_dual_mov_b32 v75, 0
	s_mov_b32 s16, exec_lo
	v_cmpx_ne_u16_e32 0, v24
	s_cbranch_execz .LBB277_610
; %bb.603:                              ;   in Loop: Header=BB277_15 Depth=1
	v_bfrev_b32_e32 v75, 1
	s_mov_b32 s17, exec_lo
	v_cmpx_ne_u16_e32 0x80, v24
	s_cbranch_execz .LBB277_609
; %bb.604:                              ;   in Loop: Header=BB277_15 Depth=1
	v_and_b32_e32 v0, 0xffff, v24
	v_mov_b32_e32 v75, 0x7c010000
	s_mov_b32 s18, exec_lo
	s_delay_alu instid0(VALU_DEP_2) | instskip(NEXT) | instid1(VALU_DEP_1)
	v_and_b32_e32 v9, 0x7f, v0
	v_cmpx_ne_u32_e32 0x7f, v9
	s_cbranch_execz .LBB277_608
; %bb.605:                              ;   in Loop: Header=BB277_15 Depth=1
	v_dual_lshrrev_b32 v8, 3, v9 :: v_dual_bitop2_b32 v7, 7, v0 bitop3:0x40
	s_mov_b32 s19, exec_lo
	v_cmpx_gt_u32_e32 8, v9
; %bb.606:                              ;   in Loop: Header=BB277_15 Depth=1
	s_delay_alu instid0(VALU_DEP_2) | instskip(NEXT) | instid1(VALU_DEP_1)
	v_clz_i32_u32_e32 v7, v7
	v_min_u32_e32 v7, 32, v7
	s_delay_alu instid0(VALU_DEP_1) | instskip(NEXT) | instid1(VALU_DEP_1)
	v_subrev_nc_u32_e32 v8, 28, v7
	v_lshlrev_b64_e32 v[14:15], v8, v[24:25]
	s_delay_alu instid0(VALU_DEP_1)
	v_dual_sub_nc_u32 v8, 29, v7 :: v_dual_bitop2_b32 v7, 7, v14 bitop3:0x40
; %bb.607:                              ;   in Loop: Header=BB277_15 Depth=1
	s_or_b32 exec_lo, exec_lo, s19
	s_delay_alu instid0(VALU_DEP_1) | instskip(NEXT) | instid1(VALU_DEP_2)
	v_dual_lshlrev_b32 v0, 8, v0 :: v_dual_lshlrev_b32 v7, 23, v7
	v_lshl_add_u32 v8, v8, 10, 0x2000
	s_delay_alu instid0(VALU_DEP_1) | instskip(NEXT) | instid1(VALU_DEP_1)
	v_and_or_b32 v0, 0x8000, v0, v8
	v_lshl_or_b32 v75, v0, 16, v7
.LBB277_608:                            ;   in Loop: Header=BB277_15 Depth=1
	s_or_b32 exec_lo, exec_lo, s18
.LBB277_609:                            ;   in Loop: Header=BB277_15 Depth=1
	s_delay_alu instid0(SALU_CYCLE_1)
	s_or_b32 exec_lo, exec_lo, s17
.LBB277_610:                            ;   in Loop: Header=BB277_15 Depth=1
	s_delay_alu instid0(SALU_CYCLE_1) | instskip(SKIP_2) | instid1(VALU_DEP_1)
	s_or_b32 exec_lo, exec_lo, s16
	v_lshrrev_b32_e32 v0, 16, v4
	s_mov_b32 s16, exec_lo
	v_and_b32_e32 v7, 0xff, v0
	s_delay_alu instid0(VALU_DEP_1)
	v_cmpx_ne_u16_e32 0, v7
	s_cbranch_execz .LBB277_618
; %bb.611:                              ;   in Loop: Header=BB277_15 Depth=1
	v_mov_b32_e32 v74, 0x8000
	s_mov_b32 s17, exec_lo
	v_cmpx_ne_u16_e32 0x80, v7
	s_cbranch_execz .LBB277_617
; %bb.612:                              ;   in Loop: Header=BB277_15 Depth=1
	v_bfe_u32 v9, v4, 16, 7
	v_mov_b32_e32 v74, 0x7c01
	s_mov_b32 s18, exec_lo
	s_delay_alu instid0(VALU_DEP_2)
	v_cmpx_ne_u32_e32 0x7f, v9
	s_cbranch_execz .LBB277_616
; %bb.613:                              ;   in Loop: Header=BB277_15 Depth=1
	v_dual_lshrrev_b32 v8, 3, v9 :: v_dual_bitop2_b32 v7, 7, v0 bitop3:0x40
	s_mov_b32 s19, exec_lo
	v_cmpx_gt_u32_e32 8, v9
; %bb.614:                              ;   in Loop: Header=BB277_15 Depth=1
	s_delay_alu instid0(VALU_DEP_2) | instskip(NEXT) | instid1(VALU_DEP_1)
	v_clz_i32_u32_e32 v7, v7
	v_min_u32_e32 v7, 32, v7
	s_delay_alu instid0(VALU_DEP_1) | instskip(NEXT) | instid1(VALU_DEP_1)
	v_subrev_nc_u32_e32 v8, 28, v7
	v_lshlrev_b64_e32 v[14:15], v8, v[0:1]
	s_delay_alu instid0(VALU_DEP_1)
	v_dual_sub_nc_u32 v8, 29, v7 :: v_dual_bitop2_b32 v7, 7, v14 bitop3:0x40
; %bb.615:                              ;   in Loop: Header=BB277_15 Depth=1
	s_or_b32 exec_lo, exec_lo, s19
	s_delay_alu instid0(VALU_DEP_1) | instskip(NEXT) | instid1(VALU_DEP_2)
	v_dual_lshlrev_b32 v0, 8, v0 :: v_dual_lshlrev_b32 v7, 7, v7
	v_lshl_add_u32 v8, v8, 10, 0x2000
	s_delay_alu instid0(VALU_DEP_2) | instskip(NEXT) | instid1(VALU_DEP_2)
	v_and_b32_e32 v0, 0x8000, v0
	v_and_b32_e32 v8, 0xfc00, v8
	s_delay_alu instid0(VALU_DEP_1)
	v_or3_b32 v74, v0, v8, v7
.LBB277_616:                            ;   in Loop: Header=BB277_15 Depth=1
	s_or_b32 exec_lo, exec_lo, s18
.LBB277_617:                            ;   in Loop: Header=BB277_15 Depth=1
	s_delay_alu instid0(SALU_CYCLE_1)
	s_or_b32 exec_lo, exec_lo, s17
.LBB277_618:                            ;   in Loop: Header=BB277_15 Depth=1
	s_delay_alu instid0(SALU_CYCLE_1)
	s_or_b32 exec_lo, exec_lo, s16
	v_dual_mov_b32 v15, 0 :: v_dual_mov_b32 v76, 0
	s_mov_b32 s16, exec_lo
	v_cmpx_lt_u32_e32 0xffffff, v4
	s_cbranch_execz .LBB277_626
; %bb.619:                              ;   in Loop: Header=BB277_15 Depth=1
	v_lshrrev_b32_e32 v24, 24, v4
	v_bfrev_b32_e32 v76, 1
	s_mov_b32 s17, exec_lo
	s_delay_alu instid0(VALU_DEP_2)
	v_cmpx_ne_u32_e32 0x80, v24
	s_cbranch_execz .LBB277_625
; %bb.620:                              ;   in Loop: Header=BB277_15 Depth=1
	v_and_b32_e32 v8, 0x7f, v24
	v_mov_b32_e32 v76, 0x7c010000
	s_mov_b32 s18, exec_lo
	s_delay_alu instid0(VALU_DEP_2)
	v_cmpx_ne_u32_e32 0x7f, v8
	s_cbranch_execz .LBB277_624
; %bb.621:                              ;   in Loop: Header=BB277_15 Depth=1
	v_and_b32_e32 v0, 7, v24
	v_lshrrev_b32_e32 v7, 3, v8
	s_mov_b32 s19, exec_lo
	v_cmpx_gt_u32_e32 8, v8
; %bb.622:                              ;   in Loop: Header=BB277_15 Depth=1
	s_delay_alu instid0(VALU_DEP_3) | instskip(NEXT) | instid1(VALU_DEP_1)
	v_clz_i32_u32_e32 v0, v0
	v_min_u32_e32 v0, 32, v0
	s_delay_alu instid0(VALU_DEP_1) | instskip(NEXT) | instid1(VALU_DEP_1)
	v_subrev_nc_u32_e32 v7, 28, v0
	v_lshlrev_b64_e32 v[8:9], v7, v[24:25]
	v_sub_nc_u32_e32 v7, 29, v0
	s_delay_alu instid0(VALU_DEP_2)
	v_and_b32_e32 v0, 7, v8
; %bb.623:                              ;   in Loop: Header=BB277_15 Depth=1
	s_or_b32 exec_lo, exec_lo, s19
	v_lshlrev_b32_e32 v8, 8, v24
	s_delay_alu instid0(VALU_DEP_3) | instskip(NEXT) | instid1(VALU_DEP_3)
	v_lshl_add_u32 v7, v7, 10, 0x2000
	v_lshlrev_b32_e32 v0, 23, v0
	s_delay_alu instid0(VALU_DEP_2) | instskip(NEXT) | instid1(VALU_DEP_1)
	v_and_or_b32 v7, 0x8000, v8, v7
	v_lshl_or_b32 v76, v7, 16, v0
.LBB277_624:                            ;   in Loop: Header=BB277_15 Depth=1
	s_or_b32 exec_lo, exec_lo, s18
.LBB277_625:                            ;   in Loop: Header=BB277_15 Depth=1
	s_delay_alu instid0(SALU_CYCLE_1)
	s_or_b32 exec_lo, exec_lo, s17
.LBB277_626:                            ;   in Loop: Header=BB277_15 Depth=1
	s_delay_alu instid0(SALU_CYCLE_1) | instskip(SKIP_3) | instid1(VALU_DEP_2)
	s_or_b32 exec_lo, exec_lo, s16
	v_and_b32_e32 v0, 0xff, v5
	v_mov_b32_e32 v24, v5
	s_mov_b32 s16, exec_lo
	v_cmpx_ne_u16_e32 0, v0
	s_cbranch_execz .LBB277_634
; %bb.627:                              ;   in Loop: Header=BB277_15 Depth=1
	v_mov_b32_e32 v15, 0x8000
	s_mov_b32 s17, exec_lo
	v_cmpx_ne_u16_e32 0x80, v0
	s_cbranch_execz .LBB277_633
; %bb.628:                              ;   in Loop: Header=BB277_15 Depth=1
	v_and_b32_e32 v8, 0x7f, v5
	v_mov_b32_e32 v15, 0x7c01
	s_mov_b32 s18, exec_lo
	s_delay_alu instid0(VALU_DEP_2)
	v_cmpx_ne_u32_e32 0x7f, v8
	s_cbranch_execz .LBB277_632
; %bb.629:                              ;   in Loop: Header=BB277_15 Depth=1
	v_dual_lshrrev_b32 v7, 3, v8 :: v_dual_bitop2_b32 v0, 7, v5 bitop3:0x40
	s_mov_b32 s19, exec_lo
	v_cmpx_gt_u32_e32 8, v8
; %bb.630:                              ;   in Loop: Header=BB277_15 Depth=1
	s_delay_alu instid0(VALU_DEP_2) | instskip(NEXT) | instid1(VALU_DEP_1)
	v_clz_i32_u32_e32 v0, v0
	v_min_u32_e32 v0, 32, v0
	s_delay_alu instid0(VALU_DEP_1) | instskip(NEXT) | instid1(VALU_DEP_1)
	v_subrev_nc_u32_e32 v7, 28, v0
	v_lshlrev_b64_e32 v[8:9], v7, v[24:25]
	v_sub_nc_u32_e32 v7, 29, v0
	s_delay_alu instid0(VALU_DEP_2)
	v_and_b32_e32 v0, 7, v8
; %bb.631:                              ;   in Loop: Header=BB277_15 Depth=1
	s_or_b32 exec_lo, exec_lo, s19
	s_delay_alu instid0(VALU_DEP_1) | instskip(NEXT) | instid1(VALU_DEP_3)
	v_dual_lshlrev_b32 v8, 8, v5 :: v_dual_lshlrev_b32 v0, 7, v0
	v_lshl_add_u32 v7, v7, 10, 0x2000
	s_delay_alu instid0(VALU_DEP_2) | instskip(NEXT) | instid1(VALU_DEP_2)
	v_and_b32_e32 v8, 0x8000, v8
	v_and_b32_e32 v7, 0xfc00, v7
	s_delay_alu instid0(VALU_DEP_1)
	v_or3_b32 v15, v8, v7, v0
.LBB277_632:                            ;   in Loop: Header=BB277_15 Depth=1
	s_or_b32 exec_lo, exec_lo, s18
.LBB277_633:                            ;   in Loop: Header=BB277_15 Depth=1
	s_delay_alu instid0(SALU_CYCLE_1)
	s_or_b32 exec_lo, exec_lo, s17
.LBB277_634:                            ;   in Loop: Header=BB277_15 Depth=1
	s_delay_alu instid0(SALU_CYCLE_1) | instskip(SKIP_3) | instid1(VALU_DEP_2)
	s_or_b32 exec_lo, exec_lo, s16
	v_lshrrev_b16 v24, 8, v24
	v_dual_mov_b32 v77, 0 :: v_dual_mov_b32 v78, 0
	s_mov_b32 s16, exec_lo
	v_cmpx_ne_u16_e32 0, v24
	s_cbranch_execz .LBB277_642
; %bb.635:                              ;   in Loop: Header=BB277_15 Depth=1
	v_bfrev_b32_e32 v78, 1
	s_mov_b32 s17, exec_lo
	v_cmpx_ne_u16_e32 0x80, v24
	s_cbranch_execz .LBB277_641
; %bb.636:                              ;   in Loop: Header=BB277_15 Depth=1
	v_and_b32_e32 v0, 0xffff, v24
	v_mov_b32_e32 v78, 0x7c010000
	s_mov_b32 s18, exec_lo
	s_delay_alu instid0(VALU_DEP_2) | instskip(NEXT) | instid1(VALU_DEP_1)
	v_and_b32_e32 v14, 0x7f, v0
	v_cmpx_ne_u32_e32 0x7f, v14
	s_cbranch_execz .LBB277_640
; %bb.637:                              ;   in Loop: Header=BB277_15 Depth=1
	v_dual_lshrrev_b32 v9, 3, v14 :: v_dual_bitop2_b32 v8, 7, v0 bitop3:0x40
	s_mov_b32 s19, exec_lo
	v_cmpx_gt_u32_e32 8, v14
; %bb.638:                              ;   in Loop: Header=BB277_15 Depth=1
	s_delay_alu instid0(VALU_DEP_2) | instskip(NEXT) | instid1(VALU_DEP_1)
	v_clz_i32_u32_e32 v7, v8
	v_min_u32_e32 v7, 32, v7
	s_delay_alu instid0(VALU_DEP_1) | instskip(NEXT) | instid1(VALU_DEP_1)
	v_subrev_nc_u32_e32 v8, 28, v7
	v_lshlrev_b64_e32 v[8:9], v8, v[24:25]
	s_delay_alu instid0(VALU_DEP_1)
	v_dual_sub_nc_u32 v9, 29, v7 :: v_dual_bitop2_b32 v8, 7, v8 bitop3:0x40
; %bb.639:                              ;   in Loop: Header=BB277_15 Depth=1
	s_or_b32 exec_lo, exec_lo, s19
	v_lshlrev_b32_e32 v0, 8, v0
	s_delay_alu instid0(VALU_DEP_2) | instskip(NEXT) | instid1(VALU_DEP_1)
	v_lshl_add_u32 v7, v9, 10, 0x2000
	v_and_or_b32 v0, 0x8000, v0, v7
	v_lshlrev_b32_e32 v7, 23, v8
	s_delay_alu instid0(VALU_DEP_1)
	v_lshl_or_b32 v78, v0, 16, v7
.LBB277_640:                            ;   in Loop: Header=BB277_15 Depth=1
	s_or_b32 exec_lo, exec_lo, s18
.LBB277_641:                            ;   in Loop: Header=BB277_15 Depth=1
	s_delay_alu instid0(SALU_CYCLE_1)
	s_or_b32 exec_lo, exec_lo, s17
.LBB277_642:                            ;   in Loop: Header=BB277_15 Depth=1
	s_delay_alu instid0(SALU_CYCLE_1) | instskip(SKIP_2) | instid1(VALU_DEP_1)
	s_or_b32 exec_lo, exec_lo, s16
	v_lshrrev_b32_e32 v0, 16, v5
	s_mov_b32 s16, exec_lo
	v_and_b32_e32 v8, 0xff, v0
	s_delay_alu instid0(VALU_DEP_1)
	v_cmpx_ne_u16_e32 0, v8
	s_cbranch_execz .LBB277_650
; %bb.643:                              ;   in Loop: Header=BB277_15 Depth=1
	v_mov_b32_e32 v77, 0x8000
	s_mov_b32 s17, exec_lo
	v_cmpx_ne_u16_e32 0x80, v8
	s_cbranch_execz .LBB277_649
; %bb.644:                              ;   in Loop: Header=BB277_15 Depth=1
	v_bfe_u32 v9, v5, 16, 7
	v_mov_b32_e32 v77, 0x7c01
	s_mov_b32 s18, exec_lo
	s_delay_alu instid0(VALU_DEP_2)
	v_cmpx_ne_u32_e32 0x7f, v9
	s_cbranch_execz .LBB277_648
; %bb.645:                              ;   in Loop: Header=BB277_15 Depth=1
	v_dual_lshrrev_b32 v8, 3, v9 :: v_dual_bitop2_b32 v7, 7, v0 bitop3:0x40
	s_mov_b32 s19, exec_lo
	v_cmpx_gt_u32_e32 8, v9
; %bb.646:                              ;   in Loop: Header=BB277_15 Depth=1
	s_delay_alu instid0(VALU_DEP_2) | instskip(NEXT) | instid1(VALU_DEP_1)
	v_clz_i32_u32_e32 v7, v7
	v_min_u32_e32 v7, 32, v7
	s_delay_alu instid0(VALU_DEP_1) | instskip(NEXT) | instid1(VALU_DEP_1)
	v_subrev_nc_u32_e32 v8, 28, v7
	v_lshlrev_b64_e32 v[16:17], v8, v[0:1]
	s_delay_alu instid0(VALU_DEP_1)
	v_dual_sub_nc_u32 v8, 29, v7 :: v_dual_bitop2_b32 v7, 7, v16 bitop3:0x40
; %bb.647:                              ;   in Loop: Header=BB277_15 Depth=1
	s_or_b32 exec_lo, exec_lo, s19
	s_delay_alu instid0(VALU_DEP_1) | instskip(NEXT) | instid1(VALU_DEP_2)
	v_dual_lshlrev_b32 v0, 8, v0 :: v_dual_lshlrev_b32 v7, 7, v7
	v_lshl_add_u32 v8, v8, 10, 0x2000
	s_delay_alu instid0(VALU_DEP_2) | instskip(NEXT) | instid1(VALU_DEP_2)
	v_and_b32_e32 v0, 0x8000, v0
	v_and_b32_e32 v8, 0xfc00, v8
	s_delay_alu instid0(VALU_DEP_1)
	v_or3_b32 v77, v0, v8, v7
.LBB277_648:                            ;   in Loop: Header=BB277_15 Depth=1
	s_or_b32 exec_lo, exec_lo, s18
.LBB277_649:                            ;   in Loop: Header=BB277_15 Depth=1
	s_delay_alu instid0(SALU_CYCLE_1)
	s_or_b32 exec_lo, exec_lo, s17
.LBB277_650:                            ;   in Loop: Header=BB277_15 Depth=1
	s_delay_alu instid0(SALU_CYCLE_1)
	s_or_b32 exec_lo, exec_lo, s16
	v_dual_mov_b32 v79, 0 :: v_dual_mov_b32 v30, 0
	s_mov_b32 s16, exec_lo
	v_cmpx_lt_u64_e64 s[8:9], v[4:5]
	s_cbranch_execz .LBB277_658
; %bb.651:                              ;   in Loop: Header=BB277_15 Depth=1
	v_lshrrev_b32_e32 v24, 24, v5
	v_bfrev_b32_e32 v30, 1
	s_mov_b32 s17, exec_lo
	s_delay_alu instid0(VALU_DEP_2)
	v_cmpx_ne_u32_e32 0x80, v24
	s_cbranch_execz .LBB277_657
; %bb.652:                              ;   in Loop: Header=BB277_15 Depth=1
	v_and_b32_e32 v5, 0x7f, v24
	v_mov_b32_e32 v30, 0x7c010000
	s_mov_b32 s18, exec_lo
	s_delay_alu instid0(VALU_DEP_2)
	v_cmpx_ne_u32_e32 0x7f, v5
	s_cbranch_execz .LBB277_656
; %bb.653:                              ;   in Loop: Header=BB277_15 Depth=1
	v_dual_lshrrev_b32 v4, 3, v5 :: v_dual_bitop2_b32 v0, 7, v24 bitop3:0x40
	s_mov_b32 s19, exec_lo
	v_cmpx_gt_u32_e32 8, v5
; %bb.654:                              ;   in Loop: Header=BB277_15 Depth=1
	s_delay_alu instid0(VALU_DEP_2) | instskip(NEXT) | instid1(VALU_DEP_1)
	v_clz_i32_u32_e32 v0, v0
	v_min_u32_e32 v0, 32, v0
	s_delay_alu instid0(VALU_DEP_1) | instskip(NEXT) | instid1(VALU_DEP_1)
	v_subrev_nc_u32_e32 v4, 28, v0
	v_lshlrev_b64_e32 v[8:9], v4, v[24:25]
	v_sub_nc_u32_e32 v4, 29, v0
	s_delay_alu instid0(VALU_DEP_2)
	v_and_b32_e32 v0, 7, v8
; %bb.655:                              ;   in Loop: Header=BB277_15 Depth=1
	s_or_b32 exec_lo, exec_lo, s19
	v_lshlrev_b32_e32 v5, 8, v24
	s_delay_alu instid0(VALU_DEP_3) | instskip(NEXT) | instid1(VALU_DEP_3)
	v_lshl_add_u32 v4, v4, 10, 0x2000
	v_lshlrev_b32_e32 v0, 23, v0
	s_delay_alu instid0(VALU_DEP_2) | instskip(NEXT) | instid1(VALU_DEP_1)
	v_and_or_b32 v4, 0x8000, v5, v4
	v_lshl_or_b32 v30, v4, 16, v0
.LBB277_656:                            ;   in Loop: Header=BB277_15 Depth=1
	s_or_b32 exec_lo, exec_lo, s18
.LBB277_657:                            ;   in Loop: Header=BB277_15 Depth=1
	s_delay_alu instid0(SALU_CYCLE_1)
	s_or_b32 exec_lo, exec_lo, s17
.LBB277_658:                            ;   in Loop: Header=BB277_15 Depth=1
	s_delay_alu instid0(SALU_CYCLE_1)
	s_or_b32 exec_lo, exec_lo, s16
	flat_load_b64 v[4:5], v[2:3] offset:2560
	s_mov_b32 s16, exec_lo
	s_wait_loadcnt_dscnt 0x0
	v_and_b32_e32 v0, 0xff, v4
	s_wait_xcnt 0x0
	s_delay_alu instid0(VALU_DEP_1)
	v_cmpx_ne_u16_e32 0, v0
	s_cbranch_execz .LBB277_666
; %bb.659:                              ;   in Loop: Header=BB277_15 Depth=1
	v_mov_b32_e32 v79, 0x8000
	s_mov_b32 s17, exec_lo
	v_cmpx_ne_u16_e32 0x80, v0
	s_cbranch_execz .LBB277_665
; %bb.660:                              ;   in Loop: Header=BB277_15 Depth=1
	v_and_b32_e32 v9, 0x7f, v4
	v_mov_b32_e32 v79, 0x7c01
	s_mov_b32 s18, exec_lo
	s_delay_alu instid0(VALU_DEP_2)
	v_cmpx_ne_u32_e32 0x7f, v9
	s_cbranch_execz .LBB277_664
; %bb.661:                              ;   in Loop: Header=BB277_15 Depth=1
	v_dual_lshrrev_b32 v8, 3, v9 :: v_dual_bitop2_b32 v0, 7, v4 bitop3:0x40
	s_mov_b32 s19, exec_lo
	v_cmpx_gt_u32_e32 8, v9
; %bb.662:                              ;   in Loop: Header=BB277_15 Depth=1
	s_delay_alu instid0(VALU_DEP_2) | instskip(NEXT) | instid1(VALU_DEP_1)
	v_clz_i32_u32_e32 v0, v0
	v_min_u32_e32 v0, 32, v0
	s_delay_alu instid0(VALU_DEP_1) | instskip(SKIP_1) | instid1(VALU_DEP_2)
	v_subrev_nc_u32_e32 v7, 28, v0
	v_sub_nc_u32_e32 v8, 29, v0
	v_lshlrev_b64_e32 v[16:17], v7, v[4:5]
	s_delay_alu instid0(VALU_DEP_1)
	v_and_b32_e32 v0, 7, v16
; %bb.663:                              ;   in Loop: Header=BB277_15 Depth=1
	s_or_b32 exec_lo, exec_lo, s19
	v_lshlrev_b32_e32 v7, 8, v4
	v_lshl_add_u32 v8, v8, 10, 0x2000
	s_delay_alu instid0(VALU_DEP_3) | instskip(NEXT) | instid1(VALU_DEP_3)
	v_lshlrev_b32_e32 v0, 7, v0
	v_and_b32_e32 v7, 0x8000, v7
	s_delay_alu instid0(VALU_DEP_3) | instskip(NEXT) | instid1(VALU_DEP_1)
	v_and_b32_e32 v8, 0xfc00, v8
	v_or3_b32 v79, v7, v8, v0
.LBB277_664:                            ;   in Loop: Header=BB277_15 Depth=1
	s_or_b32 exec_lo, exec_lo, s18
.LBB277_665:                            ;   in Loop: Header=BB277_15 Depth=1
	s_delay_alu instid0(SALU_CYCLE_1)
	s_or_b32 exec_lo, exec_lo, s17
.LBB277_666:                            ;   in Loop: Header=BB277_15 Depth=1
	s_delay_alu instid0(SALU_CYCLE_1) | instskip(SKIP_3) | instid1(VALU_DEP_2)
	s_or_b32 exec_lo, exec_lo, s16
	v_lshrrev_b16 v24, 8, v4
	v_dual_mov_b32 v88, 0 :: v_dual_mov_b32 v9, 0
	s_mov_b32 s16, exec_lo
	v_cmpx_ne_u16_e32 0, v24
	s_cbranch_execz .LBB277_674
; %bb.667:                              ;   in Loop: Header=BB277_15 Depth=1
	v_bfrev_b32_e32 v9, 1
	s_mov_b32 s17, exec_lo
	v_cmpx_ne_u16_e32 0x80, v24
	s_cbranch_execz .LBB277_673
; %bb.668:                              ;   in Loop: Header=BB277_15 Depth=1
	v_and_b32_e32 v0, 0xffff, v24
	v_mov_b32_e32 v9, 0x7c010000
	s_mov_b32 s18, exec_lo
	s_delay_alu instid0(VALU_DEP_2) | instskip(NEXT) | instid1(VALU_DEP_1)
	v_and_b32_e32 v14, 0x7f, v0
	v_cmpx_ne_u32_e32 0x7f, v14
	s_cbranch_execz .LBB277_672
; %bb.669:                              ;   in Loop: Header=BB277_15 Depth=1
	v_dual_lshrrev_b32 v9, 3, v14 :: v_dual_bitop2_b32 v8, 7, v0 bitop3:0x40
	s_mov_b32 s19, exec_lo
	v_cmpx_gt_u32_e32 8, v14
; %bb.670:                              ;   in Loop: Header=BB277_15 Depth=1
	s_delay_alu instid0(VALU_DEP_2) | instskip(NEXT) | instid1(VALU_DEP_1)
	v_clz_i32_u32_e32 v7, v8
	v_min_u32_e32 v7, 32, v7
	s_delay_alu instid0(VALU_DEP_1) | instskip(NEXT) | instid1(VALU_DEP_1)
	v_subrev_nc_u32_e32 v8, 28, v7
	v_lshlrev_b64_e32 v[8:9], v8, v[24:25]
	s_delay_alu instid0(VALU_DEP_1)
	v_dual_sub_nc_u32 v9, 29, v7 :: v_dual_bitop2_b32 v8, 7, v8 bitop3:0x40
; %bb.671:                              ;   in Loop: Header=BB277_15 Depth=1
	s_or_b32 exec_lo, exec_lo, s19
	v_lshlrev_b32_e32 v0, 8, v0
	s_delay_alu instid0(VALU_DEP_2) | instskip(NEXT) | instid1(VALU_DEP_1)
	v_lshl_add_u32 v7, v9, 10, 0x2000
	v_and_or_b32 v0, 0x8000, v0, v7
	v_lshlrev_b32_e32 v7, 23, v8
	s_delay_alu instid0(VALU_DEP_1)
	v_lshl_or_b32 v9, v0, 16, v7
.LBB277_672:                            ;   in Loop: Header=BB277_15 Depth=1
	s_or_b32 exec_lo, exec_lo, s18
.LBB277_673:                            ;   in Loop: Header=BB277_15 Depth=1
	s_delay_alu instid0(SALU_CYCLE_1)
	s_or_b32 exec_lo, exec_lo, s17
.LBB277_674:                            ;   in Loop: Header=BB277_15 Depth=1
	s_delay_alu instid0(SALU_CYCLE_1) | instskip(SKIP_2) | instid1(VALU_DEP_1)
	s_or_b32 exec_lo, exec_lo, s16
	v_lshrrev_b32_e32 v0, 16, v4
	s_mov_b32 s16, exec_lo
	v_and_b32_e32 v8, 0xff, v0
	s_delay_alu instid0(VALU_DEP_1)
	v_cmpx_ne_u16_e32 0, v8
	s_cbranch_execz .LBB277_682
; %bb.675:                              ;   in Loop: Header=BB277_15 Depth=1
	v_mov_b32_e32 v88, 0x8000
	s_mov_b32 s17, exec_lo
	v_cmpx_ne_u16_e32 0x80, v8
	s_cbranch_execz .LBB277_681
; %bb.676:                              ;   in Loop: Header=BB277_15 Depth=1
	v_bfe_u32 v16, v4, 16, 7
	v_mov_b32_e32 v88, 0x7c01
	s_mov_b32 s18, exec_lo
	s_delay_alu instid0(VALU_DEP_2)
	v_cmpx_ne_u32_e32 0x7f, v16
	s_cbranch_execz .LBB277_680
; %bb.677:                              ;   in Loop: Header=BB277_15 Depth=1
	v_and_b32_e32 v8, 7, v0
	v_lshrrev_b32_e32 v14, 3, v16
	s_mov_b32 s19, exec_lo
	v_cmpx_gt_u32_e32 8, v16
; %bb.678:                              ;   in Loop: Header=BB277_15 Depth=1
	s_delay_alu instid0(VALU_DEP_3) | instskip(NEXT) | instid1(VALU_DEP_1)
	v_clz_i32_u32_e32 v7, v8
	v_min_u32_e32 v7, 32, v7
	s_delay_alu instid0(VALU_DEP_1) | instskip(NEXT) | instid1(VALU_DEP_1)
	v_subrev_nc_u32_e32 v8, 28, v7
	v_lshlrev_b64_e32 v[16:17], v8, v[0:1]
	s_delay_alu instid0(VALU_DEP_1)
	v_dual_sub_nc_u32 v14, 29, v7 :: v_dual_bitop2_b32 v8, 7, v16 bitop3:0x40
; %bb.679:                              ;   in Loop: Header=BB277_15 Depth=1
	s_or_b32 exec_lo, exec_lo, s19
	v_lshlrev_b32_e32 v0, 8, v0
	s_delay_alu instid0(VALU_DEP_2) | instskip(NEXT) | instid1(VALU_DEP_3)
	v_lshl_add_u32 v7, v14, 10, 0x2000
	v_lshlrev_b32_e32 v8, 7, v8
	s_delay_alu instid0(VALU_DEP_3) | instskip(NEXT) | instid1(VALU_DEP_3)
	v_and_b32_e32 v0, 0x8000, v0
	v_and_b32_e32 v7, 0xfc00, v7
	s_delay_alu instid0(VALU_DEP_1)
	v_or3_b32 v88, v0, v7, v8
.LBB277_680:                            ;   in Loop: Header=BB277_15 Depth=1
	s_or_b32 exec_lo, exec_lo, s18
.LBB277_681:                            ;   in Loop: Header=BB277_15 Depth=1
	s_delay_alu instid0(SALU_CYCLE_1)
	s_or_b32 exec_lo, exec_lo, s17
.LBB277_682:                            ;   in Loop: Header=BB277_15 Depth=1
	s_delay_alu instid0(SALU_CYCLE_1)
	s_or_b32 exec_lo, exec_lo, s16
	v_dual_mov_b32 v89, 0 :: v_dual_mov_b32 v20, 0
	s_mov_b32 s16, exec_lo
	v_cmpx_lt_u32_e32 0xffffff, v4
	s_cbranch_execz .LBB277_690
; %bb.683:                              ;   in Loop: Header=BB277_15 Depth=1
	v_lshrrev_b32_e32 v24, 24, v4
	v_bfrev_b32_e32 v20, 1
	s_mov_b32 s17, exec_lo
	s_delay_alu instid0(VALU_DEP_2)
	v_cmpx_ne_u32_e32 0x80, v24
	s_cbranch_execz .LBB277_689
; %bb.684:                              ;   in Loop: Header=BB277_15 Depth=1
	v_and_b32_e32 v14, 0x7f, v24
	v_mov_b32_e32 v20, 0x7c010000
	s_mov_b32 s18, exec_lo
	s_delay_alu instid0(VALU_DEP_2)
	v_cmpx_ne_u32_e32 0x7f, v14
	s_cbranch_execz .LBB277_688
; %bb.685:                              ;   in Loop: Header=BB277_15 Depth=1
	v_dual_lshrrev_b32 v8, 3, v14 :: v_dual_bitop2_b32 v0, 7, v24 bitop3:0x40
	s_mov_b32 s19, exec_lo
	v_cmpx_gt_u32_e32 8, v14
; %bb.686:                              ;   in Loop: Header=BB277_15 Depth=1
	s_delay_alu instid0(VALU_DEP_2) | instskip(NEXT) | instid1(VALU_DEP_1)
	v_clz_i32_u32_e32 v0, v0
	v_min_u32_e32 v0, 32, v0
	s_delay_alu instid0(VALU_DEP_1) | instskip(SKIP_1) | instid1(VALU_DEP_2)
	v_subrev_nc_u32_e32 v7, 28, v0
	v_sub_nc_u32_e32 v8, 29, v0
	v_lshlrev_b64_e32 v[16:17], v7, v[24:25]
	s_delay_alu instid0(VALU_DEP_1)
	v_and_b32_e32 v0, 7, v16
; %bb.687:                              ;   in Loop: Header=BB277_15 Depth=1
	s_or_b32 exec_lo, exec_lo, s19
	v_lshlrev_b32_e32 v7, 8, v24
	v_lshl_add_u32 v8, v8, 10, 0x2000
	s_delay_alu instid0(VALU_DEP_3) | instskip(NEXT) | instid1(VALU_DEP_2)
	v_lshlrev_b32_e32 v0, 23, v0
	v_and_or_b32 v7, 0x8000, v7, v8
	s_delay_alu instid0(VALU_DEP_1)
	v_lshl_or_b32 v20, v7, 16, v0
.LBB277_688:                            ;   in Loop: Header=BB277_15 Depth=1
	s_or_b32 exec_lo, exec_lo, s18
.LBB277_689:                            ;   in Loop: Header=BB277_15 Depth=1
	s_delay_alu instid0(SALU_CYCLE_1)
	s_or_b32 exec_lo, exec_lo, s17
.LBB277_690:                            ;   in Loop: Header=BB277_15 Depth=1
	s_delay_alu instid0(SALU_CYCLE_1) | instskip(SKIP_3) | instid1(VALU_DEP_2)
	s_or_b32 exec_lo, exec_lo, s16
	v_and_b32_e32 v0, 0xff, v5
	v_mov_b32_e32 v24, v5
	s_mov_b32 s16, exec_lo
	v_cmpx_ne_u16_e32 0, v0
	s_cbranch_execz .LBB277_698
; %bb.691:                              ;   in Loop: Header=BB277_15 Depth=1
	v_mov_b32_e32 v89, 0x8000
	s_mov_b32 s17, exec_lo
	v_cmpx_ne_u16_e32 0x80, v0
	s_cbranch_execz .LBB277_697
; %bb.692:                              ;   in Loop: Header=BB277_15 Depth=1
	v_and_b32_e32 v14, 0x7f, v5
	v_mov_b32_e32 v89, 0x7c01
	s_mov_b32 s18, exec_lo
	s_delay_alu instid0(VALU_DEP_2)
	v_cmpx_ne_u32_e32 0x7f, v14
	s_cbranch_execz .LBB277_696
; %bb.693:                              ;   in Loop: Header=BB277_15 Depth=1
	v_dual_lshrrev_b32 v8, 3, v14 :: v_dual_bitop2_b32 v0, 7, v5 bitop3:0x40
	s_mov_b32 s19, exec_lo
	v_cmpx_gt_u32_e32 8, v14
; %bb.694:                              ;   in Loop: Header=BB277_15 Depth=1
	s_delay_alu instid0(VALU_DEP_2) | instskip(NEXT) | instid1(VALU_DEP_1)
	v_clz_i32_u32_e32 v0, v0
	v_min_u32_e32 v0, 32, v0
	s_delay_alu instid0(VALU_DEP_1) | instskip(SKIP_1) | instid1(VALU_DEP_2)
	v_subrev_nc_u32_e32 v7, 28, v0
	v_sub_nc_u32_e32 v8, 29, v0
	v_lshlrev_b64_e32 v[16:17], v7, v[24:25]
	s_delay_alu instid0(VALU_DEP_1)
	v_and_b32_e32 v0, 7, v16
; %bb.695:                              ;   in Loop: Header=BB277_15 Depth=1
	s_or_b32 exec_lo, exec_lo, s19
	s_delay_alu instid0(VALU_DEP_1) | instskip(SKIP_1) | instid1(VALU_DEP_2)
	v_dual_lshlrev_b32 v7, 8, v5 :: v_dual_lshlrev_b32 v0, 7, v0
	v_lshl_add_u32 v8, v8, 10, 0x2000
	v_and_b32_e32 v7, 0x8000, v7
	s_delay_alu instid0(VALU_DEP_2) | instskip(NEXT) | instid1(VALU_DEP_1)
	v_and_b32_e32 v8, 0xfc00, v8
	v_or3_b32 v89, v7, v8, v0
.LBB277_696:                            ;   in Loop: Header=BB277_15 Depth=1
	s_or_b32 exec_lo, exec_lo, s18
.LBB277_697:                            ;   in Loop: Header=BB277_15 Depth=1
	s_delay_alu instid0(SALU_CYCLE_1)
	s_or_b32 exec_lo, exec_lo, s17
.LBB277_698:                            ;   in Loop: Header=BB277_15 Depth=1
	s_delay_alu instid0(SALU_CYCLE_1) | instskip(SKIP_3) | instid1(VALU_DEP_2)
	s_or_b32 exec_lo, exec_lo, s16
	v_lshrrev_b16 v24, 8, v24
	v_dual_mov_b32 v14, 0 :: v_dual_mov_b32 v19, 0
	s_mov_b32 s16, exec_lo
	v_cmpx_ne_u16_e32 0, v24
	s_cbranch_execz .LBB277_706
; %bb.699:                              ;   in Loop: Header=BB277_15 Depth=1
	v_bfrev_b32_e32 v19, 1
	s_mov_b32 s17, exec_lo
	v_cmpx_ne_u16_e32 0x80, v24
	s_cbranch_execz .LBB277_705
; %bb.700:                              ;   in Loop: Header=BB277_15 Depth=1
	v_and_b32_e32 v0, 0xffff, v24
	v_mov_b32_e32 v19, 0x7c010000
	s_mov_b32 s18, exec_lo
	s_delay_alu instid0(VALU_DEP_2) | instskip(NEXT) | instid1(VALU_DEP_1)
	v_and_b32_e32 v17, 0x7f, v0
	v_cmpx_ne_u32_e32 0x7f, v17
	s_cbranch_execz .LBB277_704
; %bb.701:                              ;   in Loop: Header=BB277_15 Depth=1
	v_dual_lshrrev_b32 v16, 3, v17 :: v_dual_bitop2_b32 v8, 7, v0 bitop3:0x40
	s_mov_b32 s19, exec_lo
	v_cmpx_gt_u32_e32 8, v17
; %bb.702:                              ;   in Loop: Header=BB277_15 Depth=1
	s_delay_alu instid0(VALU_DEP_2) | instskip(NEXT) | instid1(VALU_DEP_1)
	v_clz_i32_u32_e32 v7, v8
	v_min_u32_e32 v7, 32, v7
	s_delay_alu instid0(VALU_DEP_1) | instskip(NEXT) | instid1(VALU_DEP_1)
	v_subrev_nc_u32_e32 v8, 28, v7
	v_lshlrev_b64_e32 v[18:19], v8, v[24:25]
	s_delay_alu instid0(VALU_DEP_1)
	v_dual_sub_nc_u32 v16, 29, v7 :: v_dual_bitop2_b32 v8, 7, v18 bitop3:0x40
; %bb.703:                              ;   in Loop: Header=BB277_15 Depth=1
	s_or_b32 exec_lo, exec_lo, s19
	v_lshlrev_b32_e32 v0, 8, v0
	s_delay_alu instid0(VALU_DEP_2) | instskip(NEXT) | instid1(VALU_DEP_1)
	v_lshl_add_u32 v7, v16, 10, 0x2000
	v_and_or_b32 v0, 0x8000, v0, v7
	v_lshlrev_b32_e32 v7, 23, v8
	s_delay_alu instid0(VALU_DEP_1)
	v_lshl_or_b32 v19, v0, 16, v7
.LBB277_704:                            ;   in Loop: Header=BB277_15 Depth=1
	s_or_b32 exec_lo, exec_lo, s18
.LBB277_705:                            ;   in Loop: Header=BB277_15 Depth=1
	s_delay_alu instid0(SALU_CYCLE_1)
	s_or_b32 exec_lo, exec_lo, s17
.LBB277_706:                            ;   in Loop: Header=BB277_15 Depth=1
	s_delay_alu instid0(SALU_CYCLE_1) | instskip(SKIP_2) | instid1(VALU_DEP_1)
	s_or_b32 exec_lo, exec_lo, s16
	v_lshrrev_b32_e32 v0, 16, v5
	s_mov_b32 s16, exec_lo
	v_and_b32_e32 v8, 0xff, v0
	s_delay_alu instid0(VALU_DEP_1)
	v_cmpx_ne_u16_e32 0, v8
	s_cbranch_execz .LBB277_714
; %bb.707:                              ;   in Loop: Header=BB277_15 Depth=1
	v_mov_b32_e32 v14, 0x8000
	s_mov_b32 s17, exec_lo
	v_cmpx_ne_u16_e32 0x80, v8
	s_cbranch_execz .LBB277_713
; %bb.708:                              ;   in Loop: Header=BB277_15 Depth=1
	v_bfe_u32 v16, v5, 16, 7
	v_mov_b32_e32 v14, 0x7c01
	s_mov_b32 s18, exec_lo
	s_delay_alu instid0(VALU_DEP_2)
	v_cmpx_ne_u32_e32 0x7f, v16
	s_cbranch_execz .LBB277_712
; %bb.709:                              ;   in Loop: Header=BB277_15 Depth=1
	v_and_b32_e32 v8, 7, v0
	v_lshrrev_b32_e32 v14, 3, v16
	s_mov_b32 s19, exec_lo
	v_cmpx_gt_u32_e32 8, v16
; %bb.710:                              ;   in Loop: Header=BB277_15 Depth=1
	s_delay_alu instid0(VALU_DEP_3) | instskip(NEXT) | instid1(VALU_DEP_1)
	v_clz_i32_u32_e32 v7, v8
	v_min_u32_e32 v7, 32, v7
	s_delay_alu instid0(VALU_DEP_1) | instskip(NEXT) | instid1(VALU_DEP_1)
	v_subrev_nc_u32_e32 v8, 28, v7
	v_lshlrev_b64_e32 v[16:17], v8, v[0:1]
	s_delay_alu instid0(VALU_DEP_1)
	v_dual_sub_nc_u32 v14, 29, v7 :: v_dual_bitop2_b32 v8, 7, v16 bitop3:0x40
; %bb.711:                              ;   in Loop: Header=BB277_15 Depth=1
	s_or_b32 exec_lo, exec_lo, s19
	v_lshlrev_b32_e32 v0, 8, v0
	s_delay_alu instid0(VALU_DEP_2) | instskip(NEXT) | instid1(VALU_DEP_3)
	v_lshl_add_u32 v7, v14, 10, 0x2000
	v_lshlrev_b32_e32 v8, 7, v8
	s_delay_alu instid0(VALU_DEP_3) | instskip(NEXT) | instid1(VALU_DEP_3)
	v_and_b32_e32 v0, 0x8000, v0
	v_and_b32_e32 v7, 0xfc00, v7
	s_delay_alu instid0(VALU_DEP_1)
	v_or3_b32 v14, v0, v7, v8
.LBB277_712:                            ;   in Loop: Header=BB277_15 Depth=1
	s_or_b32 exec_lo, exec_lo, s18
.LBB277_713:                            ;   in Loop: Header=BB277_15 Depth=1
	s_delay_alu instid0(SALU_CYCLE_1)
	s_or_b32 exec_lo, exec_lo, s17
.LBB277_714:                            ;   in Loop: Header=BB277_15 Depth=1
	s_delay_alu instid0(SALU_CYCLE_1)
	s_or_b32 exec_lo, exec_lo, s16
	v_dual_mov_b32 v93, 0 :: v_dual_mov_b32 v22, 0
	s_mov_b32 s16, exec_lo
	v_cmpx_lt_u64_e64 s[8:9], v[4:5]
	s_cbranch_execz .LBB277_722
; %bb.715:                              ;   in Loop: Header=BB277_15 Depth=1
	v_lshrrev_b32_e32 v24, 24, v5
	v_bfrev_b32_e32 v22, 1
	s_mov_b32 s17, exec_lo
	s_delay_alu instid0(VALU_DEP_2)
	v_cmpx_ne_u32_e32 0x80, v24
	s_cbranch_execz .LBB277_721
; %bb.716:                              ;   in Loop: Header=BB277_15 Depth=1
	v_and_b32_e32 v5, 0x7f, v24
	v_mov_b32_e32 v22, 0x7c010000
	s_mov_b32 s18, exec_lo
	s_delay_alu instid0(VALU_DEP_2)
	v_cmpx_ne_u32_e32 0x7f, v5
	s_cbranch_execz .LBB277_720
; %bb.717:                              ;   in Loop: Header=BB277_15 Depth=1
	v_dual_lshrrev_b32 v4, 3, v5 :: v_dual_bitop2_b32 v0, 7, v24 bitop3:0x40
	s_mov_b32 s19, exec_lo
	v_cmpx_gt_u32_e32 8, v5
; %bb.718:                              ;   in Loop: Header=BB277_15 Depth=1
	s_delay_alu instid0(VALU_DEP_2) | instskip(NEXT) | instid1(VALU_DEP_1)
	v_clz_i32_u32_e32 v0, v0
	v_min_u32_e32 v0, 32, v0
	s_delay_alu instid0(VALU_DEP_1) | instskip(NEXT) | instid1(VALU_DEP_1)
	v_subrev_nc_u32_e32 v4, 28, v0
	v_lshlrev_b64_e32 v[16:17], v4, v[24:25]
	v_sub_nc_u32_e32 v4, 29, v0
	s_delay_alu instid0(VALU_DEP_2)
	v_and_b32_e32 v0, 7, v16
; %bb.719:                              ;   in Loop: Header=BB277_15 Depth=1
	s_or_b32 exec_lo, exec_lo, s19
	v_lshlrev_b32_e32 v5, 8, v24
	s_delay_alu instid0(VALU_DEP_3) | instskip(NEXT) | instid1(VALU_DEP_3)
	v_lshl_add_u32 v4, v4, 10, 0x2000
	v_lshlrev_b32_e32 v0, 23, v0
	s_delay_alu instid0(VALU_DEP_2) | instskip(NEXT) | instid1(VALU_DEP_1)
	v_and_or_b32 v4, 0x8000, v5, v4
	v_lshl_or_b32 v22, v4, 16, v0
.LBB277_720:                            ;   in Loop: Header=BB277_15 Depth=1
	s_or_b32 exec_lo, exec_lo, s18
.LBB277_721:                            ;   in Loop: Header=BB277_15 Depth=1
	s_delay_alu instid0(SALU_CYCLE_1)
	s_or_b32 exec_lo, exec_lo, s17
.LBB277_722:                            ;   in Loop: Header=BB277_15 Depth=1
	s_delay_alu instid0(SALU_CYCLE_1)
	s_or_b32 exec_lo, exec_lo, s16
	flat_load_b64 v[2:3], v[2:3] offset:2568
	s_mov_b32 s16, exec_lo
	s_wait_loadcnt_dscnt 0x0
	v_and_b32_e32 v0, 0xff, v2
	s_wait_xcnt 0x0
	s_delay_alu instid0(VALU_DEP_1)
	v_cmpx_ne_u16_e32 0, v0
	s_cbranch_execz .LBB277_730
; %bb.723:                              ;   in Loop: Header=BB277_15 Depth=1
	v_mov_b32_e32 v93, 0x8000
	s_mov_b32 s17, exec_lo
	v_cmpx_ne_u16_e32 0x80, v0
	s_cbranch_execz .LBB277_729
; %bb.724:                              ;   in Loop: Header=BB277_15 Depth=1
	v_and_b32_e32 v5, 0x7f, v2
	v_mov_b32_e32 v93, 0x7c01
	s_mov_b32 s18, exec_lo
	s_delay_alu instid0(VALU_DEP_2)
	v_cmpx_ne_u32_e32 0x7f, v5
	s_cbranch_execz .LBB277_728
; %bb.725:                              ;   in Loop: Header=BB277_15 Depth=1
	v_dual_lshrrev_b32 v4, 3, v5 :: v_dual_bitop2_b32 v0, 7, v2 bitop3:0x40
	s_mov_b32 s19, exec_lo
	v_cmpx_gt_u32_e32 8, v5
; %bb.726:                              ;   in Loop: Header=BB277_15 Depth=1
	s_delay_alu instid0(VALU_DEP_2) | instskip(NEXT) | instid1(VALU_DEP_1)
	v_clz_i32_u32_e32 v0, v0
	v_min_u32_e32 v0, 32, v0
	s_delay_alu instid0(VALU_DEP_1) | instskip(NEXT) | instid1(VALU_DEP_1)
	v_subrev_nc_u32_e32 v4, 28, v0
	v_lshlrev_b64_e32 v[16:17], v4, v[2:3]
	v_sub_nc_u32_e32 v4, 29, v0
	s_delay_alu instid0(VALU_DEP_2)
	v_and_b32_e32 v0, 7, v16
; %bb.727:                              ;   in Loop: Header=BB277_15 Depth=1
	s_or_b32 exec_lo, exec_lo, s19
	s_delay_alu instid0(VALU_DEP_1) | instskip(NEXT) | instid1(VALU_DEP_3)
	v_dual_lshlrev_b32 v5, 8, v2 :: v_dual_lshlrev_b32 v0, 7, v0
	v_lshl_add_u32 v4, v4, 10, 0x2000
	s_delay_alu instid0(VALU_DEP_2) | instskip(NEXT) | instid1(VALU_DEP_2)
	v_and_b32_e32 v5, 0x8000, v5
	v_and_b32_e32 v4, 0xfc00, v4
	s_delay_alu instid0(VALU_DEP_1)
	v_or3_b32 v93, v5, v4, v0
.LBB277_728:                            ;   in Loop: Header=BB277_15 Depth=1
	s_or_b32 exec_lo, exec_lo, s18
.LBB277_729:                            ;   in Loop: Header=BB277_15 Depth=1
	s_delay_alu instid0(SALU_CYCLE_1)
	s_or_b32 exec_lo, exec_lo, s17
.LBB277_730:                            ;   in Loop: Header=BB277_15 Depth=1
	s_delay_alu instid0(SALU_CYCLE_1) | instskip(SKIP_3) | instid1(VALU_DEP_2)
	s_or_b32 exec_lo, exec_lo, s16
	v_lshrrev_b16 v24, 8, v2
	v_dual_mov_b32 v95, 0 :: v_dual_mov_b32 v17, 0
	s_mov_b32 s16, exec_lo
	v_cmpx_ne_u16_e32 0, v24
	s_cbranch_execz .LBB277_738
; %bb.731:                              ;   in Loop: Header=BB277_15 Depth=1
	v_bfrev_b32_e32 v17, 1
	s_mov_b32 s17, exec_lo
	v_cmpx_ne_u16_e32 0x80, v24
	s_cbranch_execz .LBB277_737
; %bb.732:                              ;   in Loop: Header=BB277_15 Depth=1
	v_and_b32_e32 v0, 0xffff, v24
	v_mov_b32_e32 v17, 0x7c010000
	s_mov_b32 s18, exec_lo
	s_delay_alu instid0(VALU_DEP_2) | instskip(NEXT) | instid1(VALU_DEP_1)
	v_and_b32_e32 v8, 0x7f, v0
	v_cmpx_ne_u32_e32 0x7f, v8
	s_cbranch_execz .LBB277_736
; %bb.733:                              ;   in Loop: Header=BB277_15 Depth=1
	v_and_b32_e32 v4, 7, v0
	v_lshrrev_b32_e32 v5, 3, v8
	s_mov_b32 s19, exec_lo
	v_cmpx_gt_u32_e32 8, v8
; %bb.734:                              ;   in Loop: Header=BB277_15 Depth=1
	s_delay_alu instid0(VALU_DEP_3) | instskip(NEXT) | instid1(VALU_DEP_1)
	v_clz_i32_u32_e32 v4, v4
	v_min_u32_e32 v7, 32, v4
	s_delay_alu instid0(VALU_DEP_1) | instskip(NEXT) | instid1(VALU_DEP_1)
	v_subrev_nc_u32_e32 v4, 28, v7
	v_lshlrev_b64_e32 v[4:5], v4, v[24:25]
	s_delay_alu instid0(VALU_DEP_1)
	v_dual_sub_nc_u32 v5, 29, v7 :: v_dual_bitop2_b32 v4, 7, v4 bitop3:0x40
; %bb.735:                              ;   in Loop: Header=BB277_15 Depth=1
	s_or_b32 exec_lo, exec_lo, s19
	v_lshlrev_b32_e32 v0, 8, v0
	s_delay_alu instid0(VALU_DEP_2) | instskip(NEXT) | instid1(VALU_DEP_3)
	v_lshl_add_u32 v5, v5, 10, 0x2000
	v_lshlrev_b32_e32 v4, 23, v4
	s_delay_alu instid0(VALU_DEP_2) | instskip(NEXT) | instid1(VALU_DEP_1)
	v_and_or_b32 v0, 0x8000, v0, v5
	v_lshl_or_b32 v17, v0, 16, v4
.LBB277_736:                            ;   in Loop: Header=BB277_15 Depth=1
	s_or_b32 exec_lo, exec_lo, s18
.LBB277_737:                            ;   in Loop: Header=BB277_15 Depth=1
	s_delay_alu instid0(SALU_CYCLE_1)
	s_or_b32 exec_lo, exec_lo, s17
.LBB277_738:                            ;   in Loop: Header=BB277_15 Depth=1
	s_delay_alu instid0(SALU_CYCLE_1) | instskip(SKIP_2) | instid1(VALU_DEP_1)
	s_or_b32 exec_lo, exec_lo, s16
	v_lshrrev_b32_e32 v0, 16, v2
	s_mov_b32 s16, exec_lo
	v_and_b32_e32 v4, 0xff, v0
	s_delay_alu instid0(VALU_DEP_1)
	v_cmpx_ne_u16_e32 0, v4
	s_cbranch_execz .LBB277_746
; %bb.739:                              ;   in Loop: Header=BB277_15 Depth=1
	v_mov_b32_e32 v95, 0x8000
	s_mov_b32 s17, exec_lo
	v_cmpx_ne_u16_e32 0x80, v4
	s_cbranch_execz .LBB277_745
; %bb.740:                              ;   in Loop: Header=BB277_15 Depth=1
	v_bfe_u32 v8, v2, 16, 7
	v_mov_b32_e32 v95, 0x7c01
	s_mov_b32 s18, exec_lo
	s_delay_alu instid0(VALU_DEP_2)
	v_cmpx_ne_u32_e32 0x7f, v8
	s_cbranch_execz .LBB277_744
; %bb.741:                              ;   in Loop: Header=BB277_15 Depth=1
	v_and_b32_e32 v4, 7, v0
	v_lshrrev_b32_e32 v5, 3, v8
	s_mov_b32 s19, exec_lo
	v_cmpx_gt_u32_e32 8, v8
; %bb.742:                              ;   in Loop: Header=BB277_15 Depth=1
	s_delay_alu instid0(VALU_DEP_3) | instskip(NEXT) | instid1(VALU_DEP_1)
	v_clz_i32_u32_e32 v4, v4
	v_min_u32_e32 v7, 32, v4
	s_delay_alu instid0(VALU_DEP_1) | instskip(NEXT) | instid1(VALU_DEP_1)
	v_subrev_nc_u32_e32 v4, 28, v7
	v_lshlrev_b64_e32 v[4:5], v4, v[0:1]
	s_delay_alu instid0(VALU_DEP_1)
	v_dual_sub_nc_u32 v5, 29, v7 :: v_dual_bitop2_b32 v4, 7, v4 bitop3:0x40
; %bb.743:                              ;   in Loop: Header=BB277_15 Depth=1
	s_or_b32 exec_lo, exec_lo, s19
	v_lshlrev_b32_e32 v0, 8, v0
	s_delay_alu instid0(VALU_DEP_2) | instskip(NEXT) | instid1(VALU_DEP_3)
	v_lshl_add_u32 v5, v5, 10, 0x2000
	v_lshlrev_b32_e32 v4, 7, v4
	s_delay_alu instid0(VALU_DEP_3) | instskip(NEXT) | instid1(VALU_DEP_3)
	v_and_b32_e32 v0, 0x8000, v0
	v_and_b32_e32 v5, 0xfc00, v5
	s_delay_alu instid0(VALU_DEP_1)
	v_or3_b32 v95, v0, v5, v4
.LBB277_744:                            ;   in Loop: Header=BB277_15 Depth=1
	s_or_b32 exec_lo, exec_lo, s18
.LBB277_745:                            ;   in Loop: Header=BB277_15 Depth=1
	s_delay_alu instid0(SALU_CYCLE_1)
	s_or_b32 exec_lo, exec_lo, s17
.LBB277_746:                            ;   in Loop: Header=BB277_15 Depth=1
	s_delay_alu instid0(SALU_CYCLE_1)
	s_or_b32 exec_lo, exec_lo, s16
	v_dual_mov_b32 v23, 0 :: v_dual_mov_b32 v18, 0
	s_mov_b32 s16, exec_lo
	v_cmpx_lt_u32_e32 0xffffff, v2
	s_cbranch_execz .LBB277_754
; %bb.747:                              ;   in Loop: Header=BB277_15 Depth=1
	v_lshrrev_b32_e32 v24, 24, v2
	v_bfrev_b32_e32 v18, 1
	s_mov_b32 s17, exec_lo
	s_delay_alu instid0(VALU_DEP_2)
	v_cmpx_ne_u32_e32 0x80, v24
	s_cbranch_execz .LBB277_753
; %bb.748:                              ;   in Loop: Header=BB277_15 Depth=1
	v_and_b32_e32 v5, 0x7f, v24
	v_mov_b32_e32 v18, 0x7c010000
	s_mov_b32 s18, exec_lo
	s_delay_alu instid0(VALU_DEP_2)
	v_cmpx_ne_u32_e32 0x7f, v5
	s_cbranch_execz .LBB277_752
; %bb.749:                              ;   in Loop: Header=BB277_15 Depth=1
	v_dual_lshrrev_b32 v4, 3, v5 :: v_dual_bitop2_b32 v0, 7, v24 bitop3:0x40
	s_mov_b32 s19, exec_lo
	v_cmpx_gt_u32_e32 8, v5
; %bb.750:                              ;   in Loop: Header=BB277_15 Depth=1
	s_delay_alu instid0(VALU_DEP_2) | instskip(NEXT) | instid1(VALU_DEP_1)
	v_clz_i32_u32_e32 v0, v0
	v_min_u32_e32 v0, 32, v0
	s_delay_alu instid0(VALU_DEP_1) | instskip(NEXT) | instid1(VALU_DEP_1)
	v_subrev_nc_u32_e32 v4, 28, v0
	v_lshlrev_b64_e32 v[26:27], v4, v[24:25]
	s_delay_alu instid0(VALU_DEP_1)
	v_dual_sub_nc_u32 v4, 29, v0 :: v_dual_bitop2_b32 v0, 7, v26 bitop3:0x40
; %bb.751:                              ;   in Loop: Header=BB277_15 Depth=1
	s_or_b32 exec_lo, exec_lo, s19
	v_lshlrev_b32_e32 v5, 8, v24
	s_delay_alu instid0(VALU_DEP_2) | instskip(NEXT) | instid1(VALU_DEP_3)
	v_lshl_add_u32 v4, v4, 10, 0x2000
	v_lshlrev_b32_e32 v0, 23, v0
	s_delay_alu instid0(VALU_DEP_2) | instskip(NEXT) | instid1(VALU_DEP_1)
	v_and_or_b32 v4, 0x8000, v5, v4
	v_lshl_or_b32 v18, v4, 16, v0
.LBB277_752:                            ;   in Loop: Header=BB277_15 Depth=1
	s_or_b32 exec_lo, exec_lo, s18
.LBB277_753:                            ;   in Loop: Header=BB277_15 Depth=1
	s_delay_alu instid0(SALU_CYCLE_1)
	s_or_b32 exec_lo, exec_lo, s17
.LBB277_754:                            ;   in Loop: Header=BB277_15 Depth=1
	s_delay_alu instid0(SALU_CYCLE_1) | instskip(SKIP_3) | instid1(VALU_DEP_2)
	s_or_b32 exec_lo, exec_lo, s16
	v_and_b32_e32 v0, 0xff, v3
	v_mov_b32_e32 v24, v3
	s_mov_b32 s16, exec_lo
	v_cmpx_ne_u16_e32 0, v0
	s_cbranch_execz .LBB277_762
; %bb.755:                              ;   in Loop: Header=BB277_15 Depth=1
	v_mov_b32_e32 v23, 0x8000
	s_mov_b32 s17, exec_lo
	v_cmpx_ne_u16_e32 0x80, v0
	s_cbranch_execz .LBB277_761
; %bb.756:                              ;   in Loop: Header=BB277_15 Depth=1
	v_and_b32_e32 v5, 0x7f, v3
	v_mov_b32_e32 v23, 0x7c01
	s_mov_b32 s18, exec_lo
	s_delay_alu instid0(VALU_DEP_2)
	v_cmpx_ne_u32_e32 0x7f, v5
	s_cbranch_execz .LBB277_760
; %bb.757:                              ;   in Loop: Header=BB277_15 Depth=1
	v_dual_lshrrev_b32 v4, 3, v5 :: v_dual_bitop2_b32 v0, 7, v3 bitop3:0x40
	s_mov_b32 s19, exec_lo
	v_cmpx_gt_u32_e32 8, v5
; %bb.758:                              ;   in Loop: Header=BB277_15 Depth=1
	s_delay_alu instid0(VALU_DEP_2) | instskip(NEXT) | instid1(VALU_DEP_1)
	v_clz_i32_u32_e32 v0, v0
	v_min_u32_e32 v0, 32, v0
	s_delay_alu instid0(VALU_DEP_1) | instskip(NEXT) | instid1(VALU_DEP_1)
	v_subrev_nc_u32_e32 v4, 28, v0
	v_lshlrev_b64_e32 v[26:27], v4, v[24:25]
	s_delay_alu instid0(VALU_DEP_1)
	v_dual_sub_nc_u32 v4, 29, v0 :: v_dual_bitop2_b32 v0, 7, v26 bitop3:0x40
; %bb.759:                              ;   in Loop: Header=BB277_15 Depth=1
	s_or_b32 exec_lo, exec_lo, s19
	s_delay_alu instid0(VALU_DEP_1) | instskip(NEXT) | instid1(VALU_DEP_2)
	v_dual_lshlrev_b32 v5, 8, v3 :: v_dual_lshlrev_b32 v0, 7, v0
	v_lshl_add_u32 v4, v4, 10, 0x2000
	s_delay_alu instid0(VALU_DEP_2) | instskip(NEXT) | instid1(VALU_DEP_2)
	v_and_b32_e32 v5, 0x8000, v5
	v_and_b32_e32 v4, 0xfc00, v4
	s_delay_alu instid0(VALU_DEP_1)
	v_or3_b32 v23, v5, v4, v0
.LBB277_760:                            ;   in Loop: Header=BB277_15 Depth=1
	s_or_b32 exec_lo, exec_lo, s18
.LBB277_761:                            ;   in Loop: Header=BB277_15 Depth=1
	s_delay_alu instid0(SALU_CYCLE_1)
	s_or_b32 exec_lo, exec_lo, s17
.LBB277_762:                            ;   in Loop: Header=BB277_15 Depth=1
	s_delay_alu instid0(SALU_CYCLE_1) | instskip(SKIP_3) | instid1(VALU_DEP_2)
	s_or_b32 exec_lo, exec_lo, s16
	v_lshrrev_b16 v24, 8, v24
	v_dual_mov_b32 v16, 0 :: v_dual_mov_b32 v21, 0
	s_mov_b32 s16, exec_lo
	v_cmpx_ne_u16_e32 0, v24
	s_cbranch_execz .LBB277_770
; %bb.763:                              ;   in Loop: Header=BB277_15 Depth=1
	v_bfrev_b32_e32 v21, 1
	s_mov_b32 s17, exec_lo
	v_cmpx_ne_u16_e32 0x80, v24
	s_cbranch_execz .LBB277_769
; %bb.764:                              ;   in Loop: Header=BB277_15 Depth=1
	v_and_b32_e32 v0, 0xffff, v24
	v_mov_b32_e32 v21, 0x7c010000
	s_mov_b32 s18, exec_lo
	s_delay_alu instid0(VALU_DEP_2) | instskip(NEXT) | instid1(VALU_DEP_1)
	v_and_b32_e32 v8, 0x7f, v0
	v_cmpx_ne_u32_e32 0x7f, v8
	s_cbranch_execz .LBB277_768
; %bb.765:                              ;   in Loop: Header=BB277_15 Depth=1
	v_and_b32_e32 v4, 7, v0
	v_lshrrev_b32_e32 v5, 3, v8
	s_mov_b32 s19, exec_lo
	v_cmpx_gt_u32_e32 8, v8
; %bb.766:                              ;   in Loop: Header=BB277_15 Depth=1
	s_delay_alu instid0(VALU_DEP_3) | instskip(NEXT) | instid1(VALU_DEP_1)
	v_clz_i32_u32_e32 v4, v4
	v_min_u32_e32 v7, 32, v4
	s_delay_alu instid0(VALU_DEP_1) | instskip(NEXT) | instid1(VALU_DEP_1)
	v_subrev_nc_u32_e32 v4, 28, v7
	v_lshlrev_b64_e32 v[4:5], v4, v[24:25]
	s_delay_alu instid0(VALU_DEP_1)
	v_dual_sub_nc_u32 v5, 29, v7 :: v_dual_bitop2_b32 v4, 7, v4 bitop3:0x40
; %bb.767:                              ;   in Loop: Header=BB277_15 Depth=1
	s_or_b32 exec_lo, exec_lo, s19
	v_lshlrev_b32_e32 v0, 8, v0
	s_delay_alu instid0(VALU_DEP_2) | instskip(NEXT) | instid1(VALU_DEP_3)
	v_lshl_add_u32 v5, v5, 10, 0x2000
	v_lshlrev_b32_e32 v4, 23, v4
	s_delay_alu instid0(VALU_DEP_2) | instskip(NEXT) | instid1(VALU_DEP_1)
	v_and_or_b32 v0, 0x8000, v0, v5
	v_lshl_or_b32 v21, v0, 16, v4
.LBB277_768:                            ;   in Loop: Header=BB277_15 Depth=1
	s_or_b32 exec_lo, exec_lo, s18
.LBB277_769:                            ;   in Loop: Header=BB277_15 Depth=1
	s_delay_alu instid0(SALU_CYCLE_1)
	s_or_b32 exec_lo, exec_lo, s17
.LBB277_770:                            ;   in Loop: Header=BB277_15 Depth=1
	s_delay_alu instid0(SALU_CYCLE_1) | instskip(SKIP_2) | instid1(VALU_DEP_1)
	s_or_b32 exec_lo, exec_lo, s16
	v_lshrrev_b32_e32 v0, 16, v3
	s_mov_b32 s16, exec_lo
	v_and_b32_e32 v4, 0xff, v0
	s_delay_alu instid0(VALU_DEP_1)
	v_cmpx_ne_u16_e32 0, v4
	s_cbranch_execz .LBB277_778
; %bb.771:                              ;   in Loop: Header=BB277_15 Depth=1
	v_mov_b32_e32 v16, 0x8000
	s_mov_b32 s17, exec_lo
	v_cmpx_ne_u16_e32 0x80, v4
	s_cbranch_execz .LBB277_777
; %bb.772:                              ;   in Loop: Header=BB277_15 Depth=1
	v_bfe_u32 v8, v3, 16, 7
	v_mov_b32_e32 v16, 0x7c01
	s_mov_b32 s18, exec_lo
	s_delay_alu instid0(VALU_DEP_2)
	v_cmpx_ne_u32_e32 0x7f, v8
	s_cbranch_execz .LBB277_776
; %bb.773:                              ;   in Loop: Header=BB277_15 Depth=1
	v_and_b32_e32 v4, 7, v0
	v_lshrrev_b32_e32 v5, 3, v8
	s_mov_b32 s19, exec_lo
	v_cmpx_gt_u32_e32 8, v8
; %bb.774:                              ;   in Loop: Header=BB277_15 Depth=1
	s_delay_alu instid0(VALU_DEP_3) | instskip(NEXT) | instid1(VALU_DEP_1)
	v_clz_i32_u32_e32 v4, v4
	v_min_u32_e32 v7, 32, v4
	s_delay_alu instid0(VALU_DEP_1) | instskip(NEXT) | instid1(VALU_DEP_1)
	v_subrev_nc_u32_e32 v4, 28, v7
	v_lshlrev_b64_e32 v[4:5], v4, v[0:1]
	s_delay_alu instid0(VALU_DEP_1)
	v_dual_sub_nc_u32 v5, 29, v7 :: v_dual_bitop2_b32 v4, 7, v4 bitop3:0x40
; %bb.775:                              ;   in Loop: Header=BB277_15 Depth=1
	s_or_b32 exec_lo, exec_lo, s19
	v_lshlrev_b32_e32 v0, 8, v0
	s_delay_alu instid0(VALU_DEP_2) | instskip(NEXT) | instid1(VALU_DEP_3)
	v_lshl_add_u32 v5, v5, 10, 0x2000
	v_lshlrev_b32_e32 v4, 7, v4
	s_delay_alu instid0(VALU_DEP_3) | instskip(NEXT) | instid1(VALU_DEP_3)
	v_and_b32_e32 v0, 0x8000, v0
	v_and_b32_e32 v5, 0xfc00, v5
	s_delay_alu instid0(VALU_DEP_1)
	v_or3_b32 v16, v0, v5, v4
.LBB277_776:                            ;   in Loop: Header=BB277_15 Depth=1
	s_or_b32 exec_lo, exec_lo, s18
.LBB277_777:                            ;   in Loop: Header=BB277_15 Depth=1
	s_delay_alu instid0(SALU_CYCLE_1)
	s_or_b32 exec_lo, exec_lo, s17
.LBB277_778:                            ;   in Loop: Header=BB277_15 Depth=1
	s_delay_alu instid0(SALU_CYCLE_1)
	s_or_b32 exec_lo, exec_lo, s16
	s_clause 0xb
	scratch_store_b32 off, v95, s32 offset:308
	scratch_store_b32 off, v93, s32 offset:304
	;; [unrolled: 1-line block ×12, first 2 shown]
	s_wait_xcnt 0x2
	v_mov_b32_e32 v15, v57
	s_clause 0x1
	scratch_store_b32 off, v10, s32 offset:260
	scratch_store_b32 off, v28, s32 offset:256
	s_wait_xcnt 0x1
	v_dual_mov_b32 v10, v11 :: v_dual_mov_b32 v11, v56
	v_dual_mov_b32 v14, v47 :: v_dual_mov_b32 v6, v46
	;; [unrolled: 1-line block ×5, first 2 shown]
	s_mov_b32 s16, exec_lo
	s_wait_xcnt 0x0
	v_cmpx_lt_u64_e64 s[8:9], v[2:3]
	s_cbranch_execz .LBB277_13
; %bb.779:                              ;   in Loop: Header=BB277_15 Depth=1
	v_lshrrev_b32_e32 v24, 24, v3
	v_bfrev_b32_e32 v8, 1
	s_mov_b32 s17, exec_lo
	s_delay_alu instid0(VALU_DEP_2)
	v_cmpx_ne_u32_e32 0x80, v24
	s_cbranch_execz .LBB277_12
; %bb.780:                              ;   in Loop: Header=BB277_15 Depth=1
	v_and_b32_e32 v3, 0x7f, v24
	v_mov_b32_e32 v8, 0x7c010000
	s_mov_b32 s18, exec_lo
	s_delay_alu instid0(VALU_DEP_2)
	v_cmpx_ne_u32_e32 0x7f, v3
	s_cbranch_execz .LBB277_11
; %bb.781:                              ;   in Loop: Header=BB277_15 Depth=1
	v_dual_lshrrev_b32 v2, 3, v3 :: v_dual_bitop2_b32 v0, 7, v24 bitop3:0x40
	s_mov_b32 s19, exec_lo
	v_cmpx_gt_u32_e32 8, v3
	s_cbranch_execz .LBB277_10
; %bb.782:                              ;   in Loop: Header=BB277_15 Depth=1
	s_delay_alu instid0(VALU_DEP_2) | instskip(NEXT) | instid1(VALU_DEP_1)
	v_clz_i32_u32_e32 v0, v0
	v_min_u32_e32 v0, 32, v0
	s_delay_alu instid0(VALU_DEP_1) | instskip(NEXT) | instid1(VALU_DEP_1)
	v_subrev_nc_u32_e32 v2, 28, v0
	v_lshlrev_b64_e32 v[4:5], v2, v[24:25]
	v_sub_nc_u32_e32 v2, 29, v0
	s_delay_alu instid0(VALU_DEP_2)
	v_and_b32_e32 v0, 7, v4
	s_branch .LBB277_10
.LBB277_783:
	s_or_b32 exec_lo, exec_lo, s15
	s_clause 0x1
	scratch_load_b32 v13, off, s32 offset:408
	scratch_load_b32 v10, off, s32 offset:412
.LBB277_784:
	s_wait_xcnt 0x0
	s_or_b32 exec_lo, exec_lo, s3
	v_mbcnt_lo_u32_b32 v0, -1, 0
	v_max_num_f32_e32 v4, v28, v28
	s_delay_alu instid0(VALU_DEP_2) | instskip(SKIP_1) | instid1(VALU_DEP_1)
	v_xor_b32_e32 v3, 8, v0
	v_xor_b32_e32 v1, 16, v0
	v_cmp_gt_i32_e32 vcc_lo, 32, v1
	v_cndmask_b32_e32 v1, v0, v1, vcc_lo
	s_delay_alu instid0(VALU_DEP_1) | instskip(SKIP_3) | instid1(VALU_DEP_1)
	v_lshlrev_b32_e32 v1, 2, v1
	ds_bpermute_b32 v2, v1, v28
	s_wait_dscnt 0x0
	v_max_num_f32_e32 v5, v2, v2
	v_max_num_f32_e32 v4, v4, v5
	v_cmp_gt_i32_e32 vcc_lo, 32, v3
	v_dual_cndmask_b32 v3, v0, v3, vcc_lo :: v_dual_bitop2_b32 v5, 4, v0 bitop3:0x14
	s_delay_alu instid0(VALU_DEP_1) | instskip(NEXT) | instid1(VALU_DEP_2)
	v_cmp_gt_i32_e32 vcc_lo, 32, v5
	v_lshlrev_b32_e32 v2, 2, v3
	ds_bpermute_b32 v3, v2, v4
	s_wait_dscnt 0x0
	v_dual_cndmask_b32 v5, v0, v5 :: v_dual_max_num_f32 v6, v3, v3
	s_delay_alu instid0(VALU_DEP_1) | instskip(SKIP_3) | instid1(VALU_DEP_1)
	v_dual_max_num_f32 v4, v4, v6 :: v_dual_lshlrev_b32 v3, 2, v5
	ds_bpermute_b32 v5, v3, v4
	s_wait_dscnt 0x0
	v_dual_max_num_f32 v5, v5, v5 :: v_dual_bitop2_b32 v6, 2, v0 bitop3:0x14
	v_cmp_gt_i32_e32 vcc_lo, 32, v6
	s_delay_alu instid0(VALU_DEP_2) | instskip(SKIP_1) | instid1(VALU_DEP_1)
	v_max_num_f32_e32 v4, v4, v5
	v_cndmask_b32_e32 v6, v0, v6, vcc_lo
	v_lshlrev_b32_e32 v50, 2, v6
	ds_bpermute_b32 v5, v50, v4
	s_wait_dscnt 0x0
	v_dual_max_num_f32 v5, v5, v5 :: v_dual_bitop2_b32 v6, 1, v0 bitop3:0x14
	s_delay_alu instid0(VALU_DEP_1) | instskip(SKIP_1) | instid1(VALU_DEP_3)
	v_cmp_gt_i32_e32 vcc_lo, 32, v6
	v_cndmask_b32_e32 v6, v0, v6, vcc_lo
	v_max_num_f32_e32 v0, v4, v5
	scratch_load_b32 v4, off, s32 offset:312 ; 4-byte Folded Reload
	s_wait_loadcnt 0x0
	v_cmp_eq_u32_e32 vcc_lo, 0, v4
	scratch_load_b32 v4, off, s32 offset:344 ; 4-byte Folded Reload
	s_wait_loadcnt 0x0
	v_dual_lshlrev_b32 v4, 2, v4 :: v_dual_lshlrev_b32 v49, 2, v6
	ds_bpermute_b32 v5, v49, v0
	s_wait_xcnt 0x0
	s_and_saveexec_b32 s1, vcc_lo
	s_cbranch_execz .LBB277_786
; %bb.785:
	s_wait_dscnt 0x0
	v_dual_max_num_f32 v5, v5, v5 :: v_dual_max_num_f32 v0, v0, v0
	s_delay_alu instid0(VALU_DEP_1)
	v_max_num_f32_e32 v0, v0, v5
	ds_store_b32 v4, v0 offset:192
.LBB277_786:
	s_or_b32 exec_lo, exec_lo, s1
	scratch_load_b32 v0, off, s32 offset:312 ; 4-byte Folded Reload
	s_wait_storecnt 0x0
	s_wait_loadcnt_dscnt 0x0
	s_barrier_signal -1
	s_barrier_wait -1
	v_cmp_gt_u32_e64 s1, 4, v0
	v_mov_b32_e32 v0, 0xff7fffff
	s_and_saveexec_b32 s2, s1
; %bb.787:
	ds_load_b32 v0, v10 offset:192
; %bb.788:
	s_or_b32 exec_lo, exec_lo, s2
	s_wait_dscnt 0x0
	ds_bpermute_b32 v5, v50, v0
	s_wait_dscnt 0x0
	v_dual_max_num_f32 v0, v0, v0 :: v_dual_max_num_f32 v5, v5, v5
	s_delay_alu instid0(VALU_DEP_1) | instskip(SKIP_3) | instid1(VALU_DEP_1)
	v_max_num_f32_e32 v0, v0, v5
	ds_bpermute_b32 v5, v49, v0
	s_wait_dscnt 0x0
	v_max_num_f32_e32 v5, v5, v5
	v_dual_max_num_f32 v0, v0, v5 :: v_dual_mov_b32 v5, 0
	ds_bpermute_b32 v6, v5, v0
	scratch_load_b32 v0, off, s32 offset:208 ; 4-byte Folded Reload
	s_wait_loadcnt 0x0
	v_lshlrev_b32_e32 v0, 5, v0
	s_delay_alu instid0(VALU_DEP_1) | instskip(NEXT) | instid1(VALU_DEP_1)
	v_min_i32_e32 v0, v0, v12
	v_cmp_lt_i32_e64 s2, v13, v0
	s_and_saveexec_b32 s8, s2
	s_cbranch_execz .LBB277_792
; %bb.789:
	s_load_b32 s3, s[6:7], 0x0
	v_dual_mov_b32 v5, 0 :: v_dual_mov_b32 v8, v13
	s_mov_b32 s9, 0
	s_wait_kmcnt 0x0
	v_lshl_add_u32 v7, v13, 2, s3
.LBB277_790:                            ; =>This Inner Loop Header: Depth=1
	ds_load_b32 v9, v7
	v_add_nc_u32_e32 v8, 0x80, v8
	s_delay_alu instid0(VALU_DEP_1) | instskip(SKIP_3) | instid1(VALU_DEP_1)
	v_cmp_ge_i32_e64 s3, v8, v0
	s_or_b32 s9, s3, s9
	s_wait_dscnt 0x0
	v_sub_f32_e32 v9, v9, v6
	v_mul_f32_e32 v9, 0x3fb8aa3b, v9
	s_delay_alu instid0(VALU_DEP_1)
	v_exp_f32_e32 v9, v9
	ds_store_b32 v7, v9
	v_nop
	v_add_f32_e32 v5, v5, v9
	v_add_nc_u32_e32 v7, 0x200, v7
	s_and_not1_b32 exec_lo, exec_lo, s9
	s_cbranch_execnz .LBB277_790
; %bb.791:
	s_or_b32 exec_lo, exec_lo, s9
.LBB277_792:
	s_delay_alu instid0(SALU_CYCLE_1)
	s_or_b32 exec_lo, exec_lo, s8
	ds_bpermute_b32 v1, v1, v5
	s_wait_dscnt 0x0
	v_add_f32_e32 v1, v5, v1
	ds_bpermute_b32 v2, v2, v1
	s_wait_dscnt 0x0
	v_add_f32_e32 v1, v1, v2
	ds_bpermute_b32 v2, v3, v1
	s_wait_dscnt 0x0
	v_add_f32_e32 v1, v1, v2
	ds_bpermute_b32 v2, v50, v1
	s_wait_dscnt 0x0
	v_add_f32_e32 v1, v1, v2
	ds_bpermute_b32 v2, v49, v1
	s_wait_dscnt 0x0
	v_add_f32_e32 v1, v1, v2
	s_and_saveexec_b32 s3, vcc_lo
; %bb.793:
	ds_store_b32 v4, v1 offset:208
; %bb.794:
	s_or_b32 exec_lo, exec_lo, s3
	s_wait_dscnt 0x0
	s_barrier_signal -1
	s_barrier_wait -1
	s_and_saveexec_b32 s3, s1
; %bb.795:
	ds_load_b32 v1, v10 offset:208
; %bb.796:
	s_or_b32 exec_lo, exec_lo, s3
	s_wait_dscnt 0x0
	ds_bpermute_b32 v2, v50, v1
	s_wait_dscnt 0x0
	v_dual_mov_b32 v3, 0 :: v_dual_add_f32 v1, v1, v2
	ds_bpermute_b32 v2, v49, v1
	s_wait_dscnt 0x0
	v_add_f32_e32 v1, v1, v2
	ds_bpermute_b32 v1, v3, v1
	s_and_saveexec_b32 s1, s2
	s_cbranch_execz .LBB277_809
; %bb.797:
	s_wait_dscnt 0x0
	v_add_f32_e32 v1, 0x358637bd, v1
	s_mov_b32 s3, -1
	s_mov_b32 s2, exec_lo
	s_delay_alu instid0(VALU_DEP_1) | instskip(NEXT) | instid1(VALU_DEP_1)
	v_div_scale_f32 v2, null, v1, v1, 1.0
	v_rcp_f32_e32 v4, v2
	v_nop
	s_delay_alu instid0(TRANS32_DEP_1) | instskip(NEXT) | instid1(VALU_DEP_1)
	v_fma_f32 v5, -v2, v4, 1.0
	v_fmac_f32_e32 v4, v5, v4
	v_div_scale_f32 v6, vcc_lo, 1.0, v1, 1.0
	s_delay_alu instid0(VALU_DEP_1) | instskip(NEXT) | instid1(VALU_DEP_1)
	v_mul_f32_e32 v5, v6, v4
	v_fma_f32 v7, -v2, v5, v6
	s_delay_alu instid0(VALU_DEP_1) | instskip(NEXT) | instid1(VALU_DEP_1)
	v_fmac_f32_e32 v5, v7, v4
	v_fma_f32 v6, -v2, v5, v6
	v_xad_u32 v2, v13, -1, v0
	s_delay_alu instid0(VALU_DEP_2) | instskip(NEXT) | instid1(VALU_DEP_1)
	v_div_fmas_f32 v4, v6, v4, v5
	v_div_fixup_f32 v4, v4, v1, 1.0
	v_mov_b32_e32 v1, v13
	s_delay_alu instid0(VALU_DEP_4)
	v_cmpx_lt_u32_e32 0x7f, v2
	s_cbranch_execz .LBB277_806
; %bb.798:
	s_delay_alu instid0(VALU_DEP_3) | instskip(NEXT) | instid1(VALU_DEP_1)
	v_dual_lshrrev_b32 v1, 7, v2 :: v_dual_mov_b32 v5, v4
	v_dual_mov_b32 v8, 0 :: v_dual_add_nc_u32 v2, -1, v1
	s_delay_alu instid0(VALU_DEP_1) | instskip(SKIP_1) | instid1(VALU_DEP_2)
	v_lshrrev_b32_e32 v6, 1, v2
	v_cmp_lt_u32_e32 vcc_lo, 13, v2
	v_add_nc_u32_e32 v2, 1, v6
	s_and_saveexec_b32 s3, vcc_lo
	s_cbranch_execz .LBB277_802
; %bb.799:
	s_load_b32 s8, s[6:7], 0x0
	s_delay_alu instid0(VALU_DEP_1)
	v_and_b32_e32 v6, -8, v2
	s_mov_b32 s9, 0
	s_wait_kmcnt 0x0
	v_lshl_add_u32 v7, v13, 2, s8
	s_mov_b32 s8, 0
.LBB277_800:                            ; =>This Inner Loop Header: Depth=1
	ds_load_2addr_stride64_b32 v[8:9], v7 offset1:2
	ds_load_2addr_stride64_b32 v[10:11], v7 offset0:4 offset1:6
	ds_load_2addr_stride64_b32 v[14:15], v7 offset0:8 offset1:10
	ds_load_2addr_stride64_b32 v[16:17], v7 offset0:12 offset1:14
	ds_load_2addr_stride64_b32 v[18:19], v7 offset0:16 offset1:18
	ds_load_2addr_stride64_b32 v[20:21], v7 offset0:20 offset1:22
	ds_load_2addr_stride64_b32 v[22:23], v7 offset0:24 offset1:26
	ds_load_2addr_stride64_b32 v[24:25], v7 offset0:28 offset1:30
	s_add_co_i32 s9, s9, 16
	v_add_nc_u32_e32 v6, -8, v6
	s_wait_dscnt 0x7
	v_pk_mul_f32 v[8:9], v[4:5], v[8:9]
	s_wait_dscnt 0x6
	v_pk_mul_f32 v[10:11], v[4:5], v[10:11]
	;; [unrolled: 2-line block ×8, first 2 shown]
	ds_store_2addr_stride64_b32 v7, v8, v9 offset1:2
	ds_store_2addr_stride64_b32 v7, v10, v11 offset0:4 offset1:6
	ds_store_2addr_stride64_b32 v7, v14, v15 offset0:8 offset1:10
	;; [unrolled: 1-line block ×7, first 2 shown]
	v_mov_b32_e32 v8, s9
	v_cmp_eq_u32_e32 vcc_lo, 0, v6
	v_add_nc_u32_e32 v7, 0x2000, v7
	s_or_b32 s8, vcc_lo, s8
	s_delay_alu instid0(SALU_CYCLE_1)
	s_and_not1_b32 exec_lo, exec_lo, s8
	s_cbranch_execnz .LBB277_800
; %bb.801:
	s_or_b32 exec_lo, exec_lo, s8
.LBB277_802:
	s_delay_alu instid0(SALU_CYCLE_1) | instskip(NEXT) | instid1(VALU_DEP_1)
	s_or_b32 exec_lo, exec_lo, s3
	v_and_b32_e32 v2, 7, v2
	s_mov_b32 s8, 0
	s_mov_b32 s3, exec_lo
	s_delay_alu instid0(VALU_DEP_1)
	v_cmpx_ne_u32_e32 0, v2
	s_cbranch_execz .LBB277_805
; %bb.803:
	s_load_b32 s9, s[6:7], 0x0
	v_dual_lshlrev_b32 v6, 9, v8 :: v_dual_lshlrev_b32 v7, 2, v13
	s_wait_kmcnt 0x0
	s_delay_alu instid0(VALU_DEP_1)
	v_add3_u32 v6, v6, v7, s9
.LBB277_804:                            ; =>This Inner Loop Header: Depth=1
	ds_load_2addr_stride64_b32 v[8:9], v6 offset1:2
	v_add_nc_u32_e32 v2, -1, v2
	s_delay_alu instid0(VALU_DEP_1)
	v_cmp_eq_u32_e32 vcc_lo, 0, v2
	s_or_b32 s8, vcc_lo, s8
	s_wait_dscnt 0x0
	v_pk_mul_f32 v[8:9], v[4:5], v[8:9]
	ds_store_2addr_stride64_b32 v6, v8, v9 offset1:2
	v_add_nc_u32_e32 v6, 0x400, v6
	s_and_not1_b32 exec_lo, exec_lo, s8
	s_cbranch_execnz .LBB277_804
.LBB277_805:
	s_or_b32 exec_lo, exec_lo, s3
	v_add_nc_u32_e32 v1, 1, v1
	s_delay_alu instid0(VALU_DEP_1) | instskip(NEXT) | instid1(VALU_DEP_1)
	v_and_b32_e32 v2, 0x3fffffe, v1
	v_cmp_ne_u32_e32 vcc_lo, v1, v2
	v_lshl_add_u32 v1, v2, 7, v13
	s_or_not1_b32 s3, vcc_lo, exec_lo
.LBB277_806:
	s_or_b32 exec_lo, exec_lo, s2
	s_delay_alu instid0(SALU_CYCLE_1)
	s_and_b32 exec_lo, exec_lo, s3
	s_cbranch_execz .LBB277_809
; %bb.807:
	s_load_b32 s2, s[6:7], 0x0
	s_wait_kmcnt 0x0
	v_lshl_add_u32 v2, v1, 2, s2
	s_mov_b32 s2, 0
.LBB277_808:                            ; =>This Inner Loop Header: Depth=1
	ds_load_b32 v5, v2
	v_add_nc_u32_e32 v1, 0x80, v1
	s_delay_alu instid0(VALU_DEP_1)
	v_cmp_ge_i32_e32 vcc_lo, v1, v0
	s_or_b32 s2, vcc_lo, s2
	s_wait_dscnt 0x0
	v_mul_f32_e32 v5, v4, v5
	ds_store_b32 v2, v5
	v_add_nc_u32_e32 v2, 0x200, v2
	s_and_not1_b32 exec_lo, exec_lo, s2
	s_cbranch_execnz .LBB277_808
.LBB277_809:
	s_or_b32 exec_lo, exec_lo, s1
	v_dual_mov_b32 v41, v13 :: v_dual_bitop2_b32 v51, 3, v13 bitop3:0x40
	v_dual_mov_b32 v2, 0 :: v_dual_mov_b32 v31, 0
	v_dual_mov_b32 v30, 0 :: v_dual_mov_b32 v33, 0
	;; [unrolled: 1-line block ×5, first 2 shown]
	v_mov_b32_e32 v20, 0
	s_wait_dscnt 0x0
	s_barrier_signal -1
	s_barrier_wait -1
	s_and_saveexec_b32 s1, s0
	s_cbranch_execz .LBB277_1607
; %bb.810:
	s_clause 0x1
	scratch_load_b32 v0, off, s32 offset:348 th:TH_LOAD_LU
	scratch_load_b32 v1, off, s32 offset:380 th:TH_LOAD_LU
	v_dual_mov_b32 v13, v12 :: v_dual_lshlrev_b32 v9, 5, v51
	v_dual_mov_b32 v21, 0 :: v_dual_mov_b32 v24, 0
	v_dual_mov_b32 v25, 0 :: v_dual_mov_b32 v33, 0
	;; [unrolled: 1-line block ×3, first 2 shown]
	s_mov_b64 s[2:3], 0xffffffffffffff
	s_mov_b32 s8, 0
	v_dual_mov_b32 v32, 0 :: v_dual_mov_b32 v20, 0
	s_wait_loadcnt 0x0
	v_max_i32_e32 v52, v0, v1
	s_delay_alu instid0(VALU_DEP_1) | instskip(NEXT) | instid1(VALU_DEP_1)
	v_cvt_f32_u32_e32 v0, v52
	v_rcp_iflag_f32_e32 v0, v0
	v_nop
	s_delay_alu instid0(TRANS32_DEP_1)
	v_dual_mul_f32 v2, 0x4f7ffffe, v0 :: v_dual_lshlrev_b32 v3, 3, v41
	s_clause 0x2
	scratch_load_b64 v[0:1], off, s32 offset:400 th:TH_LOAD_LU
	scratch_load_b64 v[4:5], off, s32 offset:372 th:TH_LOAD_LU
	scratch_load_b32 v10, off, s32 offset:344
	v_mov_b32_e32 v7, 0
	v_and_b32_e32 v6, 0xf8, v3
	scratch_load_b64 v[42:43], off, s32 offset:392 ; 8-byte Folded Reload
	v_cvt_u32_f32_e32 v8, v2
	s_wait_loadcnt 0x2
	v_add_nc_u64_e32 v[0:1], v[0:1], v[4:5]
	scratch_load_b32 v4, off, s32 offset:208 ; 4-byte Folded Reload
	v_mov_b32_e32 v5, 0
	v_add_nc_u64_e32 v[26:27], v[0:1], v[6:7]
	scratch_load_b32 v0, off, s32 offset:368 th:TH_LOAD_LU ; 4-byte Folded Reload
	s_wait_loadcnt 0x0
	v_and_b32_e32 v6, 0x7c, v0
	scratch_load_b64 v[0:1], off, s32 offset:360 th:TH_LOAD_LU ; 8-byte Folded Reload
	v_mov_b32_e32 v54, v10
	v_lshl_or_b32 v64, v10, 7, v9
	scratch_load_b64 v[10:11], off, s32 offset:352 th:TH_LOAD_LU ; 8-byte Folded Reload
	v_add_nc_u32_e32 v53, -1, v4
	v_dual_sub_nc_u32 v4, 0, v52 :: v_dual_bitop2_b32 v55, 24, v3 bitop3:0x40
	v_dual_mov_b32 v15, v7 :: v_dual_mov_b32 v3, 0
	s_delay_alu instid0(VALU_DEP_2) | instskip(SKIP_1) | instid1(VALU_DEP_2)
	v_mul_lo_u32 v2, v4, v8
	v_mov_b32_e32 v4, 0
	v_mul_hi_u32 v14, v8, v2
	s_delay_alu instid0(VALU_DEP_1) | instskip(SKIP_3) | instid1(VALU_DEP_1)
	v_dual_mov_b32 v2, 0 :: v_dual_add_nc_u32 v14, v8, v14
	s_wait_loadcnt 0x1
	v_lshl_add_u64 v[0:1], v[0:1], 2, v[6:7]
	s_wait_loadcnt 0x0
	v_add_nc_u64_e32 v[10:11], v[10:11], v[0:1]
	s_branch .LBB277_813
.LBB277_811:                            ;   in Loop: Header=BB277_813 Depth=1
	s_or_b32 exec_lo, exec_lo, s0
	v_dual_add_f32 v8, v39, v48 :: v_dual_add_f32 v17, v117, v118
	v_add_f32_e32 v16, v119, v40
	v_dual_add_f32 v18, v115, v116 :: v_dual_add_f32 v19, v101, v102
	s_delay_alu instid0(VALU_DEP_3) | instskip(NEXT) | instid1(VALU_DEP_3)
	v_dual_add_f32 v2, v2, v8 :: v_dual_add_f32 v8, v113, v114
	v_dual_add_f32 v31, v31, v16 :: v_dual_add_f32 v30, v30, v17
	s_delay_alu instid0(VALU_DEP_3)
	v_dual_add_f32 v16, v103, v112 :: v_dual_add_f32 v4, v4, v19
	;;#ASMSTART
	v_pk_mul_f16 v9, v85, v9;

	;;#ASMEND
	;;#ASMSTART
	v_pk_mul_f16 v6, v83, v6;

	;;#ASMEND
	;; [unrolled: 4-line block ×4, first 2 shown]
	;;#ASMSTART
	v_pk_add_f16 v6, v9, v6;

	;;#ASMEND
	;;#ASMSTART
	v_pk_add_f16 v1, v6, v1;

	;;#ASMEND
	;; [unrolled: 4-line block ×3, first 2 shown]
	v_add_f32_e32 v32, v32, v8
	v_dual_add_f32 v5, v5, v16 :: v_dual_add_f32 v6, v84, v86
	v_and_b32_e32 v9, 0xffff, v0
	v_dual_lshrrev_b32 v16, 16, v0 :: v_dual_add_f32 v0, v97, v98
	;;#ASMSTART
	v_cvt_f32_f16 v9, v9;
	;;#ASMEND
	s_delay_alu instid0(VALU_DEP_3) | instskip(SKIP_1) | instid1(VALU_DEP_3)
	v_dual_add_f32 v1, v87, v96 :: v_dual_add_f32 v20, v20, v6
	v_add_f32_e32 v8, v99, v100
	v_add_f32_e32 v24, v24, v0
	;;#ASMSTART
	v_cvt_f32_f16 v16, v16;
	;;#ASMEND
	v_add_f32_e32 v9, v9, v16
	v_add_f32_e32 v33, v33, v18
	;; [unrolled: 1-line block ×3, first 2 shown]
	s_delay_alu instid0(VALU_DEP_3)
	v_dual_add_f32 v25, v25, v8 :: v_dual_add_f32 v3, v3, v9
.LBB277_812:                            ;   in Loop: Header=BB277_813 Depth=1
	s_or_b32 exec_lo, exec_lo, s9
	scratch_load_b32 v0, off, s32 offset:208 ; 4-byte Folded Reload
	v_add_nc_u32_e32 v54, 4, v54
	v_add_nc_u64_e32 v[10:11], 16, v[10:11]
	v_add_nc_u32_e32 v42, 0x80, v42
	v_add_nc_u32_e32 v64, 0x200, v64
	s_wait_loadcnt 0x0
	v_cmp_ge_i32_e32 vcc_lo, v54, v0
	s_or_b32 s8, vcc_lo, s8
	s_delay_alu instid0(SALU_CYCLE_1)
	s_and_not1_b32 exec_lo, exec_lo, s8
	s_cbranch_execz .LBB277_1606
.LBB277_813:                            ; =>This Inner Loop Header: Depth=1
	scratch_load_b64 v[0:1], off, s32 offset:216 ; 8-byte Folded Reload
	v_mov_b32_e32 v43, v7
	s_delay_alu instid0(VALU_DEP_1) | instskip(NEXT) | instid1(VALU_DEP_1)
	v_mov_b64_e32 v[8:9], v[42:43]
	v_mov_b32_e32 v42, v8
	s_wait_loadcnt 0x0
	s_delay_alu instid0(VALU_DEP_2) | instskip(SKIP_4) | instid1(VALU_DEP_1)
	v_mul_u64_e32 v[0:1], v[8:9], v[0:1]
	scratch_load_b32 v9, off, s32 offset:212 ; 4-byte Folded Reload
	v_add_nc_u32_e32 v6, 1, v1
	s_wait_loadcnt 0x0
	v_mul_lo_u32 v0, v1, v9
	v_sub_nc_u32_e32 v0, v8, v0
	s_delay_alu instid0(VALU_DEP_1) | instskip(SKIP_1) | instid1(VALU_DEP_1)
	v_cmp_ge_u32_e32 vcc_lo, v0, v9
	v_dual_cndmask_b32 v1, v1, v6 :: v_dual_sub_nc_u32 v8, v0, v9
	v_dual_cndmask_b32 v0, v0, v8, vcc_lo :: v_dual_add_nc_u32 v6, 1, v1
	s_delay_alu instid0(VALU_DEP_1) | instskip(NEXT) | instid1(VALU_DEP_2)
	v_cmp_ge_u32_e32 vcc_lo, v0, v9
	v_cndmask_b32_e32 v0, v1, v6, vcc_lo
	scratch_load_b32 v1, off, s32 offset:224 ; 4-byte Folded Reload
	s_wait_loadcnt 0x0
	v_xor_b32_e32 v0, v0, v1
	s_delay_alu instid0(VALU_DEP_1) | instskip(SKIP_3) | instid1(VALU_DEP_1)
	v_sub_nc_u32_e32 v8, v0, v1
	scratch_load_b32 v0, off, s32 offset:228 ; 4-byte Folded Reload
	s_wait_loadcnt 0x0
	v_add_nc_u32_e32 v9, v8, v0
	v_sub_nc_u32_e32 v0, 0, v9
	s_delay_alu instid0(VALU_DEP_1) | instskip(NEXT) | instid1(VALU_DEP_1)
	v_max_i32_e32 v6, v9, v0
	v_mul_u64_e32 v[0:1], v[6:7], v[14:15]
	s_delay_alu instid0(VALU_DEP_1) | instskip(NEXT) | instid1(VALU_DEP_1)
	v_mul_lo_u32 v0, v1, v52
	v_dual_sub_nc_u32 v0, v6, v0 :: v_dual_ashrrev_i32 v6, 31, v9
	s_delay_alu instid0(VALU_DEP_1) | instskip(SKIP_1) | instid1(VALU_DEP_2)
	v_sub_nc_u32_e32 v1, v0, v52
	v_cmp_ge_u32_e32 vcc_lo, v0, v52
	v_cndmask_b32_e32 v0, v0, v1, vcc_lo
	s_delay_alu instid0(VALU_DEP_1) | instskip(SKIP_1) | instid1(VALU_DEP_2)
	v_sub_nc_u32_e32 v1, v0, v52
	v_cmp_ge_u32_e32 vcc_lo, v0, v52
	v_cndmask_b32_e32 v0, v0, v1, vcc_lo
	s_delay_alu instid0(VALU_DEP_1) | instskip(NEXT) | instid1(VALU_DEP_1)
	v_xor_b32_e32 v0, v0, v6
	v_sub_nc_u32_e32 v0, v0, v6
	s_delay_alu instid0(VALU_DEP_1) | instskip(SKIP_4) | instid1(SALU_CYCLE_1)
	v_cmp_eq_u32_e32 vcc_lo, 0, v0
	scratch_load_b32 v0, off, s32 offset:232 ; 4-byte Folded Reload
	s_wait_loadcnt 0x0
	v_cmp_gt_i32_e64 s0, v8, v0
	s_or_b32 s0, vcc_lo, s0
	s_and_saveexec_b32 s9, s0
	s_cbranch_execz .LBB277_812
; %bb.814:                              ;   in Loop: Header=BB277_813 Depth=1
	s_load_b32 s0, s[6:7], 0x0
	flat_load_b32 v0, v[10:11]
	s_wait_kmcnt 0x0
	v_add_nc_u32_e32 v1, s0, v64
	s_mov_b32 s0, exec_lo
	ds_load_2addr_b64 v[16:19], v1 offset1:1
	ds_load_2addr_b64 v[34:37], v1 offset0:2 offset1:3
	scratch_load_b64 v[8:9], off, s32 offset:236 ; 8-byte Folded Reload
	s_wait_dscnt 0x1
	;;#ASMSTART
	v_cvt_f16_f32 v83, v16;

	;;#ASMEND
	;;#ASMSTART
	v_cvt_f16_f32 v81, v17;

	;;#ASMEND
	;; [unrolled: 4-line block ×4, first 2 shown]
	s_wait_dscnt 0x0
	;;#ASMSTART
	v_cvt_f16_f32 v87, v34;

	;;#ASMEND
	;;#ASMSTART
	v_cvt_f16_f32 v84, v35;

	;;#ASMEND
	;; [unrolled: 4-line block ×4, first 2 shown]
	s_wait_loadcnt 0x0
	v_mad_nc_i64_i32 v[28:29], v0, v8, v[26:27]
	v_mov_b32_e32 v8, 0
	flat_load_b64 v[36:37], v[28:29]
	scratch_load_b64 v[0:1], off, s32 offset:192 ; 8-byte Folded Reload
	s_wait_loadcnt 0x0
	flat_load_b32 v34, v[0:1]
	s_wait_dscnt 0x1
	s_wait_xcnt 0x0
	v_and_b32_e32 v0, 0xff, v36
	v_mov_b32_e32 v1, 0
	s_delay_alu instid0(VALU_DEP_2)
	v_cmpx_ne_u16_e32 0, v0
	s_cbranch_execz .LBB277_822
; %bb.815:                              ;   in Loop: Header=BB277_813 Depth=1
	v_mov_b32_e32 v8, 0x8000
	s_mov_b32 s14, exec_lo
	v_cmpx_ne_u16_e32 0x80, v0
	s_cbranch_execz .LBB277_821
; %bb.816:                              ;   in Loop: Header=BB277_813 Depth=1
	v_and_b32_e32 v9, 0x7f, v36
	v_mov_b32_e32 v8, 0x7c01
	s_mov_b32 s15, exec_lo
	s_delay_alu instid0(VALU_DEP_2)
	v_cmpx_ne_u32_e32 0x7f, v9
	s_cbranch_execz .LBB277_820
; %bb.817:                              ;   in Loop: Header=BB277_813 Depth=1
	v_dual_lshrrev_b32 v6, 3, v9 :: v_dual_bitop2_b32 v0, 7, v36 bitop3:0x40
	s_mov_b32 s16, exec_lo
	v_cmpx_gt_u32_e32 8, v9
; %bb.818:                              ;   in Loop: Header=BB277_813 Depth=1
	s_delay_alu instid0(VALU_DEP_2) | instskip(NEXT) | instid1(VALU_DEP_1)
	v_clz_i32_u32_e32 v0, v0
	v_min_u32_e32 v0, 32, v0
	s_delay_alu instid0(VALU_DEP_1) | instskip(NEXT) | instid1(VALU_DEP_1)
	v_subrev_nc_u32_e32 v6, 28, v0
	v_lshlrev_b64_e32 v[8:9], v6, v[36:37]
	v_sub_nc_u32_e32 v6, 29, v0
	s_delay_alu instid0(VALU_DEP_2)
	v_and_b32_e32 v0, 7, v8
; %bb.819:                              ;   in Loop: Header=BB277_813 Depth=1
	s_or_b32 exec_lo, exec_lo, s16
	v_lshlrev_b32_e32 v8, 8, v36
	s_delay_alu instid0(VALU_DEP_3) | instskip(NEXT) | instid1(VALU_DEP_3)
	v_lshl_add_u32 v6, v6, 10, 0x2000
	v_lshlrev_b32_e32 v0, 7, v0
	s_delay_alu instid0(VALU_DEP_3) | instskip(NEXT) | instid1(VALU_DEP_3)
	v_and_b32_e32 v8, 0x8000, v8
	v_and_b32_e32 v6, 0xfc00, v6
	s_delay_alu instid0(VALU_DEP_1)
	v_or3_b32 v8, v8, v6, v0
.LBB277_820:                            ;   in Loop: Header=BB277_813 Depth=1
	s_or_b32 exec_lo, exec_lo, s15
.LBB277_821:                            ;   in Loop: Header=BB277_813 Depth=1
	s_delay_alu instid0(SALU_CYCLE_1)
	s_or_b32 exec_lo, exec_lo, s14
.LBB277_822:                            ;   in Loop: Header=BB277_813 Depth=1
	s_delay_alu instid0(SALU_CYCLE_1) | instskip(SKIP_2) | instid1(VALU_DEP_1)
	s_or_b32 exec_lo, exec_lo, s0
	v_lshrrev_b16 v6, 8, v36
	s_mov_b32 s0, exec_lo
	v_cmpx_ne_u16_e32 0, v6
	s_cbranch_execz .LBB277_830
; %bb.823:                              ;   in Loop: Header=BB277_813 Depth=1
	v_bfrev_b32_e32 v1, 1
	s_mov_b32 s14, exec_lo
	v_cmpx_ne_u16_e32 0x80, v6
	s_cbranch_execz .LBB277_829
; %bb.824:                              ;   in Loop: Header=BB277_813 Depth=1
	v_and_b32_e32 v0, 0xffff, v6
	v_mov_b32_e32 v1, 0x7c010000
	s_mov_b32 s15, exec_lo
	s_delay_alu instid0(VALU_DEP_2) | instskip(NEXT) | instid1(VALU_DEP_1)
	v_and_b32_e32 v16, 0x7f, v0
	v_cmpx_ne_u32_e32 0x7f, v16
	s_cbranch_execz .LBB277_828
; %bb.825:                              ;   in Loop: Header=BB277_813 Depth=1
	v_and_b32_e32 v1, 7, v0
	v_lshrrev_b32_e32 v9, 3, v16
	s_mov_b32 s16, exec_lo
	v_cmpx_gt_u32_e32 8, v16
; %bb.826:                              ;   in Loop: Header=BB277_813 Depth=1
	s_delay_alu instid0(VALU_DEP_3) | instskip(NEXT) | instid1(VALU_DEP_1)
	v_clz_i32_u32_e32 v1, v1
	v_min_u32_e32 v1, 32, v1
	s_delay_alu instid0(VALU_DEP_1) | instskip(NEXT) | instid1(VALU_DEP_1)
	v_subrev_nc_u32_e32 v9, 28, v1
	v_lshlrev_b64_e32 v[16:17], v9, v[6:7]
	s_delay_alu instid0(VALU_DEP_1)
	v_dual_sub_nc_u32 v9, 29, v1 :: v_dual_bitop2_b32 v1, 7, v16 bitop3:0x40
; %bb.827:                              ;   in Loop: Header=BB277_813 Depth=1
	s_or_b32 exec_lo, exec_lo, s16
	s_delay_alu instid0(VALU_DEP_1) | instskip(NEXT) | instid1(VALU_DEP_2)
	v_dual_lshlrev_b32 v0, 8, v0 :: v_dual_lshlrev_b32 v1, 23, v1
	v_lshl_add_u32 v6, v9, 10, 0x2000
	s_delay_alu instid0(VALU_DEP_1) | instskip(NEXT) | instid1(VALU_DEP_1)
	v_and_or_b32 v0, 0x8000, v0, v6
	v_lshl_or_b32 v1, v0, 16, v1
.LBB277_828:                            ;   in Loop: Header=BB277_813 Depth=1
	s_or_b32 exec_lo, exec_lo, s15
.LBB277_829:                            ;   in Loop: Header=BB277_813 Depth=1
	s_delay_alu instid0(SALU_CYCLE_1)
	s_or_b32 exec_lo, exec_lo, s14
.LBB277_830:                            ;   in Loop: Header=BB277_813 Depth=1
	s_delay_alu instid0(SALU_CYCLE_1) | instskip(SKIP_3) | instid1(VALU_DEP_2)
	s_or_b32 exec_lo, exec_lo, s0
	v_dual_mov_b32 v9, 0 :: v_dual_lshrrev_b32 v0, 16, v36
	v_mov_b32_e32 v16, 0
	s_mov_b32 s0, exec_lo
	v_and_b32_e32 v6, 0xff, v0
	s_delay_alu instid0(VALU_DEP_1)
	v_cmpx_ne_u16_e32 0, v6
	s_cbranch_execz .LBB277_838
; %bb.831:                              ;   in Loop: Header=BB277_813 Depth=1
	v_mov_b32_e32 v16, 0x8000
	s_mov_b32 s14, exec_lo
	v_cmpx_ne_u16_e32 0x80, v6
	s_cbranch_execz .LBB277_837
; %bb.832:                              ;   in Loop: Header=BB277_813 Depth=1
	v_bfe_u32 v17, v36, 16, 7
	v_mov_b32_e32 v16, 0x7c01
	s_mov_b32 s15, exec_lo
	s_delay_alu instid0(VALU_DEP_2)
	v_cmpx_ne_u32_e32 0x7f, v17
	s_cbranch_execz .LBB277_836
; %bb.833:                              ;   in Loop: Header=BB277_813 Depth=1
	v_dual_lshrrev_b32 v16, 3, v17 :: v_dual_bitop2_b32 v6, 7, v0 bitop3:0x40
	s_mov_b32 s16, exec_lo
	v_cmpx_gt_u32_e32 8, v17
; %bb.834:                              ;   in Loop: Header=BB277_813 Depth=1
	s_delay_alu instid0(VALU_DEP_2) | instskip(NEXT) | instid1(VALU_DEP_1)
	v_clz_i32_u32_e32 v6, v6
	v_min_u32_e32 v6, 32, v6
	s_delay_alu instid0(VALU_DEP_1) | instskip(NEXT) | instid1(VALU_DEP_1)
	v_subrev_nc_u32_e32 v16, 28, v6
	v_lshlrev_b64_e32 v[18:19], v16, v[0:1]
	v_sub_nc_u32_e32 v16, 29, v6
	s_delay_alu instid0(VALU_DEP_2)
	v_and_b32_e32 v6, 7, v18
; %bb.835:                              ;   in Loop: Header=BB277_813 Depth=1
	s_or_b32 exec_lo, exec_lo, s16
	s_delay_alu instid0(VALU_DEP_1) | instskip(NEXT) | instid1(VALU_DEP_3)
	v_dual_lshlrev_b32 v0, 8, v0 :: v_dual_lshlrev_b32 v6, 7, v6
	v_lshl_add_u32 v16, v16, 10, 0x2000
	s_delay_alu instid0(VALU_DEP_2) | instskip(NEXT) | instid1(VALU_DEP_2)
	v_and_b32_e32 v0, 0x8000, v0
	v_and_b32_e32 v16, 0xfc00, v16
	s_delay_alu instid0(VALU_DEP_1)
	v_or3_b32 v16, v0, v16, v6
.LBB277_836:                            ;   in Loop: Header=BB277_813 Depth=1
	s_or_b32 exec_lo, exec_lo, s15
.LBB277_837:                            ;   in Loop: Header=BB277_813 Depth=1
	s_delay_alu instid0(SALU_CYCLE_1)
	s_or_b32 exec_lo, exec_lo, s14
.LBB277_838:                            ;   in Loop: Header=BB277_813 Depth=1
	s_delay_alu instid0(SALU_CYCLE_1) | instskip(NEXT) | instid1(SALU_CYCLE_1)
	s_or_b32 exec_lo, exec_lo, s0
	s_mov_b32 s0, exec_lo
	v_cmpx_lt_u32_e32 0xffffff, v36
	s_cbranch_execz .LBB277_846
; %bb.839:                              ;   in Loop: Header=BB277_813 Depth=1
	v_lshrrev_b32_e32 v6, 24, v36
	v_bfrev_b32_e32 v9, 1
	s_mov_b32 s14, exec_lo
	s_delay_alu instid0(VALU_DEP_2)
	v_cmpx_ne_u32_e32 0x80, v6
	s_cbranch_execz .LBB277_845
; %bb.840:                              ;   in Loop: Header=BB277_813 Depth=1
	v_and_b32_e32 v17, 0x7f, v6
	v_mov_b32_e32 v9, 0x7c010000
	s_mov_b32 s15, exec_lo
	s_delay_alu instid0(VALU_DEP_2)
	v_cmpx_ne_u32_e32 0x7f, v17
	s_cbranch_execz .LBB277_844
; %bb.841:                              ;   in Loop: Header=BB277_813 Depth=1
	v_dual_lshrrev_b32 v9, 3, v17 :: v_dual_bitop2_b32 v0, 7, v6 bitop3:0x40
	s_mov_b32 s16, exec_lo
	v_cmpx_gt_u32_e32 8, v17
; %bb.842:                              ;   in Loop: Header=BB277_813 Depth=1
	s_delay_alu instid0(VALU_DEP_2) | instskip(NEXT) | instid1(VALU_DEP_1)
	v_clz_i32_u32_e32 v0, v0
	v_min_u32_e32 v0, 32, v0
	s_delay_alu instid0(VALU_DEP_1) | instskip(NEXT) | instid1(VALU_DEP_1)
	v_subrev_nc_u32_e32 v9, 28, v0
	v_lshlrev_b64_e32 v[18:19], v9, v[6:7]
	s_delay_alu instid0(VALU_DEP_1)
	v_dual_sub_nc_u32 v9, 29, v0 :: v_dual_bitop2_b32 v0, 7, v18 bitop3:0x40
; %bb.843:                              ;   in Loop: Header=BB277_813 Depth=1
	s_or_b32 exec_lo, exec_lo, s16
	s_delay_alu instid0(VALU_DEP_1) | instskip(NEXT) | instid1(VALU_DEP_2)
	v_dual_lshlrev_b32 v6, 8, v6 :: v_dual_lshlrev_b32 v0, 23, v0
	v_lshl_add_u32 v9, v9, 10, 0x2000
	s_delay_alu instid0(VALU_DEP_1) | instskip(NEXT) | instid1(VALU_DEP_1)
	v_and_or_b32 v6, 0x8000, v6, v9
	v_lshl_or_b32 v9, v6, 16, v0
.LBB277_844:                            ;   in Loop: Header=BB277_813 Depth=1
	s_or_b32 exec_lo, exec_lo, s15
.LBB277_845:                            ;   in Loop: Header=BB277_813 Depth=1
	s_delay_alu instid0(SALU_CYCLE_1)
	s_or_b32 exec_lo, exec_lo, s14
.LBB277_846:                            ;   in Loop: Header=BB277_813 Depth=1
	s_delay_alu instid0(SALU_CYCLE_1) | instskip(SKIP_4) | instid1(VALU_DEP_3)
	s_or_b32 exec_lo, exec_lo, s0
	v_and_b32_e32 v0, 0xff, v37
	v_dual_mov_b32 v6, v37 :: v_dual_mov_b32 v18, 0
	v_mov_b32_e32 v17, 0
	s_mov_b32 s0, exec_lo
	v_cmpx_ne_u16_e32 0, v0
	s_cbranch_execz .LBB277_854
; %bb.847:                              ;   in Loop: Header=BB277_813 Depth=1
	v_mov_b32_e32 v17, 0x8000
	s_mov_b32 s14, exec_lo
	v_cmpx_ne_u16_e32 0x80, v0
	s_cbranch_execz .LBB277_853
; %bb.848:                              ;   in Loop: Header=BB277_813 Depth=1
	v_and_b32_e32 v19, 0x7f, v37
	v_mov_b32_e32 v17, 0x7c01
	s_mov_b32 s15, exec_lo
	s_delay_alu instid0(VALU_DEP_2)
	v_cmpx_ne_u32_e32 0x7f, v19
	s_cbranch_execz .LBB277_852
; %bb.849:                              ;   in Loop: Header=BB277_813 Depth=1
	v_dual_lshrrev_b32 v17, 3, v19 :: v_dual_bitop2_b32 v0, 7, v37 bitop3:0x40
	s_mov_b32 s16, exec_lo
	v_cmpx_gt_u32_e32 8, v19
; %bb.850:                              ;   in Loop: Header=BB277_813 Depth=1
	s_delay_alu instid0(VALU_DEP_2) | instskip(NEXT) | instid1(VALU_DEP_1)
	v_clz_i32_u32_e32 v0, v0
	v_min_u32_e32 v0, 32, v0
	s_delay_alu instid0(VALU_DEP_1) | instskip(NEXT) | instid1(VALU_DEP_1)
	v_subrev_nc_u32_e32 v17, 28, v0
	v_lshlrev_b64_e32 v[22:23], v17, v[6:7]
	s_delay_alu instid0(VALU_DEP_1)
	v_dual_sub_nc_u32 v17, 29, v0 :: v_dual_bitop2_b32 v0, 7, v22 bitop3:0x40
; %bb.851:                              ;   in Loop: Header=BB277_813 Depth=1
	s_or_b32 exec_lo, exec_lo, s16
	s_delay_alu instid0(VALU_DEP_1) | instskip(NEXT) | instid1(VALU_DEP_2)
	v_dual_lshlrev_b32 v19, 8, v37 :: v_dual_lshlrev_b32 v0, 7, v0
	v_lshl_add_u32 v17, v17, 10, 0x2000
	s_delay_alu instid0(VALU_DEP_2) | instskip(NEXT) | instid1(VALU_DEP_2)
	v_and_b32_e32 v19, 0x8000, v19
	v_and_b32_e32 v17, 0xfc00, v17
	s_delay_alu instid0(VALU_DEP_1)
	v_or3_b32 v17, v19, v17, v0
.LBB277_852:                            ;   in Loop: Header=BB277_813 Depth=1
	s_or_b32 exec_lo, exec_lo, s15
.LBB277_853:                            ;   in Loop: Header=BB277_813 Depth=1
	s_delay_alu instid0(SALU_CYCLE_1)
	s_or_b32 exec_lo, exec_lo, s14
.LBB277_854:                            ;   in Loop: Header=BB277_813 Depth=1
	s_delay_alu instid0(SALU_CYCLE_1) | instskip(SKIP_3) | instid1(VALU_DEP_2)
	s_or_b32 exec_lo, exec_lo, s0
	v_lshrrev_b16 v6, 8, v6
	v_mov_b32_e32 v19, 0
	s_mov_b32 s0, exec_lo
	v_cmpx_ne_u16_e32 0, v6
	s_cbranch_execz .LBB277_862
; %bb.855:                              ;   in Loop: Header=BB277_813 Depth=1
	v_bfrev_b32_e32 v19, 1
	s_mov_b32 s14, exec_lo
	v_cmpx_ne_u16_e32 0x80, v6
	s_cbranch_execz .LBB277_861
; %bb.856:                              ;   in Loop: Header=BB277_813 Depth=1
	v_and_b32_e32 v0, 0xffff, v6
	v_mov_b32_e32 v19, 0x7c010000
	s_mov_b32 s15, exec_lo
	s_delay_alu instid0(VALU_DEP_2) | instskip(NEXT) | instid1(VALU_DEP_1)
	v_and_b32_e32 v23, 0x7f, v0
	v_cmpx_ne_u32_e32 0x7f, v23
	s_cbranch_execz .LBB277_860
; %bb.857:                              ;   in Loop: Header=BB277_813 Depth=1
	v_dual_lshrrev_b32 v22, 3, v23 :: v_dual_bitop2_b32 v19, 7, v0 bitop3:0x40
	s_mov_b32 s16, exec_lo
	v_cmpx_gt_u32_e32 8, v23
; %bb.858:                              ;   in Loop: Header=BB277_813 Depth=1
	s_delay_alu instid0(VALU_DEP_2) | instskip(NEXT) | instid1(VALU_DEP_1)
	v_clz_i32_u32_e32 v19, v19
	v_min_u32_e32 v19, 32, v19
	s_delay_alu instid0(VALU_DEP_1) | instskip(NEXT) | instid1(VALU_DEP_1)
	v_subrev_nc_u32_e32 v22, 28, v19
	v_lshlrev_b64_e32 v[38:39], v22, v[6:7]
	s_delay_alu instid0(VALU_DEP_1)
	v_dual_sub_nc_u32 v22, 29, v19 :: v_dual_bitop2_b32 v19, 7, v38 bitop3:0x40
; %bb.859:                              ;   in Loop: Header=BB277_813 Depth=1
	s_or_b32 exec_lo, exec_lo, s16
	v_lshlrev_b32_e32 v0, 8, v0
	s_delay_alu instid0(VALU_DEP_2) | instskip(NEXT) | instid1(VALU_DEP_1)
	v_lshl_add_u32 v6, v22, 10, 0x2000
	v_and_or_b32 v0, 0x8000, v0, v6
	v_lshlrev_b32_e32 v6, 23, v19
	s_delay_alu instid0(VALU_DEP_1)
	v_lshl_or_b32 v19, v0, 16, v6
.LBB277_860:                            ;   in Loop: Header=BB277_813 Depth=1
	s_or_b32 exec_lo, exec_lo, s15
.LBB277_861:                            ;   in Loop: Header=BB277_813 Depth=1
	s_delay_alu instid0(SALU_CYCLE_1)
	s_or_b32 exec_lo, exec_lo, s14
.LBB277_862:                            ;   in Loop: Header=BB277_813 Depth=1
	s_delay_alu instid0(SALU_CYCLE_1) | instskip(SKIP_2) | instid1(VALU_DEP_1)
	s_or_b32 exec_lo, exec_lo, s0
	v_lshrrev_b32_e32 v0, 16, v37
	s_mov_b32 s0, exec_lo
	v_and_b32_e32 v6, 0xff, v0
	s_delay_alu instid0(VALU_DEP_1)
	v_cmpx_ne_u16_e32 0, v6
	s_cbranch_execz .LBB277_870
; %bb.863:                              ;   in Loop: Header=BB277_813 Depth=1
	v_mov_b32_e32 v18, 0x8000
	s_mov_b32 s14, exec_lo
	v_cmpx_ne_u16_e32 0x80, v6
	s_cbranch_execz .LBB277_869
; %bb.864:                              ;   in Loop: Header=BB277_813 Depth=1
	v_bfe_u32 v22, v37, 16, 7
	v_mov_b32_e32 v18, 0x7c01
	s_mov_b32 s15, exec_lo
	s_delay_alu instid0(VALU_DEP_2)
	v_cmpx_ne_u32_e32 0x7f, v22
	s_cbranch_execz .LBB277_868
; %bb.865:                              ;   in Loop: Header=BB277_813 Depth=1
	v_dual_lshrrev_b32 v18, 3, v22 :: v_dual_bitop2_b32 v6, 7, v0 bitop3:0x40
	s_mov_b32 s16, exec_lo
	v_cmpx_gt_u32_e32 8, v22
; %bb.866:                              ;   in Loop: Header=BB277_813 Depth=1
	s_delay_alu instid0(VALU_DEP_2) | instskip(NEXT) | instid1(VALU_DEP_1)
	v_clz_i32_u32_e32 v6, v6
	v_min_u32_e32 v6, 32, v6
	s_delay_alu instid0(VALU_DEP_1) | instskip(NEXT) | instid1(VALU_DEP_1)
	v_subrev_nc_u32_e32 v18, 28, v6
	v_lshlrev_b64_e32 v[22:23], v18, v[0:1]
	v_sub_nc_u32_e32 v18, 29, v6
	s_delay_alu instid0(VALU_DEP_2)
	v_and_b32_e32 v6, 7, v22
; %bb.867:                              ;   in Loop: Header=BB277_813 Depth=1
	s_or_b32 exec_lo, exec_lo, s16
	s_delay_alu instid0(VALU_DEP_1) | instskip(NEXT) | instid1(VALU_DEP_3)
	v_dual_lshlrev_b32 v0, 8, v0 :: v_dual_lshlrev_b32 v6, 7, v6
	v_lshl_add_u32 v18, v18, 10, 0x2000
	s_delay_alu instid0(VALU_DEP_2) | instskip(NEXT) | instid1(VALU_DEP_2)
	v_and_b32_e32 v0, 0x8000, v0
	v_and_b32_e32 v18, 0xfc00, v18
	s_delay_alu instid0(VALU_DEP_1)
	v_or3_b32 v18, v0, v18, v6
.LBB277_868:                            ;   in Loop: Header=BB277_813 Depth=1
	s_or_b32 exec_lo, exec_lo, s15
.LBB277_869:                            ;   in Loop: Header=BB277_813 Depth=1
	s_delay_alu instid0(SALU_CYCLE_1)
	s_or_b32 exec_lo, exec_lo, s14
.LBB277_870:                            ;   in Loop: Header=BB277_813 Depth=1
	s_delay_alu instid0(SALU_CYCLE_1)
	s_or_b32 exec_lo, exec_lo, s0
	v_mov_b32_e32 v0, 0
	s_mov_b32 s0, exec_lo
	v_cmpx_lt_u64_e64 s[2:3], v[36:37]
	s_cbranch_execz .LBB277_878
; %bb.871:                              ;   in Loop: Header=BB277_813 Depth=1
	v_lshrrev_b32_e32 v6, 24, v37
	v_bfrev_b32_e32 v0, 1
	s_mov_b32 s14, exec_lo
	s_delay_alu instid0(VALU_DEP_2)
	v_cmpx_ne_u32_e32 0x80, v6
	s_cbranch_execz .LBB277_877
; %bb.872:                              ;   in Loop: Header=BB277_813 Depth=1
	v_and_b32_e32 v23, 0x7f, v6
	v_mov_b32_e32 v0, 0x7c010000
	s_mov_b32 s15, exec_lo
	s_delay_alu instid0(VALU_DEP_2)
	v_cmpx_ne_u32_e32 0x7f, v23
	s_cbranch_execz .LBB277_876
; %bb.873:                              ;   in Loop: Header=BB277_813 Depth=1
	v_dual_lshrrev_b32 v22, 3, v23 :: v_dual_bitop2_b32 v0, 7, v6 bitop3:0x40
	s_mov_b32 s16, exec_lo
	v_cmpx_gt_u32_e32 8, v23
; %bb.874:                              ;   in Loop: Header=BB277_813 Depth=1
	s_delay_alu instid0(VALU_DEP_2) | instskip(NEXT) | instid1(VALU_DEP_1)
	v_clz_i32_u32_e32 v0, v0
	v_min_u32_e32 v0, 32, v0
	s_delay_alu instid0(VALU_DEP_1) | instskip(NEXT) | instid1(VALU_DEP_1)
	v_subrev_nc_u32_e32 v22, 28, v0
	v_lshlrev_b64_e32 v[36:37], v22, v[6:7]
	v_sub_nc_u32_e32 v22, 29, v0
	s_delay_alu instid0(VALU_DEP_2)
	v_and_b32_e32 v0, 7, v36
; %bb.875:                              ;   in Loop: Header=BB277_813 Depth=1
	s_or_b32 exec_lo, exec_lo, s16
	s_delay_alu instid0(VALU_DEP_1) | instskip(NEXT) | instid1(VALU_DEP_3)
	v_dual_lshlrev_b32 v6, 8, v6 :: v_dual_lshlrev_b32 v0, 23, v0
	v_lshl_add_u32 v22, v22, 10, 0x2000
	s_delay_alu instid0(VALU_DEP_1) | instskip(NEXT) | instid1(VALU_DEP_1)
	v_and_or_b32 v6, 0x8000, v6, v22
	v_lshl_or_b32 v0, v6, 16, v0
.LBB277_876:                            ;   in Loop: Header=BB277_813 Depth=1
	s_or_b32 exec_lo, exec_lo, s15
.LBB277_877:                            ;   in Loop: Header=BB277_813 Depth=1
	s_delay_alu instid0(SALU_CYCLE_1)
	s_or_b32 exec_lo, exec_lo, s14
.LBB277_878:                            ;   in Loop: Header=BB277_813 Depth=1
	s_delay_alu instid0(SALU_CYCLE_1) | instskip(SKIP_3) | instid1(VALU_DEP_3)
	s_or_b32 exec_lo, exec_lo, s0
	v_dual_lshrrev_b32 v6, 16, v1 :: v_dual_bitop2_b32 v1, v1, v8 bitop3:0x54
	v_dual_lshrrev_b32 v22, 16, v9 :: v_dual_bitop2_b32 v16, v9, v16 bitop3:0x54
	v_cmp_eq_u32_e32 vcc_lo, v53, v54
	v_cvt_f32_f16_e32 v9, v6
	v_dual_lshrrev_b32 v18, 16, v19 :: v_dual_bitop2_b32 v6, v0, v18 bitop3:0x54
	s_delay_alu instid0(VALU_DEP_4)
	v_cvt_f32_f16_e32 v8, v22
	v_dual_lshrrev_b32 v22, 16, v0 :: v_dual_bitop2_b32 v19, v19, v17 bitop3:0x54
	v_cvt_f32_f16_e32 v0, v16
	v_cvt_f32_f16_e32 v1, v1
	s_wait_loadcnt_dscnt 0x0
	v_pk_mul_f32 v[8:9], v[34:35], v[8:9] op_sel_hi:[0,1]
	v_cvt_f32_f16_e32 v17, v18
	v_cvt_f32_f16_e32 v16, v22
	;; [unrolled: 1-line block ×4, first 2 shown]
	v_pk_mul_f32 v[0:1], v[34:35], v[0:1] op_sel_hi:[0,1]
	v_cvt_pk_f16_f32 v6, v8, v9
	v_pk_mul_f32 v[8:9], v[34:35], v[16:17] op_sel_hi:[0,1]
	s_delay_alu instid0(VALU_DEP_4) | instskip(NEXT) | instid1(VALU_DEP_4)
	v_pk_mul_f32 v[16:17], v[34:35], v[18:19] op_sel_hi:[0,1]
	v_cvt_pk_f16_f32 v0, v0, v1
	s_delay_alu instid0(VALU_DEP_4) | instskip(NEXT) | instid1(VALU_DEP_4)
	v_and_b32_e32 v37, 0xffff0000, v6
	v_cvt_pk_f16_f32 v8, v8, v9
	v_lshlrev_b32_e32 v38, 16, v6
	v_cvt_pk_f16_f32 v6, v16, v17
	v_dual_add_nc_u32 v65, v55, v42 :: v_dual_lshrrev_b32 v39, 16, v0
	v_and_b32_e32 v48, 0xffff, v0
	v_and_b32_e32 v1, 0xffff0000, v8
	s_delay_alu instid0(VALU_DEP_4) | instskip(NEXT) | instid1(VALU_DEP_4)
	v_dual_lshlrev_b32 v0, 16, v8 :: v_dual_lshrrev_b32 v35, 16, v6
	v_or_b32_e32 v19, v37, v39
	v_and_b32_e32 v36, 0xffff, v6
	v_dual_add_nc_u32 v80, 2, v65 :: v_dual_bitop2_b32 v34, v38, v48 bitop3:0x54
	s_delay_alu instid0(VALU_DEP_4) | instskip(SKIP_1) | instid1(VALU_DEP_4)
	v_or_b32_e32 v9, v1, v35
	v_or_b32_e32 v71, 1, v65
	;; [unrolled: 1-line block ×8, first 2 shown]
	s_and_saveexec_b32 s14, vcc_lo
	s_cbranch_execz .LBB277_880
; %bb.879:                              ;   in Loop: Header=BB277_813 Depth=1
	v_cmp_lt_i32_e64 s0, v65, v13
	s_delay_alu instid0(VALU_DEP_1) | instskip(SKIP_1) | instid1(VALU_DEP_1)
	v_cndmask_b32_e64 v6, 0, v39, s0
	v_cmp_lt_i32_e64 s0, v80, v12
	v_cndmask_b32_e64 v8, 0, v48, s0
	v_cmp_lt_i32_e64 s0, v71, v13
	s_delay_alu instid0(VALU_DEP_1) | instskip(SKIP_1) | instid1(VALU_DEP_1)
	v_cndmask_b32_e64 v9, 0, v37, s0
	v_cmp_lt_i32_e64 s0, v70, v12
	v_cndmask_b32_e64 v16, 0, v38, s0
	v_cmp_lt_i32_e64 s0, v69, v13
	s_delay_alu instid0(VALU_DEP_4) | instskip(NEXT) | instid1(VALU_DEP_2)
	v_or_b32_e32 v19, v6, v9
	v_dual_cndmask_b32 v17, 0, v35, s0 :: v_dual_bitop2_b32 v34, v8, v16 bitop3:0x54
	v_cmp_lt_i32_e64 s0, v68, v12
	s_delay_alu instid0(VALU_DEP_1) | instskip(SKIP_1) | instid1(VALU_DEP_1)
	v_cndmask_b32_e64 v18, 0, v36, s0
	v_cmp_lt_i32_e64 s0, v67, v13
	v_cndmask_b32_e64 v1, 0, v1, s0
	v_cmp_lt_i32_e64 s0, v66, v12
	s_delay_alu instid0(VALU_DEP_1) | instskip(NEXT) | instid1(VALU_DEP_1)
	v_dual_cndmask_b32 v0, 0, v0, s0 :: v_dual_bitop2_b32 v9, v17, v1 bitop3:0x54
	v_or_b32_e32 v6, v18, v0
.LBB277_880:                            ;   in Loop: Header=BB277_813 Depth=1
	s_or_b32 exec_lo, exec_lo, s14
	v_and_b32_e32 v0, 0xffff, v83
	v_and_b32_e32 v1, 0xffff, v85
	;; [unrolled: 1-line block ×4, first 2 shown]
	s_mov_b32 s14, exec_lo
	v_lshl_or_b32 v85, v81, 16, v0
	;;#ASMSTART
	v_pk_mul_f16 v0, v85, v19;

	;;#ASMEND
	v_lshl_or_b32 v83, v82, 16, v1
	v_lshl_or_b32 v82, v84, 16, v8
	;; [unrolled: 1-line block ×3, first 2 shown]
	;;#ASMSTART
	v_pk_mul_f16 v1, v83, v34;

	;;#ASMEND
	;;#ASMSTART
	v_pk_mul_f16 v8, v82, v9;

	;;#ASMEND
	;; [unrolled: 4-line block ×3, first 2 shown]
	;;#ASMSTART
	v_pk_add_f16 v0, v0, v1;

	;;#ASMEND
	;;#ASMSTART
	v_pk_add_f16 v0, v0, v8;

	;;#ASMEND
	;; [unrolled: 4-line block ×3, first 2 shown]
	v_and_b32_e32 v1, 0xffff, v0
	v_lshrrev_b32_e32 v0, 16, v0
	;;#ASMSTART
	v_cvt_f32_f16 v84, v1;
	;;#ASMEND
	;;#ASMSTART
	v_cvt_f32_f16 v86, v0;
	;;#ASMEND
	flat_load_b64 v[36:37], v[28:29] offset:256
	scratch_load_b64 v[0:1], off, s32 offset:192 ; 8-byte Folded Reload
	v_mov_b32_e32 v8, 0
	s_wait_loadcnt 0x0
	flat_load_b32 v34, v[0:1]
	s_wait_dscnt 0x1
	s_wait_xcnt 0x0
	v_and_b32_e32 v0, 0xff, v36
	v_mov_b32_e32 v1, 0
	s_delay_alu instid0(VALU_DEP_2)
	v_cmpx_ne_u16_e32 0, v0
	s_cbranch_execz .LBB277_888
; %bb.881:                              ;   in Loop: Header=BB277_813 Depth=1
	v_mov_b32_e32 v8, 0x8000
	s_mov_b32 s15, exec_lo
	v_cmpx_ne_u16_e32 0x80, v0
	s_cbranch_execz .LBB277_887
; %bb.882:                              ;   in Loop: Header=BB277_813 Depth=1
	v_and_b32_e32 v9, 0x7f, v36
	v_mov_b32_e32 v8, 0x7c01
	s_mov_b32 s16, exec_lo
	s_delay_alu instid0(VALU_DEP_2)
	v_cmpx_ne_u32_e32 0x7f, v9
	s_cbranch_execz .LBB277_886
; %bb.883:                              ;   in Loop: Header=BB277_813 Depth=1
	v_dual_lshrrev_b32 v6, 3, v9 :: v_dual_bitop2_b32 v0, 7, v36 bitop3:0x40
	s_mov_b32 s17, exec_lo
	v_cmpx_gt_u32_e32 8, v9
; %bb.884:                              ;   in Loop: Header=BB277_813 Depth=1
	s_delay_alu instid0(VALU_DEP_2) | instskip(NEXT) | instid1(VALU_DEP_1)
	v_clz_i32_u32_e32 v0, v0
	v_min_u32_e32 v0, 32, v0
	s_delay_alu instid0(VALU_DEP_1) | instskip(NEXT) | instid1(VALU_DEP_1)
	v_subrev_nc_u32_e32 v6, 28, v0
	v_lshlrev_b64_e32 v[8:9], v6, v[36:37]
	v_sub_nc_u32_e32 v6, 29, v0
	s_delay_alu instid0(VALU_DEP_2)
	v_and_b32_e32 v0, 7, v8
; %bb.885:                              ;   in Loop: Header=BB277_813 Depth=1
	s_or_b32 exec_lo, exec_lo, s17
	v_lshlrev_b32_e32 v8, 8, v36
	s_delay_alu instid0(VALU_DEP_3) | instskip(NEXT) | instid1(VALU_DEP_3)
	v_lshl_add_u32 v6, v6, 10, 0x2000
	v_lshlrev_b32_e32 v0, 7, v0
	s_delay_alu instid0(VALU_DEP_3) | instskip(NEXT) | instid1(VALU_DEP_3)
	v_and_b32_e32 v8, 0x8000, v8
	v_and_b32_e32 v6, 0xfc00, v6
	s_delay_alu instid0(VALU_DEP_1)
	v_or3_b32 v8, v8, v6, v0
.LBB277_886:                            ;   in Loop: Header=BB277_813 Depth=1
	s_or_b32 exec_lo, exec_lo, s16
.LBB277_887:                            ;   in Loop: Header=BB277_813 Depth=1
	s_delay_alu instid0(SALU_CYCLE_1)
	s_or_b32 exec_lo, exec_lo, s15
.LBB277_888:                            ;   in Loop: Header=BB277_813 Depth=1
	s_delay_alu instid0(SALU_CYCLE_1) | instskip(SKIP_2) | instid1(VALU_DEP_1)
	s_or_b32 exec_lo, exec_lo, s14
	v_lshrrev_b16 v6, 8, v36
	s_mov_b32 s14, exec_lo
	v_cmpx_ne_u16_e32 0, v6
	s_cbranch_execz .LBB277_896
; %bb.889:                              ;   in Loop: Header=BB277_813 Depth=1
	v_bfrev_b32_e32 v1, 1
	s_mov_b32 s15, exec_lo
	v_cmpx_ne_u16_e32 0x80, v6
	s_cbranch_execz .LBB277_895
; %bb.890:                              ;   in Loop: Header=BB277_813 Depth=1
	v_and_b32_e32 v0, 0xffff, v6
	v_mov_b32_e32 v1, 0x7c010000
	s_mov_b32 s16, exec_lo
	s_delay_alu instid0(VALU_DEP_2) | instskip(NEXT) | instid1(VALU_DEP_1)
	v_and_b32_e32 v16, 0x7f, v0
	v_cmpx_ne_u32_e32 0x7f, v16
	s_cbranch_execz .LBB277_894
; %bb.891:                              ;   in Loop: Header=BB277_813 Depth=1
	v_and_b32_e32 v1, 7, v0
	v_lshrrev_b32_e32 v9, 3, v16
	s_mov_b32 s17, exec_lo
	v_cmpx_gt_u32_e32 8, v16
; %bb.892:                              ;   in Loop: Header=BB277_813 Depth=1
	s_delay_alu instid0(VALU_DEP_3) | instskip(NEXT) | instid1(VALU_DEP_1)
	v_clz_i32_u32_e32 v1, v1
	v_min_u32_e32 v1, 32, v1
	s_delay_alu instid0(VALU_DEP_1) | instskip(NEXT) | instid1(VALU_DEP_1)
	v_subrev_nc_u32_e32 v9, 28, v1
	v_lshlrev_b64_e32 v[16:17], v9, v[6:7]
	s_delay_alu instid0(VALU_DEP_1)
	v_dual_sub_nc_u32 v9, 29, v1 :: v_dual_bitop2_b32 v1, 7, v16 bitop3:0x40
; %bb.893:                              ;   in Loop: Header=BB277_813 Depth=1
	s_or_b32 exec_lo, exec_lo, s17
	s_delay_alu instid0(VALU_DEP_1) | instskip(NEXT) | instid1(VALU_DEP_2)
	v_dual_lshlrev_b32 v0, 8, v0 :: v_dual_lshlrev_b32 v1, 23, v1
	v_lshl_add_u32 v6, v9, 10, 0x2000
	s_delay_alu instid0(VALU_DEP_1) | instskip(NEXT) | instid1(VALU_DEP_1)
	v_and_or_b32 v0, 0x8000, v0, v6
	v_lshl_or_b32 v1, v0, 16, v1
.LBB277_894:                            ;   in Loop: Header=BB277_813 Depth=1
	s_or_b32 exec_lo, exec_lo, s16
.LBB277_895:                            ;   in Loop: Header=BB277_813 Depth=1
	s_delay_alu instid0(SALU_CYCLE_1)
	s_or_b32 exec_lo, exec_lo, s15
.LBB277_896:                            ;   in Loop: Header=BB277_813 Depth=1
	s_delay_alu instid0(SALU_CYCLE_1) | instskip(SKIP_3) | instid1(VALU_DEP_2)
	s_or_b32 exec_lo, exec_lo, s14
	v_dual_mov_b32 v9, 0 :: v_dual_lshrrev_b32 v0, 16, v36
	v_mov_b32_e32 v16, 0
	s_mov_b32 s14, exec_lo
	v_and_b32_e32 v6, 0xff, v0
	s_delay_alu instid0(VALU_DEP_1)
	v_cmpx_ne_u16_e32 0, v6
	s_cbranch_execz .LBB277_904
; %bb.897:                              ;   in Loop: Header=BB277_813 Depth=1
	v_mov_b32_e32 v16, 0x8000
	s_mov_b32 s15, exec_lo
	v_cmpx_ne_u16_e32 0x80, v6
	s_cbranch_execz .LBB277_903
; %bb.898:                              ;   in Loop: Header=BB277_813 Depth=1
	v_bfe_u32 v17, v36, 16, 7
	v_mov_b32_e32 v16, 0x7c01
	s_mov_b32 s16, exec_lo
	s_delay_alu instid0(VALU_DEP_2)
	v_cmpx_ne_u32_e32 0x7f, v17
	s_cbranch_execz .LBB277_902
; %bb.899:                              ;   in Loop: Header=BB277_813 Depth=1
	v_dual_lshrrev_b32 v16, 3, v17 :: v_dual_bitop2_b32 v6, 7, v0 bitop3:0x40
	s_mov_b32 s17, exec_lo
	v_cmpx_gt_u32_e32 8, v17
; %bb.900:                              ;   in Loop: Header=BB277_813 Depth=1
	s_delay_alu instid0(VALU_DEP_2) | instskip(NEXT) | instid1(VALU_DEP_1)
	v_clz_i32_u32_e32 v6, v6
	v_min_u32_e32 v6, 32, v6
	s_delay_alu instid0(VALU_DEP_1) | instskip(NEXT) | instid1(VALU_DEP_1)
	v_subrev_nc_u32_e32 v16, 28, v6
	v_lshlrev_b64_e32 v[18:19], v16, v[0:1]
	v_sub_nc_u32_e32 v16, 29, v6
	s_delay_alu instid0(VALU_DEP_2)
	v_and_b32_e32 v6, 7, v18
; %bb.901:                              ;   in Loop: Header=BB277_813 Depth=1
	s_or_b32 exec_lo, exec_lo, s17
	s_delay_alu instid0(VALU_DEP_1) | instskip(NEXT) | instid1(VALU_DEP_3)
	v_dual_lshlrev_b32 v0, 8, v0 :: v_dual_lshlrev_b32 v6, 7, v6
	v_lshl_add_u32 v16, v16, 10, 0x2000
	s_delay_alu instid0(VALU_DEP_2) | instskip(NEXT) | instid1(VALU_DEP_2)
	v_and_b32_e32 v0, 0x8000, v0
	v_and_b32_e32 v16, 0xfc00, v16
	s_delay_alu instid0(VALU_DEP_1)
	v_or3_b32 v16, v0, v16, v6
.LBB277_902:                            ;   in Loop: Header=BB277_813 Depth=1
	s_or_b32 exec_lo, exec_lo, s16
.LBB277_903:                            ;   in Loop: Header=BB277_813 Depth=1
	s_delay_alu instid0(SALU_CYCLE_1)
	s_or_b32 exec_lo, exec_lo, s15
.LBB277_904:                            ;   in Loop: Header=BB277_813 Depth=1
	s_delay_alu instid0(SALU_CYCLE_1) | instskip(NEXT) | instid1(SALU_CYCLE_1)
	s_or_b32 exec_lo, exec_lo, s14
	s_mov_b32 s14, exec_lo
	v_cmpx_lt_u32_e32 0xffffff, v36
	s_cbranch_execz .LBB277_912
; %bb.905:                              ;   in Loop: Header=BB277_813 Depth=1
	v_lshrrev_b32_e32 v6, 24, v36
	v_bfrev_b32_e32 v9, 1
	s_mov_b32 s15, exec_lo
	s_delay_alu instid0(VALU_DEP_2)
	v_cmpx_ne_u32_e32 0x80, v6
	s_cbranch_execz .LBB277_911
; %bb.906:                              ;   in Loop: Header=BB277_813 Depth=1
	v_and_b32_e32 v17, 0x7f, v6
	v_mov_b32_e32 v9, 0x7c010000
	s_mov_b32 s16, exec_lo
	s_delay_alu instid0(VALU_DEP_2)
	v_cmpx_ne_u32_e32 0x7f, v17
	s_cbranch_execz .LBB277_910
; %bb.907:                              ;   in Loop: Header=BB277_813 Depth=1
	v_dual_lshrrev_b32 v9, 3, v17 :: v_dual_bitop2_b32 v0, 7, v6 bitop3:0x40
	s_mov_b32 s17, exec_lo
	v_cmpx_gt_u32_e32 8, v17
; %bb.908:                              ;   in Loop: Header=BB277_813 Depth=1
	s_delay_alu instid0(VALU_DEP_2) | instskip(NEXT) | instid1(VALU_DEP_1)
	v_clz_i32_u32_e32 v0, v0
	v_min_u32_e32 v0, 32, v0
	s_delay_alu instid0(VALU_DEP_1) | instskip(NEXT) | instid1(VALU_DEP_1)
	v_subrev_nc_u32_e32 v9, 28, v0
	v_lshlrev_b64_e32 v[18:19], v9, v[6:7]
	s_delay_alu instid0(VALU_DEP_1)
	v_dual_sub_nc_u32 v9, 29, v0 :: v_dual_bitop2_b32 v0, 7, v18 bitop3:0x40
; %bb.909:                              ;   in Loop: Header=BB277_813 Depth=1
	s_or_b32 exec_lo, exec_lo, s17
	s_delay_alu instid0(VALU_DEP_1) | instskip(NEXT) | instid1(VALU_DEP_2)
	v_dual_lshlrev_b32 v6, 8, v6 :: v_dual_lshlrev_b32 v0, 23, v0
	v_lshl_add_u32 v9, v9, 10, 0x2000
	s_delay_alu instid0(VALU_DEP_1) | instskip(NEXT) | instid1(VALU_DEP_1)
	v_and_or_b32 v6, 0x8000, v6, v9
	v_lshl_or_b32 v9, v6, 16, v0
.LBB277_910:                            ;   in Loop: Header=BB277_813 Depth=1
	s_or_b32 exec_lo, exec_lo, s16
.LBB277_911:                            ;   in Loop: Header=BB277_813 Depth=1
	s_delay_alu instid0(SALU_CYCLE_1)
	s_or_b32 exec_lo, exec_lo, s15
.LBB277_912:                            ;   in Loop: Header=BB277_813 Depth=1
	s_delay_alu instid0(SALU_CYCLE_1) | instskip(SKIP_4) | instid1(VALU_DEP_3)
	s_or_b32 exec_lo, exec_lo, s14
	v_and_b32_e32 v0, 0xff, v37
	v_dual_mov_b32 v6, v37 :: v_dual_mov_b32 v18, 0
	v_mov_b32_e32 v17, 0
	s_mov_b32 s14, exec_lo
	v_cmpx_ne_u16_e32 0, v0
	s_cbranch_execz .LBB277_920
; %bb.913:                              ;   in Loop: Header=BB277_813 Depth=1
	v_mov_b32_e32 v17, 0x8000
	s_mov_b32 s15, exec_lo
	v_cmpx_ne_u16_e32 0x80, v0
	s_cbranch_execz .LBB277_919
; %bb.914:                              ;   in Loop: Header=BB277_813 Depth=1
	v_and_b32_e32 v19, 0x7f, v37
	v_mov_b32_e32 v17, 0x7c01
	s_mov_b32 s16, exec_lo
	s_delay_alu instid0(VALU_DEP_2)
	v_cmpx_ne_u32_e32 0x7f, v19
	s_cbranch_execz .LBB277_918
; %bb.915:                              ;   in Loop: Header=BB277_813 Depth=1
	v_dual_lshrrev_b32 v17, 3, v19 :: v_dual_bitop2_b32 v0, 7, v37 bitop3:0x40
	s_mov_b32 s17, exec_lo
	v_cmpx_gt_u32_e32 8, v19
; %bb.916:                              ;   in Loop: Header=BB277_813 Depth=1
	s_delay_alu instid0(VALU_DEP_2) | instskip(NEXT) | instid1(VALU_DEP_1)
	v_clz_i32_u32_e32 v0, v0
	v_min_u32_e32 v0, 32, v0
	s_delay_alu instid0(VALU_DEP_1) | instskip(NEXT) | instid1(VALU_DEP_1)
	v_subrev_nc_u32_e32 v17, 28, v0
	v_lshlrev_b64_e32 v[22:23], v17, v[6:7]
	s_delay_alu instid0(VALU_DEP_1)
	v_dual_sub_nc_u32 v17, 29, v0 :: v_dual_bitop2_b32 v0, 7, v22 bitop3:0x40
; %bb.917:                              ;   in Loop: Header=BB277_813 Depth=1
	s_or_b32 exec_lo, exec_lo, s17
	s_delay_alu instid0(VALU_DEP_1) | instskip(NEXT) | instid1(VALU_DEP_2)
	v_dual_lshlrev_b32 v19, 8, v37 :: v_dual_lshlrev_b32 v0, 7, v0
	v_lshl_add_u32 v17, v17, 10, 0x2000
	s_delay_alu instid0(VALU_DEP_2) | instskip(NEXT) | instid1(VALU_DEP_2)
	v_and_b32_e32 v19, 0x8000, v19
	v_and_b32_e32 v17, 0xfc00, v17
	s_delay_alu instid0(VALU_DEP_1)
	v_or3_b32 v17, v19, v17, v0
.LBB277_918:                            ;   in Loop: Header=BB277_813 Depth=1
	s_or_b32 exec_lo, exec_lo, s16
.LBB277_919:                            ;   in Loop: Header=BB277_813 Depth=1
	s_delay_alu instid0(SALU_CYCLE_1)
	s_or_b32 exec_lo, exec_lo, s15
.LBB277_920:                            ;   in Loop: Header=BB277_813 Depth=1
	s_delay_alu instid0(SALU_CYCLE_1) | instskip(SKIP_3) | instid1(VALU_DEP_2)
	s_or_b32 exec_lo, exec_lo, s14
	v_lshrrev_b16 v6, 8, v6
	v_mov_b32_e32 v19, 0
	s_mov_b32 s14, exec_lo
	v_cmpx_ne_u16_e32 0, v6
	s_cbranch_execz .LBB277_928
; %bb.921:                              ;   in Loop: Header=BB277_813 Depth=1
	v_bfrev_b32_e32 v19, 1
	s_mov_b32 s15, exec_lo
	v_cmpx_ne_u16_e32 0x80, v6
	s_cbranch_execz .LBB277_927
; %bb.922:                              ;   in Loop: Header=BB277_813 Depth=1
	v_and_b32_e32 v0, 0xffff, v6
	v_mov_b32_e32 v19, 0x7c010000
	s_mov_b32 s16, exec_lo
	s_delay_alu instid0(VALU_DEP_2) | instskip(NEXT) | instid1(VALU_DEP_1)
	v_and_b32_e32 v23, 0x7f, v0
	v_cmpx_ne_u32_e32 0x7f, v23
	s_cbranch_execz .LBB277_926
; %bb.923:                              ;   in Loop: Header=BB277_813 Depth=1
	v_dual_lshrrev_b32 v22, 3, v23 :: v_dual_bitop2_b32 v19, 7, v0 bitop3:0x40
	s_mov_b32 s17, exec_lo
	v_cmpx_gt_u32_e32 8, v23
; %bb.924:                              ;   in Loop: Header=BB277_813 Depth=1
	s_delay_alu instid0(VALU_DEP_2) | instskip(NEXT) | instid1(VALU_DEP_1)
	v_clz_i32_u32_e32 v19, v19
	v_min_u32_e32 v19, 32, v19
	s_delay_alu instid0(VALU_DEP_1) | instskip(NEXT) | instid1(VALU_DEP_1)
	v_subrev_nc_u32_e32 v22, 28, v19
	v_lshlrev_b64_e32 v[38:39], v22, v[6:7]
	s_delay_alu instid0(VALU_DEP_1)
	v_dual_sub_nc_u32 v22, 29, v19 :: v_dual_bitop2_b32 v19, 7, v38 bitop3:0x40
; %bb.925:                              ;   in Loop: Header=BB277_813 Depth=1
	s_or_b32 exec_lo, exec_lo, s17
	v_lshlrev_b32_e32 v0, 8, v0
	s_delay_alu instid0(VALU_DEP_2) | instskip(NEXT) | instid1(VALU_DEP_1)
	v_lshl_add_u32 v6, v22, 10, 0x2000
	v_and_or_b32 v0, 0x8000, v0, v6
	v_lshlrev_b32_e32 v6, 23, v19
	s_delay_alu instid0(VALU_DEP_1)
	v_lshl_or_b32 v19, v0, 16, v6
.LBB277_926:                            ;   in Loop: Header=BB277_813 Depth=1
	s_or_b32 exec_lo, exec_lo, s16
.LBB277_927:                            ;   in Loop: Header=BB277_813 Depth=1
	s_delay_alu instid0(SALU_CYCLE_1)
	s_or_b32 exec_lo, exec_lo, s15
.LBB277_928:                            ;   in Loop: Header=BB277_813 Depth=1
	s_delay_alu instid0(SALU_CYCLE_1) | instskip(SKIP_2) | instid1(VALU_DEP_1)
	s_or_b32 exec_lo, exec_lo, s14
	v_lshrrev_b32_e32 v0, 16, v37
	s_mov_b32 s14, exec_lo
	v_and_b32_e32 v6, 0xff, v0
	s_delay_alu instid0(VALU_DEP_1)
	v_cmpx_ne_u16_e32 0, v6
	s_cbranch_execz .LBB277_936
; %bb.929:                              ;   in Loop: Header=BB277_813 Depth=1
	v_mov_b32_e32 v18, 0x8000
	s_mov_b32 s15, exec_lo
	v_cmpx_ne_u16_e32 0x80, v6
	s_cbranch_execz .LBB277_935
; %bb.930:                              ;   in Loop: Header=BB277_813 Depth=1
	v_bfe_u32 v22, v37, 16, 7
	v_mov_b32_e32 v18, 0x7c01
	s_mov_b32 s16, exec_lo
	s_delay_alu instid0(VALU_DEP_2)
	v_cmpx_ne_u32_e32 0x7f, v22
	s_cbranch_execz .LBB277_934
; %bb.931:                              ;   in Loop: Header=BB277_813 Depth=1
	v_dual_lshrrev_b32 v18, 3, v22 :: v_dual_bitop2_b32 v6, 7, v0 bitop3:0x40
	s_mov_b32 s17, exec_lo
	v_cmpx_gt_u32_e32 8, v22
; %bb.932:                              ;   in Loop: Header=BB277_813 Depth=1
	s_delay_alu instid0(VALU_DEP_2) | instskip(NEXT) | instid1(VALU_DEP_1)
	v_clz_i32_u32_e32 v6, v6
	v_min_u32_e32 v6, 32, v6
	s_delay_alu instid0(VALU_DEP_1) | instskip(NEXT) | instid1(VALU_DEP_1)
	v_subrev_nc_u32_e32 v18, 28, v6
	v_lshlrev_b64_e32 v[22:23], v18, v[0:1]
	v_sub_nc_u32_e32 v18, 29, v6
	s_delay_alu instid0(VALU_DEP_2)
	v_and_b32_e32 v6, 7, v22
; %bb.933:                              ;   in Loop: Header=BB277_813 Depth=1
	s_or_b32 exec_lo, exec_lo, s17
	s_delay_alu instid0(VALU_DEP_1) | instskip(NEXT) | instid1(VALU_DEP_3)
	v_dual_lshlrev_b32 v0, 8, v0 :: v_dual_lshlrev_b32 v6, 7, v6
	v_lshl_add_u32 v18, v18, 10, 0x2000
	s_delay_alu instid0(VALU_DEP_2) | instskip(NEXT) | instid1(VALU_DEP_2)
	v_and_b32_e32 v0, 0x8000, v0
	v_and_b32_e32 v18, 0xfc00, v18
	s_delay_alu instid0(VALU_DEP_1)
	v_or3_b32 v18, v0, v18, v6
.LBB277_934:                            ;   in Loop: Header=BB277_813 Depth=1
	s_or_b32 exec_lo, exec_lo, s16
.LBB277_935:                            ;   in Loop: Header=BB277_813 Depth=1
	s_delay_alu instid0(SALU_CYCLE_1)
	s_or_b32 exec_lo, exec_lo, s15
.LBB277_936:                            ;   in Loop: Header=BB277_813 Depth=1
	s_delay_alu instid0(SALU_CYCLE_1)
	s_or_b32 exec_lo, exec_lo, s14
	v_mov_b32_e32 v0, 0
	s_mov_b32 s14, exec_lo
	v_cmpx_lt_u64_e64 s[2:3], v[36:37]
	s_cbranch_execz .LBB277_944
; %bb.937:                              ;   in Loop: Header=BB277_813 Depth=1
	v_lshrrev_b32_e32 v6, 24, v37
	v_bfrev_b32_e32 v0, 1
	s_mov_b32 s15, exec_lo
	s_delay_alu instid0(VALU_DEP_2)
	v_cmpx_ne_u32_e32 0x80, v6
	s_cbranch_execz .LBB277_943
; %bb.938:                              ;   in Loop: Header=BB277_813 Depth=1
	v_and_b32_e32 v23, 0x7f, v6
	v_mov_b32_e32 v0, 0x7c010000
	s_mov_b32 s16, exec_lo
	s_delay_alu instid0(VALU_DEP_2)
	v_cmpx_ne_u32_e32 0x7f, v23
	s_cbranch_execz .LBB277_942
; %bb.939:                              ;   in Loop: Header=BB277_813 Depth=1
	v_dual_lshrrev_b32 v22, 3, v23 :: v_dual_bitop2_b32 v0, 7, v6 bitop3:0x40
	s_mov_b32 s17, exec_lo
	v_cmpx_gt_u32_e32 8, v23
; %bb.940:                              ;   in Loop: Header=BB277_813 Depth=1
	s_delay_alu instid0(VALU_DEP_2) | instskip(NEXT) | instid1(VALU_DEP_1)
	v_clz_i32_u32_e32 v0, v0
	v_min_u32_e32 v0, 32, v0
	s_delay_alu instid0(VALU_DEP_1) | instskip(NEXT) | instid1(VALU_DEP_1)
	v_subrev_nc_u32_e32 v22, 28, v0
	v_lshlrev_b64_e32 v[36:37], v22, v[6:7]
	v_sub_nc_u32_e32 v22, 29, v0
	s_delay_alu instid0(VALU_DEP_2)
	v_and_b32_e32 v0, 7, v36
; %bb.941:                              ;   in Loop: Header=BB277_813 Depth=1
	s_or_b32 exec_lo, exec_lo, s17
	s_delay_alu instid0(VALU_DEP_1) | instskip(NEXT) | instid1(VALU_DEP_3)
	v_dual_lshlrev_b32 v6, 8, v6 :: v_dual_lshlrev_b32 v0, 23, v0
	v_lshl_add_u32 v22, v22, 10, 0x2000
	s_delay_alu instid0(VALU_DEP_1) | instskip(NEXT) | instid1(VALU_DEP_1)
	v_and_or_b32 v6, 0x8000, v6, v22
	v_lshl_or_b32 v0, v6, 16, v0
.LBB277_942:                            ;   in Loop: Header=BB277_813 Depth=1
	s_or_b32 exec_lo, exec_lo, s16
.LBB277_943:                            ;   in Loop: Header=BB277_813 Depth=1
	s_delay_alu instid0(SALU_CYCLE_1)
	s_or_b32 exec_lo, exec_lo, s15
.LBB277_944:                            ;   in Loop: Header=BB277_813 Depth=1
	s_delay_alu instid0(SALU_CYCLE_1) | instskip(SKIP_2) | instid1(VALU_DEP_2)
	s_or_b32 exec_lo, exec_lo, s14
	v_dual_lshrrev_b32 v6, 16, v1 :: v_dual_bitop2_b32 v1, v1, v8 bitop3:0x54
	v_dual_lshrrev_b32 v22, 16, v9 :: v_dual_bitop2_b32 v16, v9, v16 bitop3:0x54
	v_cvt_f32_f16_e32 v9, v6
	v_dual_lshrrev_b32 v18, 16, v19 :: v_dual_bitop2_b32 v6, v0, v18 bitop3:0x54
	s_delay_alu instid0(VALU_DEP_3)
	v_cvt_f32_f16_e32 v8, v22
	v_dual_lshrrev_b32 v22, 16, v0 :: v_dual_bitop2_b32 v19, v19, v17 bitop3:0x54
	v_cvt_f32_f16_e32 v0, v16
	v_cvt_f32_f16_e32 v1, v1
	s_wait_loadcnt_dscnt 0x0
	v_pk_mul_f32 v[8:9], v[34:35], v[8:9] op_sel_hi:[0,1]
	v_cvt_f32_f16_e32 v17, v18
	v_cvt_f32_f16_e32 v16, v22
	;; [unrolled: 1-line block ×4, first 2 shown]
	v_pk_mul_f32 v[0:1], v[34:35], v[0:1] op_sel_hi:[0,1]
	v_cvt_pk_f16_f32 v6, v8, v9
	v_pk_mul_f32 v[8:9], v[34:35], v[16:17] op_sel_hi:[0,1]
	s_delay_alu instid0(VALU_DEP_4) | instskip(NEXT) | instid1(VALU_DEP_4)
	v_pk_mul_f32 v[16:17], v[34:35], v[18:19] op_sel_hi:[0,1]
	v_cvt_pk_f16_f32 v0, v0, v1
	s_delay_alu instid0(VALU_DEP_4) | instskip(NEXT) | instid1(VALU_DEP_4)
	v_and_b32_e32 v19, 0xffff0000, v6
	v_cvt_pk_f16_f32 v8, v8, v9
	v_lshlrev_b32_e32 v34, 16, v6
	v_cvt_pk_f16_f32 v6, v16, v17
	v_lshrrev_b32_e32 v39, 16, v0
	v_and_b32_e32 v48, 0xffff, v0
	v_and_b32_e32 v1, 0xffff0000, v8
	s_delay_alu instid0(VALU_DEP_4) | instskip(SKIP_3) | instid1(VALU_DEP_4)
	v_dual_lshlrev_b32 v0, 16, v8 :: v_dual_lshrrev_b32 v9, 16, v6
	v_and_b32_e32 v6, 0xffff, v6
	v_or_b32_e32 v37, v19, v39
	v_or_b32_e32 v38, v34, v48
	;; [unrolled: 1-line block ×3, first 2 shown]
	s_delay_alu instid0(VALU_DEP_4)
	v_or_b32_e32 v36, v0, v6
	s_and_saveexec_b32 s14, vcc_lo
	s_cbranch_execz .LBB277_946
; %bb.945:                              ;   in Loop: Header=BB277_813 Depth=1
	v_cmp_lt_i32_e64 s0, v65, v13
	s_delay_alu instid0(VALU_DEP_1) | instskip(SKIP_1) | instid1(VALU_DEP_1)
	v_cndmask_b32_e64 v8, 0, v39, s0
	v_cmp_lt_i32_e64 s0, v80, v12
	v_cndmask_b32_e64 v16, 0, v48, s0
	v_cmp_lt_i32_e64 s0, v71, v13
	s_delay_alu instid0(VALU_DEP_1) | instskip(SKIP_1) | instid1(VALU_DEP_1)
	v_cndmask_b32_e64 v17, 0, v19, s0
	v_cmp_lt_i32_e64 s0, v70, v12
	v_cndmask_b32_e64 v18, 0, v34, s0
	v_cmp_lt_i32_e64 s0, v69, v13
	s_delay_alu instid0(VALU_DEP_4) | instskip(NEXT) | instid1(VALU_DEP_2)
	v_or_b32_e32 v37, v8, v17
	v_dual_cndmask_b32 v9, 0, v9, s0 :: v_dual_bitop2_b32 v38, v16, v18 bitop3:0x54
	v_cmp_lt_i32_e64 s0, v68, v12
	s_delay_alu instid0(VALU_DEP_1) | instskip(SKIP_1) | instid1(VALU_DEP_1)
	v_cndmask_b32_e64 v6, 0, v6, s0
	v_cmp_lt_i32_e64 s0, v67, v13
	v_cndmask_b32_e64 v1, 0, v1, s0
	v_cmp_lt_i32_e64 s0, v66, v12
	s_delay_alu instid0(VALU_DEP_1) | instskip(NEXT) | instid1(VALU_DEP_1)
	v_dual_cndmask_b32 v0, 0, v0, s0 :: v_dual_bitop2_b32 v35, v9, v1 bitop3:0x54
	v_or_b32_e32 v36, v6, v0
.LBB277_946:                            ;   in Loop: Header=BB277_813 Depth=1
	s_or_b32 exec_lo, exec_lo, s14
	;;#ASMSTART
	v_pk_mul_f16 v0, v85, v37;

	;;#ASMEND
	;;#ASMSTART
	v_pk_mul_f16 v1, v83, v38;

	;;#ASMEND
	;; [unrolled: 4-line block ×4, first 2 shown]
	;;#ASMSTART
	v_pk_add_f16 v0, v0, v1;

	;;#ASMEND
	;;#ASMSTART
	v_pk_add_f16 v0, v0, v6;

	;;#ASMEND
	;; [unrolled: 4-line block ×3, first 2 shown]
	v_and_b32_e32 v1, 0xffff, v0
	v_lshrrev_b32_e32 v0, 16, v0
	;;#ASMSTART
	v_cvt_f32_f16 v87, v1;
	;;#ASMEND
	;;#ASMSTART
	v_cvt_f32_f16 v96, v0;
	;;#ASMEND
	flat_load_b64 v[36:37], v[28:29] offset:512
	scratch_load_b64 v[0:1], off, s32 offset:192 ; 8-byte Folded Reload
	v_mov_b32_e32 v8, 0
	s_mov_b32 s14, exec_lo
	s_wait_loadcnt 0x0
	flat_load_b32 v34, v[0:1]
	s_wait_dscnt 0x1
	s_wait_xcnt 0x0
	v_and_b32_e32 v0, 0xff, v36
	v_mov_b32_e32 v1, 0
	s_delay_alu instid0(VALU_DEP_2)
	v_cmpx_ne_u16_e32 0, v0
	s_cbranch_execz .LBB277_954
; %bb.947:                              ;   in Loop: Header=BB277_813 Depth=1
	v_mov_b32_e32 v8, 0x8000
	s_mov_b32 s15, exec_lo
	v_cmpx_ne_u16_e32 0x80, v0
	s_cbranch_execz .LBB277_953
; %bb.948:                              ;   in Loop: Header=BB277_813 Depth=1
	v_and_b32_e32 v9, 0x7f, v36
	v_mov_b32_e32 v8, 0x7c01
	s_mov_b32 s16, exec_lo
	s_delay_alu instid0(VALU_DEP_2)
	v_cmpx_ne_u32_e32 0x7f, v9
	s_cbranch_execz .LBB277_952
; %bb.949:                              ;   in Loop: Header=BB277_813 Depth=1
	v_dual_lshrrev_b32 v6, 3, v9 :: v_dual_bitop2_b32 v0, 7, v36 bitop3:0x40
	s_mov_b32 s17, exec_lo
	v_cmpx_gt_u32_e32 8, v9
; %bb.950:                              ;   in Loop: Header=BB277_813 Depth=1
	s_delay_alu instid0(VALU_DEP_2) | instskip(NEXT) | instid1(VALU_DEP_1)
	v_clz_i32_u32_e32 v0, v0
	v_min_u32_e32 v0, 32, v0
	s_delay_alu instid0(VALU_DEP_1) | instskip(NEXT) | instid1(VALU_DEP_1)
	v_subrev_nc_u32_e32 v6, 28, v0
	v_lshlrev_b64_e32 v[8:9], v6, v[36:37]
	v_sub_nc_u32_e32 v6, 29, v0
	s_delay_alu instid0(VALU_DEP_2)
	v_and_b32_e32 v0, 7, v8
; %bb.951:                              ;   in Loop: Header=BB277_813 Depth=1
	s_or_b32 exec_lo, exec_lo, s17
	v_lshlrev_b32_e32 v8, 8, v36
	s_delay_alu instid0(VALU_DEP_3) | instskip(NEXT) | instid1(VALU_DEP_3)
	v_lshl_add_u32 v6, v6, 10, 0x2000
	v_lshlrev_b32_e32 v0, 7, v0
	s_delay_alu instid0(VALU_DEP_3) | instskip(NEXT) | instid1(VALU_DEP_3)
	v_and_b32_e32 v8, 0x8000, v8
	v_and_b32_e32 v6, 0xfc00, v6
	s_delay_alu instid0(VALU_DEP_1)
	v_or3_b32 v8, v8, v6, v0
.LBB277_952:                            ;   in Loop: Header=BB277_813 Depth=1
	s_or_b32 exec_lo, exec_lo, s16
.LBB277_953:                            ;   in Loop: Header=BB277_813 Depth=1
	s_delay_alu instid0(SALU_CYCLE_1)
	s_or_b32 exec_lo, exec_lo, s15
.LBB277_954:                            ;   in Loop: Header=BB277_813 Depth=1
	s_delay_alu instid0(SALU_CYCLE_1) | instskip(SKIP_2) | instid1(VALU_DEP_1)
	s_or_b32 exec_lo, exec_lo, s14
	v_lshrrev_b16 v6, 8, v36
	s_mov_b32 s14, exec_lo
	v_cmpx_ne_u16_e32 0, v6
	s_cbranch_execz .LBB277_962
; %bb.955:                              ;   in Loop: Header=BB277_813 Depth=1
	v_bfrev_b32_e32 v1, 1
	s_mov_b32 s15, exec_lo
	v_cmpx_ne_u16_e32 0x80, v6
	s_cbranch_execz .LBB277_961
; %bb.956:                              ;   in Loop: Header=BB277_813 Depth=1
	v_and_b32_e32 v0, 0xffff, v6
	v_mov_b32_e32 v1, 0x7c010000
	s_mov_b32 s16, exec_lo
	s_delay_alu instid0(VALU_DEP_2) | instskip(NEXT) | instid1(VALU_DEP_1)
	v_and_b32_e32 v16, 0x7f, v0
	v_cmpx_ne_u32_e32 0x7f, v16
	s_cbranch_execz .LBB277_960
; %bb.957:                              ;   in Loop: Header=BB277_813 Depth=1
	v_and_b32_e32 v1, 7, v0
	v_lshrrev_b32_e32 v9, 3, v16
	s_mov_b32 s17, exec_lo
	v_cmpx_gt_u32_e32 8, v16
; %bb.958:                              ;   in Loop: Header=BB277_813 Depth=1
	s_delay_alu instid0(VALU_DEP_3) | instskip(NEXT) | instid1(VALU_DEP_1)
	v_clz_i32_u32_e32 v1, v1
	v_min_u32_e32 v1, 32, v1
	s_delay_alu instid0(VALU_DEP_1) | instskip(NEXT) | instid1(VALU_DEP_1)
	v_subrev_nc_u32_e32 v9, 28, v1
	v_lshlrev_b64_e32 v[16:17], v9, v[6:7]
	s_delay_alu instid0(VALU_DEP_1)
	v_dual_sub_nc_u32 v9, 29, v1 :: v_dual_bitop2_b32 v1, 7, v16 bitop3:0x40
; %bb.959:                              ;   in Loop: Header=BB277_813 Depth=1
	s_or_b32 exec_lo, exec_lo, s17
	s_delay_alu instid0(VALU_DEP_1) | instskip(NEXT) | instid1(VALU_DEP_2)
	v_dual_lshlrev_b32 v0, 8, v0 :: v_dual_lshlrev_b32 v1, 23, v1
	v_lshl_add_u32 v6, v9, 10, 0x2000
	s_delay_alu instid0(VALU_DEP_1) | instskip(NEXT) | instid1(VALU_DEP_1)
	v_and_or_b32 v0, 0x8000, v0, v6
	v_lshl_or_b32 v1, v0, 16, v1
.LBB277_960:                            ;   in Loop: Header=BB277_813 Depth=1
	s_or_b32 exec_lo, exec_lo, s16
.LBB277_961:                            ;   in Loop: Header=BB277_813 Depth=1
	s_delay_alu instid0(SALU_CYCLE_1)
	s_or_b32 exec_lo, exec_lo, s15
.LBB277_962:                            ;   in Loop: Header=BB277_813 Depth=1
	s_delay_alu instid0(SALU_CYCLE_1) | instskip(SKIP_3) | instid1(VALU_DEP_2)
	s_or_b32 exec_lo, exec_lo, s14
	v_dual_mov_b32 v9, 0 :: v_dual_lshrrev_b32 v0, 16, v36
	v_mov_b32_e32 v16, 0
	s_mov_b32 s14, exec_lo
	v_and_b32_e32 v6, 0xff, v0
	s_delay_alu instid0(VALU_DEP_1)
	v_cmpx_ne_u16_e32 0, v6
	s_cbranch_execz .LBB277_970
; %bb.963:                              ;   in Loop: Header=BB277_813 Depth=1
	v_mov_b32_e32 v16, 0x8000
	s_mov_b32 s15, exec_lo
	v_cmpx_ne_u16_e32 0x80, v6
	s_cbranch_execz .LBB277_969
; %bb.964:                              ;   in Loop: Header=BB277_813 Depth=1
	v_bfe_u32 v17, v36, 16, 7
	v_mov_b32_e32 v16, 0x7c01
	s_mov_b32 s16, exec_lo
	s_delay_alu instid0(VALU_DEP_2)
	v_cmpx_ne_u32_e32 0x7f, v17
	s_cbranch_execz .LBB277_968
; %bb.965:                              ;   in Loop: Header=BB277_813 Depth=1
	v_dual_lshrrev_b32 v16, 3, v17 :: v_dual_bitop2_b32 v6, 7, v0 bitop3:0x40
	s_mov_b32 s17, exec_lo
	v_cmpx_gt_u32_e32 8, v17
; %bb.966:                              ;   in Loop: Header=BB277_813 Depth=1
	s_delay_alu instid0(VALU_DEP_2) | instskip(NEXT) | instid1(VALU_DEP_1)
	v_clz_i32_u32_e32 v6, v6
	v_min_u32_e32 v6, 32, v6
	s_delay_alu instid0(VALU_DEP_1) | instskip(NEXT) | instid1(VALU_DEP_1)
	v_subrev_nc_u32_e32 v16, 28, v6
	v_lshlrev_b64_e32 v[18:19], v16, v[0:1]
	v_sub_nc_u32_e32 v16, 29, v6
	s_delay_alu instid0(VALU_DEP_2)
	v_and_b32_e32 v6, 7, v18
; %bb.967:                              ;   in Loop: Header=BB277_813 Depth=1
	s_or_b32 exec_lo, exec_lo, s17
	s_delay_alu instid0(VALU_DEP_1) | instskip(NEXT) | instid1(VALU_DEP_3)
	v_dual_lshlrev_b32 v0, 8, v0 :: v_dual_lshlrev_b32 v6, 7, v6
	v_lshl_add_u32 v16, v16, 10, 0x2000
	s_delay_alu instid0(VALU_DEP_2) | instskip(NEXT) | instid1(VALU_DEP_2)
	v_and_b32_e32 v0, 0x8000, v0
	v_and_b32_e32 v16, 0xfc00, v16
	s_delay_alu instid0(VALU_DEP_1)
	v_or3_b32 v16, v0, v16, v6
.LBB277_968:                            ;   in Loop: Header=BB277_813 Depth=1
	s_or_b32 exec_lo, exec_lo, s16
.LBB277_969:                            ;   in Loop: Header=BB277_813 Depth=1
	s_delay_alu instid0(SALU_CYCLE_1)
	s_or_b32 exec_lo, exec_lo, s15
.LBB277_970:                            ;   in Loop: Header=BB277_813 Depth=1
	s_delay_alu instid0(SALU_CYCLE_1) | instskip(NEXT) | instid1(SALU_CYCLE_1)
	s_or_b32 exec_lo, exec_lo, s14
	s_mov_b32 s14, exec_lo
	v_cmpx_lt_u32_e32 0xffffff, v36
	s_cbranch_execz .LBB277_978
; %bb.971:                              ;   in Loop: Header=BB277_813 Depth=1
	v_lshrrev_b32_e32 v6, 24, v36
	v_bfrev_b32_e32 v9, 1
	s_mov_b32 s15, exec_lo
	s_delay_alu instid0(VALU_DEP_2)
	v_cmpx_ne_u32_e32 0x80, v6
	s_cbranch_execz .LBB277_977
; %bb.972:                              ;   in Loop: Header=BB277_813 Depth=1
	v_and_b32_e32 v17, 0x7f, v6
	v_mov_b32_e32 v9, 0x7c010000
	s_mov_b32 s16, exec_lo
	s_delay_alu instid0(VALU_DEP_2)
	v_cmpx_ne_u32_e32 0x7f, v17
	s_cbranch_execz .LBB277_976
; %bb.973:                              ;   in Loop: Header=BB277_813 Depth=1
	v_dual_lshrrev_b32 v9, 3, v17 :: v_dual_bitop2_b32 v0, 7, v6 bitop3:0x40
	s_mov_b32 s17, exec_lo
	v_cmpx_gt_u32_e32 8, v17
; %bb.974:                              ;   in Loop: Header=BB277_813 Depth=1
	s_delay_alu instid0(VALU_DEP_2) | instskip(NEXT) | instid1(VALU_DEP_1)
	v_clz_i32_u32_e32 v0, v0
	v_min_u32_e32 v0, 32, v0
	s_delay_alu instid0(VALU_DEP_1) | instskip(NEXT) | instid1(VALU_DEP_1)
	v_subrev_nc_u32_e32 v9, 28, v0
	v_lshlrev_b64_e32 v[18:19], v9, v[6:7]
	s_delay_alu instid0(VALU_DEP_1)
	v_dual_sub_nc_u32 v9, 29, v0 :: v_dual_bitop2_b32 v0, 7, v18 bitop3:0x40
; %bb.975:                              ;   in Loop: Header=BB277_813 Depth=1
	s_or_b32 exec_lo, exec_lo, s17
	s_delay_alu instid0(VALU_DEP_1) | instskip(NEXT) | instid1(VALU_DEP_2)
	v_dual_lshlrev_b32 v6, 8, v6 :: v_dual_lshlrev_b32 v0, 23, v0
	v_lshl_add_u32 v9, v9, 10, 0x2000
	s_delay_alu instid0(VALU_DEP_1) | instskip(NEXT) | instid1(VALU_DEP_1)
	v_and_or_b32 v6, 0x8000, v6, v9
	v_lshl_or_b32 v9, v6, 16, v0
.LBB277_976:                            ;   in Loop: Header=BB277_813 Depth=1
	s_or_b32 exec_lo, exec_lo, s16
.LBB277_977:                            ;   in Loop: Header=BB277_813 Depth=1
	s_delay_alu instid0(SALU_CYCLE_1)
	s_or_b32 exec_lo, exec_lo, s15
.LBB277_978:                            ;   in Loop: Header=BB277_813 Depth=1
	s_delay_alu instid0(SALU_CYCLE_1) | instskip(SKIP_4) | instid1(VALU_DEP_3)
	s_or_b32 exec_lo, exec_lo, s14
	v_and_b32_e32 v0, 0xff, v37
	v_dual_mov_b32 v6, v37 :: v_dual_mov_b32 v18, 0
	v_mov_b32_e32 v17, 0
	s_mov_b32 s14, exec_lo
	v_cmpx_ne_u16_e32 0, v0
	s_cbranch_execz .LBB277_986
; %bb.979:                              ;   in Loop: Header=BB277_813 Depth=1
	v_mov_b32_e32 v17, 0x8000
	s_mov_b32 s15, exec_lo
	v_cmpx_ne_u16_e32 0x80, v0
	s_cbranch_execz .LBB277_985
; %bb.980:                              ;   in Loop: Header=BB277_813 Depth=1
	v_and_b32_e32 v19, 0x7f, v37
	v_mov_b32_e32 v17, 0x7c01
	s_mov_b32 s16, exec_lo
	s_delay_alu instid0(VALU_DEP_2)
	v_cmpx_ne_u32_e32 0x7f, v19
	s_cbranch_execz .LBB277_984
; %bb.981:                              ;   in Loop: Header=BB277_813 Depth=1
	v_dual_lshrrev_b32 v17, 3, v19 :: v_dual_bitop2_b32 v0, 7, v37 bitop3:0x40
	s_mov_b32 s17, exec_lo
	v_cmpx_gt_u32_e32 8, v19
; %bb.982:                              ;   in Loop: Header=BB277_813 Depth=1
	s_delay_alu instid0(VALU_DEP_2) | instskip(NEXT) | instid1(VALU_DEP_1)
	v_clz_i32_u32_e32 v0, v0
	v_min_u32_e32 v0, 32, v0
	s_delay_alu instid0(VALU_DEP_1) | instskip(NEXT) | instid1(VALU_DEP_1)
	v_subrev_nc_u32_e32 v17, 28, v0
	v_lshlrev_b64_e32 v[22:23], v17, v[6:7]
	s_delay_alu instid0(VALU_DEP_1)
	v_dual_sub_nc_u32 v17, 29, v0 :: v_dual_bitop2_b32 v0, 7, v22 bitop3:0x40
; %bb.983:                              ;   in Loop: Header=BB277_813 Depth=1
	s_or_b32 exec_lo, exec_lo, s17
	s_delay_alu instid0(VALU_DEP_1) | instskip(NEXT) | instid1(VALU_DEP_2)
	v_dual_lshlrev_b32 v19, 8, v37 :: v_dual_lshlrev_b32 v0, 7, v0
	v_lshl_add_u32 v17, v17, 10, 0x2000
	s_delay_alu instid0(VALU_DEP_2) | instskip(NEXT) | instid1(VALU_DEP_2)
	v_and_b32_e32 v19, 0x8000, v19
	v_and_b32_e32 v17, 0xfc00, v17
	s_delay_alu instid0(VALU_DEP_1)
	v_or3_b32 v17, v19, v17, v0
.LBB277_984:                            ;   in Loop: Header=BB277_813 Depth=1
	s_or_b32 exec_lo, exec_lo, s16
.LBB277_985:                            ;   in Loop: Header=BB277_813 Depth=1
	s_delay_alu instid0(SALU_CYCLE_1)
	s_or_b32 exec_lo, exec_lo, s15
.LBB277_986:                            ;   in Loop: Header=BB277_813 Depth=1
	s_delay_alu instid0(SALU_CYCLE_1) | instskip(SKIP_3) | instid1(VALU_DEP_2)
	s_or_b32 exec_lo, exec_lo, s14
	v_lshrrev_b16 v6, 8, v6
	v_mov_b32_e32 v19, 0
	s_mov_b32 s14, exec_lo
	v_cmpx_ne_u16_e32 0, v6
	s_cbranch_execz .LBB277_994
; %bb.987:                              ;   in Loop: Header=BB277_813 Depth=1
	v_bfrev_b32_e32 v19, 1
	s_mov_b32 s15, exec_lo
	v_cmpx_ne_u16_e32 0x80, v6
	s_cbranch_execz .LBB277_993
; %bb.988:                              ;   in Loop: Header=BB277_813 Depth=1
	v_and_b32_e32 v0, 0xffff, v6
	v_mov_b32_e32 v19, 0x7c010000
	s_mov_b32 s16, exec_lo
	s_delay_alu instid0(VALU_DEP_2) | instskip(NEXT) | instid1(VALU_DEP_1)
	v_and_b32_e32 v23, 0x7f, v0
	v_cmpx_ne_u32_e32 0x7f, v23
	s_cbranch_execz .LBB277_992
; %bb.989:                              ;   in Loop: Header=BB277_813 Depth=1
	v_dual_lshrrev_b32 v22, 3, v23 :: v_dual_bitop2_b32 v19, 7, v0 bitop3:0x40
	s_mov_b32 s17, exec_lo
	v_cmpx_gt_u32_e32 8, v23
; %bb.990:                              ;   in Loop: Header=BB277_813 Depth=1
	s_delay_alu instid0(VALU_DEP_2) | instskip(NEXT) | instid1(VALU_DEP_1)
	v_clz_i32_u32_e32 v19, v19
	v_min_u32_e32 v19, 32, v19
	s_delay_alu instid0(VALU_DEP_1) | instskip(NEXT) | instid1(VALU_DEP_1)
	v_subrev_nc_u32_e32 v22, 28, v19
	v_lshlrev_b64_e32 v[38:39], v22, v[6:7]
	s_delay_alu instid0(VALU_DEP_1)
	v_dual_sub_nc_u32 v22, 29, v19 :: v_dual_bitop2_b32 v19, 7, v38 bitop3:0x40
; %bb.991:                              ;   in Loop: Header=BB277_813 Depth=1
	s_or_b32 exec_lo, exec_lo, s17
	v_lshlrev_b32_e32 v0, 8, v0
	s_delay_alu instid0(VALU_DEP_2) | instskip(NEXT) | instid1(VALU_DEP_1)
	v_lshl_add_u32 v6, v22, 10, 0x2000
	v_and_or_b32 v0, 0x8000, v0, v6
	v_lshlrev_b32_e32 v6, 23, v19
	s_delay_alu instid0(VALU_DEP_1)
	v_lshl_or_b32 v19, v0, 16, v6
.LBB277_992:                            ;   in Loop: Header=BB277_813 Depth=1
	s_or_b32 exec_lo, exec_lo, s16
.LBB277_993:                            ;   in Loop: Header=BB277_813 Depth=1
	s_delay_alu instid0(SALU_CYCLE_1)
	s_or_b32 exec_lo, exec_lo, s15
.LBB277_994:                            ;   in Loop: Header=BB277_813 Depth=1
	s_delay_alu instid0(SALU_CYCLE_1) | instskip(SKIP_2) | instid1(VALU_DEP_1)
	s_or_b32 exec_lo, exec_lo, s14
	v_lshrrev_b32_e32 v0, 16, v37
	s_mov_b32 s14, exec_lo
	v_and_b32_e32 v6, 0xff, v0
	s_delay_alu instid0(VALU_DEP_1)
	v_cmpx_ne_u16_e32 0, v6
	s_cbranch_execz .LBB277_1002
; %bb.995:                              ;   in Loop: Header=BB277_813 Depth=1
	v_mov_b32_e32 v18, 0x8000
	s_mov_b32 s15, exec_lo
	v_cmpx_ne_u16_e32 0x80, v6
	s_cbranch_execz .LBB277_1001
; %bb.996:                              ;   in Loop: Header=BB277_813 Depth=1
	v_bfe_u32 v22, v37, 16, 7
	v_mov_b32_e32 v18, 0x7c01
	s_mov_b32 s16, exec_lo
	s_delay_alu instid0(VALU_DEP_2)
	v_cmpx_ne_u32_e32 0x7f, v22
	s_cbranch_execz .LBB277_1000
; %bb.997:                              ;   in Loop: Header=BB277_813 Depth=1
	v_dual_lshrrev_b32 v18, 3, v22 :: v_dual_bitop2_b32 v6, 7, v0 bitop3:0x40
	s_mov_b32 s17, exec_lo
	v_cmpx_gt_u32_e32 8, v22
; %bb.998:                              ;   in Loop: Header=BB277_813 Depth=1
	s_delay_alu instid0(VALU_DEP_2) | instskip(NEXT) | instid1(VALU_DEP_1)
	v_clz_i32_u32_e32 v6, v6
	v_min_u32_e32 v6, 32, v6
	s_delay_alu instid0(VALU_DEP_1) | instskip(NEXT) | instid1(VALU_DEP_1)
	v_subrev_nc_u32_e32 v18, 28, v6
	v_lshlrev_b64_e32 v[22:23], v18, v[0:1]
	v_sub_nc_u32_e32 v18, 29, v6
	s_delay_alu instid0(VALU_DEP_2)
	v_and_b32_e32 v6, 7, v22
; %bb.999:                              ;   in Loop: Header=BB277_813 Depth=1
	s_or_b32 exec_lo, exec_lo, s17
	s_delay_alu instid0(VALU_DEP_1) | instskip(NEXT) | instid1(VALU_DEP_3)
	v_dual_lshlrev_b32 v0, 8, v0 :: v_dual_lshlrev_b32 v6, 7, v6
	v_lshl_add_u32 v18, v18, 10, 0x2000
	s_delay_alu instid0(VALU_DEP_2) | instskip(NEXT) | instid1(VALU_DEP_2)
	v_and_b32_e32 v0, 0x8000, v0
	v_and_b32_e32 v18, 0xfc00, v18
	s_delay_alu instid0(VALU_DEP_1)
	v_or3_b32 v18, v0, v18, v6
.LBB277_1000:                           ;   in Loop: Header=BB277_813 Depth=1
	s_or_b32 exec_lo, exec_lo, s16
.LBB277_1001:                           ;   in Loop: Header=BB277_813 Depth=1
	s_delay_alu instid0(SALU_CYCLE_1)
	s_or_b32 exec_lo, exec_lo, s15
.LBB277_1002:                           ;   in Loop: Header=BB277_813 Depth=1
	s_delay_alu instid0(SALU_CYCLE_1)
	s_or_b32 exec_lo, exec_lo, s14
	v_mov_b32_e32 v0, 0
	s_mov_b32 s14, exec_lo
	v_cmpx_lt_u64_e64 s[2:3], v[36:37]
	s_cbranch_execz .LBB277_1010
; %bb.1003:                             ;   in Loop: Header=BB277_813 Depth=1
	v_lshrrev_b32_e32 v6, 24, v37
	v_bfrev_b32_e32 v0, 1
	s_mov_b32 s15, exec_lo
	s_delay_alu instid0(VALU_DEP_2)
	v_cmpx_ne_u32_e32 0x80, v6
	s_cbranch_execz .LBB277_1009
; %bb.1004:                             ;   in Loop: Header=BB277_813 Depth=1
	v_and_b32_e32 v23, 0x7f, v6
	v_mov_b32_e32 v0, 0x7c010000
	s_mov_b32 s16, exec_lo
	s_delay_alu instid0(VALU_DEP_2)
	v_cmpx_ne_u32_e32 0x7f, v23
	s_cbranch_execz .LBB277_1008
; %bb.1005:                             ;   in Loop: Header=BB277_813 Depth=1
	v_dual_lshrrev_b32 v22, 3, v23 :: v_dual_bitop2_b32 v0, 7, v6 bitop3:0x40
	s_mov_b32 s17, exec_lo
	v_cmpx_gt_u32_e32 8, v23
; %bb.1006:                             ;   in Loop: Header=BB277_813 Depth=1
	s_delay_alu instid0(VALU_DEP_2) | instskip(NEXT) | instid1(VALU_DEP_1)
	v_clz_i32_u32_e32 v0, v0
	v_min_u32_e32 v0, 32, v0
	s_delay_alu instid0(VALU_DEP_1) | instskip(NEXT) | instid1(VALU_DEP_1)
	v_subrev_nc_u32_e32 v22, 28, v0
	v_lshlrev_b64_e32 v[36:37], v22, v[6:7]
	v_sub_nc_u32_e32 v22, 29, v0
	s_delay_alu instid0(VALU_DEP_2)
	v_and_b32_e32 v0, 7, v36
; %bb.1007:                             ;   in Loop: Header=BB277_813 Depth=1
	s_or_b32 exec_lo, exec_lo, s17
	s_delay_alu instid0(VALU_DEP_1) | instskip(NEXT) | instid1(VALU_DEP_3)
	v_dual_lshlrev_b32 v6, 8, v6 :: v_dual_lshlrev_b32 v0, 23, v0
	v_lshl_add_u32 v22, v22, 10, 0x2000
	s_delay_alu instid0(VALU_DEP_1) | instskip(NEXT) | instid1(VALU_DEP_1)
	v_and_or_b32 v6, 0x8000, v6, v22
	v_lshl_or_b32 v0, v6, 16, v0
.LBB277_1008:                           ;   in Loop: Header=BB277_813 Depth=1
	s_or_b32 exec_lo, exec_lo, s16
.LBB277_1009:                           ;   in Loop: Header=BB277_813 Depth=1
	s_delay_alu instid0(SALU_CYCLE_1)
	s_or_b32 exec_lo, exec_lo, s15
.LBB277_1010:                           ;   in Loop: Header=BB277_813 Depth=1
	s_delay_alu instid0(SALU_CYCLE_1) | instskip(SKIP_2) | instid1(VALU_DEP_2)
	s_or_b32 exec_lo, exec_lo, s14
	v_dual_lshrrev_b32 v6, 16, v1 :: v_dual_bitop2_b32 v1, v1, v8 bitop3:0x54
	v_dual_lshrrev_b32 v22, 16, v9 :: v_dual_bitop2_b32 v16, v9, v16 bitop3:0x54
	v_cvt_f32_f16_e32 v9, v6
	v_dual_lshrrev_b32 v18, 16, v19 :: v_dual_bitop2_b32 v6, v0, v18 bitop3:0x54
	s_delay_alu instid0(VALU_DEP_3)
	v_cvt_f32_f16_e32 v8, v22
	v_dual_lshrrev_b32 v22, 16, v0 :: v_dual_bitop2_b32 v19, v19, v17 bitop3:0x54
	v_cvt_f32_f16_e32 v0, v16
	v_cvt_f32_f16_e32 v1, v1
	s_wait_loadcnt_dscnt 0x0
	v_pk_mul_f32 v[8:9], v[34:35], v[8:9] op_sel_hi:[0,1]
	v_cvt_f32_f16_e32 v17, v18
	v_cvt_f32_f16_e32 v16, v22
	;; [unrolled: 1-line block ×4, first 2 shown]
	v_pk_mul_f32 v[0:1], v[34:35], v[0:1] op_sel_hi:[0,1]
	v_cvt_pk_f16_f32 v6, v8, v9
	v_pk_mul_f32 v[8:9], v[34:35], v[16:17] op_sel_hi:[0,1]
	s_delay_alu instid0(VALU_DEP_4) | instskip(NEXT) | instid1(VALU_DEP_4)
	v_pk_mul_f32 v[16:17], v[34:35], v[18:19] op_sel_hi:[0,1]
	v_cvt_pk_f16_f32 v0, v0, v1
	s_delay_alu instid0(VALU_DEP_4) | instskip(NEXT) | instid1(VALU_DEP_4)
	v_and_b32_e32 v19, 0xffff0000, v6
	v_cvt_pk_f16_f32 v8, v8, v9
	v_lshlrev_b32_e32 v34, 16, v6
	v_cvt_pk_f16_f32 v6, v16, v17
	v_lshrrev_b32_e32 v39, 16, v0
	v_and_b32_e32 v48, 0xffff, v0
	v_and_b32_e32 v1, 0xffff0000, v8
	s_delay_alu instid0(VALU_DEP_4) | instskip(SKIP_3) | instid1(VALU_DEP_4)
	v_dual_lshlrev_b32 v0, 16, v8 :: v_dual_lshrrev_b32 v9, 16, v6
	v_and_b32_e32 v6, 0xffff, v6
	v_or_b32_e32 v37, v19, v39
	v_or_b32_e32 v38, v34, v48
	;; [unrolled: 1-line block ×3, first 2 shown]
	s_delay_alu instid0(VALU_DEP_4)
	v_or_b32_e32 v36, v0, v6
	s_and_saveexec_b32 s14, vcc_lo
	s_cbranch_execz .LBB277_1012
; %bb.1011:                             ;   in Loop: Header=BB277_813 Depth=1
	v_cmp_lt_i32_e64 s0, v65, v13
	s_delay_alu instid0(VALU_DEP_1) | instskip(SKIP_1) | instid1(VALU_DEP_1)
	v_cndmask_b32_e64 v8, 0, v39, s0
	v_cmp_lt_i32_e64 s0, v80, v12
	v_cndmask_b32_e64 v16, 0, v48, s0
	v_cmp_lt_i32_e64 s0, v71, v13
	s_delay_alu instid0(VALU_DEP_1) | instskip(SKIP_1) | instid1(VALU_DEP_1)
	v_cndmask_b32_e64 v17, 0, v19, s0
	v_cmp_lt_i32_e64 s0, v70, v12
	v_cndmask_b32_e64 v18, 0, v34, s0
	v_cmp_lt_i32_e64 s0, v69, v13
	s_delay_alu instid0(VALU_DEP_4) | instskip(NEXT) | instid1(VALU_DEP_2)
	v_or_b32_e32 v37, v8, v17
	v_dual_cndmask_b32 v9, 0, v9, s0 :: v_dual_bitop2_b32 v38, v16, v18 bitop3:0x54
	v_cmp_lt_i32_e64 s0, v68, v12
	s_delay_alu instid0(VALU_DEP_1) | instskip(SKIP_1) | instid1(VALU_DEP_1)
	v_cndmask_b32_e64 v6, 0, v6, s0
	v_cmp_lt_i32_e64 s0, v67, v13
	v_cndmask_b32_e64 v1, 0, v1, s0
	v_cmp_lt_i32_e64 s0, v66, v12
	s_delay_alu instid0(VALU_DEP_1) | instskip(NEXT) | instid1(VALU_DEP_1)
	v_dual_cndmask_b32 v0, 0, v0, s0 :: v_dual_bitop2_b32 v35, v9, v1 bitop3:0x54
	v_or_b32_e32 v36, v6, v0
.LBB277_1012:                           ;   in Loop: Header=BB277_813 Depth=1
	s_or_b32 exec_lo, exec_lo, s14
	;;#ASMSTART
	v_pk_mul_f16 v0, v85, v37;

	;;#ASMEND
	;;#ASMSTART
	v_pk_mul_f16 v1, v83, v38;

	;;#ASMEND
	;; [unrolled: 4-line block ×4, first 2 shown]
	;;#ASMSTART
	v_pk_add_f16 v0, v0, v1;

	;;#ASMEND
	;;#ASMSTART
	v_pk_add_f16 v0, v0, v6;

	;;#ASMEND
	;; [unrolled: 4-line block ×3, first 2 shown]
	v_and_b32_e32 v1, 0xffff, v0
	v_lshrrev_b32_e32 v0, 16, v0
	;;#ASMSTART
	v_cvt_f32_f16 v97, v1;
	;;#ASMEND
	;;#ASMSTART
	v_cvt_f32_f16 v98, v0;
	;;#ASMEND
	flat_load_b64 v[36:37], v[28:29] offset:768
	scratch_load_b64 v[0:1], off, s32 offset:192 ; 8-byte Folded Reload
	v_mov_b32_e32 v8, 0
	s_mov_b32 s14, exec_lo
	s_wait_loadcnt 0x0
	flat_load_b32 v34, v[0:1]
	s_wait_dscnt 0x1
	s_wait_xcnt 0x0
	v_and_b32_e32 v0, 0xff, v36
	v_mov_b32_e32 v1, 0
	s_delay_alu instid0(VALU_DEP_2)
	v_cmpx_ne_u16_e32 0, v0
	s_cbranch_execz .LBB277_1020
; %bb.1013:                             ;   in Loop: Header=BB277_813 Depth=1
	v_mov_b32_e32 v8, 0x8000
	s_mov_b32 s15, exec_lo
	v_cmpx_ne_u16_e32 0x80, v0
	s_cbranch_execz .LBB277_1019
; %bb.1014:                             ;   in Loop: Header=BB277_813 Depth=1
	v_and_b32_e32 v9, 0x7f, v36
	v_mov_b32_e32 v8, 0x7c01
	s_mov_b32 s16, exec_lo
	s_delay_alu instid0(VALU_DEP_2)
	v_cmpx_ne_u32_e32 0x7f, v9
	s_cbranch_execz .LBB277_1018
; %bb.1015:                             ;   in Loop: Header=BB277_813 Depth=1
	v_dual_lshrrev_b32 v6, 3, v9 :: v_dual_bitop2_b32 v0, 7, v36 bitop3:0x40
	s_mov_b32 s17, exec_lo
	v_cmpx_gt_u32_e32 8, v9
; %bb.1016:                             ;   in Loop: Header=BB277_813 Depth=1
	s_delay_alu instid0(VALU_DEP_2) | instskip(NEXT) | instid1(VALU_DEP_1)
	v_clz_i32_u32_e32 v0, v0
	v_min_u32_e32 v0, 32, v0
	s_delay_alu instid0(VALU_DEP_1) | instskip(NEXT) | instid1(VALU_DEP_1)
	v_subrev_nc_u32_e32 v6, 28, v0
	v_lshlrev_b64_e32 v[8:9], v6, v[36:37]
	v_sub_nc_u32_e32 v6, 29, v0
	s_delay_alu instid0(VALU_DEP_2)
	v_and_b32_e32 v0, 7, v8
; %bb.1017:                             ;   in Loop: Header=BB277_813 Depth=1
	s_or_b32 exec_lo, exec_lo, s17
	v_lshlrev_b32_e32 v8, 8, v36
	s_delay_alu instid0(VALU_DEP_3) | instskip(NEXT) | instid1(VALU_DEP_3)
	v_lshl_add_u32 v6, v6, 10, 0x2000
	v_lshlrev_b32_e32 v0, 7, v0
	s_delay_alu instid0(VALU_DEP_3) | instskip(NEXT) | instid1(VALU_DEP_3)
	v_and_b32_e32 v8, 0x8000, v8
	v_and_b32_e32 v6, 0xfc00, v6
	s_delay_alu instid0(VALU_DEP_1)
	v_or3_b32 v8, v8, v6, v0
.LBB277_1018:                           ;   in Loop: Header=BB277_813 Depth=1
	s_or_b32 exec_lo, exec_lo, s16
.LBB277_1019:                           ;   in Loop: Header=BB277_813 Depth=1
	s_delay_alu instid0(SALU_CYCLE_1)
	s_or_b32 exec_lo, exec_lo, s15
.LBB277_1020:                           ;   in Loop: Header=BB277_813 Depth=1
	s_delay_alu instid0(SALU_CYCLE_1) | instskip(SKIP_2) | instid1(VALU_DEP_1)
	s_or_b32 exec_lo, exec_lo, s14
	v_lshrrev_b16 v6, 8, v36
	s_mov_b32 s14, exec_lo
	v_cmpx_ne_u16_e32 0, v6
	s_cbranch_execz .LBB277_1028
; %bb.1021:                             ;   in Loop: Header=BB277_813 Depth=1
	v_bfrev_b32_e32 v1, 1
	s_mov_b32 s15, exec_lo
	v_cmpx_ne_u16_e32 0x80, v6
	s_cbranch_execz .LBB277_1027
; %bb.1022:                             ;   in Loop: Header=BB277_813 Depth=1
	v_and_b32_e32 v0, 0xffff, v6
	v_mov_b32_e32 v1, 0x7c010000
	s_mov_b32 s16, exec_lo
	s_delay_alu instid0(VALU_DEP_2) | instskip(NEXT) | instid1(VALU_DEP_1)
	v_and_b32_e32 v16, 0x7f, v0
	v_cmpx_ne_u32_e32 0x7f, v16
	s_cbranch_execz .LBB277_1026
; %bb.1023:                             ;   in Loop: Header=BB277_813 Depth=1
	v_and_b32_e32 v1, 7, v0
	v_lshrrev_b32_e32 v9, 3, v16
	s_mov_b32 s17, exec_lo
	v_cmpx_gt_u32_e32 8, v16
; %bb.1024:                             ;   in Loop: Header=BB277_813 Depth=1
	s_delay_alu instid0(VALU_DEP_3) | instskip(NEXT) | instid1(VALU_DEP_1)
	v_clz_i32_u32_e32 v1, v1
	v_min_u32_e32 v1, 32, v1
	s_delay_alu instid0(VALU_DEP_1) | instskip(NEXT) | instid1(VALU_DEP_1)
	v_subrev_nc_u32_e32 v9, 28, v1
	v_lshlrev_b64_e32 v[16:17], v9, v[6:7]
	s_delay_alu instid0(VALU_DEP_1)
	v_dual_sub_nc_u32 v9, 29, v1 :: v_dual_bitop2_b32 v1, 7, v16 bitop3:0x40
; %bb.1025:                             ;   in Loop: Header=BB277_813 Depth=1
	s_or_b32 exec_lo, exec_lo, s17
	s_delay_alu instid0(VALU_DEP_1) | instskip(NEXT) | instid1(VALU_DEP_2)
	v_dual_lshlrev_b32 v0, 8, v0 :: v_dual_lshlrev_b32 v1, 23, v1
	v_lshl_add_u32 v6, v9, 10, 0x2000
	s_delay_alu instid0(VALU_DEP_1) | instskip(NEXT) | instid1(VALU_DEP_1)
	v_and_or_b32 v0, 0x8000, v0, v6
	v_lshl_or_b32 v1, v0, 16, v1
.LBB277_1026:                           ;   in Loop: Header=BB277_813 Depth=1
	s_or_b32 exec_lo, exec_lo, s16
.LBB277_1027:                           ;   in Loop: Header=BB277_813 Depth=1
	s_delay_alu instid0(SALU_CYCLE_1)
	s_or_b32 exec_lo, exec_lo, s15
.LBB277_1028:                           ;   in Loop: Header=BB277_813 Depth=1
	s_delay_alu instid0(SALU_CYCLE_1) | instskip(SKIP_3) | instid1(VALU_DEP_2)
	s_or_b32 exec_lo, exec_lo, s14
	v_dual_mov_b32 v9, 0 :: v_dual_lshrrev_b32 v0, 16, v36
	v_mov_b32_e32 v16, 0
	s_mov_b32 s14, exec_lo
	v_and_b32_e32 v6, 0xff, v0
	s_delay_alu instid0(VALU_DEP_1)
	v_cmpx_ne_u16_e32 0, v6
	s_cbranch_execz .LBB277_1036
; %bb.1029:                             ;   in Loop: Header=BB277_813 Depth=1
	v_mov_b32_e32 v16, 0x8000
	s_mov_b32 s15, exec_lo
	v_cmpx_ne_u16_e32 0x80, v6
	s_cbranch_execz .LBB277_1035
; %bb.1030:                             ;   in Loop: Header=BB277_813 Depth=1
	v_bfe_u32 v17, v36, 16, 7
	v_mov_b32_e32 v16, 0x7c01
	s_mov_b32 s16, exec_lo
	s_delay_alu instid0(VALU_DEP_2)
	v_cmpx_ne_u32_e32 0x7f, v17
	s_cbranch_execz .LBB277_1034
; %bb.1031:                             ;   in Loop: Header=BB277_813 Depth=1
	v_dual_lshrrev_b32 v16, 3, v17 :: v_dual_bitop2_b32 v6, 7, v0 bitop3:0x40
	s_mov_b32 s17, exec_lo
	v_cmpx_gt_u32_e32 8, v17
; %bb.1032:                             ;   in Loop: Header=BB277_813 Depth=1
	s_delay_alu instid0(VALU_DEP_2) | instskip(NEXT) | instid1(VALU_DEP_1)
	v_clz_i32_u32_e32 v6, v6
	v_min_u32_e32 v6, 32, v6
	s_delay_alu instid0(VALU_DEP_1) | instskip(NEXT) | instid1(VALU_DEP_1)
	v_subrev_nc_u32_e32 v16, 28, v6
	v_lshlrev_b64_e32 v[18:19], v16, v[0:1]
	v_sub_nc_u32_e32 v16, 29, v6
	s_delay_alu instid0(VALU_DEP_2)
	v_and_b32_e32 v6, 7, v18
; %bb.1033:                             ;   in Loop: Header=BB277_813 Depth=1
	s_or_b32 exec_lo, exec_lo, s17
	s_delay_alu instid0(VALU_DEP_1) | instskip(NEXT) | instid1(VALU_DEP_3)
	v_dual_lshlrev_b32 v0, 8, v0 :: v_dual_lshlrev_b32 v6, 7, v6
	v_lshl_add_u32 v16, v16, 10, 0x2000
	s_delay_alu instid0(VALU_DEP_2) | instskip(NEXT) | instid1(VALU_DEP_2)
	v_and_b32_e32 v0, 0x8000, v0
	v_and_b32_e32 v16, 0xfc00, v16
	s_delay_alu instid0(VALU_DEP_1)
	v_or3_b32 v16, v0, v16, v6
.LBB277_1034:                           ;   in Loop: Header=BB277_813 Depth=1
	s_or_b32 exec_lo, exec_lo, s16
.LBB277_1035:                           ;   in Loop: Header=BB277_813 Depth=1
	s_delay_alu instid0(SALU_CYCLE_1)
	s_or_b32 exec_lo, exec_lo, s15
.LBB277_1036:                           ;   in Loop: Header=BB277_813 Depth=1
	s_delay_alu instid0(SALU_CYCLE_1) | instskip(NEXT) | instid1(SALU_CYCLE_1)
	s_or_b32 exec_lo, exec_lo, s14
	s_mov_b32 s14, exec_lo
	v_cmpx_lt_u32_e32 0xffffff, v36
	s_cbranch_execz .LBB277_1044
; %bb.1037:                             ;   in Loop: Header=BB277_813 Depth=1
	v_lshrrev_b32_e32 v6, 24, v36
	v_bfrev_b32_e32 v9, 1
	s_mov_b32 s15, exec_lo
	s_delay_alu instid0(VALU_DEP_2)
	v_cmpx_ne_u32_e32 0x80, v6
	s_cbranch_execz .LBB277_1043
; %bb.1038:                             ;   in Loop: Header=BB277_813 Depth=1
	v_and_b32_e32 v17, 0x7f, v6
	v_mov_b32_e32 v9, 0x7c010000
	s_mov_b32 s16, exec_lo
	s_delay_alu instid0(VALU_DEP_2)
	v_cmpx_ne_u32_e32 0x7f, v17
	s_cbranch_execz .LBB277_1042
; %bb.1039:                             ;   in Loop: Header=BB277_813 Depth=1
	v_dual_lshrrev_b32 v9, 3, v17 :: v_dual_bitop2_b32 v0, 7, v6 bitop3:0x40
	s_mov_b32 s17, exec_lo
	v_cmpx_gt_u32_e32 8, v17
; %bb.1040:                             ;   in Loop: Header=BB277_813 Depth=1
	s_delay_alu instid0(VALU_DEP_2) | instskip(NEXT) | instid1(VALU_DEP_1)
	v_clz_i32_u32_e32 v0, v0
	v_min_u32_e32 v0, 32, v0
	s_delay_alu instid0(VALU_DEP_1) | instskip(NEXT) | instid1(VALU_DEP_1)
	v_subrev_nc_u32_e32 v9, 28, v0
	v_lshlrev_b64_e32 v[18:19], v9, v[6:7]
	s_delay_alu instid0(VALU_DEP_1)
	v_dual_sub_nc_u32 v9, 29, v0 :: v_dual_bitop2_b32 v0, 7, v18 bitop3:0x40
; %bb.1041:                             ;   in Loop: Header=BB277_813 Depth=1
	s_or_b32 exec_lo, exec_lo, s17
	s_delay_alu instid0(VALU_DEP_1) | instskip(NEXT) | instid1(VALU_DEP_2)
	v_dual_lshlrev_b32 v6, 8, v6 :: v_dual_lshlrev_b32 v0, 23, v0
	v_lshl_add_u32 v9, v9, 10, 0x2000
	s_delay_alu instid0(VALU_DEP_1) | instskip(NEXT) | instid1(VALU_DEP_1)
	v_and_or_b32 v6, 0x8000, v6, v9
	v_lshl_or_b32 v9, v6, 16, v0
.LBB277_1042:                           ;   in Loop: Header=BB277_813 Depth=1
	s_or_b32 exec_lo, exec_lo, s16
.LBB277_1043:                           ;   in Loop: Header=BB277_813 Depth=1
	s_delay_alu instid0(SALU_CYCLE_1)
	s_or_b32 exec_lo, exec_lo, s15
.LBB277_1044:                           ;   in Loop: Header=BB277_813 Depth=1
	s_delay_alu instid0(SALU_CYCLE_1) | instskip(SKIP_4) | instid1(VALU_DEP_3)
	s_or_b32 exec_lo, exec_lo, s14
	v_and_b32_e32 v0, 0xff, v37
	v_dual_mov_b32 v6, v37 :: v_dual_mov_b32 v18, 0
	v_mov_b32_e32 v17, 0
	s_mov_b32 s14, exec_lo
	v_cmpx_ne_u16_e32 0, v0
	s_cbranch_execz .LBB277_1052
; %bb.1045:                             ;   in Loop: Header=BB277_813 Depth=1
	v_mov_b32_e32 v17, 0x8000
	s_mov_b32 s15, exec_lo
	v_cmpx_ne_u16_e32 0x80, v0
	s_cbranch_execz .LBB277_1051
; %bb.1046:                             ;   in Loop: Header=BB277_813 Depth=1
	v_and_b32_e32 v19, 0x7f, v37
	v_mov_b32_e32 v17, 0x7c01
	s_mov_b32 s16, exec_lo
	s_delay_alu instid0(VALU_DEP_2)
	v_cmpx_ne_u32_e32 0x7f, v19
	s_cbranch_execz .LBB277_1050
; %bb.1047:                             ;   in Loop: Header=BB277_813 Depth=1
	v_dual_lshrrev_b32 v17, 3, v19 :: v_dual_bitop2_b32 v0, 7, v37 bitop3:0x40
	s_mov_b32 s17, exec_lo
	v_cmpx_gt_u32_e32 8, v19
; %bb.1048:                             ;   in Loop: Header=BB277_813 Depth=1
	s_delay_alu instid0(VALU_DEP_2) | instskip(NEXT) | instid1(VALU_DEP_1)
	v_clz_i32_u32_e32 v0, v0
	v_min_u32_e32 v0, 32, v0
	s_delay_alu instid0(VALU_DEP_1) | instskip(NEXT) | instid1(VALU_DEP_1)
	v_subrev_nc_u32_e32 v17, 28, v0
	v_lshlrev_b64_e32 v[22:23], v17, v[6:7]
	s_delay_alu instid0(VALU_DEP_1)
	v_dual_sub_nc_u32 v17, 29, v0 :: v_dual_bitop2_b32 v0, 7, v22 bitop3:0x40
; %bb.1049:                             ;   in Loop: Header=BB277_813 Depth=1
	s_or_b32 exec_lo, exec_lo, s17
	s_delay_alu instid0(VALU_DEP_1) | instskip(NEXT) | instid1(VALU_DEP_2)
	v_dual_lshlrev_b32 v19, 8, v37 :: v_dual_lshlrev_b32 v0, 7, v0
	v_lshl_add_u32 v17, v17, 10, 0x2000
	s_delay_alu instid0(VALU_DEP_2) | instskip(NEXT) | instid1(VALU_DEP_2)
	v_and_b32_e32 v19, 0x8000, v19
	v_and_b32_e32 v17, 0xfc00, v17
	s_delay_alu instid0(VALU_DEP_1)
	v_or3_b32 v17, v19, v17, v0
.LBB277_1050:                           ;   in Loop: Header=BB277_813 Depth=1
	s_or_b32 exec_lo, exec_lo, s16
.LBB277_1051:                           ;   in Loop: Header=BB277_813 Depth=1
	s_delay_alu instid0(SALU_CYCLE_1)
	s_or_b32 exec_lo, exec_lo, s15
.LBB277_1052:                           ;   in Loop: Header=BB277_813 Depth=1
	s_delay_alu instid0(SALU_CYCLE_1) | instskip(SKIP_3) | instid1(VALU_DEP_2)
	s_or_b32 exec_lo, exec_lo, s14
	v_lshrrev_b16 v6, 8, v6
	v_mov_b32_e32 v19, 0
	s_mov_b32 s14, exec_lo
	v_cmpx_ne_u16_e32 0, v6
	s_cbranch_execz .LBB277_1060
; %bb.1053:                             ;   in Loop: Header=BB277_813 Depth=1
	v_bfrev_b32_e32 v19, 1
	s_mov_b32 s15, exec_lo
	v_cmpx_ne_u16_e32 0x80, v6
	s_cbranch_execz .LBB277_1059
; %bb.1054:                             ;   in Loop: Header=BB277_813 Depth=1
	v_and_b32_e32 v0, 0xffff, v6
	v_mov_b32_e32 v19, 0x7c010000
	s_mov_b32 s16, exec_lo
	s_delay_alu instid0(VALU_DEP_2) | instskip(NEXT) | instid1(VALU_DEP_1)
	v_and_b32_e32 v23, 0x7f, v0
	v_cmpx_ne_u32_e32 0x7f, v23
	s_cbranch_execz .LBB277_1058
; %bb.1055:                             ;   in Loop: Header=BB277_813 Depth=1
	v_dual_lshrrev_b32 v22, 3, v23 :: v_dual_bitop2_b32 v19, 7, v0 bitop3:0x40
	s_mov_b32 s17, exec_lo
	v_cmpx_gt_u32_e32 8, v23
; %bb.1056:                             ;   in Loop: Header=BB277_813 Depth=1
	s_delay_alu instid0(VALU_DEP_2) | instskip(NEXT) | instid1(VALU_DEP_1)
	v_clz_i32_u32_e32 v19, v19
	v_min_u32_e32 v19, 32, v19
	s_delay_alu instid0(VALU_DEP_1) | instskip(NEXT) | instid1(VALU_DEP_1)
	v_subrev_nc_u32_e32 v22, 28, v19
	v_lshlrev_b64_e32 v[38:39], v22, v[6:7]
	s_delay_alu instid0(VALU_DEP_1)
	v_dual_sub_nc_u32 v22, 29, v19 :: v_dual_bitop2_b32 v19, 7, v38 bitop3:0x40
; %bb.1057:                             ;   in Loop: Header=BB277_813 Depth=1
	s_or_b32 exec_lo, exec_lo, s17
	v_lshlrev_b32_e32 v0, 8, v0
	s_delay_alu instid0(VALU_DEP_2) | instskip(NEXT) | instid1(VALU_DEP_1)
	v_lshl_add_u32 v6, v22, 10, 0x2000
	v_and_or_b32 v0, 0x8000, v0, v6
	v_lshlrev_b32_e32 v6, 23, v19
	s_delay_alu instid0(VALU_DEP_1)
	v_lshl_or_b32 v19, v0, 16, v6
.LBB277_1058:                           ;   in Loop: Header=BB277_813 Depth=1
	s_or_b32 exec_lo, exec_lo, s16
.LBB277_1059:                           ;   in Loop: Header=BB277_813 Depth=1
	s_delay_alu instid0(SALU_CYCLE_1)
	s_or_b32 exec_lo, exec_lo, s15
.LBB277_1060:                           ;   in Loop: Header=BB277_813 Depth=1
	s_delay_alu instid0(SALU_CYCLE_1) | instskip(SKIP_2) | instid1(VALU_DEP_1)
	s_or_b32 exec_lo, exec_lo, s14
	v_lshrrev_b32_e32 v0, 16, v37
	s_mov_b32 s14, exec_lo
	v_and_b32_e32 v6, 0xff, v0
	s_delay_alu instid0(VALU_DEP_1)
	v_cmpx_ne_u16_e32 0, v6
	s_cbranch_execz .LBB277_1068
; %bb.1061:                             ;   in Loop: Header=BB277_813 Depth=1
	v_mov_b32_e32 v18, 0x8000
	s_mov_b32 s15, exec_lo
	v_cmpx_ne_u16_e32 0x80, v6
	s_cbranch_execz .LBB277_1067
; %bb.1062:                             ;   in Loop: Header=BB277_813 Depth=1
	v_bfe_u32 v22, v37, 16, 7
	v_mov_b32_e32 v18, 0x7c01
	s_mov_b32 s16, exec_lo
	s_delay_alu instid0(VALU_DEP_2)
	v_cmpx_ne_u32_e32 0x7f, v22
	s_cbranch_execz .LBB277_1066
; %bb.1063:                             ;   in Loop: Header=BB277_813 Depth=1
	v_dual_lshrrev_b32 v18, 3, v22 :: v_dual_bitop2_b32 v6, 7, v0 bitop3:0x40
	s_mov_b32 s17, exec_lo
	v_cmpx_gt_u32_e32 8, v22
; %bb.1064:                             ;   in Loop: Header=BB277_813 Depth=1
	s_delay_alu instid0(VALU_DEP_2) | instskip(NEXT) | instid1(VALU_DEP_1)
	v_clz_i32_u32_e32 v6, v6
	v_min_u32_e32 v6, 32, v6
	s_delay_alu instid0(VALU_DEP_1) | instskip(NEXT) | instid1(VALU_DEP_1)
	v_subrev_nc_u32_e32 v18, 28, v6
	v_lshlrev_b64_e32 v[22:23], v18, v[0:1]
	v_sub_nc_u32_e32 v18, 29, v6
	s_delay_alu instid0(VALU_DEP_2)
	v_and_b32_e32 v6, 7, v22
; %bb.1065:                             ;   in Loop: Header=BB277_813 Depth=1
	s_or_b32 exec_lo, exec_lo, s17
	s_delay_alu instid0(VALU_DEP_1) | instskip(NEXT) | instid1(VALU_DEP_3)
	v_dual_lshlrev_b32 v0, 8, v0 :: v_dual_lshlrev_b32 v6, 7, v6
	v_lshl_add_u32 v18, v18, 10, 0x2000
	s_delay_alu instid0(VALU_DEP_2) | instskip(NEXT) | instid1(VALU_DEP_2)
	v_and_b32_e32 v0, 0x8000, v0
	v_and_b32_e32 v18, 0xfc00, v18
	s_delay_alu instid0(VALU_DEP_1)
	v_or3_b32 v18, v0, v18, v6
.LBB277_1066:                           ;   in Loop: Header=BB277_813 Depth=1
	s_or_b32 exec_lo, exec_lo, s16
.LBB277_1067:                           ;   in Loop: Header=BB277_813 Depth=1
	s_delay_alu instid0(SALU_CYCLE_1)
	s_or_b32 exec_lo, exec_lo, s15
.LBB277_1068:                           ;   in Loop: Header=BB277_813 Depth=1
	s_delay_alu instid0(SALU_CYCLE_1)
	s_or_b32 exec_lo, exec_lo, s14
	v_mov_b32_e32 v0, 0
	s_mov_b32 s14, exec_lo
	v_cmpx_lt_u64_e64 s[2:3], v[36:37]
	s_cbranch_execz .LBB277_1076
; %bb.1069:                             ;   in Loop: Header=BB277_813 Depth=1
	v_lshrrev_b32_e32 v6, 24, v37
	v_bfrev_b32_e32 v0, 1
	s_mov_b32 s15, exec_lo
	s_delay_alu instid0(VALU_DEP_2)
	v_cmpx_ne_u32_e32 0x80, v6
	s_cbranch_execz .LBB277_1075
; %bb.1070:                             ;   in Loop: Header=BB277_813 Depth=1
	v_and_b32_e32 v23, 0x7f, v6
	v_mov_b32_e32 v0, 0x7c010000
	s_mov_b32 s16, exec_lo
	s_delay_alu instid0(VALU_DEP_2)
	v_cmpx_ne_u32_e32 0x7f, v23
	s_cbranch_execz .LBB277_1074
; %bb.1071:                             ;   in Loop: Header=BB277_813 Depth=1
	v_dual_lshrrev_b32 v22, 3, v23 :: v_dual_bitop2_b32 v0, 7, v6 bitop3:0x40
	s_mov_b32 s17, exec_lo
	v_cmpx_gt_u32_e32 8, v23
; %bb.1072:                             ;   in Loop: Header=BB277_813 Depth=1
	s_delay_alu instid0(VALU_DEP_2) | instskip(NEXT) | instid1(VALU_DEP_1)
	v_clz_i32_u32_e32 v0, v0
	v_min_u32_e32 v0, 32, v0
	s_delay_alu instid0(VALU_DEP_1) | instskip(NEXT) | instid1(VALU_DEP_1)
	v_subrev_nc_u32_e32 v22, 28, v0
	v_lshlrev_b64_e32 v[36:37], v22, v[6:7]
	v_sub_nc_u32_e32 v22, 29, v0
	s_delay_alu instid0(VALU_DEP_2)
	v_and_b32_e32 v0, 7, v36
; %bb.1073:                             ;   in Loop: Header=BB277_813 Depth=1
	s_or_b32 exec_lo, exec_lo, s17
	s_delay_alu instid0(VALU_DEP_1) | instskip(NEXT) | instid1(VALU_DEP_3)
	v_dual_lshlrev_b32 v6, 8, v6 :: v_dual_lshlrev_b32 v0, 23, v0
	v_lshl_add_u32 v22, v22, 10, 0x2000
	s_delay_alu instid0(VALU_DEP_1) | instskip(NEXT) | instid1(VALU_DEP_1)
	v_and_or_b32 v6, 0x8000, v6, v22
	v_lshl_or_b32 v0, v6, 16, v0
.LBB277_1074:                           ;   in Loop: Header=BB277_813 Depth=1
	s_or_b32 exec_lo, exec_lo, s16
.LBB277_1075:                           ;   in Loop: Header=BB277_813 Depth=1
	s_delay_alu instid0(SALU_CYCLE_1)
	s_or_b32 exec_lo, exec_lo, s15
.LBB277_1076:                           ;   in Loop: Header=BB277_813 Depth=1
	s_delay_alu instid0(SALU_CYCLE_1) | instskip(SKIP_2) | instid1(VALU_DEP_2)
	s_or_b32 exec_lo, exec_lo, s14
	v_dual_lshrrev_b32 v6, 16, v1 :: v_dual_bitop2_b32 v1, v1, v8 bitop3:0x54
	v_dual_lshrrev_b32 v22, 16, v9 :: v_dual_bitop2_b32 v16, v9, v16 bitop3:0x54
	v_cvt_f32_f16_e32 v9, v6
	v_dual_lshrrev_b32 v18, 16, v19 :: v_dual_bitop2_b32 v6, v0, v18 bitop3:0x54
	s_delay_alu instid0(VALU_DEP_3)
	v_cvt_f32_f16_e32 v8, v22
	v_dual_lshrrev_b32 v22, 16, v0 :: v_dual_bitop2_b32 v19, v19, v17 bitop3:0x54
	v_cvt_f32_f16_e32 v0, v16
	v_cvt_f32_f16_e32 v1, v1
	s_wait_loadcnt_dscnt 0x0
	v_pk_mul_f32 v[8:9], v[34:35], v[8:9] op_sel_hi:[0,1]
	v_cvt_f32_f16_e32 v17, v18
	v_cvt_f32_f16_e32 v16, v22
	;; [unrolled: 1-line block ×4, first 2 shown]
	v_pk_mul_f32 v[0:1], v[34:35], v[0:1] op_sel_hi:[0,1]
	v_cvt_pk_f16_f32 v6, v8, v9
	v_pk_mul_f32 v[8:9], v[34:35], v[16:17] op_sel_hi:[0,1]
	s_delay_alu instid0(VALU_DEP_4) | instskip(NEXT) | instid1(VALU_DEP_4)
	v_pk_mul_f32 v[16:17], v[34:35], v[18:19] op_sel_hi:[0,1]
	v_cvt_pk_f16_f32 v0, v0, v1
	s_delay_alu instid0(VALU_DEP_4) | instskip(NEXT) | instid1(VALU_DEP_4)
	v_and_b32_e32 v19, 0xffff0000, v6
	v_cvt_pk_f16_f32 v8, v8, v9
	v_lshlrev_b32_e32 v34, 16, v6
	v_cvt_pk_f16_f32 v6, v16, v17
	v_lshrrev_b32_e32 v39, 16, v0
	v_and_b32_e32 v48, 0xffff, v0
	v_and_b32_e32 v1, 0xffff0000, v8
	s_delay_alu instid0(VALU_DEP_4) | instskip(SKIP_3) | instid1(VALU_DEP_4)
	v_dual_lshlrev_b32 v0, 16, v8 :: v_dual_lshrrev_b32 v9, 16, v6
	v_and_b32_e32 v6, 0xffff, v6
	v_or_b32_e32 v37, v19, v39
	v_or_b32_e32 v38, v34, v48
	;; [unrolled: 1-line block ×3, first 2 shown]
	s_delay_alu instid0(VALU_DEP_4)
	v_or_b32_e32 v36, v0, v6
	s_and_saveexec_b32 s14, vcc_lo
	s_cbranch_execz .LBB277_1078
; %bb.1077:                             ;   in Loop: Header=BB277_813 Depth=1
	v_cmp_lt_i32_e64 s0, v65, v13
	s_delay_alu instid0(VALU_DEP_1) | instskip(SKIP_1) | instid1(VALU_DEP_1)
	v_cndmask_b32_e64 v8, 0, v39, s0
	v_cmp_lt_i32_e64 s0, v80, v12
	v_cndmask_b32_e64 v16, 0, v48, s0
	v_cmp_lt_i32_e64 s0, v71, v13
	s_delay_alu instid0(VALU_DEP_1) | instskip(SKIP_1) | instid1(VALU_DEP_1)
	v_cndmask_b32_e64 v17, 0, v19, s0
	v_cmp_lt_i32_e64 s0, v70, v12
	v_cndmask_b32_e64 v18, 0, v34, s0
	v_cmp_lt_i32_e64 s0, v69, v13
	s_delay_alu instid0(VALU_DEP_4) | instskip(NEXT) | instid1(VALU_DEP_2)
	v_or_b32_e32 v37, v8, v17
	v_dual_cndmask_b32 v9, 0, v9, s0 :: v_dual_bitop2_b32 v38, v16, v18 bitop3:0x54
	v_cmp_lt_i32_e64 s0, v68, v12
	s_delay_alu instid0(VALU_DEP_1) | instskip(SKIP_1) | instid1(VALU_DEP_1)
	v_cndmask_b32_e64 v6, 0, v6, s0
	v_cmp_lt_i32_e64 s0, v67, v13
	v_cndmask_b32_e64 v1, 0, v1, s0
	v_cmp_lt_i32_e64 s0, v66, v12
	s_delay_alu instid0(VALU_DEP_1) | instskip(NEXT) | instid1(VALU_DEP_1)
	v_dual_cndmask_b32 v0, 0, v0, s0 :: v_dual_bitop2_b32 v35, v9, v1 bitop3:0x54
	v_or_b32_e32 v36, v6, v0
.LBB277_1078:                           ;   in Loop: Header=BB277_813 Depth=1
	s_or_b32 exec_lo, exec_lo, s14
	;;#ASMSTART
	v_pk_mul_f16 v0, v85, v37;

	;;#ASMEND
	;;#ASMSTART
	v_pk_mul_f16 v1, v83, v38;

	;;#ASMEND
	;; [unrolled: 4-line block ×4, first 2 shown]
	;;#ASMSTART
	v_pk_add_f16 v0, v0, v1;

	;;#ASMEND
	;;#ASMSTART
	v_pk_add_f16 v0, v0, v6;

	;;#ASMEND
	;; [unrolled: 4-line block ×3, first 2 shown]
	v_and_b32_e32 v1, 0xffff, v0
	v_lshrrev_b32_e32 v0, 16, v0
	;;#ASMSTART
	v_cvt_f32_f16 v99, v1;
	;;#ASMEND
	;;#ASMSTART
	v_cvt_f32_f16 v100, v0;
	;;#ASMEND
	flat_load_b64 v[36:37], v[28:29] offset:1024
	scratch_load_b64 v[0:1], off, s32 offset:192 ; 8-byte Folded Reload
	v_mov_b32_e32 v8, 0
	s_mov_b32 s14, exec_lo
	s_wait_loadcnt 0x0
	flat_load_b32 v34, v[0:1]
	s_wait_dscnt 0x1
	s_wait_xcnt 0x0
	v_and_b32_e32 v0, 0xff, v36
	v_mov_b32_e32 v1, 0
	s_delay_alu instid0(VALU_DEP_2)
	v_cmpx_ne_u16_e32 0, v0
	s_cbranch_execz .LBB277_1086
; %bb.1079:                             ;   in Loop: Header=BB277_813 Depth=1
	v_mov_b32_e32 v8, 0x8000
	s_mov_b32 s15, exec_lo
	v_cmpx_ne_u16_e32 0x80, v0
	s_cbranch_execz .LBB277_1085
; %bb.1080:                             ;   in Loop: Header=BB277_813 Depth=1
	v_and_b32_e32 v9, 0x7f, v36
	v_mov_b32_e32 v8, 0x7c01
	s_mov_b32 s16, exec_lo
	s_delay_alu instid0(VALU_DEP_2)
	v_cmpx_ne_u32_e32 0x7f, v9
	s_cbranch_execz .LBB277_1084
; %bb.1081:                             ;   in Loop: Header=BB277_813 Depth=1
	v_dual_lshrrev_b32 v6, 3, v9 :: v_dual_bitop2_b32 v0, 7, v36 bitop3:0x40
	s_mov_b32 s17, exec_lo
	v_cmpx_gt_u32_e32 8, v9
; %bb.1082:                             ;   in Loop: Header=BB277_813 Depth=1
	s_delay_alu instid0(VALU_DEP_2) | instskip(NEXT) | instid1(VALU_DEP_1)
	v_clz_i32_u32_e32 v0, v0
	v_min_u32_e32 v0, 32, v0
	s_delay_alu instid0(VALU_DEP_1) | instskip(NEXT) | instid1(VALU_DEP_1)
	v_subrev_nc_u32_e32 v6, 28, v0
	v_lshlrev_b64_e32 v[8:9], v6, v[36:37]
	v_sub_nc_u32_e32 v6, 29, v0
	s_delay_alu instid0(VALU_DEP_2)
	v_and_b32_e32 v0, 7, v8
; %bb.1083:                             ;   in Loop: Header=BB277_813 Depth=1
	s_or_b32 exec_lo, exec_lo, s17
	v_lshlrev_b32_e32 v8, 8, v36
	s_delay_alu instid0(VALU_DEP_3) | instskip(NEXT) | instid1(VALU_DEP_3)
	v_lshl_add_u32 v6, v6, 10, 0x2000
	v_lshlrev_b32_e32 v0, 7, v0
	s_delay_alu instid0(VALU_DEP_3) | instskip(NEXT) | instid1(VALU_DEP_3)
	v_and_b32_e32 v8, 0x8000, v8
	v_and_b32_e32 v6, 0xfc00, v6
	s_delay_alu instid0(VALU_DEP_1)
	v_or3_b32 v8, v8, v6, v0
.LBB277_1084:                           ;   in Loop: Header=BB277_813 Depth=1
	s_or_b32 exec_lo, exec_lo, s16
.LBB277_1085:                           ;   in Loop: Header=BB277_813 Depth=1
	s_delay_alu instid0(SALU_CYCLE_1)
	s_or_b32 exec_lo, exec_lo, s15
.LBB277_1086:                           ;   in Loop: Header=BB277_813 Depth=1
	s_delay_alu instid0(SALU_CYCLE_1) | instskip(SKIP_2) | instid1(VALU_DEP_1)
	s_or_b32 exec_lo, exec_lo, s14
	v_lshrrev_b16 v6, 8, v36
	s_mov_b32 s14, exec_lo
	v_cmpx_ne_u16_e32 0, v6
	s_cbranch_execz .LBB277_1094
; %bb.1087:                             ;   in Loop: Header=BB277_813 Depth=1
	v_bfrev_b32_e32 v1, 1
	s_mov_b32 s15, exec_lo
	v_cmpx_ne_u16_e32 0x80, v6
	s_cbranch_execz .LBB277_1093
; %bb.1088:                             ;   in Loop: Header=BB277_813 Depth=1
	v_and_b32_e32 v0, 0xffff, v6
	v_mov_b32_e32 v1, 0x7c010000
	s_mov_b32 s16, exec_lo
	s_delay_alu instid0(VALU_DEP_2) | instskip(NEXT) | instid1(VALU_DEP_1)
	v_and_b32_e32 v16, 0x7f, v0
	v_cmpx_ne_u32_e32 0x7f, v16
	s_cbranch_execz .LBB277_1092
; %bb.1089:                             ;   in Loop: Header=BB277_813 Depth=1
	v_and_b32_e32 v1, 7, v0
	v_lshrrev_b32_e32 v9, 3, v16
	s_mov_b32 s17, exec_lo
	v_cmpx_gt_u32_e32 8, v16
; %bb.1090:                             ;   in Loop: Header=BB277_813 Depth=1
	s_delay_alu instid0(VALU_DEP_3) | instskip(NEXT) | instid1(VALU_DEP_1)
	v_clz_i32_u32_e32 v1, v1
	v_min_u32_e32 v1, 32, v1
	s_delay_alu instid0(VALU_DEP_1) | instskip(NEXT) | instid1(VALU_DEP_1)
	v_subrev_nc_u32_e32 v9, 28, v1
	v_lshlrev_b64_e32 v[16:17], v9, v[6:7]
	s_delay_alu instid0(VALU_DEP_1)
	v_dual_sub_nc_u32 v9, 29, v1 :: v_dual_bitop2_b32 v1, 7, v16 bitop3:0x40
; %bb.1091:                             ;   in Loop: Header=BB277_813 Depth=1
	s_or_b32 exec_lo, exec_lo, s17
	s_delay_alu instid0(VALU_DEP_1) | instskip(NEXT) | instid1(VALU_DEP_2)
	v_dual_lshlrev_b32 v0, 8, v0 :: v_dual_lshlrev_b32 v1, 23, v1
	v_lshl_add_u32 v6, v9, 10, 0x2000
	s_delay_alu instid0(VALU_DEP_1) | instskip(NEXT) | instid1(VALU_DEP_1)
	v_and_or_b32 v0, 0x8000, v0, v6
	v_lshl_or_b32 v1, v0, 16, v1
.LBB277_1092:                           ;   in Loop: Header=BB277_813 Depth=1
	s_or_b32 exec_lo, exec_lo, s16
.LBB277_1093:                           ;   in Loop: Header=BB277_813 Depth=1
	s_delay_alu instid0(SALU_CYCLE_1)
	s_or_b32 exec_lo, exec_lo, s15
.LBB277_1094:                           ;   in Loop: Header=BB277_813 Depth=1
	s_delay_alu instid0(SALU_CYCLE_1) | instskip(SKIP_3) | instid1(VALU_DEP_2)
	s_or_b32 exec_lo, exec_lo, s14
	v_dual_mov_b32 v9, 0 :: v_dual_lshrrev_b32 v0, 16, v36
	v_mov_b32_e32 v16, 0
	s_mov_b32 s14, exec_lo
	v_and_b32_e32 v6, 0xff, v0
	s_delay_alu instid0(VALU_DEP_1)
	v_cmpx_ne_u16_e32 0, v6
	s_cbranch_execz .LBB277_1102
; %bb.1095:                             ;   in Loop: Header=BB277_813 Depth=1
	v_mov_b32_e32 v16, 0x8000
	s_mov_b32 s15, exec_lo
	v_cmpx_ne_u16_e32 0x80, v6
	s_cbranch_execz .LBB277_1101
; %bb.1096:                             ;   in Loop: Header=BB277_813 Depth=1
	v_bfe_u32 v17, v36, 16, 7
	v_mov_b32_e32 v16, 0x7c01
	s_mov_b32 s16, exec_lo
	s_delay_alu instid0(VALU_DEP_2)
	v_cmpx_ne_u32_e32 0x7f, v17
	s_cbranch_execz .LBB277_1100
; %bb.1097:                             ;   in Loop: Header=BB277_813 Depth=1
	v_dual_lshrrev_b32 v16, 3, v17 :: v_dual_bitop2_b32 v6, 7, v0 bitop3:0x40
	s_mov_b32 s17, exec_lo
	v_cmpx_gt_u32_e32 8, v17
; %bb.1098:                             ;   in Loop: Header=BB277_813 Depth=1
	s_delay_alu instid0(VALU_DEP_2) | instskip(NEXT) | instid1(VALU_DEP_1)
	v_clz_i32_u32_e32 v6, v6
	v_min_u32_e32 v6, 32, v6
	s_delay_alu instid0(VALU_DEP_1) | instskip(NEXT) | instid1(VALU_DEP_1)
	v_subrev_nc_u32_e32 v16, 28, v6
	v_lshlrev_b64_e32 v[18:19], v16, v[0:1]
	v_sub_nc_u32_e32 v16, 29, v6
	s_delay_alu instid0(VALU_DEP_2)
	v_and_b32_e32 v6, 7, v18
; %bb.1099:                             ;   in Loop: Header=BB277_813 Depth=1
	s_or_b32 exec_lo, exec_lo, s17
	s_delay_alu instid0(VALU_DEP_1) | instskip(NEXT) | instid1(VALU_DEP_3)
	v_dual_lshlrev_b32 v0, 8, v0 :: v_dual_lshlrev_b32 v6, 7, v6
	v_lshl_add_u32 v16, v16, 10, 0x2000
	s_delay_alu instid0(VALU_DEP_2) | instskip(NEXT) | instid1(VALU_DEP_2)
	v_and_b32_e32 v0, 0x8000, v0
	v_and_b32_e32 v16, 0xfc00, v16
	s_delay_alu instid0(VALU_DEP_1)
	v_or3_b32 v16, v0, v16, v6
.LBB277_1100:                           ;   in Loop: Header=BB277_813 Depth=1
	s_or_b32 exec_lo, exec_lo, s16
.LBB277_1101:                           ;   in Loop: Header=BB277_813 Depth=1
	s_delay_alu instid0(SALU_CYCLE_1)
	s_or_b32 exec_lo, exec_lo, s15
.LBB277_1102:                           ;   in Loop: Header=BB277_813 Depth=1
	s_delay_alu instid0(SALU_CYCLE_1) | instskip(NEXT) | instid1(SALU_CYCLE_1)
	s_or_b32 exec_lo, exec_lo, s14
	s_mov_b32 s14, exec_lo
	v_cmpx_lt_u32_e32 0xffffff, v36
	s_cbranch_execz .LBB277_1110
; %bb.1103:                             ;   in Loop: Header=BB277_813 Depth=1
	v_lshrrev_b32_e32 v6, 24, v36
	v_bfrev_b32_e32 v9, 1
	s_mov_b32 s15, exec_lo
	s_delay_alu instid0(VALU_DEP_2)
	v_cmpx_ne_u32_e32 0x80, v6
	s_cbranch_execz .LBB277_1109
; %bb.1104:                             ;   in Loop: Header=BB277_813 Depth=1
	v_and_b32_e32 v17, 0x7f, v6
	v_mov_b32_e32 v9, 0x7c010000
	s_mov_b32 s16, exec_lo
	s_delay_alu instid0(VALU_DEP_2)
	v_cmpx_ne_u32_e32 0x7f, v17
	s_cbranch_execz .LBB277_1108
; %bb.1105:                             ;   in Loop: Header=BB277_813 Depth=1
	v_dual_lshrrev_b32 v9, 3, v17 :: v_dual_bitop2_b32 v0, 7, v6 bitop3:0x40
	s_mov_b32 s17, exec_lo
	v_cmpx_gt_u32_e32 8, v17
; %bb.1106:                             ;   in Loop: Header=BB277_813 Depth=1
	s_delay_alu instid0(VALU_DEP_2) | instskip(NEXT) | instid1(VALU_DEP_1)
	v_clz_i32_u32_e32 v0, v0
	v_min_u32_e32 v0, 32, v0
	s_delay_alu instid0(VALU_DEP_1) | instskip(NEXT) | instid1(VALU_DEP_1)
	v_subrev_nc_u32_e32 v9, 28, v0
	v_lshlrev_b64_e32 v[18:19], v9, v[6:7]
	s_delay_alu instid0(VALU_DEP_1)
	v_dual_sub_nc_u32 v9, 29, v0 :: v_dual_bitop2_b32 v0, 7, v18 bitop3:0x40
; %bb.1107:                             ;   in Loop: Header=BB277_813 Depth=1
	s_or_b32 exec_lo, exec_lo, s17
	s_delay_alu instid0(VALU_DEP_1) | instskip(NEXT) | instid1(VALU_DEP_2)
	v_dual_lshlrev_b32 v6, 8, v6 :: v_dual_lshlrev_b32 v0, 23, v0
	v_lshl_add_u32 v9, v9, 10, 0x2000
	s_delay_alu instid0(VALU_DEP_1) | instskip(NEXT) | instid1(VALU_DEP_1)
	v_and_or_b32 v6, 0x8000, v6, v9
	v_lshl_or_b32 v9, v6, 16, v0
.LBB277_1108:                           ;   in Loop: Header=BB277_813 Depth=1
	s_or_b32 exec_lo, exec_lo, s16
.LBB277_1109:                           ;   in Loop: Header=BB277_813 Depth=1
	s_delay_alu instid0(SALU_CYCLE_1)
	s_or_b32 exec_lo, exec_lo, s15
.LBB277_1110:                           ;   in Loop: Header=BB277_813 Depth=1
	s_delay_alu instid0(SALU_CYCLE_1) | instskip(SKIP_4) | instid1(VALU_DEP_3)
	s_or_b32 exec_lo, exec_lo, s14
	v_and_b32_e32 v0, 0xff, v37
	v_dual_mov_b32 v6, v37 :: v_dual_mov_b32 v18, 0
	v_mov_b32_e32 v17, 0
	s_mov_b32 s14, exec_lo
	v_cmpx_ne_u16_e32 0, v0
	s_cbranch_execz .LBB277_1118
; %bb.1111:                             ;   in Loop: Header=BB277_813 Depth=1
	v_mov_b32_e32 v17, 0x8000
	s_mov_b32 s15, exec_lo
	v_cmpx_ne_u16_e32 0x80, v0
	s_cbranch_execz .LBB277_1117
; %bb.1112:                             ;   in Loop: Header=BB277_813 Depth=1
	v_and_b32_e32 v19, 0x7f, v37
	v_mov_b32_e32 v17, 0x7c01
	s_mov_b32 s16, exec_lo
	s_delay_alu instid0(VALU_DEP_2)
	v_cmpx_ne_u32_e32 0x7f, v19
	s_cbranch_execz .LBB277_1116
; %bb.1113:                             ;   in Loop: Header=BB277_813 Depth=1
	v_dual_lshrrev_b32 v17, 3, v19 :: v_dual_bitop2_b32 v0, 7, v37 bitop3:0x40
	s_mov_b32 s17, exec_lo
	v_cmpx_gt_u32_e32 8, v19
; %bb.1114:                             ;   in Loop: Header=BB277_813 Depth=1
	s_delay_alu instid0(VALU_DEP_2) | instskip(NEXT) | instid1(VALU_DEP_1)
	v_clz_i32_u32_e32 v0, v0
	v_min_u32_e32 v0, 32, v0
	s_delay_alu instid0(VALU_DEP_1) | instskip(NEXT) | instid1(VALU_DEP_1)
	v_subrev_nc_u32_e32 v17, 28, v0
	v_lshlrev_b64_e32 v[22:23], v17, v[6:7]
	s_delay_alu instid0(VALU_DEP_1)
	v_dual_sub_nc_u32 v17, 29, v0 :: v_dual_bitop2_b32 v0, 7, v22 bitop3:0x40
; %bb.1115:                             ;   in Loop: Header=BB277_813 Depth=1
	s_or_b32 exec_lo, exec_lo, s17
	s_delay_alu instid0(VALU_DEP_1) | instskip(NEXT) | instid1(VALU_DEP_2)
	v_dual_lshlrev_b32 v19, 8, v37 :: v_dual_lshlrev_b32 v0, 7, v0
	v_lshl_add_u32 v17, v17, 10, 0x2000
	s_delay_alu instid0(VALU_DEP_2) | instskip(NEXT) | instid1(VALU_DEP_2)
	v_and_b32_e32 v19, 0x8000, v19
	v_and_b32_e32 v17, 0xfc00, v17
	s_delay_alu instid0(VALU_DEP_1)
	v_or3_b32 v17, v19, v17, v0
.LBB277_1116:                           ;   in Loop: Header=BB277_813 Depth=1
	s_or_b32 exec_lo, exec_lo, s16
.LBB277_1117:                           ;   in Loop: Header=BB277_813 Depth=1
	s_delay_alu instid0(SALU_CYCLE_1)
	s_or_b32 exec_lo, exec_lo, s15
.LBB277_1118:                           ;   in Loop: Header=BB277_813 Depth=1
	s_delay_alu instid0(SALU_CYCLE_1) | instskip(SKIP_3) | instid1(VALU_DEP_2)
	s_or_b32 exec_lo, exec_lo, s14
	v_lshrrev_b16 v6, 8, v6
	v_mov_b32_e32 v19, 0
	s_mov_b32 s14, exec_lo
	v_cmpx_ne_u16_e32 0, v6
	s_cbranch_execz .LBB277_1126
; %bb.1119:                             ;   in Loop: Header=BB277_813 Depth=1
	v_bfrev_b32_e32 v19, 1
	s_mov_b32 s15, exec_lo
	v_cmpx_ne_u16_e32 0x80, v6
	s_cbranch_execz .LBB277_1125
; %bb.1120:                             ;   in Loop: Header=BB277_813 Depth=1
	v_and_b32_e32 v0, 0xffff, v6
	v_mov_b32_e32 v19, 0x7c010000
	s_mov_b32 s16, exec_lo
	s_delay_alu instid0(VALU_DEP_2) | instskip(NEXT) | instid1(VALU_DEP_1)
	v_and_b32_e32 v23, 0x7f, v0
	v_cmpx_ne_u32_e32 0x7f, v23
	s_cbranch_execz .LBB277_1124
; %bb.1121:                             ;   in Loop: Header=BB277_813 Depth=1
	v_dual_lshrrev_b32 v22, 3, v23 :: v_dual_bitop2_b32 v19, 7, v0 bitop3:0x40
	s_mov_b32 s17, exec_lo
	v_cmpx_gt_u32_e32 8, v23
; %bb.1122:                             ;   in Loop: Header=BB277_813 Depth=1
	s_delay_alu instid0(VALU_DEP_2) | instskip(NEXT) | instid1(VALU_DEP_1)
	v_clz_i32_u32_e32 v19, v19
	v_min_u32_e32 v19, 32, v19
	s_delay_alu instid0(VALU_DEP_1) | instskip(NEXT) | instid1(VALU_DEP_1)
	v_subrev_nc_u32_e32 v22, 28, v19
	v_lshlrev_b64_e32 v[38:39], v22, v[6:7]
	s_delay_alu instid0(VALU_DEP_1)
	v_dual_sub_nc_u32 v22, 29, v19 :: v_dual_bitop2_b32 v19, 7, v38 bitop3:0x40
; %bb.1123:                             ;   in Loop: Header=BB277_813 Depth=1
	s_or_b32 exec_lo, exec_lo, s17
	v_lshlrev_b32_e32 v0, 8, v0
	s_delay_alu instid0(VALU_DEP_2) | instskip(NEXT) | instid1(VALU_DEP_1)
	v_lshl_add_u32 v6, v22, 10, 0x2000
	v_and_or_b32 v0, 0x8000, v0, v6
	v_lshlrev_b32_e32 v6, 23, v19
	s_delay_alu instid0(VALU_DEP_1)
	v_lshl_or_b32 v19, v0, 16, v6
.LBB277_1124:                           ;   in Loop: Header=BB277_813 Depth=1
	s_or_b32 exec_lo, exec_lo, s16
.LBB277_1125:                           ;   in Loop: Header=BB277_813 Depth=1
	s_delay_alu instid0(SALU_CYCLE_1)
	s_or_b32 exec_lo, exec_lo, s15
.LBB277_1126:                           ;   in Loop: Header=BB277_813 Depth=1
	s_delay_alu instid0(SALU_CYCLE_1) | instskip(SKIP_2) | instid1(VALU_DEP_1)
	s_or_b32 exec_lo, exec_lo, s14
	v_lshrrev_b32_e32 v0, 16, v37
	s_mov_b32 s14, exec_lo
	v_and_b32_e32 v6, 0xff, v0
	s_delay_alu instid0(VALU_DEP_1)
	v_cmpx_ne_u16_e32 0, v6
	s_cbranch_execz .LBB277_1134
; %bb.1127:                             ;   in Loop: Header=BB277_813 Depth=1
	v_mov_b32_e32 v18, 0x8000
	s_mov_b32 s15, exec_lo
	v_cmpx_ne_u16_e32 0x80, v6
	s_cbranch_execz .LBB277_1133
; %bb.1128:                             ;   in Loop: Header=BB277_813 Depth=1
	v_bfe_u32 v22, v37, 16, 7
	v_mov_b32_e32 v18, 0x7c01
	s_mov_b32 s16, exec_lo
	s_delay_alu instid0(VALU_DEP_2)
	v_cmpx_ne_u32_e32 0x7f, v22
	s_cbranch_execz .LBB277_1132
; %bb.1129:                             ;   in Loop: Header=BB277_813 Depth=1
	v_dual_lshrrev_b32 v18, 3, v22 :: v_dual_bitop2_b32 v6, 7, v0 bitop3:0x40
	s_mov_b32 s17, exec_lo
	v_cmpx_gt_u32_e32 8, v22
; %bb.1130:                             ;   in Loop: Header=BB277_813 Depth=1
	s_delay_alu instid0(VALU_DEP_2) | instskip(NEXT) | instid1(VALU_DEP_1)
	v_clz_i32_u32_e32 v6, v6
	v_min_u32_e32 v6, 32, v6
	s_delay_alu instid0(VALU_DEP_1) | instskip(NEXT) | instid1(VALU_DEP_1)
	v_subrev_nc_u32_e32 v18, 28, v6
	v_lshlrev_b64_e32 v[22:23], v18, v[0:1]
	v_sub_nc_u32_e32 v18, 29, v6
	s_delay_alu instid0(VALU_DEP_2)
	v_and_b32_e32 v6, 7, v22
; %bb.1131:                             ;   in Loop: Header=BB277_813 Depth=1
	s_or_b32 exec_lo, exec_lo, s17
	s_delay_alu instid0(VALU_DEP_1) | instskip(NEXT) | instid1(VALU_DEP_3)
	v_dual_lshlrev_b32 v0, 8, v0 :: v_dual_lshlrev_b32 v6, 7, v6
	v_lshl_add_u32 v18, v18, 10, 0x2000
	s_delay_alu instid0(VALU_DEP_2) | instskip(NEXT) | instid1(VALU_DEP_2)
	v_and_b32_e32 v0, 0x8000, v0
	v_and_b32_e32 v18, 0xfc00, v18
	s_delay_alu instid0(VALU_DEP_1)
	v_or3_b32 v18, v0, v18, v6
.LBB277_1132:                           ;   in Loop: Header=BB277_813 Depth=1
	s_or_b32 exec_lo, exec_lo, s16
.LBB277_1133:                           ;   in Loop: Header=BB277_813 Depth=1
	s_delay_alu instid0(SALU_CYCLE_1)
	s_or_b32 exec_lo, exec_lo, s15
.LBB277_1134:                           ;   in Loop: Header=BB277_813 Depth=1
	s_delay_alu instid0(SALU_CYCLE_1)
	s_or_b32 exec_lo, exec_lo, s14
	v_mov_b32_e32 v0, 0
	s_mov_b32 s14, exec_lo
	v_cmpx_lt_u64_e64 s[2:3], v[36:37]
	s_cbranch_execz .LBB277_1142
; %bb.1135:                             ;   in Loop: Header=BB277_813 Depth=1
	v_lshrrev_b32_e32 v6, 24, v37
	v_bfrev_b32_e32 v0, 1
	s_mov_b32 s15, exec_lo
	s_delay_alu instid0(VALU_DEP_2)
	v_cmpx_ne_u32_e32 0x80, v6
	s_cbranch_execz .LBB277_1141
; %bb.1136:                             ;   in Loop: Header=BB277_813 Depth=1
	v_and_b32_e32 v23, 0x7f, v6
	v_mov_b32_e32 v0, 0x7c010000
	s_mov_b32 s16, exec_lo
	s_delay_alu instid0(VALU_DEP_2)
	v_cmpx_ne_u32_e32 0x7f, v23
	s_cbranch_execz .LBB277_1140
; %bb.1137:                             ;   in Loop: Header=BB277_813 Depth=1
	v_dual_lshrrev_b32 v22, 3, v23 :: v_dual_bitop2_b32 v0, 7, v6 bitop3:0x40
	s_mov_b32 s17, exec_lo
	v_cmpx_gt_u32_e32 8, v23
; %bb.1138:                             ;   in Loop: Header=BB277_813 Depth=1
	s_delay_alu instid0(VALU_DEP_2) | instskip(NEXT) | instid1(VALU_DEP_1)
	v_clz_i32_u32_e32 v0, v0
	v_min_u32_e32 v0, 32, v0
	s_delay_alu instid0(VALU_DEP_1) | instskip(NEXT) | instid1(VALU_DEP_1)
	v_subrev_nc_u32_e32 v22, 28, v0
	v_lshlrev_b64_e32 v[36:37], v22, v[6:7]
	v_sub_nc_u32_e32 v22, 29, v0
	s_delay_alu instid0(VALU_DEP_2)
	v_and_b32_e32 v0, 7, v36
; %bb.1139:                             ;   in Loop: Header=BB277_813 Depth=1
	s_or_b32 exec_lo, exec_lo, s17
	s_delay_alu instid0(VALU_DEP_1) | instskip(NEXT) | instid1(VALU_DEP_3)
	v_dual_lshlrev_b32 v6, 8, v6 :: v_dual_lshlrev_b32 v0, 23, v0
	v_lshl_add_u32 v22, v22, 10, 0x2000
	s_delay_alu instid0(VALU_DEP_1) | instskip(NEXT) | instid1(VALU_DEP_1)
	v_and_or_b32 v6, 0x8000, v6, v22
	v_lshl_or_b32 v0, v6, 16, v0
.LBB277_1140:                           ;   in Loop: Header=BB277_813 Depth=1
	s_or_b32 exec_lo, exec_lo, s16
.LBB277_1141:                           ;   in Loop: Header=BB277_813 Depth=1
	s_delay_alu instid0(SALU_CYCLE_1)
	s_or_b32 exec_lo, exec_lo, s15
.LBB277_1142:                           ;   in Loop: Header=BB277_813 Depth=1
	s_delay_alu instid0(SALU_CYCLE_1) | instskip(SKIP_2) | instid1(VALU_DEP_2)
	s_or_b32 exec_lo, exec_lo, s14
	v_dual_lshrrev_b32 v6, 16, v1 :: v_dual_bitop2_b32 v1, v1, v8 bitop3:0x54
	v_dual_lshrrev_b32 v22, 16, v9 :: v_dual_bitop2_b32 v16, v9, v16 bitop3:0x54
	v_cvt_f32_f16_e32 v9, v6
	v_dual_lshrrev_b32 v18, 16, v19 :: v_dual_bitop2_b32 v6, v0, v18 bitop3:0x54
	s_delay_alu instid0(VALU_DEP_3)
	v_cvt_f32_f16_e32 v8, v22
	v_dual_lshrrev_b32 v22, 16, v0 :: v_dual_bitop2_b32 v19, v19, v17 bitop3:0x54
	v_cvt_f32_f16_e32 v0, v16
	v_cvt_f32_f16_e32 v1, v1
	s_wait_loadcnt_dscnt 0x0
	v_pk_mul_f32 v[8:9], v[34:35], v[8:9] op_sel_hi:[0,1]
	v_cvt_f32_f16_e32 v17, v18
	v_cvt_f32_f16_e32 v16, v22
	;; [unrolled: 1-line block ×4, first 2 shown]
	v_pk_mul_f32 v[0:1], v[34:35], v[0:1] op_sel_hi:[0,1]
	v_cvt_pk_f16_f32 v6, v8, v9
	v_pk_mul_f32 v[8:9], v[34:35], v[16:17] op_sel_hi:[0,1]
	s_delay_alu instid0(VALU_DEP_4) | instskip(NEXT) | instid1(VALU_DEP_4)
	v_pk_mul_f32 v[16:17], v[34:35], v[18:19] op_sel_hi:[0,1]
	v_cvt_pk_f16_f32 v0, v0, v1
	s_delay_alu instid0(VALU_DEP_4) | instskip(NEXT) | instid1(VALU_DEP_4)
	v_and_b32_e32 v19, 0xffff0000, v6
	v_cvt_pk_f16_f32 v8, v8, v9
	v_lshlrev_b32_e32 v34, 16, v6
	v_cvt_pk_f16_f32 v6, v16, v17
	v_lshrrev_b32_e32 v39, 16, v0
	v_and_b32_e32 v48, 0xffff, v0
	v_and_b32_e32 v1, 0xffff0000, v8
	s_delay_alu instid0(VALU_DEP_4) | instskip(SKIP_3) | instid1(VALU_DEP_4)
	v_dual_lshlrev_b32 v0, 16, v8 :: v_dual_lshrrev_b32 v9, 16, v6
	v_and_b32_e32 v6, 0xffff, v6
	v_or_b32_e32 v37, v19, v39
	v_or_b32_e32 v38, v34, v48
	;; [unrolled: 1-line block ×3, first 2 shown]
	s_delay_alu instid0(VALU_DEP_4)
	v_or_b32_e32 v36, v0, v6
	s_and_saveexec_b32 s14, vcc_lo
	s_cbranch_execz .LBB277_1144
; %bb.1143:                             ;   in Loop: Header=BB277_813 Depth=1
	v_cmp_lt_i32_e64 s0, v65, v13
	s_delay_alu instid0(VALU_DEP_1) | instskip(SKIP_1) | instid1(VALU_DEP_1)
	v_cndmask_b32_e64 v8, 0, v39, s0
	v_cmp_lt_i32_e64 s0, v80, v12
	v_cndmask_b32_e64 v16, 0, v48, s0
	v_cmp_lt_i32_e64 s0, v71, v13
	s_delay_alu instid0(VALU_DEP_1) | instskip(SKIP_1) | instid1(VALU_DEP_1)
	v_cndmask_b32_e64 v17, 0, v19, s0
	v_cmp_lt_i32_e64 s0, v70, v12
	v_cndmask_b32_e64 v18, 0, v34, s0
	v_cmp_lt_i32_e64 s0, v69, v13
	s_delay_alu instid0(VALU_DEP_4) | instskip(NEXT) | instid1(VALU_DEP_2)
	v_or_b32_e32 v37, v8, v17
	v_dual_cndmask_b32 v9, 0, v9, s0 :: v_dual_bitop2_b32 v38, v16, v18 bitop3:0x54
	v_cmp_lt_i32_e64 s0, v68, v12
	s_delay_alu instid0(VALU_DEP_1) | instskip(SKIP_1) | instid1(VALU_DEP_1)
	v_cndmask_b32_e64 v6, 0, v6, s0
	v_cmp_lt_i32_e64 s0, v67, v13
	v_cndmask_b32_e64 v1, 0, v1, s0
	v_cmp_lt_i32_e64 s0, v66, v12
	s_delay_alu instid0(VALU_DEP_1) | instskip(NEXT) | instid1(VALU_DEP_1)
	v_dual_cndmask_b32 v0, 0, v0, s0 :: v_dual_bitop2_b32 v35, v9, v1 bitop3:0x54
	v_or_b32_e32 v36, v6, v0
.LBB277_1144:                           ;   in Loop: Header=BB277_813 Depth=1
	s_or_b32 exec_lo, exec_lo, s14
	;;#ASMSTART
	v_pk_mul_f16 v0, v85, v37;

	;;#ASMEND
	;;#ASMSTART
	v_pk_mul_f16 v1, v83, v38;

	;;#ASMEND
	;;#ASMSTART
	v_pk_mul_f16 v6, v82, v35;

	;;#ASMEND
	;;#ASMSTART
	v_pk_mul_f16 v8, v81, v36;

	;;#ASMEND
	;;#ASMSTART
	v_pk_add_f16 v0, v0, v1;

	;;#ASMEND
	;;#ASMSTART
	v_pk_add_f16 v0, v0, v6;

	;;#ASMEND
	;; [unrolled: 4-line block ×3, first 2 shown]
	v_and_b32_e32 v1, 0xffff, v0
	v_lshrrev_b32_e32 v0, 16, v0
	;;#ASMSTART
	v_cvt_f32_f16 v101, v1;
	;;#ASMEND
	;;#ASMSTART
	v_cvt_f32_f16 v102, v0;
	;;#ASMEND
	flat_load_b64 v[36:37], v[28:29] offset:1280
	scratch_load_b64 v[0:1], off, s32 offset:192 ; 8-byte Folded Reload
	v_mov_b32_e32 v8, 0
	s_mov_b32 s14, exec_lo
	s_wait_loadcnt 0x0
	flat_load_b32 v34, v[0:1]
	s_wait_dscnt 0x1
	s_wait_xcnt 0x0
	v_and_b32_e32 v0, 0xff, v36
	v_mov_b32_e32 v1, 0
	s_delay_alu instid0(VALU_DEP_2)
	v_cmpx_ne_u16_e32 0, v0
	s_cbranch_execz .LBB277_1152
; %bb.1145:                             ;   in Loop: Header=BB277_813 Depth=1
	v_mov_b32_e32 v8, 0x8000
	s_mov_b32 s15, exec_lo
	v_cmpx_ne_u16_e32 0x80, v0
	s_cbranch_execz .LBB277_1151
; %bb.1146:                             ;   in Loop: Header=BB277_813 Depth=1
	v_and_b32_e32 v9, 0x7f, v36
	v_mov_b32_e32 v8, 0x7c01
	s_mov_b32 s16, exec_lo
	s_delay_alu instid0(VALU_DEP_2)
	v_cmpx_ne_u32_e32 0x7f, v9
	s_cbranch_execz .LBB277_1150
; %bb.1147:                             ;   in Loop: Header=BB277_813 Depth=1
	v_dual_lshrrev_b32 v6, 3, v9 :: v_dual_bitop2_b32 v0, 7, v36 bitop3:0x40
	s_mov_b32 s17, exec_lo
	v_cmpx_gt_u32_e32 8, v9
; %bb.1148:                             ;   in Loop: Header=BB277_813 Depth=1
	s_delay_alu instid0(VALU_DEP_2) | instskip(NEXT) | instid1(VALU_DEP_1)
	v_clz_i32_u32_e32 v0, v0
	v_min_u32_e32 v0, 32, v0
	s_delay_alu instid0(VALU_DEP_1) | instskip(NEXT) | instid1(VALU_DEP_1)
	v_subrev_nc_u32_e32 v6, 28, v0
	v_lshlrev_b64_e32 v[8:9], v6, v[36:37]
	v_sub_nc_u32_e32 v6, 29, v0
	s_delay_alu instid0(VALU_DEP_2)
	v_and_b32_e32 v0, 7, v8
; %bb.1149:                             ;   in Loop: Header=BB277_813 Depth=1
	s_or_b32 exec_lo, exec_lo, s17
	v_lshlrev_b32_e32 v8, 8, v36
	s_delay_alu instid0(VALU_DEP_3) | instskip(NEXT) | instid1(VALU_DEP_3)
	v_lshl_add_u32 v6, v6, 10, 0x2000
	v_lshlrev_b32_e32 v0, 7, v0
	s_delay_alu instid0(VALU_DEP_3) | instskip(NEXT) | instid1(VALU_DEP_3)
	v_and_b32_e32 v8, 0x8000, v8
	v_and_b32_e32 v6, 0xfc00, v6
	s_delay_alu instid0(VALU_DEP_1)
	v_or3_b32 v8, v8, v6, v0
.LBB277_1150:                           ;   in Loop: Header=BB277_813 Depth=1
	s_or_b32 exec_lo, exec_lo, s16
.LBB277_1151:                           ;   in Loop: Header=BB277_813 Depth=1
	s_delay_alu instid0(SALU_CYCLE_1)
	s_or_b32 exec_lo, exec_lo, s15
.LBB277_1152:                           ;   in Loop: Header=BB277_813 Depth=1
	s_delay_alu instid0(SALU_CYCLE_1) | instskip(SKIP_2) | instid1(VALU_DEP_1)
	s_or_b32 exec_lo, exec_lo, s14
	v_lshrrev_b16 v6, 8, v36
	s_mov_b32 s14, exec_lo
	v_cmpx_ne_u16_e32 0, v6
	s_cbranch_execz .LBB277_1160
; %bb.1153:                             ;   in Loop: Header=BB277_813 Depth=1
	v_bfrev_b32_e32 v1, 1
	s_mov_b32 s15, exec_lo
	v_cmpx_ne_u16_e32 0x80, v6
	s_cbranch_execz .LBB277_1159
; %bb.1154:                             ;   in Loop: Header=BB277_813 Depth=1
	v_and_b32_e32 v0, 0xffff, v6
	v_mov_b32_e32 v1, 0x7c010000
	s_mov_b32 s16, exec_lo
	s_delay_alu instid0(VALU_DEP_2) | instskip(NEXT) | instid1(VALU_DEP_1)
	v_and_b32_e32 v16, 0x7f, v0
	v_cmpx_ne_u32_e32 0x7f, v16
	s_cbranch_execz .LBB277_1158
; %bb.1155:                             ;   in Loop: Header=BB277_813 Depth=1
	v_and_b32_e32 v1, 7, v0
	v_lshrrev_b32_e32 v9, 3, v16
	s_mov_b32 s17, exec_lo
	v_cmpx_gt_u32_e32 8, v16
; %bb.1156:                             ;   in Loop: Header=BB277_813 Depth=1
	s_delay_alu instid0(VALU_DEP_3) | instskip(NEXT) | instid1(VALU_DEP_1)
	v_clz_i32_u32_e32 v1, v1
	v_min_u32_e32 v1, 32, v1
	s_delay_alu instid0(VALU_DEP_1) | instskip(NEXT) | instid1(VALU_DEP_1)
	v_subrev_nc_u32_e32 v9, 28, v1
	v_lshlrev_b64_e32 v[16:17], v9, v[6:7]
	s_delay_alu instid0(VALU_DEP_1)
	v_dual_sub_nc_u32 v9, 29, v1 :: v_dual_bitop2_b32 v1, 7, v16 bitop3:0x40
; %bb.1157:                             ;   in Loop: Header=BB277_813 Depth=1
	s_or_b32 exec_lo, exec_lo, s17
	s_delay_alu instid0(VALU_DEP_1) | instskip(NEXT) | instid1(VALU_DEP_2)
	v_dual_lshlrev_b32 v0, 8, v0 :: v_dual_lshlrev_b32 v1, 23, v1
	v_lshl_add_u32 v6, v9, 10, 0x2000
	s_delay_alu instid0(VALU_DEP_1) | instskip(NEXT) | instid1(VALU_DEP_1)
	v_and_or_b32 v0, 0x8000, v0, v6
	v_lshl_or_b32 v1, v0, 16, v1
.LBB277_1158:                           ;   in Loop: Header=BB277_813 Depth=1
	s_or_b32 exec_lo, exec_lo, s16
.LBB277_1159:                           ;   in Loop: Header=BB277_813 Depth=1
	s_delay_alu instid0(SALU_CYCLE_1)
	s_or_b32 exec_lo, exec_lo, s15
.LBB277_1160:                           ;   in Loop: Header=BB277_813 Depth=1
	s_delay_alu instid0(SALU_CYCLE_1) | instskip(SKIP_3) | instid1(VALU_DEP_2)
	s_or_b32 exec_lo, exec_lo, s14
	v_dual_mov_b32 v9, 0 :: v_dual_lshrrev_b32 v0, 16, v36
	v_mov_b32_e32 v16, 0
	s_mov_b32 s14, exec_lo
	v_and_b32_e32 v6, 0xff, v0
	s_delay_alu instid0(VALU_DEP_1)
	v_cmpx_ne_u16_e32 0, v6
	s_cbranch_execz .LBB277_1168
; %bb.1161:                             ;   in Loop: Header=BB277_813 Depth=1
	v_mov_b32_e32 v16, 0x8000
	s_mov_b32 s15, exec_lo
	v_cmpx_ne_u16_e32 0x80, v6
	s_cbranch_execz .LBB277_1167
; %bb.1162:                             ;   in Loop: Header=BB277_813 Depth=1
	v_bfe_u32 v17, v36, 16, 7
	v_mov_b32_e32 v16, 0x7c01
	s_mov_b32 s16, exec_lo
	s_delay_alu instid0(VALU_DEP_2)
	v_cmpx_ne_u32_e32 0x7f, v17
	s_cbranch_execz .LBB277_1166
; %bb.1163:                             ;   in Loop: Header=BB277_813 Depth=1
	v_dual_lshrrev_b32 v16, 3, v17 :: v_dual_bitop2_b32 v6, 7, v0 bitop3:0x40
	s_mov_b32 s17, exec_lo
	v_cmpx_gt_u32_e32 8, v17
; %bb.1164:                             ;   in Loop: Header=BB277_813 Depth=1
	s_delay_alu instid0(VALU_DEP_2) | instskip(NEXT) | instid1(VALU_DEP_1)
	v_clz_i32_u32_e32 v6, v6
	v_min_u32_e32 v6, 32, v6
	s_delay_alu instid0(VALU_DEP_1) | instskip(NEXT) | instid1(VALU_DEP_1)
	v_subrev_nc_u32_e32 v16, 28, v6
	v_lshlrev_b64_e32 v[18:19], v16, v[0:1]
	v_sub_nc_u32_e32 v16, 29, v6
	s_delay_alu instid0(VALU_DEP_2)
	v_and_b32_e32 v6, 7, v18
; %bb.1165:                             ;   in Loop: Header=BB277_813 Depth=1
	s_or_b32 exec_lo, exec_lo, s17
	s_delay_alu instid0(VALU_DEP_1) | instskip(NEXT) | instid1(VALU_DEP_3)
	v_dual_lshlrev_b32 v0, 8, v0 :: v_dual_lshlrev_b32 v6, 7, v6
	v_lshl_add_u32 v16, v16, 10, 0x2000
	s_delay_alu instid0(VALU_DEP_2) | instskip(NEXT) | instid1(VALU_DEP_2)
	v_and_b32_e32 v0, 0x8000, v0
	v_and_b32_e32 v16, 0xfc00, v16
	s_delay_alu instid0(VALU_DEP_1)
	v_or3_b32 v16, v0, v16, v6
.LBB277_1166:                           ;   in Loop: Header=BB277_813 Depth=1
	s_or_b32 exec_lo, exec_lo, s16
.LBB277_1167:                           ;   in Loop: Header=BB277_813 Depth=1
	s_delay_alu instid0(SALU_CYCLE_1)
	s_or_b32 exec_lo, exec_lo, s15
.LBB277_1168:                           ;   in Loop: Header=BB277_813 Depth=1
	s_delay_alu instid0(SALU_CYCLE_1) | instskip(NEXT) | instid1(SALU_CYCLE_1)
	s_or_b32 exec_lo, exec_lo, s14
	s_mov_b32 s14, exec_lo
	v_cmpx_lt_u32_e32 0xffffff, v36
	s_cbranch_execz .LBB277_1176
; %bb.1169:                             ;   in Loop: Header=BB277_813 Depth=1
	v_lshrrev_b32_e32 v6, 24, v36
	v_bfrev_b32_e32 v9, 1
	s_mov_b32 s15, exec_lo
	s_delay_alu instid0(VALU_DEP_2)
	v_cmpx_ne_u32_e32 0x80, v6
	s_cbranch_execz .LBB277_1175
; %bb.1170:                             ;   in Loop: Header=BB277_813 Depth=1
	v_and_b32_e32 v17, 0x7f, v6
	v_mov_b32_e32 v9, 0x7c010000
	s_mov_b32 s16, exec_lo
	s_delay_alu instid0(VALU_DEP_2)
	v_cmpx_ne_u32_e32 0x7f, v17
	s_cbranch_execz .LBB277_1174
; %bb.1171:                             ;   in Loop: Header=BB277_813 Depth=1
	v_dual_lshrrev_b32 v9, 3, v17 :: v_dual_bitop2_b32 v0, 7, v6 bitop3:0x40
	s_mov_b32 s17, exec_lo
	v_cmpx_gt_u32_e32 8, v17
; %bb.1172:                             ;   in Loop: Header=BB277_813 Depth=1
	s_delay_alu instid0(VALU_DEP_2) | instskip(NEXT) | instid1(VALU_DEP_1)
	v_clz_i32_u32_e32 v0, v0
	v_min_u32_e32 v0, 32, v0
	s_delay_alu instid0(VALU_DEP_1) | instskip(NEXT) | instid1(VALU_DEP_1)
	v_subrev_nc_u32_e32 v9, 28, v0
	v_lshlrev_b64_e32 v[18:19], v9, v[6:7]
	s_delay_alu instid0(VALU_DEP_1)
	v_dual_sub_nc_u32 v9, 29, v0 :: v_dual_bitop2_b32 v0, 7, v18 bitop3:0x40
; %bb.1173:                             ;   in Loop: Header=BB277_813 Depth=1
	s_or_b32 exec_lo, exec_lo, s17
	s_delay_alu instid0(VALU_DEP_1) | instskip(NEXT) | instid1(VALU_DEP_2)
	v_dual_lshlrev_b32 v6, 8, v6 :: v_dual_lshlrev_b32 v0, 23, v0
	v_lshl_add_u32 v9, v9, 10, 0x2000
	s_delay_alu instid0(VALU_DEP_1) | instskip(NEXT) | instid1(VALU_DEP_1)
	v_and_or_b32 v6, 0x8000, v6, v9
	v_lshl_or_b32 v9, v6, 16, v0
.LBB277_1174:                           ;   in Loop: Header=BB277_813 Depth=1
	s_or_b32 exec_lo, exec_lo, s16
.LBB277_1175:                           ;   in Loop: Header=BB277_813 Depth=1
	s_delay_alu instid0(SALU_CYCLE_1)
	s_or_b32 exec_lo, exec_lo, s15
.LBB277_1176:                           ;   in Loop: Header=BB277_813 Depth=1
	s_delay_alu instid0(SALU_CYCLE_1) | instskip(SKIP_4) | instid1(VALU_DEP_3)
	s_or_b32 exec_lo, exec_lo, s14
	v_and_b32_e32 v0, 0xff, v37
	v_dual_mov_b32 v6, v37 :: v_dual_mov_b32 v18, 0
	v_mov_b32_e32 v17, 0
	s_mov_b32 s14, exec_lo
	v_cmpx_ne_u16_e32 0, v0
	s_cbranch_execz .LBB277_1184
; %bb.1177:                             ;   in Loop: Header=BB277_813 Depth=1
	v_mov_b32_e32 v17, 0x8000
	s_mov_b32 s15, exec_lo
	v_cmpx_ne_u16_e32 0x80, v0
	s_cbranch_execz .LBB277_1183
; %bb.1178:                             ;   in Loop: Header=BB277_813 Depth=1
	v_and_b32_e32 v19, 0x7f, v37
	v_mov_b32_e32 v17, 0x7c01
	s_mov_b32 s16, exec_lo
	s_delay_alu instid0(VALU_DEP_2)
	v_cmpx_ne_u32_e32 0x7f, v19
	s_cbranch_execz .LBB277_1182
; %bb.1179:                             ;   in Loop: Header=BB277_813 Depth=1
	v_dual_lshrrev_b32 v17, 3, v19 :: v_dual_bitop2_b32 v0, 7, v37 bitop3:0x40
	s_mov_b32 s17, exec_lo
	v_cmpx_gt_u32_e32 8, v19
; %bb.1180:                             ;   in Loop: Header=BB277_813 Depth=1
	s_delay_alu instid0(VALU_DEP_2) | instskip(NEXT) | instid1(VALU_DEP_1)
	v_clz_i32_u32_e32 v0, v0
	v_min_u32_e32 v0, 32, v0
	s_delay_alu instid0(VALU_DEP_1) | instskip(NEXT) | instid1(VALU_DEP_1)
	v_subrev_nc_u32_e32 v17, 28, v0
	v_lshlrev_b64_e32 v[22:23], v17, v[6:7]
	s_delay_alu instid0(VALU_DEP_1)
	v_dual_sub_nc_u32 v17, 29, v0 :: v_dual_bitop2_b32 v0, 7, v22 bitop3:0x40
; %bb.1181:                             ;   in Loop: Header=BB277_813 Depth=1
	s_or_b32 exec_lo, exec_lo, s17
	s_delay_alu instid0(VALU_DEP_1) | instskip(NEXT) | instid1(VALU_DEP_2)
	v_dual_lshlrev_b32 v19, 8, v37 :: v_dual_lshlrev_b32 v0, 7, v0
	v_lshl_add_u32 v17, v17, 10, 0x2000
	s_delay_alu instid0(VALU_DEP_2) | instskip(NEXT) | instid1(VALU_DEP_2)
	v_and_b32_e32 v19, 0x8000, v19
	v_and_b32_e32 v17, 0xfc00, v17
	s_delay_alu instid0(VALU_DEP_1)
	v_or3_b32 v17, v19, v17, v0
.LBB277_1182:                           ;   in Loop: Header=BB277_813 Depth=1
	s_or_b32 exec_lo, exec_lo, s16
.LBB277_1183:                           ;   in Loop: Header=BB277_813 Depth=1
	s_delay_alu instid0(SALU_CYCLE_1)
	s_or_b32 exec_lo, exec_lo, s15
.LBB277_1184:                           ;   in Loop: Header=BB277_813 Depth=1
	s_delay_alu instid0(SALU_CYCLE_1) | instskip(SKIP_3) | instid1(VALU_DEP_2)
	s_or_b32 exec_lo, exec_lo, s14
	v_lshrrev_b16 v6, 8, v6
	v_mov_b32_e32 v19, 0
	s_mov_b32 s14, exec_lo
	v_cmpx_ne_u16_e32 0, v6
	s_cbranch_execz .LBB277_1192
; %bb.1185:                             ;   in Loop: Header=BB277_813 Depth=1
	v_bfrev_b32_e32 v19, 1
	s_mov_b32 s15, exec_lo
	v_cmpx_ne_u16_e32 0x80, v6
	s_cbranch_execz .LBB277_1191
; %bb.1186:                             ;   in Loop: Header=BB277_813 Depth=1
	v_and_b32_e32 v0, 0xffff, v6
	v_mov_b32_e32 v19, 0x7c010000
	s_mov_b32 s16, exec_lo
	s_delay_alu instid0(VALU_DEP_2) | instskip(NEXT) | instid1(VALU_DEP_1)
	v_and_b32_e32 v23, 0x7f, v0
	v_cmpx_ne_u32_e32 0x7f, v23
	s_cbranch_execz .LBB277_1190
; %bb.1187:                             ;   in Loop: Header=BB277_813 Depth=1
	v_dual_lshrrev_b32 v22, 3, v23 :: v_dual_bitop2_b32 v19, 7, v0 bitop3:0x40
	s_mov_b32 s17, exec_lo
	v_cmpx_gt_u32_e32 8, v23
; %bb.1188:                             ;   in Loop: Header=BB277_813 Depth=1
	s_delay_alu instid0(VALU_DEP_2) | instskip(NEXT) | instid1(VALU_DEP_1)
	v_clz_i32_u32_e32 v19, v19
	v_min_u32_e32 v19, 32, v19
	s_delay_alu instid0(VALU_DEP_1) | instskip(NEXT) | instid1(VALU_DEP_1)
	v_subrev_nc_u32_e32 v22, 28, v19
	v_lshlrev_b64_e32 v[38:39], v22, v[6:7]
	s_delay_alu instid0(VALU_DEP_1)
	v_dual_sub_nc_u32 v22, 29, v19 :: v_dual_bitop2_b32 v19, 7, v38 bitop3:0x40
; %bb.1189:                             ;   in Loop: Header=BB277_813 Depth=1
	s_or_b32 exec_lo, exec_lo, s17
	v_lshlrev_b32_e32 v0, 8, v0
	s_delay_alu instid0(VALU_DEP_2) | instskip(NEXT) | instid1(VALU_DEP_1)
	v_lshl_add_u32 v6, v22, 10, 0x2000
	v_and_or_b32 v0, 0x8000, v0, v6
	v_lshlrev_b32_e32 v6, 23, v19
	s_delay_alu instid0(VALU_DEP_1)
	v_lshl_or_b32 v19, v0, 16, v6
.LBB277_1190:                           ;   in Loop: Header=BB277_813 Depth=1
	s_or_b32 exec_lo, exec_lo, s16
.LBB277_1191:                           ;   in Loop: Header=BB277_813 Depth=1
	s_delay_alu instid0(SALU_CYCLE_1)
	s_or_b32 exec_lo, exec_lo, s15
.LBB277_1192:                           ;   in Loop: Header=BB277_813 Depth=1
	s_delay_alu instid0(SALU_CYCLE_1) | instskip(SKIP_2) | instid1(VALU_DEP_1)
	s_or_b32 exec_lo, exec_lo, s14
	v_lshrrev_b32_e32 v0, 16, v37
	s_mov_b32 s14, exec_lo
	v_and_b32_e32 v6, 0xff, v0
	s_delay_alu instid0(VALU_DEP_1)
	v_cmpx_ne_u16_e32 0, v6
	s_cbranch_execz .LBB277_1200
; %bb.1193:                             ;   in Loop: Header=BB277_813 Depth=1
	v_mov_b32_e32 v18, 0x8000
	s_mov_b32 s15, exec_lo
	v_cmpx_ne_u16_e32 0x80, v6
	s_cbranch_execz .LBB277_1199
; %bb.1194:                             ;   in Loop: Header=BB277_813 Depth=1
	v_bfe_u32 v22, v37, 16, 7
	v_mov_b32_e32 v18, 0x7c01
	s_mov_b32 s16, exec_lo
	s_delay_alu instid0(VALU_DEP_2)
	v_cmpx_ne_u32_e32 0x7f, v22
	s_cbranch_execz .LBB277_1198
; %bb.1195:                             ;   in Loop: Header=BB277_813 Depth=1
	v_dual_lshrrev_b32 v18, 3, v22 :: v_dual_bitop2_b32 v6, 7, v0 bitop3:0x40
	s_mov_b32 s17, exec_lo
	v_cmpx_gt_u32_e32 8, v22
; %bb.1196:                             ;   in Loop: Header=BB277_813 Depth=1
	s_delay_alu instid0(VALU_DEP_2) | instskip(NEXT) | instid1(VALU_DEP_1)
	v_clz_i32_u32_e32 v6, v6
	v_min_u32_e32 v6, 32, v6
	s_delay_alu instid0(VALU_DEP_1) | instskip(NEXT) | instid1(VALU_DEP_1)
	v_subrev_nc_u32_e32 v18, 28, v6
	v_lshlrev_b64_e32 v[22:23], v18, v[0:1]
	v_sub_nc_u32_e32 v18, 29, v6
	s_delay_alu instid0(VALU_DEP_2)
	v_and_b32_e32 v6, 7, v22
; %bb.1197:                             ;   in Loop: Header=BB277_813 Depth=1
	s_or_b32 exec_lo, exec_lo, s17
	s_delay_alu instid0(VALU_DEP_1) | instskip(NEXT) | instid1(VALU_DEP_3)
	v_dual_lshlrev_b32 v0, 8, v0 :: v_dual_lshlrev_b32 v6, 7, v6
	v_lshl_add_u32 v18, v18, 10, 0x2000
	s_delay_alu instid0(VALU_DEP_2) | instskip(NEXT) | instid1(VALU_DEP_2)
	v_and_b32_e32 v0, 0x8000, v0
	v_and_b32_e32 v18, 0xfc00, v18
	s_delay_alu instid0(VALU_DEP_1)
	v_or3_b32 v18, v0, v18, v6
.LBB277_1198:                           ;   in Loop: Header=BB277_813 Depth=1
	s_or_b32 exec_lo, exec_lo, s16
.LBB277_1199:                           ;   in Loop: Header=BB277_813 Depth=1
	s_delay_alu instid0(SALU_CYCLE_1)
	s_or_b32 exec_lo, exec_lo, s15
.LBB277_1200:                           ;   in Loop: Header=BB277_813 Depth=1
	s_delay_alu instid0(SALU_CYCLE_1)
	s_or_b32 exec_lo, exec_lo, s14
	v_mov_b32_e32 v0, 0
	s_mov_b32 s14, exec_lo
	v_cmpx_lt_u64_e64 s[2:3], v[36:37]
	s_cbranch_execz .LBB277_1208
; %bb.1201:                             ;   in Loop: Header=BB277_813 Depth=1
	v_lshrrev_b32_e32 v6, 24, v37
	v_bfrev_b32_e32 v0, 1
	s_mov_b32 s15, exec_lo
	s_delay_alu instid0(VALU_DEP_2)
	v_cmpx_ne_u32_e32 0x80, v6
	s_cbranch_execz .LBB277_1207
; %bb.1202:                             ;   in Loop: Header=BB277_813 Depth=1
	v_and_b32_e32 v23, 0x7f, v6
	v_mov_b32_e32 v0, 0x7c010000
	s_mov_b32 s16, exec_lo
	s_delay_alu instid0(VALU_DEP_2)
	v_cmpx_ne_u32_e32 0x7f, v23
	s_cbranch_execz .LBB277_1206
; %bb.1203:                             ;   in Loop: Header=BB277_813 Depth=1
	v_dual_lshrrev_b32 v22, 3, v23 :: v_dual_bitop2_b32 v0, 7, v6 bitop3:0x40
	s_mov_b32 s17, exec_lo
	v_cmpx_gt_u32_e32 8, v23
; %bb.1204:                             ;   in Loop: Header=BB277_813 Depth=1
	s_delay_alu instid0(VALU_DEP_2) | instskip(NEXT) | instid1(VALU_DEP_1)
	v_clz_i32_u32_e32 v0, v0
	v_min_u32_e32 v0, 32, v0
	s_delay_alu instid0(VALU_DEP_1) | instskip(NEXT) | instid1(VALU_DEP_1)
	v_subrev_nc_u32_e32 v22, 28, v0
	v_lshlrev_b64_e32 v[36:37], v22, v[6:7]
	v_sub_nc_u32_e32 v22, 29, v0
	s_delay_alu instid0(VALU_DEP_2)
	v_and_b32_e32 v0, 7, v36
; %bb.1205:                             ;   in Loop: Header=BB277_813 Depth=1
	s_or_b32 exec_lo, exec_lo, s17
	s_delay_alu instid0(VALU_DEP_1) | instskip(NEXT) | instid1(VALU_DEP_3)
	v_dual_lshlrev_b32 v6, 8, v6 :: v_dual_lshlrev_b32 v0, 23, v0
	v_lshl_add_u32 v22, v22, 10, 0x2000
	s_delay_alu instid0(VALU_DEP_1) | instskip(NEXT) | instid1(VALU_DEP_1)
	v_and_or_b32 v6, 0x8000, v6, v22
	v_lshl_or_b32 v0, v6, 16, v0
.LBB277_1206:                           ;   in Loop: Header=BB277_813 Depth=1
	s_or_b32 exec_lo, exec_lo, s16
.LBB277_1207:                           ;   in Loop: Header=BB277_813 Depth=1
	s_delay_alu instid0(SALU_CYCLE_1)
	s_or_b32 exec_lo, exec_lo, s15
.LBB277_1208:                           ;   in Loop: Header=BB277_813 Depth=1
	s_delay_alu instid0(SALU_CYCLE_1) | instskip(SKIP_2) | instid1(VALU_DEP_2)
	s_or_b32 exec_lo, exec_lo, s14
	v_dual_lshrrev_b32 v6, 16, v1 :: v_dual_bitop2_b32 v1, v1, v8 bitop3:0x54
	v_dual_lshrrev_b32 v22, 16, v9 :: v_dual_bitop2_b32 v16, v9, v16 bitop3:0x54
	v_cvt_f32_f16_e32 v9, v6
	v_dual_lshrrev_b32 v18, 16, v19 :: v_dual_bitop2_b32 v6, v0, v18 bitop3:0x54
	s_delay_alu instid0(VALU_DEP_3)
	v_cvt_f32_f16_e32 v8, v22
	v_dual_lshrrev_b32 v22, 16, v0 :: v_dual_bitop2_b32 v19, v19, v17 bitop3:0x54
	v_cvt_f32_f16_e32 v0, v16
	v_cvt_f32_f16_e32 v1, v1
	s_wait_loadcnt_dscnt 0x0
	v_pk_mul_f32 v[8:9], v[34:35], v[8:9] op_sel_hi:[0,1]
	v_cvt_f32_f16_e32 v17, v18
	v_cvt_f32_f16_e32 v16, v22
	;; [unrolled: 1-line block ×4, first 2 shown]
	v_pk_mul_f32 v[0:1], v[34:35], v[0:1] op_sel_hi:[0,1]
	v_cvt_pk_f16_f32 v6, v8, v9
	v_pk_mul_f32 v[8:9], v[34:35], v[16:17] op_sel_hi:[0,1]
	s_delay_alu instid0(VALU_DEP_4) | instskip(NEXT) | instid1(VALU_DEP_4)
	v_pk_mul_f32 v[16:17], v[34:35], v[18:19] op_sel_hi:[0,1]
	v_cvt_pk_f16_f32 v0, v0, v1
	s_delay_alu instid0(VALU_DEP_4) | instskip(NEXT) | instid1(VALU_DEP_4)
	v_and_b32_e32 v19, 0xffff0000, v6
	v_cvt_pk_f16_f32 v8, v8, v9
	v_lshlrev_b32_e32 v34, 16, v6
	v_cvt_pk_f16_f32 v6, v16, v17
	v_lshrrev_b32_e32 v39, 16, v0
	v_and_b32_e32 v48, 0xffff, v0
	v_and_b32_e32 v1, 0xffff0000, v8
	s_delay_alu instid0(VALU_DEP_4) | instskip(SKIP_3) | instid1(VALU_DEP_4)
	v_dual_lshlrev_b32 v0, 16, v8 :: v_dual_lshrrev_b32 v9, 16, v6
	v_and_b32_e32 v6, 0xffff, v6
	v_or_b32_e32 v37, v19, v39
	v_or_b32_e32 v38, v34, v48
	v_or_b32_e32 v35, v1, v9
	s_delay_alu instid0(VALU_DEP_4)
	v_or_b32_e32 v36, v0, v6
	s_and_saveexec_b32 s14, vcc_lo
	s_cbranch_execz .LBB277_1210
; %bb.1209:                             ;   in Loop: Header=BB277_813 Depth=1
	v_cmp_lt_i32_e64 s0, v65, v13
	s_delay_alu instid0(VALU_DEP_1) | instskip(SKIP_1) | instid1(VALU_DEP_1)
	v_cndmask_b32_e64 v8, 0, v39, s0
	v_cmp_lt_i32_e64 s0, v80, v12
	v_cndmask_b32_e64 v16, 0, v48, s0
	v_cmp_lt_i32_e64 s0, v71, v13
	s_delay_alu instid0(VALU_DEP_1) | instskip(SKIP_1) | instid1(VALU_DEP_1)
	v_cndmask_b32_e64 v17, 0, v19, s0
	v_cmp_lt_i32_e64 s0, v70, v12
	v_cndmask_b32_e64 v18, 0, v34, s0
	v_cmp_lt_i32_e64 s0, v69, v13
	s_delay_alu instid0(VALU_DEP_4) | instskip(NEXT) | instid1(VALU_DEP_2)
	v_or_b32_e32 v37, v8, v17
	v_dual_cndmask_b32 v9, 0, v9, s0 :: v_dual_bitop2_b32 v38, v16, v18 bitop3:0x54
	v_cmp_lt_i32_e64 s0, v68, v12
	s_delay_alu instid0(VALU_DEP_1) | instskip(SKIP_1) | instid1(VALU_DEP_1)
	v_cndmask_b32_e64 v6, 0, v6, s0
	v_cmp_lt_i32_e64 s0, v67, v13
	v_cndmask_b32_e64 v1, 0, v1, s0
	v_cmp_lt_i32_e64 s0, v66, v12
	s_delay_alu instid0(VALU_DEP_1) | instskip(NEXT) | instid1(VALU_DEP_1)
	v_dual_cndmask_b32 v0, 0, v0, s0 :: v_dual_bitop2_b32 v35, v9, v1 bitop3:0x54
	v_or_b32_e32 v36, v6, v0
.LBB277_1210:                           ;   in Loop: Header=BB277_813 Depth=1
	s_or_b32 exec_lo, exec_lo, s14
	;;#ASMSTART
	v_pk_mul_f16 v0, v85, v37;

	;;#ASMEND
	;;#ASMSTART
	v_pk_mul_f16 v1, v83, v38;

	;;#ASMEND
	;; [unrolled: 4-line block ×4, first 2 shown]
	;;#ASMSTART
	v_pk_add_f16 v0, v0, v1;

	;;#ASMEND
	;;#ASMSTART
	v_pk_add_f16 v0, v0, v6;

	;;#ASMEND
	;; [unrolled: 4-line block ×3, first 2 shown]
	v_and_b32_e32 v1, 0xffff, v0
	v_lshrrev_b32_e32 v0, 16, v0
	;;#ASMSTART
	v_cvt_f32_f16 v103, v1;
	;;#ASMEND
	;;#ASMSTART
	v_cvt_f32_f16 v112, v0;
	;;#ASMEND
	flat_load_b64 v[36:37], v[28:29] offset:1536
	scratch_load_b64 v[0:1], off, s32 offset:192 ; 8-byte Folded Reload
	v_mov_b32_e32 v8, 0
	s_mov_b32 s14, exec_lo
	s_wait_loadcnt 0x0
	flat_load_b32 v34, v[0:1]
	s_wait_dscnt 0x1
	s_wait_xcnt 0x0
	v_and_b32_e32 v0, 0xff, v36
	v_mov_b32_e32 v1, 0
	s_delay_alu instid0(VALU_DEP_2)
	v_cmpx_ne_u16_e32 0, v0
	s_cbranch_execz .LBB277_1218
; %bb.1211:                             ;   in Loop: Header=BB277_813 Depth=1
	v_mov_b32_e32 v8, 0x8000
	s_mov_b32 s15, exec_lo
	v_cmpx_ne_u16_e32 0x80, v0
	s_cbranch_execz .LBB277_1217
; %bb.1212:                             ;   in Loop: Header=BB277_813 Depth=1
	v_and_b32_e32 v9, 0x7f, v36
	v_mov_b32_e32 v8, 0x7c01
	s_mov_b32 s16, exec_lo
	s_delay_alu instid0(VALU_DEP_2)
	v_cmpx_ne_u32_e32 0x7f, v9
	s_cbranch_execz .LBB277_1216
; %bb.1213:                             ;   in Loop: Header=BB277_813 Depth=1
	v_dual_lshrrev_b32 v6, 3, v9 :: v_dual_bitop2_b32 v0, 7, v36 bitop3:0x40
	s_mov_b32 s17, exec_lo
	v_cmpx_gt_u32_e32 8, v9
; %bb.1214:                             ;   in Loop: Header=BB277_813 Depth=1
	s_delay_alu instid0(VALU_DEP_2) | instskip(NEXT) | instid1(VALU_DEP_1)
	v_clz_i32_u32_e32 v0, v0
	v_min_u32_e32 v0, 32, v0
	s_delay_alu instid0(VALU_DEP_1) | instskip(NEXT) | instid1(VALU_DEP_1)
	v_subrev_nc_u32_e32 v6, 28, v0
	v_lshlrev_b64_e32 v[8:9], v6, v[36:37]
	v_sub_nc_u32_e32 v6, 29, v0
	s_delay_alu instid0(VALU_DEP_2)
	v_and_b32_e32 v0, 7, v8
; %bb.1215:                             ;   in Loop: Header=BB277_813 Depth=1
	s_or_b32 exec_lo, exec_lo, s17
	v_lshlrev_b32_e32 v8, 8, v36
	s_delay_alu instid0(VALU_DEP_3) | instskip(NEXT) | instid1(VALU_DEP_3)
	v_lshl_add_u32 v6, v6, 10, 0x2000
	v_lshlrev_b32_e32 v0, 7, v0
	s_delay_alu instid0(VALU_DEP_3) | instskip(NEXT) | instid1(VALU_DEP_3)
	v_and_b32_e32 v8, 0x8000, v8
	v_and_b32_e32 v6, 0xfc00, v6
	s_delay_alu instid0(VALU_DEP_1)
	v_or3_b32 v8, v8, v6, v0
.LBB277_1216:                           ;   in Loop: Header=BB277_813 Depth=1
	s_or_b32 exec_lo, exec_lo, s16
.LBB277_1217:                           ;   in Loop: Header=BB277_813 Depth=1
	s_delay_alu instid0(SALU_CYCLE_1)
	s_or_b32 exec_lo, exec_lo, s15
.LBB277_1218:                           ;   in Loop: Header=BB277_813 Depth=1
	s_delay_alu instid0(SALU_CYCLE_1) | instskip(SKIP_2) | instid1(VALU_DEP_1)
	s_or_b32 exec_lo, exec_lo, s14
	v_lshrrev_b16 v6, 8, v36
	s_mov_b32 s14, exec_lo
	v_cmpx_ne_u16_e32 0, v6
	s_cbranch_execz .LBB277_1226
; %bb.1219:                             ;   in Loop: Header=BB277_813 Depth=1
	v_bfrev_b32_e32 v1, 1
	s_mov_b32 s15, exec_lo
	v_cmpx_ne_u16_e32 0x80, v6
	s_cbranch_execz .LBB277_1225
; %bb.1220:                             ;   in Loop: Header=BB277_813 Depth=1
	v_and_b32_e32 v0, 0xffff, v6
	v_mov_b32_e32 v1, 0x7c010000
	s_mov_b32 s16, exec_lo
	s_delay_alu instid0(VALU_DEP_2) | instskip(NEXT) | instid1(VALU_DEP_1)
	v_and_b32_e32 v16, 0x7f, v0
	v_cmpx_ne_u32_e32 0x7f, v16
	s_cbranch_execz .LBB277_1224
; %bb.1221:                             ;   in Loop: Header=BB277_813 Depth=1
	v_and_b32_e32 v1, 7, v0
	v_lshrrev_b32_e32 v9, 3, v16
	s_mov_b32 s17, exec_lo
	v_cmpx_gt_u32_e32 8, v16
; %bb.1222:                             ;   in Loop: Header=BB277_813 Depth=1
	s_delay_alu instid0(VALU_DEP_3) | instskip(NEXT) | instid1(VALU_DEP_1)
	v_clz_i32_u32_e32 v1, v1
	v_min_u32_e32 v1, 32, v1
	s_delay_alu instid0(VALU_DEP_1) | instskip(NEXT) | instid1(VALU_DEP_1)
	v_subrev_nc_u32_e32 v9, 28, v1
	v_lshlrev_b64_e32 v[16:17], v9, v[6:7]
	s_delay_alu instid0(VALU_DEP_1)
	v_dual_sub_nc_u32 v9, 29, v1 :: v_dual_bitop2_b32 v1, 7, v16 bitop3:0x40
; %bb.1223:                             ;   in Loop: Header=BB277_813 Depth=1
	s_or_b32 exec_lo, exec_lo, s17
	s_delay_alu instid0(VALU_DEP_1) | instskip(NEXT) | instid1(VALU_DEP_2)
	v_dual_lshlrev_b32 v0, 8, v0 :: v_dual_lshlrev_b32 v1, 23, v1
	v_lshl_add_u32 v6, v9, 10, 0x2000
	s_delay_alu instid0(VALU_DEP_1) | instskip(NEXT) | instid1(VALU_DEP_1)
	v_and_or_b32 v0, 0x8000, v0, v6
	v_lshl_or_b32 v1, v0, 16, v1
.LBB277_1224:                           ;   in Loop: Header=BB277_813 Depth=1
	s_or_b32 exec_lo, exec_lo, s16
.LBB277_1225:                           ;   in Loop: Header=BB277_813 Depth=1
	s_delay_alu instid0(SALU_CYCLE_1)
	s_or_b32 exec_lo, exec_lo, s15
.LBB277_1226:                           ;   in Loop: Header=BB277_813 Depth=1
	s_delay_alu instid0(SALU_CYCLE_1) | instskip(SKIP_3) | instid1(VALU_DEP_2)
	s_or_b32 exec_lo, exec_lo, s14
	v_dual_mov_b32 v9, 0 :: v_dual_lshrrev_b32 v0, 16, v36
	v_mov_b32_e32 v16, 0
	s_mov_b32 s14, exec_lo
	v_and_b32_e32 v6, 0xff, v0
	s_delay_alu instid0(VALU_DEP_1)
	v_cmpx_ne_u16_e32 0, v6
	s_cbranch_execz .LBB277_1234
; %bb.1227:                             ;   in Loop: Header=BB277_813 Depth=1
	v_mov_b32_e32 v16, 0x8000
	s_mov_b32 s15, exec_lo
	v_cmpx_ne_u16_e32 0x80, v6
	s_cbranch_execz .LBB277_1233
; %bb.1228:                             ;   in Loop: Header=BB277_813 Depth=1
	v_bfe_u32 v17, v36, 16, 7
	v_mov_b32_e32 v16, 0x7c01
	s_mov_b32 s16, exec_lo
	s_delay_alu instid0(VALU_DEP_2)
	v_cmpx_ne_u32_e32 0x7f, v17
	s_cbranch_execz .LBB277_1232
; %bb.1229:                             ;   in Loop: Header=BB277_813 Depth=1
	v_dual_lshrrev_b32 v16, 3, v17 :: v_dual_bitop2_b32 v6, 7, v0 bitop3:0x40
	s_mov_b32 s17, exec_lo
	v_cmpx_gt_u32_e32 8, v17
; %bb.1230:                             ;   in Loop: Header=BB277_813 Depth=1
	s_delay_alu instid0(VALU_DEP_2) | instskip(NEXT) | instid1(VALU_DEP_1)
	v_clz_i32_u32_e32 v6, v6
	v_min_u32_e32 v6, 32, v6
	s_delay_alu instid0(VALU_DEP_1) | instskip(NEXT) | instid1(VALU_DEP_1)
	v_subrev_nc_u32_e32 v16, 28, v6
	v_lshlrev_b64_e32 v[18:19], v16, v[0:1]
	v_sub_nc_u32_e32 v16, 29, v6
	s_delay_alu instid0(VALU_DEP_2)
	v_and_b32_e32 v6, 7, v18
; %bb.1231:                             ;   in Loop: Header=BB277_813 Depth=1
	s_or_b32 exec_lo, exec_lo, s17
	s_delay_alu instid0(VALU_DEP_1) | instskip(NEXT) | instid1(VALU_DEP_3)
	v_dual_lshlrev_b32 v0, 8, v0 :: v_dual_lshlrev_b32 v6, 7, v6
	v_lshl_add_u32 v16, v16, 10, 0x2000
	s_delay_alu instid0(VALU_DEP_2) | instskip(NEXT) | instid1(VALU_DEP_2)
	v_and_b32_e32 v0, 0x8000, v0
	v_and_b32_e32 v16, 0xfc00, v16
	s_delay_alu instid0(VALU_DEP_1)
	v_or3_b32 v16, v0, v16, v6
.LBB277_1232:                           ;   in Loop: Header=BB277_813 Depth=1
	s_or_b32 exec_lo, exec_lo, s16
.LBB277_1233:                           ;   in Loop: Header=BB277_813 Depth=1
	s_delay_alu instid0(SALU_CYCLE_1)
	s_or_b32 exec_lo, exec_lo, s15
.LBB277_1234:                           ;   in Loop: Header=BB277_813 Depth=1
	s_delay_alu instid0(SALU_CYCLE_1) | instskip(NEXT) | instid1(SALU_CYCLE_1)
	s_or_b32 exec_lo, exec_lo, s14
	s_mov_b32 s14, exec_lo
	v_cmpx_lt_u32_e32 0xffffff, v36
	s_cbranch_execz .LBB277_1242
; %bb.1235:                             ;   in Loop: Header=BB277_813 Depth=1
	v_lshrrev_b32_e32 v6, 24, v36
	v_bfrev_b32_e32 v9, 1
	s_mov_b32 s15, exec_lo
	s_delay_alu instid0(VALU_DEP_2)
	v_cmpx_ne_u32_e32 0x80, v6
	s_cbranch_execz .LBB277_1241
; %bb.1236:                             ;   in Loop: Header=BB277_813 Depth=1
	v_and_b32_e32 v17, 0x7f, v6
	v_mov_b32_e32 v9, 0x7c010000
	s_mov_b32 s16, exec_lo
	s_delay_alu instid0(VALU_DEP_2)
	v_cmpx_ne_u32_e32 0x7f, v17
	s_cbranch_execz .LBB277_1240
; %bb.1237:                             ;   in Loop: Header=BB277_813 Depth=1
	v_dual_lshrrev_b32 v9, 3, v17 :: v_dual_bitop2_b32 v0, 7, v6 bitop3:0x40
	s_mov_b32 s17, exec_lo
	v_cmpx_gt_u32_e32 8, v17
; %bb.1238:                             ;   in Loop: Header=BB277_813 Depth=1
	s_delay_alu instid0(VALU_DEP_2) | instskip(NEXT) | instid1(VALU_DEP_1)
	v_clz_i32_u32_e32 v0, v0
	v_min_u32_e32 v0, 32, v0
	s_delay_alu instid0(VALU_DEP_1) | instskip(NEXT) | instid1(VALU_DEP_1)
	v_subrev_nc_u32_e32 v9, 28, v0
	v_lshlrev_b64_e32 v[18:19], v9, v[6:7]
	s_delay_alu instid0(VALU_DEP_1)
	v_dual_sub_nc_u32 v9, 29, v0 :: v_dual_bitop2_b32 v0, 7, v18 bitop3:0x40
; %bb.1239:                             ;   in Loop: Header=BB277_813 Depth=1
	s_or_b32 exec_lo, exec_lo, s17
	s_delay_alu instid0(VALU_DEP_1) | instskip(NEXT) | instid1(VALU_DEP_2)
	v_dual_lshlrev_b32 v6, 8, v6 :: v_dual_lshlrev_b32 v0, 23, v0
	v_lshl_add_u32 v9, v9, 10, 0x2000
	s_delay_alu instid0(VALU_DEP_1) | instskip(NEXT) | instid1(VALU_DEP_1)
	v_and_or_b32 v6, 0x8000, v6, v9
	v_lshl_or_b32 v9, v6, 16, v0
.LBB277_1240:                           ;   in Loop: Header=BB277_813 Depth=1
	s_or_b32 exec_lo, exec_lo, s16
.LBB277_1241:                           ;   in Loop: Header=BB277_813 Depth=1
	s_delay_alu instid0(SALU_CYCLE_1)
	s_or_b32 exec_lo, exec_lo, s15
.LBB277_1242:                           ;   in Loop: Header=BB277_813 Depth=1
	s_delay_alu instid0(SALU_CYCLE_1) | instskip(SKIP_4) | instid1(VALU_DEP_3)
	s_or_b32 exec_lo, exec_lo, s14
	v_and_b32_e32 v0, 0xff, v37
	v_dual_mov_b32 v6, v37 :: v_dual_mov_b32 v18, 0
	v_mov_b32_e32 v17, 0
	s_mov_b32 s14, exec_lo
	v_cmpx_ne_u16_e32 0, v0
	s_cbranch_execz .LBB277_1250
; %bb.1243:                             ;   in Loop: Header=BB277_813 Depth=1
	v_mov_b32_e32 v17, 0x8000
	s_mov_b32 s15, exec_lo
	v_cmpx_ne_u16_e32 0x80, v0
	s_cbranch_execz .LBB277_1249
; %bb.1244:                             ;   in Loop: Header=BB277_813 Depth=1
	v_and_b32_e32 v19, 0x7f, v37
	v_mov_b32_e32 v17, 0x7c01
	s_mov_b32 s16, exec_lo
	s_delay_alu instid0(VALU_DEP_2)
	v_cmpx_ne_u32_e32 0x7f, v19
	s_cbranch_execz .LBB277_1248
; %bb.1245:                             ;   in Loop: Header=BB277_813 Depth=1
	v_dual_lshrrev_b32 v17, 3, v19 :: v_dual_bitop2_b32 v0, 7, v37 bitop3:0x40
	s_mov_b32 s17, exec_lo
	v_cmpx_gt_u32_e32 8, v19
; %bb.1246:                             ;   in Loop: Header=BB277_813 Depth=1
	s_delay_alu instid0(VALU_DEP_2) | instskip(NEXT) | instid1(VALU_DEP_1)
	v_clz_i32_u32_e32 v0, v0
	v_min_u32_e32 v0, 32, v0
	s_delay_alu instid0(VALU_DEP_1) | instskip(NEXT) | instid1(VALU_DEP_1)
	v_subrev_nc_u32_e32 v17, 28, v0
	v_lshlrev_b64_e32 v[22:23], v17, v[6:7]
	s_delay_alu instid0(VALU_DEP_1)
	v_dual_sub_nc_u32 v17, 29, v0 :: v_dual_bitop2_b32 v0, 7, v22 bitop3:0x40
; %bb.1247:                             ;   in Loop: Header=BB277_813 Depth=1
	s_or_b32 exec_lo, exec_lo, s17
	s_delay_alu instid0(VALU_DEP_1) | instskip(NEXT) | instid1(VALU_DEP_2)
	v_dual_lshlrev_b32 v19, 8, v37 :: v_dual_lshlrev_b32 v0, 7, v0
	v_lshl_add_u32 v17, v17, 10, 0x2000
	s_delay_alu instid0(VALU_DEP_2) | instskip(NEXT) | instid1(VALU_DEP_2)
	v_and_b32_e32 v19, 0x8000, v19
	v_and_b32_e32 v17, 0xfc00, v17
	s_delay_alu instid0(VALU_DEP_1)
	v_or3_b32 v17, v19, v17, v0
.LBB277_1248:                           ;   in Loop: Header=BB277_813 Depth=1
	s_or_b32 exec_lo, exec_lo, s16
.LBB277_1249:                           ;   in Loop: Header=BB277_813 Depth=1
	s_delay_alu instid0(SALU_CYCLE_1)
	s_or_b32 exec_lo, exec_lo, s15
.LBB277_1250:                           ;   in Loop: Header=BB277_813 Depth=1
	s_delay_alu instid0(SALU_CYCLE_1) | instskip(SKIP_3) | instid1(VALU_DEP_2)
	s_or_b32 exec_lo, exec_lo, s14
	v_lshrrev_b16 v6, 8, v6
	v_mov_b32_e32 v19, 0
	s_mov_b32 s14, exec_lo
	v_cmpx_ne_u16_e32 0, v6
	s_cbranch_execz .LBB277_1258
; %bb.1251:                             ;   in Loop: Header=BB277_813 Depth=1
	v_bfrev_b32_e32 v19, 1
	s_mov_b32 s15, exec_lo
	v_cmpx_ne_u16_e32 0x80, v6
	s_cbranch_execz .LBB277_1257
; %bb.1252:                             ;   in Loop: Header=BB277_813 Depth=1
	v_and_b32_e32 v0, 0xffff, v6
	v_mov_b32_e32 v19, 0x7c010000
	s_mov_b32 s16, exec_lo
	s_delay_alu instid0(VALU_DEP_2) | instskip(NEXT) | instid1(VALU_DEP_1)
	v_and_b32_e32 v23, 0x7f, v0
	v_cmpx_ne_u32_e32 0x7f, v23
	s_cbranch_execz .LBB277_1256
; %bb.1253:                             ;   in Loop: Header=BB277_813 Depth=1
	v_dual_lshrrev_b32 v22, 3, v23 :: v_dual_bitop2_b32 v19, 7, v0 bitop3:0x40
	s_mov_b32 s17, exec_lo
	v_cmpx_gt_u32_e32 8, v23
; %bb.1254:                             ;   in Loop: Header=BB277_813 Depth=1
	s_delay_alu instid0(VALU_DEP_2) | instskip(NEXT) | instid1(VALU_DEP_1)
	v_clz_i32_u32_e32 v19, v19
	v_min_u32_e32 v19, 32, v19
	s_delay_alu instid0(VALU_DEP_1) | instskip(NEXT) | instid1(VALU_DEP_1)
	v_subrev_nc_u32_e32 v22, 28, v19
	v_lshlrev_b64_e32 v[38:39], v22, v[6:7]
	s_delay_alu instid0(VALU_DEP_1)
	v_dual_sub_nc_u32 v22, 29, v19 :: v_dual_bitop2_b32 v19, 7, v38 bitop3:0x40
; %bb.1255:                             ;   in Loop: Header=BB277_813 Depth=1
	s_or_b32 exec_lo, exec_lo, s17
	v_lshlrev_b32_e32 v0, 8, v0
	s_delay_alu instid0(VALU_DEP_2) | instskip(NEXT) | instid1(VALU_DEP_1)
	v_lshl_add_u32 v6, v22, 10, 0x2000
	v_and_or_b32 v0, 0x8000, v0, v6
	v_lshlrev_b32_e32 v6, 23, v19
	s_delay_alu instid0(VALU_DEP_1)
	v_lshl_or_b32 v19, v0, 16, v6
.LBB277_1256:                           ;   in Loop: Header=BB277_813 Depth=1
	s_or_b32 exec_lo, exec_lo, s16
.LBB277_1257:                           ;   in Loop: Header=BB277_813 Depth=1
	s_delay_alu instid0(SALU_CYCLE_1)
	s_or_b32 exec_lo, exec_lo, s15
.LBB277_1258:                           ;   in Loop: Header=BB277_813 Depth=1
	s_delay_alu instid0(SALU_CYCLE_1) | instskip(SKIP_2) | instid1(VALU_DEP_1)
	s_or_b32 exec_lo, exec_lo, s14
	v_lshrrev_b32_e32 v0, 16, v37
	s_mov_b32 s14, exec_lo
	v_and_b32_e32 v6, 0xff, v0
	s_delay_alu instid0(VALU_DEP_1)
	v_cmpx_ne_u16_e32 0, v6
	s_cbranch_execz .LBB277_1266
; %bb.1259:                             ;   in Loop: Header=BB277_813 Depth=1
	v_mov_b32_e32 v18, 0x8000
	s_mov_b32 s15, exec_lo
	v_cmpx_ne_u16_e32 0x80, v6
	s_cbranch_execz .LBB277_1265
; %bb.1260:                             ;   in Loop: Header=BB277_813 Depth=1
	v_bfe_u32 v22, v37, 16, 7
	v_mov_b32_e32 v18, 0x7c01
	s_mov_b32 s16, exec_lo
	s_delay_alu instid0(VALU_DEP_2)
	v_cmpx_ne_u32_e32 0x7f, v22
	s_cbranch_execz .LBB277_1264
; %bb.1261:                             ;   in Loop: Header=BB277_813 Depth=1
	v_dual_lshrrev_b32 v18, 3, v22 :: v_dual_bitop2_b32 v6, 7, v0 bitop3:0x40
	s_mov_b32 s17, exec_lo
	v_cmpx_gt_u32_e32 8, v22
; %bb.1262:                             ;   in Loop: Header=BB277_813 Depth=1
	s_delay_alu instid0(VALU_DEP_2) | instskip(NEXT) | instid1(VALU_DEP_1)
	v_clz_i32_u32_e32 v6, v6
	v_min_u32_e32 v6, 32, v6
	s_delay_alu instid0(VALU_DEP_1) | instskip(NEXT) | instid1(VALU_DEP_1)
	v_subrev_nc_u32_e32 v18, 28, v6
	v_lshlrev_b64_e32 v[22:23], v18, v[0:1]
	v_sub_nc_u32_e32 v18, 29, v6
	s_delay_alu instid0(VALU_DEP_2)
	v_and_b32_e32 v6, 7, v22
; %bb.1263:                             ;   in Loop: Header=BB277_813 Depth=1
	s_or_b32 exec_lo, exec_lo, s17
	s_delay_alu instid0(VALU_DEP_1) | instskip(NEXT) | instid1(VALU_DEP_3)
	v_dual_lshlrev_b32 v0, 8, v0 :: v_dual_lshlrev_b32 v6, 7, v6
	v_lshl_add_u32 v18, v18, 10, 0x2000
	s_delay_alu instid0(VALU_DEP_2) | instskip(NEXT) | instid1(VALU_DEP_2)
	v_and_b32_e32 v0, 0x8000, v0
	v_and_b32_e32 v18, 0xfc00, v18
	s_delay_alu instid0(VALU_DEP_1)
	v_or3_b32 v18, v0, v18, v6
.LBB277_1264:                           ;   in Loop: Header=BB277_813 Depth=1
	s_or_b32 exec_lo, exec_lo, s16
.LBB277_1265:                           ;   in Loop: Header=BB277_813 Depth=1
	s_delay_alu instid0(SALU_CYCLE_1)
	s_or_b32 exec_lo, exec_lo, s15
.LBB277_1266:                           ;   in Loop: Header=BB277_813 Depth=1
	s_delay_alu instid0(SALU_CYCLE_1)
	s_or_b32 exec_lo, exec_lo, s14
	v_mov_b32_e32 v0, 0
	s_mov_b32 s14, exec_lo
	v_cmpx_lt_u64_e64 s[2:3], v[36:37]
	s_cbranch_execz .LBB277_1274
; %bb.1267:                             ;   in Loop: Header=BB277_813 Depth=1
	v_lshrrev_b32_e32 v6, 24, v37
	v_bfrev_b32_e32 v0, 1
	s_mov_b32 s15, exec_lo
	s_delay_alu instid0(VALU_DEP_2)
	v_cmpx_ne_u32_e32 0x80, v6
	s_cbranch_execz .LBB277_1273
; %bb.1268:                             ;   in Loop: Header=BB277_813 Depth=1
	v_and_b32_e32 v23, 0x7f, v6
	v_mov_b32_e32 v0, 0x7c010000
	s_mov_b32 s16, exec_lo
	s_delay_alu instid0(VALU_DEP_2)
	v_cmpx_ne_u32_e32 0x7f, v23
	s_cbranch_execz .LBB277_1272
; %bb.1269:                             ;   in Loop: Header=BB277_813 Depth=1
	v_dual_lshrrev_b32 v22, 3, v23 :: v_dual_bitop2_b32 v0, 7, v6 bitop3:0x40
	s_mov_b32 s17, exec_lo
	v_cmpx_gt_u32_e32 8, v23
; %bb.1270:                             ;   in Loop: Header=BB277_813 Depth=1
	s_delay_alu instid0(VALU_DEP_2) | instskip(NEXT) | instid1(VALU_DEP_1)
	v_clz_i32_u32_e32 v0, v0
	v_min_u32_e32 v0, 32, v0
	s_delay_alu instid0(VALU_DEP_1) | instskip(NEXT) | instid1(VALU_DEP_1)
	v_subrev_nc_u32_e32 v22, 28, v0
	v_lshlrev_b64_e32 v[36:37], v22, v[6:7]
	v_sub_nc_u32_e32 v22, 29, v0
	s_delay_alu instid0(VALU_DEP_2)
	v_and_b32_e32 v0, 7, v36
; %bb.1271:                             ;   in Loop: Header=BB277_813 Depth=1
	s_or_b32 exec_lo, exec_lo, s17
	s_delay_alu instid0(VALU_DEP_1) | instskip(NEXT) | instid1(VALU_DEP_3)
	v_dual_lshlrev_b32 v6, 8, v6 :: v_dual_lshlrev_b32 v0, 23, v0
	v_lshl_add_u32 v22, v22, 10, 0x2000
	s_delay_alu instid0(VALU_DEP_1) | instskip(NEXT) | instid1(VALU_DEP_1)
	v_and_or_b32 v6, 0x8000, v6, v22
	v_lshl_or_b32 v0, v6, 16, v0
.LBB277_1272:                           ;   in Loop: Header=BB277_813 Depth=1
	s_or_b32 exec_lo, exec_lo, s16
.LBB277_1273:                           ;   in Loop: Header=BB277_813 Depth=1
	s_delay_alu instid0(SALU_CYCLE_1)
	s_or_b32 exec_lo, exec_lo, s15
.LBB277_1274:                           ;   in Loop: Header=BB277_813 Depth=1
	s_delay_alu instid0(SALU_CYCLE_1) | instskip(SKIP_2) | instid1(VALU_DEP_2)
	s_or_b32 exec_lo, exec_lo, s14
	v_dual_lshrrev_b32 v6, 16, v1 :: v_dual_bitop2_b32 v1, v1, v8 bitop3:0x54
	v_dual_lshrrev_b32 v22, 16, v9 :: v_dual_bitop2_b32 v16, v9, v16 bitop3:0x54
	v_cvt_f32_f16_e32 v9, v6
	v_dual_lshrrev_b32 v18, 16, v19 :: v_dual_bitop2_b32 v6, v0, v18 bitop3:0x54
	s_delay_alu instid0(VALU_DEP_3)
	v_cvt_f32_f16_e32 v8, v22
	v_dual_lshrrev_b32 v22, 16, v0 :: v_dual_bitop2_b32 v19, v19, v17 bitop3:0x54
	v_cvt_f32_f16_e32 v0, v16
	v_cvt_f32_f16_e32 v1, v1
	s_wait_loadcnt_dscnt 0x0
	v_pk_mul_f32 v[8:9], v[34:35], v[8:9] op_sel_hi:[0,1]
	v_cvt_f32_f16_e32 v17, v18
	v_cvt_f32_f16_e32 v16, v22
	v_cvt_f32_f16_e32 v18, v6
	v_cvt_f32_f16_e32 v19, v19
	v_pk_mul_f32 v[0:1], v[34:35], v[0:1] op_sel_hi:[0,1]
	v_cvt_pk_f16_f32 v6, v8, v9
	v_pk_mul_f32 v[8:9], v[34:35], v[16:17] op_sel_hi:[0,1]
	s_delay_alu instid0(VALU_DEP_4) | instskip(NEXT) | instid1(VALU_DEP_4)
	v_pk_mul_f32 v[16:17], v[34:35], v[18:19] op_sel_hi:[0,1]
	v_cvt_pk_f16_f32 v0, v0, v1
	s_delay_alu instid0(VALU_DEP_4) | instskip(NEXT) | instid1(VALU_DEP_4)
	v_and_b32_e32 v19, 0xffff0000, v6
	v_cvt_pk_f16_f32 v8, v8, v9
	v_lshlrev_b32_e32 v34, 16, v6
	v_cvt_pk_f16_f32 v6, v16, v17
	v_lshrrev_b32_e32 v39, 16, v0
	v_and_b32_e32 v48, 0xffff, v0
	v_and_b32_e32 v1, 0xffff0000, v8
	s_delay_alu instid0(VALU_DEP_4) | instskip(SKIP_3) | instid1(VALU_DEP_4)
	v_dual_lshlrev_b32 v0, 16, v8 :: v_dual_lshrrev_b32 v9, 16, v6
	v_and_b32_e32 v6, 0xffff, v6
	v_or_b32_e32 v37, v19, v39
	v_or_b32_e32 v38, v34, v48
	;; [unrolled: 1-line block ×3, first 2 shown]
	s_delay_alu instid0(VALU_DEP_4)
	v_or_b32_e32 v36, v0, v6
	s_and_saveexec_b32 s14, vcc_lo
	s_cbranch_execz .LBB277_1276
; %bb.1275:                             ;   in Loop: Header=BB277_813 Depth=1
	v_cmp_lt_i32_e64 s0, v65, v13
	s_delay_alu instid0(VALU_DEP_1) | instskip(SKIP_1) | instid1(VALU_DEP_1)
	v_cndmask_b32_e64 v8, 0, v39, s0
	v_cmp_lt_i32_e64 s0, v80, v12
	v_cndmask_b32_e64 v16, 0, v48, s0
	v_cmp_lt_i32_e64 s0, v71, v13
	s_delay_alu instid0(VALU_DEP_1) | instskip(SKIP_1) | instid1(VALU_DEP_1)
	v_cndmask_b32_e64 v17, 0, v19, s0
	v_cmp_lt_i32_e64 s0, v70, v12
	v_cndmask_b32_e64 v18, 0, v34, s0
	v_cmp_lt_i32_e64 s0, v69, v13
	s_delay_alu instid0(VALU_DEP_4) | instskip(NEXT) | instid1(VALU_DEP_2)
	v_or_b32_e32 v37, v8, v17
	v_dual_cndmask_b32 v9, 0, v9, s0 :: v_dual_bitop2_b32 v38, v16, v18 bitop3:0x54
	v_cmp_lt_i32_e64 s0, v68, v12
	s_delay_alu instid0(VALU_DEP_1) | instskip(SKIP_1) | instid1(VALU_DEP_1)
	v_cndmask_b32_e64 v6, 0, v6, s0
	v_cmp_lt_i32_e64 s0, v67, v13
	v_cndmask_b32_e64 v1, 0, v1, s0
	v_cmp_lt_i32_e64 s0, v66, v12
	s_delay_alu instid0(VALU_DEP_1) | instskip(NEXT) | instid1(VALU_DEP_1)
	v_dual_cndmask_b32 v0, 0, v0, s0 :: v_dual_bitop2_b32 v35, v9, v1 bitop3:0x54
	v_or_b32_e32 v36, v6, v0
.LBB277_1276:                           ;   in Loop: Header=BB277_813 Depth=1
	s_or_b32 exec_lo, exec_lo, s14
	;;#ASMSTART
	v_pk_mul_f16 v0, v85, v37;

	;;#ASMEND
	;;#ASMSTART
	v_pk_mul_f16 v1, v83, v38;

	;;#ASMEND
	;; [unrolled: 4-line block ×4, first 2 shown]
	;;#ASMSTART
	v_pk_add_f16 v0, v0, v1;

	;;#ASMEND
	;;#ASMSTART
	v_pk_add_f16 v0, v0, v6;

	;;#ASMEND
	;; [unrolled: 4-line block ×3, first 2 shown]
	v_and_b32_e32 v1, 0xffff, v0
	v_lshrrev_b32_e32 v0, 16, v0
	;;#ASMSTART
	v_cvt_f32_f16 v113, v1;
	;;#ASMEND
	;;#ASMSTART
	v_cvt_f32_f16 v114, v0;
	;;#ASMEND
	flat_load_b64 v[36:37], v[28:29] offset:1792
	scratch_load_b64 v[0:1], off, s32 offset:192 ; 8-byte Folded Reload
	v_mov_b32_e32 v8, 0
	s_mov_b32 s14, exec_lo
	s_wait_loadcnt 0x0
	flat_load_b32 v34, v[0:1]
	s_wait_dscnt 0x1
	s_wait_xcnt 0x0
	v_and_b32_e32 v0, 0xff, v36
	v_mov_b32_e32 v1, 0
	s_delay_alu instid0(VALU_DEP_2)
	v_cmpx_ne_u16_e32 0, v0
	s_cbranch_execz .LBB277_1284
; %bb.1277:                             ;   in Loop: Header=BB277_813 Depth=1
	v_mov_b32_e32 v8, 0x8000
	s_mov_b32 s15, exec_lo
	v_cmpx_ne_u16_e32 0x80, v0
	s_cbranch_execz .LBB277_1283
; %bb.1278:                             ;   in Loop: Header=BB277_813 Depth=1
	v_and_b32_e32 v9, 0x7f, v36
	v_mov_b32_e32 v8, 0x7c01
	s_mov_b32 s16, exec_lo
	s_delay_alu instid0(VALU_DEP_2)
	v_cmpx_ne_u32_e32 0x7f, v9
	s_cbranch_execz .LBB277_1282
; %bb.1279:                             ;   in Loop: Header=BB277_813 Depth=1
	v_dual_lshrrev_b32 v6, 3, v9 :: v_dual_bitop2_b32 v0, 7, v36 bitop3:0x40
	s_mov_b32 s17, exec_lo
	v_cmpx_gt_u32_e32 8, v9
; %bb.1280:                             ;   in Loop: Header=BB277_813 Depth=1
	s_delay_alu instid0(VALU_DEP_2) | instskip(NEXT) | instid1(VALU_DEP_1)
	v_clz_i32_u32_e32 v0, v0
	v_min_u32_e32 v0, 32, v0
	s_delay_alu instid0(VALU_DEP_1) | instskip(NEXT) | instid1(VALU_DEP_1)
	v_subrev_nc_u32_e32 v6, 28, v0
	v_lshlrev_b64_e32 v[8:9], v6, v[36:37]
	v_sub_nc_u32_e32 v6, 29, v0
	s_delay_alu instid0(VALU_DEP_2)
	v_and_b32_e32 v0, 7, v8
; %bb.1281:                             ;   in Loop: Header=BB277_813 Depth=1
	s_or_b32 exec_lo, exec_lo, s17
	v_lshlrev_b32_e32 v8, 8, v36
	s_delay_alu instid0(VALU_DEP_3) | instskip(NEXT) | instid1(VALU_DEP_3)
	v_lshl_add_u32 v6, v6, 10, 0x2000
	v_lshlrev_b32_e32 v0, 7, v0
	s_delay_alu instid0(VALU_DEP_3) | instskip(NEXT) | instid1(VALU_DEP_3)
	v_and_b32_e32 v8, 0x8000, v8
	v_and_b32_e32 v6, 0xfc00, v6
	s_delay_alu instid0(VALU_DEP_1)
	v_or3_b32 v8, v8, v6, v0
.LBB277_1282:                           ;   in Loop: Header=BB277_813 Depth=1
	s_or_b32 exec_lo, exec_lo, s16
.LBB277_1283:                           ;   in Loop: Header=BB277_813 Depth=1
	s_delay_alu instid0(SALU_CYCLE_1)
	s_or_b32 exec_lo, exec_lo, s15
.LBB277_1284:                           ;   in Loop: Header=BB277_813 Depth=1
	s_delay_alu instid0(SALU_CYCLE_1) | instskip(SKIP_2) | instid1(VALU_DEP_1)
	s_or_b32 exec_lo, exec_lo, s14
	v_lshrrev_b16 v6, 8, v36
	s_mov_b32 s14, exec_lo
	v_cmpx_ne_u16_e32 0, v6
	s_cbranch_execz .LBB277_1292
; %bb.1285:                             ;   in Loop: Header=BB277_813 Depth=1
	v_bfrev_b32_e32 v1, 1
	s_mov_b32 s15, exec_lo
	v_cmpx_ne_u16_e32 0x80, v6
	s_cbranch_execz .LBB277_1291
; %bb.1286:                             ;   in Loop: Header=BB277_813 Depth=1
	v_and_b32_e32 v0, 0xffff, v6
	v_mov_b32_e32 v1, 0x7c010000
	s_mov_b32 s16, exec_lo
	s_delay_alu instid0(VALU_DEP_2) | instskip(NEXT) | instid1(VALU_DEP_1)
	v_and_b32_e32 v16, 0x7f, v0
	v_cmpx_ne_u32_e32 0x7f, v16
	s_cbranch_execz .LBB277_1290
; %bb.1287:                             ;   in Loop: Header=BB277_813 Depth=1
	v_and_b32_e32 v1, 7, v0
	v_lshrrev_b32_e32 v9, 3, v16
	s_mov_b32 s17, exec_lo
	v_cmpx_gt_u32_e32 8, v16
; %bb.1288:                             ;   in Loop: Header=BB277_813 Depth=1
	s_delay_alu instid0(VALU_DEP_3) | instskip(NEXT) | instid1(VALU_DEP_1)
	v_clz_i32_u32_e32 v1, v1
	v_min_u32_e32 v1, 32, v1
	s_delay_alu instid0(VALU_DEP_1) | instskip(NEXT) | instid1(VALU_DEP_1)
	v_subrev_nc_u32_e32 v9, 28, v1
	v_lshlrev_b64_e32 v[16:17], v9, v[6:7]
	s_delay_alu instid0(VALU_DEP_1)
	v_dual_sub_nc_u32 v9, 29, v1 :: v_dual_bitop2_b32 v1, 7, v16 bitop3:0x40
; %bb.1289:                             ;   in Loop: Header=BB277_813 Depth=1
	s_or_b32 exec_lo, exec_lo, s17
	s_delay_alu instid0(VALU_DEP_1) | instskip(NEXT) | instid1(VALU_DEP_2)
	v_dual_lshlrev_b32 v0, 8, v0 :: v_dual_lshlrev_b32 v1, 23, v1
	v_lshl_add_u32 v6, v9, 10, 0x2000
	s_delay_alu instid0(VALU_DEP_1) | instskip(NEXT) | instid1(VALU_DEP_1)
	v_and_or_b32 v0, 0x8000, v0, v6
	v_lshl_or_b32 v1, v0, 16, v1
.LBB277_1290:                           ;   in Loop: Header=BB277_813 Depth=1
	s_or_b32 exec_lo, exec_lo, s16
.LBB277_1291:                           ;   in Loop: Header=BB277_813 Depth=1
	s_delay_alu instid0(SALU_CYCLE_1)
	s_or_b32 exec_lo, exec_lo, s15
.LBB277_1292:                           ;   in Loop: Header=BB277_813 Depth=1
	s_delay_alu instid0(SALU_CYCLE_1) | instskip(SKIP_3) | instid1(VALU_DEP_2)
	s_or_b32 exec_lo, exec_lo, s14
	v_dual_mov_b32 v9, 0 :: v_dual_lshrrev_b32 v0, 16, v36
	v_mov_b32_e32 v16, 0
	s_mov_b32 s14, exec_lo
	v_and_b32_e32 v6, 0xff, v0
	s_delay_alu instid0(VALU_DEP_1)
	v_cmpx_ne_u16_e32 0, v6
	s_cbranch_execz .LBB277_1300
; %bb.1293:                             ;   in Loop: Header=BB277_813 Depth=1
	v_mov_b32_e32 v16, 0x8000
	s_mov_b32 s15, exec_lo
	v_cmpx_ne_u16_e32 0x80, v6
	s_cbranch_execz .LBB277_1299
; %bb.1294:                             ;   in Loop: Header=BB277_813 Depth=1
	v_bfe_u32 v17, v36, 16, 7
	v_mov_b32_e32 v16, 0x7c01
	s_mov_b32 s16, exec_lo
	s_delay_alu instid0(VALU_DEP_2)
	v_cmpx_ne_u32_e32 0x7f, v17
	s_cbranch_execz .LBB277_1298
; %bb.1295:                             ;   in Loop: Header=BB277_813 Depth=1
	v_dual_lshrrev_b32 v16, 3, v17 :: v_dual_bitop2_b32 v6, 7, v0 bitop3:0x40
	s_mov_b32 s17, exec_lo
	v_cmpx_gt_u32_e32 8, v17
; %bb.1296:                             ;   in Loop: Header=BB277_813 Depth=1
	s_delay_alu instid0(VALU_DEP_2) | instskip(NEXT) | instid1(VALU_DEP_1)
	v_clz_i32_u32_e32 v6, v6
	v_min_u32_e32 v6, 32, v6
	s_delay_alu instid0(VALU_DEP_1) | instskip(NEXT) | instid1(VALU_DEP_1)
	v_subrev_nc_u32_e32 v16, 28, v6
	v_lshlrev_b64_e32 v[18:19], v16, v[0:1]
	v_sub_nc_u32_e32 v16, 29, v6
	s_delay_alu instid0(VALU_DEP_2)
	v_and_b32_e32 v6, 7, v18
; %bb.1297:                             ;   in Loop: Header=BB277_813 Depth=1
	s_or_b32 exec_lo, exec_lo, s17
	s_delay_alu instid0(VALU_DEP_1) | instskip(NEXT) | instid1(VALU_DEP_3)
	v_dual_lshlrev_b32 v0, 8, v0 :: v_dual_lshlrev_b32 v6, 7, v6
	v_lshl_add_u32 v16, v16, 10, 0x2000
	s_delay_alu instid0(VALU_DEP_2) | instskip(NEXT) | instid1(VALU_DEP_2)
	v_and_b32_e32 v0, 0x8000, v0
	v_and_b32_e32 v16, 0xfc00, v16
	s_delay_alu instid0(VALU_DEP_1)
	v_or3_b32 v16, v0, v16, v6
.LBB277_1298:                           ;   in Loop: Header=BB277_813 Depth=1
	s_or_b32 exec_lo, exec_lo, s16
.LBB277_1299:                           ;   in Loop: Header=BB277_813 Depth=1
	s_delay_alu instid0(SALU_CYCLE_1)
	s_or_b32 exec_lo, exec_lo, s15
.LBB277_1300:                           ;   in Loop: Header=BB277_813 Depth=1
	s_delay_alu instid0(SALU_CYCLE_1) | instskip(NEXT) | instid1(SALU_CYCLE_1)
	s_or_b32 exec_lo, exec_lo, s14
	s_mov_b32 s14, exec_lo
	v_cmpx_lt_u32_e32 0xffffff, v36
	s_cbranch_execz .LBB277_1308
; %bb.1301:                             ;   in Loop: Header=BB277_813 Depth=1
	v_lshrrev_b32_e32 v6, 24, v36
	v_bfrev_b32_e32 v9, 1
	s_mov_b32 s15, exec_lo
	s_delay_alu instid0(VALU_DEP_2)
	v_cmpx_ne_u32_e32 0x80, v6
	s_cbranch_execz .LBB277_1307
; %bb.1302:                             ;   in Loop: Header=BB277_813 Depth=1
	v_and_b32_e32 v17, 0x7f, v6
	v_mov_b32_e32 v9, 0x7c010000
	s_mov_b32 s16, exec_lo
	s_delay_alu instid0(VALU_DEP_2)
	v_cmpx_ne_u32_e32 0x7f, v17
	s_cbranch_execz .LBB277_1306
; %bb.1303:                             ;   in Loop: Header=BB277_813 Depth=1
	v_dual_lshrrev_b32 v9, 3, v17 :: v_dual_bitop2_b32 v0, 7, v6 bitop3:0x40
	s_mov_b32 s17, exec_lo
	v_cmpx_gt_u32_e32 8, v17
; %bb.1304:                             ;   in Loop: Header=BB277_813 Depth=1
	s_delay_alu instid0(VALU_DEP_2) | instskip(NEXT) | instid1(VALU_DEP_1)
	v_clz_i32_u32_e32 v0, v0
	v_min_u32_e32 v0, 32, v0
	s_delay_alu instid0(VALU_DEP_1) | instskip(NEXT) | instid1(VALU_DEP_1)
	v_subrev_nc_u32_e32 v9, 28, v0
	v_lshlrev_b64_e32 v[18:19], v9, v[6:7]
	s_delay_alu instid0(VALU_DEP_1)
	v_dual_sub_nc_u32 v9, 29, v0 :: v_dual_bitop2_b32 v0, 7, v18 bitop3:0x40
; %bb.1305:                             ;   in Loop: Header=BB277_813 Depth=1
	s_or_b32 exec_lo, exec_lo, s17
	s_delay_alu instid0(VALU_DEP_1) | instskip(NEXT) | instid1(VALU_DEP_2)
	v_dual_lshlrev_b32 v6, 8, v6 :: v_dual_lshlrev_b32 v0, 23, v0
	v_lshl_add_u32 v9, v9, 10, 0x2000
	s_delay_alu instid0(VALU_DEP_1) | instskip(NEXT) | instid1(VALU_DEP_1)
	v_and_or_b32 v6, 0x8000, v6, v9
	v_lshl_or_b32 v9, v6, 16, v0
.LBB277_1306:                           ;   in Loop: Header=BB277_813 Depth=1
	s_or_b32 exec_lo, exec_lo, s16
.LBB277_1307:                           ;   in Loop: Header=BB277_813 Depth=1
	s_delay_alu instid0(SALU_CYCLE_1)
	s_or_b32 exec_lo, exec_lo, s15
.LBB277_1308:                           ;   in Loop: Header=BB277_813 Depth=1
	s_delay_alu instid0(SALU_CYCLE_1) | instskip(SKIP_4) | instid1(VALU_DEP_3)
	s_or_b32 exec_lo, exec_lo, s14
	v_and_b32_e32 v0, 0xff, v37
	v_dual_mov_b32 v6, v37 :: v_dual_mov_b32 v18, 0
	v_mov_b32_e32 v17, 0
	s_mov_b32 s14, exec_lo
	v_cmpx_ne_u16_e32 0, v0
	s_cbranch_execz .LBB277_1316
; %bb.1309:                             ;   in Loop: Header=BB277_813 Depth=1
	v_mov_b32_e32 v17, 0x8000
	s_mov_b32 s15, exec_lo
	v_cmpx_ne_u16_e32 0x80, v0
	s_cbranch_execz .LBB277_1315
; %bb.1310:                             ;   in Loop: Header=BB277_813 Depth=1
	v_and_b32_e32 v19, 0x7f, v37
	v_mov_b32_e32 v17, 0x7c01
	s_mov_b32 s16, exec_lo
	s_delay_alu instid0(VALU_DEP_2)
	v_cmpx_ne_u32_e32 0x7f, v19
	s_cbranch_execz .LBB277_1314
; %bb.1311:                             ;   in Loop: Header=BB277_813 Depth=1
	v_dual_lshrrev_b32 v17, 3, v19 :: v_dual_bitop2_b32 v0, 7, v37 bitop3:0x40
	s_mov_b32 s17, exec_lo
	v_cmpx_gt_u32_e32 8, v19
; %bb.1312:                             ;   in Loop: Header=BB277_813 Depth=1
	s_delay_alu instid0(VALU_DEP_2) | instskip(NEXT) | instid1(VALU_DEP_1)
	v_clz_i32_u32_e32 v0, v0
	v_min_u32_e32 v0, 32, v0
	s_delay_alu instid0(VALU_DEP_1) | instskip(NEXT) | instid1(VALU_DEP_1)
	v_subrev_nc_u32_e32 v17, 28, v0
	v_lshlrev_b64_e32 v[22:23], v17, v[6:7]
	s_delay_alu instid0(VALU_DEP_1)
	v_dual_sub_nc_u32 v17, 29, v0 :: v_dual_bitop2_b32 v0, 7, v22 bitop3:0x40
; %bb.1313:                             ;   in Loop: Header=BB277_813 Depth=1
	s_or_b32 exec_lo, exec_lo, s17
	s_delay_alu instid0(VALU_DEP_1) | instskip(NEXT) | instid1(VALU_DEP_2)
	v_dual_lshlrev_b32 v19, 8, v37 :: v_dual_lshlrev_b32 v0, 7, v0
	v_lshl_add_u32 v17, v17, 10, 0x2000
	s_delay_alu instid0(VALU_DEP_2) | instskip(NEXT) | instid1(VALU_DEP_2)
	v_and_b32_e32 v19, 0x8000, v19
	v_and_b32_e32 v17, 0xfc00, v17
	s_delay_alu instid0(VALU_DEP_1)
	v_or3_b32 v17, v19, v17, v0
.LBB277_1314:                           ;   in Loop: Header=BB277_813 Depth=1
	s_or_b32 exec_lo, exec_lo, s16
.LBB277_1315:                           ;   in Loop: Header=BB277_813 Depth=1
	s_delay_alu instid0(SALU_CYCLE_1)
	s_or_b32 exec_lo, exec_lo, s15
.LBB277_1316:                           ;   in Loop: Header=BB277_813 Depth=1
	s_delay_alu instid0(SALU_CYCLE_1) | instskip(SKIP_3) | instid1(VALU_DEP_2)
	s_or_b32 exec_lo, exec_lo, s14
	v_lshrrev_b16 v6, 8, v6
	v_mov_b32_e32 v19, 0
	s_mov_b32 s14, exec_lo
	v_cmpx_ne_u16_e32 0, v6
	s_cbranch_execz .LBB277_1324
; %bb.1317:                             ;   in Loop: Header=BB277_813 Depth=1
	v_bfrev_b32_e32 v19, 1
	s_mov_b32 s15, exec_lo
	v_cmpx_ne_u16_e32 0x80, v6
	s_cbranch_execz .LBB277_1323
; %bb.1318:                             ;   in Loop: Header=BB277_813 Depth=1
	v_and_b32_e32 v0, 0xffff, v6
	v_mov_b32_e32 v19, 0x7c010000
	s_mov_b32 s16, exec_lo
	s_delay_alu instid0(VALU_DEP_2) | instskip(NEXT) | instid1(VALU_DEP_1)
	v_and_b32_e32 v23, 0x7f, v0
	v_cmpx_ne_u32_e32 0x7f, v23
	s_cbranch_execz .LBB277_1322
; %bb.1319:                             ;   in Loop: Header=BB277_813 Depth=1
	v_dual_lshrrev_b32 v22, 3, v23 :: v_dual_bitop2_b32 v19, 7, v0 bitop3:0x40
	s_mov_b32 s17, exec_lo
	v_cmpx_gt_u32_e32 8, v23
; %bb.1320:                             ;   in Loop: Header=BB277_813 Depth=1
	s_delay_alu instid0(VALU_DEP_2) | instskip(NEXT) | instid1(VALU_DEP_1)
	v_clz_i32_u32_e32 v19, v19
	v_min_u32_e32 v19, 32, v19
	s_delay_alu instid0(VALU_DEP_1) | instskip(NEXT) | instid1(VALU_DEP_1)
	v_subrev_nc_u32_e32 v22, 28, v19
	v_lshlrev_b64_e32 v[38:39], v22, v[6:7]
	s_delay_alu instid0(VALU_DEP_1)
	v_dual_sub_nc_u32 v22, 29, v19 :: v_dual_bitop2_b32 v19, 7, v38 bitop3:0x40
; %bb.1321:                             ;   in Loop: Header=BB277_813 Depth=1
	s_or_b32 exec_lo, exec_lo, s17
	v_lshlrev_b32_e32 v0, 8, v0
	s_delay_alu instid0(VALU_DEP_2) | instskip(NEXT) | instid1(VALU_DEP_1)
	v_lshl_add_u32 v6, v22, 10, 0x2000
	v_and_or_b32 v0, 0x8000, v0, v6
	v_lshlrev_b32_e32 v6, 23, v19
	s_delay_alu instid0(VALU_DEP_1)
	v_lshl_or_b32 v19, v0, 16, v6
.LBB277_1322:                           ;   in Loop: Header=BB277_813 Depth=1
	s_or_b32 exec_lo, exec_lo, s16
.LBB277_1323:                           ;   in Loop: Header=BB277_813 Depth=1
	s_delay_alu instid0(SALU_CYCLE_1)
	s_or_b32 exec_lo, exec_lo, s15
.LBB277_1324:                           ;   in Loop: Header=BB277_813 Depth=1
	s_delay_alu instid0(SALU_CYCLE_1) | instskip(SKIP_2) | instid1(VALU_DEP_1)
	s_or_b32 exec_lo, exec_lo, s14
	v_lshrrev_b32_e32 v0, 16, v37
	s_mov_b32 s14, exec_lo
	v_and_b32_e32 v6, 0xff, v0
	s_delay_alu instid0(VALU_DEP_1)
	v_cmpx_ne_u16_e32 0, v6
	s_cbranch_execz .LBB277_1332
; %bb.1325:                             ;   in Loop: Header=BB277_813 Depth=1
	v_mov_b32_e32 v18, 0x8000
	s_mov_b32 s15, exec_lo
	v_cmpx_ne_u16_e32 0x80, v6
	s_cbranch_execz .LBB277_1331
; %bb.1326:                             ;   in Loop: Header=BB277_813 Depth=1
	v_bfe_u32 v22, v37, 16, 7
	v_mov_b32_e32 v18, 0x7c01
	s_mov_b32 s16, exec_lo
	s_delay_alu instid0(VALU_DEP_2)
	v_cmpx_ne_u32_e32 0x7f, v22
	s_cbranch_execz .LBB277_1330
; %bb.1327:                             ;   in Loop: Header=BB277_813 Depth=1
	v_dual_lshrrev_b32 v18, 3, v22 :: v_dual_bitop2_b32 v6, 7, v0 bitop3:0x40
	s_mov_b32 s17, exec_lo
	v_cmpx_gt_u32_e32 8, v22
; %bb.1328:                             ;   in Loop: Header=BB277_813 Depth=1
	s_delay_alu instid0(VALU_DEP_2) | instskip(NEXT) | instid1(VALU_DEP_1)
	v_clz_i32_u32_e32 v6, v6
	v_min_u32_e32 v6, 32, v6
	s_delay_alu instid0(VALU_DEP_1) | instskip(NEXT) | instid1(VALU_DEP_1)
	v_subrev_nc_u32_e32 v18, 28, v6
	v_lshlrev_b64_e32 v[22:23], v18, v[0:1]
	v_sub_nc_u32_e32 v18, 29, v6
	s_delay_alu instid0(VALU_DEP_2)
	v_and_b32_e32 v6, 7, v22
; %bb.1329:                             ;   in Loop: Header=BB277_813 Depth=1
	s_or_b32 exec_lo, exec_lo, s17
	s_delay_alu instid0(VALU_DEP_1) | instskip(NEXT) | instid1(VALU_DEP_3)
	v_dual_lshlrev_b32 v0, 8, v0 :: v_dual_lshlrev_b32 v6, 7, v6
	v_lshl_add_u32 v18, v18, 10, 0x2000
	s_delay_alu instid0(VALU_DEP_2) | instskip(NEXT) | instid1(VALU_DEP_2)
	v_and_b32_e32 v0, 0x8000, v0
	v_and_b32_e32 v18, 0xfc00, v18
	s_delay_alu instid0(VALU_DEP_1)
	v_or3_b32 v18, v0, v18, v6
.LBB277_1330:                           ;   in Loop: Header=BB277_813 Depth=1
	s_or_b32 exec_lo, exec_lo, s16
.LBB277_1331:                           ;   in Loop: Header=BB277_813 Depth=1
	s_delay_alu instid0(SALU_CYCLE_1)
	s_or_b32 exec_lo, exec_lo, s15
.LBB277_1332:                           ;   in Loop: Header=BB277_813 Depth=1
	s_delay_alu instid0(SALU_CYCLE_1)
	s_or_b32 exec_lo, exec_lo, s14
	v_mov_b32_e32 v0, 0
	s_mov_b32 s14, exec_lo
	v_cmpx_lt_u64_e64 s[2:3], v[36:37]
	s_cbranch_execz .LBB277_1340
; %bb.1333:                             ;   in Loop: Header=BB277_813 Depth=1
	v_lshrrev_b32_e32 v6, 24, v37
	v_bfrev_b32_e32 v0, 1
	s_mov_b32 s15, exec_lo
	s_delay_alu instid0(VALU_DEP_2)
	v_cmpx_ne_u32_e32 0x80, v6
	s_cbranch_execz .LBB277_1339
; %bb.1334:                             ;   in Loop: Header=BB277_813 Depth=1
	v_and_b32_e32 v23, 0x7f, v6
	v_mov_b32_e32 v0, 0x7c010000
	s_mov_b32 s16, exec_lo
	s_delay_alu instid0(VALU_DEP_2)
	v_cmpx_ne_u32_e32 0x7f, v23
	s_cbranch_execz .LBB277_1338
; %bb.1335:                             ;   in Loop: Header=BB277_813 Depth=1
	v_dual_lshrrev_b32 v22, 3, v23 :: v_dual_bitop2_b32 v0, 7, v6 bitop3:0x40
	s_mov_b32 s17, exec_lo
	v_cmpx_gt_u32_e32 8, v23
; %bb.1336:                             ;   in Loop: Header=BB277_813 Depth=1
	s_delay_alu instid0(VALU_DEP_2) | instskip(NEXT) | instid1(VALU_DEP_1)
	v_clz_i32_u32_e32 v0, v0
	v_min_u32_e32 v0, 32, v0
	s_delay_alu instid0(VALU_DEP_1) | instskip(NEXT) | instid1(VALU_DEP_1)
	v_subrev_nc_u32_e32 v22, 28, v0
	v_lshlrev_b64_e32 v[36:37], v22, v[6:7]
	v_sub_nc_u32_e32 v22, 29, v0
	s_delay_alu instid0(VALU_DEP_2)
	v_and_b32_e32 v0, 7, v36
; %bb.1337:                             ;   in Loop: Header=BB277_813 Depth=1
	s_or_b32 exec_lo, exec_lo, s17
	s_delay_alu instid0(VALU_DEP_1) | instskip(NEXT) | instid1(VALU_DEP_3)
	v_dual_lshlrev_b32 v6, 8, v6 :: v_dual_lshlrev_b32 v0, 23, v0
	v_lshl_add_u32 v22, v22, 10, 0x2000
	s_delay_alu instid0(VALU_DEP_1) | instskip(NEXT) | instid1(VALU_DEP_1)
	v_and_or_b32 v6, 0x8000, v6, v22
	v_lshl_or_b32 v0, v6, 16, v0
.LBB277_1338:                           ;   in Loop: Header=BB277_813 Depth=1
	s_or_b32 exec_lo, exec_lo, s16
.LBB277_1339:                           ;   in Loop: Header=BB277_813 Depth=1
	s_delay_alu instid0(SALU_CYCLE_1)
	s_or_b32 exec_lo, exec_lo, s15
.LBB277_1340:                           ;   in Loop: Header=BB277_813 Depth=1
	s_delay_alu instid0(SALU_CYCLE_1) | instskip(SKIP_2) | instid1(VALU_DEP_2)
	s_or_b32 exec_lo, exec_lo, s14
	v_dual_lshrrev_b32 v6, 16, v1 :: v_dual_bitop2_b32 v1, v1, v8 bitop3:0x54
	v_dual_lshrrev_b32 v22, 16, v9 :: v_dual_bitop2_b32 v16, v9, v16 bitop3:0x54
	v_cvt_f32_f16_e32 v9, v6
	v_dual_lshrrev_b32 v18, 16, v19 :: v_dual_bitop2_b32 v6, v0, v18 bitop3:0x54
	s_delay_alu instid0(VALU_DEP_3)
	v_cvt_f32_f16_e32 v8, v22
	v_dual_lshrrev_b32 v22, 16, v0 :: v_dual_bitop2_b32 v19, v19, v17 bitop3:0x54
	v_cvt_f32_f16_e32 v0, v16
	v_cvt_f32_f16_e32 v1, v1
	s_wait_loadcnt_dscnt 0x0
	v_pk_mul_f32 v[8:9], v[34:35], v[8:9] op_sel_hi:[0,1]
	v_cvt_f32_f16_e32 v17, v18
	v_cvt_f32_f16_e32 v16, v22
	;; [unrolled: 1-line block ×4, first 2 shown]
	v_pk_mul_f32 v[0:1], v[34:35], v[0:1] op_sel_hi:[0,1]
	v_cvt_pk_f16_f32 v6, v8, v9
	v_pk_mul_f32 v[8:9], v[34:35], v[16:17] op_sel_hi:[0,1]
	s_delay_alu instid0(VALU_DEP_4) | instskip(NEXT) | instid1(VALU_DEP_4)
	v_pk_mul_f32 v[16:17], v[34:35], v[18:19] op_sel_hi:[0,1]
	v_cvt_pk_f16_f32 v0, v0, v1
	s_delay_alu instid0(VALU_DEP_4) | instskip(NEXT) | instid1(VALU_DEP_4)
	v_and_b32_e32 v19, 0xffff0000, v6
	v_cvt_pk_f16_f32 v8, v8, v9
	v_lshlrev_b32_e32 v34, 16, v6
	v_cvt_pk_f16_f32 v6, v16, v17
	v_lshrrev_b32_e32 v39, 16, v0
	v_and_b32_e32 v48, 0xffff, v0
	v_and_b32_e32 v1, 0xffff0000, v8
	s_delay_alu instid0(VALU_DEP_4) | instskip(SKIP_3) | instid1(VALU_DEP_4)
	v_dual_lshlrev_b32 v0, 16, v8 :: v_dual_lshrrev_b32 v9, 16, v6
	v_and_b32_e32 v6, 0xffff, v6
	v_or_b32_e32 v37, v19, v39
	v_or_b32_e32 v38, v34, v48
	v_or_b32_e32 v35, v1, v9
	s_delay_alu instid0(VALU_DEP_4)
	v_or_b32_e32 v36, v0, v6
	s_and_saveexec_b32 s14, vcc_lo
	s_cbranch_execz .LBB277_1342
; %bb.1341:                             ;   in Loop: Header=BB277_813 Depth=1
	v_cmp_lt_i32_e64 s0, v65, v13
	s_delay_alu instid0(VALU_DEP_1) | instskip(SKIP_1) | instid1(VALU_DEP_1)
	v_cndmask_b32_e64 v8, 0, v39, s0
	v_cmp_lt_i32_e64 s0, v80, v12
	v_cndmask_b32_e64 v16, 0, v48, s0
	v_cmp_lt_i32_e64 s0, v71, v13
	s_delay_alu instid0(VALU_DEP_1) | instskip(SKIP_1) | instid1(VALU_DEP_1)
	v_cndmask_b32_e64 v17, 0, v19, s0
	v_cmp_lt_i32_e64 s0, v70, v12
	v_cndmask_b32_e64 v18, 0, v34, s0
	v_cmp_lt_i32_e64 s0, v69, v13
	s_delay_alu instid0(VALU_DEP_4) | instskip(NEXT) | instid1(VALU_DEP_2)
	v_or_b32_e32 v37, v8, v17
	v_dual_cndmask_b32 v9, 0, v9, s0 :: v_dual_bitop2_b32 v38, v16, v18 bitop3:0x54
	v_cmp_lt_i32_e64 s0, v68, v12
	s_delay_alu instid0(VALU_DEP_1) | instskip(SKIP_1) | instid1(VALU_DEP_1)
	v_cndmask_b32_e64 v6, 0, v6, s0
	v_cmp_lt_i32_e64 s0, v67, v13
	v_cndmask_b32_e64 v1, 0, v1, s0
	v_cmp_lt_i32_e64 s0, v66, v12
	s_delay_alu instid0(VALU_DEP_1) | instskip(NEXT) | instid1(VALU_DEP_1)
	v_dual_cndmask_b32 v0, 0, v0, s0 :: v_dual_bitop2_b32 v35, v9, v1 bitop3:0x54
	v_or_b32_e32 v36, v6, v0
.LBB277_1342:                           ;   in Loop: Header=BB277_813 Depth=1
	s_or_b32 exec_lo, exec_lo, s14
	;;#ASMSTART
	v_pk_mul_f16 v0, v85, v37;

	;;#ASMEND
	;;#ASMSTART
	v_pk_mul_f16 v1, v83, v38;

	;;#ASMEND
	;; [unrolled: 4-line block ×4, first 2 shown]
	;;#ASMSTART
	v_pk_add_f16 v0, v0, v1;

	;;#ASMEND
	;;#ASMSTART
	v_pk_add_f16 v0, v0, v6;

	;;#ASMEND
	;; [unrolled: 4-line block ×3, first 2 shown]
	v_and_b32_e32 v1, 0xffff, v0
	v_lshrrev_b32_e32 v0, 16, v0
	;;#ASMSTART
	v_cvt_f32_f16 v115, v1;
	;;#ASMEND
	;;#ASMSTART
	v_cvt_f32_f16 v116, v0;
	;;#ASMEND
	flat_load_b64 v[36:37], v[28:29] offset:2048
	scratch_load_b64 v[0:1], off, s32 offset:192 ; 8-byte Folded Reload
	v_mov_b32_e32 v8, 0
	s_mov_b32 s14, exec_lo
	s_wait_loadcnt 0x0
	flat_load_b32 v34, v[0:1]
	s_wait_dscnt 0x1
	s_wait_xcnt 0x0
	v_and_b32_e32 v0, 0xff, v36
	v_mov_b32_e32 v1, 0
	s_delay_alu instid0(VALU_DEP_2)
	v_cmpx_ne_u16_e32 0, v0
	s_cbranch_execz .LBB277_1350
; %bb.1343:                             ;   in Loop: Header=BB277_813 Depth=1
	v_mov_b32_e32 v8, 0x8000
	s_mov_b32 s15, exec_lo
	v_cmpx_ne_u16_e32 0x80, v0
	s_cbranch_execz .LBB277_1349
; %bb.1344:                             ;   in Loop: Header=BB277_813 Depth=1
	v_and_b32_e32 v9, 0x7f, v36
	v_mov_b32_e32 v8, 0x7c01
	s_mov_b32 s16, exec_lo
	s_delay_alu instid0(VALU_DEP_2)
	v_cmpx_ne_u32_e32 0x7f, v9
	s_cbranch_execz .LBB277_1348
; %bb.1345:                             ;   in Loop: Header=BB277_813 Depth=1
	v_dual_lshrrev_b32 v6, 3, v9 :: v_dual_bitop2_b32 v0, 7, v36 bitop3:0x40
	s_mov_b32 s17, exec_lo
	v_cmpx_gt_u32_e32 8, v9
; %bb.1346:                             ;   in Loop: Header=BB277_813 Depth=1
	s_delay_alu instid0(VALU_DEP_2) | instskip(NEXT) | instid1(VALU_DEP_1)
	v_clz_i32_u32_e32 v0, v0
	v_min_u32_e32 v0, 32, v0
	s_delay_alu instid0(VALU_DEP_1) | instskip(NEXT) | instid1(VALU_DEP_1)
	v_subrev_nc_u32_e32 v6, 28, v0
	v_lshlrev_b64_e32 v[8:9], v6, v[36:37]
	v_sub_nc_u32_e32 v6, 29, v0
	s_delay_alu instid0(VALU_DEP_2)
	v_and_b32_e32 v0, 7, v8
; %bb.1347:                             ;   in Loop: Header=BB277_813 Depth=1
	s_or_b32 exec_lo, exec_lo, s17
	v_lshlrev_b32_e32 v8, 8, v36
	s_delay_alu instid0(VALU_DEP_3) | instskip(NEXT) | instid1(VALU_DEP_3)
	v_lshl_add_u32 v6, v6, 10, 0x2000
	v_lshlrev_b32_e32 v0, 7, v0
	s_delay_alu instid0(VALU_DEP_3) | instskip(NEXT) | instid1(VALU_DEP_3)
	v_and_b32_e32 v8, 0x8000, v8
	v_and_b32_e32 v6, 0xfc00, v6
	s_delay_alu instid0(VALU_DEP_1)
	v_or3_b32 v8, v8, v6, v0
.LBB277_1348:                           ;   in Loop: Header=BB277_813 Depth=1
	s_or_b32 exec_lo, exec_lo, s16
.LBB277_1349:                           ;   in Loop: Header=BB277_813 Depth=1
	s_delay_alu instid0(SALU_CYCLE_1)
	s_or_b32 exec_lo, exec_lo, s15
.LBB277_1350:                           ;   in Loop: Header=BB277_813 Depth=1
	s_delay_alu instid0(SALU_CYCLE_1) | instskip(SKIP_2) | instid1(VALU_DEP_1)
	s_or_b32 exec_lo, exec_lo, s14
	v_lshrrev_b16 v6, 8, v36
	s_mov_b32 s14, exec_lo
	v_cmpx_ne_u16_e32 0, v6
	s_cbranch_execz .LBB277_1358
; %bb.1351:                             ;   in Loop: Header=BB277_813 Depth=1
	v_bfrev_b32_e32 v1, 1
	s_mov_b32 s15, exec_lo
	v_cmpx_ne_u16_e32 0x80, v6
	s_cbranch_execz .LBB277_1357
; %bb.1352:                             ;   in Loop: Header=BB277_813 Depth=1
	v_and_b32_e32 v0, 0xffff, v6
	v_mov_b32_e32 v1, 0x7c010000
	s_mov_b32 s16, exec_lo
	s_delay_alu instid0(VALU_DEP_2) | instskip(NEXT) | instid1(VALU_DEP_1)
	v_and_b32_e32 v16, 0x7f, v0
	v_cmpx_ne_u32_e32 0x7f, v16
	s_cbranch_execz .LBB277_1356
; %bb.1353:                             ;   in Loop: Header=BB277_813 Depth=1
	v_and_b32_e32 v1, 7, v0
	v_lshrrev_b32_e32 v9, 3, v16
	s_mov_b32 s17, exec_lo
	v_cmpx_gt_u32_e32 8, v16
; %bb.1354:                             ;   in Loop: Header=BB277_813 Depth=1
	s_delay_alu instid0(VALU_DEP_3) | instskip(NEXT) | instid1(VALU_DEP_1)
	v_clz_i32_u32_e32 v1, v1
	v_min_u32_e32 v1, 32, v1
	s_delay_alu instid0(VALU_DEP_1) | instskip(NEXT) | instid1(VALU_DEP_1)
	v_subrev_nc_u32_e32 v9, 28, v1
	v_lshlrev_b64_e32 v[16:17], v9, v[6:7]
	s_delay_alu instid0(VALU_DEP_1)
	v_dual_sub_nc_u32 v9, 29, v1 :: v_dual_bitop2_b32 v1, 7, v16 bitop3:0x40
; %bb.1355:                             ;   in Loop: Header=BB277_813 Depth=1
	s_or_b32 exec_lo, exec_lo, s17
	s_delay_alu instid0(VALU_DEP_1) | instskip(NEXT) | instid1(VALU_DEP_2)
	v_dual_lshlrev_b32 v0, 8, v0 :: v_dual_lshlrev_b32 v1, 23, v1
	v_lshl_add_u32 v6, v9, 10, 0x2000
	s_delay_alu instid0(VALU_DEP_1) | instskip(NEXT) | instid1(VALU_DEP_1)
	v_and_or_b32 v0, 0x8000, v0, v6
	v_lshl_or_b32 v1, v0, 16, v1
.LBB277_1356:                           ;   in Loop: Header=BB277_813 Depth=1
	s_or_b32 exec_lo, exec_lo, s16
.LBB277_1357:                           ;   in Loop: Header=BB277_813 Depth=1
	s_delay_alu instid0(SALU_CYCLE_1)
	s_or_b32 exec_lo, exec_lo, s15
.LBB277_1358:                           ;   in Loop: Header=BB277_813 Depth=1
	s_delay_alu instid0(SALU_CYCLE_1) | instskip(SKIP_3) | instid1(VALU_DEP_2)
	s_or_b32 exec_lo, exec_lo, s14
	v_dual_mov_b32 v9, 0 :: v_dual_lshrrev_b32 v0, 16, v36
	v_mov_b32_e32 v16, 0
	s_mov_b32 s14, exec_lo
	v_and_b32_e32 v6, 0xff, v0
	s_delay_alu instid0(VALU_DEP_1)
	v_cmpx_ne_u16_e32 0, v6
	s_cbranch_execz .LBB277_1366
; %bb.1359:                             ;   in Loop: Header=BB277_813 Depth=1
	v_mov_b32_e32 v16, 0x8000
	s_mov_b32 s15, exec_lo
	v_cmpx_ne_u16_e32 0x80, v6
	s_cbranch_execz .LBB277_1365
; %bb.1360:                             ;   in Loop: Header=BB277_813 Depth=1
	v_bfe_u32 v17, v36, 16, 7
	v_mov_b32_e32 v16, 0x7c01
	s_mov_b32 s16, exec_lo
	s_delay_alu instid0(VALU_DEP_2)
	v_cmpx_ne_u32_e32 0x7f, v17
	s_cbranch_execz .LBB277_1364
; %bb.1361:                             ;   in Loop: Header=BB277_813 Depth=1
	v_dual_lshrrev_b32 v16, 3, v17 :: v_dual_bitop2_b32 v6, 7, v0 bitop3:0x40
	s_mov_b32 s17, exec_lo
	v_cmpx_gt_u32_e32 8, v17
; %bb.1362:                             ;   in Loop: Header=BB277_813 Depth=1
	s_delay_alu instid0(VALU_DEP_2) | instskip(NEXT) | instid1(VALU_DEP_1)
	v_clz_i32_u32_e32 v6, v6
	v_min_u32_e32 v6, 32, v6
	s_delay_alu instid0(VALU_DEP_1) | instskip(NEXT) | instid1(VALU_DEP_1)
	v_subrev_nc_u32_e32 v16, 28, v6
	v_lshlrev_b64_e32 v[18:19], v16, v[0:1]
	v_sub_nc_u32_e32 v16, 29, v6
	s_delay_alu instid0(VALU_DEP_2)
	v_and_b32_e32 v6, 7, v18
; %bb.1363:                             ;   in Loop: Header=BB277_813 Depth=1
	s_or_b32 exec_lo, exec_lo, s17
	s_delay_alu instid0(VALU_DEP_1) | instskip(NEXT) | instid1(VALU_DEP_3)
	v_dual_lshlrev_b32 v0, 8, v0 :: v_dual_lshlrev_b32 v6, 7, v6
	v_lshl_add_u32 v16, v16, 10, 0x2000
	s_delay_alu instid0(VALU_DEP_2) | instskip(NEXT) | instid1(VALU_DEP_2)
	v_and_b32_e32 v0, 0x8000, v0
	v_and_b32_e32 v16, 0xfc00, v16
	s_delay_alu instid0(VALU_DEP_1)
	v_or3_b32 v16, v0, v16, v6
.LBB277_1364:                           ;   in Loop: Header=BB277_813 Depth=1
	s_or_b32 exec_lo, exec_lo, s16
.LBB277_1365:                           ;   in Loop: Header=BB277_813 Depth=1
	s_delay_alu instid0(SALU_CYCLE_1)
	s_or_b32 exec_lo, exec_lo, s15
.LBB277_1366:                           ;   in Loop: Header=BB277_813 Depth=1
	s_delay_alu instid0(SALU_CYCLE_1) | instskip(NEXT) | instid1(SALU_CYCLE_1)
	s_or_b32 exec_lo, exec_lo, s14
	s_mov_b32 s14, exec_lo
	v_cmpx_lt_u32_e32 0xffffff, v36
	s_cbranch_execz .LBB277_1374
; %bb.1367:                             ;   in Loop: Header=BB277_813 Depth=1
	v_lshrrev_b32_e32 v6, 24, v36
	v_bfrev_b32_e32 v9, 1
	s_mov_b32 s15, exec_lo
	s_delay_alu instid0(VALU_DEP_2)
	v_cmpx_ne_u32_e32 0x80, v6
	s_cbranch_execz .LBB277_1373
; %bb.1368:                             ;   in Loop: Header=BB277_813 Depth=1
	v_and_b32_e32 v17, 0x7f, v6
	v_mov_b32_e32 v9, 0x7c010000
	s_mov_b32 s16, exec_lo
	s_delay_alu instid0(VALU_DEP_2)
	v_cmpx_ne_u32_e32 0x7f, v17
	s_cbranch_execz .LBB277_1372
; %bb.1369:                             ;   in Loop: Header=BB277_813 Depth=1
	v_dual_lshrrev_b32 v9, 3, v17 :: v_dual_bitop2_b32 v0, 7, v6 bitop3:0x40
	s_mov_b32 s17, exec_lo
	v_cmpx_gt_u32_e32 8, v17
; %bb.1370:                             ;   in Loop: Header=BB277_813 Depth=1
	s_delay_alu instid0(VALU_DEP_2) | instskip(NEXT) | instid1(VALU_DEP_1)
	v_clz_i32_u32_e32 v0, v0
	v_min_u32_e32 v0, 32, v0
	s_delay_alu instid0(VALU_DEP_1) | instskip(NEXT) | instid1(VALU_DEP_1)
	v_subrev_nc_u32_e32 v9, 28, v0
	v_lshlrev_b64_e32 v[18:19], v9, v[6:7]
	s_delay_alu instid0(VALU_DEP_1)
	v_dual_sub_nc_u32 v9, 29, v0 :: v_dual_bitop2_b32 v0, 7, v18 bitop3:0x40
; %bb.1371:                             ;   in Loop: Header=BB277_813 Depth=1
	s_or_b32 exec_lo, exec_lo, s17
	s_delay_alu instid0(VALU_DEP_1) | instskip(NEXT) | instid1(VALU_DEP_2)
	v_dual_lshlrev_b32 v6, 8, v6 :: v_dual_lshlrev_b32 v0, 23, v0
	v_lshl_add_u32 v9, v9, 10, 0x2000
	s_delay_alu instid0(VALU_DEP_1) | instskip(NEXT) | instid1(VALU_DEP_1)
	v_and_or_b32 v6, 0x8000, v6, v9
	v_lshl_or_b32 v9, v6, 16, v0
.LBB277_1372:                           ;   in Loop: Header=BB277_813 Depth=1
	s_or_b32 exec_lo, exec_lo, s16
.LBB277_1373:                           ;   in Loop: Header=BB277_813 Depth=1
	s_delay_alu instid0(SALU_CYCLE_1)
	s_or_b32 exec_lo, exec_lo, s15
.LBB277_1374:                           ;   in Loop: Header=BB277_813 Depth=1
	s_delay_alu instid0(SALU_CYCLE_1) | instskip(SKIP_4) | instid1(VALU_DEP_3)
	s_or_b32 exec_lo, exec_lo, s14
	v_and_b32_e32 v0, 0xff, v37
	v_dual_mov_b32 v6, v37 :: v_dual_mov_b32 v18, 0
	v_mov_b32_e32 v17, 0
	s_mov_b32 s14, exec_lo
	v_cmpx_ne_u16_e32 0, v0
	s_cbranch_execz .LBB277_1382
; %bb.1375:                             ;   in Loop: Header=BB277_813 Depth=1
	v_mov_b32_e32 v17, 0x8000
	s_mov_b32 s15, exec_lo
	v_cmpx_ne_u16_e32 0x80, v0
	s_cbranch_execz .LBB277_1381
; %bb.1376:                             ;   in Loop: Header=BB277_813 Depth=1
	v_and_b32_e32 v19, 0x7f, v37
	v_mov_b32_e32 v17, 0x7c01
	s_mov_b32 s16, exec_lo
	s_delay_alu instid0(VALU_DEP_2)
	v_cmpx_ne_u32_e32 0x7f, v19
	s_cbranch_execz .LBB277_1380
; %bb.1377:                             ;   in Loop: Header=BB277_813 Depth=1
	v_dual_lshrrev_b32 v17, 3, v19 :: v_dual_bitop2_b32 v0, 7, v37 bitop3:0x40
	s_mov_b32 s17, exec_lo
	v_cmpx_gt_u32_e32 8, v19
; %bb.1378:                             ;   in Loop: Header=BB277_813 Depth=1
	s_delay_alu instid0(VALU_DEP_2) | instskip(NEXT) | instid1(VALU_DEP_1)
	v_clz_i32_u32_e32 v0, v0
	v_min_u32_e32 v0, 32, v0
	s_delay_alu instid0(VALU_DEP_1) | instskip(NEXT) | instid1(VALU_DEP_1)
	v_subrev_nc_u32_e32 v17, 28, v0
	v_lshlrev_b64_e32 v[22:23], v17, v[6:7]
	s_delay_alu instid0(VALU_DEP_1)
	v_dual_sub_nc_u32 v17, 29, v0 :: v_dual_bitop2_b32 v0, 7, v22 bitop3:0x40
; %bb.1379:                             ;   in Loop: Header=BB277_813 Depth=1
	s_or_b32 exec_lo, exec_lo, s17
	s_delay_alu instid0(VALU_DEP_1) | instskip(NEXT) | instid1(VALU_DEP_2)
	v_dual_lshlrev_b32 v19, 8, v37 :: v_dual_lshlrev_b32 v0, 7, v0
	v_lshl_add_u32 v17, v17, 10, 0x2000
	s_delay_alu instid0(VALU_DEP_2) | instskip(NEXT) | instid1(VALU_DEP_2)
	v_and_b32_e32 v19, 0x8000, v19
	v_and_b32_e32 v17, 0xfc00, v17
	s_delay_alu instid0(VALU_DEP_1)
	v_or3_b32 v17, v19, v17, v0
.LBB277_1380:                           ;   in Loop: Header=BB277_813 Depth=1
	s_or_b32 exec_lo, exec_lo, s16
.LBB277_1381:                           ;   in Loop: Header=BB277_813 Depth=1
	s_delay_alu instid0(SALU_CYCLE_1)
	s_or_b32 exec_lo, exec_lo, s15
.LBB277_1382:                           ;   in Loop: Header=BB277_813 Depth=1
	s_delay_alu instid0(SALU_CYCLE_1) | instskip(SKIP_3) | instid1(VALU_DEP_2)
	s_or_b32 exec_lo, exec_lo, s14
	v_lshrrev_b16 v6, 8, v6
	v_mov_b32_e32 v19, 0
	s_mov_b32 s14, exec_lo
	v_cmpx_ne_u16_e32 0, v6
	s_cbranch_execz .LBB277_1390
; %bb.1383:                             ;   in Loop: Header=BB277_813 Depth=1
	v_bfrev_b32_e32 v19, 1
	s_mov_b32 s15, exec_lo
	v_cmpx_ne_u16_e32 0x80, v6
	s_cbranch_execz .LBB277_1389
; %bb.1384:                             ;   in Loop: Header=BB277_813 Depth=1
	v_and_b32_e32 v0, 0xffff, v6
	v_mov_b32_e32 v19, 0x7c010000
	s_mov_b32 s16, exec_lo
	s_delay_alu instid0(VALU_DEP_2) | instskip(NEXT) | instid1(VALU_DEP_1)
	v_and_b32_e32 v23, 0x7f, v0
	v_cmpx_ne_u32_e32 0x7f, v23
	s_cbranch_execz .LBB277_1388
; %bb.1385:                             ;   in Loop: Header=BB277_813 Depth=1
	v_dual_lshrrev_b32 v22, 3, v23 :: v_dual_bitop2_b32 v19, 7, v0 bitop3:0x40
	s_mov_b32 s17, exec_lo
	v_cmpx_gt_u32_e32 8, v23
; %bb.1386:                             ;   in Loop: Header=BB277_813 Depth=1
	s_delay_alu instid0(VALU_DEP_2) | instskip(NEXT) | instid1(VALU_DEP_1)
	v_clz_i32_u32_e32 v19, v19
	v_min_u32_e32 v19, 32, v19
	s_delay_alu instid0(VALU_DEP_1) | instskip(NEXT) | instid1(VALU_DEP_1)
	v_subrev_nc_u32_e32 v22, 28, v19
	v_lshlrev_b64_e32 v[38:39], v22, v[6:7]
	s_delay_alu instid0(VALU_DEP_1)
	v_dual_sub_nc_u32 v22, 29, v19 :: v_dual_bitop2_b32 v19, 7, v38 bitop3:0x40
; %bb.1387:                             ;   in Loop: Header=BB277_813 Depth=1
	s_or_b32 exec_lo, exec_lo, s17
	v_lshlrev_b32_e32 v0, 8, v0
	s_delay_alu instid0(VALU_DEP_2) | instskip(NEXT) | instid1(VALU_DEP_1)
	v_lshl_add_u32 v6, v22, 10, 0x2000
	v_and_or_b32 v0, 0x8000, v0, v6
	v_lshlrev_b32_e32 v6, 23, v19
	s_delay_alu instid0(VALU_DEP_1)
	v_lshl_or_b32 v19, v0, 16, v6
.LBB277_1388:                           ;   in Loop: Header=BB277_813 Depth=1
	s_or_b32 exec_lo, exec_lo, s16
.LBB277_1389:                           ;   in Loop: Header=BB277_813 Depth=1
	s_delay_alu instid0(SALU_CYCLE_1)
	s_or_b32 exec_lo, exec_lo, s15
.LBB277_1390:                           ;   in Loop: Header=BB277_813 Depth=1
	s_delay_alu instid0(SALU_CYCLE_1) | instskip(SKIP_2) | instid1(VALU_DEP_1)
	s_or_b32 exec_lo, exec_lo, s14
	v_lshrrev_b32_e32 v0, 16, v37
	s_mov_b32 s14, exec_lo
	v_and_b32_e32 v6, 0xff, v0
	s_delay_alu instid0(VALU_DEP_1)
	v_cmpx_ne_u16_e32 0, v6
	s_cbranch_execz .LBB277_1398
; %bb.1391:                             ;   in Loop: Header=BB277_813 Depth=1
	v_mov_b32_e32 v18, 0x8000
	s_mov_b32 s15, exec_lo
	v_cmpx_ne_u16_e32 0x80, v6
	s_cbranch_execz .LBB277_1397
; %bb.1392:                             ;   in Loop: Header=BB277_813 Depth=1
	v_bfe_u32 v22, v37, 16, 7
	v_mov_b32_e32 v18, 0x7c01
	s_mov_b32 s16, exec_lo
	s_delay_alu instid0(VALU_DEP_2)
	v_cmpx_ne_u32_e32 0x7f, v22
	s_cbranch_execz .LBB277_1396
; %bb.1393:                             ;   in Loop: Header=BB277_813 Depth=1
	v_dual_lshrrev_b32 v18, 3, v22 :: v_dual_bitop2_b32 v6, 7, v0 bitop3:0x40
	s_mov_b32 s17, exec_lo
	v_cmpx_gt_u32_e32 8, v22
; %bb.1394:                             ;   in Loop: Header=BB277_813 Depth=1
	s_delay_alu instid0(VALU_DEP_2) | instskip(NEXT) | instid1(VALU_DEP_1)
	v_clz_i32_u32_e32 v6, v6
	v_min_u32_e32 v6, 32, v6
	s_delay_alu instid0(VALU_DEP_1) | instskip(NEXT) | instid1(VALU_DEP_1)
	v_subrev_nc_u32_e32 v18, 28, v6
	v_lshlrev_b64_e32 v[22:23], v18, v[0:1]
	v_sub_nc_u32_e32 v18, 29, v6
	s_delay_alu instid0(VALU_DEP_2)
	v_and_b32_e32 v6, 7, v22
; %bb.1395:                             ;   in Loop: Header=BB277_813 Depth=1
	s_or_b32 exec_lo, exec_lo, s17
	s_delay_alu instid0(VALU_DEP_1) | instskip(NEXT) | instid1(VALU_DEP_3)
	v_dual_lshlrev_b32 v0, 8, v0 :: v_dual_lshlrev_b32 v6, 7, v6
	v_lshl_add_u32 v18, v18, 10, 0x2000
	s_delay_alu instid0(VALU_DEP_2) | instskip(NEXT) | instid1(VALU_DEP_2)
	v_and_b32_e32 v0, 0x8000, v0
	v_and_b32_e32 v18, 0xfc00, v18
	s_delay_alu instid0(VALU_DEP_1)
	v_or3_b32 v18, v0, v18, v6
.LBB277_1396:                           ;   in Loop: Header=BB277_813 Depth=1
	s_or_b32 exec_lo, exec_lo, s16
.LBB277_1397:                           ;   in Loop: Header=BB277_813 Depth=1
	s_delay_alu instid0(SALU_CYCLE_1)
	s_or_b32 exec_lo, exec_lo, s15
.LBB277_1398:                           ;   in Loop: Header=BB277_813 Depth=1
	s_delay_alu instid0(SALU_CYCLE_1)
	s_or_b32 exec_lo, exec_lo, s14
	v_mov_b32_e32 v0, 0
	s_mov_b32 s14, exec_lo
	v_cmpx_lt_u64_e64 s[2:3], v[36:37]
	s_cbranch_execz .LBB277_1406
; %bb.1399:                             ;   in Loop: Header=BB277_813 Depth=1
	v_lshrrev_b32_e32 v6, 24, v37
	v_bfrev_b32_e32 v0, 1
	s_mov_b32 s15, exec_lo
	s_delay_alu instid0(VALU_DEP_2)
	v_cmpx_ne_u32_e32 0x80, v6
	s_cbranch_execz .LBB277_1405
; %bb.1400:                             ;   in Loop: Header=BB277_813 Depth=1
	v_and_b32_e32 v23, 0x7f, v6
	v_mov_b32_e32 v0, 0x7c010000
	s_mov_b32 s16, exec_lo
	s_delay_alu instid0(VALU_DEP_2)
	v_cmpx_ne_u32_e32 0x7f, v23
	s_cbranch_execz .LBB277_1404
; %bb.1401:                             ;   in Loop: Header=BB277_813 Depth=1
	v_dual_lshrrev_b32 v22, 3, v23 :: v_dual_bitop2_b32 v0, 7, v6 bitop3:0x40
	s_mov_b32 s17, exec_lo
	v_cmpx_gt_u32_e32 8, v23
; %bb.1402:                             ;   in Loop: Header=BB277_813 Depth=1
	s_delay_alu instid0(VALU_DEP_2) | instskip(NEXT) | instid1(VALU_DEP_1)
	v_clz_i32_u32_e32 v0, v0
	v_min_u32_e32 v0, 32, v0
	s_delay_alu instid0(VALU_DEP_1) | instskip(NEXT) | instid1(VALU_DEP_1)
	v_subrev_nc_u32_e32 v22, 28, v0
	v_lshlrev_b64_e32 v[36:37], v22, v[6:7]
	v_sub_nc_u32_e32 v22, 29, v0
	s_delay_alu instid0(VALU_DEP_2)
	v_and_b32_e32 v0, 7, v36
; %bb.1403:                             ;   in Loop: Header=BB277_813 Depth=1
	s_or_b32 exec_lo, exec_lo, s17
	s_delay_alu instid0(VALU_DEP_1) | instskip(NEXT) | instid1(VALU_DEP_3)
	v_dual_lshlrev_b32 v6, 8, v6 :: v_dual_lshlrev_b32 v0, 23, v0
	v_lshl_add_u32 v22, v22, 10, 0x2000
	s_delay_alu instid0(VALU_DEP_1) | instskip(NEXT) | instid1(VALU_DEP_1)
	v_and_or_b32 v6, 0x8000, v6, v22
	v_lshl_or_b32 v0, v6, 16, v0
.LBB277_1404:                           ;   in Loop: Header=BB277_813 Depth=1
	s_or_b32 exec_lo, exec_lo, s16
.LBB277_1405:                           ;   in Loop: Header=BB277_813 Depth=1
	s_delay_alu instid0(SALU_CYCLE_1)
	s_or_b32 exec_lo, exec_lo, s15
.LBB277_1406:                           ;   in Loop: Header=BB277_813 Depth=1
	s_delay_alu instid0(SALU_CYCLE_1) | instskip(SKIP_2) | instid1(VALU_DEP_2)
	s_or_b32 exec_lo, exec_lo, s14
	v_dual_lshrrev_b32 v6, 16, v1 :: v_dual_bitop2_b32 v1, v1, v8 bitop3:0x54
	v_dual_lshrrev_b32 v22, 16, v9 :: v_dual_bitop2_b32 v16, v9, v16 bitop3:0x54
	v_cvt_f32_f16_e32 v9, v6
	v_dual_lshrrev_b32 v18, 16, v19 :: v_dual_bitop2_b32 v6, v0, v18 bitop3:0x54
	s_delay_alu instid0(VALU_DEP_3)
	v_cvt_f32_f16_e32 v8, v22
	v_dual_lshrrev_b32 v22, 16, v0 :: v_dual_bitop2_b32 v19, v19, v17 bitop3:0x54
	v_cvt_f32_f16_e32 v0, v16
	v_cvt_f32_f16_e32 v1, v1
	s_wait_loadcnt_dscnt 0x0
	v_pk_mul_f32 v[8:9], v[34:35], v[8:9] op_sel_hi:[0,1]
	v_cvt_f32_f16_e32 v17, v18
	v_cvt_f32_f16_e32 v16, v22
	;; [unrolled: 1-line block ×4, first 2 shown]
	v_pk_mul_f32 v[0:1], v[34:35], v[0:1] op_sel_hi:[0,1]
	v_cvt_pk_f16_f32 v6, v8, v9
	v_pk_mul_f32 v[8:9], v[34:35], v[16:17] op_sel_hi:[0,1]
	s_delay_alu instid0(VALU_DEP_4) | instskip(NEXT) | instid1(VALU_DEP_4)
	v_pk_mul_f32 v[16:17], v[34:35], v[18:19] op_sel_hi:[0,1]
	v_cvt_pk_f16_f32 v0, v0, v1
	s_delay_alu instid0(VALU_DEP_4) | instskip(NEXT) | instid1(VALU_DEP_4)
	v_and_b32_e32 v19, 0xffff0000, v6
	v_cvt_pk_f16_f32 v8, v8, v9
	v_lshlrev_b32_e32 v34, 16, v6
	v_cvt_pk_f16_f32 v6, v16, v17
	v_lshrrev_b32_e32 v39, 16, v0
	v_and_b32_e32 v48, 0xffff, v0
	v_and_b32_e32 v1, 0xffff0000, v8
	s_delay_alu instid0(VALU_DEP_4) | instskip(SKIP_3) | instid1(VALU_DEP_4)
	v_dual_lshlrev_b32 v0, 16, v8 :: v_dual_lshrrev_b32 v9, 16, v6
	v_and_b32_e32 v6, 0xffff, v6
	v_or_b32_e32 v37, v19, v39
	v_or_b32_e32 v38, v34, v48
	;; [unrolled: 1-line block ×3, first 2 shown]
	s_delay_alu instid0(VALU_DEP_4)
	v_or_b32_e32 v36, v0, v6
	s_and_saveexec_b32 s14, vcc_lo
	s_cbranch_execz .LBB277_1408
; %bb.1407:                             ;   in Loop: Header=BB277_813 Depth=1
	v_cmp_lt_i32_e64 s0, v65, v13
	s_delay_alu instid0(VALU_DEP_1) | instskip(SKIP_1) | instid1(VALU_DEP_1)
	v_cndmask_b32_e64 v8, 0, v39, s0
	v_cmp_lt_i32_e64 s0, v80, v12
	v_cndmask_b32_e64 v16, 0, v48, s0
	v_cmp_lt_i32_e64 s0, v71, v13
	s_delay_alu instid0(VALU_DEP_1) | instskip(SKIP_1) | instid1(VALU_DEP_1)
	v_cndmask_b32_e64 v17, 0, v19, s0
	v_cmp_lt_i32_e64 s0, v70, v12
	v_cndmask_b32_e64 v18, 0, v34, s0
	v_cmp_lt_i32_e64 s0, v69, v13
	s_delay_alu instid0(VALU_DEP_4) | instskip(NEXT) | instid1(VALU_DEP_2)
	v_or_b32_e32 v37, v8, v17
	v_dual_cndmask_b32 v9, 0, v9, s0 :: v_dual_bitop2_b32 v38, v16, v18 bitop3:0x54
	v_cmp_lt_i32_e64 s0, v68, v12
	s_delay_alu instid0(VALU_DEP_1) | instskip(SKIP_1) | instid1(VALU_DEP_1)
	v_cndmask_b32_e64 v6, 0, v6, s0
	v_cmp_lt_i32_e64 s0, v67, v13
	v_cndmask_b32_e64 v1, 0, v1, s0
	v_cmp_lt_i32_e64 s0, v66, v12
	s_delay_alu instid0(VALU_DEP_1) | instskip(NEXT) | instid1(VALU_DEP_1)
	v_dual_cndmask_b32 v0, 0, v0, s0 :: v_dual_bitop2_b32 v35, v9, v1 bitop3:0x54
	v_or_b32_e32 v36, v6, v0
.LBB277_1408:                           ;   in Loop: Header=BB277_813 Depth=1
	s_or_b32 exec_lo, exec_lo, s14
	;;#ASMSTART
	v_pk_mul_f16 v0, v85, v37;

	;;#ASMEND
	;;#ASMSTART
	v_pk_mul_f16 v1, v83, v38;

	;;#ASMEND
	;; [unrolled: 4-line block ×4, first 2 shown]
	;;#ASMSTART
	v_pk_add_f16 v0, v0, v1;

	;;#ASMEND
	;;#ASMSTART
	v_pk_add_f16 v0, v0, v6;

	;;#ASMEND
	;; [unrolled: 4-line block ×3, first 2 shown]
	v_and_b32_e32 v1, 0xffff, v0
	v_lshrrev_b32_e32 v0, 16, v0
	;;#ASMSTART
	v_cvt_f32_f16 v117, v1;
	;;#ASMEND
	;;#ASMSTART
	v_cvt_f32_f16 v118, v0;
	;;#ASMEND
	flat_load_b64 v[36:37], v[28:29] offset:2304
	scratch_load_b64 v[0:1], off, s32 offset:192 ; 8-byte Folded Reload
	v_mov_b32_e32 v8, 0
	s_mov_b32 s14, exec_lo
	s_wait_loadcnt 0x0
	flat_load_b32 v34, v[0:1]
	s_wait_dscnt 0x1
	s_wait_xcnt 0x0
	v_and_b32_e32 v0, 0xff, v36
	v_mov_b32_e32 v1, 0
	s_delay_alu instid0(VALU_DEP_2)
	v_cmpx_ne_u16_e32 0, v0
	s_cbranch_execz .LBB277_1416
; %bb.1409:                             ;   in Loop: Header=BB277_813 Depth=1
	v_mov_b32_e32 v8, 0x8000
	s_mov_b32 s15, exec_lo
	v_cmpx_ne_u16_e32 0x80, v0
	s_cbranch_execz .LBB277_1415
; %bb.1410:                             ;   in Loop: Header=BB277_813 Depth=1
	v_and_b32_e32 v9, 0x7f, v36
	v_mov_b32_e32 v8, 0x7c01
	s_mov_b32 s16, exec_lo
	s_delay_alu instid0(VALU_DEP_2)
	v_cmpx_ne_u32_e32 0x7f, v9
	s_cbranch_execz .LBB277_1414
; %bb.1411:                             ;   in Loop: Header=BB277_813 Depth=1
	v_dual_lshrrev_b32 v6, 3, v9 :: v_dual_bitop2_b32 v0, 7, v36 bitop3:0x40
	s_mov_b32 s17, exec_lo
	v_cmpx_gt_u32_e32 8, v9
; %bb.1412:                             ;   in Loop: Header=BB277_813 Depth=1
	s_delay_alu instid0(VALU_DEP_2) | instskip(NEXT) | instid1(VALU_DEP_1)
	v_clz_i32_u32_e32 v0, v0
	v_min_u32_e32 v0, 32, v0
	s_delay_alu instid0(VALU_DEP_1) | instskip(NEXT) | instid1(VALU_DEP_1)
	v_subrev_nc_u32_e32 v6, 28, v0
	v_lshlrev_b64_e32 v[8:9], v6, v[36:37]
	v_sub_nc_u32_e32 v6, 29, v0
	s_delay_alu instid0(VALU_DEP_2)
	v_and_b32_e32 v0, 7, v8
; %bb.1413:                             ;   in Loop: Header=BB277_813 Depth=1
	s_or_b32 exec_lo, exec_lo, s17
	v_lshlrev_b32_e32 v8, 8, v36
	s_delay_alu instid0(VALU_DEP_3) | instskip(NEXT) | instid1(VALU_DEP_3)
	v_lshl_add_u32 v6, v6, 10, 0x2000
	v_lshlrev_b32_e32 v0, 7, v0
	s_delay_alu instid0(VALU_DEP_3) | instskip(NEXT) | instid1(VALU_DEP_3)
	v_and_b32_e32 v8, 0x8000, v8
	v_and_b32_e32 v6, 0xfc00, v6
	s_delay_alu instid0(VALU_DEP_1)
	v_or3_b32 v8, v8, v6, v0
.LBB277_1414:                           ;   in Loop: Header=BB277_813 Depth=1
	s_or_b32 exec_lo, exec_lo, s16
.LBB277_1415:                           ;   in Loop: Header=BB277_813 Depth=1
	s_delay_alu instid0(SALU_CYCLE_1)
	s_or_b32 exec_lo, exec_lo, s15
.LBB277_1416:                           ;   in Loop: Header=BB277_813 Depth=1
	s_delay_alu instid0(SALU_CYCLE_1) | instskip(SKIP_2) | instid1(VALU_DEP_1)
	s_or_b32 exec_lo, exec_lo, s14
	v_lshrrev_b16 v6, 8, v36
	s_mov_b32 s14, exec_lo
	v_cmpx_ne_u16_e32 0, v6
	s_cbranch_execz .LBB277_1424
; %bb.1417:                             ;   in Loop: Header=BB277_813 Depth=1
	v_bfrev_b32_e32 v1, 1
	s_mov_b32 s15, exec_lo
	v_cmpx_ne_u16_e32 0x80, v6
	s_cbranch_execz .LBB277_1423
; %bb.1418:                             ;   in Loop: Header=BB277_813 Depth=1
	v_and_b32_e32 v0, 0xffff, v6
	v_mov_b32_e32 v1, 0x7c010000
	s_mov_b32 s16, exec_lo
	s_delay_alu instid0(VALU_DEP_2) | instskip(NEXT) | instid1(VALU_DEP_1)
	v_and_b32_e32 v16, 0x7f, v0
	v_cmpx_ne_u32_e32 0x7f, v16
	s_cbranch_execz .LBB277_1422
; %bb.1419:                             ;   in Loop: Header=BB277_813 Depth=1
	v_and_b32_e32 v1, 7, v0
	v_lshrrev_b32_e32 v9, 3, v16
	s_mov_b32 s17, exec_lo
	v_cmpx_gt_u32_e32 8, v16
; %bb.1420:                             ;   in Loop: Header=BB277_813 Depth=1
	s_delay_alu instid0(VALU_DEP_3) | instskip(NEXT) | instid1(VALU_DEP_1)
	v_clz_i32_u32_e32 v1, v1
	v_min_u32_e32 v1, 32, v1
	s_delay_alu instid0(VALU_DEP_1) | instskip(NEXT) | instid1(VALU_DEP_1)
	v_subrev_nc_u32_e32 v9, 28, v1
	v_lshlrev_b64_e32 v[16:17], v9, v[6:7]
	s_delay_alu instid0(VALU_DEP_1)
	v_dual_sub_nc_u32 v9, 29, v1 :: v_dual_bitop2_b32 v1, 7, v16 bitop3:0x40
; %bb.1421:                             ;   in Loop: Header=BB277_813 Depth=1
	s_or_b32 exec_lo, exec_lo, s17
	s_delay_alu instid0(VALU_DEP_1) | instskip(NEXT) | instid1(VALU_DEP_2)
	v_dual_lshlrev_b32 v0, 8, v0 :: v_dual_lshlrev_b32 v1, 23, v1
	v_lshl_add_u32 v6, v9, 10, 0x2000
	s_delay_alu instid0(VALU_DEP_1) | instskip(NEXT) | instid1(VALU_DEP_1)
	v_and_or_b32 v0, 0x8000, v0, v6
	v_lshl_or_b32 v1, v0, 16, v1
.LBB277_1422:                           ;   in Loop: Header=BB277_813 Depth=1
	s_or_b32 exec_lo, exec_lo, s16
.LBB277_1423:                           ;   in Loop: Header=BB277_813 Depth=1
	s_delay_alu instid0(SALU_CYCLE_1)
	s_or_b32 exec_lo, exec_lo, s15
.LBB277_1424:                           ;   in Loop: Header=BB277_813 Depth=1
	s_delay_alu instid0(SALU_CYCLE_1) | instskip(SKIP_3) | instid1(VALU_DEP_2)
	s_or_b32 exec_lo, exec_lo, s14
	v_dual_mov_b32 v9, 0 :: v_dual_lshrrev_b32 v0, 16, v36
	v_mov_b32_e32 v16, 0
	s_mov_b32 s14, exec_lo
	v_and_b32_e32 v6, 0xff, v0
	s_delay_alu instid0(VALU_DEP_1)
	v_cmpx_ne_u16_e32 0, v6
	s_cbranch_execz .LBB277_1432
; %bb.1425:                             ;   in Loop: Header=BB277_813 Depth=1
	v_mov_b32_e32 v16, 0x8000
	s_mov_b32 s15, exec_lo
	v_cmpx_ne_u16_e32 0x80, v6
	s_cbranch_execz .LBB277_1431
; %bb.1426:                             ;   in Loop: Header=BB277_813 Depth=1
	v_bfe_u32 v17, v36, 16, 7
	v_mov_b32_e32 v16, 0x7c01
	s_mov_b32 s16, exec_lo
	s_delay_alu instid0(VALU_DEP_2)
	v_cmpx_ne_u32_e32 0x7f, v17
	s_cbranch_execz .LBB277_1430
; %bb.1427:                             ;   in Loop: Header=BB277_813 Depth=1
	v_dual_lshrrev_b32 v16, 3, v17 :: v_dual_bitop2_b32 v6, 7, v0 bitop3:0x40
	s_mov_b32 s17, exec_lo
	v_cmpx_gt_u32_e32 8, v17
; %bb.1428:                             ;   in Loop: Header=BB277_813 Depth=1
	s_delay_alu instid0(VALU_DEP_2) | instskip(NEXT) | instid1(VALU_DEP_1)
	v_clz_i32_u32_e32 v6, v6
	v_min_u32_e32 v6, 32, v6
	s_delay_alu instid0(VALU_DEP_1) | instskip(NEXT) | instid1(VALU_DEP_1)
	v_subrev_nc_u32_e32 v16, 28, v6
	v_lshlrev_b64_e32 v[18:19], v16, v[0:1]
	v_sub_nc_u32_e32 v16, 29, v6
	s_delay_alu instid0(VALU_DEP_2)
	v_and_b32_e32 v6, 7, v18
; %bb.1429:                             ;   in Loop: Header=BB277_813 Depth=1
	s_or_b32 exec_lo, exec_lo, s17
	s_delay_alu instid0(VALU_DEP_1) | instskip(NEXT) | instid1(VALU_DEP_3)
	v_dual_lshlrev_b32 v0, 8, v0 :: v_dual_lshlrev_b32 v6, 7, v6
	v_lshl_add_u32 v16, v16, 10, 0x2000
	s_delay_alu instid0(VALU_DEP_2) | instskip(NEXT) | instid1(VALU_DEP_2)
	v_and_b32_e32 v0, 0x8000, v0
	v_and_b32_e32 v16, 0xfc00, v16
	s_delay_alu instid0(VALU_DEP_1)
	v_or3_b32 v16, v0, v16, v6
.LBB277_1430:                           ;   in Loop: Header=BB277_813 Depth=1
	s_or_b32 exec_lo, exec_lo, s16
.LBB277_1431:                           ;   in Loop: Header=BB277_813 Depth=1
	s_delay_alu instid0(SALU_CYCLE_1)
	s_or_b32 exec_lo, exec_lo, s15
.LBB277_1432:                           ;   in Loop: Header=BB277_813 Depth=1
	s_delay_alu instid0(SALU_CYCLE_1) | instskip(NEXT) | instid1(SALU_CYCLE_1)
	s_or_b32 exec_lo, exec_lo, s14
	s_mov_b32 s14, exec_lo
	v_cmpx_lt_u32_e32 0xffffff, v36
	s_cbranch_execz .LBB277_1440
; %bb.1433:                             ;   in Loop: Header=BB277_813 Depth=1
	v_lshrrev_b32_e32 v6, 24, v36
	v_bfrev_b32_e32 v9, 1
	s_mov_b32 s15, exec_lo
	s_delay_alu instid0(VALU_DEP_2)
	v_cmpx_ne_u32_e32 0x80, v6
	s_cbranch_execz .LBB277_1439
; %bb.1434:                             ;   in Loop: Header=BB277_813 Depth=1
	v_and_b32_e32 v17, 0x7f, v6
	v_mov_b32_e32 v9, 0x7c010000
	s_mov_b32 s16, exec_lo
	s_delay_alu instid0(VALU_DEP_2)
	v_cmpx_ne_u32_e32 0x7f, v17
	s_cbranch_execz .LBB277_1438
; %bb.1435:                             ;   in Loop: Header=BB277_813 Depth=1
	v_dual_lshrrev_b32 v9, 3, v17 :: v_dual_bitop2_b32 v0, 7, v6 bitop3:0x40
	s_mov_b32 s17, exec_lo
	v_cmpx_gt_u32_e32 8, v17
; %bb.1436:                             ;   in Loop: Header=BB277_813 Depth=1
	s_delay_alu instid0(VALU_DEP_2) | instskip(NEXT) | instid1(VALU_DEP_1)
	v_clz_i32_u32_e32 v0, v0
	v_min_u32_e32 v0, 32, v0
	s_delay_alu instid0(VALU_DEP_1) | instskip(NEXT) | instid1(VALU_DEP_1)
	v_subrev_nc_u32_e32 v9, 28, v0
	v_lshlrev_b64_e32 v[18:19], v9, v[6:7]
	s_delay_alu instid0(VALU_DEP_1)
	v_dual_sub_nc_u32 v9, 29, v0 :: v_dual_bitop2_b32 v0, 7, v18 bitop3:0x40
; %bb.1437:                             ;   in Loop: Header=BB277_813 Depth=1
	s_or_b32 exec_lo, exec_lo, s17
	s_delay_alu instid0(VALU_DEP_1) | instskip(NEXT) | instid1(VALU_DEP_2)
	v_dual_lshlrev_b32 v6, 8, v6 :: v_dual_lshlrev_b32 v0, 23, v0
	v_lshl_add_u32 v9, v9, 10, 0x2000
	s_delay_alu instid0(VALU_DEP_1) | instskip(NEXT) | instid1(VALU_DEP_1)
	v_and_or_b32 v6, 0x8000, v6, v9
	v_lshl_or_b32 v9, v6, 16, v0
.LBB277_1438:                           ;   in Loop: Header=BB277_813 Depth=1
	s_or_b32 exec_lo, exec_lo, s16
.LBB277_1439:                           ;   in Loop: Header=BB277_813 Depth=1
	s_delay_alu instid0(SALU_CYCLE_1)
	s_or_b32 exec_lo, exec_lo, s15
.LBB277_1440:                           ;   in Loop: Header=BB277_813 Depth=1
	s_delay_alu instid0(SALU_CYCLE_1) | instskip(SKIP_4) | instid1(VALU_DEP_3)
	s_or_b32 exec_lo, exec_lo, s14
	v_and_b32_e32 v0, 0xff, v37
	v_dual_mov_b32 v6, v37 :: v_dual_mov_b32 v18, 0
	v_mov_b32_e32 v17, 0
	s_mov_b32 s14, exec_lo
	v_cmpx_ne_u16_e32 0, v0
	s_cbranch_execz .LBB277_1448
; %bb.1441:                             ;   in Loop: Header=BB277_813 Depth=1
	v_mov_b32_e32 v17, 0x8000
	s_mov_b32 s15, exec_lo
	v_cmpx_ne_u16_e32 0x80, v0
	s_cbranch_execz .LBB277_1447
; %bb.1442:                             ;   in Loop: Header=BB277_813 Depth=1
	v_and_b32_e32 v19, 0x7f, v37
	v_mov_b32_e32 v17, 0x7c01
	s_mov_b32 s16, exec_lo
	s_delay_alu instid0(VALU_DEP_2)
	v_cmpx_ne_u32_e32 0x7f, v19
	s_cbranch_execz .LBB277_1446
; %bb.1443:                             ;   in Loop: Header=BB277_813 Depth=1
	v_dual_lshrrev_b32 v17, 3, v19 :: v_dual_bitop2_b32 v0, 7, v37 bitop3:0x40
	s_mov_b32 s17, exec_lo
	v_cmpx_gt_u32_e32 8, v19
; %bb.1444:                             ;   in Loop: Header=BB277_813 Depth=1
	s_delay_alu instid0(VALU_DEP_2) | instskip(NEXT) | instid1(VALU_DEP_1)
	v_clz_i32_u32_e32 v0, v0
	v_min_u32_e32 v0, 32, v0
	s_delay_alu instid0(VALU_DEP_1) | instskip(NEXT) | instid1(VALU_DEP_1)
	v_subrev_nc_u32_e32 v17, 28, v0
	v_lshlrev_b64_e32 v[22:23], v17, v[6:7]
	s_delay_alu instid0(VALU_DEP_1)
	v_dual_sub_nc_u32 v17, 29, v0 :: v_dual_bitop2_b32 v0, 7, v22 bitop3:0x40
; %bb.1445:                             ;   in Loop: Header=BB277_813 Depth=1
	s_or_b32 exec_lo, exec_lo, s17
	s_delay_alu instid0(VALU_DEP_1) | instskip(NEXT) | instid1(VALU_DEP_2)
	v_dual_lshlrev_b32 v19, 8, v37 :: v_dual_lshlrev_b32 v0, 7, v0
	v_lshl_add_u32 v17, v17, 10, 0x2000
	s_delay_alu instid0(VALU_DEP_2) | instskip(NEXT) | instid1(VALU_DEP_2)
	v_and_b32_e32 v19, 0x8000, v19
	v_and_b32_e32 v17, 0xfc00, v17
	s_delay_alu instid0(VALU_DEP_1)
	v_or3_b32 v17, v19, v17, v0
.LBB277_1446:                           ;   in Loop: Header=BB277_813 Depth=1
	s_or_b32 exec_lo, exec_lo, s16
.LBB277_1447:                           ;   in Loop: Header=BB277_813 Depth=1
	s_delay_alu instid0(SALU_CYCLE_1)
	s_or_b32 exec_lo, exec_lo, s15
.LBB277_1448:                           ;   in Loop: Header=BB277_813 Depth=1
	s_delay_alu instid0(SALU_CYCLE_1) | instskip(SKIP_3) | instid1(VALU_DEP_2)
	s_or_b32 exec_lo, exec_lo, s14
	v_lshrrev_b16 v6, 8, v6
	v_mov_b32_e32 v19, 0
	s_mov_b32 s14, exec_lo
	v_cmpx_ne_u16_e32 0, v6
	s_cbranch_execz .LBB277_1456
; %bb.1449:                             ;   in Loop: Header=BB277_813 Depth=1
	v_bfrev_b32_e32 v19, 1
	s_mov_b32 s15, exec_lo
	v_cmpx_ne_u16_e32 0x80, v6
	s_cbranch_execz .LBB277_1455
; %bb.1450:                             ;   in Loop: Header=BB277_813 Depth=1
	v_and_b32_e32 v0, 0xffff, v6
	v_mov_b32_e32 v19, 0x7c010000
	s_mov_b32 s16, exec_lo
	s_delay_alu instid0(VALU_DEP_2) | instskip(NEXT) | instid1(VALU_DEP_1)
	v_and_b32_e32 v23, 0x7f, v0
	v_cmpx_ne_u32_e32 0x7f, v23
	s_cbranch_execz .LBB277_1454
; %bb.1451:                             ;   in Loop: Header=BB277_813 Depth=1
	v_dual_lshrrev_b32 v22, 3, v23 :: v_dual_bitop2_b32 v19, 7, v0 bitop3:0x40
	s_mov_b32 s17, exec_lo
	v_cmpx_gt_u32_e32 8, v23
; %bb.1452:                             ;   in Loop: Header=BB277_813 Depth=1
	s_delay_alu instid0(VALU_DEP_2) | instskip(NEXT) | instid1(VALU_DEP_1)
	v_clz_i32_u32_e32 v19, v19
	v_min_u32_e32 v19, 32, v19
	s_delay_alu instid0(VALU_DEP_1) | instskip(NEXT) | instid1(VALU_DEP_1)
	v_subrev_nc_u32_e32 v22, 28, v19
	v_lshlrev_b64_e32 v[38:39], v22, v[6:7]
	s_delay_alu instid0(VALU_DEP_1)
	v_dual_sub_nc_u32 v22, 29, v19 :: v_dual_bitop2_b32 v19, 7, v38 bitop3:0x40
; %bb.1453:                             ;   in Loop: Header=BB277_813 Depth=1
	s_or_b32 exec_lo, exec_lo, s17
	v_lshlrev_b32_e32 v0, 8, v0
	s_delay_alu instid0(VALU_DEP_2) | instskip(NEXT) | instid1(VALU_DEP_1)
	v_lshl_add_u32 v6, v22, 10, 0x2000
	v_and_or_b32 v0, 0x8000, v0, v6
	v_lshlrev_b32_e32 v6, 23, v19
	s_delay_alu instid0(VALU_DEP_1)
	v_lshl_or_b32 v19, v0, 16, v6
.LBB277_1454:                           ;   in Loop: Header=BB277_813 Depth=1
	s_or_b32 exec_lo, exec_lo, s16
.LBB277_1455:                           ;   in Loop: Header=BB277_813 Depth=1
	s_delay_alu instid0(SALU_CYCLE_1)
	s_or_b32 exec_lo, exec_lo, s15
.LBB277_1456:                           ;   in Loop: Header=BB277_813 Depth=1
	s_delay_alu instid0(SALU_CYCLE_1) | instskip(SKIP_2) | instid1(VALU_DEP_1)
	s_or_b32 exec_lo, exec_lo, s14
	v_lshrrev_b32_e32 v0, 16, v37
	s_mov_b32 s14, exec_lo
	v_and_b32_e32 v6, 0xff, v0
	s_delay_alu instid0(VALU_DEP_1)
	v_cmpx_ne_u16_e32 0, v6
	s_cbranch_execz .LBB277_1464
; %bb.1457:                             ;   in Loop: Header=BB277_813 Depth=1
	v_mov_b32_e32 v18, 0x8000
	s_mov_b32 s15, exec_lo
	v_cmpx_ne_u16_e32 0x80, v6
	s_cbranch_execz .LBB277_1463
; %bb.1458:                             ;   in Loop: Header=BB277_813 Depth=1
	v_bfe_u32 v22, v37, 16, 7
	v_mov_b32_e32 v18, 0x7c01
	s_mov_b32 s16, exec_lo
	s_delay_alu instid0(VALU_DEP_2)
	v_cmpx_ne_u32_e32 0x7f, v22
	s_cbranch_execz .LBB277_1462
; %bb.1459:                             ;   in Loop: Header=BB277_813 Depth=1
	v_dual_lshrrev_b32 v18, 3, v22 :: v_dual_bitop2_b32 v6, 7, v0 bitop3:0x40
	s_mov_b32 s17, exec_lo
	v_cmpx_gt_u32_e32 8, v22
; %bb.1460:                             ;   in Loop: Header=BB277_813 Depth=1
	s_delay_alu instid0(VALU_DEP_2) | instskip(NEXT) | instid1(VALU_DEP_1)
	v_clz_i32_u32_e32 v6, v6
	v_min_u32_e32 v6, 32, v6
	s_delay_alu instid0(VALU_DEP_1) | instskip(NEXT) | instid1(VALU_DEP_1)
	v_subrev_nc_u32_e32 v18, 28, v6
	v_lshlrev_b64_e32 v[22:23], v18, v[0:1]
	v_sub_nc_u32_e32 v18, 29, v6
	s_delay_alu instid0(VALU_DEP_2)
	v_and_b32_e32 v6, 7, v22
; %bb.1461:                             ;   in Loop: Header=BB277_813 Depth=1
	s_or_b32 exec_lo, exec_lo, s17
	s_delay_alu instid0(VALU_DEP_1) | instskip(NEXT) | instid1(VALU_DEP_3)
	v_dual_lshlrev_b32 v0, 8, v0 :: v_dual_lshlrev_b32 v6, 7, v6
	v_lshl_add_u32 v18, v18, 10, 0x2000
	s_delay_alu instid0(VALU_DEP_2) | instskip(NEXT) | instid1(VALU_DEP_2)
	v_and_b32_e32 v0, 0x8000, v0
	v_and_b32_e32 v18, 0xfc00, v18
	s_delay_alu instid0(VALU_DEP_1)
	v_or3_b32 v18, v0, v18, v6
.LBB277_1462:                           ;   in Loop: Header=BB277_813 Depth=1
	s_or_b32 exec_lo, exec_lo, s16
.LBB277_1463:                           ;   in Loop: Header=BB277_813 Depth=1
	s_delay_alu instid0(SALU_CYCLE_1)
	s_or_b32 exec_lo, exec_lo, s15
.LBB277_1464:                           ;   in Loop: Header=BB277_813 Depth=1
	s_delay_alu instid0(SALU_CYCLE_1)
	s_or_b32 exec_lo, exec_lo, s14
	v_mov_b32_e32 v0, 0
	s_mov_b32 s14, exec_lo
	v_cmpx_lt_u64_e64 s[2:3], v[36:37]
	s_cbranch_execz .LBB277_1472
; %bb.1465:                             ;   in Loop: Header=BB277_813 Depth=1
	v_lshrrev_b32_e32 v6, 24, v37
	v_bfrev_b32_e32 v0, 1
	s_mov_b32 s15, exec_lo
	s_delay_alu instid0(VALU_DEP_2)
	v_cmpx_ne_u32_e32 0x80, v6
	s_cbranch_execz .LBB277_1471
; %bb.1466:                             ;   in Loop: Header=BB277_813 Depth=1
	v_and_b32_e32 v23, 0x7f, v6
	v_mov_b32_e32 v0, 0x7c010000
	s_mov_b32 s16, exec_lo
	s_delay_alu instid0(VALU_DEP_2)
	v_cmpx_ne_u32_e32 0x7f, v23
	s_cbranch_execz .LBB277_1470
; %bb.1467:                             ;   in Loop: Header=BB277_813 Depth=1
	v_dual_lshrrev_b32 v22, 3, v23 :: v_dual_bitop2_b32 v0, 7, v6 bitop3:0x40
	s_mov_b32 s17, exec_lo
	v_cmpx_gt_u32_e32 8, v23
; %bb.1468:                             ;   in Loop: Header=BB277_813 Depth=1
	s_delay_alu instid0(VALU_DEP_2) | instskip(NEXT) | instid1(VALU_DEP_1)
	v_clz_i32_u32_e32 v0, v0
	v_min_u32_e32 v0, 32, v0
	s_delay_alu instid0(VALU_DEP_1) | instskip(NEXT) | instid1(VALU_DEP_1)
	v_subrev_nc_u32_e32 v22, 28, v0
	v_lshlrev_b64_e32 v[36:37], v22, v[6:7]
	v_sub_nc_u32_e32 v22, 29, v0
	s_delay_alu instid0(VALU_DEP_2)
	v_and_b32_e32 v0, 7, v36
; %bb.1469:                             ;   in Loop: Header=BB277_813 Depth=1
	s_or_b32 exec_lo, exec_lo, s17
	s_delay_alu instid0(VALU_DEP_1) | instskip(NEXT) | instid1(VALU_DEP_3)
	v_dual_lshlrev_b32 v6, 8, v6 :: v_dual_lshlrev_b32 v0, 23, v0
	v_lshl_add_u32 v22, v22, 10, 0x2000
	s_delay_alu instid0(VALU_DEP_1) | instskip(NEXT) | instid1(VALU_DEP_1)
	v_and_or_b32 v6, 0x8000, v6, v22
	v_lshl_or_b32 v0, v6, 16, v0
.LBB277_1470:                           ;   in Loop: Header=BB277_813 Depth=1
	s_or_b32 exec_lo, exec_lo, s16
.LBB277_1471:                           ;   in Loop: Header=BB277_813 Depth=1
	s_delay_alu instid0(SALU_CYCLE_1)
	s_or_b32 exec_lo, exec_lo, s15
.LBB277_1472:                           ;   in Loop: Header=BB277_813 Depth=1
	s_delay_alu instid0(SALU_CYCLE_1) | instskip(SKIP_2) | instid1(VALU_DEP_2)
	s_or_b32 exec_lo, exec_lo, s14
	v_dual_lshrrev_b32 v6, 16, v1 :: v_dual_bitop2_b32 v1, v1, v8 bitop3:0x54
	v_dual_lshrrev_b32 v22, 16, v9 :: v_dual_bitop2_b32 v16, v9, v16 bitop3:0x54
	v_cvt_f32_f16_e32 v9, v6
	v_dual_lshrrev_b32 v18, 16, v19 :: v_dual_bitop2_b32 v6, v0, v18 bitop3:0x54
	s_delay_alu instid0(VALU_DEP_3)
	v_cvt_f32_f16_e32 v8, v22
	v_dual_lshrrev_b32 v22, 16, v0 :: v_dual_bitop2_b32 v19, v19, v17 bitop3:0x54
	v_cvt_f32_f16_e32 v0, v16
	v_cvt_f32_f16_e32 v1, v1
	s_wait_loadcnt_dscnt 0x0
	v_pk_mul_f32 v[8:9], v[34:35], v[8:9] op_sel_hi:[0,1]
	v_cvt_f32_f16_e32 v17, v18
	v_cvt_f32_f16_e32 v16, v22
	;; [unrolled: 1-line block ×4, first 2 shown]
	v_pk_mul_f32 v[0:1], v[34:35], v[0:1] op_sel_hi:[0,1]
	v_cvt_pk_f16_f32 v6, v8, v9
	v_pk_mul_f32 v[8:9], v[34:35], v[16:17] op_sel_hi:[0,1]
	s_delay_alu instid0(VALU_DEP_4) | instskip(NEXT) | instid1(VALU_DEP_4)
	v_pk_mul_f32 v[16:17], v[34:35], v[18:19] op_sel_hi:[0,1]
	v_cvt_pk_f16_f32 v0, v0, v1
	s_delay_alu instid0(VALU_DEP_4) | instskip(NEXT) | instid1(VALU_DEP_4)
	v_and_b32_e32 v19, 0xffff0000, v6
	v_cvt_pk_f16_f32 v8, v8, v9
	v_lshlrev_b32_e32 v34, 16, v6
	v_cvt_pk_f16_f32 v6, v16, v17
	v_lshrrev_b32_e32 v39, 16, v0
	v_and_b32_e32 v48, 0xffff, v0
	v_and_b32_e32 v1, 0xffff0000, v8
	s_delay_alu instid0(VALU_DEP_4) | instskip(SKIP_3) | instid1(VALU_DEP_4)
	v_dual_lshlrev_b32 v0, 16, v8 :: v_dual_lshrrev_b32 v9, 16, v6
	v_and_b32_e32 v6, 0xffff, v6
	v_or_b32_e32 v37, v19, v39
	v_or_b32_e32 v38, v34, v48
	;; [unrolled: 1-line block ×3, first 2 shown]
	s_delay_alu instid0(VALU_DEP_4)
	v_or_b32_e32 v36, v0, v6
	s_and_saveexec_b32 s14, vcc_lo
	s_cbranch_execz .LBB277_1474
; %bb.1473:                             ;   in Loop: Header=BB277_813 Depth=1
	v_cmp_lt_i32_e64 s0, v65, v13
	s_delay_alu instid0(VALU_DEP_1) | instskip(SKIP_1) | instid1(VALU_DEP_1)
	v_cndmask_b32_e64 v8, 0, v39, s0
	v_cmp_lt_i32_e64 s0, v80, v12
	v_cndmask_b32_e64 v16, 0, v48, s0
	v_cmp_lt_i32_e64 s0, v71, v13
	s_delay_alu instid0(VALU_DEP_1) | instskip(SKIP_1) | instid1(VALU_DEP_1)
	v_cndmask_b32_e64 v17, 0, v19, s0
	v_cmp_lt_i32_e64 s0, v70, v12
	v_cndmask_b32_e64 v18, 0, v34, s0
	v_cmp_lt_i32_e64 s0, v69, v13
	s_delay_alu instid0(VALU_DEP_4) | instskip(NEXT) | instid1(VALU_DEP_2)
	v_or_b32_e32 v37, v8, v17
	v_dual_cndmask_b32 v9, 0, v9, s0 :: v_dual_bitop2_b32 v38, v16, v18 bitop3:0x54
	v_cmp_lt_i32_e64 s0, v68, v12
	s_delay_alu instid0(VALU_DEP_1) | instskip(SKIP_1) | instid1(VALU_DEP_1)
	v_cndmask_b32_e64 v6, 0, v6, s0
	v_cmp_lt_i32_e64 s0, v67, v13
	v_cndmask_b32_e64 v1, 0, v1, s0
	v_cmp_lt_i32_e64 s0, v66, v12
	s_delay_alu instid0(VALU_DEP_1) | instskip(NEXT) | instid1(VALU_DEP_1)
	v_dual_cndmask_b32 v0, 0, v0, s0 :: v_dual_bitop2_b32 v35, v9, v1 bitop3:0x54
	v_or_b32_e32 v36, v6, v0
.LBB277_1474:                           ;   in Loop: Header=BB277_813 Depth=1
	s_or_b32 exec_lo, exec_lo, s14
	;;#ASMSTART
	v_pk_mul_f16 v0, v85, v37;

	;;#ASMEND
	;;#ASMSTART
	v_pk_mul_f16 v1, v83, v38;

	;;#ASMEND
	;; [unrolled: 4-line block ×4, first 2 shown]
	;;#ASMSTART
	v_pk_add_f16 v0, v0, v1;

	;;#ASMEND
	;;#ASMSTART
	v_pk_add_f16 v0, v0, v6;

	;;#ASMEND
	;; [unrolled: 4-line block ×3, first 2 shown]
	v_and_b32_e32 v1, 0xffff, v0
	v_lshrrev_b32_e32 v0, 16, v0
	;;#ASMSTART
	v_cvt_f32_f16 v119, v1;
	;;#ASMEND
	;;#ASMSTART
	v_cvt_f32_f16 v40, v0;
	;;#ASMEND
	flat_load_b64 v[36:37], v[28:29] offset:2560
	scratch_load_b64 v[0:1], off, s32 offset:192 ; 8-byte Folded Reload
	v_mov_b32_e32 v8, 0
	s_mov_b32 s14, exec_lo
	s_wait_loadcnt 0x0
	flat_load_b32 v34, v[0:1]
	s_wait_dscnt 0x1
	s_wait_xcnt 0x0
	v_and_b32_e32 v0, 0xff, v36
	v_mov_b32_e32 v1, 0
	s_delay_alu instid0(VALU_DEP_2)
	v_cmpx_ne_u16_e32 0, v0
	s_cbranch_execz .LBB277_1482
; %bb.1475:                             ;   in Loop: Header=BB277_813 Depth=1
	v_mov_b32_e32 v8, 0x8000
	s_mov_b32 s15, exec_lo
	v_cmpx_ne_u16_e32 0x80, v0
	s_cbranch_execz .LBB277_1481
; %bb.1476:                             ;   in Loop: Header=BB277_813 Depth=1
	v_and_b32_e32 v9, 0x7f, v36
	v_mov_b32_e32 v8, 0x7c01
	s_mov_b32 s16, exec_lo
	s_delay_alu instid0(VALU_DEP_2)
	v_cmpx_ne_u32_e32 0x7f, v9
	s_cbranch_execz .LBB277_1480
; %bb.1477:                             ;   in Loop: Header=BB277_813 Depth=1
	v_dual_lshrrev_b32 v6, 3, v9 :: v_dual_bitop2_b32 v0, 7, v36 bitop3:0x40
	s_mov_b32 s17, exec_lo
	v_cmpx_gt_u32_e32 8, v9
; %bb.1478:                             ;   in Loop: Header=BB277_813 Depth=1
	s_delay_alu instid0(VALU_DEP_2) | instskip(NEXT) | instid1(VALU_DEP_1)
	v_clz_i32_u32_e32 v0, v0
	v_min_u32_e32 v0, 32, v0
	s_delay_alu instid0(VALU_DEP_1) | instskip(NEXT) | instid1(VALU_DEP_1)
	v_subrev_nc_u32_e32 v6, 28, v0
	v_lshlrev_b64_e32 v[8:9], v6, v[36:37]
	v_sub_nc_u32_e32 v6, 29, v0
	s_delay_alu instid0(VALU_DEP_2)
	v_and_b32_e32 v0, 7, v8
; %bb.1479:                             ;   in Loop: Header=BB277_813 Depth=1
	s_or_b32 exec_lo, exec_lo, s17
	v_lshlrev_b32_e32 v8, 8, v36
	s_delay_alu instid0(VALU_DEP_3) | instskip(NEXT) | instid1(VALU_DEP_3)
	v_lshl_add_u32 v6, v6, 10, 0x2000
	v_lshlrev_b32_e32 v0, 7, v0
	s_delay_alu instid0(VALU_DEP_3) | instskip(NEXT) | instid1(VALU_DEP_3)
	v_and_b32_e32 v8, 0x8000, v8
	v_and_b32_e32 v6, 0xfc00, v6
	s_delay_alu instid0(VALU_DEP_1)
	v_or3_b32 v8, v8, v6, v0
.LBB277_1480:                           ;   in Loop: Header=BB277_813 Depth=1
	s_or_b32 exec_lo, exec_lo, s16
.LBB277_1481:                           ;   in Loop: Header=BB277_813 Depth=1
	s_delay_alu instid0(SALU_CYCLE_1)
	s_or_b32 exec_lo, exec_lo, s15
.LBB277_1482:                           ;   in Loop: Header=BB277_813 Depth=1
	s_delay_alu instid0(SALU_CYCLE_1) | instskip(SKIP_2) | instid1(VALU_DEP_1)
	s_or_b32 exec_lo, exec_lo, s14
	v_lshrrev_b16 v6, 8, v36
	s_mov_b32 s14, exec_lo
	v_cmpx_ne_u16_e32 0, v6
	s_cbranch_execz .LBB277_1490
; %bb.1483:                             ;   in Loop: Header=BB277_813 Depth=1
	v_bfrev_b32_e32 v1, 1
	s_mov_b32 s15, exec_lo
	v_cmpx_ne_u16_e32 0x80, v6
	s_cbranch_execz .LBB277_1489
; %bb.1484:                             ;   in Loop: Header=BB277_813 Depth=1
	v_and_b32_e32 v0, 0xffff, v6
	v_mov_b32_e32 v1, 0x7c010000
	s_mov_b32 s16, exec_lo
	s_delay_alu instid0(VALU_DEP_2) | instskip(NEXT) | instid1(VALU_DEP_1)
	v_and_b32_e32 v16, 0x7f, v0
	v_cmpx_ne_u32_e32 0x7f, v16
	s_cbranch_execz .LBB277_1488
; %bb.1485:                             ;   in Loop: Header=BB277_813 Depth=1
	v_and_b32_e32 v1, 7, v0
	v_lshrrev_b32_e32 v9, 3, v16
	s_mov_b32 s17, exec_lo
	v_cmpx_gt_u32_e32 8, v16
; %bb.1486:                             ;   in Loop: Header=BB277_813 Depth=1
	s_delay_alu instid0(VALU_DEP_3) | instskip(NEXT) | instid1(VALU_DEP_1)
	v_clz_i32_u32_e32 v1, v1
	v_min_u32_e32 v1, 32, v1
	s_delay_alu instid0(VALU_DEP_1) | instskip(NEXT) | instid1(VALU_DEP_1)
	v_subrev_nc_u32_e32 v9, 28, v1
	v_lshlrev_b64_e32 v[16:17], v9, v[6:7]
	s_delay_alu instid0(VALU_DEP_1)
	v_dual_sub_nc_u32 v9, 29, v1 :: v_dual_bitop2_b32 v1, 7, v16 bitop3:0x40
; %bb.1487:                             ;   in Loop: Header=BB277_813 Depth=1
	s_or_b32 exec_lo, exec_lo, s17
	s_delay_alu instid0(VALU_DEP_1) | instskip(NEXT) | instid1(VALU_DEP_2)
	v_dual_lshlrev_b32 v0, 8, v0 :: v_dual_lshlrev_b32 v1, 23, v1
	v_lshl_add_u32 v6, v9, 10, 0x2000
	s_delay_alu instid0(VALU_DEP_1) | instskip(NEXT) | instid1(VALU_DEP_1)
	v_and_or_b32 v0, 0x8000, v0, v6
	v_lshl_or_b32 v1, v0, 16, v1
.LBB277_1488:                           ;   in Loop: Header=BB277_813 Depth=1
	s_or_b32 exec_lo, exec_lo, s16
.LBB277_1489:                           ;   in Loop: Header=BB277_813 Depth=1
	s_delay_alu instid0(SALU_CYCLE_1)
	s_or_b32 exec_lo, exec_lo, s15
.LBB277_1490:                           ;   in Loop: Header=BB277_813 Depth=1
	s_delay_alu instid0(SALU_CYCLE_1) | instskip(SKIP_3) | instid1(VALU_DEP_2)
	s_or_b32 exec_lo, exec_lo, s14
	v_dual_mov_b32 v9, 0 :: v_dual_lshrrev_b32 v0, 16, v36
	v_mov_b32_e32 v16, 0
	s_mov_b32 s14, exec_lo
	v_and_b32_e32 v6, 0xff, v0
	s_delay_alu instid0(VALU_DEP_1)
	v_cmpx_ne_u16_e32 0, v6
	s_cbranch_execz .LBB277_1498
; %bb.1491:                             ;   in Loop: Header=BB277_813 Depth=1
	v_mov_b32_e32 v16, 0x8000
	s_mov_b32 s15, exec_lo
	v_cmpx_ne_u16_e32 0x80, v6
	s_cbranch_execz .LBB277_1497
; %bb.1492:                             ;   in Loop: Header=BB277_813 Depth=1
	v_bfe_u32 v17, v36, 16, 7
	v_mov_b32_e32 v16, 0x7c01
	s_mov_b32 s16, exec_lo
	s_delay_alu instid0(VALU_DEP_2)
	v_cmpx_ne_u32_e32 0x7f, v17
	s_cbranch_execz .LBB277_1496
; %bb.1493:                             ;   in Loop: Header=BB277_813 Depth=1
	v_dual_lshrrev_b32 v16, 3, v17 :: v_dual_bitop2_b32 v6, 7, v0 bitop3:0x40
	s_mov_b32 s17, exec_lo
	v_cmpx_gt_u32_e32 8, v17
; %bb.1494:                             ;   in Loop: Header=BB277_813 Depth=1
	s_delay_alu instid0(VALU_DEP_2) | instskip(NEXT) | instid1(VALU_DEP_1)
	v_clz_i32_u32_e32 v6, v6
	v_min_u32_e32 v6, 32, v6
	s_delay_alu instid0(VALU_DEP_1) | instskip(NEXT) | instid1(VALU_DEP_1)
	v_subrev_nc_u32_e32 v16, 28, v6
	v_lshlrev_b64_e32 v[18:19], v16, v[0:1]
	v_sub_nc_u32_e32 v16, 29, v6
	s_delay_alu instid0(VALU_DEP_2)
	v_and_b32_e32 v6, 7, v18
; %bb.1495:                             ;   in Loop: Header=BB277_813 Depth=1
	s_or_b32 exec_lo, exec_lo, s17
	s_delay_alu instid0(VALU_DEP_1) | instskip(NEXT) | instid1(VALU_DEP_3)
	v_dual_lshlrev_b32 v0, 8, v0 :: v_dual_lshlrev_b32 v6, 7, v6
	v_lshl_add_u32 v16, v16, 10, 0x2000
	s_delay_alu instid0(VALU_DEP_2) | instskip(NEXT) | instid1(VALU_DEP_2)
	v_and_b32_e32 v0, 0x8000, v0
	v_and_b32_e32 v16, 0xfc00, v16
	s_delay_alu instid0(VALU_DEP_1)
	v_or3_b32 v16, v0, v16, v6
.LBB277_1496:                           ;   in Loop: Header=BB277_813 Depth=1
	s_or_b32 exec_lo, exec_lo, s16
.LBB277_1497:                           ;   in Loop: Header=BB277_813 Depth=1
	s_delay_alu instid0(SALU_CYCLE_1)
	s_or_b32 exec_lo, exec_lo, s15
.LBB277_1498:                           ;   in Loop: Header=BB277_813 Depth=1
	s_delay_alu instid0(SALU_CYCLE_1) | instskip(NEXT) | instid1(SALU_CYCLE_1)
	s_or_b32 exec_lo, exec_lo, s14
	s_mov_b32 s14, exec_lo
	v_cmpx_lt_u32_e32 0xffffff, v36
	s_cbranch_execz .LBB277_1506
; %bb.1499:                             ;   in Loop: Header=BB277_813 Depth=1
	v_lshrrev_b32_e32 v6, 24, v36
	v_bfrev_b32_e32 v9, 1
	s_mov_b32 s15, exec_lo
	s_delay_alu instid0(VALU_DEP_2)
	v_cmpx_ne_u32_e32 0x80, v6
	s_cbranch_execz .LBB277_1505
; %bb.1500:                             ;   in Loop: Header=BB277_813 Depth=1
	v_and_b32_e32 v17, 0x7f, v6
	v_mov_b32_e32 v9, 0x7c010000
	s_mov_b32 s16, exec_lo
	s_delay_alu instid0(VALU_DEP_2)
	v_cmpx_ne_u32_e32 0x7f, v17
	s_cbranch_execz .LBB277_1504
; %bb.1501:                             ;   in Loop: Header=BB277_813 Depth=1
	v_dual_lshrrev_b32 v9, 3, v17 :: v_dual_bitop2_b32 v0, 7, v6 bitop3:0x40
	s_mov_b32 s17, exec_lo
	v_cmpx_gt_u32_e32 8, v17
; %bb.1502:                             ;   in Loop: Header=BB277_813 Depth=1
	s_delay_alu instid0(VALU_DEP_2) | instskip(NEXT) | instid1(VALU_DEP_1)
	v_clz_i32_u32_e32 v0, v0
	v_min_u32_e32 v0, 32, v0
	s_delay_alu instid0(VALU_DEP_1) | instskip(NEXT) | instid1(VALU_DEP_1)
	v_subrev_nc_u32_e32 v9, 28, v0
	v_lshlrev_b64_e32 v[18:19], v9, v[6:7]
	s_delay_alu instid0(VALU_DEP_1)
	v_dual_sub_nc_u32 v9, 29, v0 :: v_dual_bitop2_b32 v0, 7, v18 bitop3:0x40
; %bb.1503:                             ;   in Loop: Header=BB277_813 Depth=1
	s_or_b32 exec_lo, exec_lo, s17
	s_delay_alu instid0(VALU_DEP_1) | instskip(NEXT) | instid1(VALU_DEP_2)
	v_dual_lshlrev_b32 v6, 8, v6 :: v_dual_lshlrev_b32 v0, 23, v0
	v_lshl_add_u32 v9, v9, 10, 0x2000
	s_delay_alu instid0(VALU_DEP_1) | instskip(NEXT) | instid1(VALU_DEP_1)
	v_and_or_b32 v6, 0x8000, v6, v9
	v_lshl_or_b32 v9, v6, 16, v0
.LBB277_1504:                           ;   in Loop: Header=BB277_813 Depth=1
	s_or_b32 exec_lo, exec_lo, s16
.LBB277_1505:                           ;   in Loop: Header=BB277_813 Depth=1
	s_delay_alu instid0(SALU_CYCLE_1)
	s_or_b32 exec_lo, exec_lo, s15
.LBB277_1506:                           ;   in Loop: Header=BB277_813 Depth=1
	s_delay_alu instid0(SALU_CYCLE_1) | instskip(SKIP_4) | instid1(VALU_DEP_3)
	s_or_b32 exec_lo, exec_lo, s14
	v_and_b32_e32 v0, 0xff, v37
	v_dual_mov_b32 v6, v37 :: v_dual_mov_b32 v18, 0
	v_mov_b32_e32 v17, 0
	s_mov_b32 s14, exec_lo
	v_cmpx_ne_u16_e32 0, v0
	s_cbranch_execz .LBB277_1514
; %bb.1507:                             ;   in Loop: Header=BB277_813 Depth=1
	v_mov_b32_e32 v17, 0x8000
	s_mov_b32 s15, exec_lo
	v_cmpx_ne_u16_e32 0x80, v0
	s_cbranch_execz .LBB277_1513
; %bb.1508:                             ;   in Loop: Header=BB277_813 Depth=1
	v_and_b32_e32 v19, 0x7f, v37
	v_mov_b32_e32 v17, 0x7c01
	s_mov_b32 s16, exec_lo
	s_delay_alu instid0(VALU_DEP_2)
	v_cmpx_ne_u32_e32 0x7f, v19
	s_cbranch_execz .LBB277_1512
; %bb.1509:                             ;   in Loop: Header=BB277_813 Depth=1
	v_dual_lshrrev_b32 v17, 3, v19 :: v_dual_bitop2_b32 v0, 7, v37 bitop3:0x40
	s_mov_b32 s17, exec_lo
	v_cmpx_gt_u32_e32 8, v19
; %bb.1510:                             ;   in Loop: Header=BB277_813 Depth=1
	s_delay_alu instid0(VALU_DEP_2) | instskip(NEXT) | instid1(VALU_DEP_1)
	v_clz_i32_u32_e32 v0, v0
	v_min_u32_e32 v0, 32, v0
	s_delay_alu instid0(VALU_DEP_1) | instskip(NEXT) | instid1(VALU_DEP_1)
	v_subrev_nc_u32_e32 v17, 28, v0
	v_lshlrev_b64_e32 v[22:23], v17, v[6:7]
	s_delay_alu instid0(VALU_DEP_1)
	v_dual_sub_nc_u32 v17, 29, v0 :: v_dual_bitop2_b32 v0, 7, v22 bitop3:0x40
; %bb.1511:                             ;   in Loop: Header=BB277_813 Depth=1
	s_or_b32 exec_lo, exec_lo, s17
	s_delay_alu instid0(VALU_DEP_1) | instskip(NEXT) | instid1(VALU_DEP_2)
	v_dual_lshlrev_b32 v19, 8, v37 :: v_dual_lshlrev_b32 v0, 7, v0
	v_lshl_add_u32 v17, v17, 10, 0x2000
	s_delay_alu instid0(VALU_DEP_2) | instskip(NEXT) | instid1(VALU_DEP_2)
	v_and_b32_e32 v19, 0x8000, v19
	v_and_b32_e32 v17, 0xfc00, v17
	s_delay_alu instid0(VALU_DEP_1)
	v_or3_b32 v17, v19, v17, v0
.LBB277_1512:                           ;   in Loop: Header=BB277_813 Depth=1
	s_or_b32 exec_lo, exec_lo, s16
.LBB277_1513:                           ;   in Loop: Header=BB277_813 Depth=1
	s_delay_alu instid0(SALU_CYCLE_1)
	s_or_b32 exec_lo, exec_lo, s15
.LBB277_1514:                           ;   in Loop: Header=BB277_813 Depth=1
	s_delay_alu instid0(SALU_CYCLE_1) | instskip(SKIP_3) | instid1(VALU_DEP_2)
	s_or_b32 exec_lo, exec_lo, s14
	v_lshrrev_b16 v6, 8, v6
	v_mov_b32_e32 v19, 0
	s_mov_b32 s14, exec_lo
	v_cmpx_ne_u16_e32 0, v6
	s_cbranch_execz .LBB277_1522
; %bb.1515:                             ;   in Loop: Header=BB277_813 Depth=1
	v_bfrev_b32_e32 v19, 1
	s_mov_b32 s15, exec_lo
	v_cmpx_ne_u16_e32 0x80, v6
	s_cbranch_execz .LBB277_1521
; %bb.1516:                             ;   in Loop: Header=BB277_813 Depth=1
	v_and_b32_e32 v0, 0xffff, v6
	v_mov_b32_e32 v19, 0x7c010000
	s_mov_b32 s16, exec_lo
	s_delay_alu instid0(VALU_DEP_2) | instskip(NEXT) | instid1(VALU_DEP_1)
	v_and_b32_e32 v23, 0x7f, v0
	v_cmpx_ne_u32_e32 0x7f, v23
	s_cbranch_execz .LBB277_1520
; %bb.1517:                             ;   in Loop: Header=BB277_813 Depth=1
	v_dual_lshrrev_b32 v22, 3, v23 :: v_dual_bitop2_b32 v19, 7, v0 bitop3:0x40
	s_mov_b32 s17, exec_lo
	v_cmpx_gt_u32_e32 8, v23
; %bb.1518:                             ;   in Loop: Header=BB277_813 Depth=1
	s_delay_alu instid0(VALU_DEP_2) | instskip(NEXT) | instid1(VALU_DEP_1)
	v_clz_i32_u32_e32 v19, v19
	v_min_u32_e32 v19, 32, v19
	s_delay_alu instid0(VALU_DEP_1) | instskip(NEXT) | instid1(VALU_DEP_1)
	v_subrev_nc_u32_e32 v22, 28, v19
	v_lshlrev_b64_e32 v[38:39], v22, v[6:7]
	s_delay_alu instid0(VALU_DEP_1)
	v_dual_sub_nc_u32 v22, 29, v19 :: v_dual_bitop2_b32 v19, 7, v38 bitop3:0x40
; %bb.1519:                             ;   in Loop: Header=BB277_813 Depth=1
	s_or_b32 exec_lo, exec_lo, s17
	v_lshlrev_b32_e32 v0, 8, v0
	s_delay_alu instid0(VALU_DEP_2) | instskip(NEXT) | instid1(VALU_DEP_1)
	v_lshl_add_u32 v6, v22, 10, 0x2000
	v_and_or_b32 v0, 0x8000, v0, v6
	v_lshlrev_b32_e32 v6, 23, v19
	s_delay_alu instid0(VALU_DEP_1)
	v_lshl_or_b32 v19, v0, 16, v6
.LBB277_1520:                           ;   in Loop: Header=BB277_813 Depth=1
	s_or_b32 exec_lo, exec_lo, s16
.LBB277_1521:                           ;   in Loop: Header=BB277_813 Depth=1
	s_delay_alu instid0(SALU_CYCLE_1)
	s_or_b32 exec_lo, exec_lo, s15
.LBB277_1522:                           ;   in Loop: Header=BB277_813 Depth=1
	s_delay_alu instid0(SALU_CYCLE_1) | instskip(SKIP_2) | instid1(VALU_DEP_1)
	s_or_b32 exec_lo, exec_lo, s14
	v_lshrrev_b32_e32 v0, 16, v37
	s_mov_b32 s14, exec_lo
	v_and_b32_e32 v6, 0xff, v0
	s_delay_alu instid0(VALU_DEP_1)
	v_cmpx_ne_u16_e32 0, v6
	s_cbranch_execz .LBB277_1530
; %bb.1523:                             ;   in Loop: Header=BB277_813 Depth=1
	v_mov_b32_e32 v18, 0x8000
	s_mov_b32 s15, exec_lo
	v_cmpx_ne_u16_e32 0x80, v6
	s_cbranch_execz .LBB277_1529
; %bb.1524:                             ;   in Loop: Header=BB277_813 Depth=1
	v_bfe_u32 v22, v37, 16, 7
	v_mov_b32_e32 v18, 0x7c01
	s_mov_b32 s16, exec_lo
	s_delay_alu instid0(VALU_DEP_2)
	v_cmpx_ne_u32_e32 0x7f, v22
	s_cbranch_execz .LBB277_1528
; %bb.1525:                             ;   in Loop: Header=BB277_813 Depth=1
	v_dual_lshrrev_b32 v18, 3, v22 :: v_dual_bitop2_b32 v6, 7, v0 bitop3:0x40
	s_mov_b32 s17, exec_lo
	v_cmpx_gt_u32_e32 8, v22
; %bb.1526:                             ;   in Loop: Header=BB277_813 Depth=1
	s_delay_alu instid0(VALU_DEP_2) | instskip(NEXT) | instid1(VALU_DEP_1)
	v_clz_i32_u32_e32 v6, v6
	v_min_u32_e32 v6, 32, v6
	s_delay_alu instid0(VALU_DEP_1) | instskip(NEXT) | instid1(VALU_DEP_1)
	v_subrev_nc_u32_e32 v18, 28, v6
	v_lshlrev_b64_e32 v[22:23], v18, v[0:1]
	v_sub_nc_u32_e32 v18, 29, v6
	s_delay_alu instid0(VALU_DEP_2)
	v_and_b32_e32 v6, 7, v22
; %bb.1527:                             ;   in Loop: Header=BB277_813 Depth=1
	s_or_b32 exec_lo, exec_lo, s17
	s_delay_alu instid0(VALU_DEP_1) | instskip(NEXT) | instid1(VALU_DEP_3)
	v_dual_lshlrev_b32 v0, 8, v0 :: v_dual_lshlrev_b32 v6, 7, v6
	v_lshl_add_u32 v18, v18, 10, 0x2000
	s_delay_alu instid0(VALU_DEP_2) | instskip(NEXT) | instid1(VALU_DEP_2)
	v_and_b32_e32 v0, 0x8000, v0
	v_and_b32_e32 v18, 0xfc00, v18
	s_delay_alu instid0(VALU_DEP_1)
	v_or3_b32 v18, v0, v18, v6
.LBB277_1528:                           ;   in Loop: Header=BB277_813 Depth=1
	s_or_b32 exec_lo, exec_lo, s16
.LBB277_1529:                           ;   in Loop: Header=BB277_813 Depth=1
	s_delay_alu instid0(SALU_CYCLE_1)
	s_or_b32 exec_lo, exec_lo, s15
.LBB277_1530:                           ;   in Loop: Header=BB277_813 Depth=1
	s_delay_alu instid0(SALU_CYCLE_1)
	s_or_b32 exec_lo, exec_lo, s14
	v_mov_b32_e32 v0, 0
	s_mov_b32 s14, exec_lo
	v_cmpx_lt_u64_e64 s[2:3], v[36:37]
	s_cbranch_execz .LBB277_1538
; %bb.1531:                             ;   in Loop: Header=BB277_813 Depth=1
	v_lshrrev_b32_e32 v6, 24, v37
	v_bfrev_b32_e32 v0, 1
	s_mov_b32 s15, exec_lo
	s_delay_alu instid0(VALU_DEP_2)
	v_cmpx_ne_u32_e32 0x80, v6
	s_cbranch_execz .LBB277_1537
; %bb.1532:                             ;   in Loop: Header=BB277_813 Depth=1
	v_and_b32_e32 v23, 0x7f, v6
	v_mov_b32_e32 v0, 0x7c010000
	s_mov_b32 s16, exec_lo
	s_delay_alu instid0(VALU_DEP_2)
	v_cmpx_ne_u32_e32 0x7f, v23
	s_cbranch_execz .LBB277_1536
; %bb.1533:                             ;   in Loop: Header=BB277_813 Depth=1
	v_dual_lshrrev_b32 v22, 3, v23 :: v_dual_bitop2_b32 v0, 7, v6 bitop3:0x40
	s_mov_b32 s17, exec_lo
	v_cmpx_gt_u32_e32 8, v23
; %bb.1534:                             ;   in Loop: Header=BB277_813 Depth=1
	s_delay_alu instid0(VALU_DEP_2) | instskip(NEXT) | instid1(VALU_DEP_1)
	v_clz_i32_u32_e32 v0, v0
	v_min_u32_e32 v0, 32, v0
	s_delay_alu instid0(VALU_DEP_1) | instskip(NEXT) | instid1(VALU_DEP_1)
	v_subrev_nc_u32_e32 v22, 28, v0
	v_lshlrev_b64_e32 v[36:37], v22, v[6:7]
	v_sub_nc_u32_e32 v22, 29, v0
	s_delay_alu instid0(VALU_DEP_2)
	v_and_b32_e32 v0, 7, v36
; %bb.1535:                             ;   in Loop: Header=BB277_813 Depth=1
	s_or_b32 exec_lo, exec_lo, s17
	s_delay_alu instid0(VALU_DEP_1) | instskip(NEXT) | instid1(VALU_DEP_3)
	v_dual_lshlrev_b32 v6, 8, v6 :: v_dual_lshlrev_b32 v0, 23, v0
	v_lshl_add_u32 v22, v22, 10, 0x2000
	s_delay_alu instid0(VALU_DEP_1) | instskip(NEXT) | instid1(VALU_DEP_1)
	v_and_or_b32 v6, 0x8000, v6, v22
	v_lshl_or_b32 v0, v6, 16, v0
.LBB277_1536:                           ;   in Loop: Header=BB277_813 Depth=1
	s_or_b32 exec_lo, exec_lo, s16
.LBB277_1537:                           ;   in Loop: Header=BB277_813 Depth=1
	s_delay_alu instid0(SALU_CYCLE_1)
	s_or_b32 exec_lo, exec_lo, s15
.LBB277_1538:                           ;   in Loop: Header=BB277_813 Depth=1
	s_delay_alu instid0(SALU_CYCLE_1) | instskip(SKIP_2) | instid1(VALU_DEP_2)
	s_or_b32 exec_lo, exec_lo, s14
	v_dual_lshrrev_b32 v6, 16, v1 :: v_dual_bitop2_b32 v1, v1, v8 bitop3:0x54
	v_dual_lshrrev_b32 v22, 16, v9 :: v_dual_bitop2_b32 v16, v9, v16 bitop3:0x54
	v_cvt_f32_f16_e32 v9, v6
	v_dual_lshrrev_b32 v18, 16, v19 :: v_dual_bitop2_b32 v6, v0, v18 bitop3:0x54
	s_delay_alu instid0(VALU_DEP_3)
	v_cvt_f32_f16_e32 v8, v22
	v_dual_lshrrev_b32 v22, 16, v0 :: v_dual_bitop2_b32 v19, v19, v17 bitop3:0x54
	v_cvt_f32_f16_e32 v0, v16
	v_cvt_f32_f16_e32 v1, v1
	s_wait_loadcnt_dscnt 0x0
	v_pk_mul_f32 v[8:9], v[34:35], v[8:9] op_sel_hi:[0,1]
	v_cvt_f32_f16_e32 v17, v18
	v_cvt_f32_f16_e32 v16, v22
	;; [unrolled: 1-line block ×4, first 2 shown]
	v_pk_mul_f32 v[0:1], v[34:35], v[0:1] op_sel_hi:[0,1]
	v_cvt_pk_f16_f32 v6, v8, v9
	v_pk_mul_f32 v[8:9], v[34:35], v[16:17] op_sel_hi:[0,1]
	s_delay_alu instid0(VALU_DEP_4) | instskip(NEXT) | instid1(VALU_DEP_4)
	v_pk_mul_f32 v[16:17], v[34:35], v[18:19] op_sel_hi:[0,1]
	v_cvt_pk_f16_f32 v0, v0, v1
	s_delay_alu instid0(VALU_DEP_4) | instskip(NEXT) | instid1(VALU_DEP_4)
	v_and_b32_e32 v19, 0xffff0000, v6
	v_cvt_pk_f16_f32 v8, v8, v9
	v_lshlrev_b32_e32 v34, 16, v6
	v_cvt_pk_f16_f32 v6, v16, v17
	v_lshrrev_b32_e32 v39, 16, v0
	v_and_b32_e32 v48, 0xffff, v0
	v_and_b32_e32 v1, 0xffff0000, v8
	s_delay_alu instid0(VALU_DEP_4) | instskip(SKIP_3) | instid1(VALU_DEP_4)
	v_dual_lshlrev_b32 v0, 16, v8 :: v_dual_lshrrev_b32 v9, 16, v6
	v_and_b32_e32 v6, 0xffff, v6
	v_or_b32_e32 v37, v19, v39
	v_or_b32_e32 v38, v34, v48
	;; [unrolled: 1-line block ×3, first 2 shown]
	s_delay_alu instid0(VALU_DEP_4)
	v_or_b32_e32 v36, v0, v6
	s_and_saveexec_b32 s14, vcc_lo
	s_cbranch_execz .LBB277_1540
; %bb.1539:                             ;   in Loop: Header=BB277_813 Depth=1
	v_cmp_lt_i32_e64 s0, v65, v13
	s_delay_alu instid0(VALU_DEP_1) | instskip(SKIP_1) | instid1(VALU_DEP_1)
	v_cndmask_b32_e64 v8, 0, v39, s0
	v_cmp_lt_i32_e64 s0, v80, v12
	v_cndmask_b32_e64 v16, 0, v48, s0
	v_cmp_lt_i32_e64 s0, v71, v13
	s_delay_alu instid0(VALU_DEP_1) | instskip(SKIP_1) | instid1(VALU_DEP_1)
	v_cndmask_b32_e64 v17, 0, v19, s0
	v_cmp_lt_i32_e64 s0, v70, v12
	v_cndmask_b32_e64 v18, 0, v34, s0
	v_cmp_lt_i32_e64 s0, v69, v13
	s_delay_alu instid0(VALU_DEP_4) | instskip(NEXT) | instid1(VALU_DEP_2)
	v_or_b32_e32 v37, v8, v17
	v_dual_cndmask_b32 v9, 0, v9, s0 :: v_dual_bitop2_b32 v38, v16, v18 bitop3:0x54
	v_cmp_lt_i32_e64 s0, v68, v12
	s_delay_alu instid0(VALU_DEP_1) | instskip(SKIP_1) | instid1(VALU_DEP_1)
	v_cndmask_b32_e64 v6, 0, v6, s0
	v_cmp_lt_i32_e64 s0, v67, v13
	v_cndmask_b32_e64 v1, 0, v1, s0
	v_cmp_lt_i32_e64 s0, v66, v12
	s_delay_alu instid0(VALU_DEP_1) | instskip(NEXT) | instid1(VALU_DEP_1)
	v_dual_cndmask_b32 v0, 0, v0, s0 :: v_dual_bitop2_b32 v35, v9, v1 bitop3:0x54
	v_or_b32_e32 v36, v6, v0
.LBB277_1540:                           ;   in Loop: Header=BB277_813 Depth=1
	s_or_b32 exec_lo, exec_lo, s14
	;;#ASMSTART
	v_pk_mul_f16 v0, v85, v37;

	;;#ASMEND
	;;#ASMSTART
	v_pk_mul_f16 v1, v83, v38;

	;;#ASMEND
	;; [unrolled: 4-line block ×4, first 2 shown]
	;;#ASMSTART
	v_pk_add_f16 v0, v0, v1;

	;;#ASMEND
	;;#ASMSTART
	v_pk_add_f16 v0, v0, v6;

	;;#ASMEND
	;; [unrolled: 4-line block ×3, first 2 shown]
	v_and_b32_e32 v1, 0xffff, v0
	v_lshrrev_b32_e32 v0, 16, v0
	;;#ASMSTART
	v_cvt_f32_f16 v39, v1;
	;;#ASMEND
	;;#ASMSTART
	v_cvt_f32_f16 v48, v0;
	;;#ASMEND
	flat_load_b64 v[34:35], v[28:29] offset:2816
	scratch_load_b64 v[0:1], off, s32 offset:192 ; 8-byte Folded Reload
	v_mov_b32_e32 v8, 0
	s_mov_b32 s14, exec_lo
	s_wait_loadcnt 0x0
	flat_load_b32 v28, v[0:1]
	s_wait_dscnt 0x1
	s_wait_xcnt 0x0
	v_and_b32_e32 v0, 0xff, v34
	v_mov_b32_e32 v1, 0
	s_delay_alu instid0(VALU_DEP_2)
	v_cmpx_ne_u16_e32 0, v0
	s_cbranch_execz .LBB277_1548
; %bb.1541:                             ;   in Loop: Header=BB277_813 Depth=1
	v_mov_b32_e32 v8, 0x8000
	s_mov_b32 s15, exec_lo
	v_cmpx_ne_u16_e32 0x80, v0
	s_cbranch_execz .LBB277_1547
; %bb.1542:                             ;   in Loop: Header=BB277_813 Depth=1
	v_and_b32_e32 v9, 0x7f, v34
	v_mov_b32_e32 v8, 0x7c01
	s_mov_b32 s16, exec_lo
	s_delay_alu instid0(VALU_DEP_2)
	v_cmpx_ne_u32_e32 0x7f, v9
	s_cbranch_execz .LBB277_1546
; %bb.1543:                             ;   in Loop: Header=BB277_813 Depth=1
	v_dual_lshrrev_b32 v6, 3, v9 :: v_dual_bitop2_b32 v0, 7, v34 bitop3:0x40
	s_mov_b32 s17, exec_lo
	v_cmpx_gt_u32_e32 8, v9
; %bb.1544:                             ;   in Loop: Header=BB277_813 Depth=1
	s_delay_alu instid0(VALU_DEP_2) | instskip(NEXT) | instid1(VALU_DEP_1)
	v_clz_i32_u32_e32 v0, v0
	v_min_u32_e32 v0, 32, v0
	s_delay_alu instid0(VALU_DEP_1) | instskip(NEXT) | instid1(VALU_DEP_1)
	v_subrev_nc_u32_e32 v6, 28, v0
	v_lshlrev_b64_e32 v[8:9], v6, v[34:35]
	v_sub_nc_u32_e32 v6, 29, v0
	s_delay_alu instid0(VALU_DEP_2)
	v_and_b32_e32 v0, 7, v8
; %bb.1545:                             ;   in Loop: Header=BB277_813 Depth=1
	s_or_b32 exec_lo, exec_lo, s17
	s_delay_alu instid0(VALU_DEP_1) | instskip(NEXT) | instid1(VALU_DEP_3)
	v_dual_lshlrev_b32 v8, 8, v34 :: v_dual_lshlrev_b32 v0, 7, v0
	v_lshl_add_u32 v6, v6, 10, 0x2000
	s_delay_alu instid0(VALU_DEP_2) | instskip(NEXT) | instid1(VALU_DEP_2)
	v_and_b32_e32 v8, 0x8000, v8
	v_and_b32_e32 v6, 0xfc00, v6
	s_delay_alu instid0(VALU_DEP_1)
	v_or3_b32 v8, v8, v6, v0
.LBB277_1546:                           ;   in Loop: Header=BB277_813 Depth=1
	s_or_b32 exec_lo, exec_lo, s16
.LBB277_1547:                           ;   in Loop: Header=BB277_813 Depth=1
	s_delay_alu instid0(SALU_CYCLE_1)
	s_or_b32 exec_lo, exec_lo, s15
.LBB277_1548:                           ;   in Loop: Header=BB277_813 Depth=1
	s_delay_alu instid0(SALU_CYCLE_1) | instskip(SKIP_2) | instid1(VALU_DEP_1)
	s_or_b32 exec_lo, exec_lo, s14
	v_lshrrev_b16 v6, 8, v34
	s_mov_b32 s14, exec_lo
	v_cmpx_ne_u16_e32 0, v6
	s_cbranch_execz .LBB277_1556
; %bb.1549:                             ;   in Loop: Header=BB277_813 Depth=1
	v_bfrev_b32_e32 v1, 1
	s_mov_b32 s15, exec_lo
	v_cmpx_ne_u16_e32 0x80, v6
	s_cbranch_execz .LBB277_1555
; %bb.1550:                             ;   in Loop: Header=BB277_813 Depth=1
	v_and_b32_e32 v0, 0xffff, v6
	v_mov_b32_e32 v1, 0x7c010000
	s_mov_b32 s16, exec_lo
	s_delay_alu instid0(VALU_DEP_2) | instskip(NEXT) | instid1(VALU_DEP_1)
	v_and_b32_e32 v16, 0x7f, v0
	v_cmpx_ne_u32_e32 0x7f, v16
	s_cbranch_execz .LBB277_1554
; %bb.1551:                             ;   in Loop: Header=BB277_813 Depth=1
	v_and_b32_e32 v1, 7, v0
	v_lshrrev_b32_e32 v9, 3, v16
	s_mov_b32 s17, exec_lo
	v_cmpx_gt_u32_e32 8, v16
; %bb.1552:                             ;   in Loop: Header=BB277_813 Depth=1
	s_delay_alu instid0(VALU_DEP_3) | instskip(NEXT) | instid1(VALU_DEP_1)
	v_clz_i32_u32_e32 v1, v1
	v_min_u32_e32 v1, 32, v1
	s_delay_alu instid0(VALU_DEP_1) | instskip(NEXT) | instid1(VALU_DEP_1)
	v_subrev_nc_u32_e32 v9, 28, v1
	v_lshlrev_b64_e32 v[16:17], v9, v[6:7]
	s_delay_alu instid0(VALU_DEP_1)
	v_dual_sub_nc_u32 v9, 29, v1 :: v_dual_bitop2_b32 v1, 7, v16 bitop3:0x40
; %bb.1553:                             ;   in Loop: Header=BB277_813 Depth=1
	s_or_b32 exec_lo, exec_lo, s17
	s_delay_alu instid0(VALU_DEP_1) | instskip(NEXT) | instid1(VALU_DEP_2)
	v_dual_lshlrev_b32 v0, 8, v0 :: v_dual_lshlrev_b32 v1, 23, v1
	v_lshl_add_u32 v6, v9, 10, 0x2000
	s_delay_alu instid0(VALU_DEP_1) | instskip(NEXT) | instid1(VALU_DEP_1)
	v_and_or_b32 v0, 0x8000, v0, v6
	v_lshl_or_b32 v1, v0, 16, v1
.LBB277_1554:                           ;   in Loop: Header=BB277_813 Depth=1
	s_or_b32 exec_lo, exec_lo, s16
.LBB277_1555:                           ;   in Loop: Header=BB277_813 Depth=1
	s_delay_alu instid0(SALU_CYCLE_1)
	s_or_b32 exec_lo, exec_lo, s15
.LBB277_1556:                           ;   in Loop: Header=BB277_813 Depth=1
	s_delay_alu instid0(SALU_CYCLE_1) | instskip(SKIP_3) | instid1(VALU_DEP_2)
	s_or_b32 exec_lo, exec_lo, s14
	v_dual_mov_b32 v9, 0 :: v_dual_lshrrev_b32 v0, 16, v34
	v_mov_b32_e32 v16, 0
	s_mov_b32 s14, exec_lo
	v_and_b32_e32 v6, 0xff, v0
	s_delay_alu instid0(VALU_DEP_1)
	v_cmpx_ne_u16_e32 0, v6
	s_cbranch_execz .LBB277_1564
; %bb.1557:                             ;   in Loop: Header=BB277_813 Depth=1
	v_mov_b32_e32 v16, 0x8000
	s_mov_b32 s15, exec_lo
	v_cmpx_ne_u16_e32 0x80, v6
	s_cbranch_execz .LBB277_1563
; %bb.1558:                             ;   in Loop: Header=BB277_813 Depth=1
	v_bfe_u32 v17, v34, 16, 7
	v_mov_b32_e32 v16, 0x7c01
	s_mov_b32 s16, exec_lo
	s_delay_alu instid0(VALU_DEP_2)
	v_cmpx_ne_u32_e32 0x7f, v17
	s_cbranch_execz .LBB277_1562
; %bb.1559:                             ;   in Loop: Header=BB277_813 Depth=1
	v_dual_lshrrev_b32 v16, 3, v17 :: v_dual_bitop2_b32 v6, 7, v0 bitop3:0x40
	s_mov_b32 s17, exec_lo
	v_cmpx_gt_u32_e32 8, v17
; %bb.1560:                             ;   in Loop: Header=BB277_813 Depth=1
	s_delay_alu instid0(VALU_DEP_2) | instskip(NEXT) | instid1(VALU_DEP_1)
	v_clz_i32_u32_e32 v6, v6
	v_min_u32_e32 v6, 32, v6
	s_delay_alu instid0(VALU_DEP_1) | instskip(NEXT) | instid1(VALU_DEP_1)
	v_subrev_nc_u32_e32 v16, 28, v6
	v_lshlrev_b64_e32 v[18:19], v16, v[0:1]
	v_sub_nc_u32_e32 v16, 29, v6
	s_delay_alu instid0(VALU_DEP_2)
	v_and_b32_e32 v6, 7, v18
; %bb.1561:                             ;   in Loop: Header=BB277_813 Depth=1
	s_or_b32 exec_lo, exec_lo, s17
	s_delay_alu instid0(VALU_DEP_1) | instskip(NEXT) | instid1(VALU_DEP_3)
	v_dual_lshlrev_b32 v0, 8, v0 :: v_dual_lshlrev_b32 v6, 7, v6
	v_lshl_add_u32 v16, v16, 10, 0x2000
	s_delay_alu instid0(VALU_DEP_2) | instskip(NEXT) | instid1(VALU_DEP_2)
	v_and_b32_e32 v0, 0x8000, v0
	v_and_b32_e32 v16, 0xfc00, v16
	s_delay_alu instid0(VALU_DEP_1)
	v_or3_b32 v16, v0, v16, v6
.LBB277_1562:                           ;   in Loop: Header=BB277_813 Depth=1
	s_or_b32 exec_lo, exec_lo, s16
.LBB277_1563:                           ;   in Loop: Header=BB277_813 Depth=1
	s_delay_alu instid0(SALU_CYCLE_1)
	s_or_b32 exec_lo, exec_lo, s15
.LBB277_1564:                           ;   in Loop: Header=BB277_813 Depth=1
	s_delay_alu instid0(SALU_CYCLE_1) | instskip(NEXT) | instid1(SALU_CYCLE_1)
	s_or_b32 exec_lo, exec_lo, s14
	s_mov_b32 s14, exec_lo
	v_cmpx_lt_u32_e32 0xffffff, v34
	s_cbranch_execz .LBB277_1572
; %bb.1565:                             ;   in Loop: Header=BB277_813 Depth=1
	v_lshrrev_b32_e32 v6, 24, v34
	v_bfrev_b32_e32 v9, 1
	s_mov_b32 s15, exec_lo
	s_delay_alu instid0(VALU_DEP_2)
	v_cmpx_ne_u32_e32 0x80, v6
	s_cbranch_execz .LBB277_1571
; %bb.1566:                             ;   in Loop: Header=BB277_813 Depth=1
	v_and_b32_e32 v17, 0x7f, v6
	v_mov_b32_e32 v9, 0x7c010000
	s_mov_b32 s16, exec_lo
	s_delay_alu instid0(VALU_DEP_2)
	v_cmpx_ne_u32_e32 0x7f, v17
	s_cbranch_execz .LBB277_1570
; %bb.1567:                             ;   in Loop: Header=BB277_813 Depth=1
	v_dual_lshrrev_b32 v9, 3, v17 :: v_dual_bitop2_b32 v0, 7, v6 bitop3:0x40
	s_mov_b32 s17, exec_lo
	v_cmpx_gt_u32_e32 8, v17
; %bb.1568:                             ;   in Loop: Header=BB277_813 Depth=1
	s_delay_alu instid0(VALU_DEP_2) | instskip(NEXT) | instid1(VALU_DEP_1)
	v_clz_i32_u32_e32 v0, v0
	v_min_u32_e32 v0, 32, v0
	s_delay_alu instid0(VALU_DEP_1) | instskip(NEXT) | instid1(VALU_DEP_1)
	v_subrev_nc_u32_e32 v9, 28, v0
	v_lshlrev_b64_e32 v[18:19], v9, v[6:7]
	s_delay_alu instid0(VALU_DEP_1)
	v_dual_sub_nc_u32 v9, 29, v0 :: v_dual_bitop2_b32 v0, 7, v18 bitop3:0x40
; %bb.1569:                             ;   in Loop: Header=BB277_813 Depth=1
	s_or_b32 exec_lo, exec_lo, s17
	s_delay_alu instid0(VALU_DEP_1) | instskip(NEXT) | instid1(VALU_DEP_2)
	v_dual_lshlrev_b32 v6, 8, v6 :: v_dual_lshlrev_b32 v0, 23, v0
	v_lshl_add_u32 v9, v9, 10, 0x2000
	s_delay_alu instid0(VALU_DEP_1) | instskip(NEXT) | instid1(VALU_DEP_1)
	v_and_or_b32 v6, 0x8000, v6, v9
	v_lshl_or_b32 v9, v6, 16, v0
.LBB277_1570:                           ;   in Loop: Header=BB277_813 Depth=1
	s_or_b32 exec_lo, exec_lo, s16
.LBB277_1571:                           ;   in Loop: Header=BB277_813 Depth=1
	s_delay_alu instid0(SALU_CYCLE_1)
	s_or_b32 exec_lo, exec_lo, s15
.LBB277_1572:                           ;   in Loop: Header=BB277_813 Depth=1
	s_delay_alu instid0(SALU_CYCLE_1) | instskip(SKIP_4) | instid1(VALU_DEP_3)
	s_or_b32 exec_lo, exec_lo, s14
	v_and_b32_e32 v0, 0xff, v35
	v_dual_mov_b32 v6, v35 :: v_dual_mov_b32 v18, 0
	v_mov_b32_e32 v17, 0
	s_mov_b32 s14, exec_lo
	v_cmpx_ne_u16_e32 0, v0
	s_cbranch_execz .LBB277_1580
; %bb.1573:                             ;   in Loop: Header=BB277_813 Depth=1
	v_mov_b32_e32 v17, 0x8000
	s_mov_b32 s15, exec_lo
	v_cmpx_ne_u16_e32 0x80, v0
	s_cbranch_execz .LBB277_1579
; %bb.1574:                             ;   in Loop: Header=BB277_813 Depth=1
	v_and_b32_e32 v19, 0x7f, v35
	v_mov_b32_e32 v17, 0x7c01
	s_mov_b32 s16, exec_lo
	s_delay_alu instid0(VALU_DEP_2)
	v_cmpx_ne_u32_e32 0x7f, v19
	s_cbranch_execz .LBB277_1578
; %bb.1575:                             ;   in Loop: Header=BB277_813 Depth=1
	v_and_b32_e32 v0, 7, v35
	v_lshrrev_b32_e32 v17, 3, v19
	s_mov_b32 s17, exec_lo
	v_cmpx_gt_u32_e32 8, v19
; %bb.1576:                             ;   in Loop: Header=BB277_813 Depth=1
	s_delay_alu instid0(VALU_DEP_3) | instskip(NEXT) | instid1(VALU_DEP_1)
	v_clz_i32_u32_e32 v0, v0
	v_min_u32_e32 v0, 32, v0
	s_delay_alu instid0(VALU_DEP_1) | instskip(NEXT) | instid1(VALU_DEP_1)
	v_subrev_nc_u32_e32 v17, 28, v0
	v_lshlrev_b64_e32 v[22:23], v17, v[6:7]
	s_delay_alu instid0(VALU_DEP_1)
	v_dual_sub_nc_u32 v17, 29, v0 :: v_dual_bitop2_b32 v0, 7, v22 bitop3:0x40
; %bb.1577:                             ;   in Loop: Header=BB277_813 Depth=1
	s_or_b32 exec_lo, exec_lo, s17
	s_delay_alu instid0(VALU_DEP_1) | instskip(NEXT) | instid1(VALU_DEP_2)
	v_dual_lshlrev_b32 v19, 8, v35 :: v_dual_lshlrev_b32 v0, 7, v0
	v_lshl_add_u32 v17, v17, 10, 0x2000
	s_delay_alu instid0(VALU_DEP_2) | instskip(NEXT) | instid1(VALU_DEP_2)
	v_and_b32_e32 v19, 0x8000, v19
	v_and_b32_e32 v17, 0xfc00, v17
	s_delay_alu instid0(VALU_DEP_1)
	v_or3_b32 v17, v19, v17, v0
.LBB277_1578:                           ;   in Loop: Header=BB277_813 Depth=1
	s_or_b32 exec_lo, exec_lo, s16
.LBB277_1579:                           ;   in Loop: Header=BB277_813 Depth=1
	s_delay_alu instid0(SALU_CYCLE_1)
	s_or_b32 exec_lo, exec_lo, s15
.LBB277_1580:                           ;   in Loop: Header=BB277_813 Depth=1
	s_delay_alu instid0(SALU_CYCLE_1) | instskip(SKIP_3) | instid1(VALU_DEP_2)
	s_or_b32 exec_lo, exec_lo, s14
	v_lshrrev_b16 v6, 8, v6
	v_mov_b32_e32 v19, 0
	s_mov_b32 s14, exec_lo
	v_cmpx_ne_u16_e32 0, v6
	s_cbranch_execz .LBB277_1588
; %bb.1581:                             ;   in Loop: Header=BB277_813 Depth=1
	v_bfrev_b32_e32 v19, 1
	s_mov_b32 s15, exec_lo
	v_cmpx_ne_u16_e32 0x80, v6
	s_cbranch_execz .LBB277_1587
; %bb.1582:                             ;   in Loop: Header=BB277_813 Depth=1
	v_and_b32_e32 v0, 0xffff, v6
	v_mov_b32_e32 v19, 0x7c010000
	s_mov_b32 s16, exec_lo
	s_delay_alu instid0(VALU_DEP_2) | instskip(NEXT) | instid1(VALU_DEP_1)
	v_and_b32_e32 v23, 0x7f, v0
	v_cmpx_ne_u32_e32 0x7f, v23
	s_cbranch_execz .LBB277_1586
; %bb.1583:                             ;   in Loop: Header=BB277_813 Depth=1
	v_dual_lshrrev_b32 v22, 3, v23 :: v_dual_bitop2_b32 v19, 7, v0 bitop3:0x40
	s_mov_b32 s17, exec_lo
	v_cmpx_gt_u32_e32 8, v23
; %bb.1584:                             ;   in Loop: Header=BB277_813 Depth=1
	s_delay_alu instid0(VALU_DEP_2) | instskip(NEXT) | instid1(VALU_DEP_1)
	v_clz_i32_u32_e32 v19, v19
	v_min_u32_e32 v19, 32, v19
	s_delay_alu instid0(VALU_DEP_1) | instskip(NEXT) | instid1(VALU_DEP_1)
	v_subrev_nc_u32_e32 v22, 28, v19
	v_lshlrev_b64_e32 v[36:37], v22, v[6:7]
	s_delay_alu instid0(VALU_DEP_1)
	v_dual_sub_nc_u32 v22, 29, v19 :: v_dual_bitop2_b32 v19, 7, v36 bitop3:0x40
; %bb.1585:                             ;   in Loop: Header=BB277_813 Depth=1
	s_or_b32 exec_lo, exec_lo, s17
	v_lshlrev_b32_e32 v0, 8, v0
	s_delay_alu instid0(VALU_DEP_2) | instskip(NEXT) | instid1(VALU_DEP_1)
	v_lshl_add_u32 v6, v22, 10, 0x2000
	v_and_or_b32 v0, 0x8000, v0, v6
	v_lshlrev_b32_e32 v6, 23, v19
	s_delay_alu instid0(VALU_DEP_1)
	v_lshl_or_b32 v19, v0, 16, v6
.LBB277_1586:                           ;   in Loop: Header=BB277_813 Depth=1
	s_or_b32 exec_lo, exec_lo, s16
.LBB277_1587:                           ;   in Loop: Header=BB277_813 Depth=1
	s_delay_alu instid0(SALU_CYCLE_1)
	s_or_b32 exec_lo, exec_lo, s15
.LBB277_1588:                           ;   in Loop: Header=BB277_813 Depth=1
	s_delay_alu instid0(SALU_CYCLE_1) | instskip(SKIP_2) | instid1(VALU_DEP_1)
	s_or_b32 exec_lo, exec_lo, s14
	v_lshrrev_b32_e32 v0, 16, v35
	s_mov_b32 s14, exec_lo
	v_and_b32_e32 v6, 0xff, v0
	s_delay_alu instid0(VALU_DEP_1)
	v_cmpx_ne_u16_e32 0, v6
	s_cbranch_execz .LBB277_1596
; %bb.1589:                             ;   in Loop: Header=BB277_813 Depth=1
	v_mov_b32_e32 v18, 0x8000
	s_mov_b32 s15, exec_lo
	v_cmpx_ne_u16_e32 0x80, v6
	s_cbranch_execz .LBB277_1595
; %bb.1590:                             ;   in Loop: Header=BB277_813 Depth=1
	v_bfe_u32 v22, v35, 16, 7
	v_mov_b32_e32 v18, 0x7c01
	s_mov_b32 s16, exec_lo
	s_delay_alu instid0(VALU_DEP_2)
	v_cmpx_ne_u32_e32 0x7f, v22
	s_cbranch_execz .LBB277_1594
; %bb.1591:                             ;   in Loop: Header=BB277_813 Depth=1
	v_dual_lshrrev_b32 v18, 3, v22 :: v_dual_bitop2_b32 v6, 7, v0 bitop3:0x40
	s_mov_b32 s17, exec_lo
	v_cmpx_gt_u32_e32 8, v22
; %bb.1592:                             ;   in Loop: Header=BB277_813 Depth=1
	s_delay_alu instid0(VALU_DEP_2) | instskip(NEXT) | instid1(VALU_DEP_1)
	v_clz_i32_u32_e32 v6, v6
	v_min_u32_e32 v6, 32, v6
	s_delay_alu instid0(VALU_DEP_1) | instskip(NEXT) | instid1(VALU_DEP_1)
	v_subrev_nc_u32_e32 v18, 28, v6
	v_lshlrev_b64_e32 v[22:23], v18, v[0:1]
	v_sub_nc_u32_e32 v18, 29, v6
	s_delay_alu instid0(VALU_DEP_2)
	v_and_b32_e32 v6, 7, v22
; %bb.1593:                             ;   in Loop: Header=BB277_813 Depth=1
	s_or_b32 exec_lo, exec_lo, s17
	s_delay_alu instid0(VALU_DEP_1) | instskip(NEXT) | instid1(VALU_DEP_3)
	v_dual_lshlrev_b32 v0, 8, v0 :: v_dual_lshlrev_b32 v6, 7, v6
	v_lshl_add_u32 v18, v18, 10, 0x2000
	s_delay_alu instid0(VALU_DEP_2) | instskip(NEXT) | instid1(VALU_DEP_2)
	v_and_b32_e32 v0, 0x8000, v0
	v_and_b32_e32 v18, 0xfc00, v18
	s_delay_alu instid0(VALU_DEP_1)
	v_or3_b32 v18, v0, v18, v6
.LBB277_1594:                           ;   in Loop: Header=BB277_813 Depth=1
	s_or_b32 exec_lo, exec_lo, s16
.LBB277_1595:                           ;   in Loop: Header=BB277_813 Depth=1
	s_delay_alu instid0(SALU_CYCLE_1)
	s_or_b32 exec_lo, exec_lo, s15
.LBB277_1596:                           ;   in Loop: Header=BB277_813 Depth=1
	s_delay_alu instid0(SALU_CYCLE_1)
	s_or_b32 exec_lo, exec_lo, s14
	v_mov_b32_e32 v0, 0
	s_mov_b32 s14, exec_lo
	v_cmpx_lt_u64_e64 s[2:3], v[34:35]
	s_cbranch_execz .LBB277_1604
; %bb.1597:                             ;   in Loop: Header=BB277_813 Depth=1
	v_lshrrev_b32_e32 v6, 24, v35
	v_bfrev_b32_e32 v0, 1
	s_mov_b32 s15, exec_lo
	s_delay_alu instid0(VALU_DEP_2)
	v_cmpx_ne_u32_e32 0x80, v6
	s_cbranch_execz .LBB277_1603
; %bb.1598:                             ;   in Loop: Header=BB277_813 Depth=1
	v_and_b32_e32 v23, 0x7f, v6
	v_mov_b32_e32 v0, 0x7c010000
	s_mov_b32 s16, exec_lo
	s_delay_alu instid0(VALU_DEP_2)
	v_cmpx_ne_u32_e32 0x7f, v23
	s_cbranch_execz .LBB277_1602
; %bb.1599:                             ;   in Loop: Header=BB277_813 Depth=1
	v_dual_lshrrev_b32 v22, 3, v23 :: v_dual_bitop2_b32 v0, 7, v6 bitop3:0x40
	s_mov_b32 s17, exec_lo
	v_cmpx_gt_u32_e32 8, v23
; %bb.1600:                             ;   in Loop: Header=BB277_813 Depth=1
	s_delay_alu instid0(VALU_DEP_2) | instskip(NEXT) | instid1(VALU_DEP_1)
	v_clz_i32_u32_e32 v0, v0
	v_min_u32_e32 v0, 32, v0
	s_delay_alu instid0(VALU_DEP_1) | instskip(NEXT) | instid1(VALU_DEP_1)
	v_subrev_nc_u32_e32 v22, 28, v0
	v_lshlrev_b64_e32 v[34:35], v22, v[6:7]
	s_delay_alu instid0(VALU_DEP_1)
	v_dual_sub_nc_u32 v22, 29, v0 :: v_dual_bitop2_b32 v0, 7, v34 bitop3:0x40
; %bb.1601:                             ;   in Loop: Header=BB277_813 Depth=1
	s_or_b32 exec_lo, exec_lo, s17
	s_delay_alu instid0(VALU_DEP_1) | instskip(NEXT) | instid1(VALU_DEP_2)
	v_dual_lshlrev_b32 v6, 8, v6 :: v_dual_lshlrev_b32 v0, 23, v0
	v_lshl_add_u32 v22, v22, 10, 0x2000
	s_delay_alu instid0(VALU_DEP_1) | instskip(NEXT) | instid1(VALU_DEP_1)
	v_and_or_b32 v6, 0x8000, v6, v22
	v_lshl_or_b32 v0, v6, 16, v0
.LBB277_1602:                           ;   in Loop: Header=BB277_813 Depth=1
	s_or_b32 exec_lo, exec_lo, s16
.LBB277_1603:                           ;   in Loop: Header=BB277_813 Depth=1
	s_delay_alu instid0(SALU_CYCLE_1)
	s_or_b32 exec_lo, exec_lo, s15
.LBB277_1604:                           ;   in Loop: Header=BB277_813 Depth=1
	s_delay_alu instid0(SALU_CYCLE_1) | instskip(SKIP_2) | instid1(VALU_DEP_2)
	s_or_b32 exec_lo, exec_lo, s14
	v_dual_lshrrev_b32 v6, 16, v1 :: v_dual_bitop2_b32 v1, v1, v8 bitop3:0x54
	v_dual_lshrrev_b32 v22, 16, v9 :: v_dual_bitop2_b32 v16, v9, v16 bitop3:0x54
	v_cvt_f32_f16_e32 v9, v6
	v_dual_lshrrev_b32 v18, 16, v19 :: v_dual_bitop2_b32 v6, v0, v18 bitop3:0x54
	s_delay_alu instid0(VALU_DEP_3)
	v_cvt_f32_f16_e32 v8, v22
	v_dual_lshrrev_b32 v22, 16, v0 :: v_dual_bitop2_b32 v19, v19, v17 bitop3:0x54
	v_cvt_f32_f16_e32 v0, v16
	v_cvt_f32_f16_e32 v1, v1
	s_wait_loadcnt_dscnt 0x0
	v_pk_mul_f32 v[8:9], v[28:29], v[8:9] op_sel_hi:[0,1]
	v_cvt_f32_f16_e32 v17, v18
	v_cvt_f32_f16_e32 v16, v22
	;; [unrolled: 1-line block ×4, first 2 shown]
	v_pk_mul_f32 v[0:1], v[28:29], v[0:1] op_sel_hi:[0,1]
	v_cvt_pk_f16_f32 v6, v8, v9
	v_pk_mul_f32 v[8:9], v[28:29], v[16:17] op_sel_hi:[0,1]
	s_delay_alu instid0(VALU_DEP_4) | instskip(NEXT) | instid1(VALU_DEP_4)
	v_pk_mul_f32 v[16:17], v[28:29], v[18:19] op_sel_hi:[0,1]
	v_cvt_pk_f16_f32 v0, v0, v1
	s_delay_alu instid0(VALU_DEP_4) | instskip(NEXT) | instid1(VALU_DEP_4)
	v_and_b32_e32 v35, 0xffff0000, v6
	v_cvt_pk_f16_f32 v1, v8, v9
	v_lshlrev_b32_e32 v36, 16, v6
	v_cvt_pk_f16_f32 v6, v16, v17
	v_lshrrev_b32_e32 v37, 16, v0
	v_and_b32_e32 v38, 0xffff, v0
	v_and_b32_e32 v19, 0xffff0000, v1
	s_delay_alu instid0(VALU_DEP_4) | instskip(SKIP_3) | instid1(VALU_DEP_4)
	v_dual_lshlrev_b32 v28, 16, v1 :: v_dual_lshrrev_b32 v29, 16, v6
	v_and_b32_e32 v34, 0xffff, v6
	v_or_b32_e32 v9, v35, v37
	v_or_b32_e32 v6, v36, v38
	v_or_b32_e32 v1, v19, v29
	s_delay_alu instid0(VALU_DEP_4)
	v_or_b32_e32 v0, v28, v34
	s_and_saveexec_b32 s0, vcc_lo
	s_cbranch_execz .LBB277_811
; %bb.1605:                             ;   in Loop: Header=BB277_813 Depth=1
	v_cmp_lt_i32_e32 vcc_lo, v65, v13
	v_cndmask_b32_e32 v0, 0, v37, vcc_lo
	v_cmp_lt_i32_e32 vcc_lo, v80, v12
	v_cndmask_b32_e32 v1, 0, v38, vcc_lo
	;; [unrolled: 2-line block ×4, first 2 shown]
	v_cmp_lt_i32_e32 vcc_lo, v69, v13
	s_delay_alu instid0(VALU_DEP_4) | instskip(NEXT) | instid1(VALU_DEP_3)
	v_or_b32_e32 v9, v0, v6
	v_dual_cndmask_b32 v16, 0, v29, vcc_lo :: v_dual_bitop2_b32 v6, v1, v8 bitop3:0x54
	v_cmp_lt_i32_e32 vcc_lo, v68, v12
	v_cndmask_b32_e32 v17, 0, v34, vcc_lo
	v_cmp_lt_i32_e32 vcc_lo, v67, v13
	v_cndmask_b32_e32 v18, 0, v19, vcc_lo
	v_cmp_lt_i32_e32 vcc_lo, v66, v12
	s_delay_alu instid0(VALU_DEP_2) | instskip(NEXT) | instid1(VALU_DEP_1)
	v_dual_cndmask_b32 v19, 0, v28, vcc_lo :: v_dual_bitop2_b32 v1, v16, v18 bitop3:0x54
	v_or_b32_e32 v0, v17, v19
	s_branch .LBB277_811
.LBB277_1606:
	s_or_b32 exec_lo, exec_lo, s8
.LBB277_1607:
	s_delay_alu instid0(SALU_CYCLE_1)
	s_or_b32 exec_lo, exec_lo, s1
	ds_bpermute_b32 v10, v50, v32
	ds_bpermute_b32 v11, v50, v33
	s_wait_dscnt 0x0
	s_barrier_signal -1
	s_barrier_wait -1
	ds_bpermute_b32 v0, v50, v20
	ds_bpermute_b32 v1, v50, v21
	;; [unrolled: 1-line block ×10, first 2 shown]
	s_load_b32 s0, s[6:7], 0x0
	s_mov_b32 s1, exec_lo
	v_pk_add_f32 v[18:19], v[32:33], v[10:11]
	scratch_load_b32 v10, off, s32 offset:312 ; 4-byte Folded Reload
	s_wait_dscnt 0x8
	v_pk_add_f32 v[16:17], v[20:21], v[0:1]
	s_wait_dscnt 0x6
	v_pk_add_f32 v[6:7], v[24:25], v[6:7]
	ds_bpermute_b32 v24, v49, v18
	s_wait_dscnt 0x5
	v_pk_add_f32 v[4:5], v[4:5], v[8:9]
	ds_bpermute_b32 v25, v49, v19
	;; [unrolled: 3-line block ×4, first 2 shown]
	ds_bpermute_b32 v3, v49, v17
	ds_bpermute_b32 v9, v49, v7
	;; [unrolled: 1-line block ×8, first 2 shown]
	v_and_b32_e32 v15, 0x3c3, v41
	s_wait_dscnt 0x6
	v_pk_add_f32 v[8:9], v[6:7], v[8:9]
	s_wait_dscnt 0x4
	v_pk_add_f32 v[6:7], v[4:5], v[22:23]
	v_pk_add_f32 v[4:5], v[18:19], v[24:25]
	s_wait_loadcnt 0x0
	v_and_b32_e32 v14, 28, v10
	v_pk_add_f32 v[10:11], v[16:17], v[2:3]
	s_wait_dscnt 0x2
	v_pk_add_f32 v[2:3], v[20:21], v[26:27]
	v_cmpx_ne_u32_e32 64, v15
	s_xor_b32 s1, exec_lo, s1
	s_delay_alu instid0(SALU_CYCLE_1)
	s_or_saveexec_b32 s1, s1
	s_wait_dscnt 0x0
	v_pk_add_f32 v[12:13], v[0:1], v[12:13]
	scratch_load_b32 v0, off, s32 offset:312 th:TH_LOAD_LU ; 4-byte Folded Reload
	s_wait_kmcnt 0x0
	v_add_nc_u32_e32 v1, s0, v14
	scratch_load_b32 v14, off, s32 offset:344 th:TH_LOAD_LU ; 4-byte Folded Reload
	s_wait_loadcnt 0x1
	v_lshrrev_b32_e32 v0, 2, v0
	s_wait_loadcnt 0x0
	v_mul_u32_u24_e32 v14, 0x180, v14
	s_xor_b32 exec_lo, exec_lo, s1
	s_cbranch_execz .LBB277_1609
; %bb.1608:
	s_delay_alu instid0(VALU_DEP_1) | instskip(NEXT) | instid1(VALU_DEP_1)
	v_add_nc_u32_e32 v15, v1, v14
	v_add_nc_u32_e32 v16, 0xfffffd00, v15
	;; [unrolled: 1-line block ×13, first 2 shown]
	ds_store_b32 v16, v10
	ds_store_b32 v17, v11
	;; [unrolled: 1-line block ×12, first 2 shown]
.LBB277_1609:
	s_or_b32 exec_lo, exec_lo, s1
	v_lshlrev_b32_e32 v0, 2, v0
	s_mov_b32 s1, exec_lo
	v_cmp_eq_u32_e32 vcc_lo, 0, v51
	s_wait_dscnt 0x0
	s_barrier_signal -1
	v_add3_u32 v0, s0, v14, v0
	s_barrier_wait -1
	v_cmpx_gt_u32_e32 64, v41
	s_cbranch_execz .LBB277_1624
; %bb.1610:
	s_and_saveexec_b32 s0, vcc_lo
	s_cbranch_execnz .LBB277_1644
; %bb.1611:
	s_or_b32 exec_lo, exec_lo, s0
	s_and_saveexec_b32 s0, vcc_lo
	s_cbranch_execnz .LBB277_1645
.LBB277_1612:
	s_or_b32 exec_lo, exec_lo, s0
	s_and_saveexec_b32 s0, vcc_lo
	s_cbranch_execnz .LBB277_1646
.LBB277_1613:
	s_or_b32 exec_lo, exec_lo, s0
	s_and_saveexec_b32 s0, vcc_lo
	s_cbranch_execnz .LBB277_1647
.LBB277_1614:
	s_or_b32 exec_lo, exec_lo, s0
	s_and_saveexec_b32 s0, vcc_lo
	s_cbranch_execnz .LBB277_1648
.LBB277_1615:
	s_or_b32 exec_lo, exec_lo, s0
	s_and_saveexec_b32 s0, vcc_lo
	s_cbranch_execnz .LBB277_1649
.LBB277_1616:
	s_or_b32 exec_lo, exec_lo, s0
	s_and_saveexec_b32 s0, vcc_lo
	s_cbranch_execnz .LBB277_1650
.LBB277_1617:
	s_or_b32 exec_lo, exec_lo, s0
	s_and_saveexec_b32 s0, vcc_lo
	s_cbranch_execnz .LBB277_1651
.LBB277_1618:
	s_or_b32 exec_lo, exec_lo, s0
	s_and_saveexec_b32 s0, vcc_lo
	s_cbranch_execnz .LBB277_1652
.LBB277_1619:
	s_or_b32 exec_lo, exec_lo, s0
	s_and_saveexec_b32 s0, vcc_lo
	s_cbranch_execnz .LBB277_1653
.LBB277_1620:
	s_or_b32 exec_lo, exec_lo, s0
	s_and_saveexec_b32 s0, vcc_lo
	s_cbranch_execnz .LBB277_1654
.LBB277_1621:
	s_or_b32 exec_lo, exec_lo, s0
	s_and_saveexec_b32 s0, vcc_lo
	s_cbranch_execz .LBB277_1623
.LBB277_1622:
	ds_load_b32 v14, v0 offset:352
	s_wait_dscnt 0x0
	v_add_f32_e32 v13, v14, v13
.LBB277_1623:
	s_or_b32 exec_lo, exec_lo, s0
.LBB277_1624:
	s_delay_alu instid0(SALU_CYCLE_1) | instskip(SKIP_4) | instid1(VALU_DEP_1)
	s_or_b32 exec_lo, exec_lo, s1
	v_and_b32_e32 v14, 0x3e3, v41
	s_mov_b32 s1, exec_lo
	s_barrier_signal -1
	s_barrier_wait -1
	v_cmpx_eq_u32_e32 32, v14
	s_cbranch_execz .LBB277_1626
; %bb.1625:
	ds_store_2addr_b32 v1, v10, v11 offset1:8
	ds_store_2addr_b32 v1, v8, v9 offset0:16 offset1:24
	ds_store_2addr_b32 v1, v6, v7 offset0:32 offset1:40
	;; [unrolled: 1-line block ×5, first 2 shown]
.LBB277_1626:
	s_or_b32 exec_lo, exec_lo, s1
	s_delay_alu instid0(SALU_CYCLE_1)
	s_mov_b32 s1, exec_lo
	s_wait_dscnt 0x0
	s_barrier_signal -1
	s_barrier_wait -1
	v_cmpx_gt_u32_e32 32, v41
	s_cbranch_execz .LBB277_1641
; %bb.1627:
	s_and_saveexec_b32 s0, vcc_lo
	s_cbranch_execnz .LBB277_1655
; %bb.1628:
	s_or_b32 exec_lo, exec_lo, s0
	s_and_saveexec_b32 s0, vcc_lo
	s_cbranch_execnz .LBB277_1656
.LBB277_1629:
	s_or_b32 exec_lo, exec_lo, s0
	s_and_saveexec_b32 s0, vcc_lo
	s_cbranch_execnz .LBB277_1657
.LBB277_1630:
	s_or_b32 exec_lo, exec_lo, s0
	s_and_saveexec_b32 s0, vcc_lo
	s_cbranch_execnz .LBB277_1658
.LBB277_1631:
	s_or_b32 exec_lo, exec_lo, s0
	s_and_saveexec_b32 s0, vcc_lo
	s_cbranch_execnz .LBB277_1659
.LBB277_1632:
	s_or_b32 exec_lo, exec_lo, s0
	s_and_saveexec_b32 s0, vcc_lo
	s_cbranch_execnz .LBB277_1660
.LBB277_1633:
	s_or_b32 exec_lo, exec_lo, s0
	s_and_saveexec_b32 s0, vcc_lo
	s_cbranch_execnz .LBB277_1661
.LBB277_1634:
	s_or_b32 exec_lo, exec_lo, s0
	s_and_saveexec_b32 s0, vcc_lo
	s_cbranch_execnz .LBB277_1662
.LBB277_1635:
	s_or_b32 exec_lo, exec_lo, s0
	s_and_saveexec_b32 s0, vcc_lo
	s_cbranch_execnz .LBB277_1663
.LBB277_1636:
	s_or_b32 exec_lo, exec_lo, s0
	s_and_saveexec_b32 s0, vcc_lo
	s_cbranch_execnz .LBB277_1664
.LBB277_1637:
	s_or_b32 exec_lo, exec_lo, s0
	s_and_saveexec_b32 s0, vcc_lo
	s_cbranch_execnz .LBB277_1665
.LBB277_1638:
	s_or_b32 exec_lo, exec_lo, s0
	s_and_saveexec_b32 s0, vcc_lo
	s_cbranch_execz .LBB277_1640
.LBB277_1639:
	ds_load_b32 v0, v0 offset:352
	s_wait_dscnt 0x0
	v_add_f32_e32 v13, v0, v13
.LBB277_1640:
	s_or_b32 exec_lo, exec_lo, s0
.LBB277_1641:
	s_delay_alu instid0(SALU_CYCLE_1)
	s_or_b32 exec_lo, exec_lo, s1
	s_mov_b32 s1, 0
	s_mov_b32 s2, exec_lo
	s_barrier_signal -1
	s_barrier_wait -1
	v_cmpx_eq_u32_e32 0, v14
	s_cbranch_execz .LBB277_1643
; %bb.1642:
	scratch_load_b64 v[0:1], off, s32 offset:384 th:TH_LOAD_LU ; 8-byte Folded Reload
	s_and_b32 s0, 0xffff, s13
	v_dual_mov_b32 v15, 0 :: v_dual_lshrrev_b32 v14, 1, v41
	s_cmp_lg_u32 s0, 0
	;;#ASMSTART
	v_cvt_f16_f32 v10, v10;

	;;#ASMEND
	s_cselect_b32 s0, -1, 0
	s_delay_alu instid0(SALU_CYCLE_1)
	s_cmp_lg_u32 s0, 0
	s_add_co_ci_u32 s0, s5, 0
	s_bfe_u32 s8, ttmp6, 0x40014
	s_mul_i32 s5, s0, s11
	s_lshr_b32 s3, ttmp7, 16
	s_mul_i32 s5, s5, s12
	s_add_co_i32 s8, s8, 1
	s_mul_i32 s6, s5, 0x60
	s_bfe_u32 s9, ttmp6, 0x40008
	s_ashr_i32 s7, s6, 31
	s_mul_i32 s4, s4, s0
	s_mul_i32 s0, s3, s8
	s_ashr_i32 s5, s4, 31
	s_add_co_i32 s9, s9, s0
	s_cmp_eq_u32 s10, 0
	s_cselect_b32 s0, s3, s9
	s_delay_alu instid0(SALU_CYCLE_1) | instskip(SKIP_2) | instid1(VALU_DEP_1)
	s_mulk_i32 s0, 0xc0
	s_wait_loadcnt 0x0
	v_lshl_add_u64 v[0:1], s[6:7], 1, v[0:1]
	v_lshl_add_u64 v[0:1], s[4:5], 1, v[0:1]
	s_delay_alu instid0(VALU_DEP_1) | instskip(NEXT) | instid1(VALU_DEP_1)
	v_add_nc_u64_e32 v[0:1], s[0:1], v[0:1]
	v_add_nc_u64_e32 v[0:1], v[0:1], v[14:15]
	flat_store_b16 v[0:1], v10
	s_wait_xcnt 0x0
	;;#ASMSTART
	v_cvt_f16_f32 v10, v11;

	;;#ASMEND
	flat_store_b16 v[0:1], v10 offset:16
	;;#ASMSTART
	v_cvt_f16_f32 v8, v8;

	;;#ASMEND
	flat_store_b16 v[0:1], v8 offset:32
	s_wait_xcnt 0x0
	;;#ASMSTART
	v_cvt_f16_f32 v8, v9;

	;;#ASMEND
	flat_store_b16 v[0:1], v8 offset:48
	;;#ASMSTART
	v_cvt_f16_f32 v6, v6;

	;;#ASMEND
	flat_store_b16 v[0:1], v6 offset:64
	;; [unrolled: 11-line block ×4, first 2 shown]
	s_wait_xcnt 0x0
	;;#ASMSTART
	v_cvt_f16_f32 v2, v3;

	;;#ASMEND
	flat_store_b16 v[0:1], v2 offset:144
	s_wait_xcnt 0x0
	;;#ASMSTART
	v_cvt_f16_f32 v2, v12;

	;;#ASMEND
	flat_store_b16 v[0:1], v2 offset:160
	;; [unrolled: 6-line block ×3, first 2 shown]
.LBB277_1643:
	s_wait_xcnt 0x0
	s_or_b32 exec_lo, exec_lo, s2
	s_clause 0x2f
	scratch_load_b32 v127, off, s32
	scratch_load_b32 v126, off, s32 offset:4
	scratch_load_b32 v125, off, s32 offset:8
	;; [unrolled: 1-line block ×47, first 2 shown]
	s_wait_loadcnt_dscnt 0x0
	s_set_pc_i64 s[30:31]
.LBB277_1644:
	ds_load_b32 v14, v0
	s_wait_dscnt 0x0
	v_add_f32_e32 v10, v14, v10
	s_or_b32 exec_lo, exec_lo, s0
	s_and_saveexec_b32 s0, vcc_lo
	s_cbranch_execz .LBB277_1612
.LBB277_1645:
	ds_load_b32 v14, v0 offset:32
	s_wait_dscnt 0x0
	v_add_f32_e32 v11, v14, v11
	s_or_b32 exec_lo, exec_lo, s0
	s_and_saveexec_b32 s0, vcc_lo
	s_cbranch_execz .LBB277_1613
.LBB277_1646:
	ds_load_b32 v14, v0 offset:64
	s_wait_dscnt 0x0
	v_add_f32_e32 v8, v14, v8
	s_or_b32 exec_lo, exec_lo, s0
	s_and_saveexec_b32 s0, vcc_lo
	s_cbranch_execz .LBB277_1614
.LBB277_1647:
	ds_load_b32 v14, v0 offset:96
	s_wait_dscnt 0x0
	v_add_f32_e32 v9, v14, v9
	s_or_b32 exec_lo, exec_lo, s0
	s_and_saveexec_b32 s0, vcc_lo
	s_cbranch_execz .LBB277_1615
.LBB277_1648:
	ds_load_b32 v14, v0 offset:128
	s_wait_dscnt 0x0
	v_add_f32_e32 v6, v14, v6
	s_or_b32 exec_lo, exec_lo, s0
	s_and_saveexec_b32 s0, vcc_lo
	s_cbranch_execz .LBB277_1616
.LBB277_1649:
	ds_load_b32 v14, v0 offset:160
	s_wait_dscnt 0x0
	v_add_f32_e32 v7, v14, v7
	s_or_b32 exec_lo, exec_lo, s0
	s_and_saveexec_b32 s0, vcc_lo
	s_cbranch_execz .LBB277_1617
.LBB277_1650:
	ds_load_b32 v14, v0 offset:192
	s_wait_dscnt 0x0
	v_add_f32_e32 v4, v14, v4
	s_or_b32 exec_lo, exec_lo, s0
	s_and_saveexec_b32 s0, vcc_lo
	s_cbranch_execz .LBB277_1618
.LBB277_1651:
	ds_load_b32 v14, v0 offset:224
	s_wait_dscnt 0x0
	v_add_f32_e32 v5, v14, v5
	s_or_b32 exec_lo, exec_lo, s0
	s_and_saveexec_b32 s0, vcc_lo
	s_cbranch_execz .LBB277_1619
.LBB277_1652:
	ds_load_b32 v14, v0 offset:256
	s_wait_dscnt 0x0
	v_add_f32_e32 v2, v14, v2
	s_or_b32 exec_lo, exec_lo, s0
	s_and_saveexec_b32 s0, vcc_lo
	s_cbranch_execz .LBB277_1620
.LBB277_1653:
	ds_load_b32 v14, v0 offset:288
	s_wait_dscnt 0x0
	v_add_f32_e32 v3, v14, v3
	s_or_b32 exec_lo, exec_lo, s0
	s_and_saveexec_b32 s0, vcc_lo
	s_cbranch_execz .LBB277_1621
.LBB277_1654:
	ds_load_b32 v14, v0 offset:320
	s_wait_dscnt 0x0
	v_add_f32_e32 v12, v14, v12
	s_or_b32 exec_lo, exec_lo, s0
	s_and_saveexec_b32 s0, vcc_lo
	s_cbranch_execnz .LBB277_1622
	s_branch .LBB277_1623
.LBB277_1655:
	ds_load_b32 v1, v0
	s_wait_dscnt 0x0
	v_add_f32_e32 v10, v1, v10
	s_or_b32 exec_lo, exec_lo, s0
	s_and_saveexec_b32 s0, vcc_lo
	s_cbranch_execz .LBB277_1629
.LBB277_1656:
	ds_load_b32 v1, v0 offset:32
	s_wait_dscnt 0x0
	v_add_f32_e32 v11, v1, v11
	s_or_b32 exec_lo, exec_lo, s0
	s_and_saveexec_b32 s0, vcc_lo
	s_cbranch_execz .LBB277_1630
.LBB277_1657:
	ds_load_b32 v1, v0 offset:64
	s_wait_dscnt 0x0
	v_add_f32_e32 v8, v1, v8
	s_or_b32 exec_lo, exec_lo, s0
	s_and_saveexec_b32 s0, vcc_lo
	s_cbranch_execz .LBB277_1631
.LBB277_1658:
	ds_load_b32 v1, v0 offset:96
	s_wait_dscnt 0x0
	v_add_f32_e32 v9, v1, v9
	s_or_b32 exec_lo, exec_lo, s0
	s_and_saveexec_b32 s0, vcc_lo
	s_cbranch_execz .LBB277_1632
.LBB277_1659:
	ds_load_b32 v1, v0 offset:128
	s_wait_dscnt 0x0
	v_add_f32_e32 v6, v1, v6
	s_or_b32 exec_lo, exec_lo, s0
	s_and_saveexec_b32 s0, vcc_lo
	s_cbranch_execz .LBB277_1633
.LBB277_1660:
	ds_load_b32 v1, v0 offset:160
	s_wait_dscnt 0x0
	v_add_f32_e32 v7, v1, v7
	s_or_b32 exec_lo, exec_lo, s0
	s_and_saveexec_b32 s0, vcc_lo
	s_cbranch_execz .LBB277_1634
.LBB277_1661:
	ds_load_b32 v1, v0 offset:192
	s_wait_dscnt 0x0
	v_add_f32_e32 v4, v1, v4
	s_or_b32 exec_lo, exec_lo, s0
	s_and_saveexec_b32 s0, vcc_lo
	s_cbranch_execz .LBB277_1635
.LBB277_1662:
	ds_load_b32 v1, v0 offset:224
	s_wait_dscnt 0x0
	v_add_f32_e32 v5, v1, v5
	s_or_b32 exec_lo, exec_lo, s0
	s_and_saveexec_b32 s0, vcc_lo
	s_cbranch_execz .LBB277_1636
.LBB277_1663:
	ds_load_b32 v1, v0 offset:256
	s_wait_dscnt 0x0
	v_add_f32_e32 v2, v1, v2
	s_or_b32 exec_lo, exec_lo, s0
	s_and_saveexec_b32 s0, vcc_lo
	s_cbranch_execz .LBB277_1637
.LBB277_1664:
	ds_load_b32 v1, v0 offset:288
	s_wait_dscnt 0x0
	v_add_f32_e32 v3, v1, v3
	s_or_b32 exec_lo, exec_lo, s0
	s_and_saveexec_b32 s0, vcc_lo
	s_cbranch_execz .LBB277_1638
.LBB277_1665:
	ds_load_b32 v1, v0 offset:320
	s_wait_dscnt 0x0
	v_add_f32_e32 v12, v1, v12
	s_or_b32 exec_lo, exec_lo, s0
	s_and_saveexec_b32 s0, vcc_lo
	s_cbranch_execnz .LBB277_1639
	s_branch .LBB277_1640
.Lfunc_end277:
	.size	_ZN4vllm22paged_attention_kernelIthLi96ELi32ELi128ELNS_18Fp8KVCacheDataTypeE1ELb1ELi0EEEvPfS2_PT_PKS3_PKT0_S9_ifPKiSB_iPKfiiiSD_SD_iiiii, .Lfunc_end277-_ZN4vllm22paged_attention_kernelIthLi96ELi32ELi128ELNS_18Fp8KVCacheDataTypeE1ELb1ELi0EEEvPfS2_PT_PKS3_PKT0_S9_ifPKiSB_iPKfiiiSD_SD_iiiii
                                        ; -- End function
	.set .L_ZN4vllm22paged_attention_kernelIthLi96ELi32ELi128ELNS_18Fp8KVCacheDataTypeE1ELb1ELi0EEEvPfS2_PT_PKS3_PKT0_S9_ifPKiSB_iPKfiiiSD_SD_iiiii.num_vgpr, 128
	.set .L_ZN4vllm22paged_attention_kernelIthLi96ELi32ELi128ELNS_18Fp8KVCacheDataTypeE1ELb1ELi0EEEvPfS2_PT_PKS3_PKT0_S9_ifPKiSB_iPKfiiiSD_SD_iiiii.num_agpr, 0
	.set .L_ZN4vllm22paged_attention_kernelIthLi96ELi32ELi128ELNS_18Fp8KVCacheDataTypeE1ELb1ELi0EEEvPfS2_PT_PKS3_PKT0_S9_ifPKiSB_iPKfiiiSD_SD_iiiii.numbered_sgpr, 33
	.set .L_ZN4vllm22paged_attention_kernelIthLi96ELi32ELi128ELNS_18Fp8KVCacheDataTypeE1ELb1ELi0EEEvPfS2_PT_PKS3_PKT0_S9_ifPKiSB_iPKfiiiSD_SD_iiiii.num_named_barrier, 0
	.set .L_ZN4vllm22paged_attention_kernelIthLi96ELi32ELi128ELNS_18Fp8KVCacheDataTypeE1ELb1ELi0EEEvPfS2_PT_PKS3_PKT0_S9_ifPKiSB_iPKfiiiSD_SD_iiiii.private_seg_size, 420
	.set .L_ZN4vllm22paged_attention_kernelIthLi96ELi32ELi128ELNS_18Fp8KVCacheDataTypeE1ELb1ELi0EEEvPfS2_PT_PKS3_PKT0_S9_ifPKiSB_iPKfiiiSD_SD_iiiii.uses_vcc, 1
	.set .L_ZN4vllm22paged_attention_kernelIthLi96ELi32ELi128ELNS_18Fp8KVCacheDataTypeE1ELb1ELi0EEEvPfS2_PT_PKS3_PKT0_S9_ifPKiSB_iPKfiiiSD_SD_iiiii.uses_flat_scratch, 1
	.set .L_ZN4vllm22paged_attention_kernelIthLi96ELi32ELi128ELNS_18Fp8KVCacheDataTypeE1ELb1ELi0EEEvPfS2_PT_PKS3_PKT0_S9_ifPKiSB_iPKfiiiSD_SD_iiiii.has_dyn_sized_stack, 0
	.set .L_ZN4vllm22paged_attention_kernelIthLi96ELi32ELi128ELNS_18Fp8KVCacheDataTypeE1ELb1ELi0EEEvPfS2_PT_PKS3_PKT0_S9_ifPKiSB_iPKfiiiSD_SD_iiiii.has_recursion, 0
	.set .L_ZN4vllm22paged_attention_kernelIthLi96ELi32ELi128ELNS_18Fp8KVCacheDataTypeE1ELb1ELi0EEEvPfS2_PT_PKS3_PKT0_S9_ifPKiSB_iPKfiiiSD_SD_iiiii.has_indirect_call, 0
	.section	.AMDGPU.csdata,"",@progbits
; Function info:
; codeLenInByte = 66456
; TotalNumSgprs: 35
; NumVgprs: 128
; ScratchSize: 420
; MemoryBound: 0
	.section	.text._ZN4vllm25paged_attention_v1_kernelIthLi96ELi32ELi128ELNS_18Fp8KVCacheDataTypeE1ELb1EEEvPT_PKS2_PKT0_S8_ifPKiSA_iPKfiiiSC_SC_iiiii,"axG",@progbits,_ZN4vllm25paged_attention_v1_kernelIthLi96ELi32ELi128ELNS_18Fp8KVCacheDataTypeE1ELb1EEEvPT_PKS2_PKT0_S8_ifPKiSA_iPKfiiiSC_SC_iiiii,comdat
	.protected	_ZN4vllm25paged_attention_v1_kernelIthLi96ELi32ELi128ELNS_18Fp8KVCacheDataTypeE1ELb1EEEvPT_PKS2_PKT0_S8_ifPKiSA_iPKfiiiSC_SC_iiiii ; -- Begin function _ZN4vllm25paged_attention_v1_kernelIthLi96ELi32ELi128ELNS_18Fp8KVCacheDataTypeE1ELb1EEEvPT_PKS2_PKT0_S8_ifPKiSA_iPKfiiiSC_SC_iiiii
	.globl	_ZN4vllm25paged_attention_v1_kernelIthLi96ELi32ELi128ELNS_18Fp8KVCacheDataTypeE1ELb1EEEvPT_PKS2_PKT0_S8_ifPKiSA_iPKfiiiSC_SC_iiiii
	.p2align	8
	.type	_ZN4vllm25paged_attention_v1_kernelIthLi96ELi32ELi128ELNS_18Fp8KVCacheDataTypeE1ELb1EEEvPT_PKS2_PKT0_S8_ifPKiSA_iPKfiiiSC_SC_iiiii,@function
_ZN4vllm25paged_attention_v1_kernelIthLi96ELi32ELi128ELNS_18Fp8KVCacheDataTypeE1ELb1EEEvPT_PKS2_PKT0_S8_ifPKiSA_iPKfiiiSC_SC_iiiii: ; @_ZN4vllm25paged_attention_v1_kernelIthLi96ELi32ELi128ELNS_18Fp8KVCacheDataTypeE1ELb1EEEvPT_PKS2_PKT0_S8_ifPKiSA_iPKfiiiSC_SC_iiiii
; %bb.0:
	s_clause 0x6
	s_load_b256 s[12:19], s[0:1], 0x0
	s_load_b128 s[4:7], s[0:1], 0x20
	s_load_b96 s[28:30], s[0:1], 0x30
	s_load_b64 s[10:11], s[0:1], 0x40
	s_load_b96 s[36:38], s[0:1], 0x48
	s_load_b256 s[20:27], s[0:1], 0x58
	s_load_b32 s31, s[0:1], 0x78
	v_mov_b32_e32 v31, v0
	s_get_pc_i64 s[2:3]
	s_add_nc_u64 s[2:3], s[2:3], _ZN4vllm22paged_attention_kernelIthLi96ELi32ELi128ELNS_18Fp8KVCacheDataTypeE1ELb1ELi0EEEvPfS2_PT_PKS3_PKT0_S9_ifPKiSB_iPKfiiiSD_SD_iiiii@rel64+4
	s_add_nc_u64 s[8:9], s[0:1], 0x80
	s_mov_b32 s32, 0
	s_wait_kmcnt 0x0
	v_dual_mov_b32 v15, s10 :: v_dual_mov_b32 v16, s11
	v_dual_mov_b32 v0, s12 :: v_dual_mov_b32 v1, s13
	;; [unrolled: 1-line block ×14, first 2 shown]
	v_mov_b32_e32 v28, s31
	s_mov_b32 s15, 49
	s_swap_pc_i64 s[30:31], s[2:3]
	s_endpgm
	.section	.rodata,"a",@progbits
	.p2align	6, 0x0
	.amdhsa_kernel _ZN4vllm25paged_attention_v1_kernelIthLi96ELi32ELi128ELNS_18Fp8KVCacheDataTypeE1ELb1EEEvPT_PKS2_PKT0_S8_ifPKiSA_iPKfiiiSC_SC_iiiii
		.amdhsa_group_segment_fixed_size 224
		.amdhsa_private_segment_fixed_size 420
		.amdhsa_kernarg_size 384
		.amdhsa_user_sgpr_count 2
		.amdhsa_user_sgpr_dispatch_ptr 0
		.amdhsa_user_sgpr_queue_ptr 0
		.amdhsa_user_sgpr_kernarg_segment_ptr 1
		.amdhsa_user_sgpr_dispatch_id 0
		.amdhsa_user_sgpr_kernarg_preload_length 0
		.amdhsa_user_sgpr_kernarg_preload_offset 0
		.amdhsa_user_sgpr_private_segment_size 0
		.amdhsa_wavefront_size32 1
		.amdhsa_uses_dynamic_stack 0
		.amdhsa_enable_private_segment 1
		.amdhsa_system_sgpr_workgroup_id_x 1
		.amdhsa_system_sgpr_workgroup_id_y 1
		.amdhsa_system_sgpr_workgroup_id_z 1
		.amdhsa_system_sgpr_workgroup_info 0
		.amdhsa_system_vgpr_workitem_id 0
		.amdhsa_next_free_vgpr 128
		.amdhsa_next_free_sgpr 39
		.amdhsa_named_barrier_count 0
		.amdhsa_reserve_vcc 1
		.amdhsa_float_round_mode_32 0
		.amdhsa_float_round_mode_16_64 0
		.amdhsa_float_denorm_mode_32 3
		.amdhsa_float_denorm_mode_16_64 3
		.amdhsa_fp16_overflow 0
		.amdhsa_memory_ordered 1
		.amdhsa_forward_progress 1
		.amdhsa_inst_pref_size 2
		.amdhsa_round_robin_scheduling 0
		.amdhsa_exception_fp_ieee_invalid_op 0
		.amdhsa_exception_fp_denorm_src 0
		.amdhsa_exception_fp_ieee_div_zero 0
		.amdhsa_exception_fp_ieee_overflow 0
		.amdhsa_exception_fp_ieee_underflow 0
		.amdhsa_exception_fp_ieee_inexact 0
		.amdhsa_exception_int_div_zero 0
	.end_amdhsa_kernel
	.section	.text._ZN4vllm25paged_attention_v1_kernelIthLi96ELi32ELi128ELNS_18Fp8KVCacheDataTypeE1ELb1EEEvPT_PKS2_PKT0_S8_ifPKiSA_iPKfiiiSC_SC_iiiii,"axG",@progbits,_ZN4vllm25paged_attention_v1_kernelIthLi96ELi32ELi128ELNS_18Fp8KVCacheDataTypeE1ELb1EEEvPT_PKS2_PKT0_S8_ifPKiSA_iPKfiiiSC_SC_iiiii,comdat
.Lfunc_end278:
	.size	_ZN4vllm25paged_attention_v1_kernelIthLi96ELi32ELi128ELNS_18Fp8KVCacheDataTypeE1ELb1EEEvPT_PKS2_PKT0_S8_ifPKiSA_iPKfiiiSC_SC_iiiii, .Lfunc_end278-_ZN4vllm25paged_attention_v1_kernelIthLi96ELi32ELi128ELNS_18Fp8KVCacheDataTypeE1ELb1EEEvPT_PKS2_PKT0_S8_ifPKiSA_iPKfiiiSC_SC_iiiii
                                        ; -- End function
	.set _ZN4vllm25paged_attention_v1_kernelIthLi96ELi32ELi128ELNS_18Fp8KVCacheDataTypeE1ELb1EEEvPT_PKS2_PKT0_S8_ifPKiSA_iPKfiiiSC_SC_iiiii.num_vgpr, max(32, .L_ZN4vllm22paged_attention_kernelIthLi96ELi32ELi128ELNS_18Fp8KVCacheDataTypeE1ELb1ELi0EEEvPfS2_PT_PKS3_PKT0_S9_ifPKiSB_iPKfiiiSD_SD_iiiii.num_vgpr)
	.set _ZN4vllm25paged_attention_v1_kernelIthLi96ELi32ELi128ELNS_18Fp8KVCacheDataTypeE1ELb1EEEvPT_PKS2_PKT0_S8_ifPKiSA_iPKfiiiSC_SC_iiiii.num_agpr, max(0, .L_ZN4vllm22paged_attention_kernelIthLi96ELi32ELi128ELNS_18Fp8KVCacheDataTypeE1ELb1ELi0EEEvPfS2_PT_PKS3_PKT0_S9_ifPKiSB_iPKfiiiSD_SD_iiiii.num_agpr)
	.set _ZN4vllm25paged_attention_v1_kernelIthLi96ELi32ELi128ELNS_18Fp8KVCacheDataTypeE1ELb1EEEvPT_PKS2_PKT0_S8_ifPKiSA_iPKfiiiSC_SC_iiiii.numbered_sgpr, max(39, .L_ZN4vllm22paged_attention_kernelIthLi96ELi32ELi128ELNS_18Fp8KVCacheDataTypeE1ELb1ELi0EEEvPfS2_PT_PKS3_PKT0_S9_ifPKiSB_iPKfiiiSD_SD_iiiii.numbered_sgpr)
	.set _ZN4vllm25paged_attention_v1_kernelIthLi96ELi32ELi128ELNS_18Fp8KVCacheDataTypeE1ELb1EEEvPT_PKS2_PKT0_S8_ifPKiSA_iPKfiiiSC_SC_iiiii.num_named_barrier, max(0, .L_ZN4vllm22paged_attention_kernelIthLi96ELi32ELi128ELNS_18Fp8KVCacheDataTypeE1ELb1ELi0EEEvPfS2_PT_PKS3_PKT0_S9_ifPKiSB_iPKfiiiSD_SD_iiiii.num_named_barrier)
	.set _ZN4vllm25paged_attention_v1_kernelIthLi96ELi32ELi128ELNS_18Fp8KVCacheDataTypeE1ELb1EEEvPT_PKS2_PKT0_S8_ifPKiSA_iPKfiiiSC_SC_iiiii.private_seg_size, 0+max(.L_ZN4vllm22paged_attention_kernelIthLi96ELi32ELi128ELNS_18Fp8KVCacheDataTypeE1ELb1ELi0EEEvPfS2_PT_PKS3_PKT0_S9_ifPKiSB_iPKfiiiSD_SD_iiiii.private_seg_size)
	.set _ZN4vllm25paged_attention_v1_kernelIthLi96ELi32ELi128ELNS_18Fp8KVCacheDataTypeE1ELb1EEEvPT_PKS2_PKT0_S8_ifPKiSA_iPKfiiiSC_SC_iiiii.uses_vcc, or(1, .L_ZN4vllm22paged_attention_kernelIthLi96ELi32ELi128ELNS_18Fp8KVCacheDataTypeE1ELb1ELi0EEEvPfS2_PT_PKS3_PKT0_S9_ifPKiSB_iPKfiiiSD_SD_iiiii.uses_vcc)
	.set _ZN4vllm25paged_attention_v1_kernelIthLi96ELi32ELi128ELNS_18Fp8KVCacheDataTypeE1ELb1EEEvPT_PKS2_PKT0_S8_ifPKiSA_iPKfiiiSC_SC_iiiii.uses_flat_scratch, or(0, .L_ZN4vllm22paged_attention_kernelIthLi96ELi32ELi128ELNS_18Fp8KVCacheDataTypeE1ELb1ELi0EEEvPfS2_PT_PKS3_PKT0_S9_ifPKiSB_iPKfiiiSD_SD_iiiii.uses_flat_scratch)
	.set _ZN4vllm25paged_attention_v1_kernelIthLi96ELi32ELi128ELNS_18Fp8KVCacheDataTypeE1ELb1EEEvPT_PKS2_PKT0_S8_ifPKiSA_iPKfiiiSC_SC_iiiii.has_dyn_sized_stack, or(0, .L_ZN4vllm22paged_attention_kernelIthLi96ELi32ELi128ELNS_18Fp8KVCacheDataTypeE1ELb1ELi0EEEvPfS2_PT_PKS3_PKT0_S9_ifPKiSB_iPKfiiiSD_SD_iiiii.has_dyn_sized_stack)
	.set _ZN4vllm25paged_attention_v1_kernelIthLi96ELi32ELi128ELNS_18Fp8KVCacheDataTypeE1ELb1EEEvPT_PKS2_PKT0_S8_ifPKiSA_iPKfiiiSC_SC_iiiii.has_recursion, or(0, .L_ZN4vllm22paged_attention_kernelIthLi96ELi32ELi128ELNS_18Fp8KVCacheDataTypeE1ELb1ELi0EEEvPfS2_PT_PKS3_PKT0_S9_ifPKiSB_iPKfiiiSD_SD_iiiii.has_recursion)
	.set _ZN4vllm25paged_attention_v1_kernelIthLi96ELi32ELi128ELNS_18Fp8KVCacheDataTypeE1ELb1EEEvPT_PKS2_PKT0_S8_ifPKiSA_iPKfiiiSC_SC_iiiii.has_indirect_call, or(0, .L_ZN4vllm22paged_attention_kernelIthLi96ELi32ELi128ELNS_18Fp8KVCacheDataTypeE1ELb1ELi0EEEvPfS2_PT_PKS3_PKT0_S9_ifPKiSB_iPKfiiiSD_SD_iiiii.has_indirect_call)
	.section	.AMDGPU.csdata,"",@progbits
; Kernel info:
; codeLenInByte = 224
; TotalNumSgprs: 41
; NumVgprs: 128
; ScratchSize: 420
; MemoryBound: 0
; FloatMode: 240
; IeeeMode: 1
; LDSByteSize: 224 bytes/workgroup (compile time only)
; SGPRBlocks: 0
; VGPRBlocks: 7
; NumSGPRsForWavesPerEU: 41
; NumVGPRsForWavesPerEU: 128
; NamedBarCnt: 0
; Occupancy: 8
; WaveLimiterHint : 1
; COMPUTE_PGM_RSRC2:SCRATCH_EN: 1
; COMPUTE_PGM_RSRC2:USER_SGPR: 2
; COMPUTE_PGM_RSRC2:TRAP_HANDLER: 0
; COMPUTE_PGM_RSRC2:TGID_X_EN: 1
; COMPUTE_PGM_RSRC2:TGID_Y_EN: 1
; COMPUTE_PGM_RSRC2:TGID_Z_EN: 1
; COMPUTE_PGM_RSRC2:TIDIG_COMP_CNT: 0
	.text
	.p2align	2                               ; -- Begin function _ZN4vllm22paged_attention_kernelIthLi112ELi32ELi128ELNS_18Fp8KVCacheDataTypeE1ELb1ELi0EEEvPfS2_PT_PKS3_PKT0_S9_ifPKiSB_iPKfiiiSD_SD_iiiii
	.type	_ZN4vllm22paged_attention_kernelIthLi112ELi32ELi128ELNS_18Fp8KVCacheDataTypeE1ELb1ELi0EEEvPfS2_PT_PKS3_PKT0_S9_ifPKiSB_iPKfiiiSD_SD_iiiii,@function
_ZN4vllm22paged_attention_kernelIthLi112ELi32ELi128ELNS_18Fp8KVCacheDataTypeE1ELb1ELi0EEEvPfS2_PT_PKS3_PKT0_S9_ifPKiSB_iPKfiiiSD_SD_iiiii: ; @_ZN4vllm22paged_attention_kernelIthLi112ELi32ELi128ELNS_18Fp8KVCacheDataTypeE1ELb1ELi0EEEvPfS2_PT_PKS3_PKT0_S9_ifPKiSB_iPKfiiiSD_SD_iiiii
; %bb.0:
	s_wait_loadcnt_dscnt 0x0
	s_wait_kmcnt 0x0
	s_clause 0x2f
	scratch_store_b32 off, v40, s32 offset:188
	; meta instruction
	scratch_store_b32 off, v41, s32 offset:184
	; meta instruction
	scratch_store_b32 off, v42, s32 offset:180
	; meta instruction
	scratch_store_b32 off, v43, s32 offset:176
	; meta instruction
	scratch_store_b32 off, v44, s32 offset:172
	; meta instruction
	scratch_store_b32 off, v45, s32 offset:168
	; meta instruction
	scratch_store_b32 off, v46, s32 offset:164
	; meta instruction
	scratch_store_b32 off, v47, s32 offset:160
	; meta instruction
	scratch_store_b32 off, v56, s32 offset:156
	; meta instruction
	scratch_store_b32 off, v57, s32 offset:152
	; meta instruction
	scratch_store_b32 off, v58, s32 offset:148
	; meta instruction
	scratch_store_b32 off, v59, s32 offset:144
	; meta instruction
	scratch_store_b32 off, v60, s32 offset:140
	; meta instruction
	scratch_store_b32 off, v61, s32 offset:136
	; meta instruction
	scratch_store_b32 off, v62, s32 offset:132
	; meta instruction
	scratch_store_b32 off, v63, s32 offset:128
	; meta instruction
	scratch_store_b32 off, v72, s32 offset:124
	; meta instruction
	scratch_store_b32 off, v73, s32 offset:120
	; meta instruction
	scratch_store_b32 off, v74, s32 offset:116
	; meta instruction
	scratch_store_b32 off, v75, s32 offset:112
	; meta instruction
	scratch_store_b32 off, v76, s32 offset:108
	; meta instruction
	scratch_store_b32 off, v77, s32 offset:104
	; meta instruction
	scratch_store_b32 off, v78, s32 offset:100
	; meta instruction
	scratch_store_b32 off, v79, s32 offset:96
	; meta instruction
	scratch_store_b32 off, v88, s32 offset:92
	; meta instruction
	scratch_store_b32 off, v89, s32 offset:88
	; meta instruction
	scratch_store_b32 off, v90, s32 offset:84
	; meta instruction
	scratch_store_b32 off, v91, s32 offset:80
	; meta instruction
	scratch_store_b32 off, v92, s32 offset:76
	; meta instruction
	scratch_store_b32 off, v93, s32 offset:72
	; meta instruction
	scratch_store_b32 off, v94, s32 offset:68
	; meta instruction
	scratch_store_b32 off, v95, s32 offset:64
	; meta instruction
	scratch_store_b32 off, v104, s32 offset:60
	; meta instruction
	scratch_store_b32 off, v105, s32 offset:56
	; meta instruction
	scratch_store_b32 off, v106, s32 offset:52
	; meta instruction
	scratch_store_b32 off, v107, s32 offset:48
	; meta instruction
	scratch_store_b32 off, v108, s32 offset:44
	; meta instruction
	scratch_store_b32 off, v109, s32 offset:40
	; meta instruction
	scratch_store_b32 off, v110, s32 offset:36
	; meta instruction
	scratch_store_b32 off, v111, s32 offset:32
	; meta instruction
	scratch_store_b32 off, v120, s32 offset:28
	; meta instruction
	scratch_store_b32 off, v121, s32 offset:24
	; meta instruction
	scratch_store_b32 off, v122, s32 offset:20
	; meta instruction
	scratch_store_b32 off, v123, s32 offset:16
	; meta instruction
	scratch_store_b32 off, v124, s32 offset:12
	; meta instruction
	scratch_store_b32 off, v125, s32 offset:8
	; meta instruction
	scratch_store_b32 off, v126, s32 offset:4
	; meta instruction
	scratch_store_b32 off, v127, s32
	s_bfe_u32 s0, ttmp6, 0x4000c
	s_bfe_u32 s3, ttmp6, 0x40010
	s_add_co_i32 s0, s0, 1
	s_and_b32 s1, ttmp6, 15
	s_mul_i32 s0, ttmp9, s0
	s_and_b32 s4, ttmp7, 0xffff
	s_add_co_i32 s3, s3, 1
	s_add_co_i32 s1, s1, s0
	s_mul_i32 s0, s4, s3
	s_bfe_u32 s3, ttmp6, 0x40004
	s_getreg_b32 s10, hwreg(HW_REG_IB_STS2, 6, 4)
	s_add_co_i32 s3, s3, s0
	s_cmp_eq_u32 s10, 0
	s_mov_b32 s7, 0
	s_cselect_b32 s11, s4, s3
	s_cselect_b32 s0, ttmp9, s1
	s_lshl_b32 s6, s11, 2
	s_clause 0x7
	scratch_store_b32 off, v26, s32 offset:356
	scratch_store_b64 off, v[22:23], s32 offset:192
	scratch_store_b64 off, v[20:21], s32 offset:328
	;; [unrolled: 1-line block ×4, first 2 shown]
	scratch_store_b32 off, v9, s32 offset:336
	scratch_store_b64 off, v[6:7], s32 offset:408
	scratch_store_b64 off, v[0:1], s32 offset:392
	s_wait_xcnt 0x1
	v_add_nc_u64_e32 v[6:7], s[6:7], v[12:13]
	s_wait_xcnt 0x0
	v_mov_b32_e32 v1, 0
	s_clause 0x1
	s_load_u16 s1, s[8:9], 0x12
	s_load_b32 s3, s[8:9], 0x0
	v_dual_mov_b32 v33, v16 :: v_dual_mov_b32 v32, v15
	s_mov_b32 s2, s15
	flat_load_b32 v12, v[6:7]
	s_wait_xcnt 0x0
	v_sub_nc_u32_e32 v6, 0, v8
	global_load_u16 v0, v1, s[8:9] offset:22
	v_max_i32_e32 v6, v8, v6
	s_delay_alu instid0(VALU_DEP_1) | instskip(SKIP_2) | instid1(VALU_DEP_1)
	v_cvt_f32_u32_e32 v7, v6
	s_wait_kmcnt 0x0
	s_cmp_lg_u32 s1, 0
	v_rcp_iflag_f32_e32 v7, v7
	s_cselect_b32 s1, -1, 0
	s_delay_alu instid0(SALU_CYCLE_1) | instskip(SKIP_3) | instid1(TRANS32_DEP_1)
	s_cmp_lg_u32 s1, 0
	s_add_co_ci_u32 s12, s3, 0
	s_abs_i32 s6, s0
	v_nop
	v_mul_f32_e32 v7, 0x4f7ffffe, v7
	v_sub_nc_u32_e32 v9, 0, v6
	s_abs_i32 s1, s12
	s_mov_b32 s3, exec_lo
	s_delay_alu instid0(VALU_DEP_2) | instskip(NEXT) | instid1(VALU_DEP_1)
	v_cvt_u32_f32_e32 v7, v7
	v_mul_lo_u32 v9, v9, v7
	s_delay_alu instid0(VALU_DEP_1) | instskip(NEXT) | instid1(VALU_DEP_1)
	v_mul_hi_u32 v9, v7, v9
	v_add_nc_u32_e32 v7, v7, v9
	s_delay_alu instid0(VALU_DEP_1) | instskip(NEXT) | instid1(VALU_DEP_1)
	v_mul_hi_u32 v7, s1, v7
	v_mul_lo_u32 v9, v7, v6
	s_delay_alu instid0(VALU_DEP_1) | instskip(NEXT) | instid1(VALU_DEP_1)
	v_dual_add_nc_u32 v10, 1, v7 :: v_dual_sub_nc_u32 v9, s1, v9
	v_sub_nc_u32_e32 v11, v9, v6
	v_cmp_ge_u32_e32 vcc_lo, v9, v6
	s_delay_alu instid0(VALU_DEP_3) | instskip(NEXT) | instid1(VALU_DEP_3)
	v_dual_cndmask_b32 v7, v7, v10, vcc_lo :: v_dual_bitop2_b32 v10, s12, v8 bitop3:0x14
	v_cndmask_b32_e32 v9, v9, v11, vcc_lo
	s_delay_alu instid0(VALU_DEP_2) | instskip(NEXT) | instid1(VALU_DEP_2)
	v_dual_add_nc_u32 v11, 1, v7 :: v_dual_ashrrev_i32 v10, 31, v10
	v_cmp_ge_u32_e32 vcc_lo, v9, v6
	s_delay_alu instid0(VALU_DEP_2) | instskip(NEXT) | instid1(VALU_DEP_1)
	v_cndmask_b32_e32 v6, v7, v11, vcc_lo
	v_xor_b32_e32 v6, v6, v10
	s_delay_alu instid0(VALU_DEP_1) | instskip(NEXT) | instid1(VALU_DEP_1)
	v_sub_nc_u32_e32 v7, v6, v10
	v_sub_nc_u32_e32 v6, 0, v7
	s_delay_alu instid0(VALU_DEP_1) | instskip(NEXT) | instid1(VALU_DEP_1)
	v_max_i32_e32 v6, v7, v6
	v_cvt_f32_u32_e32 v9, v6
	v_sub_nc_u32_e32 v10, 0, v6
	s_delay_alu instid0(VALU_DEP_2) | instskip(SKIP_1) | instid1(TRANS32_DEP_1)
	v_rcp_iflag_f32_e32 v9, v9
	v_nop
	v_mul_f32_e32 v9, 0x4f7ffffe, v9
	s_delay_alu instid0(VALU_DEP_1) | instskip(NEXT) | instid1(VALU_DEP_1)
	v_cvt_u32_f32_e32 v9, v9
	v_mul_lo_u32 v10, v10, v9
	s_delay_alu instid0(VALU_DEP_1) | instskip(SKIP_2) | instid1(VALU_DEP_2)
	v_mul_hi_u32 v10, v9, v10
	s_wait_loadcnt 0x0
	v_readfirstlane_b32 s13, v0
	v_add_nc_u32_e32 v0, v9, v10
	v_mov_b32_e32 v9, v1
	scratch_store_b32 off, v9, s32 offset:324 ; 4-byte Folded Spill
	s_wait_xcnt 0x0
	v_cmpx_ne_u64_e32 0, v[32:33]
	s_cbranch_execz .LBB279_2
; %bb.1:
	s_ashr_i32 s1, s0, 31
	s_delay_alu instid0(SALU_CYCLE_1)
	v_lshl_add_u64 v[10:11], s[0:1], 2, v[32:33]
	flat_load_b32 v9, v[10:11]
	s_wait_loadcnt_dscnt 0x0
	scratch_store_b32 off, v9, s32 offset:324 ; 4-byte Folded Spill
.LBB279_2:
	s_wait_xcnt 0x0
	s_or_b32 exec_lo, exec_lo, s3
	v_mul_u64_e32 v[0:1], s[6:7], v[0:1]
	v_and_b32_e32 v13, 0x3ff, v31
	v_ashrrev_i32_e32 v0, 31, v7
	s_ashr_i32 s1, s0, 31
	s_mul_i32 s4, s0, 0x70
	s_mov_b32 s3, exec_lo
	v_cmpx_gt_u32_e32 14, v13
	s_cbranch_execz .LBB279_4
; %bb.3:
	v_mul_lo_u32 v10, v17, s11
	s_ashr_i32 s5, s4, 31
	s_delay_alu instid0(VALU_DEP_1) | instskip(NEXT) | instid1(VALU_DEP_1)
	v_ashrrev_i32_e32 v11, 31, v10
	v_lshl_add_u64 v[2:3], v[10:11], 1, v[2:3]
	v_dual_mov_b32 v11, 0 :: v_dual_lshlrev_b32 v10, 4, v13
	s_delay_alu instid0(VALU_DEP_2) | instskip(NEXT) | instid1(VALU_DEP_1)
	v_lshl_add_u64 v[2:3], s[4:5], 1, v[2:3]
	v_add_nc_u64_e32 v[2:3], v[2:3], v[10:11]
	flat_load_b128 v[20:23], v[2:3]
	s_wait_loadcnt_dscnt 0x0
	ds_store_b128 v10, v[20:23]
.LBB279_4:
	s_wait_xcnt 0x0
	s_or_b32 exec_lo, exec_lo, s3
	s_delay_alu instid0(VALU_DEP_4) | instskip(SKIP_3) | instid1(VALU_DEP_3)
	v_dual_sub_nc_u32 v2, 0, v27 :: v_dual_add_nc_u32 v9, 1, v1
	v_mul_lo_u32 v3, v1, v6
	v_xor_b32_e32 v11, s1, v0
	s_mov_b32 s1, exec_lo
	v_max_i32_e32 v7, v27, v2
	s_delay_alu instid0(VALU_DEP_1) | instskip(NEXT) | instid1(VALU_DEP_4)
	v_cvt_f32_u32_e32 v2, v7
	v_sub_nc_u32_e32 v3, s6, v3
	s_delay_alu instid0(VALU_DEP_2) | instskip(NEXT) | instid1(VALU_DEP_1)
	v_rcp_iflag_f32_e32 v2, v2
	v_cmp_ge_u32_e32 vcc_lo, v3, v6
	s_delay_alu instid0(TRANS32_DEP_1) | instskip(SKIP_4) | instid1(VALU_DEP_2)
	v_mul_f32_e32 v2, 0x4f7ffffe, v2
	scratch_store_b32 off, v7, s32 offset:212 ; 4-byte Folded Spill
	s_wait_xcnt 0x0
	v_dual_sub_nc_u32 v7, 0, v7 :: v_dual_cndmask_b32 v1, v1, v9, vcc_lo
	v_cvt_u32_f32_e32 v2, v2
	v_add_nc_u32_e32 v9, 1, v1
	s_delay_alu instid0(VALU_DEP_2) | instskip(SKIP_2) | instid1(VALU_DEP_1)
	v_mul_lo_u32 v10, v7, v2
	v_sub_nc_u32_e32 v7, v3, v6
	s_wait_dscnt 0x0
	v_dual_cndmask_b32 v3, v3, v7, vcc_lo :: v_dual_add_nc_u32 v7, -1, v12
	s_delay_alu instid0(VALU_DEP_1) | instskip(NEXT) | instid1(VALU_DEP_4)
	v_cmp_ge_u32_e32 vcc_lo, v3, v6
	v_mul_hi_u32 v10, v2, v10
	v_dual_cndmask_b32 v0, v1, v9 :: v_dual_mov_b32 v1, 0
	s_delay_alu instid0(VALU_DEP_4) | instskip(NEXT) | instid1(VALU_DEP_2)
	v_sub_nc_u32_e32 v3, 0, v7
	v_dual_mov_b32 v17, v1 :: v_dual_bitop2_b32 v6, v0, v11 bitop3:0x14
	s_delay_alu instid0(VALU_DEP_2) | instskip(NEXT) | instid1(VALU_DEP_2)
	v_dual_add_nc_u32 v16, v2, v10 :: v_dual_max_i32 v0, v7, v3
                                        ; implicit-def: $vgpr2
                                        ; kill: killed $vgpr2
	v_sub_nc_u32_e32 v6, v6, v11
	scratch_store_b64 off, v[16:17], s32 offset:216 ; 8-byte Folded Spill
	s_wait_storecnt 0x0
	s_barrier_signal -1
	s_barrier_wait -1
	s_wait_xcnt 0x0
	v_cmpx_gt_i32_e32 0, v28
	s_xor_b32 s1, exec_lo, s1
	s_cbranch_execz .LBB279_6
; %bb.5:
	v_mad_u32 v2, v24, v8, v6
                                        ; implicit-def: $vgpr24
	s_delay_alu instid0(VALU_DEP_1) | instskip(NEXT) | instid1(VALU_DEP_1)
	v_mul_lo_u32 v2, v2, v28
                                        ; implicit-def: $vgpr28
	v_sub_nc_u32_e32 v2, 1, v2
	scratch_store_b32 off, v2, s32 offset:228 ; 4-byte Folded Spill
.LBB279_6:
	s_wait_xcnt 0x0
	s_or_saveexec_b32 s1, s1
	scratch_load_b64 v[2:3], off, s32 offset:216 ; 8-byte Folded Reload
	s_wait_loadcnt 0x0
	v_mul_u64_e32 v[2:3], v[0:1], v[2:3]
	v_ashrrev_i32_e32 v1, 31, v7
	v_ashrrev_i32_e32 v2, 31, v27
	scratch_store_b32 off, v2, s32 offset:224 ; 4-byte Folded Spill
	s_wait_xcnt 0x0
	s_xor_b32 exec_lo, exec_lo, s1
	s_cbranch_execz .LBB279_8
; %bb.7:
	v_mad_u32 v2, s12, v24, s0
	s_delay_alu instid0(VALU_DEP_1)
	v_mad_u32 v2, v2, v28, 1
	scratch_store_b32 off, v2, s32 offset:228 ; 4-byte Folded Spill
.LBB279_8:
	s_wait_xcnt 0x0
	s_or_b32 exec_lo, exec_lo, s1
	scratch_load_b32 v11, off, s32 offset:212 ; 4-byte Folded Reload
	v_mul_lo_u32 v14, v14, s11
	v_mul_lo_u32 v16, v6, v19
	s_load_b32 s5, s[8:9], 0x8
	s_ashr_i32 s3, s2, 31
	s_get_pc_i64 s[6:7]
	s_add_nc_u64 s[6:7], s[6:7], llvm.amdgcn.dynlds.offset.table@rel64+4
	s_lshl_b64 s[2:3], s[2:3], 2
	v_lshrrev_b32_e32 v9, 5, v13
	v_mov_b32_e32 v21, 0xff7fffff
	s_add_nc_u64 s[6:7], s[6:7], s[2:3]
	s_delay_alu instid0(VALU_DEP_2) | instskip(SKIP_2) | instid1(VALU_DEP_1)
	v_dual_lshlrev_b32 v6, 5, v9 :: v_dual_ashrrev_i32 v17, 31, v16
	s_wait_loadcnt 0x0
	v_mul_lo_u32 v2, v3, v11
	v_dual_sub_nc_u32 v0, v0, v2 :: v_dual_add_nc_u32 v2, 1, v3
	s_delay_alu instid0(VALU_DEP_1)
	v_dual_add_nc_u32 v7, 31, v12 :: v_dual_sub_nc_u32 v8, v0, v11
	v_cmp_ge_u32_e32 vcc_lo, v0, v11
	scratch_store_b64 off, v[6:7], s32 offset:400 ; 8-byte Folded Spill
	v_cndmask_b32_e32 v2, v3, v2, vcc_lo
	scratch_load_b32 v3, off, s32 offset:224 ; 4-byte Folded Reload
	v_cndmask_b32_e32 v0, v0, v8, vcc_lo
	s_delay_alu instid0(VALU_DEP_1) | instskip(SKIP_3) | instid1(VALU_DEP_1)
	v_cmp_ge_u32_e32 vcc_lo, v0, v11
	s_wait_loadcnt 0x0
	v_xor_b32_e32 v1, v1, v3
	v_dual_ashrrev_i32 v3, 31, v7 :: v_dual_add_nc_u32 v8, 1, v2
	v_dual_lshrrev_b32 v3, 27, v3 :: v_dual_bitop2_b32 v10, 31, v13 bitop3:0x40
	s_delay_alu instid0(VALU_DEP_1)
	v_dual_cndmask_b32 v0, v2, v8, vcc_lo :: v_dual_add_nc_u32 v2, v7, v3
	scratch_load_b32 v3, off, s32 offset:356 ; 4-byte Folded Reload
	s_wait_xcnt 0x2
	v_dual_lshlrev_b32 v7, 2, v10 :: v_dual_bitop2_b32 v0, v0, v1 bitop3:0x14
	s_wait_loadcnt 0x0
	v_dual_sub_nc_u32 v3, 0, v3 :: v_dual_ashrrev_i32 v2, 5, v2
	s_delay_alu instid0(VALU_DEP_2) | instskip(NEXT) | instid1(VALU_DEP_2)
	v_dual_sub_nc_u32 v0, v0, v1 :: v_dual_ashrrev_i32 v15, 31, v14
	v_cmp_lt_i32_e64 s0, v9, v2
	s_delay_alu instid0(VALU_DEP_2)
	v_sub_nc_u32_e32 v0, v0, v25
	s_clause 0x6
	scratch_store_b32 off, v10, s32 offset:320
	scratch_store_b32 off, v3, s32 offset:388
	scratch_store_b64 off, v[14:15], s32 offset:368
	scratch_store_b64 off, v[16:17], s32 offset:380
	scratch_store_b32 off, v9, s32 offset:352
	scratch_store_b32 off, v2, s32 offset:208
	;; [unrolled: 1-line block ×3, first 2 shown]
	s_wait_xcnt 0x0
	v_lshrrev_b32_e32 v0, 3, v13
	scratch_store_b32 off, v0, s32 offset:376 ; 4-byte Folded Spill
	s_wait_xcnt 0x0
	s_and_saveexec_b32 s3, s0
	s_cbranch_execz .LBB279_912
; %bb.9:
	s_clause 0x2
	scratch_store_b32 off, v13, s32 offset:416
	scratch_load_b32 v0, off, s32 offset:356
	scratch_load_b32 v1, off, s32 offset:388
	s_load_b32 s14, s[6:7], 0x0
	s_mov_b64 s[8:9], 0xffffffffffffff
	s_mov_b32 s15, 0
	s_clause 0x1
	scratch_store_b32 off, v7, s32 offset:420
	scratch_load_b32 v31, off, s32 offset:352
	v_mov_b32_e32 v25, 0
	v_mov_b32_e32 v21, 0xff7fffff
	s_wait_loadcnt 0x1
	v_max_i32_e32 v1, v0, v1
	s_delay_alu instid0(VALU_DEP_1)
	v_cvt_f32_u32_e32 v0, v1
	s_wait_loadcnt 0x0
	v_lshlrev_b32_e32 v32, 5, v31
	s_wait_xcnt 0x1
	v_lshl_or_b32 v7, v31, 7, v7
	v_rcp_iflag_f32_e32 v0, v0
	v_nop
	s_delay_alu instid0(TRANS32_DEP_1) | instskip(SKIP_4) | instid1(VALU_DEP_1)
	v_mul_f32_e32 v0, 0x4f7ffffe, v0
	scratch_store_b32 off, v1, s32 offset:260 ; 4-byte Folded Spill
	s_wait_xcnt 0x0
	v_sub_nc_u32_e32 v1, 0, v1
	v_cvt_u32_f32_e32 v2, v0
	v_mul_lo_u32 v3, v1, v2
	scratch_load_b64 v[0:1], off, s32 offset:380 ; 8-byte Folded Reload
	v_mul_hi_u32 v3, v2, v3
	s_delay_alu instid0(VALU_DEP_1)
	v_add_nc_u32_e32 v8, v2, v3
	s_wait_loadcnt 0x0
	v_add_nc_u64_e32 v[0:1], v[4:5], v[0:1]
	s_clause 0x1
	scratch_load_b32 v4, off, s32 offset:320
	scratch_load_b32 v5, off, s32 offset:324
	s_wait_loadcnt 0x1
	v_lshlrev_b32_e32 v24, 4, v4
	v_dual_mov_b32 v9, v25 :: v_dual_sub_nc_u32 v4, v4, v12
	s_wait_loadcnt 0x0
	v_cmp_neq_f32_e32 vcc_lo, 0, v5
	s_delay_alu instid0(VALU_DEP_3) | instskip(NEXT) | instid1(VALU_DEP_3)
	v_add_nc_u64_e32 v[0:1], v[0:1], v[24:25]
	v_add_nc_u32_e32 v4, 1, v4
	s_clause 0x4
	scratch_store_b64 off, v[8:9], s32 offset:264
	scratch_store_b32 off, v4, s32 offset:348
	scratch_store_b64 off, v[0:1], s32 offset:340
	scratch_load_b32 v0, off, s32 offset:376
	scratch_load_b64 v[4:5], off, s32 offset:360
	s_wait_loadcnt 0x1
	v_and_b32_e32 v24, 0x7c, v0
	scratch_load_b64 v[0:1], off, s32 offset:368 ; 8-byte Folded Reload
	s_wait_loadcnt 0x0
	v_lshl_add_u64 v[0:1], v[0:1], 2, v[24:25]
	s_delay_alu instid0(VALU_DEP_1)
	v_add_nc_u64_e32 v[0:1], v[4:5], v[0:1]
	scratch_store_b64 off, v[0:1], s32 offset:200 ; 8-byte Folded Spill
	s_branch .LBB279_15
.LBB279_10:                             ;   in Loop: Header=BB279_15 Depth=1
	s_or_b32 exec_lo, exec_lo, s19
	v_lshlrev_b32_e32 v3, 8, v24
	v_lshl_add_u32 v2, v2, 10, 0x2000
	v_lshlrev_b32_e32 v0, 23, v0
	s_delay_alu instid0(VALU_DEP_2) | instskip(NEXT) | instid1(VALU_DEP_1)
	v_and_or_b32 v2, 0x8000, v3, v2
	v_lshl_or_b32 v8, v2, 16, v0
.LBB279_11:                             ;   in Loop: Header=BB279_15 Depth=1
	s_or_b32 exec_lo, exec_lo, s18
.LBB279_12:                             ;   in Loop: Header=BB279_15 Depth=1
	s_delay_alu instid0(SALU_CYCLE_1)
	s_or_b32 exec_lo, exec_lo, s17
.LBB279_13:                             ;   in Loop: Header=BB279_15 Depth=1
	s_delay_alu instid0(SALU_CYCLE_1)
	s_or_b32 exec_lo, exec_lo, s16
	ds_load_b128 v[2:5], v25
	s_load_b32 s16, s[6:7], 0x0
	s_wait_dscnt 0x0
	v_dual_lshrrev_b32 v0, 16, v2 :: v_dual_lshrrev_b32 v21, 16, v3
	v_and_b32_e32 v2, 0xffff, v2
	;;#ASMSTART
	v_cvt_f32_f16 v16, v2;
	;;#ASMEND
	;;#ASMSTART
	v_cvt_f32_f16 v17, v0;
	;;#ASMEND
	v_or_b32_e32 v0, v1, v50
	v_fma_mixlo_f16 v1, v33, v1, 0 op_sel:[0,1,0] op_sel_hi:[0,1,0]
	v_and_b32_e32 v3, 0xffff, v3
	v_or_b32_e32 v2, v114, v52
	v_dual_lshrrev_b32 v24, 16, v4 :: v_dual_lshrrev_b32 v36, 16, v5
	v_fma_mixlo_f16 v0, v33, v0, 0 op_sel_hi:[0,1,0]
	v_and_b32_e32 v1, 0xffff, v1
	s_delay_alu instid0(VALU_DEP_4)
	v_fma_mixlo_f16 v2, v33, v2, 0 op_sel_hi:[0,1,0]
	v_and_b32_e32 v4, 0xffff, v4
	v_and_b32_e32 v5, 0xffff, v5
	;; [unrolled: 1-line block ×3, first 2 shown]
	;;#ASMSTART
	v_cvt_f32_f16 v116, v0;
	;;#ASMEND
	v_or_b32_e32 v0, v115, v51
	;;#ASMSTART
	v_cvt_f32_f16 v117, v1;
	;;#ASMEND
	v_fma_mixlo_f16 v1, v33, v115, 0 op_sel:[0,1,0] op_sel_hi:[0,1,0]
	;;#ASMSTART
	v_cvt_f32_f16 v119, v3;
	;;#ASMEND
	;;#ASMSTART
	v_cvt_f32_f16 v118, v21;
	;;#ASMEND
	v_fma_mixlo_f16 v0, v33, v0, 0 op_sel_hi:[0,1,0]
	v_fma_mixlo_f16 v3, v33, v114, 0 op_sel:[0,1,0] op_sel_hi:[0,1,0]
	v_and_b32_e32 v1, 0xffff, v1
	v_and_b32_e32 v2, 0xffff, v2
	s_delay_alu instid0(VALU_DEP_4)
	v_and_b32_e32 v0, 0xffff, v0
	;;#ASMSTART
	v_cvt_f32_f16 v51, v0;
	;;#ASMEND
	v_or_b32_e32 v0, v113, v53
	;;#ASMSTART
	v_cvt_f32_f16 v50, v1;
	;;#ASMEND
	v_fma_mixlo_f16 v1, v33, v113, 0 op_sel:[0,1,0] op_sel_hi:[0,1,0]
	v_and_b32_e32 v3, 0xffff, v3
	;;#ASMSTART
	v_cvt_f32_f16 v43, v4;
	;;#ASMEND
	v_fma_mixlo_f16 v0, v33, v0, 0 op_sel_hi:[0,1,0]
	;;#ASMSTART
	v_cvt_f32_f16 v42, v24;
	;;#ASMEND
	v_and_b32_e32 v1, 0xffff, v1
	s_delay_alu instid0(VALU_DEP_2)
	v_and_b32_e32 v0, 0xffff, v0
	;;#ASMSTART
	v_cvt_f32_f16 v45, v0;
	;;#ASMEND
	;;#ASMSTART
	v_cvt_f32_f16 v44, v1;
	;;#ASMEND
	;; [unrolled: 3-line block ×6, first 2 shown]
	ds_load_b128 v[2:5], v25 offset:16
	s_wait_dscnt 0x0
	v_and_b32_e32 v21, 0xffff, v2
	v_lshrrev_b32_e32 v2, 16, v2
	;;#ASMSTART
	v_cvt_f32_f16 v52, v21;
	;;#ASMEND
	;;#ASMSTART
	v_cvt_f32_f16 v53, v2;
	;;#ASMEND
	v_or_b32_e32 v2, v39, v112
	v_fma_mixlo_f16 v21, v33, v39, 0 op_sel:[0,1,0] op_sel_hi:[0,1,0]
	s_delay_alu instid0(VALU_DEP_2) | instskip(NEXT) | instid1(VALU_DEP_2)
	v_fma_mixlo_f16 v2, v33, v2, 0 op_sel_hi:[0,1,0]
	v_and_b32_e32 v21, 0xffff, v21
	s_delay_alu instid0(VALU_DEP_2) | instskip(SKIP_4) | instid1(VALU_DEP_2)
	v_and_b32_e32 v2, 0xffff, v2
	;;#ASMSTART
	v_cvt_f32_f16 v112, v2;
	;;#ASMEND
	;;#ASMSTART
	v_cvt_f32_f16 v113, v21;
	;;#ASMEND
	v_pk_mul_f32 v[52:53], v[52:53], v[112:113]
	v_and_b32_e32 v2, 0xffff, v3
	v_pk_fma_f32 v[52:53], v[16:17], v[116:117], v[52:53]
	v_lshrrev_b32_e32 v16, 16, v3
	;;#ASMSTART
	v_cvt_f32_f16 v3, v2;
	;;#ASMEND
	;;#ASMSTART
	v_cvt_f32_f16 v2, v16;
	;;#ASMEND
	v_or_b32_e32 v16, v49, v46
	v_fma_mixlo_f16 v17, v33, v49, 0 op_sel:[0,1,0] op_sel_hi:[0,1,0]
	s_delay_alu instid0(VALU_DEP_2) | instskip(NEXT) | instid1(VALU_DEP_2)
	v_fma_mixlo_f16 v16, v33, v16, 0 op_sel_hi:[0,1,0]
	v_and_b32_e32 v21, 0xffff, v17
	s_delay_alu instid0(VALU_DEP_2) | instskip(SKIP_2) | instid1(VALU_DEP_1)
	v_and_b32_e32 v16, 0xffff, v16
	;;#ASMSTART
	v_cvt_f32_f16 v17, v16;
	;;#ASMEND
	;;#ASMSTART
	v_cvt_f32_f16 v16, v21;
	;;#ASMEND
	v_pk_mul_f32 v[2:3], v[2:3], v[16:17]
	v_fma_mixlo_f16 v16, v33, v55, 0 op_sel:[0,1,0] op_sel_hi:[0,1,0]
	s_delay_alu instid0(VALU_DEP_2)
	v_pk_fma_f32 v[50:51], v[118:119], v[50:51], v[2:3]
	v_and_b32_e32 v2, 0xffff, v4
	v_lshrrev_b32_e32 v4, 16, v4
	;;#ASMSTART
	v_cvt_f32_f16 v3, v2;
	;;#ASMEND
	;;#ASMSTART
	v_cvt_f32_f16 v2, v4;
	;;#ASMEND
	v_or_b32_e32 v4, v55, v48
	v_and_b32_e32 v16, 0xffff, v16
	s_delay_alu instid0(VALU_DEP_2) | instskip(NEXT) | instid1(VALU_DEP_1)
	v_fma_mixlo_f16 v4, v33, v4, 0 op_sel_hi:[0,1,0]
	v_and_b32_e32 v4, 0xffff, v4
	;;#ASMSTART
	v_cvt_f32_f16 v17, v4;
	;;#ASMEND
	;;#ASMSTART
	v_cvt_f32_f16 v16, v16;
	;;#ASMEND
	v_pk_mul_f32 v[2:3], v[2:3], v[16:17]
	v_and_b32_e32 v4, 0xffff, v5
	v_lshrrev_b32_e32 v5, 16, v5
	s_delay_alu instid0(VALU_DEP_3) | instskip(SKIP_2) | instid1(VALU_DEP_2)
	v_pk_fma_f32 v[48:49], v[42:43], v[44:45], v[2:3]
	v_or_b32_e32 v2, v65, v54
	v_fma_mixlo_f16 v3, v33, v65, 0 op_sel:[0,1,0] op_sel_hi:[0,1,0]
	v_fma_mixlo_f16 v2, v33, v2, 0 op_sel_hi:[0,1,0]
	s_delay_alu instid0(VALU_DEP_2) | instskip(SKIP_1) | instid1(VALU_DEP_2)
	v_and_b32_e32 v17, 0xffff, v3
	;;#ASMSTART
	v_cvt_f32_f16 v3, v4;
	;;#ASMEND
	v_and_b32_e32 v16, 0xffff, v2
	;;#ASMSTART
	v_cvt_f32_f16 v2, v5;
	;;#ASMEND
	;;#ASMSTART
	v_cvt_f32_f16 v5, v16;
	;;#ASMEND
	;; [unrolled: 3-line block ×3, first 2 shown]
	v_pk_mul_f32 v[2:3], v[2:3], v[4:5]
	s_delay_alu instid0(VALU_DEP_1)
	v_pk_fma_f32 v[0:1], v[0:1], v[114:115], v[2:3]
	ds_load_b128 v[2:5], v25 offset:32
	scratch_store_b64 off, v[0:1], s32 offset:312 ; 8-byte Folded Spill
	s_wait_xcnt 0x0
	v_or_b32_e32 v0, v83, v64
	v_fma_mixlo_f16 v1, v33, v83, 0 op_sel:[0,1,0] op_sel_hi:[0,1,0]
	s_delay_alu instid0(VALU_DEP_2) | instskip(NEXT) | instid1(VALU_DEP_2)
	v_fma_mixlo_f16 v0, v33, v0, 0 op_sel_hi:[0,1,0]
	v_and_b32_e32 v1, 0xffff, v1
	s_delay_alu instid0(VALU_DEP_2)
	v_and_b32_e32 v0, 0xffff, v0
	s_wait_dscnt 0x0
	v_and_b32_e32 v16, 0xffff, v2
	v_lshrrev_b32_e32 v2, 16, v2
	;;#ASMSTART
	v_cvt_f32_f16 v54, v16;
	;;#ASMEND
	;;#ASMSTART
	v_cvt_f32_f16 v55, v2;
	;;#ASMEND
	;; [unrolled: 3-line block ×3, first 2 shown]
	v_or_b32_e32 v0, v68, v66
	;;#ASMSTART
	v_cvt_f32_f16 v65, v1;
	;;#ASMEND
	v_fma_mixlo_f16 v1, v33, v68, 0 op_sel:[0,1,0] op_sel_hi:[0,1,0]
	v_and_b32_e32 v2, 0xffff, v3
	;;#ASMSTART
	v_cvt_f32_f16 v117, v2;
	;;#ASMEND
	v_fma_mixlo_f16 v0, v33, v0, 0 op_sel_hi:[0,1,0]
	v_lshrrev_b32_e32 v3, 16, v3
	v_and_b32_e32 v2, 0xffff, v1
	v_or_b32_e32 v1, v80, v70
	;;#ASMSTART
	v_cvt_f32_f16 v116, v3;
	;;#ASMEND
	v_and_b32_e32 v36, 0xffff, v0
	v_or_b32_e32 v0, v69, v67
	;;#ASMSTART
	v_cvt_f32_f16 v119, v36;
	;;#ASMEND
	;;#ASMSTART
	v_cvt_f32_f16 v118, v2;
	;;#ASMEND
	v_fma_mixlo_f16 v2, v33, v69, 0 op_sel:[0,1,0] op_sel_hi:[0,1,0]
	v_pk_fma_f32 v[16:17], v[54:55], v[64:65], v[52:53]
	v_fma_mixlo_f16 v0, v33, v0, 0 op_sel_hi:[0,1,0]
	v_and_b32_e32 v21, 0xffff, v4
	v_lshrrev_b32_e32 v4, 16, v4
	v_and_b32_e32 v2, 0xffff, v2
	v_lshrrev_b32_e32 v24, 16, v5
	v_and_b32_e32 v3, 0xffff, v0
	v_fma_mixlo_f16 v0, v33, v1, 0 op_sel_hi:[0,1,0]
	v_fma_mixlo_f16 v1, v33, v80, 0 op_sel:[0,1,0] op_sel_hi:[0,1,0]
	v_and_b32_e32 v5, 0xffff, v5
	;;#ASMSTART
	v_cvt_f32_f16 v43, v21;
	;;#ASMEND
	;;#ASMSTART
	v_cvt_f32_f16 v42, v4;
	;;#ASMEND
	v_and_b32_e32 v0, 0xffff, v0
	v_and_b32_e32 v1, 0xffff, v1
	;;#ASMSTART
	v_cvt_f32_f16 v45, v3;
	;;#ASMEND
	;;#ASMSTART
	v_cvt_f32_f16 v44, v2;
	;;#ASMEND
	;;#ASMSTART
	v_cvt_f32_f16 v53, v5;
	;;#ASMEND
	;;#ASMSTART
	v_cvt_f32_f16 v52, v24;
	;;#ASMEND
	;;#ASMSTART
	v_cvt_f32_f16 v55, v0;
	;;#ASMEND
	;;#ASMSTART
	v_cvt_f32_f16 v54, v1;
	;;#ASMEND
	ds_load_b128 v[0:3], v25 offset:48
	v_fma_mixlo_f16 v21, v33, v82, 0 op_sel:[0,1,0] op_sel_hi:[0,1,0]
	s_delay_alu instid0(VALU_DEP_1)
	v_and_b32_e32 v21, 0xffff, v21
	s_wait_dscnt 0x0
	v_and_b32_e32 v4, 0xffff, v0
	v_lshrrev_b32_e32 v0, 16, v0
	;;#ASMSTART
	v_cvt_f32_f16 v4, v4;
	;;#ASMEND
	;;#ASMSTART
	v_cvt_f32_f16 v5, v0;
	;;#ASMEND
	v_or_b32_e32 v0, v82, v71
	s_delay_alu instid0(VALU_DEP_1) | instskip(NEXT) | instid1(VALU_DEP_1)
	v_fma_mixlo_f16 v0, v33, v0, 0 op_sel_hi:[0,1,0]
	v_and_b32_e32 v0, 0xffff, v0
	;;#ASMSTART
	v_cvt_f32_f16 v64, v0;
	;;#ASMEND
	v_lshrrev_b32_e32 v0, 16, v1
	;;#ASMSTART
	v_cvt_f32_f16 v65, v21;
	;;#ASMEND
	v_and_b32_e32 v1, 0xffff, v1
	;;#ASMSTART
	v_cvt_f32_f16 v47, v1;
	;;#ASMEND
	;;#ASMSTART
	v_cvt_f32_f16 v46, v0;
	;;#ASMEND
	v_or_b32_e32 v0, v85, v56
	v_pk_fma_f32 v[4:5], v[4:5], v[64:65], v[16:17]
	v_fma_mixlo_f16 v1, v33, v85, 0 op_sel:[0,1,0] op_sel_hi:[0,1,0]
	v_lshrrev_b32_e32 v16, 16, v2
	v_and_b32_e32 v2, 0xffff, v2
	v_fma_mixlo_f16 v0, v33, v0, 0 op_sel_hi:[0,1,0]
	v_lshrrev_b32_e32 v17, 16, v3
	v_and_b32_e32 v1, 0xffff, v1
	v_and_b32_e32 v3, 0xffff, v3
	v_fma_mixlo_f16 v21, v33, v99, 0 op_sel:[0,1,0] op_sel_hi:[0,1,0]
	v_and_b32_e32 v0, 0xffff, v0
	;;#ASMSTART
	v_cvt_f32_f16 v57, v0;
	;;#ASMEND
	v_or_b32_e32 v0, v87, v84
	;;#ASMSTART
	v_cvt_f32_f16 v56, v1;
	;;#ASMEND
	v_fma_mixlo_f16 v1, v33, v87, 0 op_sel:[0,1,0] op_sel_hi:[0,1,0]
	;;#ASMSTART
	v_cvt_f32_f16 v113, v2;
	;;#ASMEND
	;;#ASMSTART
	v_cvt_f32_f16 v112, v16;
	;;#ASMEND
	v_fma_mixlo_f16 v0, v33, v0, 0 op_sel_hi:[0,1,0]
	v_and_b32_e32 v21, 0xffff, v21
	v_and_b32_e32 v1, 0xffff, v1
	s_delay_alu instid0(VALU_DEP_3)
	v_and_b32_e32 v0, 0xffff, v0
	;;#ASMSTART
	v_cvt_f32_f16 v115, v0;
	;;#ASMEND
	v_or_b32_e32 v0, v97, v86
	;;#ASMSTART
	v_cvt_f32_f16 v114, v1;
	;;#ASMEND
	v_fma_mixlo_f16 v1, v33, v97, 0 op_sel:[0,1,0] op_sel_hi:[0,1,0]
	;;#ASMSTART
	v_cvt_f32_f16 v65, v3;
	;;#ASMEND
	;;#ASMSTART
	v_cvt_f32_f16 v64, v17;
	;;#ASMEND
	v_fma_mixlo_f16 v0, v33, v0, 0 op_sel_hi:[0,1,0]
	s_delay_alu instid0(VALU_DEP_2) | instskip(NEXT) | instid1(VALU_DEP_2)
	v_and_b32_e32 v1, 0xffff, v1
	v_and_b32_e32 v0, 0xffff, v0
	;;#ASMSTART
	v_cvt_f32_f16 v67, v0;
	;;#ASMEND
	;;#ASMSTART
	v_cvt_f32_f16 v66, v1;
	;;#ASMEND
	ds_load_b128 v[0:3], v25 offset:64
	s_wait_dscnt 0x0
	v_and_b32_e32 v16, 0xffff, v0
	v_lshrrev_b32_e32 v0, 16, v0
	;;#ASMSTART
	v_cvt_f32_f16 v16, v16;
	;;#ASMEND
	;;#ASMSTART
	v_cvt_f32_f16 v17, v0;
	;;#ASMEND
	v_or_b32_e32 v0, v99, v90
	v_and_b32_e32 v24, 0xffff, v3
	s_delay_alu instid0(VALU_DEP_2) | instskip(NEXT) | instid1(VALU_DEP_1)
	v_fma_mixlo_f16 v0, v33, v0, 0 op_sel_hi:[0,1,0]
	v_and_b32_e32 v0, 0xffff, v0
	;;#ASMSTART
	v_cvt_f32_f16 v68, v0;
	;;#ASMEND
	v_lshrrev_b32_e32 v0, 16, v1
	;;#ASMSTART
	v_cvt_f32_f16 v69, v21;
	;;#ASMEND
	v_and_b32_e32 v1, 0xffff, v1
	;;#ASMSTART
	v_cvt_f32_f16 v91, v1;
	;;#ASMEND
	;;#ASMSTART
	v_cvt_f32_f16 v90, v0;
	;;#ASMEND
	v_or_b32_e32 v0, v101, v92
	v_pk_fma_f32 v[16:17], v[16:17], v[68:69], v[4:5]
	v_fma_mixlo_f16 v1, v33, v101, 0 op_sel:[0,1,0] op_sel_hi:[0,1,0]
	v_lshrrev_b32_e32 v4, 16, v2
	v_and_b32_e32 v2, 0xffff, v2
	v_fma_mixlo_f16 v0, v33, v0, 0 op_sel_hi:[0,1,0]
	v_lshrrev_b32_e32 v21, 16, v3
	v_and_b32_e32 v1, 0xffff, v1
	s_delay_alu instid0(VALU_DEP_3)
	v_and_b32_e32 v0, 0xffff, v0
	;;#ASMSTART
	v_cvt_f32_f16 v93, v0;
	;;#ASMEND
	v_or_b32_e32 v0, v103, v109
	;;#ASMSTART
	v_cvt_f32_f16 v92, v1;
	;;#ASMEND
	v_fma_mixlo_f16 v1, v33, v103, 0 op_sel:[0,1,0] op_sel_hi:[0,1,0]
	;;#ASMSTART
	v_cvt_f32_f16 v3, v2;
	;;#ASMEND
	;;#ASMSTART
	v_cvt_f32_f16 v2, v4;
	;;#ASMEND
	v_fma_mixlo_f16 v0, v33, v0, 0 op_sel_hi:[0,1,0]
	s_delay_alu instid0(VALU_DEP_2) | instskip(NEXT) | instid1(VALU_DEP_2)
	v_and_b32_e32 v1, 0xffff, v1
	v_and_b32_e32 v0, 0xffff, v0
	;;#ASMSTART
	v_cvt_f32_f16 v5, v0;
	;;#ASMEND
	v_or_b32_e32 v0, v121, v102
	;;#ASMSTART
	v_cvt_f32_f16 v4, v1;
	;;#ASMEND
	v_fma_mixlo_f16 v1, v33, v121, 0 op_sel:[0,1,0] op_sel_hi:[0,1,0]
	;;#ASMSTART
	v_cvt_f32_f16 v69, v24;
	;;#ASMEND
	;;#ASMSTART
	v_cvt_f32_f16 v68, v21;
	;;#ASMEND
	v_fma_mixlo_f16 v0, v33, v0, 0 op_sel_hi:[0,1,0]
	v_or_b32_e32 v21, v76, v108
	v_and_b32_e32 v1, 0xffff, v1
	v_fma_mixlo_f16 v24, v33, v76, 0 op_sel:[0,1,0] op_sel_hi:[0,1,0]
	s_delay_alu instid0(VALU_DEP_4)
	v_and_b32_e32 v0, 0xffff, v0
	;;#ASMSTART
	v_cvt_f32_f16 v71, v0;
	;;#ASMEND
	;;#ASMSTART
	v_cvt_f32_f16 v70, v1;
	;;#ASMEND
	ds_load_b128 v[82:85], v25 offset:80
	v_fma_mixlo_f16 v21, v33, v21, 0 op_sel_hi:[0,1,0]
	v_and_b32_e32 v24, 0xffff, v24
	s_delay_alu instid0(VALU_DEP_2)
	v_and_b32_e32 v21, 0xffff, v21
	s_wait_dscnt 0x0
	v_and_b32_e32 v0, 0xffff, v82
	v_lshrrev_b32_e32 v1, 16, v82
	;;#ASMSTART
	v_cvt_f32_f16 v0, v0;
	;;#ASMEND
	;;#ASMSTART
	v_cvt_f32_f16 v1, v1;
	;;#ASMEND
	;; [unrolled: 3-line block ×4, first 2 shown]
	v_pk_fma_f32 v[0:1], v[0:1], v[86:87], v[16:17]
	v_lshrrev_b32_e32 v16, 16, v83
	v_and_b32_e32 v17, 0xffff, v83
	;;#ASMSTART
	v_cvt_f32_f16 v109, v17;
	;;#ASMEND
	;;#ASMSTART
	v_cvt_f32_f16 v108, v16;
	;;#ASMEND
	v_or_b32_e32 v16, v74, v120
	v_lshrrev_b32_e32 v21, 16, v84
	v_fma_mixlo_f16 v17, v33, v74, 0 op_sel:[0,1,0] op_sel_hi:[0,1,0]
	v_and_b32_e32 v24, 0xffff, v84
	v_lshrrev_b32_e32 v36, 16, v85
	v_fma_mixlo_f16 v16, v33, v16, 0 op_sel_hi:[0,1,0]
	v_and_b32_e32 v37, 0xffff, v85
	v_and_b32_e32 v17, 0xffff, v17
	s_delay_alu instid0(VALU_DEP_3)
	v_and_b32_e32 v16, 0xffff, v16
	;;#ASMSTART
	v_cvt_f32_f16 v121, v16;
	;;#ASMEND
	v_or_b32_e32 v16, v63, v81
	;;#ASMSTART
	v_cvt_f32_f16 v120, v17;
	;;#ASMEND
	v_fma_mixlo_f16 v17, v33, v63, 0 op_sel:[0,1,0] op_sel_hi:[0,1,0]
	;;#ASMSTART
	v_cvt_f32_f16 v85, v24;
	;;#ASMEND
	;;#ASMSTART
	v_cvt_f32_f16 v84, v21;
	;;#ASMEND
	v_fma_mixlo_f16 v16, v33, v16, 0 op_sel_hi:[0,1,0]
	v_or_b32_e32 v21, v75, v62
	v_and_b32_e32 v17, 0xffff, v17
	v_fma_mixlo_f16 v24, v33, v75, 0 op_sel:[0,1,0] op_sel_hi:[0,1,0]
	s_delay_alu instid0(VALU_DEP_4)
	v_and_b32_e32 v16, 0xffff, v16
	;;#ASMSTART
	v_cvt_f32_f16 v87, v16;
	;;#ASMEND
	v_or_b32_e32 v16, v73, v100
	;;#ASMSTART
	v_cvt_f32_f16 v86, v17;
	;;#ASMEND
	v_fma_mixlo_f16 v17, v33, v73, 0 op_sel:[0,1,0] op_sel_hi:[0,1,0]
	;;#ASMSTART
	v_cvt_f32_f16 v81, v37;
	;;#ASMEND
	;;#ASMSTART
	v_cvt_f32_f16 v80, v36;
	;;#ASMEND
	v_fma_mixlo_f16 v16, v33, v16, 0 op_sel_hi:[0,1,0]
	v_fma_mixlo_f16 v21, v33, v21, 0 op_sel_hi:[0,1,0]
	v_and_b32_e32 v17, 0xffff, v17
	v_and_b32_e32 v24, 0xffff, v24
	s_delay_alu instid0(VALU_DEP_4)
	v_and_b32_e32 v16, 0xffff, v16
	;;#ASMSTART
	v_cvt_f32_f16 v83, v16;
	;;#ASMEND
	;;#ASMSTART
	v_cvt_f32_f16 v82, v17;
	;;#ASMEND
	ds_load_b128 v[100:103], v25 offset:96
	v_and_b32_e32 v21, 0xffff, v21
	s_wait_dscnt 0x0
	v_and_b32_e32 v16, 0xffff, v100
	v_lshrrev_b32_e32 v17, 16, v100
	;;#ASMSTART
	v_cvt_f32_f16 v16, v16;
	;;#ASMEND
	;;#ASMSTART
	v_cvt_f32_f16 v17, v17;
	;;#ASMEND
	;; [unrolled: 3-line block ×4, first 2 shown]
	v_pk_fma_f32 v[0:1], v[16:17], v[62:63], v[0:1]
	v_lshrrev_b32_e32 v16, 16, v101
	v_and_b32_e32 v17, 0xffff, v101
	;;#ASMSTART
	v_cvt_f32_f16 v63, v17;
	;;#ASMEND
	;;#ASMSTART
	v_cvt_f32_f16 v62, v16;
	;;#ASMEND
	v_dual_lshrrev_b32 v21, 16, v102 :: v_dual_bitop2_b32 v16, v77, v72 bitop3:0x54
	s_delay_alu instid0(VALU_DEP_2) | instskip(SKIP_2) | instid1(VALU_DEP_4)
	v_fma_mixlo_f16 v17, v33, v77, 0 op_sel:[0,1,0] op_sel_hi:[0,1,0]
	v_and_b32_e32 v24, 0xffff, v102
	v_lshrrev_b32_e32 v36, 16, v103
	v_fma_mixlo_f16 v16, v33, v16, 0 op_sel_hi:[0,1,0]
	v_and_b32_e32 v37, 0xffff, v103
	v_and_b32_e32 v17, 0xffff, v17
	s_delay_alu instid0(VALU_DEP_3)
	v_and_b32_e32 v16, 0xffff, v16
	;;#ASMSTART
	v_cvt_f32_f16 v73, v16;
	;;#ASMEND
	v_or_b32_e32 v16, v79, v96
	;;#ASMSTART
	v_cvt_f32_f16 v72, v17;
	;;#ASMEND
	v_fma_mixlo_f16 v17, v33, v79, 0 op_sel:[0,1,0] op_sel_hi:[0,1,0]
	;;#ASMSTART
	v_cvt_f32_f16 v101, v24;
	;;#ASMEND
	;;#ASMSTART
	v_cvt_f32_f16 v100, v21;
	;;#ASMEND
	v_fma_mixlo_f16 v16, v33, v16, 0 op_sel_hi:[0,1,0]
	v_or_b32_e32 v21, v38, v78
	v_and_b32_e32 v17, 0xffff, v17
	v_fma_mixlo_f16 v24, v33, v38, 0 op_sel:[0,1,0] op_sel_hi:[0,1,0]
	s_delay_alu instid0(VALU_DEP_4)
	v_and_b32_e32 v16, 0xffff, v16
	;;#ASMSTART
	v_cvt_f32_f16 v103, v16;
	;;#ASMEND
	v_or_b32_e32 v16, v89, v98
	;;#ASMSTART
	v_cvt_f32_f16 v102, v17;
	;;#ASMEND
	v_fma_mixlo_f16 v17, v33, v89, 0 op_sel:[0,1,0] op_sel_hi:[0,1,0]
	;;#ASMSTART
	v_cvt_f32_f16 v97, v37;
	;;#ASMEND
	;;#ASMSTART
	v_cvt_f32_f16 v96, v36;
	;;#ASMEND
	v_fma_mixlo_f16 v16, v33, v16, 0 op_sel_hi:[0,1,0]
	v_fma_mixlo_f16 v21, v33, v21, 0 op_sel_hi:[0,1,0]
	v_and_b32_e32 v17, 0xffff, v17
	v_and_b32_e32 v24, 0xffff, v24
	s_delay_alu instid0(VALU_DEP_4)
	v_and_b32_e32 v16, 0xffff, v16
	;;#ASMSTART
	v_cvt_f32_f16 v99, v16;
	;;#ASMEND
	;;#ASMSTART
	v_cvt_f32_f16 v98, v17;
	;;#ASMEND
	ds_load_b128 v[74:77], v25 offset:112
	v_and_b32_e32 v21, 0xffff, v21
	s_wait_dscnt 0x0
	v_and_b32_e32 v16, 0xffff, v74
	v_lshrrev_b32_e32 v17, 16, v74
	;;#ASMSTART
	v_cvt_f32_f16 v16, v16;
	;;#ASMEND
	;;#ASMSTART
	v_cvt_f32_f16 v17, v17;
	;;#ASMEND
	;; [unrolled: 3-line block ×4, first 2 shown]
	v_lshrrev_b32_e32 v21, 16, v75
	v_pk_fma_f32 v[0:1], v[16:17], v[78:79], v[0:1]
	v_and_b32_e32 v24, 0xffff, v75
	;;#ASMSTART
	v_cvt_f32_f16 v79, v24;
	;;#ASMEND
	;;#ASMSTART
	v_cvt_f32_f16 v78, v21;
	;;#ASMEND
	v_or_b32_e32 v21, v105, v88
	v_pk_fma_f32 v[16:17], v[116:117], v[118:119], v[50:51]
	v_fma_mixlo_f16 v24, v33, v105, 0 op_sel:[0,1,0] op_sel_hi:[0,1,0]
	v_lshrrev_b32_e32 v36, 16, v76
	v_and_b32_e32 v37, 0xffff, v76
	v_fma_mixlo_f16 v21, v33, v21, 0 op_sel_hi:[0,1,0]
	v_lshrrev_b32_e32 v38, 16, v77
	v_and_b32_e32 v24, 0xffff, v24
	v_and_b32_e32 v39, 0xffff, v77
	v_pk_fma_f32 v[16:17], v[46:47], v[56:57], v[16:17]
	v_and_b32_e32 v21, 0xffff, v21
	;;#ASMSTART
	v_cvt_f32_f16 v89, v21;
	;;#ASMEND
	v_or_b32_e32 v21, v40, v41
	;;#ASMSTART
	v_cvt_f32_f16 v88, v24;
	;;#ASMEND
	v_fma_mixlo_f16 v24, v33, v40, 0 op_sel:[0,1,0] op_sel_hi:[0,1,0]
	;;#ASMSTART
	v_cvt_f32_f16 v119, v37;
	;;#ASMEND
	;;#ASMSTART
	v_cvt_f32_f16 v118, v36;
	;;#ASMEND
	v_fma_mixlo_f16 v21, v33, v21, 0 op_sel_hi:[0,1,0]
	v_pk_fma_f32 v[16:17], v[90:91], v[92:93], v[16:17]
	v_and_b32_e32 v24, 0xffff, v24
	s_delay_alu instid0(VALU_DEP_3)
	v_and_b32_e32 v21, 0xffff, v21
	;;#ASMSTART
	v_cvt_f32_f16 v41, v21;
	;;#ASMEND
	v_or_b32_e32 v21, v104, v122
	;;#ASMSTART
	v_cvt_f32_f16 v40, v24;
	;;#ASMEND
	v_fma_mixlo_f16 v24, v33, v104, 0 op_sel:[0,1,0] op_sel_hi:[0,1,0]
	;;#ASMSTART
	v_cvt_f32_f16 v51, v39;
	;;#ASMEND
	;;#ASMSTART
	v_cvt_f32_f16 v50, v38;
	;;#ASMEND
	v_fma_mixlo_f16 v21, v33, v21, 0 op_sel_hi:[0,1,0]
	s_delay_alu instid0(VALU_DEP_2) | instskip(NEXT) | instid1(VALU_DEP_2)
	v_and_b32_e32 v24, 0xffff, v24
	v_and_b32_e32 v21, 0xffff, v21
	;;#ASMSTART
	v_cvt_f32_f16 v117, v21;
	;;#ASMEND
	;;#ASMSTART
	v_cvt_f32_f16 v116, v24;
	;;#ASMEND
	ds_load_b128 v[74:77], v25 offset:128
	s_wait_dscnt 0x0
	v_and_b32_e32 v21, 0xffff, v74
	;;#ASMSTART
	v_cvt_f32_f16 v104, v21;
	;;#ASMEND
	v_or_b32_e32 v21, v123, v58
	v_lshrrev_b32_e32 v24, 16, v74
	;;#ASMSTART
	v_cvt_f32_f16 v105, v24;
	;;#ASMEND
	v_lshrrev_b32_e32 v38, 16, v77
	v_and_b32_e32 v39, 0xffff, v77
	v_fma_mixlo_f16 v21, v33, v21, 0 op_sel_hi:[0,1,0]
	v_fma_mixlo_f16 v24, v33, v123, 0 op_sel:[0,1,0] op_sel_hi:[0,1,0]
	v_lshrrev_b32_e32 v36, 16, v76
	v_and_b32_e32 v37, 0xffff, v76
	s_delay_alu instid0(VALU_DEP_4) | instskip(NEXT) | instid1(VALU_DEP_4)
	v_and_b32_e32 v21, 0xffff, v21
	v_and_b32_e32 v24, 0xffff, v24
	;;#ASMSTART
	v_cvt_f32_f16 v122, v21;
	;;#ASMEND
	v_lshrrev_b32_e32 v21, 16, v75
	;;#ASMSTART
	v_cvt_f32_f16 v123, v24;
	;;#ASMEND
	v_and_b32_e32 v24, 0xffff, v75
	;;#ASMSTART
	v_cvt_f32_f16 v75, v24;
	;;#ASMEND
	;;#ASMSTART
	v_cvt_f32_f16 v74, v21;
	;;#ASMEND
	v_or_b32_e32 v21, v59, v60
	v_pk_fma_f32 v[0:1], v[104:105], v[122:123], v[0:1]
	v_fma_mixlo_f16 v24, v33, v59, 0 op_sel:[0,1,0] op_sel_hi:[0,1,0]
	s_delay_alu instid0(VALU_DEP_3) | instskip(NEXT) | instid1(VALU_DEP_2)
	v_fma_mixlo_f16 v21, v33, v21, 0 op_sel_hi:[0,1,0]
	v_and_b32_e32 v24, 0xffff, v24
	s_delay_alu instid0(VALU_DEP_2)
	v_and_b32_e32 v21, 0xffff, v21
	;;#ASMSTART
	v_cvt_f32_f16 v77, v21;
	;;#ASMEND
	v_or_b32_e32 v21, v107, v61
	;;#ASMSTART
	v_cvt_f32_f16 v76, v24;
	;;#ASMEND
	v_fma_mixlo_f16 v24, v33, v107, 0 op_sel:[0,1,0] op_sel_hi:[0,1,0]
	;;#ASMSTART
	v_cvt_f32_f16 v59, v37;
	;;#ASMEND
	;;#ASMSTART
	v_cvt_f32_f16 v58, v36;
	;;#ASMEND
	v_fma_mixlo_f16 v21, v33, v21, 0 op_sel_hi:[0,1,0]
	s_delay_alu instid0(VALU_DEP_2) | instskip(NEXT) | instid1(VALU_DEP_2)
	v_and_b32_e32 v24, 0xffff, v24
	v_and_b32_e32 v21, 0xffff, v21
	;;#ASMSTART
	v_cvt_f32_f16 v61, v21;
	;;#ASMEND
	v_or_b32_e32 v21, v106, v95
	;;#ASMSTART
	v_cvt_f32_f16 v60, v24;
	;;#ASMEND
	v_fma_mixlo_f16 v24, v33, v106, 0 op_sel:[0,1,0] op_sel_hi:[0,1,0]
	;;#ASMSTART
	v_cvt_f32_f16 v47, v39;
	;;#ASMEND
	;;#ASMSTART
	v_cvt_f32_f16 v46, v38;
	;;#ASMEND
	v_fma_mixlo_f16 v21, v33, v21, 0 op_sel_hi:[0,1,0]
	s_delay_alu instid0(VALU_DEP_2) | instskip(NEXT) | instid1(VALU_DEP_2)
	v_and_b32_e32 v24, 0xffff, v24
	v_and_b32_e32 v21, 0xffff, v21
	;;#ASMSTART
	v_cvt_f32_f16 v57, v21;
	;;#ASMEND
	;;#ASMSTART
	v_cvt_f32_f16 v56, v24;
	;;#ASMEND
	ds_load_b128 v[104:107], v25 offset:144
	s_wait_dscnt 0x0
	v_and_b32_e32 v21, 0xffff, v104
	;;#ASMSTART
	v_cvt_f32_f16 v122, v21;
	;;#ASMEND
	v_or_b32_e32 v21, v94, v124
	v_lshrrev_b32_e32 v24, 16, v104
	;;#ASMSTART
	v_cvt_f32_f16 v123, v24;
	;;#ASMEND
	v_lshrrev_b32_e32 v36, 16, v106
	v_and_b32_e32 v37, 0xffff, v106
	v_fma_mixlo_f16 v21, v33, v21, 0 op_sel_hi:[0,1,0]
	v_fma_mixlo_f16 v24, v33, v94, 0 op_sel:[0,1,0] op_sel_hi:[0,1,0]
	v_lshrrev_b32_e32 v38, 16, v107
	v_and_b32_e32 v39, 0xffff, v107
	s_delay_alu instid0(VALU_DEP_4) | instskip(NEXT) | instid1(VALU_DEP_4)
	v_and_b32_e32 v21, 0xffff, v21
	v_and_b32_e32 v24, 0xffff, v24
	;;#ASMSTART
	v_cvt_f32_f16 v94, v21;
	;;#ASMEND
	v_lshrrev_b32_e32 v21, 16, v105
	;;#ASMSTART
	v_cvt_f32_f16 v95, v24;
	;;#ASMEND
	v_and_b32_e32 v24, 0xffff, v105
	;;#ASMSTART
	v_cvt_f32_f16 v107, v24;
	;;#ASMEND
	;;#ASMSTART
	v_cvt_f32_f16 v106, v21;
	;;#ASMEND
	v_or_b32_e32 v21, v110, v111
	v_pk_fma_f32 v[0:1], v[122:123], v[94:95], v[0:1]
	v_fma_mixlo_f16 v24, v33, v110, 0 op_sel:[0,1,0] op_sel_hi:[0,1,0]
	s_delay_alu instid0(VALU_DEP_3) | instskip(NEXT) | instid1(VALU_DEP_2)
	v_fma_mixlo_f16 v21, v33, v21, 0 op_sel_hi:[0,1,0]
	v_and_b32_e32 v24, 0xffff, v24
	s_delay_alu instid0(VALU_DEP_2)
	v_and_b32_e32 v21, 0xffff, v21
	;;#ASMSTART
	v_cvt_f32_f16 v111, v21;
	;;#ASMEND
	v_or_b32_e32 v21, v11, v125
	v_fma_mixlo_f16 v11, v33, v11, 0 op_sel:[0,1,0] op_sel_hi:[0,1,0]
	;;#ASMSTART
	v_cvt_f32_f16 v110, v24;
	;;#ASMEND
	;;#ASMSTART
	v_cvt_f32_f16 v95, v37;
	;;#ASMEND
	;; [unrolled: 3-line block ×3, first 2 shown]
	v_fma_mixlo_f16 v21, v33, v21, 0 op_sel_hi:[0,1,0]
	v_and_b32_e32 v11, 0xffff, v11
	v_fma_mixlo_f16 v24, v33, v28, 0 op_sel:[0,1,0] op_sel_hi:[0,1,0]
	s_delay_alu instid0(VALU_DEP_3)
	v_and_b32_e32 v21, 0xffff, v21
	;;#ASMSTART
	v_cvt_f32_f16 v105, v21;
	;;#ASMEND
	;;#ASMSTART
	v_cvt_f32_f16 v104, v11;
	;;#ASMEND
	v_or_b32_e32 v11, v10, v127
	v_fma_mixlo_f16 v10, v33, v10, 0 op_sel:[0,1,0] op_sel_hi:[0,1,0]
	;;#ASMSTART
	v_cvt_f32_f16 v91, v39;
	;;#ASMEND
	;;#ASMSTART
	v_cvt_f32_f16 v90, v38;
	;;#ASMEND
	v_or_b32_e32 v21, v28, v126
	v_fma_mixlo_f16 v11, v33, v11, 0 op_sel_hi:[0,1,0]
	v_and_b32_e32 v10, 0xffff, v10
	v_and_b32_e32 v24, 0xffff, v24
	s_delay_alu instid0(VALU_DEP_4) | instskip(NEXT) | instid1(VALU_DEP_4)
	v_fma_mixlo_f16 v21, v33, v21, 0 op_sel_hi:[0,1,0]
	v_and_b32_e32 v11, 0xffff, v11
	;;#ASMSTART
	v_cvt_f32_f16 v93, v11;
	;;#ASMEND
	;;#ASMSTART
	v_cvt_f32_f16 v92, v10;
	;;#ASMEND
	ds_load_b128 v[122:125], v25 offset:160
	v_and_b32_e32 v21, 0xffff, v21
	s_wait_dscnt 0x0
	v_and_b32_e32 v10, 0xffff, v122
	v_lshrrev_b32_e32 v11, 16, v122
	;;#ASMSTART
	v_cvt_f32_f16 v10, v10;
	;;#ASMEND
	;;#ASMSTART
	v_cvt_f32_f16 v11, v11;
	;;#ASMEND
	;;#ASMSTART
	v_cvt_f32_f16 v126, v21;
	;;#ASMEND
	;;#ASMSTART
	v_cvt_f32_f16 v127, v24;
	;;#ASMEND
	v_lshrrev_b32_e32 v21, 16, v123
	v_and_b32_e32 v24, 0xffff, v123
	v_pk_fma_f32 v[0:1], v[10:11], v[126:127], v[0:1]
	v_pk_fma_f32 v[10:11], v[108:109], v[120:121], v[16:17]
	;;#ASMSTART
	v_cvt_f32_f16 v121, v24;
	;;#ASMEND
	;;#ASMSTART
	v_cvt_f32_f16 v120, v21;
	;;#ASMEND
	v_or_b32_e32 v21, v29, v20
	v_fma_mixlo_f16 v24, v33, v29, 0 op_sel:[0,1,0] op_sel_hi:[0,1,0]
	v_pk_fma_f32 v[16:17], v[42:43], v[44:45], v[48:49]
	v_lshrrev_b32_e32 v36, 16, v124
	v_and_b32_e32 v37, 0xffff, v124
	v_fma_mixlo_f16 v21, v33, v21, 0 op_sel_hi:[0,1,0]
	v_and_b32_e32 v24, 0xffff, v24
	v_lshrrev_b32_e32 v38, 16, v125
	v_and_b32_e32 v39, 0xffff, v125
	v_pk_fma_f32 v[10:11], v[62:63], v[72:73], v[10:11]
	v_and_b32_e32 v21, 0xffff, v21
	;;#ASMSTART
	v_cvt_f32_f16 v123, v21;
	;;#ASMEND
	;;#ASMSTART
	v_cvt_f32_f16 v122, v24;
	;;#ASMEND
	;; [unrolled: 3-line block ×4, first 2 shown]
	s_clause 0x1
	scratch_load_b32 v20, off, s32 offset:276 th:TH_LOAD_LU
	scratch_load_b32 v24, off, s32 offset:284 th:TH_LOAD_LU
	v_pk_fma_f32 v[36:37], v[78:79], v[88:89], v[10:11]
	s_delay_alu instid0(VALU_DEP_1) | instskip(SKIP_3) | instid1(VALU_DEP_2)
	v_pk_fma_f32 v[36:37], v[74:75], v[76:77], v[36:37]
	s_wait_loadcnt 0x0
	v_or_b32_e32 v21, v24, v20
	v_fma_mixlo_f16 v20, v33, v24, 0 op_sel:[0,1,0] op_sel_hi:[0,1,0]
	v_fma_mixlo_f16 v21, v33, v21, 0 op_sel_hi:[0,1,0]
	s_delay_alu instid0(VALU_DEP_2) | instskip(NEXT) | instid1(VALU_DEP_2)
	v_and_b32_e32 v20, 0xffff, v20
	v_and_b32_e32 v21, 0xffff, v21
	;;#ASMSTART
	v_cvt_f32_f16 v109, v21;
	;;#ASMEND
	;;#ASMSTART
	v_cvt_f32_f16 v108, v20;
	;;#ASMEND
	;; [unrolled: 3-line block ×4, first 2 shown]
	s_clause 0x1
	scratch_load_b32 v20, off, s32 offset:280 th:TH_LOAD_LU
	scratch_load_b32 v21, off, s32 offset:292 th:TH_LOAD_LU
	s_wait_loadcnt 0x0
	v_or_b32_e32 v20, v21, v20
	v_fma_mixlo_f16 v21, v33, v21, 0 op_sel:[0,1,0] op_sel_hi:[0,1,0]
	s_delay_alu instid0(VALU_DEP_2) | instskip(NEXT) | instid1(VALU_DEP_2)
	v_fma_mixlo_f16 v20, v33, v20, 0 op_sel_hi:[0,1,0]
	v_and_b32_e32 v21, 0xffff, v21
	s_delay_alu instid0(VALU_DEP_2)
	v_and_b32_e32 v20, 0xffff, v20
	;;#ASMSTART
	v_cvt_f32_f16 v43, v20;
	;;#ASMEND
	;;#ASMSTART
	v_cvt_f32_f16 v42, v21;
	;;#ASMEND
	ds_load_b128 v[124:127], v25 offset:176
	s_wait_dscnt 0x0
	v_and_b32_e32 v20, 0xffff, v124
	v_lshrrev_b32_e32 v21, 16, v124
	;;#ASMSTART
	v_cvt_f32_f16 v28, v20;
	;;#ASMEND
	;;#ASMSTART
	v_cvt_f32_f16 v29, v21;
	;;#ASMEND
	scratch_load_b32 v20, off, s32 offset:288 th:TH_LOAD_LU ; 4-byte Folded Reload
	v_and_b32_e32 v24, 0xffff, v126
	s_wait_loadcnt 0x0
	v_or_b32_e32 v20, v15, v20
	v_fma_mixlo_f16 v15, v33, v15, 0 op_sel:[0,1,0] op_sel_hi:[0,1,0]
	s_delay_alu instid0(VALU_DEP_2) | instskip(NEXT) | instid1(VALU_DEP_2)
	v_fma_mixlo_f16 v20, v33, v20, 0 op_sel_hi:[0,1,0]
	v_and_b32_e32 v15, 0xffff, v15
	s_delay_alu instid0(VALU_DEP_2) | instskip(SKIP_3) | instid1(VALU_DEP_2)
	v_and_b32_e32 v20, 0xffff, v20
	;;#ASMSTART
	v_cvt_f32_f16 v20, v20;
	;;#ASMEND
	;;#ASMSTART
	v_cvt_f32_f16 v21, v15;
	;;#ASMEND
	v_lshrrev_b32_e32 v15, 16, v125
	v_pk_fma_f32 v[0:1], v[28:29], v[20:21], v[0:1]
	v_pk_fma_f32 v[20:21], v[112:113], v[114:115], v[16:17]
	v_and_b32_e32 v16, 0xffff, v125
	;;#ASMSTART
	v_cvt_f32_f16 v125, v16;
	;;#ASMEND
	;;#ASMSTART
	v_cvt_f32_f16 v124, v15;
	;;#ASMEND
	scratch_load_b32 v15, off, s32 offset:296 th:TH_LOAD_LU ; 4-byte Folded Reload
	v_dual_lshrrev_b32 v17, 16, v126 :: v_dual_lshrrev_b32 v28, 16, v127
	v_and_b32_e32 v29, 0xffff, v127
	v_pk_fma_f32 v[20:21], v[2:3], v[4:5], v[20:21]
	s_delay_alu instid0(VALU_DEP_1) | instskip(SKIP_3) | instid1(VALU_DEP_2)
	v_pk_fma_f32 v[20:21], v[84:85], v[86:87], v[20:21]
	s_wait_loadcnt 0x0
	v_or_b32_e32 v15, v9, v15
	v_fma_mixlo_f16 v9, v33, v9, 0 op_sel:[0,1,0] op_sel_hi:[0,1,0]
	v_fma_mixlo_f16 v15, v33, v15, 0 op_sel_hi:[0,1,0]
	s_delay_alu instid0(VALU_DEP_2) | instskip(NEXT) | instid1(VALU_DEP_2)
	v_and_b32_e32 v9, 0xffff, v9
	v_and_b32_e32 v15, 0xffff, v15
	;;#ASMSTART
	v_cvt_f32_f16 v127, v15;
	;;#ASMEND
	;;#ASMSTART
	v_cvt_f32_f16 v126, v9;
	;;#ASMEND
	;; [unrolled: 3-line block ×4, first 2 shown]
	scratch_load_b32 v9, off, s32 offset:300 th:TH_LOAD_LU ; 4-byte Folded Reload
	v_fma_mixlo_f16 v15, v33, v27, 0 op_sel:[0,1,0] op_sel_hi:[0,1,0]
	s_delay_alu instid0(VALU_DEP_1) | instskip(SKIP_2) | instid1(VALU_DEP_1)
	v_and_b32_e32 v15, 0xffff, v15
	s_wait_loadcnt 0x0
	v_or_b32_e32 v9, v27, v9
	v_fma_mixlo_f16 v9, v33, v9, 0 op_sel_hi:[0,1,0]
	s_delay_alu instid0(VALU_DEP_1)
	v_and_b32_e32 v9, 0xffff, v9
	;;#ASMSTART
	v_cvt_f32_f16 v73, v9;
	;;#ASMEND
	;;#ASMSTART
	v_cvt_f32_f16 v72, v15;
	;;#ASMEND
	;; [unrolled: 3-line block ×4, first 2 shown]
	scratch_load_b32 v9, off, s32 offset:236 th:TH_LOAD_LU ; 4-byte Folded Reload
	s_wait_loadcnt 0x0
	v_or_b32_e32 v9, v14, v9
	v_fma_mixlo_f16 v14, v33, v14, 0 op_sel:[0,1,0] op_sel_hi:[0,1,0]
	s_delay_alu instid0(VALU_DEP_2) | instskip(NEXT) | instid1(VALU_DEP_2)
	v_fma_mixlo_f16 v9, v33, v9, 0 op_sel_hi:[0,1,0]
	v_and_b32_e32 v14, 0xffff, v14
	s_delay_alu instid0(VALU_DEP_2)
	v_and_b32_e32 v9, 0xffff, v9
	;;#ASMSTART
	v_cvt_f32_f16 v115, v9;
	;;#ASMEND
	;;#ASMSTART
	v_cvt_f32_f16 v114, v14;
	;;#ASMEND
	ds_load_b128 v[14:17], v25 offset:192
	s_wait_dscnt 0x0
	v_and_b32_e32 v9, 0xffff, v14
	v_lshrrev_b32_e32 v14, 16, v14
	;;#ASMSTART
	v_cvt_f32_f16 v28, v9;
	;;#ASMEND
	;;#ASMSTART
	v_cvt_f32_f16 v29, v14;
	;;#ASMEND
	scratch_load_b32 v9, off, s32 offset:240 th:TH_LOAD_LU ; 4-byte Folded Reload
	v_lshrrev_b32_e32 v2, 16, v16
	v_fma_mixlo_f16 v14, v33, v22, 0 op_sel:[0,1,0] op_sel_hi:[0,1,0]
	v_and_b32_e32 v3, 0xffff, v16
	v_lshrrev_b32_e32 v4, 16, v17
	v_and_b32_e32 v5, 0xffff, v17
	s_delay_alu instid0(VALU_DEP_4) | instskip(SKIP_3) | instid1(VALU_DEP_2)
	v_and_b32_e32 v14, 0xffff, v14
	s_wait_loadcnt 0x0
	v_or_b32_e32 v9, v22, v9
	v_fma_mixlo_f16 v22, v33, v35, 0 op_sel:[0,1,0] op_sel_hi:[0,1,0]
	v_fma_mixlo_f16 v9, v33, v9, 0 op_sel_hi:[0,1,0]
	s_delay_alu instid0(VALU_DEP_1)
	v_and_b32_e32 v9, 0xffff, v9
	;;#ASMSTART
	v_cvt_f32_f16 v38, v9;
	;;#ASMEND
	;;#ASMSTART
	v_cvt_f32_f16 v39, v14;
	;;#ASMEND
	v_pk_fma_f32 v[38:39], v[28:29], v[38:39], v[0:1]
	v_lshrrev_b32_e32 v0, 16, v15
	v_and_b32_e32 v1, 0xffff, v15
	;;#ASMSTART
	v_cvt_f32_f16 v29, v1;
	;;#ASMEND
	;;#ASMSTART
	v_cvt_f32_f16 v28, v0;
	;;#ASMEND
	scratch_load_b32 v0, off, s32 offset:244 th:TH_LOAD_LU ; 4-byte Folded Reload
	v_or_b32_e32 v9, v8, v23
	v_fma_mixlo_f16 v1, v33, v26, 0 op_sel:[0,1,0] op_sel_hi:[0,1,0]
	v_fma_mixlo_f16 v23, v33, v19, 0 op_sel:[0,1,0] op_sel_hi:[0,1,0]
	s_delay_alu instid0(VALU_DEP_2) | instskip(SKIP_2) | instid1(VALU_DEP_1)
	v_and_b32_e32 v1, 0xffff, v1
	s_wait_loadcnt 0x0
	v_or_b32_e32 v0, v26, v0
	v_fma_mixlo_f16 v0, v33, v0, 0 op_sel_hi:[0,1,0]
	s_delay_alu instid0(VALU_DEP_1)
	v_and_b32_e32 v0, 0xffff, v0
	;;#ASMSTART
	v_cvt_f32_f16 v27, v0;
	;;#ASMEND
	;;#ASMSTART
	v_cvt_f32_f16 v26, v1;
	;;#ASMEND
	;; [unrolled: 3-line block ×4, first 2 shown]
	scratch_load_b32 v0, off, s32 offset:248 th:TH_LOAD_LU ; 4-byte Folded Reload
	v_fma_mixlo_f16 v1, v33, v6, 0 op_sel:[0,1,0] op_sel_hi:[0,1,0]
	v_fma_mixlo_f16 v3, v33, v13, 0 op_sel:[0,1,0] op_sel_hi:[0,1,0]
	s_delay_alu instid0(VALU_DEP_2) | instskip(NEXT) | instid1(VALU_DEP_2)
	v_and_b32_e32 v2, 0xffff, v1
	v_and_b32_e32 v3, 0xffff, v3
	s_wait_loadcnt 0x0
	v_or_b32_e32 v0, v6, v0
	s_delay_alu instid0(VALU_DEP_1) | instskip(NEXT) | instid1(VALU_DEP_1)
	v_fma_mixlo_f16 v0, v33, v0, 0 op_sel_hi:[0,1,0]
	v_and_b32_e32 v0, 0xffff, v0
	;;#ASMSTART
	v_cvt_f32_f16 v1, v0;
	;;#ASMEND
	;;#ASMSTART
	v_cvt_f32_f16 v0, v2;
	;;#ASMEND
	;; [unrolled: 3-line block ×4, first 2 shown]
	scratch_load_b32 v2, off, s32 offset:304 th:TH_LOAD_LU ; 4-byte Folded Reload
	s_wait_loadcnt 0x0
	v_or_b32_e32 v2, v13, v2
	s_delay_alu instid0(VALU_DEP_1) | instskip(NEXT) | instid1(VALU_DEP_1)
	v_fma_mixlo_f16 v2, v33, v2, 0 op_sel_hi:[0,1,0]
	v_and_b32_e32 v2, 0xffff, v2
	;;#ASMSTART
	v_cvt_f32_f16 v15, v2;
	;;#ASMEND
	;;#ASMSTART
	v_cvt_f32_f16 v14, v3;
	;;#ASMEND
	ds_load_b128 v[2:5], v25 offset:208
	s_wait_dscnt 0x0
	v_and_b32_e32 v6, 0xffff, v2
	v_lshrrev_b32_e32 v2, 16, v2
	;;#ASMSTART
	v_cvt_f32_f16 v10, v6;
	;;#ASMEND
	;;#ASMSTART
	v_cvt_f32_f16 v11, v2;
	;;#ASMEND
	scratch_load_b32 v2, off, s32 offset:308 th:TH_LOAD_LU ; 4-byte Folded Reload
	v_fma_mixlo_f16 v6, v33, v34, 0 op_sel:[0,1,0] op_sel_hi:[0,1,0]
	s_delay_alu instid0(VALU_DEP_1) | instskip(SKIP_2) | instid1(VALU_DEP_1)
	v_and_b32_e32 v6, 0xffff, v6
	s_wait_loadcnt 0x0
	v_dual_lshrrev_b32 v34, 16, v3 :: v_dual_bitop2_b32 v2, v34, v2 bitop3:0x54
	v_fma_mixlo_f16 v2, v33, v2, 0 op_sel_hi:[0,1,0]
	s_delay_alu instid0(VALU_DEP_1)
	v_and_b32_e32 v2, 0xffff, v2
	;;#ASMSTART
	v_cvt_f32_f16 v16, v2;
	;;#ASMEND
	;;#ASMSTART
	v_cvt_f32_f16 v17, v6;
	;;#ASMEND
	v_pk_fma_f32 v[10:11], v[10:11], v[16:17], v[38:39]
	s_clause 0x1
	scratch_load_b64 v[16:17], off, s32 offset:312 th:TH_LOAD_LU
	scratch_load_b32 v2, off, s32 offset:348
	v_or_b32_e32 v6, v35, v18
	v_and_b32_e32 v18, 0xffff, v3
	s_delay_alu instid0(VALU_DEP_2) | instskip(NEXT) | instid1(VALU_DEP_1)
	v_fma_mixlo_f16 v6, v33, v6, 0 op_sel_hi:[0,1,0]
	v_and_b32_e32 v6, 0xffff, v6
	s_wait_loadcnt 0x1
	v_pk_fma_f32 v[16:17], v[52:53], v[54:55], v[16:17]
	s_wait_loadcnt 0x0
	v_add_nc_u32_e32 v2, v2, v32
	s_delay_alu instid0(VALU_DEP_1) | instskip(SKIP_4) | instid1(VALU_DEP_2)
	v_cvt_f32_i32_e32 v13, v2
	v_or_b32_e32 v2, v19, v30
	v_fma_mixlo_f16 v30, v33, v9, 0 op_sel_hi:[0,1,0]
	;;#ASMSTART
	v_cvt_f32_f16 v19, v18;
	;;#ASMEND
	;;#ASMSTART
	v_cvt_f32_f16 v18, v34;
	;;#ASMEND
	v_fma_mixlo_f16 v24, v33, v2, 0 op_sel_hi:[0,1,0]
	v_fma_mixlo_f16 v33, v33, v8, 0 op_sel:[0,1,0] op_sel_hi:[0,1,0]
	v_pk_fma_f32 v[8:9], v[64:65], v[66:67], v[16:17]
	v_pk_fma_f32 v[16:17], v[100:101], v[102:103], v[20:21]
	;; [unrolled: 1-line block ×3, first 2 shown]
	v_and_b32_e32 v20, 0xffff, v22
	;;#ASMSTART
	v_cvt_f32_f16 v21, v6;
	;;#ASMEND
	v_pk_fma_f32 v[8:9], v[68:69], v[70:71], v[8:9]
	v_pk_fma_f32 v[16:17], v[118:119], v[40:41], v[16:17]
	;; [unrolled: 1-line block ×3, first 2 shown]
	v_and_b32_e32 v6, 0xffff, v4
	v_lshrrev_b32_e32 v4, 16, v4
	v_pk_fma_f32 v[8:9], v[80:81], v[82:83], v[8:9]
	v_pk_fma_f32 v[16:17], v[58:59], v[60:61], v[16:17]
	v_pk_fma_f32 v[2:3], v[124:125], v[126:127], v[2:3]
	;;#ASMSTART
	v_cvt_f32_f16 v20, v20;
	;;#ASMEND
	s_delay_alu instid0(VALU_DEP_3) | instskip(NEXT) | instid1(VALU_DEP_3)
	v_pk_fma_f32 v[8:9], v[96:97], v[98:99], v[8:9]
	v_pk_fma_f32 v[16:17], v[94:95], v[104:105], v[16:17]
	s_delay_alu instid0(VALU_DEP_3) | instskip(NEXT) | instid1(VALU_DEP_3)
	v_pk_fma_f32 v[2:3], v[28:29], v[26:27], v[2:3]
	v_pk_fma_f32 v[8:9], v[50:51], v[116:117], v[8:9]
	;; [unrolled: 3-line block ×3, first 2 shown]
	;;#ASMSTART
	v_cvt_f32_f16 v19, v6;
	;;#ASMEND
	;;#ASMSTART
	v_cvt_f32_f16 v18, v4;
	;;#ASMEND
	v_pk_fma_f32 v[8:9], v[46:47], v[56:57], v[8:9]
	v_pk_fma_f32 v[16:17], v[62:63], v[72:73], v[16:17]
	v_add_f32_e32 v4, v10, v11
	v_and_b32_e32 v6, 0xffff, v24
	v_and_b32_e32 v20, 0xffff, v23
	v_pk_fma_f32 v[8:9], v[90:91], v[92:93], v[8:9]
	v_pk_fma_f32 v[0:1], v[88:89], v[0:1], v[16:17]
	v_add_f32_e32 v3, v4, v3
	;;#ASMSTART
	v_cvt_f32_f16 v11, v6;
	;;#ASMEND
	;;#ASMSTART
	v_cvt_f32_f16 v10, v20;
	;;#ASMEND
	v_pk_fma_f32 v[8:9], v[48:49], v[42:43], v[8:9]
	v_and_b32_e32 v6, 0xffff, v5
	v_pk_fma_f32 v[0:1], v[18:19], v[10:11], v[0:1]
	v_dual_lshrrev_b32 v10, 16, v5 :: v_dual_add_f32 v2, v2, v3
	s_delay_alu instid0(VALU_DEP_4)
	v_pk_fma_f32 v[4:5], v[112:113], v[114:115], v[8:9]
	;;#ASMSTART
	v_cvt_f32_f16 v3, v6;
	;;#ASMEND
	v_and_b32_e32 v8, 0xffff, v33
	v_and_b32_e32 v6, 0xffff, v30
	v_add_f32_e32 v1, v2, v1
	v_pk_fma_f32 v[4:5], v[78:79], v[14:15], v[4:5]
	;;#ASMSTART
	v_cvt_f32_f16 v2, v10;
	;;#ASMEND
	;;#ASMSTART
	v_cvt_f32_f16 v9, v6;
	;;#ASMEND
	;; [unrolled: 3-line block ×3, first 2 shown]
	v_add_f32_e32 v0, v0, v1
	v_pk_fma_f32 v[2:3], v[2:3], v[8:9], v[4:5]
	s_clause 0x1
	scratch_load_b32 v1, off, s32 offset:324
	scratch_load_b32 v21, off, s32 offset:272 th:TH_LOAD_LU
	v_add_f32_e32 v0, v0, v3
	scratch_load_b32 v3, off, s32 offset:336 ; 4-byte Folded Reload
	v_add_f32_e32 v0, v2, v0
	scratch_load_b32 v2, off, s32 offset:320 ; 4-byte Folded Reload
	s_wait_loadcnt 0x3
	v_mul_f32_e32 v1, v1, v13
	s_wait_loadcnt 0x0
	s_delay_alu instid0(VALU_DEP_1) | instskip(NEXT) | instid1(VALU_DEP_1)
	v_dual_cndmask_b32 v1, 0, v1 :: v_dual_add_nc_u32 v2, v2, v32
	v_cmp_lt_i32_e64 s1, v2, v12
	s_wait_kmcnt 0x0
	s_delay_alu instid0(VALU_DEP_2) | instskip(SKIP_1) | instid1(VALU_DEP_1)
	v_dual_fmac_f32 v1, v3, v0 :: v_dual_add_nc_u32 v2, s16, v7
	v_max_num_f32_e32 v0, v21, v21
	v_dual_max_num_f32 v0, v0, v1 :: v_dual_cndmask_b32 v1, 0, v1, s1
	s_delay_alu instid0(VALU_DEP_1)
	v_cndmask_b32_e64 v21, v21, v0, s1
	ds_store_b32 v2, v1
.LBB279_14:                             ;   in Loop: Header=BB279_15 Depth=1
	s_wait_xcnt 0x0
	s_or_b32 exec_lo, exec_lo, s2
	scratch_load_b32 v0, off, s32 offset:208 ; 4-byte Folded Reload
	v_add_nc_u32_e32 v31, 4, v31
	v_add_nc_u32_e32 v32, 0x80, v32
	;; [unrolled: 1-line block ×3, first 2 shown]
	s_wait_loadcnt 0x0
	s_delay_alu instid0(VALU_DEP_3)
	v_cmp_ge_i32_e64 s1, v31, v0
	scratch_load_b64 v[0:1], off, s32 offset:200 ; 8-byte Folded Reload
	s_or_b32 s15, s1, s15
	s_wait_loadcnt 0x0
	v_add_nc_u64_e32 v[0:1], 16, v[0:1]
	scratch_store_b64 off, v[0:1], s32 offset:200 ; 8-byte Folded Spill
	s_wait_xcnt 0x0
	s_and_not1_b32 exec_lo, exec_lo, s15
	s_cbranch_execz .LBB279_911
.LBB279_15:                             ; =>This Inner Loop Header: Depth=1
	s_clause 0x1
	scratch_load_b64 v[0:1], off, s32 offset:216
	scratch_load_b32 v4, off, s32 offset:212
	v_mov_b32_e32 v33, v25
	s_wait_loadcnt 0x1
	s_delay_alu instid0(VALU_DEP_1) | instskip(SKIP_1) | instid1(VALU_DEP_1)
	v_mul_u64_e32 v[0:1], v[32:33], v[0:1]
	s_wait_loadcnt 0x0
	v_mul_lo_u32 v0, v1, v4
	s_delay_alu instid0(VALU_DEP_1) | instskip(NEXT) | instid1(VALU_DEP_1)
	v_dual_sub_nc_u32 v0, v32, v0 :: v_dual_add_nc_u32 v2, 1, v1
	v_sub_nc_u32_e32 v3, v0, v4
	v_cmp_ge_u32_e64 s1, v0, v4
	s_delay_alu instid0(VALU_DEP_1) | instskip(NEXT) | instid1(VALU_DEP_1)
	v_dual_cndmask_b32 v1, v1, v2, s1 :: v_dual_cndmask_b32 v0, v0, v3, s1
	v_add_nc_u32_e32 v2, 1, v1
	s_delay_alu instid0(VALU_DEP_2)
	v_cmp_ge_u32_e64 s1, v0, v4
	scratch_load_b32 v4, off, s32 offset:260 ; 4-byte Folded Reload
	v_cndmask_b32_e64 v0, v1, v2, s1
	scratch_load_b32 v1, off, s32 offset:224 ; 4-byte Folded Reload
	s_wait_loadcnt 0x0
	v_xor_b32_e32 v0, v0, v1
	s_delay_alu instid0(VALU_DEP_1) | instskip(SKIP_3) | instid1(VALU_DEP_1)
	v_sub_nc_u32_e32 v2, v0, v1
	scratch_load_b32 v0, off, s32 offset:228 ; 4-byte Folded Reload
	s_wait_loadcnt 0x0
	v_add_nc_u32_e32 v3, v2, v0
	v_sub_nc_u32_e32 v0, 0, v3
	s_delay_alu instid0(VALU_DEP_1) | instskip(SKIP_3) | instid1(VALU_DEP_1)
	v_max_i32_e32 v24, v3, v0
	scratch_load_b64 v[0:1], off, s32 offset:264 ; 8-byte Folded Reload
	s_wait_loadcnt 0x0
	v_mul_u64_e32 v[0:1], v[24:25], v[0:1]
	v_mul_lo_u32 v0, v1, v4
	s_delay_alu instid0(VALU_DEP_1) | instskip(NEXT) | instid1(VALU_DEP_1)
	v_dual_sub_nc_u32 v0, v24, v0 :: v_dual_ashrrev_i32 v3, 31, v3
	v_sub_nc_u32_e32 v1, v0, v4
	v_cmp_ge_u32_e64 s1, v0, v4
	s_delay_alu instid0(VALU_DEP_1) | instskip(NEXT) | instid1(VALU_DEP_1)
	v_cndmask_b32_e64 v0, v0, v1, s1
	v_sub_nc_u32_e32 v1, v0, v4
	v_cmp_ge_u32_e64 s1, v0, v4
	s_delay_alu instid0(VALU_DEP_1) | instskip(NEXT) | instid1(VALU_DEP_1)
	v_cndmask_b32_e64 v0, v0, v1, s1
	v_xor_b32_e32 v0, v0, v3
	s_delay_alu instid0(VALU_DEP_1) | instskip(NEXT) | instid1(VALU_DEP_1)
	v_sub_nc_u32_e32 v0, v0, v3
	v_cmp_ne_u32_e64 s1, 0, v0
	scratch_load_b32 v0, off, s32 offset:232 ; 4-byte Folded Reload
	s_wait_loadcnt 0x0
	v_cmp_le_i32_e64 s2, v2, v0
	s_and_b32 s1, s1, s2
	s_wait_xcnt 0x0
	s_and_saveexec_b32 s2, s1
	s_delay_alu instid0(SALU_CYCLE_1)
	s_xor_b32 s1, exec_lo, s2
	s_cbranch_execz .LBB279_17
; %bb.16:                               ;   in Loop: Header=BB279_15 Depth=1
	s_wait_kmcnt 0x0
	v_dual_mov_b32 v1, 0xff7fffff :: v_dual_add_nc_u32 v0, s14, v7
	ds_store_b32 v0, v1
.LBB279_17:                             ;   in Loop: Header=BB279_15 Depth=1
	s_and_not1_saveexec_b32 s2, s1
	s_cbranch_execz .LBB279_14
; %bb.18:                               ;   in Loop: Header=BB279_15 Depth=1
	scratch_load_b64 v[0:1], off, s32 offset:200 ; 8-byte Folded Reload
	s_mov_b32 s16, exec_lo
	s_wait_loadcnt 0x0
	flat_load_b32 v0, v[0:1]
	s_clause 0x1
	scratch_load_b64 v[2:3], off, s32 offset:252
	scratch_load_b64 v[4:5], off, s32 offset:340
	v_mov_b32_e32 v50, 0
	s_wait_loadcnt_dscnt 0x0
	v_mad_nc_i64_i32 v[2:3], v0, v2, v[4:5]
	flat_load_b64 v[4:5], v[2:3]
	scratch_load_b64 v[0:1], off, s32 offset:328 ; 8-byte Folded Reload
	s_wait_loadcnt 0x0
	flat_load_b32 v33, v[0:1]
	s_wait_dscnt 0x1
	s_wait_xcnt 0x0
	v_and_b32_e32 v0, 0xff, v4
	v_mov_b32_e32 v1, 0
	s_delay_alu instid0(VALU_DEP_2)
	v_cmpx_ne_u16_e32 0, v0
	s_cbranch_execz .LBB279_26
; %bb.19:                               ;   in Loop: Header=BB279_15 Depth=1
	v_mov_b32_e32 v50, 0x8000
	s_mov_b32 s17, exec_lo
	v_cmpx_ne_u16_e32 0x80, v0
	s_cbranch_execz .LBB279_25
; %bb.20:                               ;   in Loop: Header=BB279_15 Depth=1
	v_and_b32_e32 v8, 0x7f, v4
	v_mov_b32_e32 v50, 0x7c01
	s_mov_b32 s18, exec_lo
	s_delay_alu instid0(VALU_DEP_2)
	v_cmpx_ne_u32_e32 0x7f, v8
	s_cbranch_execz .LBB279_24
; %bb.21:                               ;   in Loop: Header=BB279_15 Depth=1
	v_and_b32_e32 v0, 7, v4
	v_lshrrev_b32_e32 v6, 3, v8
	s_mov_b32 s19, exec_lo
	v_cmpx_gt_u32_e32 8, v8
; %bb.22:                               ;   in Loop: Header=BB279_15 Depth=1
	s_delay_alu instid0(VALU_DEP_3) | instskip(NEXT) | instid1(VALU_DEP_1)
	v_clz_i32_u32_e32 v0, v0
	v_min_u32_e32 v0, 32, v0
	s_delay_alu instid0(VALU_DEP_1) | instskip(NEXT) | instid1(VALU_DEP_1)
	v_subrev_nc_u32_e32 v6, 28, v0
	v_lshlrev_b64_e32 v[8:9], v6, v[4:5]
	v_sub_nc_u32_e32 v6, 29, v0
	s_delay_alu instid0(VALU_DEP_2)
	v_and_b32_e32 v0, 7, v8
; %bb.23:                               ;   in Loop: Header=BB279_15 Depth=1
	s_or_b32 exec_lo, exec_lo, s19
	v_lshlrev_b32_e32 v8, 8, v4
	s_delay_alu instid0(VALU_DEP_3) | instskip(NEXT) | instid1(VALU_DEP_3)
	v_lshl_add_u32 v6, v6, 10, 0x2000
	v_lshlrev_b32_e32 v0, 7, v0
	s_delay_alu instid0(VALU_DEP_3) | instskip(NEXT) | instid1(VALU_DEP_3)
	v_and_b32_e32 v8, 0x8000, v8
	v_and_b32_e32 v6, 0xfc00, v6
	s_delay_alu instid0(VALU_DEP_1)
	v_or3_b32 v50, v8, v6, v0
.LBB279_24:                             ;   in Loop: Header=BB279_15 Depth=1
	s_or_b32 exec_lo, exec_lo, s18
.LBB279_25:                             ;   in Loop: Header=BB279_15 Depth=1
	s_delay_alu instid0(SALU_CYCLE_1)
	s_or_b32 exec_lo, exec_lo, s17
.LBB279_26:                             ;   in Loop: Header=BB279_15 Depth=1
	s_delay_alu instid0(SALU_CYCLE_1) | instskip(SKIP_2) | instid1(VALU_DEP_1)
	s_or_b32 exec_lo, exec_lo, s16
	v_lshrrev_b16 v24, 8, v4
	s_mov_b32 s16, exec_lo
	v_cmpx_ne_u16_e32 0, v24
	s_cbranch_execz .LBB279_34
; %bb.27:                               ;   in Loop: Header=BB279_15 Depth=1
	v_bfrev_b32_e32 v1, 1
	s_mov_b32 s17, exec_lo
	v_cmpx_ne_u16_e32 0x80, v24
	s_cbranch_execz .LBB279_33
; %bb.28:                               ;   in Loop: Header=BB279_15 Depth=1
	v_and_b32_e32 v0, 0xffff, v24
	v_mov_b32_e32 v1, 0x7c010000
	s_mov_b32 s18, exec_lo
	s_delay_alu instid0(VALU_DEP_2) | instskip(NEXT) | instid1(VALU_DEP_1)
	v_and_b32_e32 v8, 0x7f, v0
	v_cmpx_ne_u32_e32 0x7f, v8
	s_cbranch_execz .LBB279_32
; %bb.29:                               ;   in Loop: Header=BB279_15 Depth=1
	v_and_b32_e32 v1, 7, v0
	v_lshrrev_b32_e32 v6, 3, v8
	s_mov_b32 s19, exec_lo
	v_cmpx_gt_u32_e32 8, v8
; %bb.30:                               ;   in Loop: Header=BB279_15 Depth=1
	s_delay_alu instid0(VALU_DEP_3) | instskip(NEXT) | instid1(VALU_DEP_1)
	v_clz_i32_u32_e32 v1, v1
	v_min_u32_e32 v1, 32, v1
	s_delay_alu instid0(VALU_DEP_1) | instskip(NEXT) | instid1(VALU_DEP_1)
	v_subrev_nc_u32_e32 v6, 28, v1
	v_lshlrev_b64_e32 v[8:9], v6, v[24:25]
	s_delay_alu instid0(VALU_DEP_1)
	v_dual_sub_nc_u32 v6, 29, v1 :: v_dual_bitop2_b32 v1, 7, v8 bitop3:0x40
; %bb.31:                               ;   in Loop: Header=BB279_15 Depth=1
	s_or_b32 exec_lo, exec_lo, s19
	s_delay_alu instid0(VALU_DEP_1) | instskip(NEXT) | instid1(VALU_DEP_2)
	v_dual_lshlrev_b32 v0, 8, v0 :: v_dual_lshlrev_b32 v1, 23, v1
	v_lshl_add_u32 v6, v6, 10, 0x2000
	s_delay_alu instid0(VALU_DEP_1) | instskip(NEXT) | instid1(VALU_DEP_1)
	v_and_or_b32 v0, 0x8000, v0, v6
	v_lshl_or_b32 v1, v0, 16, v1
.LBB279_32:                             ;   in Loop: Header=BB279_15 Depth=1
	s_or_b32 exec_lo, exec_lo, s18
.LBB279_33:                             ;   in Loop: Header=BB279_15 Depth=1
	s_delay_alu instid0(SALU_CYCLE_1)
	s_or_b32 exec_lo, exec_lo, s17
.LBB279_34:                             ;   in Loop: Header=BB279_15 Depth=1
	s_delay_alu instid0(SALU_CYCLE_1) | instskip(SKIP_3) | instid1(VALU_DEP_2)
	s_or_b32 exec_lo, exec_lo, s16
	v_dual_mov_b32 v115, 0 :: v_dual_lshrrev_b32 v0, 16, v4
	v_mov_b32_e32 v51, 0
	s_mov_b32 s16, exec_lo
	v_and_b32_e32 v6, 0xff, v0
	s_delay_alu instid0(VALU_DEP_1)
	v_cmpx_ne_u16_e32 0, v6
	s_cbranch_execz .LBB279_42
; %bb.35:                               ;   in Loop: Header=BB279_15 Depth=1
	v_mov_b32_e32 v51, 0x8000
	s_mov_b32 s17, exec_lo
	v_cmpx_ne_u16_e32 0x80, v6
	s_cbranch_execz .LBB279_41
; %bb.36:                               ;   in Loop: Header=BB279_15 Depth=1
	v_bfe_u32 v9, v4, 16, 7
	v_mov_b32_e32 v51, 0x7c01
	s_mov_b32 s18, exec_lo
	s_delay_alu instid0(VALU_DEP_2)
	v_cmpx_ne_u32_e32 0x7f, v9
	s_cbranch_execz .LBB279_40
; %bb.37:                               ;   in Loop: Header=BB279_15 Depth=1
	v_dual_lshrrev_b32 v8, 3, v9 :: v_dual_bitop2_b32 v6, 7, v0 bitop3:0x40
	s_mov_b32 s19, exec_lo
	v_cmpx_gt_u32_e32 8, v9
; %bb.38:                               ;   in Loop: Header=BB279_15 Depth=1
	s_delay_alu instid0(VALU_DEP_2) | instskip(NEXT) | instid1(VALU_DEP_1)
	v_clz_i32_u32_e32 v6, v6
	v_min_u32_e32 v6, 32, v6
	s_delay_alu instid0(VALU_DEP_1) | instskip(NEXT) | instid1(VALU_DEP_1)
	v_subrev_nc_u32_e32 v8, 28, v6
	v_lshlrev_b64_e32 v[10:11], v8, v[0:1]
	v_sub_nc_u32_e32 v8, 29, v6
	s_delay_alu instid0(VALU_DEP_2)
	v_and_b32_e32 v6, 7, v10
; %bb.39:                               ;   in Loop: Header=BB279_15 Depth=1
	s_or_b32 exec_lo, exec_lo, s19
	s_delay_alu instid0(VALU_DEP_1) | instskip(NEXT) | instid1(VALU_DEP_3)
	v_dual_lshlrev_b32 v0, 8, v0 :: v_dual_lshlrev_b32 v6, 7, v6
	v_lshl_add_u32 v8, v8, 10, 0x2000
	s_delay_alu instid0(VALU_DEP_2) | instskip(NEXT) | instid1(VALU_DEP_2)
	v_and_b32_e32 v0, 0x8000, v0
	v_and_b32_e32 v8, 0xfc00, v8
	s_delay_alu instid0(VALU_DEP_1)
	v_or3_b32 v51, v0, v8, v6
.LBB279_40:                             ;   in Loop: Header=BB279_15 Depth=1
	s_or_b32 exec_lo, exec_lo, s18
.LBB279_41:                             ;   in Loop: Header=BB279_15 Depth=1
	s_delay_alu instid0(SALU_CYCLE_1)
	s_or_b32 exec_lo, exec_lo, s17
.LBB279_42:                             ;   in Loop: Header=BB279_15 Depth=1
	s_delay_alu instid0(SALU_CYCLE_1) | instskip(NEXT) | instid1(SALU_CYCLE_1)
	s_or_b32 exec_lo, exec_lo, s16
	s_mov_b32 s16, exec_lo
	v_cmpx_lt_u32_e32 0xffffff, v4
	s_cbranch_execz .LBB279_50
; %bb.43:                               ;   in Loop: Header=BB279_15 Depth=1
	v_lshrrev_b32_e32 v24, 24, v4
	v_bfrev_b32_e32 v115, 1
	s_mov_b32 s17, exec_lo
	s_delay_alu instid0(VALU_DEP_2)
	v_cmpx_ne_u32_e32 0x80, v24
	s_cbranch_execz .LBB279_49
; %bb.44:                               ;   in Loop: Header=BB279_15 Depth=1
	v_and_b32_e32 v8, 0x7f, v24
	v_mov_b32_e32 v115, 0x7c010000
	s_mov_b32 s18, exec_lo
	s_delay_alu instid0(VALU_DEP_2)
	v_cmpx_ne_u32_e32 0x7f, v8
	s_cbranch_execz .LBB279_48
; %bb.45:                               ;   in Loop: Header=BB279_15 Depth=1
	v_and_b32_e32 v0, 7, v24
	v_lshrrev_b32_e32 v6, 3, v8
	s_mov_b32 s19, exec_lo
	v_cmpx_gt_u32_e32 8, v8
; %bb.46:                               ;   in Loop: Header=BB279_15 Depth=1
	s_delay_alu instid0(VALU_DEP_3) | instskip(NEXT) | instid1(VALU_DEP_1)
	v_clz_i32_u32_e32 v0, v0
	v_min_u32_e32 v0, 32, v0
	s_delay_alu instid0(VALU_DEP_1) | instskip(NEXT) | instid1(VALU_DEP_1)
	v_subrev_nc_u32_e32 v6, 28, v0
	v_lshlrev_b64_e32 v[8:9], v6, v[24:25]
	v_sub_nc_u32_e32 v6, 29, v0
	s_delay_alu instid0(VALU_DEP_2)
	v_and_b32_e32 v0, 7, v8
; %bb.47:                               ;   in Loop: Header=BB279_15 Depth=1
	s_or_b32 exec_lo, exec_lo, s19
	v_lshlrev_b32_e32 v8, 8, v24
	s_delay_alu instid0(VALU_DEP_3) | instskip(NEXT) | instid1(VALU_DEP_3)
	v_lshl_add_u32 v6, v6, 10, 0x2000
	v_lshlrev_b32_e32 v0, 23, v0
	s_delay_alu instid0(VALU_DEP_2) | instskip(NEXT) | instid1(VALU_DEP_1)
	v_and_or_b32 v6, 0x8000, v8, v6
	v_lshl_or_b32 v115, v6, 16, v0
.LBB279_48:                             ;   in Loop: Header=BB279_15 Depth=1
	s_or_b32 exec_lo, exec_lo, s18
.LBB279_49:                             ;   in Loop: Header=BB279_15 Depth=1
	s_delay_alu instid0(SALU_CYCLE_1)
	s_or_b32 exec_lo, exec_lo, s17
.LBB279_50:                             ;   in Loop: Header=BB279_15 Depth=1
	s_delay_alu instid0(SALU_CYCLE_1) | instskip(SKIP_4) | instid1(VALU_DEP_3)
	s_or_b32 exec_lo, exec_lo, s16
	v_and_b32_e32 v0, 0xff, v5
	v_dual_mov_b32 v24, v5 :: v_dual_mov_b32 v52, 0
	v_mov_b32_e32 v53, 0
	s_mov_b32 s16, exec_lo
	v_cmpx_ne_u16_e32 0, v0
	s_cbranch_execz .LBB279_58
; %bb.51:                               ;   in Loop: Header=BB279_15 Depth=1
	v_mov_b32_e32 v53, 0x8000
	s_mov_b32 s17, exec_lo
	v_cmpx_ne_u16_e32 0x80, v0
	s_cbranch_execz .LBB279_57
; %bb.52:                               ;   in Loop: Header=BB279_15 Depth=1
	v_and_b32_e32 v8, 0x7f, v5
	v_mov_b32_e32 v53, 0x7c01
	s_mov_b32 s18, exec_lo
	s_delay_alu instid0(VALU_DEP_2)
	v_cmpx_ne_u32_e32 0x7f, v8
	s_cbranch_execz .LBB279_56
; %bb.53:                               ;   in Loop: Header=BB279_15 Depth=1
	v_dual_lshrrev_b32 v6, 3, v8 :: v_dual_bitop2_b32 v0, 7, v5 bitop3:0x40
	s_mov_b32 s19, exec_lo
	v_cmpx_gt_u32_e32 8, v8
; %bb.54:                               ;   in Loop: Header=BB279_15 Depth=1
	s_delay_alu instid0(VALU_DEP_2) | instskip(NEXT) | instid1(VALU_DEP_1)
	v_clz_i32_u32_e32 v0, v0
	v_min_u32_e32 v0, 32, v0
	s_delay_alu instid0(VALU_DEP_1) | instskip(NEXT) | instid1(VALU_DEP_1)
	v_subrev_nc_u32_e32 v6, 28, v0
	v_lshlrev_b64_e32 v[8:9], v6, v[24:25]
	v_sub_nc_u32_e32 v6, 29, v0
	s_delay_alu instid0(VALU_DEP_2)
	v_and_b32_e32 v0, 7, v8
; %bb.55:                               ;   in Loop: Header=BB279_15 Depth=1
	s_or_b32 exec_lo, exec_lo, s19
	s_delay_alu instid0(VALU_DEP_1) | instskip(NEXT) | instid1(VALU_DEP_3)
	v_dual_lshlrev_b32 v8, 8, v5 :: v_dual_lshlrev_b32 v0, 7, v0
	v_lshl_add_u32 v6, v6, 10, 0x2000
	s_delay_alu instid0(VALU_DEP_2) | instskip(NEXT) | instid1(VALU_DEP_2)
	v_and_b32_e32 v8, 0x8000, v8
	v_and_b32_e32 v6, 0xfc00, v6
	s_delay_alu instid0(VALU_DEP_1)
	v_or3_b32 v53, v8, v6, v0
.LBB279_56:                             ;   in Loop: Header=BB279_15 Depth=1
	s_or_b32 exec_lo, exec_lo, s18
.LBB279_57:                             ;   in Loop: Header=BB279_15 Depth=1
	s_delay_alu instid0(SALU_CYCLE_1)
	s_or_b32 exec_lo, exec_lo, s17
.LBB279_58:                             ;   in Loop: Header=BB279_15 Depth=1
	s_delay_alu instid0(SALU_CYCLE_1) | instskip(SKIP_3) | instid1(VALU_DEP_2)
	s_or_b32 exec_lo, exec_lo, s16
	v_lshrrev_b16 v24, 8, v24
	v_mov_b32_e32 v113, 0
	s_mov_b32 s16, exec_lo
	v_cmpx_ne_u16_e32 0, v24
	s_cbranch_execz .LBB279_66
; %bb.59:                               ;   in Loop: Header=BB279_15 Depth=1
	v_bfrev_b32_e32 v113, 1
	s_mov_b32 s17, exec_lo
	v_cmpx_ne_u16_e32 0x80, v24
	s_cbranch_execz .LBB279_65
; %bb.60:                               ;   in Loop: Header=BB279_15 Depth=1
	v_and_b32_e32 v0, 0xffff, v24
	v_mov_b32_e32 v113, 0x7c010000
	s_mov_b32 s18, exec_lo
	s_delay_alu instid0(VALU_DEP_2) | instskip(NEXT) | instid1(VALU_DEP_1)
	v_and_b32_e32 v9, 0x7f, v0
	v_cmpx_ne_u32_e32 0x7f, v9
	s_cbranch_execz .LBB279_64
; %bb.61:                               ;   in Loop: Header=BB279_15 Depth=1
	v_dual_lshrrev_b32 v8, 3, v9 :: v_dual_bitop2_b32 v6, 7, v0 bitop3:0x40
	s_mov_b32 s19, exec_lo
	v_cmpx_gt_u32_e32 8, v9
; %bb.62:                               ;   in Loop: Header=BB279_15 Depth=1
	s_delay_alu instid0(VALU_DEP_2) | instskip(NEXT) | instid1(VALU_DEP_1)
	v_clz_i32_u32_e32 v6, v6
	v_min_u32_e32 v6, 32, v6
	s_delay_alu instid0(VALU_DEP_1) | instskip(NEXT) | instid1(VALU_DEP_1)
	v_subrev_nc_u32_e32 v8, 28, v6
	v_lshlrev_b64_e32 v[10:11], v8, v[24:25]
	v_sub_nc_u32_e32 v8, 29, v6
	s_delay_alu instid0(VALU_DEP_2)
	v_and_b32_e32 v6, 7, v10
; %bb.63:                               ;   in Loop: Header=BB279_15 Depth=1
	s_or_b32 exec_lo, exec_lo, s19
	s_delay_alu instid0(VALU_DEP_1) | instskip(NEXT) | instid1(VALU_DEP_3)
	v_dual_lshlrev_b32 v0, 8, v0 :: v_dual_lshlrev_b32 v6, 23, v6
	v_lshl_add_u32 v8, v8, 10, 0x2000
	s_delay_alu instid0(VALU_DEP_1) | instskip(NEXT) | instid1(VALU_DEP_1)
	v_and_or_b32 v0, 0x8000, v0, v8
	v_lshl_or_b32 v113, v0, 16, v6
.LBB279_64:                             ;   in Loop: Header=BB279_15 Depth=1
	s_or_b32 exec_lo, exec_lo, s18
.LBB279_65:                             ;   in Loop: Header=BB279_15 Depth=1
	s_delay_alu instid0(SALU_CYCLE_1)
	s_or_b32 exec_lo, exec_lo, s17
.LBB279_66:                             ;   in Loop: Header=BB279_15 Depth=1
	s_delay_alu instid0(SALU_CYCLE_1) | instskip(SKIP_2) | instid1(VALU_DEP_1)
	s_or_b32 exec_lo, exec_lo, s16
	v_lshrrev_b32_e32 v0, 16, v5
	s_mov_b32 s16, exec_lo
	v_and_b32_e32 v6, 0xff, v0
	s_delay_alu instid0(VALU_DEP_1)
	v_cmpx_ne_u16_e32 0, v6
	s_cbranch_execz .LBB279_74
; %bb.67:                               ;   in Loop: Header=BB279_15 Depth=1
	v_mov_b32_e32 v52, 0x8000
	s_mov_b32 s17, exec_lo
	v_cmpx_ne_u16_e32 0x80, v6
	s_cbranch_execz .LBB279_73
; %bb.68:                               ;   in Loop: Header=BB279_15 Depth=1
	v_bfe_u32 v9, v5, 16, 7
	v_mov_b32_e32 v52, 0x7c01
	s_mov_b32 s18, exec_lo
	s_delay_alu instid0(VALU_DEP_2)
	v_cmpx_ne_u32_e32 0x7f, v9
	s_cbranch_execz .LBB279_72
; %bb.69:                               ;   in Loop: Header=BB279_15 Depth=1
	v_dual_lshrrev_b32 v8, 3, v9 :: v_dual_bitop2_b32 v6, 7, v0 bitop3:0x40
	s_mov_b32 s19, exec_lo
	v_cmpx_gt_u32_e32 8, v9
; %bb.70:                               ;   in Loop: Header=BB279_15 Depth=1
	s_delay_alu instid0(VALU_DEP_2) | instskip(NEXT) | instid1(VALU_DEP_1)
	v_clz_i32_u32_e32 v6, v6
	v_min_u32_e32 v6, 32, v6
	s_delay_alu instid0(VALU_DEP_1) | instskip(NEXT) | instid1(VALU_DEP_1)
	v_subrev_nc_u32_e32 v8, 28, v6
	v_lshlrev_b64_e32 v[10:11], v8, v[0:1]
	v_sub_nc_u32_e32 v8, 29, v6
	s_delay_alu instid0(VALU_DEP_2)
	v_and_b32_e32 v6, 7, v10
; %bb.71:                               ;   in Loop: Header=BB279_15 Depth=1
	s_or_b32 exec_lo, exec_lo, s19
	s_delay_alu instid0(VALU_DEP_1) | instskip(NEXT) | instid1(VALU_DEP_3)
	v_dual_lshlrev_b32 v0, 8, v0 :: v_dual_lshlrev_b32 v6, 7, v6
	v_lshl_add_u32 v8, v8, 10, 0x2000
	s_delay_alu instid0(VALU_DEP_2) | instskip(NEXT) | instid1(VALU_DEP_2)
	v_and_b32_e32 v0, 0x8000, v0
	v_and_b32_e32 v8, 0xfc00, v8
	s_delay_alu instid0(VALU_DEP_1)
	v_or3_b32 v52, v0, v8, v6
.LBB279_72:                             ;   in Loop: Header=BB279_15 Depth=1
	s_or_b32 exec_lo, exec_lo, s18
.LBB279_73:                             ;   in Loop: Header=BB279_15 Depth=1
	s_delay_alu instid0(SALU_CYCLE_1)
	s_or_b32 exec_lo, exec_lo, s17
.LBB279_74:                             ;   in Loop: Header=BB279_15 Depth=1
	s_delay_alu instid0(SALU_CYCLE_1)
	s_or_b32 exec_lo, exec_lo, s16
	v_dual_mov_b32 v112, 0 :: v_dual_mov_b32 v114, 0
	s_mov_b32 s16, exec_lo
	v_cmpx_lt_u64_e64 s[8:9], v[4:5]
	s_cbranch_execz .LBB279_82
; %bb.75:                               ;   in Loop: Header=BB279_15 Depth=1
	v_lshrrev_b32_e32 v24, 24, v5
	v_bfrev_b32_e32 v114, 1
	s_mov_b32 s17, exec_lo
	s_delay_alu instid0(VALU_DEP_2)
	v_cmpx_ne_u32_e32 0x80, v24
	s_cbranch_execz .LBB279_81
; %bb.76:                               ;   in Loop: Header=BB279_15 Depth=1
	v_and_b32_e32 v5, 0x7f, v24
	v_mov_b32_e32 v114, 0x7c010000
	s_mov_b32 s18, exec_lo
	s_delay_alu instid0(VALU_DEP_2)
	v_cmpx_ne_u32_e32 0x7f, v5
	s_cbranch_execz .LBB279_80
; %bb.77:                               ;   in Loop: Header=BB279_15 Depth=1
	v_dual_lshrrev_b32 v4, 3, v5 :: v_dual_bitop2_b32 v0, 7, v24 bitop3:0x40
	s_mov_b32 s19, exec_lo
	v_cmpx_gt_u32_e32 8, v5
; %bb.78:                               ;   in Loop: Header=BB279_15 Depth=1
	s_delay_alu instid0(VALU_DEP_2) | instskip(NEXT) | instid1(VALU_DEP_1)
	v_clz_i32_u32_e32 v0, v0
	v_min_u32_e32 v0, 32, v0
	s_delay_alu instid0(VALU_DEP_1) | instskip(NEXT) | instid1(VALU_DEP_1)
	v_subrev_nc_u32_e32 v4, 28, v0
	v_lshlrev_b64_e32 v[8:9], v4, v[24:25]
	v_sub_nc_u32_e32 v4, 29, v0
	s_delay_alu instid0(VALU_DEP_2)
	v_and_b32_e32 v0, 7, v8
; %bb.79:                               ;   in Loop: Header=BB279_15 Depth=1
	s_or_b32 exec_lo, exec_lo, s19
	v_lshlrev_b32_e32 v5, 8, v24
	s_delay_alu instid0(VALU_DEP_3) | instskip(NEXT) | instid1(VALU_DEP_3)
	v_lshl_add_u32 v4, v4, 10, 0x2000
	v_lshlrev_b32_e32 v0, 23, v0
	s_delay_alu instid0(VALU_DEP_2) | instskip(NEXT) | instid1(VALU_DEP_1)
	v_and_or_b32 v4, 0x8000, v5, v4
	v_lshl_or_b32 v114, v4, 16, v0
.LBB279_80:                             ;   in Loop: Header=BB279_15 Depth=1
	s_or_b32 exec_lo, exec_lo, s18
.LBB279_81:                             ;   in Loop: Header=BB279_15 Depth=1
	s_delay_alu instid0(SALU_CYCLE_1)
	s_or_b32 exec_lo, exec_lo, s17
.LBB279_82:                             ;   in Loop: Header=BB279_15 Depth=1
	s_delay_alu instid0(SALU_CYCLE_1)
	s_or_b32 exec_lo, exec_lo, s16
	flat_load_b64 v[4:5], v[2:3] offset:8
	s_mov_b32 s16, exec_lo
	s_wait_loadcnt_dscnt 0x0
	v_and_b32_e32 v0, 0xff, v4
	s_wait_xcnt 0x0
	s_delay_alu instid0(VALU_DEP_1)
	v_cmpx_ne_u16_e32 0, v0
	s_cbranch_execz .LBB279_90
; %bb.83:                               ;   in Loop: Header=BB279_15 Depth=1
	v_mov_b32_e32 v112, 0x8000
	s_mov_b32 s17, exec_lo
	v_cmpx_ne_u16_e32 0x80, v0
	s_cbranch_execz .LBB279_89
; %bb.84:                               ;   in Loop: Header=BB279_15 Depth=1
	v_and_b32_e32 v8, 0x7f, v4
	v_mov_b32_e32 v112, 0x7c01
	s_mov_b32 s18, exec_lo
	s_delay_alu instid0(VALU_DEP_2)
	v_cmpx_ne_u32_e32 0x7f, v8
	s_cbranch_execz .LBB279_88
; %bb.85:                               ;   in Loop: Header=BB279_15 Depth=1
	v_and_b32_e32 v0, 7, v4
	v_lshrrev_b32_e32 v6, 3, v8
	s_mov_b32 s19, exec_lo
	v_cmpx_gt_u32_e32 8, v8
; %bb.86:                               ;   in Loop: Header=BB279_15 Depth=1
	s_delay_alu instid0(VALU_DEP_3) | instskip(NEXT) | instid1(VALU_DEP_1)
	v_clz_i32_u32_e32 v0, v0
	v_min_u32_e32 v0, 32, v0
	s_delay_alu instid0(VALU_DEP_1) | instskip(NEXT) | instid1(VALU_DEP_1)
	v_subrev_nc_u32_e32 v6, 28, v0
	v_lshlrev_b64_e32 v[8:9], v6, v[4:5]
	v_sub_nc_u32_e32 v6, 29, v0
	s_delay_alu instid0(VALU_DEP_2)
	v_and_b32_e32 v0, 7, v8
; %bb.87:                               ;   in Loop: Header=BB279_15 Depth=1
	s_or_b32 exec_lo, exec_lo, s19
	v_lshlrev_b32_e32 v8, 8, v4
	s_delay_alu instid0(VALU_DEP_3) | instskip(NEXT) | instid1(VALU_DEP_3)
	v_lshl_add_u32 v6, v6, 10, 0x2000
	v_lshlrev_b32_e32 v0, 7, v0
	s_delay_alu instid0(VALU_DEP_3) | instskip(NEXT) | instid1(VALU_DEP_3)
	v_and_b32_e32 v8, 0x8000, v8
	v_and_b32_e32 v6, 0xfc00, v6
	s_delay_alu instid0(VALU_DEP_1)
	v_or3_b32 v112, v8, v6, v0
.LBB279_88:                             ;   in Loop: Header=BB279_15 Depth=1
	s_or_b32 exec_lo, exec_lo, s18
.LBB279_89:                             ;   in Loop: Header=BB279_15 Depth=1
	s_delay_alu instid0(SALU_CYCLE_1)
	s_or_b32 exec_lo, exec_lo, s17
.LBB279_90:                             ;   in Loop: Header=BB279_15 Depth=1
	s_delay_alu instid0(SALU_CYCLE_1) | instskip(SKIP_3) | instid1(VALU_DEP_2)
	s_or_b32 exec_lo, exec_lo, s16
	v_lshrrev_b16 v24, 8, v4
	v_dual_mov_b32 v46, 0 :: v_dual_mov_b32 v39, 0
	s_mov_b32 s16, exec_lo
	v_cmpx_ne_u16_e32 0, v24
	s_cbranch_execz .LBB279_98
; %bb.91:                               ;   in Loop: Header=BB279_15 Depth=1
	v_bfrev_b32_e32 v39, 1
	s_mov_b32 s17, exec_lo
	v_cmpx_ne_u16_e32 0x80, v24
	s_cbranch_execz .LBB279_97
; %bb.92:                               ;   in Loop: Header=BB279_15 Depth=1
	v_and_b32_e32 v0, 0xffff, v24
	v_mov_b32_e32 v39, 0x7c010000
	s_mov_b32 s18, exec_lo
	s_delay_alu instid0(VALU_DEP_2) | instskip(NEXT) | instid1(VALU_DEP_1)
	v_and_b32_e32 v9, 0x7f, v0
	v_cmpx_ne_u32_e32 0x7f, v9
	s_cbranch_execz .LBB279_96
; %bb.93:                               ;   in Loop: Header=BB279_15 Depth=1
	v_dual_lshrrev_b32 v8, 3, v9 :: v_dual_bitop2_b32 v6, 7, v0 bitop3:0x40
	s_mov_b32 s19, exec_lo
	v_cmpx_gt_u32_e32 8, v9
; %bb.94:                               ;   in Loop: Header=BB279_15 Depth=1
	s_delay_alu instid0(VALU_DEP_2) | instskip(NEXT) | instid1(VALU_DEP_1)
	v_clz_i32_u32_e32 v6, v6
	v_min_u32_e32 v6, 32, v6
	s_delay_alu instid0(VALU_DEP_1) | instskip(NEXT) | instid1(VALU_DEP_1)
	v_subrev_nc_u32_e32 v8, 28, v6
	v_lshlrev_b64_e32 v[10:11], v8, v[24:25]
	v_sub_nc_u32_e32 v8, 29, v6
	s_delay_alu instid0(VALU_DEP_2)
	v_and_b32_e32 v6, 7, v10
; %bb.95:                               ;   in Loop: Header=BB279_15 Depth=1
	s_or_b32 exec_lo, exec_lo, s19
	s_delay_alu instid0(VALU_DEP_1) | instskip(NEXT) | instid1(VALU_DEP_3)
	v_dual_lshlrev_b32 v0, 8, v0 :: v_dual_lshlrev_b32 v6, 23, v6
	v_lshl_add_u32 v8, v8, 10, 0x2000
	s_delay_alu instid0(VALU_DEP_1) | instskip(NEXT) | instid1(VALU_DEP_1)
	v_and_or_b32 v0, 0x8000, v0, v8
	v_lshl_or_b32 v39, v0, 16, v6
.LBB279_96:                             ;   in Loop: Header=BB279_15 Depth=1
	s_or_b32 exec_lo, exec_lo, s18
.LBB279_97:                             ;   in Loop: Header=BB279_15 Depth=1
	s_delay_alu instid0(SALU_CYCLE_1)
	s_or_b32 exec_lo, exec_lo, s17
.LBB279_98:                             ;   in Loop: Header=BB279_15 Depth=1
	s_delay_alu instid0(SALU_CYCLE_1) | instskip(SKIP_2) | instid1(VALU_DEP_1)
	s_or_b32 exec_lo, exec_lo, s16
	v_lshrrev_b32_e32 v0, 16, v4
	s_mov_b32 s16, exec_lo
	v_and_b32_e32 v6, 0xff, v0
	s_delay_alu instid0(VALU_DEP_1)
	v_cmpx_ne_u16_e32 0, v6
	s_cbranch_execz .LBB279_106
; %bb.99:                               ;   in Loop: Header=BB279_15 Depth=1
	v_mov_b32_e32 v46, 0x8000
	s_mov_b32 s17, exec_lo
	v_cmpx_ne_u16_e32 0x80, v6
	s_cbranch_execz .LBB279_105
; %bb.100:                              ;   in Loop: Header=BB279_15 Depth=1
	v_bfe_u32 v9, v4, 16, 7
	v_mov_b32_e32 v46, 0x7c01
	s_mov_b32 s18, exec_lo
	s_delay_alu instid0(VALU_DEP_2)
	v_cmpx_ne_u32_e32 0x7f, v9
	s_cbranch_execz .LBB279_104
; %bb.101:                              ;   in Loop: Header=BB279_15 Depth=1
	v_dual_lshrrev_b32 v8, 3, v9 :: v_dual_bitop2_b32 v6, 7, v0 bitop3:0x40
	s_mov_b32 s19, exec_lo
	v_cmpx_gt_u32_e32 8, v9
; %bb.102:                              ;   in Loop: Header=BB279_15 Depth=1
	s_delay_alu instid0(VALU_DEP_2) | instskip(NEXT) | instid1(VALU_DEP_1)
	v_clz_i32_u32_e32 v6, v6
	v_min_u32_e32 v6, 32, v6
	s_delay_alu instid0(VALU_DEP_1) | instskip(NEXT) | instid1(VALU_DEP_1)
	v_subrev_nc_u32_e32 v8, 28, v6
	v_lshlrev_b64_e32 v[10:11], v8, v[0:1]
	v_sub_nc_u32_e32 v8, 29, v6
	s_delay_alu instid0(VALU_DEP_2)
	v_and_b32_e32 v6, 7, v10
; %bb.103:                              ;   in Loop: Header=BB279_15 Depth=1
	s_or_b32 exec_lo, exec_lo, s19
	s_delay_alu instid0(VALU_DEP_1) | instskip(NEXT) | instid1(VALU_DEP_3)
	v_dual_lshlrev_b32 v0, 8, v0 :: v_dual_lshlrev_b32 v6, 7, v6
	v_lshl_add_u32 v8, v8, 10, 0x2000
	s_delay_alu instid0(VALU_DEP_2) | instskip(NEXT) | instid1(VALU_DEP_2)
	v_and_b32_e32 v0, 0x8000, v0
	v_and_b32_e32 v8, 0xfc00, v8
	s_delay_alu instid0(VALU_DEP_1)
	v_or3_b32 v46, v0, v8, v6
.LBB279_104:                            ;   in Loop: Header=BB279_15 Depth=1
	s_or_b32 exec_lo, exec_lo, s18
.LBB279_105:                            ;   in Loop: Header=BB279_15 Depth=1
	s_delay_alu instid0(SALU_CYCLE_1)
	s_or_b32 exec_lo, exec_lo, s17
.LBB279_106:                            ;   in Loop: Header=BB279_15 Depth=1
	s_delay_alu instid0(SALU_CYCLE_1)
	s_or_b32 exec_lo, exec_lo, s16
	v_dual_mov_b32 v48, 0 :: v_dual_mov_b32 v49, 0
	s_mov_b32 s16, exec_lo
	v_cmpx_lt_u32_e32 0xffffff, v4
	s_cbranch_execz .LBB279_114
; %bb.107:                              ;   in Loop: Header=BB279_15 Depth=1
	v_lshrrev_b32_e32 v24, 24, v4
	v_bfrev_b32_e32 v49, 1
	s_mov_b32 s17, exec_lo
	s_delay_alu instid0(VALU_DEP_2)
	v_cmpx_ne_u32_e32 0x80, v24
	s_cbranch_execz .LBB279_113
; %bb.108:                              ;   in Loop: Header=BB279_15 Depth=1
	v_and_b32_e32 v8, 0x7f, v24
	v_mov_b32_e32 v49, 0x7c010000
	s_mov_b32 s18, exec_lo
	s_delay_alu instid0(VALU_DEP_2)
	v_cmpx_ne_u32_e32 0x7f, v8
	s_cbranch_execz .LBB279_112
; %bb.109:                              ;   in Loop: Header=BB279_15 Depth=1
	v_and_b32_e32 v0, 7, v24
	v_lshrrev_b32_e32 v6, 3, v8
	s_mov_b32 s19, exec_lo
	v_cmpx_gt_u32_e32 8, v8
; %bb.110:                              ;   in Loop: Header=BB279_15 Depth=1
	s_delay_alu instid0(VALU_DEP_3) | instskip(NEXT) | instid1(VALU_DEP_1)
	v_clz_i32_u32_e32 v0, v0
	v_min_u32_e32 v0, 32, v0
	s_delay_alu instid0(VALU_DEP_1) | instskip(NEXT) | instid1(VALU_DEP_1)
	v_subrev_nc_u32_e32 v6, 28, v0
	v_lshlrev_b64_e32 v[8:9], v6, v[24:25]
	v_sub_nc_u32_e32 v6, 29, v0
	s_delay_alu instid0(VALU_DEP_2)
	v_and_b32_e32 v0, 7, v8
; %bb.111:                              ;   in Loop: Header=BB279_15 Depth=1
	s_or_b32 exec_lo, exec_lo, s19
	v_lshlrev_b32_e32 v8, 8, v24
	s_delay_alu instid0(VALU_DEP_3) | instskip(NEXT) | instid1(VALU_DEP_3)
	v_lshl_add_u32 v6, v6, 10, 0x2000
	v_lshlrev_b32_e32 v0, 23, v0
	s_delay_alu instid0(VALU_DEP_2) | instskip(NEXT) | instid1(VALU_DEP_1)
	v_and_or_b32 v6, 0x8000, v8, v6
	v_lshl_or_b32 v49, v6, 16, v0
.LBB279_112:                            ;   in Loop: Header=BB279_15 Depth=1
	s_or_b32 exec_lo, exec_lo, s18
.LBB279_113:                            ;   in Loop: Header=BB279_15 Depth=1
	s_delay_alu instid0(SALU_CYCLE_1)
	s_or_b32 exec_lo, exec_lo, s17
.LBB279_114:                            ;   in Loop: Header=BB279_15 Depth=1
	s_delay_alu instid0(SALU_CYCLE_1) | instskip(SKIP_3) | instid1(VALU_DEP_2)
	s_or_b32 exec_lo, exec_lo, s16
	v_and_b32_e32 v0, 0xff, v5
	v_mov_b32_e32 v24, v5
	s_mov_b32 s16, exec_lo
	v_cmpx_ne_u16_e32 0, v0
	s_cbranch_execz .LBB279_122
; %bb.115:                              ;   in Loop: Header=BB279_15 Depth=1
	v_mov_b32_e32 v48, 0x8000
	s_mov_b32 s17, exec_lo
	v_cmpx_ne_u16_e32 0x80, v0
	s_cbranch_execz .LBB279_121
; %bb.116:                              ;   in Loop: Header=BB279_15 Depth=1
	v_and_b32_e32 v8, 0x7f, v5
	v_mov_b32_e32 v48, 0x7c01
	s_mov_b32 s18, exec_lo
	s_delay_alu instid0(VALU_DEP_2)
	v_cmpx_ne_u32_e32 0x7f, v8
	s_cbranch_execz .LBB279_120
; %bb.117:                              ;   in Loop: Header=BB279_15 Depth=1
	v_dual_lshrrev_b32 v6, 3, v8 :: v_dual_bitop2_b32 v0, 7, v5 bitop3:0x40
	s_mov_b32 s19, exec_lo
	v_cmpx_gt_u32_e32 8, v8
; %bb.118:                              ;   in Loop: Header=BB279_15 Depth=1
	s_delay_alu instid0(VALU_DEP_2) | instskip(NEXT) | instid1(VALU_DEP_1)
	v_clz_i32_u32_e32 v0, v0
	v_min_u32_e32 v0, 32, v0
	s_delay_alu instid0(VALU_DEP_1) | instskip(NEXT) | instid1(VALU_DEP_1)
	v_subrev_nc_u32_e32 v6, 28, v0
	v_lshlrev_b64_e32 v[8:9], v6, v[24:25]
	v_sub_nc_u32_e32 v6, 29, v0
	s_delay_alu instid0(VALU_DEP_2)
	v_and_b32_e32 v0, 7, v8
; %bb.119:                              ;   in Loop: Header=BB279_15 Depth=1
	s_or_b32 exec_lo, exec_lo, s19
	s_delay_alu instid0(VALU_DEP_1) | instskip(NEXT) | instid1(VALU_DEP_3)
	v_dual_lshlrev_b32 v8, 8, v5 :: v_dual_lshlrev_b32 v0, 7, v0
	v_lshl_add_u32 v6, v6, 10, 0x2000
	s_delay_alu instid0(VALU_DEP_2) | instskip(NEXT) | instid1(VALU_DEP_2)
	v_and_b32_e32 v8, 0x8000, v8
	v_and_b32_e32 v6, 0xfc00, v6
	s_delay_alu instid0(VALU_DEP_1)
	v_or3_b32 v48, v8, v6, v0
.LBB279_120:                            ;   in Loop: Header=BB279_15 Depth=1
	s_or_b32 exec_lo, exec_lo, s18
.LBB279_121:                            ;   in Loop: Header=BB279_15 Depth=1
	s_delay_alu instid0(SALU_CYCLE_1)
	s_or_b32 exec_lo, exec_lo, s17
.LBB279_122:                            ;   in Loop: Header=BB279_15 Depth=1
	s_delay_alu instid0(SALU_CYCLE_1) | instskip(SKIP_3) | instid1(VALU_DEP_2)
	s_or_b32 exec_lo, exec_lo, s16
	v_lshrrev_b16 v24, 8, v24
	v_dual_mov_b32 v54, 0 :: v_dual_mov_b32 v55, 0
	s_mov_b32 s16, exec_lo
	v_cmpx_ne_u16_e32 0, v24
	s_cbranch_execz .LBB279_130
; %bb.123:                              ;   in Loop: Header=BB279_15 Depth=1
	v_bfrev_b32_e32 v55, 1
	s_mov_b32 s17, exec_lo
	v_cmpx_ne_u16_e32 0x80, v24
	s_cbranch_execz .LBB279_129
; %bb.124:                              ;   in Loop: Header=BB279_15 Depth=1
	v_and_b32_e32 v0, 0xffff, v24
	v_mov_b32_e32 v55, 0x7c010000
	s_mov_b32 s18, exec_lo
	s_delay_alu instid0(VALU_DEP_2) | instskip(NEXT) | instid1(VALU_DEP_1)
	v_and_b32_e32 v9, 0x7f, v0
	v_cmpx_ne_u32_e32 0x7f, v9
	s_cbranch_execz .LBB279_128
; %bb.125:                              ;   in Loop: Header=BB279_15 Depth=1
	v_dual_lshrrev_b32 v8, 3, v9 :: v_dual_bitop2_b32 v6, 7, v0 bitop3:0x40
	s_mov_b32 s19, exec_lo
	v_cmpx_gt_u32_e32 8, v9
; %bb.126:                              ;   in Loop: Header=BB279_15 Depth=1
	s_delay_alu instid0(VALU_DEP_2) | instskip(NEXT) | instid1(VALU_DEP_1)
	v_clz_i32_u32_e32 v6, v6
	v_min_u32_e32 v6, 32, v6
	s_delay_alu instid0(VALU_DEP_1) | instskip(NEXT) | instid1(VALU_DEP_1)
	v_subrev_nc_u32_e32 v8, 28, v6
	v_lshlrev_b64_e32 v[10:11], v8, v[24:25]
	v_sub_nc_u32_e32 v8, 29, v6
	s_delay_alu instid0(VALU_DEP_2)
	v_and_b32_e32 v6, 7, v10
; %bb.127:                              ;   in Loop: Header=BB279_15 Depth=1
	s_or_b32 exec_lo, exec_lo, s19
	s_delay_alu instid0(VALU_DEP_1) | instskip(NEXT) | instid1(VALU_DEP_3)
	v_dual_lshlrev_b32 v0, 8, v0 :: v_dual_lshlrev_b32 v6, 23, v6
	v_lshl_add_u32 v8, v8, 10, 0x2000
	s_delay_alu instid0(VALU_DEP_1) | instskip(NEXT) | instid1(VALU_DEP_1)
	v_and_or_b32 v0, 0x8000, v0, v8
	v_lshl_or_b32 v55, v0, 16, v6
.LBB279_128:                            ;   in Loop: Header=BB279_15 Depth=1
	s_or_b32 exec_lo, exec_lo, s18
.LBB279_129:                            ;   in Loop: Header=BB279_15 Depth=1
	s_delay_alu instid0(SALU_CYCLE_1)
	s_or_b32 exec_lo, exec_lo, s17
.LBB279_130:                            ;   in Loop: Header=BB279_15 Depth=1
	s_delay_alu instid0(SALU_CYCLE_1) | instskip(SKIP_2) | instid1(VALU_DEP_1)
	s_or_b32 exec_lo, exec_lo, s16
	v_lshrrev_b32_e32 v0, 16, v5
	s_mov_b32 s16, exec_lo
	v_and_b32_e32 v6, 0xff, v0
	s_delay_alu instid0(VALU_DEP_1)
	v_cmpx_ne_u16_e32 0, v6
	s_cbranch_execz .LBB279_138
; %bb.131:                              ;   in Loop: Header=BB279_15 Depth=1
	v_mov_b32_e32 v54, 0x8000
	s_mov_b32 s17, exec_lo
	v_cmpx_ne_u16_e32 0x80, v6
	s_cbranch_execz .LBB279_137
; %bb.132:                              ;   in Loop: Header=BB279_15 Depth=1
	v_bfe_u32 v9, v5, 16, 7
	v_mov_b32_e32 v54, 0x7c01
	s_mov_b32 s18, exec_lo
	s_delay_alu instid0(VALU_DEP_2)
	v_cmpx_ne_u32_e32 0x7f, v9
	s_cbranch_execz .LBB279_136
; %bb.133:                              ;   in Loop: Header=BB279_15 Depth=1
	v_dual_lshrrev_b32 v8, 3, v9 :: v_dual_bitop2_b32 v6, 7, v0 bitop3:0x40
	s_mov_b32 s19, exec_lo
	v_cmpx_gt_u32_e32 8, v9
; %bb.134:                              ;   in Loop: Header=BB279_15 Depth=1
	s_delay_alu instid0(VALU_DEP_2) | instskip(NEXT) | instid1(VALU_DEP_1)
	v_clz_i32_u32_e32 v6, v6
	v_min_u32_e32 v6, 32, v6
	s_delay_alu instid0(VALU_DEP_1) | instskip(NEXT) | instid1(VALU_DEP_1)
	v_subrev_nc_u32_e32 v8, 28, v6
	v_lshlrev_b64_e32 v[10:11], v8, v[0:1]
	v_sub_nc_u32_e32 v8, 29, v6
	s_delay_alu instid0(VALU_DEP_2)
	v_and_b32_e32 v6, 7, v10
; %bb.135:                              ;   in Loop: Header=BB279_15 Depth=1
	s_or_b32 exec_lo, exec_lo, s19
	s_delay_alu instid0(VALU_DEP_1) | instskip(NEXT) | instid1(VALU_DEP_3)
	v_dual_lshlrev_b32 v0, 8, v0 :: v_dual_lshlrev_b32 v6, 7, v6
	v_lshl_add_u32 v8, v8, 10, 0x2000
	s_delay_alu instid0(VALU_DEP_2) | instskip(NEXT) | instid1(VALU_DEP_2)
	v_and_b32_e32 v0, 0x8000, v0
	v_and_b32_e32 v8, 0xfc00, v8
	s_delay_alu instid0(VALU_DEP_1)
	v_or3_b32 v54, v0, v8, v6
.LBB279_136:                            ;   in Loop: Header=BB279_15 Depth=1
	s_or_b32 exec_lo, exec_lo, s18
.LBB279_137:                            ;   in Loop: Header=BB279_15 Depth=1
	s_delay_alu instid0(SALU_CYCLE_1)
	s_or_b32 exec_lo, exec_lo, s17
.LBB279_138:                            ;   in Loop: Header=BB279_15 Depth=1
	s_delay_alu instid0(SALU_CYCLE_1)
	s_or_b32 exec_lo, exec_lo, s16
	v_dual_mov_b32 v64, 0 :: v_dual_mov_b32 v65, 0
	s_mov_b32 s16, exec_lo
	v_cmpx_lt_u64_e64 s[8:9], v[4:5]
	s_cbranch_execz .LBB279_146
; %bb.139:                              ;   in Loop: Header=BB279_15 Depth=1
	v_lshrrev_b32_e32 v24, 24, v5
	v_bfrev_b32_e32 v65, 1
	s_mov_b32 s17, exec_lo
	s_delay_alu instid0(VALU_DEP_2)
	v_cmpx_ne_u32_e32 0x80, v24
	s_cbranch_execz .LBB279_145
; %bb.140:                              ;   in Loop: Header=BB279_15 Depth=1
	v_and_b32_e32 v5, 0x7f, v24
	v_mov_b32_e32 v65, 0x7c010000
	s_mov_b32 s18, exec_lo
	s_delay_alu instid0(VALU_DEP_2)
	v_cmpx_ne_u32_e32 0x7f, v5
	s_cbranch_execz .LBB279_144
; %bb.141:                              ;   in Loop: Header=BB279_15 Depth=1
	v_dual_lshrrev_b32 v4, 3, v5 :: v_dual_bitop2_b32 v0, 7, v24 bitop3:0x40
	s_mov_b32 s19, exec_lo
	v_cmpx_gt_u32_e32 8, v5
; %bb.142:                              ;   in Loop: Header=BB279_15 Depth=1
	s_delay_alu instid0(VALU_DEP_2) | instskip(NEXT) | instid1(VALU_DEP_1)
	v_clz_i32_u32_e32 v0, v0
	v_min_u32_e32 v0, 32, v0
	s_delay_alu instid0(VALU_DEP_1) | instskip(NEXT) | instid1(VALU_DEP_1)
	v_subrev_nc_u32_e32 v4, 28, v0
	v_lshlrev_b64_e32 v[8:9], v4, v[24:25]
	v_sub_nc_u32_e32 v4, 29, v0
	s_delay_alu instid0(VALU_DEP_2)
	v_and_b32_e32 v0, 7, v8
; %bb.143:                              ;   in Loop: Header=BB279_15 Depth=1
	s_or_b32 exec_lo, exec_lo, s19
	v_lshlrev_b32_e32 v5, 8, v24
	s_delay_alu instid0(VALU_DEP_3) | instskip(NEXT) | instid1(VALU_DEP_3)
	v_lshl_add_u32 v4, v4, 10, 0x2000
	v_lshlrev_b32_e32 v0, 23, v0
	s_delay_alu instid0(VALU_DEP_2) | instskip(NEXT) | instid1(VALU_DEP_1)
	v_and_or_b32 v4, 0x8000, v5, v4
	v_lshl_or_b32 v65, v4, 16, v0
.LBB279_144:                            ;   in Loop: Header=BB279_15 Depth=1
	s_or_b32 exec_lo, exec_lo, s18
.LBB279_145:                            ;   in Loop: Header=BB279_15 Depth=1
	s_delay_alu instid0(SALU_CYCLE_1)
	s_or_b32 exec_lo, exec_lo, s17
.LBB279_146:                            ;   in Loop: Header=BB279_15 Depth=1
	s_delay_alu instid0(SALU_CYCLE_1)
	s_or_b32 exec_lo, exec_lo, s16
	flat_load_b64 v[4:5], v[2:3] offset:512
	s_mov_b32 s16, exec_lo
	s_wait_loadcnt_dscnt 0x0
	v_and_b32_e32 v0, 0xff, v4
	s_wait_xcnt 0x0
	s_delay_alu instid0(VALU_DEP_1)
	v_cmpx_ne_u16_e32 0, v0
	s_cbranch_execz .LBB279_154
; %bb.147:                              ;   in Loop: Header=BB279_15 Depth=1
	v_mov_b32_e32 v64, 0x8000
	s_mov_b32 s17, exec_lo
	v_cmpx_ne_u16_e32 0x80, v0
	s_cbranch_execz .LBB279_153
; %bb.148:                              ;   in Loop: Header=BB279_15 Depth=1
	v_and_b32_e32 v8, 0x7f, v4
	v_mov_b32_e32 v64, 0x7c01
	s_mov_b32 s18, exec_lo
	s_delay_alu instid0(VALU_DEP_2)
	v_cmpx_ne_u32_e32 0x7f, v8
	s_cbranch_execz .LBB279_152
; %bb.149:                              ;   in Loop: Header=BB279_15 Depth=1
	v_and_b32_e32 v0, 7, v4
	v_lshrrev_b32_e32 v6, 3, v8
	s_mov_b32 s19, exec_lo
	v_cmpx_gt_u32_e32 8, v8
; %bb.150:                              ;   in Loop: Header=BB279_15 Depth=1
	s_delay_alu instid0(VALU_DEP_3) | instskip(NEXT) | instid1(VALU_DEP_1)
	v_clz_i32_u32_e32 v0, v0
	v_min_u32_e32 v0, 32, v0
	s_delay_alu instid0(VALU_DEP_1) | instskip(NEXT) | instid1(VALU_DEP_1)
	v_subrev_nc_u32_e32 v6, 28, v0
	v_lshlrev_b64_e32 v[8:9], v6, v[4:5]
	v_sub_nc_u32_e32 v6, 29, v0
	s_delay_alu instid0(VALU_DEP_2)
	v_and_b32_e32 v0, 7, v8
; %bb.151:                              ;   in Loop: Header=BB279_15 Depth=1
	s_or_b32 exec_lo, exec_lo, s19
	v_lshlrev_b32_e32 v8, 8, v4
	s_delay_alu instid0(VALU_DEP_3) | instskip(NEXT) | instid1(VALU_DEP_3)
	v_lshl_add_u32 v6, v6, 10, 0x2000
	v_lshlrev_b32_e32 v0, 7, v0
	s_delay_alu instid0(VALU_DEP_3) | instskip(NEXT) | instid1(VALU_DEP_3)
	v_and_b32_e32 v8, 0x8000, v8
	v_and_b32_e32 v6, 0xfc00, v6
	s_delay_alu instid0(VALU_DEP_1)
	v_or3_b32 v64, v8, v6, v0
.LBB279_152:                            ;   in Loop: Header=BB279_15 Depth=1
	s_or_b32 exec_lo, exec_lo, s18
.LBB279_153:                            ;   in Loop: Header=BB279_15 Depth=1
	s_delay_alu instid0(SALU_CYCLE_1)
	s_or_b32 exec_lo, exec_lo, s17
.LBB279_154:                            ;   in Loop: Header=BB279_15 Depth=1
	s_delay_alu instid0(SALU_CYCLE_1) | instskip(SKIP_3) | instid1(VALU_DEP_2)
	s_or_b32 exec_lo, exec_lo, s16
	v_lshrrev_b16 v24, 8, v4
	v_dual_mov_b32 v66, 0 :: v_dual_mov_b32 v83, 0
	s_mov_b32 s16, exec_lo
	v_cmpx_ne_u16_e32 0, v24
	s_cbranch_execz .LBB279_162
; %bb.155:                              ;   in Loop: Header=BB279_15 Depth=1
	v_bfrev_b32_e32 v83, 1
	s_mov_b32 s17, exec_lo
	v_cmpx_ne_u16_e32 0x80, v24
	s_cbranch_execz .LBB279_161
; %bb.156:                              ;   in Loop: Header=BB279_15 Depth=1
	v_and_b32_e32 v0, 0xffff, v24
	v_mov_b32_e32 v83, 0x7c010000
	s_mov_b32 s18, exec_lo
	s_delay_alu instid0(VALU_DEP_2) | instskip(NEXT) | instid1(VALU_DEP_1)
	v_and_b32_e32 v9, 0x7f, v0
	v_cmpx_ne_u32_e32 0x7f, v9
	s_cbranch_execz .LBB279_160
; %bb.157:                              ;   in Loop: Header=BB279_15 Depth=1
	v_dual_lshrrev_b32 v8, 3, v9 :: v_dual_bitop2_b32 v6, 7, v0 bitop3:0x40
	s_mov_b32 s19, exec_lo
	v_cmpx_gt_u32_e32 8, v9
; %bb.158:                              ;   in Loop: Header=BB279_15 Depth=1
	s_delay_alu instid0(VALU_DEP_2) | instskip(NEXT) | instid1(VALU_DEP_1)
	v_clz_i32_u32_e32 v6, v6
	v_min_u32_e32 v6, 32, v6
	s_delay_alu instid0(VALU_DEP_1) | instskip(NEXT) | instid1(VALU_DEP_1)
	v_subrev_nc_u32_e32 v8, 28, v6
	v_lshlrev_b64_e32 v[10:11], v8, v[24:25]
	v_sub_nc_u32_e32 v8, 29, v6
	s_delay_alu instid0(VALU_DEP_2)
	v_and_b32_e32 v6, 7, v10
; %bb.159:                              ;   in Loop: Header=BB279_15 Depth=1
	s_or_b32 exec_lo, exec_lo, s19
	s_delay_alu instid0(VALU_DEP_1) | instskip(NEXT) | instid1(VALU_DEP_3)
	v_dual_lshlrev_b32 v0, 8, v0 :: v_dual_lshlrev_b32 v6, 23, v6
	v_lshl_add_u32 v8, v8, 10, 0x2000
	s_delay_alu instid0(VALU_DEP_1) | instskip(NEXT) | instid1(VALU_DEP_1)
	v_and_or_b32 v0, 0x8000, v0, v8
	v_lshl_or_b32 v83, v0, 16, v6
.LBB279_160:                            ;   in Loop: Header=BB279_15 Depth=1
	s_or_b32 exec_lo, exec_lo, s18
.LBB279_161:                            ;   in Loop: Header=BB279_15 Depth=1
	s_delay_alu instid0(SALU_CYCLE_1)
	s_or_b32 exec_lo, exec_lo, s17
.LBB279_162:                            ;   in Loop: Header=BB279_15 Depth=1
	s_delay_alu instid0(SALU_CYCLE_1) | instskip(SKIP_2) | instid1(VALU_DEP_1)
	s_or_b32 exec_lo, exec_lo, s16
	v_lshrrev_b32_e32 v0, 16, v4
	s_mov_b32 s16, exec_lo
	v_and_b32_e32 v6, 0xff, v0
	s_delay_alu instid0(VALU_DEP_1)
	v_cmpx_ne_u16_e32 0, v6
	s_cbranch_execz .LBB279_170
; %bb.163:                              ;   in Loop: Header=BB279_15 Depth=1
	v_mov_b32_e32 v66, 0x8000
	s_mov_b32 s17, exec_lo
	v_cmpx_ne_u16_e32 0x80, v6
	s_cbranch_execz .LBB279_169
; %bb.164:                              ;   in Loop: Header=BB279_15 Depth=1
	v_bfe_u32 v9, v4, 16, 7
	v_mov_b32_e32 v66, 0x7c01
	s_mov_b32 s18, exec_lo
	s_delay_alu instid0(VALU_DEP_2)
	v_cmpx_ne_u32_e32 0x7f, v9
	s_cbranch_execz .LBB279_168
; %bb.165:                              ;   in Loop: Header=BB279_15 Depth=1
	v_dual_lshrrev_b32 v8, 3, v9 :: v_dual_bitop2_b32 v6, 7, v0 bitop3:0x40
	s_mov_b32 s19, exec_lo
	v_cmpx_gt_u32_e32 8, v9
; %bb.166:                              ;   in Loop: Header=BB279_15 Depth=1
	s_delay_alu instid0(VALU_DEP_2) | instskip(NEXT) | instid1(VALU_DEP_1)
	v_clz_i32_u32_e32 v6, v6
	v_min_u32_e32 v6, 32, v6
	s_delay_alu instid0(VALU_DEP_1) | instskip(NEXT) | instid1(VALU_DEP_1)
	v_subrev_nc_u32_e32 v8, 28, v6
	v_lshlrev_b64_e32 v[10:11], v8, v[0:1]
	v_sub_nc_u32_e32 v8, 29, v6
	s_delay_alu instid0(VALU_DEP_2)
	v_and_b32_e32 v6, 7, v10
; %bb.167:                              ;   in Loop: Header=BB279_15 Depth=1
	s_or_b32 exec_lo, exec_lo, s19
	s_delay_alu instid0(VALU_DEP_1) | instskip(NEXT) | instid1(VALU_DEP_3)
	v_dual_lshlrev_b32 v0, 8, v0 :: v_dual_lshlrev_b32 v6, 7, v6
	v_lshl_add_u32 v8, v8, 10, 0x2000
	s_delay_alu instid0(VALU_DEP_2) | instskip(NEXT) | instid1(VALU_DEP_2)
	v_and_b32_e32 v0, 0x8000, v0
	v_and_b32_e32 v8, 0xfc00, v8
	s_delay_alu instid0(VALU_DEP_1)
	v_or3_b32 v66, v0, v8, v6
.LBB279_168:                            ;   in Loop: Header=BB279_15 Depth=1
	s_or_b32 exec_lo, exec_lo, s18
.LBB279_169:                            ;   in Loop: Header=BB279_15 Depth=1
	s_delay_alu instid0(SALU_CYCLE_1)
	s_or_b32 exec_lo, exec_lo, s17
.LBB279_170:                            ;   in Loop: Header=BB279_15 Depth=1
	s_delay_alu instid0(SALU_CYCLE_1)
	s_or_b32 exec_lo, exec_lo, s16
	v_dual_mov_b32 v67, 0 :: v_dual_mov_b32 v68, 0
	s_mov_b32 s16, exec_lo
	v_cmpx_lt_u32_e32 0xffffff, v4
	s_cbranch_execz .LBB279_178
; %bb.171:                              ;   in Loop: Header=BB279_15 Depth=1
	v_lshrrev_b32_e32 v24, 24, v4
	v_bfrev_b32_e32 v68, 1
	s_mov_b32 s17, exec_lo
	s_delay_alu instid0(VALU_DEP_2)
	v_cmpx_ne_u32_e32 0x80, v24
	s_cbranch_execz .LBB279_177
; %bb.172:                              ;   in Loop: Header=BB279_15 Depth=1
	v_and_b32_e32 v8, 0x7f, v24
	v_mov_b32_e32 v68, 0x7c010000
	s_mov_b32 s18, exec_lo
	s_delay_alu instid0(VALU_DEP_2)
	v_cmpx_ne_u32_e32 0x7f, v8
	s_cbranch_execz .LBB279_176
; %bb.173:                              ;   in Loop: Header=BB279_15 Depth=1
	v_and_b32_e32 v0, 7, v24
	v_lshrrev_b32_e32 v6, 3, v8
	s_mov_b32 s19, exec_lo
	v_cmpx_gt_u32_e32 8, v8
; %bb.174:                              ;   in Loop: Header=BB279_15 Depth=1
	s_delay_alu instid0(VALU_DEP_3) | instskip(NEXT) | instid1(VALU_DEP_1)
	v_clz_i32_u32_e32 v0, v0
	v_min_u32_e32 v0, 32, v0
	s_delay_alu instid0(VALU_DEP_1) | instskip(NEXT) | instid1(VALU_DEP_1)
	v_subrev_nc_u32_e32 v6, 28, v0
	v_lshlrev_b64_e32 v[8:9], v6, v[24:25]
	v_sub_nc_u32_e32 v6, 29, v0
	s_delay_alu instid0(VALU_DEP_2)
	v_and_b32_e32 v0, 7, v8
; %bb.175:                              ;   in Loop: Header=BB279_15 Depth=1
	s_or_b32 exec_lo, exec_lo, s19
	v_lshlrev_b32_e32 v8, 8, v24
	s_delay_alu instid0(VALU_DEP_3) | instskip(NEXT) | instid1(VALU_DEP_3)
	v_lshl_add_u32 v6, v6, 10, 0x2000
	v_lshlrev_b32_e32 v0, 23, v0
	s_delay_alu instid0(VALU_DEP_2) | instskip(NEXT) | instid1(VALU_DEP_1)
	v_and_or_b32 v6, 0x8000, v8, v6
	v_lshl_or_b32 v68, v6, 16, v0
.LBB279_176:                            ;   in Loop: Header=BB279_15 Depth=1
	s_or_b32 exec_lo, exec_lo, s18
.LBB279_177:                            ;   in Loop: Header=BB279_15 Depth=1
	s_delay_alu instid0(SALU_CYCLE_1)
	s_or_b32 exec_lo, exec_lo, s17
.LBB279_178:                            ;   in Loop: Header=BB279_15 Depth=1
	s_delay_alu instid0(SALU_CYCLE_1) | instskip(SKIP_3) | instid1(VALU_DEP_2)
	s_or_b32 exec_lo, exec_lo, s16
	v_and_b32_e32 v0, 0xff, v5
	v_mov_b32_e32 v24, v5
	s_mov_b32 s16, exec_lo
	v_cmpx_ne_u16_e32 0, v0
	s_cbranch_execz .LBB279_186
; %bb.179:                              ;   in Loop: Header=BB279_15 Depth=1
	v_mov_b32_e32 v67, 0x8000
	s_mov_b32 s17, exec_lo
	v_cmpx_ne_u16_e32 0x80, v0
	s_cbranch_execz .LBB279_185
; %bb.180:                              ;   in Loop: Header=BB279_15 Depth=1
	v_and_b32_e32 v8, 0x7f, v5
	v_mov_b32_e32 v67, 0x7c01
	s_mov_b32 s18, exec_lo
	s_delay_alu instid0(VALU_DEP_2)
	v_cmpx_ne_u32_e32 0x7f, v8
	s_cbranch_execz .LBB279_184
; %bb.181:                              ;   in Loop: Header=BB279_15 Depth=1
	v_dual_lshrrev_b32 v6, 3, v8 :: v_dual_bitop2_b32 v0, 7, v5 bitop3:0x40
	s_mov_b32 s19, exec_lo
	v_cmpx_gt_u32_e32 8, v8
; %bb.182:                              ;   in Loop: Header=BB279_15 Depth=1
	s_delay_alu instid0(VALU_DEP_2) | instskip(NEXT) | instid1(VALU_DEP_1)
	v_clz_i32_u32_e32 v0, v0
	v_min_u32_e32 v0, 32, v0
	s_delay_alu instid0(VALU_DEP_1) | instskip(NEXT) | instid1(VALU_DEP_1)
	v_subrev_nc_u32_e32 v6, 28, v0
	v_lshlrev_b64_e32 v[8:9], v6, v[24:25]
	v_sub_nc_u32_e32 v6, 29, v0
	s_delay_alu instid0(VALU_DEP_2)
	v_and_b32_e32 v0, 7, v8
; %bb.183:                              ;   in Loop: Header=BB279_15 Depth=1
	s_or_b32 exec_lo, exec_lo, s19
	s_delay_alu instid0(VALU_DEP_1) | instskip(NEXT) | instid1(VALU_DEP_3)
	v_dual_lshlrev_b32 v8, 8, v5 :: v_dual_lshlrev_b32 v0, 7, v0
	v_lshl_add_u32 v6, v6, 10, 0x2000
	s_delay_alu instid0(VALU_DEP_2) | instskip(NEXT) | instid1(VALU_DEP_2)
	v_and_b32_e32 v8, 0x8000, v8
	v_and_b32_e32 v6, 0xfc00, v6
	s_delay_alu instid0(VALU_DEP_1)
	v_or3_b32 v67, v8, v6, v0
.LBB279_184:                            ;   in Loop: Header=BB279_15 Depth=1
	s_or_b32 exec_lo, exec_lo, s18
.LBB279_185:                            ;   in Loop: Header=BB279_15 Depth=1
	s_delay_alu instid0(SALU_CYCLE_1)
	s_or_b32 exec_lo, exec_lo, s17
.LBB279_186:                            ;   in Loop: Header=BB279_15 Depth=1
	s_delay_alu instid0(SALU_CYCLE_1) | instskip(SKIP_3) | instid1(VALU_DEP_2)
	s_or_b32 exec_lo, exec_lo, s16
	v_lshrrev_b16 v24, 8, v24
	v_dual_mov_b32 v70, 0 :: v_dual_mov_b32 v69, 0
	s_mov_b32 s16, exec_lo
	v_cmpx_ne_u16_e32 0, v24
	s_cbranch_execz .LBB279_194
; %bb.187:                              ;   in Loop: Header=BB279_15 Depth=1
	v_bfrev_b32_e32 v69, 1
	s_mov_b32 s17, exec_lo
	v_cmpx_ne_u16_e32 0x80, v24
	s_cbranch_execz .LBB279_193
; %bb.188:                              ;   in Loop: Header=BB279_15 Depth=1
	v_and_b32_e32 v0, 0xffff, v24
	v_mov_b32_e32 v69, 0x7c010000
	s_mov_b32 s18, exec_lo
	s_delay_alu instid0(VALU_DEP_2) | instskip(NEXT) | instid1(VALU_DEP_1)
	v_and_b32_e32 v9, 0x7f, v0
	v_cmpx_ne_u32_e32 0x7f, v9
	s_cbranch_execz .LBB279_192
; %bb.189:                              ;   in Loop: Header=BB279_15 Depth=1
	v_dual_lshrrev_b32 v8, 3, v9 :: v_dual_bitop2_b32 v6, 7, v0 bitop3:0x40
	s_mov_b32 s19, exec_lo
	v_cmpx_gt_u32_e32 8, v9
; %bb.190:                              ;   in Loop: Header=BB279_15 Depth=1
	s_delay_alu instid0(VALU_DEP_2) | instskip(NEXT) | instid1(VALU_DEP_1)
	v_clz_i32_u32_e32 v6, v6
	v_min_u32_e32 v6, 32, v6
	s_delay_alu instid0(VALU_DEP_1) | instskip(NEXT) | instid1(VALU_DEP_1)
	v_subrev_nc_u32_e32 v8, 28, v6
	v_lshlrev_b64_e32 v[10:11], v8, v[24:25]
	v_sub_nc_u32_e32 v8, 29, v6
	s_delay_alu instid0(VALU_DEP_2)
	v_and_b32_e32 v6, 7, v10
; %bb.191:                              ;   in Loop: Header=BB279_15 Depth=1
	s_or_b32 exec_lo, exec_lo, s19
	s_delay_alu instid0(VALU_DEP_1) | instskip(NEXT) | instid1(VALU_DEP_3)
	v_dual_lshlrev_b32 v0, 8, v0 :: v_dual_lshlrev_b32 v6, 23, v6
	v_lshl_add_u32 v8, v8, 10, 0x2000
	s_delay_alu instid0(VALU_DEP_1) | instskip(NEXT) | instid1(VALU_DEP_1)
	v_and_or_b32 v0, 0x8000, v0, v8
	v_lshl_or_b32 v69, v0, 16, v6
.LBB279_192:                            ;   in Loop: Header=BB279_15 Depth=1
	s_or_b32 exec_lo, exec_lo, s18
.LBB279_193:                            ;   in Loop: Header=BB279_15 Depth=1
	s_delay_alu instid0(SALU_CYCLE_1)
	s_or_b32 exec_lo, exec_lo, s17
.LBB279_194:                            ;   in Loop: Header=BB279_15 Depth=1
	s_delay_alu instid0(SALU_CYCLE_1) | instskip(SKIP_2) | instid1(VALU_DEP_1)
	s_or_b32 exec_lo, exec_lo, s16
	v_lshrrev_b32_e32 v0, 16, v5
	s_mov_b32 s16, exec_lo
	v_and_b32_e32 v6, 0xff, v0
	s_delay_alu instid0(VALU_DEP_1)
	v_cmpx_ne_u16_e32 0, v6
	s_cbranch_execz .LBB279_202
; %bb.195:                              ;   in Loop: Header=BB279_15 Depth=1
	v_mov_b32_e32 v70, 0x8000
	s_mov_b32 s17, exec_lo
	v_cmpx_ne_u16_e32 0x80, v6
	s_cbranch_execz .LBB279_201
; %bb.196:                              ;   in Loop: Header=BB279_15 Depth=1
	v_bfe_u32 v9, v5, 16, 7
	v_mov_b32_e32 v70, 0x7c01
	s_mov_b32 s18, exec_lo
	s_delay_alu instid0(VALU_DEP_2)
	v_cmpx_ne_u32_e32 0x7f, v9
	s_cbranch_execz .LBB279_200
; %bb.197:                              ;   in Loop: Header=BB279_15 Depth=1
	v_dual_lshrrev_b32 v8, 3, v9 :: v_dual_bitop2_b32 v6, 7, v0 bitop3:0x40
	s_mov_b32 s19, exec_lo
	v_cmpx_gt_u32_e32 8, v9
; %bb.198:                              ;   in Loop: Header=BB279_15 Depth=1
	s_delay_alu instid0(VALU_DEP_2) | instskip(NEXT) | instid1(VALU_DEP_1)
	v_clz_i32_u32_e32 v6, v6
	v_min_u32_e32 v6, 32, v6
	s_delay_alu instid0(VALU_DEP_1) | instskip(NEXT) | instid1(VALU_DEP_1)
	v_subrev_nc_u32_e32 v8, 28, v6
	v_lshlrev_b64_e32 v[10:11], v8, v[0:1]
	v_sub_nc_u32_e32 v8, 29, v6
	s_delay_alu instid0(VALU_DEP_2)
	v_and_b32_e32 v6, 7, v10
; %bb.199:                              ;   in Loop: Header=BB279_15 Depth=1
	s_or_b32 exec_lo, exec_lo, s19
	s_delay_alu instid0(VALU_DEP_1) | instskip(NEXT) | instid1(VALU_DEP_3)
	v_dual_lshlrev_b32 v0, 8, v0 :: v_dual_lshlrev_b32 v6, 7, v6
	v_lshl_add_u32 v8, v8, 10, 0x2000
	s_delay_alu instid0(VALU_DEP_2) | instskip(NEXT) | instid1(VALU_DEP_2)
	v_and_b32_e32 v0, 0x8000, v0
	v_and_b32_e32 v8, 0xfc00, v8
	s_delay_alu instid0(VALU_DEP_1)
	v_or3_b32 v70, v0, v8, v6
.LBB279_200:                            ;   in Loop: Header=BB279_15 Depth=1
	s_or_b32 exec_lo, exec_lo, s18
.LBB279_201:                            ;   in Loop: Header=BB279_15 Depth=1
	s_delay_alu instid0(SALU_CYCLE_1)
	s_or_b32 exec_lo, exec_lo, s17
.LBB279_202:                            ;   in Loop: Header=BB279_15 Depth=1
	s_delay_alu instid0(SALU_CYCLE_1)
	s_or_b32 exec_lo, exec_lo, s16
	v_dual_mov_b32 v71, 0 :: v_dual_mov_b32 v80, 0
	s_mov_b32 s16, exec_lo
	v_cmpx_lt_u64_e64 s[8:9], v[4:5]
	s_cbranch_execz .LBB279_210
; %bb.203:                              ;   in Loop: Header=BB279_15 Depth=1
	v_lshrrev_b32_e32 v24, 24, v5
	v_bfrev_b32_e32 v80, 1
	s_mov_b32 s17, exec_lo
	s_delay_alu instid0(VALU_DEP_2)
	v_cmpx_ne_u32_e32 0x80, v24
	s_cbranch_execz .LBB279_209
; %bb.204:                              ;   in Loop: Header=BB279_15 Depth=1
	v_and_b32_e32 v5, 0x7f, v24
	v_mov_b32_e32 v80, 0x7c010000
	s_mov_b32 s18, exec_lo
	s_delay_alu instid0(VALU_DEP_2)
	v_cmpx_ne_u32_e32 0x7f, v5
	s_cbranch_execz .LBB279_208
; %bb.205:                              ;   in Loop: Header=BB279_15 Depth=1
	v_dual_lshrrev_b32 v4, 3, v5 :: v_dual_bitop2_b32 v0, 7, v24 bitop3:0x40
	s_mov_b32 s19, exec_lo
	v_cmpx_gt_u32_e32 8, v5
; %bb.206:                              ;   in Loop: Header=BB279_15 Depth=1
	s_delay_alu instid0(VALU_DEP_2) | instskip(NEXT) | instid1(VALU_DEP_1)
	v_clz_i32_u32_e32 v0, v0
	v_min_u32_e32 v0, 32, v0
	s_delay_alu instid0(VALU_DEP_1) | instskip(NEXT) | instid1(VALU_DEP_1)
	v_subrev_nc_u32_e32 v4, 28, v0
	v_lshlrev_b64_e32 v[8:9], v4, v[24:25]
	v_sub_nc_u32_e32 v4, 29, v0
	s_delay_alu instid0(VALU_DEP_2)
	v_and_b32_e32 v0, 7, v8
; %bb.207:                              ;   in Loop: Header=BB279_15 Depth=1
	s_or_b32 exec_lo, exec_lo, s19
	v_lshlrev_b32_e32 v5, 8, v24
	s_delay_alu instid0(VALU_DEP_3) | instskip(NEXT) | instid1(VALU_DEP_3)
	v_lshl_add_u32 v4, v4, 10, 0x2000
	v_lshlrev_b32_e32 v0, 23, v0
	s_delay_alu instid0(VALU_DEP_2) | instskip(NEXT) | instid1(VALU_DEP_1)
	v_and_or_b32 v4, 0x8000, v5, v4
	v_lshl_or_b32 v80, v4, 16, v0
.LBB279_208:                            ;   in Loop: Header=BB279_15 Depth=1
	s_or_b32 exec_lo, exec_lo, s18
.LBB279_209:                            ;   in Loop: Header=BB279_15 Depth=1
	s_delay_alu instid0(SALU_CYCLE_1)
	s_or_b32 exec_lo, exec_lo, s17
.LBB279_210:                            ;   in Loop: Header=BB279_15 Depth=1
	s_delay_alu instid0(SALU_CYCLE_1)
	s_or_b32 exec_lo, exec_lo, s16
	flat_load_b64 v[4:5], v[2:3] offset:520
	s_mov_b32 s16, exec_lo
	s_wait_loadcnt_dscnt 0x0
	v_and_b32_e32 v0, 0xff, v4
	s_wait_xcnt 0x0
	s_delay_alu instid0(VALU_DEP_1)
	v_cmpx_ne_u16_e32 0, v0
	s_cbranch_execz .LBB279_218
; %bb.211:                              ;   in Loop: Header=BB279_15 Depth=1
	v_mov_b32_e32 v71, 0x8000
	s_mov_b32 s17, exec_lo
	v_cmpx_ne_u16_e32 0x80, v0
	s_cbranch_execz .LBB279_217
; %bb.212:                              ;   in Loop: Header=BB279_15 Depth=1
	v_and_b32_e32 v8, 0x7f, v4
	v_mov_b32_e32 v71, 0x7c01
	s_mov_b32 s18, exec_lo
	s_delay_alu instid0(VALU_DEP_2)
	v_cmpx_ne_u32_e32 0x7f, v8
	s_cbranch_execz .LBB279_216
; %bb.213:                              ;   in Loop: Header=BB279_15 Depth=1
	v_and_b32_e32 v0, 7, v4
	v_lshrrev_b32_e32 v6, 3, v8
	s_mov_b32 s19, exec_lo
	v_cmpx_gt_u32_e32 8, v8
; %bb.214:                              ;   in Loop: Header=BB279_15 Depth=1
	s_delay_alu instid0(VALU_DEP_3) | instskip(NEXT) | instid1(VALU_DEP_1)
	v_clz_i32_u32_e32 v0, v0
	v_min_u32_e32 v0, 32, v0
	s_delay_alu instid0(VALU_DEP_1) | instskip(NEXT) | instid1(VALU_DEP_1)
	v_subrev_nc_u32_e32 v6, 28, v0
	v_lshlrev_b64_e32 v[8:9], v6, v[4:5]
	v_sub_nc_u32_e32 v6, 29, v0
	s_delay_alu instid0(VALU_DEP_2)
	v_and_b32_e32 v0, 7, v8
; %bb.215:                              ;   in Loop: Header=BB279_15 Depth=1
	s_or_b32 exec_lo, exec_lo, s19
	v_lshlrev_b32_e32 v8, 8, v4
	s_delay_alu instid0(VALU_DEP_3) | instskip(NEXT) | instid1(VALU_DEP_3)
	v_lshl_add_u32 v6, v6, 10, 0x2000
	v_lshlrev_b32_e32 v0, 7, v0
	s_delay_alu instid0(VALU_DEP_3) | instskip(NEXT) | instid1(VALU_DEP_3)
	v_and_b32_e32 v8, 0x8000, v8
	v_and_b32_e32 v6, 0xfc00, v6
	s_delay_alu instid0(VALU_DEP_1)
	v_or3_b32 v71, v8, v6, v0
.LBB279_216:                            ;   in Loop: Header=BB279_15 Depth=1
	s_or_b32 exec_lo, exec_lo, s18
.LBB279_217:                            ;   in Loop: Header=BB279_15 Depth=1
	s_delay_alu instid0(SALU_CYCLE_1)
	s_or_b32 exec_lo, exec_lo, s17
.LBB279_218:                            ;   in Loop: Header=BB279_15 Depth=1
	s_delay_alu instid0(SALU_CYCLE_1) | instskip(SKIP_3) | instid1(VALU_DEP_2)
	s_or_b32 exec_lo, exec_lo, s16
	v_lshrrev_b16 v24, 8, v4
	v_dual_mov_b32 v56, 0 :: v_dual_mov_b32 v82, 0
	s_mov_b32 s16, exec_lo
	v_cmpx_ne_u16_e32 0, v24
	s_cbranch_execz .LBB279_226
; %bb.219:                              ;   in Loop: Header=BB279_15 Depth=1
	v_bfrev_b32_e32 v82, 1
	s_mov_b32 s17, exec_lo
	v_cmpx_ne_u16_e32 0x80, v24
	s_cbranch_execz .LBB279_225
; %bb.220:                              ;   in Loop: Header=BB279_15 Depth=1
	v_and_b32_e32 v0, 0xffff, v24
	v_mov_b32_e32 v82, 0x7c010000
	s_mov_b32 s18, exec_lo
	s_delay_alu instid0(VALU_DEP_2) | instskip(NEXT) | instid1(VALU_DEP_1)
	v_and_b32_e32 v9, 0x7f, v0
	v_cmpx_ne_u32_e32 0x7f, v9
	s_cbranch_execz .LBB279_224
; %bb.221:                              ;   in Loop: Header=BB279_15 Depth=1
	v_dual_lshrrev_b32 v8, 3, v9 :: v_dual_bitop2_b32 v6, 7, v0 bitop3:0x40
	s_mov_b32 s19, exec_lo
	v_cmpx_gt_u32_e32 8, v9
; %bb.222:                              ;   in Loop: Header=BB279_15 Depth=1
	s_delay_alu instid0(VALU_DEP_2) | instskip(NEXT) | instid1(VALU_DEP_1)
	v_clz_i32_u32_e32 v6, v6
	v_min_u32_e32 v6, 32, v6
	s_delay_alu instid0(VALU_DEP_1) | instskip(NEXT) | instid1(VALU_DEP_1)
	v_subrev_nc_u32_e32 v8, 28, v6
	v_lshlrev_b64_e32 v[10:11], v8, v[24:25]
	v_sub_nc_u32_e32 v8, 29, v6
	s_delay_alu instid0(VALU_DEP_2)
	v_and_b32_e32 v6, 7, v10
; %bb.223:                              ;   in Loop: Header=BB279_15 Depth=1
	s_or_b32 exec_lo, exec_lo, s19
	s_delay_alu instid0(VALU_DEP_1) | instskip(NEXT) | instid1(VALU_DEP_3)
	v_dual_lshlrev_b32 v0, 8, v0 :: v_dual_lshlrev_b32 v6, 23, v6
	v_lshl_add_u32 v8, v8, 10, 0x2000
	s_delay_alu instid0(VALU_DEP_1) | instskip(NEXT) | instid1(VALU_DEP_1)
	v_and_or_b32 v0, 0x8000, v0, v8
	v_lshl_or_b32 v82, v0, 16, v6
.LBB279_224:                            ;   in Loop: Header=BB279_15 Depth=1
	s_or_b32 exec_lo, exec_lo, s18
.LBB279_225:                            ;   in Loop: Header=BB279_15 Depth=1
	s_delay_alu instid0(SALU_CYCLE_1)
	s_or_b32 exec_lo, exec_lo, s17
.LBB279_226:                            ;   in Loop: Header=BB279_15 Depth=1
	s_delay_alu instid0(SALU_CYCLE_1) | instskip(SKIP_2) | instid1(VALU_DEP_1)
	s_or_b32 exec_lo, exec_lo, s16
	v_lshrrev_b32_e32 v0, 16, v4
	s_mov_b32 s16, exec_lo
	v_and_b32_e32 v6, 0xff, v0
	s_delay_alu instid0(VALU_DEP_1)
	v_cmpx_ne_u16_e32 0, v6
	s_cbranch_execz .LBB279_234
; %bb.227:                              ;   in Loop: Header=BB279_15 Depth=1
	v_mov_b32_e32 v56, 0x8000
	s_mov_b32 s17, exec_lo
	v_cmpx_ne_u16_e32 0x80, v6
	s_cbranch_execz .LBB279_233
; %bb.228:                              ;   in Loop: Header=BB279_15 Depth=1
	v_bfe_u32 v9, v4, 16, 7
	v_mov_b32_e32 v56, 0x7c01
	s_mov_b32 s18, exec_lo
	s_delay_alu instid0(VALU_DEP_2)
	v_cmpx_ne_u32_e32 0x7f, v9
	s_cbranch_execz .LBB279_232
; %bb.229:                              ;   in Loop: Header=BB279_15 Depth=1
	v_dual_lshrrev_b32 v8, 3, v9 :: v_dual_bitop2_b32 v6, 7, v0 bitop3:0x40
	s_mov_b32 s19, exec_lo
	v_cmpx_gt_u32_e32 8, v9
; %bb.230:                              ;   in Loop: Header=BB279_15 Depth=1
	s_delay_alu instid0(VALU_DEP_2) | instskip(NEXT) | instid1(VALU_DEP_1)
	v_clz_i32_u32_e32 v6, v6
	v_min_u32_e32 v6, 32, v6
	s_delay_alu instid0(VALU_DEP_1) | instskip(NEXT) | instid1(VALU_DEP_1)
	v_subrev_nc_u32_e32 v8, 28, v6
	v_lshlrev_b64_e32 v[10:11], v8, v[0:1]
	v_sub_nc_u32_e32 v8, 29, v6
	s_delay_alu instid0(VALU_DEP_2)
	v_and_b32_e32 v6, 7, v10
; %bb.231:                              ;   in Loop: Header=BB279_15 Depth=1
	s_or_b32 exec_lo, exec_lo, s19
	s_delay_alu instid0(VALU_DEP_1) | instskip(NEXT) | instid1(VALU_DEP_3)
	v_dual_lshlrev_b32 v0, 8, v0 :: v_dual_lshlrev_b32 v6, 7, v6
	v_lshl_add_u32 v8, v8, 10, 0x2000
	s_delay_alu instid0(VALU_DEP_2) | instskip(NEXT) | instid1(VALU_DEP_2)
	v_and_b32_e32 v0, 0x8000, v0
	v_and_b32_e32 v8, 0xfc00, v8
	s_delay_alu instid0(VALU_DEP_1)
	v_or3_b32 v56, v0, v8, v6
.LBB279_232:                            ;   in Loop: Header=BB279_15 Depth=1
	s_or_b32 exec_lo, exec_lo, s18
.LBB279_233:                            ;   in Loop: Header=BB279_15 Depth=1
	s_delay_alu instid0(SALU_CYCLE_1)
	s_or_b32 exec_lo, exec_lo, s17
.LBB279_234:                            ;   in Loop: Header=BB279_15 Depth=1
	s_delay_alu instid0(SALU_CYCLE_1)
	s_or_b32 exec_lo, exec_lo, s16
	v_dual_mov_b32 v84, 0 :: v_dual_mov_b32 v85, 0
	s_mov_b32 s16, exec_lo
	v_cmpx_lt_u32_e32 0xffffff, v4
	s_cbranch_execz .LBB279_242
; %bb.235:                              ;   in Loop: Header=BB279_15 Depth=1
	v_lshrrev_b32_e32 v24, 24, v4
	v_bfrev_b32_e32 v85, 1
	s_mov_b32 s17, exec_lo
	s_delay_alu instid0(VALU_DEP_2)
	v_cmpx_ne_u32_e32 0x80, v24
	s_cbranch_execz .LBB279_241
; %bb.236:                              ;   in Loop: Header=BB279_15 Depth=1
	v_and_b32_e32 v8, 0x7f, v24
	v_mov_b32_e32 v85, 0x7c010000
	s_mov_b32 s18, exec_lo
	s_delay_alu instid0(VALU_DEP_2)
	v_cmpx_ne_u32_e32 0x7f, v8
	s_cbranch_execz .LBB279_240
; %bb.237:                              ;   in Loop: Header=BB279_15 Depth=1
	v_and_b32_e32 v0, 7, v24
	v_lshrrev_b32_e32 v6, 3, v8
	s_mov_b32 s19, exec_lo
	v_cmpx_gt_u32_e32 8, v8
; %bb.238:                              ;   in Loop: Header=BB279_15 Depth=1
	s_delay_alu instid0(VALU_DEP_3) | instskip(NEXT) | instid1(VALU_DEP_1)
	v_clz_i32_u32_e32 v0, v0
	v_min_u32_e32 v0, 32, v0
	s_delay_alu instid0(VALU_DEP_1) | instskip(NEXT) | instid1(VALU_DEP_1)
	v_subrev_nc_u32_e32 v6, 28, v0
	v_lshlrev_b64_e32 v[8:9], v6, v[24:25]
	v_sub_nc_u32_e32 v6, 29, v0
	s_delay_alu instid0(VALU_DEP_2)
	v_and_b32_e32 v0, 7, v8
; %bb.239:                              ;   in Loop: Header=BB279_15 Depth=1
	s_or_b32 exec_lo, exec_lo, s19
	v_lshlrev_b32_e32 v8, 8, v24
	s_delay_alu instid0(VALU_DEP_3) | instskip(NEXT) | instid1(VALU_DEP_3)
	v_lshl_add_u32 v6, v6, 10, 0x2000
	v_lshlrev_b32_e32 v0, 23, v0
	s_delay_alu instid0(VALU_DEP_2) | instskip(NEXT) | instid1(VALU_DEP_1)
	v_and_or_b32 v6, 0x8000, v8, v6
	v_lshl_or_b32 v85, v6, 16, v0
.LBB279_240:                            ;   in Loop: Header=BB279_15 Depth=1
	s_or_b32 exec_lo, exec_lo, s18
.LBB279_241:                            ;   in Loop: Header=BB279_15 Depth=1
	s_delay_alu instid0(SALU_CYCLE_1)
	s_or_b32 exec_lo, exec_lo, s17
.LBB279_242:                            ;   in Loop: Header=BB279_15 Depth=1
	s_delay_alu instid0(SALU_CYCLE_1) | instskip(SKIP_3) | instid1(VALU_DEP_2)
	s_or_b32 exec_lo, exec_lo, s16
	v_and_b32_e32 v0, 0xff, v5
	v_mov_b32_e32 v24, v5
	s_mov_b32 s16, exec_lo
	v_cmpx_ne_u16_e32 0, v0
	s_cbranch_execz .LBB279_250
; %bb.243:                              ;   in Loop: Header=BB279_15 Depth=1
	v_mov_b32_e32 v84, 0x8000
	s_mov_b32 s17, exec_lo
	v_cmpx_ne_u16_e32 0x80, v0
	s_cbranch_execz .LBB279_249
; %bb.244:                              ;   in Loop: Header=BB279_15 Depth=1
	v_and_b32_e32 v8, 0x7f, v5
	v_mov_b32_e32 v84, 0x7c01
	s_mov_b32 s18, exec_lo
	s_delay_alu instid0(VALU_DEP_2)
	v_cmpx_ne_u32_e32 0x7f, v8
	s_cbranch_execz .LBB279_248
; %bb.245:                              ;   in Loop: Header=BB279_15 Depth=1
	v_dual_lshrrev_b32 v6, 3, v8 :: v_dual_bitop2_b32 v0, 7, v5 bitop3:0x40
	s_mov_b32 s19, exec_lo
	v_cmpx_gt_u32_e32 8, v8
; %bb.246:                              ;   in Loop: Header=BB279_15 Depth=1
	s_delay_alu instid0(VALU_DEP_2) | instskip(NEXT) | instid1(VALU_DEP_1)
	v_clz_i32_u32_e32 v0, v0
	v_min_u32_e32 v0, 32, v0
	s_delay_alu instid0(VALU_DEP_1) | instskip(NEXT) | instid1(VALU_DEP_1)
	v_subrev_nc_u32_e32 v6, 28, v0
	v_lshlrev_b64_e32 v[8:9], v6, v[24:25]
	v_sub_nc_u32_e32 v6, 29, v0
	s_delay_alu instid0(VALU_DEP_2)
	v_and_b32_e32 v0, 7, v8
; %bb.247:                              ;   in Loop: Header=BB279_15 Depth=1
	s_or_b32 exec_lo, exec_lo, s19
	s_delay_alu instid0(VALU_DEP_1) | instskip(NEXT) | instid1(VALU_DEP_3)
	v_dual_lshlrev_b32 v8, 8, v5 :: v_dual_lshlrev_b32 v0, 7, v0
	v_lshl_add_u32 v6, v6, 10, 0x2000
	s_delay_alu instid0(VALU_DEP_2) | instskip(NEXT) | instid1(VALU_DEP_2)
	v_and_b32_e32 v8, 0x8000, v8
	v_and_b32_e32 v6, 0xfc00, v6
	s_delay_alu instid0(VALU_DEP_1)
	v_or3_b32 v84, v8, v6, v0
.LBB279_248:                            ;   in Loop: Header=BB279_15 Depth=1
	s_or_b32 exec_lo, exec_lo, s18
.LBB279_249:                            ;   in Loop: Header=BB279_15 Depth=1
	s_delay_alu instid0(SALU_CYCLE_1)
	s_or_b32 exec_lo, exec_lo, s17
.LBB279_250:                            ;   in Loop: Header=BB279_15 Depth=1
	s_delay_alu instid0(SALU_CYCLE_1) | instskip(SKIP_3) | instid1(VALU_DEP_2)
	s_or_b32 exec_lo, exec_lo, s16
	v_lshrrev_b16 v24, 8, v24
	v_dual_mov_b32 v86, 0 :: v_dual_mov_b32 v87, 0
	s_mov_b32 s16, exec_lo
	v_cmpx_ne_u16_e32 0, v24
	s_cbranch_execz .LBB279_258
; %bb.251:                              ;   in Loop: Header=BB279_15 Depth=1
	v_bfrev_b32_e32 v87, 1
	s_mov_b32 s17, exec_lo
	v_cmpx_ne_u16_e32 0x80, v24
	s_cbranch_execz .LBB279_257
; %bb.252:                              ;   in Loop: Header=BB279_15 Depth=1
	v_and_b32_e32 v0, 0xffff, v24
	v_mov_b32_e32 v87, 0x7c010000
	s_mov_b32 s18, exec_lo
	s_delay_alu instid0(VALU_DEP_2) | instskip(NEXT) | instid1(VALU_DEP_1)
	v_and_b32_e32 v9, 0x7f, v0
	v_cmpx_ne_u32_e32 0x7f, v9
	s_cbranch_execz .LBB279_256
; %bb.253:                              ;   in Loop: Header=BB279_15 Depth=1
	v_dual_lshrrev_b32 v8, 3, v9 :: v_dual_bitop2_b32 v6, 7, v0 bitop3:0x40
	s_mov_b32 s19, exec_lo
	v_cmpx_gt_u32_e32 8, v9
; %bb.254:                              ;   in Loop: Header=BB279_15 Depth=1
	s_delay_alu instid0(VALU_DEP_2) | instskip(NEXT) | instid1(VALU_DEP_1)
	v_clz_i32_u32_e32 v6, v6
	v_min_u32_e32 v6, 32, v6
	s_delay_alu instid0(VALU_DEP_1) | instskip(NEXT) | instid1(VALU_DEP_1)
	v_subrev_nc_u32_e32 v8, 28, v6
	v_lshlrev_b64_e32 v[10:11], v8, v[24:25]
	v_sub_nc_u32_e32 v8, 29, v6
	s_delay_alu instid0(VALU_DEP_2)
	v_and_b32_e32 v6, 7, v10
; %bb.255:                              ;   in Loop: Header=BB279_15 Depth=1
	s_or_b32 exec_lo, exec_lo, s19
	s_delay_alu instid0(VALU_DEP_1) | instskip(NEXT) | instid1(VALU_DEP_3)
	v_dual_lshlrev_b32 v0, 8, v0 :: v_dual_lshlrev_b32 v6, 23, v6
	v_lshl_add_u32 v8, v8, 10, 0x2000
	s_delay_alu instid0(VALU_DEP_1) | instskip(NEXT) | instid1(VALU_DEP_1)
	v_and_or_b32 v0, 0x8000, v0, v8
	v_lshl_or_b32 v87, v0, 16, v6
.LBB279_256:                            ;   in Loop: Header=BB279_15 Depth=1
	s_or_b32 exec_lo, exec_lo, s18
.LBB279_257:                            ;   in Loop: Header=BB279_15 Depth=1
	s_delay_alu instid0(SALU_CYCLE_1)
	s_or_b32 exec_lo, exec_lo, s17
.LBB279_258:                            ;   in Loop: Header=BB279_15 Depth=1
	s_delay_alu instid0(SALU_CYCLE_1) | instskip(SKIP_2) | instid1(VALU_DEP_1)
	s_or_b32 exec_lo, exec_lo, s16
	v_lshrrev_b32_e32 v0, 16, v5
	s_mov_b32 s16, exec_lo
	v_and_b32_e32 v6, 0xff, v0
	s_delay_alu instid0(VALU_DEP_1)
	v_cmpx_ne_u16_e32 0, v6
	s_cbranch_execz .LBB279_266
; %bb.259:                              ;   in Loop: Header=BB279_15 Depth=1
	v_mov_b32_e32 v86, 0x8000
	s_mov_b32 s17, exec_lo
	v_cmpx_ne_u16_e32 0x80, v6
	s_cbranch_execz .LBB279_265
; %bb.260:                              ;   in Loop: Header=BB279_15 Depth=1
	v_bfe_u32 v9, v5, 16, 7
	v_mov_b32_e32 v86, 0x7c01
	s_mov_b32 s18, exec_lo
	s_delay_alu instid0(VALU_DEP_2)
	v_cmpx_ne_u32_e32 0x7f, v9
	s_cbranch_execz .LBB279_264
; %bb.261:                              ;   in Loop: Header=BB279_15 Depth=1
	v_dual_lshrrev_b32 v8, 3, v9 :: v_dual_bitop2_b32 v6, 7, v0 bitop3:0x40
	s_mov_b32 s19, exec_lo
	v_cmpx_gt_u32_e32 8, v9
; %bb.262:                              ;   in Loop: Header=BB279_15 Depth=1
	s_delay_alu instid0(VALU_DEP_2) | instskip(NEXT) | instid1(VALU_DEP_1)
	v_clz_i32_u32_e32 v6, v6
	v_min_u32_e32 v6, 32, v6
	s_delay_alu instid0(VALU_DEP_1) | instskip(NEXT) | instid1(VALU_DEP_1)
	v_subrev_nc_u32_e32 v8, 28, v6
	v_lshlrev_b64_e32 v[10:11], v8, v[0:1]
	v_sub_nc_u32_e32 v8, 29, v6
	s_delay_alu instid0(VALU_DEP_2)
	v_and_b32_e32 v6, 7, v10
; %bb.263:                              ;   in Loop: Header=BB279_15 Depth=1
	s_or_b32 exec_lo, exec_lo, s19
	s_delay_alu instid0(VALU_DEP_1) | instskip(NEXT) | instid1(VALU_DEP_3)
	v_dual_lshlrev_b32 v0, 8, v0 :: v_dual_lshlrev_b32 v6, 7, v6
	v_lshl_add_u32 v8, v8, 10, 0x2000
	s_delay_alu instid0(VALU_DEP_2) | instskip(NEXT) | instid1(VALU_DEP_2)
	v_and_b32_e32 v0, 0x8000, v0
	v_and_b32_e32 v8, 0xfc00, v8
	s_delay_alu instid0(VALU_DEP_1)
	v_or3_b32 v86, v0, v8, v6
.LBB279_264:                            ;   in Loop: Header=BB279_15 Depth=1
	s_or_b32 exec_lo, exec_lo, s18
.LBB279_265:                            ;   in Loop: Header=BB279_15 Depth=1
	s_delay_alu instid0(SALU_CYCLE_1)
	s_or_b32 exec_lo, exec_lo, s17
.LBB279_266:                            ;   in Loop: Header=BB279_15 Depth=1
	s_delay_alu instid0(SALU_CYCLE_1)
	s_or_b32 exec_lo, exec_lo, s16
	v_dual_mov_b32 v90, 0 :: v_dual_mov_b32 v97, 0
	s_mov_b32 s16, exec_lo
	v_cmpx_lt_u64_e64 s[8:9], v[4:5]
	s_cbranch_execz .LBB279_274
; %bb.267:                              ;   in Loop: Header=BB279_15 Depth=1
	v_lshrrev_b32_e32 v24, 24, v5
	v_bfrev_b32_e32 v97, 1
	s_mov_b32 s17, exec_lo
	s_delay_alu instid0(VALU_DEP_2)
	v_cmpx_ne_u32_e32 0x80, v24
	s_cbranch_execz .LBB279_273
; %bb.268:                              ;   in Loop: Header=BB279_15 Depth=1
	v_and_b32_e32 v5, 0x7f, v24
	v_mov_b32_e32 v97, 0x7c010000
	s_mov_b32 s18, exec_lo
	s_delay_alu instid0(VALU_DEP_2)
	v_cmpx_ne_u32_e32 0x7f, v5
	s_cbranch_execz .LBB279_272
; %bb.269:                              ;   in Loop: Header=BB279_15 Depth=1
	v_dual_lshrrev_b32 v4, 3, v5 :: v_dual_bitop2_b32 v0, 7, v24 bitop3:0x40
	s_mov_b32 s19, exec_lo
	v_cmpx_gt_u32_e32 8, v5
; %bb.270:                              ;   in Loop: Header=BB279_15 Depth=1
	s_delay_alu instid0(VALU_DEP_2) | instskip(NEXT) | instid1(VALU_DEP_1)
	v_clz_i32_u32_e32 v0, v0
	v_min_u32_e32 v0, 32, v0
	s_delay_alu instid0(VALU_DEP_1) | instskip(NEXT) | instid1(VALU_DEP_1)
	v_subrev_nc_u32_e32 v4, 28, v0
	v_lshlrev_b64_e32 v[8:9], v4, v[24:25]
	v_sub_nc_u32_e32 v4, 29, v0
	s_delay_alu instid0(VALU_DEP_2)
	v_and_b32_e32 v0, 7, v8
; %bb.271:                              ;   in Loop: Header=BB279_15 Depth=1
	s_or_b32 exec_lo, exec_lo, s19
	v_lshlrev_b32_e32 v5, 8, v24
	s_delay_alu instid0(VALU_DEP_3) | instskip(NEXT) | instid1(VALU_DEP_3)
	v_lshl_add_u32 v4, v4, 10, 0x2000
	v_lshlrev_b32_e32 v0, 23, v0
	s_delay_alu instid0(VALU_DEP_2) | instskip(NEXT) | instid1(VALU_DEP_1)
	v_and_or_b32 v4, 0x8000, v5, v4
	v_lshl_or_b32 v97, v4, 16, v0
.LBB279_272:                            ;   in Loop: Header=BB279_15 Depth=1
	s_or_b32 exec_lo, exec_lo, s18
.LBB279_273:                            ;   in Loop: Header=BB279_15 Depth=1
	s_delay_alu instid0(SALU_CYCLE_1)
	s_or_b32 exec_lo, exec_lo, s17
.LBB279_274:                            ;   in Loop: Header=BB279_15 Depth=1
	s_delay_alu instid0(SALU_CYCLE_1)
	s_or_b32 exec_lo, exec_lo, s16
	flat_load_b64 v[4:5], v[2:3] offset:1024
	s_mov_b32 s16, exec_lo
	s_wait_loadcnt_dscnt 0x0
	v_and_b32_e32 v0, 0xff, v4
	s_wait_xcnt 0x0
	s_delay_alu instid0(VALU_DEP_1)
	v_cmpx_ne_u16_e32 0, v0
	s_cbranch_execz .LBB279_282
; %bb.275:                              ;   in Loop: Header=BB279_15 Depth=1
	v_mov_b32_e32 v90, 0x8000
	s_mov_b32 s17, exec_lo
	v_cmpx_ne_u16_e32 0x80, v0
	s_cbranch_execz .LBB279_281
; %bb.276:                              ;   in Loop: Header=BB279_15 Depth=1
	v_and_b32_e32 v8, 0x7f, v4
	v_mov_b32_e32 v90, 0x7c01
	s_mov_b32 s18, exec_lo
	s_delay_alu instid0(VALU_DEP_2)
	v_cmpx_ne_u32_e32 0x7f, v8
	s_cbranch_execz .LBB279_280
; %bb.277:                              ;   in Loop: Header=BB279_15 Depth=1
	v_and_b32_e32 v0, 7, v4
	v_lshrrev_b32_e32 v6, 3, v8
	s_mov_b32 s19, exec_lo
	v_cmpx_gt_u32_e32 8, v8
; %bb.278:                              ;   in Loop: Header=BB279_15 Depth=1
	s_delay_alu instid0(VALU_DEP_3) | instskip(NEXT) | instid1(VALU_DEP_1)
	v_clz_i32_u32_e32 v0, v0
	v_min_u32_e32 v0, 32, v0
	s_delay_alu instid0(VALU_DEP_1) | instskip(NEXT) | instid1(VALU_DEP_1)
	v_subrev_nc_u32_e32 v6, 28, v0
	v_lshlrev_b64_e32 v[8:9], v6, v[4:5]
	v_sub_nc_u32_e32 v6, 29, v0
	s_delay_alu instid0(VALU_DEP_2)
	v_and_b32_e32 v0, 7, v8
; %bb.279:                              ;   in Loop: Header=BB279_15 Depth=1
	s_or_b32 exec_lo, exec_lo, s19
	v_lshlrev_b32_e32 v8, 8, v4
	s_delay_alu instid0(VALU_DEP_3) | instskip(NEXT) | instid1(VALU_DEP_3)
	v_lshl_add_u32 v6, v6, 10, 0x2000
	v_lshlrev_b32_e32 v0, 7, v0
	s_delay_alu instid0(VALU_DEP_3) | instskip(NEXT) | instid1(VALU_DEP_3)
	v_and_b32_e32 v8, 0x8000, v8
	v_and_b32_e32 v6, 0xfc00, v6
	s_delay_alu instid0(VALU_DEP_1)
	v_or3_b32 v90, v8, v6, v0
.LBB279_280:                            ;   in Loop: Header=BB279_15 Depth=1
	s_or_b32 exec_lo, exec_lo, s18
.LBB279_281:                            ;   in Loop: Header=BB279_15 Depth=1
	s_delay_alu instid0(SALU_CYCLE_1)
	s_or_b32 exec_lo, exec_lo, s17
.LBB279_282:                            ;   in Loop: Header=BB279_15 Depth=1
	s_delay_alu instid0(SALU_CYCLE_1) | instskip(SKIP_3) | instid1(VALU_DEP_2)
	s_or_b32 exec_lo, exec_lo, s16
	v_lshrrev_b16 v24, 8, v4
	v_dual_mov_b32 v92, 0 :: v_dual_mov_b32 v99, 0
	s_mov_b32 s16, exec_lo
	v_cmpx_ne_u16_e32 0, v24
	s_cbranch_execz .LBB279_290
; %bb.283:                              ;   in Loop: Header=BB279_15 Depth=1
	v_bfrev_b32_e32 v99, 1
	s_mov_b32 s17, exec_lo
	v_cmpx_ne_u16_e32 0x80, v24
	s_cbranch_execz .LBB279_289
; %bb.284:                              ;   in Loop: Header=BB279_15 Depth=1
	v_and_b32_e32 v0, 0xffff, v24
	v_mov_b32_e32 v99, 0x7c010000
	s_mov_b32 s18, exec_lo
	s_delay_alu instid0(VALU_DEP_2) | instskip(NEXT) | instid1(VALU_DEP_1)
	v_and_b32_e32 v9, 0x7f, v0
	v_cmpx_ne_u32_e32 0x7f, v9
	s_cbranch_execz .LBB279_288
; %bb.285:                              ;   in Loop: Header=BB279_15 Depth=1
	v_dual_lshrrev_b32 v8, 3, v9 :: v_dual_bitop2_b32 v6, 7, v0 bitop3:0x40
	s_mov_b32 s19, exec_lo
	v_cmpx_gt_u32_e32 8, v9
; %bb.286:                              ;   in Loop: Header=BB279_15 Depth=1
	s_delay_alu instid0(VALU_DEP_2) | instskip(NEXT) | instid1(VALU_DEP_1)
	v_clz_i32_u32_e32 v6, v6
	v_min_u32_e32 v6, 32, v6
	s_delay_alu instid0(VALU_DEP_1) | instskip(NEXT) | instid1(VALU_DEP_1)
	v_subrev_nc_u32_e32 v8, 28, v6
	v_lshlrev_b64_e32 v[10:11], v8, v[24:25]
	v_sub_nc_u32_e32 v8, 29, v6
	s_delay_alu instid0(VALU_DEP_2)
	v_and_b32_e32 v6, 7, v10
; %bb.287:                              ;   in Loop: Header=BB279_15 Depth=1
	s_or_b32 exec_lo, exec_lo, s19
	s_delay_alu instid0(VALU_DEP_1) | instskip(NEXT) | instid1(VALU_DEP_3)
	v_dual_lshlrev_b32 v0, 8, v0 :: v_dual_lshlrev_b32 v6, 23, v6
	v_lshl_add_u32 v8, v8, 10, 0x2000
	s_delay_alu instid0(VALU_DEP_1) | instskip(NEXT) | instid1(VALU_DEP_1)
	v_and_or_b32 v0, 0x8000, v0, v8
	v_lshl_or_b32 v99, v0, 16, v6
.LBB279_288:                            ;   in Loop: Header=BB279_15 Depth=1
	s_or_b32 exec_lo, exec_lo, s18
.LBB279_289:                            ;   in Loop: Header=BB279_15 Depth=1
	s_delay_alu instid0(SALU_CYCLE_1)
	s_or_b32 exec_lo, exec_lo, s17
.LBB279_290:                            ;   in Loop: Header=BB279_15 Depth=1
	s_delay_alu instid0(SALU_CYCLE_1) | instskip(SKIP_2) | instid1(VALU_DEP_1)
	s_or_b32 exec_lo, exec_lo, s16
	v_lshrrev_b32_e32 v0, 16, v4
	s_mov_b32 s16, exec_lo
	v_and_b32_e32 v6, 0xff, v0
	s_delay_alu instid0(VALU_DEP_1)
	v_cmpx_ne_u16_e32 0, v6
	s_cbranch_execz .LBB279_298
; %bb.291:                              ;   in Loop: Header=BB279_15 Depth=1
	v_mov_b32_e32 v92, 0x8000
	s_mov_b32 s17, exec_lo
	v_cmpx_ne_u16_e32 0x80, v6
	s_cbranch_execz .LBB279_297
; %bb.292:                              ;   in Loop: Header=BB279_15 Depth=1
	v_bfe_u32 v9, v4, 16, 7
	v_mov_b32_e32 v92, 0x7c01
	s_mov_b32 s18, exec_lo
	s_delay_alu instid0(VALU_DEP_2)
	v_cmpx_ne_u32_e32 0x7f, v9
	s_cbranch_execz .LBB279_296
; %bb.293:                              ;   in Loop: Header=BB279_15 Depth=1
	v_dual_lshrrev_b32 v8, 3, v9 :: v_dual_bitop2_b32 v6, 7, v0 bitop3:0x40
	s_mov_b32 s19, exec_lo
	v_cmpx_gt_u32_e32 8, v9
; %bb.294:                              ;   in Loop: Header=BB279_15 Depth=1
	s_delay_alu instid0(VALU_DEP_2) | instskip(NEXT) | instid1(VALU_DEP_1)
	v_clz_i32_u32_e32 v6, v6
	v_min_u32_e32 v6, 32, v6
	s_delay_alu instid0(VALU_DEP_1) | instskip(NEXT) | instid1(VALU_DEP_1)
	v_subrev_nc_u32_e32 v8, 28, v6
	v_lshlrev_b64_e32 v[10:11], v8, v[0:1]
	v_sub_nc_u32_e32 v8, 29, v6
	s_delay_alu instid0(VALU_DEP_2)
	v_and_b32_e32 v6, 7, v10
; %bb.295:                              ;   in Loop: Header=BB279_15 Depth=1
	s_or_b32 exec_lo, exec_lo, s19
	s_delay_alu instid0(VALU_DEP_1) | instskip(NEXT) | instid1(VALU_DEP_3)
	v_dual_lshlrev_b32 v0, 8, v0 :: v_dual_lshlrev_b32 v6, 7, v6
	v_lshl_add_u32 v8, v8, 10, 0x2000
	s_delay_alu instid0(VALU_DEP_2) | instskip(NEXT) | instid1(VALU_DEP_2)
	v_and_b32_e32 v0, 0x8000, v0
	v_and_b32_e32 v8, 0xfc00, v8
	s_delay_alu instid0(VALU_DEP_1)
	v_or3_b32 v92, v0, v8, v6
.LBB279_296:                            ;   in Loop: Header=BB279_15 Depth=1
	s_or_b32 exec_lo, exec_lo, s18
.LBB279_297:                            ;   in Loop: Header=BB279_15 Depth=1
	s_delay_alu instid0(SALU_CYCLE_1)
	s_or_b32 exec_lo, exec_lo, s17
.LBB279_298:                            ;   in Loop: Header=BB279_15 Depth=1
	s_delay_alu instid0(SALU_CYCLE_1)
	s_or_b32 exec_lo, exec_lo, s16
	v_dual_mov_b32 v109, 0 :: v_dual_mov_b32 v101, 0
	s_mov_b32 s16, exec_lo
	v_cmpx_lt_u32_e32 0xffffff, v4
	s_cbranch_execz .LBB279_306
; %bb.299:                              ;   in Loop: Header=BB279_15 Depth=1
	v_lshrrev_b32_e32 v24, 24, v4
	v_bfrev_b32_e32 v101, 1
	s_mov_b32 s17, exec_lo
	s_delay_alu instid0(VALU_DEP_2)
	v_cmpx_ne_u32_e32 0x80, v24
	s_cbranch_execz .LBB279_305
; %bb.300:                              ;   in Loop: Header=BB279_15 Depth=1
	v_and_b32_e32 v8, 0x7f, v24
	v_mov_b32_e32 v101, 0x7c010000
	s_mov_b32 s18, exec_lo
	s_delay_alu instid0(VALU_DEP_2)
	v_cmpx_ne_u32_e32 0x7f, v8
	s_cbranch_execz .LBB279_304
; %bb.301:                              ;   in Loop: Header=BB279_15 Depth=1
	v_and_b32_e32 v0, 7, v24
	v_lshrrev_b32_e32 v6, 3, v8
	s_mov_b32 s19, exec_lo
	v_cmpx_gt_u32_e32 8, v8
; %bb.302:                              ;   in Loop: Header=BB279_15 Depth=1
	s_delay_alu instid0(VALU_DEP_3) | instskip(NEXT) | instid1(VALU_DEP_1)
	v_clz_i32_u32_e32 v0, v0
	v_min_u32_e32 v0, 32, v0
	s_delay_alu instid0(VALU_DEP_1) | instskip(NEXT) | instid1(VALU_DEP_1)
	v_subrev_nc_u32_e32 v6, 28, v0
	v_lshlrev_b64_e32 v[8:9], v6, v[24:25]
	v_sub_nc_u32_e32 v6, 29, v0
	s_delay_alu instid0(VALU_DEP_2)
	v_and_b32_e32 v0, 7, v8
; %bb.303:                              ;   in Loop: Header=BB279_15 Depth=1
	s_or_b32 exec_lo, exec_lo, s19
	v_lshlrev_b32_e32 v8, 8, v24
	s_delay_alu instid0(VALU_DEP_3) | instskip(NEXT) | instid1(VALU_DEP_3)
	v_lshl_add_u32 v6, v6, 10, 0x2000
	v_lshlrev_b32_e32 v0, 23, v0
	s_delay_alu instid0(VALU_DEP_2) | instskip(NEXT) | instid1(VALU_DEP_1)
	v_and_or_b32 v6, 0x8000, v8, v6
	v_lshl_or_b32 v101, v6, 16, v0
.LBB279_304:                            ;   in Loop: Header=BB279_15 Depth=1
	s_or_b32 exec_lo, exec_lo, s18
.LBB279_305:                            ;   in Loop: Header=BB279_15 Depth=1
	s_delay_alu instid0(SALU_CYCLE_1)
	s_or_b32 exec_lo, exec_lo, s17
.LBB279_306:                            ;   in Loop: Header=BB279_15 Depth=1
	s_delay_alu instid0(SALU_CYCLE_1) | instskip(SKIP_3) | instid1(VALU_DEP_2)
	s_or_b32 exec_lo, exec_lo, s16
	v_and_b32_e32 v0, 0xff, v5
	v_mov_b32_e32 v24, v5
	s_mov_b32 s16, exec_lo
	v_cmpx_ne_u16_e32 0, v0
	s_cbranch_execz .LBB279_314
; %bb.307:                              ;   in Loop: Header=BB279_15 Depth=1
	v_mov_b32_e32 v109, 0x8000
	s_mov_b32 s17, exec_lo
	v_cmpx_ne_u16_e32 0x80, v0
	s_cbranch_execz .LBB279_313
; %bb.308:                              ;   in Loop: Header=BB279_15 Depth=1
	v_and_b32_e32 v8, 0x7f, v5
	v_mov_b32_e32 v109, 0x7c01
	s_mov_b32 s18, exec_lo
	s_delay_alu instid0(VALU_DEP_2)
	v_cmpx_ne_u32_e32 0x7f, v8
	s_cbranch_execz .LBB279_312
; %bb.309:                              ;   in Loop: Header=BB279_15 Depth=1
	v_dual_lshrrev_b32 v6, 3, v8 :: v_dual_bitop2_b32 v0, 7, v5 bitop3:0x40
	s_mov_b32 s19, exec_lo
	v_cmpx_gt_u32_e32 8, v8
; %bb.310:                              ;   in Loop: Header=BB279_15 Depth=1
	s_delay_alu instid0(VALU_DEP_2) | instskip(NEXT) | instid1(VALU_DEP_1)
	v_clz_i32_u32_e32 v0, v0
	v_min_u32_e32 v0, 32, v0
	s_delay_alu instid0(VALU_DEP_1) | instskip(NEXT) | instid1(VALU_DEP_1)
	v_subrev_nc_u32_e32 v6, 28, v0
	v_lshlrev_b64_e32 v[8:9], v6, v[24:25]
	v_sub_nc_u32_e32 v6, 29, v0
	s_delay_alu instid0(VALU_DEP_2)
	v_and_b32_e32 v0, 7, v8
; %bb.311:                              ;   in Loop: Header=BB279_15 Depth=1
	s_or_b32 exec_lo, exec_lo, s19
	s_delay_alu instid0(VALU_DEP_1) | instskip(NEXT) | instid1(VALU_DEP_3)
	v_dual_lshlrev_b32 v8, 8, v5 :: v_dual_lshlrev_b32 v0, 7, v0
	v_lshl_add_u32 v6, v6, 10, 0x2000
	s_delay_alu instid0(VALU_DEP_2) | instskip(NEXT) | instid1(VALU_DEP_2)
	v_and_b32_e32 v8, 0x8000, v8
	v_and_b32_e32 v6, 0xfc00, v6
	s_delay_alu instid0(VALU_DEP_1)
	v_or3_b32 v109, v8, v6, v0
.LBB279_312:                            ;   in Loop: Header=BB279_15 Depth=1
	s_or_b32 exec_lo, exec_lo, s18
.LBB279_313:                            ;   in Loop: Header=BB279_15 Depth=1
	s_delay_alu instid0(SALU_CYCLE_1)
	s_or_b32 exec_lo, exec_lo, s17
.LBB279_314:                            ;   in Loop: Header=BB279_15 Depth=1
	s_delay_alu instid0(SALU_CYCLE_1) | instskip(SKIP_3) | instid1(VALU_DEP_2)
	s_or_b32 exec_lo, exec_lo, s16
	v_lshrrev_b16 v24, 8, v24
	v_dual_mov_b32 v102, 0 :: v_dual_mov_b32 v103, 0
	s_mov_b32 s16, exec_lo
	v_cmpx_ne_u16_e32 0, v24
	s_cbranch_execz .LBB279_322
; %bb.315:                              ;   in Loop: Header=BB279_15 Depth=1
	v_bfrev_b32_e32 v103, 1
	s_mov_b32 s17, exec_lo
	v_cmpx_ne_u16_e32 0x80, v24
	s_cbranch_execz .LBB279_321
; %bb.316:                              ;   in Loop: Header=BB279_15 Depth=1
	v_and_b32_e32 v0, 0xffff, v24
	v_mov_b32_e32 v103, 0x7c010000
	s_mov_b32 s18, exec_lo
	s_delay_alu instid0(VALU_DEP_2) | instskip(NEXT) | instid1(VALU_DEP_1)
	v_and_b32_e32 v9, 0x7f, v0
	v_cmpx_ne_u32_e32 0x7f, v9
	s_cbranch_execz .LBB279_320
; %bb.317:                              ;   in Loop: Header=BB279_15 Depth=1
	v_dual_lshrrev_b32 v8, 3, v9 :: v_dual_bitop2_b32 v6, 7, v0 bitop3:0x40
	s_mov_b32 s19, exec_lo
	v_cmpx_gt_u32_e32 8, v9
; %bb.318:                              ;   in Loop: Header=BB279_15 Depth=1
	s_delay_alu instid0(VALU_DEP_2) | instskip(NEXT) | instid1(VALU_DEP_1)
	v_clz_i32_u32_e32 v6, v6
	v_min_u32_e32 v6, 32, v6
	s_delay_alu instid0(VALU_DEP_1) | instskip(NEXT) | instid1(VALU_DEP_1)
	v_subrev_nc_u32_e32 v8, 28, v6
	v_lshlrev_b64_e32 v[10:11], v8, v[24:25]
	v_sub_nc_u32_e32 v8, 29, v6
	s_delay_alu instid0(VALU_DEP_2)
	v_and_b32_e32 v6, 7, v10
; %bb.319:                              ;   in Loop: Header=BB279_15 Depth=1
	s_or_b32 exec_lo, exec_lo, s19
	s_delay_alu instid0(VALU_DEP_1) | instskip(NEXT) | instid1(VALU_DEP_3)
	v_dual_lshlrev_b32 v0, 8, v0 :: v_dual_lshlrev_b32 v6, 23, v6
	v_lshl_add_u32 v8, v8, 10, 0x2000
	s_delay_alu instid0(VALU_DEP_1) | instskip(NEXT) | instid1(VALU_DEP_1)
	v_and_or_b32 v0, 0x8000, v0, v8
	v_lshl_or_b32 v103, v0, 16, v6
.LBB279_320:                            ;   in Loop: Header=BB279_15 Depth=1
	s_or_b32 exec_lo, exec_lo, s18
.LBB279_321:                            ;   in Loop: Header=BB279_15 Depth=1
	s_delay_alu instid0(SALU_CYCLE_1)
	s_or_b32 exec_lo, exec_lo, s17
.LBB279_322:                            ;   in Loop: Header=BB279_15 Depth=1
	s_delay_alu instid0(SALU_CYCLE_1) | instskip(SKIP_2) | instid1(VALU_DEP_1)
	s_or_b32 exec_lo, exec_lo, s16
	v_lshrrev_b32_e32 v0, 16, v5
	s_mov_b32 s16, exec_lo
	v_and_b32_e32 v6, 0xff, v0
	s_delay_alu instid0(VALU_DEP_1)
	v_cmpx_ne_u16_e32 0, v6
	s_cbranch_execz .LBB279_330
; %bb.323:                              ;   in Loop: Header=BB279_15 Depth=1
	v_mov_b32_e32 v102, 0x8000
	s_mov_b32 s17, exec_lo
	v_cmpx_ne_u16_e32 0x80, v6
	s_cbranch_execz .LBB279_329
; %bb.324:                              ;   in Loop: Header=BB279_15 Depth=1
	v_bfe_u32 v9, v5, 16, 7
	v_mov_b32_e32 v102, 0x7c01
	s_mov_b32 s18, exec_lo
	s_delay_alu instid0(VALU_DEP_2)
	v_cmpx_ne_u32_e32 0x7f, v9
	s_cbranch_execz .LBB279_328
; %bb.325:                              ;   in Loop: Header=BB279_15 Depth=1
	v_dual_lshrrev_b32 v8, 3, v9 :: v_dual_bitop2_b32 v6, 7, v0 bitop3:0x40
	s_mov_b32 s19, exec_lo
	v_cmpx_gt_u32_e32 8, v9
; %bb.326:                              ;   in Loop: Header=BB279_15 Depth=1
	s_delay_alu instid0(VALU_DEP_2) | instskip(NEXT) | instid1(VALU_DEP_1)
	v_clz_i32_u32_e32 v6, v6
	v_min_u32_e32 v6, 32, v6
	s_delay_alu instid0(VALU_DEP_1) | instskip(NEXT) | instid1(VALU_DEP_1)
	v_subrev_nc_u32_e32 v8, 28, v6
	v_lshlrev_b64_e32 v[10:11], v8, v[0:1]
	v_sub_nc_u32_e32 v8, 29, v6
	s_delay_alu instid0(VALU_DEP_2)
	v_and_b32_e32 v6, 7, v10
; %bb.327:                              ;   in Loop: Header=BB279_15 Depth=1
	s_or_b32 exec_lo, exec_lo, s19
	s_delay_alu instid0(VALU_DEP_1) | instskip(NEXT) | instid1(VALU_DEP_3)
	v_dual_lshlrev_b32 v0, 8, v0 :: v_dual_lshlrev_b32 v6, 7, v6
	v_lshl_add_u32 v8, v8, 10, 0x2000
	s_delay_alu instid0(VALU_DEP_2) | instskip(NEXT) | instid1(VALU_DEP_2)
	v_and_b32_e32 v0, 0x8000, v0
	v_and_b32_e32 v8, 0xfc00, v8
	s_delay_alu instid0(VALU_DEP_1)
	v_or3_b32 v102, v0, v8, v6
.LBB279_328:                            ;   in Loop: Header=BB279_15 Depth=1
	s_or_b32 exec_lo, exec_lo, s18
.LBB279_329:                            ;   in Loop: Header=BB279_15 Depth=1
	s_delay_alu instid0(SALU_CYCLE_1)
	s_or_b32 exec_lo, exec_lo, s17
.LBB279_330:                            ;   in Loop: Header=BB279_15 Depth=1
	s_delay_alu instid0(SALU_CYCLE_1)
	s_or_b32 exec_lo, exec_lo, s16
	v_dual_mov_b32 v108, 0 :: v_dual_mov_b32 v121, 0
	s_mov_b32 s16, exec_lo
	v_cmpx_lt_u64_e64 s[8:9], v[4:5]
	s_cbranch_execz .LBB279_338
; %bb.331:                              ;   in Loop: Header=BB279_15 Depth=1
	v_lshrrev_b32_e32 v24, 24, v5
	v_bfrev_b32_e32 v121, 1
	s_mov_b32 s17, exec_lo
	s_delay_alu instid0(VALU_DEP_2)
	v_cmpx_ne_u32_e32 0x80, v24
	s_cbranch_execz .LBB279_337
; %bb.332:                              ;   in Loop: Header=BB279_15 Depth=1
	v_and_b32_e32 v5, 0x7f, v24
	v_mov_b32_e32 v121, 0x7c010000
	s_mov_b32 s18, exec_lo
	s_delay_alu instid0(VALU_DEP_2)
	v_cmpx_ne_u32_e32 0x7f, v5
	s_cbranch_execz .LBB279_336
; %bb.333:                              ;   in Loop: Header=BB279_15 Depth=1
	v_dual_lshrrev_b32 v4, 3, v5 :: v_dual_bitop2_b32 v0, 7, v24 bitop3:0x40
	s_mov_b32 s19, exec_lo
	v_cmpx_gt_u32_e32 8, v5
; %bb.334:                              ;   in Loop: Header=BB279_15 Depth=1
	s_delay_alu instid0(VALU_DEP_2) | instskip(NEXT) | instid1(VALU_DEP_1)
	v_clz_i32_u32_e32 v0, v0
	v_min_u32_e32 v0, 32, v0
	s_delay_alu instid0(VALU_DEP_1) | instskip(NEXT) | instid1(VALU_DEP_1)
	v_subrev_nc_u32_e32 v4, 28, v0
	v_lshlrev_b64_e32 v[8:9], v4, v[24:25]
	v_sub_nc_u32_e32 v4, 29, v0
	s_delay_alu instid0(VALU_DEP_2)
	v_and_b32_e32 v0, 7, v8
; %bb.335:                              ;   in Loop: Header=BB279_15 Depth=1
	s_or_b32 exec_lo, exec_lo, s19
	v_lshlrev_b32_e32 v5, 8, v24
	s_delay_alu instid0(VALU_DEP_3) | instskip(NEXT) | instid1(VALU_DEP_3)
	v_lshl_add_u32 v4, v4, 10, 0x2000
	v_lshlrev_b32_e32 v0, 23, v0
	s_delay_alu instid0(VALU_DEP_2) | instskip(NEXT) | instid1(VALU_DEP_1)
	v_and_or_b32 v4, 0x8000, v5, v4
	v_lshl_or_b32 v121, v4, 16, v0
.LBB279_336:                            ;   in Loop: Header=BB279_15 Depth=1
	s_or_b32 exec_lo, exec_lo, s18
.LBB279_337:                            ;   in Loop: Header=BB279_15 Depth=1
	s_delay_alu instid0(SALU_CYCLE_1)
	s_or_b32 exec_lo, exec_lo, s17
.LBB279_338:                            ;   in Loop: Header=BB279_15 Depth=1
	s_delay_alu instid0(SALU_CYCLE_1)
	s_or_b32 exec_lo, exec_lo, s16
	flat_load_b64 v[4:5], v[2:3] offset:1032
	s_mov_b32 s16, exec_lo
	s_wait_loadcnt_dscnt 0x0
	v_and_b32_e32 v0, 0xff, v4
	s_wait_xcnt 0x0
	s_delay_alu instid0(VALU_DEP_1)
	v_cmpx_ne_u16_e32 0, v0
	s_cbranch_execz .LBB279_346
; %bb.339:                              ;   in Loop: Header=BB279_15 Depth=1
	v_mov_b32_e32 v108, 0x8000
	s_mov_b32 s17, exec_lo
	v_cmpx_ne_u16_e32 0x80, v0
	s_cbranch_execz .LBB279_345
; %bb.340:                              ;   in Loop: Header=BB279_15 Depth=1
	v_and_b32_e32 v8, 0x7f, v4
	v_mov_b32_e32 v108, 0x7c01
	s_mov_b32 s18, exec_lo
	s_delay_alu instid0(VALU_DEP_2)
	v_cmpx_ne_u32_e32 0x7f, v8
	s_cbranch_execz .LBB279_344
; %bb.341:                              ;   in Loop: Header=BB279_15 Depth=1
	v_and_b32_e32 v0, 7, v4
	v_lshrrev_b32_e32 v6, 3, v8
	s_mov_b32 s19, exec_lo
	v_cmpx_gt_u32_e32 8, v8
; %bb.342:                              ;   in Loop: Header=BB279_15 Depth=1
	s_delay_alu instid0(VALU_DEP_3) | instskip(NEXT) | instid1(VALU_DEP_1)
	v_clz_i32_u32_e32 v0, v0
	v_min_u32_e32 v0, 32, v0
	s_delay_alu instid0(VALU_DEP_1) | instskip(NEXT) | instid1(VALU_DEP_1)
	v_subrev_nc_u32_e32 v6, 28, v0
	v_lshlrev_b64_e32 v[8:9], v6, v[4:5]
	v_sub_nc_u32_e32 v6, 29, v0
	s_delay_alu instid0(VALU_DEP_2)
	v_and_b32_e32 v0, 7, v8
; %bb.343:                              ;   in Loop: Header=BB279_15 Depth=1
	s_or_b32 exec_lo, exec_lo, s19
	v_lshlrev_b32_e32 v8, 8, v4
	s_delay_alu instid0(VALU_DEP_3) | instskip(NEXT) | instid1(VALU_DEP_3)
	v_lshl_add_u32 v6, v6, 10, 0x2000
	v_lshlrev_b32_e32 v0, 7, v0
	s_delay_alu instid0(VALU_DEP_3) | instskip(NEXT) | instid1(VALU_DEP_3)
	v_and_b32_e32 v8, 0x8000, v8
	v_and_b32_e32 v6, 0xfc00, v6
	s_delay_alu instid0(VALU_DEP_1)
	v_or3_b32 v108, v8, v6, v0
.LBB279_344:                            ;   in Loop: Header=BB279_15 Depth=1
	s_or_b32 exec_lo, exec_lo, s18
.LBB279_345:                            ;   in Loop: Header=BB279_15 Depth=1
	s_delay_alu instid0(SALU_CYCLE_1)
	s_or_b32 exec_lo, exec_lo, s17
.LBB279_346:                            ;   in Loop: Header=BB279_15 Depth=1
	s_delay_alu instid0(SALU_CYCLE_1) | instskip(SKIP_3) | instid1(VALU_DEP_2)
	s_or_b32 exec_lo, exec_lo, s16
	v_lshrrev_b16 v24, 8, v4
	v_dual_mov_b32 v120, 0 :: v_dual_mov_b32 v76, 0
	s_mov_b32 s16, exec_lo
	v_cmpx_ne_u16_e32 0, v24
	s_cbranch_execz .LBB279_354
; %bb.347:                              ;   in Loop: Header=BB279_15 Depth=1
	v_bfrev_b32_e32 v76, 1
	s_mov_b32 s17, exec_lo
	v_cmpx_ne_u16_e32 0x80, v24
	s_cbranch_execz .LBB279_353
; %bb.348:                              ;   in Loop: Header=BB279_15 Depth=1
	v_and_b32_e32 v0, 0xffff, v24
	v_mov_b32_e32 v76, 0x7c010000
	s_mov_b32 s18, exec_lo
	s_delay_alu instid0(VALU_DEP_2) | instskip(NEXT) | instid1(VALU_DEP_1)
	v_and_b32_e32 v9, 0x7f, v0
	v_cmpx_ne_u32_e32 0x7f, v9
	s_cbranch_execz .LBB279_352
; %bb.349:                              ;   in Loop: Header=BB279_15 Depth=1
	v_dual_lshrrev_b32 v8, 3, v9 :: v_dual_bitop2_b32 v6, 7, v0 bitop3:0x40
	s_mov_b32 s19, exec_lo
	v_cmpx_gt_u32_e32 8, v9
; %bb.350:                              ;   in Loop: Header=BB279_15 Depth=1
	s_delay_alu instid0(VALU_DEP_2) | instskip(NEXT) | instid1(VALU_DEP_1)
	v_clz_i32_u32_e32 v6, v6
	v_min_u32_e32 v6, 32, v6
	s_delay_alu instid0(VALU_DEP_1) | instskip(NEXT) | instid1(VALU_DEP_1)
	v_subrev_nc_u32_e32 v8, 28, v6
	v_lshlrev_b64_e32 v[10:11], v8, v[24:25]
	v_sub_nc_u32_e32 v8, 29, v6
	s_delay_alu instid0(VALU_DEP_2)
	v_and_b32_e32 v6, 7, v10
; %bb.351:                              ;   in Loop: Header=BB279_15 Depth=1
	s_or_b32 exec_lo, exec_lo, s19
	s_delay_alu instid0(VALU_DEP_1) | instskip(NEXT) | instid1(VALU_DEP_3)
	v_dual_lshlrev_b32 v0, 8, v0 :: v_dual_lshlrev_b32 v6, 23, v6
	v_lshl_add_u32 v8, v8, 10, 0x2000
	s_delay_alu instid0(VALU_DEP_1) | instskip(NEXT) | instid1(VALU_DEP_1)
	v_and_or_b32 v0, 0x8000, v0, v8
	v_lshl_or_b32 v76, v0, 16, v6
.LBB279_352:                            ;   in Loop: Header=BB279_15 Depth=1
	s_or_b32 exec_lo, exec_lo, s18
.LBB279_353:                            ;   in Loop: Header=BB279_15 Depth=1
	s_delay_alu instid0(SALU_CYCLE_1)
	s_or_b32 exec_lo, exec_lo, s17
.LBB279_354:                            ;   in Loop: Header=BB279_15 Depth=1
	s_delay_alu instid0(SALU_CYCLE_1) | instskip(SKIP_2) | instid1(VALU_DEP_1)
	s_or_b32 exec_lo, exec_lo, s16
	v_lshrrev_b32_e32 v0, 16, v4
	s_mov_b32 s16, exec_lo
	v_and_b32_e32 v6, 0xff, v0
	s_delay_alu instid0(VALU_DEP_1)
	v_cmpx_ne_u16_e32 0, v6
	s_cbranch_execz .LBB279_362
; %bb.355:                              ;   in Loop: Header=BB279_15 Depth=1
	v_mov_b32_e32 v120, 0x8000
	s_mov_b32 s17, exec_lo
	v_cmpx_ne_u16_e32 0x80, v6
	s_cbranch_execz .LBB279_361
; %bb.356:                              ;   in Loop: Header=BB279_15 Depth=1
	v_bfe_u32 v9, v4, 16, 7
	v_mov_b32_e32 v120, 0x7c01
	s_mov_b32 s18, exec_lo
	s_delay_alu instid0(VALU_DEP_2)
	v_cmpx_ne_u32_e32 0x7f, v9
	s_cbranch_execz .LBB279_360
; %bb.357:                              ;   in Loop: Header=BB279_15 Depth=1
	v_dual_lshrrev_b32 v8, 3, v9 :: v_dual_bitop2_b32 v6, 7, v0 bitop3:0x40
	s_mov_b32 s19, exec_lo
	v_cmpx_gt_u32_e32 8, v9
; %bb.358:                              ;   in Loop: Header=BB279_15 Depth=1
	s_delay_alu instid0(VALU_DEP_2) | instskip(NEXT) | instid1(VALU_DEP_1)
	v_clz_i32_u32_e32 v6, v6
	v_min_u32_e32 v6, 32, v6
	s_delay_alu instid0(VALU_DEP_1) | instskip(NEXT) | instid1(VALU_DEP_1)
	v_subrev_nc_u32_e32 v8, 28, v6
	v_lshlrev_b64_e32 v[10:11], v8, v[0:1]
	v_sub_nc_u32_e32 v8, 29, v6
	s_delay_alu instid0(VALU_DEP_2)
	v_and_b32_e32 v6, 7, v10
; %bb.359:                              ;   in Loop: Header=BB279_15 Depth=1
	s_or_b32 exec_lo, exec_lo, s19
	s_delay_alu instid0(VALU_DEP_1) | instskip(NEXT) | instid1(VALU_DEP_3)
	v_dual_lshlrev_b32 v0, 8, v0 :: v_dual_lshlrev_b32 v6, 7, v6
	v_lshl_add_u32 v8, v8, 10, 0x2000
	s_delay_alu instid0(VALU_DEP_2) | instskip(NEXT) | instid1(VALU_DEP_2)
	v_and_b32_e32 v0, 0x8000, v0
	v_and_b32_e32 v8, 0xfc00, v8
	s_delay_alu instid0(VALU_DEP_1)
	v_or3_b32 v120, v0, v8, v6
.LBB279_360:                            ;   in Loop: Header=BB279_15 Depth=1
	s_or_b32 exec_lo, exec_lo, s18
.LBB279_361:                            ;   in Loop: Header=BB279_15 Depth=1
	s_delay_alu instid0(SALU_CYCLE_1)
	s_or_b32 exec_lo, exec_lo, s17
.LBB279_362:                            ;   in Loop: Header=BB279_15 Depth=1
	s_delay_alu instid0(SALU_CYCLE_1)
	s_or_b32 exec_lo, exec_lo, s16
	v_dual_mov_b32 v81, 0 :: v_dual_mov_b32 v74, 0
	s_mov_b32 s16, exec_lo
	v_cmpx_lt_u32_e32 0xffffff, v4
	s_cbranch_execz .LBB279_370
; %bb.363:                              ;   in Loop: Header=BB279_15 Depth=1
	v_lshrrev_b32_e32 v24, 24, v4
	v_bfrev_b32_e32 v74, 1
	s_mov_b32 s17, exec_lo
	s_delay_alu instid0(VALU_DEP_2)
	v_cmpx_ne_u32_e32 0x80, v24
	s_cbranch_execz .LBB279_369
; %bb.364:                              ;   in Loop: Header=BB279_15 Depth=1
	v_and_b32_e32 v8, 0x7f, v24
	v_mov_b32_e32 v74, 0x7c010000
	s_mov_b32 s18, exec_lo
	s_delay_alu instid0(VALU_DEP_2)
	v_cmpx_ne_u32_e32 0x7f, v8
	s_cbranch_execz .LBB279_368
; %bb.365:                              ;   in Loop: Header=BB279_15 Depth=1
	v_and_b32_e32 v0, 7, v24
	v_lshrrev_b32_e32 v6, 3, v8
	s_mov_b32 s19, exec_lo
	v_cmpx_gt_u32_e32 8, v8
; %bb.366:                              ;   in Loop: Header=BB279_15 Depth=1
	s_delay_alu instid0(VALU_DEP_3) | instskip(NEXT) | instid1(VALU_DEP_1)
	v_clz_i32_u32_e32 v0, v0
	v_min_u32_e32 v0, 32, v0
	s_delay_alu instid0(VALU_DEP_1) | instskip(NEXT) | instid1(VALU_DEP_1)
	v_subrev_nc_u32_e32 v6, 28, v0
	v_lshlrev_b64_e32 v[8:9], v6, v[24:25]
	v_sub_nc_u32_e32 v6, 29, v0
	s_delay_alu instid0(VALU_DEP_2)
	v_and_b32_e32 v0, 7, v8
; %bb.367:                              ;   in Loop: Header=BB279_15 Depth=1
	s_or_b32 exec_lo, exec_lo, s19
	v_lshlrev_b32_e32 v8, 8, v24
	s_delay_alu instid0(VALU_DEP_3) | instskip(NEXT) | instid1(VALU_DEP_3)
	v_lshl_add_u32 v6, v6, 10, 0x2000
	v_lshlrev_b32_e32 v0, 23, v0
	s_delay_alu instid0(VALU_DEP_2) | instskip(NEXT) | instid1(VALU_DEP_1)
	v_and_or_b32 v6, 0x8000, v8, v6
	v_lshl_or_b32 v74, v6, 16, v0
.LBB279_368:                            ;   in Loop: Header=BB279_15 Depth=1
	s_or_b32 exec_lo, exec_lo, s18
.LBB279_369:                            ;   in Loop: Header=BB279_15 Depth=1
	s_delay_alu instid0(SALU_CYCLE_1)
	s_or_b32 exec_lo, exec_lo, s17
.LBB279_370:                            ;   in Loop: Header=BB279_15 Depth=1
	s_delay_alu instid0(SALU_CYCLE_1) | instskip(SKIP_3) | instid1(VALU_DEP_2)
	s_or_b32 exec_lo, exec_lo, s16
	v_and_b32_e32 v0, 0xff, v5
	v_mov_b32_e32 v24, v5
	s_mov_b32 s16, exec_lo
	v_cmpx_ne_u16_e32 0, v0
	s_cbranch_execz .LBB279_378
; %bb.371:                              ;   in Loop: Header=BB279_15 Depth=1
	v_mov_b32_e32 v81, 0x8000
	s_mov_b32 s17, exec_lo
	v_cmpx_ne_u16_e32 0x80, v0
	s_cbranch_execz .LBB279_377
; %bb.372:                              ;   in Loop: Header=BB279_15 Depth=1
	v_and_b32_e32 v8, 0x7f, v5
	v_mov_b32_e32 v81, 0x7c01
	s_mov_b32 s18, exec_lo
	s_delay_alu instid0(VALU_DEP_2)
	v_cmpx_ne_u32_e32 0x7f, v8
	s_cbranch_execz .LBB279_376
; %bb.373:                              ;   in Loop: Header=BB279_15 Depth=1
	v_dual_lshrrev_b32 v6, 3, v8 :: v_dual_bitop2_b32 v0, 7, v5 bitop3:0x40
	s_mov_b32 s19, exec_lo
	v_cmpx_gt_u32_e32 8, v8
; %bb.374:                              ;   in Loop: Header=BB279_15 Depth=1
	s_delay_alu instid0(VALU_DEP_2) | instskip(NEXT) | instid1(VALU_DEP_1)
	v_clz_i32_u32_e32 v0, v0
	v_min_u32_e32 v0, 32, v0
	s_delay_alu instid0(VALU_DEP_1) | instskip(NEXT) | instid1(VALU_DEP_1)
	v_subrev_nc_u32_e32 v6, 28, v0
	v_lshlrev_b64_e32 v[8:9], v6, v[24:25]
	v_sub_nc_u32_e32 v6, 29, v0
	s_delay_alu instid0(VALU_DEP_2)
	v_and_b32_e32 v0, 7, v8
; %bb.375:                              ;   in Loop: Header=BB279_15 Depth=1
	s_or_b32 exec_lo, exec_lo, s19
	s_delay_alu instid0(VALU_DEP_1) | instskip(NEXT) | instid1(VALU_DEP_3)
	v_dual_lshlrev_b32 v8, 8, v5 :: v_dual_lshlrev_b32 v0, 7, v0
	v_lshl_add_u32 v6, v6, 10, 0x2000
	s_delay_alu instid0(VALU_DEP_2) | instskip(NEXT) | instid1(VALU_DEP_2)
	v_and_b32_e32 v8, 0x8000, v8
	v_and_b32_e32 v6, 0xfc00, v6
	s_delay_alu instid0(VALU_DEP_1)
	v_or3_b32 v81, v8, v6, v0
.LBB279_376:                            ;   in Loop: Header=BB279_15 Depth=1
	s_or_b32 exec_lo, exec_lo, s18
.LBB279_377:                            ;   in Loop: Header=BB279_15 Depth=1
	s_delay_alu instid0(SALU_CYCLE_1)
	s_or_b32 exec_lo, exec_lo, s17
.LBB279_378:                            ;   in Loop: Header=BB279_15 Depth=1
	s_delay_alu instid0(SALU_CYCLE_1) | instskip(SKIP_3) | instid1(VALU_DEP_2)
	s_or_b32 exec_lo, exec_lo, s16
	v_lshrrev_b16 v24, 8, v24
	v_dual_mov_b32 v100, 0 :: v_dual_mov_b32 v63, 0
	s_mov_b32 s16, exec_lo
	v_cmpx_ne_u16_e32 0, v24
	s_cbranch_execz .LBB279_386
; %bb.379:                              ;   in Loop: Header=BB279_15 Depth=1
	v_bfrev_b32_e32 v63, 1
	s_mov_b32 s17, exec_lo
	v_cmpx_ne_u16_e32 0x80, v24
	s_cbranch_execz .LBB279_385
; %bb.380:                              ;   in Loop: Header=BB279_15 Depth=1
	v_and_b32_e32 v0, 0xffff, v24
	v_mov_b32_e32 v63, 0x7c010000
	s_mov_b32 s18, exec_lo
	s_delay_alu instid0(VALU_DEP_2) | instskip(NEXT) | instid1(VALU_DEP_1)
	v_and_b32_e32 v9, 0x7f, v0
	v_cmpx_ne_u32_e32 0x7f, v9
	s_cbranch_execz .LBB279_384
; %bb.381:                              ;   in Loop: Header=BB279_15 Depth=1
	v_dual_lshrrev_b32 v8, 3, v9 :: v_dual_bitop2_b32 v6, 7, v0 bitop3:0x40
	s_mov_b32 s19, exec_lo
	v_cmpx_gt_u32_e32 8, v9
; %bb.382:                              ;   in Loop: Header=BB279_15 Depth=1
	s_delay_alu instid0(VALU_DEP_2) | instskip(NEXT) | instid1(VALU_DEP_1)
	v_clz_i32_u32_e32 v6, v6
	v_min_u32_e32 v6, 32, v6
	s_delay_alu instid0(VALU_DEP_1) | instskip(NEXT) | instid1(VALU_DEP_1)
	v_subrev_nc_u32_e32 v8, 28, v6
	v_lshlrev_b64_e32 v[10:11], v8, v[24:25]
	v_sub_nc_u32_e32 v8, 29, v6
	s_delay_alu instid0(VALU_DEP_2)
	v_and_b32_e32 v6, 7, v10
; %bb.383:                              ;   in Loop: Header=BB279_15 Depth=1
	s_or_b32 exec_lo, exec_lo, s19
	s_delay_alu instid0(VALU_DEP_1) | instskip(NEXT) | instid1(VALU_DEP_3)
	v_dual_lshlrev_b32 v0, 8, v0 :: v_dual_lshlrev_b32 v6, 23, v6
	v_lshl_add_u32 v8, v8, 10, 0x2000
	s_delay_alu instid0(VALU_DEP_1) | instskip(NEXT) | instid1(VALU_DEP_1)
	v_and_or_b32 v0, 0x8000, v0, v8
	v_lshl_or_b32 v63, v0, 16, v6
.LBB279_384:                            ;   in Loop: Header=BB279_15 Depth=1
	s_or_b32 exec_lo, exec_lo, s18
.LBB279_385:                            ;   in Loop: Header=BB279_15 Depth=1
	s_delay_alu instid0(SALU_CYCLE_1)
	s_or_b32 exec_lo, exec_lo, s17
.LBB279_386:                            ;   in Loop: Header=BB279_15 Depth=1
	s_delay_alu instid0(SALU_CYCLE_1) | instskip(SKIP_2) | instid1(VALU_DEP_1)
	s_or_b32 exec_lo, exec_lo, s16
	v_lshrrev_b32_e32 v0, 16, v5
	s_mov_b32 s16, exec_lo
	v_and_b32_e32 v6, 0xff, v0
	s_delay_alu instid0(VALU_DEP_1)
	v_cmpx_ne_u16_e32 0, v6
	s_cbranch_execz .LBB279_394
; %bb.387:                              ;   in Loop: Header=BB279_15 Depth=1
	v_mov_b32_e32 v100, 0x8000
	s_mov_b32 s17, exec_lo
	v_cmpx_ne_u16_e32 0x80, v6
	s_cbranch_execz .LBB279_393
; %bb.388:                              ;   in Loop: Header=BB279_15 Depth=1
	v_bfe_u32 v9, v5, 16, 7
	v_mov_b32_e32 v100, 0x7c01
	s_mov_b32 s18, exec_lo
	s_delay_alu instid0(VALU_DEP_2)
	v_cmpx_ne_u32_e32 0x7f, v9
	s_cbranch_execz .LBB279_392
; %bb.389:                              ;   in Loop: Header=BB279_15 Depth=1
	v_dual_lshrrev_b32 v8, 3, v9 :: v_dual_bitop2_b32 v6, 7, v0 bitop3:0x40
	s_mov_b32 s19, exec_lo
	v_cmpx_gt_u32_e32 8, v9
; %bb.390:                              ;   in Loop: Header=BB279_15 Depth=1
	s_delay_alu instid0(VALU_DEP_2) | instskip(NEXT) | instid1(VALU_DEP_1)
	v_clz_i32_u32_e32 v6, v6
	v_min_u32_e32 v6, 32, v6
	s_delay_alu instid0(VALU_DEP_1) | instskip(NEXT) | instid1(VALU_DEP_1)
	v_subrev_nc_u32_e32 v8, 28, v6
	v_lshlrev_b64_e32 v[10:11], v8, v[0:1]
	v_sub_nc_u32_e32 v8, 29, v6
	s_delay_alu instid0(VALU_DEP_2)
	v_and_b32_e32 v6, 7, v10
; %bb.391:                              ;   in Loop: Header=BB279_15 Depth=1
	s_or_b32 exec_lo, exec_lo, s19
	s_delay_alu instid0(VALU_DEP_1) | instskip(NEXT) | instid1(VALU_DEP_3)
	v_dual_lshlrev_b32 v0, 8, v0 :: v_dual_lshlrev_b32 v6, 7, v6
	v_lshl_add_u32 v8, v8, 10, 0x2000
	s_delay_alu instid0(VALU_DEP_2) | instskip(NEXT) | instid1(VALU_DEP_2)
	v_and_b32_e32 v0, 0x8000, v0
	v_and_b32_e32 v8, 0xfc00, v8
	s_delay_alu instid0(VALU_DEP_1)
	v_or3_b32 v100, v0, v8, v6
.LBB279_392:                            ;   in Loop: Header=BB279_15 Depth=1
	s_or_b32 exec_lo, exec_lo, s18
.LBB279_393:                            ;   in Loop: Header=BB279_15 Depth=1
	s_delay_alu instid0(SALU_CYCLE_1)
	s_or_b32 exec_lo, exec_lo, s17
.LBB279_394:                            ;   in Loop: Header=BB279_15 Depth=1
	s_delay_alu instid0(SALU_CYCLE_1)
	s_or_b32 exec_lo, exec_lo, s16
	v_dual_mov_b32 v62, 0 :: v_dual_mov_b32 v73, 0
	s_mov_b32 s16, exec_lo
	v_cmpx_lt_u64_e64 s[8:9], v[4:5]
	s_cbranch_execz .LBB279_402
; %bb.395:                              ;   in Loop: Header=BB279_15 Depth=1
	v_lshrrev_b32_e32 v24, 24, v5
	v_bfrev_b32_e32 v73, 1
	s_mov_b32 s17, exec_lo
	s_delay_alu instid0(VALU_DEP_2)
	v_cmpx_ne_u32_e32 0x80, v24
	s_cbranch_execz .LBB279_401
; %bb.396:                              ;   in Loop: Header=BB279_15 Depth=1
	v_and_b32_e32 v5, 0x7f, v24
	v_mov_b32_e32 v73, 0x7c010000
	s_mov_b32 s18, exec_lo
	s_delay_alu instid0(VALU_DEP_2)
	v_cmpx_ne_u32_e32 0x7f, v5
	s_cbranch_execz .LBB279_400
; %bb.397:                              ;   in Loop: Header=BB279_15 Depth=1
	v_dual_lshrrev_b32 v4, 3, v5 :: v_dual_bitop2_b32 v0, 7, v24 bitop3:0x40
	s_mov_b32 s19, exec_lo
	v_cmpx_gt_u32_e32 8, v5
; %bb.398:                              ;   in Loop: Header=BB279_15 Depth=1
	s_delay_alu instid0(VALU_DEP_2) | instskip(NEXT) | instid1(VALU_DEP_1)
	v_clz_i32_u32_e32 v0, v0
	v_min_u32_e32 v0, 32, v0
	s_delay_alu instid0(VALU_DEP_1) | instskip(NEXT) | instid1(VALU_DEP_1)
	v_subrev_nc_u32_e32 v4, 28, v0
	v_lshlrev_b64_e32 v[8:9], v4, v[24:25]
	v_sub_nc_u32_e32 v4, 29, v0
	s_delay_alu instid0(VALU_DEP_2)
	v_and_b32_e32 v0, 7, v8
; %bb.399:                              ;   in Loop: Header=BB279_15 Depth=1
	s_or_b32 exec_lo, exec_lo, s19
	v_lshlrev_b32_e32 v5, 8, v24
	s_delay_alu instid0(VALU_DEP_3) | instskip(NEXT) | instid1(VALU_DEP_3)
	v_lshl_add_u32 v4, v4, 10, 0x2000
	v_lshlrev_b32_e32 v0, 23, v0
	s_delay_alu instid0(VALU_DEP_2) | instskip(NEXT) | instid1(VALU_DEP_1)
	v_and_or_b32 v4, 0x8000, v5, v4
	v_lshl_or_b32 v73, v4, 16, v0
.LBB279_400:                            ;   in Loop: Header=BB279_15 Depth=1
	s_or_b32 exec_lo, exec_lo, s18
.LBB279_401:                            ;   in Loop: Header=BB279_15 Depth=1
	s_delay_alu instid0(SALU_CYCLE_1)
	s_or_b32 exec_lo, exec_lo, s17
.LBB279_402:                            ;   in Loop: Header=BB279_15 Depth=1
	s_delay_alu instid0(SALU_CYCLE_1)
	s_or_b32 exec_lo, exec_lo, s16
	flat_load_b64 v[4:5], v[2:3] offset:1536
	s_mov_b32 s16, exec_lo
	s_wait_loadcnt_dscnt 0x0
	v_and_b32_e32 v0, 0xff, v4
	s_wait_xcnt 0x0
	s_delay_alu instid0(VALU_DEP_1)
	v_cmpx_ne_u16_e32 0, v0
	s_cbranch_execz .LBB279_410
; %bb.403:                              ;   in Loop: Header=BB279_15 Depth=1
	v_mov_b32_e32 v62, 0x8000
	s_mov_b32 s17, exec_lo
	v_cmpx_ne_u16_e32 0x80, v0
	s_cbranch_execz .LBB279_409
; %bb.404:                              ;   in Loop: Header=BB279_15 Depth=1
	v_and_b32_e32 v8, 0x7f, v4
	v_mov_b32_e32 v62, 0x7c01
	s_mov_b32 s18, exec_lo
	s_delay_alu instid0(VALU_DEP_2)
	v_cmpx_ne_u32_e32 0x7f, v8
	s_cbranch_execz .LBB279_408
; %bb.405:                              ;   in Loop: Header=BB279_15 Depth=1
	v_and_b32_e32 v0, 7, v4
	v_lshrrev_b32_e32 v6, 3, v8
	s_mov_b32 s19, exec_lo
	v_cmpx_gt_u32_e32 8, v8
; %bb.406:                              ;   in Loop: Header=BB279_15 Depth=1
	s_delay_alu instid0(VALU_DEP_3) | instskip(NEXT) | instid1(VALU_DEP_1)
	v_clz_i32_u32_e32 v0, v0
	v_min_u32_e32 v0, 32, v0
	s_delay_alu instid0(VALU_DEP_1) | instskip(NEXT) | instid1(VALU_DEP_1)
	v_subrev_nc_u32_e32 v6, 28, v0
	v_lshlrev_b64_e32 v[8:9], v6, v[4:5]
	v_sub_nc_u32_e32 v6, 29, v0
	s_delay_alu instid0(VALU_DEP_2)
	v_and_b32_e32 v0, 7, v8
; %bb.407:                              ;   in Loop: Header=BB279_15 Depth=1
	s_or_b32 exec_lo, exec_lo, s19
	v_lshlrev_b32_e32 v8, 8, v4
	s_delay_alu instid0(VALU_DEP_3) | instskip(NEXT) | instid1(VALU_DEP_3)
	v_lshl_add_u32 v6, v6, 10, 0x2000
	v_lshlrev_b32_e32 v0, 7, v0
	s_delay_alu instid0(VALU_DEP_3) | instskip(NEXT) | instid1(VALU_DEP_3)
	v_and_b32_e32 v8, 0x8000, v8
	v_and_b32_e32 v6, 0xfc00, v6
	s_delay_alu instid0(VALU_DEP_1)
	v_or3_b32 v62, v8, v6, v0
.LBB279_408:                            ;   in Loop: Header=BB279_15 Depth=1
	s_or_b32 exec_lo, exec_lo, s18
.LBB279_409:                            ;   in Loop: Header=BB279_15 Depth=1
	s_delay_alu instid0(SALU_CYCLE_1)
	s_or_b32 exec_lo, exec_lo, s17
.LBB279_410:                            ;   in Loop: Header=BB279_15 Depth=1
	s_delay_alu instid0(SALU_CYCLE_1) | instskip(SKIP_3) | instid1(VALU_DEP_2)
	s_or_b32 exec_lo, exec_lo, s16
	v_lshrrev_b16 v24, 8, v4
	v_dual_mov_b32 v72, 0 :: v_dual_mov_b32 v75, 0
	s_mov_b32 s16, exec_lo
	v_cmpx_ne_u16_e32 0, v24
	s_cbranch_execz .LBB279_418
; %bb.411:                              ;   in Loop: Header=BB279_15 Depth=1
	v_bfrev_b32_e32 v75, 1
	s_mov_b32 s17, exec_lo
	v_cmpx_ne_u16_e32 0x80, v24
	s_cbranch_execz .LBB279_417
; %bb.412:                              ;   in Loop: Header=BB279_15 Depth=1
	v_and_b32_e32 v0, 0xffff, v24
	v_mov_b32_e32 v75, 0x7c010000
	s_mov_b32 s18, exec_lo
	s_delay_alu instid0(VALU_DEP_2) | instskip(NEXT) | instid1(VALU_DEP_1)
	v_and_b32_e32 v9, 0x7f, v0
	v_cmpx_ne_u32_e32 0x7f, v9
	s_cbranch_execz .LBB279_416
; %bb.413:                              ;   in Loop: Header=BB279_15 Depth=1
	v_dual_lshrrev_b32 v8, 3, v9 :: v_dual_bitop2_b32 v6, 7, v0 bitop3:0x40
	s_mov_b32 s19, exec_lo
	v_cmpx_gt_u32_e32 8, v9
; %bb.414:                              ;   in Loop: Header=BB279_15 Depth=1
	s_delay_alu instid0(VALU_DEP_2) | instskip(NEXT) | instid1(VALU_DEP_1)
	v_clz_i32_u32_e32 v6, v6
	v_min_u32_e32 v6, 32, v6
	s_delay_alu instid0(VALU_DEP_1) | instskip(NEXT) | instid1(VALU_DEP_1)
	v_subrev_nc_u32_e32 v8, 28, v6
	v_lshlrev_b64_e32 v[10:11], v8, v[24:25]
	v_sub_nc_u32_e32 v8, 29, v6
	s_delay_alu instid0(VALU_DEP_2)
	v_and_b32_e32 v6, 7, v10
; %bb.415:                              ;   in Loop: Header=BB279_15 Depth=1
	s_or_b32 exec_lo, exec_lo, s19
	s_delay_alu instid0(VALU_DEP_1) | instskip(NEXT) | instid1(VALU_DEP_3)
	v_dual_lshlrev_b32 v0, 8, v0 :: v_dual_lshlrev_b32 v6, 23, v6
	v_lshl_add_u32 v8, v8, 10, 0x2000
	s_delay_alu instid0(VALU_DEP_1) | instskip(NEXT) | instid1(VALU_DEP_1)
	v_and_or_b32 v0, 0x8000, v0, v8
	v_lshl_or_b32 v75, v0, 16, v6
.LBB279_416:                            ;   in Loop: Header=BB279_15 Depth=1
	s_or_b32 exec_lo, exec_lo, s18
.LBB279_417:                            ;   in Loop: Header=BB279_15 Depth=1
	s_delay_alu instid0(SALU_CYCLE_1)
	s_or_b32 exec_lo, exec_lo, s17
.LBB279_418:                            ;   in Loop: Header=BB279_15 Depth=1
	s_delay_alu instid0(SALU_CYCLE_1) | instskip(SKIP_2) | instid1(VALU_DEP_1)
	s_or_b32 exec_lo, exec_lo, s16
	v_lshrrev_b32_e32 v0, 16, v4
	s_mov_b32 s16, exec_lo
	v_and_b32_e32 v6, 0xff, v0
	s_delay_alu instid0(VALU_DEP_1)
	v_cmpx_ne_u16_e32 0, v6
	s_cbranch_execz .LBB279_426
; %bb.419:                              ;   in Loop: Header=BB279_15 Depth=1
	v_mov_b32_e32 v72, 0x8000
	s_mov_b32 s17, exec_lo
	v_cmpx_ne_u16_e32 0x80, v6
	s_cbranch_execz .LBB279_425
; %bb.420:                              ;   in Loop: Header=BB279_15 Depth=1
	v_bfe_u32 v9, v4, 16, 7
	v_mov_b32_e32 v72, 0x7c01
	s_mov_b32 s18, exec_lo
	s_delay_alu instid0(VALU_DEP_2)
	v_cmpx_ne_u32_e32 0x7f, v9
	s_cbranch_execz .LBB279_424
; %bb.421:                              ;   in Loop: Header=BB279_15 Depth=1
	v_dual_lshrrev_b32 v8, 3, v9 :: v_dual_bitop2_b32 v6, 7, v0 bitop3:0x40
	s_mov_b32 s19, exec_lo
	v_cmpx_gt_u32_e32 8, v9
; %bb.422:                              ;   in Loop: Header=BB279_15 Depth=1
	s_delay_alu instid0(VALU_DEP_2) | instskip(NEXT) | instid1(VALU_DEP_1)
	v_clz_i32_u32_e32 v6, v6
	v_min_u32_e32 v6, 32, v6
	s_delay_alu instid0(VALU_DEP_1) | instskip(NEXT) | instid1(VALU_DEP_1)
	v_subrev_nc_u32_e32 v8, 28, v6
	v_lshlrev_b64_e32 v[10:11], v8, v[0:1]
	v_sub_nc_u32_e32 v8, 29, v6
	s_delay_alu instid0(VALU_DEP_2)
	v_and_b32_e32 v6, 7, v10
; %bb.423:                              ;   in Loop: Header=BB279_15 Depth=1
	s_or_b32 exec_lo, exec_lo, s19
	s_delay_alu instid0(VALU_DEP_1) | instskip(NEXT) | instid1(VALU_DEP_3)
	v_dual_lshlrev_b32 v0, 8, v0 :: v_dual_lshlrev_b32 v6, 7, v6
	v_lshl_add_u32 v8, v8, 10, 0x2000
	s_delay_alu instid0(VALU_DEP_2) | instskip(NEXT) | instid1(VALU_DEP_2)
	v_and_b32_e32 v0, 0x8000, v0
	v_and_b32_e32 v8, 0xfc00, v8
	s_delay_alu instid0(VALU_DEP_1)
	v_or3_b32 v72, v0, v8, v6
.LBB279_424:                            ;   in Loop: Header=BB279_15 Depth=1
	s_or_b32 exec_lo, exec_lo, s18
.LBB279_425:                            ;   in Loop: Header=BB279_15 Depth=1
	s_delay_alu instid0(SALU_CYCLE_1)
	s_or_b32 exec_lo, exec_lo, s17
.LBB279_426:                            ;   in Loop: Header=BB279_15 Depth=1
	s_delay_alu instid0(SALU_CYCLE_1)
	s_or_b32 exec_lo, exec_lo, s16
	v_dual_mov_b32 v96, 0 :: v_dual_mov_b32 v77, 0
	s_mov_b32 s16, exec_lo
	v_cmpx_lt_u32_e32 0xffffff, v4
	s_cbranch_execz .LBB279_434
; %bb.427:                              ;   in Loop: Header=BB279_15 Depth=1
	v_lshrrev_b32_e32 v24, 24, v4
	v_bfrev_b32_e32 v77, 1
	s_mov_b32 s17, exec_lo
	s_delay_alu instid0(VALU_DEP_2)
	v_cmpx_ne_u32_e32 0x80, v24
	s_cbranch_execz .LBB279_433
; %bb.428:                              ;   in Loop: Header=BB279_15 Depth=1
	v_and_b32_e32 v8, 0x7f, v24
	v_mov_b32_e32 v77, 0x7c010000
	s_mov_b32 s18, exec_lo
	s_delay_alu instid0(VALU_DEP_2)
	v_cmpx_ne_u32_e32 0x7f, v8
	s_cbranch_execz .LBB279_432
; %bb.429:                              ;   in Loop: Header=BB279_15 Depth=1
	v_and_b32_e32 v0, 7, v24
	v_lshrrev_b32_e32 v6, 3, v8
	s_mov_b32 s19, exec_lo
	v_cmpx_gt_u32_e32 8, v8
; %bb.430:                              ;   in Loop: Header=BB279_15 Depth=1
	s_delay_alu instid0(VALU_DEP_3) | instskip(NEXT) | instid1(VALU_DEP_1)
	v_clz_i32_u32_e32 v0, v0
	v_min_u32_e32 v0, 32, v0
	s_delay_alu instid0(VALU_DEP_1) | instskip(NEXT) | instid1(VALU_DEP_1)
	v_subrev_nc_u32_e32 v6, 28, v0
	v_lshlrev_b64_e32 v[8:9], v6, v[24:25]
	v_sub_nc_u32_e32 v6, 29, v0
	s_delay_alu instid0(VALU_DEP_2)
	v_and_b32_e32 v0, 7, v8
; %bb.431:                              ;   in Loop: Header=BB279_15 Depth=1
	s_or_b32 exec_lo, exec_lo, s19
	v_lshlrev_b32_e32 v8, 8, v24
	s_delay_alu instid0(VALU_DEP_3) | instskip(NEXT) | instid1(VALU_DEP_3)
	v_lshl_add_u32 v6, v6, 10, 0x2000
	v_lshlrev_b32_e32 v0, 23, v0
	s_delay_alu instid0(VALU_DEP_2) | instskip(NEXT) | instid1(VALU_DEP_1)
	v_and_or_b32 v6, 0x8000, v8, v6
	v_lshl_or_b32 v77, v6, 16, v0
.LBB279_432:                            ;   in Loop: Header=BB279_15 Depth=1
	s_or_b32 exec_lo, exec_lo, s18
.LBB279_433:                            ;   in Loop: Header=BB279_15 Depth=1
	s_delay_alu instid0(SALU_CYCLE_1)
	s_or_b32 exec_lo, exec_lo, s17
.LBB279_434:                            ;   in Loop: Header=BB279_15 Depth=1
	s_delay_alu instid0(SALU_CYCLE_1) | instskip(SKIP_3) | instid1(VALU_DEP_2)
	s_or_b32 exec_lo, exec_lo, s16
	v_and_b32_e32 v0, 0xff, v5
	v_mov_b32_e32 v24, v5
	s_mov_b32 s16, exec_lo
	v_cmpx_ne_u16_e32 0, v0
	s_cbranch_execz .LBB279_442
; %bb.435:                              ;   in Loop: Header=BB279_15 Depth=1
	v_mov_b32_e32 v96, 0x8000
	s_mov_b32 s17, exec_lo
	v_cmpx_ne_u16_e32 0x80, v0
	s_cbranch_execz .LBB279_441
; %bb.436:                              ;   in Loop: Header=BB279_15 Depth=1
	v_and_b32_e32 v8, 0x7f, v5
	v_mov_b32_e32 v96, 0x7c01
	s_mov_b32 s18, exec_lo
	s_delay_alu instid0(VALU_DEP_2)
	v_cmpx_ne_u32_e32 0x7f, v8
	s_cbranch_execz .LBB279_440
; %bb.437:                              ;   in Loop: Header=BB279_15 Depth=1
	v_dual_lshrrev_b32 v6, 3, v8 :: v_dual_bitop2_b32 v0, 7, v5 bitop3:0x40
	s_mov_b32 s19, exec_lo
	v_cmpx_gt_u32_e32 8, v8
; %bb.438:                              ;   in Loop: Header=BB279_15 Depth=1
	s_delay_alu instid0(VALU_DEP_2) | instskip(NEXT) | instid1(VALU_DEP_1)
	v_clz_i32_u32_e32 v0, v0
	v_min_u32_e32 v0, 32, v0
	s_delay_alu instid0(VALU_DEP_1) | instskip(NEXT) | instid1(VALU_DEP_1)
	v_subrev_nc_u32_e32 v6, 28, v0
	v_lshlrev_b64_e32 v[8:9], v6, v[24:25]
	v_sub_nc_u32_e32 v6, 29, v0
	s_delay_alu instid0(VALU_DEP_2)
	v_and_b32_e32 v0, 7, v8
; %bb.439:                              ;   in Loop: Header=BB279_15 Depth=1
	s_or_b32 exec_lo, exec_lo, s19
	s_delay_alu instid0(VALU_DEP_1) | instskip(NEXT) | instid1(VALU_DEP_3)
	v_dual_lshlrev_b32 v8, 8, v5 :: v_dual_lshlrev_b32 v0, 7, v0
	v_lshl_add_u32 v6, v6, 10, 0x2000
	s_delay_alu instid0(VALU_DEP_2) | instskip(NEXT) | instid1(VALU_DEP_2)
	v_and_b32_e32 v8, 0x8000, v8
	v_and_b32_e32 v6, 0xfc00, v6
	s_delay_alu instid0(VALU_DEP_1)
	v_or3_b32 v96, v8, v6, v0
.LBB279_440:                            ;   in Loop: Header=BB279_15 Depth=1
	s_or_b32 exec_lo, exec_lo, s18
.LBB279_441:                            ;   in Loop: Header=BB279_15 Depth=1
	s_delay_alu instid0(SALU_CYCLE_1)
	s_or_b32 exec_lo, exec_lo, s17
.LBB279_442:                            ;   in Loop: Header=BB279_15 Depth=1
	s_delay_alu instid0(SALU_CYCLE_1) | instskip(SKIP_3) | instid1(VALU_DEP_2)
	s_or_b32 exec_lo, exec_lo, s16
	v_lshrrev_b16 v24, 8, v24
	v_dual_mov_b32 v98, 0 :: v_dual_mov_b32 v79, 0
	s_mov_b32 s16, exec_lo
	v_cmpx_ne_u16_e32 0, v24
	s_cbranch_execz .LBB279_450
; %bb.443:                              ;   in Loop: Header=BB279_15 Depth=1
	v_bfrev_b32_e32 v79, 1
	s_mov_b32 s17, exec_lo
	v_cmpx_ne_u16_e32 0x80, v24
	s_cbranch_execz .LBB279_449
; %bb.444:                              ;   in Loop: Header=BB279_15 Depth=1
	v_and_b32_e32 v0, 0xffff, v24
	v_mov_b32_e32 v79, 0x7c010000
	s_mov_b32 s18, exec_lo
	s_delay_alu instid0(VALU_DEP_2) | instskip(NEXT) | instid1(VALU_DEP_1)
	v_and_b32_e32 v9, 0x7f, v0
	v_cmpx_ne_u32_e32 0x7f, v9
	s_cbranch_execz .LBB279_448
; %bb.445:                              ;   in Loop: Header=BB279_15 Depth=1
	v_dual_lshrrev_b32 v8, 3, v9 :: v_dual_bitop2_b32 v6, 7, v0 bitop3:0x40
	s_mov_b32 s19, exec_lo
	v_cmpx_gt_u32_e32 8, v9
; %bb.446:                              ;   in Loop: Header=BB279_15 Depth=1
	s_delay_alu instid0(VALU_DEP_2) | instskip(NEXT) | instid1(VALU_DEP_1)
	v_clz_i32_u32_e32 v6, v6
	v_min_u32_e32 v6, 32, v6
	s_delay_alu instid0(VALU_DEP_1) | instskip(NEXT) | instid1(VALU_DEP_1)
	v_subrev_nc_u32_e32 v8, 28, v6
	v_lshlrev_b64_e32 v[10:11], v8, v[24:25]
	v_sub_nc_u32_e32 v8, 29, v6
	s_delay_alu instid0(VALU_DEP_2)
	v_and_b32_e32 v6, 7, v10
; %bb.447:                              ;   in Loop: Header=BB279_15 Depth=1
	s_or_b32 exec_lo, exec_lo, s19
	s_delay_alu instid0(VALU_DEP_1) | instskip(NEXT) | instid1(VALU_DEP_3)
	v_dual_lshlrev_b32 v0, 8, v0 :: v_dual_lshlrev_b32 v6, 23, v6
	v_lshl_add_u32 v8, v8, 10, 0x2000
	s_delay_alu instid0(VALU_DEP_1) | instskip(NEXT) | instid1(VALU_DEP_1)
	v_and_or_b32 v0, 0x8000, v0, v8
	v_lshl_or_b32 v79, v0, 16, v6
.LBB279_448:                            ;   in Loop: Header=BB279_15 Depth=1
	s_or_b32 exec_lo, exec_lo, s18
.LBB279_449:                            ;   in Loop: Header=BB279_15 Depth=1
	s_delay_alu instid0(SALU_CYCLE_1)
	s_or_b32 exec_lo, exec_lo, s17
.LBB279_450:                            ;   in Loop: Header=BB279_15 Depth=1
	s_delay_alu instid0(SALU_CYCLE_1) | instskip(SKIP_2) | instid1(VALU_DEP_1)
	s_or_b32 exec_lo, exec_lo, s16
	v_lshrrev_b32_e32 v0, 16, v5
	s_mov_b32 s16, exec_lo
	v_and_b32_e32 v6, 0xff, v0
	s_delay_alu instid0(VALU_DEP_1)
	v_cmpx_ne_u16_e32 0, v6
	s_cbranch_execz .LBB279_458
; %bb.451:                              ;   in Loop: Header=BB279_15 Depth=1
	v_mov_b32_e32 v98, 0x8000
	s_mov_b32 s17, exec_lo
	v_cmpx_ne_u16_e32 0x80, v6
	s_cbranch_execz .LBB279_457
; %bb.452:                              ;   in Loop: Header=BB279_15 Depth=1
	v_bfe_u32 v9, v5, 16, 7
	v_mov_b32_e32 v98, 0x7c01
	s_mov_b32 s18, exec_lo
	s_delay_alu instid0(VALU_DEP_2)
	v_cmpx_ne_u32_e32 0x7f, v9
	s_cbranch_execz .LBB279_456
; %bb.453:                              ;   in Loop: Header=BB279_15 Depth=1
	v_dual_lshrrev_b32 v8, 3, v9 :: v_dual_bitop2_b32 v6, 7, v0 bitop3:0x40
	s_mov_b32 s19, exec_lo
	v_cmpx_gt_u32_e32 8, v9
; %bb.454:                              ;   in Loop: Header=BB279_15 Depth=1
	s_delay_alu instid0(VALU_DEP_2) | instskip(NEXT) | instid1(VALU_DEP_1)
	v_clz_i32_u32_e32 v6, v6
	v_min_u32_e32 v6, 32, v6
	s_delay_alu instid0(VALU_DEP_1) | instskip(NEXT) | instid1(VALU_DEP_1)
	v_subrev_nc_u32_e32 v8, 28, v6
	v_lshlrev_b64_e32 v[10:11], v8, v[0:1]
	v_sub_nc_u32_e32 v8, 29, v6
	s_delay_alu instid0(VALU_DEP_2)
	v_and_b32_e32 v6, 7, v10
; %bb.455:                              ;   in Loop: Header=BB279_15 Depth=1
	s_or_b32 exec_lo, exec_lo, s19
	s_delay_alu instid0(VALU_DEP_1) | instskip(NEXT) | instid1(VALU_DEP_3)
	v_dual_lshlrev_b32 v0, 8, v0 :: v_dual_lshlrev_b32 v6, 7, v6
	v_lshl_add_u32 v8, v8, 10, 0x2000
	s_delay_alu instid0(VALU_DEP_2) | instskip(NEXT) | instid1(VALU_DEP_2)
	v_and_b32_e32 v0, 0x8000, v0
	v_and_b32_e32 v8, 0xfc00, v8
	s_delay_alu instid0(VALU_DEP_1)
	v_or3_b32 v98, v0, v8, v6
.LBB279_456:                            ;   in Loop: Header=BB279_15 Depth=1
	s_or_b32 exec_lo, exec_lo, s18
.LBB279_457:                            ;   in Loop: Header=BB279_15 Depth=1
	s_delay_alu instid0(SALU_CYCLE_1)
	s_or_b32 exec_lo, exec_lo, s17
.LBB279_458:                            ;   in Loop: Header=BB279_15 Depth=1
	s_delay_alu instid0(SALU_CYCLE_1)
	s_or_b32 exec_lo, exec_lo, s16
	v_dual_mov_b32 v78, 0 :: v_dual_mov_b32 v89, 0
	s_mov_b32 s16, exec_lo
	v_cmpx_lt_u64_e64 s[8:9], v[4:5]
	s_cbranch_execz .LBB279_466
; %bb.459:                              ;   in Loop: Header=BB279_15 Depth=1
	v_lshrrev_b32_e32 v24, 24, v5
	v_bfrev_b32_e32 v89, 1
	s_mov_b32 s17, exec_lo
	s_delay_alu instid0(VALU_DEP_2)
	v_cmpx_ne_u32_e32 0x80, v24
	s_cbranch_execz .LBB279_465
; %bb.460:                              ;   in Loop: Header=BB279_15 Depth=1
	v_and_b32_e32 v5, 0x7f, v24
	v_mov_b32_e32 v89, 0x7c010000
	s_mov_b32 s18, exec_lo
	s_delay_alu instid0(VALU_DEP_2)
	v_cmpx_ne_u32_e32 0x7f, v5
	s_cbranch_execz .LBB279_464
; %bb.461:                              ;   in Loop: Header=BB279_15 Depth=1
	v_dual_lshrrev_b32 v4, 3, v5 :: v_dual_bitop2_b32 v0, 7, v24 bitop3:0x40
	s_mov_b32 s19, exec_lo
	v_cmpx_gt_u32_e32 8, v5
; %bb.462:                              ;   in Loop: Header=BB279_15 Depth=1
	s_delay_alu instid0(VALU_DEP_2) | instskip(NEXT) | instid1(VALU_DEP_1)
	v_clz_i32_u32_e32 v0, v0
	v_min_u32_e32 v0, 32, v0
	s_delay_alu instid0(VALU_DEP_1) | instskip(NEXT) | instid1(VALU_DEP_1)
	v_subrev_nc_u32_e32 v4, 28, v0
	v_lshlrev_b64_e32 v[8:9], v4, v[24:25]
	v_sub_nc_u32_e32 v4, 29, v0
	s_delay_alu instid0(VALU_DEP_2)
	v_and_b32_e32 v0, 7, v8
; %bb.463:                              ;   in Loop: Header=BB279_15 Depth=1
	s_or_b32 exec_lo, exec_lo, s19
	v_lshlrev_b32_e32 v5, 8, v24
	s_delay_alu instid0(VALU_DEP_3) | instskip(NEXT) | instid1(VALU_DEP_3)
	v_lshl_add_u32 v4, v4, 10, 0x2000
	v_lshlrev_b32_e32 v0, 23, v0
	s_delay_alu instid0(VALU_DEP_2) | instskip(NEXT) | instid1(VALU_DEP_1)
	v_and_or_b32 v4, 0x8000, v5, v4
	v_lshl_or_b32 v89, v4, 16, v0
.LBB279_464:                            ;   in Loop: Header=BB279_15 Depth=1
	s_or_b32 exec_lo, exec_lo, s18
.LBB279_465:                            ;   in Loop: Header=BB279_15 Depth=1
	s_delay_alu instid0(SALU_CYCLE_1)
	s_or_b32 exec_lo, exec_lo, s17
.LBB279_466:                            ;   in Loop: Header=BB279_15 Depth=1
	s_delay_alu instid0(SALU_CYCLE_1)
	s_or_b32 exec_lo, exec_lo, s16
	flat_load_b64 v[4:5], v[2:3] offset:1544
	s_mov_b32 s16, exec_lo
	s_wait_loadcnt_dscnt 0x0
	v_and_b32_e32 v0, 0xff, v4
	s_wait_xcnt 0x0
	s_delay_alu instid0(VALU_DEP_1)
	v_cmpx_ne_u16_e32 0, v0
	s_cbranch_execz .LBB279_474
; %bb.467:                              ;   in Loop: Header=BB279_15 Depth=1
	v_mov_b32_e32 v78, 0x8000
	s_mov_b32 s17, exec_lo
	v_cmpx_ne_u16_e32 0x80, v0
	s_cbranch_execz .LBB279_473
; %bb.468:                              ;   in Loop: Header=BB279_15 Depth=1
	v_and_b32_e32 v8, 0x7f, v4
	v_mov_b32_e32 v78, 0x7c01
	s_mov_b32 s18, exec_lo
	s_delay_alu instid0(VALU_DEP_2)
	v_cmpx_ne_u32_e32 0x7f, v8
	s_cbranch_execz .LBB279_472
; %bb.469:                              ;   in Loop: Header=BB279_15 Depth=1
	v_and_b32_e32 v0, 7, v4
	v_lshrrev_b32_e32 v6, 3, v8
	s_mov_b32 s19, exec_lo
	v_cmpx_gt_u32_e32 8, v8
; %bb.470:                              ;   in Loop: Header=BB279_15 Depth=1
	s_delay_alu instid0(VALU_DEP_3) | instskip(NEXT) | instid1(VALU_DEP_1)
	v_clz_i32_u32_e32 v0, v0
	v_min_u32_e32 v0, 32, v0
	s_delay_alu instid0(VALU_DEP_1) | instskip(NEXT) | instid1(VALU_DEP_1)
	v_subrev_nc_u32_e32 v6, 28, v0
	v_lshlrev_b64_e32 v[8:9], v6, v[4:5]
	v_sub_nc_u32_e32 v6, 29, v0
	s_delay_alu instid0(VALU_DEP_2)
	v_and_b32_e32 v0, 7, v8
; %bb.471:                              ;   in Loop: Header=BB279_15 Depth=1
	s_or_b32 exec_lo, exec_lo, s19
	v_lshlrev_b32_e32 v8, 8, v4
	s_delay_alu instid0(VALU_DEP_3) | instskip(NEXT) | instid1(VALU_DEP_3)
	v_lshl_add_u32 v6, v6, 10, 0x2000
	v_lshlrev_b32_e32 v0, 7, v0
	s_delay_alu instid0(VALU_DEP_3) | instskip(NEXT) | instid1(VALU_DEP_3)
	v_and_b32_e32 v8, 0x8000, v8
	v_and_b32_e32 v6, 0xfc00, v6
	s_delay_alu instid0(VALU_DEP_1)
	v_or3_b32 v78, v8, v6, v0
.LBB279_472:                            ;   in Loop: Header=BB279_15 Depth=1
	s_or_b32 exec_lo, exec_lo, s18
.LBB279_473:                            ;   in Loop: Header=BB279_15 Depth=1
	s_delay_alu instid0(SALU_CYCLE_1)
	s_or_b32 exec_lo, exec_lo, s17
.LBB279_474:                            ;   in Loop: Header=BB279_15 Depth=1
	s_delay_alu instid0(SALU_CYCLE_1) | instskip(SKIP_3) | instid1(VALU_DEP_2)
	s_or_b32 exec_lo, exec_lo, s16
	v_lshrrev_b16 v24, 8, v4
	v_dual_mov_b32 v88, 0 :: v_dual_mov_b32 v38, 0
	s_mov_b32 s16, exec_lo
	v_cmpx_ne_u16_e32 0, v24
	s_cbranch_execz .LBB279_482
; %bb.475:                              ;   in Loop: Header=BB279_15 Depth=1
	v_bfrev_b32_e32 v38, 1
	s_mov_b32 s17, exec_lo
	v_cmpx_ne_u16_e32 0x80, v24
	s_cbranch_execz .LBB279_481
; %bb.476:                              ;   in Loop: Header=BB279_15 Depth=1
	v_and_b32_e32 v0, 0xffff, v24
	v_mov_b32_e32 v38, 0x7c010000
	s_mov_b32 s18, exec_lo
	s_delay_alu instid0(VALU_DEP_2) | instskip(NEXT) | instid1(VALU_DEP_1)
	v_and_b32_e32 v9, 0x7f, v0
	v_cmpx_ne_u32_e32 0x7f, v9
	s_cbranch_execz .LBB279_480
; %bb.477:                              ;   in Loop: Header=BB279_15 Depth=1
	v_dual_lshrrev_b32 v8, 3, v9 :: v_dual_bitop2_b32 v6, 7, v0 bitop3:0x40
	s_mov_b32 s19, exec_lo
	v_cmpx_gt_u32_e32 8, v9
; %bb.478:                              ;   in Loop: Header=BB279_15 Depth=1
	s_delay_alu instid0(VALU_DEP_2) | instskip(NEXT) | instid1(VALU_DEP_1)
	v_clz_i32_u32_e32 v6, v6
	v_min_u32_e32 v6, 32, v6
	s_delay_alu instid0(VALU_DEP_1) | instskip(NEXT) | instid1(VALU_DEP_1)
	v_subrev_nc_u32_e32 v8, 28, v6
	v_lshlrev_b64_e32 v[10:11], v8, v[24:25]
	v_sub_nc_u32_e32 v8, 29, v6
	s_delay_alu instid0(VALU_DEP_2)
	v_and_b32_e32 v6, 7, v10
; %bb.479:                              ;   in Loop: Header=BB279_15 Depth=1
	s_or_b32 exec_lo, exec_lo, s19
	s_delay_alu instid0(VALU_DEP_1) | instskip(NEXT) | instid1(VALU_DEP_3)
	v_dual_lshlrev_b32 v0, 8, v0 :: v_dual_lshlrev_b32 v6, 23, v6
	v_lshl_add_u32 v8, v8, 10, 0x2000
	s_delay_alu instid0(VALU_DEP_1) | instskip(NEXT) | instid1(VALU_DEP_1)
	v_and_or_b32 v0, 0x8000, v0, v8
	v_lshl_or_b32 v38, v0, 16, v6
.LBB279_480:                            ;   in Loop: Header=BB279_15 Depth=1
	s_or_b32 exec_lo, exec_lo, s18
.LBB279_481:                            ;   in Loop: Header=BB279_15 Depth=1
	s_delay_alu instid0(SALU_CYCLE_1)
	s_or_b32 exec_lo, exec_lo, s17
.LBB279_482:                            ;   in Loop: Header=BB279_15 Depth=1
	s_delay_alu instid0(SALU_CYCLE_1) | instskip(SKIP_2) | instid1(VALU_DEP_1)
	s_or_b32 exec_lo, exec_lo, s16
	v_lshrrev_b32_e32 v0, 16, v4
	s_mov_b32 s16, exec_lo
	v_and_b32_e32 v6, 0xff, v0
	s_delay_alu instid0(VALU_DEP_1)
	v_cmpx_ne_u16_e32 0, v6
	s_cbranch_execz .LBB279_490
; %bb.483:                              ;   in Loop: Header=BB279_15 Depth=1
	v_mov_b32_e32 v88, 0x8000
	s_mov_b32 s17, exec_lo
	v_cmpx_ne_u16_e32 0x80, v6
	s_cbranch_execz .LBB279_489
; %bb.484:                              ;   in Loop: Header=BB279_15 Depth=1
	v_bfe_u32 v9, v4, 16, 7
	v_mov_b32_e32 v88, 0x7c01
	s_mov_b32 s18, exec_lo
	s_delay_alu instid0(VALU_DEP_2)
	v_cmpx_ne_u32_e32 0x7f, v9
	s_cbranch_execz .LBB279_488
; %bb.485:                              ;   in Loop: Header=BB279_15 Depth=1
	v_dual_lshrrev_b32 v8, 3, v9 :: v_dual_bitop2_b32 v6, 7, v0 bitop3:0x40
	s_mov_b32 s19, exec_lo
	v_cmpx_gt_u32_e32 8, v9
; %bb.486:                              ;   in Loop: Header=BB279_15 Depth=1
	s_delay_alu instid0(VALU_DEP_2) | instskip(NEXT) | instid1(VALU_DEP_1)
	v_clz_i32_u32_e32 v6, v6
	v_min_u32_e32 v6, 32, v6
	s_delay_alu instid0(VALU_DEP_1) | instskip(NEXT) | instid1(VALU_DEP_1)
	v_subrev_nc_u32_e32 v8, 28, v6
	v_lshlrev_b64_e32 v[10:11], v8, v[0:1]
	v_sub_nc_u32_e32 v8, 29, v6
	s_delay_alu instid0(VALU_DEP_2)
	v_and_b32_e32 v6, 7, v10
; %bb.487:                              ;   in Loop: Header=BB279_15 Depth=1
	s_or_b32 exec_lo, exec_lo, s19
	s_delay_alu instid0(VALU_DEP_1) | instskip(NEXT) | instid1(VALU_DEP_3)
	v_dual_lshlrev_b32 v0, 8, v0 :: v_dual_lshlrev_b32 v6, 7, v6
	v_lshl_add_u32 v8, v8, 10, 0x2000
	s_delay_alu instid0(VALU_DEP_2) | instskip(NEXT) | instid1(VALU_DEP_2)
	v_and_b32_e32 v0, 0x8000, v0
	v_and_b32_e32 v8, 0xfc00, v8
	s_delay_alu instid0(VALU_DEP_1)
	v_or3_b32 v88, v0, v8, v6
.LBB279_488:                            ;   in Loop: Header=BB279_15 Depth=1
	s_or_b32 exec_lo, exec_lo, s18
.LBB279_489:                            ;   in Loop: Header=BB279_15 Depth=1
	s_delay_alu instid0(SALU_CYCLE_1)
	s_or_b32 exec_lo, exec_lo, s17
.LBB279_490:                            ;   in Loop: Header=BB279_15 Depth=1
	s_delay_alu instid0(SALU_CYCLE_1)
	s_or_b32 exec_lo, exec_lo, s16
	v_dual_mov_b32 v45, 0 :: v_dual_mov_b32 v105, 0
	s_mov_b32 s16, exec_lo
	v_cmpx_lt_u32_e32 0xffffff, v4
	s_cbranch_execz .LBB279_498
; %bb.491:                              ;   in Loop: Header=BB279_15 Depth=1
	v_lshrrev_b32_e32 v24, 24, v4
	v_bfrev_b32_e32 v105, 1
	s_mov_b32 s17, exec_lo
	s_delay_alu instid0(VALU_DEP_2)
	v_cmpx_ne_u32_e32 0x80, v24
	s_cbranch_execz .LBB279_497
; %bb.492:                              ;   in Loop: Header=BB279_15 Depth=1
	v_and_b32_e32 v8, 0x7f, v24
	v_mov_b32_e32 v105, 0x7c010000
	s_mov_b32 s18, exec_lo
	s_delay_alu instid0(VALU_DEP_2)
	v_cmpx_ne_u32_e32 0x7f, v8
	s_cbranch_execz .LBB279_496
; %bb.493:                              ;   in Loop: Header=BB279_15 Depth=1
	v_and_b32_e32 v0, 7, v24
	v_lshrrev_b32_e32 v6, 3, v8
	s_mov_b32 s19, exec_lo
	v_cmpx_gt_u32_e32 8, v8
; %bb.494:                              ;   in Loop: Header=BB279_15 Depth=1
	s_delay_alu instid0(VALU_DEP_3) | instskip(NEXT) | instid1(VALU_DEP_1)
	v_clz_i32_u32_e32 v0, v0
	v_min_u32_e32 v0, 32, v0
	s_delay_alu instid0(VALU_DEP_1) | instskip(NEXT) | instid1(VALU_DEP_1)
	v_subrev_nc_u32_e32 v6, 28, v0
	v_lshlrev_b64_e32 v[8:9], v6, v[24:25]
	v_sub_nc_u32_e32 v6, 29, v0
	s_delay_alu instid0(VALU_DEP_2)
	v_and_b32_e32 v0, 7, v8
; %bb.495:                              ;   in Loop: Header=BB279_15 Depth=1
	s_or_b32 exec_lo, exec_lo, s19
	v_lshlrev_b32_e32 v8, 8, v24
	s_delay_alu instid0(VALU_DEP_3) | instskip(NEXT) | instid1(VALU_DEP_3)
	v_lshl_add_u32 v6, v6, 10, 0x2000
	v_lshlrev_b32_e32 v0, 23, v0
	s_delay_alu instid0(VALU_DEP_2) | instskip(NEXT) | instid1(VALU_DEP_1)
	v_and_or_b32 v6, 0x8000, v8, v6
	v_lshl_or_b32 v105, v6, 16, v0
.LBB279_496:                            ;   in Loop: Header=BB279_15 Depth=1
	s_or_b32 exec_lo, exec_lo, s18
.LBB279_497:                            ;   in Loop: Header=BB279_15 Depth=1
	s_delay_alu instid0(SALU_CYCLE_1)
	s_or_b32 exec_lo, exec_lo, s17
.LBB279_498:                            ;   in Loop: Header=BB279_15 Depth=1
	s_delay_alu instid0(SALU_CYCLE_1) | instskip(SKIP_3) | instid1(VALU_DEP_2)
	s_or_b32 exec_lo, exec_lo, s16
	v_and_b32_e32 v0, 0xff, v5
	v_mov_b32_e32 v24, v5
	s_mov_b32 s16, exec_lo
	v_cmpx_ne_u16_e32 0, v0
	s_cbranch_execz .LBB279_506
; %bb.499:                              ;   in Loop: Header=BB279_15 Depth=1
	v_mov_b32_e32 v45, 0x8000
	s_mov_b32 s17, exec_lo
	v_cmpx_ne_u16_e32 0x80, v0
	s_cbranch_execz .LBB279_505
; %bb.500:                              ;   in Loop: Header=BB279_15 Depth=1
	v_and_b32_e32 v8, 0x7f, v5
	v_mov_b32_e32 v45, 0x7c01
	s_mov_b32 s18, exec_lo
	s_delay_alu instid0(VALU_DEP_2)
	v_cmpx_ne_u32_e32 0x7f, v8
	s_cbranch_execz .LBB279_504
; %bb.501:                              ;   in Loop: Header=BB279_15 Depth=1
	v_dual_lshrrev_b32 v6, 3, v8 :: v_dual_bitop2_b32 v0, 7, v5 bitop3:0x40
	s_mov_b32 s19, exec_lo
	v_cmpx_gt_u32_e32 8, v8
; %bb.502:                              ;   in Loop: Header=BB279_15 Depth=1
	s_delay_alu instid0(VALU_DEP_2) | instskip(NEXT) | instid1(VALU_DEP_1)
	v_clz_i32_u32_e32 v0, v0
	v_min_u32_e32 v0, 32, v0
	s_delay_alu instid0(VALU_DEP_1) | instskip(NEXT) | instid1(VALU_DEP_1)
	v_subrev_nc_u32_e32 v6, 28, v0
	v_lshlrev_b64_e32 v[8:9], v6, v[24:25]
	v_sub_nc_u32_e32 v6, 29, v0
	s_delay_alu instid0(VALU_DEP_2)
	v_and_b32_e32 v0, 7, v8
; %bb.503:                              ;   in Loop: Header=BB279_15 Depth=1
	s_or_b32 exec_lo, exec_lo, s19
	s_delay_alu instid0(VALU_DEP_1) | instskip(NEXT) | instid1(VALU_DEP_3)
	v_dual_lshlrev_b32 v8, 8, v5 :: v_dual_lshlrev_b32 v0, 7, v0
	v_lshl_add_u32 v6, v6, 10, 0x2000
	s_delay_alu instid0(VALU_DEP_2) | instskip(NEXT) | instid1(VALU_DEP_2)
	v_and_b32_e32 v8, 0x8000, v8
	v_and_b32_e32 v6, 0xfc00, v6
	s_delay_alu instid0(VALU_DEP_1)
	v_or3_b32 v45, v8, v6, v0
.LBB279_504:                            ;   in Loop: Header=BB279_15 Depth=1
	s_or_b32 exec_lo, exec_lo, s18
.LBB279_505:                            ;   in Loop: Header=BB279_15 Depth=1
	s_delay_alu instid0(SALU_CYCLE_1)
	s_or_b32 exec_lo, exec_lo, s17
.LBB279_506:                            ;   in Loop: Header=BB279_15 Depth=1
	s_delay_alu instid0(SALU_CYCLE_1) | instskip(SKIP_3) | instid1(VALU_DEP_2)
	s_or_b32 exec_lo, exec_lo, s16
	v_lshrrev_b16 v24, 8, v24
	v_dual_mov_b32 v122, 0 :: v_dual_mov_b32 v40, 0
	s_mov_b32 s16, exec_lo
	v_cmpx_ne_u16_e32 0, v24
	s_cbranch_execz .LBB279_514
; %bb.507:                              ;   in Loop: Header=BB279_15 Depth=1
	v_bfrev_b32_e32 v40, 1
	s_mov_b32 s17, exec_lo
	v_cmpx_ne_u16_e32 0x80, v24
	s_cbranch_execz .LBB279_513
; %bb.508:                              ;   in Loop: Header=BB279_15 Depth=1
	v_and_b32_e32 v0, 0xffff, v24
	v_mov_b32_e32 v40, 0x7c010000
	s_mov_b32 s18, exec_lo
	s_delay_alu instid0(VALU_DEP_2) | instskip(NEXT) | instid1(VALU_DEP_1)
	v_and_b32_e32 v9, 0x7f, v0
	v_cmpx_ne_u32_e32 0x7f, v9
	s_cbranch_execz .LBB279_512
; %bb.509:                              ;   in Loop: Header=BB279_15 Depth=1
	v_dual_lshrrev_b32 v8, 3, v9 :: v_dual_bitop2_b32 v6, 7, v0 bitop3:0x40
	s_mov_b32 s19, exec_lo
	v_cmpx_gt_u32_e32 8, v9
; %bb.510:                              ;   in Loop: Header=BB279_15 Depth=1
	s_delay_alu instid0(VALU_DEP_2) | instskip(NEXT) | instid1(VALU_DEP_1)
	v_clz_i32_u32_e32 v6, v6
	v_min_u32_e32 v6, 32, v6
	s_delay_alu instid0(VALU_DEP_1) | instskip(NEXT) | instid1(VALU_DEP_1)
	v_subrev_nc_u32_e32 v8, 28, v6
	v_lshlrev_b64_e32 v[10:11], v8, v[24:25]
	v_sub_nc_u32_e32 v8, 29, v6
	s_delay_alu instid0(VALU_DEP_2)
	v_and_b32_e32 v6, 7, v10
; %bb.511:                              ;   in Loop: Header=BB279_15 Depth=1
	s_or_b32 exec_lo, exec_lo, s19
	s_delay_alu instid0(VALU_DEP_1) | instskip(NEXT) | instid1(VALU_DEP_3)
	v_dual_lshlrev_b32 v0, 8, v0 :: v_dual_lshlrev_b32 v6, 23, v6
	v_lshl_add_u32 v8, v8, 10, 0x2000
	s_delay_alu instid0(VALU_DEP_1) | instskip(NEXT) | instid1(VALU_DEP_1)
	v_and_or_b32 v0, 0x8000, v0, v8
	v_lshl_or_b32 v40, v0, 16, v6
.LBB279_512:                            ;   in Loop: Header=BB279_15 Depth=1
	s_or_b32 exec_lo, exec_lo, s18
.LBB279_513:                            ;   in Loop: Header=BB279_15 Depth=1
	s_delay_alu instid0(SALU_CYCLE_1)
	s_or_b32 exec_lo, exec_lo, s17
.LBB279_514:                            ;   in Loop: Header=BB279_15 Depth=1
	s_delay_alu instid0(SALU_CYCLE_1) | instskip(SKIP_2) | instid1(VALU_DEP_1)
	s_or_b32 exec_lo, exec_lo, s16
	v_lshrrev_b32_e32 v0, 16, v5
	s_mov_b32 s16, exec_lo
	v_and_b32_e32 v6, 0xff, v0
	s_delay_alu instid0(VALU_DEP_1)
	v_cmpx_ne_u16_e32 0, v6
	s_cbranch_execz .LBB279_522
; %bb.515:                              ;   in Loop: Header=BB279_15 Depth=1
	v_mov_b32_e32 v122, 0x8000
	s_mov_b32 s17, exec_lo
	v_cmpx_ne_u16_e32 0x80, v6
	s_cbranch_execz .LBB279_521
; %bb.516:                              ;   in Loop: Header=BB279_15 Depth=1
	v_bfe_u32 v9, v5, 16, 7
	v_mov_b32_e32 v122, 0x7c01
	s_mov_b32 s18, exec_lo
	s_delay_alu instid0(VALU_DEP_2)
	v_cmpx_ne_u32_e32 0x7f, v9
	s_cbranch_execz .LBB279_520
; %bb.517:                              ;   in Loop: Header=BB279_15 Depth=1
	v_dual_lshrrev_b32 v8, 3, v9 :: v_dual_bitop2_b32 v6, 7, v0 bitop3:0x40
	s_mov_b32 s19, exec_lo
	v_cmpx_gt_u32_e32 8, v9
; %bb.518:                              ;   in Loop: Header=BB279_15 Depth=1
	s_delay_alu instid0(VALU_DEP_2) | instskip(NEXT) | instid1(VALU_DEP_1)
	v_clz_i32_u32_e32 v6, v6
	v_min_u32_e32 v6, 32, v6
	s_delay_alu instid0(VALU_DEP_1) | instskip(NEXT) | instid1(VALU_DEP_1)
	v_subrev_nc_u32_e32 v8, 28, v6
	v_lshlrev_b64_e32 v[10:11], v8, v[0:1]
	v_sub_nc_u32_e32 v8, 29, v6
	s_delay_alu instid0(VALU_DEP_2)
	v_and_b32_e32 v6, 7, v10
; %bb.519:                              ;   in Loop: Header=BB279_15 Depth=1
	s_or_b32 exec_lo, exec_lo, s19
	s_delay_alu instid0(VALU_DEP_1) | instskip(NEXT) | instid1(VALU_DEP_3)
	v_dual_lshlrev_b32 v0, 8, v0 :: v_dual_lshlrev_b32 v6, 7, v6
	v_lshl_add_u32 v8, v8, 10, 0x2000
	s_delay_alu instid0(VALU_DEP_2) | instskip(NEXT) | instid1(VALU_DEP_2)
	v_and_b32_e32 v0, 0x8000, v0
	v_and_b32_e32 v8, 0xfc00, v8
	s_delay_alu instid0(VALU_DEP_1)
	v_or3_b32 v122, v0, v8, v6
.LBB279_520:                            ;   in Loop: Header=BB279_15 Depth=1
	s_or_b32 exec_lo, exec_lo, s18
.LBB279_521:                            ;   in Loop: Header=BB279_15 Depth=1
	s_delay_alu instid0(SALU_CYCLE_1)
	s_or_b32 exec_lo, exec_lo, s17
.LBB279_522:                            ;   in Loop: Header=BB279_15 Depth=1
	s_delay_alu instid0(SALU_CYCLE_1)
	s_or_b32 exec_lo, exec_lo, s16
	v_dual_mov_b32 v118, 0 :: v_dual_mov_b32 v104, 0
	s_mov_b32 s16, exec_lo
	v_cmpx_lt_u64_e64 s[8:9], v[4:5]
	s_cbranch_execz .LBB279_530
; %bb.523:                              ;   in Loop: Header=BB279_15 Depth=1
	v_lshrrev_b32_e32 v24, 24, v5
	v_bfrev_b32_e32 v104, 1
	s_mov_b32 s17, exec_lo
	s_delay_alu instid0(VALU_DEP_2)
	v_cmpx_ne_u32_e32 0x80, v24
	s_cbranch_execz .LBB279_529
; %bb.524:                              ;   in Loop: Header=BB279_15 Depth=1
	v_and_b32_e32 v5, 0x7f, v24
	v_mov_b32_e32 v104, 0x7c010000
	s_mov_b32 s18, exec_lo
	s_delay_alu instid0(VALU_DEP_2)
	v_cmpx_ne_u32_e32 0x7f, v5
	s_cbranch_execz .LBB279_528
; %bb.525:                              ;   in Loop: Header=BB279_15 Depth=1
	v_dual_lshrrev_b32 v4, 3, v5 :: v_dual_bitop2_b32 v0, 7, v24 bitop3:0x40
	s_mov_b32 s19, exec_lo
	v_cmpx_gt_u32_e32 8, v5
; %bb.526:                              ;   in Loop: Header=BB279_15 Depth=1
	s_delay_alu instid0(VALU_DEP_2) | instskip(NEXT) | instid1(VALU_DEP_1)
	v_clz_i32_u32_e32 v0, v0
	v_min_u32_e32 v0, 32, v0
	s_delay_alu instid0(VALU_DEP_1) | instskip(NEXT) | instid1(VALU_DEP_1)
	v_subrev_nc_u32_e32 v4, 28, v0
	v_lshlrev_b64_e32 v[8:9], v4, v[24:25]
	v_sub_nc_u32_e32 v4, 29, v0
	s_delay_alu instid0(VALU_DEP_2)
	v_and_b32_e32 v0, 7, v8
; %bb.527:                              ;   in Loop: Header=BB279_15 Depth=1
	s_or_b32 exec_lo, exec_lo, s19
	v_lshlrev_b32_e32 v5, 8, v24
	s_delay_alu instid0(VALU_DEP_3) | instskip(NEXT) | instid1(VALU_DEP_3)
	v_lshl_add_u32 v4, v4, 10, 0x2000
	v_lshlrev_b32_e32 v0, 23, v0
	s_delay_alu instid0(VALU_DEP_2) | instskip(NEXT) | instid1(VALU_DEP_1)
	v_and_or_b32 v4, 0x8000, v5, v4
	v_lshl_or_b32 v104, v4, 16, v0
.LBB279_528:                            ;   in Loop: Header=BB279_15 Depth=1
	s_or_b32 exec_lo, exec_lo, s18
.LBB279_529:                            ;   in Loop: Header=BB279_15 Depth=1
	s_delay_alu instid0(SALU_CYCLE_1)
	s_or_b32 exec_lo, exec_lo, s17
.LBB279_530:                            ;   in Loop: Header=BB279_15 Depth=1
	s_delay_alu instid0(SALU_CYCLE_1)
	s_or_b32 exec_lo, exec_lo, s16
	flat_load_b64 v[4:5], v[2:3] offset:2048
	s_mov_b32 s16, exec_lo
	s_wait_loadcnt_dscnt 0x0
	v_and_b32_e32 v0, 0xff, v4
	s_wait_xcnt 0x0
	s_delay_alu instid0(VALU_DEP_1)
	v_cmpx_ne_u16_e32 0, v0
	s_cbranch_execz .LBB279_538
; %bb.531:                              ;   in Loop: Header=BB279_15 Depth=1
	v_mov_b32_e32 v118, 0x8000
	s_mov_b32 s17, exec_lo
	v_cmpx_ne_u16_e32 0x80, v0
	s_cbranch_execz .LBB279_537
; %bb.532:                              ;   in Loop: Header=BB279_15 Depth=1
	v_and_b32_e32 v8, 0x7f, v4
	v_mov_b32_e32 v118, 0x7c01
	s_mov_b32 s18, exec_lo
	s_delay_alu instid0(VALU_DEP_2)
	v_cmpx_ne_u32_e32 0x7f, v8
	s_cbranch_execz .LBB279_536
; %bb.533:                              ;   in Loop: Header=BB279_15 Depth=1
	v_and_b32_e32 v0, 7, v4
	v_lshrrev_b32_e32 v6, 3, v8
	s_mov_b32 s19, exec_lo
	v_cmpx_gt_u32_e32 8, v8
; %bb.534:                              ;   in Loop: Header=BB279_15 Depth=1
	s_delay_alu instid0(VALU_DEP_3) | instskip(NEXT) | instid1(VALU_DEP_1)
	v_clz_i32_u32_e32 v0, v0
	v_min_u32_e32 v0, 32, v0
	s_delay_alu instid0(VALU_DEP_1) | instskip(NEXT) | instid1(VALU_DEP_1)
	v_subrev_nc_u32_e32 v6, 28, v0
	v_lshlrev_b64_e32 v[8:9], v6, v[4:5]
	v_sub_nc_u32_e32 v6, 29, v0
	s_delay_alu instid0(VALU_DEP_2)
	v_and_b32_e32 v0, 7, v8
; %bb.535:                              ;   in Loop: Header=BB279_15 Depth=1
	s_or_b32 exec_lo, exec_lo, s19
	v_lshlrev_b32_e32 v8, 8, v4
	s_delay_alu instid0(VALU_DEP_3) | instskip(NEXT) | instid1(VALU_DEP_3)
	v_lshl_add_u32 v6, v6, 10, 0x2000
	v_lshlrev_b32_e32 v0, 7, v0
	s_delay_alu instid0(VALU_DEP_3) | instskip(NEXT) | instid1(VALU_DEP_3)
	v_and_b32_e32 v8, 0x8000, v8
	v_and_b32_e32 v6, 0xfc00, v6
	s_delay_alu instid0(VALU_DEP_1)
	v_or3_b32 v118, v8, v6, v0
.LBB279_536:                            ;   in Loop: Header=BB279_15 Depth=1
	s_or_b32 exec_lo, exec_lo, s18
.LBB279_537:                            ;   in Loop: Header=BB279_15 Depth=1
	s_delay_alu instid0(SALU_CYCLE_1)
	s_or_b32 exec_lo, exec_lo, s17
.LBB279_538:                            ;   in Loop: Header=BB279_15 Depth=1
	s_delay_alu instid0(SALU_CYCLE_1) | instskip(SKIP_3) | instid1(VALU_DEP_2)
	s_or_b32 exec_lo, exec_lo, s16
	v_lshrrev_b16 v24, 8, v4
	v_dual_mov_b32 v119, 0 :: v_dual_mov_b32 v123, 0
	s_mov_b32 s16, exec_lo
	v_cmpx_ne_u16_e32 0, v24
	s_cbranch_execz .LBB279_546
; %bb.539:                              ;   in Loop: Header=BB279_15 Depth=1
	v_bfrev_b32_e32 v123, 1
	s_mov_b32 s17, exec_lo
	v_cmpx_ne_u16_e32 0x80, v24
	s_cbranch_execz .LBB279_545
; %bb.540:                              ;   in Loop: Header=BB279_15 Depth=1
	v_and_b32_e32 v0, 0xffff, v24
	v_mov_b32_e32 v123, 0x7c010000
	s_mov_b32 s18, exec_lo
	s_delay_alu instid0(VALU_DEP_2) | instskip(NEXT) | instid1(VALU_DEP_1)
	v_and_b32_e32 v9, 0x7f, v0
	v_cmpx_ne_u32_e32 0x7f, v9
	s_cbranch_execz .LBB279_544
; %bb.541:                              ;   in Loop: Header=BB279_15 Depth=1
	v_dual_lshrrev_b32 v8, 3, v9 :: v_dual_bitop2_b32 v6, 7, v0 bitop3:0x40
	s_mov_b32 s19, exec_lo
	v_cmpx_gt_u32_e32 8, v9
; %bb.542:                              ;   in Loop: Header=BB279_15 Depth=1
	s_delay_alu instid0(VALU_DEP_2) | instskip(NEXT) | instid1(VALU_DEP_1)
	v_clz_i32_u32_e32 v6, v6
	v_min_u32_e32 v6, 32, v6
	s_delay_alu instid0(VALU_DEP_1) | instskip(NEXT) | instid1(VALU_DEP_1)
	v_subrev_nc_u32_e32 v8, 28, v6
	v_lshlrev_b64_e32 v[10:11], v8, v[24:25]
	v_sub_nc_u32_e32 v8, 29, v6
	s_delay_alu instid0(VALU_DEP_2)
	v_and_b32_e32 v6, 7, v10
; %bb.543:                              ;   in Loop: Header=BB279_15 Depth=1
	s_or_b32 exec_lo, exec_lo, s19
	s_delay_alu instid0(VALU_DEP_1) | instskip(NEXT) | instid1(VALU_DEP_3)
	v_dual_lshlrev_b32 v0, 8, v0 :: v_dual_lshlrev_b32 v6, 23, v6
	v_lshl_add_u32 v8, v8, 10, 0x2000
	s_delay_alu instid0(VALU_DEP_1) | instskip(NEXT) | instid1(VALU_DEP_1)
	v_and_or_b32 v0, 0x8000, v0, v8
	v_lshl_or_b32 v123, v0, 16, v6
.LBB279_544:                            ;   in Loop: Header=BB279_15 Depth=1
	s_or_b32 exec_lo, exec_lo, s18
.LBB279_545:                            ;   in Loop: Header=BB279_15 Depth=1
	s_delay_alu instid0(SALU_CYCLE_1)
	s_or_b32 exec_lo, exec_lo, s17
.LBB279_546:                            ;   in Loop: Header=BB279_15 Depth=1
	s_delay_alu instid0(SALU_CYCLE_1) | instskip(SKIP_2) | instid1(VALU_DEP_1)
	s_or_b32 exec_lo, exec_lo, s16
	v_lshrrev_b32_e32 v0, 16, v4
	s_mov_b32 s16, exec_lo
	v_and_b32_e32 v6, 0xff, v0
	s_delay_alu instid0(VALU_DEP_1)
	v_cmpx_ne_u16_e32 0, v6
	s_cbranch_execz .LBB279_554
; %bb.547:                              ;   in Loop: Header=BB279_15 Depth=1
	v_mov_b32_e32 v119, 0x8000
	s_mov_b32 s17, exec_lo
	v_cmpx_ne_u16_e32 0x80, v6
	s_cbranch_execz .LBB279_553
; %bb.548:                              ;   in Loop: Header=BB279_15 Depth=1
	v_bfe_u32 v9, v4, 16, 7
	v_mov_b32_e32 v119, 0x7c01
	s_mov_b32 s18, exec_lo
	s_delay_alu instid0(VALU_DEP_2)
	v_cmpx_ne_u32_e32 0x7f, v9
	s_cbranch_execz .LBB279_552
; %bb.549:                              ;   in Loop: Header=BB279_15 Depth=1
	v_dual_lshrrev_b32 v8, 3, v9 :: v_dual_bitop2_b32 v6, 7, v0 bitop3:0x40
	s_mov_b32 s19, exec_lo
	v_cmpx_gt_u32_e32 8, v9
; %bb.550:                              ;   in Loop: Header=BB279_15 Depth=1
	s_delay_alu instid0(VALU_DEP_2) | instskip(NEXT) | instid1(VALU_DEP_1)
	v_clz_i32_u32_e32 v6, v6
	v_min_u32_e32 v6, 32, v6
	s_delay_alu instid0(VALU_DEP_1) | instskip(NEXT) | instid1(VALU_DEP_1)
	v_subrev_nc_u32_e32 v8, 28, v6
	v_lshlrev_b64_e32 v[10:11], v8, v[0:1]
	v_sub_nc_u32_e32 v8, 29, v6
	s_delay_alu instid0(VALU_DEP_2)
	v_and_b32_e32 v6, 7, v10
; %bb.551:                              ;   in Loop: Header=BB279_15 Depth=1
	s_or_b32 exec_lo, exec_lo, s19
	s_delay_alu instid0(VALU_DEP_1) | instskip(NEXT) | instid1(VALU_DEP_3)
	v_dual_lshlrev_b32 v0, 8, v0 :: v_dual_lshlrev_b32 v6, 7, v6
	v_lshl_add_u32 v8, v8, 10, 0x2000
	s_delay_alu instid0(VALU_DEP_2) | instskip(NEXT) | instid1(VALU_DEP_2)
	v_and_b32_e32 v0, 0x8000, v0
	v_and_b32_e32 v8, 0xfc00, v8
	s_delay_alu instid0(VALU_DEP_1)
	v_or3_b32 v119, v0, v8, v6
.LBB279_552:                            ;   in Loop: Header=BB279_15 Depth=1
	s_or_b32 exec_lo, exec_lo, s18
.LBB279_553:                            ;   in Loop: Header=BB279_15 Depth=1
	s_delay_alu instid0(SALU_CYCLE_1)
	s_or_b32 exec_lo, exec_lo, s17
.LBB279_554:                            ;   in Loop: Header=BB279_15 Depth=1
	s_delay_alu instid0(SALU_CYCLE_1)
	s_or_b32 exec_lo, exec_lo, s16
	v_dual_mov_b32 v42, 0 :: v_dual_mov_b32 v59, 0
	s_mov_b32 s16, exec_lo
	v_cmpx_lt_u32_e32 0xffffff, v4
	s_cbranch_execz .LBB279_562
; %bb.555:                              ;   in Loop: Header=BB279_15 Depth=1
	v_lshrrev_b32_e32 v24, 24, v4
	v_bfrev_b32_e32 v59, 1
	s_mov_b32 s17, exec_lo
	s_delay_alu instid0(VALU_DEP_2)
	v_cmpx_ne_u32_e32 0x80, v24
	s_cbranch_execz .LBB279_561
; %bb.556:                              ;   in Loop: Header=BB279_15 Depth=1
	v_and_b32_e32 v8, 0x7f, v24
	v_mov_b32_e32 v59, 0x7c010000
	s_mov_b32 s18, exec_lo
	s_delay_alu instid0(VALU_DEP_2)
	v_cmpx_ne_u32_e32 0x7f, v8
	s_cbranch_execz .LBB279_560
; %bb.557:                              ;   in Loop: Header=BB279_15 Depth=1
	v_and_b32_e32 v0, 7, v24
	v_lshrrev_b32_e32 v6, 3, v8
	s_mov_b32 s19, exec_lo
	v_cmpx_gt_u32_e32 8, v8
; %bb.558:                              ;   in Loop: Header=BB279_15 Depth=1
	s_delay_alu instid0(VALU_DEP_3) | instskip(NEXT) | instid1(VALU_DEP_1)
	v_clz_i32_u32_e32 v0, v0
	v_min_u32_e32 v0, 32, v0
	s_delay_alu instid0(VALU_DEP_1) | instskip(NEXT) | instid1(VALU_DEP_1)
	v_subrev_nc_u32_e32 v6, 28, v0
	v_lshlrev_b64_e32 v[8:9], v6, v[24:25]
	v_sub_nc_u32_e32 v6, 29, v0
	s_delay_alu instid0(VALU_DEP_2)
	v_and_b32_e32 v0, 7, v8
; %bb.559:                              ;   in Loop: Header=BB279_15 Depth=1
	s_or_b32 exec_lo, exec_lo, s19
	v_lshlrev_b32_e32 v8, 8, v24
	s_delay_alu instid0(VALU_DEP_3) | instskip(NEXT) | instid1(VALU_DEP_3)
	v_lshl_add_u32 v6, v6, 10, 0x2000
	v_lshlrev_b32_e32 v0, 23, v0
	s_delay_alu instid0(VALU_DEP_2) | instskip(NEXT) | instid1(VALU_DEP_1)
	v_and_or_b32 v6, 0x8000, v8, v6
	v_lshl_or_b32 v59, v6, 16, v0
.LBB279_560:                            ;   in Loop: Header=BB279_15 Depth=1
	s_or_b32 exec_lo, exec_lo, s18
.LBB279_561:                            ;   in Loop: Header=BB279_15 Depth=1
	s_delay_alu instid0(SALU_CYCLE_1)
	s_or_b32 exec_lo, exec_lo, s17
.LBB279_562:                            ;   in Loop: Header=BB279_15 Depth=1
	s_delay_alu instid0(SALU_CYCLE_1) | instskip(SKIP_3) | instid1(VALU_DEP_2)
	s_or_b32 exec_lo, exec_lo, s16
	v_and_b32_e32 v0, 0xff, v5
	v_mov_b32_e32 v24, v5
	s_mov_b32 s16, exec_lo
	v_cmpx_ne_u16_e32 0, v0
	s_cbranch_execz .LBB279_570
; %bb.563:                              ;   in Loop: Header=BB279_15 Depth=1
	v_mov_b32_e32 v42, 0x8000
	s_mov_b32 s17, exec_lo
	v_cmpx_ne_u16_e32 0x80, v0
	s_cbranch_execz .LBB279_569
; %bb.564:                              ;   in Loop: Header=BB279_15 Depth=1
	v_and_b32_e32 v8, 0x7f, v5
	v_mov_b32_e32 v42, 0x7c01
	s_mov_b32 s18, exec_lo
	s_delay_alu instid0(VALU_DEP_2)
	v_cmpx_ne_u32_e32 0x7f, v8
	s_cbranch_execz .LBB279_568
; %bb.565:                              ;   in Loop: Header=BB279_15 Depth=1
	v_dual_lshrrev_b32 v6, 3, v8 :: v_dual_bitop2_b32 v0, 7, v5 bitop3:0x40
	s_mov_b32 s19, exec_lo
	v_cmpx_gt_u32_e32 8, v8
; %bb.566:                              ;   in Loop: Header=BB279_15 Depth=1
	s_delay_alu instid0(VALU_DEP_2) | instskip(NEXT) | instid1(VALU_DEP_1)
	v_clz_i32_u32_e32 v0, v0
	v_min_u32_e32 v0, 32, v0
	s_delay_alu instid0(VALU_DEP_1) | instskip(NEXT) | instid1(VALU_DEP_1)
	v_subrev_nc_u32_e32 v6, 28, v0
	v_lshlrev_b64_e32 v[8:9], v6, v[24:25]
	v_sub_nc_u32_e32 v6, 29, v0
	s_delay_alu instid0(VALU_DEP_2)
	v_and_b32_e32 v0, 7, v8
; %bb.567:                              ;   in Loop: Header=BB279_15 Depth=1
	s_or_b32 exec_lo, exec_lo, s19
	s_delay_alu instid0(VALU_DEP_1) | instskip(NEXT) | instid1(VALU_DEP_3)
	v_dual_lshlrev_b32 v8, 8, v5 :: v_dual_lshlrev_b32 v0, 7, v0
	v_lshl_add_u32 v6, v6, 10, 0x2000
	s_delay_alu instid0(VALU_DEP_2) | instskip(NEXT) | instid1(VALU_DEP_2)
	v_and_b32_e32 v8, 0x8000, v8
	v_and_b32_e32 v6, 0xfc00, v6
	s_delay_alu instid0(VALU_DEP_1)
	v_or3_b32 v42, v8, v6, v0
.LBB279_568:                            ;   in Loop: Header=BB279_15 Depth=1
	s_or_b32 exec_lo, exec_lo, s18
.LBB279_569:                            ;   in Loop: Header=BB279_15 Depth=1
	s_delay_alu instid0(SALU_CYCLE_1)
	s_or_b32 exec_lo, exec_lo, s17
.LBB279_570:                            ;   in Loop: Header=BB279_15 Depth=1
	s_delay_alu instid0(SALU_CYCLE_1) | instskip(SKIP_3) | instid1(VALU_DEP_2)
	s_or_b32 exec_lo, exec_lo, s16
	v_lshrrev_b16 v24, 8, v24
	v_dual_mov_b32 v95, 0 :: v_dual_mov_b32 v107, 0
	s_mov_b32 s16, exec_lo
	v_cmpx_ne_u16_e32 0, v24
	s_cbranch_execz .LBB279_578
; %bb.571:                              ;   in Loop: Header=BB279_15 Depth=1
	v_bfrev_b32_e32 v107, 1
	s_mov_b32 s17, exec_lo
	v_cmpx_ne_u16_e32 0x80, v24
	s_cbranch_execz .LBB279_577
; %bb.572:                              ;   in Loop: Header=BB279_15 Depth=1
	v_and_b32_e32 v0, 0xffff, v24
	v_mov_b32_e32 v107, 0x7c010000
	s_mov_b32 s18, exec_lo
	s_delay_alu instid0(VALU_DEP_2) | instskip(NEXT) | instid1(VALU_DEP_1)
	v_and_b32_e32 v9, 0x7f, v0
	v_cmpx_ne_u32_e32 0x7f, v9
	s_cbranch_execz .LBB279_576
; %bb.573:                              ;   in Loop: Header=BB279_15 Depth=1
	v_dual_lshrrev_b32 v8, 3, v9 :: v_dual_bitop2_b32 v6, 7, v0 bitop3:0x40
	s_mov_b32 s19, exec_lo
	v_cmpx_gt_u32_e32 8, v9
; %bb.574:                              ;   in Loop: Header=BB279_15 Depth=1
	s_delay_alu instid0(VALU_DEP_2) | instskip(NEXT) | instid1(VALU_DEP_1)
	v_clz_i32_u32_e32 v6, v6
	v_min_u32_e32 v6, 32, v6
	s_delay_alu instid0(VALU_DEP_1) | instskip(NEXT) | instid1(VALU_DEP_1)
	v_subrev_nc_u32_e32 v8, 28, v6
	v_lshlrev_b64_e32 v[10:11], v8, v[24:25]
	v_sub_nc_u32_e32 v8, 29, v6
	s_delay_alu instid0(VALU_DEP_2)
	v_and_b32_e32 v6, 7, v10
; %bb.575:                              ;   in Loop: Header=BB279_15 Depth=1
	s_or_b32 exec_lo, exec_lo, s19
	s_delay_alu instid0(VALU_DEP_1) | instskip(NEXT) | instid1(VALU_DEP_3)
	v_dual_lshlrev_b32 v0, 8, v0 :: v_dual_lshlrev_b32 v6, 23, v6
	v_lshl_add_u32 v8, v8, 10, 0x2000
	s_delay_alu instid0(VALU_DEP_1) | instskip(NEXT) | instid1(VALU_DEP_1)
	v_and_or_b32 v0, 0x8000, v0, v8
	v_lshl_or_b32 v107, v0, 16, v6
.LBB279_576:                            ;   in Loop: Header=BB279_15 Depth=1
	s_or_b32 exec_lo, exec_lo, s18
.LBB279_577:                            ;   in Loop: Header=BB279_15 Depth=1
	s_delay_alu instid0(SALU_CYCLE_1)
	s_or_b32 exec_lo, exec_lo, s17
.LBB279_578:                            ;   in Loop: Header=BB279_15 Depth=1
	s_delay_alu instid0(SALU_CYCLE_1) | instskip(SKIP_2) | instid1(VALU_DEP_1)
	s_or_b32 exec_lo, exec_lo, s16
	v_lshrrev_b32_e32 v0, 16, v5
	s_mov_b32 s16, exec_lo
	v_and_b32_e32 v6, 0xff, v0
	s_delay_alu instid0(VALU_DEP_1)
	v_cmpx_ne_u16_e32 0, v6
	s_cbranch_execz .LBB279_586
; %bb.579:                              ;   in Loop: Header=BB279_15 Depth=1
	v_mov_b32_e32 v95, 0x8000
	s_mov_b32 s17, exec_lo
	v_cmpx_ne_u16_e32 0x80, v6
	s_cbranch_execz .LBB279_585
; %bb.580:                              ;   in Loop: Header=BB279_15 Depth=1
	v_bfe_u32 v9, v5, 16, 7
	v_mov_b32_e32 v95, 0x7c01
	s_mov_b32 s18, exec_lo
	s_delay_alu instid0(VALU_DEP_2)
	v_cmpx_ne_u32_e32 0x7f, v9
	s_cbranch_execz .LBB279_584
; %bb.581:                              ;   in Loop: Header=BB279_15 Depth=1
	v_dual_lshrrev_b32 v8, 3, v9 :: v_dual_bitop2_b32 v6, 7, v0 bitop3:0x40
	s_mov_b32 s19, exec_lo
	v_cmpx_gt_u32_e32 8, v9
; %bb.582:                              ;   in Loop: Header=BB279_15 Depth=1
	s_delay_alu instid0(VALU_DEP_2) | instskip(NEXT) | instid1(VALU_DEP_1)
	v_clz_i32_u32_e32 v6, v6
	v_min_u32_e32 v6, 32, v6
	s_delay_alu instid0(VALU_DEP_1) | instskip(NEXT) | instid1(VALU_DEP_1)
	v_subrev_nc_u32_e32 v8, 28, v6
	v_lshlrev_b64_e32 v[10:11], v8, v[0:1]
	v_sub_nc_u32_e32 v8, 29, v6
	s_delay_alu instid0(VALU_DEP_2)
	v_and_b32_e32 v6, 7, v10
; %bb.583:                              ;   in Loop: Header=BB279_15 Depth=1
	s_or_b32 exec_lo, exec_lo, s19
	s_delay_alu instid0(VALU_DEP_1) | instskip(NEXT) | instid1(VALU_DEP_3)
	v_dual_lshlrev_b32 v0, 8, v0 :: v_dual_lshlrev_b32 v6, 7, v6
	v_lshl_add_u32 v8, v8, 10, 0x2000
	s_delay_alu instid0(VALU_DEP_2) | instskip(NEXT) | instid1(VALU_DEP_2)
	v_and_b32_e32 v0, 0x8000, v0
	v_and_b32_e32 v8, 0xfc00, v8
	s_delay_alu instid0(VALU_DEP_1)
	v_or3_b32 v95, v0, v8, v6
.LBB279_584:                            ;   in Loop: Header=BB279_15 Depth=1
	s_or_b32 exec_lo, exec_lo, s18
.LBB279_585:                            ;   in Loop: Header=BB279_15 Depth=1
	s_delay_alu instid0(SALU_CYCLE_1)
	s_or_b32 exec_lo, exec_lo, s17
.LBB279_586:                            ;   in Loop: Header=BB279_15 Depth=1
	s_delay_alu instid0(SALU_CYCLE_1)
	s_or_b32 exec_lo, exec_lo, s16
	v_dual_mov_b32 v124, 0 :: v_dual_mov_b32 v106, 0
	s_mov_b32 s16, exec_lo
	v_cmpx_lt_u64_e64 s[8:9], v[4:5]
	s_cbranch_execz .LBB279_594
; %bb.587:                              ;   in Loop: Header=BB279_15 Depth=1
	v_lshrrev_b32_e32 v24, 24, v5
	v_bfrev_b32_e32 v106, 1
	s_mov_b32 s17, exec_lo
	s_delay_alu instid0(VALU_DEP_2)
	v_cmpx_ne_u32_e32 0x80, v24
	s_cbranch_execz .LBB279_593
; %bb.588:                              ;   in Loop: Header=BB279_15 Depth=1
	v_and_b32_e32 v5, 0x7f, v24
	v_mov_b32_e32 v106, 0x7c010000
	s_mov_b32 s18, exec_lo
	s_delay_alu instid0(VALU_DEP_2)
	v_cmpx_ne_u32_e32 0x7f, v5
	s_cbranch_execz .LBB279_592
; %bb.589:                              ;   in Loop: Header=BB279_15 Depth=1
	v_dual_lshrrev_b32 v4, 3, v5 :: v_dual_bitop2_b32 v0, 7, v24 bitop3:0x40
	s_mov_b32 s19, exec_lo
	v_cmpx_gt_u32_e32 8, v5
; %bb.590:                              ;   in Loop: Header=BB279_15 Depth=1
	s_delay_alu instid0(VALU_DEP_2) | instskip(NEXT) | instid1(VALU_DEP_1)
	v_clz_i32_u32_e32 v0, v0
	v_min_u32_e32 v0, 32, v0
	s_delay_alu instid0(VALU_DEP_1) | instskip(NEXT) | instid1(VALU_DEP_1)
	v_subrev_nc_u32_e32 v4, 28, v0
	v_lshlrev_b64_e32 v[8:9], v4, v[24:25]
	v_sub_nc_u32_e32 v4, 29, v0
	s_delay_alu instid0(VALU_DEP_2)
	v_and_b32_e32 v0, 7, v8
; %bb.591:                              ;   in Loop: Header=BB279_15 Depth=1
	s_or_b32 exec_lo, exec_lo, s19
	v_lshlrev_b32_e32 v5, 8, v24
	s_delay_alu instid0(VALU_DEP_3) | instskip(NEXT) | instid1(VALU_DEP_3)
	v_lshl_add_u32 v4, v4, 10, 0x2000
	v_lshlrev_b32_e32 v0, 23, v0
	s_delay_alu instid0(VALU_DEP_2) | instskip(NEXT) | instid1(VALU_DEP_1)
	v_and_or_b32 v4, 0x8000, v5, v4
	v_lshl_or_b32 v106, v4, 16, v0
.LBB279_592:                            ;   in Loop: Header=BB279_15 Depth=1
	s_or_b32 exec_lo, exec_lo, s18
.LBB279_593:                            ;   in Loop: Header=BB279_15 Depth=1
	s_delay_alu instid0(SALU_CYCLE_1)
	s_or_b32 exec_lo, exec_lo, s17
.LBB279_594:                            ;   in Loop: Header=BB279_15 Depth=1
	s_delay_alu instid0(SALU_CYCLE_1)
	s_or_b32 exec_lo, exec_lo, s16
	flat_load_b64 v[4:5], v[2:3] offset:2056
	s_mov_b32 s16, exec_lo
	s_wait_loadcnt_dscnt 0x0
	v_and_b32_e32 v0, 0xff, v4
	s_wait_xcnt 0x0
	s_delay_alu instid0(VALU_DEP_1)
	v_cmpx_ne_u16_e32 0, v0
	s_cbranch_execz .LBB279_602
; %bb.595:                              ;   in Loop: Header=BB279_15 Depth=1
	v_mov_b32_e32 v124, 0x8000
	s_mov_b32 s17, exec_lo
	v_cmpx_ne_u16_e32 0x80, v0
	s_cbranch_execz .LBB279_601
; %bb.596:                              ;   in Loop: Header=BB279_15 Depth=1
	v_and_b32_e32 v8, 0x7f, v4
	v_mov_b32_e32 v124, 0x7c01
	s_mov_b32 s18, exec_lo
	s_delay_alu instid0(VALU_DEP_2)
	v_cmpx_ne_u32_e32 0x7f, v8
	s_cbranch_execz .LBB279_600
; %bb.597:                              ;   in Loop: Header=BB279_15 Depth=1
	v_and_b32_e32 v0, 7, v4
	v_lshrrev_b32_e32 v6, 3, v8
	s_mov_b32 s19, exec_lo
	v_cmpx_gt_u32_e32 8, v8
; %bb.598:                              ;   in Loop: Header=BB279_15 Depth=1
	s_delay_alu instid0(VALU_DEP_3) | instskip(NEXT) | instid1(VALU_DEP_1)
	v_clz_i32_u32_e32 v0, v0
	v_min_u32_e32 v0, 32, v0
	s_delay_alu instid0(VALU_DEP_1) | instskip(NEXT) | instid1(VALU_DEP_1)
	v_subrev_nc_u32_e32 v6, 28, v0
	v_lshlrev_b64_e32 v[8:9], v6, v[4:5]
	v_sub_nc_u32_e32 v6, 29, v0
	s_delay_alu instid0(VALU_DEP_2)
	v_and_b32_e32 v0, 7, v8
; %bb.599:                              ;   in Loop: Header=BB279_15 Depth=1
	s_or_b32 exec_lo, exec_lo, s19
	v_lshlrev_b32_e32 v8, 8, v4
	s_delay_alu instid0(VALU_DEP_3) | instskip(NEXT) | instid1(VALU_DEP_3)
	v_lshl_add_u32 v6, v6, 10, 0x2000
	v_lshlrev_b32_e32 v0, 7, v0
	s_delay_alu instid0(VALU_DEP_3) | instskip(NEXT) | instid1(VALU_DEP_3)
	v_and_b32_e32 v8, 0x8000, v8
	v_and_b32_e32 v6, 0xfc00, v6
	s_delay_alu instid0(VALU_DEP_1)
	v_or3_b32 v124, v8, v6, v0
.LBB279_600:                            ;   in Loop: Header=BB279_15 Depth=1
	s_or_b32 exec_lo, exec_lo, s18
.LBB279_601:                            ;   in Loop: Header=BB279_15 Depth=1
	s_delay_alu instid0(SALU_CYCLE_1)
	s_or_b32 exec_lo, exec_lo, s17
.LBB279_602:                            ;   in Loop: Header=BB279_15 Depth=1
	s_delay_alu instid0(SALU_CYCLE_1) | instskip(SKIP_3) | instid1(VALU_DEP_2)
	s_or_b32 exec_lo, exec_lo, s16
	v_lshrrev_b16 v24, 8, v4
	v_dual_mov_b32 v111, 0 :: v_dual_mov_b32 v94, 0
	s_mov_b32 s16, exec_lo
	v_cmpx_ne_u16_e32 0, v24
	s_cbranch_execz .LBB279_610
; %bb.603:                              ;   in Loop: Header=BB279_15 Depth=1
	v_bfrev_b32_e32 v94, 1
	s_mov_b32 s17, exec_lo
	v_cmpx_ne_u16_e32 0x80, v24
	s_cbranch_execz .LBB279_609
; %bb.604:                              ;   in Loop: Header=BB279_15 Depth=1
	v_and_b32_e32 v0, 0xffff, v24
	v_mov_b32_e32 v94, 0x7c010000
	s_mov_b32 s18, exec_lo
	s_delay_alu instid0(VALU_DEP_2) | instskip(NEXT) | instid1(VALU_DEP_1)
	v_and_b32_e32 v9, 0x7f, v0
	v_cmpx_ne_u32_e32 0x7f, v9
	s_cbranch_execz .LBB279_608
; %bb.605:                              ;   in Loop: Header=BB279_15 Depth=1
	v_dual_lshrrev_b32 v8, 3, v9 :: v_dual_bitop2_b32 v6, 7, v0 bitop3:0x40
	s_mov_b32 s19, exec_lo
	v_cmpx_gt_u32_e32 8, v9
; %bb.606:                              ;   in Loop: Header=BB279_15 Depth=1
	s_delay_alu instid0(VALU_DEP_2) | instskip(NEXT) | instid1(VALU_DEP_1)
	v_clz_i32_u32_e32 v6, v6
	v_min_u32_e32 v6, 32, v6
	s_delay_alu instid0(VALU_DEP_1) | instskip(NEXT) | instid1(VALU_DEP_1)
	v_subrev_nc_u32_e32 v8, 28, v6
	v_lshlrev_b64_e32 v[10:11], v8, v[24:25]
	v_sub_nc_u32_e32 v8, 29, v6
	s_delay_alu instid0(VALU_DEP_2)
	v_and_b32_e32 v6, 7, v10
; %bb.607:                              ;   in Loop: Header=BB279_15 Depth=1
	s_or_b32 exec_lo, exec_lo, s19
	s_delay_alu instid0(VALU_DEP_1) | instskip(NEXT) | instid1(VALU_DEP_3)
	v_dual_lshlrev_b32 v0, 8, v0 :: v_dual_lshlrev_b32 v6, 23, v6
	v_lshl_add_u32 v8, v8, 10, 0x2000
	s_delay_alu instid0(VALU_DEP_1) | instskip(NEXT) | instid1(VALU_DEP_1)
	v_and_or_b32 v0, 0x8000, v0, v8
	v_lshl_or_b32 v94, v0, 16, v6
.LBB279_608:                            ;   in Loop: Header=BB279_15 Depth=1
	s_or_b32 exec_lo, exec_lo, s18
.LBB279_609:                            ;   in Loop: Header=BB279_15 Depth=1
	s_delay_alu instid0(SALU_CYCLE_1)
	s_or_b32 exec_lo, exec_lo, s17
.LBB279_610:                            ;   in Loop: Header=BB279_15 Depth=1
	s_delay_alu instid0(SALU_CYCLE_1) | instskip(SKIP_2) | instid1(VALU_DEP_1)
	s_or_b32 exec_lo, exec_lo, s16
	v_lshrrev_b32_e32 v0, 16, v4
	s_mov_b32 s16, exec_lo
	v_and_b32_e32 v6, 0xff, v0
	s_delay_alu instid0(VALU_DEP_1)
	v_cmpx_ne_u16_e32 0, v6
	s_cbranch_execz .LBB279_618
; %bb.611:                              ;   in Loop: Header=BB279_15 Depth=1
	v_mov_b32_e32 v111, 0x8000
	s_mov_b32 s17, exec_lo
	v_cmpx_ne_u16_e32 0x80, v6
	s_cbranch_execz .LBB279_617
; %bb.612:                              ;   in Loop: Header=BB279_15 Depth=1
	v_bfe_u32 v9, v4, 16, 7
	v_mov_b32_e32 v111, 0x7c01
	s_mov_b32 s18, exec_lo
	s_delay_alu instid0(VALU_DEP_2)
	v_cmpx_ne_u32_e32 0x7f, v9
	s_cbranch_execz .LBB279_616
; %bb.613:                              ;   in Loop: Header=BB279_15 Depth=1
	v_dual_lshrrev_b32 v8, 3, v9 :: v_dual_bitop2_b32 v6, 7, v0 bitop3:0x40
	s_mov_b32 s19, exec_lo
	v_cmpx_gt_u32_e32 8, v9
; %bb.614:                              ;   in Loop: Header=BB279_15 Depth=1
	s_delay_alu instid0(VALU_DEP_2) | instskip(NEXT) | instid1(VALU_DEP_1)
	v_clz_i32_u32_e32 v6, v6
	v_min_u32_e32 v6, 32, v6
	s_delay_alu instid0(VALU_DEP_1) | instskip(NEXT) | instid1(VALU_DEP_1)
	v_subrev_nc_u32_e32 v8, 28, v6
	v_lshlrev_b64_e32 v[10:11], v8, v[0:1]
	v_sub_nc_u32_e32 v8, 29, v6
	s_delay_alu instid0(VALU_DEP_2)
	v_and_b32_e32 v6, 7, v10
; %bb.615:                              ;   in Loop: Header=BB279_15 Depth=1
	s_or_b32 exec_lo, exec_lo, s19
	s_delay_alu instid0(VALU_DEP_1) | instskip(NEXT) | instid1(VALU_DEP_3)
	v_dual_lshlrev_b32 v0, 8, v0 :: v_dual_lshlrev_b32 v6, 7, v6
	v_lshl_add_u32 v8, v8, 10, 0x2000
	s_delay_alu instid0(VALU_DEP_2) | instskip(NEXT) | instid1(VALU_DEP_2)
	v_and_b32_e32 v0, 0x8000, v0
	v_and_b32_e32 v8, 0xfc00, v8
	s_delay_alu instid0(VALU_DEP_1)
	v_or3_b32 v111, v0, v8, v6
.LBB279_616:                            ;   in Loop: Header=BB279_15 Depth=1
	s_or_b32 exec_lo, exec_lo, s18
.LBB279_617:                            ;   in Loop: Header=BB279_15 Depth=1
	s_delay_alu instid0(SALU_CYCLE_1)
	s_or_b32 exec_lo, exec_lo, s17
.LBB279_618:                            ;   in Loop: Header=BB279_15 Depth=1
	s_delay_alu instid0(SALU_CYCLE_1)
	s_or_b32 exec_lo, exec_lo, s16
	v_dual_mov_b32 v125, 0 :: v_dual_mov_b32 v110, 0
	s_mov_b32 s16, exec_lo
	v_cmpx_lt_u32_e32 0xffffff, v4
	s_cbranch_execz .LBB279_626
; %bb.619:                              ;   in Loop: Header=BB279_15 Depth=1
	v_lshrrev_b32_e32 v24, 24, v4
	v_bfrev_b32_e32 v110, 1
	s_mov_b32 s17, exec_lo
	s_delay_alu instid0(VALU_DEP_2)
	v_cmpx_ne_u32_e32 0x80, v24
	s_cbranch_execz .LBB279_625
; %bb.620:                              ;   in Loop: Header=BB279_15 Depth=1
	v_and_b32_e32 v8, 0x7f, v24
	v_mov_b32_e32 v110, 0x7c010000
	s_mov_b32 s18, exec_lo
	s_delay_alu instid0(VALU_DEP_2)
	v_cmpx_ne_u32_e32 0x7f, v8
	s_cbranch_execz .LBB279_624
; %bb.621:                              ;   in Loop: Header=BB279_15 Depth=1
	v_and_b32_e32 v0, 7, v24
	v_lshrrev_b32_e32 v6, 3, v8
	s_mov_b32 s19, exec_lo
	v_cmpx_gt_u32_e32 8, v8
; %bb.622:                              ;   in Loop: Header=BB279_15 Depth=1
	s_delay_alu instid0(VALU_DEP_3) | instskip(NEXT) | instid1(VALU_DEP_1)
	v_clz_i32_u32_e32 v0, v0
	v_min_u32_e32 v0, 32, v0
	s_delay_alu instid0(VALU_DEP_1) | instskip(NEXT) | instid1(VALU_DEP_1)
	v_subrev_nc_u32_e32 v6, 28, v0
	v_lshlrev_b64_e32 v[8:9], v6, v[24:25]
	v_sub_nc_u32_e32 v6, 29, v0
	s_delay_alu instid0(VALU_DEP_2)
	v_and_b32_e32 v0, 7, v8
; %bb.623:                              ;   in Loop: Header=BB279_15 Depth=1
	s_or_b32 exec_lo, exec_lo, s19
	v_lshlrev_b32_e32 v8, 8, v24
	s_delay_alu instid0(VALU_DEP_3) | instskip(NEXT) | instid1(VALU_DEP_3)
	v_lshl_add_u32 v6, v6, 10, 0x2000
	v_lshlrev_b32_e32 v0, 23, v0
	s_delay_alu instid0(VALU_DEP_2) | instskip(NEXT) | instid1(VALU_DEP_1)
	v_and_or_b32 v6, 0x8000, v8, v6
	v_lshl_or_b32 v110, v6, 16, v0
.LBB279_624:                            ;   in Loop: Header=BB279_15 Depth=1
	s_or_b32 exec_lo, exec_lo, s18
.LBB279_625:                            ;   in Loop: Header=BB279_15 Depth=1
	s_delay_alu instid0(SALU_CYCLE_1)
	s_or_b32 exec_lo, exec_lo, s17
.LBB279_626:                            ;   in Loop: Header=BB279_15 Depth=1
	s_delay_alu instid0(SALU_CYCLE_1) | instskip(SKIP_3) | instid1(VALU_DEP_2)
	s_or_b32 exec_lo, exec_lo, s16
	v_and_b32_e32 v0, 0xff, v5
	v_mov_b32_e32 v24, v5
	s_mov_b32 s16, exec_lo
	v_cmpx_ne_u16_e32 0, v0
	s_cbranch_execz .LBB279_634
; %bb.627:                              ;   in Loop: Header=BB279_15 Depth=1
	v_mov_b32_e32 v125, 0x8000
	s_mov_b32 s17, exec_lo
	v_cmpx_ne_u16_e32 0x80, v0
	s_cbranch_execz .LBB279_633
; %bb.628:                              ;   in Loop: Header=BB279_15 Depth=1
	v_and_b32_e32 v8, 0x7f, v5
	v_mov_b32_e32 v125, 0x7c01
	s_mov_b32 s18, exec_lo
	s_delay_alu instid0(VALU_DEP_2)
	v_cmpx_ne_u32_e32 0x7f, v8
	s_cbranch_execz .LBB279_632
; %bb.629:                              ;   in Loop: Header=BB279_15 Depth=1
	v_dual_lshrrev_b32 v6, 3, v8 :: v_dual_bitop2_b32 v0, 7, v5 bitop3:0x40
	s_mov_b32 s19, exec_lo
	v_cmpx_gt_u32_e32 8, v8
; %bb.630:                              ;   in Loop: Header=BB279_15 Depth=1
	s_delay_alu instid0(VALU_DEP_2) | instskip(NEXT) | instid1(VALU_DEP_1)
	v_clz_i32_u32_e32 v0, v0
	v_min_u32_e32 v0, 32, v0
	s_delay_alu instid0(VALU_DEP_1) | instskip(NEXT) | instid1(VALU_DEP_1)
	v_subrev_nc_u32_e32 v6, 28, v0
	v_lshlrev_b64_e32 v[8:9], v6, v[24:25]
	v_sub_nc_u32_e32 v6, 29, v0
	s_delay_alu instid0(VALU_DEP_2)
	v_and_b32_e32 v0, 7, v8
; %bb.631:                              ;   in Loop: Header=BB279_15 Depth=1
	s_or_b32 exec_lo, exec_lo, s19
	s_delay_alu instid0(VALU_DEP_1) | instskip(NEXT) | instid1(VALU_DEP_3)
	v_dual_lshlrev_b32 v8, 8, v5 :: v_dual_lshlrev_b32 v0, 7, v0
	v_lshl_add_u32 v6, v6, 10, 0x2000
	s_delay_alu instid0(VALU_DEP_2) | instskip(NEXT) | instid1(VALU_DEP_2)
	v_and_b32_e32 v8, 0x8000, v8
	v_and_b32_e32 v6, 0xfc00, v6
	s_delay_alu instid0(VALU_DEP_1)
	v_or3_b32 v125, v8, v6, v0
.LBB279_632:                            ;   in Loop: Header=BB279_15 Depth=1
	s_or_b32 exec_lo, exec_lo, s18
.LBB279_633:                            ;   in Loop: Header=BB279_15 Depth=1
	s_delay_alu instid0(SALU_CYCLE_1)
	s_or_b32 exec_lo, exec_lo, s17
.LBB279_634:                            ;   in Loop: Header=BB279_15 Depth=1
	s_delay_alu instid0(SALU_CYCLE_1) | instskip(SKIP_3) | instid1(VALU_DEP_2)
	s_or_b32 exec_lo, exec_lo, s16
	v_lshrrev_b16 v24, 8, v24
	v_dual_mov_b32 v127, 0 :: v_dual_mov_b32 v11, 0
	s_mov_b32 s16, exec_lo
	v_cmpx_ne_u16_e32 0, v24
	s_cbranch_execz .LBB279_642
; %bb.635:                              ;   in Loop: Header=BB279_15 Depth=1
	v_bfrev_b32_e32 v11, 1
	s_mov_b32 s17, exec_lo
	v_cmpx_ne_u16_e32 0x80, v24
	s_cbranch_execz .LBB279_641
; %bb.636:                              ;   in Loop: Header=BB279_15 Depth=1
	v_and_b32_e32 v0, 0xffff, v24
	v_mov_b32_e32 v11, 0x7c010000
	s_mov_b32 s18, exec_lo
	s_delay_alu instid0(VALU_DEP_2) | instskip(NEXT) | instid1(VALU_DEP_1)
	v_and_b32_e32 v9, 0x7f, v0
	v_cmpx_ne_u32_e32 0x7f, v9
	s_cbranch_execz .LBB279_640
; %bb.637:                              ;   in Loop: Header=BB279_15 Depth=1
	v_dual_lshrrev_b32 v8, 3, v9 :: v_dual_bitop2_b32 v6, 7, v0 bitop3:0x40
	s_mov_b32 s19, exec_lo
	v_cmpx_gt_u32_e32 8, v9
; %bb.638:                              ;   in Loop: Header=BB279_15 Depth=1
	s_delay_alu instid0(VALU_DEP_2) | instskip(NEXT) | instid1(VALU_DEP_1)
	v_clz_i32_u32_e32 v6, v6
	v_min_u32_e32 v6, 32, v6
	s_delay_alu instid0(VALU_DEP_1) | instskip(NEXT) | instid1(VALU_DEP_1)
	v_subrev_nc_u32_e32 v8, 28, v6
	v_lshlrev_b64_e32 v[10:11], v8, v[24:25]
	v_sub_nc_u32_e32 v8, 29, v6
	s_delay_alu instid0(VALU_DEP_2)
	v_and_b32_e32 v6, 7, v10
; %bb.639:                              ;   in Loop: Header=BB279_15 Depth=1
	s_or_b32 exec_lo, exec_lo, s19
	s_delay_alu instid0(VALU_DEP_1) | instskip(NEXT) | instid1(VALU_DEP_3)
	v_dual_lshlrev_b32 v0, 8, v0 :: v_dual_lshlrev_b32 v6, 23, v6
	v_lshl_add_u32 v8, v8, 10, 0x2000
	s_delay_alu instid0(VALU_DEP_1) | instskip(NEXT) | instid1(VALU_DEP_1)
	v_and_or_b32 v0, 0x8000, v0, v8
	v_lshl_or_b32 v11, v0, 16, v6
.LBB279_640:                            ;   in Loop: Header=BB279_15 Depth=1
	s_or_b32 exec_lo, exec_lo, s18
.LBB279_641:                            ;   in Loop: Header=BB279_15 Depth=1
	s_delay_alu instid0(SALU_CYCLE_1)
	s_or_b32 exec_lo, exec_lo, s17
.LBB279_642:                            ;   in Loop: Header=BB279_15 Depth=1
	s_delay_alu instid0(SALU_CYCLE_1) | instskip(SKIP_2) | instid1(VALU_DEP_1)
	s_or_b32 exec_lo, exec_lo, s16
	v_lshrrev_b32_e32 v0, 16, v5
	s_mov_b32 s16, exec_lo
	v_and_b32_e32 v6, 0xff, v0
	s_delay_alu instid0(VALU_DEP_1)
	v_cmpx_ne_u16_e32 0, v6
	s_cbranch_execz .LBB279_650
; %bb.643:                              ;   in Loop: Header=BB279_15 Depth=1
	v_mov_b32_e32 v127, 0x8000
	s_mov_b32 s17, exec_lo
	v_cmpx_ne_u16_e32 0x80, v6
	s_cbranch_execz .LBB279_649
; %bb.644:                              ;   in Loop: Header=BB279_15 Depth=1
	v_bfe_u32 v9, v5, 16, 7
	v_mov_b32_e32 v127, 0x7c01
	s_mov_b32 s18, exec_lo
	s_delay_alu instid0(VALU_DEP_2)
	v_cmpx_ne_u32_e32 0x7f, v9
	s_cbranch_execz .LBB279_648
; %bb.645:                              ;   in Loop: Header=BB279_15 Depth=1
	v_dual_lshrrev_b32 v8, 3, v9 :: v_dual_bitop2_b32 v6, 7, v0 bitop3:0x40
	s_mov_b32 s19, exec_lo
	v_cmpx_gt_u32_e32 8, v9
; %bb.646:                              ;   in Loop: Header=BB279_15 Depth=1
	s_delay_alu instid0(VALU_DEP_2) | instskip(NEXT) | instid1(VALU_DEP_1)
	v_clz_i32_u32_e32 v6, v6
	v_min_u32_e32 v6, 32, v6
	s_delay_alu instid0(VALU_DEP_1) | instskip(NEXT) | instid1(VALU_DEP_1)
	v_subrev_nc_u32_e32 v8, 28, v6
	v_lshlrev_b64_e32 v[14:15], v8, v[0:1]
	v_sub_nc_u32_e32 v8, 29, v6
	s_delay_alu instid0(VALU_DEP_2)
	v_and_b32_e32 v6, 7, v14
; %bb.647:                              ;   in Loop: Header=BB279_15 Depth=1
	s_or_b32 exec_lo, exec_lo, s19
	s_delay_alu instid0(VALU_DEP_1) | instskip(NEXT) | instid1(VALU_DEP_3)
	v_dual_lshlrev_b32 v0, 8, v0 :: v_dual_lshlrev_b32 v6, 7, v6
	v_lshl_add_u32 v8, v8, 10, 0x2000
	s_delay_alu instid0(VALU_DEP_2) | instskip(NEXT) | instid1(VALU_DEP_2)
	v_and_b32_e32 v0, 0x8000, v0
	v_and_b32_e32 v8, 0xfc00, v8
	s_delay_alu instid0(VALU_DEP_1)
	v_or3_b32 v127, v0, v8, v6
.LBB279_648:                            ;   in Loop: Header=BB279_15 Depth=1
	s_or_b32 exec_lo, exec_lo, s18
.LBB279_649:                            ;   in Loop: Header=BB279_15 Depth=1
	s_delay_alu instid0(SALU_CYCLE_1)
	s_or_b32 exec_lo, exec_lo, s17
.LBB279_650:                            ;   in Loop: Header=BB279_15 Depth=1
	s_delay_alu instid0(SALU_CYCLE_1)
	s_or_b32 exec_lo, exec_lo, s16
	v_dual_mov_b32 v126, 0 :: v_dual_mov_b32 v10, 0
	s_mov_b32 s16, exec_lo
	v_cmpx_lt_u64_e64 s[8:9], v[4:5]
	s_cbranch_execz .LBB279_658
; %bb.651:                              ;   in Loop: Header=BB279_15 Depth=1
	v_lshrrev_b32_e32 v24, 24, v5
	v_bfrev_b32_e32 v10, 1
	s_mov_b32 s17, exec_lo
	s_delay_alu instid0(VALU_DEP_2)
	v_cmpx_ne_u32_e32 0x80, v24
	s_cbranch_execz .LBB279_657
; %bb.652:                              ;   in Loop: Header=BB279_15 Depth=1
	v_and_b32_e32 v5, 0x7f, v24
	v_mov_b32_e32 v10, 0x7c010000
	s_mov_b32 s18, exec_lo
	s_delay_alu instid0(VALU_DEP_2)
	v_cmpx_ne_u32_e32 0x7f, v5
	s_cbranch_execz .LBB279_656
; %bb.653:                              ;   in Loop: Header=BB279_15 Depth=1
	v_dual_lshrrev_b32 v4, 3, v5 :: v_dual_bitop2_b32 v0, 7, v24 bitop3:0x40
	s_mov_b32 s19, exec_lo
	v_cmpx_gt_u32_e32 8, v5
; %bb.654:                              ;   in Loop: Header=BB279_15 Depth=1
	s_delay_alu instid0(VALU_DEP_2) | instskip(NEXT) | instid1(VALU_DEP_1)
	v_clz_i32_u32_e32 v0, v0
	v_min_u32_e32 v0, 32, v0
	s_delay_alu instid0(VALU_DEP_1) | instskip(NEXT) | instid1(VALU_DEP_1)
	v_subrev_nc_u32_e32 v4, 28, v0
	v_lshlrev_b64_e32 v[8:9], v4, v[24:25]
	v_sub_nc_u32_e32 v4, 29, v0
	s_delay_alu instid0(VALU_DEP_2)
	v_and_b32_e32 v0, 7, v8
; %bb.655:                              ;   in Loop: Header=BB279_15 Depth=1
	s_or_b32 exec_lo, exec_lo, s19
	v_lshlrev_b32_e32 v5, 8, v24
	s_delay_alu instid0(VALU_DEP_3) | instskip(NEXT) | instid1(VALU_DEP_3)
	v_lshl_add_u32 v4, v4, 10, 0x2000
	v_lshlrev_b32_e32 v0, 23, v0
	s_delay_alu instid0(VALU_DEP_2) | instskip(NEXT) | instid1(VALU_DEP_1)
	v_and_or_b32 v4, 0x8000, v5, v4
	v_lshl_or_b32 v10, v4, 16, v0
.LBB279_656:                            ;   in Loop: Header=BB279_15 Depth=1
	s_or_b32 exec_lo, exec_lo, s18
.LBB279_657:                            ;   in Loop: Header=BB279_15 Depth=1
	s_delay_alu instid0(SALU_CYCLE_1)
	s_or_b32 exec_lo, exec_lo, s17
.LBB279_658:                            ;   in Loop: Header=BB279_15 Depth=1
	s_delay_alu instid0(SALU_CYCLE_1)
	s_or_b32 exec_lo, exec_lo, s16
	flat_load_b64 v[4:5], v[2:3] offset:2560
	s_mov_b32 s16, exec_lo
	s_wait_loadcnt_dscnt 0x0
	v_and_b32_e32 v0, 0xff, v4
	s_wait_xcnt 0x0
	s_delay_alu instid0(VALU_DEP_1)
	v_cmpx_ne_u16_e32 0, v0
	s_cbranch_execz .LBB279_666
; %bb.659:                              ;   in Loop: Header=BB279_15 Depth=1
	v_mov_b32_e32 v126, 0x8000
	s_mov_b32 s17, exec_lo
	v_cmpx_ne_u16_e32 0x80, v0
	s_cbranch_execz .LBB279_665
; %bb.660:                              ;   in Loop: Header=BB279_15 Depth=1
	v_and_b32_e32 v8, 0x7f, v4
	v_mov_b32_e32 v126, 0x7c01
	s_mov_b32 s18, exec_lo
	s_delay_alu instid0(VALU_DEP_2)
	v_cmpx_ne_u32_e32 0x7f, v8
	s_cbranch_execz .LBB279_664
; %bb.661:                              ;   in Loop: Header=BB279_15 Depth=1
	v_and_b32_e32 v0, 7, v4
	v_lshrrev_b32_e32 v6, 3, v8
	s_mov_b32 s19, exec_lo
	v_cmpx_gt_u32_e32 8, v8
; %bb.662:                              ;   in Loop: Header=BB279_15 Depth=1
	s_delay_alu instid0(VALU_DEP_3) | instskip(NEXT) | instid1(VALU_DEP_1)
	v_clz_i32_u32_e32 v0, v0
	v_min_u32_e32 v0, 32, v0
	s_delay_alu instid0(VALU_DEP_1) | instskip(NEXT) | instid1(VALU_DEP_1)
	v_subrev_nc_u32_e32 v6, 28, v0
	v_lshlrev_b64_e32 v[8:9], v6, v[4:5]
	v_sub_nc_u32_e32 v6, 29, v0
	s_delay_alu instid0(VALU_DEP_2)
	v_and_b32_e32 v0, 7, v8
; %bb.663:                              ;   in Loop: Header=BB279_15 Depth=1
	s_or_b32 exec_lo, exec_lo, s19
	v_lshlrev_b32_e32 v8, 8, v4
	s_delay_alu instid0(VALU_DEP_3) | instskip(NEXT) | instid1(VALU_DEP_3)
	v_lshl_add_u32 v6, v6, 10, 0x2000
	v_lshlrev_b32_e32 v0, 7, v0
	s_delay_alu instid0(VALU_DEP_3) | instskip(NEXT) | instid1(VALU_DEP_3)
	v_and_b32_e32 v8, 0x8000, v8
	v_and_b32_e32 v6, 0xfc00, v6
	s_delay_alu instid0(VALU_DEP_1)
	v_or3_b32 v126, v8, v6, v0
.LBB279_664:                            ;   in Loop: Header=BB279_15 Depth=1
	s_or_b32 exec_lo, exec_lo, s18
.LBB279_665:                            ;   in Loop: Header=BB279_15 Depth=1
	s_delay_alu instid0(SALU_CYCLE_1)
	s_or_b32 exec_lo, exec_lo, s17
.LBB279_666:                            ;   in Loop: Header=BB279_15 Depth=1
	s_delay_alu instid0(SALU_CYCLE_1) | instskip(SKIP_3) | instid1(VALU_DEP_2)
	s_or_b32 exec_lo, exec_lo, s16
	v_lshrrev_b16 v24, 8, v4
	v_dual_mov_b32 v47, 0 :: v_dual_mov_b32 v28, 0
	s_mov_b32 s16, exec_lo
	v_cmpx_ne_u16_e32 0, v24
	s_cbranch_execz .LBB279_674
; %bb.667:                              ;   in Loop: Header=BB279_15 Depth=1
	v_bfrev_b32_e32 v28, 1
	s_mov_b32 s17, exec_lo
	v_cmpx_ne_u16_e32 0x80, v24
	s_cbranch_execz .LBB279_673
; %bb.668:                              ;   in Loop: Header=BB279_15 Depth=1
	v_and_b32_e32 v0, 0xffff, v24
	v_mov_b32_e32 v28, 0x7c010000
	s_mov_b32 s18, exec_lo
	s_delay_alu instid0(VALU_DEP_2) | instskip(NEXT) | instid1(VALU_DEP_1)
	v_and_b32_e32 v9, 0x7f, v0
	v_cmpx_ne_u32_e32 0x7f, v9
	s_cbranch_execz .LBB279_672
; %bb.669:                              ;   in Loop: Header=BB279_15 Depth=1
	v_dual_lshrrev_b32 v8, 3, v9 :: v_dual_bitop2_b32 v6, 7, v0 bitop3:0x40
	s_mov_b32 s19, exec_lo
	v_cmpx_gt_u32_e32 8, v9
; %bb.670:                              ;   in Loop: Header=BB279_15 Depth=1
	s_delay_alu instid0(VALU_DEP_2) | instskip(NEXT) | instid1(VALU_DEP_1)
	v_clz_i32_u32_e32 v6, v6
	v_min_u32_e32 v6, 32, v6
	s_delay_alu instid0(VALU_DEP_1) | instskip(NEXT) | instid1(VALU_DEP_1)
	v_subrev_nc_u32_e32 v8, 28, v6
	v_lshlrev_b64_e32 v[14:15], v8, v[24:25]
	v_sub_nc_u32_e32 v8, 29, v6
	s_delay_alu instid0(VALU_DEP_2)
	v_and_b32_e32 v6, 7, v14
; %bb.671:                              ;   in Loop: Header=BB279_15 Depth=1
	s_or_b32 exec_lo, exec_lo, s19
	s_delay_alu instid0(VALU_DEP_1) | instskip(NEXT) | instid1(VALU_DEP_3)
	v_dual_lshlrev_b32 v0, 8, v0 :: v_dual_lshlrev_b32 v6, 23, v6
	v_lshl_add_u32 v8, v8, 10, 0x2000
	s_delay_alu instid0(VALU_DEP_1) | instskip(NEXT) | instid1(VALU_DEP_1)
	v_and_or_b32 v0, 0x8000, v0, v8
	v_lshl_or_b32 v28, v0, 16, v6
.LBB279_672:                            ;   in Loop: Header=BB279_15 Depth=1
	s_or_b32 exec_lo, exec_lo, s18
.LBB279_673:                            ;   in Loop: Header=BB279_15 Depth=1
	s_delay_alu instid0(SALU_CYCLE_1)
	s_or_b32 exec_lo, exec_lo, s17
.LBB279_674:                            ;   in Loop: Header=BB279_15 Depth=1
	s_delay_alu instid0(SALU_CYCLE_1) | instskip(SKIP_2) | instid1(VALU_DEP_1)
	s_or_b32 exec_lo, exec_lo, s16
	v_lshrrev_b32_e32 v0, 16, v4
	s_mov_b32 s16, exec_lo
	v_and_b32_e32 v6, 0xff, v0
	s_delay_alu instid0(VALU_DEP_1)
	v_cmpx_ne_u16_e32 0, v6
	s_cbranch_execz .LBB279_682
; %bb.675:                              ;   in Loop: Header=BB279_15 Depth=1
	v_mov_b32_e32 v47, 0x8000
	s_mov_b32 s17, exec_lo
	v_cmpx_ne_u16_e32 0x80, v6
	s_cbranch_execz .LBB279_681
; %bb.676:                              ;   in Loop: Header=BB279_15 Depth=1
	v_bfe_u32 v9, v4, 16, 7
	v_mov_b32_e32 v47, 0x7c01
	s_mov_b32 s18, exec_lo
	s_delay_alu instid0(VALU_DEP_2)
	v_cmpx_ne_u32_e32 0x7f, v9
	s_cbranch_execz .LBB279_680
; %bb.677:                              ;   in Loop: Header=BB279_15 Depth=1
	v_dual_lshrrev_b32 v8, 3, v9 :: v_dual_bitop2_b32 v6, 7, v0 bitop3:0x40
	s_mov_b32 s19, exec_lo
	v_cmpx_gt_u32_e32 8, v9
; %bb.678:                              ;   in Loop: Header=BB279_15 Depth=1
	s_delay_alu instid0(VALU_DEP_2) | instskip(NEXT) | instid1(VALU_DEP_1)
	v_clz_i32_u32_e32 v6, v6
	v_min_u32_e32 v6, 32, v6
	s_delay_alu instid0(VALU_DEP_1) | instskip(NEXT) | instid1(VALU_DEP_1)
	v_subrev_nc_u32_e32 v8, 28, v6
	v_lshlrev_b64_e32 v[14:15], v8, v[0:1]
	v_sub_nc_u32_e32 v8, 29, v6
	s_delay_alu instid0(VALU_DEP_2)
	v_and_b32_e32 v6, 7, v14
; %bb.679:                              ;   in Loop: Header=BB279_15 Depth=1
	s_or_b32 exec_lo, exec_lo, s19
	s_delay_alu instid0(VALU_DEP_1) | instskip(NEXT) | instid1(VALU_DEP_3)
	v_dual_lshlrev_b32 v0, 8, v0 :: v_dual_lshlrev_b32 v6, 7, v6
	v_lshl_add_u32 v8, v8, 10, 0x2000
	s_delay_alu instid0(VALU_DEP_2) | instskip(NEXT) | instid1(VALU_DEP_2)
	v_and_b32_e32 v0, 0x8000, v0
	v_and_b32_e32 v8, 0xfc00, v8
	s_delay_alu instid0(VALU_DEP_1)
	v_or3_b32 v47, v0, v8, v6
.LBB279_680:                            ;   in Loop: Header=BB279_15 Depth=1
	s_or_b32 exec_lo, exec_lo, s18
.LBB279_681:                            ;   in Loop: Header=BB279_15 Depth=1
	s_delay_alu instid0(SALU_CYCLE_1)
	s_or_b32 exec_lo, exec_lo, s17
.LBB279_682:                            ;   in Loop: Header=BB279_15 Depth=1
	s_delay_alu instid0(SALU_CYCLE_1)
	s_or_b32 exec_lo, exec_lo, s16
	v_dual_mov_b32 v20, 0 :: v_dual_mov_b32 v29, 0
	s_mov_b32 s16, exec_lo
	v_cmpx_lt_u32_e32 0xffffff, v4
	s_cbranch_execz .LBB279_690
; %bb.683:                              ;   in Loop: Header=BB279_15 Depth=1
	v_lshrrev_b32_e32 v24, 24, v4
	v_bfrev_b32_e32 v29, 1
	s_mov_b32 s17, exec_lo
	s_delay_alu instid0(VALU_DEP_2)
	v_cmpx_ne_u32_e32 0x80, v24
	s_cbranch_execz .LBB279_689
; %bb.684:                              ;   in Loop: Header=BB279_15 Depth=1
	v_and_b32_e32 v8, 0x7f, v24
	v_mov_b32_e32 v29, 0x7c010000
	s_mov_b32 s18, exec_lo
	s_delay_alu instid0(VALU_DEP_2)
	v_cmpx_ne_u32_e32 0x7f, v8
	s_cbranch_execz .LBB279_688
; %bb.685:                              ;   in Loop: Header=BB279_15 Depth=1
	v_and_b32_e32 v0, 7, v24
	v_lshrrev_b32_e32 v6, 3, v8
	s_mov_b32 s19, exec_lo
	v_cmpx_gt_u32_e32 8, v8
; %bb.686:                              ;   in Loop: Header=BB279_15 Depth=1
	s_delay_alu instid0(VALU_DEP_3) | instskip(NEXT) | instid1(VALU_DEP_1)
	v_clz_i32_u32_e32 v0, v0
	v_min_u32_e32 v0, 32, v0
	s_delay_alu instid0(VALU_DEP_1) | instskip(NEXT) | instid1(VALU_DEP_1)
	v_subrev_nc_u32_e32 v6, 28, v0
	v_lshlrev_b64_e32 v[8:9], v6, v[24:25]
	v_sub_nc_u32_e32 v6, 29, v0
	s_delay_alu instid0(VALU_DEP_2)
	v_and_b32_e32 v0, 7, v8
; %bb.687:                              ;   in Loop: Header=BB279_15 Depth=1
	s_or_b32 exec_lo, exec_lo, s19
	v_lshlrev_b32_e32 v8, 8, v24
	s_delay_alu instid0(VALU_DEP_3) | instskip(NEXT) | instid1(VALU_DEP_3)
	v_lshl_add_u32 v6, v6, 10, 0x2000
	v_lshlrev_b32_e32 v0, 23, v0
	s_delay_alu instid0(VALU_DEP_2) | instskip(NEXT) | instid1(VALU_DEP_1)
	v_and_or_b32 v6, 0x8000, v8, v6
	v_lshl_or_b32 v29, v6, 16, v0
.LBB279_688:                            ;   in Loop: Header=BB279_15 Depth=1
	s_or_b32 exec_lo, exec_lo, s18
.LBB279_689:                            ;   in Loop: Header=BB279_15 Depth=1
	s_delay_alu instid0(SALU_CYCLE_1)
	s_or_b32 exec_lo, exec_lo, s17
.LBB279_690:                            ;   in Loop: Header=BB279_15 Depth=1
	s_delay_alu instid0(SALU_CYCLE_1) | instskip(SKIP_3) | instid1(VALU_DEP_2)
	s_or_b32 exec_lo, exec_lo, s16
	v_and_b32_e32 v0, 0xff, v5
	v_mov_b32_e32 v24, v5
	s_mov_b32 s16, exec_lo
	v_cmpx_ne_u16_e32 0, v0
	s_cbranch_execz .LBB279_698
; %bb.691:                              ;   in Loop: Header=BB279_15 Depth=1
	v_mov_b32_e32 v20, 0x8000
	s_mov_b32 s17, exec_lo
	v_cmpx_ne_u16_e32 0x80, v0
	s_cbranch_execz .LBB279_697
; %bb.692:                              ;   in Loop: Header=BB279_15 Depth=1
	v_and_b32_e32 v8, 0x7f, v5
	v_mov_b32_e32 v20, 0x7c01
	s_mov_b32 s18, exec_lo
	s_delay_alu instid0(VALU_DEP_2)
	v_cmpx_ne_u32_e32 0x7f, v8
	s_cbranch_execz .LBB279_696
; %bb.693:                              ;   in Loop: Header=BB279_15 Depth=1
	v_dual_lshrrev_b32 v6, 3, v8 :: v_dual_bitop2_b32 v0, 7, v5 bitop3:0x40
	s_mov_b32 s19, exec_lo
	v_cmpx_gt_u32_e32 8, v8
; %bb.694:                              ;   in Loop: Header=BB279_15 Depth=1
	s_delay_alu instid0(VALU_DEP_2) | instskip(NEXT) | instid1(VALU_DEP_1)
	v_clz_i32_u32_e32 v0, v0
	v_min_u32_e32 v0, 32, v0
	s_delay_alu instid0(VALU_DEP_1) | instskip(NEXT) | instid1(VALU_DEP_1)
	v_subrev_nc_u32_e32 v6, 28, v0
	v_lshlrev_b64_e32 v[8:9], v6, v[24:25]
	v_sub_nc_u32_e32 v6, 29, v0
	s_delay_alu instid0(VALU_DEP_2)
	v_and_b32_e32 v0, 7, v8
; %bb.695:                              ;   in Loop: Header=BB279_15 Depth=1
	s_or_b32 exec_lo, exec_lo, s19
	s_delay_alu instid0(VALU_DEP_1) | instskip(NEXT) | instid1(VALU_DEP_3)
	v_dual_lshlrev_b32 v8, 8, v5 :: v_dual_lshlrev_b32 v0, 7, v0
	v_lshl_add_u32 v6, v6, 10, 0x2000
	s_delay_alu instid0(VALU_DEP_2) | instskip(NEXT) | instid1(VALU_DEP_2)
	v_and_b32_e32 v8, 0x8000, v8
	v_and_b32_e32 v6, 0xfc00, v6
	s_delay_alu instid0(VALU_DEP_1)
	v_or3_b32 v20, v8, v6, v0
.LBB279_696:                            ;   in Loop: Header=BB279_15 Depth=1
	s_or_b32 exec_lo, exec_lo, s18
.LBB279_697:                            ;   in Loop: Header=BB279_15 Depth=1
	s_delay_alu instid0(SALU_CYCLE_1)
	s_or_b32 exec_lo, exec_lo, s17
.LBB279_698:                            ;   in Loop: Header=BB279_15 Depth=1
	s_delay_alu instid0(SALU_CYCLE_1) | instskip(SKIP_3) | instid1(VALU_DEP_2)
	s_or_b32 exec_lo, exec_lo, s16
	v_lshrrev_b16 v24, 8, v24
	v_dual_mov_b32 v57, 0 :: v_dual_mov_b32 v58, 0
	s_mov_b32 s16, exec_lo
	v_cmpx_ne_u16_e32 0, v24
	s_cbranch_execz .LBB279_706
; %bb.699:                              ;   in Loop: Header=BB279_15 Depth=1
	v_bfrev_b32_e32 v58, 1
	s_mov_b32 s17, exec_lo
	v_cmpx_ne_u16_e32 0x80, v24
	s_cbranch_execz .LBB279_705
; %bb.700:                              ;   in Loop: Header=BB279_15 Depth=1
	v_and_b32_e32 v0, 0xffff, v24
	v_mov_b32_e32 v58, 0x7c010000
	s_mov_b32 s18, exec_lo
	s_delay_alu instid0(VALU_DEP_2) | instskip(NEXT) | instid1(VALU_DEP_1)
	v_and_b32_e32 v9, 0x7f, v0
	v_cmpx_ne_u32_e32 0x7f, v9
	s_cbranch_execz .LBB279_704
; %bb.701:                              ;   in Loop: Header=BB279_15 Depth=1
	v_dual_lshrrev_b32 v8, 3, v9 :: v_dual_bitop2_b32 v6, 7, v0 bitop3:0x40
	s_mov_b32 s19, exec_lo
	v_cmpx_gt_u32_e32 8, v9
; %bb.702:                              ;   in Loop: Header=BB279_15 Depth=1
	s_delay_alu instid0(VALU_DEP_2) | instskip(NEXT) | instid1(VALU_DEP_1)
	v_clz_i32_u32_e32 v6, v6
	v_min_u32_e32 v6, 32, v6
	s_delay_alu instid0(VALU_DEP_1) | instskip(NEXT) | instid1(VALU_DEP_1)
	v_subrev_nc_u32_e32 v8, 28, v6
	v_lshlrev_b64_e32 v[14:15], v8, v[24:25]
	v_sub_nc_u32_e32 v8, 29, v6
	s_delay_alu instid0(VALU_DEP_2)
	v_and_b32_e32 v6, 7, v14
; %bb.703:                              ;   in Loop: Header=BB279_15 Depth=1
	s_or_b32 exec_lo, exec_lo, s19
	s_delay_alu instid0(VALU_DEP_1) | instskip(NEXT) | instid1(VALU_DEP_3)
	v_dual_lshlrev_b32 v0, 8, v0 :: v_dual_lshlrev_b32 v6, 23, v6
	v_lshl_add_u32 v8, v8, 10, 0x2000
	s_delay_alu instid0(VALU_DEP_1) | instskip(NEXT) | instid1(VALU_DEP_1)
	v_and_or_b32 v0, 0x8000, v0, v8
	v_lshl_or_b32 v58, v0, 16, v6
.LBB279_704:                            ;   in Loop: Header=BB279_15 Depth=1
	s_or_b32 exec_lo, exec_lo, s18
.LBB279_705:                            ;   in Loop: Header=BB279_15 Depth=1
	s_delay_alu instid0(SALU_CYCLE_1)
	s_or_b32 exec_lo, exec_lo, s17
.LBB279_706:                            ;   in Loop: Header=BB279_15 Depth=1
	s_delay_alu instid0(SALU_CYCLE_1) | instskip(SKIP_2) | instid1(VALU_DEP_1)
	s_or_b32 exec_lo, exec_lo, s16
	v_lshrrev_b32_e32 v0, 16, v5
	s_mov_b32 s16, exec_lo
	v_and_b32_e32 v6, 0xff, v0
	s_delay_alu instid0(VALU_DEP_1)
	v_cmpx_ne_u16_e32 0, v6
	s_cbranch_execz .LBB279_714
; %bb.707:                              ;   in Loop: Header=BB279_15 Depth=1
	v_mov_b32_e32 v57, 0x8000
	s_mov_b32 s17, exec_lo
	v_cmpx_ne_u16_e32 0x80, v6
	s_cbranch_execz .LBB279_713
; %bb.708:                              ;   in Loop: Header=BB279_15 Depth=1
	v_bfe_u32 v9, v5, 16, 7
	v_mov_b32_e32 v57, 0x7c01
	s_mov_b32 s18, exec_lo
	s_delay_alu instid0(VALU_DEP_2)
	v_cmpx_ne_u32_e32 0x7f, v9
	s_cbranch_execz .LBB279_712
; %bb.709:                              ;   in Loop: Header=BB279_15 Depth=1
	v_dual_lshrrev_b32 v8, 3, v9 :: v_dual_bitop2_b32 v6, 7, v0 bitop3:0x40
	s_mov_b32 s19, exec_lo
	v_cmpx_gt_u32_e32 8, v9
; %bb.710:                              ;   in Loop: Header=BB279_15 Depth=1
	s_delay_alu instid0(VALU_DEP_2) | instskip(NEXT) | instid1(VALU_DEP_1)
	v_clz_i32_u32_e32 v6, v6
	v_min_u32_e32 v6, 32, v6
	s_delay_alu instid0(VALU_DEP_1) | instskip(NEXT) | instid1(VALU_DEP_1)
	v_subrev_nc_u32_e32 v8, 28, v6
	v_lshlrev_b64_e32 v[14:15], v8, v[0:1]
	v_sub_nc_u32_e32 v8, 29, v6
	s_delay_alu instid0(VALU_DEP_2)
	v_and_b32_e32 v6, 7, v14
; %bb.711:                              ;   in Loop: Header=BB279_15 Depth=1
	s_or_b32 exec_lo, exec_lo, s19
	s_delay_alu instid0(VALU_DEP_1) | instskip(NEXT) | instid1(VALU_DEP_3)
	v_dual_lshlrev_b32 v0, 8, v0 :: v_dual_lshlrev_b32 v6, 7, v6
	v_lshl_add_u32 v8, v8, 10, 0x2000
	s_delay_alu instid0(VALU_DEP_2) | instskip(NEXT) | instid1(VALU_DEP_2)
	v_and_b32_e32 v0, 0x8000, v0
	v_and_b32_e32 v8, 0xfc00, v8
	s_delay_alu instid0(VALU_DEP_1)
	v_or3_b32 v57, v0, v8, v6
.LBB279_712:                            ;   in Loop: Header=BB279_15 Depth=1
	s_or_b32 exec_lo, exec_lo, s18
.LBB279_713:                            ;   in Loop: Header=BB279_15 Depth=1
	s_delay_alu instid0(SALU_CYCLE_1)
	s_or_b32 exec_lo, exec_lo, s17
.LBB279_714:                            ;   in Loop: Header=BB279_15 Depth=1
	s_delay_alu instid0(SALU_CYCLE_1)
	s_or_b32 exec_lo, exec_lo, s16
	v_dual_mov_b32 v60, 0 :: v_dual_mov_b32 v61, 0
	s_mov_b32 s16, exec_lo
	v_cmpx_lt_u64_e64 s[8:9], v[4:5]
	s_cbranch_execz .LBB279_722
; %bb.715:                              ;   in Loop: Header=BB279_15 Depth=1
	v_lshrrev_b32_e32 v24, 24, v5
	v_bfrev_b32_e32 v61, 1
	s_mov_b32 s17, exec_lo
	s_delay_alu instid0(VALU_DEP_2)
	v_cmpx_ne_u32_e32 0x80, v24
	s_cbranch_execz .LBB279_721
; %bb.716:                              ;   in Loop: Header=BB279_15 Depth=1
	v_and_b32_e32 v5, 0x7f, v24
	v_mov_b32_e32 v61, 0x7c010000
	s_mov_b32 s18, exec_lo
	s_delay_alu instid0(VALU_DEP_2)
	v_cmpx_ne_u32_e32 0x7f, v5
	s_cbranch_execz .LBB279_720
; %bb.717:                              ;   in Loop: Header=BB279_15 Depth=1
	v_dual_lshrrev_b32 v4, 3, v5 :: v_dual_bitop2_b32 v0, 7, v24 bitop3:0x40
	s_mov_b32 s19, exec_lo
	v_cmpx_gt_u32_e32 8, v5
; %bb.718:                              ;   in Loop: Header=BB279_15 Depth=1
	s_delay_alu instid0(VALU_DEP_2) | instskip(NEXT) | instid1(VALU_DEP_1)
	v_clz_i32_u32_e32 v0, v0
	v_min_u32_e32 v0, 32, v0
	s_delay_alu instid0(VALU_DEP_1) | instskip(NEXT) | instid1(VALU_DEP_1)
	v_subrev_nc_u32_e32 v4, 28, v0
	v_lshlrev_b64_e32 v[8:9], v4, v[24:25]
	v_sub_nc_u32_e32 v4, 29, v0
	s_delay_alu instid0(VALU_DEP_2)
	v_and_b32_e32 v0, 7, v8
; %bb.719:                              ;   in Loop: Header=BB279_15 Depth=1
	s_or_b32 exec_lo, exec_lo, s19
	v_lshlrev_b32_e32 v5, 8, v24
	s_delay_alu instid0(VALU_DEP_3) | instskip(NEXT) | instid1(VALU_DEP_3)
	v_lshl_add_u32 v4, v4, 10, 0x2000
	v_lshlrev_b32_e32 v0, 23, v0
	s_delay_alu instid0(VALU_DEP_2) | instskip(NEXT) | instid1(VALU_DEP_1)
	v_and_or_b32 v4, 0x8000, v5, v4
	v_lshl_or_b32 v61, v4, 16, v0
.LBB279_720:                            ;   in Loop: Header=BB279_15 Depth=1
	s_or_b32 exec_lo, exec_lo, s18
.LBB279_721:                            ;   in Loop: Header=BB279_15 Depth=1
	s_delay_alu instid0(SALU_CYCLE_1)
	s_or_b32 exec_lo, exec_lo, s17
.LBB279_722:                            ;   in Loop: Header=BB279_15 Depth=1
	s_delay_alu instid0(SALU_CYCLE_1)
	s_or_b32 exec_lo, exec_lo, s16
	flat_load_b64 v[4:5], v[2:3] offset:2568
	s_mov_b32 s16, exec_lo
	s_wait_loadcnt_dscnt 0x0
	v_and_b32_e32 v0, 0xff, v4
	s_wait_xcnt 0x0
	s_delay_alu instid0(VALU_DEP_1)
	v_cmpx_ne_u16_e32 0, v0
	s_cbranch_execz .LBB279_730
; %bb.723:                              ;   in Loop: Header=BB279_15 Depth=1
	v_mov_b32_e32 v60, 0x8000
	s_mov_b32 s17, exec_lo
	v_cmpx_ne_u16_e32 0x80, v0
	s_cbranch_execz .LBB279_729
; %bb.724:                              ;   in Loop: Header=BB279_15 Depth=1
	v_and_b32_e32 v8, 0x7f, v4
	v_mov_b32_e32 v60, 0x7c01
	s_mov_b32 s18, exec_lo
	s_delay_alu instid0(VALU_DEP_2)
	v_cmpx_ne_u32_e32 0x7f, v8
	s_cbranch_execz .LBB279_728
; %bb.725:                              ;   in Loop: Header=BB279_15 Depth=1
	v_and_b32_e32 v0, 7, v4
	v_lshrrev_b32_e32 v6, 3, v8
	s_mov_b32 s19, exec_lo
	v_cmpx_gt_u32_e32 8, v8
; %bb.726:                              ;   in Loop: Header=BB279_15 Depth=1
	s_delay_alu instid0(VALU_DEP_3) | instskip(NEXT) | instid1(VALU_DEP_1)
	v_clz_i32_u32_e32 v0, v0
	v_min_u32_e32 v0, 32, v0
	s_delay_alu instid0(VALU_DEP_1) | instskip(NEXT) | instid1(VALU_DEP_1)
	v_subrev_nc_u32_e32 v6, 28, v0
	v_lshlrev_b64_e32 v[8:9], v6, v[4:5]
	v_sub_nc_u32_e32 v6, 29, v0
	s_delay_alu instid0(VALU_DEP_2)
	v_and_b32_e32 v0, 7, v8
; %bb.727:                              ;   in Loop: Header=BB279_15 Depth=1
	s_or_b32 exec_lo, exec_lo, s19
	v_lshlrev_b32_e32 v8, 8, v4
	s_delay_alu instid0(VALU_DEP_3) | instskip(NEXT) | instid1(VALU_DEP_3)
	v_lshl_add_u32 v6, v6, 10, 0x2000
	v_lshlrev_b32_e32 v0, 7, v0
	s_delay_alu instid0(VALU_DEP_3) | instskip(NEXT) | instid1(VALU_DEP_3)
	v_and_b32_e32 v8, 0x8000, v8
	v_and_b32_e32 v6, 0xfc00, v6
	s_delay_alu instid0(VALU_DEP_1)
	v_or3_b32 v60, v8, v6, v0
.LBB279_728:                            ;   in Loop: Header=BB279_15 Depth=1
	s_or_b32 exec_lo, exec_lo, s18
.LBB279_729:                            ;   in Loop: Header=BB279_15 Depth=1
	s_delay_alu instid0(SALU_CYCLE_1)
	s_or_b32 exec_lo, exec_lo, s17
.LBB279_730:                            ;   in Loop: Header=BB279_15 Depth=1
	s_delay_alu instid0(SALU_CYCLE_1) | instskip(SKIP_3) | instid1(VALU_DEP_2)
	s_or_b32 exec_lo, exec_lo, s16
	v_lshrrev_b16 v24, 8, v4
	v_dual_mov_b32 v91, 0 :: v_dual_mov_b32 v15, 0
	s_mov_b32 s16, exec_lo
	v_cmpx_ne_u16_e32 0, v24
	s_cbranch_execz .LBB279_738
; %bb.731:                              ;   in Loop: Header=BB279_15 Depth=1
	v_bfrev_b32_e32 v15, 1
	s_mov_b32 s17, exec_lo
	v_cmpx_ne_u16_e32 0x80, v24
	s_cbranch_execz .LBB279_737
; %bb.732:                              ;   in Loop: Header=BB279_15 Depth=1
	v_and_b32_e32 v0, 0xffff, v24
	v_mov_b32_e32 v15, 0x7c010000
	s_mov_b32 s18, exec_lo
	s_delay_alu instid0(VALU_DEP_2) | instskip(NEXT) | instid1(VALU_DEP_1)
	v_and_b32_e32 v9, 0x7f, v0
	v_cmpx_ne_u32_e32 0x7f, v9
	s_cbranch_execz .LBB279_736
; %bb.733:                              ;   in Loop: Header=BB279_15 Depth=1
	v_dual_lshrrev_b32 v8, 3, v9 :: v_dual_bitop2_b32 v6, 7, v0 bitop3:0x40
	s_mov_b32 s19, exec_lo
	v_cmpx_gt_u32_e32 8, v9
; %bb.734:                              ;   in Loop: Header=BB279_15 Depth=1
	s_delay_alu instid0(VALU_DEP_2) | instskip(NEXT) | instid1(VALU_DEP_1)
	v_clz_i32_u32_e32 v6, v6
	v_min_u32_e32 v6, 32, v6
	s_delay_alu instid0(VALU_DEP_1) | instskip(NEXT) | instid1(VALU_DEP_1)
	v_subrev_nc_u32_e32 v8, 28, v6
	v_lshlrev_b64_e32 v[14:15], v8, v[24:25]
	v_sub_nc_u32_e32 v8, 29, v6
	s_delay_alu instid0(VALU_DEP_2)
	v_and_b32_e32 v6, 7, v14
; %bb.735:                              ;   in Loop: Header=BB279_15 Depth=1
	s_or_b32 exec_lo, exec_lo, s19
	s_delay_alu instid0(VALU_DEP_1) | instskip(NEXT) | instid1(VALU_DEP_3)
	v_dual_lshlrev_b32 v0, 8, v0 :: v_dual_lshlrev_b32 v6, 23, v6
	v_lshl_add_u32 v8, v8, 10, 0x2000
	s_delay_alu instid0(VALU_DEP_1) | instskip(NEXT) | instid1(VALU_DEP_1)
	v_and_or_b32 v0, 0x8000, v0, v8
	v_lshl_or_b32 v15, v0, 16, v6
.LBB279_736:                            ;   in Loop: Header=BB279_15 Depth=1
	s_or_b32 exec_lo, exec_lo, s18
.LBB279_737:                            ;   in Loop: Header=BB279_15 Depth=1
	s_delay_alu instid0(SALU_CYCLE_1)
	s_or_b32 exec_lo, exec_lo, s17
.LBB279_738:                            ;   in Loop: Header=BB279_15 Depth=1
	s_delay_alu instid0(SALU_CYCLE_1) | instskip(SKIP_2) | instid1(VALU_DEP_1)
	s_or_b32 exec_lo, exec_lo, s16
	v_lshrrev_b32_e32 v0, 16, v4
	s_mov_b32 s16, exec_lo
	v_and_b32_e32 v6, 0xff, v0
	s_delay_alu instid0(VALU_DEP_1)
	v_cmpx_ne_u16_e32 0, v6
	s_cbranch_execz .LBB279_746
; %bb.739:                              ;   in Loop: Header=BB279_15 Depth=1
	v_mov_b32_e32 v91, 0x8000
	s_mov_b32 s17, exec_lo
	v_cmpx_ne_u16_e32 0x80, v6
	s_cbranch_execz .LBB279_745
; %bb.740:                              ;   in Loop: Header=BB279_15 Depth=1
	v_bfe_u32 v9, v4, 16, 7
	v_mov_b32_e32 v91, 0x7c01
	s_mov_b32 s18, exec_lo
	s_delay_alu instid0(VALU_DEP_2)
	v_cmpx_ne_u32_e32 0x7f, v9
	s_cbranch_execz .LBB279_744
; %bb.741:                              ;   in Loop: Header=BB279_15 Depth=1
	v_dual_lshrrev_b32 v8, 3, v9 :: v_dual_bitop2_b32 v6, 7, v0 bitop3:0x40
	s_mov_b32 s19, exec_lo
	v_cmpx_gt_u32_e32 8, v9
; %bb.742:                              ;   in Loop: Header=BB279_15 Depth=1
	s_delay_alu instid0(VALU_DEP_2) | instskip(NEXT) | instid1(VALU_DEP_1)
	v_clz_i32_u32_e32 v6, v6
	v_min_u32_e32 v6, 32, v6
	s_delay_alu instid0(VALU_DEP_1) | instskip(NEXT) | instid1(VALU_DEP_1)
	v_subrev_nc_u32_e32 v8, 28, v6
	v_lshlrev_b64_e32 v[16:17], v8, v[0:1]
	s_delay_alu instid0(VALU_DEP_1)
	v_dual_sub_nc_u32 v8, 29, v6 :: v_dual_bitop2_b32 v6, 7, v16 bitop3:0x40
; %bb.743:                              ;   in Loop: Header=BB279_15 Depth=1
	s_or_b32 exec_lo, exec_lo, s19
	s_delay_alu instid0(VALU_DEP_1) | instskip(NEXT) | instid1(VALU_DEP_2)
	v_dual_lshlrev_b32 v0, 8, v0 :: v_dual_lshlrev_b32 v6, 7, v6
	v_lshl_add_u32 v8, v8, 10, 0x2000
	s_delay_alu instid0(VALU_DEP_2) | instskip(NEXT) | instid1(VALU_DEP_2)
	v_and_b32_e32 v0, 0x8000, v0
	v_and_b32_e32 v8, 0xfc00, v8
	s_delay_alu instid0(VALU_DEP_1)
	v_or3_b32 v91, v0, v8, v6
.LBB279_744:                            ;   in Loop: Header=BB279_15 Depth=1
	s_or_b32 exec_lo, exec_lo, s18
.LBB279_745:                            ;   in Loop: Header=BB279_15 Depth=1
	s_delay_alu instid0(SALU_CYCLE_1)
	s_or_b32 exec_lo, exec_lo, s17
.LBB279_746:                            ;   in Loop: Header=BB279_15 Depth=1
	s_delay_alu instid0(SALU_CYCLE_1)
	s_or_b32 exec_lo, exec_lo, s16
	v_dual_mov_b32 v93, 0 :: v_dual_mov_b32 v9, 0
	s_mov_b32 s16, exec_lo
	v_cmpx_lt_u32_e32 0xffffff, v4
	s_cbranch_execz .LBB279_754
; %bb.747:                              ;   in Loop: Header=BB279_15 Depth=1
	v_lshrrev_b32_e32 v24, 24, v4
	v_bfrev_b32_e32 v9, 1
	s_mov_b32 s17, exec_lo
	s_delay_alu instid0(VALU_DEP_2)
	v_cmpx_ne_u32_e32 0x80, v24
	s_cbranch_execz .LBB279_753
; %bb.748:                              ;   in Loop: Header=BB279_15 Depth=1
	v_and_b32_e32 v8, 0x7f, v24
	v_mov_b32_e32 v9, 0x7c010000
	s_mov_b32 s18, exec_lo
	s_delay_alu instid0(VALU_DEP_2)
	v_cmpx_ne_u32_e32 0x7f, v8
	s_cbranch_execz .LBB279_752
; %bb.749:                              ;   in Loop: Header=BB279_15 Depth=1
	v_and_b32_e32 v0, 7, v24
	v_lshrrev_b32_e32 v6, 3, v8
	s_mov_b32 s19, exec_lo
	v_cmpx_gt_u32_e32 8, v8
; %bb.750:                              ;   in Loop: Header=BB279_15 Depth=1
	s_delay_alu instid0(VALU_DEP_3) | instskip(NEXT) | instid1(VALU_DEP_1)
	v_clz_i32_u32_e32 v0, v0
	v_min_u32_e32 v0, 32, v0
	s_delay_alu instid0(VALU_DEP_1) | instskip(NEXT) | instid1(VALU_DEP_1)
	v_subrev_nc_u32_e32 v6, 28, v0
	v_lshlrev_b64_e32 v[8:9], v6, v[24:25]
	v_sub_nc_u32_e32 v6, 29, v0
	s_delay_alu instid0(VALU_DEP_2)
	v_and_b32_e32 v0, 7, v8
; %bb.751:                              ;   in Loop: Header=BB279_15 Depth=1
	s_or_b32 exec_lo, exec_lo, s19
	v_lshlrev_b32_e32 v8, 8, v24
	s_delay_alu instid0(VALU_DEP_3) | instskip(NEXT) | instid1(VALU_DEP_3)
	v_lshl_add_u32 v6, v6, 10, 0x2000
	v_lshlrev_b32_e32 v0, 23, v0
	s_delay_alu instid0(VALU_DEP_2) | instskip(NEXT) | instid1(VALU_DEP_1)
	v_and_or_b32 v6, 0x8000, v8, v6
	v_lshl_or_b32 v9, v6, 16, v0
.LBB279_752:                            ;   in Loop: Header=BB279_15 Depth=1
	s_or_b32 exec_lo, exec_lo, s18
.LBB279_753:                            ;   in Loop: Header=BB279_15 Depth=1
	s_delay_alu instid0(SALU_CYCLE_1)
	s_or_b32 exec_lo, exec_lo, s17
.LBB279_754:                            ;   in Loop: Header=BB279_15 Depth=1
	s_delay_alu instid0(SALU_CYCLE_1) | instskip(SKIP_3) | instid1(VALU_DEP_2)
	s_or_b32 exec_lo, exec_lo, s16
	v_and_b32_e32 v0, 0xff, v5
	v_mov_b32_e32 v24, v5
	s_mov_b32 s16, exec_lo
	v_cmpx_ne_u16_e32 0, v0
	s_cbranch_execz .LBB279_762
; %bb.755:                              ;   in Loop: Header=BB279_15 Depth=1
	v_mov_b32_e32 v93, 0x8000
	s_mov_b32 s17, exec_lo
	v_cmpx_ne_u16_e32 0x80, v0
	s_cbranch_execz .LBB279_761
; %bb.756:                              ;   in Loop: Header=BB279_15 Depth=1
	v_and_b32_e32 v8, 0x7f, v5
	v_mov_b32_e32 v93, 0x7c01
	s_mov_b32 s18, exec_lo
	s_delay_alu instid0(VALU_DEP_2)
	v_cmpx_ne_u32_e32 0x7f, v8
	s_cbranch_execz .LBB279_760
; %bb.757:                              ;   in Loop: Header=BB279_15 Depth=1
	v_dual_lshrrev_b32 v6, 3, v8 :: v_dual_bitop2_b32 v0, 7, v5 bitop3:0x40
	s_mov_b32 s19, exec_lo
	v_cmpx_gt_u32_e32 8, v8
; %bb.758:                              ;   in Loop: Header=BB279_15 Depth=1
	s_delay_alu instid0(VALU_DEP_2) | instskip(NEXT) | instid1(VALU_DEP_1)
	v_clz_i32_u32_e32 v0, v0
	v_min_u32_e32 v0, 32, v0
	s_delay_alu instid0(VALU_DEP_1) | instskip(NEXT) | instid1(VALU_DEP_1)
	v_subrev_nc_u32_e32 v6, 28, v0
	v_lshlrev_b64_e32 v[16:17], v6, v[24:25]
	v_sub_nc_u32_e32 v6, 29, v0
	s_delay_alu instid0(VALU_DEP_2)
	v_and_b32_e32 v0, 7, v16
; %bb.759:                              ;   in Loop: Header=BB279_15 Depth=1
	s_or_b32 exec_lo, exec_lo, s19
	s_delay_alu instid0(VALU_DEP_1) | instskip(NEXT) | instid1(VALU_DEP_3)
	v_dual_lshlrev_b32 v8, 8, v5 :: v_dual_lshlrev_b32 v0, 7, v0
	v_lshl_add_u32 v6, v6, 10, 0x2000
	s_delay_alu instid0(VALU_DEP_2) | instskip(NEXT) | instid1(VALU_DEP_2)
	v_and_b32_e32 v8, 0x8000, v8
	v_and_b32_e32 v6, 0xfc00, v6
	s_delay_alu instid0(VALU_DEP_1)
	v_or3_b32 v93, v8, v6, v0
.LBB279_760:                            ;   in Loop: Header=BB279_15 Depth=1
	s_or_b32 exec_lo, exec_lo, s18
.LBB279_761:                            ;   in Loop: Header=BB279_15 Depth=1
	s_delay_alu instid0(SALU_CYCLE_1)
	s_or_b32 exec_lo, exec_lo, s17
.LBB279_762:                            ;   in Loop: Header=BB279_15 Depth=1
	s_delay_alu instid0(SALU_CYCLE_1)
	s_or_b32 exec_lo, exec_lo, s16
	v_lshrrev_b16 v24, 8, v24
	v_dual_mov_b32 v0, 0 :: v_dual_mov_b32 v27, 0
	s_mov_b32 s16, exec_lo
	scratch_store_b32 off, v0, s32 offset:236 ; 4-byte Folded Spill
	s_wait_xcnt 0x0
	v_cmpx_ne_u16_e32 0, v24
	s_cbranch_execz .LBB279_770
; %bb.763:                              ;   in Loop: Header=BB279_15 Depth=1
	v_bfrev_b32_e32 v27, 1
	s_mov_b32 s17, exec_lo
	v_cmpx_ne_u16_e32 0x80, v24
	s_cbranch_execz .LBB279_769
; %bb.764:                              ;   in Loop: Header=BB279_15 Depth=1
	v_and_b32_e32 v0, 0xffff, v24
	v_mov_b32_e32 v27, 0x7c010000
	s_mov_b32 s18, exec_lo
	s_delay_alu instid0(VALU_DEP_2) | instskip(NEXT) | instid1(VALU_DEP_1)
	v_and_b32_e32 v13, 0x7f, v0
	v_cmpx_ne_u32_e32 0x7f, v13
	s_cbranch_execz .LBB279_768
; %bb.765:                              ;   in Loop: Header=BB279_15 Depth=1
	v_dual_lshrrev_b32 v8, 3, v13 :: v_dual_bitop2_b32 v6, 7, v0 bitop3:0x40
	s_mov_b32 s19, exec_lo
	v_cmpx_gt_u32_e32 8, v13
; %bb.766:                              ;   in Loop: Header=BB279_15 Depth=1
	s_delay_alu instid0(VALU_DEP_2) | instskip(NEXT) | instid1(VALU_DEP_1)
	v_clz_i32_u32_e32 v6, v6
	v_min_u32_e32 v6, 32, v6
	s_delay_alu instid0(VALU_DEP_1) | instskip(NEXT) | instid1(VALU_DEP_1)
	v_subrev_nc_u32_e32 v8, 28, v6
	v_lshlrev_b64_e32 v[16:17], v8, v[24:25]
	s_delay_alu instid0(VALU_DEP_1)
	v_dual_sub_nc_u32 v8, 29, v6 :: v_dual_bitop2_b32 v6, 7, v16 bitop3:0x40
; %bb.767:                              ;   in Loop: Header=BB279_15 Depth=1
	s_or_b32 exec_lo, exec_lo, s19
	s_delay_alu instid0(VALU_DEP_1) | instskip(NEXT) | instid1(VALU_DEP_2)
	v_dual_lshlrev_b32 v0, 8, v0 :: v_dual_lshlrev_b32 v6, 23, v6
	v_lshl_add_u32 v8, v8, 10, 0x2000
	s_delay_alu instid0(VALU_DEP_1) | instskip(NEXT) | instid1(VALU_DEP_1)
	v_and_or_b32 v0, 0x8000, v0, v8
	v_lshl_or_b32 v27, v0, 16, v6
.LBB279_768:                            ;   in Loop: Header=BB279_15 Depth=1
	s_or_b32 exec_lo, exec_lo, s18
.LBB279_769:                            ;   in Loop: Header=BB279_15 Depth=1
	s_delay_alu instid0(SALU_CYCLE_1)
	s_or_b32 exec_lo, exec_lo, s17
.LBB279_770:                            ;   in Loop: Header=BB279_15 Depth=1
	s_delay_alu instid0(SALU_CYCLE_1) | instskip(SKIP_2) | instid1(VALU_DEP_1)
	s_or_b32 exec_lo, exec_lo, s16
	v_lshrrev_b32_e32 v0, 16, v5
	s_mov_b32 s16, exec_lo
	v_and_b32_e32 v6, 0xff, v0
	s_delay_alu instid0(VALU_DEP_1)
	v_cmpx_ne_u16_e32 0, v6
	s_cbranch_execz .LBB279_778
; %bb.771:                              ;   in Loop: Header=BB279_15 Depth=1
	v_cmp_ne_u16_e64 s1, 0x80, v6
	v_mov_b32_e32 v6, 0x8000
	scratch_store_b32 off, v6, s32 offset:236 ; 4-byte Folded Spill
	s_wait_xcnt 0x0
	s_and_saveexec_b32 s17, s1
	s_cbranch_execz .LBB279_777
; %bb.772:                              ;   in Loop: Header=BB279_15 Depth=1
	v_bfe_u32 v13, v5, 16, 7
	v_mov_b32_e32 v6, 0x7c01
	s_mov_b32 s18, exec_lo
	scratch_store_b32 off, v6, s32 offset:236 ; 4-byte Folded Spill
	s_wait_xcnt 0x0
	v_cmpx_ne_u32_e32 0x7f, v13
	s_cbranch_execz .LBB279_776
; %bb.773:                              ;   in Loop: Header=BB279_15 Depth=1
	v_dual_lshrrev_b32 v8, 3, v13 :: v_dual_bitop2_b32 v6, 7, v0 bitop3:0x40
	s_mov_b32 s19, exec_lo
	v_cmpx_gt_u32_e32 8, v13
; %bb.774:                              ;   in Loop: Header=BB279_15 Depth=1
	s_delay_alu instid0(VALU_DEP_2) | instskip(NEXT) | instid1(VALU_DEP_1)
	v_clz_i32_u32_e32 v6, v6
	v_min_u32_e32 v6, 32, v6
	s_delay_alu instid0(VALU_DEP_1) | instskip(NEXT) | instid1(VALU_DEP_1)
	v_subrev_nc_u32_e32 v8, 28, v6
	v_lshlrev_b64_e32 v[16:17], v8, v[0:1]
	s_delay_alu instid0(VALU_DEP_1)
	v_dual_sub_nc_u32 v8, 29, v6 :: v_dual_bitop2_b32 v6, 7, v16 bitop3:0x40
; %bb.775:                              ;   in Loop: Header=BB279_15 Depth=1
	s_or_b32 exec_lo, exec_lo, s19
	s_delay_alu instid0(VALU_DEP_1) | instskip(NEXT) | instid1(VALU_DEP_2)
	v_dual_lshlrev_b32 v0, 8, v0 :: v_dual_lshlrev_b32 v6, 7, v6
	v_lshl_add_u32 v8, v8, 10, 0x2000
	s_delay_alu instid0(VALU_DEP_2) | instskip(NEXT) | instid1(VALU_DEP_2)
	v_and_b32_e32 v0, 0x8000, v0
	v_and_b32_e32 v8, 0xfc00, v8
	s_delay_alu instid0(VALU_DEP_1)
	v_or3_b32 v0, v0, v8, v6
	scratch_store_b32 off, v0, s32 offset:236 ; 4-byte Folded Spill
.LBB279_776:                            ;   in Loop: Header=BB279_15 Depth=1
	s_wait_xcnt 0x0
	s_or_b32 exec_lo, exec_lo, s18
.LBB279_777:                            ;   in Loop: Header=BB279_15 Depth=1
	s_delay_alu instid0(SALU_CYCLE_1)
	s_or_b32 exec_lo, exec_lo, s17
.LBB279_778:                            ;   in Loop: Header=BB279_15 Depth=1
	s_delay_alu instid0(SALU_CYCLE_1)
	s_or_b32 exec_lo, exec_lo, s16
	v_dual_mov_b32 v0, 0 :: v_dual_mov_b32 v14, 0
	s_mov_b32 s16, exec_lo
	scratch_store_b32 off, v0, s32 offset:240 ; 4-byte Folded Spill
	s_wait_xcnt 0x0
	v_cmpx_lt_u64_e64 s[8:9], v[4:5]
	s_cbranch_execz .LBB279_786
; %bb.779:                              ;   in Loop: Header=BB279_15 Depth=1
	v_lshrrev_b32_e32 v24, 24, v5
	v_bfrev_b32_e32 v14, 1
	s_mov_b32 s17, exec_lo
	s_delay_alu instid0(VALU_DEP_2)
	v_cmpx_ne_u32_e32 0x80, v24
	s_cbranch_execz .LBB279_785
; %bb.780:                              ;   in Loop: Header=BB279_15 Depth=1
	v_and_b32_e32 v5, 0x7f, v24
	v_mov_b32_e32 v14, 0x7c010000
	s_mov_b32 s18, exec_lo
	s_delay_alu instid0(VALU_DEP_2)
	v_cmpx_ne_u32_e32 0x7f, v5
	s_cbranch_execz .LBB279_784
; %bb.781:                              ;   in Loop: Header=BB279_15 Depth=1
	v_dual_lshrrev_b32 v4, 3, v5 :: v_dual_bitop2_b32 v0, 7, v24 bitop3:0x40
	s_mov_b32 s19, exec_lo
	v_cmpx_gt_u32_e32 8, v5
; %bb.782:                              ;   in Loop: Header=BB279_15 Depth=1
	s_delay_alu instid0(VALU_DEP_2) | instskip(NEXT) | instid1(VALU_DEP_1)
	v_clz_i32_u32_e32 v0, v0
	v_min_u32_e32 v0, 32, v0
	s_delay_alu instid0(VALU_DEP_1) | instskip(NEXT) | instid1(VALU_DEP_1)
	v_subrev_nc_u32_e32 v4, 28, v0
	v_lshlrev_b64_e32 v[16:17], v4, v[24:25]
	v_sub_nc_u32_e32 v4, 29, v0
	s_delay_alu instid0(VALU_DEP_2)
	v_and_b32_e32 v0, 7, v16
; %bb.783:                              ;   in Loop: Header=BB279_15 Depth=1
	s_or_b32 exec_lo, exec_lo, s19
	v_lshlrev_b32_e32 v5, 8, v24
	s_delay_alu instid0(VALU_DEP_3) | instskip(NEXT) | instid1(VALU_DEP_3)
	v_lshl_add_u32 v4, v4, 10, 0x2000
	v_lshlrev_b32_e32 v0, 23, v0
	s_delay_alu instid0(VALU_DEP_2) | instskip(NEXT) | instid1(VALU_DEP_1)
	v_and_or_b32 v4, 0x8000, v5, v4
	v_lshl_or_b32 v14, v4, 16, v0
.LBB279_784:                            ;   in Loop: Header=BB279_15 Depth=1
	s_or_b32 exec_lo, exec_lo, s18
.LBB279_785:                            ;   in Loop: Header=BB279_15 Depth=1
	s_delay_alu instid0(SALU_CYCLE_1)
	s_or_b32 exec_lo, exec_lo, s17
.LBB279_786:                            ;   in Loop: Header=BB279_15 Depth=1
	s_delay_alu instid0(SALU_CYCLE_1)
	s_or_b32 exec_lo, exec_lo, s16
	flat_load_b64 v[4:5], v[2:3] offset:3072
	s_mov_b32 s16, exec_lo
	s_wait_loadcnt_dscnt 0x0
	v_and_b32_e32 v0, 0xff, v4
	s_wait_xcnt 0x0
	s_delay_alu instid0(VALU_DEP_1)
	v_cmpx_ne_u16_e32 0, v0
	s_cbranch_execz .LBB279_794
; %bb.787:                              ;   in Loop: Header=BB279_15 Depth=1
	v_cmp_ne_u16_e64 s1, 0x80, v0
	v_mov_b32_e32 v0, 0x8000
	scratch_store_b32 off, v0, s32 offset:240 ; 4-byte Folded Spill
	s_wait_xcnt 0x0
	s_and_saveexec_b32 s17, s1
	s_cbranch_execz .LBB279_793
; %bb.788:                              ;   in Loop: Header=BB279_15 Depth=1
	v_and_b32_e32 v8, 0x7f, v4
	v_mov_b32_e32 v0, 0x7c01
	s_mov_b32 s18, exec_lo
	scratch_store_b32 off, v0, s32 offset:240 ; 4-byte Folded Spill
	s_wait_xcnt 0x0
	v_cmpx_ne_u32_e32 0x7f, v8
	s_cbranch_execz .LBB279_792
; %bb.789:                              ;   in Loop: Header=BB279_15 Depth=1
	v_and_b32_e32 v0, 7, v4
	v_lshrrev_b32_e32 v6, 3, v8
	s_mov_b32 s19, exec_lo
	v_cmpx_gt_u32_e32 8, v8
; %bb.790:                              ;   in Loop: Header=BB279_15 Depth=1
	s_delay_alu instid0(VALU_DEP_3) | instskip(NEXT) | instid1(VALU_DEP_1)
	v_clz_i32_u32_e32 v0, v0
	v_min_u32_e32 v0, 32, v0
	s_delay_alu instid0(VALU_DEP_1) | instskip(NEXT) | instid1(VALU_DEP_1)
	v_subrev_nc_u32_e32 v6, 28, v0
	v_lshlrev_b64_e32 v[16:17], v6, v[4:5]
	v_sub_nc_u32_e32 v6, 29, v0
	s_delay_alu instid0(VALU_DEP_2)
	v_and_b32_e32 v0, 7, v16
; %bb.791:                              ;   in Loop: Header=BB279_15 Depth=1
	s_or_b32 exec_lo, exec_lo, s19
	v_lshlrev_b32_e32 v8, 8, v4
	s_delay_alu instid0(VALU_DEP_3) | instskip(NEXT) | instid1(VALU_DEP_3)
	v_lshl_add_u32 v6, v6, 10, 0x2000
	v_lshlrev_b32_e32 v0, 7, v0
	s_delay_alu instid0(VALU_DEP_3) | instskip(NEXT) | instid1(VALU_DEP_3)
	v_and_b32_e32 v8, 0x8000, v8
	v_and_b32_e32 v6, 0xfc00, v6
	s_delay_alu instid0(VALU_DEP_1)
	v_or3_b32 v0, v8, v6, v0
	scratch_store_b32 off, v0, s32 offset:240 ; 4-byte Folded Spill
.LBB279_792:                            ;   in Loop: Header=BB279_15 Depth=1
	s_wait_xcnt 0x0
	s_or_b32 exec_lo, exec_lo, s18
.LBB279_793:                            ;   in Loop: Header=BB279_15 Depth=1
	s_delay_alu instid0(SALU_CYCLE_1)
	s_or_b32 exec_lo, exec_lo, s17
.LBB279_794:                            ;   in Loop: Header=BB279_15 Depth=1
	s_delay_alu instid0(SALU_CYCLE_1)
	s_or_b32 exec_lo, exec_lo, s16
	v_lshrrev_b16 v24, 8, v4
	v_dual_mov_b32 v0, 0 :: v_dual_mov_b32 v22, 0
	s_mov_b32 s16, exec_lo
	scratch_store_b32 off, v0, s32 offset:244 ; 4-byte Folded Spill
	s_wait_xcnt 0x0
	v_cmpx_ne_u16_e32 0, v24
	s_cbranch_execz .LBB279_802
; %bb.795:                              ;   in Loop: Header=BB279_15 Depth=1
	v_bfrev_b32_e32 v22, 1
	s_mov_b32 s17, exec_lo
	v_cmpx_ne_u16_e32 0x80, v24
	s_cbranch_execz .LBB279_801
; %bb.796:                              ;   in Loop: Header=BB279_15 Depth=1
	v_and_b32_e32 v0, 0xffff, v24
	v_mov_b32_e32 v22, 0x7c010000
	s_mov_b32 s18, exec_lo
	s_delay_alu instid0(VALU_DEP_2) | instskip(NEXT) | instid1(VALU_DEP_1)
	v_and_b32_e32 v13, 0x7f, v0
	v_cmpx_ne_u32_e32 0x7f, v13
	s_cbranch_execz .LBB279_800
; %bb.797:                              ;   in Loop: Header=BB279_15 Depth=1
	v_dual_lshrrev_b32 v8, 3, v13 :: v_dual_bitop2_b32 v6, 7, v0 bitop3:0x40
	s_mov_b32 s19, exec_lo
	v_cmpx_gt_u32_e32 8, v13
; %bb.798:                              ;   in Loop: Header=BB279_15 Depth=1
	s_delay_alu instid0(VALU_DEP_2) | instskip(NEXT) | instid1(VALU_DEP_1)
	v_clz_i32_u32_e32 v6, v6
	v_min_u32_e32 v6, 32, v6
	s_delay_alu instid0(VALU_DEP_1) | instskip(NEXT) | instid1(VALU_DEP_1)
	v_subrev_nc_u32_e32 v8, 28, v6
	v_lshlrev_b64_e32 v[16:17], v8, v[24:25]
	s_delay_alu instid0(VALU_DEP_1)
	v_dual_sub_nc_u32 v8, 29, v6 :: v_dual_bitop2_b32 v6, 7, v16 bitop3:0x40
; %bb.799:                              ;   in Loop: Header=BB279_15 Depth=1
	s_or_b32 exec_lo, exec_lo, s19
	s_delay_alu instid0(VALU_DEP_1) | instskip(NEXT) | instid1(VALU_DEP_2)
	v_dual_lshlrev_b32 v0, 8, v0 :: v_dual_lshlrev_b32 v6, 23, v6
	v_lshl_add_u32 v8, v8, 10, 0x2000
	s_delay_alu instid0(VALU_DEP_1) | instskip(NEXT) | instid1(VALU_DEP_1)
	v_and_or_b32 v0, 0x8000, v0, v8
	v_lshl_or_b32 v22, v0, 16, v6
.LBB279_800:                            ;   in Loop: Header=BB279_15 Depth=1
	s_or_b32 exec_lo, exec_lo, s18
.LBB279_801:                            ;   in Loop: Header=BB279_15 Depth=1
	s_delay_alu instid0(SALU_CYCLE_1)
	s_or_b32 exec_lo, exec_lo, s17
.LBB279_802:                            ;   in Loop: Header=BB279_15 Depth=1
	s_delay_alu instid0(SALU_CYCLE_1) | instskip(SKIP_2) | instid1(VALU_DEP_1)
	s_or_b32 exec_lo, exec_lo, s16
	v_lshrrev_b32_e32 v0, 16, v4
	s_mov_b32 s16, exec_lo
	v_and_b32_e32 v6, 0xff, v0
	s_delay_alu instid0(VALU_DEP_1)
	v_cmpx_ne_u16_e32 0, v6
	s_cbranch_execz .LBB279_810
; %bb.803:                              ;   in Loop: Header=BB279_15 Depth=1
	v_cmp_ne_u16_e64 s1, 0x80, v6
	v_mov_b32_e32 v6, 0x8000
	scratch_store_b32 off, v6, s32 offset:244 ; 4-byte Folded Spill
	s_wait_xcnt 0x0
	s_and_saveexec_b32 s17, s1
	s_cbranch_execz .LBB279_809
; %bb.804:                              ;   in Loop: Header=BB279_15 Depth=1
	v_bfe_u32 v13, v4, 16, 7
	v_mov_b32_e32 v6, 0x7c01
	s_mov_b32 s18, exec_lo
	scratch_store_b32 off, v6, s32 offset:244 ; 4-byte Folded Spill
	s_wait_xcnt 0x0
	v_cmpx_ne_u32_e32 0x7f, v13
	s_cbranch_execz .LBB279_808
; %bb.805:                              ;   in Loop: Header=BB279_15 Depth=1
	v_dual_lshrrev_b32 v8, 3, v13 :: v_dual_bitop2_b32 v6, 7, v0 bitop3:0x40
	s_mov_b32 s19, exec_lo
	v_cmpx_gt_u32_e32 8, v13
; %bb.806:                              ;   in Loop: Header=BB279_15 Depth=1
	s_delay_alu instid0(VALU_DEP_2) | instskip(NEXT) | instid1(VALU_DEP_1)
	v_clz_i32_u32_e32 v6, v6
	v_min_u32_e32 v6, 32, v6
	s_delay_alu instid0(VALU_DEP_1) | instskip(NEXT) | instid1(VALU_DEP_1)
	v_subrev_nc_u32_e32 v8, 28, v6
	v_lshlrev_b64_e32 v[16:17], v8, v[0:1]
	s_delay_alu instid0(VALU_DEP_1)
	v_dual_sub_nc_u32 v8, 29, v6 :: v_dual_bitop2_b32 v6, 7, v16 bitop3:0x40
; %bb.807:                              ;   in Loop: Header=BB279_15 Depth=1
	s_or_b32 exec_lo, exec_lo, s19
	s_delay_alu instid0(VALU_DEP_1) | instskip(NEXT) | instid1(VALU_DEP_2)
	v_dual_lshlrev_b32 v0, 8, v0 :: v_dual_lshlrev_b32 v6, 7, v6
	v_lshl_add_u32 v8, v8, 10, 0x2000
	s_delay_alu instid0(VALU_DEP_2) | instskip(NEXT) | instid1(VALU_DEP_2)
	v_and_b32_e32 v0, 0x8000, v0
	v_and_b32_e32 v8, 0xfc00, v8
	s_delay_alu instid0(VALU_DEP_1)
	v_or3_b32 v0, v0, v8, v6
	scratch_store_b32 off, v0, s32 offset:244 ; 4-byte Folded Spill
.LBB279_808:                            ;   in Loop: Header=BB279_15 Depth=1
	s_wait_xcnt 0x0
	s_or_b32 exec_lo, exec_lo, s18
.LBB279_809:                            ;   in Loop: Header=BB279_15 Depth=1
	s_delay_alu instid0(SALU_CYCLE_1)
	s_or_b32 exec_lo, exec_lo, s17
.LBB279_810:                            ;   in Loop: Header=BB279_15 Depth=1
	s_delay_alu instid0(SALU_CYCLE_1)
	s_or_b32 exec_lo, exec_lo, s16
	v_dual_mov_b32 v0, 0 :: v_dual_mov_b32 v26, 0
	s_mov_b32 s16, exec_lo
	scratch_store_b32 off, v0, s32 offset:248 ; 4-byte Folded Spill
	s_wait_xcnt 0x0
	v_cmpx_lt_u32_e32 0xffffff, v4
	s_cbranch_execz .LBB279_818
; %bb.811:                              ;   in Loop: Header=BB279_15 Depth=1
	v_lshrrev_b32_e32 v24, 24, v4
	v_bfrev_b32_e32 v26, 1
	s_mov_b32 s17, exec_lo
	s_delay_alu instid0(VALU_DEP_2)
	v_cmpx_ne_u32_e32 0x80, v24
	s_cbranch_execz .LBB279_817
; %bb.812:                              ;   in Loop: Header=BB279_15 Depth=1
	v_and_b32_e32 v8, 0x7f, v24
	v_mov_b32_e32 v26, 0x7c010000
	s_mov_b32 s18, exec_lo
	s_delay_alu instid0(VALU_DEP_2)
	v_cmpx_ne_u32_e32 0x7f, v8
	s_cbranch_execz .LBB279_816
; %bb.813:                              ;   in Loop: Header=BB279_15 Depth=1
	v_and_b32_e32 v0, 7, v24
	v_lshrrev_b32_e32 v6, 3, v8
	s_mov_b32 s19, exec_lo
	v_cmpx_gt_u32_e32 8, v8
; %bb.814:                              ;   in Loop: Header=BB279_15 Depth=1
	s_delay_alu instid0(VALU_DEP_3) | instskip(NEXT) | instid1(VALU_DEP_1)
	v_clz_i32_u32_e32 v0, v0
	v_min_u32_e32 v0, 32, v0
	s_delay_alu instid0(VALU_DEP_1) | instskip(NEXT) | instid1(VALU_DEP_1)
	v_subrev_nc_u32_e32 v6, 28, v0
	v_lshlrev_b64_e32 v[16:17], v6, v[24:25]
	v_sub_nc_u32_e32 v6, 29, v0
	s_delay_alu instid0(VALU_DEP_2)
	v_and_b32_e32 v0, 7, v16
; %bb.815:                              ;   in Loop: Header=BB279_15 Depth=1
	s_or_b32 exec_lo, exec_lo, s19
	v_lshlrev_b32_e32 v8, 8, v24
	s_delay_alu instid0(VALU_DEP_3) | instskip(NEXT) | instid1(VALU_DEP_3)
	v_lshl_add_u32 v6, v6, 10, 0x2000
	v_lshlrev_b32_e32 v0, 23, v0
	s_delay_alu instid0(VALU_DEP_2) | instskip(NEXT) | instid1(VALU_DEP_1)
	v_and_or_b32 v6, 0x8000, v8, v6
	v_lshl_or_b32 v26, v6, 16, v0
.LBB279_816:                            ;   in Loop: Header=BB279_15 Depth=1
	s_or_b32 exec_lo, exec_lo, s18
.LBB279_817:                            ;   in Loop: Header=BB279_15 Depth=1
	s_delay_alu instid0(SALU_CYCLE_1)
	s_or_b32 exec_lo, exec_lo, s17
.LBB279_818:                            ;   in Loop: Header=BB279_15 Depth=1
	s_delay_alu instid0(SALU_CYCLE_1) | instskip(SKIP_3) | instid1(VALU_DEP_2)
	s_or_b32 exec_lo, exec_lo, s16
	v_and_b32_e32 v0, 0xff, v5
	v_mov_b32_e32 v24, v5
	s_mov_b32 s16, exec_lo
	v_cmpx_ne_u16_e32 0, v0
	s_cbranch_execz .LBB279_826
; %bb.819:                              ;   in Loop: Header=BB279_15 Depth=1
	v_cmp_ne_u16_e64 s1, 0x80, v0
	v_mov_b32_e32 v0, 0x8000
	scratch_store_b32 off, v0, s32 offset:248 ; 4-byte Folded Spill
	s_wait_xcnt 0x0
	s_and_saveexec_b32 s17, s1
	s_cbranch_execz .LBB279_825
; %bb.820:                              ;   in Loop: Header=BB279_15 Depth=1
	v_and_b32_e32 v8, 0x7f, v5
	v_mov_b32_e32 v0, 0x7c01
	s_mov_b32 s18, exec_lo
	scratch_store_b32 off, v0, s32 offset:248 ; 4-byte Folded Spill
	s_wait_xcnt 0x0
	v_cmpx_ne_u32_e32 0x7f, v8
	s_cbranch_execz .LBB279_824
; %bb.821:                              ;   in Loop: Header=BB279_15 Depth=1
	v_dual_lshrrev_b32 v6, 3, v8 :: v_dual_bitop2_b32 v0, 7, v5 bitop3:0x40
	s_mov_b32 s19, exec_lo
	v_cmpx_gt_u32_e32 8, v8
; %bb.822:                              ;   in Loop: Header=BB279_15 Depth=1
	s_delay_alu instid0(VALU_DEP_2) | instskip(NEXT) | instid1(VALU_DEP_1)
	v_clz_i32_u32_e32 v0, v0
	v_min_u32_e32 v0, 32, v0
	s_delay_alu instid0(VALU_DEP_1) | instskip(NEXT) | instid1(VALU_DEP_1)
	v_subrev_nc_u32_e32 v6, 28, v0
	v_lshlrev_b64_e32 v[16:17], v6, v[24:25]
	v_sub_nc_u32_e32 v6, 29, v0
	s_delay_alu instid0(VALU_DEP_2)
	v_and_b32_e32 v0, 7, v16
; %bb.823:                              ;   in Loop: Header=BB279_15 Depth=1
	s_or_b32 exec_lo, exec_lo, s19
	s_delay_alu instid0(VALU_DEP_1) | instskip(NEXT) | instid1(VALU_DEP_3)
	v_dual_lshlrev_b32 v8, 8, v5 :: v_dual_lshlrev_b32 v0, 7, v0
	v_lshl_add_u32 v6, v6, 10, 0x2000
	s_delay_alu instid0(VALU_DEP_2) | instskip(NEXT) | instid1(VALU_DEP_2)
	v_and_b32_e32 v8, 0x8000, v8
	v_and_b32_e32 v6, 0xfc00, v6
	s_delay_alu instid0(VALU_DEP_1)
	v_or3_b32 v0, v8, v6, v0
	scratch_store_b32 off, v0, s32 offset:248 ; 4-byte Folded Spill
.LBB279_824:                            ;   in Loop: Header=BB279_15 Depth=1
	s_wait_xcnt 0x0
	s_or_b32 exec_lo, exec_lo, s18
.LBB279_825:                            ;   in Loop: Header=BB279_15 Depth=1
	s_delay_alu instid0(SALU_CYCLE_1)
	s_or_b32 exec_lo, exec_lo, s17
.LBB279_826:                            ;   in Loop: Header=BB279_15 Depth=1
	s_delay_alu instid0(SALU_CYCLE_1) | instskip(SKIP_3) | instid1(VALU_DEP_2)
	s_or_b32 exec_lo, exec_lo, s16
	v_lshrrev_b16 v24, 8, v24
	v_dual_mov_b32 v16, 0 :: v_dual_mov_b32 v6, 0
	s_mov_b32 s16, exec_lo
	v_cmpx_ne_u16_e32 0, v24
	s_cbranch_execz .LBB279_834
; %bb.827:                              ;   in Loop: Header=BB279_15 Depth=1
	v_bfrev_b32_e32 v6, 1
	s_mov_b32 s17, exec_lo
	v_cmpx_ne_u16_e32 0x80, v24
	s_cbranch_execz .LBB279_833
; %bb.828:                              ;   in Loop: Header=BB279_15 Depth=1
	v_and_b32_e32 v0, 0xffff, v24
	v_mov_b32_e32 v6, 0x7c010000
	s_mov_b32 s18, exec_lo
	s_delay_alu instid0(VALU_DEP_2) | instskip(NEXT) | instid1(VALU_DEP_1)
	v_and_b32_e32 v13, 0x7f, v0
	v_cmpx_ne_u32_e32 0x7f, v13
	s_cbranch_execz .LBB279_832
; %bb.829:                              ;   in Loop: Header=BB279_15 Depth=1
	v_dual_lshrrev_b32 v8, 3, v13 :: v_dual_bitop2_b32 v6, 7, v0 bitop3:0x40
	s_mov_b32 s19, exec_lo
	v_cmpx_gt_u32_e32 8, v13
; %bb.830:                              ;   in Loop: Header=BB279_15 Depth=1
	s_delay_alu instid0(VALU_DEP_2) | instskip(NEXT) | instid1(VALU_DEP_1)
	v_clz_i32_u32_e32 v6, v6
	v_min_u32_e32 v6, 32, v6
	s_delay_alu instid0(VALU_DEP_1) | instskip(NEXT) | instid1(VALU_DEP_1)
	v_subrev_nc_u32_e32 v8, 28, v6
	v_lshlrev_b64_e32 v[16:17], v8, v[24:25]
	s_delay_alu instid0(VALU_DEP_1)
	v_dual_sub_nc_u32 v8, 29, v6 :: v_dual_bitop2_b32 v6, 7, v16 bitop3:0x40
	v_mov_b32_e32 v16, 0
; %bb.831:                              ;   in Loop: Header=BB279_15 Depth=1
	s_or_b32 exec_lo, exec_lo, s19
	s_delay_alu instid0(VALU_DEP_2) | instskip(NEXT) | instid1(VALU_DEP_3)
	v_dual_lshlrev_b32 v0, 8, v0 :: v_dual_lshlrev_b32 v6, 23, v6
	v_lshl_add_u32 v8, v8, 10, 0x2000
	s_delay_alu instid0(VALU_DEP_1) | instskip(NEXT) | instid1(VALU_DEP_1)
	v_and_or_b32 v0, 0x8000, v0, v8
	v_lshl_or_b32 v6, v0, 16, v6
.LBB279_832:                            ;   in Loop: Header=BB279_15 Depth=1
	s_or_b32 exec_lo, exec_lo, s18
.LBB279_833:                            ;   in Loop: Header=BB279_15 Depth=1
	s_delay_alu instid0(SALU_CYCLE_1)
	s_or_b32 exec_lo, exec_lo, s17
.LBB279_834:                            ;   in Loop: Header=BB279_15 Depth=1
	s_delay_alu instid0(SALU_CYCLE_1) | instskip(SKIP_2) | instid1(VALU_DEP_1)
	s_or_b32 exec_lo, exec_lo, s16
	v_lshrrev_b32_e32 v0, 16, v5
	s_mov_b32 s16, exec_lo
	v_and_b32_e32 v8, 0xff, v0
	s_delay_alu instid0(VALU_DEP_1)
	v_cmpx_ne_u16_e32 0, v8
	s_cbranch_execz .LBB279_842
; %bb.835:                              ;   in Loop: Header=BB279_15 Depth=1
	v_mov_b32_e32 v16, 0x8000
	s_mov_b32 s17, exec_lo
	v_cmpx_ne_u16_e32 0x80, v8
	s_cbranch_execz .LBB279_841
; %bb.836:                              ;   in Loop: Header=BB279_15 Depth=1
	v_bfe_u32 v18, v5, 16, 7
	v_mov_b32_e32 v16, 0x7c01
	s_mov_b32 s18, exec_lo
	s_delay_alu instid0(VALU_DEP_2)
	v_cmpx_ne_u32_e32 0x7f, v18
	s_cbranch_execz .LBB279_840
; %bb.837:                              ;   in Loop: Header=BB279_15 Depth=1
	v_dual_lshrrev_b32 v13, 3, v18 :: v_dual_bitop2_b32 v8, 7, v0 bitop3:0x40
	s_mov_b32 s19, exec_lo
	v_cmpx_gt_u32_e32 8, v18
; %bb.838:                              ;   in Loop: Header=BB279_15 Depth=1
	s_delay_alu instid0(VALU_DEP_2) | instskip(NEXT) | instid1(VALU_DEP_1)
	v_clz_i32_u32_e32 v8, v8
	v_min_u32_e32 v8, 32, v8
	s_delay_alu instid0(VALU_DEP_1) | instskip(NEXT) | instid1(VALU_DEP_1)
	v_subrev_nc_u32_e32 v13, 28, v8
	v_lshlrev_b64_e32 v[16:17], v13, v[0:1]
	v_sub_nc_u32_e32 v13, 29, v8
	s_delay_alu instid0(VALU_DEP_2)
	v_and_b32_e32 v8, 7, v16
; %bb.839:                              ;   in Loop: Header=BB279_15 Depth=1
	s_or_b32 exec_lo, exec_lo, s19
	v_lshlrev_b32_e32 v0, 8, v0
	s_delay_alu instid0(VALU_DEP_3) | instskip(NEXT) | instid1(VALU_DEP_3)
	v_lshl_add_u32 v13, v13, 10, 0x2000
	v_lshlrev_b32_e32 v8, 7, v8
	s_delay_alu instid0(VALU_DEP_3) | instskip(NEXT) | instid1(VALU_DEP_3)
	v_and_b32_e32 v0, 0x8000, v0
	v_and_b32_e32 v13, 0xfc00, v13
	s_delay_alu instid0(VALU_DEP_1)
	v_or3_b32 v16, v0, v13, v8
.LBB279_840:                            ;   in Loop: Header=BB279_15 Depth=1
	s_or_b32 exec_lo, exec_lo, s18
.LBB279_841:                            ;   in Loop: Header=BB279_15 Depth=1
	s_delay_alu instid0(SALU_CYCLE_1)
	s_or_b32 exec_lo, exec_lo, s17
.LBB279_842:                            ;   in Loop: Header=BB279_15 Depth=1
	s_delay_alu instid0(SALU_CYCLE_1)
	s_or_b32 exec_lo, exec_lo, s16
	scratch_store_b32 off, v16, s32 offset:304 ; 4-byte Folded Spill
	s_wait_xcnt 0x0
	v_dual_mov_b32 v16, 0 :: v_dual_mov_b32 v13, 0
	s_mov_b32 s16, exec_lo
	v_cmpx_lt_u64_e64 s[8:9], v[4:5]
	s_cbranch_execz .LBB279_850
; %bb.843:                              ;   in Loop: Header=BB279_15 Depth=1
	v_lshrrev_b32_e32 v24, 24, v5
	v_bfrev_b32_e32 v13, 1
	s_mov_b32 s17, exec_lo
	s_delay_alu instid0(VALU_DEP_2)
	v_cmpx_ne_u32_e32 0x80, v24
	s_cbranch_execz .LBB279_849
; %bb.844:                              ;   in Loop: Header=BB279_15 Depth=1
	v_and_b32_e32 v5, 0x7f, v24
	v_mov_b32_e32 v13, 0x7c010000
	s_mov_b32 s18, exec_lo
	s_delay_alu instid0(VALU_DEP_2)
	v_cmpx_ne_u32_e32 0x7f, v5
	s_cbranch_execz .LBB279_848
; %bb.845:                              ;   in Loop: Header=BB279_15 Depth=1
	v_dual_lshrrev_b32 v4, 3, v5 :: v_dual_bitop2_b32 v0, 7, v24 bitop3:0x40
	s_mov_b32 s19, exec_lo
	v_cmpx_gt_u32_e32 8, v5
; %bb.846:                              ;   in Loop: Header=BB279_15 Depth=1
	s_delay_alu instid0(VALU_DEP_2) | instskip(NEXT) | instid1(VALU_DEP_1)
	v_clz_i32_u32_e32 v0, v0
	v_min_u32_e32 v0, 32, v0
	s_delay_alu instid0(VALU_DEP_1) | instskip(NEXT) | instid1(VALU_DEP_1)
	v_subrev_nc_u32_e32 v4, 28, v0
	v_lshlrev_b64_e32 v[16:17], v4, v[24:25]
	v_sub_nc_u32_e32 v4, 29, v0
	s_delay_alu instid0(VALU_DEP_2)
	v_dual_mov_b32 v16, 0 :: v_dual_bitop2_b32 v0, 7, v16 bitop3:0x40
; %bb.847:                              ;   in Loop: Header=BB279_15 Depth=1
	s_or_b32 exec_lo, exec_lo, s19
	v_lshlrev_b32_e32 v5, 8, v24
	s_delay_alu instid0(VALU_DEP_3) | instskip(NEXT) | instid1(VALU_DEP_3)
	v_lshl_add_u32 v4, v4, 10, 0x2000
	v_lshlrev_b32_e32 v0, 23, v0
	s_delay_alu instid0(VALU_DEP_2) | instskip(NEXT) | instid1(VALU_DEP_1)
	v_and_or_b32 v4, 0x8000, v5, v4
	v_lshl_or_b32 v13, v4, 16, v0
.LBB279_848:                            ;   in Loop: Header=BB279_15 Depth=1
	s_or_b32 exec_lo, exec_lo, s18
.LBB279_849:                            ;   in Loop: Header=BB279_15 Depth=1
	s_delay_alu instid0(SALU_CYCLE_1)
	s_or_b32 exec_lo, exec_lo, s17
.LBB279_850:                            ;   in Loop: Header=BB279_15 Depth=1
	s_delay_alu instid0(SALU_CYCLE_1)
	s_or_b32 exec_lo, exec_lo, s16
	flat_load_b64 v[2:3], v[2:3] offset:3080
	s_mov_b32 s16, exec_lo
	s_wait_loadcnt_dscnt 0x0
	v_and_b32_e32 v0, 0xff, v2
	s_wait_xcnt 0x0
	s_delay_alu instid0(VALU_DEP_1)
	v_cmpx_ne_u16_e32 0, v0
	s_cbranch_execz .LBB279_858
; %bb.851:                              ;   in Loop: Header=BB279_15 Depth=1
	v_mov_b32_e32 v16, 0x8000
	s_mov_b32 s17, exec_lo
	v_cmpx_ne_u16_e32 0x80, v0
	s_cbranch_execz .LBB279_857
; %bb.852:                              ;   in Loop: Header=BB279_15 Depth=1
	v_and_b32_e32 v5, 0x7f, v2
	v_mov_b32_e32 v16, 0x7c01
	s_mov_b32 s18, exec_lo
	s_delay_alu instid0(VALU_DEP_2)
	v_cmpx_ne_u32_e32 0x7f, v5
	s_cbranch_execz .LBB279_856
; %bb.853:                              ;   in Loop: Header=BB279_15 Depth=1
	v_dual_lshrrev_b32 v4, 3, v5 :: v_dual_bitop2_b32 v0, 7, v2 bitop3:0x40
	s_mov_b32 s19, exec_lo
	v_cmpx_gt_u32_e32 8, v5
; %bb.854:                              ;   in Loop: Header=BB279_15 Depth=1
	s_delay_alu instid0(VALU_DEP_2) | instskip(NEXT) | instid1(VALU_DEP_1)
	v_clz_i32_u32_e32 v0, v0
	v_min_u32_e32 v0, 32, v0
	s_delay_alu instid0(VALU_DEP_1) | instskip(NEXT) | instid1(VALU_DEP_1)
	v_subrev_nc_u32_e32 v4, 28, v0
	v_lshlrev_b64_e32 v[16:17], v4, v[2:3]
	v_sub_nc_u32_e32 v4, 29, v0
	s_delay_alu instid0(VALU_DEP_2)
	v_and_b32_e32 v0, 7, v16
; %bb.855:                              ;   in Loop: Header=BB279_15 Depth=1
	s_or_b32 exec_lo, exec_lo, s19
	s_delay_alu instid0(VALU_DEP_1) | instskip(NEXT) | instid1(VALU_DEP_3)
	v_dual_lshlrev_b32 v5, 8, v2 :: v_dual_lshlrev_b32 v0, 7, v0
	v_lshl_add_u32 v4, v4, 10, 0x2000
	s_delay_alu instid0(VALU_DEP_2) | instskip(NEXT) | instid1(VALU_DEP_2)
	v_and_b32_e32 v5, 0x8000, v5
	v_and_b32_e32 v4, 0xfc00, v4
	s_delay_alu instid0(VALU_DEP_1)
	v_or3_b32 v16, v5, v4, v0
.LBB279_856:                            ;   in Loop: Header=BB279_15 Depth=1
	s_or_b32 exec_lo, exec_lo, s18
.LBB279_857:                            ;   in Loop: Header=BB279_15 Depth=1
	s_delay_alu instid0(SALU_CYCLE_1)
	s_or_b32 exec_lo, exec_lo, s17
.LBB279_858:                            ;   in Loop: Header=BB279_15 Depth=1
	s_delay_alu instid0(SALU_CYCLE_1) | instskip(SKIP_3) | instid1(VALU_DEP_2)
	s_or_b32 exec_lo, exec_lo, s16
	v_lshrrev_b16 v24, 8, v2
	v_dual_mov_b32 v18, 0 :: v_dual_mov_b32 v34, 0
	s_mov_b32 s16, exec_lo
	v_cmpx_ne_u16_e32 0, v24
	s_cbranch_execz .LBB279_866
; %bb.859:                              ;   in Loop: Header=BB279_15 Depth=1
	v_bfrev_b32_e32 v34, 1
	s_mov_b32 s17, exec_lo
	v_cmpx_ne_u16_e32 0x80, v24
	s_cbranch_execz .LBB279_865
; %bb.860:                              ;   in Loop: Header=BB279_15 Depth=1
	v_and_b32_e32 v0, 0xffff, v24
	v_mov_b32_e32 v34, 0x7c010000
	s_mov_b32 s18, exec_lo
	s_delay_alu instid0(VALU_DEP_2) | instskip(NEXT) | instid1(VALU_DEP_1)
	v_and_b32_e32 v8, 0x7f, v0
	v_cmpx_ne_u32_e32 0x7f, v8
	s_cbranch_execz .LBB279_864
; %bb.861:                              ;   in Loop: Header=BB279_15 Depth=1
	v_and_b32_e32 v4, 7, v0
	v_lshrrev_b32_e32 v5, 3, v8
	s_mov_b32 s19, exec_lo
	v_cmpx_gt_u32_e32 8, v8
; %bb.862:                              ;   in Loop: Header=BB279_15 Depth=1
	s_delay_alu instid0(VALU_DEP_3) | instskip(NEXT) | instid1(VALU_DEP_1)
	v_clz_i32_u32_e32 v4, v4
	v_min_u32_e32 v8, 32, v4
	s_delay_alu instid0(VALU_DEP_1) | instskip(NEXT) | instid1(VALU_DEP_1)
	v_subrev_nc_u32_e32 v4, 28, v8
	v_lshlrev_b64_e32 v[4:5], v4, v[24:25]
	v_sub_nc_u32_e32 v5, 29, v8
	s_delay_alu instid0(VALU_DEP_2)
	v_and_b32_e32 v4, 7, v4
; %bb.863:                              ;   in Loop: Header=BB279_15 Depth=1
	s_or_b32 exec_lo, exec_lo, s19
	v_lshlrev_b32_e32 v0, 8, v0
	s_delay_alu instid0(VALU_DEP_3) | instskip(NEXT) | instid1(VALU_DEP_3)
	v_lshl_add_u32 v5, v5, 10, 0x2000
	v_lshlrev_b32_e32 v4, 23, v4
	s_delay_alu instid0(VALU_DEP_2) | instskip(NEXT) | instid1(VALU_DEP_1)
	v_and_or_b32 v0, 0x8000, v0, v5
	v_lshl_or_b32 v34, v0, 16, v4
.LBB279_864:                            ;   in Loop: Header=BB279_15 Depth=1
	s_or_b32 exec_lo, exec_lo, s18
.LBB279_865:                            ;   in Loop: Header=BB279_15 Depth=1
	s_delay_alu instid0(SALU_CYCLE_1)
	s_or_b32 exec_lo, exec_lo, s17
.LBB279_866:                            ;   in Loop: Header=BB279_15 Depth=1
	s_delay_alu instid0(SALU_CYCLE_1) | instskip(SKIP_2) | instid1(VALU_DEP_1)
	s_or_b32 exec_lo, exec_lo, s16
	v_lshrrev_b32_e32 v0, 16, v2
	s_mov_b32 s16, exec_lo
	v_and_b32_e32 v4, 0xff, v0
	s_delay_alu instid0(VALU_DEP_1)
	v_cmpx_ne_u16_e32 0, v4
	s_cbranch_execz .LBB279_874
; %bb.867:                              ;   in Loop: Header=BB279_15 Depth=1
	v_mov_b32_e32 v18, 0x8000
	s_mov_b32 s17, exec_lo
	v_cmpx_ne_u16_e32 0x80, v4
	s_cbranch_execz .LBB279_873
; %bb.868:                              ;   in Loop: Header=BB279_15 Depth=1
	v_bfe_u32 v8, v2, 16, 7
	v_mov_b32_e32 v18, 0x7c01
	s_mov_b32 s18, exec_lo
	s_delay_alu instid0(VALU_DEP_2)
	v_cmpx_ne_u32_e32 0x7f, v8
	s_cbranch_execz .LBB279_872
; %bb.869:                              ;   in Loop: Header=BB279_15 Depth=1
	v_and_b32_e32 v4, 7, v0
	v_lshrrev_b32_e32 v5, 3, v8
	s_mov_b32 s19, exec_lo
	v_cmpx_gt_u32_e32 8, v8
; %bb.870:                              ;   in Loop: Header=BB279_15 Depth=1
	s_delay_alu instid0(VALU_DEP_3) | instskip(NEXT) | instid1(VALU_DEP_1)
	v_clz_i32_u32_e32 v4, v4
	v_min_u32_e32 v8, 32, v4
	s_delay_alu instid0(VALU_DEP_1) | instskip(NEXT) | instid1(VALU_DEP_1)
	v_subrev_nc_u32_e32 v4, 28, v8
	v_lshlrev_b64_e32 v[4:5], v4, v[0:1]
	v_sub_nc_u32_e32 v5, 29, v8
	s_delay_alu instid0(VALU_DEP_2)
	v_and_b32_e32 v4, 7, v4
; %bb.871:                              ;   in Loop: Header=BB279_15 Depth=1
	s_or_b32 exec_lo, exec_lo, s19
	v_lshlrev_b32_e32 v0, 8, v0
	s_delay_alu instid0(VALU_DEP_3) | instskip(NEXT) | instid1(VALU_DEP_3)
	v_lshl_add_u32 v5, v5, 10, 0x2000
	v_lshlrev_b32_e32 v4, 7, v4
	s_delay_alu instid0(VALU_DEP_3) | instskip(NEXT) | instid1(VALU_DEP_3)
	v_and_b32_e32 v0, 0x8000, v0
	v_and_b32_e32 v5, 0xfc00, v5
	s_delay_alu instid0(VALU_DEP_1)
	v_or3_b32 v18, v0, v5, v4
.LBB279_872:                            ;   in Loop: Header=BB279_15 Depth=1
	s_or_b32 exec_lo, exec_lo, s18
.LBB279_873:                            ;   in Loop: Header=BB279_15 Depth=1
	s_delay_alu instid0(SALU_CYCLE_1)
	s_or_b32 exec_lo, exec_lo, s17
.LBB279_874:                            ;   in Loop: Header=BB279_15 Depth=1
	s_delay_alu instid0(SALU_CYCLE_1)
	s_or_b32 exec_lo, exec_lo, s16
	v_dual_mov_b32 v30, 0 :: v_dual_mov_b32 v35, 0
	s_mov_b32 s16, exec_lo
	v_cmpx_lt_u32_e32 0xffffff, v2
	s_cbranch_execz .LBB279_882
; %bb.875:                              ;   in Loop: Header=BB279_15 Depth=1
	v_lshrrev_b32_e32 v24, 24, v2
	v_bfrev_b32_e32 v35, 1
	s_mov_b32 s17, exec_lo
	s_delay_alu instid0(VALU_DEP_2)
	v_cmpx_ne_u32_e32 0x80, v24
	s_cbranch_execz .LBB279_881
; %bb.876:                              ;   in Loop: Header=BB279_15 Depth=1
	v_and_b32_e32 v5, 0x7f, v24
	v_mov_b32_e32 v35, 0x7c010000
	s_mov_b32 s18, exec_lo
	s_delay_alu instid0(VALU_DEP_2)
	v_cmpx_ne_u32_e32 0x7f, v5
	s_cbranch_execz .LBB279_880
; %bb.877:                              ;   in Loop: Header=BB279_15 Depth=1
	v_dual_lshrrev_b32 v4, 3, v5 :: v_dual_bitop2_b32 v0, 7, v24 bitop3:0x40
	s_mov_b32 s19, exec_lo
	v_cmpx_gt_u32_e32 8, v5
	s_cbranch_execz .LBB279_879
; %bb.878:                              ;   in Loop: Header=BB279_15 Depth=1
	s_delay_alu instid0(VALU_DEP_2) | instskip(NEXT) | instid1(VALU_DEP_1)
	v_clz_i32_u32_e32 v0, v0
	v_min_u32_e32 v0, 32, v0
	v_mov_b32_e32 v5, v16
	s_delay_alu instid0(VALU_DEP_2) | instskip(NEXT) | instid1(VALU_DEP_1)
	v_subrev_nc_u32_e32 v4, 28, v0
	v_lshlrev_b64_e32 v[16:17], v4, v[24:25]
	v_sub_nc_u32_e32 v4, 29, v0
	s_delay_alu instid0(VALU_DEP_2)
	v_dual_mov_b32 v16, v5 :: v_dual_bitop2_b32 v0, 7, v16 bitop3:0x40
.LBB279_879:                            ;   in Loop: Header=BB279_15 Depth=1
	s_or_b32 exec_lo, exec_lo, s19
	v_lshlrev_b32_e32 v5, 8, v24
	s_delay_alu instid0(VALU_DEP_3) | instskip(NEXT) | instid1(VALU_DEP_3)
	v_lshl_add_u32 v4, v4, 10, 0x2000
	v_lshlrev_b32_e32 v0, 23, v0
	s_delay_alu instid0(VALU_DEP_2) | instskip(NEXT) | instid1(VALU_DEP_1)
	v_and_or_b32 v4, 0x8000, v5, v4
	v_lshl_or_b32 v35, v4, 16, v0
.LBB279_880:                            ;   in Loop: Header=BB279_15 Depth=1
	s_or_b32 exec_lo, exec_lo, s18
.LBB279_881:                            ;   in Loop: Header=BB279_15 Depth=1
	s_delay_alu instid0(SALU_CYCLE_1)
	s_or_b32 exec_lo, exec_lo, s17
.LBB279_882:                            ;   in Loop: Header=BB279_15 Depth=1
	s_delay_alu instid0(SALU_CYCLE_1) | instskip(SKIP_3) | instid1(VALU_DEP_2)
	s_or_b32 exec_lo, exec_lo, s16
	v_and_b32_e32 v0, 0xff, v3
	v_mov_b32_e32 v24, v3
	s_mov_b32 s16, exec_lo
	v_cmpx_ne_u16_e32 0, v0
	s_cbranch_execz .LBB279_890
; %bb.883:                              ;   in Loop: Header=BB279_15 Depth=1
	v_mov_b32_e32 v30, 0x8000
	s_mov_b32 s17, exec_lo
	v_cmpx_ne_u16_e32 0x80, v0
	s_cbranch_execz .LBB279_889
; %bb.884:                              ;   in Loop: Header=BB279_15 Depth=1
	v_and_b32_e32 v5, 0x7f, v3
	v_mov_b32_e32 v30, 0x7c01
	s_mov_b32 s18, exec_lo
	s_delay_alu instid0(VALU_DEP_2)
	v_cmpx_ne_u32_e32 0x7f, v5
	s_cbranch_execz .LBB279_888
; %bb.885:                              ;   in Loop: Header=BB279_15 Depth=1
	v_dual_lshrrev_b32 v4, 3, v5 :: v_dual_bitop2_b32 v0, 7, v3 bitop3:0x40
	s_mov_b32 s19, exec_lo
	v_cmpx_gt_u32_e32 8, v5
	s_cbranch_execz .LBB279_887
; %bb.886:                              ;   in Loop: Header=BB279_15 Depth=1
	s_delay_alu instid0(VALU_DEP_2) | instskip(NEXT) | instid1(VALU_DEP_1)
	v_clz_i32_u32_e32 v0, v0
	v_min_u32_e32 v0, 32, v0
	v_mov_b32_e32 v5, v16
	s_delay_alu instid0(VALU_DEP_2) | instskip(NEXT) | instid1(VALU_DEP_1)
	v_subrev_nc_u32_e32 v4, 28, v0
	v_lshlrev_b64_e32 v[16:17], v4, v[24:25]
	v_sub_nc_u32_e32 v4, 29, v0
	s_delay_alu instid0(VALU_DEP_2)
	v_dual_mov_b32 v16, v5 :: v_dual_bitop2_b32 v0, 7, v16 bitop3:0x40
.LBB279_887:                            ;   in Loop: Header=BB279_15 Depth=1
	s_or_b32 exec_lo, exec_lo, s19
	s_delay_alu instid0(VALU_DEP_1) | instskip(NEXT) | instid1(VALU_DEP_3)
	v_dual_lshlrev_b32 v5, 8, v3 :: v_dual_lshlrev_b32 v0, 7, v0
	v_lshl_add_u32 v4, v4, 10, 0x2000
	s_delay_alu instid0(VALU_DEP_2) | instskip(NEXT) | instid1(VALU_DEP_2)
	v_and_b32_e32 v5, 0x8000, v5
	v_and_b32_e32 v4, 0xfc00, v4
	s_delay_alu instid0(VALU_DEP_1)
	v_or3_b32 v30, v5, v4, v0
.LBB279_888:                            ;   in Loop: Header=BB279_15 Depth=1
	s_or_b32 exec_lo, exec_lo, s18
.LBB279_889:                            ;   in Loop: Header=BB279_15 Depth=1
	s_delay_alu instid0(SALU_CYCLE_1)
	s_or_b32 exec_lo, exec_lo, s17
.LBB279_890:                            ;   in Loop: Header=BB279_15 Depth=1
	s_delay_alu instid0(SALU_CYCLE_1) | instskip(SKIP_3) | instid1(VALU_DEP_2)
	s_or_b32 exec_lo, exec_lo, s16
	v_lshrrev_b16 v24, 8, v24
	v_dual_mov_b32 v23, 0 :: v_dual_mov_b32 v19, 0
	s_mov_b32 s16, exec_lo
	v_cmpx_ne_u16_e32 0, v24
	s_cbranch_execz .LBB279_898
; %bb.891:                              ;   in Loop: Header=BB279_15 Depth=1
	v_bfrev_b32_e32 v19, 1
	s_mov_b32 s17, exec_lo
	v_cmpx_ne_u16_e32 0x80, v24
	s_cbranch_execz .LBB279_897
; %bb.892:                              ;   in Loop: Header=BB279_15 Depth=1
	v_and_b32_e32 v0, 0xffff, v24
	v_mov_b32_e32 v19, 0x7c010000
	s_mov_b32 s18, exec_lo
	s_delay_alu instid0(VALU_DEP_2) | instskip(NEXT) | instid1(VALU_DEP_1)
	v_and_b32_e32 v8, 0x7f, v0
	v_cmpx_ne_u32_e32 0x7f, v8
	s_cbranch_execz .LBB279_896
; %bb.893:                              ;   in Loop: Header=BB279_15 Depth=1
	v_and_b32_e32 v4, 7, v0
	v_lshrrev_b32_e32 v5, 3, v8
	s_mov_b32 s19, exec_lo
	v_cmpx_gt_u32_e32 8, v8
; %bb.894:                              ;   in Loop: Header=BB279_15 Depth=1
	s_delay_alu instid0(VALU_DEP_3) | instskip(NEXT) | instid1(VALU_DEP_1)
	v_clz_i32_u32_e32 v4, v4
	v_min_u32_e32 v8, 32, v4
	s_delay_alu instid0(VALU_DEP_1) | instskip(NEXT) | instid1(VALU_DEP_1)
	v_subrev_nc_u32_e32 v4, 28, v8
	v_lshlrev_b64_e32 v[4:5], v4, v[24:25]
	v_sub_nc_u32_e32 v5, 29, v8
	s_delay_alu instid0(VALU_DEP_2)
	v_and_b32_e32 v4, 7, v4
; %bb.895:                              ;   in Loop: Header=BB279_15 Depth=1
	s_or_b32 exec_lo, exec_lo, s19
	v_lshlrev_b32_e32 v0, 8, v0
	s_delay_alu instid0(VALU_DEP_3) | instskip(NEXT) | instid1(VALU_DEP_3)
	v_lshl_add_u32 v5, v5, 10, 0x2000
	v_lshlrev_b32_e32 v4, 23, v4
	s_delay_alu instid0(VALU_DEP_2) | instskip(NEXT) | instid1(VALU_DEP_1)
	v_and_or_b32 v0, 0x8000, v0, v5
	v_lshl_or_b32 v19, v0, 16, v4
.LBB279_896:                            ;   in Loop: Header=BB279_15 Depth=1
	s_or_b32 exec_lo, exec_lo, s18
.LBB279_897:                            ;   in Loop: Header=BB279_15 Depth=1
	s_delay_alu instid0(SALU_CYCLE_1)
	s_or_b32 exec_lo, exec_lo, s17
.LBB279_898:                            ;   in Loop: Header=BB279_15 Depth=1
	s_delay_alu instid0(SALU_CYCLE_1) | instskip(SKIP_2) | instid1(VALU_DEP_1)
	s_or_b32 exec_lo, exec_lo, s16
	v_lshrrev_b32_e32 v0, 16, v3
	s_mov_b32 s16, exec_lo
	v_and_b32_e32 v4, 0xff, v0
	s_delay_alu instid0(VALU_DEP_1)
	v_cmpx_ne_u16_e32 0, v4
	s_cbranch_execz .LBB279_906
; %bb.899:                              ;   in Loop: Header=BB279_15 Depth=1
	v_mov_b32_e32 v23, 0x8000
	s_mov_b32 s17, exec_lo
	v_cmpx_ne_u16_e32 0x80, v4
	s_cbranch_execz .LBB279_905
; %bb.900:                              ;   in Loop: Header=BB279_15 Depth=1
	v_bfe_u32 v8, v3, 16, 7
	v_mov_b32_e32 v23, 0x7c01
	s_mov_b32 s18, exec_lo
	s_delay_alu instid0(VALU_DEP_2)
	v_cmpx_ne_u32_e32 0x7f, v8
	s_cbranch_execz .LBB279_904
; %bb.901:                              ;   in Loop: Header=BB279_15 Depth=1
	v_and_b32_e32 v4, 7, v0
	v_lshrrev_b32_e32 v5, 3, v8
	s_mov_b32 s19, exec_lo
	v_cmpx_gt_u32_e32 8, v8
; %bb.902:                              ;   in Loop: Header=BB279_15 Depth=1
	s_delay_alu instid0(VALU_DEP_3) | instskip(NEXT) | instid1(VALU_DEP_1)
	v_clz_i32_u32_e32 v4, v4
	v_min_u32_e32 v8, 32, v4
	s_delay_alu instid0(VALU_DEP_1) | instskip(NEXT) | instid1(VALU_DEP_1)
	v_subrev_nc_u32_e32 v4, 28, v8
	v_lshlrev_b64_e32 v[4:5], v4, v[0:1]
	v_sub_nc_u32_e32 v5, 29, v8
	s_delay_alu instid0(VALU_DEP_2)
	v_and_b32_e32 v4, 7, v4
; %bb.903:                              ;   in Loop: Header=BB279_15 Depth=1
	s_or_b32 exec_lo, exec_lo, s19
	v_lshlrev_b32_e32 v0, 8, v0
	s_delay_alu instid0(VALU_DEP_3) | instskip(NEXT) | instid1(VALU_DEP_3)
	v_lshl_add_u32 v5, v5, 10, 0x2000
	v_lshlrev_b32_e32 v4, 7, v4
	s_delay_alu instid0(VALU_DEP_3) | instskip(NEXT) | instid1(VALU_DEP_3)
	v_and_b32_e32 v0, 0x8000, v0
	v_and_b32_e32 v5, 0xfc00, v5
	s_delay_alu instid0(VALU_DEP_1)
	v_or3_b32 v23, v0, v5, v4
.LBB279_904:                            ;   in Loop: Header=BB279_15 Depth=1
	s_or_b32 exec_lo, exec_lo, s18
.LBB279_905:                            ;   in Loop: Header=BB279_15 Depth=1
	s_delay_alu instid0(SALU_CYCLE_1)
	s_or_b32 exec_lo, exec_lo, s17
.LBB279_906:                            ;   in Loop: Header=BB279_15 Depth=1
	s_delay_alu instid0(SALU_CYCLE_1)
	s_or_b32 exec_lo, exec_lo, s16
	s_clause 0x7
	scratch_store_b32 off, v16, s32 offset:308
	scratch_store_b32 off, v93, s32 offset:300
	;; [unrolled: 1-line block ×8, first 2 shown]
	s_wait_xcnt 0x0
	v_dual_mov_b32 v20, v47 :: v_dual_mov_b32 v41, v45
	v_dual_mov_b32 v61, v42 :: v_dual_mov_b32 v60, v119
	;; [unrolled: 1-line block ×3, first 2 shown]
	s_mov_b32 s16, exec_lo
	scratch_store_b32 off, v21, s32 offset:272 ; 4-byte Folded Spill
	s_wait_xcnt 0x0
	v_cmpx_lt_u64_e64 s[8:9], v[2:3]
	s_cbranch_execz .LBB279_13
; %bb.907:                              ;   in Loop: Header=BB279_15 Depth=1
	v_lshrrev_b32_e32 v24, 24, v3
	v_bfrev_b32_e32 v8, 1
	s_mov_b32 s17, exec_lo
	s_delay_alu instid0(VALU_DEP_2)
	v_cmpx_ne_u32_e32 0x80, v24
	s_cbranch_execz .LBB279_12
; %bb.908:                              ;   in Loop: Header=BB279_15 Depth=1
	v_and_b32_e32 v3, 0x7f, v24
	v_mov_b32_e32 v8, 0x7c010000
	s_mov_b32 s18, exec_lo
	s_delay_alu instid0(VALU_DEP_2)
	v_cmpx_ne_u32_e32 0x7f, v3
	s_cbranch_execz .LBB279_11
; %bb.909:                              ;   in Loop: Header=BB279_15 Depth=1
	v_dual_lshrrev_b32 v2, 3, v3 :: v_dual_bitop2_b32 v0, 7, v24 bitop3:0x40
	s_mov_b32 s19, exec_lo
	v_cmpx_gt_u32_e32 8, v3
	s_cbranch_execz .LBB279_10
; %bb.910:                              ;   in Loop: Header=BB279_15 Depth=1
	s_delay_alu instid0(VALU_DEP_2) | instskip(NEXT) | instid1(VALU_DEP_1)
	v_clz_i32_u32_e32 v0, v0
	v_min_u32_e32 v0, 32, v0
	s_delay_alu instid0(VALU_DEP_1) | instskip(NEXT) | instid1(VALU_DEP_1)
	v_subrev_nc_u32_e32 v2, 28, v0
	v_lshlrev_b64_e32 v[4:5], v2, v[24:25]
	v_sub_nc_u32_e32 v2, 29, v0
	s_delay_alu instid0(VALU_DEP_2)
	v_and_b32_e32 v0, 7, v4
	s_branch .LBB279_10
.LBB279_911:
	s_or_b32 exec_lo, exec_lo, s15
	s_clause 0x1
	scratch_load_b32 v13, off, s32 offset:416
	scratch_load_b32 v7, off, s32 offset:420
.LBB279_912:
	s_wait_xcnt 0x0
	s_or_b32 exec_lo, exec_lo, s3
	v_mbcnt_lo_u32_b32 v0, -1, 0
	s_delay_alu instid0(VALU_DEP_1) | instskip(SKIP_1) | instid1(VALU_DEP_2)
	v_dual_max_num_f32 v4, v21, v21 :: v_dual_bitop2_b32 v1, 16, v0 bitop3:0x14
	v_xor_b32_e32 v3, 8, v0
	v_cmp_gt_i32_e32 vcc_lo, 32, v1
	v_cndmask_b32_e32 v1, v0, v1, vcc_lo
	s_delay_alu instid0(VALU_DEP_3) | instskip(NEXT) | instid1(VALU_DEP_2)
	v_cmp_gt_i32_e32 vcc_lo, 32, v3
	v_dual_lshlrev_b32 v1, 2, v1 :: v_dual_cndmask_b32 v3, v0, v3, vcc_lo
	ds_bpermute_b32 v2, v1, v21
	s_wait_dscnt 0x0
	v_dual_max_num_f32 v5, v2, v2 :: v_dual_lshlrev_b32 v2, 2, v3
	s_delay_alu instid0(VALU_DEP_1) | instskip(SKIP_4) | instid1(VALU_DEP_1)
	v_dual_max_num_f32 v4, v4, v5 :: v_dual_bitop2_b32 v5, 4, v0 bitop3:0x14
	ds_bpermute_b32 v3, v2, v4
	v_cmp_gt_i32_e32 vcc_lo, 32, v5
	s_wait_dscnt 0x0
	v_dual_cndmask_b32 v5, v0, v5 :: v_dual_max_num_f32 v6, v3, v3
	v_dual_max_num_f32 v4, v4, v6 :: v_dual_lshlrev_b32 v3, 2, v5
	ds_bpermute_b32 v5, v3, v4
	s_wait_dscnt 0x0
	v_dual_max_num_f32 v5, v5, v5 :: v_dual_bitop2_b32 v6, 2, v0 bitop3:0x14
	s_delay_alu instid0(VALU_DEP_1) | instskip(NEXT) | instid1(VALU_DEP_2)
	v_cmp_gt_i32_e32 vcc_lo, 32, v6
	v_max_num_f32_e32 v4, v4, v5
	v_cndmask_b32_e32 v6, v0, v6, vcc_lo
	s_delay_alu instid0(VALU_DEP_1) | instskip(SKIP_3) | instid1(VALU_DEP_1)
	v_lshlrev_b32_e32 v52, 2, v6
	ds_bpermute_b32 v5, v52, v4
	s_wait_dscnt 0x0
	v_dual_max_num_f32 v5, v5, v5 :: v_dual_bitop2_b32 v6, 1, v0 bitop3:0x14
	v_cmp_gt_i32_e32 vcc_lo, 32, v6
	v_cndmask_b32_e32 v6, v0, v6, vcc_lo
	s_delay_alu instid0(VALU_DEP_3)
	v_max_num_f32_e32 v0, v4, v5
	scratch_load_b32 v4, off, s32 offset:320 ; 4-byte Folded Reload
	s_wait_loadcnt 0x0
	v_cmp_eq_u32_e32 vcc_lo, 0, v4
	scratch_load_b32 v4, off, s32 offset:352 ; 4-byte Folded Reload
	s_wait_loadcnt 0x0
	v_dual_lshlrev_b32 v4, 2, v4 :: v_dual_lshlrev_b32 v51, 2, v6
	ds_bpermute_b32 v5, v51, v0
	s_wait_xcnt 0x0
	s_and_saveexec_b32 s1, vcc_lo
	s_cbranch_execz .LBB279_914
; %bb.913:
	s_wait_dscnt 0x0
	v_dual_max_num_f32 v5, v5, v5 :: v_dual_max_num_f32 v0, v0, v0
	s_delay_alu instid0(VALU_DEP_1)
	v_max_num_f32_e32 v0, v0, v5
	ds_store_b32 v4, v0 offset:224
.LBB279_914:
	s_or_b32 exec_lo, exec_lo, s1
	scratch_load_b32 v0, off, s32 offset:320 ; 4-byte Folded Reload
	s_wait_storecnt 0x0
	s_wait_loadcnt_dscnt 0x0
	s_barrier_signal -1
	s_barrier_wait -1
	v_cmp_gt_u32_e64 s1, 4, v0
	v_mov_b32_e32 v0, 0xff7fffff
	s_and_saveexec_b32 s2, s1
; %bb.915:
	ds_load_b32 v0, v7 offset:224
; %bb.916:
	s_or_b32 exec_lo, exec_lo, s2
	s_wait_dscnt 0x0
	ds_bpermute_b32 v5, v52, v0
	s_wait_dscnt 0x0
	v_dual_max_num_f32 v0, v0, v0 :: v_dual_max_num_f32 v5, v5, v5
	s_delay_alu instid0(VALU_DEP_1) | instskip(SKIP_3) | instid1(VALU_DEP_1)
	v_max_num_f32_e32 v0, v0, v5
	ds_bpermute_b32 v5, v51, v0
	s_wait_dscnt 0x0
	v_max_num_f32_e32 v5, v5, v5
	v_dual_max_num_f32 v0, v0, v5 :: v_dual_mov_b32 v5, 0
	ds_bpermute_b32 v6, v5, v0
	scratch_load_b32 v0, off, s32 offset:208 ; 4-byte Folded Reload
	s_wait_loadcnt 0x0
	v_lshlrev_b32_e32 v0, 5, v0
	s_delay_alu instid0(VALU_DEP_1) | instskip(NEXT) | instid1(VALU_DEP_1)
	v_min_i32_e32 v0, v0, v12
	v_cmp_lt_i32_e64 s2, v13, v0
	s_and_saveexec_b32 s8, s2
	s_cbranch_execz .LBB279_920
; %bb.917:
	s_load_b32 s3, s[6:7], 0x0
	v_dual_mov_b32 v10, v7 :: v_dual_mov_b32 v5, 0
	v_mov_b32_e32 v8, v13
	s_mov_b32 s9, 0
	s_wait_kmcnt 0x0
	v_lshl_add_u32 v7, v13, 2, s3
.LBB279_918:                            ; =>This Inner Loop Header: Depth=1
	ds_load_b32 v9, v7
	v_add_nc_u32_e32 v8, 0x80, v8
	s_delay_alu instid0(VALU_DEP_1) | instskip(SKIP_3) | instid1(VALU_DEP_1)
	v_cmp_ge_i32_e64 s3, v8, v0
	s_or_b32 s9, s3, s9
	s_wait_dscnt 0x0
	v_sub_f32_e32 v9, v9, v6
	v_mul_f32_e32 v9, 0x3fb8aa3b, v9
	s_delay_alu instid0(VALU_DEP_1)
	v_exp_f32_e32 v9, v9
	ds_store_b32 v7, v9
	v_nop
	v_add_f32_e32 v5, v5, v9
	v_add_nc_u32_e32 v7, 0x200, v7
	s_and_not1_b32 exec_lo, exec_lo, s9
	s_cbranch_execnz .LBB279_918
; %bb.919:
	s_or_b32 exec_lo, exec_lo, s9
	v_mov_b32_e32 v7, v10
.LBB279_920:
	s_or_b32 exec_lo, exec_lo, s8
	ds_bpermute_b32 v1, v1, v5
	s_wait_dscnt 0x0
	v_add_f32_e32 v1, v5, v1
	ds_bpermute_b32 v2, v2, v1
	s_wait_dscnt 0x0
	v_add_f32_e32 v1, v1, v2
	;; [unrolled: 3-line block ×5, first 2 shown]
	s_and_saveexec_b32 s3, vcc_lo
; %bb.921:
	ds_store_b32 v4, v1 offset:240
; %bb.922:
	s_or_b32 exec_lo, exec_lo, s3
	s_wait_dscnt 0x0
	s_barrier_signal -1
	s_barrier_wait -1
	s_and_saveexec_b32 s3, s1
; %bb.923:
	ds_load_b32 v1, v7 offset:240
; %bb.924:
	s_or_b32 exec_lo, exec_lo, s3
	s_wait_dscnt 0x0
	ds_bpermute_b32 v2, v52, v1
	s_wait_dscnt 0x0
	v_dual_mov_b32 v3, 0 :: v_dual_add_f32 v1, v1, v2
	ds_bpermute_b32 v2, v51, v1
	s_wait_dscnt 0x0
	v_add_f32_e32 v1, v1, v2
	ds_bpermute_b32 v1, v3, v1
	s_and_saveexec_b32 s1, s2
	s_cbranch_execz .LBB279_937
; %bb.925:
	s_wait_dscnt 0x0
	v_add_f32_e32 v1, 0x358637bd, v1
	s_mov_b32 s3, -1
	s_mov_b32 s2, exec_lo
	s_delay_alu instid0(VALU_DEP_1) | instskip(NEXT) | instid1(VALU_DEP_1)
	v_div_scale_f32 v2, null, v1, v1, 1.0
	v_rcp_f32_e32 v4, v2
	v_nop
	s_delay_alu instid0(TRANS32_DEP_1) | instskip(NEXT) | instid1(VALU_DEP_1)
	v_fma_f32 v5, -v2, v4, 1.0
	v_fmac_f32_e32 v4, v5, v4
	v_div_scale_f32 v6, vcc_lo, 1.0, v1, 1.0
	s_delay_alu instid0(VALU_DEP_1) | instskip(NEXT) | instid1(VALU_DEP_1)
	v_mul_f32_e32 v5, v6, v4
	v_fma_f32 v7, -v2, v5, v6
	s_delay_alu instid0(VALU_DEP_1) | instskip(NEXT) | instid1(VALU_DEP_1)
	v_fmac_f32_e32 v5, v7, v4
	v_fma_f32 v6, -v2, v5, v6
	v_xad_u32 v2, v13, -1, v0
	s_delay_alu instid0(VALU_DEP_2) | instskip(NEXT) | instid1(VALU_DEP_1)
	v_div_fmas_f32 v4, v6, v4, v5
	v_div_fixup_f32 v4, v4, v1, 1.0
	v_mov_b32_e32 v1, v13
	s_delay_alu instid0(VALU_DEP_4)
	v_cmpx_lt_u32_e32 0x7f, v2
	s_cbranch_execz .LBB279_934
; %bb.926:
	s_delay_alu instid0(VALU_DEP_3) | instskip(NEXT) | instid1(VALU_DEP_1)
	v_dual_lshrrev_b32 v1, 7, v2 :: v_dual_mov_b32 v5, v4
	v_dual_mov_b32 v8, 0 :: v_dual_add_nc_u32 v2, -1, v1
	s_delay_alu instid0(VALU_DEP_1) | instskip(SKIP_1) | instid1(VALU_DEP_2)
	v_lshrrev_b32_e32 v6, 1, v2
	v_cmp_lt_u32_e32 vcc_lo, 13, v2
	v_add_nc_u32_e32 v2, 1, v6
	s_and_saveexec_b32 s3, vcc_lo
	s_cbranch_execz .LBB279_930
; %bb.927:
	s_load_b32 s8, s[6:7], 0x0
	s_delay_alu instid0(VALU_DEP_1)
	v_and_b32_e32 v6, -8, v2
	s_mov_b32 s9, 0
	s_wait_kmcnt 0x0
	v_lshl_add_u32 v7, v13, 2, s8
	s_mov_b32 s8, 0
.LBB279_928:                            ; =>This Inner Loop Header: Depth=1
	ds_load_2addr_stride64_b32 v[8:9], v7 offset1:2
	ds_load_2addr_stride64_b32 v[10:11], v7 offset0:4 offset1:6
	ds_load_2addr_stride64_b32 v[14:15], v7 offset0:8 offset1:10
	;; [unrolled: 1-line block ×7, first 2 shown]
	s_add_co_i32 s9, s9, 16
	v_add_nc_u32_e32 v6, -8, v6
	s_wait_dscnt 0x7
	v_pk_mul_f32 v[8:9], v[4:5], v[8:9]
	s_wait_dscnt 0x6
	v_pk_mul_f32 v[10:11], v[4:5], v[10:11]
	;; [unrolled: 2-line block ×8, first 2 shown]
	ds_store_2addr_stride64_b32 v7, v8, v9 offset1:2
	ds_store_2addr_stride64_b32 v7, v10, v11 offset0:4 offset1:6
	ds_store_2addr_stride64_b32 v7, v14, v15 offset0:8 offset1:10
	;; [unrolled: 1-line block ×7, first 2 shown]
	v_mov_b32_e32 v8, s9
	v_cmp_eq_u32_e32 vcc_lo, 0, v6
	v_add_nc_u32_e32 v7, 0x2000, v7
	s_or_b32 s8, vcc_lo, s8
	s_delay_alu instid0(SALU_CYCLE_1)
	s_and_not1_b32 exec_lo, exec_lo, s8
	s_cbranch_execnz .LBB279_928
; %bb.929:
	s_or_b32 exec_lo, exec_lo, s8
.LBB279_930:
	s_delay_alu instid0(SALU_CYCLE_1) | instskip(NEXT) | instid1(VALU_DEP_1)
	s_or_b32 exec_lo, exec_lo, s3
	v_and_b32_e32 v2, 7, v2
	s_mov_b32 s8, 0
	s_mov_b32 s3, exec_lo
	s_delay_alu instid0(VALU_DEP_1)
	v_cmpx_ne_u32_e32 0, v2
	s_cbranch_execz .LBB279_933
; %bb.931:
	s_load_b32 s9, s[6:7], 0x0
	v_dual_lshlrev_b32 v6, 9, v8 :: v_dual_lshlrev_b32 v7, 2, v13
	s_wait_kmcnt 0x0
	s_delay_alu instid0(VALU_DEP_1)
	v_add3_u32 v6, v6, v7, s9
.LBB279_932:                            ; =>This Inner Loop Header: Depth=1
	ds_load_2addr_stride64_b32 v[8:9], v6 offset1:2
	v_add_nc_u32_e32 v2, -1, v2
	s_delay_alu instid0(VALU_DEP_1)
	v_cmp_eq_u32_e32 vcc_lo, 0, v2
	s_or_b32 s8, vcc_lo, s8
	s_wait_dscnt 0x0
	v_pk_mul_f32 v[8:9], v[4:5], v[8:9]
	ds_store_2addr_stride64_b32 v6, v8, v9 offset1:2
	v_add_nc_u32_e32 v6, 0x400, v6
	s_and_not1_b32 exec_lo, exec_lo, s8
	s_cbranch_execnz .LBB279_932
.LBB279_933:
	s_or_b32 exec_lo, exec_lo, s3
	v_add_nc_u32_e32 v1, 1, v1
	s_delay_alu instid0(VALU_DEP_1) | instskip(NEXT) | instid1(VALU_DEP_1)
	v_and_b32_e32 v2, 0x3fffffe, v1
	v_cmp_ne_u32_e32 vcc_lo, v1, v2
	v_lshl_add_u32 v1, v2, 7, v13
	s_or_not1_b32 s3, vcc_lo, exec_lo
.LBB279_934:
	s_or_b32 exec_lo, exec_lo, s2
	s_delay_alu instid0(SALU_CYCLE_1)
	s_and_b32 exec_lo, exec_lo, s3
	s_cbranch_execz .LBB279_937
; %bb.935:
	s_load_b32 s2, s[6:7], 0x0
	s_wait_kmcnt 0x0
	v_lshl_add_u32 v2, v1, 2, s2
	s_mov_b32 s2, 0
.LBB279_936:                            ; =>This Inner Loop Header: Depth=1
	ds_load_b32 v5, v2
	v_add_nc_u32_e32 v1, 0x80, v1
	s_delay_alu instid0(VALU_DEP_1)
	v_cmp_ge_i32_e32 vcc_lo, v1, v0
	s_or_b32 s2, vcc_lo, s2
	s_wait_dscnt 0x0
	v_mul_f32_e32 v5, v4, v5
	ds_store_b32 v2, v5
	v_add_nc_u32_e32 v2, 0x200, v2
	s_and_not1_b32 exec_lo, exec_lo, s2
	s_cbranch_execnz .LBB279_936
.LBB279_937:
	s_or_b32 exec_lo, exec_lo, s1
	v_dual_mov_b32 v47, v13 :: v_dual_bitop2_b32 v53, 3, v13 bitop3:0x40
	v_dual_mov_b32 v2, 0 :: v_dual_mov_b32 v5, 0
	v_dual_mov_b32 v4, 0 :: v_dual_mov_b32 v35, 0
	;; [unrolled: 1-line block ×6, first 2 shown]
	v_mov_b32_e32 v24, 0
	s_wait_dscnt 0x0
	s_barrier_signal -1
	s_barrier_wait -1
	s_and_saveexec_b32 s1, s0
	s_cbranch_execz .LBB279_1867
; %bb.938:
	s_clause 0x1
	scratch_load_b32 v0, off, s32 offset:356 th:TH_LOAD_LU
	scratch_load_b32 v1, off, s32 offset:388 th:TH_LOAD_LU
	v_dual_mov_b32 v7, 0 :: v_dual_mov_b32 v13, v12
	v_dual_mov_b32 v25, 0 :: v_dual_mov_b32 v30, 0
	;; [unrolled: 1-line block ×5, first 2 shown]
	v_mov_b32_e32 v35, 0
	s_mov_b64 s[2:3], 0xffffffffffffff
	s_mov_b32 s8, 0
	v_dual_lshlrev_b32 v3, 3, v47 :: v_dual_mov_b32 v15, v7
	v_mov_b32_e32 v24, 0
	s_delay_alu instid0(VALU_DEP_2) | instskip(SKIP_3) | instid1(VALU_DEP_1)
	v_and_b32_e32 v6, 0xf8, v3
	v_dual_mov_b32 v3, 0 :: v_dual_bitop2_b32 v65, 24, v3 bitop3:0x40
	s_wait_loadcnt 0x0
	v_max_i32_e32 v54, v0, v1
	v_cvt_f32_u32_e32 v0, v54
	s_delay_alu instid0(VALU_DEP_1)
	v_rcp_iflag_f32_e32 v2, v0
	s_clause 0x3
	scratch_load_b64 v[0:1], off, s32 offset:408 th:TH_LOAD_LU
	scratch_load_b64 v[4:5], off, s32 offset:380 th:TH_LOAD_LU
	scratch_load_b32 v10, off, s32 offset:352
	scratch_load_b64 v[56:57], off, s32 offset:400
	v_nop
	v_mul_f32_e32 v2, 0x4f7ffffe, v2
	s_delay_alu instid0(VALU_DEP_1)
	v_cvt_u32_f32_e32 v9, v2
	s_wait_loadcnt 0x2
	v_add_nc_u64_e32 v[0:1], v[0:1], v[4:5]
	scratch_load_b32 v4, off, s32 offset:208 ; 4-byte Folded Reload
	v_mov_b32_e32 v5, 0
	v_add_nc_u64_e32 v[26:27], v[0:1], v[6:7]
	scratch_load_b32 v0, off, s32 offset:376 th:TH_LOAD_LU ; 4-byte Folded Reload
	s_wait_loadcnt 0x0
	v_and_b32_e32 v6, 0x7c, v0
	scratch_load_b64 v[0:1], off, s32 offset:368 th:TH_LOAD_LU ; 8-byte Folded Reload
	v_dual_lshlrev_b32 v8, 5, v53 :: v_dual_add_nc_u32 v55, -1, v4
	v_dual_sub_nc_u32 v4, 0, v54 :: v_dual_mov_b32 v64, v10
	s_delay_alu instid0(VALU_DEP_2) | instskip(SKIP_3) | instid1(VALU_DEP_2)
	v_lshl_or_b32 v66, v10, 7, v8
	scratch_load_b64 v[10:11], off, s32 offset:360 th:TH_LOAD_LU ; 8-byte Folded Reload
	v_mul_lo_u32 v2, v4, v9
	v_mov_b32_e32 v4, 0
	v_mul_hi_u32 v14, v9, v2
	s_delay_alu instid0(VALU_DEP_1) | instskip(SKIP_3) | instid1(VALU_DEP_1)
	v_dual_mov_b32 v2, 0 :: v_dual_add_nc_u32 v14, v9, v14
	s_wait_loadcnt 0x1
	v_lshl_add_u64 v[0:1], v[0:1], 2, v[6:7]
	s_wait_loadcnt 0x0
	v_add_nc_u64_e32 v[10:11], v[10:11], v[0:1]
	s_branch .LBB279_941
.LBB279_939:                            ;   in Loop: Header=BB279_941 Depth=1
	s_or_b32 exec_lo, exec_lo, s0
	v_dual_add_f32 v8, v49, v50 :: v_dual_add_f32 v17, v43, v44
	v_add_f32_e32 v16, v45, v46
	v_add_f32_e32 v18, v41, v42
	;;#ASMSTART
	v_pk_mul_f16 v9, v87, v9;

	;;#ASMEND
	s_delay_alu instid0(VALU_DEP_3) | instskip(NEXT) | instid1(VALU_DEP_2)
	v_dual_add_f32 v2, v2, v8 :: v_dual_add_f32 v4, v4, v17
	v_dual_add_f32 v5, v5, v16 :: v_dual_add_f32 v35, v35, v18
	;; [unrolled: 1-line block ×4, first 2 shown]
	;;#ASMSTART
	v_pk_mul_f16 v6, v85, v6;

	;;#ASMEND
	;;#ASMSTART
	v_pk_mul_f16 v1, v84, v1;

	;;#ASMEND
	;; [unrolled: 4-line block ×3, first 2 shown]
	;;#ASMSTART
	v_pk_add_f16 v6, v9, v6;

	;;#ASMEND
	;;#ASMSTART
	v_pk_add_f16 v1, v6, v1;

	;;#ASMEND
	;; [unrolled: 4-line block ×3, first 2 shown]
	v_dual_add_f32 v19, v103, v112 :: v_dual_add_f32 v20, v20, v17
	v_dual_add_f32 v34, v34, v8 :: v_dual_add_f32 v33, v33, v18
	s_delay_alu instid0(VALU_DEP_2)
	v_dual_add_f32 v21, v21, v16 :: v_dual_add_f32 v32, v32, v19
	v_dual_add_f32 v8, v101, v102 :: v_dual_lshrrev_b32 v16, 16, v0
	v_and_b32_e32 v9, 0xffff, v0
	v_dual_add_f32 v0, v99, v100 :: v_dual_add_f32 v1, v97, v98
	;;#ASMSTART
	v_cvt_f32_f16 v9, v9;
	;;#ASMEND
	v_add_f32_e32 v6, v86, v96
	;;#ASMSTART
	v_cvt_f32_f16 v16, v16;
	;;#ASMEND
	s_delay_alu instid0(VALU_DEP_2) | instskip(NEXT) | instid1(VALU_DEP_2)
	v_dual_add_f32 v31, v31, v8 :: v_dual_add_f32 v25, v25, v1
	v_dual_add_f32 v9, v9, v16 :: v_dual_add_f32 v24, v24, v6
	s_delay_alu instid0(VALU_DEP_1)
	v_dual_add_f32 v30, v30, v0 :: v_dual_add_f32 v3, v3, v9
.LBB279_940:                            ;   in Loop: Header=BB279_941 Depth=1
	s_or_b32 exec_lo, exec_lo, s9
	scratch_load_b32 v0, off, s32 offset:208 ; 4-byte Folded Reload
	v_add_nc_u32_e32 v64, 4, v64
	v_add_nc_u64_e32 v[10:11], 16, v[10:11]
	v_add_nc_u32_e32 v56, 0x80, v56
	v_add_nc_u32_e32 v66, 0x200, v66
	s_wait_loadcnt 0x0
	v_cmp_ge_i32_e32 vcc_lo, v64, v0
	s_or_b32 s8, vcc_lo, s8
	s_delay_alu instid0(SALU_CYCLE_1)
	s_and_not1_b32 exec_lo, exec_lo, s8
	s_cbranch_execz .LBB279_1866
.LBB279_941:                            ; =>This Inner Loop Header: Depth=1
	scratch_load_b64 v[0:1], off, s32 offset:216 ; 8-byte Folded Reload
	v_mov_b32_e32 v57, v7
	s_delay_alu instid0(VALU_DEP_1) | instskip(NEXT) | instid1(VALU_DEP_1)
	v_mov_b64_e32 v[8:9], v[56:57]
	v_mov_b32_e32 v56, v8
	s_wait_loadcnt 0x0
	s_delay_alu instid0(VALU_DEP_2) | instskip(SKIP_4) | instid1(VALU_DEP_1)
	v_mul_u64_e32 v[0:1], v[8:9], v[0:1]
	scratch_load_b32 v9, off, s32 offset:212 ; 4-byte Folded Reload
	v_add_nc_u32_e32 v6, 1, v1
	s_wait_loadcnt 0x0
	v_mul_lo_u32 v0, v1, v9
	v_sub_nc_u32_e32 v0, v8, v0
	s_delay_alu instid0(VALU_DEP_1) | instskip(SKIP_1) | instid1(VALU_DEP_1)
	v_cmp_ge_u32_e32 vcc_lo, v0, v9
	v_dual_cndmask_b32 v1, v1, v6 :: v_dual_sub_nc_u32 v8, v0, v9
	v_dual_cndmask_b32 v0, v0, v8, vcc_lo :: v_dual_add_nc_u32 v6, 1, v1
	s_delay_alu instid0(VALU_DEP_1) | instskip(NEXT) | instid1(VALU_DEP_2)
	v_cmp_ge_u32_e32 vcc_lo, v0, v9
	v_cndmask_b32_e32 v0, v1, v6, vcc_lo
	scratch_load_b32 v1, off, s32 offset:224 ; 4-byte Folded Reload
	s_wait_loadcnt 0x0
	v_xor_b32_e32 v0, v0, v1
	s_delay_alu instid0(VALU_DEP_1) | instskip(SKIP_3) | instid1(VALU_DEP_1)
	v_sub_nc_u32_e32 v8, v0, v1
	scratch_load_b32 v0, off, s32 offset:228 ; 4-byte Folded Reload
	s_wait_loadcnt 0x0
	v_add_nc_u32_e32 v9, v8, v0
	v_sub_nc_u32_e32 v0, 0, v9
	s_delay_alu instid0(VALU_DEP_1) | instskip(NEXT) | instid1(VALU_DEP_1)
	v_max_i32_e32 v6, v9, v0
	v_mul_u64_e32 v[0:1], v[6:7], v[14:15]
	s_delay_alu instid0(VALU_DEP_1) | instskip(NEXT) | instid1(VALU_DEP_1)
	v_mul_lo_u32 v0, v1, v54
	v_dual_sub_nc_u32 v0, v6, v0 :: v_dual_ashrrev_i32 v6, 31, v9
	s_delay_alu instid0(VALU_DEP_1) | instskip(SKIP_1) | instid1(VALU_DEP_2)
	v_sub_nc_u32_e32 v1, v0, v54
	v_cmp_ge_u32_e32 vcc_lo, v0, v54
	v_cndmask_b32_e32 v0, v0, v1, vcc_lo
	s_delay_alu instid0(VALU_DEP_1) | instskip(SKIP_1) | instid1(VALU_DEP_2)
	v_sub_nc_u32_e32 v1, v0, v54
	v_cmp_ge_u32_e32 vcc_lo, v0, v54
	v_cndmask_b32_e32 v0, v0, v1, vcc_lo
	s_delay_alu instid0(VALU_DEP_1) | instskip(NEXT) | instid1(VALU_DEP_1)
	v_xor_b32_e32 v0, v0, v6
	v_sub_nc_u32_e32 v0, v0, v6
	s_delay_alu instid0(VALU_DEP_1) | instskip(SKIP_4) | instid1(SALU_CYCLE_1)
	v_cmp_eq_u32_e32 vcc_lo, 0, v0
	scratch_load_b32 v0, off, s32 offset:232 ; 4-byte Folded Reload
	s_wait_loadcnt 0x0
	v_cmp_gt_i32_e64 s0, v8, v0
	s_or_b32 s0, vcc_lo, s0
	s_and_saveexec_b32 s9, s0
	s_cbranch_execz .LBB279_940
; %bb.942:                              ;   in Loop: Header=BB279_941 Depth=1
	s_load_b32 s0, s[6:7], 0x0
	flat_load_b32 v0, v[10:11]
	s_wait_kmcnt 0x0
	v_add_nc_u32_e32 v1, s0, v66
	s_mov_b32 s0, exec_lo
	ds_load_2addr_b64 v[16:19], v1 offset1:1
	ds_load_2addr_b64 v[36:39], v1 offset0:2 offset1:3
	scratch_load_b64 v[8:9], off, s32 offset:252 ; 8-byte Folded Reload
	s_wait_dscnt 0x1
	;;#ASMSTART
	v_cvt_f16_f32 v85, v16;

	;;#ASMEND
	;;#ASMSTART
	v_cvt_f16_f32 v83, v17;

	;;#ASMEND
	;; [unrolled: 4-line block ×4, first 2 shown]
	s_wait_dscnt 0x0
	;;#ASMSTART
	v_cvt_f16_f32 v97, v36;

	;;#ASMEND
	;;#ASMSTART
	v_cvt_f16_f32 v86, v37;

	;;#ASMEND
	;; [unrolled: 4-line block ×4, first 2 shown]
	s_wait_loadcnt 0x0
	v_mad_nc_i64_i32 v[28:29], v0, v8, v[26:27]
	v_mov_b32_e32 v8, 0
	flat_load_b64 v[38:39], v[28:29]
	scratch_load_b64 v[0:1], off, s32 offset:192 ; 8-byte Folded Reload
	s_wait_loadcnt 0x0
	flat_load_b32 v36, v[0:1]
	s_wait_dscnt 0x1
	s_wait_xcnt 0x0
	v_and_b32_e32 v0, 0xff, v38
	v_mov_b32_e32 v1, 0
	s_delay_alu instid0(VALU_DEP_2)
	v_cmpx_ne_u16_e32 0, v0
	s_cbranch_execz .LBB279_950
; %bb.943:                              ;   in Loop: Header=BB279_941 Depth=1
	v_mov_b32_e32 v8, 0x8000
	s_mov_b32 s14, exec_lo
	v_cmpx_ne_u16_e32 0x80, v0
	s_cbranch_execz .LBB279_949
; %bb.944:                              ;   in Loop: Header=BB279_941 Depth=1
	v_and_b32_e32 v9, 0x7f, v38
	v_mov_b32_e32 v8, 0x7c01
	s_mov_b32 s15, exec_lo
	s_delay_alu instid0(VALU_DEP_2)
	v_cmpx_ne_u32_e32 0x7f, v9
	s_cbranch_execz .LBB279_948
; %bb.945:                              ;   in Loop: Header=BB279_941 Depth=1
	v_dual_lshrrev_b32 v6, 3, v9 :: v_dual_bitop2_b32 v0, 7, v38 bitop3:0x40
	s_mov_b32 s16, exec_lo
	v_cmpx_gt_u32_e32 8, v9
; %bb.946:                              ;   in Loop: Header=BB279_941 Depth=1
	s_delay_alu instid0(VALU_DEP_2) | instskip(NEXT) | instid1(VALU_DEP_1)
	v_clz_i32_u32_e32 v0, v0
	v_min_u32_e32 v0, 32, v0
	s_delay_alu instid0(VALU_DEP_1) | instskip(NEXT) | instid1(VALU_DEP_1)
	v_subrev_nc_u32_e32 v6, 28, v0
	v_lshlrev_b64_e32 v[8:9], v6, v[38:39]
	v_sub_nc_u32_e32 v6, 29, v0
	s_delay_alu instid0(VALU_DEP_2)
	v_and_b32_e32 v0, 7, v8
; %bb.947:                              ;   in Loop: Header=BB279_941 Depth=1
	s_or_b32 exec_lo, exec_lo, s16
	s_delay_alu instid0(VALU_DEP_1) | instskip(NEXT) | instid1(VALU_DEP_3)
	v_dual_lshlrev_b32 v8, 8, v38 :: v_dual_lshlrev_b32 v0, 7, v0
	v_lshl_add_u32 v6, v6, 10, 0x2000
	s_delay_alu instid0(VALU_DEP_2) | instskip(NEXT) | instid1(VALU_DEP_2)
	v_and_b32_e32 v8, 0x8000, v8
	v_and_b32_e32 v6, 0xfc00, v6
	s_delay_alu instid0(VALU_DEP_1)
	v_or3_b32 v8, v8, v6, v0
.LBB279_948:                            ;   in Loop: Header=BB279_941 Depth=1
	s_or_b32 exec_lo, exec_lo, s15
.LBB279_949:                            ;   in Loop: Header=BB279_941 Depth=1
	s_delay_alu instid0(SALU_CYCLE_1)
	s_or_b32 exec_lo, exec_lo, s14
.LBB279_950:                            ;   in Loop: Header=BB279_941 Depth=1
	s_delay_alu instid0(SALU_CYCLE_1) | instskip(SKIP_2) | instid1(VALU_DEP_1)
	s_or_b32 exec_lo, exec_lo, s0
	v_lshrrev_b16 v6, 8, v38
	s_mov_b32 s0, exec_lo
	v_cmpx_ne_u16_e32 0, v6
	s_cbranch_execz .LBB279_958
; %bb.951:                              ;   in Loop: Header=BB279_941 Depth=1
	v_bfrev_b32_e32 v1, 1
	s_mov_b32 s14, exec_lo
	v_cmpx_ne_u16_e32 0x80, v6
	s_cbranch_execz .LBB279_957
; %bb.952:                              ;   in Loop: Header=BB279_941 Depth=1
	v_and_b32_e32 v0, 0xffff, v6
	v_mov_b32_e32 v1, 0x7c010000
	s_mov_b32 s15, exec_lo
	s_delay_alu instid0(VALU_DEP_2) | instskip(NEXT) | instid1(VALU_DEP_1)
	v_and_b32_e32 v16, 0x7f, v0
	v_cmpx_ne_u32_e32 0x7f, v16
	s_cbranch_execz .LBB279_956
; %bb.953:                              ;   in Loop: Header=BB279_941 Depth=1
	v_and_b32_e32 v1, 7, v0
	v_lshrrev_b32_e32 v9, 3, v16
	s_mov_b32 s16, exec_lo
	v_cmpx_gt_u32_e32 8, v16
; %bb.954:                              ;   in Loop: Header=BB279_941 Depth=1
	s_delay_alu instid0(VALU_DEP_3) | instskip(NEXT) | instid1(VALU_DEP_1)
	v_clz_i32_u32_e32 v1, v1
	v_min_u32_e32 v1, 32, v1
	s_delay_alu instid0(VALU_DEP_1) | instskip(NEXT) | instid1(VALU_DEP_1)
	v_subrev_nc_u32_e32 v9, 28, v1
	v_lshlrev_b64_e32 v[16:17], v9, v[6:7]
	s_delay_alu instid0(VALU_DEP_1)
	v_dual_sub_nc_u32 v9, 29, v1 :: v_dual_bitop2_b32 v1, 7, v16 bitop3:0x40
; %bb.955:                              ;   in Loop: Header=BB279_941 Depth=1
	s_or_b32 exec_lo, exec_lo, s16
	s_delay_alu instid0(VALU_DEP_1) | instskip(NEXT) | instid1(VALU_DEP_2)
	v_dual_lshlrev_b32 v0, 8, v0 :: v_dual_lshlrev_b32 v1, 23, v1
	v_lshl_add_u32 v6, v9, 10, 0x2000
	s_delay_alu instid0(VALU_DEP_1) | instskip(NEXT) | instid1(VALU_DEP_1)
	v_and_or_b32 v0, 0x8000, v0, v6
	v_lshl_or_b32 v1, v0, 16, v1
.LBB279_956:                            ;   in Loop: Header=BB279_941 Depth=1
	s_or_b32 exec_lo, exec_lo, s15
.LBB279_957:                            ;   in Loop: Header=BB279_941 Depth=1
	s_delay_alu instid0(SALU_CYCLE_1)
	s_or_b32 exec_lo, exec_lo, s14
.LBB279_958:                            ;   in Loop: Header=BB279_941 Depth=1
	s_delay_alu instid0(SALU_CYCLE_1) | instskip(SKIP_3) | instid1(VALU_DEP_2)
	s_or_b32 exec_lo, exec_lo, s0
	v_dual_mov_b32 v9, 0 :: v_dual_lshrrev_b32 v0, 16, v38
	v_mov_b32_e32 v16, 0
	s_mov_b32 s0, exec_lo
	v_and_b32_e32 v6, 0xff, v0
	s_delay_alu instid0(VALU_DEP_1)
	v_cmpx_ne_u16_e32 0, v6
	s_cbranch_execz .LBB279_966
; %bb.959:                              ;   in Loop: Header=BB279_941 Depth=1
	v_mov_b32_e32 v16, 0x8000
	s_mov_b32 s14, exec_lo
	v_cmpx_ne_u16_e32 0x80, v6
	s_cbranch_execz .LBB279_965
; %bb.960:                              ;   in Loop: Header=BB279_941 Depth=1
	v_bfe_u32 v17, v38, 16, 7
	v_mov_b32_e32 v16, 0x7c01
	s_mov_b32 s15, exec_lo
	s_delay_alu instid0(VALU_DEP_2)
	v_cmpx_ne_u32_e32 0x7f, v17
	s_cbranch_execz .LBB279_964
; %bb.961:                              ;   in Loop: Header=BB279_941 Depth=1
	v_dual_lshrrev_b32 v16, 3, v17 :: v_dual_bitop2_b32 v6, 7, v0 bitop3:0x40
	s_mov_b32 s16, exec_lo
	v_cmpx_gt_u32_e32 8, v17
; %bb.962:                              ;   in Loop: Header=BB279_941 Depth=1
	s_delay_alu instid0(VALU_DEP_2) | instskip(NEXT) | instid1(VALU_DEP_1)
	v_clz_i32_u32_e32 v6, v6
	v_min_u32_e32 v6, 32, v6
	s_delay_alu instid0(VALU_DEP_1) | instskip(NEXT) | instid1(VALU_DEP_1)
	v_subrev_nc_u32_e32 v16, 28, v6
	v_lshlrev_b64_e32 v[18:19], v16, v[0:1]
	v_sub_nc_u32_e32 v16, 29, v6
	s_delay_alu instid0(VALU_DEP_2)
	v_and_b32_e32 v6, 7, v18
; %bb.963:                              ;   in Loop: Header=BB279_941 Depth=1
	s_or_b32 exec_lo, exec_lo, s16
	s_delay_alu instid0(VALU_DEP_1) | instskip(NEXT) | instid1(VALU_DEP_3)
	v_dual_lshlrev_b32 v0, 8, v0 :: v_dual_lshlrev_b32 v6, 7, v6
	v_lshl_add_u32 v16, v16, 10, 0x2000
	s_delay_alu instid0(VALU_DEP_2) | instskip(NEXT) | instid1(VALU_DEP_2)
	v_and_b32_e32 v0, 0x8000, v0
	v_and_b32_e32 v16, 0xfc00, v16
	s_delay_alu instid0(VALU_DEP_1)
	v_or3_b32 v16, v0, v16, v6
.LBB279_964:                            ;   in Loop: Header=BB279_941 Depth=1
	s_or_b32 exec_lo, exec_lo, s15
.LBB279_965:                            ;   in Loop: Header=BB279_941 Depth=1
	s_delay_alu instid0(SALU_CYCLE_1)
	s_or_b32 exec_lo, exec_lo, s14
.LBB279_966:                            ;   in Loop: Header=BB279_941 Depth=1
	s_delay_alu instid0(SALU_CYCLE_1) | instskip(NEXT) | instid1(SALU_CYCLE_1)
	s_or_b32 exec_lo, exec_lo, s0
	s_mov_b32 s0, exec_lo
	v_cmpx_lt_u32_e32 0xffffff, v38
	s_cbranch_execz .LBB279_974
; %bb.967:                              ;   in Loop: Header=BB279_941 Depth=1
	v_lshrrev_b32_e32 v6, 24, v38
	v_bfrev_b32_e32 v9, 1
	s_mov_b32 s14, exec_lo
	s_delay_alu instid0(VALU_DEP_2)
	v_cmpx_ne_u32_e32 0x80, v6
	s_cbranch_execz .LBB279_973
; %bb.968:                              ;   in Loop: Header=BB279_941 Depth=1
	v_and_b32_e32 v17, 0x7f, v6
	v_mov_b32_e32 v9, 0x7c010000
	s_mov_b32 s15, exec_lo
	s_delay_alu instid0(VALU_DEP_2)
	v_cmpx_ne_u32_e32 0x7f, v17
	s_cbranch_execz .LBB279_972
; %bb.969:                              ;   in Loop: Header=BB279_941 Depth=1
	v_dual_lshrrev_b32 v9, 3, v17 :: v_dual_bitop2_b32 v0, 7, v6 bitop3:0x40
	s_mov_b32 s16, exec_lo
	v_cmpx_gt_u32_e32 8, v17
; %bb.970:                              ;   in Loop: Header=BB279_941 Depth=1
	s_delay_alu instid0(VALU_DEP_2) | instskip(NEXT) | instid1(VALU_DEP_1)
	v_clz_i32_u32_e32 v0, v0
	v_min_u32_e32 v0, 32, v0
	s_delay_alu instid0(VALU_DEP_1) | instskip(NEXT) | instid1(VALU_DEP_1)
	v_subrev_nc_u32_e32 v9, 28, v0
	v_lshlrev_b64_e32 v[18:19], v9, v[6:7]
	s_delay_alu instid0(VALU_DEP_1)
	v_dual_sub_nc_u32 v9, 29, v0 :: v_dual_bitop2_b32 v0, 7, v18 bitop3:0x40
; %bb.971:                              ;   in Loop: Header=BB279_941 Depth=1
	s_or_b32 exec_lo, exec_lo, s16
	s_delay_alu instid0(VALU_DEP_1) | instskip(NEXT) | instid1(VALU_DEP_2)
	v_dual_lshlrev_b32 v6, 8, v6 :: v_dual_lshlrev_b32 v0, 23, v0
	v_lshl_add_u32 v9, v9, 10, 0x2000
	s_delay_alu instid0(VALU_DEP_1) | instskip(NEXT) | instid1(VALU_DEP_1)
	v_and_or_b32 v6, 0x8000, v6, v9
	v_lshl_or_b32 v9, v6, 16, v0
.LBB279_972:                            ;   in Loop: Header=BB279_941 Depth=1
	s_or_b32 exec_lo, exec_lo, s15
.LBB279_973:                            ;   in Loop: Header=BB279_941 Depth=1
	s_delay_alu instid0(SALU_CYCLE_1)
	s_or_b32 exec_lo, exec_lo, s14
.LBB279_974:                            ;   in Loop: Header=BB279_941 Depth=1
	s_delay_alu instid0(SALU_CYCLE_1) | instskip(SKIP_4) | instid1(VALU_DEP_3)
	s_or_b32 exec_lo, exec_lo, s0
	v_and_b32_e32 v0, 0xff, v39
	v_dual_mov_b32 v6, v39 :: v_dual_mov_b32 v18, 0
	v_mov_b32_e32 v17, 0
	s_mov_b32 s0, exec_lo
	v_cmpx_ne_u16_e32 0, v0
	s_cbranch_execz .LBB279_982
; %bb.975:                              ;   in Loop: Header=BB279_941 Depth=1
	v_mov_b32_e32 v17, 0x8000
	s_mov_b32 s14, exec_lo
	v_cmpx_ne_u16_e32 0x80, v0
	s_cbranch_execz .LBB279_981
; %bb.976:                              ;   in Loop: Header=BB279_941 Depth=1
	v_and_b32_e32 v19, 0x7f, v39
	v_mov_b32_e32 v17, 0x7c01
	s_mov_b32 s15, exec_lo
	s_delay_alu instid0(VALU_DEP_2)
	v_cmpx_ne_u32_e32 0x7f, v19
	s_cbranch_execz .LBB279_980
; %bb.977:                              ;   in Loop: Header=BB279_941 Depth=1
	v_and_b32_e32 v0, 7, v39
	v_lshrrev_b32_e32 v17, 3, v19
	s_mov_b32 s16, exec_lo
	v_cmpx_gt_u32_e32 8, v19
; %bb.978:                              ;   in Loop: Header=BB279_941 Depth=1
	s_delay_alu instid0(VALU_DEP_3) | instskip(NEXT) | instid1(VALU_DEP_1)
	v_clz_i32_u32_e32 v0, v0
	v_min_u32_e32 v0, 32, v0
	s_delay_alu instid0(VALU_DEP_1) | instskip(NEXT) | instid1(VALU_DEP_1)
	v_subrev_nc_u32_e32 v17, 28, v0
	v_lshlrev_b64_e32 v[22:23], v17, v[6:7]
	s_delay_alu instid0(VALU_DEP_1)
	v_dual_sub_nc_u32 v17, 29, v0 :: v_dual_bitop2_b32 v0, 7, v22 bitop3:0x40
; %bb.979:                              ;   in Loop: Header=BB279_941 Depth=1
	s_or_b32 exec_lo, exec_lo, s16
	s_delay_alu instid0(VALU_DEP_1) | instskip(NEXT) | instid1(VALU_DEP_2)
	v_dual_lshlrev_b32 v19, 8, v39 :: v_dual_lshlrev_b32 v0, 7, v0
	v_lshl_add_u32 v17, v17, 10, 0x2000
	s_delay_alu instid0(VALU_DEP_2) | instskip(NEXT) | instid1(VALU_DEP_2)
	v_and_b32_e32 v19, 0x8000, v19
	v_and_b32_e32 v17, 0xfc00, v17
	s_delay_alu instid0(VALU_DEP_1)
	v_or3_b32 v17, v19, v17, v0
.LBB279_980:                            ;   in Loop: Header=BB279_941 Depth=1
	s_or_b32 exec_lo, exec_lo, s15
.LBB279_981:                            ;   in Loop: Header=BB279_941 Depth=1
	s_delay_alu instid0(SALU_CYCLE_1)
	s_or_b32 exec_lo, exec_lo, s14
.LBB279_982:                            ;   in Loop: Header=BB279_941 Depth=1
	s_delay_alu instid0(SALU_CYCLE_1) | instskip(SKIP_3) | instid1(VALU_DEP_2)
	s_or_b32 exec_lo, exec_lo, s0
	v_lshrrev_b16 v6, 8, v6
	v_mov_b32_e32 v19, 0
	s_mov_b32 s0, exec_lo
	v_cmpx_ne_u16_e32 0, v6
	s_cbranch_execz .LBB279_990
; %bb.983:                              ;   in Loop: Header=BB279_941 Depth=1
	v_bfrev_b32_e32 v19, 1
	s_mov_b32 s14, exec_lo
	v_cmpx_ne_u16_e32 0x80, v6
	s_cbranch_execz .LBB279_989
; %bb.984:                              ;   in Loop: Header=BB279_941 Depth=1
	v_and_b32_e32 v0, 0xffff, v6
	v_mov_b32_e32 v19, 0x7c010000
	s_mov_b32 s15, exec_lo
	s_delay_alu instid0(VALU_DEP_2) | instskip(NEXT) | instid1(VALU_DEP_1)
	v_and_b32_e32 v23, 0x7f, v0
	v_cmpx_ne_u32_e32 0x7f, v23
	s_cbranch_execz .LBB279_988
; %bb.985:                              ;   in Loop: Header=BB279_941 Depth=1
	v_dual_lshrrev_b32 v22, 3, v23 :: v_dual_bitop2_b32 v19, 7, v0 bitop3:0x40
	s_mov_b32 s16, exec_lo
	v_cmpx_gt_u32_e32 8, v23
; %bb.986:                              ;   in Loop: Header=BB279_941 Depth=1
	s_delay_alu instid0(VALU_DEP_2) | instskip(NEXT) | instid1(VALU_DEP_1)
	v_clz_i32_u32_e32 v19, v19
	v_min_u32_e32 v19, 32, v19
	s_delay_alu instid0(VALU_DEP_1) | instskip(NEXT) | instid1(VALU_DEP_1)
	v_subrev_nc_u32_e32 v22, 28, v19
	v_lshlrev_b64_e32 v[48:49], v22, v[6:7]
	s_delay_alu instid0(VALU_DEP_1)
	v_dual_sub_nc_u32 v22, 29, v19 :: v_dual_bitop2_b32 v19, 7, v48 bitop3:0x40
; %bb.987:                              ;   in Loop: Header=BB279_941 Depth=1
	s_or_b32 exec_lo, exec_lo, s16
	v_lshlrev_b32_e32 v0, 8, v0
	s_delay_alu instid0(VALU_DEP_2) | instskip(NEXT) | instid1(VALU_DEP_1)
	v_lshl_add_u32 v6, v22, 10, 0x2000
	v_and_or_b32 v0, 0x8000, v0, v6
	v_lshlrev_b32_e32 v6, 23, v19
	s_delay_alu instid0(VALU_DEP_1)
	v_lshl_or_b32 v19, v0, 16, v6
.LBB279_988:                            ;   in Loop: Header=BB279_941 Depth=1
	s_or_b32 exec_lo, exec_lo, s15
.LBB279_989:                            ;   in Loop: Header=BB279_941 Depth=1
	s_delay_alu instid0(SALU_CYCLE_1)
	s_or_b32 exec_lo, exec_lo, s14
.LBB279_990:                            ;   in Loop: Header=BB279_941 Depth=1
	s_delay_alu instid0(SALU_CYCLE_1) | instskip(SKIP_2) | instid1(VALU_DEP_1)
	s_or_b32 exec_lo, exec_lo, s0
	v_lshrrev_b32_e32 v0, 16, v39
	s_mov_b32 s0, exec_lo
	v_and_b32_e32 v6, 0xff, v0
	s_delay_alu instid0(VALU_DEP_1)
	v_cmpx_ne_u16_e32 0, v6
	s_cbranch_execz .LBB279_998
; %bb.991:                              ;   in Loop: Header=BB279_941 Depth=1
	v_mov_b32_e32 v18, 0x8000
	s_mov_b32 s14, exec_lo
	v_cmpx_ne_u16_e32 0x80, v6
	s_cbranch_execz .LBB279_997
; %bb.992:                              ;   in Loop: Header=BB279_941 Depth=1
	v_bfe_u32 v22, v39, 16, 7
	v_mov_b32_e32 v18, 0x7c01
	s_mov_b32 s15, exec_lo
	s_delay_alu instid0(VALU_DEP_2)
	v_cmpx_ne_u32_e32 0x7f, v22
	s_cbranch_execz .LBB279_996
; %bb.993:                              ;   in Loop: Header=BB279_941 Depth=1
	v_dual_lshrrev_b32 v18, 3, v22 :: v_dual_bitop2_b32 v6, 7, v0 bitop3:0x40
	s_mov_b32 s16, exec_lo
	v_cmpx_gt_u32_e32 8, v22
; %bb.994:                              ;   in Loop: Header=BB279_941 Depth=1
	s_delay_alu instid0(VALU_DEP_2) | instskip(NEXT) | instid1(VALU_DEP_1)
	v_clz_i32_u32_e32 v6, v6
	v_min_u32_e32 v6, 32, v6
	s_delay_alu instid0(VALU_DEP_1) | instskip(NEXT) | instid1(VALU_DEP_1)
	v_subrev_nc_u32_e32 v18, 28, v6
	v_lshlrev_b64_e32 v[22:23], v18, v[0:1]
	v_sub_nc_u32_e32 v18, 29, v6
	s_delay_alu instid0(VALU_DEP_2)
	v_and_b32_e32 v6, 7, v22
; %bb.995:                              ;   in Loop: Header=BB279_941 Depth=1
	s_or_b32 exec_lo, exec_lo, s16
	s_delay_alu instid0(VALU_DEP_1) | instskip(NEXT) | instid1(VALU_DEP_3)
	v_dual_lshlrev_b32 v0, 8, v0 :: v_dual_lshlrev_b32 v6, 7, v6
	v_lshl_add_u32 v18, v18, 10, 0x2000
	s_delay_alu instid0(VALU_DEP_2) | instskip(NEXT) | instid1(VALU_DEP_2)
	v_and_b32_e32 v0, 0x8000, v0
	v_and_b32_e32 v18, 0xfc00, v18
	s_delay_alu instid0(VALU_DEP_1)
	v_or3_b32 v18, v0, v18, v6
.LBB279_996:                            ;   in Loop: Header=BB279_941 Depth=1
	s_or_b32 exec_lo, exec_lo, s15
.LBB279_997:                            ;   in Loop: Header=BB279_941 Depth=1
	s_delay_alu instid0(SALU_CYCLE_1)
	s_or_b32 exec_lo, exec_lo, s14
.LBB279_998:                            ;   in Loop: Header=BB279_941 Depth=1
	s_delay_alu instid0(SALU_CYCLE_1)
	s_or_b32 exec_lo, exec_lo, s0
	v_mov_b32_e32 v0, 0
	s_mov_b32 s0, exec_lo
	v_cmpx_lt_u64_e64 s[2:3], v[38:39]
	s_cbranch_execz .LBB279_1006
; %bb.999:                              ;   in Loop: Header=BB279_941 Depth=1
	v_lshrrev_b32_e32 v6, 24, v39
	v_bfrev_b32_e32 v0, 1
	s_mov_b32 s14, exec_lo
	s_delay_alu instid0(VALU_DEP_2)
	v_cmpx_ne_u32_e32 0x80, v6
	s_cbranch_execz .LBB279_1005
; %bb.1000:                             ;   in Loop: Header=BB279_941 Depth=1
	v_and_b32_e32 v23, 0x7f, v6
	v_mov_b32_e32 v0, 0x7c010000
	s_mov_b32 s15, exec_lo
	s_delay_alu instid0(VALU_DEP_2)
	v_cmpx_ne_u32_e32 0x7f, v23
	s_cbranch_execz .LBB279_1004
; %bb.1001:                             ;   in Loop: Header=BB279_941 Depth=1
	v_dual_lshrrev_b32 v22, 3, v23 :: v_dual_bitop2_b32 v0, 7, v6 bitop3:0x40
	s_mov_b32 s16, exec_lo
	v_cmpx_gt_u32_e32 8, v23
; %bb.1002:                             ;   in Loop: Header=BB279_941 Depth=1
	s_delay_alu instid0(VALU_DEP_2) | instskip(NEXT) | instid1(VALU_DEP_1)
	v_clz_i32_u32_e32 v0, v0
	v_min_u32_e32 v0, 32, v0
	s_delay_alu instid0(VALU_DEP_1) | instskip(NEXT) | instid1(VALU_DEP_1)
	v_subrev_nc_u32_e32 v22, 28, v0
	v_lshlrev_b64_e32 v[38:39], v22, v[6:7]
	s_delay_alu instid0(VALU_DEP_1)
	v_dual_sub_nc_u32 v22, 29, v0 :: v_dual_bitop2_b32 v0, 7, v38 bitop3:0x40
; %bb.1003:                             ;   in Loop: Header=BB279_941 Depth=1
	s_or_b32 exec_lo, exec_lo, s16
	s_delay_alu instid0(VALU_DEP_1) | instskip(NEXT) | instid1(VALU_DEP_2)
	v_dual_lshlrev_b32 v6, 8, v6 :: v_dual_lshlrev_b32 v0, 23, v0
	v_lshl_add_u32 v22, v22, 10, 0x2000
	s_delay_alu instid0(VALU_DEP_1) | instskip(NEXT) | instid1(VALU_DEP_1)
	v_and_or_b32 v6, 0x8000, v6, v22
	v_lshl_or_b32 v0, v6, 16, v0
.LBB279_1004:                           ;   in Loop: Header=BB279_941 Depth=1
	s_or_b32 exec_lo, exec_lo, s15
.LBB279_1005:                           ;   in Loop: Header=BB279_941 Depth=1
	s_delay_alu instid0(SALU_CYCLE_1)
	s_or_b32 exec_lo, exec_lo, s14
.LBB279_1006:                           ;   in Loop: Header=BB279_941 Depth=1
	s_delay_alu instid0(SALU_CYCLE_1) | instskip(SKIP_3) | instid1(VALU_DEP_3)
	s_or_b32 exec_lo, exec_lo, s0
	v_dual_lshrrev_b32 v6, 16, v1 :: v_dual_bitop2_b32 v1, v1, v8 bitop3:0x54
	v_dual_lshrrev_b32 v22, 16, v9 :: v_dual_bitop2_b32 v16, v9, v16 bitop3:0x54
	v_cmp_eq_u32_e32 vcc_lo, v55, v64
	v_cvt_f32_f16_e32 v9, v6
	v_dual_lshrrev_b32 v18, 16, v19 :: v_dual_bitop2_b32 v6, v0, v18 bitop3:0x54
	s_delay_alu instid0(VALU_DEP_4)
	v_cvt_f32_f16_e32 v8, v22
	v_dual_lshrrev_b32 v22, 16, v0 :: v_dual_bitop2_b32 v19, v19, v17 bitop3:0x54
	v_cvt_f32_f16_e32 v0, v16
	v_cvt_f32_f16_e32 v1, v1
	s_wait_loadcnt_dscnt 0x0
	v_pk_mul_f32 v[8:9], v[36:37], v[8:9] op_sel_hi:[0,1]
	v_cvt_f32_f16_e32 v17, v18
	v_cvt_f32_f16_e32 v16, v22
	;; [unrolled: 1-line block ×4, first 2 shown]
	v_pk_mul_f32 v[0:1], v[36:37], v[0:1] op_sel_hi:[0,1]
	v_cvt_pk_f16_f32 v6, v8, v9
	v_pk_mul_f32 v[8:9], v[36:37], v[16:17] op_sel_hi:[0,1]
	v_add_nc_u32_e32 v67, v65, v56
	v_pk_mul_f32 v[16:17], v[36:37], v[18:19] op_sel_hi:[0,1]
	v_cvt_pk_f16_f32 v0, v0, v1
	v_and_b32_e32 v39, 0xffff0000, v6
	v_cvt_pk_f16_f32 v8, v8, v9
	v_lshlrev_b32_e32 v48, 16, v6
	v_cvt_pk_f16_f32 v6, v16, v17
	v_lshrrev_b32_e32 v49, 16, v0
	v_and_b32_e32 v50, 0xffff, v0
	v_and_b32_e32 v1, 0xffff0000, v8
	s_delay_alu instid0(VALU_DEP_4) | instskip(NEXT) | instid1(VALU_DEP_4)
	v_dual_add_nc_u32 v82, 2, v67 :: v_dual_lshrrev_b32 v37, 16, v6
	v_dual_lshlrev_b32 v0, 16, v8 :: v_dual_bitop2_b32 v19, v39, v49 bitop3:0x54
	v_and_b32_e32 v38, 0xffff, v6
	v_or_b32_e32 v36, v48, v50
	s_delay_alu instid0(VALU_DEP_4)
	v_or_b32_e32 v9, v1, v37
	v_or_b32_e32 v81, 1, v67
	;; [unrolled: 1-line block ×8, first 2 shown]
	s_and_saveexec_b32 s14, vcc_lo
	s_cbranch_execz .LBB279_1008
; %bb.1007:                             ;   in Loop: Header=BB279_941 Depth=1
	v_cmp_lt_i32_e64 s0, v67, v13
	s_delay_alu instid0(VALU_DEP_1) | instskip(SKIP_1) | instid1(VALU_DEP_1)
	v_cndmask_b32_e64 v6, 0, v49, s0
	v_cmp_lt_i32_e64 s0, v82, v12
	v_cndmask_b32_e64 v8, 0, v50, s0
	v_cmp_lt_i32_e64 s0, v81, v13
	s_delay_alu instid0(VALU_DEP_1) | instskip(SKIP_1) | instid1(VALU_DEP_1)
	v_cndmask_b32_e64 v9, 0, v39, s0
	v_cmp_lt_i32_e64 s0, v80, v12
	v_cndmask_b32_e64 v16, 0, v48, s0
	v_cmp_lt_i32_e64 s0, v71, v13
	s_delay_alu instid0(VALU_DEP_4) | instskip(NEXT) | instid1(VALU_DEP_2)
	v_or_b32_e32 v19, v6, v9
	v_dual_cndmask_b32 v17, 0, v37, s0 :: v_dual_bitop2_b32 v36, v8, v16 bitop3:0x54
	v_cmp_lt_i32_e64 s0, v70, v12
	s_delay_alu instid0(VALU_DEP_1) | instskip(SKIP_1) | instid1(VALU_DEP_1)
	v_cndmask_b32_e64 v18, 0, v38, s0
	v_cmp_lt_i32_e64 s0, v69, v13
	v_cndmask_b32_e64 v1, 0, v1, s0
	v_cmp_lt_i32_e64 s0, v68, v12
	s_delay_alu instid0(VALU_DEP_1) | instskip(NEXT) | instid1(VALU_DEP_1)
	v_dual_cndmask_b32 v0, 0, v0, s0 :: v_dual_bitop2_b32 v9, v17, v1 bitop3:0x54
	v_or_b32_e32 v6, v18, v0
.LBB279_1008:                           ;   in Loop: Header=BB279_941 Depth=1
	s_or_b32 exec_lo, exec_lo, s14
	v_and_b32_e32 v0, 0xffff, v85
	v_and_b32_e32 v1, 0xffff, v87
	;; [unrolled: 1-line block ×4, first 2 shown]
	s_mov_b32 s14, exec_lo
	v_lshl_or_b32 v87, v83, 16, v0
	;;#ASMSTART
	v_pk_mul_f16 v0, v87, v19;

	;;#ASMEND
	v_lshl_or_b32 v85, v84, 16, v1
	v_lshl_or_b32 v84, v86, 16, v8
	;; [unrolled: 1-line block ×3, first 2 shown]
	;;#ASMSTART
	v_pk_mul_f16 v1, v85, v36;

	;;#ASMEND
	;;#ASMSTART
	v_pk_mul_f16 v8, v84, v9;

	;;#ASMEND
	;; [unrolled: 4-line block ×3, first 2 shown]
	;;#ASMSTART
	v_pk_add_f16 v0, v0, v1;

	;;#ASMEND
	;;#ASMSTART
	v_pk_add_f16 v0, v0, v8;

	;;#ASMEND
	;; [unrolled: 4-line block ×3, first 2 shown]
	v_and_b32_e32 v1, 0xffff, v0
	v_lshrrev_b32_e32 v0, 16, v0
	;;#ASMSTART
	v_cvt_f32_f16 v86, v1;
	;;#ASMEND
	;;#ASMSTART
	v_cvt_f32_f16 v96, v0;
	;;#ASMEND
	flat_load_b64 v[38:39], v[28:29] offset:256
	scratch_load_b64 v[0:1], off, s32 offset:192 ; 8-byte Folded Reload
	v_mov_b32_e32 v8, 0
	s_wait_loadcnt 0x0
	flat_load_b32 v36, v[0:1]
	s_wait_dscnt 0x1
	s_wait_xcnt 0x0
	v_and_b32_e32 v0, 0xff, v38
	v_mov_b32_e32 v1, 0
	s_delay_alu instid0(VALU_DEP_2)
	v_cmpx_ne_u16_e32 0, v0
	s_cbranch_execz .LBB279_1016
; %bb.1009:                             ;   in Loop: Header=BB279_941 Depth=1
	v_mov_b32_e32 v8, 0x8000
	s_mov_b32 s15, exec_lo
	v_cmpx_ne_u16_e32 0x80, v0
	s_cbranch_execz .LBB279_1015
; %bb.1010:                             ;   in Loop: Header=BB279_941 Depth=1
	v_and_b32_e32 v9, 0x7f, v38
	v_mov_b32_e32 v8, 0x7c01
	s_mov_b32 s16, exec_lo
	s_delay_alu instid0(VALU_DEP_2)
	v_cmpx_ne_u32_e32 0x7f, v9
	s_cbranch_execz .LBB279_1014
; %bb.1011:                             ;   in Loop: Header=BB279_941 Depth=1
	v_dual_lshrrev_b32 v6, 3, v9 :: v_dual_bitop2_b32 v0, 7, v38 bitop3:0x40
	s_mov_b32 s17, exec_lo
	v_cmpx_gt_u32_e32 8, v9
; %bb.1012:                             ;   in Loop: Header=BB279_941 Depth=1
	s_delay_alu instid0(VALU_DEP_2) | instskip(NEXT) | instid1(VALU_DEP_1)
	v_clz_i32_u32_e32 v0, v0
	v_min_u32_e32 v0, 32, v0
	s_delay_alu instid0(VALU_DEP_1) | instskip(NEXT) | instid1(VALU_DEP_1)
	v_subrev_nc_u32_e32 v6, 28, v0
	v_lshlrev_b64_e32 v[8:9], v6, v[38:39]
	v_sub_nc_u32_e32 v6, 29, v0
	s_delay_alu instid0(VALU_DEP_2)
	v_and_b32_e32 v0, 7, v8
; %bb.1013:                             ;   in Loop: Header=BB279_941 Depth=1
	s_or_b32 exec_lo, exec_lo, s17
	s_delay_alu instid0(VALU_DEP_1) | instskip(NEXT) | instid1(VALU_DEP_3)
	v_dual_lshlrev_b32 v8, 8, v38 :: v_dual_lshlrev_b32 v0, 7, v0
	v_lshl_add_u32 v6, v6, 10, 0x2000
	s_delay_alu instid0(VALU_DEP_2) | instskip(NEXT) | instid1(VALU_DEP_2)
	v_and_b32_e32 v8, 0x8000, v8
	v_and_b32_e32 v6, 0xfc00, v6
	s_delay_alu instid0(VALU_DEP_1)
	v_or3_b32 v8, v8, v6, v0
.LBB279_1014:                           ;   in Loop: Header=BB279_941 Depth=1
	s_or_b32 exec_lo, exec_lo, s16
.LBB279_1015:                           ;   in Loop: Header=BB279_941 Depth=1
	s_delay_alu instid0(SALU_CYCLE_1)
	s_or_b32 exec_lo, exec_lo, s15
.LBB279_1016:                           ;   in Loop: Header=BB279_941 Depth=1
	s_delay_alu instid0(SALU_CYCLE_1) | instskip(SKIP_2) | instid1(VALU_DEP_1)
	s_or_b32 exec_lo, exec_lo, s14
	v_lshrrev_b16 v6, 8, v38
	s_mov_b32 s14, exec_lo
	v_cmpx_ne_u16_e32 0, v6
	s_cbranch_execz .LBB279_1024
; %bb.1017:                             ;   in Loop: Header=BB279_941 Depth=1
	v_bfrev_b32_e32 v1, 1
	s_mov_b32 s15, exec_lo
	v_cmpx_ne_u16_e32 0x80, v6
	s_cbranch_execz .LBB279_1023
; %bb.1018:                             ;   in Loop: Header=BB279_941 Depth=1
	v_and_b32_e32 v0, 0xffff, v6
	v_mov_b32_e32 v1, 0x7c010000
	s_mov_b32 s16, exec_lo
	s_delay_alu instid0(VALU_DEP_2) | instskip(NEXT) | instid1(VALU_DEP_1)
	v_and_b32_e32 v16, 0x7f, v0
	v_cmpx_ne_u32_e32 0x7f, v16
	s_cbranch_execz .LBB279_1022
; %bb.1019:                             ;   in Loop: Header=BB279_941 Depth=1
	v_and_b32_e32 v1, 7, v0
	v_lshrrev_b32_e32 v9, 3, v16
	s_mov_b32 s17, exec_lo
	v_cmpx_gt_u32_e32 8, v16
; %bb.1020:                             ;   in Loop: Header=BB279_941 Depth=1
	s_delay_alu instid0(VALU_DEP_3) | instskip(NEXT) | instid1(VALU_DEP_1)
	v_clz_i32_u32_e32 v1, v1
	v_min_u32_e32 v1, 32, v1
	s_delay_alu instid0(VALU_DEP_1) | instskip(NEXT) | instid1(VALU_DEP_1)
	v_subrev_nc_u32_e32 v9, 28, v1
	v_lshlrev_b64_e32 v[16:17], v9, v[6:7]
	s_delay_alu instid0(VALU_DEP_1)
	v_dual_sub_nc_u32 v9, 29, v1 :: v_dual_bitop2_b32 v1, 7, v16 bitop3:0x40
; %bb.1021:                             ;   in Loop: Header=BB279_941 Depth=1
	s_or_b32 exec_lo, exec_lo, s17
	s_delay_alu instid0(VALU_DEP_1) | instskip(NEXT) | instid1(VALU_DEP_2)
	v_dual_lshlrev_b32 v0, 8, v0 :: v_dual_lshlrev_b32 v1, 23, v1
	v_lshl_add_u32 v6, v9, 10, 0x2000
	s_delay_alu instid0(VALU_DEP_1) | instskip(NEXT) | instid1(VALU_DEP_1)
	v_and_or_b32 v0, 0x8000, v0, v6
	v_lshl_or_b32 v1, v0, 16, v1
.LBB279_1022:                           ;   in Loop: Header=BB279_941 Depth=1
	s_or_b32 exec_lo, exec_lo, s16
.LBB279_1023:                           ;   in Loop: Header=BB279_941 Depth=1
	s_delay_alu instid0(SALU_CYCLE_1)
	s_or_b32 exec_lo, exec_lo, s15
.LBB279_1024:                           ;   in Loop: Header=BB279_941 Depth=1
	s_delay_alu instid0(SALU_CYCLE_1) | instskip(SKIP_3) | instid1(VALU_DEP_2)
	s_or_b32 exec_lo, exec_lo, s14
	v_dual_mov_b32 v9, 0 :: v_dual_lshrrev_b32 v0, 16, v38
	v_mov_b32_e32 v16, 0
	s_mov_b32 s14, exec_lo
	v_and_b32_e32 v6, 0xff, v0
	s_delay_alu instid0(VALU_DEP_1)
	v_cmpx_ne_u16_e32 0, v6
	s_cbranch_execz .LBB279_1032
; %bb.1025:                             ;   in Loop: Header=BB279_941 Depth=1
	v_mov_b32_e32 v16, 0x8000
	s_mov_b32 s15, exec_lo
	v_cmpx_ne_u16_e32 0x80, v6
	s_cbranch_execz .LBB279_1031
; %bb.1026:                             ;   in Loop: Header=BB279_941 Depth=1
	v_bfe_u32 v17, v38, 16, 7
	v_mov_b32_e32 v16, 0x7c01
	s_mov_b32 s16, exec_lo
	s_delay_alu instid0(VALU_DEP_2)
	v_cmpx_ne_u32_e32 0x7f, v17
	s_cbranch_execz .LBB279_1030
; %bb.1027:                             ;   in Loop: Header=BB279_941 Depth=1
	v_dual_lshrrev_b32 v16, 3, v17 :: v_dual_bitop2_b32 v6, 7, v0 bitop3:0x40
	s_mov_b32 s17, exec_lo
	v_cmpx_gt_u32_e32 8, v17
; %bb.1028:                             ;   in Loop: Header=BB279_941 Depth=1
	s_delay_alu instid0(VALU_DEP_2) | instskip(NEXT) | instid1(VALU_DEP_1)
	v_clz_i32_u32_e32 v6, v6
	v_min_u32_e32 v6, 32, v6
	s_delay_alu instid0(VALU_DEP_1) | instskip(NEXT) | instid1(VALU_DEP_1)
	v_subrev_nc_u32_e32 v16, 28, v6
	v_lshlrev_b64_e32 v[18:19], v16, v[0:1]
	v_sub_nc_u32_e32 v16, 29, v6
	s_delay_alu instid0(VALU_DEP_2)
	v_and_b32_e32 v6, 7, v18
; %bb.1029:                             ;   in Loop: Header=BB279_941 Depth=1
	s_or_b32 exec_lo, exec_lo, s17
	s_delay_alu instid0(VALU_DEP_1) | instskip(NEXT) | instid1(VALU_DEP_3)
	v_dual_lshlrev_b32 v0, 8, v0 :: v_dual_lshlrev_b32 v6, 7, v6
	v_lshl_add_u32 v16, v16, 10, 0x2000
	s_delay_alu instid0(VALU_DEP_2) | instskip(NEXT) | instid1(VALU_DEP_2)
	v_and_b32_e32 v0, 0x8000, v0
	v_and_b32_e32 v16, 0xfc00, v16
	s_delay_alu instid0(VALU_DEP_1)
	v_or3_b32 v16, v0, v16, v6
.LBB279_1030:                           ;   in Loop: Header=BB279_941 Depth=1
	s_or_b32 exec_lo, exec_lo, s16
.LBB279_1031:                           ;   in Loop: Header=BB279_941 Depth=1
	s_delay_alu instid0(SALU_CYCLE_1)
	s_or_b32 exec_lo, exec_lo, s15
.LBB279_1032:                           ;   in Loop: Header=BB279_941 Depth=1
	s_delay_alu instid0(SALU_CYCLE_1) | instskip(NEXT) | instid1(SALU_CYCLE_1)
	s_or_b32 exec_lo, exec_lo, s14
	s_mov_b32 s14, exec_lo
	v_cmpx_lt_u32_e32 0xffffff, v38
	s_cbranch_execz .LBB279_1040
; %bb.1033:                             ;   in Loop: Header=BB279_941 Depth=1
	v_lshrrev_b32_e32 v6, 24, v38
	v_bfrev_b32_e32 v9, 1
	s_mov_b32 s15, exec_lo
	s_delay_alu instid0(VALU_DEP_2)
	v_cmpx_ne_u32_e32 0x80, v6
	s_cbranch_execz .LBB279_1039
; %bb.1034:                             ;   in Loop: Header=BB279_941 Depth=1
	v_and_b32_e32 v17, 0x7f, v6
	v_mov_b32_e32 v9, 0x7c010000
	s_mov_b32 s16, exec_lo
	s_delay_alu instid0(VALU_DEP_2)
	v_cmpx_ne_u32_e32 0x7f, v17
	s_cbranch_execz .LBB279_1038
; %bb.1035:                             ;   in Loop: Header=BB279_941 Depth=1
	v_dual_lshrrev_b32 v9, 3, v17 :: v_dual_bitop2_b32 v0, 7, v6 bitop3:0x40
	s_mov_b32 s17, exec_lo
	v_cmpx_gt_u32_e32 8, v17
; %bb.1036:                             ;   in Loop: Header=BB279_941 Depth=1
	s_delay_alu instid0(VALU_DEP_2) | instskip(NEXT) | instid1(VALU_DEP_1)
	v_clz_i32_u32_e32 v0, v0
	v_min_u32_e32 v0, 32, v0
	s_delay_alu instid0(VALU_DEP_1) | instskip(NEXT) | instid1(VALU_DEP_1)
	v_subrev_nc_u32_e32 v9, 28, v0
	v_lshlrev_b64_e32 v[18:19], v9, v[6:7]
	s_delay_alu instid0(VALU_DEP_1)
	v_dual_sub_nc_u32 v9, 29, v0 :: v_dual_bitop2_b32 v0, 7, v18 bitop3:0x40
; %bb.1037:                             ;   in Loop: Header=BB279_941 Depth=1
	s_or_b32 exec_lo, exec_lo, s17
	s_delay_alu instid0(VALU_DEP_1) | instskip(NEXT) | instid1(VALU_DEP_2)
	v_dual_lshlrev_b32 v6, 8, v6 :: v_dual_lshlrev_b32 v0, 23, v0
	v_lshl_add_u32 v9, v9, 10, 0x2000
	s_delay_alu instid0(VALU_DEP_1) | instskip(NEXT) | instid1(VALU_DEP_1)
	v_and_or_b32 v6, 0x8000, v6, v9
	v_lshl_or_b32 v9, v6, 16, v0
.LBB279_1038:                           ;   in Loop: Header=BB279_941 Depth=1
	s_or_b32 exec_lo, exec_lo, s16
.LBB279_1039:                           ;   in Loop: Header=BB279_941 Depth=1
	s_delay_alu instid0(SALU_CYCLE_1)
	s_or_b32 exec_lo, exec_lo, s15
.LBB279_1040:                           ;   in Loop: Header=BB279_941 Depth=1
	s_delay_alu instid0(SALU_CYCLE_1) | instskip(SKIP_4) | instid1(VALU_DEP_3)
	s_or_b32 exec_lo, exec_lo, s14
	v_and_b32_e32 v0, 0xff, v39
	v_dual_mov_b32 v6, v39 :: v_dual_mov_b32 v18, 0
	v_mov_b32_e32 v17, 0
	s_mov_b32 s14, exec_lo
	v_cmpx_ne_u16_e32 0, v0
	s_cbranch_execz .LBB279_1048
; %bb.1041:                             ;   in Loop: Header=BB279_941 Depth=1
	v_mov_b32_e32 v17, 0x8000
	s_mov_b32 s15, exec_lo
	v_cmpx_ne_u16_e32 0x80, v0
	s_cbranch_execz .LBB279_1047
; %bb.1042:                             ;   in Loop: Header=BB279_941 Depth=1
	v_and_b32_e32 v19, 0x7f, v39
	v_mov_b32_e32 v17, 0x7c01
	s_mov_b32 s16, exec_lo
	s_delay_alu instid0(VALU_DEP_2)
	v_cmpx_ne_u32_e32 0x7f, v19
	s_cbranch_execz .LBB279_1046
; %bb.1043:                             ;   in Loop: Header=BB279_941 Depth=1
	v_and_b32_e32 v0, 7, v39
	v_lshrrev_b32_e32 v17, 3, v19
	s_mov_b32 s17, exec_lo
	v_cmpx_gt_u32_e32 8, v19
; %bb.1044:                             ;   in Loop: Header=BB279_941 Depth=1
	s_delay_alu instid0(VALU_DEP_3) | instskip(NEXT) | instid1(VALU_DEP_1)
	v_clz_i32_u32_e32 v0, v0
	v_min_u32_e32 v0, 32, v0
	s_delay_alu instid0(VALU_DEP_1) | instskip(NEXT) | instid1(VALU_DEP_1)
	v_subrev_nc_u32_e32 v17, 28, v0
	v_lshlrev_b64_e32 v[22:23], v17, v[6:7]
	s_delay_alu instid0(VALU_DEP_1)
	v_dual_sub_nc_u32 v17, 29, v0 :: v_dual_bitop2_b32 v0, 7, v22 bitop3:0x40
; %bb.1045:                             ;   in Loop: Header=BB279_941 Depth=1
	s_or_b32 exec_lo, exec_lo, s17
	s_delay_alu instid0(VALU_DEP_1) | instskip(NEXT) | instid1(VALU_DEP_2)
	v_dual_lshlrev_b32 v19, 8, v39 :: v_dual_lshlrev_b32 v0, 7, v0
	v_lshl_add_u32 v17, v17, 10, 0x2000
	s_delay_alu instid0(VALU_DEP_2) | instskip(NEXT) | instid1(VALU_DEP_2)
	v_and_b32_e32 v19, 0x8000, v19
	v_and_b32_e32 v17, 0xfc00, v17
	s_delay_alu instid0(VALU_DEP_1)
	v_or3_b32 v17, v19, v17, v0
.LBB279_1046:                           ;   in Loop: Header=BB279_941 Depth=1
	s_or_b32 exec_lo, exec_lo, s16
.LBB279_1047:                           ;   in Loop: Header=BB279_941 Depth=1
	s_delay_alu instid0(SALU_CYCLE_1)
	s_or_b32 exec_lo, exec_lo, s15
.LBB279_1048:                           ;   in Loop: Header=BB279_941 Depth=1
	s_delay_alu instid0(SALU_CYCLE_1) | instskip(SKIP_3) | instid1(VALU_DEP_2)
	s_or_b32 exec_lo, exec_lo, s14
	v_lshrrev_b16 v6, 8, v6
	v_mov_b32_e32 v19, 0
	s_mov_b32 s14, exec_lo
	v_cmpx_ne_u16_e32 0, v6
	s_cbranch_execz .LBB279_1056
; %bb.1049:                             ;   in Loop: Header=BB279_941 Depth=1
	v_bfrev_b32_e32 v19, 1
	s_mov_b32 s15, exec_lo
	v_cmpx_ne_u16_e32 0x80, v6
	s_cbranch_execz .LBB279_1055
; %bb.1050:                             ;   in Loop: Header=BB279_941 Depth=1
	v_and_b32_e32 v0, 0xffff, v6
	v_mov_b32_e32 v19, 0x7c010000
	s_mov_b32 s16, exec_lo
	s_delay_alu instid0(VALU_DEP_2) | instskip(NEXT) | instid1(VALU_DEP_1)
	v_and_b32_e32 v23, 0x7f, v0
	v_cmpx_ne_u32_e32 0x7f, v23
	s_cbranch_execz .LBB279_1054
; %bb.1051:                             ;   in Loop: Header=BB279_941 Depth=1
	v_dual_lshrrev_b32 v22, 3, v23 :: v_dual_bitop2_b32 v19, 7, v0 bitop3:0x40
	s_mov_b32 s17, exec_lo
	v_cmpx_gt_u32_e32 8, v23
; %bb.1052:                             ;   in Loop: Header=BB279_941 Depth=1
	s_delay_alu instid0(VALU_DEP_2) | instskip(NEXT) | instid1(VALU_DEP_1)
	v_clz_i32_u32_e32 v19, v19
	v_min_u32_e32 v19, 32, v19
	s_delay_alu instid0(VALU_DEP_1) | instskip(NEXT) | instid1(VALU_DEP_1)
	v_subrev_nc_u32_e32 v22, 28, v19
	v_lshlrev_b64_e32 v[48:49], v22, v[6:7]
	s_delay_alu instid0(VALU_DEP_1)
	v_dual_sub_nc_u32 v22, 29, v19 :: v_dual_bitop2_b32 v19, 7, v48 bitop3:0x40
; %bb.1053:                             ;   in Loop: Header=BB279_941 Depth=1
	s_or_b32 exec_lo, exec_lo, s17
	v_lshlrev_b32_e32 v0, 8, v0
	s_delay_alu instid0(VALU_DEP_2) | instskip(NEXT) | instid1(VALU_DEP_1)
	v_lshl_add_u32 v6, v22, 10, 0x2000
	v_and_or_b32 v0, 0x8000, v0, v6
	v_lshlrev_b32_e32 v6, 23, v19
	s_delay_alu instid0(VALU_DEP_1)
	v_lshl_or_b32 v19, v0, 16, v6
.LBB279_1054:                           ;   in Loop: Header=BB279_941 Depth=1
	s_or_b32 exec_lo, exec_lo, s16
.LBB279_1055:                           ;   in Loop: Header=BB279_941 Depth=1
	s_delay_alu instid0(SALU_CYCLE_1)
	s_or_b32 exec_lo, exec_lo, s15
.LBB279_1056:                           ;   in Loop: Header=BB279_941 Depth=1
	s_delay_alu instid0(SALU_CYCLE_1) | instskip(SKIP_2) | instid1(VALU_DEP_1)
	s_or_b32 exec_lo, exec_lo, s14
	v_lshrrev_b32_e32 v0, 16, v39
	s_mov_b32 s14, exec_lo
	v_and_b32_e32 v6, 0xff, v0
	s_delay_alu instid0(VALU_DEP_1)
	v_cmpx_ne_u16_e32 0, v6
	s_cbranch_execz .LBB279_1064
; %bb.1057:                             ;   in Loop: Header=BB279_941 Depth=1
	v_mov_b32_e32 v18, 0x8000
	s_mov_b32 s15, exec_lo
	v_cmpx_ne_u16_e32 0x80, v6
	s_cbranch_execz .LBB279_1063
; %bb.1058:                             ;   in Loop: Header=BB279_941 Depth=1
	v_bfe_u32 v22, v39, 16, 7
	v_mov_b32_e32 v18, 0x7c01
	s_mov_b32 s16, exec_lo
	s_delay_alu instid0(VALU_DEP_2)
	v_cmpx_ne_u32_e32 0x7f, v22
	s_cbranch_execz .LBB279_1062
; %bb.1059:                             ;   in Loop: Header=BB279_941 Depth=1
	v_dual_lshrrev_b32 v18, 3, v22 :: v_dual_bitop2_b32 v6, 7, v0 bitop3:0x40
	s_mov_b32 s17, exec_lo
	v_cmpx_gt_u32_e32 8, v22
; %bb.1060:                             ;   in Loop: Header=BB279_941 Depth=1
	s_delay_alu instid0(VALU_DEP_2) | instskip(NEXT) | instid1(VALU_DEP_1)
	v_clz_i32_u32_e32 v6, v6
	v_min_u32_e32 v6, 32, v6
	s_delay_alu instid0(VALU_DEP_1) | instskip(NEXT) | instid1(VALU_DEP_1)
	v_subrev_nc_u32_e32 v18, 28, v6
	v_lshlrev_b64_e32 v[22:23], v18, v[0:1]
	v_sub_nc_u32_e32 v18, 29, v6
	s_delay_alu instid0(VALU_DEP_2)
	v_and_b32_e32 v6, 7, v22
; %bb.1061:                             ;   in Loop: Header=BB279_941 Depth=1
	s_or_b32 exec_lo, exec_lo, s17
	s_delay_alu instid0(VALU_DEP_1) | instskip(NEXT) | instid1(VALU_DEP_3)
	v_dual_lshlrev_b32 v0, 8, v0 :: v_dual_lshlrev_b32 v6, 7, v6
	v_lshl_add_u32 v18, v18, 10, 0x2000
	s_delay_alu instid0(VALU_DEP_2) | instskip(NEXT) | instid1(VALU_DEP_2)
	v_and_b32_e32 v0, 0x8000, v0
	v_and_b32_e32 v18, 0xfc00, v18
	s_delay_alu instid0(VALU_DEP_1)
	v_or3_b32 v18, v0, v18, v6
.LBB279_1062:                           ;   in Loop: Header=BB279_941 Depth=1
	s_or_b32 exec_lo, exec_lo, s16
.LBB279_1063:                           ;   in Loop: Header=BB279_941 Depth=1
	s_delay_alu instid0(SALU_CYCLE_1)
	s_or_b32 exec_lo, exec_lo, s15
.LBB279_1064:                           ;   in Loop: Header=BB279_941 Depth=1
	s_delay_alu instid0(SALU_CYCLE_1)
	s_or_b32 exec_lo, exec_lo, s14
	v_mov_b32_e32 v0, 0
	s_mov_b32 s14, exec_lo
	v_cmpx_lt_u64_e64 s[2:3], v[38:39]
	s_cbranch_execz .LBB279_1072
; %bb.1065:                             ;   in Loop: Header=BB279_941 Depth=1
	v_lshrrev_b32_e32 v6, 24, v39
	v_bfrev_b32_e32 v0, 1
	s_mov_b32 s15, exec_lo
	s_delay_alu instid0(VALU_DEP_2)
	v_cmpx_ne_u32_e32 0x80, v6
	s_cbranch_execz .LBB279_1071
; %bb.1066:                             ;   in Loop: Header=BB279_941 Depth=1
	v_and_b32_e32 v23, 0x7f, v6
	v_mov_b32_e32 v0, 0x7c010000
	s_mov_b32 s16, exec_lo
	s_delay_alu instid0(VALU_DEP_2)
	v_cmpx_ne_u32_e32 0x7f, v23
	s_cbranch_execz .LBB279_1070
; %bb.1067:                             ;   in Loop: Header=BB279_941 Depth=1
	v_dual_lshrrev_b32 v22, 3, v23 :: v_dual_bitop2_b32 v0, 7, v6 bitop3:0x40
	s_mov_b32 s17, exec_lo
	v_cmpx_gt_u32_e32 8, v23
; %bb.1068:                             ;   in Loop: Header=BB279_941 Depth=1
	s_delay_alu instid0(VALU_DEP_2) | instskip(NEXT) | instid1(VALU_DEP_1)
	v_clz_i32_u32_e32 v0, v0
	v_min_u32_e32 v0, 32, v0
	s_delay_alu instid0(VALU_DEP_1) | instskip(NEXT) | instid1(VALU_DEP_1)
	v_subrev_nc_u32_e32 v22, 28, v0
	v_lshlrev_b64_e32 v[38:39], v22, v[6:7]
	s_delay_alu instid0(VALU_DEP_1)
	v_dual_sub_nc_u32 v22, 29, v0 :: v_dual_bitop2_b32 v0, 7, v38 bitop3:0x40
; %bb.1069:                             ;   in Loop: Header=BB279_941 Depth=1
	s_or_b32 exec_lo, exec_lo, s17
	s_delay_alu instid0(VALU_DEP_1) | instskip(NEXT) | instid1(VALU_DEP_2)
	v_dual_lshlrev_b32 v6, 8, v6 :: v_dual_lshlrev_b32 v0, 23, v0
	v_lshl_add_u32 v22, v22, 10, 0x2000
	s_delay_alu instid0(VALU_DEP_1) | instskip(NEXT) | instid1(VALU_DEP_1)
	v_and_or_b32 v6, 0x8000, v6, v22
	v_lshl_or_b32 v0, v6, 16, v0
.LBB279_1070:                           ;   in Loop: Header=BB279_941 Depth=1
	s_or_b32 exec_lo, exec_lo, s16
.LBB279_1071:                           ;   in Loop: Header=BB279_941 Depth=1
	s_delay_alu instid0(SALU_CYCLE_1)
	s_or_b32 exec_lo, exec_lo, s15
.LBB279_1072:                           ;   in Loop: Header=BB279_941 Depth=1
	s_delay_alu instid0(SALU_CYCLE_1) | instskip(SKIP_2) | instid1(VALU_DEP_2)
	s_or_b32 exec_lo, exec_lo, s14
	v_dual_lshrrev_b32 v6, 16, v1 :: v_dual_bitop2_b32 v1, v1, v8 bitop3:0x54
	v_dual_lshrrev_b32 v22, 16, v9 :: v_dual_bitop2_b32 v16, v9, v16 bitop3:0x54
	v_cvt_f32_f16_e32 v9, v6
	v_dual_lshrrev_b32 v18, 16, v19 :: v_dual_bitop2_b32 v6, v0, v18 bitop3:0x54
	s_delay_alu instid0(VALU_DEP_3)
	v_cvt_f32_f16_e32 v8, v22
	v_dual_lshrrev_b32 v22, 16, v0 :: v_dual_bitop2_b32 v19, v19, v17 bitop3:0x54
	v_cvt_f32_f16_e32 v0, v16
	v_cvt_f32_f16_e32 v1, v1
	s_wait_loadcnt_dscnt 0x0
	v_pk_mul_f32 v[8:9], v[36:37], v[8:9] op_sel_hi:[0,1]
	v_cvt_f32_f16_e32 v17, v18
	v_cvt_f32_f16_e32 v16, v22
	;; [unrolled: 1-line block ×4, first 2 shown]
	v_pk_mul_f32 v[0:1], v[36:37], v[0:1] op_sel_hi:[0,1]
	v_cvt_pk_f16_f32 v6, v8, v9
	v_pk_mul_f32 v[8:9], v[36:37], v[16:17] op_sel_hi:[0,1]
	s_delay_alu instid0(VALU_DEP_4) | instskip(NEXT) | instid1(VALU_DEP_4)
	v_pk_mul_f32 v[16:17], v[36:37], v[18:19] op_sel_hi:[0,1]
	v_cvt_pk_f16_f32 v0, v0, v1
	s_delay_alu instid0(VALU_DEP_4) | instskip(NEXT) | instid1(VALU_DEP_4)
	v_and_b32_e32 v19, 0xffff0000, v6
	v_cvt_pk_f16_f32 v8, v8, v9
	v_lshlrev_b32_e32 v36, 16, v6
	v_cvt_pk_f16_f32 v6, v16, v17
	v_lshrrev_b32_e32 v49, 16, v0
	v_and_b32_e32 v50, 0xffff, v0
	v_and_b32_e32 v1, 0xffff0000, v8
	s_delay_alu instid0(VALU_DEP_4) | instskip(SKIP_3) | instid1(VALU_DEP_4)
	v_dual_lshlrev_b32 v0, 16, v8 :: v_dual_lshrrev_b32 v9, 16, v6
	v_and_b32_e32 v6, 0xffff, v6
	v_or_b32_e32 v39, v19, v49
	v_or_b32_e32 v48, v36, v50
	;; [unrolled: 1-line block ×3, first 2 shown]
	s_delay_alu instid0(VALU_DEP_4)
	v_or_b32_e32 v38, v0, v6
	s_and_saveexec_b32 s14, vcc_lo
	s_cbranch_execz .LBB279_1074
; %bb.1073:                             ;   in Loop: Header=BB279_941 Depth=1
	v_cmp_lt_i32_e64 s0, v67, v13
	s_delay_alu instid0(VALU_DEP_1) | instskip(SKIP_1) | instid1(VALU_DEP_1)
	v_cndmask_b32_e64 v8, 0, v49, s0
	v_cmp_lt_i32_e64 s0, v82, v12
	v_cndmask_b32_e64 v16, 0, v50, s0
	v_cmp_lt_i32_e64 s0, v81, v13
	s_delay_alu instid0(VALU_DEP_1) | instskip(SKIP_1) | instid1(VALU_DEP_1)
	v_cndmask_b32_e64 v17, 0, v19, s0
	v_cmp_lt_i32_e64 s0, v80, v12
	v_cndmask_b32_e64 v18, 0, v36, s0
	v_cmp_lt_i32_e64 s0, v71, v13
	s_delay_alu instid0(VALU_DEP_4) | instskip(NEXT) | instid1(VALU_DEP_2)
	v_or_b32_e32 v39, v8, v17
	v_dual_cndmask_b32 v9, 0, v9, s0 :: v_dual_bitop2_b32 v48, v16, v18 bitop3:0x54
	v_cmp_lt_i32_e64 s0, v70, v12
	s_delay_alu instid0(VALU_DEP_1) | instskip(SKIP_1) | instid1(VALU_DEP_1)
	v_cndmask_b32_e64 v6, 0, v6, s0
	v_cmp_lt_i32_e64 s0, v69, v13
	v_cndmask_b32_e64 v1, 0, v1, s0
	v_cmp_lt_i32_e64 s0, v68, v12
	s_delay_alu instid0(VALU_DEP_1) | instskip(NEXT) | instid1(VALU_DEP_1)
	v_dual_cndmask_b32 v0, 0, v0, s0 :: v_dual_bitop2_b32 v37, v9, v1 bitop3:0x54
	v_or_b32_e32 v38, v6, v0
.LBB279_1074:                           ;   in Loop: Header=BB279_941 Depth=1
	s_or_b32 exec_lo, exec_lo, s14
	;;#ASMSTART
	v_pk_mul_f16 v0, v87, v39;

	;;#ASMEND
	;;#ASMSTART
	v_pk_mul_f16 v1, v85, v48;

	;;#ASMEND
	;; [unrolled: 4-line block ×4, first 2 shown]
	;;#ASMSTART
	v_pk_add_f16 v0, v0, v1;

	;;#ASMEND
	;;#ASMSTART
	v_pk_add_f16 v0, v0, v6;

	;;#ASMEND
	;; [unrolled: 4-line block ×3, first 2 shown]
	v_and_b32_e32 v1, 0xffff, v0
	v_lshrrev_b32_e32 v0, 16, v0
	;;#ASMSTART
	v_cvt_f32_f16 v97, v1;
	;;#ASMEND
	;;#ASMSTART
	v_cvt_f32_f16 v98, v0;
	;;#ASMEND
	flat_load_b64 v[38:39], v[28:29] offset:512
	scratch_load_b64 v[0:1], off, s32 offset:192 ; 8-byte Folded Reload
	v_mov_b32_e32 v8, 0
	s_mov_b32 s14, exec_lo
	s_wait_loadcnt 0x0
	flat_load_b32 v36, v[0:1]
	s_wait_dscnt 0x1
	s_wait_xcnt 0x0
	v_and_b32_e32 v0, 0xff, v38
	v_mov_b32_e32 v1, 0
	s_delay_alu instid0(VALU_DEP_2)
	v_cmpx_ne_u16_e32 0, v0
	s_cbranch_execz .LBB279_1082
; %bb.1075:                             ;   in Loop: Header=BB279_941 Depth=1
	v_mov_b32_e32 v8, 0x8000
	s_mov_b32 s15, exec_lo
	v_cmpx_ne_u16_e32 0x80, v0
	s_cbranch_execz .LBB279_1081
; %bb.1076:                             ;   in Loop: Header=BB279_941 Depth=1
	v_and_b32_e32 v9, 0x7f, v38
	v_mov_b32_e32 v8, 0x7c01
	s_mov_b32 s16, exec_lo
	s_delay_alu instid0(VALU_DEP_2)
	v_cmpx_ne_u32_e32 0x7f, v9
	s_cbranch_execz .LBB279_1080
; %bb.1077:                             ;   in Loop: Header=BB279_941 Depth=1
	v_dual_lshrrev_b32 v6, 3, v9 :: v_dual_bitop2_b32 v0, 7, v38 bitop3:0x40
	s_mov_b32 s17, exec_lo
	v_cmpx_gt_u32_e32 8, v9
; %bb.1078:                             ;   in Loop: Header=BB279_941 Depth=1
	s_delay_alu instid0(VALU_DEP_2) | instskip(NEXT) | instid1(VALU_DEP_1)
	v_clz_i32_u32_e32 v0, v0
	v_min_u32_e32 v0, 32, v0
	s_delay_alu instid0(VALU_DEP_1) | instskip(NEXT) | instid1(VALU_DEP_1)
	v_subrev_nc_u32_e32 v6, 28, v0
	v_lshlrev_b64_e32 v[8:9], v6, v[38:39]
	v_sub_nc_u32_e32 v6, 29, v0
	s_delay_alu instid0(VALU_DEP_2)
	v_and_b32_e32 v0, 7, v8
; %bb.1079:                             ;   in Loop: Header=BB279_941 Depth=1
	s_or_b32 exec_lo, exec_lo, s17
	s_delay_alu instid0(VALU_DEP_1) | instskip(NEXT) | instid1(VALU_DEP_3)
	v_dual_lshlrev_b32 v8, 8, v38 :: v_dual_lshlrev_b32 v0, 7, v0
	v_lshl_add_u32 v6, v6, 10, 0x2000
	s_delay_alu instid0(VALU_DEP_2) | instskip(NEXT) | instid1(VALU_DEP_2)
	v_and_b32_e32 v8, 0x8000, v8
	v_and_b32_e32 v6, 0xfc00, v6
	s_delay_alu instid0(VALU_DEP_1)
	v_or3_b32 v8, v8, v6, v0
.LBB279_1080:                           ;   in Loop: Header=BB279_941 Depth=1
	s_or_b32 exec_lo, exec_lo, s16
.LBB279_1081:                           ;   in Loop: Header=BB279_941 Depth=1
	s_delay_alu instid0(SALU_CYCLE_1)
	s_or_b32 exec_lo, exec_lo, s15
.LBB279_1082:                           ;   in Loop: Header=BB279_941 Depth=1
	s_delay_alu instid0(SALU_CYCLE_1) | instskip(SKIP_2) | instid1(VALU_DEP_1)
	s_or_b32 exec_lo, exec_lo, s14
	v_lshrrev_b16 v6, 8, v38
	s_mov_b32 s14, exec_lo
	v_cmpx_ne_u16_e32 0, v6
	s_cbranch_execz .LBB279_1090
; %bb.1083:                             ;   in Loop: Header=BB279_941 Depth=1
	v_bfrev_b32_e32 v1, 1
	s_mov_b32 s15, exec_lo
	v_cmpx_ne_u16_e32 0x80, v6
	s_cbranch_execz .LBB279_1089
; %bb.1084:                             ;   in Loop: Header=BB279_941 Depth=1
	v_and_b32_e32 v0, 0xffff, v6
	v_mov_b32_e32 v1, 0x7c010000
	s_mov_b32 s16, exec_lo
	s_delay_alu instid0(VALU_DEP_2) | instskip(NEXT) | instid1(VALU_DEP_1)
	v_and_b32_e32 v16, 0x7f, v0
	v_cmpx_ne_u32_e32 0x7f, v16
	s_cbranch_execz .LBB279_1088
; %bb.1085:                             ;   in Loop: Header=BB279_941 Depth=1
	v_and_b32_e32 v1, 7, v0
	v_lshrrev_b32_e32 v9, 3, v16
	s_mov_b32 s17, exec_lo
	v_cmpx_gt_u32_e32 8, v16
; %bb.1086:                             ;   in Loop: Header=BB279_941 Depth=1
	s_delay_alu instid0(VALU_DEP_3) | instskip(NEXT) | instid1(VALU_DEP_1)
	v_clz_i32_u32_e32 v1, v1
	v_min_u32_e32 v1, 32, v1
	s_delay_alu instid0(VALU_DEP_1) | instskip(NEXT) | instid1(VALU_DEP_1)
	v_subrev_nc_u32_e32 v9, 28, v1
	v_lshlrev_b64_e32 v[16:17], v9, v[6:7]
	s_delay_alu instid0(VALU_DEP_1)
	v_dual_sub_nc_u32 v9, 29, v1 :: v_dual_bitop2_b32 v1, 7, v16 bitop3:0x40
; %bb.1087:                             ;   in Loop: Header=BB279_941 Depth=1
	s_or_b32 exec_lo, exec_lo, s17
	s_delay_alu instid0(VALU_DEP_1) | instskip(NEXT) | instid1(VALU_DEP_2)
	v_dual_lshlrev_b32 v0, 8, v0 :: v_dual_lshlrev_b32 v1, 23, v1
	v_lshl_add_u32 v6, v9, 10, 0x2000
	s_delay_alu instid0(VALU_DEP_1) | instskip(NEXT) | instid1(VALU_DEP_1)
	v_and_or_b32 v0, 0x8000, v0, v6
	v_lshl_or_b32 v1, v0, 16, v1
.LBB279_1088:                           ;   in Loop: Header=BB279_941 Depth=1
	s_or_b32 exec_lo, exec_lo, s16
.LBB279_1089:                           ;   in Loop: Header=BB279_941 Depth=1
	s_delay_alu instid0(SALU_CYCLE_1)
	s_or_b32 exec_lo, exec_lo, s15
.LBB279_1090:                           ;   in Loop: Header=BB279_941 Depth=1
	s_delay_alu instid0(SALU_CYCLE_1) | instskip(SKIP_3) | instid1(VALU_DEP_2)
	s_or_b32 exec_lo, exec_lo, s14
	v_dual_mov_b32 v9, 0 :: v_dual_lshrrev_b32 v0, 16, v38
	v_mov_b32_e32 v16, 0
	s_mov_b32 s14, exec_lo
	v_and_b32_e32 v6, 0xff, v0
	s_delay_alu instid0(VALU_DEP_1)
	v_cmpx_ne_u16_e32 0, v6
	s_cbranch_execz .LBB279_1098
; %bb.1091:                             ;   in Loop: Header=BB279_941 Depth=1
	v_mov_b32_e32 v16, 0x8000
	s_mov_b32 s15, exec_lo
	v_cmpx_ne_u16_e32 0x80, v6
	s_cbranch_execz .LBB279_1097
; %bb.1092:                             ;   in Loop: Header=BB279_941 Depth=1
	v_bfe_u32 v17, v38, 16, 7
	v_mov_b32_e32 v16, 0x7c01
	s_mov_b32 s16, exec_lo
	s_delay_alu instid0(VALU_DEP_2)
	v_cmpx_ne_u32_e32 0x7f, v17
	s_cbranch_execz .LBB279_1096
; %bb.1093:                             ;   in Loop: Header=BB279_941 Depth=1
	v_dual_lshrrev_b32 v16, 3, v17 :: v_dual_bitop2_b32 v6, 7, v0 bitop3:0x40
	s_mov_b32 s17, exec_lo
	v_cmpx_gt_u32_e32 8, v17
; %bb.1094:                             ;   in Loop: Header=BB279_941 Depth=1
	s_delay_alu instid0(VALU_DEP_2) | instskip(NEXT) | instid1(VALU_DEP_1)
	v_clz_i32_u32_e32 v6, v6
	v_min_u32_e32 v6, 32, v6
	s_delay_alu instid0(VALU_DEP_1) | instskip(NEXT) | instid1(VALU_DEP_1)
	v_subrev_nc_u32_e32 v16, 28, v6
	v_lshlrev_b64_e32 v[18:19], v16, v[0:1]
	v_sub_nc_u32_e32 v16, 29, v6
	s_delay_alu instid0(VALU_DEP_2)
	v_and_b32_e32 v6, 7, v18
; %bb.1095:                             ;   in Loop: Header=BB279_941 Depth=1
	s_or_b32 exec_lo, exec_lo, s17
	s_delay_alu instid0(VALU_DEP_1) | instskip(NEXT) | instid1(VALU_DEP_3)
	v_dual_lshlrev_b32 v0, 8, v0 :: v_dual_lshlrev_b32 v6, 7, v6
	v_lshl_add_u32 v16, v16, 10, 0x2000
	s_delay_alu instid0(VALU_DEP_2) | instskip(NEXT) | instid1(VALU_DEP_2)
	v_and_b32_e32 v0, 0x8000, v0
	v_and_b32_e32 v16, 0xfc00, v16
	s_delay_alu instid0(VALU_DEP_1)
	v_or3_b32 v16, v0, v16, v6
.LBB279_1096:                           ;   in Loop: Header=BB279_941 Depth=1
	s_or_b32 exec_lo, exec_lo, s16
.LBB279_1097:                           ;   in Loop: Header=BB279_941 Depth=1
	s_delay_alu instid0(SALU_CYCLE_1)
	s_or_b32 exec_lo, exec_lo, s15
.LBB279_1098:                           ;   in Loop: Header=BB279_941 Depth=1
	s_delay_alu instid0(SALU_CYCLE_1) | instskip(NEXT) | instid1(SALU_CYCLE_1)
	s_or_b32 exec_lo, exec_lo, s14
	s_mov_b32 s14, exec_lo
	v_cmpx_lt_u32_e32 0xffffff, v38
	s_cbranch_execz .LBB279_1106
; %bb.1099:                             ;   in Loop: Header=BB279_941 Depth=1
	v_lshrrev_b32_e32 v6, 24, v38
	v_bfrev_b32_e32 v9, 1
	s_mov_b32 s15, exec_lo
	s_delay_alu instid0(VALU_DEP_2)
	v_cmpx_ne_u32_e32 0x80, v6
	s_cbranch_execz .LBB279_1105
; %bb.1100:                             ;   in Loop: Header=BB279_941 Depth=1
	v_and_b32_e32 v17, 0x7f, v6
	v_mov_b32_e32 v9, 0x7c010000
	s_mov_b32 s16, exec_lo
	s_delay_alu instid0(VALU_DEP_2)
	v_cmpx_ne_u32_e32 0x7f, v17
	s_cbranch_execz .LBB279_1104
; %bb.1101:                             ;   in Loop: Header=BB279_941 Depth=1
	v_dual_lshrrev_b32 v9, 3, v17 :: v_dual_bitop2_b32 v0, 7, v6 bitop3:0x40
	s_mov_b32 s17, exec_lo
	v_cmpx_gt_u32_e32 8, v17
; %bb.1102:                             ;   in Loop: Header=BB279_941 Depth=1
	s_delay_alu instid0(VALU_DEP_2) | instskip(NEXT) | instid1(VALU_DEP_1)
	v_clz_i32_u32_e32 v0, v0
	v_min_u32_e32 v0, 32, v0
	s_delay_alu instid0(VALU_DEP_1) | instskip(NEXT) | instid1(VALU_DEP_1)
	v_subrev_nc_u32_e32 v9, 28, v0
	v_lshlrev_b64_e32 v[18:19], v9, v[6:7]
	s_delay_alu instid0(VALU_DEP_1)
	v_dual_sub_nc_u32 v9, 29, v0 :: v_dual_bitop2_b32 v0, 7, v18 bitop3:0x40
; %bb.1103:                             ;   in Loop: Header=BB279_941 Depth=1
	s_or_b32 exec_lo, exec_lo, s17
	s_delay_alu instid0(VALU_DEP_1) | instskip(NEXT) | instid1(VALU_DEP_2)
	v_dual_lshlrev_b32 v6, 8, v6 :: v_dual_lshlrev_b32 v0, 23, v0
	v_lshl_add_u32 v9, v9, 10, 0x2000
	s_delay_alu instid0(VALU_DEP_1) | instskip(NEXT) | instid1(VALU_DEP_1)
	v_and_or_b32 v6, 0x8000, v6, v9
	v_lshl_or_b32 v9, v6, 16, v0
.LBB279_1104:                           ;   in Loop: Header=BB279_941 Depth=1
	s_or_b32 exec_lo, exec_lo, s16
.LBB279_1105:                           ;   in Loop: Header=BB279_941 Depth=1
	s_delay_alu instid0(SALU_CYCLE_1)
	s_or_b32 exec_lo, exec_lo, s15
.LBB279_1106:                           ;   in Loop: Header=BB279_941 Depth=1
	s_delay_alu instid0(SALU_CYCLE_1) | instskip(SKIP_4) | instid1(VALU_DEP_3)
	s_or_b32 exec_lo, exec_lo, s14
	v_and_b32_e32 v0, 0xff, v39
	v_dual_mov_b32 v6, v39 :: v_dual_mov_b32 v18, 0
	v_mov_b32_e32 v17, 0
	s_mov_b32 s14, exec_lo
	v_cmpx_ne_u16_e32 0, v0
	s_cbranch_execz .LBB279_1114
; %bb.1107:                             ;   in Loop: Header=BB279_941 Depth=1
	v_mov_b32_e32 v17, 0x8000
	s_mov_b32 s15, exec_lo
	v_cmpx_ne_u16_e32 0x80, v0
	s_cbranch_execz .LBB279_1113
; %bb.1108:                             ;   in Loop: Header=BB279_941 Depth=1
	v_and_b32_e32 v19, 0x7f, v39
	v_mov_b32_e32 v17, 0x7c01
	s_mov_b32 s16, exec_lo
	s_delay_alu instid0(VALU_DEP_2)
	v_cmpx_ne_u32_e32 0x7f, v19
	s_cbranch_execz .LBB279_1112
; %bb.1109:                             ;   in Loop: Header=BB279_941 Depth=1
	v_and_b32_e32 v0, 7, v39
	v_lshrrev_b32_e32 v17, 3, v19
	s_mov_b32 s17, exec_lo
	v_cmpx_gt_u32_e32 8, v19
; %bb.1110:                             ;   in Loop: Header=BB279_941 Depth=1
	s_delay_alu instid0(VALU_DEP_3) | instskip(NEXT) | instid1(VALU_DEP_1)
	v_clz_i32_u32_e32 v0, v0
	v_min_u32_e32 v0, 32, v0
	s_delay_alu instid0(VALU_DEP_1) | instskip(NEXT) | instid1(VALU_DEP_1)
	v_subrev_nc_u32_e32 v17, 28, v0
	v_lshlrev_b64_e32 v[22:23], v17, v[6:7]
	s_delay_alu instid0(VALU_DEP_1)
	v_dual_sub_nc_u32 v17, 29, v0 :: v_dual_bitop2_b32 v0, 7, v22 bitop3:0x40
; %bb.1111:                             ;   in Loop: Header=BB279_941 Depth=1
	s_or_b32 exec_lo, exec_lo, s17
	s_delay_alu instid0(VALU_DEP_1) | instskip(NEXT) | instid1(VALU_DEP_2)
	v_dual_lshlrev_b32 v19, 8, v39 :: v_dual_lshlrev_b32 v0, 7, v0
	v_lshl_add_u32 v17, v17, 10, 0x2000
	s_delay_alu instid0(VALU_DEP_2) | instskip(NEXT) | instid1(VALU_DEP_2)
	v_and_b32_e32 v19, 0x8000, v19
	v_and_b32_e32 v17, 0xfc00, v17
	s_delay_alu instid0(VALU_DEP_1)
	v_or3_b32 v17, v19, v17, v0
.LBB279_1112:                           ;   in Loop: Header=BB279_941 Depth=1
	s_or_b32 exec_lo, exec_lo, s16
.LBB279_1113:                           ;   in Loop: Header=BB279_941 Depth=1
	s_delay_alu instid0(SALU_CYCLE_1)
	s_or_b32 exec_lo, exec_lo, s15
.LBB279_1114:                           ;   in Loop: Header=BB279_941 Depth=1
	s_delay_alu instid0(SALU_CYCLE_1) | instskip(SKIP_3) | instid1(VALU_DEP_2)
	s_or_b32 exec_lo, exec_lo, s14
	v_lshrrev_b16 v6, 8, v6
	v_mov_b32_e32 v19, 0
	s_mov_b32 s14, exec_lo
	v_cmpx_ne_u16_e32 0, v6
	s_cbranch_execz .LBB279_1122
; %bb.1115:                             ;   in Loop: Header=BB279_941 Depth=1
	v_bfrev_b32_e32 v19, 1
	s_mov_b32 s15, exec_lo
	v_cmpx_ne_u16_e32 0x80, v6
	s_cbranch_execz .LBB279_1121
; %bb.1116:                             ;   in Loop: Header=BB279_941 Depth=1
	v_and_b32_e32 v0, 0xffff, v6
	v_mov_b32_e32 v19, 0x7c010000
	s_mov_b32 s16, exec_lo
	s_delay_alu instid0(VALU_DEP_2) | instskip(NEXT) | instid1(VALU_DEP_1)
	v_and_b32_e32 v23, 0x7f, v0
	v_cmpx_ne_u32_e32 0x7f, v23
	s_cbranch_execz .LBB279_1120
; %bb.1117:                             ;   in Loop: Header=BB279_941 Depth=1
	v_dual_lshrrev_b32 v22, 3, v23 :: v_dual_bitop2_b32 v19, 7, v0 bitop3:0x40
	s_mov_b32 s17, exec_lo
	v_cmpx_gt_u32_e32 8, v23
; %bb.1118:                             ;   in Loop: Header=BB279_941 Depth=1
	s_delay_alu instid0(VALU_DEP_2) | instskip(NEXT) | instid1(VALU_DEP_1)
	v_clz_i32_u32_e32 v19, v19
	v_min_u32_e32 v19, 32, v19
	s_delay_alu instid0(VALU_DEP_1) | instskip(NEXT) | instid1(VALU_DEP_1)
	v_subrev_nc_u32_e32 v22, 28, v19
	v_lshlrev_b64_e32 v[48:49], v22, v[6:7]
	s_delay_alu instid0(VALU_DEP_1)
	v_dual_sub_nc_u32 v22, 29, v19 :: v_dual_bitop2_b32 v19, 7, v48 bitop3:0x40
; %bb.1119:                             ;   in Loop: Header=BB279_941 Depth=1
	s_or_b32 exec_lo, exec_lo, s17
	v_lshlrev_b32_e32 v0, 8, v0
	s_delay_alu instid0(VALU_DEP_2) | instskip(NEXT) | instid1(VALU_DEP_1)
	v_lshl_add_u32 v6, v22, 10, 0x2000
	v_and_or_b32 v0, 0x8000, v0, v6
	v_lshlrev_b32_e32 v6, 23, v19
	s_delay_alu instid0(VALU_DEP_1)
	v_lshl_or_b32 v19, v0, 16, v6
.LBB279_1120:                           ;   in Loop: Header=BB279_941 Depth=1
	s_or_b32 exec_lo, exec_lo, s16
.LBB279_1121:                           ;   in Loop: Header=BB279_941 Depth=1
	s_delay_alu instid0(SALU_CYCLE_1)
	s_or_b32 exec_lo, exec_lo, s15
.LBB279_1122:                           ;   in Loop: Header=BB279_941 Depth=1
	s_delay_alu instid0(SALU_CYCLE_1) | instskip(SKIP_2) | instid1(VALU_DEP_1)
	s_or_b32 exec_lo, exec_lo, s14
	v_lshrrev_b32_e32 v0, 16, v39
	s_mov_b32 s14, exec_lo
	v_and_b32_e32 v6, 0xff, v0
	s_delay_alu instid0(VALU_DEP_1)
	v_cmpx_ne_u16_e32 0, v6
	s_cbranch_execz .LBB279_1130
; %bb.1123:                             ;   in Loop: Header=BB279_941 Depth=1
	v_mov_b32_e32 v18, 0x8000
	s_mov_b32 s15, exec_lo
	v_cmpx_ne_u16_e32 0x80, v6
	s_cbranch_execz .LBB279_1129
; %bb.1124:                             ;   in Loop: Header=BB279_941 Depth=1
	v_bfe_u32 v22, v39, 16, 7
	v_mov_b32_e32 v18, 0x7c01
	s_mov_b32 s16, exec_lo
	s_delay_alu instid0(VALU_DEP_2)
	v_cmpx_ne_u32_e32 0x7f, v22
	s_cbranch_execz .LBB279_1128
; %bb.1125:                             ;   in Loop: Header=BB279_941 Depth=1
	v_dual_lshrrev_b32 v18, 3, v22 :: v_dual_bitop2_b32 v6, 7, v0 bitop3:0x40
	s_mov_b32 s17, exec_lo
	v_cmpx_gt_u32_e32 8, v22
; %bb.1126:                             ;   in Loop: Header=BB279_941 Depth=1
	s_delay_alu instid0(VALU_DEP_2) | instskip(NEXT) | instid1(VALU_DEP_1)
	v_clz_i32_u32_e32 v6, v6
	v_min_u32_e32 v6, 32, v6
	s_delay_alu instid0(VALU_DEP_1) | instskip(NEXT) | instid1(VALU_DEP_1)
	v_subrev_nc_u32_e32 v18, 28, v6
	v_lshlrev_b64_e32 v[22:23], v18, v[0:1]
	v_sub_nc_u32_e32 v18, 29, v6
	s_delay_alu instid0(VALU_DEP_2)
	v_and_b32_e32 v6, 7, v22
; %bb.1127:                             ;   in Loop: Header=BB279_941 Depth=1
	s_or_b32 exec_lo, exec_lo, s17
	s_delay_alu instid0(VALU_DEP_1) | instskip(NEXT) | instid1(VALU_DEP_3)
	v_dual_lshlrev_b32 v0, 8, v0 :: v_dual_lshlrev_b32 v6, 7, v6
	v_lshl_add_u32 v18, v18, 10, 0x2000
	s_delay_alu instid0(VALU_DEP_2) | instskip(NEXT) | instid1(VALU_DEP_2)
	v_and_b32_e32 v0, 0x8000, v0
	v_and_b32_e32 v18, 0xfc00, v18
	s_delay_alu instid0(VALU_DEP_1)
	v_or3_b32 v18, v0, v18, v6
.LBB279_1128:                           ;   in Loop: Header=BB279_941 Depth=1
	s_or_b32 exec_lo, exec_lo, s16
.LBB279_1129:                           ;   in Loop: Header=BB279_941 Depth=1
	s_delay_alu instid0(SALU_CYCLE_1)
	s_or_b32 exec_lo, exec_lo, s15
.LBB279_1130:                           ;   in Loop: Header=BB279_941 Depth=1
	s_delay_alu instid0(SALU_CYCLE_1)
	s_or_b32 exec_lo, exec_lo, s14
	v_mov_b32_e32 v0, 0
	s_mov_b32 s14, exec_lo
	v_cmpx_lt_u64_e64 s[2:3], v[38:39]
	s_cbranch_execz .LBB279_1138
; %bb.1131:                             ;   in Loop: Header=BB279_941 Depth=1
	v_lshrrev_b32_e32 v6, 24, v39
	v_bfrev_b32_e32 v0, 1
	s_mov_b32 s15, exec_lo
	s_delay_alu instid0(VALU_DEP_2)
	v_cmpx_ne_u32_e32 0x80, v6
	s_cbranch_execz .LBB279_1137
; %bb.1132:                             ;   in Loop: Header=BB279_941 Depth=1
	v_and_b32_e32 v23, 0x7f, v6
	v_mov_b32_e32 v0, 0x7c010000
	s_mov_b32 s16, exec_lo
	s_delay_alu instid0(VALU_DEP_2)
	v_cmpx_ne_u32_e32 0x7f, v23
	s_cbranch_execz .LBB279_1136
; %bb.1133:                             ;   in Loop: Header=BB279_941 Depth=1
	v_dual_lshrrev_b32 v22, 3, v23 :: v_dual_bitop2_b32 v0, 7, v6 bitop3:0x40
	s_mov_b32 s17, exec_lo
	v_cmpx_gt_u32_e32 8, v23
; %bb.1134:                             ;   in Loop: Header=BB279_941 Depth=1
	s_delay_alu instid0(VALU_DEP_2) | instskip(NEXT) | instid1(VALU_DEP_1)
	v_clz_i32_u32_e32 v0, v0
	v_min_u32_e32 v0, 32, v0
	s_delay_alu instid0(VALU_DEP_1) | instskip(NEXT) | instid1(VALU_DEP_1)
	v_subrev_nc_u32_e32 v22, 28, v0
	v_lshlrev_b64_e32 v[38:39], v22, v[6:7]
	s_delay_alu instid0(VALU_DEP_1)
	v_dual_sub_nc_u32 v22, 29, v0 :: v_dual_bitop2_b32 v0, 7, v38 bitop3:0x40
; %bb.1135:                             ;   in Loop: Header=BB279_941 Depth=1
	s_or_b32 exec_lo, exec_lo, s17
	s_delay_alu instid0(VALU_DEP_1) | instskip(NEXT) | instid1(VALU_DEP_2)
	v_dual_lshlrev_b32 v6, 8, v6 :: v_dual_lshlrev_b32 v0, 23, v0
	v_lshl_add_u32 v22, v22, 10, 0x2000
	s_delay_alu instid0(VALU_DEP_1) | instskip(NEXT) | instid1(VALU_DEP_1)
	v_and_or_b32 v6, 0x8000, v6, v22
	v_lshl_or_b32 v0, v6, 16, v0
.LBB279_1136:                           ;   in Loop: Header=BB279_941 Depth=1
	s_or_b32 exec_lo, exec_lo, s16
.LBB279_1137:                           ;   in Loop: Header=BB279_941 Depth=1
	s_delay_alu instid0(SALU_CYCLE_1)
	s_or_b32 exec_lo, exec_lo, s15
.LBB279_1138:                           ;   in Loop: Header=BB279_941 Depth=1
	s_delay_alu instid0(SALU_CYCLE_1) | instskip(SKIP_2) | instid1(VALU_DEP_2)
	s_or_b32 exec_lo, exec_lo, s14
	v_dual_lshrrev_b32 v6, 16, v1 :: v_dual_bitop2_b32 v1, v1, v8 bitop3:0x54
	v_dual_lshrrev_b32 v22, 16, v9 :: v_dual_bitop2_b32 v16, v9, v16 bitop3:0x54
	v_cvt_f32_f16_e32 v9, v6
	v_dual_lshrrev_b32 v18, 16, v19 :: v_dual_bitop2_b32 v6, v0, v18 bitop3:0x54
	s_delay_alu instid0(VALU_DEP_3)
	v_cvt_f32_f16_e32 v8, v22
	v_dual_lshrrev_b32 v22, 16, v0 :: v_dual_bitop2_b32 v19, v19, v17 bitop3:0x54
	v_cvt_f32_f16_e32 v0, v16
	v_cvt_f32_f16_e32 v1, v1
	s_wait_loadcnt_dscnt 0x0
	v_pk_mul_f32 v[8:9], v[36:37], v[8:9] op_sel_hi:[0,1]
	v_cvt_f32_f16_e32 v17, v18
	v_cvt_f32_f16_e32 v16, v22
	;; [unrolled: 1-line block ×4, first 2 shown]
	v_pk_mul_f32 v[0:1], v[36:37], v[0:1] op_sel_hi:[0,1]
	v_cvt_pk_f16_f32 v6, v8, v9
	v_pk_mul_f32 v[8:9], v[36:37], v[16:17] op_sel_hi:[0,1]
	s_delay_alu instid0(VALU_DEP_4) | instskip(NEXT) | instid1(VALU_DEP_4)
	v_pk_mul_f32 v[16:17], v[36:37], v[18:19] op_sel_hi:[0,1]
	v_cvt_pk_f16_f32 v0, v0, v1
	s_delay_alu instid0(VALU_DEP_4) | instskip(NEXT) | instid1(VALU_DEP_4)
	v_and_b32_e32 v19, 0xffff0000, v6
	v_cvt_pk_f16_f32 v8, v8, v9
	v_lshlrev_b32_e32 v36, 16, v6
	v_cvt_pk_f16_f32 v6, v16, v17
	v_lshrrev_b32_e32 v49, 16, v0
	v_and_b32_e32 v50, 0xffff, v0
	v_and_b32_e32 v1, 0xffff0000, v8
	s_delay_alu instid0(VALU_DEP_4) | instskip(SKIP_3) | instid1(VALU_DEP_4)
	v_dual_lshlrev_b32 v0, 16, v8 :: v_dual_lshrrev_b32 v9, 16, v6
	v_and_b32_e32 v6, 0xffff, v6
	v_or_b32_e32 v39, v19, v49
	v_or_b32_e32 v48, v36, v50
	;; [unrolled: 1-line block ×3, first 2 shown]
	s_delay_alu instid0(VALU_DEP_4)
	v_or_b32_e32 v38, v0, v6
	s_and_saveexec_b32 s14, vcc_lo
	s_cbranch_execz .LBB279_1140
; %bb.1139:                             ;   in Loop: Header=BB279_941 Depth=1
	v_cmp_lt_i32_e64 s0, v67, v13
	s_delay_alu instid0(VALU_DEP_1) | instskip(SKIP_1) | instid1(VALU_DEP_1)
	v_cndmask_b32_e64 v8, 0, v49, s0
	v_cmp_lt_i32_e64 s0, v82, v12
	v_cndmask_b32_e64 v16, 0, v50, s0
	v_cmp_lt_i32_e64 s0, v81, v13
	s_delay_alu instid0(VALU_DEP_1) | instskip(SKIP_1) | instid1(VALU_DEP_1)
	v_cndmask_b32_e64 v17, 0, v19, s0
	v_cmp_lt_i32_e64 s0, v80, v12
	v_cndmask_b32_e64 v18, 0, v36, s0
	v_cmp_lt_i32_e64 s0, v71, v13
	s_delay_alu instid0(VALU_DEP_4) | instskip(NEXT) | instid1(VALU_DEP_2)
	v_or_b32_e32 v39, v8, v17
	v_dual_cndmask_b32 v9, 0, v9, s0 :: v_dual_bitop2_b32 v48, v16, v18 bitop3:0x54
	v_cmp_lt_i32_e64 s0, v70, v12
	s_delay_alu instid0(VALU_DEP_1) | instskip(SKIP_1) | instid1(VALU_DEP_1)
	v_cndmask_b32_e64 v6, 0, v6, s0
	v_cmp_lt_i32_e64 s0, v69, v13
	v_cndmask_b32_e64 v1, 0, v1, s0
	v_cmp_lt_i32_e64 s0, v68, v12
	s_delay_alu instid0(VALU_DEP_1) | instskip(NEXT) | instid1(VALU_DEP_1)
	v_dual_cndmask_b32 v0, 0, v0, s0 :: v_dual_bitop2_b32 v37, v9, v1 bitop3:0x54
	v_or_b32_e32 v38, v6, v0
.LBB279_1140:                           ;   in Loop: Header=BB279_941 Depth=1
	s_or_b32 exec_lo, exec_lo, s14
	;;#ASMSTART
	v_pk_mul_f16 v0, v87, v39;

	;;#ASMEND
	;;#ASMSTART
	v_pk_mul_f16 v1, v85, v48;

	;;#ASMEND
	;; [unrolled: 4-line block ×4, first 2 shown]
	;;#ASMSTART
	v_pk_add_f16 v0, v0, v1;

	;;#ASMEND
	;;#ASMSTART
	v_pk_add_f16 v0, v0, v6;

	;;#ASMEND
	;; [unrolled: 4-line block ×3, first 2 shown]
	v_and_b32_e32 v1, 0xffff, v0
	v_lshrrev_b32_e32 v0, 16, v0
	;;#ASMSTART
	v_cvt_f32_f16 v99, v1;
	;;#ASMEND
	;;#ASMSTART
	v_cvt_f32_f16 v100, v0;
	;;#ASMEND
	flat_load_b64 v[38:39], v[28:29] offset:768
	scratch_load_b64 v[0:1], off, s32 offset:192 ; 8-byte Folded Reload
	v_mov_b32_e32 v8, 0
	s_mov_b32 s14, exec_lo
	s_wait_loadcnt 0x0
	flat_load_b32 v36, v[0:1]
	s_wait_dscnt 0x1
	s_wait_xcnt 0x0
	v_and_b32_e32 v0, 0xff, v38
	v_mov_b32_e32 v1, 0
	s_delay_alu instid0(VALU_DEP_2)
	v_cmpx_ne_u16_e32 0, v0
	s_cbranch_execz .LBB279_1148
; %bb.1141:                             ;   in Loop: Header=BB279_941 Depth=1
	v_mov_b32_e32 v8, 0x8000
	s_mov_b32 s15, exec_lo
	v_cmpx_ne_u16_e32 0x80, v0
	s_cbranch_execz .LBB279_1147
; %bb.1142:                             ;   in Loop: Header=BB279_941 Depth=1
	v_and_b32_e32 v9, 0x7f, v38
	v_mov_b32_e32 v8, 0x7c01
	s_mov_b32 s16, exec_lo
	s_delay_alu instid0(VALU_DEP_2)
	v_cmpx_ne_u32_e32 0x7f, v9
	s_cbranch_execz .LBB279_1146
; %bb.1143:                             ;   in Loop: Header=BB279_941 Depth=1
	v_dual_lshrrev_b32 v6, 3, v9 :: v_dual_bitop2_b32 v0, 7, v38 bitop3:0x40
	s_mov_b32 s17, exec_lo
	v_cmpx_gt_u32_e32 8, v9
; %bb.1144:                             ;   in Loop: Header=BB279_941 Depth=1
	s_delay_alu instid0(VALU_DEP_2) | instskip(NEXT) | instid1(VALU_DEP_1)
	v_clz_i32_u32_e32 v0, v0
	v_min_u32_e32 v0, 32, v0
	s_delay_alu instid0(VALU_DEP_1) | instskip(NEXT) | instid1(VALU_DEP_1)
	v_subrev_nc_u32_e32 v6, 28, v0
	v_lshlrev_b64_e32 v[8:9], v6, v[38:39]
	v_sub_nc_u32_e32 v6, 29, v0
	s_delay_alu instid0(VALU_DEP_2)
	v_and_b32_e32 v0, 7, v8
; %bb.1145:                             ;   in Loop: Header=BB279_941 Depth=1
	s_or_b32 exec_lo, exec_lo, s17
	s_delay_alu instid0(VALU_DEP_1) | instskip(NEXT) | instid1(VALU_DEP_3)
	v_dual_lshlrev_b32 v8, 8, v38 :: v_dual_lshlrev_b32 v0, 7, v0
	v_lshl_add_u32 v6, v6, 10, 0x2000
	s_delay_alu instid0(VALU_DEP_2) | instskip(NEXT) | instid1(VALU_DEP_2)
	v_and_b32_e32 v8, 0x8000, v8
	v_and_b32_e32 v6, 0xfc00, v6
	s_delay_alu instid0(VALU_DEP_1)
	v_or3_b32 v8, v8, v6, v0
.LBB279_1146:                           ;   in Loop: Header=BB279_941 Depth=1
	s_or_b32 exec_lo, exec_lo, s16
.LBB279_1147:                           ;   in Loop: Header=BB279_941 Depth=1
	s_delay_alu instid0(SALU_CYCLE_1)
	s_or_b32 exec_lo, exec_lo, s15
.LBB279_1148:                           ;   in Loop: Header=BB279_941 Depth=1
	s_delay_alu instid0(SALU_CYCLE_1) | instskip(SKIP_2) | instid1(VALU_DEP_1)
	s_or_b32 exec_lo, exec_lo, s14
	v_lshrrev_b16 v6, 8, v38
	s_mov_b32 s14, exec_lo
	v_cmpx_ne_u16_e32 0, v6
	s_cbranch_execz .LBB279_1156
; %bb.1149:                             ;   in Loop: Header=BB279_941 Depth=1
	v_bfrev_b32_e32 v1, 1
	s_mov_b32 s15, exec_lo
	v_cmpx_ne_u16_e32 0x80, v6
	s_cbranch_execz .LBB279_1155
; %bb.1150:                             ;   in Loop: Header=BB279_941 Depth=1
	v_and_b32_e32 v0, 0xffff, v6
	v_mov_b32_e32 v1, 0x7c010000
	s_mov_b32 s16, exec_lo
	s_delay_alu instid0(VALU_DEP_2) | instskip(NEXT) | instid1(VALU_DEP_1)
	v_and_b32_e32 v16, 0x7f, v0
	v_cmpx_ne_u32_e32 0x7f, v16
	s_cbranch_execz .LBB279_1154
; %bb.1151:                             ;   in Loop: Header=BB279_941 Depth=1
	v_and_b32_e32 v1, 7, v0
	v_lshrrev_b32_e32 v9, 3, v16
	s_mov_b32 s17, exec_lo
	v_cmpx_gt_u32_e32 8, v16
; %bb.1152:                             ;   in Loop: Header=BB279_941 Depth=1
	s_delay_alu instid0(VALU_DEP_3) | instskip(NEXT) | instid1(VALU_DEP_1)
	v_clz_i32_u32_e32 v1, v1
	v_min_u32_e32 v1, 32, v1
	s_delay_alu instid0(VALU_DEP_1) | instskip(NEXT) | instid1(VALU_DEP_1)
	v_subrev_nc_u32_e32 v9, 28, v1
	v_lshlrev_b64_e32 v[16:17], v9, v[6:7]
	s_delay_alu instid0(VALU_DEP_1)
	v_dual_sub_nc_u32 v9, 29, v1 :: v_dual_bitop2_b32 v1, 7, v16 bitop3:0x40
; %bb.1153:                             ;   in Loop: Header=BB279_941 Depth=1
	s_or_b32 exec_lo, exec_lo, s17
	s_delay_alu instid0(VALU_DEP_1) | instskip(NEXT) | instid1(VALU_DEP_2)
	v_dual_lshlrev_b32 v0, 8, v0 :: v_dual_lshlrev_b32 v1, 23, v1
	v_lshl_add_u32 v6, v9, 10, 0x2000
	s_delay_alu instid0(VALU_DEP_1) | instskip(NEXT) | instid1(VALU_DEP_1)
	v_and_or_b32 v0, 0x8000, v0, v6
	v_lshl_or_b32 v1, v0, 16, v1
.LBB279_1154:                           ;   in Loop: Header=BB279_941 Depth=1
	s_or_b32 exec_lo, exec_lo, s16
.LBB279_1155:                           ;   in Loop: Header=BB279_941 Depth=1
	s_delay_alu instid0(SALU_CYCLE_1)
	s_or_b32 exec_lo, exec_lo, s15
.LBB279_1156:                           ;   in Loop: Header=BB279_941 Depth=1
	s_delay_alu instid0(SALU_CYCLE_1) | instskip(SKIP_3) | instid1(VALU_DEP_2)
	s_or_b32 exec_lo, exec_lo, s14
	v_dual_mov_b32 v9, 0 :: v_dual_lshrrev_b32 v0, 16, v38
	v_mov_b32_e32 v16, 0
	s_mov_b32 s14, exec_lo
	v_and_b32_e32 v6, 0xff, v0
	s_delay_alu instid0(VALU_DEP_1)
	v_cmpx_ne_u16_e32 0, v6
	s_cbranch_execz .LBB279_1164
; %bb.1157:                             ;   in Loop: Header=BB279_941 Depth=1
	v_mov_b32_e32 v16, 0x8000
	s_mov_b32 s15, exec_lo
	v_cmpx_ne_u16_e32 0x80, v6
	s_cbranch_execz .LBB279_1163
; %bb.1158:                             ;   in Loop: Header=BB279_941 Depth=1
	v_bfe_u32 v17, v38, 16, 7
	v_mov_b32_e32 v16, 0x7c01
	s_mov_b32 s16, exec_lo
	s_delay_alu instid0(VALU_DEP_2)
	v_cmpx_ne_u32_e32 0x7f, v17
	s_cbranch_execz .LBB279_1162
; %bb.1159:                             ;   in Loop: Header=BB279_941 Depth=1
	v_dual_lshrrev_b32 v16, 3, v17 :: v_dual_bitop2_b32 v6, 7, v0 bitop3:0x40
	s_mov_b32 s17, exec_lo
	v_cmpx_gt_u32_e32 8, v17
; %bb.1160:                             ;   in Loop: Header=BB279_941 Depth=1
	s_delay_alu instid0(VALU_DEP_2) | instskip(NEXT) | instid1(VALU_DEP_1)
	v_clz_i32_u32_e32 v6, v6
	v_min_u32_e32 v6, 32, v6
	s_delay_alu instid0(VALU_DEP_1) | instskip(NEXT) | instid1(VALU_DEP_1)
	v_subrev_nc_u32_e32 v16, 28, v6
	v_lshlrev_b64_e32 v[18:19], v16, v[0:1]
	v_sub_nc_u32_e32 v16, 29, v6
	s_delay_alu instid0(VALU_DEP_2)
	v_and_b32_e32 v6, 7, v18
; %bb.1161:                             ;   in Loop: Header=BB279_941 Depth=1
	s_or_b32 exec_lo, exec_lo, s17
	s_delay_alu instid0(VALU_DEP_1) | instskip(NEXT) | instid1(VALU_DEP_3)
	v_dual_lshlrev_b32 v0, 8, v0 :: v_dual_lshlrev_b32 v6, 7, v6
	v_lshl_add_u32 v16, v16, 10, 0x2000
	s_delay_alu instid0(VALU_DEP_2) | instskip(NEXT) | instid1(VALU_DEP_2)
	v_and_b32_e32 v0, 0x8000, v0
	v_and_b32_e32 v16, 0xfc00, v16
	s_delay_alu instid0(VALU_DEP_1)
	v_or3_b32 v16, v0, v16, v6
.LBB279_1162:                           ;   in Loop: Header=BB279_941 Depth=1
	s_or_b32 exec_lo, exec_lo, s16
.LBB279_1163:                           ;   in Loop: Header=BB279_941 Depth=1
	s_delay_alu instid0(SALU_CYCLE_1)
	s_or_b32 exec_lo, exec_lo, s15
.LBB279_1164:                           ;   in Loop: Header=BB279_941 Depth=1
	s_delay_alu instid0(SALU_CYCLE_1) | instskip(NEXT) | instid1(SALU_CYCLE_1)
	s_or_b32 exec_lo, exec_lo, s14
	s_mov_b32 s14, exec_lo
	v_cmpx_lt_u32_e32 0xffffff, v38
	s_cbranch_execz .LBB279_1172
; %bb.1165:                             ;   in Loop: Header=BB279_941 Depth=1
	v_lshrrev_b32_e32 v6, 24, v38
	v_bfrev_b32_e32 v9, 1
	s_mov_b32 s15, exec_lo
	s_delay_alu instid0(VALU_DEP_2)
	v_cmpx_ne_u32_e32 0x80, v6
	s_cbranch_execz .LBB279_1171
; %bb.1166:                             ;   in Loop: Header=BB279_941 Depth=1
	v_and_b32_e32 v17, 0x7f, v6
	v_mov_b32_e32 v9, 0x7c010000
	s_mov_b32 s16, exec_lo
	s_delay_alu instid0(VALU_DEP_2)
	v_cmpx_ne_u32_e32 0x7f, v17
	s_cbranch_execz .LBB279_1170
; %bb.1167:                             ;   in Loop: Header=BB279_941 Depth=1
	v_dual_lshrrev_b32 v9, 3, v17 :: v_dual_bitop2_b32 v0, 7, v6 bitop3:0x40
	s_mov_b32 s17, exec_lo
	v_cmpx_gt_u32_e32 8, v17
; %bb.1168:                             ;   in Loop: Header=BB279_941 Depth=1
	s_delay_alu instid0(VALU_DEP_2) | instskip(NEXT) | instid1(VALU_DEP_1)
	v_clz_i32_u32_e32 v0, v0
	v_min_u32_e32 v0, 32, v0
	s_delay_alu instid0(VALU_DEP_1) | instskip(NEXT) | instid1(VALU_DEP_1)
	v_subrev_nc_u32_e32 v9, 28, v0
	v_lshlrev_b64_e32 v[18:19], v9, v[6:7]
	s_delay_alu instid0(VALU_DEP_1)
	v_dual_sub_nc_u32 v9, 29, v0 :: v_dual_bitop2_b32 v0, 7, v18 bitop3:0x40
; %bb.1169:                             ;   in Loop: Header=BB279_941 Depth=1
	s_or_b32 exec_lo, exec_lo, s17
	s_delay_alu instid0(VALU_DEP_1) | instskip(NEXT) | instid1(VALU_DEP_2)
	v_dual_lshlrev_b32 v6, 8, v6 :: v_dual_lshlrev_b32 v0, 23, v0
	v_lshl_add_u32 v9, v9, 10, 0x2000
	s_delay_alu instid0(VALU_DEP_1) | instskip(NEXT) | instid1(VALU_DEP_1)
	v_and_or_b32 v6, 0x8000, v6, v9
	v_lshl_or_b32 v9, v6, 16, v0
.LBB279_1170:                           ;   in Loop: Header=BB279_941 Depth=1
	s_or_b32 exec_lo, exec_lo, s16
.LBB279_1171:                           ;   in Loop: Header=BB279_941 Depth=1
	s_delay_alu instid0(SALU_CYCLE_1)
	s_or_b32 exec_lo, exec_lo, s15
.LBB279_1172:                           ;   in Loop: Header=BB279_941 Depth=1
	s_delay_alu instid0(SALU_CYCLE_1) | instskip(SKIP_4) | instid1(VALU_DEP_3)
	s_or_b32 exec_lo, exec_lo, s14
	v_and_b32_e32 v0, 0xff, v39
	v_dual_mov_b32 v6, v39 :: v_dual_mov_b32 v18, 0
	v_mov_b32_e32 v17, 0
	s_mov_b32 s14, exec_lo
	v_cmpx_ne_u16_e32 0, v0
	s_cbranch_execz .LBB279_1180
; %bb.1173:                             ;   in Loop: Header=BB279_941 Depth=1
	v_mov_b32_e32 v17, 0x8000
	s_mov_b32 s15, exec_lo
	v_cmpx_ne_u16_e32 0x80, v0
	s_cbranch_execz .LBB279_1179
; %bb.1174:                             ;   in Loop: Header=BB279_941 Depth=1
	v_and_b32_e32 v19, 0x7f, v39
	v_mov_b32_e32 v17, 0x7c01
	s_mov_b32 s16, exec_lo
	s_delay_alu instid0(VALU_DEP_2)
	v_cmpx_ne_u32_e32 0x7f, v19
	s_cbranch_execz .LBB279_1178
; %bb.1175:                             ;   in Loop: Header=BB279_941 Depth=1
	v_and_b32_e32 v0, 7, v39
	v_lshrrev_b32_e32 v17, 3, v19
	s_mov_b32 s17, exec_lo
	v_cmpx_gt_u32_e32 8, v19
; %bb.1176:                             ;   in Loop: Header=BB279_941 Depth=1
	s_delay_alu instid0(VALU_DEP_3) | instskip(NEXT) | instid1(VALU_DEP_1)
	v_clz_i32_u32_e32 v0, v0
	v_min_u32_e32 v0, 32, v0
	s_delay_alu instid0(VALU_DEP_1) | instskip(NEXT) | instid1(VALU_DEP_1)
	v_subrev_nc_u32_e32 v17, 28, v0
	v_lshlrev_b64_e32 v[22:23], v17, v[6:7]
	s_delay_alu instid0(VALU_DEP_1)
	v_dual_sub_nc_u32 v17, 29, v0 :: v_dual_bitop2_b32 v0, 7, v22 bitop3:0x40
; %bb.1177:                             ;   in Loop: Header=BB279_941 Depth=1
	s_or_b32 exec_lo, exec_lo, s17
	s_delay_alu instid0(VALU_DEP_1) | instskip(NEXT) | instid1(VALU_DEP_2)
	v_dual_lshlrev_b32 v19, 8, v39 :: v_dual_lshlrev_b32 v0, 7, v0
	v_lshl_add_u32 v17, v17, 10, 0x2000
	s_delay_alu instid0(VALU_DEP_2) | instskip(NEXT) | instid1(VALU_DEP_2)
	v_and_b32_e32 v19, 0x8000, v19
	v_and_b32_e32 v17, 0xfc00, v17
	s_delay_alu instid0(VALU_DEP_1)
	v_or3_b32 v17, v19, v17, v0
.LBB279_1178:                           ;   in Loop: Header=BB279_941 Depth=1
	s_or_b32 exec_lo, exec_lo, s16
.LBB279_1179:                           ;   in Loop: Header=BB279_941 Depth=1
	s_delay_alu instid0(SALU_CYCLE_1)
	s_or_b32 exec_lo, exec_lo, s15
.LBB279_1180:                           ;   in Loop: Header=BB279_941 Depth=1
	s_delay_alu instid0(SALU_CYCLE_1) | instskip(SKIP_3) | instid1(VALU_DEP_2)
	s_or_b32 exec_lo, exec_lo, s14
	v_lshrrev_b16 v6, 8, v6
	v_mov_b32_e32 v19, 0
	s_mov_b32 s14, exec_lo
	v_cmpx_ne_u16_e32 0, v6
	s_cbranch_execz .LBB279_1188
; %bb.1181:                             ;   in Loop: Header=BB279_941 Depth=1
	v_bfrev_b32_e32 v19, 1
	s_mov_b32 s15, exec_lo
	v_cmpx_ne_u16_e32 0x80, v6
	s_cbranch_execz .LBB279_1187
; %bb.1182:                             ;   in Loop: Header=BB279_941 Depth=1
	v_and_b32_e32 v0, 0xffff, v6
	v_mov_b32_e32 v19, 0x7c010000
	s_mov_b32 s16, exec_lo
	s_delay_alu instid0(VALU_DEP_2) | instskip(NEXT) | instid1(VALU_DEP_1)
	v_and_b32_e32 v23, 0x7f, v0
	v_cmpx_ne_u32_e32 0x7f, v23
	s_cbranch_execz .LBB279_1186
; %bb.1183:                             ;   in Loop: Header=BB279_941 Depth=1
	v_dual_lshrrev_b32 v22, 3, v23 :: v_dual_bitop2_b32 v19, 7, v0 bitop3:0x40
	s_mov_b32 s17, exec_lo
	v_cmpx_gt_u32_e32 8, v23
; %bb.1184:                             ;   in Loop: Header=BB279_941 Depth=1
	s_delay_alu instid0(VALU_DEP_2) | instskip(NEXT) | instid1(VALU_DEP_1)
	v_clz_i32_u32_e32 v19, v19
	v_min_u32_e32 v19, 32, v19
	s_delay_alu instid0(VALU_DEP_1) | instskip(NEXT) | instid1(VALU_DEP_1)
	v_subrev_nc_u32_e32 v22, 28, v19
	v_lshlrev_b64_e32 v[48:49], v22, v[6:7]
	s_delay_alu instid0(VALU_DEP_1)
	v_dual_sub_nc_u32 v22, 29, v19 :: v_dual_bitop2_b32 v19, 7, v48 bitop3:0x40
; %bb.1185:                             ;   in Loop: Header=BB279_941 Depth=1
	s_or_b32 exec_lo, exec_lo, s17
	v_lshlrev_b32_e32 v0, 8, v0
	s_delay_alu instid0(VALU_DEP_2) | instskip(NEXT) | instid1(VALU_DEP_1)
	v_lshl_add_u32 v6, v22, 10, 0x2000
	v_and_or_b32 v0, 0x8000, v0, v6
	v_lshlrev_b32_e32 v6, 23, v19
	s_delay_alu instid0(VALU_DEP_1)
	v_lshl_or_b32 v19, v0, 16, v6
.LBB279_1186:                           ;   in Loop: Header=BB279_941 Depth=1
	s_or_b32 exec_lo, exec_lo, s16
.LBB279_1187:                           ;   in Loop: Header=BB279_941 Depth=1
	s_delay_alu instid0(SALU_CYCLE_1)
	s_or_b32 exec_lo, exec_lo, s15
.LBB279_1188:                           ;   in Loop: Header=BB279_941 Depth=1
	s_delay_alu instid0(SALU_CYCLE_1) | instskip(SKIP_2) | instid1(VALU_DEP_1)
	s_or_b32 exec_lo, exec_lo, s14
	v_lshrrev_b32_e32 v0, 16, v39
	s_mov_b32 s14, exec_lo
	v_and_b32_e32 v6, 0xff, v0
	s_delay_alu instid0(VALU_DEP_1)
	v_cmpx_ne_u16_e32 0, v6
	s_cbranch_execz .LBB279_1196
; %bb.1189:                             ;   in Loop: Header=BB279_941 Depth=1
	v_mov_b32_e32 v18, 0x8000
	s_mov_b32 s15, exec_lo
	v_cmpx_ne_u16_e32 0x80, v6
	s_cbranch_execz .LBB279_1195
; %bb.1190:                             ;   in Loop: Header=BB279_941 Depth=1
	v_bfe_u32 v22, v39, 16, 7
	v_mov_b32_e32 v18, 0x7c01
	s_mov_b32 s16, exec_lo
	s_delay_alu instid0(VALU_DEP_2)
	v_cmpx_ne_u32_e32 0x7f, v22
	s_cbranch_execz .LBB279_1194
; %bb.1191:                             ;   in Loop: Header=BB279_941 Depth=1
	v_dual_lshrrev_b32 v18, 3, v22 :: v_dual_bitop2_b32 v6, 7, v0 bitop3:0x40
	s_mov_b32 s17, exec_lo
	v_cmpx_gt_u32_e32 8, v22
; %bb.1192:                             ;   in Loop: Header=BB279_941 Depth=1
	s_delay_alu instid0(VALU_DEP_2) | instskip(NEXT) | instid1(VALU_DEP_1)
	v_clz_i32_u32_e32 v6, v6
	v_min_u32_e32 v6, 32, v6
	s_delay_alu instid0(VALU_DEP_1) | instskip(NEXT) | instid1(VALU_DEP_1)
	v_subrev_nc_u32_e32 v18, 28, v6
	v_lshlrev_b64_e32 v[22:23], v18, v[0:1]
	v_sub_nc_u32_e32 v18, 29, v6
	s_delay_alu instid0(VALU_DEP_2)
	v_and_b32_e32 v6, 7, v22
; %bb.1193:                             ;   in Loop: Header=BB279_941 Depth=1
	s_or_b32 exec_lo, exec_lo, s17
	s_delay_alu instid0(VALU_DEP_1) | instskip(NEXT) | instid1(VALU_DEP_3)
	v_dual_lshlrev_b32 v0, 8, v0 :: v_dual_lshlrev_b32 v6, 7, v6
	v_lshl_add_u32 v18, v18, 10, 0x2000
	s_delay_alu instid0(VALU_DEP_2) | instskip(NEXT) | instid1(VALU_DEP_2)
	v_and_b32_e32 v0, 0x8000, v0
	v_and_b32_e32 v18, 0xfc00, v18
	s_delay_alu instid0(VALU_DEP_1)
	v_or3_b32 v18, v0, v18, v6
.LBB279_1194:                           ;   in Loop: Header=BB279_941 Depth=1
	s_or_b32 exec_lo, exec_lo, s16
.LBB279_1195:                           ;   in Loop: Header=BB279_941 Depth=1
	s_delay_alu instid0(SALU_CYCLE_1)
	s_or_b32 exec_lo, exec_lo, s15
.LBB279_1196:                           ;   in Loop: Header=BB279_941 Depth=1
	s_delay_alu instid0(SALU_CYCLE_1)
	s_or_b32 exec_lo, exec_lo, s14
	v_mov_b32_e32 v0, 0
	s_mov_b32 s14, exec_lo
	v_cmpx_lt_u64_e64 s[2:3], v[38:39]
	s_cbranch_execz .LBB279_1204
; %bb.1197:                             ;   in Loop: Header=BB279_941 Depth=1
	v_lshrrev_b32_e32 v6, 24, v39
	v_bfrev_b32_e32 v0, 1
	s_mov_b32 s15, exec_lo
	s_delay_alu instid0(VALU_DEP_2)
	v_cmpx_ne_u32_e32 0x80, v6
	s_cbranch_execz .LBB279_1203
; %bb.1198:                             ;   in Loop: Header=BB279_941 Depth=1
	v_and_b32_e32 v23, 0x7f, v6
	v_mov_b32_e32 v0, 0x7c010000
	s_mov_b32 s16, exec_lo
	s_delay_alu instid0(VALU_DEP_2)
	v_cmpx_ne_u32_e32 0x7f, v23
	s_cbranch_execz .LBB279_1202
; %bb.1199:                             ;   in Loop: Header=BB279_941 Depth=1
	v_dual_lshrrev_b32 v22, 3, v23 :: v_dual_bitop2_b32 v0, 7, v6 bitop3:0x40
	s_mov_b32 s17, exec_lo
	v_cmpx_gt_u32_e32 8, v23
; %bb.1200:                             ;   in Loop: Header=BB279_941 Depth=1
	s_delay_alu instid0(VALU_DEP_2) | instskip(NEXT) | instid1(VALU_DEP_1)
	v_clz_i32_u32_e32 v0, v0
	v_min_u32_e32 v0, 32, v0
	s_delay_alu instid0(VALU_DEP_1) | instskip(NEXT) | instid1(VALU_DEP_1)
	v_subrev_nc_u32_e32 v22, 28, v0
	v_lshlrev_b64_e32 v[38:39], v22, v[6:7]
	s_delay_alu instid0(VALU_DEP_1)
	v_dual_sub_nc_u32 v22, 29, v0 :: v_dual_bitop2_b32 v0, 7, v38 bitop3:0x40
; %bb.1201:                             ;   in Loop: Header=BB279_941 Depth=1
	s_or_b32 exec_lo, exec_lo, s17
	s_delay_alu instid0(VALU_DEP_1) | instskip(NEXT) | instid1(VALU_DEP_2)
	v_dual_lshlrev_b32 v6, 8, v6 :: v_dual_lshlrev_b32 v0, 23, v0
	v_lshl_add_u32 v22, v22, 10, 0x2000
	s_delay_alu instid0(VALU_DEP_1) | instskip(NEXT) | instid1(VALU_DEP_1)
	v_and_or_b32 v6, 0x8000, v6, v22
	v_lshl_or_b32 v0, v6, 16, v0
.LBB279_1202:                           ;   in Loop: Header=BB279_941 Depth=1
	s_or_b32 exec_lo, exec_lo, s16
.LBB279_1203:                           ;   in Loop: Header=BB279_941 Depth=1
	s_delay_alu instid0(SALU_CYCLE_1)
	s_or_b32 exec_lo, exec_lo, s15
.LBB279_1204:                           ;   in Loop: Header=BB279_941 Depth=1
	s_delay_alu instid0(SALU_CYCLE_1) | instskip(SKIP_2) | instid1(VALU_DEP_2)
	s_or_b32 exec_lo, exec_lo, s14
	v_dual_lshrrev_b32 v6, 16, v1 :: v_dual_bitop2_b32 v1, v1, v8 bitop3:0x54
	v_dual_lshrrev_b32 v22, 16, v9 :: v_dual_bitop2_b32 v16, v9, v16 bitop3:0x54
	v_cvt_f32_f16_e32 v9, v6
	v_dual_lshrrev_b32 v18, 16, v19 :: v_dual_bitop2_b32 v6, v0, v18 bitop3:0x54
	s_delay_alu instid0(VALU_DEP_3)
	v_cvt_f32_f16_e32 v8, v22
	v_dual_lshrrev_b32 v22, 16, v0 :: v_dual_bitop2_b32 v19, v19, v17 bitop3:0x54
	v_cvt_f32_f16_e32 v0, v16
	v_cvt_f32_f16_e32 v1, v1
	s_wait_loadcnt_dscnt 0x0
	v_pk_mul_f32 v[8:9], v[36:37], v[8:9] op_sel_hi:[0,1]
	v_cvt_f32_f16_e32 v17, v18
	v_cvt_f32_f16_e32 v16, v22
	;; [unrolled: 1-line block ×4, first 2 shown]
	v_pk_mul_f32 v[0:1], v[36:37], v[0:1] op_sel_hi:[0,1]
	v_cvt_pk_f16_f32 v6, v8, v9
	v_pk_mul_f32 v[8:9], v[36:37], v[16:17] op_sel_hi:[0,1]
	s_delay_alu instid0(VALU_DEP_4) | instskip(NEXT) | instid1(VALU_DEP_4)
	v_pk_mul_f32 v[16:17], v[36:37], v[18:19] op_sel_hi:[0,1]
	v_cvt_pk_f16_f32 v0, v0, v1
	s_delay_alu instid0(VALU_DEP_4) | instskip(NEXT) | instid1(VALU_DEP_4)
	v_and_b32_e32 v19, 0xffff0000, v6
	v_cvt_pk_f16_f32 v8, v8, v9
	v_lshlrev_b32_e32 v36, 16, v6
	v_cvt_pk_f16_f32 v6, v16, v17
	v_lshrrev_b32_e32 v49, 16, v0
	v_and_b32_e32 v50, 0xffff, v0
	v_and_b32_e32 v1, 0xffff0000, v8
	s_delay_alu instid0(VALU_DEP_4) | instskip(SKIP_3) | instid1(VALU_DEP_4)
	v_dual_lshlrev_b32 v0, 16, v8 :: v_dual_lshrrev_b32 v9, 16, v6
	v_and_b32_e32 v6, 0xffff, v6
	v_or_b32_e32 v39, v19, v49
	v_or_b32_e32 v48, v36, v50
	;; [unrolled: 1-line block ×3, first 2 shown]
	s_delay_alu instid0(VALU_DEP_4)
	v_or_b32_e32 v38, v0, v6
	s_and_saveexec_b32 s14, vcc_lo
	s_cbranch_execz .LBB279_1206
; %bb.1205:                             ;   in Loop: Header=BB279_941 Depth=1
	v_cmp_lt_i32_e64 s0, v67, v13
	s_delay_alu instid0(VALU_DEP_1) | instskip(SKIP_1) | instid1(VALU_DEP_1)
	v_cndmask_b32_e64 v8, 0, v49, s0
	v_cmp_lt_i32_e64 s0, v82, v12
	v_cndmask_b32_e64 v16, 0, v50, s0
	v_cmp_lt_i32_e64 s0, v81, v13
	s_delay_alu instid0(VALU_DEP_1) | instskip(SKIP_1) | instid1(VALU_DEP_1)
	v_cndmask_b32_e64 v17, 0, v19, s0
	v_cmp_lt_i32_e64 s0, v80, v12
	v_cndmask_b32_e64 v18, 0, v36, s0
	v_cmp_lt_i32_e64 s0, v71, v13
	s_delay_alu instid0(VALU_DEP_4) | instskip(NEXT) | instid1(VALU_DEP_2)
	v_or_b32_e32 v39, v8, v17
	v_dual_cndmask_b32 v9, 0, v9, s0 :: v_dual_bitop2_b32 v48, v16, v18 bitop3:0x54
	v_cmp_lt_i32_e64 s0, v70, v12
	s_delay_alu instid0(VALU_DEP_1) | instskip(SKIP_1) | instid1(VALU_DEP_1)
	v_cndmask_b32_e64 v6, 0, v6, s0
	v_cmp_lt_i32_e64 s0, v69, v13
	v_cndmask_b32_e64 v1, 0, v1, s0
	v_cmp_lt_i32_e64 s0, v68, v12
	s_delay_alu instid0(VALU_DEP_1) | instskip(NEXT) | instid1(VALU_DEP_1)
	v_dual_cndmask_b32 v0, 0, v0, s0 :: v_dual_bitop2_b32 v37, v9, v1 bitop3:0x54
	v_or_b32_e32 v38, v6, v0
.LBB279_1206:                           ;   in Loop: Header=BB279_941 Depth=1
	s_or_b32 exec_lo, exec_lo, s14
	;;#ASMSTART
	v_pk_mul_f16 v0, v87, v39;

	;;#ASMEND
	;;#ASMSTART
	v_pk_mul_f16 v1, v85, v48;

	;;#ASMEND
	;; [unrolled: 4-line block ×4, first 2 shown]
	;;#ASMSTART
	v_pk_add_f16 v0, v0, v1;

	;;#ASMEND
	;;#ASMSTART
	v_pk_add_f16 v0, v0, v6;

	;;#ASMEND
	;; [unrolled: 4-line block ×3, first 2 shown]
	v_and_b32_e32 v1, 0xffff, v0
	v_lshrrev_b32_e32 v0, 16, v0
	;;#ASMSTART
	v_cvt_f32_f16 v101, v1;
	;;#ASMEND
	;;#ASMSTART
	v_cvt_f32_f16 v102, v0;
	;;#ASMEND
	flat_load_b64 v[38:39], v[28:29] offset:1024
	scratch_load_b64 v[0:1], off, s32 offset:192 ; 8-byte Folded Reload
	v_mov_b32_e32 v8, 0
	s_mov_b32 s14, exec_lo
	s_wait_loadcnt 0x0
	flat_load_b32 v36, v[0:1]
	s_wait_dscnt 0x1
	s_wait_xcnt 0x0
	v_and_b32_e32 v0, 0xff, v38
	v_mov_b32_e32 v1, 0
	s_delay_alu instid0(VALU_DEP_2)
	v_cmpx_ne_u16_e32 0, v0
	s_cbranch_execz .LBB279_1214
; %bb.1207:                             ;   in Loop: Header=BB279_941 Depth=1
	v_mov_b32_e32 v8, 0x8000
	s_mov_b32 s15, exec_lo
	v_cmpx_ne_u16_e32 0x80, v0
	s_cbranch_execz .LBB279_1213
; %bb.1208:                             ;   in Loop: Header=BB279_941 Depth=1
	v_and_b32_e32 v9, 0x7f, v38
	v_mov_b32_e32 v8, 0x7c01
	s_mov_b32 s16, exec_lo
	s_delay_alu instid0(VALU_DEP_2)
	v_cmpx_ne_u32_e32 0x7f, v9
	s_cbranch_execz .LBB279_1212
; %bb.1209:                             ;   in Loop: Header=BB279_941 Depth=1
	v_dual_lshrrev_b32 v6, 3, v9 :: v_dual_bitop2_b32 v0, 7, v38 bitop3:0x40
	s_mov_b32 s17, exec_lo
	v_cmpx_gt_u32_e32 8, v9
; %bb.1210:                             ;   in Loop: Header=BB279_941 Depth=1
	s_delay_alu instid0(VALU_DEP_2) | instskip(NEXT) | instid1(VALU_DEP_1)
	v_clz_i32_u32_e32 v0, v0
	v_min_u32_e32 v0, 32, v0
	s_delay_alu instid0(VALU_DEP_1) | instskip(NEXT) | instid1(VALU_DEP_1)
	v_subrev_nc_u32_e32 v6, 28, v0
	v_lshlrev_b64_e32 v[8:9], v6, v[38:39]
	v_sub_nc_u32_e32 v6, 29, v0
	s_delay_alu instid0(VALU_DEP_2)
	v_and_b32_e32 v0, 7, v8
; %bb.1211:                             ;   in Loop: Header=BB279_941 Depth=1
	s_or_b32 exec_lo, exec_lo, s17
	s_delay_alu instid0(VALU_DEP_1) | instskip(NEXT) | instid1(VALU_DEP_3)
	v_dual_lshlrev_b32 v8, 8, v38 :: v_dual_lshlrev_b32 v0, 7, v0
	v_lshl_add_u32 v6, v6, 10, 0x2000
	s_delay_alu instid0(VALU_DEP_2) | instskip(NEXT) | instid1(VALU_DEP_2)
	v_and_b32_e32 v8, 0x8000, v8
	v_and_b32_e32 v6, 0xfc00, v6
	s_delay_alu instid0(VALU_DEP_1)
	v_or3_b32 v8, v8, v6, v0
.LBB279_1212:                           ;   in Loop: Header=BB279_941 Depth=1
	s_or_b32 exec_lo, exec_lo, s16
.LBB279_1213:                           ;   in Loop: Header=BB279_941 Depth=1
	s_delay_alu instid0(SALU_CYCLE_1)
	s_or_b32 exec_lo, exec_lo, s15
.LBB279_1214:                           ;   in Loop: Header=BB279_941 Depth=1
	s_delay_alu instid0(SALU_CYCLE_1) | instskip(SKIP_2) | instid1(VALU_DEP_1)
	s_or_b32 exec_lo, exec_lo, s14
	v_lshrrev_b16 v6, 8, v38
	s_mov_b32 s14, exec_lo
	v_cmpx_ne_u16_e32 0, v6
	s_cbranch_execz .LBB279_1222
; %bb.1215:                             ;   in Loop: Header=BB279_941 Depth=1
	v_bfrev_b32_e32 v1, 1
	s_mov_b32 s15, exec_lo
	v_cmpx_ne_u16_e32 0x80, v6
	s_cbranch_execz .LBB279_1221
; %bb.1216:                             ;   in Loop: Header=BB279_941 Depth=1
	v_and_b32_e32 v0, 0xffff, v6
	v_mov_b32_e32 v1, 0x7c010000
	s_mov_b32 s16, exec_lo
	s_delay_alu instid0(VALU_DEP_2) | instskip(NEXT) | instid1(VALU_DEP_1)
	v_and_b32_e32 v16, 0x7f, v0
	v_cmpx_ne_u32_e32 0x7f, v16
	s_cbranch_execz .LBB279_1220
; %bb.1217:                             ;   in Loop: Header=BB279_941 Depth=1
	v_and_b32_e32 v1, 7, v0
	v_lshrrev_b32_e32 v9, 3, v16
	s_mov_b32 s17, exec_lo
	v_cmpx_gt_u32_e32 8, v16
; %bb.1218:                             ;   in Loop: Header=BB279_941 Depth=1
	s_delay_alu instid0(VALU_DEP_3) | instskip(NEXT) | instid1(VALU_DEP_1)
	v_clz_i32_u32_e32 v1, v1
	v_min_u32_e32 v1, 32, v1
	s_delay_alu instid0(VALU_DEP_1) | instskip(NEXT) | instid1(VALU_DEP_1)
	v_subrev_nc_u32_e32 v9, 28, v1
	v_lshlrev_b64_e32 v[16:17], v9, v[6:7]
	s_delay_alu instid0(VALU_DEP_1)
	v_dual_sub_nc_u32 v9, 29, v1 :: v_dual_bitop2_b32 v1, 7, v16 bitop3:0x40
; %bb.1219:                             ;   in Loop: Header=BB279_941 Depth=1
	s_or_b32 exec_lo, exec_lo, s17
	s_delay_alu instid0(VALU_DEP_1) | instskip(NEXT) | instid1(VALU_DEP_2)
	v_dual_lshlrev_b32 v0, 8, v0 :: v_dual_lshlrev_b32 v1, 23, v1
	v_lshl_add_u32 v6, v9, 10, 0x2000
	s_delay_alu instid0(VALU_DEP_1) | instskip(NEXT) | instid1(VALU_DEP_1)
	v_and_or_b32 v0, 0x8000, v0, v6
	v_lshl_or_b32 v1, v0, 16, v1
.LBB279_1220:                           ;   in Loop: Header=BB279_941 Depth=1
	s_or_b32 exec_lo, exec_lo, s16
.LBB279_1221:                           ;   in Loop: Header=BB279_941 Depth=1
	s_delay_alu instid0(SALU_CYCLE_1)
	s_or_b32 exec_lo, exec_lo, s15
.LBB279_1222:                           ;   in Loop: Header=BB279_941 Depth=1
	s_delay_alu instid0(SALU_CYCLE_1) | instskip(SKIP_3) | instid1(VALU_DEP_2)
	s_or_b32 exec_lo, exec_lo, s14
	v_dual_mov_b32 v9, 0 :: v_dual_lshrrev_b32 v0, 16, v38
	v_mov_b32_e32 v16, 0
	s_mov_b32 s14, exec_lo
	v_and_b32_e32 v6, 0xff, v0
	s_delay_alu instid0(VALU_DEP_1)
	v_cmpx_ne_u16_e32 0, v6
	s_cbranch_execz .LBB279_1230
; %bb.1223:                             ;   in Loop: Header=BB279_941 Depth=1
	v_mov_b32_e32 v16, 0x8000
	s_mov_b32 s15, exec_lo
	v_cmpx_ne_u16_e32 0x80, v6
	s_cbranch_execz .LBB279_1229
; %bb.1224:                             ;   in Loop: Header=BB279_941 Depth=1
	v_bfe_u32 v17, v38, 16, 7
	v_mov_b32_e32 v16, 0x7c01
	s_mov_b32 s16, exec_lo
	s_delay_alu instid0(VALU_DEP_2)
	v_cmpx_ne_u32_e32 0x7f, v17
	s_cbranch_execz .LBB279_1228
; %bb.1225:                             ;   in Loop: Header=BB279_941 Depth=1
	v_dual_lshrrev_b32 v16, 3, v17 :: v_dual_bitop2_b32 v6, 7, v0 bitop3:0x40
	s_mov_b32 s17, exec_lo
	v_cmpx_gt_u32_e32 8, v17
; %bb.1226:                             ;   in Loop: Header=BB279_941 Depth=1
	s_delay_alu instid0(VALU_DEP_2) | instskip(NEXT) | instid1(VALU_DEP_1)
	v_clz_i32_u32_e32 v6, v6
	v_min_u32_e32 v6, 32, v6
	s_delay_alu instid0(VALU_DEP_1) | instskip(NEXT) | instid1(VALU_DEP_1)
	v_subrev_nc_u32_e32 v16, 28, v6
	v_lshlrev_b64_e32 v[18:19], v16, v[0:1]
	v_sub_nc_u32_e32 v16, 29, v6
	s_delay_alu instid0(VALU_DEP_2)
	v_and_b32_e32 v6, 7, v18
; %bb.1227:                             ;   in Loop: Header=BB279_941 Depth=1
	s_or_b32 exec_lo, exec_lo, s17
	s_delay_alu instid0(VALU_DEP_1) | instskip(NEXT) | instid1(VALU_DEP_3)
	v_dual_lshlrev_b32 v0, 8, v0 :: v_dual_lshlrev_b32 v6, 7, v6
	v_lshl_add_u32 v16, v16, 10, 0x2000
	s_delay_alu instid0(VALU_DEP_2) | instskip(NEXT) | instid1(VALU_DEP_2)
	v_and_b32_e32 v0, 0x8000, v0
	v_and_b32_e32 v16, 0xfc00, v16
	s_delay_alu instid0(VALU_DEP_1)
	v_or3_b32 v16, v0, v16, v6
.LBB279_1228:                           ;   in Loop: Header=BB279_941 Depth=1
	s_or_b32 exec_lo, exec_lo, s16
.LBB279_1229:                           ;   in Loop: Header=BB279_941 Depth=1
	s_delay_alu instid0(SALU_CYCLE_1)
	s_or_b32 exec_lo, exec_lo, s15
.LBB279_1230:                           ;   in Loop: Header=BB279_941 Depth=1
	s_delay_alu instid0(SALU_CYCLE_1) | instskip(NEXT) | instid1(SALU_CYCLE_1)
	s_or_b32 exec_lo, exec_lo, s14
	s_mov_b32 s14, exec_lo
	v_cmpx_lt_u32_e32 0xffffff, v38
	s_cbranch_execz .LBB279_1238
; %bb.1231:                             ;   in Loop: Header=BB279_941 Depth=1
	v_lshrrev_b32_e32 v6, 24, v38
	v_bfrev_b32_e32 v9, 1
	s_mov_b32 s15, exec_lo
	s_delay_alu instid0(VALU_DEP_2)
	v_cmpx_ne_u32_e32 0x80, v6
	s_cbranch_execz .LBB279_1237
; %bb.1232:                             ;   in Loop: Header=BB279_941 Depth=1
	v_and_b32_e32 v17, 0x7f, v6
	v_mov_b32_e32 v9, 0x7c010000
	s_mov_b32 s16, exec_lo
	s_delay_alu instid0(VALU_DEP_2)
	v_cmpx_ne_u32_e32 0x7f, v17
	s_cbranch_execz .LBB279_1236
; %bb.1233:                             ;   in Loop: Header=BB279_941 Depth=1
	v_dual_lshrrev_b32 v9, 3, v17 :: v_dual_bitop2_b32 v0, 7, v6 bitop3:0x40
	s_mov_b32 s17, exec_lo
	v_cmpx_gt_u32_e32 8, v17
; %bb.1234:                             ;   in Loop: Header=BB279_941 Depth=1
	s_delay_alu instid0(VALU_DEP_2) | instskip(NEXT) | instid1(VALU_DEP_1)
	v_clz_i32_u32_e32 v0, v0
	v_min_u32_e32 v0, 32, v0
	s_delay_alu instid0(VALU_DEP_1) | instskip(NEXT) | instid1(VALU_DEP_1)
	v_subrev_nc_u32_e32 v9, 28, v0
	v_lshlrev_b64_e32 v[18:19], v9, v[6:7]
	s_delay_alu instid0(VALU_DEP_1)
	v_dual_sub_nc_u32 v9, 29, v0 :: v_dual_bitop2_b32 v0, 7, v18 bitop3:0x40
; %bb.1235:                             ;   in Loop: Header=BB279_941 Depth=1
	s_or_b32 exec_lo, exec_lo, s17
	s_delay_alu instid0(VALU_DEP_1) | instskip(NEXT) | instid1(VALU_DEP_2)
	v_dual_lshlrev_b32 v6, 8, v6 :: v_dual_lshlrev_b32 v0, 23, v0
	v_lshl_add_u32 v9, v9, 10, 0x2000
	s_delay_alu instid0(VALU_DEP_1) | instskip(NEXT) | instid1(VALU_DEP_1)
	v_and_or_b32 v6, 0x8000, v6, v9
	v_lshl_or_b32 v9, v6, 16, v0
.LBB279_1236:                           ;   in Loop: Header=BB279_941 Depth=1
	s_or_b32 exec_lo, exec_lo, s16
.LBB279_1237:                           ;   in Loop: Header=BB279_941 Depth=1
	s_delay_alu instid0(SALU_CYCLE_1)
	s_or_b32 exec_lo, exec_lo, s15
.LBB279_1238:                           ;   in Loop: Header=BB279_941 Depth=1
	s_delay_alu instid0(SALU_CYCLE_1) | instskip(SKIP_4) | instid1(VALU_DEP_3)
	s_or_b32 exec_lo, exec_lo, s14
	v_and_b32_e32 v0, 0xff, v39
	v_dual_mov_b32 v6, v39 :: v_dual_mov_b32 v18, 0
	v_mov_b32_e32 v17, 0
	s_mov_b32 s14, exec_lo
	v_cmpx_ne_u16_e32 0, v0
	s_cbranch_execz .LBB279_1246
; %bb.1239:                             ;   in Loop: Header=BB279_941 Depth=1
	v_mov_b32_e32 v17, 0x8000
	s_mov_b32 s15, exec_lo
	v_cmpx_ne_u16_e32 0x80, v0
	s_cbranch_execz .LBB279_1245
; %bb.1240:                             ;   in Loop: Header=BB279_941 Depth=1
	v_and_b32_e32 v19, 0x7f, v39
	v_mov_b32_e32 v17, 0x7c01
	s_mov_b32 s16, exec_lo
	s_delay_alu instid0(VALU_DEP_2)
	v_cmpx_ne_u32_e32 0x7f, v19
	s_cbranch_execz .LBB279_1244
; %bb.1241:                             ;   in Loop: Header=BB279_941 Depth=1
	v_and_b32_e32 v0, 7, v39
	v_lshrrev_b32_e32 v17, 3, v19
	s_mov_b32 s17, exec_lo
	v_cmpx_gt_u32_e32 8, v19
; %bb.1242:                             ;   in Loop: Header=BB279_941 Depth=1
	s_delay_alu instid0(VALU_DEP_3) | instskip(NEXT) | instid1(VALU_DEP_1)
	v_clz_i32_u32_e32 v0, v0
	v_min_u32_e32 v0, 32, v0
	s_delay_alu instid0(VALU_DEP_1) | instskip(NEXT) | instid1(VALU_DEP_1)
	v_subrev_nc_u32_e32 v17, 28, v0
	v_lshlrev_b64_e32 v[22:23], v17, v[6:7]
	s_delay_alu instid0(VALU_DEP_1)
	v_dual_sub_nc_u32 v17, 29, v0 :: v_dual_bitop2_b32 v0, 7, v22 bitop3:0x40
; %bb.1243:                             ;   in Loop: Header=BB279_941 Depth=1
	s_or_b32 exec_lo, exec_lo, s17
	s_delay_alu instid0(VALU_DEP_1) | instskip(NEXT) | instid1(VALU_DEP_2)
	v_dual_lshlrev_b32 v19, 8, v39 :: v_dual_lshlrev_b32 v0, 7, v0
	v_lshl_add_u32 v17, v17, 10, 0x2000
	s_delay_alu instid0(VALU_DEP_2) | instskip(NEXT) | instid1(VALU_DEP_2)
	v_and_b32_e32 v19, 0x8000, v19
	v_and_b32_e32 v17, 0xfc00, v17
	s_delay_alu instid0(VALU_DEP_1)
	v_or3_b32 v17, v19, v17, v0
.LBB279_1244:                           ;   in Loop: Header=BB279_941 Depth=1
	s_or_b32 exec_lo, exec_lo, s16
.LBB279_1245:                           ;   in Loop: Header=BB279_941 Depth=1
	s_delay_alu instid0(SALU_CYCLE_1)
	s_or_b32 exec_lo, exec_lo, s15
.LBB279_1246:                           ;   in Loop: Header=BB279_941 Depth=1
	s_delay_alu instid0(SALU_CYCLE_1) | instskip(SKIP_3) | instid1(VALU_DEP_2)
	s_or_b32 exec_lo, exec_lo, s14
	v_lshrrev_b16 v6, 8, v6
	v_mov_b32_e32 v19, 0
	s_mov_b32 s14, exec_lo
	v_cmpx_ne_u16_e32 0, v6
	s_cbranch_execz .LBB279_1254
; %bb.1247:                             ;   in Loop: Header=BB279_941 Depth=1
	v_bfrev_b32_e32 v19, 1
	s_mov_b32 s15, exec_lo
	v_cmpx_ne_u16_e32 0x80, v6
	s_cbranch_execz .LBB279_1253
; %bb.1248:                             ;   in Loop: Header=BB279_941 Depth=1
	v_and_b32_e32 v0, 0xffff, v6
	v_mov_b32_e32 v19, 0x7c010000
	s_mov_b32 s16, exec_lo
	s_delay_alu instid0(VALU_DEP_2) | instskip(NEXT) | instid1(VALU_DEP_1)
	v_and_b32_e32 v23, 0x7f, v0
	v_cmpx_ne_u32_e32 0x7f, v23
	s_cbranch_execz .LBB279_1252
; %bb.1249:                             ;   in Loop: Header=BB279_941 Depth=1
	v_dual_lshrrev_b32 v22, 3, v23 :: v_dual_bitop2_b32 v19, 7, v0 bitop3:0x40
	s_mov_b32 s17, exec_lo
	v_cmpx_gt_u32_e32 8, v23
; %bb.1250:                             ;   in Loop: Header=BB279_941 Depth=1
	s_delay_alu instid0(VALU_DEP_2) | instskip(NEXT) | instid1(VALU_DEP_1)
	v_clz_i32_u32_e32 v19, v19
	v_min_u32_e32 v19, 32, v19
	s_delay_alu instid0(VALU_DEP_1) | instskip(NEXT) | instid1(VALU_DEP_1)
	v_subrev_nc_u32_e32 v22, 28, v19
	v_lshlrev_b64_e32 v[48:49], v22, v[6:7]
	s_delay_alu instid0(VALU_DEP_1)
	v_dual_sub_nc_u32 v22, 29, v19 :: v_dual_bitop2_b32 v19, 7, v48 bitop3:0x40
; %bb.1251:                             ;   in Loop: Header=BB279_941 Depth=1
	s_or_b32 exec_lo, exec_lo, s17
	v_lshlrev_b32_e32 v0, 8, v0
	s_delay_alu instid0(VALU_DEP_2) | instskip(NEXT) | instid1(VALU_DEP_1)
	v_lshl_add_u32 v6, v22, 10, 0x2000
	v_and_or_b32 v0, 0x8000, v0, v6
	v_lshlrev_b32_e32 v6, 23, v19
	s_delay_alu instid0(VALU_DEP_1)
	v_lshl_or_b32 v19, v0, 16, v6
.LBB279_1252:                           ;   in Loop: Header=BB279_941 Depth=1
	s_or_b32 exec_lo, exec_lo, s16
.LBB279_1253:                           ;   in Loop: Header=BB279_941 Depth=1
	s_delay_alu instid0(SALU_CYCLE_1)
	s_or_b32 exec_lo, exec_lo, s15
.LBB279_1254:                           ;   in Loop: Header=BB279_941 Depth=1
	s_delay_alu instid0(SALU_CYCLE_1) | instskip(SKIP_2) | instid1(VALU_DEP_1)
	s_or_b32 exec_lo, exec_lo, s14
	v_lshrrev_b32_e32 v0, 16, v39
	s_mov_b32 s14, exec_lo
	v_and_b32_e32 v6, 0xff, v0
	s_delay_alu instid0(VALU_DEP_1)
	v_cmpx_ne_u16_e32 0, v6
	s_cbranch_execz .LBB279_1262
; %bb.1255:                             ;   in Loop: Header=BB279_941 Depth=1
	v_mov_b32_e32 v18, 0x8000
	s_mov_b32 s15, exec_lo
	v_cmpx_ne_u16_e32 0x80, v6
	s_cbranch_execz .LBB279_1261
; %bb.1256:                             ;   in Loop: Header=BB279_941 Depth=1
	v_bfe_u32 v22, v39, 16, 7
	v_mov_b32_e32 v18, 0x7c01
	s_mov_b32 s16, exec_lo
	s_delay_alu instid0(VALU_DEP_2)
	v_cmpx_ne_u32_e32 0x7f, v22
	s_cbranch_execz .LBB279_1260
; %bb.1257:                             ;   in Loop: Header=BB279_941 Depth=1
	v_dual_lshrrev_b32 v18, 3, v22 :: v_dual_bitop2_b32 v6, 7, v0 bitop3:0x40
	s_mov_b32 s17, exec_lo
	v_cmpx_gt_u32_e32 8, v22
; %bb.1258:                             ;   in Loop: Header=BB279_941 Depth=1
	s_delay_alu instid0(VALU_DEP_2) | instskip(NEXT) | instid1(VALU_DEP_1)
	v_clz_i32_u32_e32 v6, v6
	v_min_u32_e32 v6, 32, v6
	s_delay_alu instid0(VALU_DEP_1) | instskip(NEXT) | instid1(VALU_DEP_1)
	v_subrev_nc_u32_e32 v18, 28, v6
	v_lshlrev_b64_e32 v[22:23], v18, v[0:1]
	v_sub_nc_u32_e32 v18, 29, v6
	s_delay_alu instid0(VALU_DEP_2)
	v_and_b32_e32 v6, 7, v22
; %bb.1259:                             ;   in Loop: Header=BB279_941 Depth=1
	s_or_b32 exec_lo, exec_lo, s17
	s_delay_alu instid0(VALU_DEP_1) | instskip(NEXT) | instid1(VALU_DEP_3)
	v_dual_lshlrev_b32 v0, 8, v0 :: v_dual_lshlrev_b32 v6, 7, v6
	v_lshl_add_u32 v18, v18, 10, 0x2000
	s_delay_alu instid0(VALU_DEP_2) | instskip(NEXT) | instid1(VALU_DEP_2)
	v_and_b32_e32 v0, 0x8000, v0
	v_and_b32_e32 v18, 0xfc00, v18
	s_delay_alu instid0(VALU_DEP_1)
	v_or3_b32 v18, v0, v18, v6
.LBB279_1260:                           ;   in Loop: Header=BB279_941 Depth=1
	s_or_b32 exec_lo, exec_lo, s16
.LBB279_1261:                           ;   in Loop: Header=BB279_941 Depth=1
	s_delay_alu instid0(SALU_CYCLE_1)
	s_or_b32 exec_lo, exec_lo, s15
.LBB279_1262:                           ;   in Loop: Header=BB279_941 Depth=1
	s_delay_alu instid0(SALU_CYCLE_1)
	s_or_b32 exec_lo, exec_lo, s14
	v_mov_b32_e32 v0, 0
	s_mov_b32 s14, exec_lo
	v_cmpx_lt_u64_e64 s[2:3], v[38:39]
	s_cbranch_execz .LBB279_1270
; %bb.1263:                             ;   in Loop: Header=BB279_941 Depth=1
	v_lshrrev_b32_e32 v6, 24, v39
	v_bfrev_b32_e32 v0, 1
	s_mov_b32 s15, exec_lo
	s_delay_alu instid0(VALU_DEP_2)
	v_cmpx_ne_u32_e32 0x80, v6
	s_cbranch_execz .LBB279_1269
; %bb.1264:                             ;   in Loop: Header=BB279_941 Depth=1
	v_and_b32_e32 v23, 0x7f, v6
	v_mov_b32_e32 v0, 0x7c010000
	s_mov_b32 s16, exec_lo
	s_delay_alu instid0(VALU_DEP_2)
	v_cmpx_ne_u32_e32 0x7f, v23
	s_cbranch_execz .LBB279_1268
; %bb.1265:                             ;   in Loop: Header=BB279_941 Depth=1
	v_dual_lshrrev_b32 v22, 3, v23 :: v_dual_bitop2_b32 v0, 7, v6 bitop3:0x40
	s_mov_b32 s17, exec_lo
	v_cmpx_gt_u32_e32 8, v23
; %bb.1266:                             ;   in Loop: Header=BB279_941 Depth=1
	s_delay_alu instid0(VALU_DEP_2) | instskip(NEXT) | instid1(VALU_DEP_1)
	v_clz_i32_u32_e32 v0, v0
	v_min_u32_e32 v0, 32, v0
	s_delay_alu instid0(VALU_DEP_1) | instskip(NEXT) | instid1(VALU_DEP_1)
	v_subrev_nc_u32_e32 v22, 28, v0
	v_lshlrev_b64_e32 v[38:39], v22, v[6:7]
	s_delay_alu instid0(VALU_DEP_1)
	v_dual_sub_nc_u32 v22, 29, v0 :: v_dual_bitop2_b32 v0, 7, v38 bitop3:0x40
; %bb.1267:                             ;   in Loop: Header=BB279_941 Depth=1
	s_or_b32 exec_lo, exec_lo, s17
	s_delay_alu instid0(VALU_DEP_1) | instskip(NEXT) | instid1(VALU_DEP_2)
	v_dual_lshlrev_b32 v6, 8, v6 :: v_dual_lshlrev_b32 v0, 23, v0
	v_lshl_add_u32 v22, v22, 10, 0x2000
	s_delay_alu instid0(VALU_DEP_1) | instskip(NEXT) | instid1(VALU_DEP_1)
	v_and_or_b32 v6, 0x8000, v6, v22
	v_lshl_or_b32 v0, v6, 16, v0
.LBB279_1268:                           ;   in Loop: Header=BB279_941 Depth=1
	s_or_b32 exec_lo, exec_lo, s16
.LBB279_1269:                           ;   in Loop: Header=BB279_941 Depth=1
	s_delay_alu instid0(SALU_CYCLE_1)
	s_or_b32 exec_lo, exec_lo, s15
.LBB279_1270:                           ;   in Loop: Header=BB279_941 Depth=1
	s_delay_alu instid0(SALU_CYCLE_1) | instskip(SKIP_2) | instid1(VALU_DEP_2)
	s_or_b32 exec_lo, exec_lo, s14
	v_dual_lshrrev_b32 v6, 16, v1 :: v_dual_bitop2_b32 v1, v1, v8 bitop3:0x54
	v_dual_lshrrev_b32 v22, 16, v9 :: v_dual_bitop2_b32 v16, v9, v16 bitop3:0x54
	v_cvt_f32_f16_e32 v9, v6
	v_dual_lshrrev_b32 v18, 16, v19 :: v_dual_bitop2_b32 v6, v0, v18 bitop3:0x54
	s_delay_alu instid0(VALU_DEP_3)
	v_cvt_f32_f16_e32 v8, v22
	v_dual_lshrrev_b32 v22, 16, v0 :: v_dual_bitop2_b32 v19, v19, v17 bitop3:0x54
	v_cvt_f32_f16_e32 v0, v16
	v_cvt_f32_f16_e32 v1, v1
	s_wait_loadcnt_dscnt 0x0
	v_pk_mul_f32 v[8:9], v[36:37], v[8:9] op_sel_hi:[0,1]
	v_cvt_f32_f16_e32 v17, v18
	v_cvt_f32_f16_e32 v16, v22
	;; [unrolled: 1-line block ×4, first 2 shown]
	v_pk_mul_f32 v[0:1], v[36:37], v[0:1] op_sel_hi:[0,1]
	v_cvt_pk_f16_f32 v6, v8, v9
	v_pk_mul_f32 v[8:9], v[36:37], v[16:17] op_sel_hi:[0,1]
	s_delay_alu instid0(VALU_DEP_4) | instskip(NEXT) | instid1(VALU_DEP_4)
	v_pk_mul_f32 v[16:17], v[36:37], v[18:19] op_sel_hi:[0,1]
	v_cvt_pk_f16_f32 v0, v0, v1
	s_delay_alu instid0(VALU_DEP_4) | instskip(NEXT) | instid1(VALU_DEP_4)
	v_and_b32_e32 v19, 0xffff0000, v6
	v_cvt_pk_f16_f32 v8, v8, v9
	v_lshlrev_b32_e32 v36, 16, v6
	v_cvt_pk_f16_f32 v6, v16, v17
	v_lshrrev_b32_e32 v49, 16, v0
	v_and_b32_e32 v50, 0xffff, v0
	v_and_b32_e32 v1, 0xffff0000, v8
	s_delay_alu instid0(VALU_DEP_4) | instskip(SKIP_3) | instid1(VALU_DEP_4)
	v_dual_lshlrev_b32 v0, 16, v8 :: v_dual_lshrrev_b32 v9, 16, v6
	v_and_b32_e32 v6, 0xffff, v6
	v_or_b32_e32 v39, v19, v49
	v_or_b32_e32 v48, v36, v50
	;; [unrolled: 1-line block ×3, first 2 shown]
	s_delay_alu instid0(VALU_DEP_4)
	v_or_b32_e32 v38, v0, v6
	s_and_saveexec_b32 s14, vcc_lo
	s_cbranch_execz .LBB279_1272
; %bb.1271:                             ;   in Loop: Header=BB279_941 Depth=1
	v_cmp_lt_i32_e64 s0, v67, v13
	s_delay_alu instid0(VALU_DEP_1) | instskip(SKIP_1) | instid1(VALU_DEP_1)
	v_cndmask_b32_e64 v8, 0, v49, s0
	v_cmp_lt_i32_e64 s0, v82, v12
	v_cndmask_b32_e64 v16, 0, v50, s0
	v_cmp_lt_i32_e64 s0, v81, v13
	s_delay_alu instid0(VALU_DEP_1) | instskip(SKIP_1) | instid1(VALU_DEP_1)
	v_cndmask_b32_e64 v17, 0, v19, s0
	v_cmp_lt_i32_e64 s0, v80, v12
	v_cndmask_b32_e64 v18, 0, v36, s0
	v_cmp_lt_i32_e64 s0, v71, v13
	s_delay_alu instid0(VALU_DEP_4) | instskip(NEXT) | instid1(VALU_DEP_2)
	v_or_b32_e32 v39, v8, v17
	v_dual_cndmask_b32 v9, 0, v9, s0 :: v_dual_bitop2_b32 v48, v16, v18 bitop3:0x54
	v_cmp_lt_i32_e64 s0, v70, v12
	s_delay_alu instid0(VALU_DEP_1) | instskip(SKIP_1) | instid1(VALU_DEP_1)
	v_cndmask_b32_e64 v6, 0, v6, s0
	v_cmp_lt_i32_e64 s0, v69, v13
	v_cndmask_b32_e64 v1, 0, v1, s0
	v_cmp_lt_i32_e64 s0, v68, v12
	s_delay_alu instid0(VALU_DEP_1) | instskip(NEXT) | instid1(VALU_DEP_1)
	v_dual_cndmask_b32 v0, 0, v0, s0 :: v_dual_bitop2_b32 v37, v9, v1 bitop3:0x54
	v_or_b32_e32 v38, v6, v0
.LBB279_1272:                           ;   in Loop: Header=BB279_941 Depth=1
	s_or_b32 exec_lo, exec_lo, s14
	;;#ASMSTART
	v_pk_mul_f16 v0, v87, v39;

	;;#ASMEND
	;;#ASMSTART
	v_pk_mul_f16 v1, v85, v48;

	;;#ASMEND
	;; [unrolled: 4-line block ×4, first 2 shown]
	;;#ASMSTART
	v_pk_add_f16 v0, v0, v1;

	;;#ASMEND
	;;#ASMSTART
	v_pk_add_f16 v0, v0, v6;

	;;#ASMEND
	;; [unrolled: 4-line block ×3, first 2 shown]
	v_and_b32_e32 v1, 0xffff, v0
	v_lshrrev_b32_e32 v0, 16, v0
	;;#ASMSTART
	v_cvt_f32_f16 v103, v1;
	;;#ASMEND
	;;#ASMSTART
	v_cvt_f32_f16 v112, v0;
	;;#ASMEND
	flat_load_b64 v[38:39], v[28:29] offset:1280
	scratch_load_b64 v[0:1], off, s32 offset:192 ; 8-byte Folded Reload
	v_mov_b32_e32 v8, 0
	s_mov_b32 s14, exec_lo
	s_wait_loadcnt 0x0
	flat_load_b32 v36, v[0:1]
	s_wait_dscnt 0x1
	s_wait_xcnt 0x0
	v_and_b32_e32 v0, 0xff, v38
	v_mov_b32_e32 v1, 0
	s_delay_alu instid0(VALU_DEP_2)
	v_cmpx_ne_u16_e32 0, v0
	s_cbranch_execz .LBB279_1280
; %bb.1273:                             ;   in Loop: Header=BB279_941 Depth=1
	v_mov_b32_e32 v8, 0x8000
	s_mov_b32 s15, exec_lo
	v_cmpx_ne_u16_e32 0x80, v0
	s_cbranch_execz .LBB279_1279
; %bb.1274:                             ;   in Loop: Header=BB279_941 Depth=1
	v_and_b32_e32 v9, 0x7f, v38
	v_mov_b32_e32 v8, 0x7c01
	s_mov_b32 s16, exec_lo
	s_delay_alu instid0(VALU_DEP_2)
	v_cmpx_ne_u32_e32 0x7f, v9
	s_cbranch_execz .LBB279_1278
; %bb.1275:                             ;   in Loop: Header=BB279_941 Depth=1
	v_dual_lshrrev_b32 v6, 3, v9 :: v_dual_bitop2_b32 v0, 7, v38 bitop3:0x40
	s_mov_b32 s17, exec_lo
	v_cmpx_gt_u32_e32 8, v9
; %bb.1276:                             ;   in Loop: Header=BB279_941 Depth=1
	s_delay_alu instid0(VALU_DEP_2) | instskip(NEXT) | instid1(VALU_DEP_1)
	v_clz_i32_u32_e32 v0, v0
	v_min_u32_e32 v0, 32, v0
	s_delay_alu instid0(VALU_DEP_1) | instskip(NEXT) | instid1(VALU_DEP_1)
	v_subrev_nc_u32_e32 v6, 28, v0
	v_lshlrev_b64_e32 v[8:9], v6, v[38:39]
	v_sub_nc_u32_e32 v6, 29, v0
	s_delay_alu instid0(VALU_DEP_2)
	v_and_b32_e32 v0, 7, v8
; %bb.1277:                             ;   in Loop: Header=BB279_941 Depth=1
	s_or_b32 exec_lo, exec_lo, s17
	s_delay_alu instid0(VALU_DEP_1) | instskip(NEXT) | instid1(VALU_DEP_3)
	v_dual_lshlrev_b32 v8, 8, v38 :: v_dual_lshlrev_b32 v0, 7, v0
	v_lshl_add_u32 v6, v6, 10, 0x2000
	s_delay_alu instid0(VALU_DEP_2) | instskip(NEXT) | instid1(VALU_DEP_2)
	v_and_b32_e32 v8, 0x8000, v8
	v_and_b32_e32 v6, 0xfc00, v6
	s_delay_alu instid0(VALU_DEP_1)
	v_or3_b32 v8, v8, v6, v0
.LBB279_1278:                           ;   in Loop: Header=BB279_941 Depth=1
	s_or_b32 exec_lo, exec_lo, s16
.LBB279_1279:                           ;   in Loop: Header=BB279_941 Depth=1
	s_delay_alu instid0(SALU_CYCLE_1)
	s_or_b32 exec_lo, exec_lo, s15
.LBB279_1280:                           ;   in Loop: Header=BB279_941 Depth=1
	s_delay_alu instid0(SALU_CYCLE_1) | instskip(SKIP_2) | instid1(VALU_DEP_1)
	s_or_b32 exec_lo, exec_lo, s14
	v_lshrrev_b16 v6, 8, v38
	s_mov_b32 s14, exec_lo
	v_cmpx_ne_u16_e32 0, v6
	s_cbranch_execz .LBB279_1288
; %bb.1281:                             ;   in Loop: Header=BB279_941 Depth=1
	v_bfrev_b32_e32 v1, 1
	s_mov_b32 s15, exec_lo
	v_cmpx_ne_u16_e32 0x80, v6
	s_cbranch_execz .LBB279_1287
; %bb.1282:                             ;   in Loop: Header=BB279_941 Depth=1
	v_and_b32_e32 v0, 0xffff, v6
	v_mov_b32_e32 v1, 0x7c010000
	s_mov_b32 s16, exec_lo
	s_delay_alu instid0(VALU_DEP_2) | instskip(NEXT) | instid1(VALU_DEP_1)
	v_and_b32_e32 v16, 0x7f, v0
	v_cmpx_ne_u32_e32 0x7f, v16
	s_cbranch_execz .LBB279_1286
; %bb.1283:                             ;   in Loop: Header=BB279_941 Depth=1
	v_and_b32_e32 v1, 7, v0
	v_lshrrev_b32_e32 v9, 3, v16
	s_mov_b32 s17, exec_lo
	v_cmpx_gt_u32_e32 8, v16
; %bb.1284:                             ;   in Loop: Header=BB279_941 Depth=1
	s_delay_alu instid0(VALU_DEP_3) | instskip(NEXT) | instid1(VALU_DEP_1)
	v_clz_i32_u32_e32 v1, v1
	v_min_u32_e32 v1, 32, v1
	s_delay_alu instid0(VALU_DEP_1) | instskip(NEXT) | instid1(VALU_DEP_1)
	v_subrev_nc_u32_e32 v9, 28, v1
	v_lshlrev_b64_e32 v[16:17], v9, v[6:7]
	s_delay_alu instid0(VALU_DEP_1)
	v_dual_sub_nc_u32 v9, 29, v1 :: v_dual_bitop2_b32 v1, 7, v16 bitop3:0x40
; %bb.1285:                             ;   in Loop: Header=BB279_941 Depth=1
	s_or_b32 exec_lo, exec_lo, s17
	s_delay_alu instid0(VALU_DEP_1) | instskip(NEXT) | instid1(VALU_DEP_2)
	v_dual_lshlrev_b32 v0, 8, v0 :: v_dual_lshlrev_b32 v1, 23, v1
	v_lshl_add_u32 v6, v9, 10, 0x2000
	s_delay_alu instid0(VALU_DEP_1) | instskip(NEXT) | instid1(VALU_DEP_1)
	v_and_or_b32 v0, 0x8000, v0, v6
	v_lshl_or_b32 v1, v0, 16, v1
.LBB279_1286:                           ;   in Loop: Header=BB279_941 Depth=1
	s_or_b32 exec_lo, exec_lo, s16
.LBB279_1287:                           ;   in Loop: Header=BB279_941 Depth=1
	s_delay_alu instid0(SALU_CYCLE_1)
	s_or_b32 exec_lo, exec_lo, s15
.LBB279_1288:                           ;   in Loop: Header=BB279_941 Depth=1
	s_delay_alu instid0(SALU_CYCLE_1) | instskip(SKIP_3) | instid1(VALU_DEP_2)
	s_or_b32 exec_lo, exec_lo, s14
	v_dual_mov_b32 v9, 0 :: v_dual_lshrrev_b32 v0, 16, v38
	v_mov_b32_e32 v16, 0
	s_mov_b32 s14, exec_lo
	v_and_b32_e32 v6, 0xff, v0
	s_delay_alu instid0(VALU_DEP_1)
	v_cmpx_ne_u16_e32 0, v6
	s_cbranch_execz .LBB279_1296
; %bb.1289:                             ;   in Loop: Header=BB279_941 Depth=1
	v_mov_b32_e32 v16, 0x8000
	s_mov_b32 s15, exec_lo
	v_cmpx_ne_u16_e32 0x80, v6
	s_cbranch_execz .LBB279_1295
; %bb.1290:                             ;   in Loop: Header=BB279_941 Depth=1
	v_bfe_u32 v17, v38, 16, 7
	v_mov_b32_e32 v16, 0x7c01
	s_mov_b32 s16, exec_lo
	s_delay_alu instid0(VALU_DEP_2)
	v_cmpx_ne_u32_e32 0x7f, v17
	s_cbranch_execz .LBB279_1294
; %bb.1291:                             ;   in Loop: Header=BB279_941 Depth=1
	v_dual_lshrrev_b32 v16, 3, v17 :: v_dual_bitop2_b32 v6, 7, v0 bitop3:0x40
	s_mov_b32 s17, exec_lo
	v_cmpx_gt_u32_e32 8, v17
; %bb.1292:                             ;   in Loop: Header=BB279_941 Depth=1
	s_delay_alu instid0(VALU_DEP_2) | instskip(NEXT) | instid1(VALU_DEP_1)
	v_clz_i32_u32_e32 v6, v6
	v_min_u32_e32 v6, 32, v6
	s_delay_alu instid0(VALU_DEP_1) | instskip(NEXT) | instid1(VALU_DEP_1)
	v_subrev_nc_u32_e32 v16, 28, v6
	v_lshlrev_b64_e32 v[18:19], v16, v[0:1]
	v_sub_nc_u32_e32 v16, 29, v6
	s_delay_alu instid0(VALU_DEP_2)
	v_and_b32_e32 v6, 7, v18
; %bb.1293:                             ;   in Loop: Header=BB279_941 Depth=1
	s_or_b32 exec_lo, exec_lo, s17
	s_delay_alu instid0(VALU_DEP_1) | instskip(NEXT) | instid1(VALU_DEP_3)
	v_dual_lshlrev_b32 v0, 8, v0 :: v_dual_lshlrev_b32 v6, 7, v6
	v_lshl_add_u32 v16, v16, 10, 0x2000
	s_delay_alu instid0(VALU_DEP_2) | instskip(NEXT) | instid1(VALU_DEP_2)
	v_and_b32_e32 v0, 0x8000, v0
	v_and_b32_e32 v16, 0xfc00, v16
	s_delay_alu instid0(VALU_DEP_1)
	v_or3_b32 v16, v0, v16, v6
.LBB279_1294:                           ;   in Loop: Header=BB279_941 Depth=1
	s_or_b32 exec_lo, exec_lo, s16
.LBB279_1295:                           ;   in Loop: Header=BB279_941 Depth=1
	s_delay_alu instid0(SALU_CYCLE_1)
	s_or_b32 exec_lo, exec_lo, s15
.LBB279_1296:                           ;   in Loop: Header=BB279_941 Depth=1
	s_delay_alu instid0(SALU_CYCLE_1) | instskip(NEXT) | instid1(SALU_CYCLE_1)
	s_or_b32 exec_lo, exec_lo, s14
	s_mov_b32 s14, exec_lo
	v_cmpx_lt_u32_e32 0xffffff, v38
	s_cbranch_execz .LBB279_1304
; %bb.1297:                             ;   in Loop: Header=BB279_941 Depth=1
	v_lshrrev_b32_e32 v6, 24, v38
	v_bfrev_b32_e32 v9, 1
	s_mov_b32 s15, exec_lo
	s_delay_alu instid0(VALU_DEP_2)
	v_cmpx_ne_u32_e32 0x80, v6
	s_cbranch_execz .LBB279_1303
; %bb.1298:                             ;   in Loop: Header=BB279_941 Depth=1
	v_and_b32_e32 v17, 0x7f, v6
	v_mov_b32_e32 v9, 0x7c010000
	s_mov_b32 s16, exec_lo
	s_delay_alu instid0(VALU_DEP_2)
	v_cmpx_ne_u32_e32 0x7f, v17
	s_cbranch_execz .LBB279_1302
; %bb.1299:                             ;   in Loop: Header=BB279_941 Depth=1
	v_dual_lshrrev_b32 v9, 3, v17 :: v_dual_bitop2_b32 v0, 7, v6 bitop3:0x40
	s_mov_b32 s17, exec_lo
	v_cmpx_gt_u32_e32 8, v17
; %bb.1300:                             ;   in Loop: Header=BB279_941 Depth=1
	s_delay_alu instid0(VALU_DEP_2) | instskip(NEXT) | instid1(VALU_DEP_1)
	v_clz_i32_u32_e32 v0, v0
	v_min_u32_e32 v0, 32, v0
	s_delay_alu instid0(VALU_DEP_1) | instskip(NEXT) | instid1(VALU_DEP_1)
	v_subrev_nc_u32_e32 v9, 28, v0
	v_lshlrev_b64_e32 v[18:19], v9, v[6:7]
	s_delay_alu instid0(VALU_DEP_1)
	v_dual_sub_nc_u32 v9, 29, v0 :: v_dual_bitop2_b32 v0, 7, v18 bitop3:0x40
; %bb.1301:                             ;   in Loop: Header=BB279_941 Depth=1
	s_or_b32 exec_lo, exec_lo, s17
	s_delay_alu instid0(VALU_DEP_1) | instskip(NEXT) | instid1(VALU_DEP_2)
	v_dual_lshlrev_b32 v6, 8, v6 :: v_dual_lshlrev_b32 v0, 23, v0
	v_lshl_add_u32 v9, v9, 10, 0x2000
	s_delay_alu instid0(VALU_DEP_1) | instskip(NEXT) | instid1(VALU_DEP_1)
	v_and_or_b32 v6, 0x8000, v6, v9
	v_lshl_or_b32 v9, v6, 16, v0
.LBB279_1302:                           ;   in Loop: Header=BB279_941 Depth=1
	s_or_b32 exec_lo, exec_lo, s16
.LBB279_1303:                           ;   in Loop: Header=BB279_941 Depth=1
	s_delay_alu instid0(SALU_CYCLE_1)
	s_or_b32 exec_lo, exec_lo, s15
.LBB279_1304:                           ;   in Loop: Header=BB279_941 Depth=1
	s_delay_alu instid0(SALU_CYCLE_1) | instskip(SKIP_4) | instid1(VALU_DEP_3)
	s_or_b32 exec_lo, exec_lo, s14
	v_and_b32_e32 v0, 0xff, v39
	v_dual_mov_b32 v6, v39 :: v_dual_mov_b32 v18, 0
	v_mov_b32_e32 v17, 0
	s_mov_b32 s14, exec_lo
	v_cmpx_ne_u16_e32 0, v0
	s_cbranch_execz .LBB279_1312
; %bb.1305:                             ;   in Loop: Header=BB279_941 Depth=1
	v_mov_b32_e32 v17, 0x8000
	s_mov_b32 s15, exec_lo
	v_cmpx_ne_u16_e32 0x80, v0
	s_cbranch_execz .LBB279_1311
; %bb.1306:                             ;   in Loop: Header=BB279_941 Depth=1
	v_and_b32_e32 v19, 0x7f, v39
	v_mov_b32_e32 v17, 0x7c01
	s_mov_b32 s16, exec_lo
	s_delay_alu instid0(VALU_DEP_2)
	v_cmpx_ne_u32_e32 0x7f, v19
	s_cbranch_execz .LBB279_1310
; %bb.1307:                             ;   in Loop: Header=BB279_941 Depth=1
	v_and_b32_e32 v0, 7, v39
	v_lshrrev_b32_e32 v17, 3, v19
	s_mov_b32 s17, exec_lo
	v_cmpx_gt_u32_e32 8, v19
; %bb.1308:                             ;   in Loop: Header=BB279_941 Depth=1
	s_delay_alu instid0(VALU_DEP_3) | instskip(NEXT) | instid1(VALU_DEP_1)
	v_clz_i32_u32_e32 v0, v0
	v_min_u32_e32 v0, 32, v0
	s_delay_alu instid0(VALU_DEP_1) | instskip(NEXT) | instid1(VALU_DEP_1)
	v_subrev_nc_u32_e32 v17, 28, v0
	v_lshlrev_b64_e32 v[22:23], v17, v[6:7]
	s_delay_alu instid0(VALU_DEP_1)
	v_dual_sub_nc_u32 v17, 29, v0 :: v_dual_bitop2_b32 v0, 7, v22 bitop3:0x40
; %bb.1309:                             ;   in Loop: Header=BB279_941 Depth=1
	s_or_b32 exec_lo, exec_lo, s17
	s_delay_alu instid0(VALU_DEP_1) | instskip(NEXT) | instid1(VALU_DEP_2)
	v_dual_lshlrev_b32 v19, 8, v39 :: v_dual_lshlrev_b32 v0, 7, v0
	v_lshl_add_u32 v17, v17, 10, 0x2000
	s_delay_alu instid0(VALU_DEP_2) | instskip(NEXT) | instid1(VALU_DEP_2)
	v_and_b32_e32 v19, 0x8000, v19
	v_and_b32_e32 v17, 0xfc00, v17
	s_delay_alu instid0(VALU_DEP_1)
	v_or3_b32 v17, v19, v17, v0
.LBB279_1310:                           ;   in Loop: Header=BB279_941 Depth=1
	s_or_b32 exec_lo, exec_lo, s16
.LBB279_1311:                           ;   in Loop: Header=BB279_941 Depth=1
	s_delay_alu instid0(SALU_CYCLE_1)
	s_or_b32 exec_lo, exec_lo, s15
.LBB279_1312:                           ;   in Loop: Header=BB279_941 Depth=1
	s_delay_alu instid0(SALU_CYCLE_1) | instskip(SKIP_3) | instid1(VALU_DEP_2)
	s_or_b32 exec_lo, exec_lo, s14
	v_lshrrev_b16 v6, 8, v6
	v_mov_b32_e32 v19, 0
	s_mov_b32 s14, exec_lo
	v_cmpx_ne_u16_e32 0, v6
	s_cbranch_execz .LBB279_1320
; %bb.1313:                             ;   in Loop: Header=BB279_941 Depth=1
	v_bfrev_b32_e32 v19, 1
	s_mov_b32 s15, exec_lo
	v_cmpx_ne_u16_e32 0x80, v6
	s_cbranch_execz .LBB279_1319
; %bb.1314:                             ;   in Loop: Header=BB279_941 Depth=1
	v_and_b32_e32 v0, 0xffff, v6
	v_mov_b32_e32 v19, 0x7c010000
	s_mov_b32 s16, exec_lo
	s_delay_alu instid0(VALU_DEP_2) | instskip(NEXT) | instid1(VALU_DEP_1)
	v_and_b32_e32 v23, 0x7f, v0
	v_cmpx_ne_u32_e32 0x7f, v23
	s_cbranch_execz .LBB279_1318
; %bb.1315:                             ;   in Loop: Header=BB279_941 Depth=1
	v_dual_lshrrev_b32 v22, 3, v23 :: v_dual_bitop2_b32 v19, 7, v0 bitop3:0x40
	s_mov_b32 s17, exec_lo
	v_cmpx_gt_u32_e32 8, v23
; %bb.1316:                             ;   in Loop: Header=BB279_941 Depth=1
	s_delay_alu instid0(VALU_DEP_2) | instskip(NEXT) | instid1(VALU_DEP_1)
	v_clz_i32_u32_e32 v19, v19
	v_min_u32_e32 v19, 32, v19
	s_delay_alu instid0(VALU_DEP_1) | instskip(NEXT) | instid1(VALU_DEP_1)
	v_subrev_nc_u32_e32 v22, 28, v19
	v_lshlrev_b64_e32 v[48:49], v22, v[6:7]
	s_delay_alu instid0(VALU_DEP_1)
	v_dual_sub_nc_u32 v22, 29, v19 :: v_dual_bitop2_b32 v19, 7, v48 bitop3:0x40
; %bb.1317:                             ;   in Loop: Header=BB279_941 Depth=1
	s_or_b32 exec_lo, exec_lo, s17
	v_lshlrev_b32_e32 v0, 8, v0
	s_delay_alu instid0(VALU_DEP_2) | instskip(NEXT) | instid1(VALU_DEP_1)
	v_lshl_add_u32 v6, v22, 10, 0x2000
	v_and_or_b32 v0, 0x8000, v0, v6
	v_lshlrev_b32_e32 v6, 23, v19
	s_delay_alu instid0(VALU_DEP_1)
	v_lshl_or_b32 v19, v0, 16, v6
.LBB279_1318:                           ;   in Loop: Header=BB279_941 Depth=1
	s_or_b32 exec_lo, exec_lo, s16
.LBB279_1319:                           ;   in Loop: Header=BB279_941 Depth=1
	s_delay_alu instid0(SALU_CYCLE_1)
	s_or_b32 exec_lo, exec_lo, s15
.LBB279_1320:                           ;   in Loop: Header=BB279_941 Depth=1
	s_delay_alu instid0(SALU_CYCLE_1) | instskip(SKIP_2) | instid1(VALU_DEP_1)
	s_or_b32 exec_lo, exec_lo, s14
	v_lshrrev_b32_e32 v0, 16, v39
	s_mov_b32 s14, exec_lo
	v_and_b32_e32 v6, 0xff, v0
	s_delay_alu instid0(VALU_DEP_1)
	v_cmpx_ne_u16_e32 0, v6
	s_cbranch_execz .LBB279_1328
; %bb.1321:                             ;   in Loop: Header=BB279_941 Depth=1
	v_mov_b32_e32 v18, 0x8000
	s_mov_b32 s15, exec_lo
	v_cmpx_ne_u16_e32 0x80, v6
	s_cbranch_execz .LBB279_1327
; %bb.1322:                             ;   in Loop: Header=BB279_941 Depth=1
	v_bfe_u32 v22, v39, 16, 7
	v_mov_b32_e32 v18, 0x7c01
	s_mov_b32 s16, exec_lo
	s_delay_alu instid0(VALU_DEP_2)
	v_cmpx_ne_u32_e32 0x7f, v22
	s_cbranch_execz .LBB279_1326
; %bb.1323:                             ;   in Loop: Header=BB279_941 Depth=1
	v_dual_lshrrev_b32 v18, 3, v22 :: v_dual_bitop2_b32 v6, 7, v0 bitop3:0x40
	s_mov_b32 s17, exec_lo
	v_cmpx_gt_u32_e32 8, v22
; %bb.1324:                             ;   in Loop: Header=BB279_941 Depth=1
	s_delay_alu instid0(VALU_DEP_2) | instskip(NEXT) | instid1(VALU_DEP_1)
	v_clz_i32_u32_e32 v6, v6
	v_min_u32_e32 v6, 32, v6
	s_delay_alu instid0(VALU_DEP_1) | instskip(NEXT) | instid1(VALU_DEP_1)
	v_subrev_nc_u32_e32 v18, 28, v6
	v_lshlrev_b64_e32 v[22:23], v18, v[0:1]
	v_sub_nc_u32_e32 v18, 29, v6
	s_delay_alu instid0(VALU_DEP_2)
	v_and_b32_e32 v6, 7, v22
; %bb.1325:                             ;   in Loop: Header=BB279_941 Depth=1
	s_or_b32 exec_lo, exec_lo, s17
	s_delay_alu instid0(VALU_DEP_1) | instskip(NEXT) | instid1(VALU_DEP_3)
	v_dual_lshlrev_b32 v0, 8, v0 :: v_dual_lshlrev_b32 v6, 7, v6
	v_lshl_add_u32 v18, v18, 10, 0x2000
	s_delay_alu instid0(VALU_DEP_2) | instskip(NEXT) | instid1(VALU_DEP_2)
	v_and_b32_e32 v0, 0x8000, v0
	v_and_b32_e32 v18, 0xfc00, v18
	s_delay_alu instid0(VALU_DEP_1)
	v_or3_b32 v18, v0, v18, v6
.LBB279_1326:                           ;   in Loop: Header=BB279_941 Depth=1
	s_or_b32 exec_lo, exec_lo, s16
.LBB279_1327:                           ;   in Loop: Header=BB279_941 Depth=1
	s_delay_alu instid0(SALU_CYCLE_1)
	s_or_b32 exec_lo, exec_lo, s15
.LBB279_1328:                           ;   in Loop: Header=BB279_941 Depth=1
	s_delay_alu instid0(SALU_CYCLE_1)
	s_or_b32 exec_lo, exec_lo, s14
	v_mov_b32_e32 v0, 0
	s_mov_b32 s14, exec_lo
	v_cmpx_lt_u64_e64 s[2:3], v[38:39]
	s_cbranch_execz .LBB279_1336
; %bb.1329:                             ;   in Loop: Header=BB279_941 Depth=1
	v_lshrrev_b32_e32 v6, 24, v39
	v_bfrev_b32_e32 v0, 1
	s_mov_b32 s15, exec_lo
	s_delay_alu instid0(VALU_DEP_2)
	v_cmpx_ne_u32_e32 0x80, v6
	s_cbranch_execz .LBB279_1335
; %bb.1330:                             ;   in Loop: Header=BB279_941 Depth=1
	v_and_b32_e32 v23, 0x7f, v6
	v_mov_b32_e32 v0, 0x7c010000
	s_mov_b32 s16, exec_lo
	s_delay_alu instid0(VALU_DEP_2)
	v_cmpx_ne_u32_e32 0x7f, v23
	s_cbranch_execz .LBB279_1334
; %bb.1331:                             ;   in Loop: Header=BB279_941 Depth=1
	v_dual_lshrrev_b32 v22, 3, v23 :: v_dual_bitop2_b32 v0, 7, v6 bitop3:0x40
	s_mov_b32 s17, exec_lo
	v_cmpx_gt_u32_e32 8, v23
; %bb.1332:                             ;   in Loop: Header=BB279_941 Depth=1
	s_delay_alu instid0(VALU_DEP_2) | instskip(NEXT) | instid1(VALU_DEP_1)
	v_clz_i32_u32_e32 v0, v0
	v_min_u32_e32 v0, 32, v0
	s_delay_alu instid0(VALU_DEP_1) | instskip(NEXT) | instid1(VALU_DEP_1)
	v_subrev_nc_u32_e32 v22, 28, v0
	v_lshlrev_b64_e32 v[38:39], v22, v[6:7]
	s_delay_alu instid0(VALU_DEP_1)
	v_dual_sub_nc_u32 v22, 29, v0 :: v_dual_bitop2_b32 v0, 7, v38 bitop3:0x40
; %bb.1333:                             ;   in Loop: Header=BB279_941 Depth=1
	s_or_b32 exec_lo, exec_lo, s17
	s_delay_alu instid0(VALU_DEP_1) | instskip(NEXT) | instid1(VALU_DEP_2)
	v_dual_lshlrev_b32 v6, 8, v6 :: v_dual_lshlrev_b32 v0, 23, v0
	v_lshl_add_u32 v22, v22, 10, 0x2000
	s_delay_alu instid0(VALU_DEP_1) | instskip(NEXT) | instid1(VALU_DEP_1)
	v_and_or_b32 v6, 0x8000, v6, v22
	v_lshl_or_b32 v0, v6, 16, v0
.LBB279_1334:                           ;   in Loop: Header=BB279_941 Depth=1
	s_or_b32 exec_lo, exec_lo, s16
.LBB279_1335:                           ;   in Loop: Header=BB279_941 Depth=1
	s_delay_alu instid0(SALU_CYCLE_1)
	s_or_b32 exec_lo, exec_lo, s15
.LBB279_1336:                           ;   in Loop: Header=BB279_941 Depth=1
	s_delay_alu instid0(SALU_CYCLE_1) | instskip(SKIP_2) | instid1(VALU_DEP_2)
	s_or_b32 exec_lo, exec_lo, s14
	v_dual_lshrrev_b32 v6, 16, v1 :: v_dual_bitop2_b32 v1, v1, v8 bitop3:0x54
	v_dual_lshrrev_b32 v22, 16, v9 :: v_dual_bitop2_b32 v16, v9, v16 bitop3:0x54
	v_cvt_f32_f16_e32 v9, v6
	v_dual_lshrrev_b32 v18, 16, v19 :: v_dual_bitop2_b32 v6, v0, v18 bitop3:0x54
	s_delay_alu instid0(VALU_DEP_3)
	v_cvt_f32_f16_e32 v8, v22
	v_dual_lshrrev_b32 v22, 16, v0 :: v_dual_bitop2_b32 v19, v19, v17 bitop3:0x54
	v_cvt_f32_f16_e32 v0, v16
	v_cvt_f32_f16_e32 v1, v1
	s_wait_loadcnt_dscnt 0x0
	v_pk_mul_f32 v[8:9], v[36:37], v[8:9] op_sel_hi:[0,1]
	v_cvt_f32_f16_e32 v17, v18
	v_cvt_f32_f16_e32 v16, v22
	v_cvt_f32_f16_e32 v18, v6
	v_cvt_f32_f16_e32 v19, v19
	v_pk_mul_f32 v[0:1], v[36:37], v[0:1] op_sel_hi:[0,1]
	v_cvt_pk_f16_f32 v6, v8, v9
	v_pk_mul_f32 v[8:9], v[36:37], v[16:17] op_sel_hi:[0,1]
	s_delay_alu instid0(VALU_DEP_4) | instskip(NEXT) | instid1(VALU_DEP_4)
	v_pk_mul_f32 v[16:17], v[36:37], v[18:19] op_sel_hi:[0,1]
	v_cvt_pk_f16_f32 v0, v0, v1
	s_delay_alu instid0(VALU_DEP_4) | instskip(NEXT) | instid1(VALU_DEP_4)
	v_and_b32_e32 v19, 0xffff0000, v6
	v_cvt_pk_f16_f32 v8, v8, v9
	v_lshlrev_b32_e32 v36, 16, v6
	v_cvt_pk_f16_f32 v6, v16, v17
	v_lshrrev_b32_e32 v49, 16, v0
	v_and_b32_e32 v50, 0xffff, v0
	v_and_b32_e32 v1, 0xffff0000, v8
	s_delay_alu instid0(VALU_DEP_4) | instskip(SKIP_3) | instid1(VALU_DEP_4)
	v_dual_lshlrev_b32 v0, 16, v8 :: v_dual_lshrrev_b32 v9, 16, v6
	v_and_b32_e32 v6, 0xffff, v6
	v_or_b32_e32 v39, v19, v49
	v_or_b32_e32 v48, v36, v50
	;; [unrolled: 1-line block ×3, first 2 shown]
	s_delay_alu instid0(VALU_DEP_4)
	v_or_b32_e32 v38, v0, v6
	s_and_saveexec_b32 s14, vcc_lo
	s_cbranch_execz .LBB279_1338
; %bb.1337:                             ;   in Loop: Header=BB279_941 Depth=1
	v_cmp_lt_i32_e64 s0, v67, v13
	s_delay_alu instid0(VALU_DEP_1) | instskip(SKIP_1) | instid1(VALU_DEP_1)
	v_cndmask_b32_e64 v8, 0, v49, s0
	v_cmp_lt_i32_e64 s0, v82, v12
	v_cndmask_b32_e64 v16, 0, v50, s0
	v_cmp_lt_i32_e64 s0, v81, v13
	s_delay_alu instid0(VALU_DEP_1) | instskip(SKIP_1) | instid1(VALU_DEP_1)
	v_cndmask_b32_e64 v17, 0, v19, s0
	v_cmp_lt_i32_e64 s0, v80, v12
	v_cndmask_b32_e64 v18, 0, v36, s0
	v_cmp_lt_i32_e64 s0, v71, v13
	s_delay_alu instid0(VALU_DEP_4) | instskip(NEXT) | instid1(VALU_DEP_2)
	v_or_b32_e32 v39, v8, v17
	v_dual_cndmask_b32 v9, 0, v9, s0 :: v_dual_bitop2_b32 v48, v16, v18 bitop3:0x54
	v_cmp_lt_i32_e64 s0, v70, v12
	s_delay_alu instid0(VALU_DEP_1) | instskip(SKIP_1) | instid1(VALU_DEP_1)
	v_cndmask_b32_e64 v6, 0, v6, s0
	v_cmp_lt_i32_e64 s0, v69, v13
	v_cndmask_b32_e64 v1, 0, v1, s0
	v_cmp_lt_i32_e64 s0, v68, v12
	s_delay_alu instid0(VALU_DEP_1) | instskip(NEXT) | instid1(VALU_DEP_1)
	v_dual_cndmask_b32 v0, 0, v0, s0 :: v_dual_bitop2_b32 v37, v9, v1 bitop3:0x54
	v_or_b32_e32 v38, v6, v0
.LBB279_1338:                           ;   in Loop: Header=BB279_941 Depth=1
	s_or_b32 exec_lo, exec_lo, s14
	;;#ASMSTART
	v_pk_mul_f16 v0, v87, v39;

	;;#ASMEND
	;;#ASMSTART
	v_pk_mul_f16 v1, v85, v48;

	;;#ASMEND
	;; [unrolled: 4-line block ×4, first 2 shown]
	;;#ASMSTART
	v_pk_add_f16 v0, v0, v1;

	;;#ASMEND
	;;#ASMSTART
	v_pk_add_f16 v0, v0, v6;

	;;#ASMEND
	;; [unrolled: 4-line block ×3, first 2 shown]
	v_and_b32_e32 v1, 0xffff, v0
	v_lshrrev_b32_e32 v0, 16, v0
	;;#ASMSTART
	v_cvt_f32_f16 v113, v1;
	;;#ASMEND
	;;#ASMSTART
	v_cvt_f32_f16 v114, v0;
	;;#ASMEND
	flat_load_b64 v[38:39], v[28:29] offset:1536
	scratch_load_b64 v[0:1], off, s32 offset:192 ; 8-byte Folded Reload
	v_mov_b32_e32 v8, 0
	s_mov_b32 s14, exec_lo
	s_wait_loadcnt 0x0
	flat_load_b32 v36, v[0:1]
	s_wait_dscnt 0x1
	s_wait_xcnt 0x0
	v_and_b32_e32 v0, 0xff, v38
	v_mov_b32_e32 v1, 0
	s_delay_alu instid0(VALU_DEP_2)
	v_cmpx_ne_u16_e32 0, v0
	s_cbranch_execz .LBB279_1346
; %bb.1339:                             ;   in Loop: Header=BB279_941 Depth=1
	v_mov_b32_e32 v8, 0x8000
	s_mov_b32 s15, exec_lo
	v_cmpx_ne_u16_e32 0x80, v0
	s_cbranch_execz .LBB279_1345
; %bb.1340:                             ;   in Loop: Header=BB279_941 Depth=1
	v_and_b32_e32 v9, 0x7f, v38
	v_mov_b32_e32 v8, 0x7c01
	s_mov_b32 s16, exec_lo
	s_delay_alu instid0(VALU_DEP_2)
	v_cmpx_ne_u32_e32 0x7f, v9
	s_cbranch_execz .LBB279_1344
; %bb.1341:                             ;   in Loop: Header=BB279_941 Depth=1
	v_dual_lshrrev_b32 v6, 3, v9 :: v_dual_bitop2_b32 v0, 7, v38 bitop3:0x40
	s_mov_b32 s17, exec_lo
	v_cmpx_gt_u32_e32 8, v9
; %bb.1342:                             ;   in Loop: Header=BB279_941 Depth=1
	s_delay_alu instid0(VALU_DEP_2) | instskip(NEXT) | instid1(VALU_DEP_1)
	v_clz_i32_u32_e32 v0, v0
	v_min_u32_e32 v0, 32, v0
	s_delay_alu instid0(VALU_DEP_1) | instskip(NEXT) | instid1(VALU_DEP_1)
	v_subrev_nc_u32_e32 v6, 28, v0
	v_lshlrev_b64_e32 v[8:9], v6, v[38:39]
	v_sub_nc_u32_e32 v6, 29, v0
	s_delay_alu instid0(VALU_DEP_2)
	v_and_b32_e32 v0, 7, v8
; %bb.1343:                             ;   in Loop: Header=BB279_941 Depth=1
	s_or_b32 exec_lo, exec_lo, s17
	s_delay_alu instid0(VALU_DEP_1) | instskip(NEXT) | instid1(VALU_DEP_3)
	v_dual_lshlrev_b32 v8, 8, v38 :: v_dual_lshlrev_b32 v0, 7, v0
	v_lshl_add_u32 v6, v6, 10, 0x2000
	s_delay_alu instid0(VALU_DEP_2) | instskip(NEXT) | instid1(VALU_DEP_2)
	v_and_b32_e32 v8, 0x8000, v8
	v_and_b32_e32 v6, 0xfc00, v6
	s_delay_alu instid0(VALU_DEP_1)
	v_or3_b32 v8, v8, v6, v0
.LBB279_1344:                           ;   in Loop: Header=BB279_941 Depth=1
	s_or_b32 exec_lo, exec_lo, s16
.LBB279_1345:                           ;   in Loop: Header=BB279_941 Depth=1
	s_delay_alu instid0(SALU_CYCLE_1)
	s_or_b32 exec_lo, exec_lo, s15
.LBB279_1346:                           ;   in Loop: Header=BB279_941 Depth=1
	s_delay_alu instid0(SALU_CYCLE_1) | instskip(SKIP_2) | instid1(VALU_DEP_1)
	s_or_b32 exec_lo, exec_lo, s14
	v_lshrrev_b16 v6, 8, v38
	s_mov_b32 s14, exec_lo
	v_cmpx_ne_u16_e32 0, v6
	s_cbranch_execz .LBB279_1354
; %bb.1347:                             ;   in Loop: Header=BB279_941 Depth=1
	v_bfrev_b32_e32 v1, 1
	s_mov_b32 s15, exec_lo
	v_cmpx_ne_u16_e32 0x80, v6
	s_cbranch_execz .LBB279_1353
; %bb.1348:                             ;   in Loop: Header=BB279_941 Depth=1
	v_and_b32_e32 v0, 0xffff, v6
	v_mov_b32_e32 v1, 0x7c010000
	s_mov_b32 s16, exec_lo
	s_delay_alu instid0(VALU_DEP_2) | instskip(NEXT) | instid1(VALU_DEP_1)
	v_and_b32_e32 v16, 0x7f, v0
	v_cmpx_ne_u32_e32 0x7f, v16
	s_cbranch_execz .LBB279_1352
; %bb.1349:                             ;   in Loop: Header=BB279_941 Depth=1
	v_and_b32_e32 v1, 7, v0
	v_lshrrev_b32_e32 v9, 3, v16
	s_mov_b32 s17, exec_lo
	v_cmpx_gt_u32_e32 8, v16
; %bb.1350:                             ;   in Loop: Header=BB279_941 Depth=1
	s_delay_alu instid0(VALU_DEP_3) | instskip(NEXT) | instid1(VALU_DEP_1)
	v_clz_i32_u32_e32 v1, v1
	v_min_u32_e32 v1, 32, v1
	s_delay_alu instid0(VALU_DEP_1) | instskip(NEXT) | instid1(VALU_DEP_1)
	v_subrev_nc_u32_e32 v9, 28, v1
	v_lshlrev_b64_e32 v[16:17], v9, v[6:7]
	s_delay_alu instid0(VALU_DEP_1)
	v_dual_sub_nc_u32 v9, 29, v1 :: v_dual_bitop2_b32 v1, 7, v16 bitop3:0x40
; %bb.1351:                             ;   in Loop: Header=BB279_941 Depth=1
	s_or_b32 exec_lo, exec_lo, s17
	s_delay_alu instid0(VALU_DEP_1) | instskip(NEXT) | instid1(VALU_DEP_2)
	v_dual_lshlrev_b32 v0, 8, v0 :: v_dual_lshlrev_b32 v1, 23, v1
	v_lshl_add_u32 v6, v9, 10, 0x2000
	s_delay_alu instid0(VALU_DEP_1) | instskip(NEXT) | instid1(VALU_DEP_1)
	v_and_or_b32 v0, 0x8000, v0, v6
	v_lshl_or_b32 v1, v0, 16, v1
.LBB279_1352:                           ;   in Loop: Header=BB279_941 Depth=1
	s_or_b32 exec_lo, exec_lo, s16
.LBB279_1353:                           ;   in Loop: Header=BB279_941 Depth=1
	s_delay_alu instid0(SALU_CYCLE_1)
	s_or_b32 exec_lo, exec_lo, s15
.LBB279_1354:                           ;   in Loop: Header=BB279_941 Depth=1
	s_delay_alu instid0(SALU_CYCLE_1) | instskip(SKIP_3) | instid1(VALU_DEP_2)
	s_or_b32 exec_lo, exec_lo, s14
	v_dual_mov_b32 v9, 0 :: v_dual_lshrrev_b32 v0, 16, v38
	v_mov_b32_e32 v16, 0
	s_mov_b32 s14, exec_lo
	v_and_b32_e32 v6, 0xff, v0
	s_delay_alu instid0(VALU_DEP_1)
	v_cmpx_ne_u16_e32 0, v6
	s_cbranch_execz .LBB279_1362
; %bb.1355:                             ;   in Loop: Header=BB279_941 Depth=1
	v_mov_b32_e32 v16, 0x8000
	s_mov_b32 s15, exec_lo
	v_cmpx_ne_u16_e32 0x80, v6
	s_cbranch_execz .LBB279_1361
; %bb.1356:                             ;   in Loop: Header=BB279_941 Depth=1
	v_bfe_u32 v17, v38, 16, 7
	v_mov_b32_e32 v16, 0x7c01
	s_mov_b32 s16, exec_lo
	s_delay_alu instid0(VALU_DEP_2)
	v_cmpx_ne_u32_e32 0x7f, v17
	s_cbranch_execz .LBB279_1360
; %bb.1357:                             ;   in Loop: Header=BB279_941 Depth=1
	v_dual_lshrrev_b32 v16, 3, v17 :: v_dual_bitop2_b32 v6, 7, v0 bitop3:0x40
	s_mov_b32 s17, exec_lo
	v_cmpx_gt_u32_e32 8, v17
; %bb.1358:                             ;   in Loop: Header=BB279_941 Depth=1
	s_delay_alu instid0(VALU_DEP_2) | instskip(NEXT) | instid1(VALU_DEP_1)
	v_clz_i32_u32_e32 v6, v6
	v_min_u32_e32 v6, 32, v6
	s_delay_alu instid0(VALU_DEP_1) | instskip(NEXT) | instid1(VALU_DEP_1)
	v_subrev_nc_u32_e32 v16, 28, v6
	v_lshlrev_b64_e32 v[18:19], v16, v[0:1]
	v_sub_nc_u32_e32 v16, 29, v6
	s_delay_alu instid0(VALU_DEP_2)
	v_and_b32_e32 v6, 7, v18
; %bb.1359:                             ;   in Loop: Header=BB279_941 Depth=1
	s_or_b32 exec_lo, exec_lo, s17
	s_delay_alu instid0(VALU_DEP_1) | instskip(NEXT) | instid1(VALU_DEP_3)
	v_dual_lshlrev_b32 v0, 8, v0 :: v_dual_lshlrev_b32 v6, 7, v6
	v_lshl_add_u32 v16, v16, 10, 0x2000
	s_delay_alu instid0(VALU_DEP_2) | instskip(NEXT) | instid1(VALU_DEP_2)
	v_and_b32_e32 v0, 0x8000, v0
	v_and_b32_e32 v16, 0xfc00, v16
	s_delay_alu instid0(VALU_DEP_1)
	v_or3_b32 v16, v0, v16, v6
.LBB279_1360:                           ;   in Loop: Header=BB279_941 Depth=1
	s_or_b32 exec_lo, exec_lo, s16
.LBB279_1361:                           ;   in Loop: Header=BB279_941 Depth=1
	s_delay_alu instid0(SALU_CYCLE_1)
	s_or_b32 exec_lo, exec_lo, s15
.LBB279_1362:                           ;   in Loop: Header=BB279_941 Depth=1
	s_delay_alu instid0(SALU_CYCLE_1) | instskip(NEXT) | instid1(SALU_CYCLE_1)
	s_or_b32 exec_lo, exec_lo, s14
	s_mov_b32 s14, exec_lo
	v_cmpx_lt_u32_e32 0xffffff, v38
	s_cbranch_execz .LBB279_1370
; %bb.1363:                             ;   in Loop: Header=BB279_941 Depth=1
	v_lshrrev_b32_e32 v6, 24, v38
	v_bfrev_b32_e32 v9, 1
	s_mov_b32 s15, exec_lo
	s_delay_alu instid0(VALU_DEP_2)
	v_cmpx_ne_u32_e32 0x80, v6
	s_cbranch_execz .LBB279_1369
; %bb.1364:                             ;   in Loop: Header=BB279_941 Depth=1
	v_and_b32_e32 v17, 0x7f, v6
	v_mov_b32_e32 v9, 0x7c010000
	s_mov_b32 s16, exec_lo
	s_delay_alu instid0(VALU_DEP_2)
	v_cmpx_ne_u32_e32 0x7f, v17
	s_cbranch_execz .LBB279_1368
; %bb.1365:                             ;   in Loop: Header=BB279_941 Depth=1
	v_dual_lshrrev_b32 v9, 3, v17 :: v_dual_bitop2_b32 v0, 7, v6 bitop3:0x40
	s_mov_b32 s17, exec_lo
	v_cmpx_gt_u32_e32 8, v17
; %bb.1366:                             ;   in Loop: Header=BB279_941 Depth=1
	s_delay_alu instid0(VALU_DEP_2) | instskip(NEXT) | instid1(VALU_DEP_1)
	v_clz_i32_u32_e32 v0, v0
	v_min_u32_e32 v0, 32, v0
	s_delay_alu instid0(VALU_DEP_1) | instskip(NEXT) | instid1(VALU_DEP_1)
	v_subrev_nc_u32_e32 v9, 28, v0
	v_lshlrev_b64_e32 v[18:19], v9, v[6:7]
	s_delay_alu instid0(VALU_DEP_1)
	v_dual_sub_nc_u32 v9, 29, v0 :: v_dual_bitop2_b32 v0, 7, v18 bitop3:0x40
; %bb.1367:                             ;   in Loop: Header=BB279_941 Depth=1
	s_or_b32 exec_lo, exec_lo, s17
	s_delay_alu instid0(VALU_DEP_1) | instskip(NEXT) | instid1(VALU_DEP_2)
	v_dual_lshlrev_b32 v6, 8, v6 :: v_dual_lshlrev_b32 v0, 23, v0
	v_lshl_add_u32 v9, v9, 10, 0x2000
	s_delay_alu instid0(VALU_DEP_1) | instskip(NEXT) | instid1(VALU_DEP_1)
	v_and_or_b32 v6, 0x8000, v6, v9
	v_lshl_or_b32 v9, v6, 16, v0
.LBB279_1368:                           ;   in Loop: Header=BB279_941 Depth=1
	s_or_b32 exec_lo, exec_lo, s16
.LBB279_1369:                           ;   in Loop: Header=BB279_941 Depth=1
	s_delay_alu instid0(SALU_CYCLE_1)
	s_or_b32 exec_lo, exec_lo, s15
.LBB279_1370:                           ;   in Loop: Header=BB279_941 Depth=1
	s_delay_alu instid0(SALU_CYCLE_1) | instskip(SKIP_4) | instid1(VALU_DEP_3)
	s_or_b32 exec_lo, exec_lo, s14
	v_and_b32_e32 v0, 0xff, v39
	v_dual_mov_b32 v6, v39 :: v_dual_mov_b32 v18, 0
	v_mov_b32_e32 v17, 0
	s_mov_b32 s14, exec_lo
	v_cmpx_ne_u16_e32 0, v0
	s_cbranch_execz .LBB279_1378
; %bb.1371:                             ;   in Loop: Header=BB279_941 Depth=1
	v_mov_b32_e32 v17, 0x8000
	s_mov_b32 s15, exec_lo
	v_cmpx_ne_u16_e32 0x80, v0
	s_cbranch_execz .LBB279_1377
; %bb.1372:                             ;   in Loop: Header=BB279_941 Depth=1
	v_and_b32_e32 v19, 0x7f, v39
	v_mov_b32_e32 v17, 0x7c01
	s_mov_b32 s16, exec_lo
	s_delay_alu instid0(VALU_DEP_2)
	v_cmpx_ne_u32_e32 0x7f, v19
	s_cbranch_execz .LBB279_1376
; %bb.1373:                             ;   in Loop: Header=BB279_941 Depth=1
	v_and_b32_e32 v0, 7, v39
	v_lshrrev_b32_e32 v17, 3, v19
	s_mov_b32 s17, exec_lo
	v_cmpx_gt_u32_e32 8, v19
; %bb.1374:                             ;   in Loop: Header=BB279_941 Depth=1
	s_delay_alu instid0(VALU_DEP_3) | instskip(NEXT) | instid1(VALU_DEP_1)
	v_clz_i32_u32_e32 v0, v0
	v_min_u32_e32 v0, 32, v0
	s_delay_alu instid0(VALU_DEP_1) | instskip(NEXT) | instid1(VALU_DEP_1)
	v_subrev_nc_u32_e32 v17, 28, v0
	v_lshlrev_b64_e32 v[22:23], v17, v[6:7]
	s_delay_alu instid0(VALU_DEP_1)
	v_dual_sub_nc_u32 v17, 29, v0 :: v_dual_bitop2_b32 v0, 7, v22 bitop3:0x40
; %bb.1375:                             ;   in Loop: Header=BB279_941 Depth=1
	s_or_b32 exec_lo, exec_lo, s17
	s_delay_alu instid0(VALU_DEP_1) | instskip(NEXT) | instid1(VALU_DEP_2)
	v_dual_lshlrev_b32 v19, 8, v39 :: v_dual_lshlrev_b32 v0, 7, v0
	v_lshl_add_u32 v17, v17, 10, 0x2000
	s_delay_alu instid0(VALU_DEP_2) | instskip(NEXT) | instid1(VALU_DEP_2)
	v_and_b32_e32 v19, 0x8000, v19
	v_and_b32_e32 v17, 0xfc00, v17
	s_delay_alu instid0(VALU_DEP_1)
	v_or3_b32 v17, v19, v17, v0
.LBB279_1376:                           ;   in Loop: Header=BB279_941 Depth=1
	s_or_b32 exec_lo, exec_lo, s16
.LBB279_1377:                           ;   in Loop: Header=BB279_941 Depth=1
	s_delay_alu instid0(SALU_CYCLE_1)
	s_or_b32 exec_lo, exec_lo, s15
.LBB279_1378:                           ;   in Loop: Header=BB279_941 Depth=1
	s_delay_alu instid0(SALU_CYCLE_1) | instskip(SKIP_3) | instid1(VALU_DEP_2)
	s_or_b32 exec_lo, exec_lo, s14
	v_lshrrev_b16 v6, 8, v6
	v_mov_b32_e32 v19, 0
	s_mov_b32 s14, exec_lo
	v_cmpx_ne_u16_e32 0, v6
	s_cbranch_execz .LBB279_1386
; %bb.1379:                             ;   in Loop: Header=BB279_941 Depth=1
	v_bfrev_b32_e32 v19, 1
	s_mov_b32 s15, exec_lo
	v_cmpx_ne_u16_e32 0x80, v6
	s_cbranch_execz .LBB279_1385
; %bb.1380:                             ;   in Loop: Header=BB279_941 Depth=1
	v_and_b32_e32 v0, 0xffff, v6
	v_mov_b32_e32 v19, 0x7c010000
	s_mov_b32 s16, exec_lo
	s_delay_alu instid0(VALU_DEP_2) | instskip(NEXT) | instid1(VALU_DEP_1)
	v_and_b32_e32 v23, 0x7f, v0
	v_cmpx_ne_u32_e32 0x7f, v23
	s_cbranch_execz .LBB279_1384
; %bb.1381:                             ;   in Loop: Header=BB279_941 Depth=1
	v_dual_lshrrev_b32 v22, 3, v23 :: v_dual_bitop2_b32 v19, 7, v0 bitop3:0x40
	s_mov_b32 s17, exec_lo
	v_cmpx_gt_u32_e32 8, v23
; %bb.1382:                             ;   in Loop: Header=BB279_941 Depth=1
	s_delay_alu instid0(VALU_DEP_2) | instskip(NEXT) | instid1(VALU_DEP_1)
	v_clz_i32_u32_e32 v19, v19
	v_min_u32_e32 v19, 32, v19
	s_delay_alu instid0(VALU_DEP_1) | instskip(NEXT) | instid1(VALU_DEP_1)
	v_subrev_nc_u32_e32 v22, 28, v19
	v_lshlrev_b64_e32 v[48:49], v22, v[6:7]
	s_delay_alu instid0(VALU_DEP_1)
	v_dual_sub_nc_u32 v22, 29, v19 :: v_dual_bitop2_b32 v19, 7, v48 bitop3:0x40
; %bb.1383:                             ;   in Loop: Header=BB279_941 Depth=1
	s_or_b32 exec_lo, exec_lo, s17
	v_lshlrev_b32_e32 v0, 8, v0
	s_delay_alu instid0(VALU_DEP_2) | instskip(NEXT) | instid1(VALU_DEP_1)
	v_lshl_add_u32 v6, v22, 10, 0x2000
	v_and_or_b32 v0, 0x8000, v0, v6
	v_lshlrev_b32_e32 v6, 23, v19
	s_delay_alu instid0(VALU_DEP_1)
	v_lshl_or_b32 v19, v0, 16, v6
.LBB279_1384:                           ;   in Loop: Header=BB279_941 Depth=1
	s_or_b32 exec_lo, exec_lo, s16
.LBB279_1385:                           ;   in Loop: Header=BB279_941 Depth=1
	s_delay_alu instid0(SALU_CYCLE_1)
	s_or_b32 exec_lo, exec_lo, s15
.LBB279_1386:                           ;   in Loop: Header=BB279_941 Depth=1
	s_delay_alu instid0(SALU_CYCLE_1) | instskip(SKIP_2) | instid1(VALU_DEP_1)
	s_or_b32 exec_lo, exec_lo, s14
	v_lshrrev_b32_e32 v0, 16, v39
	s_mov_b32 s14, exec_lo
	v_and_b32_e32 v6, 0xff, v0
	s_delay_alu instid0(VALU_DEP_1)
	v_cmpx_ne_u16_e32 0, v6
	s_cbranch_execz .LBB279_1394
; %bb.1387:                             ;   in Loop: Header=BB279_941 Depth=1
	v_mov_b32_e32 v18, 0x8000
	s_mov_b32 s15, exec_lo
	v_cmpx_ne_u16_e32 0x80, v6
	s_cbranch_execz .LBB279_1393
; %bb.1388:                             ;   in Loop: Header=BB279_941 Depth=1
	v_bfe_u32 v22, v39, 16, 7
	v_mov_b32_e32 v18, 0x7c01
	s_mov_b32 s16, exec_lo
	s_delay_alu instid0(VALU_DEP_2)
	v_cmpx_ne_u32_e32 0x7f, v22
	s_cbranch_execz .LBB279_1392
; %bb.1389:                             ;   in Loop: Header=BB279_941 Depth=1
	v_dual_lshrrev_b32 v18, 3, v22 :: v_dual_bitop2_b32 v6, 7, v0 bitop3:0x40
	s_mov_b32 s17, exec_lo
	v_cmpx_gt_u32_e32 8, v22
; %bb.1390:                             ;   in Loop: Header=BB279_941 Depth=1
	s_delay_alu instid0(VALU_DEP_2) | instskip(NEXT) | instid1(VALU_DEP_1)
	v_clz_i32_u32_e32 v6, v6
	v_min_u32_e32 v6, 32, v6
	s_delay_alu instid0(VALU_DEP_1) | instskip(NEXT) | instid1(VALU_DEP_1)
	v_subrev_nc_u32_e32 v18, 28, v6
	v_lshlrev_b64_e32 v[22:23], v18, v[0:1]
	v_sub_nc_u32_e32 v18, 29, v6
	s_delay_alu instid0(VALU_DEP_2)
	v_and_b32_e32 v6, 7, v22
; %bb.1391:                             ;   in Loop: Header=BB279_941 Depth=1
	s_or_b32 exec_lo, exec_lo, s17
	s_delay_alu instid0(VALU_DEP_1) | instskip(NEXT) | instid1(VALU_DEP_3)
	v_dual_lshlrev_b32 v0, 8, v0 :: v_dual_lshlrev_b32 v6, 7, v6
	v_lshl_add_u32 v18, v18, 10, 0x2000
	s_delay_alu instid0(VALU_DEP_2) | instskip(NEXT) | instid1(VALU_DEP_2)
	v_and_b32_e32 v0, 0x8000, v0
	v_and_b32_e32 v18, 0xfc00, v18
	s_delay_alu instid0(VALU_DEP_1)
	v_or3_b32 v18, v0, v18, v6
.LBB279_1392:                           ;   in Loop: Header=BB279_941 Depth=1
	s_or_b32 exec_lo, exec_lo, s16
.LBB279_1393:                           ;   in Loop: Header=BB279_941 Depth=1
	s_delay_alu instid0(SALU_CYCLE_1)
	s_or_b32 exec_lo, exec_lo, s15
.LBB279_1394:                           ;   in Loop: Header=BB279_941 Depth=1
	s_delay_alu instid0(SALU_CYCLE_1)
	s_or_b32 exec_lo, exec_lo, s14
	v_mov_b32_e32 v0, 0
	s_mov_b32 s14, exec_lo
	v_cmpx_lt_u64_e64 s[2:3], v[38:39]
	s_cbranch_execz .LBB279_1402
; %bb.1395:                             ;   in Loop: Header=BB279_941 Depth=1
	v_lshrrev_b32_e32 v6, 24, v39
	v_bfrev_b32_e32 v0, 1
	s_mov_b32 s15, exec_lo
	s_delay_alu instid0(VALU_DEP_2)
	v_cmpx_ne_u32_e32 0x80, v6
	s_cbranch_execz .LBB279_1401
; %bb.1396:                             ;   in Loop: Header=BB279_941 Depth=1
	v_and_b32_e32 v23, 0x7f, v6
	v_mov_b32_e32 v0, 0x7c010000
	s_mov_b32 s16, exec_lo
	s_delay_alu instid0(VALU_DEP_2)
	v_cmpx_ne_u32_e32 0x7f, v23
	s_cbranch_execz .LBB279_1400
; %bb.1397:                             ;   in Loop: Header=BB279_941 Depth=1
	v_dual_lshrrev_b32 v22, 3, v23 :: v_dual_bitop2_b32 v0, 7, v6 bitop3:0x40
	s_mov_b32 s17, exec_lo
	v_cmpx_gt_u32_e32 8, v23
; %bb.1398:                             ;   in Loop: Header=BB279_941 Depth=1
	s_delay_alu instid0(VALU_DEP_2) | instskip(NEXT) | instid1(VALU_DEP_1)
	v_clz_i32_u32_e32 v0, v0
	v_min_u32_e32 v0, 32, v0
	s_delay_alu instid0(VALU_DEP_1) | instskip(NEXT) | instid1(VALU_DEP_1)
	v_subrev_nc_u32_e32 v22, 28, v0
	v_lshlrev_b64_e32 v[38:39], v22, v[6:7]
	s_delay_alu instid0(VALU_DEP_1)
	v_dual_sub_nc_u32 v22, 29, v0 :: v_dual_bitop2_b32 v0, 7, v38 bitop3:0x40
; %bb.1399:                             ;   in Loop: Header=BB279_941 Depth=1
	s_or_b32 exec_lo, exec_lo, s17
	s_delay_alu instid0(VALU_DEP_1) | instskip(NEXT) | instid1(VALU_DEP_2)
	v_dual_lshlrev_b32 v6, 8, v6 :: v_dual_lshlrev_b32 v0, 23, v0
	v_lshl_add_u32 v22, v22, 10, 0x2000
	s_delay_alu instid0(VALU_DEP_1) | instskip(NEXT) | instid1(VALU_DEP_1)
	v_and_or_b32 v6, 0x8000, v6, v22
	v_lshl_or_b32 v0, v6, 16, v0
.LBB279_1400:                           ;   in Loop: Header=BB279_941 Depth=1
	s_or_b32 exec_lo, exec_lo, s16
.LBB279_1401:                           ;   in Loop: Header=BB279_941 Depth=1
	s_delay_alu instid0(SALU_CYCLE_1)
	s_or_b32 exec_lo, exec_lo, s15
.LBB279_1402:                           ;   in Loop: Header=BB279_941 Depth=1
	s_delay_alu instid0(SALU_CYCLE_1) | instskip(SKIP_2) | instid1(VALU_DEP_2)
	s_or_b32 exec_lo, exec_lo, s14
	v_dual_lshrrev_b32 v6, 16, v1 :: v_dual_bitop2_b32 v1, v1, v8 bitop3:0x54
	v_dual_lshrrev_b32 v22, 16, v9 :: v_dual_bitop2_b32 v16, v9, v16 bitop3:0x54
	v_cvt_f32_f16_e32 v9, v6
	v_dual_lshrrev_b32 v18, 16, v19 :: v_dual_bitop2_b32 v6, v0, v18 bitop3:0x54
	s_delay_alu instid0(VALU_DEP_3)
	v_cvt_f32_f16_e32 v8, v22
	v_dual_lshrrev_b32 v22, 16, v0 :: v_dual_bitop2_b32 v19, v19, v17 bitop3:0x54
	v_cvt_f32_f16_e32 v0, v16
	v_cvt_f32_f16_e32 v1, v1
	s_wait_loadcnt_dscnt 0x0
	v_pk_mul_f32 v[8:9], v[36:37], v[8:9] op_sel_hi:[0,1]
	v_cvt_f32_f16_e32 v17, v18
	v_cvt_f32_f16_e32 v16, v22
	;; [unrolled: 1-line block ×4, first 2 shown]
	v_pk_mul_f32 v[0:1], v[36:37], v[0:1] op_sel_hi:[0,1]
	v_cvt_pk_f16_f32 v6, v8, v9
	v_pk_mul_f32 v[8:9], v[36:37], v[16:17] op_sel_hi:[0,1]
	s_delay_alu instid0(VALU_DEP_4) | instskip(NEXT) | instid1(VALU_DEP_4)
	v_pk_mul_f32 v[16:17], v[36:37], v[18:19] op_sel_hi:[0,1]
	v_cvt_pk_f16_f32 v0, v0, v1
	s_delay_alu instid0(VALU_DEP_4) | instskip(NEXT) | instid1(VALU_DEP_4)
	v_and_b32_e32 v19, 0xffff0000, v6
	v_cvt_pk_f16_f32 v8, v8, v9
	v_lshlrev_b32_e32 v36, 16, v6
	v_cvt_pk_f16_f32 v6, v16, v17
	v_lshrrev_b32_e32 v49, 16, v0
	v_and_b32_e32 v50, 0xffff, v0
	v_and_b32_e32 v1, 0xffff0000, v8
	s_delay_alu instid0(VALU_DEP_4) | instskip(SKIP_3) | instid1(VALU_DEP_4)
	v_dual_lshlrev_b32 v0, 16, v8 :: v_dual_lshrrev_b32 v9, 16, v6
	v_and_b32_e32 v6, 0xffff, v6
	v_or_b32_e32 v39, v19, v49
	v_or_b32_e32 v48, v36, v50
	;; [unrolled: 1-line block ×3, first 2 shown]
	s_delay_alu instid0(VALU_DEP_4)
	v_or_b32_e32 v38, v0, v6
	s_and_saveexec_b32 s14, vcc_lo
	s_cbranch_execz .LBB279_1404
; %bb.1403:                             ;   in Loop: Header=BB279_941 Depth=1
	v_cmp_lt_i32_e64 s0, v67, v13
	s_delay_alu instid0(VALU_DEP_1) | instskip(SKIP_1) | instid1(VALU_DEP_1)
	v_cndmask_b32_e64 v8, 0, v49, s0
	v_cmp_lt_i32_e64 s0, v82, v12
	v_cndmask_b32_e64 v16, 0, v50, s0
	v_cmp_lt_i32_e64 s0, v81, v13
	s_delay_alu instid0(VALU_DEP_1) | instskip(SKIP_1) | instid1(VALU_DEP_1)
	v_cndmask_b32_e64 v17, 0, v19, s0
	v_cmp_lt_i32_e64 s0, v80, v12
	v_cndmask_b32_e64 v18, 0, v36, s0
	v_cmp_lt_i32_e64 s0, v71, v13
	s_delay_alu instid0(VALU_DEP_4) | instskip(NEXT) | instid1(VALU_DEP_2)
	v_or_b32_e32 v39, v8, v17
	v_dual_cndmask_b32 v9, 0, v9, s0 :: v_dual_bitop2_b32 v48, v16, v18 bitop3:0x54
	v_cmp_lt_i32_e64 s0, v70, v12
	s_delay_alu instid0(VALU_DEP_1) | instskip(SKIP_1) | instid1(VALU_DEP_1)
	v_cndmask_b32_e64 v6, 0, v6, s0
	v_cmp_lt_i32_e64 s0, v69, v13
	v_cndmask_b32_e64 v1, 0, v1, s0
	v_cmp_lt_i32_e64 s0, v68, v12
	s_delay_alu instid0(VALU_DEP_1) | instskip(NEXT) | instid1(VALU_DEP_1)
	v_dual_cndmask_b32 v0, 0, v0, s0 :: v_dual_bitop2_b32 v37, v9, v1 bitop3:0x54
	v_or_b32_e32 v38, v6, v0
.LBB279_1404:                           ;   in Loop: Header=BB279_941 Depth=1
	s_or_b32 exec_lo, exec_lo, s14
	;;#ASMSTART
	v_pk_mul_f16 v0, v87, v39;

	;;#ASMEND
	;;#ASMSTART
	v_pk_mul_f16 v1, v85, v48;

	;;#ASMEND
	;; [unrolled: 4-line block ×4, first 2 shown]
	;;#ASMSTART
	v_pk_add_f16 v0, v0, v1;

	;;#ASMEND
	;;#ASMSTART
	v_pk_add_f16 v0, v0, v6;

	;;#ASMEND
	;; [unrolled: 4-line block ×3, first 2 shown]
	v_and_b32_e32 v1, 0xffff, v0
	v_lshrrev_b32_e32 v0, 16, v0
	;;#ASMSTART
	v_cvt_f32_f16 v115, v1;
	;;#ASMEND
	;;#ASMSTART
	v_cvt_f32_f16 v116, v0;
	;;#ASMEND
	flat_load_b64 v[38:39], v[28:29] offset:1792
	scratch_load_b64 v[0:1], off, s32 offset:192 ; 8-byte Folded Reload
	v_mov_b32_e32 v8, 0
	s_mov_b32 s14, exec_lo
	s_wait_loadcnt 0x0
	flat_load_b32 v36, v[0:1]
	s_wait_dscnt 0x1
	s_wait_xcnt 0x0
	v_and_b32_e32 v0, 0xff, v38
	v_mov_b32_e32 v1, 0
	s_delay_alu instid0(VALU_DEP_2)
	v_cmpx_ne_u16_e32 0, v0
	s_cbranch_execz .LBB279_1412
; %bb.1405:                             ;   in Loop: Header=BB279_941 Depth=1
	v_mov_b32_e32 v8, 0x8000
	s_mov_b32 s15, exec_lo
	v_cmpx_ne_u16_e32 0x80, v0
	s_cbranch_execz .LBB279_1411
; %bb.1406:                             ;   in Loop: Header=BB279_941 Depth=1
	v_and_b32_e32 v9, 0x7f, v38
	v_mov_b32_e32 v8, 0x7c01
	s_mov_b32 s16, exec_lo
	s_delay_alu instid0(VALU_DEP_2)
	v_cmpx_ne_u32_e32 0x7f, v9
	s_cbranch_execz .LBB279_1410
; %bb.1407:                             ;   in Loop: Header=BB279_941 Depth=1
	v_dual_lshrrev_b32 v6, 3, v9 :: v_dual_bitop2_b32 v0, 7, v38 bitop3:0x40
	s_mov_b32 s17, exec_lo
	v_cmpx_gt_u32_e32 8, v9
; %bb.1408:                             ;   in Loop: Header=BB279_941 Depth=1
	s_delay_alu instid0(VALU_DEP_2) | instskip(NEXT) | instid1(VALU_DEP_1)
	v_clz_i32_u32_e32 v0, v0
	v_min_u32_e32 v0, 32, v0
	s_delay_alu instid0(VALU_DEP_1) | instskip(NEXT) | instid1(VALU_DEP_1)
	v_subrev_nc_u32_e32 v6, 28, v0
	v_lshlrev_b64_e32 v[8:9], v6, v[38:39]
	v_sub_nc_u32_e32 v6, 29, v0
	s_delay_alu instid0(VALU_DEP_2)
	v_and_b32_e32 v0, 7, v8
; %bb.1409:                             ;   in Loop: Header=BB279_941 Depth=1
	s_or_b32 exec_lo, exec_lo, s17
	s_delay_alu instid0(VALU_DEP_1) | instskip(NEXT) | instid1(VALU_DEP_3)
	v_dual_lshlrev_b32 v8, 8, v38 :: v_dual_lshlrev_b32 v0, 7, v0
	v_lshl_add_u32 v6, v6, 10, 0x2000
	s_delay_alu instid0(VALU_DEP_2) | instskip(NEXT) | instid1(VALU_DEP_2)
	v_and_b32_e32 v8, 0x8000, v8
	v_and_b32_e32 v6, 0xfc00, v6
	s_delay_alu instid0(VALU_DEP_1)
	v_or3_b32 v8, v8, v6, v0
.LBB279_1410:                           ;   in Loop: Header=BB279_941 Depth=1
	s_or_b32 exec_lo, exec_lo, s16
.LBB279_1411:                           ;   in Loop: Header=BB279_941 Depth=1
	s_delay_alu instid0(SALU_CYCLE_1)
	s_or_b32 exec_lo, exec_lo, s15
.LBB279_1412:                           ;   in Loop: Header=BB279_941 Depth=1
	s_delay_alu instid0(SALU_CYCLE_1) | instskip(SKIP_2) | instid1(VALU_DEP_1)
	s_or_b32 exec_lo, exec_lo, s14
	v_lshrrev_b16 v6, 8, v38
	s_mov_b32 s14, exec_lo
	v_cmpx_ne_u16_e32 0, v6
	s_cbranch_execz .LBB279_1420
; %bb.1413:                             ;   in Loop: Header=BB279_941 Depth=1
	v_bfrev_b32_e32 v1, 1
	s_mov_b32 s15, exec_lo
	v_cmpx_ne_u16_e32 0x80, v6
	s_cbranch_execz .LBB279_1419
; %bb.1414:                             ;   in Loop: Header=BB279_941 Depth=1
	v_and_b32_e32 v0, 0xffff, v6
	v_mov_b32_e32 v1, 0x7c010000
	s_mov_b32 s16, exec_lo
	s_delay_alu instid0(VALU_DEP_2) | instskip(NEXT) | instid1(VALU_DEP_1)
	v_and_b32_e32 v16, 0x7f, v0
	v_cmpx_ne_u32_e32 0x7f, v16
	s_cbranch_execz .LBB279_1418
; %bb.1415:                             ;   in Loop: Header=BB279_941 Depth=1
	v_and_b32_e32 v1, 7, v0
	v_lshrrev_b32_e32 v9, 3, v16
	s_mov_b32 s17, exec_lo
	v_cmpx_gt_u32_e32 8, v16
; %bb.1416:                             ;   in Loop: Header=BB279_941 Depth=1
	s_delay_alu instid0(VALU_DEP_3) | instskip(NEXT) | instid1(VALU_DEP_1)
	v_clz_i32_u32_e32 v1, v1
	v_min_u32_e32 v1, 32, v1
	s_delay_alu instid0(VALU_DEP_1) | instskip(NEXT) | instid1(VALU_DEP_1)
	v_subrev_nc_u32_e32 v9, 28, v1
	v_lshlrev_b64_e32 v[16:17], v9, v[6:7]
	s_delay_alu instid0(VALU_DEP_1)
	v_dual_sub_nc_u32 v9, 29, v1 :: v_dual_bitop2_b32 v1, 7, v16 bitop3:0x40
; %bb.1417:                             ;   in Loop: Header=BB279_941 Depth=1
	s_or_b32 exec_lo, exec_lo, s17
	s_delay_alu instid0(VALU_DEP_1) | instskip(NEXT) | instid1(VALU_DEP_2)
	v_dual_lshlrev_b32 v0, 8, v0 :: v_dual_lshlrev_b32 v1, 23, v1
	v_lshl_add_u32 v6, v9, 10, 0x2000
	s_delay_alu instid0(VALU_DEP_1) | instskip(NEXT) | instid1(VALU_DEP_1)
	v_and_or_b32 v0, 0x8000, v0, v6
	v_lshl_or_b32 v1, v0, 16, v1
.LBB279_1418:                           ;   in Loop: Header=BB279_941 Depth=1
	s_or_b32 exec_lo, exec_lo, s16
.LBB279_1419:                           ;   in Loop: Header=BB279_941 Depth=1
	s_delay_alu instid0(SALU_CYCLE_1)
	s_or_b32 exec_lo, exec_lo, s15
.LBB279_1420:                           ;   in Loop: Header=BB279_941 Depth=1
	s_delay_alu instid0(SALU_CYCLE_1) | instskip(SKIP_3) | instid1(VALU_DEP_2)
	s_or_b32 exec_lo, exec_lo, s14
	v_dual_mov_b32 v9, 0 :: v_dual_lshrrev_b32 v0, 16, v38
	v_mov_b32_e32 v16, 0
	s_mov_b32 s14, exec_lo
	v_and_b32_e32 v6, 0xff, v0
	s_delay_alu instid0(VALU_DEP_1)
	v_cmpx_ne_u16_e32 0, v6
	s_cbranch_execz .LBB279_1428
; %bb.1421:                             ;   in Loop: Header=BB279_941 Depth=1
	v_mov_b32_e32 v16, 0x8000
	s_mov_b32 s15, exec_lo
	v_cmpx_ne_u16_e32 0x80, v6
	s_cbranch_execz .LBB279_1427
; %bb.1422:                             ;   in Loop: Header=BB279_941 Depth=1
	v_bfe_u32 v17, v38, 16, 7
	v_mov_b32_e32 v16, 0x7c01
	s_mov_b32 s16, exec_lo
	s_delay_alu instid0(VALU_DEP_2)
	v_cmpx_ne_u32_e32 0x7f, v17
	s_cbranch_execz .LBB279_1426
; %bb.1423:                             ;   in Loop: Header=BB279_941 Depth=1
	v_dual_lshrrev_b32 v16, 3, v17 :: v_dual_bitop2_b32 v6, 7, v0 bitop3:0x40
	s_mov_b32 s17, exec_lo
	v_cmpx_gt_u32_e32 8, v17
; %bb.1424:                             ;   in Loop: Header=BB279_941 Depth=1
	s_delay_alu instid0(VALU_DEP_2) | instskip(NEXT) | instid1(VALU_DEP_1)
	v_clz_i32_u32_e32 v6, v6
	v_min_u32_e32 v6, 32, v6
	s_delay_alu instid0(VALU_DEP_1) | instskip(NEXT) | instid1(VALU_DEP_1)
	v_subrev_nc_u32_e32 v16, 28, v6
	v_lshlrev_b64_e32 v[18:19], v16, v[0:1]
	v_sub_nc_u32_e32 v16, 29, v6
	s_delay_alu instid0(VALU_DEP_2)
	v_and_b32_e32 v6, 7, v18
; %bb.1425:                             ;   in Loop: Header=BB279_941 Depth=1
	s_or_b32 exec_lo, exec_lo, s17
	s_delay_alu instid0(VALU_DEP_1) | instskip(NEXT) | instid1(VALU_DEP_3)
	v_dual_lshlrev_b32 v0, 8, v0 :: v_dual_lshlrev_b32 v6, 7, v6
	v_lshl_add_u32 v16, v16, 10, 0x2000
	s_delay_alu instid0(VALU_DEP_2) | instskip(NEXT) | instid1(VALU_DEP_2)
	v_and_b32_e32 v0, 0x8000, v0
	v_and_b32_e32 v16, 0xfc00, v16
	s_delay_alu instid0(VALU_DEP_1)
	v_or3_b32 v16, v0, v16, v6
.LBB279_1426:                           ;   in Loop: Header=BB279_941 Depth=1
	s_or_b32 exec_lo, exec_lo, s16
.LBB279_1427:                           ;   in Loop: Header=BB279_941 Depth=1
	s_delay_alu instid0(SALU_CYCLE_1)
	s_or_b32 exec_lo, exec_lo, s15
.LBB279_1428:                           ;   in Loop: Header=BB279_941 Depth=1
	s_delay_alu instid0(SALU_CYCLE_1) | instskip(NEXT) | instid1(SALU_CYCLE_1)
	s_or_b32 exec_lo, exec_lo, s14
	s_mov_b32 s14, exec_lo
	v_cmpx_lt_u32_e32 0xffffff, v38
	s_cbranch_execz .LBB279_1436
; %bb.1429:                             ;   in Loop: Header=BB279_941 Depth=1
	v_lshrrev_b32_e32 v6, 24, v38
	v_bfrev_b32_e32 v9, 1
	s_mov_b32 s15, exec_lo
	s_delay_alu instid0(VALU_DEP_2)
	v_cmpx_ne_u32_e32 0x80, v6
	s_cbranch_execz .LBB279_1435
; %bb.1430:                             ;   in Loop: Header=BB279_941 Depth=1
	v_and_b32_e32 v17, 0x7f, v6
	v_mov_b32_e32 v9, 0x7c010000
	s_mov_b32 s16, exec_lo
	s_delay_alu instid0(VALU_DEP_2)
	v_cmpx_ne_u32_e32 0x7f, v17
	s_cbranch_execz .LBB279_1434
; %bb.1431:                             ;   in Loop: Header=BB279_941 Depth=1
	v_dual_lshrrev_b32 v9, 3, v17 :: v_dual_bitop2_b32 v0, 7, v6 bitop3:0x40
	s_mov_b32 s17, exec_lo
	v_cmpx_gt_u32_e32 8, v17
; %bb.1432:                             ;   in Loop: Header=BB279_941 Depth=1
	s_delay_alu instid0(VALU_DEP_2) | instskip(NEXT) | instid1(VALU_DEP_1)
	v_clz_i32_u32_e32 v0, v0
	v_min_u32_e32 v0, 32, v0
	s_delay_alu instid0(VALU_DEP_1) | instskip(NEXT) | instid1(VALU_DEP_1)
	v_subrev_nc_u32_e32 v9, 28, v0
	v_lshlrev_b64_e32 v[18:19], v9, v[6:7]
	s_delay_alu instid0(VALU_DEP_1)
	v_dual_sub_nc_u32 v9, 29, v0 :: v_dual_bitop2_b32 v0, 7, v18 bitop3:0x40
; %bb.1433:                             ;   in Loop: Header=BB279_941 Depth=1
	s_or_b32 exec_lo, exec_lo, s17
	s_delay_alu instid0(VALU_DEP_1) | instskip(NEXT) | instid1(VALU_DEP_2)
	v_dual_lshlrev_b32 v6, 8, v6 :: v_dual_lshlrev_b32 v0, 23, v0
	v_lshl_add_u32 v9, v9, 10, 0x2000
	s_delay_alu instid0(VALU_DEP_1) | instskip(NEXT) | instid1(VALU_DEP_1)
	v_and_or_b32 v6, 0x8000, v6, v9
	v_lshl_or_b32 v9, v6, 16, v0
.LBB279_1434:                           ;   in Loop: Header=BB279_941 Depth=1
	s_or_b32 exec_lo, exec_lo, s16
.LBB279_1435:                           ;   in Loop: Header=BB279_941 Depth=1
	s_delay_alu instid0(SALU_CYCLE_1)
	s_or_b32 exec_lo, exec_lo, s15
.LBB279_1436:                           ;   in Loop: Header=BB279_941 Depth=1
	s_delay_alu instid0(SALU_CYCLE_1) | instskip(SKIP_4) | instid1(VALU_DEP_3)
	s_or_b32 exec_lo, exec_lo, s14
	v_and_b32_e32 v0, 0xff, v39
	v_dual_mov_b32 v6, v39 :: v_dual_mov_b32 v18, 0
	v_mov_b32_e32 v17, 0
	s_mov_b32 s14, exec_lo
	v_cmpx_ne_u16_e32 0, v0
	s_cbranch_execz .LBB279_1444
; %bb.1437:                             ;   in Loop: Header=BB279_941 Depth=1
	v_mov_b32_e32 v17, 0x8000
	s_mov_b32 s15, exec_lo
	v_cmpx_ne_u16_e32 0x80, v0
	s_cbranch_execz .LBB279_1443
; %bb.1438:                             ;   in Loop: Header=BB279_941 Depth=1
	v_and_b32_e32 v19, 0x7f, v39
	v_mov_b32_e32 v17, 0x7c01
	s_mov_b32 s16, exec_lo
	s_delay_alu instid0(VALU_DEP_2)
	v_cmpx_ne_u32_e32 0x7f, v19
	s_cbranch_execz .LBB279_1442
; %bb.1439:                             ;   in Loop: Header=BB279_941 Depth=1
	v_and_b32_e32 v0, 7, v39
	v_lshrrev_b32_e32 v17, 3, v19
	s_mov_b32 s17, exec_lo
	v_cmpx_gt_u32_e32 8, v19
; %bb.1440:                             ;   in Loop: Header=BB279_941 Depth=1
	s_delay_alu instid0(VALU_DEP_3) | instskip(NEXT) | instid1(VALU_DEP_1)
	v_clz_i32_u32_e32 v0, v0
	v_min_u32_e32 v0, 32, v0
	s_delay_alu instid0(VALU_DEP_1) | instskip(NEXT) | instid1(VALU_DEP_1)
	v_subrev_nc_u32_e32 v17, 28, v0
	v_lshlrev_b64_e32 v[22:23], v17, v[6:7]
	s_delay_alu instid0(VALU_DEP_1)
	v_dual_sub_nc_u32 v17, 29, v0 :: v_dual_bitop2_b32 v0, 7, v22 bitop3:0x40
; %bb.1441:                             ;   in Loop: Header=BB279_941 Depth=1
	s_or_b32 exec_lo, exec_lo, s17
	s_delay_alu instid0(VALU_DEP_1) | instskip(NEXT) | instid1(VALU_DEP_2)
	v_dual_lshlrev_b32 v19, 8, v39 :: v_dual_lshlrev_b32 v0, 7, v0
	v_lshl_add_u32 v17, v17, 10, 0x2000
	s_delay_alu instid0(VALU_DEP_2) | instskip(NEXT) | instid1(VALU_DEP_2)
	v_and_b32_e32 v19, 0x8000, v19
	v_and_b32_e32 v17, 0xfc00, v17
	s_delay_alu instid0(VALU_DEP_1)
	v_or3_b32 v17, v19, v17, v0
.LBB279_1442:                           ;   in Loop: Header=BB279_941 Depth=1
	s_or_b32 exec_lo, exec_lo, s16
.LBB279_1443:                           ;   in Loop: Header=BB279_941 Depth=1
	s_delay_alu instid0(SALU_CYCLE_1)
	s_or_b32 exec_lo, exec_lo, s15
.LBB279_1444:                           ;   in Loop: Header=BB279_941 Depth=1
	s_delay_alu instid0(SALU_CYCLE_1) | instskip(SKIP_3) | instid1(VALU_DEP_2)
	s_or_b32 exec_lo, exec_lo, s14
	v_lshrrev_b16 v6, 8, v6
	v_mov_b32_e32 v19, 0
	s_mov_b32 s14, exec_lo
	v_cmpx_ne_u16_e32 0, v6
	s_cbranch_execz .LBB279_1452
; %bb.1445:                             ;   in Loop: Header=BB279_941 Depth=1
	v_bfrev_b32_e32 v19, 1
	s_mov_b32 s15, exec_lo
	v_cmpx_ne_u16_e32 0x80, v6
	s_cbranch_execz .LBB279_1451
; %bb.1446:                             ;   in Loop: Header=BB279_941 Depth=1
	v_and_b32_e32 v0, 0xffff, v6
	v_mov_b32_e32 v19, 0x7c010000
	s_mov_b32 s16, exec_lo
	s_delay_alu instid0(VALU_DEP_2) | instskip(NEXT) | instid1(VALU_DEP_1)
	v_and_b32_e32 v23, 0x7f, v0
	v_cmpx_ne_u32_e32 0x7f, v23
	s_cbranch_execz .LBB279_1450
; %bb.1447:                             ;   in Loop: Header=BB279_941 Depth=1
	v_dual_lshrrev_b32 v22, 3, v23 :: v_dual_bitop2_b32 v19, 7, v0 bitop3:0x40
	s_mov_b32 s17, exec_lo
	v_cmpx_gt_u32_e32 8, v23
; %bb.1448:                             ;   in Loop: Header=BB279_941 Depth=1
	s_delay_alu instid0(VALU_DEP_2) | instskip(NEXT) | instid1(VALU_DEP_1)
	v_clz_i32_u32_e32 v19, v19
	v_min_u32_e32 v19, 32, v19
	s_delay_alu instid0(VALU_DEP_1) | instskip(NEXT) | instid1(VALU_DEP_1)
	v_subrev_nc_u32_e32 v22, 28, v19
	v_lshlrev_b64_e32 v[48:49], v22, v[6:7]
	s_delay_alu instid0(VALU_DEP_1)
	v_dual_sub_nc_u32 v22, 29, v19 :: v_dual_bitop2_b32 v19, 7, v48 bitop3:0x40
; %bb.1449:                             ;   in Loop: Header=BB279_941 Depth=1
	s_or_b32 exec_lo, exec_lo, s17
	v_lshlrev_b32_e32 v0, 8, v0
	s_delay_alu instid0(VALU_DEP_2) | instskip(NEXT) | instid1(VALU_DEP_1)
	v_lshl_add_u32 v6, v22, 10, 0x2000
	v_and_or_b32 v0, 0x8000, v0, v6
	v_lshlrev_b32_e32 v6, 23, v19
	s_delay_alu instid0(VALU_DEP_1)
	v_lshl_or_b32 v19, v0, 16, v6
.LBB279_1450:                           ;   in Loop: Header=BB279_941 Depth=1
	s_or_b32 exec_lo, exec_lo, s16
.LBB279_1451:                           ;   in Loop: Header=BB279_941 Depth=1
	s_delay_alu instid0(SALU_CYCLE_1)
	s_or_b32 exec_lo, exec_lo, s15
.LBB279_1452:                           ;   in Loop: Header=BB279_941 Depth=1
	s_delay_alu instid0(SALU_CYCLE_1) | instskip(SKIP_2) | instid1(VALU_DEP_1)
	s_or_b32 exec_lo, exec_lo, s14
	v_lshrrev_b32_e32 v0, 16, v39
	s_mov_b32 s14, exec_lo
	v_and_b32_e32 v6, 0xff, v0
	s_delay_alu instid0(VALU_DEP_1)
	v_cmpx_ne_u16_e32 0, v6
	s_cbranch_execz .LBB279_1460
; %bb.1453:                             ;   in Loop: Header=BB279_941 Depth=1
	v_mov_b32_e32 v18, 0x8000
	s_mov_b32 s15, exec_lo
	v_cmpx_ne_u16_e32 0x80, v6
	s_cbranch_execz .LBB279_1459
; %bb.1454:                             ;   in Loop: Header=BB279_941 Depth=1
	v_bfe_u32 v22, v39, 16, 7
	v_mov_b32_e32 v18, 0x7c01
	s_mov_b32 s16, exec_lo
	s_delay_alu instid0(VALU_DEP_2)
	v_cmpx_ne_u32_e32 0x7f, v22
	s_cbranch_execz .LBB279_1458
; %bb.1455:                             ;   in Loop: Header=BB279_941 Depth=1
	v_dual_lshrrev_b32 v18, 3, v22 :: v_dual_bitop2_b32 v6, 7, v0 bitop3:0x40
	s_mov_b32 s17, exec_lo
	v_cmpx_gt_u32_e32 8, v22
; %bb.1456:                             ;   in Loop: Header=BB279_941 Depth=1
	s_delay_alu instid0(VALU_DEP_2) | instskip(NEXT) | instid1(VALU_DEP_1)
	v_clz_i32_u32_e32 v6, v6
	v_min_u32_e32 v6, 32, v6
	s_delay_alu instid0(VALU_DEP_1) | instskip(NEXT) | instid1(VALU_DEP_1)
	v_subrev_nc_u32_e32 v18, 28, v6
	v_lshlrev_b64_e32 v[22:23], v18, v[0:1]
	v_sub_nc_u32_e32 v18, 29, v6
	s_delay_alu instid0(VALU_DEP_2)
	v_and_b32_e32 v6, 7, v22
; %bb.1457:                             ;   in Loop: Header=BB279_941 Depth=1
	s_or_b32 exec_lo, exec_lo, s17
	s_delay_alu instid0(VALU_DEP_1) | instskip(NEXT) | instid1(VALU_DEP_3)
	v_dual_lshlrev_b32 v0, 8, v0 :: v_dual_lshlrev_b32 v6, 7, v6
	v_lshl_add_u32 v18, v18, 10, 0x2000
	s_delay_alu instid0(VALU_DEP_2) | instskip(NEXT) | instid1(VALU_DEP_2)
	v_and_b32_e32 v0, 0x8000, v0
	v_and_b32_e32 v18, 0xfc00, v18
	s_delay_alu instid0(VALU_DEP_1)
	v_or3_b32 v18, v0, v18, v6
.LBB279_1458:                           ;   in Loop: Header=BB279_941 Depth=1
	s_or_b32 exec_lo, exec_lo, s16
.LBB279_1459:                           ;   in Loop: Header=BB279_941 Depth=1
	s_delay_alu instid0(SALU_CYCLE_1)
	s_or_b32 exec_lo, exec_lo, s15
.LBB279_1460:                           ;   in Loop: Header=BB279_941 Depth=1
	s_delay_alu instid0(SALU_CYCLE_1)
	s_or_b32 exec_lo, exec_lo, s14
	v_mov_b32_e32 v0, 0
	s_mov_b32 s14, exec_lo
	v_cmpx_lt_u64_e64 s[2:3], v[38:39]
	s_cbranch_execz .LBB279_1468
; %bb.1461:                             ;   in Loop: Header=BB279_941 Depth=1
	v_lshrrev_b32_e32 v6, 24, v39
	v_bfrev_b32_e32 v0, 1
	s_mov_b32 s15, exec_lo
	s_delay_alu instid0(VALU_DEP_2)
	v_cmpx_ne_u32_e32 0x80, v6
	s_cbranch_execz .LBB279_1467
; %bb.1462:                             ;   in Loop: Header=BB279_941 Depth=1
	v_and_b32_e32 v23, 0x7f, v6
	v_mov_b32_e32 v0, 0x7c010000
	s_mov_b32 s16, exec_lo
	s_delay_alu instid0(VALU_DEP_2)
	v_cmpx_ne_u32_e32 0x7f, v23
	s_cbranch_execz .LBB279_1466
; %bb.1463:                             ;   in Loop: Header=BB279_941 Depth=1
	v_dual_lshrrev_b32 v22, 3, v23 :: v_dual_bitop2_b32 v0, 7, v6 bitop3:0x40
	s_mov_b32 s17, exec_lo
	v_cmpx_gt_u32_e32 8, v23
; %bb.1464:                             ;   in Loop: Header=BB279_941 Depth=1
	s_delay_alu instid0(VALU_DEP_2) | instskip(NEXT) | instid1(VALU_DEP_1)
	v_clz_i32_u32_e32 v0, v0
	v_min_u32_e32 v0, 32, v0
	s_delay_alu instid0(VALU_DEP_1) | instskip(NEXT) | instid1(VALU_DEP_1)
	v_subrev_nc_u32_e32 v22, 28, v0
	v_lshlrev_b64_e32 v[38:39], v22, v[6:7]
	s_delay_alu instid0(VALU_DEP_1)
	v_dual_sub_nc_u32 v22, 29, v0 :: v_dual_bitop2_b32 v0, 7, v38 bitop3:0x40
; %bb.1465:                             ;   in Loop: Header=BB279_941 Depth=1
	s_or_b32 exec_lo, exec_lo, s17
	s_delay_alu instid0(VALU_DEP_1) | instskip(NEXT) | instid1(VALU_DEP_2)
	v_dual_lshlrev_b32 v6, 8, v6 :: v_dual_lshlrev_b32 v0, 23, v0
	v_lshl_add_u32 v22, v22, 10, 0x2000
	s_delay_alu instid0(VALU_DEP_1) | instskip(NEXT) | instid1(VALU_DEP_1)
	v_and_or_b32 v6, 0x8000, v6, v22
	v_lshl_or_b32 v0, v6, 16, v0
.LBB279_1466:                           ;   in Loop: Header=BB279_941 Depth=1
	s_or_b32 exec_lo, exec_lo, s16
.LBB279_1467:                           ;   in Loop: Header=BB279_941 Depth=1
	s_delay_alu instid0(SALU_CYCLE_1)
	s_or_b32 exec_lo, exec_lo, s15
.LBB279_1468:                           ;   in Loop: Header=BB279_941 Depth=1
	s_delay_alu instid0(SALU_CYCLE_1) | instskip(SKIP_2) | instid1(VALU_DEP_2)
	s_or_b32 exec_lo, exec_lo, s14
	v_dual_lshrrev_b32 v6, 16, v1 :: v_dual_bitop2_b32 v1, v1, v8 bitop3:0x54
	v_dual_lshrrev_b32 v22, 16, v9 :: v_dual_bitop2_b32 v16, v9, v16 bitop3:0x54
	v_cvt_f32_f16_e32 v9, v6
	v_dual_lshrrev_b32 v18, 16, v19 :: v_dual_bitop2_b32 v6, v0, v18 bitop3:0x54
	s_delay_alu instid0(VALU_DEP_3)
	v_cvt_f32_f16_e32 v8, v22
	v_dual_lshrrev_b32 v22, 16, v0 :: v_dual_bitop2_b32 v19, v19, v17 bitop3:0x54
	v_cvt_f32_f16_e32 v0, v16
	v_cvt_f32_f16_e32 v1, v1
	s_wait_loadcnt_dscnt 0x0
	v_pk_mul_f32 v[8:9], v[36:37], v[8:9] op_sel_hi:[0,1]
	v_cvt_f32_f16_e32 v17, v18
	v_cvt_f32_f16_e32 v16, v22
	v_cvt_f32_f16_e32 v18, v6
	v_cvt_f32_f16_e32 v19, v19
	v_pk_mul_f32 v[0:1], v[36:37], v[0:1] op_sel_hi:[0,1]
	v_cvt_pk_f16_f32 v6, v8, v9
	v_pk_mul_f32 v[8:9], v[36:37], v[16:17] op_sel_hi:[0,1]
	s_delay_alu instid0(VALU_DEP_4) | instskip(NEXT) | instid1(VALU_DEP_4)
	v_pk_mul_f32 v[16:17], v[36:37], v[18:19] op_sel_hi:[0,1]
	v_cvt_pk_f16_f32 v0, v0, v1
	s_delay_alu instid0(VALU_DEP_4) | instskip(NEXT) | instid1(VALU_DEP_4)
	v_and_b32_e32 v19, 0xffff0000, v6
	v_cvt_pk_f16_f32 v8, v8, v9
	v_lshlrev_b32_e32 v36, 16, v6
	v_cvt_pk_f16_f32 v6, v16, v17
	v_lshrrev_b32_e32 v49, 16, v0
	v_and_b32_e32 v50, 0xffff, v0
	v_and_b32_e32 v1, 0xffff0000, v8
	s_delay_alu instid0(VALU_DEP_4) | instskip(SKIP_3) | instid1(VALU_DEP_4)
	v_dual_lshlrev_b32 v0, 16, v8 :: v_dual_lshrrev_b32 v9, 16, v6
	v_and_b32_e32 v6, 0xffff, v6
	v_or_b32_e32 v39, v19, v49
	v_or_b32_e32 v48, v36, v50
	;; [unrolled: 1-line block ×3, first 2 shown]
	s_delay_alu instid0(VALU_DEP_4)
	v_or_b32_e32 v38, v0, v6
	s_and_saveexec_b32 s14, vcc_lo
	s_cbranch_execz .LBB279_1470
; %bb.1469:                             ;   in Loop: Header=BB279_941 Depth=1
	v_cmp_lt_i32_e64 s0, v67, v13
	s_delay_alu instid0(VALU_DEP_1) | instskip(SKIP_1) | instid1(VALU_DEP_1)
	v_cndmask_b32_e64 v8, 0, v49, s0
	v_cmp_lt_i32_e64 s0, v82, v12
	v_cndmask_b32_e64 v16, 0, v50, s0
	v_cmp_lt_i32_e64 s0, v81, v13
	s_delay_alu instid0(VALU_DEP_1) | instskip(SKIP_1) | instid1(VALU_DEP_1)
	v_cndmask_b32_e64 v17, 0, v19, s0
	v_cmp_lt_i32_e64 s0, v80, v12
	v_cndmask_b32_e64 v18, 0, v36, s0
	v_cmp_lt_i32_e64 s0, v71, v13
	s_delay_alu instid0(VALU_DEP_4) | instskip(NEXT) | instid1(VALU_DEP_2)
	v_or_b32_e32 v39, v8, v17
	v_dual_cndmask_b32 v9, 0, v9, s0 :: v_dual_bitop2_b32 v48, v16, v18 bitop3:0x54
	v_cmp_lt_i32_e64 s0, v70, v12
	s_delay_alu instid0(VALU_DEP_1) | instskip(SKIP_1) | instid1(VALU_DEP_1)
	v_cndmask_b32_e64 v6, 0, v6, s0
	v_cmp_lt_i32_e64 s0, v69, v13
	v_cndmask_b32_e64 v1, 0, v1, s0
	v_cmp_lt_i32_e64 s0, v68, v12
	s_delay_alu instid0(VALU_DEP_1) | instskip(NEXT) | instid1(VALU_DEP_1)
	v_dual_cndmask_b32 v0, 0, v0, s0 :: v_dual_bitop2_b32 v37, v9, v1 bitop3:0x54
	v_or_b32_e32 v38, v6, v0
.LBB279_1470:                           ;   in Loop: Header=BB279_941 Depth=1
	s_or_b32 exec_lo, exec_lo, s14
	;;#ASMSTART
	v_pk_mul_f16 v0, v87, v39;

	;;#ASMEND
	;;#ASMSTART
	v_pk_mul_f16 v1, v85, v48;

	;;#ASMEND
	;; [unrolled: 4-line block ×4, first 2 shown]
	;;#ASMSTART
	v_pk_add_f16 v0, v0, v1;

	;;#ASMEND
	;;#ASMSTART
	v_pk_add_f16 v0, v0, v6;

	;;#ASMEND
	;; [unrolled: 4-line block ×3, first 2 shown]
	v_and_b32_e32 v1, 0xffff, v0
	v_lshrrev_b32_e32 v0, 16, v0
	;;#ASMSTART
	v_cvt_f32_f16 v117, v1;
	;;#ASMEND
	;;#ASMSTART
	v_cvt_f32_f16 v118, v0;
	;;#ASMEND
	flat_load_b64 v[38:39], v[28:29] offset:2048
	scratch_load_b64 v[0:1], off, s32 offset:192 ; 8-byte Folded Reload
	v_mov_b32_e32 v8, 0
	s_mov_b32 s14, exec_lo
	s_wait_loadcnt 0x0
	flat_load_b32 v36, v[0:1]
	s_wait_dscnt 0x1
	s_wait_xcnt 0x0
	v_and_b32_e32 v0, 0xff, v38
	v_mov_b32_e32 v1, 0
	s_delay_alu instid0(VALU_DEP_2)
	v_cmpx_ne_u16_e32 0, v0
	s_cbranch_execz .LBB279_1478
; %bb.1471:                             ;   in Loop: Header=BB279_941 Depth=1
	v_mov_b32_e32 v8, 0x8000
	s_mov_b32 s15, exec_lo
	v_cmpx_ne_u16_e32 0x80, v0
	s_cbranch_execz .LBB279_1477
; %bb.1472:                             ;   in Loop: Header=BB279_941 Depth=1
	v_and_b32_e32 v9, 0x7f, v38
	v_mov_b32_e32 v8, 0x7c01
	s_mov_b32 s16, exec_lo
	s_delay_alu instid0(VALU_DEP_2)
	v_cmpx_ne_u32_e32 0x7f, v9
	s_cbranch_execz .LBB279_1476
; %bb.1473:                             ;   in Loop: Header=BB279_941 Depth=1
	v_dual_lshrrev_b32 v6, 3, v9 :: v_dual_bitop2_b32 v0, 7, v38 bitop3:0x40
	s_mov_b32 s17, exec_lo
	v_cmpx_gt_u32_e32 8, v9
; %bb.1474:                             ;   in Loop: Header=BB279_941 Depth=1
	s_delay_alu instid0(VALU_DEP_2) | instskip(NEXT) | instid1(VALU_DEP_1)
	v_clz_i32_u32_e32 v0, v0
	v_min_u32_e32 v0, 32, v0
	s_delay_alu instid0(VALU_DEP_1) | instskip(NEXT) | instid1(VALU_DEP_1)
	v_subrev_nc_u32_e32 v6, 28, v0
	v_lshlrev_b64_e32 v[8:9], v6, v[38:39]
	v_sub_nc_u32_e32 v6, 29, v0
	s_delay_alu instid0(VALU_DEP_2)
	v_and_b32_e32 v0, 7, v8
; %bb.1475:                             ;   in Loop: Header=BB279_941 Depth=1
	s_or_b32 exec_lo, exec_lo, s17
	s_delay_alu instid0(VALU_DEP_1) | instskip(NEXT) | instid1(VALU_DEP_3)
	v_dual_lshlrev_b32 v8, 8, v38 :: v_dual_lshlrev_b32 v0, 7, v0
	v_lshl_add_u32 v6, v6, 10, 0x2000
	s_delay_alu instid0(VALU_DEP_2) | instskip(NEXT) | instid1(VALU_DEP_2)
	v_and_b32_e32 v8, 0x8000, v8
	v_and_b32_e32 v6, 0xfc00, v6
	s_delay_alu instid0(VALU_DEP_1)
	v_or3_b32 v8, v8, v6, v0
.LBB279_1476:                           ;   in Loop: Header=BB279_941 Depth=1
	s_or_b32 exec_lo, exec_lo, s16
.LBB279_1477:                           ;   in Loop: Header=BB279_941 Depth=1
	s_delay_alu instid0(SALU_CYCLE_1)
	s_or_b32 exec_lo, exec_lo, s15
.LBB279_1478:                           ;   in Loop: Header=BB279_941 Depth=1
	s_delay_alu instid0(SALU_CYCLE_1) | instskip(SKIP_2) | instid1(VALU_DEP_1)
	s_or_b32 exec_lo, exec_lo, s14
	v_lshrrev_b16 v6, 8, v38
	s_mov_b32 s14, exec_lo
	v_cmpx_ne_u16_e32 0, v6
	s_cbranch_execz .LBB279_1486
; %bb.1479:                             ;   in Loop: Header=BB279_941 Depth=1
	v_bfrev_b32_e32 v1, 1
	s_mov_b32 s15, exec_lo
	v_cmpx_ne_u16_e32 0x80, v6
	s_cbranch_execz .LBB279_1485
; %bb.1480:                             ;   in Loop: Header=BB279_941 Depth=1
	v_and_b32_e32 v0, 0xffff, v6
	v_mov_b32_e32 v1, 0x7c010000
	s_mov_b32 s16, exec_lo
	s_delay_alu instid0(VALU_DEP_2) | instskip(NEXT) | instid1(VALU_DEP_1)
	v_and_b32_e32 v16, 0x7f, v0
	v_cmpx_ne_u32_e32 0x7f, v16
	s_cbranch_execz .LBB279_1484
; %bb.1481:                             ;   in Loop: Header=BB279_941 Depth=1
	v_and_b32_e32 v1, 7, v0
	v_lshrrev_b32_e32 v9, 3, v16
	s_mov_b32 s17, exec_lo
	v_cmpx_gt_u32_e32 8, v16
; %bb.1482:                             ;   in Loop: Header=BB279_941 Depth=1
	s_delay_alu instid0(VALU_DEP_3) | instskip(NEXT) | instid1(VALU_DEP_1)
	v_clz_i32_u32_e32 v1, v1
	v_min_u32_e32 v1, 32, v1
	s_delay_alu instid0(VALU_DEP_1) | instskip(NEXT) | instid1(VALU_DEP_1)
	v_subrev_nc_u32_e32 v9, 28, v1
	v_lshlrev_b64_e32 v[16:17], v9, v[6:7]
	s_delay_alu instid0(VALU_DEP_1)
	v_dual_sub_nc_u32 v9, 29, v1 :: v_dual_bitop2_b32 v1, 7, v16 bitop3:0x40
; %bb.1483:                             ;   in Loop: Header=BB279_941 Depth=1
	s_or_b32 exec_lo, exec_lo, s17
	s_delay_alu instid0(VALU_DEP_1) | instskip(NEXT) | instid1(VALU_DEP_2)
	v_dual_lshlrev_b32 v0, 8, v0 :: v_dual_lshlrev_b32 v1, 23, v1
	v_lshl_add_u32 v6, v9, 10, 0x2000
	s_delay_alu instid0(VALU_DEP_1) | instskip(NEXT) | instid1(VALU_DEP_1)
	v_and_or_b32 v0, 0x8000, v0, v6
	v_lshl_or_b32 v1, v0, 16, v1
.LBB279_1484:                           ;   in Loop: Header=BB279_941 Depth=1
	s_or_b32 exec_lo, exec_lo, s16
.LBB279_1485:                           ;   in Loop: Header=BB279_941 Depth=1
	s_delay_alu instid0(SALU_CYCLE_1)
	s_or_b32 exec_lo, exec_lo, s15
.LBB279_1486:                           ;   in Loop: Header=BB279_941 Depth=1
	s_delay_alu instid0(SALU_CYCLE_1) | instskip(SKIP_3) | instid1(VALU_DEP_2)
	s_or_b32 exec_lo, exec_lo, s14
	v_dual_mov_b32 v9, 0 :: v_dual_lshrrev_b32 v0, 16, v38
	v_mov_b32_e32 v16, 0
	s_mov_b32 s14, exec_lo
	v_and_b32_e32 v6, 0xff, v0
	s_delay_alu instid0(VALU_DEP_1)
	v_cmpx_ne_u16_e32 0, v6
	s_cbranch_execz .LBB279_1494
; %bb.1487:                             ;   in Loop: Header=BB279_941 Depth=1
	v_mov_b32_e32 v16, 0x8000
	s_mov_b32 s15, exec_lo
	v_cmpx_ne_u16_e32 0x80, v6
	s_cbranch_execz .LBB279_1493
; %bb.1488:                             ;   in Loop: Header=BB279_941 Depth=1
	v_bfe_u32 v17, v38, 16, 7
	v_mov_b32_e32 v16, 0x7c01
	s_mov_b32 s16, exec_lo
	s_delay_alu instid0(VALU_DEP_2)
	v_cmpx_ne_u32_e32 0x7f, v17
	s_cbranch_execz .LBB279_1492
; %bb.1489:                             ;   in Loop: Header=BB279_941 Depth=1
	v_dual_lshrrev_b32 v16, 3, v17 :: v_dual_bitop2_b32 v6, 7, v0 bitop3:0x40
	s_mov_b32 s17, exec_lo
	v_cmpx_gt_u32_e32 8, v17
; %bb.1490:                             ;   in Loop: Header=BB279_941 Depth=1
	s_delay_alu instid0(VALU_DEP_2) | instskip(NEXT) | instid1(VALU_DEP_1)
	v_clz_i32_u32_e32 v6, v6
	v_min_u32_e32 v6, 32, v6
	s_delay_alu instid0(VALU_DEP_1) | instskip(NEXT) | instid1(VALU_DEP_1)
	v_subrev_nc_u32_e32 v16, 28, v6
	v_lshlrev_b64_e32 v[18:19], v16, v[0:1]
	v_sub_nc_u32_e32 v16, 29, v6
	s_delay_alu instid0(VALU_DEP_2)
	v_and_b32_e32 v6, 7, v18
; %bb.1491:                             ;   in Loop: Header=BB279_941 Depth=1
	s_or_b32 exec_lo, exec_lo, s17
	s_delay_alu instid0(VALU_DEP_1) | instskip(NEXT) | instid1(VALU_DEP_3)
	v_dual_lshlrev_b32 v0, 8, v0 :: v_dual_lshlrev_b32 v6, 7, v6
	v_lshl_add_u32 v16, v16, 10, 0x2000
	s_delay_alu instid0(VALU_DEP_2) | instskip(NEXT) | instid1(VALU_DEP_2)
	v_and_b32_e32 v0, 0x8000, v0
	v_and_b32_e32 v16, 0xfc00, v16
	s_delay_alu instid0(VALU_DEP_1)
	v_or3_b32 v16, v0, v16, v6
.LBB279_1492:                           ;   in Loop: Header=BB279_941 Depth=1
	s_or_b32 exec_lo, exec_lo, s16
.LBB279_1493:                           ;   in Loop: Header=BB279_941 Depth=1
	s_delay_alu instid0(SALU_CYCLE_1)
	s_or_b32 exec_lo, exec_lo, s15
.LBB279_1494:                           ;   in Loop: Header=BB279_941 Depth=1
	s_delay_alu instid0(SALU_CYCLE_1) | instskip(NEXT) | instid1(SALU_CYCLE_1)
	s_or_b32 exec_lo, exec_lo, s14
	s_mov_b32 s14, exec_lo
	v_cmpx_lt_u32_e32 0xffffff, v38
	s_cbranch_execz .LBB279_1502
; %bb.1495:                             ;   in Loop: Header=BB279_941 Depth=1
	v_lshrrev_b32_e32 v6, 24, v38
	v_bfrev_b32_e32 v9, 1
	s_mov_b32 s15, exec_lo
	s_delay_alu instid0(VALU_DEP_2)
	v_cmpx_ne_u32_e32 0x80, v6
	s_cbranch_execz .LBB279_1501
; %bb.1496:                             ;   in Loop: Header=BB279_941 Depth=1
	v_and_b32_e32 v17, 0x7f, v6
	v_mov_b32_e32 v9, 0x7c010000
	s_mov_b32 s16, exec_lo
	s_delay_alu instid0(VALU_DEP_2)
	v_cmpx_ne_u32_e32 0x7f, v17
	s_cbranch_execz .LBB279_1500
; %bb.1497:                             ;   in Loop: Header=BB279_941 Depth=1
	v_dual_lshrrev_b32 v9, 3, v17 :: v_dual_bitop2_b32 v0, 7, v6 bitop3:0x40
	s_mov_b32 s17, exec_lo
	v_cmpx_gt_u32_e32 8, v17
; %bb.1498:                             ;   in Loop: Header=BB279_941 Depth=1
	s_delay_alu instid0(VALU_DEP_2) | instskip(NEXT) | instid1(VALU_DEP_1)
	v_clz_i32_u32_e32 v0, v0
	v_min_u32_e32 v0, 32, v0
	s_delay_alu instid0(VALU_DEP_1) | instskip(NEXT) | instid1(VALU_DEP_1)
	v_subrev_nc_u32_e32 v9, 28, v0
	v_lshlrev_b64_e32 v[18:19], v9, v[6:7]
	s_delay_alu instid0(VALU_DEP_1)
	v_dual_sub_nc_u32 v9, 29, v0 :: v_dual_bitop2_b32 v0, 7, v18 bitop3:0x40
; %bb.1499:                             ;   in Loop: Header=BB279_941 Depth=1
	s_or_b32 exec_lo, exec_lo, s17
	s_delay_alu instid0(VALU_DEP_1) | instskip(NEXT) | instid1(VALU_DEP_2)
	v_dual_lshlrev_b32 v6, 8, v6 :: v_dual_lshlrev_b32 v0, 23, v0
	v_lshl_add_u32 v9, v9, 10, 0x2000
	s_delay_alu instid0(VALU_DEP_1) | instskip(NEXT) | instid1(VALU_DEP_1)
	v_and_or_b32 v6, 0x8000, v6, v9
	v_lshl_or_b32 v9, v6, 16, v0
.LBB279_1500:                           ;   in Loop: Header=BB279_941 Depth=1
	s_or_b32 exec_lo, exec_lo, s16
.LBB279_1501:                           ;   in Loop: Header=BB279_941 Depth=1
	s_delay_alu instid0(SALU_CYCLE_1)
	s_or_b32 exec_lo, exec_lo, s15
.LBB279_1502:                           ;   in Loop: Header=BB279_941 Depth=1
	s_delay_alu instid0(SALU_CYCLE_1) | instskip(SKIP_4) | instid1(VALU_DEP_3)
	s_or_b32 exec_lo, exec_lo, s14
	v_and_b32_e32 v0, 0xff, v39
	v_dual_mov_b32 v6, v39 :: v_dual_mov_b32 v18, 0
	v_mov_b32_e32 v17, 0
	s_mov_b32 s14, exec_lo
	v_cmpx_ne_u16_e32 0, v0
	s_cbranch_execz .LBB279_1510
; %bb.1503:                             ;   in Loop: Header=BB279_941 Depth=1
	v_mov_b32_e32 v17, 0x8000
	s_mov_b32 s15, exec_lo
	v_cmpx_ne_u16_e32 0x80, v0
	s_cbranch_execz .LBB279_1509
; %bb.1504:                             ;   in Loop: Header=BB279_941 Depth=1
	v_and_b32_e32 v19, 0x7f, v39
	v_mov_b32_e32 v17, 0x7c01
	s_mov_b32 s16, exec_lo
	s_delay_alu instid0(VALU_DEP_2)
	v_cmpx_ne_u32_e32 0x7f, v19
	s_cbranch_execz .LBB279_1508
; %bb.1505:                             ;   in Loop: Header=BB279_941 Depth=1
	v_and_b32_e32 v0, 7, v39
	v_lshrrev_b32_e32 v17, 3, v19
	s_mov_b32 s17, exec_lo
	v_cmpx_gt_u32_e32 8, v19
; %bb.1506:                             ;   in Loop: Header=BB279_941 Depth=1
	s_delay_alu instid0(VALU_DEP_3) | instskip(NEXT) | instid1(VALU_DEP_1)
	v_clz_i32_u32_e32 v0, v0
	v_min_u32_e32 v0, 32, v0
	s_delay_alu instid0(VALU_DEP_1) | instskip(NEXT) | instid1(VALU_DEP_1)
	v_subrev_nc_u32_e32 v17, 28, v0
	v_lshlrev_b64_e32 v[22:23], v17, v[6:7]
	s_delay_alu instid0(VALU_DEP_1)
	v_dual_sub_nc_u32 v17, 29, v0 :: v_dual_bitop2_b32 v0, 7, v22 bitop3:0x40
; %bb.1507:                             ;   in Loop: Header=BB279_941 Depth=1
	s_or_b32 exec_lo, exec_lo, s17
	s_delay_alu instid0(VALU_DEP_1) | instskip(NEXT) | instid1(VALU_DEP_2)
	v_dual_lshlrev_b32 v19, 8, v39 :: v_dual_lshlrev_b32 v0, 7, v0
	v_lshl_add_u32 v17, v17, 10, 0x2000
	s_delay_alu instid0(VALU_DEP_2) | instskip(NEXT) | instid1(VALU_DEP_2)
	v_and_b32_e32 v19, 0x8000, v19
	v_and_b32_e32 v17, 0xfc00, v17
	s_delay_alu instid0(VALU_DEP_1)
	v_or3_b32 v17, v19, v17, v0
.LBB279_1508:                           ;   in Loop: Header=BB279_941 Depth=1
	s_or_b32 exec_lo, exec_lo, s16
.LBB279_1509:                           ;   in Loop: Header=BB279_941 Depth=1
	s_delay_alu instid0(SALU_CYCLE_1)
	s_or_b32 exec_lo, exec_lo, s15
.LBB279_1510:                           ;   in Loop: Header=BB279_941 Depth=1
	s_delay_alu instid0(SALU_CYCLE_1) | instskip(SKIP_3) | instid1(VALU_DEP_2)
	s_or_b32 exec_lo, exec_lo, s14
	v_lshrrev_b16 v6, 8, v6
	v_mov_b32_e32 v19, 0
	s_mov_b32 s14, exec_lo
	v_cmpx_ne_u16_e32 0, v6
	s_cbranch_execz .LBB279_1518
; %bb.1511:                             ;   in Loop: Header=BB279_941 Depth=1
	v_bfrev_b32_e32 v19, 1
	s_mov_b32 s15, exec_lo
	v_cmpx_ne_u16_e32 0x80, v6
	s_cbranch_execz .LBB279_1517
; %bb.1512:                             ;   in Loop: Header=BB279_941 Depth=1
	v_and_b32_e32 v0, 0xffff, v6
	v_mov_b32_e32 v19, 0x7c010000
	s_mov_b32 s16, exec_lo
	s_delay_alu instid0(VALU_DEP_2) | instskip(NEXT) | instid1(VALU_DEP_1)
	v_and_b32_e32 v23, 0x7f, v0
	v_cmpx_ne_u32_e32 0x7f, v23
	s_cbranch_execz .LBB279_1516
; %bb.1513:                             ;   in Loop: Header=BB279_941 Depth=1
	v_dual_lshrrev_b32 v22, 3, v23 :: v_dual_bitop2_b32 v19, 7, v0 bitop3:0x40
	s_mov_b32 s17, exec_lo
	v_cmpx_gt_u32_e32 8, v23
; %bb.1514:                             ;   in Loop: Header=BB279_941 Depth=1
	s_delay_alu instid0(VALU_DEP_2) | instskip(NEXT) | instid1(VALU_DEP_1)
	v_clz_i32_u32_e32 v19, v19
	v_min_u32_e32 v19, 32, v19
	s_delay_alu instid0(VALU_DEP_1) | instskip(NEXT) | instid1(VALU_DEP_1)
	v_subrev_nc_u32_e32 v22, 28, v19
	v_lshlrev_b64_e32 v[48:49], v22, v[6:7]
	s_delay_alu instid0(VALU_DEP_1)
	v_dual_sub_nc_u32 v22, 29, v19 :: v_dual_bitop2_b32 v19, 7, v48 bitop3:0x40
; %bb.1515:                             ;   in Loop: Header=BB279_941 Depth=1
	s_or_b32 exec_lo, exec_lo, s17
	v_lshlrev_b32_e32 v0, 8, v0
	s_delay_alu instid0(VALU_DEP_2) | instskip(NEXT) | instid1(VALU_DEP_1)
	v_lshl_add_u32 v6, v22, 10, 0x2000
	v_and_or_b32 v0, 0x8000, v0, v6
	v_lshlrev_b32_e32 v6, 23, v19
	s_delay_alu instid0(VALU_DEP_1)
	v_lshl_or_b32 v19, v0, 16, v6
.LBB279_1516:                           ;   in Loop: Header=BB279_941 Depth=1
	s_or_b32 exec_lo, exec_lo, s16
.LBB279_1517:                           ;   in Loop: Header=BB279_941 Depth=1
	s_delay_alu instid0(SALU_CYCLE_1)
	s_or_b32 exec_lo, exec_lo, s15
.LBB279_1518:                           ;   in Loop: Header=BB279_941 Depth=1
	s_delay_alu instid0(SALU_CYCLE_1) | instskip(SKIP_2) | instid1(VALU_DEP_1)
	s_or_b32 exec_lo, exec_lo, s14
	v_lshrrev_b32_e32 v0, 16, v39
	s_mov_b32 s14, exec_lo
	v_and_b32_e32 v6, 0xff, v0
	s_delay_alu instid0(VALU_DEP_1)
	v_cmpx_ne_u16_e32 0, v6
	s_cbranch_execz .LBB279_1526
; %bb.1519:                             ;   in Loop: Header=BB279_941 Depth=1
	v_mov_b32_e32 v18, 0x8000
	s_mov_b32 s15, exec_lo
	v_cmpx_ne_u16_e32 0x80, v6
	s_cbranch_execz .LBB279_1525
; %bb.1520:                             ;   in Loop: Header=BB279_941 Depth=1
	v_bfe_u32 v22, v39, 16, 7
	v_mov_b32_e32 v18, 0x7c01
	s_mov_b32 s16, exec_lo
	s_delay_alu instid0(VALU_DEP_2)
	v_cmpx_ne_u32_e32 0x7f, v22
	s_cbranch_execz .LBB279_1524
; %bb.1521:                             ;   in Loop: Header=BB279_941 Depth=1
	v_dual_lshrrev_b32 v18, 3, v22 :: v_dual_bitop2_b32 v6, 7, v0 bitop3:0x40
	s_mov_b32 s17, exec_lo
	v_cmpx_gt_u32_e32 8, v22
; %bb.1522:                             ;   in Loop: Header=BB279_941 Depth=1
	s_delay_alu instid0(VALU_DEP_2) | instskip(NEXT) | instid1(VALU_DEP_1)
	v_clz_i32_u32_e32 v6, v6
	v_min_u32_e32 v6, 32, v6
	s_delay_alu instid0(VALU_DEP_1) | instskip(NEXT) | instid1(VALU_DEP_1)
	v_subrev_nc_u32_e32 v18, 28, v6
	v_lshlrev_b64_e32 v[22:23], v18, v[0:1]
	v_sub_nc_u32_e32 v18, 29, v6
	s_delay_alu instid0(VALU_DEP_2)
	v_and_b32_e32 v6, 7, v22
; %bb.1523:                             ;   in Loop: Header=BB279_941 Depth=1
	s_or_b32 exec_lo, exec_lo, s17
	s_delay_alu instid0(VALU_DEP_1) | instskip(NEXT) | instid1(VALU_DEP_3)
	v_dual_lshlrev_b32 v0, 8, v0 :: v_dual_lshlrev_b32 v6, 7, v6
	v_lshl_add_u32 v18, v18, 10, 0x2000
	s_delay_alu instid0(VALU_DEP_2) | instskip(NEXT) | instid1(VALU_DEP_2)
	v_and_b32_e32 v0, 0x8000, v0
	v_and_b32_e32 v18, 0xfc00, v18
	s_delay_alu instid0(VALU_DEP_1)
	v_or3_b32 v18, v0, v18, v6
.LBB279_1524:                           ;   in Loop: Header=BB279_941 Depth=1
	s_or_b32 exec_lo, exec_lo, s16
.LBB279_1525:                           ;   in Loop: Header=BB279_941 Depth=1
	s_delay_alu instid0(SALU_CYCLE_1)
	s_or_b32 exec_lo, exec_lo, s15
.LBB279_1526:                           ;   in Loop: Header=BB279_941 Depth=1
	s_delay_alu instid0(SALU_CYCLE_1)
	s_or_b32 exec_lo, exec_lo, s14
	v_mov_b32_e32 v0, 0
	s_mov_b32 s14, exec_lo
	v_cmpx_lt_u64_e64 s[2:3], v[38:39]
	s_cbranch_execz .LBB279_1534
; %bb.1527:                             ;   in Loop: Header=BB279_941 Depth=1
	v_lshrrev_b32_e32 v6, 24, v39
	v_bfrev_b32_e32 v0, 1
	s_mov_b32 s15, exec_lo
	s_delay_alu instid0(VALU_DEP_2)
	v_cmpx_ne_u32_e32 0x80, v6
	s_cbranch_execz .LBB279_1533
; %bb.1528:                             ;   in Loop: Header=BB279_941 Depth=1
	v_and_b32_e32 v23, 0x7f, v6
	v_mov_b32_e32 v0, 0x7c010000
	s_mov_b32 s16, exec_lo
	s_delay_alu instid0(VALU_DEP_2)
	v_cmpx_ne_u32_e32 0x7f, v23
	s_cbranch_execz .LBB279_1532
; %bb.1529:                             ;   in Loop: Header=BB279_941 Depth=1
	v_dual_lshrrev_b32 v22, 3, v23 :: v_dual_bitop2_b32 v0, 7, v6 bitop3:0x40
	s_mov_b32 s17, exec_lo
	v_cmpx_gt_u32_e32 8, v23
; %bb.1530:                             ;   in Loop: Header=BB279_941 Depth=1
	s_delay_alu instid0(VALU_DEP_2) | instskip(NEXT) | instid1(VALU_DEP_1)
	v_clz_i32_u32_e32 v0, v0
	v_min_u32_e32 v0, 32, v0
	s_delay_alu instid0(VALU_DEP_1) | instskip(NEXT) | instid1(VALU_DEP_1)
	v_subrev_nc_u32_e32 v22, 28, v0
	v_lshlrev_b64_e32 v[38:39], v22, v[6:7]
	s_delay_alu instid0(VALU_DEP_1)
	v_dual_sub_nc_u32 v22, 29, v0 :: v_dual_bitop2_b32 v0, 7, v38 bitop3:0x40
; %bb.1531:                             ;   in Loop: Header=BB279_941 Depth=1
	s_or_b32 exec_lo, exec_lo, s17
	s_delay_alu instid0(VALU_DEP_1) | instskip(NEXT) | instid1(VALU_DEP_2)
	v_dual_lshlrev_b32 v6, 8, v6 :: v_dual_lshlrev_b32 v0, 23, v0
	v_lshl_add_u32 v22, v22, 10, 0x2000
	s_delay_alu instid0(VALU_DEP_1) | instskip(NEXT) | instid1(VALU_DEP_1)
	v_and_or_b32 v6, 0x8000, v6, v22
	v_lshl_or_b32 v0, v6, 16, v0
.LBB279_1532:                           ;   in Loop: Header=BB279_941 Depth=1
	s_or_b32 exec_lo, exec_lo, s16
.LBB279_1533:                           ;   in Loop: Header=BB279_941 Depth=1
	s_delay_alu instid0(SALU_CYCLE_1)
	s_or_b32 exec_lo, exec_lo, s15
.LBB279_1534:                           ;   in Loop: Header=BB279_941 Depth=1
	s_delay_alu instid0(SALU_CYCLE_1) | instskip(SKIP_2) | instid1(VALU_DEP_2)
	s_or_b32 exec_lo, exec_lo, s14
	v_dual_lshrrev_b32 v6, 16, v1 :: v_dual_bitop2_b32 v1, v1, v8 bitop3:0x54
	v_dual_lshrrev_b32 v22, 16, v9 :: v_dual_bitop2_b32 v16, v9, v16 bitop3:0x54
	v_cvt_f32_f16_e32 v9, v6
	v_dual_lshrrev_b32 v18, 16, v19 :: v_dual_bitop2_b32 v6, v0, v18 bitop3:0x54
	s_delay_alu instid0(VALU_DEP_3)
	v_cvt_f32_f16_e32 v8, v22
	v_dual_lshrrev_b32 v22, 16, v0 :: v_dual_bitop2_b32 v19, v19, v17 bitop3:0x54
	v_cvt_f32_f16_e32 v0, v16
	v_cvt_f32_f16_e32 v1, v1
	s_wait_loadcnt_dscnt 0x0
	v_pk_mul_f32 v[8:9], v[36:37], v[8:9] op_sel_hi:[0,1]
	v_cvt_f32_f16_e32 v17, v18
	v_cvt_f32_f16_e32 v16, v22
	v_cvt_f32_f16_e32 v18, v6
	v_cvt_f32_f16_e32 v19, v19
	v_pk_mul_f32 v[0:1], v[36:37], v[0:1] op_sel_hi:[0,1]
	v_cvt_pk_f16_f32 v6, v8, v9
	v_pk_mul_f32 v[8:9], v[36:37], v[16:17] op_sel_hi:[0,1]
	s_delay_alu instid0(VALU_DEP_4) | instskip(NEXT) | instid1(VALU_DEP_4)
	v_pk_mul_f32 v[16:17], v[36:37], v[18:19] op_sel_hi:[0,1]
	v_cvt_pk_f16_f32 v0, v0, v1
	s_delay_alu instid0(VALU_DEP_4) | instskip(NEXT) | instid1(VALU_DEP_4)
	v_and_b32_e32 v19, 0xffff0000, v6
	v_cvt_pk_f16_f32 v8, v8, v9
	v_lshlrev_b32_e32 v36, 16, v6
	v_cvt_pk_f16_f32 v6, v16, v17
	v_lshrrev_b32_e32 v49, 16, v0
	v_and_b32_e32 v50, 0xffff, v0
	v_and_b32_e32 v1, 0xffff0000, v8
	s_delay_alu instid0(VALU_DEP_4) | instskip(SKIP_3) | instid1(VALU_DEP_4)
	v_dual_lshlrev_b32 v0, 16, v8 :: v_dual_lshrrev_b32 v9, 16, v6
	v_and_b32_e32 v6, 0xffff, v6
	v_or_b32_e32 v39, v19, v49
	v_or_b32_e32 v48, v36, v50
	;; [unrolled: 1-line block ×3, first 2 shown]
	s_delay_alu instid0(VALU_DEP_4)
	v_or_b32_e32 v38, v0, v6
	s_and_saveexec_b32 s14, vcc_lo
	s_cbranch_execz .LBB279_1536
; %bb.1535:                             ;   in Loop: Header=BB279_941 Depth=1
	v_cmp_lt_i32_e64 s0, v67, v13
	s_delay_alu instid0(VALU_DEP_1) | instskip(SKIP_1) | instid1(VALU_DEP_1)
	v_cndmask_b32_e64 v8, 0, v49, s0
	v_cmp_lt_i32_e64 s0, v82, v12
	v_cndmask_b32_e64 v16, 0, v50, s0
	v_cmp_lt_i32_e64 s0, v81, v13
	s_delay_alu instid0(VALU_DEP_1) | instskip(SKIP_1) | instid1(VALU_DEP_1)
	v_cndmask_b32_e64 v17, 0, v19, s0
	v_cmp_lt_i32_e64 s0, v80, v12
	v_cndmask_b32_e64 v18, 0, v36, s0
	v_cmp_lt_i32_e64 s0, v71, v13
	s_delay_alu instid0(VALU_DEP_4) | instskip(NEXT) | instid1(VALU_DEP_2)
	v_or_b32_e32 v39, v8, v17
	v_dual_cndmask_b32 v9, 0, v9, s0 :: v_dual_bitop2_b32 v48, v16, v18 bitop3:0x54
	v_cmp_lt_i32_e64 s0, v70, v12
	s_delay_alu instid0(VALU_DEP_1) | instskip(SKIP_1) | instid1(VALU_DEP_1)
	v_cndmask_b32_e64 v6, 0, v6, s0
	v_cmp_lt_i32_e64 s0, v69, v13
	v_cndmask_b32_e64 v1, 0, v1, s0
	v_cmp_lt_i32_e64 s0, v68, v12
	s_delay_alu instid0(VALU_DEP_1) | instskip(NEXT) | instid1(VALU_DEP_1)
	v_dual_cndmask_b32 v0, 0, v0, s0 :: v_dual_bitop2_b32 v37, v9, v1 bitop3:0x54
	v_or_b32_e32 v38, v6, v0
.LBB279_1536:                           ;   in Loop: Header=BB279_941 Depth=1
	s_or_b32 exec_lo, exec_lo, s14
	;;#ASMSTART
	v_pk_mul_f16 v0, v87, v39;

	;;#ASMEND
	;;#ASMSTART
	v_pk_mul_f16 v1, v85, v48;

	;;#ASMEND
	;; [unrolled: 4-line block ×4, first 2 shown]
	;;#ASMSTART
	v_pk_add_f16 v0, v0, v1;

	;;#ASMEND
	;;#ASMSTART
	v_pk_add_f16 v0, v0, v6;

	;;#ASMEND
	;; [unrolled: 4-line block ×3, first 2 shown]
	v_and_b32_e32 v1, 0xffff, v0
	v_lshrrev_b32_e32 v0, 16, v0
	;;#ASMSTART
	v_cvt_f32_f16 v119, v1;
	;;#ASMEND
	;;#ASMSTART
	v_cvt_f32_f16 v40, v0;
	;;#ASMEND
	flat_load_b64 v[38:39], v[28:29] offset:2304
	scratch_load_b64 v[0:1], off, s32 offset:192 ; 8-byte Folded Reload
	v_mov_b32_e32 v8, 0
	s_mov_b32 s14, exec_lo
	s_wait_loadcnt 0x0
	flat_load_b32 v36, v[0:1]
	s_wait_dscnt 0x1
	s_wait_xcnt 0x0
	v_and_b32_e32 v0, 0xff, v38
	v_mov_b32_e32 v1, 0
	s_delay_alu instid0(VALU_DEP_2)
	v_cmpx_ne_u16_e32 0, v0
	s_cbranch_execz .LBB279_1544
; %bb.1537:                             ;   in Loop: Header=BB279_941 Depth=1
	v_mov_b32_e32 v8, 0x8000
	s_mov_b32 s15, exec_lo
	v_cmpx_ne_u16_e32 0x80, v0
	s_cbranch_execz .LBB279_1543
; %bb.1538:                             ;   in Loop: Header=BB279_941 Depth=1
	v_and_b32_e32 v9, 0x7f, v38
	v_mov_b32_e32 v8, 0x7c01
	s_mov_b32 s16, exec_lo
	s_delay_alu instid0(VALU_DEP_2)
	v_cmpx_ne_u32_e32 0x7f, v9
	s_cbranch_execz .LBB279_1542
; %bb.1539:                             ;   in Loop: Header=BB279_941 Depth=1
	v_dual_lshrrev_b32 v6, 3, v9 :: v_dual_bitop2_b32 v0, 7, v38 bitop3:0x40
	s_mov_b32 s17, exec_lo
	v_cmpx_gt_u32_e32 8, v9
; %bb.1540:                             ;   in Loop: Header=BB279_941 Depth=1
	s_delay_alu instid0(VALU_DEP_2) | instskip(NEXT) | instid1(VALU_DEP_1)
	v_clz_i32_u32_e32 v0, v0
	v_min_u32_e32 v0, 32, v0
	s_delay_alu instid0(VALU_DEP_1) | instskip(NEXT) | instid1(VALU_DEP_1)
	v_subrev_nc_u32_e32 v6, 28, v0
	v_lshlrev_b64_e32 v[8:9], v6, v[38:39]
	v_sub_nc_u32_e32 v6, 29, v0
	s_delay_alu instid0(VALU_DEP_2)
	v_and_b32_e32 v0, 7, v8
; %bb.1541:                             ;   in Loop: Header=BB279_941 Depth=1
	s_or_b32 exec_lo, exec_lo, s17
	s_delay_alu instid0(VALU_DEP_1) | instskip(NEXT) | instid1(VALU_DEP_3)
	v_dual_lshlrev_b32 v8, 8, v38 :: v_dual_lshlrev_b32 v0, 7, v0
	v_lshl_add_u32 v6, v6, 10, 0x2000
	s_delay_alu instid0(VALU_DEP_2) | instskip(NEXT) | instid1(VALU_DEP_2)
	v_and_b32_e32 v8, 0x8000, v8
	v_and_b32_e32 v6, 0xfc00, v6
	s_delay_alu instid0(VALU_DEP_1)
	v_or3_b32 v8, v8, v6, v0
.LBB279_1542:                           ;   in Loop: Header=BB279_941 Depth=1
	s_or_b32 exec_lo, exec_lo, s16
.LBB279_1543:                           ;   in Loop: Header=BB279_941 Depth=1
	s_delay_alu instid0(SALU_CYCLE_1)
	s_or_b32 exec_lo, exec_lo, s15
.LBB279_1544:                           ;   in Loop: Header=BB279_941 Depth=1
	s_delay_alu instid0(SALU_CYCLE_1) | instskip(SKIP_2) | instid1(VALU_DEP_1)
	s_or_b32 exec_lo, exec_lo, s14
	v_lshrrev_b16 v6, 8, v38
	s_mov_b32 s14, exec_lo
	v_cmpx_ne_u16_e32 0, v6
	s_cbranch_execz .LBB279_1552
; %bb.1545:                             ;   in Loop: Header=BB279_941 Depth=1
	v_bfrev_b32_e32 v1, 1
	s_mov_b32 s15, exec_lo
	v_cmpx_ne_u16_e32 0x80, v6
	s_cbranch_execz .LBB279_1551
; %bb.1546:                             ;   in Loop: Header=BB279_941 Depth=1
	v_and_b32_e32 v0, 0xffff, v6
	v_mov_b32_e32 v1, 0x7c010000
	s_mov_b32 s16, exec_lo
	s_delay_alu instid0(VALU_DEP_2) | instskip(NEXT) | instid1(VALU_DEP_1)
	v_and_b32_e32 v16, 0x7f, v0
	v_cmpx_ne_u32_e32 0x7f, v16
	s_cbranch_execz .LBB279_1550
; %bb.1547:                             ;   in Loop: Header=BB279_941 Depth=1
	v_and_b32_e32 v1, 7, v0
	v_lshrrev_b32_e32 v9, 3, v16
	s_mov_b32 s17, exec_lo
	v_cmpx_gt_u32_e32 8, v16
; %bb.1548:                             ;   in Loop: Header=BB279_941 Depth=1
	s_delay_alu instid0(VALU_DEP_3) | instskip(NEXT) | instid1(VALU_DEP_1)
	v_clz_i32_u32_e32 v1, v1
	v_min_u32_e32 v1, 32, v1
	s_delay_alu instid0(VALU_DEP_1) | instskip(NEXT) | instid1(VALU_DEP_1)
	v_subrev_nc_u32_e32 v9, 28, v1
	v_lshlrev_b64_e32 v[16:17], v9, v[6:7]
	s_delay_alu instid0(VALU_DEP_1)
	v_dual_sub_nc_u32 v9, 29, v1 :: v_dual_bitop2_b32 v1, 7, v16 bitop3:0x40
; %bb.1549:                             ;   in Loop: Header=BB279_941 Depth=1
	s_or_b32 exec_lo, exec_lo, s17
	s_delay_alu instid0(VALU_DEP_1) | instskip(NEXT) | instid1(VALU_DEP_2)
	v_dual_lshlrev_b32 v0, 8, v0 :: v_dual_lshlrev_b32 v1, 23, v1
	v_lshl_add_u32 v6, v9, 10, 0x2000
	s_delay_alu instid0(VALU_DEP_1) | instskip(NEXT) | instid1(VALU_DEP_1)
	v_and_or_b32 v0, 0x8000, v0, v6
	v_lshl_or_b32 v1, v0, 16, v1
.LBB279_1550:                           ;   in Loop: Header=BB279_941 Depth=1
	s_or_b32 exec_lo, exec_lo, s16
.LBB279_1551:                           ;   in Loop: Header=BB279_941 Depth=1
	s_delay_alu instid0(SALU_CYCLE_1)
	s_or_b32 exec_lo, exec_lo, s15
.LBB279_1552:                           ;   in Loop: Header=BB279_941 Depth=1
	s_delay_alu instid0(SALU_CYCLE_1) | instskip(SKIP_3) | instid1(VALU_DEP_2)
	s_or_b32 exec_lo, exec_lo, s14
	v_dual_mov_b32 v9, 0 :: v_dual_lshrrev_b32 v0, 16, v38
	v_mov_b32_e32 v16, 0
	s_mov_b32 s14, exec_lo
	v_and_b32_e32 v6, 0xff, v0
	s_delay_alu instid0(VALU_DEP_1)
	v_cmpx_ne_u16_e32 0, v6
	s_cbranch_execz .LBB279_1560
; %bb.1553:                             ;   in Loop: Header=BB279_941 Depth=1
	v_mov_b32_e32 v16, 0x8000
	s_mov_b32 s15, exec_lo
	v_cmpx_ne_u16_e32 0x80, v6
	s_cbranch_execz .LBB279_1559
; %bb.1554:                             ;   in Loop: Header=BB279_941 Depth=1
	v_bfe_u32 v17, v38, 16, 7
	v_mov_b32_e32 v16, 0x7c01
	s_mov_b32 s16, exec_lo
	s_delay_alu instid0(VALU_DEP_2)
	v_cmpx_ne_u32_e32 0x7f, v17
	s_cbranch_execz .LBB279_1558
; %bb.1555:                             ;   in Loop: Header=BB279_941 Depth=1
	v_dual_lshrrev_b32 v16, 3, v17 :: v_dual_bitop2_b32 v6, 7, v0 bitop3:0x40
	s_mov_b32 s17, exec_lo
	v_cmpx_gt_u32_e32 8, v17
; %bb.1556:                             ;   in Loop: Header=BB279_941 Depth=1
	s_delay_alu instid0(VALU_DEP_2) | instskip(NEXT) | instid1(VALU_DEP_1)
	v_clz_i32_u32_e32 v6, v6
	v_min_u32_e32 v6, 32, v6
	s_delay_alu instid0(VALU_DEP_1) | instskip(NEXT) | instid1(VALU_DEP_1)
	v_subrev_nc_u32_e32 v16, 28, v6
	v_lshlrev_b64_e32 v[18:19], v16, v[0:1]
	v_sub_nc_u32_e32 v16, 29, v6
	s_delay_alu instid0(VALU_DEP_2)
	v_and_b32_e32 v6, 7, v18
; %bb.1557:                             ;   in Loop: Header=BB279_941 Depth=1
	s_or_b32 exec_lo, exec_lo, s17
	s_delay_alu instid0(VALU_DEP_1) | instskip(NEXT) | instid1(VALU_DEP_3)
	v_dual_lshlrev_b32 v0, 8, v0 :: v_dual_lshlrev_b32 v6, 7, v6
	v_lshl_add_u32 v16, v16, 10, 0x2000
	s_delay_alu instid0(VALU_DEP_2) | instskip(NEXT) | instid1(VALU_DEP_2)
	v_and_b32_e32 v0, 0x8000, v0
	v_and_b32_e32 v16, 0xfc00, v16
	s_delay_alu instid0(VALU_DEP_1)
	v_or3_b32 v16, v0, v16, v6
.LBB279_1558:                           ;   in Loop: Header=BB279_941 Depth=1
	s_or_b32 exec_lo, exec_lo, s16
.LBB279_1559:                           ;   in Loop: Header=BB279_941 Depth=1
	s_delay_alu instid0(SALU_CYCLE_1)
	s_or_b32 exec_lo, exec_lo, s15
.LBB279_1560:                           ;   in Loop: Header=BB279_941 Depth=1
	s_delay_alu instid0(SALU_CYCLE_1) | instskip(NEXT) | instid1(SALU_CYCLE_1)
	s_or_b32 exec_lo, exec_lo, s14
	s_mov_b32 s14, exec_lo
	v_cmpx_lt_u32_e32 0xffffff, v38
	s_cbranch_execz .LBB279_1568
; %bb.1561:                             ;   in Loop: Header=BB279_941 Depth=1
	v_lshrrev_b32_e32 v6, 24, v38
	v_bfrev_b32_e32 v9, 1
	s_mov_b32 s15, exec_lo
	s_delay_alu instid0(VALU_DEP_2)
	v_cmpx_ne_u32_e32 0x80, v6
	s_cbranch_execz .LBB279_1567
; %bb.1562:                             ;   in Loop: Header=BB279_941 Depth=1
	v_and_b32_e32 v17, 0x7f, v6
	v_mov_b32_e32 v9, 0x7c010000
	s_mov_b32 s16, exec_lo
	s_delay_alu instid0(VALU_DEP_2)
	v_cmpx_ne_u32_e32 0x7f, v17
	s_cbranch_execz .LBB279_1566
; %bb.1563:                             ;   in Loop: Header=BB279_941 Depth=1
	v_dual_lshrrev_b32 v9, 3, v17 :: v_dual_bitop2_b32 v0, 7, v6 bitop3:0x40
	s_mov_b32 s17, exec_lo
	v_cmpx_gt_u32_e32 8, v17
; %bb.1564:                             ;   in Loop: Header=BB279_941 Depth=1
	s_delay_alu instid0(VALU_DEP_2) | instskip(NEXT) | instid1(VALU_DEP_1)
	v_clz_i32_u32_e32 v0, v0
	v_min_u32_e32 v0, 32, v0
	s_delay_alu instid0(VALU_DEP_1) | instskip(NEXT) | instid1(VALU_DEP_1)
	v_subrev_nc_u32_e32 v9, 28, v0
	v_lshlrev_b64_e32 v[18:19], v9, v[6:7]
	s_delay_alu instid0(VALU_DEP_1)
	v_dual_sub_nc_u32 v9, 29, v0 :: v_dual_bitop2_b32 v0, 7, v18 bitop3:0x40
; %bb.1565:                             ;   in Loop: Header=BB279_941 Depth=1
	s_or_b32 exec_lo, exec_lo, s17
	s_delay_alu instid0(VALU_DEP_1) | instskip(NEXT) | instid1(VALU_DEP_2)
	v_dual_lshlrev_b32 v6, 8, v6 :: v_dual_lshlrev_b32 v0, 23, v0
	v_lshl_add_u32 v9, v9, 10, 0x2000
	s_delay_alu instid0(VALU_DEP_1) | instskip(NEXT) | instid1(VALU_DEP_1)
	v_and_or_b32 v6, 0x8000, v6, v9
	v_lshl_or_b32 v9, v6, 16, v0
.LBB279_1566:                           ;   in Loop: Header=BB279_941 Depth=1
	s_or_b32 exec_lo, exec_lo, s16
.LBB279_1567:                           ;   in Loop: Header=BB279_941 Depth=1
	s_delay_alu instid0(SALU_CYCLE_1)
	s_or_b32 exec_lo, exec_lo, s15
.LBB279_1568:                           ;   in Loop: Header=BB279_941 Depth=1
	s_delay_alu instid0(SALU_CYCLE_1) | instskip(SKIP_4) | instid1(VALU_DEP_3)
	s_or_b32 exec_lo, exec_lo, s14
	v_and_b32_e32 v0, 0xff, v39
	v_dual_mov_b32 v6, v39 :: v_dual_mov_b32 v18, 0
	v_mov_b32_e32 v17, 0
	s_mov_b32 s14, exec_lo
	v_cmpx_ne_u16_e32 0, v0
	s_cbranch_execz .LBB279_1576
; %bb.1569:                             ;   in Loop: Header=BB279_941 Depth=1
	v_mov_b32_e32 v17, 0x8000
	s_mov_b32 s15, exec_lo
	v_cmpx_ne_u16_e32 0x80, v0
	s_cbranch_execz .LBB279_1575
; %bb.1570:                             ;   in Loop: Header=BB279_941 Depth=1
	v_and_b32_e32 v19, 0x7f, v39
	v_mov_b32_e32 v17, 0x7c01
	s_mov_b32 s16, exec_lo
	s_delay_alu instid0(VALU_DEP_2)
	v_cmpx_ne_u32_e32 0x7f, v19
	s_cbranch_execz .LBB279_1574
; %bb.1571:                             ;   in Loop: Header=BB279_941 Depth=1
	v_and_b32_e32 v0, 7, v39
	v_lshrrev_b32_e32 v17, 3, v19
	s_mov_b32 s17, exec_lo
	v_cmpx_gt_u32_e32 8, v19
; %bb.1572:                             ;   in Loop: Header=BB279_941 Depth=1
	s_delay_alu instid0(VALU_DEP_3) | instskip(NEXT) | instid1(VALU_DEP_1)
	v_clz_i32_u32_e32 v0, v0
	v_min_u32_e32 v0, 32, v0
	s_delay_alu instid0(VALU_DEP_1) | instskip(NEXT) | instid1(VALU_DEP_1)
	v_subrev_nc_u32_e32 v17, 28, v0
	v_lshlrev_b64_e32 v[22:23], v17, v[6:7]
	s_delay_alu instid0(VALU_DEP_1)
	v_dual_sub_nc_u32 v17, 29, v0 :: v_dual_bitop2_b32 v0, 7, v22 bitop3:0x40
; %bb.1573:                             ;   in Loop: Header=BB279_941 Depth=1
	s_or_b32 exec_lo, exec_lo, s17
	s_delay_alu instid0(VALU_DEP_1) | instskip(NEXT) | instid1(VALU_DEP_2)
	v_dual_lshlrev_b32 v19, 8, v39 :: v_dual_lshlrev_b32 v0, 7, v0
	v_lshl_add_u32 v17, v17, 10, 0x2000
	s_delay_alu instid0(VALU_DEP_2) | instskip(NEXT) | instid1(VALU_DEP_2)
	v_and_b32_e32 v19, 0x8000, v19
	v_and_b32_e32 v17, 0xfc00, v17
	s_delay_alu instid0(VALU_DEP_1)
	v_or3_b32 v17, v19, v17, v0
.LBB279_1574:                           ;   in Loop: Header=BB279_941 Depth=1
	s_or_b32 exec_lo, exec_lo, s16
.LBB279_1575:                           ;   in Loop: Header=BB279_941 Depth=1
	s_delay_alu instid0(SALU_CYCLE_1)
	s_or_b32 exec_lo, exec_lo, s15
.LBB279_1576:                           ;   in Loop: Header=BB279_941 Depth=1
	s_delay_alu instid0(SALU_CYCLE_1) | instskip(SKIP_3) | instid1(VALU_DEP_2)
	s_or_b32 exec_lo, exec_lo, s14
	v_lshrrev_b16 v6, 8, v6
	v_mov_b32_e32 v19, 0
	s_mov_b32 s14, exec_lo
	v_cmpx_ne_u16_e32 0, v6
	s_cbranch_execz .LBB279_1584
; %bb.1577:                             ;   in Loop: Header=BB279_941 Depth=1
	v_bfrev_b32_e32 v19, 1
	s_mov_b32 s15, exec_lo
	v_cmpx_ne_u16_e32 0x80, v6
	s_cbranch_execz .LBB279_1583
; %bb.1578:                             ;   in Loop: Header=BB279_941 Depth=1
	v_and_b32_e32 v0, 0xffff, v6
	v_mov_b32_e32 v19, 0x7c010000
	s_mov_b32 s16, exec_lo
	s_delay_alu instid0(VALU_DEP_2) | instskip(NEXT) | instid1(VALU_DEP_1)
	v_and_b32_e32 v23, 0x7f, v0
	v_cmpx_ne_u32_e32 0x7f, v23
	s_cbranch_execz .LBB279_1582
; %bb.1579:                             ;   in Loop: Header=BB279_941 Depth=1
	v_dual_lshrrev_b32 v22, 3, v23 :: v_dual_bitop2_b32 v19, 7, v0 bitop3:0x40
	s_mov_b32 s17, exec_lo
	v_cmpx_gt_u32_e32 8, v23
; %bb.1580:                             ;   in Loop: Header=BB279_941 Depth=1
	s_delay_alu instid0(VALU_DEP_2) | instskip(NEXT) | instid1(VALU_DEP_1)
	v_clz_i32_u32_e32 v19, v19
	v_min_u32_e32 v19, 32, v19
	s_delay_alu instid0(VALU_DEP_1) | instskip(NEXT) | instid1(VALU_DEP_1)
	v_subrev_nc_u32_e32 v22, 28, v19
	v_lshlrev_b64_e32 v[48:49], v22, v[6:7]
	s_delay_alu instid0(VALU_DEP_1)
	v_dual_sub_nc_u32 v22, 29, v19 :: v_dual_bitop2_b32 v19, 7, v48 bitop3:0x40
; %bb.1581:                             ;   in Loop: Header=BB279_941 Depth=1
	s_or_b32 exec_lo, exec_lo, s17
	v_lshlrev_b32_e32 v0, 8, v0
	s_delay_alu instid0(VALU_DEP_2) | instskip(NEXT) | instid1(VALU_DEP_1)
	v_lshl_add_u32 v6, v22, 10, 0x2000
	v_and_or_b32 v0, 0x8000, v0, v6
	v_lshlrev_b32_e32 v6, 23, v19
	s_delay_alu instid0(VALU_DEP_1)
	v_lshl_or_b32 v19, v0, 16, v6
.LBB279_1582:                           ;   in Loop: Header=BB279_941 Depth=1
	s_or_b32 exec_lo, exec_lo, s16
.LBB279_1583:                           ;   in Loop: Header=BB279_941 Depth=1
	s_delay_alu instid0(SALU_CYCLE_1)
	s_or_b32 exec_lo, exec_lo, s15
.LBB279_1584:                           ;   in Loop: Header=BB279_941 Depth=1
	s_delay_alu instid0(SALU_CYCLE_1) | instskip(SKIP_2) | instid1(VALU_DEP_1)
	s_or_b32 exec_lo, exec_lo, s14
	v_lshrrev_b32_e32 v0, 16, v39
	s_mov_b32 s14, exec_lo
	v_and_b32_e32 v6, 0xff, v0
	s_delay_alu instid0(VALU_DEP_1)
	v_cmpx_ne_u16_e32 0, v6
	s_cbranch_execz .LBB279_1592
; %bb.1585:                             ;   in Loop: Header=BB279_941 Depth=1
	v_mov_b32_e32 v18, 0x8000
	s_mov_b32 s15, exec_lo
	v_cmpx_ne_u16_e32 0x80, v6
	s_cbranch_execz .LBB279_1591
; %bb.1586:                             ;   in Loop: Header=BB279_941 Depth=1
	v_bfe_u32 v22, v39, 16, 7
	v_mov_b32_e32 v18, 0x7c01
	s_mov_b32 s16, exec_lo
	s_delay_alu instid0(VALU_DEP_2)
	v_cmpx_ne_u32_e32 0x7f, v22
	s_cbranch_execz .LBB279_1590
; %bb.1587:                             ;   in Loop: Header=BB279_941 Depth=1
	v_dual_lshrrev_b32 v18, 3, v22 :: v_dual_bitop2_b32 v6, 7, v0 bitop3:0x40
	s_mov_b32 s17, exec_lo
	v_cmpx_gt_u32_e32 8, v22
; %bb.1588:                             ;   in Loop: Header=BB279_941 Depth=1
	s_delay_alu instid0(VALU_DEP_2) | instskip(NEXT) | instid1(VALU_DEP_1)
	v_clz_i32_u32_e32 v6, v6
	v_min_u32_e32 v6, 32, v6
	s_delay_alu instid0(VALU_DEP_1) | instskip(NEXT) | instid1(VALU_DEP_1)
	v_subrev_nc_u32_e32 v18, 28, v6
	v_lshlrev_b64_e32 v[22:23], v18, v[0:1]
	v_sub_nc_u32_e32 v18, 29, v6
	s_delay_alu instid0(VALU_DEP_2)
	v_and_b32_e32 v6, 7, v22
; %bb.1589:                             ;   in Loop: Header=BB279_941 Depth=1
	s_or_b32 exec_lo, exec_lo, s17
	s_delay_alu instid0(VALU_DEP_1) | instskip(NEXT) | instid1(VALU_DEP_3)
	v_dual_lshlrev_b32 v0, 8, v0 :: v_dual_lshlrev_b32 v6, 7, v6
	v_lshl_add_u32 v18, v18, 10, 0x2000
	s_delay_alu instid0(VALU_DEP_2) | instskip(NEXT) | instid1(VALU_DEP_2)
	v_and_b32_e32 v0, 0x8000, v0
	v_and_b32_e32 v18, 0xfc00, v18
	s_delay_alu instid0(VALU_DEP_1)
	v_or3_b32 v18, v0, v18, v6
.LBB279_1590:                           ;   in Loop: Header=BB279_941 Depth=1
	s_or_b32 exec_lo, exec_lo, s16
.LBB279_1591:                           ;   in Loop: Header=BB279_941 Depth=1
	s_delay_alu instid0(SALU_CYCLE_1)
	s_or_b32 exec_lo, exec_lo, s15
.LBB279_1592:                           ;   in Loop: Header=BB279_941 Depth=1
	s_delay_alu instid0(SALU_CYCLE_1)
	s_or_b32 exec_lo, exec_lo, s14
	v_mov_b32_e32 v0, 0
	s_mov_b32 s14, exec_lo
	v_cmpx_lt_u64_e64 s[2:3], v[38:39]
	s_cbranch_execz .LBB279_1600
; %bb.1593:                             ;   in Loop: Header=BB279_941 Depth=1
	v_lshrrev_b32_e32 v6, 24, v39
	v_bfrev_b32_e32 v0, 1
	s_mov_b32 s15, exec_lo
	s_delay_alu instid0(VALU_DEP_2)
	v_cmpx_ne_u32_e32 0x80, v6
	s_cbranch_execz .LBB279_1599
; %bb.1594:                             ;   in Loop: Header=BB279_941 Depth=1
	v_and_b32_e32 v23, 0x7f, v6
	v_mov_b32_e32 v0, 0x7c010000
	s_mov_b32 s16, exec_lo
	s_delay_alu instid0(VALU_DEP_2)
	v_cmpx_ne_u32_e32 0x7f, v23
	s_cbranch_execz .LBB279_1598
; %bb.1595:                             ;   in Loop: Header=BB279_941 Depth=1
	v_dual_lshrrev_b32 v22, 3, v23 :: v_dual_bitop2_b32 v0, 7, v6 bitop3:0x40
	s_mov_b32 s17, exec_lo
	v_cmpx_gt_u32_e32 8, v23
; %bb.1596:                             ;   in Loop: Header=BB279_941 Depth=1
	s_delay_alu instid0(VALU_DEP_2) | instskip(NEXT) | instid1(VALU_DEP_1)
	v_clz_i32_u32_e32 v0, v0
	v_min_u32_e32 v0, 32, v0
	s_delay_alu instid0(VALU_DEP_1) | instskip(NEXT) | instid1(VALU_DEP_1)
	v_subrev_nc_u32_e32 v22, 28, v0
	v_lshlrev_b64_e32 v[38:39], v22, v[6:7]
	s_delay_alu instid0(VALU_DEP_1)
	v_dual_sub_nc_u32 v22, 29, v0 :: v_dual_bitop2_b32 v0, 7, v38 bitop3:0x40
; %bb.1597:                             ;   in Loop: Header=BB279_941 Depth=1
	s_or_b32 exec_lo, exec_lo, s17
	s_delay_alu instid0(VALU_DEP_1) | instskip(NEXT) | instid1(VALU_DEP_2)
	v_dual_lshlrev_b32 v6, 8, v6 :: v_dual_lshlrev_b32 v0, 23, v0
	v_lshl_add_u32 v22, v22, 10, 0x2000
	s_delay_alu instid0(VALU_DEP_1) | instskip(NEXT) | instid1(VALU_DEP_1)
	v_and_or_b32 v6, 0x8000, v6, v22
	v_lshl_or_b32 v0, v6, 16, v0
.LBB279_1598:                           ;   in Loop: Header=BB279_941 Depth=1
	s_or_b32 exec_lo, exec_lo, s16
.LBB279_1599:                           ;   in Loop: Header=BB279_941 Depth=1
	s_delay_alu instid0(SALU_CYCLE_1)
	s_or_b32 exec_lo, exec_lo, s15
.LBB279_1600:                           ;   in Loop: Header=BB279_941 Depth=1
	s_delay_alu instid0(SALU_CYCLE_1) | instskip(SKIP_2) | instid1(VALU_DEP_2)
	s_or_b32 exec_lo, exec_lo, s14
	v_dual_lshrrev_b32 v6, 16, v1 :: v_dual_bitop2_b32 v1, v1, v8 bitop3:0x54
	v_dual_lshrrev_b32 v22, 16, v9 :: v_dual_bitop2_b32 v16, v9, v16 bitop3:0x54
	v_cvt_f32_f16_e32 v9, v6
	v_dual_lshrrev_b32 v18, 16, v19 :: v_dual_bitop2_b32 v6, v0, v18 bitop3:0x54
	s_delay_alu instid0(VALU_DEP_3)
	v_cvt_f32_f16_e32 v8, v22
	v_dual_lshrrev_b32 v22, 16, v0 :: v_dual_bitop2_b32 v19, v19, v17 bitop3:0x54
	v_cvt_f32_f16_e32 v0, v16
	v_cvt_f32_f16_e32 v1, v1
	s_wait_loadcnt_dscnt 0x0
	v_pk_mul_f32 v[8:9], v[36:37], v[8:9] op_sel_hi:[0,1]
	v_cvt_f32_f16_e32 v17, v18
	v_cvt_f32_f16_e32 v16, v22
	;; [unrolled: 1-line block ×4, first 2 shown]
	v_pk_mul_f32 v[0:1], v[36:37], v[0:1] op_sel_hi:[0,1]
	v_cvt_pk_f16_f32 v6, v8, v9
	v_pk_mul_f32 v[8:9], v[36:37], v[16:17] op_sel_hi:[0,1]
	s_delay_alu instid0(VALU_DEP_4) | instskip(NEXT) | instid1(VALU_DEP_4)
	v_pk_mul_f32 v[16:17], v[36:37], v[18:19] op_sel_hi:[0,1]
	v_cvt_pk_f16_f32 v0, v0, v1
	s_delay_alu instid0(VALU_DEP_4) | instskip(NEXT) | instid1(VALU_DEP_4)
	v_and_b32_e32 v19, 0xffff0000, v6
	v_cvt_pk_f16_f32 v8, v8, v9
	v_lshlrev_b32_e32 v36, 16, v6
	v_cvt_pk_f16_f32 v6, v16, v17
	v_lshrrev_b32_e32 v49, 16, v0
	v_and_b32_e32 v50, 0xffff, v0
	v_and_b32_e32 v1, 0xffff0000, v8
	s_delay_alu instid0(VALU_DEP_4) | instskip(SKIP_3) | instid1(VALU_DEP_4)
	v_dual_lshlrev_b32 v0, 16, v8 :: v_dual_lshrrev_b32 v9, 16, v6
	v_and_b32_e32 v6, 0xffff, v6
	v_or_b32_e32 v39, v19, v49
	v_or_b32_e32 v48, v36, v50
	v_or_b32_e32 v37, v1, v9
	s_delay_alu instid0(VALU_DEP_4)
	v_or_b32_e32 v38, v0, v6
	s_and_saveexec_b32 s14, vcc_lo
	s_cbranch_execz .LBB279_1602
; %bb.1601:                             ;   in Loop: Header=BB279_941 Depth=1
	v_cmp_lt_i32_e64 s0, v67, v13
	s_delay_alu instid0(VALU_DEP_1) | instskip(SKIP_1) | instid1(VALU_DEP_1)
	v_cndmask_b32_e64 v8, 0, v49, s0
	v_cmp_lt_i32_e64 s0, v82, v12
	v_cndmask_b32_e64 v16, 0, v50, s0
	v_cmp_lt_i32_e64 s0, v81, v13
	s_delay_alu instid0(VALU_DEP_1) | instskip(SKIP_1) | instid1(VALU_DEP_1)
	v_cndmask_b32_e64 v17, 0, v19, s0
	v_cmp_lt_i32_e64 s0, v80, v12
	v_cndmask_b32_e64 v18, 0, v36, s0
	v_cmp_lt_i32_e64 s0, v71, v13
	s_delay_alu instid0(VALU_DEP_4) | instskip(NEXT) | instid1(VALU_DEP_2)
	v_or_b32_e32 v39, v8, v17
	v_dual_cndmask_b32 v9, 0, v9, s0 :: v_dual_bitop2_b32 v48, v16, v18 bitop3:0x54
	v_cmp_lt_i32_e64 s0, v70, v12
	s_delay_alu instid0(VALU_DEP_1) | instskip(SKIP_1) | instid1(VALU_DEP_1)
	v_cndmask_b32_e64 v6, 0, v6, s0
	v_cmp_lt_i32_e64 s0, v69, v13
	v_cndmask_b32_e64 v1, 0, v1, s0
	v_cmp_lt_i32_e64 s0, v68, v12
	s_delay_alu instid0(VALU_DEP_1) | instskip(NEXT) | instid1(VALU_DEP_1)
	v_dual_cndmask_b32 v0, 0, v0, s0 :: v_dual_bitop2_b32 v37, v9, v1 bitop3:0x54
	v_or_b32_e32 v38, v6, v0
.LBB279_1602:                           ;   in Loop: Header=BB279_941 Depth=1
	s_or_b32 exec_lo, exec_lo, s14
	;;#ASMSTART
	v_pk_mul_f16 v0, v87, v39;

	;;#ASMEND
	;;#ASMSTART
	v_pk_mul_f16 v1, v85, v48;

	;;#ASMEND
	;; [unrolled: 4-line block ×4, first 2 shown]
	;;#ASMSTART
	v_pk_add_f16 v0, v0, v1;

	;;#ASMEND
	;;#ASMSTART
	v_pk_add_f16 v0, v0, v6;

	;;#ASMEND
	;; [unrolled: 4-line block ×3, first 2 shown]
	v_and_b32_e32 v1, 0xffff, v0
	v_lshrrev_b32_e32 v0, 16, v0
	;;#ASMSTART
	v_cvt_f32_f16 v41, v1;
	;;#ASMEND
	;;#ASMSTART
	v_cvt_f32_f16 v42, v0;
	;;#ASMEND
	flat_load_b64 v[38:39], v[28:29] offset:2560
	scratch_load_b64 v[0:1], off, s32 offset:192 ; 8-byte Folded Reload
	v_mov_b32_e32 v8, 0
	s_mov_b32 s14, exec_lo
	s_wait_loadcnt 0x0
	flat_load_b32 v36, v[0:1]
	s_wait_dscnt 0x1
	s_wait_xcnt 0x0
	v_and_b32_e32 v0, 0xff, v38
	v_mov_b32_e32 v1, 0
	s_delay_alu instid0(VALU_DEP_2)
	v_cmpx_ne_u16_e32 0, v0
	s_cbranch_execz .LBB279_1610
; %bb.1603:                             ;   in Loop: Header=BB279_941 Depth=1
	v_mov_b32_e32 v8, 0x8000
	s_mov_b32 s15, exec_lo
	v_cmpx_ne_u16_e32 0x80, v0
	s_cbranch_execz .LBB279_1609
; %bb.1604:                             ;   in Loop: Header=BB279_941 Depth=1
	v_and_b32_e32 v9, 0x7f, v38
	v_mov_b32_e32 v8, 0x7c01
	s_mov_b32 s16, exec_lo
	s_delay_alu instid0(VALU_DEP_2)
	v_cmpx_ne_u32_e32 0x7f, v9
	s_cbranch_execz .LBB279_1608
; %bb.1605:                             ;   in Loop: Header=BB279_941 Depth=1
	v_dual_lshrrev_b32 v6, 3, v9 :: v_dual_bitop2_b32 v0, 7, v38 bitop3:0x40
	s_mov_b32 s17, exec_lo
	v_cmpx_gt_u32_e32 8, v9
; %bb.1606:                             ;   in Loop: Header=BB279_941 Depth=1
	s_delay_alu instid0(VALU_DEP_2) | instskip(NEXT) | instid1(VALU_DEP_1)
	v_clz_i32_u32_e32 v0, v0
	v_min_u32_e32 v0, 32, v0
	s_delay_alu instid0(VALU_DEP_1) | instskip(NEXT) | instid1(VALU_DEP_1)
	v_subrev_nc_u32_e32 v6, 28, v0
	v_lshlrev_b64_e32 v[8:9], v6, v[38:39]
	v_sub_nc_u32_e32 v6, 29, v0
	s_delay_alu instid0(VALU_DEP_2)
	v_and_b32_e32 v0, 7, v8
; %bb.1607:                             ;   in Loop: Header=BB279_941 Depth=1
	s_or_b32 exec_lo, exec_lo, s17
	s_delay_alu instid0(VALU_DEP_1) | instskip(NEXT) | instid1(VALU_DEP_3)
	v_dual_lshlrev_b32 v8, 8, v38 :: v_dual_lshlrev_b32 v0, 7, v0
	v_lshl_add_u32 v6, v6, 10, 0x2000
	s_delay_alu instid0(VALU_DEP_2) | instskip(NEXT) | instid1(VALU_DEP_2)
	v_and_b32_e32 v8, 0x8000, v8
	v_and_b32_e32 v6, 0xfc00, v6
	s_delay_alu instid0(VALU_DEP_1)
	v_or3_b32 v8, v8, v6, v0
.LBB279_1608:                           ;   in Loop: Header=BB279_941 Depth=1
	s_or_b32 exec_lo, exec_lo, s16
.LBB279_1609:                           ;   in Loop: Header=BB279_941 Depth=1
	s_delay_alu instid0(SALU_CYCLE_1)
	s_or_b32 exec_lo, exec_lo, s15
.LBB279_1610:                           ;   in Loop: Header=BB279_941 Depth=1
	s_delay_alu instid0(SALU_CYCLE_1) | instskip(SKIP_2) | instid1(VALU_DEP_1)
	s_or_b32 exec_lo, exec_lo, s14
	v_lshrrev_b16 v6, 8, v38
	s_mov_b32 s14, exec_lo
	v_cmpx_ne_u16_e32 0, v6
	s_cbranch_execz .LBB279_1618
; %bb.1611:                             ;   in Loop: Header=BB279_941 Depth=1
	v_bfrev_b32_e32 v1, 1
	s_mov_b32 s15, exec_lo
	v_cmpx_ne_u16_e32 0x80, v6
	s_cbranch_execz .LBB279_1617
; %bb.1612:                             ;   in Loop: Header=BB279_941 Depth=1
	v_and_b32_e32 v0, 0xffff, v6
	v_mov_b32_e32 v1, 0x7c010000
	s_mov_b32 s16, exec_lo
	s_delay_alu instid0(VALU_DEP_2) | instskip(NEXT) | instid1(VALU_DEP_1)
	v_and_b32_e32 v16, 0x7f, v0
	v_cmpx_ne_u32_e32 0x7f, v16
	s_cbranch_execz .LBB279_1616
; %bb.1613:                             ;   in Loop: Header=BB279_941 Depth=1
	v_and_b32_e32 v1, 7, v0
	v_lshrrev_b32_e32 v9, 3, v16
	s_mov_b32 s17, exec_lo
	v_cmpx_gt_u32_e32 8, v16
; %bb.1614:                             ;   in Loop: Header=BB279_941 Depth=1
	s_delay_alu instid0(VALU_DEP_3) | instskip(NEXT) | instid1(VALU_DEP_1)
	v_clz_i32_u32_e32 v1, v1
	v_min_u32_e32 v1, 32, v1
	s_delay_alu instid0(VALU_DEP_1) | instskip(NEXT) | instid1(VALU_DEP_1)
	v_subrev_nc_u32_e32 v9, 28, v1
	v_lshlrev_b64_e32 v[16:17], v9, v[6:7]
	s_delay_alu instid0(VALU_DEP_1)
	v_dual_sub_nc_u32 v9, 29, v1 :: v_dual_bitop2_b32 v1, 7, v16 bitop3:0x40
; %bb.1615:                             ;   in Loop: Header=BB279_941 Depth=1
	s_or_b32 exec_lo, exec_lo, s17
	s_delay_alu instid0(VALU_DEP_1) | instskip(NEXT) | instid1(VALU_DEP_2)
	v_dual_lshlrev_b32 v0, 8, v0 :: v_dual_lshlrev_b32 v1, 23, v1
	v_lshl_add_u32 v6, v9, 10, 0x2000
	s_delay_alu instid0(VALU_DEP_1) | instskip(NEXT) | instid1(VALU_DEP_1)
	v_and_or_b32 v0, 0x8000, v0, v6
	v_lshl_or_b32 v1, v0, 16, v1
.LBB279_1616:                           ;   in Loop: Header=BB279_941 Depth=1
	s_or_b32 exec_lo, exec_lo, s16
.LBB279_1617:                           ;   in Loop: Header=BB279_941 Depth=1
	s_delay_alu instid0(SALU_CYCLE_1)
	s_or_b32 exec_lo, exec_lo, s15
.LBB279_1618:                           ;   in Loop: Header=BB279_941 Depth=1
	s_delay_alu instid0(SALU_CYCLE_1) | instskip(SKIP_3) | instid1(VALU_DEP_2)
	s_or_b32 exec_lo, exec_lo, s14
	v_dual_mov_b32 v9, 0 :: v_dual_lshrrev_b32 v0, 16, v38
	v_mov_b32_e32 v16, 0
	s_mov_b32 s14, exec_lo
	v_and_b32_e32 v6, 0xff, v0
	s_delay_alu instid0(VALU_DEP_1)
	v_cmpx_ne_u16_e32 0, v6
	s_cbranch_execz .LBB279_1626
; %bb.1619:                             ;   in Loop: Header=BB279_941 Depth=1
	v_mov_b32_e32 v16, 0x8000
	s_mov_b32 s15, exec_lo
	v_cmpx_ne_u16_e32 0x80, v6
	s_cbranch_execz .LBB279_1625
; %bb.1620:                             ;   in Loop: Header=BB279_941 Depth=1
	v_bfe_u32 v17, v38, 16, 7
	v_mov_b32_e32 v16, 0x7c01
	s_mov_b32 s16, exec_lo
	s_delay_alu instid0(VALU_DEP_2)
	v_cmpx_ne_u32_e32 0x7f, v17
	s_cbranch_execz .LBB279_1624
; %bb.1621:                             ;   in Loop: Header=BB279_941 Depth=1
	v_dual_lshrrev_b32 v16, 3, v17 :: v_dual_bitop2_b32 v6, 7, v0 bitop3:0x40
	s_mov_b32 s17, exec_lo
	v_cmpx_gt_u32_e32 8, v17
; %bb.1622:                             ;   in Loop: Header=BB279_941 Depth=1
	s_delay_alu instid0(VALU_DEP_2) | instskip(NEXT) | instid1(VALU_DEP_1)
	v_clz_i32_u32_e32 v6, v6
	v_min_u32_e32 v6, 32, v6
	s_delay_alu instid0(VALU_DEP_1) | instskip(NEXT) | instid1(VALU_DEP_1)
	v_subrev_nc_u32_e32 v16, 28, v6
	v_lshlrev_b64_e32 v[18:19], v16, v[0:1]
	v_sub_nc_u32_e32 v16, 29, v6
	s_delay_alu instid0(VALU_DEP_2)
	v_and_b32_e32 v6, 7, v18
; %bb.1623:                             ;   in Loop: Header=BB279_941 Depth=1
	s_or_b32 exec_lo, exec_lo, s17
	s_delay_alu instid0(VALU_DEP_1) | instskip(NEXT) | instid1(VALU_DEP_3)
	v_dual_lshlrev_b32 v0, 8, v0 :: v_dual_lshlrev_b32 v6, 7, v6
	v_lshl_add_u32 v16, v16, 10, 0x2000
	s_delay_alu instid0(VALU_DEP_2) | instskip(NEXT) | instid1(VALU_DEP_2)
	v_and_b32_e32 v0, 0x8000, v0
	v_and_b32_e32 v16, 0xfc00, v16
	s_delay_alu instid0(VALU_DEP_1)
	v_or3_b32 v16, v0, v16, v6
.LBB279_1624:                           ;   in Loop: Header=BB279_941 Depth=1
	s_or_b32 exec_lo, exec_lo, s16
.LBB279_1625:                           ;   in Loop: Header=BB279_941 Depth=1
	s_delay_alu instid0(SALU_CYCLE_1)
	s_or_b32 exec_lo, exec_lo, s15
.LBB279_1626:                           ;   in Loop: Header=BB279_941 Depth=1
	s_delay_alu instid0(SALU_CYCLE_1) | instskip(NEXT) | instid1(SALU_CYCLE_1)
	s_or_b32 exec_lo, exec_lo, s14
	s_mov_b32 s14, exec_lo
	v_cmpx_lt_u32_e32 0xffffff, v38
	s_cbranch_execz .LBB279_1634
; %bb.1627:                             ;   in Loop: Header=BB279_941 Depth=1
	v_lshrrev_b32_e32 v6, 24, v38
	v_bfrev_b32_e32 v9, 1
	s_mov_b32 s15, exec_lo
	s_delay_alu instid0(VALU_DEP_2)
	v_cmpx_ne_u32_e32 0x80, v6
	s_cbranch_execz .LBB279_1633
; %bb.1628:                             ;   in Loop: Header=BB279_941 Depth=1
	v_and_b32_e32 v17, 0x7f, v6
	v_mov_b32_e32 v9, 0x7c010000
	s_mov_b32 s16, exec_lo
	s_delay_alu instid0(VALU_DEP_2)
	v_cmpx_ne_u32_e32 0x7f, v17
	s_cbranch_execz .LBB279_1632
; %bb.1629:                             ;   in Loop: Header=BB279_941 Depth=1
	v_dual_lshrrev_b32 v9, 3, v17 :: v_dual_bitop2_b32 v0, 7, v6 bitop3:0x40
	s_mov_b32 s17, exec_lo
	v_cmpx_gt_u32_e32 8, v17
; %bb.1630:                             ;   in Loop: Header=BB279_941 Depth=1
	s_delay_alu instid0(VALU_DEP_2) | instskip(NEXT) | instid1(VALU_DEP_1)
	v_clz_i32_u32_e32 v0, v0
	v_min_u32_e32 v0, 32, v0
	s_delay_alu instid0(VALU_DEP_1) | instskip(NEXT) | instid1(VALU_DEP_1)
	v_subrev_nc_u32_e32 v9, 28, v0
	v_lshlrev_b64_e32 v[18:19], v9, v[6:7]
	s_delay_alu instid0(VALU_DEP_1)
	v_dual_sub_nc_u32 v9, 29, v0 :: v_dual_bitop2_b32 v0, 7, v18 bitop3:0x40
; %bb.1631:                             ;   in Loop: Header=BB279_941 Depth=1
	s_or_b32 exec_lo, exec_lo, s17
	s_delay_alu instid0(VALU_DEP_1) | instskip(NEXT) | instid1(VALU_DEP_2)
	v_dual_lshlrev_b32 v6, 8, v6 :: v_dual_lshlrev_b32 v0, 23, v0
	v_lshl_add_u32 v9, v9, 10, 0x2000
	s_delay_alu instid0(VALU_DEP_1) | instskip(NEXT) | instid1(VALU_DEP_1)
	v_and_or_b32 v6, 0x8000, v6, v9
	v_lshl_or_b32 v9, v6, 16, v0
.LBB279_1632:                           ;   in Loop: Header=BB279_941 Depth=1
	s_or_b32 exec_lo, exec_lo, s16
.LBB279_1633:                           ;   in Loop: Header=BB279_941 Depth=1
	s_delay_alu instid0(SALU_CYCLE_1)
	s_or_b32 exec_lo, exec_lo, s15
.LBB279_1634:                           ;   in Loop: Header=BB279_941 Depth=1
	s_delay_alu instid0(SALU_CYCLE_1) | instskip(SKIP_4) | instid1(VALU_DEP_3)
	s_or_b32 exec_lo, exec_lo, s14
	v_and_b32_e32 v0, 0xff, v39
	v_dual_mov_b32 v6, v39 :: v_dual_mov_b32 v18, 0
	v_mov_b32_e32 v17, 0
	s_mov_b32 s14, exec_lo
	v_cmpx_ne_u16_e32 0, v0
	s_cbranch_execz .LBB279_1642
; %bb.1635:                             ;   in Loop: Header=BB279_941 Depth=1
	v_mov_b32_e32 v17, 0x8000
	s_mov_b32 s15, exec_lo
	v_cmpx_ne_u16_e32 0x80, v0
	s_cbranch_execz .LBB279_1641
; %bb.1636:                             ;   in Loop: Header=BB279_941 Depth=1
	v_and_b32_e32 v19, 0x7f, v39
	v_mov_b32_e32 v17, 0x7c01
	s_mov_b32 s16, exec_lo
	s_delay_alu instid0(VALU_DEP_2)
	v_cmpx_ne_u32_e32 0x7f, v19
	s_cbranch_execz .LBB279_1640
; %bb.1637:                             ;   in Loop: Header=BB279_941 Depth=1
	v_and_b32_e32 v0, 7, v39
	v_lshrrev_b32_e32 v17, 3, v19
	s_mov_b32 s17, exec_lo
	v_cmpx_gt_u32_e32 8, v19
; %bb.1638:                             ;   in Loop: Header=BB279_941 Depth=1
	s_delay_alu instid0(VALU_DEP_3) | instskip(NEXT) | instid1(VALU_DEP_1)
	v_clz_i32_u32_e32 v0, v0
	v_min_u32_e32 v0, 32, v0
	s_delay_alu instid0(VALU_DEP_1) | instskip(NEXT) | instid1(VALU_DEP_1)
	v_subrev_nc_u32_e32 v17, 28, v0
	v_lshlrev_b64_e32 v[22:23], v17, v[6:7]
	s_delay_alu instid0(VALU_DEP_1)
	v_dual_sub_nc_u32 v17, 29, v0 :: v_dual_bitop2_b32 v0, 7, v22 bitop3:0x40
; %bb.1639:                             ;   in Loop: Header=BB279_941 Depth=1
	s_or_b32 exec_lo, exec_lo, s17
	s_delay_alu instid0(VALU_DEP_1) | instskip(NEXT) | instid1(VALU_DEP_2)
	v_dual_lshlrev_b32 v19, 8, v39 :: v_dual_lshlrev_b32 v0, 7, v0
	v_lshl_add_u32 v17, v17, 10, 0x2000
	s_delay_alu instid0(VALU_DEP_2) | instskip(NEXT) | instid1(VALU_DEP_2)
	v_and_b32_e32 v19, 0x8000, v19
	v_and_b32_e32 v17, 0xfc00, v17
	s_delay_alu instid0(VALU_DEP_1)
	v_or3_b32 v17, v19, v17, v0
.LBB279_1640:                           ;   in Loop: Header=BB279_941 Depth=1
	s_or_b32 exec_lo, exec_lo, s16
.LBB279_1641:                           ;   in Loop: Header=BB279_941 Depth=1
	s_delay_alu instid0(SALU_CYCLE_1)
	s_or_b32 exec_lo, exec_lo, s15
.LBB279_1642:                           ;   in Loop: Header=BB279_941 Depth=1
	s_delay_alu instid0(SALU_CYCLE_1) | instskip(SKIP_3) | instid1(VALU_DEP_2)
	s_or_b32 exec_lo, exec_lo, s14
	v_lshrrev_b16 v6, 8, v6
	v_mov_b32_e32 v19, 0
	s_mov_b32 s14, exec_lo
	v_cmpx_ne_u16_e32 0, v6
	s_cbranch_execz .LBB279_1650
; %bb.1643:                             ;   in Loop: Header=BB279_941 Depth=1
	v_bfrev_b32_e32 v19, 1
	s_mov_b32 s15, exec_lo
	v_cmpx_ne_u16_e32 0x80, v6
	s_cbranch_execz .LBB279_1649
; %bb.1644:                             ;   in Loop: Header=BB279_941 Depth=1
	v_and_b32_e32 v0, 0xffff, v6
	v_mov_b32_e32 v19, 0x7c010000
	s_mov_b32 s16, exec_lo
	s_delay_alu instid0(VALU_DEP_2) | instskip(NEXT) | instid1(VALU_DEP_1)
	v_and_b32_e32 v23, 0x7f, v0
	v_cmpx_ne_u32_e32 0x7f, v23
	s_cbranch_execz .LBB279_1648
; %bb.1645:                             ;   in Loop: Header=BB279_941 Depth=1
	v_dual_lshrrev_b32 v22, 3, v23 :: v_dual_bitop2_b32 v19, 7, v0 bitop3:0x40
	s_mov_b32 s17, exec_lo
	v_cmpx_gt_u32_e32 8, v23
; %bb.1646:                             ;   in Loop: Header=BB279_941 Depth=1
	s_delay_alu instid0(VALU_DEP_2) | instskip(NEXT) | instid1(VALU_DEP_1)
	v_clz_i32_u32_e32 v19, v19
	v_min_u32_e32 v19, 32, v19
	s_delay_alu instid0(VALU_DEP_1) | instskip(NEXT) | instid1(VALU_DEP_1)
	v_subrev_nc_u32_e32 v22, 28, v19
	v_lshlrev_b64_e32 v[48:49], v22, v[6:7]
	s_delay_alu instid0(VALU_DEP_1)
	v_dual_sub_nc_u32 v22, 29, v19 :: v_dual_bitop2_b32 v19, 7, v48 bitop3:0x40
; %bb.1647:                             ;   in Loop: Header=BB279_941 Depth=1
	s_or_b32 exec_lo, exec_lo, s17
	v_lshlrev_b32_e32 v0, 8, v0
	s_delay_alu instid0(VALU_DEP_2) | instskip(NEXT) | instid1(VALU_DEP_1)
	v_lshl_add_u32 v6, v22, 10, 0x2000
	v_and_or_b32 v0, 0x8000, v0, v6
	v_lshlrev_b32_e32 v6, 23, v19
	s_delay_alu instid0(VALU_DEP_1)
	v_lshl_or_b32 v19, v0, 16, v6
.LBB279_1648:                           ;   in Loop: Header=BB279_941 Depth=1
	s_or_b32 exec_lo, exec_lo, s16
.LBB279_1649:                           ;   in Loop: Header=BB279_941 Depth=1
	s_delay_alu instid0(SALU_CYCLE_1)
	s_or_b32 exec_lo, exec_lo, s15
.LBB279_1650:                           ;   in Loop: Header=BB279_941 Depth=1
	s_delay_alu instid0(SALU_CYCLE_1) | instskip(SKIP_2) | instid1(VALU_DEP_1)
	s_or_b32 exec_lo, exec_lo, s14
	v_lshrrev_b32_e32 v0, 16, v39
	s_mov_b32 s14, exec_lo
	v_and_b32_e32 v6, 0xff, v0
	s_delay_alu instid0(VALU_DEP_1)
	v_cmpx_ne_u16_e32 0, v6
	s_cbranch_execz .LBB279_1658
; %bb.1651:                             ;   in Loop: Header=BB279_941 Depth=1
	v_mov_b32_e32 v18, 0x8000
	s_mov_b32 s15, exec_lo
	v_cmpx_ne_u16_e32 0x80, v6
	s_cbranch_execz .LBB279_1657
; %bb.1652:                             ;   in Loop: Header=BB279_941 Depth=1
	v_bfe_u32 v22, v39, 16, 7
	v_mov_b32_e32 v18, 0x7c01
	s_mov_b32 s16, exec_lo
	s_delay_alu instid0(VALU_DEP_2)
	v_cmpx_ne_u32_e32 0x7f, v22
	s_cbranch_execz .LBB279_1656
; %bb.1653:                             ;   in Loop: Header=BB279_941 Depth=1
	v_dual_lshrrev_b32 v18, 3, v22 :: v_dual_bitop2_b32 v6, 7, v0 bitop3:0x40
	s_mov_b32 s17, exec_lo
	v_cmpx_gt_u32_e32 8, v22
; %bb.1654:                             ;   in Loop: Header=BB279_941 Depth=1
	s_delay_alu instid0(VALU_DEP_2) | instskip(NEXT) | instid1(VALU_DEP_1)
	v_clz_i32_u32_e32 v6, v6
	v_min_u32_e32 v6, 32, v6
	s_delay_alu instid0(VALU_DEP_1) | instskip(NEXT) | instid1(VALU_DEP_1)
	v_subrev_nc_u32_e32 v18, 28, v6
	v_lshlrev_b64_e32 v[22:23], v18, v[0:1]
	v_sub_nc_u32_e32 v18, 29, v6
	s_delay_alu instid0(VALU_DEP_2)
	v_and_b32_e32 v6, 7, v22
; %bb.1655:                             ;   in Loop: Header=BB279_941 Depth=1
	s_or_b32 exec_lo, exec_lo, s17
	s_delay_alu instid0(VALU_DEP_1) | instskip(NEXT) | instid1(VALU_DEP_3)
	v_dual_lshlrev_b32 v0, 8, v0 :: v_dual_lshlrev_b32 v6, 7, v6
	v_lshl_add_u32 v18, v18, 10, 0x2000
	s_delay_alu instid0(VALU_DEP_2) | instskip(NEXT) | instid1(VALU_DEP_2)
	v_and_b32_e32 v0, 0x8000, v0
	v_and_b32_e32 v18, 0xfc00, v18
	s_delay_alu instid0(VALU_DEP_1)
	v_or3_b32 v18, v0, v18, v6
.LBB279_1656:                           ;   in Loop: Header=BB279_941 Depth=1
	s_or_b32 exec_lo, exec_lo, s16
.LBB279_1657:                           ;   in Loop: Header=BB279_941 Depth=1
	s_delay_alu instid0(SALU_CYCLE_1)
	s_or_b32 exec_lo, exec_lo, s15
.LBB279_1658:                           ;   in Loop: Header=BB279_941 Depth=1
	s_delay_alu instid0(SALU_CYCLE_1)
	s_or_b32 exec_lo, exec_lo, s14
	v_mov_b32_e32 v0, 0
	s_mov_b32 s14, exec_lo
	v_cmpx_lt_u64_e64 s[2:3], v[38:39]
	s_cbranch_execz .LBB279_1666
; %bb.1659:                             ;   in Loop: Header=BB279_941 Depth=1
	v_lshrrev_b32_e32 v6, 24, v39
	v_bfrev_b32_e32 v0, 1
	s_mov_b32 s15, exec_lo
	s_delay_alu instid0(VALU_DEP_2)
	v_cmpx_ne_u32_e32 0x80, v6
	s_cbranch_execz .LBB279_1665
; %bb.1660:                             ;   in Loop: Header=BB279_941 Depth=1
	v_and_b32_e32 v23, 0x7f, v6
	v_mov_b32_e32 v0, 0x7c010000
	s_mov_b32 s16, exec_lo
	s_delay_alu instid0(VALU_DEP_2)
	v_cmpx_ne_u32_e32 0x7f, v23
	s_cbranch_execz .LBB279_1664
; %bb.1661:                             ;   in Loop: Header=BB279_941 Depth=1
	v_dual_lshrrev_b32 v22, 3, v23 :: v_dual_bitop2_b32 v0, 7, v6 bitop3:0x40
	s_mov_b32 s17, exec_lo
	v_cmpx_gt_u32_e32 8, v23
; %bb.1662:                             ;   in Loop: Header=BB279_941 Depth=1
	s_delay_alu instid0(VALU_DEP_2) | instskip(NEXT) | instid1(VALU_DEP_1)
	v_clz_i32_u32_e32 v0, v0
	v_min_u32_e32 v0, 32, v0
	s_delay_alu instid0(VALU_DEP_1) | instskip(NEXT) | instid1(VALU_DEP_1)
	v_subrev_nc_u32_e32 v22, 28, v0
	v_lshlrev_b64_e32 v[38:39], v22, v[6:7]
	s_delay_alu instid0(VALU_DEP_1)
	v_dual_sub_nc_u32 v22, 29, v0 :: v_dual_bitop2_b32 v0, 7, v38 bitop3:0x40
; %bb.1663:                             ;   in Loop: Header=BB279_941 Depth=1
	s_or_b32 exec_lo, exec_lo, s17
	s_delay_alu instid0(VALU_DEP_1) | instskip(NEXT) | instid1(VALU_DEP_2)
	v_dual_lshlrev_b32 v6, 8, v6 :: v_dual_lshlrev_b32 v0, 23, v0
	v_lshl_add_u32 v22, v22, 10, 0x2000
	s_delay_alu instid0(VALU_DEP_1) | instskip(NEXT) | instid1(VALU_DEP_1)
	v_and_or_b32 v6, 0x8000, v6, v22
	v_lshl_or_b32 v0, v6, 16, v0
.LBB279_1664:                           ;   in Loop: Header=BB279_941 Depth=1
	s_or_b32 exec_lo, exec_lo, s16
.LBB279_1665:                           ;   in Loop: Header=BB279_941 Depth=1
	s_delay_alu instid0(SALU_CYCLE_1)
	s_or_b32 exec_lo, exec_lo, s15
.LBB279_1666:                           ;   in Loop: Header=BB279_941 Depth=1
	s_delay_alu instid0(SALU_CYCLE_1) | instskip(SKIP_2) | instid1(VALU_DEP_2)
	s_or_b32 exec_lo, exec_lo, s14
	v_dual_lshrrev_b32 v6, 16, v1 :: v_dual_bitop2_b32 v1, v1, v8 bitop3:0x54
	v_dual_lshrrev_b32 v22, 16, v9 :: v_dual_bitop2_b32 v16, v9, v16 bitop3:0x54
	v_cvt_f32_f16_e32 v9, v6
	v_dual_lshrrev_b32 v18, 16, v19 :: v_dual_bitop2_b32 v6, v0, v18 bitop3:0x54
	s_delay_alu instid0(VALU_DEP_3)
	v_cvt_f32_f16_e32 v8, v22
	v_dual_lshrrev_b32 v22, 16, v0 :: v_dual_bitop2_b32 v19, v19, v17 bitop3:0x54
	v_cvt_f32_f16_e32 v0, v16
	v_cvt_f32_f16_e32 v1, v1
	s_wait_loadcnt_dscnt 0x0
	v_pk_mul_f32 v[8:9], v[36:37], v[8:9] op_sel_hi:[0,1]
	v_cvt_f32_f16_e32 v17, v18
	v_cvt_f32_f16_e32 v16, v22
	;; [unrolled: 1-line block ×4, first 2 shown]
	v_pk_mul_f32 v[0:1], v[36:37], v[0:1] op_sel_hi:[0,1]
	v_cvt_pk_f16_f32 v6, v8, v9
	v_pk_mul_f32 v[8:9], v[36:37], v[16:17] op_sel_hi:[0,1]
	s_delay_alu instid0(VALU_DEP_4) | instskip(NEXT) | instid1(VALU_DEP_4)
	v_pk_mul_f32 v[16:17], v[36:37], v[18:19] op_sel_hi:[0,1]
	v_cvt_pk_f16_f32 v0, v0, v1
	s_delay_alu instid0(VALU_DEP_4) | instskip(NEXT) | instid1(VALU_DEP_4)
	v_and_b32_e32 v19, 0xffff0000, v6
	v_cvt_pk_f16_f32 v8, v8, v9
	v_lshlrev_b32_e32 v36, 16, v6
	v_cvt_pk_f16_f32 v6, v16, v17
	v_lshrrev_b32_e32 v49, 16, v0
	v_and_b32_e32 v50, 0xffff, v0
	v_and_b32_e32 v1, 0xffff0000, v8
	s_delay_alu instid0(VALU_DEP_4) | instskip(SKIP_3) | instid1(VALU_DEP_4)
	v_dual_lshlrev_b32 v0, 16, v8 :: v_dual_lshrrev_b32 v9, 16, v6
	v_and_b32_e32 v6, 0xffff, v6
	v_or_b32_e32 v39, v19, v49
	v_or_b32_e32 v48, v36, v50
	;; [unrolled: 1-line block ×3, first 2 shown]
	s_delay_alu instid0(VALU_DEP_4)
	v_or_b32_e32 v38, v0, v6
	s_and_saveexec_b32 s14, vcc_lo
	s_cbranch_execz .LBB279_1668
; %bb.1667:                             ;   in Loop: Header=BB279_941 Depth=1
	v_cmp_lt_i32_e64 s0, v67, v13
	s_delay_alu instid0(VALU_DEP_1) | instskip(SKIP_1) | instid1(VALU_DEP_1)
	v_cndmask_b32_e64 v8, 0, v49, s0
	v_cmp_lt_i32_e64 s0, v82, v12
	v_cndmask_b32_e64 v16, 0, v50, s0
	v_cmp_lt_i32_e64 s0, v81, v13
	s_delay_alu instid0(VALU_DEP_1) | instskip(SKIP_1) | instid1(VALU_DEP_1)
	v_cndmask_b32_e64 v17, 0, v19, s0
	v_cmp_lt_i32_e64 s0, v80, v12
	v_cndmask_b32_e64 v18, 0, v36, s0
	v_cmp_lt_i32_e64 s0, v71, v13
	s_delay_alu instid0(VALU_DEP_4) | instskip(NEXT) | instid1(VALU_DEP_2)
	v_or_b32_e32 v39, v8, v17
	v_dual_cndmask_b32 v9, 0, v9, s0 :: v_dual_bitop2_b32 v48, v16, v18 bitop3:0x54
	v_cmp_lt_i32_e64 s0, v70, v12
	s_delay_alu instid0(VALU_DEP_1) | instskip(SKIP_1) | instid1(VALU_DEP_1)
	v_cndmask_b32_e64 v6, 0, v6, s0
	v_cmp_lt_i32_e64 s0, v69, v13
	v_cndmask_b32_e64 v1, 0, v1, s0
	v_cmp_lt_i32_e64 s0, v68, v12
	s_delay_alu instid0(VALU_DEP_1) | instskip(NEXT) | instid1(VALU_DEP_1)
	v_dual_cndmask_b32 v0, 0, v0, s0 :: v_dual_bitop2_b32 v37, v9, v1 bitop3:0x54
	v_or_b32_e32 v38, v6, v0
.LBB279_1668:                           ;   in Loop: Header=BB279_941 Depth=1
	s_or_b32 exec_lo, exec_lo, s14
	;;#ASMSTART
	v_pk_mul_f16 v0, v87, v39;

	;;#ASMEND
	;;#ASMSTART
	v_pk_mul_f16 v1, v85, v48;

	;;#ASMEND
	;; [unrolled: 4-line block ×4, first 2 shown]
	;;#ASMSTART
	v_pk_add_f16 v0, v0, v1;

	;;#ASMEND
	;;#ASMSTART
	v_pk_add_f16 v0, v0, v6;

	;;#ASMEND
	;;#ASMSTART
	v_pk_add_f16 v0, v0, v8;

	;;#ASMEND
	v_and_b32_e32 v1, 0xffff, v0
	v_lshrrev_b32_e32 v0, 16, v0
	;;#ASMSTART
	v_cvt_f32_f16 v43, v1;
	;;#ASMEND
	;;#ASMSTART
	v_cvt_f32_f16 v44, v0;
	;;#ASMEND
	flat_load_b64 v[38:39], v[28:29] offset:2816
	scratch_load_b64 v[0:1], off, s32 offset:192 ; 8-byte Folded Reload
	v_mov_b32_e32 v8, 0
	s_mov_b32 s14, exec_lo
	s_wait_loadcnt 0x0
	flat_load_b32 v36, v[0:1]
	s_wait_dscnt 0x1
	s_wait_xcnt 0x0
	v_and_b32_e32 v0, 0xff, v38
	v_mov_b32_e32 v1, 0
	s_delay_alu instid0(VALU_DEP_2)
	v_cmpx_ne_u16_e32 0, v0
	s_cbranch_execz .LBB279_1676
; %bb.1669:                             ;   in Loop: Header=BB279_941 Depth=1
	v_mov_b32_e32 v8, 0x8000
	s_mov_b32 s15, exec_lo
	v_cmpx_ne_u16_e32 0x80, v0
	s_cbranch_execz .LBB279_1675
; %bb.1670:                             ;   in Loop: Header=BB279_941 Depth=1
	v_and_b32_e32 v9, 0x7f, v38
	v_mov_b32_e32 v8, 0x7c01
	s_mov_b32 s16, exec_lo
	s_delay_alu instid0(VALU_DEP_2)
	v_cmpx_ne_u32_e32 0x7f, v9
	s_cbranch_execz .LBB279_1674
; %bb.1671:                             ;   in Loop: Header=BB279_941 Depth=1
	v_dual_lshrrev_b32 v6, 3, v9 :: v_dual_bitop2_b32 v0, 7, v38 bitop3:0x40
	s_mov_b32 s17, exec_lo
	v_cmpx_gt_u32_e32 8, v9
; %bb.1672:                             ;   in Loop: Header=BB279_941 Depth=1
	s_delay_alu instid0(VALU_DEP_2) | instskip(NEXT) | instid1(VALU_DEP_1)
	v_clz_i32_u32_e32 v0, v0
	v_min_u32_e32 v0, 32, v0
	s_delay_alu instid0(VALU_DEP_1) | instskip(NEXT) | instid1(VALU_DEP_1)
	v_subrev_nc_u32_e32 v6, 28, v0
	v_lshlrev_b64_e32 v[8:9], v6, v[38:39]
	v_sub_nc_u32_e32 v6, 29, v0
	s_delay_alu instid0(VALU_DEP_2)
	v_and_b32_e32 v0, 7, v8
; %bb.1673:                             ;   in Loop: Header=BB279_941 Depth=1
	s_or_b32 exec_lo, exec_lo, s17
	s_delay_alu instid0(VALU_DEP_1) | instskip(NEXT) | instid1(VALU_DEP_3)
	v_dual_lshlrev_b32 v8, 8, v38 :: v_dual_lshlrev_b32 v0, 7, v0
	v_lshl_add_u32 v6, v6, 10, 0x2000
	s_delay_alu instid0(VALU_DEP_2) | instskip(NEXT) | instid1(VALU_DEP_2)
	v_and_b32_e32 v8, 0x8000, v8
	v_and_b32_e32 v6, 0xfc00, v6
	s_delay_alu instid0(VALU_DEP_1)
	v_or3_b32 v8, v8, v6, v0
.LBB279_1674:                           ;   in Loop: Header=BB279_941 Depth=1
	s_or_b32 exec_lo, exec_lo, s16
.LBB279_1675:                           ;   in Loop: Header=BB279_941 Depth=1
	s_delay_alu instid0(SALU_CYCLE_1)
	s_or_b32 exec_lo, exec_lo, s15
.LBB279_1676:                           ;   in Loop: Header=BB279_941 Depth=1
	s_delay_alu instid0(SALU_CYCLE_1) | instskip(SKIP_2) | instid1(VALU_DEP_1)
	s_or_b32 exec_lo, exec_lo, s14
	v_lshrrev_b16 v6, 8, v38
	s_mov_b32 s14, exec_lo
	v_cmpx_ne_u16_e32 0, v6
	s_cbranch_execz .LBB279_1684
; %bb.1677:                             ;   in Loop: Header=BB279_941 Depth=1
	v_bfrev_b32_e32 v1, 1
	s_mov_b32 s15, exec_lo
	v_cmpx_ne_u16_e32 0x80, v6
	s_cbranch_execz .LBB279_1683
; %bb.1678:                             ;   in Loop: Header=BB279_941 Depth=1
	v_and_b32_e32 v0, 0xffff, v6
	v_mov_b32_e32 v1, 0x7c010000
	s_mov_b32 s16, exec_lo
	s_delay_alu instid0(VALU_DEP_2) | instskip(NEXT) | instid1(VALU_DEP_1)
	v_and_b32_e32 v16, 0x7f, v0
	v_cmpx_ne_u32_e32 0x7f, v16
	s_cbranch_execz .LBB279_1682
; %bb.1679:                             ;   in Loop: Header=BB279_941 Depth=1
	v_and_b32_e32 v1, 7, v0
	v_lshrrev_b32_e32 v9, 3, v16
	s_mov_b32 s17, exec_lo
	v_cmpx_gt_u32_e32 8, v16
; %bb.1680:                             ;   in Loop: Header=BB279_941 Depth=1
	s_delay_alu instid0(VALU_DEP_3) | instskip(NEXT) | instid1(VALU_DEP_1)
	v_clz_i32_u32_e32 v1, v1
	v_min_u32_e32 v1, 32, v1
	s_delay_alu instid0(VALU_DEP_1) | instskip(NEXT) | instid1(VALU_DEP_1)
	v_subrev_nc_u32_e32 v9, 28, v1
	v_lshlrev_b64_e32 v[16:17], v9, v[6:7]
	s_delay_alu instid0(VALU_DEP_1)
	v_dual_sub_nc_u32 v9, 29, v1 :: v_dual_bitop2_b32 v1, 7, v16 bitop3:0x40
; %bb.1681:                             ;   in Loop: Header=BB279_941 Depth=1
	s_or_b32 exec_lo, exec_lo, s17
	s_delay_alu instid0(VALU_DEP_1) | instskip(NEXT) | instid1(VALU_DEP_2)
	v_dual_lshlrev_b32 v0, 8, v0 :: v_dual_lshlrev_b32 v1, 23, v1
	v_lshl_add_u32 v6, v9, 10, 0x2000
	s_delay_alu instid0(VALU_DEP_1) | instskip(NEXT) | instid1(VALU_DEP_1)
	v_and_or_b32 v0, 0x8000, v0, v6
	v_lshl_or_b32 v1, v0, 16, v1
.LBB279_1682:                           ;   in Loop: Header=BB279_941 Depth=1
	s_or_b32 exec_lo, exec_lo, s16
.LBB279_1683:                           ;   in Loop: Header=BB279_941 Depth=1
	s_delay_alu instid0(SALU_CYCLE_1)
	s_or_b32 exec_lo, exec_lo, s15
.LBB279_1684:                           ;   in Loop: Header=BB279_941 Depth=1
	s_delay_alu instid0(SALU_CYCLE_1) | instskip(SKIP_3) | instid1(VALU_DEP_2)
	s_or_b32 exec_lo, exec_lo, s14
	v_dual_mov_b32 v9, 0 :: v_dual_lshrrev_b32 v0, 16, v38
	v_mov_b32_e32 v16, 0
	s_mov_b32 s14, exec_lo
	v_and_b32_e32 v6, 0xff, v0
	s_delay_alu instid0(VALU_DEP_1)
	v_cmpx_ne_u16_e32 0, v6
	s_cbranch_execz .LBB279_1692
; %bb.1685:                             ;   in Loop: Header=BB279_941 Depth=1
	v_mov_b32_e32 v16, 0x8000
	s_mov_b32 s15, exec_lo
	v_cmpx_ne_u16_e32 0x80, v6
	s_cbranch_execz .LBB279_1691
; %bb.1686:                             ;   in Loop: Header=BB279_941 Depth=1
	v_bfe_u32 v17, v38, 16, 7
	v_mov_b32_e32 v16, 0x7c01
	s_mov_b32 s16, exec_lo
	s_delay_alu instid0(VALU_DEP_2)
	v_cmpx_ne_u32_e32 0x7f, v17
	s_cbranch_execz .LBB279_1690
; %bb.1687:                             ;   in Loop: Header=BB279_941 Depth=1
	v_dual_lshrrev_b32 v16, 3, v17 :: v_dual_bitop2_b32 v6, 7, v0 bitop3:0x40
	s_mov_b32 s17, exec_lo
	v_cmpx_gt_u32_e32 8, v17
; %bb.1688:                             ;   in Loop: Header=BB279_941 Depth=1
	s_delay_alu instid0(VALU_DEP_2) | instskip(NEXT) | instid1(VALU_DEP_1)
	v_clz_i32_u32_e32 v6, v6
	v_min_u32_e32 v6, 32, v6
	s_delay_alu instid0(VALU_DEP_1) | instskip(NEXT) | instid1(VALU_DEP_1)
	v_subrev_nc_u32_e32 v16, 28, v6
	v_lshlrev_b64_e32 v[18:19], v16, v[0:1]
	v_sub_nc_u32_e32 v16, 29, v6
	s_delay_alu instid0(VALU_DEP_2)
	v_and_b32_e32 v6, 7, v18
; %bb.1689:                             ;   in Loop: Header=BB279_941 Depth=1
	s_or_b32 exec_lo, exec_lo, s17
	s_delay_alu instid0(VALU_DEP_1) | instskip(NEXT) | instid1(VALU_DEP_3)
	v_dual_lshlrev_b32 v0, 8, v0 :: v_dual_lshlrev_b32 v6, 7, v6
	v_lshl_add_u32 v16, v16, 10, 0x2000
	s_delay_alu instid0(VALU_DEP_2) | instskip(NEXT) | instid1(VALU_DEP_2)
	v_and_b32_e32 v0, 0x8000, v0
	v_and_b32_e32 v16, 0xfc00, v16
	s_delay_alu instid0(VALU_DEP_1)
	v_or3_b32 v16, v0, v16, v6
.LBB279_1690:                           ;   in Loop: Header=BB279_941 Depth=1
	s_or_b32 exec_lo, exec_lo, s16
.LBB279_1691:                           ;   in Loop: Header=BB279_941 Depth=1
	s_delay_alu instid0(SALU_CYCLE_1)
	s_or_b32 exec_lo, exec_lo, s15
.LBB279_1692:                           ;   in Loop: Header=BB279_941 Depth=1
	s_delay_alu instid0(SALU_CYCLE_1) | instskip(NEXT) | instid1(SALU_CYCLE_1)
	s_or_b32 exec_lo, exec_lo, s14
	s_mov_b32 s14, exec_lo
	v_cmpx_lt_u32_e32 0xffffff, v38
	s_cbranch_execz .LBB279_1700
; %bb.1693:                             ;   in Loop: Header=BB279_941 Depth=1
	v_lshrrev_b32_e32 v6, 24, v38
	v_bfrev_b32_e32 v9, 1
	s_mov_b32 s15, exec_lo
	s_delay_alu instid0(VALU_DEP_2)
	v_cmpx_ne_u32_e32 0x80, v6
	s_cbranch_execz .LBB279_1699
; %bb.1694:                             ;   in Loop: Header=BB279_941 Depth=1
	v_and_b32_e32 v17, 0x7f, v6
	v_mov_b32_e32 v9, 0x7c010000
	s_mov_b32 s16, exec_lo
	s_delay_alu instid0(VALU_DEP_2)
	v_cmpx_ne_u32_e32 0x7f, v17
	s_cbranch_execz .LBB279_1698
; %bb.1695:                             ;   in Loop: Header=BB279_941 Depth=1
	v_dual_lshrrev_b32 v9, 3, v17 :: v_dual_bitop2_b32 v0, 7, v6 bitop3:0x40
	s_mov_b32 s17, exec_lo
	v_cmpx_gt_u32_e32 8, v17
; %bb.1696:                             ;   in Loop: Header=BB279_941 Depth=1
	s_delay_alu instid0(VALU_DEP_2) | instskip(NEXT) | instid1(VALU_DEP_1)
	v_clz_i32_u32_e32 v0, v0
	v_min_u32_e32 v0, 32, v0
	s_delay_alu instid0(VALU_DEP_1) | instskip(NEXT) | instid1(VALU_DEP_1)
	v_subrev_nc_u32_e32 v9, 28, v0
	v_lshlrev_b64_e32 v[18:19], v9, v[6:7]
	s_delay_alu instid0(VALU_DEP_1)
	v_dual_sub_nc_u32 v9, 29, v0 :: v_dual_bitop2_b32 v0, 7, v18 bitop3:0x40
; %bb.1697:                             ;   in Loop: Header=BB279_941 Depth=1
	s_or_b32 exec_lo, exec_lo, s17
	s_delay_alu instid0(VALU_DEP_1) | instskip(NEXT) | instid1(VALU_DEP_2)
	v_dual_lshlrev_b32 v6, 8, v6 :: v_dual_lshlrev_b32 v0, 23, v0
	v_lshl_add_u32 v9, v9, 10, 0x2000
	s_delay_alu instid0(VALU_DEP_1) | instskip(NEXT) | instid1(VALU_DEP_1)
	v_and_or_b32 v6, 0x8000, v6, v9
	v_lshl_or_b32 v9, v6, 16, v0
.LBB279_1698:                           ;   in Loop: Header=BB279_941 Depth=1
	s_or_b32 exec_lo, exec_lo, s16
.LBB279_1699:                           ;   in Loop: Header=BB279_941 Depth=1
	s_delay_alu instid0(SALU_CYCLE_1)
	s_or_b32 exec_lo, exec_lo, s15
.LBB279_1700:                           ;   in Loop: Header=BB279_941 Depth=1
	s_delay_alu instid0(SALU_CYCLE_1) | instskip(SKIP_4) | instid1(VALU_DEP_3)
	s_or_b32 exec_lo, exec_lo, s14
	v_and_b32_e32 v0, 0xff, v39
	v_dual_mov_b32 v6, v39 :: v_dual_mov_b32 v18, 0
	v_mov_b32_e32 v17, 0
	s_mov_b32 s14, exec_lo
	v_cmpx_ne_u16_e32 0, v0
	s_cbranch_execz .LBB279_1708
; %bb.1701:                             ;   in Loop: Header=BB279_941 Depth=1
	v_mov_b32_e32 v17, 0x8000
	s_mov_b32 s15, exec_lo
	v_cmpx_ne_u16_e32 0x80, v0
	s_cbranch_execz .LBB279_1707
; %bb.1702:                             ;   in Loop: Header=BB279_941 Depth=1
	v_and_b32_e32 v19, 0x7f, v39
	v_mov_b32_e32 v17, 0x7c01
	s_mov_b32 s16, exec_lo
	s_delay_alu instid0(VALU_DEP_2)
	v_cmpx_ne_u32_e32 0x7f, v19
	s_cbranch_execz .LBB279_1706
; %bb.1703:                             ;   in Loop: Header=BB279_941 Depth=1
	v_and_b32_e32 v0, 7, v39
	v_lshrrev_b32_e32 v17, 3, v19
	s_mov_b32 s17, exec_lo
	v_cmpx_gt_u32_e32 8, v19
; %bb.1704:                             ;   in Loop: Header=BB279_941 Depth=1
	s_delay_alu instid0(VALU_DEP_3) | instskip(NEXT) | instid1(VALU_DEP_1)
	v_clz_i32_u32_e32 v0, v0
	v_min_u32_e32 v0, 32, v0
	s_delay_alu instid0(VALU_DEP_1) | instskip(NEXT) | instid1(VALU_DEP_1)
	v_subrev_nc_u32_e32 v17, 28, v0
	v_lshlrev_b64_e32 v[22:23], v17, v[6:7]
	s_delay_alu instid0(VALU_DEP_1)
	v_dual_sub_nc_u32 v17, 29, v0 :: v_dual_bitop2_b32 v0, 7, v22 bitop3:0x40
; %bb.1705:                             ;   in Loop: Header=BB279_941 Depth=1
	s_or_b32 exec_lo, exec_lo, s17
	s_delay_alu instid0(VALU_DEP_1) | instskip(NEXT) | instid1(VALU_DEP_2)
	v_dual_lshlrev_b32 v19, 8, v39 :: v_dual_lshlrev_b32 v0, 7, v0
	v_lshl_add_u32 v17, v17, 10, 0x2000
	s_delay_alu instid0(VALU_DEP_2) | instskip(NEXT) | instid1(VALU_DEP_2)
	v_and_b32_e32 v19, 0x8000, v19
	v_and_b32_e32 v17, 0xfc00, v17
	s_delay_alu instid0(VALU_DEP_1)
	v_or3_b32 v17, v19, v17, v0
.LBB279_1706:                           ;   in Loop: Header=BB279_941 Depth=1
	s_or_b32 exec_lo, exec_lo, s16
.LBB279_1707:                           ;   in Loop: Header=BB279_941 Depth=1
	s_delay_alu instid0(SALU_CYCLE_1)
	s_or_b32 exec_lo, exec_lo, s15
.LBB279_1708:                           ;   in Loop: Header=BB279_941 Depth=1
	s_delay_alu instid0(SALU_CYCLE_1) | instskip(SKIP_3) | instid1(VALU_DEP_2)
	s_or_b32 exec_lo, exec_lo, s14
	v_lshrrev_b16 v6, 8, v6
	v_mov_b32_e32 v19, 0
	s_mov_b32 s14, exec_lo
	v_cmpx_ne_u16_e32 0, v6
	s_cbranch_execz .LBB279_1716
; %bb.1709:                             ;   in Loop: Header=BB279_941 Depth=1
	v_bfrev_b32_e32 v19, 1
	s_mov_b32 s15, exec_lo
	v_cmpx_ne_u16_e32 0x80, v6
	s_cbranch_execz .LBB279_1715
; %bb.1710:                             ;   in Loop: Header=BB279_941 Depth=1
	v_and_b32_e32 v0, 0xffff, v6
	v_mov_b32_e32 v19, 0x7c010000
	s_mov_b32 s16, exec_lo
	s_delay_alu instid0(VALU_DEP_2) | instskip(NEXT) | instid1(VALU_DEP_1)
	v_and_b32_e32 v23, 0x7f, v0
	v_cmpx_ne_u32_e32 0x7f, v23
	s_cbranch_execz .LBB279_1714
; %bb.1711:                             ;   in Loop: Header=BB279_941 Depth=1
	v_dual_lshrrev_b32 v22, 3, v23 :: v_dual_bitop2_b32 v19, 7, v0 bitop3:0x40
	s_mov_b32 s17, exec_lo
	v_cmpx_gt_u32_e32 8, v23
; %bb.1712:                             ;   in Loop: Header=BB279_941 Depth=1
	s_delay_alu instid0(VALU_DEP_2) | instskip(NEXT) | instid1(VALU_DEP_1)
	v_clz_i32_u32_e32 v19, v19
	v_min_u32_e32 v19, 32, v19
	s_delay_alu instid0(VALU_DEP_1) | instskip(NEXT) | instid1(VALU_DEP_1)
	v_subrev_nc_u32_e32 v22, 28, v19
	v_lshlrev_b64_e32 v[48:49], v22, v[6:7]
	s_delay_alu instid0(VALU_DEP_1)
	v_dual_sub_nc_u32 v22, 29, v19 :: v_dual_bitop2_b32 v19, 7, v48 bitop3:0x40
; %bb.1713:                             ;   in Loop: Header=BB279_941 Depth=1
	s_or_b32 exec_lo, exec_lo, s17
	v_lshlrev_b32_e32 v0, 8, v0
	s_delay_alu instid0(VALU_DEP_2) | instskip(NEXT) | instid1(VALU_DEP_1)
	v_lshl_add_u32 v6, v22, 10, 0x2000
	v_and_or_b32 v0, 0x8000, v0, v6
	v_lshlrev_b32_e32 v6, 23, v19
	s_delay_alu instid0(VALU_DEP_1)
	v_lshl_or_b32 v19, v0, 16, v6
.LBB279_1714:                           ;   in Loop: Header=BB279_941 Depth=1
	s_or_b32 exec_lo, exec_lo, s16
.LBB279_1715:                           ;   in Loop: Header=BB279_941 Depth=1
	s_delay_alu instid0(SALU_CYCLE_1)
	s_or_b32 exec_lo, exec_lo, s15
.LBB279_1716:                           ;   in Loop: Header=BB279_941 Depth=1
	s_delay_alu instid0(SALU_CYCLE_1) | instskip(SKIP_2) | instid1(VALU_DEP_1)
	s_or_b32 exec_lo, exec_lo, s14
	v_lshrrev_b32_e32 v0, 16, v39
	s_mov_b32 s14, exec_lo
	v_and_b32_e32 v6, 0xff, v0
	s_delay_alu instid0(VALU_DEP_1)
	v_cmpx_ne_u16_e32 0, v6
	s_cbranch_execz .LBB279_1724
; %bb.1717:                             ;   in Loop: Header=BB279_941 Depth=1
	v_mov_b32_e32 v18, 0x8000
	s_mov_b32 s15, exec_lo
	v_cmpx_ne_u16_e32 0x80, v6
	s_cbranch_execz .LBB279_1723
; %bb.1718:                             ;   in Loop: Header=BB279_941 Depth=1
	v_bfe_u32 v22, v39, 16, 7
	v_mov_b32_e32 v18, 0x7c01
	s_mov_b32 s16, exec_lo
	s_delay_alu instid0(VALU_DEP_2)
	v_cmpx_ne_u32_e32 0x7f, v22
	s_cbranch_execz .LBB279_1722
; %bb.1719:                             ;   in Loop: Header=BB279_941 Depth=1
	v_dual_lshrrev_b32 v18, 3, v22 :: v_dual_bitop2_b32 v6, 7, v0 bitop3:0x40
	s_mov_b32 s17, exec_lo
	v_cmpx_gt_u32_e32 8, v22
; %bb.1720:                             ;   in Loop: Header=BB279_941 Depth=1
	s_delay_alu instid0(VALU_DEP_2) | instskip(NEXT) | instid1(VALU_DEP_1)
	v_clz_i32_u32_e32 v6, v6
	v_min_u32_e32 v6, 32, v6
	s_delay_alu instid0(VALU_DEP_1) | instskip(NEXT) | instid1(VALU_DEP_1)
	v_subrev_nc_u32_e32 v18, 28, v6
	v_lshlrev_b64_e32 v[22:23], v18, v[0:1]
	v_sub_nc_u32_e32 v18, 29, v6
	s_delay_alu instid0(VALU_DEP_2)
	v_and_b32_e32 v6, 7, v22
; %bb.1721:                             ;   in Loop: Header=BB279_941 Depth=1
	s_or_b32 exec_lo, exec_lo, s17
	s_delay_alu instid0(VALU_DEP_1) | instskip(NEXT) | instid1(VALU_DEP_3)
	v_dual_lshlrev_b32 v0, 8, v0 :: v_dual_lshlrev_b32 v6, 7, v6
	v_lshl_add_u32 v18, v18, 10, 0x2000
	s_delay_alu instid0(VALU_DEP_2) | instskip(NEXT) | instid1(VALU_DEP_2)
	v_and_b32_e32 v0, 0x8000, v0
	v_and_b32_e32 v18, 0xfc00, v18
	s_delay_alu instid0(VALU_DEP_1)
	v_or3_b32 v18, v0, v18, v6
.LBB279_1722:                           ;   in Loop: Header=BB279_941 Depth=1
	s_or_b32 exec_lo, exec_lo, s16
.LBB279_1723:                           ;   in Loop: Header=BB279_941 Depth=1
	s_delay_alu instid0(SALU_CYCLE_1)
	s_or_b32 exec_lo, exec_lo, s15
.LBB279_1724:                           ;   in Loop: Header=BB279_941 Depth=1
	s_delay_alu instid0(SALU_CYCLE_1)
	s_or_b32 exec_lo, exec_lo, s14
	v_mov_b32_e32 v0, 0
	s_mov_b32 s14, exec_lo
	v_cmpx_lt_u64_e64 s[2:3], v[38:39]
	s_cbranch_execz .LBB279_1732
; %bb.1725:                             ;   in Loop: Header=BB279_941 Depth=1
	v_lshrrev_b32_e32 v6, 24, v39
	v_bfrev_b32_e32 v0, 1
	s_mov_b32 s15, exec_lo
	s_delay_alu instid0(VALU_DEP_2)
	v_cmpx_ne_u32_e32 0x80, v6
	s_cbranch_execz .LBB279_1731
; %bb.1726:                             ;   in Loop: Header=BB279_941 Depth=1
	v_and_b32_e32 v23, 0x7f, v6
	v_mov_b32_e32 v0, 0x7c010000
	s_mov_b32 s16, exec_lo
	s_delay_alu instid0(VALU_DEP_2)
	v_cmpx_ne_u32_e32 0x7f, v23
	s_cbranch_execz .LBB279_1730
; %bb.1727:                             ;   in Loop: Header=BB279_941 Depth=1
	v_dual_lshrrev_b32 v22, 3, v23 :: v_dual_bitop2_b32 v0, 7, v6 bitop3:0x40
	s_mov_b32 s17, exec_lo
	v_cmpx_gt_u32_e32 8, v23
; %bb.1728:                             ;   in Loop: Header=BB279_941 Depth=1
	s_delay_alu instid0(VALU_DEP_2) | instskip(NEXT) | instid1(VALU_DEP_1)
	v_clz_i32_u32_e32 v0, v0
	v_min_u32_e32 v0, 32, v0
	s_delay_alu instid0(VALU_DEP_1) | instskip(NEXT) | instid1(VALU_DEP_1)
	v_subrev_nc_u32_e32 v22, 28, v0
	v_lshlrev_b64_e32 v[38:39], v22, v[6:7]
	s_delay_alu instid0(VALU_DEP_1)
	v_dual_sub_nc_u32 v22, 29, v0 :: v_dual_bitop2_b32 v0, 7, v38 bitop3:0x40
; %bb.1729:                             ;   in Loop: Header=BB279_941 Depth=1
	s_or_b32 exec_lo, exec_lo, s17
	s_delay_alu instid0(VALU_DEP_1) | instskip(NEXT) | instid1(VALU_DEP_2)
	v_dual_lshlrev_b32 v6, 8, v6 :: v_dual_lshlrev_b32 v0, 23, v0
	v_lshl_add_u32 v22, v22, 10, 0x2000
	s_delay_alu instid0(VALU_DEP_1) | instskip(NEXT) | instid1(VALU_DEP_1)
	v_and_or_b32 v6, 0x8000, v6, v22
	v_lshl_or_b32 v0, v6, 16, v0
.LBB279_1730:                           ;   in Loop: Header=BB279_941 Depth=1
	s_or_b32 exec_lo, exec_lo, s16
.LBB279_1731:                           ;   in Loop: Header=BB279_941 Depth=1
	s_delay_alu instid0(SALU_CYCLE_1)
	s_or_b32 exec_lo, exec_lo, s15
.LBB279_1732:                           ;   in Loop: Header=BB279_941 Depth=1
	s_delay_alu instid0(SALU_CYCLE_1) | instskip(SKIP_2) | instid1(VALU_DEP_2)
	s_or_b32 exec_lo, exec_lo, s14
	v_dual_lshrrev_b32 v6, 16, v1 :: v_dual_bitop2_b32 v1, v1, v8 bitop3:0x54
	v_dual_lshrrev_b32 v22, 16, v9 :: v_dual_bitop2_b32 v16, v9, v16 bitop3:0x54
	v_cvt_f32_f16_e32 v9, v6
	v_dual_lshrrev_b32 v18, 16, v19 :: v_dual_bitop2_b32 v6, v0, v18 bitop3:0x54
	s_delay_alu instid0(VALU_DEP_3)
	v_cvt_f32_f16_e32 v8, v22
	v_dual_lshrrev_b32 v22, 16, v0 :: v_dual_bitop2_b32 v19, v19, v17 bitop3:0x54
	v_cvt_f32_f16_e32 v0, v16
	v_cvt_f32_f16_e32 v1, v1
	s_wait_loadcnt_dscnt 0x0
	v_pk_mul_f32 v[8:9], v[36:37], v[8:9] op_sel_hi:[0,1]
	v_cvt_f32_f16_e32 v17, v18
	v_cvt_f32_f16_e32 v16, v22
	v_cvt_f32_f16_e32 v18, v6
	v_cvt_f32_f16_e32 v19, v19
	v_pk_mul_f32 v[0:1], v[36:37], v[0:1] op_sel_hi:[0,1]
	v_cvt_pk_f16_f32 v6, v8, v9
	v_pk_mul_f32 v[8:9], v[36:37], v[16:17] op_sel_hi:[0,1]
	s_delay_alu instid0(VALU_DEP_4) | instskip(NEXT) | instid1(VALU_DEP_4)
	v_pk_mul_f32 v[16:17], v[36:37], v[18:19] op_sel_hi:[0,1]
	v_cvt_pk_f16_f32 v0, v0, v1
	s_delay_alu instid0(VALU_DEP_4) | instskip(NEXT) | instid1(VALU_DEP_4)
	v_and_b32_e32 v19, 0xffff0000, v6
	v_cvt_pk_f16_f32 v8, v8, v9
	v_lshlrev_b32_e32 v36, 16, v6
	v_cvt_pk_f16_f32 v6, v16, v17
	v_lshrrev_b32_e32 v49, 16, v0
	v_and_b32_e32 v50, 0xffff, v0
	v_and_b32_e32 v1, 0xffff0000, v8
	s_delay_alu instid0(VALU_DEP_4) | instskip(SKIP_3) | instid1(VALU_DEP_4)
	v_dual_lshlrev_b32 v0, 16, v8 :: v_dual_lshrrev_b32 v9, 16, v6
	v_and_b32_e32 v6, 0xffff, v6
	v_or_b32_e32 v39, v19, v49
	v_or_b32_e32 v48, v36, v50
	;; [unrolled: 1-line block ×3, first 2 shown]
	s_delay_alu instid0(VALU_DEP_4)
	v_or_b32_e32 v38, v0, v6
	s_and_saveexec_b32 s14, vcc_lo
	s_cbranch_execz .LBB279_1734
; %bb.1733:                             ;   in Loop: Header=BB279_941 Depth=1
	v_cmp_lt_i32_e64 s0, v67, v13
	s_delay_alu instid0(VALU_DEP_1) | instskip(SKIP_1) | instid1(VALU_DEP_1)
	v_cndmask_b32_e64 v8, 0, v49, s0
	v_cmp_lt_i32_e64 s0, v82, v12
	v_cndmask_b32_e64 v16, 0, v50, s0
	v_cmp_lt_i32_e64 s0, v81, v13
	s_delay_alu instid0(VALU_DEP_1) | instskip(SKIP_1) | instid1(VALU_DEP_1)
	v_cndmask_b32_e64 v17, 0, v19, s0
	v_cmp_lt_i32_e64 s0, v80, v12
	v_cndmask_b32_e64 v18, 0, v36, s0
	v_cmp_lt_i32_e64 s0, v71, v13
	s_delay_alu instid0(VALU_DEP_4) | instskip(NEXT) | instid1(VALU_DEP_2)
	v_or_b32_e32 v39, v8, v17
	v_dual_cndmask_b32 v9, 0, v9, s0 :: v_dual_bitop2_b32 v48, v16, v18 bitop3:0x54
	v_cmp_lt_i32_e64 s0, v70, v12
	s_delay_alu instid0(VALU_DEP_1) | instskip(SKIP_1) | instid1(VALU_DEP_1)
	v_cndmask_b32_e64 v6, 0, v6, s0
	v_cmp_lt_i32_e64 s0, v69, v13
	v_cndmask_b32_e64 v1, 0, v1, s0
	v_cmp_lt_i32_e64 s0, v68, v12
	s_delay_alu instid0(VALU_DEP_1) | instskip(NEXT) | instid1(VALU_DEP_1)
	v_dual_cndmask_b32 v0, 0, v0, s0 :: v_dual_bitop2_b32 v37, v9, v1 bitop3:0x54
	v_or_b32_e32 v38, v6, v0
.LBB279_1734:                           ;   in Loop: Header=BB279_941 Depth=1
	s_or_b32 exec_lo, exec_lo, s14
	;;#ASMSTART
	v_pk_mul_f16 v0, v87, v39;

	;;#ASMEND
	;;#ASMSTART
	v_pk_mul_f16 v1, v85, v48;

	;;#ASMEND
	;; [unrolled: 4-line block ×4, first 2 shown]
	;;#ASMSTART
	v_pk_add_f16 v0, v0, v1;

	;;#ASMEND
	;;#ASMSTART
	v_pk_add_f16 v0, v0, v6;

	;;#ASMEND
	;; [unrolled: 4-line block ×3, first 2 shown]
	v_and_b32_e32 v1, 0xffff, v0
	v_lshrrev_b32_e32 v0, 16, v0
	;;#ASMSTART
	v_cvt_f32_f16 v45, v1;
	;;#ASMEND
	;;#ASMSTART
	v_cvt_f32_f16 v46, v0;
	;;#ASMEND
	flat_load_b64 v[38:39], v[28:29] offset:3072
	scratch_load_b64 v[0:1], off, s32 offset:192 ; 8-byte Folded Reload
	v_mov_b32_e32 v8, 0
	s_mov_b32 s14, exec_lo
	s_wait_loadcnt 0x0
	flat_load_b32 v36, v[0:1]
	s_wait_dscnt 0x1
	s_wait_xcnt 0x0
	v_and_b32_e32 v0, 0xff, v38
	v_mov_b32_e32 v1, 0
	s_delay_alu instid0(VALU_DEP_2)
	v_cmpx_ne_u16_e32 0, v0
	s_cbranch_execz .LBB279_1742
; %bb.1735:                             ;   in Loop: Header=BB279_941 Depth=1
	v_mov_b32_e32 v8, 0x8000
	s_mov_b32 s15, exec_lo
	v_cmpx_ne_u16_e32 0x80, v0
	s_cbranch_execz .LBB279_1741
; %bb.1736:                             ;   in Loop: Header=BB279_941 Depth=1
	v_and_b32_e32 v9, 0x7f, v38
	v_mov_b32_e32 v8, 0x7c01
	s_mov_b32 s16, exec_lo
	s_delay_alu instid0(VALU_DEP_2)
	v_cmpx_ne_u32_e32 0x7f, v9
	s_cbranch_execz .LBB279_1740
; %bb.1737:                             ;   in Loop: Header=BB279_941 Depth=1
	v_dual_lshrrev_b32 v6, 3, v9 :: v_dual_bitop2_b32 v0, 7, v38 bitop3:0x40
	s_mov_b32 s17, exec_lo
	v_cmpx_gt_u32_e32 8, v9
; %bb.1738:                             ;   in Loop: Header=BB279_941 Depth=1
	s_delay_alu instid0(VALU_DEP_2) | instskip(NEXT) | instid1(VALU_DEP_1)
	v_clz_i32_u32_e32 v0, v0
	v_min_u32_e32 v0, 32, v0
	s_delay_alu instid0(VALU_DEP_1) | instskip(NEXT) | instid1(VALU_DEP_1)
	v_subrev_nc_u32_e32 v6, 28, v0
	v_lshlrev_b64_e32 v[8:9], v6, v[38:39]
	v_sub_nc_u32_e32 v6, 29, v0
	s_delay_alu instid0(VALU_DEP_2)
	v_and_b32_e32 v0, 7, v8
; %bb.1739:                             ;   in Loop: Header=BB279_941 Depth=1
	s_or_b32 exec_lo, exec_lo, s17
	s_delay_alu instid0(VALU_DEP_1) | instskip(NEXT) | instid1(VALU_DEP_3)
	v_dual_lshlrev_b32 v8, 8, v38 :: v_dual_lshlrev_b32 v0, 7, v0
	v_lshl_add_u32 v6, v6, 10, 0x2000
	s_delay_alu instid0(VALU_DEP_2) | instskip(NEXT) | instid1(VALU_DEP_2)
	v_and_b32_e32 v8, 0x8000, v8
	v_and_b32_e32 v6, 0xfc00, v6
	s_delay_alu instid0(VALU_DEP_1)
	v_or3_b32 v8, v8, v6, v0
.LBB279_1740:                           ;   in Loop: Header=BB279_941 Depth=1
	s_or_b32 exec_lo, exec_lo, s16
.LBB279_1741:                           ;   in Loop: Header=BB279_941 Depth=1
	s_delay_alu instid0(SALU_CYCLE_1)
	s_or_b32 exec_lo, exec_lo, s15
.LBB279_1742:                           ;   in Loop: Header=BB279_941 Depth=1
	s_delay_alu instid0(SALU_CYCLE_1) | instskip(SKIP_2) | instid1(VALU_DEP_1)
	s_or_b32 exec_lo, exec_lo, s14
	v_lshrrev_b16 v6, 8, v38
	s_mov_b32 s14, exec_lo
	v_cmpx_ne_u16_e32 0, v6
	s_cbranch_execz .LBB279_1750
; %bb.1743:                             ;   in Loop: Header=BB279_941 Depth=1
	v_bfrev_b32_e32 v1, 1
	s_mov_b32 s15, exec_lo
	v_cmpx_ne_u16_e32 0x80, v6
	s_cbranch_execz .LBB279_1749
; %bb.1744:                             ;   in Loop: Header=BB279_941 Depth=1
	v_and_b32_e32 v0, 0xffff, v6
	v_mov_b32_e32 v1, 0x7c010000
	s_mov_b32 s16, exec_lo
	s_delay_alu instid0(VALU_DEP_2) | instskip(NEXT) | instid1(VALU_DEP_1)
	v_and_b32_e32 v16, 0x7f, v0
	v_cmpx_ne_u32_e32 0x7f, v16
	s_cbranch_execz .LBB279_1748
; %bb.1745:                             ;   in Loop: Header=BB279_941 Depth=1
	v_and_b32_e32 v1, 7, v0
	v_lshrrev_b32_e32 v9, 3, v16
	s_mov_b32 s17, exec_lo
	v_cmpx_gt_u32_e32 8, v16
; %bb.1746:                             ;   in Loop: Header=BB279_941 Depth=1
	s_delay_alu instid0(VALU_DEP_3) | instskip(NEXT) | instid1(VALU_DEP_1)
	v_clz_i32_u32_e32 v1, v1
	v_min_u32_e32 v1, 32, v1
	s_delay_alu instid0(VALU_DEP_1) | instskip(NEXT) | instid1(VALU_DEP_1)
	v_subrev_nc_u32_e32 v9, 28, v1
	v_lshlrev_b64_e32 v[16:17], v9, v[6:7]
	s_delay_alu instid0(VALU_DEP_1)
	v_dual_sub_nc_u32 v9, 29, v1 :: v_dual_bitop2_b32 v1, 7, v16 bitop3:0x40
; %bb.1747:                             ;   in Loop: Header=BB279_941 Depth=1
	s_or_b32 exec_lo, exec_lo, s17
	s_delay_alu instid0(VALU_DEP_1) | instskip(NEXT) | instid1(VALU_DEP_2)
	v_dual_lshlrev_b32 v0, 8, v0 :: v_dual_lshlrev_b32 v1, 23, v1
	v_lshl_add_u32 v6, v9, 10, 0x2000
	s_delay_alu instid0(VALU_DEP_1) | instskip(NEXT) | instid1(VALU_DEP_1)
	v_and_or_b32 v0, 0x8000, v0, v6
	v_lshl_or_b32 v1, v0, 16, v1
.LBB279_1748:                           ;   in Loop: Header=BB279_941 Depth=1
	s_or_b32 exec_lo, exec_lo, s16
.LBB279_1749:                           ;   in Loop: Header=BB279_941 Depth=1
	s_delay_alu instid0(SALU_CYCLE_1)
	s_or_b32 exec_lo, exec_lo, s15
.LBB279_1750:                           ;   in Loop: Header=BB279_941 Depth=1
	s_delay_alu instid0(SALU_CYCLE_1) | instskip(SKIP_3) | instid1(VALU_DEP_2)
	s_or_b32 exec_lo, exec_lo, s14
	v_dual_mov_b32 v9, 0 :: v_dual_lshrrev_b32 v0, 16, v38
	v_mov_b32_e32 v16, 0
	s_mov_b32 s14, exec_lo
	v_and_b32_e32 v6, 0xff, v0
	s_delay_alu instid0(VALU_DEP_1)
	v_cmpx_ne_u16_e32 0, v6
	s_cbranch_execz .LBB279_1758
; %bb.1751:                             ;   in Loop: Header=BB279_941 Depth=1
	v_mov_b32_e32 v16, 0x8000
	s_mov_b32 s15, exec_lo
	v_cmpx_ne_u16_e32 0x80, v6
	s_cbranch_execz .LBB279_1757
; %bb.1752:                             ;   in Loop: Header=BB279_941 Depth=1
	v_bfe_u32 v17, v38, 16, 7
	v_mov_b32_e32 v16, 0x7c01
	s_mov_b32 s16, exec_lo
	s_delay_alu instid0(VALU_DEP_2)
	v_cmpx_ne_u32_e32 0x7f, v17
	s_cbranch_execz .LBB279_1756
; %bb.1753:                             ;   in Loop: Header=BB279_941 Depth=1
	v_dual_lshrrev_b32 v16, 3, v17 :: v_dual_bitop2_b32 v6, 7, v0 bitop3:0x40
	s_mov_b32 s17, exec_lo
	v_cmpx_gt_u32_e32 8, v17
; %bb.1754:                             ;   in Loop: Header=BB279_941 Depth=1
	s_delay_alu instid0(VALU_DEP_2) | instskip(NEXT) | instid1(VALU_DEP_1)
	v_clz_i32_u32_e32 v6, v6
	v_min_u32_e32 v6, 32, v6
	s_delay_alu instid0(VALU_DEP_1) | instskip(NEXT) | instid1(VALU_DEP_1)
	v_subrev_nc_u32_e32 v16, 28, v6
	v_lshlrev_b64_e32 v[18:19], v16, v[0:1]
	v_sub_nc_u32_e32 v16, 29, v6
	s_delay_alu instid0(VALU_DEP_2)
	v_and_b32_e32 v6, 7, v18
; %bb.1755:                             ;   in Loop: Header=BB279_941 Depth=1
	s_or_b32 exec_lo, exec_lo, s17
	s_delay_alu instid0(VALU_DEP_1) | instskip(NEXT) | instid1(VALU_DEP_3)
	v_dual_lshlrev_b32 v0, 8, v0 :: v_dual_lshlrev_b32 v6, 7, v6
	v_lshl_add_u32 v16, v16, 10, 0x2000
	s_delay_alu instid0(VALU_DEP_2) | instskip(NEXT) | instid1(VALU_DEP_2)
	v_and_b32_e32 v0, 0x8000, v0
	v_and_b32_e32 v16, 0xfc00, v16
	s_delay_alu instid0(VALU_DEP_1)
	v_or3_b32 v16, v0, v16, v6
.LBB279_1756:                           ;   in Loop: Header=BB279_941 Depth=1
	s_or_b32 exec_lo, exec_lo, s16
.LBB279_1757:                           ;   in Loop: Header=BB279_941 Depth=1
	s_delay_alu instid0(SALU_CYCLE_1)
	s_or_b32 exec_lo, exec_lo, s15
.LBB279_1758:                           ;   in Loop: Header=BB279_941 Depth=1
	s_delay_alu instid0(SALU_CYCLE_1) | instskip(NEXT) | instid1(SALU_CYCLE_1)
	s_or_b32 exec_lo, exec_lo, s14
	s_mov_b32 s14, exec_lo
	v_cmpx_lt_u32_e32 0xffffff, v38
	s_cbranch_execz .LBB279_1766
; %bb.1759:                             ;   in Loop: Header=BB279_941 Depth=1
	v_lshrrev_b32_e32 v6, 24, v38
	v_bfrev_b32_e32 v9, 1
	s_mov_b32 s15, exec_lo
	s_delay_alu instid0(VALU_DEP_2)
	v_cmpx_ne_u32_e32 0x80, v6
	s_cbranch_execz .LBB279_1765
; %bb.1760:                             ;   in Loop: Header=BB279_941 Depth=1
	v_and_b32_e32 v17, 0x7f, v6
	v_mov_b32_e32 v9, 0x7c010000
	s_mov_b32 s16, exec_lo
	s_delay_alu instid0(VALU_DEP_2)
	v_cmpx_ne_u32_e32 0x7f, v17
	s_cbranch_execz .LBB279_1764
; %bb.1761:                             ;   in Loop: Header=BB279_941 Depth=1
	v_dual_lshrrev_b32 v9, 3, v17 :: v_dual_bitop2_b32 v0, 7, v6 bitop3:0x40
	s_mov_b32 s17, exec_lo
	v_cmpx_gt_u32_e32 8, v17
; %bb.1762:                             ;   in Loop: Header=BB279_941 Depth=1
	s_delay_alu instid0(VALU_DEP_2) | instskip(NEXT) | instid1(VALU_DEP_1)
	v_clz_i32_u32_e32 v0, v0
	v_min_u32_e32 v0, 32, v0
	s_delay_alu instid0(VALU_DEP_1) | instskip(NEXT) | instid1(VALU_DEP_1)
	v_subrev_nc_u32_e32 v9, 28, v0
	v_lshlrev_b64_e32 v[18:19], v9, v[6:7]
	s_delay_alu instid0(VALU_DEP_1)
	v_dual_sub_nc_u32 v9, 29, v0 :: v_dual_bitop2_b32 v0, 7, v18 bitop3:0x40
; %bb.1763:                             ;   in Loop: Header=BB279_941 Depth=1
	s_or_b32 exec_lo, exec_lo, s17
	s_delay_alu instid0(VALU_DEP_1) | instskip(NEXT) | instid1(VALU_DEP_2)
	v_dual_lshlrev_b32 v6, 8, v6 :: v_dual_lshlrev_b32 v0, 23, v0
	v_lshl_add_u32 v9, v9, 10, 0x2000
	s_delay_alu instid0(VALU_DEP_1) | instskip(NEXT) | instid1(VALU_DEP_1)
	v_and_or_b32 v6, 0x8000, v6, v9
	v_lshl_or_b32 v9, v6, 16, v0
.LBB279_1764:                           ;   in Loop: Header=BB279_941 Depth=1
	s_or_b32 exec_lo, exec_lo, s16
.LBB279_1765:                           ;   in Loop: Header=BB279_941 Depth=1
	s_delay_alu instid0(SALU_CYCLE_1)
	s_or_b32 exec_lo, exec_lo, s15
.LBB279_1766:                           ;   in Loop: Header=BB279_941 Depth=1
	s_delay_alu instid0(SALU_CYCLE_1) | instskip(SKIP_4) | instid1(VALU_DEP_3)
	s_or_b32 exec_lo, exec_lo, s14
	v_and_b32_e32 v0, 0xff, v39
	v_dual_mov_b32 v6, v39 :: v_dual_mov_b32 v18, 0
	v_mov_b32_e32 v17, 0
	s_mov_b32 s14, exec_lo
	v_cmpx_ne_u16_e32 0, v0
	s_cbranch_execz .LBB279_1774
; %bb.1767:                             ;   in Loop: Header=BB279_941 Depth=1
	v_mov_b32_e32 v17, 0x8000
	s_mov_b32 s15, exec_lo
	v_cmpx_ne_u16_e32 0x80, v0
	s_cbranch_execz .LBB279_1773
; %bb.1768:                             ;   in Loop: Header=BB279_941 Depth=1
	v_and_b32_e32 v19, 0x7f, v39
	v_mov_b32_e32 v17, 0x7c01
	s_mov_b32 s16, exec_lo
	s_delay_alu instid0(VALU_DEP_2)
	v_cmpx_ne_u32_e32 0x7f, v19
	s_cbranch_execz .LBB279_1772
; %bb.1769:                             ;   in Loop: Header=BB279_941 Depth=1
	v_and_b32_e32 v0, 7, v39
	v_lshrrev_b32_e32 v17, 3, v19
	s_mov_b32 s17, exec_lo
	v_cmpx_gt_u32_e32 8, v19
; %bb.1770:                             ;   in Loop: Header=BB279_941 Depth=1
	s_delay_alu instid0(VALU_DEP_3) | instskip(NEXT) | instid1(VALU_DEP_1)
	v_clz_i32_u32_e32 v0, v0
	v_min_u32_e32 v0, 32, v0
	s_delay_alu instid0(VALU_DEP_1) | instskip(NEXT) | instid1(VALU_DEP_1)
	v_subrev_nc_u32_e32 v17, 28, v0
	v_lshlrev_b64_e32 v[22:23], v17, v[6:7]
	s_delay_alu instid0(VALU_DEP_1)
	v_dual_sub_nc_u32 v17, 29, v0 :: v_dual_bitop2_b32 v0, 7, v22 bitop3:0x40
; %bb.1771:                             ;   in Loop: Header=BB279_941 Depth=1
	s_or_b32 exec_lo, exec_lo, s17
	s_delay_alu instid0(VALU_DEP_1) | instskip(NEXT) | instid1(VALU_DEP_2)
	v_dual_lshlrev_b32 v19, 8, v39 :: v_dual_lshlrev_b32 v0, 7, v0
	v_lshl_add_u32 v17, v17, 10, 0x2000
	s_delay_alu instid0(VALU_DEP_2) | instskip(NEXT) | instid1(VALU_DEP_2)
	v_and_b32_e32 v19, 0x8000, v19
	v_and_b32_e32 v17, 0xfc00, v17
	s_delay_alu instid0(VALU_DEP_1)
	v_or3_b32 v17, v19, v17, v0
.LBB279_1772:                           ;   in Loop: Header=BB279_941 Depth=1
	s_or_b32 exec_lo, exec_lo, s16
.LBB279_1773:                           ;   in Loop: Header=BB279_941 Depth=1
	s_delay_alu instid0(SALU_CYCLE_1)
	s_or_b32 exec_lo, exec_lo, s15
.LBB279_1774:                           ;   in Loop: Header=BB279_941 Depth=1
	s_delay_alu instid0(SALU_CYCLE_1) | instskip(SKIP_3) | instid1(VALU_DEP_2)
	s_or_b32 exec_lo, exec_lo, s14
	v_lshrrev_b16 v6, 8, v6
	v_mov_b32_e32 v19, 0
	s_mov_b32 s14, exec_lo
	v_cmpx_ne_u16_e32 0, v6
	s_cbranch_execz .LBB279_1782
; %bb.1775:                             ;   in Loop: Header=BB279_941 Depth=1
	v_bfrev_b32_e32 v19, 1
	s_mov_b32 s15, exec_lo
	v_cmpx_ne_u16_e32 0x80, v6
	s_cbranch_execz .LBB279_1781
; %bb.1776:                             ;   in Loop: Header=BB279_941 Depth=1
	v_and_b32_e32 v0, 0xffff, v6
	v_mov_b32_e32 v19, 0x7c010000
	s_mov_b32 s16, exec_lo
	s_delay_alu instid0(VALU_DEP_2) | instskip(NEXT) | instid1(VALU_DEP_1)
	v_and_b32_e32 v23, 0x7f, v0
	v_cmpx_ne_u32_e32 0x7f, v23
	s_cbranch_execz .LBB279_1780
; %bb.1777:                             ;   in Loop: Header=BB279_941 Depth=1
	v_dual_lshrrev_b32 v22, 3, v23 :: v_dual_bitop2_b32 v19, 7, v0 bitop3:0x40
	s_mov_b32 s17, exec_lo
	v_cmpx_gt_u32_e32 8, v23
; %bb.1778:                             ;   in Loop: Header=BB279_941 Depth=1
	s_delay_alu instid0(VALU_DEP_2) | instskip(NEXT) | instid1(VALU_DEP_1)
	v_clz_i32_u32_e32 v19, v19
	v_min_u32_e32 v19, 32, v19
	s_delay_alu instid0(VALU_DEP_1) | instskip(NEXT) | instid1(VALU_DEP_1)
	v_subrev_nc_u32_e32 v22, 28, v19
	v_lshlrev_b64_e32 v[48:49], v22, v[6:7]
	s_delay_alu instid0(VALU_DEP_1)
	v_dual_sub_nc_u32 v22, 29, v19 :: v_dual_bitop2_b32 v19, 7, v48 bitop3:0x40
; %bb.1779:                             ;   in Loop: Header=BB279_941 Depth=1
	s_or_b32 exec_lo, exec_lo, s17
	v_lshlrev_b32_e32 v0, 8, v0
	s_delay_alu instid0(VALU_DEP_2) | instskip(NEXT) | instid1(VALU_DEP_1)
	v_lshl_add_u32 v6, v22, 10, 0x2000
	v_and_or_b32 v0, 0x8000, v0, v6
	v_lshlrev_b32_e32 v6, 23, v19
	s_delay_alu instid0(VALU_DEP_1)
	v_lshl_or_b32 v19, v0, 16, v6
.LBB279_1780:                           ;   in Loop: Header=BB279_941 Depth=1
	s_or_b32 exec_lo, exec_lo, s16
.LBB279_1781:                           ;   in Loop: Header=BB279_941 Depth=1
	s_delay_alu instid0(SALU_CYCLE_1)
	s_or_b32 exec_lo, exec_lo, s15
.LBB279_1782:                           ;   in Loop: Header=BB279_941 Depth=1
	s_delay_alu instid0(SALU_CYCLE_1) | instskip(SKIP_2) | instid1(VALU_DEP_1)
	s_or_b32 exec_lo, exec_lo, s14
	v_lshrrev_b32_e32 v0, 16, v39
	s_mov_b32 s14, exec_lo
	v_and_b32_e32 v6, 0xff, v0
	s_delay_alu instid0(VALU_DEP_1)
	v_cmpx_ne_u16_e32 0, v6
	s_cbranch_execz .LBB279_1790
; %bb.1783:                             ;   in Loop: Header=BB279_941 Depth=1
	v_mov_b32_e32 v18, 0x8000
	s_mov_b32 s15, exec_lo
	v_cmpx_ne_u16_e32 0x80, v6
	s_cbranch_execz .LBB279_1789
; %bb.1784:                             ;   in Loop: Header=BB279_941 Depth=1
	v_bfe_u32 v22, v39, 16, 7
	v_mov_b32_e32 v18, 0x7c01
	s_mov_b32 s16, exec_lo
	s_delay_alu instid0(VALU_DEP_2)
	v_cmpx_ne_u32_e32 0x7f, v22
	s_cbranch_execz .LBB279_1788
; %bb.1785:                             ;   in Loop: Header=BB279_941 Depth=1
	v_dual_lshrrev_b32 v18, 3, v22 :: v_dual_bitop2_b32 v6, 7, v0 bitop3:0x40
	s_mov_b32 s17, exec_lo
	v_cmpx_gt_u32_e32 8, v22
; %bb.1786:                             ;   in Loop: Header=BB279_941 Depth=1
	s_delay_alu instid0(VALU_DEP_2) | instskip(NEXT) | instid1(VALU_DEP_1)
	v_clz_i32_u32_e32 v6, v6
	v_min_u32_e32 v6, 32, v6
	s_delay_alu instid0(VALU_DEP_1) | instskip(NEXT) | instid1(VALU_DEP_1)
	v_subrev_nc_u32_e32 v18, 28, v6
	v_lshlrev_b64_e32 v[22:23], v18, v[0:1]
	v_sub_nc_u32_e32 v18, 29, v6
	s_delay_alu instid0(VALU_DEP_2)
	v_and_b32_e32 v6, 7, v22
; %bb.1787:                             ;   in Loop: Header=BB279_941 Depth=1
	s_or_b32 exec_lo, exec_lo, s17
	s_delay_alu instid0(VALU_DEP_1) | instskip(NEXT) | instid1(VALU_DEP_3)
	v_dual_lshlrev_b32 v0, 8, v0 :: v_dual_lshlrev_b32 v6, 7, v6
	v_lshl_add_u32 v18, v18, 10, 0x2000
	s_delay_alu instid0(VALU_DEP_2) | instskip(NEXT) | instid1(VALU_DEP_2)
	v_and_b32_e32 v0, 0x8000, v0
	v_and_b32_e32 v18, 0xfc00, v18
	s_delay_alu instid0(VALU_DEP_1)
	v_or3_b32 v18, v0, v18, v6
.LBB279_1788:                           ;   in Loop: Header=BB279_941 Depth=1
	s_or_b32 exec_lo, exec_lo, s16
.LBB279_1789:                           ;   in Loop: Header=BB279_941 Depth=1
	s_delay_alu instid0(SALU_CYCLE_1)
	s_or_b32 exec_lo, exec_lo, s15
.LBB279_1790:                           ;   in Loop: Header=BB279_941 Depth=1
	s_delay_alu instid0(SALU_CYCLE_1)
	s_or_b32 exec_lo, exec_lo, s14
	v_mov_b32_e32 v0, 0
	s_mov_b32 s14, exec_lo
	v_cmpx_lt_u64_e64 s[2:3], v[38:39]
	s_cbranch_execz .LBB279_1798
; %bb.1791:                             ;   in Loop: Header=BB279_941 Depth=1
	v_lshrrev_b32_e32 v6, 24, v39
	v_bfrev_b32_e32 v0, 1
	s_mov_b32 s15, exec_lo
	s_delay_alu instid0(VALU_DEP_2)
	v_cmpx_ne_u32_e32 0x80, v6
	s_cbranch_execz .LBB279_1797
; %bb.1792:                             ;   in Loop: Header=BB279_941 Depth=1
	v_and_b32_e32 v23, 0x7f, v6
	v_mov_b32_e32 v0, 0x7c010000
	s_mov_b32 s16, exec_lo
	s_delay_alu instid0(VALU_DEP_2)
	v_cmpx_ne_u32_e32 0x7f, v23
	s_cbranch_execz .LBB279_1796
; %bb.1793:                             ;   in Loop: Header=BB279_941 Depth=1
	v_dual_lshrrev_b32 v22, 3, v23 :: v_dual_bitop2_b32 v0, 7, v6 bitop3:0x40
	s_mov_b32 s17, exec_lo
	v_cmpx_gt_u32_e32 8, v23
; %bb.1794:                             ;   in Loop: Header=BB279_941 Depth=1
	s_delay_alu instid0(VALU_DEP_2) | instskip(NEXT) | instid1(VALU_DEP_1)
	v_clz_i32_u32_e32 v0, v0
	v_min_u32_e32 v0, 32, v0
	s_delay_alu instid0(VALU_DEP_1) | instskip(NEXT) | instid1(VALU_DEP_1)
	v_subrev_nc_u32_e32 v22, 28, v0
	v_lshlrev_b64_e32 v[38:39], v22, v[6:7]
	s_delay_alu instid0(VALU_DEP_1)
	v_dual_sub_nc_u32 v22, 29, v0 :: v_dual_bitop2_b32 v0, 7, v38 bitop3:0x40
; %bb.1795:                             ;   in Loop: Header=BB279_941 Depth=1
	s_or_b32 exec_lo, exec_lo, s17
	s_delay_alu instid0(VALU_DEP_1) | instskip(NEXT) | instid1(VALU_DEP_2)
	v_dual_lshlrev_b32 v6, 8, v6 :: v_dual_lshlrev_b32 v0, 23, v0
	v_lshl_add_u32 v22, v22, 10, 0x2000
	s_delay_alu instid0(VALU_DEP_1) | instskip(NEXT) | instid1(VALU_DEP_1)
	v_and_or_b32 v6, 0x8000, v6, v22
	v_lshl_or_b32 v0, v6, 16, v0
.LBB279_1796:                           ;   in Loop: Header=BB279_941 Depth=1
	s_or_b32 exec_lo, exec_lo, s16
.LBB279_1797:                           ;   in Loop: Header=BB279_941 Depth=1
	s_delay_alu instid0(SALU_CYCLE_1)
	s_or_b32 exec_lo, exec_lo, s15
.LBB279_1798:                           ;   in Loop: Header=BB279_941 Depth=1
	s_delay_alu instid0(SALU_CYCLE_1) | instskip(SKIP_2) | instid1(VALU_DEP_2)
	s_or_b32 exec_lo, exec_lo, s14
	v_dual_lshrrev_b32 v6, 16, v1 :: v_dual_bitop2_b32 v1, v1, v8 bitop3:0x54
	v_dual_lshrrev_b32 v22, 16, v9 :: v_dual_bitop2_b32 v16, v9, v16 bitop3:0x54
	v_cvt_f32_f16_e32 v9, v6
	v_dual_lshrrev_b32 v18, 16, v19 :: v_dual_bitop2_b32 v6, v0, v18 bitop3:0x54
	s_delay_alu instid0(VALU_DEP_3)
	v_cvt_f32_f16_e32 v8, v22
	v_dual_lshrrev_b32 v22, 16, v0 :: v_dual_bitop2_b32 v19, v19, v17 bitop3:0x54
	v_cvt_f32_f16_e32 v0, v16
	v_cvt_f32_f16_e32 v1, v1
	s_wait_loadcnt_dscnt 0x0
	v_pk_mul_f32 v[8:9], v[36:37], v[8:9] op_sel_hi:[0,1]
	v_cvt_f32_f16_e32 v17, v18
	v_cvt_f32_f16_e32 v16, v22
	;; [unrolled: 1-line block ×4, first 2 shown]
	v_pk_mul_f32 v[0:1], v[36:37], v[0:1] op_sel_hi:[0,1]
	v_cvt_pk_f16_f32 v6, v8, v9
	v_pk_mul_f32 v[8:9], v[36:37], v[16:17] op_sel_hi:[0,1]
	s_delay_alu instid0(VALU_DEP_4) | instskip(NEXT) | instid1(VALU_DEP_4)
	v_pk_mul_f32 v[16:17], v[36:37], v[18:19] op_sel_hi:[0,1]
	v_cvt_pk_f16_f32 v0, v0, v1
	s_delay_alu instid0(VALU_DEP_4) | instskip(NEXT) | instid1(VALU_DEP_4)
	v_and_b32_e32 v19, 0xffff0000, v6
	v_cvt_pk_f16_f32 v8, v8, v9
	v_lshlrev_b32_e32 v36, 16, v6
	v_cvt_pk_f16_f32 v6, v16, v17
	v_lshrrev_b32_e32 v49, 16, v0
	v_and_b32_e32 v50, 0xffff, v0
	v_and_b32_e32 v1, 0xffff0000, v8
	s_delay_alu instid0(VALU_DEP_4) | instskip(SKIP_3) | instid1(VALU_DEP_4)
	v_dual_lshlrev_b32 v0, 16, v8 :: v_dual_lshrrev_b32 v9, 16, v6
	v_and_b32_e32 v6, 0xffff, v6
	v_or_b32_e32 v39, v19, v49
	v_or_b32_e32 v48, v36, v50
	v_or_b32_e32 v37, v1, v9
	s_delay_alu instid0(VALU_DEP_4)
	v_or_b32_e32 v38, v0, v6
	s_and_saveexec_b32 s14, vcc_lo
	s_cbranch_execz .LBB279_1800
; %bb.1799:                             ;   in Loop: Header=BB279_941 Depth=1
	v_cmp_lt_i32_e64 s0, v67, v13
	s_delay_alu instid0(VALU_DEP_1) | instskip(SKIP_1) | instid1(VALU_DEP_1)
	v_cndmask_b32_e64 v8, 0, v49, s0
	v_cmp_lt_i32_e64 s0, v82, v12
	v_cndmask_b32_e64 v16, 0, v50, s0
	v_cmp_lt_i32_e64 s0, v81, v13
	s_delay_alu instid0(VALU_DEP_1) | instskip(SKIP_1) | instid1(VALU_DEP_1)
	v_cndmask_b32_e64 v17, 0, v19, s0
	v_cmp_lt_i32_e64 s0, v80, v12
	v_cndmask_b32_e64 v18, 0, v36, s0
	v_cmp_lt_i32_e64 s0, v71, v13
	s_delay_alu instid0(VALU_DEP_4) | instskip(NEXT) | instid1(VALU_DEP_2)
	v_or_b32_e32 v39, v8, v17
	v_dual_cndmask_b32 v9, 0, v9, s0 :: v_dual_bitop2_b32 v48, v16, v18 bitop3:0x54
	v_cmp_lt_i32_e64 s0, v70, v12
	s_delay_alu instid0(VALU_DEP_1) | instskip(SKIP_1) | instid1(VALU_DEP_1)
	v_cndmask_b32_e64 v6, 0, v6, s0
	v_cmp_lt_i32_e64 s0, v69, v13
	v_cndmask_b32_e64 v1, 0, v1, s0
	v_cmp_lt_i32_e64 s0, v68, v12
	s_delay_alu instid0(VALU_DEP_1) | instskip(NEXT) | instid1(VALU_DEP_1)
	v_dual_cndmask_b32 v0, 0, v0, s0 :: v_dual_bitop2_b32 v37, v9, v1 bitop3:0x54
	v_or_b32_e32 v38, v6, v0
.LBB279_1800:                           ;   in Loop: Header=BB279_941 Depth=1
	s_or_b32 exec_lo, exec_lo, s14
	;;#ASMSTART
	v_pk_mul_f16 v0, v87, v39;

	;;#ASMEND
	;;#ASMSTART
	v_pk_mul_f16 v1, v85, v48;

	;;#ASMEND
	;; [unrolled: 4-line block ×4, first 2 shown]
	;;#ASMSTART
	v_pk_add_f16 v0, v0, v1;

	;;#ASMEND
	;;#ASMSTART
	v_pk_add_f16 v0, v0, v6;

	;;#ASMEND
	;; [unrolled: 4-line block ×3, first 2 shown]
	v_and_b32_e32 v1, 0xffff, v0
	v_lshrrev_b32_e32 v0, 16, v0
	;;#ASMSTART
	v_cvt_f32_f16 v49, v1;
	;;#ASMEND
	;;#ASMSTART
	v_cvt_f32_f16 v50, v0;
	;;#ASMEND
	flat_load_b64 v[36:37], v[28:29] offset:3328
	scratch_load_b64 v[0:1], off, s32 offset:192 ; 8-byte Folded Reload
	v_mov_b32_e32 v8, 0
	s_mov_b32 s14, exec_lo
	s_wait_loadcnt 0x0
	flat_load_b32 v28, v[0:1]
	s_wait_dscnt 0x1
	s_wait_xcnt 0x0
	v_and_b32_e32 v0, 0xff, v36
	v_mov_b32_e32 v1, 0
	s_delay_alu instid0(VALU_DEP_2)
	v_cmpx_ne_u16_e32 0, v0
	s_cbranch_execz .LBB279_1808
; %bb.1801:                             ;   in Loop: Header=BB279_941 Depth=1
	v_mov_b32_e32 v8, 0x8000
	s_mov_b32 s15, exec_lo
	v_cmpx_ne_u16_e32 0x80, v0
	s_cbranch_execz .LBB279_1807
; %bb.1802:                             ;   in Loop: Header=BB279_941 Depth=1
	v_and_b32_e32 v9, 0x7f, v36
	v_mov_b32_e32 v8, 0x7c01
	s_mov_b32 s16, exec_lo
	s_delay_alu instid0(VALU_DEP_2)
	v_cmpx_ne_u32_e32 0x7f, v9
	s_cbranch_execz .LBB279_1806
; %bb.1803:                             ;   in Loop: Header=BB279_941 Depth=1
	v_dual_lshrrev_b32 v6, 3, v9 :: v_dual_bitop2_b32 v0, 7, v36 bitop3:0x40
	s_mov_b32 s17, exec_lo
	v_cmpx_gt_u32_e32 8, v9
; %bb.1804:                             ;   in Loop: Header=BB279_941 Depth=1
	s_delay_alu instid0(VALU_DEP_2) | instskip(NEXT) | instid1(VALU_DEP_1)
	v_clz_i32_u32_e32 v0, v0
	v_min_u32_e32 v0, 32, v0
	s_delay_alu instid0(VALU_DEP_1) | instskip(NEXT) | instid1(VALU_DEP_1)
	v_subrev_nc_u32_e32 v6, 28, v0
	v_lshlrev_b64_e32 v[8:9], v6, v[36:37]
	v_sub_nc_u32_e32 v6, 29, v0
	s_delay_alu instid0(VALU_DEP_2)
	v_and_b32_e32 v0, 7, v8
; %bb.1805:                             ;   in Loop: Header=BB279_941 Depth=1
	s_or_b32 exec_lo, exec_lo, s17
	v_lshlrev_b32_e32 v8, 8, v36
	s_delay_alu instid0(VALU_DEP_3) | instskip(NEXT) | instid1(VALU_DEP_3)
	v_lshl_add_u32 v6, v6, 10, 0x2000
	v_lshlrev_b32_e32 v0, 7, v0
	s_delay_alu instid0(VALU_DEP_3) | instskip(NEXT) | instid1(VALU_DEP_3)
	v_and_b32_e32 v8, 0x8000, v8
	v_and_b32_e32 v6, 0xfc00, v6
	s_delay_alu instid0(VALU_DEP_1)
	v_or3_b32 v8, v8, v6, v0
.LBB279_1806:                           ;   in Loop: Header=BB279_941 Depth=1
	s_or_b32 exec_lo, exec_lo, s16
.LBB279_1807:                           ;   in Loop: Header=BB279_941 Depth=1
	s_delay_alu instid0(SALU_CYCLE_1)
	s_or_b32 exec_lo, exec_lo, s15
.LBB279_1808:                           ;   in Loop: Header=BB279_941 Depth=1
	s_delay_alu instid0(SALU_CYCLE_1) | instskip(SKIP_2) | instid1(VALU_DEP_1)
	s_or_b32 exec_lo, exec_lo, s14
	v_lshrrev_b16 v6, 8, v36
	s_mov_b32 s14, exec_lo
	v_cmpx_ne_u16_e32 0, v6
	s_cbranch_execz .LBB279_1816
; %bb.1809:                             ;   in Loop: Header=BB279_941 Depth=1
	v_bfrev_b32_e32 v1, 1
	s_mov_b32 s15, exec_lo
	v_cmpx_ne_u16_e32 0x80, v6
	s_cbranch_execz .LBB279_1815
; %bb.1810:                             ;   in Loop: Header=BB279_941 Depth=1
	v_and_b32_e32 v0, 0xffff, v6
	v_mov_b32_e32 v1, 0x7c010000
	s_mov_b32 s16, exec_lo
	s_delay_alu instid0(VALU_DEP_2) | instskip(NEXT) | instid1(VALU_DEP_1)
	v_and_b32_e32 v16, 0x7f, v0
	v_cmpx_ne_u32_e32 0x7f, v16
	s_cbranch_execz .LBB279_1814
; %bb.1811:                             ;   in Loop: Header=BB279_941 Depth=1
	v_and_b32_e32 v1, 7, v0
	v_lshrrev_b32_e32 v9, 3, v16
	s_mov_b32 s17, exec_lo
	v_cmpx_gt_u32_e32 8, v16
; %bb.1812:                             ;   in Loop: Header=BB279_941 Depth=1
	s_delay_alu instid0(VALU_DEP_3) | instskip(NEXT) | instid1(VALU_DEP_1)
	v_clz_i32_u32_e32 v1, v1
	v_min_u32_e32 v1, 32, v1
	s_delay_alu instid0(VALU_DEP_1) | instskip(NEXT) | instid1(VALU_DEP_1)
	v_subrev_nc_u32_e32 v9, 28, v1
	v_lshlrev_b64_e32 v[16:17], v9, v[6:7]
	s_delay_alu instid0(VALU_DEP_1)
	v_dual_sub_nc_u32 v9, 29, v1 :: v_dual_bitop2_b32 v1, 7, v16 bitop3:0x40
; %bb.1813:                             ;   in Loop: Header=BB279_941 Depth=1
	s_or_b32 exec_lo, exec_lo, s17
	s_delay_alu instid0(VALU_DEP_1) | instskip(NEXT) | instid1(VALU_DEP_2)
	v_dual_lshlrev_b32 v0, 8, v0 :: v_dual_lshlrev_b32 v1, 23, v1
	v_lshl_add_u32 v6, v9, 10, 0x2000
	s_delay_alu instid0(VALU_DEP_1) | instskip(NEXT) | instid1(VALU_DEP_1)
	v_and_or_b32 v0, 0x8000, v0, v6
	v_lshl_or_b32 v1, v0, 16, v1
.LBB279_1814:                           ;   in Loop: Header=BB279_941 Depth=1
	s_or_b32 exec_lo, exec_lo, s16
.LBB279_1815:                           ;   in Loop: Header=BB279_941 Depth=1
	s_delay_alu instid0(SALU_CYCLE_1)
	s_or_b32 exec_lo, exec_lo, s15
.LBB279_1816:                           ;   in Loop: Header=BB279_941 Depth=1
	s_delay_alu instid0(SALU_CYCLE_1) | instskip(SKIP_3) | instid1(VALU_DEP_2)
	s_or_b32 exec_lo, exec_lo, s14
	v_dual_mov_b32 v9, 0 :: v_dual_lshrrev_b32 v0, 16, v36
	v_mov_b32_e32 v16, 0
	s_mov_b32 s14, exec_lo
	v_and_b32_e32 v6, 0xff, v0
	s_delay_alu instid0(VALU_DEP_1)
	v_cmpx_ne_u16_e32 0, v6
	s_cbranch_execz .LBB279_1824
; %bb.1817:                             ;   in Loop: Header=BB279_941 Depth=1
	v_mov_b32_e32 v16, 0x8000
	s_mov_b32 s15, exec_lo
	v_cmpx_ne_u16_e32 0x80, v6
	s_cbranch_execz .LBB279_1823
; %bb.1818:                             ;   in Loop: Header=BB279_941 Depth=1
	v_bfe_u32 v17, v36, 16, 7
	v_mov_b32_e32 v16, 0x7c01
	s_mov_b32 s16, exec_lo
	s_delay_alu instid0(VALU_DEP_2)
	v_cmpx_ne_u32_e32 0x7f, v17
	s_cbranch_execz .LBB279_1822
; %bb.1819:                             ;   in Loop: Header=BB279_941 Depth=1
	v_dual_lshrrev_b32 v16, 3, v17 :: v_dual_bitop2_b32 v6, 7, v0 bitop3:0x40
	s_mov_b32 s17, exec_lo
	v_cmpx_gt_u32_e32 8, v17
; %bb.1820:                             ;   in Loop: Header=BB279_941 Depth=1
	s_delay_alu instid0(VALU_DEP_2) | instskip(NEXT) | instid1(VALU_DEP_1)
	v_clz_i32_u32_e32 v6, v6
	v_min_u32_e32 v6, 32, v6
	s_delay_alu instid0(VALU_DEP_1) | instskip(NEXT) | instid1(VALU_DEP_1)
	v_subrev_nc_u32_e32 v16, 28, v6
	v_lshlrev_b64_e32 v[18:19], v16, v[0:1]
	v_sub_nc_u32_e32 v16, 29, v6
	s_delay_alu instid0(VALU_DEP_2)
	v_and_b32_e32 v6, 7, v18
; %bb.1821:                             ;   in Loop: Header=BB279_941 Depth=1
	s_or_b32 exec_lo, exec_lo, s17
	s_delay_alu instid0(VALU_DEP_1) | instskip(NEXT) | instid1(VALU_DEP_3)
	v_dual_lshlrev_b32 v0, 8, v0 :: v_dual_lshlrev_b32 v6, 7, v6
	v_lshl_add_u32 v16, v16, 10, 0x2000
	s_delay_alu instid0(VALU_DEP_2) | instskip(NEXT) | instid1(VALU_DEP_2)
	v_and_b32_e32 v0, 0x8000, v0
	v_and_b32_e32 v16, 0xfc00, v16
	s_delay_alu instid0(VALU_DEP_1)
	v_or3_b32 v16, v0, v16, v6
.LBB279_1822:                           ;   in Loop: Header=BB279_941 Depth=1
	s_or_b32 exec_lo, exec_lo, s16
.LBB279_1823:                           ;   in Loop: Header=BB279_941 Depth=1
	s_delay_alu instid0(SALU_CYCLE_1)
	s_or_b32 exec_lo, exec_lo, s15
.LBB279_1824:                           ;   in Loop: Header=BB279_941 Depth=1
	s_delay_alu instid0(SALU_CYCLE_1) | instskip(NEXT) | instid1(SALU_CYCLE_1)
	s_or_b32 exec_lo, exec_lo, s14
	s_mov_b32 s14, exec_lo
	v_cmpx_lt_u32_e32 0xffffff, v36
	s_cbranch_execz .LBB279_1832
; %bb.1825:                             ;   in Loop: Header=BB279_941 Depth=1
	v_lshrrev_b32_e32 v6, 24, v36
	v_bfrev_b32_e32 v9, 1
	s_mov_b32 s15, exec_lo
	s_delay_alu instid0(VALU_DEP_2)
	v_cmpx_ne_u32_e32 0x80, v6
	s_cbranch_execz .LBB279_1831
; %bb.1826:                             ;   in Loop: Header=BB279_941 Depth=1
	v_and_b32_e32 v17, 0x7f, v6
	v_mov_b32_e32 v9, 0x7c010000
	s_mov_b32 s16, exec_lo
	s_delay_alu instid0(VALU_DEP_2)
	v_cmpx_ne_u32_e32 0x7f, v17
	s_cbranch_execz .LBB279_1830
; %bb.1827:                             ;   in Loop: Header=BB279_941 Depth=1
	v_dual_lshrrev_b32 v9, 3, v17 :: v_dual_bitop2_b32 v0, 7, v6 bitop3:0x40
	s_mov_b32 s17, exec_lo
	v_cmpx_gt_u32_e32 8, v17
; %bb.1828:                             ;   in Loop: Header=BB279_941 Depth=1
	s_delay_alu instid0(VALU_DEP_2) | instskip(NEXT) | instid1(VALU_DEP_1)
	v_clz_i32_u32_e32 v0, v0
	v_min_u32_e32 v0, 32, v0
	s_delay_alu instid0(VALU_DEP_1) | instskip(NEXT) | instid1(VALU_DEP_1)
	v_subrev_nc_u32_e32 v9, 28, v0
	v_lshlrev_b64_e32 v[18:19], v9, v[6:7]
	s_delay_alu instid0(VALU_DEP_1)
	v_dual_sub_nc_u32 v9, 29, v0 :: v_dual_bitop2_b32 v0, 7, v18 bitop3:0x40
; %bb.1829:                             ;   in Loop: Header=BB279_941 Depth=1
	s_or_b32 exec_lo, exec_lo, s17
	s_delay_alu instid0(VALU_DEP_1) | instskip(NEXT) | instid1(VALU_DEP_2)
	v_dual_lshlrev_b32 v6, 8, v6 :: v_dual_lshlrev_b32 v0, 23, v0
	v_lshl_add_u32 v9, v9, 10, 0x2000
	s_delay_alu instid0(VALU_DEP_1) | instskip(NEXT) | instid1(VALU_DEP_1)
	v_and_or_b32 v6, 0x8000, v6, v9
	v_lshl_or_b32 v9, v6, 16, v0
.LBB279_1830:                           ;   in Loop: Header=BB279_941 Depth=1
	s_or_b32 exec_lo, exec_lo, s16
.LBB279_1831:                           ;   in Loop: Header=BB279_941 Depth=1
	s_delay_alu instid0(SALU_CYCLE_1)
	s_or_b32 exec_lo, exec_lo, s15
.LBB279_1832:                           ;   in Loop: Header=BB279_941 Depth=1
	s_delay_alu instid0(SALU_CYCLE_1) | instskip(SKIP_4) | instid1(VALU_DEP_3)
	s_or_b32 exec_lo, exec_lo, s14
	v_and_b32_e32 v0, 0xff, v37
	v_dual_mov_b32 v6, v37 :: v_dual_mov_b32 v18, 0
	v_mov_b32_e32 v17, 0
	s_mov_b32 s14, exec_lo
	v_cmpx_ne_u16_e32 0, v0
	s_cbranch_execz .LBB279_1840
; %bb.1833:                             ;   in Loop: Header=BB279_941 Depth=1
	v_mov_b32_e32 v17, 0x8000
	s_mov_b32 s15, exec_lo
	v_cmpx_ne_u16_e32 0x80, v0
	s_cbranch_execz .LBB279_1839
; %bb.1834:                             ;   in Loop: Header=BB279_941 Depth=1
	v_and_b32_e32 v19, 0x7f, v37
	v_mov_b32_e32 v17, 0x7c01
	s_mov_b32 s16, exec_lo
	s_delay_alu instid0(VALU_DEP_2)
	v_cmpx_ne_u32_e32 0x7f, v19
	s_cbranch_execz .LBB279_1838
; %bb.1835:                             ;   in Loop: Header=BB279_941 Depth=1
	v_dual_lshrrev_b32 v17, 3, v19 :: v_dual_bitop2_b32 v0, 7, v37 bitop3:0x40
	s_mov_b32 s17, exec_lo
	v_cmpx_gt_u32_e32 8, v19
; %bb.1836:                             ;   in Loop: Header=BB279_941 Depth=1
	s_delay_alu instid0(VALU_DEP_2) | instskip(NEXT) | instid1(VALU_DEP_1)
	v_clz_i32_u32_e32 v0, v0
	v_min_u32_e32 v0, 32, v0
	s_delay_alu instid0(VALU_DEP_1) | instskip(NEXT) | instid1(VALU_DEP_1)
	v_subrev_nc_u32_e32 v17, 28, v0
	v_lshlrev_b64_e32 v[22:23], v17, v[6:7]
	s_delay_alu instid0(VALU_DEP_1)
	v_dual_sub_nc_u32 v17, 29, v0 :: v_dual_bitop2_b32 v0, 7, v22 bitop3:0x40
; %bb.1837:                             ;   in Loop: Header=BB279_941 Depth=1
	s_or_b32 exec_lo, exec_lo, s17
	s_delay_alu instid0(VALU_DEP_1) | instskip(NEXT) | instid1(VALU_DEP_2)
	v_dual_lshlrev_b32 v19, 8, v37 :: v_dual_lshlrev_b32 v0, 7, v0
	v_lshl_add_u32 v17, v17, 10, 0x2000
	s_delay_alu instid0(VALU_DEP_2) | instskip(NEXT) | instid1(VALU_DEP_2)
	v_and_b32_e32 v19, 0x8000, v19
	v_and_b32_e32 v17, 0xfc00, v17
	s_delay_alu instid0(VALU_DEP_1)
	v_or3_b32 v17, v19, v17, v0
.LBB279_1838:                           ;   in Loop: Header=BB279_941 Depth=1
	s_or_b32 exec_lo, exec_lo, s16
.LBB279_1839:                           ;   in Loop: Header=BB279_941 Depth=1
	s_delay_alu instid0(SALU_CYCLE_1)
	s_or_b32 exec_lo, exec_lo, s15
.LBB279_1840:                           ;   in Loop: Header=BB279_941 Depth=1
	s_delay_alu instid0(SALU_CYCLE_1) | instskip(SKIP_3) | instid1(VALU_DEP_2)
	s_or_b32 exec_lo, exec_lo, s14
	v_lshrrev_b16 v6, 8, v6
	v_mov_b32_e32 v19, 0
	s_mov_b32 s14, exec_lo
	v_cmpx_ne_u16_e32 0, v6
	s_cbranch_execz .LBB279_1848
; %bb.1841:                             ;   in Loop: Header=BB279_941 Depth=1
	v_bfrev_b32_e32 v19, 1
	s_mov_b32 s15, exec_lo
	v_cmpx_ne_u16_e32 0x80, v6
	s_cbranch_execz .LBB279_1847
; %bb.1842:                             ;   in Loop: Header=BB279_941 Depth=1
	v_and_b32_e32 v0, 0xffff, v6
	v_mov_b32_e32 v19, 0x7c010000
	s_mov_b32 s16, exec_lo
	s_delay_alu instid0(VALU_DEP_2) | instskip(NEXT) | instid1(VALU_DEP_1)
	v_and_b32_e32 v23, 0x7f, v0
	v_cmpx_ne_u32_e32 0x7f, v23
	s_cbranch_execz .LBB279_1846
; %bb.1843:                             ;   in Loop: Header=BB279_941 Depth=1
	v_dual_lshrrev_b32 v22, 3, v23 :: v_dual_bitop2_b32 v19, 7, v0 bitop3:0x40
	s_mov_b32 s17, exec_lo
	v_cmpx_gt_u32_e32 8, v23
; %bb.1844:                             ;   in Loop: Header=BB279_941 Depth=1
	s_delay_alu instid0(VALU_DEP_2) | instskip(NEXT) | instid1(VALU_DEP_1)
	v_clz_i32_u32_e32 v19, v19
	v_min_u32_e32 v19, 32, v19
	s_delay_alu instid0(VALU_DEP_1) | instskip(NEXT) | instid1(VALU_DEP_1)
	v_subrev_nc_u32_e32 v22, 28, v19
	v_lshlrev_b64_e32 v[38:39], v22, v[6:7]
	s_delay_alu instid0(VALU_DEP_1)
	v_dual_sub_nc_u32 v22, 29, v19 :: v_dual_bitop2_b32 v19, 7, v38 bitop3:0x40
; %bb.1845:                             ;   in Loop: Header=BB279_941 Depth=1
	s_or_b32 exec_lo, exec_lo, s17
	v_lshlrev_b32_e32 v0, 8, v0
	s_delay_alu instid0(VALU_DEP_2) | instskip(NEXT) | instid1(VALU_DEP_1)
	v_lshl_add_u32 v6, v22, 10, 0x2000
	v_and_or_b32 v0, 0x8000, v0, v6
	v_lshlrev_b32_e32 v6, 23, v19
	s_delay_alu instid0(VALU_DEP_1)
	v_lshl_or_b32 v19, v0, 16, v6
.LBB279_1846:                           ;   in Loop: Header=BB279_941 Depth=1
	s_or_b32 exec_lo, exec_lo, s16
.LBB279_1847:                           ;   in Loop: Header=BB279_941 Depth=1
	s_delay_alu instid0(SALU_CYCLE_1)
	s_or_b32 exec_lo, exec_lo, s15
.LBB279_1848:                           ;   in Loop: Header=BB279_941 Depth=1
	s_delay_alu instid0(SALU_CYCLE_1) | instskip(SKIP_2) | instid1(VALU_DEP_1)
	s_or_b32 exec_lo, exec_lo, s14
	v_lshrrev_b32_e32 v0, 16, v37
	s_mov_b32 s14, exec_lo
	v_and_b32_e32 v6, 0xff, v0
	s_delay_alu instid0(VALU_DEP_1)
	v_cmpx_ne_u16_e32 0, v6
	s_cbranch_execz .LBB279_1856
; %bb.1849:                             ;   in Loop: Header=BB279_941 Depth=1
	v_mov_b32_e32 v18, 0x8000
	s_mov_b32 s15, exec_lo
	v_cmpx_ne_u16_e32 0x80, v6
	s_cbranch_execz .LBB279_1855
; %bb.1850:                             ;   in Loop: Header=BB279_941 Depth=1
	v_bfe_u32 v22, v37, 16, 7
	v_mov_b32_e32 v18, 0x7c01
	s_mov_b32 s16, exec_lo
	s_delay_alu instid0(VALU_DEP_2)
	v_cmpx_ne_u32_e32 0x7f, v22
	s_cbranch_execz .LBB279_1854
; %bb.1851:                             ;   in Loop: Header=BB279_941 Depth=1
	v_dual_lshrrev_b32 v18, 3, v22 :: v_dual_bitop2_b32 v6, 7, v0 bitop3:0x40
	s_mov_b32 s17, exec_lo
	v_cmpx_gt_u32_e32 8, v22
; %bb.1852:                             ;   in Loop: Header=BB279_941 Depth=1
	s_delay_alu instid0(VALU_DEP_2) | instskip(NEXT) | instid1(VALU_DEP_1)
	v_clz_i32_u32_e32 v6, v6
	v_min_u32_e32 v6, 32, v6
	s_delay_alu instid0(VALU_DEP_1) | instskip(NEXT) | instid1(VALU_DEP_1)
	v_subrev_nc_u32_e32 v18, 28, v6
	v_lshlrev_b64_e32 v[22:23], v18, v[0:1]
	v_sub_nc_u32_e32 v18, 29, v6
	s_delay_alu instid0(VALU_DEP_2)
	v_and_b32_e32 v6, 7, v22
; %bb.1853:                             ;   in Loop: Header=BB279_941 Depth=1
	s_or_b32 exec_lo, exec_lo, s17
	s_delay_alu instid0(VALU_DEP_1) | instskip(NEXT) | instid1(VALU_DEP_3)
	v_dual_lshlrev_b32 v0, 8, v0 :: v_dual_lshlrev_b32 v6, 7, v6
	v_lshl_add_u32 v18, v18, 10, 0x2000
	s_delay_alu instid0(VALU_DEP_2) | instskip(NEXT) | instid1(VALU_DEP_2)
	v_and_b32_e32 v0, 0x8000, v0
	v_and_b32_e32 v18, 0xfc00, v18
	s_delay_alu instid0(VALU_DEP_1)
	v_or3_b32 v18, v0, v18, v6
.LBB279_1854:                           ;   in Loop: Header=BB279_941 Depth=1
	s_or_b32 exec_lo, exec_lo, s16
.LBB279_1855:                           ;   in Loop: Header=BB279_941 Depth=1
	s_delay_alu instid0(SALU_CYCLE_1)
	s_or_b32 exec_lo, exec_lo, s15
.LBB279_1856:                           ;   in Loop: Header=BB279_941 Depth=1
	s_delay_alu instid0(SALU_CYCLE_1)
	s_or_b32 exec_lo, exec_lo, s14
	v_mov_b32_e32 v0, 0
	s_mov_b32 s14, exec_lo
	v_cmpx_lt_u64_e64 s[2:3], v[36:37]
	s_cbranch_execz .LBB279_1864
; %bb.1857:                             ;   in Loop: Header=BB279_941 Depth=1
	v_lshrrev_b32_e32 v6, 24, v37
	v_bfrev_b32_e32 v0, 1
	s_mov_b32 s15, exec_lo
	s_delay_alu instid0(VALU_DEP_2)
	v_cmpx_ne_u32_e32 0x80, v6
	s_cbranch_execz .LBB279_1863
; %bb.1858:                             ;   in Loop: Header=BB279_941 Depth=1
	v_and_b32_e32 v23, 0x7f, v6
	v_mov_b32_e32 v0, 0x7c010000
	s_mov_b32 s16, exec_lo
	s_delay_alu instid0(VALU_DEP_2)
	v_cmpx_ne_u32_e32 0x7f, v23
	s_cbranch_execz .LBB279_1862
; %bb.1859:                             ;   in Loop: Header=BB279_941 Depth=1
	v_dual_lshrrev_b32 v22, 3, v23 :: v_dual_bitop2_b32 v0, 7, v6 bitop3:0x40
	s_mov_b32 s17, exec_lo
	v_cmpx_gt_u32_e32 8, v23
; %bb.1860:                             ;   in Loop: Header=BB279_941 Depth=1
	s_delay_alu instid0(VALU_DEP_2) | instskip(NEXT) | instid1(VALU_DEP_1)
	v_clz_i32_u32_e32 v0, v0
	v_min_u32_e32 v0, 32, v0
	s_delay_alu instid0(VALU_DEP_1) | instskip(NEXT) | instid1(VALU_DEP_1)
	v_subrev_nc_u32_e32 v22, 28, v0
	v_lshlrev_b64_e32 v[36:37], v22, v[6:7]
	v_sub_nc_u32_e32 v22, 29, v0
	s_delay_alu instid0(VALU_DEP_2)
	v_and_b32_e32 v0, 7, v36
; %bb.1861:                             ;   in Loop: Header=BB279_941 Depth=1
	s_or_b32 exec_lo, exec_lo, s17
	s_delay_alu instid0(VALU_DEP_1) | instskip(NEXT) | instid1(VALU_DEP_3)
	v_dual_lshlrev_b32 v6, 8, v6 :: v_dual_lshlrev_b32 v0, 23, v0
	v_lshl_add_u32 v22, v22, 10, 0x2000
	s_delay_alu instid0(VALU_DEP_1) | instskip(NEXT) | instid1(VALU_DEP_1)
	v_and_or_b32 v6, 0x8000, v6, v22
	v_lshl_or_b32 v0, v6, 16, v0
.LBB279_1862:                           ;   in Loop: Header=BB279_941 Depth=1
	s_or_b32 exec_lo, exec_lo, s16
.LBB279_1863:                           ;   in Loop: Header=BB279_941 Depth=1
	s_delay_alu instid0(SALU_CYCLE_1)
	s_or_b32 exec_lo, exec_lo, s15
.LBB279_1864:                           ;   in Loop: Header=BB279_941 Depth=1
	s_delay_alu instid0(SALU_CYCLE_1) | instskip(SKIP_2) | instid1(VALU_DEP_2)
	s_or_b32 exec_lo, exec_lo, s14
	v_dual_lshrrev_b32 v6, 16, v1 :: v_dual_bitop2_b32 v1, v1, v8 bitop3:0x54
	v_dual_lshrrev_b32 v22, 16, v9 :: v_dual_bitop2_b32 v16, v9, v16 bitop3:0x54
	v_cvt_f32_f16_e32 v9, v6
	v_dual_lshrrev_b32 v18, 16, v19 :: v_dual_bitop2_b32 v6, v0, v18 bitop3:0x54
	s_delay_alu instid0(VALU_DEP_3)
	v_cvt_f32_f16_e32 v8, v22
	v_dual_lshrrev_b32 v22, 16, v0 :: v_dual_bitop2_b32 v19, v19, v17 bitop3:0x54
	v_cvt_f32_f16_e32 v0, v16
	v_cvt_f32_f16_e32 v1, v1
	s_wait_loadcnt_dscnt 0x0
	v_pk_mul_f32 v[8:9], v[28:29], v[8:9] op_sel_hi:[0,1]
	v_cvt_f32_f16_e32 v17, v18
	v_cvt_f32_f16_e32 v16, v22
	;; [unrolled: 1-line block ×4, first 2 shown]
	v_pk_mul_f32 v[0:1], v[28:29], v[0:1] op_sel_hi:[0,1]
	v_cvt_pk_f16_f32 v6, v8, v9
	v_pk_mul_f32 v[8:9], v[28:29], v[16:17] op_sel_hi:[0,1]
	s_delay_alu instid0(VALU_DEP_4) | instskip(NEXT) | instid1(VALU_DEP_4)
	v_pk_mul_f32 v[16:17], v[28:29], v[18:19] op_sel_hi:[0,1]
	v_cvt_pk_f16_f32 v0, v0, v1
	s_delay_alu instid0(VALU_DEP_4) | instskip(NEXT) | instid1(VALU_DEP_4)
	v_and_b32_e32 v37, 0xffff0000, v6
	v_cvt_pk_f16_f32 v1, v8, v9
	v_lshlrev_b32_e32 v38, 16, v6
	v_cvt_pk_f16_f32 v6, v16, v17
	v_lshrrev_b32_e32 v39, 16, v0
	v_and_b32_e32 v48, 0xffff, v0
	v_and_b32_e32 v19, 0xffff0000, v1
	s_delay_alu instid0(VALU_DEP_4) | instskip(SKIP_3) | instid1(VALU_DEP_4)
	v_dual_lshlrev_b32 v28, 16, v1 :: v_dual_lshrrev_b32 v29, 16, v6
	v_and_b32_e32 v36, 0xffff, v6
	v_or_b32_e32 v9, v37, v39
	v_or_b32_e32 v6, v38, v48
	;; [unrolled: 1-line block ×3, first 2 shown]
	s_delay_alu instid0(VALU_DEP_4)
	v_or_b32_e32 v0, v28, v36
	s_and_saveexec_b32 s0, vcc_lo
	s_cbranch_execz .LBB279_939
; %bb.1865:                             ;   in Loop: Header=BB279_941 Depth=1
	v_cmp_lt_i32_e32 vcc_lo, v67, v13
	v_cndmask_b32_e32 v0, 0, v39, vcc_lo
	v_cmp_lt_i32_e32 vcc_lo, v82, v12
	v_cndmask_b32_e32 v1, 0, v48, vcc_lo
	;; [unrolled: 2-line block ×4, first 2 shown]
	v_cmp_lt_i32_e32 vcc_lo, v71, v13
	s_delay_alu instid0(VALU_DEP_4) | instskip(NEXT) | instid1(VALU_DEP_3)
	v_or_b32_e32 v9, v0, v6
	v_dual_cndmask_b32 v16, 0, v29, vcc_lo :: v_dual_bitop2_b32 v6, v1, v8 bitop3:0x54
	v_cmp_lt_i32_e32 vcc_lo, v70, v12
	v_cndmask_b32_e32 v17, 0, v36, vcc_lo
	v_cmp_lt_i32_e32 vcc_lo, v69, v13
	v_cndmask_b32_e32 v18, 0, v19, vcc_lo
	v_cmp_lt_i32_e32 vcc_lo, v68, v12
	s_delay_alu instid0(VALU_DEP_2) | instskip(NEXT) | instid1(VALU_DEP_1)
	v_dual_cndmask_b32 v19, 0, v28, vcc_lo :: v_dual_bitop2_b32 v1, v16, v18 bitop3:0x54
	v_or_b32_e32 v0, v17, v19
	s_branch .LBB279_939
.LBB279_1866:
	s_or_b32 exec_lo, exec_lo, s8
.LBB279_1867:
	s_delay_alu instid0(SALU_CYCLE_1)
	s_or_b32 exec_lo, exec_lo, s1
	ds_bpermute_b32 v6, v52, v30
	ds_bpermute_b32 v7, v52, v31
	;; [unrolled: 1-line block ×10, first 2 shown]
	s_wait_dscnt 0x0
	s_barrier_signal -1
	s_barrier_wait -1
	ds_bpermute_b32 v8, v52, v32
	ds_bpermute_b32 v9, v52, v33
	;; [unrolled: 1-line block ×4, first 2 shown]
	s_load_b32 s0, s[6:7], 0x0
	s_mov_b32 s1, exec_lo
	v_pk_add_f32 v[6:7], v[30:31], v[6:7]
	v_pk_add_f32 v[22:23], v[34:35], v[12:13]
	;; [unrolled: 1-line block ×4, first 2 shown]
	ds_bpermute_b32 v24, v51, v6
	v_pk_add_f32 v[0:1], v[2:3], v[16:17]
	ds_bpermute_b32 v2, v51, v22
	ds_bpermute_b32 v3, v51, v23
	;; [unrolled: 1-line block ×5, first 2 shown]
	s_wait_dscnt 0x8
	v_pk_add_f32 v[8:9], v[32:33], v[8:9]
	ds_bpermute_b32 v14, v51, v0
	s_wait_dscnt 0x7
	v_pk_add_f32 v[20:21], v[20:21], v[10:11]
	ds_bpermute_b32 v10, v51, v18
	ds_bpermute_b32 v11, v51, v19
	;; [unrolled: 1-line block ×7, first 2 shown]
	v_and_b32_e32 v32, 0x3c3, v47
	s_wait_dscnt 0xb
	v_pk_add_f32 v[4:5], v[22:23], v[2:3]
	s_wait_dscnt 0x9
	v_pk_add_f32 v[2:3], v[30:31], v[16:17]
	scratch_load_b32 v16, off, s32 offset:320 ; 4-byte Folded Reload
	s_wait_dscnt 0x5
	v_pk_add_f32 v[12:13], v[18:19], v[10:11]
	v_pk_add_f32 v[10:11], v[6:7], v[24:25]
	s_wait_dscnt 0x3
	v_pk_add_f32 v[8:9], v[8:9], v[26:27]
	s_wait_dscnt 0x1
	v_pk_add_f32 v[6:7], v[20:21], v[28:29]
	s_wait_loadcnt 0x0
	v_and_b32_e32 v16, 28, v16
	v_cmpx_ne_u32_e32 64, v32
	s_xor_b32 s1, exec_lo, s1
	s_delay_alu instid0(SALU_CYCLE_1)
	s_or_saveexec_b32 s1, s1
	s_wait_dscnt 0x0
	v_pk_add_f32 v[14:15], v[0:1], v[14:15]
	scratch_load_b32 v0, off, s32 offset:320 th:TH_LOAD_LU ; 4-byte Folded Reload
	s_wait_kmcnt 0x0
	v_add_nc_u32_e32 v1, s0, v16
	scratch_load_b32 v16, off, s32 offset:352 th:TH_LOAD_LU ; 4-byte Folded Reload
	s_wait_loadcnt 0x1
	v_lshrrev_b32_e32 v0, 2, v0
	s_wait_loadcnt 0x0
	v_mul_u32_u24_e32 v16, 0x1c0, v16
	s_xor_b32 exec_lo, exec_lo, s1
	s_cbranch_execz .LBB279_1869
; %bb.1868:
	s_delay_alu instid0(VALU_DEP_1) | instskip(NEXT) | instid1(VALU_DEP_1)
	v_add_nc_u32_e32 v17, v1, v16
	v_add_nc_u32_e32 v18, 0xfffffc80, v17
	;; [unrolled: 1-line block ×9, first 2 shown]
	ds_store_b32 v18, v12
	ds_store_b32 v19, v13
	;; [unrolled: 1-line block ×8, first 2 shown]
	v_add_nc_u32_e32 v18, 0xfffffd80, v17
	v_add_nc_u32_e32 v19, 0xfffffda0, v17
	;; [unrolled: 1-line block ×6, first 2 shown]
	ds_store_b32 v18, v4
	ds_store_b32 v19, v5
	;; [unrolled: 1-line block ×6, first 2 shown]
.LBB279_1869:
	s_or_b32 exec_lo, exec_lo, s1
	v_lshlrev_b32_e32 v0, 2, v0
	s_mov_b32 s1, exec_lo
	v_cmp_eq_u32_e32 vcc_lo, 0, v53
	s_wait_dscnt 0x0
	s_barrier_signal -1
	v_add3_u32 v0, s0, v16, v0
	s_barrier_wait -1
	v_cmpx_gt_u32_e32 64, v47
	s_cbranch_execz .LBB279_1886
; %bb.1870:
	s_and_saveexec_b32 s0, vcc_lo
	s_cbranch_execnz .LBB279_1908
; %bb.1871:
	s_or_b32 exec_lo, exec_lo, s0
	s_and_saveexec_b32 s0, vcc_lo
	s_cbranch_execnz .LBB279_1909
.LBB279_1872:
	s_or_b32 exec_lo, exec_lo, s0
	s_and_saveexec_b32 s0, vcc_lo
	s_cbranch_execnz .LBB279_1910
.LBB279_1873:
	s_or_b32 exec_lo, exec_lo, s0
	s_and_saveexec_b32 s0, vcc_lo
	s_cbranch_execnz .LBB279_1911
.LBB279_1874:
	s_or_b32 exec_lo, exec_lo, s0
	s_and_saveexec_b32 s0, vcc_lo
	s_cbranch_execnz .LBB279_1912
.LBB279_1875:
	s_or_b32 exec_lo, exec_lo, s0
	s_and_saveexec_b32 s0, vcc_lo
	s_cbranch_execnz .LBB279_1913
.LBB279_1876:
	s_or_b32 exec_lo, exec_lo, s0
	s_and_saveexec_b32 s0, vcc_lo
	s_cbranch_execnz .LBB279_1914
.LBB279_1877:
	s_or_b32 exec_lo, exec_lo, s0
	s_and_saveexec_b32 s0, vcc_lo
	s_cbranch_execnz .LBB279_1915
.LBB279_1878:
	s_or_b32 exec_lo, exec_lo, s0
	s_and_saveexec_b32 s0, vcc_lo
	s_cbranch_execnz .LBB279_1916
.LBB279_1879:
	s_or_b32 exec_lo, exec_lo, s0
	s_and_saveexec_b32 s0, vcc_lo
	s_cbranch_execnz .LBB279_1917
.LBB279_1880:
	s_or_b32 exec_lo, exec_lo, s0
	s_and_saveexec_b32 s0, vcc_lo
	s_cbranch_execnz .LBB279_1918
.LBB279_1881:
	s_or_b32 exec_lo, exec_lo, s0
	s_and_saveexec_b32 s0, vcc_lo
	s_cbranch_execnz .LBB279_1919
.LBB279_1882:
	s_or_b32 exec_lo, exec_lo, s0
	s_and_saveexec_b32 s0, vcc_lo
	s_cbranch_execnz .LBB279_1920
.LBB279_1883:
	s_or_b32 exec_lo, exec_lo, s0
	s_and_saveexec_b32 s0, vcc_lo
	s_cbranch_execz .LBB279_1885
.LBB279_1884:
	ds_load_b32 v16, v0 offset:416
	s_wait_dscnt 0x0
	v_add_f32_e32 v15, v16, v15
.LBB279_1885:
	s_or_b32 exec_lo, exec_lo, s0
.LBB279_1886:
	s_delay_alu instid0(SALU_CYCLE_1) | instskip(SKIP_4) | instid1(VALU_DEP_1)
	s_or_b32 exec_lo, exec_lo, s1
	v_and_b32_e32 v16, 0x3e3, v47
	s_mov_b32 s1, exec_lo
	s_barrier_signal -1
	s_barrier_wait -1
	v_cmpx_eq_u32_e32 32, v16
	s_cbranch_execz .LBB279_1888
; %bb.1887:
	ds_store_2addr_b32 v1, v12, v13 offset1:8
	ds_store_2addr_b32 v1, v10, v11 offset0:16 offset1:24
	ds_store_2addr_b32 v1, v8, v9 offset0:32 offset1:40
	;; [unrolled: 1-line block ×6, first 2 shown]
.LBB279_1888:
	s_or_b32 exec_lo, exec_lo, s1
	s_delay_alu instid0(SALU_CYCLE_1)
	s_mov_b32 s1, exec_lo
	s_wait_dscnt 0x0
	s_barrier_signal -1
	s_barrier_wait -1
	v_cmpx_gt_u32_e32 32, v47
	s_cbranch_execz .LBB279_1905
; %bb.1889:
	s_and_saveexec_b32 s0, vcc_lo
	s_cbranch_execnz .LBB279_1921
; %bb.1890:
	s_or_b32 exec_lo, exec_lo, s0
	s_and_saveexec_b32 s0, vcc_lo
	s_cbranch_execnz .LBB279_1922
.LBB279_1891:
	s_or_b32 exec_lo, exec_lo, s0
	s_and_saveexec_b32 s0, vcc_lo
	s_cbranch_execnz .LBB279_1923
.LBB279_1892:
	s_or_b32 exec_lo, exec_lo, s0
	s_and_saveexec_b32 s0, vcc_lo
	s_cbranch_execnz .LBB279_1924
.LBB279_1893:
	s_or_b32 exec_lo, exec_lo, s0
	s_and_saveexec_b32 s0, vcc_lo
	s_cbranch_execnz .LBB279_1925
.LBB279_1894:
	s_or_b32 exec_lo, exec_lo, s0
	s_and_saveexec_b32 s0, vcc_lo
	s_cbranch_execnz .LBB279_1926
.LBB279_1895:
	s_or_b32 exec_lo, exec_lo, s0
	s_and_saveexec_b32 s0, vcc_lo
	s_cbranch_execnz .LBB279_1927
.LBB279_1896:
	s_or_b32 exec_lo, exec_lo, s0
	s_and_saveexec_b32 s0, vcc_lo
	s_cbranch_execnz .LBB279_1928
.LBB279_1897:
	s_or_b32 exec_lo, exec_lo, s0
	s_and_saveexec_b32 s0, vcc_lo
	s_cbranch_execnz .LBB279_1929
.LBB279_1898:
	s_or_b32 exec_lo, exec_lo, s0
	s_and_saveexec_b32 s0, vcc_lo
	s_cbranch_execnz .LBB279_1930
.LBB279_1899:
	s_or_b32 exec_lo, exec_lo, s0
	s_and_saveexec_b32 s0, vcc_lo
	s_cbranch_execnz .LBB279_1931
.LBB279_1900:
	s_or_b32 exec_lo, exec_lo, s0
	s_and_saveexec_b32 s0, vcc_lo
	s_cbranch_execnz .LBB279_1932
.LBB279_1901:
	s_or_b32 exec_lo, exec_lo, s0
	s_and_saveexec_b32 s0, vcc_lo
	s_cbranch_execnz .LBB279_1933
.LBB279_1902:
	s_or_b32 exec_lo, exec_lo, s0
	s_and_saveexec_b32 s0, vcc_lo
	s_cbranch_execz .LBB279_1904
.LBB279_1903:
	ds_load_b32 v0, v0 offset:416
	s_wait_dscnt 0x0
	v_add_f32_e32 v15, v0, v15
.LBB279_1904:
	s_or_b32 exec_lo, exec_lo, s0
.LBB279_1905:
	s_delay_alu instid0(SALU_CYCLE_1)
	s_or_b32 exec_lo, exec_lo, s1
	s_mov_b32 s1, 0
	s_mov_b32 s2, exec_lo
	s_barrier_signal -1
	s_barrier_wait -1
	v_cmpx_eq_u32_e32 0, v16
	s_cbranch_execz .LBB279_1907
; %bb.1906:
	scratch_load_b64 v[0:1], off, s32 offset:392 th:TH_LOAD_LU ; 8-byte Folded Reload
	s_and_b32 s0, 0xffff, s13
	v_dual_mov_b32 v17, 0 :: v_dual_lshrrev_b32 v16, 1, v47
	s_cmp_lg_u32 s0, 0
	;;#ASMSTART
	v_cvt_f16_f32 v12, v12;

	;;#ASMEND
	s_cselect_b32 s0, -1, 0
	s_delay_alu instid0(SALU_CYCLE_1)
	s_cmp_lg_u32 s0, 0
	s_add_co_ci_u32 s0, s5, 0
	s_bfe_u32 s8, ttmp6, 0x40014
	s_mul_i32 s5, s0, s11
	s_lshr_b32 s3, ttmp7, 16
	s_mul_i32 s5, s5, s12
	s_add_co_i32 s8, s8, 1
	s_mul_i32 s6, s5, 0x70
	s_bfe_u32 s9, ttmp6, 0x40008
	s_ashr_i32 s7, s6, 31
	s_mul_i32 s4, s4, s0
	s_mul_i32 s0, s3, s8
	s_ashr_i32 s5, s4, 31
	s_add_co_i32 s9, s9, s0
	s_cmp_eq_u32 s10, 0
	s_cselect_b32 s0, s3, s9
	s_delay_alu instid0(SALU_CYCLE_1) | instskip(SKIP_2) | instid1(VALU_DEP_1)
	s_mulk_i32 s0, 0xe0
	s_wait_loadcnt 0x0
	v_lshl_add_u64 v[0:1], s[6:7], 1, v[0:1]
	v_lshl_add_u64 v[0:1], s[4:5], 1, v[0:1]
	s_delay_alu instid0(VALU_DEP_1) | instskip(NEXT) | instid1(VALU_DEP_1)
	v_add_nc_u64_e32 v[0:1], s[0:1], v[0:1]
	v_add_nc_u64_e32 v[0:1], v[0:1], v[16:17]
	flat_store_b16 v[0:1], v12
	s_wait_xcnt 0x0
	;;#ASMSTART
	v_cvt_f16_f32 v12, v13;

	;;#ASMEND
	flat_store_b16 v[0:1], v12 offset:16
	;;#ASMSTART
	v_cvt_f16_f32 v10, v10;

	;;#ASMEND
	flat_store_b16 v[0:1], v10 offset:32
	s_wait_xcnt 0x0
	;;#ASMSTART
	v_cvt_f16_f32 v10, v11;

	;;#ASMEND
	flat_store_b16 v[0:1], v10 offset:48
	;;#ASMSTART
	v_cvt_f16_f32 v8, v8;

	;;#ASMEND
	flat_store_b16 v[0:1], v8 offset:64
	;; [unrolled: 11-line block ×5, first 2 shown]
	s_wait_xcnt 0x0
	;;#ASMSTART
	v_cvt_f16_f32 v2, v3;

	;;#ASMEND
	flat_store_b16 v[0:1], v2 offset:176
	s_wait_xcnt 0x0
	;;#ASMSTART
	v_cvt_f16_f32 v2, v14;

	;;#ASMEND
	flat_store_b16 v[0:1], v2 offset:192
	;; [unrolled: 6-line block ×3, first 2 shown]
.LBB279_1907:
	s_wait_xcnt 0x0
	s_or_b32 exec_lo, exec_lo, s2
	s_clause 0x2f
	scratch_load_b32 v127, off, s32
	scratch_load_b32 v126, off, s32 offset:4
	scratch_load_b32 v125, off, s32 offset:8
	;; [unrolled: 1-line block ×47, first 2 shown]
	s_wait_loadcnt_dscnt 0x0
	s_set_pc_i64 s[30:31]
.LBB279_1908:
	ds_load_b32 v16, v0
	s_wait_dscnt 0x0
	v_add_f32_e32 v12, v16, v12
	s_or_b32 exec_lo, exec_lo, s0
	s_and_saveexec_b32 s0, vcc_lo
	s_cbranch_execz .LBB279_1872
.LBB279_1909:
	ds_load_b32 v16, v0 offset:32
	s_wait_dscnt 0x0
	v_add_f32_e32 v13, v16, v13
	s_or_b32 exec_lo, exec_lo, s0
	s_and_saveexec_b32 s0, vcc_lo
	s_cbranch_execz .LBB279_1873
.LBB279_1910:
	ds_load_b32 v16, v0 offset:64
	s_wait_dscnt 0x0
	v_add_f32_e32 v10, v16, v10
	s_or_b32 exec_lo, exec_lo, s0
	s_and_saveexec_b32 s0, vcc_lo
	s_cbranch_execz .LBB279_1874
.LBB279_1911:
	ds_load_b32 v16, v0 offset:96
	s_wait_dscnt 0x0
	v_add_f32_e32 v11, v16, v11
	s_or_b32 exec_lo, exec_lo, s0
	s_and_saveexec_b32 s0, vcc_lo
	s_cbranch_execz .LBB279_1875
.LBB279_1912:
	ds_load_b32 v16, v0 offset:128
	s_wait_dscnt 0x0
	v_add_f32_e32 v8, v16, v8
	s_or_b32 exec_lo, exec_lo, s0
	s_and_saveexec_b32 s0, vcc_lo
	s_cbranch_execz .LBB279_1876
.LBB279_1913:
	ds_load_b32 v16, v0 offset:160
	s_wait_dscnt 0x0
	v_add_f32_e32 v9, v16, v9
	s_or_b32 exec_lo, exec_lo, s0
	s_and_saveexec_b32 s0, vcc_lo
	s_cbranch_execz .LBB279_1877
.LBB279_1914:
	ds_load_b32 v16, v0 offset:192
	s_wait_dscnt 0x0
	v_add_f32_e32 v6, v16, v6
	s_or_b32 exec_lo, exec_lo, s0
	s_and_saveexec_b32 s0, vcc_lo
	s_cbranch_execz .LBB279_1878
.LBB279_1915:
	ds_load_b32 v16, v0 offset:224
	s_wait_dscnt 0x0
	v_add_f32_e32 v7, v16, v7
	s_or_b32 exec_lo, exec_lo, s0
	s_and_saveexec_b32 s0, vcc_lo
	s_cbranch_execz .LBB279_1879
.LBB279_1916:
	ds_load_b32 v16, v0 offset:256
	s_wait_dscnt 0x0
	v_add_f32_e32 v4, v16, v4
	s_or_b32 exec_lo, exec_lo, s0
	s_and_saveexec_b32 s0, vcc_lo
	s_cbranch_execz .LBB279_1880
.LBB279_1917:
	ds_load_b32 v16, v0 offset:288
	s_wait_dscnt 0x0
	v_add_f32_e32 v5, v16, v5
	s_or_b32 exec_lo, exec_lo, s0
	s_and_saveexec_b32 s0, vcc_lo
	s_cbranch_execz .LBB279_1881
.LBB279_1918:
	ds_load_b32 v16, v0 offset:320
	s_wait_dscnt 0x0
	v_add_f32_e32 v2, v16, v2
	s_or_b32 exec_lo, exec_lo, s0
	s_and_saveexec_b32 s0, vcc_lo
	s_cbranch_execz .LBB279_1882
.LBB279_1919:
	ds_load_b32 v16, v0 offset:352
	s_wait_dscnt 0x0
	v_add_f32_e32 v3, v16, v3
	s_or_b32 exec_lo, exec_lo, s0
	s_and_saveexec_b32 s0, vcc_lo
	s_cbranch_execz .LBB279_1883
.LBB279_1920:
	ds_load_b32 v16, v0 offset:384
	s_wait_dscnt 0x0
	v_add_f32_e32 v14, v16, v14
	s_or_b32 exec_lo, exec_lo, s0
	s_and_saveexec_b32 s0, vcc_lo
	s_cbranch_execnz .LBB279_1884
	s_branch .LBB279_1885
.LBB279_1921:
	ds_load_b32 v1, v0
	s_wait_dscnt 0x0
	v_add_f32_e32 v12, v1, v12
	s_or_b32 exec_lo, exec_lo, s0
	s_and_saveexec_b32 s0, vcc_lo
	s_cbranch_execz .LBB279_1891
.LBB279_1922:
	ds_load_b32 v1, v0 offset:32
	s_wait_dscnt 0x0
	v_add_f32_e32 v13, v1, v13
	s_or_b32 exec_lo, exec_lo, s0
	s_and_saveexec_b32 s0, vcc_lo
	s_cbranch_execz .LBB279_1892
.LBB279_1923:
	ds_load_b32 v1, v0 offset:64
	s_wait_dscnt 0x0
	v_add_f32_e32 v10, v1, v10
	s_or_b32 exec_lo, exec_lo, s0
	s_and_saveexec_b32 s0, vcc_lo
	s_cbranch_execz .LBB279_1893
.LBB279_1924:
	ds_load_b32 v1, v0 offset:96
	s_wait_dscnt 0x0
	v_add_f32_e32 v11, v1, v11
	s_or_b32 exec_lo, exec_lo, s0
	s_and_saveexec_b32 s0, vcc_lo
	s_cbranch_execz .LBB279_1894
.LBB279_1925:
	ds_load_b32 v1, v0 offset:128
	s_wait_dscnt 0x0
	v_add_f32_e32 v8, v1, v8
	s_or_b32 exec_lo, exec_lo, s0
	s_and_saveexec_b32 s0, vcc_lo
	s_cbranch_execz .LBB279_1895
.LBB279_1926:
	ds_load_b32 v1, v0 offset:160
	s_wait_dscnt 0x0
	v_add_f32_e32 v9, v1, v9
	s_or_b32 exec_lo, exec_lo, s0
	s_and_saveexec_b32 s0, vcc_lo
	s_cbranch_execz .LBB279_1896
.LBB279_1927:
	ds_load_b32 v1, v0 offset:192
	s_wait_dscnt 0x0
	v_add_f32_e32 v6, v1, v6
	s_or_b32 exec_lo, exec_lo, s0
	s_and_saveexec_b32 s0, vcc_lo
	s_cbranch_execz .LBB279_1897
.LBB279_1928:
	ds_load_b32 v1, v0 offset:224
	s_wait_dscnt 0x0
	v_add_f32_e32 v7, v1, v7
	s_or_b32 exec_lo, exec_lo, s0
	s_and_saveexec_b32 s0, vcc_lo
	s_cbranch_execz .LBB279_1898
.LBB279_1929:
	ds_load_b32 v1, v0 offset:256
	s_wait_dscnt 0x0
	v_add_f32_e32 v4, v1, v4
	s_or_b32 exec_lo, exec_lo, s0
	s_and_saveexec_b32 s0, vcc_lo
	s_cbranch_execz .LBB279_1899
.LBB279_1930:
	ds_load_b32 v1, v0 offset:288
	s_wait_dscnt 0x0
	v_add_f32_e32 v5, v1, v5
	s_or_b32 exec_lo, exec_lo, s0
	s_and_saveexec_b32 s0, vcc_lo
	s_cbranch_execz .LBB279_1900
.LBB279_1931:
	ds_load_b32 v1, v0 offset:320
	s_wait_dscnt 0x0
	v_add_f32_e32 v2, v1, v2
	s_or_b32 exec_lo, exec_lo, s0
	s_and_saveexec_b32 s0, vcc_lo
	s_cbranch_execz .LBB279_1901
.LBB279_1932:
	ds_load_b32 v1, v0 offset:352
	s_wait_dscnt 0x0
	v_add_f32_e32 v3, v1, v3
	s_or_b32 exec_lo, exec_lo, s0
	s_and_saveexec_b32 s0, vcc_lo
	s_cbranch_execz .LBB279_1902
.LBB279_1933:
	ds_load_b32 v1, v0 offset:384
	s_wait_dscnt 0x0
	v_add_f32_e32 v14, v1, v14
	s_or_b32 exec_lo, exec_lo, s0
	s_and_saveexec_b32 s0, vcc_lo
	s_cbranch_execnz .LBB279_1903
	s_branch .LBB279_1904
.Lfunc_end279:
	.size	_ZN4vllm22paged_attention_kernelIthLi112ELi32ELi128ELNS_18Fp8KVCacheDataTypeE1ELb1ELi0EEEvPfS2_PT_PKS3_PKT0_S9_ifPKiSB_iPKfiiiSD_SD_iiiii, .Lfunc_end279-_ZN4vllm22paged_attention_kernelIthLi112ELi32ELi128ELNS_18Fp8KVCacheDataTypeE1ELb1ELi0EEEvPfS2_PT_PKS3_PKT0_S9_ifPKiSB_iPKfiiiSD_SD_iiiii
                                        ; -- End function
	.set .L_ZN4vllm22paged_attention_kernelIthLi112ELi32ELi128ELNS_18Fp8KVCacheDataTypeE1ELb1ELi0EEEvPfS2_PT_PKS3_PKT0_S9_ifPKiSB_iPKfiiiSD_SD_iiiii.num_vgpr, 128
	.set .L_ZN4vllm22paged_attention_kernelIthLi112ELi32ELi128ELNS_18Fp8KVCacheDataTypeE1ELb1ELi0EEEvPfS2_PT_PKS3_PKT0_S9_ifPKiSB_iPKfiiiSD_SD_iiiii.num_agpr, 0
	.set .L_ZN4vllm22paged_attention_kernelIthLi112ELi32ELi128ELNS_18Fp8KVCacheDataTypeE1ELb1ELi0EEEvPfS2_PT_PKS3_PKT0_S9_ifPKiSB_iPKfiiiSD_SD_iiiii.numbered_sgpr, 33
	.set .L_ZN4vllm22paged_attention_kernelIthLi112ELi32ELi128ELNS_18Fp8KVCacheDataTypeE1ELb1ELi0EEEvPfS2_PT_PKS3_PKT0_S9_ifPKiSB_iPKfiiiSD_SD_iiiii.num_named_barrier, 0
	.set .L_ZN4vllm22paged_attention_kernelIthLi112ELi32ELi128ELNS_18Fp8KVCacheDataTypeE1ELb1ELi0EEEvPfS2_PT_PKS3_PKT0_S9_ifPKiSB_iPKfiiiSD_SD_iiiii.private_seg_size, 428
	.set .L_ZN4vllm22paged_attention_kernelIthLi112ELi32ELi128ELNS_18Fp8KVCacheDataTypeE1ELb1ELi0EEEvPfS2_PT_PKS3_PKT0_S9_ifPKiSB_iPKfiiiSD_SD_iiiii.uses_vcc, 1
	.set .L_ZN4vllm22paged_attention_kernelIthLi112ELi32ELi128ELNS_18Fp8KVCacheDataTypeE1ELb1ELi0EEEvPfS2_PT_PKS3_PKT0_S9_ifPKiSB_iPKfiiiSD_SD_iiiii.uses_flat_scratch, 1
	.set .L_ZN4vllm22paged_attention_kernelIthLi112ELi32ELi128ELNS_18Fp8KVCacheDataTypeE1ELb1ELi0EEEvPfS2_PT_PKS3_PKT0_S9_ifPKiSB_iPKfiiiSD_SD_iiiii.has_dyn_sized_stack, 0
	.set .L_ZN4vllm22paged_attention_kernelIthLi112ELi32ELi128ELNS_18Fp8KVCacheDataTypeE1ELb1ELi0EEEvPfS2_PT_PKS3_PKT0_S9_ifPKiSB_iPKfiiiSD_SD_iiiii.has_recursion, 0
	.set .L_ZN4vllm22paged_attention_kernelIthLi112ELi32ELi128ELNS_18Fp8KVCacheDataTypeE1ELb1ELi0EEEvPfS2_PT_PKS3_PKT0_S9_ifPKiSB_iPKfiiiSD_SD_iiiii.has_indirect_call, 0
	.section	.AMDGPU.csdata,"",@progbits
; Function info:
; codeLenInByte = 76332
; TotalNumSgprs: 35
; NumVgprs: 128
; ScratchSize: 428
; MemoryBound: 0
	.section	.text._ZN4vllm25paged_attention_v1_kernelIthLi112ELi32ELi128ELNS_18Fp8KVCacheDataTypeE1ELb1EEEvPT_PKS2_PKT0_S8_ifPKiSA_iPKfiiiSC_SC_iiiii,"axG",@progbits,_ZN4vllm25paged_attention_v1_kernelIthLi112ELi32ELi128ELNS_18Fp8KVCacheDataTypeE1ELb1EEEvPT_PKS2_PKT0_S8_ifPKiSA_iPKfiiiSC_SC_iiiii,comdat
	.protected	_ZN4vllm25paged_attention_v1_kernelIthLi112ELi32ELi128ELNS_18Fp8KVCacheDataTypeE1ELb1EEEvPT_PKS2_PKT0_S8_ifPKiSA_iPKfiiiSC_SC_iiiii ; -- Begin function _ZN4vllm25paged_attention_v1_kernelIthLi112ELi32ELi128ELNS_18Fp8KVCacheDataTypeE1ELb1EEEvPT_PKS2_PKT0_S8_ifPKiSA_iPKfiiiSC_SC_iiiii
	.globl	_ZN4vllm25paged_attention_v1_kernelIthLi112ELi32ELi128ELNS_18Fp8KVCacheDataTypeE1ELb1EEEvPT_PKS2_PKT0_S8_ifPKiSA_iPKfiiiSC_SC_iiiii
	.p2align	8
	.type	_ZN4vllm25paged_attention_v1_kernelIthLi112ELi32ELi128ELNS_18Fp8KVCacheDataTypeE1ELb1EEEvPT_PKS2_PKT0_S8_ifPKiSA_iPKfiiiSC_SC_iiiii,@function
_ZN4vllm25paged_attention_v1_kernelIthLi112ELi32ELi128ELNS_18Fp8KVCacheDataTypeE1ELb1EEEvPT_PKS2_PKT0_S8_ifPKiSA_iPKfiiiSC_SC_iiiii: ; @_ZN4vllm25paged_attention_v1_kernelIthLi112ELi32ELi128ELNS_18Fp8KVCacheDataTypeE1ELb1EEEvPT_PKS2_PKT0_S8_ifPKiSA_iPKfiiiSC_SC_iiiii
; %bb.0:
	s_clause 0x6
	s_load_b256 s[12:19], s[0:1], 0x0
	s_load_b128 s[4:7], s[0:1], 0x20
	s_load_b96 s[28:30], s[0:1], 0x30
	s_load_b64 s[10:11], s[0:1], 0x40
	s_load_b96 s[36:38], s[0:1], 0x48
	s_load_b256 s[20:27], s[0:1], 0x58
	s_load_b32 s31, s[0:1], 0x78
	v_mov_b32_e32 v31, v0
	s_get_pc_i64 s[2:3]
	s_add_nc_u64 s[2:3], s[2:3], _ZN4vllm22paged_attention_kernelIthLi112ELi32ELi128ELNS_18Fp8KVCacheDataTypeE1ELb1ELi0EEEvPfS2_PT_PKS3_PKT0_S9_ifPKiSB_iPKfiiiSD_SD_iiiii@rel64+4
	s_add_nc_u64 s[8:9], s[0:1], 0x80
	s_mov_b32 s32, 0
	s_wait_kmcnt 0x0
	v_dual_mov_b32 v15, s10 :: v_dual_mov_b32 v16, s11
	v_dual_mov_b32 v0, s12 :: v_dual_mov_b32 v1, s13
	;; [unrolled: 1-line block ×14, first 2 shown]
	v_mov_b32_e32 v28, s31
	s_mov_b32 s15, 35
	s_swap_pc_i64 s[30:31], s[2:3]
	s_endpgm
	.section	.rodata,"a",@progbits
	.p2align	6, 0x0
	.amdhsa_kernel _ZN4vllm25paged_attention_v1_kernelIthLi112ELi32ELi128ELNS_18Fp8KVCacheDataTypeE1ELb1EEEvPT_PKS2_PKT0_S8_ifPKiSA_iPKfiiiSC_SC_iiiii
		.amdhsa_group_segment_fixed_size 256
		.amdhsa_private_segment_fixed_size 428
		.amdhsa_kernarg_size 384
		.amdhsa_user_sgpr_count 2
		.amdhsa_user_sgpr_dispatch_ptr 0
		.amdhsa_user_sgpr_queue_ptr 0
		.amdhsa_user_sgpr_kernarg_segment_ptr 1
		.amdhsa_user_sgpr_dispatch_id 0
		.amdhsa_user_sgpr_kernarg_preload_length 0
		.amdhsa_user_sgpr_kernarg_preload_offset 0
		.amdhsa_user_sgpr_private_segment_size 0
		.amdhsa_wavefront_size32 1
		.amdhsa_uses_dynamic_stack 0
		.amdhsa_enable_private_segment 1
		.amdhsa_system_sgpr_workgroup_id_x 1
		.amdhsa_system_sgpr_workgroup_id_y 1
		.amdhsa_system_sgpr_workgroup_id_z 1
		.amdhsa_system_sgpr_workgroup_info 0
		.amdhsa_system_vgpr_workitem_id 0
		.amdhsa_next_free_vgpr 128
		.amdhsa_next_free_sgpr 39
		.amdhsa_named_barrier_count 0
		.amdhsa_reserve_vcc 1
		.amdhsa_float_round_mode_32 0
		.amdhsa_float_round_mode_16_64 0
		.amdhsa_float_denorm_mode_32 3
		.amdhsa_float_denorm_mode_16_64 3
		.amdhsa_fp16_overflow 0
		.amdhsa_memory_ordered 1
		.amdhsa_forward_progress 1
		.amdhsa_inst_pref_size 2
		.amdhsa_round_robin_scheduling 0
		.amdhsa_exception_fp_ieee_invalid_op 0
		.amdhsa_exception_fp_denorm_src 0
		.amdhsa_exception_fp_ieee_div_zero 0
		.amdhsa_exception_fp_ieee_overflow 0
		.amdhsa_exception_fp_ieee_underflow 0
		.amdhsa_exception_fp_ieee_inexact 0
		.amdhsa_exception_int_div_zero 0
	.end_amdhsa_kernel
	.section	.text._ZN4vllm25paged_attention_v1_kernelIthLi112ELi32ELi128ELNS_18Fp8KVCacheDataTypeE1ELb1EEEvPT_PKS2_PKT0_S8_ifPKiSA_iPKfiiiSC_SC_iiiii,"axG",@progbits,_ZN4vllm25paged_attention_v1_kernelIthLi112ELi32ELi128ELNS_18Fp8KVCacheDataTypeE1ELb1EEEvPT_PKS2_PKT0_S8_ifPKiSA_iPKfiiiSC_SC_iiiii,comdat
.Lfunc_end280:
	.size	_ZN4vllm25paged_attention_v1_kernelIthLi112ELi32ELi128ELNS_18Fp8KVCacheDataTypeE1ELb1EEEvPT_PKS2_PKT0_S8_ifPKiSA_iPKfiiiSC_SC_iiiii, .Lfunc_end280-_ZN4vllm25paged_attention_v1_kernelIthLi112ELi32ELi128ELNS_18Fp8KVCacheDataTypeE1ELb1EEEvPT_PKS2_PKT0_S8_ifPKiSA_iPKfiiiSC_SC_iiiii
                                        ; -- End function
	.set _ZN4vllm25paged_attention_v1_kernelIthLi112ELi32ELi128ELNS_18Fp8KVCacheDataTypeE1ELb1EEEvPT_PKS2_PKT0_S8_ifPKiSA_iPKfiiiSC_SC_iiiii.num_vgpr, max(32, .L_ZN4vllm22paged_attention_kernelIthLi112ELi32ELi128ELNS_18Fp8KVCacheDataTypeE1ELb1ELi0EEEvPfS2_PT_PKS3_PKT0_S9_ifPKiSB_iPKfiiiSD_SD_iiiii.num_vgpr)
	.set _ZN4vllm25paged_attention_v1_kernelIthLi112ELi32ELi128ELNS_18Fp8KVCacheDataTypeE1ELb1EEEvPT_PKS2_PKT0_S8_ifPKiSA_iPKfiiiSC_SC_iiiii.num_agpr, max(0, .L_ZN4vllm22paged_attention_kernelIthLi112ELi32ELi128ELNS_18Fp8KVCacheDataTypeE1ELb1ELi0EEEvPfS2_PT_PKS3_PKT0_S9_ifPKiSB_iPKfiiiSD_SD_iiiii.num_agpr)
	.set _ZN4vllm25paged_attention_v1_kernelIthLi112ELi32ELi128ELNS_18Fp8KVCacheDataTypeE1ELb1EEEvPT_PKS2_PKT0_S8_ifPKiSA_iPKfiiiSC_SC_iiiii.numbered_sgpr, max(39, .L_ZN4vllm22paged_attention_kernelIthLi112ELi32ELi128ELNS_18Fp8KVCacheDataTypeE1ELb1ELi0EEEvPfS2_PT_PKS3_PKT0_S9_ifPKiSB_iPKfiiiSD_SD_iiiii.numbered_sgpr)
	.set _ZN4vllm25paged_attention_v1_kernelIthLi112ELi32ELi128ELNS_18Fp8KVCacheDataTypeE1ELb1EEEvPT_PKS2_PKT0_S8_ifPKiSA_iPKfiiiSC_SC_iiiii.num_named_barrier, max(0, .L_ZN4vllm22paged_attention_kernelIthLi112ELi32ELi128ELNS_18Fp8KVCacheDataTypeE1ELb1ELi0EEEvPfS2_PT_PKS3_PKT0_S9_ifPKiSB_iPKfiiiSD_SD_iiiii.num_named_barrier)
	.set _ZN4vllm25paged_attention_v1_kernelIthLi112ELi32ELi128ELNS_18Fp8KVCacheDataTypeE1ELb1EEEvPT_PKS2_PKT0_S8_ifPKiSA_iPKfiiiSC_SC_iiiii.private_seg_size, 0+max(.L_ZN4vllm22paged_attention_kernelIthLi112ELi32ELi128ELNS_18Fp8KVCacheDataTypeE1ELb1ELi0EEEvPfS2_PT_PKS3_PKT0_S9_ifPKiSB_iPKfiiiSD_SD_iiiii.private_seg_size)
	.set _ZN4vllm25paged_attention_v1_kernelIthLi112ELi32ELi128ELNS_18Fp8KVCacheDataTypeE1ELb1EEEvPT_PKS2_PKT0_S8_ifPKiSA_iPKfiiiSC_SC_iiiii.uses_vcc, or(1, .L_ZN4vllm22paged_attention_kernelIthLi112ELi32ELi128ELNS_18Fp8KVCacheDataTypeE1ELb1ELi0EEEvPfS2_PT_PKS3_PKT0_S9_ifPKiSB_iPKfiiiSD_SD_iiiii.uses_vcc)
	.set _ZN4vllm25paged_attention_v1_kernelIthLi112ELi32ELi128ELNS_18Fp8KVCacheDataTypeE1ELb1EEEvPT_PKS2_PKT0_S8_ifPKiSA_iPKfiiiSC_SC_iiiii.uses_flat_scratch, or(0, .L_ZN4vllm22paged_attention_kernelIthLi112ELi32ELi128ELNS_18Fp8KVCacheDataTypeE1ELb1ELi0EEEvPfS2_PT_PKS3_PKT0_S9_ifPKiSB_iPKfiiiSD_SD_iiiii.uses_flat_scratch)
	.set _ZN4vllm25paged_attention_v1_kernelIthLi112ELi32ELi128ELNS_18Fp8KVCacheDataTypeE1ELb1EEEvPT_PKS2_PKT0_S8_ifPKiSA_iPKfiiiSC_SC_iiiii.has_dyn_sized_stack, or(0, .L_ZN4vllm22paged_attention_kernelIthLi112ELi32ELi128ELNS_18Fp8KVCacheDataTypeE1ELb1ELi0EEEvPfS2_PT_PKS3_PKT0_S9_ifPKiSB_iPKfiiiSD_SD_iiiii.has_dyn_sized_stack)
	.set _ZN4vllm25paged_attention_v1_kernelIthLi112ELi32ELi128ELNS_18Fp8KVCacheDataTypeE1ELb1EEEvPT_PKS2_PKT0_S8_ifPKiSA_iPKfiiiSC_SC_iiiii.has_recursion, or(0, .L_ZN4vllm22paged_attention_kernelIthLi112ELi32ELi128ELNS_18Fp8KVCacheDataTypeE1ELb1ELi0EEEvPfS2_PT_PKS3_PKT0_S9_ifPKiSB_iPKfiiiSD_SD_iiiii.has_recursion)
	.set _ZN4vllm25paged_attention_v1_kernelIthLi112ELi32ELi128ELNS_18Fp8KVCacheDataTypeE1ELb1EEEvPT_PKS2_PKT0_S8_ifPKiSA_iPKfiiiSC_SC_iiiii.has_indirect_call, or(0, .L_ZN4vllm22paged_attention_kernelIthLi112ELi32ELi128ELNS_18Fp8KVCacheDataTypeE1ELb1ELi0EEEvPfS2_PT_PKS3_PKT0_S9_ifPKiSB_iPKfiiiSD_SD_iiiii.has_indirect_call)
	.section	.AMDGPU.csdata,"",@progbits
; Kernel info:
; codeLenInByte = 224
; TotalNumSgprs: 41
; NumVgprs: 128
; ScratchSize: 428
; MemoryBound: 0
; FloatMode: 240
; IeeeMode: 1
; LDSByteSize: 256 bytes/workgroup (compile time only)
; SGPRBlocks: 0
; VGPRBlocks: 7
; NumSGPRsForWavesPerEU: 41
; NumVGPRsForWavesPerEU: 128
; NamedBarCnt: 0
; Occupancy: 8
; WaveLimiterHint : 1
; COMPUTE_PGM_RSRC2:SCRATCH_EN: 1
; COMPUTE_PGM_RSRC2:USER_SGPR: 2
; COMPUTE_PGM_RSRC2:TRAP_HANDLER: 0
; COMPUTE_PGM_RSRC2:TGID_X_EN: 1
; COMPUTE_PGM_RSRC2:TGID_Y_EN: 1
; COMPUTE_PGM_RSRC2:TGID_Z_EN: 1
; COMPUTE_PGM_RSRC2:TIDIG_COMP_CNT: 0
	.text
	.p2align	2                               ; -- Begin function _ZN4vllm22paged_attention_kernelIthLi120ELi32ELi128ELNS_18Fp8KVCacheDataTypeE1ELb1ELi0EEEvPfS2_PT_PKS3_PKT0_S9_ifPKiSB_iPKfiiiSD_SD_iiiii
	.type	_ZN4vllm22paged_attention_kernelIthLi120ELi32ELi128ELNS_18Fp8KVCacheDataTypeE1ELb1ELi0EEEvPfS2_PT_PKS3_PKT0_S9_ifPKiSB_iPKfiiiSD_SD_iiiii,@function
_ZN4vllm22paged_attention_kernelIthLi120ELi32ELi128ELNS_18Fp8KVCacheDataTypeE1ELb1ELi0EEEvPfS2_PT_PKS3_PKT0_S9_ifPKiSB_iPKfiiiSD_SD_iiiii: ; @_ZN4vllm22paged_attention_kernelIthLi120ELi32ELi128ELNS_18Fp8KVCacheDataTypeE1ELb1ELi0EEEvPfS2_PT_PKS3_PKT0_S9_ifPKiSB_iPKfiiiSD_SD_iiiii
; %bb.0:
	s_wait_loadcnt_dscnt 0x0
	s_wait_kmcnt 0x0
	s_clause 0x2f
	scratch_store_b32 off, v40, s32 offset:188
	; meta instruction
	scratch_store_b32 off, v41, s32 offset:184
	; meta instruction
	;; [unrolled: 2-line block ×47, first 2 shown]
	scratch_store_b32 off, v127, s32
	s_bfe_u32 s0, ttmp6, 0x4000c
	s_bfe_u32 s3, ttmp6, 0x40010
	s_add_co_i32 s0, s0, 1
	s_and_b32 s1, ttmp6, 15
	s_mul_i32 s0, ttmp9, s0
	s_and_b32 s4, ttmp7, 0xffff
	s_add_co_i32 s3, s3, 1
	s_add_co_i32 s1, s1, s0
	s_mul_i32 s0, s4, s3
	s_bfe_u32 s3, ttmp6, 0x40004
	s_getreg_b32 s10, hwreg(HW_REG_IB_STS2, 6, 4)
	s_add_co_i32 s3, s3, s0
	s_cmp_eq_u32 s10, 0
	s_mov_b32 s7, 0
	s_cselect_b32 s11, s4, s3
	s_cselect_b32 s0, ttmp9, s1
	s_lshl_b32 s6, s11, 2
	s_clause 0x7
	scratch_store_b32 off, v26, s32 offset:372
	scratch_store_b64 off, v[22:23], s32 offset:192
	scratch_store_b64 off, v[20:21], s32 offset:344
	;; [unrolled: 1-line block ×4, first 2 shown]
	scratch_store_b32 off, v9, s32 offset:352
	scratch_store_b64 off, v[6:7], s32 offset:424
	scratch_store_b64 off, v[0:1], s32 offset:408
	s_wait_xcnt 0x1
	v_add_nc_u64_e32 v[6:7], s[6:7], v[12:13]
	s_wait_xcnt 0x0
	v_mov_b32_e32 v1, 0
	s_clause 0x1
	s_load_u16 s1, s[8:9], 0x12
	s_load_b32 s3, s[8:9], 0x0
	v_dual_mov_b32 v33, v16 :: v_dual_mov_b32 v32, v15
	s_mov_b32 s2, s15
	flat_load_b32 v12, v[6:7]
	s_wait_xcnt 0x0
	v_sub_nc_u32_e32 v6, 0, v8
	global_load_u16 v0, v1, s[8:9] offset:22
	v_max_i32_e32 v6, v8, v6
	s_delay_alu instid0(VALU_DEP_1) | instskip(SKIP_2) | instid1(VALU_DEP_1)
	v_cvt_f32_u32_e32 v7, v6
	s_wait_kmcnt 0x0
	s_cmp_lg_u32 s1, 0
	v_rcp_iflag_f32_e32 v7, v7
	s_cselect_b32 s1, -1, 0
	s_delay_alu instid0(SALU_CYCLE_1) | instskip(SKIP_3) | instid1(TRANS32_DEP_1)
	s_cmp_lg_u32 s1, 0
	s_add_co_ci_u32 s12, s3, 0
	s_abs_i32 s6, s0
	v_nop
	v_mul_f32_e32 v7, 0x4f7ffffe, v7
	v_sub_nc_u32_e32 v9, 0, v6
	s_abs_i32 s1, s12
	s_mov_b32 s3, exec_lo
	s_delay_alu instid0(VALU_DEP_2) | instskip(NEXT) | instid1(VALU_DEP_1)
	v_cvt_u32_f32_e32 v7, v7
	v_mul_lo_u32 v9, v9, v7
	s_delay_alu instid0(VALU_DEP_1) | instskip(NEXT) | instid1(VALU_DEP_1)
	v_mul_hi_u32 v9, v7, v9
	v_add_nc_u32_e32 v7, v7, v9
	s_delay_alu instid0(VALU_DEP_1) | instskip(NEXT) | instid1(VALU_DEP_1)
	v_mul_hi_u32 v7, s1, v7
	v_mul_lo_u32 v9, v7, v6
	s_delay_alu instid0(VALU_DEP_1) | instskip(NEXT) | instid1(VALU_DEP_1)
	v_dual_add_nc_u32 v10, 1, v7 :: v_dual_sub_nc_u32 v9, s1, v9
	v_sub_nc_u32_e32 v11, v9, v6
	v_cmp_ge_u32_e32 vcc_lo, v9, v6
	s_delay_alu instid0(VALU_DEP_3) | instskip(NEXT) | instid1(VALU_DEP_3)
	v_dual_cndmask_b32 v7, v7, v10, vcc_lo :: v_dual_bitop2_b32 v10, s12, v8 bitop3:0x14
	v_cndmask_b32_e32 v9, v9, v11, vcc_lo
	s_delay_alu instid0(VALU_DEP_2) | instskip(NEXT) | instid1(VALU_DEP_2)
	v_dual_add_nc_u32 v11, 1, v7 :: v_dual_ashrrev_i32 v10, 31, v10
	v_cmp_ge_u32_e32 vcc_lo, v9, v6
	s_delay_alu instid0(VALU_DEP_2) | instskip(NEXT) | instid1(VALU_DEP_1)
	v_cndmask_b32_e32 v6, v7, v11, vcc_lo
	v_xor_b32_e32 v6, v6, v10
	s_delay_alu instid0(VALU_DEP_1) | instskip(NEXT) | instid1(VALU_DEP_1)
	v_sub_nc_u32_e32 v7, v6, v10
	v_sub_nc_u32_e32 v6, 0, v7
	s_delay_alu instid0(VALU_DEP_1) | instskip(NEXT) | instid1(VALU_DEP_1)
	v_max_i32_e32 v6, v7, v6
	v_cvt_f32_u32_e32 v9, v6
	v_sub_nc_u32_e32 v10, 0, v6
	s_delay_alu instid0(VALU_DEP_2) | instskip(SKIP_1) | instid1(TRANS32_DEP_1)
	v_rcp_iflag_f32_e32 v9, v9
	v_nop
	v_mul_f32_e32 v9, 0x4f7ffffe, v9
	s_delay_alu instid0(VALU_DEP_1) | instskip(NEXT) | instid1(VALU_DEP_1)
	v_cvt_u32_f32_e32 v9, v9
	v_mul_lo_u32 v10, v10, v9
	s_delay_alu instid0(VALU_DEP_1) | instskip(SKIP_2) | instid1(VALU_DEP_2)
	v_mul_hi_u32 v10, v9, v10
	s_wait_loadcnt 0x0
	v_readfirstlane_b32 s13, v0
	v_add_nc_u32_e32 v0, v9, v10
	v_mov_b32_e32 v9, v1
	scratch_store_b32 off, v9, s32 offset:340 ; 4-byte Folded Spill
	s_wait_xcnt 0x0
	v_cmpx_ne_u64_e32 0, v[32:33]
	s_cbranch_execz .LBB281_2
; %bb.1:
	s_ashr_i32 s1, s0, 31
	s_delay_alu instid0(SALU_CYCLE_1)
	v_lshl_add_u64 v[10:11], s[0:1], 2, v[32:33]
	flat_load_b32 v9, v[10:11]
	s_wait_loadcnt_dscnt 0x0
	scratch_store_b32 off, v9, s32 offset:340 ; 4-byte Folded Spill
.LBB281_2:
	s_wait_xcnt 0x0
	s_or_b32 exec_lo, exec_lo, s3
	v_mul_u64_e32 v[0:1], s[6:7], v[0:1]
	v_and_b32_e32 v13, 0x3ff, v31
	v_ashrrev_i32_e32 v0, 31, v7
	s_ashr_i32 s1, s0, 31
	s_mul_i32 s4, s0, 0x78
	s_mov_b32 s3, exec_lo
	v_cmpx_gt_u32_e32 15, v13
	s_cbranch_execz .LBB281_4
; %bb.3:
	v_mul_lo_u32 v10, v17, s11
	s_ashr_i32 s5, s4, 31
	s_delay_alu instid0(VALU_DEP_1) | instskip(NEXT) | instid1(VALU_DEP_1)
	v_ashrrev_i32_e32 v11, 31, v10
	v_lshl_add_u64 v[2:3], v[10:11], 1, v[2:3]
	v_dual_mov_b32 v11, 0 :: v_dual_lshlrev_b32 v10, 4, v13
	s_delay_alu instid0(VALU_DEP_2) | instskip(NEXT) | instid1(VALU_DEP_1)
	v_lshl_add_u64 v[2:3], s[4:5], 1, v[2:3]
	v_add_nc_u64_e32 v[2:3], v[2:3], v[10:11]
	flat_load_b128 v[20:23], v[2:3]
	s_wait_loadcnt_dscnt 0x0
	ds_store_b128 v10, v[20:23]
.LBB281_4:
	s_wait_xcnt 0x0
	s_or_b32 exec_lo, exec_lo, s3
	s_delay_alu instid0(VALU_DEP_4) | instskip(SKIP_3) | instid1(VALU_DEP_3)
	v_dual_sub_nc_u32 v2, 0, v27 :: v_dual_add_nc_u32 v9, 1, v1
	v_mul_lo_u32 v3, v1, v6
	v_xor_b32_e32 v11, s1, v0
	s_mov_b32 s1, exec_lo
	v_max_i32_e32 v7, v27, v2
	s_delay_alu instid0(VALU_DEP_1) | instskip(NEXT) | instid1(VALU_DEP_4)
	v_cvt_f32_u32_e32 v2, v7
	v_sub_nc_u32_e32 v3, s6, v3
	s_delay_alu instid0(VALU_DEP_2) | instskip(NEXT) | instid1(VALU_DEP_1)
	v_rcp_iflag_f32_e32 v2, v2
	v_cmp_ge_u32_e32 vcc_lo, v3, v6
	s_delay_alu instid0(TRANS32_DEP_1) | instskip(SKIP_4) | instid1(VALU_DEP_2)
	v_mul_f32_e32 v2, 0x4f7ffffe, v2
	scratch_store_b32 off, v7, s32 offset:212 ; 4-byte Folded Spill
	s_wait_xcnt 0x0
	v_dual_sub_nc_u32 v7, 0, v7 :: v_dual_cndmask_b32 v1, v1, v9, vcc_lo
	v_cvt_u32_f32_e32 v2, v2
	v_add_nc_u32_e32 v9, 1, v1
	s_delay_alu instid0(VALU_DEP_2) | instskip(SKIP_2) | instid1(VALU_DEP_1)
	v_mul_lo_u32 v10, v7, v2
	v_sub_nc_u32_e32 v7, v3, v6
	s_wait_dscnt 0x0
	v_dual_cndmask_b32 v3, v3, v7, vcc_lo :: v_dual_add_nc_u32 v7, -1, v12
	s_delay_alu instid0(VALU_DEP_1) | instskip(NEXT) | instid1(VALU_DEP_4)
	v_cmp_ge_u32_e32 vcc_lo, v3, v6
	v_mul_hi_u32 v10, v2, v10
	v_dual_cndmask_b32 v0, v1, v9 :: v_dual_mov_b32 v1, 0
	s_delay_alu instid0(VALU_DEP_4) | instskip(NEXT) | instid1(VALU_DEP_2)
	v_sub_nc_u32_e32 v3, 0, v7
	v_dual_mov_b32 v17, v1 :: v_dual_bitop2_b32 v6, v0, v11 bitop3:0x14
	s_delay_alu instid0(VALU_DEP_2) | instskip(NEXT) | instid1(VALU_DEP_2)
	v_dual_add_nc_u32 v16, v2, v10 :: v_dual_max_i32 v0, v7, v3
                                        ; implicit-def: $vgpr2
                                        ; kill: killed $vgpr2
	v_sub_nc_u32_e32 v6, v6, v11
	scratch_store_b64 off, v[16:17], s32 offset:216 ; 8-byte Folded Spill
	s_wait_storecnt 0x0
	s_barrier_signal -1
	s_barrier_wait -1
	s_wait_xcnt 0x0
	v_cmpx_gt_i32_e32 0, v28
	s_xor_b32 s1, exec_lo, s1
	s_cbranch_execz .LBB281_6
; %bb.5:
	v_mad_u32 v2, v24, v8, v6
                                        ; implicit-def: $vgpr24
	s_delay_alu instid0(VALU_DEP_1) | instskip(NEXT) | instid1(VALU_DEP_1)
	v_mul_lo_u32 v2, v2, v28
                                        ; implicit-def: $vgpr28
	v_sub_nc_u32_e32 v2, 1, v2
	scratch_store_b32 off, v2, s32 offset:228 ; 4-byte Folded Spill
.LBB281_6:
	s_wait_xcnt 0x0
	s_or_saveexec_b32 s1, s1
	scratch_load_b64 v[2:3], off, s32 offset:216 ; 8-byte Folded Reload
	s_wait_loadcnt 0x0
	v_mul_u64_e32 v[2:3], v[0:1], v[2:3]
	v_ashrrev_i32_e32 v1, 31, v7
	v_ashrrev_i32_e32 v2, 31, v27
	scratch_store_b32 off, v2, s32 offset:224 ; 4-byte Folded Spill
	s_wait_xcnt 0x0
	s_xor_b32 exec_lo, exec_lo, s1
	s_cbranch_execz .LBB281_8
; %bb.7:
	v_mad_u32 v2, s12, v24, s0
	s_delay_alu instid0(VALU_DEP_1)
	v_mad_u32 v2, v2, v28, 1
	scratch_store_b32 off, v2, s32 offset:228 ; 4-byte Folded Spill
.LBB281_8:
	s_wait_xcnt 0x0
	s_or_b32 exec_lo, exec_lo, s1
	scratch_load_b32 v11, off, s32 offset:212 ; 4-byte Folded Reload
	v_mul_lo_u32 v14, v14, s11
	v_mul_lo_u32 v16, v6, v19
	s_load_b32 s5, s[8:9], 0x8
	s_ashr_i32 s3, s2, 31
	s_get_pc_i64 s[6:7]
	s_add_nc_u64 s[6:7], s[6:7], llvm.amdgcn.dynlds.offset.table@rel64+4
	s_lshl_b64 s[2:3], s[2:3], 2
	v_lshrrev_b32_e32 v9, 5, v13
	s_add_nc_u64 s[6:7], s[6:7], s[2:3]
	s_delay_alu instid0(VALU_DEP_3) | instskip(SKIP_3) | instid1(VALU_DEP_1)
	v_ashrrev_i32_e32 v15, 31, v14
	scratch_store_b64 off, v[14:15], s32 offset:384 ; 8-byte Folded Spill
	s_wait_loadcnt 0x0
	v_mul_lo_u32 v2, v3, v11
	v_dual_sub_nc_u32 v0, v0, v2 :: v_dual_add_nc_u32 v2, 1, v3
	s_delay_alu instid0(VALU_DEP_1) | instskip(SKIP_1) | instid1(VALU_DEP_3)
	v_dual_add_nc_u32 v7, 31, v12 :: v_dual_sub_nc_u32 v8, v0, v11
	v_cmp_ge_u32_e32 vcc_lo, v0, v11
	v_cndmask_b32_e32 v2, v3, v2, vcc_lo
	scratch_load_b32 v3, off, s32 offset:224 ; 4-byte Folded Reload
	v_cndmask_b32_e32 v0, v0, v8, vcc_lo
	s_delay_alu instid0(VALU_DEP_1) | instskip(SKIP_3) | instid1(VALU_DEP_1)
	v_cmp_ge_u32_e32 vcc_lo, v0, v11
	s_wait_loadcnt 0x0
	v_xor_b32_e32 v1, v1, v3
	v_dual_ashrrev_i32 v3, 31, v7 :: v_dual_add_nc_u32 v8, 1, v2
	v_dual_lshrrev_b32 v3, 27, v3 :: v_dual_bitop2_b32 v10, 31, v13 bitop3:0x40
	s_delay_alu instid0(VALU_DEP_2)
	v_cndmask_b32_e32 v0, v2, v8, vcc_lo
	v_mov_b32_e32 v22, 0xff7fffff
	scratch_store_b32 off, v10, s32 offset:336 ; 4-byte Folded Spill
	v_add_nc_u32_e32 v2, v7, v3
	scratch_load_b32 v3, off, s32 offset:372 ; 4-byte Folded Reload
	v_xor_b32_e32 v0, v0, v1
	v_dual_lshlrev_b32 v6, 5, v9 :: v_dual_ashrrev_i32 v2, 5, v2
	scratch_store_b64 off, v[6:7], s32 offset:416 ; 8-byte Folded Spill
	s_wait_xcnt 0x0
	v_lshlrev_b32_e32 v7, 2, v10
	v_cmp_lt_i32_e64 s0, v9, v2
	s_wait_loadcnt 0x0
	v_dual_sub_nc_u32 v3, 0, v3 :: v_dual_sub_nc_u32 v0, v0, v1
	v_ashrrev_i32_e32 v17, 31, v16
	scratch_store_b32 off, v3, s32 offset:404 ; 4-byte Folded Spill
	v_sub_nc_u32_e32 v0, v0, v25
	s_clause 0x3
	scratch_store_b64 off, v[16:17], s32 offset:396
	scratch_store_b32 off, v9, s32 offset:368
	scratch_store_b32 off, v2, s32 offset:208
	;; [unrolled: 1-line block ×3, first 2 shown]
	s_wait_xcnt 0x0
	v_lshrrev_b32_e32 v0, 3, v13
	scratch_store_b32 off, v0, s32 offset:392 ; 4-byte Folded Spill
	s_wait_xcnt 0x0
	s_and_saveexec_b32 s3, s0
	s_cbranch_execz .LBB281_976
; %bb.9:
	s_clause 0x2
	scratch_store_b32 off, v13, s32 offset:432
	scratch_load_b32 v0, off, s32 offset:372
	scratch_load_b32 v1, off, s32 offset:404
	s_load_b32 s14, s[6:7], 0x0
	v_mov_b32_e32 v22, 0xff7fffff
	s_mov_b64 s[8:9], 0xffffffffffffff
	s_mov_b32 s15, 0
	s_clause 0x1
	scratch_store_b32 off, v7, s32 offset:436
	scratch_load_b32 v31, off, s32 offset:368
	s_wait_loadcnt 0x1
	v_dual_mov_b32 v25, 0 :: v_dual_max_i32 v1, v0, v1
	s_delay_alu instid0(VALU_DEP_1) | instskip(SKIP_1) | instid1(VALU_DEP_2)
	v_cvt_f32_u32_e32 v0, v1
	s_wait_loadcnt 0x0
	v_dual_mov_b32 v9, v25 :: v_dual_lshlrev_b32 v32, 5, v31
	s_wait_xcnt 0x1
	v_lshl_or_b32 v7, v31, 7, v7
	v_rcp_iflag_f32_e32 v0, v0
	v_nop
	s_delay_alu instid0(TRANS32_DEP_1) | instskip(SKIP_4) | instid1(VALU_DEP_1)
	v_mul_f32_e32 v0, 0x4f7ffffe, v0
	scratch_store_b32 off, v1, s32 offset:288 ; 4-byte Folded Spill
	s_wait_xcnt 0x0
	v_sub_nc_u32_e32 v1, 0, v1
	v_cvt_u32_f32_e32 v2, v0
	v_mul_lo_u32 v3, v1, v2
	scratch_load_b64 v[0:1], off, s32 offset:396 ; 8-byte Folded Reload
	v_mul_hi_u32 v3, v2, v3
	s_delay_alu instid0(VALU_DEP_1)
	v_add_nc_u32_e32 v8, v2, v3
	scratch_store_b64 off, v[8:9], s32 offset:292 ; 8-byte Folded Spill
	s_wait_loadcnt 0x0
	v_add_nc_u64_e32 v[0:1], v[4:5], v[0:1]
	s_clause 0x1
	scratch_load_b32 v4, off, s32 offset:336
	scratch_load_b32 v5, off, s32 offset:340
	s_wait_loadcnt 0x1
	v_lshlrev_b32_e32 v24, 4, v4
	v_sub_nc_u32_e32 v4, v4, v12
	s_wait_loadcnt 0x0
	v_cmp_neq_f32_e32 vcc_lo, 0, v5
	s_delay_alu instid0(VALU_DEP_3) | instskip(NEXT) | instid1(VALU_DEP_3)
	v_add_nc_u64_e32 v[0:1], v[0:1], v[24:25]
	v_add_nc_u32_e32 v4, 1, v4
	s_clause 0x3
	scratch_store_b32 off, v4, s32 offset:364
	scratch_store_b64 off, v[0:1], s32 offset:356
	scratch_load_b32 v0, off, s32 offset:392
	scratch_load_b64 v[4:5], off, s32 offset:376
	s_wait_loadcnt 0x1
	v_and_b32_e32 v24, 0x7c, v0
	scratch_load_b64 v[0:1], off, s32 offset:384 ; 8-byte Folded Reload
	s_wait_loadcnt 0x0
	v_lshl_add_u64 v[0:1], v[0:1], 2, v[24:25]
	s_delay_alu instid0(VALU_DEP_1)
	v_add_nc_u64_e32 v[0:1], v[4:5], v[0:1]
	scratch_store_b64 off, v[0:1], s32 offset:200 ; 8-byte Folded Spill
	s_branch .LBB281_15
.LBB281_10:                             ;   in Loop: Header=BB281_15 Depth=1
	s_or_b32 exec_lo, exec_lo, s19
	v_lshlrev_b32_e32 v3, 8, v24
	v_lshl_add_u32 v2, v2, 10, 0x2000
	v_lshlrev_b32_e32 v0, 23, v0
	s_delay_alu instid0(VALU_DEP_2) | instskip(NEXT) | instid1(VALU_DEP_1)
	v_and_or_b32 v2, 0x8000, v3, v2
	v_lshl_or_b32 v19, v2, 16, v0
.LBB281_11:                             ;   in Loop: Header=BB281_15 Depth=1
	s_or_b32 exec_lo, exec_lo, s18
.LBB281_12:                             ;   in Loop: Header=BB281_15 Depth=1
	s_delay_alu instid0(SALU_CYCLE_1)
	s_or_b32 exec_lo, exec_lo, s17
.LBB281_13:                             ;   in Loop: Header=BB281_15 Depth=1
	s_delay_alu instid0(SALU_CYCLE_1) | instskip(SKIP_3) | instid1(VALU_DEP_1)
	s_or_b32 exec_lo, exec_lo, s16
	ds_load_b128 v[2:5], v25
	s_load_b32 s16, s[6:7], 0x0
	v_or_b32_e32 v6, v19, v6
	v_fma_mixlo_f16 v6, v33, v6, 0 op_sel_hi:[0,1,0]
	s_delay_alu instid0(VALU_DEP_1)
	v_and_b32_e32 v6, 0xffff, v6
	s_wait_dscnt 0x0
	v_dual_lshrrev_b32 v0, 16, v2 :: v_dual_lshrrev_b32 v22, 16, v3
	v_and_b32_e32 v2, 0xffff, v2
	;;#ASMSTART
	v_cvt_f32_f16 v26, v2;
	;;#ASMEND
	;;#ASMSTART
	v_cvt_f32_f16 v27, v0;
	;;#ASMEND
	v_or_b32_e32 v0, v1, v15
	v_or_b32_e32 v2, v39, v14
	v_fma_mixlo_f16 v1, v33, v1, 0 op_sel:[0,1,0] op_sel_hi:[0,1,0]
	v_and_b32_e32 v3, 0xffff, v3
	v_dual_lshrrev_b32 v24, 16, v4 :: v_dual_lshrrev_b32 v35, 16, v5
	v_fma_mixlo_f16 v0, v33, v0, 0 op_sel_hi:[0,1,0]
	v_fma_mixlo_f16 v2, v33, v2, 0 op_sel_hi:[0,1,0]
	v_and_b32_e32 v1, 0xffff, v1
	v_and_b32_e32 v4, 0xffff, v4
	;; [unrolled: 1-line block ×4, first 2 shown]
	;;#ASMSTART
	v_cvt_f32_f16 v28, v0;
	;;#ASMEND
	;;#ASMSTART
	v_cvt_f32_f16 v29, v1;
	;;#ASMEND
	;; [unrolled: 3-line block ×3, first 2 shown]
	v_fma_mixlo_f16 v3, v33, v39, 0 op_sel:[0,1,0] op_sel_hi:[0,1,0]
	v_and_b32_e32 v2, 0xffff, v2
	;;#ASMSTART
	v_cvt_f32_f16 v0, v22;
	;;#ASMEND
	;;#ASMSTART
	v_cvt_f32_f16 v15, v2;
	;;#ASMEND
	v_or_b32_e32 v2, v55, v38
	v_and_b32_e32 v3, 0xffff, v3
	;;#ASMSTART
	v_cvt_f32_f16 v14, v3;
	;;#ASMEND
	;;#ASMSTART
	v_cvt_f32_f16 v49, v4;
	;;#ASMEND
	;; [unrolled: 3-line block ×3, first 2 shown]
	v_fma_mixlo_f16 v2, v33, v2, 0 op_sel_hi:[0,1,0]
	v_fma_mixlo_f16 v3, v33, v55, 0 op_sel:[0,1,0] op_sel_hi:[0,1,0]
	s_delay_alu instid0(VALU_DEP_2) | instskip(NEXT) | instid1(VALU_DEP_2)
	v_and_b32_e32 v2, 0xffff, v2
	v_and_b32_e32 v3, 0xffff, v3
	;;#ASMSTART
	v_cvt_f32_f16 v65, v2;
	;;#ASMEND
	v_or_b32_e32 v2, v50, v54
	;;#ASMSTART
	v_cvt_f32_f16 v64, v3;
	;;#ASMEND
	;;#ASMSTART
	v_cvt_f32_f16 v39, v5;
	;;#ASMEND
	v_fma_mixlo_f16 v3, v33, v50, 0 op_sel:[0,1,0] op_sel_hi:[0,1,0]
	;;#ASMSTART
	v_cvt_f32_f16 v38, v35;
	;;#ASMEND
	v_fma_mixlo_f16 v2, v33, v2, 0 op_sel_hi:[0,1,0]
	s_delay_alu instid0(VALU_DEP_2) | instskip(NEXT) | instid1(VALU_DEP_2)
	v_and_b32_e32 v3, 0xffff, v3
	v_and_b32_e32 v2, 0xffff, v2
	;;#ASMSTART
	v_cvt_f32_f16 v55, v2;
	;;#ASMEND
	;;#ASMSTART
	v_cvt_f32_f16 v54, v3;
	;;#ASMEND
	ds_load_b128 v[2:5], v25 offset:16
	s_wait_dscnt 0x0
	v_and_b32_e32 v22, 0xffff, v2
	v_lshrrev_b32_e32 v2, 16, v2
	;;#ASMSTART
	v_cvt_f32_f16 v44, v22;
	;;#ASMEND
	;;#ASMSTART
	v_cvt_f32_f16 v45, v2;
	;;#ASMEND
	v_or_b32_e32 v2, v52, v67
	v_fma_mixlo_f16 v22, v33, v52, 0 op_sel:[0,1,0] op_sel_hi:[0,1,0]
	v_lshrrev_b32_e32 v24, 16, v5
	v_and_b32_e32 v5, 0xffff, v5
	s_delay_alu instid0(VALU_DEP_4) | instskip(NEXT) | instid1(VALU_DEP_4)
	v_fma_mixlo_f16 v2, v33, v2, 0 op_sel_hi:[0,1,0]
	v_and_b32_e32 v22, 0xffff, v22
	s_delay_alu instid0(VALU_DEP_2)
	v_and_b32_e32 v2, 0xffff, v2
	;;#ASMSTART
	v_cvt_f32_f16 v104, v2;
	;;#ASMEND
	;;#ASMSTART
	v_cvt_f32_f16 v105, v22;
	;;#ASMEND
	v_pk_mul_f32 v[44:45], v[44:45], v[104:105]
	v_lshrrev_b32_e32 v2, 16, v3
	v_and_b32_e32 v3, 0xffff, v3
	v_lshrrev_b32_e32 v22, 16, v4
	v_and_b32_e32 v4, 0xffff, v4
	v_pk_fma_f32 v[26:27], v[26:27], v[28:29], v[44:45]
	;;#ASMSTART
	v_cvt_f32_f16 v29, v3;
	;;#ASMEND
	;;#ASMSTART
	v_cvt_f32_f16 v28, v2;
	;;#ASMEND
	v_or_b32_e32 v2, v66, v51
	v_fma_mixlo_f16 v3, v33, v66, 0 op_sel:[0,1,0] op_sel_hi:[0,1,0]
	s_delay_alu instid0(VALU_DEP_2) | instskip(NEXT) | instid1(VALU_DEP_2)
	v_fma_mixlo_f16 v2, v33, v2, 0 op_sel_hi:[0,1,0]
	v_and_b32_e32 v3, 0xffff, v3
	s_delay_alu instid0(VALU_DEP_2)
	v_and_b32_e32 v2, 0xffff, v2
	;;#ASMSTART
	v_cvt_f32_f16 v51, v2;
	;;#ASMEND
	v_or_b32_e32 v2, v68, v53
	;;#ASMSTART
	v_cvt_f32_f16 v50, v3;
	;;#ASMEND
	v_fma_mixlo_f16 v3, v33, v68, 0 op_sel:[0,1,0] op_sel_hi:[0,1,0]
	;;#ASMSTART
	v_cvt_f32_f16 v45, v4;
	;;#ASMEND
	;;#ASMSTART
	v_cvt_f32_f16 v44, v22;
	;;#ASMEND
	v_fma_mixlo_f16 v2, v33, v2, 0 op_sel_hi:[0,1,0]
	s_delay_alu instid0(VALU_DEP_2) | instskip(NEXT) | instid1(VALU_DEP_2)
	v_and_b32_e32 v3, 0xffff, v3
	v_and_b32_e32 v2, 0xffff, v2
	;;#ASMSTART
	v_cvt_f32_f16 v105, v2;
	;;#ASMEND
	v_or_b32_e32 v2, v71, v69
	;;#ASMSTART
	v_cvt_f32_f16 v104, v3;
	;;#ASMEND
	v_fma_mixlo_f16 v3, v33, v71, 0 op_sel:[0,1,0] op_sel_hi:[0,1,0]
	;;#ASMSTART
	v_cvt_f32_f16 v67, v5;
	;;#ASMEND
	;;#ASMSTART
	v_cvt_f32_f16 v66, v24;
	;;#ASMEND
	v_fma_mixlo_f16 v2, v33, v2, 0 op_sel_hi:[0,1,0]
	s_delay_alu instid0(VALU_DEP_2) | instskip(NEXT) | instid1(VALU_DEP_2)
	v_and_b32_e32 v3, 0xffff, v3
	v_and_b32_e32 v2, 0xffff, v2
	;;#ASMSTART
	v_cvt_f32_f16 v69, v2;
	;;#ASMEND
	;;#ASMSTART
	v_cvt_f32_f16 v68, v3;
	;;#ASMEND
	ds_load_b128 v[2:5], v25 offset:32
	s_wait_dscnt 0x0
	v_and_b32_e32 v22, 0xffff, v2
	v_lshrrev_b32_e32 v2, 16, v2
	;;#ASMSTART
	v_cvt_f32_f16 v52, v22;
	;;#ASMEND
	;;#ASMSTART
	v_cvt_f32_f16 v53, v2;
	;;#ASMEND
	v_or_b32_e32 v2, v83, v43
	v_fma_mixlo_f16 v22, v33, v83, 0 op_sel:[0,1,0] op_sel_hi:[0,1,0]
	s_delay_alu instid0(VALU_DEP_2) | instskip(NEXT) | instid1(VALU_DEP_2)
	v_fma_mixlo_f16 v2, v33, v2, 0 op_sel_hi:[0,1,0]
	v_and_b32_e32 v22, 0xffff, v22
	s_delay_alu instid0(VALU_DEP_2)
	v_and_b32_e32 v2, 0xffff, v2
	;;#ASMSTART
	v_cvt_f32_f16 v70, v2;
	;;#ASMEND
	;;#ASMSTART
	v_cvt_f32_f16 v71, v22;
	;;#ASMEND
	v_pk_fma_f32 v[52:53], v[52:53], v[70:71], v[26:27]
	v_pk_mul_f32 v[26:27], v[28:29], v[50:51]
	v_and_b32_e32 v2, 0xffff, v3
	s_delay_alu instid0(VALU_DEP_2)
	v_pk_fma_f32 v[0:1], v[0:1], v[14:15], v[26:27]
	v_lshrrev_b32_e32 v14, 16, v3
	;;#ASMSTART
	v_cvt_f32_f16 v3, v2;
	;;#ASMEND
	;;#ASMSTART
	v_cvt_f32_f16 v2, v14;
	;;#ASMEND
	v_or_b32_e32 v14, v85, v117
	v_fma_mixlo_f16 v15, v33, v85, 0 op_sel:[0,1,0] op_sel_hi:[0,1,0]
	s_delay_alu instid0(VALU_DEP_2) | instskip(NEXT) | instid1(VALU_DEP_2)
	v_fma_mixlo_f16 v14, v33, v14, 0 op_sel_hi:[0,1,0]
	v_and_b32_e32 v22, 0xffff, v15
	s_delay_alu instid0(VALU_DEP_2) | instskip(SKIP_2) | instid1(VALU_DEP_1)
	v_and_b32_e32 v14, 0xffff, v14
	;;#ASMSTART
	v_cvt_f32_f16 v15, v14;
	;;#ASMEND
	;;#ASMSTART
	v_cvt_f32_f16 v14, v22;
	;;#ASMEND
	v_pk_fma_f32 v[50:51], v[2:3], v[14:15], v[0:1]
	v_and_b32_e32 v2, 0xffff, v4
	v_lshrrev_b32_e32 v4, 16, v4
	v_pk_mul_f32 v[0:1], v[44:45], v[104:105]
	;;#ASMSTART
	v_cvt_f32_f16 v3, v2;
	;;#ASMEND
	;;#ASMSTART
	v_cvt_f32_f16 v2, v4;
	;;#ASMEND
	v_or_b32_e32 v4, v57, v84
	v_fma_mixlo_f16 v14, v33, v57, 0 op_sel:[0,1,0] op_sel_hi:[0,1,0]
	v_pk_fma_f32 v[0:1], v[48:49], v[64:65], v[0:1]
	s_delay_alu instid0(VALU_DEP_3) | instskip(NEXT) | instid1(VALU_DEP_3)
	v_fma_mixlo_f16 v4, v33, v4, 0 op_sel_hi:[0,1,0]
	v_and_b32_e32 v14, 0xffff, v14
	s_delay_alu instid0(VALU_DEP_2) | instskip(SKIP_2) | instid1(VALU_DEP_2)
	v_and_b32_e32 v4, 0xffff, v4
	;;#ASMSTART
	v_cvt_f32_f16 v15, v4;
	;;#ASMEND
	;;#ASMSTART
	v_cvt_f32_f16 v14, v14;
	;;#ASMEND
	v_pk_fma_f32 v[48:49], v[2:3], v[14:15], v[0:1]
	v_or_b32_e32 v2, v101, v118
	v_pk_mul_f32 v[0:1], v[66:67], v[68:69]
	v_fma_mixlo_f16 v3, v33, v101, 0 op_sel:[0,1,0] op_sel_hi:[0,1,0]
	v_and_b32_e32 v4, 0xffff, v5
	v_lshrrev_b32_e32 v5, 16, v5
	v_fma_mixlo_f16 v2, v33, v2, 0 op_sel_hi:[0,1,0]
	v_pk_fma_f32 v[0:1], v[38:39], v[54:55], v[0:1]
	v_and_b32_e32 v15, 0xffff, v3
	;;#ASMSTART
	v_cvt_f32_f16 v3, v4;
	;;#ASMEND
	s_delay_alu instid0(VALU_DEP_3)
	v_and_b32_e32 v14, 0xffff, v2
	;;#ASMSTART
	v_cvt_f32_f16 v2, v5;
	;;#ASMEND
	;;#ASMSTART
	v_cvt_f32_f16 v5, v14;
	;;#ASMEND
	;; [unrolled: 3-line block ×3, first 2 shown]
	v_pk_fma_f32 v[38:39], v[2:3], v[4:5], v[0:1]
	ds_load_b128 v[2:5], v25 offset:48
	v_or_b32_e32 v0, v112, v119
	v_fma_mixlo_f16 v1, v33, v112, 0 op_sel:[0,1,0] op_sel_hi:[0,1,0]
	s_delay_alu instid0(VALU_DEP_1)
	v_and_b32_e32 v1, 0xffff, v1
	s_wait_dscnt 0x0
	v_and_b32_e32 v14, 0xffff, v2
	v_lshrrev_b32_e32 v2, 16, v2
	v_fma_mixlo_f16 v0, v33, v0, 0 op_sel_hi:[0,1,0]
	;;#ASMSTART
	v_cvt_f32_f16 v54, v14;
	;;#ASMEND
	;;#ASMSTART
	v_cvt_f32_f16 v55, v2;
	;;#ASMEND
	v_and_b32_e32 v2, 0xffff, v3
	v_lshrrev_b32_e32 v3, 16, v3
	v_and_b32_e32 v0, 0xffff, v0
	;;#ASMSTART
	v_cvt_f32_f16 v64, v0;
	;;#ASMEND
	v_or_b32_e32 v0, v82, v116
	;;#ASMSTART
	v_cvt_f32_f16 v65, v1;
	;;#ASMEND
	v_fma_mixlo_f16 v1, v33, v82, 0 op_sel:[0,1,0] op_sel_hi:[0,1,0]
	;;#ASMSTART
	v_cvt_f32_f16 v117, v2;
	;;#ASMEND
	;;#ASMSTART
	v_cvt_f32_f16 v116, v3;
	;;#ASMEND
	v_fma_mixlo_f16 v0, v33, v0, 0 op_sel_hi:[0,1,0]
	v_pk_fma_f32 v[14:15], v[54:55], v[64:65], v[52:53]
	v_and_b32_e32 v2, 0xffff, v1
	v_or_b32_e32 v1, v47, v87
	v_and_b32_e32 v22, 0xffff, v4
	v_and_b32_e32 v26, 0xffff, v0
	v_or_b32_e32 v0, v86, v42
	;;#ASMSTART
	v_cvt_f32_f16 v119, v26;
	;;#ASMEND
	;;#ASMSTART
	v_cvt_f32_f16 v118, v2;
	;;#ASMEND
	v_fma_mixlo_f16 v2, v33, v86, 0 op_sel:[0,1,0] op_sel_hi:[0,1,0]
	v_lshrrev_b32_e32 v4, 16, v4
	v_fma_mixlo_f16 v0, v33, v0, 0 op_sel_hi:[0,1,0]
	v_lshrrev_b32_e32 v24, 16, v5
	v_and_b32_e32 v5, 0xffff, v5
	v_and_b32_e32 v2, 0xffff, v2
	;;#ASMSTART
	v_cvt_f32_f16 v43, v22;
	;;#ASMEND
	v_and_b32_e32 v3, 0xffff, v0
	v_fma_mixlo_f16 v0, v33, v1, 0 op_sel_hi:[0,1,0]
	v_fma_mixlo_f16 v1, v33, v47, 0 op_sel:[0,1,0] op_sel_hi:[0,1,0]
	;;#ASMSTART
	v_cvt_f32_f16 v42, v4;
	;;#ASMEND
	;;#ASMSTART
	v_cvt_f32_f16 v45, v3;
	;;#ASMEND
	;; [unrolled: 3-line block ×3, first 2 shown]
	v_and_b32_e32 v0, 0xffff, v0
	v_and_b32_e32 v1, 0xffff, v1
	;;#ASMSTART
	v_cvt_f32_f16 v53, v5;
	;;#ASMEND
	;;#ASMSTART
	v_cvt_f32_f16 v52, v24;
	;;#ASMEND
	;; [unrolled: 3-line block ×4, first 2 shown]
	ds_load_b128 v[0:3], v25 offset:64
	v_fma_mixlo_f16 v22, v33, v103, 0 op_sel:[0,1,0] op_sel_hi:[0,1,0]
	s_delay_alu instid0(VALU_DEP_1)
	v_and_b32_e32 v22, 0xffff, v22
	s_wait_dscnt 0x0
	v_and_b32_e32 v4, 0xffff, v0
	v_lshrrev_b32_e32 v0, 16, v0
	;;#ASMSTART
	v_cvt_f32_f16 v4, v4;
	;;#ASMEND
	;;#ASMSTART
	v_cvt_f32_f16 v5, v0;
	;;#ASMEND
	v_or_b32_e32 v0, v103, v46
	s_delay_alu instid0(VALU_DEP_1) | instskip(NEXT) | instid1(VALU_DEP_1)
	v_fma_mixlo_f16 v0, v33, v0, 0 op_sel_hi:[0,1,0]
	v_and_b32_e32 v0, 0xffff, v0
	;;#ASMSTART
	v_cvt_f32_f16 v26, v0;
	;;#ASMEND
	v_lshrrev_b32_e32 v0, 16, v1
	;;#ASMSTART
	v_cvt_f32_f16 v27, v22;
	;;#ASMEND
	v_and_b32_e32 v1, 0xffff, v1
	;;#ASMSTART
	v_cvt_f32_f16 v47, v1;
	;;#ASMEND
	;;#ASMSTART
	v_cvt_f32_f16 v46, v0;
	;;#ASMEND
	v_or_b32_e32 v0, v113, v56
	v_pk_fma_f32 v[4:5], v[4:5], v[26:27], v[14:15]
	v_fma_mixlo_f16 v1, v33, v113, 0 op_sel:[0,1,0] op_sel_hi:[0,1,0]
	v_lshrrev_b32_e32 v14, 16, v2
	v_and_b32_e32 v2, 0xffff, v2
	v_fma_mixlo_f16 v0, v33, v0, 0 op_sel_hi:[0,1,0]
	v_lshrrev_b32_e32 v15, 16, v3
	v_and_b32_e32 v1, 0xffff, v1
	v_and_b32_e32 v3, 0xffff, v3
	v_fma_mixlo_f16 v22, v33, v93, 0 op_sel:[0,1,0] op_sel_hi:[0,1,0]
	v_and_b32_e32 v0, 0xffff, v0
	;;#ASMSTART
	v_cvt_f32_f16 v57, v0;
	;;#ASMEND
	v_or_b32_e32 v0, v115, v114
	;;#ASMSTART
	v_cvt_f32_f16 v56, v1;
	;;#ASMEND
	v_fma_mixlo_f16 v1, v33, v115, 0 op_sel:[0,1,0] op_sel_hi:[0,1,0]
	;;#ASMSTART
	v_cvt_f32_f16 v113, v2;
	;;#ASMEND
	;;#ASMSTART
	v_cvt_f32_f16 v112, v14;
	;;#ASMEND
	v_fma_mixlo_f16 v0, v33, v0, 0 op_sel_hi:[0,1,0]
	v_and_b32_e32 v22, 0xffff, v22
	v_and_b32_e32 v1, 0xffff, v1
	s_delay_alu instid0(VALU_DEP_3)
	v_and_b32_e32 v0, 0xffff, v0
	;;#ASMSTART
	v_cvt_f32_f16 v115, v0;
	;;#ASMEND
	v_or_b32_e32 v0, v121, v90
	;;#ASMSTART
	v_cvt_f32_f16 v114, v1;
	;;#ASMEND
	v_fma_mixlo_f16 v1, v33, v121, 0 op_sel:[0,1,0] op_sel_hi:[0,1,0]
	;;#ASMSTART
	v_cvt_f32_f16 v65, v3;
	;;#ASMEND
	;;#ASMSTART
	v_cvt_f32_f16 v64, v15;
	;;#ASMEND
	v_fma_mixlo_f16 v0, v33, v0, 0 op_sel_hi:[0,1,0]
	s_delay_alu instid0(VALU_DEP_2) | instskip(NEXT) | instid1(VALU_DEP_2)
	v_and_b32_e32 v1, 0xffff, v1
	v_and_b32_e32 v0, 0xffff, v0
	;;#ASMSTART
	v_cvt_f32_f16 v67, v0;
	;;#ASMEND
	;;#ASMSTART
	v_cvt_f32_f16 v66, v1;
	;;#ASMEND
	ds_load_b128 v[0:3], v25 offset:80
	s_wait_dscnt 0x0
	v_and_b32_e32 v14, 0xffff, v0
	v_lshrrev_b32_e32 v0, 16, v0
	;;#ASMSTART
	v_cvt_f32_f16 v14, v14;
	;;#ASMEND
	;;#ASMSTART
	v_cvt_f32_f16 v15, v0;
	;;#ASMEND
	v_or_b32_e32 v0, v93, v91
	v_and_b32_e32 v24, 0xffff, v3
	s_delay_alu instid0(VALU_DEP_2) | instskip(NEXT) | instid1(VALU_DEP_1)
	v_fma_mixlo_f16 v0, v33, v0, 0 op_sel_hi:[0,1,0]
	v_and_b32_e32 v0, 0xffff, v0
	;;#ASMSTART
	v_cvt_f32_f16 v26, v0;
	;;#ASMEND
	v_lshrrev_b32_e32 v0, 16, v1
	;;#ASMSTART
	v_cvt_f32_f16 v27, v22;
	;;#ASMEND
	v_and_b32_e32 v1, 0xffff, v1
	;;#ASMSTART
	v_cvt_f32_f16 v91, v1;
	;;#ASMEND
	;;#ASMSTART
	v_cvt_f32_f16 v90, v0;
	;;#ASMEND
	v_or_b32_e32 v0, v62, v92
	v_pk_fma_f32 v[14:15], v[14:15], v[26:27], v[4:5]
	v_fma_mixlo_f16 v1, v33, v62, 0 op_sel:[0,1,0] op_sel_hi:[0,1,0]
	v_lshrrev_b32_e32 v4, 16, v2
	v_and_b32_e32 v2, 0xffff, v2
	v_fma_mixlo_f16 v0, v33, v0, 0 op_sel_hi:[0,1,0]
	v_lshrrev_b32_e32 v22, 16, v3
	v_and_b32_e32 v1, 0xffff, v1
	s_delay_alu instid0(VALU_DEP_3)
	v_and_b32_e32 v0, 0xffff, v0
	;;#ASMSTART
	v_cvt_f32_f16 v93, v0;
	;;#ASMEND
	v_or_b32_e32 v0, v72, v108
	;;#ASMSTART
	v_cvt_f32_f16 v92, v1;
	;;#ASMEND
	v_fma_mixlo_f16 v1, v33, v72, 0 op_sel:[0,1,0] op_sel_hi:[0,1,0]
	;;#ASMSTART
	v_cvt_f32_f16 v3, v2;
	;;#ASMEND
	;;#ASMSTART
	v_cvt_f32_f16 v2, v4;
	;;#ASMEND
	v_fma_mixlo_f16 v0, v33, v0, 0 op_sel_hi:[0,1,0]
	s_delay_alu instid0(VALU_DEP_2) | instskip(NEXT) | instid1(VALU_DEP_2)
	v_and_b32_e32 v1, 0xffff, v1
	v_and_b32_e32 v0, 0xffff, v0
	;;#ASMSTART
	v_cvt_f32_f16 v5, v0;
	;;#ASMEND
	v_or_b32_e32 v0, v79, v109
	;;#ASMSTART
	v_cvt_f32_f16 v4, v1;
	;;#ASMEND
	v_fma_mixlo_f16 v1, v33, v79, 0 op_sel:[0,1,0] op_sel_hi:[0,1,0]
	;;#ASMSTART
	v_cvt_f32_f16 v69, v24;
	;;#ASMEND
	;;#ASMSTART
	v_cvt_f32_f16 v68, v22;
	;;#ASMEND
	v_fma_mixlo_f16 v0, v33, v0, 0 op_sel_hi:[0,1,0]
	v_or_b32_e32 v22, v76, v81
	v_and_b32_e32 v1, 0xffff, v1
	v_fma_mixlo_f16 v24, v33, v76, 0 op_sel:[0,1,0] op_sel_hi:[0,1,0]
	s_delay_alu instid0(VALU_DEP_4)
	v_and_b32_e32 v0, 0xffff, v0
	;;#ASMSTART
	v_cvt_f32_f16 v71, v0;
	;;#ASMEND
	;;#ASMSTART
	v_cvt_f32_f16 v70, v1;
	;;#ASMEND
	ds_load_b128 v[82:85], v25 offset:96
	v_fma_mixlo_f16 v22, v33, v22, 0 op_sel_hi:[0,1,0]
	v_and_b32_e32 v24, 0xffff, v24
	s_delay_alu instid0(VALU_DEP_2)
	v_and_b32_e32 v22, 0xffff, v22
	s_wait_dscnt 0x0
	v_and_b32_e32 v0, 0xffff, v82
	v_lshrrev_b32_e32 v1, 16, v82
	;;#ASMSTART
	v_cvt_f32_f16 v0, v0;
	;;#ASMEND
	;;#ASMSTART
	v_cvt_f32_f16 v1, v1;
	;;#ASMEND
	;; [unrolled: 3-line block ×4, first 2 shown]
	v_pk_fma_f32 v[0:1], v[0:1], v[26:27], v[14:15]
	v_lshrrev_b32_e32 v14, 16, v83
	v_and_b32_e32 v15, 0xffff, v83
	;;#ASMSTART
	v_cvt_f32_f16 v109, v15;
	;;#ASMEND
	;;#ASMSTART
	v_cvt_f32_f16 v108, v14;
	;;#ASMEND
	v_or_b32_e32 v14, v78, v120
	v_lshrrev_b32_e32 v22, 16, v84
	v_fma_mixlo_f16 v15, v33, v78, 0 op_sel:[0,1,0] op_sel_hi:[0,1,0]
	v_and_b32_e32 v24, 0xffff, v84
	v_lshrrev_b32_e32 v26, 16, v85
	v_fma_mixlo_f16 v14, v33, v14, 0 op_sel_hi:[0,1,0]
	v_and_b32_e32 v27, 0xffff, v85
	v_and_b32_e32 v15, 0xffff, v15
	s_delay_alu instid0(VALU_DEP_3)
	v_and_b32_e32 v14, 0xffff, v14
	;;#ASMSTART
	v_cvt_f32_f16 v121, v14;
	;;#ASMEND
	v_or_b32_e32 v14, v88, v80
	;;#ASMSTART
	v_cvt_f32_f16 v120, v15;
	;;#ASMEND
	v_fma_mixlo_f16 v15, v33, v88, 0 op_sel:[0,1,0] op_sel_hi:[0,1,0]
	;;#ASMSTART
	v_cvt_f32_f16 v85, v24;
	;;#ASMEND
	;;#ASMSTART
	v_cvt_f32_f16 v84, v22;
	;;#ASMEND
	v_fma_mixlo_f16 v14, v33, v14, 0 op_sel_hi:[0,1,0]
	v_or_b32_e32 v22, v73, v63
	v_and_b32_e32 v15, 0xffff, v15
	v_fma_mixlo_f16 v24, v33, v73, 0 op_sel:[0,1,0] op_sel_hi:[0,1,0]
	s_delay_alu instid0(VALU_DEP_4)
	v_and_b32_e32 v14, 0xffff, v14
	;;#ASMSTART
	v_cvt_f32_f16 v87, v14;
	;;#ASMEND
	v_or_b32_e32 v14, v102, v100
	;;#ASMSTART
	v_cvt_f32_f16 v86, v15;
	;;#ASMEND
	v_fma_mixlo_f16 v15, v33, v102, 0 op_sel:[0,1,0] op_sel_hi:[0,1,0]
	;;#ASMSTART
	v_cvt_f32_f16 v81, v27;
	;;#ASMEND
	;;#ASMSTART
	v_cvt_f32_f16 v80, v26;
	;;#ASMEND
	v_fma_mixlo_f16 v14, v33, v14, 0 op_sel_hi:[0,1,0]
	v_fma_mixlo_f16 v22, v33, v22, 0 op_sel_hi:[0,1,0]
	v_and_b32_e32 v15, 0xffff, v15
	v_and_b32_e32 v24, 0xffff, v24
	s_delay_alu instid0(VALU_DEP_4)
	v_and_b32_e32 v14, 0xffff, v14
	;;#ASMSTART
	v_cvt_f32_f16 v83, v14;
	;;#ASMEND
	;;#ASMSTART
	v_cvt_f32_f16 v82, v15;
	;;#ASMEND
	ds_load_b128 v[100:103], v25 offset:112
	v_and_b32_e32 v22, 0xffff, v22
	s_wait_dscnt 0x0
	v_and_b32_e32 v14, 0xffff, v100
	v_lshrrev_b32_e32 v15, 16, v100
	;;#ASMSTART
	v_cvt_f32_f16 v14, v14;
	;;#ASMEND
	;;#ASMSTART
	v_cvt_f32_f16 v15, v15;
	;;#ASMEND
	;; [unrolled: 3-line block ×4, first 2 shown]
	v_pk_fma_f32 v[0:1], v[14:15], v[26:27], v[0:1]
	v_lshrrev_b32_e32 v14, 16, v101
	v_and_b32_e32 v15, 0xffff, v101
	;;#ASMSTART
	v_cvt_f32_f16 v63, v15;
	;;#ASMEND
	;;#ASMSTART
	v_cvt_f32_f16 v62, v14;
	;;#ASMEND
	v_dual_lshrrev_b32 v22, 16, v102 :: v_dual_bitop2_b32 v14, v77, v96 bitop3:0x54
	s_delay_alu instid0(VALU_DEP_2) | instskip(SKIP_2) | instid1(VALU_DEP_4)
	v_fma_mixlo_f16 v15, v33, v77, 0 op_sel:[0,1,0] op_sel_hi:[0,1,0]
	v_and_b32_e32 v24, 0xffff, v102
	v_lshrrev_b32_e32 v26, 16, v103
	v_fma_mixlo_f16 v14, v33, v14, 0 op_sel_hi:[0,1,0]
	v_and_b32_e32 v27, 0xffff, v103
	v_and_b32_e32 v15, 0xffff, v15
	s_delay_alu instid0(VALU_DEP_3)
	v_and_b32_e32 v14, 0xffff, v14
	;;#ASMSTART
	v_cvt_f32_f16 v73, v14;
	;;#ASMEND
	v_or_b32_e32 v14, v99, v97
	;;#ASMSTART
	v_cvt_f32_f16 v72, v15;
	;;#ASMEND
	v_fma_mixlo_f16 v15, v33, v99, 0 op_sel:[0,1,0] op_sel_hi:[0,1,0]
	;;#ASMSTART
	v_cvt_f32_f16 v101, v24;
	;;#ASMEND
	;;#ASMSTART
	v_cvt_f32_f16 v100, v22;
	;;#ASMEND
	v_fma_mixlo_f16 v14, v33, v14, 0 op_sel_hi:[0,1,0]
	v_or_b32_e32 v22, v41, v74
	v_and_b32_e32 v15, 0xffff, v15
	v_fma_mixlo_f16 v24, v33, v41, 0 op_sel:[0,1,0] op_sel_hi:[0,1,0]
	s_delay_alu instid0(VALU_DEP_4)
	v_and_b32_e32 v14, 0xffff, v14
	;;#ASMSTART
	v_cvt_f32_f16 v103, v14;
	;;#ASMEND
	v_or_b32_e32 v14, v89, v98
	;;#ASMSTART
	v_cvt_f32_f16 v102, v15;
	;;#ASMEND
	v_fma_mixlo_f16 v15, v33, v89, 0 op_sel:[0,1,0] op_sel_hi:[0,1,0]
	;;#ASMSTART
	v_cvt_f32_f16 v97, v27;
	;;#ASMEND
	;;#ASMSTART
	v_cvt_f32_f16 v96, v26;
	;;#ASMEND
	v_fma_mixlo_f16 v14, v33, v14, 0 op_sel_hi:[0,1,0]
	v_fma_mixlo_f16 v22, v33, v22, 0 op_sel_hi:[0,1,0]
	v_and_b32_e32 v15, 0xffff, v15
	v_and_b32_e32 v24, 0xffff, v24
	s_delay_alu instid0(VALU_DEP_4)
	v_and_b32_e32 v14, 0xffff, v14
	;;#ASMSTART
	v_cvt_f32_f16 v99, v14;
	;;#ASMEND
	;;#ASMSTART
	v_cvt_f32_f16 v98, v15;
	;;#ASMEND
	ds_load_b128 v[76:79], v25 offset:128
	v_and_b32_e32 v22, 0xffff, v22
	s_wait_dscnt 0x0
	v_and_b32_e32 v14, 0xffff, v76
	v_lshrrev_b32_e32 v15, 16, v76
	;;#ASMSTART
	v_cvt_f32_f16 v14, v14;
	;;#ASMEND
	;;#ASMSTART
	v_cvt_f32_f16 v15, v15;
	;;#ASMEND
	;; [unrolled: 3-line block ×4, first 2 shown]
	v_lshrrev_b32_e32 v22, 16, v77
	v_pk_fma_f32 v[0:1], v[14:15], v[26:27], v[0:1]
	v_and_b32_e32 v24, 0xffff, v77
	v_lshrrev_b32_e32 v26, 16, v78
	v_and_b32_e32 v27, 0xffff, v78
	v_lshrrev_b32_e32 v28, 16, v79
	v_and_b32_e32 v29, 0xffff, v79
	;;#ASMSTART
	v_cvt_f32_f16 v79, v24;
	;;#ASMEND
	;;#ASMSTART
	v_cvt_f32_f16 v78, v22;
	;;#ASMEND
	v_or_b32_e32 v22, v75, v36
	v_fma_mixlo_f16 v24, v33, v75, 0 op_sel:[0,1,0] op_sel_hi:[0,1,0]
	v_pk_fma_f32 v[14:15], v[116:117], v[118:119], v[50:51]
	s_delay_alu instid0(VALU_DEP_3) | instskip(NEXT) | instid1(VALU_DEP_3)
	v_fma_mixlo_f16 v22, v33, v22, 0 op_sel_hi:[0,1,0]
	v_and_b32_e32 v24, 0xffff, v24
	s_delay_alu instid0(VALU_DEP_3) | instskip(NEXT) | instid1(VALU_DEP_3)
	v_pk_fma_f32 v[14:15], v[46:47], v[56:57], v[14:15]
	v_and_b32_e32 v22, 0xffff, v22
	;;#ASMSTART
	v_cvt_f32_f16 v89, v22;
	;;#ASMEND
	v_or_b32_e32 v22, v40, v37
	;;#ASMSTART
	v_cvt_f32_f16 v88, v24;
	;;#ASMEND
	v_fma_mixlo_f16 v24, v33, v40, 0 op_sel:[0,1,0] op_sel_hi:[0,1,0]
	;;#ASMSTART
	v_cvt_f32_f16 v119, v27;
	;;#ASMEND
	;;#ASMSTART
	v_cvt_f32_f16 v118, v26;
	;;#ASMEND
	v_fma_mixlo_f16 v22, v33, v22, 0 op_sel_hi:[0,1,0]
	v_pk_fma_f32 v[14:15], v[90:91], v[92:93], v[14:15]
	v_and_b32_e32 v24, 0xffff, v24
	s_delay_alu instid0(VALU_DEP_3)
	v_and_b32_e32 v22, 0xffff, v22
	;;#ASMSTART
	v_cvt_f32_f16 v41, v22;
	;;#ASMEND
	v_or_b32_e32 v22, v58, v111
	;;#ASMSTART
	v_cvt_f32_f16 v40, v24;
	;;#ASMEND
	v_fma_mixlo_f16 v24, v33, v58, 0 op_sel:[0,1,0] op_sel_hi:[0,1,0]
	;;#ASMSTART
	v_cvt_f32_f16 v51, v29;
	;;#ASMEND
	;;#ASMSTART
	v_cvt_f32_f16 v50, v28;
	;;#ASMEND
	v_fma_mixlo_f16 v22, v33, v22, 0 op_sel_hi:[0,1,0]
	s_delay_alu instid0(VALU_DEP_2) | instskip(NEXT) | instid1(VALU_DEP_2)
	v_and_b32_e32 v24, 0xffff, v24
	v_and_b32_e32 v22, 0xffff, v22
	;;#ASMSTART
	v_cvt_f32_f16 v117, v22;
	;;#ASMEND
	;;#ASMSTART
	v_cvt_f32_f16 v116, v24;
	;;#ASMEND
	ds_load_b128 v[74:77], v25 offset:144
	s_wait_dscnt 0x0
	v_and_b32_e32 v22, 0xffff, v74
	;;#ASMSTART
	v_cvt_f32_f16 v26, v22;
	;;#ASMEND
	v_or_b32_e32 v22, v59, v94
	v_lshrrev_b32_e32 v24, 16, v74
	;;#ASMSTART
	v_cvt_f32_f16 v27, v24;
	;;#ASMEND
	s_delay_alu instid0(VALU_DEP_2) | instskip(NEXT) | instid1(VALU_DEP_2)
	v_fma_mixlo_f16 v22, v33, v22, 0 op_sel_hi:[0,1,0]
	v_fma_mixlo_f16 v24, v33, v59, 0 op_sel:[0,1,0] op_sel_hi:[0,1,0]
	s_delay_alu instid0(VALU_DEP_2) | instskip(NEXT) | instid1(VALU_DEP_2)
	v_and_b32_e32 v22, 0xffff, v22
	v_and_b32_e32 v24, 0xffff, v24
	;;#ASMSTART
	v_cvt_f32_f16 v28, v22;
	;;#ASMEND
	v_lshrrev_b32_e32 v22, 16, v75
	;;#ASMSTART
	v_cvt_f32_f16 v29, v24;
	;;#ASMEND
	v_and_b32_e32 v24, 0xffff, v75
	;;#ASMSTART
	v_cvt_f32_f16 v75, v24;
	;;#ASMEND
	;;#ASMSTART
	v_cvt_f32_f16 v74, v22;
	;;#ASMEND
	v_or_b32_e32 v22, v61, v106
	v_pk_fma_f32 v[0:1], v[26:27], v[28:29], v[0:1]
	v_fma_mixlo_f16 v24, v33, v61, 0 op_sel:[0,1,0] op_sel_hi:[0,1,0]
	v_lshrrev_b32_e32 v28, 16, v77
	v_and_b32_e32 v29, 0xffff, v77
	v_fma_mixlo_f16 v22, v33, v22, 0 op_sel_hi:[0,1,0]
	v_lshrrev_b32_e32 v26, 16, v76
	v_and_b32_e32 v24, 0xffff, v24
	v_and_b32_e32 v27, 0xffff, v76
	s_delay_alu instid0(VALU_DEP_4)
	v_and_b32_e32 v22, 0xffff, v22
	;;#ASMSTART
	v_cvt_f32_f16 v77, v22;
	;;#ASMEND
	v_or_b32_e32 v22, v60, v110
	;;#ASMSTART
	v_cvt_f32_f16 v76, v24;
	;;#ASMEND
	v_fma_mixlo_f16 v24, v33, v60, 0 op_sel:[0,1,0] op_sel_hi:[0,1,0]
	;;#ASMSTART
	v_cvt_f32_f16 v59, v27;
	;;#ASMEND
	;;#ASMSTART
	v_cvt_f32_f16 v58, v26;
	;;#ASMEND
	v_fma_mixlo_f16 v22, v33, v22, 0 op_sel_hi:[0,1,0]
	s_delay_alu instid0(VALU_DEP_2) | instskip(NEXT) | instid1(VALU_DEP_2)
	v_and_b32_e32 v24, 0xffff, v24
	v_and_b32_e32 v22, 0xffff, v22
	;;#ASMSTART
	v_cvt_f32_f16 v61, v22;
	;;#ASMEND
	v_or_b32_e32 v22, v11, v107
	;;#ASMSTART
	v_cvt_f32_f16 v60, v24;
	;;#ASMEND
	v_fma_mixlo_f16 v24, v33, v11, 0 op_sel:[0,1,0] op_sel_hi:[0,1,0]
	;;#ASMSTART
	v_cvt_f32_f16 v47, v29;
	;;#ASMEND
	;;#ASMSTART
	v_cvt_f32_f16 v46, v28;
	;;#ASMEND
	v_fma_mixlo_f16 v22, v33, v22, 0 op_sel_hi:[0,1,0]
	v_fma_mixlo_f16 v11, v33, v125, 0 op_sel:[0,1,0] op_sel_hi:[0,1,0]
	v_and_b32_e32 v24, 0xffff, v24
	s_delay_alu instid0(VALU_DEP_3)
	v_and_b32_e32 v22, 0xffff, v22
	;;#ASMSTART
	v_cvt_f32_f16 v57, v22;
	;;#ASMEND
	;;#ASMSTART
	v_cvt_f32_f16 v56, v24;
	;;#ASMEND
	ds_load_b128 v[104:107], v25 offset:160
	v_and_b32_e32 v11, 0xffff, v11
	s_wait_dscnt 0x0
	v_and_b32_e32 v22, 0xffff, v104
	;;#ASMSTART
	v_cvt_f32_f16 v26, v22;
	;;#ASMEND
	v_dual_lshrrev_b32 v24, 16, v104 :: v_dual_bitop2_b32 v22, v123, v95 bitop3:0x54
	;;#ASMSTART
	v_cvt_f32_f16 v27, v24;
	;;#ASMEND
	s_delay_alu instid0(VALU_DEP_1) | instskip(NEXT) | instid1(VALU_DEP_2)
	v_fma_mixlo_f16 v22, v33, v22, 0 op_sel_hi:[0,1,0]
	v_fma_mixlo_f16 v24, v33, v123, 0 op_sel:[0,1,0] op_sel_hi:[0,1,0]
	s_delay_alu instid0(VALU_DEP_2) | instskip(NEXT) | instid1(VALU_DEP_2)
	v_and_b32_e32 v22, 0xffff, v22
	v_and_b32_e32 v24, 0xffff, v24
	;;#ASMSTART
	v_cvt_f32_f16 v28, v22;
	;;#ASMEND
	;;#ASMSTART
	v_cvt_f32_f16 v29, v24;
	;;#ASMEND
	v_lshrrev_b32_e32 v22, 16, v105
	v_pk_fma_f32 v[0:1], v[26:27], v[28:29], v[0:1]
	v_and_b32_e32 v24, 0xffff, v105
	v_lshrrev_b32_e32 v26, 16, v106
	v_and_b32_e32 v27, 0xffff, v106
	v_lshrrev_b32_e32 v28, 16, v107
	v_and_b32_e32 v29, 0xffff, v107
	;;#ASMSTART
	v_cvt_f32_f16 v107, v24;
	;;#ASMEND
	;;#ASMSTART
	v_cvt_f32_f16 v106, v22;
	;;#ASMEND
	v_or_b32_e32 v22, v125, v10
	v_fma_mixlo_f16 v10, v33, v127, 0 op_sel:[0,1,0] op_sel_hi:[0,1,0]
	v_fma_mixlo_f16 v24, v33, v124, 0 op_sel:[0,1,0] op_sel_hi:[0,1,0]
	s_delay_alu instid0(VALU_DEP_3) | instskip(NEXT) | instid1(VALU_DEP_3)
	v_fma_mixlo_f16 v22, v33, v22, 0 op_sel_hi:[0,1,0]
	v_and_b32_e32 v10, 0xffff, v10
	s_delay_alu instid0(VALU_DEP_3) | instskip(NEXT) | instid1(VALU_DEP_3)
	v_and_b32_e32 v24, 0xffff, v24
	v_and_b32_e32 v22, 0xffff, v22
	;;#ASMSTART
	v_cvt_f32_f16 v111, v22;
	;;#ASMEND
	;;#ASMSTART
	v_cvt_f32_f16 v110, v11;
	;;#ASMEND
	v_or_b32_e32 v11, v127, v122
	;;#ASMSTART
	v_cvt_f32_f16 v95, v27;
	;;#ASMEND
	;;#ASMSTART
	v_cvt_f32_f16 v94, v26;
	;;#ASMEND
	s_delay_alu instid0(VALU_DEP_1) | instskip(NEXT) | instid1(VALU_DEP_1)
	v_fma_mixlo_f16 v11, v33, v11, 0 op_sel_hi:[0,1,0]
	v_and_b32_e32 v11, 0xffff, v11
	;;#ASMSTART
	v_cvt_f32_f16 v105, v11;
	;;#ASMEND
	;;#ASMSTART
	v_cvt_f32_f16 v104, v10;
	;;#ASMEND
	v_or_b32_e32 v10, v23, v126
	;;#ASMSTART
	v_cvt_f32_f16 v91, v29;
	;;#ASMEND
	v_fma_mixlo_f16 v11, v33, v23, 0 op_sel:[0,1,0] op_sel_hi:[0,1,0]
	;;#ASMSTART
	v_cvt_f32_f16 v90, v28;
	;;#ASMEND
	s_delay_alu instid0(VALU_DEP_2) | instskip(NEXT) | instid1(VALU_DEP_2)
	v_fma_mixlo_f16 v10, v33, v10, 0 op_sel_hi:[0,1,0]
	v_and_b32_e32 v11, 0xffff, v11
	s_delay_alu instid0(VALU_DEP_2)
	v_and_b32_e32 v10, 0xffff, v10
	;;#ASMSTART
	v_cvt_f32_f16 v93, v10;
	;;#ASMEND
	;;#ASMSTART
	v_cvt_f32_f16 v92, v11;
	;;#ASMEND
	ds_load_b128 v[26:29], v25 offset:176
	s_wait_dscnt 0x0
	v_and_b32_e32 v10, 0xffff, v26
	v_lshrrev_b32_e32 v11, 16, v26
	;;#ASMSTART
	v_cvt_f32_f16 v10, v10;
	;;#ASMEND
	;;#ASMSTART
	v_cvt_f32_f16 v11, v11;
	;;#ASMEND
	scratch_load_b32 v22, off, s32 offset:308 th:TH_LOAD_LU ; 4-byte Folded Reload
	s_wait_loadcnt 0x0
	v_dual_lshrrev_b32 v26, 16, v28 :: v_dual_bitop2_b32 v22, v124, v22 bitop3:0x54
	s_delay_alu instid0(VALU_DEP_1) | instskip(NEXT) | instid1(VALU_DEP_1)
	v_fma_mixlo_f16 v22, v33, v22, 0 op_sel_hi:[0,1,0]
	v_and_b32_e32 v22, 0xffff, v22
	;;#ASMSTART
	v_cvt_f32_f16 v122, v22;
	;;#ASMEND
	v_lshrrev_b32_e32 v22, 16, v27
	;;#ASMSTART
	v_cvt_f32_f16 v123, v24;
	;;#ASMEND
	v_pk_fma_f32 v[0:1], v[10:11], v[122:123], v[0:1]
	v_pk_fma_f32 v[10:11], v[108:109], v[120:121], v[14:15]
	v_and_b32_e32 v24, 0xffff, v27
	;;#ASMSTART
	v_cvt_f32_f16 v121, v24;
	;;#ASMEND
	;;#ASMSTART
	v_cvt_f32_f16 v120, v22;
	;;#ASMEND
	s_clause 0x1
	scratch_load_b32 v22, off, s32 offset:304 th:TH_LOAD_LU
	scratch_load_b32 v23, off, s32 offset:316 th:TH_LOAD_LU
	v_pk_fma_f32 v[14:15], v[42:43], v[44:45], v[48:49]
	v_and_b32_e32 v27, 0xffff, v28
	v_lshrrev_b32_e32 v28, 16, v29
	v_and_b32_e32 v29, 0xffff, v29
	v_pk_fma_f32 v[10:11], v[62:63], v[72:73], v[10:11]
	v_pk_fma_f32 v[14:15], v[112:113], v[114:115], v[14:15]
	s_wait_loadcnt 0x0
	v_or_b32_e32 v22, v23, v22
	v_fma_mixlo_f16 v24, v33, v23, 0 op_sel:[0,1,0] op_sel_hi:[0,1,0]
	s_delay_alu instid0(VALU_DEP_2) | instskip(NEXT) | instid1(VALU_DEP_2)
	v_fma_mixlo_f16 v22, v33, v22, 0 op_sel_hi:[0,1,0]
	v_and_b32_e32 v24, 0xffff, v24
	s_delay_alu instid0(VALU_DEP_2)
	v_and_b32_e32 v22, 0xffff, v22
	;;#ASMSTART
	v_cvt_f32_f16 v123, v22;
	;;#ASMEND
	;;#ASMSTART
	v_cvt_f32_f16 v122, v24;
	;;#ASMEND
	;; [unrolled: 3-line block ×4, first 2 shown]
	s_clause 0x1
	scratch_load_b32 v22, off, s32 offset:312 th:TH_LOAD_LU
	scratch_load_b32 v23, off, s32 offset:324 th:TH_LOAD_LU
	s_wait_loadcnt 0x0
	v_or_b32_e32 v22, v23, v22
	v_fma_mixlo_f16 v24, v33, v23, 0 op_sel:[0,1,0] op_sel_hi:[0,1,0]
	s_delay_alu instid0(VALU_DEP_2) | instskip(NEXT) | instid1(VALU_DEP_2)
	v_fma_mixlo_f16 v22, v33, v22, 0 op_sel_hi:[0,1,0]
	v_and_b32_e32 v24, 0xffff, v24
	s_delay_alu instid0(VALU_DEP_2)
	v_and_b32_e32 v22, 0xffff, v22
	;;#ASMSTART
	v_cvt_f32_f16 v109, v22;
	;;#ASMEND
	;;#ASMSTART
	v_cvt_f32_f16 v108, v24;
	;;#ASMEND
	;;#ASMSTART
	v_cvt_f32_f16 v49, v29;
	;;#ASMEND
	;;#ASMSTART
	v_cvt_f32_f16 v48, v28;
	;;#ASMEND
	s_clause 0x1
	scratch_load_b32 v22, off, s32 offset:320 th:TH_LOAD_LU
	scratch_load_b32 v23, off, s32 offset:240 th:TH_LOAD_LU
	s_wait_loadcnt 0x0
	v_or_b32_e32 v22, v23, v22
	v_fma_mixlo_f16 v24, v33, v23, 0 op_sel:[0,1,0] op_sel_hi:[0,1,0]
	s_delay_alu instid0(VALU_DEP_2) | instskip(NEXT) | instid1(VALU_DEP_2)
	v_fma_mixlo_f16 v22, v33, v22, 0 op_sel_hi:[0,1,0]
	v_and_b32_e32 v24, 0xffff, v24
	s_delay_alu instid0(VALU_DEP_2)
	v_and_b32_e32 v22, 0xffff, v22
	;;#ASMSTART
	v_cvt_f32_f16 v43, v22;
	;;#ASMEND
	;;#ASMSTART
	v_cvt_f32_f16 v42, v24;
	;;#ASMEND
	ds_load_b128 v[26:29], v25 offset:192
	s_wait_dscnt 0x0
	v_and_b32_e32 v22, 0xffff, v26
	v_lshrrev_b32_e32 v24, 16, v26
	;;#ASMSTART
	v_cvt_f32_f16 v126, v22;
	;;#ASMEND
	;;#ASMSTART
	v_cvt_f32_f16 v127, v24;
	;;#ASMEND
	s_clause 0x1
	scratch_load_b32 v22, off, s32 offset:236 th:TH_LOAD_LU
	scratch_load_b32 v23, off, s32 offset:248 th:TH_LOAD_LU
	s_wait_loadcnt 0x0
	v_dual_lshrrev_b32 v26, 16, v28 :: v_dual_bitop2_b32 v22, v23, v22 bitop3:0x54
	v_fma_mixlo_f16 v24, v33, v23, 0 op_sel:[0,1,0] op_sel_hi:[0,1,0]
	s_delay_alu instid0(VALU_DEP_2) | instskip(NEXT) | instid1(VALU_DEP_2)
	v_fma_mixlo_f16 v22, v33, v22, 0 op_sel_hi:[0,1,0]
	v_and_b32_e32 v24, 0xffff, v24
	s_delay_alu instid0(VALU_DEP_2)
	v_and_b32_e32 v22, 0xffff, v22
	;;#ASMSTART
	v_cvt_f32_f16 v124, v22;
	;;#ASMEND
	;;#ASMSTART
	v_cvt_f32_f16 v125, v24;
	;;#ASMEND
	v_lshrrev_b32_e32 v22, 16, v27
	v_pk_fma_f32 v[0:1], v[126:127], v[124:125], v[0:1]
	v_and_b32_e32 v24, 0xffff, v27
	;;#ASMSTART
	v_cvt_f32_f16 v125, v24;
	;;#ASMEND
	;;#ASMSTART
	v_cvt_f32_f16 v124, v22;
	;;#ASMEND
	s_clause 0x1
	scratch_load_b32 v22, off, s32 offset:244 th:TH_LOAD_LU
	scratch_load_b32 v23, off, s32 offset:256 th:TH_LOAD_LU
	v_and_b32_e32 v27, 0xffff, v28
	v_lshrrev_b32_e32 v28, 16, v29
	v_and_b32_e32 v29, 0xffff, v29
	s_wait_loadcnt 0x0
	v_or_b32_e32 v22, v23, v22
	v_fma_mixlo_f16 v23, v33, v23, 0 op_sel:[0,1,0] op_sel_hi:[0,1,0]
	s_delay_alu instid0(VALU_DEP_2) | instskip(NEXT) | instid1(VALU_DEP_2)
	v_fma_mixlo_f16 v22, v33, v22, 0 op_sel_hi:[0,1,0]
	v_and_b32_e32 v23, 0xffff, v23
	s_delay_alu instid0(VALU_DEP_2)
	v_and_b32_e32 v22, 0xffff, v22
	;;#ASMSTART
	v_cvt_f32_f16 v127, v22;
	;;#ASMEND
	;;#ASMSTART
	v_cvt_f32_f16 v126, v23;
	;;#ASMEND
	;; [unrolled: 3-line block ×4, first 2 shown]
	scratch_load_b32 v22, off, s32 offset:252 th:TH_LOAD_LU ; 4-byte Folded Reload
	s_wait_loadcnt 0x0
	v_or_b32_e32 v22, v18, v22
	v_fma_mixlo_f16 v18, v33, v18, 0 op_sel:[0,1,0] op_sel_hi:[0,1,0]
	s_delay_alu instid0(VALU_DEP_2) | instskip(NEXT) | instid1(VALU_DEP_2)
	v_fma_mixlo_f16 v22, v33, v22, 0 op_sel_hi:[0,1,0]
	v_and_b32_e32 v18, 0xffff, v18
	s_delay_alu instid0(VALU_DEP_2)
	v_and_b32_e32 v22, 0xffff, v22
	;;#ASMSTART
	v_cvt_f32_f16 v73, v22;
	;;#ASMEND
	;;#ASMSTART
	v_cvt_f32_f16 v72, v18;
	;;#ASMEND
	;; [unrolled: 3-line block ×4, first 2 shown]
	scratch_load_b32 v18, off, s32 offset:260 th:TH_LOAD_LU ; 4-byte Folded Reload
	s_wait_loadcnt 0x0
	v_or_b32_e32 v18, v21, v18
	v_fma_mixlo_f16 v21, v33, v21, 0 op_sel:[0,1,0] op_sel_hi:[0,1,0]
	s_delay_alu instid0(VALU_DEP_2) | instskip(NEXT) | instid1(VALU_DEP_2)
	v_fma_mixlo_f16 v18, v33, v18, 0 op_sel_hi:[0,1,0]
	v_and_b32_e32 v21, 0xffff, v21
	s_delay_alu instid0(VALU_DEP_2)
	v_and_b32_e32 v18, 0xffff, v18
	;;#ASMSTART
	v_cvt_f32_f16 v115, v18;
	;;#ASMEND
	;;#ASMSTART
	v_cvt_f32_f16 v114, v21;
	;;#ASMEND
	ds_load_b128 v[26:29], v25 offset:208
	s_wait_dscnt 0x0
	v_and_b32_e32 v18, 0xffff, v26
	v_lshrrev_b32_e32 v21, 16, v26
	;;#ASMSTART
	v_cvt_f32_f16 v22, v18;
	;;#ASMEND
	;;#ASMSTART
	v_cvt_f32_f16 v23, v21;
	;;#ASMEND
	scratch_load_b32 v18, off, s32 offset:264 th:TH_LOAD_LU ; 4-byte Folded Reload
	v_fma_mixlo_f16 v21, v33, v34, 0 op_sel:[0,1,0] op_sel_hi:[0,1,0]
	s_delay_alu instid0(VALU_DEP_1)
	v_and_b32_e32 v21, 0xffff, v21
	s_wait_loadcnt 0x0
	v_or_b32_e32 v18, v34, v18
	v_pk_fma_f32 v[34:35], v[2:3], v[4:5], v[14:15]
	v_lshrrev_b32_e32 v2, 16, v28
	v_and_b32_e32 v3, 0xffff, v28
	v_lshrrev_b32_e32 v4, 16, v29
	v_fma_mixlo_f16 v18, v33, v18, 0 op_sel_hi:[0,1,0]
	v_and_b32_e32 v5, 0xffff, v29
	v_pk_fma_f32 v[34:35], v[84:85], v[86:87], v[34:35]
	s_delay_alu instid0(VALU_DEP_3)
	v_and_b32_e32 v18, 0xffff, v18
	;;#ASMSTART
	v_cvt_f32_f16 v36, v18;
	;;#ASMEND
	;;#ASMSTART
	v_cvt_f32_f16 v37, v21;
	;;#ASMEND
	v_pk_fma_f32 v[22:23], v[22:23], v[36:37], v[0:1]
	v_lshrrev_b32_e32 v0, 16, v27
	v_and_b32_e32 v1, 0xffff, v27
	;;#ASMSTART
	v_cvt_f32_f16 v29, v1;
	;;#ASMEND
	;;#ASMSTART
	v_cvt_f32_f16 v28, v0;
	;;#ASMEND
	scratch_load_b32 v0, off, s32 offset:268 th:TH_LOAD_LU ; 4-byte Folded Reload
	v_pk_fma_f32 v[36:37], v[78:79], v[88:89], v[10:11]
	v_fma_mixlo_f16 v1, v33, v20, 0 op_sel:[0,1,0] op_sel_hi:[0,1,0]
	s_delay_alu instid0(VALU_DEP_1) | instskip(SKIP_2) | instid1(VALU_DEP_1)
	v_and_b32_e32 v1, 0xffff, v1
	s_wait_loadcnt 0x0
	v_or_b32_e32 v0, v20, v0
	v_fma_mixlo_f16 v0, v33, v0, 0 op_sel_hi:[0,1,0]
	s_delay_alu instid0(VALU_DEP_1)
	v_and_b32_e32 v0, 0xffff, v0
	;;#ASMSTART
	v_cvt_f32_f16 v27, v0;
	;;#ASMEND
	;;#ASMSTART
	v_cvt_f32_f16 v26, v1;
	;;#ASMEND
	;; [unrolled: 3-line block ×4, first 2 shown]
	scratch_load_b32 v0, off, s32 offset:272 th:TH_LOAD_LU ; 4-byte Folded Reload
	v_fma_mixlo_f16 v1, v33, v16, 0 op_sel:[0,1,0] op_sel_hi:[0,1,0]
	v_fma_mixlo_f16 v3, v33, v30, 0 op_sel:[0,1,0] op_sel_hi:[0,1,0]
	s_delay_alu instid0(VALU_DEP_2) | instskip(NEXT) | instid1(VALU_DEP_2)
	v_and_b32_e32 v2, 0xffff, v1
	v_and_b32_e32 v3, 0xffff, v3
	s_wait_loadcnt 0x0
	v_or_b32_e32 v0, v16, v0
	s_delay_alu instid0(VALU_DEP_1) | instskip(NEXT) | instid1(VALU_DEP_1)
	v_fma_mixlo_f16 v0, v33, v0, 0 op_sel_hi:[0,1,0]
	v_and_b32_e32 v0, 0xffff, v0
	;;#ASMSTART
	v_cvt_f32_f16 v1, v0;
	;;#ASMEND
	;;#ASMSTART
	v_cvt_f32_f16 v0, v2;
	;;#ASMEND
	;; [unrolled: 3-line block ×4, first 2 shown]
	scratch_load_b32 v2, off, s32 offset:276 th:TH_LOAD_LU ; 4-byte Folded Reload
	s_wait_loadcnt 0x0
	v_or_b32_e32 v2, v30, v2
	v_fma_mixlo_f16 v30, v33, v9, 0 op_sel:[0,1,0] op_sel_hi:[0,1,0]
	s_delay_alu instid0(VALU_DEP_2) | instskip(NEXT) | instid1(VALU_DEP_1)
	v_fma_mixlo_f16 v2, v33, v2, 0 op_sel_hi:[0,1,0]
	v_and_b32_e32 v2, 0xffff, v2
	;;#ASMSTART
	v_cvt_f32_f16 v15, v2;
	;;#ASMEND
	;;#ASMSTART
	v_cvt_f32_f16 v14, v3;
	;;#ASMEND
	ds_load_b128 v[2:5], v25 offset:224
	s_wait_dscnt 0x0
	v_and_b32_e32 v10, 0xffff, v2
	v_lshrrev_b32_e32 v2, 16, v2
	;;#ASMSTART
	v_cvt_f32_f16 v10, v10;
	;;#ASMEND
	;;#ASMSTART
	v_cvt_f32_f16 v11, v2;
	;;#ASMEND
	scratch_load_b32 v2, off, s32 offset:328 th:TH_LOAD_LU ; 4-byte Folded Reload
	v_and_b32_e32 v18, 0xffff, v3
	s_wait_loadcnt 0x0
	v_or_b32_e32 v2, v8, v2
	v_fma_mixlo_f16 v8, v33, v8, 0 op_sel:[0,1,0] op_sel_hi:[0,1,0]
	s_delay_alu instid0(VALU_DEP_2) | instskip(NEXT) | instid1(VALU_DEP_2)
	v_fma_mixlo_f16 v2, v33, v2, 0 op_sel_hi:[0,1,0]
	v_and_b32_e32 v8, 0xffff, v8
	s_delay_alu instid0(VALU_DEP_2)
	v_and_b32_e32 v2, 0xffff, v2
	;;#ASMSTART
	v_cvt_f32_f16 v20, v2;
	;;#ASMEND
	;;#ASMSTART
	v_cvt_f32_f16 v21, v8;
	;;#ASMEND
	s_clause 0x1
	scratch_load_b32 v2, off, s32 offset:364
	scratch_load_b32 v8, off, s32 offset:332 th:TH_LOAD_LU
	v_pk_fma_f32 v[10:11], v[10:11], v[20:21], v[22:23]
	v_pk_fma_f32 v[20:21], v[52:53], v[54:55], v[38:39]
	;; [unrolled: 1-line block ×3, first 2 shown]
	s_wait_loadcnt 0x1
	v_add_nc_u32_e32 v2, v2, v32
	s_wait_loadcnt 0x0
	v_or_b32_e32 v8, v9, v8
	s_delay_alu instid0(VALU_DEP_2) | instskip(NEXT) | instid1(VALU_DEP_2)
	v_cvt_f32_i32_e32 v24, v2
	v_fma_mixlo_f16 v36, v33, v8, 0 op_sel_hi:[0,1,0]
	v_pk_fma_f32 v[8:9], v[64:65], v[66:67], v[20:21]
	v_or_b32_e32 v2, v13, v17
	v_pk_fma_f32 v[16:17], v[100:101], v[102:103], v[34:35]
	v_lshrrev_b32_e32 v20, 16, v3
	v_fma_mixlo_f16 v13, v33, v13, 0 op_sel:[0,1,0] op_sel_hi:[0,1,0]
	v_pk_fma_f32 v[8:9], v[68:69], v[70:71], v[8:9]
	v_fma_mixlo_f16 v37, v33, v2, 0 op_sel_hi:[0,1,0]
	v_pk_fma_f32 v[2:3], v[106:107], v[110:111], v[22:23]
	v_pk_fma_f32 v[16:17], v[118:119], v[40:41], v[16:17]
	v_fma_mixlo_f16 v33, v33, v19, 0 op_sel:[0,1,0] op_sel_hi:[0,1,0]
	v_pk_fma_f32 v[8:9], v[80:81], v[82:83], v[8:9]
	;;#ASMSTART
	v_cvt_f32_f16 v19, v18;
	;;#ASMEND
	v_pk_fma_f32 v[2:3], v[120:121], v[122:123], v[2:3]
	v_pk_fma_f32 v[16:17], v[58:59], v[60:61], v[16:17]
	;;#ASMSTART
	v_cvt_f32_f16 v18, v20;
	;;#ASMEND
	v_pk_fma_f32 v[8:9], v[96:97], v[98:99], v[8:9]
	v_and_b32_e32 v20, 0xffff, v36
	v_pk_fma_f32 v[2:3], v[124:125], v[126:127], v[2:3]
	v_pk_fma_f32 v[16:17], v[94:95], v[104:105], v[16:17]
	v_and_b32_e32 v22, 0xffff, v30
	v_pk_fma_f32 v[8:9], v[50:51], v[116:117], v[8:9]
	;;#ASMSTART
	v_cvt_f32_f16 v21, v20;
	;;#ASMEND
	v_pk_fma_f32 v[2:3], v[28:29], v[26:27], v[2:3]
	v_pk_fma_f32 v[16:17], v[44:45], v[108:109], v[16:17]
	;;#ASMSTART
	v_cvt_f32_f16 v20, v22;
	;;#ASMEND
	v_pk_fma_f32 v[8:9], v[46:47], v[56:57], v[8:9]
	v_and_b32_e32 v22, 0xffff, v4
	v_lshrrev_b32_e32 v4, 16, v4
	v_pk_fma_f32 v[2:3], v[18:19], v[20:21], v[2:3]
	;;#ASMSTART
	v_cvt_f32_f16 v19, v22;
	;;#ASMEND
	;;#ASMSTART
	v_cvt_f32_f16 v18, v4;
	;;#ASMEND
	v_pk_fma_f32 v[16:17], v[62:63], v[72:73], v[16:17]
	v_pk_fma_f32 v[8:9], v[90:91], v[92:93], v[8:9]
	v_add_f32_e32 v4, v10, v11
	v_and_b32_e32 v20, 0xffff, v37
	v_and_b32_e32 v13, 0xffff, v13
	v_pk_fma_f32 v[0:1], v[88:89], v[0:1], v[16:17]
	v_pk_fma_f32 v[8:9], v[48:49], v[42:43], v[8:9]
	v_add_f32_e32 v3, v4, v3
	;;#ASMSTART
	v_cvt_f32_f16 v11, v20;
	;;#ASMEND
	;;#ASMSTART
	v_cvt_f32_f16 v10, v13;
	;;#ASMEND
	v_and_b32_e32 v13, 0xffff, v5
	v_pk_fma_f32 v[0:1], v[18:19], v[10:11], v[0:1]
	v_lshrrev_b32_e32 v10, 16, v5
	v_pk_fma_f32 v[4:5], v[112:113], v[114:115], v[8:9]
	v_add_f32_e32 v2, v2, v3
	;;#ASMSTART
	v_cvt_f32_f16 v3, v13;
	;;#ASMEND
	v_and_b32_e32 v8, 0xffff, v33
	s_delay_alu instid0(VALU_DEP_3) | instskip(NEXT) | instid1(VALU_DEP_3)
	v_pk_fma_f32 v[4:5], v[78:79], v[14:15], v[4:5]
	v_add_f32_e32 v1, v2, v1
	;;#ASMSTART
	v_cvt_f32_f16 v2, v10;
	;;#ASMEND
	;;#ASMSTART
	v_cvt_f32_f16 v9, v6;
	;;#ASMEND
	;; [unrolled: 3-line block ×3, first 2 shown]
	v_pk_fma_f32 v[2:3], v[2:3], v[8:9], v[4:5]
	v_add_f32_e32 v0, v0, v1
	s_clause 0x1
	scratch_load_b32 v1, off, s32 offset:340
	scratch_load_b32 v22, off, s32 offset:300 th:TH_LOAD_LU
	v_add_f32_e32 v0, v0, v3
	scratch_load_b32 v3, off, s32 offset:352 ; 4-byte Folded Reload
	v_add_f32_e32 v0, v2, v0
	scratch_load_b32 v2, off, s32 offset:336 ; 4-byte Folded Reload
	s_wait_loadcnt 0x3
	v_mul_f32_e32 v1, v1, v24
	s_wait_loadcnt 0x0
	s_delay_alu instid0(VALU_DEP_1) | instskip(NEXT) | instid1(VALU_DEP_1)
	v_dual_cndmask_b32 v1, 0, v1 :: v_dual_add_nc_u32 v2, v2, v32
	v_cmp_lt_i32_e64 s1, v2, v12
	s_wait_kmcnt 0x0
	s_delay_alu instid0(VALU_DEP_2) | instskip(SKIP_1) | instid1(VALU_DEP_1)
	v_dual_fmac_f32 v1, v3, v0 :: v_dual_add_nc_u32 v2, s16, v7
	v_max_num_f32_e32 v0, v22, v22
	v_dual_max_num_f32 v0, v0, v1 :: v_dual_cndmask_b32 v1, 0, v1, s1
	s_delay_alu instid0(VALU_DEP_1)
	v_cndmask_b32_e64 v22, v22, v0, s1
	ds_store_b32 v2, v1
.LBB281_14:                             ;   in Loop: Header=BB281_15 Depth=1
	s_wait_xcnt 0x0
	s_or_b32 exec_lo, exec_lo, s2
	scratch_load_b32 v0, off, s32 offset:208 ; 4-byte Folded Reload
	v_add_nc_u32_e32 v31, 4, v31
	v_add_nc_u32_e32 v32, 0x80, v32
	v_add_nc_u32_e32 v7, 0x200, v7
	s_wait_loadcnt 0x0
	s_delay_alu instid0(VALU_DEP_3)
	v_cmp_ge_i32_e64 s1, v31, v0
	scratch_load_b64 v[0:1], off, s32 offset:200 ; 8-byte Folded Reload
	s_or_b32 s15, s1, s15
	s_wait_loadcnt 0x0
	v_add_nc_u64_e32 v[0:1], 16, v[0:1]
	scratch_store_b64 off, v[0:1], s32 offset:200 ; 8-byte Folded Spill
	s_wait_xcnt 0x0
	s_and_not1_b32 exec_lo, exec_lo, s15
	s_cbranch_execz .LBB281_975
.LBB281_15:                             ; =>This Inner Loop Header: Depth=1
	s_clause 0x1
	scratch_load_b64 v[0:1], off, s32 offset:216
	scratch_load_b32 v4, off, s32 offset:212
	v_mov_b32_e32 v33, v25
	s_wait_loadcnt 0x1
	s_delay_alu instid0(VALU_DEP_1) | instskip(SKIP_1) | instid1(VALU_DEP_1)
	v_mul_u64_e32 v[0:1], v[32:33], v[0:1]
	s_wait_loadcnt 0x0
	v_mul_lo_u32 v0, v1, v4
	s_delay_alu instid0(VALU_DEP_1) | instskip(NEXT) | instid1(VALU_DEP_1)
	v_dual_sub_nc_u32 v0, v32, v0 :: v_dual_add_nc_u32 v2, 1, v1
	v_sub_nc_u32_e32 v3, v0, v4
	v_cmp_ge_u32_e64 s1, v0, v4
	s_delay_alu instid0(VALU_DEP_1) | instskip(NEXT) | instid1(VALU_DEP_1)
	v_dual_cndmask_b32 v1, v1, v2, s1 :: v_dual_cndmask_b32 v0, v0, v3, s1
	v_add_nc_u32_e32 v2, 1, v1
	s_delay_alu instid0(VALU_DEP_2)
	v_cmp_ge_u32_e64 s1, v0, v4
	scratch_load_b32 v4, off, s32 offset:288 ; 4-byte Folded Reload
	v_cndmask_b32_e64 v0, v1, v2, s1
	scratch_load_b32 v1, off, s32 offset:224 ; 4-byte Folded Reload
	s_wait_loadcnt 0x0
	v_xor_b32_e32 v0, v0, v1
	s_delay_alu instid0(VALU_DEP_1) | instskip(SKIP_3) | instid1(VALU_DEP_1)
	v_sub_nc_u32_e32 v2, v0, v1
	scratch_load_b32 v0, off, s32 offset:228 ; 4-byte Folded Reload
	s_wait_loadcnt 0x0
	v_add_nc_u32_e32 v3, v2, v0
	v_sub_nc_u32_e32 v0, 0, v3
	s_delay_alu instid0(VALU_DEP_1) | instskip(SKIP_3) | instid1(VALU_DEP_1)
	v_max_i32_e32 v24, v3, v0
	scratch_load_b64 v[0:1], off, s32 offset:292 ; 8-byte Folded Reload
	s_wait_loadcnt 0x0
	v_mul_u64_e32 v[0:1], v[24:25], v[0:1]
	v_mul_lo_u32 v0, v1, v4
	s_delay_alu instid0(VALU_DEP_1) | instskip(NEXT) | instid1(VALU_DEP_1)
	v_dual_sub_nc_u32 v0, v24, v0 :: v_dual_ashrrev_i32 v3, 31, v3
	v_sub_nc_u32_e32 v1, v0, v4
	v_cmp_ge_u32_e64 s1, v0, v4
	s_delay_alu instid0(VALU_DEP_1) | instskip(NEXT) | instid1(VALU_DEP_1)
	v_cndmask_b32_e64 v0, v0, v1, s1
	v_sub_nc_u32_e32 v1, v0, v4
	v_cmp_ge_u32_e64 s1, v0, v4
	s_delay_alu instid0(VALU_DEP_1) | instskip(NEXT) | instid1(VALU_DEP_1)
	v_cndmask_b32_e64 v0, v0, v1, s1
	v_xor_b32_e32 v0, v0, v3
	s_delay_alu instid0(VALU_DEP_1) | instskip(NEXT) | instid1(VALU_DEP_1)
	v_sub_nc_u32_e32 v0, v0, v3
	v_cmp_ne_u32_e64 s1, 0, v0
	scratch_load_b32 v0, off, s32 offset:232 ; 4-byte Folded Reload
	s_wait_loadcnt 0x0
	v_cmp_le_i32_e64 s2, v2, v0
	s_and_b32 s1, s1, s2
	s_wait_xcnt 0x0
	s_and_saveexec_b32 s2, s1
	s_delay_alu instid0(SALU_CYCLE_1)
	s_xor_b32 s1, exec_lo, s2
	s_cbranch_execz .LBB281_17
; %bb.16:                               ;   in Loop: Header=BB281_15 Depth=1
	s_wait_kmcnt 0x0
	v_dual_mov_b32 v1, 0xff7fffff :: v_dual_add_nc_u32 v0, s14, v7
	ds_store_b32 v0, v1
.LBB281_17:                             ;   in Loop: Header=BB281_15 Depth=1
	s_and_not1_saveexec_b32 s2, s1
	s_cbranch_execz .LBB281_14
; %bb.18:                               ;   in Loop: Header=BB281_15 Depth=1
	scratch_load_b64 v[0:1], off, s32 offset:200 ; 8-byte Folded Reload
	s_mov_b32 s16, exec_lo
	s_wait_loadcnt 0x0
	flat_load_b32 v0, v[0:1]
	s_clause 0x1
	scratch_load_b64 v[2:3], off, s32 offset:280
	scratch_load_b64 v[4:5], off, s32 offset:356
	v_mov_b32_e32 v15, 0
	s_wait_loadcnt_dscnt 0x0
	v_mad_nc_i64_i32 v[2:3], v0, v2, v[4:5]
	flat_load_b64 v[4:5], v[2:3]
	scratch_load_b64 v[0:1], off, s32 offset:344 ; 8-byte Folded Reload
	s_wait_loadcnt 0x0
	flat_load_b32 v33, v[0:1]
	s_wait_dscnt 0x1
	s_wait_xcnt 0x0
	v_and_b32_e32 v0, 0xff, v4
	v_mov_b32_e32 v1, 0
	s_delay_alu instid0(VALU_DEP_2)
	v_cmpx_ne_u16_e32 0, v0
	s_cbranch_execz .LBB281_26
; %bb.19:                               ;   in Loop: Header=BB281_15 Depth=1
	v_mov_b32_e32 v15, 0x8000
	s_mov_b32 s17, exec_lo
	v_cmpx_ne_u16_e32 0x80, v0
	s_cbranch_execz .LBB281_25
; %bb.20:                               ;   in Loop: Header=BB281_15 Depth=1
	v_and_b32_e32 v8, 0x7f, v4
	v_mov_b32_e32 v15, 0x7c01
	s_mov_b32 s18, exec_lo
	s_delay_alu instid0(VALU_DEP_2)
	v_cmpx_ne_u32_e32 0x7f, v8
	s_cbranch_execz .LBB281_24
; %bb.21:                               ;   in Loop: Header=BB281_15 Depth=1
	v_and_b32_e32 v0, 7, v4
	v_lshrrev_b32_e32 v6, 3, v8
	s_mov_b32 s19, exec_lo
	v_cmpx_gt_u32_e32 8, v8
; %bb.22:                               ;   in Loop: Header=BB281_15 Depth=1
	s_delay_alu instid0(VALU_DEP_3) | instskip(NEXT) | instid1(VALU_DEP_1)
	v_clz_i32_u32_e32 v0, v0
	v_min_u32_e32 v0, 32, v0
	s_delay_alu instid0(VALU_DEP_1) | instskip(NEXT) | instid1(VALU_DEP_1)
	v_subrev_nc_u32_e32 v6, 28, v0
	v_lshlrev_b64_e32 v[8:9], v6, v[4:5]
	v_sub_nc_u32_e32 v6, 29, v0
	s_delay_alu instid0(VALU_DEP_2)
	v_and_b32_e32 v0, 7, v8
; %bb.23:                               ;   in Loop: Header=BB281_15 Depth=1
	s_or_b32 exec_lo, exec_lo, s19
	v_lshlrev_b32_e32 v8, 8, v4
	s_delay_alu instid0(VALU_DEP_3) | instskip(NEXT) | instid1(VALU_DEP_3)
	v_lshl_add_u32 v6, v6, 10, 0x2000
	v_lshlrev_b32_e32 v0, 7, v0
	s_delay_alu instid0(VALU_DEP_3) | instskip(NEXT) | instid1(VALU_DEP_3)
	v_and_b32_e32 v8, 0x8000, v8
	v_and_b32_e32 v6, 0xfc00, v6
	s_delay_alu instid0(VALU_DEP_1)
	v_or3_b32 v15, v8, v6, v0
.LBB281_24:                             ;   in Loop: Header=BB281_15 Depth=1
	s_or_b32 exec_lo, exec_lo, s18
.LBB281_25:                             ;   in Loop: Header=BB281_15 Depth=1
	s_delay_alu instid0(SALU_CYCLE_1)
	s_or_b32 exec_lo, exec_lo, s17
.LBB281_26:                             ;   in Loop: Header=BB281_15 Depth=1
	s_delay_alu instid0(SALU_CYCLE_1) | instskip(SKIP_2) | instid1(VALU_DEP_1)
	s_or_b32 exec_lo, exec_lo, s16
	v_lshrrev_b16 v24, 8, v4
	s_mov_b32 s16, exec_lo
	v_cmpx_ne_u16_e32 0, v24
	s_cbranch_execz .LBB281_34
; %bb.27:                               ;   in Loop: Header=BB281_15 Depth=1
	v_bfrev_b32_e32 v1, 1
	s_mov_b32 s17, exec_lo
	v_cmpx_ne_u16_e32 0x80, v24
	s_cbranch_execz .LBB281_33
; %bb.28:                               ;   in Loop: Header=BB281_15 Depth=1
	v_and_b32_e32 v0, 0xffff, v24
	v_mov_b32_e32 v1, 0x7c010000
	s_mov_b32 s18, exec_lo
	s_delay_alu instid0(VALU_DEP_2) | instskip(NEXT) | instid1(VALU_DEP_1)
	v_and_b32_e32 v8, 0x7f, v0
	v_cmpx_ne_u32_e32 0x7f, v8
	s_cbranch_execz .LBB281_32
; %bb.29:                               ;   in Loop: Header=BB281_15 Depth=1
	v_and_b32_e32 v1, 7, v0
	v_lshrrev_b32_e32 v6, 3, v8
	s_mov_b32 s19, exec_lo
	v_cmpx_gt_u32_e32 8, v8
; %bb.30:                               ;   in Loop: Header=BB281_15 Depth=1
	s_delay_alu instid0(VALU_DEP_3) | instskip(NEXT) | instid1(VALU_DEP_1)
	v_clz_i32_u32_e32 v1, v1
	v_min_u32_e32 v1, 32, v1
	s_delay_alu instid0(VALU_DEP_1) | instskip(NEXT) | instid1(VALU_DEP_1)
	v_subrev_nc_u32_e32 v6, 28, v1
	v_lshlrev_b64_e32 v[8:9], v6, v[24:25]
	s_delay_alu instid0(VALU_DEP_1)
	v_dual_sub_nc_u32 v6, 29, v1 :: v_dual_bitop2_b32 v1, 7, v8 bitop3:0x40
; %bb.31:                               ;   in Loop: Header=BB281_15 Depth=1
	s_or_b32 exec_lo, exec_lo, s19
	s_delay_alu instid0(VALU_DEP_1) | instskip(NEXT) | instid1(VALU_DEP_2)
	v_dual_lshlrev_b32 v0, 8, v0 :: v_dual_lshlrev_b32 v1, 23, v1
	v_lshl_add_u32 v6, v6, 10, 0x2000
	s_delay_alu instid0(VALU_DEP_1) | instskip(NEXT) | instid1(VALU_DEP_1)
	v_and_or_b32 v0, 0x8000, v0, v6
	v_lshl_or_b32 v1, v0, 16, v1
.LBB281_32:                             ;   in Loop: Header=BB281_15 Depth=1
	s_or_b32 exec_lo, exec_lo, s18
.LBB281_33:                             ;   in Loop: Header=BB281_15 Depth=1
	s_delay_alu instid0(SALU_CYCLE_1)
	s_or_b32 exec_lo, exec_lo, s17
.LBB281_34:                             ;   in Loop: Header=BB281_15 Depth=1
	s_delay_alu instid0(SALU_CYCLE_1) | instskip(SKIP_3) | instid1(VALU_DEP_2)
	s_or_b32 exec_lo, exec_lo, s16
	v_dual_mov_b32 v39, 0 :: v_dual_lshrrev_b32 v0, 16, v4
	v_mov_b32_e32 v14, 0
	s_mov_b32 s16, exec_lo
	v_and_b32_e32 v6, 0xff, v0
	s_delay_alu instid0(VALU_DEP_1)
	v_cmpx_ne_u16_e32 0, v6
	s_cbranch_execz .LBB281_42
; %bb.35:                               ;   in Loop: Header=BB281_15 Depth=1
	v_mov_b32_e32 v14, 0x8000
	s_mov_b32 s17, exec_lo
	v_cmpx_ne_u16_e32 0x80, v6
	s_cbranch_execz .LBB281_41
; %bb.36:                               ;   in Loop: Header=BB281_15 Depth=1
	v_bfe_u32 v9, v4, 16, 7
	v_mov_b32_e32 v14, 0x7c01
	s_mov_b32 s18, exec_lo
	s_delay_alu instid0(VALU_DEP_2)
	v_cmpx_ne_u32_e32 0x7f, v9
	s_cbranch_execz .LBB281_40
; %bb.37:                               ;   in Loop: Header=BB281_15 Depth=1
	v_dual_lshrrev_b32 v8, 3, v9 :: v_dual_bitop2_b32 v6, 7, v0 bitop3:0x40
	s_mov_b32 s19, exec_lo
	v_cmpx_gt_u32_e32 8, v9
; %bb.38:                               ;   in Loop: Header=BB281_15 Depth=1
	s_delay_alu instid0(VALU_DEP_2) | instskip(NEXT) | instid1(VALU_DEP_1)
	v_clz_i32_u32_e32 v6, v6
	v_min_u32_e32 v6, 32, v6
	s_delay_alu instid0(VALU_DEP_1) | instskip(NEXT) | instid1(VALU_DEP_1)
	v_subrev_nc_u32_e32 v8, 28, v6
	v_lshlrev_b64_e32 v[10:11], v8, v[0:1]
	v_sub_nc_u32_e32 v8, 29, v6
	s_delay_alu instid0(VALU_DEP_2)
	v_and_b32_e32 v6, 7, v10
; %bb.39:                               ;   in Loop: Header=BB281_15 Depth=1
	s_or_b32 exec_lo, exec_lo, s19
	s_delay_alu instid0(VALU_DEP_1) | instskip(NEXT) | instid1(VALU_DEP_3)
	v_dual_lshlrev_b32 v0, 8, v0 :: v_dual_lshlrev_b32 v6, 7, v6
	v_lshl_add_u32 v8, v8, 10, 0x2000
	s_delay_alu instid0(VALU_DEP_2) | instskip(NEXT) | instid1(VALU_DEP_2)
	v_and_b32_e32 v0, 0x8000, v0
	v_and_b32_e32 v8, 0xfc00, v8
	s_delay_alu instid0(VALU_DEP_1)
	v_or3_b32 v14, v0, v8, v6
.LBB281_40:                             ;   in Loop: Header=BB281_15 Depth=1
	s_or_b32 exec_lo, exec_lo, s18
.LBB281_41:                             ;   in Loop: Header=BB281_15 Depth=1
	s_delay_alu instid0(SALU_CYCLE_1)
	s_or_b32 exec_lo, exec_lo, s17
.LBB281_42:                             ;   in Loop: Header=BB281_15 Depth=1
	s_delay_alu instid0(SALU_CYCLE_1) | instskip(NEXT) | instid1(SALU_CYCLE_1)
	s_or_b32 exec_lo, exec_lo, s16
	s_mov_b32 s16, exec_lo
	v_cmpx_lt_u32_e32 0xffffff, v4
	s_cbranch_execz .LBB281_50
; %bb.43:                               ;   in Loop: Header=BB281_15 Depth=1
	v_lshrrev_b32_e32 v24, 24, v4
	v_bfrev_b32_e32 v39, 1
	s_mov_b32 s17, exec_lo
	s_delay_alu instid0(VALU_DEP_2)
	v_cmpx_ne_u32_e32 0x80, v24
	s_cbranch_execz .LBB281_49
; %bb.44:                               ;   in Loop: Header=BB281_15 Depth=1
	v_and_b32_e32 v8, 0x7f, v24
	v_mov_b32_e32 v39, 0x7c010000
	s_mov_b32 s18, exec_lo
	s_delay_alu instid0(VALU_DEP_2)
	v_cmpx_ne_u32_e32 0x7f, v8
	s_cbranch_execz .LBB281_48
; %bb.45:                               ;   in Loop: Header=BB281_15 Depth=1
	v_and_b32_e32 v0, 7, v24
	v_lshrrev_b32_e32 v6, 3, v8
	s_mov_b32 s19, exec_lo
	v_cmpx_gt_u32_e32 8, v8
; %bb.46:                               ;   in Loop: Header=BB281_15 Depth=1
	s_delay_alu instid0(VALU_DEP_3) | instskip(NEXT) | instid1(VALU_DEP_1)
	v_clz_i32_u32_e32 v0, v0
	v_min_u32_e32 v0, 32, v0
	s_delay_alu instid0(VALU_DEP_1) | instskip(NEXT) | instid1(VALU_DEP_1)
	v_subrev_nc_u32_e32 v6, 28, v0
	v_lshlrev_b64_e32 v[8:9], v6, v[24:25]
	v_sub_nc_u32_e32 v6, 29, v0
	s_delay_alu instid0(VALU_DEP_2)
	v_and_b32_e32 v0, 7, v8
; %bb.47:                               ;   in Loop: Header=BB281_15 Depth=1
	s_or_b32 exec_lo, exec_lo, s19
	v_lshlrev_b32_e32 v8, 8, v24
	s_delay_alu instid0(VALU_DEP_3) | instskip(NEXT) | instid1(VALU_DEP_3)
	v_lshl_add_u32 v6, v6, 10, 0x2000
	v_lshlrev_b32_e32 v0, 23, v0
	s_delay_alu instid0(VALU_DEP_2) | instskip(NEXT) | instid1(VALU_DEP_1)
	v_and_or_b32 v6, 0x8000, v8, v6
	v_lshl_or_b32 v39, v6, 16, v0
.LBB281_48:                             ;   in Loop: Header=BB281_15 Depth=1
	s_or_b32 exec_lo, exec_lo, s18
.LBB281_49:                             ;   in Loop: Header=BB281_15 Depth=1
	s_delay_alu instid0(SALU_CYCLE_1)
	s_or_b32 exec_lo, exec_lo, s17
.LBB281_50:                             ;   in Loop: Header=BB281_15 Depth=1
	s_delay_alu instid0(SALU_CYCLE_1) | instskip(SKIP_4) | instid1(VALU_DEP_3)
	s_or_b32 exec_lo, exec_lo, s16
	v_and_b32_e32 v0, 0xff, v5
	v_dual_mov_b32 v24, v5 :: v_dual_mov_b32 v54, 0
	v_mov_b32_e32 v38, 0
	s_mov_b32 s16, exec_lo
	v_cmpx_ne_u16_e32 0, v0
	s_cbranch_execz .LBB281_58
; %bb.51:                               ;   in Loop: Header=BB281_15 Depth=1
	v_mov_b32_e32 v38, 0x8000
	s_mov_b32 s17, exec_lo
	v_cmpx_ne_u16_e32 0x80, v0
	s_cbranch_execz .LBB281_57
; %bb.52:                               ;   in Loop: Header=BB281_15 Depth=1
	v_and_b32_e32 v8, 0x7f, v5
	v_mov_b32_e32 v38, 0x7c01
	s_mov_b32 s18, exec_lo
	s_delay_alu instid0(VALU_DEP_2)
	v_cmpx_ne_u32_e32 0x7f, v8
	s_cbranch_execz .LBB281_56
; %bb.53:                               ;   in Loop: Header=BB281_15 Depth=1
	v_dual_lshrrev_b32 v6, 3, v8 :: v_dual_bitop2_b32 v0, 7, v5 bitop3:0x40
	s_mov_b32 s19, exec_lo
	v_cmpx_gt_u32_e32 8, v8
; %bb.54:                               ;   in Loop: Header=BB281_15 Depth=1
	s_delay_alu instid0(VALU_DEP_2) | instskip(NEXT) | instid1(VALU_DEP_1)
	v_clz_i32_u32_e32 v0, v0
	v_min_u32_e32 v0, 32, v0
	s_delay_alu instid0(VALU_DEP_1) | instskip(NEXT) | instid1(VALU_DEP_1)
	v_subrev_nc_u32_e32 v6, 28, v0
	v_lshlrev_b64_e32 v[8:9], v6, v[24:25]
	v_sub_nc_u32_e32 v6, 29, v0
	s_delay_alu instid0(VALU_DEP_2)
	v_and_b32_e32 v0, 7, v8
; %bb.55:                               ;   in Loop: Header=BB281_15 Depth=1
	s_or_b32 exec_lo, exec_lo, s19
	s_delay_alu instid0(VALU_DEP_1) | instskip(NEXT) | instid1(VALU_DEP_3)
	v_dual_lshlrev_b32 v8, 8, v5 :: v_dual_lshlrev_b32 v0, 7, v0
	v_lshl_add_u32 v6, v6, 10, 0x2000
	s_delay_alu instid0(VALU_DEP_2) | instskip(NEXT) | instid1(VALU_DEP_2)
	v_and_b32_e32 v8, 0x8000, v8
	v_and_b32_e32 v6, 0xfc00, v6
	s_delay_alu instid0(VALU_DEP_1)
	v_or3_b32 v38, v8, v6, v0
.LBB281_56:                             ;   in Loop: Header=BB281_15 Depth=1
	s_or_b32 exec_lo, exec_lo, s18
.LBB281_57:                             ;   in Loop: Header=BB281_15 Depth=1
	s_delay_alu instid0(SALU_CYCLE_1)
	s_or_b32 exec_lo, exec_lo, s17
.LBB281_58:                             ;   in Loop: Header=BB281_15 Depth=1
	s_delay_alu instid0(SALU_CYCLE_1) | instskip(SKIP_3) | instid1(VALU_DEP_2)
	s_or_b32 exec_lo, exec_lo, s16
	v_lshrrev_b16 v24, 8, v24
	v_mov_b32_e32 v55, 0
	s_mov_b32 s16, exec_lo
	v_cmpx_ne_u16_e32 0, v24
	s_cbranch_execz .LBB281_66
; %bb.59:                               ;   in Loop: Header=BB281_15 Depth=1
	v_bfrev_b32_e32 v55, 1
	s_mov_b32 s17, exec_lo
	v_cmpx_ne_u16_e32 0x80, v24
	s_cbranch_execz .LBB281_65
; %bb.60:                               ;   in Loop: Header=BB281_15 Depth=1
	v_and_b32_e32 v0, 0xffff, v24
	v_mov_b32_e32 v55, 0x7c010000
	s_mov_b32 s18, exec_lo
	s_delay_alu instid0(VALU_DEP_2) | instskip(NEXT) | instid1(VALU_DEP_1)
	v_and_b32_e32 v9, 0x7f, v0
	v_cmpx_ne_u32_e32 0x7f, v9
	s_cbranch_execz .LBB281_64
; %bb.61:                               ;   in Loop: Header=BB281_15 Depth=1
	v_dual_lshrrev_b32 v8, 3, v9 :: v_dual_bitop2_b32 v6, 7, v0 bitop3:0x40
	s_mov_b32 s19, exec_lo
	v_cmpx_gt_u32_e32 8, v9
; %bb.62:                               ;   in Loop: Header=BB281_15 Depth=1
	s_delay_alu instid0(VALU_DEP_2) | instskip(NEXT) | instid1(VALU_DEP_1)
	v_clz_i32_u32_e32 v6, v6
	v_min_u32_e32 v6, 32, v6
	s_delay_alu instid0(VALU_DEP_1) | instskip(NEXT) | instid1(VALU_DEP_1)
	v_subrev_nc_u32_e32 v8, 28, v6
	v_lshlrev_b64_e32 v[10:11], v8, v[24:25]
	v_sub_nc_u32_e32 v8, 29, v6
	s_delay_alu instid0(VALU_DEP_2)
	v_and_b32_e32 v6, 7, v10
; %bb.63:                               ;   in Loop: Header=BB281_15 Depth=1
	s_or_b32 exec_lo, exec_lo, s19
	s_delay_alu instid0(VALU_DEP_1) | instskip(NEXT) | instid1(VALU_DEP_3)
	v_dual_lshlrev_b32 v0, 8, v0 :: v_dual_lshlrev_b32 v6, 23, v6
	v_lshl_add_u32 v8, v8, 10, 0x2000
	s_delay_alu instid0(VALU_DEP_1) | instskip(NEXT) | instid1(VALU_DEP_1)
	v_and_or_b32 v0, 0x8000, v0, v8
	v_lshl_or_b32 v55, v0, 16, v6
.LBB281_64:                             ;   in Loop: Header=BB281_15 Depth=1
	s_or_b32 exec_lo, exec_lo, s18
.LBB281_65:                             ;   in Loop: Header=BB281_15 Depth=1
	s_delay_alu instid0(SALU_CYCLE_1)
	s_or_b32 exec_lo, exec_lo, s17
.LBB281_66:                             ;   in Loop: Header=BB281_15 Depth=1
	s_delay_alu instid0(SALU_CYCLE_1) | instskip(SKIP_2) | instid1(VALU_DEP_1)
	s_or_b32 exec_lo, exec_lo, s16
	v_lshrrev_b32_e32 v0, 16, v5
	s_mov_b32 s16, exec_lo
	v_and_b32_e32 v6, 0xff, v0
	s_delay_alu instid0(VALU_DEP_1)
	v_cmpx_ne_u16_e32 0, v6
	s_cbranch_execz .LBB281_74
; %bb.67:                               ;   in Loop: Header=BB281_15 Depth=1
	v_mov_b32_e32 v54, 0x8000
	s_mov_b32 s17, exec_lo
	v_cmpx_ne_u16_e32 0x80, v6
	s_cbranch_execz .LBB281_73
; %bb.68:                               ;   in Loop: Header=BB281_15 Depth=1
	v_bfe_u32 v9, v5, 16, 7
	v_mov_b32_e32 v54, 0x7c01
	s_mov_b32 s18, exec_lo
	s_delay_alu instid0(VALU_DEP_2)
	v_cmpx_ne_u32_e32 0x7f, v9
	s_cbranch_execz .LBB281_72
; %bb.69:                               ;   in Loop: Header=BB281_15 Depth=1
	v_dual_lshrrev_b32 v8, 3, v9 :: v_dual_bitop2_b32 v6, 7, v0 bitop3:0x40
	s_mov_b32 s19, exec_lo
	v_cmpx_gt_u32_e32 8, v9
; %bb.70:                               ;   in Loop: Header=BB281_15 Depth=1
	s_delay_alu instid0(VALU_DEP_2) | instskip(NEXT) | instid1(VALU_DEP_1)
	v_clz_i32_u32_e32 v6, v6
	v_min_u32_e32 v6, 32, v6
	s_delay_alu instid0(VALU_DEP_1) | instskip(NEXT) | instid1(VALU_DEP_1)
	v_subrev_nc_u32_e32 v8, 28, v6
	v_lshlrev_b64_e32 v[10:11], v8, v[0:1]
	v_sub_nc_u32_e32 v8, 29, v6
	s_delay_alu instid0(VALU_DEP_2)
	v_and_b32_e32 v6, 7, v10
; %bb.71:                               ;   in Loop: Header=BB281_15 Depth=1
	s_or_b32 exec_lo, exec_lo, s19
	s_delay_alu instid0(VALU_DEP_1) | instskip(NEXT) | instid1(VALU_DEP_3)
	v_dual_lshlrev_b32 v0, 8, v0 :: v_dual_lshlrev_b32 v6, 7, v6
	v_lshl_add_u32 v8, v8, 10, 0x2000
	s_delay_alu instid0(VALU_DEP_2) | instskip(NEXT) | instid1(VALU_DEP_2)
	v_and_b32_e32 v0, 0x8000, v0
	v_and_b32_e32 v8, 0xfc00, v8
	s_delay_alu instid0(VALU_DEP_1)
	v_or3_b32 v54, v0, v8, v6
.LBB281_72:                             ;   in Loop: Header=BB281_15 Depth=1
	s_or_b32 exec_lo, exec_lo, s18
.LBB281_73:                             ;   in Loop: Header=BB281_15 Depth=1
	s_delay_alu instid0(SALU_CYCLE_1)
	s_or_b32 exec_lo, exec_lo, s17
.LBB281_74:                             ;   in Loop: Header=BB281_15 Depth=1
	s_delay_alu instid0(SALU_CYCLE_1)
	s_or_b32 exec_lo, exec_lo, s16
	v_dual_mov_b32 v67, 0 :: v_dual_mov_b32 v50, 0
	s_mov_b32 s16, exec_lo
	v_cmpx_lt_u64_e64 s[8:9], v[4:5]
	s_cbranch_execz .LBB281_82
; %bb.75:                               ;   in Loop: Header=BB281_15 Depth=1
	v_lshrrev_b32_e32 v24, 24, v5
	v_bfrev_b32_e32 v50, 1
	s_mov_b32 s17, exec_lo
	s_delay_alu instid0(VALU_DEP_2)
	v_cmpx_ne_u32_e32 0x80, v24
	s_cbranch_execz .LBB281_81
; %bb.76:                               ;   in Loop: Header=BB281_15 Depth=1
	v_and_b32_e32 v5, 0x7f, v24
	v_mov_b32_e32 v50, 0x7c010000
	s_mov_b32 s18, exec_lo
	s_delay_alu instid0(VALU_DEP_2)
	v_cmpx_ne_u32_e32 0x7f, v5
	s_cbranch_execz .LBB281_80
; %bb.77:                               ;   in Loop: Header=BB281_15 Depth=1
	v_dual_lshrrev_b32 v4, 3, v5 :: v_dual_bitop2_b32 v0, 7, v24 bitop3:0x40
	s_mov_b32 s19, exec_lo
	v_cmpx_gt_u32_e32 8, v5
; %bb.78:                               ;   in Loop: Header=BB281_15 Depth=1
	s_delay_alu instid0(VALU_DEP_2) | instskip(NEXT) | instid1(VALU_DEP_1)
	v_clz_i32_u32_e32 v0, v0
	v_min_u32_e32 v0, 32, v0
	s_delay_alu instid0(VALU_DEP_1) | instskip(NEXT) | instid1(VALU_DEP_1)
	v_subrev_nc_u32_e32 v4, 28, v0
	v_lshlrev_b64_e32 v[8:9], v4, v[24:25]
	v_sub_nc_u32_e32 v4, 29, v0
	s_delay_alu instid0(VALU_DEP_2)
	v_and_b32_e32 v0, 7, v8
; %bb.79:                               ;   in Loop: Header=BB281_15 Depth=1
	s_or_b32 exec_lo, exec_lo, s19
	v_lshlrev_b32_e32 v5, 8, v24
	s_delay_alu instid0(VALU_DEP_3) | instskip(NEXT) | instid1(VALU_DEP_3)
	v_lshl_add_u32 v4, v4, 10, 0x2000
	v_lshlrev_b32_e32 v0, 23, v0
	s_delay_alu instid0(VALU_DEP_2) | instskip(NEXT) | instid1(VALU_DEP_1)
	v_and_or_b32 v4, 0x8000, v5, v4
	v_lshl_or_b32 v50, v4, 16, v0
.LBB281_80:                             ;   in Loop: Header=BB281_15 Depth=1
	s_or_b32 exec_lo, exec_lo, s18
.LBB281_81:                             ;   in Loop: Header=BB281_15 Depth=1
	s_delay_alu instid0(SALU_CYCLE_1)
	s_or_b32 exec_lo, exec_lo, s17
.LBB281_82:                             ;   in Loop: Header=BB281_15 Depth=1
	s_delay_alu instid0(SALU_CYCLE_1)
	s_or_b32 exec_lo, exec_lo, s16
	flat_load_b64 v[4:5], v[2:3] offset:8
	s_mov_b32 s16, exec_lo
	s_wait_loadcnt_dscnt 0x0
	v_and_b32_e32 v0, 0xff, v4
	s_wait_xcnt 0x0
	s_delay_alu instid0(VALU_DEP_1)
	v_cmpx_ne_u16_e32 0, v0
	s_cbranch_execz .LBB281_90
; %bb.83:                               ;   in Loop: Header=BB281_15 Depth=1
	v_mov_b32_e32 v67, 0x8000
	s_mov_b32 s17, exec_lo
	v_cmpx_ne_u16_e32 0x80, v0
	s_cbranch_execz .LBB281_89
; %bb.84:                               ;   in Loop: Header=BB281_15 Depth=1
	v_and_b32_e32 v8, 0x7f, v4
	v_mov_b32_e32 v67, 0x7c01
	s_mov_b32 s18, exec_lo
	s_delay_alu instid0(VALU_DEP_2)
	v_cmpx_ne_u32_e32 0x7f, v8
	s_cbranch_execz .LBB281_88
; %bb.85:                               ;   in Loop: Header=BB281_15 Depth=1
	v_and_b32_e32 v0, 7, v4
	v_lshrrev_b32_e32 v6, 3, v8
	s_mov_b32 s19, exec_lo
	v_cmpx_gt_u32_e32 8, v8
; %bb.86:                               ;   in Loop: Header=BB281_15 Depth=1
	s_delay_alu instid0(VALU_DEP_3) | instskip(NEXT) | instid1(VALU_DEP_1)
	v_clz_i32_u32_e32 v0, v0
	v_min_u32_e32 v0, 32, v0
	s_delay_alu instid0(VALU_DEP_1) | instskip(NEXT) | instid1(VALU_DEP_1)
	v_subrev_nc_u32_e32 v6, 28, v0
	v_lshlrev_b64_e32 v[8:9], v6, v[4:5]
	v_sub_nc_u32_e32 v6, 29, v0
	s_delay_alu instid0(VALU_DEP_2)
	v_and_b32_e32 v0, 7, v8
; %bb.87:                               ;   in Loop: Header=BB281_15 Depth=1
	s_or_b32 exec_lo, exec_lo, s19
	v_lshlrev_b32_e32 v8, 8, v4
	s_delay_alu instid0(VALU_DEP_3) | instskip(NEXT) | instid1(VALU_DEP_3)
	v_lshl_add_u32 v6, v6, 10, 0x2000
	v_lshlrev_b32_e32 v0, 7, v0
	s_delay_alu instid0(VALU_DEP_3) | instskip(NEXT) | instid1(VALU_DEP_3)
	v_and_b32_e32 v8, 0x8000, v8
	v_and_b32_e32 v6, 0xfc00, v6
	s_delay_alu instid0(VALU_DEP_1)
	v_or3_b32 v67, v8, v6, v0
.LBB281_88:                             ;   in Loop: Header=BB281_15 Depth=1
	s_or_b32 exec_lo, exec_lo, s18
.LBB281_89:                             ;   in Loop: Header=BB281_15 Depth=1
	s_delay_alu instid0(SALU_CYCLE_1)
	s_or_b32 exec_lo, exec_lo, s17
.LBB281_90:                             ;   in Loop: Header=BB281_15 Depth=1
	s_delay_alu instid0(SALU_CYCLE_1) | instskip(SKIP_3) | instid1(VALU_DEP_2)
	s_or_b32 exec_lo, exec_lo, s16
	v_lshrrev_b16 v24, 8, v4
	v_dual_mov_b32 v51, 0 :: v_dual_mov_b32 v52, 0
	s_mov_b32 s16, exec_lo
	v_cmpx_ne_u16_e32 0, v24
	s_cbranch_execz .LBB281_98
; %bb.91:                               ;   in Loop: Header=BB281_15 Depth=1
	v_bfrev_b32_e32 v52, 1
	s_mov_b32 s17, exec_lo
	v_cmpx_ne_u16_e32 0x80, v24
	s_cbranch_execz .LBB281_97
; %bb.92:                               ;   in Loop: Header=BB281_15 Depth=1
	v_and_b32_e32 v0, 0xffff, v24
	v_mov_b32_e32 v52, 0x7c010000
	s_mov_b32 s18, exec_lo
	s_delay_alu instid0(VALU_DEP_2) | instskip(NEXT) | instid1(VALU_DEP_1)
	v_and_b32_e32 v9, 0x7f, v0
	v_cmpx_ne_u32_e32 0x7f, v9
	s_cbranch_execz .LBB281_96
; %bb.93:                               ;   in Loop: Header=BB281_15 Depth=1
	v_dual_lshrrev_b32 v8, 3, v9 :: v_dual_bitop2_b32 v6, 7, v0 bitop3:0x40
	s_mov_b32 s19, exec_lo
	v_cmpx_gt_u32_e32 8, v9
; %bb.94:                               ;   in Loop: Header=BB281_15 Depth=1
	s_delay_alu instid0(VALU_DEP_2) | instskip(NEXT) | instid1(VALU_DEP_1)
	v_clz_i32_u32_e32 v6, v6
	v_min_u32_e32 v6, 32, v6
	s_delay_alu instid0(VALU_DEP_1) | instskip(NEXT) | instid1(VALU_DEP_1)
	v_subrev_nc_u32_e32 v8, 28, v6
	v_lshlrev_b64_e32 v[10:11], v8, v[24:25]
	v_sub_nc_u32_e32 v8, 29, v6
	s_delay_alu instid0(VALU_DEP_2)
	v_and_b32_e32 v6, 7, v10
; %bb.95:                               ;   in Loop: Header=BB281_15 Depth=1
	s_or_b32 exec_lo, exec_lo, s19
	s_delay_alu instid0(VALU_DEP_1) | instskip(NEXT) | instid1(VALU_DEP_3)
	v_dual_lshlrev_b32 v0, 8, v0 :: v_dual_lshlrev_b32 v6, 23, v6
	v_lshl_add_u32 v8, v8, 10, 0x2000
	s_delay_alu instid0(VALU_DEP_1) | instskip(NEXT) | instid1(VALU_DEP_1)
	v_and_or_b32 v0, 0x8000, v0, v8
	v_lshl_or_b32 v52, v0, 16, v6
.LBB281_96:                             ;   in Loop: Header=BB281_15 Depth=1
	s_or_b32 exec_lo, exec_lo, s18
.LBB281_97:                             ;   in Loop: Header=BB281_15 Depth=1
	s_delay_alu instid0(SALU_CYCLE_1)
	s_or_b32 exec_lo, exec_lo, s17
.LBB281_98:                             ;   in Loop: Header=BB281_15 Depth=1
	s_delay_alu instid0(SALU_CYCLE_1) | instskip(SKIP_2) | instid1(VALU_DEP_1)
	s_or_b32 exec_lo, exec_lo, s16
	v_lshrrev_b32_e32 v0, 16, v4
	s_mov_b32 s16, exec_lo
	v_and_b32_e32 v6, 0xff, v0
	s_delay_alu instid0(VALU_DEP_1)
	v_cmpx_ne_u16_e32 0, v6
	s_cbranch_execz .LBB281_106
; %bb.99:                               ;   in Loop: Header=BB281_15 Depth=1
	v_mov_b32_e32 v51, 0x8000
	s_mov_b32 s17, exec_lo
	v_cmpx_ne_u16_e32 0x80, v6
	s_cbranch_execz .LBB281_105
; %bb.100:                              ;   in Loop: Header=BB281_15 Depth=1
	v_bfe_u32 v9, v4, 16, 7
	v_mov_b32_e32 v51, 0x7c01
	s_mov_b32 s18, exec_lo
	s_delay_alu instid0(VALU_DEP_2)
	v_cmpx_ne_u32_e32 0x7f, v9
	s_cbranch_execz .LBB281_104
; %bb.101:                              ;   in Loop: Header=BB281_15 Depth=1
	v_dual_lshrrev_b32 v8, 3, v9 :: v_dual_bitop2_b32 v6, 7, v0 bitop3:0x40
	s_mov_b32 s19, exec_lo
	v_cmpx_gt_u32_e32 8, v9
; %bb.102:                              ;   in Loop: Header=BB281_15 Depth=1
	s_delay_alu instid0(VALU_DEP_2) | instskip(NEXT) | instid1(VALU_DEP_1)
	v_clz_i32_u32_e32 v6, v6
	v_min_u32_e32 v6, 32, v6
	s_delay_alu instid0(VALU_DEP_1) | instskip(NEXT) | instid1(VALU_DEP_1)
	v_subrev_nc_u32_e32 v8, 28, v6
	v_lshlrev_b64_e32 v[10:11], v8, v[0:1]
	v_sub_nc_u32_e32 v8, 29, v6
	s_delay_alu instid0(VALU_DEP_2)
	v_and_b32_e32 v6, 7, v10
; %bb.103:                              ;   in Loop: Header=BB281_15 Depth=1
	s_or_b32 exec_lo, exec_lo, s19
	s_delay_alu instid0(VALU_DEP_1) | instskip(NEXT) | instid1(VALU_DEP_3)
	v_dual_lshlrev_b32 v0, 8, v0 :: v_dual_lshlrev_b32 v6, 7, v6
	v_lshl_add_u32 v8, v8, 10, 0x2000
	s_delay_alu instid0(VALU_DEP_2) | instskip(NEXT) | instid1(VALU_DEP_2)
	v_and_b32_e32 v0, 0x8000, v0
	v_and_b32_e32 v8, 0xfc00, v8
	s_delay_alu instid0(VALU_DEP_1)
	v_or3_b32 v51, v0, v8, v6
.LBB281_104:                            ;   in Loop: Header=BB281_15 Depth=1
	s_or_b32 exec_lo, exec_lo, s18
.LBB281_105:                            ;   in Loop: Header=BB281_15 Depth=1
	s_delay_alu instid0(SALU_CYCLE_1)
	s_or_b32 exec_lo, exec_lo, s17
.LBB281_106:                            ;   in Loop: Header=BB281_15 Depth=1
	s_delay_alu instid0(SALU_CYCLE_1)
	s_or_b32 exec_lo, exec_lo, s16
	v_dual_mov_b32 v53, 0 :: v_dual_mov_b32 v66, 0
	s_mov_b32 s16, exec_lo
	v_cmpx_lt_u32_e32 0xffffff, v4
	s_cbranch_execz .LBB281_114
; %bb.107:                              ;   in Loop: Header=BB281_15 Depth=1
	v_lshrrev_b32_e32 v24, 24, v4
	v_bfrev_b32_e32 v66, 1
	s_mov_b32 s17, exec_lo
	s_delay_alu instid0(VALU_DEP_2)
	v_cmpx_ne_u32_e32 0x80, v24
	s_cbranch_execz .LBB281_113
; %bb.108:                              ;   in Loop: Header=BB281_15 Depth=1
	v_and_b32_e32 v8, 0x7f, v24
	v_mov_b32_e32 v66, 0x7c010000
	s_mov_b32 s18, exec_lo
	s_delay_alu instid0(VALU_DEP_2)
	v_cmpx_ne_u32_e32 0x7f, v8
	s_cbranch_execz .LBB281_112
; %bb.109:                              ;   in Loop: Header=BB281_15 Depth=1
	v_and_b32_e32 v0, 7, v24
	v_lshrrev_b32_e32 v6, 3, v8
	s_mov_b32 s19, exec_lo
	v_cmpx_gt_u32_e32 8, v8
; %bb.110:                              ;   in Loop: Header=BB281_15 Depth=1
	s_delay_alu instid0(VALU_DEP_3) | instskip(NEXT) | instid1(VALU_DEP_1)
	v_clz_i32_u32_e32 v0, v0
	v_min_u32_e32 v0, 32, v0
	s_delay_alu instid0(VALU_DEP_1) | instskip(NEXT) | instid1(VALU_DEP_1)
	v_subrev_nc_u32_e32 v6, 28, v0
	v_lshlrev_b64_e32 v[8:9], v6, v[24:25]
	v_sub_nc_u32_e32 v6, 29, v0
	s_delay_alu instid0(VALU_DEP_2)
	v_and_b32_e32 v0, 7, v8
; %bb.111:                              ;   in Loop: Header=BB281_15 Depth=1
	s_or_b32 exec_lo, exec_lo, s19
	v_lshlrev_b32_e32 v8, 8, v24
	s_delay_alu instid0(VALU_DEP_3) | instskip(NEXT) | instid1(VALU_DEP_3)
	v_lshl_add_u32 v6, v6, 10, 0x2000
	v_lshlrev_b32_e32 v0, 23, v0
	s_delay_alu instid0(VALU_DEP_2) | instskip(NEXT) | instid1(VALU_DEP_1)
	v_and_or_b32 v6, 0x8000, v8, v6
	v_lshl_or_b32 v66, v6, 16, v0
.LBB281_112:                            ;   in Loop: Header=BB281_15 Depth=1
	s_or_b32 exec_lo, exec_lo, s18
.LBB281_113:                            ;   in Loop: Header=BB281_15 Depth=1
	s_delay_alu instid0(SALU_CYCLE_1)
	s_or_b32 exec_lo, exec_lo, s17
.LBB281_114:                            ;   in Loop: Header=BB281_15 Depth=1
	s_delay_alu instid0(SALU_CYCLE_1) | instskip(SKIP_3) | instid1(VALU_DEP_2)
	s_or_b32 exec_lo, exec_lo, s16
	v_and_b32_e32 v0, 0xff, v5
	v_mov_b32_e32 v24, v5
	s_mov_b32 s16, exec_lo
	v_cmpx_ne_u16_e32 0, v0
	s_cbranch_execz .LBB281_122
; %bb.115:                              ;   in Loop: Header=BB281_15 Depth=1
	v_mov_b32_e32 v53, 0x8000
	s_mov_b32 s17, exec_lo
	v_cmpx_ne_u16_e32 0x80, v0
	s_cbranch_execz .LBB281_121
; %bb.116:                              ;   in Loop: Header=BB281_15 Depth=1
	v_and_b32_e32 v8, 0x7f, v5
	v_mov_b32_e32 v53, 0x7c01
	s_mov_b32 s18, exec_lo
	s_delay_alu instid0(VALU_DEP_2)
	v_cmpx_ne_u32_e32 0x7f, v8
	s_cbranch_execz .LBB281_120
; %bb.117:                              ;   in Loop: Header=BB281_15 Depth=1
	v_dual_lshrrev_b32 v6, 3, v8 :: v_dual_bitop2_b32 v0, 7, v5 bitop3:0x40
	s_mov_b32 s19, exec_lo
	v_cmpx_gt_u32_e32 8, v8
; %bb.118:                              ;   in Loop: Header=BB281_15 Depth=1
	s_delay_alu instid0(VALU_DEP_2) | instskip(NEXT) | instid1(VALU_DEP_1)
	v_clz_i32_u32_e32 v0, v0
	v_min_u32_e32 v0, 32, v0
	s_delay_alu instid0(VALU_DEP_1) | instskip(NEXT) | instid1(VALU_DEP_1)
	v_subrev_nc_u32_e32 v6, 28, v0
	v_lshlrev_b64_e32 v[8:9], v6, v[24:25]
	v_sub_nc_u32_e32 v6, 29, v0
	s_delay_alu instid0(VALU_DEP_2)
	v_and_b32_e32 v0, 7, v8
; %bb.119:                              ;   in Loop: Header=BB281_15 Depth=1
	s_or_b32 exec_lo, exec_lo, s19
	s_delay_alu instid0(VALU_DEP_1) | instskip(NEXT) | instid1(VALU_DEP_3)
	v_dual_lshlrev_b32 v8, 8, v5 :: v_dual_lshlrev_b32 v0, 7, v0
	v_lshl_add_u32 v6, v6, 10, 0x2000
	s_delay_alu instid0(VALU_DEP_2) | instskip(NEXT) | instid1(VALU_DEP_2)
	v_and_b32_e32 v8, 0x8000, v8
	v_and_b32_e32 v6, 0xfc00, v6
	s_delay_alu instid0(VALU_DEP_1)
	v_or3_b32 v53, v8, v6, v0
.LBB281_120:                            ;   in Loop: Header=BB281_15 Depth=1
	s_or_b32 exec_lo, exec_lo, s18
.LBB281_121:                            ;   in Loop: Header=BB281_15 Depth=1
	s_delay_alu instid0(SALU_CYCLE_1)
	s_or_b32 exec_lo, exec_lo, s17
.LBB281_122:                            ;   in Loop: Header=BB281_15 Depth=1
	s_delay_alu instid0(SALU_CYCLE_1) | instskip(SKIP_3) | instid1(VALU_DEP_2)
	s_or_b32 exec_lo, exec_lo, s16
	v_lshrrev_b16 v24, 8, v24
	v_dual_mov_b32 v69, 0 :: v_dual_mov_b32 v68, 0
	s_mov_b32 s16, exec_lo
	v_cmpx_ne_u16_e32 0, v24
	s_cbranch_execz .LBB281_130
; %bb.123:                              ;   in Loop: Header=BB281_15 Depth=1
	v_bfrev_b32_e32 v68, 1
	s_mov_b32 s17, exec_lo
	v_cmpx_ne_u16_e32 0x80, v24
	s_cbranch_execz .LBB281_129
; %bb.124:                              ;   in Loop: Header=BB281_15 Depth=1
	v_and_b32_e32 v0, 0xffff, v24
	v_mov_b32_e32 v68, 0x7c010000
	s_mov_b32 s18, exec_lo
	s_delay_alu instid0(VALU_DEP_2) | instskip(NEXT) | instid1(VALU_DEP_1)
	v_and_b32_e32 v9, 0x7f, v0
	v_cmpx_ne_u32_e32 0x7f, v9
	s_cbranch_execz .LBB281_128
; %bb.125:                              ;   in Loop: Header=BB281_15 Depth=1
	v_dual_lshrrev_b32 v8, 3, v9 :: v_dual_bitop2_b32 v6, 7, v0 bitop3:0x40
	s_mov_b32 s19, exec_lo
	v_cmpx_gt_u32_e32 8, v9
; %bb.126:                              ;   in Loop: Header=BB281_15 Depth=1
	s_delay_alu instid0(VALU_DEP_2) | instskip(NEXT) | instid1(VALU_DEP_1)
	v_clz_i32_u32_e32 v6, v6
	v_min_u32_e32 v6, 32, v6
	s_delay_alu instid0(VALU_DEP_1) | instskip(NEXT) | instid1(VALU_DEP_1)
	v_subrev_nc_u32_e32 v8, 28, v6
	v_lshlrev_b64_e32 v[10:11], v8, v[24:25]
	v_sub_nc_u32_e32 v8, 29, v6
	s_delay_alu instid0(VALU_DEP_2)
	v_and_b32_e32 v6, 7, v10
; %bb.127:                              ;   in Loop: Header=BB281_15 Depth=1
	s_or_b32 exec_lo, exec_lo, s19
	s_delay_alu instid0(VALU_DEP_1) | instskip(NEXT) | instid1(VALU_DEP_3)
	v_dual_lshlrev_b32 v0, 8, v0 :: v_dual_lshlrev_b32 v6, 23, v6
	v_lshl_add_u32 v8, v8, 10, 0x2000
	s_delay_alu instid0(VALU_DEP_1) | instskip(NEXT) | instid1(VALU_DEP_1)
	v_and_or_b32 v0, 0x8000, v0, v8
	v_lshl_or_b32 v68, v0, 16, v6
.LBB281_128:                            ;   in Loop: Header=BB281_15 Depth=1
	s_or_b32 exec_lo, exec_lo, s18
.LBB281_129:                            ;   in Loop: Header=BB281_15 Depth=1
	s_delay_alu instid0(SALU_CYCLE_1)
	s_or_b32 exec_lo, exec_lo, s17
.LBB281_130:                            ;   in Loop: Header=BB281_15 Depth=1
	s_delay_alu instid0(SALU_CYCLE_1) | instskip(SKIP_2) | instid1(VALU_DEP_1)
	s_or_b32 exec_lo, exec_lo, s16
	v_lshrrev_b32_e32 v0, 16, v5
	s_mov_b32 s16, exec_lo
	v_and_b32_e32 v6, 0xff, v0
	s_delay_alu instid0(VALU_DEP_1)
	v_cmpx_ne_u16_e32 0, v6
	s_cbranch_execz .LBB281_138
; %bb.131:                              ;   in Loop: Header=BB281_15 Depth=1
	v_mov_b32_e32 v69, 0x8000
	s_mov_b32 s17, exec_lo
	v_cmpx_ne_u16_e32 0x80, v6
	s_cbranch_execz .LBB281_137
; %bb.132:                              ;   in Loop: Header=BB281_15 Depth=1
	v_bfe_u32 v9, v5, 16, 7
	v_mov_b32_e32 v69, 0x7c01
	s_mov_b32 s18, exec_lo
	s_delay_alu instid0(VALU_DEP_2)
	v_cmpx_ne_u32_e32 0x7f, v9
	s_cbranch_execz .LBB281_136
; %bb.133:                              ;   in Loop: Header=BB281_15 Depth=1
	v_dual_lshrrev_b32 v8, 3, v9 :: v_dual_bitop2_b32 v6, 7, v0 bitop3:0x40
	s_mov_b32 s19, exec_lo
	v_cmpx_gt_u32_e32 8, v9
; %bb.134:                              ;   in Loop: Header=BB281_15 Depth=1
	s_delay_alu instid0(VALU_DEP_2) | instskip(NEXT) | instid1(VALU_DEP_1)
	v_clz_i32_u32_e32 v6, v6
	v_min_u32_e32 v6, 32, v6
	s_delay_alu instid0(VALU_DEP_1) | instskip(NEXT) | instid1(VALU_DEP_1)
	v_subrev_nc_u32_e32 v8, 28, v6
	v_lshlrev_b64_e32 v[10:11], v8, v[0:1]
	v_sub_nc_u32_e32 v8, 29, v6
	s_delay_alu instid0(VALU_DEP_2)
	v_and_b32_e32 v6, 7, v10
; %bb.135:                              ;   in Loop: Header=BB281_15 Depth=1
	s_or_b32 exec_lo, exec_lo, s19
	s_delay_alu instid0(VALU_DEP_1) | instskip(NEXT) | instid1(VALU_DEP_3)
	v_dual_lshlrev_b32 v0, 8, v0 :: v_dual_lshlrev_b32 v6, 7, v6
	v_lshl_add_u32 v8, v8, 10, 0x2000
	s_delay_alu instid0(VALU_DEP_2) | instskip(NEXT) | instid1(VALU_DEP_2)
	v_and_b32_e32 v0, 0x8000, v0
	v_and_b32_e32 v8, 0xfc00, v8
	s_delay_alu instid0(VALU_DEP_1)
	v_or3_b32 v69, v0, v8, v6
.LBB281_136:                            ;   in Loop: Header=BB281_15 Depth=1
	s_or_b32 exec_lo, exec_lo, s18
.LBB281_137:                            ;   in Loop: Header=BB281_15 Depth=1
	s_delay_alu instid0(SALU_CYCLE_1)
	s_or_b32 exec_lo, exec_lo, s17
.LBB281_138:                            ;   in Loop: Header=BB281_15 Depth=1
	s_delay_alu instid0(SALU_CYCLE_1)
	s_or_b32 exec_lo, exec_lo, s16
	v_dual_mov_b32 v43, 0 :: v_dual_mov_b32 v71, 0
	s_mov_b32 s16, exec_lo
	v_cmpx_lt_u64_e64 s[8:9], v[4:5]
	s_cbranch_execz .LBB281_146
; %bb.139:                              ;   in Loop: Header=BB281_15 Depth=1
	v_lshrrev_b32_e32 v24, 24, v5
	v_bfrev_b32_e32 v71, 1
	s_mov_b32 s17, exec_lo
	s_delay_alu instid0(VALU_DEP_2)
	v_cmpx_ne_u32_e32 0x80, v24
	s_cbranch_execz .LBB281_145
; %bb.140:                              ;   in Loop: Header=BB281_15 Depth=1
	v_and_b32_e32 v5, 0x7f, v24
	v_mov_b32_e32 v71, 0x7c010000
	s_mov_b32 s18, exec_lo
	s_delay_alu instid0(VALU_DEP_2)
	v_cmpx_ne_u32_e32 0x7f, v5
	s_cbranch_execz .LBB281_144
; %bb.141:                              ;   in Loop: Header=BB281_15 Depth=1
	v_dual_lshrrev_b32 v4, 3, v5 :: v_dual_bitop2_b32 v0, 7, v24 bitop3:0x40
	s_mov_b32 s19, exec_lo
	v_cmpx_gt_u32_e32 8, v5
; %bb.142:                              ;   in Loop: Header=BB281_15 Depth=1
	s_delay_alu instid0(VALU_DEP_2) | instskip(NEXT) | instid1(VALU_DEP_1)
	v_clz_i32_u32_e32 v0, v0
	v_min_u32_e32 v0, 32, v0
	s_delay_alu instid0(VALU_DEP_1) | instskip(NEXT) | instid1(VALU_DEP_1)
	v_subrev_nc_u32_e32 v4, 28, v0
	v_lshlrev_b64_e32 v[8:9], v4, v[24:25]
	v_sub_nc_u32_e32 v4, 29, v0
	s_delay_alu instid0(VALU_DEP_2)
	v_and_b32_e32 v0, 7, v8
; %bb.143:                              ;   in Loop: Header=BB281_15 Depth=1
	s_or_b32 exec_lo, exec_lo, s19
	v_lshlrev_b32_e32 v5, 8, v24
	s_delay_alu instid0(VALU_DEP_3) | instskip(NEXT) | instid1(VALU_DEP_3)
	v_lshl_add_u32 v4, v4, 10, 0x2000
	v_lshlrev_b32_e32 v0, 23, v0
	s_delay_alu instid0(VALU_DEP_2) | instskip(NEXT) | instid1(VALU_DEP_1)
	v_and_or_b32 v4, 0x8000, v5, v4
	v_lshl_or_b32 v71, v4, 16, v0
.LBB281_144:                            ;   in Loop: Header=BB281_15 Depth=1
	s_or_b32 exec_lo, exec_lo, s18
.LBB281_145:                            ;   in Loop: Header=BB281_15 Depth=1
	s_delay_alu instid0(SALU_CYCLE_1)
	s_or_b32 exec_lo, exec_lo, s17
.LBB281_146:                            ;   in Loop: Header=BB281_15 Depth=1
	s_delay_alu instid0(SALU_CYCLE_1)
	s_or_b32 exec_lo, exec_lo, s16
	flat_load_b64 v[4:5], v[2:3] offset:512
	s_mov_b32 s16, exec_lo
	s_wait_loadcnt_dscnt 0x0
	v_and_b32_e32 v0, 0xff, v4
	s_wait_xcnt 0x0
	s_delay_alu instid0(VALU_DEP_1)
	v_cmpx_ne_u16_e32 0, v0
	s_cbranch_execz .LBB281_154
; %bb.147:                              ;   in Loop: Header=BB281_15 Depth=1
	v_mov_b32_e32 v43, 0x8000
	s_mov_b32 s17, exec_lo
	v_cmpx_ne_u16_e32 0x80, v0
	s_cbranch_execz .LBB281_153
; %bb.148:                              ;   in Loop: Header=BB281_15 Depth=1
	v_and_b32_e32 v8, 0x7f, v4
	v_mov_b32_e32 v43, 0x7c01
	s_mov_b32 s18, exec_lo
	s_delay_alu instid0(VALU_DEP_2)
	v_cmpx_ne_u32_e32 0x7f, v8
	s_cbranch_execz .LBB281_152
; %bb.149:                              ;   in Loop: Header=BB281_15 Depth=1
	v_and_b32_e32 v0, 7, v4
	v_lshrrev_b32_e32 v6, 3, v8
	s_mov_b32 s19, exec_lo
	v_cmpx_gt_u32_e32 8, v8
; %bb.150:                              ;   in Loop: Header=BB281_15 Depth=1
	s_delay_alu instid0(VALU_DEP_3) | instskip(NEXT) | instid1(VALU_DEP_1)
	v_clz_i32_u32_e32 v0, v0
	v_min_u32_e32 v0, 32, v0
	s_delay_alu instid0(VALU_DEP_1) | instskip(NEXT) | instid1(VALU_DEP_1)
	v_subrev_nc_u32_e32 v6, 28, v0
	v_lshlrev_b64_e32 v[8:9], v6, v[4:5]
	v_sub_nc_u32_e32 v6, 29, v0
	s_delay_alu instid0(VALU_DEP_2)
	v_and_b32_e32 v0, 7, v8
; %bb.151:                              ;   in Loop: Header=BB281_15 Depth=1
	s_or_b32 exec_lo, exec_lo, s19
	v_lshlrev_b32_e32 v8, 8, v4
	s_delay_alu instid0(VALU_DEP_3) | instskip(NEXT) | instid1(VALU_DEP_3)
	v_lshl_add_u32 v6, v6, 10, 0x2000
	v_lshlrev_b32_e32 v0, 7, v0
	s_delay_alu instid0(VALU_DEP_3) | instskip(NEXT) | instid1(VALU_DEP_3)
	v_and_b32_e32 v8, 0x8000, v8
	v_and_b32_e32 v6, 0xfc00, v6
	s_delay_alu instid0(VALU_DEP_1)
	v_or3_b32 v43, v8, v6, v0
.LBB281_152:                            ;   in Loop: Header=BB281_15 Depth=1
	s_or_b32 exec_lo, exec_lo, s18
.LBB281_153:                            ;   in Loop: Header=BB281_15 Depth=1
	s_delay_alu instid0(SALU_CYCLE_1)
	s_or_b32 exec_lo, exec_lo, s17
.LBB281_154:                            ;   in Loop: Header=BB281_15 Depth=1
	s_delay_alu instid0(SALU_CYCLE_1) | instskip(SKIP_3) | instid1(VALU_DEP_2)
	s_or_b32 exec_lo, exec_lo, s16
	v_lshrrev_b16 v24, 8, v4
	v_dual_mov_b32 v117, 0 :: v_dual_mov_b32 v83, 0
	s_mov_b32 s16, exec_lo
	v_cmpx_ne_u16_e32 0, v24
	s_cbranch_execz .LBB281_162
; %bb.155:                              ;   in Loop: Header=BB281_15 Depth=1
	v_bfrev_b32_e32 v83, 1
	s_mov_b32 s17, exec_lo
	v_cmpx_ne_u16_e32 0x80, v24
	s_cbranch_execz .LBB281_161
; %bb.156:                              ;   in Loop: Header=BB281_15 Depth=1
	v_and_b32_e32 v0, 0xffff, v24
	v_mov_b32_e32 v83, 0x7c010000
	s_mov_b32 s18, exec_lo
	s_delay_alu instid0(VALU_DEP_2) | instskip(NEXT) | instid1(VALU_DEP_1)
	v_and_b32_e32 v9, 0x7f, v0
	v_cmpx_ne_u32_e32 0x7f, v9
	s_cbranch_execz .LBB281_160
; %bb.157:                              ;   in Loop: Header=BB281_15 Depth=1
	v_dual_lshrrev_b32 v8, 3, v9 :: v_dual_bitop2_b32 v6, 7, v0 bitop3:0x40
	s_mov_b32 s19, exec_lo
	v_cmpx_gt_u32_e32 8, v9
; %bb.158:                              ;   in Loop: Header=BB281_15 Depth=1
	s_delay_alu instid0(VALU_DEP_2) | instskip(NEXT) | instid1(VALU_DEP_1)
	v_clz_i32_u32_e32 v6, v6
	v_min_u32_e32 v6, 32, v6
	s_delay_alu instid0(VALU_DEP_1) | instskip(NEXT) | instid1(VALU_DEP_1)
	v_subrev_nc_u32_e32 v8, 28, v6
	v_lshlrev_b64_e32 v[10:11], v8, v[24:25]
	v_sub_nc_u32_e32 v8, 29, v6
	s_delay_alu instid0(VALU_DEP_2)
	v_and_b32_e32 v6, 7, v10
; %bb.159:                              ;   in Loop: Header=BB281_15 Depth=1
	s_or_b32 exec_lo, exec_lo, s19
	s_delay_alu instid0(VALU_DEP_1) | instskip(NEXT) | instid1(VALU_DEP_3)
	v_dual_lshlrev_b32 v0, 8, v0 :: v_dual_lshlrev_b32 v6, 23, v6
	v_lshl_add_u32 v8, v8, 10, 0x2000
	s_delay_alu instid0(VALU_DEP_1) | instskip(NEXT) | instid1(VALU_DEP_1)
	v_and_or_b32 v0, 0x8000, v0, v8
	v_lshl_or_b32 v83, v0, 16, v6
.LBB281_160:                            ;   in Loop: Header=BB281_15 Depth=1
	s_or_b32 exec_lo, exec_lo, s18
.LBB281_161:                            ;   in Loop: Header=BB281_15 Depth=1
	s_delay_alu instid0(SALU_CYCLE_1)
	s_or_b32 exec_lo, exec_lo, s17
.LBB281_162:                            ;   in Loop: Header=BB281_15 Depth=1
	s_delay_alu instid0(SALU_CYCLE_1) | instskip(SKIP_2) | instid1(VALU_DEP_1)
	s_or_b32 exec_lo, exec_lo, s16
	v_lshrrev_b32_e32 v0, 16, v4
	s_mov_b32 s16, exec_lo
	v_and_b32_e32 v6, 0xff, v0
	s_delay_alu instid0(VALU_DEP_1)
	v_cmpx_ne_u16_e32 0, v6
	s_cbranch_execz .LBB281_170
; %bb.163:                              ;   in Loop: Header=BB281_15 Depth=1
	v_mov_b32_e32 v117, 0x8000
	s_mov_b32 s17, exec_lo
	v_cmpx_ne_u16_e32 0x80, v6
	s_cbranch_execz .LBB281_169
; %bb.164:                              ;   in Loop: Header=BB281_15 Depth=1
	v_bfe_u32 v9, v4, 16, 7
	v_mov_b32_e32 v117, 0x7c01
	s_mov_b32 s18, exec_lo
	s_delay_alu instid0(VALU_DEP_2)
	v_cmpx_ne_u32_e32 0x7f, v9
	s_cbranch_execz .LBB281_168
; %bb.165:                              ;   in Loop: Header=BB281_15 Depth=1
	v_dual_lshrrev_b32 v8, 3, v9 :: v_dual_bitop2_b32 v6, 7, v0 bitop3:0x40
	s_mov_b32 s19, exec_lo
	v_cmpx_gt_u32_e32 8, v9
; %bb.166:                              ;   in Loop: Header=BB281_15 Depth=1
	s_delay_alu instid0(VALU_DEP_2) | instskip(NEXT) | instid1(VALU_DEP_1)
	v_clz_i32_u32_e32 v6, v6
	v_min_u32_e32 v6, 32, v6
	s_delay_alu instid0(VALU_DEP_1) | instskip(NEXT) | instid1(VALU_DEP_1)
	v_subrev_nc_u32_e32 v8, 28, v6
	v_lshlrev_b64_e32 v[10:11], v8, v[0:1]
	v_sub_nc_u32_e32 v8, 29, v6
	s_delay_alu instid0(VALU_DEP_2)
	v_and_b32_e32 v6, 7, v10
; %bb.167:                              ;   in Loop: Header=BB281_15 Depth=1
	s_or_b32 exec_lo, exec_lo, s19
	s_delay_alu instid0(VALU_DEP_1) | instskip(NEXT) | instid1(VALU_DEP_3)
	v_dual_lshlrev_b32 v0, 8, v0 :: v_dual_lshlrev_b32 v6, 7, v6
	v_lshl_add_u32 v8, v8, 10, 0x2000
	s_delay_alu instid0(VALU_DEP_2) | instskip(NEXT) | instid1(VALU_DEP_2)
	v_and_b32_e32 v0, 0x8000, v0
	v_and_b32_e32 v8, 0xfc00, v8
	s_delay_alu instid0(VALU_DEP_1)
	v_or3_b32 v117, v0, v8, v6
.LBB281_168:                            ;   in Loop: Header=BB281_15 Depth=1
	s_or_b32 exec_lo, exec_lo, s18
.LBB281_169:                            ;   in Loop: Header=BB281_15 Depth=1
	s_delay_alu instid0(SALU_CYCLE_1)
	s_or_b32 exec_lo, exec_lo, s17
.LBB281_170:                            ;   in Loop: Header=BB281_15 Depth=1
	s_delay_alu instid0(SALU_CYCLE_1)
	s_or_b32 exec_lo, exec_lo, s16
	v_dual_mov_b32 v84, 0 :: v_dual_mov_b32 v85, 0
	s_mov_b32 s16, exec_lo
	v_cmpx_lt_u32_e32 0xffffff, v4
	s_cbranch_execz .LBB281_178
; %bb.171:                              ;   in Loop: Header=BB281_15 Depth=1
	v_lshrrev_b32_e32 v24, 24, v4
	v_bfrev_b32_e32 v85, 1
	s_mov_b32 s17, exec_lo
	s_delay_alu instid0(VALU_DEP_2)
	v_cmpx_ne_u32_e32 0x80, v24
	s_cbranch_execz .LBB281_177
; %bb.172:                              ;   in Loop: Header=BB281_15 Depth=1
	v_and_b32_e32 v8, 0x7f, v24
	v_mov_b32_e32 v85, 0x7c010000
	s_mov_b32 s18, exec_lo
	s_delay_alu instid0(VALU_DEP_2)
	v_cmpx_ne_u32_e32 0x7f, v8
	s_cbranch_execz .LBB281_176
; %bb.173:                              ;   in Loop: Header=BB281_15 Depth=1
	v_and_b32_e32 v0, 7, v24
	v_lshrrev_b32_e32 v6, 3, v8
	s_mov_b32 s19, exec_lo
	v_cmpx_gt_u32_e32 8, v8
; %bb.174:                              ;   in Loop: Header=BB281_15 Depth=1
	s_delay_alu instid0(VALU_DEP_3) | instskip(NEXT) | instid1(VALU_DEP_1)
	v_clz_i32_u32_e32 v0, v0
	v_min_u32_e32 v0, 32, v0
	s_delay_alu instid0(VALU_DEP_1) | instskip(NEXT) | instid1(VALU_DEP_1)
	v_subrev_nc_u32_e32 v6, 28, v0
	v_lshlrev_b64_e32 v[8:9], v6, v[24:25]
	v_sub_nc_u32_e32 v6, 29, v0
	s_delay_alu instid0(VALU_DEP_2)
	v_and_b32_e32 v0, 7, v8
; %bb.175:                              ;   in Loop: Header=BB281_15 Depth=1
	s_or_b32 exec_lo, exec_lo, s19
	v_lshlrev_b32_e32 v8, 8, v24
	s_delay_alu instid0(VALU_DEP_3) | instskip(NEXT) | instid1(VALU_DEP_3)
	v_lshl_add_u32 v6, v6, 10, 0x2000
	v_lshlrev_b32_e32 v0, 23, v0
	s_delay_alu instid0(VALU_DEP_2) | instskip(NEXT) | instid1(VALU_DEP_1)
	v_and_or_b32 v6, 0x8000, v8, v6
	v_lshl_or_b32 v85, v6, 16, v0
.LBB281_176:                            ;   in Loop: Header=BB281_15 Depth=1
	s_or_b32 exec_lo, exec_lo, s18
.LBB281_177:                            ;   in Loop: Header=BB281_15 Depth=1
	s_delay_alu instid0(SALU_CYCLE_1)
	s_or_b32 exec_lo, exec_lo, s17
.LBB281_178:                            ;   in Loop: Header=BB281_15 Depth=1
	s_delay_alu instid0(SALU_CYCLE_1) | instskip(SKIP_3) | instid1(VALU_DEP_2)
	s_or_b32 exec_lo, exec_lo, s16
	v_and_b32_e32 v0, 0xff, v5
	v_mov_b32_e32 v24, v5
	s_mov_b32 s16, exec_lo
	v_cmpx_ne_u16_e32 0, v0
	s_cbranch_execz .LBB281_186
; %bb.179:                              ;   in Loop: Header=BB281_15 Depth=1
	v_mov_b32_e32 v84, 0x8000
	s_mov_b32 s17, exec_lo
	v_cmpx_ne_u16_e32 0x80, v0
	s_cbranch_execz .LBB281_185
; %bb.180:                              ;   in Loop: Header=BB281_15 Depth=1
	v_and_b32_e32 v8, 0x7f, v5
	v_mov_b32_e32 v84, 0x7c01
	s_mov_b32 s18, exec_lo
	s_delay_alu instid0(VALU_DEP_2)
	v_cmpx_ne_u32_e32 0x7f, v8
	s_cbranch_execz .LBB281_184
; %bb.181:                              ;   in Loop: Header=BB281_15 Depth=1
	v_dual_lshrrev_b32 v6, 3, v8 :: v_dual_bitop2_b32 v0, 7, v5 bitop3:0x40
	s_mov_b32 s19, exec_lo
	v_cmpx_gt_u32_e32 8, v8
; %bb.182:                              ;   in Loop: Header=BB281_15 Depth=1
	s_delay_alu instid0(VALU_DEP_2) | instskip(NEXT) | instid1(VALU_DEP_1)
	v_clz_i32_u32_e32 v0, v0
	v_min_u32_e32 v0, 32, v0
	s_delay_alu instid0(VALU_DEP_1) | instskip(NEXT) | instid1(VALU_DEP_1)
	v_subrev_nc_u32_e32 v6, 28, v0
	v_lshlrev_b64_e32 v[8:9], v6, v[24:25]
	v_sub_nc_u32_e32 v6, 29, v0
	s_delay_alu instid0(VALU_DEP_2)
	v_and_b32_e32 v0, 7, v8
; %bb.183:                              ;   in Loop: Header=BB281_15 Depth=1
	s_or_b32 exec_lo, exec_lo, s19
	s_delay_alu instid0(VALU_DEP_1) | instskip(NEXT) | instid1(VALU_DEP_3)
	v_dual_lshlrev_b32 v8, 8, v5 :: v_dual_lshlrev_b32 v0, 7, v0
	v_lshl_add_u32 v6, v6, 10, 0x2000
	s_delay_alu instid0(VALU_DEP_2) | instskip(NEXT) | instid1(VALU_DEP_2)
	v_and_b32_e32 v8, 0x8000, v8
	v_and_b32_e32 v6, 0xfc00, v6
	s_delay_alu instid0(VALU_DEP_1)
	v_or3_b32 v84, v8, v6, v0
.LBB281_184:                            ;   in Loop: Header=BB281_15 Depth=1
	s_or_b32 exec_lo, exec_lo, s18
.LBB281_185:                            ;   in Loop: Header=BB281_15 Depth=1
	s_delay_alu instid0(SALU_CYCLE_1)
	s_or_b32 exec_lo, exec_lo, s17
.LBB281_186:                            ;   in Loop: Header=BB281_15 Depth=1
	s_delay_alu instid0(SALU_CYCLE_1) | instskip(SKIP_3) | instid1(VALU_DEP_2)
	s_or_b32 exec_lo, exec_lo, s16
	v_lshrrev_b16 v24, 8, v24
	v_dual_mov_b32 v118, 0 :: v_dual_mov_b32 v57, 0
	s_mov_b32 s16, exec_lo
	v_cmpx_ne_u16_e32 0, v24
	s_cbranch_execz .LBB281_194
; %bb.187:                              ;   in Loop: Header=BB281_15 Depth=1
	v_bfrev_b32_e32 v57, 1
	s_mov_b32 s17, exec_lo
	v_cmpx_ne_u16_e32 0x80, v24
	s_cbranch_execz .LBB281_193
; %bb.188:                              ;   in Loop: Header=BB281_15 Depth=1
	v_and_b32_e32 v0, 0xffff, v24
	v_mov_b32_e32 v57, 0x7c010000
	s_mov_b32 s18, exec_lo
	s_delay_alu instid0(VALU_DEP_2) | instskip(NEXT) | instid1(VALU_DEP_1)
	v_and_b32_e32 v9, 0x7f, v0
	v_cmpx_ne_u32_e32 0x7f, v9
	s_cbranch_execz .LBB281_192
; %bb.189:                              ;   in Loop: Header=BB281_15 Depth=1
	v_dual_lshrrev_b32 v8, 3, v9 :: v_dual_bitop2_b32 v6, 7, v0 bitop3:0x40
	s_mov_b32 s19, exec_lo
	v_cmpx_gt_u32_e32 8, v9
; %bb.190:                              ;   in Loop: Header=BB281_15 Depth=1
	s_delay_alu instid0(VALU_DEP_2) | instskip(NEXT) | instid1(VALU_DEP_1)
	v_clz_i32_u32_e32 v6, v6
	v_min_u32_e32 v6, 32, v6
	s_delay_alu instid0(VALU_DEP_1) | instskip(NEXT) | instid1(VALU_DEP_1)
	v_subrev_nc_u32_e32 v8, 28, v6
	v_lshlrev_b64_e32 v[10:11], v8, v[24:25]
	v_sub_nc_u32_e32 v8, 29, v6
	s_delay_alu instid0(VALU_DEP_2)
	v_and_b32_e32 v6, 7, v10
; %bb.191:                              ;   in Loop: Header=BB281_15 Depth=1
	s_or_b32 exec_lo, exec_lo, s19
	s_delay_alu instid0(VALU_DEP_1) | instskip(NEXT) | instid1(VALU_DEP_3)
	v_dual_lshlrev_b32 v0, 8, v0 :: v_dual_lshlrev_b32 v6, 23, v6
	v_lshl_add_u32 v8, v8, 10, 0x2000
	s_delay_alu instid0(VALU_DEP_1) | instskip(NEXT) | instid1(VALU_DEP_1)
	v_and_or_b32 v0, 0x8000, v0, v8
	v_lshl_or_b32 v57, v0, 16, v6
.LBB281_192:                            ;   in Loop: Header=BB281_15 Depth=1
	s_or_b32 exec_lo, exec_lo, s18
.LBB281_193:                            ;   in Loop: Header=BB281_15 Depth=1
	s_delay_alu instid0(SALU_CYCLE_1)
	s_or_b32 exec_lo, exec_lo, s17
.LBB281_194:                            ;   in Loop: Header=BB281_15 Depth=1
	s_delay_alu instid0(SALU_CYCLE_1) | instskip(SKIP_2) | instid1(VALU_DEP_1)
	s_or_b32 exec_lo, exec_lo, s16
	v_lshrrev_b32_e32 v0, 16, v5
	s_mov_b32 s16, exec_lo
	v_and_b32_e32 v6, 0xff, v0
	s_delay_alu instid0(VALU_DEP_1)
	v_cmpx_ne_u16_e32 0, v6
	s_cbranch_execz .LBB281_202
; %bb.195:                              ;   in Loop: Header=BB281_15 Depth=1
	v_mov_b32_e32 v118, 0x8000
	s_mov_b32 s17, exec_lo
	v_cmpx_ne_u16_e32 0x80, v6
	s_cbranch_execz .LBB281_201
; %bb.196:                              ;   in Loop: Header=BB281_15 Depth=1
	v_bfe_u32 v9, v5, 16, 7
	v_mov_b32_e32 v118, 0x7c01
	s_mov_b32 s18, exec_lo
	s_delay_alu instid0(VALU_DEP_2)
	v_cmpx_ne_u32_e32 0x7f, v9
	s_cbranch_execz .LBB281_200
; %bb.197:                              ;   in Loop: Header=BB281_15 Depth=1
	v_dual_lshrrev_b32 v8, 3, v9 :: v_dual_bitop2_b32 v6, 7, v0 bitop3:0x40
	s_mov_b32 s19, exec_lo
	v_cmpx_gt_u32_e32 8, v9
; %bb.198:                              ;   in Loop: Header=BB281_15 Depth=1
	s_delay_alu instid0(VALU_DEP_2) | instskip(NEXT) | instid1(VALU_DEP_1)
	v_clz_i32_u32_e32 v6, v6
	v_min_u32_e32 v6, 32, v6
	s_delay_alu instid0(VALU_DEP_1) | instskip(NEXT) | instid1(VALU_DEP_1)
	v_subrev_nc_u32_e32 v8, 28, v6
	v_lshlrev_b64_e32 v[10:11], v8, v[0:1]
	v_sub_nc_u32_e32 v8, 29, v6
	s_delay_alu instid0(VALU_DEP_2)
	v_and_b32_e32 v6, 7, v10
; %bb.199:                              ;   in Loop: Header=BB281_15 Depth=1
	s_or_b32 exec_lo, exec_lo, s19
	s_delay_alu instid0(VALU_DEP_1) | instskip(NEXT) | instid1(VALU_DEP_3)
	v_dual_lshlrev_b32 v0, 8, v0 :: v_dual_lshlrev_b32 v6, 7, v6
	v_lshl_add_u32 v8, v8, 10, 0x2000
	s_delay_alu instid0(VALU_DEP_2) | instskip(NEXT) | instid1(VALU_DEP_2)
	v_and_b32_e32 v0, 0x8000, v0
	v_and_b32_e32 v8, 0xfc00, v8
	s_delay_alu instid0(VALU_DEP_1)
	v_or3_b32 v118, v0, v8, v6
.LBB281_200:                            ;   in Loop: Header=BB281_15 Depth=1
	s_or_b32 exec_lo, exec_lo, s18
.LBB281_201:                            ;   in Loop: Header=BB281_15 Depth=1
	s_delay_alu instid0(SALU_CYCLE_1)
	s_or_b32 exec_lo, exec_lo, s17
.LBB281_202:                            ;   in Loop: Header=BB281_15 Depth=1
	s_delay_alu instid0(SALU_CYCLE_1)
	s_or_b32 exec_lo, exec_lo, s16
	v_dual_mov_b32 v119, 0 :: v_dual_mov_b32 v101, 0
	s_mov_b32 s16, exec_lo
	v_cmpx_lt_u64_e64 s[8:9], v[4:5]
	s_cbranch_execz .LBB281_210
; %bb.203:                              ;   in Loop: Header=BB281_15 Depth=1
	v_lshrrev_b32_e32 v24, 24, v5
	v_bfrev_b32_e32 v101, 1
	s_mov_b32 s17, exec_lo
	s_delay_alu instid0(VALU_DEP_2)
	v_cmpx_ne_u32_e32 0x80, v24
	s_cbranch_execz .LBB281_209
; %bb.204:                              ;   in Loop: Header=BB281_15 Depth=1
	v_and_b32_e32 v5, 0x7f, v24
	v_mov_b32_e32 v101, 0x7c010000
	s_mov_b32 s18, exec_lo
	s_delay_alu instid0(VALU_DEP_2)
	v_cmpx_ne_u32_e32 0x7f, v5
	s_cbranch_execz .LBB281_208
; %bb.205:                              ;   in Loop: Header=BB281_15 Depth=1
	v_dual_lshrrev_b32 v4, 3, v5 :: v_dual_bitop2_b32 v0, 7, v24 bitop3:0x40
	s_mov_b32 s19, exec_lo
	v_cmpx_gt_u32_e32 8, v5
; %bb.206:                              ;   in Loop: Header=BB281_15 Depth=1
	s_delay_alu instid0(VALU_DEP_2) | instskip(NEXT) | instid1(VALU_DEP_1)
	v_clz_i32_u32_e32 v0, v0
	v_min_u32_e32 v0, 32, v0
	s_delay_alu instid0(VALU_DEP_1) | instskip(NEXT) | instid1(VALU_DEP_1)
	v_subrev_nc_u32_e32 v4, 28, v0
	v_lshlrev_b64_e32 v[8:9], v4, v[24:25]
	v_sub_nc_u32_e32 v4, 29, v0
	s_delay_alu instid0(VALU_DEP_2)
	v_and_b32_e32 v0, 7, v8
; %bb.207:                              ;   in Loop: Header=BB281_15 Depth=1
	s_or_b32 exec_lo, exec_lo, s19
	v_lshlrev_b32_e32 v5, 8, v24
	s_delay_alu instid0(VALU_DEP_3) | instskip(NEXT) | instid1(VALU_DEP_3)
	v_lshl_add_u32 v4, v4, 10, 0x2000
	v_lshlrev_b32_e32 v0, 23, v0
	s_delay_alu instid0(VALU_DEP_2) | instskip(NEXT) | instid1(VALU_DEP_1)
	v_and_or_b32 v4, 0x8000, v5, v4
	v_lshl_or_b32 v101, v4, 16, v0
.LBB281_208:                            ;   in Loop: Header=BB281_15 Depth=1
	s_or_b32 exec_lo, exec_lo, s18
.LBB281_209:                            ;   in Loop: Header=BB281_15 Depth=1
	s_delay_alu instid0(SALU_CYCLE_1)
	s_or_b32 exec_lo, exec_lo, s17
.LBB281_210:                            ;   in Loop: Header=BB281_15 Depth=1
	s_delay_alu instid0(SALU_CYCLE_1)
	s_or_b32 exec_lo, exec_lo, s16
	flat_load_b64 v[4:5], v[2:3] offset:520
	s_mov_b32 s16, exec_lo
	s_wait_loadcnt_dscnt 0x0
	v_and_b32_e32 v0, 0xff, v4
	s_wait_xcnt 0x0
	s_delay_alu instid0(VALU_DEP_1)
	v_cmpx_ne_u16_e32 0, v0
	s_cbranch_execz .LBB281_218
; %bb.211:                              ;   in Loop: Header=BB281_15 Depth=1
	v_mov_b32_e32 v119, 0x8000
	s_mov_b32 s17, exec_lo
	v_cmpx_ne_u16_e32 0x80, v0
	s_cbranch_execz .LBB281_217
; %bb.212:                              ;   in Loop: Header=BB281_15 Depth=1
	v_and_b32_e32 v8, 0x7f, v4
	v_mov_b32_e32 v119, 0x7c01
	s_mov_b32 s18, exec_lo
	s_delay_alu instid0(VALU_DEP_2)
	v_cmpx_ne_u32_e32 0x7f, v8
	s_cbranch_execz .LBB281_216
; %bb.213:                              ;   in Loop: Header=BB281_15 Depth=1
	v_and_b32_e32 v0, 7, v4
	v_lshrrev_b32_e32 v6, 3, v8
	s_mov_b32 s19, exec_lo
	v_cmpx_gt_u32_e32 8, v8
; %bb.214:                              ;   in Loop: Header=BB281_15 Depth=1
	s_delay_alu instid0(VALU_DEP_3) | instskip(NEXT) | instid1(VALU_DEP_1)
	v_clz_i32_u32_e32 v0, v0
	v_min_u32_e32 v0, 32, v0
	s_delay_alu instid0(VALU_DEP_1) | instskip(NEXT) | instid1(VALU_DEP_1)
	v_subrev_nc_u32_e32 v6, 28, v0
	v_lshlrev_b64_e32 v[8:9], v6, v[4:5]
	v_sub_nc_u32_e32 v6, 29, v0
	s_delay_alu instid0(VALU_DEP_2)
	v_and_b32_e32 v0, 7, v8
; %bb.215:                              ;   in Loop: Header=BB281_15 Depth=1
	s_or_b32 exec_lo, exec_lo, s19
	v_lshlrev_b32_e32 v8, 8, v4
	s_delay_alu instid0(VALU_DEP_3) | instskip(NEXT) | instid1(VALU_DEP_3)
	v_lshl_add_u32 v6, v6, 10, 0x2000
	v_lshlrev_b32_e32 v0, 7, v0
	s_delay_alu instid0(VALU_DEP_3) | instskip(NEXT) | instid1(VALU_DEP_3)
	v_and_b32_e32 v8, 0x8000, v8
	v_and_b32_e32 v6, 0xfc00, v6
	s_delay_alu instid0(VALU_DEP_1)
	v_or3_b32 v119, v8, v6, v0
.LBB281_216:                            ;   in Loop: Header=BB281_15 Depth=1
	s_or_b32 exec_lo, exec_lo, s18
.LBB281_217:                            ;   in Loop: Header=BB281_15 Depth=1
	s_delay_alu instid0(SALU_CYCLE_1)
	s_or_b32 exec_lo, exec_lo, s17
.LBB281_218:                            ;   in Loop: Header=BB281_15 Depth=1
	s_delay_alu instid0(SALU_CYCLE_1) | instskip(SKIP_3) | instid1(VALU_DEP_2)
	s_or_b32 exec_lo, exec_lo, s16
	v_lshrrev_b16 v24, 8, v4
	v_dual_mov_b32 v116, 0 :: v_dual_mov_b32 v112, 0
	s_mov_b32 s16, exec_lo
	v_cmpx_ne_u16_e32 0, v24
	s_cbranch_execz .LBB281_226
; %bb.219:                              ;   in Loop: Header=BB281_15 Depth=1
	v_bfrev_b32_e32 v112, 1
	s_mov_b32 s17, exec_lo
	v_cmpx_ne_u16_e32 0x80, v24
	s_cbranch_execz .LBB281_225
; %bb.220:                              ;   in Loop: Header=BB281_15 Depth=1
	v_and_b32_e32 v0, 0xffff, v24
	v_mov_b32_e32 v112, 0x7c010000
	s_mov_b32 s18, exec_lo
	s_delay_alu instid0(VALU_DEP_2) | instskip(NEXT) | instid1(VALU_DEP_1)
	v_and_b32_e32 v9, 0x7f, v0
	v_cmpx_ne_u32_e32 0x7f, v9
	s_cbranch_execz .LBB281_224
; %bb.221:                              ;   in Loop: Header=BB281_15 Depth=1
	v_dual_lshrrev_b32 v8, 3, v9 :: v_dual_bitop2_b32 v6, 7, v0 bitop3:0x40
	s_mov_b32 s19, exec_lo
	v_cmpx_gt_u32_e32 8, v9
; %bb.222:                              ;   in Loop: Header=BB281_15 Depth=1
	s_delay_alu instid0(VALU_DEP_2) | instskip(NEXT) | instid1(VALU_DEP_1)
	v_clz_i32_u32_e32 v6, v6
	v_min_u32_e32 v6, 32, v6
	s_delay_alu instid0(VALU_DEP_1) | instskip(NEXT) | instid1(VALU_DEP_1)
	v_subrev_nc_u32_e32 v8, 28, v6
	v_lshlrev_b64_e32 v[10:11], v8, v[24:25]
	v_sub_nc_u32_e32 v8, 29, v6
	s_delay_alu instid0(VALU_DEP_2)
	v_and_b32_e32 v6, 7, v10
; %bb.223:                              ;   in Loop: Header=BB281_15 Depth=1
	s_or_b32 exec_lo, exec_lo, s19
	s_delay_alu instid0(VALU_DEP_1) | instskip(NEXT) | instid1(VALU_DEP_3)
	v_dual_lshlrev_b32 v0, 8, v0 :: v_dual_lshlrev_b32 v6, 23, v6
	v_lshl_add_u32 v8, v8, 10, 0x2000
	s_delay_alu instid0(VALU_DEP_1) | instskip(NEXT) | instid1(VALU_DEP_1)
	v_and_or_b32 v0, 0x8000, v0, v8
	v_lshl_or_b32 v112, v0, 16, v6
.LBB281_224:                            ;   in Loop: Header=BB281_15 Depth=1
	s_or_b32 exec_lo, exec_lo, s18
.LBB281_225:                            ;   in Loop: Header=BB281_15 Depth=1
	s_delay_alu instid0(SALU_CYCLE_1)
	s_or_b32 exec_lo, exec_lo, s17
.LBB281_226:                            ;   in Loop: Header=BB281_15 Depth=1
	s_delay_alu instid0(SALU_CYCLE_1) | instskip(SKIP_2) | instid1(VALU_DEP_1)
	s_or_b32 exec_lo, exec_lo, s16
	v_lshrrev_b32_e32 v0, 16, v4
	s_mov_b32 s16, exec_lo
	v_and_b32_e32 v6, 0xff, v0
	s_delay_alu instid0(VALU_DEP_1)
	v_cmpx_ne_u16_e32 0, v6
	s_cbranch_execz .LBB281_234
; %bb.227:                              ;   in Loop: Header=BB281_15 Depth=1
	v_mov_b32_e32 v116, 0x8000
	s_mov_b32 s17, exec_lo
	v_cmpx_ne_u16_e32 0x80, v6
	s_cbranch_execz .LBB281_233
; %bb.228:                              ;   in Loop: Header=BB281_15 Depth=1
	v_bfe_u32 v9, v4, 16, 7
	v_mov_b32_e32 v116, 0x7c01
	s_mov_b32 s18, exec_lo
	s_delay_alu instid0(VALU_DEP_2)
	v_cmpx_ne_u32_e32 0x7f, v9
	s_cbranch_execz .LBB281_232
; %bb.229:                              ;   in Loop: Header=BB281_15 Depth=1
	v_dual_lshrrev_b32 v8, 3, v9 :: v_dual_bitop2_b32 v6, 7, v0 bitop3:0x40
	s_mov_b32 s19, exec_lo
	v_cmpx_gt_u32_e32 8, v9
; %bb.230:                              ;   in Loop: Header=BB281_15 Depth=1
	s_delay_alu instid0(VALU_DEP_2) | instskip(NEXT) | instid1(VALU_DEP_1)
	v_clz_i32_u32_e32 v6, v6
	v_min_u32_e32 v6, 32, v6
	s_delay_alu instid0(VALU_DEP_1) | instskip(NEXT) | instid1(VALU_DEP_1)
	v_subrev_nc_u32_e32 v8, 28, v6
	v_lshlrev_b64_e32 v[10:11], v8, v[0:1]
	v_sub_nc_u32_e32 v8, 29, v6
	s_delay_alu instid0(VALU_DEP_2)
	v_and_b32_e32 v6, 7, v10
; %bb.231:                              ;   in Loop: Header=BB281_15 Depth=1
	s_or_b32 exec_lo, exec_lo, s19
	s_delay_alu instid0(VALU_DEP_1) | instskip(NEXT) | instid1(VALU_DEP_3)
	v_dual_lshlrev_b32 v0, 8, v0 :: v_dual_lshlrev_b32 v6, 7, v6
	v_lshl_add_u32 v8, v8, 10, 0x2000
	s_delay_alu instid0(VALU_DEP_2) | instskip(NEXT) | instid1(VALU_DEP_2)
	v_and_b32_e32 v0, 0x8000, v0
	v_and_b32_e32 v8, 0xfc00, v8
	s_delay_alu instid0(VALU_DEP_1)
	v_or3_b32 v116, v0, v8, v6
.LBB281_232:                            ;   in Loop: Header=BB281_15 Depth=1
	s_or_b32 exec_lo, exec_lo, s18
.LBB281_233:                            ;   in Loop: Header=BB281_15 Depth=1
	s_delay_alu instid0(SALU_CYCLE_1)
	s_or_b32 exec_lo, exec_lo, s17
.LBB281_234:                            ;   in Loop: Header=BB281_15 Depth=1
	s_delay_alu instid0(SALU_CYCLE_1)
	s_or_b32 exec_lo, exec_lo, s16
	v_dual_mov_b32 v42, 0 :: v_dual_mov_b32 v82, 0
	s_mov_b32 s16, exec_lo
	v_cmpx_lt_u32_e32 0xffffff, v4
	s_cbranch_execz .LBB281_242
; %bb.235:                              ;   in Loop: Header=BB281_15 Depth=1
	v_lshrrev_b32_e32 v24, 24, v4
	v_bfrev_b32_e32 v82, 1
	s_mov_b32 s17, exec_lo
	s_delay_alu instid0(VALU_DEP_2)
	v_cmpx_ne_u32_e32 0x80, v24
	s_cbranch_execz .LBB281_241
; %bb.236:                              ;   in Loop: Header=BB281_15 Depth=1
	v_and_b32_e32 v8, 0x7f, v24
	v_mov_b32_e32 v82, 0x7c010000
	s_mov_b32 s18, exec_lo
	s_delay_alu instid0(VALU_DEP_2)
	v_cmpx_ne_u32_e32 0x7f, v8
	s_cbranch_execz .LBB281_240
; %bb.237:                              ;   in Loop: Header=BB281_15 Depth=1
	v_and_b32_e32 v0, 7, v24
	v_lshrrev_b32_e32 v6, 3, v8
	s_mov_b32 s19, exec_lo
	v_cmpx_gt_u32_e32 8, v8
; %bb.238:                              ;   in Loop: Header=BB281_15 Depth=1
	s_delay_alu instid0(VALU_DEP_3) | instskip(NEXT) | instid1(VALU_DEP_1)
	v_clz_i32_u32_e32 v0, v0
	v_min_u32_e32 v0, 32, v0
	s_delay_alu instid0(VALU_DEP_1) | instskip(NEXT) | instid1(VALU_DEP_1)
	v_subrev_nc_u32_e32 v6, 28, v0
	v_lshlrev_b64_e32 v[8:9], v6, v[24:25]
	v_sub_nc_u32_e32 v6, 29, v0
	s_delay_alu instid0(VALU_DEP_2)
	v_and_b32_e32 v0, 7, v8
; %bb.239:                              ;   in Loop: Header=BB281_15 Depth=1
	s_or_b32 exec_lo, exec_lo, s19
	v_lshlrev_b32_e32 v8, 8, v24
	s_delay_alu instid0(VALU_DEP_3) | instskip(NEXT) | instid1(VALU_DEP_3)
	v_lshl_add_u32 v6, v6, 10, 0x2000
	v_lshlrev_b32_e32 v0, 23, v0
	s_delay_alu instid0(VALU_DEP_2) | instskip(NEXT) | instid1(VALU_DEP_1)
	v_and_or_b32 v6, 0x8000, v8, v6
	v_lshl_or_b32 v82, v6, 16, v0
.LBB281_240:                            ;   in Loop: Header=BB281_15 Depth=1
	s_or_b32 exec_lo, exec_lo, s18
.LBB281_241:                            ;   in Loop: Header=BB281_15 Depth=1
	s_delay_alu instid0(SALU_CYCLE_1)
	s_or_b32 exec_lo, exec_lo, s17
.LBB281_242:                            ;   in Loop: Header=BB281_15 Depth=1
	s_delay_alu instid0(SALU_CYCLE_1) | instskip(SKIP_3) | instid1(VALU_DEP_2)
	s_or_b32 exec_lo, exec_lo, s16
	v_and_b32_e32 v0, 0xff, v5
	v_mov_b32_e32 v24, v5
	s_mov_b32 s16, exec_lo
	v_cmpx_ne_u16_e32 0, v0
	s_cbranch_execz .LBB281_250
; %bb.243:                              ;   in Loop: Header=BB281_15 Depth=1
	v_mov_b32_e32 v42, 0x8000
	s_mov_b32 s17, exec_lo
	v_cmpx_ne_u16_e32 0x80, v0
	s_cbranch_execz .LBB281_249
; %bb.244:                              ;   in Loop: Header=BB281_15 Depth=1
	v_and_b32_e32 v8, 0x7f, v5
	v_mov_b32_e32 v42, 0x7c01
	s_mov_b32 s18, exec_lo
	s_delay_alu instid0(VALU_DEP_2)
	v_cmpx_ne_u32_e32 0x7f, v8
	s_cbranch_execz .LBB281_248
; %bb.245:                              ;   in Loop: Header=BB281_15 Depth=1
	v_dual_lshrrev_b32 v6, 3, v8 :: v_dual_bitop2_b32 v0, 7, v5 bitop3:0x40
	s_mov_b32 s19, exec_lo
	v_cmpx_gt_u32_e32 8, v8
; %bb.246:                              ;   in Loop: Header=BB281_15 Depth=1
	s_delay_alu instid0(VALU_DEP_2) | instskip(NEXT) | instid1(VALU_DEP_1)
	v_clz_i32_u32_e32 v0, v0
	v_min_u32_e32 v0, 32, v0
	s_delay_alu instid0(VALU_DEP_1) | instskip(NEXT) | instid1(VALU_DEP_1)
	v_subrev_nc_u32_e32 v6, 28, v0
	v_lshlrev_b64_e32 v[8:9], v6, v[24:25]
	v_sub_nc_u32_e32 v6, 29, v0
	s_delay_alu instid0(VALU_DEP_2)
	v_and_b32_e32 v0, 7, v8
; %bb.247:                              ;   in Loop: Header=BB281_15 Depth=1
	s_or_b32 exec_lo, exec_lo, s19
	s_delay_alu instid0(VALU_DEP_1) | instskip(NEXT) | instid1(VALU_DEP_3)
	v_dual_lshlrev_b32 v8, 8, v5 :: v_dual_lshlrev_b32 v0, 7, v0
	v_lshl_add_u32 v6, v6, 10, 0x2000
	s_delay_alu instid0(VALU_DEP_2) | instskip(NEXT) | instid1(VALU_DEP_2)
	v_and_b32_e32 v8, 0x8000, v8
	v_and_b32_e32 v6, 0xfc00, v6
	s_delay_alu instid0(VALU_DEP_1)
	v_or3_b32 v42, v8, v6, v0
.LBB281_248:                            ;   in Loop: Header=BB281_15 Depth=1
	s_or_b32 exec_lo, exec_lo, s18
.LBB281_249:                            ;   in Loop: Header=BB281_15 Depth=1
	s_delay_alu instid0(SALU_CYCLE_1)
	s_or_b32 exec_lo, exec_lo, s17
.LBB281_250:                            ;   in Loop: Header=BB281_15 Depth=1
	s_delay_alu instid0(SALU_CYCLE_1) | instskip(SKIP_3) | instid1(VALU_DEP_2)
	s_or_b32 exec_lo, exec_lo, s16
	v_lshrrev_b16 v24, 8, v24
	v_dual_mov_b32 v87, 0 :: v_dual_mov_b32 v86, 0
	s_mov_b32 s16, exec_lo
	v_cmpx_ne_u16_e32 0, v24
	s_cbranch_execz .LBB281_258
; %bb.251:                              ;   in Loop: Header=BB281_15 Depth=1
	v_bfrev_b32_e32 v86, 1
	s_mov_b32 s17, exec_lo
	v_cmpx_ne_u16_e32 0x80, v24
	s_cbranch_execz .LBB281_257
; %bb.252:                              ;   in Loop: Header=BB281_15 Depth=1
	v_and_b32_e32 v0, 0xffff, v24
	v_mov_b32_e32 v86, 0x7c010000
	s_mov_b32 s18, exec_lo
	s_delay_alu instid0(VALU_DEP_2) | instskip(NEXT) | instid1(VALU_DEP_1)
	v_and_b32_e32 v9, 0x7f, v0
	v_cmpx_ne_u32_e32 0x7f, v9
	s_cbranch_execz .LBB281_256
; %bb.253:                              ;   in Loop: Header=BB281_15 Depth=1
	v_dual_lshrrev_b32 v8, 3, v9 :: v_dual_bitop2_b32 v6, 7, v0 bitop3:0x40
	s_mov_b32 s19, exec_lo
	v_cmpx_gt_u32_e32 8, v9
; %bb.254:                              ;   in Loop: Header=BB281_15 Depth=1
	s_delay_alu instid0(VALU_DEP_2) | instskip(NEXT) | instid1(VALU_DEP_1)
	v_clz_i32_u32_e32 v6, v6
	v_min_u32_e32 v6, 32, v6
	s_delay_alu instid0(VALU_DEP_1) | instskip(NEXT) | instid1(VALU_DEP_1)
	v_subrev_nc_u32_e32 v8, 28, v6
	v_lshlrev_b64_e32 v[10:11], v8, v[24:25]
	v_sub_nc_u32_e32 v8, 29, v6
	s_delay_alu instid0(VALU_DEP_2)
	v_and_b32_e32 v6, 7, v10
; %bb.255:                              ;   in Loop: Header=BB281_15 Depth=1
	s_or_b32 exec_lo, exec_lo, s19
	s_delay_alu instid0(VALU_DEP_1) | instskip(NEXT) | instid1(VALU_DEP_3)
	v_dual_lshlrev_b32 v0, 8, v0 :: v_dual_lshlrev_b32 v6, 23, v6
	v_lshl_add_u32 v8, v8, 10, 0x2000
	s_delay_alu instid0(VALU_DEP_1) | instskip(NEXT) | instid1(VALU_DEP_1)
	v_and_or_b32 v0, 0x8000, v0, v8
	v_lshl_or_b32 v86, v0, 16, v6
.LBB281_256:                            ;   in Loop: Header=BB281_15 Depth=1
	s_or_b32 exec_lo, exec_lo, s18
.LBB281_257:                            ;   in Loop: Header=BB281_15 Depth=1
	s_delay_alu instid0(SALU_CYCLE_1)
	s_or_b32 exec_lo, exec_lo, s17
.LBB281_258:                            ;   in Loop: Header=BB281_15 Depth=1
	s_delay_alu instid0(SALU_CYCLE_1) | instskip(SKIP_2) | instid1(VALU_DEP_1)
	s_or_b32 exec_lo, exec_lo, s16
	v_lshrrev_b32_e32 v0, 16, v5
	s_mov_b32 s16, exec_lo
	v_and_b32_e32 v6, 0xff, v0
	s_delay_alu instid0(VALU_DEP_1)
	v_cmpx_ne_u16_e32 0, v6
	s_cbranch_execz .LBB281_266
; %bb.259:                              ;   in Loop: Header=BB281_15 Depth=1
	v_mov_b32_e32 v87, 0x8000
	s_mov_b32 s17, exec_lo
	v_cmpx_ne_u16_e32 0x80, v6
	s_cbranch_execz .LBB281_265
; %bb.260:                              ;   in Loop: Header=BB281_15 Depth=1
	v_bfe_u32 v9, v5, 16, 7
	v_mov_b32_e32 v87, 0x7c01
	s_mov_b32 s18, exec_lo
	s_delay_alu instid0(VALU_DEP_2)
	v_cmpx_ne_u32_e32 0x7f, v9
	s_cbranch_execz .LBB281_264
; %bb.261:                              ;   in Loop: Header=BB281_15 Depth=1
	v_dual_lshrrev_b32 v8, 3, v9 :: v_dual_bitop2_b32 v6, 7, v0 bitop3:0x40
	s_mov_b32 s19, exec_lo
	v_cmpx_gt_u32_e32 8, v9
; %bb.262:                              ;   in Loop: Header=BB281_15 Depth=1
	s_delay_alu instid0(VALU_DEP_2) | instskip(NEXT) | instid1(VALU_DEP_1)
	v_clz_i32_u32_e32 v6, v6
	v_min_u32_e32 v6, 32, v6
	s_delay_alu instid0(VALU_DEP_1) | instskip(NEXT) | instid1(VALU_DEP_1)
	v_subrev_nc_u32_e32 v8, 28, v6
	v_lshlrev_b64_e32 v[10:11], v8, v[0:1]
	v_sub_nc_u32_e32 v8, 29, v6
	s_delay_alu instid0(VALU_DEP_2)
	v_and_b32_e32 v6, 7, v10
; %bb.263:                              ;   in Loop: Header=BB281_15 Depth=1
	s_or_b32 exec_lo, exec_lo, s19
	s_delay_alu instid0(VALU_DEP_1) | instskip(NEXT) | instid1(VALU_DEP_3)
	v_dual_lshlrev_b32 v0, 8, v0 :: v_dual_lshlrev_b32 v6, 7, v6
	v_lshl_add_u32 v8, v8, 10, 0x2000
	s_delay_alu instid0(VALU_DEP_2) | instskip(NEXT) | instid1(VALU_DEP_2)
	v_and_b32_e32 v0, 0x8000, v0
	v_and_b32_e32 v8, 0xfc00, v8
	s_delay_alu instid0(VALU_DEP_1)
	v_or3_b32 v87, v0, v8, v6
.LBB281_264:                            ;   in Loop: Header=BB281_15 Depth=1
	s_or_b32 exec_lo, exec_lo, s18
.LBB281_265:                            ;   in Loop: Header=BB281_15 Depth=1
	s_delay_alu instid0(SALU_CYCLE_1)
	s_or_b32 exec_lo, exec_lo, s17
.LBB281_266:                            ;   in Loop: Header=BB281_15 Depth=1
	s_delay_alu instid0(SALU_CYCLE_1)
	s_or_b32 exec_lo, exec_lo, s16
	v_dual_mov_b32 v46, 0 :: v_dual_mov_b32 v47, 0
	s_mov_b32 s16, exec_lo
	v_cmpx_lt_u64_e64 s[8:9], v[4:5]
	s_cbranch_execz .LBB281_274
; %bb.267:                              ;   in Loop: Header=BB281_15 Depth=1
	v_lshrrev_b32_e32 v24, 24, v5
	v_bfrev_b32_e32 v47, 1
	s_mov_b32 s17, exec_lo
	s_delay_alu instid0(VALU_DEP_2)
	v_cmpx_ne_u32_e32 0x80, v24
	s_cbranch_execz .LBB281_273
; %bb.268:                              ;   in Loop: Header=BB281_15 Depth=1
	v_and_b32_e32 v5, 0x7f, v24
	v_mov_b32_e32 v47, 0x7c010000
	s_mov_b32 s18, exec_lo
	s_delay_alu instid0(VALU_DEP_2)
	v_cmpx_ne_u32_e32 0x7f, v5
	s_cbranch_execz .LBB281_272
; %bb.269:                              ;   in Loop: Header=BB281_15 Depth=1
	v_dual_lshrrev_b32 v4, 3, v5 :: v_dual_bitop2_b32 v0, 7, v24 bitop3:0x40
	s_mov_b32 s19, exec_lo
	v_cmpx_gt_u32_e32 8, v5
; %bb.270:                              ;   in Loop: Header=BB281_15 Depth=1
	s_delay_alu instid0(VALU_DEP_2) | instskip(NEXT) | instid1(VALU_DEP_1)
	v_clz_i32_u32_e32 v0, v0
	v_min_u32_e32 v0, 32, v0
	s_delay_alu instid0(VALU_DEP_1) | instskip(NEXT) | instid1(VALU_DEP_1)
	v_subrev_nc_u32_e32 v4, 28, v0
	v_lshlrev_b64_e32 v[8:9], v4, v[24:25]
	v_sub_nc_u32_e32 v4, 29, v0
	s_delay_alu instid0(VALU_DEP_2)
	v_and_b32_e32 v0, 7, v8
; %bb.271:                              ;   in Loop: Header=BB281_15 Depth=1
	s_or_b32 exec_lo, exec_lo, s19
	v_lshlrev_b32_e32 v5, 8, v24
	s_delay_alu instid0(VALU_DEP_3) | instskip(NEXT) | instid1(VALU_DEP_3)
	v_lshl_add_u32 v4, v4, 10, 0x2000
	v_lshlrev_b32_e32 v0, 23, v0
	s_delay_alu instid0(VALU_DEP_2) | instskip(NEXT) | instid1(VALU_DEP_1)
	v_and_or_b32 v4, 0x8000, v5, v4
	v_lshl_or_b32 v47, v4, 16, v0
.LBB281_272:                            ;   in Loop: Header=BB281_15 Depth=1
	s_or_b32 exec_lo, exec_lo, s18
.LBB281_273:                            ;   in Loop: Header=BB281_15 Depth=1
	s_delay_alu instid0(SALU_CYCLE_1)
	s_or_b32 exec_lo, exec_lo, s17
.LBB281_274:                            ;   in Loop: Header=BB281_15 Depth=1
	s_delay_alu instid0(SALU_CYCLE_1)
	s_or_b32 exec_lo, exec_lo, s16
	flat_load_b64 v[4:5], v[2:3] offset:1024
	s_mov_b32 s16, exec_lo
	s_wait_loadcnt_dscnt 0x0
	v_and_b32_e32 v0, 0xff, v4
	s_wait_xcnt 0x0
	s_delay_alu instid0(VALU_DEP_1)
	v_cmpx_ne_u16_e32 0, v0
	s_cbranch_execz .LBB281_282
; %bb.275:                              ;   in Loop: Header=BB281_15 Depth=1
	v_mov_b32_e32 v46, 0x8000
	s_mov_b32 s17, exec_lo
	v_cmpx_ne_u16_e32 0x80, v0
	s_cbranch_execz .LBB281_281
; %bb.276:                              ;   in Loop: Header=BB281_15 Depth=1
	v_and_b32_e32 v8, 0x7f, v4
	v_mov_b32_e32 v46, 0x7c01
	s_mov_b32 s18, exec_lo
	s_delay_alu instid0(VALU_DEP_2)
	v_cmpx_ne_u32_e32 0x7f, v8
	s_cbranch_execz .LBB281_280
; %bb.277:                              ;   in Loop: Header=BB281_15 Depth=1
	v_and_b32_e32 v0, 7, v4
	v_lshrrev_b32_e32 v6, 3, v8
	s_mov_b32 s19, exec_lo
	v_cmpx_gt_u32_e32 8, v8
; %bb.278:                              ;   in Loop: Header=BB281_15 Depth=1
	s_delay_alu instid0(VALU_DEP_3) | instskip(NEXT) | instid1(VALU_DEP_1)
	v_clz_i32_u32_e32 v0, v0
	v_min_u32_e32 v0, 32, v0
	s_delay_alu instid0(VALU_DEP_1) | instskip(NEXT) | instid1(VALU_DEP_1)
	v_subrev_nc_u32_e32 v6, 28, v0
	v_lshlrev_b64_e32 v[8:9], v6, v[4:5]
	v_sub_nc_u32_e32 v6, 29, v0
	s_delay_alu instid0(VALU_DEP_2)
	v_and_b32_e32 v0, 7, v8
; %bb.279:                              ;   in Loop: Header=BB281_15 Depth=1
	s_or_b32 exec_lo, exec_lo, s19
	v_lshlrev_b32_e32 v8, 8, v4
	s_delay_alu instid0(VALU_DEP_3) | instskip(NEXT) | instid1(VALU_DEP_3)
	v_lshl_add_u32 v6, v6, 10, 0x2000
	v_lshlrev_b32_e32 v0, 7, v0
	s_delay_alu instid0(VALU_DEP_3) | instskip(NEXT) | instid1(VALU_DEP_3)
	v_and_b32_e32 v8, 0x8000, v8
	v_and_b32_e32 v6, 0xfc00, v6
	s_delay_alu instid0(VALU_DEP_1)
	v_or3_b32 v46, v8, v6, v0
.LBB281_280:                            ;   in Loop: Header=BB281_15 Depth=1
	s_or_b32 exec_lo, exec_lo, s18
.LBB281_281:                            ;   in Loop: Header=BB281_15 Depth=1
	s_delay_alu instid0(SALU_CYCLE_1)
	s_or_b32 exec_lo, exec_lo, s17
.LBB281_282:                            ;   in Loop: Header=BB281_15 Depth=1
	s_delay_alu instid0(SALU_CYCLE_1) | instskip(SKIP_3) | instid1(VALU_DEP_2)
	s_or_b32 exec_lo, exec_lo, s16
	v_lshrrev_b16 v24, 8, v4
	v_dual_mov_b32 v56, 0 :: v_dual_mov_b32 v103, 0
	s_mov_b32 s16, exec_lo
	v_cmpx_ne_u16_e32 0, v24
	s_cbranch_execz .LBB281_290
; %bb.283:                              ;   in Loop: Header=BB281_15 Depth=1
	v_bfrev_b32_e32 v103, 1
	s_mov_b32 s17, exec_lo
	v_cmpx_ne_u16_e32 0x80, v24
	s_cbranch_execz .LBB281_289
; %bb.284:                              ;   in Loop: Header=BB281_15 Depth=1
	v_and_b32_e32 v0, 0xffff, v24
	v_mov_b32_e32 v103, 0x7c010000
	s_mov_b32 s18, exec_lo
	s_delay_alu instid0(VALU_DEP_2) | instskip(NEXT) | instid1(VALU_DEP_1)
	v_and_b32_e32 v9, 0x7f, v0
	v_cmpx_ne_u32_e32 0x7f, v9
	s_cbranch_execz .LBB281_288
; %bb.285:                              ;   in Loop: Header=BB281_15 Depth=1
	v_dual_lshrrev_b32 v8, 3, v9 :: v_dual_bitop2_b32 v6, 7, v0 bitop3:0x40
	s_mov_b32 s19, exec_lo
	v_cmpx_gt_u32_e32 8, v9
; %bb.286:                              ;   in Loop: Header=BB281_15 Depth=1
	s_delay_alu instid0(VALU_DEP_2) | instskip(NEXT) | instid1(VALU_DEP_1)
	v_clz_i32_u32_e32 v6, v6
	v_min_u32_e32 v6, 32, v6
	s_delay_alu instid0(VALU_DEP_1) | instskip(NEXT) | instid1(VALU_DEP_1)
	v_subrev_nc_u32_e32 v8, 28, v6
	v_lshlrev_b64_e32 v[10:11], v8, v[24:25]
	v_sub_nc_u32_e32 v8, 29, v6
	s_delay_alu instid0(VALU_DEP_2)
	v_and_b32_e32 v6, 7, v10
; %bb.287:                              ;   in Loop: Header=BB281_15 Depth=1
	s_or_b32 exec_lo, exec_lo, s19
	s_delay_alu instid0(VALU_DEP_1) | instskip(NEXT) | instid1(VALU_DEP_3)
	v_dual_lshlrev_b32 v0, 8, v0 :: v_dual_lshlrev_b32 v6, 23, v6
	v_lshl_add_u32 v8, v8, 10, 0x2000
	s_delay_alu instid0(VALU_DEP_1) | instskip(NEXT) | instid1(VALU_DEP_1)
	v_and_or_b32 v0, 0x8000, v0, v8
	v_lshl_or_b32 v103, v0, 16, v6
.LBB281_288:                            ;   in Loop: Header=BB281_15 Depth=1
	s_or_b32 exec_lo, exec_lo, s18
.LBB281_289:                            ;   in Loop: Header=BB281_15 Depth=1
	s_delay_alu instid0(SALU_CYCLE_1)
	s_or_b32 exec_lo, exec_lo, s17
.LBB281_290:                            ;   in Loop: Header=BB281_15 Depth=1
	s_delay_alu instid0(SALU_CYCLE_1) | instskip(SKIP_2) | instid1(VALU_DEP_1)
	s_or_b32 exec_lo, exec_lo, s16
	v_lshrrev_b32_e32 v0, 16, v4
	s_mov_b32 s16, exec_lo
	v_and_b32_e32 v6, 0xff, v0
	s_delay_alu instid0(VALU_DEP_1)
	v_cmpx_ne_u16_e32 0, v6
	s_cbranch_execz .LBB281_298
; %bb.291:                              ;   in Loop: Header=BB281_15 Depth=1
	v_mov_b32_e32 v56, 0x8000
	s_mov_b32 s17, exec_lo
	v_cmpx_ne_u16_e32 0x80, v6
	s_cbranch_execz .LBB281_297
; %bb.292:                              ;   in Loop: Header=BB281_15 Depth=1
	v_bfe_u32 v9, v4, 16, 7
	v_mov_b32_e32 v56, 0x7c01
	s_mov_b32 s18, exec_lo
	s_delay_alu instid0(VALU_DEP_2)
	v_cmpx_ne_u32_e32 0x7f, v9
	s_cbranch_execz .LBB281_296
; %bb.293:                              ;   in Loop: Header=BB281_15 Depth=1
	v_dual_lshrrev_b32 v8, 3, v9 :: v_dual_bitop2_b32 v6, 7, v0 bitop3:0x40
	s_mov_b32 s19, exec_lo
	v_cmpx_gt_u32_e32 8, v9
; %bb.294:                              ;   in Loop: Header=BB281_15 Depth=1
	s_delay_alu instid0(VALU_DEP_2) | instskip(NEXT) | instid1(VALU_DEP_1)
	v_clz_i32_u32_e32 v6, v6
	v_min_u32_e32 v6, 32, v6
	s_delay_alu instid0(VALU_DEP_1) | instskip(NEXT) | instid1(VALU_DEP_1)
	v_subrev_nc_u32_e32 v8, 28, v6
	v_lshlrev_b64_e32 v[10:11], v8, v[0:1]
	v_sub_nc_u32_e32 v8, 29, v6
	s_delay_alu instid0(VALU_DEP_2)
	v_and_b32_e32 v6, 7, v10
; %bb.295:                              ;   in Loop: Header=BB281_15 Depth=1
	s_or_b32 exec_lo, exec_lo, s19
	s_delay_alu instid0(VALU_DEP_1) | instskip(NEXT) | instid1(VALU_DEP_3)
	v_dual_lshlrev_b32 v0, 8, v0 :: v_dual_lshlrev_b32 v6, 7, v6
	v_lshl_add_u32 v8, v8, 10, 0x2000
	s_delay_alu instid0(VALU_DEP_2) | instskip(NEXT) | instid1(VALU_DEP_2)
	v_and_b32_e32 v0, 0x8000, v0
	v_and_b32_e32 v8, 0xfc00, v8
	s_delay_alu instid0(VALU_DEP_1)
	v_or3_b32 v56, v0, v8, v6
.LBB281_296:                            ;   in Loop: Header=BB281_15 Depth=1
	s_or_b32 exec_lo, exec_lo, s18
.LBB281_297:                            ;   in Loop: Header=BB281_15 Depth=1
	s_delay_alu instid0(SALU_CYCLE_1)
	s_or_b32 exec_lo, exec_lo, s17
.LBB281_298:                            ;   in Loop: Header=BB281_15 Depth=1
	s_delay_alu instid0(SALU_CYCLE_1)
	s_or_b32 exec_lo, exec_lo, s16
	v_dual_mov_b32 v114, 0 :: v_dual_mov_b32 v113, 0
	s_mov_b32 s16, exec_lo
	v_cmpx_lt_u32_e32 0xffffff, v4
	s_cbranch_execz .LBB281_306
; %bb.299:                              ;   in Loop: Header=BB281_15 Depth=1
	v_lshrrev_b32_e32 v24, 24, v4
	v_bfrev_b32_e32 v113, 1
	s_mov_b32 s17, exec_lo
	s_delay_alu instid0(VALU_DEP_2)
	v_cmpx_ne_u32_e32 0x80, v24
	s_cbranch_execz .LBB281_305
; %bb.300:                              ;   in Loop: Header=BB281_15 Depth=1
	v_and_b32_e32 v8, 0x7f, v24
	v_mov_b32_e32 v113, 0x7c010000
	s_mov_b32 s18, exec_lo
	s_delay_alu instid0(VALU_DEP_2)
	v_cmpx_ne_u32_e32 0x7f, v8
	s_cbranch_execz .LBB281_304
; %bb.301:                              ;   in Loop: Header=BB281_15 Depth=1
	v_and_b32_e32 v0, 7, v24
	v_lshrrev_b32_e32 v6, 3, v8
	s_mov_b32 s19, exec_lo
	v_cmpx_gt_u32_e32 8, v8
; %bb.302:                              ;   in Loop: Header=BB281_15 Depth=1
	s_delay_alu instid0(VALU_DEP_3) | instskip(NEXT) | instid1(VALU_DEP_1)
	v_clz_i32_u32_e32 v0, v0
	v_min_u32_e32 v0, 32, v0
	s_delay_alu instid0(VALU_DEP_1) | instskip(NEXT) | instid1(VALU_DEP_1)
	v_subrev_nc_u32_e32 v6, 28, v0
	v_lshlrev_b64_e32 v[8:9], v6, v[24:25]
	v_sub_nc_u32_e32 v6, 29, v0
	s_delay_alu instid0(VALU_DEP_2)
	v_and_b32_e32 v0, 7, v8
; %bb.303:                              ;   in Loop: Header=BB281_15 Depth=1
	s_or_b32 exec_lo, exec_lo, s19
	v_lshlrev_b32_e32 v8, 8, v24
	s_delay_alu instid0(VALU_DEP_3) | instskip(NEXT) | instid1(VALU_DEP_3)
	v_lshl_add_u32 v6, v6, 10, 0x2000
	v_lshlrev_b32_e32 v0, 23, v0
	s_delay_alu instid0(VALU_DEP_2) | instskip(NEXT) | instid1(VALU_DEP_1)
	v_and_or_b32 v6, 0x8000, v8, v6
	v_lshl_or_b32 v113, v6, 16, v0
.LBB281_304:                            ;   in Loop: Header=BB281_15 Depth=1
	s_or_b32 exec_lo, exec_lo, s18
.LBB281_305:                            ;   in Loop: Header=BB281_15 Depth=1
	s_delay_alu instid0(SALU_CYCLE_1)
	s_or_b32 exec_lo, exec_lo, s17
.LBB281_306:                            ;   in Loop: Header=BB281_15 Depth=1
	s_delay_alu instid0(SALU_CYCLE_1) | instskip(SKIP_3) | instid1(VALU_DEP_2)
	s_or_b32 exec_lo, exec_lo, s16
	v_and_b32_e32 v0, 0xff, v5
	v_mov_b32_e32 v24, v5
	s_mov_b32 s16, exec_lo
	v_cmpx_ne_u16_e32 0, v0
	s_cbranch_execz .LBB281_314
; %bb.307:                              ;   in Loop: Header=BB281_15 Depth=1
	v_mov_b32_e32 v114, 0x8000
	s_mov_b32 s17, exec_lo
	v_cmpx_ne_u16_e32 0x80, v0
	s_cbranch_execz .LBB281_313
; %bb.308:                              ;   in Loop: Header=BB281_15 Depth=1
	v_and_b32_e32 v8, 0x7f, v5
	v_mov_b32_e32 v114, 0x7c01
	s_mov_b32 s18, exec_lo
	s_delay_alu instid0(VALU_DEP_2)
	v_cmpx_ne_u32_e32 0x7f, v8
	s_cbranch_execz .LBB281_312
; %bb.309:                              ;   in Loop: Header=BB281_15 Depth=1
	v_dual_lshrrev_b32 v6, 3, v8 :: v_dual_bitop2_b32 v0, 7, v5 bitop3:0x40
	s_mov_b32 s19, exec_lo
	v_cmpx_gt_u32_e32 8, v8
; %bb.310:                              ;   in Loop: Header=BB281_15 Depth=1
	s_delay_alu instid0(VALU_DEP_2) | instskip(NEXT) | instid1(VALU_DEP_1)
	v_clz_i32_u32_e32 v0, v0
	v_min_u32_e32 v0, 32, v0
	s_delay_alu instid0(VALU_DEP_1) | instskip(NEXT) | instid1(VALU_DEP_1)
	v_subrev_nc_u32_e32 v6, 28, v0
	v_lshlrev_b64_e32 v[8:9], v6, v[24:25]
	v_sub_nc_u32_e32 v6, 29, v0
	s_delay_alu instid0(VALU_DEP_2)
	v_and_b32_e32 v0, 7, v8
; %bb.311:                              ;   in Loop: Header=BB281_15 Depth=1
	s_or_b32 exec_lo, exec_lo, s19
	s_delay_alu instid0(VALU_DEP_1) | instskip(NEXT) | instid1(VALU_DEP_3)
	v_dual_lshlrev_b32 v8, 8, v5 :: v_dual_lshlrev_b32 v0, 7, v0
	v_lshl_add_u32 v6, v6, 10, 0x2000
	s_delay_alu instid0(VALU_DEP_2) | instskip(NEXT) | instid1(VALU_DEP_2)
	v_and_b32_e32 v8, 0x8000, v8
	v_and_b32_e32 v6, 0xfc00, v6
	s_delay_alu instid0(VALU_DEP_1)
	v_or3_b32 v114, v8, v6, v0
.LBB281_312:                            ;   in Loop: Header=BB281_15 Depth=1
	s_or_b32 exec_lo, exec_lo, s18
.LBB281_313:                            ;   in Loop: Header=BB281_15 Depth=1
	s_delay_alu instid0(SALU_CYCLE_1)
	s_or_b32 exec_lo, exec_lo, s17
.LBB281_314:                            ;   in Loop: Header=BB281_15 Depth=1
	s_delay_alu instid0(SALU_CYCLE_1) | instskip(SKIP_3) | instid1(VALU_DEP_2)
	s_or_b32 exec_lo, exec_lo, s16
	v_lshrrev_b16 v24, 8, v24
	v_dual_mov_b32 v90, 0 :: v_dual_mov_b32 v115, 0
	s_mov_b32 s16, exec_lo
	v_cmpx_ne_u16_e32 0, v24
	s_cbranch_execz .LBB281_322
; %bb.315:                              ;   in Loop: Header=BB281_15 Depth=1
	v_bfrev_b32_e32 v115, 1
	s_mov_b32 s17, exec_lo
	v_cmpx_ne_u16_e32 0x80, v24
	s_cbranch_execz .LBB281_321
; %bb.316:                              ;   in Loop: Header=BB281_15 Depth=1
	v_and_b32_e32 v0, 0xffff, v24
	v_mov_b32_e32 v115, 0x7c010000
	s_mov_b32 s18, exec_lo
	s_delay_alu instid0(VALU_DEP_2) | instskip(NEXT) | instid1(VALU_DEP_1)
	v_and_b32_e32 v9, 0x7f, v0
	v_cmpx_ne_u32_e32 0x7f, v9
	s_cbranch_execz .LBB281_320
; %bb.317:                              ;   in Loop: Header=BB281_15 Depth=1
	v_dual_lshrrev_b32 v8, 3, v9 :: v_dual_bitop2_b32 v6, 7, v0 bitop3:0x40
	s_mov_b32 s19, exec_lo
	v_cmpx_gt_u32_e32 8, v9
; %bb.318:                              ;   in Loop: Header=BB281_15 Depth=1
	s_delay_alu instid0(VALU_DEP_2) | instskip(NEXT) | instid1(VALU_DEP_1)
	v_clz_i32_u32_e32 v6, v6
	v_min_u32_e32 v6, 32, v6
	s_delay_alu instid0(VALU_DEP_1) | instskip(NEXT) | instid1(VALU_DEP_1)
	v_subrev_nc_u32_e32 v8, 28, v6
	v_lshlrev_b64_e32 v[10:11], v8, v[24:25]
	v_sub_nc_u32_e32 v8, 29, v6
	s_delay_alu instid0(VALU_DEP_2)
	v_and_b32_e32 v6, 7, v10
; %bb.319:                              ;   in Loop: Header=BB281_15 Depth=1
	s_or_b32 exec_lo, exec_lo, s19
	s_delay_alu instid0(VALU_DEP_1) | instskip(NEXT) | instid1(VALU_DEP_3)
	v_dual_lshlrev_b32 v0, 8, v0 :: v_dual_lshlrev_b32 v6, 23, v6
	v_lshl_add_u32 v8, v8, 10, 0x2000
	s_delay_alu instid0(VALU_DEP_1) | instskip(NEXT) | instid1(VALU_DEP_1)
	v_and_or_b32 v0, 0x8000, v0, v8
	v_lshl_or_b32 v115, v0, 16, v6
.LBB281_320:                            ;   in Loop: Header=BB281_15 Depth=1
	s_or_b32 exec_lo, exec_lo, s18
.LBB281_321:                            ;   in Loop: Header=BB281_15 Depth=1
	s_delay_alu instid0(SALU_CYCLE_1)
	s_or_b32 exec_lo, exec_lo, s17
.LBB281_322:                            ;   in Loop: Header=BB281_15 Depth=1
	s_delay_alu instid0(SALU_CYCLE_1) | instskip(SKIP_2) | instid1(VALU_DEP_1)
	s_or_b32 exec_lo, exec_lo, s16
	v_lshrrev_b32_e32 v0, 16, v5
	s_mov_b32 s16, exec_lo
	v_and_b32_e32 v6, 0xff, v0
	s_delay_alu instid0(VALU_DEP_1)
	v_cmpx_ne_u16_e32 0, v6
	s_cbranch_execz .LBB281_330
; %bb.323:                              ;   in Loop: Header=BB281_15 Depth=1
	v_mov_b32_e32 v90, 0x8000
	s_mov_b32 s17, exec_lo
	v_cmpx_ne_u16_e32 0x80, v6
	s_cbranch_execz .LBB281_329
; %bb.324:                              ;   in Loop: Header=BB281_15 Depth=1
	v_bfe_u32 v9, v5, 16, 7
	v_mov_b32_e32 v90, 0x7c01
	s_mov_b32 s18, exec_lo
	s_delay_alu instid0(VALU_DEP_2)
	v_cmpx_ne_u32_e32 0x7f, v9
	s_cbranch_execz .LBB281_328
; %bb.325:                              ;   in Loop: Header=BB281_15 Depth=1
	v_dual_lshrrev_b32 v8, 3, v9 :: v_dual_bitop2_b32 v6, 7, v0 bitop3:0x40
	s_mov_b32 s19, exec_lo
	v_cmpx_gt_u32_e32 8, v9
; %bb.326:                              ;   in Loop: Header=BB281_15 Depth=1
	s_delay_alu instid0(VALU_DEP_2) | instskip(NEXT) | instid1(VALU_DEP_1)
	v_clz_i32_u32_e32 v6, v6
	v_min_u32_e32 v6, 32, v6
	s_delay_alu instid0(VALU_DEP_1) | instskip(NEXT) | instid1(VALU_DEP_1)
	v_subrev_nc_u32_e32 v8, 28, v6
	v_lshlrev_b64_e32 v[10:11], v8, v[0:1]
	v_sub_nc_u32_e32 v8, 29, v6
	s_delay_alu instid0(VALU_DEP_2)
	v_and_b32_e32 v6, 7, v10
; %bb.327:                              ;   in Loop: Header=BB281_15 Depth=1
	s_or_b32 exec_lo, exec_lo, s19
	s_delay_alu instid0(VALU_DEP_1) | instskip(NEXT) | instid1(VALU_DEP_3)
	v_dual_lshlrev_b32 v0, 8, v0 :: v_dual_lshlrev_b32 v6, 7, v6
	v_lshl_add_u32 v8, v8, 10, 0x2000
	s_delay_alu instid0(VALU_DEP_2) | instskip(NEXT) | instid1(VALU_DEP_2)
	v_and_b32_e32 v0, 0x8000, v0
	v_and_b32_e32 v8, 0xfc00, v8
	s_delay_alu instid0(VALU_DEP_1)
	v_or3_b32 v90, v0, v8, v6
.LBB281_328:                            ;   in Loop: Header=BB281_15 Depth=1
	s_or_b32 exec_lo, exec_lo, s18
.LBB281_329:                            ;   in Loop: Header=BB281_15 Depth=1
	s_delay_alu instid0(SALU_CYCLE_1)
	s_or_b32 exec_lo, exec_lo, s17
.LBB281_330:                            ;   in Loop: Header=BB281_15 Depth=1
	s_delay_alu instid0(SALU_CYCLE_1)
	s_or_b32 exec_lo, exec_lo, s16
	v_dual_mov_b32 v91, 0 :: v_dual_mov_b32 v121, 0
	s_mov_b32 s16, exec_lo
	v_cmpx_lt_u64_e64 s[8:9], v[4:5]
	s_cbranch_execz .LBB281_338
; %bb.331:                              ;   in Loop: Header=BB281_15 Depth=1
	v_lshrrev_b32_e32 v24, 24, v5
	v_bfrev_b32_e32 v121, 1
	s_mov_b32 s17, exec_lo
	s_delay_alu instid0(VALU_DEP_2)
	v_cmpx_ne_u32_e32 0x80, v24
	s_cbranch_execz .LBB281_337
; %bb.332:                              ;   in Loop: Header=BB281_15 Depth=1
	v_and_b32_e32 v5, 0x7f, v24
	v_mov_b32_e32 v121, 0x7c010000
	s_mov_b32 s18, exec_lo
	s_delay_alu instid0(VALU_DEP_2)
	v_cmpx_ne_u32_e32 0x7f, v5
	s_cbranch_execz .LBB281_336
; %bb.333:                              ;   in Loop: Header=BB281_15 Depth=1
	v_dual_lshrrev_b32 v4, 3, v5 :: v_dual_bitop2_b32 v0, 7, v24 bitop3:0x40
	s_mov_b32 s19, exec_lo
	v_cmpx_gt_u32_e32 8, v5
; %bb.334:                              ;   in Loop: Header=BB281_15 Depth=1
	s_delay_alu instid0(VALU_DEP_2) | instskip(NEXT) | instid1(VALU_DEP_1)
	v_clz_i32_u32_e32 v0, v0
	v_min_u32_e32 v0, 32, v0
	s_delay_alu instid0(VALU_DEP_1) | instskip(NEXT) | instid1(VALU_DEP_1)
	v_subrev_nc_u32_e32 v4, 28, v0
	v_lshlrev_b64_e32 v[8:9], v4, v[24:25]
	v_sub_nc_u32_e32 v4, 29, v0
	s_delay_alu instid0(VALU_DEP_2)
	v_and_b32_e32 v0, 7, v8
; %bb.335:                              ;   in Loop: Header=BB281_15 Depth=1
	s_or_b32 exec_lo, exec_lo, s19
	v_lshlrev_b32_e32 v5, 8, v24
	s_delay_alu instid0(VALU_DEP_3) | instskip(NEXT) | instid1(VALU_DEP_3)
	v_lshl_add_u32 v4, v4, 10, 0x2000
	v_lshlrev_b32_e32 v0, 23, v0
	s_delay_alu instid0(VALU_DEP_2) | instskip(NEXT) | instid1(VALU_DEP_1)
	v_and_or_b32 v4, 0x8000, v5, v4
	v_lshl_or_b32 v121, v4, 16, v0
.LBB281_336:                            ;   in Loop: Header=BB281_15 Depth=1
	s_or_b32 exec_lo, exec_lo, s18
.LBB281_337:                            ;   in Loop: Header=BB281_15 Depth=1
	s_delay_alu instid0(SALU_CYCLE_1)
	s_or_b32 exec_lo, exec_lo, s17
.LBB281_338:                            ;   in Loop: Header=BB281_15 Depth=1
	s_delay_alu instid0(SALU_CYCLE_1)
	s_or_b32 exec_lo, exec_lo, s16
	flat_load_b64 v[4:5], v[2:3] offset:1032
	s_mov_b32 s16, exec_lo
	s_wait_loadcnt_dscnt 0x0
	v_and_b32_e32 v0, 0xff, v4
	s_wait_xcnt 0x0
	s_delay_alu instid0(VALU_DEP_1)
	v_cmpx_ne_u16_e32 0, v0
	s_cbranch_execz .LBB281_346
; %bb.339:                              ;   in Loop: Header=BB281_15 Depth=1
	v_mov_b32_e32 v91, 0x8000
	s_mov_b32 s17, exec_lo
	v_cmpx_ne_u16_e32 0x80, v0
	s_cbranch_execz .LBB281_345
; %bb.340:                              ;   in Loop: Header=BB281_15 Depth=1
	v_and_b32_e32 v8, 0x7f, v4
	v_mov_b32_e32 v91, 0x7c01
	s_mov_b32 s18, exec_lo
	s_delay_alu instid0(VALU_DEP_2)
	v_cmpx_ne_u32_e32 0x7f, v8
	s_cbranch_execz .LBB281_344
; %bb.341:                              ;   in Loop: Header=BB281_15 Depth=1
	v_and_b32_e32 v0, 7, v4
	v_lshrrev_b32_e32 v6, 3, v8
	s_mov_b32 s19, exec_lo
	v_cmpx_gt_u32_e32 8, v8
; %bb.342:                              ;   in Loop: Header=BB281_15 Depth=1
	s_delay_alu instid0(VALU_DEP_3) | instskip(NEXT) | instid1(VALU_DEP_1)
	v_clz_i32_u32_e32 v0, v0
	v_min_u32_e32 v0, 32, v0
	s_delay_alu instid0(VALU_DEP_1) | instskip(NEXT) | instid1(VALU_DEP_1)
	v_subrev_nc_u32_e32 v6, 28, v0
	v_lshlrev_b64_e32 v[8:9], v6, v[4:5]
	v_sub_nc_u32_e32 v6, 29, v0
	s_delay_alu instid0(VALU_DEP_2)
	v_and_b32_e32 v0, 7, v8
; %bb.343:                              ;   in Loop: Header=BB281_15 Depth=1
	s_or_b32 exec_lo, exec_lo, s19
	v_lshlrev_b32_e32 v8, 8, v4
	s_delay_alu instid0(VALU_DEP_3) | instskip(NEXT) | instid1(VALU_DEP_3)
	v_lshl_add_u32 v6, v6, 10, 0x2000
	v_lshlrev_b32_e32 v0, 7, v0
	s_delay_alu instid0(VALU_DEP_3) | instskip(NEXT) | instid1(VALU_DEP_3)
	v_and_b32_e32 v8, 0x8000, v8
	v_and_b32_e32 v6, 0xfc00, v6
	s_delay_alu instid0(VALU_DEP_1)
	v_or3_b32 v91, v8, v6, v0
.LBB281_344:                            ;   in Loop: Header=BB281_15 Depth=1
	s_or_b32 exec_lo, exec_lo, s18
.LBB281_345:                            ;   in Loop: Header=BB281_15 Depth=1
	s_delay_alu instid0(SALU_CYCLE_1)
	s_or_b32 exec_lo, exec_lo, s17
.LBB281_346:                            ;   in Loop: Header=BB281_15 Depth=1
	s_delay_alu instid0(SALU_CYCLE_1) | instskip(SKIP_3) | instid1(VALU_DEP_2)
	s_or_b32 exec_lo, exec_lo, s16
	v_lshrrev_b16 v24, 8, v4
	v_dual_mov_b32 v92, 0 :: v_dual_mov_b32 v93, 0
	s_mov_b32 s16, exec_lo
	v_cmpx_ne_u16_e32 0, v24
	s_cbranch_execz .LBB281_354
; %bb.347:                              ;   in Loop: Header=BB281_15 Depth=1
	v_bfrev_b32_e32 v93, 1
	s_mov_b32 s17, exec_lo
	v_cmpx_ne_u16_e32 0x80, v24
	s_cbranch_execz .LBB281_353
; %bb.348:                              ;   in Loop: Header=BB281_15 Depth=1
	v_and_b32_e32 v0, 0xffff, v24
	v_mov_b32_e32 v93, 0x7c010000
	s_mov_b32 s18, exec_lo
	s_delay_alu instid0(VALU_DEP_2) | instskip(NEXT) | instid1(VALU_DEP_1)
	v_and_b32_e32 v9, 0x7f, v0
	v_cmpx_ne_u32_e32 0x7f, v9
	s_cbranch_execz .LBB281_352
; %bb.349:                              ;   in Loop: Header=BB281_15 Depth=1
	v_dual_lshrrev_b32 v8, 3, v9 :: v_dual_bitop2_b32 v6, 7, v0 bitop3:0x40
	s_mov_b32 s19, exec_lo
	v_cmpx_gt_u32_e32 8, v9
; %bb.350:                              ;   in Loop: Header=BB281_15 Depth=1
	s_delay_alu instid0(VALU_DEP_2) | instskip(NEXT) | instid1(VALU_DEP_1)
	v_clz_i32_u32_e32 v6, v6
	v_min_u32_e32 v6, 32, v6
	s_delay_alu instid0(VALU_DEP_1) | instskip(NEXT) | instid1(VALU_DEP_1)
	v_subrev_nc_u32_e32 v8, 28, v6
	v_lshlrev_b64_e32 v[10:11], v8, v[24:25]
	v_sub_nc_u32_e32 v8, 29, v6
	s_delay_alu instid0(VALU_DEP_2)
	v_and_b32_e32 v6, 7, v10
; %bb.351:                              ;   in Loop: Header=BB281_15 Depth=1
	s_or_b32 exec_lo, exec_lo, s19
	s_delay_alu instid0(VALU_DEP_1) | instskip(NEXT) | instid1(VALU_DEP_3)
	v_dual_lshlrev_b32 v0, 8, v0 :: v_dual_lshlrev_b32 v6, 23, v6
	v_lshl_add_u32 v8, v8, 10, 0x2000
	s_delay_alu instid0(VALU_DEP_1) | instskip(NEXT) | instid1(VALU_DEP_1)
	v_and_or_b32 v0, 0x8000, v0, v8
	v_lshl_or_b32 v93, v0, 16, v6
.LBB281_352:                            ;   in Loop: Header=BB281_15 Depth=1
	s_or_b32 exec_lo, exec_lo, s18
.LBB281_353:                            ;   in Loop: Header=BB281_15 Depth=1
	s_delay_alu instid0(SALU_CYCLE_1)
	s_or_b32 exec_lo, exec_lo, s17
.LBB281_354:                            ;   in Loop: Header=BB281_15 Depth=1
	s_delay_alu instid0(SALU_CYCLE_1) | instskip(SKIP_2) | instid1(VALU_DEP_1)
	s_or_b32 exec_lo, exec_lo, s16
	v_lshrrev_b32_e32 v0, 16, v4
	s_mov_b32 s16, exec_lo
	v_and_b32_e32 v6, 0xff, v0
	s_delay_alu instid0(VALU_DEP_1)
	v_cmpx_ne_u16_e32 0, v6
	s_cbranch_execz .LBB281_362
; %bb.355:                              ;   in Loop: Header=BB281_15 Depth=1
	v_mov_b32_e32 v92, 0x8000
	s_mov_b32 s17, exec_lo
	v_cmpx_ne_u16_e32 0x80, v6
	s_cbranch_execz .LBB281_361
; %bb.356:                              ;   in Loop: Header=BB281_15 Depth=1
	v_bfe_u32 v9, v4, 16, 7
	v_mov_b32_e32 v92, 0x7c01
	s_mov_b32 s18, exec_lo
	s_delay_alu instid0(VALU_DEP_2)
	v_cmpx_ne_u32_e32 0x7f, v9
	s_cbranch_execz .LBB281_360
; %bb.357:                              ;   in Loop: Header=BB281_15 Depth=1
	v_dual_lshrrev_b32 v8, 3, v9 :: v_dual_bitop2_b32 v6, 7, v0 bitop3:0x40
	s_mov_b32 s19, exec_lo
	v_cmpx_gt_u32_e32 8, v9
; %bb.358:                              ;   in Loop: Header=BB281_15 Depth=1
	s_delay_alu instid0(VALU_DEP_2) | instskip(NEXT) | instid1(VALU_DEP_1)
	v_clz_i32_u32_e32 v6, v6
	v_min_u32_e32 v6, 32, v6
	s_delay_alu instid0(VALU_DEP_1) | instskip(NEXT) | instid1(VALU_DEP_1)
	v_subrev_nc_u32_e32 v8, 28, v6
	v_lshlrev_b64_e32 v[10:11], v8, v[0:1]
	v_sub_nc_u32_e32 v8, 29, v6
	s_delay_alu instid0(VALU_DEP_2)
	v_and_b32_e32 v6, 7, v10
; %bb.359:                              ;   in Loop: Header=BB281_15 Depth=1
	s_or_b32 exec_lo, exec_lo, s19
	s_delay_alu instid0(VALU_DEP_1) | instskip(NEXT) | instid1(VALU_DEP_3)
	v_dual_lshlrev_b32 v0, 8, v0 :: v_dual_lshlrev_b32 v6, 7, v6
	v_lshl_add_u32 v8, v8, 10, 0x2000
	s_delay_alu instid0(VALU_DEP_2) | instskip(NEXT) | instid1(VALU_DEP_2)
	v_and_b32_e32 v0, 0x8000, v0
	v_and_b32_e32 v8, 0xfc00, v8
	s_delay_alu instid0(VALU_DEP_1)
	v_or3_b32 v92, v0, v8, v6
.LBB281_360:                            ;   in Loop: Header=BB281_15 Depth=1
	s_or_b32 exec_lo, exec_lo, s18
.LBB281_361:                            ;   in Loop: Header=BB281_15 Depth=1
	s_delay_alu instid0(SALU_CYCLE_1)
	s_or_b32 exec_lo, exec_lo, s17
.LBB281_362:                            ;   in Loop: Header=BB281_15 Depth=1
	s_delay_alu instid0(SALU_CYCLE_1)
	s_or_b32 exec_lo, exec_lo, s16
	v_dual_mov_b32 v108, 0 :: v_dual_mov_b32 v62, 0
	s_mov_b32 s16, exec_lo
	v_cmpx_lt_u32_e32 0xffffff, v4
	s_cbranch_execz .LBB281_370
; %bb.363:                              ;   in Loop: Header=BB281_15 Depth=1
	v_lshrrev_b32_e32 v24, 24, v4
	v_bfrev_b32_e32 v62, 1
	s_mov_b32 s17, exec_lo
	s_delay_alu instid0(VALU_DEP_2)
	v_cmpx_ne_u32_e32 0x80, v24
	s_cbranch_execz .LBB281_369
; %bb.364:                              ;   in Loop: Header=BB281_15 Depth=1
	v_and_b32_e32 v8, 0x7f, v24
	v_mov_b32_e32 v62, 0x7c010000
	s_mov_b32 s18, exec_lo
	s_delay_alu instid0(VALU_DEP_2)
	v_cmpx_ne_u32_e32 0x7f, v8
	s_cbranch_execz .LBB281_368
; %bb.365:                              ;   in Loop: Header=BB281_15 Depth=1
	v_and_b32_e32 v0, 7, v24
	v_lshrrev_b32_e32 v6, 3, v8
	s_mov_b32 s19, exec_lo
	v_cmpx_gt_u32_e32 8, v8
; %bb.366:                              ;   in Loop: Header=BB281_15 Depth=1
	s_delay_alu instid0(VALU_DEP_3) | instskip(NEXT) | instid1(VALU_DEP_1)
	v_clz_i32_u32_e32 v0, v0
	v_min_u32_e32 v0, 32, v0
	s_delay_alu instid0(VALU_DEP_1) | instskip(NEXT) | instid1(VALU_DEP_1)
	v_subrev_nc_u32_e32 v6, 28, v0
	v_lshlrev_b64_e32 v[8:9], v6, v[24:25]
	v_sub_nc_u32_e32 v6, 29, v0
	s_delay_alu instid0(VALU_DEP_2)
	v_and_b32_e32 v0, 7, v8
; %bb.367:                              ;   in Loop: Header=BB281_15 Depth=1
	s_or_b32 exec_lo, exec_lo, s19
	v_lshlrev_b32_e32 v8, 8, v24
	s_delay_alu instid0(VALU_DEP_3) | instskip(NEXT) | instid1(VALU_DEP_3)
	v_lshl_add_u32 v6, v6, 10, 0x2000
	v_lshlrev_b32_e32 v0, 23, v0
	s_delay_alu instid0(VALU_DEP_2) | instskip(NEXT) | instid1(VALU_DEP_1)
	v_and_or_b32 v6, 0x8000, v8, v6
	v_lshl_or_b32 v62, v6, 16, v0
.LBB281_368:                            ;   in Loop: Header=BB281_15 Depth=1
	s_or_b32 exec_lo, exec_lo, s18
.LBB281_369:                            ;   in Loop: Header=BB281_15 Depth=1
	s_delay_alu instid0(SALU_CYCLE_1)
	s_or_b32 exec_lo, exec_lo, s17
.LBB281_370:                            ;   in Loop: Header=BB281_15 Depth=1
	s_delay_alu instid0(SALU_CYCLE_1) | instskip(SKIP_3) | instid1(VALU_DEP_2)
	s_or_b32 exec_lo, exec_lo, s16
	v_and_b32_e32 v0, 0xff, v5
	v_mov_b32_e32 v24, v5
	s_mov_b32 s16, exec_lo
	v_cmpx_ne_u16_e32 0, v0
	s_cbranch_execz .LBB281_378
; %bb.371:                              ;   in Loop: Header=BB281_15 Depth=1
	v_mov_b32_e32 v108, 0x8000
	s_mov_b32 s17, exec_lo
	v_cmpx_ne_u16_e32 0x80, v0
	s_cbranch_execz .LBB281_377
; %bb.372:                              ;   in Loop: Header=BB281_15 Depth=1
	v_and_b32_e32 v8, 0x7f, v5
	v_mov_b32_e32 v108, 0x7c01
	s_mov_b32 s18, exec_lo
	s_delay_alu instid0(VALU_DEP_2)
	v_cmpx_ne_u32_e32 0x7f, v8
	s_cbranch_execz .LBB281_376
; %bb.373:                              ;   in Loop: Header=BB281_15 Depth=1
	v_dual_lshrrev_b32 v6, 3, v8 :: v_dual_bitop2_b32 v0, 7, v5 bitop3:0x40
	s_mov_b32 s19, exec_lo
	v_cmpx_gt_u32_e32 8, v8
; %bb.374:                              ;   in Loop: Header=BB281_15 Depth=1
	s_delay_alu instid0(VALU_DEP_2) | instskip(NEXT) | instid1(VALU_DEP_1)
	v_clz_i32_u32_e32 v0, v0
	v_min_u32_e32 v0, 32, v0
	s_delay_alu instid0(VALU_DEP_1) | instskip(NEXT) | instid1(VALU_DEP_1)
	v_subrev_nc_u32_e32 v6, 28, v0
	v_lshlrev_b64_e32 v[8:9], v6, v[24:25]
	v_sub_nc_u32_e32 v6, 29, v0
	s_delay_alu instid0(VALU_DEP_2)
	v_and_b32_e32 v0, 7, v8
; %bb.375:                              ;   in Loop: Header=BB281_15 Depth=1
	s_or_b32 exec_lo, exec_lo, s19
	s_delay_alu instid0(VALU_DEP_1) | instskip(NEXT) | instid1(VALU_DEP_3)
	v_dual_lshlrev_b32 v8, 8, v5 :: v_dual_lshlrev_b32 v0, 7, v0
	v_lshl_add_u32 v6, v6, 10, 0x2000
	s_delay_alu instid0(VALU_DEP_2) | instskip(NEXT) | instid1(VALU_DEP_2)
	v_and_b32_e32 v8, 0x8000, v8
	v_and_b32_e32 v6, 0xfc00, v6
	s_delay_alu instid0(VALU_DEP_1)
	v_or3_b32 v108, v8, v6, v0
.LBB281_376:                            ;   in Loop: Header=BB281_15 Depth=1
	s_or_b32 exec_lo, exec_lo, s18
.LBB281_377:                            ;   in Loop: Header=BB281_15 Depth=1
	s_delay_alu instid0(SALU_CYCLE_1)
	s_or_b32 exec_lo, exec_lo, s17
.LBB281_378:                            ;   in Loop: Header=BB281_15 Depth=1
	s_delay_alu instid0(SALU_CYCLE_1) | instskip(SKIP_3) | instid1(VALU_DEP_2)
	s_or_b32 exec_lo, exec_lo, s16
	v_lshrrev_b16 v24, 8, v24
	v_dual_mov_b32 v109, 0 :: v_dual_mov_b32 v72, 0
	s_mov_b32 s16, exec_lo
	v_cmpx_ne_u16_e32 0, v24
	s_cbranch_execz .LBB281_386
; %bb.379:                              ;   in Loop: Header=BB281_15 Depth=1
	v_bfrev_b32_e32 v72, 1
	s_mov_b32 s17, exec_lo
	v_cmpx_ne_u16_e32 0x80, v24
	s_cbranch_execz .LBB281_385
; %bb.380:                              ;   in Loop: Header=BB281_15 Depth=1
	v_and_b32_e32 v0, 0xffff, v24
	v_mov_b32_e32 v72, 0x7c010000
	s_mov_b32 s18, exec_lo
	s_delay_alu instid0(VALU_DEP_2) | instskip(NEXT) | instid1(VALU_DEP_1)
	v_and_b32_e32 v9, 0x7f, v0
	v_cmpx_ne_u32_e32 0x7f, v9
	s_cbranch_execz .LBB281_384
; %bb.381:                              ;   in Loop: Header=BB281_15 Depth=1
	v_dual_lshrrev_b32 v8, 3, v9 :: v_dual_bitop2_b32 v6, 7, v0 bitop3:0x40
	s_mov_b32 s19, exec_lo
	v_cmpx_gt_u32_e32 8, v9
; %bb.382:                              ;   in Loop: Header=BB281_15 Depth=1
	s_delay_alu instid0(VALU_DEP_2) | instskip(NEXT) | instid1(VALU_DEP_1)
	v_clz_i32_u32_e32 v6, v6
	v_min_u32_e32 v6, 32, v6
	s_delay_alu instid0(VALU_DEP_1) | instskip(NEXT) | instid1(VALU_DEP_1)
	v_subrev_nc_u32_e32 v8, 28, v6
	v_lshlrev_b64_e32 v[10:11], v8, v[24:25]
	v_sub_nc_u32_e32 v8, 29, v6
	s_delay_alu instid0(VALU_DEP_2)
	v_and_b32_e32 v6, 7, v10
; %bb.383:                              ;   in Loop: Header=BB281_15 Depth=1
	s_or_b32 exec_lo, exec_lo, s19
	s_delay_alu instid0(VALU_DEP_1) | instskip(NEXT) | instid1(VALU_DEP_3)
	v_dual_lshlrev_b32 v0, 8, v0 :: v_dual_lshlrev_b32 v6, 23, v6
	v_lshl_add_u32 v8, v8, 10, 0x2000
	s_delay_alu instid0(VALU_DEP_1) | instskip(NEXT) | instid1(VALU_DEP_1)
	v_and_or_b32 v0, 0x8000, v0, v8
	v_lshl_or_b32 v72, v0, 16, v6
.LBB281_384:                            ;   in Loop: Header=BB281_15 Depth=1
	s_or_b32 exec_lo, exec_lo, s18
.LBB281_385:                            ;   in Loop: Header=BB281_15 Depth=1
	s_delay_alu instid0(SALU_CYCLE_1)
	s_or_b32 exec_lo, exec_lo, s17
.LBB281_386:                            ;   in Loop: Header=BB281_15 Depth=1
	s_delay_alu instid0(SALU_CYCLE_1) | instskip(SKIP_2) | instid1(VALU_DEP_1)
	s_or_b32 exec_lo, exec_lo, s16
	v_lshrrev_b32_e32 v0, 16, v5
	s_mov_b32 s16, exec_lo
	v_and_b32_e32 v6, 0xff, v0
	s_delay_alu instid0(VALU_DEP_1)
	v_cmpx_ne_u16_e32 0, v6
	s_cbranch_execz .LBB281_394
; %bb.387:                              ;   in Loop: Header=BB281_15 Depth=1
	v_mov_b32_e32 v109, 0x8000
	s_mov_b32 s17, exec_lo
	v_cmpx_ne_u16_e32 0x80, v6
	s_cbranch_execz .LBB281_393
; %bb.388:                              ;   in Loop: Header=BB281_15 Depth=1
	v_bfe_u32 v9, v5, 16, 7
	v_mov_b32_e32 v109, 0x7c01
	s_mov_b32 s18, exec_lo
	s_delay_alu instid0(VALU_DEP_2)
	v_cmpx_ne_u32_e32 0x7f, v9
	s_cbranch_execz .LBB281_392
; %bb.389:                              ;   in Loop: Header=BB281_15 Depth=1
	v_dual_lshrrev_b32 v8, 3, v9 :: v_dual_bitop2_b32 v6, 7, v0 bitop3:0x40
	s_mov_b32 s19, exec_lo
	v_cmpx_gt_u32_e32 8, v9
; %bb.390:                              ;   in Loop: Header=BB281_15 Depth=1
	s_delay_alu instid0(VALU_DEP_2) | instskip(NEXT) | instid1(VALU_DEP_1)
	v_clz_i32_u32_e32 v6, v6
	v_min_u32_e32 v6, 32, v6
	s_delay_alu instid0(VALU_DEP_1) | instskip(NEXT) | instid1(VALU_DEP_1)
	v_subrev_nc_u32_e32 v8, 28, v6
	v_lshlrev_b64_e32 v[10:11], v8, v[0:1]
	v_sub_nc_u32_e32 v8, 29, v6
	s_delay_alu instid0(VALU_DEP_2)
	v_and_b32_e32 v6, 7, v10
; %bb.391:                              ;   in Loop: Header=BB281_15 Depth=1
	s_or_b32 exec_lo, exec_lo, s19
	s_delay_alu instid0(VALU_DEP_1) | instskip(NEXT) | instid1(VALU_DEP_3)
	v_dual_lshlrev_b32 v0, 8, v0 :: v_dual_lshlrev_b32 v6, 7, v6
	v_lshl_add_u32 v8, v8, 10, 0x2000
	s_delay_alu instid0(VALU_DEP_2) | instskip(NEXT) | instid1(VALU_DEP_2)
	v_and_b32_e32 v0, 0x8000, v0
	v_and_b32_e32 v8, 0xfc00, v8
	s_delay_alu instid0(VALU_DEP_1)
	v_or3_b32 v109, v0, v8, v6
.LBB281_392:                            ;   in Loop: Header=BB281_15 Depth=1
	s_or_b32 exec_lo, exec_lo, s18
.LBB281_393:                            ;   in Loop: Header=BB281_15 Depth=1
	s_delay_alu instid0(SALU_CYCLE_1)
	s_or_b32 exec_lo, exec_lo, s17
.LBB281_394:                            ;   in Loop: Header=BB281_15 Depth=1
	s_delay_alu instid0(SALU_CYCLE_1)
	s_or_b32 exec_lo, exec_lo, s16
	v_dual_mov_b32 v81, 0 :: v_dual_mov_b32 v79, 0
	s_mov_b32 s16, exec_lo
	v_cmpx_lt_u64_e64 s[8:9], v[4:5]
	s_cbranch_execz .LBB281_402
; %bb.395:                              ;   in Loop: Header=BB281_15 Depth=1
	v_lshrrev_b32_e32 v24, 24, v5
	v_bfrev_b32_e32 v79, 1
	s_mov_b32 s17, exec_lo
	s_delay_alu instid0(VALU_DEP_2)
	v_cmpx_ne_u32_e32 0x80, v24
	s_cbranch_execz .LBB281_401
; %bb.396:                              ;   in Loop: Header=BB281_15 Depth=1
	v_and_b32_e32 v5, 0x7f, v24
	v_mov_b32_e32 v79, 0x7c010000
	s_mov_b32 s18, exec_lo
	s_delay_alu instid0(VALU_DEP_2)
	v_cmpx_ne_u32_e32 0x7f, v5
	s_cbranch_execz .LBB281_400
; %bb.397:                              ;   in Loop: Header=BB281_15 Depth=1
	v_dual_lshrrev_b32 v4, 3, v5 :: v_dual_bitop2_b32 v0, 7, v24 bitop3:0x40
	s_mov_b32 s19, exec_lo
	v_cmpx_gt_u32_e32 8, v5
; %bb.398:                              ;   in Loop: Header=BB281_15 Depth=1
	s_delay_alu instid0(VALU_DEP_2) | instskip(NEXT) | instid1(VALU_DEP_1)
	v_clz_i32_u32_e32 v0, v0
	v_min_u32_e32 v0, 32, v0
	s_delay_alu instid0(VALU_DEP_1) | instskip(NEXT) | instid1(VALU_DEP_1)
	v_subrev_nc_u32_e32 v4, 28, v0
	v_lshlrev_b64_e32 v[8:9], v4, v[24:25]
	v_sub_nc_u32_e32 v4, 29, v0
	s_delay_alu instid0(VALU_DEP_2)
	v_and_b32_e32 v0, 7, v8
; %bb.399:                              ;   in Loop: Header=BB281_15 Depth=1
	s_or_b32 exec_lo, exec_lo, s19
	v_lshlrev_b32_e32 v5, 8, v24
	s_delay_alu instid0(VALU_DEP_3) | instskip(NEXT) | instid1(VALU_DEP_3)
	v_lshl_add_u32 v4, v4, 10, 0x2000
	v_lshlrev_b32_e32 v0, 23, v0
	s_delay_alu instid0(VALU_DEP_2) | instskip(NEXT) | instid1(VALU_DEP_1)
	v_and_or_b32 v4, 0x8000, v5, v4
	v_lshl_or_b32 v79, v4, 16, v0
.LBB281_400:                            ;   in Loop: Header=BB281_15 Depth=1
	s_or_b32 exec_lo, exec_lo, s18
.LBB281_401:                            ;   in Loop: Header=BB281_15 Depth=1
	s_delay_alu instid0(SALU_CYCLE_1)
	s_or_b32 exec_lo, exec_lo, s17
.LBB281_402:                            ;   in Loop: Header=BB281_15 Depth=1
	s_delay_alu instid0(SALU_CYCLE_1)
	s_or_b32 exec_lo, exec_lo, s16
	flat_load_b64 v[4:5], v[2:3] offset:1536
	s_mov_b32 s16, exec_lo
	s_wait_loadcnt_dscnt 0x0
	v_and_b32_e32 v0, 0xff, v4
	s_wait_xcnt 0x0
	s_delay_alu instid0(VALU_DEP_1)
	v_cmpx_ne_u16_e32 0, v0
	s_cbranch_execz .LBB281_410
; %bb.403:                              ;   in Loop: Header=BB281_15 Depth=1
	v_mov_b32_e32 v81, 0x8000
	s_mov_b32 s17, exec_lo
	v_cmpx_ne_u16_e32 0x80, v0
	s_cbranch_execz .LBB281_409
; %bb.404:                              ;   in Loop: Header=BB281_15 Depth=1
	v_and_b32_e32 v8, 0x7f, v4
	v_mov_b32_e32 v81, 0x7c01
	s_mov_b32 s18, exec_lo
	s_delay_alu instid0(VALU_DEP_2)
	v_cmpx_ne_u32_e32 0x7f, v8
	s_cbranch_execz .LBB281_408
; %bb.405:                              ;   in Loop: Header=BB281_15 Depth=1
	v_and_b32_e32 v0, 7, v4
	v_lshrrev_b32_e32 v6, 3, v8
	s_mov_b32 s19, exec_lo
	v_cmpx_gt_u32_e32 8, v8
; %bb.406:                              ;   in Loop: Header=BB281_15 Depth=1
	s_delay_alu instid0(VALU_DEP_3) | instskip(NEXT) | instid1(VALU_DEP_1)
	v_clz_i32_u32_e32 v0, v0
	v_min_u32_e32 v0, 32, v0
	s_delay_alu instid0(VALU_DEP_1) | instskip(NEXT) | instid1(VALU_DEP_1)
	v_subrev_nc_u32_e32 v6, 28, v0
	v_lshlrev_b64_e32 v[8:9], v6, v[4:5]
	v_sub_nc_u32_e32 v6, 29, v0
	s_delay_alu instid0(VALU_DEP_2)
	v_and_b32_e32 v0, 7, v8
; %bb.407:                              ;   in Loop: Header=BB281_15 Depth=1
	s_or_b32 exec_lo, exec_lo, s19
	v_lshlrev_b32_e32 v8, 8, v4
	s_delay_alu instid0(VALU_DEP_3) | instskip(NEXT) | instid1(VALU_DEP_3)
	v_lshl_add_u32 v6, v6, 10, 0x2000
	v_lshlrev_b32_e32 v0, 7, v0
	s_delay_alu instid0(VALU_DEP_3) | instskip(NEXT) | instid1(VALU_DEP_3)
	v_and_b32_e32 v8, 0x8000, v8
	v_and_b32_e32 v6, 0xfc00, v6
	s_delay_alu instid0(VALU_DEP_1)
	v_or3_b32 v81, v8, v6, v0
.LBB281_408:                            ;   in Loop: Header=BB281_15 Depth=1
	s_or_b32 exec_lo, exec_lo, s18
.LBB281_409:                            ;   in Loop: Header=BB281_15 Depth=1
	s_delay_alu instid0(SALU_CYCLE_1)
	s_or_b32 exec_lo, exec_lo, s17
.LBB281_410:                            ;   in Loop: Header=BB281_15 Depth=1
	s_delay_alu instid0(SALU_CYCLE_1) | instskip(SKIP_3) | instid1(VALU_DEP_2)
	s_or_b32 exec_lo, exec_lo, s16
	v_lshrrev_b16 v24, 8, v4
	v_dual_mov_b32 v120, 0 :: v_dual_mov_b32 v76, 0
	s_mov_b32 s16, exec_lo
	v_cmpx_ne_u16_e32 0, v24
	s_cbranch_execz .LBB281_418
; %bb.411:                              ;   in Loop: Header=BB281_15 Depth=1
	v_bfrev_b32_e32 v76, 1
	s_mov_b32 s17, exec_lo
	v_cmpx_ne_u16_e32 0x80, v24
	s_cbranch_execz .LBB281_417
; %bb.412:                              ;   in Loop: Header=BB281_15 Depth=1
	v_and_b32_e32 v0, 0xffff, v24
	v_mov_b32_e32 v76, 0x7c010000
	s_mov_b32 s18, exec_lo
	s_delay_alu instid0(VALU_DEP_2) | instskip(NEXT) | instid1(VALU_DEP_1)
	v_and_b32_e32 v9, 0x7f, v0
	v_cmpx_ne_u32_e32 0x7f, v9
	s_cbranch_execz .LBB281_416
; %bb.413:                              ;   in Loop: Header=BB281_15 Depth=1
	v_dual_lshrrev_b32 v8, 3, v9 :: v_dual_bitop2_b32 v6, 7, v0 bitop3:0x40
	s_mov_b32 s19, exec_lo
	v_cmpx_gt_u32_e32 8, v9
; %bb.414:                              ;   in Loop: Header=BB281_15 Depth=1
	s_delay_alu instid0(VALU_DEP_2) | instskip(NEXT) | instid1(VALU_DEP_1)
	v_clz_i32_u32_e32 v6, v6
	v_min_u32_e32 v6, 32, v6
	s_delay_alu instid0(VALU_DEP_1) | instskip(NEXT) | instid1(VALU_DEP_1)
	v_subrev_nc_u32_e32 v8, 28, v6
	v_lshlrev_b64_e32 v[10:11], v8, v[24:25]
	v_sub_nc_u32_e32 v8, 29, v6
	s_delay_alu instid0(VALU_DEP_2)
	v_and_b32_e32 v6, 7, v10
; %bb.415:                              ;   in Loop: Header=BB281_15 Depth=1
	s_or_b32 exec_lo, exec_lo, s19
	s_delay_alu instid0(VALU_DEP_1) | instskip(NEXT) | instid1(VALU_DEP_3)
	v_dual_lshlrev_b32 v0, 8, v0 :: v_dual_lshlrev_b32 v6, 23, v6
	v_lshl_add_u32 v8, v8, 10, 0x2000
	s_delay_alu instid0(VALU_DEP_1) | instskip(NEXT) | instid1(VALU_DEP_1)
	v_and_or_b32 v0, 0x8000, v0, v8
	v_lshl_or_b32 v76, v0, 16, v6
.LBB281_416:                            ;   in Loop: Header=BB281_15 Depth=1
	s_or_b32 exec_lo, exec_lo, s18
.LBB281_417:                            ;   in Loop: Header=BB281_15 Depth=1
	s_delay_alu instid0(SALU_CYCLE_1)
	s_or_b32 exec_lo, exec_lo, s17
.LBB281_418:                            ;   in Loop: Header=BB281_15 Depth=1
	s_delay_alu instid0(SALU_CYCLE_1) | instskip(SKIP_2) | instid1(VALU_DEP_1)
	s_or_b32 exec_lo, exec_lo, s16
	v_lshrrev_b32_e32 v0, 16, v4
	s_mov_b32 s16, exec_lo
	v_and_b32_e32 v6, 0xff, v0
	s_delay_alu instid0(VALU_DEP_1)
	v_cmpx_ne_u16_e32 0, v6
	s_cbranch_execz .LBB281_426
; %bb.419:                              ;   in Loop: Header=BB281_15 Depth=1
	v_mov_b32_e32 v120, 0x8000
	s_mov_b32 s17, exec_lo
	v_cmpx_ne_u16_e32 0x80, v6
	s_cbranch_execz .LBB281_425
; %bb.420:                              ;   in Loop: Header=BB281_15 Depth=1
	v_bfe_u32 v9, v4, 16, 7
	v_mov_b32_e32 v120, 0x7c01
	s_mov_b32 s18, exec_lo
	s_delay_alu instid0(VALU_DEP_2)
	v_cmpx_ne_u32_e32 0x7f, v9
	s_cbranch_execz .LBB281_424
; %bb.421:                              ;   in Loop: Header=BB281_15 Depth=1
	v_dual_lshrrev_b32 v8, 3, v9 :: v_dual_bitop2_b32 v6, 7, v0 bitop3:0x40
	s_mov_b32 s19, exec_lo
	v_cmpx_gt_u32_e32 8, v9
; %bb.422:                              ;   in Loop: Header=BB281_15 Depth=1
	s_delay_alu instid0(VALU_DEP_2) | instskip(NEXT) | instid1(VALU_DEP_1)
	v_clz_i32_u32_e32 v6, v6
	v_min_u32_e32 v6, 32, v6
	s_delay_alu instid0(VALU_DEP_1) | instskip(NEXT) | instid1(VALU_DEP_1)
	v_subrev_nc_u32_e32 v8, 28, v6
	v_lshlrev_b64_e32 v[10:11], v8, v[0:1]
	v_sub_nc_u32_e32 v8, 29, v6
	s_delay_alu instid0(VALU_DEP_2)
	v_and_b32_e32 v6, 7, v10
; %bb.423:                              ;   in Loop: Header=BB281_15 Depth=1
	s_or_b32 exec_lo, exec_lo, s19
	s_delay_alu instid0(VALU_DEP_1) | instskip(NEXT) | instid1(VALU_DEP_3)
	v_dual_lshlrev_b32 v0, 8, v0 :: v_dual_lshlrev_b32 v6, 7, v6
	v_lshl_add_u32 v8, v8, 10, 0x2000
	s_delay_alu instid0(VALU_DEP_2) | instskip(NEXT) | instid1(VALU_DEP_2)
	v_and_b32_e32 v0, 0x8000, v0
	v_and_b32_e32 v8, 0xfc00, v8
	s_delay_alu instid0(VALU_DEP_1)
	v_or3_b32 v120, v0, v8, v6
.LBB281_424:                            ;   in Loop: Header=BB281_15 Depth=1
	s_or_b32 exec_lo, exec_lo, s18
.LBB281_425:                            ;   in Loop: Header=BB281_15 Depth=1
	s_delay_alu instid0(SALU_CYCLE_1)
	s_or_b32 exec_lo, exec_lo, s17
.LBB281_426:                            ;   in Loop: Header=BB281_15 Depth=1
	s_delay_alu instid0(SALU_CYCLE_1)
	s_or_b32 exec_lo, exec_lo, s16
	v_dual_mov_b32 v80, 0 :: v_dual_mov_b32 v78, 0
	s_mov_b32 s16, exec_lo
	v_cmpx_lt_u32_e32 0xffffff, v4
	s_cbranch_execz .LBB281_434
; %bb.427:                              ;   in Loop: Header=BB281_15 Depth=1
	v_lshrrev_b32_e32 v24, 24, v4
	v_bfrev_b32_e32 v78, 1
	s_mov_b32 s17, exec_lo
	s_delay_alu instid0(VALU_DEP_2)
	v_cmpx_ne_u32_e32 0x80, v24
	s_cbranch_execz .LBB281_433
; %bb.428:                              ;   in Loop: Header=BB281_15 Depth=1
	v_and_b32_e32 v8, 0x7f, v24
	v_mov_b32_e32 v78, 0x7c010000
	s_mov_b32 s18, exec_lo
	s_delay_alu instid0(VALU_DEP_2)
	v_cmpx_ne_u32_e32 0x7f, v8
	s_cbranch_execz .LBB281_432
; %bb.429:                              ;   in Loop: Header=BB281_15 Depth=1
	v_and_b32_e32 v0, 7, v24
	v_lshrrev_b32_e32 v6, 3, v8
	s_mov_b32 s19, exec_lo
	v_cmpx_gt_u32_e32 8, v8
; %bb.430:                              ;   in Loop: Header=BB281_15 Depth=1
	s_delay_alu instid0(VALU_DEP_3) | instskip(NEXT) | instid1(VALU_DEP_1)
	v_clz_i32_u32_e32 v0, v0
	v_min_u32_e32 v0, 32, v0
	s_delay_alu instid0(VALU_DEP_1) | instskip(NEXT) | instid1(VALU_DEP_1)
	v_subrev_nc_u32_e32 v6, 28, v0
	v_lshlrev_b64_e32 v[8:9], v6, v[24:25]
	v_sub_nc_u32_e32 v6, 29, v0
	s_delay_alu instid0(VALU_DEP_2)
	v_and_b32_e32 v0, 7, v8
; %bb.431:                              ;   in Loop: Header=BB281_15 Depth=1
	s_or_b32 exec_lo, exec_lo, s19
	v_lshlrev_b32_e32 v8, 8, v24
	s_delay_alu instid0(VALU_DEP_3) | instskip(NEXT) | instid1(VALU_DEP_3)
	v_lshl_add_u32 v6, v6, 10, 0x2000
	v_lshlrev_b32_e32 v0, 23, v0
	s_delay_alu instid0(VALU_DEP_2) | instskip(NEXT) | instid1(VALU_DEP_1)
	v_and_or_b32 v6, 0x8000, v8, v6
	v_lshl_or_b32 v78, v6, 16, v0
.LBB281_432:                            ;   in Loop: Header=BB281_15 Depth=1
	s_or_b32 exec_lo, exec_lo, s18
.LBB281_433:                            ;   in Loop: Header=BB281_15 Depth=1
	s_delay_alu instid0(SALU_CYCLE_1)
	s_or_b32 exec_lo, exec_lo, s17
.LBB281_434:                            ;   in Loop: Header=BB281_15 Depth=1
	s_delay_alu instid0(SALU_CYCLE_1) | instskip(SKIP_3) | instid1(VALU_DEP_2)
	s_or_b32 exec_lo, exec_lo, s16
	v_and_b32_e32 v0, 0xff, v5
	v_mov_b32_e32 v24, v5
	s_mov_b32 s16, exec_lo
	v_cmpx_ne_u16_e32 0, v0
	s_cbranch_execz .LBB281_442
; %bb.435:                              ;   in Loop: Header=BB281_15 Depth=1
	v_mov_b32_e32 v80, 0x8000
	s_mov_b32 s17, exec_lo
	v_cmpx_ne_u16_e32 0x80, v0
	s_cbranch_execz .LBB281_441
; %bb.436:                              ;   in Loop: Header=BB281_15 Depth=1
	v_and_b32_e32 v8, 0x7f, v5
	v_mov_b32_e32 v80, 0x7c01
	s_mov_b32 s18, exec_lo
	s_delay_alu instid0(VALU_DEP_2)
	v_cmpx_ne_u32_e32 0x7f, v8
	s_cbranch_execz .LBB281_440
; %bb.437:                              ;   in Loop: Header=BB281_15 Depth=1
	v_dual_lshrrev_b32 v6, 3, v8 :: v_dual_bitop2_b32 v0, 7, v5 bitop3:0x40
	s_mov_b32 s19, exec_lo
	v_cmpx_gt_u32_e32 8, v8
; %bb.438:                              ;   in Loop: Header=BB281_15 Depth=1
	s_delay_alu instid0(VALU_DEP_2) | instskip(NEXT) | instid1(VALU_DEP_1)
	v_clz_i32_u32_e32 v0, v0
	v_min_u32_e32 v0, 32, v0
	s_delay_alu instid0(VALU_DEP_1) | instskip(NEXT) | instid1(VALU_DEP_1)
	v_subrev_nc_u32_e32 v6, 28, v0
	v_lshlrev_b64_e32 v[8:9], v6, v[24:25]
	v_sub_nc_u32_e32 v6, 29, v0
	s_delay_alu instid0(VALU_DEP_2)
	v_and_b32_e32 v0, 7, v8
; %bb.439:                              ;   in Loop: Header=BB281_15 Depth=1
	s_or_b32 exec_lo, exec_lo, s19
	s_delay_alu instid0(VALU_DEP_1) | instskip(NEXT) | instid1(VALU_DEP_3)
	v_dual_lshlrev_b32 v8, 8, v5 :: v_dual_lshlrev_b32 v0, 7, v0
	v_lshl_add_u32 v6, v6, 10, 0x2000
	s_delay_alu instid0(VALU_DEP_2) | instskip(NEXT) | instid1(VALU_DEP_2)
	v_and_b32_e32 v8, 0x8000, v8
	v_and_b32_e32 v6, 0xfc00, v6
	s_delay_alu instid0(VALU_DEP_1)
	v_or3_b32 v80, v8, v6, v0
.LBB281_440:                            ;   in Loop: Header=BB281_15 Depth=1
	s_or_b32 exec_lo, exec_lo, s18
.LBB281_441:                            ;   in Loop: Header=BB281_15 Depth=1
	s_delay_alu instid0(SALU_CYCLE_1)
	s_or_b32 exec_lo, exec_lo, s17
.LBB281_442:                            ;   in Loop: Header=BB281_15 Depth=1
	s_delay_alu instid0(SALU_CYCLE_1) | instskip(SKIP_3) | instid1(VALU_DEP_2)
	s_or_b32 exec_lo, exec_lo, s16
	v_lshrrev_b16 v24, 8, v24
	v_dual_mov_b32 v100, 0 :: v_dual_mov_b32 v88, 0
	s_mov_b32 s16, exec_lo
	v_cmpx_ne_u16_e32 0, v24
	s_cbranch_execz .LBB281_450
; %bb.443:                              ;   in Loop: Header=BB281_15 Depth=1
	v_bfrev_b32_e32 v88, 1
	s_mov_b32 s17, exec_lo
	v_cmpx_ne_u16_e32 0x80, v24
	s_cbranch_execz .LBB281_449
; %bb.444:                              ;   in Loop: Header=BB281_15 Depth=1
	v_and_b32_e32 v0, 0xffff, v24
	v_mov_b32_e32 v88, 0x7c010000
	s_mov_b32 s18, exec_lo
	s_delay_alu instid0(VALU_DEP_2) | instskip(NEXT) | instid1(VALU_DEP_1)
	v_and_b32_e32 v9, 0x7f, v0
	v_cmpx_ne_u32_e32 0x7f, v9
	s_cbranch_execz .LBB281_448
; %bb.445:                              ;   in Loop: Header=BB281_15 Depth=1
	v_dual_lshrrev_b32 v8, 3, v9 :: v_dual_bitop2_b32 v6, 7, v0 bitop3:0x40
	s_mov_b32 s19, exec_lo
	v_cmpx_gt_u32_e32 8, v9
; %bb.446:                              ;   in Loop: Header=BB281_15 Depth=1
	s_delay_alu instid0(VALU_DEP_2) | instskip(NEXT) | instid1(VALU_DEP_1)
	v_clz_i32_u32_e32 v6, v6
	v_min_u32_e32 v6, 32, v6
	s_delay_alu instid0(VALU_DEP_1) | instskip(NEXT) | instid1(VALU_DEP_1)
	v_subrev_nc_u32_e32 v8, 28, v6
	v_lshlrev_b64_e32 v[10:11], v8, v[24:25]
	v_sub_nc_u32_e32 v8, 29, v6
	s_delay_alu instid0(VALU_DEP_2)
	v_and_b32_e32 v6, 7, v10
; %bb.447:                              ;   in Loop: Header=BB281_15 Depth=1
	s_or_b32 exec_lo, exec_lo, s19
	s_delay_alu instid0(VALU_DEP_1) | instskip(NEXT) | instid1(VALU_DEP_3)
	v_dual_lshlrev_b32 v0, 8, v0 :: v_dual_lshlrev_b32 v6, 23, v6
	v_lshl_add_u32 v8, v8, 10, 0x2000
	s_delay_alu instid0(VALU_DEP_1) | instskip(NEXT) | instid1(VALU_DEP_1)
	v_and_or_b32 v0, 0x8000, v0, v8
	v_lshl_or_b32 v88, v0, 16, v6
.LBB281_448:                            ;   in Loop: Header=BB281_15 Depth=1
	s_or_b32 exec_lo, exec_lo, s18
.LBB281_449:                            ;   in Loop: Header=BB281_15 Depth=1
	s_delay_alu instid0(SALU_CYCLE_1)
	s_or_b32 exec_lo, exec_lo, s17
.LBB281_450:                            ;   in Loop: Header=BB281_15 Depth=1
	s_delay_alu instid0(SALU_CYCLE_1) | instskip(SKIP_2) | instid1(VALU_DEP_1)
	s_or_b32 exec_lo, exec_lo, s16
	v_lshrrev_b32_e32 v0, 16, v5
	s_mov_b32 s16, exec_lo
	v_and_b32_e32 v6, 0xff, v0
	s_delay_alu instid0(VALU_DEP_1)
	v_cmpx_ne_u16_e32 0, v6
	s_cbranch_execz .LBB281_458
; %bb.451:                              ;   in Loop: Header=BB281_15 Depth=1
	v_mov_b32_e32 v100, 0x8000
	s_mov_b32 s17, exec_lo
	v_cmpx_ne_u16_e32 0x80, v6
	s_cbranch_execz .LBB281_457
; %bb.452:                              ;   in Loop: Header=BB281_15 Depth=1
	v_bfe_u32 v9, v5, 16, 7
	v_mov_b32_e32 v100, 0x7c01
	s_mov_b32 s18, exec_lo
	s_delay_alu instid0(VALU_DEP_2)
	v_cmpx_ne_u32_e32 0x7f, v9
	s_cbranch_execz .LBB281_456
; %bb.453:                              ;   in Loop: Header=BB281_15 Depth=1
	v_dual_lshrrev_b32 v8, 3, v9 :: v_dual_bitop2_b32 v6, 7, v0 bitop3:0x40
	s_mov_b32 s19, exec_lo
	v_cmpx_gt_u32_e32 8, v9
; %bb.454:                              ;   in Loop: Header=BB281_15 Depth=1
	s_delay_alu instid0(VALU_DEP_2) | instskip(NEXT) | instid1(VALU_DEP_1)
	v_clz_i32_u32_e32 v6, v6
	v_min_u32_e32 v6, 32, v6
	s_delay_alu instid0(VALU_DEP_1) | instskip(NEXT) | instid1(VALU_DEP_1)
	v_subrev_nc_u32_e32 v8, 28, v6
	v_lshlrev_b64_e32 v[10:11], v8, v[0:1]
	v_sub_nc_u32_e32 v8, 29, v6
	s_delay_alu instid0(VALU_DEP_2)
	v_and_b32_e32 v6, 7, v10
; %bb.455:                              ;   in Loop: Header=BB281_15 Depth=1
	s_or_b32 exec_lo, exec_lo, s19
	s_delay_alu instid0(VALU_DEP_1) | instskip(NEXT) | instid1(VALU_DEP_3)
	v_dual_lshlrev_b32 v0, 8, v0 :: v_dual_lshlrev_b32 v6, 7, v6
	v_lshl_add_u32 v8, v8, 10, 0x2000
	s_delay_alu instid0(VALU_DEP_2) | instskip(NEXT) | instid1(VALU_DEP_2)
	v_and_b32_e32 v0, 0x8000, v0
	v_and_b32_e32 v8, 0xfc00, v8
	s_delay_alu instid0(VALU_DEP_1)
	v_or3_b32 v100, v0, v8, v6
.LBB281_456:                            ;   in Loop: Header=BB281_15 Depth=1
	s_or_b32 exec_lo, exec_lo, s18
.LBB281_457:                            ;   in Loop: Header=BB281_15 Depth=1
	s_delay_alu instid0(SALU_CYCLE_1)
	s_or_b32 exec_lo, exec_lo, s17
.LBB281_458:                            ;   in Loop: Header=BB281_15 Depth=1
	s_delay_alu instid0(SALU_CYCLE_1)
	s_or_b32 exec_lo, exec_lo, s16
	v_dual_mov_b32 v63, 0 :: v_dual_mov_b32 v102, 0
	s_mov_b32 s16, exec_lo
	v_cmpx_lt_u64_e64 s[8:9], v[4:5]
	s_cbranch_execz .LBB281_466
; %bb.459:                              ;   in Loop: Header=BB281_15 Depth=1
	v_lshrrev_b32_e32 v24, 24, v5
	v_bfrev_b32_e32 v102, 1
	s_mov_b32 s17, exec_lo
	s_delay_alu instid0(VALU_DEP_2)
	v_cmpx_ne_u32_e32 0x80, v24
	s_cbranch_execz .LBB281_465
; %bb.460:                              ;   in Loop: Header=BB281_15 Depth=1
	v_and_b32_e32 v5, 0x7f, v24
	v_mov_b32_e32 v102, 0x7c010000
	s_mov_b32 s18, exec_lo
	s_delay_alu instid0(VALU_DEP_2)
	v_cmpx_ne_u32_e32 0x7f, v5
	s_cbranch_execz .LBB281_464
; %bb.461:                              ;   in Loop: Header=BB281_15 Depth=1
	v_dual_lshrrev_b32 v4, 3, v5 :: v_dual_bitop2_b32 v0, 7, v24 bitop3:0x40
	s_mov_b32 s19, exec_lo
	v_cmpx_gt_u32_e32 8, v5
; %bb.462:                              ;   in Loop: Header=BB281_15 Depth=1
	s_delay_alu instid0(VALU_DEP_2) | instskip(NEXT) | instid1(VALU_DEP_1)
	v_clz_i32_u32_e32 v0, v0
	v_min_u32_e32 v0, 32, v0
	s_delay_alu instid0(VALU_DEP_1) | instskip(NEXT) | instid1(VALU_DEP_1)
	v_subrev_nc_u32_e32 v4, 28, v0
	v_lshlrev_b64_e32 v[8:9], v4, v[24:25]
	v_sub_nc_u32_e32 v4, 29, v0
	s_delay_alu instid0(VALU_DEP_2)
	v_and_b32_e32 v0, 7, v8
; %bb.463:                              ;   in Loop: Header=BB281_15 Depth=1
	s_or_b32 exec_lo, exec_lo, s19
	v_lshlrev_b32_e32 v5, 8, v24
	s_delay_alu instid0(VALU_DEP_3) | instskip(NEXT) | instid1(VALU_DEP_3)
	v_lshl_add_u32 v4, v4, 10, 0x2000
	v_lshlrev_b32_e32 v0, 23, v0
	s_delay_alu instid0(VALU_DEP_2) | instskip(NEXT) | instid1(VALU_DEP_1)
	v_and_or_b32 v4, 0x8000, v5, v4
	v_lshl_or_b32 v102, v4, 16, v0
.LBB281_464:                            ;   in Loop: Header=BB281_15 Depth=1
	s_or_b32 exec_lo, exec_lo, s18
.LBB281_465:                            ;   in Loop: Header=BB281_15 Depth=1
	s_delay_alu instid0(SALU_CYCLE_1)
	s_or_b32 exec_lo, exec_lo, s17
.LBB281_466:                            ;   in Loop: Header=BB281_15 Depth=1
	s_delay_alu instid0(SALU_CYCLE_1)
	s_or_b32 exec_lo, exec_lo, s16
	flat_load_b64 v[4:5], v[2:3] offset:1544
	s_mov_b32 s16, exec_lo
	s_wait_loadcnt_dscnt 0x0
	v_and_b32_e32 v0, 0xff, v4
	s_wait_xcnt 0x0
	s_delay_alu instid0(VALU_DEP_1)
	v_cmpx_ne_u16_e32 0, v0
	s_cbranch_execz .LBB281_474
; %bb.467:                              ;   in Loop: Header=BB281_15 Depth=1
	v_mov_b32_e32 v63, 0x8000
	s_mov_b32 s17, exec_lo
	v_cmpx_ne_u16_e32 0x80, v0
	s_cbranch_execz .LBB281_473
; %bb.468:                              ;   in Loop: Header=BB281_15 Depth=1
	v_and_b32_e32 v8, 0x7f, v4
	v_mov_b32_e32 v63, 0x7c01
	s_mov_b32 s18, exec_lo
	s_delay_alu instid0(VALU_DEP_2)
	v_cmpx_ne_u32_e32 0x7f, v8
	s_cbranch_execz .LBB281_472
; %bb.469:                              ;   in Loop: Header=BB281_15 Depth=1
	v_and_b32_e32 v0, 7, v4
	v_lshrrev_b32_e32 v6, 3, v8
	s_mov_b32 s19, exec_lo
	v_cmpx_gt_u32_e32 8, v8
; %bb.470:                              ;   in Loop: Header=BB281_15 Depth=1
	s_delay_alu instid0(VALU_DEP_3) | instskip(NEXT) | instid1(VALU_DEP_1)
	v_clz_i32_u32_e32 v0, v0
	v_min_u32_e32 v0, 32, v0
	s_delay_alu instid0(VALU_DEP_1) | instskip(NEXT) | instid1(VALU_DEP_1)
	v_subrev_nc_u32_e32 v6, 28, v0
	v_lshlrev_b64_e32 v[8:9], v6, v[4:5]
	v_sub_nc_u32_e32 v6, 29, v0
	s_delay_alu instid0(VALU_DEP_2)
	v_and_b32_e32 v0, 7, v8
; %bb.471:                              ;   in Loop: Header=BB281_15 Depth=1
	s_or_b32 exec_lo, exec_lo, s19
	v_lshlrev_b32_e32 v8, 8, v4
	s_delay_alu instid0(VALU_DEP_3) | instskip(NEXT) | instid1(VALU_DEP_3)
	v_lshl_add_u32 v6, v6, 10, 0x2000
	v_lshlrev_b32_e32 v0, 7, v0
	s_delay_alu instid0(VALU_DEP_3) | instskip(NEXT) | instid1(VALU_DEP_3)
	v_and_b32_e32 v8, 0x8000, v8
	v_and_b32_e32 v6, 0xfc00, v6
	s_delay_alu instid0(VALU_DEP_1)
	v_or3_b32 v63, v8, v6, v0
.LBB281_472:                            ;   in Loop: Header=BB281_15 Depth=1
	s_or_b32 exec_lo, exec_lo, s18
.LBB281_473:                            ;   in Loop: Header=BB281_15 Depth=1
	s_delay_alu instid0(SALU_CYCLE_1)
	s_or_b32 exec_lo, exec_lo, s17
.LBB281_474:                            ;   in Loop: Header=BB281_15 Depth=1
	s_delay_alu instid0(SALU_CYCLE_1) | instskip(SKIP_3) | instid1(VALU_DEP_2)
	s_or_b32 exec_lo, exec_lo, s16
	v_lshrrev_b16 v24, 8, v4
	v_dual_mov_b32 v49, 0 :: v_dual_mov_b32 v73, 0
	s_mov_b32 s16, exec_lo
	v_cmpx_ne_u16_e32 0, v24
	s_cbranch_execz .LBB281_482
; %bb.475:                              ;   in Loop: Header=BB281_15 Depth=1
	v_bfrev_b32_e32 v73, 1
	s_mov_b32 s17, exec_lo
	v_cmpx_ne_u16_e32 0x80, v24
	s_cbranch_execz .LBB281_481
; %bb.476:                              ;   in Loop: Header=BB281_15 Depth=1
	v_and_b32_e32 v0, 0xffff, v24
	v_mov_b32_e32 v73, 0x7c010000
	s_mov_b32 s18, exec_lo
	s_delay_alu instid0(VALU_DEP_2) | instskip(NEXT) | instid1(VALU_DEP_1)
	v_and_b32_e32 v9, 0x7f, v0
	v_cmpx_ne_u32_e32 0x7f, v9
	s_cbranch_execz .LBB281_480
; %bb.477:                              ;   in Loop: Header=BB281_15 Depth=1
	v_dual_lshrrev_b32 v8, 3, v9 :: v_dual_bitop2_b32 v6, 7, v0 bitop3:0x40
	s_mov_b32 s19, exec_lo
	v_cmpx_gt_u32_e32 8, v9
; %bb.478:                              ;   in Loop: Header=BB281_15 Depth=1
	s_delay_alu instid0(VALU_DEP_2) | instskip(NEXT) | instid1(VALU_DEP_1)
	v_clz_i32_u32_e32 v6, v6
	v_min_u32_e32 v6, 32, v6
	s_delay_alu instid0(VALU_DEP_1) | instskip(NEXT) | instid1(VALU_DEP_1)
	v_subrev_nc_u32_e32 v8, 28, v6
	v_lshlrev_b64_e32 v[10:11], v8, v[24:25]
	v_sub_nc_u32_e32 v8, 29, v6
	s_delay_alu instid0(VALU_DEP_2)
	v_and_b32_e32 v6, 7, v10
; %bb.479:                              ;   in Loop: Header=BB281_15 Depth=1
	s_or_b32 exec_lo, exec_lo, s19
	s_delay_alu instid0(VALU_DEP_1) | instskip(NEXT) | instid1(VALU_DEP_3)
	v_dual_lshlrev_b32 v0, 8, v0 :: v_dual_lshlrev_b32 v6, 23, v6
	v_lshl_add_u32 v8, v8, 10, 0x2000
	s_delay_alu instid0(VALU_DEP_1) | instskip(NEXT) | instid1(VALU_DEP_1)
	v_and_or_b32 v0, 0x8000, v0, v8
	v_lshl_or_b32 v73, v0, 16, v6
.LBB281_480:                            ;   in Loop: Header=BB281_15 Depth=1
	s_or_b32 exec_lo, exec_lo, s18
.LBB281_481:                            ;   in Loop: Header=BB281_15 Depth=1
	s_delay_alu instid0(SALU_CYCLE_1)
	s_or_b32 exec_lo, exec_lo, s17
.LBB281_482:                            ;   in Loop: Header=BB281_15 Depth=1
	s_delay_alu instid0(SALU_CYCLE_1) | instskip(SKIP_2) | instid1(VALU_DEP_1)
	s_or_b32 exec_lo, exec_lo, s16
	v_lshrrev_b32_e32 v0, 16, v4
	s_mov_b32 s16, exec_lo
	v_and_b32_e32 v6, 0xff, v0
	s_delay_alu instid0(VALU_DEP_1)
	v_cmpx_ne_u16_e32 0, v6
	s_cbranch_execz .LBB281_490
; %bb.483:                              ;   in Loop: Header=BB281_15 Depth=1
	v_mov_b32_e32 v49, 0x8000
	s_mov_b32 s17, exec_lo
	v_cmpx_ne_u16_e32 0x80, v6
	s_cbranch_execz .LBB281_489
; %bb.484:                              ;   in Loop: Header=BB281_15 Depth=1
	v_bfe_u32 v9, v4, 16, 7
	v_mov_b32_e32 v49, 0x7c01
	s_mov_b32 s18, exec_lo
	s_delay_alu instid0(VALU_DEP_2)
	v_cmpx_ne_u32_e32 0x7f, v9
	s_cbranch_execz .LBB281_488
; %bb.485:                              ;   in Loop: Header=BB281_15 Depth=1
	v_dual_lshrrev_b32 v8, 3, v9 :: v_dual_bitop2_b32 v6, 7, v0 bitop3:0x40
	s_mov_b32 s19, exec_lo
	v_cmpx_gt_u32_e32 8, v9
; %bb.486:                              ;   in Loop: Header=BB281_15 Depth=1
	s_delay_alu instid0(VALU_DEP_2) | instskip(NEXT) | instid1(VALU_DEP_1)
	v_clz_i32_u32_e32 v6, v6
	v_min_u32_e32 v6, 32, v6
	s_delay_alu instid0(VALU_DEP_1) | instskip(NEXT) | instid1(VALU_DEP_1)
	v_subrev_nc_u32_e32 v8, 28, v6
	v_lshlrev_b64_e32 v[10:11], v8, v[0:1]
	v_sub_nc_u32_e32 v8, 29, v6
	s_delay_alu instid0(VALU_DEP_2)
	v_and_b32_e32 v6, 7, v10
; %bb.487:                              ;   in Loop: Header=BB281_15 Depth=1
	s_or_b32 exec_lo, exec_lo, s19
	s_delay_alu instid0(VALU_DEP_1) | instskip(NEXT) | instid1(VALU_DEP_3)
	v_dual_lshlrev_b32 v0, 8, v0 :: v_dual_lshlrev_b32 v6, 7, v6
	v_lshl_add_u32 v8, v8, 10, 0x2000
	s_delay_alu instid0(VALU_DEP_2) | instskip(NEXT) | instid1(VALU_DEP_2)
	v_and_b32_e32 v0, 0x8000, v0
	v_and_b32_e32 v8, 0xfc00, v8
	s_delay_alu instid0(VALU_DEP_1)
	v_or3_b32 v49, v0, v8, v6
.LBB281_488:                            ;   in Loop: Header=BB281_15 Depth=1
	s_or_b32 exec_lo, exec_lo, s18
.LBB281_489:                            ;   in Loop: Header=BB281_15 Depth=1
	s_delay_alu instid0(SALU_CYCLE_1)
	s_or_b32 exec_lo, exec_lo, s17
.LBB281_490:                            ;   in Loop: Header=BB281_15 Depth=1
	s_delay_alu instid0(SALU_CYCLE_1)
	s_or_b32 exec_lo, exec_lo, s16
	v_dual_mov_b32 v64, 0 :: v_dual_mov_b32 v77, 0
	s_mov_b32 s16, exec_lo
	v_cmpx_lt_u32_e32 0xffffff, v4
	s_cbranch_execz .LBB281_498
; %bb.491:                              ;   in Loop: Header=BB281_15 Depth=1
	v_lshrrev_b32_e32 v24, 24, v4
	v_bfrev_b32_e32 v77, 1
	s_mov_b32 s17, exec_lo
	s_delay_alu instid0(VALU_DEP_2)
	v_cmpx_ne_u32_e32 0x80, v24
	s_cbranch_execz .LBB281_497
; %bb.492:                              ;   in Loop: Header=BB281_15 Depth=1
	v_and_b32_e32 v8, 0x7f, v24
	v_mov_b32_e32 v77, 0x7c010000
	s_mov_b32 s18, exec_lo
	s_delay_alu instid0(VALU_DEP_2)
	v_cmpx_ne_u32_e32 0x7f, v8
	s_cbranch_execz .LBB281_496
; %bb.493:                              ;   in Loop: Header=BB281_15 Depth=1
	v_and_b32_e32 v0, 7, v24
	v_lshrrev_b32_e32 v6, 3, v8
	s_mov_b32 s19, exec_lo
	v_cmpx_gt_u32_e32 8, v8
; %bb.494:                              ;   in Loop: Header=BB281_15 Depth=1
	s_delay_alu instid0(VALU_DEP_3) | instskip(NEXT) | instid1(VALU_DEP_1)
	v_clz_i32_u32_e32 v0, v0
	v_min_u32_e32 v0, 32, v0
	s_delay_alu instid0(VALU_DEP_1) | instskip(NEXT) | instid1(VALU_DEP_1)
	v_subrev_nc_u32_e32 v6, 28, v0
	v_lshlrev_b64_e32 v[8:9], v6, v[24:25]
	v_sub_nc_u32_e32 v6, 29, v0
	s_delay_alu instid0(VALU_DEP_2)
	v_and_b32_e32 v0, 7, v8
; %bb.495:                              ;   in Loop: Header=BB281_15 Depth=1
	s_or_b32 exec_lo, exec_lo, s19
	v_lshlrev_b32_e32 v8, 8, v24
	s_delay_alu instid0(VALU_DEP_3) | instskip(NEXT) | instid1(VALU_DEP_3)
	v_lshl_add_u32 v6, v6, 10, 0x2000
	v_lshlrev_b32_e32 v0, 23, v0
	s_delay_alu instid0(VALU_DEP_2) | instskip(NEXT) | instid1(VALU_DEP_1)
	v_and_or_b32 v6, 0x8000, v8, v6
	v_lshl_or_b32 v77, v6, 16, v0
.LBB281_496:                            ;   in Loop: Header=BB281_15 Depth=1
	s_or_b32 exec_lo, exec_lo, s18
.LBB281_497:                            ;   in Loop: Header=BB281_15 Depth=1
	s_delay_alu instid0(SALU_CYCLE_1)
	s_or_b32 exec_lo, exec_lo, s17
.LBB281_498:                            ;   in Loop: Header=BB281_15 Depth=1
	s_delay_alu instid0(SALU_CYCLE_1) | instskip(SKIP_3) | instid1(VALU_DEP_2)
	s_or_b32 exec_lo, exec_lo, s16
	v_and_b32_e32 v0, 0xff, v5
	v_mov_b32_e32 v24, v5
	s_mov_b32 s16, exec_lo
	v_cmpx_ne_u16_e32 0, v0
	s_cbranch_execz .LBB281_506
; %bb.499:                              ;   in Loop: Header=BB281_15 Depth=1
	v_mov_b32_e32 v64, 0x8000
	s_mov_b32 s17, exec_lo
	v_cmpx_ne_u16_e32 0x80, v0
	s_cbranch_execz .LBB281_505
; %bb.500:                              ;   in Loop: Header=BB281_15 Depth=1
	v_and_b32_e32 v8, 0x7f, v5
	v_mov_b32_e32 v64, 0x7c01
	s_mov_b32 s18, exec_lo
	s_delay_alu instid0(VALU_DEP_2)
	v_cmpx_ne_u32_e32 0x7f, v8
	s_cbranch_execz .LBB281_504
; %bb.501:                              ;   in Loop: Header=BB281_15 Depth=1
	v_dual_lshrrev_b32 v6, 3, v8 :: v_dual_bitop2_b32 v0, 7, v5 bitop3:0x40
	s_mov_b32 s19, exec_lo
	v_cmpx_gt_u32_e32 8, v8
; %bb.502:                              ;   in Loop: Header=BB281_15 Depth=1
	s_delay_alu instid0(VALU_DEP_2) | instskip(NEXT) | instid1(VALU_DEP_1)
	v_clz_i32_u32_e32 v0, v0
	v_min_u32_e32 v0, 32, v0
	s_delay_alu instid0(VALU_DEP_1) | instskip(NEXT) | instid1(VALU_DEP_1)
	v_subrev_nc_u32_e32 v6, 28, v0
	v_lshlrev_b64_e32 v[8:9], v6, v[24:25]
	v_sub_nc_u32_e32 v6, 29, v0
	s_delay_alu instid0(VALU_DEP_2)
	v_and_b32_e32 v0, 7, v8
; %bb.503:                              ;   in Loop: Header=BB281_15 Depth=1
	s_or_b32 exec_lo, exec_lo, s19
	s_delay_alu instid0(VALU_DEP_1) | instskip(NEXT) | instid1(VALU_DEP_3)
	v_dual_lshlrev_b32 v8, 8, v5 :: v_dual_lshlrev_b32 v0, 7, v0
	v_lshl_add_u32 v6, v6, 10, 0x2000
	s_delay_alu instid0(VALU_DEP_2) | instskip(NEXT) | instid1(VALU_DEP_2)
	v_and_b32_e32 v8, 0x8000, v8
	v_and_b32_e32 v6, 0xfc00, v6
	s_delay_alu instid0(VALU_DEP_1)
	v_or3_b32 v64, v8, v6, v0
.LBB281_504:                            ;   in Loop: Header=BB281_15 Depth=1
	s_or_b32 exec_lo, exec_lo, s18
.LBB281_505:                            ;   in Loop: Header=BB281_15 Depth=1
	s_delay_alu instid0(SALU_CYCLE_1)
	s_or_b32 exec_lo, exec_lo, s17
.LBB281_506:                            ;   in Loop: Header=BB281_15 Depth=1
	s_delay_alu instid0(SALU_CYCLE_1) | instskip(SKIP_3) | instid1(VALU_DEP_2)
	s_or_b32 exec_lo, exec_lo, s16
	v_lshrrev_b16 v24, 8, v24
	v_dual_mov_b32 v98, 0 :: v_dual_mov_b32 v99, 0
	s_mov_b32 s16, exec_lo
	v_cmpx_ne_u16_e32 0, v24
	s_cbranch_execz .LBB281_514
; %bb.507:                              ;   in Loop: Header=BB281_15 Depth=1
	v_bfrev_b32_e32 v99, 1
	s_mov_b32 s17, exec_lo
	v_cmpx_ne_u16_e32 0x80, v24
	s_cbranch_execz .LBB281_513
; %bb.508:                              ;   in Loop: Header=BB281_15 Depth=1
	v_and_b32_e32 v0, 0xffff, v24
	v_mov_b32_e32 v99, 0x7c010000
	s_mov_b32 s18, exec_lo
	s_delay_alu instid0(VALU_DEP_2) | instskip(NEXT) | instid1(VALU_DEP_1)
	v_and_b32_e32 v9, 0x7f, v0
	v_cmpx_ne_u32_e32 0x7f, v9
	s_cbranch_execz .LBB281_512
; %bb.509:                              ;   in Loop: Header=BB281_15 Depth=1
	v_dual_lshrrev_b32 v8, 3, v9 :: v_dual_bitop2_b32 v6, 7, v0 bitop3:0x40
	s_mov_b32 s19, exec_lo
	v_cmpx_gt_u32_e32 8, v9
; %bb.510:                              ;   in Loop: Header=BB281_15 Depth=1
	s_delay_alu instid0(VALU_DEP_2) | instskip(NEXT) | instid1(VALU_DEP_1)
	v_clz_i32_u32_e32 v6, v6
	v_min_u32_e32 v6, 32, v6
	s_delay_alu instid0(VALU_DEP_1) | instskip(NEXT) | instid1(VALU_DEP_1)
	v_subrev_nc_u32_e32 v8, 28, v6
	v_lshlrev_b64_e32 v[10:11], v8, v[24:25]
	v_sub_nc_u32_e32 v8, 29, v6
	s_delay_alu instid0(VALU_DEP_2)
	v_and_b32_e32 v6, 7, v10
; %bb.511:                              ;   in Loop: Header=BB281_15 Depth=1
	s_or_b32 exec_lo, exec_lo, s19
	s_delay_alu instid0(VALU_DEP_1) | instskip(NEXT) | instid1(VALU_DEP_3)
	v_dual_lshlrev_b32 v0, 8, v0 :: v_dual_lshlrev_b32 v6, 23, v6
	v_lshl_add_u32 v8, v8, 10, 0x2000
	s_delay_alu instid0(VALU_DEP_1) | instskip(NEXT) | instid1(VALU_DEP_1)
	v_and_or_b32 v0, 0x8000, v0, v8
	v_lshl_or_b32 v99, v0, 16, v6
.LBB281_512:                            ;   in Loop: Header=BB281_15 Depth=1
	s_or_b32 exec_lo, exec_lo, s18
.LBB281_513:                            ;   in Loop: Header=BB281_15 Depth=1
	s_delay_alu instid0(SALU_CYCLE_1)
	s_or_b32 exec_lo, exec_lo, s17
.LBB281_514:                            ;   in Loop: Header=BB281_15 Depth=1
	s_delay_alu instid0(SALU_CYCLE_1) | instskip(SKIP_2) | instid1(VALU_DEP_1)
	s_or_b32 exec_lo, exec_lo, s16
	v_lshrrev_b32_e32 v0, 16, v5
	s_mov_b32 s16, exec_lo
	v_and_b32_e32 v6, 0xff, v0
	s_delay_alu instid0(VALU_DEP_1)
	v_cmpx_ne_u16_e32 0, v6
	s_cbranch_execz .LBB281_522
; %bb.515:                              ;   in Loop: Header=BB281_15 Depth=1
	v_mov_b32_e32 v98, 0x8000
	s_mov_b32 s17, exec_lo
	v_cmpx_ne_u16_e32 0x80, v6
	s_cbranch_execz .LBB281_521
; %bb.516:                              ;   in Loop: Header=BB281_15 Depth=1
	v_bfe_u32 v9, v5, 16, 7
	v_mov_b32_e32 v98, 0x7c01
	s_mov_b32 s18, exec_lo
	s_delay_alu instid0(VALU_DEP_2)
	v_cmpx_ne_u32_e32 0x7f, v9
	s_cbranch_execz .LBB281_520
; %bb.517:                              ;   in Loop: Header=BB281_15 Depth=1
	v_dual_lshrrev_b32 v8, 3, v9 :: v_dual_bitop2_b32 v6, 7, v0 bitop3:0x40
	s_mov_b32 s19, exec_lo
	v_cmpx_gt_u32_e32 8, v9
; %bb.518:                              ;   in Loop: Header=BB281_15 Depth=1
	s_delay_alu instid0(VALU_DEP_2) | instskip(NEXT) | instid1(VALU_DEP_1)
	v_clz_i32_u32_e32 v6, v6
	v_min_u32_e32 v6, 32, v6
	s_delay_alu instid0(VALU_DEP_1) | instskip(NEXT) | instid1(VALU_DEP_1)
	v_subrev_nc_u32_e32 v8, 28, v6
	v_lshlrev_b64_e32 v[10:11], v8, v[0:1]
	v_sub_nc_u32_e32 v8, 29, v6
	s_delay_alu instid0(VALU_DEP_2)
	v_and_b32_e32 v6, 7, v10
; %bb.519:                              ;   in Loop: Header=BB281_15 Depth=1
	s_or_b32 exec_lo, exec_lo, s19
	s_delay_alu instid0(VALU_DEP_1) | instskip(NEXT) | instid1(VALU_DEP_3)
	v_dual_lshlrev_b32 v0, 8, v0 :: v_dual_lshlrev_b32 v6, 7, v6
	v_lshl_add_u32 v8, v8, 10, 0x2000
	s_delay_alu instid0(VALU_DEP_2) | instskip(NEXT) | instid1(VALU_DEP_2)
	v_and_b32_e32 v0, 0x8000, v0
	v_and_b32_e32 v8, 0xfc00, v8
	s_delay_alu instid0(VALU_DEP_1)
	v_or3_b32 v98, v0, v8, v6
.LBB281_520:                            ;   in Loop: Header=BB281_15 Depth=1
	s_or_b32 exec_lo, exec_lo, s18
.LBB281_521:                            ;   in Loop: Header=BB281_15 Depth=1
	s_delay_alu instid0(SALU_CYCLE_1)
	s_or_b32 exec_lo, exec_lo, s17
.LBB281_522:                            ;   in Loop: Header=BB281_15 Depth=1
	s_delay_alu instid0(SALU_CYCLE_1)
	s_or_b32 exec_lo, exec_lo, s16
	v_dual_mov_b32 v35, 0 :: v_dual_mov_b32 v89, 0
	s_mov_b32 s16, exec_lo
	v_cmpx_lt_u64_e64 s[8:9], v[4:5]
	s_cbranch_execz .LBB281_530
; %bb.523:                              ;   in Loop: Header=BB281_15 Depth=1
	v_lshrrev_b32_e32 v24, 24, v5
	v_bfrev_b32_e32 v89, 1
	s_mov_b32 s17, exec_lo
	s_delay_alu instid0(VALU_DEP_2)
	v_cmpx_ne_u32_e32 0x80, v24
	s_cbranch_execz .LBB281_529
; %bb.524:                              ;   in Loop: Header=BB281_15 Depth=1
	v_and_b32_e32 v5, 0x7f, v24
	v_mov_b32_e32 v89, 0x7c010000
	s_mov_b32 s18, exec_lo
	s_delay_alu instid0(VALU_DEP_2)
	v_cmpx_ne_u32_e32 0x7f, v5
	s_cbranch_execz .LBB281_528
; %bb.525:                              ;   in Loop: Header=BB281_15 Depth=1
	v_dual_lshrrev_b32 v4, 3, v5 :: v_dual_bitop2_b32 v0, 7, v24 bitop3:0x40
	s_mov_b32 s19, exec_lo
	v_cmpx_gt_u32_e32 8, v5
; %bb.526:                              ;   in Loop: Header=BB281_15 Depth=1
	s_delay_alu instid0(VALU_DEP_2) | instskip(NEXT) | instid1(VALU_DEP_1)
	v_clz_i32_u32_e32 v0, v0
	v_min_u32_e32 v0, 32, v0
	s_delay_alu instid0(VALU_DEP_1) | instskip(NEXT) | instid1(VALU_DEP_1)
	v_subrev_nc_u32_e32 v4, 28, v0
	v_lshlrev_b64_e32 v[8:9], v4, v[24:25]
	v_sub_nc_u32_e32 v4, 29, v0
	s_delay_alu instid0(VALU_DEP_2)
	v_and_b32_e32 v0, 7, v8
; %bb.527:                              ;   in Loop: Header=BB281_15 Depth=1
	s_or_b32 exec_lo, exec_lo, s19
	v_lshlrev_b32_e32 v5, 8, v24
	s_delay_alu instid0(VALU_DEP_3) | instskip(NEXT) | instid1(VALU_DEP_3)
	v_lshl_add_u32 v4, v4, 10, 0x2000
	v_lshlrev_b32_e32 v0, 23, v0
	s_delay_alu instid0(VALU_DEP_2) | instskip(NEXT) | instid1(VALU_DEP_1)
	v_and_or_b32 v4, 0x8000, v5, v4
	v_lshl_or_b32 v89, v4, 16, v0
.LBB281_528:                            ;   in Loop: Header=BB281_15 Depth=1
	s_or_b32 exec_lo, exec_lo, s18
.LBB281_529:                            ;   in Loop: Header=BB281_15 Depth=1
	s_delay_alu instid0(SALU_CYCLE_1)
	s_or_b32 exec_lo, exec_lo, s17
.LBB281_530:                            ;   in Loop: Header=BB281_15 Depth=1
	s_delay_alu instid0(SALU_CYCLE_1)
	s_or_b32 exec_lo, exec_lo, s16
	flat_load_b64 v[4:5], v[2:3] offset:2048
	s_mov_b32 s16, exec_lo
	s_wait_loadcnt_dscnt 0x0
	v_and_b32_e32 v0, 0xff, v4
	s_wait_xcnt 0x0
	s_delay_alu instid0(VALU_DEP_1)
	v_cmpx_ne_u16_e32 0, v0
	s_cbranch_execz .LBB281_538
; %bb.531:                              ;   in Loop: Header=BB281_15 Depth=1
	v_mov_b32_e32 v35, 0x8000
	s_mov_b32 s17, exec_lo
	v_cmpx_ne_u16_e32 0x80, v0
	s_cbranch_execz .LBB281_537
; %bb.532:                              ;   in Loop: Header=BB281_15 Depth=1
	v_and_b32_e32 v8, 0x7f, v4
	v_mov_b32_e32 v35, 0x7c01
	s_mov_b32 s18, exec_lo
	s_delay_alu instid0(VALU_DEP_2)
	v_cmpx_ne_u32_e32 0x7f, v8
	s_cbranch_execz .LBB281_536
; %bb.533:                              ;   in Loop: Header=BB281_15 Depth=1
	v_and_b32_e32 v0, 7, v4
	v_lshrrev_b32_e32 v6, 3, v8
	s_mov_b32 s19, exec_lo
	v_cmpx_gt_u32_e32 8, v8
; %bb.534:                              ;   in Loop: Header=BB281_15 Depth=1
	s_delay_alu instid0(VALU_DEP_3) | instskip(NEXT) | instid1(VALU_DEP_1)
	v_clz_i32_u32_e32 v0, v0
	v_min_u32_e32 v0, 32, v0
	s_delay_alu instid0(VALU_DEP_1) | instskip(NEXT) | instid1(VALU_DEP_1)
	v_subrev_nc_u32_e32 v6, 28, v0
	v_lshlrev_b64_e32 v[8:9], v6, v[4:5]
	v_sub_nc_u32_e32 v6, 29, v0
	s_delay_alu instid0(VALU_DEP_2)
	v_and_b32_e32 v0, 7, v8
; %bb.535:                              ;   in Loop: Header=BB281_15 Depth=1
	s_or_b32 exec_lo, exec_lo, s19
	v_lshlrev_b32_e32 v8, 8, v4
	s_delay_alu instid0(VALU_DEP_3) | instskip(NEXT) | instid1(VALU_DEP_3)
	v_lshl_add_u32 v6, v6, 10, 0x2000
	v_lshlrev_b32_e32 v0, 7, v0
	s_delay_alu instid0(VALU_DEP_3) | instskip(NEXT) | instid1(VALU_DEP_3)
	v_and_b32_e32 v8, 0x8000, v8
	v_and_b32_e32 v6, 0xfc00, v6
	s_delay_alu instid0(VALU_DEP_1)
	v_or3_b32 v35, v8, v6, v0
.LBB281_536:                            ;   in Loop: Header=BB281_15 Depth=1
	s_or_b32 exec_lo, exec_lo, s18
.LBB281_537:                            ;   in Loop: Header=BB281_15 Depth=1
	s_delay_alu instid0(SALU_CYCLE_1)
	s_or_b32 exec_lo, exec_lo, s17
.LBB281_538:                            ;   in Loop: Header=BB281_15 Depth=1
	s_delay_alu instid0(SALU_CYCLE_1) | instskip(SKIP_3) | instid1(VALU_DEP_2)
	s_or_b32 exec_lo, exec_lo, s16
	v_lshrrev_b16 v24, 8, v4
	v_dual_mov_b32 v28, 0 :: v_dual_mov_b32 v41, 0
	s_mov_b32 s16, exec_lo
	v_cmpx_ne_u16_e32 0, v24
	s_cbranch_execz .LBB281_546
; %bb.539:                              ;   in Loop: Header=BB281_15 Depth=1
	v_bfrev_b32_e32 v41, 1
	s_mov_b32 s17, exec_lo
	v_cmpx_ne_u16_e32 0x80, v24
	s_cbranch_execz .LBB281_545
; %bb.540:                              ;   in Loop: Header=BB281_15 Depth=1
	v_and_b32_e32 v0, 0xffff, v24
	v_mov_b32_e32 v41, 0x7c010000
	s_mov_b32 s18, exec_lo
	s_delay_alu instid0(VALU_DEP_2) | instskip(NEXT) | instid1(VALU_DEP_1)
	v_and_b32_e32 v9, 0x7f, v0
	v_cmpx_ne_u32_e32 0x7f, v9
	s_cbranch_execz .LBB281_544
; %bb.541:                              ;   in Loop: Header=BB281_15 Depth=1
	v_dual_lshrrev_b32 v8, 3, v9 :: v_dual_bitop2_b32 v6, 7, v0 bitop3:0x40
	s_mov_b32 s19, exec_lo
	v_cmpx_gt_u32_e32 8, v9
; %bb.542:                              ;   in Loop: Header=BB281_15 Depth=1
	s_delay_alu instid0(VALU_DEP_2) | instskip(NEXT) | instid1(VALU_DEP_1)
	v_clz_i32_u32_e32 v6, v6
	v_min_u32_e32 v6, 32, v6
	s_delay_alu instid0(VALU_DEP_1) | instskip(NEXT) | instid1(VALU_DEP_1)
	v_subrev_nc_u32_e32 v8, 28, v6
	v_lshlrev_b64_e32 v[10:11], v8, v[24:25]
	v_sub_nc_u32_e32 v8, 29, v6
	s_delay_alu instid0(VALU_DEP_2)
	v_and_b32_e32 v6, 7, v10
; %bb.543:                              ;   in Loop: Header=BB281_15 Depth=1
	s_or_b32 exec_lo, exec_lo, s19
	s_delay_alu instid0(VALU_DEP_1) | instskip(NEXT) | instid1(VALU_DEP_3)
	v_dual_lshlrev_b32 v0, 8, v0 :: v_dual_lshlrev_b32 v6, 23, v6
	v_lshl_add_u32 v8, v8, 10, 0x2000
	s_delay_alu instid0(VALU_DEP_1) | instskip(NEXT) | instid1(VALU_DEP_1)
	v_and_or_b32 v0, 0x8000, v0, v8
	v_lshl_or_b32 v41, v0, 16, v6
.LBB281_544:                            ;   in Loop: Header=BB281_15 Depth=1
	s_or_b32 exec_lo, exec_lo, s18
.LBB281_545:                            ;   in Loop: Header=BB281_15 Depth=1
	s_delay_alu instid0(SALU_CYCLE_1)
	s_or_b32 exec_lo, exec_lo, s17
.LBB281_546:                            ;   in Loop: Header=BB281_15 Depth=1
	s_delay_alu instid0(SALU_CYCLE_1) | instskip(SKIP_2) | instid1(VALU_DEP_1)
	s_or_b32 exec_lo, exec_lo, s16
	v_lshrrev_b32_e32 v0, 16, v4
	s_mov_b32 s16, exec_lo
	v_and_b32_e32 v6, 0xff, v0
	s_delay_alu instid0(VALU_DEP_1)
	v_cmpx_ne_u16_e32 0, v6
	s_cbranch_execz .LBB281_554
; %bb.547:                              ;   in Loop: Header=BB281_15 Depth=1
	v_mov_b32_e32 v28, 0x8000
	s_mov_b32 s17, exec_lo
	v_cmpx_ne_u16_e32 0x80, v6
	s_cbranch_execz .LBB281_553
; %bb.548:                              ;   in Loop: Header=BB281_15 Depth=1
	v_bfe_u32 v9, v4, 16, 7
	v_mov_b32_e32 v28, 0x7c01
	s_mov_b32 s18, exec_lo
	s_delay_alu instid0(VALU_DEP_2)
	v_cmpx_ne_u32_e32 0x7f, v9
	s_cbranch_execz .LBB281_552
; %bb.549:                              ;   in Loop: Header=BB281_15 Depth=1
	v_dual_lshrrev_b32 v8, 3, v9 :: v_dual_bitop2_b32 v6, 7, v0 bitop3:0x40
	s_mov_b32 s19, exec_lo
	v_cmpx_gt_u32_e32 8, v9
; %bb.550:                              ;   in Loop: Header=BB281_15 Depth=1
	s_delay_alu instid0(VALU_DEP_2) | instskip(NEXT) | instid1(VALU_DEP_1)
	v_clz_i32_u32_e32 v6, v6
	v_min_u32_e32 v6, 32, v6
	s_delay_alu instid0(VALU_DEP_1) | instskip(NEXT) | instid1(VALU_DEP_1)
	v_subrev_nc_u32_e32 v8, 28, v6
	v_lshlrev_b64_e32 v[10:11], v8, v[0:1]
	v_sub_nc_u32_e32 v8, 29, v6
	s_delay_alu instid0(VALU_DEP_2)
	v_and_b32_e32 v6, 7, v10
; %bb.551:                              ;   in Loop: Header=BB281_15 Depth=1
	s_or_b32 exec_lo, exec_lo, s19
	s_delay_alu instid0(VALU_DEP_1) | instskip(NEXT) | instid1(VALU_DEP_3)
	v_dual_lshlrev_b32 v0, 8, v0 :: v_dual_lshlrev_b32 v6, 7, v6
	v_lshl_add_u32 v8, v8, 10, 0x2000
	s_delay_alu instid0(VALU_DEP_2) | instskip(NEXT) | instid1(VALU_DEP_2)
	v_and_b32_e32 v0, 0x8000, v0
	v_and_b32_e32 v8, 0xfc00, v8
	s_delay_alu instid0(VALU_DEP_1)
	v_or3_b32 v28, v0, v8, v6
.LBB281_552:                            ;   in Loop: Header=BB281_15 Depth=1
	s_or_b32 exec_lo, exec_lo, s18
.LBB281_553:                            ;   in Loop: Header=BB281_15 Depth=1
	s_delay_alu instid0(SALU_CYCLE_1)
	s_or_b32 exec_lo, exec_lo, s17
.LBB281_554:                            ;   in Loop: Header=BB281_15 Depth=1
	s_delay_alu instid0(SALU_CYCLE_1)
	s_or_b32 exec_lo, exec_lo, s16
	v_dual_mov_b32 v29, 0 :: v_dual_mov_b32 v75, 0
	s_mov_b32 s16, exec_lo
	v_cmpx_lt_u32_e32 0xffffff, v4
	s_cbranch_execz .LBB281_562
; %bb.555:                              ;   in Loop: Header=BB281_15 Depth=1
	v_lshrrev_b32_e32 v24, 24, v4
	v_bfrev_b32_e32 v75, 1
	s_mov_b32 s17, exec_lo
	s_delay_alu instid0(VALU_DEP_2)
	v_cmpx_ne_u32_e32 0x80, v24
	s_cbranch_execz .LBB281_561
; %bb.556:                              ;   in Loop: Header=BB281_15 Depth=1
	v_and_b32_e32 v8, 0x7f, v24
	v_mov_b32_e32 v75, 0x7c010000
	s_mov_b32 s18, exec_lo
	s_delay_alu instid0(VALU_DEP_2)
	v_cmpx_ne_u32_e32 0x7f, v8
	s_cbranch_execz .LBB281_560
; %bb.557:                              ;   in Loop: Header=BB281_15 Depth=1
	v_and_b32_e32 v0, 7, v24
	v_lshrrev_b32_e32 v6, 3, v8
	s_mov_b32 s19, exec_lo
	v_cmpx_gt_u32_e32 8, v8
; %bb.558:                              ;   in Loop: Header=BB281_15 Depth=1
	s_delay_alu instid0(VALU_DEP_3) | instskip(NEXT) | instid1(VALU_DEP_1)
	v_clz_i32_u32_e32 v0, v0
	v_min_u32_e32 v0, 32, v0
	s_delay_alu instid0(VALU_DEP_1) | instskip(NEXT) | instid1(VALU_DEP_1)
	v_subrev_nc_u32_e32 v6, 28, v0
	v_lshlrev_b64_e32 v[8:9], v6, v[24:25]
	v_sub_nc_u32_e32 v6, 29, v0
	s_delay_alu instid0(VALU_DEP_2)
	v_and_b32_e32 v0, 7, v8
; %bb.559:                              ;   in Loop: Header=BB281_15 Depth=1
	s_or_b32 exec_lo, exec_lo, s19
	v_lshlrev_b32_e32 v8, 8, v24
	s_delay_alu instid0(VALU_DEP_3) | instskip(NEXT) | instid1(VALU_DEP_3)
	v_lshl_add_u32 v6, v6, 10, 0x2000
	v_lshlrev_b32_e32 v0, 23, v0
	s_delay_alu instid0(VALU_DEP_2) | instskip(NEXT) | instid1(VALU_DEP_1)
	v_and_or_b32 v6, 0x8000, v8, v6
	v_lshl_or_b32 v75, v6, 16, v0
.LBB281_560:                            ;   in Loop: Header=BB281_15 Depth=1
	s_or_b32 exec_lo, exec_lo, s18
.LBB281_561:                            ;   in Loop: Header=BB281_15 Depth=1
	s_delay_alu instid0(SALU_CYCLE_1)
	s_or_b32 exec_lo, exec_lo, s17
.LBB281_562:                            ;   in Loop: Header=BB281_15 Depth=1
	s_delay_alu instid0(SALU_CYCLE_1) | instskip(SKIP_3) | instid1(VALU_DEP_2)
	s_or_b32 exec_lo, exec_lo, s16
	v_and_b32_e32 v0, 0xff, v5
	v_mov_b32_e32 v24, v5
	s_mov_b32 s16, exec_lo
	v_cmpx_ne_u16_e32 0, v0
	s_cbranch_execz .LBB281_570
; %bb.563:                              ;   in Loop: Header=BB281_15 Depth=1
	v_mov_b32_e32 v29, 0x8000
	s_mov_b32 s17, exec_lo
	v_cmpx_ne_u16_e32 0x80, v0
	s_cbranch_execz .LBB281_569
; %bb.564:                              ;   in Loop: Header=BB281_15 Depth=1
	v_and_b32_e32 v8, 0x7f, v5
	v_mov_b32_e32 v29, 0x7c01
	s_mov_b32 s18, exec_lo
	s_delay_alu instid0(VALU_DEP_2)
	v_cmpx_ne_u32_e32 0x7f, v8
	s_cbranch_execz .LBB281_568
; %bb.565:                              ;   in Loop: Header=BB281_15 Depth=1
	v_dual_lshrrev_b32 v6, 3, v8 :: v_dual_bitop2_b32 v0, 7, v5 bitop3:0x40
	s_mov_b32 s19, exec_lo
	v_cmpx_gt_u32_e32 8, v8
; %bb.566:                              ;   in Loop: Header=BB281_15 Depth=1
	s_delay_alu instid0(VALU_DEP_2) | instskip(NEXT) | instid1(VALU_DEP_1)
	v_clz_i32_u32_e32 v0, v0
	v_min_u32_e32 v0, 32, v0
	s_delay_alu instid0(VALU_DEP_1) | instskip(NEXT) | instid1(VALU_DEP_1)
	v_subrev_nc_u32_e32 v6, 28, v0
	v_lshlrev_b64_e32 v[8:9], v6, v[24:25]
	v_sub_nc_u32_e32 v6, 29, v0
	s_delay_alu instid0(VALU_DEP_2)
	v_and_b32_e32 v0, 7, v8
; %bb.567:                              ;   in Loop: Header=BB281_15 Depth=1
	s_or_b32 exec_lo, exec_lo, s19
	s_delay_alu instid0(VALU_DEP_1) | instskip(NEXT) | instid1(VALU_DEP_3)
	v_dual_lshlrev_b32 v8, 8, v5 :: v_dual_lshlrev_b32 v0, 7, v0
	v_lshl_add_u32 v6, v6, 10, 0x2000
	s_delay_alu instid0(VALU_DEP_2) | instskip(NEXT) | instid1(VALU_DEP_2)
	v_and_b32_e32 v8, 0x8000, v8
	v_and_b32_e32 v6, 0xfc00, v6
	s_delay_alu instid0(VALU_DEP_1)
	v_or3_b32 v29, v8, v6, v0
.LBB281_568:                            ;   in Loop: Header=BB281_15 Depth=1
	s_or_b32 exec_lo, exec_lo, s18
.LBB281_569:                            ;   in Loop: Header=BB281_15 Depth=1
	s_delay_alu instid0(SALU_CYCLE_1)
	s_or_b32 exec_lo, exec_lo, s17
.LBB281_570:                            ;   in Loop: Header=BB281_15 Depth=1
	s_delay_alu instid0(SALU_CYCLE_1) | instskip(SKIP_3) | instid1(VALU_DEP_2)
	s_or_b32 exec_lo, exec_lo, s16
	v_lshrrev_b16 v24, 8, v24
	v_dual_mov_b32 v111, 0 :: v_dual_mov_b32 v40, 0
	s_mov_b32 s16, exec_lo
	v_cmpx_ne_u16_e32 0, v24
	s_cbranch_execz .LBB281_578
; %bb.571:                              ;   in Loop: Header=BB281_15 Depth=1
	v_bfrev_b32_e32 v40, 1
	s_mov_b32 s17, exec_lo
	v_cmpx_ne_u16_e32 0x80, v24
	s_cbranch_execz .LBB281_577
; %bb.572:                              ;   in Loop: Header=BB281_15 Depth=1
	v_and_b32_e32 v0, 0xffff, v24
	v_mov_b32_e32 v40, 0x7c010000
	s_mov_b32 s18, exec_lo
	s_delay_alu instid0(VALU_DEP_2) | instskip(NEXT) | instid1(VALU_DEP_1)
	v_and_b32_e32 v9, 0x7f, v0
	v_cmpx_ne_u32_e32 0x7f, v9
	s_cbranch_execz .LBB281_576
; %bb.573:                              ;   in Loop: Header=BB281_15 Depth=1
	v_dual_lshrrev_b32 v8, 3, v9 :: v_dual_bitop2_b32 v6, 7, v0 bitop3:0x40
	s_mov_b32 s19, exec_lo
	v_cmpx_gt_u32_e32 8, v9
; %bb.574:                              ;   in Loop: Header=BB281_15 Depth=1
	s_delay_alu instid0(VALU_DEP_2) | instskip(NEXT) | instid1(VALU_DEP_1)
	v_clz_i32_u32_e32 v6, v6
	v_min_u32_e32 v6, 32, v6
	s_delay_alu instid0(VALU_DEP_1) | instskip(NEXT) | instid1(VALU_DEP_1)
	v_subrev_nc_u32_e32 v8, 28, v6
	v_lshlrev_b64_e32 v[10:11], v8, v[24:25]
	v_sub_nc_u32_e32 v8, 29, v6
	s_delay_alu instid0(VALU_DEP_2)
	v_and_b32_e32 v6, 7, v10
; %bb.575:                              ;   in Loop: Header=BB281_15 Depth=1
	s_or_b32 exec_lo, exec_lo, s19
	s_delay_alu instid0(VALU_DEP_1) | instskip(NEXT) | instid1(VALU_DEP_3)
	v_dual_lshlrev_b32 v0, 8, v0 :: v_dual_lshlrev_b32 v6, 23, v6
	v_lshl_add_u32 v8, v8, 10, 0x2000
	s_delay_alu instid0(VALU_DEP_1) | instskip(NEXT) | instid1(VALU_DEP_1)
	v_and_or_b32 v0, 0x8000, v0, v8
	v_lshl_or_b32 v40, v0, 16, v6
.LBB281_576:                            ;   in Loop: Header=BB281_15 Depth=1
	s_or_b32 exec_lo, exec_lo, s18
.LBB281_577:                            ;   in Loop: Header=BB281_15 Depth=1
	s_delay_alu instid0(SALU_CYCLE_1)
	s_or_b32 exec_lo, exec_lo, s17
.LBB281_578:                            ;   in Loop: Header=BB281_15 Depth=1
	s_delay_alu instid0(SALU_CYCLE_1) | instskip(SKIP_2) | instid1(VALU_DEP_1)
	s_or_b32 exec_lo, exec_lo, s16
	v_lshrrev_b32_e32 v0, 16, v5
	s_mov_b32 s16, exec_lo
	v_and_b32_e32 v6, 0xff, v0
	s_delay_alu instid0(VALU_DEP_1)
	v_cmpx_ne_u16_e32 0, v6
	s_cbranch_execz .LBB281_586
; %bb.579:                              ;   in Loop: Header=BB281_15 Depth=1
	v_mov_b32_e32 v111, 0x8000
	s_mov_b32 s17, exec_lo
	v_cmpx_ne_u16_e32 0x80, v6
	s_cbranch_execz .LBB281_585
; %bb.580:                              ;   in Loop: Header=BB281_15 Depth=1
	v_bfe_u32 v9, v5, 16, 7
	v_mov_b32_e32 v111, 0x7c01
	s_mov_b32 s18, exec_lo
	s_delay_alu instid0(VALU_DEP_2)
	v_cmpx_ne_u32_e32 0x7f, v9
	s_cbranch_execz .LBB281_584
; %bb.581:                              ;   in Loop: Header=BB281_15 Depth=1
	v_dual_lshrrev_b32 v8, 3, v9 :: v_dual_bitop2_b32 v6, 7, v0 bitop3:0x40
	s_mov_b32 s19, exec_lo
	v_cmpx_gt_u32_e32 8, v9
; %bb.582:                              ;   in Loop: Header=BB281_15 Depth=1
	s_delay_alu instid0(VALU_DEP_2) | instskip(NEXT) | instid1(VALU_DEP_1)
	v_clz_i32_u32_e32 v6, v6
	v_min_u32_e32 v6, 32, v6
	s_delay_alu instid0(VALU_DEP_1) | instskip(NEXT) | instid1(VALU_DEP_1)
	v_subrev_nc_u32_e32 v8, 28, v6
	v_lshlrev_b64_e32 v[10:11], v8, v[0:1]
	v_sub_nc_u32_e32 v8, 29, v6
	s_delay_alu instid0(VALU_DEP_2)
	v_and_b32_e32 v6, 7, v10
; %bb.583:                              ;   in Loop: Header=BB281_15 Depth=1
	s_or_b32 exec_lo, exec_lo, s19
	s_delay_alu instid0(VALU_DEP_1) | instskip(NEXT) | instid1(VALU_DEP_3)
	v_dual_lshlrev_b32 v0, 8, v0 :: v_dual_lshlrev_b32 v6, 7, v6
	v_lshl_add_u32 v8, v8, 10, 0x2000
	s_delay_alu instid0(VALU_DEP_2) | instskip(NEXT) | instid1(VALU_DEP_2)
	v_and_b32_e32 v0, 0x8000, v0
	v_and_b32_e32 v8, 0xfc00, v8
	s_delay_alu instid0(VALU_DEP_1)
	v_or3_b32 v111, v0, v8, v6
.LBB281_584:                            ;   in Loop: Header=BB281_15 Depth=1
	s_or_b32 exec_lo, exec_lo, s18
.LBB281_585:                            ;   in Loop: Header=BB281_15 Depth=1
	s_delay_alu instid0(SALU_CYCLE_1)
	s_or_b32 exec_lo, exec_lo, s17
.LBB281_586:                            ;   in Loop: Header=BB281_15 Depth=1
	s_delay_alu instid0(SALU_CYCLE_1)
	s_or_b32 exec_lo, exec_lo, s16
	v_dual_mov_b32 v37, 0 :: v_dual_mov_b32 v58, 0
	s_mov_b32 s16, exec_lo
	v_cmpx_lt_u64_e64 s[8:9], v[4:5]
	s_cbranch_execz .LBB281_594
; %bb.587:                              ;   in Loop: Header=BB281_15 Depth=1
	v_lshrrev_b32_e32 v24, 24, v5
	v_bfrev_b32_e32 v58, 1
	s_mov_b32 s17, exec_lo
	s_delay_alu instid0(VALU_DEP_2)
	v_cmpx_ne_u32_e32 0x80, v24
	s_cbranch_execz .LBB281_593
; %bb.588:                              ;   in Loop: Header=BB281_15 Depth=1
	v_and_b32_e32 v5, 0x7f, v24
	v_mov_b32_e32 v58, 0x7c010000
	s_mov_b32 s18, exec_lo
	s_delay_alu instid0(VALU_DEP_2)
	v_cmpx_ne_u32_e32 0x7f, v5
	s_cbranch_execz .LBB281_592
; %bb.589:                              ;   in Loop: Header=BB281_15 Depth=1
	v_dual_lshrrev_b32 v4, 3, v5 :: v_dual_bitop2_b32 v0, 7, v24 bitop3:0x40
	s_mov_b32 s19, exec_lo
	v_cmpx_gt_u32_e32 8, v5
; %bb.590:                              ;   in Loop: Header=BB281_15 Depth=1
	s_delay_alu instid0(VALU_DEP_2) | instskip(NEXT) | instid1(VALU_DEP_1)
	v_clz_i32_u32_e32 v0, v0
	v_min_u32_e32 v0, 32, v0
	s_delay_alu instid0(VALU_DEP_1) | instskip(NEXT) | instid1(VALU_DEP_1)
	v_subrev_nc_u32_e32 v4, 28, v0
	v_lshlrev_b64_e32 v[8:9], v4, v[24:25]
	v_sub_nc_u32_e32 v4, 29, v0
	s_delay_alu instid0(VALU_DEP_2)
	v_and_b32_e32 v0, 7, v8
; %bb.591:                              ;   in Loop: Header=BB281_15 Depth=1
	s_or_b32 exec_lo, exec_lo, s19
	v_lshlrev_b32_e32 v5, 8, v24
	s_delay_alu instid0(VALU_DEP_3) | instskip(NEXT) | instid1(VALU_DEP_3)
	v_lshl_add_u32 v4, v4, 10, 0x2000
	v_lshlrev_b32_e32 v0, 23, v0
	s_delay_alu instid0(VALU_DEP_2) | instskip(NEXT) | instid1(VALU_DEP_1)
	v_and_or_b32 v4, 0x8000, v5, v4
	v_lshl_or_b32 v58, v4, 16, v0
.LBB281_592:                            ;   in Loop: Header=BB281_15 Depth=1
	s_or_b32 exec_lo, exec_lo, s18
.LBB281_593:                            ;   in Loop: Header=BB281_15 Depth=1
	s_delay_alu instid0(SALU_CYCLE_1)
	s_or_b32 exec_lo, exec_lo, s17
.LBB281_594:                            ;   in Loop: Header=BB281_15 Depth=1
	s_delay_alu instid0(SALU_CYCLE_1)
	s_or_b32 exec_lo, exec_lo, s16
	flat_load_b64 v[4:5], v[2:3] offset:2056
	s_mov_b32 s16, exec_lo
	s_wait_loadcnt_dscnt 0x0
	v_and_b32_e32 v0, 0xff, v4
	s_wait_xcnt 0x0
	s_delay_alu instid0(VALU_DEP_1)
	v_cmpx_ne_u16_e32 0, v0
	s_cbranch_execz .LBB281_602
; %bb.595:                              ;   in Loop: Header=BB281_15 Depth=1
	v_mov_b32_e32 v37, 0x8000
	s_mov_b32 s17, exec_lo
	v_cmpx_ne_u16_e32 0x80, v0
	s_cbranch_execz .LBB281_601
; %bb.596:                              ;   in Loop: Header=BB281_15 Depth=1
	v_and_b32_e32 v8, 0x7f, v4
	v_mov_b32_e32 v37, 0x7c01
	s_mov_b32 s18, exec_lo
	s_delay_alu instid0(VALU_DEP_2)
	v_cmpx_ne_u32_e32 0x7f, v8
	s_cbranch_execz .LBB281_600
; %bb.597:                              ;   in Loop: Header=BB281_15 Depth=1
	v_and_b32_e32 v0, 7, v4
	v_lshrrev_b32_e32 v6, 3, v8
	s_mov_b32 s19, exec_lo
	v_cmpx_gt_u32_e32 8, v8
; %bb.598:                              ;   in Loop: Header=BB281_15 Depth=1
	s_delay_alu instid0(VALU_DEP_3) | instskip(NEXT) | instid1(VALU_DEP_1)
	v_clz_i32_u32_e32 v0, v0
	v_min_u32_e32 v0, 32, v0
	s_delay_alu instid0(VALU_DEP_1) | instskip(NEXT) | instid1(VALU_DEP_1)
	v_subrev_nc_u32_e32 v6, 28, v0
	v_lshlrev_b64_e32 v[8:9], v6, v[4:5]
	v_sub_nc_u32_e32 v6, 29, v0
	s_delay_alu instid0(VALU_DEP_2)
	v_and_b32_e32 v0, 7, v8
; %bb.599:                              ;   in Loop: Header=BB281_15 Depth=1
	s_or_b32 exec_lo, exec_lo, s19
	v_lshlrev_b32_e32 v8, 8, v4
	s_delay_alu instid0(VALU_DEP_3) | instskip(NEXT) | instid1(VALU_DEP_3)
	v_lshl_add_u32 v6, v6, 10, 0x2000
	v_lshlrev_b32_e32 v0, 7, v0
	s_delay_alu instid0(VALU_DEP_3) | instskip(NEXT) | instid1(VALU_DEP_3)
	v_and_b32_e32 v8, 0x8000, v8
	v_and_b32_e32 v6, 0xfc00, v6
	s_delay_alu instid0(VALU_DEP_1)
	v_or3_b32 v37, v8, v6, v0
.LBB281_600:                            ;   in Loop: Header=BB281_15 Depth=1
	s_or_b32 exec_lo, exec_lo, s18
.LBB281_601:                            ;   in Loop: Header=BB281_15 Depth=1
	s_delay_alu instid0(SALU_CYCLE_1)
	s_or_b32 exec_lo, exec_lo, s17
.LBB281_602:                            ;   in Loop: Header=BB281_15 Depth=1
	s_delay_alu instid0(SALU_CYCLE_1) | instskip(SKIP_3) | instid1(VALU_DEP_2)
	s_or_b32 exec_lo, exec_lo, s16
	v_lshrrev_b16 v24, 8, v4
	v_dual_mov_b32 v106, 0 :: v_dual_mov_b32 v59, 0
	s_mov_b32 s16, exec_lo
	v_cmpx_ne_u16_e32 0, v24
	s_cbranch_execz .LBB281_610
; %bb.603:                              ;   in Loop: Header=BB281_15 Depth=1
	v_bfrev_b32_e32 v59, 1
	s_mov_b32 s17, exec_lo
	v_cmpx_ne_u16_e32 0x80, v24
	s_cbranch_execz .LBB281_609
; %bb.604:                              ;   in Loop: Header=BB281_15 Depth=1
	v_and_b32_e32 v0, 0xffff, v24
	v_mov_b32_e32 v59, 0x7c010000
	s_mov_b32 s18, exec_lo
	s_delay_alu instid0(VALU_DEP_2) | instskip(NEXT) | instid1(VALU_DEP_1)
	v_and_b32_e32 v9, 0x7f, v0
	v_cmpx_ne_u32_e32 0x7f, v9
	s_cbranch_execz .LBB281_608
; %bb.605:                              ;   in Loop: Header=BB281_15 Depth=1
	v_dual_lshrrev_b32 v8, 3, v9 :: v_dual_bitop2_b32 v6, 7, v0 bitop3:0x40
	s_mov_b32 s19, exec_lo
	v_cmpx_gt_u32_e32 8, v9
; %bb.606:                              ;   in Loop: Header=BB281_15 Depth=1
	s_delay_alu instid0(VALU_DEP_2) | instskip(NEXT) | instid1(VALU_DEP_1)
	v_clz_i32_u32_e32 v6, v6
	v_min_u32_e32 v6, 32, v6
	s_delay_alu instid0(VALU_DEP_1) | instskip(NEXT) | instid1(VALU_DEP_1)
	v_subrev_nc_u32_e32 v8, 28, v6
	v_lshlrev_b64_e32 v[10:11], v8, v[24:25]
	v_sub_nc_u32_e32 v8, 29, v6
	s_delay_alu instid0(VALU_DEP_2)
	v_and_b32_e32 v6, 7, v10
; %bb.607:                              ;   in Loop: Header=BB281_15 Depth=1
	s_or_b32 exec_lo, exec_lo, s19
	s_delay_alu instid0(VALU_DEP_1) | instskip(NEXT) | instid1(VALU_DEP_3)
	v_dual_lshlrev_b32 v0, 8, v0 :: v_dual_lshlrev_b32 v6, 23, v6
	v_lshl_add_u32 v8, v8, 10, 0x2000
	s_delay_alu instid0(VALU_DEP_1) | instskip(NEXT) | instid1(VALU_DEP_1)
	v_and_or_b32 v0, 0x8000, v0, v8
	v_lshl_or_b32 v59, v0, 16, v6
.LBB281_608:                            ;   in Loop: Header=BB281_15 Depth=1
	s_or_b32 exec_lo, exec_lo, s18
.LBB281_609:                            ;   in Loop: Header=BB281_15 Depth=1
	s_delay_alu instid0(SALU_CYCLE_1)
	s_or_b32 exec_lo, exec_lo, s17
.LBB281_610:                            ;   in Loop: Header=BB281_15 Depth=1
	s_delay_alu instid0(SALU_CYCLE_1) | instskip(SKIP_2) | instid1(VALU_DEP_1)
	s_or_b32 exec_lo, exec_lo, s16
	v_lshrrev_b32_e32 v0, 16, v4
	s_mov_b32 s16, exec_lo
	v_and_b32_e32 v6, 0xff, v0
	s_delay_alu instid0(VALU_DEP_1)
	v_cmpx_ne_u16_e32 0, v6
	s_cbranch_execz .LBB281_618
; %bb.611:                              ;   in Loop: Header=BB281_15 Depth=1
	v_mov_b32_e32 v106, 0x8000
	s_mov_b32 s17, exec_lo
	v_cmpx_ne_u16_e32 0x80, v6
	s_cbranch_execz .LBB281_617
; %bb.612:                              ;   in Loop: Header=BB281_15 Depth=1
	v_bfe_u32 v9, v4, 16, 7
	v_mov_b32_e32 v106, 0x7c01
	s_mov_b32 s18, exec_lo
	s_delay_alu instid0(VALU_DEP_2)
	v_cmpx_ne_u32_e32 0x7f, v9
	s_cbranch_execz .LBB281_616
; %bb.613:                              ;   in Loop: Header=BB281_15 Depth=1
	v_dual_lshrrev_b32 v8, 3, v9 :: v_dual_bitop2_b32 v6, 7, v0 bitop3:0x40
	s_mov_b32 s19, exec_lo
	v_cmpx_gt_u32_e32 8, v9
; %bb.614:                              ;   in Loop: Header=BB281_15 Depth=1
	s_delay_alu instid0(VALU_DEP_2) | instskip(NEXT) | instid1(VALU_DEP_1)
	v_clz_i32_u32_e32 v6, v6
	v_min_u32_e32 v6, 32, v6
	s_delay_alu instid0(VALU_DEP_1) | instskip(NEXT) | instid1(VALU_DEP_1)
	v_subrev_nc_u32_e32 v8, 28, v6
	v_lshlrev_b64_e32 v[10:11], v8, v[0:1]
	v_sub_nc_u32_e32 v8, 29, v6
	s_delay_alu instid0(VALU_DEP_2)
	v_and_b32_e32 v6, 7, v10
; %bb.615:                              ;   in Loop: Header=BB281_15 Depth=1
	s_or_b32 exec_lo, exec_lo, s19
	s_delay_alu instid0(VALU_DEP_1) | instskip(NEXT) | instid1(VALU_DEP_3)
	v_dual_lshlrev_b32 v0, 8, v0 :: v_dual_lshlrev_b32 v6, 7, v6
	v_lshl_add_u32 v8, v8, 10, 0x2000
	s_delay_alu instid0(VALU_DEP_2) | instskip(NEXT) | instid1(VALU_DEP_2)
	v_and_b32_e32 v0, 0x8000, v0
	v_and_b32_e32 v8, 0xfc00, v8
	s_delay_alu instid0(VALU_DEP_1)
	v_or3_b32 v106, v0, v8, v6
.LBB281_616:                            ;   in Loop: Header=BB281_15 Depth=1
	s_or_b32 exec_lo, exec_lo, s18
.LBB281_617:                            ;   in Loop: Header=BB281_15 Depth=1
	s_delay_alu instid0(SALU_CYCLE_1)
	s_or_b32 exec_lo, exec_lo, s17
.LBB281_618:                            ;   in Loop: Header=BB281_15 Depth=1
	s_delay_alu instid0(SALU_CYCLE_1)
	s_or_b32 exec_lo, exec_lo, s16
	v_dual_mov_b32 v110, 0 :: v_dual_mov_b32 v61, 0
	s_mov_b32 s16, exec_lo
	v_cmpx_lt_u32_e32 0xffffff, v4
	s_cbranch_execz .LBB281_626
; %bb.619:                              ;   in Loop: Header=BB281_15 Depth=1
	v_lshrrev_b32_e32 v24, 24, v4
	v_bfrev_b32_e32 v61, 1
	s_mov_b32 s17, exec_lo
	s_delay_alu instid0(VALU_DEP_2)
	v_cmpx_ne_u32_e32 0x80, v24
	s_cbranch_execz .LBB281_625
; %bb.620:                              ;   in Loop: Header=BB281_15 Depth=1
	v_and_b32_e32 v8, 0x7f, v24
	v_mov_b32_e32 v61, 0x7c010000
	s_mov_b32 s18, exec_lo
	s_delay_alu instid0(VALU_DEP_2)
	v_cmpx_ne_u32_e32 0x7f, v8
	s_cbranch_execz .LBB281_624
; %bb.621:                              ;   in Loop: Header=BB281_15 Depth=1
	v_and_b32_e32 v0, 7, v24
	v_lshrrev_b32_e32 v6, 3, v8
	s_mov_b32 s19, exec_lo
	v_cmpx_gt_u32_e32 8, v8
; %bb.622:                              ;   in Loop: Header=BB281_15 Depth=1
	s_delay_alu instid0(VALU_DEP_3) | instskip(NEXT) | instid1(VALU_DEP_1)
	v_clz_i32_u32_e32 v0, v0
	v_min_u32_e32 v0, 32, v0
	s_delay_alu instid0(VALU_DEP_1) | instskip(NEXT) | instid1(VALU_DEP_1)
	v_subrev_nc_u32_e32 v6, 28, v0
	v_lshlrev_b64_e32 v[8:9], v6, v[24:25]
	v_sub_nc_u32_e32 v6, 29, v0
	s_delay_alu instid0(VALU_DEP_2)
	v_and_b32_e32 v0, 7, v8
; %bb.623:                              ;   in Loop: Header=BB281_15 Depth=1
	s_or_b32 exec_lo, exec_lo, s19
	v_lshlrev_b32_e32 v8, 8, v24
	s_delay_alu instid0(VALU_DEP_3) | instskip(NEXT) | instid1(VALU_DEP_3)
	v_lshl_add_u32 v6, v6, 10, 0x2000
	v_lshlrev_b32_e32 v0, 23, v0
	s_delay_alu instid0(VALU_DEP_2) | instskip(NEXT) | instid1(VALU_DEP_1)
	v_and_or_b32 v6, 0x8000, v8, v6
	v_lshl_or_b32 v61, v6, 16, v0
.LBB281_624:                            ;   in Loop: Header=BB281_15 Depth=1
	s_or_b32 exec_lo, exec_lo, s18
.LBB281_625:                            ;   in Loop: Header=BB281_15 Depth=1
	s_delay_alu instid0(SALU_CYCLE_1)
	s_or_b32 exec_lo, exec_lo, s17
.LBB281_626:                            ;   in Loop: Header=BB281_15 Depth=1
	s_delay_alu instid0(SALU_CYCLE_1) | instskip(SKIP_3) | instid1(VALU_DEP_2)
	s_or_b32 exec_lo, exec_lo, s16
	v_and_b32_e32 v0, 0xff, v5
	v_mov_b32_e32 v24, v5
	s_mov_b32 s16, exec_lo
	v_cmpx_ne_u16_e32 0, v0
	s_cbranch_execz .LBB281_634
; %bb.627:                              ;   in Loop: Header=BB281_15 Depth=1
	v_mov_b32_e32 v110, 0x8000
	s_mov_b32 s17, exec_lo
	v_cmpx_ne_u16_e32 0x80, v0
	s_cbranch_execz .LBB281_633
; %bb.628:                              ;   in Loop: Header=BB281_15 Depth=1
	v_and_b32_e32 v8, 0x7f, v5
	v_mov_b32_e32 v110, 0x7c01
	s_mov_b32 s18, exec_lo
	s_delay_alu instid0(VALU_DEP_2)
	v_cmpx_ne_u32_e32 0x7f, v8
	s_cbranch_execz .LBB281_632
; %bb.629:                              ;   in Loop: Header=BB281_15 Depth=1
	v_dual_lshrrev_b32 v6, 3, v8 :: v_dual_bitop2_b32 v0, 7, v5 bitop3:0x40
	s_mov_b32 s19, exec_lo
	v_cmpx_gt_u32_e32 8, v8
; %bb.630:                              ;   in Loop: Header=BB281_15 Depth=1
	s_delay_alu instid0(VALU_DEP_2) | instskip(NEXT) | instid1(VALU_DEP_1)
	v_clz_i32_u32_e32 v0, v0
	v_min_u32_e32 v0, 32, v0
	s_delay_alu instid0(VALU_DEP_1) | instskip(NEXT) | instid1(VALU_DEP_1)
	v_subrev_nc_u32_e32 v6, 28, v0
	v_lshlrev_b64_e32 v[8:9], v6, v[24:25]
	v_sub_nc_u32_e32 v6, 29, v0
	s_delay_alu instid0(VALU_DEP_2)
	v_and_b32_e32 v0, 7, v8
; %bb.631:                              ;   in Loop: Header=BB281_15 Depth=1
	s_or_b32 exec_lo, exec_lo, s19
	s_delay_alu instid0(VALU_DEP_1) | instskip(NEXT) | instid1(VALU_DEP_3)
	v_dual_lshlrev_b32 v8, 8, v5 :: v_dual_lshlrev_b32 v0, 7, v0
	v_lshl_add_u32 v6, v6, 10, 0x2000
	s_delay_alu instid0(VALU_DEP_2) | instskip(NEXT) | instid1(VALU_DEP_2)
	v_and_b32_e32 v8, 0x8000, v8
	v_and_b32_e32 v6, 0xfc00, v6
	s_delay_alu instid0(VALU_DEP_1)
	v_or3_b32 v110, v8, v6, v0
.LBB281_632:                            ;   in Loop: Header=BB281_15 Depth=1
	s_or_b32 exec_lo, exec_lo, s18
.LBB281_633:                            ;   in Loop: Header=BB281_15 Depth=1
	s_delay_alu instid0(SALU_CYCLE_1)
	s_or_b32 exec_lo, exec_lo, s17
.LBB281_634:                            ;   in Loop: Header=BB281_15 Depth=1
	s_delay_alu instid0(SALU_CYCLE_1) | instskip(SKIP_3) | instid1(VALU_DEP_2)
	s_or_b32 exec_lo, exec_lo, s16
	v_lshrrev_b16 v24, 8, v24
	v_dual_mov_b32 v107, 0 :: v_dual_mov_b32 v60, 0
	s_mov_b32 s16, exec_lo
	v_cmpx_ne_u16_e32 0, v24
	s_cbranch_execz .LBB281_642
; %bb.635:                              ;   in Loop: Header=BB281_15 Depth=1
	v_bfrev_b32_e32 v60, 1
	s_mov_b32 s17, exec_lo
	v_cmpx_ne_u16_e32 0x80, v24
	s_cbranch_execz .LBB281_641
; %bb.636:                              ;   in Loop: Header=BB281_15 Depth=1
	v_and_b32_e32 v0, 0xffff, v24
	v_mov_b32_e32 v60, 0x7c010000
	s_mov_b32 s18, exec_lo
	s_delay_alu instid0(VALU_DEP_2) | instskip(NEXT) | instid1(VALU_DEP_1)
	v_and_b32_e32 v9, 0x7f, v0
	v_cmpx_ne_u32_e32 0x7f, v9
	s_cbranch_execz .LBB281_640
; %bb.637:                              ;   in Loop: Header=BB281_15 Depth=1
	v_dual_lshrrev_b32 v8, 3, v9 :: v_dual_bitop2_b32 v6, 7, v0 bitop3:0x40
	s_mov_b32 s19, exec_lo
	v_cmpx_gt_u32_e32 8, v9
; %bb.638:                              ;   in Loop: Header=BB281_15 Depth=1
	s_delay_alu instid0(VALU_DEP_2) | instskip(NEXT) | instid1(VALU_DEP_1)
	v_clz_i32_u32_e32 v6, v6
	v_min_u32_e32 v6, 32, v6
	s_delay_alu instid0(VALU_DEP_1) | instskip(NEXT) | instid1(VALU_DEP_1)
	v_subrev_nc_u32_e32 v8, 28, v6
	v_lshlrev_b64_e32 v[10:11], v8, v[24:25]
	v_sub_nc_u32_e32 v8, 29, v6
	s_delay_alu instid0(VALU_DEP_2)
	v_and_b32_e32 v6, 7, v10
; %bb.639:                              ;   in Loop: Header=BB281_15 Depth=1
	s_or_b32 exec_lo, exec_lo, s19
	s_delay_alu instid0(VALU_DEP_1) | instskip(NEXT) | instid1(VALU_DEP_3)
	v_dual_lshlrev_b32 v0, 8, v0 :: v_dual_lshlrev_b32 v6, 23, v6
	v_lshl_add_u32 v8, v8, 10, 0x2000
	s_delay_alu instid0(VALU_DEP_1) | instskip(NEXT) | instid1(VALU_DEP_1)
	v_and_or_b32 v0, 0x8000, v0, v8
	v_lshl_or_b32 v60, v0, 16, v6
.LBB281_640:                            ;   in Loop: Header=BB281_15 Depth=1
	s_or_b32 exec_lo, exec_lo, s18
.LBB281_641:                            ;   in Loop: Header=BB281_15 Depth=1
	s_delay_alu instid0(SALU_CYCLE_1)
	s_or_b32 exec_lo, exec_lo, s17
.LBB281_642:                            ;   in Loop: Header=BB281_15 Depth=1
	s_delay_alu instid0(SALU_CYCLE_1) | instskip(SKIP_2) | instid1(VALU_DEP_1)
	s_or_b32 exec_lo, exec_lo, s16
	v_lshrrev_b32_e32 v0, 16, v5
	s_mov_b32 s16, exec_lo
	v_and_b32_e32 v6, 0xff, v0
	s_delay_alu instid0(VALU_DEP_1)
	v_cmpx_ne_u16_e32 0, v6
	s_cbranch_execz .LBB281_650
; %bb.643:                              ;   in Loop: Header=BB281_15 Depth=1
	v_mov_b32_e32 v107, 0x8000
	s_mov_b32 s17, exec_lo
	v_cmpx_ne_u16_e32 0x80, v6
	s_cbranch_execz .LBB281_649
; %bb.644:                              ;   in Loop: Header=BB281_15 Depth=1
	v_bfe_u32 v9, v5, 16, 7
	v_mov_b32_e32 v107, 0x7c01
	s_mov_b32 s18, exec_lo
	s_delay_alu instid0(VALU_DEP_2)
	v_cmpx_ne_u32_e32 0x7f, v9
	s_cbranch_execz .LBB281_648
; %bb.645:                              ;   in Loop: Header=BB281_15 Depth=1
	v_dual_lshrrev_b32 v8, 3, v9 :: v_dual_bitop2_b32 v6, 7, v0 bitop3:0x40
	s_mov_b32 s19, exec_lo
	v_cmpx_gt_u32_e32 8, v9
; %bb.646:                              ;   in Loop: Header=BB281_15 Depth=1
	s_delay_alu instid0(VALU_DEP_2) | instskip(NEXT) | instid1(VALU_DEP_1)
	v_clz_i32_u32_e32 v6, v6
	v_min_u32_e32 v6, 32, v6
	s_delay_alu instid0(VALU_DEP_1) | instskip(NEXT) | instid1(VALU_DEP_1)
	v_subrev_nc_u32_e32 v8, 28, v6
	v_lshlrev_b64_e32 v[10:11], v8, v[0:1]
	v_sub_nc_u32_e32 v8, 29, v6
	s_delay_alu instid0(VALU_DEP_2)
	v_and_b32_e32 v6, 7, v10
; %bb.647:                              ;   in Loop: Header=BB281_15 Depth=1
	s_or_b32 exec_lo, exec_lo, s19
	s_delay_alu instid0(VALU_DEP_1) | instskip(NEXT) | instid1(VALU_DEP_3)
	v_dual_lshlrev_b32 v0, 8, v0 :: v_dual_lshlrev_b32 v6, 7, v6
	v_lshl_add_u32 v8, v8, 10, 0x2000
	s_delay_alu instid0(VALU_DEP_2) | instskip(NEXT) | instid1(VALU_DEP_2)
	v_and_b32_e32 v0, 0x8000, v0
	v_and_b32_e32 v8, 0xfc00, v8
	s_delay_alu instid0(VALU_DEP_1)
	v_or3_b32 v107, v0, v8, v6
.LBB281_648:                            ;   in Loop: Header=BB281_15 Depth=1
	s_or_b32 exec_lo, exec_lo, s18
.LBB281_649:                            ;   in Loop: Header=BB281_15 Depth=1
	s_delay_alu instid0(SALU_CYCLE_1)
	s_or_b32 exec_lo, exec_lo, s17
.LBB281_650:                            ;   in Loop: Header=BB281_15 Depth=1
	s_delay_alu instid0(SALU_CYCLE_1)
	s_or_b32 exec_lo, exec_lo, s16
	v_dual_mov_b32 v96, 0 :: v_dual_mov_b32 v97, 0
	s_mov_b32 s16, exec_lo
	v_cmpx_lt_u64_e64 s[8:9], v[4:5]
	s_cbranch_execz .LBB281_658
; %bb.651:                              ;   in Loop: Header=BB281_15 Depth=1
	v_lshrrev_b32_e32 v24, 24, v5
	v_bfrev_b32_e32 v97, 1
	s_mov_b32 s17, exec_lo
	s_delay_alu instid0(VALU_DEP_2)
	v_cmpx_ne_u32_e32 0x80, v24
	s_cbranch_execz .LBB281_657
; %bb.652:                              ;   in Loop: Header=BB281_15 Depth=1
	v_and_b32_e32 v5, 0x7f, v24
	v_mov_b32_e32 v97, 0x7c010000
	s_mov_b32 s18, exec_lo
	s_delay_alu instid0(VALU_DEP_2)
	v_cmpx_ne_u32_e32 0x7f, v5
	s_cbranch_execz .LBB281_656
; %bb.653:                              ;   in Loop: Header=BB281_15 Depth=1
	v_dual_lshrrev_b32 v4, 3, v5 :: v_dual_bitop2_b32 v0, 7, v24 bitop3:0x40
	s_mov_b32 s19, exec_lo
	v_cmpx_gt_u32_e32 8, v5
; %bb.654:                              ;   in Loop: Header=BB281_15 Depth=1
	s_delay_alu instid0(VALU_DEP_2) | instskip(NEXT) | instid1(VALU_DEP_1)
	v_clz_i32_u32_e32 v0, v0
	v_min_u32_e32 v0, 32, v0
	s_delay_alu instid0(VALU_DEP_1) | instskip(NEXT) | instid1(VALU_DEP_1)
	v_subrev_nc_u32_e32 v4, 28, v0
	v_lshlrev_b64_e32 v[8:9], v4, v[24:25]
	v_sub_nc_u32_e32 v4, 29, v0
	s_delay_alu instid0(VALU_DEP_2)
	v_and_b32_e32 v0, 7, v8
; %bb.655:                              ;   in Loop: Header=BB281_15 Depth=1
	s_or_b32 exec_lo, exec_lo, s19
	v_lshlrev_b32_e32 v5, 8, v24
	s_delay_alu instid0(VALU_DEP_3) | instskip(NEXT) | instid1(VALU_DEP_3)
	v_lshl_add_u32 v4, v4, 10, 0x2000
	v_lshlrev_b32_e32 v0, 23, v0
	s_delay_alu instid0(VALU_DEP_2) | instskip(NEXT) | instid1(VALU_DEP_1)
	v_and_or_b32 v4, 0x8000, v5, v4
	v_lshl_or_b32 v97, v4, 16, v0
.LBB281_656:                            ;   in Loop: Header=BB281_15 Depth=1
	s_or_b32 exec_lo, exec_lo, s18
.LBB281_657:                            ;   in Loop: Header=BB281_15 Depth=1
	s_delay_alu instid0(SALU_CYCLE_1)
	s_or_b32 exec_lo, exec_lo, s17
.LBB281_658:                            ;   in Loop: Header=BB281_15 Depth=1
	s_delay_alu instid0(SALU_CYCLE_1)
	s_or_b32 exec_lo, exec_lo, s16
	flat_load_b64 v[4:5], v[2:3] offset:2560
	s_mov_b32 s16, exec_lo
	s_wait_loadcnt_dscnt 0x0
	v_and_b32_e32 v0, 0xff, v4
	s_wait_xcnt 0x0
	s_delay_alu instid0(VALU_DEP_1)
	v_cmpx_ne_u16_e32 0, v0
	s_cbranch_execz .LBB281_666
; %bb.659:                              ;   in Loop: Header=BB281_15 Depth=1
	v_mov_b32_e32 v96, 0x8000
	s_mov_b32 s17, exec_lo
	v_cmpx_ne_u16_e32 0x80, v0
	s_cbranch_execz .LBB281_665
; %bb.660:                              ;   in Loop: Header=BB281_15 Depth=1
	v_and_b32_e32 v8, 0x7f, v4
	v_mov_b32_e32 v96, 0x7c01
	s_mov_b32 s18, exec_lo
	s_delay_alu instid0(VALU_DEP_2)
	v_cmpx_ne_u32_e32 0x7f, v8
	s_cbranch_execz .LBB281_664
; %bb.661:                              ;   in Loop: Header=BB281_15 Depth=1
	v_and_b32_e32 v0, 7, v4
	v_lshrrev_b32_e32 v6, 3, v8
	s_mov_b32 s19, exec_lo
	v_cmpx_gt_u32_e32 8, v8
; %bb.662:                              ;   in Loop: Header=BB281_15 Depth=1
	s_delay_alu instid0(VALU_DEP_3) | instskip(NEXT) | instid1(VALU_DEP_1)
	v_clz_i32_u32_e32 v0, v0
	v_min_u32_e32 v0, 32, v0
	s_delay_alu instid0(VALU_DEP_1) | instskip(NEXT) | instid1(VALU_DEP_1)
	v_subrev_nc_u32_e32 v6, 28, v0
	v_lshlrev_b64_e32 v[8:9], v6, v[4:5]
	v_sub_nc_u32_e32 v6, 29, v0
	s_delay_alu instid0(VALU_DEP_2)
	v_and_b32_e32 v0, 7, v8
; %bb.663:                              ;   in Loop: Header=BB281_15 Depth=1
	s_or_b32 exec_lo, exec_lo, s19
	v_lshlrev_b32_e32 v8, 8, v4
	s_delay_alu instid0(VALU_DEP_3) | instskip(NEXT) | instid1(VALU_DEP_3)
	v_lshl_add_u32 v6, v6, 10, 0x2000
	v_lshlrev_b32_e32 v0, 7, v0
	s_delay_alu instid0(VALU_DEP_3) | instskip(NEXT) | instid1(VALU_DEP_3)
	v_and_b32_e32 v8, 0x8000, v8
	v_and_b32_e32 v6, 0xfc00, v6
	s_delay_alu instid0(VALU_DEP_1)
	v_or3_b32 v96, v8, v6, v0
.LBB281_664:                            ;   in Loop: Header=BB281_15 Depth=1
	s_or_b32 exec_lo, exec_lo, s18
.LBB281_665:                            ;   in Loop: Header=BB281_15 Depth=1
	s_delay_alu instid0(SALU_CYCLE_1)
	s_or_b32 exec_lo, exec_lo, s17
.LBB281_666:                            ;   in Loop: Header=BB281_15 Depth=1
	s_delay_alu instid0(SALU_CYCLE_1) | instskip(SKIP_3) | instid1(VALU_DEP_2)
	s_or_b32 exec_lo, exec_lo, s16
	v_lshrrev_b16 v24, 8, v4
	v_dual_mov_b32 v44, 0 :: v_dual_mov_b32 v123, 0
	s_mov_b32 s16, exec_lo
	v_cmpx_ne_u16_e32 0, v24
	s_cbranch_execz .LBB281_674
; %bb.667:                              ;   in Loop: Header=BB281_15 Depth=1
	v_bfrev_b32_e32 v123, 1
	s_mov_b32 s17, exec_lo
	v_cmpx_ne_u16_e32 0x80, v24
	s_cbranch_execz .LBB281_673
; %bb.668:                              ;   in Loop: Header=BB281_15 Depth=1
	v_and_b32_e32 v0, 0xffff, v24
	v_mov_b32_e32 v123, 0x7c010000
	s_mov_b32 s18, exec_lo
	s_delay_alu instid0(VALU_DEP_2) | instskip(NEXT) | instid1(VALU_DEP_1)
	v_and_b32_e32 v9, 0x7f, v0
	v_cmpx_ne_u32_e32 0x7f, v9
	s_cbranch_execz .LBB281_672
; %bb.669:                              ;   in Loop: Header=BB281_15 Depth=1
	v_dual_lshrrev_b32 v8, 3, v9 :: v_dual_bitop2_b32 v6, 7, v0 bitop3:0x40
	s_mov_b32 s19, exec_lo
	v_cmpx_gt_u32_e32 8, v9
; %bb.670:                              ;   in Loop: Header=BB281_15 Depth=1
	s_delay_alu instid0(VALU_DEP_2) | instskip(NEXT) | instid1(VALU_DEP_1)
	v_clz_i32_u32_e32 v6, v6
	v_min_u32_e32 v6, 32, v6
	s_delay_alu instid0(VALU_DEP_1) | instskip(NEXT) | instid1(VALU_DEP_1)
	v_subrev_nc_u32_e32 v8, 28, v6
	v_lshlrev_b64_e32 v[10:11], v8, v[24:25]
	v_sub_nc_u32_e32 v8, 29, v6
	s_delay_alu instid0(VALU_DEP_2)
	v_and_b32_e32 v6, 7, v10
; %bb.671:                              ;   in Loop: Header=BB281_15 Depth=1
	s_or_b32 exec_lo, exec_lo, s19
	s_delay_alu instid0(VALU_DEP_1) | instskip(NEXT) | instid1(VALU_DEP_3)
	v_dual_lshlrev_b32 v0, 8, v0 :: v_dual_lshlrev_b32 v6, 23, v6
	v_lshl_add_u32 v8, v8, 10, 0x2000
	s_delay_alu instid0(VALU_DEP_1) | instskip(NEXT) | instid1(VALU_DEP_1)
	v_and_or_b32 v0, 0x8000, v0, v8
	v_lshl_or_b32 v123, v0, 16, v6
.LBB281_672:                            ;   in Loop: Header=BB281_15 Depth=1
	s_or_b32 exec_lo, exec_lo, s18
.LBB281_673:                            ;   in Loop: Header=BB281_15 Depth=1
	s_delay_alu instid0(SALU_CYCLE_1)
	s_or_b32 exec_lo, exec_lo, s17
.LBB281_674:                            ;   in Loop: Header=BB281_15 Depth=1
	s_delay_alu instid0(SALU_CYCLE_1) | instskip(SKIP_2) | instid1(VALU_DEP_1)
	s_or_b32 exec_lo, exec_lo, s16
	v_lshrrev_b32_e32 v0, 16, v4
	s_mov_b32 s16, exec_lo
	v_and_b32_e32 v6, 0xff, v0
	s_delay_alu instid0(VALU_DEP_1)
	v_cmpx_ne_u16_e32 0, v6
	s_cbranch_execz .LBB281_682
; %bb.675:                              ;   in Loop: Header=BB281_15 Depth=1
	v_mov_b32_e32 v44, 0x8000
	s_mov_b32 s17, exec_lo
	v_cmpx_ne_u16_e32 0x80, v6
	s_cbranch_execz .LBB281_681
; %bb.676:                              ;   in Loop: Header=BB281_15 Depth=1
	v_bfe_u32 v9, v4, 16, 7
	v_mov_b32_e32 v44, 0x7c01
	s_mov_b32 s18, exec_lo
	s_delay_alu instid0(VALU_DEP_2)
	v_cmpx_ne_u32_e32 0x7f, v9
	s_cbranch_execz .LBB281_680
; %bb.677:                              ;   in Loop: Header=BB281_15 Depth=1
	v_dual_lshrrev_b32 v8, 3, v9 :: v_dual_bitop2_b32 v6, 7, v0 bitop3:0x40
	s_mov_b32 s19, exec_lo
	v_cmpx_gt_u32_e32 8, v9
; %bb.678:                              ;   in Loop: Header=BB281_15 Depth=1
	s_delay_alu instid0(VALU_DEP_2) | instskip(NEXT) | instid1(VALU_DEP_1)
	v_clz_i32_u32_e32 v6, v6
	v_min_u32_e32 v6, 32, v6
	s_delay_alu instid0(VALU_DEP_1) | instskip(NEXT) | instid1(VALU_DEP_1)
	v_subrev_nc_u32_e32 v8, 28, v6
	v_lshlrev_b64_e32 v[10:11], v8, v[0:1]
	v_sub_nc_u32_e32 v8, 29, v6
	s_delay_alu instid0(VALU_DEP_2)
	v_and_b32_e32 v6, 7, v10
; %bb.679:                              ;   in Loop: Header=BB281_15 Depth=1
	s_or_b32 exec_lo, exec_lo, s19
	s_delay_alu instid0(VALU_DEP_1) | instskip(NEXT) | instid1(VALU_DEP_3)
	v_dual_lshlrev_b32 v0, 8, v0 :: v_dual_lshlrev_b32 v6, 7, v6
	v_lshl_add_u32 v8, v8, 10, 0x2000
	s_delay_alu instid0(VALU_DEP_2) | instskip(NEXT) | instid1(VALU_DEP_2)
	v_and_b32_e32 v0, 0x8000, v0
	v_and_b32_e32 v8, 0xfc00, v8
	s_delay_alu instid0(VALU_DEP_1)
	v_or3_b32 v44, v0, v8, v6
.LBB281_680:                            ;   in Loop: Header=BB281_15 Depth=1
	s_or_b32 exec_lo, exec_lo, s18
.LBB281_681:                            ;   in Loop: Header=BB281_15 Depth=1
	s_delay_alu instid0(SALU_CYCLE_1)
	s_or_b32 exec_lo, exec_lo, s17
.LBB281_682:                            ;   in Loop: Header=BB281_15 Depth=1
	s_delay_alu instid0(SALU_CYCLE_1)
	s_or_b32 exec_lo, exec_lo, s16
	v_dual_mov_b32 v122, 0 :: v_dual_mov_b32 v125, 0
	s_mov_b32 s16, exec_lo
	v_cmpx_lt_u32_e32 0xffffff, v4
	s_cbranch_execz .LBB281_690
; %bb.683:                              ;   in Loop: Header=BB281_15 Depth=1
	v_lshrrev_b32_e32 v24, 24, v4
	v_bfrev_b32_e32 v125, 1
	s_mov_b32 s17, exec_lo
	s_delay_alu instid0(VALU_DEP_2)
	v_cmpx_ne_u32_e32 0x80, v24
	s_cbranch_execz .LBB281_689
; %bb.684:                              ;   in Loop: Header=BB281_15 Depth=1
	v_and_b32_e32 v8, 0x7f, v24
	v_mov_b32_e32 v125, 0x7c010000
	s_mov_b32 s18, exec_lo
	s_delay_alu instid0(VALU_DEP_2)
	v_cmpx_ne_u32_e32 0x7f, v8
	s_cbranch_execz .LBB281_688
; %bb.685:                              ;   in Loop: Header=BB281_15 Depth=1
	v_and_b32_e32 v0, 7, v24
	v_lshrrev_b32_e32 v6, 3, v8
	s_mov_b32 s19, exec_lo
	v_cmpx_gt_u32_e32 8, v8
; %bb.686:                              ;   in Loop: Header=BB281_15 Depth=1
	s_delay_alu instid0(VALU_DEP_3) | instskip(NEXT) | instid1(VALU_DEP_1)
	v_clz_i32_u32_e32 v0, v0
	v_min_u32_e32 v0, 32, v0
	s_delay_alu instid0(VALU_DEP_1) | instskip(NEXT) | instid1(VALU_DEP_1)
	v_subrev_nc_u32_e32 v6, 28, v0
	v_lshlrev_b64_e32 v[8:9], v6, v[24:25]
	v_sub_nc_u32_e32 v6, 29, v0
	s_delay_alu instid0(VALU_DEP_2)
	v_and_b32_e32 v0, 7, v8
; %bb.687:                              ;   in Loop: Header=BB281_15 Depth=1
	s_or_b32 exec_lo, exec_lo, s19
	v_lshlrev_b32_e32 v8, 8, v24
	s_delay_alu instid0(VALU_DEP_3) | instskip(NEXT) | instid1(VALU_DEP_3)
	v_lshl_add_u32 v6, v6, 10, 0x2000
	v_lshlrev_b32_e32 v0, 23, v0
	s_delay_alu instid0(VALU_DEP_2) | instskip(NEXT) | instid1(VALU_DEP_1)
	v_and_or_b32 v6, 0x8000, v8, v6
	v_lshl_or_b32 v125, v6, 16, v0
.LBB281_688:                            ;   in Loop: Header=BB281_15 Depth=1
	s_or_b32 exec_lo, exec_lo, s18
.LBB281_689:                            ;   in Loop: Header=BB281_15 Depth=1
	s_delay_alu instid0(SALU_CYCLE_1)
	s_or_b32 exec_lo, exec_lo, s17
.LBB281_690:                            ;   in Loop: Header=BB281_15 Depth=1
	s_delay_alu instid0(SALU_CYCLE_1) | instskip(SKIP_3) | instid1(VALU_DEP_2)
	s_or_b32 exec_lo, exec_lo, s16
	v_and_b32_e32 v0, 0xff, v5
	v_mov_b32_e32 v24, v5
	s_mov_b32 s16, exec_lo
	v_cmpx_ne_u16_e32 0, v0
	s_cbranch_execz .LBB281_698
; %bb.691:                              ;   in Loop: Header=BB281_15 Depth=1
	v_mov_b32_e32 v122, 0x8000
	s_mov_b32 s17, exec_lo
	v_cmpx_ne_u16_e32 0x80, v0
	s_cbranch_execz .LBB281_697
; %bb.692:                              ;   in Loop: Header=BB281_15 Depth=1
	v_and_b32_e32 v8, 0x7f, v5
	v_mov_b32_e32 v122, 0x7c01
	s_mov_b32 s18, exec_lo
	s_delay_alu instid0(VALU_DEP_2)
	v_cmpx_ne_u32_e32 0x7f, v8
	s_cbranch_execz .LBB281_696
; %bb.693:                              ;   in Loop: Header=BB281_15 Depth=1
	v_dual_lshrrev_b32 v6, 3, v8 :: v_dual_bitop2_b32 v0, 7, v5 bitop3:0x40
	s_mov_b32 s19, exec_lo
	v_cmpx_gt_u32_e32 8, v8
; %bb.694:                              ;   in Loop: Header=BB281_15 Depth=1
	s_delay_alu instid0(VALU_DEP_2) | instskip(NEXT) | instid1(VALU_DEP_1)
	v_clz_i32_u32_e32 v0, v0
	v_min_u32_e32 v0, 32, v0
	s_delay_alu instid0(VALU_DEP_1) | instskip(NEXT) | instid1(VALU_DEP_1)
	v_subrev_nc_u32_e32 v6, 28, v0
	v_lshlrev_b64_e32 v[8:9], v6, v[24:25]
	v_sub_nc_u32_e32 v6, 29, v0
	s_delay_alu instid0(VALU_DEP_2)
	v_and_b32_e32 v0, 7, v8
; %bb.695:                              ;   in Loop: Header=BB281_15 Depth=1
	s_or_b32 exec_lo, exec_lo, s19
	s_delay_alu instid0(VALU_DEP_1) | instskip(NEXT) | instid1(VALU_DEP_3)
	v_dual_lshlrev_b32 v8, 8, v5 :: v_dual_lshlrev_b32 v0, 7, v0
	v_lshl_add_u32 v6, v6, 10, 0x2000
	s_delay_alu instid0(VALU_DEP_2) | instskip(NEXT) | instid1(VALU_DEP_2)
	v_and_b32_e32 v8, 0x8000, v8
	v_and_b32_e32 v6, 0xfc00, v6
	s_delay_alu instid0(VALU_DEP_1)
	v_or3_b32 v122, v8, v6, v0
.LBB281_696:                            ;   in Loop: Header=BB281_15 Depth=1
	s_or_b32 exec_lo, exec_lo, s18
.LBB281_697:                            ;   in Loop: Header=BB281_15 Depth=1
	s_delay_alu instid0(SALU_CYCLE_1)
	s_or_b32 exec_lo, exec_lo, s17
.LBB281_698:                            ;   in Loop: Header=BB281_15 Depth=1
	s_delay_alu instid0(SALU_CYCLE_1) | instskip(SKIP_3) | instid1(VALU_DEP_2)
	s_or_b32 exec_lo, exec_lo, s16
	v_lshrrev_b16 v24, 8, v24
	v_dual_mov_b32 v126, 0 :: v_dual_mov_b32 v127, 0
	s_mov_b32 s16, exec_lo
	v_cmpx_ne_u16_e32 0, v24
	s_cbranch_execz .LBB281_706
; %bb.699:                              ;   in Loop: Header=BB281_15 Depth=1
	v_bfrev_b32_e32 v127, 1
	s_mov_b32 s17, exec_lo
	v_cmpx_ne_u16_e32 0x80, v24
	s_cbranch_execz .LBB281_705
; %bb.700:                              ;   in Loop: Header=BB281_15 Depth=1
	v_and_b32_e32 v0, 0xffff, v24
	v_mov_b32_e32 v127, 0x7c010000
	s_mov_b32 s18, exec_lo
	s_delay_alu instid0(VALU_DEP_2) | instskip(NEXT) | instid1(VALU_DEP_1)
	v_and_b32_e32 v9, 0x7f, v0
	v_cmpx_ne_u32_e32 0x7f, v9
	s_cbranch_execz .LBB281_704
; %bb.701:                              ;   in Loop: Header=BB281_15 Depth=1
	v_dual_lshrrev_b32 v8, 3, v9 :: v_dual_bitop2_b32 v6, 7, v0 bitop3:0x40
	s_mov_b32 s19, exec_lo
	v_cmpx_gt_u32_e32 8, v9
; %bb.702:                              ;   in Loop: Header=BB281_15 Depth=1
	s_delay_alu instid0(VALU_DEP_2) | instskip(NEXT) | instid1(VALU_DEP_1)
	v_clz_i32_u32_e32 v6, v6
	v_min_u32_e32 v6, 32, v6
	s_delay_alu instid0(VALU_DEP_1) | instskip(NEXT) | instid1(VALU_DEP_1)
	v_subrev_nc_u32_e32 v8, 28, v6
	v_lshlrev_b64_e32 v[16:17], v8, v[24:25]
	s_delay_alu instid0(VALU_DEP_1)
	v_dual_sub_nc_u32 v8, 29, v6 :: v_dual_bitop2_b32 v6, 7, v16 bitop3:0x40
; %bb.703:                              ;   in Loop: Header=BB281_15 Depth=1
	s_or_b32 exec_lo, exec_lo, s19
	s_delay_alu instid0(VALU_DEP_1) | instskip(NEXT) | instid1(VALU_DEP_2)
	v_dual_lshlrev_b32 v0, 8, v0 :: v_dual_lshlrev_b32 v6, 23, v6
	v_lshl_add_u32 v8, v8, 10, 0x2000
	s_delay_alu instid0(VALU_DEP_1) | instskip(NEXT) | instid1(VALU_DEP_1)
	v_and_or_b32 v0, 0x8000, v0, v8
	v_lshl_or_b32 v127, v0, 16, v6
.LBB281_704:                            ;   in Loop: Header=BB281_15 Depth=1
	s_or_b32 exec_lo, exec_lo, s18
.LBB281_705:                            ;   in Loop: Header=BB281_15 Depth=1
	s_delay_alu instid0(SALU_CYCLE_1)
	s_or_b32 exec_lo, exec_lo, s17
.LBB281_706:                            ;   in Loop: Header=BB281_15 Depth=1
	s_delay_alu instid0(SALU_CYCLE_1) | instskip(SKIP_2) | instid1(VALU_DEP_1)
	s_or_b32 exec_lo, exec_lo, s16
	v_lshrrev_b32_e32 v0, 16, v5
	s_mov_b32 s16, exec_lo
	v_and_b32_e32 v6, 0xff, v0
	s_delay_alu instid0(VALU_DEP_1)
	v_cmpx_ne_u16_e32 0, v6
	s_cbranch_execz .LBB281_714
; %bb.707:                              ;   in Loop: Header=BB281_15 Depth=1
	v_mov_b32_e32 v126, 0x8000
	s_mov_b32 s17, exec_lo
	v_cmpx_ne_u16_e32 0x80, v6
	s_cbranch_execz .LBB281_713
; %bb.708:                              ;   in Loop: Header=BB281_15 Depth=1
	v_bfe_u32 v9, v5, 16, 7
	v_mov_b32_e32 v126, 0x7c01
	s_mov_b32 s18, exec_lo
	s_delay_alu instid0(VALU_DEP_2)
	v_cmpx_ne_u32_e32 0x7f, v9
	s_cbranch_execz .LBB281_712
; %bb.709:                              ;   in Loop: Header=BB281_15 Depth=1
	v_dual_lshrrev_b32 v8, 3, v9 :: v_dual_bitop2_b32 v6, 7, v0 bitop3:0x40
	s_mov_b32 s19, exec_lo
	v_cmpx_gt_u32_e32 8, v9
; %bb.710:                              ;   in Loop: Header=BB281_15 Depth=1
	s_delay_alu instid0(VALU_DEP_2) | instskip(NEXT) | instid1(VALU_DEP_1)
	v_clz_i32_u32_e32 v6, v6
	v_min_u32_e32 v6, 32, v6
	s_delay_alu instid0(VALU_DEP_1) | instskip(NEXT) | instid1(VALU_DEP_1)
	v_subrev_nc_u32_e32 v8, 28, v6
	v_lshlrev_b64_e32 v[16:17], v8, v[0:1]
	s_delay_alu instid0(VALU_DEP_1)
	v_dual_sub_nc_u32 v8, 29, v6 :: v_dual_bitop2_b32 v6, 7, v16 bitop3:0x40
; %bb.711:                              ;   in Loop: Header=BB281_15 Depth=1
	s_or_b32 exec_lo, exec_lo, s19
	s_delay_alu instid0(VALU_DEP_1) | instskip(NEXT) | instid1(VALU_DEP_2)
	v_dual_lshlrev_b32 v0, 8, v0 :: v_dual_lshlrev_b32 v6, 7, v6
	v_lshl_add_u32 v8, v8, 10, 0x2000
	s_delay_alu instid0(VALU_DEP_2) | instskip(NEXT) | instid1(VALU_DEP_2)
	v_and_b32_e32 v0, 0x8000, v0
	v_and_b32_e32 v8, 0xfc00, v8
	s_delay_alu instid0(VALU_DEP_1)
	v_or3_b32 v126, v0, v8, v6
.LBB281_712:                            ;   in Loop: Header=BB281_15 Depth=1
	s_or_b32 exec_lo, exec_lo, s18
.LBB281_713:                            ;   in Loop: Header=BB281_15 Depth=1
	s_delay_alu instid0(SALU_CYCLE_1)
	s_or_b32 exec_lo, exec_lo, s17
.LBB281_714:                            ;   in Loop: Header=BB281_15 Depth=1
	s_delay_alu instid0(SALU_CYCLE_1)
	s_or_b32 exec_lo, exec_lo, s16
	v_dual_mov_b32 v95, 0 :: v_dual_mov_b32 v104, 0
	s_mov_b32 s16, exec_lo
	v_cmpx_lt_u64_e64 s[8:9], v[4:5]
	s_cbranch_execz .LBB281_722
; %bb.715:                              ;   in Loop: Header=BB281_15 Depth=1
	v_lshrrev_b32_e32 v24, 24, v5
	v_bfrev_b32_e32 v104, 1
	s_mov_b32 s17, exec_lo
	s_delay_alu instid0(VALU_DEP_2)
	v_cmpx_ne_u32_e32 0x80, v24
	s_cbranch_execz .LBB281_721
; %bb.716:                              ;   in Loop: Header=BB281_15 Depth=1
	v_and_b32_e32 v5, 0x7f, v24
	v_mov_b32_e32 v104, 0x7c010000
	s_mov_b32 s18, exec_lo
	s_delay_alu instid0(VALU_DEP_2)
	v_cmpx_ne_u32_e32 0x7f, v5
	s_cbranch_execz .LBB281_720
; %bb.717:                              ;   in Loop: Header=BB281_15 Depth=1
	v_dual_lshrrev_b32 v4, 3, v5 :: v_dual_bitop2_b32 v0, 7, v24 bitop3:0x40
	s_mov_b32 s19, exec_lo
	v_cmpx_gt_u32_e32 8, v5
; %bb.718:                              ;   in Loop: Header=BB281_15 Depth=1
	s_delay_alu instid0(VALU_DEP_2) | instskip(NEXT) | instid1(VALU_DEP_1)
	v_clz_i32_u32_e32 v0, v0
	v_min_u32_e32 v0, 32, v0
	s_delay_alu instid0(VALU_DEP_1) | instskip(NEXT) | instid1(VALU_DEP_1)
	v_subrev_nc_u32_e32 v4, 28, v0
	v_lshlrev_b64_e32 v[8:9], v4, v[24:25]
	v_sub_nc_u32_e32 v4, 29, v0
	s_delay_alu instid0(VALU_DEP_2)
	v_and_b32_e32 v0, 7, v8
; %bb.719:                              ;   in Loop: Header=BB281_15 Depth=1
	s_or_b32 exec_lo, exec_lo, s19
	v_lshlrev_b32_e32 v5, 8, v24
	s_delay_alu instid0(VALU_DEP_3) | instskip(NEXT) | instid1(VALU_DEP_3)
	v_lshl_add_u32 v4, v4, 10, 0x2000
	v_lshlrev_b32_e32 v0, 23, v0
	s_delay_alu instid0(VALU_DEP_2) | instskip(NEXT) | instid1(VALU_DEP_1)
	v_and_or_b32 v4, 0x8000, v5, v4
	v_lshl_or_b32 v104, v4, 16, v0
.LBB281_720:                            ;   in Loop: Header=BB281_15 Depth=1
	s_or_b32 exec_lo, exec_lo, s18
.LBB281_721:                            ;   in Loop: Header=BB281_15 Depth=1
	s_delay_alu instid0(SALU_CYCLE_1)
	s_or_b32 exec_lo, exec_lo, s17
.LBB281_722:                            ;   in Loop: Header=BB281_15 Depth=1
	s_delay_alu instid0(SALU_CYCLE_1)
	s_or_b32 exec_lo, exec_lo, s16
	flat_load_b64 v[4:5], v[2:3] offset:2568
	s_mov_b32 s16, exec_lo
	s_wait_loadcnt_dscnt 0x0
	v_and_b32_e32 v0, 0xff, v4
	s_wait_xcnt 0x0
	s_delay_alu instid0(VALU_DEP_1)
	v_cmpx_ne_u16_e32 0, v0
	s_cbranch_execz .LBB281_730
; %bb.723:                              ;   in Loop: Header=BB281_15 Depth=1
	v_mov_b32_e32 v95, 0x8000
	s_mov_b32 s17, exec_lo
	v_cmpx_ne_u16_e32 0x80, v0
	s_cbranch_execz .LBB281_729
; %bb.724:                              ;   in Loop: Header=BB281_15 Depth=1
	v_and_b32_e32 v8, 0x7f, v4
	v_mov_b32_e32 v95, 0x7c01
	s_mov_b32 s18, exec_lo
	s_delay_alu instid0(VALU_DEP_2)
	v_cmpx_ne_u32_e32 0x7f, v8
	s_cbranch_execz .LBB281_728
; %bb.725:                              ;   in Loop: Header=BB281_15 Depth=1
	v_and_b32_e32 v0, 7, v4
	v_lshrrev_b32_e32 v6, 3, v8
	s_mov_b32 s19, exec_lo
	v_cmpx_gt_u32_e32 8, v8
; %bb.726:                              ;   in Loop: Header=BB281_15 Depth=1
	s_delay_alu instid0(VALU_DEP_3) | instskip(NEXT) | instid1(VALU_DEP_1)
	v_clz_i32_u32_e32 v0, v0
	v_min_u32_e32 v0, 32, v0
	s_delay_alu instid0(VALU_DEP_1) | instskip(NEXT) | instid1(VALU_DEP_1)
	v_subrev_nc_u32_e32 v6, 28, v0
	v_lshlrev_b64_e32 v[8:9], v6, v[4:5]
	v_sub_nc_u32_e32 v6, 29, v0
	s_delay_alu instid0(VALU_DEP_2)
	v_and_b32_e32 v0, 7, v8
; %bb.727:                              ;   in Loop: Header=BB281_15 Depth=1
	s_or_b32 exec_lo, exec_lo, s19
	v_lshlrev_b32_e32 v8, 8, v4
	s_delay_alu instid0(VALU_DEP_3) | instskip(NEXT) | instid1(VALU_DEP_3)
	v_lshl_add_u32 v6, v6, 10, 0x2000
	v_lshlrev_b32_e32 v0, 7, v0
	s_delay_alu instid0(VALU_DEP_3) | instskip(NEXT) | instid1(VALU_DEP_3)
	v_and_b32_e32 v8, 0x8000, v8
	v_and_b32_e32 v6, 0xfc00, v6
	s_delay_alu instid0(VALU_DEP_1)
	v_or3_b32 v95, v8, v6, v0
.LBB281_728:                            ;   in Loop: Header=BB281_15 Depth=1
	s_or_b32 exec_lo, exec_lo, s18
.LBB281_729:                            ;   in Loop: Header=BB281_15 Depth=1
	s_delay_alu instid0(SALU_CYCLE_1)
	s_or_b32 exec_lo, exec_lo, s17
.LBB281_730:                            ;   in Loop: Header=BB281_15 Depth=1
	s_delay_alu instid0(SALU_CYCLE_1) | instskip(SKIP_3) | instid1(VALU_DEP_2)
	s_or_b32 exec_lo, exec_lo, s16
	v_lshrrev_b16 v24, 8, v4
	v_dual_mov_b32 v23, 0 :: v_dual_mov_b32 v124, 0
	s_mov_b32 s16, exec_lo
	v_cmpx_ne_u16_e32 0, v24
	s_cbranch_execz .LBB281_738
; %bb.731:                              ;   in Loop: Header=BB281_15 Depth=1
	v_bfrev_b32_e32 v124, 1
	s_mov_b32 s17, exec_lo
	v_cmpx_ne_u16_e32 0x80, v24
	s_cbranch_execz .LBB281_737
; %bb.732:                              ;   in Loop: Header=BB281_15 Depth=1
	v_and_b32_e32 v0, 0xffff, v24
	v_mov_b32_e32 v124, 0x7c010000
	s_mov_b32 s18, exec_lo
	s_delay_alu instid0(VALU_DEP_2) | instskip(NEXT) | instid1(VALU_DEP_1)
	v_and_b32_e32 v9, 0x7f, v0
	v_cmpx_ne_u32_e32 0x7f, v9
	s_cbranch_execz .LBB281_736
; %bb.733:                              ;   in Loop: Header=BB281_15 Depth=1
	v_dual_lshrrev_b32 v8, 3, v9 :: v_dual_bitop2_b32 v6, 7, v0 bitop3:0x40
	s_mov_b32 s19, exec_lo
	v_cmpx_gt_u32_e32 8, v9
; %bb.734:                              ;   in Loop: Header=BB281_15 Depth=1
	s_delay_alu instid0(VALU_DEP_2) | instskip(NEXT) | instid1(VALU_DEP_1)
	v_clz_i32_u32_e32 v6, v6
	v_min_u32_e32 v6, 32, v6
	s_delay_alu instid0(VALU_DEP_1) | instskip(NEXT) | instid1(VALU_DEP_1)
	v_subrev_nc_u32_e32 v8, 28, v6
	v_lshlrev_b64_e32 v[16:17], v8, v[24:25]
	s_delay_alu instid0(VALU_DEP_1)
	v_dual_sub_nc_u32 v8, 29, v6 :: v_dual_bitop2_b32 v6, 7, v16 bitop3:0x40
; %bb.735:                              ;   in Loop: Header=BB281_15 Depth=1
	s_or_b32 exec_lo, exec_lo, s19
	s_delay_alu instid0(VALU_DEP_1) | instskip(NEXT) | instid1(VALU_DEP_2)
	v_dual_lshlrev_b32 v0, 8, v0 :: v_dual_lshlrev_b32 v6, 23, v6
	v_lshl_add_u32 v8, v8, 10, 0x2000
	s_delay_alu instid0(VALU_DEP_1) | instskip(NEXT) | instid1(VALU_DEP_1)
	v_and_or_b32 v0, 0x8000, v0, v8
	v_lshl_or_b32 v124, v0, 16, v6
.LBB281_736:                            ;   in Loop: Header=BB281_15 Depth=1
	s_or_b32 exec_lo, exec_lo, s18
.LBB281_737:                            ;   in Loop: Header=BB281_15 Depth=1
	s_delay_alu instid0(SALU_CYCLE_1)
	s_or_b32 exec_lo, exec_lo, s17
.LBB281_738:                            ;   in Loop: Header=BB281_15 Depth=1
	s_delay_alu instid0(SALU_CYCLE_1) | instskip(SKIP_2) | instid1(VALU_DEP_1)
	s_or_b32 exec_lo, exec_lo, s16
	v_lshrrev_b32_e32 v0, 16, v4
	s_mov_b32 s16, exec_lo
	v_and_b32_e32 v6, 0xff, v0
	s_delay_alu instid0(VALU_DEP_1)
	v_cmpx_ne_u16_e32 0, v6
	s_cbranch_execz .LBB281_746
; %bb.739:                              ;   in Loop: Header=BB281_15 Depth=1
	v_mov_b32_e32 v23, 0x8000
	s_mov_b32 s17, exec_lo
	v_cmpx_ne_u16_e32 0x80, v6
	s_cbranch_execz .LBB281_745
; %bb.740:                              ;   in Loop: Header=BB281_15 Depth=1
	v_bfe_u32 v9, v4, 16, 7
	v_mov_b32_e32 v23, 0x7c01
	s_mov_b32 s18, exec_lo
	s_delay_alu instid0(VALU_DEP_2)
	v_cmpx_ne_u32_e32 0x7f, v9
	s_cbranch_execz .LBB281_744
; %bb.741:                              ;   in Loop: Header=BB281_15 Depth=1
	v_dual_lshrrev_b32 v8, 3, v9 :: v_dual_bitop2_b32 v6, 7, v0 bitop3:0x40
	s_mov_b32 s19, exec_lo
	v_cmpx_gt_u32_e32 8, v9
; %bb.742:                              ;   in Loop: Header=BB281_15 Depth=1
	s_delay_alu instid0(VALU_DEP_2) | instskip(NEXT) | instid1(VALU_DEP_1)
	v_clz_i32_u32_e32 v6, v6
	v_min_u32_e32 v6, 32, v6
	s_delay_alu instid0(VALU_DEP_1) | instskip(NEXT) | instid1(VALU_DEP_1)
	v_subrev_nc_u32_e32 v8, 28, v6
	v_lshlrev_b64_e32 v[16:17], v8, v[0:1]
	s_delay_alu instid0(VALU_DEP_1)
	v_dual_sub_nc_u32 v8, 29, v6 :: v_dual_bitop2_b32 v6, 7, v16 bitop3:0x40
; %bb.743:                              ;   in Loop: Header=BB281_15 Depth=1
	s_or_b32 exec_lo, exec_lo, s19
	s_delay_alu instid0(VALU_DEP_1) | instskip(NEXT) | instid1(VALU_DEP_2)
	v_dual_lshlrev_b32 v0, 8, v0 :: v_dual_lshlrev_b32 v6, 7, v6
	v_lshl_add_u32 v8, v8, 10, 0x2000
	s_delay_alu instid0(VALU_DEP_2) | instskip(NEXT) | instid1(VALU_DEP_2)
	v_and_b32_e32 v0, 0x8000, v0
	v_and_b32_e32 v8, 0xfc00, v8
	s_delay_alu instid0(VALU_DEP_1)
	v_or3_b32 v23, v0, v8, v6
.LBB281_744:                            ;   in Loop: Header=BB281_15 Depth=1
	s_or_b32 exec_lo, exec_lo, s18
.LBB281_745:                            ;   in Loop: Header=BB281_15 Depth=1
	s_delay_alu instid0(SALU_CYCLE_1)
	s_or_b32 exec_lo, exec_lo, s17
.LBB281_746:                            ;   in Loop: Header=BB281_15 Depth=1
	s_delay_alu instid0(SALU_CYCLE_1)
	s_or_b32 exec_lo, exec_lo, s16
	v_dual_mov_b32 v13, 0 :: v_dual_mov_b32 v19, 0
	s_mov_b32 s16, exec_lo
	v_cmpx_lt_u32_e32 0xffffff, v4
	s_cbranch_execz .LBB281_754
; %bb.747:                              ;   in Loop: Header=BB281_15 Depth=1
	v_lshrrev_b32_e32 v24, 24, v4
	v_bfrev_b32_e32 v19, 1
	s_mov_b32 s17, exec_lo
	s_delay_alu instid0(VALU_DEP_2)
	v_cmpx_ne_u32_e32 0x80, v24
	s_cbranch_execz .LBB281_753
; %bb.748:                              ;   in Loop: Header=BB281_15 Depth=1
	v_and_b32_e32 v8, 0x7f, v24
	v_mov_b32_e32 v19, 0x7c010000
	s_mov_b32 s18, exec_lo
	s_delay_alu instid0(VALU_DEP_2)
	v_cmpx_ne_u32_e32 0x7f, v8
	s_cbranch_execz .LBB281_752
; %bb.749:                              ;   in Loop: Header=BB281_15 Depth=1
	v_and_b32_e32 v0, 7, v24
	v_lshrrev_b32_e32 v6, 3, v8
	s_mov_b32 s19, exec_lo
	v_cmpx_gt_u32_e32 8, v8
; %bb.750:                              ;   in Loop: Header=BB281_15 Depth=1
	s_delay_alu instid0(VALU_DEP_3) | instskip(NEXT) | instid1(VALU_DEP_1)
	v_clz_i32_u32_e32 v0, v0
	v_min_u32_e32 v0, 32, v0
	s_delay_alu instid0(VALU_DEP_1) | instskip(NEXT) | instid1(VALU_DEP_1)
	v_subrev_nc_u32_e32 v6, 28, v0
	v_lshlrev_b64_e32 v[8:9], v6, v[24:25]
	v_sub_nc_u32_e32 v6, 29, v0
	s_delay_alu instid0(VALU_DEP_2)
	v_and_b32_e32 v0, 7, v8
; %bb.751:                              ;   in Loop: Header=BB281_15 Depth=1
	s_or_b32 exec_lo, exec_lo, s19
	v_lshlrev_b32_e32 v8, 8, v24
	s_delay_alu instid0(VALU_DEP_3) | instskip(NEXT) | instid1(VALU_DEP_3)
	v_lshl_add_u32 v6, v6, 10, 0x2000
	v_lshlrev_b32_e32 v0, 23, v0
	s_delay_alu instid0(VALU_DEP_2) | instskip(NEXT) | instid1(VALU_DEP_1)
	v_and_or_b32 v6, 0x8000, v8, v6
	v_lshl_or_b32 v19, v6, 16, v0
.LBB281_752:                            ;   in Loop: Header=BB281_15 Depth=1
	s_or_b32 exec_lo, exec_lo, s18
.LBB281_753:                            ;   in Loop: Header=BB281_15 Depth=1
	s_delay_alu instid0(SALU_CYCLE_1)
	s_or_b32 exec_lo, exec_lo, s17
.LBB281_754:                            ;   in Loop: Header=BB281_15 Depth=1
	s_delay_alu instid0(SALU_CYCLE_1) | instskip(SKIP_3) | instid1(VALU_DEP_2)
	s_or_b32 exec_lo, exec_lo, s16
	v_and_b32_e32 v0, 0xff, v5
	v_mov_b32_e32 v24, v5
	s_mov_b32 s16, exec_lo
	v_cmpx_ne_u16_e32 0, v0
	s_cbranch_execz .LBB281_762
; %bb.755:                              ;   in Loop: Header=BB281_15 Depth=1
	v_mov_b32_e32 v13, 0x8000
	s_mov_b32 s17, exec_lo
	v_cmpx_ne_u16_e32 0x80, v0
	s_cbranch_execz .LBB281_761
; %bb.756:                              ;   in Loop: Header=BB281_15 Depth=1
	v_and_b32_e32 v8, 0x7f, v5
	v_mov_b32_e32 v13, 0x7c01
	s_mov_b32 s18, exec_lo
	s_delay_alu instid0(VALU_DEP_2)
	v_cmpx_ne_u32_e32 0x7f, v8
	s_cbranch_execz .LBB281_760
; %bb.757:                              ;   in Loop: Header=BB281_15 Depth=1
	v_dual_lshrrev_b32 v6, 3, v8 :: v_dual_bitop2_b32 v0, 7, v5 bitop3:0x40
	s_mov_b32 s19, exec_lo
	v_cmpx_gt_u32_e32 8, v8
; %bb.758:                              ;   in Loop: Header=BB281_15 Depth=1
	s_delay_alu instid0(VALU_DEP_2) | instskip(NEXT) | instid1(VALU_DEP_1)
	v_clz_i32_u32_e32 v0, v0
	v_min_u32_e32 v0, 32, v0
	s_delay_alu instid0(VALU_DEP_1) | instskip(NEXT) | instid1(VALU_DEP_1)
	v_subrev_nc_u32_e32 v6, 28, v0
	v_lshlrev_b64_e32 v[8:9], v6, v[24:25]
	v_sub_nc_u32_e32 v6, 29, v0
	s_delay_alu instid0(VALU_DEP_2)
	v_and_b32_e32 v0, 7, v8
; %bb.759:                              ;   in Loop: Header=BB281_15 Depth=1
	s_or_b32 exec_lo, exec_lo, s19
	s_delay_alu instid0(VALU_DEP_1) | instskip(NEXT) | instid1(VALU_DEP_3)
	v_dual_lshlrev_b32 v8, 8, v5 :: v_dual_lshlrev_b32 v0, 7, v0
	v_lshl_add_u32 v6, v6, 10, 0x2000
	s_delay_alu instid0(VALU_DEP_2) | instskip(NEXT) | instid1(VALU_DEP_2)
	v_and_b32_e32 v8, 0x8000, v8
	v_and_b32_e32 v6, 0xfc00, v6
	s_delay_alu instid0(VALU_DEP_1)
	v_or3_b32 v13, v8, v6, v0
.LBB281_760:                            ;   in Loop: Header=BB281_15 Depth=1
	s_or_b32 exec_lo, exec_lo, s18
.LBB281_761:                            ;   in Loop: Header=BB281_15 Depth=1
	s_delay_alu instid0(SALU_CYCLE_1)
	s_or_b32 exec_lo, exec_lo, s17
.LBB281_762:                            ;   in Loop: Header=BB281_15 Depth=1
	s_delay_alu instid0(SALU_CYCLE_1) | instskip(SKIP_3) | instid1(VALU_DEP_2)
	s_or_b32 exec_lo, exec_lo, s16
	v_lshrrev_b16 v24, 8, v24
	v_dual_mov_b32 v26, 0 :: v_dual_mov_b32 v27, 0
	s_mov_b32 s16, exec_lo
	v_cmpx_ne_u16_e32 0, v24
	s_cbranch_execz .LBB281_770
; %bb.763:                              ;   in Loop: Header=BB281_15 Depth=1
	v_bfrev_b32_e32 v27, 1
	s_mov_b32 s17, exec_lo
	v_cmpx_ne_u16_e32 0x80, v24
	s_cbranch_execz .LBB281_769
; %bb.764:                              ;   in Loop: Header=BB281_15 Depth=1
	v_and_b32_e32 v0, 0xffff, v24
	v_mov_b32_e32 v27, 0x7c010000
	s_mov_b32 s18, exec_lo
	s_delay_alu instid0(VALU_DEP_2) | instskip(NEXT) | instid1(VALU_DEP_1)
	v_and_b32_e32 v9, 0x7f, v0
	v_cmpx_ne_u32_e32 0x7f, v9
	s_cbranch_execz .LBB281_768
; %bb.765:                              ;   in Loop: Header=BB281_15 Depth=1
	v_dual_lshrrev_b32 v8, 3, v9 :: v_dual_bitop2_b32 v6, 7, v0 bitop3:0x40
	s_mov_b32 s19, exec_lo
	v_cmpx_gt_u32_e32 8, v9
; %bb.766:                              ;   in Loop: Header=BB281_15 Depth=1
	s_delay_alu instid0(VALU_DEP_2) | instskip(NEXT) | instid1(VALU_DEP_1)
	v_clz_i32_u32_e32 v6, v6
	v_min_u32_e32 v6, 32, v6
	s_delay_alu instid0(VALU_DEP_1) | instskip(NEXT) | instid1(VALU_DEP_1)
	v_subrev_nc_u32_e32 v8, 28, v6
	v_lshlrev_b64_e32 v[16:17], v8, v[24:25]
	s_delay_alu instid0(VALU_DEP_1)
	v_dual_sub_nc_u32 v8, 29, v6 :: v_dual_bitop2_b32 v6, 7, v16 bitop3:0x40
; %bb.767:                              ;   in Loop: Header=BB281_15 Depth=1
	s_or_b32 exec_lo, exec_lo, s19
	s_delay_alu instid0(VALU_DEP_1) | instskip(NEXT) | instid1(VALU_DEP_2)
	v_dual_lshlrev_b32 v0, 8, v0 :: v_dual_lshlrev_b32 v6, 23, v6
	v_lshl_add_u32 v8, v8, 10, 0x2000
	s_delay_alu instid0(VALU_DEP_1) | instskip(NEXT) | instid1(VALU_DEP_1)
	v_and_or_b32 v0, 0x8000, v0, v8
	v_lshl_or_b32 v27, v0, 16, v6
.LBB281_768:                            ;   in Loop: Header=BB281_15 Depth=1
	s_or_b32 exec_lo, exec_lo, s18
.LBB281_769:                            ;   in Loop: Header=BB281_15 Depth=1
	s_delay_alu instid0(SALU_CYCLE_1)
	s_or_b32 exec_lo, exec_lo, s17
.LBB281_770:                            ;   in Loop: Header=BB281_15 Depth=1
	s_delay_alu instid0(SALU_CYCLE_1) | instskip(SKIP_2) | instid1(VALU_DEP_1)
	s_or_b32 exec_lo, exec_lo, s16
	v_lshrrev_b32_e32 v0, 16, v5
	s_mov_b32 s16, exec_lo
	v_and_b32_e32 v6, 0xff, v0
	s_delay_alu instid0(VALU_DEP_1)
	v_cmpx_ne_u16_e32 0, v6
	s_cbranch_execz .LBB281_778
; %bb.771:                              ;   in Loop: Header=BB281_15 Depth=1
	v_mov_b32_e32 v26, 0x8000
	s_mov_b32 s17, exec_lo
	v_cmpx_ne_u16_e32 0x80, v6
	s_cbranch_execz .LBB281_777
; %bb.772:                              ;   in Loop: Header=BB281_15 Depth=1
	v_bfe_u32 v9, v5, 16, 7
	v_mov_b32_e32 v26, 0x7c01
	s_mov_b32 s18, exec_lo
	s_delay_alu instid0(VALU_DEP_2)
	v_cmpx_ne_u32_e32 0x7f, v9
	s_cbranch_execz .LBB281_776
; %bb.773:                              ;   in Loop: Header=BB281_15 Depth=1
	v_dual_lshrrev_b32 v8, 3, v9 :: v_dual_bitop2_b32 v6, 7, v0 bitop3:0x40
	s_mov_b32 s19, exec_lo
	v_cmpx_gt_u32_e32 8, v9
; %bb.774:                              ;   in Loop: Header=BB281_15 Depth=1
	s_delay_alu instid0(VALU_DEP_2) | instskip(NEXT) | instid1(VALU_DEP_1)
	v_clz_i32_u32_e32 v6, v6
	v_min_u32_e32 v6, 32, v6
	s_delay_alu instid0(VALU_DEP_1) | instskip(NEXT) | instid1(VALU_DEP_1)
	v_subrev_nc_u32_e32 v8, 28, v6
	v_lshlrev_b64_e32 v[16:17], v8, v[0:1]
	s_delay_alu instid0(VALU_DEP_1)
	v_dual_sub_nc_u32 v8, 29, v6 :: v_dual_bitop2_b32 v6, 7, v16 bitop3:0x40
; %bb.775:                              ;   in Loop: Header=BB281_15 Depth=1
	s_or_b32 exec_lo, exec_lo, s19
	s_delay_alu instid0(VALU_DEP_1) | instskip(NEXT) | instid1(VALU_DEP_2)
	v_dual_lshlrev_b32 v0, 8, v0 :: v_dual_lshlrev_b32 v6, 7, v6
	v_lshl_add_u32 v8, v8, 10, 0x2000
	s_delay_alu instid0(VALU_DEP_2) | instskip(NEXT) | instid1(VALU_DEP_2)
	v_and_b32_e32 v0, 0x8000, v0
	v_and_b32_e32 v8, 0xfc00, v8
	s_delay_alu instid0(VALU_DEP_1)
	v_or3_b32 v26, v0, v8, v6
.LBB281_776:                            ;   in Loop: Header=BB281_15 Depth=1
	s_or_b32 exec_lo, exec_lo, s18
.LBB281_777:                            ;   in Loop: Header=BB281_15 Depth=1
	s_delay_alu instid0(SALU_CYCLE_1)
	s_or_b32 exec_lo, exec_lo, s17
.LBB281_778:                            ;   in Loop: Header=BB281_15 Depth=1
	s_delay_alu instid0(SALU_CYCLE_1)
	s_or_b32 exec_lo, exec_lo, s16
	v_mov_b32_e32 v0, 0
	s_mov_b32 s16, exec_lo
	scratch_store_b32 off, v0, s32 offset:236 ; 4-byte Folded Spill
	s_wait_xcnt 0x0
	v_mov_b32_e32 v0, 0
	scratch_store_b32 off, v0, s32 offset:240 ; 4-byte Folded Spill
	s_wait_xcnt 0x0
	v_cmpx_lt_u64_e64 s[8:9], v[4:5]
	s_cbranch_execz .LBB281_786
; %bb.779:                              ;   in Loop: Header=BB281_15 Depth=1
	v_lshrrev_b32_e32 v24, 24, v5
	v_bfrev_b32_e32 v0, 1
	s_mov_b32 s17, exec_lo
	scratch_store_b32 off, v0, s32 offset:240 ; 4-byte Folded Spill
	s_wait_xcnt 0x0
	v_cmpx_ne_u32_e32 0x80, v24
	s_cbranch_execz .LBB281_785
; %bb.780:                              ;   in Loop: Header=BB281_15 Depth=1
	v_and_b32_e32 v5, 0x7f, v24
	v_mov_b32_e32 v0, 0x7c010000
	s_mov_b32 s18, exec_lo
	scratch_store_b32 off, v0, s32 offset:240 ; 4-byte Folded Spill
	s_wait_xcnt 0x0
	v_cmpx_ne_u32_e32 0x7f, v5
	s_cbranch_execz .LBB281_784
; %bb.781:                              ;   in Loop: Header=BB281_15 Depth=1
	v_dual_lshrrev_b32 v4, 3, v5 :: v_dual_bitop2_b32 v0, 7, v24 bitop3:0x40
	s_mov_b32 s19, exec_lo
	v_cmpx_gt_u32_e32 8, v5
; %bb.782:                              ;   in Loop: Header=BB281_15 Depth=1
	s_delay_alu instid0(VALU_DEP_2) | instskip(NEXT) | instid1(VALU_DEP_1)
	v_clz_i32_u32_e32 v0, v0
	v_min_u32_e32 v0, 32, v0
	s_delay_alu instid0(VALU_DEP_1) | instskip(NEXT) | instid1(VALU_DEP_1)
	v_subrev_nc_u32_e32 v4, 28, v0
	v_lshlrev_b64_e32 v[8:9], v4, v[24:25]
	v_sub_nc_u32_e32 v4, 29, v0
	s_delay_alu instid0(VALU_DEP_2)
	v_and_b32_e32 v0, 7, v8
; %bb.783:                              ;   in Loop: Header=BB281_15 Depth=1
	s_or_b32 exec_lo, exec_lo, s19
	v_lshlrev_b32_e32 v5, 8, v24
	s_delay_alu instid0(VALU_DEP_3) | instskip(NEXT) | instid1(VALU_DEP_3)
	v_lshl_add_u32 v4, v4, 10, 0x2000
	v_lshlrev_b32_e32 v0, 23, v0
	s_delay_alu instid0(VALU_DEP_2) | instskip(NEXT) | instid1(VALU_DEP_1)
	v_and_or_b32 v4, 0x8000, v5, v4
	v_lshl_or_b32 v0, v4, 16, v0
	scratch_store_b32 off, v0, s32 offset:240 ; 4-byte Folded Spill
.LBB281_784:                            ;   in Loop: Header=BB281_15 Depth=1
	s_wait_xcnt 0x0
	s_or_b32 exec_lo, exec_lo, s18
.LBB281_785:                            ;   in Loop: Header=BB281_15 Depth=1
	s_delay_alu instid0(SALU_CYCLE_1)
	s_or_b32 exec_lo, exec_lo, s17
.LBB281_786:                            ;   in Loop: Header=BB281_15 Depth=1
	s_delay_alu instid0(SALU_CYCLE_1)
	s_or_b32 exec_lo, exec_lo, s16
	flat_load_b64 v[4:5], v[2:3] offset:3072
	s_mov_b32 s16, exec_lo
	s_wait_loadcnt_dscnt 0x0
	v_and_b32_e32 v0, 0xff, v4
	s_wait_xcnt 0x0
	s_delay_alu instid0(VALU_DEP_1)
	v_cmpx_ne_u16_e32 0, v0
	s_cbranch_execz .LBB281_794
; %bb.787:                              ;   in Loop: Header=BB281_15 Depth=1
	v_cmp_ne_u16_e64 s1, 0x80, v0
	v_mov_b32_e32 v0, 0x8000
	scratch_store_b32 off, v0, s32 offset:236 ; 4-byte Folded Spill
	s_wait_xcnt 0x0
	s_and_saveexec_b32 s17, s1
	s_cbranch_execz .LBB281_793
; %bb.788:                              ;   in Loop: Header=BB281_15 Depth=1
	v_and_b32_e32 v8, 0x7f, v4
	v_mov_b32_e32 v0, 0x7c01
	s_mov_b32 s18, exec_lo
	scratch_store_b32 off, v0, s32 offset:236 ; 4-byte Folded Spill
	s_wait_xcnt 0x0
	v_cmpx_ne_u32_e32 0x7f, v8
	s_cbranch_execz .LBB281_792
; %bb.789:                              ;   in Loop: Header=BB281_15 Depth=1
	v_and_b32_e32 v0, 7, v4
	v_lshrrev_b32_e32 v6, 3, v8
	s_mov_b32 s19, exec_lo
	v_cmpx_gt_u32_e32 8, v8
; %bb.790:                              ;   in Loop: Header=BB281_15 Depth=1
	s_delay_alu instid0(VALU_DEP_3) | instskip(NEXT) | instid1(VALU_DEP_1)
	v_clz_i32_u32_e32 v0, v0
	v_min_u32_e32 v0, 32, v0
	s_delay_alu instid0(VALU_DEP_1) | instskip(NEXT) | instid1(VALU_DEP_1)
	v_subrev_nc_u32_e32 v6, 28, v0
	v_lshlrev_b64_e32 v[8:9], v6, v[4:5]
	v_sub_nc_u32_e32 v6, 29, v0
	s_delay_alu instid0(VALU_DEP_2)
	v_and_b32_e32 v0, 7, v8
; %bb.791:                              ;   in Loop: Header=BB281_15 Depth=1
	s_or_b32 exec_lo, exec_lo, s19
	v_lshlrev_b32_e32 v8, 8, v4
	s_delay_alu instid0(VALU_DEP_3) | instskip(NEXT) | instid1(VALU_DEP_3)
	v_lshl_add_u32 v6, v6, 10, 0x2000
	v_lshlrev_b32_e32 v0, 7, v0
	s_delay_alu instid0(VALU_DEP_3) | instskip(NEXT) | instid1(VALU_DEP_3)
	v_and_b32_e32 v8, 0x8000, v8
	v_and_b32_e32 v6, 0xfc00, v6
	s_delay_alu instid0(VALU_DEP_1)
	v_or3_b32 v0, v8, v6, v0
	scratch_store_b32 off, v0, s32 offset:236 ; 4-byte Folded Spill
.LBB281_792:                            ;   in Loop: Header=BB281_15 Depth=1
	s_wait_xcnt 0x0
	s_or_b32 exec_lo, exec_lo, s18
.LBB281_793:                            ;   in Loop: Header=BB281_15 Depth=1
	s_delay_alu instid0(SALU_CYCLE_1)
	s_or_b32 exec_lo, exec_lo, s17
.LBB281_794:                            ;   in Loop: Header=BB281_15 Depth=1
	s_delay_alu instid0(SALU_CYCLE_1)
	s_or_b32 exec_lo, exec_lo, s16
	v_mov_b32_e32 v0, 0
	v_lshrrev_b16 v24, 8, v4
	s_mov_b32 s16, exec_lo
	scratch_store_b32 off, v0, s32 offset:244 ; 4-byte Folded Spill
	s_wait_xcnt 0x0
	v_mov_b32_e32 v0, 0
	scratch_store_b32 off, v0, s32 offset:248 ; 4-byte Folded Spill
	s_wait_xcnt 0x0
	v_cmpx_ne_u16_e32 0, v24
	s_cbranch_execz .LBB281_802
; %bb.795:                              ;   in Loop: Header=BB281_15 Depth=1
	v_bfrev_b32_e32 v0, 1
	s_mov_b32 s17, exec_lo
	scratch_store_b32 off, v0, s32 offset:248 ; 4-byte Folded Spill
	s_wait_xcnt 0x0
	v_cmpx_ne_u16_e32 0x80, v24
	s_cbranch_execz .LBB281_801
; %bb.796:                              ;   in Loop: Header=BB281_15 Depth=1
	v_and_b32_e32 v0, 0xffff, v24
	v_mov_b32_e32 v6, 0x7c010000
	s_mov_b32 s18, exec_lo
	s_delay_alu instid0(VALU_DEP_2)
	v_and_b32_e32 v9, 0x7f, v0
	scratch_store_b32 off, v6, s32 offset:248 ; 4-byte Folded Spill
	s_wait_xcnt 0x0
	v_cmpx_ne_u32_e32 0x7f, v9
	s_cbranch_execz .LBB281_800
; %bb.797:                              ;   in Loop: Header=BB281_15 Depth=1
	v_dual_lshrrev_b32 v8, 3, v9 :: v_dual_bitop2_b32 v6, 7, v0 bitop3:0x40
	s_mov_b32 s19, exec_lo
	v_cmpx_gt_u32_e32 8, v9
; %bb.798:                              ;   in Loop: Header=BB281_15 Depth=1
	s_delay_alu instid0(VALU_DEP_2) | instskip(NEXT) | instid1(VALU_DEP_1)
	v_clz_i32_u32_e32 v6, v6
	v_min_u32_e32 v6, 32, v6
	s_delay_alu instid0(VALU_DEP_1) | instskip(NEXT) | instid1(VALU_DEP_1)
	v_subrev_nc_u32_e32 v8, 28, v6
	v_lshlrev_b64_e32 v[16:17], v8, v[24:25]
	s_delay_alu instid0(VALU_DEP_1)
	v_dual_sub_nc_u32 v8, 29, v6 :: v_dual_bitop2_b32 v6, 7, v16 bitop3:0x40
; %bb.799:                              ;   in Loop: Header=BB281_15 Depth=1
	s_or_b32 exec_lo, exec_lo, s19
	s_delay_alu instid0(VALU_DEP_1) | instskip(NEXT) | instid1(VALU_DEP_2)
	v_dual_lshlrev_b32 v0, 8, v0 :: v_dual_lshlrev_b32 v6, 23, v6
	v_lshl_add_u32 v8, v8, 10, 0x2000
	s_delay_alu instid0(VALU_DEP_1) | instskip(NEXT) | instid1(VALU_DEP_1)
	v_and_or_b32 v0, 0x8000, v0, v8
	v_lshl_or_b32 v0, v0, 16, v6
	scratch_store_b32 off, v0, s32 offset:248 ; 4-byte Folded Spill
.LBB281_800:                            ;   in Loop: Header=BB281_15 Depth=1
	s_wait_xcnt 0x0
	s_or_b32 exec_lo, exec_lo, s18
.LBB281_801:                            ;   in Loop: Header=BB281_15 Depth=1
	s_delay_alu instid0(SALU_CYCLE_1)
	s_or_b32 exec_lo, exec_lo, s17
.LBB281_802:                            ;   in Loop: Header=BB281_15 Depth=1
	s_delay_alu instid0(SALU_CYCLE_1) | instskip(SKIP_2) | instid1(VALU_DEP_1)
	s_or_b32 exec_lo, exec_lo, s16
	v_lshrrev_b32_e32 v0, 16, v4
	s_mov_b32 s16, exec_lo
	v_and_b32_e32 v6, 0xff, v0
	s_delay_alu instid0(VALU_DEP_1)
	v_cmpx_ne_u16_e32 0, v6
	s_cbranch_execz .LBB281_810
; %bb.803:                              ;   in Loop: Header=BB281_15 Depth=1
	v_cmp_ne_u16_e64 s1, 0x80, v6
	v_mov_b32_e32 v6, 0x8000
	scratch_store_b32 off, v6, s32 offset:244 ; 4-byte Folded Spill
	s_wait_xcnt 0x0
	s_and_saveexec_b32 s17, s1
	s_cbranch_execz .LBB281_809
; %bb.804:                              ;   in Loop: Header=BB281_15 Depth=1
	v_bfe_u32 v9, v4, 16, 7
	v_mov_b32_e32 v6, 0x7c01
	s_mov_b32 s18, exec_lo
	scratch_store_b32 off, v6, s32 offset:244 ; 4-byte Folded Spill
	s_wait_xcnt 0x0
	v_cmpx_ne_u32_e32 0x7f, v9
	s_cbranch_execz .LBB281_808
; %bb.805:                              ;   in Loop: Header=BB281_15 Depth=1
	v_dual_lshrrev_b32 v8, 3, v9 :: v_dual_bitop2_b32 v6, 7, v0 bitop3:0x40
	s_mov_b32 s19, exec_lo
	v_cmpx_gt_u32_e32 8, v9
; %bb.806:                              ;   in Loop: Header=BB281_15 Depth=1
	s_delay_alu instid0(VALU_DEP_2) | instskip(NEXT) | instid1(VALU_DEP_1)
	v_clz_i32_u32_e32 v6, v6
	v_min_u32_e32 v6, 32, v6
	s_delay_alu instid0(VALU_DEP_1) | instskip(NEXT) | instid1(VALU_DEP_1)
	v_subrev_nc_u32_e32 v8, 28, v6
	v_lshlrev_b64_e32 v[16:17], v8, v[0:1]
	s_delay_alu instid0(VALU_DEP_1)
	v_dual_sub_nc_u32 v8, 29, v6 :: v_dual_bitop2_b32 v6, 7, v16 bitop3:0x40
; %bb.807:                              ;   in Loop: Header=BB281_15 Depth=1
	s_or_b32 exec_lo, exec_lo, s19
	s_delay_alu instid0(VALU_DEP_1) | instskip(NEXT) | instid1(VALU_DEP_2)
	v_dual_lshlrev_b32 v0, 8, v0 :: v_dual_lshlrev_b32 v6, 7, v6
	v_lshl_add_u32 v8, v8, 10, 0x2000
	s_delay_alu instid0(VALU_DEP_2) | instskip(NEXT) | instid1(VALU_DEP_2)
	v_and_b32_e32 v0, 0x8000, v0
	v_and_b32_e32 v8, 0xfc00, v8
	s_delay_alu instid0(VALU_DEP_1)
	v_or3_b32 v0, v0, v8, v6
	scratch_store_b32 off, v0, s32 offset:244 ; 4-byte Folded Spill
.LBB281_808:                            ;   in Loop: Header=BB281_15 Depth=1
	s_wait_xcnt 0x0
	s_or_b32 exec_lo, exec_lo, s18
.LBB281_809:                            ;   in Loop: Header=BB281_15 Depth=1
	s_delay_alu instid0(SALU_CYCLE_1)
	s_or_b32 exec_lo, exec_lo, s17
.LBB281_810:                            ;   in Loop: Header=BB281_15 Depth=1
	s_delay_alu instid0(SALU_CYCLE_1)
	s_or_b32 exec_lo, exec_lo, s16
	v_mov_b32_e32 v0, 0
	s_mov_b32 s16, exec_lo
	scratch_store_b32 off, v0, s32 offset:252 ; 4-byte Folded Spill
	s_wait_xcnt 0x0
	v_mov_b32_e32 v0, 0
	scratch_store_b32 off, v0, s32 offset:256 ; 4-byte Folded Spill
	s_wait_xcnt 0x0
	v_cmpx_lt_u32_e32 0xffffff, v4
	s_cbranch_execz .LBB281_818
; %bb.811:                              ;   in Loop: Header=BB281_15 Depth=1
	v_lshrrev_b32_e32 v24, 24, v4
	v_bfrev_b32_e32 v0, 1
	s_mov_b32 s17, exec_lo
	scratch_store_b32 off, v0, s32 offset:256 ; 4-byte Folded Spill
	s_wait_xcnt 0x0
	v_cmpx_ne_u32_e32 0x80, v24
	s_cbranch_execz .LBB281_817
; %bb.812:                              ;   in Loop: Header=BB281_15 Depth=1
	v_and_b32_e32 v8, 0x7f, v24
	v_mov_b32_e32 v0, 0x7c010000
	s_mov_b32 s18, exec_lo
	scratch_store_b32 off, v0, s32 offset:256 ; 4-byte Folded Spill
	s_wait_xcnt 0x0
	v_cmpx_ne_u32_e32 0x7f, v8
	s_cbranch_execz .LBB281_816
; %bb.813:                              ;   in Loop: Header=BB281_15 Depth=1
	v_and_b32_e32 v0, 7, v24
	v_lshrrev_b32_e32 v6, 3, v8
	s_mov_b32 s19, exec_lo
	v_cmpx_gt_u32_e32 8, v8
; %bb.814:                              ;   in Loop: Header=BB281_15 Depth=1
	s_delay_alu instid0(VALU_DEP_3) | instskip(NEXT) | instid1(VALU_DEP_1)
	v_clz_i32_u32_e32 v0, v0
	v_min_u32_e32 v0, 32, v0
	s_delay_alu instid0(VALU_DEP_1) | instskip(NEXT) | instid1(VALU_DEP_1)
	v_subrev_nc_u32_e32 v6, 28, v0
	v_lshlrev_b64_e32 v[8:9], v6, v[24:25]
	v_sub_nc_u32_e32 v6, 29, v0
	s_delay_alu instid0(VALU_DEP_2)
	v_and_b32_e32 v0, 7, v8
; %bb.815:                              ;   in Loop: Header=BB281_15 Depth=1
	s_or_b32 exec_lo, exec_lo, s19
	v_lshlrev_b32_e32 v8, 8, v24
	s_delay_alu instid0(VALU_DEP_3) | instskip(NEXT) | instid1(VALU_DEP_3)
	v_lshl_add_u32 v6, v6, 10, 0x2000
	v_lshlrev_b32_e32 v0, 23, v0
	s_delay_alu instid0(VALU_DEP_2) | instskip(NEXT) | instid1(VALU_DEP_1)
	v_and_or_b32 v6, 0x8000, v8, v6
	v_lshl_or_b32 v0, v6, 16, v0
	scratch_store_b32 off, v0, s32 offset:256 ; 4-byte Folded Spill
.LBB281_816:                            ;   in Loop: Header=BB281_15 Depth=1
	s_wait_xcnt 0x0
	s_or_b32 exec_lo, exec_lo, s18
.LBB281_817:                            ;   in Loop: Header=BB281_15 Depth=1
	s_delay_alu instid0(SALU_CYCLE_1)
	s_or_b32 exec_lo, exec_lo, s17
.LBB281_818:                            ;   in Loop: Header=BB281_15 Depth=1
	s_delay_alu instid0(SALU_CYCLE_1) | instskip(SKIP_3) | instid1(VALU_DEP_2)
	s_or_b32 exec_lo, exec_lo, s16
	v_and_b32_e32 v0, 0xff, v5
	v_mov_b32_e32 v24, v5
	s_mov_b32 s16, exec_lo
	v_cmpx_ne_u16_e32 0, v0
	s_cbranch_execz .LBB281_826
; %bb.819:                              ;   in Loop: Header=BB281_15 Depth=1
	v_cmp_ne_u16_e64 s1, 0x80, v0
	v_mov_b32_e32 v0, 0x8000
	scratch_store_b32 off, v0, s32 offset:252 ; 4-byte Folded Spill
	s_wait_xcnt 0x0
	s_and_saveexec_b32 s17, s1
	s_cbranch_execz .LBB281_825
; %bb.820:                              ;   in Loop: Header=BB281_15 Depth=1
	v_and_b32_e32 v8, 0x7f, v5
	v_mov_b32_e32 v0, 0x7c01
	s_mov_b32 s18, exec_lo
	scratch_store_b32 off, v0, s32 offset:252 ; 4-byte Folded Spill
	s_wait_xcnt 0x0
	v_cmpx_ne_u32_e32 0x7f, v8
	s_cbranch_execz .LBB281_824
; %bb.821:                              ;   in Loop: Header=BB281_15 Depth=1
	v_dual_lshrrev_b32 v6, 3, v8 :: v_dual_bitop2_b32 v0, 7, v5 bitop3:0x40
	s_mov_b32 s19, exec_lo
	v_cmpx_gt_u32_e32 8, v8
; %bb.822:                              ;   in Loop: Header=BB281_15 Depth=1
	s_delay_alu instid0(VALU_DEP_2) | instskip(NEXT) | instid1(VALU_DEP_1)
	v_clz_i32_u32_e32 v0, v0
	v_min_u32_e32 v0, 32, v0
	s_delay_alu instid0(VALU_DEP_1) | instskip(NEXT) | instid1(VALU_DEP_1)
	v_subrev_nc_u32_e32 v6, 28, v0
	v_lshlrev_b64_e32 v[8:9], v6, v[24:25]
	v_sub_nc_u32_e32 v6, 29, v0
	s_delay_alu instid0(VALU_DEP_2)
	v_and_b32_e32 v0, 7, v8
; %bb.823:                              ;   in Loop: Header=BB281_15 Depth=1
	s_or_b32 exec_lo, exec_lo, s19
	s_delay_alu instid0(VALU_DEP_1) | instskip(NEXT) | instid1(VALU_DEP_3)
	v_dual_lshlrev_b32 v8, 8, v5 :: v_dual_lshlrev_b32 v0, 7, v0
	v_lshl_add_u32 v6, v6, 10, 0x2000
	s_delay_alu instid0(VALU_DEP_2) | instskip(NEXT) | instid1(VALU_DEP_2)
	v_and_b32_e32 v8, 0x8000, v8
	v_and_b32_e32 v6, 0xfc00, v6
	s_delay_alu instid0(VALU_DEP_1)
	v_or3_b32 v0, v8, v6, v0
	scratch_store_b32 off, v0, s32 offset:252 ; 4-byte Folded Spill
.LBB281_824:                            ;   in Loop: Header=BB281_15 Depth=1
	s_wait_xcnt 0x0
	s_or_b32 exec_lo, exec_lo, s18
.LBB281_825:                            ;   in Loop: Header=BB281_15 Depth=1
	s_delay_alu instid0(SALU_CYCLE_1)
	s_or_b32 exec_lo, exec_lo, s17
.LBB281_826:                            ;   in Loop: Header=BB281_15 Depth=1
	s_delay_alu instid0(SALU_CYCLE_1)
	s_or_b32 exec_lo, exec_lo, s16
	v_lshrrev_b16 v24, 8, v24
	v_dual_mov_b32 v0, 0 :: v_dual_mov_b32 v18, 0
	s_mov_b32 s16, exec_lo
	scratch_store_b32 off, v0, s32 offset:260 ; 4-byte Folded Spill
	s_wait_xcnt 0x0
	v_cmpx_ne_u16_e32 0, v24
	s_cbranch_execz .LBB281_834
; %bb.827:                              ;   in Loop: Header=BB281_15 Depth=1
	v_bfrev_b32_e32 v18, 1
	s_mov_b32 s17, exec_lo
	v_cmpx_ne_u16_e32 0x80, v24
	s_cbranch_execz .LBB281_833
; %bb.828:                              ;   in Loop: Header=BB281_15 Depth=1
	v_and_b32_e32 v0, 0xffff, v24
	v_mov_b32_e32 v18, 0x7c010000
	s_mov_b32 s18, exec_lo
	s_delay_alu instid0(VALU_DEP_2) | instskip(NEXT) | instid1(VALU_DEP_1)
	v_and_b32_e32 v9, 0x7f, v0
	v_cmpx_ne_u32_e32 0x7f, v9
	s_cbranch_execz .LBB281_832
; %bb.829:                              ;   in Loop: Header=BB281_15 Depth=1
	v_dual_lshrrev_b32 v8, 3, v9 :: v_dual_bitop2_b32 v6, 7, v0 bitop3:0x40
	s_mov_b32 s19, exec_lo
	v_cmpx_gt_u32_e32 8, v9
; %bb.830:                              ;   in Loop: Header=BB281_15 Depth=1
	s_delay_alu instid0(VALU_DEP_2) | instskip(NEXT) | instid1(VALU_DEP_1)
	v_clz_i32_u32_e32 v6, v6
	v_min_u32_e32 v6, 32, v6
	s_delay_alu instid0(VALU_DEP_1) | instskip(NEXT) | instid1(VALU_DEP_1)
	v_subrev_nc_u32_e32 v8, 28, v6
	v_lshlrev_b64_e32 v[16:17], v8, v[24:25]
	s_delay_alu instid0(VALU_DEP_1)
	v_dual_sub_nc_u32 v8, 29, v6 :: v_dual_bitop2_b32 v6, 7, v16 bitop3:0x40
; %bb.831:                              ;   in Loop: Header=BB281_15 Depth=1
	s_or_b32 exec_lo, exec_lo, s19
	s_delay_alu instid0(VALU_DEP_1) | instskip(NEXT) | instid1(VALU_DEP_2)
	v_dual_lshlrev_b32 v0, 8, v0 :: v_dual_lshlrev_b32 v6, 23, v6
	v_lshl_add_u32 v8, v8, 10, 0x2000
	s_delay_alu instid0(VALU_DEP_1) | instskip(NEXT) | instid1(VALU_DEP_1)
	v_and_or_b32 v0, 0x8000, v0, v8
	v_lshl_or_b32 v18, v0, 16, v6
.LBB281_832:                            ;   in Loop: Header=BB281_15 Depth=1
	s_or_b32 exec_lo, exec_lo, s18
.LBB281_833:                            ;   in Loop: Header=BB281_15 Depth=1
	s_delay_alu instid0(SALU_CYCLE_1)
	s_or_b32 exec_lo, exec_lo, s17
.LBB281_834:                            ;   in Loop: Header=BB281_15 Depth=1
	s_delay_alu instid0(SALU_CYCLE_1) | instskip(SKIP_2) | instid1(VALU_DEP_1)
	s_or_b32 exec_lo, exec_lo, s16
	v_lshrrev_b32_e32 v0, 16, v5
	s_mov_b32 s16, exec_lo
	v_and_b32_e32 v6, 0xff, v0
	s_delay_alu instid0(VALU_DEP_1)
	v_cmpx_ne_u16_e32 0, v6
	s_cbranch_execz .LBB281_842
; %bb.835:                              ;   in Loop: Header=BB281_15 Depth=1
	v_cmp_ne_u16_e64 s1, 0x80, v6
	v_mov_b32_e32 v6, 0x8000
	scratch_store_b32 off, v6, s32 offset:260 ; 4-byte Folded Spill
	s_wait_xcnt 0x0
	s_and_saveexec_b32 s17, s1
	s_cbranch_execz .LBB281_841
; %bb.836:                              ;   in Loop: Header=BB281_15 Depth=1
	v_bfe_u32 v9, v5, 16, 7
	v_mov_b32_e32 v6, 0x7c01
	s_mov_b32 s18, exec_lo
	scratch_store_b32 off, v6, s32 offset:260 ; 4-byte Folded Spill
	s_wait_xcnt 0x0
	v_cmpx_ne_u32_e32 0x7f, v9
	s_cbranch_execz .LBB281_840
; %bb.837:                              ;   in Loop: Header=BB281_15 Depth=1
	v_dual_lshrrev_b32 v8, 3, v9 :: v_dual_bitop2_b32 v6, 7, v0 bitop3:0x40
	s_mov_b32 s19, exec_lo
	v_cmpx_gt_u32_e32 8, v9
; %bb.838:                              ;   in Loop: Header=BB281_15 Depth=1
	s_delay_alu instid0(VALU_DEP_2) | instskip(NEXT) | instid1(VALU_DEP_1)
	v_clz_i32_u32_e32 v6, v6
	v_min_u32_e32 v6, 32, v6
	s_delay_alu instid0(VALU_DEP_1) | instskip(NEXT) | instid1(VALU_DEP_1)
	v_subrev_nc_u32_e32 v8, 28, v6
	v_lshlrev_b64_e32 v[16:17], v8, v[0:1]
	s_delay_alu instid0(VALU_DEP_1)
	v_dual_sub_nc_u32 v8, 29, v6 :: v_dual_bitop2_b32 v6, 7, v16 bitop3:0x40
; %bb.839:                              ;   in Loop: Header=BB281_15 Depth=1
	s_or_b32 exec_lo, exec_lo, s19
	s_delay_alu instid0(VALU_DEP_1) | instskip(NEXT) | instid1(VALU_DEP_2)
	v_dual_lshlrev_b32 v0, 8, v0 :: v_dual_lshlrev_b32 v6, 7, v6
	v_lshl_add_u32 v8, v8, 10, 0x2000
	s_delay_alu instid0(VALU_DEP_2) | instskip(NEXT) | instid1(VALU_DEP_2)
	v_and_b32_e32 v0, 0x8000, v0
	v_and_b32_e32 v8, 0xfc00, v8
	s_delay_alu instid0(VALU_DEP_1)
	v_or3_b32 v0, v0, v8, v6
	scratch_store_b32 off, v0, s32 offset:260 ; 4-byte Folded Spill
.LBB281_840:                            ;   in Loop: Header=BB281_15 Depth=1
	s_wait_xcnt 0x0
	s_or_b32 exec_lo, exec_lo, s18
.LBB281_841:                            ;   in Loop: Header=BB281_15 Depth=1
	s_delay_alu instid0(SALU_CYCLE_1)
	s_or_b32 exec_lo, exec_lo, s17
.LBB281_842:                            ;   in Loop: Header=BB281_15 Depth=1
	s_delay_alu instid0(SALU_CYCLE_1)
	s_or_b32 exec_lo, exec_lo, s16
	v_dual_mov_b32 v0, 0 :: v_dual_mov_b32 v21, 0
	s_mov_b32 s16, exec_lo
	scratch_store_b32 off, v0, s32 offset:264 ; 4-byte Folded Spill
	s_wait_xcnt 0x0
	v_cmpx_lt_u64_e64 s[8:9], v[4:5]
	s_cbranch_execz .LBB281_850
; %bb.843:                              ;   in Loop: Header=BB281_15 Depth=1
	v_lshrrev_b32_e32 v24, 24, v5
	v_bfrev_b32_e32 v21, 1
	s_mov_b32 s17, exec_lo
	s_delay_alu instid0(VALU_DEP_2)
	v_cmpx_ne_u32_e32 0x80, v24
	s_cbranch_execz .LBB281_849
; %bb.844:                              ;   in Loop: Header=BB281_15 Depth=1
	v_and_b32_e32 v5, 0x7f, v24
	v_mov_b32_e32 v21, 0x7c010000
	s_mov_b32 s18, exec_lo
	s_delay_alu instid0(VALU_DEP_2)
	v_cmpx_ne_u32_e32 0x7f, v5
	s_cbranch_execz .LBB281_848
; %bb.845:                              ;   in Loop: Header=BB281_15 Depth=1
	v_dual_lshrrev_b32 v4, 3, v5 :: v_dual_bitop2_b32 v0, 7, v24 bitop3:0x40
	s_mov_b32 s19, exec_lo
	v_cmpx_gt_u32_e32 8, v5
; %bb.846:                              ;   in Loop: Header=BB281_15 Depth=1
	s_delay_alu instid0(VALU_DEP_2) | instskip(NEXT) | instid1(VALU_DEP_1)
	v_clz_i32_u32_e32 v0, v0
	v_min_u32_e32 v0, 32, v0
	s_delay_alu instid0(VALU_DEP_1) | instskip(NEXT) | instid1(VALU_DEP_1)
	v_subrev_nc_u32_e32 v4, 28, v0
	v_lshlrev_b64_e32 v[8:9], v4, v[24:25]
	v_sub_nc_u32_e32 v4, 29, v0
	s_delay_alu instid0(VALU_DEP_2)
	v_and_b32_e32 v0, 7, v8
; %bb.847:                              ;   in Loop: Header=BB281_15 Depth=1
	s_or_b32 exec_lo, exec_lo, s19
	v_lshlrev_b32_e32 v5, 8, v24
	s_delay_alu instid0(VALU_DEP_3) | instskip(NEXT) | instid1(VALU_DEP_3)
	v_lshl_add_u32 v4, v4, 10, 0x2000
	v_lshlrev_b32_e32 v0, 23, v0
	s_delay_alu instid0(VALU_DEP_2) | instskip(NEXT) | instid1(VALU_DEP_1)
	v_and_or_b32 v4, 0x8000, v5, v4
	v_lshl_or_b32 v21, v4, 16, v0
.LBB281_848:                            ;   in Loop: Header=BB281_15 Depth=1
	s_or_b32 exec_lo, exec_lo, s18
.LBB281_849:                            ;   in Loop: Header=BB281_15 Depth=1
	s_delay_alu instid0(SALU_CYCLE_1)
	s_or_b32 exec_lo, exec_lo, s17
.LBB281_850:                            ;   in Loop: Header=BB281_15 Depth=1
	s_delay_alu instid0(SALU_CYCLE_1)
	s_or_b32 exec_lo, exec_lo, s16
	flat_load_b64 v[4:5], v[2:3] offset:3080
	s_mov_b32 s16, exec_lo
	s_wait_loadcnt_dscnt 0x0
	v_and_b32_e32 v0, 0xff, v4
	s_wait_xcnt 0x0
	s_delay_alu instid0(VALU_DEP_1)
	v_cmpx_ne_u16_e32 0, v0
	s_cbranch_execz .LBB281_858
; %bb.851:                              ;   in Loop: Header=BB281_15 Depth=1
	v_cmp_ne_u16_e64 s1, 0x80, v0
	v_mov_b32_e32 v0, 0x8000
	scratch_store_b32 off, v0, s32 offset:264 ; 4-byte Folded Spill
	s_wait_xcnt 0x0
	s_and_saveexec_b32 s17, s1
	s_cbranch_execz .LBB281_857
; %bb.852:                              ;   in Loop: Header=BB281_15 Depth=1
	v_and_b32_e32 v8, 0x7f, v4
	v_mov_b32_e32 v0, 0x7c01
	s_mov_b32 s18, exec_lo
	scratch_store_b32 off, v0, s32 offset:264 ; 4-byte Folded Spill
	s_wait_xcnt 0x0
	v_cmpx_ne_u32_e32 0x7f, v8
	s_cbranch_execz .LBB281_856
; %bb.853:                              ;   in Loop: Header=BB281_15 Depth=1
	v_and_b32_e32 v0, 7, v4
	v_lshrrev_b32_e32 v6, 3, v8
	s_mov_b32 s19, exec_lo
	v_cmpx_gt_u32_e32 8, v8
; %bb.854:                              ;   in Loop: Header=BB281_15 Depth=1
	s_delay_alu instid0(VALU_DEP_3) | instskip(NEXT) | instid1(VALU_DEP_1)
	v_clz_i32_u32_e32 v0, v0
	v_min_u32_e32 v0, 32, v0
	s_delay_alu instid0(VALU_DEP_1) | instskip(NEXT) | instid1(VALU_DEP_1)
	v_subrev_nc_u32_e32 v6, 28, v0
	v_lshlrev_b64_e32 v[8:9], v6, v[4:5]
	v_sub_nc_u32_e32 v6, 29, v0
	s_delay_alu instid0(VALU_DEP_2)
	v_and_b32_e32 v0, 7, v8
; %bb.855:                              ;   in Loop: Header=BB281_15 Depth=1
	s_or_b32 exec_lo, exec_lo, s19
	v_lshlrev_b32_e32 v8, 8, v4
	s_delay_alu instid0(VALU_DEP_3) | instskip(NEXT) | instid1(VALU_DEP_3)
	v_lshl_add_u32 v6, v6, 10, 0x2000
	v_lshlrev_b32_e32 v0, 7, v0
	s_delay_alu instid0(VALU_DEP_3) | instskip(NEXT) | instid1(VALU_DEP_3)
	v_and_b32_e32 v8, 0x8000, v8
	v_and_b32_e32 v6, 0xfc00, v6
	s_delay_alu instid0(VALU_DEP_1)
	v_or3_b32 v0, v8, v6, v0
	scratch_store_b32 off, v0, s32 offset:264 ; 4-byte Folded Spill
.LBB281_856:                            ;   in Loop: Header=BB281_15 Depth=1
	s_wait_xcnt 0x0
	s_or_b32 exec_lo, exec_lo, s18
.LBB281_857:                            ;   in Loop: Header=BB281_15 Depth=1
	s_delay_alu instid0(SALU_CYCLE_1)
	s_or_b32 exec_lo, exec_lo, s17
.LBB281_858:                            ;   in Loop: Header=BB281_15 Depth=1
	s_delay_alu instid0(SALU_CYCLE_1)
	s_or_b32 exec_lo, exec_lo, s16
	v_lshrrev_b16 v24, 8, v4
	v_dual_mov_b32 v0, 0 :: v_dual_mov_b32 v34, 0
	s_mov_b32 s16, exec_lo
	scratch_store_b32 off, v0, s32 offset:268 ; 4-byte Folded Spill
	s_wait_xcnt 0x0
	v_cmpx_ne_u16_e32 0, v24
	s_cbranch_execz .LBB281_866
; %bb.859:                              ;   in Loop: Header=BB281_15 Depth=1
	v_bfrev_b32_e32 v34, 1
	s_mov_b32 s17, exec_lo
	v_cmpx_ne_u16_e32 0x80, v24
	s_cbranch_execz .LBB281_865
; %bb.860:                              ;   in Loop: Header=BB281_15 Depth=1
	v_and_b32_e32 v0, 0xffff, v24
	v_mov_b32_e32 v34, 0x7c010000
	s_mov_b32 s18, exec_lo
	s_delay_alu instid0(VALU_DEP_2) | instskip(NEXT) | instid1(VALU_DEP_1)
	v_and_b32_e32 v9, 0x7f, v0
	v_cmpx_ne_u32_e32 0x7f, v9
	s_cbranch_execz .LBB281_864
; %bb.861:                              ;   in Loop: Header=BB281_15 Depth=1
	v_dual_lshrrev_b32 v8, 3, v9 :: v_dual_bitop2_b32 v6, 7, v0 bitop3:0x40
	s_mov_b32 s19, exec_lo
	v_cmpx_gt_u32_e32 8, v9
; %bb.862:                              ;   in Loop: Header=BB281_15 Depth=1
	s_delay_alu instid0(VALU_DEP_2) | instskip(NEXT) | instid1(VALU_DEP_1)
	v_clz_i32_u32_e32 v6, v6
	v_min_u32_e32 v6, 32, v6
	s_delay_alu instid0(VALU_DEP_1) | instskip(NEXT) | instid1(VALU_DEP_1)
	v_subrev_nc_u32_e32 v8, 28, v6
	v_lshlrev_b64_e32 v[16:17], v8, v[24:25]
	s_delay_alu instid0(VALU_DEP_1)
	v_dual_sub_nc_u32 v8, 29, v6 :: v_dual_bitop2_b32 v6, 7, v16 bitop3:0x40
; %bb.863:                              ;   in Loop: Header=BB281_15 Depth=1
	s_or_b32 exec_lo, exec_lo, s19
	s_delay_alu instid0(VALU_DEP_1) | instskip(NEXT) | instid1(VALU_DEP_2)
	v_dual_lshlrev_b32 v0, 8, v0 :: v_dual_lshlrev_b32 v6, 23, v6
	v_lshl_add_u32 v8, v8, 10, 0x2000
	s_delay_alu instid0(VALU_DEP_1) | instskip(NEXT) | instid1(VALU_DEP_1)
	v_and_or_b32 v0, 0x8000, v0, v8
	v_lshl_or_b32 v34, v0, 16, v6
.LBB281_864:                            ;   in Loop: Header=BB281_15 Depth=1
	s_or_b32 exec_lo, exec_lo, s18
.LBB281_865:                            ;   in Loop: Header=BB281_15 Depth=1
	s_delay_alu instid0(SALU_CYCLE_1)
	s_or_b32 exec_lo, exec_lo, s17
.LBB281_866:                            ;   in Loop: Header=BB281_15 Depth=1
	s_delay_alu instid0(SALU_CYCLE_1) | instskip(SKIP_2) | instid1(VALU_DEP_1)
	s_or_b32 exec_lo, exec_lo, s16
	v_lshrrev_b32_e32 v0, 16, v4
	s_mov_b32 s16, exec_lo
	v_and_b32_e32 v6, 0xff, v0
	s_delay_alu instid0(VALU_DEP_1)
	v_cmpx_ne_u16_e32 0, v6
	s_cbranch_execz .LBB281_874
; %bb.867:                              ;   in Loop: Header=BB281_15 Depth=1
	v_cmp_ne_u16_e64 s1, 0x80, v6
	v_mov_b32_e32 v6, 0x8000
	scratch_store_b32 off, v6, s32 offset:268 ; 4-byte Folded Spill
	s_wait_xcnt 0x0
	s_and_saveexec_b32 s17, s1
	s_cbranch_execz .LBB281_873
; %bb.868:                              ;   in Loop: Header=BB281_15 Depth=1
	v_bfe_u32 v9, v4, 16, 7
	v_mov_b32_e32 v6, 0x7c01
	s_mov_b32 s18, exec_lo
	scratch_store_b32 off, v6, s32 offset:268 ; 4-byte Folded Spill
	s_wait_xcnt 0x0
	v_cmpx_ne_u32_e32 0x7f, v9
	s_cbranch_execz .LBB281_872
; %bb.869:                              ;   in Loop: Header=BB281_15 Depth=1
	v_dual_lshrrev_b32 v8, 3, v9 :: v_dual_bitop2_b32 v6, 7, v0 bitop3:0x40
	s_mov_b32 s19, exec_lo
	v_cmpx_gt_u32_e32 8, v9
; %bb.870:                              ;   in Loop: Header=BB281_15 Depth=1
	s_delay_alu instid0(VALU_DEP_2) | instskip(NEXT) | instid1(VALU_DEP_1)
	v_clz_i32_u32_e32 v6, v6
	v_min_u32_e32 v6, 32, v6
	s_delay_alu instid0(VALU_DEP_1) | instskip(NEXT) | instid1(VALU_DEP_1)
	v_subrev_nc_u32_e32 v8, 28, v6
	v_lshlrev_b64_e32 v[16:17], v8, v[0:1]
	s_delay_alu instid0(VALU_DEP_1)
	v_dual_sub_nc_u32 v8, 29, v6 :: v_dual_bitop2_b32 v6, 7, v16 bitop3:0x40
; %bb.871:                              ;   in Loop: Header=BB281_15 Depth=1
	s_or_b32 exec_lo, exec_lo, s19
	s_delay_alu instid0(VALU_DEP_1) | instskip(NEXT) | instid1(VALU_DEP_2)
	v_dual_lshlrev_b32 v0, 8, v0 :: v_dual_lshlrev_b32 v6, 7, v6
	v_lshl_add_u32 v8, v8, 10, 0x2000
	s_delay_alu instid0(VALU_DEP_2) | instskip(NEXT) | instid1(VALU_DEP_2)
	v_and_b32_e32 v0, 0x8000, v0
	v_and_b32_e32 v8, 0xfc00, v8
	s_delay_alu instid0(VALU_DEP_1)
	v_or3_b32 v0, v0, v8, v6
	scratch_store_b32 off, v0, s32 offset:268 ; 4-byte Folded Spill
.LBB281_872:                            ;   in Loop: Header=BB281_15 Depth=1
	s_wait_xcnt 0x0
	s_or_b32 exec_lo, exec_lo, s18
.LBB281_873:                            ;   in Loop: Header=BB281_15 Depth=1
	s_delay_alu instid0(SALU_CYCLE_1)
	s_or_b32 exec_lo, exec_lo, s17
.LBB281_874:                            ;   in Loop: Header=BB281_15 Depth=1
	s_delay_alu instid0(SALU_CYCLE_1)
	s_or_b32 exec_lo, exec_lo, s16
	v_dual_mov_b32 v0, 0 :: v_dual_mov_b32 v20, 0
	s_mov_b32 s16, exec_lo
	scratch_store_b32 off, v0, s32 offset:272 ; 4-byte Folded Spill
	s_wait_xcnt 0x0
	v_cmpx_lt_u32_e32 0xffffff, v4
	s_cbranch_execz .LBB281_882
; %bb.875:                              ;   in Loop: Header=BB281_15 Depth=1
	v_lshrrev_b32_e32 v24, 24, v4
	v_bfrev_b32_e32 v20, 1
	s_mov_b32 s17, exec_lo
	s_delay_alu instid0(VALU_DEP_2)
	v_cmpx_ne_u32_e32 0x80, v24
	s_cbranch_execz .LBB281_881
; %bb.876:                              ;   in Loop: Header=BB281_15 Depth=1
	v_and_b32_e32 v8, 0x7f, v24
	v_mov_b32_e32 v20, 0x7c010000
	s_mov_b32 s18, exec_lo
	s_delay_alu instid0(VALU_DEP_2)
	v_cmpx_ne_u32_e32 0x7f, v8
	s_cbranch_execz .LBB281_880
; %bb.877:                              ;   in Loop: Header=BB281_15 Depth=1
	v_and_b32_e32 v0, 7, v24
	v_lshrrev_b32_e32 v6, 3, v8
	s_mov_b32 s19, exec_lo
	v_cmpx_gt_u32_e32 8, v8
; %bb.878:                              ;   in Loop: Header=BB281_15 Depth=1
	s_delay_alu instid0(VALU_DEP_3) | instskip(NEXT) | instid1(VALU_DEP_1)
	v_clz_i32_u32_e32 v0, v0
	v_min_u32_e32 v0, 32, v0
	s_delay_alu instid0(VALU_DEP_1) | instskip(NEXT) | instid1(VALU_DEP_1)
	v_subrev_nc_u32_e32 v6, 28, v0
	v_lshlrev_b64_e32 v[8:9], v6, v[24:25]
	v_sub_nc_u32_e32 v6, 29, v0
	s_delay_alu instid0(VALU_DEP_2)
	v_and_b32_e32 v0, 7, v8
; %bb.879:                              ;   in Loop: Header=BB281_15 Depth=1
	s_or_b32 exec_lo, exec_lo, s19
	v_lshlrev_b32_e32 v8, 8, v24
	s_delay_alu instid0(VALU_DEP_3) | instskip(NEXT) | instid1(VALU_DEP_3)
	v_lshl_add_u32 v6, v6, 10, 0x2000
	v_lshlrev_b32_e32 v0, 23, v0
	s_delay_alu instid0(VALU_DEP_2) | instskip(NEXT) | instid1(VALU_DEP_1)
	v_and_or_b32 v6, 0x8000, v8, v6
	v_lshl_or_b32 v20, v6, 16, v0
.LBB281_880:                            ;   in Loop: Header=BB281_15 Depth=1
	s_or_b32 exec_lo, exec_lo, s18
.LBB281_881:                            ;   in Loop: Header=BB281_15 Depth=1
	s_delay_alu instid0(SALU_CYCLE_1)
	s_or_b32 exec_lo, exec_lo, s17
.LBB281_882:                            ;   in Loop: Header=BB281_15 Depth=1
	s_delay_alu instid0(SALU_CYCLE_1) | instskip(SKIP_3) | instid1(VALU_DEP_2)
	s_or_b32 exec_lo, exec_lo, s16
	v_and_b32_e32 v0, 0xff, v5
	v_mov_b32_e32 v24, v5
	s_mov_b32 s16, exec_lo
	v_cmpx_ne_u16_e32 0, v0
	s_cbranch_execz .LBB281_890
; %bb.883:                              ;   in Loop: Header=BB281_15 Depth=1
	v_cmp_ne_u16_e64 s1, 0x80, v0
	v_mov_b32_e32 v0, 0x8000
	scratch_store_b32 off, v0, s32 offset:272 ; 4-byte Folded Spill
	s_wait_xcnt 0x0
	s_and_saveexec_b32 s17, s1
	s_cbranch_execz .LBB281_889
; %bb.884:                              ;   in Loop: Header=BB281_15 Depth=1
	v_and_b32_e32 v8, 0x7f, v5
	v_mov_b32_e32 v0, 0x7c01
	s_mov_b32 s18, exec_lo
	scratch_store_b32 off, v0, s32 offset:272 ; 4-byte Folded Spill
	s_wait_xcnt 0x0
	v_cmpx_ne_u32_e32 0x7f, v8
	s_cbranch_execz .LBB281_888
; %bb.885:                              ;   in Loop: Header=BB281_15 Depth=1
	v_dual_lshrrev_b32 v6, 3, v8 :: v_dual_bitop2_b32 v0, 7, v5 bitop3:0x40
	s_mov_b32 s19, exec_lo
	v_cmpx_gt_u32_e32 8, v8
; %bb.886:                              ;   in Loop: Header=BB281_15 Depth=1
	s_delay_alu instid0(VALU_DEP_2) | instskip(NEXT) | instid1(VALU_DEP_1)
	v_clz_i32_u32_e32 v0, v0
	v_min_u32_e32 v0, 32, v0
	s_delay_alu instid0(VALU_DEP_1) | instskip(NEXT) | instid1(VALU_DEP_1)
	v_subrev_nc_u32_e32 v6, 28, v0
	v_lshlrev_b64_e32 v[8:9], v6, v[24:25]
	v_sub_nc_u32_e32 v6, 29, v0
	s_delay_alu instid0(VALU_DEP_2)
	v_and_b32_e32 v0, 7, v8
; %bb.887:                              ;   in Loop: Header=BB281_15 Depth=1
	s_or_b32 exec_lo, exec_lo, s19
	s_delay_alu instid0(VALU_DEP_1) | instskip(NEXT) | instid1(VALU_DEP_3)
	v_dual_lshlrev_b32 v8, 8, v5 :: v_dual_lshlrev_b32 v0, 7, v0
	v_lshl_add_u32 v6, v6, 10, 0x2000
	s_delay_alu instid0(VALU_DEP_2) | instskip(NEXT) | instid1(VALU_DEP_2)
	v_and_b32_e32 v8, 0x8000, v8
	v_and_b32_e32 v6, 0xfc00, v6
	s_delay_alu instid0(VALU_DEP_1)
	v_or3_b32 v0, v8, v6, v0
	scratch_store_b32 off, v0, s32 offset:272 ; 4-byte Folded Spill
.LBB281_888:                            ;   in Loop: Header=BB281_15 Depth=1
	s_wait_xcnt 0x0
	s_or_b32 exec_lo, exec_lo, s18
.LBB281_889:                            ;   in Loop: Header=BB281_15 Depth=1
	s_delay_alu instid0(SALU_CYCLE_1)
	s_or_b32 exec_lo, exec_lo, s17
.LBB281_890:                            ;   in Loop: Header=BB281_15 Depth=1
	s_delay_alu instid0(SALU_CYCLE_1)
	s_or_b32 exec_lo, exec_lo, s16
	v_lshrrev_b16 v24, 8, v24
	v_dual_mov_b32 v0, 0 :: v_dual_mov_b32 v16, 0
	s_mov_b32 s16, exec_lo
	scratch_store_b32 off, v0, s32 offset:276 ; 4-byte Folded Spill
	s_wait_xcnt 0x0
	v_cmpx_ne_u16_e32 0, v24
	s_cbranch_execz .LBB281_898
; %bb.891:                              ;   in Loop: Header=BB281_15 Depth=1
	v_bfrev_b32_e32 v16, 1
	s_mov_b32 s17, exec_lo
	v_cmpx_ne_u16_e32 0x80, v24
	s_cbranch_execz .LBB281_897
; %bb.892:                              ;   in Loop: Header=BB281_15 Depth=1
	v_and_b32_e32 v0, 0xffff, v24
	v_mov_b32_e32 v16, 0x7c010000
	s_mov_b32 s18, exec_lo
	s_delay_alu instid0(VALU_DEP_2) | instskip(NEXT) | instid1(VALU_DEP_1)
	v_and_b32_e32 v9, 0x7f, v0
	v_cmpx_ne_u32_e32 0x7f, v9
	s_cbranch_execz .LBB281_896
; %bb.893:                              ;   in Loop: Header=BB281_15 Depth=1
	v_dual_lshrrev_b32 v8, 3, v9 :: v_dual_bitop2_b32 v6, 7, v0 bitop3:0x40
	s_mov_b32 s19, exec_lo
	v_cmpx_gt_u32_e32 8, v9
; %bb.894:                              ;   in Loop: Header=BB281_15 Depth=1
	s_delay_alu instid0(VALU_DEP_2) | instskip(NEXT) | instid1(VALU_DEP_1)
	v_clz_i32_u32_e32 v6, v6
	v_min_u32_e32 v6, 32, v6
	s_delay_alu instid0(VALU_DEP_1) | instskip(NEXT) | instid1(VALU_DEP_1)
	v_subrev_nc_u32_e32 v8, 28, v6
	v_lshlrev_b64_e32 v[16:17], v8, v[24:25]
	s_delay_alu instid0(VALU_DEP_1)
	v_dual_sub_nc_u32 v8, 29, v6 :: v_dual_bitop2_b32 v6, 7, v16 bitop3:0x40
; %bb.895:                              ;   in Loop: Header=BB281_15 Depth=1
	s_or_b32 exec_lo, exec_lo, s19
	s_delay_alu instid0(VALU_DEP_1) | instskip(NEXT) | instid1(VALU_DEP_2)
	v_dual_lshlrev_b32 v0, 8, v0 :: v_dual_lshlrev_b32 v6, 23, v6
	v_lshl_add_u32 v8, v8, 10, 0x2000
	s_delay_alu instid0(VALU_DEP_1) | instskip(NEXT) | instid1(VALU_DEP_1)
	v_and_or_b32 v0, 0x8000, v0, v8
	v_lshl_or_b32 v16, v0, 16, v6
.LBB281_896:                            ;   in Loop: Header=BB281_15 Depth=1
	s_or_b32 exec_lo, exec_lo, s18
.LBB281_897:                            ;   in Loop: Header=BB281_15 Depth=1
	s_delay_alu instid0(SALU_CYCLE_1)
	s_or_b32 exec_lo, exec_lo, s17
.LBB281_898:                            ;   in Loop: Header=BB281_15 Depth=1
	s_delay_alu instid0(SALU_CYCLE_1) | instskip(SKIP_1) | instid1(VALU_DEP_1)
	s_or_b32 exec_lo, exec_lo, s16
	v_lshrrev_b32_e32 v0, 16, v5
	v_and_b32_e32 v6, 0xff, v0
	s_delay_alu instid0(VALU_DEP_1) | instskip(SKIP_1) | instid1(SALU_CYCLE_1)
	v_cmp_ne_u16_e64 s1, 0, v6
	s_mov_b32 s16, exec_lo
	s_and_b32 s1, s16, s1
	s_clause 0x3
	scratch_store_b32 off, v13, s32 offset:312
	scratch_store_b32 off, v19, s32 offset:316
	;; [unrolled: 1-line block ×4, first 2 shown]
	s_wait_xcnt 0x0
	s_mov_b32 exec_lo, s1
	s_cbranch_execz .LBB281_906
; %bb.899:                              ;   in Loop: Header=BB281_15 Depth=1
	v_cmp_ne_u16_e64 s1, 0x80, v6
	v_mov_b32_e32 v6, 0x8000
	scratch_store_b32 off, v6, s32 offset:276 ; 4-byte Folded Spill
	s_wait_xcnt 0x0
	s_and_saveexec_b32 s17, s1
	s_cbranch_execz .LBB281_905
; %bb.900:                              ;   in Loop: Header=BB281_15 Depth=1
	v_bfe_u32 v9, v5, 16, 7
	v_mov_b32_e32 v6, 0x7c01
	s_mov_b32 s18, exec_lo
	scratch_store_b32 off, v6, s32 offset:276 ; 4-byte Folded Spill
	s_wait_xcnt 0x0
	v_cmpx_ne_u32_e32 0x7f, v9
	s_cbranch_execz .LBB281_904
; %bb.901:                              ;   in Loop: Header=BB281_15 Depth=1
	v_dual_lshrrev_b32 v8, 3, v9 :: v_dual_bitop2_b32 v6, 7, v0 bitop3:0x40
	s_mov_b32 s19, exec_lo
	v_cmpx_gt_u32_e32 8, v9
; %bb.902:                              ;   in Loop: Header=BB281_15 Depth=1
	s_delay_alu instid0(VALU_DEP_2) | instskip(NEXT) | instid1(VALU_DEP_1)
	v_clz_i32_u32_e32 v6, v6
	v_min_u32_e32 v6, 32, v6
	s_delay_alu instid0(VALU_DEP_1) | instskip(NEXT) | instid1(VALU_DEP_1)
	v_subrev_nc_u32_e32 v8, 28, v6
	v_lshlrev_b64_e32 v[26:27], v8, v[0:1]
	v_sub_nc_u32_e32 v8, 29, v6
	s_delay_alu instid0(VALU_DEP_2)
	v_and_b32_e32 v6, 7, v26
; %bb.903:                              ;   in Loop: Header=BB281_15 Depth=1
	s_or_b32 exec_lo, exec_lo, s19
	s_delay_alu instid0(VALU_DEP_1) | instskip(NEXT) | instid1(VALU_DEP_3)
	v_dual_lshlrev_b32 v0, 8, v0 :: v_dual_lshlrev_b32 v6, 7, v6
	v_lshl_add_u32 v8, v8, 10, 0x2000
	s_delay_alu instid0(VALU_DEP_2) | instskip(NEXT) | instid1(VALU_DEP_2)
	v_and_b32_e32 v0, 0x8000, v0
	v_and_b32_e32 v8, 0xfc00, v8
	s_delay_alu instid0(VALU_DEP_1)
	v_or3_b32 v0, v0, v8, v6
	scratch_store_b32 off, v0, s32 offset:276 ; 4-byte Folded Spill
.LBB281_904:                            ;   in Loop: Header=BB281_15 Depth=1
	s_wait_xcnt 0x0
	s_or_b32 exec_lo, exec_lo, s18
.LBB281_905:                            ;   in Loop: Header=BB281_15 Depth=1
	s_delay_alu instid0(SALU_CYCLE_1)
	s_or_b32 exec_lo, exec_lo, s17
.LBB281_906:                            ;   in Loop: Header=BB281_15 Depth=1
	s_delay_alu instid0(SALU_CYCLE_1)
	s_or_b32 exec_lo, exec_lo, s16
	v_dual_mov_b32 v26, 0 :: v_dual_mov_b32 v30, 0
	s_mov_b32 s16, exec_lo
	v_cmpx_lt_u64_e64 s[8:9], v[4:5]
	s_cbranch_execz .LBB281_914
; %bb.907:                              ;   in Loop: Header=BB281_15 Depth=1
	v_lshrrev_b32_e32 v24, 24, v5
	v_bfrev_b32_e32 v30, 1
	s_mov_b32 s17, exec_lo
	s_delay_alu instid0(VALU_DEP_2)
	v_cmpx_ne_u32_e32 0x80, v24
	s_cbranch_execz .LBB281_913
; %bb.908:                              ;   in Loop: Header=BB281_15 Depth=1
	v_and_b32_e32 v5, 0x7f, v24
	v_mov_b32_e32 v30, 0x7c010000
	s_mov_b32 s18, exec_lo
	s_delay_alu instid0(VALU_DEP_2)
	v_cmpx_ne_u32_e32 0x7f, v5
	s_cbranch_execz .LBB281_912
; %bb.909:                              ;   in Loop: Header=BB281_15 Depth=1
	v_dual_lshrrev_b32 v4, 3, v5 :: v_dual_bitop2_b32 v0, 7, v24 bitop3:0x40
	s_mov_b32 s19, exec_lo
	v_cmpx_gt_u32_e32 8, v5
; %bb.910:                              ;   in Loop: Header=BB281_15 Depth=1
	s_delay_alu instid0(VALU_DEP_2) | instskip(NEXT) | instid1(VALU_DEP_1)
	v_clz_i32_u32_e32 v0, v0
	v_min_u32_e32 v0, 32, v0
	s_delay_alu instid0(VALU_DEP_1) | instskip(NEXT) | instid1(VALU_DEP_1)
	v_subrev_nc_u32_e32 v4, 28, v0
	v_lshlrev_b64_e32 v[8:9], v4, v[24:25]
	v_sub_nc_u32_e32 v4, 29, v0
	s_delay_alu instid0(VALU_DEP_2)
	v_and_b32_e32 v0, 7, v8
; %bb.911:                              ;   in Loop: Header=BB281_15 Depth=1
	s_or_b32 exec_lo, exec_lo, s19
	v_lshlrev_b32_e32 v5, 8, v24
	s_delay_alu instid0(VALU_DEP_3) | instskip(NEXT) | instid1(VALU_DEP_3)
	v_lshl_add_u32 v4, v4, 10, 0x2000
	v_lshlrev_b32_e32 v0, 23, v0
	s_delay_alu instid0(VALU_DEP_2) | instskip(NEXT) | instid1(VALU_DEP_1)
	v_and_or_b32 v4, 0x8000, v5, v4
	v_lshl_or_b32 v30, v4, 16, v0
.LBB281_912:                            ;   in Loop: Header=BB281_15 Depth=1
	s_or_b32 exec_lo, exec_lo, s18
.LBB281_913:                            ;   in Loop: Header=BB281_15 Depth=1
	s_delay_alu instid0(SALU_CYCLE_1)
	s_or_b32 exec_lo, exec_lo, s17
.LBB281_914:                            ;   in Loop: Header=BB281_15 Depth=1
	s_delay_alu instid0(SALU_CYCLE_1)
	s_or_b32 exec_lo, exec_lo, s16
	flat_load_b64 v[2:3], v[2:3] offset:3584
	s_mov_b32 s16, exec_lo
	s_wait_loadcnt_dscnt 0x0
	v_and_b32_e32 v0, 0xff, v2
	s_wait_xcnt 0x0
	s_delay_alu instid0(VALU_DEP_1)
	v_cmpx_ne_u16_e32 0, v0
	s_cbranch_execz .LBB281_922
; %bb.915:                              ;   in Loop: Header=BB281_15 Depth=1
	v_mov_b32_e32 v26, 0x8000
	s_mov_b32 s17, exec_lo
	v_cmpx_ne_u16_e32 0x80, v0
	s_cbranch_execz .LBB281_921
; %bb.916:                              ;   in Loop: Header=BB281_15 Depth=1
	v_and_b32_e32 v5, 0x7f, v2
	v_mov_b32_e32 v26, 0x7c01
	s_mov_b32 s18, exec_lo
	s_delay_alu instid0(VALU_DEP_2)
	v_cmpx_ne_u32_e32 0x7f, v5
	s_cbranch_execz .LBB281_920
; %bb.917:                              ;   in Loop: Header=BB281_15 Depth=1
	v_dual_lshrrev_b32 v4, 3, v5 :: v_dual_bitop2_b32 v0, 7, v2 bitop3:0x40
	s_mov_b32 s19, exec_lo
	v_cmpx_gt_u32_e32 8, v5
; %bb.918:                              ;   in Loop: Header=BB281_15 Depth=1
	s_delay_alu instid0(VALU_DEP_2) | instskip(NEXT) | instid1(VALU_DEP_1)
	v_clz_i32_u32_e32 v0, v0
	v_min_u32_e32 v0, 32, v0
	s_delay_alu instid0(VALU_DEP_1) | instskip(NEXT) | instid1(VALU_DEP_1)
	v_subrev_nc_u32_e32 v4, 28, v0
	v_lshlrev_b64_e32 v[8:9], v4, v[2:3]
	v_sub_nc_u32_e32 v4, 29, v0
	s_delay_alu instid0(VALU_DEP_2)
	v_and_b32_e32 v0, 7, v8
; %bb.919:                              ;   in Loop: Header=BB281_15 Depth=1
	s_or_b32 exec_lo, exec_lo, s19
	s_delay_alu instid0(VALU_DEP_1) | instskip(NEXT) | instid1(VALU_DEP_3)
	v_dual_lshlrev_b32 v5, 8, v2 :: v_dual_lshlrev_b32 v0, 7, v0
	v_lshl_add_u32 v4, v4, 10, 0x2000
	s_delay_alu instid0(VALU_DEP_2) | instskip(NEXT) | instid1(VALU_DEP_2)
	v_and_b32_e32 v5, 0x8000, v5
	v_and_b32_e32 v4, 0xfc00, v4
	s_delay_alu instid0(VALU_DEP_1)
	v_or3_b32 v26, v5, v4, v0
.LBB281_920:                            ;   in Loop: Header=BB281_15 Depth=1
	s_or_b32 exec_lo, exec_lo, s18
.LBB281_921:                            ;   in Loop: Header=BB281_15 Depth=1
	s_delay_alu instid0(SALU_CYCLE_1)
	s_or_b32 exec_lo, exec_lo, s17
.LBB281_922:                            ;   in Loop: Header=BB281_15 Depth=1
	s_delay_alu instid0(SALU_CYCLE_1) | instskip(SKIP_3) | instid1(VALU_DEP_2)
	s_or_b32 exec_lo, exec_lo, s16
	v_lshrrev_b16 v24, 8, v2
	v_dual_mov_b32 v27, 0 :: v_dual_mov_b32 v8, 0
	s_mov_b32 s16, exec_lo
	v_cmpx_ne_u16_e32 0, v24
	s_cbranch_execz .LBB281_930
; %bb.923:                              ;   in Loop: Header=BB281_15 Depth=1
	v_bfrev_b32_e32 v8, 1
	s_mov_b32 s17, exec_lo
	v_cmpx_ne_u16_e32 0x80, v24
	s_cbranch_execz .LBB281_929
; %bb.924:                              ;   in Loop: Header=BB281_15 Depth=1
	v_and_b32_e32 v0, 0xffff, v24
	v_mov_b32_e32 v8, 0x7c010000
	s_mov_b32 s18, exec_lo
	s_delay_alu instid0(VALU_DEP_2) | instskip(NEXT) | instid1(VALU_DEP_1)
	v_and_b32_e32 v9, 0x7f, v0
	v_cmpx_ne_u32_e32 0x7f, v9
	s_cbranch_execz .LBB281_928
; %bb.925:                              ;   in Loop: Header=BB281_15 Depth=1
	v_dual_lshrrev_b32 v5, 3, v9 :: v_dual_bitop2_b32 v4, 7, v0 bitop3:0x40
	s_mov_b32 s19, exec_lo
	v_cmpx_gt_u32_e32 8, v9
; %bb.926:                              ;   in Loop: Header=BB281_15 Depth=1
	s_delay_alu instid0(VALU_DEP_2) | instskip(NEXT) | instid1(VALU_DEP_1)
	v_clz_i32_u32_e32 v4, v4
	v_min_u32_e32 v6, 32, v4
	s_delay_alu instid0(VALU_DEP_1) | instskip(NEXT) | instid1(VALU_DEP_1)
	v_subrev_nc_u32_e32 v4, 28, v6
	v_lshlrev_b64_e32 v[4:5], v4, v[24:25]
	s_delay_alu instid0(VALU_DEP_1)
	v_dual_sub_nc_u32 v5, 29, v6 :: v_dual_bitop2_b32 v4, 7, v4 bitop3:0x40
; %bb.927:                              ;   in Loop: Header=BB281_15 Depth=1
	s_or_b32 exec_lo, exec_lo, s19
	v_lshlrev_b32_e32 v0, 8, v0
	s_delay_alu instid0(VALU_DEP_2) | instskip(NEXT) | instid1(VALU_DEP_3)
	v_lshl_add_u32 v5, v5, 10, 0x2000
	v_lshlrev_b32_e32 v4, 23, v4
	s_delay_alu instid0(VALU_DEP_2) | instskip(NEXT) | instid1(VALU_DEP_1)
	v_and_or_b32 v0, 0x8000, v0, v5
	v_lshl_or_b32 v8, v0, 16, v4
.LBB281_928:                            ;   in Loop: Header=BB281_15 Depth=1
	s_or_b32 exec_lo, exec_lo, s18
.LBB281_929:                            ;   in Loop: Header=BB281_15 Depth=1
	s_delay_alu instid0(SALU_CYCLE_1)
	s_or_b32 exec_lo, exec_lo, s17
.LBB281_930:                            ;   in Loop: Header=BB281_15 Depth=1
	s_delay_alu instid0(SALU_CYCLE_1) | instskip(SKIP_2) | instid1(VALU_DEP_1)
	s_or_b32 exec_lo, exec_lo, s16
	v_lshrrev_b32_e32 v0, 16, v2
	s_mov_b32 s16, exec_lo
	v_and_b32_e32 v4, 0xff, v0
	s_delay_alu instid0(VALU_DEP_1)
	v_cmpx_ne_u16_e32 0, v4
	s_cbranch_execz .LBB281_938
; %bb.931:                              ;   in Loop: Header=BB281_15 Depth=1
	v_mov_b32_e32 v27, 0x8000
	s_mov_b32 s17, exec_lo
	v_cmpx_ne_u16_e32 0x80, v4
	s_cbranch_execz .LBB281_937
; %bb.932:                              ;   in Loop: Header=BB281_15 Depth=1
	v_bfe_u32 v9, v2, 16, 7
	v_mov_b32_e32 v27, 0x7c01
	s_mov_b32 s18, exec_lo
	s_delay_alu instid0(VALU_DEP_2)
	v_cmpx_ne_u32_e32 0x7f, v9
	s_cbranch_execz .LBB281_936
; %bb.933:                              ;   in Loop: Header=BB281_15 Depth=1
	v_dual_lshrrev_b32 v5, 3, v9 :: v_dual_bitop2_b32 v4, 7, v0 bitop3:0x40
	s_mov_b32 s19, exec_lo
	v_cmpx_gt_u32_e32 8, v9
; %bb.934:                              ;   in Loop: Header=BB281_15 Depth=1
	s_delay_alu instid0(VALU_DEP_2) | instskip(NEXT) | instid1(VALU_DEP_1)
	v_clz_i32_u32_e32 v4, v4
	v_min_u32_e32 v6, 32, v4
	s_delay_alu instid0(VALU_DEP_1) | instskip(NEXT) | instid1(VALU_DEP_1)
	v_subrev_nc_u32_e32 v4, 28, v6
	v_lshlrev_b64_e32 v[4:5], v4, v[0:1]
	s_delay_alu instid0(VALU_DEP_1)
	v_dual_sub_nc_u32 v5, 29, v6 :: v_dual_bitop2_b32 v4, 7, v4 bitop3:0x40
; %bb.935:                              ;   in Loop: Header=BB281_15 Depth=1
	s_or_b32 exec_lo, exec_lo, s19
	v_lshlrev_b32_e32 v0, 8, v0
	s_delay_alu instid0(VALU_DEP_2) | instskip(NEXT) | instid1(VALU_DEP_3)
	v_lshl_add_u32 v5, v5, 10, 0x2000
	v_lshlrev_b32_e32 v4, 7, v4
	s_delay_alu instid0(VALU_DEP_3) | instskip(NEXT) | instid1(VALU_DEP_3)
	v_and_b32_e32 v0, 0x8000, v0
	v_and_b32_e32 v5, 0xfc00, v5
	s_delay_alu instid0(VALU_DEP_1)
	v_or3_b32 v27, v0, v5, v4
.LBB281_936:                            ;   in Loop: Header=BB281_15 Depth=1
	s_or_b32 exec_lo, exec_lo, s18
.LBB281_937:                            ;   in Loop: Header=BB281_15 Depth=1
	s_delay_alu instid0(SALU_CYCLE_1)
	s_or_b32 exec_lo, exec_lo, s17
.LBB281_938:                            ;   in Loop: Header=BB281_15 Depth=1
	s_delay_alu instid0(SALU_CYCLE_1)
	s_or_b32 exec_lo, exec_lo, s16
	v_dual_mov_b32 v17, 0 :: v_dual_mov_b32 v9, 0
	s_mov_b32 s16, exec_lo
	v_cmpx_lt_u32_e32 0xffffff, v2
	s_cbranch_execz .LBB281_946
; %bb.939:                              ;   in Loop: Header=BB281_15 Depth=1
	v_lshrrev_b32_e32 v24, 24, v2
	v_bfrev_b32_e32 v9, 1
	s_mov_b32 s17, exec_lo
	s_delay_alu instid0(VALU_DEP_2)
	v_cmpx_ne_u32_e32 0x80, v24
	s_cbranch_execz .LBB281_945
; %bb.940:                              ;   in Loop: Header=BB281_15 Depth=1
	v_and_b32_e32 v5, 0x7f, v24
	v_mov_b32_e32 v9, 0x7c010000
	s_mov_b32 s18, exec_lo
	s_delay_alu instid0(VALU_DEP_2)
	v_cmpx_ne_u32_e32 0x7f, v5
	s_cbranch_execz .LBB281_944
; %bb.941:                              ;   in Loop: Header=BB281_15 Depth=1
	v_dual_lshrrev_b32 v4, 3, v5 :: v_dual_bitop2_b32 v0, 7, v24 bitop3:0x40
	s_mov_b32 s19, exec_lo
	v_cmpx_gt_u32_e32 8, v5
	s_cbranch_execz .LBB281_943
; %bb.942:                              ;   in Loop: Header=BB281_15 Depth=1
	s_delay_alu instid0(VALU_DEP_2) | instskip(SKIP_1) | instid1(VALU_DEP_2)
	v_clz_i32_u32_e32 v0, v0
	v_dual_mov_b32 v5, v26 :: v_dual_mov_b32 v6, v27
	v_min_u32_e32 v0, 32, v0
	s_delay_alu instid0(VALU_DEP_1) | instskip(NEXT) | instid1(VALU_DEP_1)
	v_subrev_nc_u32_e32 v4, 28, v0
	v_lshlrev_b64_e32 v[26:27], v4, v[24:25]
	s_delay_alu instid0(VALU_DEP_4) | instskip(NEXT) | instid1(VALU_DEP_2)
	v_dual_mov_b32 v27, v6 :: v_dual_sub_nc_u32 v4, 29, v0
	v_dual_mov_b32 v26, v5 :: v_dual_bitop2_b32 v0, 7, v26 bitop3:0x40
.LBB281_943:                            ;   in Loop: Header=BB281_15 Depth=1
	s_or_b32 exec_lo, exec_lo, s19
	v_lshlrev_b32_e32 v5, 8, v24
	s_delay_alu instid0(VALU_DEP_3) | instskip(NEXT) | instid1(VALU_DEP_3)
	v_lshl_add_u32 v4, v4, 10, 0x2000
	v_lshlrev_b32_e32 v0, 23, v0
	s_delay_alu instid0(VALU_DEP_2) | instskip(NEXT) | instid1(VALU_DEP_1)
	v_and_or_b32 v4, 0x8000, v5, v4
	v_lshl_or_b32 v9, v4, 16, v0
.LBB281_944:                            ;   in Loop: Header=BB281_15 Depth=1
	s_or_b32 exec_lo, exec_lo, s18
.LBB281_945:                            ;   in Loop: Header=BB281_15 Depth=1
	s_delay_alu instid0(SALU_CYCLE_1)
	s_or_b32 exec_lo, exec_lo, s17
.LBB281_946:                            ;   in Loop: Header=BB281_15 Depth=1
	s_delay_alu instid0(SALU_CYCLE_1) | instskip(SKIP_3) | instid1(VALU_DEP_2)
	s_or_b32 exec_lo, exec_lo, s16
	v_and_b32_e32 v0, 0xff, v3
	v_mov_b32_e32 v24, v3
	s_mov_b32 s16, exec_lo
	v_cmpx_ne_u16_e32 0, v0
	s_cbranch_execz .LBB281_954
; %bb.947:                              ;   in Loop: Header=BB281_15 Depth=1
	v_mov_b32_e32 v17, 0x8000
	s_mov_b32 s17, exec_lo
	v_cmpx_ne_u16_e32 0x80, v0
	s_cbranch_execz .LBB281_953
; %bb.948:                              ;   in Loop: Header=BB281_15 Depth=1
	v_and_b32_e32 v5, 0x7f, v3
	v_mov_b32_e32 v17, 0x7c01
	s_mov_b32 s18, exec_lo
	s_delay_alu instid0(VALU_DEP_2)
	v_cmpx_ne_u32_e32 0x7f, v5
	s_cbranch_execz .LBB281_952
; %bb.949:                              ;   in Loop: Header=BB281_15 Depth=1
	v_dual_lshrrev_b32 v4, 3, v5 :: v_dual_bitop2_b32 v0, 7, v3 bitop3:0x40
	s_mov_b32 s19, exec_lo
	v_cmpx_gt_u32_e32 8, v5
	s_cbranch_execz .LBB281_951
; %bb.950:                              ;   in Loop: Header=BB281_15 Depth=1
	s_delay_alu instid0(VALU_DEP_2) | instskip(SKIP_1) | instid1(VALU_DEP_2)
	v_clz_i32_u32_e32 v0, v0
	v_dual_mov_b32 v5, v26 :: v_dual_mov_b32 v6, v27
	v_min_u32_e32 v0, 32, v0
	s_delay_alu instid0(VALU_DEP_1) | instskip(NEXT) | instid1(VALU_DEP_1)
	v_subrev_nc_u32_e32 v4, 28, v0
	v_lshlrev_b64_e32 v[26:27], v4, v[24:25]
	s_delay_alu instid0(VALU_DEP_4) | instskip(NEXT) | instid1(VALU_DEP_2)
	v_dual_mov_b32 v27, v6 :: v_dual_sub_nc_u32 v4, 29, v0
	v_dual_mov_b32 v26, v5 :: v_dual_bitop2_b32 v0, 7, v26 bitop3:0x40
.LBB281_951:                            ;   in Loop: Header=BB281_15 Depth=1
	s_or_b32 exec_lo, exec_lo, s19
	s_delay_alu instid0(VALU_DEP_1) | instskip(NEXT) | instid1(VALU_DEP_3)
	v_dual_lshlrev_b32 v5, 8, v3 :: v_dual_lshlrev_b32 v0, 7, v0
	v_lshl_add_u32 v4, v4, 10, 0x2000
	s_delay_alu instid0(VALU_DEP_2) | instskip(NEXT) | instid1(VALU_DEP_2)
	v_and_b32_e32 v5, 0x8000, v5
	v_and_b32_e32 v4, 0xfc00, v4
	s_delay_alu instid0(VALU_DEP_1)
	v_or3_b32 v17, v5, v4, v0
.LBB281_952:                            ;   in Loop: Header=BB281_15 Depth=1
	s_or_b32 exec_lo, exec_lo, s18
.LBB281_953:                            ;   in Loop: Header=BB281_15 Depth=1
	s_delay_alu instid0(SALU_CYCLE_1)
	s_or_b32 exec_lo, exec_lo, s17
.LBB281_954:                            ;   in Loop: Header=BB281_15 Depth=1
	s_delay_alu instid0(SALU_CYCLE_1) | instskip(SKIP_3) | instid1(VALU_DEP_2)
	s_or_b32 exec_lo, exec_lo, s16
	v_lshrrev_b16 v24, 8, v24
	v_dual_mov_b32 v6, 0 :: v_dual_mov_b32 v13, 0
	s_mov_b32 s16, exec_lo
	v_cmpx_ne_u16_e32 0, v24
	s_cbranch_execz .LBB281_962
; %bb.955:                              ;   in Loop: Header=BB281_15 Depth=1
	v_bfrev_b32_e32 v13, 1
	s_mov_b32 s17, exec_lo
	v_cmpx_ne_u16_e32 0x80, v24
	s_cbranch_execz .LBB281_961
; %bb.956:                              ;   in Loop: Header=BB281_15 Depth=1
	v_and_b32_e32 v0, 0xffff, v24
	v_mov_b32_e32 v13, 0x7c010000
	s_mov_b32 s18, exec_lo
	s_delay_alu instid0(VALU_DEP_2) | instskip(NEXT) | instid1(VALU_DEP_1)
	v_and_b32_e32 v19, 0x7f, v0
	v_cmpx_ne_u32_e32 0x7f, v19
	s_cbranch_execz .LBB281_960
; %bb.957:                              ;   in Loop: Header=BB281_15 Depth=1
	v_dual_lshrrev_b32 v5, 3, v19 :: v_dual_bitop2_b32 v4, 7, v0 bitop3:0x40
	s_mov_b32 s19, exec_lo
	v_cmpx_gt_u32_e32 8, v19
; %bb.958:                              ;   in Loop: Header=BB281_15 Depth=1
	s_delay_alu instid0(VALU_DEP_2) | instskip(NEXT) | instid1(VALU_DEP_1)
	v_clz_i32_u32_e32 v4, v4
	v_min_u32_e32 v13, 32, v4
	s_delay_alu instid0(VALU_DEP_1) | instskip(NEXT) | instid1(VALU_DEP_1)
	v_subrev_nc_u32_e32 v4, 28, v13
	v_lshlrev_b64_e32 v[4:5], v4, v[24:25]
	s_delay_alu instid0(VALU_DEP_1)
	v_dual_sub_nc_u32 v5, 29, v13 :: v_dual_bitop2_b32 v4, 7, v4 bitop3:0x40
; %bb.959:                              ;   in Loop: Header=BB281_15 Depth=1
	s_or_b32 exec_lo, exec_lo, s19
	v_lshlrev_b32_e32 v0, 8, v0
	s_delay_alu instid0(VALU_DEP_2) | instskip(NEXT) | instid1(VALU_DEP_3)
	v_lshl_add_u32 v5, v5, 10, 0x2000
	v_lshlrev_b32_e32 v4, 23, v4
	s_delay_alu instid0(VALU_DEP_2) | instskip(NEXT) | instid1(VALU_DEP_1)
	v_and_or_b32 v0, 0x8000, v0, v5
	v_lshl_or_b32 v13, v0, 16, v4
.LBB281_960:                            ;   in Loop: Header=BB281_15 Depth=1
	s_or_b32 exec_lo, exec_lo, s18
.LBB281_961:                            ;   in Loop: Header=BB281_15 Depth=1
	s_delay_alu instid0(SALU_CYCLE_1)
	s_or_b32 exec_lo, exec_lo, s17
.LBB281_962:                            ;   in Loop: Header=BB281_15 Depth=1
	s_delay_alu instid0(SALU_CYCLE_1) | instskip(SKIP_2) | instid1(VALU_DEP_1)
	s_or_b32 exec_lo, exec_lo, s16
	v_lshrrev_b32_e32 v0, 16, v3
	s_mov_b32 s16, exec_lo
	v_and_b32_e32 v4, 0xff, v0
	s_delay_alu instid0(VALU_DEP_1)
	v_cmpx_ne_u16_e32 0, v4
	s_cbranch_execz .LBB281_970
; %bb.963:                              ;   in Loop: Header=BB281_15 Depth=1
	v_mov_b32_e32 v6, 0x8000
	s_mov_b32 s17, exec_lo
	v_cmpx_ne_u16_e32 0x80, v4
	s_cbranch_execz .LBB281_969
; %bb.964:                              ;   in Loop: Header=BB281_15 Depth=1
	v_bfe_u32 v19, v3, 16, 7
	v_mov_b32_e32 v6, 0x7c01
	s_mov_b32 s18, exec_lo
	s_delay_alu instid0(VALU_DEP_2)
	v_cmpx_ne_u32_e32 0x7f, v19
	s_cbranch_execz .LBB281_968
; %bb.965:                              ;   in Loop: Header=BB281_15 Depth=1
	v_dual_lshrrev_b32 v5, 3, v19 :: v_dual_bitop2_b32 v4, 7, v0 bitop3:0x40
	s_mov_b32 s19, exec_lo
	v_cmpx_gt_u32_e32 8, v19
; %bb.966:                              ;   in Loop: Header=BB281_15 Depth=1
	s_delay_alu instid0(VALU_DEP_2) | instskip(NEXT) | instid1(VALU_DEP_1)
	v_clz_i32_u32_e32 v4, v4
	v_min_u32_e32 v6, 32, v4
	s_delay_alu instid0(VALU_DEP_1) | instskip(NEXT) | instid1(VALU_DEP_1)
	v_subrev_nc_u32_e32 v4, 28, v6
	v_lshlrev_b64_e32 v[4:5], v4, v[0:1]
	s_delay_alu instid0(VALU_DEP_1)
	v_dual_sub_nc_u32 v5, 29, v6 :: v_dual_bitop2_b32 v4, 7, v4 bitop3:0x40
; %bb.967:                              ;   in Loop: Header=BB281_15 Depth=1
	s_or_b32 exec_lo, exec_lo, s19
	v_lshlrev_b32_e32 v0, 8, v0
	s_delay_alu instid0(VALU_DEP_2) | instskip(NEXT) | instid1(VALU_DEP_3)
	v_lshl_add_u32 v5, v5, 10, 0x2000
	v_lshlrev_b32_e32 v4, 7, v4
	s_delay_alu instid0(VALU_DEP_3) | instskip(NEXT) | instid1(VALU_DEP_3)
	v_and_b32_e32 v0, 0x8000, v0
	v_and_b32_e32 v5, 0xfc00, v5
	s_delay_alu instid0(VALU_DEP_1)
	v_or3_b32 v6, v0, v5, v4
.LBB281_968:                            ;   in Loop: Header=BB281_15 Depth=1
	s_or_b32 exec_lo, exec_lo, s18
.LBB281_969:                            ;   in Loop: Header=BB281_15 Depth=1
	s_delay_alu instid0(SALU_CYCLE_1)
	s_or_b32 exec_lo, exec_lo, s17
.LBB281_970:                            ;   in Loop: Header=BB281_15 Depth=1
	s_delay_alu instid0(SALU_CYCLE_1)
	s_or_b32 exec_lo, exec_lo, s16
	s_clause 0x2
	scratch_store_b32 off, v27, s32 offset:332
	scratch_store_b32 off, v26, s32 offset:328
	;; [unrolled: 1-line block ×3, first 2 shown]
	s_wait_xcnt 0x0
	v_dual_mov_b32 v23, v104 :: v_dual_mov_b32 v10, v44
	s_clause 0x1
	scratch_store_b32 off, v95, s32 offset:308
	scratch_store_b32 off, v22, s32 offset:300
	s_wait_xcnt 0x1
	v_dual_mov_b32 v11, v97 :: v_dual_mov_b32 v95, v96
	v_dual_mov_b32 v97, v64 :: v_dual_mov_b32 v96, v49
	;; [unrolled: 1-line block ×4, first 2 shown]
	v_mov_b32_e32 v19, 0
	s_mov_b32 s16, exec_lo
	s_wait_xcnt 0x0
	v_cmpx_lt_u64_e64 s[8:9], v[2:3]
	s_cbranch_execz .LBB281_13
; %bb.971:                              ;   in Loop: Header=BB281_15 Depth=1
	v_lshrrev_b32_e32 v24, 24, v3
	v_bfrev_b32_e32 v19, 1
	s_mov_b32 s17, exec_lo
	s_delay_alu instid0(VALU_DEP_2)
	v_cmpx_ne_u32_e32 0x80, v24
	s_cbranch_execz .LBB281_12
; %bb.972:                              ;   in Loop: Header=BB281_15 Depth=1
	v_and_b32_e32 v3, 0x7f, v24
	v_mov_b32_e32 v19, 0x7c010000
	s_mov_b32 s18, exec_lo
	s_delay_alu instid0(VALU_DEP_2)
	v_cmpx_ne_u32_e32 0x7f, v3
	s_cbranch_execz .LBB281_11
; %bb.973:                              ;   in Loop: Header=BB281_15 Depth=1
	v_dual_lshrrev_b32 v2, 3, v3 :: v_dual_bitop2_b32 v0, 7, v24 bitop3:0x40
	s_mov_b32 s19, exec_lo
	v_cmpx_gt_u32_e32 8, v3
	s_cbranch_execz .LBB281_10
; %bb.974:                              ;   in Loop: Header=BB281_15 Depth=1
	s_delay_alu instid0(VALU_DEP_2) | instskip(NEXT) | instid1(VALU_DEP_1)
	v_clz_i32_u32_e32 v0, v0
	v_min_u32_e32 v0, 32, v0
	s_delay_alu instid0(VALU_DEP_1) | instskip(NEXT) | instid1(VALU_DEP_1)
	v_subrev_nc_u32_e32 v2, 28, v0
	v_lshlrev_b64_e32 v[4:5], v2, v[24:25]
	v_sub_nc_u32_e32 v2, 29, v0
	s_delay_alu instid0(VALU_DEP_2)
	v_and_b32_e32 v0, 7, v4
	s_branch .LBB281_10
.LBB281_975:
	s_or_b32 exec_lo, exec_lo, s15
	s_clause 0x1
	scratch_load_b32 v13, off, s32 offset:432
	scratch_load_b32 v7, off, s32 offset:436
.LBB281_976:
	s_wait_xcnt 0x0
	s_or_b32 exec_lo, exec_lo, s3
	v_mbcnt_lo_u32_b32 v0, -1, 0
	s_delay_alu instid0(VALU_DEP_1) | instskip(SKIP_1) | instid1(VALU_DEP_2)
	v_dual_max_num_f32 v4, v22, v22 :: v_dual_bitop2_b32 v1, 16, v0 bitop3:0x14
	v_xor_b32_e32 v3, 8, v0
	v_cmp_gt_i32_e32 vcc_lo, 32, v1
	v_cndmask_b32_e32 v1, v0, v1, vcc_lo
	s_delay_alu instid0(VALU_DEP_3) | instskip(NEXT) | instid1(VALU_DEP_2)
	v_cmp_gt_i32_e32 vcc_lo, 32, v3
	v_dual_lshlrev_b32 v1, 2, v1 :: v_dual_cndmask_b32 v3, v0, v3, vcc_lo
	ds_bpermute_b32 v2, v1, v22
	s_wait_dscnt 0x0
	v_dual_max_num_f32 v5, v2, v2 :: v_dual_lshlrev_b32 v2, 2, v3
	s_delay_alu instid0(VALU_DEP_1) | instskip(SKIP_4) | instid1(VALU_DEP_1)
	v_dual_max_num_f32 v4, v4, v5 :: v_dual_bitop2_b32 v5, 4, v0 bitop3:0x14
	ds_bpermute_b32 v3, v2, v4
	v_cmp_gt_i32_e32 vcc_lo, 32, v5
	s_wait_dscnt 0x0
	v_dual_cndmask_b32 v5, v0, v5 :: v_dual_max_num_f32 v6, v3, v3
	v_dual_max_num_f32 v4, v4, v6 :: v_dual_lshlrev_b32 v3, 2, v5
	ds_bpermute_b32 v5, v3, v4
	s_wait_dscnt 0x0
	v_dual_max_num_f32 v5, v5, v5 :: v_dual_bitop2_b32 v6, 2, v0 bitop3:0x14
	s_delay_alu instid0(VALU_DEP_1) | instskip(NEXT) | instid1(VALU_DEP_2)
	v_cmp_gt_i32_e32 vcc_lo, 32, v6
	v_max_num_f32_e32 v4, v4, v5
	v_cndmask_b32_e32 v6, v0, v6, vcc_lo
	s_delay_alu instid0(VALU_DEP_1) | instskip(SKIP_3) | instid1(VALU_DEP_1)
	v_lshlrev_b32_e32 v52, 2, v6
	ds_bpermute_b32 v5, v52, v4
	s_wait_dscnt 0x0
	v_dual_max_num_f32 v5, v5, v5 :: v_dual_bitop2_b32 v6, 1, v0 bitop3:0x14
	v_cmp_gt_i32_e32 vcc_lo, 32, v6
	v_cndmask_b32_e32 v6, v0, v6, vcc_lo
	s_delay_alu instid0(VALU_DEP_3)
	v_max_num_f32_e32 v0, v4, v5
	scratch_load_b32 v4, off, s32 offset:336 ; 4-byte Folded Reload
	s_wait_loadcnt 0x0
	v_cmp_eq_u32_e32 vcc_lo, 0, v4
	scratch_load_b32 v4, off, s32 offset:368 ; 4-byte Folded Reload
	s_wait_loadcnt 0x0
	v_dual_lshlrev_b32 v4, 2, v4 :: v_dual_lshlrev_b32 v51, 2, v6
	ds_bpermute_b32 v5, v51, v0
	s_wait_xcnt 0x0
	s_and_saveexec_b32 s1, vcc_lo
	s_cbranch_execz .LBB281_978
; %bb.977:
	s_wait_dscnt 0x0
	v_dual_max_num_f32 v5, v5, v5 :: v_dual_max_num_f32 v0, v0, v0
	s_delay_alu instid0(VALU_DEP_1)
	v_max_num_f32_e32 v0, v0, v5
	ds_store_b32 v4, v0 offset:240
.LBB281_978:
	s_or_b32 exec_lo, exec_lo, s1
	scratch_load_b32 v0, off, s32 offset:336 ; 4-byte Folded Reload
	s_wait_storecnt 0x0
	s_wait_loadcnt_dscnt 0x0
	s_barrier_signal -1
	s_barrier_wait -1
	v_cmp_gt_u32_e64 s1, 4, v0
	v_mov_b32_e32 v0, 0xff7fffff
	s_and_saveexec_b32 s2, s1
; %bb.979:
	ds_load_b32 v0, v7 offset:240
; %bb.980:
	s_or_b32 exec_lo, exec_lo, s2
	s_wait_dscnt 0x0
	ds_bpermute_b32 v5, v52, v0
	s_wait_dscnt 0x0
	v_dual_max_num_f32 v0, v0, v0 :: v_dual_max_num_f32 v5, v5, v5
	s_delay_alu instid0(VALU_DEP_1) | instskip(SKIP_3) | instid1(VALU_DEP_1)
	v_max_num_f32_e32 v0, v0, v5
	ds_bpermute_b32 v5, v51, v0
	s_wait_dscnt 0x0
	v_max_num_f32_e32 v5, v5, v5
	v_dual_max_num_f32 v0, v0, v5 :: v_dual_mov_b32 v5, 0
	ds_bpermute_b32 v6, v5, v0
	scratch_load_b32 v0, off, s32 offset:208 ; 4-byte Folded Reload
	s_wait_loadcnt 0x0
	v_lshlrev_b32_e32 v0, 5, v0
	s_delay_alu instid0(VALU_DEP_1) | instskip(NEXT) | instid1(VALU_DEP_1)
	v_min_i32_e32 v0, v0, v12
	v_cmp_lt_i32_e64 s2, v13, v0
	s_and_saveexec_b32 s8, s2
	s_cbranch_execz .LBB281_984
; %bb.981:
	s_load_b32 s3, s[6:7], 0x0
	v_dual_mov_b32 v10, v7 :: v_dual_mov_b32 v5, 0
	v_mov_b32_e32 v8, v13
	s_mov_b32 s9, 0
	s_wait_kmcnt 0x0
	v_lshl_add_u32 v7, v13, 2, s3
.LBB281_982:                            ; =>This Inner Loop Header: Depth=1
	ds_load_b32 v9, v7
	v_add_nc_u32_e32 v8, 0x80, v8
	s_delay_alu instid0(VALU_DEP_1) | instskip(SKIP_3) | instid1(VALU_DEP_1)
	v_cmp_ge_i32_e64 s3, v8, v0
	s_or_b32 s9, s3, s9
	s_wait_dscnt 0x0
	v_sub_f32_e32 v9, v9, v6
	v_mul_f32_e32 v9, 0x3fb8aa3b, v9
	s_delay_alu instid0(VALU_DEP_1)
	v_exp_f32_e32 v9, v9
	ds_store_b32 v7, v9
	v_nop
	v_add_f32_e32 v5, v5, v9
	v_add_nc_u32_e32 v7, 0x200, v7
	s_and_not1_b32 exec_lo, exec_lo, s9
	s_cbranch_execnz .LBB281_982
; %bb.983:
	s_or_b32 exec_lo, exec_lo, s9
	v_mov_b32_e32 v7, v10
.LBB281_984:
	s_or_b32 exec_lo, exec_lo, s8
	ds_bpermute_b32 v1, v1, v5
	s_wait_dscnt 0x0
	v_add_f32_e32 v1, v5, v1
	ds_bpermute_b32 v2, v2, v1
	s_wait_dscnt 0x0
	v_add_f32_e32 v1, v1, v2
	;; [unrolled: 3-line block ×5, first 2 shown]
	s_and_saveexec_b32 s3, vcc_lo
; %bb.985:
	ds_store_b32 v4, v1 offset:256
; %bb.986:
	s_or_b32 exec_lo, exec_lo, s3
	s_wait_dscnt 0x0
	s_barrier_signal -1
	s_barrier_wait -1
	s_and_saveexec_b32 s3, s1
; %bb.987:
	ds_load_b32 v1, v7 offset:256
; %bb.988:
	s_or_b32 exec_lo, exec_lo, s3
	s_wait_dscnt 0x0
	ds_bpermute_b32 v2, v52, v1
	s_wait_dscnt 0x0
	v_dual_mov_b32 v3, 0 :: v_dual_add_f32 v1, v1, v2
	ds_bpermute_b32 v2, v51, v1
	s_wait_dscnt 0x0
	v_add_f32_e32 v1, v1, v2
	ds_bpermute_b32 v1, v3, v1
	s_and_saveexec_b32 s1, s2
	s_cbranch_execz .LBB281_1001
; %bb.989:
	s_wait_dscnt 0x0
	v_add_f32_e32 v1, 0x358637bd, v1
	s_mov_b32 s3, -1
	s_mov_b32 s2, exec_lo
	s_delay_alu instid0(VALU_DEP_1) | instskip(NEXT) | instid1(VALU_DEP_1)
	v_div_scale_f32 v2, null, v1, v1, 1.0
	v_rcp_f32_e32 v4, v2
	v_nop
	s_delay_alu instid0(TRANS32_DEP_1) | instskip(NEXT) | instid1(VALU_DEP_1)
	v_fma_f32 v5, -v2, v4, 1.0
	v_fmac_f32_e32 v4, v5, v4
	v_div_scale_f32 v6, vcc_lo, 1.0, v1, 1.0
	s_delay_alu instid0(VALU_DEP_1) | instskip(NEXT) | instid1(VALU_DEP_1)
	v_mul_f32_e32 v5, v6, v4
	v_fma_f32 v7, -v2, v5, v6
	s_delay_alu instid0(VALU_DEP_1) | instskip(NEXT) | instid1(VALU_DEP_1)
	v_fmac_f32_e32 v5, v7, v4
	v_fma_f32 v6, -v2, v5, v6
	v_xad_u32 v2, v13, -1, v0
	s_delay_alu instid0(VALU_DEP_2) | instskip(NEXT) | instid1(VALU_DEP_1)
	v_div_fmas_f32 v4, v6, v4, v5
	v_div_fixup_f32 v4, v4, v1, 1.0
	v_mov_b32_e32 v1, v13
	s_delay_alu instid0(VALU_DEP_4)
	v_cmpx_lt_u32_e32 0x7f, v2
	s_cbranch_execz .LBB281_998
; %bb.990:
	s_delay_alu instid0(VALU_DEP_3) | instskip(NEXT) | instid1(VALU_DEP_1)
	v_dual_lshrrev_b32 v1, 7, v2 :: v_dual_mov_b32 v5, v4
	v_dual_mov_b32 v8, 0 :: v_dual_add_nc_u32 v2, -1, v1
	s_delay_alu instid0(VALU_DEP_1) | instskip(SKIP_1) | instid1(VALU_DEP_2)
	v_lshrrev_b32_e32 v6, 1, v2
	v_cmp_lt_u32_e32 vcc_lo, 13, v2
	v_add_nc_u32_e32 v2, 1, v6
	s_and_saveexec_b32 s3, vcc_lo
	s_cbranch_execz .LBB281_994
; %bb.991:
	s_load_b32 s8, s[6:7], 0x0
	s_delay_alu instid0(VALU_DEP_1)
	v_and_b32_e32 v6, -8, v2
	s_mov_b32 s9, 0
	s_wait_kmcnt 0x0
	v_lshl_add_u32 v7, v13, 2, s8
	s_mov_b32 s8, 0
.LBB281_992:                            ; =>This Inner Loop Header: Depth=1
	ds_load_2addr_stride64_b32 v[8:9], v7 offset1:2
	ds_load_2addr_stride64_b32 v[10:11], v7 offset0:4 offset1:6
	ds_load_2addr_stride64_b32 v[14:15], v7 offset0:8 offset1:10
	;; [unrolled: 1-line block ×7, first 2 shown]
	s_add_co_i32 s9, s9, 16
	v_add_nc_u32_e32 v6, -8, v6
	s_wait_dscnt 0x7
	v_pk_mul_f32 v[8:9], v[4:5], v[8:9]
	s_wait_dscnt 0x6
	v_pk_mul_f32 v[10:11], v[4:5], v[10:11]
	;; [unrolled: 2-line block ×8, first 2 shown]
	ds_store_2addr_stride64_b32 v7, v8, v9 offset1:2
	ds_store_2addr_stride64_b32 v7, v10, v11 offset0:4 offset1:6
	ds_store_2addr_stride64_b32 v7, v14, v15 offset0:8 offset1:10
	ds_store_2addr_stride64_b32 v7, v16, v17 offset0:12 offset1:14
	ds_store_2addr_stride64_b32 v7, v18, v19 offset0:16 offset1:18
	ds_store_2addr_stride64_b32 v7, v20, v21 offset0:20 offset1:22
	ds_store_2addr_stride64_b32 v7, v22, v23 offset0:24 offset1:26
	ds_store_2addr_stride64_b32 v7, v24, v25 offset0:28 offset1:30
	v_mov_b32_e32 v8, s9
	v_cmp_eq_u32_e32 vcc_lo, 0, v6
	v_add_nc_u32_e32 v7, 0x2000, v7
	s_or_b32 s8, vcc_lo, s8
	s_delay_alu instid0(SALU_CYCLE_1)
	s_and_not1_b32 exec_lo, exec_lo, s8
	s_cbranch_execnz .LBB281_992
; %bb.993:
	s_or_b32 exec_lo, exec_lo, s8
.LBB281_994:
	s_delay_alu instid0(SALU_CYCLE_1) | instskip(NEXT) | instid1(VALU_DEP_1)
	s_or_b32 exec_lo, exec_lo, s3
	v_and_b32_e32 v2, 7, v2
	s_mov_b32 s8, 0
	s_mov_b32 s3, exec_lo
	s_delay_alu instid0(VALU_DEP_1)
	v_cmpx_ne_u32_e32 0, v2
	s_cbranch_execz .LBB281_997
; %bb.995:
	s_load_b32 s9, s[6:7], 0x0
	v_dual_lshlrev_b32 v6, 9, v8 :: v_dual_lshlrev_b32 v7, 2, v13
	s_wait_kmcnt 0x0
	s_delay_alu instid0(VALU_DEP_1)
	v_add3_u32 v6, v6, v7, s9
.LBB281_996:                            ; =>This Inner Loop Header: Depth=1
	ds_load_2addr_stride64_b32 v[8:9], v6 offset1:2
	v_add_nc_u32_e32 v2, -1, v2
	s_delay_alu instid0(VALU_DEP_1)
	v_cmp_eq_u32_e32 vcc_lo, 0, v2
	s_or_b32 s8, vcc_lo, s8
	s_wait_dscnt 0x0
	v_pk_mul_f32 v[8:9], v[4:5], v[8:9]
	ds_store_2addr_stride64_b32 v6, v8, v9 offset1:2
	v_add_nc_u32_e32 v6, 0x400, v6
	s_and_not1_b32 exec_lo, exec_lo, s8
	s_cbranch_execnz .LBB281_996
.LBB281_997:
	s_or_b32 exec_lo, exec_lo, s3
	v_add_nc_u32_e32 v1, 1, v1
	s_delay_alu instid0(VALU_DEP_1) | instskip(NEXT) | instid1(VALU_DEP_1)
	v_and_b32_e32 v2, 0x3fffffe, v1
	v_cmp_ne_u32_e32 vcc_lo, v1, v2
	v_lshl_add_u32 v1, v2, 7, v13
	s_or_not1_b32 s3, vcc_lo, exec_lo
.LBB281_998:
	s_or_b32 exec_lo, exec_lo, s2
	s_delay_alu instid0(SALU_CYCLE_1)
	s_and_b32 exec_lo, exec_lo, s3
	s_cbranch_execz .LBB281_1001
; %bb.999:
	s_load_b32 s2, s[6:7], 0x0
	s_wait_kmcnt 0x0
	v_lshl_add_u32 v2, v1, 2, s2
	s_mov_b32 s2, 0
.LBB281_1000:                           ; =>This Inner Loop Header: Depth=1
	ds_load_b32 v5, v2
	v_add_nc_u32_e32 v1, 0x80, v1
	s_delay_alu instid0(VALU_DEP_1)
	v_cmp_ge_i32_e32 vcc_lo, v1, v0
	s_or_b32 s2, vcc_lo, s2
	s_wait_dscnt 0x0
	v_mul_f32_e32 v5, v4, v5
	ds_store_b32 v2, v5
	v_add_nc_u32_e32 v2, 0x200, v2
	s_and_not1_b32 exec_lo, exec_lo, s2
	s_cbranch_execnz .LBB281_1000
.LBB281_1001:
	s_or_b32 exec_lo, exec_lo, s1
	v_dual_mov_b32 v58, v13 :: v_dual_bitop2_b32 v53, 3, v13 bitop3:0x40
	v_dual_mov_b32 v2, 0 :: v_dual_mov_b32 v5, 0
	v_dual_mov_b32 v4, 0 :: v_dual_mov_b32 v35, 0
	;; [unrolled: 1-line block ×7, first 2 shown]
	s_wait_dscnt 0x0
	s_barrier_signal -1
	s_barrier_wait -1
	s_and_saveexec_b32 s1, s0
	s_cbranch_execz .LBB281_1997
; %bb.1002:
	s_clause 0x1
	scratch_load_b32 v0, off, s32 offset:372 th:TH_LOAD_LU
	scratch_load_b32 v1, off, s32 offset:404 th:TH_LOAD_LU
	v_dual_mov_b32 v24, 0 :: v_dual_mov_b32 v25, 0
	v_dual_mov_b32 v30, 0 :: v_dual_mov_b32 v31, 0
	;; [unrolled: 1-line block ×5, first 2 shown]
	s_mov_b64 s[2:3], 0xffffffffffffff
	s_mov_b32 s8, 0
	v_dual_lshlrev_b32 v3, 3, v58 :: v_dual_mov_b32 v7, 0
	v_mov_b32_e32 v13, v12
	s_delay_alu instid0(VALU_DEP_2) | instskip(SKIP_3) | instid1(VALU_DEP_1)
	v_and_b32_e32 v6, 0xf8, v3
	v_dual_mov_b32 v3, 0 :: v_dual_bitop2_b32 v66, 24, v3 bitop3:0x40
	s_wait_loadcnt 0x0
	v_max_i32_e32 v55, v0, v1
	v_cvt_f32_u32_e32 v0, v55
	s_delay_alu instid0(VALU_DEP_1)
	v_rcp_iflag_f32_e32 v2, v0
	s_clause 0x3
	scratch_load_b64 v[0:1], off, s32 offset:424 th:TH_LOAD_LU
	scratch_load_b64 v[4:5], off, s32 offset:396 th:TH_LOAD_LU
	scratch_load_b32 v10, off, s32 offset:368
	scratch_load_b64 v[60:61], off, s32 offset:416
	v_nop
	v_mul_f32_e32 v2, 0x4f7ffffe, v2
	s_delay_alu instid0(VALU_DEP_1)
	v_cvt_u32_f32_e32 v9, v2
	s_wait_loadcnt 0x2
	v_add_nc_u64_e32 v[0:1], v[0:1], v[4:5]
	scratch_load_b32 v4, off, s32 offset:208 ; 4-byte Folded Reload
	v_mov_b32_e32 v5, 0
	v_add_nc_u64_e32 v[26:27], v[0:1], v[6:7]
	scratch_load_b32 v0, off, s32 offset:392 th:TH_LOAD_LU ; 4-byte Folded Reload
	s_wait_loadcnt 0x0
	v_and_b32_e32 v6, 0x7c, v0
	scratch_load_b64 v[0:1], off, s32 offset:384 th:TH_LOAD_LU ; 8-byte Folded Reload
	v_dual_lshlrev_b32 v8, 5, v53 :: v_dual_add_nc_u32 v64, -1, v4
	v_dual_sub_nc_u32 v4, 0, v55 :: v_dual_mov_b32 v54, 0
	v_mov_b32_e32 v65, v10
	s_delay_alu instid0(VALU_DEP_3) | instskip(SKIP_3) | instid1(VALU_DEP_2)
	v_lshl_or_b32 v67, v10, 7, v8
	scratch_load_b64 v[10:11], off, s32 offset:376 th:TH_LOAD_LU ; 8-byte Folded Reload
	v_mul_lo_u32 v2, v4, v9
	v_mov_b32_e32 v4, 0
	v_mul_hi_u32 v14, v9, v2
	v_dual_mov_b32 v2, 0 :: v_dual_mov_b32 v15, v7
	s_delay_alu instid0(VALU_DEP_2) | instskip(SKIP_3) | instid1(VALU_DEP_1)
	v_add_nc_u32_e32 v14, v9, v14
	s_wait_loadcnt 0x1
	v_lshl_add_u64 v[0:1], v[0:1], 2, v[6:7]
	s_wait_loadcnt 0x0
	v_add_nc_u64_e32 v[10:11], v[10:11], v[0:1]
	s_branch .LBB281_1005
.LBB281_1003:                           ;   in Loop: Header=BB281_1005 Depth=1
	s_or_b32 exec_lo, exec_lo, s0
	v_dual_add_f32 v8, v49, v50 :: v_dual_add_f32 v16, v56, v57
	v_dual_add_f32 v17, v46, v47 :: v_dual_add_f32 v18, v44, v45
	s_delay_alu instid0(VALU_DEP_2) | instskip(NEXT) | instid1(VALU_DEP_2)
	v_dual_add_f32 v19, v42, v43 :: v_dual_add_f32 v3, v3, v8
	v_dual_add_f32 v2, v2, v16 :: v_dual_add_f32 v5, v5, v17
	;; [unrolled: 1-line block ×3, first 2 shown]
	;;#ASMSTART
	v_pk_mul_f16 v9, v96, v9;

	;;#ASMEND
	;;#ASMSTART
	v_pk_mul_f16 v6, v86, v6;

	;;#ASMEND
	;; [unrolled: 4-line block ×4, first 2 shown]
	;;#ASMSTART
	v_pk_add_f16 v6, v9, v6;

	;;#ASMEND
	;;#ASMSTART
	v_pk_add_f16 v1, v6, v1;

	;;#ASMEND
	;; [unrolled: 4-line block ×3, first 2 shown]
	v_and_b32_e32 v9, 0xffff, v0
	v_dual_add_f32 v4, v4, v18 :: v_dual_add_f32 v35, v35, v19
	v_dual_add_f32 v17, v116, v117 :: v_dual_add_f32 v18, v114, v115
	;; [unrolled: 1-line block ×3, first 2 shown]
	s_delay_alu instid0(VALU_DEP_2) | instskip(SKIP_4) | instid1(VALU_DEP_2)
	v_dual_add_f32 v21, v21, v16 :: v_dual_add_f32 v20, v20, v17
	v_dual_add_f32 v8, v102, v103 :: v_dual_lshrrev_b32 v16, 16, v0
	;;#ASMSTART
	v_cvt_f32_f16 v9, v9;
	;;#ASMEND
	v_dual_add_f32 v0, v100, v101 :: v_dual_add_f32 v1, v98, v99
	;;#ASMSTART
	v_cvt_f32_f16 v16, v16;
	;;#ASMEND
	v_dual_add_f32 v6, v87, v97 :: v_dual_add_f32 v9, v9, v16
	v_dual_add_f32 v33, v33, v18 :: v_dual_add_f32 v32, v32, v19
	s_delay_alu instid0(VALU_DEP_3) | instskip(NEXT) | instid1(VALU_DEP_3)
	v_dual_add_f32 v31, v31, v8 :: v_dual_add_f32 v25, v25, v1
	v_dual_add_f32 v30, v30, v0 :: v_dual_add_f32 v24, v24, v6
	s_delay_alu instid0(VALU_DEP_4)
	v_add_f32_e32 v54, v54, v9
.LBB281_1004:                           ;   in Loop: Header=BB281_1005 Depth=1
	s_or_b32 exec_lo, exec_lo, s9
	scratch_load_b32 v0, off, s32 offset:208 ; 4-byte Folded Reload
	v_add_nc_u32_e32 v65, 4, v65
	v_add_nc_u64_e32 v[10:11], 16, v[10:11]
	v_add_nc_u32_e32 v60, 0x80, v60
	v_add_nc_u32_e32 v67, 0x200, v67
	s_wait_loadcnt 0x0
	v_cmp_ge_i32_e32 vcc_lo, v65, v0
	s_or_b32 s8, vcc_lo, s8
	s_delay_alu instid0(SALU_CYCLE_1)
	s_and_not1_b32 exec_lo, exec_lo, s8
	s_cbranch_execz .LBB281_1996
.LBB281_1005:                           ; =>This Inner Loop Header: Depth=1
	scratch_load_b64 v[0:1], off, s32 offset:216 ; 8-byte Folded Reload
	v_mov_b32_e32 v61, v7
	s_delay_alu instid0(VALU_DEP_1) | instskip(NEXT) | instid1(VALU_DEP_1)
	v_mov_b64_e32 v[8:9], v[60:61]
	v_mov_b32_e32 v60, v8
	s_wait_loadcnt 0x0
	s_delay_alu instid0(VALU_DEP_2) | instskip(SKIP_4) | instid1(VALU_DEP_1)
	v_mul_u64_e32 v[0:1], v[8:9], v[0:1]
	scratch_load_b32 v9, off, s32 offset:212 ; 4-byte Folded Reload
	v_add_nc_u32_e32 v6, 1, v1
	s_wait_loadcnt 0x0
	v_mul_lo_u32 v0, v1, v9
	v_sub_nc_u32_e32 v0, v8, v0
	s_delay_alu instid0(VALU_DEP_1) | instskip(SKIP_1) | instid1(VALU_DEP_1)
	v_cmp_ge_u32_e32 vcc_lo, v0, v9
	v_dual_cndmask_b32 v1, v1, v6 :: v_dual_sub_nc_u32 v8, v0, v9
	v_dual_cndmask_b32 v0, v0, v8, vcc_lo :: v_dual_add_nc_u32 v6, 1, v1
	s_delay_alu instid0(VALU_DEP_1) | instskip(NEXT) | instid1(VALU_DEP_2)
	v_cmp_ge_u32_e32 vcc_lo, v0, v9
	v_cndmask_b32_e32 v0, v1, v6, vcc_lo
	scratch_load_b32 v1, off, s32 offset:224 ; 4-byte Folded Reload
	s_wait_loadcnt 0x0
	v_xor_b32_e32 v0, v0, v1
	s_delay_alu instid0(VALU_DEP_1) | instskip(SKIP_3) | instid1(VALU_DEP_1)
	v_sub_nc_u32_e32 v8, v0, v1
	scratch_load_b32 v0, off, s32 offset:228 ; 4-byte Folded Reload
	s_wait_loadcnt 0x0
	v_add_nc_u32_e32 v9, v8, v0
	v_sub_nc_u32_e32 v0, 0, v9
	s_delay_alu instid0(VALU_DEP_1) | instskip(NEXT) | instid1(VALU_DEP_1)
	v_max_i32_e32 v6, v9, v0
	v_mul_u64_e32 v[0:1], v[6:7], v[14:15]
	s_delay_alu instid0(VALU_DEP_1) | instskip(NEXT) | instid1(VALU_DEP_1)
	v_mul_lo_u32 v0, v1, v55
	v_dual_sub_nc_u32 v0, v6, v0 :: v_dual_ashrrev_i32 v6, 31, v9
	s_delay_alu instid0(VALU_DEP_1) | instskip(SKIP_1) | instid1(VALU_DEP_2)
	v_sub_nc_u32_e32 v1, v0, v55
	v_cmp_ge_u32_e32 vcc_lo, v0, v55
	v_cndmask_b32_e32 v0, v0, v1, vcc_lo
	s_delay_alu instid0(VALU_DEP_1) | instskip(SKIP_1) | instid1(VALU_DEP_2)
	v_sub_nc_u32_e32 v1, v0, v55
	v_cmp_ge_u32_e32 vcc_lo, v0, v55
	v_cndmask_b32_e32 v0, v0, v1, vcc_lo
	s_delay_alu instid0(VALU_DEP_1) | instskip(NEXT) | instid1(VALU_DEP_1)
	v_xor_b32_e32 v0, v0, v6
	v_sub_nc_u32_e32 v0, v0, v6
	s_delay_alu instid0(VALU_DEP_1) | instskip(SKIP_4) | instid1(SALU_CYCLE_1)
	v_cmp_eq_u32_e32 vcc_lo, 0, v0
	scratch_load_b32 v0, off, s32 offset:232 ; 4-byte Folded Reload
	s_wait_loadcnt 0x0
	v_cmp_gt_i32_e64 s0, v8, v0
	s_or_b32 s0, vcc_lo, s0
	s_and_saveexec_b32 s9, s0
	s_cbranch_execz .LBB281_1004
; %bb.1006:                             ;   in Loop: Header=BB281_1005 Depth=1
	s_load_b32 s0, s[6:7], 0x0
	flat_load_b32 v0, v[10:11]
	s_wait_kmcnt 0x0
	v_add_nc_u32_e32 v1, s0, v67
	s_mov_b32 s0, exec_lo
	ds_load_2addr_b64 v[16:19], v1 offset1:1
	ds_load_2addr_b64 v[36:39], v1 offset0:2 offset1:3
	scratch_load_b64 v[8:9], off, s32 offset:280 ; 8-byte Folded Reload
	s_wait_dscnt 0x1
	;;#ASMSTART
	v_cvt_f16_f32 v86, v16;

	;;#ASMEND
	;;#ASMSTART
	v_cvt_f16_f32 v84, v17;

	;;#ASMEND
	;; [unrolled: 4-line block ×4, first 2 shown]
	s_wait_dscnt 0x0
	;;#ASMSTART
	v_cvt_f16_f32 v98, v36;

	;;#ASMEND
	;;#ASMSTART
	v_cvt_f16_f32 v87, v37;

	;;#ASMEND
	;; [unrolled: 4-line block ×4, first 2 shown]
	s_wait_loadcnt 0x0
	v_mad_nc_i64_i32 v[28:29], v0, v8, v[26:27]
	v_mov_b32_e32 v8, 0
	flat_load_b64 v[38:39], v[28:29]
	scratch_load_b64 v[0:1], off, s32 offset:192 ; 8-byte Folded Reload
	s_wait_loadcnt 0x0
	flat_load_b32 v36, v[0:1]
	s_wait_dscnt 0x1
	s_wait_xcnt 0x0
	v_and_b32_e32 v0, 0xff, v38
	v_mov_b32_e32 v1, 0
	s_delay_alu instid0(VALU_DEP_2)
	v_cmpx_ne_u16_e32 0, v0
	s_cbranch_execz .LBB281_1014
; %bb.1007:                             ;   in Loop: Header=BB281_1005 Depth=1
	v_mov_b32_e32 v8, 0x8000
	s_mov_b32 s14, exec_lo
	v_cmpx_ne_u16_e32 0x80, v0
	s_cbranch_execz .LBB281_1013
; %bb.1008:                             ;   in Loop: Header=BB281_1005 Depth=1
	v_and_b32_e32 v9, 0x7f, v38
	v_mov_b32_e32 v8, 0x7c01
	s_mov_b32 s15, exec_lo
	s_delay_alu instid0(VALU_DEP_2)
	v_cmpx_ne_u32_e32 0x7f, v9
	s_cbranch_execz .LBB281_1012
; %bb.1009:                             ;   in Loop: Header=BB281_1005 Depth=1
	v_dual_lshrrev_b32 v6, 3, v9 :: v_dual_bitop2_b32 v0, 7, v38 bitop3:0x40
	s_mov_b32 s16, exec_lo
	v_cmpx_gt_u32_e32 8, v9
; %bb.1010:                             ;   in Loop: Header=BB281_1005 Depth=1
	s_delay_alu instid0(VALU_DEP_2) | instskip(NEXT) | instid1(VALU_DEP_1)
	v_clz_i32_u32_e32 v0, v0
	v_min_u32_e32 v0, 32, v0
	s_delay_alu instid0(VALU_DEP_1) | instskip(NEXT) | instid1(VALU_DEP_1)
	v_subrev_nc_u32_e32 v6, 28, v0
	v_lshlrev_b64_e32 v[8:9], v6, v[38:39]
	v_sub_nc_u32_e32 v6, 29, v0
	s_delay_alu instid0(VALU_DEP_2)
	v_and_b32_e32 v0, 7, v8
; %bb.1011:                             ;   in Loop: Header=BB281_1005 Depth=1
	s_or_b32 exec_lo, exec_lo, s16
	s_delay_alu instid0(VALU_DEP_1) | instskip(NEXT) | instid1(VALU_DEP_3)
	v_dual_lshlrev_b32 v8, 8, v38 :: v_dual_lshlrev_b32 v0, 7, v0
	v_lshl_add_u32 v6, v6, 10, 0x2000
	s_delay_alu instid0(VALU_DEP_2) | instskip(NEXT) | instid1(VALU_DEP_2)
	v_and_b32_e32 v8, 0x8000, v8
	v_and_b32_e32 v6, 0xfc00, v6
	s_delay_alu instid0(VALU_DEP_1)
	v_or3_b32 v8, v8, v6, v0
.LBB281_1012:                           ;   in Loop: Header=BB281_1005 Depth=1
	s_or_b32 exec_lo, exec_lo, s15
.LBB281_1013:                           ;   in Loop: Header=BB281_1005 Depth=1
	s_delay_alu instid0(SALU_CYCLE_1)
	s_or_b32 exec_lo, exec_lo, s14
.LBB281_1014:                           ;   in Loop: Header=BB281_1005 Depth=1
	s_delay_alu instid0(SALU_CYCLE_1) | instskip(SKIP_2) | instid1(VALU_DEP_1)
	s_or_b32 exec_lo, exec_lo, s0
	v_lshrrev_b16 v6, 8, v38
	s_mov_b32 s0, exec_lo
	v_cmpx_ne_u16_e32 0, v6
	s_cbranch_execz .LBB281_1022
; %bb.1015:                             ;   in Loop: Header=BB281_1005 Depth=1
	v_bfrev_b32_e32 v1, 1
	s_mov_b32 s14, exec_lo
	v_cmpx_ne_u16_e32 0x80, v6
	s_cbranch_execz .LBB281_1021
; %bb.1016:                             ;   in Loop: Header=BB281_1005 Depth=1
	v_and_b32_e32 v0, 0xffff, v6
	v_mov_b32_e32 v1, 0x7c010000
	s_mov_b32 s15, exec_lo
	s_delay_alu instid0(VALU_DEP_2) | instskip(NEXT) | instid1(VALU_DEP_1)
	v_and_b32_e32 v16, 0x7f, v0
	v_cmpx_ne_u32_e32 0x7f, v16
	s_cbranch_execz .LBB281_1020
; %bb.1017:                             ;   in Loop: Header=BB281_1005 Depth=1
	v_and_b32_e32 v1, 7, v0
	v_lshrrev_b32_e32 v9, 3, v16
	s_mov_b32 s16, exec_lo
	v_cmpx_gt_u32_e32 8, v16
; %bb.1018:                             ;   in Loop: Header=BB281_1005 Depth=1
	s_delay_alu instid0(VALU_DEP_3) | instskip(NEXT) | instid1(VALU_DEP_1)
	v_clz_i32_u32_e32 v1, v1
	v_min_u32_e32 v1, 32, v1
	s_delay_alu instid0(VALU_DEP_1) | instskip(NEXT) | instid1(VALU_DEP_1)
	v_subrev_nc_u32_e32 v9, 28, v1
	v_lshlrev_b64_e32 v[16:17], v9, v[6:7]
	s_delay_alu instid0(VALU_DEP_1)
	v_dual_sub_nc_u32 v9, 29, v1 :: v_dual_bitop2_b32 v1, 7, v16 bitop3:0x40
; %bb.1019:                             ;   in Loop: Header=BB281_1005 Depth=1
	s_or_b32 exec_lo, exec_lo, s16
	s_delay_alu instid0(VALU_DEP_1) | instskip(NEXT) | instid1(VALU_DEP_2)
	v_dual_lshlrev_b32 v0, 8, v0 :: v_dual_lshlrev_b32 v1, 23, v1
	v_lshl_add_u32 v6, v9, 10, 0x2000
	s_delay_alu instid0(VALU_DEP_1) | instskip(NEXT) | instid1(VALU_DEP_1)
	v_and_or_b32 v0, 0x8000, v0, v6
	v_lshl_or_b32 v1, v0, 16, v1
.LBB281_1020:                           ;   in Loop: Header=BB281_1005 Depth=1
	s_or_b32 exec_lo, exec_lo, s15
.LBB281_1021:                           ;   in Loop: Header=BB281_1005 Depth=1
	s_delay_alu instid0(SALU_CYCLE_1)
	s_or_b32 exec_lo, exec_lo, s14
.LBB281_1022:                           ;   in Loop: Header=BB281_1005 Depth=1
	s_delay_alu instid0(SALU_CYCLE_1) | instskip(SKIP_3) | instid1(VALU_DEP_2)
	s_or_b32 exec_lo, exec_lo, s0
	v_dual_mov_b32 v9, 0 :: v_dual_lshrrev_b32 v0, 16, v38
	v_mov_b32_e32 v16, 0
	s_mov_b32 s0, exec_lo
	v_and_b32_e32 v6, 0xff, v0
	s_delay_alu instid0(VALU_DEP_1)
	v_cmpx_ne_u16_e32 0, v6
	s_cbranch_execz .LBB281_1030
; %bb.1023:                             ;   in Loop: Header=BB281_1005 Depth=1
	v_mov_b32_e32 v16, 0x8000
	s_mov_b32 s14, exec_lo
	v_cmpx_ne_u16_e32 0x80, v6
	s_cbranch_execz .LBB281_1029
; %bb.1024:                             ;   in Loop: Header=BB281_1005 Depth=1
	v_bfe_u32 v17, v38, 16, 7
	v_mov_b32_e32 v16, 0x7c01
	s_mov_b32 s15, exec_lo
	s_delay_alu instid0(VALU_DEP_2)
	v_cmpx_ne_u32_e32 0x7f, v17
	s_cbranch_execz .LBB281_1028
; %bb.1025:                             ;   in Loop: Header=BB281_1005 Depth=1
	v_dual_lshrrev_b32 v16, 3, v17 :: v_dual_bitop2_b32 v6, 7, v0 bitop3:0x40
	s_mov_b32 s16, exec_lo
	v_cmpx_gt_u32_e32 8, v17
; %bb.1026:                             ;   in Loop: Header=BB281_1005 Depth=1
	s_delay_alu instid0(VALU_DEP_2) | instskip(NEXT) | instid1(VALU_DEP_1)
	v_clz_i32_u32_e32 v6, v6
	v_min_u32_e32 v6, 32, v6
	s_delay_alu instid0(VALU_DEP_1) | instskip(NEXT) | instid1(VALU_DEP_1)
	v_subrev_nc_u32_e32 v16, 28, v6
	v_lshlrev_b64_e32 v[18:19], v16, v[0:1]
	v_sub_nc_u32_e32 v16, 29, v6
	s_delay_alu instid0(VALU_DEP_2)
	v_and_b32_e32 v6, 7, v18
; %bb.1027:                             ;   in Loop: Header=BB281_1005 Depth=1
	s_or_b32 exec_lo, exec_lo, s16
	s_delay_alu instid0(VALU_DEP_1) | instskip(NEXT) | instid1(VALU_DEP_3)
	v_dual_lshlrev_b32 v0, 8, v0 :: v_dual_lshlrev_b32 v6, 7, v6
	v_lshl_add_u32 v16, v16, 10, 0x2000
	s_delay_alu instid0(VALU_DEP_2) | instskip(NEXT) | instid1(VALU_DEP_2)
	v_and_b32_e32 v0, 0x8000, v0
	v_and_b32_e32 v16, 0xfc00, v16
	s_delay_alu instid0(VALU_DEP_1)
	v_or3_b32 v16, v0, v16, v6
.LBB281_1028:                           ;   in Loop: Header=BB281_1005 Depth=1
	s_or_b32 exec_lo, exec_lo, s15
.LBB281_1029:                           ;   in Loop: Header=BB281_1005 Depth=1
	s_delay_alu instid0(SALU_CYCLE_1)
	s_or_b32 exec_lo, exec_lo, s14
.LBB281_1030:                           ;   in Loop: Header=BB281_1005 Depth=1
	s_delay_alu instid0(SALU_CYCLE_1) | instskip(NEXT) | instid1(SALU_CYCLE_1)
	s_or_b32 exec_lo, exec_lo, s0
	s_mov_b32 s0, exec_lo
	v_cmpx_lt_u32_e32 0xffffff, v38
	s_cbranch_execz .LBB281_1038
; %bb.1031:                             ;   in Loop: Header=BB281_1005 Depth=1
	v_lshrrev_b32_e32 v6, 24, v38
	v_bfrev_b32_e32 v9, 1
	s_mov_b32 s14, exec_lo
	s_delay_alu instid0(VALU_DEP_2)
	v_cmpx_ne_u32_e32 0x80, v6
	s_cbranch_execz .LBB281_1037
; %bb.1032:                             ;   in Loop: Header=BB281_1005 Depth=1
	v_and_b32_e32 v17, 0x7f, v6
	v_mov_b32_e32 v9, 0x7c010000
	s_mov_b32 s15, exec_lo
	s_delay_alu instid0(VALU_DEP_2)
	v_cmpx_ne_u32_e32 0x7f, v17
	s_cbranch_execz .LBB281_1036
; %bb.1033:                             ;   in Loop: Header=BB281_1005 Depth=1
	v_dual_lshrrev_b32 v9, 3, v17 :: v_dual_bitop2_b32 v0, 7, v6 bitop3:0x40
	s_mov_b32 s16, exec_lo
	v_cmpx_gt_u32_e32 8, v17
; %bb.1034:                             ;   in Loop: Header=BB281_1005 Depth=1
	s_delay_alu instid0(VALU_DEP_2) | instskip(NEXT) | instid1(VALU_DEP_1)
	v_clz_i32_u32_e32 v0, v0
	v_min_u32_e32 v0, 32, v0
	s_delay_alu instid0(VALU_DEP_1) | instskip(NEXT) | instid1(VALU_DEP_1)
	v_subrev_nc_u32_e32 v9, 28, v0
	v_lshlrev_b64_e32 v[18:19], v9, v[6:7]
	s_delay_alu instid0(VALU_DEP_1)
	v_dual_sub_nc_u32 v9, 29, v0 :: v_dual_bitop2_b32 v0, 7, v18 bitop3:0x40
; %bb.1035:                             ;   in Loop: Header=BB281_1005 Depth=1
	s_or_b32 exec_lo, exec_lo, s16
	s_delay_alu instid0(VALU_DEP_1) | instskip(NEXT) | instid1(VALU_DEP_2)
	v_dual_lshlrev_b32 v6, 8, v6 :: v_dual_lshlrev_b32 v0, 23, v0
	v_lshl_add_u32 v9, v9, 10, 0x2000
	s_delay_alu instid0(VALU_DEP_1) | instskip(NEXT) | instid1(VALU_DEP_1)
	v_and_or_b32 v6, 0x8000, v6, v9
	v_lshl_or_b32 v9, v6, 16, v0
.LBB281_1036:                           ;   in Loop: Header=BB281_1005 Depth=1
	s_or_b32 exec_lo, exec_lo, s15
.LBB281_1037:                           ;   in Loop: Header=BB281_1005 Depth=1
	s_delay_alu instid0(SALU_CYCLE_1)
	s_or_b32 exec_lo, exec_lo, s14
.LBB281_1038:                           ;   in Loop: Header=BB281_1005 Depth=1
	s_delay_alu instid0(SALU_CYCLE_1) | instskip(SKIP_4) | instid1(VALU_DEP_3)
	s_or_b32 exec_lo, exec_lo, s0
	v_and_b32_e32 v0, 0xff, v39
	v_dual_mov_b32 v6, v39 :: v_dual_mov_b32 v18, 0
	v_mov_b32_e32 v17, 0
	s_mov_b32 s0, exec_lo
	v_cmpx_ne_u16_e32 0, v0
	s_cbranch_execz .LBB281_1046
; %bb.1039:                             ;   in Loop: Header=BB281_1005 Depth=1
	v_mov_b32_e32 v17, 0x8000
	s_mov_b32 s14, exec_lo
	v_cmpx_ne_u16_e32 0x80, v0
	s_cbranch_execz .LBB281_1045
; %bb.1040:                             ;   in Loop: Header=BB281_1005 Depth=1
	v_and_b32_e32 v19, 0x7f, v39
	v_mov_b32_e32 v17, 0x7c01
	s_mov_b32 s15, exec_lo
	s_delay_alu instid0(VALU_DEP_2)
	v_cmpx_ne_u32_e32 0x7f, v19
	s_cbranch_execz .LBB281_1044
; %bb.1041:                             ;   in Loop: Header=BB281_1005 Depth=1
	v_and_b32_e32 v0, 7, v39
	v_lshrrev_b32_e32 v17, 3, v19
	s_mov_b32 s16, exec_lo
	v_cmpx_gt_u32_e32 8, v19
; %bb.1042:                             ;   in Loop: Header=BB281_1005 Depth=1
	s_delay_alu instid0(VALU_DEP_3) | instskip(NEXT) | instid1(VALU_DEP_1)
	v_clz_i32_u32_e32 v0, v0
	v_min_u32_e32 v0, 32, v0
	s_delay_alu instid0(VALU_DEP_1) | instskip(NEXT) | instid1(VALU_DEP_1)
	v_subrev_nc_u32_e32 v17, 28, v0
	v_lshlrev_b64_e32 v[22:23], v17, v[6:7]
	s_delay_alu instid0(VALU_DEP_1)
	v_dual_sub_nc_u32 v17, 29, v0 :: v_dual_bitop2_b32 v0, 7, v22 bitop3:0x40
; %bb.1043:                             ;   in Loop: Header=BB281_1005 Depth=1
	s_or_b32 exec_lo, exec_lo, s16
	s_delay_alu instid0(VALU_DEP_1) | instskip(NEXT) | instid1(VALU_DEP_2)
	v_dual_lshlrev_b32 v19, 8, v39 :: v_dual_lshlrev_b32 v0, 7, v0
	v_lshl_add_u32 v17, v17, 10, 0x2000
	s_delay_alu instid0(VALU_DEP_2) | instskip(NEXT) | instid1(VALU_DEP_2)
	v_and_b32_e32 v19, 0x8000, v19
	v_and_b32_e32 v17, 0xfc00, v17
	s_delay_alu instid0(VALU_DEP_1)
	v_or3_b32 v17, v19, v17, v0
.LBB281_1044:                           ;   in Loop: Header=BB281_1005 Depth=1
	s_or_b32 exec_lo, exec_lo, s15
.LBB281_1045:                           ;   in Loop: Header=BB281_1005 Depth=1
	s_delay_alu instid0(SALU_CYCLE_1)
	s_or_b32 exec_lo, exec_lo, s14
.LBB281_1046:                           ;   in Loop: Header=BB281_1005 Depth=1
	s_delay_alu instid0(SALU_CYCLE_1) | instskip(SKIP_3) | instid1(VALU_DEP_2)
	s_or_b32 exec_lo, exec_lo, s0
	v_lshrrev_b16 v6, 8, v6
	v_mov_b32_e32 v19, 0
	s_mov_b32 s0, exec_lo
	v_cmpx_ne_u16_e32 0, v6
	s_cbranch_execz .LBB281_1054
; %bb.1047:                             ;   in Loop: Header=BB281_1005 Depth=1
	v_bfrev_b32_e32 v19, 1
	s_mov_b32 s14, exec_lo
	v_cmpx_ne_u16_e32 0x80, v6
	s_cbranch_execz .LBB281_1053
; %bb.1048:                             ;   in Loop: Header=BB281_1005 Depth=1
	v_and_b32_e32 v0, 0xffff, v6
	v_mov_b32_e32 v19, 0x7c010000
	s_mov_b32 s15, exec_lo
	s_delay_alu instid0(VALU_DEP_2) | instskip(NEXT) | instid1(VALU_DEP_1)
	v_and_b32_e32 v23, 0x7f, v0
	v_cmpx_ne_u32_e32 0x7f, v23
	s_cbranch_execz .LBB281_1052
; %bb.1049:                             ;   in Loop: Header=BB281_1005 Depth=1
	v_dual_lshrrev_b32 v22, 3, v23 :: v_dual_bitop2_b32 v19, 7, v0 bitop3:0x40
	s_mov_b32 s16, exec_lo
	v_cmpx_gt_u32_e32 8, v23
; %bb.1050:                             ;   in Loop: Header=BB281_1005 Depth=1
	s_delay_alu instid0(VALU_DEP_2) | instskip(NEXT) | instid1(VALU_DEP_1)
	v_clz_i32_u32_e32 v19, v19
	v_min_u32_e32 v19, 32, v19
	s_delay_alu instid0(VALU_DEP_1) | instskip(NEXT) | instid1(VALU_DEP_1)
	v_subrev_nc_u32_e32 v22, 28, v19
	v_lshlrev_b64_e32 v[48:49], v22, v[6:7]
	s_delay_alu instid0(VALU_DEP_1)
	v_dual_sub_nc_u32 v22, 29, v19 :: v_dual_bitop2_b32 v19, 7, v48 bitop3:0x40
; %bb.1051:                             ;   in Loop: Header=BB281_1005 Depth=1
	s_or_b32 exec_lo, exec_lo, s16
	v_lshlrev_b32_e32 v0, 8, v0
	s_delay_alu instid0(VALU_DEP_2) | instskip(NEXT) | instid1(VALU_DEP_1)
	v_lshl_add_u32 v6, v22, 10, 0x2000
	v_and_or_b32 v0, 0x8000, v0, v6
	v_lshlrev_b32_e32 v6, 23, v19
	s_delay_alu instid0(VALU_DEP_1)
	v_lshl_or_b32 v19, v0, 16, v6
.LBB281_1052:                           ;   in Loop: Header=BB281_1005 Depth=1
	s_or_b32 exec_lo, exec_lo, s15
.LBB281_1053:                           ;   in Loop: Header=BB281_1005 Depth=1
	s_delay_alu instid0(SALU_CYCLE_1)
	s_or_b32 exec_lo, exec_lo, s14
.LBB281_1054:                           ;   in Loop: Header=BB281_1005 Depth=1
	s_delay_alu instid0(SALU_CYCLE_1) | instskip(SKIP_2) | instid1(VALU_DEP_1)
	s_or_b32 exec_lo, exec_lo, s0
	v_lshrrev_b32_e32 v0, 16, v39
	s_mov_b32 s0, exec_lo
	v_and_b32_e32 v6, 0xff, v0
	s_delay_alu instid0(VALU_DEP_1)
	v_cmpx_ne_u16_e32 0, v6
	s_cbranch_execz .LBB281_1062
; %bb.1055:                             ;   in Loop: Header=BB281_1005 Depth=1
	v_mov_b32_e32 v18, 0x8000
	s_mov_b32 s14, exec_lo
	v_cmpx_ne_u16_e32 0x80, v6
	s_cbranch_execz .LBB281_1061
; %bb.1056:                             ;   in Loop: Header=BB281_1005 Depth=1
	v_bfe_u32 v22, v39, 16, 7
	v_mov_b32_e32 v18, 0x7c01
	s_mov_b32 s15, exec_lo
	s_delay_alu instid0(VALU_DEP_2)
	v_cmpx_ne_u32_e32 0x7f, v22
	s_cbranch_execz .LBB281_1060
; %bb.1057:                             ;   in Loop: Header=BB281_1005 Depth=1
	v_dual_lshrrev_b32 v18, 3, v22 :: v_dual_bitop2_b32 v6, 7, v0 bitop3:0x40
	s_mov_b32 s16, exec_lo
	v_cmpx_gt_u32_e32 8, v22
; %bb.1058:                             ;   in Loop: Header=BB281_1005 Depth=1
	s_delay_alu instid0(VALU_DEP_2) | instskip(NEXT) | instid1(VALU_DEP_1)
	v_clz_i32_u32_e32 v6, v6
	v_min_u32_e32 v6, 32, v6
	s_delay_alu instid0(VALU_DEP_1) | instskip(NEXT) | instid1(VALU_DEP_1)
	v_subrev_nc_u32_e32 v18, 28, v6
	v_lshlrev_b64_e32 v[22:23], v18, v[0:1]
	v_sub_nc_u32_e32 v18, 29, v6
	s_delay_alu instid0(VALU_DEP_2)
	v_and_b32_e32 v6, 7, v22
; %bb.1059:                             ;   in Loop: Header=BB281_1005 Depth=1
	s_or_b32 exec_lo, exec_lo, s16
	s_delay_alu instid0(VALU_DEP_1) | instskip(NEXT) | instid1(VALU_DEP_3)
	v_dual_lshlrev_b32 v0, 8, v0 :: v_dual_lshlrev_b32 v6, 7, v6
	v_lshl_add_u32 v18, v18, 10, 0x2000
	s_delay_alu instid0(VALU_DEP_2) | instskip(NEXT) | instid1(VALU_DEP_2)
	v_and_b32_e32 v0, 0x8000, v0
	v_and_b32_e32 v18, 0xfc00, v18
	s_delay_alu instid0(VALU_DEP_1)
	v_or3_b32 v18, v0, v18, v6
.LBB281_1060:                           ;   in Loop: Header=BB281_1005 Depth=1
	s_or_b32 exec_lo, exec_lo, s15
.LBB281_1061:                           ;   in Loop: Header=BB281_1005 Depth=1
	s_delay_alu instid0(SALU_CYCLE_1)
	s_or_b32 exec_lo, exec_lo, s14
.LBB281_1062:                           ;   in Loop: Header=BB281_1005 Depth=1
	s_delay_alu instid0(SALU_CYCLE_1)
	s_or_b32 exec_lo, exec_lo, s0
	v_mov_b32_e32 v0, 0
	s_mov_b32 s0, exec_lo
	v_cmpx_lt_u64_e64 s[2:3], v[38:39]
	s_cbranch_execz .LBB281_1070
; %bb.1063:                             ;   in Loop: Header=BB281_1005 Depth=1
	v_lshrrev_b32_e32 v6, 24, v39
	v_bfrev_b32_e32 v0, 1
	s_mov_b32 s14, exec_lo
	s_delay_alu instid0(VALU_DEP_2)
	v_cmpx_ne_u32_e32 0x80, v6
	s_cbranch_execz .LBB281_1069
; %bb.1064:                             ;   in Loop: Header=BB281_1005 Depth=1
	v_and_b32_e32 v23, 0x7f, v6
	v_mov_b32_e32 v0, 0x7c010000
	s_mov_b32 s15, exec_lo
	s_delay_alu instid0(VALU_DEP_2)
	v_cmpx_ne_u32_e32 0x7f, v23
	s_cbranch_execz .LBB281_1068
; %bb.1065:                             ;   in Loop: Header=BB281_1005 Depth=1
	v_dual_lshrrev_b32 v22, 3, v23 :: v_dual_bitop2_b32 v0, 7, v6 bitop3:0x40
	s_mov_b32 s16, exec_lo
	v_cmpx_gt_u32_e32 8, v23
; %bb.1066:                             ;   in Loop: Header=BB281_1005 Depth=1
	s_delay_alu instid0(VALU_DEP_2) | instskip(NEXT) | instid1(VALU_DEP_1)
	v_clz_i32_u32_e32 v0, v0
	v_min_u32_e32 v0, 32, v0
	s_delay_alu instid0(VALU_DEP_1) | instskip(NEXT) | instid1(VALU_DEP_1)
	v_subrev_nc_u32_e32 v22, 28, v0
	v_lshlrev_b64_e32 v[38:39], v22, v[6:7]
	s_delay_alu instid0(VALU_DEP_1)
	v_dual_sub_nc_u32 v22, 29, v0 :: v_dual_bitop2_b32 v0, 7, v38 bitop3:0x40
; %bb.1067:                             ;   in Loop: Header=BB281_1005 Depth=1
	s_or_b32 exec_lo, exec_lo, s16
	s_delay_alu instid0(VALU_DEP_1) | instskip(NEXT) | instid1(VALU_DEP_2)
	v_dual_lshlrev_b32 v6, 8, v6 :: v_dual_lshlrev_b32 v0, 23, v0
	v_lshl_add_u32 v22, v22, 10, 0x2000
	s_delay_alu instid0(VALU_DEP_1) | instskip(NEXT) | instid1(VALU_DEP_1)
	v_and_or_b32 v6, 0x8000, v6, v22
	v_lshl_or_b32 v0, v6, 16, v0
.LBB281_1068:                           ;   in Loop: Header=BB281_1005 Depth=1
	s_or_b32 exec_lo, exec_lo, s15
.LBB281_1069:                           ;   in Loop: Header=BB281_1005 Depth=1
	s_delay_alu instid0(SALU_CYCLE_1)
	s_or_b32 exec_lo, exec_lo, s14
.LBB281_1070:                           ;   in Loop: Header=BB281_1005 Depth=1
	s_delay_alu instid0(SALU_CYCLE_1) | instskip(SKIP_3) | instid1(VALU_DEP_3)
	s_or_b32 exec_lo, exec_lo, s0
	v_dual_lshrrev_b32 v6, 16, v1 :: v_dual_bitop2_b32 v1, v1, v8 bitop3:0x54
	v_dual_lshrrev_b32 v22, 16, v9 :: v_dual_bitop2_b32 v16, v9, v16 bitop3:0x54
	v_cmp_eq_u32_e32 vcc_lo, v64, v65
	v_cvt_f32_f16_e32 v9, v6
	v_dual_lshrrev_b32 v18, 16, v19 :: v_dual_bitop2_b32 v6, v0, v18 bitop3:0x54
	s_delay_alu instid0(VALU_DEP_4)
	v_cvt_f32_f16_e32 v8, v22
	v_dual_lshrrev_b32 v22, 16, v0 :: v_dual_bitop2_b32 v19, v19, v17 bitop3:0x54
	v_cvt_f32_f16_e32 v0, v16
	v_cvt_f32_f16_e32 v1, v1
	s_wait_loadcnt_dscnt 0x0
	v_pk_mul_f32 v[8:9], v[36:37], v[8:9] op_sel_hi:[0,1]
	v_cvt_f32_f16_e32 v17, v18
	v_cvt_f32_f16_e32 v16, v22
	;; [unrolled: 1-line block ×4, first 2 shown]
	v_pk_mul_f32 v[0:1], v[36:37], v[0:1] op_sel_hi:[0,1]
	v_cvt_pk_f16_f32 v6, v8, v9
	v_pk_mul_f32 v[8:9], v[36:37], v[16:17] op_sel_hi:[0,1]
	v_add_nc_u32_e32 v68, v66, v60
	v_pk_mul_f32 v[16:17], v[36:37], v[18:19] op_sel_hi:[0,1]
	v_cvt_pk_f16_f32 v0, v0, v1
	v_and_b32_e32 v39, 0xffff0000, v6
	v_cvt_pk_f16_f32 v8, v8, v9
	v_lshlrev_b32_e32 v48, 16, v6
	v_cvt_pk_f16_f32 v6, v16, v17
	v_lshrrev_b32_e32 v49, 16, v0
	v_and_b32_e32 v50, 0xffff, v0
	v_and_b32_e32 v1, 0xffff0000, v8
	s_delay_alu instid0(VALU_DEP_4) | instskip(NEXT) | instid1(VALU_DEP_4)
	v_dual_add_nc_u32 v83, 2, v68 :: v_dual_lshrrev_b32 v37, 16, v6
	v_dual_lshlrev_b32 v0, 16, v8 :: v_dual_bitop2_b32 v19, v39, v49 bitop3:0x54
	v_and_b32_e32 v38, 0xffff, v6
	v_or_b32_e32 v36, v48, v50
	s_delay_alu instid0(VALU_DEP_4)
	v_or_b32_e32 v9, v1, v37
	v_or_b32_e32 v82, 1, v68
	;; [unrolled: 1-line block ×8, first 2 shown]
	s_and_saveexec_b32 s14, vcc_lo
	s_cbranch_execz .LBB281_1072
; %bb.1071:                             ;   in Loop: Header=BB281_1005 Depth=1
	v_cmp_lt_i32_e64 s0, v68, v13
	s_delay_alu instid0(VALU_DEP_1) | instskip(SKIP_1) | instid1(VALU_DEP_1)
	v_cndmask_b32_e64 v6, 0, v49, s0
	v_cmp_lt_i32_e64 s0, v83, v12
	v_cndmask_b32_e64 v8, 0, v50, s0
	v_cmp_lt_i32_e64 s0, v82, v13
	s_delay_alu instid0(VALU_DEP_1) | instskip(SKIP_1) | instid1(VALU_DEP_1)
	v_cndmask_b32_e64 v9, 0, v39, s0
	v_cmp_lt_i32_e64 s0, v81, v12
	v_cndmask_b32_e64 v16, 0, v48, s0
	v_cmp_lt_i32_e64 s0, v80, v13
	s_delay_alu instid0(VALU_DEP_4) | instskip(NEXT) | instid1(VALU_DEP_2)
	v_or_b32_e32 v19, v6, v9
	v_dual_cndmask_b32 v17, 0, v37, s0 :: v_dual_bitop2_b32 v36, v8, v16 bitop3:0x54
	v_cmp_lt_i32_e64 s0, v71, v12
	s_delay_alu instid0(VALU_DEP_1) | instskip(SKIP_1) | instid1(VALU_DEP_1)
	v_cndmask_b32_e64 v18, 0, v38, s0
	v_cmp_lt_i32_e64 s0, v70, v13
	v_cndmask_b32_e64 v1, 0, v1, s0
	v_cmp_lt_i32_e64 s0, v69, v12
	s_delay_alu instid0(VALU_DEP_1) | instskip(NEXT) | instid1(VALU_DEP_1)
	v_dual_cndmask_b32 v0, 0, v0, s0 :: v_dual_bitop2_b32 v9, v17, v1 bitop3:0x54
	v_or_b32_e32 v6, v18, v0
.LBB281_1072:                           ;   in Loop: Header=BB281_1005 Depth=1
	s_or_b32 exec_lo, exec_lo, s14
	v_and_b32_e32 v0, 0xffff, v86
	v_and_b32_e32 v1, 0xffff, v96
	v_and_b32_e32 v8, 0xffff, v98
	v_and_b32_e32 v16, 0xffff, v99
	s_mov_b32 s14, exec_lo
	v_lshl_or_b32 v96, v84, 16, v0
	;;#ASMSTART
	v_pk_mul_f16 v0, v96, v19;

	;;#ASMEND
	v_lshl_or_b32 v86, v85, 16, v1
	v_lshl_or_b32 v85, v87, 16, v8
	;; [unrolled: 1-line block ×3, first 2 shown]
	;;#ASMSTART
	v_pk_mul_f16 v1, v86, v36;

	;;#ASMEND
	;;#ASMSTART
	v_pk_mul_f16 v8, v85, v9;

	;;#ASMEND
	;; [unrolled: 4-line block ×3, first 2 shown]
	;;#ASMSTART
	v_pk_add_f16 v0, v0, v1;

	;;#ASMEND
	;;#ASMSTART
	v_pk_add_f16 v0, v0, v8;

	;;#ASMEND
	;; [unrolled: 4-line block ×3, first 2 shown]
	v_and_b32_e32 v1, 0xffff, v0
	v_lshrrev_b32_e32 v0, 16, v0
	;;#ASMSTART
	v_cvt_f32_f16 v87, v1;
	;;#ASMEND
	;;#ASMSTART
	v_cvt_f32_f16 v97, v0;
	;;#ASMEND
	flat_load_b64 v[38:39], v[28:29] offset:256
	scratch_load_b64 v[0:1], off, s32 offset:192 ; 8-byte Folded Reload
	v_mov_b32_e32 v8, 0
	s_wait_loadcnt 0x0
	flat_load_b32 v36, v[0:1]
	s_wait_dscnt 0x1
	s_wait_xcnt 0x0
	v_and_b32_e32 v0, 0xff, v38
	v_mov_b32_e32 v1, 0
	s_delay_alu instid0(VALU_DEP_2)
	v_cmpx_ne_u16_e32 0, v0
	s_cbranch_execz .LBB281_1080
; %bb.1073:                             ;   in Loop: Header=BB281_1005 Depth=1
	v_mov_b32_e32 v8, 0x8000
	s_mov_b32 s15, exec_lo
	v_cmpx_ne_u16_e32 0x80, v0
	s_cbranch_execz .LBB281_1079
; %bb.1074:                             ;   in Loop: Header=BB281_1005 Depth=1
	v_and_b32_e32 v9, 0x7f, v38
	v_mov_b32_e32 v8, 0x7c01
	s_mov_b32 s16, exec_lo
	s_delay_alu instid0(VALU_DEP_2)
	v_cmpx_ne_u32_e32 0x7f, v9
	s_cbranch_execz .LBB281_1078
; %bb.1075:                             ;   in Loop: Header=BB281_1005 Depth=1
	v_dual_lshrrev_b32 v6, 3, v9 :: v_dual_bitop2_b32 v0, 7, v38 bitop3:0x40
	s_mov_b32 s17, exec_lo
	v_cmpx_gt_u32_e32 8, v9
; %bb.1076:                             ;   in Loop: Header=BB281_1005 Depth=1
	s_delay_alu instid0(VALU_DEP_2) | instskip(NEXT) | instid1(VALU_DEP_1)
	v_clz_i32_u32_e32 v0, v0
	v_min_u32_e32 v0, 32, v0
	s_delay_alu instid0(VALU_DEP_1) | instskip(NEXT) | instid1(VALU_DEP_1)
	v_subrev_nc_u32_e32 v6, 28, v0
	v_lshlrev_b64_e32 v[8:9], v6, v[38:39]
	v_sub_nc_u32_e32 v6, 29, v0
	s_delay_alu instid0(VALU_DEP_2)
	v_and_b32_e32 v0, 7, v8
; %bb.1077:                             ;   in Loop: Header=BB281_1005 Depth=1
	s_or_b32 exec_lo, exec_lo, s17
	s_delay_alu instid0(VALU_DEP_1) | instskip(NEXT) | instid1(VALU_DEP_3)
	v_dual_lshlrev_b32 v8, 8, v38 :: v_dual_lshlrev_b32 v0, 7, v0
	v_lshl_add_u32 v6, v6, 10, 0x2000
	s_delay_alu instid0(VALU_DEP_2) | instskip(NEXT) | instid1(VALU_DEP_2)
	v_and_b32_e32 v8, 0x8000, v8
	v_and_b32_e32 v6, 0xfc00, v6
	s_delay_alu instid0(VALU_DEP_1)
	v_or3_b32 v8, v8, v6, v0
.LBB281_1078:                           ;   in Loop: Header=BB281_1005 Depth=1
	s_or_b32 exec_lo, exec_lo, s16
.LBB281_1079:                           ;   in Loop: Header=BB281_1005 Depth=1
	s_delay_alu instid0(SALU_CYCLE_1)
	s_or_b32 exec_lo, exec_lo, s15
.LBB281_1080:                           ;   in Loop: Header=BB281_1005 Depth=1
	s_delay_alu instid0(SALU_CYCLE_1) | instskip(SKIP_2) | instid1(VALU_DEP_1)
	s_or_b32 exec_lo, exec_lo, s14
	v_lshrrev_b16 v6, 8, v38
	s_mov_b32 s14, exec_lo
	v_cmpx_ne_u16_e32 0, v6
	s_cbranch_execz .LBB281_1088
; %bb.1081:                             ;   in Loop: Header=BB281_1005 Depth=1
	v_bfrev_b32_e32 v1, 1
	s_mov_b32 s15, exec_lo
	v_cmpx_ne_u16_e32 0x80, v6
	s_cbranch_execz .LBB281_1087
; %bb.1082:                             ;   in Loop: Header=BB281_1005 Depth=1
	v_and_b32_e32 v0, 0xffff, v6
	v_mov_b32_e32 v1, 0x7c010000
	s_mov_b32 s16, exec_lo
	s_delay_alu instid0(VALU_DEP_2) | instskip(NEXT) | instid1(VALU_DEP_1)
	v_and_b32_e32 v16, 0x7f, v0
	v_cmpx_ne_u32_e32 0x7f, v16
	s_cbranch_execz .LBB281_1086
; %bb.1083:                             ;   in Loop: Header=BB281_1005 Depth=1
	v_and_b32_e32 v1, 7, v0
	v_lshrrev_b32_e32 v9, 3, v16
	s_mov_b32 s17, exec_lo
	v_cmpx_gt_u32_e32 8, v16
; %bb.1084:                             ;   in Loop: Header=BB281_1005 Depth=1
	s_delay_alu instid0(VALU_DEP_3) | instskip(NEXT) | instid1(VALU_DEP_1)
	v_clz_i32_u32_e32 v1, v1
	v_min_u32_e32 v1, 32, v1
	s_delay_alu instid0(VALU_DEP_1) | instskip(NEXT) | instid1(VALU_DEP_1)
	v_subrev_nc_u32_e32 v9, 28, v1
	v_lshlrev_b64_e32 v[16:17], v9, v[6:7]
	s_delay_alu instid0(VALU_DEP_1)
	v_dual_sub_nc_u32 v9, 29, v1 :: v_dual_bitop2_b32 v1, 7, v16 bitop3:0x40
; %bb.1085:                             ;   in Loop: Header=BB281_1005 Depth=1
	s_or_b32 exec_lo, exec_lo, s17
	s_delay_alu instid0(VALU_DEP_1) | instskip(NEXT) | instid1(VALU_DEP_2)
	v_dual_lshlrev_b32 v0, 8, v0 :: v_dual_lshlrev_b32 v1, 23, v1
	v_lshl_add_u32 v6, v9, 10, 0x2000
	s_delay_alu instid0(VALU_DEP_1) | instskip(NEXT) | instid1(VALU_DEP_1)
	v_and_or_b32 v0, 0x8000, v0, v6
	v_lshl_or_b32 v1, v0, 16, v1
.LBB281_1086:                           ;   in Loop: Header=BB281_1005 Depth=1
	s_or_b32 exec_lo, exec_lo, s16
.LBB281_1087:                           ;   in Loop: Header=BB281_1005 Depth=1
	s_delay_alu instid0(SALU_CYCLE_1)
	s_or_b32 exec_lo, exec_lo, s15
.LBB281_1088:                           ;   in Loop: Header=BB281_1005 Depth=1
	s_delay_alu instid0(SALU_CYCLE_1) | instskip(SKIP_3) | instid1(VALU_DEP_2)
	s_or_b32 exec_lo, exec_lo, s14
	v_dual_mov_b32 v9, 0 :: v_dual_lshrrev_b32 v0, 16, v38
	v_mov_b32_e32 v16, 0
	s_mov_b32 s14, exec_lo
	v_and_b32_e32 v6, 0xff, v0
	s_delay_alu instid0(VALU_DEP_1)
	v_cmpx_ne_u16_e32 0, v6
	s_cbranch_execz .LBB281_1096
; %bb.1089:                             ;   in Loop: Header=BB281_1005 Depth=1
	v_mov_b32_e32 v16, 0x8000
	s_mov_b32 s15, exec_lo
	v_cmpx_ne_u16_e32 0x80, v6
	s_cbranch_execz .LBB281_1095
; %bb.1090:                             ;   in Loop: Header=BB281_1005 Depth=1
	v_bfe_u32 v17, v38, 16, 7
	v_mov_b32_e32 v16, 0x7c01
	s_mov_b32 s16, exec_lo
	s_delay_alu instid0(VALU_DEP_2)
	v_cmpx_ne_u32_e32 0x7f, v17
	s_cbranch_execz .LBB281_1094
; %bb.1091:                             ;   in Loop: Header=BB281_1005 Depth=1
	v_dual_lshrrev_b32 v16, 3, v17 :: v_dual_bitop2_b32 v6, 7, v0 bitop3:0x40
	s_mov_b32 s17, exec_lo
	v_cmpx_gt_u32_e32 8, v17
; %bb.1092:                             ;   in Loop: Header=BB281_1005 Depth=1
	s_delay_alu instid0(VALU_DEP_2) | instskip(NEXT) | instid1(VALU_DEP_1)
	v_clz_i32_u32_e32 v6, v6
	v_min_u32_e32 v6, 32, v6
	s_delay_alu instid0(VALU_DEP_1) | instskip(NEXT) | instid1(VALU_DEP_1)
	v_subrev_nc_u32_e32 v16, 28, v6
	v_lshlrev_b64_e32 v[18:19], v16, v[0:1]
	v_sub_nc_u32_e32 v16, 29, v6
	s_delay_alu instid0(VALU_DEP_2)
	v_and_b32_e32 v6, 7, v18
; %bb.1093:                             ;   in Loop: Header=BB281_1005 Depth=1
	s_or_b32 exec_lo, exec_lo, s17
	s_delay_alu instid0(VALU_DEP_1) | instskip(NEXT) | instid1(VALU_DEP_3)
	v_dual_lshlrev_b32 v0, 8, v0 :: v_dual_lshlrev_b32 v6, 7, v6
	v_lshl_add_u32 v16, v16, 10, 0x2000
	s_delay_alu instid0(VALU_DEP_2) | instskip(NEXT) | instid1(VALU_DEP_2)
	v_and_b32_e32 v0, 0x8000, v0
	v_and_b32_e32 v16, 0xfc00, v16
	s_delay_alu instid0(VALU_DEP_1)
	v_or3_b32 v16, v0, v16, v6
.LBB281_1094:                           ;   in Loop: Header=BB281_1005 Depth=1
	s_or_b32 exec_lo, exec_lo, s16
.LBB281_1095:                           ;   in Loop: Header=BB281_1005 Depth=1
	s_delay_alu instid0(SALU_CYCLE_1)
	s_or_b32 exec_lo, exec_lo, s15
.LBB281_1096:                           ;   in Loop: Header=BB281_1005 Depth=1
	s_delay_alu instid0(SALU_CYCLE_1) | instskip(NEXT) | instid1(SALU_CYCLE_1)
	s_or_b32 exec_lo, exec_lo, s14
	s_mov_b32 s14, exec_lo
	v_cmpx_lt_u32_e32 0xffffff, v38
	s_cbranch_execz .LBB281_1104
; %bb.1097:                             ;   in Loop: Header=BB281_1005 Depth=1
	v_lshrrev_b32_e32 v6, 24, v38
	v_bfrev_b32_e32 v9, 1
	s_mov_b32 s15, exec_lo
	s_delay_alu instid0(VALU_DEP_2)
	v_cmpx_ne_u32_e32 0x80, v6
	s_cbranch_execz .LBB281_1103
; %bb.1098:                             ;   in Loop: Header=BB281_1005 Depth=1
	v_and_b32_e32 v17, 0x7f, v6
	v_mov_b32_e32 v9, 0x7c010000
	s_mov_b32 s16, exec_lo
	s_delay_alu instid0(VALU_DEP_2)
	v_cmpx_ne_u32_e32 0x7f, v17
	s_cbranch_execz .LBB281_1102
; %bb.1099:                             ;   in Loop: Header=BB281_1005 Depth=1
	v_dual_lshrrev_b32 v9, 3, v17 :: v_dual_bitop2_b32 v0, 7, v6 bitop3:0x40
	s_mov_b32 s17, exec_lo
	v_cmpx_gt_u32_e32 8, v17
; %bb.1100:                             ;   in Loop: Header=BB281_1005 Depth=1
	s_delay_alu instid0(VALU_DEP_2) | instskip(NEXT) | instid1(VALU_DEP_1)
	v_clz_i32_u32_e32 v0, v0
	v_min_u32_e32 v0, 32, v0
	s_delay_alu instid0(VALU_DEP_1) | instskip(NEXT) | instid1(VALU_DEP_1)
	v_subrev_nc_u32_e32 v9, 28, v0
	v_lshlrev_b64_e32 v[18:19], v9, v[6:7]
	s_delay_alu instid0(VALU_DEP_1)
	v_dual_sub_nc_u32 v9, 29, v0 :: v_dual_bitop2_b32 v0, 7, v18 bitop3:0x40
; %bb.1101:                             ;   in Loop: Header=BB281_1005 Depth=1
	s_or_b32 exec_lo, exec_lo, s17
	s_delay_alu instid0(VALU_DEP_1) | instskip(NEXT) | instid1(VALU_DEP_2)
	v_dual_lshlrev_b32 v6, 8, v6 :: v_dual_lshlrev_b32 v0, 23, v0
	v_lshl_add_u32 v9, v9, 10, 0x2000
	s_delay_alu instid0(VALU_DEP_1) | instskip(NEXT) | instid1(VALU_DEP_1)
	v_and_or_b32 v6, 0x8000, v6, v9
	v_lshl_or_b32 v9, v6, 16, v0
.LBB281_1102:                           ;   in Loop: Header=BB281_1005 Depth=1
	s_or_b32 exec_lo, exec_lo, s16
.LBB281_1103:                           ;   in Loop: Header=BB281_1005 Depth=1
	s_delay_alu instid0(SALU_CYCLE_1)
	s_or_b32 exec_lo, exec_lo, s15
.LBB281_1104:                           ;   in Loop: Header=BB281_1005 Depth=1
	s_delay_alu instid0(SALU_CYCLE_1) | instskip(SKIP_4) | instid1(VALU_DEP_3)
	s_or_b32 exec_lo, exec_lo, s14
	v_and_b32_e32 v0, 0xff, v39
	v_dual_mov_b32 v6, v39 :: v_dual_mov_b32 v18, 0
	v_mov_b32_e32 v17, 0
	s_mov_b32 s14, exec_lo
	v_cmpx_ne_u16_e32 0, v0
	s_cbranch_execz .LBB281_1112
; %bb.1105:                             ;   in Loop: Header=BB281_1005 Depth=1
	v_mov_b32_e32 v17, 0x8000
	s_mov_b32 s15, exec_lo
	v_cmpx_ne_u16_e32 0x80, v0
	s_cbranch_execz .LBB281_1111
; %bb.1106:                             ;   in Loop: Header=BB281_1005 Depth=1
	v_and_b32_e32 v19, 0x7f, v39
	v_mov_b32_e32 v17, 0x7c01
	s_mov_b32 s16, exec_lo
	s_delay_alu instid0(VALU_DEP_2)
	v_cmpx_ne_u32_e32 0x7f, v19
	s_cbranch_execz .LBB281_1110
; %bb.1107:                             ;   in Loop: Header=BB281_1005 Depth=1
	v_and_b32_e32 v0, 7, v39
	v_lshrrev_b32_e32 v17, 3, v19
	s_mov_b32 s17, exec_lo
	v_cmpx_gt_u32_e32 8, v19
; %bb.1108:                             ;   in Loop: Header=BB281_1005 Depth=1
	s_delay_alu instid0(VALU_DEP_3) | instskip(NEXT) | instid1(VALU_DEP_1)
	v_clz_i32_u32_e32 v0, v0
	v_min_u32_e32 v0, 32, v0
	s_delay_alu instid0(VALU_DEP_1) | instskip(NEXT) | instid1(VALU_DEP_1)
	v_subrev_nc_u32_e32 v17, 28, v0
	v_lshlrev_b64_e32 v[22:23], v17, v[6:7]
	s_delay_alu instid0(VALU_DEP_1)
	v_dual_sub_nc_u32 v17, 29, v0 :: v_dual_bitop2_b32 v0, 7, v22 bitop3:0x40
; %bb.1109:                             ;   in Loop: Header=BB281_1005 Depth=1
	s_or_b32 exec_lo, exec_lo, s17
	s_delay_alu instid0(VALU_DEP_1) | instskip(NEXT) | instid1(VALU_DEP_2)
	v_dual_lshlrev_b32 v19, 8, v39 :: v_dual_lshlrev_b32 v0, 7, v0
	v_lshl_add_u32 v17, v17, 10, 0x2000
	s_delay_alu instid0(VALU_DEP_2) | instskip(NEXT) | instid1(VALU_DEP_2)
	v_and_b32_e32 v19, 0x8000, v19
	v_and_b32_e32 v17, 0xfc00, v17
	s_delay_alu instid0(VALU_DEP_1)
	v_or3_b32 v17, v19, v17, v0
.LBB281_1110:                           ;   in Loop: Header=BB281_1005 Depth=1
	s_or_b32 exec_lo, exec_lo, s16
.LBB281_1111:                           ;   in Loop: Header=BB281_1005 Depth=1
	s_delay_alu instid0(SALU_CYCLE_1)
	s_or_b32 exec_lo, exec_lo, s15
.LBB281_1112:                           ;   in Loop: Header=BB281_1005 Depth=1
	s_delay_alu instid0(SALU_CYCLE_1) | instskip(SKIP_3) | instid1(VALU_DEP_2)
	s_or_b32 exec_lo, exec_lo, s14
	v_lshrrev_b16 v6, 8, v6
	v_mov_b32_e32 v19, 0
	s_mov_b32 s14, exec_lo
	v_cmpx_ne_u16_e32 0, v6
	s_cbranch_execz .LBB281_1120
; %bb.1113:                             ;   in Loop: Header=BB281_1005 Depth=1
	v_bfrev_b32_e32 v19, 1
	s_mov_b32 s15, exec_lo
	v_cmpx_ne_u16_e32 0x80, v6
	s_cbranch_execz .LBB281_1119
; %bb.1114:                             ;   in Loop: Header=BB281_1005 Depth=1
	v_and_b32_e32 v0, 0xffff, v6
	v_mov_b32_e32 v19, 0x7c010000
	s_mov_b32 s16, exec_lo
	s_delay_alu instid0(VALU_DEP_2) | instskip(NEXT) | instid1(VALU_DEP_1)
	v_and_b32_e32 v23, 0x7f, v0
	v_cmpx_ne_u32_e32 0x7f, v23
	s_cbranch_execz .LBB281_1118
; %bb.1115:                             ;   in Loop: Header=BB281_1005 Depth=1
	v_dual_lshrrev_b32 v22, 3, v23 :: v_dual_bitop2_b32 v19, 7, v0 bitop3:0x40
	s_mov_b32 s17, exec_lo
	v_cmpx_gt_u32_e32 8, v23
; %bb.1116:                             ;   in Loop: Header=BB281_1005 Depth=1
	s_delay_alu instid0(VALU_DEP_2) | instskip(NEXT) | instid1(VALU_DEP_1)
	v_clz_i32_u32_e32 v19, v19
	v_min_u32_e32 v19, 32, v19
	s_delay_alu instid0(VALU_DEP_1) | instskip(NEXT) | instid1(VALU_DEP_1)
	v_subrev_nc_u32_e32 v22, 28, v19
	v_lshlrev_b64_e32 v[48:49], v22, v[6:7]
	s_delay_alu instid0(VALU_DEP_1)
	v_dual_sub_nc_u32 v22, 29, v19 :: v_dual_bitop2_b32 v19, 7, v48 bitop3:0x40
; %bb.1117:                             ;   in Loop: Header=BB281_1005 Depth=1
	s_or_b32 exec_lo, exec_lo, s17
	v_lshlrev_b32_e32 v0, 8, v0
	s_delay_alu instid0(VALU_DEP_2) | instskip(NEXT) | instid1(VALU_DEP_1)
	v_lshl_add_u32 v6, v22, 10, 0x2000
	v_and_or_b32 v0, 0x8000, v0, v6
	v_lshlrev_b32_e32 v6, 23, v19
	s_delay_alu instid0(VALU_DEP_1)
	v_lshl_or_b32 v19, v0, 16, v6
.LBB281_1118:                           ;   in Loop: Header=BB281_1005 Depth=1
	s_or_b32 exec_lo, exec_lo, s16
.LBB281_1119:                           ;   in Loop: Header=BB281_1005 Depth=1
	s_delay_alu instid0(SALU_CYCLE_1)
	s_or_b32 exec_lo, exec_lo, s15
.LBB281_1120:                           ;   in Loop: Header=BB281_1005 Depth=1
	s_delay_alu instid0(SALU_CYCLE_1) | instskip(SKIP_2) | instid1(VALU_DEP_1)
	s_or_b32 exec_lo, exec_lo, s14
	v_lshrrev_b32_e32 v0, 16, v39
	s_mov_b32 s14, exec_lo
	v_and_b32_e32 v6, 0xff, v0
	s_delay_alu instid0(VALU_DEP_1)
	v_cmpx_ne_u16_e32 0, v6
	s_cbranch_execz .LBB281_1128
; %bb.1121:                             ;   in Loop: Header=BB281_1005 Depth=1
	v_mov_b32_e32 v18, 0x8000
	s_mov_b32 s15, exec_lo
	v_cmpx_ne_u16_e32 0x80, v6
	s_cbranch_execz .LBB281_1127
; %bb.1122:                             ;   in Loop: Header=BB281_1005 Depth=1
	v_bfe_u32 v22, v39, 16, 7
	v_mov_b32_e32 v18, 0x7c01
	s_mov_b32 s16, exec_lo
	s_delay_alu instid0(VALU_DEP_2)
	v_cmpx_ne_u32_e32 0x7f, v22
	s_cbranch_execz .LBB281_1126
; %bb.1123:                             ;   in Loop: Header=BB281_1005 Depth=1
	v_dual_lshrrev_b32 v18, 3, v22 :: v_dual_bitop2_b32 v6, 7, v0 bitop3:0x40
	s_mov_b32 s17, exec_lo
	v_cmpx_gt_u32_e32 8, v22
; %bb.1124:                             ;   in Loop: Header=BB281_1005 Depth=1
	s_delay_alu instid0(VALU_DEP_2) | instskip(NEXT) | instid1(VALU_DEP_1)
	v_clz_i32_u32_e32 v6, v6
	v_min_u32_e32 v6, 32, v6
	s_delay_alu instid0(VALU_DEP_1) | instskip(NEXT) | instid1(VALU_DEP_1)
	v_subrev_nc_u32_e32 v18, 28, v6
	v_lshlrev_b64_e32 v[22:23], v18, v[0:1]
	v_sub_nc_u32_e32 v18, 29, v6
	s_delay_alu instid0(VALU_DEP_2)
	v_and_b32_e32 v6, 7, v22
; %bb.1125:                             ;   in Loop: Header=BB281_1005 Depth=1
	s_or_b32 exec_lo, exec_lo, s17
	s_delay_alu instid0(VALU_DEP_1) | instskip(NEXT) | instid1(VALU_DEP_3)
	v_dual_lshlrev_b32 v0, 8, v0 :: v_dual_lshlrev_b32 v6, 7, v6
	v_lshl_add_u32 v18, v18, 10, 0x2000
	s_delay_alu instid0(VALU_DEP_2) | instskip(NEXT) | instid1(VALU_DEP_2)
	v_and_b32_e32 v0, 0x8000, v0
	v_and_b32_e32 v18, 0xfc00, v18
	s_delay_alu instid0(VALU_DEP_1)
	v_or3_b32 v18, v0, v18, v6
.LBB281_1126:                           ;   in Loop: Header=BB281_1005 Depth=1
	s_or_b32 exec_lo, exec_lo, s16
.LBB281_1127:                           ;   in Loop: Header=BB281_1005 Depth=1
	s_delay_alu instid0(SALU_CYCLE_1)
	s_or_b32 exec_lo, exec_lo, s15
.LBB281_1128:                           ;   in Loop: Header=BB281_1005 Depth=1
	s_delay_alu instid0(SALU_CYCLE_1)
	s_or_b32 exec_lo, exec_lo, s14
	v_mov_b32_e32 v0, 0
	s_mov_b32 s14, exec_lo
	v_cmpx_lt_u64_e64 s[2:3], v[38:39]
	s_cbranch_execz .LBB281_1136
; %bb.1129:                             ;   in Loop: Header=BB281_1005 Depth=1
	v_lshrrev_b32_e32 v6, 24, v39
	v_bfrev_b32_e32 v0, 1
	s_mov_b32 s15, exec_lo
	s_delay_alu instid0(VALU_DEP_2)
	v_cmpx_ne_u32_e32 0x80, v6
	s_cbranch_execz .LBB281_1135
; %bb.1130:                             ;   in Loop: Header=BB281_1005 Depth=1
	v_and_b32_e32 v23, 0x7f, v6
	v_mov_b32_e32 v0, 0x7c010000
	s_mov_b32 s16, exec_lo
	s_delay_alu instid0(VALU_DEP_2)
	v_cmpx_ne_u32_e32 0x7f, v23
	s_cbranch_execz .LBB281_1134
; %bb.1131:                             ;   in Loop: Header=BB281_1005 Depth=1
	v_dual_lshrrev_b32 v22, 3, v23 :: v_dual_bitop2_b32 v0, 7, v6 bitop3:0x40
	s_mov_b32 s17, exec_lo
	v_cmpx_gt_u32_e32 8, v23
; %bb.1132:                             ;   in Loop: Header=BB281_1005 Depth=1
	s_delay_alu instid0(VALU_DEP_2) | instskip(NEXT) | instid1(VALU_DEP_1)
	v_clz_i32_u32_e32 v0, v0
	v_min_u32_e32 v0, 32, v0
	s_delay_alu instid0(VALU_DEP_1) | instskip(NEXT) | instid1(VALU_DEP_1)
	v_subrev_nc_u32_e32 v22, 28, v0
	v_lshlrev_b64_e32 v[38:39], v22, v[6:7]
	s_delay_alu instid0(VALU_DEP_1)
	v_dual_sub_nc_u32 v22, 29, v0 :: v_dual_bitop2_b32 v0, 7, v38 bitop3:0x40
; %bb.1133:                             ;   in Loop: Header=BB281_1005 Depth=1
	s_or_b32 exec_lo, exec_lo, s17
	s_delay_alu instid0(VALU_DEP_1) | instskip(NEXT) | instid1(VALU_DEP_2)
	v_dual_lshlrev_b32 v6, 8, v6 :: v_dual_lshlrev_b32 v0, 23, v0
	v_lshl_add_u32 v22, v22, 10, 0x2000
	s_delay_alu instid0(VALU_DEP_1) | instskip(NEXT) | instid1(VALU_DEP_1)
	v_and_or_b32 v6, 0x8000, v6, v22
	v_lshl_or_b32 v0, v6, 16, v0
.LBB281_1134:                           ;   in Loop: Header=BB281_1005 Depth=1
	s_or_b32 exec_lo, exec_lo, s16
.LBB281_1135:                           ;   in Loop: Header=BB281_1005 Depth=1
	s_delay_alu instid0(SALU_CYCLE_1)
	s_or_b32 exec_lo, exec_lo, s15
.LBB281_1136:                           ;   in Loop: Header=BB281_1005 Depth=1
	s_delay_alu instid0(SALU_CYCLE_1) | instskip(SKIP_2) | instid1(VALU_DEP_2)
	s_or_b32 exec_lo, exec_lo, s14
	v_dual_lshrrev_b32 v6, 16, v1 :: v_dual_bitop2_b32 v1, v1, v8 bitop3:0x54
	v_dual_lshrrev_b32 v22, 16, v9 :: v_dual_bitop2_b32 v16, v9, v16 bitop3:0x54
	v_cvt_f32_f16_e32 v9, v6
	v_dual_lshrrev_b32 v18, 16, v19 :: v_dual_bitop2_b32 v6, v0, v18 bitop3:0x54
	s_delay_alu instid0(VALU_DEP_3)
	v_cvt_f32_f16_e32 v8, v22
	v_dual_lshrrev_b32 v22, 16, v0 :: v_dual_bitop2_b32 v19, v19, v17 bitop3:0x54
	v_cvt_f32_f16_e32 v0, v16
	v_cvt_f32_f16_e32 v1, v1
	s_wait_loadcnt_dscnt 0x0
	v_pk_mul_f32 v[8:9], v[36:37], v[8:9] op_sel_hi:[0,1]
	v_cvt_f32_f16_e32 v17, v18
	v_cvt_f32_f16_e32 v16, v22
	;; [unrolled: 1-line block ×4, first 2 shown]
	v_pk_mul_f32 v[0:1], v[36:37], v[0:1] op_sel_hi:[0,1]
	v_cvt_pk_f16_f32 v6, v8, v9
	v_pk_mul_f32 v[8:9], v[36:37], v[16:17] op_sel_hi:[0,1]
	s_delay_alu instid0(VALU_DEP_4) | instskip(NEXT) | instid1(VALU_DEP_4)
	v_pk_mul_f32 v[16:17], v[36:37], v[18:19] op_sel_hi:[0,1]
	v_cvt_pk_f16_f32 v0, v0, v1
	s_delay_alu instid0(VALU_DEP_4) | instskip(NEXT) | instid1(VALU_DEP_4)
	v_and_b32_e32 v19, 0xffff0000, v6
	v_cvt_pk_f16_f32 v8, v8, v9
	v_lshlrev_b32_e32 v36, 16, v6
	v_cvt_pk_f16_f32 v6, v16, v17
	v_lshrrev_b32_e32 v49, 16, v0
	v_and_b32_e32 v50, 0xffff, v0
	v_and_b32_e32 v1, 0xffff0000, v8
	s_delay_alu instid0(VALU_DEP_4) | instskip(SKIP_3) | instid1(VALU_DEP_4)
	v_dual_lshlrev_b32 v0, 16, v8 :: v_dual_lshrrev_b32 v9, 16, v6
	v_and_b32_e32 v6, 0xffff, v6
	v_or_b32_e32 v39, v19, v49
	v_or_b32_e32 v48, v36, v50
	;; [unrolled: 1-line block ×3, first 2 shown]
	s_delay_alu instid0(VALU_DEP_4)
	v_or_b32_e32 v38, v0, v6
	s_and_saveexec_b32 s14, vcc_lo
	s_cbranch_execz .LBB281_1138
; %bb.1137:                             ;   in Loop: Header=BB281_1005 Depth=1
	v_cmp_lt_i32_e64 s0, v68, v13
	s_delay_alu instid0(VALU_DEP_1) | instskip(SKIP_1) | instid1(VALU_DEP_1)
	v_cndmask_b32_e64 v8, 0, v49, s0
	v_cmp_lt_i32_e64 s0, v83, v12
	v_cndmask_b32_e64 v16, 0, v50, s0
	v_cmp_lt_i32_e64 s0, v82, v13
	s_delay_alu instid0(VALU_DEP_1) | instskip(SKIP_1) | instid1(VALU_DEP_1)
	v_cndmask_b32_e64 v17, 0, v19, s0
	v_cmp_lt_i32_e64 s0, v81, v12
	v_cndmask_b32_e64 v18, 0, v36, s0
	v_cmp_lt_i32_e64 s0, v80, v13
	s_delay_alu instid0(VALU_DEP_4) | instskip(NEXT) | instid1(VALU_DEP_2)
	v_or_b32_e32 v39, v8, v17
	v_dual_cndmask_b32 v9, 0, v9, s0 :: v_dual_bitop2_b32 v48, v16, v18 bitop3:0x54
	v_cmp_lt_i32_e64 s0, v71, v12
	s_delay_alu instid0(VALU_DEP_1) | instskip(SKIP_1) | instid1(VALU_DEP_1)
	v_cndmask_b32_e64 v6, 0, v6, s0
	v_cmp_lt_i32_e64 s0, v70, v13
	v_cndmask_b32_e64 v1, 0, v1, s0
	v_cmp_lt_i32_e64 s0, v69, v12
	s_delay_alu instid0(VALU_DEP_1) | instskip(NEXT) | instid1(VALU_DEP_1)
	v_dual_cndmask_b32 v0, 0, v0, s0 :: v_dual_bitop2_b32 v37, v9, v1 bitop3:0x54
	v_or_b32_e32 v38, v6, v0
.LBB281_1138:                           ;   in Loop: Header=BB281_1005 Depth=1
	s_or_b32 exec_lo, exec_lo, s14
	;;#ASMSTART
	v_pk_mul_f16 v0, v96, v39;

	;;#ASMEND
	;;#ASMSTART
	v_pk_mul_f16 v1, v86, v48;

	;;#ASMEND
	;; [unrolled: 4-line block ×4, first 2 shown]
	;;#ASMSTART
	v_pk_add_f16 v0, v0, v1;

	;;#ASMEND
	;;#ASMSTART
	v_pk_add_f16 v0, v0, v6;

	;;#ASMEND
	;; [unrolled: 4-line block ×3, first 2 shown]
	v_and_b32_e32 v1, 0xffff, v0
	v_lshrrev_b32_e32 v0, 16, v0
	;;#ASMSTART
	v_cvt_f32_f16 v98, v1;
	;;#ASMEND
	;;#ASMSTART
	v_cvt_f32_f16 v99, v0;
	;;#ASMEND
	flat_load_b64 v[38:39], v[28:29] offset:512
	scratch_load_b64 v[0:1], off, s32 offset:192 ; 8-byte Folded Reload
	v_mov_b32_e32 v8, 0
	s_mov_b32 s14, exec_lo
	s_wait_loadcnt 0x0
	flat_load_b32 v36, v[0:1]
	s_wait_dscnt 0x1
	s_wait_xcnt 0x0
	v_and_b32_e32 v0, 0xff, v38
	v_mov_b32_e32 v1, 0
	s_delay_alu instid0(VALU_DEP_2)
	v_cmpx_ne_u16_e32 0, v0
	s_cbranch_execz .LBB281_1146
; %bb.1139:                             ;   in Loop: Header=BB281_1005 Depth=1
	v_mov_b32_e32 v8, 0x8000
	s_mov_b32 s15, exec_lo
	v_cmpx_ne_u16_e32 0x80, v0
	s_cbranch_execz .LBB281_1145
; %bb.1140:                             ;   in Loop: Header=BB281_1005 Depth=1
	v_and_b32_e32 v9, 0x7f, v38
	v_mov_b32_e32 v8, 0x7c01
	s_mov_b32 s16, exec_lo
	s_delay_alu instid0(VALU_DEP_2)
	v_cmpx_ne_u32_e32 0x7f, v9
	s_cbranch_execz .LBB281_1144
; %bb.1141:                             ;   in Loop: Header=BB281_1005 Depth=1
	v_dual_lshrrev_b32 v6, 3, v9 :: v_dual_bitop2_b32 v0, 7, v38 bitop3:0x40
	s_mov_b32 s17, exec_lo
	v_cmpx_gt_u32_e32 8, v9
; %bb.1142:                             ;   in Loop: Header=BB281_1005 Depth=1
	s_delay_alu instid0(VALU_DEP_2) | instskip(NEXT) | instid1(VALU_DEP_1)
	v_clz_i32_u32_e32 v0, v0
	v_min_u32_e32 v0, 32, v0
	s_delay_alu instid0(VALU_DEP_1) | instskip(NEXT) | instid1(VALU_DEP_1)
	v_subrev_nc_u32_e32 v6, 28, v0
	v_lshlrev_b64_e32 v[8:9], v6, v[38:39]
	v_sub_nc_u32_e32 v6, 29, v0
	s_delay_alu instid0(VALU_DEP_2)
	v_and_b32_e32 v0, 7, v8
; %bb.1143:                             ;   in Loop: Header=BB281_1005 Depth=1
	s_or_b32 exec_lo, exec_lo, s17
	s_delay_alu instid0(VALU_DEP_1) | instskip(NEXT) | instid1(VALU_DEP_3)
	v_dual_lshlrev_b32 v8, 8, v38 :: v_dual_lshlrev_b32 v0, 7, v0
	v_lshl_add_u32 v6, v6, 10, 0x2000
	s_delay_alu instid0(VALU_DEP_2) | instskip(NEXT) | instid1(VALU_DEP_2)
	v_and_b32_e32 v8, 0x8000, v8
	v_and_b32_e32 v6, 0xfc00, v6
	s_delay_alu instid0(VALU_DEP_1)
	v_or3_b32 v8, v8, v6, v0
.LBB281_1144:                           ;   in Loop: Header=BB281_1005 Depth=1
	s_or_b32 exec_lo, exec_lo, s16
.LBB281_1145:                           ;   in Loop: Header=BB281_1005 Depth=1
	s_delay_alu instid0(SALU_CYCLE_1)
	s_or_b32 exec_lo, exec_lo, s15
.LBB281_1146:                           ;   in Loop: Header=BB281_1005 Depth=1
	s_delay_alu instid0(SALU_CYCLE_1) | instskip(SKIP_2) | instid1(VALU_DEP_1)
	s_or_b32 exec_lo, exec_lo, s14
	v_lshrrev_b16 v6, 8, v38
	s_mov_b32 s14, exec_lo
	v_cmpx_ne_u16_e32 0, v6
	s_cbranch_execz .LBB281_1154
; %bb.1147:                             ;   in Loop: Header=BB281_1005 Depth=1
	v_bfrev_b32_e32 v1, 1
	s_mov_b32 s15, exec_lo
	v_cmpx_ne_u16_e32 0x80, v6
	s_cbranch_execz .LBB281_1153
; %bb.1148:                             ;   in Loop: Header=BB281_1005 Depth=1
	v_and_b32_e32 v0, 0xffff, v6
	v_mov_b32_e32 v1, 0x7c010000
	s_mov_b32 s16, exec_lo
	s_delay_alu instid0(VALU_DEP_2) | instskip(NEXT) | instid1(VALU_DEP_1)
	v_and_b32_e32 v16, 0x7f, v0
	v_cmpx_ne_u32_e32 0x7f, v16
	s_cbranch_execz .LBB281_1152
; %bb.1149:                             ;   in Loop: Header=BB281_1005 Depth=1
	v_and_b32_e32 v1, 7, v0
	v_lshrrev_b32_e32 v9, 3, v16
	s_mov_b32 s17, exec_lo
	v_cmpx_gt_u32_e32 8, v16
; %bb.1150:                             ;   in Loop: Header=BB281_1005 Depth=1
	s_delay_alu instid0(VALU_DEP_3) | instskip(NEXT) | instid1(VALU_DEP_1)
	v_clz_i32_u32_e32 v1, v1
	v_min_u32_e32 v1, 32, v1
	s_delay_alu instid0(VALU_DEP_1) | instskip(NEXT) | instid1(VALU_DEP_1)
	v_subrev_nc_u32_e32 v9, 28, v1
	v_lshlrev_b64_e32 v[16:17], v9, v[6:7]
	s_delay_alu instid0(VALU_DEP_1)
	v_dual_sub_nc_u32 v9, 29, v1 :: v_dual_bitop2_b32 v1, 7, v16 bitop3:0x40
; %bb.1151:                             ;   in Loop: Header=BB281_1005 Depth=1
	s_or_b32 exec_lo, exec_lo, s17
	s_delay_alu instid0(VALU_DEP_1) | instskip(NEXT) | instid1(VALU_DEP_2)
	v_dual_lshlrev_b32 v0, 8, v0 :: v_dual_lshlrev_b32 v1, 23, v1
	v_lshl_add_u32 v6, v9, 10, 0x2000
	s_delay_alu instid0(VALU_DEP_1) | instskip(NEXT) | instid1(VALU_DEP_1)
	v_and_or_b32 v0, 0x8000, v0, v6
	v_lshl_or_b32 v1, v0, 16, v1
.LBB281_1152:                           ;   in Loop: Header=BB281_1005 Depth=1
	s_or_b32 exec_lo, exec_lo, s16
.LBB281_1153:                           ;   in Loop: Header=BB281_1005 Depth=1
	s_delay_alu instid0(SALU_CYCLE_1)
	s_or_b32 exec_lo, exec_lo, s15
.LBB281_1154:                           ;   in Loop: Header=BB281_1005 Depth=1
	s_delay_alu instid0(SALU_CYCLE_1) | instskip(SKIP_3) | instid1(VALU_DEP_2)
	s_or_b32 exec_lo, exec_lo, s14
	v_dual_mov_b32 v9, 0 :: v_dual_lshrrev_b32 v0, 16, v38
	v_mov_b32_e32 v16, 0
	s_mov_b32 s14, exec_lo
	v_and_b32_e32 v6, 0xff, v0
	s_delay_alu instid0(VALU_DEP_1)
	v_cmpx_ne_u16_e32 0, v6
	s_cbranch_execz .LBB281_1162
; %bb.1155:                             ;   in Loop: Header=BB281_1005 Depth=1
	v_mov_b32_e32 v16, 0x8000
	s_mov_b32 s15, exec_lo
	v_cmpx_ne_u16_e32 0x80, v6
	s_cbranch_execz .LBB281_1161
; %bb.1156:                             ;   in Loop: Header=BB281_1005 Depth=1
	v_bfe_u32 v17, v38, 16, 7
	v_mov_b32_e32 v16, 0x7c01
	s_mov_b32 s16, exec_lo
	s_delay_alu instid0(VALU_DEP_2)
	v_cmpx_ne_u32_e32 0x7f, v17
	s_cbranch_execz .LBB281_1160
; %bb.1157:                             ;   in Loop: Header=BB281_1005 Depth=1
	v_dual_lshrrev_b32 v16, 3, v17 :: v_dual_bitop2_b32 v6, 7, v0 bitop3:0x40
	s_mov_b32 s17, exec_lo
	v_cmpx_gt_u32_e32 8, v17
; %bb.1158:                             ;   in Loop: Header=BB281_1005 Depth=1
	s_delay_alu instid0(VALU_DEP_2) | instskip(NEXT) | instid1(VALU_DEP_1)
	v_clz_i32_u32_e32 v6, v6
	v_min_u32_e32 v6, 32, v6
	s_delay_alu instid0(VALU_DEP_1) | instskip(NEXT) | instid1(VALU_DEP_1)
	v_subrev_nc_u32_e32 v16, 28, v6
	v_lshlrev_b64_e32 v[18:19], v16, v[0:1]
	v_sub_nc_u32_e32 v16, 29, v6
	s_delay_alu instid0(VALU_DEP_2)
	v_and_b32_e32 v6, 7, v18
; %bb.1159:                             ;   in Loop: Header=BB281_1005 Depth=1
	s_or_b32 exec_lo, exec_lo, s17
	s_delay_alu instid0(VALU_DEP_1) | instskip(NEXT) | instid1(VALU_DEP_3)
	v_dual_lshlrev_b32 v0, 8, v0 :: v_dual_lshlrev_b32 v6, 7, v6
	v_lshl_add_u32 v16, v16, 10, 0x2000
	s_delay_alu instid0(VALU_DEP_2) | instskip(NEXT) | instid1(VALU_DEP_2)
	v_and_b32_e32 v0, 0x8000, v0
	v_and_b32_e32 v16, 0xfc00, v16
	s_delay_alu instid0(VALU_DEP_1)
	v_or3_b32 v16, v0, v16, v6
.LBB281_1160:                           ;   in Loop: Header=BB281_1005 Depth=1
	s_or_b32 exec_lo, exec_lo, s16
.LBB281_1161:                           ;   in Loop: Header=BB281_1005 Depth=1
	s_delay_alu instid0(SALU_CYCLE_1)
	s_or_b32 exec_lo, exec_lo, s15
.LBB281_1162:                           ;   in Loop: Header=BB281_1005 Depth=1
	s_delay_alu instid0(SALU_CYCLE_1) | instskip(NEXT) | instid1(SALU_CYCLE_1)
	s_or_b32 exec_lo, exec_lo, s14
	s_mov_b32 s14, exec_lo
	v_cmpx_lt_u32_e32 0xffffff, v38
	s_cbranch_execz .LBB281_1170
; %bb.1163:                             ;   in Loop: Header=BB281_1005 Depth=1
	v_lshrrev_b32_e32 v6, 24, v38
	v_bfrev_b32_e32 v9, 1
	s_mov_b32 s15, exec_lo
	s_delay_alu instid0(VALU_DEP_2)
	v_cmpx_ne_u32_e32 0x80, v6
	s_cbranch_execz .LBB281_1169
; %bb.1164:                             ;   in Loop: Header=BB281_1005 Depth=1
	v_and_b32_e32 v17, 0x7f, v6
	v_mov_b32_e32 v9, 0x7c010000
	s_mov_b32 s16, exec_lo
	s_delay_alu instid0(VALU_DEP_2)
	v_cmpx_ne_u32_e32 0x7f, v17
	s_cbranch_execz .LBB281_1168
; %bb.1165:                             ;   in Loop: Header=BB281_1005 Depth=1
	v_dual_lshrrev_b32 v9, 3, v17 :: v_dual_bitop2_b32 v0, 7, v6 bitop3:0x40
	s_mov_b32 s17, exec_lo
	v_cmpx_gt_u32_e32 8, v17
; %bb.1166:                             ;   in Loop: Header=BB281_1005 Depth=1
	s_delay_alu instid0(VALU_DEP_2) | instskip(NEXT) | instid1(VALU_DEP_1)
	v_clz_i32_u32_e32 v0, v0
	v_min_u32_e32 v0, 32, v0
	s_delay_alu instid0(VALU_DEP_1) | instskip(NEXT) | instid1(VALU_DEP_1)
	v_subrev_nc_u32_e32 v9, 28, v0
	v_lshlrev_b64_e32 v[18:19], v9, v[6:7]
	s_delay_alu instid0(VALU_DEP_1)
	v_dual_sub_nc_u32 v9, 29, v0 :: v_dual_bitop2_b32 v0, 7, v18 bitop3:0x40
; %bb.1167:                             ;   in Loop: Header=BB281_1005 Depth=1
	s_or_b32 exec_lo, exec_lo, s17
	s_delay_alu instid0(VALU_DEP_1) | instskip(NEXT) | instid1(VALU_DEP_2)
	v_dual_lshlrev_b32 v6, 8, v6 :: v_dual_lshlrev_b32 v0, 23, v0
	v_lshl_add_u32 v9, v9, 10, 0x2000
	s_delay_alu instid0(VALU_DEP_1) | instskip(NEXT) | instid1(VALU_DEP_1)
	v_and_or_b32 v6, 0x8000, v6, v9
	v_lshl_or_b32 v9, v6, 16, v0
.LBB281_1168:                           ;   in Loop: Header=BB281_1005 Depth=1
	s_or_b32 exec_lo, exec_lo, s16
.LBB281_1169:                           ;   in Loop: Header=BB281_1005 Depth=1
	s_delay_alu instid0(SALU_CYCLE_1)
	s_or_b32 exec_lo, exec_lo, s15
.LBB281_1170:                           ;   in Loop: Header=BB281_1005 Depth=1
	s_delay_alu instid0(SALU_CYCLE_1) | instskip(SKIP_4) | instid1(VALU_DEP_3)
	s_or_b32 exec_lo, exec_lo, s14
	v_and_b32_e32 v0, 0xff, v39
	v_dual_mov_b32 v6, v39 :: v_dual_mov_b32 v18, 0
	v_mov_b32_e32 v17, 0
	s_mov_b32 s14, exec_lo
	v_cmpx_ne_u16_e32 0, v0
	s_cbranch_execz .LBB281_1178
; %bb.1171:                             ;   in Loop: Header=BB281_1005 Depth=1
	v_mov_b32_e32 v17, 0x8000
	s_mov_b32 s15, exec_lo
	v_cmpx_ne_u16_e32 0x80, v0
	s_cbranch_execz .LBB281_1177
; %bb.1172:                             ;   in Loop: Header=BB281_1005 Depth=1
	v_and_b32_e32 v19, 0x7f, v39
	v_mov_b32_e32 v17, 0x7c01
	s_mov_b32 s16, exec_lo
	s_delay_alu instid0(VALU_DEP_2)
	v_cmpx_ne_u32_e32 0x7f, v19
	s_cbranch_execz .LBB281_1176
; %bb.1173:                             ;   in Loop: Header=BB281_1005 Depth=1
	v_and_b32_e32 v0, 7, v39
	v_lshrrev_b32_e32 v17, 3, v19
	s_mov_b32 s17, exec_lo
	v_cmpx_gt_u32_e32 8, v19
; %bb.1174:                             ;   in Loop: Header=BB281_1005 Depth=1
	s_delay_alu instid0(VALU_DEP_3) | instskip(NEXT) | instid1(VALU_DEP_1)
	v_clz_i32_u32_e32 v0, v0
	v_min_u32_e32 v0, 32, v0
	s_delay_alu instid0(VALU_DEP_1) | instskip(NEXT) | instid1(VALU_DEP_1)
	v_subrev_nc_u32_e32 v17, 28, v0
	v_lshlrev_b64_e32 v[22:23], v17, v[6:7]
	s_delay_alu instid0(VALU_DEP_1)
	v_dual_sub_nc_u32 v17, 29, v0 :: v_dual_bitop2_b32 v0, 7, v22 bitop3:0x40
; %bb.1175:                             ;   in Loop: Header=BB281_1005 Depth=1
	s_or_b32 exec_lo, exec_lo, s17
	s_delay_alu instid0(VALU_DEP_1) | instskip(NEXT) | instid1(VALU_DEP_2)
	v_dual_lshlrev_b32 v19, 8, v39 :: v_dual_lshlrev_b32 v0, 7, v0
	v_lshl_add_u32 v17, v17, 10, 0x2000
	s_delay_alu instid0(VALU_DEP_2) | instskip(NEXT) | instid1(VALU_DEP_2)
	v_and_b32_e32 v19, 0x8000, v19
	v_and_b32_e32 v17, 0xfc00, v17
	s_delay_alu instid0(VALU_DEP_1)
	v_or3_b32 v17, v19, v17, v0
.LBB281_1176:                           ;   in Loop: Header=BB281_1005 Depth=1
	s_or_b32 exec_lo, exec_lo, s16
.LBB281_1177:                           ;   in Loop: Header=BB281_1005 Depth=1
	s_delay_alu instid0(SALU_CYCLE_1)
	s_or_b32 exec_lo, exec_lo, s15
.LBB281_1178:                           ;   in Loop: Header=BB281_1005 Depth=1
	s_delay_alu instid0(SALU_CYCLE_1) | instskip(SKIP_3) | instid1(VALU_DEP_2)
	s_or_b32 exec_lo, exec_lo, s14
	v_lshrrev_b16 v6, 8, v6
	v_mov_b32_e32 v19, 0
	s_mov_b32 s14, exec_lo
	v_cmpx_ne_u16_e32 0, v6
	s_cbranch_execz .LBB281_1186
; %bb.1179:                             ;   in Loop: Header=BB281_1005 Depth=1
	v_bfrev_b32_e32 v19, 1
	s_mov_b32 s15, exec_lo
	v_cmpx_ne_u16_e32 0x80, v6
	s_cbranch_execz .LBB281_1185
; %bb.1180:                             ;   in Loop: Header=BB281_1005 Depth=1
	v_and_b32_e32 v0, 0xffff, v6
	v_mov_b32_e32 v19, 0x7c010000
	s_mov_b32 s16, exec_lo
	s_delay_alu instid0(VALU_DEP_2) | instskip(NEXT) | instid1(VALU_DEP_1)
	v_and_b32_e32 v23, 0x7f, v0
	v_cmpx_ne_u32_e32 0x7f, v23
	s_cbranch_execz .LBB281_1184
; %bb.1181:                             ;   in Loop: Header=BB281_1005 Depth=1
	v_dual_lshrrev_b32 v22, 3, v23 :: v_dual_bitop2_b32 v19, 7, v0 bitop3:0x40
	s_mov_b32 s17, exec_lo
	v_cmpx_gt_u32_e32 8, v23
; %bb.1182:                             ;   in Loop: Header=BB281_1005 Depth=1
	s_delay_alu instid0(VALU_DEP_2) | instskip(NEXT) | instid1(VALU_DEP_1)
	v_clz_i32_u32_e32 v19, v19
	v_min_u32_e32 v19, 32, v19
	s_delay_alu instid0(VALU_DEP_1) | instskip(NEXT) | instid1(VALU_DEP_1)
	v_subrev_nc_u32_e32 v22, 28, v19
	v_lshlrev_b64_e32 v[48:49], v22, v[6:7]
	s_delay_alu instid0(VALU_DEP_1)
	v_dual_sub_nc_u32 v22, 29, v19 :: v_dual_bitop2_b32 v19, 7, v48 bitop3:0x40
; %bb.1183:                             ;   in Loop: Header=BB281_1005 Depth=1
	s_or_b32 exec_lo, exec_lo, s17
	v_lshlrev_b32_e32 v0, 8, v0
	s_delay_alu instid0(VALU_DEP_2) | instskip(NEXT) | instid1(VALU_DEP_1)
	v_lshl_add_u32 v6, v22, 10, 0x2000
	v_and_or_b32 v0, 0x8000, v0, v6
	v_lshlrev_b32_e32 v6, 23, v19
	s_delay_alu instid0(VALU_DEP_1)
	v_lshl_or_b32 v19, v0, 16, v6
.LBB281_1184:                           ;   in Loop: Header=BB281_1005 Depth=1
	s_or_b32 exec_lo, exec_lo, s16
.LBB281_1185:                           ;   in Loop: Header=BB281_1005 Depth=1
	s_delay_alu instid0(SALU_CYCLE_1)
	s_or_b32 exec_lo, exec_lo, s15
.LBB281_1186:                           ;   in Loop: Header=BB281_1005 Depth=1
	s_delay_alu instid0(SALU_CYCLE_1) | instskip(SKIP_2) | instid1(VALU_DEP_1)
	s_or_b32 exec_lo, exec_lo, s14
	v_lshrrev_b32_e32 v0, 16, v39
	s_mov_b32 s14, exec_lo
	v_and_b32_e32 v6, 0xff, v0
	s_delay_alu instid0(VALU_DEP_1)
	v_cmpx_ne_u16_e32 0, v6
	s_cbranch_execz .LBB281_1194
; %bb.1187:                             ;   in Loop: Header=BB281_1005 Depth=1
	v_mov_b32_e32 v18, 0x8000
	s_mov_b32 s15, exec_lo
	v_cmpx_ne_u16_e32 0x80, v6
	s_cbranch_execz .LBB281_1193
; %bb.1188:                             ;   in Loop: Header=BB281_1005 Depth=1
	v_bfe_u32 v22, v39, 16, 7
	v_mov_b32_e32 v18, 0x7c01
	s_mov_b32 s16, exec_lo
	s_delay_alu instid0(VALU_DEP_2)
	v_cmpx_ne_u32_e32 0x7f, v22
	s_cbranch_execz .LBB281_1192
; %bb.1189:                             ;   in Loop: Header=BB281_1005 Depth=1
	v_dual_lshrrev_b32 v18, 3, v22 :: v_dual_bitop2_b32 v6, 7, v0 bitop3:0x40
	s_mov_b32 s17, exec_lo
	v_cmpx_gt_u32_e32 8, v22
; %bb.1190:                             ;   in Loop: Header=BB281_1005 Depth=1
	s_delay_alu instid0(VALU_DEP_2) | instskip(NEXT) | instid1(VALU_DEP_1)
	v_clz_i32_u32_e32 v6, v6
	v_min_u32_e32 v6, 32, v6
	s_delay_alu instid0(VALU_DEP_1) | instskip(NEXT) | instid1(VALU_DEP_1)
	v_subrev_nc_u32_e32 v18, 28, v6
	v_lshlrev_b64_e32 v[22:23], v18, v[0:1]
	v_sub_nc_u32_e32 v18, 29, v6
	s_delay_alu instid0(VALU_DEP_2)
	v_and_b32_e32 v6, 7, v22
; %bb.1191:                             ;   in Loop: Header=BB281_1005 Depth=1
	s_or_b32 exec_lo, exec_lo, s17
	s_delay_alu instid0(VALU_DEP_1) | instskip(NEXT) | instid1(VALU_DEP_3)
	v_dual_lshlrev_b32 v0, 8, v0 :: v_dual_lshlrev_b32 v6, 7, v6
	v_lshl_add_u32 v18, v18, 10, 0x2000
	s_delay_alu instid0(VALU_DEP_2) | instskip(NEXT) | instid1(VALU_DEP_2)
	v_and_b32_e32 v0, 0x8000, v0
	v_and_b32_e32 v18, 0xfc00, v18
	s_delay_alu instid0(VALU_DEP_1)
	v_or3_b32 v18, v0, v18, v6
.LBB281_1192:                           ;   in Loop: Header=BB281_1005 Depth=1
	s_or_b32 exec_lo, exec_lo, s16
.LBB281_1193:                           ;   in Loop: Header=BB281_1005 Depth=1
	s_delay_alu instid0(SALU_CYCLE_1)
	s_or_b32 exec_lo, exec_lo, s15
.LBB281_1194:                           ;   in Loop: Header=BB281_1005 Depth=1
	s_delay_alu instid0(SALU_CYCLE_1)
	s_or_b32 exec_lo, exec_lo, s14
	v_mov_b32_e32 v0, 0
	s_mov_b32 s14, exec_lo
	v_cmpx_lt_u64_e64 s[2:3], v[38:39]
	s_cbranch_execz .LBB281_1202
; %bb.1195:                             ;   in Loop: Header=BB281_1005 Depth=1
	v_lshrrev_b32_e32 v6, 24, v39
	v_bfrev_b32_e32 v0, 1
	s_mov_b32 s15, exec_lo
	s_delay_alu instid0(VALU_DEP_2)
	v_cmpx_ne_u32_e32 0x80, v6
	s_cbranch_execz .LBB281_1201
; %bb.1196:                             ;   in Loop: Header=BB281_1005 Depth=1
	v_and_b32_e32 v23, 0x7f, v6
	v_mov_b32_e32 v0, 0x7c010000
	s_mov_b32 s16, exec_lo
	s_delay_alu instid0(VALU_DEP_2)
	v_cmpx_ne_u32_e32 0x7f, v23
	s_cbranch_execz .LBB281_1200
; %bb.1197:                             ;   in Loop: Header=BB281_1005 Depth=1
	v_dual_lshrrev_b32 v22, 3, v23 :: v_dual_bitop2_b32 v0, 7, v6 bitop3:0x40
	s_mov_b32 s17, exec_lo
	v_cmpx_gt_u32_e32 8, v23
; %bb.1198:                             ;   in Loop: Header=BB281_1005 Depth=1
	s_delay_alu instid0(VALU_DEP_2) | instskip(NEXT) | instid1(VALU_DEP_1)
	v_clz_i32_u32_e32 v0, v0
	v_min_u32_e32 v0, 32, v0
	s_delay_alu instid0(VALU_DEP_1) | instskip(NEXT) | instid1(VALU_DEP_1)
	v_subrev_nc_u32_e32 v22, 28, v0
	v_lshlrev_b64_e32 v[38:39], v22, v[6:7]
	s_delay_alu instid0(VALU_DEP_1)
	v_dual_sub_nc_u32 v22, 29, v0 :: v_dual_bitop2_b32 v0, 7, v38 bitop3:0x40
; %bb.1199:                             ;   in Loop: Header=BB281_1005 Depth=1
	s_or_b32 exec_lo, exec_lo, s17
	s_delay_alu instid0(VALU_DEP_1) | instskip(NEXT) | instid1(VALU_DEP_2)
	v_dual_lshlrev_b32 v6, 8, v6 :: v_dual_lshlrev_b32 v0, 23, v0
	v_lshl_add_u32 v22, v22, 10, 0x2000
	s_delay_alu instid0(VALU_DEP_1) | instskip(NEXT) | instid1(VALU_DEP_1)
	v_and_or_b32 v6, 0x8000, v6, v22
	v_lshl_or_b32 v0, v6, 16, v0
.LBB281_1200:                           ;   in Loop: Header=BB281_1005 Depth=1
	s_or_b32 exec_lo, exec_lo, s16
.LBB281_1201:                           ;   in Loop: Header=BB281_1005 Depth=1
	s_delay_alu instid0(SALU_CYCLE_1)
	s_or_b32 exec_lo, exec_lo, s15
.LBB281_1202:                           ;   in Loop: Header=BB281_1005 Depth=1
	s_delay_alu instid0(SALU_CYCLE_1) | instskip(SKIP_2) | instid1(VALU_DEP_2)
	s_or_b32 exec_lo, exec_lo, s14
	v_dual_lshrrev_b32 v6, 16, v1 :: v_dual_bitop2_b32 v1, v1, v8 bitop3:0x54
	v_dual_lshrrev_b32 v22, 16, v9 :: v_dual_bitop2_b32 v16, v9, v16 bitop3:0x54
	v_cvt_f32_f16_e32 v9, v6
	v_dual_lshrrev_b32 v18, 16, v19 :: v_dual_bitop2_b32 v6, v0, v18 bitop3:0x54
	s_delay_alu instid0(VALU_DEP_3)
	v_cvt_f32_f16_e32 v8, v22
	v_dual_lshrrev_b32 v22, 16, v0 :: v_dual_bitop2_b32 v19, v19, v17 bitop3:0x54
	v_cvt_f32_f16_e32 v0, v16
	v_cvt_f32_f16_e32 v1, v1
	s_wait_loadcnt_dscnt 0x0
	v_pk_mul_f32 v[8:9], v[36:37], v[8:9] op_sel_hi:[0,1]
	v_cvt_f32_f16_e32 v17, v18
	v_cvt_f32_f16_e32 v16, v22
	;; [unrolled: 1-line block ×4, first 2 shown]
	v_pk_mul_f32 v[0:1], v[36:37], v[0:1] op_sel_hi:[0,1]
	v_cvt_pk_f16_f32 v6, v8, v9
	v_pk_mul_f32 v[8:9], v[36:37], v[16:17] op_sel_hi:[0,1]
	s_delay_alu instid0(VALU_DEP_4) | instskip(NEXT) | instid1(VALU_DEP_4)
	v_pk_mul_f32 v[16:17], v[36:37], v[18:19] op_sel_hi:[0,1]
	v_cvt_pk_f16_f32 v0, v0, v1
	s_delay_alu instid0(VALU_DEP_4) | instskip(NEXT) | instid1(VALU_DEP_4)
	v_and_b32_e32 v19, 0xffff0000, v6
	v_cvt_pk_f16_f32 v8, v8, v9
	v_lshlrev_b32_e32 v36, 16, v6
	v_cvt_pk_f16_f32 v6, v16, v17
	v_lshrrev_b32_e32 v49, 16, v0
	v_and_b32_e32 v50, 0xffff, v0
	v_and_b32_e32 v1, 0xffff0000, v8
	s_delay_alu instid0(VALU_DEP_4) | instskip(SKIP_3) | instid1(VALU_DEP_4)
	v_dual_lshlrev_b32 v0, 16, v8 :: v_dual_lshrrev_b32 v9, 16, v6
	v_and_b32_e32 v6, 0xffff, v6
	v_or_b32_e32 v39, v19, v49
	v_or_b32_e32 v48, v36, v50
	;; [unrolled: 1-line block ×3, first 2 shown]
	s_delay_alu instid0(VALU_DEP_4)
	v_or_b32_e32 v38, v0, v6
	s_and_saveexec_b32 s14, vcc_lo
	s_cbranch_execz .LBB281_1204
; %bb.1203:                             ;   in Loop: Header=BB281_1005 Depth=1
	v_cmp_lt_i32_e64 s0, v68, v13
	s_delay_alu instid0(VALU_DEP_1) | instskip(SKIP_1) | instid1(VALU_DEP_1)
	v_cndmask_b32_e64 v8, 0, v49, s0
	v_cmp_lt_i32_e64 s0, v83, v12
	v_cndmask_b32_e64 v16, 0, v50, s0
	v_cmp_lt_i32_e64 s0, v82, v13
	s_delay_alu instid0(VALU_DEP_1) | instskip(SKIP_1) | instid1(VALU_DEP_1)
	v_cndmask_b32_e64 v17, 0, v19, s0
	v_cmp_lt_i32_e64 s0, v81, v12
	v_cndmask_b32_e64 v18, 0, v36, s0
	v_cmp_lt_i32_e64 s0, v80, v13
	s_delay_alu instid0(VALU_DEP_4) | instskip(NEXT) | instid1(VALU_DEP_2)
	v_or_b32_e32 v39, v8, v17
	v_dual_cndmask_b32 v9, 0, v9, s0 :: v_dual_bitop2_b32 v48, v16, v18 bitop3:0x54
	v_cmp_lt_i32_e64 s0, v71, v12
	s_delay_alu instid0(VALU_DEP_1) | instskip(SKIP_1) | instid1(VALU_DEP_1)
	v_cndmask_b32_e64 v6, 0, v6, s0
	v_cmp_lt_i32_e64 s0, v70, v13
	v_cndmask_b32_e64 v1, 0, v1, s0
	v_cmp_lt_i32_e64 s0, v69, v12
	s_delay_alu instid0(VALU_DEP_1) | instskip(NEXT) | instid1(VALU_DEP_1)
	v_dual_cndmask_b32 v0, 0, v0, s0 :: v_dual_bitop2_b32 v37, v9, v1 bitop3:0x54
	v_or_b32_e32 v38, v6, v0
.LBB281_1204:                           ;   in Loop: Header=BB281_1005 Depth=1
	s_or_b32 exec_lo, exec_lo, s14
	;;#ASMSTART
	v_pk_mul_f16 v0, v96, v39;

	;;#ASMEND
	;;#ASMSTART
	v_pk_mul_f16 v1, v86, v48;

	;;#ASMEND
	;; [unrolled: 4-line block ×4, first 2 shown]
	;;#ASMSTART
	v_pk_add_f16 v0, v0, v1;

	;;#ASMEND
	;;#ASMSTART
	v_pk_add_f16 v0, v0, v6;

	;;#ASMEND
	;; [unrolled: 4-line block ×3, first 2 shown]
	v_and_b32_e32 v1, 0xffff, v0
	v_lshrrev_b32_e32 v0, 16, v0
	;;#ASMSTART
	v_cvt_f32_f16 v100, v1;
	;;#ASMEND
	;;#ASMSTART
	v_cvt_f32_f16 v101, v0;
	;;#ASMEND
	flat_load_b64 v[38:39], v[28:29] offset:768
	scratch_load_b64 v[0:1], off, s32 offset:192 ; 8-byte Folded Reload
	v_mov_b32_e32 v8, 0
	s_mov_b32 s14, exec_lo
	s_wait_loadcnt 0x0
	flat_load_b32 v36, v[0:1]
	s_wait_dscnt 0x1
	s_wait_xcnt 0x0
	v_and_b32_e32 v0, 0xff, v38
	v_mov_b32_e32 v1, 0
	s_delay_alu instid0(VALU_DEP_2)
	v_cmpx_ne_u16_e32 0, v0
	s_cbranch_execz .LBB281_1212
; %bb.1205:                             ;   in Loop: Header=BB281_1005 Depth=1
	v_mov_b32_e32 v8, 0x8000
	s_mov_b32 s15, exec_lo
	v_cmpx_ne_u16_e32 0x80, v0
	s_cbranch_execz .LBB281_1211
; %bb.1206:                             ;   in Loop: Header=BB281_1005 Depth=1
	v_and_b32_e32 v9, 0x7f, v38
	v_mov_b32_e32 v8, 0x7c01
	s_mov_b32 s16, exec_lo
	s_delay_alu instid0(VALU_DEP_2)
	v_cmpx_ne_u32_e32 0x7f, v9
	s_cbranch_execz .LBB281_1210
; %bb.1207:                             ;   in Loop: Header=BB281_1005 Depth=1
	v_dual_lshrrev_b32 v6, 3, v9 :: v_dual_bitop2_b32 v0, 7, v38 bitop3:0x40
	s_mov_b32 s17, exec_lo
	v_cmpx_gt_u32_e32 8, v9
; %bb.1208:                             ;   in Loop: Header=BB281_1005 Depth=1
	s_delay_alu instid0(VALU_DEP_2) | instskip(NEXT) | instid1(VALU_DEP_1)
	v_clz_i32_u32_e32 v0, v0
	v_min_u32_e32 v0, 32, v0
	s_delay_alu instid0(VALU_DEP_1) | instskip(NEXT) | instid1(VALU_DEP_1)
	v_subrev_nc_u32_e32 v6, 28, v0
	v_lshlrev_b64_e32 v[8:9], v6, v[38:39]
	v_sub_nc_u32_e32 v6, 29, v0
	s_delay_alu instid0(VALU_DEP_2)
	v_and_b32_e32 v0, 7, v8
; %bb.1209:                             ;   in Loop: Header=BB281_1005 Depth=1
	s_or_b32 exec_lo, exec_lo, s17
	s_delay_alu instid0(VALU_DEP_1) | instskip(NEXT) | instid1(VALU_DEP_3)
	v_dual_lshlrev_b32 v8, 8, v38 :: v_dual_lshlrev_b32 v0, 7, v0
	v_lshl_add_u32 v6, v6, 10, 0x2000
	s_delay_alu instid0(VALU_DEP_2) | instskip(NEXT) | instid1(VALU_DEP_2)
	v_and_b32_e32 v8, 0x8000, v8
	v_and_b32_e32 v6, 0xfc00, v6
	s_delay_alu instid0(VALU_DEP_1)
	v_or3_b32 v8, v8, v6, v0
.LBB281_1210:                           ;   in Loop: Header=BB281_1005 Depth=1
	s_or_b32 exec_lo, exec_lo, s16
.LBB281_1211:                           ;   in Loop: Header=BB281_1005 Depth=1
	s_delay_alu instid0(SALU_CYCLE_1)
	s_or_b32 exec_lo, exec_lo, s15
.LBB281_1212:                           ;   in Loop: Header=BB281_1005 Depth=1
	s_delay_alu instid0(SALU_CYCLE_1) | instskip(SKIP_2) | instid1(VALU_DEP_1)
	s_or_b32 exec_lo, exec_lo, s14
	v_lshrrev_b16 v6, 8, v38
	s_mov_b32 s14, exec_lo
	v_cmpx_ne_u16_e32 0, v6
	s_cbranch_execz .LBB281_1220
; %bb.1213:                             ;   in Loop: Header=BB281_1005 Depth=1
	v_bfrev_b32_e32 v1, 1
	s_mov_b32 s15, exec_lo
	v_cmpx_ne_u16_e32 0x80, v6
	s_cbranch_execz .LBB281_1219
; %bb.1214:                             ;   in Loop: Header=BB281_1005 Depth=1
	v_and_b32_e32 v0, 0xffff, v6
	v_mov_b32_e32 v1, 0x7c010000
	s_mov_b32 s16, exec_lo
	s_delay_alu instid0(VALU_DEP_2) | instskip(NEXT) | instid1(VALU_DEP_1)
	v_and_b32_e32 v16, 0x7f, v0
	v_cmpx_ne_u32_e32 0x7f, v16
	s_cbranch_execz .LBB281_1218
; %bb.1215:                             ;   in Loop: Header=BB281_1005 Depth=1
	v_and_b32_e32 v1, 7, v0
	v_lshrrev_b32_e32 v9, 3, v16
	s_mov_b32 s17, exec_lo
	v_cmpx_gt_u32_e32 8, v16
; %bb.1216:                             ;   in Loop: Header=BB281_1005 Depth=1
	s_delay_alu instid0(VALU_DEP_3) | instskip(NEXT) | instid1(VALU_DEP_1)
	v_clz_i32_u32_e32 v1, v1
	v_min_u32_e32 v1, 32, v1
	s_delay_alu instid0(VALU_DEP_1) | instskip(NEXT) | instid1(VALU_DEP_1)
	v_subrev_nc_u32_e32 v9, 28, v1
	v_lshlrev_b64_e32 v[16:17], v9, v[6:7]
	s_delay_alu instid0(VALU_DEP_1)
	v_dual_sub_nc_u32 v9, 29, v1 :: v_dual_bitop2_b32 v1, 7, v16 bitop3:0x40
; %bb.1217:                             ;   in Loop: Header=BB281_1005 Depth=1
	s_or_b32 exec_lo, exec_lo, s17
	s_delay_alu instid0(VALU_DEP_1) | instskip(NEXT) | instid1(VALU_DEP_2)
	v_dual_lshlrev_b32 v0, 8, v0 :: v_dual_lshlrev_b32 v1, 23, v1
	v_lshl_add_u32 v6, v9, 10, 0x2000
	s_delay_alu instid0(VALU_DEP_1) | instskip(NEXT) | instid1(VALU_DEP_1)
	v_and_or_b32 v0, 0x8000, v0, v6
	v_lshl_or_b32 v1, v0, 16, v1
.LBB281_1218:                           ;   in Loop: Header=BB281_1005 Depth=1
	s_or_b32 exec_lo, exec_lo, s16
.LBB281_1219:                           ;   in Loop: Header=BB281_1005 Depth=1
	s_delay_alu instid0(SALU_CYCLE_1)
	s_or_b32 exec_lo, exec_lo, s15
.LBB281_1220:                           ;   in Loop: Header=BB281_1005 Depth=1
	s_delay_alu instid0(SALU_CYCLE_1) | instskip(SKIP_3) | instid1(VALU_DEP_2)
	s_or_b32 exec_lo, exec_lo, s14
	v_dual_mov_b32 v9, 0 :: v_dual_lshrrev_b32 v0, 16, v38
	v_mov_b32_e32 v16, 0
	s_mov_b32 s14, exec_lo
	v_and_b32_e32 v6, 0xff, v0
	s_delay_alu instid0(VALU_DEP_1)
	v_cmpx_ne_u16_e32 0, v6
	s_cbranch_execz .LBB281_1228
; %bb.1221:                             ;   in Loop: Header=BB281_1005 Depth=1
	v_mov_b32_e32 v16, 0x8000
	s_mov_b32 s15, exec_lo
	v_cmpx_ne_u16_e32 0x80, v6
	s_cbranch_execz .LBB281_1227
; %bb.1222:                             ;   in Loop: Header=BB281_1005 Depth=1
	v_bfe_u32 v17, v38, 16, 7
	v_mov_b32_e32 v16, 0x7c01
	s_mov_b32 s16, exec_lo
	s_delay_alu instid0(VALU_DEP_2)
	v_cmpx_ne_u32_e32 0x7f, v17
	s_cbranch_execz .LBB281_1226
; %bb.1223:                             ;   in Loop: Header=BB281_1005 Depth=1
	v_dual_lshrrev_b32 v16, 3, v17 :: v_dual_bitop2_b32 v6, 7, v0 bitop3:0x40
	s_mov_b32 s17, exec_lo
	v_cmpx_gt_u32_e32 8, v17
; %bb.1224:                             ;   in Loop: Header=BB281_1005 Depth=1
	s_delay_alu instid0(VALU_DEP_2) | instskip(NEXT) | instid1(VALU_DEP_1)
	v_clz_i32_u32_e32 v6, v6
	v_min_u32_e32 v6, 32, v6
	s_delay_alu instid0(VALU_DEP_1) | instskip(NEXT) | instid1(VALU_DEP_1)
	v_subrev_nc_u32_e32 v16, 28, v6
	v_lshlrev_b64_e32 v[18:19], v16, v[0:1]
	v_sub_nc_u32_e32 v16, 29, v6
	s_delay_alu instid0(VALU_DEP_2)
	v_and_b32_e32 v6, 7, v18
; %bb.1225:                             ;   in Loop: Header=BB281_1005 Depth=1
	s_or_b32 exec_lo, exec_lo, s17
	s_delay_alu instid0(VALU_DEP_1) | instskip(NEXT) | instid1(VALU_DEP_3)
	v_dual_lshlrev_b32 v0, 8, v0 :: v_dual_lshlrev_b32 v6, 7, v6
	v_lshl_add_u32 v16, v16, 10, 0x2000
	s_delay_alu instid0(VALU_DEP_2) | instskip(NEXT) | instid1(VALU_DEP_2)
	v_and_b32_e32 v0, 0x8000, v0
	v_and_b32_e32 v16, 0xfc00, v16
	s_delay_alu instid0(VALU_DEP_1)
	v_or3_b32 v16, v0, v16, v6
.LBB281_1226:                           ;   in Loop: Header=BB281_1005 Depth=1
	s_or_b32 exec_lo, exec_lo, s16
.LBB281_1227:                           ;   in Loop: Header=BB281_1005 Depth=1
	s_delay_alu instid0(SALU_CYCLE_1)
	s_or_b32 exec_lo, exec_lo, s15
.LBB281_1228:                           ;   in Loop: Header=BB281_1005 Depth=1
	s_delay_alu instid0(SALU_CYCLE_1) | instskip(NEXT) | instid1(SALU_CYCLE_1)
	s_or_b32 exec_lo, exec_lo, s14
	s_mov_b32 s14, exec_lo
	v_cmpx_lt_u32_e32 0xffffff, v38
	s_cbranch_execz .LBB281_1236
; %bb.1229:                             ;   in Loop: Header=BB281_1005 Depth=1
	v_lshrrev_b32_e32 v6, 24, v38
	v_bfrev_b32_e32 v9, 1
	s_mov_b32 s15, exec_lo
	s_delay_alu instid0(VALU_DEP_2)
	v_cmpx_ne_u32_e32 0x80, v6
	s_cbranch_execz .LBB281_1235
; %bb.1230:                             ;   in Loop: Header=BB281_1005 Depth=1
	v_and_b32_e32 v17, 0x7f, v6
	v_mov_b32_e32 v9, 0x7c010000
	s_mov_b32 s16, exec_lo
	s_delay_alu instid0(VALU_DEP_2)
	v_cmpx_ne_u32_e32 0x7f, v17
	s_cbranch_execz .LBB281_1234
; %bb.1231:                             ;   in Loop: Header=BB281_1005 Depth=1
	v_dual_lshrrev_b32 v9, 3, v17 :: v_dual_bitop2_b32 v0, 7, v6 bitop3:0x40
	s_mov_b32 s17, exec_lo
	v_cmpx_gt_u32_e32 8, v17
; %bb.1232:                             ;   in Loop: Header=BB281_1005 Depth=1
	s_delay_alu instid0(VALU_DEP_2) | instskip(NEXT) | instid1(VALU_DEP_1)
	v_clz_i32_u32_e32 v0, v0
	v_min_u32_e32 v0, 32, v0
	s_delay_alu instid0(VALU_DEP_1) | instskip(NEXT) | instid1(VALU_DEP_1)
	v_subrev_nc_u32_e32 v9, 28, v0
	v_lshlrev_b64_e32 v[18:19], v9, v[6:7]
	s_delay_alu instid0(VALU_DEP_1)
	v_dual_sub_nc_u32 v9, 29, v0 :: v_dual_bitop2_b32 v0, 7, v18 bitop3:0x40
; %bb.1233:                             ;   in Loop: Header=BB281_1005 Depth=1
	s_or_b32 exec_lo, exec_lo, s17
	s_delay_alu instid0(VALU_DEP_1) | instskip(NEXT) | instid1(VALU_DEP_2)
	v_dual_lshlrev_b32 v6, 8, v6 :: v_dual_lshlrev_b32 v0, 23, v0
	v_lshl_add_u32 v9, v9, 10, 0x2000
	s_delay_alu instid0(VALU_DEP_1) | instskip(NEXT) | instid1(VALU_DEP_1)
	v_and_or_b32 v6, 0x8000, v6, v9
	v_lshl_or_b32 v9, v6, 16, v0
.LBB281_1234:                           ;   in Loop: Header=BB281_1005 Depth=1
	s_or_b32 exec_lo, exec_lo, s16
.LBB281_1235:                           ;   in Loop: Header=BB281_1005 Depth=1
	s_delay_alu instid0(SALU_CYCLE_1)
	s_or_b32 exec_lo, exec_lo, s15
.LBB281_1236:                           ;   in Loop: Header=BB281_1005 Depth=1
	s_delay_alu instid0(SALU_CYCLE_1) | instskip(SKIP_4) | instid1(VALU_DEP_3)
	s_or_b32 exec_lo, exec_lo, s14
	v_and_b32_e32 v0, 0xff, v39
	v_dual_mov_b32 v6, v39 :: v_dual_mov_b32 v18, 0
	v_mov_b32_e32 v17, 0
	s_mov_b32 s14, exec_lo
	v_cmpx_ne_u16_e32 0, v0
	s_cbranch_execz .LBB281_1244
; %bb.1237:                             ;   in Loop: Header=BB281_1005 Depth=1
	v_mov_b32_e32 v17, 0x8000
	s_mov_b32 s15, exec_lo
	v_cmpx_ne_u16_e32 0x80, v0
	s_cbranch_execz .LBB281_1243
; %bb.1238:                             ;   in Loop: Header=BB281_1005 Depth=1
	v_and_b32_e32 v19, 0x7f, v39
	v_mov_b32_e32 v17, 0x7c01
	s_mov_b32 s16, exec_lo
	s_delay_alu instid0(VALU_DEP_2)
	v_cmpx_ne_u32_e32 0x7f, v19
	s_cbranch_execz .LBB281_1242
; %bb.1239:                             ;   in Loop: Header=BB281_1005 Depth=1
	v_and_b32_e32 v0, 7, v39
	v_lshrrev_b32_e32 v17, 3, v19
	s_mov_b32 s17, exec_lo
	v_cmpx_gt_u32_e32 8, v19
; %bb.1240:                             ;   in Loop: Header=BB281_1005 Depth=1
	s_delay_alu instid0(VALU_DEP_3) | instskip(NEXT) | instid1(VALU_DEP_1)
	v_clz_i32_u32_e32 v0, v0
	v_min_u32_e32 v0, 32, v0
	s_delay_alu instid0(VALU_DEP_1) | instskip(NEXT) | instid1(VALU_DEP_1)
	v_subrev_nc_u32_e32 v17, 28, v0
	v_lshlrev_b64_e32 v[22:23], v17, v[6:7]
	s_delay_alu instid0(VALU_DEP_1)
	v_dual_sub_nc_u32 v17, 29, v0 :: v_dual_bitop2_b32 v0, 7, v22 bitop3:0x40
; %bb.1241:                             ;   in Loop: Header=BB281_1005 Depth=1
	s_or_b32 exec_lo, exec_lo, s17
	s_delay_alu instid0(VALU_DEP_1) | instskip(NEXT) | instid1(VALU_DEP_2)
	v_dual_lshlrev_b32 v19, 8, v39 :: v_dual_lshlrev_b32 v0, 7, v0
	v_lshl_add_u32 v17, v17, 10, 0x2000
	s_delay_alu instid0(VALU_DEP_2) | instskip(NEXT) | instid1(VALU_DEP_2)
	v_and_b32_e32 v19, 0x8000, v19
	v_and_b32_e32 v17, 0xfc00, v17
	s_delay_alu instid0(VALU_DEP_1)
	v_or3_b32 v17, v19, v17, v0
.LBB281_1242:                           ;   in Loop: Header=BB281_1005 Depth=1
	s_or_b32 exec_lo, exec_lo, s16
.LBB281_1243:                           ;   in Loop: Header=BB281_1005 Depth=1
	s_delay_alu instid0(SALU_CYCLE_1)
	s_or_b32 exec_lo, exec_lo, s15
.LBB281_1244:                           ;   in Loop: Header=BB281_1005 Depth=1
	s_delay_alu instid0(SALU_CYCLE_1) | instskip(SKIP_3) | instid1(VALU_DEP_2)
	s_or_b32 exec_lo, exec_lo, s14
	v_lshrrev_b16 v6, 8, v6
	v_mov_b32_e32 v19, 0
	s_mov_b32 s14, exec_lo
	v_cmpx_ne_u16_e32 0, v6
	s_cbranch_execz .LBB281_1252
; %bb.1245:                             ;   in Loop: Header=BB281_1005 Depth=1
	v_bfrev_b32_e32 v19, 1
	s_mov_b32 s15, exec_lo
	v_cmpx_ne_u16_e32 0x80, v6
	s_cbranch_execz .LBB281_1251
; %bb.1246:                             ;   in Loop: Header=BB281_1005 Depth=1
	v_and_b32_e32 v0, 0xffff, v6
	v_mov_b32_e32 v19, 0x7c010000
	s_mov_b32 s16, exec_lo
	s_delay_alu instid0(VALU_DEP_2) | instskip(NEXT) | instid1(VALU_DEP_1)
	v_and_b32_e32 v23, 0x7f, v0
	v_cmpx_ne_u32_e32 0x7f, v23
	s_cbranch_execz .LBB281_1250
; %bb.1247:                             ;   in Loop: Header=BB281_1005 Depth=1
	v_dual_lshrrev_b32 v22, 3, v23 :: v_dual_bitop2_b32 v19, 7, v0 bitop3:0x40
	s_mov_b32 s17, exec_lo
	v_cmpx_gt_u32_e32 8, v23
; %bb.1248:                             ;   in Loop: Header=BB281_1005 Depth=1
	s_delay_alu instid0(VALU_DEP_2) | instskip(NEXT) | instid1(VALU_DEP_1)
	v_clz_i32_u32_e32 v19, v19
	v_min_u32_e32 v19, 32, v19
	s_delay_alu instid0(VALU_DEP_1) | instskip(NEXT) | instid1(VALU_DEP_1)
	v_subrev_nc_u32_e32 v22, 28, v19
	v_lshlrev_b64_e32 v[48:49], v22, v[6:7]
	s_delay_alu instid0(VALU_DEP_1)
	v_dual_sub_nc_u32 v22, 29, v19 :: v_dual_bitop2_b32 v19, 7, v48 bitop3:0x40
; %bb.1249:                             ;   in Loop: Header=BB281_1005 Depth=1
	s_or_b32 exec_lo, exec_lo, s17
	v_lshlrev_b32_e32 v0, 8, v0
	s_delay_alu instid0(VALU_DEP_2) | instskip(NEXT) | instid1(VALU_DEP_1)
	v_lshl_add_u32 v6, v22, 10, 0x2000
	v_and_or_b32 v0, 0x8000, v0, v6
	v_lshlrev_b32_e32 v6, 23, v19
	s_delay_alu instid0(VALU_DEP_1)
	v_lshl_or_b32 v19, v0, 16, v6
.LBB281_1250:                           ;   in Loop: Header=BB281_1005 Depth=1
	s_or_b32 exec_lo, exec_lo, s16
.LBB281_1251:                           ;   in Loop: Header=BB281_1005 Depth=1
	s_delay_alu instid0(SALU_CYCLE_1)
	s_or_b32 exec_lo, exec_lo, s15
.LBB281_1252:                           ;   in Loop: Header=BB281_1005 Depth=1
	s_delay_alu instid0(SALU_CYCLE_1) | instskip(SKIP_2) | instid1(VALU_DEP_1)
	s_or_b32 exec_lo, exec_lo, s14
	v_lshrrev_b32_e32 v0, 16, v39
	s_mov_b32 s14, exec_lo
	v_and_b32_e32 v6, 0xff, v0
	s_delay_alu instid0(VALU_DEP_1)
	v_cmpx_ne_u16_e32 0, v6
	s_cbranch_execz .LBB281_1260
; %bb.1253:                             ;   in Loop: Header=BB281_1005 Depth=1
	v_mov_b32_e32 v18, 0x8000
	s_mov_b32 s15, exec_lo
	v_cmpx_ne_u16_e32 0x80, v6
	s_cbranch_execz .LBB281_1259
; %bb.1254:                             ;   in Loop: Header=BB281_1005 Depth=1
	v_bfe_u32 v22, v39, 16, 7
	v_mov_b32_e32 v18, 0x7c01
	s_mov_b32 s16, exec_lo
	s_delay_alu instid0(VALU_DEP_2)
	v_cmpx_ne_u32_e32 0x7f, v22
	s_cbranch_execz .LBB281_1258
; %bb.1255:                             ;   in Loop: Header=BB281_1005 Depth=1
	v_dual_lshrrev_b32 v18, 3, v22 :: v_dual_bitop2_b32 v6, 7, v0 bitop3:0x40
	s_mov_b32 s17, exec_lo
	v_cmpx_gt_u32_e32 8, v22
; %bb.1256:                             ;   in Loop: Header=BB281_1005 Depth=1
	s_delay_alu instid0(VALU_DEP_2) | instskip(NEXT) | instid1(VALU_DEP_1)
	v_clz_i32_u32_e32 v6, v6
	v_min_u32_e32 v6, 32, v6
	s_delay_alu instid0(VALU_DEP_1) | instskip(NEXT) | instid1(VALU_DEP_1)
	v_subrev_nc_u32_e32 v18, 28, v6
	v_lshlrev_b64_e32 v[22:23], v18, v[0:1]
	v_sub_nc_u32_e32 v18, 29, v6
	s_delay_alu instid0(VALU_DEP_2)
	v_and_b32_e32 v6, 7, v22
; %bb.1257:                             ;   in Loop: Header=BB281_1005 Depth=1
	s_or_b32 exec_lo, exec_lo, s17
	s_delay_alu instid0(VALU_DEP_1) | instskip(NEXT) | instid1(VALU_DEP_3)
	v_dual_lshlrev_b32 v0, 8, v0 :: v_dual_lshlrev_b32 v6, 7, v6
	v_lshl_add_u32 v18, v18, 10, 0x2000
	s_delay_alu instid0(VALU_DEP_2) | instskip(NEXT) | instid1(VALU_DEP_2)
	v_and_b32_e32 v0, 0x8000, v0
	v_and_b32_e32 v18, 0xfc00, v18
	s_delay_alu instid0(VALU_DEP_1)
	v_or3_b32 v18, v0, v18, v6
.LBB281_1258:                           ;   in Loop: Header=BB281_1005 Depth=1
	s_or_b32 exec_lo, exec_lo, s16
.LBB281_1259:                           ;   in Loop: Header=BB281_1005 Depth=1
	s_delay_alu instid0(SALU_CYCLE_1)
	s_or_b32 exec_lo, exec_lo, s15
.LBB281_1260:                           ;   in Loop: Header=BB281_1005 Depth=1
	s_delay_alu instid0(SALU_CYCLE_1)
	s_or_b32 exec_lo, exec_lo, s14
	v_mov_b32_e32 v0, 0
	s_mov_b32 s14, exec_lo
	v_cmpx_lt_u64_e64 s[2:3], v[38:39]
	s_cbranch_execz .LBB281_1268
; %bb.1261:                             ;   in Loop: Header=BB281_1005 Depth=1
	v_lshrrev_b32_e32 v6, 24, v39
	v_bfrev_b32_e32 v0, 1
	s_mov_b32 s15, exec_lo
	s_delay_alu instid0(VALU_DEP_2)
	v_cmpx_ne_u32_e32 0x80, v6
	s_cbranch_execz .LBB281_1267
; %bb.1262:                             ;   in Loop: Header=BB281_1005 Depth=1
	v_and_b32_e32 v23, 0x7f, v6
	v_mov_b32_e32 v0, 0x7c010000
	s_mov_b32 s16, exec_lo
	s_delay_alu instid0(VALU_DEP_2)
	v_cmpx_ne_u32_e32 0x7f, v23
	s_cbranch_execz .LBB281_1266
; %bb.1263:                             ;   in Loop: Header=BB281_1005 Depth=1
	v_dual_lshrrev_b32 v22, 3, v23 :: v_dual_bitop2_b32 v0, 7, v6 bitop3:0x40
	s_mov_b32 s17, exec_lo
	v_cmpx_gt_u32_e32 8, v23
; %bb.1264:                             ;   in Loop: Header=BB281_1005 Depth=1
	s_delay_alu instid0(VALU_DEP_2) | instskip(NEXT) | instid1(VALU_DEP_1)
	v_clz_i32_u32_e32 v0, v0
	v_min_u32_e32 v0, 32, v0
	s_delay_alu instid0(VALU_DEP_1) | instskip(NEXT) | instid1(VALU_DEP_1)
	v_subrev_nc_u32_e32 v22, 28, v0
	v_lshlrev_b64_e32 v[38:39], v22, v[6:7]
	s_delay_alu instid0(VALU_DEP_1)
	v_dual_sub_nc_u32 v22, 29, v0 :: v_dual_bitop2_b32 v0, 7, v38 bitop3:0x40
; %bb.1265:                             ;   in Loop: Header=BB281_1005 Depth=1
	s_or_b32 exec_lo, exec_lo, s17
	s_delay_alu instid0(VALU_DEP_1) | instskip(NEXT) | instid1(VALU_DEP_2)
	v_dual_lshlrev_b32 v6, 8, v6 :: v_dual_lshlrev_b32 v0, 23, v0
	v_lshl_add_u32 v22, v22, 10, 0x2000
	s_delay_alu instid0(VALU_DEP_1) | instskip(NEXT) | instid1(VALU_DEP_1)
	v_and_or_b32 v6, 0x8000, v6, v22
	v_lshl_or_b32 v0, v6, 16, v0
.LBB281_1266:                           ;   in Loop: Header=BB281_1005 Depth=1
	s_or_b32 exec_lo, exec_lo, s16
.LBB281_1267:                           ;   in Loop: Header=BB281_1005 Depth=1
	s_delay_alu instid0(SALU_CYCLE_1)
	s_or_b32 exec_lo, exec_lo, s15
.LBB281_1268:                           ;   in Loop: Header=BB281_1005 Depth=1
	s_delay_alu instid0(SALU_CYCLE_1) | instskip(SKIP_2) | instid1(VALU_DEP_2)
	s_or_b32 exec_lo, exec_lo, s14
	v_dual_lshrrev_b32 v6, 16, v1 :: v_dual_bitop2_b32 v1, v1, v8 bitop3:0x54
	v_dual_lshrrev_b32 v22, 16, v9 :: v_dual_bitop2_b32 v16, v9, v16 bitop3:0x54
	v_cvt_f32_f16_e32 v9, v6
	v_dual_lshrrev_b32 v18, 16, v19 :: v_dual_bitop2_b32 v6, v0, v18 bitop3:0x54
	s_delay_alu instid0(VALU_DEP_3)
	v_cvt_f32_f16_e32 v8, v22
	v_dual_lshrrev_b32 v22, 16, v0 :: v_dual_bitop2_b32 v19, v19, v17 bitop3:0x54
	v_cvt_f32_f16_e32 v0, v16
	v_cvt_f32_f16_e32 v1, v1
	s_wait_loadcnt_dscnt 0x0
	v_pk_mul_f32 v[8:9], v[36:37], v[8:9] op_sel_hi:[0,1]
	v_cvt_f32_f16_e32 v17, v18
	v_cvt_f32_f16_e32 v16, v22
	v_cvt_f32_f16_e32 v18, v6
	v_cvt_f32_f16_e32 v19, v19
	v_pk_mul_f32 v[0:1], v[36:37], v[0:1] op_sel_hi:[0,1]
	v_cvt_pk_f16_f32 v6, v8, v9
	v_pk_mul_f32 v[8:9], v[36:37], v[16:17] op_sel_hi:[0,1]
	s_delay_alu instid0(VALU_DEP_4) | instskip(NEXT) | instid1(VALU_DEP_4)
	v_pk_mul_f32 v[16:17], v[36:37], v[18:19] op_sel_hi:[0,1]
	v_cvt_pk_f16_f32 v0, v0, v1
	s_delay_alu instid0(VALU_DEP_4) | instskip(NEXT) | instid1(VALU_DEP_4)
	v_and_b32_e32 v19, 0xffff0000, v6
	v_cvt_pk_f16_f32 v8, v8, v9
	v_lshlrev_b32_e32 v36, 16, v6
	v_cvt_pk_f16_f32 v6, v16, v17
	v_lshrrev_b32_e32 v49, 16, v0
	v_and_b32_e32 v50, 0xffff, v0
	v_and_b32_e32 v1, 0xffff0000, v8
	s_delay_alu instid0(VALU_DEP_4) | instskip(SKIP_3) | instid1(VALU_DEP_4)
	v_dual_lshlrev_b32 v0, 16, v8 :: v_dual_lshrrev_b32 v9, 16, v6
	v_and_b32_e32 v6, 0xffff, v6
	v_or_b32_e32 v39, v19, v49
	v_or_b32_e32 v48, v36, v50
	;; [unrolled: 1-line block ×3, first 2 shown]
	s_delay_alu instid0(VALU_DEP_4)
	v_or_b32_e32 v38, v0, v6
	s_and_saveexec_b32 s14, vcc_lo
	s_cbranch_execz .LBB281_1270
; %bb.1269:                             ;   in Loop: Header=BB281_1005 Depth=1
	v_cmp_lt_i32_e64 s0, v68, v13
	s_delay_alu instid0(VALU_DEP_1) | instskip(SKIP_1) | instid1(VALU_DEP_1)
	v_cndmask_b32_e64 v8, 0, v49, s0
	v_cmp_lt_i32_e64 s0, v83, v12
	v_cndmask_b32_e64 v16, 0, v50, s0
	v_cmp_lt_i32_e64 s0, v82, v13
	s_delay_alu instid0(VALU_DEP_1) | instskip(SKIP_1) | instid1(VALU_DEP_1)
	v_cndmask_b32_e64 v17, 0, v19, s0
	v_cmp_lt_i32_e64 s0, v81, v12
	v_cndmask_b32_e64 v18, 0, v36, s0
	v_cmp_lt_i32_e64 s0, v80, v13
	s_delay_alu instid0(VALU_DEP_4) | instskip(NEXT) | instid1(VALU_DEP_2)
	v_or_b32_e32 v39, v8, v17
	v_dual_cndmask_b32 v9, 0, v9, s0 :: v_dual_bitop2_b32 v48, v16, v18 bitop3:0x54
	v_cmp_lt_i32_e64 s0, v71, v12
	s_delay_alu instid0(VALU_DEP_1) | instskip(SKIP_1) | instid1(VALU_DEP_1)
	v_cndmask_b32_e64 v6, 0, v6, s0
	v_cmp_lt_i32_e64 s0, v70, v13
	v_cndmask_b32_e64 v1, 0, v1, s0
	v_cmp_lt_i32_e64 s0, v69, v12
	s_delay_alu instid0(VALU_DEP_1) | instskip(NEXT) | instid1(VALU_DEP_1)
	v_dual_cndmask_b32 v0, 0, v0, s0 :: v_dual_bitop2_b32 v37, v9, v1 bitop3:0x54
	v_or_b32_e32 v38, v6, v0
.LBB281_1270:                           ;   in Loop: Header=BB281_1005 Depth=1
	s_or_b32 exec_lo, exec_lo, s14
	;;#ASMSTART
	v_pk_mul_f16 v0, v96, v39;

	;;#ASMEND
	;;#ASMSTART
	v_pk_mul_f16 v1, v86, v48;

	;;#ASMEND
	;; [unrolled: 4-line block ×4, first 2 shown]
	;;#ASMSTART
	v_pk_add_f16 v0, v0, v1;

	;;#ASMEND
	;;#ASMSTART
	v_pk_add_f16 v0, v0, v6;

	;;#ASMEND
	;; [unrolled: 4-line block ×3, first 2 shown]
	v_and_b32_e32 v1, 0xffff, v0
	v_lshrrev_b32_e32 v0, 16, v0
	;;#ASMSTART
	v_cvt_f32_f16 v102, v1;
	;;#ASMEND
	;;#ASMSTART
	v_cvt_f32_f16 v103, v0;
	;;#ASMEND
	flat_load_b64 v[38:39], v[28:29] offset:1024
	scratch_load_b64 v[0:1], off, s32 offset:192 ; 8-byte Folded Reload
	v_mov_b32_e32 v8, 0
	s_mov_b32 s14, exec_lo
	s_wait_loadcnt 0x0
	flat_load_b32 v36, v[0:1]
	s_wait_dscnt 0x1
	s_wait_xcnt 0x0
	v_and_b32_e32 v0, 0xff, v38
	v_mov_b32_e32 v1, 0
	s_delay_alu instid0(VALU_DEP_2)
	v_cmpx_ne_u16_e32 0, v0
	s_cbranch_execz .LBB281_1278
; %bb.1271:                             ;   in Loop: Header=BB281_1005 Depth=1
	v_mov_b32_e32 v8, 0x8000
	s_mov_b32 s15, exec_lo
	v_cmpx_ne_u16_e32 0x80, v0
	s_cbranch_execz .LBB281_1277
; %bb.1272:                             ;   in Loop: Header=BB281_1005 Depth=1
	v_and_b32_e32 v9, 0x7f, v38
	v_mov_b32_e32 v8, 0x7c01
	s_mov_b32 s16, exec_lo
	s_delay_alu instid0(VALU_DEP_2)
	v_cmpx_ne_u32_e32 0x7f, v9
	s_cbranch_execz .LBB281_1276
; %bb.1273:                             ;   in Loop: Header=BB281_1005 Depth=1
	v_dual_lshrrev_b32 v6, 3, v9 :: v_dual_bitop2_b32 v0, 7, v38 bitop3:0x40
	s_mov_b32 s17, exec_lo
	v_cmpx_gt_u32_e32 8, v9
; %bb.1274:                             ;   in Loop: Header=BB281_1005 Depth=1
	s_delay_alu instid0(VALU_DEP_2) | instskip(NEXT) | instid1(VALU_DEP_1)
	v_clz_i32_u32_e32 v0, v0
	v_min_u32_e32 v0, 32, v0
	s_delay_alu instid0(VALU_DEP_1) | instskip(NEXT) | instid1(VALU_DEP_1)
	v_subrev_nc_u32_e32 v6, 28, v0
	v_lshlrev_b64_e32 v[8:9], v6, v[38:39]
	v_sub_nc_u32_e32 v6, 29, v0
	s_delay_alu instid0(VALU_DEP_2)
	v_and_b32_e32 v0, 7, v8
; %bb.1275:                             ;   in Loop: Header=BB281_1005 Depth=1
	s_or_b32 exec_lo, exec_lo, s17
	s_delay_alu instid0(VALU_DEP_1) | instskip(NEXT) | instid1(VALU_DEP_3)
	v_dual_lshlrev_b32 v8, 8, v38 :: v_dual_lshlrev_b32 v0, 7, v0
	v_lshl_add_u32 v6, v6, 10, 0x2000
	s_delay_alu instid0(VALU_DEP_2) | instskip(NEXT) | instid1(VALU_DEP_2)
	v_and_b32_e32 v8, 0x8000, v8
	v_and_b32_e32 v6, 0xfc00, v6
	s_delay_alu instid0(VALU_DEP_1)
	v_or3_b32 v8, v8, v6, v0
.LBB281_1276:                           ;   in Loop: Header=BB281_1005 Depth=1
	s_or_b32 exec_lo, exec_lo, s16
.LBB281_1277:                           ;   in Loop: Header=BB281_1005 Depth=1
	s_delay_alu instid0(SALU_CYCLE_1)
	s_or_b32 exec_lo, exec_lo, s15
.LBB281_1278:                           ;   in Loop: Header=BB281_1005 Depth=1
	s_delay_alu instid0(SALU_CYCLE_1) | instskip(SKIP_2) | instid1(VALU_DEP_1)
	s_or_b32 exec_lo, exec_lo, s14
	v_lshrrev_b16 v6, 8, v38
	s_mov_b32 s14, exec_lo
	v_cmpx_ne_u16_e32 0, v6
	s_cbranch_execz .LBB281_1286
; %bb.1279:                             ;   in Loop: Header=BB281_1005 Depth=1
	v_bfrev_b32_e32 v1, 1
	s_mov_b32 s15, exec_lo
	v_cmpx_ne_u16_e32 0x80, v6
	s_cbranch_execz .LBB281_1285
; %bb.1280:                             ;   in Loop: Header=BB281_1005 Depth=1
	v_and_b32_e32 v0, 0xffff, v6
	v_mov_b32_e32 v1, 0x7c010000
	s_mov_b32 s16, exec_lo
	s_delay_alu instid0(VALU_DEP_2) | instskip(NEXT) | instid1(VALU_DEP_1)
	v_and_b32_e32 v16, 0x7f, v0
	v_cmpx_ne_u32_e32 0x7f, v16
	s_cbranch_execz .LBB281_1284
; %bb.1281:                             ;   in Loop: Header=BB281_1005 Depth=1
	v_and_b32_e32 v1, 7, v0
	v_lshrrev_b32_e32 v9, 3, v16
	s_mov_b32 s17, exec_lo
	v_cmpx_gt_u32_e32 8, v16
; %bb.1282:                             ;   in Loop: Header=BB281_1005 Depth=1
	s_delay_alu instid0(VALU_DEP_3) | instskip(NEXT) | instid1(VALU_DEP_1)
	v_clz_i32_u32_e32 v1, v1
	v_min_u32_e32 v1, 32, v1
	s_delay_alu instid0(VALU_DEP_1) | instskip(NEXT) | instid1(VALU_DEP_1)
	v_subrev_nc_u32_e32 v9, 28, v1
	v_lshlrev_b64_e32 v[16:17], v9, v[6:7]
	s_delay_alu instid0(VALU_DEP_1)
	v_dual_sub_nc_u32 v9, 29, v1 :: v_dual_bitop2_b32 v1, 7, v16 bitop3:0x40
; %bb.1283:                             ;   in Loop: Header=BB281_1005 Depth=1
	s_or_b32 exec_lo, exec_lo, s17
	s_delay_alu instid0(VALU_DEP_1) | instskip(NEXT) | instid1(VALU_DEP_2)
	v_dual_lshlrev_b32 v0, 8, v0 :: v_dual_lshlrev_b32 v1, 23, v1
	v_lshl_add_u32 v6, v9, 10, 0x2000
	s_delay_alu instid0(VALU_DEP_1) | instskip(NEXT) | instid1(VALU_DEP_1)
	v_and_or_b32 v0, 0x8000, v0, v6
	v_lshl_or_b32 v1, v0, 16, v1
.LBB281_1284:                           ;   in Loop: Header=BB281_1005 Depth=1
	s_or_b32 exec_lo, exec_lo, s16
.LBB281_1285:                           ;   in Loop: Header=BB281_1005 Depth=1
	s_delay_alu instid0(SALU_CYCLE_1)
	s_or_b32 exec_lo, exec_lo, s15
.LBB281_1286:                           ;   in Loop: Header=BB281_1005 Depth=1
	s_delay_alu instid0(SALU_CYCLE_1) | instskip(SKIP_3) | instid1(VALU_DEP_2)
	s_or_b32 exec_lo, exec_lo, s14
	v_dual_mov_b32 v9, 0 :: v_dual_lshrrev_b32 v0, 16, v38
	v_mov_b32_e32 v16, 0
	s_mov_b32 s14, exec_lo
	v_and_b32_e32 v6, 0xff, v0
	s_delay_alu instid0(VALU_DEP_1)
	v_cmpx_ne_u16_e32 0, v6
	s_cbranch_execz .LBB281_1294
; %bb.1287:                             ;   in Loop: Header=BB281_1005 Depth=1
	v_mov_b32_e32 v16, 0x8000
	s_mov_b32 s15, exec_lo
	v_cmpx_ne_u16_e32 0x80, v6
	s_cbranch_execz .LBB281_1293
; %bb.1288:                             ;   in Loop: Header=BB281_1005 Depth=1
	v_bfe_u32 v17, v38, 16, 7
	v_mov_b32_e32 v16, 0x7c01
	s_mov_b32 s16, exec_lo
	s_delay_alu instid0(VALU_DEP_2)
	v_cmpx_ne_u32_e32 0x7f, v17
	s_cbranch_execz .LBB281_1292
; %bb.1289:                             ;   in Loop: Header=BB281_1005 Depth=1
	v_dual_lshrrev_b32 v16, 3, v17 :: v_dual_bitop2_b32 v6, 7, v0 bitop3:0x40
	s_mov_b32 s17, exec_lo
	v_cmpx_gt_u32_e32 8, v17
; %bb.1290:                             ;   in Loop: Header=BB281_1005 Depth=1
	s_delay_alu instid0(VALU_DEP_2) | instskip(NEXT) | instid1(VALU_DEP_1)
	v_clz_i32_u32_e32 v6, v6
	v_min_u32_e32 v6, 32, v6
	s_delay_alu instid0(VALU_DEP_1) | instskip(NEXT) | instid1(VALU_DEP_1)
	v_subrev_nc_u32_e32 v16, 28, v6
	v_lshlrev_b64_e32 v[18:19], v16, v[0:1]
	v_sub_nc_u32_e32 v16, 29, v6
	s_delay_alu instid0(VALU_DEP_2)
	v_and_b32_e32 v6, 7, v18
; %bb.1291:                             ;   in Loop: Header=BB281_1005 Depth=1
	s_or_b32 exec_lo, exec_lo, s17
	s_delay_alu instid0(VALU_DEP_1) | instskip(NEXT) | instid1(VALU_DEP_3)
	v_dual_lshlrev_b32 v0, 8, v0 :: v_dual_lshlrev_b32 v6, 7, v6
	v_lshl_add_u32 v16, v16, 10, 0x2000
	s_delay_alu instid0(VALU_DEP_2) | instskip(NEXT) | instid1(VALU_DEP_2)
	v_and_b32_e32 v0, 0x8000, v0
	v_and_b32_e32 v16, 0xfc00, v16
	s_delay_alu instid0(VALU_DEP_1)
	v_or3_b32 v16, v0, v16, v6
.LBB281_1292:                           ;   in Loop: Header=BB281_1005 Depth=1
	s_or_b32 exec_lo, exec_lo, s16
.LBB281_1293:                           ;   in Loop: Header=BB281_1005 Depth=1
	s_delay_alu instid0(SALU_CYCLE_1)
	s_or_b32 exec_lo, exec_lo, s15
.LBB281_1294:                           ;   in Loop: Header=BB281_1005 Depth=1
	s_delay_alu instid0(SALU_CYCLE_1) | instskip(NEXT) | instid1(SALU_CYCLE_1)
	s_or_b32 exec_lo, exec_lo, s14
	s_mov_b32 s14, exec_lo
	v_cmpx_lt_u32_e32 0xffffff, v38
	s_cbranch_execz .LBB281_1302
; %bb.1295:                             ;   in Loop: Header=BB281_1005 Depth=1
	v_lshrrev_b32_e32 v6, 24, v38
	v_bfrev_b32_e32 v9, 1
	s_mov_b32 s15, exec_lo
	s_delay_alu instid0(VALU_DEP_2)
	v_cmpx_ne_u32_e32 0x80, v6
	s_cbranch_execz .LBB281_1301
; %bb.1296:                             ;   in Loop: Header=BB281_1005 Depth=1
	v_and_b32_e32 v17, 0x7f, v6
	v_mov_b32_e32 v9, 0x7c010000
	s_mov_b32 s16, exec_lo
	s_delay_alu instid0(VALU_DEP_2)
	v_cmpx_ne_u32_e32 0x7f, v17
	s_cbranch_execz .LBB281_1300
; %bb.1297:                             ;   in Loop: Header=BB281_1005 Depth=1
	v_dual_lshrrev_b32 v9, 3, v17 :: v_dual_bitop2_b32 v0, 7, v6 bitop3:0x40
	s_mov_b32 s17, exec_lo
	v_cmpx_gt_u32_e32 8, v17
; %bb.1298:                             ;   in Loop: Header=BB281_1005 Depth=1
	s_delay_alu instid0(VALU_DEP_2) | instskip(NEXT) | instid1(VALU_DEP_1)
	v_clz_i32_u32_e32 v0, v0
	v_min_u32_e32 v0, 32, v0
	s_delay_alu instid0(VALU_DEP_1) | instskip(NEXT) | instid1(VALU_DEP_1)
	v_subrev_nc_u32_e32 v9, 28, v0
	v_lshlrev_b64_e32 v[18:19], v9, v[6:7]
	s_delay_alu instid0(VALU_DEP_1)
	v_dual_sub_nc_u32 v9, 29, v0 :: v_dual_bitop2_b32 v0, 7, v18 bitop3:0x40
; %bb.1299:                             ;   in Loop: Header=BB281_1005 Depth=1
	s_or_b32 exec_lo, exec_lo, s17
	s_delay_alu instid0(VALU_DEP_1) | instskip(NEXT) | instid1(VALU_DEP_2)
	v_dual_lshlrev_b32 v6, 8, v6 :: v_dual_lshlrev_b32 v0, 23, v0
	v_lshl_add_u32 v9, v9, 10, 0x2000
	s_delay_alu instid0(VALU_DEP_1) | instskip(NEXT) | instid1(VALU_DEP_1)
	v_and_or_b32 v6, 0x8000, v6, v9
	v_lshl_or_b32 v9, v6, 16, v0
.LBB281_1300:                           ;   in Loop: Header=BB281_1005 Depth=1
	s_or_b32 exec_lo, exec_lo, s16
.LBB281_1301:                           ;   in Loop: Header=BB281_1005 Depth=1
	s_delay_alu instid0(SALU_CYCLE_1)
	s_or_b32 exec_lo, exec_lo, s15
.LBB281_1302:                           ;   in Loop: Header=BB281_1005 Depth=1
	s_delay_alu instid0(SALU_CYCLE_1) | instskip(SKIP_4) | instid1(VALU_DEP_3)
	s_or_b32 exec_lo, exec_lo, s14
	v_and_b32_e32 v0, 0xff, v39
	v_dual_mov_b32 v6, v39 :: v_dual_mov_b32 v18, 0
	v_mov_b32_e32 v17, 0
	s_mov_b32 s14, exec_lo
	v_cmpx_ne_u16_e32 0, v0
	s_cbranch_execz .LBB281_1310
; %bb.1303:                             ;   in Loop: Header=BB281_1005 Depth=1
	v_mov_b32_e32 v17, 0x8000
	s_mov_b32 s15, exec_lo
	v_cmpx_ne_u16_e32 0x80, v0
	s_cbranch_execz .LBB281_1309
; %bb.1304:                             ;   in Loop: Header=BB281_1005 Depth=1
	v_and_b32_e32 v19, 0x7f, v39
	v_mov_b32_e32 v17, 0x7c01
	s_mov_b32 s16, exec_lo
	s_delay_alu instid0(VALU_DEP_2)
	v_cmpx_ne_u32_e32 0x7f, v19
	s_cbranch_execz .LBB281_1308
; %bb.1305:                             ;   in Loop: Header=BB281_1005 Depth=1
	v_and_b32_e32 v0, 7, v39
	v_lshrrev_b32_e32 v17, 3, v19
	s_mov_b32 s17, exec_lo
	v_cmpx_gt_u32_e32 8, v19
; %bb.1306:                             ;   in Loop: Header=BB281_1005 Depth=1
	s_delay_alu instid0(VALU_DEP_3) | instskip(NEXT) | instid1(VALU_DEP_1)
	v_clz_i32_u32_e32 v0, v0
	v_min_u32_e32 v0, 32, v0
	s_delay_alu instid0(VALU_DEP_1) | instskip(NEXT) | instid1(VALU_DEP_1)
	v_subrev_nc_u32_e32 v17, 28, v0
	v_lshlrev_b64_e32 v[22:23], v17, v[6:7]
	s_delay_alu instid0(VALU_DEP_1)
	v_dual_sub_nc_u32 v17, 29, v0 :: v_dual_bitop2_b32 v0, 7, v22 bitop3:0x40
; %bb.1307:                             ;   in Loop: Header=BB281_1005 Depth=1
	s_or_b32 exec_lo, exec_lo, s17
	s_delay_alu instid0(VALU_DEP_1) | instskip(NEXT) | instid1(VALU_DEP_2)
	v_dual_lshlrev_b32 v19, 8, v39 :: v_dual_lshlrev_b32 v0, 7, v0
	v_lshl_add_u32 v17, v17, 10, 0x2000
	s_delay_alu instid0(VALU_DEP_2) | instskip(NEXT) | instid1(VALU_DEP_2)
	v_and_b32_e32 v19, 0x8000, v19
	v_and_b32_e32 v17, 0xfc00, v17
	s_delay_alu instid0(VALU_DEP_1)
	v_or3_b32 v17, v19, v17, v0
.LBB281_1308:                           ;   in Loop: Header=BB281_1005 Depth=1
	s_or_b32 exec_lo, exec_lo, s16
.LBB281_1309:                           ;   in Loop: Header=BB281_1005 Depth=1
	s_delay_alu instid0(SALU_CYCLE_1)
	s_or_b32 exec_lo, exec_lo, s15
.LBB281_1310:                           ;   in Loop: Header=BB281_1005 Depth=1
	s_delay_alu instid0(SALU_CYCLE_1) | instskip(SKIP_3) | instid1(VALU_DEP_2)
	s_or_b32 exec_lo, exec_lo, s14
	v_lshrrev_b16 v6, 8, v6
	v_mov_b32_e32 v19, 0
	s_mov_b32 s14, exec_lo
	v_cmpx_ne_u16_e32 0, v6
	s_cbranch_execz .LBB281_1318
; %bb.1311:                             ;   in Loop: Header=BB281_1005 Depth=1
	v_bfrev_b32_e32 v19, 1
	s_mov_b32 s15, exec_lo
	v_cmpx_ne_u16_e32 0x80, v6
	s_cbranch_execz .LBB281_1317
; %bb.1312:                             ;   in Loop: Header=BB281_1005 Depth=1
	v_and_b32_e32 v0, 0xffff, v6
	v_mov_b32_e32 v19, 0x7c010000
	s_mov_b32 s16, exec_lo
	s_delay_alu instid0(VALU_DEP_2) | instskip(NEXT) | instid1(VALU_DEP_1)
	v_and_b32_e32 v23, 0x7f, v0
	v_cmpx_ne_u32_e32 0x7f, v23
	s_cbranch_execz .LBB281_1316
; %bb.1313:                             ;   in Loop: Header=BB281_1005 Depth=1
	v_dual_lshrrev_b32 v22, 3, v23 :: v_dual_bitop2_b32 v19, 7, v0 bitop3:0x40
	s_mov_b32 s17, exec_lo
	v_cmpx_gt_u32_e32 8, v23
; %bb.1314:                             ;   in Loop: Header=BB281_1005 Depth=1
	s_delay_alu instid0(VALU_DEP_2) | instskip(NEXT) | instid1(VALU_DEP_1)
	v_clz_i32_u32_e32 v19, v19
	v_min_u32_e32 v19, 32, v19
	s_delay_alu instid0(VALU_DEP_1) | instskip(NEXT) | instid1(VALU_DEP_1)
	v_subrev_nc_u32_e32 v22, 28, v19
	v_lshlrev_b64_e32 v[48:49], v22, v[6:7]
	s_delay_alu instid0(VALU_DEP_1)
	v_dual_sub_nc_u32 v22, 29, v19 :: v_dual_bitop2_b32 v19, 7, v48 bitop3:0x40
; %bb.1315:                             ;   in Loop: Header=BB281_1005 Depth=1
	s_or_b32 exec_lo, exec_lo, s17
	v_lshlrev_b32_e32 v0, 8, v0
	s_delay_alu instid0(VALU_DEP_2) | instskip(NEXT) | instid1(VALU_DEP_1)
	v_lshl_add_u32 v6, v22, 10, 0x2000
	v_and_or_b32 v0, 0x8000, v0, v6
	v_lshlrev_b32_e32 v6, 23, v19
	s_delay_alu instid0(VALU_DEP_1)
	v_lshl_or_b32 v19, v0, 16, v6
.LBB281_1316:                           ;   in Loop: Header=BB281_1005 Depth=1
	s_or_b32 exec_lo, exec_lo, s16
.LBB281_1317:                           ;   in Loop: Header=BB281_1005 Depth=1
	s_delay_alu instid0(SALU_CYCLE_1)
	s_or_b32 exec_lo, exec_lo, s15
.LBB281_1318:                           ;   in Loop: Header=BB281_1005 Depth=1
	s_delay_alu instid0(SALU_CYCLE_1) | instskip(SKIP_2) | instid1(VALU_DEP_1)
	s_or_b32 exec_lo, exec_lo, s14
	v_lshrrev_b32_e32 v0, 16, v39
	s_mov_b32 s14, exec_lo
	v_and_b32_e32 v6, 0xff, v0
	s_delay_alu instid0(VALU_DEP_1)
	v_cmpx_ne_u16_e32 0, v6
	s_cbranch_execz .LBB281_1326
; %bb.1319:                             ;   in Loop: Header=BB281_1005 Depth=1
	v_mov_b32_e32 v18, 0x8000
	s_mov_b32 s15, exec_lo
	v_cmpx_ne_u16_e32 0x80, v6
	s_cbranch_execz .LBB281_1325
; %bb.1320:                             ;   in Loop: Header=BB281_1005 Depth=1
	v_bfe_u32 v22, v39, 16, 7
	v_mov_b32_e32 v18, 0x7c01
	s_mov_b32 s16, exec_lo
	s_delay_alu instid0(VALU_DEP_2)
	v_cmpx_ne_u32_e32 0x7f, v22
	s_cbranch_execz .LBB281_1324
; %bb.1321:                             ;   in Loop: Header=BB281_1005 Depth=1
	v_dual_lshrrev_b32 v18, 3, v22 :: v_dual_bitop2_b32 v6, 7, v0 bitop3:0x40
	s_mov_b32 s17, exec_lo
	v_cmpx_gt_u32_e32 8, v22
; %bb.1322:                             ;   in Loop: Header=BB281_1005 Depth=1
	s_delay_alu instid0(VALU_DEP_2) | instskip(NEXT) | instid1(VALU_DEP_1)
	v_clz_i32_u32_e32 v6, v6
	v_min_u32_e32 v6, 32, v6
	s_delay_alu instid0(VALU_DEP_1) | instskip(NEXT) | instid1(VALU_DEP_1)
	v_subrev_nc_u32_e32 v18, 28, v6
	v_lshlrev_b64_e32 v[22:23], v18, v[0:1]
	v_sub_nc_u32_e32 v18, 29, v6
	s_delay_alu instid0(VALU_DEP_2)
	v_and_b32_e32 v6, 7, v22
; %bb.1323:                             ;   in Loop: Header=BB281_1005 Depth=1
	s_or_b32 exec_lo, exec_lo, s17
	s_delay_alu instid0(VALU_DEP_1) | instskip(NEXT) | instid1(VALU_DEP_3)
	v_dual_lshlrev_b32 v0, 8, v0 :: v_dual_lshlrev_b32 v6, 7, v6
	v_lshl_add_u32 v18, v18, 10, 0x2000
	s_delay_alu instid0(VALU_DEP_2) | instskip(NEXT) | instid1(VALU_DEP_2)
	v_and_b32_e32 v0, 0x8000, v0
	v_and_b32_e32 v18, 0xfc00, v18
	s_delay_alu instid0(VALU_DEP_1)
	v_or3_b32 v18, v0, v18, v6
.LBB281_1324:                           ;   in Loop: Header=BB281_1005 Depth=1
	s_or_b32 exec_lo, exec_lo, s16
.LBB281_1325:                           ;   in Loop: Header=BB281_1005 Depth=1
	s_delay_alu instid0(SALU_CYCLE_1)
	s_or_b32 exec_lo, exec_lo, s15
.LBB281_1326:                           ;   in Loop: Header=BB281_1005 Depth=1
	s_delay_alu instid0(SALU_CYCLE_1)
	s_or_b32 exec_lo, exec_lo, s14
	v_mov_b32_e32 v0, 0
	s_mov_b32 s14, exec_lo
	v_cmpx_lt_u64_e64 s[2:3], v[38:39]
	s_cbranch_execz .LBB281_1334
; %bb.1327:                             ;   in Loop: Header=BB281_1005 Depth=1
	v_lshrrev_b32_e32 v6, 24, v39
	v_bfrev_b32_e32 v0, 1
	s_mov_b32 s15, exec_lo
	s_delay_alu instid0(VALU_DEP_2)
	v_cmpx_ne_u32_e32 0x80, v6
	s_cbranch_execz .LBB281_1333
; %bb.1328:                             ;   in Loop: Header=BB281_1005 Depth=1
	v_and_b32_e32 v23, 0x7f, v6
	v_mov_b32_e32 v0, 0x7c010000
	s_mov_b32 s16, exec_lo
	s_delay_alu instid0(VALU_DEP_2)
	v_cmpx_ne_u32_e32 0x7f, v23
	s_cbranch_execz .LBB281_1332
; %bb.1329:                             ;   in Loop: Header=BB281_1005 Depth=1
	v_dual_lshrrev_b32 v22, 3, v23 :: v_dual_bitop2_b32 v0, 7, v6 bitop3:0x40
	s_mov_b32 s17, exec_lo
	v_cmpx_gt_u32_e32 8, v23
; %bb.1330:                             ;   in Loop: Header=BB281_1005 Depth=1
	s_delay_alu instid0(VALU_DEP_2) | instskip(NEXT) | instid1(VALU_DEP_1)
	v_clz_i32_u32_e32 v0, v0
	v_min_u32_e32 v0, 32, v0
	s_delay_alu instid0(VALU_DEP_1) | instskip(NEXT) | instid1(VALU_DEP_1)
	v_subrev_nc_u32_e32 v22, 28, v0
	v_lshlrev_b64_e32 v[38:39], v22, v[6:7]
	s_delay_alu instid0(VALU_DEP_1)
	v_dual_sub_nc_u32 v22, 29, v0 :: v_dual_bitop2_b32 v0, 7, v38 bitop3:0x40
; %bb.1331:                             ;   in Loop: Header=BB281_1005 Depth=1
	s_or_b32 exec_lo, exec_lo, s17
	s_delay_alu instid0(VALU_DEP_1) | instskip(NEXT) | instid1(VALU_DEP_2)
	v_dual_lshlrev_b32 v6, 8, v6 :: v_dual_lshlrev_b32 v0, 23, v0
	v_lshl_add_u32 v22, v22, 10, 0x2000
	s_delay_alu instid0(VALU_DEP_1) | instskip(NEXT) | instid1(VALU_DEP_1)
	v_and_or_b32 v6, 0x8000, v6, v22
	v_lshl_or_b32 v0, v6, 16, v0
.LBB281_1332:                           ;   in Loop: Header=BB281_1005 Depth=1
	s_or_b32 exec_lo, exec_lo, s16
.LBB281_1333:                           ;   in Loop: Header=BB281_1005 Depth=1
	s_delay_alu instid0(SALU_CYCLE_1)
	s_or_b32 exec_lo, exec_lo, s15
.LBB281_1334:                           ;   in Loop: Header=BB281_1005 Depth=1
	s_delay_alu instid0(SALU_CYCLE_1) | instskip(SKIP_2) | instid1(VALU_DEP_2)
	s_or_b32 exec_lo, exec_lo, s14
	v_dual_lshrrev_b32 v6, 16, v1 :: v_dual_bitop2_b32 v1, v1, v8 bitop3:0x54
	v_dual_lshrrev_b32 v22, 16, v9 :: v_dual_bitop2_b32 v16, v9, v16 bitop3:0x54
	v_cvt_f32_f16_e32 v9, v6
	v_dual_lshrrev_b32 v18, 16, v19 :: v_dual_bitop2_b32 v6, v0, v18 bitop3:0x54
	s_delay_alu instid0(VALU_DEP_3)
	v_cvt_f32_f16_e32 v8, v22
	v_dual_lshrrev_b32 v22, 16, v0 :: v_dual_bitop2_b32 v19, v19, v17 bitop3:0x54
	v_cvt_f32_f16_e32 v0, v16
	v_cvt_f32_f16_e32 v1, v1
	s_wait_loadcnt_dscnt 0x0
	v_pk_mul_f32 v[8:9], v[36:37], v[8:9] op_sel_hi:[0,1]
	v_cvt_f32_f16_e32 v17, v18
	v_cvt_f32_f16_e32 v16, v22
	v_cvt_f32_f16_e32 v18, v6
	v_cvt_f32_f16_e32 v19, v19
	v_pk_mul_f32 v[0:1], v[36:37], v[0:1] op_sel_hi:[0,1]
	v_cvt_pk_f16_f32 v6, v8, v9
	v_pk_mul_f32 v[8:9], v[36:37], v[16:17] op_sel_hi:[0,1]
	s_delay_alu instid0(VALU_DEP_4) | instskip(NEXT) | instid1(VALU_DEP_4)
	v_pk_mul_f32 v[16:17], v[36:37], v[18:19] op_sel_hi:[0,1]
	v_cvt_pk_f16_f32 v0, v0, v1
	s_delay_alu instid0(VALU_DEP_4) | instskip(NEXT) | instid1(VALU_DEP_4)
	v_and_b32_e32 v19, 0xffff0000, v6
	v_cvt_pk_f16_f32 v8, v8, v9
	v_lshlrev_b32_e32 v36, 16, v6
	v_cvt_pk_f16_f32 v6, v16, v17
	v_lshrrev_b32_e32 v49, 16, v0
	v_and_b32_e32 v50, 0xffff, v0
	v_and_b32_e32 v1, 0xffff0000, v8
	s_delay_alu instid0(VALU_DEP_4) | instskip(SKIP_3) | instid1(VALU_DEP_4)
	v_dual_lshlrev_b32 v0, 16, v8 :: v_dual_lshrrev_b32 v9, 16, v6
	v_and_b32_e32 v6, 0xffff, v6
	v_or_b32_e32 v39, v19, v49
	v_or_b32_e32 v48, v36, v50
	;; [unrolled: 1-line block ×3, first 2 shown]
	s_delay_alu instid0(VALU_DEP_4)
	v_or_b32_e32 v38, v0, v6
	s_and_saveexec_b32 s14, vcc_lo
	s_cbranch_execz .LBB281_1336
; %bb.1335:                             ;   in Loop: Header=BB281_1005 Depth=1
	v_cmp_lt_i32_e64 s0, v68, v13
	s_delay_alu instid0(VALU_DEP_1) | instskip(SKIP_1) | instid1(VALU_DEP_1)
	v_cndmask_b32_e64 v8, 0, v49, s0
	v_cmp_lt_i32_e64 s0, v83, v12
	v_cndmask_b32_e64 v16, 0, v50, s0
	v_cmp_lt_i32_e64 s0, v82, v13
	s_delay_alu instid0(VALU_DEP_1) | instskip(SKIP_1) | instid1(VALU_DEP_1)
	v_cndmask_b32_e64 v17, 0, v19, s0
	v_cmp_lt_i32_e64 s0, v81, v12
	v_cndmask_b32_e64 v18, 0, v36, s0
	v_cmp_lt_i32_e64 s0, v80, v13
	s_delay_alu instid0(VALU_DEP_4) | instskip(NEXT) | instid1(VALU_DEP_2)
	v_or_b32_e32 v39, v8, v17
	v_dual_cndmask_b32 v9, 0, v9, s0 :: v_dual_bitop2_b32 v48, v16, v18 bitop3:0x54
	v_cmp_lt_i32_e64 s0, v71, v12
	s_delay_alu instid0(VALU_DEP_1) | instskip(SKIP_1) | instid1(VALU_DEP_1)
	v_cndmask_b32_e64 v6, 0, v6, s0
	v_cmp_lt_i32_e64 s0, v70, v13
	v_cndmask_b32_e64 v1, 0, v1, s0
	v_cmp_lt_i32_e64 s0, v69, v12
	s_delay_alu instid0(VALU_DEP_1) | instskip(NEXT) | instid1(VALU_DEP_1)
	v_dual_cndmask_b32 v0, 0, v0, s0 :: v_dual_bitop2_b32 v37, v9, v1 bitop3:0x54
	v_or_b32_e32 v38, v6, v0
.LBB281_1336:                           ;   in Loop: Header=BB281_1005 Depth=1
	s_or_b32 exec_lo, exec_lo, s14
	;;#ASMSTART
	v_pk_mul_f16 v0, v96, v39;

	;;#ASMEND
	;;#ASMSTART
	v_pk_mul_f16 v1, v86, v48;

	;;#ASMEND
	;; [unrolled: 4-line block ×4, first 2 shown]
	;;#ASMSTART
	v_pk_add_f16 v0, v0, v1;

	;;#ASMEND
	;;#ASMSTART
	v_pk_add_f16 v0, v0, v6;

	;;#ASMEND
	;;#ASMSTART
	v_pk_add_f16 v0, v0, v8;

	;;#ASMEND
	v_and_b32_e32 v1, 0xffff, v0
	v_lshrrev_b32_e32 v0, 16, v0
	;;#ASMSTART
	v_cvt_f32_f16 v112, v1;
	;;#ASMEND
	;;#ASMSTART
	v_cvt_f32_f16 v113, v0;
	;;#ASMEND
	flat_load_b64 v[38:39], v[28:29] offset:1280
	scratch_load_b64 v[0:1], off, s32 offset:192 ; 8-byte Folded Reload
	v_mov_b32_e32 v8, 0
	s_mov_b32 s14, exec_lo
	s_wait_loadcnt 0x0
	flat_load_b32 v36, v[0:1]
	s_wait_dscnt 0x1
	s_wait_xcnt 0x0
	v_and_b32_e32 v0, 0xff, v38
	v_mov_b32_e32 v1, 0
	s_delay_alu instid0(VALU_DEP_2)
	v_cmpx_ne_u16_e32 0, v0
	s_cbranch_execz .LBB281_1344
; %bb.1337:                             ;   in Loop: Header=BB281_1005 Depth=1
	v_mov_b32_e32 v8, 0x8000
	s_mov_b32 s15, exec_lo
	v_cmpx_ne_u16_e32 0x80, v0
	s_cbranch_execz .LBB281_1343
; %bb.1338:                             ;   in Loop: Header=BB281_1005 Depth=1
	v_and_b32_e32 v9, 0x7f, v38
	v_mov_b32_e32 v8, 0x7c01
	s_mov_b32 s16, exec_lo
	s_delay_alu instid0(VALU_DEP_2)
	v_cmpx_ne_u32_e32 0x7f, v9
	s_cbranch_execz .LBB281_1342
; %bb.1339:                             ;   in Loop: Header=BB281_1005 Depth=1
	v_dual_lshrrev_b32 v6, 3, v9 :: v_dual_bitop2_b32 v0, 7, v38 bitop3:0x40
	s_mov_b32 s17, exec_lo
	v_cmpx_gt_u32_e32 8, v9
; %bb.1340:                             ;   in Loop: Header=BB281_1005 Depth=1
	s_delay_alu instid0(VALU_DEP_2) | instskip(NEXT) | instid1(VALU_DEP_1)
	v_clz_i32_u32_e32 v0, v0
	v_min_u32_e32 v0, 32, v0
	s_delay_alu instid0(VALU_DEP_1) | instskip(NEXT) | instid1(VALU_DEP_1)
	v_subrev_nc_u32_e32 v6, 28, v0
	v_lshlrev_b64_e32 v[8:9], v6, v[38:39]
	v_sub_nc_u32_e32 v6, 29, v0
	s_delay_alu instid0(VALU_DEP_2)
	v_and_b32_e32 v0, 7, v8
; %bb.1341:                             ;   in Loop: Header=BB281_1005 Depth=1
	s_or_b32 exec_lo, exec_lo, s17
	s_delay_alu instid0(VALU_DEP_1) | instskip(NEXT) | instid1(VALU_DEP_3)
	v_dual_lshlrev_b32 v8, 8, v38 :: v_dual_lshlrev_b32 v0, 7, v0
	v_lshl_add_u32 v6, v6, 10, 0x2000
	s_delay_alu instid0(VALU_DEP_2) | instskip(NEXT) | instid1(VALU_DEP_2)
	v_and_b32_e32 v8, 0x8000, v8
	v_and_b32_e32 v6, 0xfc00, v6
	s_delay_alu instid0(VALU_DEP_1)
	v_or3_b32 v8, v8, v6, v0
.LBB281_1342:                           ;   in Loop: Header=BB281_1005 Depth=1
	s_or_b32 exec_lo, exec_lo, s16
.LBB281_1343:                           ;   in Loop: Header=BB281_1005 Depth=1
	s_delay_alu instid0(SALU_CYCLE_1)
	s_or_b32 exec_lo, exec_lo, s15
.LBB281_1344:                           ;   in Loop: Header=BB281_1005 Depth=1
	s_delay_alu instid0(SALU_CYCLE_1) | instskip(SKIP_2) | instid1(VALU_DEP_1)
	s_or_b32 exec_lo, exec_lo, s14
	v_lshrrev_b16 v6, 8, v38
	s_mov_b32 s14, exec_lo
	v_cmpx_ne_u16_e32 0, v6
	s_cbranch_execz .LBB281_1352
; %bb.1345:                             ;   in Loop: Header=BB281_1005 Depth=1
	v_bfrev_b32_e32 v1, 1
	s_mov_b32 s15, exec_lo
	v_cmpx_ne_u16_e32 0x80, v6
	s_cbranch_execz .LBB281_1351
; %bb.1346:                             ;   in Loop: Header=BB281_1005 Depth=1
	v_and_b32_e32 v0, 0xffff, v6
	v_mov_b32_e32 v1, 0x7c010000
	s_mov_b32 s16, exec_lo
	s_delay_alu instid0(VALU_DEP_2) | instskip(NEXT) | instid1(VALU_DEP_1)
	v_and_b32_e32 v16, 0x7f, v0
	v_cmpx_ne_u32_e32 0x7f, v16
	s_cbranch_execz .LBB281_1350
; %bb.1347:                             ;   in Loop: Header=BB281_1005 Depth=1
	v_and_b32_e32 v1, 7, v0
	v_lshrrev_b32_e32 v9, 3, v16
	s_mov_b32 s17, exec_lo
	v_cmpx_gt_u32_e32 8, v16
; %bb.1348:                             ;   in Loop: Header=BB281_1005 Depth=1
	s_delay_alu instid0(VALU_DEP_3) | instskip(NEXT) | instid1(VALU_DEP_1)
	v_clz_i32_u32_e32 v1, v1
	v_min_u32_e32 v1, 32, v1
	s_delay_alu instid0(VALU_DEP_1) | instskip(NEXT) | instid1(VALU_DEP_1)
	v_subrev_nc_u32_e32 v9, 28, v1
	v_lshlrev_b64_e32 v[16:17], v9, v[6:7]
	s_delay_alu instid0(VALU_DEP_1)
	v_dual_sub_nc_u32 v9, 29, v1 :: v_dual_bitop2_b32 v1, 7, v16 bitop3:0x40
; %bb.1349:                             ;   in Loop: Header=BB281_1005 Depth=1
	s_or_b32 exec_lo, exec_lo, s17
	s_delay_alu instid0(VALU_DEP_1) | instskip(NEXT) | instid1(VALU_DEP_2)
	v_dual_lshlrev_b32 v0, 8, v0 :: v_dual_lshlrev_b32 v1, 23, v1
	v_lshl_add_u32 v6, v9, 10, 0x2000
	s_delay_alu instid0(VALU_DEP_1) | instskip(NEXT) | instid1(VALU_DEP_1)
	v_and_or_b32 v0, 0x8000, v0, v6
	v_lshl_or_b32 v1, v0, 16, v1
.LBB281_1350:                           ;   in Loop: Header=BB281_1005 Depth=1
	s_or_b32 exec_lo, exec_lo, s16
.LBB281_1351:                           ;   in Loop: Header=BB281_1005 Depth=1
	s_delay_alu instid0(SALU_CYCLE_1)
	s_or_b32 exec_lo, exec_lo, s15
.LBB281_1352:                           ;   in Loop: Header=BB281_1005 Depth=1
	s_delay_alu instid0(SALU_CYCLE_1) | instskip(SKIP_3) | instid1(VALU_DEP_2)
	s_or_b32 exec_lo, exec_lo, s14
	v_dual_mov_b32 v9, 0 :: v_dual_lshrrev_b32 v0, 16, v38
	v_mov_b32_e32 v16, 0
	s_mov_b32 s14, exec_lo
	v_and_b32_e32 v6, 0xff, v0
	s_delay_alu instid0(VALU_DEP_1)
	v_cmpx_ne_u16_e32 0, v6
	s_cbranch_execz .LBB281_1360
; %bb.1353:                             ;   in Loop: Header=BB281_1005 Depth=1
	v_mov_b32_e32 v16, 0x8000
	s_mov_b32 s15, exec_lo
	v_cmpx_ne_u16_e32 0x80, v6
	s_cbranch_execz .LBB281_1359
; %bb.1354:                             ;   in Loop: Header=BB281_1005 Depth=1
	v_bfe_u32 v17, v38, 16, 7
	v_mov_b32_e32 v16, 0x7c01
	s_mov_b32 s16, exec_lo
	s_delay_alu instid0(VALU_DEP_2)
	v_cmpx_ne_u32_e32 0x7f, v17
	s_cbranch_execz .LBB281_1358
; %bb.1355:                             ;   in Loop: Header=BB281_1005 Depth=1
	v_dual_lshrrev_b32 v16, 3, v17 :: v_dual_bitop2_b32 v6, 7, v0 bitop3:0x40
	s_mov_b32 s17, exec_lo
	v_cmpx_gt_u32_e32 8, v17
; %bb.1356:                             ;   in Loop: Header=BB281_1005 Depth=1
	s_delay_alu instid0(VALU_DEP_2) | instskip(NEXT) | instid1(VALU_DEP_1)
	v_clz_i32_u32_e32 v6, v6
	v_min_u32_e32 v6, 32, v6
	s_delay_alu instid0(VALU_DEP_1) | instskip(NEXT) | instid1(VALU_DEP_1)
	v_subrev_nc_u32_e32 v16, 28, v6
	v_lshlrev_b64_e32 v[18:19], v16, v[0:1]
	v_sub_nc_u32_e32 v16, 29, v6
	s_delay_alu instid0(VALU_DEP_2)
	v_and_b32_e32 v6, 7, v18
; %bb.1357:                             ;   in Loop: Header=BB281_1005 Depth=1
	s_or_b32 exec_lo, exec_lo, s17
	s_delay_alu instid0(VALU_DEP_1) | instskip(NEXT) | instid1(VALU_DEP_3)
	v_dual_lshlrev_b32 v0, 8, v0 :: v_dual_lshlrev_b32 v6, 7, v6
	v_lshl_add_u32 v16, v16, 10, 0x2000
	s_delay_alu instid0(VALU_DEP_2) | instskip(NEXT) | instid1(VALU_DEP_2)
	v_and_b32_e32 v0, 0x8000, v0
	v_and_b32_e32 v16, 0xfc00, v16
	s_delay_alu instid0(VALU_DEP_1)
	v_or3_b32 v16, v0, v16, v6
.LBB281_1358:                           ;   in Loop: Header=BB281_1005 Depth=1
	s_or_b32 exec_lo, exec_lo, s16
.LBB281_1359:                           ;   in Loop: Header=BB281_1005 Depth=1
	s_delay_alu instid0(SALU_CYCLE_1)
	s_or_b32 exec_lo, exec_lo, s15
.LBB281_1360:                           ;   in Loop: Header=BB281_1005 Depth=1
	s_delay_alu instid0(SALU_CYCLE_1) | instskip(NEXT) | instid1(SALU_CYCLE_1)
	s_or_b32 exec_lo, exec_lo, s14
	s_mov_b32 s14, exec_lo
	v_cmpx_lt_u32_e32 0xffffff, v38
	s_cbranch_execz .LBB281_1368
; %bb.1361:                             ;   in Loop: Header=BB281_1005 Depth=1
	v_lshrrev_b32_e32 v6, 24, v38
	v_bfrev_b32_e32 v9, 1
	s_mov_b32 s15, exec_lo
	s_delay_alu instid0(VALU_DEP_2)
	v_cmpx_ne_u32_e32 0x80, v6
	s_cbranch_execz .LBB281_1367
; %bb.1362:                             ;   in Loop: Header=BB281_1005 Depth=1
	v_and_b32_e32 v17, 0x7f, v6
	v_mov_b32_e32 v9, 0x7c010000
	s_mov_b32 s16, exec_lo
	s_delay_alu instid0(VALU_DEP_2)
	v_cmpx_ne_u32_e32 0x7f, v17
	s_cbranch_execz .LBB281_1366
; %bb.1363:                             ;   in Loop: Header=BB281_1005 Depth=1
	v_dual_lshrrev_b32 v9, 3, v17 :: v_dual_bitop2_b32 v0, 7, v6 bitop3:0x40
	s_mov_b32 s17, exec_lo
	v_cmpx_gt_u32_e32 8, v17
; %bb.1364:                             ;   in Loop: Header=BB281_1005 Depth=1
	s_delay_alu instid0(VALU_DEP_2) | instskip(NEXT) | instid1(VALU_DEP_1)
	v_clz_i32_u32_e32 v0, v0
	v_min_u32_e32 v0, 32, v0
	s_delay_alu instid0(VALU_DEP_1) | instskip(NEXT) | instid1(VALU_DEP_1)
	v_subrev_nc_u32_e32 v9, 28, v0
	v_lshlrev_b64_e32 v[18:19], v9, v[6:7]
	s_delay_alu instid0(VALU_DEP_1)
	v_dual_sub_nc_u32 v9, 29, v0 :: v_dual_bitop2_b32 v0, 7, v18 bitop3:0x40
; %bb.1365:                             ;   in Loop: Header=BB281_1005 Depth=1
	s_or_b32 exec_lo, exec_lo, s17
	s_delay_alu instid0(VALU_DEP_1) | instskip(NEXT) | instid1(VALU_DEP_2)
	v_dual_lshlrev_b32 v6, 8, v6 :: v_dual_lshlrev_b32 v0, 23, v0
	v_lshl_add_u32 v9, v9, 10, 0x2000
	s_delay_alu instid0(VALU_DEP_1) | instskip(NEXT) | instid1(VALU_DEP_1)
	v_and_or_b32 v6, 0x8000, v6, v9
	v_lshl_or_b32 v9, v6, 16, v0
.LBB281_1366:                           ;   in Loop: Header=BB281_1005 Depth=1
	s_or_b32 exec_lo, exec_lo, s16
.LBB281_1367:                           ;   in Loop: Header=BB281_1005 Depth=1
	s_delay_alu instid0(SALU_CYCLE_1)
	s_or_b32 exec_lo, exec_lo, s15
.LBB281_1368:                           ;   in Loop: Header=BB281_1005 Depth=1
	s_delay_alu instid0(SALU_CYCLE_1) | instskip(SKIP_4) | instid1(VALU_DEP_3)
	s_or_b32 exec_lo, exec_lo, s14
	v_and_b32_e32 v0, 0xff, v39
	v_dual_mov_b32 v6, v39 :: v_dual_mov_b32 v18, 0
	v_mov_b32_e32 v17, 0
	s_mov_b32 s14, exec_lo
	v_cmpx_ne_u16_e32 0, v0
	s_cbranch_execz .LBB281_1376
; %bb.1369:                             ;   in Loop: Header=BB281_1005 Depth=1
	v_mov_b32_e32 v17, 0x8000
	s_mov_b32 s15, exec_lo
	v_cmpx_ne_u16_e32 0x80, v0
	s_cbranch_execz .LBB281_1375
; %bb.1370:                             ;   in Loop: Header=BB281_1005 Depth=1
	v_and_b32_e32 v19, 0x7f, v39
	v_mov_b32_e32 v17, 0x7c01
	s_mov_b32 s16, exec_lo
	s_delay_alu instid0(VALU_DEP_2)
	v_cmpx_ne_u32_e32 0x7f, v19
	s_cbranch_execz .LBB281_1374
; %bb.1371:                             ;   in Loop: Header=BB281_1005 Depth=1
	v_and_b32_e32 v0, 7, v39
	v_lshrrev_b32_e32 v17, 3, v19
	s_mov_b32 s17, exec_lo
	v_cmpx_gt_u32_e32 8, v19
; %bb.1372:                             ;   in Loop: Header=BB281_1005 Depth=1
	s_delay_alu instid0(VALU_DEP_3) | instskip(NEXT) | instid1(VALU_DEP_1)
	v_clz_i32_u32_e32 v0, v0
	v_min_u32_e32 v0, 32, v0
	s_delay_alu instid0(VALU_DEP_1) | instskip(NEXT) | instid1(VALU_DEP_1)
	v_subrev_nc_u32_e32 v17, 28, v0
	v_lshlrev_b64_e32 v[22:23], v17, v[6:7]
	s_delay_alu instid0(VALU_DEP_1)
	v_dual_sub_nc_u32 v17, 29, v0 :: v_dual_bitop2_b32 v0, 7, v22 bitop3:0x40
; %bb.1373:                             ;   in Loop: Header=BB281_1005 Depth=1
	s_or_b32 exec_lo, exec_lo, s17
	s_delay_alu instid0(VALU_DEP_1) | instskip(NEXT) | instid1(VALU_DEP_2)
	v_dual_lshlrev_b32 v19, 8, v39 :: v_dual_lshlrev_b32 v0, 7, v0
	v_lshl_add_u32 v17, v17, 10, 0x2000
	s_delay_alu instid0(VALU_DEP_2) | instskip(NEXT) | instid1(VALU_DEP_2)
	v_and_b32_e32 v19, 0x8000, v19
	v_and_b32_e32 v17, 0xfc00, v17
	s_delay_alu instid0(VALU_DEP_1)
	v_or3_b32 v17, v19, v17, v0
.LBB281_1374:                           ;   in Loop: Header=BB281_1005 Depth=1
	s_or_b32 exec_lo, exec_lo, s16
.LBB281_1375:                           ;   in Loop: Header=BB281_1005 Depth=1
	s_delay_alu instid0(SALU_CYCLE_1)
	s_or_b32 exec_lo, exec_lo, s15
.LBB281_1376:                           ;   in Loop: Header=BB281_1005 Depth=1
	s_delay_alu instid0(SALU_CYCLE_1) | instskip(SKIP_3) | instid1(VALU_DEP_2)
	s_or_b32 exec_lo, exec_lo, s14
	v_lshrrev_b16 v6, 8, v6
	v_mov_b32_e32 v19, 0
	s_mov_b32 s14, exec_lo
	v_cmpx_ne_u16_e32 0, v6
	s_cbranch_execz .LBB281_1384
; %bb.1377:                             ;   in Loop: Header=BB281_1005 Depth=1
	v_bfrev_b32_e32 v19, 1
	s_mov_b32 s15, exec_lo
	v_cmpx_ne_u16_e32 0x80, v6
	s_cbranch_execz .LBB281_1383
; %bb.1378:                             ;   in Loop: Header=BB281_1005 Depth=1
	v_and_b32_e32 v0, 0xffff, v6
	v_mov_b32_e32 v19, 0x7c010000
	s_mov_b32 s16, exec_lo
	s_delay_alu instid0(VALU_DEP_2) | instskip(NEXT) | instid1(VALU_DEP_1)
	v_and_b32_e32 v23, 0x7f, v0
	v_cmpx_ne_u32_e32 0x7f, v23
	s_cbranch_execz .LBB281_1382
; %bb.1379:                             ;   in Loop: Header=BB281_1005 Depth=1
	v_dual_lshrrev_b32 v22, 3, v23 :: v_dual_bitop2_b32 v19, 7, v0 bitop3:0x40
	s_mov_b32 s17, exec_lo
	v_cmpx_gt_u32_e32 8, v23
; %bb.1380:                             ;   in Loop: Header=BB281_1005 Depth=1
	s_delay_alu instid0(VALU_DEP_2) | instskip(NEXT) | instid1(VALU_DEP_1)
	v_clz_i32_u32_e32 v19, v19
	v_min_u32_e32 v19, 32, v19
	s_delay_alu instid0(VALU_DEP_1) | instskip(NEXT) | instid1(VALU_DEP_1)
	v_subrev_nc_u32_e32 v22, 28, v19
	v_lshlrev_b64_e32 v[48:49], v22, v[6:7]
	s_delay_alu instid0(VALU_DEP_1)
	v_dual_sub_nc_u32 v22, 29, v19 :: v_dual_bitop2_b32 v19, 7, v48 bitop3:0x40
; %bb.1381:                             ;   in Loop: Header=BB281_1005 Depth=1
	s_or_b32 exec_lo, exec_lo, s17
	v_lshlrev_b32_e32 v0, 8, v0
	s_delay_alu instid0(VALU_DEP_2) | instskip(NEXT) | instid1(VALU_DEP_1)
	v_lshl_add_u32 v6, v22, 10, 0x2000
	v_and_or_b32 v0, 0x8000, v0, v6
	v_lshlrev_b32_e32 v6, 23, v19
	s_delay_alu instid0(VALU_DEP_1)
	v_lshl_or_b32 v19, v0, 16, v6
.LBB281_1382:                           ;   in Loop: Header=BB281_1005 Depth=1
	s_or_b32 exec_lo, exec_lo, s16
.LBB281_1383:                           ;   in Loop: Header=BB281_1005 Depth=1
	s_delay_alu instid0(SALU_CYCLE_1)
	s_or_b32 exec_lo, exec_lo, s15
.LBB281_1384:                           ;   in Loop: Header=BB281_1005 Depth=1
	s_delay_alu instid0(SALU_CYCLE_1) | instskip(SKIP_2) | instid1(VALU_DEP_1)
	s_or_b32 exec_lo, exec_lo, s14
	v_lshrrev_b32_e32 v0, 16, v39
	s_mov_b32 s14, exec_lo
	v_and_b32_e32 v6, 0xff, v0
	s_delay_alu instid0(VALU_DEP_1)
	v_cmpx_ne_u16_e32 0, v6
	s_cbranch_execz .LBB281_1392
; %bb.1385:                             ;   in Loop: Header=BB281_1005 Depth=1
	v_mov_b32_e32 v18, 0x8000
	s_mov_b32 s15, exec_lo
	v_cmpx_ne_u16_e32 0x80, v6
	s_cbranch_execz .LBB281_1391
; %bb.1386:                             ;   in Loop: Header=BB281_1005 Depth=1
	v_bfe_u32 v22, v39, 16, 7
	v_mov_b32_e32 v18, 0x7c01
	s_mov_b32 s16, exec_lo
	s_delay_alu instid0(VALU_DEP_2)
	v_cmpx_ne_u32_e32 0x7f, v22
	s_cbranch_execz .LBB281_1390
; %bb.1387:                             ;   in Loop: Header=BB281_1005 Depth=1
	v_dual_lshrrev_b32 v18, 3, v22 :: v_dual_bitop2_b32 v6, 7, v0 bitop3:0x40
	s_mov_b32 s17, exec_lo
	v_cmpx_gt_u32_e32 8, v22
; %bb.1388:                             ;   in Loop: Header=BB281_1005 Depth=1
	s_delay_alu instid0(VALU_DEP_2) | instskip(NEXT) | instid1(VALU_DEP_1)
	v_clz_i32_u32_e32 v6, v6
	v_min_u32_e32 v6, 32, v6
	s_delay_alu instid0(VALU_DEP_1) | instskip(NEXT) | instid1(VALU_DEP_1)
	v_subrev_nc_u32_e32 v18, 28, v6
	v_lshlrev_b64_e32 v[22:23], v18, v[0:1]
	v_sub_nc_u32_e32 v18, 29, v6
	s_delay_alu instid0(VALU_DEP_2)
	v_and_b32_e32 v6, 7, v22
; %bb.1389:                             ;   in Loop: Header=BB281_1005 Depth=1
	s_or_b32 exec_lo, exec_lo, s17
	s_delay_alu instid0(VALU_DEP_1) | instskip(NEXT) | instid1(VALU_DEP_3)
	v_dual_lshlrev_b32 v0, 8, v0 :: v_dual_lshlrev_b32 v6, 7, v6
	v_lshl_add_u32 v18, v18, 10, 0x2000
	s_delay_alu instid0(VALU_DEP_2) | instskip(NEXT) | instid1(VALU_DEP_2)
	v_and_b32_e32 v0, 0x8000, v0
	v_and_b32_e32 v18, 0xfc00, v18
	s_delay_alu instid0(VALU_DEP_1)
	v_or3_b32 v18, v0, v18, v6
.LBB281_1390:                           ;   in Loop: Header=BB281_1005 Depth=1
	s_or_b32 exec_lo, exec_lo, s16
.LBB281_1391:                           ;   in Loop: Header=BB281_1005 Depth=1
	s_delay_alu instid0(SALU_CYCLE_1)
	s_or_b32 exec_lo, exec_lo, s15
.LBB281_1392:                           ;   in Loop: Header=BB281_1005 Depth=1
	s_delay_alu instid0(SALU_CYCLE_1)
	s_or_b32 exec_lo, exec_lo, s14
	v_mov_b32_e32 v0, 0
	s_mov_b32 s14, exec_lo
	v_cmpx_lt_u64_e64 s[2:3], v[38:39]
	s_cbranch_execz .LBB281_1400
; %bb.1393:                             ;   in Loop: Header=BB281_1005 Depth=1
	v_lshrrev_b32_e32 v6, 24, v39
	v_bfrev_b32_e32 v0, 1
	s_mov_b32 s15, exec_lo
	s_delay_alu instid0(VALU_DEP_2)
	v_cmpx_ne_u32_e32 0x80, v6
	s_cbranch_execz .LBB281_1399
; %bb.1394:                             ;   in Loop: Header=BB281_1005 Depth=1
	v_and_b32_e32 v23, 0x7f, v6
	v_mov_b32_e32 v0, 0x7c010000
	s_mov_b32 s16, exec_lo
	s_delay_alu instid0(VALU_DEP_2)
	v_cmpx_ne_u32_e32 0x7f, v23
	s_cbranch_execz .LBB281_1398
; %bb.1395:                             ;   in Loop: Header=BB281_1005 Depth=1
	v_dual_lshrrev_b32 v22, 3, v23 :: v_dual_bitop2_b32 v0, 7, v6 bitop3:0x40
	s_mov_b32 s17, exec_lo
	v_cmpx_gt_u32_e32 8, v23
; %bb.1396:                             ;   in Loop: Header=BB281_1005 Depth=1
	s_delay_alu instid0(VALU_DEP_2) | instskip(NEXT) | instid1(VALU_DEP_1)
	v_clz_i32_u32_e32 v0, v0
	v_min_u32_e32 v0, 32, v0
	s_delay_alu instid0(VALU_DEP_1) | instskip(NEXT) | instid1(VALU_DEP_1)
	v_subrev_nc_u32_e32 v22, 28, v0
	v_lshlrev_b64_e32 v[38:39], v22, v[6:7]
	s_delay_alu instid0(VALU_DEP_1)
	v_dual_sub_nc_u32 v22, 29, v0 :: v_dual_bitop2_b32 v0, 7, v38 bitop3:0x40
; %bb.1397:                             ;   in Loop: Header=BB281_1005 Depth=1
	s_or_b32 exec_lo, exec_lo, s17
	s_delay_alu instid0(VALU_DEP_1) | instskip(NEXT) | instid1(VALU_DEP_2)
	v_dual_lshlrev_b32 v6, 8, v6 :: v_dual_lshlrev_b32 v0, 23, v0
	v_lshl_add_u32 v22, v22, 10, 0x2000
	s_delay_alu instid0(VALU_DEP_1) | instskip(NEXT) | instid1(VALU_DEP_1)
	v_and_or_b32 v6, 0x8000, v6, v22
	v_lshl_or_b32 v0, v6, 16, v0
.LBB281_1398:                           ;   in Loop: Header=BB281_1005 Depth=1
	s_or_b32 exec_lo, exec_lo, s16
.LBB281_1399:                           ;   in Loop: Header=BB281_1005 Depth=1
	s_delay_alu instid0(SALU_CYCLE_1)
	s_or_b32 exec_lo, exec_lo, s15
.LBB281_1400:                           ;   in Loop: Header=BB281_1005 Depth=1
	s_delay_alu instid0(SALU_CYCLE_1) | instskip(SKIP_2) | instid1(VALU_DEP_2)
	s_or_b32 exec_lo, exec_lo, s14
	v_dual_lshrrev_b32 v6, 16, v1 :: v_dual_bitop2_b32 v1, v1, v8 bitop3:0x54
	v_dual_lshrrev_b32 v22, 16, v9 :: v_dual_bitop2_b32 v16, v9, v16 bitop3:0x54
	v_cvt_f32_f16_e32 v9, v6
	v_dual_lshrrev_b32 v18, 16, v19 :: v_dual_bitop2_b32 v6, v0, v18 bitop3:0x54
	s_delay_alu instid0(VALU_DEP_3)
	v_cvt_f32_f16_e32 v8, v22
	v_dual_lshrrev_b32 v22, 16, v0 :: v_dual_bitop2_b32 v19, v19, v17 bitop3:0x54
	v_cvt_f32_f16_e32 v0, v16
	v_cvt_f32_f16_e32 v1, v1
	s_wait_loadcnt_dscnt 0x0
	v_pk_mul_f32 v[8:9], v[36:37], v[8:9] op_sel_hi:[0,1]
	v_cvt_f32_f16_e32 v17, v18
	v_cvt_f32_f16_e32 v16, v22
	;; [unrolled: 1-line block ×4, first 2 shown]
	v_pk_mul_f32 v[0:1], v[36:37], v[0:1] op_sel_hi:[0,1]
	v_cvt_pk_f16_f32 v6, v8, v9
	v_pk_mul_f32 v[8:9], v[36:37], v[16:17] op_sel_hi:[0,1]
	s_delay_alu instid0(VALU_DEP_4) | instskip(NEXT) | instid1(VALU_DEP_4)
	v_pk_mul_f32 v[16:17], v[36:37], v[18:19] op_sel_hi:[0,1]
	v_cvt_pk_f16_f32 v0, v0, v1
	s_delay_alu instid0(VALU_DEP_4) | instskip(NEXT) | instid1(VALU_DEP_4)
	v_and_b32_e32 v19, 0xffff0000, v6
	v_cvt_pk_f16_f32 v8, v8, v9
	v_lshlrev_b32_e32 v36, 16, v6
	v_cvt_pk_f16_f32 v6, v16, v17
	v_lshrrev_b32_e32 v49, 16, v0
	v_and_b32_e32 v50, 0xffff, v0
	v_and_b32_e32 v1, 0xffff0000, v8
	s_delay_alu instid0(VALU_DEP_4) | instskip(SKIP_3) | instid1(VALU_DEP_4)
	v_dual_lshlrev_b32 v0, 16, v8 :: v_dual_lshrrev_b32 v9, 16, v6
	v_and_b32_e32 v6, 0xffff, v6
	v_or_b32_e32 v39, v19, v49
	v_or_b32_e32 v48, v36, v50
	;; [unrolled: 1-line block ×3, first 2 shown]
	s_delay_alu instid0(VALU_DEP_4)
	v_or_b32_e32 v38, v0, v6
	s_and_saveexec_b32 s14, vcc_lo
	s_cbranch_execz .LBB281_1402
; %bb.1401:                             ;   in Loop: Header=BB281_1005 Depth=1
	v_cmp_lt_i32_e64 s0, v68, v13
	s_delay_alu instid0(VALU_DEP_1) | instskip(SKIP_1) | instid1(VALU_DEP_1)
	v_cndmask_b32_e64 v8, 0, v49, s0
	v_cmp_lt_i32_e64 s0, v83, v12
	v_cndmask_b32_e64 v16, 0, v50, s0
	v_cmp_lt_i32_e64 s0, v82, v13
	s_delay_alu instid0(VALU_DEP_1) | instskip(SKIP_1) | instid1(VALU_DEP_1)
	v_cndmask_b32_e64 v17, 0, v19, s0
	v_cmp_lt_i32_e64 s0, v81, v12
	v_cndmask_b32_e64 v18, 0, v36, s0
	v_cmp_lt_i32_e64 s0, v80, v13
	s_delay_alu instid0(VALU_DEP_4) | instskip(NEXT) | instid1(VALU_DEP_2)
	v_or_b32_e32 v39, v8, v17
	v_dual_cndmask_b32 v9, 0, v9, s0 :: v_dual_bitop2_b32 v48, v16, v18 bitop3:0x54
	v_cmp_lt_i32_e64 s0, v71, v12
	s_delay_alu instid0(VALU_DEP_1) | instskip(SKIP_1) | instid1(VALU_DEP_1)
	v_cndmask_b32_e64 v6, 0, v6, s0
	v_cmp_lt_i32_e64 s0, v70, v13
	v_cndmask_b32_e64 v1, 0, v1, s0
	v_cmp_lt_i32_e64 s0, v69, v12
	s_delay_alu instid0(VALU_DEP_1) | instskip(NEXT) | instid1(VALU_DEP_1)
	v_dual_cndmask_b32 v0, 0, v0, s0 :: v_dual_bitop2_b32 v37, v9, v1 bitop3:0x54
	v_or_b32_e32 v38, v6, v0
.LBB281_1402:                           ;   in Loop: Header=BB281_1005 Depth=1
	s_or_b32 exec_lo, exec_lo, s14
	;;#ASMSTART
	v_pk_mul_f16 v0, v96, v39;

	;;#ASMEND
	;;#ASMSTART
	v_pk_mul_f16 v1, v86, v48;

	;;#ASMEND
	;; [unrolled: 4-line block ×4, first 2 shown]
	;;#ASMSTART
	v_pk_add_f16 v0, v0, v1;

	;;#ASMEND
	;;#ASMSTART
	v_pk_add_f16 v0, v0, v6;

	;;#ASMEND
	;; [unrolled: 4-line block ×3, first 2 shown]
	v_and_b32_e32 v1, 0xffff, v0
	v_lshrrev_b32_e32 v0, 16, v0
	;;#ASMSTART
	v_cvt_f32_f16 v114, v1;
	;;#ASMEND
	;;#ASMSTART
	v_cvt_f32_f16 v115, v0;
	;;#ASMEND
	flat_load_b64 v[38:39], v[28:29] offset:1536
	scratch_load_b64 v[0:1], off, s32 offset:192 ; 8-byte Folded Reload
	v_mov_b32_e32 v8, 0
	s_mov_b32 s14, exec_lo
	s_wait_loadcnt 0x0
	flat_load_b32 v36, v[0:1]
	s_wait_dscnt 0x1
	s_wait_xcnt 0x0
	v_and_b32_e32 v0, 0xff, v38
	v_mov_b32_e32 v1, 0
	s_delay_alu instid0(VALU_DEP_2)
	v_cmpx_ne_u16_e32 0, v0
	s_cbranch_execz .LBB281_1410
; %bb.1403:                             ;   in Loop: Header=BB281_1005 Depth=1
	v_mov_b32_e32 v8, 0x8000
	s_mov_b32 s15, exec_lo
	v_cmpx_ne_u16_e32 0x80, v0
	s_cbranch_execz .LBB281_1409
; %bb.1404:                             ;   in Loop: Header=BB281_1005 Depth=1
	v_and_b32_e32 v9, 0x7f, v38
	v_mov_b32_e32 v8, 0x7c01
	s_mov_b32 s16, exec_lo
	s_delay_alu instid0(VALU_DEP_2)
	v_cmpx_ne_u32_e32 0x7f, v9
	s_cbranch_execz .LBB281_1408
; %bb.1405:                             ;   in Loop: Header=BB281_1005 Depth=1
	v_dual_lshrrev_b32 v6, 3, v9 :: v_dual_bitop2_b32 v0, 7, v38 bitop3:0x40
	s_mov_b32 s17, exec_lo
	v_cmpx_gt_u32_e32 8, v9
; %bb.1406:                             ;   in Loop: Header=BB281_1005 Depth=1
	s_delay_alu instid0(VALU_DEP_2) | instskip(NEXT) | instid1(VALU_DEP_1)
	v_clz_i32_u32_e32 v0, v0
	v_min_u32_e32 v0, 32, v0
	s_delay_alu instid0(VALU_DEP_1) | instskip(NEXT) | instid1(VALU_DEP_1)
	v_subrev_nc_u32_e32 v6, 28, v0
	v_lshlrev_b64_e32 v[8:9], v6, v[38:39]
	v_sub_nc_u32_e32 v6, 29, v0
	s_delay_alu instid0(VALU_DEP_2)
	v_and_b32_e32 v0, 7, v8
; %bb.1407:                             ;   in Loop: Header=BB281_1005 Depth=1
	s_or_b32 exec_lo, exec_lo, s17
	s_delay_alu instid0(VALU_DEP_1) | instskip(NEXT) | instid1(VALU_DEP_3)
	v_dual_lshlrev_b32 v8, 8, v38 :: v_dual_lshlrev_b32 v0, 7, v0
	v_lshl_add_u32 v6, v6, 10, 0x2000
	s_delay_alu instid0(VALU_DEP_2) | instskip(NEXT) | instid1(VALU_DEP_2)
	v_and_b32_e32 v8, 0x8000, v8
	v_and_b32_e32 v6, 0xfc00, v6
	s_delay_alu instid0(VALU_DEP_1)
	v_or3_b32 v8, v8, v6, v0
.LBB281_1408:                           ;   in Loop: Header=BB281_1005 Depth=1
	s_or_b32 exec_lo, exec_lo, s16
.LBB281_1409:                           ;   in Loop: Header=BB281_1005 Depth=1
	s_delay_alu instid0(SALU_CYCLE_1)
	s_or_b32 exec_lo, exec_lo, s15
.LBB281_1410:                           ;   in Loop: Header=BB281_1005 Depth=1
	s_delay_alu instid0(SALU_CYCLE_1) | instskip(SKIP_2) | instid1(VALU_DEP_1)
	s_or_b32 exec_lo, exec_lo, s14
	v_lshrrev_b16 v6, 8, v38
	s_mov_b32 s14, exec_lo
	v_cmpx_ne_u16_e32 0, v6
	s_cbranch_execz .LBB281_1418
; %bb.1411:                             ;   in Loop: Header=BB281_1005 Depth=1
	v_bfrev_b32_e32 v1, 1
	s_mov_b32 s15, exec_lo
	v_cmpx_ne_u16_e32 0x80, v6
	s_cbranch_execz .LBB281_1417
; %bb.1412:                             ;   in Loop: Header=BB281_1005 Depth=1
	v_and_b32_e32 v0, 0xffff, v6
	v_mov_b32_e32 v1, 0x7c010000
	s_mov_b32 s16, exec_lo
	s_delay_alu instid0(VALU_DEP_2) | instskip(NEXT) | instid1(VALU_DEP_1)
	v_and_b32_e32 v16, 0x7f, v0
	v_cmpx_ne_u32_e32 0x7f, v16
	s_cbranch_execz .LBB281_1416
; %bb.1413:                             ;   in Loop: Header=BB281_1005 Depth=1
	v_and_b32_e32 v1, 7, v0
	v_lshrrev_b32_e32 v9, 3, v16
	s_mov_b32 s17, exec_lo
	v_cmpx_gt_u32_e32 8, v16
; %bb.1414:                             ;   in Loop: Header=BB281_1005 Depth=1
	s_delay_alu instid0(VALU_DEP_3) | instskip(NEXT) | instid1(VALU_DEP_1)
	v_clz_i32_u32_e32 v1, v1
	v_min_u32_e32 v1, 32, v1
	s_delay_alu instid0(VALU_DEP_1) | instskip(NEXT) | instid1(VALU_DEP_1)
	v_subrev_nc_u32_e32 v9, 28, v1
	v_lshlrev_b64_e32 v[16:17], v9, v[6:7]
	s_delay_alu instid0(VALU_DEP_1)
	v_dual_sub_nc_u32 v9, 29, v1 :: v_dual_bitop2_b32 v1, 7, v16 bitop3:0x40
; %bb.1415:                             ;   in Loop: Header=BB281_1005 Depth=1
	s_or_b32 exec_lo, exec_lo, s17
	s_delay_alu instid0(VALU_DEP_1) | instskip(NEXT) | instid1(VALU_DEP_2)
	v_dual_lshlrev_b32 v0, 8, v0 :: v_dual_lshlrev_b32 v1, 23, v1
	v_lshl_add_u32 v6, v9, 10, 0x2000
	s_delay_alu instid0(VALU_DEP_1) | instskip(NEXT) | instid1(VALU_DEP_1)
	v_and_or_b32 v0, 0x8000, v0, v6
	v_lshl_or_b32 v1, v0, 16, v1
.LBB281_1416:                           ;   in Loop: Header=BB281_1005 Depth=1
	s_or_b32 exec_lo, exec_lo, s16
.LBB281_1417:                           ;   in Loop: Header=BB281_1005 Depth=1
	s_delay_alu instid0(SALU_CYCLE_1)
	s_or_b32 exec_lo, exec_lo, s15
.LBB281_1418:                           ;   in Loop: Header=BB281_1005 Depth=1
	s_delay_alu instid0(SALU_CYCLE_1) | instskip(SKIP_3) | instid1(VALU_DEP_2)
	s_or_b32 exec_lo, exec_lo, s14
	v_dual_mov_b32 v9, 0 :: v_dual_lshrrev_b32 v0, 16, v38
	v_mov_b32_e32 v16, 0
	s_mov_b32 s14, exec_lo
	v_and_b32_e32 v6, 0xff, v0
	s_delay_alu instid0(VALU_DEP_1)
	v_cmpx_ne_u16_e32 0, v6
	s_cbranch_execz .LBB281_1426
; %bb.1419:                             ;   in Loop: Header=BB281_1005 Depth=1
	v_mov_b32_e32 v16, 0x8000
	s_mov_b32 s15, exec_lo
	v_cmpx_ne_u16_e32 0x80, v6
	s_cbranch_execz .LBB281_1425
; %bb.1420:                             ;   in Loop: Header=BB281_1005 Depth=1
	v_bfe_u32 v17, v38, 16, 7
	v_mov_b32_e32 v16, 0x7c01
	s_mov_b32 s16, exec_lo
	s_delay_alu instid0(VALU_DEP_2)
	v_cmpx_ne_u32_e32 0x7f, v17
	s_cbranch_execz .LBB281_1424
; %bb.1421:                             ;   in Loop: Header=BB281_1005 Depth=1
	v_dual_lshrrev_b32 v16, 3, v17 :: v_dual_bitop2_b32 v6, 7, v0 bitop3:0x40
	s_mov_b32 s17, exec_lo
	v_cmpx_gt_u32_e32 8, v17
; %bb.1422:                             ;   in Loop: Header=BB281_1005 Depth=1
	s_delay_alu instid0(VALU_DEP_2) | instskip(NEXT) | instid1(VALU_DEP_1)
	v_clz_i32_u32_e32 v6, v6
	v_min_u32_e32 v6, 32, v6
	s_delay_alu instid0(VALU_DEP_1) | instskip(NEXT) | instid1(VALU_DEP_1)
	v_subrev_nc_u32_e32 v16, 28, v6
	v_lshlrev_b64_e32 v[18:19], v16, v[0:1]
	v_sub_nc_u32_e32 v16, 29, v6
	s_delay_alu instid0(VALU_DEP_2)
	v_and_b32_e32 v6, 7, v18
; %bb.1423:                             ;   in Loop: Header=BB281_1005 Depth=1
	s_or_b32 exec_lo, exec_lo, s17
	s_delay_alu instid0(VALU_DEP_1) | instskip(NEXT) | instid1(VALU_DEP_3)
	v_dual_lshlrev_b32 v0, 8, v0 :: v_dual_lshlrev_b32 v6, 7, v6
	v_lshl_add_u32 v16, v16, 10, 0x2000
	s_delay_alu instid0(VALU_DEP_2) | instskip(NEXT) | instid1(VALU_DEP_2)
	v_and_b32_e32 v0, 0x8000, v0
	v_and_b32_e32 v16, 0xfc00, v16
	s_delay_alu instid0(VALU_DEP_1)
	v_or3_b32 v16, v0, v16, v6
.LBB281_1424:                           ;   in Loop: Header=BB281_1005 Depth=1
	s_or_b32 exec_lo, exec_lo, s16
.LBB281_1425:                           ;   in Loop: Header=BB281_1005 Depth=1
	s_delay_alu instid0(SALU_CYCLE_1)
	s_or_b32 exec_lo, exec_lo, s15
.LBB281_1426:                           ;   in Loop: Header=BB281_1005 Depth=1
	s_delay_alu instid0(SALU_CYCLE_1) | instskip(NEXT) | instid1(SALU_CYCLE_1)
	s_or_b32 exec_lo, exec_lo, s14
	s_mov_b32 s14, exec_lo
	v_cmpx_lt_u32_e32 0xffffff, v38
	s_cbranch_execz .LBB281_1434
; %bb.1427:                             ;   in Loop: Header=BB281_1005 Depth=1
	v_lshrrev_b32_e32 v6, 24, v38
	v_bfrev_b32_e32 v9, 1
	s_mov_b32 s15, exec_lo
	s_delay_alu instid0(VALU_DEP_2)
	v_cmpx_ne_u32_e32 0x80, v6
	s_cbranch_execz .LBB281_1433
; %bb.1428:                             ;   in Loop: Header=BB281_1005 Depth=1
	v_and_b32_e32 v17, 0x7f, v6
	v_mov_b32_e32 v9, 0x7c010000
	s_mov_b32 s16, exec_lo
	s_delay_alu instid0(VALU_DEP_2)
	v_cmpx_ne_u32_e32 0x7f, v17
	s_cbranch_execz .LBB281_1432
; %bb.1429:                             ;   in Loop: Header=BB281_1005 Depth=1
	v_dual_lshrrev_b32 v9, 3, v17 :: v_dual_bitop2_b32 v0, 7, v6 bitop3:0x40
	s_mov_b32 s17, exec_lo
	v_cmpx_gt_u32_e32 8, v17
; %bb.1430:                             ;   in Loop: Header=BB281_1005 Depth=1
	s_delay_alu instid0(VALU_DEP_2) | instskip(NEXT) | instid1(VALU_DEP_1)
	v_clz_i32_u32_e32 v0, v0
	v_min_u32_e32 v0, 32, v0
	s_delay_alu instid0(VALU_DEP_1) | instskip(NEXT) | instid1(VALU_DEP_1)
	v_subrev_nc_u32_e32 v9, 28, v0
	v_lshlrev_b64_e32 v[18:19], v9, v[6:7]
	s_delay_alu instid0(VALU_DEP_1)
	v_dual_sub_nc_u32 v9, 29, v0 :: v_dual_bitop2_b32 v0, 7, v18 bitop3:0x40
; %bb.1431:                             ;   in Loop: Header=BB281_1005 Depth=1
	s_or_b32 exec_lo, exec_lo, s17
	s_delay_alu instid0(VALU_DEP_1) | instskip(NEXT) | instid1(VALU_DEP_2)
	v_dual_lshlrev_b32 v6, 8, v6 :: v_dual_lshlrev_b32 v0, 23, v0
	v_lshl_add_u32 v9, v9, 10, 0x2000
	s_delay_alu instid0(VALU_DEP_1) | instskip(NEXT) | instid1(VALU_DEP_1)
	v_and_or_b32 v6, 0x8000, v6, v9
	v_lshl_or_b32 v9, v6, 16, v0
.LBB281_1432:                           ;   in Loop: Header=BB281_1005 Depth=1
	s_or_b32 exec_lo, exec_lo, s16
.LBB281_1433:                           ;   in Loop: Header=BB281_1005 Depth=1
	s_delay_alu instid0(SALU_CYCLE_1)
	s_or_b32 exec_lo, exec_lo, s15
.LBB281_1434:                           ;   in Loop: Header=BB281_1005 Depth=1
	s_delay_alu instid0(SALU_CYCLE_1) | instskip(SKIP_4) | instid1(VALU_DEP_3)
	s_or_b32 exec_lo, exec_lo, s14
	v_and_b32_e32 v0, 0xff, v39
	v_dual_mov_b32 v6, v39 :: v_dual_mov_b32 v18, 0
	v_mov_b32_e32 v17, 0
	s_mov_b32 s14, exec_lo
	v_cmpx_ne_u16_e32 0, v0
	s_cbranch_execz .LBB281_1442
; %bb.1435:                             ;   in Loop: Header=BB281_1005 Depth=1
	v_mov_b32_e32 v17, 0x8000
	s_mov_b32 s15, exec_lo
	v_cmpx_ne_u16_e32 0x80, v0
	s_cbranch_execz .LBB281_1441
; %bb.1436:                             ;   in Loop: Header=BB281_1005 Depth=1
	v_and_b32_e32 v19, 0x7f, v39
	v_mov_b32_e32 v17, 0x7c01
	s_mov_b32 s16, exec_lo
	s_delay_alu instid0(VALU_DEP_2)
	v_cmpx_ne_u32_e32 0x7f, v19
	s_cbranch_execz .LBB281_1440
; %bb.1437:                             ;   in Loop: Header=BB281_1005 Depth=1
	v_and_b32_e32 v0, 7, v39
	v_lshrrev_b32_e32 v17, 3, v19
	s_mov_b32 s17, exec_lo
	v_cmpx_gt_u32_e32 8, v19
; %bb.1438:                             ;   in Loop: Header=BB281_1005 Depth=1
	s_delay_alu instid0(VALU_DEP_3) | instskip(NEXT) | instid1(VALU_DEP_1)
	v_clz_i32_u32_e32 v0, v0
	v_min_u32_e32 v0, 32, v0
	s_delay_alu instid0(VALU_DEP_1) | instskip(NEXT) | instid1(VALU_DEP_1)
	v_subrev_nc_u32_e32 v17, 28, v0
	v_lshlrev_b64_e32 v[22:23], v17, v[6:7]
	s_delay_alu instid0(VALU_DEP_1)
	v_dual_sub_nc_u32 v17, 29, v0 :: v_dual_bitop2_b32 v0, 7, v22 bitop3:0x40
; %bb.1439:                             ;   in Loop: Header=BB281_1005 Depth=1
	s_or_b32 exec_lo, exec_lo, s17
	s_delay_alu instid0(VALU_DEP_1) | instskip(NEXT) | instid1(VALU_DEP_2)
	v_dual_lshlrev_b32 v19, 8, v39 :: v_dual_lshlrev_b32 v0, 7, v0
	v_lshl_add_u32 v17, v17, 10, 0x2000
	s_delay_alu instid0(VALU_DEP_2) | instskip(NEXT) | instid1(VALU_DEP_2)
	v_and_b32_e32 v19, 0x8000, v19
	v_and_b32_e32 v17, 0xfc00, v17
	s_delay_alu instid0(VALU_DEP_1)
	v_or3_b32 v17, v19, v17, v0
.LBB281_1440:                           ;   in Loop: Header=BB281_1005 Depth=1
	s_or_b32 exec_lo, exec_lo, s16
.LBB281_1441:                           ;   in Loop: Header=BB281_1005 Depth=1
	s_delay_alu instid0(SALU_CYCLE_1)
	s_or_b32 exec_lo, exec_lo, s15
.LBB281_1442:                           ;   in Loop: Header=BB281_1005 Depth=1
	s_delay_alu instid0(SALU_CYCLE_1) | instskip(SKIP_3) | instid1(VALU_DEP_2)
	s_or_b32 exec_lo, exec_lo, s14
	v_lshrrev_b16 v6, 8, v6
	v_mov_b32_e32 v19, 0
	s_mov_b32 s14, exec_lo
	v_cmpx_ne_u16_e32 0, v6
	s_cbranch_execz .LBB281_1450
; %bb.1443:                             ;   in Loop: Header=BB281_1005 Depth=1
	v_bfrev_b32_e32 v19, 1
	s_mov_b32 s15, exec_lo
	v_cmpx_ne_u16_e32 0x80, v6
	s_cbranch_execz .LBB281_1449
; %bb.1444:                             ;   in Loop: Header=BB281_1005 Depth=1
	v_and_b32_e32 v0, 0xffff, v6
	v_mov_b32_e32 v19, 0x7c010000
	s_mov_b32 s16, exec_lo
	s_delay_alu instid0(VALU_DEP_2) | instskip(NEXT) | instid1(VALU_DEP_1)
	v_and_b32_e32 v23, 0x7f, v0
	v_cmpx_ne_u32_e32 0x7f, v23
	s_cbranch_execz .LBB281_1448
; %bb.1445:                             ;   in Loop: Header=BB281_1005 Depth=1
	v_dual_lshrrev_b32 v22, 3, v23 :: v_dual_bitop2_b32 v19, 7, v0 bitop3:0x40
	s_mov_b32 s17, exec_lo
	v_cmpx_gt_u32_e32 8, v23
; %bb.1446:                             ;   in Loop: Header=BB281_1005 Depth=1
	s_delay_alu instid0(VALU_DEP_2) | instskip(NEXT) | instid1(VALU_DEP_1)
	v_clz_i32_u32_e32 v19, v19
	v_min_u32_e32 v19, 32, v19
	s_delay_alu instid0(VALU_DEP_1) | instskip(NEXT) | instid1(VALU_DEP_1)
	v_subrev_nc_u32_e32 v22, 28, v19
	v_lshlrev_b64_e32 v[48:49], v22, v[6:7]
	s_delay_alu instid0(VALU_DEP_1)
	v_dual_sub_nc_u32 v22, 29, v19 :: v_dual_bitop2_b32 v19, 7, v48 bitop3:0x40
; %bb.1447:                             ;   in Loop: Header=BB281_1005 Depth=1
	s_or_b32 exec_lo, exec_lo, s17
	v_lshlrev_b32_e32 v0, 8, v0
	s_delay_alu instid0(VALU_DEP_2) | instskip(NEXT) | instid1(VALU_DEP_1)
	v_lshl_add_u32 v6, v22, 10, 0x2000
	v_and_or_b32 v0, 0x8000, v0, v6
	v_lshlrev_b32_e32 v6, 23, v19
	s_delay_alu instid0(VALU_DEP_1)
	v_lshl_or_b32 v19, v0, 16, v6
.LBB281_1448:                           ;   in Loop: Header=BB281_1005 Depth=1
	s_or_b32 exec_lo, exec_lo, s16
.LBB281_1449:                           ;   in Loop: Header=BB281_1005 Depth=1
	s_delay_alu instid0(SALU_CYCLE_1)
	s_or_b32 exec_lo, exec_lo, s15
.LBB281_1450:                           ;   in Loop: Header=BB281_1005 Depth=1
	s_delay_alu instid0(SALU_CYCLE_1) | instskip(SKIP_2) | instid1(VALU_DEP_1)
	s_or_b32 exec_lo, exec_lo, s14
	v_lshrrev_b32_e32 v0, 16, v39
	s_mov_b32 s14, exec_lo
	v_and_b32_e32 v6, 0xff, v0
	s_delay_alu instid0(VALU_DEP_1)
	v_cmpx_ne_u16_e32 0, v6
	s_cbranch_execz .LBB281_1458
; %bb.1451:                             ;   in Loop: Header=BB281_1005 Depth=1
	v_mov_b32_e32 v18, 0x8000
	s_mov_b32 s15, exec_lo
	v_cmpx_ne_u16_e32 0x80, v6
	s_cbranch_execz .LBB281_1457
; %bb.1452:                             ;   in Loop: Header=BB281_1005 Depth=1
	v_bfe_u32 v22, v39, 16, 7
	v_mov_b32_e32 v18, 0x7c01
	s_mov_b32 s16, exec_lo
	s_delay_alu instid0(VALU_DEP_2)
	v_cmpx_ne_u32_e32 0x7f, v22
	s_cbranch_execz .LBB281_1456
; %bb.1453:                             ;   in Loop: Header=BB281_1005 Depth=1
	v_dual_lshrrev_b32 v18, 3, v22 :: v_dual_bitop2_b32 v6, 7, v0 bitop3:0x40
	s_mov_b32 s17, exec_lo
	v_cmpx_gt_u32_e32 8, v22
; %bb.1454:                             ;   in Loop: Header=BB281_1005 Depth=1
	s_delay_alu instid0(VALU_DEP_2) | instskip(NEXT) | instid1(VALU_DEP_1)
	v_clz_i32_u32_e32 v6, v6
	v_min_u32_e32 v6, 32, v6
	s_delay_alu instid0(VALU_DEP_1) | instskip(NEXT) | instid1(VALU_DEP_1)
	v_subrev_nc_u32_e32 v18, 28, v6
	v_lshlrev_b64_e32 v[22:23], v18, v[0:1]
	v_sub_nc_u32_e32 v18, 29, v6
	s_delay_alu instid0(VALU_DEP_2)
	v_and_b32_e32 v6, 7, v22
; %bb.1455:                             ;   in Loop: Header=BB281_1005 Depth=1
	s_or_b32 exec_lo, exec_lo, s17
	s_delay_alu instid0(VALU_DEP_1) | instskip(NEXT) | instid1(VALU_DEP_3)
	v_dual_lshlrev_b32 v0, 8, v0 :: v_dual_lshlrev_b32 v6, 7, v6
	v_lshl_add_u32 v18, v18, 10, 0x2000
	s_delay_alu instid0(VALU_DEP_2) | instskip(NEXT) | instid1(VALU_DEP_2)
	v_and_b32_e32 v0, 0x8000, v0
	v_and_b32_e32 v18, 0xfc00, v18
	s_delay_alu instid0(VALU_DEP_1)
	v_or3_b32 v18, v0, v18, v6
.LBB281_1456:                           ;   in Loop: Header=BB281_1005 Depth=1
	s_or_b32 exec_lo, exec_lo, s16
.LBB281_1457:                           ;   in Loop: Header=BB281_1005 Depth=1
	s_delay_alu instid0(SALU_CYCLE_1)
	s_or_b32 exec_lo, exec_lo, s15
.LBB281_1458:                           ;   in Loop: Header=BB281_1005 Depth=1
	s_delay_alu instid0(SALU_CYCLE_1)
	s_or_b32 exec_lo, exec_lo, s14
	v_mov_b32_e32 v0, 0
	s_mov_b32 s14, exec_lo
	v_cmpx_lt_u64_e64 s[2:3], v[38:39]
	s_cbranch_execz .LBB281_1466
; %bb.1459:                             ;   in Loop: Header=BB281_1005 Depth=1
	v_lshrrev_b32_e32 v6, 24, v39
	v_bfrev_b32_e32 v0, 1
	s_mov_b32 s15, exec_lo
	s_delay_alu instid0(VALU_DEP_2)
	v_cmpx_ne_u32_e32 0x80, v6
	s_cbranch_execz .LBB281_1465
; %bb.1460:                             ;   in Loop: Header=BB281_1005 Depth=1
	v_and_b32_e32 v23, 0x7f, v6
	v_mov_b32_e32 v0, 0x7c010000
	s_mov_b32 s16, exec_lo
	s_delay_alu instid0(VALU_DEP_2)
	v_cmpx_ne_u32_e32 0x7f, v23
	s_cbranch_execz .LBB281_1464
; %bb.1461:                             ;   in Loop: Header=BB281_1005 Depth=1
	v_dual_lshrrev_b32 v22, 3, v23 :: v_dual_bitop2_b32 v0, 7, v6 bitop3:0x40
	s_mov_b32 s17, exec_lo
	v_cmpx_gt_u32_e32 8, v23
; %bb.1462:                             ;   in Loop: Header=BB281_1005 Depth=1
	s_delay_alu instid0(VALU_DEP_2) | instskip(NEXT) | instid1(VALU_DEP_1)
	v_clz_i32_u32_e32 v0, v0
	v_min_u32_e32 v0, 32, v0
	s_delay_alu instid0(VALU_DEP_1) | instskip(NEXT) | instid1(VALU_DEP_1)
	v_subrev_nc_u32_e32 v22, 28, v0
	v_lshlrev_b64_e32 v[38:39], v22, v[6:7]
	s_delay_alu instid0(VALU_DEP_1)
	v_dual_sub_nc_u32 v22, 29, v0 :: v_dual_bitop2_b32 v0, 7, v38 bitop3:0x40
; %bb.1463:                             ;   in Loop: Header=BB281_1005 Depth=1
	s_or_b32 exec_lo, exec_lo, s17
	s_delay_alu instid0(VALU_DEP_1) | instskip(NEXT) | instid1(VALU_DEP_2)
	v_dual_lshlrev_b32 v6, 8, v6 :: v_dual_lshlrev_b32 v0, 23, v0
	v_lshl_add_u32 v22, v22, 10, 0x2000
	s_delay_alu instid0(VALU_DEP_1) | instskip(NEXT) | instid1(VALU_DEP_1)
	v_and_or_b32 v6, 0x8000, v6, v22
	v_lshl_or_b32 v0, v6, 16, v0
.LBB281_1464:                           ;   in Loop: Header=BB281_1005 Depth=1
	s_or_b32 exec_lo, exec_lo, s16
.LBB281_1465:                           ;   in Loop: Header=BB281_1005 Depth=1
	s_delay_alu instid0(SALU_CYCLE_1)
	s_or_b32 exec_lo, exec_lo, s15
.LBB281_1466:                           ;   in Loop: Header=BB281_1005 Depth=1
	s_delay_alu instid0(SALU_CYCLE_1) | instskip(SKIP_2) | instid1(VALU_DEP_2)
	s_or_b32 exec_lo, exec_lo, s14
	v_dual_lshrrev_b32 v6, 16, v1 :: v_dual_bitop2_b32 v1, v1, v8 bitop3:0x54
	v_dual_lshrrev_b32 v22, 16, v9 :: v_dual_bitop2_b32 v16, v9, v16 bitop3:0x54
	v_cvt_f32_f16_e32 v9, v6
	v_dual_lshrrev_b32 v18, 16, v19 :: v_dual_bitop2_b32 v6, v0, v18 bitop3:0x54
	s_delay_alu instid0(VALU_DEP_3)
	v_cvt_f32_f16_e32 v8, v22
	v_dual_lshrrev_b32 v22, 16, v0 :: v_dual_bitop2_b32 v19, v19, v17 bitop3:0x54
	v_cvt_f32_f16_e32 v0, v16
	v_cvt_f32_f16_e32 v1, v1
	s_wait_loadcnt_dscnt 0x0
	v_pk_mul_f32 v[8:9], v[36:37], v[8:9] op_sel_hi:[0,1]
	v_cvt_f32_f16_e32 v17, v18
	v_cvt_f32_f16_e32 v16, v22
	;; [unrolled: 1-line block ×4, first 2 shown]
	v_pk_mul_f32 v[0:1], v[36:37], v[0:1] op_sel_hi:[0,1]
	v_cvt_pk_f16_f32 v6, v8, v9
	v_pk_mul_f32 v[8:9], v[36:37], v[16:17] op_sel_hi:[0,1]
	s_delay_alu instid0(VALU_DEP_4) | instskip(NEXT) | instid1(VALU_DEP_4)
	v_pk_mul_f32 v[16:17], v[36:37], v[18:19] op_sel_hi:[0,1]
	v_cvt_pk_f16_f32 v0, v0, v1
	s_delay_alu instid0(VALU_DEP_4) | instskip(NEXT) | instid1(VALU_DEP_4)
	v_and_b32_e32 v19, 0xffff0000, v6
	v_cvt_pk_f16_f32 v8, v8, v9
	v_lshlrev_b32_e32 v36, 16, v6
	v_cvt_pk_f16_f32 v6, v16, v17
	v_lshrrev_b32_e32 v49, 16, v0
	v_and_b32_e32 v50, 0xffff, v0
	v_and_b32_e32 v1, 0xffff0000, v8
	s_delay_alu instid0(VALU_DEP_4) | instskip(SKIP_3) | instid1(VALU_DEP_4)
	v_dual_lshlrev_b32 v0, 16, v8 :: v_dual_lshrrev_b32 v9, 16, v6
	v_and_b32_e32 v6, 0xffff, v6
	v_or_b32_e32 v39, v19, v49
	v_or_b32_e32 v48, v36, v50
	;; [unrolled: 1-line block ×3, first 2 shown]
	s_delay_alu instid0(VALU_DEP_4)
	v_or_b32_e32 v38, v0, v6
	s_and_saveexec_b32 s14, vcc_lo
	s_cbranch_execz .LBB281_1468
; %bb.1467:                             ;   in Loop: Header=BB281_1005 Depth=1
	v_cmp_lt_i32_e64 s0, v68, v13
	s_delay_alu instid0(VALU_DEP_1) | instskip(SKIP_1) | instid1(VALU_DEP_1)
	v_cndmask_b32_e64 v8, 0, v49, s0
	v_cmp_lt_i32_e64 s0, v83, v12
	v_cndmask_b32_e64 v16, 0, v50, s0
	v_cmp_lt_i32_e64 s0, v82, v13
	s_delay_alu instid0(VALU_DEP_1) | instskip(SKIP_1) | instid1(VALU_DEP_1)
	v_cndmask_b32_e64 v17, 0, v19, s0
	v_cmp_lt_i32_e64 s0, v81, v12
	v_cndmask_b32_e64 v18, 0, v36, s0
	v_cmp_lt_i32_e64 s0, v80, v13
	s_delay_alu instid0(VALU_DEP_4) | instskip(NEXT) | instid1(VALU_DEP_2)
	v_or_b32_e32 v39, v8, v17
	v_dual_cndmask_b32 v9, 0, v9, s0 :: v_dual_bitop2_b32 v48, v16, v18 bitop3:0x54
	v_cmp_lt_i32_e64 s0, v71, v12
	s_delay_alu instid0(VALU_DEP_1) | instskip(SKIP_1) | instid1(VALU_DEP_1)
	v_cndmask_b32_e64 v6, 0, v6, s0
	v_cmp_lt_i32_e64 s0, v70, v13
	v_cndmask_b32_e64 v1, 0, v1, s0
	v_cmp_lt_i32_e64 s0, v69, v12
	s_delay_alu instid0(VALU_DEP_1) | instskip(NEXT) | instid1(VALU_DEP_1)
	v_dual_cndmask_b32 v0, 0, v0, s0 :: v_dual_bitop2_b32 v37, v9, v1 bitop3:0x54
	v_or_b32_e32 v38, v6, v0
.LBB281_1468:                           ;   in Loop: Header=BB281_1005 Depth=1
	s_or_b32 exec_lo, exec_lo, s14
	;;#ASMSTART
	v_pk_mul_f16 v0, v96, v39;

	;;#ASMEND
	;;#ASMSTART
	v_pk_mul_f16 v1, v86, v48;

	;;#ASMEND
	;; [unrolled: 4-line block ×4, first 2 shown]
	;;#ASMSTART
	v_pk_add_f16 v0, v0, v1;

	;;#ASMEND
	;;#ASMSTART
	v_pk_add_f16 v0, v0, v6;

	;;#ASMEND
	;; [unrolled: 4-line block ×3, first 2 shown]
	v_and_b32_e32 v1, 0xffff, v0
	v_lshrrev_b32_e32 v0, 16, v0
	;;#ASMSTART
	v_cvt_f32_f16 v116, v1;
	;;#ASMEND
	;;#ASMSTART
	v_cvt_f32_f16 v117, v0;
	;;#ASMEND
	flat_load_b64 v[38:39], v[28:29] offset:1792
	scratch_load_b64 v[0:1], off, s32 offset:192 ; 8-byte Folded Reload
	v_mov_b32_e32 v8, 0
	s_mov_b32 s14, exec_lo
	s_wait_loadcnt 0x0
	flat_load_b32 v36, v[0:1]
	s_wait_dscnt 0x1
	s_wait_xcnt 0x0
	v_and_b32_e32 v0, 0xff, v38
	v_mov_b32_e32 v1, 0
	s_delay_alu instid0(VALU_DEP_2)
	v_cmpx_ne_u16_e32 0, v0
	s_cbranch_execz .LBB281_1476
; %bb.1469:                             ;   in Loop: Header=BB281_1005 Depth=1
	v_mov_b32_e32 v8, 0x8000
	s_mov_b32 s15, exec_lo
	v_cmpx_ne_u16_e32 0x80, v0
	s_cbranch_execz .LBB281_1475
; %bb.1470:                             ;   in Loop: Header=BB281_1005 Depth=1
	v_and_b32_e32 v9, 0x7f, v38
	v_mov_b32_e32 v8, 0x7c01
	s_mov_b32 s16, exec_lo
	s_delay_alu instid0(VALU_DEP_2)
	v_cmpx_ne_u32_e32 0x7f, v9
	s_cbranch_execz .LBB281_1474
; %bb.1471:                             ;   in Loop: Header=BB281_1005 Depth=1
	v_dual_lshrrev_b32 v6, 3, v9 :: v_dual_bitop2_b32 v0, 7, v38 bitop3:0x40
	s_mov_b32 s17, exec_lo
	v_cmpx_gt_u32_e32 8, v9
; %bb.1472:                             ;   in Loop: Header=BB281_1005 Depth=1
	s_delay_alu instid0(VALU_DEP_2) | instskip(NEXT) | instid1(VALU_DEP_1)
	v_clz_i32_u32_e32 v0, v0
	v_min_u32_e32 v0, 32, v0
	s_delay_alu instid0(VALU_DEP_1) | instskip(NEXT) | instid1(VALU_DEP_1)
	v_subrev_nc_u32_e32 v6, 28, v0
	v_lshlrev_b64_e32 v[8:9], v6, v[38:39]
	v_sub_nc_u32_e32 v6, 29, v0
	s_delay_alu instid0(VALU_DEP_2)
	v_and_b32_e32 v0, 7, v8
; %bb.1473:                             ;   in Loop: Header=BB281_1005 Depth=1
	s_or_b32 exec_lo, exec_lo, s17
	s_delay_alu instid0(VALU_DEP_1) | instskip(NEXT) | instid1(VALU_DEP_3)
	v_dual_lshlrev_b32 v8, 8, v38 :: v_dual_lshlrev_b32 v0, 7, v0
	v_lshl_add_u32 v6, v6, 10, 0x2000
	s_delay_alu instid0(VALU_DEP_2) | instskip(NEXT) | instid1(VALU_DEP_2)
	v_and_b32_e32 v8, 0x8000, v8
	v_and_b32_e32 v6, 0xfc00, v6
	s_delay_alu instid0(VALU_DEP_1)
	v_or3_b32 v8, v8, v6, v0
.LBB281_1474:                           ;   in Loop: Header=BB281_1005 Depth=1
	s_or_b32 exec_lo, exec_lo, s16
.LBB281_1475:                           ;   in Loop: Header=BB281_1005 Depth=1
	s_delay_alu instid0(SALU_CYCLE_1)
	s_or_b32 exec_lo, exec_lo, s15
.LBB281_1476:                           ;   in Loop: Header=BB281_1005 Depth=1
	s_delay_alu instid0(SALU_CYCLE_1) | instskip(SKIP_2) | instid1(VALU_DEP_1)
	s_or_b32 exec_lo, exec_lo, s14
	v_lshrrev_b16 v6, 8, v38
	s_mov_b32 s14, exec_lo
	v_cmpx_ne_u16_e32 0, v6
	s_cbranch_execz .LBB281_1484
; %bb.1477:                             ;   in Loop: Header=BB281_1005 Depth=1
	v_bfrev_b32_e32 v1, 1
	s_mov_b32 s15, exec_lo
	v_cmpx_ne_u16_e32 0x80, v6
	s_cbranch_execz .LBB281_1483
; %bb.1478:                             ;   in Loop: Header=BB281_1005 Depth=1
	v_and_b32_e32 v0, 0xffff, v6
	v_mov_b32_e32 v1, 0x7c010000
	s_mov_b32 s16, exec_lo
	s_delay_alu instid0(VALU_DEP_2) | instskip(NEXT) | instid1(VALU_DEP_1)
	v_and_b32_e32 v16, 0x7f, v0
	v_cmpx_ne_u32_e32 0x7f, v16
	s_cbranch_execz .LBB281_1482
; %bb.1479:                             ;   in Loop: Header=BB281_1005 Depth=1
	v_and_b32_e32 v1, 7, v0
	v_lshrrev_b32_e32 v9, 3, v16
	s_mov_b32 s17, exec_lo
	v_cmpx_gt_u32_e32 8, v16
; %bb.1480:                             ;   in Loop: Header=BB281_1005 Depth=1
	s_delay_alu instid0(VALU_DEP_3) | instskip(NEXT) | instid1(VALU_DEP_1)
	v_clz_i32_u32_e32 v1, v1
	v_min_u32_e32 v1, 32, v1
	s_delay_alu instid0(VALU_DEP_1) | instskip(NEXT) | instid1(VALU_DEP_1)
	v_subrev_nc_u32_e32 v9, 28, v1
	v_lshlrev_b64_e32 v[16:17], v9, v[6:7]
	s_delay_alu instid0(VALU_DEP_1)
	v_dual_sub_nc_u32 v9, 29, v1 :: v_dual_bitop2_b32 v1, 7, v16 bitop3:0x40
; %bb.1481:                             ;   in Loop: Header=BB281_1005 Depth=1
	s_or_b32 exec_lo, exec_lo, s17
	s_delay_alu instid0(VALU_DEP_1) | instskip(NEXT) | instid1(VALU_DEP_2)
	v_dual_lshlrev_b32 v0, 8, v0 :: v_dual_lshlrev_b32 v1, 23, v1
	v_lshl_add_u32 v6, v9, 10, 0x2000
	s_delay_alu instid0(VALU_DEP_1) | instskip(NEXT) | instid1(VALU_DEP_1)
	v_and_or_b32 v0, 0x8000, v0, v6
	v_lshl_or_b32 v1, v0, 16, v1
.LBB281_1482:                           ;   in Loop: Header=BB281_1005 Depth=1
	s_or_b32 exec_lo, exec_lo, s16
.LBB281_1483:                           ;   in Loop: Header=BB281_1005 Depth=1
	s_delay_alu instid0(SALU_CYCLE_1)
	s_or_b32 exec_lo, exec_lo, s15
.LBB281_1484:                           ;   in Loop: Header=BB281_1005 Depth=1
	s_delay_alu instid0(SALU_CYCLE_1) | instskip(SKIP_3) | instid1(VALU_DEP_2)
	s_or_b32 exec_lo, exec_lo, s14
	v_dual_mov_b32 v9, 0 :: v_dual_lshrrev_b32 v0, 16, v38
	v_mov_b32_e32 v16, 0
	s_mov_b32 s14, exec_lo
	v_and_b32_e32 v6, 0xff, v0
	s_delay_alu instid0(VALU_DEP_1)
	v_cmpx_ne_u16_e32 0, v6
	s_cbranch_execz .LBB281_1492
; %bb.1485:                             ;   in Loop: Header=BB281_1005 Depth=1
	v_mov_b32_e32 v16, 0x8000
	s_mov_b32 s15, exec_lo
	v_cmpx_ne_u16_e32 0x80, v6
	s_cbranch_execz .LBB281_1491
; %bb.1486:                             ;   in Loop: Header=BB281_1005 Depth=1
	v_bfe_u32 v17, v38, 16, 7
	v_mov_b32_e32 v16, 0x7c01
	s_mov_b32 s16, exec_lo
	s_delay_alu instid0(VALU_DEP_2)
	v_cmpx_ne_u32_e32 0x7f, v17
	s_cbranch_execz .LBB281_1490
; %bb.1487:                             ;   in Loop: Header=BB281_1005 Depth=1
	v_dual_lshrrev_b32 v16, 3, v17 :: v_dual_bitop2_b32 v6, 7, v0 bitop3:0x40
	s_mov_b32 s17, exec_lo
	v_cmpx_gt_u32_e32 8, v17
; %bb.1488:                             ;   in Loop: Header=BB281_1005 Depth=1
	s_delay_alu instid0(VALU_DEP_2) | instskip(NEXT) | instid1(VALU_DEP_1)
	v_clz_i32_u32_e32 v6, v6
	v_min_u32_e32 v6, 32, v6
	s_delay_alu instid0(VALU_DEP_1) | instskip(NEXT) | instid1(VALU_DEP_1)
	v_subrev_nc_u32_e32 v16, 28, v6
	v_lshlrev_b64_e32 v[18:19], v16, v[0:1]
	v_sub_nc_u32_e32 v16, 29, v6
	s_delay_alu instid0(VALU_DEP_2)
	v_and_b32_e32 v6, 7, v18
; %bb.1489:                             ;   in Loop: Header=BB281_1005 Depth=1
	s_or_b32 exec_lo, exec_lo, s17
	s_delay_alu instid0(VALU_DEP_1) | instskip(NEXT) | instid1(VALU_DEP_3)
	v_dual_lshlrev_b32 v0, 8, v0 :: v_dual_lshlrev_b32 v6, 7, v6
	v_lshl_add_u32 v16, v16, 10, 0x2000
	s_delay_alu instid0(VALU_DEP_2) | instskip(NEXT) | instid1(VALU_DEP_2)
	v_and_b32_e32 v0, 0x8000, v0
	v_and_b32_e32 v16, 0xfc00, v16
	s_delay_alu instid0(VALU_DEP_1)
	v_or3_b32 v16, v0, v16, v6
.LBB281_1490:                           ;   in Loop: Header=BB281_1005 Depth=1
	s_or_b32 exec_lo, exec_lo, s16
.LBB281_1491:                           ;   in Loop: Header=BB281_1005 Depth=1
	s_delay_alu instid0(SALU_CYCLE_1)
	s_or_b32 exec_lo, exec_lo, s15
.LBB281_1492:                           ;   in Loop: Header=BB281_1005 Depth=1
	s_delay_alu instid0(SALU_CYCLE_1) | instskip(NEXT) | instid1(SALU_CYCLE_1)
	s_or_b32 exec_lo, exec_lo, s14
	s_mov_b32 s14, exec_lo
	v_cmpx_lt_u32_e32 0xffffff, v38
	s_cbranch_execz .LBB281_1500
; %bb.1493:                             ;   in Loop: Header=BB281_1005 Depth=1
	v_lshrrev_b32_e32 v6, 24, v38
	v_bfrev_b32_e32 v9, 1
	s_mov_b32 s15, exec_lo
	s_delay_alu instid0(VALU_DEP_2)
	v_cmpx_ne_u32_e32 0x80, v6
	s_cbranch_execz .LBB281_1499
; %bb.1494:                             ;   in Loop: Header=BB281_1005 Depth=1
	v_and_b32_e32 v17, 0x7f, v6
	v_mov_b32_e32 v9, 0x7c010000
	s_mov_b32 s16, exec_lo
	s_delay_alu instid0(VALU_DEP_2)
	v_cmpx_ne_u32_e32 0x7f, v17
	s_cbranch_execz .LBB281_1498
; %bb.1495:                             ;   in Loop: Header=BB281_1005 Depth=1
	v_dual_lshrrev_b32 v9, 3, v17 :: v_dual_bitop2_b32 v0, 7, v6 bitop3:0x40
	s_mov_b32 s17, exec_lo
	v_cmpx_gt_u32_e32 8, v17
; %bb.1496:                             ;   in Loop: Header=BB281_1005 Depth=1
	s_delay_alu instid0(VALU_DEP_2) | instskip(NEXT) | instid1(VALU_DEP_1)
	v_clz_i32_u32_e32 v0, v0
	v_min_u32_e32 v0, 32, v0
	s_delay_alu instid0(VALU_DEP_1) | instskip(NEXT) | instid1(VALU_DEP_1)
	v_subrev_nc_u32_e32 v9, 28, v0
	v_lshlrev_b64_e32 v[18:19], v9, v[6:7]
	s_delay_alu instid0(VALU_DEP_1)
	v_dual_sub_nc_u32 v9, 29, v0 :: v_dual_bitop2_b32 v0, 7, v18 bitop3:0x40
; %bb.1497:                             ;   in Loop: Header=BB281_1005 Depth=1
	s_or_b32 exec_lo, exec_lo, s17
	s_delay_alu instid0(VALU_DEP_1) | instskip(NEXT) | instid1(VALU_DEP_2)
	v_dual_lshlrev_b32 v6, 8, v6 :: v_dual_lshlrev_b32 v0, 23, v0
	v_lshl_add_u32 v9, v9, 10, 0x2000
	s_delay_alu instid0(VALU_DEP_1) | instskip(NEXT) | instid1(VALU_DEP_1)
	v_and_or_b32 v6, 0x8000, v6, v9
	v_lshl_or_b32 v9, v6, 16, v0
.LBB281_1498:                           ;   in Loop: Header=BB281_1005 Depth=1
	s_or_b32 exec_lo, exec_lo, s16
.LBB281_1499:                           ;   in Loop: Header=BB281_1005 Depth=1
	s_delay_alu instid0(SALU_CYCLE_1)
	s_or_b32 exec_lo, exec_lo, s15
.LBB281_1500:                           ;   in Loop: Header=BB281_1005 Depth=1
	s_delay_alu instid0(SALU_CYCLE_1) | instskip(SKIP_4) | instid1(VALU_DEP_3)
	s_or_b32 exec_lo, exec_lo, s14
	v_and_b32_e32 v0, 0xff, v39
	v_dual_mov_b32 v6, v39 :: v_dual_mov_b32 v18, 0
	v_mov_b32_e32 v17, 0
	s_mov_b32 s14, exec_lo
	v_cmpx_ne_u16_e32 0, v0
	s_cbranch_execz .LBB281_1508
; %bb.1501:                             ;   in Loop: Header=BB281_1005 Depth=1
	v_mov_b32_e32 v17, 0x8000
	s_mov_b32 s15, exec_lo
	v_cmpx_ne_u16_e32 0x80, v0
	s_cbranch_execz .LBB281_1507
; %bb.1502:                             ;   in Loop: Header=BB281_1005 Depth=1
	v_and_b32_e32 v19, 0x7f, v39
	v_mov_b32_e32 v17, 0x7c01
	s_mov_b32 s16, exec_lo
	s_delay_alu instid0(VALU_DEP_2)
	v_cmpx_ne_u32_e32 0x7f, v19
	s_cbranch_execz .LBB281_1506
; %bb.1503:                             ;   in Loop: Header=BB281_1005 Depth=1
	v_and_b32_e32 v0, 7, v39
	v_lshrrev_b32_e32 v17, 3, v19
	s_mov_b32 s17, exec_lo
	v_cmpx_gt_u32_e32 8, v19
; %bb.1504:                             ;   in Loop: Header=BB281_1005 Depth=1
	s_delay_alu instid0(VALU_DEP_3) | instskip(NEXT) | instid1(VALU_DEP_1)
	v_clz_i32_u32_e32 v0, v0
	v_min_u32_e32 v0, 32, v0
	s_delay_alu instid0(VALU_DEP_1) | instskip(NEXT) | instid1(VALU_DEP_1)
	v_subrev_nc_u32_e32 v17, 28, v0
	v_lshlrev_b64_e32 v[22:23], v17, v[6:7]
	s_delay_alu instid0(VALU_DEP_1)
	v_dual_sub_nc_u32 v17, 29, v0 :: v_dual_bitop2_b32 v0, 7, v22 bitop3:0x40
; %bb.1505:                             ;   in Loop: Header=BB281_1005 Depth=1
	s_or_b32 exec_lo, exec_lo, s17
	s_delay_alu instid0(VALU_DEP_1) | instskip(NEXT) | instid1(VALU_DEP_2)
	v_dual_lshlrev_b32 v19, 8, v39 :: v_dual_lshlrev_b32 v0, 7, v0
	v_lshl_add_u32 v17, v17, 10, 0x2000
	s_delay_alu instid0(VALU_DEP_2) | instskip(NEXT) | instid1(VALU_DEP_2)
	v_and_b32_e32 v19, 0x8000, v19
	v_and_b32_e32 v17, 0xfc00, v17
	s_delay_alu instid0(VALU_DEP_1)
	v_or3_b32 v17, v19, v17, v0
.LBB281_1506:                           ;   in Loop: Header=BB281_1005 Depth=1
	s_or_b32 exec_lo, exec_lo, s16
.LBB281_1507:                           ;   in Loop: Header=BB281_1005 Depth=1
	s_delay_alu instid0(SALU_CYCLE_1)
	s_or_b32 exec_lo, exec_lo, s15
.LBB281_1508:                           ;   in Loop: Header=BB281_1005 Depth=1
	s_delay_alu instid0(SALU_CYCLE_1) | instskip(SKIP_3) | instid1(VALU_DEP_2)
	s_or_b32 exec_lo, exec_lo, s14
	v_lshrrev_b16 v6, 8, v6
	v_mov_b32_e32 v19, 0
	s_mov_b32 s14, exec_lo
	v_cmpx_ne_u16_e32 0, v6
	s_cbranch_execz .LBB281_1516
; %bb.1509:                             ;   in Loop: Header=BB281_1005 Depth=1
	v_bfrev_b32_e32 v19, 1
	s_mov_b32 s15, exec_lo
	v_cmpx_ne_u16_e32 0x80, v6
	s_cbranch_execz .LBB281_1515
; %bb.1510:                             ;   in Loop: Header=BB281_1005 Depth=1
	v_and_b32_e32 v0, 0xffff, v6
	v_mov_b32_e32 v19, 0x7c010000
	s_mov_b32 s16, exec_lo
	s_delay_alu instid0(VALU_DEP_2) | instskip(NEXT) | instid1(VALU_DEP_1)
	v_and_b32_e32 v23, 0x7f, v0
	v_cmpx_ne_u32_e32 0x7f, v23
	s_cbranch_execz .LBB281_1514
; %bb.1511:                             ;   in Loop: Header=BB281_1005 Depth=1
	v_dual_lshrrev_b32 v22, 3, v23 :: v_dual_bitop2_b32 v19, 7, v0 bitop3:0x40
	s_mov_b32 s17, exec_lo
	v_cmpx_gt_u32_e32 8, v23
; %bb.1512:                             ;   in Loop: Header=BB281_1005 Depth=1
	s_delay_alu instid0(VALU_DEP_2) | instskip(NEXT) | instid1(VALU_DEP_1)
	v_clz_i32_u32_e32 v19, v19
	v_min_u32_e32 v19, 32, v19
	s_delay_alu instid0(VALU_DEP_1) | instskip(NEXT) | instid1(VALU_DEP_1)
	v_subrev_nc_u32_e32 v22, 28, v19
	v_lshlrev_b64_e32 v[48:49], v22, v[6:7]
	s_delay_alu instid0(VALU_DEP_1)
	v_dual_sub_nc_u32 v22, 29, v19 :: v_dual_bitop2_b32 v19, 7, v48 bitop3:0x40
; %bb.1513:                             ;   in Loop: Header=BB281_1005 Depth=1
	s_or_b32 exec_lo, exec_lo, s17
	v_lshlrev_b32_e32 v0, 8, v0
	s_delay_alu instid0(VALU_DEP_2) | instskip(NEXT) | instid1(VALU_DEP_1)
	v_lshl_add_u32 v6, v22, 10, 0x2000
	v_and_or_b32 v0, 0x8000, v0, v6
	v_lshlrev_b32_e32 v6, 23, v19
	s_delay_alu instid0(VALU_DEP_1)
	v_lshl_or_b32 v19, v0, 16, v6
.LBB281_1514:                           ;   in Loop: Header=BB281_1005 Depth=1
	s_or_b32 exec_lo, exec_lo, s16
.LBB281_1515:                           ;   in Loop: Header=BB281_1005 Depth=1
	s_delay_alu instid0(SALU_CYCLE_1)
	s_or_b32 exec_lo, exec_lo, s15
.LBB281_1516:                           ;   in Loop: Header=BB281_1005 Depth=1
	s_delay_alu instid0(SALU_CYCLE_1) | instskip(SKIP_2) | instid1(VALU_DEP_1)
	s_or_b32 exec_lo, exec_lo, s14
	v_lshrrev_b32_e32 v0, 16, v39
	s_mov_b32 s14, exec_lo
	v_and_b32_e32 v6, 0xff, v0
	s_delay_alu instid0(VALU_DEP_1)
	v_cmpx_ne_u16_e32 0, v6
	s_cbranch_execz .LBB281_1524
; %bb.1517:                             ;   in Loop: Header=BB281_1005 Depth=1
	v_mov_b32_e32 v18, 0x8000
	s_mov_b32 s15, exec_lo
	v_cmpx_ne_u16_e32 0x80, v6
	s_cbranch_execz .LBB281_1523
; %bb.1518:                             ;   in Loop: Header=BB281_1005 Depth=1
	v_bfe_u32 v22, v39, 16, 7
	v_mov_b32_e32 v18, 0x7c01
	s_mov_b32 s16, exec_lo
	s_delay_alu instid0(VALU_DEP_2)
	v_cmpx_ne_u32_e32 0x7f, v22
	s_cbranch_execz .LBB281_1522
; %bb.1519:                             ;   in Loop: Header=BB281_1005 Depth=1
	v_dual_lshrrev_b32 v18, 3, v22 :: v_dual_bitop2_b32 v6, 7, v0 bitop3:0x40
	s_mov_b32 s17, exec_lo
	v_cmpx_gt_u32_e32 8, v22
; %bb.1520:                             ;   in Loop: Header=BB281_1005 Depth=1
	s_delay_alu instid0(VALU_DEP_2) | instskip(NEXT) | instid1(VALU_DEP_1)
	v_clz_i32_u32_e32 v6, v6
	v_min_u32_e32 v6, 32, v6
	s_delay_alu instid0(VALU_DEP_1) | instskip(NEXT) | instid1(VALU_DEP_1)
	v_subrev_nc_u32_e32 v18, 28, v6
	v_lshlrev_b64_e32 v[22:23], v18, v[0:1]
	v_sub_nc_u32_e32 v18, 29, v6
	s_delay_alu instid0(VALU_DEP_2)
	v_and_b32_e32 v6, 7, v22
; %bb.1521:                             ;   in Loop: Header=BB281_1005 Depth=1
	s_or_b32 exec_lo, exec_lo, s17
	s_delay_alu instid0(VALU_DEP_1) | instskip(NEXT) | instid1(VALU_DEP_3)
	v_dual_lshlrev_b32 v0, 8, v0 :: v_dual_lshlrev_b32 v6, 7, v6
	v_lshl_add_u32 v18, v18, 10, 0x2000
	s_delay_alu instid0(VALU_DEP_2) | instskip(NEXT) | instid1(VALU_DEP_2)
	v_and_b32_e32 v0, 0x8000, v0
	v_and_b32_e32 v18, 0xfc00, v18
	s_delay_alu instid0(VALU_DEP_1)
	v_or3_b32 v18, v0, v18, v6
.LBB281_1522:                           ;   in Loop: Header=BB281_1005 Depth=1
	s_or_b32 exec_lo, exec_lo, s16
.LBB281_1523:                           ;   in Loop: Header=BB281_1005 Depth=1
	s_delay_alu instid0(SALU_CYCLE_1)
	s_or_b32 exec_lo, exec_lo, s15
.LBB281_1524:                           ;   in Loop: Header=BB281_1005 Depth=1
	s_delay_alu instid0(SALU_CYCLE_1)
	s_or_b32 exec_lo, exec_lo, s14
	v_mov_b32_e32 v0, 0
	s_mov_b32 s14, exec_lo
	v_cmpx_lt_u64_e64 s[2:3], v[38:39]
	s_cbranch_execz .LBB281_1532
; %bb.1525:                             ;   in Loop: Header=BB281_1005 Depth=1
	v_lshrrev_b32_e32 v6, 24, v39
	v_bfrev_b32_e32 v0, 1
	s_mov_b32 s15, exec_lo
	s_delay_alu instid0(VALU_DEP_2)
	v_cmpx_ne_u32_e32 0x80, v6
	s_cbranch_execz .LBB281_1531
; %bb.1526:                             ;   in Loop: Header=BB281_1005 Depth=1
	v_and_b32_e32 v23, 0x7f, v6
	v_mov_b32_e32 v0, 0x7c010000
	s_mov_b32 s16, exec_lo
	s_delay_alu instid0(VALU_DEP_2)
	v_cmpx_ne_u32_e32 0x7f, v23
	s_cbranch_execz .LBB281_1530
; %bb.1527:                             ;   in Loop: Header=BB281_1005 Depth=1
	v_dual_lshrrev_b32 v22, 3, v23 :: v_dual_bitop2_b32 v0, 7, v6 bitop3:0x40
	s_mov_b32 s17, exec_lo
	v_cmpx_gt_u32_e32 8, v23
; %bb.1528:                             ;   in Loop: Header=BB281_1005 Depth=1
	s_delay_alu instid0(VALU_DEP_2) | instskip(NEXT) | instid1(VALU_DEP_1)
	v_clz_i32_u32_e32 v0, v0
	v_min_u32_e32 v0, 32, v0
	s_delay_alu instid0(VALU_DEP_1) | instskip(NEXT) | instid1(VALU_DEP_1)
	v_subrev_nc_u32_e32 v22, 28, v0
	v_lshlrev_b64_e32 v[38:39], v22, v[6:7]
	s_delay_alu instid0(VALU_DEP_1)
	v_dual_sub_nc_u32 v22, 29, v0 :: v_dual_bitop2_b32 v0, 7, v38 bitop3:0x40
; %bb.1529:                             ;   in Loop: Header=BB281_1005 Depth=1
	s_or_b32 exec_lo, exec_lo, s17
	s_delay_alu instid0(VALU_DEP_1) | instskip(NEXT) | instid1(VALU_DEP_2)
	v_dual_lshlrev_b32 v6, 8, v6 :: v_dual_lshlrev_b32 v0, 23, v0
	v_lshl_add_u32 v22, v22, 10, 0x2000
	s_delay_alu instid0(VALU_DEP_1) | instskip(NEXT) | instid1(VALU_DEP_1)
	v_and_or_b32 v6, 0x8000, v6, v22
	v_lshl_or_b32 v0, v6, 16, v0
.LBB281_1530:                           ;   in Loop: Header=BB281_1005 Depth=1
	s_or_b32 exec_lo, exec_lo, s16
.LBB281_1531:                           ;   in Loop: Header=BB281_1005 Depth=1
	s_delay_alu instid0(SALU_CYCLE_1)
	s_or_b32 exec_lo, exec_lo, s15
.LBB281_1532:                           ;   in Loop: Header=BB281_1005 Depth=1
	s_delay_alu instid0(SALU_CYCLE_1) | instskip(SKIP_2) | instid1(VALU_DEP_2)
	s_or_b32 exec_lo, exec_lo, s14
	v_dual_lshrrev_b32 v6, 16, v1 :: v_dual_bitop2_b32 v1, v1, v8 bitop3:0x54
	v_dual_lshrrev_b32 v22, 16, v9 :: v_dual_bitop2_b32 v16, v9, v16 bitop3:0x54
	v_cvt_f32_f16_e32 v9, v6
	v_dual_lshrrev_b32 v18, 16, v19 :: v_dual_bitop2_b32 v6, v0, v18 bitop3:0x54
	s_delay_alu instid0(VALU_DEP_3)
	v_cvt_f32_f16_e32 v8, v22
	v_dual_lshrrev_b32 v22, 16, v0 :: v_dual_bitop2_b32 v19, v19, v17 bitop3:0x54
	v_cvt_f32_f16_e32 v0, v16
	v_cvt_f32_f16_e32 v1, v1
	s_wait_loadcnt_dscnt 0x0
	v_pk_mul_f32 v[8:9], v[36:37], v[8:9] op_sel_hi:[0,1]
	v_cvt_f32_f16_e32 v17, v18
	v_cvt_f32_f16_e32 v16, v22
	;; [unrolled: 1-line block ×4, first 2 shown]
	v_pk_mul_f32 v[0:1], v[36:37], v[0:1] op_sel_hi:[0,1]
	v_cvt_pk_f16_f32 v6, v8, v9
	v_pk_mul_f32 v[8:9], v[36:37], v[16:17] op_sel_hi:[0,1]
	s_delay_alu instid0(VALU_DEP_4) | instskip(NEXT) | instid1(VALU_DEP_4)
	v_pk_mul_f32 v[16:17], v[36:37], v[18:19] op_sel_hi:[0,1]
	v_cvt_pk_f16_f32 v0, v0, v1
	s_delay_alu instid0(VALU_DEP_4) | instskip(NEXT) | instid1(VALU_DEP_4)
	v_and_b32_e32 v19, 0xffff0000, v6
	v_cvt_pk_f16_f32 v8, v8, v9
	v_lshlrev_b32_e32 v36, 16, v6
	v_cvt_pk_f16_f32 v6, v16, v17
	v_lshrrev_b32_e32 v49, 16, v0
	v_and_b32_e32 v50, 0xffff, v0
	v_and_b32_e32 v1, 0xffff0000, v8
	s_delay_alu instid0(VALU_DEP_4) | instskip(SKIP_3) | instid1(VALU_DEP_4)
	v_dual_lshlrev_b32 v0, 16, v8 :: v_dual_lshrrev_b32 v9, 16, v6
	v_and_b32_e32 v6, 0xffff, v6
	v_or_b32_e32 v39, v19, v49
	v_or_b32_e32 v48, v36, v50
	;; [unrolled: 1-line block ×3, first 2 shown]
	s_delay_alu instid0(VALU_DEP_4)
	v_or_b32_e32 v38, v0, v6
	s_and_saveexec_b32 s14, vcc_lo
	s_cbranch_execz .LBB281_1534
; %bb.1533:                             ;   in Loop: Header=BB281_1005 Depth=1
	v_cmp_lt_i32_e64 s0, v68, v13
	s_delay_alu instid0(VALU_DEP_1) | instskip(SKIP_1) | instid1(VALU_DEP_1)
	v_cndmask_b32_e64 v8, 0, v49, s0
	v_cmp_lt_i32_e64 s0, v83, v12
	v_cndmask_b32_e64 v16, 0, v50, s0
	v_cmp_lt_i32_e64 s0, v82, v13
	s_delay_alu instid0(VALU_DEP_1) | instskip(SKIP_1) | instid1(VALU_DEP_1)
	v_cndmask_b32_e64 v17, 0, v19, s0
	v_cmp_lt_i32_e64 s0, v81, v12
	v_cndmask_b32_e64 v18, 0, v36, s0
	v_cmp_lt_i32_e64 s0, v80, v13
	s_delay_alu instid0(VALU_DEP_4) | instskip(NEXT) | instid1(VALU_DEP_2)
	v_or_b32_e32 v39, v8, v17
	v_dual_cndmask_b32 v9, 0, v9, s0 :: v_dual_bitop2_b32 v48, v16, v18 bitop3:0x54
	v_cmp_lt_i32_e64 s0, v71, v12
	s_delay_alu instid0(VALU_DEP_1) | instskip(SKIP_1) | instid1(VALU_DEP_1)
	v_cndmask_b32_e64 v6, 0, v6, s0
	v_cmp_lt_i32_e64 s0, v70, v13
	v_cndmask_b32_e64 v1, 0, v1, s0
	v_cmp_lt_i32_e64 s0, v69, v12
	s_delay_alu instid0(VALU_DEP_1) | instskip(NEXT) | instid1(VALU_DEP_1)
	v_dual_cndmask_b32 v0, 0, v0, s0 :: v_dual_bitop2_b32 v37, v9, v1 bitop3:0x54
	v_or_b32_e32 v38, v6, v0
.LBB281_1534:                           ;   in Loop: Header=BB281_1005 Depth=1
	s_or_b32 exec_lo, exec_lo, s14
	;;#ASMSTART
	v_pk_mul_f16 v0, v96, v39;

	;;#ASMEND
	;;#ASMSTART
	v_pk_mul_f16 v1, v86, v48;

	;;#ASMEND
	;; [unrolled: 4-line block ×4, first 2 shown]
	;;#ASMSTART
	v_pk_add_f16 v0, v0, v1;

	;;#ASMEND
	;;#ASMSTART
	v_pk_add_f16 v0, v0, v6;

	;;#ASMEND
	;;#ASMSTART
	v_pk_add_f16 v0, v0, v8;

	;;#ASMEND
	v_and_b32_e32 v1, 0xffff, v0
	v_lshrrev_b32_e32 v0, 16, v0
	;;#ASMSTART
	v_cvt_f32_f16 v118, v1;
	;;#ASMEND
	;;#ASMSTART
	v_cvt_f32_f16 v119, v0;
	;;#ASMEND
	flat_load_b64 v[38:39], v[28:29] offset:2048
	scratch_load_b64 v[0:1], off, s32 offset:192 ; 8-byte Folded Reload
	v_mov_b32_e32 v8, 0
	s_mov_b32 s14, exec_lo
	s_wait_loadcnt 0x0
	flat_load_b32 v36, v[0:1]
	s_wait_dscnt 0x1
	s_wait_xcnt 0x0
	v_and_b32_e32 v0, 0xff, v38
	v_mov_b32_e32 v1, 0
	s_delay_alu instid0(VALU_DEP_2)
	v_cmpx_ne_u16_e32 0, v0
	s_cbranch_execz .LBB281_1542
; %bb.1535:                             ;   in Loop: Header=BB281_1005 Depth=1
	v_mov_b32_e32 v8, 0x8000
	s_mov_b32 s15, exec_lo
	v_cmpx_ne_u16_e32 0x80, v0
	s_cbranch_execz .LBB281_1541
; %bb.1536:                             ;   in Loop: Header=BB281_1005 Depth=1
	v_and_b32_e32 v9, 0x7f, v38
	v_mov_b32_e32 v8, 0x7c01
	s_mov_b32 s16, exec_lo
	s_delay_alu instid0(VALU_DEP_2)
	v_cmpx_ne_u32_e32 0x7f, v9
	s_cbranch_execz .LBB281_1540
; %bb.1537:                             ;   in Loop: Header=BB281_1005 Depth=1
	v_dual_lshrrev_b32 v6, 3, v9 :: v_dual_bitop2_b32 v0, 7, v38 bitop3:0x40
	s_mov_b32 s17, exec_lo
	v_cmpx_gt_u32_e32 8, v9
; %bb.1538:                             ;   in Loop: Header=BB281_1005 Depth=1
	s_delay_alu instid0(VALU_DEP_2) | instskip(NEXT) | instid1(VALU_DEP_1)
	v_clz_i32_u32_e32 v0, v0
	v_min_u32_e32 v0, 32, v0
	s_delay_alu instid0(VALU_DEP_1) | instskip(NEXT) | instid1(VALU_DEP_1)
	v_subrev_nc_u32_e32 v6, 28, v0
	v_lshlrev_b64_e32 v[8:9], v6, v[38:39]
	v_sub_nc_u32_e32 v6, 29, v0
	s_delay_alu instid0(VALU_DEP_2)
	v_and_b32_e32 v0, 7, v8
; %bb.1539:                             ;   in Loop: Header=BB281_1005 Depth=1
	s_or_b32 exec_lo, exec_lo, s17
	s_delay_alu instid0(VALU_DEP_1) | instskip(NEXT) | instid1(VALU_DEP_3)
	v_dual_lshlrev_b32 v8, 8, v38 :: v_dual_lshlrev_b32 v0, 7, v0
	v_lshl_add_u32 v6, v6, 10, 0x2000
	s_delay_alu instid0(VALU_DEP_2) | instskip(NEXT) | instid1(VALU_DEP_2)
	v_and_b32_e32 v8, 0x8000, v8
	v_and_b32_e32 v6, 0xfc00, v6
	s_delay_alu instid0(VALU_DEP_1)
	v_or3_b32 v8, v8, v6, v0
.LBB281_1540:                           ;   in Loop: Header=BB281_1005 Depth=1
	s_or_b32 exec_lo, exec_lo, s16
.LBB281_1541:                           ;   in Loop: Header=BB281_1005 Depth=1
	s_delay_alu instid0(SALU_CYCLE_1)
	s_or_b32 exec_lo, exec_lo, s15
.LBB281_1542:                           ;   in Loop: Header=BB281_1005 Depth=1
	s_delay_alu instid0(SALU_CYCLE_1) | instskip(SKIP_2) | instid1(VALU_DEP_1)
	s_or_b32 exec_lo, exec_lo, s14
	v_lshrrev_b16 v6, 8, v38
	s_mov_b32 s14, exec_lo
	v_cmpx_ne_u16_e32 0, v6
	s_cbranch_execz .LBB281_1550
; %bb.1543:                             ;   in Loop: Header=BB281_1005 Depth=1
	v_bfrev_b32_e32 v1, 1
	s_mov_b32 s15, exec_lo
	v_cmpx_ne_u16_e32 0x80, v6
	s_cbranch_execz .LBB281_1549
; %bb.1544:                             ;   in Loop: Header=BB281_1005 Depth=1
	v_and_b32_e32 v0, 0xffff, v6
	v_mov_b32_e32 v1, 0x7c010000
	s_mov_b32 s16, exec_lo
	s_delay_alu instid0(VALU_DEP_2) | instskip(NEXT) | instid1(VALU_DEP_1)
	v_and_b32_e32 v16, 0x7f, v0
	v_cmpx_ne_u32_e32 0x7f, v16
	s_cbranch_execz .LBB281_1548
; %bb.1545:                             ;   in Loop: Header=BB281_1005 Depth=1
	v_and_b32_e32 v1, 7, v0
	v_lshrrev_b32_e32 v9, 3, v16
	s_mov_b32 s17, exec_lo
	v_cmpx_gt_u32_e32 8, v16
; %bb.1546:                             ;   in Loop: Header=BB281_1005 Depth=1
	s_delay_alu instid0(VALU_DEP_3) | instskip(NEXT) | instid1(VALU_DEP_1)
	v_clz_i32_u32_e32 v1, v1
	v_min_u32_e32 v1, 32, v1
	s_delay_alu instid0(VALU_DEP_1) | instskip(NEXT) | instid1(VALU_DEP_1)
	v_subrev_nc_u32_e32 v9, 28, v1
	v_lshlrev_b64_e32 v[16:17], v9, v[6:7]
	s_delay_alu instid0(VALU_DEP_1)
	v_dual_sub_nc_u32 v9, 29, v1 :: v_dual_bitop2_b32 v1, 7, v16 bitop3:0x40
; %bb.1547:                             ;   in Loop: Header=BB281_1005 Depth=1
	s_or_b32 exec_lo, exec_lo, s17
	s_delay_alu instid0(VALU_DEP_1) | instskip(NEXT) | instid1(VALU_DEP_2)
	v_dual_lshlrev_b32 v0, 8, v0 :: v_dual_lshlrev_b32 v1, 23, v1
	v_lshl_add_u32 v6, v9, 10, 0x2000
	s_delay_alu instid0(VALU_DEP_1) | instskip(NEXT) | instid1(VALU_DEP_1)
	v_and_or_b32 v0, 0x8000, v0, v6
	v_lshl_or_b32 v1, v0, 16, v1
.LBB281_1548:                           ;   in Loop: Header=BB281_1005 Depth=1
	s_or_b32 exec_lo, exec_lo, s16
.LBB281_1549:                           ;   in Loop: Header=BB281_1005 Depth=1
	s_delay_alu instid0(SALU_CYCLE_1)
	s_or_b32 exec_lo, exec_lo, s15
.LBB281_1550:                           ;   in Loop: Header=BB281_1005 Depth=1
	s_delay_alu instid0(SALU_CYCLE_1) | instskip(SKIP_3) | instid1(VALU_DEP_2)
	s_or_b32 exec_lo, exec_lo, s14
	v_dual_mov_b32 v9, 0 :: v_dual_lshrrev_b32 v0, 16, v38
	v_mov_b32_e32 v16, 0
	s_mov_b32 s14, exec_lo
	v_and_b32_e32 v6, 0xff, v0
	s_delay_alu instid0(VALU_DEP_1)
	v_cmpx_ne_u16_e32 0, v6
	s_cbranch_execz .LBB281_1558
; %bb.1551:                             ;   in Loop: Header=BB281_1005 Depth=1
	v_mov_b32_e32 v16, 0x8000
	s_mov_b32 s15, exec_lo
	v_cmpx_ne_u16_e32 0x80, v6
	s_cbranch_execz .LBB281_1557
; %bb.1552:                             ;   in Loop: Header=BB281_1005 Depth=1
	v_bfe_u32 v17, v38, 16, 7
	v_mov_b32_e32 v16, 0x7c01
	s_mov_b32 s16, exec_lo
	s_delay_alu instid0(VALU_DEP_2)
	v_cmpx_ne_u32_e32 0x7f, v17
	s_cbranch_execz .LBB281_1556
; %bb.1553:                             ;   in Loop: Header=BB281_1005 Depth=1
	v_dual_lshrrev_b32 v16, 3, v17 :: v_dual_bitop2_b32 v6, 7, v0 bitop3:0x40
	s_mov_b32 s17, exec_lo
	v_cmpx_gt_u32_e32 8, v17
; %bb.1554:                             ;   in Loop: Header=BB281_1005 Depth=1
	s_delay_alu instid0(VALU_DEP_2) | instskip(NEXT) | instid1(VALU_DEP_1)
	v_clz_i32_u32_e32 v6, v6
	v_min_u32_e32 v6, 32, v6
	s_delay_alu instid0(VALU_DEP_1) | instskip(NEXT) | instid1(VALU_DEP_1)
	v_subrev_nc_u32_e32 v16, 28, v6
	v_lshlrev_b64_e32 v[18:19], v16, v[0:1]
	v_sub_nc_u32_e32 v16, 29, v6
	s_delay_alu instid0(VALU_DEP_2)
	v_and_b32_e32 v6, 7, v18
; %bb.1555:                             ;   in Loop: Header=BB281_1005 Depth=1
	s_or_b32 exec_lo, exec_lo, s17
	s_delay_alu instid0(VALU_DEP_1) | instskip(NEXT) | instid1(VALU_DEP_3)
	v_dual_lshlrev_b32 v0, 8, v0 :: v_dual_lshlrev_b32 v6, 7, v6
	v_lshl_add_u32 v16, v16, 10, 0x2000
	s_delay_alu instid0(VALU_DEP_2) | instskip(NEXT) | instid1(VALU_DEP_2)
	v_and_b32_e32 v0, 0x8000, v0
	v_and_b32_e32 v16, 0xfc00, v16
	s_delay_alu instid0(VALU_DEP_1)
	v_or3_b32 v16, v0, v16, v6
.LBB281_1556:                           ;   in Loop: Header=BB281_1005 Depth=1
	s_or_b32 exec_lo, exec_lo, s16
.LBB281_1557:                           ;   in Loop: Header=BB281_1005 Depth=1
	s_delay_alu instid0(SALU_CYCLE_1)
	s_or_b32 exec_lo, exec_lo, s15
.LBB281_1558:                           ;   in Loop: Header=BB281_1005 Depth=1
	s_delay_alu instid0(SALU_CYCLE_1) | instskip(NEXT) | instid1(SALU_CYCLE_1)
	s_or_b32 exec_lo, exec_lo, s14
	s_mov_b32 s14, exec_lo
	v_cmpx_lt_u32_e32 0xffffff, v38
	s_cbranch_execz .LBB281_1566
; %bb.1559:                             ;   in Loop: Header=BB281_1005 Depth=1
	v_lshrrev_b32_e32 v6, 24, v38
	v_bfrev_b32_e32 v9, 1
	s_mov_b32 s15, exec_lo
	s_delay_alu instid0(VALU_DEP_2)
	v_cmpx_ne_u32_e32 0x80, v6
	s_cbranch_execz .LBB281_1565
; %bb.1560:                             ;   in Loop: Header=BB281_1005 Depth=1
	v_and_b32_e32 v17, 0x7f, v6
	v_mov_b32_e32 v9, 0x7c010000
	s_mov_b32 s16, exec_lo
	s_delay_alu instid0(VALU_DEP_2)
	v_cmpx_ne_u32_e32 0x7f, v17
	s_cbranch_execz .LBB281_1564
; %bb.1561:                             ;   in Loop: Header=BB281_1005 Depth=1
	v_dual_lshrrev_b32 v9, 3, v17 :: v_dual_bitop2_b32 v0, 7, v6 bitop3:0x40
	s_mov_b32 s17, exec_lo
	v_cmpx_gt_u32_e32 8, v17
; %bb.1562:                             ;   in Loop: Header=BB281_1005 Depth=1
	s_delay_alu instid0(VALU_DEP_2) | instskip(NEXT) | instid1(VALU_DEP_1)
	v_clz_i32_u32_e32 v0, v0
	v_min_u32_e32 v0, 32, v0
	s_delay_alu instid0(VALU_DEP_1) | instskip(NEXT) | instid1(VALU_DEP_1)
	v_subrev_nc_u32_e32 v9, 28, v0
	v_lshlrev_b64_e32 v[18:19], v9, v[6:7]
	s_delay_alu instid0(VALU_DEP_1)
	v_dual_sub_nc_u32 v9, 29, v0 :: v_dual_bitop2_b32 v0, 7, v18 bitop3:0x40
; %bb.1563:                             ;   in Loop: Header=BB281_1005 Depth=1
	s_or_b32 exec_lo, exec_lo, s17
	s_delay_alu instid0(VALU_DEP_1) | instskip(NEXT) | instid1(VALU_DEP_2)
	v_dual_lshlrev_b32 v6, 8, v6 :: v_dual_lshlrev_b32 v0, 23, v0
	v_lshl_add_u32 v9, v9, 10, 0x2000
	s_delay_alu instid0(VALU_DEP_1) | instskip(NEXT) | instid1(VALU_DEP_1)
	v_and_or_b32 v6, 0x8000, v6, v9
	v_lshl_or_b32 v9, v6, 16, v0
.LBB281_1564:                           ;   in Loop: Header=BB281_1005 Depth=1
	s_or_b32 exec_lo, exec_lo, s16
.LBB281_1565:                           ;   in Loop: Header=BB281_1005 Depth=1
	s_delay_alu instid0(SALU_CYCLE_1)
	s_or_b32 exec_lo, exec_lo, s15
.LBB281_1566:                           ;   in Loop: Header=BB281_1005 Depth=1
	s_delay_alu instid0(SALU_CYCLE_1) | instskip(SKIP_4) | instid1(VALU_DEP_3)
	s_or_b32 exec_lo, exec_lo, s14
	v_and_b32_e32 v0, 0xff, v39
	v_dual_mov_b32 v6, v39 :: v_dual_mov_b32 v18, 0
	v_mov_b32_e32 v17, 0
	s_mov_b32 s14, exec_lo
	v_cmpx_ne_u16_e32 0, v0
	s_cbranch_execz .LBB281_1574
; %bb.1567:                             ;   in Loop: Header=BB281_1005 Depth=1
	v_mov_b32_e32 v17, 0x8000
	s_mov_b32 s15, exec_lo
	v_cmpx_ne_u16_e32 0x80, v0
	s_cbranch_execz .LBB281_1573
; %bb.1568:                             ;   in Loop: Header=BB281_1005 Depth=1
	v_and_b32_e32 v19, 0x7f, v39
	v_mov_b32_e32 v17, 0x7c01
	s_mov_b32 s16, exec_lo
	s_delay_alu instid0(VALU_DEP_2)
	v_cmpx_ne_u32_e32 0x7f, v19
	s_cbranch_execz .LBB281_1572
; %bb.1569:                             ;   in Loop: Header=BB281_1005 Depth=1
	v_and_b32_e32 v0, 7, v39
	v_lshrrev_b32_e32 v17, 3, v19
	s_mov_b32 s17, exec_lo
	v_cmpx_gt_u32_e32 8, v19
; %bb.1570:                             ;   in Loop: Header=BB281_1005 Depth=1
	s_delay_alu instid0(VALU_DEP_3) | instskip(NEXT) | instid1(VALU_DEP_1)
	v_clz_i32_u32_e32 v0, v0
	v_min_u32_e32 v0, 32, v0
	s_delay_alu instid0(VALU_DEP_1) | instskip(NEXT) | instid1(VALU_DEP_1)
	v_subrev_nc_u32_e32 v17, 28, v0
	v_lshlrev_b64_e32 v[22:23], v17, v[6:7]
	s_delay_alu instid0(VALU_DEP_1)
	v_dual_sub_nc_u32 v17, 29, v0 :: v_dual_bitop2_b32 v0, 7, v22 bitop3:0x40
; %bb.1571:                             ;   in Loop: Header=BB281_1005 Depth=1
	s_or_b32 exec_lo, exec_lo, s17
	s_delay_alu instid0(VALU_DEP_1) | instskip(NEXT) | instid1(VALU_DEP_2)
	v_dual_lshlrev_b32 v19, 8, v39 :: v_dual_lshlrev_b32 v0, 7, v0
	v_lshl_add_u32 v17, v17, 10, 0x2000
	s_delay_alu instid0(VALU_DEP_2) | instskip(NEXT) | instid1(VALU_DEP_2)
	v_and_b32_e32 v19, 0x8000, v19
	v_and_b32_e32 v17, 0xfc00, v17
	s_delay_alu instid0(VALU_DEP_1)
	v_or3_b32 v17, v19, v17, v0
.LBB281_1572:                           ;   in Loop: Header=BB281_1005 Depth=1
	s_or_b32 exec_lo, exec_lo, s16
.LBB281_1573:                           ;   in Loop: Header=BB281_1005 Depth=1
	s_delay_alu instid0(SALU_CYCLE_1)
	s_or_b32 exec_lo, exec_lo, s15
.LBB281_1574:                           ;   in Loop: Header=BB281_1005 Depth=1
	s_delay_alu instid0(SALU_CYCLE_1) | instskip(SKIP_3) | instid1(VALU_DEP_2)
	s_or_b32 exec_lo, exec_lo, s14
	v_lshrrev_b16 v6, 8, v6
	v_mov_b32_e32 v19, 0
	s_mov_b32 s14, exec_lo
	v_cmpx_ne_u16_e32 0, v6
	s_cbranch_execz .LBB281_1582
; %bb.1575:                             ;   in Loop: Header=BB281_1005 Depth=1
	v_bfrev_b32_e32 v19, 1
	s_mov_b32 s15, exec_lo
	v_cmpx_ne_u16_e32 0x80, v6
	s_cbranch_execz .LBB281_1581
; %bb.1576:                             ;   in Loop: Header=BB281_1005 Depth=1
	v_and_b32_e32 v0, 0xffff, v6
	v_mov_b32_e32 v19, 0x7c010000
	s_mov_b32 s16, exec_lo
	s_delay_alu instid0(VALU_DEP_2) | instskip(NEXT) | instid1(VALU_DEP_1)
	v_and_b32_e32 v23, 0x7f, v0
	v_cmpx_ne_u32_e32 0x7f, v23
	s_cbranch_execz .LBB281_1580
; %bb.1577:                             ;   in Loop: Header=BB281_1005 Depth=1
	v_dual_lshrrev_b32 v22, 3, v23 :: v_dual_bitop2_b32 v19, 7, v0 bitop3:0x40
	s_mov_b32 s17, exec_lo
	v_cmpx_gt_u32_e32 8, v23
; %bb.1578:                             ;   in Loop: Header=BB281_1005 Depth=1
	s_delay_alu instid0(VALU_DEP_2) | instskip(NEXT) | instid1(VALU_DEP_1)
	v_clz_i32_u32_e32 v19, v19
	v_min_u32_e32 v19, 32, v19
	s_delay_alu instid0(VALU_DEP_1) | instskip(NEXT) | instid1(VALU_DEP_1)
	v_subrev_nc_u32_e32 v22, 28, v19
	v_lshlrev_b64_e32 v[48:49], v22, v[6:7]
	s_delay_alu instid0(VALU_DEP_1)
	v_dual_sub_nc_u32 v22, 29, v19 :: v_dual_bitop2_b32 v19, 7, v48 bitop3:0x40
; %bb.1579:                             ;   in Loop: Header=BB281_1005 Depth=1
	s_or_b32 exec_lo, exec_lo, s17
	v_lshlrev_b32_e32 v0, 8, v0
	s_delay_alu instid0(VALU_DEP_2) | instskip(NEXT) | instid1(VALU_DEP_1)
	v_lshl_add_u32 v6, v22, 10, 0x2000
	v_and_or_b32 v0, 0x8000, v0, v6
	v_lshlrev_b32_e32 v6, 23, v19
	s_delay_alu instid0(VALU_DEP_1)
	v_lshl_or_b32 v19, v0, 16, v6
.LBB281_1580:                           ;   in Loop: Header=BB281_1005 Depth=1
	s_or_b32 exec_lo, exec_lo, s16
.LBB281_1581:                           ;   in Loop: Header=BB281_1005 Depth=1
	s_delay_alu instid0(SALU_CYCLE_1)
	s_or_b32 exec_lo, exec_lo, s15
.LBB281_1582:                           ;   in Loop: Header=BB281_1005 Depth=1
	s_delay_alu instid0(SALU_CYCLE_1) | instskip(SKIP_2) | instid1(VALU_DEP_1)
	s_or_b32 exec_lo, exec_lo, s14
	v_lshrrev_b32_e32 v0, 16, v39
	s_mov_b32 s14, exec_lo
	v_and_b32_e32 v6, 0xff, v0
	s_delay_alu instid0(VALU_DEP_1)
	v_cmpx_ne_u16_e32 0, v6
	s_cbranch_execz .LBB281_1590
; %bb.1583:                             ;   in Loop: Header=BB281_1005 Depth=1
	v_mov_b32_e32 v18, 0x8000
	s_mov_b32 s15, exec_lo
	v_cmpx_ne_u16_e32 0x80, v6
	s_cbranch_execz .LBB281_1589
; %bb.1584:                             ;   in Loop: Header=BB281_1005 Depth=1
	v_bfe_u32 v22, v39, 16, 7
	v_mov_b32_e32 v18, 0x7c01
	s_mov_b32 s16, exec_lo
	s_delay_alu instid0(VALU_DEP_2)
	v_cmpx_ne_u32_e32 0x7f, v22
	s_cbranch_execz .LBB281_1588
; %bb.1585:                             ;   in Loop: Header=BB281_1005 Depth=1
	v_dual_lshrrev_b32 v18, 3, v22 :: v_dual_bitop2_b32 v6, 7, v0 bitop3:0x40
	s_mov_b32 s17, exec_lo
	v_cmpx_gt_u32_e32 8, v22
; %bb.1586:                             ;   in Loop: Header=BB281_1005 Depth=1
	s_delay_alu instid0(VALU_DEP_2) | instskip(NEXT) | instid1(VALU_DEP_1)
	v_clz_i32_u32_e32 v6, v6
	v_min_u32_e32 v6, 32, v6
	s_delay_alu instid0(VALU_DEP_1) | instskip(NEXT) | instid1(VALU_DEP_1)
	v_subrev_nc_u32_e32 v18, 28, v6
	v_lshlrev_b64_e32 v[22:23], v18, v[0:1]
	v_sub_nc_u32_e32 v18, 29, v6
	s_delay_alu instid0(VALU_DEP_2)
	v_and_b32_e32 v6, 7, v22
; %bb.1587:                             ;   in Loop: Header=BB281_1005 Depth=1
	s_or_b32 exec_lo, exec_lo, s17
	s_delay_alu instid0(VALU_DEP_1) | instskip(NEXT) | instid1(VALU_DEP_3)
	v_dual_lshlrev_b32 v0, 8, v0 :: v_dual_lshlrev_b32 v6, 7, v6
	v_lshl_add_u32 v18, v18, 10, 0x2000
	s_delay_alu instid0(VALU_DEP_2) | instskip(NEXT) | instid1(VALU_DEP_2)
	v_and_b32_e32 v0, 0x8000, v0
	v_and_b32_e32 v18, 0xfc00, v18
	s_delay_alu instid0(VALU_DEP_1)
	v_or3_b32 v18, v0, v18, v6
.LBB281_1588:                           ;   in Loop: Header=BB281_1005 Depth=1
	s_or_b32 exec_lo, exec_lo, s16
.LBB281_1589:                           ;   in Loop: Header=BB281_1005 Depth=1
	s_delay_alu instid0(SALU_CYCLE_1)
	s_or_b32 exec_lo, exec_lo, s15
.LBB281_1590:                           ;   in Loop: Header=BB281_1005 Depth=1
	s_delay_alu instid0(SALU_CYCLE_1)
	s_or_b32 exec_lo, exec_lo, s14
	v_mov_b32_e32 v0, 0
	s_mov_b32 s14, exec_lo
	v_cmpx_lt_u64_e64 s[2:3], v[38:39]
	s_cbranch_execz .LBB281_1598
; %bb.1591:                             ;   in Loop: Header=BB281_1005 Depth=1
	v_lshrrev_b32_e32 v6, 24, v39
	v_bfrev_b32_e32 v0, 1
	s_mov_b32 s15, exec_lo
	s_delay_alu instid0(VALU_DEP_2)
	v_cmpx_ne_u32_e32 0x80, v6
	s_cbranch_execz .LBB281_1597
; %bb.1592:                             ;   in Loop: Header=BB281_1005 Depth=1
	v_and_b32_e32 v23, 0x7f, v6
	v_mov_b32_e32 v0, 0x7c010000
	s_mov_b32 s16, exec_lo
	s_delay_alu instid0(VALU_DEP_2)
	v_cmpx_ne_u32_e32 0x7f, v23
	s_cbranch_execz .LBB281_1596
; %bb.1593:                             ;   in Loop: Header=BB281_1005 Depth=1
	v_dual_lshrrev_b32 v22, 3, v23 :: v_dual_bitop2_b32 v0, 7, v6 bitop3:0x40
	s_mov_b32 s17, exec_lo
	v_cmpx_gt_u32_e32 8, v23
; %bb.1594:                             ;   in Loop: Header=BB281_1005 Depth=1
	s_delay_alu instid0(VALU_DEP_2) | instskip(NEXT) | instid1(VALU_DEP_1)
	v_clz_i32_u32_e32 v0, v0
	v_min_u32_e32 v0, 32, v0
	s_delay_alu instid0(VALU_DEP_1) | instskip(NEXT) | instid1(VALU_DEP_1)
	v_subrev_nc_u32_e32 v22, 28, v0
	v_lshlrev_b64_e32 v[38:39], v22, v[6:7]
	s_delay_alu instid0(VALU_DEP_1)
	v_dual_sub_nc_u32 v22, 29, v0 :: v_dual_bitop2_b32 v0, 7, v38 bitop3:0x40
; %bb.1595:                             ;   in Loop: Header=BB281_1005 Depth=1
	s_or_b32 exec_lo, exec_lo, s17
	s_delay_alu instid0(VALU_DEP_1) | instskip(NEXT) | instid1(VALU_DEP_2)
	v_dual_lshlrev_b32 v6, 8, v6 :: v_dual_lshlrev_b32 v0, 23, v0
	v_lshl_add_u32 v22, v22, 10, 0x2000
	s_delay_alu instid0(VALU_DEP_1) | instskip(NEXT) | instid1(VALU_DEP_1)
	v_and_or_b32 v6, 0x8000, v6, v22
	v_lshl_or_b32 v0, v6, 16, v0
.LBB281_1596:                           ;   in Loop: Header=BB281_1005 Depth=1
	s_or_b32 exec_lo, exec_lo, s16
.LBB281_1597:                           ;   in Loop: Header=BB281_1005 Depth=1
	s_delay_alu instid0(SALU_CYCLE_1)
	s_or_b32 exec_lo, exec_lo, s15
.LBB281_1598:                           ;   in Loop: Header=BB281_1005 Depth=1
	s_delay_alu instid0(SALU_CYCLE_1) | instskip(SKIP_2) | instid1(VALU_DEP_2)
	s_or_b32 exec_lo, exec_lo, s14
	v_dual_lshrrev_b32 v6, 16, v1 :: v_dual_bitop2_b32 v1, v1, v8 bitop3:0x54
	v_dual_lshrrev_b32 v22, 16, v9 :: v_dual_bitop2_b32 v16, v9, v16 bitop3:0x54
	v_cvt_f32_f16_e32 v9, v6
	v_dual_lshrrev_b32 v18, 16, v19 :: v_dual_bitop2_b32 v6, v0, v18 bitop3:0x54
	s_delay_alu instid0(VALU_DEP_3)
	v_cvt_f32_f16_e32 v8, v22
	v_dual_lshrrev_b32 v22, 16, v0 :: v_dual_bitop2_b32 v19, v19, v17 bitop3:0x54
	v_cvt_f32_f16_e32 v0, v16
	v_cvt_f32_f16_e32 v1, v1
	s_wait_loadcnt_dscnt 0x0
	v_pk_mul_f32 v[8:9], v[36:37], v[8:9] op_sel_hi:[0,1]
	v_cvt_f32_f16_e32 v17, v18
	v_cvt_f32_f16_e32 v16, v22
	;; [unrolled: 1-line block ×4, first 2 shown]
	v_pk_mul_f32 v[0:1], v[36:37], v[0:1] op_sel_hi:[0,1]
	v_cvt_pk_f16_f32 v6, v8, v9
	v_pk_mul_f32 v[8:9], v[36:37], v[16:17] op_sel_hi:[0,1]
	s_delay_alu instid0(VALU_DEP_4) | instskip(NEXT) | instid1(VALU_DEP_4)
	v_pk_mul_f32 v[16:17], v[36:37], v[18:19] op_sel_hi:[0,1]
	v_cvt_pk_f16_f32 v0, v0, v1
	s_delay_alu instid0(VALU_DEP_4) | instskip(NEXT) | instid1(VALU_DEP_4)
	v_and_b32_e32 v19, 0xffff0000, v6
	v_cvt_pk_f16_f32 v8, v8, v9
	v_lshlrev_b32_e32 v36, 16, v6
	v_cvt_pk_f16_f32 v6, v16, v17
	v_lshrrev_b32_e32 v49, 16, v0
	v_and_b32_e32 v50, 0xffff, v0
	v_and_b32_e32 v1, 0xffff0000, v8
	s_delay_alu instid0(VALU_DEP_4) | instskip(SKIP_3) | instid1(VALU_DEP_4)
	v_dual_lshlrev_b32 v0, 16, v8 :: v_dual_lshrrev_b32 v9, 16, v6
	v_and_b32_e32 v6, 0xffff, v6
	v_or_b32_e32 v39, v19, v49
	v_or_b32_e32 v48, v36, v50
	;; [unrolled: 1-line block ×3, first 2 shown]
	s_delay_alu instid0(VALU_DEP_4)
	v_or_b32_e32 v38, v0, v6
	s_and_saveexec_b32 s14, vcc_lo
	s_cbranch_execz .LBB281_1600
; %bb.1599:                             ;   in Loop: Header=BB281_1005 Depth=1
	v_cmp_lt_i32_e64 s0, v68, v13
	s_delay_alu instid0(VALU_DEP_1) | instskip(SKIP_1) | instid1(VALU_DEP_1)
	v_cndmask_b32_e64 v8, 0, v49, s0
	v_cmp_lt_i32_e64 s0, v83, v12
	v_cndmask_b32_e64 v16, 0, v50, s0
	v_cmp_lt_i32_e64 s0, v82, v13
	s_delay_alu instid0(VALU_DEP_1) | instskip(SKIP_1) | instid1(VALU_DEP_1)
	v_cndmask_b32_e64 v17, 0, v19, s0
	v_cmp_lt_i32_e64 s0, v81, v12
	v_cndmask_b32_e64 v18, 0, v36, s0
	v_cmp_lt_i32_e64 s0, v80, v13
	s_delay_alu instid0(VALU_DEP_4) | instskip(NEXT) | instid1(VALU_DEP_2)
	v_or_b32_e32 v39, v8, v17
	v_dual_cndmask_b32 v9, 0, v9, s0 :: v_dual_bitop2_b32 v48, v16, v18 bitop3:0x54
	v_cmp_lt_i32_e64 s0, v71, v12
	s_delay_alu instid0(VALU_DEP_1) | instskip(SKIP_1) | instid1(VALU_DEP_1)
	v_cndmask_b32_e64 v6, 0, v6, s0
	v_cmp_lt_i32_e64 s0, v70, v13
	v_cndmask_b32_e64 v1, 0, v1, s0
	v_cmp_lt_i32_e64 s0, v69, v12
	s_delay_alu instid0(VALU_DEP_1) | instskip(NEXT) | instid1(VALU_DEP_1)
	v_dual_cndmask_b32 v0, 0, v0, s0 :: v_dual_bitop2_b32 v37, v9, v1 bitop3:0x54
	v_or_b32_e32 v38, v6, v0
.LBB281_1600:                           ;   in Loop: Header=BB281_1005 Depth=1
	s_or_b32 exec_lo, exec_lo, s14
	;;#ASMSTART
	v_pk_mul_f16 v0, v96, v39;

	;;#ASMEND
	;;#ASMSTART
	v_pk_mul_f16 v1, v86, v48;

	;;#ASMEND
	;; [unrolled: 4-line block ×4, first 2 shown]
	;;#ASMSTART
	v_pk_add_f16 v0, v0, v1;

	;;#ASMEND
	;;#ASMSTART
	v_pk_add_f16 v0, v0, v6;

	;;#ASMEND
	;; [unrolled: 4-line block ×3, first 2 shown]
	v_and_b32_e32 v1, 0xffff, v0
	v_lshrrev_b32_e32 v0, 16, v0
	;;#ASMSTART
	v_cvt_f32_f16 v40, v1;
	;;#ASMEND
	;;#ASMSTART
	v_cvt_f32_f16 v41, v0;
	;;#ASMEND
	flat_load_b64 v[38:39], v[28:29] offset:2304
	scratch_load_b64 v[0:1], off, s32 offset:192 ; 8-byte Folded Reload
	v_mov_b32_e32 v8, 0
	s_mov_b32 s14, exec_lo
	s_wait_loadcnt 0x0
	flat_load_b32 v36, v[0:1]
	s_wait_dscnt 0x1
	s_wait_xcnt 0x0
	v_and_b32_e32 v0, 0xff, v38
	v_mov_b32_e32 v1, 0
	s_delay_alu instid0(VALU_DEP_2)
	v_cmpx_ne_u16_e32 0, v0
	s_cbranch_execz .LBB281_1608
; %bb.1601:                             ;   in Loop: Header=BB281_1005 Depth=1
	v_mov_b32_e32 v8, 0x8000
	s_mov_b32 s15, exec_lo
	v_cmpx_ne_u16_e32 0x80, v0
	s_cbranch_execz .LBB281_1607
; %bb.1602:                             ;   in Loop: Header=BB281_1005 Depth=1
	v_and_b32_e32 v9, 0x7f, v38
	v_mov_b32_e32 v8, 0x7c01
	s_mov_b32 s16, exec_lo
	s_delay_alu instid0(VALU_DEP_2)
	v_cmpx_ne_u32_e32 0x7f, v9
	s_cbranch_execz .LBB281_1606
; %bb.1603:                             ;   in Loop: Header=BB281_1005 Depth=1
	v_dual_lshrrev_b32 v6, 3, v9 :: v_dual_bitop2_b32 v0, 7, v38 bitop3:0x40
	s_mov_b32 s17, exec_lo
	v_cmpx_gt_u32_e32 8, v9
; %bb.1604:                             ;   in Loop: Header=BB281_1005 Depth=1
	s_delay_alu instid0(VALU_DEP_2) | instskip(NEXT) | instid1(VALU_DEP_1)
	v_clz_i32_u32_e32 v0, v0
	v_min_u32_e32 v0, 32, v0
	s_delay_alu instid0(VALU_DEP_1) | instskip(NEXT) | instid1(VALU_DEP_1)
	v_subrev_nc_u32_e32 v6, 28, v0
	v_lshlrev_b64_e32 v[8:9], v6, v[38:39]
	v_sub_nc_u32_e32 v6, 29, v0
	s_delay_alu instid0(VALU_DEP_2)
	v_and_b32_e32 v0, 7, v8
; %bb.1605:                             ;   in Loop: Header=BB281_1005 Depth=1
	s_or_b32 exec_lo, exec_lo, s17
	s_delay_alu instid0(VALU_DEP_1) | instskip(NEXT) | instid1(VALU_DEP_3)
	v_dual_lshlrev_b32 v8, 8, v38 :: v_dual_lshlrev_b32 v0, 7, v0
	v_lshl_add_u32 v6, v6, 10, 0x2000
	s_delay_alu instid0(VALU_DEP_2) | instskip(NEXT) | instid1(VALU_DEP_2)
	v_and_b32_e32 v8, 0x8000, v8
	v_and_b32_e32 v6, 0xfc00, v6
	s_delay_alu instid0(VALU_DEP_1)
	v_or3_b32 v8, v8, v6, v0
.LBB281_1606:                           ;   in Loop: Header=BB281_1005 Depth=1
	s_or_b32 exec_lo, exec_lo, s16
.LBB281_1607:                           ;   in Loop: Header=BB281_1005 Depth=1
	s_delay_alu instid0(SALU_CYCLE_1)
	s_or_b32 exec_lo, exec_lo, s15
.LBB281_1608:                           ;   in Loop: Header=BB281_1005 Depth=1
	s_delay_alu instid0(SALU_CYCLE_1) | instskip(SKIP_2) | instid1(VALU_DEP_1)
	s_or_b32 exec_lo, exec_lo, s14
	v_lshrrev_b16 v6, 8, v38
	s_mov_b32 s14, exec_lo
	v_cmpx_ne_u16_e32 0, v6
	s_cbranch_execz .LBB281_1616
; %bb.1609:                             ;   in Loop: Header=BB281_1005 Depth=1
	v_bfrev_b32_e32 v1, 1
	s_mov_b32 s15, exec_lo
	v_cmpx_ne_u16_e32 0x80, v6
	s_cbranch_execz .LBB281_1615
; %bb.1610:                             ;   in Loop: Header=BB281_1005 Depth=1
	v_and_b32_e32 v0, 0xffff, v6
	v_mov_b32_e32 v1, 0x7c010000
	s_mov_b32 s16, exec_lo
	s_delay_alu instid0(VALU_DEP_2) | instskip(NEXT) | instid1(VALU_DEP_1)
	v_and_b32_e32 v16, 0x7f, v0
	v_cmpx_ne_u32_e32 0x7f, v16
	s_cbranch_execz .LBB281_1614
; %bb.1611:                             ;   in Loop: Header=BB281_1005 Depth=1
	v_and_b32_e32 v1, 7, v0
	v_lshrrev_b32_e32 v9, 3, v16
	s_mov_b32 s17, exec_lo
	v_cmpx_gt_u32_e32 8, v16
; %bb.1612:                             ;   in Loop: Header=BB281_1005 Depth=1
	s_delay_alu instid0(VALU_DEP_3) | instskip(NEXT) | instid1(VALU_DEP_1)
	v_clz_i32_u32_e32 v1, v1
	v_min_u32_e32 v1, 32, v1
	s_delay_alu instid0(VALU_DEP_1) | instskip(NEXT) | instid1(VALU_DEP_1)
	v_subrev_nc_u32_e32 v9, 28, v1
	v_lshlrev_b64_e32 v[16:17], v9, v[6:7]
	s_delay_alu instid0(VALU_DEP_1)
	v_dual_sub_nc_u32 v9, 29, v1 :: v_dual_bitop2_b32 v1, 7, v16 bitop3:0x40
; %bb.1613:                             ;   in Loop: Header=BB281_1005 Depth=1
	s_or_b32 exec_lo, exec_lo, s17
	s_delay_alu instid0(VALU_DEP_1) | instskip(NEXT) | instid1(VALU_DEP_2)
	v_dual_lshlrev_b32 v0, 8, v0 :: v_dual_lshlrev_b32 v1, 23, v1
	v_lshl_add_u32 v6, v9, 10, 0x2000
	s_delay_alu instid0(VALU_DEP_1) | instskip(NEXT) | instid1(VALU_DEP_1)
	v_and_or_b32 v0, 0x8000, v0, v6
	v_lshl_or_b32 v1, v0, 16, v1
.LBB281_1614:                           ;   in Loop: Header=BB281_1005 Depth=1
	s_or_b32 exec_lo, exec_lo, s16
.LBB281_1615:                           ;   in Loop: Header=BB281_1005 Depth=1
	s_delay_alu instid0(SALU_CYCLE_1)
	s_or_b32 exec_lo, exec_lo, s15
.LBB281_1616:                           ;   in Loop: Header=BB281_1005 Depth=1
	s_delay_alu instid0(SALU_CYCLE_1) | instskip(SKIP_3) | instid1(VALU_DEP_2)
	s_or_b32 exec_lo, exec_lo, s14
	v_dual_mov_b32 v9, 0 :: v_dual_lshrrev_b32 v0, 16, v38
	v_mov_b32_e32 v16, 0
	s_mov_b32 s14, exec_lo
	v_and_b32_e32 v6, 0xff, v0
	s_delay_alu instid0(VALU_DEP_1)
	v_cmpx_ne_u16_e32 0, v6
	s_cbranch_execz .LBB281_1624
; %bb.1617:                             ;   in Loop: Header=BB281_1005 Depth=1
	v_mov_b32_e32 v16, 0x8000
	s_mov_b32 s15, exec_lo
	v_cmpx_ne_u16_e32 0x80, v6
	s_cbranch_execz .LBB281_1623
; %bb.1618:                             ;   in Loop: Header=BB281_1005 Depth=1
	v_bfe_u32 v17, v38, 16, 7
	v_mov_b32_e32 v16, 0x7c01
	s_mov_b32 s16, exec_lo
	s_delay_alu instid0(VALU_DEP_2)
	v_cmpx_ne_u32_e32 0x7f, v17
	s_cbranch_execz .LBB281_1622
; %bb.1619:                             ;   in Loop: Header=BB281_1005 Depth=1
	v_dual_lshrrev_b32 v16, 3, v17 :: v_dual_bitop2_b32 v6, 7, v0 bitop3:0x40
	s_mov_b32 s17, exec_lo
	v_cmpx_gt_u32_e32 8, v17
; %bb.1620:                             ;   in Loop: Header=BB281_1005 Depth=1
	s_delay_alu instid0(VALU_DEP_2) | instskip(NEXT) | instid1(VALU_DEP_1)
	v_clz_i32_u32_e32 v6, v6
	v_min_u32_e32 v6, 32, v6
	s_delay_alu instid0(VALU_DEP_1) | instskip(NEXT) | instid1(VALU_DEP_1)
	v_subrev_nc_u32_e32 v16, 28, v6
	v_lshlrev_b64_e32 v[18:19], v16, v[0:1]
	v_sub_nc_u32_e32 v16, 29, v6
	s_delay_alu instid0(VALU_DEP_2)
	v_and_b32_e32 v6, 7, v18
; %bb.1621:                             ;   in Loop: Header=BB281_1005 Depth=1
	s_or_b32 exec_lo, exec_lo, s17
	s_delay_alu instid0(VALU_DEP_1) | instskip(NEXT) | instid1(VALU_DEP_3)
	v_dual_lshlrev_b32 v0, 8, v0 :: v_dual_lshlrev_b32 v6, 7, v6
	v_lshl_add_u32 v16, v16, 10, 0x2000
	s_delay_alu instid0(VALU_DEP_2) | instskip(NEXT) | instid1(VALU_DEP_2)
	v_and_b32_e32 v0, 0x8000, v0
	v_and_b32_e32 v16, 0xfc00, v16
	s_delay_alu instid0(VALU_DEP_1)
	v_or3_b32 v16, v0, v16, v6
.LBB281_1622:                           ;   in Loop: Header=BB281_1005 Depth=1
	s_or_b32 exec_lo, exec_lo, s16
.LBB281_1623:                           ;   in Loop: Header=BB281_1005 Depth=1
	s_delay_alu instid0(SALU_CYCLE_1)
	s_or_b32 exec_lo, exec_lo, s15
.LBB281_1624:                           ;   in Loop: Header=BB281_1005 Depth=1
	s_delay_alu instid0(SALU_CYCLE_1) | instskip(NEXT) | instid1(SALU_CYCLE_1)
	s_or_b32 exec_lo, exec_lo, s14
	s_mov_b32 s14, exec_lo
	v_cmpx_lt_u32_e32 0xffffff, v38
	s_cbranch_execz .LBB281_1632
; %bb.1625:                             ;   in Loop: Header=BB281_1005 Depth=1
	v_lshrrev_b32_e32 v6, 24, v38
	v_bfrev_b32_e32 v9, 1
	s_mov_b32 s15, exec_lo
	s_delay_alu instid0(VALU_DEP_2)
	v_cmpx_ne_u32_e32 0x80, v6
	s_cbranch_execz .LBB281_1631
; %bb.1626:                             ;   in Loop: Header=BB281_1005 Depth=1
	v_and_b32_e32 v17, 0x7f, v6
	v_mov_b32_e32 v9, 0x7c010000
	s_mov_b32 s16, exec_lo
	s_delay_alu instid0(VALU_DEP_2)
	v_cmpx_ne_u32_e32 0x7f, v17
	s_cbranch_execz .LBB281_1630
; %bb.1627:                             ;   in Loop: Header=BB281_1005 Depth=1
	v_dual_lshrrev_b32 v9, 3, v17 :: v_dual_bitop2_b32 v0, 7, v6 bitop3:0x40
	s_mov_b32 s17, exec_lo
	v_cmpx_gt_u32_e32 8, v17
; %bb.1628:                             ;   in Loop: Header=BB281_1005 Depth=1
	s_delay_alu instid0(VALU_DEP_2) | instskip(NEXT) | instid1(VALU_DEP_1)
	v_clz_i32_u32_e32 v0, v0
	v_min_u32_e32 v0, 32, v0
	s_delay_alu instid0(VALU_DEP_1) | instskip(NEXT) | instid1(VALU_DEP_1)
	v_subrev_nc_u32_e32 v9, 28, v0
	v_lshlrev_b64_e32 v[18:19], v9, v[6:7]
	s_delay_alu instid0(VALU_DEP_1)
	v_dual_sub_nc_u32 v9, 29, v0 :: v_dual_bitop2_b32 v0, 7, v18 bitop3:0x40
; %bb.1629:                             ;   in Loop: Header=BB281_1005 Depth=1
	s_or_b32 exec_lo, exec_lo, s17
	s_delay_alu instid0(VALU_DEP_1) | instskip(NEXT) | instid1(VALU_DEP_2)
	v_dual_lshlrev_b32 v6, 8, v6 :: v_dual_lshlrev_b32 v0, 23, v0
	v_lshl_add_u32 v9, v9, 10, 0x2000
	s_delay_alu instid0(VALU_DEP_1) | instskip(NEXT) | instid1(VALU_DEP_1)
	v_and_or_b32 v6, 0x8000, v6, v9
	v_lshl_or_b32 v9, v6, 16, v0
.LBB281_1630:                           ;   in Loop: Header=BB281_1005 Depth=1
	s_or_b32 exec_lo, exec_lo, s16
.LBB281_1631:                           ;   in Loop: Header=BB281_1005 Depth=1
	s_delay_alu instid0(SALU_CYCLE_1)
	s_or_b32 exec_lo, exec_lo, s15
.LBB281_1632:                           ;   in Loop: Header=BB281_1005 Depth=1
	s_delay_alu instid0(SALU_CYCLE_1) | instskip(SKIP_4) | instid1(VALU_DEP_3)
	s_or_b32 exec_lo, exec_lo, s14
	v_and_b32_e32 v0, 0xff, v39
	v_dual_mov_b32 v6, v39 :: v_dual_mov_b32 v18, 0
	v_mov_b32_e32 v17, 0
	s_mov_b32 s14, exec_lo
	v_cmpx_ne_u16_e32 0, v0
	s_cbranch_execz .LBB281_1640
; %bb.1633:                             ;   in Loop: Header=BB281_1005 Depth=1
	v_mov_b32_e32 v17, 0x8000
	s_mov_b32 s15, exec_lo
	v_cmpx_ne_u16_e32 0x80, v0
	s_cbranch_execz .LBB281_1639
; %bb.1634:                             ;   in Loop: Header=BB281_1005 Depth=1
	v_and_b32_e32 v19, 0x7f, v39
	v_mov_b32_e32 v17, 0x7c01
	s_mov_b32 s16, exec_lo
	s_delay_alu instid0(VALU_DEP_2)
	v_cmpx_ne_u32_e32 0x7f, v19
	s_cbranch_execz .LBB281_1638
; %bb.1635:                             ;   in Loop: Header=BB281_1005 Depth=1
	v_and_b32_e32 v0, 7, v39
	v_lshrrev_b32_e32 v17, 3, v19
	s_mov_b32 s17, exec_lo
	v_cmpx_gt_u32_e32 8, v19
; %bb.1636:                             ;   in Loop: Header=BB281_1005 Depth=1
	s_delay_alu instid0(VALU_DEP_3) | instskip(NEXT) | instid1(VALU_DEP_1)
	v_clz_i32_u32_e32 v0, v0
	v_min_u32_e32 v0, 32, v0
	s_delay_alu instid0(VALU_DEP_1) | instskip(NEXT) | instid1(VALU_DEP_1)
	v_subrev_nc_u32_e32 v17, 28, v0
	v_lshlrev_b64_e32 v[22:23], v17, v[6:7]
	s_delay_alu instid0(VALU_DEP_1)
	v_dual_sub_nc_u32 v17, 29, v0 :: v_dual_bitop2_b32 v0, 7, v22 bitop3:0x40
; %bb.1637:                             ;   in Loop: Header=BB281_1005 Depth=1
	s_or_b32 exec_lo, exec_lo, s17
	s_delay_alu instid0(VALU_DEP_1) | instskip(NEXT) | instid1(VALU_DEP_2)
	v_dual_lshlrev_b32 v19, 8, v39 :: v_dual_lshlrev_b32 v0, 7, v0
	v_lshl_add_u32 v17, v17, 10, 0x2000
	s_delay_alu instid0(VALU_DEP_2) | instskip(NEXT) | instid1(VALU_DEP_2)
	v_and_b32_e32 v19, 0x8000, v19
	v_and_b32_e32 v17, 0xfc00, v17
	s_delay_alu instid0(VALU_DEP_1)
	v_or3_b32 v17, v19, v17, v0
.LBB281_1638:                           ;   in Loop: Header=BB281_1005 Depth=1
	s_or_b32 exec_lo, exec_lo, s16
.LBB281_1639:                           ;   in Loop: Header=BB281_1005 Depth=1
	s_delay_alu instid0(SALU_CYCLE_1)
	s_or_b32 exec_lo, exec_lo, s15
.LBB281_1640:                           ;   in Loop: Header=BB281_1005 Depth=1
	s_delay_alu instid0(SALU_CYCLE_1) | instskip(SKIP_3) | instid1(VALU_DEP_2)
	s_or_b32 exec_lo, exec_lo, s14
	v_lshrrev_b16 v6, 8, v6
	v_mov_b32_e32 v19, 0
	s_mov_b32 s14, exec_lo
	v_cmpx_ne_u16_e32 0, v6
	s_cbranch_execz .LBB281_1648
; %bb.1641:                             ;   in Loop: Header=BB281_1005 Depth=1
	v_bfrev_b32_e32 v19, 1
	s_mov_b32 s15, exec_lo
	v_cmpx_ne_u16_e32 0x80, v6
	s_cbranch_execz .LBB281_1647
; %bb.1642:                             ;   in Loop: Header=BB281_1005 Depth=1
	v_and_b32_e32 v0, 0xffff, v6
	v_mov_b32_e32 v19, 0x7c010000
	s_mov_b32 s16, exec_lo
	s_delay_alu instid0(VALU_DEP_2) | instskip(NEXT) | instid1(VALU_DEP_1)
	v_and_b32_e32 v23, 0x7f, v0
	v_cmpx_ne_u32_e32 0x7f, v23
	s_cbranch_execz .LBB281_1646
; %bb.1643:                             ;   in Loop: Header=BB281_1005 Depth=1
	v_dual_lshrrev_b32 v22, 3, v23 :: v_dual_bitop2_b32 v19, 7, v0 bitop3:0x40
	s_mov_b32 s17, exec_lo
	v_cmpx_gt_u32_e32 8, v23
; %bb.1644:                             ;   in Loop: Header=BB281_1005 Depth=1
	s_delay_alu instid0(VALU_DEP_2) | instskip(NEXT) | instid1(VALU_DEP_1)
	v_clz_i32_u32_e32 v19, v19
	v_min_u32_e32 v19, 32, v19
	s_delay_alu instid0(VALU_DEP_1) | instskip(NEXT) | instid1(VALU_DEP_1)
	v_subrev_nc_u32_e32 v22, 28, v19
	v_lshlrev_b64_e32 v[48:49], v22, v[6:7]
	s_delay_alu instid0(VALU_DEP_1)
	v_dual_sub_nc_u32 v22, 29, v19 :: v_dual_bitop2_b32 v19, 7, v48 bitop3:0x40
; %bb.1645:                             ;   in Loop: Header=BB281_1005 Depth=1
	s_or_b32 exec_lo, exec_lo, s17
	v_lshlrev_b32_e32 v0, 8, v0
	s_delay_alu instid0(VALU_DEP_2) | instskip(NEXT) | instid1(VALU_DEP_1)
	v_lshl_add_u32 v6, v22, 10, 0x2000
	v_and_or_b32 v0, 0x8000, v0, v6
	v_lshlrev_b32_e32 v6, 23, v19
	s_delay_alu instid0(VALU_DEP_1)
	v_lshl_or_b32 v19, v0, 16, v6
.LBB281_1646:                           ;   in Loop: Header=BB281_1005 Depth=1
	s_or_b32 exec_lo, exec_lo, s16
.LBB281_1647:                           ;   in Loop: Header=BB281_1005 Depth=1
	s_delay_alu instid0(SALU_CYCLE_1)
	s_or_b32 exec_lo, exec_lo, s15
.LBB281_1648:                           ;   in Loop: Header=BB281_1005 Depth=1
	s_delay_alu instid0(SALU_CYCLE_1) | instskip(SKIP_2) | instid1(VALU_DEP_1)
	s_or_b32 exec_lo, exec_lo, s14
	v_lshrrev_b32_e32 v0, 16, v39
	s_mov_b32 s14, exec_lo
	v_and_b32_e32 v6, 0xff, v0
	s_delay_alu instid0(VALU_DEP_1)
	v_cmpx_ne_u16_e32 0, v6
	s_cbranch_execz .LBB281_1656
; %bb.1649:                             ;   in Loop: Header=BB281_1005 Depth=1
	v_mov_b32_e32 v18, 0x8000
	s_mov_b32 s15, exec_lo
	v_cmpx_ne_u16_e32 0x80, v6
	s_cbranch_execz .LBB281_1655
; %bb.1650:                             ;   in Loop: Header=BB281_1005 Depth=1
	v_bfe_u32 v22, v39, 16, 7
	v_mov_b32_e32 v18, 0x7c01
	s_mov_b32 s16, exec_lo
	s_delay_alu instid0(VALU_DEP_2)
	v_cmpx_ne_u32_e32 0x7f, v22
	s_cbranch_execz .LBB281_1654
; %bb.1651:                             ;   in Loop: Header=BB281_1005 Depth=1
	v_dual_lshrrev_b32 v18, 3, v22 :: v_dual_bitop2_b32 v6, 7, v0 bitop3:0x40
	s_mov_b32 s17, exec_lo
	v_cmpx_gt_u32_e32 8, v22
; %bb.1652:                             ;   in Loop: Header=BB281_1005 Depth=1
	s_delay_alu instid0(VALU_DEP_2) | instskip(NEXT) | instid1(VALU_DEP_1)
	v_clz_i32_u32_e32 v6, v6
	v_min_u32_e32 v6, 32, v6
	s_delay_alu instid0(VALU_DEP_1) | instskip(NEXT) | instid1(VALU_DEP_1)
	v_subrev_nc_u32_e32 v18, 28, v6
	v_lshlrev_b64_e32 v[22:23], v18, v[0:1]
	v_sub_nc_u32_e32 v18, 29, v6
	s_delay_alu instid0(VALU_DEP_2)
	v_and_b32_e32 v6, 7, v22
; %bb.1653:                             ;   in Loop: Header=BB281_1005 Depth=1
	s_or_b32 exec_lo, exec_lo, s17
	s_delay_alu instid0(VALU_DEP_1) | instskip(NEXT) | instid1(VALU_DEP_3)
	v_dual_lshlrev_b32 v0, 8, v0 :: v_dual_lshlrev_b32 v6, 7, v6
	v_lshl_add_u32 v18, v18, 10, 0x2000
	s_delay_alu instid0(VALU_DEP_2) | instskip(NEXT) | instid1(VALU_DEP_2)
	v_and_b32_e32 v0, 0x8000, v0
	v_and_b32_e32 v18, 0xfc00, v18
	s_delay_alu instid0(VALU_DEP_1)
	v_or3_b32 v18, v0, v18, v6
.LBB281_1654:                           ;   in Loop: Header=BB281_1005 Depth=1
	s_or_b32 exec_lo, exec_lo, s16
.LBB281_1655:                           ;   in Loop: Header=BB281_1005 Depth=1
	s_delay_alu instid0(SALU_CYCLE_1)
	s_or_b32 exec_lo, exec_lo, s15
.LBB281_1656:                           ;   in Loop: Header=BB281_1005 Depth=1
	s_delay_alu instid0(SALU_CYCLE_1)
	s_or_b32 exec_lo, exec_lo, s14
	v_mov_b32_e32 v0, 0
	s_mov_b32 s14, exec_lo
	v_cmpx_lt_u64_e64 s[2:3], v[38:39]
	s_cbranch_execz .LBB281_1664
; %bb.1657:                             ;   in Loop: Header=BB281_1005 Depth=1
	v_lshrrev_b32_e32 v6, 24, v39
	v_bfrev_b32_e32 v0, 1
	s_mov_b32 s15, exec_lo
	s_delay_alu instid0(VALU_DEP_2)
	v_cmpx_ne_u32_e32 0x80, v6
	s_cbranch_execz .LBB281_1663
; %bb.1658:                             ;   in Loop: Header=BB281_1005 Depth=1
	v_and_b32_e32 v23, 0x7f, v6
	v_mov_b32_e32 v0, 0x7c010000
	s_mov_b32 s16, exec_lo
	s_delay_alu instid0(VALU_DEP_2)
	v_cmpx_ne_u32_e32 0x7f, v23
	s_cbranch_execz .LBB281_1662
; %bb.1659:                             ;   in Loop: Header=BB281_1005 Depth=1
	v_dual_lshrrev_b32 v22, 3, v23 :: v_dual_bitop2_b32 v0, 7, v6 bitop3:0x40
	s_mov_b32 s17, exec_lo
	v_cmpx_gt_u32_e32 8, v23
; %bb.1660:                             ;   in Loop: Header=BB281_1005 Depth=1
	s_delay_alu instid0(VALU_DEP_2) | instskip(NEXT) | instid1(VALU_DEP_1)
	v_clz_i32_u32_e32 v0, v0
	v_min_u32_e32 v0, 32, v0
	s_delay_alu instid0(VALU_DEP_1) | instskip(NEXT) | instid1(VALU_DEP_1)
	v_subrev_nc_u32_e32 v22, 28, v0
	v_lshlrev_b64_e32 v[38:39], v22, v[6:7]
	s_delay_alu instid0(VALU_DEP_1)
	v_dual_sub_nc_u32 v22, 29, v0 :: v_dual_bitop2_b32 v0, 7, v38 bitop3:0x40
; %bb.1661:                             ;   in Loop: Header=BB281_1005 Depth=1
	s_or_b32 exec_lo, exec_lo, s17
	s_delay_alu instid0(VALU_DEP_1) | instskip(NEXT) | instid1(VALU_DEP_2)
	v_dual_lshlrev_b32 v6, 8, v6 :: v_dual_lshlrev_b32 v0, 23, v0
	v_lshl_add_u32 v22, v22, 10, 0x2000
	s_delay_alu instid0(VALU_DEP_1) | instskip(NEXT) | instid1(VALU_DEP_1)
	v_and_or_b32 v6, 0x8000, v6, v22
	v_lshl_or_b32 v0, v6, 16, v0
.LBB281_1662:                           ;   in Loop: Header=BB281_1005 Depth=1
	s_or_b32 exec_lo, exec_lo, s16
.LBB281_1663:                           ;   in Loop: Header=BB281_1005 Depth=1
	s_delay_alu instid0(SALU_CYCLE_1)
	s_or_b32 exec_lo, exec_lo, s15
.LBB281_1664:                           ;   in Loop: Header=BB281_1005 Depth=1
	s_delay_alu instid0(SALU_CYCLE_1) | instskip(SKIP_2) | instid1(VALU_DEP_2)
	s_or_b32 exec_lo, exec_lo, s14
	v_dual_lshrrev_b32 v6, 16, v1 :: v_dual_bitop2_b32 v1, v1, v8 bitop3:0x54
	v_dual_lshrrev_b32 v22, 16, v9 :: v_dual_bitop2_b32 v16, v9, v16 bitop3:0x54
	v_cvt_f32_f16_e32 v9, v6
	v_dual_lshrrev_b32 v18, 16, v19 :: v_dual_bitop2_b32 v6, v0, v18 bitop3:0x54
	s_delay_alu instid0(VALU_DEP_3)
	v_cvt_f32_f16_e32 v8, v22
	v_dual_lshrrev_b32 v22, 16, v0 :: v_dual_bitop2_b32 v19, v19, v17 bitop3:0x54
	v_cvt_f32_f16_e32 v0, v16
	v_cvt_f32_f16_e32 v1, v1
	s_wait_loadcnt_dscnt 0x0
	v_pk_mul_f32 v[8:9], v[36:37], v[8:9] op_sel_hi:[0,1]
	v_cvt_f32_f16_e32 v17, v18
	v_cvt_f32_f16_e32 v16, v22
	;; [unrolled: 1-line block ×4, first 2 shown]
	v_pk_mul_f32 v[0:1], v[36:37], v[0:1] op_sel_hi:[0,1]
	v_cvt_pk_f16_f32 v6, v8, v9
	v_pk_mul_f32 v[8:9], v[36:37], v[16:17] op_sel_hi:[0,1]
	s_delay_alu instid0(VALU_DEP_4) | instskip(NEXT) | instid1(VALU_DEP_4)
	v_pk_mul_f32 v[16:17], v[36:37], v[18:19] op_sel_hi:[0,1]
	v_cvt_pk_f16_f32 v0, v0, v1
	s_delay_alu instid0(VALU_DEP_4) | instskip(NEXT) | instid1(VALU_DEP_4)
	v_and_b32_e32 v19, 0xffff0000, v6
	v_cvt_pk_f16_f32 v8, v8, v9
	v_lshlrev_b32_e32 v36, 16, v6
	v_cvt_pk_f16_f32 v6, v16, v17
	v_lshrrev_b32_e32 v49, 16, v0
	v_and_b32_e32 v50, 0xffff, v0
	v_and_b32_e32 v1, 0xffff0000, v8
	s_delay_alu instid0(VALU_DEP_4) | instskip(SKIP_3) | instid1(VALU_DEP_4)
	v_dual_lshlrev_b32 v0, 16, v8 :: v_dual_lshrrev_b32 v9, 16, v6
	v_and_b32_e32 v6, 0xffff, v6
	v_or_b32_e32 v39, v19, v49
	v_or_b32_e32 v48, v36, v50
	;; [unrolled: 1-line block ×3, first 2 shown]
	s_delay_alu instid0(VALU_DEP_4)
	v_or_b32_e32 v38, v0, v6
	s_and_saveexec_b32 s14, vcc_lo
	s_cbranch_execz .LBB281_1666
; %bb.1665:                             ;   in Loop: Header=BB281_1005 Depth=1
	v_cmp_lt_i32_e64 s0, v68, v13
	s_delay_alu instid0(VALU_DEP_1) | instskip(SKIP_1) | instid1(VALU_DEP_1)
	v_cndmask_b32_e64 v8, 0, v49, s0
	v_cmp_lt_i32_e64 s0, v83, v12
	v_cndmask_b32_e64 v16, 0, v50, s0
	v_cmp_lt_i32_e64 s0, v82, v13
	s_delay_alu instid0(VALU_DEP_1) | instskip(SKIP_1) | instid1(VALU_DEP_1)
	v_cndmask_b32_e64 v17, 0, v19, s0
	v_cmp_lt_i32_e64 s0, v81, v12
	v_cndmask_b32_e64 v18, 0, v36, s0
	v_cmp_lt_i32_e64 s0, v80, v13
	s_delay_alu instid0(VALU_DEP_4) | instskip(NEXT) | instid1(VALU_DEP_2)
	v_or_b32_e32 v39, v8, v17
	v_dual_cndmask_b32 v9, 0, v9, s0 :: v_dual_bitop2_b32 v48, v16, v18 bitop3:0x54
	v_cmp_lt_i32_e64 s0, v71, v12
	s_delay_alu instid0(VALU_DEP_1) | instskip(SKIP_1) | instid1(VALU_DEP_1)
	v_cndmask_b32_e64 v6, 0, v6, s0
	v_cmp_lt_i32_e64 s0, v70, v13
	v_cndmask_b32_e64 v1, 0, v1, s0
	v_cmp_lt_i32_e64 s0, v69, v12
	s_delay_alu instid0(VALU_DEP_1) | instskip(NEXT) | instid1(VALU_DEP_1)
	v_dual_cndmask_b32 v0, 0, v0, s0 :: v_dual_bitop2_b32 v37, v9, v1 bitop3:0x54
	v_or_b32_e32 v38, v6, v0
.LBB281_1666:                           ;   in Loop: Header=BB281_1005 Depth=1
	s_or_b32 exec_lo, exec_lo, s14
	;;#ASMSTART
	v_pk_mul_f16 v0, v96, v39;

	;;#ASMEND
	;;#ASMSTART
	v_pk_mul_f16 v1, v86, v48;

	;;#ASMEND
	;; [unrolled: 4-line block ×4, first 2 shown]
	;;#ASMSTART
	v_pk_add_f16 v0, v0, v1;

	;;#ASMEND
	;;#ASMSTART
	v_pk_add_f16 v0, v0, v6;

	;;#ASMEND
	;; [unrolled: 4-line block ×3, first 2 shown]
	v_and_b32_e32 v1, 0xffff, v0
	v_lshrrev_b32_e32 v0, 16, v0
	;;#ASMSTART
	v_cvt_f32_f16 v42, v1;
	;;#ASMEND
	;;#ASMSTART
	v_cvt_f32_f16 v43, v0;
	;;#ASMEND
	flat_load_b64 v[38:39], v[28:29] offset:2560
	scratch_load_b64 v[0:1], off, s32 offset:192 ; 8-byte Folded Reload
	v_mov_b32_e32 v8, 0
	s_mov_b32 s14, exec_lo
	s_wait_loadcnt 0x0
	flat_load_b32 v36, v[0:1]
	s_wait_dscnt 0x1
	s_wait_xcnt 0x0
	v_and_b32_e32 v0, 0xff, v38
	v_mov_b32_e32 v1, 0
	s_delay_alu instid0(VALU_DEP_2)
	v_cmpx_ne_u16_e32 0, v0
	s_cbranch_execz .LBB281_1674
; %bb.1667:                             ;   in Loop: Header=BB281_1005 Depth=1
	v_mov_b32_e32 v8, 0x8000
	s_mov_b32 s15, exec_lo
	v_cmpx_ne_u16_e32 0x80, v0
	s_cbranch_execz .LBB281_1673
; %bb.1668:                             ;   in Loop: Header=BB281_1005 Depth=1
	v_and_b32_e32 v9, 0x7f, v38
	v_mov_b32_e32 v8, 0x7c01
	s_mov_b32 s16, exec_lo
	s_delay_alu instid0(VALU_DEP_2)
	v_cmpx_ne_u32_e32 0x7f, v9
	s_cbranch_execz .LBB281_1672
; %bb.1669:                             ;   in Loop: Header=BB281_1005 Depth=1
	v_dual_lshrrev_b32 v6, 3, v9 :: v_dual_bitop2_b32 v0, 7, v38 bitop3:0x40
	s_mov_b32 s17, exec_lo
	v_cmpx_gt_u32_e32 8, v9
; %bb.1670:                             ;   in Loop: Header=BB281_1005 Depth=1
	s_delay_alu instid0(VALU_DEP_2) | instskip(NEXT) | instid1(VALU_DEP_1)
	v_clz_i32_u32_e32 v0, v0
	v_min_u32_e32 v0, 32, v0
	s_delay_alu instid0(VALU_DEP_1) | instskip(NEXT) | instid1(VALU_DEP_1)
	v_subrev_nc_u32_e32 v6, 28, v0
	v_lshlrev_b64_e32 v[8:9], v6, v[38:39]
	v_sub_nc_u32_e32 v6, 29, v0
	s_delay_alu instid0(VALU_DEP_2)
	v_and_b32_e32 v0, 7, v8
; %bb.1671:                             ;   in Loop: Header=BB281_1005 Depth=1
	s_or_b32 exec_lo, exec_lo, s17
	s_delay_alu instid0(VALU_DEP_1) | instskip(NEXT) | instid1(VALU_DEP_3)
	v_dual_lshlrev_b32 v8, 8, v38 :: v_dual_lshlrev_b32 v0, 7, v0
	v_lshl_add_u32 v6, v6, 10, 0x2000
	s_delay_alu instid0(VALU_DEP_2) | instskip(NEXT) | instid1(VALU_DEP_2)
	v_and_b32_e32 v8, 0x8000, v8
	v_and_b32_e32 v6, 0xfc00, v6
	s_delay_alu instid0(VALU_DEP_1)
	v_or3_b32 v8, v8, v6, v0
.LBB281_1672:                           ;   in Loop: Header=BB281_1005 Depth=1
	s_or_b32 exec_lo, exec_lo, s16
.LBB281_1673:                           ;   in Loop: Header=BB281_1005 Depth=1
	s_delay_alu instid0(SALU_CYCLE_1)
	s_or_b32 exec_lo, exec_lo, s15
.LBB281_1674:                           ;   in Loop: Header=BB281_1005 Depth=1
	s_delay_alu instid0(SALU_CYCLE_1) | instskip(SKIP_2) | instid1(VALU_DEP_1)
	s_or_b32 exec_lo, exec_lo, s14
	v_lshrrev_b16 v6, 8, v38
	s_mov_b32 s14, exec_lo
	v_cmpx_ne_u16_e32 0, v6
	s_cbranch_execz .LBB281_1682
; %bb.1675:                             ;   in Loop: Header=BB281_1005 Depth=1
	v_bfrev_b32_e32 v1, 1
	s_mov_b32 s15, exec_lo
	v_cmpx_ne_u16_e32 0x80, v6
	s_cbranch_execz .LBB281_1681
; %bb.1676:                             ;   in Loop: Header=BB281_1005 Depth=1
	v_and_b32_e32 v0, 0xffff, v6
	v_mov_b32_e32 v1, 0x7c010000
	s_mov_b32 s16, exec_lo
	s_delay_alu instid0(VALU_DEP_2) | instskip(NEXT) | instid1(VALU_DEP_1)
	v_and_b32_e32 v16, 0x7f, v0
	v_cmpx_ne_u32_e32 0x7f, v16
	s_cbranch_execz .LBB281_1680
; %bb.1677:                             ;   in Loop: Header=BB281_1005 Depth=1
	v_and_b32_e32 v1, 7, v0
	v_lshrrev_b32_e32 v9, 3, v16
	s_mov_b32 s17, exec_lo
	v_cmpx_gt_u32_e32 8, v16
; %bb.1678:                             ;   in Loop: Header=BB281_1005 Depth=1
	s_delay_alu instid0(VALU_DEP_3) | instskip(NEXT) | instid1(VALU_DEP_1)
	v_clz_i32_u32_e32 v1, v1
	v_min_u32_e32 v1, 32, v1
	s_delay_alu instid0(VALU_DEP_1) | instskip(NEXT) | instid1(VALU_DEP_1)
	v_subrev_nc_u32_e32 v9, 28, v1
	v_lshlrev_b64_e32 v[16:17], v9, v[6:7]
	s_delay_alu instid0(VALU_DEP_1)
	v_dual_sub_nc_u32 v9, 29, v1 :: v_dual_bitop2_b32 v1, 7, v16 bitop3:0x40
; %bb.1679:                             ;   in Loop: Header=BB281_1005 Depth=1
	s_or_b32 exec_lo, exec_lo, s17
	s_delay_alu instid0(VALU_DEP_1) | instskip(NEXT) | instid1(VALU_DEP_2)
	v_dual_lshlrev_b32 v0, 8, v0 :: v_dual_lshlrev_b32 v1, 23, v1
	v_lshl_add_u32 v6, v9, 10, 0x2000
	s_delay_alu instid0(VALU_DEP_1) | instskip(NEXT) | instid1(VALU_DEP_1)
	v_and_or_b32 v0, 0x8000, v0, v6
	v_lshl_or_b32 v1, v0, 16, v1
.LBB281_1680:                           ;   in Loop: Header=BB281_1005 Depth=1
	s_or_b32 exec_lo, exec_lo, s16
.LBB281_1681:                           ;   in Loop: Header=BB281_1005 Depth=1
	s_delay_alu instid0(SALU_CYCLE_1)
	s_or_b32 exec_lo, exec_lo, s15
.LBB281_1682:                           ;   in Loop: Header=BB281_1005 Depth=1
	s_delay_alu instid0(SALU_CYCLE_1) | instskip(SKIP_3) | instid1(VALU_DEP_2)
	s_or_b32 exec_lo, exec_lo, s14
	v_dual_mov_b32 v9, 0 :: v_dual_lshrrev_b32 v0, 16, v38
	v_mov_b32_e32 v16, 0
	s_mov_b32 s14, exec_lo
	v_and_b32_e32 v6, 0xff, v0
	s_delay_alu instid0(VALU_DEP_1)
	v_cmpx_ne_u16_e32 0, v6
	s_cbranch_execz .LBB281_1690
; %bb.1683:                             ;   in Loop: Header=BB281_1005 Depth=1
	v_mov_b32_e32 v16, 0x8000
	s_mov_b32 s15, exec_lo
	v_cmpx_ne_u16_e32 0x80, v6
	s_cbranch_execz .LBB281_1689
; %bb.1684:                             ;   in Loop: Header=BB281_1005 Depth=1
	v_bfe_u32 v17, v38, 16, 7
	v_mov_b32_e32 v16, 0x7c01
	s_mov_b32 s16, exec_lo
	s_delay_alu instid0(VALU_DEP_2)
	v_cmpx_ne_u32_e32 0x7f, v17
	s_cbranch_execz .LBB281_1688
; %bb.1685:                             ;   in Loop: Header=BB281_1005 Depth=1
	v_dual_lshrrev_b32 v16, 3, v17 :: v_dual_bitop2_b32 v6, 7, v0 bitop3:0x40
	s_mov_b32 s17, exec_lo
	v_cmpx_gt_u32_e32 8, v17
; %bb.1686:                             ;   in Loop: Header=BB281_1005 Depth=1
	s_delay_alu instid0(VALU_DEP_2) | instskip(NEXT) | instid1(VALU_DEP_1)
	v_clz_i32_u32_e32 v6, v6
	v_min_u32_e32 v6, 32, v6
	s_delay_alu instid0(VALU_DEP_1) | instskip(NEXT) | instid1(VALU_DEP_1)
	v_subrev_nc_u32_e32 v16, 28, v6
	v_lshlrev_b64_e32 v[18:19], v16, v[0:1]
	v_sub_nc_u32_e32 v16, 29, v6
	s_delay_alu instid0(VALU_DEP_2)
	v_and_b32_e32 v6, 7, v18
; %bb.1687:                             ;   in Loop: Header=BB281_1005 Depth=1
	s_or_b32 exec_lo, exec_lo, s17
	s_delay_alu instid0(VALU_DEP_1) | instskip(NEXT) | instid1(VALU_DEP_3)
	v_dual_lshlrev_b32 v0, 8, v0 :: v_dual_lshlrev_b32 v6, 7, v6
	v_lshl_add_u32 v16, v16, 10, 0x2000
	s_delay_alu instid0(VALU_DEP_2) | instskip(NEXT) | instid1(VALU_DEP_2)
	v_and_b32_e32 v0, 0x8000, v0
	v_and_b32_e32 v16, 0xfc00, v16
	s_delay_alu instid0(VALU_DEP_1)
	v_or3_b32 v16, v0, v16, v6
.LBB281_1688:                           ;   in Loop: Header=BB281_1005 Depth=1
	s_or_b32 exec_lo, exec_lo, s16
.LBB281_1689:                           ;   in Loop: Header=BB281_1005 Depth=1
	s_delay_alu instid0(SALU_CYCLE_1)
	s_or_b32 exec_lo, exec_lo, s15
.LBB281_1690:                           ;   in Loop: Header=BB281_1005 Depth=1
	s_delay_alu instid0(SALU_CYCLE_1) | instskip(NEXT) | instid1(SALU_CYCLE_1)
	s_or_b32 exec_lo, exec_lo, s14
	s_mov_b32 s14, exec_lo
	v_cmpx_lt_u32_e32 0xffffff, v38
	s_cbranch_execz .LBB281_1698
; %bb.1691:                             ;   in Loop: Header=BB281_1005 Depth=1
	v_lshrrev_b32_e32 v6, 24, v38
	v_bfrev_b32_e32 v9, 1
	s_mov_b32 s15, exec_lo
	s_delay_alu instid0(VALU_DEP_2)
	v_cmpx_ne_u32_e32 0x80, v6
	s_cbranch_execz .LBB281_1697
; %bb.1692:                             ;   in Loop: Header=BB281_1005 Depth=1
	v_and_b32_e32 v17, 0x7f, v6
	v_mov_b32_e32 v9, 0x7c010000
	s_mov_b32 s16, exec_lo
	s_delay_alu instid0(VALU_DEP_2)
	v_cmpx_ne_u32_e32 0x7f, v17
	s_cbranch_execz .LBB281_1696
; %bb.1693:                             ;   in Loop: Header=BB281_1005 Depth=1
	v_dual_lshrrev_b32 v9, 3, v17 :: v_dual_bitop2_b32 v0, 7, v6 bitop3:0x40
	s_mov_b32 s17, exec_lo
	v_cmpx_gt_u32_e32 8, v17
; %bb.1694:                             ;   in Loop: Header=BB281_1005 Depth=1
	s_delay_alu instid0(VALU_DEP_2) | instskip(NEXT) | instid1(VALU_DEP_1)
	v_clz_i32_u32_e32 v0, v0
	v_min_u32_e32 v0, 32, v0
	s_delay_alu instid0(VALU_DEP_1) | instskip(NEXT) | instid1(VALU_DEP_1)
	v_subrev_nc_u32_e32 v9, 28, v0
	v_lshlrev_b64_e32 v[18:19], v9, v[6:7]
	s_delay_alu instid0(VALU_DEP_1)
	v_dual_sub_nc_u32 v9, 29, v0 :: v_dual_bitop2_b32 v0, 7, v18 bitop3:0x40
; %bb.1695:                             ;   in Loop: Header=BB281_1005 Depth=1
	s_or_b32 exec_lo, exec_lo, s17
	s_delay_alu instid0(VALU_DEP_1) | instskip(NEXT) | instid1(VALU_DEP_2)
	v_dual_lshlrev_b32 v6, 8, v6 :: v_dual_lshlrev_b32 v0, 23, v0
	v_lshl_add_u32 v9, v9, 10, 0x2000
	s_delay_alu instid0(VALU_DEP_1) | instskip(NEXT) | instid1(VALU_DEP_1)
	v_and_or_b32 v6, 0x8000, v6, v9
	v_lshl_or_b32 v9, v6, 16, v0
.LBB281_1696:                           ;   in Loop: Header=BB281_1005 Depth=1
	s_or_b32 exec_lo, exec_lo, s16
.LBB281_1697:                           ;   in Loop: Header=BB281_1005 Depth=1
	s_delay_alu instid0(SALU_CYCLE_1)
	s_or_b32 exec_lo, exec_lo, s15
.LBB281_1698:                           ;   in Loop: Header=BB281_1005 Depth=1
	s_delay_alu instid0(SALU_CYCLE_1) | instskip(SKIP_4) | instid1(VALU_DEP_3)
	s_or_b32 exec_lo, exec_lo, s14
	v_and_b32_e32 v0, 0xff, v39
	v_dual_mov_b32 v6, v39 :: v_dual_mov_b32 v18, 0
	v_mov_b32_e32 v17, 0
	s_mov_b32 s14, exec_lo
	v_cmpx_ne_u16_e32 0, v0
	s_cbranch_execz .LBB281_1706
; %bb.1699:                             ;   in Loop: Header=BB281_1005 Depth=1
	v_mov_b32_e32 v17, 0x8000
	s_mov_b32 s15, exec_lo
	v_cmpx_ne_u16_e32 0x80, v0
	s_cbranch_execz .LBB281_1705
; %bb.1700:                             ;   in Loop: Header=BB281_1005 Depth=1
	v_and_b32_e32 v19, 0x7f, v39
	v_mov_b32_e32 v17, 0x7c01
	s_mov_b32 s16, exec_lo
	s_delay_alu instid0(VALU_DEP_2)
	v_cmpx_ne_u32_e32 0x7f, v19
	s_cbranch_execz .LBB281_1704
; %bb.1701:                             ;   in Loop: Header=BB281_1005 Depth=1
	v_and_b32_e32 v0, 7, v39
	v_lshrrev_b32_e32 v17, 3, v19
	s_mov_b32 s17, exec_lo
	v_cmpx_gt_u32_e32 8, v19
; %bb.1702:                             ;   in Loop: Header=BB281_1005 Depth=1
	s_delay_alu instid0(VALU_DEP_3) | instskip(NEXT) | instid1(VALU_DEP_1)
	v_clz_i32_u32_e32 v0, v0
	v_min_u32_e32 v0, 32, v0
	s_delay_alu instid0(VALU_DEP_1) | instskip(NEXT) | instid1(VALU_DEP_1)
	v_subrev_nc_u32_e32 v17, 28, v0
	v_lshlrev_b64_e32 v[22:23], v17, v[6:7]
	s_delay_alu instid0(VALU_DEP_1)
	v_dual_sub_nc_u32 v17, 29, v0 :: v_dual_bitop2_b32 v0, 7, v22 bitop3:0x40
; %bb.1703:                             ;   in Loop: Header=BB281_1005 Depth=1
	s_or_b32 exec_lo, exec_lo, s17
	s_delay_alu instid0(VALU_DEP_1) | instskip(NEXT) | instid1(VALU_DEP_2)
	v_dual_lshlrev_b32 v19, 8, v39 :: v_dual_lshlrev_b32 v0, 7, v0
	v_lshl_add_u32 v17, v17, 10, 0x2000
	s_delay_alu instid0(VALU_DEP_2) | instskip(NEXT) | instid1(VALU_DEP_2)
	v_and_b32_e32 v19, 0x8000, v19
	v_and_b32_e32 v17, 0xfc00, v17
	s_delay_alu instid0(VALU_DEP_1)
	v_or3_b32 v17, v19, v17, v0
.LBB281_1704:                           ;   in Loop: Header=BB281_1005 Depth=1
	s_or_b32 exec_lo, exec_lo, s16
.LBB281_1705:                           ;   in Loop: Header=BB281_1005 Depth=1
	s_delay_alu instid0(SALU_CYCLE_1)
	s_or_b32 exec_lo, exec_lo, s15
.LBB281_1706:                           ;   in Loop: Header=BB281_1005 Depth=1
	s_delay_alu instid0(SALU_CYCLE_1) | instskip(SKIP_3) | instid1(VALU_DEP_2)
	s_or_b32 exec_lo, exec_lo, s14
	v_lshrrev_b16 v6, 8, v6
	v_mov_b32_e32 v19, 0
	s_mov_b32 s14, exec_lo
	v_cmpx_ne_u16_e32 0, v6
	s_cbranch_execz .LBB281_1714
; %bb.1707:                             ;   in Loop: Header=BB281_1005 Depth=1
	v_bfrev_b32_e32 v19, 1
	s_mov_b32 s15, exec_lo
	v_cmpx_ne_u16_e32 0x80, v6
	s_cbranch_execz .LBB281_1713
; %bb.1708:                             ;   in Loop: Header=BB281_1005 Depth=1
	v_and_b32_e32 v0, 0xffff, v6
	v_mov_b32_e32 v19, 0x7c010000
	s_mov_b32 s16, exec_lo
	s_delay_alu instid0(VALU_DEP_2) | instskip(NEXT) | instid1(VALU_DEP_1)
	v_and_b32_e32 v23, 0x7f, v0
	v_cmpx_ne_u32_e32 0x7f, v23
	s_cbranch_execz .LBB281_1712
; %bb.1709:                             ;   in Loop: Header=BB281_1005 Depth=1
	v_dual_lshrrev_b32 v22, 3, v23 :: v_dual_bitop2_b32 v19, 7, v0 bitop3:0x40
	s_mov_b32 s17, exec_lo
	v_cmpx_gt_u32_e32 8, v23
; %bb.1710:                             ;   in Loop: Header=BB281_1005 Depth=1
	s_delay_alu instid0(VALU_DEP_2) | instskip(NEXT) | instid1(VALU_DEP_1)
	v_clz_i32_u32_e32 v19, v19
	v_min_u32_e32 v19, 32, v19
	s_delay_alu instid0(VALU_DEP_1) | instskip(NEXT) | instid1(VALU_DEP_1)
	v_subrev_nc_u32_e32 v22, 28, v19
	v_lshlrev_b64_e32 v[48:49], v22, v[6:7]
	s_delay_alu instid0(VALU_DEP_1)
	v_dual_sub_nc_u32 v22, 29, v19 :: v_dual_bitop2_b32 v19, 7, v48 bitop3:0x40
; %bb.1711:                             ;   in Loop: Header=BB281_1005 Depth=1
	s_or_b32 exec_lo, exec_lo, s17
	v_lshlrev_b32_e32 v0, 8, v0
	s_delay_alu instid0(VALU_DEP_2) | instskip(NEXT) | instid1(VALU_DEP_1)
	v_lshl_add_u32 v6, v22, 10, 0x2000
	v_and_or_b32 v0, 0x8000, v0, v6
	v_lshlrev_b32_e32 v6, 23, v19
	s_delay_alu instid0(VALU_DEP_1)
	v_lshl_or_b32 v19, v0, 16, v6
.LBB281_1712:                           ;   in Loop: Header=BB281_1005 Depth=1
	s_or_b32 exec_lo, exec_lo, s16
.LBB281_1713:                           ;   in Loop: Header=BB281_1005 Depth=1
	s_delay_alu instid0(SALU_CYCLE_1)
	s_or_b32 exec_lo, exec_lo, s15
.LBB281_1714:                           ;   in Loop: Header=BB281_1005 Depth=1
	s_delay_alu instid0(SALU_CYCLE_1) | instskip(SKIP_2) | instid1(VALU_DEP_1)
	s_or_b32 exec_lo, exec_lo, s14
	v_lshrrev_b32_e32 v0, 16, v39
	s_mov_b32 s14, exec_lo
	v_and_b32_e32 v6, 0xff, v0
	s_delay_alu instid0(VALU_DEP_1)
	v_cmpx_ne_u16_e32 0, v6
	s_cbranch_execz .LBB281_1722
; %bb.1715:                             ;   in Loop: Header=BB281_1005 Depth=1
	v_mov_b32_e32 v18, 0x8000
	s_mov_b32 s15, exec_lo
	v_cmpx_ne_u16_e32 0x80, v6
	s_cbranch_execz .LBB281_1721
; %bb.1716:                             ;   in Loop: Header=BB281_1005 Depth=1
	v_bfe_u32 v22, v39, 16, 7
	v_mov_b32_e32 v18, 0x7c01
	s_mov_b32 s16, exec_lo
	s_delay_alu instid0(VALU_DEP_2)
	v_cmpx_ne_u32_e32 0x7f, v22
	s_cbranch_execz .LBB281_1720
; %bb.1717:                             ;   in Loop: Header=BB281_1005 Depth=1
	v_dual_lshrrev_b32 v18, 3, v22 :: v_dual_bitop2_b32 v6, 7, v0 bitop3:0x40
	s_mov_b32 s17, exec_lo
	v_cmpx_gt_u32_e32 8, v22
; %bb.1718:                             ;   in Loop: Header=BB281_1005 Depth=1
	s_delay_alu instid0(VALU_DEP_2) | instskip(NEXT) | instid1(VALU_DEP_1)
	v_clz_i32_u32_e32 v6, v6
	v_min_u32_e32 v6, 32, v6
	s_delay_alu instid0(VALU_DEP_1) | instskip(NEXT) | instid1(VALU_DEP_1)
	v_subrev_nc_u32_e32 v18, 28, v6
	v_lshlrev_b64_e32 v[22:23], v18, v[0:1]
	v_sub_nc_u32_e32 v18, 29, v6
	s_delay_alu instid0(VALU_DEP_2)
	v_and_b32_e32 v6, 7, v22
; %bb.1719:                             ;   in Loop: Header=BB281_1005 Depth=1
	s_or_b32 exec_lo, exec_lo, s17
	s_delay_alu instid0(VALU_DEP_1) | instskip(NEXT) | instid1(VALU_DEP_3)
	v_dual_lshlrev_b32 v0, 8, v0 :: v_dual_lshlrev_b32 v6, 7, v6
	v_lshl_add_u32 v18, v18, 10, 0x2000
	s_delay_alu instid0(VALU_DEP_2) | instskip(NEXT) | instid1(VALU_DEP_2)
	v_and_b32_e32 v0, 0x8000, v0
	v_and_b32_e32 v18, 0xfc00, v18
	s_delay_alu instid0(VALU_DEP_1)
	v_or3_b32 v18, v0, v18, v6
.LBB281_1720:                           ;   in Loop: Header=BB281_1005 Depth=1
	s_or_b32 exec_lo, exec_lo, s16
.LBB281_1721:                           ;   in Loop: Header=BB281_1005 Depth=1
	s_delay_alu instid0(SALU_CYCLE_1)
	s_or_b32 exec_lo, exec_lo, s15
.LBB281_1722:                           ;   in Loop: Header=BB281_1005 Depth=1
	s_delay_alu instid0(SALU_CYCLE_1)
	s_or_b32 exec_lo, exec_lo, s14
	v_mov_b32_e32 v0, 0
	s_mov_b32 s14, exec_lo
	v_cmpx_lt_u64_e64 s[2:3], v[38:39]
	s_cbranch_execz .LBB281_1730
; %bb.1723:                             ;   in Loop: Header=BB281_1005 Depth=1
	v_lshrrev_b32_e32 v6, 24, v39
	v_bfrev_b32_e32 v0, 1
	s_mov_b32 s15, exec_lo
	s_delay_alu instid0(VALU_DEP_2)
	v_cmpx_ne_u32_e32 0x80, v6
	s_cbranch_execz .LBB281_1729
; %bb.1724:                             ;   in Loop: Header=BB281_1005 Depth=1
	v_and_b32_e32 v23, 0x7f, v6
	v_mov_b32_e32 v0, 0x7c010000
	s_mov_b32 s16, exec_lo
	s_delay_alu instid0(VALU_DEP_2)
	v_cmpx_ne_u32_e32 0x7f, v23
	s_cbranch_execz .LBB281_1728
; %bb.1725:                             ;   in Loop: Header=BB281_1005 Depth=1
	v_dual_lshrrev_b32 v22, 3, v23 :: v_dual_bitop2_b32 v0, 7, v6 bitop3:0x40
	s_mov_b32 s17, exec_lo
	v_cmpx_gt_u32_e32 8, v23
; %bb.1726:                             ;   in Loop: Header=BB281_1005 Depth=1
	s_delay_alu instid0(VALU_DEP_2) | instskip(NEXT) | instid1(VALU_DEP_1)
	v_clz_i32_u32_e32 v0, v0
	v_min_u32_e32 v0, 32, v0
	s_delay_alu instid0(VALU_DEP_1) | instskip(NEXT) | instid1(VALU_DEP_1)
	v_subrev_nc_u32_e32 v22, 28, v0
	v_lshlrev_b64_e32 v[38:39], v22, v[6:7]
	s_delay_alu instid0(VALU_DEP_1)
	v_dual_sub_nc_u32 v22, 29, v0 :: v_dual_bitop2_b32 v0, 7, v38 bitop3:0x40
; %bb.1727:                             ;   in Loop: Header=BB281_1005 Depth=1
	s_or_b32 exec_lo, exec_lo, s17
	s_delay_alu instid0(VALU_DEP_1) | instskip(NEXT) | instid1(VALU_DEP_2)
	v_dual_lshlrev_b32 v6, 8, v6 :: v_dual_lshlrev_b32 v0, 23, v0
	v_lshl_add_u32 v22, v22, 10, 0x2000
	s_delay_alu instid0(VALU_DEP_1) | instskip(NEXT) | instid1(VALU_DEP_1)
	v_and_or_b32 v6, 0x8000, v6, v22
	v_lshl_or_b32 v0, v6, 16, v0
.LBB281_1728:                           ;   in Loop: Header=BB281_1005 Depth=1
	s_or_b32 exec_lo, exec_lo, s16
.LBB281_1729:                           ;   in Loop: Header=BB281_1005 Depth=1
	s_delay_alu instid0(SALU_CYCLE_1)
	s_or_b32 exec_lo, exec_lo, s15
.LBB281_1730:                           ;   in Loop: Header=BB281_1005 Depth=1
	s_delay_alu instid0(SALU_CYCLE_1) | instskip(SKIP_2) | instid1(VALU_DEP_2)
	s_or_b32 exec_lo, exec_lo, s14
	v_dual_lshrrev_b32 v6, 16, v1 :: v_dual_bitop2_b32 v1, v1, v8 bitop3:0x54
	v_dual_lshrrev_b32 v22, 16, v9 :: v_dual_bitop2_b32 v16, v9, v16 bitop3:0x54
	v_cvt_f32_f16_e32 v9, v6
	v_dual_lshrrev_b32 v18, 16, v19 :: v_dual_bitop2_b32 v6, v0, v18 bitop3:0x54
	s_delay_alu instid0(VALU_DEP_3)
	v_cvt_f32_f16_e32 v8, v22
	v_dual_lshrrev_b32 v22, 16, v0 :: v_dual_bitop2_b32 v19, v19, v17 bitop3:0x54
	v_cvt_f32_f16_e32 v0, v16
	v_cvt_f32_f16_e32 v1, v1
	s_wait_loadcnt_dscnt 0x0
	v_pk_mul_f32 v[8:9], v[36:37], v[8:9] op_sel_hi:[0,1]
	v_cvt_f32_f16_e32 v17, v18
	v_cvt_f32_f16_e32 v16, v22
	;; [unrolled: 1-line block ×4, first 2 shown]
	v_pk_mul_f32 v[0:1], v[36:37], v[0:1] op_sel_hi:[0,1]
	v_cvt_pk_f16_f32 v6, v8, v9
	v_pk_mul_f32 v[8:9], v[36:37], v[16:17] op_sel_hi:[0,1]
	s_delay_alu instid0(VALU_DEP_4) | instskip(NEXT) | instid1(VALU_DEP_4)
	v_pk_mul_f32 v[16:17], v[36:37], v[18:19] op_sel_hi:[0,1]
	v_cvt_pk_f16_f32 v0, v0, v1
	s_delay_alu instid0(VALU_DEP_4) | instskip(NEXT) | instid1(VALU_DEP_4)
	v_and_b32_e32 v19, 0xffff0000, v6
	v_cvt_pk_f16_f32 v8, v8, v9
	v_lshlrev_b32_e32 v36, 16, v6
	v_cvt_pk_f16_f32 v6, v16, v17
	v_lshrrev_b32_e32 v49, 16, v0
	v_and_b32_e32 v50, 0xffff, v0
	v_and_b32_e32 v1, 0xffff0000, v8
	s_delay_alu instid0(VALU_DEP_4) | instskip(SKIP_3) | instid1(VALU_DEP_4)
	v_dual_lshlrev_b32 v0, 16, v8 :: v_dual_lshrrev_b32 v9, 16, v6
	v_and_b32_e32 v6, 0xffff, v6
	v_or_b32_e32 v39, v19, v49
	v_or_b32_e32 v48, v36, v50
	;; [unrolled: 1-line block ×3, first 2 shown]
	s_delay_alu instid0(VALU_DEP_4)
	v_or_b32_e32 v38, v0, v6
	s_and_saveexec_b32 s14, vcc_lo
	s_cbranch_execz .LBB281_1732
; %bb.1731:                             ;   in Loop: Header=BB281_1005 Depth=1
	v_cmp_lt_i32_e64 s0, v68, v13
	s_delay_alu instid0(VALU_DEP_1) | instskip(SKIP_1) | instid1(VALU_DEP_1)
	v_cndmask_b32_e64 v8, 0, v49, s0
	v_cmp_lt_i32_e64 s0, v83, v12
	v_cndmask_b32_e64 v16, 0, v50, s0
	v_cmp_lt_i32_e64 s0, v82, v13
	s_delay_alu instid0(VALU_DEP_1) | instskip(SKIP_1) | instid1(VALU_DEP_1)
	v_cndmask_b32_e64 v17, 0, v19, s0
	v_cmp_lt_i32_e64 s0, v81, v12
	v_cndmask_b32_e64 v18, 0, v36, s0
	v_cmp_lt_i32_e64 s0, v80, v13
	s_delay_alu instid0(VALU_DEP_4) | instskip(NEXT) | instid1(VALU_DEP_2)
	v_or_b32_e32 v39, v8, v17
	v_dual_cndmask_b32 v9, 0, v9, s0 :: v_dual_bitop2_b32 v48, v16, v18 bitop3:0x54
	v_cmp_lt_i32_e64 s0, v71, v12
	s_delay_alu instid0(VALU_DEP_1) | instskip(SKIP_1) | instid1(VALU_DEP_1)
	v_cndmask_b32_e64 v6, 0, v6, s0
	v_cmp_lt_i32_e64 s0, v70, v13
	v_cndmask_b32_e64 v1, 0, v1, s0
	v_cmp_lt_i32_e64 s0, v69, v12
	s_delay_alu instid0(VALU_DEP_1) | instskip(NEXT) | instid1(VALU_DEP_1)
	v_dual_cndmask_b32 v0, 0, v0, s0 :: v_dual_bitop2_b32 v37, v9, v1 bitop3:0x54
	v_or_b32_e32 v38, v6, v0
.LBB281_1732:                           ;   in Loop: Header=BB281_1005 Depth=1
	s_or_b32 exec_lo, exec_lo, s14
	;;#ASMSTART
	v_pk_mul_f16 v0, v96, v39;

	;;#ASMEND
	;;#ASMSTART
	v_pk_mul_f16 v1, v86, v48;

	;;#ASMEND
	;; [unrolled: 4-line block ×4, first 2 shown]
	;;#ASMSTART
	v_pk_add_f16 v0, v0, v1;

	;;#ASMEND
	;;#ASMSTART
	v_pk_add_f16 v0, v0, v6;

	;;#ASMEND
	;; [unrolled: 4-line block ×3, first 2 shown]
	v_and_b32_e32 v1, 0xffff, v0
	v_lshrrev_b32_e32 v0, 16, v0
	;;#ASMSTART
	v_cvt_f32_f16 v44, v1;
	;;#ASMEND
	;;#ASMSTART
	v_cvt_f32_f16 v45, v0;
	;;#ASMEND
	flat_load_b64 v[38:39], v[28:29] offset:2816
	scratch_load_b64 v[0:1], off, s32 offset:192 ; 8-byte Folded Reload
	v_mov_b32_e32 v8, 0
	s_mov_b32 s14, exec_lo
	s_wait_loadcnt 0x0
	flat_load_b32 v36, v[0:1]
	s_wait_dscnt 0x1
	s_wait_xcnt 0x0
	v_and_b32_e32 v0, 0xff, v38
	v_mov_b32_e32 v1, 0
	s_delay_alu instid0(VALU_DEP_2)
	v_cmpx_ne_u16_e32 0, v0
	s_cbranch_execz .LBB281_1740
; %bb.1733:                             ;   in Loop: Header=BB281_1005 Depth=1
	v_mov_b32_e32 v8, 0x8000
	s_mov_b32 s15, exec_lo
	v_cmpx_ne_u16_e32 0x80, v0
	s_cbranch_execz .LBB281_1739
; %bb.1734:                             ;   in Loop: Header=BB281_1005 Depth=1
	v_and_b32_e32 v9, 0x7f, v38
	v_mov_b32_e32 v8, 0x7c01
	s_mov_b32 s16, exec_lo
	s_delay_alu instid0(VALU_DEP_2)
	v_cmpx_ne_u32_e32 0x7f, v9
	s_cbranch_execz .LBB281_1738
; %bb.1735:                             ;   in Loop: Header=BB281_1005 Depth=1
	v_dual_lshrrev_b32 v6, 3, v9 :: v_dual_bitop2_b32 v0, 7, v38 bitop3:0x40
	s_mov_b32 s17, exec_lo
	v_cmpx_gt_u32_e32 8, v9
; %bb.1736:                             ;   in Loop: Header=BB281_1005 Depth=1
	s_delay_alu instid0(VALU_DEP_2) | instskip(NEXT) | instid1(VALU_DEP_1)
	v_clz_i32_u32_e32 v0, v0
	v_min_u32_e32 v0, 32, v0
	s_delay_alu instid0(VALU_DEP_1) | instskip(NEXT) | instid1(VALU_DEP_1)
	v_subrev_nc_u32_e32 v6, 28, v0
	v_lshlrev_b64_e32 v[8:9], v6, v[38:39]
	v_sub_nc_u32_e32 v6, 29, v0
	s_delay_alu instid0(VALU_DEP_2)
	v_and_b32_e32 v0, 7, v8
; %bb.1737:                             ;   in Loop: Header=BB281_1005 Depth=1
	s_or_b32 exec_lo, exec_lo, s17
	s_delay_alu instid0(VALU_DEP_1) | instskip(NEXT) | instid1(VALU_DEP_3)
	v_dual_lshlrev_b32 v8, 8, v38 :: v_dual_lshlrev_b32 v0, 7, v0
	v_lshl_add_u32 v6, v6, 10, 0x2000
	s_delay_alu instid0(VALU_DEP_2) | instskip(NEXT) | instid1(VALU_DEP_2)
	v_and_b32_e32 v8, 0x8000, v8
	v_and_b32_e32 v6, 0xfc00, v6
	s_delay_alu instid0(VALU_DEP_1)
	v_or3_b32 v8, v8, v6, v0
.LBB281_1738:                           ;   in Loop: Header=BB281_1005 Depth=1
	s_or_b32 exec_lo, exec_lo, s16
.LBB281_1739:                           ;   in Loop: Header=BB281_1005 Depth=1
	s_delay_alu instid0(SALU_CYCLE_1)
	s_or_b32 exec_lo, exec_lo, s15
.LBB281_1740:                           ;   in Loop: Header=BB281_1005 Depth=1
	s_delay_alu instid0(SALU_CYCLE_1) | instskip(SKIP_2) | instid1(VALU_DEP_1)
	s_or_b32 exec_lo, exec_lo, s14
	v_lshrrev_b16 v6, 8, v38
	s_mov_b32 s14, exec_lo
	v_cmpx_ne_u16_e32 0, v6
	s_cbranch_execz .LBB281_1748
; %bb.1741:                             ;   in Loop: Header=BB281_1005 Depth=1
	v_bfrev_b32_e32 v1, 1
	s_mov_b32 s15, exec_lo
	v_cmpx_ne_u16_e32 0x80, v6
	s_cbranch_execz .LBB281_1747
; %bb.1742:                             ;   in Loop: Header=BB281_1005 Depth=1
	v_and_b32_e32 v0, 0xffff, v6
	v_mov_b32_e32 v1, 0x7c010000
	s_mov_b32 s16, exec_lo
	s_delay_alu instid0(VALU_DEP_2) | instskip(NEXT) | instid1(VALU_DEP_1)
	v_and_b32_e32 v16, 0x7f, v0
	v_cmpx_ne_u32_e32 0x7f, v16
	s_cbranch_execz .LBB281_1746
; %bb.1743:                             ;   in Loop: Header=BB281_1005 Depth=1
	v_and_b32_e32 v1, 7, v0
	v_lshrrev_b32_e32 v9, 3, v16
	s_mov_b32 s17, exec_lo
	v_cmpx_gt_u32_e32 8, v16
; %bb.1744:                             ;   in Loop: Header=BB281_1005 Depth=1
	s_delay_alu instid0(VALU_DEP_3) | instskip(NEXT) | instid1(VALU_DEP_1)
	v_clz_i32_u32_e32 v1, v1
	v_min_u32_e32 v1, 32, v1
	s_delay_alu instid0(VALU_DEP_1) | instskip(NEXT) | instid1(VALU_DEP_1)
	v_subrev_nc_u32_e32 v9, 28, v1
	v_lshlrev_b64_e32 v[16:17], v9, v[6:7]
	s_delay_alu instid0(VALU_DEP_1)
	v_dual_sub_nc_u32 v9, 29, v1 :: v_dual_bitop2_b32 v1, 7, v16 bitop3:0x40
; %bb.1745:                             ;   in Loop: Header=BB281_1005 Depth=1
	s_or_b32 exec_lo, exec_lo, s17
	s_delay_alu instid0(VALU_DEP_1) | instskip(NEXT) | instid1(VALU_DEP_2)
	v_dual_lshlrev_b32 v0, 8, v0 :: v_dual_lshlrev_b32 v1, 23, v1
	v_lshl_add_u32 v6, v9, 10, 0x2000
	s_delay_alu instid0(VALU_DEP_1) | instskip(NEXT) | instid1(VALU_DEP_1)
	v_and_or_b32 v0, 0x8000, v0, v6
	v_lshl_or_b32 v1, v0, 16, v1
.LBB281_1746:                           ;   in Loop: Header=BB281_1005 Depth=1
	s_or_b32 exec_lo, exec_lo, s16
.LBB281_1747:                           ;   in Loop: Header=BB281_1005 Depth=1
	s_delay_alu instid0(SALU_CYCLE_1)
	s_or_b32 exec_lo, exec_lo, s15
.LBB281_1748:                           ;   in Loop: Header=BB281_1005 Depth=1
	s_delay_alu instid0(SALU_CYCLE_1) | instskip(SKIP_3) | instid1(VALU_DEP_2)
	s_or_b32 exec_lo, exec_lo, s14
	v_dual_mov_b32 v9, 0 :: v_dual_lshrrev_b32 v0, 16, v38
	v_mov_b32_e32 v16, 0
	s_mov_b32 s14, exec_lo
	v_and_b32_e32 v6, 0xff, v0
	s_delay_alu instid0(VALU_DEP_1)
	v_cmpx_ne_u16_e32 0, v6
	s_cbranch_execz .LBB281_1756
; %bb.1749:                             ;   in Loop: Header=BB281_1005 Depth=1
	v_mov_b32_e32 v16, 0x8000
	s_mov_b32 s15, exec_lo
	v_cmpx_ne_u16_e32 0x80, v6
	s_cbranch_execz .LBB281_1755
; %bb.1750:                             ;   in Loop: Header=BB281_1005 Depth=1
	v_bfe_u32 v17, v38, 16, 7
	v_mov_b32_e32 v16, 0x7c01
	s_mov_b32 s16, exec_lo
	s_delay_alu instid0(VALU_DEP_2)
	v_cmpx_ne_u32_e32 0x7f, v17
	s_cbranch_execz .LBB281_1754
; %bb.1751:                             ;   in Loop: Header=BB281_1005 Depth=1
	v_dual_lshrrev_b32 v16, 3, v17 :: v_dual_bitop2_b32 v6, 7, v0 bitop3:0x40
	s_mov_b32 s17, exec_lo
	v_cmpx_gt_u32_e32 8, v17
; %bb.1752:                             ;   in Loop: Header=BB281_1005 Depth=1
	s_delay_alu instid0(VALU_DEP_2) | instskip(NEXT) | instid1(VALU_DEP_1)
	v_clz_i32_u32_e32 v6, v6
	v_min_u32_e32 v6, 32, v6
	s_delay_alu instid0(VALU_DEP_1) | instskip(NEXT) | instid1(VALU_DEP_1)
	v_subrev_nc_u32_e32 v16, 28, v6
	v_lshlrev_b64_e32 v[18:19], v16, v[0:1]
	v_sub_nc_u32_e32 v16, 29, v6
	s_delay_alu instid0(VALU_DEP_2)
	v_and_b32_e32 v6, 7, v18
; %bb.1753:                             ;   in Loop: Header=BB281_1005 Depth=1
	s_or_b32 exec_lo, exec_lo, s17
	s_delay_alu instid0(VALU_DEP_1) | instskip(NEXT) | instid1(VALU_DEP_3)
	v_dual_lshlrev_b32 v0, 8, v0 :: v_dual_lshlrev_b32 v6, 7, v6
	v_lshl_add_u32 v16, v16, 10, 0x2000
	s_delay_alu instid0(VALU_DEP_2) | instskip(NEXT) | instid1(VALU_DEP_2)
	v_and_b32_e32 v0, 0x8000, v0
	v_and_b32_e32 v16, 0xfc00, v16
	s_delay_alu instid0(VALU_DEP_1)
	v_or3_b32 v16, v0, v16, v6
.LBB281_1754:                           ;   in Loop: Header=BB281_1005 Depth=1
	s_or_b32 exec_lo, exec_lo, s16
.LBB281_1755:                           ;   in Loop: Header=BB281_1005 Depth=1
	s_delay_alu instid0(SALU_CYCLE_1)
	s_or_b32 exec_lo, exec_lo, s15
.LBB281_1756:                           ;   in Loop: Header=BB281_1005 Depth=1
	s_delay_alu instid0(SALU_CYCLE_1) | instskip(NEXT) | instid1(SALU_CYCLE_1)
	s_or_b32 exec_lo, exec_lo, s14
	s_mov_b32 s14, exec_lo
	v_cmpx_lt_u32_e32 0xffffff, v38
	s_cbranch_execz .LBB281_1764
; %bb.1757:                             ;   in Loop: Header=BB281_1005 Depth=1
	v_lshrrev_b32_e32 v6, 24, v38
	v_bfrev_b32_e32 v9, 1
	s_mov_b32 s15, exec_lo
	s_delay_alu instid0(VALU_DEP_2)
	v_cmpx_ne_u32_e32 0x80, v6
	s_cbranch_execz .LBB281_1763
; %bb.1758:                             ;   in Loop: Header=BB281_1005 Depth=1
	v_and_b32_e32 v17, 0x7f, v6
	v_mov_b32_e32 v9, 0x7c010000
	s_mov_b32 s16, exec_lo
	s_delay_alu instid0(VALU_DEP_2)
	v_cmpx_ne_u32_e32 0x7f, v17
	s_cbranch_execz .LBB281_1762
; %bb.1759:                             ;   in Loop: Header=BB281_1005 Depth=1
	v_dual_lshrrev_b32 v9, 3, v17 :: v_dual_bitop2_b32 v0, 7, v6 bitop3:0x40
	s_mov_b32 s17, exec_lo
	v_cmpx_gt_u32_e32 8, v17
; %bb.1760:                             ;   in Loop: Header=BB281_1005 Depth=1
	s_delay_alu instid0(VALU_DEP_2) | instskip(NEXT) | instid1(VALU_DEP_1)
	v_clz_i32_u32_e32 v0, v0
	v_min_u32_e32 v0, 32, v0
	s_delay_alu instid0(VALU_DEP_1) | instskip(NEXT) | instid1(VALU_DEP_1)
	v_subrev_nc_u32_e32 v9, 28, v0
	v_lshlrev_b64_e32 v[18:19], v9, v[6:7]
	s_delay_alu instid0(VALU_DEP_1)
	v_dual_sub_nc_u32 v9, 29, v0 :: v_dual_bitop2_b32 v0, 7, v18 bitop3:0x40
; %bb.1761:                             ;   in Loop: Header=BB281_1005 Depth=1
	s_or_b32 exec_lo, exec_lo, s17
	s_delay_alu instid0(VALU_DEP_1) | instskip(NEXT) | instid1(VALU_DEP_2)
	v_dual_lshlrev_b32 v6, 8, v6 :: v_dual_lshlrev_b32 v0, 23, v0
	v_lshl_add_u32 v9, v9, 10, 0x2000
	s_delay_alu instid0(VALU_DEP_1) | instskip(NEXT) | instid1(VALU_DEP_1)
	v_and_or_b32 v6, 0x8000, v6, v9
	v_lshl_or_b32 v9, v6, 16, v0
.LBB281_1762:                           ;   in Loop: Header=BB281_1005 Depth=1
	s_or_b32 exec_lo, exec_lo, s16
.LBB281_1763:                           ;   in Loop: Header=BB281_1005 Depth=1
	s_delay_alu instid0(SALU_CYCLE_1)
	s_or_b32 exec_lo, exec_lo, s15
.LBB281_1764:                           ;   in Loop: Header=BB281_1005 Depth=1
	s_delay_alu instid0(SALU_CYCLE_1) | instskip(SKIP_4) | instid1(VALU_DEP_3)
	s_or_b32 exec_lo, exec_lo, s14
	v_and_b32_e32 v0, 0xff, v39
	v_dual_mov_b32 v6, v39 :: v_dual_mov_b32 v18, 0
	v_mov_b32_e32 v17, 0
	s_mov_b32 s14, exec_lo
	v_cmpx_ne_u16_e32 0, v0
	s_cbranch_execz .LBB281_1772
; %bb.1765:                             ;   in Loop: Header=BB281_1005 Depth=1
	v_mov_b32_e32 v17, 0x8000
	s_mov_b32 s15, exec_lo
	v_cmpx_ne_u16_e32 0x80, v0
	s_cbranch_execz .LBB281_1771
; %bb.1766:                             ;   in Loop: Header=BB281_1005 Depth=1
	v_and_b32_e32 v19, 0x7f, v39
	v_mov_b32_e32 v17, 0x7c01
	s_mov_b32 s16, exec_lo
	s_delay_alu instid0(VALU_DEP_2)
	v_cmpx_ne_u32_e32 0x7f, v19
	s_cbranch_execz .LBB281_1770
; %bb.1767:                             ;   in Loop: Header=BB281_1005 Depth=1
	v_and_b32_e32 v0, 7, v39
	v_lshrrev_b32_e32 v17, 3, v19
	s_mov_b32 s17, exec_lo
	v_cmpx_gt_u32_e32 8, v19
; %bb.1768:                             ;   in Loop: Header=BB281_1005 Depth=1
	s_delay_alu instid0(VALU_DEP_3) | instskip(NEXT) | instid1(VALU_DEP_1)
	v_clz_i32_u32_e32 v0, v0
	v_min_u32_e32 v0, 32, v0
	s_delay_alu instid0(VALU_DEP_1) | instskip(NEXT) | instid1(VALU_DEP_1)
	v_subrev_nc_u32_e32 v17, 28, v0
	v_lshlrev_b64_e32 v[22:23], v17, v[6:7]
	s_delay_alu instid0(VALU_DEP_1)
	v_dual_sub_nc_u32 v17, 29, v0 :: v_dual_bitop2_b32 v0, 7, v22 bitop3:0x40
; %bb.1769:                             ;   in Loop: Header=BB281_1005 Depth=1
	s_or_b32 exec_lo, exec_lo, s17
	s_delay_alu instid0(VALU_DEP_1) | instskip(NEXT) | instid1(VALU_DEP_2)
	v_dual_lshlrev_b32 v19, 8, v39 :: v_dual_lshlrev_b32 v0, 7, v0
	v_lshl_add_u32 v17, v17, 10, 0x2000
	s_delay_alu instid0(VALU_DEP_2) | instskip(NEXT) | instid1(VALU_DEP_2)
	v_and_b32_e32 v19, 0x8000, v19
	v_and_b32_e32 v17, 0xfc00, v17
	s_delay_alu instid0(VALU_DEP_1)
	v_or3_b32 v17, v19, v17, v0
.LBB281_1770:                           ;   in Loop: Header=BB281_1005 Depth=1
	s_or_b32 exec_lo, exec_lo, s16
.LBB281_1771:                           ;   in Loop: Header=BB281_1005 Depth=1
	s_delay_alu instid0(SALU_CYCLE_1)
	s_or_b32 exec_lo, exec_lo, s15
.LBB281_1772:                           ;   in Loop: Header=BB281_1005 Depth=1
	s_delay_alu instid0(SALU_CYCLE_1) | instskip(SKIP_3) | instid1(VALU_DEP_2)
	s_or_b32 exec_lo, exec_lo, s14
	v_lshrrev_b16 v6, 8, v6
	v_mov_b32_e32 v19, 0
	s_mov_b32 s14, exec_lo
	v_cmpx_ne_u16_e32 0, v6
	s_cbranch_execz .LBB281_1780
; %bb.1773:                             ;   in Loop: Header=BB281_1005 Depth=1
	v_bfrev_b32_e32 v19, 1
	s_mov_b32 s15, exec_lo
	v_cmpx_ne_u16_e32 0x80, v6
	s_cbranch_execz .LBB281_1779
; %bb.1774:                             ;   in Loop: Header=BB281_1005 Depth=1
	v_and_b32_e32 v0, 0xffff, v6
	v_mov_b32_e32 v19, 0x7c010000
	s_mov_b32 s16, exec_lo
	s_delay_alu instid0(VALU_DEP_2) | instskip(NEXT) | instid1(VALU_DEP_1)
	v_and_b32_e32 v23, 0x7f, v0
	v_cmpx_ne_u32_e32 0x7f, v23
	s_cbranch_execz .LBB281_1778
; %bb.1775:                             ;   in Loop: Header=BB281_1005 Depth=1
	v_dual_lshrrev_b32 v22, 3, v23 :: v_dual_bitop2_b32 v19, 7, v0 bitop3:0x40
	s_mov_b32 s17, exec_lo
	v_cmpx_gt_u32_e32 8, v23
; %bb.1776:                             ;   in Loop: Header=BB281_1005 Depth=1
	s_delay_alu instid0(VALU_DEP_2) | instskip(NEXT) | instid1(VALU_DEP_1)
	v_clz_i32_u32_e32 v19, v19
	v_min_u32_e32 v19, 32, v19
	s_delay_alu instid0(VALU_DEP_1) | instskip(NEXT) | instid1(VALU_DEP_1)
	v_subrev_nc_u32_e32 v22, 28, v19
	v_lshlrev_b64_e32 v[48:49], v22, v[6:7]
	s_delay_alu instid0(VALU_DEP_1)
	v_dual_sub_nc_u32 v22, 29, v19 :: v_dual_bitop2_b32 v19, 7, v48 bitop3:0x40
; %bb.1777:                             ;   in Loop: Header=BB281_1005 Depth=1
	s_or_b32 exec_lo, exec_lo, s17
	v_lshlrev_b32_e32 v0, 8, v0
	s_delay_alu instid0(VALU_DEP_2) | instskip(NEXT) | instid1(VALU_DEP_1)
	v_lshl_add_u32 v6, v22, 10, 0x2000
	v_and_or_b32 v0, 0x8000, v0, v6
	v_lshlrev_b32_e32 v6, 23, v19
	s_delay_alu instid0(VALU_DEP_1)
	v_lshl_or_b32 v19, v0, 16, v6
.LBB281_1778:                           ;   in Loop: Header=BB281_1005 Depth=1
	s_or_b32 exec_lo, exec_lo, s16
.LBB281_1779:                           ;   in Loop: Header=BB281_1005 Depth=1
	s_delay_alu instid0(SALU_CYCLE_1)
	s_or_b32 exec_lo, exec_lo, s15
.LBB281_1780:                           ;   in Loop: Header=BB281_1005 Depth=1
	s_delay_alu instid0(SALU_CYCLE_1) | instskip(SKIP_2) | instid1(VALU_DEP_1)
	s_or_b32 exec_lo, exec_lo, s14
	v_lshrrev_b32_e32 v0, 16, v39
	s_mov_b32 s14, exec_lo
	v_and_b32_e32 v6, 0xff, v0
	s_delay_alu instid0(VALU_DEP_1)
	v_cmpx_ne_u16_e32 0, v6
	s_cbranch_execz .LBB281_1788
; %bb.1781:                             ;   in Loop: Header=BB281_1005 Depth=1
	v_mov_b32_e32 v18, 0x8000
	s_mov_b32 s15, exec_lo
	v_cmpx_ne_u16_e32 0x80, v6
	s_cbranch_execz .LBB281_1787
; %bb.1782:                             ;   in Loop: Header=BB281_1005 Depth=1
	v_bfe_u32 v22, v39, 16, 7
	v_mov_b32_e32 v18, 0x7c01
	s_mov_b32 s16, exec_lo
	s_delay_alu instid0(VALU_DEP_2)
	v_cmpx_ne_u32_e32 0x7f, v22
	s_cbranch_execz .LBB281_1786
; %bb.1783:                             ;   in Loop: Header=BB281_1005 Depth=1
	v_dual_lshrrev_b32 v18, 3, v22 :: v_dual_bitop2_b32 v6, 7, v0 bitop3:0x40
	s_mov_b32 s17, exec_lo
	v_cmpx_gt_u32_e32 8, v22
; %bb.1784:                             ;   in Loop: Header=BB281_1005 Depth=1
	s_delay_alu instid0(VALU_DEP_2) | instskip(NEXT) | instid1(VALU_DEP_1)
	v_clz_i32_u32_e32 v6, v6
	v_min_u32_e32 v6, 32, v6
	s_delay_alu instid0(VALU_DEP_1) | instskip(NEXT) | instid1(VALU_DEP_1)
	v_subrev_nc_u32_e32 v18, 28, v6
	v_lshlrev_b64_e32 v[22:23], v18, v[0:1]
	v_sub_nc_u32_e32 v18, 29, v6
	s_delay_alu instid0(VALU_DEP_2)
	v_and_b32_e32 v6, 7, v22
; %bb.1785:                             ;   in Loop: Header=BB281_1005 Depth=1
	s_or_b32 exec_lo, exec_lo, s17
	s_delay_alu instid0(VALU_DEP_1) | instskip(NEXT) | instid1(VALU_DEP_3)
	v_dual_lshlrev_b32 v0, 8, v0 :: v_dual_lshlrev_b32 v6, 7, v6
	v_lshl_add_u32 v18, v18, 10, 0x2000
	s_delay_alu instid0(VALU_DEP_2) | instskip(NEXT) | instid1(VALU_DEP_2)
	v_and_b32_e32 v0, 0x8000, v0
	v_and_b32_e32 v18, 0xfc00, v18
	s_delay_alu instid0(VALU_DEP_1)
	v_or3_b32 v18, v0, v18, v6
.LBB281_1786:                           ;   in Loop: Header=BB281_1005 Depth=1
	s_or_b32 exec_lo, exec_lo, s16
.LBB281_1787:                           ;   in Loop: Header=BB281_1005 Depth=1
	s_delay_alu instid0(SALU_CYCLE_1)
	s_or_b32 exec_lo, exec_lo, s15
.LBB281_1788:                           ;   in Loop: Header=BB281_1005 Depth=1
	s_delay_alu instid0(SALU_CYCLE_1)
	s_or_b32 exec_lo, exec_lo, s14
	v_mov_b32_e32 v0, 0
	s_mov_b32 s14, exec_lo
	v_cmpx_lt_u64_e64 s[2:3], v[38:39]
	s_cbranch_execz .LBB281_1796
; %bb.1789:                             ;   in Loop: Header=BB281_1005 Depth=1
	v_lshrrev_b32_e32 v6, 24, v39
	v_bfrev_b32_e32 v0, 1
	s_mov_b32 s15, exec_lo
	s_delay_alu instid0(VALU_DEP_2)
	v_cmpx_ne_u32_e32 0x80, v6
	s_cbranch_execz .LBB281_1795
; %bb.1790:                             ;   in Loop: Header=BB281_1005 Depth=1
	v_and_b32_e32 v23, 0x7f, v6
	v_mov_b32_e32 v0, 0x7c010000
	s_mov_b32 s16, exec_lo
	s_delay_alu instid0(VALU_DEP_2)
	v_cmpx_ne_u32_e32 0x7f, v23
	s_cbranch_execz .LBB281_1794
; %bb.1791:                             ;   in Loop: Header=BB281_1005 Depth=1
	v_dual_lshrrev_b32 v22, 3, v23 :: v_dual_bitop2_b32 v0, 7, v6 bitop3:0x40
	s_mov_b32 s17, exec_lo
	v_cmpx_gt_u32_e32 8, v23
; %bb.1792:                             ;   in Loop: Header=BB281_1005 Depth=1
	s_delay_alu instid0(VALU_DEP_2) | instskip(NEXT) | instid1(VALU_DEP_1)
	v_clz_i32_u32_e32 v0, v0
	v_min_u32_e32 v0, 32, v0
	s_delay_alu instid0(VALU_DEP_1) | instskip(NEXT) | instid1(VALU_DEP_1)
	v_subrev_nc_u32_e32 v22, 28, v0
	v_lshlrev_b64_e32 v[38:39], v22, v[6:7]
	s_delay_alu instid0(VALU_DEP_1)
	v_dual_sub_nc_u32 v22, 29, v0 :: v_dual_bitop2_b32 v0, 7, v38 bitop3:0x40
; %bb.1793:                             ;   in Loop: Header=BB281_1005 Depth=1
	s_or_b32 exec_lo, exec_lo, s17
	s_delay_alu instid0(VALU_DEP_1) | instskip(NEXT) | instid1(VALU_DEP_2)
	v_dual_lshlrev_b32 v6, 8, v6 :: v_dual_lshlrev_b32 v0, 23, v0
	v_lshl_add_u32 v22, v22, 10, 0x2000
	s_delay_alu instid0(VALU_DEP_1) | instskip(NEXT) | instid1(VALU_DEP_1)
	v_and_or_b32 v6, 0x8000, v6, v22
	v_lshl_or_b32 v0, v6, 16, v0
.LBB281_1794:                           ;   in Loop: Header=BB281_1005 Depth=1
	s_or_b32 exec_lo, exec_lo, s16
.LBB281_1795:                           ;   in Loop: Header=BB281_1005 Depth=1
	s_delay_alu instid0(SALU_CYCLE_1)
	s_or_b32 exec_lo, exec_lo, s15
.LBB281_1796:                           ;   in Loop: Header=BB281_1005 Depth=1
	s_delay_alu instid0(SALU_CYCLE_1) | instskip(SKIP_2) | instid1(VALU_DEP_2)
	s_or_b32 exec_lo, exec_lo, s14
	v_dual_lshrrev_b32 v6, 16, v1 :: v_dual_bitop2_b32 v1, v1, v8 bitop3:0x54
	v_dual_lshrrev_b32 v22, 16, v9 :: v_dual_bitop2_b32 v16, v9, v16 bitop3:0x54
	v_cvt_f32_f16_e32 v9, v6
	v_dual_lshrrev_b32 v18, 16, v19 :: v_dual_bitop2_b32 v6, v0, v18 bitop3:0x54
	s_delay_alu instid0(VALU_DEP_3)
	v_cvt_f32_f16_e32 v8, v22
	v_dual_lshrrev_b32 v22, 16, v0 :: v_dual_bitop2_b32 v19, v19, v17 bitop3:0x54
	v_cvt_f32_f16_e32 v0, v16
	v_cvt_f32_f16_e32 v1, v1
	s_wait_loadcnt_dscnt 0x0
	v_pk_mul_f32 v[8:9], v[36:37], v[8:9] op_sel_hi:[0,1]
	v_cvt_f32_f16_e32 v17, v18
	v_cvt_f32_f16_e32 v16, v22
	;; [unrolled: 1-line block ×4, first 2 shown]
	v_pk_mul_f32 v[0:1], v[36:37], v[0:1] op_sel_hi:[0,1]
	v_cvt_pk_f16_f32 v6, v8, v9
	v_pk_mul_f32 v[8:9], v[36:37], v[16:17] op_sel_hi:[0,1]
	s_delay_alu instid0(VALU_DEP_4) | instskip(NEXT) | instid1(VALU_DEP_4)
	v_pk_mul_f32 v[16:17], v[36:37], v[18:19] op_sel_hi:[0,1]
	v_cvt_pk_f16_f32 v0, v0, v1
	s_delay_alu instid0(VALU_DEP_4) | instskip(NEXT) | instid1(VALU_DEP_4)
	v_and_b32_e32 v19, 0xffff0000, v6
	v_cvt_pk_f16_f32 v8, v8, v9
	v_lshlrev_b32_e32 v36, 16, v6
	v_cvt_pk_f16_f32 v6, v16, v17
	v_lshrrev_b32_e32 v49, 16, v0
	v_and_b32_e32 v50, 0xffff, v0
	v_and_b32_e32 v1, 0xffff0000, v8
	s_delay_alu instid0(VALU_DEP_4) | instskip(SKIP_3) | instid1(VALU_DEP_4)
	v_dual_lshlrev_b32 v0, 16, v8 :: v_dual_lshrrev_b32 v9, 16, v6
	v_and_b32_e32 v6, 0xffff, v6
	v_or_b32_e32 v39, v19, v49
	v_or_b32_e32 v48, v36, v50
	;; [unrolled: 1-line block ×3, first 2 shown]
	s_delay_alu instid0(VALU_DEP_4)
	v_or_b32_e32 v38, v0, v6
	s_and_saveexec_b32 s14, vcc_lo
	s_cbranch_execz .LBB281_1798
; %bb.1797:                             ;   in Loop: Header=BB281_1005 Depth=1
	v_cmp_lt_i32_e64 s0, v68, v13
	s_delay_alu instid0(VALU_DEP_1) | instskip(SKIP_1) | instid1(VALU_DEP_1)
	v_cndmask_b32_e64 v8, 0, v49, s0
	v_cmp_lt_i32_e64 s0, v83, v12
	v_cndmask_b32_e64 v16, 0, v50, s0
	v_cmp_lt_i32_e64 s0, v82, v13
	s_delay_alu instid0(VALU_DEP_1) | instskip(SKIP_1) | instid1(VALU_DEP_1)
	v_cndmask_b32_e64 v17, 0, v19, s0
	v_cmp_lt_i32_e64 s0, v81, v12
	v_cndmask_b32_e64 v18, 0, v36, s0
	v_cmp_lt_i32_e64 s0, v80, v13
	s_delay_alu instid0(VALU_DEP_4) | instskip(NEXT) | instid1(VALU_DEP_2)
	v_or_b32_e32 v39, v8, v17
	v_dual_cndmask_b32 v9, 0, v9, s0 :: v_dual_bitop2_b32 v48, v16, v18 bitop3:0x54
	v_cmp_lt_i32_e64 s0, v71, v12
	s_delay_alu instid0(VALU_DEP_1) | instskip(SKIP_1) | instid1(VALU_DEP_1)
	v_cndmask_b32_e64 v6, 0, v6, s0
	v_cmp_lt_i32_e64 s0, v70, v13
	v_cndmask_b32_e64 v1, 0, v1, s0
	v_cmp_lt_i32_e64 s0, v69, v12
	s_delay_alu instid0(VALU_DEP_1) | instskip(NEXT) | instid1(VALU_DEP_1)
	v_dual_cndmask_b32 v0, 0, v0, s0 :: v_dual_bitop2_b32 v37, v9, v1 bitop3:0x54
	v_or_b32_e32 v38, v6, v0
.LBB281_1798:                           ;   in Loop: Header=BB281_1005 Depth=1
	s_or_b32 exec_lo, exec_lo, s14
	;;#ASMSTART
	v_pk_mul_f16 v0, v96, v39;

	;;#ASMEND
	;;#ASMSTART
	v_pk_mul_f16 v1, v86, v48;

	;;#ASMEND
	;; [unrolled: 4-line block ×4, first 2 shown]
	;;#ASMSTART
	v_pk_add_f16 v0, v0, v1;

	;;#ASMEND
	;;#ASMSTART
	v_pk_add_f16 v0, v0, v6;

	;;#ASMEND
	;; [unrolled: 4-line block ×3, first 2 shown]
	v_and_b32_e32 v1, 0xffff, v0
	v_lshrrev_b32_e32 v0, 16, v0
	;;#ASMSTART
	v_cvt_f32_f16 v46, v1;
	;;#ASMEND
	;;#ASMSTART
	v_cvt_f32_f16 v47, v0;
	;;#ASMEND
	flat_load_b64 v[38:39], v[28:29] offset:3072
	scratch_load_b64 v[0:1], off, s32 offset:192 ; 8-byte Folded Reload
	v_mov_b32_e32 v8, 0
	s_mov_b32 s14, exec_lo
	s_wait_loadcnt 0x0
	flat_load_b32 v36, v[0:1]
	s_wait_dscnt 0x1
	s_wait_xcnt 0x0
	v_and_b32_e32 v0, 0xff, v38
	v_mov_b32_e32 v1, 0
	s_delay_alu instid0(VALU_DEP_2)
	v_cmpx_ne_u16_e32 0, v0
	s_cbranch_execz .LBB281_1806
; %bb.1799:                             ;   in Loop: Header=BB281_1005 Depth=1
	v_mov_b32_e32 v8, 0x8000
	s_mov_b32 s15, exec_lo
	v_cmpx_ne_u16_e32 0x80, v0
	s_cbranch_execz .LBB281_1805
; %bb.1800:                             ;   in Loop: Header=BB281_1005 Depth=1
	v_and_b32_e32 v9, 0x7f, v38
	v_mov_b32_e32 v8, 0x7c01
	s_mov_b32 s16, exec_lo
	s_delay_alu instid0(VALU_DEP_2)
	v_cmpx_ne_u32_e32 0x7f, v9
	s_cbranch_execz .LBB281_1804
; %bb.1801:                             ;   in Loop: Header=BB281_1005 Depth=1
	v_dual_lshrrev_b32 v6, 3, v9 :: v_dual_bitop2_b32 v0, 7, v38 bitop3:0x40
	s_mov_b32 s17, exec_lo
	v_cmpx_gt_u32_e32 8, v9
; %bb.1802:                             ;   in Loop: Header=BB281_1005 Depth=1
	s_delay_alu instid0(VALU_DEP_2) | instskip(NEXT) | instid1(VALU_DEP_1)
	v_clz_i32_u32_e32 v0, v0
	v_min_u32_e32 v0, 32, v0
	s_delay_alu instid0(VALU_DEP_1) | instskip(NEXT) | instid1(VALU_DEP_1)
	v_subrev_nc_u32_e32 v6, 28, v0
	v_lshlrev_b64_e32 v[8:9], v6, v[38:39]
	v_sub_nc_u32_e32 v6, 29, v0
	s_delay_alu instid0(VALU_DEP_2)
	v_and_b32_e32 v0, 7, v8
; %bb.1803:                             ;   in Loop: Header=BB281_1005 Depth=1
	s_or_b32 exec_lo, exec_lo, s17
	s_delay_alu instid0(VALU_DEP_1) | instskip(NEXT) | instid1(VALU_DEP_3)
	v_dual_lshlrev_b32 v8, 8, v38 :: v_dual_lshlrev_b32 v0, 7, v0
	v_lshl_add_u32 v6, v6, 10, 0x2000
	s_delay_alu instid0(VALU_DEP_2) | instskip(NEXT) | instid1(VALU_DEP_2)
	v_and_b32_e32 v8, 0x8000, v8
	v_and_b32_e32 v6, 0xfc00, v6
	s_delay_alu instid0(VALU_DEP_1)
	v_or3_b32 v8, v8, v6, v0
.LBB281_1804:                           ;   in Loop: Header=BB281_1005 Depth=1
	s_or_b32 exec_lo, exec_lo, s16
.LBB281_1805:                           ;   in Loop: Header=BB281_1005 Depth=1
	s_delay_alu instid0(SALU_CYCLE_1)
	s_or_b32 exec_lo, exec_lo, s15
.LBB281_1806:                           ;   in Loop: Header=BB281_1005 Depth=1
	s_delay_alu instid0(SALU_CYCLE_1) | instskip(SKIP_2) | instid1(VALU_DEP_1)
	s_or_b32 exec_lo, exec_lo, s14
	v_lshrrev_b16 v6, 8, v38
	s_mov_b32 s14, exec_lo
	v_cmpx_ne_u16_e32 0, v6
	s_cbranch_execz .LBB281_1814
; %bb.1807:                             ;   in Loop: Header=BB281_1005 Depth=1
	v_bfrev_b32_e32 v1, 1
	s_mov_b32 s15, exec_lo
	v_cmpx_ne_u16_e32 0x80, v6
	s_cbranch_execz .LBB281_1813
; %bb.1808:                             ;   in Loop: Header=BB281_1005 Depth=1
	v_and_b32_e32 v0, 0xffff, v6
	v_mov_b32_e32 v1, 0x7c010000
	s_mov_b32 s16, exec_lo
	s_delay_alu instid0(VALU_DEP_2) | instskip(NEXT) | instid1(VALU_DEP_1)
	v_and_b32_e32 v16, 0x7f, v0
	v_cmpx_ne_u32_e32 0x7f, v16
	s_cbranch_execz .LBB281_1812
; %bb.1809:                             ;   in Loop: Header=BB281_1005 Depth=1
	v_and_b32_e32 v1, 7, v0
	v_lshrrev_b32_e32 v9, 3, v16
	s_mov_b32 s17, exec_lo
	v_cmpx_gt_u32_e32 8, v16
; %bb.1810:                             ;   in Loop: Header=BB281_1005 Depth=1
	s_delay_alu instid0(VALU_DEP_3) | instskip(NEXT) | instid1(VALU_DEP_1)
	v_clz_i32_u32_e32 v1, v1
	v_min_u32_e32 v1, 32, v1
	s_delay_alu instid0(VALU_DEP_1) | instskip(NEXT) | instid1(VALU_DEP_1)
	v_subrev_nc_u32_e32 v9, 28, v1
	v_lshlrev_b64_e32 v[16:17], v9, v[6:7]
	s_delay_alu instid0(VALU_DEP_1)
	v_dual_sub_nc_u32 v9, 29, v1 :: v_dual_bitop2_b32 v1, 7, v16 bitop3:0x40
; %bb.1811:                             ;   in Loop: Header=BB281_1005 Depth=1
	s_or_b32 exec_lo, exec_lo, s17
	s_delay_alu instid0(VALU_DEP_1) | instskip(NEXT) | instid1(VALU_DEP_2)
	v_dual_lshlrev_b32 v0, 8, v0 :: v_dual_lshlrev_b32 v1, 23, v1
	v_lshl_add_u32 v6, v9, 10, 0x2000
	s_delay_alu instid0(VALU_DEP_1) | instskip(NEXT) | instid1(VALU_DEP_1)
	v_and_or_b32 v0, 0x8000, v0, v6
	v_lshl_or_b32 v1, v0, 16, v1
.LBB281_1812:                           ;   in Loop: Header=BB281_1005 Depth=1
	s_or_b32 exec_lo, exec_lo, s16
.LBB281_1813:                           ;   in Loop: Header=BB281_1005 Depth=1
	s_delay_alu instid0(SALU_CYCLE_1)
	s_or_b32 exec_lo, exec_lo, s15
.LBB281_1814:                           ;   in Loop: Header=BB281_1005 Depth=1
	s_delay_alu instid0(SALU_CYCLE_1) | instskip(SKIP_3) | instid1(VALU_DEP_2)
	s_or_b32 exec_lo, exec_lo, s14
	v_dual_mov_b32 v9, 0 :: v_dual_lshrrev_b32 v0, 16, v38
	v_mov_b32_e32 v16, 0
	s_mov_b32 s14, exec_lo
	v_and_b32_e32 v6, 0xff, v0
	s_delay_alu instid0(VALU_DEP_1)
	v_cmpx_ne_u16_e32 0, v6
	s_cbranch_execz .LBB281_1822
; %bb.1815:                             ;   in Loop: Header=BB281_1005 Depth=1
	v_mov_b32_e32 v16, 0x8000
	s_mov_b32 s15, exec_lo
	v_cmpx_ne_u16_e32 0x80, v6
	s_cbranch_execz .LBB281_1821
; %bb.1816:                             ;   in Loop: Header=BB281_1005 Depth=1
	v_bfe_u32 v17, v38, 16, 7
	v_mov_b32_e32 v16, 0x7c01
	s_mov_b32 s16, exec_lo
	s_delay_alu instid0(VALU_DEP_2)
	v_cmpx_ne_u32_e32 0x7f, v17
	s_cbranch_execz .LBB281_1820
; %bb.1817:                             ;   in Loop: Header=BB281_1005 Depth=1
	v_dual_lshrrev_b32 v16, 3, v17 :: v_dual_bitop2_b32 v6, 7, v0 bitop3:0x40
	s_mov_b32 s17, exec_lo
	v_cmpx_gt_u32_e32 8, v17
; %bb.1818:                             ;   in Loop: Header=BB281_1005 Depth=1
	s_delay_alu instid0(VALU_DEP_2) | instskip(NEXT) | instid1(VALU_DEP_1)
	v_clz_i32_u32_e32 v6, v6
	v_min_u32_e32 v6, 32, v6
	s_delay_alu instid0(VALU_DEP_1) | instskip(NEXT) | instid1(VALU_DEP_1)
	v_subrev_nc_u32_e32 v16, 28, v6
	v_lshlrev_b64_e32 v[18:19], v16, v[0:1]
	v_sub_nc_u32_e32 v16, 29, v6
	s_delay_alu instid0(VALU_DEP_2)
	v_and_b32_e32 v6, 7, v18
; %bb.1819:                             ;   in Loop: Header=BB281_1005 Depth=1
	s_or_b32 exec_lo, exec_lo, s17
	s_delay_alu instid0(VALU_DEP_1) | instskip(NEXT) | instid1(VALU_DEP_3)
	v_dual_lshlrev_b32 v0, 8, v0 :: v_dual_lshlrev_b32 v6, 7, v6
	v_lshl_add_u32 v16, v16, 10, 0x2000
	s_delay_alu instid0(VALU_DEP_2) | instskip(NEXT) | instid1(VALU_DEP_2)
	v_and_b32_e32 v0, 0x8000, v0
	v_and_b32_e32 v16, 0xfc00, v16
	s_delay_alu instid0(VALU_DEP_1)
	v_or3_b32 v16, v0, v16, v6
.LBB281_1820:                           ;   in Loop: Header=BB281_1005 Depth=1
	s_or_b32 exec_lo, exec_lo, s16
.LBB281_1821:                           ;   in Loop: Header=BB281_1005 Depth=1
	s_delay_alu instid0(SALU_CYCLE_1)
	s_or_b32 exec_lo, exec_lo, s15
.LBB281_1822:                           ;   in Loop: Header=BB281_1005 Depth=1
	s_delay_alu instid0(SALU_CYCLE_1) | instskip(NEXT) | instid1(SALU_CYCLE_1)
	s_or_b32 exec_lo, exec_lo, s14
	s_mov_b32 s14, exec_lo
	v_cmpx_lt_u32_e32 0xffffff, v38
	s_cbranch_execz .LBB281_1830
; %bb.1823:                             ;   in Loop: Header=BB281_1005 Depth=1
	v_lshrrev_b32_e32 v6, 24, v38
	v_bfrev_b32_e32 v9, 1
	s_mov_b32 s15, exec_lo
	s_delay_alu instid0(VALU_DEP_2)
	v_cmpx_ne_u32_e32 0x80, v6
	s_cbranch_execz .LBB281_1829
; %bb.1824:                             ;   in Loop: Header=BB281_1005 Depth=1
	v_and_b32_e32 v17, 0x7f, v6
	v_mov_b32_e32 v9, 0x7c010000
	s_mov_b32 s16, exec_lo
	s_delay_alu instid0(VALU_DEP_2)
	v_cmpx_ne_u32_e32 0x7f, v17
	s_cbranch_execz .LBB281_1828
; %bb.1825:                             ;   in Loop: Header=BB281_1005 Depth=1
	v_dual_lshrrev_b32 v9, 3, v17 :: v_dual_bitop2_b32 v0, 7, v6 bitop3:0x40
	s_mov_b32 s17, exec_lo
	v_cmpx_gt_u32_e32 8, v17
; %bb.1826:                             ;   in Loop: Header=BB281_1005 Depth=1
	s_delay_alu instid0(VALU_DEP_2) | instskip(NEXT) | instid1(VALU_DEP_1)
	v_clz_i32_u32_e32 v0, v0
	v_min_u32_e32 v0, 32, v0
	s_delay_alu instid0(VALU_DEP_1) | instskip(NEXT) | instid1(VALU_DEP_1)
	v_subrev_nc_u32_e32 v9, 28, v0
	v_lshlrev_b64_e32 v[18:19], v9, v[6:7]
	s_delay_alu instid0(VALU_DEP_1)
	v_dual_sub_nc_u32 v9, 29, v0 :: v_dual_bitop2_b32 v0, 7, v18 bitop3:0x40
; %bb.1827:                             ;   in Loop: Header=BB281_1005 Depth=1
	s_or_b32 exec_lo, exec_lo, s17
	s_delay_alu instid0(VALU_DEP_1) | instskip(NEXT) | instid1(VALU_DEP_2)
	v_dual_lshlrev_b32 v6, 8, v6 :: v_dual_lshlrev_b32 v0, 23, v0
	v_lshl_add_u32 v9, v9, 10, 0x2000
	s_delay_alu instid0(VALU_DEP_1) | instskip(NEXT) | instid1(VALU_DEP_1)
	v_and_or_b32 v6, 0x8000, v6, v9
	v_lshl_or_b32 v9, v6, 16, v0
.LBB281_1828:                           ;   in Loop: Header=BB281_1005 Depth=1
	s_or_b32 exec_lo, exec_lo, s16
.LBB281_1829:                           ;   in Loop: Header=BB281_1005 Depth=1
	s_delay_alu instid0(SALU_CYCLE_1)
	s_or_b32 exec_lo, exec_lo, s15
.LBB281_1830:                           ;   in Loop: Header=BB281_1005 Depth=1
	s_delay_alu instid0(SALU_CYCLE_1) | instskip(SKIP_4) | instid1(VALU_DEP_3)
	s_or_b32 exec_lo, exec_lo, s14
	v_and_b32_e32 v0, 0xff, v39
	v_dual_mov_b32 v6, v39 :: v_dual_mov_b32 v18, 0
	v_mov_b32_e32 v17, 0
	s_mov_b32 s14, exec_lo
	v_cmpx_ne_u16_e32 0, v0
	s_cbranch_execz .LBB281_1838
; %bb.1831:                             ;   in Loop: Header=BB281_1005 Depth=1
	v_mov_b32_e32 v17, 0x8000
	s_mov_b32 s15, exec_lo
	v_cmpx_ne_u16_e32 0x80, v0
	s_cbranch_execz .LBB281_1837
; %bb.1832:                             ;   in Loop: Header=BB281_1005 Depth=1
	v_and_b32_e32 v19, 0x7f, v39
	v_mov_b32_e32 v17, 0x7c01
	s_mov_b32 s16, exec_lo
	s_delay_alu instid0(VALU_DEP_2)
	v_cmpx_ne_u32_e32 0x7f, v19
	s_cbranch_execz .LBB281_1836
; %bb.1833:                             ;   in Loop: Header=BB281_1005 Depth=1
	v_and_b32_e32 v0, 7, v39
	v_lshrrev_b32_e32 v17, 3, v19
	s_mov_b32 s17, exec_lo
	v_cmpx_gt_u32_e32 8, v19
; %bb.1834:                             ;   in Loop: Header=BB281_1005 Depth=1
	s_delay_alu instid0(VALU_DEP_3) | instskip(NEXT) | instid1(VALU_DEP_1)
	v_clz_i32_u32_e32 v0, v0
	v_min_u32_e32 v0, 32, v0
	s_delay_alu instid0(VALU_DEP_1) | instskip(NEXT) | instid1(VALU_DEP_1)
	v_subrev_nc_u32_e32 v17, 28, v0
	v_lshlrev_b64_e32 v[22:23], v17, v[6:7]
	s_delay_alu instid0(VALU_DEP_1)
	v_dual_sub_nc_u32 v17, 29, v0 :: v_dual_bitop2_b32 v0, 7, v22 bitop3:0x40
; %bb.1835:                             ;   in Loop: Header=BB281_1005 Depth=1
	s_or_b32 exec_lo, exec_lo, s17
	s_delay_alu instid0(VALU_DEP_1) | instskip(NEXT) | instid1(VALU_DEP_2)
	v_dual_lshlrev_b32 v19, 8, v39 :: v_dual_lshlrev_b32 v0, 7, v0
	v_lshl_add_u32 v17, v17, 10, 0x2000
	s_delay_alu instid0(VALU_DEP_2) | instskip(NEXT) | instid1(VALU_DEP_2)
	v_and_b32_e32 v19, 0x8000, v19
	v_and_b32_e32 v17, 0xfc00, v17
	s_delay_alu instid0(VALU_DEP_1)
	v_or3_b32 v17, v19, v17, v0
.LBB281_1836:                           ;   in Loop: Header=BB281_1005 Depth=1
	s_or_b32 exec_lo, exec_lo, s16
.LBB281_1837:                           ;   in Loop: Header=BB281_1005 Depth=1
	s_delay_alu instid0(SALU_CYCLE_1)
	s_or_b32 exec_lo, exec_lo, s15
.LBB281_1838:                           ;   in Loop: Header=BB281_1005 Depth=1
	s_delay_alu instid0(SALU_CYCLE_1) | instskip(SKIP_3) | instid1(VALU_DEP_2)
	s_or_b32 exec_lo, exec_lo, s14
	v_lshrrev_b16 v6, 8, v6
	v_mov_b32_e32 v19, 0
	s_mov_b32 s14, exec_lo
	v_cmpx_ne_u16_e32 0, v6
	s_cbranch_execz .LBB281_1846
; %bb.1839:                             ;   in Loop: Header=BB281_1005 Depth=1
	v_bfrev_b32_e32 v19, 1
	s_mov_b32 s15, exec_lo
	v_cmpx_ne_u16_e32 0x80, v6
	s_cbranch_execz .LBB281_1845
; %bb.1840:                             ;   in Loop: Header=BB281_1005 Depth=1
	v_and_b32_e32 v0, 0xffff, v6
	v_mov_b32_e32 v19, 0x7c010000
	s_mov_b32 s16, exec_lo
	s_delay_alu instid0(VALU_DEP_2) | instskip(NEXT) | instid1(VALU_DEP_1)
	v_and_b32_e32 v23, 0x7f, v0
	v_cmpx_ne_u32_e32 0x7f, v23
	s_cbranch_execz .LBB281_1844
; %bb.1841:                             ;   in Loop: Header=BB281_1005 Depth=1
	v_dual_lshrrev_b32 v22, 3, v23 :: v_dual_bitop2_b32 v19, 7, v0 bitop3:0x40
	s_mov_b32 s17, exec_lo
	v_cmpx_gt_u32_e32 8, v23
; %bb.1842:                             ;   in Loop: Header=BB281_1005 Depth=1
	s_delay_alu instid0(VALU_DEP_2) | instskip(NEXT) | instid1(VALU_DEP_1)
	v_clz_i32_u32_e32 v19, v19
	v_min_u32_e32 v19, 32, v19
	s_delay_alu instid0(VALU_DEP_1) | instskip(NEXT) | instid1(VALU_DEP_1)
	v_subrev_nc_u32_e32 v22, 28, v19
	v_lshlrev_b64_e32 v[48:49], v22, v[6:7]
	s_delay_alu instid0(VALU_DEP_1)
	v_dual_sub_nc_u32 v22, 29, v19 :: v_dual_bitop2_b32 v19, 7, v48 bitop3:0x40
; %bb.1843:                             ;   in Loop: Header=BB281_1005 Depth=1
	s_or_b32 exec_lo, exec_lo, s17
	v_lshlrev_b32_e32 v0, 8, v0
	s_delay_alu instid0(VALU_DEP_2) | instskip(NEXT) | instid1(VALU_DEP_1)
	v_lshl_add_u32 v6, v22, 10, 0x2000
	v_and_or_b32 v0, 0x8000, v0, v6
	v_lshlrev_b32_e32 v6, 23, v19
	s_delay_alu instid0(VALU_DEP_1)
	v_lshl_or_b32 v19, v0, 16, v6
.LBB281_1844:                           ;   in Loop: Header=BB281_1005 Depth=1
	s_or_b32 exec_lo, exec_lo, s16
.LBB281_1845:                           ;   in Loop: Header=BB281_1005 Depth=1
	s_delay_alu instid0(SALU_CYCLE_1)
	s_or_b32 exec_lo, exec_lo, s15
.LBB281_1846:                           ;   in Loop: Header=BB281_1005 Depth=1
	s_delay_alu instid0(SALU_CYCLE_1) | instskip(SKIP_2) | instid1(VALU_DEP_1)
	s_or_b32 exec_lo, exec_lo, s14
	v_lshrrev_b32_e32 v0, 16, v39
	s_mov_b32 s14, exec_lo
	v_and_b32_e32 v6, 0xff, v0
	s_delay_alu instid0(VALU_DEP_1)
	v_cmpx_ne_u16_e32 0, v6
	s_cbranch_execz .LBB281_1854
; %bb.1847:                             ;   in Loop: Header=BB281_1005 Depth=1
	v_mov_b32_e32 v18, 0x8000
	s_mov_b32 s15, exec_lo
	v_cmpx_ne_u16_e32 0x80, v6
	s_cbranch_execz .LBB281_1853
; %bb.1848:                             ;   in Loop: Header=BB281_1005 Depth=1
	v_bfe_u32 v22, v39, 16, 7
	v_mov_b32_e32 v18, 0x7c01
	s_mov_b32 s16, exec_lo
	s_delay_alu instid0(VALU_DEP_2)
	v_cmpx_ne_u32_e32 0x7f, v22
	s_cbranch_execz .LBB281_1852
; %bb.1849:                             ;   in Loop: Header=BB281_1005 Depth=1
	v_dual_lshrrev_b32 v18, 3, v22 :: v_dual_bitop2_b32 v6, 7, v0 bitop3:0x40
	s_mov_b32 s17, exec_lo
	v_cmpx_gt_u32_e32 8, v22
; %bb.1850:                             ;   in Loop: Header=BB281_1005 Depth=1
	s_delay_alu instid0(VALU_DEP_2) | instskip(NEXT) | instid1(VALU_DEP_1)
	v_clz_i32_u32_e32 v6, v6
	v_min_u32_e32 v6, 32, v6
	s_delay_alu instid0(VALU_DEP_1) | instskip(NEXT) | instid1(VALU_DEP_1)
	v_subrev_nc_u32_e32 v18, 28, v6
	v_lshlrev_b64_e32 v[22:23], v18, v[0:1]
	v_sub_nc_u32_e32 v18, 29, v6
	s_delay_alu instid0(VALU_DEP_2)
	v_and_b32_e32 v6, 7, v22
; %bb.1851:                             ;   in Loop: Header=BB281_1005 Depth=1
	s_or_b32 exec_lo, exec_lo, s17
	s_delay_alu instid0(VALU_DEP_1) | instskip(NEXT) | instid1(VALU_DEP_3)
	v_dual_lshlrev_b32 v0, 8, v0 :: v_dual_lshlrev_b32 v6, 7, v6
	v_lshl_add_u32 v18, v18, 10, 0x2000
	s_delay_alu instid0(VALU_DEP_2) | instskip(NEXT) | instid1(VALU_DEP_2)
	v_and_b32_e32 v0, 0x8000, v0
	v_and_b32_e32 v18, 0xfc00, v18
	s_delay_alu instid0(VALU_DEP_1)
	v_or3_b32 v18, v0, v18, v6
.LBB281_1852:                           ;   in Loop: Header=BB281_1005 Depth=1
	s_or_b32 exec_lo, exec_lo, s16
.LBB281_1853:                           ;   in Loop: Header=BB281_1005 Depth=1
	s_delay_alu instid0(SALU_CYCLE_1)
	s_or_b32 exec_lo, exec_lo, s15
.LBB281_1854:                           ;   in Loop: Header=BB281_1005 Depth=1
	s_delay_alu instid0(SALU_CYCLE_1)
	s_or_b32 exec_lo, exec_lo, s14
	v_mov_b32_e32 v0, 0
	s_mov_b32 s14, exec_lo
	v_cmpx_lt_u64_e64 s[2:3], v[38:39]
	s_cbranch_execz .LBB281_1862
; %bb.1855:                             ;   in Loop: Header=BB281_1005 Depth=1
	v_lshrrev_b32_e32 v6, 24, v39
	v_bfrev_b32_e32 v0, 1
	s_mov_b32 s15, exec_lo
	s_delay_alu instid0(VALU_DEP_2)
	v_cmpx_ne_u32_e32 0x80, v6
	s_cbranch_execz .LBB281_1861
; %bb.1856:                             ;   in Loop: Header=BB281_1005 Depth=1
	v_and_b32_e32 v23, 0x7f, v6
	v_mov_b32_e32 v0, 0x7c010000
	s_mov_b32 s16, exec_lo
	s_delay_alu instid0(VALU_DEP_2)
	v_cmpx_ne_u32_e32 0x7f, v23
	s_cbranch_execz .LBB281_1860
; %bb.1857:                             ;   in Loop: Header=BB281_1005 Depth=1
	v_dual_lshrrev_b32 v22, 3, v23 :: v_dual_bitop2_b32 v0, 7, v6 bitop3:0x40
	s_mov_b32 s17, exec_lo
	v_cmpx_gt_u32_e32 8, v23
; %bb.1858:                             ;   in Loop: Header=BB281_1005 Depth=1
	s_delay_alu instid0(VALU_DEP_2) | instskip(NEXT) | instid1(VALU_DEP_1)
	v_clz_i32_u32_e32 v0, v0
	v_min_u32_e32 v0, 32, v0
	s_delay_alu instid0(VALU_DEP_1) | instskip(NEXT) | instid1(VALU_DEP_1)
	v_subrev_nc_u32_e32 v22, 28, v0
	v_lshlrev_b64_e32 v[38:39], v22, v[6:7]
	s_delay_alu instid0(VALU_DEP_1)
	v_dual_sub_nc_u32 v22, 29, v0 :: v_dual_bitop2_b32 v0, 7, v38 bitop3:0x40
; %bb.1859:                             ;   in Loop: Header=BB281_1005 Depth=1
	s_or_b32 exec_lo, exec_lo, s17
	s_delay_alu instid0(VALU_DEP_1) | instskip(NEXT) | instid1(VALU_DEP_2)
	v_dual_lshlrev_b32 v6, 8, v6 :: v_dual_lshlrev_b32 v0, 23, v0
	v_lshl_add_u32 v22, v22, 10, 0x2000
	s_delay_alu instid0(VALU_DEP_1) | instskip(NEXT) | instid1(VALU_DEP_1)
	v_and_or_b32 v6, 0x8000, v6, v22
	v_lshl_or_b32 v0, v6, 16, v0
.LBB281_1860:                           ;   in Loop: Header=BB281_1005 Depth=1
	s_or_b32 exec_lo, exec_lo, s16
.LBB281_1861:                           ;   in Loop: Header=BB281_1005 Depth=1
	s_delay_alu instid0(SALU_CYCLE_1)
	s_or_b32 exec_lo, exec_lo, s15
.LBB281_1862:                           ;   in Loop: Header=BB281_1005 Depth=1
	s_delay_alu instid0(SALU_CYCLE_1) | instskip(SKIP_2) | instid1(VALU_DEP_2)
	s_or_b32 exec_lo, exec_lo, s14
	v_dual_lshrrev_b32 v6, 16, v1 :: v_dual_bitop2_b32 v1, v1, v8 bitop3:0x54
	v_dual_lshrrev_b32 v22, 16, v9 :: v_dual_bitop2_b32 v16, v9, v16 bitop3:0x54
	v_cvt_f32_f16_e32 v9, v6
	v_dual_lshrrev_b32 v18, 16, v19 :: v_dual_bitop2_b32 v6, v0, v18 bitop3:0x54
	s_delay_alu instid0(VALU_DEP_3)
	v_cvt_f32_f16_e32 v8, v22
	v_dual_lshrrev_b32 v22, 16, v0 :: v_dual_bitop2_b32 v19, v19, v17 bitop3:0x54
	v_cvt_f32_f16_e32 v0, v16
	v_cvt_f32_f16_e32 v1, v1
	s_wait_loadcnt_dscnt 0x0
	v_pk_mul_f32 v[8:9], v[36:37], v[8:9] op_sel_hi:[0,1]
	v_cvt_f32_f16_e32 v17, v18
	v_cvt_f32_f16_e32 v16, v22
	;; [unrolled: 1-line block ×4, first 2 shown]
	v_pk_mul_f32 v[0:1], v[36:37], v[0:1] op_sel_hi:[0,1]
	v_cvt_pk_f16_f32 v6, v8, v9
	v_pk_mul_f32 v[8:9], v[36:37], v[16:17] op_sel_hi:[0,1]
	s_delay_alu instid0(VALU_DEP_4) | instskip(NEXT) | instid1(VALU_DEP_4)
	v_pk_mul_f32 v[16:17], v[36:37], v[18:19] op_sel_hi:[0,1]
	v_cvt_pk_f16_f32 v0, v0, v1
	s_delay_alu instid0(VALU_DEP_4) | instskip(NEXT) | instid1(VALU_DEP_4)
	v_and_b32_e32 v19, 0xffff0000, v6
	v_cvt_pk_f16_f32 v8, v8, v9
	v_lshlrev_b32_e32 v36, 16, v6
	v_cvt_pk_f16_f32 v6, v16, v17
	v_lshrrev_b32_e32 v49, 16, v0
	v_and_b32_e32 v50, 0xffff, v0
	v_and_b32_e32 v1, 0xffff0000, v8
	s_delay_alu instid0(VALU_DEP_4) | instskip(SKIP_3) | instid1(VALU_DEP_4)
	v_dual_lshlrev_b32 v0, 16, v8 :: v_dual_lshrrev_b32 v9, 16, v6
	v_and_b32_e32 v6, 0xffff, v6
	v_or_b32_e32 v39, v19, v49
	v_or_b32_e32 v48, v36, v50
	;; [unrolled: 1-line block ×3, first 2 shown]
	s_delay_alu instid0(VALU_DEP_4)
	v_or_b32_e32 v38, v0, v6
	s_and_saveexec_b32 s14, vcc_lo
	s_cbranch_execz .LBB281_1864
; %bb.1863:                             ;   in Loop: Header=BB281_1005 Depth=1
	v_cmp_lt_i32_e64 s0, v68, v13
	s_delay_alu instid0(VALU_DEP_1) | instskip(SKIP_1) | instid1(VALU_DEP_1)
	v_cndmask_b32_e64 v8, 0, v49, s0
	v_cmp_lt_i32_e64 s0, v83, v12
	v_cndmask_b32_e64 v16, 0, v50, s0
	v_cmp_lt_i32_e64 s0, v82, v13
	s_delay_alu instid0(VALU_DEP_1) | instskip(SKIP_1) | instid1(VALU_DEP_1)
	v_cndmask_b32_e64 v17, 0, v19, s0
	v_cmp_lt_i32_e64 s0, v81, v12
	v_cndmask_b32_e64 v18, 0, v36, s0
	v_cmp_lt_i32_e64 s0, v80, v13
	s_delay_alu instid0(VALU_DEP_4) | instskip(NEXT) | instid1(VALU_DEP_2)
	v_or_b32_e32 v39, v8, v17
	v_dual_cndmask_b32 v9, 0, v9, s0 :: v_dual_bitop2_b32 v48, v16, v18 bitop3:0x54
	v_cmp_lt_i32_e64 s0, v71, v12
	s_delay_alu instid0(VALU_DEP_1) | instskip(SKIP_1) | instid1(VALU_DEP_1)
	v_cndmask_b32_e64 v6, 0, v6, s0
	v_cmp_lt_i32_e64 s0, v70, v13
	v_cndmask_b32_e64 v1, 0, v1, s0
	v_cmp_lt_i32_e64 s0, v69, v12
	s_delay_alu instid0(VALU_DEP_1) | instskip(NEXT) | instid1(VALU_DEP_1)
	v_dual_cndmask_b32 v0, 0, v0, s0 :: v_dual_bitop2_b32 v37, v9, v1 bitop3:0x54
	v_or_b32_e32 v38, v6, v0
.LBB281_1864:                           ;   in Loop: Header=BB281_1005 Depth=1
	s_or_b32 exec_lo, exec_lo, s14
	;;#ASMSTART
	v_pk_mul_f16 v0, v96, v39;

	;;#ASMEND
	;;#ASMSTART
	v_pk_mul_f16 v1, v86, v48;

	;;#ASMEND
	;; [unrolled: 4-line block ×4, first 2 shown]
	;;#ASMSTART
	v_pk_add_f16 v0, v0, v1;

	;;#ASMEND
	;;#ASMSTART
	v_pk_add_f16 v0, v0, v6;

	;;#ASMEND
	;; [unrolled: 4-line block ×3, first 2 shown]
	v_and_b32_e32 v1, 0xffff, v0
	v_lshrrev_b32_e32 v0, 16, v0
	;;#ASMSTART
	v_cvt_f32_f16 v56, v1;
	;;#ASMEND
	;;#ASMSTART
	v_cvt_f32_f16 v57, v0;
	;;#ASMEND
	flat_load_b64 v[38:39], v[28:29] offset:3328
	scratch_load_b64 v[0:1], off, s32 offset:192 ; 8-byte Folded Reload
	v_mov_b32_e32 v8, 0
	s_mov_b32 s14, exec_lo
	s_wait_loadcnt 0x0
	flat_load_b32 v36, v[0:1]
	s_wait_dscnt 0x1
	s_wait_xcnt 0x0
	v_and_b32_e32 v0, 0xff, v38
	v_mov_b32_e32 v1, 0
	s_delay_alu instid0(VALU_DEP_2)
	v_cmpx_ne_u16_e32 0, v0
	s_cbranch_execz .LBB281_1872
; %bb.1865:                             ;   in Loop: Header=BB281_1005 Depth=1
	v_mov_b32_e32 v8, 0x8000
	s_mov_b32 s15, exec_lo
	v_cmpx_ne_u16_e32 0x80, v0
	s_cbranch_execz .LBB281_1871
; %bb.1866:                             ;   in Loop: Header=BB281_1005 Depth=1
	v_and_b32_e32 v9, 0x7f, v38
	v_mov_b32_e32 v8, 0x7c01
	s_mov_b32 s16, exec_lo
	s_delay_alu instid0(VALU_DEP_2)
	v_cmpx_ne_u32_e32 0x7f, v9
	s_cbranch_execz .LBB281_1870
; %bb.1867:                             ;   in Loop: Header=BB281_1005 Depth=1
	v_dual_lshrrev_b32 v6, 3, v9 :: v_dual_bitop2_b32 v0, 7, v38 bitop3:0x40
	s_mov_b32 s17, exec_lo
	v_cmpx_gt_u32_e32 8, v9
; %bb.1868:                             ;   in Loop: Header=BB281_1005 Depth=1
	s_delay_alu instid0(VALU_DEP_2) | instskip(NEXT) | instid1(VALU_DEP_1)
	v_clz_i32_u32_e32 v0, v0
	v_min_u32_e32 v0, 32, v0
	s_delay_alu instid0(VALU_DEP_1) | instskip(NEXT) | instid1(VALU_DEP_1)
	v_subrev_nc_u32_e32 v6, 28, v0
	v_lshlrev_b64_e32 v[8:9], v6, v[38:39]
	v_sub_nc_u32_e32 v6, 29, v0
	s_delay_alu instid0(VALU_DEP_2)
	v_and_b32_e32 v0, 7, v8
; %bb.1869:                             ;   in Loop: Header=BB281_1005 Depth=1
	s_or_b32 exec_lo, exec_lo, s17
	s_delay_alu instid0(VALU_DEP_1) | instskip(NEXT) | instid1(VALU_DEP_3)
	v_dual_lshlrev_b32 v8, 8, v38 :: v_dual_lshlrev_b32 v0, 7, v0
	v_lshl_add_u32 v6, v6, 10, 0x2000
	s_delay_alu instid0(VALU_DEP_2) | instskip(NEXT) | instid1(VALU_DEP_2)
	v_and_b32_e32 v8, 0x8000, v8
	v_and_b32_e32 v6, 0xfc00, v6
	s_delay_alu instid0(VALU_DEP_1)
	v_or3_b32 v8, v8, v6, v0
.LBB281_1870:                           ;   in Loop: Header=BB281_1005 Depth=1
	s_or_b32 exec_lo, exec_lo, s16
.LBB281_1871:                           ;   in Loop: Header=BB281_1005 Depth=1
	s_delay_alu instid0(SALU_CYCLE_1)
	s_or_b32 exec_lo, exec_lo, s15
.LBB281_1872:                           ;   in Loop: Header=BB281_1005 Depth=1
	s_delay_alu instid0(SALU_CYCLE_1) | instskip(SKIP_2) | instid1(VALU_DEP_1)
	s_or_b32 exec_lo, exec_lo, s14
	v_lshrrev_b16 v6, 8, v38
	s_mov_b32 s14, exec_lo
	v_cmpx_ne_u16_e32 0, v6
	s_cbranch_execz .LBB281_1880
; %bb.1873:                             ;   in Loop: Header=BB281_1005 Depth=1
	v_bfrev_b32_e32 v1, 1
	s_mov_b32 s15, exec_lo
	v_cmpx_ne_u16_e32 0x80, v6
	s_cbranch_execz .LBB281_1879
; %bb.1874:                             ;   in Loop: Header=BB281_1005 Depth=1
	v_and_b32_e32 v0, 0xffff, v6
	v_mov_b32_e32 v1, 0x7c010000
	s_mov_b32 s16, exec_lo
	s_delay_alu instid0(VALU_DEP_2) | instskip(NEXT) | instid1(VALU_DEP_1)
	v_and_b32_e32 v16, 0x7f, v0
	v_cmpx_ne_u32_e32 0x7f, v16
	s_cbranch_execz .LBB281_1878
; %bb.1875:                             ;   in Loop: Header=BB281_1005 Depth=1
	v_and_b32_e32 v1, 7, v0
	v_lshrrev_b32_e32 v9, 3, v16
	s_mov_b32 s17, exec_lo
	v_cmpx_gt_u32_e32 8, v16
; %bb.1876:                             ;   in Loop: Header=BB281_1005 Depth=1
	s_delay_alu instid0(VALU_DEP_3) | instskip(NEXT) | instid1(VALU_DEP_1)
	v_clz_i32_u32_e32 v1, v1
	v_min_u32_e32 v1, 32, v1
	s_delay_alu instid0(VALU_DEP_1) | instskip(NEXT) | instid1(VALU_DEP_1)
	v_subrev_nc_u32_e32 v9, 28, v1
	v_lshlrev_b64_e32 v[16:17], v9, v[6:7]
	s_delay_alu instid0(VALU_DEP_1)
	v_dual_sub_nc_u32 v9, 29, v1 :: v_dual_bitop2_b32 v1, 7, v16 bitop3:0x40
; %bb.1877:                             ;   in Loop: Header=BB281_1005 Depth=1
	s_or_b32 exec_lo, exec_lo, s17
	s_delay_alu instid0(VALU_DEP_1) | instskip(NEXT) | instid1(VALU_DEP_2)
	v_dual_lshlrev_b32 v0, 8, v0 :: v_dual_lshlrev_b32 v1, 23, v1
	v_lshl_add_u32 v6, v9, 10, 0x2000
	s_delay_alu instid0(VALU_DEP_1) | instskip(NEXT) | instid1(VALU_DEP_1)
	v_and_or_b32 v0, 0x8000, v0, v6
	v_lshl_or_b32 v1, v0, 16, v1
.LBB281_1878:                           ;   in Loop: Header=BB281_1005 Depth=1
	s_or_b32 exec_lo, exec_lo, s16
.LBB281_1879:                           ;   in Loop: Header=BB281_1005 Depth=1
	s_delay_alu instid0(SALU_CYCLE_1)
	s_or_b32 exec_lo, exec_lo, s15
.LBB281_1880:                           ;   in Loop: Header=BB281_1005 Depth=1
	s_delay_alu instid0(SALU_CYCLE_1) | instskip(SKIP_3) | instid1(VALU_DEP_2)
	s_or_b32 exec_lo, exec_lo, s14
	v_dual_mov_b32 v9, 0 :: v_dual_lshrrev_b32 v0, 16, v38
	v_mov_b32_e32 v16, 0
	s_mov_b32 s14, exec_lo
	v_and_b32_e32 v6, 0xff, v0
	s_delay_alu instid0(VALU_DEP_1)
	v_cmpx_ne_u16_e32 0, v6
	s_cbranch_execz .LBB281_1888
; %bb.1881:                             ;   in Loop: Header=BB281_1005 Depth=1
	v_mov_b32_e32 v16, 0x8000
	s_mov_b32 s15, exec_lo
	v_cmpx_ne_u16_e32 0x80, v6
	s_cbranch_execz .LBB281_1887
; %bb.1882:                             ;   in Loop: Header=BB281_1005 Depth=1
	v_bfe_u32 v17, v38, 16, 7
	v_mov_b32_e32 v16, 0x7c01
	s_mov_b32 s16, exec_lo
	s_delay_alu instid0(VALU_DEP_2)
	v_cmpx_ne_u32_e32 0x7f, v17
	s_cbranch_execz .LBB281_1886
; %bb.1883:                             ;   in Loop: Header=BB281_1005 Depth=1
	v_dual_lshrrev_b32 v16, 3, v17 :: v_dual_bitop2_b32 v6, 7, v0 bitop3:0x40
	s_mov_b32 s17, exec_lo
	v_cmpx_gt_u32_e32 8, v17
; %bb.1884:                             ;   in Loop: Header=BB281_1005 Depth=1
	s_delay_alu instid0(VALU_DEP_2) | instskip(NEXT) | instid1(VALU_DEP_1)
	v_clz_i32_u32_e32 v6, v6
	v_min_u32_e32 v6, 32, v6
	s_delay_alu instid0(VALU_DEP_1) | instskip(NEXT) | instid1(VALU_DEP_1)
	v_subrev_nc_u32_e32 v16, 28, v6
	v_lshlrev_b64_e32 v[18:19], v16, v[0:1]
	v_sub_nc_u32_e32 v16, 29, v6
	s_delay_alu instid0(VALU_DEP_2)
	v_and_b32_e32 v6, 7, v18
; %bb.1885:                             ;   in Loop: Header=BB281_1005 Depth=1
	s_or_b32 exec_lo, exec_lo, s17
	s_delay_alu instid0(VALU_DEP_1) | instskip(NEXT) | instid1(VALU_DEP_3)
	v_dual_lshlrev_b32 v0, 8, v0 :: v_dual_lshlrev_b32 v6, 7, v6
	v_lshl_add_u32 v16, v16, 10, 0x2000
	s_delay_alu instid0(VALU_DEP_2) | instskip(NEXT) | instid1(VALU_DEP_2)
	v_and_b32_e32 v0, 0x8000, v0
	v_and_b32_e32 v16, 0xfc00, v16
	s_delay_alu instid0(VALU_DEP_1)
	v_or3_b32 v16, v0, v16, v6
.LBB281_1886:                           ;   in Loop: Header=BB281_1005 Depth=1
	s_or_b32 exec_lo, exec_lo, s16
.LBB281_1887:                           ;   in Loop: Header=BB281_1005 Depth=1
	s_delay_alu instid0(SALU_CYCLE_1)
	s_or_b32 exec_lo, exec_lo, s15
.LBB281_1888:                           ;   in Loop: Header=BB281_1005 Depth=1
	s_delay_alu instid0(SALU_CYCLE_1) | instskip(NEXT) | instid1(SALU_CYCLE_1)
	s_or_b32 exec_lo, exec_lo, s14
	s_mov_b32 s14, exec_lo
	v_cmpx_lt_u32_e32 0xffffff, v38
	s_cbranch_execz .LBB281_1896
; %bb.1889:                             ;   in Loop: Header=BB281_1005 Depth=1
	v_lshrrev_b32_e32 v6, 24, v38
	v_bfrev_b32_e32 v9, 1
	s_mov_b32 s15, exec_lo
	s_delay_alu instid0(VALU_DEP_2)
	v_cmpx_ne_u32_e32 0x80, v6
	s_cbranch_execz .LBB281_1895
; %bb.1890:                             ;   in Loop: Header=BB281_1005 Depth=1
	v_and_b32_e32 v17, 0x7f, v6
	v_mov_b32_e32 v9, 0x7c010000
	s_mov_b32 s16, exec_lo
	s_delay_alu instid0(VALU_DEP_2)
	v_cmpx_ne_u32_e32 0x7f, v17
	s_cbranch_execz .LBB281_1894
; %bb.1891:                             ;   in Loop: Header=BB281_1005 Depth=1
	v_dual_lshrrev_b32 v9, 3, v17 :: v_dual_bitop2_b32 v0, 7, v6 bitop3:0x40
	s_mov_b32 s17, exec_lo
	v_cmpx_gt_u32_e32 8, v17
; %bb.1892:                             ;   in Loop: Header=BB281_1005 Depth=1
	s_delay_alu instid0(VALU_DEP_2) | instskip(NEXT) | instid1(VALU_DEP_1)
	v_clz_i32_u32_e32 v0, v0
	v_min_u32_e32 v0, 32, v0
	s_delay_alu instid0(VALU_DEP_1) | instskip(NEXT) | instid1(VALU_DEP_1)
	v_subrev_nc_u32_e32 v9, 28, v0
	v_lshlrev_b64_e32 v[18:19], v9, v[6:7]
	s_delay_alu instid0(VALU_DEP_1)
	v_dual_sub_nc_u32 v9, 29, v0 :: v_dual_bitop2_b32 v0, 7, v18 bitop3:0x40
; %bb.1893:                             ;   in Loop: Header=BB281_1005 Depth=1
	s_or_b32 exec_lo, exec_lo, s17
	s_delay_alu instid0(VALU_DEP_1) | instskip(NEXT) | instid1(VALU_DEP_2)
	v_dual_lshlrev_b32 v6, 8, v6 :: v_dual_lshlrev_b32 v0, 23, v0
	v_lshl_add_u32 v9, v9, 10, 0x2000
	s_delay_alu instid0(VALU_DEP_1) | instskip(NEXT) | instid1(VALU_DEP_1)
	v_and_or_b32 v6, 0x8000, v6, v9
	v_lshl_or_b32 v9, v6, 16, v0
.LBB281_1894:                           ;   in Loop: Header=BB281_1005 Depth=1
	s_or_b32 exec_lo, exec_lo, s16
.LBB281_1895:                           ;   in Loop: Header=BB281_1005 Depth=1
	s_delay_alu instid0(SALU_CYCLE_1)
	s_or_b32 exec_lo, exec_lo, s15
.LBB281_1896:                           ;   in Loop: Header=BB281_1005 Depth=1
	s_delay_alu instid0(SALU_CYCLE_1) | instskip(SKIP_4) | instid1(VALU_DEP_3)
	s_or_b32 exec_lo, exec_lo, s14
	v_and_b32_e32 v0, 0xff, v39
	v_dual_mov_b32 v6, v39 :: v_dual_mov_b32 v18, 0
	v_mov_b32_e32 v17, 0
	s_mov_b32 s14, exec_lo
	v_cmpx_ne_u16_e32 0, v0
	s_cbranch_execz .LBB281_1904
; %bb.1897:                             ;   in Loop: Header=BB281_1005 Depth=1
	v_mov_b32_e32 v17, 0x8000
	s_mov_b32 s15, exec_lo
	v_cmpx_ne_u16_e32 0x80, v0
	s_cbranch_execz .LBB281_1903
; %bb.1898:                             ;   in Loop: Header=BB281_1005 Depth=1
	v_and_b32_e32 v19, 0x7f, v39
	v_mov_b32_e32 v17, 0x7c01
	s_mov_b32 s16, exec_lo
	s_delay_alu instid0(VALU_DEP_2)
	v_cmpx_ne_u32_e32 0x7f, v19
	s_cbranch_execz .LBB281_1902
; %bb.1899:                             ;   in Loop: Header=BB281_1005 Depth=1
	v_and_b32_e32 v0, 7, v39
	v_lshrrev_b32_e32 v17, 3, v19
	s_mov_b32 s17, exec_lo
	v_cmpx_gt_u32_e32 8, v19
; %bb.1900:                             ;   in Loop: Header=BB281_1005 Depth=1
	s_delay_alu instid0(VALU_DEP_3) | instskip(NEXT) | instid1(VALU_DEP_1)
	v_clz_i32_u32_e32 v0, v0
	v_min_u32_e32 v0, 32, v0
	s_delay_alu instid0(VALU_DEP_1) | instskip(NEXT) | instid1(VALU_DEP_1)
	v_subrev_nc_u32_e32 v17, 28, v0
	v_lshlrev_b64_e32 v[22:23], v17, v[6:7]
	s_delay_alu instid0(VALU_DEP_1)
	v_dual_sub_nc_u32 v17, 29, v0 :: v_dual_bitop2_b32 v0, 7, v22 bitop3:0x40
; %bb.1901:                             ;   in Loop: Header=BB281_1005 Depth=1
	s_or_b32 exec_lo, exec_lo, s17
	s_delay_alu instid0(VALU_DEP_1) | instskip(NEXT) | instid1(VALU_DEP_2)
	v_dual_lshlrev_b32 v19, 8, v39 :: v_dual_lshlrev_b32 v0, 7, v0
	v_lshl_add_u32 v17, v17, 10, 0x2000
	s_delay_alu instid0(VALU_DEP_2) | instskip(NEXT) | instid1(VALU_DEP_2)
	v_and_b32_e32 v19, 0x8000, v19
	v_and_b32_e32 v17, 0xfc00, v17
	s_delay_alu instid0(VALU_DEP_1)
	v_or3_b32 v17, v19, v17, v0
.LBB281_1902:                           ;   in Loop: Header=BB281_1005 Depth=1
	s_or_b32 exec_lo, exec_lo, s16
.LBB281_1903:                           ;   in Loop: Header=BB281_1005 Depth=1
	s_delay_alu instid0(SALU_CYCLE_1)
	s_or_b32 exec_lo, exec_lo, s15
.LBB281_1904:                           ;   in Loop: Header=BB281_1005 Depth=1
	s_delay_alu instid0(SALU_CYCLE_1) | instskip(SKIP_3) | instid1(VALU_DEP_2)
	s_or_b32 exec_lo, exec_lo, s14
	v_lshrrev_b16 v6, 8, v6
	v_mov_b32_e32 v19, 0
	s_mov_b32 s14, exec_lo
	v_cmpx_ne_u16_e32 0, v6
	s_cbranch_execz .LBB281_1912
; %bb.1905:                             ;   in Loop: Header=BB281_1005 Depth=1
	v_bfrev_b32_e32 v19, 1
	s_mov_b32 s15, exec_lo
	v_cmpx_ne_u16_e32 0x80, v6
	s_cbranch_execz .LBB281_1911
; %bb.1906:                             ;   in Loop: Header=BB281_1005 Depth=1
	v_and_b32_e32 v0, 0xffff, v6
	v_mov_b32_e32 v19, 0x7c010000
	s_mov_b32 s16, exec_lo
	s_delay_alu instid0(VALU_DEP_2) | instskip(NEXT) | instid1(VALU_DEP_1)
	v_and_b32_e32 v23, 0x7f, v0
	v_cmpx_ne_u32_e32 0x7f, v23
	s_cbranch_execz .LBB281_1910
; %bb.1907:                             ;   in Loop: Header=BB281_1005 Depth=1
	v_dual_lshrrev_b32 v22, 3, v23 :: v_dual_bitop2_b32 v19, 7, v0 bitop3:0x40
	s_mov_b32 s17, exec_lo
	v_cmpx_gt_u32_e32 8, v23
; %bb.1908:                             ;   in Loop: Header=BB281_1005 Depth=1
	s_delay_alu instid0(VALU_DEP_2) | instskip(NEXT) | instid1(VALU_DEP_1)
	v_clz_i32_u32_e32 v19, v19
	v_min_u32_e32 v19, 32, v19
	s_delay_alu instid0(VALU_DEP_1) | instskip(NEXT) | instid1(VALU_DEP_1)
	v_subrev_nc_u32_e32 v22, 28, v19
	v_lshlrev_b64_e32 v[48:49], v22, v[6:7]
	s_delay_alu instid0(VALU_DEP_1)
	v_dual_sub_nc_u32 v22, 29, v19 :: v_dual_bitop2_b32 v19, 7, v48 bitop3:0x40
; %bb.1909:                             ;   in Loop: Header=BB281_1005 Depth=1
	s_or_b32 exec_lo, exec_lo, s17
	v_lshlrev_b32_e32 v0, 8, v0
	s_delay_alu instid0(VALU_DEP_2) | instskip(NEXT) | instid1(VALU_DEP_1)
	v_lshl_add_u32 v6, v22, 10, 0x2000
	v_and_or_b32 v0, 0x8000, v0, v6
	v_lshlrev_b32_e32 v6, 23, v19
	s_delay_alu instid0(VALU_DEP_1)
	v_lshl_or_b32 v19, v0, 16, v6
.LBB281_1910:                           ;   in Loop: Header=BB281_1005 Depth=1
	s_or_b32 exec_lo, exec_lo, s16
.LBB281_1911:                           ;   in Loop: Header=BB281_1005 Depth=1
	s_delay_alu instid0(SALU_CYCLE_1)
	s_or_b32 exec_lo, exec_lo, s15
.LBB281_1912:                           ;   in Loop: Header=BB281_1005 Depth=1
	s_delay_alu instid0(SALU_CYCLE_1) | instskip(SKIP_2) | instid1(VALU_DEP_1)
	s_or_b32 exec_lo, exec_lo, s14
	v_lshrrev_b32_e32 v0, 16, v39
	s_mov_b32 s14, exec_lo
	v_and_b32_e32 v6, 0xff, v0
	s_delay_alu instid0(VALU_DEP_1)
	v_cmpx_ne_u16_e32 0, v6
	s_cbranch_execz .LBB281_1920
; %bb.1913:                             ;   in Loop: Header=BB281_1005 Depth=1
	v_mov_b32_e32 v18, 0x8000
	s_mov_b32 s15, exec_lo
	v_cmpx_ne_u16_e32 0x80, v6
	s_cbranch_execz .LBB281_1919
; %bb.1914:                             ;   in Loop: Header=BB281_1005 Depth=1
	v_bfe_u32 v22, v39, 16, 7
	v_mov_b32_e32 v18, 0x7c01
	s_mov_b32 s16, exec_lo
	s_delay_alu instid0(VALU_DEP_2)
	v_cmpx_ne_u32_e32 0x7f, v22
	s_cbranch_execz .LBB281_1918
; %bb.1915:                             ;   in Loop: Header=BB281_1005 Depth=1
	v_dual_lshrrev_b32 v18, 3, v22 :: v_dual_bitop2_b32 v6, 7, v0 bitop3:0x40
	s_mov_b32 s17, exec_lo
	v_cmpx_gt_u32_e32 8, v22
; %bb.1916:                             ;   in Loop: Header=BB281_1005 Depth=1
	s_delay_alu instid0(VALU_DEP_2) | instskip(NEXT) | instid1(VALU_DEP_1)
	v_clz_i32_u32_e32 v6, v6
	v_min_u32_e32 v6, 32, v6
	s_delay_alu instid0(VALU_DEP_1) | instskip(NEXT) | instid1(VALU_DEP_1)
	v_subrev_nc_u32_e32 v18, 28, v6
	v_lshlrev_b64_e32 v[22:23], v18, v[0:1]
	v_sub_nc_u32_e32 v18, 29, v6
	s_delay_alu instid0(VALU_DEP_2)
	v_and_b32_e32 v6, 7, v22
; %bb.1917:                             ;   in Loop: Header=BB281_1005 Depth=1
	s_or_b32 exec_lo, exec_lo, s17
	s_delay_alu instid0(VALU_DEP_1) | instskip(NEXT) | instid1(VALU_DEP_3)
	v_dual_lshlrev_b32 v0, 8, v0 :: v_dual_lshlrev_b32 v6, 7, v6
	v_lshl_add_u32 v18, v18, 10, 0x2000
	s_delay_alu instid0(VALU_DEP_2) | instskip(NEXT) | instid1(VALU_DEP_2)
	v_and_b32_e32 v0, 0x8000, v0
	v_and_b32_e32 v18, 0xfc00, v18
	s_delay_alu instid0(VALU_DEP_1)
	v_or3_b32 v18, v0, v18, v6
.LBB281_1918:                           ;   in Loop: Header=BB281_1005 Depth=1
	s_or_b32 exec_lo, exec_lo, s16
.LBB281_1919:                           ;   in Loop: Header=BB281_1005 Depth=1
	s_delay_alu instid0(SALU_CYCLE_1)
	s_or_b32 exec_lo, exec_lo, s15
.LBB281_1920:                           ;   in Loop: Header=BB281_1005 Depth=1
	s_delay_alu instid0(SALU_CYCLE_1)
	s_or_b32 exec_lo, exec_lo, s14
	v_mov_b32_e32 v0, 0
	s_mov_b32 s14, exec_lo
	v_cmpx_lt_u64_e64 s[2:3], v[38:39]
	s_cbranch_execz .LBB281_1928
; %bb.1921:                             ;   in Loop: Header=BB281_1005 Depth=1
	v_lshrrev_b32_e32 v6, 24, v39
	v_bfrev_b32_e32 v0, 1
	s_mov_b32 s15, exec_lo
	s_delay_alu instid0(VALU_DEP_2)
	v_cmpx_ne_u32_e32 0x80, v6
	s_cbranch_execz .LBB281_1927
; %bb.1922:                             ;   in Loop: Header=BB281_1005 Depth=1
	v_and_b32_e32 v23, 0x7f, v6
	v_mov_b32_e32 v0, 0x7c010000
	s_mov_b32 s16, exec_lo
	s_delay_alu instid0(VALU_DEP_2)
	v_cmpx_ne_u32_e32 0x7f, v23
	s_cbranch_execz .LBB281_1926
; %bb.1923:                             ;   in Loop: Header=BB281_1005 Depth=1
	v_dual_lshrrev_b32 v22, 3, v23 :: v_dual_bitop2_b32 v0, 7, v6 bitop3:0x40
	s_mov_b32 s17, exec_lo
	v_cmpx_gt_u32_e32 8, v23
; %bb.1924:                             ;   in Loop: Header=BB281_1005 Depth=1
	s_delay_alu instid0(VALU_DEP_2) | instskip(NEXT) | instid1(VALU_DEP_1)
	v_clz_i32_u32_e32 v0, v0
	v_min_u32_e32 v0, 32, v0
	s_delay_alu instid0(VALU_DEP_1) | instskip(NEXT) | instid1(VALU_DEP_1)
	v_subrev_nc_u32_e32 v22, 28, v0
	v_lshlrev_b64_e32 v[38:39], v22, v[6:7]
	s_delay_alu instid0(VALU_DEP_1)
	v_dual_sub_nc_u32 v22, 29, v0 :: v_dual_bitop2_b32 v0, 7, v38 bitop3:0x40
; %bb.1925:                             ;   in Loop: Header=BB281_1005 Depth=1
	s_or_b32 exec_lo, exec_lo, s17
	s_delay_alu instid0(VALU_DEP_1) | instskip(NEXT) | instid1(VALU_DEP_2)
	v_dual_lshlrev_b32 v6, 8, v6 :: v_dual_lshlrev_b32 v0, 23, v0
	v_lshl_add_u32 v22, v22, 10, 0x2000
	s_delay_alu instid0(VALU_DEP_1) | instskip(NEXT) | instid1(VALU_DEP_1)
	v_and_or_b32 v6, 0x8000, v6, v22
	v_lshl_or_b32 v0, v6, 16, v0
.LBB281_1926:                           ;   in Loop: Header=BB281_1005 Depth=1
	s_or_b32 exec_lo, exec_lo, s16
.LBB281_1927:                           ;   in Loop: Header=BB281_1005 Depth=1
	s_delay_alu instid0(SALU_CYCLE_1)
	s_or_b32 exec_lo, exec_lo, s15
.LBB281_1928:                           ;   in Loop: Header=BB281_1005 Depth=1
	s_delay_alu instid0(SALU_CYCLE_1) | instskip(SKIP_2) | instid1(VALU_DEP_2)
	s_or_b32 exec_lo, exec_lo, s14
	v_dual_lshrrev_b32 v6, 16, v1 :: v_dual_bitop2_b32 v1, v1, v8 bitop3:0x54
	v_dual_lshrrev_b32 v22, 16, v9 :: v_dual_bitop2_b32 v16, v9, v16 bitop3:0x54
	v_cvt_f32_f16_e32 v9, v6
	v_dual_lshrrev_b32 v18, 16, v19 :: v_dual_bitop2_b32 v6, v0, v18 bitop3:0x54
	s_delay_alu instid0(VALU_DEP_3)
	v_cvt_f32_f16_e32 v8, v22
	v_dual_lshrrev_b32 v22, 16, v0 :: v_dual_bitop2_b32 v19, v19, v17 bitop3:0x54
	v_cvt_f32_f16_e32 v0, v16
	v_cvt_f32_f16_e32 v1, v1
	s_wait_loadcnt_dscnt 0x0
	v_pk_mul_f32 v[8:9], v[36:37], v[8:9] op_sel_hi:[0,1]
	v_cvt_f32_f16_e32 v17, v18
	v_cvt_f32_f16_e32 v16, v22
	;; [unrolled: 1-line block ×4, first 2 shown]
	v_pk_mul_f32 v[0:1], v[36:37], v[0:1] op_sel_hi:[0,1]
	v_cvt_pk_f16_f32 v6, v8, v9
	v_pk_mul_f32 v[8:9], v[36:37], v[16:17] op_sel_hi:[0,1]
	s_delay_alu instid0(VALU_DEP_4) | instskip(NEXT) | instid1(VALU_DEP_4)
	v_pk_mul_f32 v[16:17], v[36:37], v[18:19] op_sel_hi:[0,1]
	v_cvt_pk_f16_f32 v0, v0, v1
	s_delay_alu instid0(VALU_DEP_4) | instskip(NEXT) | instid1(VALU_DEP_4)
	v_and_b32_e32 v19, 0xffff0000, v6
	v_cvt_pk_f16_f32 v8, v8, v9
	v_lshlrev_b32_e32 v36, 16, v6
	v_cvt_pk_f16_f32 v6, v16, v17
	v_lshrrev_b32_e32 v49, 16, v0
	v_and_b32_e32 v50, 0xffff, v0
	v_and_b32_e32 v1, 0xffff0000, v8
	s_delay_alu instid0(VALU_DEP_4) | instskip(SKIP_3) | instid1(VALU_DEP_4)
	v_dual_lshlrev_b32 v0, 16, v8 :: v_dual_lshrrev_b32 v9, 16, v6
	v_and_b32_e32 v6, 0xffff, v6
	v_or_b32_e32 v39, v19, v49
	v_or_b32_e32 v48, v36, v50
	;; [unrolled: 1-line block ×3, first 2 shown]
	s_delay_alu instid0(VALU_DEP_4)
	v_or_b32_e32 v38, v0, v6
	s_and_saveexec_b32 s14, vcc_lo
	s_cbranch_execz .LBB281_1930
; %bb.1929:                             ;   in Loop: Header=BB281_1005 Depth=1
	v_cmp_lt_i32_e64 s0, v68, v13
	s_delay_alu instid0(VALU_DEP_1) | instskip(SKIP_1) | instid1(VALU_DEP_1)
	v_cndmask_b32_e64 v8, 0, v49, s0
	v_cmp_lt_i32_e64 s0, v83, v12
	v_cndmask_b32_e64 v16, 0, v50, s0
	v_cmp_lt_i32_e64 s0, v82, v13
	s_delay_alu instid0(VALU_DEP_1) | instskip(SKIP_1) | instid1(VALU_DEP_1)
	v_cndmask_b32_e64 v17, 0, v19, s0
	v_cmp_lt_i32_e64 s0, v81, v12
	v_cndmask_b32_e64 v18, 0, v36, s0
	v_cmp_lt_i32_e64 s0, v80, v13
	s_delay_alu instid0(VALU_DEP_4) | instskip(NEXT) | instid1(VALU_DEP_2)
	v_or_b32_e32 v39, v8, v17
	v_dual_cndmask_b32 v9, 0, v9, s0 :: v_dual_bitop2_b32 v48, v16, v18 bitop3:0x54
	v_cmp_lt_i32_e64 s0, v71, v12
	s_delay_alu instid0(VALU_DEP_1) | instskip(SKIP_1) | instid1(VALU_DEP_1)
	v_cndmask_b32_e64 v6, 0, v6, s0
	v_cmp_lt_i32_e64 s0, v70, v13
	v_cndmask_b32_e64 v1, 0, v1, s0
	v_cmp_lt_i32_e64 s0, v69, v12
	s_delay_alu instid0(VALU_DEP_1) | instskip(NEXT) | instid1(VALU_DEP_1)
	v_dual_cndmask_b32 v0, 0, v0, s0 :: v_dual_bitop2_b32 v37, v9, v1 bitop3:0x54
	v_or_b32_e32 v38, v6, v0
.LBB281_1930:                           ;   in Loop: Header=BB281_1005 Depth=1
	s_or_b32 exec_lo, exec_lo, s14
	;;#ASMSTART
	v_pk_mul_f16 v0, v96, v39;

	;;#ASMEND
	;;#ASMSTART
	v_pk_mul_f16 v1, v86, v48;

	;;#ASMEND
	;; [unrolled: 4-line block ×4, first 2 shown]
	;;#ASMSTART
	v_pk_add_f16 v0, v0, v1;

	;;#ASMEND
	;;#ASMSTART
	v_pk_add_f16 v0, v0, v6;

	;;#ASMEND
	;; [unrolled: 4-line block ×3, first 2 shown]
	v_and_b32_e32 v1, 0xffff, v0
	v_lshrrev_b32_e32 v0, 16, v0
	;;#ASMSTART
	v_cvt_f32_f16 v49, v1;
	;;#ASMEND
	;;#ASMSTART
	v_cvt_f32_f16 v50, v0;
	;;#ASMEND
	flat_load_b64 v[36:37], v[28:29] offset:3584
	scratch_load_b64 v[0:1], off, s32 offset:192 ; 8-byte Folded Reload
	v_mov_b32_e32 v8, 0
	s_mov_b32 s14, exec_lo
	s_wait_loadcnt 0x0
	flat_load_b32 v28, v[0:1]
	s_wait_dscnt 0x1
	s_wait_xcnt 0x0
	v_and_b32_e32 v0, 0xff, v36
	v_mov_b32_e32 v1, 0
	s_delay_alu instid0(VALU_DEP_2)
	v_cmpx_ne_u16_e32 0, v0
	s_cbranch_execz .LBB281_1938
; %bb.1931:                             ;   in Loop: Header=BB281_1005 Depth=1
	v_mov_b32_e32 v8, 0x8000
	s_mov_b32 s15, exec_lo
	v_cmpx_ne_u16_e32 0x80, v0
	s_cbranch_execz .LBB281_1937
; %bb.1932:                             ;   in Loop: Header=BB281_1005 Depth=1
	v_and_b32_e32 v9, 0x7f, v36
	v_mov_b32_e32 v8, 0x7c01
	s_mov_b32 s16, exec_lo
	s_delay_alu instid0(VALU_DEP_2)
	v_cmpx_ne_u32_e32 0x7f, v9
	s_cbranch_execz .LBB281_1936
; %bb.1933:                             ;   in Loop: Header=BB281_1005 Depth=1
	v_dual_lshrrev_b32 v6, 3, v9 :: v_dual_bitop2_b32 v0, 7, v36 bitop3:0x40
	s_mov_b32 s17, exec_lo
	v_cmpx_gt_u32_e32 8, v9
; %bb.1934:                             ;   in Loop: Header=BB281_1005 Depth=1
	s_delay_alu instid0(VALU_DEP_2) | instskip(NEXT) | instid1(VALU_DEP_1)
	v_clz_i32_u32_e32 v0, v0
	v_min_u32_e32 v0, 32, v0
	s_delay_alu instid0(VALU_DEP_1) | instskip(NEXT) | instid1(VALU_DEP_1)
	v_subrev_nc_u32_e32 v6, 28, v0
	v_lshlrev_b64_e32 v[8:9], v6, v[36:37]
	v_sub_nc_u32_e32 v6, 29, v0
	s_delay_alu instid0(VALU_DEP_2)
	v_and_b32_e32 v0, 7, v8
; %bb.1935:                             ;   in Loop: Header=BB281_1005 Depth=1
	s_or_b32 exec_lo, exec_lo, s17
	v_lshlrev_b32_e32 v8, 8, v36
	s_delay_alu instid0(VALU_DEP_3) | instskip(NEXT) | instid1(VALU_DEP_3)
	v_lshl_add_u32 v6, v6, 10, 0x2000
	v_lshlrev_b32_e32 v0, 7, v0
	s_delay_alu instid0(VALU_DEP_3) | instskip(NEXT) | instid1(VALU_DEP_3)
	v_and_b32_e32 v8, 0x8000, v8
	v_and_b32_e32 v6, 0xfc00, v6
	s_delay_alu instid0(VALU_DEP_1)
	v_or3_b32 v8, v8, v6, v0
.LBB281_1936:                           ;   in Loop: Header=BB281_1005 Depth=1
	s_or_b32 exec_lo, exec_lo, s16
.LBB281_1937:                           ;   in Loop: Header=BB281_1005 Depth=1
	s_delay_alu instid0(SALU_CYCLE_1)
	s_or_b32 exec_lo, exec_lo, s15
.LBB281_1938:                           ;   in Loop: Header=BB281_1005 Depth=1
	s_delay_alu instid0(SALU_CYCLE_1) | instskip(SKIP_2) | instid1(VALU_DEP_1)
	s_or_b32 exec_lo, exec_lo, s14
	v_lshrrev_b16 v6, 8, v36
	s_mov_b32 s14, exec_lo
	v_cmpx_ne_u16_e32 0, v6
	s_cbranch_execz .LBB281_1946
; %bb.1939:                             ;   in Loop: Header=BB281_1005 Depth=1
	v_bfrev_b32_e32 v1, 1
	s_mov_b32 s15, exec_lo
	v_cmpx_ne_u16_e32 0x80, v6
	s_cbranch_execz .LBB281_1945
; %bb.1940:                             ;   in Loop: Header=BB281_1005 Depth=1
	v_and_b32_e32 v0, 0xffff, v6
	v_mov_b32_e32 v1, 0x7c010000
	s_mov_b32 s16, exec_lo
	s_delay_alu instid0(VALU_DEP_2) | instskip(NEXT) | instid1(VALU_DEP_1)
	v_and_b32_e32 v16, 0x7f, v0
	v_cmpx_ne_u32_e32 0x7f, v16
	s_cbranch_execz .LBB281_1944
; %bb.1941:                             ;   in Loop: Header=BB281_1005 Depth=1
	v_and_b32_e32 v1, 7, v0
	v_lshrrev_b32_e32 v9, 3, v16
	s_mov_b32 s17, exec_lo
	v_cmpx_gt_u32_e32 8, v16
; %bb.1942:                             ;   in Loop: Header=BB281_1005 Depth=1
	s_delay_alu instid0(VALU_DEP_3) | instskip(NEXT) | instid1(VALU_DEP_1)
	v_clz_i32_u32_e32 v1, v1
	v_min_u32_e32 v1, 32, v1
	s_delay_alu instid0(VALU_DEP_1) | instskip(NEXT) | instid1(VALU_DEP_1)
	v_subrev_nc_u32_e32 v9, 28, v1
	v_lshlrev_b64_e32 v[16:17], v9, v[6:7]
	s_delay_alu instid0(VALU_DEP_1)
	v_dual_sub_nc_u32 v9, 29, v1 :: v_dual_bitop2_b32 v1, 7, v16 bitop3:0x40
; %bb.1943:                             ;   in Loop: Header=BB281_1005 Depth=1
	s_or_b32 exec_lo, exec_lo, s17
	s_delay_alu instid0(VALU_DEP_1) | instskip(NEXT) | instid1(VALU_DEP_2)
	v_dual_lshlrev_b32 v0, 8, v0 :: v_dual_lshlrev_b32 v1, 23, v1
	v_lshl_add_u32 v6, v9, 10, 0x2000
	s_delay_alu instid0(VALU_DEP_1) | instskip(NEXT) | instid1(VALU_DEP_1)
	v_and_or_b32 v0, 0x8000, v0, v6
	v_lshl_or_b32 v1, v0, 16, v1
.LBB281_1944:                           ;   in Loop: Header=BB281_1005 Depth=1
	s_or_b32 exec_lo, exec_lo, s16
.LBB281_1945:                           ;   in Loop: Header=BB281_1005 Depth=1
	s_delay_alu instid0(SALU_CYCLE_1)
	s_or_b32 exec_lo, exec_lo, s15
.LBB281_1946:                           ;   in Loop: Header=BB281_1005 Depth=1
	s_delay_alu instid0(SALU_CYCLE_1) | instskip(SKIP_3) | instid1(VALU_DEP_2)
	s_or_b32 exec_lo, exec_lo, s14
	v_dual_mov_b32 v9, 0 :: v_dual_lshrrev_b32 v0, 16, v36
	v_mov_b32_e32 v16, 0
	s_mov_b32 s14, exec_lo
	v_and_b32_e32 v6, 0xff, v0
	s_delay_alu instid0(VALU_DEP_1)
	v_cmpx_ne_u16_e32 0, v6
	s_cbranch_execz .LBB281_1954
; %bb.1947:                             ;   in Loop: Header=BB281_1005 Depth=1
	v_mov_b32_e32 v16, 0x8000
	s_mov_b32 s15, exec_lo
	v_cmpx_ne_u16_e32 0x80, v6
	s_cbranch_execz .LBB281_1953
; %bb.1948:                             ;   in Loop: Header=BB281_1005 Depth=1
	v_bfe_u32 v17, v36, 16, 7
	v_mov_b32_e32 v16, 0x7c01
	s_mov_b32 s16, exec_lo
	s_delay_alu instid0(VALU_DEP_2)
	v_cmpx_ne_u32_e32 0x7f, v17
	s_cbranch_execz .LBB281_1952
; %bb.1949:                             ;   in Loop: Header=BB281_1005 Depth=1
	v_dual_lshrrev_b32 v16, 3, v17 :: v_dual_bitop2_b32 v6, 7, v0 bitop3:0x40
	s_mov_b32 s17, exec_lo
	v_cmpx_gt_u32_e32 8, v17
; %bb.1950:                             ;   in Loop: Header=BB281_1005 Depth=1
	s_delay_alu instid0(VALU_DEP_2) | instskip(NEXT) | instid1(VALU_DEP_1)
	v_clz_i32_u32_e32 v6, v6
	v_min_u32_e32 v6, 32, v6
	s_delay_alu instid0(VALU_DEP_1) | instskip(NEXT) | instid1(VALU_DEP_1)
	v_subrev_nc_u32_e32 v16, 28, v6
	v_lshlrev_b64_e32 v[18:19], v16, v[0:1]
	v_sub_nc_u32_e32 v16, 29, v6
	s_delay_alu instid0(VALU_DEP_2)
	v_and_b32_e32 v6, 7, v18
; %bb.1951:                             ;   in Loop: Header=BB281_1005 Depth=1
	s_or_b32 exec_lo, exec_lo, s17
	s_delay_alu instid0(VALU_DEP_1) | instskip(NEXT) | instid1(VALU_DEP_3)
	v_dual_lshlrev_b32 v0, 8, v0 :: v_dual_lshlrev_b32 v6, 7, v6
	v_lshl_add_u32 v16, v16, 10, 0x2000
	s_delay_alu instid0(VALU_DEP_2) | instskip(NEXT) | instid1(VALU_DEP_2)
	v_and_b32_e32 v0, 0x8000, v0
	v_and_b32_e32 v16, 0xfc00, v16
	s_delay_alu instid0(VALU_DEP_1)
	v_or3_b32 v16, v0, v16, v6
.LBB281_1952:                           ;   in Loop: Header=BB281_1005 Depth=1
	s_or_b32 exec_lo, exec_lo, s16
.LBB281_1953:                           ;   in Loop: Header=BB281_1005 Depth=1
	s_delay_alu instid0(SALU_CYCLE_1)
	s_or_b32 exec_lo, exec_lo, s15
.LBB281_1954:                           ;   in Loop: Header=BB281_1005 Depth=1
	s_delay_alu instid0(SALU_CYCLE_1) | instskip(NEXT) | instid1(SALU_CYCLE_1)
	s_or_b32 exec_lo, exec_lo, s14
	s_mov_b32 s14, exec_lo
	v_cmpx_lt_u32_e32 0xffffff, v36
	s_cbranch_execz .LBB281_1962
; %bb.1955:                             ;   in Loop: Header=BB281_1005 Depth=1
	v_lshrrev_b32_e32 v6, 24, v36
	v_bfrev_b32_e32 v9, 1
	s_mov_b32 s15, exec_lo
	s_delay_alu instid0(VALU_DEP_2)
	v_cmpx_ne_u32_e32 0x80, v6
	s_cbranch_execz .LBB281_1961
; %bb.1956:                             ;   in Loop: Header=BB281_1005 Depth=1
	v_and_b32_e32 v17, 0x7f, v6
	v_mov_b32_e32 v9, 0x7c010000
	s_mov_b32 s16, exec_lo
	s_delay_alu instid0(VALU_DEP_2)
	v_cmpx_ne_u32_e32 0x7f, v17
	s_cbranch_execz .LBB281_1960
; %bb.1957:                             ;   in Loop: Header=BB281_1005 Depth=1
	v_dual_lshrrev_b32 v9, 3, v17 :: v_dual_bitop2_b32 v0, 7, v6 bitop3:0x40
	s_mov_b32 s17, exec_lo
	v_cmpx_gt_u32_e32 8, v17
; %bb.1958:                             ;   in Loop: Header=BB281_1005 Depth=1
	s_delay_alu instid0(VALU_DEP_2) | instskip(NEXT) | instid1(VALU_DEP_1)
	v_clz_i32_u32_e32 v0, v0
	v_min_u32_e32 v0, 32, v0
	s_delay_alu instid0(VALU_DEP_1) | instskip(NEXT) | instid1(VALU_DEP_1)
	v_subrev_nc_u32_e32 v9, 28, v0
	v_lshlrev_b64_e32 v[18:19], v9, v[6:7]
	s_delay_alu instid0(VALU_DEP_1)
	v_dual_sub_nc_u32 v9, 29, v0 :: v_dual_bitop2_b32 v0, 7, v18 bitop3:0x40
; %bb.1959:                             ;   in Loop: Header=BB281_1005 Depth=1
	s_or_b32 exec_lo, exec_lo, s17
	s_delay_alu instid0(VALU_DEP_1) | instskip(NEXT) | instid1(VALU_DEP_2)
	v_dual_lshlrev_b32 v6, 8, v6 :: v_dual_lshlrev_b32 v0, 23, v0
	v_lshl_add_u32 v9, v9, 10, 0x2000
	s_delay_alu instid0(VALU_DEP_1) | instskip(NEXT) | instid1(VALU_DEP_1)
	v_and_or_b32 v6, 0x8000, v6, v9
	v_lshl_or_b32 v9, v6, 16, v0
.LBB281_1960:                           ;   in Loop: Header=BB281_1005 Depth=1
	s_or_b32 exec_lo, exec_lo, s16
.LBB281_1961:                           ;   in Loop: Header=BB281_1005 Depth=1
	s_delay_alu instid0(SALU_CYCLE_1)
	s_or_b32 exec_lo, exec_lo, s15
.LBB281_1962:                           ;   in Loop: Header=BB281_1005 Depth=1
	s_delay_alu instid0(SALU_CYCLE_1) | instskip(SKIP_4) | instid1(VALU_DEP_3)
	s_or_b32 exec_lo, exec_lo, s14
	v_and_b32_e32 v0, 0xff, v37
	v_dual_mov_b32 v6, v37 :: v_dual_mov_b32 v18, 0
	v_mov_b32_e32 v17, 0
	s_mov_b32 s14, exec_lo
	v_cmpx_ne_u16_e32 0, v0
	s_cbranch_execz .LBB281_1970
; %bb.1963:                             ;   in Loop: Header=BB281_1005 Depth=1
	v_mov_b32_e32 v17, 0x8000
	s_mov_b32 s15, exec_lo
	v_cmpx_ne_u16_e32 0x80, v0
	s_cbranch_execz .LBB281_1969
; %bb.1964:                             ;   in Loop: Header=BB281_1005 Depth=1
	v_and_b32_e32 v19, 0x7f, v37
	v_mov_b32_e32 v17, 0x7c01
	s_mov_b32 s16, exec_lo
	s_delay_alu instid0(VALU_DEP_2)
	v_cmpx_ne_u32_e32 0x7f, v19
	s_cbranch_execz .LBB281_1968
; %bb.1965:                             ;   in Loop: Header=BB281_1005 Depth=1
	v_dual_lshrrev_b32 v17, 3, v19 :: v_dual_bitop2_b32 v0, 7, v37 bitop3:0x40
	s_mov_b32 s17, exec_lo
	v_cmpx_gt_u32_e32 8, v19
; %bb.1966:                             ;   in Loop: Header=BB281_1005 Depth=1
	s_delay_alu instid0(VALU_DEP_2) | instskip(NEXT) | instid1(VALU_DEP_1)
	v_clz_i32_u32_e32 v0, v0
	v_min_u32_e32 v0, 32, v0
	s_delay_alu instid0(VALU_DEP_1) | instskip(NEXT) | instid1(VALU_DEP_1)
	v_subrev_nc_u32_e32 v17, 28, v0
	v_lshlrev_b64_e32 v[22:23], v17, v[6:7]
	s_delay_alu instid0(VALU_DEP_1)
	v_dual_sub_nc_u32 v17, 29, v0 :: v_dual_bitop2_b32 v0, 7, v22 bitop3:0x40
; %bb.1967:                             ;   in Loop: Header=BB281_1005 Depth=1
	s_or_b32 exec_lo, exec_lo, s17
	s_delay_alu instid0(VALU_DEP_1) | instskip(NEXT) | instid1(VALU_DEP_2)
	v_dual_lshlrev_b32 v19, 8, v37 :: v_dual_lshlrev_b32 v0, 7, v0
	v_lshl_add_u32 v17, v17, 10, 0x2000
	s_delay_alu instid0(VALU_DEP_2) | instskip(NEXT) | instid1(VALU_DEP_2)
	v_and_b32_e32 v19, 0x8000, v19
	v_and_b32_e32 v17, 0xfc00, v17
	s_delay_alu instid0(VALU_DEP_1)
	v_or3_b32 v17, v19, v17, v0
.LBB281_1968:                           ;   in Loop: Header=BB281_1005 Depth=1
	s_or_b32 exec_lo, exec_lo, s16
.LBB281_1969:                           ;   in Loop: Header=BB281_1005 Depth=1
	s_delay_alu instid0(SALU_CYCLE_1)
	s_or_b32 exec_lo, exec_lo, s15
.LBB281_1970:                           ;   in Loop: Header=BB281_1005 Depth=1
	s_delay_alu instid0(SALU_CYCLE_1) | instskip(SKIP_3) | instid1(VALU_DEP_2)
	s_or_b32 exec_lo, exec_lo, s14
	v_lshrrev_b16 v6, 8, v6
	v_mov_b32_e32 v19, 0
	s_mov_b32 s14, exec_lo
	v_cmpx_ne_u16_e32 0, v6
	s_cbranch_execz .LBB281_1978
; %bb.1971:                             ;   in Loop: Header=BB281_1005 Depth=1
	v_bfrev_b32_e32 v19, 1
	s_mov_b32 s15, exec_lo
	v_cmpx_ne_u16_e32 0x80, v6
	s_cbranch_execz .LBB281_1977
; %bb.1972:                             ;   in Loop: Header=BB281_1005 Depth=1
	v_and_b32_e32 v0, 0xffff, v6
	v_mov_b32_e32 v19, 0x7c010000
	s_mov_b32 s16, exec_lo
	s_delay_alu instid0(VALU_DEP_2) | instskip(NEXT) | instid1(VALU_DEP_1)
	v_and_b32_e32 v23, 0x7f, v0
	v_cmpx_ne_u32_e32 0x7f, v23
	s_cbranch_execz .LBB281_1976
; %bb.1973:                             ;   in Loop: Header=BB281_1005 Depth=1
	v_dual_lshrrev_b32 v22, 3, v23 :: v_dual_bitop2_b32 v19, 7, v0 bitop3:0x40
	s_mov_b32 s17, exec_lo
	v_cmpx_gt_u32_e32 8, v23
; %bb.1974:                             ;   in Loop: Header=BB281_1005 Depth=1
	s_delay_alu instid0(VALU_DEP_2) | instskip(NEXT) | instid1(VALU_DEP_1)
	v_clz_i32_u32_e32 v19, v19
	v_min_u32_e32 v19, 32, v19
	s_delay_alu instid0(VALU_DEP_1) | instskip(NEXT) | instid1(VALU_DEP_1)
	v_subrev_nc_u32_e32 v22, 28, v19
	v_lshlrev_b64_e32 v[38:39], v22, v[6:7]
	s_delay_alu instid0(VALU_DEP_1)
	v_dual_sub_nc_u32 v22, 29, v19 :: v_dual_bitop2_b32 v19, 7, v38 bitop3:0x40
; %bb.1975:                             ;   in Loop: Header=BB281_1005 Depth=1
	s_or_b32 exec_lo, exec_lo, s17
	v_lshlrev_b32_e32 v0, 8, v0
	s_delay_alu instid0(VALU_DEP_2) | instskip(NEXT) | instid1(VALU_DEP_1)
	v_lshl_add_u32 v6, v22, 10, 0x2000
	v_and_or_b32 v0, 0x8000, v0, v6
	v_lshlrev_b32_e32 v6, 23, v19
	s_delay_alu instid0(VALU_DEP_1)
	v_lshl_or_b32 v19, v0, 16, v6
.LBB281_1976:                           ;   in Loop: Header=BB281_1005 Depth=1
	s_or_b32 exec_lo, exec_lo, s16
.LBB281_1977:                           ;   in Loop: Header=BB281_1005 Depth=1
	s_delay_alu instid0(SALU_CYCLE_1)
	s_or_b32 exec_lo, exec_lo, s15
.LBB281_1978:                           ;   in Loop: Header=BB281_1005 Depth=1
	s_delay_alu instid0(SALU_CYCLE_1) | instskip(SKIP_2) | instid1(VALU_DEP_1)
	s_or_b32 exec_lo, exec_lo, s14
	v_lshrrev_b32_e32 v0, 16, v37
	s_mov_b32 s14, exec_lo
	v_and_b32_e32 v6, 0xff, v0
	s_delay_alu instid0(VALU_DEP_1)
	v_cmpx_ne_u16_e32 0, v6
	s_cbranch_execz .LBB281_1986
; %bb.1979:                             ;   in Loop: Header=BB281_1005 Depth=1
	v_mov_b32_e32 v18, 0x8000
	s_mov_b32 s15, exec_lo
	v_cmpx_ne_u16_e32 0x80, v6
	s_cbranch_execz .LBB281_1985
; %bb.1980:                             ;   in Loop: Header=BB281_1005 Depth=1
	v_bfe_u32 v22, v37, 16, 7
	v_mov_b32_e32 v18, 0x7c01
	s_mov_b32 s16, exec_lo
	s_delay_alu instid0(VALU_DEP_2)
	v_cmpx_ne_u32_e32 0x7f, v22
	s_cbranch_execz .LBB281_1984
; %bb.1981:                             ;   in Loop: Header=BB281_1005 Depth=1
	v_dual_lshrrev_b32 v18, 3, v22 :: v_dual_bitop2_b32 v6, 7, v0 bitop3:0x40
	s_mov_b32 s17, exec_lo
	v_cmpx_gt_u32_e32 8, v22
; %bb.1982:                             ;   in Loop: Header=BB281_1005 Depth=1
	s_delay_alu instid0(VALU_DEP_2) | instskip(NEXT) | instid1(VALU_DEP_1)
	v_clz_i32_u32_e32 v6, v6
	v_min_u32_e32 v6, 32, v6
	s_delay_alu instid0(VALU_DEP_1) | instskip(NEXT) | instid1(VALU_DEP_1)
	v_subrev_nc_u32_e32 v18, 28, v6
	v_lshlrev_b64_e32 v[22:23], v18, v[0:1]
	v_sub_nc_u32_e32 v18, 29, v6
	s_delay_alu instid0(VALU_DEP_2)
	v_and_b32_e32 v6, 7, v22
; %bb.1983:                             ;   in Loop: Header=BB281_1005 Depth=1
	s_or_b32 exec_lo, exec_lo, s17
	s_delay_alu instid0(VALU_DEP_1) | instskip(NEXT) | instid1(VALU_DEP_3)
	v_dual_lshlrev_b32 v0, 8, v0 :: v_dual_lshlrev_b32 v6, 7, v6
	v_lshl_add_u32 v18, v18, 10, 0x2000
	s_delay_alu instid0(VALU_DEP_2) | instskip(NEXT) | instid1(VALU_DEP_2)
	v_and_b32_e32 v0, 0x8000, v0
	v_and_b32_e32 v18, 0xfc00, v18
	s_delay_alu instid0(VALU_DEP_1)
	v_or3_b32 v18, v0, v18, v6
.LBB281_1984:                           ;   in Loop: Header=BB281_1005 Depth=1
	s_or_b32 exec_lo, exec_lo, s16
.LBB281_1985:                           ;   in Loop: Header=BB281_1005 Depth=1
	s_delay_alu instid0(SALU_CYCLE_1)
	s_or_b32 exec_lo, exec_lo, s15
.LBB281_1986:                           ;   in Loop: Header=BB281_1005 Depth=1
	s_delay_alu instid0(SALU_CYCLE_1)
	s_or_b32 exec_lo, exec_lo, s14
	v_mov_b32_e32 v0, 0
	s_mov_b32 s14, exec_lo
	v_cmpx_lt_u64_e64 s[2:3], v[36:37]
	s_cbranch_execz .LBB281_1994
; %bb.1987:                             ;   in Loop: Header=BB281_1005 Depth=1
	v_lshrrev_b32_e32 v6, 24, v37
	v_bfrev_b32_e32 v0, 1
	s_mov_b32 s15, exec_lo
	s_delay_alu instid0(VALU_DEP_2)
	v_cmpx_ne_u32_e32 0x80, v6
	s_cbranch_execz .LBB281_1993
; %bb.1988:                             ;   in Loop: Header=BB281_1005 Depth=1
	v_and_b32_e32 v23, 0x7f, v6
	v_mov_b32_e32 v0, 0x7c010000
	s_mov_b32 s16, exec_lo
	s_delay_alu instid0(VALU_DEP_2)
	v_cmpx_ne_u32_e32 0x7f, v23
	s_cbranch_execz .LBB281_1992
; %bb.1989:                             ;   in Loop: Header=BB281_1005 Depth=1
	v_dual_lshrrev_b32 v22, 3, v23 :: v_dual_bitop2_b32 v0, 7, v6 bitop3:0x40
	s_mov_b32 s17, exec_lo
	v_cmpx_gt_u32_e32 8, v23
; %bb.1990:                             ;   in Loop: Header=BB281_1005 Depth=1
	s_delay_alu instid0(VALU_DEP_2) | instskip(NEXT) | instid1(VALU_DEP_1)
	v_clz_i32_u32_e32 v0, v0
	v_min_u32_e32 v0, 32, v0
	s_delay_alu instid0(VALU_DEP_1) | instskip(NEXT) | instid1(VALU_DEP_1)
	v_subrev_nc_u32_e32 v22, 28, v0
	v_lshlrev_b64_e32 v[36:37], v22, v[6:7]
	v_sub_nc_u32_e32 v22, 29, v0
	s_delay_alu instid0(VALU_DEP_2)
	v_and_b32_e32 v0, 7, v36
; %bb.1991:                             ;   in Loop: Header=BB281_1005 Depth=1
	s_or_b32 exec_lo, exec_lo, s17
	s_delay_alu instid0(VALU_DEP_1) | instskip(NEXT) | instid1(VALU_DEP_3)
	v_dual_lshlrev_b32 v6, 8, v6 :: v_dual_lshlrev_b32 v0, 23, v0
	v_lshl_add_u32 v22, v22, 10, 0x2000
	s_delay_alu instid0(VALU_DEP_1) | instskip(NEXT) | instid1(VALU_DEP_1)
	v_and_or_b32 v6, 0x8000, v6, v22
	v_lshl_or_b32 v0, v6, 16, v0
.LBB281_1992:                           ;   in Loop: Header=BB281_1005 Depth=1
	s_or_b32 exec_lo, exec_lo, s16
.LBB281_1993:                           ;   in Loop: Header=BB281_1005 Depth=1
	s_delay_alu instid0(SALU_CYCLE_1)
	s_or_b32 exec_lo, exec_lo, s15
.LBB281_1994:                           ;   in Loop: Header=BB281_1005 Depth=1
	s_delay_alu instid0(SALU_CYCLE_1) | instskip(SKIP_2) | instid1(VALU_DEP_2)
	s_or_b32 exec_lo, exec_lo, s14
	v_dual_lshrrev_b32 v6, 16, v1 :: v_dual_bitop2_b32 v1, v1, v8 bitop3:0x54
	v_dual_lshrrev_b32 v22, 16, v9 :: v_dual_bitop2_b32 v16, v9, v16 bitop3:0x54
	v_cvt_f32_f16_e32 v9, v6
	v_dual_lshrrev_b32 v18, 16, v19 :: v_dual_bitop2_b32 v6, v0, v18 bitop3:0x54
	s_delay_alu instid0(VALU_DEP_3)
	v_cvt_f32_f16_e32 v8, v22
	v_dual_lshrrev_b32 v22, 16, v0 :: v_dual_bitop2_b32 v19, v19, v17 bitop3:0x54
	v_cvt_f32_f16_e32 v0, v16
	v_cvt_f32_f16_e32 v1, v1
	s_wait_loadcnt_dscnt 0x0
	v_pk_mul_f32 v[8:9], v[28:29], v[8:9] op_sel_hi:[0,1]
	v_cvt_f32_f16_e32 v17, v18
	v_cvt_f32_f16_e32 v16, v22
	;; [unrolled: 1-line block ×4, first 2 shown]
	v_pk_mul_f32 v[0:1], v[28:29], v[0:1] op_sel_hi:[0,1]
	v_cvt_pk_f16_f32 v6, v8, v9
	v_pk_mul_f32 v[8:9], v[28:29], v[16:17] op_sel_hi:[0,1]
	s_delay_alu instid0(VALU_DEP_4) | instskip(NEXT) | instid1(VALU_DEP_4)
	v_pk_mul_f32 v[16:17], v[28:29], v[18:19] op_sel_hi:[0,1]
	v_cvt_pk_f16_f32 v0, v0, v1
	s_delay_alu instid0(VALU_DEP_4) | instskip(NEXT) | instid1(VALU_DEP_4)
	v_and_b32_e32 v37, 0xffff0000, v6
	v_cvt_pk_f16_f32 v1, v8, v9
	v_lshlrev_b32_e32 v38, 16, v6
	v_cvt_pk_f16_f32 v6, v16, v17
	v_lshrrev_b32_e32 v39, 16, v0
	v_and_b32_e32 v48, 0xffff, v0
	v_and_b32_e32 v19, 0xffff0000, v1
	s_delay_alu instid0(VALU_DEP_4) | instskip(SKIP_3) | instid1(VALU_DEP_4)
	v_dual_lshlrev_b32 v28, 16, v1 :: v_dual_lshrrev_b32 v29, 16, v6
	v_and_b32_e32 v36, 0xffff, v6
	v_or_b32_e32 v9, v37, v39
	v_or_b32_e32 v6, v38, v48
	v_or_b32_e32 v1, v19, v29
	s_delay_alu instid0(VALU_DEP_4)
	v_or_b32_e32 v0, v28, v36
	s_and_saveexec_b32 s0, vcc_lo
	s_cbranch_execz .LBB281_1003
; %bb.1995:                             ;   in Loop: Header=BB281_1005 Depth=1
	v_cmp_lt_i32_e32 vcc_lo, v68, v13
	v_cndmask_b32_e32 v0, 0, v39, vcc_lo
	v_cmp_lt_i32_e32 vcc_lo, v83, v12
	v_cndmask_b32_e32 v1, 0, v48, vcc_lo
	;; [unrolled: 2-line block ×4, first 2 shown]
	v_cmp_lt_i32_e32 vcc_lo, v80, v13
	s_delay_alu instid0(VALU_DEP_4) | instskip(NEXT) | instid1(VALU_DEP_3)
	v_or_b32_e32 v9, v0, v6
	v_dual_cndmask_b32 v16, 0, v29, vcc_lo :: v_dual_bitop2_b32 v6, v1, v8 bitop3:0x54
	v_cmp_lt_i32_e32 vcc_lo, v71, v12
	v_cndmask_b32_e32 v17, 0, v36, vcc_lo
	v_cmp_lt_i32_e32 vcc_lo, v70, v13
	v_cndmask_b32_e32 v18, 0, v19, vcc_lo
	v_cmp_lt_i32_e32 vcc_lo, v69, v12
	s_delay_alu instid0(VALU_DEP_2) | instskip(NEXT) | instid1(VALU_DEP_1)
	v_dual_cndmask_b32 v19, 0, v28, vcc_lo :: v_dual_bitop2_b32 v1, v16, v18 bitop3:0x54
	v_or_b32_e32 v0, v17, v19
	s_branch .LBB281_1003
.LBB281_1996:
	s_or_b32 exec_lo, exec_lo, s8
.LBB281_1997:
	s_delay_alu instid0(SALU_CYCLE_1)
	s_or_b32 exec_lo, exec_lo, s1
	ds_bpermute_b32 v6, v52, v30
	ds_bpermute_b32 v7, v52, v31
	;; [unrolled: 1-line block ×6, first 2 shown]
	s_wait_dscnt 0x0
	s_barrier_signal -1
	s_barrier_wait -1
	ds_bpermute_b32 v0, v52, v24
	ds_bpermute_b32 v1, v52, v25
	;; [unrolled: 1-line block ×9, first 2 shown]
	s_load_b32 s0, s[6:7], 0x0
	s_mov_b32 s1, exec_lo
	v_pk_add_f32 v[6:7], v[30:31], v[6:7]
	v_pk_add_f32 v[22:23], v[34:35], v[12:13]
	;; [unrolled: 1-line block ×3, first 2 shown]
	ds_bpermute_b32 v12, v51, v6
	ds_bpermute_b32 v13, v51, v7
	;; [unrolled: 1-line block ×5, first 2 shown]
	s_wait_dscnt 0xc
	v_pk_add_f32 v[18:19], v[24:25], v[0:1]
	ds_bpermute_b32 v31, v51, v3
	s_wait_dscnt 0xb
	v_pk_add_f32 v[8:9], v[32:33], v[8:9]
	s_wait_dscnt 0x9
	v_pk_add_f32 v[20:21], v[20:21], v[10:11]
	ds_bpermute_b32 v10, v51, v18
	s_wait_dscnt 0x8
	v_pk_add_f32 v[4:5], v[4:5], v[14:15]
	ds_bpermute_b32 v11, v51, v19
	ds_bpermute_b32 v24, v51, v8
	;; [unrolled: 1-line block ×7, first 2 shown]
	s_wait_dscnt 0xe
	v_add_f32_e32 v0, v54, v36
	s_wait_dscnt 0xc
	v_pk_add_f32 v[12:13], v[6:7], v[12:13]
	s_wait_dscnt 0xa
	v_pk_add_f32 v[6:7], v[22:23], v[16:17]
	scratch_load_b32 v16, off, s32 offset:336 ; 4-byte Folded Reload
	ds_bpermute_b32 v1, v51, v0
	s_wait_dscnt 0x9
	v_pk_add_f32 v[2:3], v[2:3], v[30:31]
	s_wait_dscnt 0x7
	v_pk_add_f32 v[14:15], v[18:19], v[10:11]
	v_and_b32_e32 v18, 0x3c3, v58
	s_wait_dscnt 0x5
	v_pk_add_f32 v[10:11], v[8:9], v[24:25]
	s_wait_dscnt 0x3
	v_pk_add_f32 v[8:9], v[20:21], v[26:27]
	;; [unrolled: 2-line block ×3, first 2 shown]
	s_wait_loadcnt 0x0
	v_and_b32_e32 v16, 28, v16
	v_cmpx_ne_u32_e32 64, v18
	s_xor_b32 s1, exec_lo, s1
	s_delay_alu instid0(SALU_CYCLE_1)
	s_or_saveexec_b32 s1, s1
	s_wait_dscnt 0x0
	v_add_f32_e32 v17, v0, v1
	scratch_load_b32 v0, off, s32 offset:336 th:TH_LOAD_LU ; 4-byte Folded Reload
	s_wait_kmcnt 0x0
	v_add_nc_u32_e32 v1, s0, v16
	scratch_load_b32 v16, off, s32 offset:368 th:TH_LOAD_LU ; 4-byte Folded Reload
	s_wait_loadcnt 0x1
	v_lshrrev_b32_e32 v0, 2, v0
	s_wait_loadcnt 0x0
	v_mul_u32_u24_e32 v16, 0x1e0, v16
	s_xor_b32 exec_lo, exec_lo, s1
	s_cbranch_execz .LBB281_1999
; %bb.1998:
	s_delay_alu instid0(VALU_DEP_1) | instskip(NEXT) | instid1(VALU_DEP_1)
	v_add_nc_u32_e32 v18, v1, v16
	v_add_nc_u32_e32 v19, 0xfffffc40, v18
	;; [unrolled: 1-line block ×9, first 2 shown]
	ds_store_b32 v19, v14
	ds_store_b32 v20, v15
	;; [unrolled: 1-line block ×8, first 2 shown]
	v_add_nc_u32_e32 v19, 0xfffffd40, v18
	v_add_nc_u32_e32 v20, 0xfffffd60, v18
	;; [unrolled: 1-line block ×7, first 2 shown]
	ds_store_b32 v19, v6
	ds_store_b32 v20, v7
	;; [unrolled: 1-line block ×7, first 2 shown]
.LBB281_1999:
	s_or_b32 exec_lo, exec_lo, s1
	v_lshlrev_b32_e32 v0, 2, v0
	s_mov_b32 s1, exec_lo
	v_cmp_eq_u32_e32 vcc_lo, 0, v53
	s_wait_dscnt 0x0
	s_barrier_signal -1
	v_add3_u32 v0, s0, v16, v0
	s_barrier_wait -1
	v_cmpx_gt_u32_e32 64, v58
	s_cbranch_execz .LBB281_2017
; %bb.2000:
	s_and_saveexec_b32 s0, vcc_lo
	s_cbranch_execnz .LBB281_2040
; %bb.2001:
	s_or_b32 exec_lo, exec_lo, s0
	s_and_saveexec_b32 s0, vcc_lo
	s_cbranch_execnz .LBB281_2041
.LBB281_2002:
	s_or_b32 exec_lo, exec_lo, s0
	s_and_saveexec_b32 s0, vcc_lo
	s_cbranch_execnz .LBB281_2042
.LBB281_2003:
	s_or_b32 exec_lo, exec_lo, s0
	s_and_saveexec_b32 s0, vcc_lo
	s_cbranch_execnz .LBB281_2043
.LBB281_2004:
	s_or_b32 exec_lo, exec_lo, s0
	s_and_saveexec_b32 s0, vcc_lo
	s_cbranch_execnz .LBB281_2044
.LBB281_2005:
	s_or_b32 exec_lo, exec_lo, s0
	s_and_saveexec_b32 s0, vcc_lo
	s_cbranch_execnz .LBB281_2045
.LBB281_2006:
	s_or_b32 exec_lo, exec_lo, s0
	s_and_saveexec_b32 s0, vcc_lo
	s_cbranch_execnz .LBB281_2046
.LBB281_2007:
	s_or_b32 exec_lo, exec_lo, s0
	s_and_saveexec_b32 s0, vcc_lo
	s_cbranch_execnz .LBB281_2047
.LBB281_2008:
	s_or_b32 exec_lo, exec_lo, s0
	s_and_saveexec_b32 s0, vcc_lo
	s_cbranch_execnz .LBB281_2048
.LBB281_2009:
	s_or_b32 exec_lo, exec_lo, s0
	s_and_saveexec_b32 s0, vcc_lo
	s_cbranch_execnz .LBB281_2049
.LBB281_2010:
	s_or_b32 exec_lo, exec_lo, s0
	s_and_saveexec_b32 s0, vcc_lo
	s_cbranch_execnz .LBB281_2050
.LBB281_2011:
	s_or_b32 exec_lo, exec_lo, s0
	s_and_saveexec_b32 s0, vcc_lo
	s_cbranch_execnz .LBB281_2051
.LBB281_2012:
	s_or_b32 exec_lo, exec_lo, s0
	s_and_saveexec_b32 s0, vcc_lo
	s_cbranch_execnz .LBB281_2052
.LBB281_2013:
	s_or_b32 exec_lo, exec_lo, s0
	s_and_saveexec_b32 s0, vcc_lo
	s_cbranch_execnz .LBB281_2053
.LBB281_2014:
	s_or_b32 exec_lo, exec_lo, s0
	s_and_saveexec_b32 s0, vcc_lo
	s_cbranch_execz .LBB281_2016
.LBB281_2015:
	ds_load_b32 v16, v0 offset:448
	s_wait_dscnt 0x0
	v_add_f32_e32 v17, v16, v17
.LBB281_2016:
	s_or_b32 exec_lo, exec_lo, s0
.LBB281_2017:
	s_delay_alu instid0(SALU_CYCLE_1) | instskip(SKIP_4) | instid1(VALU_DEP_1)
	s_or_b32 exec_lo, exec_lo, s1
	v_and_b32_e32 v16, 0x3e3, v58
	s_mov_b32 s1, exec_lo
	s_barrier_signal -1
	s_barrier_wait -1
	v_cmpx_eq_u32_e32 32, v16
	s_cbranch_execz .LBB281_2019
; %bb.2018:
	ds_store_2addr_b32 v1, v14, v15 offset1:8
	ds_store_2addr_b32 v1, v12, v13 offset0:16 offset1:24
	ds_store_2addr_b32 v1, v10, v11 offset0:32 offset1:40
	;; [unrolled: 1-line block ×6, first 2 shown]
	ds_store_b32 v1, v17 offset:448
.LBB281_2019:
	s_or_b32 exec_lo, exec_lo, s1
	s_delay_alu instid0(SALU_CYCLE_1)
	s_mov_b32 s1, exec_lo
	s_wait_dscnt 0x0
	s_barrier_signal -1
	s_barrier_wait -1
	v_cmpx_gt_u32_e32 32, v58
	s_cbranch_execz .LBB281_2037
; %bb.2020:
	s_and_saveexec_b32 s0, vcc_lo
	s_cbranch_execnz .LBB281_2054
; %bb.2021:
	s_or_b32 exec_lo, exec_lo, s0
	s_and_saveexec_b32 s0, vcc_lo
	s_cbranch_execnz .LBB281_2055
.LBB281_2022:
	s_or_b32 exec_lo, exec_lo, s0
	s_and_saveexec_b32 s0, vcc_lo
	s_cbranch_execnz .LBB281_2056
.LBB281_2023:
	s_or_b32 exec_lo, exec_lo, s0
	s_and_saveexec_b32 s0, vcc_lo
	s_cbranch_execnz .LBB281_2057
.LBB281_2024:
	s_or_b32 exec_lo, exec_lo, s0
	s_and_saveexec_b32 s0, vcc_lo
	s_cbranch_execnz .LBB281_2058
.LBB281_2025:
	s_or_b32 exec_lo, exec_lo, s0
	s_and_saveexec_b32 s0, vcc_lo
	s_cbranch_execnz .LBB281_2059
.LBB281_2026:
	s_or_b32 exec_lo, exec_lo, s0
	s_and_saveexec_b32 s0, vcc_lo
	s_cbranch_execnz .LBB281_2060
.LBB281_2027:
	s_or_b32 exec_lo, exec_lo, s0
	s_and_saveexec_b32 s0, vcc_lo
	s_cbranch_execnz .LBB281_2061
.LBB281_2028:
	s_or_b32 exec_lo, exec_lo, s0
	s_and_saveexec_b32 s0, vcc_lo
	s_cbranch_execnz .LBB281_2062
.LBB281_2029:
	s_or_b32 exec_lo, exec_lo, s0
	s_and_saveexec_b32 s0, vcc_lo
	s_cbranch_execnz .LBB281_2063
.LBB281_2030:
	s_or_b32 exec_lo, exec_lo, s0
	s_and_saveexec_b32 s0, vcc_lo
	s_cbranch_execnz .LBB281_2064
.LBB281_2031:
	s_or_b32 exec_lo, exec_lo, s0
	s_and_saveexec_b32 s0, vcc_lo
	s_cbranch_execnz .LBB281_2065
.LBB281_2032:
	s_or_b32 exec_lo, exec_lo, s0
	s_and_saveexec_b32 s0, vcc_lo
	s_cbranch_execnz .LBB281_2066
.LBB281_2033:
	s_or_b32 exec_lo, exec_lo, s0
	s_and_saveexec_b32 s0, vcc_lo
	s_cbranch_execnz .LBB281_2067
.LBB281_2034:
	s_or_b32 exec_lo, exec_lo, s0
	s_and_saveexec_b32 s0, vcc_lo
	s_cbranch_execz .LBB281_2036
.LBB281_2035:
	ds_load_b32 v0, v0 offset:448
	s_wait_dscnt 0x0
	v_add_f32_e32 v17, v0, v17
.LBB281_2036:
	s_or_b32 exec_lo, exec_lo, s0
.LBB281_2037:
	s_delay_alu instid0(SALU_CYCLE_1)
	s_or_b32 exec_lo, exec_lo, s1
	s_mov_b32 s1, 0
	s_mov_b32 s2, exec_lo
	s_barrier_signal -1
	s_barrier_wait -1
	v_cmpx_eq_u32_e32 0, v16
	s_cbranch_execz .LBB281_2039
; %bb.2038:
	scratch_load_b64 v[0:1], off, s32 offset:408 th:TH_LOAD_LU ; 8-byte Folded Reload
	s_and_b32 s0, 0xffff, s13
	v_dual_mov_b32 v19, 0 :: v_dual_lshrrev_b32 v18, 1, v58
	s_cmp_lg_u32 s0, 0
	;;#ASMSTART
	v_cvt_f16_f32 v14, v14;

	;;#ASMEND
	s_cselect_b32 s0, -1, 0
	s_delay_alu instid0(SALU_CYCLE_1)
	s_cmp_lg_u32 s0, 0
	s_add_co_ci_u32 s0, s5, 0
	s_bfe_u32 s8, ttmp6, 0x40014
	s_mul_i32 s5, s0, s11
	s_lshr_b32 s3, ttmp7, 16
	s_mul_i32 s5, s5, s12
	s_add_co_i32 s8, s8, 1
	s_mul_i32 s6, s5, 0x78
	s_bfe_u32 s9, ttmp6, 0x40008
	s_ashr_i32 s7, s6, 31
	s_mul_i32 s4, s4, s0
	s_mul_i32 s0, s3, s8
	s_ashr_i32 s5, s4, 31
	s_add_co_i32 s9, s9, s0
	s_cmp_eq_u32 s10, 0
	s_cselect_b32 s0, s3, s9
	s_delay_alu instid0(SALU_CYCLE_1) | instskip(SKIP_2) | instid1(VALU_DEP_1)
	s_mulk_i32 s0, 0xf0
	s_wait_loadcnt 0x0
	v_lshl_add_u64 v[0:1], s[6:7], 1, v[0:1]
	v_lshl_add_u64 v[0:1], s[4:5], 1, v[0:1]
	s_delay_alu instid0(VALU_DEP_1) | instskip(NEXT) | instid1(VALU_DEP_1)
	v_add_nc_u64_e32 v[0:1], s[0:1], v[0:1]
	v_add_nc_u64_e32 v[0:1], v[0:1], v[18:19]
	flat_store_b16 v[0:1], v14
	s_wait_xcnt 0x0
	;;#ASMSTART
	v_cvt_f16_f32 v14, v15;

	;;#ASMEND
	flat_store_b16 v[0:1], v14 offset:16
	;;#ASMSTART
	v_cvt_f16_f32 v12, v12;

	;;#ASMEND
	flat_store_b16 v[0:1], v12 offset:32
	s_wait_xcnt 0x0
	;;#ASMSTART
	v_cvt_f16_f32 v12, v13;

	;;#ASMEND
	flat_store_b16 v[0:1], v12 offset:48
	;;#ASMSTART
	v_cvt_f16_f32 v10, v10;

	;;#ASMEND
	flat_store_b16 v[0:1], v10 offset:64
	;; [unrolled: 11-line block ×6, first 2 shown]
	s_wait_xcnt 0x0
	;;#ASMSTART
	v_cvt_f16_f32 v2, v3;

	;;#ASMEND
	flat_store_b16 v[0:1], v2 offset:208
	s_wait_xcnt 0x0
	;;#ASMSTART
	v_cvt_f16_f32 v2, v17;

	;;#ASMEND
	flat_store_b16 v[0:1], v2 offset:224
.LBB281_2039:
	s_wait_xcnt 0x0
	s_or_b32 exec_lo, exec_lo, s2
	s_clause 0x2f
	scratch_load_b32 v127, off, s32
	scratch_load_b32 v126, off, s32 offset:4
	scratch_load_b32 v125, off, s32 offset:8
	;; [unrolled: 1-line block ×47, first 2 shown]
	s_wait_loadcnt_dscnt 0x0
	s_set_pc_i64 s[30:31]
.LBB281_2040:
	ds_load_b32 v16, v0
	s_wait_dscnt 0x0
	v_add_f32_e32 v14, v16, v14
	s_or_b32 exec_lo, exec_lo, s0
	s_and_saveexec_b32 s0, vcc_lo
	s_cbranch_execz .LBB281_2002
.LBB281_2041:
	ds_load_b32 v16, v0 offset:32
	s_wait_dscnt 0x0
	v_add_f32_e32 v15, v16, v15
	s_or_b32 exec_lo, exec_lo, s0
	s_and_saveexec_b32 s0, vcc_lo
	s_cbranch_execz .LBB281_2003
.LBB281_2042:
	ds_load_b32 v16, v0 offset:64
	s_wait_dscnt 0x0
	v_add_f32_e32 v12, v16, v12
	s_or_b32 exec_lo, exec_lo, s0
	s_and_saveexec_b32 s0, vcc_lo
	s_cbranch_execz .LBB281_2004
.LBB281_2043:
	ds_load_b32 v16, v0 offset:96
	s_wait_dscnt 0x0
	v_add_f32_e32 v13, v16, v13
	s_or_b32 exec_lo, exec_lo, s0
	s_and_saveexec_b32 s0, vcc_lo
	s_cbranch_execz .LBB281_2005
.LBB281_2044:
	ds_load_b32 v16, v0 offset:128
	s_wait_dscnt 0x0
	v_add_f32_e32 v10, v16, v10
	s_or_b32 exec_lo, exec_lo, s0
	s_and_saveexec_b32 s0, vcc_lo
	s_cbranch_execz .LBB281_2006
.LBB281_2045:
	ds_load_b32 v16, v0 offset:160
	s_wait_dscnt 0x0
	v_add_f32_e32 v11, v16, v11
	s_or_b32 exec_lo, exec_lo, s0
	s_and_saveexec_b32 s0, vcc_lo
	s_cbranch_execz .LBB281_2007
.LBB281_2046:
	ds_load_b32 v16, v0 offset:192
	s_wait_dscnt 0x0
	v_add_f32_e32 v8, v16, v8
	s_or_b32 exec_lo, exec_lo, s0
	s_and_saveexec_b32 s0, vcc_lo
	s_cbranch_execz .LBB281_2008
.LBB281_2047:
	ds_load_b32 v16, v0 offset:224
	s_wait_dscnt 0x0
	v_add_f32_e32 v9, v16, v9
	s_or_b32 exec_lo, exec_lo, s0
	s_and_saveexec_b32 s0, vcc_lo
	s_cbranch_execz .LBB281_2009
.LBB281_2048:
	ds_load_b32 v16, v0 offset:256
	s_wait_dscnt 0x0
	v_add_f32_e32 v6, v16, v6
	s_or_b32 exec_lo, exec_lo, s0
	s_and_saveexec_b32 s0, vcc_lo
	s_cbranch_execz .LBB281_2010
.LBB281_2049:
	ds_load_b32 v16, v0 offset:288
	s_wait_dscnt 0x0
	v_add_f32_e32 v7, v16, v7
	s_or_b32 exec_lo, exec_lo, s0
	s_and_saveexec_b32 s0, vcc_lo
	s_cbranch_execz .LBB281_2011
.LBB281_2050:
	ds_load_b32 v16, v0 offset:320
	s_wait_dscnt 0x0
	v_add_f32_e32 v4, v16, v4
	s_or_b32 exec_lo, exec_lo, s0
	s_and_saveexec_b32 s0, vcc_lo
	s_cbranch_execz .LBB281_2012
.LBB281_2051:
	ds_load_b32 v16, v0 offset:352
	s_wait_dscnt 0x0
	v_add_f32_e32 v5, v16, v5
	s_or_b32 exec_lo, exec_lo, s0
	s_and_saveexec_b32 s0, vcc_lo
	s_cbranch_execz .LBB281_2013
.LBB281_2052:
	ds_load_b32 v16, v0 offset:384
	s_wait_dscnt 0x0
	v_add_f32_e32 v2, v16, v2
	s_or_b32 exec_lo, exec_lo, s0
	s_and_saveexec_b32 s0, vcc_lo
	s_cbranch_execz .LBB281_2014
.LBB281_2053:
	ds_load_b32 v16, v0 offset:416
	s_wait_dscnt 0x0
	v_add_f32_e32 v3, v16, v3
	s_or_b32 exec_lo, exec_lo, s0
	s_and_saveexec_b32 s0, vcc_lo
	s_cbranch_execnz .LBB281_2015
	s_branch .LBB281_2016
.LBB281_2054:
	ds_load_b32 v1, v0
	s_wait_dscnt 0x0
	v_add_f32_e32 v14, v1, v14
	s_or_b32 exec_lo, exec_lo, s0
	s_and_saveexec_b32 s0, vcc_lo
	s_cbranch_execz .LBB281_2022
.LBB281_2055:
	ds_load_b32 v1, v0 offset:32
	s_wait_dscnt 0x0
	v_add_f32_e32 v15, v1, v15
	s_or_b32 exec_lo, exec_lo, s0
	s_and_saveexec_b32 s0, vcc_lo
	s_cbranch_execz .LBB281_2023
.LBB281_2056:
	ds_load_b32 v1, v0 offset:64
	s_wait_dscnt 0x0
	v_add_f32_e32 v12, v1, v12
	s_or_b32 exec_lo, exec_lo, s0
	s_and_saveexec_b32 s0, vcc_lo
	s_cbranch_execz .LBB281_2024
.LBB281_2057:
	ds_load_b32 v1, v0 offset:96
	s_wait_dscnt 0x0
	v_add_f32_e32 v13, v1, v13
	s_or_b32 exec_lo, exec_lo, s0
	s_and_saveexec_b32 s0, vcc_lo
	s_cbranch_execz .LBB281_2025
.LBB281_2058:
	ds_load_b32 v1, v0 offset:128
	s_wait_dscnt 0x0
	v_add_f32_e32 v10, v1, v10
	s_or_b32 exec_lo, exec_lo, s0
	s_and_saveexec_b32 s0, vcc_lo
	s_cbranch_execz .LBB281_2026
.LBB281_2059:
	ds_load_b32 v1, v0 offset:160
	s_wait_dscnt 0x0
	v_add_f32_e32 v11, v1, v11
	s_or_b32 exec_lo, exec_lo, s0
	s_and_saveexec_b32 s0, vcc_lo
	s_cbranch_execz .LBB281_2027
.LBB281_2060:
	ds_load_b32 v1, v0 offset:192
	s_wait_dscnt 0x0
	v_add_f32_e32 v8, v1, v8
	s_or_b32 exec_lo, exec_lo, s0
	s_and_saveexec_b32 s0, vcc_lo
	s_cbranch_execz .LBB281_2028
.LBB281_2061:
	ds_load_b32 v1, v0 offset:224
	s_wait_dscnt 0x0
	v_add_f32_e32 v9, v1, v9
	s_or_b32 exec_lo, exec_lo, s0
	s_and_saveexec_b32 s0, vcc_lo
	s_cbranch_execz .LBB281_2029
.LBB281_2062:
	ds_load_b32 v1, v0 offset:256
	s_wait_dscnt 0x0
	v_add_f32_e32 v6, v1, v6
	s_or_b32 exec_lo, exec_lo, s0
	s_and_saveexec_b32 s0, vcc_lo
	s_cbranch_execz .LBB281_2030
.LBB281_2063:
	ds_load_b32 v1, v0 offset:288
	s_wait_dscnt 0x0
	v_add_f32_e32 v7, v1, v7
	s_or_b32 exec_lo, exec_lo, s0
	s_and_saveexec_b32 s0, vcc_lo
	s_cbranch_execz .LBB281_2031
.LBB281_2064:
	ds_load_b32 v1, v0 offset:320
	s_wait_dscnt 0x0
	v_add_f32_e32 v4, v1, v4
	s_or_b32 exec_lo, exec_lo, s0
	s_and_saveexec_b32 s0, vcc_lo
	s_cbranch_execz .LBB281_2032
.LBB281_2065:
	ds_load_b32 v1, v0 offset:352
	s_wait_dscnt 0x0
	v_add_f32_e32 v5, v1, v5
	s_or_b32 exec_lo, exec_lo, s0
	s_and_saveexec_b32 s0, vcc_lo
	s_cbranch_execz .LBB281_2033
.LBB281_2066:
	ds_load_b32 v1, v0 offset:384
	s_wait_dscnt 0x0
	v_add_f32_e32 v2, v1, v2
	s_or_b32 exec_lo, exec_lo, s0
	s_and_saveexec_b32 s0, vcc_lo
	s_cbranch_execz .LBB281_2034
.LBB281_2067:
	ds_load_b32 v1, v0 offset:416
	s_wait_dscnt 0x0
	v_add_f32_e32 v3, v1, v3
	s_or_b32 exec_lo, exec_lo, s0
	s_and_saveexec_b32 s0, vcc_lo
	s_cbranch_execnz .LBB281_2035
	s_branch .LBB281_2036
.Lfunc_end281:
	.size	_ZN4vllm22paged_attention_kernelIthLi120ELi32ELi128ELNS_18Fp8KVCacheDataTypeE1ELb1ELi0EEEvPfS2_PT_PKS3_PKT0_S9_ifPKiSB_iPKfiiiSD_SD_iiiii, .Lfunc_end281-_ZN4vllm22paged_attention_kernelIthLi120ELi32ELi128ELNS_18Fp8KVCacheDataTypeE1ELb1ELi0EEEvPfS2_PT_PKS3_PKT0_S9_ifPKiSB_iPKfiiiSD_SD_iiiii
                                        ; -- End function
	.set .L_ZN4vllm22paged_attention_kernelIthLi120ELi32ELi128ELNS_18Fp8KVCacheDataTypeE1ELb1ELi0EEEvPfS2_PT_PKS3_PKT0_S9_ifPKiSB_iPKfiiiSD_SD_iiiii.num_vgpr, 128
	.set .L_ZN4vllm22paged_attention_kernelIthLi120ELi32ELi128ELNS_18Fp8KVCacheDataTypeE1ELb1ELi0EEEvPfS2_PT_PKS3_PKT0_S9_ifPKiSB_iPKfiiiSD_SD_iiiii.num_agpr, 0
	.set .L_ZN4vllm22paged_attention_kernelIthLi120ELi32ELi128ELNS_18Fp8KVCacheDataTypeE1ELb1ELi0EEEvPfS2_PT_PKS3_PKT0_S9_ifPKiSB_iPKfiiiSD_SD_iiiii.numbered_sgpr, 33
	.set .L_ZN4vllm22paged_attention_kernelIthLi120ELi32ELi128ELNS_18Fp8KVCacheDataTypeE1ELb1ELi0EEEvPfS2_PT_PKS3_PKT0_S9_ifPKiSB_iPKfiiiSD_SD_iiiii.num_named_barrier, 0
	.set .L_ZN4vllm22paged_attention_kernelIthLi120ELi32ELi128ELNS_18Fp8KVCacheDataTypeE1ELb1ELi0EEEvPfS2_PT_PKS3_PKT0_S9_ifPKiSB_iPKfiiiSD_SD_iiiii.private_seg_size, 444
	.set .L_ZN4vllm22paged_attention_kernelIthLi120ELi32ELi128ELNS_18Fp8KVCacheDataTypeE1ELb1ELi0EEEvPfS2_PT_PKS3_PKT0_S9_ifPKiSB_iPKfiiiSD_SD_iiiii.uses_vcc, 1
	.set .L_ZN4vllm22paged_attention_kernelIthLi120ELi32ELi128ELNS_18Fp8KVCacheDataTypeE1ELb1ELi0EEEvPfS2_PT_PKS3_PKT0_S9_ifPKiSB_iPKfiiiSD_SD_iiiii.uses_flat_scratch, 1
	.set .L_ZN4vllm22paged_attention_kernelIthLi120ELi32ELi128ELNS_18Fp8KVCacheDataTypeE1ELb1ELi0EEEvPfS2_PT_PKS3_PKT0_S9_ifPKiSB_iPKfiiiSD_SD_iiiii.has_dyn_sized_stack, 0
	.set .L_ZN4vllm22paged_attention_kernelIthLi120ELi32ELi128ELNS_18Fp8KVCacheDataTypeE1ELb1ELi0EEEvPfS2_PT_PKS3_PKT0_S9_ifPKiSB_iPKfiiiSD_SD_iiiii.has_recursion, 0
	.set .L_ZN4vllm22paged_attention_kernelIthLi120ELi32ELi128ELNS_18Fp8KVCacheDataTypeE1ELb1ELi0EEEvPfS2_PT_PKS3_PKT0_S9_ifPKiSB_iPKfiiiSD_SD_iiiii.has_indirect_call, 0
	.section	.AMDGPU.csdata,"",@progbits
; Function info:
; codeLenInByte = 81840
; TotalNumSgprs: 35
; NumVgprs: 128
; ScratchSize: 444
; MemoryBound: 0
	.section	.text._ZN4vllm25paged_attention_v1_kernelIthLi120ELi32ELi128ELNS_18Fp8KVCacheDataTypeE1ELb1EEEvPT_PKS2_PKT0_S8_ifPKiSA_iPKfiiiSC_SC_iiiii,"axG",@progbits,_ZN4vllm25paged_attention_v1_kernelIthLi120ELi32ELi128ELNS_18Fp8KVCacheDataTypeE1ELb1EEEvPT_PKS2_PKT0_S8_ifPKiSA_iPKfiiiSC_SC_iiiii,comdat
	.protected	_ZN4vllm25paged_attention_v1_kernelIthLi120ELi32ELi128ELNS_18Fp8KVCacheDataTypeE1ELb1EEEvPT_PKS2_PKT0_S8_ifPKiSA_iPKfiiiSC_SC_iiiii ; -- Begin function _ZN4vllm25paged_attention_v1_kernelIthLi120ELi32ELi128ELNS_18Fp8KVCacheDataTypeE1ELb1EEEvPT_PKS2_PKT0_S8_ifPKiSA_iPKfiiiSC_SC_iiiii
	.globl	_ZN4vllm25paged_attention_v1_kernelIthLi120ELi32ELi128ELNS_18Fp8KVCacheDataTypeE1ELb1EEEvPT_PKS2_PKT0_S8_ifPKiSA_iPKfiiiSC_SC_iiiii
	.p2align	8
	.type	_ZN4vllm25paged_attention_v1_kernelIthLi120ELi32ELi128ELNS_18Fp8KVCacheDataTypeE1ELb1EEEvPT_PKS2_PKT0_S8_ifPKiSA_iPKfiiiSC_SC_iiiii,@function
_ZN4vllm25paged_attention_v1_kernelIthLi120ELi32ELi128ELNS_18Fp8KVCacheDataTypeE1ELb1EEEvPT_PKS2_PKT0_S8_ifPKiSA_iPKfiiiSC_SC_iiiii: ; @_ZN4vllm25paged_attention_v1_kernelIthLi120ELi32ELi128ELNS_18Fp8KVCacheDataTypeE1ELb1EEEvPT_PKS2_PKT0_S8_ifPKiSA_iPKfiiiSC_SC_iiiii
; %bb.0:
	s_clause 0x6
	s_load_b256 s[12:19], s[0:1], 0x0
	s_load_b128 s[4:7], s[0:1], 0x20
	s_load_b96 s[28:30], s[0:1], 0x30
	s_load_b64 s[10:11], s[0:1], 0x40
	s_load_b96 s[36:38], s[0:1], 0x48
	s_load_b256 s[20:27], s[0:1], 0x58
	s_load_b32 s31, s[0:1], 0x78
	v_mov_b32_e32 v31, v0
	s_get_pc_i64 s[2:3]
	s_add_nc_u64 s[2:3], s[2:3], _ZN4vllm22paged_attention_kernelIthLi120ELi32ELi128ELNS_18Fp8KVCacheDataTypeE1ELb1ELi0EEEvPfS2_PT_PKS3_PKT0_S9_ifPKiSB_iPKfiiiSD_SD_iiiii@rel64+4
	s_add_nc_u64 s[8:9], s[0:1], 0x80
	s_mov_b32 s32, 0
	s_wait_kmcnt 0x0
	v_dual_mov_b32 v15, s10 :: v_dual_mov_b32 v16, s11
	v_dual_mov_b32 v0, s12 :: v_dual_mov_b32 v1, s13
	v_dual_mov_b32 v2, s14 :: v_dual_mov_b32 v3, s15
	v_dual_mov_b32 v4, s16 :: v_dual_mov_b32 v5, s17
	v_dual_mov_b32 v6, s18 :: v_dual_mov_b32 v7, s19
	v_dual_mov_b32 v8, s4 :: v_dual_mov_b32 v9, s5
	v_dual_mov_b32 v10, s6 :: v_dual_mov_b32 v11, s7
	v_dual_mov_b32 v12, s28 :: v_dual_mov_b32 v13, s29
	v_dual_mov_b32 v14, s30 :: v_dual_mov_b32 v17, s36
	v_dual_mov_b32 v18, s37 :: v_dual_mov_b32 v19, s38
	v_dual_mov_b32 v20, s20 :: v_dual_mov_b32 v21, s21
	v_dual_mov_b32 v22, s22 :: v_dual_mov_b32 v23, s23
	v_dual_mov_b32 v24, s24 :: v_dual_mov_b32 v25, s25
	v_dual_mov_b32 v26, s26 :: v_dual_mov_b32 v27, s27
	v_mov_b32_e32 v28, s31
	s_mov_b32 s15, 37
	s_swap_pc_i64 s[30:31], s[2:3]
	s_endpgm
	.section	.rodata,"a",@progbits
	.p2align	6, 0x0
	.amdhsa_kernel _ZN4vllm25paged_attention_v1_kernelIthLi120ELi32ELi128ELNS_18Fp8KVCacheDataTypeE1ELb1EEEvPT_PKS2_PKT0_S8_ifPKiSA_iPKfiiiSC_SC_iiiii
		.amdhsa_group_segment_fixed_size 272
		.amdhsa_private_segment_fixed_size 444
		.amdhsa_kernarg_size 384
		.amdhsa_user_sgpr_count 2
		.amdhsa_user_sgpr_dispatch_ptr 0
		.amdhsa_user_sgpr_queue_ptr 0
		.amdhsa_user_sgpr_kernarg_segment_ptr 1
		.amdhsa_user_sgpr_dispatch_id 0
		.amdhsa_user_sgpr_kernarg_preload_length 0
		.amdhsa_user_sgpr_kernarg_preload_offset 0
		.amdhsa_user_sgpr_private_segment_size 0
		.amdhsa_wavefront_size32 1
		.amdhsa_uses_dynamic_stack 0
		.amdhsa_enable_private_segment 1
		.amdhsa_system_sgpr_workgroup_id_x 1
		.amdhsa_system_sgpr_workgroup_id_y 1
		.amdhsa_system_sgpr_workgroup_id_z 1
		.amdhsa_system_sgpr_workgroup_info 0
		.amdhsa_system_vgpr_workitem_id 0
		.amdhsa_next_free_vgpr 128
		.amdhsa_next_free_sgpr 39
		.amdhsa_named_barrier_count 0
		.amdhsa_reserve_vcc 1
		.amdhsa_float_round_mode_32 0
		.amdhsa_float_round_mode_16_64 0
		.amdhsa_float_denorm_mode_32 3
		.amdhsa_float_denorm_mode_16_64 3
		.amdhsa_fp16_overflow 0
		.amdhsa_memory_ordered 1
		.amdhsa_forward_progress 1
		.amdhsa_inst_pref_size 2
		.amdhsa_round_robin_scheduling 0
		.amdhsa_exception_fp_ieee_invalid_op 0
		.amdhsa_exception_fp_denorm_src 0
		.amdhsa_exception_fp_ieee_div_zero 0
		.amdhsa_exception_fp_ieee_overflow 0
		.amdhsa_exception_fp_ieee_underflow 0
		.amdhsa_exception_fp_ieee_inexact 0
		.amdhsa_exception_int_div_zero 0
	.end_amdhsa_kernel
	.section	.text._ZN4vllm25paged_attention_v1_kernelIthLi120ELi32ELi128ELNS_18Fp8KVCacheDataTypeE1ELb1EEEvPT_PKS2_PKT0_S8_ifPKiSA_iPKfiiiSC_SC_iiiii,"axG",@progbits,_ZN4vllm25paged_attention_v1_kernelIthLi120ELi32ELi128ELNS_18Fp8KVCacheDataTypeE1ELb1EEEvPT_PKS2_PKT0_S8_ifPKiSA_iPKfiiiSC_SC_iiiii,comdat
.Lfunc_end282:
	.size	_ZN4vllm25paged_attention_v1_kernelIthLi120ELi32ELi128ELNS_18Fp8KVCacheDataTypeE1ELb1EEEvPT_PKS2_PKT0_S8_ifPKiSA_iPKfiiiSC_SC_iiiii, .Lfunc_end282-_ZN4vllm25paged_attention_v1_kernelIthLi120ELi32ELi128ELNS_18Fp8KVCacheDataTypeE1ELb1EEEvPT_PKS2_PKT0_S8_ifPKiSA_iPKfiiiSC_SC_iiiii
                                        ; -- End function
	.set _ZN4vllm25paged_attention_v1_kernelIthLi120ELi32ELi128ELNS_18Fp8KVCacheDataTypeE1ELb1EEEvPT_PKS2_PKT0_S8_ifPKiSA_iPKfiiiSC_SC_iiiii.num_vgpr, max(32, .L_ZN4vllm22paged_attention_kernelIthLi120ELi32ELi128ELNS_18Fp8KVCacheDataTypeE1ELb1ELi0EEEvPfS2_PT_PKS3_PKT0_S9_ifPKiSB_iPKfiiiSD_SD_iiiii.num_vgpr)
	.set _ZN4vllm25paged_attention_v1_kernelIthLi120ELi32ELi128ELNS_18Fp8KVCacheDataTypeE1ELb1EEEvPT_PKS2_PKT0_S8_ifPKiSA_iPKfiiiSC_SC_iiiii.num_agpr, max(0, .L_ZN4vllm22paged_attention_kernelIthLi120ELi32ELi128ELNS_18Fp8KVCacheDataTypeE1ELb1ELi0EEEvPfS2_PT_PKS3_PKT0_S9_ifPKiSB_iPKfiiiSD_SD_iiiii.num_agpr)
	.set _ZN4vllm25paged_attention_v1_kernelIthLi120ELi32ELi128ELNS_18Fp8KVCacheDataTypeE1ELb1EEEvPT_PKS2_PKT0_S8_ifPKiSA_iPKfiiiSC_SC_iiiii.numbered_sgpr, max(39, .L_ZN4vllm22paged_attention_kernelIthLi120ELi32ELi128ELNS_18Fp8KVCacheDataTypeE1ELb1ELi0EEEvPfS2_PT_PKS3_PKT0_S9_ifPKiSB_iPKfiiiSD_SD_iiiii.numbered_sgpr)
	.set _ZN4vllm25paged_attention_v1_kernelIthLi120ELi32ELi128ELNS_18Fp8KVCacheDataTypeE1ELb1EEEvPT_PKS2_PKT0_S8_ifPKiSA_iPKfiiiSC_SC_iiiii.num_named_barrier, max(0, .L_ZN4vllm22paged_attention_kernelIthLi120ELi32ELi128ELNS_18Fp8KVCacheDataTypeE1ELb1ELi0EEEvPfS2_PT_PKS3_PKT0_S9_ifPKiSB_iPKfiiiSD_SD_iiiii.num_named_barrier)
	.set _ZN4vllm25paged_attention_v1_kernelIthLi120ELi32ELi128ELNS_18Fp8KVCacheDataTypeE1ELb1EEEvPT_PKS2_PKT0_S8_ifPKiSA_iPKfiiiSC_SC_iiiii.private_seg_size, 0+max(.L_ZN4vllm22paged_attention_kernelIthLi120ELi32ELi128ELNS_18Fp8KVCacheDataTypeE1ELb1ELi0EEEvPfS2_PT_PKS3_PKT0_S9_ifPKiSB_iPKfiiiSD_SD_iiiii.private_seg_size)
	.set _ZN4vllm25paged_attention_v1_kernelIthLi120ELi32ELi128ELNS_18Fp8KVCacheDataTypeE1ELb1EEEvPT_PKS2_PKT0_S8_ifPKiSA_iPKfiiiSC_SC_iiiii.uses_vcc, or(1, .L_ZN4vllm22paged_attention_kernelIthLi120ELi32ELi128ELNS_18Fp8KVCacheDataTypeE1ELb1ELi0EEEvPfS2_PT_PKS3_PKT0_S9_ifPKiSB_iPKfiiiSD_SD_iiiii.uses_vcc)
	.set _ZN4vllm25paged_attention_v1_kernelIthLi120ELi32ELi128ELNS_18Fp8KVCacheDataTypeE1ELb1EEEvPT_PKS2_PKT0_S8_ifPKiSA_iPKfiiiSC_SC_iiiii.uses_flat_scratch, or(0, .L_ZN4vllm22paged_attention_kernelIthLi120ELi32ELi128ELNS_18Fp8KVCacheDataTypeE1ELb1ELi0EEEvPfS2_PT_PKS3_PKT0_S9_ifPKiSB_iPKfiiiSD_SD_iiiii.uses_flat_scratch)
	.set _ZN4vllm25paged_attention_v1_kernelIthLi120ELi32ELi128ELNS_18Fp8KVCacheDataTypeE1ELb1EEEvPT_PKS2_PKT0_S8_ifPKiSA_iPKfiiiSC_SC_iiiii.has_dyn_sized_stack, or(0, .L_ZN4vllm22paged_attention_kernelIthLi120ELi32ELi128ELNS_18Fp8KVCacheDataTypeE1ELb1ELi0EEEvPfS2_PT_PKS3_PKT0_S9_ifPKiSB_iPKfiiiSD_SD_iiiii.has_dyn_sized_stack)
	.set _ZN4vllm25paged_attention_v1_kernelIthLi120ELi32ELi128ELNS_18Fp8KVCacheDataTypeE1ELb1EEEvPT_PKS2_PKT0_S8_ifPKiSA_iPKfiiiSC_SC_iiiii.has_recursion, or(0, .L_ZN4vllm22paged_attention_kernelIthLi120ELi32ELi128ELNS_18Fp8KVCacheDataTypeE1ELb1ELi0EEEvPfS2_PT_PKS3_PKT0_S9_ifPKiSB_iPKfiiiSD_SD_iiiii.has_recursion)
	.set _ZN4vllm25paged_attention_v1_kernelIthLi120ELi32ELi128ELNS_18Fp8KVCacheDataTypeE1ELb1EEEvPT_PKS2_PKT0_S8_ifPKiSA_iPKfiiiSC_SC_iiiii.has_indirect_call, or(0, .L_ZN4vllm22paged_attention_kernelIthLi120ELi32ELi128ELNS_18Fp8KVCacheDataTypeE1ELb1ELi0EEEvPfS2_PT_PKS3_PKT0_S9_ifPKiSB_iPKfiiiSD_SD_iiiii.has_indirect_call)
	.section	.AMDGPU.csdata,"",@progbits
; Kernel info:
; codeLenInByte = 224
; TotalNumSgprs: 41
; NumVgprs: 128
; ScratchSize: 444
; MemoryBound: 0
; FloatMode: 240
; IeeeMode: 1
; LDSByteSize: 272 bytes/workgroup (compile time only)
; SGPRBlocks: 0
; VGPRBlocks: 7
; NumSGPRsForWavesPerEU: 41
; NumVGPRsForWavesPerEU: 128
; NamedBarCnt: 0
; Occupancy: 8
; WaveLimiterHint : 1
; COMPUTE_PGM_RSRC2:SCRATCH_EN: 1
; COMPUTE_PGM_RSRC2:USER_SGPR: 2
; COMPUTE_PGM_RSRC2:TRAP_HANDLER: 0
; COMPUTE_PGM_RSRC2:TGID_X_EN: 1
; COMPUTE_PGM_RSRC2:TGID_Y_EN: 1
; COMPUTE_PGM_RSRC2:TGID_Z_EN: 1
; COMPUTE_PGM_RSRC2:TIDIG_COMP_CNT: 0
	.text
	.p2align	2                               ; -- Begin function _ZN4vllm22paged_attention_kernelIthLi128ELi32ELi128ELNS_18Fp8KVCacheDataTypeE1ELb1ELi0EEEvPfS2_PT_PKS3_PKT0_S9_ifPKiSB_iPKfiiiSD_SD_iiiii
	.type	_ZN4vllm22paged_attention_kernelIthLi128ELi32ELi128ELNS_18Fp8KVCacheDataTypeE1ELb1ELi0EEEvPfS2_PT_PKS3_PKT0_S9_ifPKiSB_iPKfiiiSD_SD_iiiii,@function
_ZN4vllm22paged_attention_kernelIthLi128ELi32ELi128ELNS_18Fp8KVCacheDataTypeE1ELb1ELi0EEEvPfS2_PT_PKS3_PKT0_S9_ifPKiSB_iPKfiiiSD_SD_iiiii: ; @_ZN4vllm22paged_attention_kernelIthLi128ELi32ELi128ELNS_18Fp8KVCacheDataTypeE1ELb1ELi0EEEvPfS2_PT_PKS3_PKT0_S9_ifPKiSB_iPKfiiiSD_SD_iiiii
; %bb.0:
	s_wait_loadcnt_dscnt 0x0
	s_wait_kmcnt 0x0
	s_clause 0x2f
	scratch_store_b32 off, v40, s32 offset:188
	; meta instruction
	scratch_store_b32 off, v41, s32 offset:184
	; meta instruction
	;; [unrolled: 2-line block ×47, first 2 shown]
	scratch_store_b32 off, v127, s32
	s_bfe_u32 s0, ttmp6, 0x4000c
	s_bfe_u32 s3, ttmp6, 0x40010
	s_add_co_i32 s0, s0, 1
	s_and_b32 s1, ttmp6, 15
	s_mul_i32 s0, ttmp9, s0
	s_and_b32 s4, ttmp7, 0xffff
	s_add_co_i32 s3, s3, 1
	s_add_co_i32 s1, s1, s0
	s_mul_i32 s0, s4, s3
	s_bfe_u32 s3, ttmp6, 0x40004
	s_getreg_b32 s10, hwreg(HW_REG_IB_STS2, 6, 4)
	s_add_co_i32 s3, s3, s0
	s_cmp_eq_u32 s10, 0
	s_mov_b32 s7, 0
	s_cselect_b32 s11, s4, s3
	s_cselect_b32 s0, ttmp9, s1
	s_lshl_b32 s6, s11, 2
	s_clause 0x7
	scratch_store_b32 off, v26, s32 offset:412
	scratch_store_b64 off, v[22:23], s32 offset:192
	scratch_store_b64 off, v[20:21], s32 offset:384
	;; [unrolled: 1-line block ×4, first 2 shown]
	scratch_store_b32 off, v9, s32 offset:392
	scratch_store_b64 off, v[6:7], s32 offset:448
	scratch_store_b64 off, v[0:1], s32 offset:432
	s_wait_xcnt 0x1
	v_add_nc_u64_e32 v[6:7], s[6:7], v[12:13]
	s_wait_xcnt 0x0
	v_mov_b32_e32 v1, 0
	s_clause 0x1
	s_load_u16 s1, s[8:9], 0x12
	s_load_b32 s3, s[8:9], 0x0
	v_dual_mov_b32 v33, v16 :: v_dual_mov_b32 v32, v15
	s_mov_b32 s2, s15
	flat_load_b32 v12, v[6:7]
	s_wait_xcnt 0x0
	v_sub_nc_u32_e32 v6, 0, v8
	global_load_u16 v0, v1, s[8:9] offset:22
	v_max_i32_e32 v6, v8, v6
	s_delay_alu instid0(VALU_DEP_1) | instskip(SKIP_2) | instid1(VALU_DEP_1)
	v_cvt_f32_u32_e32 v7, v6
	s_wait_kmcnt 0x0
	s_cmp_lg_u32 s1, 0
	v_rcp_iflag_f32_e32 v7, v7
	s_cselect_b32 s1, -1, 0
	s_delay_alu instid0(SALU_CYCLE_1) | instskip(SKIP_3) | instid1(TRANS32_DEP_1)
	s_cmp_lg_u32 s1, 0
	s_add_co_ci_u32 s12, s3, 0
	s_abs_i32 s6, s0
	v_nop
	v_mul_f32_e32 v7, 0x4f7ffffe, v7
	v_sub_nc_u32_e32 v9, 0, v6
	s_abs_i32 s1, s12
	s_mov_b32 s3, exec_lo
	s_delay_alu instid0(VALU_DEP_2) | instskip(NEXT) | instid1(VALU_DEP_1)
	v_cvt_u32_f32_e32 v7, v7
	v_mul_lo_u32 v9, v9, v7
	s_delay_alu instid0(VALU_DEP_1) | instskip(NEXT) | instid1(VALU_DEP_1)
	v_mul_hi_u32 v9, v7, v9
	v_add_nc_u32_e32 v7, v7, v9
	s_delay_alu instid0(VALU_DEP_1) | instskip(NEXT) | instid1(VALU_DEP_1)
	v_mul_hi_u32 v7, s1, v7
	v_mul_lo_u32 v9, v7, v6
	s_delay_alu instid0(VALU_DEP_1) | instskip(NEXT) | instid1(VALU_DEP_1)
	v_dual_add_nc_u32 v10, 1, v7 :: v_dual_sub_nc_u32 v9, s1, v9
	v_sub_nc_u32_e32 v11, v9, v6
	v_cmp_ge_u32_e32 vcc_lo, v9, v6
	s_delay_alu instid0(VALU_DEP_3) | instskip(NEXT) | instid1(VALU_DEP_3)
	v_dual_cndmask_b32 v7, v7, v10, vcc_lo :: v_dual_bitop2_b32 v10, s12, v8 bitop3:0x14
	v_cndmask_b32_e32 v9, v9, v11, vcc_lo
	s_delay_alu instid0(VALU_DEP_2) | instskip(NEXT) | instid1(VALU_DEP_2)
	v_dual_add_nc_u32 v11, 1, v7 :: v_dual_ashrrev_i32 v10, 31, v10
	v_cmp_ge_u32_e32 vcc_lo, v9, v6
	s_delay_alu instid0(VALU_DEP_2) | instskip(NEXT) | instid1(VALU_DEP_1)
	v_cndmask_b32_e32 v6, v7, v11, vcc_lo
	v_xor_b32_e32 v6, v6, v10
	s_delay_alu instid0(VALU_DEP_1) | instskip(NEXT) | instid1(VALU_DEP_1)
	v_sub_nc_u32_e32 v7, v6, v10
	v_sub_nc_u32_e32 v6, 0, v7
	s_delay_alu instid0(VALU_DEP_1) | instskip(NEXT) | instid1(VALU_DEP_1)
	v_max_i32_e32 v6, v7, v6
	v_cvt_f32_u32_e32 v9, v6
	v_sub_nc_u32_e32 v10, 0, v6
	s_delay_alu instid0(VALU_DEP_2) | instskip(SKIP_1) | instid1(TRANS32_DEP_1)
	v_rcp_iflag_f32_e32 v9, v9
	v_nop
	v_mul_f32_e32 v9, 0x4f7ffffe, v9
	s_delay_alu instid0(VALU_DEP_1) | instskip(NEXT) | instid1(VALU_DEP_1)
	v_cvt_u32_f32_e32 v9, v9
	v_mul_lo_u32 v10, v10, v9
	s_delay_alu instid0(VALU_DEP_1) | instskip(SKIP_2) | instid1(VALU_DEP_2)
	v_mul_hi_u32 v10, v9, v10
	s_wait_loadcnt 0x0
	v_readfirstlane_b32 s13, v0
	v_add_nc_u32_e32 v0, v9, v10
	v_mov_b32_e32 v9, v1
	scratch_store_b32 off, v9, s32 offset:380 ; 4-byte Folded Spill
	s_wait_xcnt 0x0
	v_cmpx_ne_u64_e32 0, v[32:33]
	s_cbranch_execz .LBB283_2
; %bb.1:
	s_ashr_i32 s1, s0, 31
	s_delay_alu instid0(SALU_CYCLE_1)
	v_lshl_add_u64 v[10:11], s[0:1], 2, v[32:33]
	flat_load_b32 v9, v[10:11]
	s_wait_loadcnt_dscnt 0x0
	scratch_store_b32 off, v9, s32 offset:380 ; 4-byte Folded Spill
.LBB283_2:
	s_wait_xcnt 0x0
	s_or_b32 exec_lo, exec_lo, s3
	v_mul_u64_e32 v[0:1], s[6:7], v[0:1]
	v_and_b32_e32 v13, 0x3ff, v31
	v_ashrrev_i32_e32 v0, 31, v7
	s_ashr_i32 s1, s0, 31
	s_lshl_b32 s4, s0, 7
	s_mov_b32 s3, exec_lo
	v_cmpx_gt_u32_e32 16, v13
	s_cbranch_execz .LBB283_4
; %bb.3:
	v_mul_lo_u32 v10, v17, s11
	s_ashr_i32 s5, s4, 31
	s_delay_alu instid0(VALU_DEP_1) | instskip(NEXT) | instid1(VALU_DEP_1)
	v_ashrrev_i32_e32 v11, 31, v10
	v_lshl_add_u64 v[2:3], v[10:11], 1, v[2:3]
	v_dual_mov_b32 v11, 0 :: v_dual_lshlrev_b32 v10, 4, v13
	s_delay_alu instid0(VALU_DEP_2) | instskip(NEXT) | instid1(VALU_DEP_1)
	v_lshl_add_u64 v[2:3], s[4:5], 1, v[2:3]
	v_add_nc_u64_e32 v[2:3], v[2:3], v[10:11]
	flat_load_b128 v[20:23], v[2:3]
	s_wait_loadcnt_dscnt 0x0
	ds_store_b128 v10, v[20:23]
.LBB283_4:
	s_wait_xcnt 0x0
	s_or_b32 exec_lo, exec_lo, s3
	s_delay_alu instid0(VALU_DEP_4) | instskip(SKIP_3) | instid1(VALU_DEP_3)
	v_dual_sub_nc_u32 v2, 0, v27 :: v_dual_add_nc_u32 v9, 1, v1
	v_mul_lo_u32 v3, v1, v6
	v_xor_b32_e32 v11, s1, v0
	s_mov_b32 s1, exec_lo
	v_max_i32_e32 v7, v27, v2
	s_delay_alu instid0(VALU_DEP_1) | instskip(NEXT) | instid1(VALU_DEP_4)
	v_cvt_f32_u32_e32 v2, v7
	v_sub_nc_u32_e32 v3, s6, v3
	s_delay_alu instid0(VALU_DEP_2) | instskip(NEXT) | instid1(VALU_DEP_1)
	v_rcp_iflag_f32_e32 v2, v2
	v_cmp_ge_u32_e32 vcc_lo, v3, v6
	s_delay_alu instid0(TRANS32_DEP_1) | instskip(SKIP_4) | instid1(VALU_DEP_2)
	v_mul_f32_e32 v2, 0x4f7ffffe, v2
	scratch_store_b32 off, v7, s32 offset:212 ; 4-byte Folded Spill
	s_wait_xcnt 0x0
	v_dual_sub_nc_u32 v7, 0, v7 :: v_dual_cndmask_b32 v1, v1, v9, vcc_lo
	v_cvt_u32_f32_e32 v2, v2
	v_add_nc_u32_e32 v9, 1, v1
	s_delay_alu instid0(VALU_DEP_2) | instskip(SKIP_2) | instid1(VALU_DEP_1)
	v_mul_lo_u32 v10, v7, v2
	v_sub_nc_u32_e32 v7, v3, v6
	s_wait_dscnt 0x0
	v_dual_cndmask_b32 v3, v3, v7, vcc_lo :: v_dual_add_nc_u32 v7, -1, v12
	s_delay_alu instid0(VALU_DEP_1) | instskip(NEXT) | instid1(VALU_DEP_4)
	v_cmp_ge_u32_e32 vcc_lo, v3, v6
	v_mul_hi_u32 v10, v2, v10
	v_dual_cndmask_b32 v0, v1, v9 :: v_dual_mov_b32 v1, 0
	s_delay_alu instid0(VALU_DEP_4) | instskip(NEXT) | instid1(VALU_DEP_2)
	v_sub_nc_u32_e32 v3, 0, v7
	v_dual_mov_b32 v17, v1 :: v_dual_bitop2_b32 v6, v0, v11 bitop3:0x14
	s_delay_alu instid0(VALU_DEP_2) | instskip(NEXT) | instid1(VALU_DEP_2)
	v_dual_add_nc_u32 v16, v2, v10 :: v_dual_max_i32 v0, v7, v3
                                        ; implicit-def: $vgpr2
                                        ; kill: killed $vgpr2
	v_sub_nc_u32_e32 v6, v6, v11
	scratch_store_b64 off, v[16:17], s32 offset:216 ; 8-byte Folded Spill
	s_wait_storecnt 0x0
	s_barrier_signal -1
	s_barrier_wait -1
	s_wait_xcnt 0x0
	v_cmpx_gt_i32_e32 0, v28
	s_xor_b32 s1, exec_lo, s1
	s_cbranch_execz .LBB283_6
; %bb.5:
	v_mad_u32 v2, v24, v8, v6
                                        ; implicit-def: $vgpr24
	s_delay_alu instid0(VALU_DEP_1) | instskip(NEXT) | instid1(VALU_DEP_1)
	v_mul_lo_u32 v2, v2, v28
                                        ; implicit-def: $vgpr28
	v_sub_nc_u32_e32 v2, 1, v2
	scratch_store_b32 off, v2, s32 offset:228 ; 4-byte Folded Spill
.LBB283_6:
	s_wait_xcnt 0x0
	s_or_saveexec_b32 s1, s1
	scratch_load_b64 v[2:3], off, s32 offset:216 ; 8-byte Folded Reload
	s_wait_loadcnt 0x0
	v_mul_u64_e32 v[2:3], v[0:1], v[2:3]
	v_ashrrev_i32_e32 v1, 31, v7
	v_ashrrev_i32_e32 v2, 31, v27
	scratch_store_b32 off, v2, s32 offset:224 ; 4-byte Folded Spill
	s_wait_xcnt 0x0
	s_xor_b32 exec_lo, exec_lo, s1
	s_cbranch_execz .LBB283_8
; %bb.7:
	v_mad_u32 v2, s12, v24, s0
	s_delay_alu instid0(VALU_DEP_1)
	v_mad_u32 v2, v2, v28, 1
	scratch_store_b32 off, v2, s32 offset:228 ; 4-byte Folded Spill
.LBB283_8:
	s_wait_xcnt 0x0
	s_or_b32 exec_lo, exec_lo, s1
	scratch_load_b32 v11, off, s32 offset:212 ; 4-byte Folded Reload
	s_load_b32 s5, s[8:9], 0x8
	v_mul_lo_u32 v14, v14, s11
	v_mul_lo_u32 v16, v6, v19
	s_ashr_i32 s3, s2, 31
	s_get_pc_i64 s[6:7]
	s_add_nc_u64 s[6:7], s[6:7], llvm.amdgcn.dynlds.offset.table@rel64+4
	s_lshl_b64 s[2:3], s[2:3], 2
	v_lshrrev_b32_e32 v9, 5, v13
	v_mov_b32_e32 v19, 0xff7fffff
	s_add_nc_u64 s[6:7], s[6:7], s[2:3]
	s_delay_alu instid0(VALU_DEP_2) | instskip(SKIP_2) | instid1(VALU_DEP_1)
	v_dual_lshlrev_b32 v6, 5, v9 :: v_dual_ashrrev_i32 v17, 31, v16
	s_wait_loadcnt 0x0
	v_mul_lo_u32 v2, v3, v11
	v_dual_sub_nc_u32 v0, v0, v2 :: v_dual_add_nc_u32 v2, 1, v3
	s_delay_alu instid0(VALU_DEP_1) | instskip(SKIP_1) | instid1(VALU_DEP_3)
	v_dual_add_nc_u32 v7, 31, v12 :: v_dual_sub_nc_u32 v8, v0, v11
	v_cmp_ge_u32_e32 vcc_lo, v0, v11
	v_cndmask_b32_e32 v2, v3, v2, vcc_lo
	scratch_load_b32 v3, off, s32 offset:224 ; 4-byte Folded Reload
	v_cndmask_b32_e32 v0, v0, v8, vcc_lo
	s_delay_alu instid0(VALU_DEP_1) | instskip(SKIP_3) | instid1(VALU_DEP_1)
	v_cmp_ge_u32_e32 vcc_lo, v0, v11
	s_wait_loadcnt 0x0
	v_dual_lshrrev_b32 v11, 3, v13 :: v_dual_bitop2_b32 v1, v1, v3 bitop3:0x14
	v_dual_ashrrev_i32 v3, 31, v7 :: v_dual_add_nc_u32 v8, 1, v2
	v_dual_lshrrev_b32 v3, 27, v3 :: v_dual_bitop2_b32 v10, 31, v13 bitop3:0x40
	s_delay_alu instid0(VALU_DEP_1) | instskip(SKIP_3) | instid1(VALU_DEP_1)
	v_dual_cndmask_b32 v0, v2, v8, vcc_lo :: v_dual_add_nc_u32 v2, v7, v3
	scratch_load_b32 v3, off, s32 offset:412 ; 4-byte Folded Reload
	s_wait_loadcnt 0x0
	v_dual_sub_nc_u32 v18, 0, v3 :: v_dual_bitop2_b32 v0, v0, v1 bitop3:0x14
	v_dual_ashrrev_i32 v2, 5, v2 :: v_dual_sub_nc_u32 v0, v0, v1
	v_ashrrev_i32_e32 v15, 31, v14
	s_delay_alu instid0(VALU_DEP_2) | instskip(NEXT) | instid1(VALU_DEP_3)
	v_cmp_lt_i32_e64 s0, v9, v2
	v_sub_nc_u32_e32 v0, v0, v25
	s_clause 0x2
	scratch_store_b32 off, v10, s32 offset:376
	scratch_store_b64 off, v[6:7], s32 offset:440
	scratch_store_b64 off, v[14:15], s32 offset:424
	s_wait_xcnt 0x1
	v_lshlrev_b32_e32 v7, 2, v10
	s_clause 0x2
	scratch_store_b32 off, v9, s32 offset:408
	scratch_store_b32 off, v2, s32 offset:208
	;; [unrolled: 1-line block ×3, first 2 shown]
	s_wait_xcnt 0x0
	s_and_saveexec_b32 s3, s0
	s_cbranch_execz .LBB283_1040
; %bb.9:
	scratch_load_b32 v0, off, s32 offset:412 ; 4-byte Folded Reload
	v_mov_b32_e32 v25, 0
	s_load_b32 s14, s[6:7], 0x0
	s_mov_b64 s[8:9], 0xffffffffffffff
	s_mov_b32 s15, 0
	scratch_store_b64 off, v[16:17], s32 offset:464 ; 8-byte Folded Spill
	v_mov_b32_e32 v19, 0xff7fffff
	s_wait_loadcnt 0x0
	v_max_i32_e32 v1, v0, v18
	s_delay_alu instid0(VALU_DEP_1) | instskip(NEXT) | instid1(VALU_DEP_1)
	v_cvt_f32_u32_e32 v0, v1
	v_rcp_iflag_f32_e32 v0, v0
	v_nop
	s_delay_alu instid0(TRANS32_DEP_1)
	v_mul_f32_e32 v0, 0x4f7ffffe, v0
	s_clause 0x2
	scratch_store_b32 off, v13, s32 offset:456
	scratch_store_b32 off, v1, s32 offset:360
	scratch_store_b32 off, v18, s32 offset:472
	s_wait_xcnt 0x1
	v_sub_nc_u32_e32 v1, 0, v1
	v_cvt_u32_f32_e32 v2, v0
	s_delay_alu instid0(VALU_DEP_1)
	v_mul_lo_u32 v3, v1, v2
	v_add_nc_u64_e32 v[0:1], v[4:5], v[16:17]
	s_clause 0x1
	scratch_load_b32 v4, off, s32 offset:376
	scratch_load_b32 v5, off, s32 offset:380
	v_mul_hi_u32 v3, v2, v3
	s_wait_loadcnt 0x1
	s_delay_alu instid0(VALU_DEP_1) | instskip(SKIP_3) | instid1(VALU_DEP_3)
	v_dual_add_nc_u32 v8, v2, v3 :: v_dual_lshlrev_b32 v24, 4, v4
	v_sub_nc_u32_e32 v4, v4, v12
	s_wait_loadcnt 0x0
	v_cmp_neq_f32_e32 vcc_lo, 0, v5
	v_add_nc_u64_e32 v[0:1], v[0:1], v[24:25]
	s_clause 0x3
	scratch_store_b64 off, v[0:1], s32 offset:396
	scratch_store_b32 off, v11, s32 offset:460
	scratch_load_b32 v22, off, s32 offset:408
	scratch_load_b64 v[0:1], off, s32 offset:424
	v_add_nc_u32_e32 v4, 1, v4
	v_and_b32_e32 v24, 0x7c, v11
	s_clause 0x1
	scratch_store_b32 off, v4, s32 offset:404
	scratch_load_b64 v[4:5], off, s32 offset:416
	s_wait_loadcnt 0x2
	v_lshlrev_b32_e32 v32, 5, v22
	s_wait_loadcnt 0x1
	v_lshl_add_u64 v[0:1], v[0:1], 2, v[24:25]
	v_mov_b32_e32 v9, v25
	scratch_store_b64 off, v[8:9], s32 offset:364 ; 8-byte Folded Spill
	s_wait_loadcnt 0x0
	v_add_nc_u64_e32 v[0:1], v[4:5], v[0:1]
	s_clause 0x1
	scratch_store_b64 off, v[0:1], s32 offset:200
	scratch_store_b32 off, v7, s32 offset:476
	s_wait_xcnt 0x0
	v_lshl_or_b32 v7, v22, 7, v7
	s_branch .LBB283_15
.LBB283_10:                             ;   in Loop: Header=BB283_15 Depth=1
	s_or_b32 exec_lo, exec_lo, s19
	v_lshlrev_b32_e32 v2, 8, v24
	s_delay_alu instid0(VALU_DEP_2) | instskip(SKIP_1) | instid1(VALU_DEP_2)
	v_lshl_add_u32 v1, v1, 10, 0x2000
	v_lshlrev_b32_e32 v0, 23, v0
	v_and_or_b32 v1, 0x8000, v2, v1
	s_delay_alu instid0(VALU_DEP_1)
	v_lshl_or_b32 v23, v1, 16, v0
.LBB283_11:                             ;   in Loop: Header=BB283_15 Depth=1
	s_or_b32 exec_lo, exec_lo, s18
.LBB283_12:                             ;   in Loop: Header=BB283_15 Depth=1
	s_delay_alu instid0(SALU_CYCLE_1)
	s_or_b32 exec_lo, exec_lo, s17
.LBB283_13:                             ;   in Loop: Header=BB283_15 Depth=1
	s_delay_alu instid0(SALU_CYCLE_1)
	s_or_b32 exec_lo, exec_lo, s16
	ds_load_b128 v[0:3], v25
	s_load_b32 s16, s[6:7], 0x0
	s_wait_dscnt 0x0
	v_dual_lshrrev_b32 v19, 16, v2 :: v_dual_lshrrev_b32 v29, 16, v3
	v_and_b32_e32 v24, 0xffff, v2
	v_or_b32_e32 v2, v10, v11
	v_and_b32_e32 v30, 0xffff, v3
	v_fma_mixlo_f16 v3, v33, v10, 0 op_sel:[0,1,0] op_sel_hi:[0,1,0]
	v_dual_lshrrev_b32 v4, 16, v0 :: v_dual_lshrrev_b32 v5, 16, v1
	s_delay_alu instid0(VALU_DEP_4)
	v_fma_mixlo_f16 v2, v33, v2, 0 op_sel_hi:[0,1,0]
	v_and_b32_e32 v0, 0xffff, v0
	v_and_b32_e32 v18, 0xffff, v1
	;;#ASMSTART
	v_cvt_f32_f16 v0, v0;
	;;#ASMEND
	;;#ASMSTART
	v_cvt_f32_f16 v1, v4;
	;;#ASMEND
	v_and_b32_e32 v2, 0xffff, v2
	;;#ASMSTART
	v_cvt_f32_f16 v10, v2;
	;;#ASMEND
	v_or_b32_e32 v2, v50, v38
	v_and_b32_e32 v3, 0xffff, v3
	;;#ASMSTART
	v_cvt_f32_f16 v11, v3;
	;;#ASMEND
	;;#ASMSTART
	v_cvt_f32_f16 v53, v18;
	;;#ASMEND
	;; [unrolled: 3-line block ×3, first 2 shown]
	v_fma_mixlo_f16 v2, v33, v2, 0 op_sel_hi:[0,1,0]
	v_fma_mixlo_f16 v3, v33, v50, 0 op_sel:[0,1,0] op_sel_hi:[0,1,0]
	s_delay_alu instid0(VALU_DEP_2) | instskip(SKIP_2) | instid1(VALU_DEP_3)
	v_and_b32_e32 v2, 0xffff, v2
	;;#ASMSTART
	v_cvt_f32_f16 v65, v2;
	;;#ASMEND
	v_or_b32_e32 v2, v54, v39
	v_and_b32_e32 v3, 0xffff, v3
	;;#ASMSTART
	v_cvt_f32_f16 v64, v3;
	;;#ASMEND
	;;#ASMSTART
	v_cvt_f32_f16 v51, v24;
	;;#ASMEND
	;; [unrolled: 3-line block ×3, first 2 shown]
	v_fma_mixlo_f16 v2, v33, v2, 0 op_sel_hi:[0,1,0]
	v_fma_mixlo_f16 v3, v33, v54, 0 op_sel:[0,1,0] op_sel_hi:[0,1,0]
	s_delay_alu instid0(VALU_DEP_2) | instskip(NEXT) | instid1(VALU_DEP_2)
	v_and_b32_e32 v2, 0xffff, v2
	v_and_b32_e32 v3, 0xffff, v3
	;;#ASMSTART
	v_cvt_f32_f16 v55, v2;
	;;#ASMEND
	v_or_b32_e32 v2, v48, v49
	;;#ASMSTART
	v_cvt_f32_f16 v54, v3;
	;;#ASMEND
	;;#ASMSTART
	v_cvt_f32_f16 v39, v30;
	;;#ASMEND
	v_fma_mixlo_f16 v3, v33, v48, 0 op_sel:[0,1,0] op_sel_hi:[0,1,0]
	;;#ASMSTART
	v_cvt_f32_f16 v38, v29;
	;;#ASMEND
	v_fma_mixlo_f16 v2, v33, v2, 0 op_sel_hi:[0,1,0]
	s_delay_alu instid0(VALU_DEP_2) | instskip(NEXT) | instid1(VALU_DEP_2)
	v_and_b32_e32 v3, 0xffff, v3
	v_and_b32_e32 v2, 0xffff, v2
	;;#ASMSTART
	v_cvt_f32_f16 v49, v2;
	;;#ASMEND
	;;#ASMSTART
	v_cvt_f32_f16 v48, v3;
	;;#ASMEND
	ds_load_b128 v[2:5], v25 offset:16
	s_wait_dscnt 0x0
	v_and_b32_e32 v18, 0xffff, v2
	v_lshrrev_b32_e32 v2, 16, v2
	;;#ASMSTART
	v_cvt_f32_f16 v42, v18;
	;;#ASMEND
	;;#ASMSTART
	v_cvt_f32_f16 v43, v2;
	;;#ASMEND
	v_or_b32_e32 v2, v67, v36
	v_fma_mixlo_f16 v18, v33, v67, 0 op_sel:[0,1,0] op_sel_hi:[0,1,0]
	v_and_b32_e32 v19, 0xffff, v5
	s_delay_alu instid0(VALU_DEP_3) | instskip(NEXT) | instid1(VALU_DEP_3)
	v_fma_mixlo_f16 v2, v33, v2, 0 op_sel_hi:[0,1,0]
	v_and_b32_e32 v18, 0xffff, v18
	s_delay_alu instid0(VALU_DEP_2) | instskip(SKIP_4) | instid1(VALU_DEP_2)
	v_and_b32_e32 v2, 0xffff, v2
	;;#ASMSTART
	v_cvt_f32_f16 v66, v2;
	;;#ASMEND
	;;#ASMSTART
	v_cvt_f32_f16 v67, v18;
	;;#ASMEND
	v_pk_mul_f32 v[66:67], v[42:43], v[66:67]
	v_dual_lshrrev_b32 v2, 16, v4 :: v_dual_lshrrev_b32 v18, 16, v5
	v_pk_fma_f32 v[42:43], v[0:1], v[10:11], v[66:67]
	v_lshrrev_b32_e32 v0, 16, v3
	v_and_b32_e32 v1, 0xffff, v3
	;;#ASMSTART
	v_cvt_f32_f16 v45, v1;
	;;#ASMEND
	;;#ASMSTART
	v_cvt_f32_f16 v44, v0;
	;;#ASMEND
	v_or_b32_e32 v0, v69, v114
	v_and_b32_e32 v3, 0xffff, v4
	v_fma_mixlo_f16 v1, v33, v69, 0 op_sel:[0,1,0] op_sel_hi:[0,1,0]
	s_delay_alu instid0(VALU_DEP_3) | instskip(NEXT) | instid1(VALU_DEP_2)
	v_fma_mixlo_f16 v0, v33, v0, 0 op_sel_hi:[0,1,0]
	v_and_b32_e32 v1, 0xffff, v1
	s_delay_alu instid0(VALU_DEP_2)
	v_and_b32_e32 v0, 0xffff, v0
	;;#ASMSTART
	v_cvt_f32_f16 v115, v0;
	;;#ASMEND
	;;#ASMSTART
	v_cvt_f32_f16 v114, v1;
	;;#ASMEND
	;; [unrolled: 3-line block ×4, first 2 shown]
	v_or_b32_e32 v0, v91, v68
	v_or_b32_e32 v2, v92, v90
	v_fma_mixlo_f16 v1, v33, v91, 0 op_sel:[0,1,0] op_sel_hi:[0,1,0]
	v_fma_mixlo_f16 v3, v33, v92, 0 op_sel:[0,1,0] op_sel_hi:[0,1,0]
	v_pk_mul_f32 v[114:115], v[44:45], v[114:115]
	v_fma_mixlo_f16 v0, v33, v0, 0 op_sel_hi:[0,1,0]
	v_fma_mixlo_f16 v2, v33, v2, 0 op_sel_hi:[0,1,0]
	v_and_b32_e32 v1, 0xffff, v1
	s_delay_alu instid0(VALU_DEP_4) | instskip(NEXT) | instid1(VALU_DEP_4)
	v_pk_fma_f32 v[114:115], v[52:53], v[64:65], v[114:115]
	v_and_b32_e32 v0, 0xffff, v0
	s_delay_alu instid0(VALU_DEP_4)
	v_and_b32_e32 v2, 0xffff, v2
	;;#ASMSTART
	v_cvt_f32_f16 v11, v0;
	;;#ASMEND
	;;#ASMSTART
	v_cvt_f32_f16 v10, v1;
	;;#ASMEND
	;; [unrolled: 3-line block ×4, first 2 shown]
	v_and_b32_e32 v18, 0xffff, v3
	;;#ASMSTART
	v_cvt_f32_f16 v3, v2;
	;;#ASMEND
	;;#ASMSTART
	v_cvt_f32_f16 v2, v18;
	;;#ASMEND
	ds_load_b128 v[66:69], v25 offset:32
	v_pk_mul_f32 v[4:5], v[4:5], v[10:11]
	v_pk_mul_f32 v[0:1], v[0:1], v[2:3]
	s_delay_alu instid0(VALU_DEP_2) | instskip(NEXT) | instid1(VALU_DEP_2)
	v_pk_fma_f32 v[4:5], v[50:51], v[54:55], v[4:5]
	v_pk_fma_f32 v[0:1], v[38:39], v[48:49], v[0:1]
	s_wait_dscnt 0x0
	v_and_b32_e32 v18, 0xffff, v66
	;;#ASMSTART
	v_cvt_f32_f16 v90, v18;
	;;#ASMEND
	v_or_b32_e32 v18, v93, v86
	v_lshrrev_b32_e32 v19, 16, v66
	;;#ASMSTART
	v_cvt_f32_f16 v91, v19;
	;;#ASMEND
	v_lshrrev_b32_e32 v24, 16, v68
	v_and_b32_e32 v29, 0xffff, v68
	v_fma_mixlo_f16 v18, v33, v18, 0 op_sel_hi:[0,1,0]
	v_fma_mixlo_f16 v19, v33, v93, 0 op_sel:[0,1,0] op_sel_hi:[0,1,0]
	v_lshrrev_b32_e32 v30, 16, v69
	v_and_b32_e32 v36, 0xffff, v69
	s_delay_alu instid0(VALU_DEP_4) | instskip(NEXT) | instid1(VALU_DEP_4)
	v_and_b32_e32 v18, 0xffff, v18
	v_and_b32_e32 v19, 0xffff, v19
	;;#ASMSTART
	v_cvt_f32_f16 v92, v18;
	;;#ASMEND
	v_lshrrev_b32_e32 v18, 16, v67
	;;#ASMSTART
	v_cvt_f32_f16 v93, v19;
	;;#ASMEND
	v_and_b32_e32 v19, 0xffff, v67
	;;#ASMSTART
	v_cvt_f32_f16 v69, v19;
	;;#ASMEND
	;;#ASMSTART
	v_cvt_f32_f16 v68, v18;
	;;#ASMEND
	v_or_b32_e32 v18, v85, v97
	v_pk_fma_f32 v[42:43], v[90:91], v[92:93], v[42:43]
	v_fma_mixlo_f16 v19, v33, v85, 0 op_sel:[0,1,0] op_sel_hi:[0,1,0]
	s_delay_alu instid0(VALU_DEP_3) | instskip(NEXT) | instid1(VALU_DEP_2)
	v_fma_mixlo_f16 v18, v33, v18, 0 op_sel_hi:[0,1,0]
	v_and_b32_e32 v19, 0xffff, v19
	s_delay_alu instid0(VALU_DEP_2)
	v_and_b32_e32 v18, 0xffff, v18
	;;#ASMSTART
	v_cvt_f32_f16 v45, v18;
	;;#ASMEND
	v_or_b32_e32 v18, v87, v101
	;;#ASMSTART
	v_cvt_f32_f16 v44, v19;
	;;#ASMEND
	v_fma_mixlo_f16 v19, v33, v87, 0 op_sel:[0,1,0] op_sel_hi:[0,1,0]
	;;#ASMSTART
	v_cvt_f32_f16 v91, v29;
	;;#ASMEND
	;;#ASMSTART
	v_cvt_f32_f16 v90, v24;
	;;#ASMEND
	v_fma_mixlo_f16 v18, v33, v18, 0 op_sel_hi:[0,1,0]
	v_pk_fma_f32 v[68:69], v[68:69], v[44:45], v[114:115]
	v_and_b32_e32 v19, 0xffff, v19
	v_mov_b32_e32 v29, v116
	s_delay_alu instid0(VALU_DEP_4)
	v_and_b32_e32 v18, 0xffff, v18
	;;#ASMSTART
	v_cvt_f32_f16 v93, v18;
	;;#ASMEND
	v_or_b32_e32 v18, v108, v84
	;;#ASMSTART
	v_cvt_f32_f16 v92, v19;
	;;#ASMEND
	v_fma_mixlo_f16 v19, v33, v108, 0 op_sel:[0,1,0] op_sel_hi:[0,1,0]
	;;#ASMSTART
	v_cvt_f32_f16 v87, v36;
	;;#ASMEND
	;;#ASMSTART
	v_cvt_f32_f16 v86, v30;
	;;#ASMEND
	v_fma_mixlo_f16 v18, v33, v18, 0 op_sel_hi:[0,1,0]
	v_pk_fma_f32 v[4:5], v[90:91], v[92:93], v[4:5]
	v_and_b32_e32 v19, 0xffff, v19
	s_delay_alu instid0(VALU_DEP_3)
	v_and_b32_e32 v18, 0xffff, v18
	;;#ASMSTART
	v_cvt_f32_f16 v85, v18;
	;;#ASMEND
	;;#ASMSTART
	v_cvt_f32_f16 v84, v19;
	;;#ASMEND
	ds_load_b128 v[64:67], v25 offset:48
	v_pk_fma_f32 v[0:1], v[86:87], v[84:85], v[0:1]
	s_wait_dscnt 0x0
	v_and_b32_e32 v18, 0xffff, v64
	;;#ASMSTART
	v_cvt_f32_f16 v52, v18;
	;;#ASMEND
	v_dual_lshrrev_b32 v19, 16, v64 :: v_dual_bitop2_b32 v18, v109, v37 bitop3:0x54
	;;#ASMSTART
	v_cvt_f32_f16 v53, v19;
	;;#ASMEND
	v_and_b32_e32 v10, 0xffff, v65
	v_and_b32_e32 v2, 0xffff, v66
	s_delay_alu instid0(VALU_DEP_3) | instskip(SKIP_1) | instid1(VALU_DEP_2)
	v_fma_mixlo_f16 v18, v33, v18, 0 op_sel_hi:[0,1,0]
	v_fma_mixlo_f16 v19, v33, v109, 0 op_sel:[0,1,0] op_sel_hi:[0,1,0]
	v_and_b32_e32 v18, 0xffff, v18
	;;#ASMSTART
	v_cvt_f32_f16 v108, v18;
	;;#ASMEND
	v_lshrrev_b32_e32 v18, 16, v65
	s_delay_alu instid0(VALU_DEP_3)
	v_and_b32_e32 v19, 0xffff, v19
	;;#ASMSTART
	v_cvt_f32_f16 v109, v19;
	;;#ASMEND
	;;#ASMSTART
	v_cvt_f32_f16 v11, v10;
	;;#ASMEND
	;; [unrolled: 3-line block ×3, first 2 shown]
	v_or_b32_e32 v18, v113, v47
	v_fma_mixlo_f16 v19, v33, v113, 0 op_sel:[0,1,0] op_sel_hi:[0,1,0]
	v_pk_fma_f32 v[52:53], v[52:53], v[108:109], v[42:43]
	s_delay_alu instid0(VALU_DEP_3) | instskip(NEXT) | instid1(VALU_DEP_3)
	v_fma_mixlo_f16 v18, v33, v18, 0 op_sel_hi:[0,1,0]
	v_and_b32_e32 v19, 0xffff, v19
	s_delay_alu instid0(VALU_DEP_2)
	v_and_b32_e32 v18, 0xffff, v18
	;;#ASMSTART
	v_cvt_f32_f16 v51, v18;
	;;#ASMEND
	;;#ASMSTART
	v_cvt_f32_f16 v50, v19;
	;;#ASMEND
	v_pk_fma_f32 v[50:51], v[10:11], v[50:51], v[68:69]
	v_lshrrev_b32_e32 v10, 16, v66
	;;#ASMSTART
	v_cvt_f32_f16 v3, v2;
	;;#ASMEND
	;;#ASMSTART
	v_cvt_f32_f16 v2, v10;
	;;#ASMEND
	v_or_b32_e32 v10, v112, v56
	v_fma_mixlo_f16 v11, v33, v112, 0 op_sel:[0,1,0] op_sel_hi:[0,1,0]
	s_delay_alu instid0(VALU_DEP_2) | instskip(NEXT) | instid1(VALU_DEP_2)
	v_fma_mixlo_f16 v10, v33, v10, 0 op_sel_hi:[0,1,0]
	v_and_b32_e32 v18, 0xffff, v11
	s_delay_alu instid0(VALU_DEP_2) | instskip(SKIP_2) | instid1(VALU_DEP_1)
	v_and_b32_e32 v10, 0xffff, v10
	;;#ASMSTART
	v_cvt_f32_f16 v11, v10;
	;;#ASMEND
	;;#ASMSTART
	v_cvt_f32_f16 v10, v18;
	;;#ASMEND
	v_pk_fma_f32 v[48:49], v[2:3], v[10:11], v[4:5]
	v_or_b32_e32 v2, v118, v95
	v_fma_mixlo_f16 v3, v33, v118, 0 op_sel:[0,1,0] op_sel_hi:[0,1,0]
	v_and_b32_e32 v4, 0xffff, v67
	v_lshrrev_b32_e32 v5, 16, v67
	s_delay_alu instid0(VALU_DEP_4) | instskip(NEXT) | instid1(VALU_DEP_4)
	v_fma_mixlo_f16 v2, v33, v2, 0 op_sel_hi:[0,1,0]
	v_and_b32_e32 v11, 0xffff, v3
	;;#ASMSTART
	v_cvt_f32_f16 v3, v4;
	;;#ASMEND
	s_delay_alu instid0(VALU_DEP_2)
	v_and_b32_e32 v10, 0xffff, v2
	;;#ASMSTART
	v_cvt_f32_f16 v2, v5;
	;;#ASMEND
	;;#ASMSTART
	v_cvt_f32_f16 v5, v10;
	;;#ASMEND
	;; [unrolled: 3-line block ×3, first 2 shown]
	v_pk_fma_f32 v[38:39], v[2:3], v[4:5], v[0:1]
	ds_load_b128 v[2:5], v25 offset:64
	v_or_b32_e32 v0, v119, v77
	v_fma_mixlo_f16 v1, v33, v119, 0 op_sel:[0,1,0] op_sel_hi:[0,1,0]
	s_delay_alu instid0(VALU_DEP_2) | instskip(NEXT) | instid1(VALU_DEP_2)
	v_fma_mixlo_f16 v0, v33, v0, 0 op_sel_hi:[0,1,0]
	v_and_b32_e32 v1, 0xffff, v1
	s_delay_alu instid0(VALU_DEP_2)
	v_and_b32_e32 v0, 0xffff, v0
	s_wait_dscnt 0x0
	v_and_b32_e32 v10, 0xffff, v2
	v_lshrrev_b32_e32 v2, 16, v2
	;;#ASMSTART
	v_cvt_f32_f16 v54, v10;
	;;#ASMEND
	;;#ASMSTART
	v_cvt_f32_f16 v55, v2;
	;;#ASMEND
	;; [unrolled: 3-line block ×3, first 2 shown]
	v_or_b32_e32 v0, v102, v127
	;;#ASMSTART
	v_cvt_f32_f16 v65, v1;
	;;#ASMEND
	v_and_b32_e32 v2, 0xffff, v3
	v_lshrrev_b32_e32 v3, 16, v3
	v_fma_mixlo_f16 v1, v33, v102, 0 op_sel:[0,1,0] op_sel_hi:[0,1,0]
	v_fma_mixlo_f16 v0, v33, v0, 0 op_sel_hi:[0,1,0]
	v_pk_fma_f32 v[10:11], v[54:55], v[64:65], v[52:53]
	v_and_b32_e32 v18, 0xffff, v4
	v_dual_lshrrev_b32 v4, 16, v4 :: v_dual_lshrrev_b32 v19, 16, v5
	s_delay_alu instid0(VALU_DEP_4)
	v_and_b32_e32 v24, 0xffff, v0
	v_or_b32_e32 v0, v29, v117
	;;#ASMSTART
	v_cvt_f32_f16 v117, v2;
	;;#ASMEND
	;;#ASMSTART
	v_cvt_f32_f16 v116, v3;
	;;#ASMEND
	;; [unrolled: 3-line block ×3, first 2 shown]
	scratch_load_b32 v24, off, s32 offset:348 th:TH_LOAD_LU ; 4-byte Folded Reload
	v_and_b32_e32 v2, 0xffff, v1
	v_fma_mixlo_f16 v0, v33, v0, 0 op_sel_hi:[0,1,0]
	;;#ASMSTART
	v_cvt_f32_f16 v118, v2;
	;;#ASMEND
	v_and_b32_e32 v5, 0xffff, v5
	;;#ASMSTART
	v_cvt_f32_f16 v43, v18;
	;;#ASMEND
	v_fma_mixlo_f16 v2, v33, v29, 0 op_sel:[0,1,0] op_sel_hi:[0,1,0]
	v_and_b32_e32 v3, 0xffff, v0
	;;#ASMSTART
	v_cvt_f32_f16 v42, v4;
	;;#ASMEND
	;;#ASMSTART
	v_cvt_f32_f16 v45, v3;
	;;#ASMEND
	v_fma_mixlo_f16 v18, v33, v46, 0 op_sel:[0,1,0] op_sel_hi:[0,1,0]
	v_and_b32_e32 v2, 0xffff, v2
	;;#ASMSTART
	v_cvt_f32_f16 v44, v2;
	;;#ASMEND
	;;#ASMSTART
	v_cvt_f32_f16 v53, v5;
	;;#ASMEND
	;; [unrolled: 3-line block ×3, first 2 shown]
	v_and_b32_e32 v18, 0xffff, v18
	s_wait_loadcnt 0x0
	v_or_b32_e32 v1, v24, v111
	s_delay_alu instid0(VALU_DEP_1) | instskip(SKIP_1) | instid1(VALU_DEP_2)
	v_fma_mixlo_f16 v0, v33, v1, 0 op_sel_hi:[0,1,0]
	v_fma_mixlo_f16 v1, v33, v24, 0 op_sel:[0,1,0] op_sel_hi:[0,1,0]
	v_and_b32_e32 v0, 0xffff, v0
	s_delay_alu instid0(VALU_DEP_2)
	v_and_b32_e32 v1, 0xffff, v1
	;;#ASMSTART
	v_cvt_f32_f16 v55, v0;
	;;#ASMEND
	;;#ASMSTART
	v_cvt_f32_f16 v54, v1;
	;;#ASMEND
	ds_load_b128 v[0:3], v25 offset:80
	s_wait_dscnt 0x0
	v_and_b32_e32 v4, 0xffff, v0
	v_lshrrev_b32_e32 v0, 16, v0
	;;#ASMSTART
	v_cvt_f32_f16 v4, v4;
	;;#ASMEND
	;;#ASMSTART
	v_cvt_f32_f16 v5, v0;
	;;#ASMEND
	v_or_b32_e32 v0, v46, v75
	s_delay_alu instid0(VALU_DEP_1) | instskip(NEXT) | instid1(VALU_DEP_1)
	v_fma_mixlo_f16 v0, v33, v0, 0 op_sel_hi:[0,1,0]
	v_and_b32_e32 v0, 0xffff, v0
	;;#ASMSTART
	v_cvt_f32_f16 v64, v0;
	;;#ASMEND
	v_lshrrev_b32_e32 v0, 16, v1
	;;#ASMSTART
	v_cvt_f32_f16 v65, v18;
	;;#ASMEND
	v_and_b32_e32 v1, 0xffff, v1
	;;#ASMSTART
	v_cvt_f32_f16 v47, v1;
	;;#ASMEND
	;;#ASMSTART
	v_cvt_f32_f16 v46, v0;
	;;#ASMEND
	v_or_b32_e32 v0, v57, v105
	v_pk_fma_f32 v[4:5], v[4:5], v[64:65], v[10:11]
	v_fma_mixlo_f16 v1, v33, v57, 0 op_sel:[0,1,0] op_sel_hi:[0,1,0]
	v_lshrrev_b32_e32 v10, 16, v2
	v_and_b32_e32 v2, 0xffff, v2
	v_fma_mixlo_f16 v0, v33, v0, 0 op_sel_hi:[0,1,0]
	v_lshrrev_b32_e32 v11, 16, v3
	v_and_b32_e32 v1, 0xffff, v1
	v_and_b32_e32 v3, 0xffff, v3
	v_fma_mixlo_f16 v18, v33, v72, 0 op_sel:[0,1,0] op_sel_hi:[0,1,0]
	v_and_b32_e32 v0, 0xffff, v0
	;;#ASMSTART
	v_cvt_f32_f16 v57, v0;
	;;#ASMEND
	v_or_b32_e32 v0, v121, v107
	;;#ASMSTART
	v_cvt_f32_f16 v56, v1;
	;;#ASMEND
	v_fma_mixlo_f16 v1, v33, v121, 0 op_sel:[0,1,0] op_sel_hi:[0,1,0]
	;;#ASMSTART
	v_cvt_f32_f16 v113, v2;
	;;#ASMEND
	;;#ASMSTART
	v_cvt_f32_f16 v112, v10;
	;;#ASMEND
	v_fma_mixlo_f16 v0, v33, v0, 0 op_sel_hi:[0,1,0]
	v_and_b32_e32 v18, 0xffff, v18
	v_and_b32_e32 v1, 0xffff, v1
	s_delay_alu instid0(VALU_DEP_3)
	v_and_b32_e32 v0, 0xffff, v0
	;;#ASMSTART
	v_cvt_f32_f16 v115, v0;
	;;#ASMEND
	v_or_b32_e32 v0, v62, v123
	;;#ASMSTART
	v_cvt_f32_f16 v114, v1;
	;;#ASMEND
	v_fma_mixlo_f16 v1, v33, v62, 0 op_sel:[0,1,0] op_sel_hi:[0,1,0]
	;;#ASMSTART
	v_cvt_f32_f16 v65, v3;
	;;#ASMEND
	;;#ASMSTART
	v_cvt_f32_f16 v64, v11;
	;;#ASMEND
	v_fma_mixlo_f16 v0, v33, v0, 0 op_sel_hi:[0,1,0]
	s_delay_alu instid0(VALU_DEP_2) | instskip(NEXT) | instid1(VALU_DEP_2)
	v_and_b32_e32 v1, 0xffff, v1
	v_and_b32_e32 v0, 0xffff, v0
	;;#ASMSTART
	v_cvt_f32_f16 v67, v0;
	;;#ASMEND
	;;#ASMSTART
	v_cvt_f32_f16 v66, v1;
	;;#ASMEND
	ds_load_b128 v[0:3], v25 offset:96
	s_wait_dscnt 0x0
	v_and_b32_e32 v10, 0xffff, v0
	v_lshrrev_b32_e32 v0, 16, v0
	;;#ASMSTART
	v_cvt_f32_f16 v10, v10;
	;;#ASMEND
	;;#ASMSTART
	v_cvt_f32_f16 v11, v0;
	;;#ASMEND
	v_or_b32_e32 v0, v72, v80
	v_and_b32_e32 v19, 0xffff, v3
	s_delay_alu instid0(VALU_DEP_2) | instskip(NEXT) | instid1(VALU_DEP_1)
	v_fma_mixlo_f16 v0, v33, v0, 0 op_sel_hi:[0,1,0]
	v_and_b32_e32 v0, 0xffff, v0
	;;#ASMSTART
	v_cvt_f32_f16 v68, v0;
	;;#ASMEND
	v_lshrrev_b32_e32 v0, 16, v1
	;;#ASMSTART
	v_cvt_f32_f16 v69, v18;
	;;#ASMEND
	v_and_b32_e32 v1, 0xffff, v1
	;;#ASMSTART
	v_cvt_f32_f16 v91, v1;
	;;#ASMEND
	;;#ASMSTART
	v_cvt_f32_f16 v90, v0;
	;;#ASMEND
	v_or_b32_e32 v0, v74, v71
	v_pk_fma_f32 v[10:11], v[10:11], v[68:69], v[4:5]
	v_fma_mixlo_f16 v1, v33, v74, 0 op_sel:[0,1,0] op_sel_hi:[0,1,0]
	v_lshrrev_b32_e32 v4, 16, v2
	v_and_b32_e32 v2, 0xffff, v2
	v_fma_mixlo_f16 v0, v33, v0, 0 op_sel_hi:[0,1,0]
	v_lshrrev_b32_e32 v18, 16, v3
	v_and_b32_e32 v1, 0xffff, v1
	s_delay_alu instid0(VALU_DEP_3)
	v_and_b32_e32 v0, 0xffff, v0
	;;#ASMSTART
	v_cvt_f32_f16 v93, v0;
	;;#ASMEND
	v_or_b32_e32 v0, v70, v73
	;;#ASMSTART
	v_cvt_f32_f16 v92, v1;
	;;#ASMEND
	v_fma_mixlo_f16 v1, v33, v70, 0 op_sel:[0,1,0] op_sel_hi:[0,1,0]
	;;#ASMSTART
	v_cvt_f32_f16 v3, v2;
	;;#ASMEND
	;;#ASMSTART
	v_cvt_f32_f16 v2, v4;
	;;#ASMEND
	v_fma_mixlo_f16 v0, v33, v0, 0 op_sel_hi:[0,1,0]
	s_delay_alu instid0(VALU_DEP_2) | instskip(NEXT) | instid1(VALU_DEP_2)
	v_and_b32_e32 v1, 0xffff, v1
	v_and_b32_e32 v0, 0xffff, v0
	;;#ASMSTART
	v_cvt_f32_f16 v5, v0;
	;;#ASMEND
	v_or_b32_e32 v0, v78, v81
	;;#ASMSTART
	v_cvt_f32_f16 v4, v1;
	;;#ASMEND
	v_fma_mixlo_f16 v1, v33, v78, 0 op_sel:[0,1,0] op_sel_hi:[0,1,0]
	;;#ASMSTART
	v_cvt_f32_f16 v69, v19;
	;;#ASMEND
	;;#ASMSTART
	v_cvt_f32_f16 v68, v18;
	;;#ASMEND
	v_fma_mixlo_f16 v0, v33, v0, 0 op_sel_hi:[0,1,0]
	v_or_b32_e32 v18, v88, v83
	v_and_b32_e32 v1, 0xffff, v1
	v_fma_mixlo_f16 v19, v33, v88, 0 op_sel:[0,1,0] op_sel_hi:[0,1,0]
	s_delay_alu instid0(VALU_DEP_4)
	v_and_b32_e32 v0, 0xffff, v0
	;;#ASMSTART
	v_cvt_f32_f16 v71, v0;
	;;#ASMEND
	;;#ASMSTART
	v_cvt_f32_f16 v70, v1;
	;;#ASMEND
	ds_load_b128 v[84:87], v25 offset:112
	v_fma_mixlo_f16 v18, v33, v18, 0 op_sel_hi:[0,1,0]
	v_and_b32_e32 v19, 0xffff, v19
	s_delay_alu instid0(VALU_DEP_2)
	v_and_b32_e32 v18, 0xffff, v18
	s_wait_dscnt 0x0
	v_and_b32_e32 v0, 0xffff, v84
	v_lshrrev_b32_e32 v1, 16, v84
	;;#ASMSTART
	v_cvt_f32_f16 v0, v0;
	;;#ASMEND
	;;#ASMSTART
	v_cvt_f32_f16 v1, v1;
	;;#ASMEND
	;; [unrolled: 3-line block ×4, first 2 shown]
	v_pk_fma_f32 v[0:1], v[0:1], v[74:75], v[10:11]
	v_lshrrev_b32_e32 v10, 16, v85
	v_and_b32_e32 v11, 0xffff, v85
	;;#ASMSTART
	v_cvt_f32_f16 v109, v11;
	;;#ASMEND
	;;#ASMSTART
	v_cvt_f32_f16 v108, v10;
	;;#ASMEND
	v_or_b32_e32 v10, v120, v82
	v_lshrrev_b32_e32 v18, 16, v86
	v_fma_mixlo_f16 v11, v33, v120, 0 op_sel:[0,1,0] op_sel_hi:[0,1,0]
	v_and_b32_e32 v19, 0xffff, v86
	v_lshrrev_b32_e32 v24, 16, v87
	v_fma_mixlo_f16 v10, v33, v10, 0 op_sel_hi:[0,1,0]
	v_and_b32_e32 v29, 0xffff, v87
	v_and_b32_e32 v11, 0xffff, v11
	s_delay_alu instid0(VALU_DEP_3)
	v_and_b32_e32 v10, 0xffff, v10
	;;#ASMSTART
	v_cvt_f32_f16 v121, v10;
	;;#ASMEND
	v_or_b32_e32 v10, v104, v63
	;;#ASMSTART
	v_cvt_f32_f16 v120, v11;
	;;#ASMEND
	v_fma_mixlo_f16 v11, v33, v104, 0 op_sel:[0,1,0] op_sel_hi:[0,1,0]
	;;#ASMSTART
	v_cvt_f32_f16 v85, v19;
	;;#ASMEND
	;;#ASMSTART
	v_cvt_f32_f16 v84, v18;
	;;#ASMEND
	v_fma_mixlo_f16 v10, v33, v10, 0 op_sel_hi:[0,1,0]
	v_or_b32_e32 v18, v110, v103
	v_and_b32_e32 v11, 0xffff, v11
	v_fma_mixlo_f16 v19, v33, v110, 0 op_sel:[0,1,0] op_sel_hi:[0,1,0]
	s_delay_alu instid0(VALU_DEP_4)
	v_and_b32_e32 v10, 0xffff, v10
	;;#ASMSTART
	v_cvt_f32_f16 v87, v10;
	;;#ASMEND
	v_or_b32_e32 v10, v106, v96
	;;#ASMSTART
	v_cvt_f32_f16 v86, v11;
	;;#ASMEND
	v_fma_mixlo_f16 v11, v33, v106, 0 op_sel:[0,1,0] op_sel_hi:[0,1,0]
	;;#ASMSTART
	v_cvt_f32_f16 v81, v29;
	;;#ASMEND
	;;#ASMSTART
	v_cvt_f32_f16 v80, v24;
	;;#ASMEND
	v_fma_mixlo_f16 v10, v33, v10, 0 op_sel_hi:[0,1,0]
	v_fma_mixlo_f16 v18, v33, v18, 0 op_sel_hi:[0,1,0]
	v_and_b32_e32 v11, 0xffff, v11
	v_and_b32_e32 v19, 0xffff, v19
	s_delay_alu instid0(VALU_DEP_4)
	v_and_b32_e32 v10, 0xffff, v10
	;;#ASMSTART
	v_cvt_f32_f16 v83, v10;
	;;#ASMEND
	;;#ASMSTART
	v_cvt_f32_f16 v82, v11;
	;;#ASMEND
	ds_load_b128 v[72:75], v25 offset:128
	v_and_b32_e32 v18, 0xffff, v18
	s_wait_dscnt 0x0
	v_and_b32_e32 v10, 0xffff, v72
	v_lshrrev_b32_e32 v11, 16, v72
	;;#ASMSTART
	v_cvt_f32_f16 v10, v10;
	;;#ASMEND
	;;#ASMSTART
	v_cvt_f32_f16 v11, v11;
	;;#ASMEND
	;; [unrolled: 3-line block ×4, first 2 shown]
	v_pk_fma_f32 v[0:1], v[10:11], v[62:63], v[0:1]
	v_lshrrev_b32_e32 v10, 16, v73
	v_and_b32_e32 v11, 0xffff, v73
	;;#ASMSTART
	v_cvt_f32_f16 v63, v11;
	;;#ASMEND
	;;#ASMSTART
	v_cvt_f32_f16 v62, v10;
	;;#ASMEND
	v_or_b32_e32 v10, v100, v98
	v_lshrrev_b32_e32 v18, 16, v74
	v_fma_mixlo_f16 v11, v33, v100, 0 op_sel:[0,1,0] op_sel_hi:[0,1,0]
	v_and_b32_e32 v19, 0xffff, v74
	v_lshrrev_b32_e32 v24, 16, v75
	v_fma_mixlo_f16 v10, v33, v10, 0 op_sel_hi:[0,1,0]
	v_and_b32_e32 v29, 0xffff, v75
	v_and_b32_e32 v11, 0xffff, v11
	s_delay_alu instid0(VALU_DEP_3)
	v_and_b32_e32 v10, 0xffff, v10
	;;#ASMSTART
	v_cvt_f32_f16 v73, v10;
	;;#ASMEND
	v_or_b32_e32 v10, v79, v76
	;;#ASMSTART
	v_cvt_f32_f16 v72, v11;
	;;#ASMEND
	v_fma_mixlo_f16 v11, v33, v79, 0 op_sel:[0,1,0] op_sel_hi:[0,1,0]
	;;#ASMSTART
	v_cvt_f32_f16 v101, v19;
	;;#ASMEND
	;;#ASMSTART
	v_cvt_f32_f16 v100, v18;
	;;#ASMEND
	v_fma_mixlo_f16 v10, v33, v10, 0 op_sel_hi:[0,1,0]
	v_fma_mixlo_f16 v19, v33, v89, 0 op_sel:[0,1,0] op_sel_hi:[0,1,0]
	v_and_b32_e32 v11, 0xffff, v11
	s_delay_alu instid0(VALU_DEP_3)
	v_and_b32_e32 v10, 0xffff, v10
	;;#ASMSTART
	v_cvt_f32_f16 v103, v10;
	;;#ASMEND
	;;#ASMSTART
	v_cvt_f32_f16 v102, v11;
	;;#ASMEND
	;; [unrolled: 3-line block ×4, first 2 shown]
	scratch_load_b32 v10, off, s32 offset:236 th:TH_LOAD_LU ; 4-byte Folded Reload
	v_fma_mixlo_f16 v11, v33, v99, 0 op_sel:[0,1,0] op_sel_hi:[0,1,0]
	v_and_b32_e32 v19, 0xffff, v19
	s_delay_alu instid0(VALU_DEP_2) | instskip(SKIP_2) | instid1(VALU_DEP_1)
	v_and_b32_e32 v11, 0xffff, v11
	s_wait_loadcnt 0x0
	v_or_b32_e32 v10, v99, v10
	v_fma_mixlo_f16 v10, v33, v10, 0 op_sel_hi:[0,1,0]
	s_delay_alu instid0(VALU_DEP_1)
	v_and_b32_e32 v10, 0xffff, v10
	;;#ASMSTART
	v_cvt_f32_f16 v99, v10;
	;;#ASMEND
	;;#ASMSTART
	v_cvt_f32_f16 v98, v11;
	;;#ASMEND
	ds_load_b128 v[74:77], v25 offset:144
	s_wait_dscnt 0x0
	v_and_b32_e32 v10, 0xffff, v74
	v_lshrrev_b32_e32 v11, 16, v74
	;;#ASMSTART
	v_cvt_f32_f16 v10, v10;
	;;#ASMEND
	;;#ASMSTART
	v_cvt_f32_f16 v11, v11;
	;;#ASMEND
	scratch_load_b32 v18, off, s32 offset:240 th:TH_LOAD_LU ; 4-byte Folded Reload
	v_lshrrev_b32_e32 v24, 16, v76
	v_and_b32_e32 v29, 0xffff, v76
	v_lshrrev_b32_e32 v30, 16, v77
	v_and_b32_e32 v36, 0xffff, v77
	s_wait_loadcnt 0x0
	v_or_b32_e32 v18, v89, v18
	s_delay_alu instid0(VALU_DEP_1) | instskip(NEXT) | instid1(VALU_DEP_1)
	v_fma_mixlo_f16 v18, v33, v18, 0 op_sel_hi:[0,1,0]
	v_and_b32_e32 v18, 0xffff, v18
	;;#ASMSTART
	v_cvt_f32_f16 v78, v18;
	;;#ASMEND
	;;#ASMSTART
	v_cvt_f32_f16 v79, v19;
	;;#ASMEND
	v_lshrrev_b32_e32 v18, 16, v75
	v_pk_fma_f32 v[0:1], v[10:11], v[78:79], v[0:1]
	v_and_b32_e32 v19, 0xffff, v75
	;;#ASMSTART
	v_cvt_f32_f16 v79, v19;
	;;#ASMEND
	;;#ASMSTART
	v_cvt_f32_f16 v78, v18;
	;;#ASMEND
	scratch_load_b32 v18, off, s32 offset:244 th:TH_LOAD_LU ; 4-byte Folded Reload
	v_pk_fma_f32 v[10:11], v[116:117], v[118:119], v[50:51]
	v_fma_mixlo_f16 v19, v33, v41, 0 op_sel:[0,1,0] op_sel_hi:[0,1,0]
	s_delay_alu instid0(VALU_DEP_2) | instskip(NEXT) | instid1(VALU_DEP_2)
	v_pk_fma_f32 v[10:11], v[46:47], v[56:57], v[10:11]
	v_and_b32_e32 v19, 0xffff, v19
	s_delay_alu instid0(VALU_DEP_2) | instskip(NEXT) | instid1(VALU_DEP_1)
	v_pk_fma_f32 v[10:11], v[90:91], v[92:93], v[10:11]
	v_pk_fma_f32 v[10:11], v[108:109], v[120:121], v[10:11]
	s_delay_alu instid0(VALU_DEP_1) | instskip(SKIP_2) | instid1(VALU_DEP_1)
	v_pk_fma_f32 v[10:11], v[62:63], v[72:73], v[10:11]
	s_wait_loadcnt 0x0
	v_or_b32_e32 v18, v41, v18
	v_fma_mixlo_f16 v18, v33, v18, 0 op_sel_hi:[0,1,0]
	s_delay_alu instid0(VALU_DEP_1)
	v_and_b32_e32 v18, 0xffff, v18
	;;#ASMSTART
	v_cvt_f32_f16 v89, v18;
	;;#ASMEND
	;;#ASMSTART
	v_cvt_f32_f16 v88, v19;
	;;#ASMEND
	;; [unrolled: 3-line block ×4, first 2 shown]
	scratch_load_b32 v18, off, s32 offset:248 th:TH_LOAD_LU ; 4-byte Folded Reload
	v_fma_mixlo_f16 v19, v33, v40, 0 op_sel:[0,1,0] op_sel_hi:[0,1,0]
	s_delay_alu instid0(VALU_DEP_1) | instskip(SKIP_2) | instid1(VALU_DEP_1)
	v_and_b32_e32 v19, 0xffff, v19
	s_wait_loadcnt 0x0
	v_or_b32_e32 v18, v40, v18
	v_fma_mixlo_f16 v18, v33, v18, 0 op_sel_hi:[0,1,0]
	s_delay_alu instid0(VALU_DEP_1)
	v_and_b32_e32 v18, 0xffff, v18
	;;#ASMSTART
	v_cvt_f32_f16 v41, v18;
	;;#ASMEND
	;;#ASMSTART
	v_cvt_f32_f16 v40, v19;
	;;#ASMEND
	;; [unrolled: 3-line block ×4, first 2 shown]
	scratch_load_b32 v18, off, s32 offset:252 th:TH_LOAD_LU ; 4-byte Folded Reload
	v_fma_mixlo_f16 v19, v33, v58, 0 op_sel:[0,1,0] op_sel_hi:[0,1,0]
	s_delay_alu instid0(VALU_DEP_1) | instskip(SKIP_2) | instid1(VALU_DEP_1)
	v_and_b32_e32 v19, 0xffff, v19
	s_wait_loadcnt 0x0
	v_or_b32_e32 v18, v58, v18
	v_fma_mixlo_f16 v18, v33, v18, 0 op_sel_hi:[0,1,0]
	s_delay_alu instid0(VALU_DEP_1)
	v_and_b32_e32 v18, 0xffff, v18
	;;#ASMSTART
	v_cvt_f32_f16 v117, v18;
	;;#ASMEND
	;;#ASMSTART
	v_cvt_f32_f16 v116, v19;
	;;#ASMEND
	ds_load_b128 v[74:77], v25 offset:160
	s_wait_dscnt 0x0
	v_and_b32_e32 v18, 0xffff, v74
	v_lshrrev_b32_e32 v19, 16, v74
	;;#ASMSTART
	v_cvt_f32_f16 v104, v18;
	;;#ASMEND
	;;#ASMSTART
	v_cvt_f32_f16 v105, v19;
	;;#ASMEND
	scratch_load_b32 v18, off, s32 offset:256 th:TH_LOAD_LU ; 4-byte Folded Reload
	v_lshrrev_b32_e32 v24, 16, v76
	v_fma_mixlo_f16 v19, v33, v59, 0 op_sel:[0,1,0] op_sel_hi:[0,1,0]
	v_and_b32_e32 v29, 0xffff, v76
	v_lshrrev_b32_e32 v30, 16, v77
	v_and_b32_e32 v36, 0xffff, v77
	s_delay_alu instid0(VALU_DEP_4) | instskip(SKIP_2) | instid1(VALU_DEP_1)
	v_and_b32_e32 v19, 0xffff, v19
	s_wait_loadcnt 0x0
	v_or_b32_e32 v18, v59, v18
	v_fma_mixlo_f16 v18, v33, v18, 0 op_sel_hi:[0,1,0]
	s_delay_alu instid0(VALU_DEP_1)
	v_and_b32_e32 v18, 0xffff, v18
	;;#ASMSTART
	v_cvt_f32_f16 v58, v18;
	;;#ASMEND
	v_lshrrev_b32_e32 v18, 16, v75
	;;#ASMSTART
	v_cvt_f32_f16 v59, v19;
	;;#ASMEND
	v_and_b32_e32 v19, 0xffff, v75
	;;#ASMSTART
	v_cvt_f32_f16 v75, v19;
	;;#ASMEND
	;;#ASMSTART
	v_cvt_f32_f16 v74, v18;
	;;#ASMEND
	scratch_load_b32 v18, off, s32 offset:260 th:TH_LOAD_LU ; 4-byte Folded Reload
	v_pk_fma_f32 v[0:1], v[104:105], v[58:59], v[0:1]
	v_fma_mixlo_f16 v19, v33, v61, 0 op_sel:[0,1,0] op_sel_hi:[0,1,0]
	s_delay_alu instid0(VALU_DEP_1) | instskip(SKIP_2) | instid1(VALU_DEP_1)
	v_and_b32_e32 v19, 0xffff, v19
	s_wait_loadcnt 0x0
	v_or_b32_e32 v18, v61, v18
	v_fma_mixlo_f16 v18, v33, v18, 0 op_sel_hi:[0,1,0]
	s_delay_alu instid0(VALU_DEP_1)
	v_and_b32_e32 v18, 0xffff, v18
	;;#ASMSTART
	v_cvt_f32_f16 v77, v18;
	;;#ASMEND
	;;#ASMSTART
	v_cvt_f32_f16 v76, v19;
	;;#ASMEND
	;;#ASMSTART
	v_cvt_f32_f16 v59, v29;
	;;#ASMEND
	;;#ASMSTART
	v_cvt_f32_f16 v58, v24;
	;;#ASMEND
	scratch_load_b32 v18, off, s32 offset:264 th:TH_LOAD_LU ; 4-byte Folded Reload
	v_fma_mixlo_f16 v19, v33, v60, 0 op_sel:[0,1,0] op_sel_hi:[0,1,0]
	s_delay_alu instid0(VALU_DEP_1) | instskip(SKIP_2) | instid1(VALU_DEP_1)
	v_and_b32_e32 v19, 0xffff, v19
	s_wait_loadcnt 0x0
	v_or_b32_e32 v18, v60, v18
	v_fma_mixlo_f16 v18, v33, v18, 0 op_sel_hi:[0,1,0]
	s_delay_alu instid0(VALU_DEP_1)
	v_and_b32_e32 v18, 0xffff, v18
	;;#ASMSTART
	v_cvt_f32_f16 v61, v18;
	;;#ASMEND
	;;#ASMSTART
	v_cvt_f32_f16 v60, v19;
	;;#ASMEND
	;; [unrolled: 3-line block ×4, first 2 shown]
	scratch_load_b32 v18, off, s32 offset:268 th:TH_LOAD_LU ; 4-byte Folded Reload
	v_fma_mixlo_f16 v19, v33, v94, 0 op_sel:[0,1,0] op_sel_hi:[0,1,0]
	s_delay_alu instid0(VALU_DEP_1) | instskip(SKIP_2) | instid1(VALU_DEP_1)
	v_and_b32_e32 v19, 0xffff, v19
	s_wait_loadcnt 0x0
	v_or_b32_e32 v18, v94, v18
	v_fma_mixlo_f16 v18, v33, v18, 0 op_sel_hi:[0,1,0]
	s_delay_alu instid0(VALU_DEP_1)
	v_and_b32_e32 v18, 0xffff, v18
	;;#ASMSTART
	v_cvt_f32_f16 v57, v18;
	;;#ASMEND
	;;#ASMSTART
	v_cvt_f32_f16 v56, v19;
	;;#ASMEND
	ds_load_b128 v[104:107], v25 offset:176
	s_wait_dscnt 0x0
	v_and_b32_e32 v18, 0xffff, v104
	v_lshrrev_b32_e32 v19, 16, v104
	;;#ASMSTART
	v_cvt_f32_f16 v110, v18;
	;;#ASMEND
	;;#ASMSTART
	v_cvt_f32_f16 v111, v19;
	;;#ASMEND
	scratch_load_b32 v18, off, s32 offset:272 th:TH_LOAD_LU ; 4-byte Folded Reload
	v_lshrrev_b32_e32 v24, 16, v106
	v_fma_mixlo_f16 v19, v33, v124, 0 op_sel:[0,1,0] op_sel_hi:[0,1,0]
	v_and_b32_e32 v29, 0xffff, v106
	v_lshrrev_b32_e32 v30, 16, v107
	v_and_b32_e32 v36, 0xffff, v107
	s_delay_alu instid0(VALU_DEP_4) | instskip(SKIP_2) | instid1(VALU_DEP_1)
	v_and_b32_e32 v19, 0xffff, v19
	s_wait_loadcnt 0x0
	v_or_b32_e32 v18, v124, v18
	v_fma_mixlo_f16 v18, v33, v18, 0 op_sel_hi:[0,1,0]
	s_delay_alu instid0(VALU_DEP_1)
	v_and_b32_e32 v18, 0xffff, v18
	;;#ASMSTART
	v_cvt_f32_f16 v94, v18;
	;;#ASMEND
	v_lshrrev_b32_e32 v18, 16, v105
	;;#ASMSTART
	v_cvt_f32_f16 v95, v19;
	;;#ASMEND
	v_and_b32_e32 v19, 0xffff, v105
	;;#ASMSTART
	v_cvt_f32_f16 v107, v19;
	;;#ASMEND
	;;#ASMSTART
	v_cvt_f32_f16 v106, v18;
	;;#ASMEND
	scratch_load_b32 v18, off, s32 offset:276 th:TH_LOAD_LU ; 4-byte Folded Reload
	v_pk_fma_f32 v[0:1], v[110:111], v[94:95], v[0:1]
	v_fma_mixlo_f16 v19, v33, v126, 0 op_sel:[0,1,0] op_sel_hi:[0,1,0]
	s_delay_alu instid0(VALU_DEP_1) | instskip(SKIP_2) | instid1(VALU_DEP_1)
	v_and_b32_e32 v19, 0xffff, v19
	s_wait_loadcnt 0x0
	v_or_b32_e32 v18, v126, v18
	v_fma_mixlo_f16 v18, v33, v18, 0 op_sel_hi:[0,1,0]
	s_delay_alu instid0(VALU_DEP_1)
	v_and_b32_e32 v18, 0xffff, v18
	;;#ASMSTART
	v_cvt_f32_f16 v111, v18;
	;;#ASMEND
	;;#ASMSTART
	v_cvt_f32_f16 v110, v19;
	;;#ASMEND
	;; [unrolled: 3-line block ×4, first 2 shown]
	scratch_load_b32 v18, off, s32 offset:280 th:TH_LOAD_LU ; 4-byte Folded Reload
	v_fma_mixlo_f16 v19, v33, v125, 0 op_sel:[0,1,0] op_sel_hi:[0,1,0]
	s_delay_alu instid0(VALU_DEP_1) | instskip(SKIP_2) | instid1(VALU_DEP_1)
	v_and_b32_e32 v19, 0xffff, v19
	s_wait_loadcnt 0x0
	v_or_b32_e32 v18, v125, v18
	v_fma_mixlo_f16 v18, v33, v18, 0 op_sel_hi:[0,1,0]
	s_delay_alu instid0(VALU_DEP_1)
	v_and_b32_e32 v18, 0xffff, v18
	;;#ASMSTART
	v_cvt_f32_f16 v105, v18;
	;;#ASMEND
	;;#ASMSTART
	v_cvt_f32_f16 v104, v19;
	;;#ASMEND
	;; [unrolled: 3-line block ×4, first 2 shown]
	scratch_load_b32 v18, off, s32 offset:284 th:TH_LOAD_LU ; 4-byte Folded Reload
	v_fma_mixlo_f16 v19, v33, v122, 0 op_sel:[0,1,0] op_sel_hi:[0,1,0]
	s_delay_alu instid0(VALU_DEP_1) | instskip(SKIP_2) | instid1(VALU_DEP_1)
	v_and_b32_e32 v19, 0xffff, v19
	s_wait_loadcnt 0x0
	v_or_b32_e32 v18, v122, v18
	v_fma_mixlo_f16 v18, v33, v18, 0 op_sel_hi:[0,1,0]
	s_delay_alu instid0(VALU_DEP_1)
	v_and_b32_e32 v18, 0xffff, v18
	;;#ASMSTART
	v_cvt_f32_f16 v93, v18;
	;;#ASMEND
	;;#ASMSTART
	v_cvt_f32_f16 v92, v19;
	;;#ASMEND
	ds_load_b128 v[122:125], v25 offset:192
	s_wait_dscnt 0x0
	v_and_b32_e32 v18, 0xffff, v122
	v_lshrrev_b32_e32 v19, 16, v122
	;;#ASMSTART
	v_cvt_f32_f16 v126, v18;
	;;#ASMEND
	;;#ASMSTART
	v_cvt_f32_f16 v127, v19;
	;;#ASMEND
	scratch_load_b32 v18, off, s32 offset:288 th:TH_LOAD_LU ; 4-byte Folded Reload
	v_lshrrev_b32_e32 v24, 16, v124
	v_fma_mixlo_f16 v19, v33, v28, 0 op_sel:[0,1,0] op_sel_hi:[0,1,0]
	v_and_b32_e32 v30, 0xffff, v124
	v_lshrrev_b32_e32 v36, 16, v125
	v_and_b32_e32 v37, 0xffff, v125
	s_delay_alu instid0(VALU_DEP_4) | instskip(SKIP_2) | instid1(VALU_DEP_1)
	v_and_b32_e32 v19, 0xffff, v19
	s_wait_loadcnt 0x0
	v_or_b32_e32 v18, v28, v18
	v_fma_mixlo_f16 v18, v33, v18, 0 op_sel_hi:[0,1,0]
	s_delay_alu instid0(VALU_DEP_1)
	v_and_b32_e32 v18, 0xffff, v18
	;;#ASMSTART
	v_cvt_f32_f16 v28, v18;
	;;#ASMEND
	;;#ASMSTART
	v_cvt_f32_f16 v29, v19;
	;;#ASMEND
	v_lshrrev_b32_e32 v18, 16, v123
	v_and_b32_e32 v19, 0xffff, v123
	;;#ASMSTART
	v_cvt_f32_f16 v121, v19;
	;;#ASMEND
	;;#ASMSTART
	v_cvt_f32_f16 v120, v18;
	;;#ASMEND
	s_clause 0x1
	scratch_load_b32 v18, off, s32 offset:292 th:TH_LOAD_LU
	scratch_load_b32 v19, off, s32 offset:300 th:TH_LOAD_LU
	v_pk_fma_f32 v[0:1], v[126:127], v[28:29], v[0:1]
	v_pk_fma_f32 v[28:29], v[42:43], v[44:45], v[48:49]
	s_wait_loadcnt 0x0
	v_or_b32_e32 v18, v19, v18
	v_fma_mixlo_f16 v19, v33, v19, 0 op_sel:[0,1,0] op_sel_hi:[0,1,0]
	s_delay_alu instid0(VALU_DEP_2) | instskip(NEXT) | instid1(VALU_DEP_2)
	v_fma_mixlo_f16 v18, v33, v18, 0 op_sel_hi:[0,1,0]
	v_and_b32_e32 v19, 0xffff, v19
	s_delay_alu instid0(VALU_DEP_2)
	v_and_b32_e32 v18, 0xffff, v18
	;;#ASMSTART
	v_cvt_f32_f16 v123, v18;
	;;#ASMEND
	;;#ASMSTART
	v_cvt_f32_f16 v122, v19;
	;;#ASMEND
	;; [unrolled: 3-line block ×4, first 2 shown]
	scratch_load_b32 v18, off, s32 offset:296 th:TH_LOAD_LU ; 4-byte Folded Reload
	v_fma_mixlo_f16 v19, v33, v31, 0 op_sel:[0,1,0] op_sel_hi:[0,1,0]
	s_delay_alu instid0(VALU_DEP_1) | instskip(SKIP_2) | instid1(VALU_DEP_1)
	v_and_b32_e32 v19, 0xffff, v19
	s_wait_loadcnt 0x0
	v_or_b32_e32 v18, v31, v18
	v_fma_mixlo_f16 v18, v33, v18, 0 op_sel_hi:[0,1,0]
	s_delay_alu instid0(VALU_DEP_1)
	v_and_b32_e32 v18, 0xffff, v18
	;;#ASMSTART
	v_cvt_f32_f16 v109, v18;
	;;#ASMEND
	;;#ASMSTART
	v_cvt_f32_f16 v108, v19;
	;;#ASMEND
	;; [unrolled: 3-line block ×4, first 2 shown]
	scratch_load_b32 v18, off, s32 offset:304 th:TH_LOAD_LU ; 4-byte Folded Reload
	v_fma_mixlo_f16 v19, v33, v26, 0 op_sel:[0,1,0] op_sel_hi:[0,1,0]
	s_delay_alu instid0(VALU_DEP_1) | instskip(SKIP_2) | instid1(VALU_DEP_1)
	v_and_b32_e32 v19, 0xffff, v19
	s_wait_loadcnt 0x0
	v_or_b32_e32 v18, v26, v18
	v_fma_mixlo_f16 v18, v33, v18, 0 op_sel_hi:[0,1,0]
	s_delay_alu instid0(VALU_DEP_1)
	v_and_b32_e32 v18, 0xffff, v18
	;;#ASMSTART
	v_cvt_f32_f16 v43, v18;
	;;#ASMEND
	;;#ASMSTART
	v_cvt_f32_f16 v42, v19;
	;;#ASMEND
	ds_load_b128 v[124:127], v25 offset:208
	s_wait_dscnt 0x0
	v_and_b32_e32 v18, 0xffff, v124
	v_lshrrev_b32_e32 v19, 16, v124
	;;#ASMSTART
	v_cvt_f32_f16 v36, v18;
	;;#ASMEND
	;;#ASMSTART
	v_cvt_f32_f16 v37, v19;
	;;#ASMEND
	scratch_load_b32 v18, off, s32 offset:308 th:TH_LOAD_LU ; 4-byte Folded Reload
	v_lshrrev_b32_e32 v19, 16, v126
	v_and_b32_e32 v24, 0xffff, v126
	s_wait_loadcnt 0x0
	v_dual_lshrrev_b32 v26, 16, v127 :: v_dual_bitop2_b32 v18, v16, v18 bitop3:0x54
	v_fma_mixlo_f16 v16, v33, v16, 0 op_sel:[0,1,0] op_sel_hi:[0,1,0]
	s_delay_alu instid0(VALU_DEP_2) | instskip(NEXT) | instid1(VALU_DEP_2)
	v_fma_mixlo_f16 v18, v33, v18, 0 op_sel_hi:[0,1,0]
	v_and_b32_e32 v16, 0xffff, v16
	s_delay_alu instid0(VALU_DEP_2)
	v_and_b32_e32 v18, 0xffff, v18
	;;#ASMSTART
	v_cvt_f32_f16 v30, v18;
	;;#ASMEND
	;;#ASMSTART
	v_cvt_f32_f16 v31, v16;
	;;#ASMEND
	v_lshrrev_b32_e32 v16, 16, v125
	v_and_b32_e32 v18, 0xffff, v125
	;;#ASMSTART
	v_cvt_f32_f16 v125, v18;
	;;#ASMEND
	;;#ASMSTART
	v_cvt_f32_f16 v124, v16;
	;;#ASMEND
	scratch_load_b32 v16, off, s32 offset:312 th:TH_LOAD_LU ; 4-byte Folded Reload
	v_pk_fma_f32 v[0:1], v[36:37], v[30:31], v[0:1]
	v_pk_fma_f32 v[36:37], v[112:113], v[114:115], v[28:29]
	v_and_b32_e32 v28, 0xffff, v127
	v_fma_mixlo_f16 v18, v33, v27, 0 op_sel:[0,1,0] op_sel_hi:[0,1,0]
	s_delay_alu instid0(VALU_DEP_3) | instskip(NEXT) | instid1(VALU_DEP_2)
	v_pk_fma_f32 v[36:37], v[2:3], v[4:5], v[36:37]
	v_and_b32_e32 v18, 0xffff, v18
	s_wait_loadcnt 0x0
	v_or_b32_e32 v16, v17, v16
	v_fma_mixlo_f16 v17, v33, v17, 0 op_sel:[0,1,0] op_sel_hi:[0,1,0]
	s_delay_alu instid0(VALU_DEP_2) | instskip(NEXT) | instid1(VALU_DEP_2)
	v_fma_mixlo_f16 v16, v33, v16, 0 op_sel_hi:[0,1,0]
	v_and_b32_e32 v17, 0xffff, v17
	s_delay_alu instid0(VALU_DEP_2)
	v_and_b32_e32 v16, 0xffff, v16
	;;#ASMSTART
	v_cvt_f32_f16 v127, v16;
	;;#ASMEND
	;;#ASMSTART
	v_cvt_f32_f16 v126, v17;
	;;#ASMEND
	;; [unrolled: 3-line block ×4, first 2 shown]
	scratch_load_b32 v16, off, s32 offset:316 th:TH_LOAD_LU ; 4-byte Folded Reload
	v_fma_mixlo_f16 v24, v33, v20, 0 op_sel:[0,1,0] op_sel_hi:[0,1,0]
	s_wait_loadcnt 0x0
	v_or_b32_e32 v16, v15, v16
	v_fma_mixlo_f16 v15, v33, v15, 0 op_sel:[0,1,0] op_sel_hi:[0,1,0]
	s_delay_alu instid0(VALU_DEP_2) | instskip(NEXT) | instid1(VALU_DEP_2)
	v_fma_mixlo_f16 v16, v33, v16, 0 op_sel_hi:[0,1,0]
	v_and_b32_e32 v15, 0xffff, v15
	s_delay_alu instid0(VALU_DEP_2)
	v_and_b32_e32 v16, 0xffff, v16
	;;#ASMSTART
	v_cvt_f32_f16 v73, v16;
	;;#ASMEND
	;;#ASMSTART
	v_cvt_f32_f16 v72, v15;
	;;#ASMEND
	;;#ASMSTART
	v_cvt_f32_f16 v113, v28;
	;;#ASMEND
	;;#ASMSTART
	v_cvt_f32_f16 v112, v26;
	;;#ASMEND
	scratch_load_b32 v15, off, s32 offset:320 th:TH_LOAD_LU ; 4-byte Folded Reload
	v_fma_mixlo_f16 v16, v33, v21, 0 op_sel:[0,1,0] op_sel_hi:[0,1,0]
	s_delay_alu instid0(VALU_DEP_1) | instskip(SKIP_3) | instid1(VALU_DEP_2)
	v_and_b32_e32 v16, 0xffff, v16
	s_wait_loadcnt 0x0
	v_or_b32_e32 v15, v21, v15
	v_fma_mixlo_f16 v21, v33, v34, 0 op_sel:[0,1,0] op_sel_hi:[0,1,0]
	v_fma_mixlo_f16 v15, v33, v15, 0 op_sel_hi:[0,1,0]
	s_delay_alu instid0(VALU_DEP_1)
	v_and_b32_e32 v15, 0xffff, v15
	;;#ASMSTART
	v_cvt_f32_f16 v115, v15;
	;;#ASMEND
	;;#ASMSTART
	v_cvt_f32_f16 v114, v16;
	;;#ASMEND
	ds_load_b128 v[28:31], v25 offset:224
	s_wait_dscnt 0x0
	v_and_b32_e32 v15, 0xffff, v28
	v_lshrrev_b32_e32 v17, 16, v28
	;;#ASMSTART
	v_cvt_f32_f16 v16, v15;
	;;#ASMEND
	;;#ASMSTART
	v_cvt_f32_f16 v17, v17;
	;;#ASMEND
	scratch_load_b32 v15, off, s32 offset:324 th:TH_LOAD_LU ; 4-byte Folded Reload
	v_lshrrev_b32_e32 v2, 16, v30
	v_and_b32_e32 v3, 0xffff, v30
	v_lshrrev_b32_e32 v4, 16, v31
	v_and_b32_e32 v5, 0xffff, v31
	s_wait_loadcnt 0x0
	v_or_b32_e32 v15, v27, v15
	s_delay_alu instid0(VALU_DEP_1) | instskip(NEXT) | instid1(VALU_DEP_1)
	v_fma_mixlo_f16 v15, v33, v15, 0 op_sel_hi:[0,1,0]
	v_and_b32_e32 v15, 0xffff, v15
	;;#ASMSTART
	v_cvt_f32_f16 v26, v15;
	;;#ASMEND
	;;#ASMSTART
	v_cvt_f32_f16 v27, v18;
	;;#ASMEND
	v_pk_fma_f32 v[16:17], v[16:17], v[26:27], v[0:1]
	v_lshrrev_b32_e32 v0, 16, v29
	v_and_b32_e32 v1, 0xffff, v29
	;;#ASMSTART
	v_cvt_f32_f16 v29, v1;
	;;#ASMEND
	;;#ASMSTART
	v_cvt_f32_f16 v28, v0;
	;;#ASMEND
	scratch_load_b32 v0, off, s32 offset:328 th:TH_LOAD_LU ; 4-byte Folded Reload
	v_pk_fma_f32 v[18:19], v[78:79], v[88:89], v[10:11]
	v_fma_mixlo_f16 v1, v33, v13, 0 op_sel:[0,1,0] op_sel_hi:[0,1,0]
	s_delay_alu instid0(VALU_DEP_2) | instskip(NEXT) | instid1(VALU_DEP_2)
	v_pk_fma_f32 v[18:19], v[74:75], v[76:77], v[18:19]
	v_and_b32_e32 v1, 0xffff, v1
	s_wait_loadcnt 0x0
	v_or_b32_e32 v0, v13, v0
	s_delay_alu instid0(VALU_DEP_1) | instskip(NEXT) | instid1(VALU_DEP_1)
	v_fma_mixlo_f16 v0, v33, v0, 0 op_sel_hi:[0,1,0]
	v_and_b32_e32 v0, 0xffff, v0
	;;#ASMSTART
	v_cvt_f32_f16 v27, v0;
	;;#ASMEND
	;;#ASMSTART
	v_cvt_f32_f16 v26, v1;
	;;#ASMEND
	;; [unrolled: 3-line block ×4, first 2 shown]
	scratch_load_b32 v0, off, s32 offset:332 th:TH_LOAD_LU ; 4-byte Folded Reload
	v_fma_mixlo_f16 v1, v33, v14, 0 op_sel:[0,1,0] op_sel_hi:[0,1,0]
	v_fma_mixlo_f16 v3, v33, v6, 0 op_sel:[0,1,0] op_sel_hi:[0,1,0]
	s_delay_alu instid0(VALU_DEP_2) | instskip(NEXT) | instid1(VALU_DEP_2)
	v_and_b32_e32 v2, 0xffff, v1
	v_and_b32_e32 v3, 0xffff, v3
	s_wait_loadcnt 0x0
	v_or_b32_e32 v0, v14, v0
	s_delay_alu instid0(VALU_DEP_1) | instskip(NEXT) | instid1(VALU_DEP_1)
	v_fma_mixlo_f16 v0, v33, v0, 0 op_sel_hi:[0,1,0]
	v_and_b32_e32 v0, 0xffff, v0
	;;#ASMSTART
	v_cvt_f32_f16 v1, v0;
	;;#ASMEND
	;;#ASMSTART
	v_cvt_f32_f16 v0, v2;
	;;#ASMEND
	;; [unrolled: 3-line block ×4, first 2 shown]
	scratch_load_b32 v2, off, s32 offset:336 th:TH_LOAD_LU ; 4-byte Folded Reload
	s_wait_loadcnt 0x0
	v_or_b32_e32 v2, v6, v2
	s_delay_alu instid0(VALU_DEP_1) | instskip(NEXT) | instid1(VALU_DEP_1)
	v_fma_mixlo_f16 v2, v33, v2, 0 op_sel_hi:[0,1,0]
	v_and_b32_e32 v2, 0xffff, v2
	;;#ASMSTART
	v_cvt_f32_f16 v15, v2;
	;;#ASMEND
	;;#ASMSTART
	v_cvt_f32_f16 v14, v3;
	;;#ASMEND
	ds_load_b128 v[2:5], v25 offset:240
	s_wait_dscnt 0x0
	v_and_b32_e32 v6, 0xffff, v2
	v_lshrrev_b32_e32 v2, 16, v2
	;;#ASMSTART
	v_cvt_f32_f16 v10, v6;
	;;#ASMEND
	;;#ASMSTART
	v_cvt_f32_f16 v11, v2;
	;;#ASMEND
	scratch_load_b32 v2, off, s32 offset:340 th:TH_LOAD_LU ; 4-byte Folded Reload
	v_fma_mixlo_f16 v6, v33, v9, 0 op_sel:[0,1,0] op_sel_hi:[0,1,0]
	s_delay_alu instid0(VALU_DEP_1) | instskip(SKIP_2) | instid1(VALU_DEP_1)
	v_and_b32_e32 v6, 0xffff, v6
	s_wait_loadcnt 0x0
	v_or_b32_e32 v2, v9, v2
	v_fma_mixlo_f16 v2, v33, v2, 0 op_sel_hi:[0,1,0]
	s_delay_alu instid0(VALU_DEP_1)
	v_and_b32_e32 v2, 0xffff, v2
	;;#ASMSTART
	v_cvt_f32_f16 v30, v2;
	;;#ASMEND
	;;#ASMSTART
	v_cvt_f32_f16 v31, v6;
	;;#ASMEND
	s_clause 0x1
	scratch_load_b32 v2, off, s32 offset:404
	scratch_load_b32 v6, off, s32 offset:344 th:TH_LOAD_LU
	v_pk_fma_f32 v[10:11], v[10:11], v[30:31], v[16:17]
	v_pk_fma_f32 v[16:17], v[52:53], v[54:55], v[38:39]
	;; [unrolled: 1-line block ×3, first 2 shown]
	s_wait_loadcnt 0x1
	v_add_nc_u32_e32 v2, v2, v32
	s_wait_loadcnt 0x0
	v_or_b32_e32 v6, v34, v6
	s_delay_alu instid0(VALU_DEP_2) | instskip(SKIP_2) | instid1(VALU_DEP_4)
	v_cvt_f32_i32_e32 v13, v2
	v_or_b32_e32 v2, v20, v8
	v_or_b32_e32 v8, v23, v35
	v_fma_mixlo_f16 v6, v33, v6, 0 op_sel_hi:[0,1,0]
	v_fma_mixlo_f16 v23, v33, v23, 0 op_sel:[0,1,0] op_sel_hi:[0,1,0]
	v_and_b32_e32 v20, 0xffff, v3
	v_fma_mixlo_f16 v34, v33, v2, 0 op_sel_hi:[0,1,0]
	v_fma_mixlo_f16 v35, v33, v8, 0 op_sel_hi:[0,1,0]
	v_pk_fma_f32 v[8:9], v[64:65], v[66:67], v[16:17]
	v_pk_fma_f32 v[16:17], v[100:101], v[102:103], v[30:31]
	v_lshrrev_b32_e32 v33, 16, v3
	v_pk_fma_f32 v[2:3], v[106:107], v[110:111], v[18:19]
	v_and_b32_e32 v6, 0xffff, v6
	v_pk_fma_f32 v[8:9], v[68:69], v[70:71], v[8:9]
	v_pk_fma_f32 v[16:17], v[118:119], v[40:41], v[16:17]
	;;#ASMSTART
	v_cvt_f32_f16 v19, v20;
	;;#ASMEND
	v_pk_fma_f32 v[2:3], v[120:121], v[122:123], v[2:3]
	;;#ASMSTART
	v_cvt_f32_f16 v18, v33;
	;;#ASMEND
	v_pk_fma_f32 v[8:9], v[80:81], v[82:83], v[8:9]
	v_pk_fma_f32 v[16:17], v[58:59], v[60:61], v[16:17]
	v_and_b32_e32 v20, 0xffff, v21
	v_pk_fma_f32 v[2:3], v[124:125], v[126:127], v[2:3]
	;;#ASMSTART
	v_cvt_f32_f16 v21, v6;
	;;#ASMEND
	v_pk_fma_f32 v[8:9], v[96:97], v[98:99], v[8:9]
	v_pk_fma_f32 v[16:17], v[94:95], v[104:105], v[16:17]
	v_and_b32_e32 v6, 0xffff, v4
	v_pk_fma_f32 v[2:3], v[28:29], v[26:27], v[2:3]
	v_lshrrev_b32_e32 v4, 16, v4
	v_pk_fma_f32 v[8:9], v[50:51], v[116:117], v[8:9]
	v_pk_fma_f32 v[16:17], v[44:45], v[108:109], v[16:17]
	;;#ASMSTART
	v_cvt_f32_f16 v20, v20;
	;;#ASMEND
	v_pk_fma_f32 v[2:3], v[18:19], v[20:21], v[2:3]
	;;#ASMSTART
	v_cvt_f32_f16 v19, v6;
	;;#ASMEND
	;; [unrolled: 4-line block ×3, first 2 shown]
	v_pk_fma_f32 v[16:17], v[62:63], v[72:73], v[16:17]
	v_add_f32_e32 v4, v10, v11
	v_and_b32_e32 v6, 0xffff, v34
	v_pk_fma_f32 v[8:9], v[90:91], v[92:93], v[8:9]
	v_and_b32_e32 v20, 0xffff, v24
	v_pk_fma_f32 v[0:1], v[88:89], v[0:1], v[16:17]
	v_add_f32_e32 v3, v4, v3
	;;#ASMSTART
	v_cvt_f32_f16 v11, v6;
	;;#ASMEND
	v_pk_fma_f32 v[8:9], v[48:49], v[42:43], v[8:9]
	;;#ASMSTART
	v_cvt_f32_f16 v10, v20;
	;;#ASMEND
	v_and_b32_e32 v6, 0xffff, v5
	v_pk_fma_f32 v[0:1], v[18:19], v[10:11], v[0:1]
	v_lshrrev_b32_e32 v10, 16, v5
	v_pk_fma_f32 v[4:5], v[112:113], v[114:115], v[8:9]
	v_add_f32_e32 v2, v2, v3
	;;#ASMSTART
	v_cvt_f32_f16 v3, v6;
	;;#ASMEND
	v_and_b32_e32 v8, 0xffff, v23
	v_and_b32_e32 v6, 0xffff, v35
	v_pk_fma_f32 v[4:5], v[78:79], v[14:15], v[4:5]
	v_add_f32_e32 v1, v2, v1
	;;#ASMSTART
	v_cvt_f32_f16 v2, v10;
	;;#ASMEND
	;;#ASMSTART
	v_cvt_f32_f16 v9, v6;
	;;#ASMEND
	;; [unrolled: 3-line block ×3, first 2 shown]
	v_pk_fma_f32 v[2:3], v[2:3], v[8:9], v[4:5]
	v_add_f32_e32 v0, v0, v1
	s_clause 0x1
	scratch_load_b32 v1, off, s32 offset:380
	scratch_load_b32 v19, off, s32 offset:372 th:TH_LOAD_LU
	v_add_f32_e32 v0, v0, v3
	scratch_load_b32 v3, off, s32 offset:392 ; 4-byte Folded Reload
	v_add_f32_e32 v0, v2, v0
	scratch_load_b32 v2, off, s32 offset:376 ; 4-byte Folded Reload
	s_wait_loadcnt 0x3
	v_mul_f32_e32 v1, v1, v13
	s_wait_loadcnt 0x0
	s_delay_alu instid0(VALU_DEP_1) | instskip(NEXT) | instid1(VALU_DEP_1)
	v_dual_cndmask_b32 v1, 0, v1 :: v_dual_add_nc_u32 v2, v2, v32
	v_cmp_lt_i32_e64 s1, v2, v12
	s_wait_kmcnt 0x0
	s_delay_alu instid0(VALU_DEP_2) | instskip(SKIP_1) | instid1(VALU_DEP_1)
	v_dual_fmac_f32 v1, v3, v0 :: v_dual_add_nc_u32 v2, s16, v7
	v_max_num_f32_e32 v0, v19, v19
	v_dual_max_num_f32 v0, v0, v1 :: v_dual_cndmask_b32 v1, 0, v1, s1
	s_delay_alu instid0(VALU_DEP_1)
	v_cndmask_b32_e64 v19, v19, v0, s1
	ds_store_b32 v2, v1
.LBB283_14:                             ;   in Loop: Header=BB283_15 Depth=1
	s_wait_xcnt 0x0
	s_or_b32 exec_lo, exec_lo, s2
	scratch_load_b32 v0, off, s32 offset:208 ; 4-byte Folded Reload
	v_add_nc_u32_e32 v22, 4, v22
	v_add_nc_u32_e32 v32, 0x80, v32
	;; [unrolled: 1-line block ×3, first 2 shown]
	s_wait_loadcnt 0x0
	s_delay_alu instid0(VALU_DEP_3)
	v_cmp_ge_i32_e64 s1, v22, v0
	scratch_load_b64 v[0:1], off, s32 offset:200 ; 8-byte Folded Reload
	s_or_b32 s15, s1, s15
	s_wait_loadcnt 0x0
	v_add_nc_u64_e32 v[0:1], 16, v[0:1]
	scratch_store_b64 off, v[0:1], s32 offset:200 ; 8-byte Folded Spill
	s_wait_xcnt 0x0
	s_and_not1_b32 exec_lo, exec_lo, s15
	s_cbranch_execz .LBB283_1039
.LBB283_15:                             ; =>This Inner Loop Header: Depth=1
	s_clause 0x1
	scratch_load_b64 v[0:1], off, s32 offset:216
	scratch_load_b32 v4, off, s32 offset:212
	v_mov_b32_e32 v33, v25
	s_wait_loadcnt 0x1
	s_delay_alu instid0(VALU_DEP_1) | instskip(SKIP_1) | instid1(VALU_DEP_1)
	v_mul_u64_e32 v[0:1], v[32:33], v[0:1]
	s_wait_loadcnt 0x0
	v_mul_lo_u32 v0, v1, v4
	s_delay_alu instid0(VALU_DEP_1) | instskip(NEXT) | instid1(VALU_DEP_1)
	v_dual_sub_nc_u32 v0, v32, v0 :: v_dual_add_nc_u32 v2, 1, v1
	v_sub_nc_u32_e32 v3, v0, v4
	v_cmp_ge_u32_e64 s1, v0, v4
	s_delay_alu instid0(VALU_DEP_1) | instskip(NEXT) | instid1(VALU_DEP_1)
	v_dual_cndmask_b32 v1, v1, v2, s1 :: v_dual_cndmask_b32 v0, v0, v3, s1
	v_add_nc_u32_e32 v2, 1, v1
	s_delay_alu instid0(VALU_DEP_2)
	v_cmp_ge_u32_e64 s1, v0, v4
	scratch_load_b32 v4, off, s32 offset:360 ; 4-byte Folded Reload
	v_cndmask_b32_e64 v0, v1, v2, s1
	scratch_load_b32 v1, off, s32 offset:224 ; 4-byte Folded Reload
	s_wait_loadcnt 0x0
	v_xor_b32_e32 v0, v0, v1
	s_delay_alu instid0(VALU_DEP_1) | instskip(SKIP_3) | instid1(VALU_DEP_1)
	v_sub_nc_u32_e32 v2, v0, v1
	scratch_load_b32 v0, off, s32 offset:228 ; 4-byte Folded Reload
	s_wait_loadcnt 0x0
	v_add_nc_u32_e32 v3, v2, v0
	v_sub_nc_u32_e32 v0, 0, v3
	s_delay_alu instid0(VALU_DEP_1) | instskip(SKIP_3) | instid1(VALU_DEP_1)
	v_max_i32_e32 v24, v3, v0
	scratch_load_b64 v[0:1], off, s32 offset:364 ; 8-byte Folded Reload
	s_wait_loadcnt 0x0
	v_mul_u64_e32 v[0:1], v[24:25], v[0:1]
	v_mul_lo_u32 v0, v1, v4
	s_delay_alu instid0(VALU_DEP_1) | instskip(NEXT) | instid1(VALU_DEP_1)
	v_dual_sub_nc_u32 v0, v24, v0 :: v_dual_ashrrev_i32 v3, 31, v3
	v_sub_nc_u32_e32 v1, v0, v4
	v_cmp_ge_u32_e64 s1, v0, v4
	s_delay_alu instid0(VALU_DEP_1) | instskip(NEXT) | instid1(VALU_DEP_1)
	v_cndmask_b32_e64 v0, v0, v1, s1
	v_sub_nc_u32_e32 v1, v0, v4
	v_cmp_ge_u32_e64 s1, v0, v4
	s_delay_alu instid0(VALU_DEP_1) | instskip(NEXT) | instid1(VALU_DEP_1)
	v_cndmask_b32_e64 v0, v0, v1, s1
	v_xor_b32_e32 v0, v0, v3
	s_delay_alu instid0(VALU_DEP_1) | instskip(NEXT) | instid1(VALU_DEP_1)
	v_sub_nc_u32_e32 v0, v0, v3
	v_cmp_ne_u32_e64 s1, 0, v0
	scratch_load_b32 v0, off, s32 offset:232 ; 4-byte Folded Reload
	s_wait_loadcnt 0x0
	v_cmp_le_i32_e64 s2, v2, v0
	s_and_b32 s1, s1, s2
	s_wait_xcnt 0x0
	s_and_saveexec_b32 s2, s1
	s_delay_alu instid0(SALU_CYCLE_1)
	s_xor_b32 s1, exec_lo, s2
	s_cbranch_execz .LBB283_17
; %bb.16:                               ;   in Loop: Header=BB283_15 Depth=1
	s_wait_kmcnt 0x0
	v_dual_mov_b32 v1, 0xff7fffff :: v_dual_add_nc_u32 v0, s14, v7
	ds_store_b32 v0, v1
.LBB283_17:                             ;   in Loop: Header=BB283_15 Depth=1
	s_and_not1_saveexec_b32 s2, s1
	s_cbranch_execz .LBB283_14
; %bb.18:                               ;   in Loop: Header=BB283_15 Depth=1
	scratch_load_b64 v[0:1], off, s32 offset:200 ; 8-byte Folded Reload
	v_dual_mov_b32 v10, 0 :: v_dual_mov_b32 v11, 0
	s_mov_b32 s16, exec_lo
	s_wait_loadcnt 0x0
	flat_load_b32 v0, v[0:1]
	s_clause 0x1
	scratch_load_b64 v[2:3], off, s32 offset:352
	scratch_load_b64 v[4:5], off, s32 offset:396
	s_wait_loadcnt_dscnt 0x0
	v_mad_nc_i64_i32 v[2:3], v0, v2, v[4:5]
	flat_load_b64 v[4:5], v[2:3]
	scratch_load_b64 v[0:1], off, s32 offset:384 ; 8-byte Folded Reload
	s_wait_loadcnt 0x0
	flat_load_b32 v33, v[0:1]
	s_wait_dscnt 0x1
	s_wait_xcnt 0x0
	v_and_b32_e32 v0, 0xff, v4
	s_delay_alu instid0(VALU_DEP_1)
	v_cmpx_ne_u16_e32 0, v0
	s_cbranch_execz .LBB283_26
; %bb.19:                               ;   in Loop: Header=BB283_15 Depth=1
	v_mov_b32_e32 v11, 0x8000
	s_mov_b32 s17, exec_lo
	v_cmpx_ne_u16_e32 0x80, v0
	s_cbranch_execz .LBB283_25
; %bb.20:                               ;   in Loop: Header=BB283_15 Depth=1
	v_and_b32_e32 v6, 0x7f, v4
	v_mov_b32_e32 v11, 0x7c01
	s_mov_b32 s18, exec_lo
	s_delay_alu instid0(VALU_DEP_2)
	v_cmpx_ne_u32_e32 0x7f, v6
	s_cbranch_execz .LBB283_24
; %bb.21:                               ;   in Loop: Header=BB283_15 Depth=1
	v_dual_lshrrev_b32 v1, 3, v6 :: v_dual_bitop2_b32 v0, 7, v4 bitop3:0x40
	s_mov_b32 s19, exec_lo
	v_cmpx_gt_u32_e32 8, v6
; %bb.22:                               ;   in Loop: Header=BB283_15 Depth=1
	s_delay_alu instid0(VALU_DEP_2) | instskip(NEXT) | instid1(VALU_DEP_1)
	v_clz_i32_u32_e32 v0, v0
	v_min_u32_e32 v6, 32, v0
	s_delay_alu instid0(VALU_DEP_1) | instskip(NEXT) | instid1(VALU_DEP_1)
	v_subrev_nc_u32_e32 v0, 28, v6
	v_lshlrev_b64_e32 v[0:1], v0, v[4:5]
	s_delay_alu instid0(VALU_DEP_1)
	v_dual_sub_nc_u32 v1, 29, v6 :: v_dual_bitop2_b32 v0, 7, v0 bitop3:0x40
; %bb.23:                               ;   in Loop: Header=BB283_15 Depth=1
	s_or_b32 exec_lo, exec_lo, s19
	v_lshlrev_b32_e32 v6, 8, v4
	s_delay_alu instid0(VALU_DEP_2) | instskip(NEXT) | instid1(VALU_DEP_3)
	v_lshl_add_u32 v1, v1, 10, 0x2000
	v_lshlrev_b32_e32 v0, 7, v0
	s_delay_alu instid0(VALU_DEP_3) | instskip(NEXT) | instid1(VALU_DEP_3)
	v_and_b32_e32 v6, 0x8000, v6
	v_and_b32_e32 v1, 0xfc00, v1
	s_delay_alu instid0(VALU_DEP_1)
	v_or3_b32 v11, v6, v1, v0
.LBB283_24:                             ;   in Loop: Header=BB283_15 Depth=1
	s_or_b32 exec_lo, exec_lo, s18
.LBB283_25:                             ;   in Loop: Header=BB283_15 Depth=1
	s_delay_alu instid0(SALU_CYCLE_1)
	s_or_b32 exec_lo, exec_lo, s17
.LBB283_26:                             ;   in Loop: Header=BB283_15 Depth=1
	s_delay_alu instid0(SALU_CYCLE_1) | instskip(SKIP_2) | instid1(VALU_DEP_1)
	s_or_b32 exec_lo, exec_lo, s16
	v_lshrrev_b16 v24, 8, v4
	s_mov_b32 s16, exec_lo
	v_cmpx_ne_u16_e32 0, v24
	s_cbranch_execz .LBB283_34
; %bb.27:                               ;   in Loop: Header=BB283_15 Depth=1
	v_bfrev_b32_e32 v10, 1
	s_mov_b32 s17, exec_lo
	v_cmpx_ne_u16_e32 0x80, v24
	s_cbranch_execz .LBB283_33
; %bb.28:                               ;   in Loop: Header=BB283_15 Depth=1
	v_and_b32_e32 v0, 0xffff, v24
	v_mov_b32_e32 v10, 0x7c010000
	s_mov_b32 s18, exec_lo
	s_delay_alu instid0(VALU_DEP_2) | instskip(NEXT) | instid1(VALU_DEP_1)
	v_and_b32_e32 v8, 0x7f, v0
	v_cmpx_ne_u32_e32 0x7f, v8
	s_cbranch_execz .LBB283_32
; %bb.29:                               ;   in Loop: Header=BB283_15 Depth=1
	v_and_b32_e32 v1, 7, v0
	v_lshrrev_b32_e32 v6, 3, v8
	s_mov_b32 s19, exec_lo
	v_cmpx_gt_u32_e32 8, v8
; %bb.30:                               ;   in Loop: Header=BB283_15 Depth=1
	s_delay_alu instid0(VALU_DEP_3) | instskip(NEXT) | instid1(VALU_DEP_1)
	v_clz_i32_u32_e32 v1, v1
	v_min_u32_e32 v1, 32, v1
	s_delay_alu instid0(VALU_DEP_1) | instskip(NEXT) | instid1(VALU_DEP_1)
	v_subrev_nc_u32_e32 v6, 28, v1
	v_lshlrev_b64_e32 v[8:9], v6, v[24:25]
	s_delay_alu instid0(VALU_DEP_1)
	v_dual_sub_nc_u32 v6, 29, v1 :: v_dual_bitop2_b32 v1, 7, v8 bitop3:0x40
; %bb.31:                               ;   in Loop: Header=BB283_15 Depth=1
	s_or_b32 exec_lo, exec_lo, s19
	s_delay_alu instid0(VALU_DEP_1) | instskip(NEXT) | instid1(VALU_DEP_2)
	v_dual_lshlrev_b32 v0, 8, v0 :: v_dual_lshlrev_b32 v1, 23, v1
	v_lshl_add_u32 v6, v6, 10, 0x2000
	s_delay_alu instid0(VALU_DEP_1) | instskip(NEXT) | instid1(VALU_DEP_1)
	v_and_or_b32 v0, 0x8000, v0, v6
	v_lshl_or_b32 v10, v0, 16, v1
.LBB283_32:                             ;   in Loop: Header=BB283_15 Depth=1
	s_or_b32 exec_lo, exec_lo, s18
.LBB283_33:                             ;   in Loop: Header=BB283_15 Depth=1
	s_delay_alu instid0(SALU_CYCLE_1)
	s_or_b32 exec_lo, exec_lo, s17
.LBB283_34:                             ;   in Loop: Header=BB283_15 Depth=1
	s_delay_alu instid0(SALU_CYCLE_1) | instskip(SKIP_3) | instid1(VALU_DEP_2)
	s_or_b32 exec_lo, exec_lo, s16
	v_dual_lshrrev_b32 v0, 16, v4 :: v_dual_mov_b32 v50, 0
	v_mov_b32_e32 v38, 0
	s_mov_b32 s16, exec_lo
	v_and_b32_e32 v1, 0xff, v0
	s_delay_alu instid0(VALU_DEP_1)
	v_cmpx_ne_u16_e32 0, v1
	s_cbranch_execz .LBB283_42
; %bb.35:                               ;   in Loop: Header=BB283_15 Depth=1
	v_mov_b32_e32 v38, 0x8000
	s_mov_b32 s17, exec_lo
	v_cmpx_ne_u16_e32 0x80, v1
	s_cbranch_execz .LBB283_41
; %bb.36:                               ;   in Loop: Header=BB283_15 Depth=1
	v_bfe_u32 v8, v4, 16, 7
	v_mov_b32_e32 v38, 0x7c01
	s_mov_b32 s18, exec_lo
	s_delay_alu instid0(VALU_DEP_2)
	v_cmpx_ne_u32_e32 0x7f, v8
	s_cbranch_execz .LBB283_40
; %bb.37:                               ;   in Loop: Header=BB283_15 Depth=1
	v_and_b32_e32 v1, 7, v0
	v_lshrrev_b32_e32 v6, 3, v8
	s_mov_b32 s19, exec_lo
	v_cmpx_gt_u32_e32 8, v8
; %bb.38:                               ;   in Loop: Header=BB283_15 Depth=1
	s_delay_alu instid0(VALU_DEP_3) | instskip(NEXT) | instid1(VALU_DEP_1)
	v_clz_i32_u32_e32 v1, v1
	v_min_u32_e32 v1, 32, v1
	s_delay_alu instid0(VALU_DEP_1) | instskip(NEXT) | instid1(VALU_DEP_1)
	v_subrev_nc_u32_e32 v6, 28, v1
	v_lshlrev_b64_e32 v[8:9], v6, v[0:1]
	s_delay_alu instid0(VALU_DEP_1)
	v_dual_sub_nc_u32 v6, 29, v1 :: v_dual_bitop2_b32 v1, 7, v8 bitop3:0x40
; %bb.39:                               ;   in Loop: Header=BB283_15 Depth=1
	s_or_b32 exec_lo, exec_lo, s19
	s_delay_alu instid0(VALU_DEP_1) | instskip(NEXT) | instid1(VALU_DEP_2)
	v_dual_lshlrev_b32 v0, 8, v0 :: v_dual_lshlrev_b32 v1, 7, v1
	v_lshl_add_u32 v6, v6, 10, 0x2000
	s_delay_alu instid0(VALU_DEP_2) | instskip(NEXT) | instid1(VALU_DEP_2)
	v_and_b32_e32 v0, 0x8000, v0
	v_and_b32_e32 v6, 0xfc00, v6
	s_delay_alu instid0(VALU_DEP_1)
	v_or3_b32 v38, v0, v6, v1
.LBB283_40:                             ;   in Loop: Header=BB283_15 Depth=1
	s_or_b32 exec_lo, exec_lo, s18
.LBB283_41:                             ;   in Loop: Header=BB283_15 Depth=1
	s_delay_alu instid0(SALU_CYCLE_1)
	s_or_b32 exec_lo, exec_lo, s17
.LBB283_42:                             ;   in Loop: Header=BB283_15 Depth=1
	s_delay_alu instid0(SALU_CYCLE_1) | instskip(NEXT) | instid1(SALU_CYCLE_1)
	s_or_b32 exec_lo, exec_lo, s16
	s_mov_b32 s16, exec_lo
	v_cmpx_lt_u32_e32 0xffffff, v4
	s_cbranch_execz .LBB283_50
; %bb.43:                               ;   in Loop: Header=BB283_15 Depth=1
	v_lshrrev_b32_e32 v24, 24, v4
	v_bfrev_b32_e32 v50, 1
	s_mov_b32 s17, exec_lo
	s_delay_alu instid0(VALU_DEP_2)
	v_cmpx_ne_u32_e32 0x80, v24
	s_cbranch_execz .LBB283_49
; %bb.44:                               ;   in Loop: Header=BB283_15 Depth=1
	v_and_b32_e32 v6, 0x7f, v24
	v_mov_b32_e32 v50, 0x7c010000
	s_mov_b32 s18, exec_lo
	s_delay_alu instid0(VALU_DEP_2)
	v_cmpx_ne_u32_e32 0x7f, v6
	s_cbranch_execz .LBB283_48
; %bb.45:                               ;   in Loop: Header=BB283_15 Depth=1
	v_dual_lshrrev_b32 v1, 3, v6 :: v_dual_bitop2_b32 v0, 7, v24 bitop3:0x40
	s_mov_b32 s19, exec_lo
	v_cmpx_gt_u32_e32 8, v6
; %bb.46:                               ;   in Loop: Header=BB283_15 Depth=1
	s_delay_alu instid0(VALU_DEP_2) | instskip(NEXT) | instid1(VALU_DEP_1)
	v_clz_i32_u32_e32 v0, v0
	v_min_u32_e32 v6, 32, v0
	s_delay_alu instid0(VALU_DEP_1) | instskip(NEXT) | instid1(VALU_DEP_1)
	v_subrev_nc_u32_e32 v0, 28, v6
	v_lshlrev_b64_e32 v[0:1], v0, v[24:25]
	s_delay_alu instid0(VALU_DEP_1)
	v_dual_sub_nc_u32 v1, 29, v6 :: v_dual_bitop2_b32 v0, 7, v0 bitop3:0x40
; %bb.47:                               ;   in Loop: Header=BB283_15 Depth=1
	s_or_b32 exec_lo, exec_lo, s19
	v_lshlrev_b32_e32 v6, 8, v24
	s_delay_alu instid0(VALU_DEP_2) | instskip(NEXT) | instid1(VALU_DEP_3)
	v_lshl_add_u32 v1, v1, 10, 0x2000
	v_lshlrev_b32_e32 v0, 23, v0
	s_delay_alu instid0(VALU_DEP_2) | instskip(NEXT) | instid1(VALU_DEP_1)
	v_and_or_b32 v1, 0x8000, v6, v1
	v_lshl_or_b32 v50, v1, 16, v0
.LBB283_48:                             ;   in Loop: Header=BB283_15 Depth=1
	s_or_b32 exec_lo, exec_lo, s18
.LBB283_49:                             ;   in Loop: Header=BB283_15 Depth=1
	s_delay_alu instid0(SALU_CYCLE_1)
	s_or_b32 exec_lo, exec_lo, s17
.LBB283_50:                             ;   in Loop: Header=BB283_15 Depth=1
	s_delay_alu instid0(SALU_CYCLE_1) | instskip(SKIP_4) | instid1(VALU_DEP_3)
	s_or_b32 exec_lo, exec_lo, s16
	v_and_b32_e32 v0, 0xff, v5
	v_dual_mov_b32 v24, v5 :: v_dual_mov_b32 v49, 0
	v_mov_b32_e32 v39, 0
	s_mov_b32 s16, exec_lo
	v_cmpx_ne_u16_e32 0, v0
	s_cbranch_execz .LBB283_58
; %bb.51:                               ;   in Loop: Header=BB283_15 Depth=1
	v_mov_b32_e32 v39, 0x8000
	s_mov_b32 s17, exec_lo
	v_cmpx_ne_u16_e32 0x80, v0
	s_cbranch_execz .LBB283_57
; %bb.52:                               ;   in Loop: Header=BB283_15 Depth=1
	v_and_b32_e32 v6, 0x7f, v5
	v_mov_b32_e32 v39, 0x7c01
	s_mov_b32 s18, exec_lo
	s_delay_alu instid0(VALU_DEP_2)
	v_cmpx_ne_u32_e32 0x7f, v6
	s_cbranch_execz .LBB283_56
; %bb.53:                               ;   in Loop: Header=BB283_15 Depth=1
	v_dual_lshrrev_b32 v1, 3, v6 :: v_dual_bitop2_b32 v0, 7, v5 bitop3:0x40
	s_mov_b32 s19, exec_lo
	v_cmpx_gt_u32_e32 8, v6
; %bb.54:                               ;   in Loop: Header=BB283_15 Depth=1
	s_delay_alu instid0(VALU_DEP_2) | instskip(NEXT) | instid1(VALU_DEP_1)
	v_clz_i32_u32_e32 v0, v0
	v_min_u32_e32 v6, 32, v0
	s_delay_alu instid0(VALU_DEP_1) | instskip(NEXT) | instid1(VALU_DEP_1)
	v_subrev_nc_u32_e32 v0, 28, v6
	v_lshlrev_b64_e32 v[0:1], v0, v[24:25]
	s_delay_alu instid0(VALU_DEP_1)
	v_dual_sub_nc_u32 v1, 29, v6 :: v_dual_bitop2_b32 v0, 7, v0 bitop3:0x40
; %bb.55:                               ;   in Loop: Header=BB283_15 Depth=1
	s_or_b32 exec_lo, exec_lo, s19
	s_delay_alu instid0(VALU_DEP_1) | instskip(NEXT) | instid1(VALU_DEP_2)
	v_dual_lshlrev_b32 v6, 8, v5 :: v_dual_lshlrev_b32 v0, 7, v0
	v_lshl_add_u32 v1, v1, 10, 0x2000
	s_delay_alu instid0(VALU_DEP_2) | instskip(NEXT) | instid1(VALU_DEP_2)
	v_and_b32_e32 v6, 0x8000, v6
	v_and_b32_e32 v1, 0xfc00, v1
	s_delay_alu instid0(VALU_DEP_1)
	v_or3_b32 v39, v6, v1, v0
.LBB283_56:                             ;   in Loop: Header=BB283_15 Depth=1
	s_or_b32 exec_lo, exec_lo, s18
.LBB283_57:                             ;   in Loop: Header=BB283_15 Depth=1
	s_delay_alu instid0(SALU_CYCLE_1)
	s_or_b32 exec_lo, exec_lo, s17
.LBB283_58:                             ;   in Loop: Header=BB283_15 Depth=1
	s_delay_alu instid0(SALU_CYCLE_1) | instskip(SKIP_3) | instid1(VALU_DEP_2)
	s_or_b32 exec_lo, exec_lo, s16
	v_lshrrev_b16 v24, 8, v24
	v_mov_b32_e32 v54, 0
	s_mov_b32 s16, exec_lo
	v_cmpx_ne_u16_e32 0, v24
	s_cbranch_execz .LBB283_66
; %bb.59:                               ;   in Loop: Header=BB283_15 Depth=1
	v_bfrev_b32_e32 v54, 1
	s_mov_b32 s17, exec_lo
	v_cmpx_ne_u16_e32 0x80, v24
	s_cbranch_execz .LBB283_65
; %bb.60:                               ;   in Loop: Header=BB283_15 Depth=1
	v_and_b32_e32 v0, 0xffff, v24
	v_mov_b32_e32 v54, 0x7c010000
	s_mov_b32 s18, exec_lo
	s_delay_alu instid0(VALU_DEP_2) | instskip(NEXT) | instid1(VALU_DEP_1)
	v_and_b32_e32 v8, 0x7f, v0
	v_cmpx_ne_u32_e32 0x7f, v8
	s_cbranch_execz .LBB283_64
; %bb.61:                               ;   in Loop: Header=BB283_15 Depth=1
	v_and_b32_e32 v1, 7, v0
	v_lshrrev_b32_e32 v6, 3, v8
	s_mov_b32 s19, exec_lo
	v_cmpx_gt_u32_e32 8, v8
; %bb.62:                               ;   in Loop: Header=BB283_15 Depth=1
	s_delay_alu instid0(VALU_DEP_3) | instskip(NEXT) | instid1(VALU_DEP_1)
	v_clz_i32_u32_e32 v1, v1
	v_min_u32_e32 v1, 32, v1
	s_delay_alu instid0(VALU_DEP_1) | instskip(NEXT) | instid1(VALU_DEP_1)
	v_subrev_nc_u32_e32 v6, 28, v1
	v_lshlrev_b64_e32 v[8:9], v6, v[24:25]
	s_delay_alu instid0(VALU_DEP_1)
	v_dual_sub_nc_u32 v6, 29, v1 :: v_dual_bitop2_b32 v1, 7, v8 bitop3:0x40
; %bb.63:                               ;   in Loop: Header=BB283_15 Depth=1
	s_or_b32 exec_lo, exec_lo, s19
	s_delay_alu instid0(VALU_DEP_1) | instskip(NEXT) | instid1(VALU_DEP_2)
	v_dual_lshlrev_b32 v0, 8, v0 :: v_dual_lshlrev_b32 v1, 23, v1
	v_lshl_add_u32 v6, v6, 10, 0x2000
	s_delay_alu instid0(VALU_DEP_1) | instskip(NEXT) | instid1(VALU_DEP_1)
	v_and_or_b32 v0, 0x8000, v0, v6
	v_lshl_or_b32 v54, v0, 16, v1
.LBB283_64:                             ;   in Loop: Header=BB283_15 Depth=1
	s_or_b32 exec_lo, exec_lo, s18
.LBB283_65:                             ;   in Loop: Header=BB283_15 Depth=1
	s_delay_alu instid0(SALU_CYCLE_1)
	s_or_b32 exec_lo, exec_lo, s17
.LBB283_66:                             ;   in Loop: Header=BB283_15 Depth=1
	s_delay_alu instid0(SALU_CYCLE_1) | instskip(SKIP_2) | instid1(VALU_DEP_1)
	s_or_b32 exec_lo, exec_lo, s16
	v_lshrrev_b32_e32 v0, 16, v5
	s_mov_b32 s16, exec_lo
	v_and_b32_e32 v1, 0xff, v0
	s_delay_alu instid0(VALU_DEP_1)
	v_cmpx_ne_u16_e32 0, v1
	s_cbranch_execz .LBB283_74
; %bb.67:                               ;   in Loop: Header=BB283_15 Depth=1
	v_mov_b32_e32 v49, 0x8000
	s_mov_b32 s17, exec_lo
	v_cmpx_ne_u16_e32 0x80, v1
	s_cbranch_execz .LBB283_73
; %bb.68:                               ;   in Loop: Header=BB283_15 Depth=1
	v_bfe_u32 v8, v5, 16, 7
	v_mov_b32_e32 v49, 0x7c01
	s_mov_b32 s18, exec_lo
	s_delay_alu instid0(VALU_DEP_2)
	v_cmpx_ne_u32_e32 0x7f, v8
	s_cbranch_execz .LBB283_72
; %bb.69:                               ;   in Loop: Header=BB283_15 Depth=1
	v_and_b32_e32 v1, 7, v0
	v_lshrrev_b32_e32 v6, 3, v8
	s_mov_b32 s19, exec_lo
	v_cmpx_gt_u32_e32 8, v8
; %bb.70:                               ;   in Loop: Header=BB283_15 Depth=1
	s_delay_alu instid0(VALU_DEP_3) | instskip(NEXT) | instid1(VALU_DEP_1)
	v_clz_i32_u32_e32 v1, v1
	v_min_u32_e32 v1, 32, v1
	s_delay_alu instid0(VALU_DEP_1) | instskip(NEXT) | instid1(VALU_DEP_1)
	v_subrev_nc_u32_e32 v6, 28, v1
	v_lshlrev_b64_e32 v[8:9], v6, v[0:1]
	s_delay_alu instid0(VALU_DEP_1)
	v_dual_sub_nc_u32 v6, 29, v1 :: v_dual_bitop2_b32 v1, 7, v8 bitop3:0x40
; %bb.71:                               ;   in Loop: Header=BB283_15 Depth=1
	s_or_b32 exec_lo, exec_lo, s19
	s_delay_alu instid0(VALU_DEP_1) | instskip(NEXT) | instid1(VALU_DEP_2)
	v_dual_lshlrev_b32 v0, 8, v0 :: v_dual_lshlrev_b32 v1, 7, v1
	v_lshl_add_u32 v6, v6, 10, 0x2000
	s_delay_alu instid0(VALU_DEP_2) | instskip(NEXT) | instid1(VALU_DEP_2)
	v_and_b32_e32 v0, 0x8000, v0
	v_and_b32_e32 v6, 0xfc00, v6
	s_delay_alu instid0(VALU_DEP_1)
	v_or3_b32 v49, v0, v6, v1
.LBB283_72:                             ;   in Loop: Header=BB283_15 Depth=1
	s_or_b32 exec_lo, exec_lo, s18
.LBB283_73:                             ;   in Loop: Header=BB283_15 Depth=1
	s_delay_alu instid0(SALU_CYCLE_1)
	s_or_b32 exec_lo, exec_lo, s17
.LBB283_74:                             ;   in Loop: Header=BB283_15 Depth=1
	s_delay_alu instid0(SALU_CYCLE_1)
	s_or_b32 exec_lo, exec_lo, s16
	v_dual_mov_b32 v36, 0 :: v_dual_mov_b32 v48, 0
	s_mov_b32 s16, exec_lo
	v_cmpx_lt_u64_e64 s[8:9], v[4:5]
	s_cbranch_execz .LBB283_82
; %bb.75:                               ;   in Loop: Header=BB283_15 Depth=1
	v_lshrrev_b32_e32 v24, 24, v5
	v_bfrev_b32_e32 v48, 1
	s_mov_b32 s17, exec_lo
	s_delay_alu instid0(VALU_DEP_2)
	v_cmpx_ne_u32_e32 0x80, v24
	s_cbranch_execz .LBB283_81
; %bb.76:                               ;   in Loop: Header=BB283_15 Depth=1
	v_and_b32_e32 v4, 0x7f, v24
	v_mov_b32_e32 v48, 0x7c010000
	s_mov_b32 s18, exec_lo
	s_delay_alu instid0(VALU_DEP_2)
	v_cmpx_ne_u32_e32 0x7f, v4
	s_cbranch_execz .LBB283_80
; %bb.77:                               ;   in Loop: Header=BB283_15 Depth=1
	v_and_b32_e32 v0, 7, v24
	v_lshrrev_b32_e32 v1, 3, v4
	s_mov_b32 s19, exec_lo
	v_cmpx_gt_u32_e32 8, v4
; %bb.78:                               ;   in Loop: Header=BB283_15 Depth=1
	s_delay_alu instid0(VALU_DEP_3) | instskip(NEXT) | instid1(VALU_DEP_1)
	v_clz_i32_u32_e32 v0, v0
	v_min_u32_e32 v4, 32, v0
	s_delay_alu instid0(VALU_DEP_1) | instskip(NEXT) | instid1(VALU_DEP_1)
	v_subrev_nc_u32_e32 v0, 28, v4
	v_lshlrev_b64_e32 v[0:1], v0, v[24:25]
	v_sub_nc_u32_e32 v1, 29, v4
	s_delay_alu instid0(VALU_DEP_2)
	v_and_b32_e32 v0, 7, v0
; %bb.79:                               ;   in Loop: Header=BB283_15 Depth=1
	s_or_b32 exec_lo, exec_lo, s19
	v_lshlrev_b32_e32 v4, 8, v24
	s_delay_alu instid0(VALU_DEP_3) | instskip(NEXT) | instid1(VALU_DEP_3)
	v_lshl_add_u32 v1, v1, 10, 0x2000
	v_lshlrev_b32_e32 v0, 23, v0
	s_delay_alu instid0(VALU_DEP_2) | instskip(NEXT) | instid1(VALU_DEP_1)
	v_and_or_b32 v1, 0x8000, v4, v1
	v_lshl_or_b32 v48, v1, 16, v0
.LBB283_80:                             ;   in Loop: Header=BB283_15 Depth=1
	s_or_b32 exec_lo, exec_lo, s18
.LBB283_81:                             ;   in Loop: Header=BB283_15 Depth=1
	s_delay_alu instid0(SALU_CYCLE_1)
	s_or_b32 exec_lo, exec_lo, s17
.LBB283_82:                             ;   in Loop: Header=BB283_15 Depth=1
	s_delay_alu instid0(SALU_CYCLE_1)
	s_or_b32 exec_lo, exec_lo, s16
	flat_load_b64 v[4:5], v[2:3] offset:8
	s_mov_b32 s16, exec_lo
	s_wait_loadcnt_dscnt 0x0
	v_and_b32_e32 v0, 0xff, v4
	s_wait_xcnt 0x0
	s_delay_alu instid0(VALU_DEP_1)
	v_cmpx_ne_u16_e32 0, v0
	s_cbranch_execz .LBB283_90
; %bb.83:                               ;   in Loop: Header=BB283_15 Depth=1
	v_mov_b32_e32 v36, 0x8000
	s_mov_b32 s17, exec_lo
	v_cmpx_ne_u16_e32 0x80, v0
	s_cbranch_execz .LBB283_89
; %bb.84:                               ;   in Loop: Header=BB283_15 Depth=1
	v_and_b32_e32 v6, 0x7f, v4
	v_mov_b32_e32 v36, 0x7c01
	s_mov_b32 s18, exec_lo
	s_delay_alu instid0(VALU_DEP_2)
	v_cmpx_ne_u32_e32 0x7f, v6
	s_cbranch_execz .LBB283_88
; %bb.85:                               ;   in Loop: Header=BB283_15 Depth=1
	v_dual_lshrrev_b32 v1, 3, v6 :: v_dual_bitop2_b32 v0, 7, v4 bitop3:0x40
	s_mov_b32 s19, exec_lo
	v_cmpx_gt_u32_e32 8, v6
; %bb.86:                               ;   in Loop: Header=BB283_15 Depth=1
	s_delay_alu instid0(VALU_DEP_2) | instskip(NEXT) | instid1(VALU_DEP_1)
	v_clz_i32_u32_e32 v0, v0
	v_min_u32_e32 v6, 32, v0
	s_delay_alu instid0(VALU_DEP_1) | instskip(NEXT) | instid1(VALU_DEP_1)
	v_subrev_nc_u32_e32 v0, 28, v6
	v_lshlrev_b64_e32 v[0:1], v0, v[4:5]
	s_delay_alu instid0(VALU_DEP_1)
	v_dual_sub_nc_u32 v1, 29, v6 :: v_dual_bitop2_b32 v0, 7, v0 bitop3:0x40
; %bb.87:                               ;   in Loop: Header=BB283_15 Depth=1
	s_or_b32 exec_lo, exec_lo, s19
	v_lshlrev_b32_e32 v6, 8, v4
	s_delay_alu instid0(VALU_DEP_2) | instskip(NEXT) | instid1(VALU_DEP_3)
	v_lshl_add_u32 v1, v1, 10, 0x2000
	v_lshlrev_b32_e32 v0, 7, v0
	s_delay_alu instid0(VALU_DEP_3) | instskip(NEXT) | instid1(VALU_DEP_3)
	v_and_b32_e32 v6, 0x8000, v6
	v_and_b32_e32 v1, 0xfc00, v1
	s_delay_alu instid0(VALU_DEP_1)
	v_or3_b32 v36, v6, v1, v0
.LBB283_88:                             ;   in Loop: Header=BB283_15 Depth=1
	s_or_b32 exec_lo, exec_lo, s18
.LBB283_89:                             ;   in Loop: Header=BB283_15 Depth=1
	s_delay_alu instid0(SALU_CYCLE_1)
	s_or_b32 exec_lo, exec_lo, s17
.LBB283_90:                             ;   in Loop: Header=BB283_15 Depth=1
	s_delay_alu instid0(SALU_CYCLE_1) | instskip(SKIP_3) | instid1(VALU_DEP_2)
	s_or_b32 exec_lo, exec_lo, s16
	v_lshrrev_b16 v24, 8, v4
	v_dual_mov_b32 v114, 0 :: v_dual_mov_b32 v67, 0
	s_mov_b32 s16, exec_lo
	v_cmpx_ne_u16_e32 0, v24
	s_cbranch_execz .LBB283_98
; %bb.91:                               ;   in Loop: Header=BB283_15 Depth=1
	v_bfrev_b32_e32 v67, 1
	s_mov_b32 s17, exec_lo
	v_cmpx_ne_u16_e32 0x80, v24
	s_cbranch_execz .LBB283_97
; %bb.92:                               ;   in Loop: Header=BB283_15 Depth=1
	v_and_b32_e32 v0, 0xffff, v24
	v_mov_b32_e32 v67, 0x7c010000
	s_mov_b32 s18, exec_lo
	s_delay_alu instid0(VALU_DEP_2) | instskip(NEXT) | instid1(VALU_DEP_1)
	v_and_b32_e32 v8, 0x7f, v0
	v_cmpx_ne_u32_e32 0x7f, v8
	s_cbranch_execz .LBB283_96
; %bb.93:                               ;   in Loop: Header=BB283_15 Depth=1
	v_and_b32_e32 v1, 7, v0
	v_lshrrev_b32_e32 v6, 3, v8
	s_mov_b32 s19, exec_lo
	v_cmpx_gt_u32_e32 8, v8
; %bb.94:                               ;   in Loop: Header=BB283_15 Depth=1
	s_delay_alu instid0(VALU_DEP_3) | instskip(NEXT) | instid1(VALU_DEP_1)
	v_clz_i32_u32_e32 v1, v1
	v_min_u32_e32 v1, 32, v1
	s_delay_alu instid0(VALU_DEP_1) | instskip(NEXT) | instid1(VALU_DEP_1)
	v_subrev_nc_u32_e32 v6, 28, v1
	v_lshlrev_b64_e32 v[8:9], v6, v[24:25]
	s_delay_alu instid0(VALU_DEP_1)
	v_dual_sub_nc_u32 v6, 29, v1 :: v_dual_bitop2_b32 v1, 7, v8 bitop3:0x40
; %bb.95:                               ;   in Loop: Header=BB283_15 Depth=1
	s_or_b32 exec_lo, exec_lo, s19
	s_delay_alu instid0(VALU_DEP_1) | instskip(NEXT) | instid1(VALU_DEP_2)
	v_dual_lshlrev_b32 v0, 8, v0 :: v_dual_lshlrev_b32 v1, 23, v1
	v_lshl_add_u32 v6, v6, 10, 0x2000
	s_delay_alu instid0(VALU_DEP_1) | instskip(NEXT) | instid1(VALU_DEP_1)
	v_and_or_b32 v0, 0x8000, v0, v6
	v_lshl_or_b32 v67, v0, 16, v1
.LBB283_96:                             ;   in Loop: Header=BB283_15 Depth=1
	s_or_b32 exec_lo, exec_lo, s18
.LBB283_97:                             ;   in Loop: Header=BB283_15 Depth=1
	s_delay_alu instid0(SALU_CYCLE_1)
	s_or_b32 exec_lo, exec_lo, s17
.LBB283_98:                             ;   in Loop: Header=BB283_15 Depth=1
	s_delay_alu instid0(SALU_CYCLE_1) | instskip(SKIP_2) | instid1(VALU_DEP_1)
	s_or_b32 exec_lo, exec_lo, s16
	v_lshrrev_b32_e32 v0, 16, v4
	s_mov_b32 s16, exec_lo
	v_and_b32_e32 v1, 0xff, v0
	s_delay_alu instid0(VALU_DEP_1)
	v_cmpx_ne_u16_e32 0, v1
	s_cbranch_execz .LBB283_106
; %bb.99:                               ;   in Loop: Header=BB283_15 Depth=1
	v_mov_b32_e32 v114, 0x8000
	s_mov_b32 s17, exec_lo
	v_cmpx_ne_u16_e32 0x80, v1
	s_cbranch_execz .LBB283_105
; %bb.100:                              ;   in Loop: Header=BB283_15 Depth=1
	v_bfe_u32 v8, v4, 16, 7
	v_mov_b32_e32 v114, 0x7c01
	s_mov_b32 s18, exec_lo
	s_delay_alu instid0(VALU_DEP_2)
	v_cmpx_ne_u32_e32 0x7f, v8
	s_cbranch_execz .LBB283_104
; %bb.101:                              ;   in Loop: Header=BB283_15 Depth=1
	v_and_b32_e32 v1, 7, v0
	v_lshrrev_b32_e32 v6, 3, v8
	s_mov_b32 s19, exec_lo
	v_cmpx_gt_u32_e32 8, v8
; %bb.102:                              ;   in Loop: Header=BB283_15 Depth=1
	s_delay_alu instid0(VALU_DEP_3) | instskip(NEXT) | instid1(VALU_DEP_1)
	v_clz_i32_u32_e32 v1, v1
	v_min_u32_e32 v1, 32, v1
	s_delay_alu instid0(VALU_DEP_1) | instskip(NEXT) | instid1(VALU_DEP_1)
	v_subrev_nc_u32_e32 v6, 28, v1
	v_lshlrev_b64_e32 v[8:9], v6, v[0:1]
	s_delay_alu instid0(VALU_DEP_1)
	v_dual_sub_nc_u32 v6, 29, v1 :: v_dual_bitop2_b32 v1, 7, v8 bitop3:0x40
; %bb.103:                              ;   in Loop: Header=BB283_15 Depth=1
	s_or_b32 exec_lo, exec_lo, s19
	s_delay_alu instid0(VALU_DEP_1) | instskip(NEXT) | instid1(VALU_DEP_2)
	v_dual_lshlrev_b32 v0, 8, v0 :: v_dual_lshlrev_b32 v1, 7, v1
	v_lshl_add_u32 v6, v6, 10, 0x2000
	s_delay_alu instid0(VALU_DEP_2) | instskip(NEXT) | instid1(VALU_DEP_2)
	v_and_b32_e32 v0, 0x8000, v0
	v_and_b32_e32 v6, 0xfc00, v6
	s_delay_alu instid0(VALU_DEP_1)
	v_or3_b32 v114, v0, v6, v1
.LBB283_104:                            ;   in Loop: Header=BB283_15 Depth=1
	s_or_b32 exec_lo, exec_lo, s18
.LBB283_105:                            ;   in Loop: Header=BB283_15 Depth=1
	s_delay_alu instid0(SALU_CYCLE_1)
	s_or_b32 exec_lo, exec_lo, s17
.LBB283_106:                            ;   in Loop: Header=BB283_15 Depth=1
	s_delay_alu instid0(SALU_CYCLE_1)
	s_or_b32 exec_lo, exec_lo, s16
	v_dual_mov_b32 v68, 0 :: v_dual_mov_b32 v69, 0
	s_mov_b32 s16, exec_lo
	v_cmpx_lt_u32_e32 0xffffff, v4
	s_cbranch_execz .LBB283_114
; %bb.107:                              ;   in Loop: Header=BB283_15 Depth=1
	v_lshrrev_b32_e32 v24, 24, v4
	v_bfrev_b32_e32 v69, 1
	s_mov_b32 s17, exec_lo
	s_delay_alu instid0(VALU_DEP_2)
	v_cmpx_ne_u32_e32 0x80, v24
	s_cbranch_execz .LBB283_113
; %bb.108:                              ;   in Loop: Header=BB283_15 Depth=1
	v_and_b32_e32 v6, 0x7f, v24
	v_mov_b32_e32 v69, 0x7c010000
	s_mov_b32 s18, exec_lo
	s_delay_alu instid0(VALU_DEP_2)
	v_cmpx_ne_u32_e32 0x7f, v6
	s_cbranch_execz .LBB283_112
; %bb.109:                              ;   in Loop: Header=BB283_15 Depth=1
	v_dual_lshrrev_b32 v1, 3, v6 :: v_dual_bitop2_b32 v0, 7, v24 bitop3:0x40
	s_mov_b32 s19, exec_lo
	v_cmpx_gt_u32_e32 8, v6
; %bb.110:                              ;   in Loop: Header=BB283_15 Depth=1
	s_delay_alu instid0(VALU_DEP_2) | instskip(NEXT) | instid1(VALU_DEP_1)
	v_clz_i32_u32_e32 v0, v0
	v_min_u32_e32 v6, 32, v0
	s_delay_alu instid0(VALU_DEP_1) | instskip(NEXT) | instid1(VALU_DEP_1)
	v_subrev_nc_u32_e32 v0, 28, v6
	v_lshlrev_b64_e32 v[0:1], v0, v[24:25]
	s_delay_alu instid0(VALU_DEP_1)
	v_dual_sub_nc_u32 v1, 29, v6 :: v_dual_bitop2_b32 v0, 7, v0 bitop3:0x40
; %bb.111:                              ;   in Loop: Header=BB283_15 Depth=1
	s_or_b32 exec_lo, exec_lo, s19
	v_lshlrev_b32_e32 v6, 8, v24
	s_delay_alu instid0(VALU_DEP_2) | instskip(NEXT) | instid1(VALU_DEP_3)
	v_lshl_add_u32 v1, v1, 10, 0x2000
	v_lshlrev_b32_e32 v0, 23, v0
	s_delay_alu instid0(VALU_DEP_2) | instskip(NEXT) | instid1(VALU_DEP_1)
	v_and_or_b32 v1, 0x8000, v6, v1
	v_lshl_or_b32 v69, v1, 16, v0
.LBB283_112:                            ;   in Loop: Header=BB283_15 Depth=1
	s_or_b32 exec_lo, exec_lo, s18
.LBB283_113:                            ;   in Loop: Header=BB283_15 Depth=1
	s_delay_alu instid0(SALU_CYCLE_1)
	s_or_b32 exec_lo, exec_lo, s17
.LBB283_114:                            ;   in Loop: Header=BB283_15 Depth=1
	s_delay_alu instid0(SALU_CYCLE_1) | instskip(SKIP_3) | instid1(VALU_DEP_2)
	s_or_b32 exec_lo, exec_lo, s16
	v_and_b32_e32 v0, 0xff, v5
	v_mov_b32_e32 v24, v5
	s_mov_b32 s16, exec_lo
	v_cmpx_ne_u16_e32 0, v0
	s_cbranch_execz .LBB283_122
; %bb.115:                              ;   in Loop: Header=BB283_15 Depth=1
	v_mov_b32_e32 v68, 0x8000
	s_mov_b32 s17, exec_lo
	v_cmpx_ne_u16_e32 0x80, v0
	s_cbranch_execz .LBB283_121
; %bb.116:                              ;   in Loop: Header=BB283_15 Depth=1
	v_and_b32_e32 v6, 0x7f, v5
	v_mov_b32_e32 v68, 0x7c01
	s_mov_b32 s18, exec_lo
	s_delay_alu instid0(VALU_DEP_2)
	v_cmpx_ne_u32_e32 0x7f, v6
	s_cbranch_execz .LBB283_120
; %bb.117:                              ;   in Loop: Header=BB283_15 Depth=1
	v_dual_lshrrev_b32 v1, 3, v6 :: v_dual_bitop2_b32 v0, 7, v5 bitop3:0x40
	s_mov_b32 s19, exec_lo
	v_cmpx_gt_u32_e32 8, v6
; %bb.118:                              ;   in Loop: Header=BB283_15 Depth=1
	s_delay_alu instid0(VALU_DEP_2) | instskip(NEXT) | instid1(VALU_DEP_1)
	v_clz_i32_u32_e32 v0, v0
	v_min_u32_e32 v6, 32, v0
	s_delay_alu instid0(VALU_DEP_1) | instskip(NEXT) | instid1(VALU_DEP_1)
	v_subrev_nc_u32_e32 v0, 28, v6
	v_lshlrev_b64_e32 v[0:1], v0, v[24:25]
	s_delay_alu instid0(VALU_DEP_1)
	v_dual_sub_nc_u32 v1, 29, v6 :: v_dual_bitop2_b32 v0, 7, v0 bitop3:0x40
; %bb.119:                              ;   in Loop: Header=BB283_15 Depth=1
	s_or_b32 exec_lo, exec_lo, s19
	s_delay_alu instid0(VALU_DEP_1) | instskip(NEXT) | instid1(VALU_DEP_2)
	v_dual_lshlrev_b32 v6, 8, v5 :: v_dual_lshlrev_b32 v0, 7, v0
	v_lshl_add_u32 v1, v1, 10, 0x2000
	s_delay_alu instid0(VALU_DEP_2) | instskip(NEXT) | instid1(VALU_DEP_2)
	v_and_b32_e32 v6, 0x8000, v6
	v_and_b32_e32 v1, 0xfc00, v1
	s_delay_alu instid0(VALU_DEP_1)
	v_or3_b32 v68, v6, v1, v0
.LBB283_120:                            ;   in Loop: Header=BB283_15 Depth=1
	s_or_b32 exec_lo, exec_lo, s18
.LBB283_121:                            ;   in Loop: Header=BB283_15 Depth=1
	s_delay_alu instid0(SALU_CYCLE_1)
	s_or_b32 exec_lo, exec_lo, s17
.LBB283_122:                            ;   in Loop: Header=BB283_15 Depth=1
	s_delay_alu instid0(SALU_CYCLE_1) | instskip(SKIP_3) | instid1(VALU_DEP_2)
	s_or_b32 exec_lo, exec_lo, s16
	v_lshrrev_b16 v24, 8, v24
	v_dual_mov_b32 v90, 0 :: v_dual_mov_b32 v91, 0
	s_mov_b32 s16, exec_lo
	v_cmpx_ne_u16_e32 0, v24
	s_cbranch_execz .LBB283_130
; %bb.123:                              ;   in Loop: Header=BB283_15 Depth=1
	v_bfrev_b32_e32 v91, 1
	s_mov_b32 s17, exec_lo
	v_cmpx_ne_u16_e32 0x80, v24
	s_cbranch_execz .LBB283_129
; %bb.124:                              ;   in Loop: Header=BB283_15 Depth=1
	v_and_b32_e32 v0, 0xffff, v24
	v_mov_b32_e32 v91, 0x7c010000
	s_mov_b32 s18, exec_lo
	s_delay_alu instid0(VALU_DEP_2) | instskip(NEXT) | instid1(VALU_DEP_1)
	v_and_b32_e32 v8, 0x7f, v0
	v_cmpx_ne_u32_e32 0x7f, v8
	s_cbranch_execz .LBB283_128
; %bb.125:                              ;   in Loop: Header=BB283_15 Depth=1
	v_and_b32_e32 v1, 7, v0
	v_lshrrev_b32_e32 v6, 3, v8
	s_mov_b32 s19, exec_lo
	v_cmpx_gt_u32_e32 8, v8
; %bb.126:                              ;   in Loop: Header=BB283_15 Depth=1
	s_delay_alu instid0(VALU_DEP_3) | instskip(NEXT) | instid1(VALU_DEP_1)
	v_clz_i32_u32_e32 v1, v1
	v_min_u32_e32 v1, 32, v1
	s_delay_alu instid0(VALU_DEP_1) | instskip(NEXT) | instid1(VALU_DEP_1)
	v_subrev_nc_u32_e32 v6, 28, v1
	v_lshlrev_b64_e32 v[8:9], v6, v[24:25]
	s_delay_alu instid0(VALU_DEP_1)
	v_dual_sub_nc_u32 v6, 29, v1 :: v_dual_bitop2_b32 v1, 7, v8 bitop3:0x40
; %bb.127:                              ;   in Loop: Header=BB283_15 Depth=1
	s_or_b32 exec_lo, exec_lo, s19
	s_delay_alu instid0(VALU_DEP_1) | instskip(NEXT) | instid1(VALU_DEP_2)
	v_dual_lshlrev_b32 v0, 8, v0 :: v_dual_lshlrev_b32 v1, 23, v1
	v_lshl_add_u32 v6, v6, 10, 0x2000
	s_delay_alu instid0(VALU_DEP_1) | instskip(NEXT) | instid1(VALU_DEP_1)
	v_and_or_b32 v0, 0x8000, v0, v6
	v_lshl_or_b32 v91, v0, 16, v1
.LBB283_128:                            ;   in Loop: Header=BB283_15 Depth=1
	s_or_b32 exec_lo, exec_lo, s18
.LBB283_129:                            ;   in Loop: Header=BB283_15 Depth=1
	s_delay_alu instid0(SALU_CYCLE_1)
	s_or_b32 exec_lo, exec_lo, s17
.LBB283_130:                            ;   in Loop: Header=BB283_15 Depth=1
	s_delay_alu instid0(SALU_CYCLE_1) | instskip(SKIP_2) | instid1(VALU_DEP_1)
	s_or_b32 exec_lo, exec_lo, s16
	v_lshrrev_b32_e32 v0, 16, v5
	s_mov_b32 s16, exec_lo
	v_and_b32_e32 v1, 0xff, v0
	s_delay_alu instid0(VALU_DEP_1)
	v_cmpx_ne_u16_e32 0, v1
	s_cbranch_execz .LBB283_138
; %bb.131:                              ;   in Loop: Header=BB283_15 Depth=1
	v_mov_b32_e32 v90, 0x8000
	s_mov_b32 s17, exec_lo
	v_cmpx_ne_u16_e32 0x80, v1
	s_cbranch_execz .LBB283_137
; %bb.132:                              ;   in Loop: Header=BB283_15 Depth=1
	v_bfe_u32 v8, v5, 16, 7
	v_mov_b32_e32 v90, 0x7c01
	s_mov_b32 s18, exec_lo
	s_delay_alu instid0(VALU_DEP_2)
	v_cmpx_ne_u32_e32 0x7f, v8
	s_cbranch_execz .LBB283_136
; %bb.133:                              ;   in Loop: Header=BB283_15 Depth=1
	v_and_b32_e32 v1, 7, v0
	v_lshrrev_b32_e32 v6, 3, v8
	s_mov_b32 s19, exec_lo
	v_cmpx_gt_u32_e32 8, v8
; %bb.134:                              ;   in Loop: Header=BB283_15 Depth=1
	s_delay_alu instid0(VALU_DEP_3) | instskip(NEXT) | instid1(VALU_DEP_1)
	v_clz_i32_u32_e32 v1, v1
	v_min_u32_e32 v1, 32, v1
	s_delay_alu instid0(VALU_DEP_1) | instskip(NEXT) | instid1(VALU_DEP_1)
	v_subrev_nc_u32_e32 v6, 28, v1
	v_lshlrev_b64_e32 v[8:9], v6, v[0:1]
	s_delay_alu instid0(VALU_DEP_1)
	v_dual_sub_nc_u32 v6, 29, v1 :: v_dual_bitop2_b32 v1, 7, v8 bitop3:0x40
; %bb.135:                              ;   in Loop: Header=BB283_15 Depth=1
	s_or_b32 exec_lo, exec_lo, s19
	s_delay_alu instid0(VALU_DEP_1) | instskip(NEXT) | instid1(VALU_DEP_2)
	v_dual_lshlrev_b32 v0, 8, v0 :: v_dual_lshlrev_b32 v1, 7, v1
	v_lshl_add_u32 v6, v6, 10, 0x2000
	s_delay_alu instid0(VALU_DEP_2) | instskip(NEXT) | instid1(VALU_DEP_2)
	v_and_b32_e32 v0, 0x8000, v0
	v_and_b32_e32 v6, 0xfc00, v6
	s_delay_alu instid0(VALU_DEP_1)
	v_or3_b32 v90, v0, v6, v1
.LBB283_136:                            ;   in Loop: Header=BB283_15 Depth=1
	s_or_b32 exec_lo, exec_lo, s18
.LBB283_137:                            ;   in Loop: Header=BB283_15 Depth=1
	s_delay_alu instid0(SALU_CYCLE_1)
	s_or_b32 exec_lo, exec_lo, s17
.LBB283_138:                            ;   in Loop: Header=BB283_15 Depth=1
	s_delay_alu instid0(SALU_CYCLE_1)
	s_or_b32 exec_lo, exec_lo, s16
	v_dual_mov_b32 v86, 0 :: v_dual_mov_b32 v92, 0
	s_mov_b32 s16, exec_lo
	v_cmpx_lt_u64_e64 s[8:9], v[4:5]
	s_cbranch_execz .LBB283_146
; %bb.139:                              ;   in Loop: Header=BB283_15 Depth=1
	v_lshrrev_b32_e32 v24, 24, v5
	v_bfrev_b32_e32 v92, 1
	s_mov_b32 s17, exec_lo
	s_delay_alu instid0(VALU_DEP_2)
	v_cmpx_ne_u32_e32 0x80, v24
	s_cbranch_execz .LBB283_145
; %bb.140:                              ;   in Loop: Header=BB283_15 Depth=1
	v_and_b32_e32 v4, 0x7f, v24
	v_mov_b32_e32 v92, 0x7c010000
	s_mov_b32 s18, exec_lo
	s_delay_alu instid0(VALU_DEP_2)
	v_cmpx_ne_u32_e32 0x7f, v4
	s_cbranch_execz .LBB283_144
; %bb.141:                              ;   in Loop: Header=BB283_15 Depth=1
	v_and_b32_e32 v0, 7, v24
	v_lshrrev_b32_e32 v1, 3, v4
	s_mov_b32 s19, exec_lo
	v_cmpx_gt_u32_e32 8, v4
; %bb.142:                              ;   in Loop: Header=BB283_15 Depth=1
	s_delay_alu instid0(VALU_DEP_3) | instskip(NEXT) | instid1(VALU_DEP_1)
	v_clz_i32_u32_e32 v0, v0
	v_min_u32_e32 v4, 32, v0
	s_delay_alu instid0(VALU_DEP_1) | instskip(NEXT) | instid1(VALU_DEP_1)
	v_subrev_nc_u32_e32 v0, 28, v4
	v_lshlrev_b64_e32 v[0:1], v0, v[24:25]
	v_sub_nc_u32_e32 v1, 29, v4
	s_delay_alu instid0(VALU_DEP_2)
	v_and_b32_e32 v0, 7, v0
; %bb.143:                              ;   in Loop: Header=BB283_15 Depth=1
	s_or_b32 exec_lo, exec_lo, s19
	v_lshlrev_b32_e32 v4, 8, v24
	s_delay_alu instid0(VALU_DEP_3) | instskip(NEXT) | instid1(VALU_DEP_3)
	v_lshl_add_u32 v1, v1, 10, 0x2000
	v_lshlrev_b32_e32 v0, 23, v0
	s_delay_alu instid0(VALU_DEP_2) | instskip(NEXT) | instid1(VALU_DEP_1)
	v_and_or_b32 v1, 0x8000, v4, v1
	v_lshl_or_b32 v92, v1, 16, v0
.LBB283_144:                            ;   in Loop: Header=BB283_15 Depth=1
	s_or_b32 exec_lo, exec_lo, s18
.LBB283_145:                            ;   in Loop: Header=BB283_15 Depth=1
	s_delay_alu instid0(SALU_CYCLE_1)
	s_or_b32 exec_lo, exec_lo, s17
.LBB283_146:                            ;   in Loop: Header=BB283_15 Depth=1
	s_delay_alu instid0(SALU_CYCLE_1)
	s_or_b32 exec_lo, exec_lo, s16
	flat_load_b64 v[4:5], v[2:3] offset:512
	s_mov_b32 s16, exec_lo
	s_wait_loadcnt_dscnt 0x0
	v_and_b32_e32 v0, 0xff, v4
	s_wait_xcnt 0x0
	s_delay_alu instid0(VALU_DEP_1)
	v_cmpx_ne_u16_e32 0, v0
	s_cbranch_execz .LBB283_154
; %bb.147:                              ;   in Loop: Header=BB283_15 Depth=1
	v_mov_b32_e32 v86, 0x8000
	s_mov_b32 s17, exec_lo
	v_cmpx_ne_u16_e32 0x80, v0
	s_cbranch_execz .LBB283_153
; %bb.148:                              ;   in Loop: Header=BB283_15 Depth=1
	v_and_b32_e32 v6, 0x7f, v4
	v_mov_b32_e32 v86, 0x7c01
	s_mov_b32 s18, exec_lo
	s_delay_alu instid0(VALU_DEP_2)
	v_cmpx_ne_u32_e32 0x7f, v6
	s_cbranch_execz .LBB283_152
; %bb.149:                              ;   in Loop: Header=BB283_15 Depth=1
	v_dual_lshrrev_b32 v1, 3, v6 :: v_dual_bitop2_b32 v0, 7, v4 bitop3:0x40
	s_mov_b32 s19, exec_lo
	v_cmpx_gt_u32_e32 8, v6
; %bb.150:                              ;   in Loop: Header=BB283_15 Depth=1
	s_delay_alu instid0(VALU_DEP_2) | instskip(NEXT) | instid1(VALU_DEP_1)
	v_clz_i32_u32_e32 v0, v0
	v_min_u32_e32 v6, 32, v0
	s_delay_alu instid0(VALU_DEP_1) | instskip(NEXT) | instid1(VALU_DEP_1)
	v_subrev_nc_u32_e32 v0, 28, v6
	v_lshlrev_b64_e32 v[0:1], v0, v[4:5]
	s_delay_alu instid0(VALU_DEP_1)
	v_dual_sub_nc_u32 v1, 29, v6 :: v_dual_bitop2_b32 v0, 7, v0 bitop3:0x40
; %bb.151:                              ;   in Loop: Header=BB283_15 Depth=1
	s_or_b32 exec_lo, exec_lo, s19
	v_lshlrev_b32_e32 v6, 8, v4
	s_delay_alu instid0(VALU_DEP_2) | instskip(NEXT) | instid1(VALU_DEP_3)
	v_lshl_add_u32 v1, v1, 10, 0x2000
	v_lshlrev_b32_e32 v0, 7, v0
	s_delay_alu instid0(VALU_DEP_3) | instskip(NEXT) | instid1(VALU_DEP_3)
	v_and_b32_e32 v6, 0x8000, v6
	v_and_b32_e32 v1, 0xfc00, v1
	s_delay_alu instid0(VALU_DEP_1)
	v_or3_b32 v86, v6, v1, v0
.LBB283_152:                            ;   in Loop: Header=BB283_15 Depth=1
	s_or_b32 exec_lo, exec_lo, s18
.LBB283_153:                            ;   in Loop: Header=BB283_15 Depth=1
	s_delay_alu instid0(SALU_CYCLE_1)
	s_or_b32 exec_lo, exec_lo, s17
.LBB283_154:                            ;   in Loop: Header=BB283_15 Depth=1
	s_delay_alu instid0(SALU_CYCLE_1) | instskip(SKIP_3) | instid1(VALU_DEP_2)
	s_or_b32 exec_lo, exec_lo, s16
	v_lshrrev_b16 v24, 8, v4
	v_dual_mov_b32 v97, 0 :: v_dual_mov_b32 v93, 0
	s_mov_b32 s16, exec_lo
	v_cmpx_ne_u16_e32 0, v24
	s_cbranch_execz .LBB283_162
; %bb.155:                              ;   in Loop: Header=BB283_15 Depth=1
	v_bfrev_b32_e32 v93, 1
	s_mov_b32 s17, exec_lo
	v_cmpx_ne_u16_e32 0x80, v24
	s_cbranch_execz .LBB283_161
; %bb.156:                              ;   in Loop: Header=BB283_15 Depth=1
	v_and_b32_e32 v0, 0xffff, v24
	v_mov_b32_e32 v93, 0x7c010000
	s_mov_b32 s18, exec_lo
	s_delay_alu instid0(VALU_DEP_2) | instskip(NEXT) | instid1(VALU_DEP_1)
	v_and_b32_e32 v8, 0x7f, v0
	v_cmpx_ne_u32_e32 0x7f, v8
	s_cbranch_execz .LBB283_160
; %bb.157:                              ;   in Loop: Header=BB283_15 Depth=1
	v_and_b32_e32 v1, 7, v0
	v_lshrrev_b32_e32 v6, 3, v8
	s_mov_b32 s19, exec_lo
	v_cmpx_gt_u32_e32 8, v8
; %bb.158:                              ;   in Loop: Header=BB283_15 Depth=1
	s_delay_alu instid0(VALU_DEP_3) | instskip(NEXT) | instid1(VALU_DEP_1)
	v_clz_i32_u32_e32 v1, v1
	v_min_u32_e32 v1, 32, v1
	s_delay_alu instid0(VALU_DEP_1) | instskip(NEXT) | instid1(VALU_DEP_1)
	v_subrev_nc_u32_e32 v6, 28, v1
	v_lshlrev_b64_e32 v[8:9], v6, v[24:25]
	s_delay_alu instid0(VALU_DEP_1)
	v_dual_sub_nc_u32 v6, 29, v1 :: v_dual_bitop2_b32 v1, 7, v8 bitop3:0x40
; %bb.159:                              ;   in Loop: Header=BB283_15 Depth=1
	s_or_b32 exec_lo, exec_lo, s19
	s_delay_alu instid0(VALU_DEP_1) | instskip(NEXT) | instid1(VALU_DEP_2)
	v_dual_lshlrev_b32 v0, 8, v0 :: v_dual_lshlrev_b32 v1, 23, v1
	v_lshl_add_u32 v6, v6, 10, 0x2000
	s_delay_alu instid0(VALU_DEP_1) | instskip(NEXT) | instid1(VALU_DEP_1)
	v_and_or_b32 v0, 0x8000, v0, v6
	v_lshl_or_b32 v93, v0, 16, v1
.LBB283_160:                            ;   in Loop: Header=BB283_15 Depth=1
	s_or_b32 exec_lo, exec_lo, s18
.LBB283_161:                            ;   in Loop: Header=BB283_15 Depth=1
	s_delay_alu instid0(SALU_CYCLE_1)
	s_or_b32 exec_lo, exec_lo, s17
.LBB283_162:                            ;   in Loop: Header=BB283_15 Depth=1
	s_delay_alu instid0(SALU_CYCLE_1) | instskip(SKIP_2) | instid1(VALU_DEP_1)
	s_or_b32 exec_lo, exec_lo, s16
	v_lshrrev_b32_e32 v0, 16, v4
	s_mov_b32 s16, exec_lo
	v_and_b32_e32 v1, 0xff, v0
	s_delay_alu instid0(VALU_DEP_1)
	v_cmpx_ne_u16_e32 0, v1
	s_cbranch_execz .LBB283_170
; %bb.163:                              ;   in Loop: Header=BB283_15 Depth=1
	v_mov_b32_e32 v97, 0x8000
	s_mov_b32 s17, exec_lo
	v_cmpx_ne_u16_e32 0x80, v1
	s_cbranch_execz .LBB283_169
; %bb.164:                              ;   in Loop: Header=BB283_15 Depth=1
	v_bfe_u32 v8, v4, 16, 7
	v_mov_b32_e32 v97, 0x7c01
	s_mov_b32 s18, exec_lo
	s_delay_alu instid0(VALU_DEP_2)
	v_cmpx_ne_u32_e32 0x7f, v8
	s_cbranch_execz .LBB283_168
; %bb.165:                              ;   in Loop: Header=BB283_15 Depth=1
	v_and_b32_e32 v1, 7, v0
	v_lshrrev_b32_e32 v6, 3, v8
	s_mov_b32 s19, exec_lo
	v_cmpx_gt_u32_e32 8, v8
; %bb.166:                              ;   in Loop: Header=BB283_15 Depth=1
	s_delay_alu instid0(VALU_DEP_3) | instskip(NEXT) | instid1(VALU_DEP_1)
	v_clz_i32_u32_e32 v1, v1
	v_min_u32_e32 v1, 32, v1
	s_delay_alu instid0(VALU_DEP_1) | instskip(NEXT) | instid1(VALU_DEP_1)
	v_subrev_nc_u32_e32 v6, 28, v1
	v_lshlrev_b64_e32 v[8:9], v6, v[0:1]
	s_delay_alu instid0(VALU_DEP_1)
	v_dual_sub_nc_u32 v6, 29, v1 :: v_dual_bitop2_b32 v1, 7, v8 bitop3:0x40
; %bb.167:                              ;   in Loop: Header=BB283_15 Depth=1
	s_or_b32 exec_lo, exec_lo, s19
	s_delay_alu instid0(VALU_DEP_1) | instskip(NEXT) | instid1(VALU_DEP_2)
	v_dual_lshlrev_b32 v0, 8, v0 :: v_dual_lshlrev_b32 v1, 7, v1
	v_lshl_add_u32 v6, v6, 10, 0x2000
	s_delay_alu instid0(VALU_DEP_2) | instskip(NEXT) | instid1(VALU_DEP_2)
	v_and_b32_e32 v0, 0x8000, v0
	v_and_b32_e32 v6, 0xfc00, v6
	s_delay_alu instid0(VALU_DEP_1)
	v_or3_b32 v97, v0, v6, v1
.LBB283_168:                            ;   in Loop: Header=BB283_15 Depth=1
	s_or_b32 exec_lo, exec_lo, s18
.LBB283_169:                            ;   in Loop: Header=BB283_15 Depth=1
	s_delay_alu instid0(SALU_CYCLE_1)
	s_or_b32 exec_lo, exec_lo, s17
.LBB283_170:                            ;   in Loop: Header=BB283_15 Depth=1
	s_delay_alu instid0(SALU_CYCLE_1)
	s_or_b32 exec_lo, exec_lo, s16
	v_dual_mov_b32 v101, 0 :: v_dual_mov_b32 v85, 0
	s_mov_b32 s16, exec_lo
	v_cmpx_lt_u32_e32 0xffffff, v4
	s_cbranch_execz .LBB283_178
; %bb.171:                              ;   in Loop: Header=BB283_15 Depth=1
	v_lshrrev_b32_e32 v24, 24, v4
	v_bfrev_b32_e32 v85, 1
	s_mov_b32 s17, exec_lo
	s_delay_alu instid0(VALU_DEP_2)
	v_cmpx_ne_u32_e32 0x80, v24
	s_cbranch_execz .LBB283_177
; %bb.172:                              ;   in Loop: Header=BB283_15 Depth=1
	v_and_b32_e32 v6, 0x7f, v24
	v_mov_b32_e32 v85, 0x7c010000
	s_mov_b32 s18, exec_lo
	s_delay_alu instid0(VALU_DEP_2)
	v_cmpx_ne_u32_e32 0x7f, v6
	s_cbranch_execz .LBB283_176
; %bb.173:                              ;   in Loop: Header=BB283_15 Depth=1
	v_dual_lshrrev_b32 v1, 3, v6 :: v_dual_bitop2_b32 v0, 7, v24 bitop3:0x40
	s_mov_b32 s19, exec_lo
	v_cmpx_gt_u32_e32 8, v6
; %bb.174:                              ;   in Loop: Header=BB283_15 Depth=1
	s_delay_alu instid0(VALU_DEP_2) | instskip(NEXT) | instid1(VALU_DEP_1)
	v_clz_i32_u32_e32 v0, v0
	v_min_u32_e32 v6, 32, v0
	s_delay_alu instid0(VALU_DEP_1) | instskip(NEXT) | instid1(VALU_DEP_1)
	v_subrev_nc_u32_e32 v0, 28, v6
	v_lshlrev_b64_e32 v[0:1], v0, v[24:25]
	s_delay_alu instid0(VALU_DEP_1)
	v_dual_sub_nc_u32 v1, 29, v6 :: v_dual_bitop2_b32 v0, 7, v0 bitop3:0x40
; %bb.175:                              ;   in Loop: Header=BB283_15 Depth=1
	s_or_b32 exec_lo, exec_lo, s19
	v_lshlrev_b32_e32 v6, 8, v24
	s_delay_alu instid0(VALU_DEP_2) | instskip(NEXT) | instid1(VALU_DEP_3)
	v_lshl_add_u32 v1, v1, 10, 0x2000
	v_lshlrev_b32_e32 v0, 23, v0
	s_delay_alu instid0(VALU_DEP_2) | instskip(NEXT) | instid1(VALU_DEP_1)
	v_and_or_b32 v1, 0x8000, v6, v1
	v_lshl_or_b32 v85, v1, 16, v0
.LBB283_176:                            ;   in Loop: Header=BB283_15 Depth=1
	s_or_b32 exec_lo, exec_lo, s18
.LBB283_177:                            ;   in Loop: Header=BB283_15 Depth=1
	s_delay_alu instid0(SALU_CYCLE_1)
	s_or_b32 exec_lo, exec_lo, s17
.LBB283_178:                            ;   in Loop: Header=BB283_15 Depth=1
	s_delay_alu instid0(SALU_CYCLE_1) | instskip(SKIP_3) | instid1(VALU_DEP_2)
	s_or_b32 exec_lo, exec_lo, s16
	v_and_b32_e32 v0, 0xff, v5
	v_mov_b32_e32 v24, v5
	s_mov_b32 s16, exec_lo
	v_cmpx_ne_u16_e32 0, v0
	s_cbranch_execz .LBB283_186
; %bb.179:                              ;   in Loop: Header=BB283_15 Depth=1
	v_mov_b32_e32 v101, 0x8000
	s_mov_b32 s17, exec_lo
	v_cmpx_ne_u16_e32 0x80, v0
	s_cbranch_execz .LBB283_185
; %bb.180:                              ;   in Loop: Header=BB283_15 Depth=1
	v_and_b32_e32 v6, 0x7f, v5
	v_mov_b32_e32 v101, 0x7c01
	s_mov_b32 s18, exec_lo
	s_delay_alu instid0(VALU_DEP_2)
	v_cmpx_ne_u32_e32 0x7f, v6
	s_cbranch_execz .LBB283_184
; %bb.181:                              ;   in Loop: Header=BB283_15 Depth=1
	v_dual_lshrrev_b32 v1, 3, v6 :: v_dual_bitop2_b32 v0, 7, v5 bitop3:0x40
	s_mov_b32 s19, exec_lo
	v_cmpx_gt_u32_e32 8, v6
; %bb.182:                              ;   in Loop: Header=BB283_15 Depth=1
	s_delay_alu instid0(VALU_DEP_2) | instskip(NEXT) | instid1(VALU_DEP_1)
	v_clz_i32_u32_e32 v0, v0
	v_min_u32_e32 v6, 32, v0
	s_delay_alu instid0(VALU_DEP_1) | instskip(NEXT) | instid1(VALU_DEP_1)
	v_subrev_nc_u32_e32 v0, 28, v6
	v_lshlrev_b64_e32 v[0:1], v0, v[24:25]
	s_delay_alu instid0(VALU_DEP_1)
	v_dual_sub_nc_u32 v1, 29, v6 :: v_dual_bitop2_b32 v0, 7, v0 bitop3:0x40
; %bb.183:                              ;   in Loop: Header=BB283_15 Depth=1
	s_or_b32 exec_lo, exec_lo, s19
	s_delay_alu instid0(VALU_DEP_1) | instskip(NEXT) | instid1(VALU_DEP_2)
	v_dual_lshlrev_b32 v6, 8, v5 :: v_dual_lshlrev_b32 v0, 7, v0
	v_lshl_add_u32 v1, v1, 10, 0x2000
	s_delay_alu instid0(VALU_DEP_2) | instskip(NEXT) | instid1(VALU_DEP_2)
	v_and_b32_e32 v6, 0x8000, v6
	v_and_b32_e32 v1, 0xfc00, v1
	s_delay_alu instid0(VALU_DEP_1)
	v_or3_b32 v101, v6, v1, v0
.LBB283_184:                            ;   in Loop: Header=BB283_15 Depth=1
	s_or_b32 exec_lo, exec_lo, s18
.LBB283_185:                            ;   in Loop: Header=BB283_15 Depth=1
	s_delay_alu instid0(SALU_CYCLE_1)
	s_or_b32 exec_lo, exec_lo, s17
.LBB283_186:                            ;   in Loop: Header=BB283_15 Depth=1
	s_delay_alu instid0(SALU_CYCLE_1) | instskip(SKIP_3) | instid1(VALU_DEP_2)
	s_or_b32 exec_lo, exec_lo, s16
	v_lshrrev_b16 v24, 8, v24
	v_dual_mov_b32 v29, 0 :: v_dual_mov_b32 v87, 0
	s_mov_b32 s16, exec_lo
	v_cmpx_ne_u16_e32 0, v24
	s_cbranch_execz .LBB283_194
; %bb.187:                              ;   in Loop: Header=BB283_15 Depth=1
	v_bfrev_b32_e32 v87, 1
	s_mov_b32 s17, exec_lo
	v_cmpx_ne_u16_e32 0x80, v24
	s_cbranch_execz .LBB283_193
; %bb.188:                              ;   in Loop: Header=BB283_15 Depth=1
	v_and_b32_e32 v0, 0xffff, v24
	v_mov_b32_e32 v87, 0x7c010000
	s_mov_b32 s18, exec_lo
	s_delay_alu instid0(VALU_DEP_2) | instskip(NEXT) | instid1(VALU_DEP_1)
	v_and_b32_e32 v8, 0x7f, v0
	v_cmpx_ne_u32_e32 0x7f, v8
	s_cbranch_execz .LBB283_192
; %bb.189:                              ;   in Loop: Header=BB283_15 Depth=1
	v_and_b32_e32 v1, 7, v0
	v_lshrrev_b32_e32 v6, 3, v8
	s_mov_b32 s19, exec_lo
	v_cmpx_gt_u32_e32 8, v8
; %bb.190:                              ;   in Loop: Header=BB283_15 Depth=1
	s_delay_alu instid0(VALU_DEP_3) | instskip(NEXT) | instid1(VALU_DEP_1)
	v_clz_i32_u32_e32 v1, v1
	v_min_u32_e32 v1, 32, v1
	s_delay_alu instid0(VALU_DEP_1) | instskip(NEXT) | instid1(VALU_DEP_1)
	v_subrev_nc_u32_e32 v6, 28, v1
	v_lshlrev_b64_e32 v[8:9], v6, v[24:25]
	s_delay_alu instid0(VALU_DEP_1)
	v_dual_sub_nc_u32 v6, 29, v1 :: v_dual_bitop2_b32 v1, 7, v8 bitop3:0x40
; %bb.191:                              ;   in Loop: Header=BB283_15 Depth=1
	s_or_b32 exec_lo, exec_lo, s19
	s_delay_alu instid0(VALU_DEP_1) | instskip(NEXT) | instid1(VALU_DEP_2)
	v_dual_lshlrev_b32 v0, 8, v0 :: v_dual_lshlrev_b32 v1, 23, v1
	v_lshl_add_u32 v6, v6, 10, 0x2000
	s_delay_alu instid0(VALU_DEP_1) | instskip(NEXT) | instid1(VALU_DEP_1)
	v_and_or_b32 v0, 0x8000, v0, v6
	v_lshl_or_b32 v87, v0, 16, v1
.LBB283_192:                            ;   in Loop: Header=BB283_15 Depth=1
	s_or_b32 exec_lo, exec_lo, s18
.LBB283_193:                            ;   in Loop: Header=BB283_15 Depth=1
	s_delay_alu instid0(SALU_CYCLE_1)
	s_or_b32 exec_lo, exec_lo, s17
.LBB283_194:                            ;   in Loop: Header=BB283_15 Depth=1
	s_delay_alu instid0(SALU_CYCLE_1) | instskip(SKIP_2) | instid1(VALU_DEP_1)
	s_or_b32 exec_lo, exec_lo, s16
	v_lshrrev_b32_e32 v0, 16, v5
	s_mov_b32 s16, exec_lo
	v_and_b32_e32 v1, 0xff, v0
	s_delay_alu instid0(VALU_DEP_1)
	v_cmpx_ne_u16_e32 0, v1
	s_cbranch_execz .LBB283_202
; %bb.195:                              ;   in Loop: Header=BB283_15 Depth=1
	v_mov_b32_e32 v29, 0x8000
	s_mov_b32 s17, exec_lo
	v_cmpx_ne_u16_e32 0x80, v1
	s_cbranch_execz .LBB283_201
; %bb.196:                              ;   in Loop: Header=BB283_15 Depth=1
	v_bfe_u32 v8, v5, 16, 7
	v_mov_b32_e32 v29, 0x7c01
	s_mov_b32 s18, exec_lo
	s_delay_alu instid0(VALU_DEP_2)
	v_cmpx_ne_u32_e32 0x7f, v8
	s_cbranch_execz .LBB283_200
; %bb.197:                              ;   in Loop: Header=BB283_15 Depth=1
	v_and_b32_e32 v1, 7, v0
	v_lshrrev_b32_e32 v6, 3, v8
	s_mov_b32 s19, exec_lo
	v_cmpx_gt_u32_e32 8, v8
; %bb.198:                              ;   in Loop: Header=BB283_15 Depth=1
	s_delay_alu instid0(VALU_DEP_3) | instskip(NEXT) | instid1(VALU_DEP_1)
	v_clz_i32_u32_e32 v1, v1
	v_min_u32_e32 v1, 32, v1
	s_delay_alu instid0(VALU_DEP_1) | instskip(NEXT) | instid1(VALU_DEP_1)
	v_subrev_nc_u32_e32 v6, 28, v1
	v_lshlrev_b64_e32 v[8:9], v6, v[0:1]
	s_delay_alu instid0(VALU_DEP_1)
	v_dual_sub_nc_u32 v6, 29, v1 :: v_dual_bitop2_b32 v1, 7, v8 bitop3:0x40
; %bb.199:                              ;   in Loop: Header=BB283_15 Depth=1
	s_or_b32 exec_lo, exec_lo, s19
	s_delay_alu instid0(VALU_DEP_1) | instskip(NEXT) | instid1(VALU_DEP_2)
	v_dual_lshlrev_b32 v0, 8, v0 :: v_dual_lshlrev_b32 v1, 7, v1
	v_lshl_add_u32 v6, v6, 10, 0x2000
	s_delay_alu instid0(VALU_DEP_2) | instskip(NEXT) | instid1(VALU_DEP_2)
	v_and_b32_e32 v0, 0x8000, v0
	v_and_b32_e32 v6, 0xfc00, v6
	s_delay_alu instid0(VALU_DEP_1)
	v_or3_b32 v29, v0, v6, v1
.LBB283_200:                            ;   in Loop: Header=BB283_15 Depth=1
	s_or_b32 exec_lo, exec_lo, s18
.LBB283_201:                            ;   in Loop: Header=BB283_15 Depth=1
	s_delay_alu instid0(SALU_CYCLE_1)
	s_or_b32 exec_lo, exec_lo, s17
.LBB283_202:                            ;   in Loop: Header=BB283_15 Depth=1
	s_delay_alu instid0(SALU_CYCLE_1)
	s_or_b32 exec_lo, exec_lo, s16
	v_dual_mov_b32 v18, 0 :: v_dual_mov_b32 v108, 0
	s_mov_b32 s16, exec_lo
	v_cmpx_lt_u64_e64 s[8:9], v[4:5]
	s_cbranch_execz .LBB283_210
; %bb.203:                              ;   in Loop: Header=BB283_15 Depth=1
	v_lshrrev_b32_e32 v24, 24, v5
	v_bfrev_b32_e32 v108, 1
	s_mov_b32 s17, exec_lo
	s_delay_alu instid0(VALU_DEP_2)
	v_cmpx_ne_u32_e32 0x80, v24
	s_cbranch_execz .LBB283_209
; %bb.204:                              ;   in Loop: Header=BB283_15 Depth=1
	v_and_b32_e32 v4, 0x7f, v24
	v_mov_b32_e32 v108, 0x7c010000
	s_mov_b32 s18, exec_lo
	s_delay_alu instid0(VALU_DEP_2)
	v_cmpx_ne_u32_e32 0x7f, v4
	s_cbranch_execz .LBB283_208
; %bb.205:                              ;   in Loop: Header=BB283_15 Depth=1
	v_and_b32_e32 v0, 7, v24
	v_lshrrev_b32_e32 v1, 3, v4
	s_mov_b32 s19, exec_lo
	v_cmpx_gt_u32_e32 8, v4
; %bb.206:                              ;   in Loop: Header=BB283_15 Depth=1
	s_delay_alu instid0(VALU_DEP_3) | instskip(NEXT) | instid1(VALU_DEP_1)
	v_clz_i32_u32_e32 v0, v0
	v_min_u32_e32 v4, 32, v0
	s_delay_alu instid0(VALU_DEP_1) | instskip(NEXT) | instid1(VALU_DEP_1)
	v_subrev_nc_u32_e32 v0, 28, v4
	v_lshlrev_b64_e32 v[0:1], v0, v[24:25]
	v_sub_nc_u32_e32 v1, 29, v4
	s_delay_alu instid0(VALU_DEP_2)
	v_and_b32_e32 v0, 7, v0
; %bb.207:                              ;   in Loop: Header=BB283_15 Depth=1
	s_or_b32 exec_lo, exec_lo, s19
	v_lshlrev_b32_e32 v4, 8, v24
	s_delay_alu instid0(VALU_DEP_3) | instskip(NEXT) | instid1(VALU_DEP_3)
	v_lshl_add_u32 v1, v1, 10, 0x2000
	v_lshlrev_b32_e32 v0, 23, v0
	s_delay_alu instid0(VALU_DEP_2) | instskip(NEXT) | instid1(VALU_DEP_1)
	v_and_or_b32 v1, 0x8000, v4, v1
	v_lshl_or_b32 v108, v1, 16, v0
.LBB283_208:                            ;   in Loop: Header=BB283_15 Depth=1
	s_or_b32 exec_lo, exec_lo, s18
.LBB283_209:                            ;   in Loop: Header=BB283_15 Depth=1
	s_delay_alu instid0(SALU_CYCLE_1)
	s_or_b32 exec_lo, exec_lo, s17
.LBB283_210:                            ;   in Loop: Header=BB283_15 Depth=1
	s_delay_alu instid0(SALU_CYCLE_1)
	s_or_b32 exec_lo, exec_lo, s16
	flat_load_b64 v[4:5], v[2:3] offset:520
	s_mov_b32 s16, exec_lo
	s_wait_loadcnt_dscnt 0x0
	v_and_b32_e32 v0, 0xff, v4
	s_wait_xcnt 0x0
	s_delay_alu instid0(VALU_DEP_1)
	v_cmpx_ne_u16_e32 0, v0
	s_cbranch_execz .LBB283_218
; %bb.211:                              ;   in Loop: Header=BB283_15 Depth=1
	v_mov_b32_e32 v18, 0x8000
	s_mov_b32 s17, exec_lo
	v_cmpx_ne_u16_e32 0x80, v0
	s_cbranch_execz .LBB283_217
; %bb.212:                              ;   in Loop: Header=BB283_15 Depth=1
	v_and_b32_e32 v6, 0x7f, v4
	v_mov_b32_e32 v18, 0x7c01
	s_mov_b32 s18, exec_lo
	s_delay_alu instid0(VALU_DEP_2)
	v_cmpx_ne_u32_e32 0x7f, v6
	s_cbranch_execz .LBB283_216
; %bb.213:                              ;   in Loop: Header=BB283_15 Depth=1
	v_dual_lshrrev_b32 v1, 3, v6 :: v_dual_bitop2_b32 v0, 7, v4 bitop3:0x40
	s_mov_b32 s19, exec_lo
	v_cmpx_gt_u32_e32 8, v6
; %bb.214:                              ;   in Loop: Header=BB283_15 Depth=1
	s_delay_alu instid0(VALU_DEP_2) | instskip(NEXT) | instid1(VALU_DEP_1)
	v_clz_i32_u32_e32 v0, v0
	v_min_u32_e32 v6, 32, v0
	s_delay_alu instid0(VALU_DEP_1) | instskip(NEXT) | instid1(VALU_DEP_1)
	v_subrev_nc_u32_e32 v0, 28, v6
	v_lshlrev_b64_e32 v[0:1], v0, v[4:5]
	s_delay_alu instid0(VALU_DEP_1)
	v_dual_sub_nc_u32 v1, 29, v6 :: v_dual_bitop2_b32 v0, 7, v0 bitop3:0x40
; %bb.215:                              ;   in Loop: Header=BB283_15 Depth=1
	s_or_b32 exec_lo, exec_lo, s19
	v_lshlrev_b32_e32 v6, 8, v4
	s_delay_alu instid0(VALU_DEP_2) | instskip(NEXT) | instid1(VALU_DEP_3)
	v_lshl_add_u32 v1, v1, 10, 0x2000
	v_lshlrev_b32_e32 v0, 7, v0
	s_delay_alu instid0(VALU_DEP_3) | instskip(NEXT) | instid1(VALU_DEP_3)
	v_and_b32_e32 v6, 0x8000, v6
	v_and_b32_e32 v1, 0xfc00, v1
	s_delay_alu instid0(VALU_DEP_1)
	v_or3_b32 v18, v6, v1, v0
.LBB283_216:                            ;   in Loop: Header=BB283_15 Depth=1
	s_or_b32 exec_lo, exec_lo, s18
.LBB283_217:                            ;   in Loop: Header=BB283_15 Depth=1
	s_delay_alu instid0(SALU_CYCLE_1)
	s_or_b32 exec_lo, exec_lo, s17
.LBB283_218:                            ;   in Loop: Header=BB283_15 Depth=1
	s_delay_alu instid0(SALU_CYCLE_1) | instskip(SKIP_3) | instid1(VALU_DEP_2)
	s_or_b32 exec_lo, exec_lo, s16
	v_lshrrev_b16 v24, 8, v4
	v_dual_mov_b32 v47, 0 :: v_dual_mov_b32 v109, 0
	s_mov_b32 s16, exec_lo
	v_cmpx_ne_u16_e32 0, v24
	s_cbranch_execz .LBB283_226
; %bb.219:                              ;   in Loop: Header=BB283_15 Depth=1
	v_bfrev_b32_e32 v109, 1
	s_mov_b32 s17, exec_lo
	v_cmpx_ne_u16_e32 0x80, v24
	s_cbranch_execz .LBB283_225
; %bb.220:                              ;   in Loop: Header=BB283_15 Depth=1
	v_and_b32_e32 v0, 0xffff, v24
	v_mov_b32_e32 v109, 0x7c010000
	s_mov_b32 s18, exec_lo
	s_delay_alu instid0(VALU_DEP_2) | instskip(NEXT) | instid1(VALU_DEP_1)
	v_and_b32_e32 v8, 0x7f, v0
	v_cmpx_ne_u32_e32 0x7f, v8
	s_cbranch_execz .LBB283_224
; %bb.221:                              ;   in Loop: Header=BB283_15 Depth=1
	v_and_b32_e32 v1, 7, v0
	v_lshrrev_b32_e32 v6, 3, v8
	s_mov_b32 s19, exec_lo
	v_cmpx_gt_u32_e32 8, v8
; %bb.222:                              ;   in Loop: Header=BB283_15 Depth=1
	s_delay_alu instid0(VALU_DEP_3) | instskip(NEXT) | instid1(VALU_DEP_1)
	v_clz_i32_u32_e32 v1, v1
	v_min_u32_e32 v1, 32, v1
	s_delay_alu instid0(VALU_DEP_1) | instskip(NEXT) | instid1(VALU_DEP_1)
	v_subrev_nc_u32_e32 v6, 28, v1
	v_lshlrev_b64_e32 v[8:9], v6, v[24:25]
	s_delay_alu instid0(VALU_DEP_1)
	v_dual_sub_nc_u32 v6, 29, v1 :: v_dual_bitop2_b32 v1, 7, v8 bitop3:0x40
; %bb.223:                              ;   in Loop: Header=BB283_15 Depth=1
	s_or_b32 exec_lo, exec_lo, s19
	s_delay_alu instid0(VALU_DEP_1) | instskip(NEXT) | instid1(VALU_DEP_2)
	v_dual_lshlrev_b32 v0, 8, v0 :: v_dual_lshlrev_b32 v1, 23, v1
	v_lshl_add_u32 v6, v6, 10, 0x2000
	s_delay_alu instid0(VALU_DEP_1) | instskip(NEXT) | instid1(VALU_DEP_1)
	v_and_or_b32 v0, 0x8000, v0, v6
	v_lshl_or_b32 v109, v0, 16, v1
.LBB283_224:                            ;   in Loop: Header=BB283_15 Depth=1
	s_or_b32 exec_lo, exec_lo, s18
.LBB283_225:                            ;   in Loop: Header=BB283_15 Depth=1
	s_delay_alu instid0(SALU_CYCLE_1)
	s_or_b32 exec_lo, exec_lo, s17
.LBB283_226:                            ;   in Loop: Header=BB283_15 Depth=1
	s_delay_alu instid0(SALU_CYCLE_1) | instskip(SKIP_2) | instid1(VALU_DEP_1)
	s_or_b32 exec_lo, exec_lo, s16
	v_lshrrev_b32_e32 v0, 16, v4
	s_mov_b32 s16, exec_lo
	v_and_b32_e32 v1, 0xff, v0
	s_delay_alu instid0(VALU_DEP_1)
	v_cmpx_ne_u16_e32 0, v1
	s_cbranch_execz .LBB283_234
; %bb.227:                              ;   in Loop: Header=BB283_15 Depth=1
	v_mov_b32_e32 v47, 0x8000
	s_mov_b32 s17, exec_lo
	v_cmpx_ne_u16_e32 0x80, v1
	s_cbranch_execz .LBB283_233
; %bb.228:                              ;   in Loop: Header=BB283_15 Depth=1
	v_bfe_u32 v8, v4, 16, 7
	v_mov_b32_e32 v47, 0x7c01
	s_mov_b32 s18, exec_lo
	s_delay_alu instid0(VALU_DEP_2)
	v_cmpx_ne_u32_e32 0x7f, v8
	s_cbranch_execz .LBB283_232
; %bb.229:                              ;   in Loop: Header=BB283_15 Depth=1
	v_and_b32_e32 v1, 7, v0
	v_lshrrev_b32_e32 v6, 3, v8
	s_mov_b32 s19, exec_lo
	v_cmpx_gt_u32_e32 8, v8
; %bb.230:                              ;   in Loop: Header=BB283_15 Depth=1
	s_delay_alu instid0(VALU_DEP_3) | instskip(NEXT) | instid1(VALU_DEP_1)
	v_clz_i32_u32_e32 v1, v1
	v_min_u32_e32 v1, 32, v1
	s_delay_alu instid0(VALU_DEP_1) | instskip(NEXT) | instid1(VALU_DEP_1)
	v_subrev_nc_u32_e32 v6, 28, v1
	v_lshlrev_b64_e32 v[8:9], v6, v[0:1]
	s_delay_alu instid0(VALU_DEP_1)
	v_dual_sub_nc_u32 v6, 29, v1 :: v_dual_bitop2_b32 v1, 7, v8 bitop3:0x40
; %bb.231:                              ;   in Loop: Header=BB283_15 Depth=1
	s_or_b32 exec_lo, exec_lo, s19
	s_delay_alu instid0(VALU_DEP_1) | instskip(NEXT) | instid1(VALU_DEP_2)
	v_dual_lshlrev_b32 v0, 8, v0 :: v_dual_lshlrev_b32 v1, 7, v1
	v_lshl_add_u32 v6, v6, 10, 0x2000
	s_delay_alu instid0(VALU_DEP_2) | instskip(NEXT) | instid1(VALU_DEP_2)
	v_and_b32_e32 v0, 0x8000, v0
	v_and_b32_e32 v6, 0xfc00, v6
	s_delay_alu instid0(VALU_DEP_1)
	v_or3_b32 v47, v0, v6, v1
.LBB283_232:                            ;   in Loop: Header=BB283_15 Depth=1
	s_or_b32 exec_lo, exec_lo, s18
.LBB283_233:                            ;   in Loop: Header=BB283_15 Depth=1
	s_delay_alu instid0(SALU_CYCLE_1)
	s_or_b32 exec_lo, exec_lo, s17
.LBB283_234:                            ;   in Loop: Header=BB283_15 Depth=1
	s_delay_alu instid0(SALU_CYCLE_1)
	s_or_b32 exec_lo, exec_lo, s16
	v_dual_mov_b32 v56, 0 :: v_dual_mov_b32 v113, 0
	s_mov_b32 s16, exec_lo
	v_cmpx_lt_u32_e32 0xffffff, v4
	s_cbranch_execz .LBB283_242
; %bb.235:                              ;   in Loop: Header=BB283_15 Depth=1
	v_lshrrev_b32_e32 v24, 24, v4
	v_bfrev_b32_e32 v113, 1
	s_mov_b32 s17, exec_lo
	s_delay_alu instid0(VALU_DEP_2)
	v_cmpx_ne_u32_e32 0x80, v24
	s_cbranch_execz .LBB283_241
; %bb.236:                              ;   in Loop: Header=BB283_15 Depth=1
	v_and_b32_e32 v6, 0x7f, v24
	v_mov_b32_e32 v113, 0x7c010000
	s_mov_b32 s18, exec_lo
	s_delay_alu instid0(VALU_DEP_2)
	v_cmpx_ne_u32_e32 0x7f, v6
	s_cbranch_execz .LBB283_240
; %bb.237:                              ;   in Loop: Header=BB283_15 Depth=1
	v_dual_lshrrev_b32 v1, 3, v6 :: v_dual_bitop2_b32 v0, 7, v24 bitop3:0x40
	s_mov_b32 s19, exec_lo
	v_cmpx_gt_u32_e32 8, v6
; %bb.238:                              ;   in Loop: Header=BB283_15 Depth=1
	s_delay_alu instid0(VALU_DEP_2) | instskip(NEXT) | instid1(VALU_DEP_1)
	v_clz_i32_u32_e32 v0, v0
	v_min_u32_e32 v6, 32, v0
	s_delay_alu instid0(VALU_DEP_1) | instskip(NEXT) | instid1(VALU_DEP_1)
	v_subrev_nc_u32_e32 v0, 28, v6
	v_lshlrev_b64_e32 v[0:1], v0, v[24:25]
	s_delay_alu instid0(VALU_DEP_1)
	v_dual_sub_nc_u32 v1, 29, v6 :: v_dual_bitop2_b32 v0, 7, v0 bitop3:0x40
; %bb.239:                              ;   in Loop: Header=BB283_15 Depth=1
	s_or_b32 exec_lo, exec_lo, s19
	v_lshlrev_b32_e32 v6, 8, v24
	s_delay_alu instid0(VALU_DEP_2) | instskip(NEXT) | instid1(VALU_DEP_3)
	v_lshl_add_u32 v1, v1, 10, 0x2000
	v_lshlrev_b32_e32 v0, 23, v0
	s_delay_alu instid0(VALU_DEP_2) | instskip(NEXT) | instid1(VALU_DEP_1)
	v_and_or_b32 v1, 0x8000, v6, v1
	v_lshl_or_b32 v113, v1, 16, v0
.LBB283_240:                            ;   in Loop: Header=BB283_15 Depth=1
	s_or_b32 exec_lo, exec_lo, s18
.LBB283_241:                            ;   in Loop: Header=BB283_15 Depth=1
	s_delay_alu instid0(SALU_CYCLE_1)
	s_or_b32 exec_lo, exec_lo, s17
.LBB283_242:                            ;   in Loop: Header=BB283_15 Depth=1
	s_delay_alu instid0(SALU_CYCLE_1) | instskip(SKIP_3) | instid1(VALU_DEP_2)
	s_or_b32 exec_lo, exec_lo, s16
	v_and_b32_e32 v0, 0xff, v5
	v_mov_b32_e32 v24, v5
	s_mov_b32 s16, exec_lo
	v_cmpx_ne_u16_e32 0, v0
	s_cbranch_execz .LBB283_250
; %bb.243:                              ;   in Loop: Header=BB283_15 Depth=1
	v_mov_b32_e32 v56, 0x8000
	s_mov_b32 s17, exec_lo
	v_cmpx_ne_u16_e32 0x80, v0
	s_cbranch_execz .LBB283_249
; %bb.244:                              ;   in Loop: Header=BB283_15 Depth=1
	v_and_b32_e32 v6, 0x7f, v5
	v_mov_b32_e32 v56, 0x7c01
	s_mov_b32 s18, exec_lo
	s_delay_alu instid0(VALU_DEP_2)
	v_cmpx_ne_u32_e32 0x7f, v6
	s_cbranch_execz .LBB283_248
; %bb.245:                              ;   in Loop: Header=BB283_15 Depth=1
	v_dual_lshrrev_b32 v1, 3, v6 :: v_dual_bitop2_b32 v0, 7, v5 bitop3:0x40
	s_mov_b32 s19, exec_lo
	v_cmpx_gt_u32_e32 8, v6
; %bb.246:                              ;   in Loop: Header=BB283_15 Depth=1
	s_delay_alu instid0(VALU_DEP_2) | instskip(NEXT) | instid1(VALU_DEP_1)
	v_clz_i32_u32_e32 v0, v0
	v_min_u32_e32 v6, 32, v0
	s_delay_alu instid0(VALU_DEP_1) | instskip(NEXT) | instid1(VALU_DEP_1)
	v_subrev_nc_u32_e32 v0, 28, v6
	v_lshlrev_b64_e32 v[0:1], v0, v[24:25]
	s_delay_alu instid0(VALU_DEP_1)
	v_dual_sub_nc_u32 v1, 29, v6 :: v_dual_bitop2_b32 v0, 7, v0 bitop3:0x40
; %bb.247:                              ;   in Loop: Header=BB283_15 Depth=1
	s_or_b32 exec_lo, exec_lo, s19
	s_delay_alu instid0(VALU_DEP_1) | instskip(NEXT) | instid1(VALU_DEP_2)
	v_dual_lshlrev_b32 v6, 8, v5 :: v_dual_lshlrev_b32 v0, 7, v0
	v_lshl_add_u32 v1, v1, 10, 0x2000
	s_delay_alu instid0(VALU_DEP_2) | instskip(NEXT) | instid1(VALU_DEP_2)
	v_and_b32_e32 v6, 0x8000, v6
	v_and_b32_e32 v1, 0xfc00, v1
	s_delay_alu instid0(VALU_DEP_1)
	v_or3_b32 v56, v6, v1, v0
.LBB283_248:                            ;   in Loop: Header=BB283_15 Depth=1
	s_or_b32 exec_lo, exec_lo, s18
.LBB283_249:                            ;   in Loop: Header=BB283_15 Depth=1
	s_delay_alu instid0(SALU_CYCLE_1)
	s_or_b32 exec_lo, exec_lo, s17
.LBB283_250:                            ;   in Loop: Header=BB283_15 Depth=1
	s_delay_alu instid0(SALU_CYCLE_1) | instskip(SKIP_3) | instid1(VALU_DEP_2)
	s_or_b32 exec_lo, exec_lo, s16
	v_lshrrev_b16 v24, 8, v24
	v_dual_mov_b32 v95, 0 :: v_dual_mov_b32 v112, 0
	s_mov_b32 s16, exec_lo
	v_cmpx_ne_u16_e32 0, v24
	s_cbranch_execz .LBB283_258
; %bb.251:                              ;   in Loop: Header=BB283_15 Depth=1
	v_bfrev_b32_e32 v112, 1
	s_mov_b32 s17, exec_lo
	v_cmpx_ne_u16_e32 0x80, v24
	s_cbranch_execz .LBB283_257
; %bb.252:                              ;   in Loop: Header=BB283_15 Depth=1
	v_and_b32_e32 v0, 0xffff, v24
	v_mov_b32_e32 v112, 0x7c010000
	s_mov_b32 s18, exec_lo
	s_delay_alu instid0(VALU_DEP_2) | instskip(NEXT) | instid1(VALU_DEP_1)
	v_and_b32_e32 v8, 0x7f, v0
	v_cmpx_ne_u32_e32 0x7f, v8
	s_cbranch_execz .LBB283_256
; %bb.253:                              ;   in Loop: Header=BB283_15 Depth=1
	v_and_b32_e32 v1, 7, v0
	v_lshrrev_b32_e32 v6, 3, v8
	s_mov_b32 s19, exec_lo
	v_cmpx_gt_u32_e32 8, v8
; %bb.254:                              ;   in Loop: Header=BB283_15 Depth=1
	s_delay_alu instid0(VALU_DEP_3) | instskip(NEXT) | instid1(VALU_DEP_1)
	v_clz_i32_u32_e32 v1, v1
	v_min_u32_e32 v1, 32, v1
	s_delay_alu instid0(VALU_DEP_1) | instskip(NEXT) | instid1(VALU_DEP_1)
	v_subrev_nc_u32_e32 v6, 28, v1
	v_lshlrev_b64_e32 v[8:9], v6, v[24:25]
	s_delay_alu instid0(VALU_DEP_1)
	v_dual_sub_nc_u32 v6, 29, v1 :: v_dual_bitop2_b32 v1, 7, v8 bitop3:0x40
; %bb.255:                              ;   in Loop: Header=BB283_15 Depth=1
	s_or_b32 exec_lo, exec_lo, s19
	s_delay_alu instid0(VALU_DEP_1) | instskip(NEXT) | instid1(VALU_DEP_2)
	v_dual_lshlrev_b32 v0, 8, v0 :: v_dual_lshlrev_b32 v1, 23, v1
	v_lshl_add_u32 v6, v6, 10, 0x2000
	s_delay_alu instid0(VALU_DEP_1) | instskip(NEXT) | instid1(VALU_DEP_1)
	v_and_or_b32 v0, 0x8000, v0, v6
	v_lshl_or_b32 v112, v0, 16, v1
.LBB283_256:                            ;   in Loop: Header=BB283_15 Depth=1
	s_or_b32 exec_lo, exec_lo, s18
.LBB283_257:                            ;   in Loop: Header=BB283_15 Depth=1
	s_delay_alu instid0(SALU_CYCLE_1)
	s_or_b32 exec_lo, exec_lo, s17
.LBB283_258:                            ;   in Loop: Header=BB283_15 Depth=1
	s_delay_alu instid0(SALU_CYCLE_1) | instskip(SKIP_2) | instid1(VALU_DEP_1)
	s_or_b32 exec_lo, exec_lo, s16
	v_lshrrev_b32_e32 v0, 16, v5
	s_mov_b32 s16, exec_lo
	v_and_b32_e32 v1, 0xff, v0
	s_delay_alu instid0(VALU_DEP_1)
	v_cmpx_ne_u16_e32 0, v1
	s_cbranch_execz .LBB283_266
; %bb.259:                              ;   in Loop: Header=BB283_15 Depth=1
	v_mov_b32_e32 v95, 0x8000
	s_mov_b32 s17, exec_lo
	v_cmpx_ne_u16_e32 0x80, v1
	s_cbranch_execz .LBB283_265
; %bb.260:                              ;   in Loop: Header=BB283_15 Depth=1
	v_bfe_u32 v8, v5, 16, 7
	v_mov_b32_e32 v95, 0x7c01
	s_mov_b32 s18, exec_lo
	s_delay_alu instid0(VALU_DEP_2)
	v_cmpx_ne_u32_e32 0x7f, v8
	s_cbranch_execz .LBB283_264
; %bb.261:                              ;   in Loop: Header=BB283_15 Depth=1
	v_and_b32_e32 v1, 7, v0
	v_lshrrev_b32_e32 v6, 3, v8
	s_mov_b32 s19, exec_lo
	v_cmpx_gt_u32_e32 8, v8
; %bb.262:                              ;   in Loop: Header=BB283_15 Depth=1
	s_delay_alu instid0(VALU_DEP_3) | instskip(NEXT) | instid1(VALU_DEP_1)
	v_clz_i32_u32_e32 v1, v1
	v_min_u32_e32 v1, 32, v1
	s_delay_alu instid0(VALU_DEP_1) | instskip(NEXT) | instid1(VALU_DEP_1)
	v_subrev_nc_u32_e32 v6, 28, v1
	v_lshlrev_b64_e32 v[8:9], v6, v[0:1]
	s_delay_alu instid0(VALU_DEP_1)
	v_dual_sub_nc_u32 v6, 29, v1 :: v_dual_bitop2_b32 v1, 7, v8 bitop3:0x40
; %bb.263:                              ;   in Loop: Header=BB283_15 Depth=1
	s_or_b32 exec_lo, exec_lo, s19
	s_delay_alu instid0(VALU_DEP_1) | instskip(NEXT) | instid1(VALU_DEP_2)
	v_dual_lshlrev_b32 v0, 8, v0 :: v_dual_lshlrev_b32 v1, 7, v1
	v_lshl_add_u32 v6, v6, 10, 0x2000
	s_delay_alu instid0(VALU_DEP_2) | instskip(NEXT) | instid1(VALU_DEP_2)
	v_and_b32_e32 v0, 0x8000, v0
	v_and_b32_e32 v6, 0xfc00, v6
	s_delay_alu instid0(VALU_DEP_1)
	v_or3_b32 v95, v0, v6, v1
.LBB283_264:                            ;   in Loop: Header=BB283_15 Depth=1
	s_or_b32 exec_lo, exec_lo, s18
.LBB283_265:                            ;   in Loop: Header=BB283_15 Depth=1
	s_delay_alu instid0(SALU_CYCLE_1)
	s_or_b32 exec_lo, exec_lo, s17
.LBB283_266:                            ;   in Loop: Header=BB283_15 Depth=1
	s_delay_alu instid0(SALU_CYCLE_1)
	s_or_b32 exec_lo, exec_lo, s16
	v_dual_mov_b32 v77, 0 :: v_dual_mov_b32 v118, 0
	s_mov_b32 s16, exec_lo
	v_cmpx_lt_u64_e64 s[8:9], v[4:5]
	s_cbranch_execz .LBB283_274
; %bb.267:                              ;   in Loop: Header=BB283_15 Depth=1
	v_lshrrev_b32_e32 v24, 24, v5
	v_bfrev_b32_e32 v118, 1
	s_mov_b32 s17, exec_lo
	s_delay_alu instid0(VALU_DEP_2)
	v_cmpx_ne_u32_e32 0x80, v24
	s_cbranch_execz .LBB283_273
; %bb.268:                              ;   in Loop: Header=BB283_15 Depth=1
	v_and_b32_e32 v4, 0x7f, v24
	v_mov_b32_e32 v118, 0x7c010000
	s_mov_b32 s18, exec_lo
	s_delay_alu instid0(VALU_DEP_2)
	v_cmpx_ne_u32_e32 0x7f, v4
	s_cbranch_execz .LBB283_272
; %bb.269:                              ;   in Loop: Header=BB283_15 Depth=1
	v_and_b32_e32 v0, 7, v24
	v_lshrrev_b32_e32 v1, 3, v4
	s_mov_b32 s19, exec_lo
	v_cmpx_gt_u32_e32 8, v4
; %bb.270:                              ;   in Loop: Header=BB283_15 Depth=1
	s_delay_alu instid0(VALU_DEP_3) | instskip(NEXT) | instid1(VALU_DEP_1)
	v_clz_i32_u32_e32 v0, v0
	v_min_u32_e32 v4, 32, v0
	s_delay_alu instid0(VALU_DEP_1) | instskip(NEXT) | instid1(VALU_DEP_1)
	v_subrev_nc_u32_e32 v0, 28, v4
	v_lshlrev_b64_e32 v[0:1], v0, v[24:25]
	v_sub_nc_u32_e32 v1, 29, v4
	s_delay_alu instid0(VALU_DEP_2)
	v_and_b32_e32 v0, 7, v0
; %bb.271:                              ;   in Loop: Header=BB283_15 Depth=1
	s_or_b32 exec_lo, exec_lo, s19
	v_lshlrev_b32_e32 v4, 8, v24
	s_delay_alu instid0(VALU_DEP_3) | instskip(NEXT) | instid1(VALU_DEP_3)
	v_lshl_add_u32 v1, v1, 10, 0x2000
	v_lshlrev_b32_e32 v0, 23, v0
	s_delay_alu instid0(VALU_DEP_2) | instskip(NEXT) | instid1(VALU_DEP_1)
	v_and_or_b32 v1, 0x8000, v4, v1
	v_lshl_or_b32 v118, v1, 16, v0
.LBB283_272:                            ;   in Loop: Header=BB283_15 Depth=1
	s_or_b32 exec_lo, exec_lo, s18
.LBB283_273:                            ;   in Loop: Header=BB283_15 Depth=1
	s_delay_alu instid0(SALU_CYCLE_1)
	s_or_b32 exec_lo, exec_lo, s17
.LBB283_274:                            ;   in Loop: Header=BB283_15 Depth=1
	s_delay_alu instid0(SALU_CYCLE_1)
	s_or_b32 exec_lo, exec_lo, s16
	flat_load_b64 v[4:5], v[2:3] offset:1024
	s_mov_b32 s16, exec_lo
	s_wait_loadcnt_dscnt 0x0
	v_and_b32_e32 v0, 0xff, v4
	s_wait_xcnt 0x0
	s_delay_alu instid0(VALU_DEP_1)
	v_cmpx_ne_u16_e32 0, v0
	s_cbranch_execz .LBB283_282
; %bb.275:                              ;   in Loop: Header=BB283_15 Depth=1
	v_mov_b32_e32 v77, 0x8000
	s_mov_b32 s17, exec_lo
	v_cmpx_ne_u16_e32 0x80, v0
	s_cbranch_execz .LBB283_281
; %bb.276:                              ;   in Loop: Header=BB283_15 Depth=1
	v_and_b32_e32 v6, 0x7f, v4
	v_mov_b32_e32 v77, 0x7c01
	s_mov_b32 s18, exec_lo
	s_delay_alu instid0(VALU_DEP_2)
	v_cmpx_ne_u32_e32 0x7f, v6
	s_cbranch_execz .LBB283_280
; %bb.277:                              ;   in Loop: Header=BB283_15 Depth=1
	v_dual_lshrrev_b32 v1, 3, v6 :: v_dual_bitop2_b32 v0, 7, v4 bitop3:0x40
	s_mov_b32 s19, exec_lo
	v_cmpx_gt_u32_e32 8, v6
; %bb.278:                              ;   in Loop: Header=BB283_15 Depth=1
	s_delay_alu instid0(VALU_DEP_2) | instskip(NEXT) | instid1(VALU_DEP_1)
	v_clz_i32_u32_e32 v0, v0
	v_min_u32_e32 v6, 32, v0
	s_delay_alu instid0(VALU_DEP_1) | instskip(NEXT) | instid1(VALU_DEP_1)
	v_subrev_nc_u32_e32 v0, 28, v6
	v_lshlrev_b64_e32 v[0:1], v0, v[4:5]
	s_delay_alu instid0(VALU_DEP_1)
	v_dual_sub_nc_u32 v1, 29, v6 :: v_dual_bitop2_b32 v0, 7, v0 bitop3:0x40
; %bb.279:                              ;   in Loop: Header=BB283_15 Depth=1
	s_or_b32 exec_lo, exec_lo, s19
	v_lshlrev_b32_e32 v6, 8, v4
	s_delay_alu instid0(VALU_DEP_2) | instskip(NEXT) | instid1(VALU_DEP_3)
	v_lshl_add_u32 v1, v1, 10, 0x2000
	v_lshlrev_b32_e32 v0, 7, v0
	s_delay_alu instid0(VALU_DEP_3) | instskip(NEXT) | instid1(VALU_DEP_3)
	v_and_b32_e32 v6, 0x8000, v6
	v_and_b32_e32 v1, 0xfc00, v1
	s_delay_alu instid0(VALU_DEP_1)
	v_or3_b32 v77, v6, v1, v0
.LBB283_280:                            ;   in Loop: Header=BB283_15 Depth=1
	s_or_b32 exec_lo, exec_lo, s18
.LBB283_281:                            ;   in Loop: Header=BB283_15 Depth=1
	s_delay_alu instid0(SALU_CYCLE_1)
	s_or_b32 exec_lo, exec_lo, s17
.LBB283_282:                            ;   in Loop: Header=BB283_15 Depth=1
	s_delay_alu instid0(SALU_CYCLE_1) | instskip(SKIP_3) | instid1(VALU_DEP_2)
	s_or_b32 exec_lo, exec_lo, s16
	v_lshrrev_b16 v24, 8, v4
	v_dual_mov_b32 v127, 0 :: v_dual_mov_b32 v119, 0
	s_mov_b32 s16, exec_lo
	v_cmpx_ne_u16_e32 0, v24
	s_cbranch_execz .LBB283_290
; %bb.283:                              ;   in Loop: Header=BB283_15 Depth=1
	v_bfrev_b32_e32 v119, 1
	s_mov_b32 s17, exec_lo
	v_cmpx_ne_u16_e32 0x80, v24
	s_cbranch_execz .LBB283_289
; %bb.284:                              ;   in Loop: Header=BB283_15 Depth=1
	v_and_b32_e32 v0, 0xffff, v24
	v_mov_b32_e32 v119, 0x7c010000
	s_mov_b32 s18, exec_lo
	s_delay_alu instid0(VALU_DEP_2) | instskip(NEXT) | instid1(VALU_DEP_1)
	v_and_b32_e32 v8, 0x7f, v0
	v_cmpx_ne_u32_e32 0x7f, v8
	s_cbranch_execz .LBB283_288
; %bb.285:                              ;   in Loop: Header=BB283_15 Depth=1
	v_and_b32_e32 v1, 7, v0
	v_lshrrev_b32_e32 v6, 3, v8
	s_mov_b32 s19, exec_lo
	v_cmpx_gt_u32_e32 8, v8
; %bb.286:                              ;   in Loop: Header=BB283_15 Depth=1
	s_delay_alu instid0(VALU_DEP_3) | instskip(NEXT) | instid1(VALU_DEP_1)
	v_clz_i32_u32_e32 v1, v1
	v_min_u32_e32 v1, 32, v1
	s_delay_alu instid0(VALU_DEP_1) | instskip(NEXT) | instid1(VALU_DEP_1)
	v_subrev_nc_u32_e32 v6, 28, v1
	v_lshlrev_b64_e32 v[8:9], v6, v[24:25]
	s_delay_alu instid0(VALU_DEP_1)
	v_dual_sub_nc_u32 v6, 29, v1 :: v_dual_bitop2_b32 v1, 7, v8 bitop3:0x40
; %bb.287:                              ;   in Loop: Header=BB283_15 Depth=1
	s_or_b32 exec_lo, exec_lo, s19
	s_delay_alu instid0(VALU_DEP_1) | instskip(NEXT) | instid1(VALU_DEP_2)
	v_dual_lshlrev_b32 v0, 8, v0 :: v_dual_lshlrev_b32 v1, 23, v1
	v_lshl_add_u32 v6, v6, 10, 0x2000
	s_delay_alu instid0(VALU_DEP_1) | instskip(NEXT) | instid1(VALU_DEP_1)
	v_and_or_b32 v0, 0x8000, v0, v6
	v_lshl_or_b32 v119, v0, 16, v1
.LBB283_288:                            ;   in Loop: Header=BB283_15 Depth=1
	s_or_b32 exec_lo, exec_lo, s18
.LBB283_289:                            ;   in Loop: Header=BB283_15 Depth=1
	s_delay_alu instid0(SALU_CYCLE_1)
	s_or_b32 exec_lo, exec_lo, s17
.LBB283_290:                            ;   in Loop: Header=BB283_15 Depth=1
	s_delay_alu instid0(SALU_CYCLE_1) | instskip(SKIP_2) | instid1(VALU_DEP_1)
	s_or_b32 exec_lo, exec_lo, s16
	v_lshrrev_b32_e32 v0, 16, v4
	s_mov_b32 s16, exec_lo
	v_and_b32_e32 v1, 0xff, v0
	s_delay_alu instid0(VALU_DEP_1)
	v_cmpx_ne_u16_e32 0, v1
	s_cbranch_execz .LBB283_298
; %bb.291:                              ;   in Loop: Header=BB283_15 Depth=1
	v_mov_b32_e32 v127, 0x8000
	s_mov_b32 s17, exec_lo
	v_cmpx_ne_u16_e32 0x80, v1
	s_cbranch_execz .LBB283_297
; %bb.292:                              ;   in Loop: Header=BB283_15 Depth=1
	v_bfe_u32 v8, v4, 16, 7
	v_mov_b32_e32 v127, 0x7c01
	s_mov_b32 s18, exec_lo
	s_delay_alu instid0(VALU_DEP_2)
	v_cmpx_ne_u32_e32 0x7f, v8
	s_cbranch_execz .LBB283_296
; %bb.293:                              ;   in Loop: Header=BB283_15 Depth=1
	v_and_b32_e32 v1, 7, v0
	v_lshrrev_b32_e32 v6, 3, v8
	s_mov_b32 s19, exec_lo
	v_cmpx_gt_u32_e32 8, v8
; %bb.294:                              ;   in Loop: Header=BB283_15 Depth=1
	s_delay_alu instid0(VALU_DEP_3) | instskip(NEXT) | instid1(VALU_DEP_1)
	v_clz_i32_u32_e32 v1, v1
	v_min_u32_e32 v1, 32, v1
	s_delay_alu instid0(VALU_DEP_1) | instskip(NEXT) | instid1(VALU_DEP_1)
	v_subrev_nc_u32_e32 v6, 28, v1
	v_lshlrev_b64_e32 v[8:9], v6, v[0:1]
	s_delay_alu instid0(VALU_DEP_1)
	v_dual_sub_nc_u32 v6, 29, v1 :: v_dual_bitop2_b32 v1, 7, v8 bitop3:0x40
; %bb.295:                              ;   in Loop: Header=BB283_15 Depth=1
	s_or_b32 exec_lo, exec_lo, s19
	s_delay_alu instid0(VALU_DEP_1) | instskip(NEXT) | instid1(VALU_DEP_2)
	v_dual_lshlrev_b32 v0, 8, v0 :: v_dual_lshlrev_b32 v1, 7, v1
	v_lshl_add_u32 v6, v6, 10, 0x2000
	s_delay_alu instid0(VALU_DEP_2) | instskip(NEXT) | instid1(VALU_DEP_2)
	v_and_b32_e32 v0, 0x8000, v0
	v_and_b32_e32 v6, 0xfc00, v6
	s_delay_alu instid0(VALU_DEP_1)
	v_or3_b32 v127, v0, v6, v1
.LBB283_296:                            ;   in Loop: Header=BB283_15 Depth=1
	s_or_b32 exec_lo, exec_lo, s18
.LBB283_297:                            ;   in Loop: Header=BB283_15 Depth=1
	s_delay_alu instid0(SALU_CYCLE_1)
	s_or_b32 exec_lo, exec_lo, s17
.LBB283_298:                            ;   in Loop: Header=BB283_15 Depth=1
	s_delay_alu instid0(SALU_CYCLE_1)
	s_or_b32 exec_lo, exec_lo, s16
	v_dual_mov_b32 v37, 0 :: v_dual_mov_b32 v102, 0
	s_mov_b32 s16, exec_lo
	v_cmpx_lt_u32_e32 0xffffff, v4
	s_cbranch_execz .LBB283_306
; %bb.299:                              ;   in Loop: Header=BB283_15 Depth=1
	v_lshrrev_b32_e32 v24, 24, v4
	v_bfrev_b32_e32 v102, 1
	s_mov_b32 s17, exec_lo
	s_delay_alu instid0(VALU_DEP_2)
	v_cmpx_ne_u32_e32 0x80, v24
	s_cbranch_execz .LBB283_305
; %bb.300:                              ;   in Loop: Header=BB283_15 Depth=1
	v_and_b32_e32 v6, 0x7f, v24
	v_mov_b32_e32 v102, 0x7c010000
	s_mov_b32 s18, exec_lo
	s_delay_alu instid0(VALU_DEP_2)
	v_cmpx_ne_u32_e32 0x7f, v6
	s_cbranch_execz .LBB283_304
; %bb.301:                              ;   in Loop: Header=BB283_15 Depth=1
	v_dual_lshrrev_b32 v1, 3, v6 :: v_dual_bitop2_b32 v0, 7, v24 bitop3:0x40
	s_mov_b32 s19, exec_lo
	v_cmpx_gt_u32_e32 8, v6
; %bb.302:                              ;   in Loop: Header=BB283_15 Depth=1
	s_delay_alu instid0(VALU_DEP_2) | instskip(NEXT) | instid1(VALU_DEP_1)
	v_clz_i32_u32_e32 v0, v0
	v_min_u32_e32 v6, 32, v0
	s_delay_alu instid0(VALU_DEP_1) | instskip(NEXT) | instid1(VALU_DEP_1)
	v_subrev_nc_u32_e32 v0, 28, v6
	v_lshlrev_b64_e32 v[0:1], v0, v[24:25]
	s_delay_alu instid0(VALU_DEP_1)
	v_dual_sub_nc_u32 v1, 29, v6 :: v_dual_bitop2_b32 v0, 7, v0 bitop3:0x40
; %bb.303:                              ;   in Loop: Header=BB283_15 Depth=1
	s_or_b32 exec_lo, exec_lo, s19
	v_lshlrev_b32_e32 v6, 8, v24
	s_delay_alu instid0(VALU_DEP_2) | instskip(NEXT) | instid1(VALU_DEP_3)
	v_lshl_add_u32 v1, v1, 10, 0x2000
	v_lshlrev_b32_e32 v0, 23, v0
	s_delay_alu instid0(VALU_DEP_2) | instskip(NEXT) | instid1(VALU_DEP_1)
	v_and_or_b32 v1, 0x8000, v6, v1
	v_lshl_or_b32 v102, v1, 16, v0
.LBB283_304:                            ;   in Loop: Header=BB283_15 Depth=1
	s_or_b32 exec_lo, exec_lo, s18
.LBB283_305:                            ;   in Loop: Header=BB283_15 Depth=1
	s_delay_alu instid0(SALU_CYCLE_1)
	s_or_b32 exec_lo, exec_lo, s17
.LBB283_306:                            ;   in Loop: Header=BB283_15 Depth=1
	s_delay_alu instid0(SALU_CYCLE_1) | instskip(SKIP_3) | instid1(VALU_DEP_2)
	s_or_b32 exec_lo, exec_lo, s16
	v_and_b32_e32 v0, 0xff, v5
	v_mov_b32_e32 v24, v5
	s_mov_b32 s16, exec_lo
	v_cmpx_ne_u16_e32 0, v0
	s_cbranch_execz .LBB283_314
; %bb.307:                              ;   in Loop: Header=BB283_15 Depth=1
	v_mov_b32_e32 v37, 0x8000
	s_mov_b32 s17, exec_lo
	v_cmpx_ne_u16_e32 0x80, v0
	s_cbranch_execz .LBB283_313
; %bb.308:                              ;   in Loop: Header=BB283_15 Depth=1
	v_and_b32_e32 v6, 0x7f, v5
	v_mov_b32_e32 v37, 0x7c01
	s_mov_b32 s18, exec_lo
	s_delay_alu instid0(VALU_DEP_2)
	v_cmpx_ne_u32_e32 0x7f, v6
	s_cbranch_execz .LBB283_312
; %bb.309:                              ;   in Loop: Header=BB283_15 Depth=1
	v_dual_lshrrev_b32 v1, 3, v6 :: v_dual_bitop2_b32 v0, 7, v5 bitop3:0x40
	s_mov_b32 s19, exec_lo
	v_cmpx_gt_u32_e32 8, v6
; %bb.310:                              ;   in Loop: Header=BB283_15 Depth=1
	s_delay_alu instid0(VALU_DEP_2) | instskip(NEXT) | instid1(VALU_DEP_1)
	v_clz_i32_u32_e32 v0, v0
	v_min_u32_e32 v6, 32, v0
	s_delay_alu instid0(VALU_DEP_1) | instskip(NEXT) | instid1(VALU_DEP_1)
	v_subrev_nc_u32_e32 v0, 28, v6
	v_lshlrev_b64_e32 v[0:1], v0, v[24:25]
	s_delay_alu instid0(VALU_DEP_1)
	v_dual_sub_nc_u32 v1, 29, v6 :: v_dual_bitop2_b32 v0, 7, v0 bitop3:0x40
; %bb.311:                              ;   in Loop: Header=BB283_15 Depth=1
	s_or_b32 exec_lo, exec_lo, s19
	s_delay_alu instid0(VALU_DEP_1) | instskip(NEXT) | instid1(VALU_DEP_2)
	v_dual_lshlrev_b32 v6, 8, v5 :: v_dual_lshlrev_b32 v0, 7, v0
	v_lshl_add_u32 v1, v1, 10, 0x2000
	s_delay_alu instid0(VALU_DEP_2) | instskip(NEXT) | instid1(VALU_DEP_2)
	v_and_b32_e32 v6, 0x8000, v6
	v_and_b32_e32 v1, 0xfc00, v1
	s_delay_alu instid0(VALU_DEP_1)
	v_or3_b32 v37, v6, v1, v0
.LBB283_312:                            ;   in Loop: Header=BB283_15 Depth=1
	s_or_b32 exec_lo, exec_lo, s18
.LBB283_313:                            ;   in Loop: Header=BB283_15 Depth=1
	s_delay_alu instid0(SALU_CYCLE_1)
	s_or_b32 exec_lo, exec_lo, s17
.LBB283_314:                            ;   in Loop: Header=BB283_15 Depth=1
	s_delay_alu instid0(SALU_CYCLE_1) | instskip(SKIP_3) | instid1(VALU_DEP_2)
	s_or_b32 exec_lo, exec_lo, s16
	v_lshrrev_b16 v24, 8, v24
	v_dual_mov_b32 v111, 0 :: v_dual_mov_b32 v116, 0
	s_mov_b32 s16, exec_lo
	v_cmpx_ne_u16_e32 0, v24
	s_cbranch_execz .LBB283_322
; %bb.315:                              ;   in Loop: Header=BB283_15 Depth=1
	v_bfrev_b32_e32 v116, 1
	s_mov_b32 s17, exec_lo
	v_cmpx_ne_u16_e32 0x80, v24
	s_cbranch_execz .LBB283_321
; %bb.316:                              ;   in Loop: Header=BB283_15 Depth=1
	v_and_b32_e32 v0, 0xffff, v24
	v_mov_b32_e32 v116, 0x7c010000
	s_mov_b32 s18, exec_lo
	s_delay_alu instid0(VALU_DEP_2) | instskip(NEXT) | instid1(VALU_DEP_1)
	v_and_b32_e32 v8, 0x7f, v0
	v_cmpx_ne_u32_e32 0x7f, v8
	s_cbranch_execz .LBB283_320
; %bb.317:                              ;   in Loop: Header=BB283_15 Depth=1
	v_and_b32_e32 v1, 7, v0
	v_lshrrev_b32_e32 v6, 3, v8
	s_mov_b32 s19, exec_lo
	v_cmpx_gt_u32_e32 8, v8
; %bb.318:                              ;   in Loop: Header=BB283_15 Depth=1
	s_delay_alu instid0(VALU_DEP_3) | instskip(NEXT) | instid1(VALU_DEP_1)
	v_clz_i32_u32_e32 v1, v1
	v_min_u32_e32 v1, 32, v1
	s_delay_alu instid0(VALU_DEP_1) | instskip(NEXT) | instid1(VALU_DEP_1)
	v_subrev_nc_u32_e32 v6, 28, v1
	v_lshlrev_b64_e32 v[8:9], v6, v[24:25]
	s_delay_alu instid0(VALU_DEP_1)
	v_dual_sub_nc_u32 v6, 29, v1 :: v_dual_bitop2_b32 v1, 7, v8 bitop3:0x40
; %bb.319:                              ;   in Loop: Header=BB283_15 Depth=1
	s_or_b32 exec_lo, exec_lo, s19
	s_delay_alu instid0(VALU_DEP_1) | instskip(NEXT) | instid1(VALU_DEP_2)
	v_dual_lshlrev_b32 v0, 8, v0 :: v_dual_lshlrev_b32 v1, 23, v1
	v_lshl_add_u32 v6, v6, 10, 0x2000
	s_delay_alu instid0(VALU_DEP_1) | instskip(NEXT) | instid1(VALU_DEP_1)
	v_and_or_b32 v0, 0x8000, v0, v6
	v_lshl_or_b32 v116, v0, 16, v1
.LBB283_320:                            ;   in Loop: Header=BB283_15 Depth=1
	s_or_b32 exec_lo, exec_lo, s18
.LBB283_321:                            ;   in Loop: Header=BB283_15 Depth=1
	s_delay_alu instid0(SALU_CYCLE_1)
	s_or_b32 exec_lo, exec_lo, s17
.LBB283_322:                            ;   in Loop: Header=BB283_15 Depth=1
	s_delay_alu instid0(SALU_CYCLE_1) | instskip(SKIP_2) | instid1(VALU_DEP_1)
	s_or_b32 exec_lo, exec_lo, s16
	v_lshrrev_b32_e32 v0, 16, v5
	s_mov_b32 s16, exec_lo
	v_and_b32_e32 v1, 0xff, v0
	s_delay_alu instid0(VALU_DEP_1)
	v_cmpx_ne_u16_e32 0, v1
	s_cbranch_execz .LBB283_330
; %bb.323:                              ;   in Loop: Header=BB283_15 Depth=1
	v_mov_b32_e32 v111, 0x8000
	s_mov_b32 s17, exec_lo
	v_cmpx_ne_u16_e32 0x80, v1
	s_cbranch_execz .LBB283_329
; %bb.324:                              ;   in Loop: Header=BB283_15 Depth=1
	v_bfe_u32 v8, v5, 16, 7
	v_mov_b32_e32 v111, 0x7c01
	s_mov_b32 s18, exec_lo
	s_delay_alu instid0(VALU_DEP_2)
	v_cmpx_ne_u32_e32 0x7f, v8
	s_cbranch_execz .LBB283_328
; %bb.325:                              ;   in Loop: Header=BB283_15 Depth=1
	v_and_b32_e32 v1, 7, v0
	v_lshrrev_b32_e32 v6, 3, v8
	s_mov_b32 s19, exec_lo
	v_cmpx_gt_u32_e32 8, v8
; %bb.326:                              ;   in Loop: Header=BB283_15 Depth=1
	s_delay_alu instid0(VALU_DEP_3) | instskip(NEXT) | instid1(VALU_DEP_1)
	v_clz_i32_u32_e32 v1, v1
	v_min_u32_e32 v1, 32, v1
	s_delay_alu instid0(VALU_DEP_1) | instskip(NEXT) | instid1(VALU_DEP_1)
	v_subrev_nc_u32_e32 v6, 28, v1
	v_lshlrev_b64_e32 v[8:9], v6, v[0:1]
	s_delay_alu instid0(VALU_DEP_1)
	v_dual_sub_nc_u32 v6, 29, v1 :: v_dual_bitop2_b32 v1, 7, v8 bitop3:0x40
; %bb.327:                              ;   in Loop: Header=BB283_15 Depth=1
	s_or_b32 exec_lo, exec_lo, s19
	s_delay_alu instid0(VALU_DEP_1) | instskip(NEXT) | instid1(VALU_DEP_2)
	v_dual_lshlrev_b32 v0, 8, v0 :: v_dual_lshlrev_b32 v1, 7, v1
	v_lshl_add_u32 v6, v6, 10, 0x2000
	s_delay_alu instid0(VALU_DEP_2) | instskip(NEXT) | instid1(VALU_DEP_2)
	v_and_b32_e32 v0, 0x8000, v0
	v_and_b32_e32 v6, 0xfc00, v6
	s_delay_alu instid0(VALU_DEP_1)
	v_or3_b32 v111, v0, v6, v1
.LBB283_328:                            ;   in Loop: Header=BB283_15 Depth=1
	s_or_b32 exec_lo, exec_lo, s18
.LBB283_329:                            ;   in Loop: Header=BB283_15 Depth=1
	s_delay_alu instid0(SALU_CYCLE_1)
	s_or_b32 exec_lo, exec_lo, s17
.LBB283_330:                            ;   in Loop: Header=BB283_15 Depth=1
	s_delay_alu instid0(SALU_CYCLE_1)
	s_or_b32 exec_lo, exec_lo, s16
	v_dual_mov_b32 v75, 0 :: v_dual_mov_b32 v0, 0
	s_mov_b32 s16, exec_lo
	scratch_store_b32 off, v0, s32 offset:348 ; 4-byte Folded Spill
	s_wait_xcnt 0x0
	v_cmpx_lt_u64_e64 s[8:9], v[4:5]
	s_cbranch_execz .LBB283_338
; %bb.331:                              ;   in Loop: Header=BB283_15 Depth=1
	v_lshrrev_b32_e32 v24, 24, v5
	v_bfrev_b32_e32 v0, 1
	s_mov_b32 s17, exec_lo
	s_delay_alu instid0(VALU_DEP_2)
	v_cmpx_ne_u32_e32 0x80, v24
	s_cbranch_execz .LBB283_337
; %bb.332:                              ;   in Loop: Header=BB283_15 Depth=1
	v_and_b32_e32 v4, 0x7f, v24
	v_mov_b32_e32 v0, 0x7c010000
	s_mov_b32 s18, exec_lo
	s_delay_alu instid0(VALU_DEP_2)
	v_cmpx_ne_u32_e32 0x7f, v4
	s_cbranch_execz .LBB283_336
; %bb.333:                              ;   in Loop: Header=BB283_15 Depth=1
	v_and_b32_e32 v0, 7, v24
	v_lshrrev_b32_e32 v1, 3, v4
	s_mov_b32 s19, exec_lo
	v_cmpx_gt_u32_e32 8, v4
; %bb.334:                              ;   in Loop: Header=BB283_15 Depth=1
	s_delay_alu instid0(VALU_DEP_3) | instskip(NEXT) | instid1(VALU_DEP_1)
	v_clz_i32_u32_e32 v0, v0
	v_min_u32_e32 v4, 32, v0
	s_delay_alu instid0(VALU_DEP_1) | instskip(NEXT) | instid1(VALU_DEP_1)
	v_subrev_nc_u32_e32 v0, 28, v4
	v_lshlrev_b64_e32 v[0:1], v0, v[24:25]
	v_sub_nc_u32_e32 v1, 29, v4
	s_delay_alu instid0(VALU_DEP_2)
	v_and_b32_e32 v0, 7, v0
; %bb.335:                              ;   in Loop: Header=BB283_15 Depth=1
	s_or_b32 exec_lo, exec_lo, s19
	v_lshlrev_b32_e32 v4, 8, v24
	s_delay_alu instid0(VALU_DEP_3) | instskip(NEXT) | instid1(VALU_DEP_3)
	v_lshl_add_u32 v1, v1, 10, 0x2000
	v_lshlrev_b32_e32 v0, 23, v0
	s_delay_alu instid0(VALU_DEP_2) | instskip(NEXT) | instid1(VALU_DEP_1)
	v_and_or_b32 v1, 0x8000, v4, v1
	v_lshl_or_b32 v0, v1, 16, v0
.LBB283_336:                            ;   in Loop: Header=BB283_15 Depth=1
	s_or_b32 exec_lo, exec_lo, s18
.LBB283_337:                            ;   in Loop: Header=BB283_15 Depth=1
	s_delay_alu instid0(SALU_CYCLE_1)
	s_or_b32 exec_lo, exec_lo, s17
	scratch_store_b32 off, v0, s32 offset:348 ; 4-byte Folded Spill
.LBB283_338:                            ;   in Loop: Header=BB283_15 Depth=1
	s_wait_xcnt 0x0
	s_or_b32 exec_lo, exec_lo, s16
	flat_load_b64 v[4:5], v[2:3] offset:1032
	s_mov_b32 s16, exec_lo
	s_wait_loadcnt_dscnt 0x0
	v_and_b32_e32 v0, 0xff, v4
	s_wait_xcnt 0x0
	s_delay_alu instid0(VALU_DEP_1)
	v_cmpx_ne_u16_e32 0, v0
	s_cbranch_execz .LBB283_346
; %bb.339:                              ;   in Loop: Header=BB283_15 Depth=1
	v_mov_b32_e32 v75, 0x8000
	s_mov_b32 s17, exec_lo
	v_cmpx_ne_u16_e32 0x80, v0
	s_cbranch_execz .LBB283_345
; %bb.340:                              ;   in Loop: Header=BB283_15 Depth=1
	v_and_b32_e32 v6, 0x7f, v4
	v_mov_b32_e32 v75, 0x7c01
	s_mov_b32 s18, exec_lo
	s_delay_alu instid0(VALU_DEP_2)
	v_cmpx_ne_u32_e32 0x7f, v6
	s_cbranch_execz .LBB283_344
; %bb.341:                              ;   in Loop: Header=BB283_15 Depth=1
	v_dual_lshrrev_b32 v1, 3, v6 :: v_dual_bitop2_b32 v0, 7, v4 bitop3:0x40
	s_mov_b32 s19, exec_lo
	v_cmpx_gt_u32_e32 8, v6
; %bb.342:                              ;   in Loop: Header=BB283_15 Depth=1
	s_delay_alu instid0(VALU_DEP_2) | instskip(NEXT) | instid1(VALU_DEP_1)
	v_clz_i32_u32_e32 v0, v0
	v_min_u32_e32 v6, 32, v0
	s_delay_alu instid0(VALU_DEP_1) | instskip(NEXT) | instid1(VALU_DEP_1)
	v_subrev_nc_u32_e32 v0, 28, v6
	v_lshlrev_b64_e32 v[0:1], v0, v[4:5]
	s_delay_alu instid0(VALU_DEP_1)
	v_dual_sub_nc_u32 v1, 29, v6 :: v_dual_bitop2_b32 v0, 7, v0 bitop3:0x40
; %bb.343:                              ;   in Loop: Header=BB283_15 Depth=1
	s_or_b32 exec_lo, exec_lo, s19
	v_lshlrev_b32_e32 v6, 8, v4
	s_delay_alu instid0(VALU_DEP_2) | instskip(NEXT) | instid1(VALU_DEP_3)
	v_lshl_add_u32 v1, v1, 10, 0x2000
	v_lshlrev_b32_e32 v0, 7, v0
	s_delay_alu instid0(VALU_DEP_3) | instskip(NEXT) | instid1(VALU_DEP_3)
	v_and_b32_e32 v6, 0x8000, v6
	v_and_b32_e32 v1, 0xfc00, v1
	s_delay_alu instid0(VALU_DEP_1)
	v_or3_b32 v75, v6, v1, v0
.LBB283_344:                            ;   in Loop: Header=BB283_15 Depth=1
	s_or_b32 exec_lo, exec_lo, s18
.LBB283_345:                            ;   in Loop: Header=BB283_15 Depth=1
	s_delay_alu instid0(SALU_CYCLE_1)
	s_or_b32 exec_lo, exec_lo, s17
.LBB283_346:                            ;   in Loop: Header=BB283_15 Depth=1
	s_delay_alu instid0(SALU_CYCLE_1) | instskip(SKIP_3) | instid1(VALU_DEP_2)
	s_or_b32 exec_lo, exec_lo, s16
	v_lshrrev_b16 v24, 8, v4
	v_dual_mov_b32 v105, 0 :: v_dual_mov_b32 v46, 0
	s_mov_b32 s16, exec_lo
	v_cmpx_ne_u16_e32 0, v24
	s_cbranch_execz .LBB283_354
; %bb.347:                              ;   in Loop: Header=BB283_15 Depth=1
	v_bfrev_b32_e32 v46, 1
	s_mov_b32 s17, exec_lo
	v_cmpx_ne_u16_e32 0x80, v24
	s_cbranch_execz .LBB283_353
; %bb.348:                              ;   in Loop: Header=BB283_15 Depth=1
	v_and_b32_e32 v0, 0xffff, v24
	v_mov_b32_e32 v46, 0x7c010000
	s_mov_b32 s18, exec_lo
	s_delay_alu instid0(VALU_DEP_2) | instskip(NEXT) | instid1(VALU_DEP_1)
	v_and_b32_e32 v8, 0x7f, v0
	v_cmpx_ne_u32_e32 0x7f, v8
	s_cbranch_execz .LBB283_352
; %bb.349:                              ;   in Loop: Header=BB283_15 Depth=1
	v_and_b32_e32 v1, 7, v0
	v_lshrrev_b32_e32 v6, 3, v8
	s_mov_b32 s19, exec_lo
	v_cmpx_gt_u32_e32 8, v8
; %bb.350:                              ;   in Loop: Header=BB283_15 Depth=1
	s_delay_alu instid0(VALU_DEP_3) | instskip(NEXT) | instid1(VALU_DEP_1)
	v_clz_i32_u32_e32 v1, v1
	v_min_u32_e32 v1, 32, v1
	s_delay_alu instid0(VALU_DEP_1) | instskip(NEXT) | instid1(VALU_DEP_1)
	v_subrev_nc_u32_e32 v6, 28, v1
	v_lshlrev_b64_e32 v[8:9], v6, v[24:25]
	s_delay_alu instid0(VALU_DEP_1)
	v_dual_sub_nc_u32 v6, 29, v1 :: v_dual_bitop2_b32 v1, 7, v8 bitop3:0x40
; %bb.351:                              ;   in Loop: Header=BB283_15 Depth=1
	s_or_b32 exec_lo, exec_lo, s19
	s_delay_alu instid0(VALU_DEP_1) | instskip(NEXT) | instid1(VALU_DEP_2)
	v_dual_lshlrev_b32 v0, 8, v0 :: v_dual_lshlrev_b32 v1, 23, v1
	v_lshl_add_u32 v6, v6, 10, 0x2000
	s_delay_alu instid0(VALU_DEP_1) | instskip(NEXT) | instid1(VALU_DEP_1)
	v_and_or_b32 v0, 0x8000, v0, v6
	v_lshl_or_b32 v46, v0, 16, v1
.LBB283_352:                            ;   in Loop: Header=BB283_15 Depth=1
	s_or_b32 exec_lo, exec_lo, s18
.LBB283_353:                            ;   in Loop: Header=BB283_15 Depth=1
	s_delay_alu instid0(SALU_CYCLE_1)
	s_or_b32 exec_lo, exec_lo, s17
.LBB283_354:                            ;   in Loop: Header=BB283_15 Depth=1
	s_delay_alu instid0(SALU_CYCLE_1) | instskip(SKIP_2) | instid1(VALU_DEP_1)
	s_or_b32 exec_lo, exec_lo, s16
	v_lshrrev_b32_e32 v0, 16, v4
	s_mov_b32 s16, exec_lo
	v_and_b32_e32 v1, 0xff, v0
	s_delay_alu instid0(VALU_DEP_1)
	v_cmpx_ne_u16_e32 0, v1
	s_cbranch_execz .LBB283_362
; %bb.355:                              ;   in Loop: Header=BB283_15 Depth=1
	v_mov_b32_e32 v105, 0x8000
	s_mov_b32 s17, exec_lo
	v_cmpx_ne_u16_e32 0x80, v1
	s_cbranch_execz .LBB283_361
; %bb.356:                              ;   in Loop: Header=BB283_15 Depth=1
	v_bfe_u32 v8, v4, 16, 7
	v_mov_b32_e32 v105, 0x7c01
	s_mov_b32 s18, exec_lo
	s_delay_alu instid0(VALU_DEP_2)
	v_cmpx_ne_u32_e32 0x7f, v8
	s_cbranch_execz .LBB283_360
; %bb.357:                              ;   in Loop: Header=BB283_15 Depth=1
	v_and_b32_e32 v1, 7, v0
	v_lshrrev_b32_e32 v6, 3, v8
	s_mov_b32 s19, exec_lo
	v_cmpx_gt_u32_e32 8, v8
; %bb.358:                              ;   in Loop: Header=BB283_15 Depth=1
	s_delay_alu instid0(VALU_DEP_3) | instskip(NEXT) | instid1(VALU_DEP_1)
	v_clz_i32_u32_e32 v1, v1
	v_min_u32_e32 v1, 32, v1
	s_delay_alu instid0(VALU_DEP_1) | instskip(NEXT) | instid1(VALU_DEP_1)
	v_subrev_nc_u32_e32 v6, 28, v1
	v_lshlrev_b64_e32 v[8:9], v6, v[0:1]
	s_delay_alu instid0(VALU_DEP_1)
	v_dual_sub_nc_u32 v6, 29, v1 :: v_dual_bitop2_b32 v1, 7, v8 bitop3:0x40
; %bb.359:                              ;   in Loop: Header=BB283_15 Depth=1
	s_or_b32 exec_lo, exec_lo, s19
	s_delay_alu instid0(VALU_DEP_1) | instskip(NEXT) | instid1(VALU_DEP_2)
	v_dual_lshlrev_b32 v0, 8, v0 :: v_dual_lshlrev_b32 v1, 7, v1
	v_lshl_add_u32 v6, v6, 10, 0x2000
	s_delay_alu instid0(VALU_DEP_2) | instskip(NEXT) | instid1(VALU_DEP_2)
	v_and_b32_e32 v0, 0x8000, v0
	v_and_b32_e32 v6, 0xfc00, v6
	s_delay_alu instid0(VALU_DEP_1)
	v_or3_b32 v105, v0, v6, v1
.LBB283_360:                            ;   in Loop: Header=BB283_15 Depth=1
	s_or_b32 exec_lo, exec_lo, s18
.LBB283_361:                            ;   in Loop: Header=BB283_15 Depth=1
	s_delay_alu instid0(SALU_CYCLE_1)
	s_or_b32 exec_lo, exec_lo, s17
.LBB283_362:                            ;   in Loop: Header=BB283_15 Depth=1
	s_delay_alu instid0(SALU_CYCLE_1)
	s_or_b32 exec_lo, exec_lo, s16
	v_dual_mov_b32 v107, 0 :: v_dual_mov_b32 v57, 0
	s_mov_b32 s16, exec_lo
	v_cmpx_lt_u32_e32 0xffffff, v4
	s_cbranch_execz .LBB283_370
; %bb.363:                              ;   in Loop: Header=BB283_15 Depth=1
	v_lshrrev_b32_e32 v24, 24, v4
	v_bfrev_b32_e32 v57, 1
	s_mov_b32 s17, exec_lo
	s_delay_alu instid0(VALU_DEP_2)
	v_cmpx_ne_u32_e32 0x80, v24
	s_cbranch_execz .LBB283_369
; %bb.364:                              ;   in Loop: Header=BB283_15 Depth=1
	v_and_b32_e32 v6, 0x7f, v24
	v_mov_b32_e32 v57, 0x7c010000
	s_mov_b32 s18, exec_lo
	s_delay_alu instid0(VALU_DEP_2)
	v_cmpx_ne_u32_e32 0x7f, v6
	s_cbranch_execz .LBB283_368
; %bb.365:                              ;   in Loop: Header=BB283_15 Depth=1
	v_dual_lshrrev_b32 v1, 3, v6 :: v_dual_bitop2_b32 v0, 7, v24 bitop3:0x40
	s_mov_b32 s19, exec_lo
	v_cmpx_gt_u32_e32 8, v6
; %bb.366:                              ;   in Loop: Header=BB283_15 Depth=1
	s_delay_alu instid0(VALU_DEP_2) | instskip(NEXT) | instid1(VALU_DEP_1)
	v_clz_i32_u32_e32 v0, v0
	v_min_u32_e32 v6, 32, v0
	s_delay_alu instid0(VALU_DEP_1) | instskip(NEXT) | instid1(VALU_DEP_1)
	v_subrev_nc_u32_e32 v0, 28, v6
	v_lshlrev_b64_e32 v[0:1], v0, v[24:25]
	s_delay_alu instid0(VALU_DEP_1)
	v_dual_sub_nc_u32 v1, 29, v6 :: v_dual_bitop2_b32 v0, 7, v0 bitop3:0x40
; %bb.367:                              ;   in Loop: Header=BB283_15 Depth=1
	s_or_b32 exec_lo, exec_lo, s19
	v_lshlrev_b32_e32 v6, 8, v24
	s_delay_alu instid0(VALU_DEP_2) | instskip(NEXT) | instid1(VALU_DEP_3)
	v_lshl_add_u32 v1, v1, 10, 0x2000
	v_lshlrev_b32_e32 v0, 23, v0
	s_delay_alu instid0(VALU_DEP_2) | instskip(NEXT) | instid1(VALU_DEP_1)
	v_and_or_b32 v1, 0x8000, v6, v1
	v_lshl_or_b32 v57, v1, 16, v0
.LBB283_368:                            ;   in Loop: Header=BB283_15 Depth=1
	s_or_b32 exec_lo, exec_lo, s18
.LBB283_369:                            ;   in Loop: Header=BB283_15 Depth=1
	s_delay_alu instid0(SALU_CYCLE_1)
	s_or_b32 exec_lo, exec_lo, s17
.LBB283_370:                            ;   in Loop: Header=BB283_15 Depth=1
	s_delay_alu instid0(SALU_CYCLE_1) | instskip(SKIP_3) | instid1(VALU_DEP_2)
	s_or_b32 exec_lo, exec_lo, s16
	v_and_b32_e32 v0, 0xff, v5
	v_mov_b32_e32 v24, v5
	s_mov_b32 s16, exec_lo
	v_cmpx_ne_u16_e32 0, v0
	s_cbranch_execz .LBB283_378
; %bb.371:                              ;   in Loop: Header=BB283_15 Depth=1
	v_mov_b32_e32 v107, 0x8000
	s_mov_b32 s17, exec_lo
	v_cmpx_ne_u16_e32 0x80, v0
	s_cbranch_execz .LBB283_377
; %bb.372:                              ;   in Loop: Header=BB283_15 Depth=1
	v_and_b32_e32 v6, 0x7f, v5
	v_mov_b32_e32 v107, 0x7c01
	s_mov_b32 s18, exec_lo
	s_delay_alu instid0(VALU_DEP_2)
	v_cmpx_ne_u32_e32 0x7f, v6
	s_cbranch_execz .LBB283_376
; %bb.373:                              ;   in Loop: Header=BB283_15 Depth=1
	v_dual_lshrrev_b32 v1, 3, v6 :: v_dual_bitop2_b32 v0, 7, v5 bitop3:0x40
	s_mov_b32 s19, exec_lo
	v_cmpx_gt_u32_e32 8, v6
; %bb.374:                              ;   in Loop: Header=BB283_15 Depth=1
	s_delay_alu instid0(VALU_DEP_2) | instskip(NEXT) | instid1(VALU_DEP_1)
	v_clz_i32_u32_e32 v0, v0
	v_min_u32_e32 v6, 32, v0
	s_delay_alu instid0(VALU_DEP_1) | instskip(NEXT) | instid1(VALU_DEP_1)
	v_subrev_nc_u32_e32 v0, 28, v6
	v_lshlrev_b64_e32 v[0:1], v0, v[24:25]
	s_delay_alu instid0(VALU_DEP_1)
	v_dual_sub_nc_u32 v1, 29, v6 :: v_dual_bitop2_b32 v0, 7, v0 bitop3:0x40
; %bb.375:                              ;   in Loop: Header=BB283_15 Depth=1
	s_or_b32 exec_lo, exec_lo, s19
	s_delay_alu instid0(VALU_DEP_1) | instskip(NEXT) | instid1(VALU_DEP_2)
	v_dual_lshlrev_b32 v6, 8, v5 :: v_dual_lshlrev_b32 v0, 7, v0
	v_lshl_add_u32 v1, v1, 10, 0x2000
	s_delay_alu instid0(VALU_DEP_2) | instskip(NEXT) | instid1(VALU_DEP_2)
	v_and_b32_e32 v6, 0x8000, v6
	v_and_b32_e32 v1, 0xfc00, v1
	s_delay_alu instid0(VALU_DEP_1)
	v_or3_b32 v107, v6, v1, v0
.LBB283_376:                            ;   in Loop: Header=BB283_15 Depth=1
	s_or_b32 exec_lo, exec_lo, s18
.LBB283_377:                            ;   in Loop: Header=BB283_15 Depth=1
	s_delay_alu instid0(SALU_CYCLE_1)
	s_or_b32 exec_lo, exec_lo, s17
.LBB283_378:                            ;   in Loop: Header=BB283_15 Depth=1
	s_delay_alu instid0(SALU_CYCLE_1) | instskip(SKIP_3) | instid1(VALU_DEP_2)
	s_or_b32 exec_lo, exec_lo, s16
	v_lshrrev_b16 v24, 8, v24
	v_dual_mov_b32 v123, 0 :: v_dual_mov_b32 v121, 0
	s_mov_b32 s16, exec_lo
	v_cmpx_ne_u16_e32 0, v24
	s_cbranch_execz .LBB283_386
; %bb.379:                              ;   in Loop: Header=BB283_15 Depth=1
	v_bfrev_b32_e32 v121, 1
	s_mov_b32 s17, exec_lo
	v_cmpx_ne_u16_e32 0x80, v24
	s_cbranch_execz .LBB283_385
; %bb.380:                              ;   in Loop: Header=BB283_15 Depth=1
	v_and_b32_e32 v0, 0xffff, v24
	v_mov_b32_e32 v121, 0x7c010000
	s_mov_b32 s18, exec_lo
	s_delay_alu instid0(VALU_DEP_2) | instskip(NEXT) | instid1(VALU_DEP_1)
	v_and_b32_e32 v8, 0x7f, v0
	v_cmpx_ne_u32_e32 0x7f, v8
	s_cbranch_execz .LBB283_384
; %bb.381:                              ;   in Loop: Header=BB283_15 Depth=1
	v_and_b32_e32 v1, 7, v0
	v_lshrrev_b32_e32 v6, 3, v8
	s_mov_b32 s19, exec_lo
	v_cmpx_gt_u32_e32 8, v8
; %bb.382:                              ;   in Loop: Header=BB283_15 Depth=1
	s_delay_alu instid0(VALU_DEP_3) | instskip(NEXT) | instid1(VALU_DEP_1)
	v_clz_i32_u32_e32 v1, v1
	v_min_u32_e32 v1, 32, v1
	s_delay_alu instid0(VALU_DEP_1) | instskip(NEXT) | instid1(VALU_DEP_1)
	v_subrev_nc_u32_e32 v6, 28, v1
	v_lshlrev_b64_e32 v[8:9], v6, v[24:25]
	s_delay_alu instid0(VALU_DEP_1)
	v_dual_sub_nc_u32 v6, 29, v1 :: v_dual_bitop2_b32 v1, 7, v8 bitop3:0x40
; %bb.383:                              ;   in Loop: Header=BB283_15 Depth=1
	s_or_b32 exec_lo, exec_lo, s19
	s_delay_alu instid0(VALU_DEP_1) | instskip(NEXT) | instid1(VALU_DEP_2)
	v_dual_lshlrev_b32 v0, 8, v0 :: v_dual_lshlrev_b32 v1, 23, v1
	v_lshl_add_u32 v6, v6, 10, 0x2000
	s_delay_alu instid0(VALU_DEP_1) | instskip(NEXT) | instid1(VALU_DEP_1)
	v_and_or_b32 v0, 0x8000, v0, v6
	v_lshl_or_b32 v121, v0, 16, v1
.LBB283_384:                            ;   in Loop: Header=BB283_15 Depth=1
	s_or_b32 exec_lo, exec_lo, s18
.LBB283_385:                            ;   in Loop: Header=BB283_15 Depth=1
	s_delay_alu instid0(SALU_CYCLE_1)
	s_or_b32 exec_lo, exec_lo, s17
.LBB283_386:                            ;   in Loop: Header=BB283_15 Depth=1
	s_delay_alu instid0(SALU_CYCLE_1) | instskip(SKIP_2) | instid1(VALU_DEP_1)
	s_or_b32 exec_lo, exec_lo, s16
	v_lshrrev_b32_e32 v0, 16, v5
	s_mov_b32 s16, exec_lo
	v_and_b32_e32 v1, 0xff, v0
	s_delay_alu instid0(VALU_DEP_1)
	v_cmpx_ne_u16_e32 0, v1
	s_cbranch_execz .LBB283_394
; %bb.387:                              ;   in Loop: Header=BB283_15 Depth=1
	v_mov_b32_e32 v123, 0x8000
	s_mov_b32 s17, exec_lo
	v_cmpx_ne_u16_e32 0x80, v1
	s_cbranch_execz .LBB283_393
; %bb.388:                              ;   in Loop: Header=BB283_15 Depth=1
	v_bfe_u32 v8, v5, 16, 7
	v_mov_b32_e32 v123, 0x7c01
	s_mov_b32 s18, exec_lo
	s_delay_alu instid0(VALU_DEP_2)
	v_cmpx_ne_u32_e32 0x7f, v8
	s_cbranch_execz .LBB283_392
; %bb.389:                              ;   in Loop: Header=BB283_15 Depth=1
	v_and_b32_e32 v1, 7, v0
	v_lshrrev_b32_e32 v6, 3, v8
	s_mov_b32 s19, exec_lo
	v_cmpx_gt_u32_e32 8, v8
; %bb.390:                              ;   in Loop: Header=BB283_15 Depth=1
	s_delay_alu instid0(VALU_DEP_3) | instskip(NEXT) | instid1(VALU_DEP_1)
	v_clz_i32_u32_e32 v1, v1
	v_min_u32_e32 v1, 32, v1
	s_delay_alu instid0(VALU_DEP_1) | instskip(NEXT) | instid1(VALU_DEP_1)
	v_subrev_nc_u32_e32 v6, 28, v1
	v_lshlrev_b64_e32 v[8:9], v6, v[0:1]
	s_delay_alu instid0(VALU_DEP_1)
	v_dual_sub_nc_u32 v6, 29, v1 :: v_dual_bitop2_b32 v1, 7, v8 bitop3:0x40
; %bb.391:                              ;   in Loop: Header=BB283_15 Depth=1
	s_or_b32 exec_lo, exec_lo, s19
	s_delay_alu instid0(VALU_DEP_1) | instskip(NEXT) | instid1(VALU_DEP_2)
	v_dual_lshlrev_b32 v0, 8, v0 :: v_dual_lshlrev_b32 v1, 7, v1
	v_lshl_add_u32 v6, v6, 10, 0x2000
	s_delay_alu instid0(VALU_DEP_2) | instskip(NEXT) | instid1(VALU_DEP_2)
	v_and_b32_e32 v0, 0x8000, v0
	v_and_b32_e32 v6, 0xfc00, v6
	s_delay_alu instid0(VALU_DEP_1)
	v_or3_b32 v123, v0, v6, v1
.LBB283_392:                            ;   in Loop: Header=BB283_15 Depth=1
	s_or_b32 exec_lo, exec_lo, s18
.LBB283_393:                            ;   in Loop: Header=BB283_15 Depth=1
	s_delay_alu instid0(SALU_CYCLE_1)
	s_or_b32 exec_lo, exec_lo, s17
.LBB283_394:                            ;   in Loop: Header=BB283_15 Depth=1
	s_delay_alu instid0(SALU_CYCLE_1)
	s_or_b32 exec_lo, exec_lo, s16
	v_dual_mov_b32 v42, 0 :: v_dual_mov_b32 v62, 0
	s_mov_b32 s16, exec_lo
	v_cmpx_lt_u64_e64 s[8:9], v[4:5]
	s_cbranch_execz .LBB283_402
; %bb.395:                              ;   in Loop: Header=BB283_15 Depth=1
	v_lshrrev_b32_e32 v24, 24, v5
	v_bfrev_b32_e32 v62, 1
	s_mov_b32 s17, exec_lo
	s_delay_alu instid0(VALU_DEP_2)
	v_cmpx_ne_u32_e32 0x80, v24
	s_cbranch_execz .LBB283_401
; %bb.396:                              ;   in Loop: Header=BB283_15 Depth=1
	v_and_b32_e32 v4, 0x7f, v24
	v_mov_b32_e32 v62, 0x7c010000
	s_mov_b32 s18, exec_lo
	s_delay_alu instid0(VALU_DEP_2)
	v_cmpx_ne_u32_e32 0x7f, v4
	s_cbranch_execz .LBB283_400
; %bb.397:                              ;   in Loop: Header=BB283_15 Depth=1
	v_and_b32_e32 v0, 7, v24
	v_lshrrev_b32_e32 v1, 3, v4
	s_mov_b32 s19, exec_lo
	v_cmpx_gt_u32_e32 8, v4
; %bb.398:                              ;   in Loop: Header=BB283_15 Depth=1
	s_delay_alu instid0(VALU_DEP_3) | instskip(NEXT) | instid1(VALU_DEP_1)
	v_clz_i32_u32_e32 v0, v0
	v_min_u32_e32 v4, 32, v0
	s_delay_alu instid0(VALU_DEP_1) | instskip(NEXT) | instid1(VALU_DEP_1)
	v_subrev_nc_u32_e32 v0, 28, v4
	v_lshlrev_b64_e32 v[0:1], v0, v[24:25]
	v_sub_nc_u32_e32 v1, 29, v4
	s_delay_alu instid0(VALU_DEP_2)
	v_and_b32_e32 v0, 7, v0
; %bb.399:                              ;   in Loop: Header=BB283_15 Depth=1
	s_or_b32 exec_lo, exec_lo, s19
	v_lshlrev_b32_e32 v4, 8, v24
	s_delay_alu instid0(VALU_DEP_3) | instskip(NEXT) | instid1(VALU_DEP_3)
	v_lshl_add_u32 v1, v1, 10, 0x2000
	v_lshlrev_b32_e32 v0, 23, v0
	s_delay_alu instid0(VALU_DEP_2) | instskip(NEXT) | instid1(VALU_DEP_1)
	v_and_or_b32 v1, 0x8000, v4, v1
	v_lshl_or_b32 v62, v1, 16, v0
.LBB283_400:                            ;   in Loop: Header=BB283_15 Depth=1
	s_or_b32 exec_lo, exec_lo, s18
.LBB283_401:                            ;   in Loop: Header=BB283_15 Depth=1
	s_delay_alu instid0(SALU_CYCLE_1)
	s_or_b32 exec_lo, exec_lo, s17
.LBB283_402:                            ;   in Loop: Header=BB283_15 Depth=1
	s_delay_alu instid0(SALU_CYCLE_1)
	s_or_b32 exec_lo, exec_lo, s16
	flat_load_b64 v[4:5], v[2:3] offset:1536
	s_mov_b32 s16, exec_lo
	s_wait_loadcnt_dscnt 0x0
	v_and_b32_e32 v0, 0xff, v4
	s_wait_xcnt 0x0
	s_delay_alu instid0(VALU_DEP_1)
	v_cmpx_ne_u16_e32 0, v0
	s_cbranch_execz .LBB283_410
; %bb.403:                              ;   in Loop: Header=BB283_15 Depth=1
	v_mov_b32_e32 v42, 0x8000
	s_mov_b32 s17, exec_lo
	v_cmpx_ne_u16_e32 0x80, v0
	s_cbranch_execz .LBB283_409
; %bb.404:                              ;   in Loop: Header=BB283_15 Depth=1
	v_and_b32_e32 v6, 0x7f, v4
	v_mov_b32_e32 v42, 0x7c01
	s_mov_b32 s18, exec_lo
	s_delay_alu instid0(VALU_DEP_2)
	v_cmpx_ne_u32_e32 0x7f, v6
	s_cbranch_execz .LBB283_408
; %bb.405:                              ;   in Loop: Header=BB283_15 Depth=1
	v_dual_lshrrev_b32 v1, 3, v6 :: v_dual_bitop2_b32 v0, 7, v4 bitop3:0x40
	s_mov_b32 s19, exec_lo
	v_cmpx_gt_u32_e32 8, v6
; %bb.406:                              ;   in Loop: Header=BB283_15 Depth=1
	s_delay_alu instid0(VALU_DEP_2) | instskip(NEXT) | instid1(VALU_DEP_1)
	v_clz_i32_u32_e32 v0, v0
	v_min_u32_e32 v6, 32, v0
	s_delay_alu instid0(VALU_DEP_1) | instskip(NEXT) | instid1(VALU_DEP_1)
	v_subrev_nc_u32_e32 v0, 28, v6
	v_lshlrev_b64_e32 v[0:1], v0, v[4:5]
	s_delay_alu instid0(VALU_DEP_1)
	v_dual_sub_nc_u32 v1, 29, v6 :: v_dual_bitop2_b32 v0, 7, v0 bitop3:0x40
; %bb.407:                              ;   in Loop: Header=BB283_15 Depth=1
	s_or_b32 exec_lo, exec_lo, s19
	v_lshlrev_b32_e32 v6, 8, v4
	s_delay_alu instid0(VALU_DEP_2) | instskip(NEXT) | instid1(VALU_DEP_3)
	v_lshl_add_u32 v1, v1, 10, 0x2000
	v_lshlrev_b32_e32 v0, 7, v0
	s_delay_alu instid0(VALU_DEP_3) | instskip(NEXT) | instid1(VALU_DEP_3)
	v_and_b32_e32 v6, 0x8000, v6
	v_and_b32_e32 v1, 0xfc00, v1
	s_delay_alu instid0(VALU_DEP_1)
	v_or3_b32 v42, v6, v1, v0
.LBB283_408:                            ;   in Loop: Header=BB283_15 Depth=1
	s_or_b32 exec_lo, exec_lo, s18
.LBB283_409:                            ;   in Loop: Header=BB283_15 Depth=1
	s_delay_alu instid0(SALU_CYCLE_1)
	s_or_b32 exec_lo, exec_lo, s17
.LBB283_410:                            ;   in Loop: Header=BB283_15 Depth=1
	s_delay_alu instid0(SALU_CYCLE_1) | instskip(SKIP_3) | instid1(VALU_DEP_2)
	s_or_b32 exec_lo, exec_lo, s16
	v_lshrrev_b16 v24, 8, v4
	v_dual_mov_b32 v80, 0 :: v_dual_mov_b32 v72, 0
	s_mov_b32 s16, exec_lo
	v_cmpx_ne_u16_e32 0, v24
	s_cbranch_execz .LBB283_418
; %bb.411:                              ;   in Loop: Header=BB283_15 Depth=1
	v_bfrev_b32_e32 v72, 1
	s_mov_b32 s17, exec_lo
	v_cmpx_ne_u16_e32 0x80, v24
	s_cbranch_execz .LBB283_417
; %bb.412:                              ;   in Loop: Header=BB283_15 Depth=1
	v_and_b32_e32 v0, 0xffff, v24
	v_mov_b32_e32 v72, 0x7c010000
	s_mov_b32 s18, exec_lo
	s_delay_alu instid0(VALU_DEP_2) | instskip(NEXT) | instid1(VALU_DEP_1)
	v_and_b32_e32 v8, 0x7f, v0
	v_cmpx_ne_u32_e32 0x7f, v8
	s_cbranch_execz .LBB283_416
; %bb.413:                              ;   in Loop: Header=BB283_15 Depth=1
	v_and_b32_e32 v1, 7, v0
	v_lshrrev_b32_e32 v6, 3, v8
	s_mov_b32 s19, exec_lo
	v_cmpx_gt_u32_e32 8, v8
; %bb.414:                              ;   in Loop: Header=BB283_15 Depth=1
	s_delay_alu instid0(VALU_DEP_3) | instskip(NEXT) | instid1(VALU_DEP_1)
	v_clz_i32_u32_e32 v1, v1
	v_min_u32_e32 v1, 32, v1
	s_delay_alu instid0(VALU_DEP_1) | instskip(NEXT) | instid1(VALU_DEP_1)
	v_subrev_nc_u32_e32 v6, 28, v1
	v_lshlrev_b64_e32 v[8:9], v6, v[24:25]
	s_delay_alu instid0(VALU_DEP_1)
	v_dual_sub_nc_u32 v6, 29, v1 :: v_dual_bitop2_b32 v1, 7, v8 bitop3:0x40
; %bb.415:                              ;   in Loop: Header=BB283_15 Depth=1
	s_or_b32 exec_lo, exec_lo, s19
	s_delay_alu instid0(VALU_DEP_1) | instskip(NEXT) | instid1(VALU_DEP_2)
	v_dual_lshlrev_b32 v0, 8, v0 :: v_dual_lshlrev_b32 v1, 23, v1
	v_lshl_add_u32 v6, v6, 10, 0x2000
	s_delay_alu instid0(VALU_DEP_1) | instskip(NEXT) | instid1(VALU_DEP_1)
	v_and_or_b32 v0, 0x8000, v0, v6
	v_lshl_or_b32 v72, v0, 16, v1
.LBB283_416:                            ;   in Loop: Header=BB283_15 Depth=1
	s_or_b32 exec_lo, exec_lo, s18
.LBB283_417:                            ;   in Loop: Header=BB283_15 Depth=1
	s_delay_alu instid0(SALU_CYCLE_1)
	s_or_b32 exec_lo, exec_lo, s17
.LBB283_418:                            ;   in Loop: Header=BB283_15 Depth=1
	s_delay_alu instid0(SALU_CYCLE_1) | instskip(SKIP_2) | instid1(VALU_DEP_1)
	s_or_b32 exec_lo, exec_lo, s16
	v_lshrrev_b32_e32 v0, 16, v4
	s_mov_b32 s16, exec_lo
	v_and_b32_e32 v1, 0xff, v0
	s_delay_alu instid0(VALU_DEP_1)
	v_cmpx_ne_u16_e32 0, v1
	s_cbranch_execz .LBB283_426
; %bb.419:                              ;   in Loop: Header=BB283_15 Depth=1
	v_mov_b32_e32 v80, 0x8000
	s_mov_b32 s17, exec_lo
	v_cmpx_ne_u16_e32 0x80, v1
	s_cbranch_execz .LBB283_425
; %bb.420:                              ;   in Loop: Header=BB283_15 Depth=1
	v_bfe_u32 v8, v4, 16, 7
	v_mov_b32_e32 v80, 0x7c01
	s_mov_b32 s18, exec_lo
	s_delay_alu instid0(VALU_DEP_2)
	v_cmpx_ne_u32_e32 0x7f, v8
	s_cbranch_execz .LBB283_424
; %bb.421:                              ;   in Loop: Header=BB283_15 Depth=1
	v_and_b32_e32 v1, 7, v0
	v_lshrrev_b32_e32 v6, 3, v8
	s_mov_b32 s19, exec_lo
	v_cmpx_gt_u32_e32 8, v8
; %bb.422:                              ;   in Loop: Header=BB283_15 Depth=1
	s_delay_alu instid0(VALU_DEP_3) | instskip(NEXT) | instid1(VALU_DEP_1)
	v_clz_i32_u32_e32 v1, v1
	v_min_u32_e32 v1, 32, v1
	s_delay_alu instid0(VALU_DEP_1) | instskip(NEXT) | instid1(VALU_DEP_1)
	v_subrev_nc_u32_e32 v6, 28, v1
	v_lshlrev_b64_e32 v[8:9], v6, v[0:1]
	s_delay_alu instid0(VALU_DEP_1)
	v_dual_sub_nc_u32 v6, 29, v1 :: v_dual_bitop2_b32 v1, 7, v8 bitop3:0x40
; %bb.423:                              ;   in Loop: Header=BB283_15 Depth=1
	s_or_b32 exec_lo, exec_lo, s19
	s_delay_alu instid0(VALU_DEP_1) | instskip(NEXT) | instid1(VALU_DEP_2)
	v_dual_lshlrev_b32 v0, 8, v0 :: v_dual_lshlrev_b32 v1, 7, v1
	v_lshl_add_u32 v6, v6, 10, 0x2000
	s_delay_alu instid0(VALU_DEP_2) | instskip(NEXT) | instid1(VALU_DEP_2)
	v_and_b32_e32 v0, 0x8000, v0
	v_and_b32_e32 v6, 0xfc00, v6
	s_delay_alu instid0(VALU_DEP_1)
	v_or3_b32 v80, v0, v6, v1
.LBB283_424:                            ;   in Loop: Header=BB283_15 Depth=1
	s_or_b32 exec_lo, exec_lo, s18
.LBB283_425:                            ;   in Loop: Header=BB283_15 Depth=1
	s_delay_alu instid0(SALU_CYCLE_1)
	s_or_b32 exec_lo, exec_lo, s17
.LBB283_426:                            ;   in Loop: Header=BB283_15 Depth=1
	s_delay_alu instid0(SALU_CYCLE_1)
	s_or_b32 exec_lo, exec_lo, s16
	v_dual_mov_b32 v73, 0 :: v_dual_mov_b32 v74, 0
	s_mov_b32 s16, exec_lo
	v_cmpx_lt_u32_e32 0xffffff, v4
	s_cbranch_execz .LBB283_434
; %bb.427:                              ;   in Loop: Header=BB283_15 Depth=1
	v_lshrrev_b32_e32 v24, 24, v4
	v_bfrev_b32_e32 v74, 1
	s_mov_b32 s17, exec_lo
	s_delay_alu instid0(VALU_DEP_2)
	v_cmpx_ne_u32_e32 0x80, v24
	s_cbranch_execz .LBB283_433
; %bb.428:                              ;   in Loop: Header=BB283_15 Depth=1
	v_and_b32_e32 v6, 0x7f, v24
	v_mov_b32_e32 v74, 0x7c010000
	s_mov_b32 s18, exec_lo
	s_delay_alu instid0(VALU_DEP_2)
	v_cmpx_ne_u32_e32 0x7f, v6
	s_cbranch_execz .LBB283_432
; %bb.429:                              ;   in Loop: Header=BB283_15 Depth=1
	v_dual_lshrrev_b32 v1, 3, v6 :: v_dual_bitop2_b32 v0, 7, v24 bitop3:0x40
	s_mov_b32 s19, exec_lo
	v_cmpx_gt_u32_e32 8, v6
; %bb.430:                              ;   in Loop: Header=BB283_15 Depth=1
	s_delay_alu instid0(VALU_DEP_2) | instskip(NEXT) | instid1(VALU_DEP_1)
	v_clz_i32_u32_e32 v0, v0
	v_min_u32_e32 v6, 32, v0
	s_delay_alu instid0(VALU_DEP_1) | instskip(NEXT) | instid1(VALU_DEP_1)
	v_subrev_nc_u32_e32 v0, 28, v6
	v_lshlrev_b64_e32 v[0:1], v0, v[24:25]
	s_delay_alu instid0(VALU_DEP_1)
	v_dual_sub_nc_u32 v1, 29, v6 :: v_dual_bitop2_b32 v0, 7, v0 bitop3:0x40
; %bb.431:                              ;   in Loop: Header=BB283_15 Depth=1
	s_or_b32 exec_lo, exec_lo, s19
	v_lshlrev_b32_e32 v6, 8, v24
	s_delay_alu instid0(VALU_DEP_2) | instskip(NEXT) | instid1(VALU_DEP_3)
	v_lshl_add_u32 v1, v1, 10, 0x2000
	v_lshlrev_b32_e32 v0, 23, v0
	s_delay_alu instid0(VALU_DEP_2) | instskip(NEXT) | instid1(VALU_DEP_1)
	v_and_or_b32 v1, 0x8000, v6, v1
	v_lshl_or_b32 v74, v1, 16, v0
.LBB283_432:                            ;   in Loop: Header=BB283_15 Depth=1
	s_or_b32 exec_lo, exec_lo, s18
.LBB283_433:                            ;   in Loop: Header=BB283_15 Depth=1
	s_delay_alu instid0(SALU_CYCLE_1)
	s_or_b32 exec_lo, exec_lo, s17
.LBB283_434:                            ;   in Loop: Header=BB283_15 Depth=1
	s_delay_alu instid0(SALU_CYCLE_1) | instskip(SKIP_3) | instid1(VALU_DEP_2)
	s_or_b32 exec_lo, exec_lo, s16
	v_and_b32_e32 v0, 0xff, v5
	v_mov_b32_e32 v24, v5
	s_mov_b32 s16, exec_lo
	v_cmpx_ne_u16_e32 0, v0
	s_cbranch_execz .LBB283_442
; %bb.435:                              ;   in Loop: Header=BB283_15 Depth=1
	v_mov_b32_e32 v73, 0x8000
	s_mov_b32 s17, exec_lo
	v_cmpx_ne_u16_e32 0x80, v0
	s_cbranch_execz .LBB283_441
; %bb.436:                              ;   in Loop: Header=BB283_15 Depth=1
	v_and_b32_e32 v6, 0x7f, v5
	v_mov_b32_e32 v73, 0x7c01
	s_mov_b32 s18, exec_lo
	s_delay_alu instid0(VALU_DEP_2)
	v_cmpx_ne_u32_e32 0x7f, v6
	s_cbranch_execz .LBB283_440
; %bb.437:                              ;   in Loop: Header=BB283_15 Depth=1
	v_dual_lshrrev_b32 v1, 3, v6 :: v_dual_bitop2_b32 v0, 7, v5 bitop3:0x40
	s_mov_b32 s19, exec_lo
	v_cmpx_gt_u32_e32 8, v6
; %bb.438:                              ;   in Loop: Header=BB283_15 Depth=1
	s_delay_alu instid0(VALU_DEP_2) | instskip(NEXT) | instid1(VALU_DEP_1)
	v_clz_i32_u32_e32 v0, v0
	v_min_u32_e32 v6, 32, v0
	s_delay_alu instid0(VALU_DEP_1) | instskip(NEXT) | instid1(VALU_DEP_1)
	v_subrev_nc_u32_e32 v0, 28, v6
	v_lshlrev_b64_e32 v[0:1], v0, v[24:25]
	s_delay_alu instid0(VALU_DEP_1)
	v_dual_sub_nc_u32 v1, 29, v6 :: v_dual_bitop2_b32 v0, 7, v0 bitop3:0x40
; %bb.439:                              ;   in Loop: Header=BB283_15 Depth=1
	s_or_b32 exec_lo, exec_lo, s19
	s_delay_alu instid0(VALU_DEP_1) | instskip(NEXT) | instid1(VALU_DEP_2)
	v_dual_lshlrev_b32 v6, 8, v5 :: v_dual_lshlrev_b32 v0, 7, v0
	v_lshl_add_u32 v1, v1, 10, 0x2000
	s_delay_alu instid0(VALU_DEP_2) | instskip(NEXT) | instid1(VALU_DEP_2)
	v_and_b32_e32 v6, 0x8000, v6
	v_and_b32_e32 v1, 0xfc00, v1
	s_delay_alu instid0(VALU_DEP_1)
	v_or3_b32 v73, v6, v1, v0
.LBB283_440:                            ;   in Loop: Header=BB283_15 Depth=1
	s_or_b32 exec_lo, exec_lo, s18
.LBB283_441:                            ;   in Loop: Header=BB283_15 Depth=1
	s_delay_alu instid0(SALU_CYCLE_1)
	s_or_b32 exec_lo, exec_lo, s17
.LBB283_442:                            ;   in Loop: Header=BB283_15 Depth=1
	s_delay_alu instid0(SALU_CYCLE_1) | instskip(SKIP_3) | instid1(VALU_DEP_2)
	s_or_b32 exec_lo, exec_lo, s16
	v_lshrrev_b16 v24, 8, v24
	v_dual_mov_b32 v43, 0 :: v_dual_mov_b32 v70, 0
	s_mov_b32 s16, exec_lo
	v_cmpx_ne_u16_e32 0, v24
	s_cbranch_execz .LBB283_450
; %bb.443:                              ;   in Loop: Header=BB283_15 Depth=1
	v_bfrev_b32_e32 v70, 1
	s_mov_b32 s17, exec_lo
	v_cmpx_ne_u16_e32 0x80, v24
	s_cbranch_execz .LBB283_449
; %bb.444:                              ;   in Loop: Header=BB283_15 Depth=1
	v_and_b32_e32 v0, 0xffff, v24
	v_mov_b32_e32 v70, 0x7c010000
	s_mov_b32 s18, exec_lo
	s_delay_alu instid0(VALU_DEP_2) | instskip(NEXT) | instid1(VALU_DEP_1)
	v_and_b32_e32 v8, 0x7f, v0
	v_cmpx_ne_u32_e32 0x7f, v8
	s_cbranch_execz .LBB283_448
; %bb.445:                              ;   in Loop: Header=BB283_15 Depth=1
	v_and_b32_e32 v1, 7, v0
	v_lshrrev_b32_e32 v6, 3, v8
	s_mov_b32 s19, exec_lo
	v_cmpx_gt_u32_e32 8, v8
; %bb.446:                              ;   in Loop: Header=BB283_15 Depth=1
	s_delay_alu instid0(VALU_DEP_3) | instskip(NEXT) | instid1(VALU_DEP_1)
	v_clz_i32_u32_e32 v1, v1
	v_min_u32_e32 v1, 32, v1
	s_delay_alu instid0(VALU_DEP_1) | instskip(NEXT) | instid1(VALU_DEP_1)
	v_subrev_nc_u32_e32 v6, 28, v1
	v_lshlrev_b64_e32 v[8:9], v6, v[24:25]
	s_delay_alu instid0(VALU_DEP_1)
	v_dual_sub_nc_u32 v6, 29, v1 :: v_dual_bitop2_b32 v1, 7, v8 bitop3:0x40
; %bb.447:                              ;   in Loop: Header=BB283_15 Depth=1
	s_or_b32 exec_lo, exec_lo, s19
	s_delay_alu instid0(VALU_DEP_1) | instskip(NEXT) | instid1(VALU_DEP_2)
	v_dual_lshlrev_b32 v0, 8, v0 :: v_dual_lshlrev_b32 v1, 23, v1
	v_lshl_add_u32 v6, v6, 10, 0x2000
	s_delay_alu instid0(VALU_DEP_1) | instskip(NEXT) | instid1(VALU_DEP_1)
	v_and_or_b32 v0, 0x8000, v0, v6
	v_lshl_or_b32 v70, v0, 16, v1
.LBB283_448:                            ;   in Loop: Header=BB283_15 Depth=1
	s_or_b32 exec_lo, exec_lo, s18
.LBB283_449:                            ;   in Loop: Header=BB283_15 Depth=1
	s_delay_alu instid0(SALU_CYCLE_1)
	s_or_b32 exec_lo, exec_lo, s17
.LBB283_450:                            ;   in Loop: Header=BB283_15 Depth=1
	s_delay_alu instid0(SALU_CYCLE_1) | instskip(SKIP_2) | instid1(VALU_DEP_1)
	s_or_b32 exec_lo, exec_lo, s16
	v_lshrrev_b32_e32 v0, 16, v5
	s_mov_b32 s16, exec_lo
	v_and_b32_e32 v1, 0xff, v0
	s_delay_alu instid0(VALU_DEP_1)
	v_cmpx_ne_u16_e32 0, v1
	s_cbranch_execz .LBB283_458
; %bb.451:                              ;   in Loop: Header=BB283_15 Depth=1
	v_mov_b32_e32 v43, 0x8000
	s_mov_b32 s17, exec_lo
	v_cmpx_ne_u16_e32 0x80, v1
	s_cbranch_execz .LBB283_457
; %bb.452:                              ;   in Loop: Header=BB283_15 Depth=1
	v_bfe_u32 v8, v5, 16, 7
	v_mov_b32_e32 v43, 0x7c01
	s_mov_b32 s18, exec_lo
	s_delay_alu instid0(VALU_DEP_2)
	v_cmpx_ne_u32_e32 0x7f, v8
	s_cbranch_execz .LBB283_456
; %bb.453:                              ;   in Loop: Header=BB283_15 Depth=1
	v_and_b32_e32 v1, 7, v0
	v_lshrrev_b32_e32 v6, 3, v8
	s_mov_b32 s19, exec_lo
	v_cmpx_gt_u32_e32 8, v8
; %bb.454:                              ;   in Loop: Header=BB283_15 Depth=1
	s_delay_alu instid0(VALU_DEP_3) | instskip(NEXT) | instid1(VALU_DEP_1)
	v_clz_i32_u32_e32 v1, v1
	v_min_u32_e32 v1, 32, v1
	s_delay_alu instid0(VALU_DEP_1) | instskip(NEXT) | instid1(VALU_DEP_1)
	v_subrev_nc_u32_e32 v6, 28, v1
	v_lshlrev_b64_e32 v[8:9], v6, v[0:1]
	s_delay_alu instid0(VALU_DEP_1)
	v_dual_sub_nc_u32 v6, 29, v1 :: v_dual_bitop2_b32 v1, 7, v8 bitop3:0x40
; %bb.455:                              ;   in Loop: Header=BB283_15 Depth=1
	s_or_b32 exec_lo, exec_lo, s19
	s_delay_alu instid0(VALU_DEP_1) | instskip(NEXT) | instid1(VALU_DEP_2)
	v_dual_lshlrev_b32 v0, 8, v0 :: v_dual_lshlrev_b32 v1, 7, v1
	v_lshl_add_u32 v6, v6, 10, 0x2000
	s_delay_alu instid0(VALU_DEP_2) | instskip(NEXT) | instid1(VALU_DEP_2)
	v_and_b32_e32 v0, 0x8000, v0
	v_and_b32_e32 v6, 0xfc00, v6
	s_delay_alu instid0(VALU_DEP_1)
	v_or3_b32 v43, v0, v6, v1
.LBB283_456:                            ;   in Loop: Header=BB283_15 Depth=1
	s_or_b32 exec_lo, exec_lo, s18
.LBB283_457:                            ;   in Loop: Header=BB283_15 Depth=1
	s_delay_alu instid0(SALU_CYCLE_1)
	s_or_b32 exec_lo, exec_lo, s17
.LBB283_458:                            ;   in Loop: Header=BB283_15 Depth=1
	s_delay_alu instid0(SALU_CYCLE_1)
	s_or_b32 exec_lo, exec_lo, s16
	v_dual_mov_b32 v81, 0 :: v_dual_mov_b32 v78, 0
	s_mov_b32 s16, exec_lo
	v_cmpx_lt_u64_e64 s[8:9], v[4:5]
	s_cbranch_execz .LBB283_466
; %bb.459:                              ;   in Loop: Header=BB283_15 Depth=1
	v_lshrrev_b32_e32 v24, 24, v5
	v_bfrev_b32_e32 v78, 1
	s_mov_b32 s17, exec_lo
	s_delay_alu instid0(VALU_DEP_2)
	v_cmpx_ne_u32_e32 0x80, v24
	s_cbranch_execz .LBB283_465
; %bb.460:                              ;   in Loop: Header=BB283_15 Depth=1
	v_and_b32_e32 v4, 0x7f, v24
	v_mov_b32_e32 v78, 0x7c010000
	s_mov_b32 s18, exec_lo
	s_delay_alu instid0(VALU_DEP_2)
	v_cmpx_ne_u32_e32 0x7f, v4
	s_cbranch_execz .LBB283_464
; %bb.461:                              ;   in Loop: Header=BB283_15 Depth=1
	v_and_b32_e32 v0, 7, v24
	v_lshrrev_b32_e32 v1, 3, v4
	s_mov_b32 s19, exec_lo
	v_cmpx_gt_u32_e32 8, v4
; %bb.462:                              ;   in Loop: Header=BB283_15 Depth=1
	s_delay_alu instid0(VALU_DEP_3) | instskip(NEXT) | instid1(VALU_DEP_1)
	v_clz_i32_u32_e32 v0, v0
	v_min_u32_e32 v4, 32, v0
	s_delay_alu instid0(VALU_DEP_1) | instskip(NEXT) | instid1(VALU_DEP_1)
	v_subrev_nc_u32_e32 v0, 28, v4
	v_lshlrev_b64_e32 v[0:1], v0, v[24:25]
	v_sub_nc_u32_e32 v1, 29, v4
	s_delay_alu instid0(VALU_DEP_2)
	v_and_b32_e32 v0, 7, v0
; %bb.463:                              ;   in Loop: Header=BB283_15 Depth=1
	s_or_b32 exec_lo, exec_lo, s19
	v_lshlrev_b32_e32 v4, 8, v24
	s_delay_alu instid0(VALU_DEP_3) | instskip(NEXT) | instid1(VALU_DEP_3)
	v_lshl_add_u32 v1, v1, 10, 0x2000
	v_lshlrev_b32_e32 v0, 23, v0
	s_delay_alu instid0(VALU_DEP_2) | instskip(NEXT) | instid1(VALU_DEP_1)
	v_and_or_b32 v1, 0x8000, v4, v1
	v_lshl_or_b32 v78, v1, 16, v0
.LBB283_464:                            ;   in Loop: Header=BB283_15 Depth=1
	s_or_b32 exec_lo, exec_lo, s18
.LBB283_465:                            ;   in Loop: Header=BB283_15 Depth=1
	s_delay_alu instid0(SALU_CYCLE_1)
	s_or_b32 exec_lo, exec_lo, s17
.LBB283_466:                            ;   in Loop: Header=BB283_15 Depth=1
	s_delay_alu instid0(SALU_CYCLE_1)
	s_or_b32 exec_lo, exec_lo, s16
	flat_load_b64 v[4:5], v[2:3] offset:1544
	s_mov_b32 s16, exec_lo
	s_wait_loadcnt_dscnt 0x0
	v_and_b32_e32 v0, 0xff, v4
	s_wait_xcnt 0x0
	s_delay_alu instid0(VALU_DEP_1)
	v_cmpx_ne_u16_e32 0, v0
	s_cbranch_execz .LBB283_474
; %bb.467:                              ;   in Loop: Header=BB283_15 Depth=1
	v_mov_b32_e32 v81, 0x8000
	s_mov_b32 s17, exec_lo
	v_cmpx_ne_u16_e32 0x80, v0
	s_cbranch_execz .LBB283_473
; %bb.468:                              ;   in Loop: Header=BB283_15 Depth=1
	v_and_b32_e32 v6, 0x7f, v4
	v_mov_b32_e32 v81, 0x7c01
	s_mov_b32 s18, exec_lo
	s_delay_alu instid0(VALU_DEP_2)
	v_cmpx_ne_u32_e32 0x7f, v6
	s_cbranch_execz .LBB283_472
; %bb.469:                              ;   in Loop: Header=BB283_15 Depth=1
	v_dual_lshrrev_b32 v1, 3, v6 :: v_dual_bitop2_b32 v0, 7, v4 bitop3:0x40
	s_mov_b32 s19, exec_lo
	v_cmpx_gt_u32_e32 8, v6
; %bb.470:                              ;   in Loop: Header=BB283_15 Depth=1
	s_delay_alu instid0(VALU_DEP_2) | instskip(NEXT) | instid1(VALU_DEP_1)
	v_clz_i32_u32_e32 v0, v0
	v_min_u32_e32 v6, 32, v0
	s_delay_alu instid0(VALU_DEP_1) | instskip(NEXT) | instid1(VALU_DEP_1)
	v_subrev_nc_u32_e32 v0, 28, v6
	v_lshlrev_b64_e32 v[0:1], v0, v[4:5]
	s_delay_alu instid0(VALU_DEP_1)
	v_dual_sub_nc_u32 v1, 29, v6 :: v_dual_bitop2_b32 v0, 7, v0 bitop3:0x40
; %bb.471:                              ;   in Loop: Header=BB283_15 Depth=1
	s_or_b32 exec_lo, exec_lo, s19
	v_lshlrev_b32_e32 v6, 8, v4
	s_delay_alu instid0(VALU_DEP_2) | instskip(NEXT) | instid1(VALU_DEP_3)
	v_lshl_add_u32 v1, v1, 10, 0x2000
	v_lshlrev_b32_e32 v0, 7, v0
	s_delay_alu instid0(VALU_DEP_3) | instskip(NEXT) | instid1(VALU_DEP_3)
	v_and_b32_e32 v6, 0x8000, v6
	v_and_b32_e32 v1, 0xfc00, v1
	s_delay_alu instid0(VALU_DEP_1)
	v_or3_b32 v81, v6, v1, v0
.LBB283_472:                            ;   in Loop: Header=BB283_15 Depth=1
	s_or_b32 exec_lo, exec_lo, s18
.LBB283_473:                            ;   in Loop: Header=BB283_15 Depth=1
	s_delay_alu instid0(SALU_CYCLE_1)
	s_or_b32 exec_lo, exec_lo, s17
.LBB283_474:                            ;   in Loop: Header=BB283_15 Depth=1
	s_delay_alu instid0(SALU_CYCLE_1) | instskip(SKIP_3) | instid1(VALU_DEP_2)
	s_or_b32 exec_lo, exec_lo, s16
	v_lshrrev_b16 v24, 8, v4
	v_dual_mov_b32 v83, 0 :: v_dual_mov_b32 v88, 0
	s_mov_b32 s16, exec_lo
	v_cmpx_ne_u16_e32 0, v24
	s_cbranch_execz .LBB283_482
; %bb.475:                              ;   in Loop: Header=BB283_15 Depth=1
	v_bfrev_b32_e32 v88, 1
	s_mov_b32 s17, exec_lo
	v_cmpx_ne_u16_e32 0x80, v24
	s_cbranch_execz .LBB283_481
; %bb.476:                              ;   in Loop: Header=BB283_15 Depth=1
	v_and_b32_e32 v0, 0xffff, v24
	v_mov_b32_e32 v88, 0x7c010000
	s_mov_b32 s18, exec_lo
	s_delay_alu instid0(VALU_DEP_2) | instskip(NEXT) | instid1(VALU_DEP_1)
	v_and_b32_e32 v8, 0x7f, v0
	v_cmpx_ne_u32_e32 0x7f, v8
	s_cbranch_execz .LBB283_480
; %bb.477:                              ;   in Loop: Header=BB283_15 Depth=1
	v_and_b32_e32 v1, 7, v0
	v_lshrrev_b32_e32 v6, 3, v8
	s_mov_b32 s19, exec_lo
	v_cmpx_gt_u32_e32 8, v8
; %bb.478:                              ;   in Loop: Header=BB283_15 Depth=1
	s_delay_alu instid0(VALU_DEP_3) | instskip(NEXT) | instid1(VALU_DEP_1)
	v_clz_i32_u32_e32 v1, v1
	v_min_u32_e32 v1, 32, v1
	s_delay_alu instid0(VALU_DEP_1) | instskip(NEXT) | instid1(VALU_DEP_1)
	v_subrev_nc_u32_e32 v6, 28, v1
	v_lshlrev_b64_e32 v[8:9], v6, v[24:25]
	s_delay_alu instid0(VALU_DEP_1)
	v_dual_sub_nc_u32 v6, 29, v1 :: v_dual_bitop2_b32 v1, 7, v8 bitop3:0x40
; %bb.479:                              ;   in Loop: Header=BB283_15 Depth=1
	s_or_b32 exec_lo, exec_lo, s19
	s_delay_alu instid0(VALU_DEP_1) | instskip(NEXT) | instid1(VALU_DEP_2)
	v_dual_lshlrev_b32 v0, 8, v0 :: v_dual_lshlrev_b32 v1, 23, v1
	v_lshl_add_u32 v6, v6, 10, 0x2000
	s_delay_alu instid0(VALU_DEP_1) | instskip(NEXT) | instid1(VALU_DEP_1)
	v_and_or_b32 v0, 0x8000, v0, v6
	v_lshl_or_b32 v88, v0, 16, v1
.LBB283_480:                            ;   in Loop: Header=BB283_15 Depth=1
	s_or_b32 exec_lo, exec_lo, s18
.LBB283_481:                            ;   in Loop: Header=BB283_15 Depth=1
	s_delay_alu instid0(SALU_CYCLE_1)
	s_or_b32 exec_lo, exec_lo, s17
.LBB283_482:                            ;   in Loop: Header=BB283_15 Depth=1
	s_delay_alu instid0(SALU_CYCLE_1) | instskip(SKIP_2) | instid1(VALU_DEP_1)
	s_or_b32 exec_lo, exec_lo, s16
	v_lshrrev_b32_e32 v0, 16, v4
	s_mov_b32 s16, exec_lo
	v_and_b32_e32 v1, 0xff, v0
	s_delay_alu instid0(VALU_DEP_1)
	v_cmpx_ne_u16_e32 0, v1
	s_cbranch_execz .LBB283_490
; %bb.483:                              ;   in Loop: Header=BB283_15 Depth=1
	v_mov_b32_e32 v83, 0x8000
	s_mov_b32 s17, exec_lo
	v_cmpx_ne_u16_e32 0x80, v1
	s_cbranch_execz .LBB283_489
; %bb.484:                              ;   in Loop: Header=BB283_15 Depth=1
	v_bfe_u32 v8, v4, 16, 7
	v_mov_b32_e32 v83, 0x7c01
	s_mov_b32 s18, exec_lo
	s_delay_alu instid0(VALU_DEP_2)
	v_cmpx_ne_u32_e32 0x7f, v8
	s_cbranch_execz .LBB283_488
; %bb.485:                              ;   in Loop: Header=BB283_15 Depth=1
	v_and_b32_e32 v1, 7, v0
	v_lshrrev_b32_e32 v6, 3, v8
	s_mov_b32 s19, exec_lo
	v_cmpx_gt_u32_e32 8, v8
; %bb.486:                              ;   in Loop: Header=BB283_15 Depth=1
	s_delay_alu instid0(VALU_DEP_3) | instskip(NEXT) | instid1(VALU_DEP_1)
	v_clz_i32_u32_e32 v1, v1
	v_min_u32_e32 v1, 32, v1
	s_delay_alu instid0(VALU_DEP_1) | instskip(NEXT) | instid1(VALU_DEP_1)
	v_subrev_nc_u32_e32 v6, 28, v1
	v_lshlrev_b64_e32 v[8:9], v6, v[0:1]
	s_delay_alu instid0(VALU_DEP_1)
	v_dual_sub_nc_u32 v6, 29, v1 :: v_dual_bitop2_b32 v1, 7, v8 bitop3:0x40
; %bb.487:                              ;   in Loop: Header=BB283_15 Depth=1
	s_or_b32 exec_lo, exec_lo, s19
	s_delay_alu instid0(VALU_DEP_1) | instskip(NEXT) | instid1(VALU_DEP_2)
	v_dual_lshlrev_b32 v0, 8, v0 :: v_dual_lshlrev_b32 v1, 7, v1
	v_lshl_add_u32 v6, v6, 10, 0x2000
	s_delay_alu instid0(VALU_DEP_2) | instskip(NEXT) | instid1(VALU_DEP_2)
	v_and_b32_e32 v0, 0x8000, v0
	v_and_b32_e32 v6, 0xfc00, v6
	s_delay_alu instid0(VALU_DEP_1)
	v_or3_b32 v83, v0, v6, v1
.LBB283_488:                            ;   in Loop: Header=BB283_15 Depth=1
	s_or_b32 exec_lo, exec_lo, s18
.LBB283_489:                            ;   in Loop: Header=BB283_15 Depth=1
	s_delay_alu instid0(SALU_CYCLE_1)
	s_or_b32 exec_lo, exec_lo, s17
.LBB283_490:                            ;   in Loop: Header=BB283_15 Depth=1
	s_delay_alu instid0(SALU_CYCLE_1)
	s_or_b32 exec_lo, exec_lo, s16
	v_dual_mov_b32 v63, 0 :: v_dual_mov_b32 v120, 0
	s_mov_b32 s16, exec_lo
	v_cmpx_lt_u32_e32 0xffffff, v4
	s_cbranch_execz .LBB283_498
; %bb.491:                              ;   in Loop: Header=BB283_15 Depth=1
	v_lshrrev_b32_e32 v24, 24, v4
	v_bfrev_b32_e32 v120, 1
	s_mov_b32 s17, exec_lo
	s_delay_alu instid0(VALU_DEP_2)
	v_cmpx_ne_u32_e32 0x80, v24
	s_cbranch_execz .LBB283_497
; %bb.492:                              ;   in Loop: Header=BB283_15 Depth=1
	v_and_b32_e32 v6, 0x7f, v24
	v_mov_b32_e32 v120, 0x7c010000
	s_mov_b32 s18, exec_lo
	s_delay_alu instid0(VALU_DEP_2)
	v_cmpx_ne_u32_e32 0x7f, v6
	s_cbranch_execz .LBB283_496
; %bb.493:                              ;   in Loop: Header=BB283_15 Depth=1
	v_dual_lshrrev_b32 v1, 3, v6 :: v_dual_bitop2_b32 v0, 7, v24 bitop3:0x40
	s_mov_b32 s19, exec_lo
	v_cmpx_gt_u32_e32 8, v6
; %bb.494:                              ;   in Loop: Header=BB283_15 Depth=1
	s_delay_alu instid0(VALU_DEP_2) | instskip(NEXT) | instid1(VALU_DEP_1)
	v_clz_i32_u32_e32 v0, v0
	v_min_u32_e32 v6, 32, v0
	s_delay_alu instid0(VALU_DEP_1) | instskip(NEXT) | instid1(VALU_DEP_1)
	v_subrev_nc_u32_e32 v0, 28, v6
	v_lshlrev_b64_e32 v[0:1], v0, v[24:25]
	s_delay_alu instid0(VALU_DEP_1)
	v_dual_sub_nc_u32 v1, 29, v6 :: v_dual_bitop2_b32 v0, 7, v0 bitop3:0x40
; %bb.495:                              ;   in Loop: Header=BB283_15 Depth=1
	s_or_b32 exec_lo, exec_lo, s19
	v_lshlrev_b32_e32 v6, 8, v24
	s_delay_alu instid0(VALU_DEP_2) | instskip(NEXT) | instid1(VALU_DEP_3)
	v_lshl_add_u32 v1, v1, 10, 0x2000
	v_lshlrev_b32_e32 v0, 23, v0
	s_delay_alu instid0(VALU_DEP_2) | instskip(NEXT) | instid1(VALU_DEP_1)
	v_and_or_b32 v1, 0x8000, v6, v1
	v_lshl_or_b32 v120, v1, 16, v0
.LBB283_496:                            ;   in Loop: Header=BB283_15 Depth=1
	s_or_b32 exec_lo, exec_lo, s18
.LBB283_497:                            ;   in Loop: Header=BB283_15 Depth=1
	s_delay_alu instid0(SALU_CYCLE_1)
	s_or_b32 exec_lo, exec_lo, s17
.LBB283_498:                            ;   in Loop: Header=BB283_15 Depth=1
	s_delay_alu instid0(SALU_CYCLE_1) | instskip(SKIP_3) | instid1(VALU_DEP_2)
	s_or_b32 exec_lo, exec_lo, s16
	v_and_b32_e32 v0, 0xff, v5
	v_mov_b32_e32 v24, v5
	s_mov_b32 s16, exec_lo
	v_cmpx_ne_u16_e32 0, v0
	s_cbranch_execz .LBB283_506
; %bb.499:                              ;   in Loop: Header=BB283_15 Depth=1
	v_mov_b32_e32 v63, 0x8000
	s_mov_b32 s17, exec_lo
	v_cmpx_ne_u16_e32 0x80, v0
	s_cbranch_execz .LBB283_505
; %bb.500:                              ;   in Loop: Header=BB283_15 Depth=1
	v_and_b32_e32 v6, 0x7f, v5
	v_mov_b32_e32 v63, 0x7c01
	s_mov_b32 s18, exec_lo
	s_delay_alu instid0(VALU_DEP_2)
	v_cmpx_ne_u32_e32 0x7f, v6
	s_cbranch_execz .LBB283_504
; %bb.501:                              ;   in Loop: Header=BB283_15 Depth=1
	v_dual_lshrrev_b32 v1, 3, v6 :: v_dual_bitop2_b32 v0, 7, v5 bitop3:0x40
	s_mov_b32 s19, exec_lo
	v_cmpx_gt_u32_e32 8, v6
; %bb.502:                              ;   in Loop: Header=BB283_15 Depth=1
	s_delay_alu instid0(VALU_DEP_2) | instskip(NEXT) | instid1(VALU_DEP_1)
	v_clz_i32_u32_e32 v0, v0
	v_min_u32_e32 v6, 32, v0
	s_delay_alu instid0(VALU_DEP_1) | instskip(NEXT) | instid1(VALU_DEP_1)
	v_subrev_nc_u32_e32 v0, 28, v6
	v_lshlrev_b64_e32 v[0:1], v0, v[24:25]
	s_delay_alu instid0(VALU_DEP_1)
	v_dual_sub_nc_u32 v1, 29, v6 :: v_dual_bitop2_b32 v0, 7, v0 bitop3:0x40
; %bb.503:                              ;   in Loop: Header=BB283_15 Depth=1
	s_or_b32 exec_lo, exec_lo, s19
	s_delay_alu instid0(VALU_DEP_1) | instskip(NEXT) | instid1(VALU_DEP_2)
	v_dual_lshlrev_b32 v6, 8, v5 :: v_dual_lshlrev_b32 v0, 7, v0
	v_lshl_add_u32 v1, v1, 10, 0x2000
	s_delay_alu instid0(VALU_DEP_2) | instskip(NEXT) | instid1(VALU_DEP_2)
	v_and_b32_e32 v6, 0x8000, v6
	v_and_b32_e32 v1, 0xfc00, v1
	s_delay_alu instid0(VALU_DEP_1)
	v_or3_b32 v63, v6, v1, v0
.LBB283_504:                            ;   in Loop: Header=BB283_15 Depth=1
	s_or_b32 exec_lo, exec_lo, s18
.LBB283_505:                            ;   in Loop: Header=BB283_15 Depth=1
	s_delay_alu instid0(SALU_CYCLE_1)
	s_or_b32 exec_lo, exec_lo, s17
.LBB283_506:                            ;   in Loop: Header=BB283_15 Depth=1
	s_delay_alu instid0(SALU_CYCLE_1) | instskip(SKIP_3) | instid1(VALU_DEP_2)
	s_or_b32 exec_lo, exec_lo, s16
	v_lshrrev_b16 v24, 8, v24
	v_dual_mov_b32 v44, 0 :: v_dual_mov_b32 v104, 0
	s_mov_b32 s16, exec_lo
	v_cmpx_ne_u16_e32 0, v24
	s_cbranch_execz .LBB283_514
; %bb.507:                              ;   in Loop: Header=BB283_15 Depth=1
	v_bfrev_b32_e32 v104, 1
	s_mov_b32 s17, exec_lo
	v_cmpx_ne_u16_e32 0x80, v24
	s_cbranch_execz .LBB283_513
; %bb.508:                              ;   in Loop: Header=BB283_15 Depth=1
	v_and_b32_e32 v0, 0xffff, v24
	v_mov_b32_e32 v104, 0x7c010000
	s_mov_b32 s18, exec_lo
	s_delay_alu instid0(VALU_DEP_2) | instskip(NEXT) | instid1(VALU_DEP_1)
	v_and_b32_e32 v8, 0x7f, v0
	v_cmpx_ne_u32_e32 0x7f, v8
	s_cbranch_execz .LBB283_512
; %bb.509:                              ;   in Loop: Header=BB283_15 Depth=1
	v_and_b32_e32 v1, 7, v0
	v_lshrrev_b32_e32 v6, 3, v8
	s_mov_b32 s19, exec_lo
	v_cmpx_gt_u32_e32 8, v8
; %bb.510:                              ;   in Loop: Header=BB283_15 Depth=1
	s_delay_alu instid0(VALU_DEP_3) | instskip(NEXT) | instid1(VALU_DEP_1)
	v_clz_i32_u32_e32 v1, v1
	v_min_u32_e32 v1, 32, v1
	s_delay_alu instid0(VALU_DEP_1) | instskip(NEXT) | instid1(VALU_DEP_1)
	v_subrev_nc_u32_e32 v6, 28, v1
	v_lshlrev_b64_e32 v[8:9], v6, v[24:25]
	s_delay_alu instid0(VALU_DEP_1)
	v_dual_sub_nc_u32 v6, 29, v1 :: v_dual_bitop2_b32 v1, 7, v8 bitop3:0x40
; %bb.511:                              ;   in Loop: Header=BB283_15 Depth=1
	s_or_b32 exec_lo, exec_lo, s19
	s_delay_alu instid0(VALU_DEP_1) | instskip(NEXT) | instid1(VALU_DEP_2)
	v_dual_lshlrev_b32 v0, 8, v0 :: v_dual_lshlrev_b32 v1, 23, v1
	v_lshl_add_u32 v6, v6, 10, 0x2000
	s_delay_alu instid0(VALU_DEP_1) | instskip(NEXT) | instid1(VALU_DEP_1)
	v_and_or_b32 v0, 0x8000, v0, v6
	v_lshl_or_b32 v104, v0, 16, v1
.LBB283_512:                            ;   in Loop: Header=BB283_15 Depth=1
	s_or_b32 exec_lo, exec_lo, s18
.LBB283_513:                            ;   in Loop: Header=BB283_15 Depth=1
	s_delay_alu instid0(SALU_CYCLE_1)
	s_or_b32 exec_lo, exec_lo, s17
.LBB283_514:                            ;   in Loop: Header=BB283_15 Depth=1
	s_delay_alu instid0(SALU_CYCLE_1) | instskip(SKIP_2) | instid1(VALU_DEP_1)
	s_or_b32 exec_lo, exec_lo, s16
	v_lshrrev_b32_e32 v0, 16, v5
	s_mov_b32 s16, exec_lo
	v_and_b32_e32 v1, 0xff, v0
	s_delay_alu instid0(VALU_DEP_1)
	v_cmpx_ne_u16_e32 0, v1
	s_cbranch_execz .LBB283_522
; %bb.515:                              ;   in Loop: Header=BB283_15 Depth=1
	v_mov_b32_e32 v44, 0x8000
	s_mov_b32 s17, exec_lo
	v_cmpx_ne_u16_e32 0x80, v1
	s_cbranch_execz .LBB283_521
; %bb.516:                              ;   in Loop: Header=BB283_15 Depth=1
	v_bfe_u32 v8, v5, 16, 7
	v_mov_b32_e32 v44, 0x7c01
	s_mov_b32 s18, exec_lo
	s_delay_alu instid0(VALU_DEP_2)
	v_cmpx_ne_u32_e32 0x7f, v8
	s_cbranch_execz .LBB283_520
; %bb.517:                              ;   in Loop: Header=BB283_15 Depth=1
	v_and_b32_e32 v1, 7, v0
	v_lshrrev_b32_e32 v6, 3, v8
	s_mov_b32 s19, exec_lo
	v_cmpx_gt_u32_e32 8, v8
; %bb.518:                              ;   in Loop: Header=BB283_15 Depth=1
	s_delay_alu instid0(VALU_DEP_3) | instskip(NEXT) | instid1(VALU_DEP_1)
	v_clz_i32_u32_e32 v1, v1
	v_min_u32_e32 v1, 32, v1
	s_delay_alu instid0(VALU_DEP_1) | instskip(NEXT) | instid1(VALU_DEP_1)
	v_subrev_nc_u32_e32 v6, 28, v1
	v_lshlrev_b64_e32 v[8:9], v6, v[0:1]
	s_delay_alu instid0(VALU_DEP_1)
	v_dual_sub_nc_u32 v6, 29, v1 :: v_dual_bitop2_b32 v1, 7, v8 bitop3:0x40
; %bb.519:                              ;   in Loop: Header=BB283_15 Depth=1
	s_or_b32 exec_lo, exec_lo, s19
	s_delay_alu instid0(VALU_DEP_1) | instskip(NEXT) | instid1(VALU_DEP_2)
	v_dual_lshlrev_b32 v0, 8, v0 :: v_dual_lshlrev_b32 v1, 7, v1
	v_lshl_add_u32 v6, v6, 10, 0x2000
	s_delay_alu instid0(VALU_DEP_2) | instskip(NEXT) | instid1(VALU_DEP_2)
	v_and_b32_e32 v0, 0x8000, v0
	v_and_b32_e32 v6, 0xfc00, v6
	s_delay_alu instid0(VALU_DEP_1)
	v_or3_b32 v44, v0, v6, v1
.LBB283_520:                            ;   in Loop: Header=BB283_15 Depth=1
	s_or_b32 exec_lo, exec_lo, s18
.LBB283_521:                            ;   in Loop: Header=BB283_15 Depth=1
	s_delay_alu instid0(SALU_CYCLE_1)
	s_or_b32 exec_lo, exec_lo, s17
.LBB283_522:                            ;   in Loop: Header=BB283_15 Depth=1
	s_delay_alu instid0(SALU_CYCLE_1)
	s_or_b32 exec_lo, exec_lo, s16
	v_dual_mov_b32 v96, 0 :: v_dual_mov_b32 v106, 0
	s_mov_b32 s16, exec_lo
	v_cmpx_lt_u64_e64 s[8:9], v[4:5]
	s_cbranch_execz .LBB283_530
; %bb.523:                              ;   in Loop: Header=BB283_15 Depth=1
	v_lshrrev_b32_e32 v24, 24, v5
	v_bfrev_b32_e32 v106, 1
	s_mov_b32 s17, exec_lo
	s_delay_alu instid0(VALU_DEP_2)
	v_cmpx_ne_u32_e32 0x80, v24
	s_cbranch_execz .LBB283_529
; %bb.524:                              ;   in Loop: Header=BB283_15 Depth=1
	v_and_b32_e32 v4, 0x7f, v24
	v_mov_b32_e32 v106, 0x7c010000
	s_mov_b32 s18, exec_lo
	s_delay_alu instid0(VALU_DEP_2)
	v_cmpx_ne_u32_e32 0x7f, v4
	s_cbranch_execz .LBB283_528
; %bb.525:                              ;   in Loop: Header=BB283_15 Depth=1
	v_and_b32_e32 v0, 7, v24
	v_lshrrev_b32_e32 v1, 3, v4
	s_mov_b32 s19, exec_lo
	v_cmpx_gt_u32_e32 8, v4
; %bb.526:                              ;   in Loop: Header=BB283_15 Depth=1
	s_delay_alu instid0(VALU_DEP_3) | instskip(NEXT) | instid1(VALU_DEP_1)
	v_clz_i32_u32_e32 v0, v0
	v_min_u32_e32 v4, 32, v0
	s_delay_alu instid0(VALU_DEP_1) | instskip(NEXT) | instid1(VALU_DEP_1)
	v_subrev_nc_u32_e32 v0, 28, v4
	v_lshlrev_b64_e32 v[0:1], v0, v[24:25]
	v_sub_nc_u32_e32 v1, 29, v4
	s_delay_alu instid0(VALU_DEP_2)
	v_and_b32_e32 v0, 7, v0
; %bb.527:                              ;   in Loop: Header=BB283_15 Depth=1
	s_or_b32 exec_lo, exec_lo, s19
	v_lshlrev_b32_e32 v4, 8, v24
	s_delay_alu instid0(VALU_DEP_3) | instskip(NEXT) | instid1(VALU_DEP_3)
	v_lshl_add_u32 v1, v1, 10, 0x2000
	v_lshlrev_b32_e32 v0, 23, v0
	s_delay_alu instid0(VALU_DEP_2) | instskip(NEXT) | instid1(VALU_DEP_1)
	v_and_or_b32 v1, 0x8000, v4, v1
	v_lshl_or_b32 v106, v1, 16, v0
.LBB283_528:                            ;   in Loop: Header=BB283_15 Depth=1
	s_or_b32 exec_lo, exec_lo, s18
.LBB283_529:                            ;   in Loop: Header=BB283_15 Depth=1
	s_delay_alu instid0(SALU_CYCLE_1)
	s_or_b32 exec_lo, exec_lo, s17
.LBB283_530:                            ;   in Loop: Header=BB283_15 Depth=1
	s_delay_alu instid0(SALU_CYCLE_1)
	s_or_b32 exec_lo, exec_lo, s16
	flat_load_b64 v[4:5], v[2:3] offset:2048
	s_mov_b32 s16, exec_lo
	s_wait_loadcnt_dscnt 0x0
	v_and_b32_e32 v0, 0xff, v4
	s_wait_xcnt 0x0
	s_delay_alu instid0(VALU_DEP_1)
	v_cmpx_ne_u16_e32 0, v0
	s_cbranch_execz .LBB283_538
; %bb.531:                              ;   in Loop: Header=BB283_15 Depth=1
	v_mov_b32_e32 v96, 0x8000
	s_mov_b32 s17, exec_lo
	v_cmpx_ne_u16_e32 0x80, v0
	s_cbranch_execz .LBB283_537
; %bb.532:                              ;   in Loop: Header=BB283_15 Depth=1
	v_and_b32_e32 v6, 0x7f, v4
	v_mov_b32_e32 v96, 0x7c01
	s_mov_b32 s18, exec_lo
	s_delay_alu instid0(VALU_DEP_2)
	v_cmpx_ne_u32_e32 0x7f, v6
	s_cbranch_execz .LBB283_536
; %bb.533:                              ;   in Loop: Header=BB283_15 Depth=1
	v_dual_lshrrev_b32 v1, 3, v6 :: v_dual_bitop2_b32 v0, 7, v4 bitop3:0x40
	s_mov_b32 s19, exec_lo
	v_cmpx_gt_u32_e32 8, v6
; %bb.534:                              ;   in Loop: Header=BB283_15 Depth=1
	s_delay_alu instid0(VALU_DEP_2) | instskip(NEXT) | instid1(VALU_DEP_1)
	v_clz_i32_u32_e32 v0, v0
	v_min_u32_e32 v6, 32, v0
	s_delay_alu instid0(VALU_DEP_1) | instskip(NEXT) | instid1(VALU_DEP_1)
	v_subrev_nc_u32_e32 v0, 28, v6
	v_lshlrev_b64_e32 v[0:1], v0, v[4:5]
	s_delay_alu instid0(VALU_DEP_1)
	v_dual_sub_nc_u32 v1, 29, v6 :: v_dual_bitop2_b32 v0, 7, v0 bitop3:0x40
; %bb.535:                              ;   in Loop: Header=BB283_15 Depth=1
	s_or_b32 exec_lo, exec_lo, s19
	v_lshlrev_b32_e32 v6, 8, v4
	s_delay_alu instid0(VALU_DEP_2) | instskip(NEXT) | instid1(VALU_DEP_3)
	v_lshl_add_u32 v1, v1, 10, 0x2000
	v_lshlrev_b32_e32 v0, 7, v0
	s_delay_alu instid0(VALU_DEP_3) | instskip(NEXT) | instid1(VALU_DEP_3)
	v_and_b32_e32 v6, 0x8000, v6
	v_and_b32_e32 v1, 0xfc00, v1
	s_delay_alu instid0(VALU_DEP_1)
	v_or3_b32 v96, v6, v1, v0
.LBB283_536:                            ;   in Loop: Header=BB283_15 Depth=1
	s_or_b32 exec_lo, exec_lo, s18
.LBB283_537:                            ;   in Loop: Header=BB283_15 Depth=1
	s_delay_alu instid0(SALU_CYCLE_1)
	s_or_b32 exec_lo, exec_lo, s17
.LBB283_538:                            ;   in Loop: Header=BB283_15 Depth=1
	s_delay_alu instid0(SALU_CYCLE_1) | instskip(SKIP_3) | instid1(VALU_DEP_2)
	s_or_b32 exec_lo, exec_lo, s16
	v_lshrrev_b16 v24, 8, v4
	v_dual_mov_b32 v103, 0 :: v_dual_mov_b32 v110, 0
	s_mov_b32 s16, exec_lo
	v_cmpx_ne_u16_e32 0, v24
	s_cbranch_execz .LBB283_546
; %bb.539:                              ;   in Loop: Header=BB283_15 Depth=1
	v_bfrev_b32_e32 v110, 1
	s_mov_b32 s17, exec_lo
	v_cmpx_ne_u16_e32 0x80, v24
	s_cbranch_execz .LBB283_545
; %bb.540:                              ;   in Loop: Header=BB283_15 Depth=1
	v_and_b32_e32 v0, 0xffff, v24
	v_mov_b32_e32 v110, 0x7c010000
	s_mov_b32 s18, exec_lo
	s_delay_alu instid0(VALU_DEP_2) | instskip(NEXT) | instid1(VALU_DEP_1)
	v_and_b32_e32 v8, 0x7f, v0
	v_cmpx_ne_u32_e32 0x7f, v8
	s_cbranch_execz .LBB283_544
; %bb.541:                              ;   in Loop: Header=BB283_15 Depth=1
	v_and_b32_e32 v1, 7, v0
	v_lshrrev_b32_e32 v6, 3, v8
	s_mov_b32 s19, exec_lo
	v_cmpx_gt_u32_e32 8, v8
; %bb.542:                              ;   in Loop: Header=BB283_15 Depth=1
	s_delay_alu instid0(VALU_DEP_3) | instskip(NEXT) | instid1(VALU_DEP_1)
	v_clz_i32_u32_e32 v1, v1
	v_min_u32_e32 v1, 32, v1
	s_delay_alu instid0(VALU_DEP_1) | instskip(NEXT) | instid1(VALU_DEP_1)
	v_subrev_nc_u32_e32 v6, 28, v1
	v_lshlrev_b64_e32 v[8:9], v6, v[24:25]
	s_delay_alu instid0(VALU_DEP_1)
	v_dual_sub_nc_u32 v6, 29, v1 :: v_dual_bitop2_b32 v1, 7, v8 bitop3:0x40
; %bb.543:                              ;   in Loop: Header=BB283_15 Depth=1
	s_or_b32 exec_lo, exec_lo, s19
	s_delay_alu instid0(VALU_DEP_1) | instskip(NEXT) | instid1(VALU_DEP_2)
	v_dual_lshlrev_b32 v0, 8, v0 :: v_dual_lshlrev_b32 v1, 23, v1
	v_lshl_add_u32 v6, v6, 10, 0x2000
	s_delay_alu instid0(VALU_DEP_1) | instskip(NEXT) | instid1(VALU_DEP_1)
	v_and_or_b32 v0, 0x8000, v0, v6
	v_lshl_or_b32 v110, v0, 16, v1
.LBB283_544:                            ;   in Loop: Header=BB283_15 Depth=1
	s_or_b32 exec_lo, exec_lo, s18
.LBB283_545:                            ;   in Loop: Header=BB283_15 Depth=1
	s_delay_alu instid0(SALU_CYCLE_1)
	s_or_b32 exec_lo, exec_lo, s17
.LBB283_546:                            ;   in Loop: Header=BB283_15 Depth=1
	s_delay_alu instid0(SALU_CYCLE_1) | instskip(SKIP_2) | instid1(VALU_DEP_1)
	s_or_b32 exec_lo, exec_lo, s16
	v_lshrrev_b32_e32 v0, 16, v4
	s_mov_b32 s16, exec_lo
	v_and_b32_e32 v1, 0xff, v0
	s_delay_alu instid0(VALU_DEP_1)
	v_cmpx_ne_u16_e32 0, v1
	s_cbranch_execz .LBB283_554
; %bb.547:                              ;   in Loop: Header=BB283_15 Depth=1
	v_mov_b32_e32 v103, 0x8000
	s_mov_b32 s17, exec_lo
	v_cmpx_ne_u16_e32 0x80, v1
	s_cbranch_execz .LBB283_553
; %bb.548:                              ;   in Loop: Header=BB283_15 Depth=1
	v_bfe_u32 v8, v4, 16, 7
	v_mov_b32_e32 v103, 0x7c01
	s_mov_b32 s18, exec_lo
	s_delay_alu instid0(VALU_DEP_2)
	v_cmpx_ne_u32_e32 0x7f, v8
	s_cbranch_execz .LBB283_552
; %bb.549:                              ;   in Loop: Header=BB283_15 Depth=1
	v_and_b32_e32 v1, 7, v0
	v_lshrrev_b32_e32 v6, 3, v8
	s_mov_b32 s19, exec_lo
	v_cmpx_gt_u32_e32 8, v8
; %bb.550:                              ;   in Loop: Header=BB283_15 Depth=1
	s_delay_alu instid0(VALU_DEP_3) | instskip(NEXT) | instid1(VALU_DEP_1)
	v_clz_i32_u32_e32 v1, v1
	v_min_u32_e32 v1, 32, v1
	s_delay_alu instid0(VALU_DEP_1) | instskip(NEXT) | instid1(VALU_DEP_1)
	v_subrev_nc_u32_e32 v6, 28, v1
	v_lshlrev_b64_e32 v[8:9], v6, v[0:1]
	s_delay_alu instid0(VALU_DEP_1)
	v_dual_sub_nc_u32 v6, 29, v1 :: v_dual_bitop2_b32 v1, 7, v8 bitop3:0x40
; %bb.551:                              ;   in Loop: Header=BB283_15 Depth=1
	s_or_b32 exec_lo, exec_lo, s19
	s_delay_alu instid0(VALU_DEP_1) | instskip(NEXT) | instid1(VALU_DEP_2)
	v_dual_lshlrev_b32 v0, 8, v0 :: v_dual_lshlrev_b32 v1, 7, v1
	v_lshl_add_u32 v6, v6, 10, 0x2000
	s_delay_alu instid0(VALU_DEP_2) | instskip(NEXT) | instid1(VALU_DEP_2)
	v_and_b32_e32 v0, 0x8000, v0
	v_and_b32_e32 v6, 0xfc00, v6
	s_delay_alu instid0(VALU_DEP_1)
	v_or3_b32 v103, v0, v6, v1
.LBB283_552:                            ;   in Loop: Header=BB283_15 Depth=1
	s_or_b32 exec_lo, exec_lo, s18
.LBB283_553:                            ;   in Loop: Header=BB283_15 Depth=1
	s_delay_alu instid0(SALU_CYCLE_1)
	s_or_b32 exec_lo, exec_lo, s17
.LBB283_554:                            ;   in Loop: Header=BB283_15 Depth=1
	s_delay_alu instid0(SALU_CYCLE_1)
	s_or_b32 exec_lo, exec_lo, s16
	v_dual_mov_b32 v76, 0 :: v_dual_mov_b32 v100, 0
	s_mov_b32 s16, exec_lo
	v_cmpx_lt_u32_e32 0xffffff, v4
	s_cbranch_execz .LBB283_562
; %bb.555:                              ;   in Loop: Header=BB283_15 Depth=1
	v_lshrrev_b32_e32 v24, 24, v4
	v_bfrev_b32_e32 v100, 1
	s_mov_b32 s17, exec_lo
	s_delay_alu instid0(VALU_DEP_2)
	v_cmpx_ne_u32_e32 0x80, v24
	s_cbranch_execz .LBB283_561
; %bb.556:                              ;   in Loop: Header=BB283_15 Depth=1
	v_and_b32_e32 v6, 0x7f, v24
	v_mov_b32_e32 v100, 0x7c010000
	s_mov_b32 s18, exec_lo
	s_delay_alu instid0(VALU_DEP_2)
	v_cmpx_ne_u32_e32 0x7f, v6
	s_cbranch_execz .LBB283_560
; %bb.557:                              ;   in Loop: Header=BB283_15 Depth=1
	v_dual_lshrrev_b32 v1, 3, v6 :: v_dual_bitop2_b32 v0, 7, v24 bitop3:0x40
	s_mov_b32 s19, exec_lo
	v_cmpx_gt_u32_e32 8, v6
; %bb.558:                              ;   in Loop: Header=BB283_15 Depth=1
	s_delay_alu instid0(VALU_DEP_2) | instskip(NEXT) | instid1(VALU_DEP_1)
	v_clz_i32_u32_e32 v0, v0
	v_min_u32_e32 v6, 32, v0
	s_delay_alu instid0(VALU_DEP_1) | instskip(NEXT) | instid1(VALU_DEP_1)
	v_subrev_nc_u32_e32 v0, 28, v6
	v_lshlrev_b64_e32 v[0:1], v0, v[24:25]
	s_delay_alu instid0(VALU_DEP_1)
	v_dual_sub_nc_u32 v1, 29, v6 :: v_dual_bitop2_b32 v0, 7, v0 bitop3:0x40
; %bb.559:                              ;   in Loop: Header=BB283_15 Depth=1
	s_or_b32 exec_lo, exec_lo, s19
	v_lshlrev_b32_e32 v6, 8, v24
	s_delay_alu instid0(VALU_DEP_2) | instskip(NEXT) | instid1(VALU_DEP_3)
	v_lshl_add_u32 v1, v1, 10, 0x2000
	v_lshlrev_b32_e32 v0, 23, v0
	s_delay_alu instid0(VALU_DEP_2) | instskip(NEXT) | instid1(VALU_DEP_1)
	v_and_or_b32 v1, 0x8000, v6, v1
	v_lshl_or_b32 v100, v1, 16, v0
.LBB283_560:                            ;   in Loop: Header=BB283_15 Depth=1
	s_or_b32 exec_lo, exec_lo, s18
.LBB283_561:                            ;   in Loop: Header=BB283_15 Depth=1
	s_delay_alu instid0(SALU_CYCLE_1)
	s_or_b32 exec_lo, exec_lo, s17
.LBB283_562:                            ;   in Loop: Header=BB283_15 Depth=1
	s_delay_alu instid0(SALU_CYCLE_1) | instskip(SKIP_3) | instid1(VALU_DEP_2)
	s_or_b32 exec_lo, exec_lo, s16
	v_and_b32_e32 v0, 0xff, v5
	v_mov_b32_e32 v24, v5
	s_mov_b32 s16, exec_lo
	v_cmpx_ne_u16_e32 0, v0
	s_cbranch_execz .LBB283_570
; %bb.563:                              ;   in Loop: Header=BB283_15 Depth=1
	v_mov_b32_e32 v76, 0x8000
	s_mov_b32 s17, exec_lo
	v_cmpx_ne_u16_e32 0x80, v0
	s_cbranch_execz .LBB283_569
; %bb.564:                              ;   in Loop: Header=BB283_15 Depth=1
	v_and_b32_e32 v6, 0x7f, v5
	v_mov_b32_e32 v76, 0x7c01
	s_mov_b32 s18, exec_lo
	s_delay_alu instid0(VALU_DEP_2)
	v_cmpx_ne_u32_e32 0x7f, v6
	s_cbranch_execz .LBB283_568
; %bb.565:                              ;   in Loop: Header=BB283_15 Depth=1
	v_dual_lshrrev_b32 v1, 3, v6 :: v_dual_bitop2_b32 v0, 7, v5 bitop3:0x40
	s_mov_b32 s19, exec_lo
	v_cmpx_gt_u32_e32 8, v6
; %bb.566:                              ;   in Loop: Header=BB283_15 Depth=1
	s_delay_alu instid0(VALU_DEP_2) | instskip(NEXT) | instid1(VALU_DEP_1)
	v_clz_i32_u32_e32 v0, v0
	v_min_u32_e32 v6, 32, v0
	s_delay_alu instid0(VALU_DEP_1) | instskip(NEXT) | instid1(VALU_DEP_1)
	v_subrev_nc_u32_e32 v0, 28, v6
	v_lshlrev_b64_e32 v[0:1], v0, v[24:25]
	s_delay_alu instid0(VALU_DEP_1)
	v_dual_sub_nc_u32 v1, 29, v6 :: v_dual_bitop2_b32 v0, 7, v0 bitop3:0x40
; %bb.567:                              ;   in Loop: Header=BB283_15 Depth=1
	s_or_b32 exec_lo, exec_lo, s19
	s_delay_alu instid0(VALU_DEP_1) | instskip(NEXT) | instid1(VALU_DEP_2)
	v_dual_lshlrev_b32 v6, 8, v5 :: v_dual_lshlrev_b32 v0, 7, v0
	v_lshl_add_u32 v1, v1, 10, 0x2000
	s_delay_alu instid0(VALU_DEP_2) | instskip(NEXT) | instid1(VALU_DEP_2)
	v_and_b32_e32 v6, 0x8000, v6
	v_and_b32_e32 v1, 0xfc00, v1
	s_delay_alu instid0(VALU_DEP_1)
	v_or3_b32 v76, v6, v1, v0
.LBB283_568:                            ;   in Loop: Header=BB283_15 Depth=1
	s_or_b32 exec_lo, exec_lo, s18
.LBB283_569:                            ;   in Loop: Header=BB283_15 Depth=1
	s_delay_alu instid0(SALU_CYCLE_1)
	s_or_b32 exec_lo, exec_lo, s17
.LBB283_570:                            ;   in Loop: Header=BB283_15 Depth=1
	s_delay_alu instid0(SALU_CYCLE_1)
	s_or_b32 exec_lo, exec_lo, s16
	v_lshrrev_b16 v24, 8, v24
	v_dual_mov_b32 v0, 0 :: v_dual_mov_b32 v79, 0
	s_mov_b32 s16, exec_lo
	scratch_store_b32 off, v0, s32 offset:236 ; 4-byte Folded Spill
	s_wait_xcnt 0x0
	v_cmpx_ne_u16_e32 0, v24
	s_cbranch_execz .LBB283_578
; %bb.571:                              ;   in Loop: Header=BB283_15 Depth=1
	v_bfrev_b32_e32 v79, 1
	s_mov_b32 s17, exec_lo
	v_cmpx_ne_u16_e32 0x80, v24
	s_cbranch_execz .LBB283_577
; %bb.572:                              ;   in Loop: Header=BB283_15 Depth=1
	v_and_b32_e32 v0, 0xffff, v24
	v_mov_b32_e32 v79, 0x7c010000
	s_mov_b32 s18, exec_lo
	s_delay_alu instid0(VALU_DEP_2) | instskip(NEXT) | instid1(VALU_DEP_1)
	v_and_b32_e32 v8, 0x7f, v0
	v_cmpx_ne_u32_e32 0x7f, v8
	s_cbranch_execz .LBB283_576
; %bb.573:                              ;   in Loop: Header=BB283_15 Depth=1
	v_and_b32_e32 v1, 7, v0
	v_lshrrev_b32_e32 v6, 3, v8
	s_mov_b32 s19, exec_lo
	v_cmpx_gt_u32_e32 8, v8
; %bb.574:                              ;   in Loop: Header=BB283_15 Depth=1
	s_delay_alu instid0(VALU_DEP_3) | instskip(NEXT) | instid1(VALU_DEP_1)
	v_clz_i32_u32_e32 v1, v1
	v_min_u32_e32 v1, 32, v1
	s_delay_alu instid0(VALU_DEP_1) | instskip(NEXT) | instid1(VALU_DEP_1)
	v_subrev_nc_u32_e32 v6, 28, v1
	v_lshlrev_b64_e32 v[8:9], v6, v[24:25]
	s_delay_alu instid0(VALU_DEP_1)
	v_dual_sub_nc_u32 v6, 29, v1 :: v_dual_bitop2_b32 v1, 7, v8 bitop3:0x40
; %bb.575:                              ;   in Loop: Header=BB283_15 Depth=1
	s_or_b32 exec_lo, exec_lo, s19
	s_delay_alu instid0(VALU_DEP_1) | instskip(NEXT) | instid1(VALU_DEP_2)
	v_dual_lshlrev_b32 v0, 8, v0 :: v_dual_lshlrev_b32 v1, 23, v1
	v_lshl_add_u32 v6, v6, 10, 0x2000
	s_delay_alu instid0(VALU_DEP_1) | instskip(NEXT) | instid1(VALU_DEP_1)
	v_and_or_b32 v0, 0x8000, v0, v6
	v_lshl_or_b32 v79, v0, 16, v1
.LBB283_576:                            ;   in Loop: Header=BB283_15 Depth=1
	s_or_b32 exec_lo, exec_lo, s18
.LBB283_577:                            ;   in Loop: Header=BB283_15 Depth=1
	s_delay_alu instid0(SALU_CYCLE_1)
	s_or_b32 exec_lo, exec_lo, s17
.LBB283_578:                            ;   in Loop: Header=BB283_15 Depth=1
	s_delay_alu instid0(SALU_CYCLE_1) | instskip(SKIP_2) | instid1(VALU_DEP_1)
	s_or_b32 exec_lo, exec_lo, s16
	v_lshrrev_b32_e32 v0, 16, v5
	s_mov_b32 s16, exec_lo
	v_and_b32_e32 v1, 0xff, v0
	s_delay_alu instid0(VALU_DEP_1)
	v_cmpx_ne_u16_e32 0, v1
	s_cbranch_execz .LBB283_586
; %bb.579:                              ;   in Loop: Header=BB283_15 Depth=1
	v_cmp_ne_u16_e64 s1, 0x80, v1
	v_mov_b32_e32 v1, 0x8000
	scratch_store_b32 off, v1, s32 offset:236 ; 4-byte Folded Spill
	s_wait_xcnt 0x0
	s_and_saveexec_b32 s17, s1
	s_cbranch_execz .LBB283_585
; %bb.580:                              ;   in Loop: Header=BB283_15 Depth=1
	v_bfe_u32 v8, v5, 16, 7
	v_mov_b32_e32 v1, 0x7c01
	s_mov_b32 s18, exec_lo
	scratch_store_b32 off, v1, s32 offset:236 ; 4-byte Folded Spill
	s_wait_xcnt 0x0
	v_cmpx_ne_u32_e32 0x7f, v8
	s_cbranch_execz .LBB283_584
; %bb.581:                              ;   in Loop: Header=BB283_15 Depth=1
	v_and_b32_e32 v1, 7, v0
	v_lshrrev_b32_e32 v6, 3, v8
	s_mov_b32 s19, exec_lo
	v_cmpx_gt_u32_e32 8, v8
; %bb.582:                              ;   in Loop: Header=BB283_15 Depth=1
	s_delay_alu instid0(VALU_DEP_3) | instskip(NEXT) | instid1(VALU_DEP_1)
	v_clz_i32_u32_e32 v1, v1
	v_min_u32_e32 v1, 32, v1
	s_delay_alu instid0(VALU_DEP_1) | instskip(NEXT) | instid1(VALU_DEP_1)
	v_subrev_nc_u32_e32 v6, 28, v1
	v_lshlrev_b64_e32 v[8:9], v6, v[0:1]
	s_delay_alu instid0(VALU_DEP_1)
	v_dual_sub_nc_u32 v6, 29, v1 :: v_dual_bitop2_b32 v1, 7, v8 bitop3:0x40
; %bb.583:                              ;   in Loop: Header=BB283_15 Depth=1
	s_or_b32 exec_lo, exec_lo, s19
	s_delay_alu instid0(VALU_DEP_1) | instskip(NEXT) | instid1(VALU_DEP_2)
	v_dual_lshlrev_b32 v0, 8, v0 :: v_dual_lshlrev_b32 v1, 7, v1
	v_lshl_add_u32 v6, v6, 10, 0x2000
	s_delay_alu instid0(VALU_DEP_2) | instskip(NEXT) | instid1(VALU_DEP_2)
	v_and_b32_e32 v0, 0x8000, v0
	v_and_b32_e32 v6, 0xfc00, v6
	s_delay_alu instid0(VALU_DEP_1)
	v_or3_b32 v0, v0, v6, v1
	scratch_store_b32 off, v0, s32 offset:236 ; 4-byte Folded Spill
.LBB283_584:                            ;   in Loop: Header=BB283_15 Depth=1
	s_wait_xcnt 0x0
	s_or_b32 exec_lo, exec_lo, s18
.LBB283_585:                            ;   in Loop: Header=BB283_15 Depth=1
	s_delay_alu instid0(SALU_CYCLE_1)
	s_or_b32 exec_lo, exec_lo, s17
.LBB283_586:                            ;   in Loop: Header=BB283_15 Depth=1
	s_delay_alu instid0(SALU_CYCLE_1)
	s_or_b32 exec_lo, exec_lo, s16
	v_dual_mov_b32 v0, 0 :: v_dual_mov_b32 v99, 0
	s_mov_b32 s16, exec_lo
	scratch_store_b32 off, v0, s32 offset:240 ; 4-byte Folded Spill
	s_wait_xcnt 0x0
	v_cmpx_lt_u64_e64 s[8:9], v[4:5]
	s_cbranch_execz .LBB283_594
; %bb.587:                              ;   in Loop: Header=BB283_15 Depth=1
	v_lshrrev_b32_e32 v24, 24, v5
	v_bfrev_b32_e32 v99, 1
	s_mov_b32 s17, exec_lo
	s_delay_alu instid0(VALU_DEP_2)
	v_cmpx_ne_u32_e32 0x80, v24
	s_cbranch_execz .LBB283_593
; %bb.588:                              ;   in Loop: Header=BB283_15 Depth=1
	v_and_b32_e32 v4, 0x7f, v24
	v_mov_b32_e32 v99, 0x7c010000
	s_mov_b32 s18, exec_lo
	s_delay_alu instid0(VALU_DEP_2)
	v_cmpx_ne_u32_e32 0x7f, v4
	s_cbranch_execz .LBB283_592
; %bb.589:                              ;   in Loop: Header=BB283_15 Depth=1
	v_and_b32_e32 v0, 7, v24
	v_lshrrev_b32_e32 v1, 3, v4
	s_mov_b32 s19, exec_lo
	v_cmpx_gt_u32_e32 8, v4
; %bb.590:                              ;   in Loop: Header=BB283_15 Depth=1
	s_delay_alu instid0(VALU_DEP_3) | instskip(NEXT) | instid1(VALU_DEP_1)
	v_clz_i32_u32_e32 v0, v0
	v_min_u32_e32 v4, 32, v0
	s_delay_alu instid0(VALU_DEP_1) | instskip(NEXT) | instid1(VALU_DEP_1)
	v_subrev_nc_u32_e32 v0, 28, v4
	v_lshlrev_b64_e32 v[0:1], v0, v[24:25]
	v_sub_nc_u32_e32 v1, 29, v4
	s_delay_alu instid0(VALU_DEP_2)
	v_and_b32_e32 v0, 7, v0
; %bb.591:                              ;   in Loop: Header=BB283_15 Depth=1
	s_or_b32 exec_lo, exec_lo, s19
	v_lshlrev_b32_e32 v4, 8, v24
	s_delay_alu instid0(VALU_DEP_3) | instskip(NEXT) | instid1(VALU_DEP_3)
	v_lshl_add_u32 v1, v1, 10, 0x2000
	v_lshlrev_b32_e32 v0, 23, v0
	s_delay_alu instid0(VALU_DEP_2) | instskip(NEXT) | instid1(VALU_DEP_1)
	v_and_or_b32 v1, 0x8000, v4, v1
	v_lshl_or_b32 v99, v1, 16, v0
.LBB283_592:                            ;   in Loop: Header=BB283_15 Depth=1
	s_or_b32 exec_lo, exec_lo, s18
.LBB283_593:                            ;   in Loop: Header=BB283_15 Depth=1
	s_delay_alu instid0(SALU_CYCLE_1)
	s_or_b32 exec_lo, exec_lo, s17
.LBB283_594:                            ;   in Loop: Header=BB283_15 Depth=1
	s_delay_alu instid0(SALU_CYCLE_1)
	s_or_b32 exec_lo, exec_lo, s16
	flat_load_b64 v[4:5], v[2:3] offset:2056
	s_mov_b32 s16, exec_lo
	s_wait_loadcnt_dscnt 0x0
	v_and_b32_e32 v0, 0xff, v4
	s_wait_xcnt 0x0
	s_delay_alu instid0(VALU_DEP_1)
	v_cmpx_ne_u16_e32 0, v0
	s_cbranch_execz .LBB283_602
; %bb.595:                              ;   in Loop: Header=BB283_15 Depth=1
	v_cmp_ne_u16_e64 s1, 0x80, v0
	v_mov_b32_e32 v0, 0x8000
	scratch_store_b32 off, v0, s32 offset:240 ; 4-byte Folded Spill
	s_wait_xcnt 0x0
	s_and_saveexec_b32 s17, s1
	s_cbranch_execz .LBB283_601
; %bb.596:                              ;   in Loop: Header=BB283_15 Depth=1
	v_and_b32_e32 v6, 0x7f, v4
	v_mov_b32_e32 v0, 0x7c01
	s_mov_b32 s18, exec_lo
	scratch_store_b32 off, v0, s32 offset:240 ; 4-byte Folded Spill
	s_wait_xcnt 0x0
	v_cmpx_ne_u32_e32 0x7f, v6
	s_cbranch_execz .LBB283_600
; %bb.597:                              ;   in Loop: Header=BB283_15 Depth=1
	v_dual_lshrrev_b32 v1, 3, v6 :: v_dual_bitop2_b32 v0, 7, v4 bitop3:0x40
	s_mov_b32 s19, exec_lo
	v_cmpx_gt_u32_e32 8, v6
; %bb.598:                              ;   in Loop: Header=BB283_15 Depth=1
	s_delay_alu instid0(VALU_DEP_2) | instskip(NEXT) | instid1(VALU_DEP_1)
	v_clz_i32_u32_e32 v0, v0
	v_min_u32_e32 v6, 32, v0
	s_delay_alu instid0(VALU_DEP_1) | instskip(NEXT) | instid1(VALU_DEP_1)
	v_subrev_nc_u32_e32 v0, 28, v6
	v_lshlrev_b64_e32 v[0:1], v0, v[4:5]
	s_delay_alu instid0(VALU_DEP_1)
	v_dual_sub_nc_u32 v1, 29, v6 :: v_dual_bitop2_b32 v0, 7, v0 bitop3:0x40
; %bb.599:                              ;   in Loop: Header=BB283_15 Depth=1
	s_or_b32 exec_lo, exec_lo, s19
	v_lshlrev_b32_e32 v6, 8, v4
	s_delay_alu instid0(VALU_DEP_2) | instskip(NEXT) | instid1(VALU_DEP_3)
	v_lshl_add_u32 v1, v1, 10, 0x2000
	v_lshlrev_b32_e32 v0, 7, v0
	s_delay_alu instid0(VALU_DEP_3) | instskip(NEXT) | instid1(VALU_DEP_3)
	v_and_b32_e32 v6, 0x8000, v6
	v_and_b32_e32 v1, 0xfc00, v1
	s_delay_alu instid0(VALU_DEP_1)
	v_or3_b32 v0, v6, v1, v0
	scratch_store_b32 off, v0, s32 offset:240 ; 4-byte Folded Spill
.LBB283_600:                            ;   in Loop: Header=BB283_15 Depth=1
	s_wait_xcnt 0x0
	s_or_b32 exec_lo, exec_lo, s18
.LBB283_601:                            ;   in Loop: Header=BB283_15 Depth=1
	s_delay_alu instid0(SALU_CYCLE_1)
	s_or_b32 exec_lo, exec_lo, s17
.LBB283_602:                            ;   in Loop: Header=BB283_15 Depth=1
	s_delay_alu instid0(SALU_CYCLE_1)
	s_or_b32 exec_lo, exec_lo, s16
	v_lshrrev_b16 v24, 8, v4
	v_dual_mov_b32 v0, 0 :: v_dual_mov_b32 v89, 0
	s_mov_b32 s16, exec_lo
	scratch_store_b32 off, v0, s32 offset:244 ; 4-byte Folded Spill
	s_wait_xcnt 0x0
	v_cmpx_ne_u16_e32 0, v24
	s_cbranch_execz .LBB283_610
; %bb.603:                              ;   in Loop: Header=BB283_15 Depth=1
	v_bfrev_b32_e32 v89, 1
	s_mov_b32 s17, exec_lo
	v_cmpx_ne_u16_e32 0x80, v24
	s_cbranch_execz .LBB283_609
; %bb.604:                              ;   in Loop: Header=BB283_15 Depth=1
	v_and_b32_e32 v0, 0xffff, v24
	v_mov_b32_e32 v89, 0x7c010000
	s_mov_b32 s18, exec_lo
	s_delay_alu instid0(VALU_DEP_2) | instskip(NEXT) | instid1(VALU_DEP_1)
	v_and_b32_e32 v8, 0x7f, v0
	v_cmpx_ne_u32_e32 0x7f, v8
	s_cbranch_execz .LBB283_608
; %bb.605:                              ;   in Loop: Header=BB283_15 Depth=1
	v_and_b32_e32 v1, 7, v0
	v_lshrrev_b32_e32 v6, 3, v8
	s_mov_b32 s19, exec_lo
	v_cmpx_gt_u32_e32 8, v8
; %bb.606:                              ;   in Loop: Header=BB283_15 Depth=1
	s_delay_alu instid0(VALU_DEP_3) | instskip(NEXT) | instid1(VALU_DEP_1)
	v_clz_i32_u32_e32 v1, v1
	v_min_u32_e32 v1, 32, v1
	s_delay_alu instid0(VALU_DEP_1) | instskip(NEXT) | instid1(VALU_DEP_1)
	v_subrev_nc_u32_e32 v6, 28, v1
	v_lshlrev_b64_e32 v[8:9], v6, v[24:25]
	s_delay_alu instid0(VALU_DEP_1)
	v_dual_sub_nc_u32 v6, 29, v1 :: v_dual_bitop2_b32 v1, 7, v8 bitop3:0x40
; %bb.607:                              ;   in Loop: Header=BB283_15 Depth=1
	s_or_b32 exec_lo, exec_lo, s19
	s_delay_alu instid0(VALU_DEP_1) | instskip(NEXT) | instid1(VALU_DEP_2)
	v_dual_lshlrev_b32 v0, 8, v0 :: v_dual_lshlrev_b32 v1, 23, v1
	v_lshl_add_u32 v6, v6, 10, 0x2000
	s_delay_alu instid0(VALU_DEP_1) | instskip(NEXT) | instid1(VALU_DEP_1)
	v_and_or_b32 v0, 0x8000, v0, v6
	v_lshl_or_b32 v89, v0, 16, v1
.LBB283_608:                            ;   in Loop: Header=BB283_15 Depth=1
	s_or_b32 exec_lo, exec_lo, s18
.LBB283_609:                            ;   in Loop: Header=BB283_15 Depth=1
	s_delay_alu instid0(SALU_CYCLE_1)
	s_or_b32 exec_lo, exec_lo, s17
.LBB283_610:                            ;   in Loop: Header=BB283_15 Depth=1
	s_delay_alu instid0(SALU_CYCLE_1) | instskip(SKIP_2) | instid1(VALU_DEP_1)
	s_or_b32 exec_lo, exec_lo, s16
	v_lshrrev_b32_e32 v0, 16, v4
	s_mov_b32 s16, exec_lo
	v_and_b32_e32 v1, 0xff, v0
	s_delay_alu instid0(VALU_DEP_1)
	v_cmpx_ne_u16_e32 0, v1
	s_cbranch_execz .LBB283_618
; %bb.611:                              ;   in Loop: Header=BB283_15 Depth=1
	v_cmp_ne_u16_e64 s1, 0x80, v1
	v_mov_b32_e32 v1, 0x8000
	scratch_store_b32 off, v1, s32 offset:244 ; 4-byte Folded Spill
	s_wait_xcnt 0x0
	s_and_saveexec_b32 s17, s1
	s_cbranch_execz .LBB283_617
; %bb.612:                              ;   in Loop: Header=BB283_15 Depth=1
	v_bfe_u32 v8, v4, 16, 7
	v_mov_b32_e32 v1, 0x7c01
	s_mov_b32 s18, exec_lo
	scratch_store_b32 off, v1, s32 offset:244 ; 4-byte Folded Spill
	s_wait_xcnt 0x0
	v_cmpx_ne_u32_e32 0x7f, v8
	s_cbranch_execz .LBB283_616
; %bb.613:                              ;   in Loop: Header=BB283_15 Depth=1
	v_and_b32_e32 v1, 7, v0
	v_lshrrev_b32_e32 v6, 3, v8
	s_mov_b32 s19, exec_lo
	v_cmpx_gt_u32_e32 8, v8
; %bb.614:                              ;   in Loop: Header=BB283_15 Depth=1
	s_delay_alu instid0(VALU_DEP_3) | instskip(NEXT) | instid1(VALU_DEP_1)
	v_clz_i32_u32_e32 v1, v1
	v_min_u32_e32 v1, 32, v1
	s_delay_alu instid0(VALU_DEP_1) | instskip(NEXT) | instid1(VALU_DEP_1)
	v_subrev_nc_u32_e32 v6, 28, v1
	v_lshlrev_b64_e32 v[8:9], v6, v[0:1]
	s_delay_alu instid0(VALU_DEP_1)
	v_dual_sub_nc_u32 v6, 29, v1 :: v_dual_bitop2_b32 v1, 7, v8 bitop3:0x40
; %bb.615:                              ;   in Loop: Header=BB283_15 Depth=1
	s_or_b32 exec_lo, exec_lo, s19
	s_delay_alu instid0(VALU_DEP_1) | instskip(NEXT) | instid1(VALU_DEP_2)
	v_dual_lshlrev_b32 v0, 8, v0 :: v_dual_lshlrev_b32 v1, 7, v1
	v_lshl_add_u32 v6, v6, 10, 0x2000
	s_delay_alu instid0(VALU_DEP_2) | instskip(NEXT) | instid1(VALU_DEP_2)
	v_and_b32_e32 v0, 0x8000, v0
	v_and_b32_e32 v6, 0xfc00, v6
	s_delay_alu instid0(VALU_DEP_1)
	v_or3_b32 v0, v0, v6, v1
	scratch_store_b32 off, v0, s32 offset:244 ; 4-byte Folded Spill
.LBB283_616:                            ;   in Loop: Header=BB283_15 Depth=1
	s_wait_xcnt 0x0
	s_or_b32 exec_lo, exec_lo, s18
.LBB283_617:                            ;   in Loop: Header=BB283_15 Depth=1
	s_delay_alu instid0(SALU_CYCLE_1)
	s_or_b32 exec_lo, exec_lo, s17
.LBB283_618:                            ;   in Loop: Header=BB283_15 Depth=1
	s_delay_alu instid0(SALU_CYCLE_1)
	s_or_b32 exec_lo, exec_lo, s16
	v_dual_mov_b32 v0, 0 :: v_dual_mov_b32 v41, 0
	s_mov_b32 s16, exec_lo
	scratch_store_b32 off, v0, s32 offset:248 ; 4-byte Folded Spill
	s_wait_xcnt 0x0
	v_cmpx_lt_u32_e32 0xffffff, v4
	s_cbranch_execz .LBB283_626
; %bb.619:                              ;   in Loop: Header=BB283_15 Depth=1
	v_lshrrev_b32_e32 v24, 24, v4
	v_bfrev_b32_e32 v41, 1
	s_mov_b32 s17, exec_lo
	s_delay_alu instid0(VALU_DEP_2)
	v_cmpx_ne_u32_e32 0x80, v24
	s_cbranch_execz .LBB283_625
; %bb.620:                              ;   in Loop: Header=BB283_15 Depth=1
	v_and_b32_e32 v6, 0x7f, v24
	v_mov_b32_e32 v41, 0x7c010000
	s_mov_b32 s18, exec_lo
	s_delay_alu instid0(VALU_DEP_2)
	v_cmpx_ne_u32_e32 0x7f, v6
	s_cbranch_execz .LBB283_624
; %bb.621:                              ;   in Loop: Header=BB283_15 Depth=1
	v_dual_lshrrev_b32 v1, 3, v6 :: v_dual_bitop2_b32 v0, 7, v24 bitop3:0x40
	s_mov_b32 s19, exec_lo
	v_cmpx_gt_u32_e32 8, v6
; %bb.622:                              ;   in Loop: Header=BB283_15 Depth=1
	s_delay_alu instid0(VALU_DEP_2) | instskip(NEXT) | instid1(VALU_DEP_1)
	v_clz_i32_u32_e32 v0, v0
	v_min_u32_e32 v6, 32, v0
	s_delay_alu instid0(VALU_DEP_1) | instskip(NEXT) | instid1(VALU_DEP_1)
	v_subrev_nc_u32_e32 v0, 28, v6
	v_lshlrev_b64_e32 v[0:1], v0, v[24:25]
	s_delay_alu instid0(VALU_DEP_1)
	v_dual_sub_nc_u32 v1, 29, v6 :: v_dual_bitop2_b32 v0, 7, v0 bitop3:0x40
; %bb.623:                              ;   in Loop: Header=BB283_15 Depth=1
	s_or_b32 exec_lo, exec_lo, s19
	v_lshlrev_b32_e32 v6, 8, v24
	s_delay_alu instid0(VALU_DEP_2) | instskip(NEXT) | instid1(VALU_DEP_3)
	v_lshl_add_u32 v1, v1, 10, 0x2000
	v_lshlrev_b32_e32 v0, 23, v0
	s_delay_alu instid0(VALU_DEP_2) | instskip(NEXT) | instid1(VALU_DEP_1)
	v_and_or_b32 v1, 0x8000, v6, v1
	v_lshl_or_b32 v41, v1, 16, v0
.LBB283_624:                            ;   in Loop: Header=BB283_15 Depth=1
	s_or_b32 exec_lo, exec_lo, s18
.LBB283_625:                            ;   in Loop: Header=BB283_15 Depth=1
	s_delay_alu instid0(SALU_CYCLE_1)
	s_or_b32 exec_lo, exec_lo, s17
.LBB283_626:                            ;   in Loop: Header=BB283_15 Depth=1
	s_delay_alu instid0(SALU_CYCLE_1) | instskip(SKIP_3) | instid1(VALU_DEP_2)
	s_or_b32 exec_lo, exec_lo, s16
	v_and_b32_e32 v0, 0xff, v5
	v_mov_b32_e32 v24, v5
	s_mov_b32 s16, exec_lo
	v_cmpx_ne_u16_e32 0, v0
	s_cbranch_execz .LBB283_634
; %bb.627:                              ;   in Loop: Header=BB283_15 Depth=1
	v_cmp_ne_u16_e64 s1, 0x80, v0
	v_mov_b32_e32 v0, 0x8000
	scratch_store_b32 off, v0, s32 offset:248 ; 4-byte Folded Spill
	s_wait_xcnt 0x0
	s_and_saveexec_b32 s17, s1
	s_cbranch_execz .LBB283_633
; %bb.628:                              ;   in Loop: Header=BB283_15 Depth=1
	v_and_b32_e32 v6, 0x7f, v5
	v_mov_b32_e32 v0, 0x7c01
	s_mov_b32 s18, exec_lo
	scratch_store_b32 off, v0, s32 offset:248 ; 4-byte Folded Spill
	s_wait_xcnt 0x0
	v_cmpx_ne_u32_e32 0x7f, v6
	s_cbranch_execz .LBB283_632
; %bb.629:                              ;   in Loop: Header=BB283_15 Depth=1
	v_dual_lshrrev_b32 v1, 3, v6 :: v_dual_bitop2_b32 v0, 7, v5 bitop3:0x40
	s_mov_b32 s19, exec_lo
	v_cmpx_gt_u32_e32 8, v6
; %bb.630:                              ;   in Loop: Header=BB283_15 Depth=1
	s_delay_alu instid0(VALU_DEP_2) | instskip(NEXT) | instid1(VALU_DEP_1)
	v_clz_i32_u32_e32 v0, v0
	v_min_u32_e32 v6, 32, v0
	s_delay_alu instid0(VALU_DEP_1) | instskip(NEXT) | instid1(VALU_DEP_1)
	v_subrev_nc_u32_e32 v0, 28, v6
	v_lshlrev_b64_e32 v[0:1], v0, v[24:25]
	s_delay_alu instid0(VALU_DEP_1)
	v_dual_sub_nc_u32 v1, 29, v6 :: v_dual_bitop2_b32 v0, 7, v0 bitop3:0x40
; %bb.631:                              ;   in Loop: Header=BB283_15 Depth=1
	s_or_b32 exec_lo, exec_lo, s19
	s_delay_alu instid0(VALU_DEP_1) | instskip(NEXT) | instid1(VALU_DEP_2)
	v_dual_lshlrev_b32 v6, 8, v5 :: v_dual_lshlrev_b32 v0, 7, v0
	v_lshl_add_u32 v1, v1, 10, 0x2000
	s_delay_alu instid0(VALU_DEP_2) | instskip(NEXT) | instid1(VALU_DEP_2)
	v_and_b32_e32 v6, 0x8000, v6
	v_and_b32_e32 v1, 0xfc00, v1
	s_delay_alu instid0(VALU_DEP_1)
	v_or3_b32 v0, v6, v1, v0
	scratch_store_b32 off, v0, s32 offset:248 ; 4-byte Folded Spill
.LBB283_632:                            ;   in Loop: Header=BB283_15 Depth=1
	s_wait_xcnt 0x0
	s_or_b32 exec_lo, exec_lo, s18
.LBB283_633:                            ;   in Loop: Header=BB283_15 Depth=1
	s_delay_alu instid0(SALU_CYCLE_1)
	s_or_b32 exec_lo, exec_lo, s17
.LBB283_634:                            ;   in Loop: Header=BB283_15 Depth=1
	s_delay_alu instid0(SALU_CYCLE_1)
	s_or_b32 exec_lo, exec_lo, s16
	v_lshrrev_b16 v24, 8, v24
	v_dual_mov_b32 v0, 0 :: v_dual_mov_b32 v40, 0
	s_mov_b32 s16, exec_lo
	scratch_store_b32 off, v0, s32 offset:252 ; 4-byte Folded Spill
	s_wait_xcnt 0x0
	v_cmpx_ne_u16_e32 0, v24
	s_cbranch_execz .LBB283_642
; %bb.635:                              ;   in Loop: Header=BB283_15 Depth=1
	v_bfrev_b32_e32 v40, 1
	s_mov_b32 s17, exec_lo
	v_cmpx_ne_u16_e32 0x80, v24
	s_cbranch_execz .LBB283_641
; %bb.636:                              ;   in Loop: Header=BB283_15 Depth=1
	v_and_b32_e32 v0, 0xffff, v24
	v_mov_b32_e32 v40, 0x7c010000
	s_mov_b32 s18, exec_lo
	s_delay_alu instid0(VALU_DEP_2) | instskip(NEXT) | instid1(VALU_DEP_1)
	v_and_b32_e32 v8, 0x7f, v0
	v_cmpx_ne_u32_e32 0x7f, v8
	s_cbranch_execz .LBB283_640
; %bb.637:                              ;   in Loop: Header=BB283_15 Depth=1
	v_and_b32_e32 v1, 7, v0
	v_lshrrev_b32_e32 v6, 3, v8
	s_mov_b32 s19, exec_lo
	v_cmpx_gt_u32_e32 8, v8
; %bb.638:                              ;   in Loop: Header=BB283_15 Depth=1
	s_delay_alu instid0(VALU_DEP_3) | instskip(NEXT) | instid1(VALU_DEP_1)
	v_clz_i32_u32_e32 v1, v1
	v_min_u32_e32 v1, 32, v1
	s_delay_alu instid0(VALU_DEP_1) | instskip(NEXT) | instid1(VALU_DEP_1)
	v_subrev_nc_u32_e32 v6, 28, v1
	v_lshlrev_b64_e32 v[8:9], v6, v[24:25]
	s_delay_alu instid0(VALU_DEP_1)
	v_dual_sub_nc_u32 v6, 29, v1 :: v_dual_bitop2_b32 v1, 7, v8 bitop3:0x40
; %bb.639:                              ;   in Loop: Header=BB283_15 Depth=1
	s_or_b32 exec_lo, exec_lo, s19
	s_delay_alu instid0(VALU_DEP_1) | instskip(NEXT) | instid1(VALU_DEP_2)
	v_dual_lshlrev_b32 v0, 8, v0 :: v_dual_lshlrev_b32 v1, 23, v1
	v_lshl_add_u32 v6, v6, 10, 0x2000
	s_delay_alu instid0(VALU_DEP_1) | instskip(NEXT) | instid1(VALU_DEP_1)
	v_and_or_b32 v0, 0x8000, v0, v6
	v_lshl_or_b32 v40, v0, 16, v1
.LBB283_640:                            ;   in Loop: Header=BB283_15 Depth=1
	s_or_b32 exec_lo, exec_lo, s18
.LBB283_641:                            ;   in Loop: Header=BB283_15 Depth=1
	s_delay_alu instid0(SALU_CYCLE_1)
	s_or_b32 exec_lo, exec_lo, s17
.LBB283_642:                            ;   in Loop: Header=BB283_15 Depth=1
	s_delay_alu instid0(SALU_CYCLE_1) | instskip(SKIP_2) | instid1(VALU_DEP_1)
	s_or_b32 exec_lo, exec_lo, s16
	v_lshrrev_b32_e32 v0, 16, v5
	s_mov_b32 s16, exec_lo
	v_and_b32_e32 v1, 0xff, v0
	s_delay_alu instid0(VALU_DEP_1)
	v_cmpx_ne_u16_e32 0, v1
	s_cbranch_execz .LBB283_650
; %bb.643:                              ;   in Loop: Header=BB283_15 Depth=1
	v_cmp_ne_u16_e64 s1, 0x80, v1
	v_mov_b32_e32 v1, 0x8000
	scratch_store_b32 off, v1, s32 offset:252 ; 4-byte Folded Spill
	s_wait_xcnt 0x0
	s_and_saveexec_b32 s17, s1
	s_cbranch_execz .LBB283_649
; %bb.644:                              ;   in Loop: Header=BB283_15 Depth=1
	v_bfe_u32 v8, v5, 16, 7
	v_mov_b32_e32 v1, 0x7c01
	s_mov_b32 s18, exec_lo
	scratch_store_b32 off, v1, s32 offset:252 ; 4-byte Folded Spill
	s_wait_xcnt 0x0
	v_cmpx_ne_u32_e32 0x7f, v8
	s_cbranch_execz .LBB283_648
; %bb.645:                              ;   in Loop: Header=BB283_15 Depth=1
	v_and_b32_e32 v1, 7, v0
	v_lshrrev_b32_e32 v6, 3, v8
	s_mov_b32 s19, exec_lo
	v_cmpx_gt_u32_e32 8, v8
; %bb.646:                              ;   in Loop: Header=BB283_15 Depth=1
	s_delay_alu instid0(VALU_DEP_3) | instskip(NEXT) | instid1(VALU_DEP_1)
	v_clz_i32_u32_e32 v1, v1
	v_min_u32_e32 v1, 32, v1
	s_delay_alu instid0(VALU_DEP_1) | instskip(NEXT) | instid1(VALU_DEP_1)
	v_subrev_nc_u32_e32 v6, 28, v1
	v_lshlrev_b64_e32 v[8:9], v6, v[0:1]
	s_delay_alu instid0(VALU_DEP_1)
	v_dual_sub_nc_u32 v6, 29, v1 :: v_dual_bitop2_b32 v1, 7, v8 bitop3:0x40
; %bb.647:                              ;   in Loop: Header=BB283_15 Depth=1
	s_or_b32 exec_lo, exec_lo, s19
	s_delay_alu instid0(VALU_DEP_1) | instskip(NEXT) | instid1(VALU_DEP_2)
	v_dual_lshlrev_b32 v0, 8, v0 :: v_dual_lshlrev_b32 v1, 7, v1
	v_lshl_add_u32 v6, v6, 10, 0x2000
	s_delay_alu instid0(VALU_DEP_2) | instskip(NEXT) | instid1(VALU_DEP_2)
	v_and_b32_e32 v0, 0x8000, v0
	v_and_b32_e32 v6, 0xfc00, v6
	s_delay_alu instid0(VALU_DEP_1)
	v_or3_b32 v0, v0, v6, v1
	scratch_store_b32 off, v0, s32 offset:252 ; 4-byte Folded Spill
.LBB283_648:                            ;   in Loop: Header=BB283_15 Depth=1
	s_wait_xcnt 0x0
	s_or_b32 exec_lo, exec_lo, s18
.LBB283_649:                            ;   in Loop: Header=BB283_15 Depth=1
	s_delay_alu instid0(SALU_CYCLE_1)
	s_or_b32 exec_lo, exec_lo, s17
.LBB283_650:                            ;   in Loop: Header=BB283_15 Depth=1
	s_delay_alu instid0(SALU_CYCLE_1)
	s_or_b32 exec_lo, exec_lo, s16
	v_dual_mov_b32 v0, 0 :: v_dual_mov_b32 v58, 0
	s_mov_b32 s16, exec_lo
	scratch_store_b32 off, v0, s32 offset:256 ; 4-byte Folded Spill
	s_wait_xcnt 0x0
	v_cmpx_lt_u64_e64 s[8:9], v[4:5]
	s_cbranch_execz .LBB283_658
; %bb.651:                              ;   in Loop: Header=BB283_15 Depth=1
	v_lshrrev_b32_e32 v24, 24, v5
	v_bfrev_b32_e32 v58, 1
	s_mov_b32 s17, exec_lo
	s_delay_alu instid0(VALU_DEP_2)
	v_cmpx_ne_u32_e32 0x80, v24
	s_cbranch_execz .LBB283_657
; %bb.652:                              ;   in Loop: Header=BB283_15 Depth=1
	v_and_b32_e32 v4, 0x7f, v24
	v_mov_b32_e32 v58, 0x7c010000
	s_mov_b32 s18, exec_lo
	s_delay_alu instid0(VALU_DEP_2)
	v_cmpx_ne_u32_e32 0x7f, v4
	s_cbranch_execz .LBB283_656
; %bb.653:                              ;   in Loop: Header=BB283_15 Depth=1
	v_and_b32_e32 v0, 7, v24
	v_lshrrev_b32_e32 v1, 3, v4
	s_mov_b32 s19, exec_lo
	v_cmpx_gt_u32_e32 8, v4
; %bb.654:                              ;   in Loop: Header=BB283_15 Depth=1
	s_delay_alu instid0(VALU_DEP_3) | instskip(NEXT) | instid1(VALU_DEP_1)
	v_clz_i32_u32_e32 v0, v0
	v_min_u32_e32 v4, 32, v0
	s_delay_alu instid0(VALU_DEP_1) | instskip(NEXT) | instid1(VALU_DEP_1)
	v_subrev_nc_u32_e32 v0, 28, v4
	v_lshlrev_b64_e32 v[0:1], v0, v[24:25]
	v_sub_nc_u32_e32 v1, 29, v4
	s_delay_alu instid0(VALU_DEP_2)
	v_and_b32_e32 v0, 7, v0
; %bb.655:                              ;   in Loop: Header=BB283_15 Depth=1
	s_or_b32 exec_lo, exec_lo, s19
	v_lshlrev_b32_e32 v4, 8, v24
	s_delay_alu instid0(VALU_DEP_3) | instskip(NEXT) | instid1(VALU_DEP_3)
	v_lshl_add_u32 v1, v1, 10, 0x2000
	v_lshlrev_b32_e32 v0, 23, v0
	s_delay_alu instid0(VALU_DEP_2) | instskip(NEXT) | instid1(VALU_DEP_1)
	v_and_or_b32 v1, 0x8000, v4, v1
	v_lshl_or_b32 v58, v1, 16, v0
.LBB283_656:                            ;   in Loop: Header=BB283_15 Depth=1
	s_or_b32 exec_lo, exec_lo, s18
.LBB283_657:                            ;   in Loop: Header=BB283_15 Depth=1
	s_delay_alu instid0(SALU_CYCLE_1)
	s_or_b32 exec_lo, exec_lo, s17
.LBB283_658:                            ;   in Loop: Header=BB283_15 Depth=1
	s_delay_alu instid0(SALU_CYCLE_1)
	s_or_b32 exec_lo, exec_lo, s16
	flat_load_b64 v[4:5], v[2:3] offset:2560
	s_mov_b32 s16, exec_lo
	s_wait_loadcnt_dscnt 0x0
	v_and_b32_e32 v0, 0xff, v4
	s_wait_xcnt 0x0
	s_delay_alu instid0(VALU_DEP_1)
	v_cmpx_ne_u16_e32 0, v0
	s_cbranch_execz .LBB283_666
; %bb.659:                              ;   in Loop: Header=BB283_15 Depth=1
	v_cmp_ne_u16_e64 s1, 0x80, v0
	v_mov_b32_e32 v0, 0x8000
	scratch_store_b32 off, v0, s32 offset:256 ; 4-byte Folded Spill
	s_wait_xcnt 0x0
	s_and_saveexec_b32 s17, s1
	s_cbranch_execz .LBB283_665
; %bb.660:                              ;   in Loop: Header=BB283_15 Depth=1
	v_and_b32_e32 v6, 0x7f, v4
	v_mov_b32_e32 v0, 0x7c01
	s_mov_b32 s18, exec_lo
	scratch_store_b32 off, v0, s32 offset:256 ; 4-byte Folded Spill
	s_wait_xcnt 0x0
	v_cmpx_ne_u32_e32 0x7f, v6
	s_cbranch_execz .LBB283_664
; %bb.661:                              ;   in Loop: Header=BB283_15 Depth=1
	v_dual_lshrrev_b32 v1, 3, v6 :: v_dual_bitop2_b32 v0, 7, v4 bitop3:0x40
	s_mov_b32 s19, exec_lo
	v_cmpx_gt_u32_e32 8, v6
; %bb.662:                              ;   in Loop: Header=BB283_15 Depth=1
	s_delay_alu instid0(VALU_DEP_2) | instskip(NEXT) | instid1(VALU_DEP_1)
	v_clz_i32_u32_e32 v0, v0
	v_min_u32_e32 v6, 32, v0
	s_delay_alu instid0(VALU_DEP_1) | instskip(NEXT) | instid1(VALU_DEP_1)
	v_subrev_nc_u32_e32 v0, 28, v6
	v_lshlrev_b64_e32 v[0:1], v0, v[4:5]
	s_delay_alu instid0(VALU_DEP_1)
	v_dual_sub_nc_u32 v1, 29, v6 :: v_dual_bitop2_b32 v0, 7, v0 bitop3:0x40
; %bb.663:                              ;   in Loop: Header=BB283_15 Depth=1
	s_or_b32 exec_lo, exec_lo, s19
	v_lshlrev_b32_e32 v6, 8, v4
	s_delay_alu instid0(VALU_DEP_2) | instskip(NEXT) | instid1(VALU_DEP_3)
	v_lshl_add_u32 v1, v1, 10, 0x2000
	v_lshlrev_b32_e32 v0, 7, v0
	s_delay_alu instid0(VALU_DEP_3) | instskip(NEXT) | instid1(VALU_DEP_3)
	v_and_b32_e32 v6, 0x8000, v6
	v_and_b32_e32 v1, 0xfc00, v1
	s_delay_alu instid0(VALU_DEP_1)
	v_or3_b32 v0, v6, v1, v0
	scratch_store_b32 off, v0, s32 offset:256 ; 4-byte Folded Spill
.LBB283_664:                            ;   in Loop: Header=BB283_15 Depth=1
	s_wait_xcnt 0x0
	s_or_b32 exec_lo, exec_lo, s18
.LBB283_665:                            ;   in Loop: Header=BB283_15 Depth=1
	s_delay_alu instid0(SALU_CYCLE_1)
	s_or_b32 exec_lo, exec_lo, s17
.LBB283_666:                            ;   in Loop: Header=BB283_15 Depth=1
	s_delay_alu instid0(SALU_CYCLE_1)
	s_or_b32 exec_lo, exec_lo, s16
	v_lshrrev_b16 v24, 8, v4
	v_dual_mov_b32 v0, 0 :: v_dual_mov_b32 v59, 0
	s_mov_b32 s16, exec_lo
	scratch_store_b32 off, v0, s32 offset:260 ; 4-byte Folded Spill
	s_wait_xcnt 0x0
	v_cmpx_ne_u16_e32 0, v24
	s_cbranch_execz .LBB283_674
; %bb.667:                              ;   in Loop: Header=BB283_15 Depth=1
	v_bfrev_b32_e32 v59, 1
	s_mov_b32 s17, exec_lo
	v_cmpx_ne_u16_e32 0x80, v24
	s_cbranch_execz .LBB283_673
; %bb.668:                              ;   in Loop: Header=BB283_15 Depth=1
	v_and_b32_e32 v0, 0xffff, v24
	v_mov_b32_e32 v59, 0x7c010000
	s_mov_b32 s18, exec_lo
	s_delay_alu instid0(VALU_DEP_2) | instskip(NEXT) | instid1(VALU_DEP_1)
	v_and_b32_e32 v8, 0x7f, v0
	v_cmpx_ne_u32_e32 0x7f, v8
	s_cbranch_execz .LBB283_672
; %bb.669:                              ;   in Loop: Header=BB283_15 Depth=1
	v_and_b32_e32 v1, 7, v0
	v_lshrrev_b32_e32 v6, 3, v8
	s_mov_b32 s19, exec_lo
	v_cmpx_gt_u32_e32 8, v8
; %bb.670:                              ;   in Loop: Header=BB283_15 Depth=1
	s_delay_alu instid0(VALU_DEP_3) | instskip(NEXT) | instid1(VALU_DEP_1)
	v_clz_i32_u32_e32 v1, v1
	v_min_u32_e32 v1, 32, v1
	s_delay_alu instid0(VALU_DEP_1) | instskip(NEXT) | instid1(VALU_DEP_1)
	v_subrev_nc_u32_e32 v6, 28, v1
	v_lshlrev_b64_e32 v[8:9], v6, v[24:25]
	s_delay_alu instid0(VALU_DEP_1)
	v_dual_sub_nc_u32 v6, 29, v1 :: v_dual_bitop2_b32 v1, 7, v8 bitop3:0x40
; %bb.671:                              ;   in Loop: Header=BB283_15 Depth=1
	s_or_b32 exec_lo, exec_lo, s19
	s_delay_alu instid0(VALU_DEP_1) | instskip(NEXT) | instid1(VALU_DEP_2)
	v_dual_lshlrev_b32 v0, 8, v0 :: v_dual_lshlrev_b32 v1, 23, v1
	v_lshl_add_u32 v6, v6, 10, 0x2000
	s_delay_alu instid0(VALU_DEP_1) | instskip(NEXT) | instid1(VALU_DEP_1)
	v_and_or_b32 v0, 0x8000, v0, v6
	v_lshl_or_b32 v59, v0, 16, v1
.LBB283_672:                            ;   in Loop: Header=BB283_15 Depth=1
	s_or_b32 exec_lo, exec_lo, s18
.LBB283_673:                            ;   in Loop: Header=BB283_15 Depth=1
	s_delay_alu instid0(SALU_CYCLE_1)
	s_or_b32 exec_lo, exec_lo, s17
.LBB283_674:                            ;   in Loop: Header=BB283_15 Depth=1
	s_delay_alu instid0(SALU_CYCLE_1) | instskip(SKIP_2) | instid1(VALU_DEP_1)
	s_or_b32 exec_lo, exec_lo, s16
	v_lshrrev_b32_e32 v0, 16, v4
	s_mov_b32 s16, exec_lo
	v_and_b32_e32 v1, 0xff, v0
	s_delay_alu instid0(VALU_DEP_1)
	v_cmpx_ne_u16_e32 0, v1
	s_cbranch_execz .LBB283_682
; %bb.675:                              ;   in Loop: Header=BB283_15 Depth=1
	v_cmp_ne_u16_e64 s1, 0x80, v1
	v_mov_b32_e32 v1, 0x8000
	scratch_store_b32 off, v1, s32 offset:260 ; 4-byte Folded Spill
	s_wait_xcnt 0x0
	s_and_saveexec_b32 s17, s1
	s_cbranch_execz .LBB283_681
; %bb.676:                              ;   in Loop: Header=BB283_15 Depth=1
	v_bfe_u32 v8, v4, 16, 7
	v_mov_b32_e32 v1, 0x7c01
	s_mov_b32 s18, exec_lo
	scratch_store_b32 off, v1, s32 offset:260 ; 4-byte Folded Spill
	s_wait_xcnt 0x0
	v_cmpx_ne_u32_e32 0x7f, v8
	s_cbranch_execz .LBB283_680
; %bb.677:                              ;   in Loop: Header=BB283_15 Depth=1
	v_and_b32_e32 v1, 7, v0
	v_lshrrev_b32_e32 v6, 3, v8
	s_mov_b32 s19, exec_lo
	v_cmpx_gt_u32_e32 8, v8
; %bb.678:                              ;   in Loop: Header=BB283_15 Depth=1
	s_delay_alu instid0(VALU_DEP_3) | instskip(NEXT) | instid1(VALU_DEP_1)
	v_clz_i32_u32_e32 v1, v1
	v_min_u32_e32 v1, 32, v1
	s_delay_alu instid0(VALU_DEP_1) | instskip(NEXT) | instid1(VALU_DEP_1)
	v_subrev_nc_u32_e32 v6, 28, v1
	v_lshlrev_b64_e32 v[8:9], v6, v[0:1]
	s_delay_alu instid0(VALU_DEP_1)
	v_dual_sub_nc_u32 v6, 29, v1 :: v_dual_bitop2_b32 v1, 7, v8 bitop3:0x40
; %bb.679:                              ;   in Loop: Header=BB283_15 Depth=1
	s_or_b32 exec_lo, exec_lo, s19
	s_delay_alu instid0(VALU_DEP_1) | instskip(NEXT) | instid1(VALU_DEP_2)
	v_dual_lshlrev_b32 v0, 8, v0 :: v_dual_lshlrev_b32 v1, 7, v1
	v_lshl_add_u32 v6, v6, 10, 0x2000
	s_delay_alu instid0(VALU_DEP_2) | instskip(NEXT) | instid1(VALU_DEP_2)
	v_and_b32_e32 v0, 0x8000, v0
	v_and_b32_e32 v6, 0xfc00, v6
	s_delay_alu instid0(VALU_DEP_1)
	v_or3_b32 v0, v0, v6, v1
	scratch_store_b32 off, v0, s32 offset:260 ; 4-byte Folded Spill
.LBB283_680:                            ;   in Loop: Header=BB283_15 Depth=1
	s_wait_xcnt 0x0
	s_or_b32 exec_lo, exec_lo, s18
.LBB283_681:                            ;   in Loop: Header=BB283_15 Depth=1
	s_delay_alu instid0(SALU_CYCLE_1)
	s_or_b32 exec_lo, exec_lo, s17
.LBB283_682:                            ;   in Loop: Header=BB283_15 Depth=1
	s_delay_alu instid0(SALU_CYCLE_1)
	s_or_b32 exec_lo, exec_lo, s16
	v_dual_mov_b32 v0, 0 :: v_dual_mov_b32 v61, 0
	s_mov_b32 s16, exec_lo
	scratch_store_b32 off, v0, s32 offset:264 ; 4-byte Folded Spill
	s_wait_xcnt 0x0
	v_cmpx_lt_u32_e32 0xffffff, v4
	s_cbranch_execz .LBB283_690
; %bb.683:                              ;   in Loop: Header=BB283_15 Depth=1
	v_lshrrev_b32_e32 v24, 24, v4
	v_bfrev_b32_e32 v61, 1
	s_mov_b32 s17, exec_lo
	s_delay_alu instid0(VALU_DEP_2)
	v_cmpx_ne_u32_e32 0x80, v24
	s_cbranch_execz .LBB283_689
; %bb.684:                              ;   in Loop: Header=BB283_15 Depth=1
	v_and_b32_e32 v6, 0x7f, v24
	v_mov_b32_e32 v61, 0x7c010000
	s_mov_b32 s18, exec_lo
	s_delay_alu instid0(VALU_DEP_2)
	v_cmpx_ne_u32_e32 0x7f, v6
	s_cbranch_execz .LBB283_688
; %bb.685:                              ;   in Loop: Header=BB283_15 Depth=1
	v_dual_lshrrev_b32 v1, 3, v6 :: v_dual_bitop2_b32 v0, 7, v24 bitop3:0x40
	s_mov_b32 s19, exec_lo
	v_cmpx_gt_u32_e32 8, v6
; %bb.686:                              ;   in Loop: Header=BB283_15 Depth=1
	s_delay_alu instid0(VALU_DEP_2) | instskip(NEXT) | instid1(VALU_DEP_1)
	v_clz_i32_u32_e32 v0, v0
	v_min_u32_e32 v6, 32, v0
	s_delay_alu instid0(VALU_DEP_1) | instskip(NEXT) | instid1(VALU_DEP_1)
	v_subrev_nc_u32_e32 v0, 28, v6
	v_lshlrev_b64_e32 v[0:1], v0, v[24:25]
	s_delay_alu instid0(VALU_DEP_1)
	v_dual_sub_nc_u32 v1, 29, v6 :: v_dual_bitop2_b32 v0, 7, v0 bitop3:0x40
; %bb.687:                              ;   in Loop: Header=BB283_15 Depth=1
	s_or_b32 exec_lo, exec_lo, s19
	v_lshlrev_b32_e32 v6, 8, v24
	s_delay_alu instid0(VALU_DEP_2) | instskip(NEXT) | instid1(VALU_DEP_3)
	v_lshl_add_u32 v1, v1, 10, 0x2000
	v_lshlrev_b32_e32 v0, 23, v0
	s_delay_alu instid0(VALU_DEP_2) | instskip(NEXT) | instid1(VALU_DEP_1)
	v_and_or_b32 v1, 0x8000, v6, v1
	v_lshl_or_b32 v61, v1, 16, v0
.LBB283_688:                            ;   in Loop: Header=BB283_15 Depth=1
	s_or_b32 exec_lo, exec_lo, s18
.LBB283_689:                            ;   in Loop: Header=BB283_15 Depth=1
	s_delay_alu instid0(SALU_CYCLE_1)
	s_or_b32 exec_lo, exec_lo, s17
.LBB283_690:                            ;   in Loop: Header=BB283_15 Depth=1
	s_delay_alu instid0(SALU_CYCLE_1) | instskip(SKIP_3) | instid1(VALU_DEP_2)
	s_or_b32 exec_lo, exec_lo, s16
	v_and_b32_e32 v0, 0xff, v5
	v_mov_b32_e32 v24, v5
	s_mov_b32 s16, exec_lo
	v_cmpx_ne_u16_e32 0, v0
	s_cbranch_execz .LBB283_698
; %bb.691:                              ;   in Loop: Header=BB283_15 Depth=1
	v_cmp_ne_u16_e64 s1, 0x80, v0
	v_mov_b32_e32 v0, 0x8000
	scratch_store_b32 off, v0, s32 offset:264 ; 4-byte Folded Spill
	s_wait_xcnt 0x0
	s_and_saveexec_b32 s17, s1
	s_cbranch_execz .LBB283_697
; %bb.692:                              ;   in Loop: Header=BB283_15 Depth=1
	v_and_b32_e32 v6, 0x7f, v5
	v_mov_b32_e32 v0, 0x7c01
	s_mov_b32 s18, exec_lo
	scratch_store_b32 off, v0, s32 offset:264 ; 4-byte Folded Spill
	s_wait_xcnt 0x0
	v_cmpx_ne_u32_e32 0x7f, v6
	s_cbranch_execz .LBB283_696
; %bb.693:                              ;   in Loop: Header=BB283_15 Depth=1
	v_dual_lshrrev_b32 v1, 3, v6 :: v_dual_bitop2_b32 v0, 7, v5 bitop3:0x40
	s_mov_b32 s19, exec_lo
	v_cmpx_gt_u32_e32 8, v6
; %bb.694:                              ;   in Loop: Header=BB283_15 Depth=1
	s_delay_alu instid0(VALU_DEP_2) | instskip(NEXT) | instid1(VALU_DEP_1)
	v_clz_i32_u32_e32 v0, v0
	v_min_u32_e32 v6, 32, v0
	s_delay_alu instid0(VALU_DEP_1) | instskip(NEXT) | instid1(VALU_DEP_1)
	v_subrev_nc_u32_e32 v0, 28, v6
	v_lshlrev_b64_e32 v[0:1], v0, v[24:25]
	s_delay_alu instid0(VALU_DEP_1)
	v_dual_sub_nc_u32 v1, 29, v6 :: v_dual_bitop2_b32 v0, 7, v0 bitop3:0x40
; %bb.695:                              ;   in Loop: Header=BB283_15 Depth=1
	s_or_b32 exec_lo, exec_lo, s19
	s_delay_alu instid0(VALU_DEP_1) | instskip(NEXT) | instid1(VALU_DEP_2)
	v_dual_lshlrev_b32 v6, 8, v5 :: v_dual_lshlrev_b32 v0, 7, v0
	v_lshl_add_u32 v1, v1, 10, 0x2000
	s_delay_alu instid0(VALU_DEP_2) | instskip(NEXT) | instid1(VALU_DEP_2)
	v_and_b32_e32 v6, 0x8000, v6
	v_and_b32_e32 v1, 0xfc00, v1
	s_delay_alu instid0(VALU_DEP_1)
	v_or3_b32 v0, v6, v1, v0
	scratch_store_b32 off, v0, s32 offset:264 ; 4-byte Folded Spill
.LBB283_696:                            ;   in Loop: Header=BB283_15 Depth=1
	s_wait_xcnt 0x0
	s_or_b32 exec_lo, exec_lo, s18
.LBB283_697:                            ;   in Loop: Header=BB283_15 Depth=1
	s_delay_alu instid0(SALU_CYCLE_1)
	s_or_b32 exec_lo, exec_lo, s17
.LBB283_698:                            ;   in Loop: Header=BB283_15 Depth=1
	s_delay_alu instid0(SALU_CYCLE_1)
	s_or_b32 exec_lo, exec_lo, s16
	v_lshrrev_b16 v24, 8, v24
	v_dual_mov_b32 v0, 0 :: v_dual_mov_b32 v60, 0
	s_mov_b32 s16, exec_lo
	scratch_store_b32 off, v0, s32 offset:268 ; 4-byte Folded Spill
	s_wait_xcnt 0x0
	v_cmpx_ne_u16_e32 0, v24
	s_cbranch_execz .LBB283_706
; %bb.699:                              ;   in Loop: Header=BB283_15 Depth=1
	v_bfrev_b32_e32 v60, 1
	s_mov_b32 s17, exec_lo
	v_cmpx_ne_u16_e32 0x80, v24
	s_cbranch_execz .LBB283_705
; %bb.700:                              ;   in Loop: Header=BB283_15 Depth=1
	v_and_b32_e32 v0, 0xffff, v24
	v_mov_b32_e32 v60, 0x7c010000
	s_mov_b32 s18, exec_lo
	s_delay_alu instid0(VALU_DEP_2) | instskip(NEXT) | instid1(VALU_DEP_1)
	v_and_b32_e32 v8, 0x7f, v0
	v_cmpx_ne_u32_e32 0x7f, v8
	s_cbranch_execz .LBB283_704
; %bb.701:                              ;   in Loop: Header=BB283_15 Depth=1
	v_and_b32_e32 v1, 7, v0
	v_lshrrev_b32_e32 v6, 3, v8
	s_mov_b32 s19, exec_lo
	v_cmpx_gt_u32_e32 8, v8
; %bb.702:                              ;   in Loop: Header=BB283_15 Depth=1
	s_delay_alu instid0(VALU_DEP_3) | instskip(NEXT) | instid1(VALU_DEP_1)
	v_clz_i32_u32_e32 v1, v1
	v_min_u32_e32 v1, 32, v1
	s_delay_alu instid0(VALU_DEP_1) | instskip(NEXT) | instid1(VALU_DEP_1)
	v_subrev_nc_u32_e32 v6, 28, v1
	v_lshlrev_b64_e32 v[8:9], v6, v[24:25]
	s_delay_alu instid0(VALU_DEP_1)
	v_dual_sub_nc_u32 v6, 29, v1 :: v_dual_bitop2_b32 v1, 7, v8 bitop3:0x40
; %bb.703:                              ;   in Loop: Header=BB283_15 Depth=1
	s_or_b32 exec_lo, exec_lo, s19
	s_delay_alu instid0(VALU_DEP_1) | instskip(NEXT) | instid1(VALU_DEP_2)
	v_dual_lshlrev_b32 v0, 8, v0 :: v_dual_lshlrev_b32 v1, 23, v1
	v_lshl_add_u32 v6, v6, 10, 0x2000
	s_delay_alu instid0(VALU_DEP_1) | instskip(NEXT) | instid1(VALU_DEP_1)
	v_and_or_b32 v0, 0x8000, v0, v6
	v_lshl_or_b32 v60, v0, 16, v1
.LBB283_704:                            ;   in Loop: Header=BB283_15 Depth=1
	s_or_b32 exec_lo, exec_lo, s18
.LBB283_705:                            ;   in Loop: Header=BB283_15 Depth=1
	s_delay_alu instid0(SALU_CYCLE_1)
	s_or_b32 exec_lo, exec_lo, s17
.LBB283_706:                            ;   in Loop: Header=BB283_15 Depth=1
	s_delay_alu instid0(SALU_CYCLE_1) | instskip(SKIP_2) | instid1(VALU_DEP_1)
	s_or_b32 exec_lo, exec_lo, s16
	v_lshrrev_b32_e32 v0, 16, v5
	s_mov_b32 s16, exec_lo
	v_and_b32_e32 v1, 0xff, v0
	s_delay_alu instid0(VALU_DEP_1)
	v_cmpx_ne_u16_e32 0, v1
	s_cbranch_execz .LBB283_714
; %bb.707:                              ;   in Loop: Header=BB283_15 Depth=1
	v_cmp_ne_u16_e64 s1, 0x80, v1
	v_mov_b32_e32 v1, 0x8000
	scratch_store_b32 off, v1, s32 offset:268 ; 4-byte Folded Spill
	s_wait_xcnt 0x0
	s_and_saveexec_b32 s17, s1
	s_cbranch_execz .LBB283_713
; %bb.708:                              ;   in Loop: Header=BB283_15 Depth=1
	v_bfe_u32 v8, v5, 16, 7
	v_mov_b32_e32 v1, 0x7c01
	s_mov_b32 s18, exec_lo
	scratch_store_b32 off, v1, s32 offset:268 ; 4-byte Folded Spill
	s_wait_xcnt 0x0
	v_cmpx_ne_u32_e32 0x7f, v8
	s_cbranch_execz .LBB283_712
; %bb.709:                              ;   in Loop: Header=BB283_15 Depth=1
	v_and_b32_e32 v1, 7, v0
	v_lshrrev_b32_e32 v6, 3, v8
	s_mov_b32 s19, exec_lo
	v_cmpx_gt_u32_e32 8, v8
; %bb.710:                              ;   in Loop: Header=BB283_15 Depth=1
	s_delay_alu instid0(VALU_DEP_3) | instskip(NEXT) | instid1(VALU_DEP_1)
	v_clz_i32_u32_e32 v1, v1
	v_min_u32_e32 v1, 32, v1
	s_delay_alu instid0(VALU_DEP_1) | instskip(NEXT) | instid1(VALU_DEP_1)
	v_subrev_nc_u32_e32 v6, 28, v1
	v_lshlrev_b64_e32 v[8:9], v6, v[0:1]
	s_delay_alu instid0(VALU_DEP_1)
	v_dual_sub_nc_u32 v6, 29, v1 :: v_dual_bitop2_b32 v1, 7, v8 bitop3:0x40
; %bb.711:                              ;   in Loop: Header=BB283_15 Depth=1
	s_or_b32 exec_lo, exec_lo, s19
	s_delay_alu instid0(VALU_DEP_1) | instskip(NEXT) | instid1(VALU_DEP_2)
	v_dual_lshlrev_b32 v0, 8, v0 :: v_dual_lshlrev_b32 v1, 7, v1
	v_lshl_add_u32 v6, v6, 10, 0x2000
	s_delay_alu instid0(VALU_DEP_2) | instskip(NEXT) | instid1(VALU_DEP_2)
	v_and_b32_e32 v0, 0x8000, v0
	v_and_b32_e32 v6, 0xfc00, v6
	s_delay_alu instid0(VALU_DEP_1)
	v_or3_b32 v0, v0, v6, v1
	scratch_store_b32 off, v0, s32 offset:268 ; 4-byte Folded Spill
.LBB283_712:                            ;   in Loop: Header=BB283_15 Depth=1
	s_wait_xcnt 0x0
	s_or_b32 exec_lo, exec_lo, s18
.LBB283_713:                            ;   in Loop: Header=BB283_15 Depth=1
	s_delay_alu instid0(SALU_CYCLE_1)
	s_or_b32 exec_lo, exec_lo, s17
.LBB283_714:                            ;   in Loop: Header=BB283_15 Depth=1
	s_delay_alu instid0(SALU_CYCLE_1)
	s_or_b32 exec_lo, exec_lo, s16
	v_dual_mov_b32 v0, 0 :: v_dual_mov_b32 v94, 0
	s_mov_b32 s16, exec_lo
	scratch_store_b32 off, v0, s32 offset:272 ; 4-byte Folded Spill
	s_wait_xcnt 0x0
	v_cmpx_lt_u64_e64 s[8:9], v[4:5]
	s_cbranch_execz .LBB283_722
; %bb.715:                              ;   in Loop: Header=BB283_15 Depth=1
	v_lshrrev_b32_e32 v24, 24, v5
	v_bfrev_b32_e32 v94, 1
	s_mov_b32 s17, exec_lo
	s_delay_alu instid0(VALU_DEP_2)
	v_cmpx_ne_u32_e32 0x80, v24
	s_cbranch_execz .LBB283_721
; %bb.716:                              ;   in Loop: Header=BB283_15 Depth=1
	v_and_b32_e32 v4, 0x7f, v24
	v_mov_b32_e32 v94, 0x7c010000
	s_mov_b32 s18, exec_lo
	s_delay_alu instid0(VALU_DEP_2)
	v_cmpx_ne_u32_e32 0x7f, v4
	s_cbranch_execz .LBB283_720
; %bb.717:                              ;   in Loop: Header=BB283_15 Depth=1
	v_and_b32_e32 v0, 7, v24
	v_lshrrev_b32_e32 v1, 3, v4
	s_mov_b32 s19, exec_lo
	v_cmpx_gt_u32_e32 8, v4
; %bb.718:                              ;   in Loop: Header=BB283_15 Depth=1
	s_delay_alu instid0(VALU_DEP_3) | instskip(NEXT) | instid1(VALU_DEP_1)
	v_clz_i32_u32_e32 v0, v0
	v_min_u32_e32 v4, 32, v0
	s_delay_alu instid0(VALU_DEP_1) | instskip(NEXT) | instid1(VALU_DEP_1)
	v_subrev_nc_u32_e32 v0, 28, v4
	v_lshlrev_b64_e32 v[0:1], v0, v[24:25]
	v_sub_nc_u32_e32 v1, 29, v4
	s_delay_alu instid0(VALU_DEP_2)
	v_and_b32_e32 v0, 7, v0
; %bb.719:                              ;   in Loop: Header=BB283_15 Depth=1
	s_or_b32 exec_lo, exec_lo, s19
	v_lshlrev_b32_e32 v4, 8, v24
	s_delay_alu instid0(VALU_DEP_3) | instskip(NEXT) | instid1(VALU_DEP_3)
	v_lshl_add_u32 v1, v1, 10, 0x2000
	v_lshlrev_b32_e32 v0, 23, v0
	s_delay_alu instid0(VALU_DEP_2) | instskip(NEXT) | instid1(VALU_DEP_1)
	v_and_or_b32 v1, 0x8000, v4, v1
	v_lshl_or_b32 v94, v1, 16, v0
.LBB283_720:                            ;   in Loop: Header=BB283_15 Depth=1
	s_or_b32 exec_lo, exec_lo, s18
.LBB283_721:                            ;   in Loop: Header=BB283_15 Depth=1
	s_delay_alu instid0(SALU_CYCLE_1)
	s_or_b32 exec_lo, exec_lo, s17
.LBB283_722:                            ;   in Loop: Header=BB283_15 Depth=1
	s_delay_alu instid0(SALU_CYCLE_1)
	s_or_b32 exec_lo, exec_lo, s16
	flat_load_b64 v[4:5], v[2:3] offset:2568
	s_mov_b32 s16, exec_lo
	s_wait_loadcnt_dscnt 0x0
	v_and_b32_e32 v0, 0xff, v4
	s_wait_xcnt 0x0
	s_delay_alu instid0(VALU_DEP_1)
	v_cmpx_ne_u16_e32 0, v0
	s_cbranch_execz .LBB283_730
; %bb.723:                              ;   in Loop: Header=BB283_15 Depth=1
	v_cmp_ne_u16_e64 s1, 0x80, v0
	v_mov_b32_e32 v0, 0x8000
	scratch_store_b32 off, v0, s32 offset:272 ; 4-byte Folded Spill
	s_wait_xcnt 0x0
	s_and_saveexec_b32 s17, s1
	s_cbranch_execz .LBB283_729
; %bb.724:                              ;   in Loop: Header=BB283_15 Depth=1
	v_and_b32_e32 v6, 0x7f, v4
	v_mov_b32_e32 v0, 0x7c01
	s_mov_b32 s18, exec_lo
	scratch_store_b32 off, v0, s32 offset:272 ; 4-byte Folded Spill
	s_wait_xcnt 0x0
	v_cmpx_ne_u32_e32 0x7f, v6
	s_cbranch_execz .LBB283_728
; %bb.725:                              ;   in Loop: Header=BB283_15 Depth=1
	v_dual_lshrrev_b32 v1, 3, v6 :: v_dual_bitop2_b32 v0, 7, v4 bitop3:0x40
	s_mov_b32 s19, exec_lo
	v_cmpx_gt_u32_e32 8, v6
; %bb.726:                              ;   in Loop: Header=BB283_15 Depth=1
	s_delay_alu instid0(VALU_DEP_2) | instskip(NEXT) | instid1(VALU_DEP_1)
	v_clz_i32_u32_e32 v0, v0
	v_min_u32_e32 v6, 32, v0
	s_delay_alu instid0(VALU_DEP_1) | instskip(NEXT) | instid1(VALU_DEP_1)
	v_subrev_nc_u32_e32 v0, 28, v6
	v_lshlrev_b64_e32 v[0:1], v0, v[4:5]
	s_delay_alu instid0(VALU_DEP_1)
	v_dual_sub_nc_u32 v1, 29, v6 :: v_dual_bitop2_b32 v0, 7, v0 bitop3:0x40
; %bb.727:                              ;   in Loop: Header=BB283_15 Depth=1
	s_or_b32 exec_lo, exec_lo, s19
	v_lshlrev_b32_e32 v6, 8, v4
	s_delay_alu instid0(VALU_DEP_2) | instskip(NEXT) | instid1(VALU_DEP_3)
	v_lshl_add_u32 v1, v1, 10, 0x2000
	v_lshlrev_b32_e32 v0, 7, v0
	s_delay_alu instid0(VALU_DEP_3) | instskip(NEXT) | instid1(VALU_DEP_3)
	v_and_b32_e32 v6, 0x8000, v6
	v_and_b32_e32 v1, 0xfc00, v1
	s_delay_alu instid0(VALU_DEP_1)
	v_or3_b32 v0, v6, v1, v0
	scratch_store_b32 off, v0, s32 offset:272 ; 4-byte Folded Spill
.LBB283_728:                            ;   in Loop: Header=BB283_15 Depth=1
	s_wait_xcnt 0x0
	s_or_b32 exec_lo, exec_lo, s18
.LBB283_729:                            ;   in Loop: Header=BB283_15 Depth=1
	s_delay_alu instid0(SALU_CYCLE_1)
	s_or_b32 exec_lo, exec_lo, s17
.LBB283_730:                            ;   in Loop: Header=BB283_15 Depth=1
	s_delay_alu instid0(SALU_CYCLE_1)
	s_or_b32 exec_lo, exec_lo, s16
	v_lshrrev_b16 v24, 8, v4
	v_dual_mov_b32 v0, 0 :: v_dual_mov_b32 v124, 0
	s_mov_b32 s16, exec_lo
	scratch_store_b32 off, v0, s32 offset:276 ; 4-byte Folded Spill
	s_wait_xcnt 0x0
	v_cmpx_ne_u16_e32 0, v24
	s_cbranch_execz .LBB283_738
; %bb.731:                              ;   in Loop: Header=BB283_15 Depth=1
	v_bfrev_b32_e32 v124, 1
	s_mov_b32 s17, exec_lo
	v_cmpx_ne_u16_e32 0x80, v24
	s_cbranch_execz .LBB283_737
; %bb.732:                              ;   in Loop: Header=BB283_15 Depth=1
	v_and_b32_e32 v0, 0xffff, v24
	v_mov_b32_e32 v124, 0x7c010000
	s_mov_b32 s18, exec_lo
	s_delay_alu instid0(VALU_DEP_2) | instskip(NEXT) | instid1(VALU_DEP_1)
	v_and_b32_e32 v8, 0x7f, v0
	v_cmpx_ne_u32_e32 0x7f, v8
	s_cbranch_execz .LBB283_736
; %bb.733:                              ;   in Loop: Header=BB283_15 Depth=1
	v_and_b32_e32 v1, 7, v0
	v_lshrrev_b32_e32 v6, 3, v8
	s_mov_b32 s19, exec_lo
	v_cmpx_gt_u32_e32 8, v8
; %bb.734:                              ;   in Loop: Header=BB283_15 Depth=1
	s_delay_alu instid0(VALU_DEP_3) | instskip(NEXT) | instid1(VALU_DEP_1)
	v_clz_i32_u32_e32 v1, v1
	v_min_u32_e32 v1, 32, v1
	s_delay_alu instid0(VALU_DEP_1) | instskip(NEXT) | instid1(VALU_DEP_1)
	v_subrev_nc_u32_e32 v6, 28, v1
	v_lshlrev_b64_e32 v[8:9], v6, v[24:25]
	s_delay_alu instid0(VALU_DEP_1)
	v_dual_sub_nc_u32 v6, 29, v1 :: v_dual_bitop2_b32 v1, 7, v8 bitop3:0x40
; %bb.735:                              ;   in Loop: Header=BB283_15 Depth=1
	s_or_b32 exec_lo, exec_lo, s19
	s_delay_alu instid0(VALU_DEP_1) | instskip(NEXT) | instid1(VALU_DEP_2)
	v_dual_lshlrev_b32 v0, 8, v0 :: v_dual_lshlrev_b32 v1, 23, v1
	v_lshl_add_u32 v6, v6, 10, 0x2000
	s_delay_alu instid0(VALU_DEP_1) | instskip(NEXT) | instid1(VALU_DEP_1)
	v_and_or_b32 v0, 0x8000, v0, v6
	v_lshl_or_b32 v124, v0, 16, v1
.LBB283_736:                            ;   in Loop: Header=BB283_15 Depth=1
	s_or_b32 exec_lo, exec_lo, s18
.LBB283_737:                            ;   in Loop: Header=BB283_15 Depth=1
	s_delay_alu instid0(SALU_CYCLE_1)
	s_or_b32 exec_lo, exec_lo, s17
.LBB283_738:                            ;   in Loop: Header=BB283_15 Depth=1
	s_delay_alu instid0(SALU_CYCLE_1) | instskip(SKIP_2) | instid1(VALU_DEP_1)
	s_or_b32 exec_lo, exec_lo, s16
	v_lshrrev_b32_e32 v0, 16, v4
	s_mov_b32 s16, exec_lo
	v_and_b32_e32 v1, 0xff, v0
	s_delay_alu instid0(VALU_DEP_1)
	v_cmpx_ne_u16_e32 0, v1
	s_cbranch_execz .LBB283_746
; %bb.739:                              ;   in Loop: Header=BB283_15 Depth=1
	v_cmp_ne_u16_e64 s1, 0x80, v1
	v_mov_b32_e32 v1, 0x8000
	scratch_store_b32 off, v1, s32 offset:276 ; 4-byte Folded Spill
	s_wait_xcnt 0x0
	s_and_saveexec_b32 s17, s1
	s_cbranch_execz .LBB283_745
; %bb.740:                              ;   in Loop: Header=BB283_15 Depth=1
	v_bfe_u32 v8, v4, 16, 7
	v_mov_b32_e32 v1, 0x7c01
	s_mov_b32 s18, exec_lo
	scratch_store_b32 off, v1, s32 offset:276 ; 4-byte Folded Spill
	s_wait_xcnt 0x0
	v_cmpx_ne_u32_e32 0x7f, v8
	s_cbranch_execz .LBB283_744
; %bb.741:                              ;   in Loop: Header=BB283_15 Depth=1
	v_and_b32_e32 v1, 7, v0
	v_lshrrev_b32_e32 v6, 3, v8
	s_mov_b32 s19, exec_lo
	v_cmpx_gt_u32_e32 8, v8
; %bb.742:                              ;   in Loop: Header=BB283_15 Depth=1
	s_delay_alu instid0(VALU_DEP_3) | instskip(NEXT) | instid1(VALU_DEP_1)
	v_clz_i32_u32_e32 v1, v1
	v_min_u32_e32 v1, 32, v1
	s_delay_alu instid0(VALU_DEP_1) | instskip(NEXT) | instid1(VALU_DEP_1)
	v_subrev_nc_u32_e32 v6, 28, v1
	v_lshlrev_b64_e32 v[8:9], v6, v[0:1]
	s_delay_alu instid0(VALU_DEP_1)
	v_dual_sub_nc_u32 v6, 29, v1 :: v_dual_bitop2_b32 v1, 7, v8 bitop3:0x40
; %bb.743:                              ;   in Loop: Header=BB283_15 Depth=1
	s_or_b32 exec_lo, exec_lo, s19
	s_delay_alu instid0(VALU_DEP_1) | instskip(NEXT) | instid1(VALU_DEP_2)
	v_dual_lshlrev_b32 v0, 8, v0 :: v_dual_lshlrev_b32 v1, 7, v1
	v_lshl_add_u32 v6, v6, 10, 0x2000
	s_delay_alu instid0(VALU_DEP_2) | instskip(NEXT) | instid1(VALU_DEP_2)
	v_and_b32_e32 v0, 0x8000, v0
	v_and_b32_e32 v6, 0xfc00, v6
	s_delay_alu instid0(VALU_DEP_1)
	v_or3_b32 v0, v0, v6, v1
	scratch_store_b32 off, v0, s32 offset:276 ; 4-byte Folded Spill
.LBB283_744:                            ;   in Loop: Header=BB283_15 Depth=1
	s_wait_xcnt 0x0
	s_or_b32 exec_lo, exec_lo, s18
.LBB283_745:                            ;   in Loop: Header=BB283_15 Depth=1
	s_delay_alu instid0(SALU_CYCLE_1)
	s_or_b32 exec_lo, exec_lo, s17
.LBB283_746:                            ;   in Loop: Header=BB283_15 Depth=1
	s_delay_alu instid0(SALU_CYCLE_1)
	s_or_b32 exec_lo, exec_lo, s16
	v_dual_mov_b32 v0, 0 :: v_dual_mov_b32 v126, 0
	s_mov_b32 s16, exec_lo
	scratch_store_b32 off, v0, s32 offset:280 ; 4-byte Folded Spill
	s_wait_xcnt 0x0
	v_cmpx_lt_u32_e32 0xffffff, v4
	s_cbranch_execz .LBB283_754
; %bb.747:                              ;   in Loop: Header=BB283_15 Depth=1
	v_lshrrev_b32_e32 v24, 24, v4
	v_bfrev_b32_e32 v126, 1
	s_mov_b32 s17, exec_lo
	s_delay_alu instid0(VALU_DEP_2)
	v_cmpx_ne_u32_e32 0x80, v24
	s_cbranch_execz .LBB283_753
; %bb.748:                              ;   in Loop: Header=BB283_15 Depth=1
	v_and_b32_e32 v6, 0x7f, v24
	v_mov_b32_e32 v126, 0x7c010000
	s_mov_b32 s18, exec_lo
	s_delay_alu instid0(VALU_DEP_2)
	v_cmpx_ne_u32_e32 0x7f, v6
	s_cbranch_execz .LBB283_752
; %bb.749:                              ;   in Loop: Header=BB283_15 Depth=1
	v_dual_lshrrev_b32 v1, 3, v6 :: v_dual_bitop2_b32 v0, 7, v24 bitop3:0x40
	s_mov_b32 s19, exec_lo
	v_cmpx_gt_u32_e32 8, v6
; %bb.750:                              ;   in Loop: Header=BB283_15 Depth=1
	s_delay_alu instid0(VALU_DEP_2) | instskip(NEXT) | instid1(VALU_DEP_1)
	v_clz_i32_u32_e32 v0, v0
	v_min_u32_e32 v6, 32, v0
	s_delay_alu instid0(VALU_DEP_1) | instskip(NEXT) | instid1(VALU_DEP_1)
	v_subrev_nc_u32_e32 v0, 28, v6
	v_lshlrev_b64_e32 v[0:1], v0, v[24:25]
	s_delay_alu instid0(VALU_DEP_1)
	v_dual_sub_nc_u32 v1, 29, v6 :: v_dual_bitop2_b32 v0, 7, v0 bitop3:0x40
; %bb.751:                              ;   in Loop: Header=BB283_15 Depth=1
	s_or_b32 exec_lo, exec_lo, s19
	v_lshlrev_b32_e32 v6, 8, v24
	s_delay_alu instid0(VALU_DEP_2) | instskip(NEXT) | instid1(VALU_DEP_3)
	v_lshl_add_u32 v1, v1, 10, 0x2000
	v_lshlrev_b32_e32 v0, 23, v0
	s_delay_alu instid0(VALU_DEP_2) | instskip(NEXT) | instid1(VALU_DEP_1)
	v_and_or_b32 v1, 0x8000, v6, v1
	v_lshl_or_b32 v126, v1, 16, v0
.LBB283_752:                            ;   in Loop: Header=BB283_15 Depth=1
	s_or_b32 exec_lo, exec_lo, s18
.LBB283_753:                            ;   in Loop: Header=BB283_15 Depth=1
	s_delay_alu instid0(SALU_CYCLE_1)
	s_or_b32 exec_lo, exec_lo, s17
.LBB283_754:                            ;   in Loop: Header=BB283_15 Depth=1
	s_delay_alu instid0(SALU_CYCLE_1) | instskip(SKIP_3) | instid1(VALU_DEP_2)
	s_or_b32 exec_lo, exec_lo, s16
	v_and_b32_e32 v0, 0xff, v5
	v_mov_b32_e32 v24, v5
	s_mov_b32 s16, exec_lo
	v_cmpx_ne_u16_e32 0, v0
	s_cbranch_execz .LBB283_762
; %bb.755:                              ;   in Loop: Header=BB283_15 Depth=1
	v_cmp_ne_u16_e64 s1, 0x80, v0
	v_mov_b32_e32 v0, 0x8000
	scratch_store_b32 off, v0, s32 offset:280 ; 4-byte Folded Spill
	s_wait_xcnt 0x0
	s_and_saveexec_b32 s17, s1
	s_cbranch_execz .LBB283_761
; %bb.756:                              ;   in Loop: Header=BB283_15 Depth=1
	v_and_b32_e32 v6, 0x7f, v5
	v_mov_b32_e32 v0, 0x7c01
	s_mov_b32 s18, exec_lo
	scratch_store_b32 off, v0, s32 offset:280 ; 4-byte Folded Spill
	s_wait_xcnt 0x0
	v_cmpx_ne_u32_e32 0x7f, v6
	s_cbranch_execz .LBB283_760
; %bb.757:                              ;   in Loop: Header=BB283_15 Depth=1
	v_dual_lshrrev_b32 v1, 3, v6 :: v_dual_bitop2_b32 v0, 7, v5 bitop3:0x40
	s_mov_b32 s19, exec_lo
	v_cmpx_gt_u32_e32 8, v6
; %bb.758:                              ;   in Loop: Header=BB283_15 Depth=1
	s_delay_alu instid0(VALU_DEP_2) | instskip(NEXT) | instid1(VALU_DEP_1)
	v_clz_i32_u32_e32 v0, v0
	v_min_u32_e32 v6, 32, v0
	s_delay_alu instid0(VALU_DEP_1) | instskip(NEXT) | instid1(VALU_DEP_1)
	v_subrev_nc_u32_e32 v0, 28, v6
	v_lshlrev_b64_e32 v[0:1], v0, v[24:25]
	s_delay_alu instid0(VALU_DEP_1)
	v_dual_sub_nc_u32 v1, 29, v6 :: v_dual_bitop2_b32 v0, 7, v0 bitop3:0x40
; %bb.759:                              ;   in Loop: Header=BB283_15 Depth=1
	s_or_b32 exec_lo, exec_lo, s19
	s_delay_alu instid0(VALU_DEP_1) | instskip(NEXT) | instid1(VALU_DEP_2)
	v_dual_lshlrev_b32 v6, 8, v5 :: v_dual_lshlrev_b32 v0, 7, v0
	v_lshl_add_u32 v1, v1, 10, 0x2000
	s_delay_alu instid0(VALU_DEP_2) | instskip(NEXT) | instid1(VALU_DEP_2)
	v_and_b32_e32 v6, 0x8000, v6
	v_and_b32_e32 v1, 0xfc00, v1
	s_delay_alu instid0(VALU_DEP_1)
	v_or3_b32 v0, v6, v1, v0
	scratch_store_b32 off, v0, s32 offset:280 ; 4-byte Folded Spill
.LBB283_760:                            ;   in Loop: Header=BB283_15 Depth=1
	s_wait_xcnt 0x0
	s_or_b32 exec_lo, exec_lo, s18
.LBB283_761:                            ;   in Loop: Header=BB283_15 Depth=1
	s_delay_alu instid0(SALU_CYCLE_1)
	s_or_b32 exec_lo, exec_lo, s17
.LBB283_762:                            ;   in Loop: Header=BB283_15 Depth=1
	s_delay_alu instid0(SALU_CYCLE_1)
	s_or_b32 exec_lo, exec_lo, s16
	v_lshrrev_b16 v24, 8, v24
	v_dual_mov_b32 v0, 0 :: v_dual_mov_b32 v125, 0
	s_mov_b32 s16, exec_lo
	scratch_store_b32 off, v0, s32 offset:284 ; 4-byte Folded Spill
	s_wait_xcnt 0x0
	v_cmpx_ne_u16_e32 0, v24
	s_cbranch_execz .LBB283_770
; %bb.763:                              ;   in Loop: Header=BB283_15 Depth=1
	v_bfrev_b32_e32 v125, 1
	s_mov_b32 s17, exec_lo
	v_cmpx_ne_u16_e32 0x80, v24
	s_cbranch_execz .LBB283_769
; %bb.764:                              ;   in Loop: Header=BB283_15 Depth=1
	v_and_b32_e32 v0, 0xffff, v24
	v_mov_b32_e32 v125, 0x7c010000
	s_mov_b32 s18, exec_lo
	s_delay_alu instid0(VALU_DEP_2) | instskip(NEXT) | instid1(VALU_DEP_1)
	v_and_b32_e32 v8, 0x7f, v0
	v_cmpx_ne_u32_e32 0x7f, v8
	s_cbranch_execz .LBB283_768
; %bb.765:                              ;   in Loop: Header=BB283_15 Depth=1
	v_and_b32_e32 v1, 7, v0
	v_lshrrev_b32_e32 v6, 3, v8
	s_mov_b32 s19, exec_lo
	v_cmpx_gt_u32_e32 8, v8
; %bb.766:                              ;   in Loop: Header=BB283_15 Depth=1
	s_delay_alu instid0(VALU_DEP_3) | instskip(NEXT) | instid1(VALU_DEP_1)
	v_clz_i32_u32_e32 v1, v1
	v_min_u32_e32 v1, 32, v1
	s_delay_alu instid0(VALU_DEP_1) | instskip(NEXT) | instid1(VALU_DEP_1)
	v_subrev_nc_u32_e32 v6, 28, v1
	v_lshlrev_b64_e32 v[8:9], v6, v[24:25]
	s_delay_alu instid0(VALU_DEP_1)
	v_dual_sub_nc_u32 v6, 29, v1 :: v_dual_bitop2_b32 v1, 7, v8 bitop3:0x40
; %bb.767:                              ;   in Loop: Header=BB283_15 Depth=1
	s_or_b32 exec_lo, exec_lo, s19
	s_delay_alu instid0(VALU_DEP_1) | instskip(NEXT) | instid1(VALU_DEP_2)
	v_dual_lshlrev_b32 v0, 8, v0 :: v_dual_lshlrev_b32 v1, 23, v1
	v_lshl_add_u32 v6, v6, 10, 0x2000
	s_delay_alu instid0(VALU_DEP_1) | instskip(NEXT) | instid1(VALU_DEP_1)
	v_and_or_b32 v0, 0x8000, v0, v6
	v_lshl_or_b32 v125, v0, 16, v1
.LBB283_768:                            ;   in Loop: Header=BB283_15 Depth=1
	s_or_b32 exec_lo, exec_lo, s18
.LBB283_769:                            ;   in Loop: Header=BB283_15 Depth=1
	s_delay_alu instid0(SALU_CYCLE_1)
	s_or_b32 exec_lo, exec_lo, s17
.LBB283_770:                            ;   in Loop: Header=BB283_15 Depth=1
	s_delay_alu instid0(SALU_CYCLE_1) | instskip(SKIP_2) | instid1(VALU_DEP_1)
	s_or_b32 exec_lo, exec_lo, s16
	v_lshrrev_b32_e32 v0, 16, v5
	s_mov_b32 s16, exec_lo
	v_and_b32_e32 v1, 0xff, v0
	s_delay_alu instid0(VALU_DEP_1)
	v_cmpx_ne_u16_e32 0, v1
	s_cbranch_execz .LBB283_778
; %bb.771:                              ;   in Loop: Header=BB283_15 Depth=1
	v_cmp_ne_u16_e64 s1, 0x80, v1
	v_mov_b32_e32 v1, 0x8000
	scratch_store_b32 off, v1, s32 offset:284 ; 4-byte Folded Spill
	s_wait_xcnt 0x0
	s_and_saveexec_b32 s17, s1
	s_cbranch_execz .LBB283_777
; %bb.772:                              ;   in Loop: Header=BB283_15 Depth=1
	v_bfe_u32 v8, v5, 16, 7
	v_mov_b32_e32 v1, 0x7c01
	s_mov_b32 s18, exec_lo
	scratch_store_b32 off, v1, s32 offset:284 ; 4-byte Folded Spill
	s_wait_xcnt 0x0
	v_cmpx_ne_u32_e32 0x7f, v8
	s_cbranch_execz .LBB283_776
; %bb.773:                              ;   in Loop: Header=BB283_15 Depth=1
	v_and_b32_e32 v1, 7, v0
	v_lshrrev_b32_e32 v6, 3, v8
	s_mov_b32 s19, exec_lo
	v_cmpx_gt_u32_e32 8, v8
; %bb.774:                              ;   in Loop: Header=BB283_15 Depth=1
	s_delay_alu instid0(VALU_DEP_3) | instskip(NEXT) | instid1(VALU_DEP_1)
	v_clz_i32_u32_e32 v1, v1
	v_min_u32_e32 v1, 32, v1
	s_delay_alu instid0(VALU_DEP_1) | instskip(NEXT) | instid1(VALU_DEP_1)
	v_subrev_nc_u32_e32 v6, 28, v1
	v_lshlrev_b64_e32 v[8:9], v6, v[0:1]
	s_delay_alu instid0(VALU_DEP_1)
	v_dual_sub_nc_u32 v6, 29, v1 :: v_dual_bitop2_b32 v1, 7, v8 bitop3:0x40
; %bb.775:                              ;   in Loop: Header=BB283_15 Depth=1
	s_or_b32 exec_lo, exec_lo, s19
	s_delay_alu instid0(VALU_DEP_1) | instskip(NEXT) | instid1(VALU_DEP_2)
	v_dual_lshlrev_b32 v0, 8, v0 :: v_dual_lshlrev_b32 v1, 7, v1
	v_lshl_add_u32 v6, v6, 10, 0x2000
	s_delay_alu instid0(VALU_DEP_2) | instskip(NEXT) | instid1(VALU_DEP_2)
	v_and_b32_e32 v0, 0x8000, v0
	v_and_b32_e32 v6, 0xfc00, v6
	s_delay_alu instid0(VALU_DEP_1)
	v_or3_b32 v0, v0, v6, v1
	scratch_store_b32 off, v0, s32 offset:284 ; 4-byte Folded Spill
.LBB283_776:                            ;   in Loop: Header=BB283_15 Depth=1
	s_wait_xcnt 0x0
	s_or_b32 exec_lo, exec_lo, s18
.LBB283_777:                            ;   in Loop: Header=BB283_15 Depth=1
	s_delay_alu instid0(SALU_CYCLE_1)
	s_or_b32 exec_lo, exec_lo, s17
.LBB283_778:                            ;   in Loop: Header=BB283_15 Depth=1
	s_delay_alu instid0(SALU_CYCLE_1)
	s_or_b32 exec_lo, exec_lo, s16
	v_dual_mov_b32 v0, 0 :: v_dual_mov_b32 v122, 0
	s_mov_b32 s16, exec_lo
	scratch_store_b32 off, v0, s32 offset:288 ; 4-byte Folded Spill
	s_wait_xcnt 0x0
	v_cmpx_lt_u64_e64 s[8:9], v[4:5]
	s_cbranch_execz .LBB283_786
; %bb.779:                              ;   in Loop: Header=BB283_15 Depth=1
	v_lshrrev_b32_e32 v24, 24, v5
	v_bfrev_b32_e32 v122, 1
	s_mov_b32 s17, exec_lo
	s_delay_alu instid0(VALU_DEP_2)
	v_cmpx_ne_u32_e32 0x80, v24
	s_cbranch_execz .LBB283_785
; %bb.780:                              ;   in Loop: Header=BB283_15 Depth=1
	v_and_b32_e32 v4, 0x7f, v24
	v_mov_b32_e32 v122, 0x7c010000
	s_mov_b32 s18, exec_lo
	s_delay_alu instid0(VALU_DEP_2)
	v_cmpx_ne_u32_e32 0x7f, v4
	s_cbranch_execz .LBB283_784
; %bb.781:                              ;   in Loop: Header=BB283_15 Depth=1
	v_and_b32_e32 v0, 7, v24
	v_lshrrev_b32_e32 v1, 3, v4
	s_mov_b32 s19, exec_lo
	v_cmpx_gt_u32_e32 8, v4
; %bb.782:                              ;   in Loop: Header=BB283_15 Depth=1
	s_delay_alu instid0(VALU_DEP_3) | instskip(NEXT) | instid1(VALU_DEP_1)
	v_clz_i32_u32_e32 v0, v0
	v_min_u32_e32 v4, 32, v0
	s_delay_alu instid0(VALU_DEP_1) | instskip(NEXT) | instid1(VALU_DEP_1)
	v_subrev_nc_u32_e32 v0, 28, v4
	v_lshlrev_b64_e32 v[0:1], v0, v[24:25]
	v_sub_nc_u32_e32 v1, 29, v4
	s_delay_alu instid0(VALU_DEP_2)
	v_and_b32_e32 v0, 7, v0
; %bb.783:                              ;   in Loop: Header=BB283_15 Depth=1
	s_or_b32 exec_lo, exec_lo, s19
	v_lshlrev_b32_e32 v4, 8, v24
	s_delay_alu instid0(VALU_DEP_3) | instskip(NEXT) | instid1(VALU_DEP_3)
	v_lshl_add_u32 v1, v1, 10, 0x2000
	v_lshlrev_b32_e32 v0, 23, v0
	s_delay_alu instid0(VALU_DEP_2) | instskip(NEXT) | instid1(VALU_DEP_1)
	v_and_or_b32 v1, 0x8000, v4, v1
	v_lshl_or_b32 v122, v1, 16, v0
.LBB283_784:                            ;   in Loop: Header=BB283_15 Depth=1
	s_or_b32 exec_lo, exec_lo, s18
.LBB283_785:                            ;   in Loop: Header=BB283_15 Depth=1
	s_delay_alu instid0(SALU_CYCLE_1)
	s_or_b32 exec_lo, exec_lo, s17
.LBB283_786:                            ;   in Loop: Header=BB283_15 Depth=1
	s_delay_alu instid0(SALU_CYCLE_1)
	s_or_b32 exec_lo, exec_lo, s16
	flat_load_b64 v[4:5], v[2:3] offset:3072
	s_mov_b32 s16, exec_lo
	s_wait_loadcnt_dscnt 0x0
	v_and_b32_e32 v0, 0xff, v4
	s_wait_xcnt 0x0
	s_delay_alu instid0(VALU_DEP_1)
	v_cmpx_ne_u16_e32 0, v0
	s_cbranch_execz .LBB283_794
; %bb.787:                              ;   in Loop: Header=BB283_15 Depth=1
	v_cmp_ne_u16_e64 s1, 0x80, v0
	v_mov_b32_e32 v0, 0x8000
	scratch_store_b32 off, v0, s32 offset:288 ; 4-byte Folded Spill
	s_wait_xcnt 0x0
	s_and_saveexec_b32 s17, s1
	s_cbranch_execz .LBB283_793
; %bb.788:                              ;   in Loop: Header=BB283_15 Depth=1
	v_and_b32_e32 v6, 0x7f, v4
	v_mov_b32_e32 v0, 0x7c01
	s_mov_b32 s18, exec_lo
	scratch_store_b32 off, v0, s32 offset:288 ; 4-byte Folded Spill
	s_wait_xcnt 0x0
	v_cmpx_ne_u32_e32 0x7f, v6
	s_cbranch_execz .LBB283_792
; %bb.789:                              ;   in Loop: Header=BB283_15 Depth=1
	v_dual_lshrrev_b32 v1, 3, v6 :: v_dual_bitop2_b32 v0, 7, v4 bitop3:0x40
	s_mov_b32 s19, exec_lo
	v_cmpx_gt_u32_e32 8, v6
; %bb.790:                              ;   in Loop: Header=BB283_15 Depth=1
	s_delay_alu instid0(VALU_DEP_2) | instskip(NEXT) | instid1(VALU_DEP_1)
	v_clz_i32_u32_e32 v0, v0
	v_min_u32_e32 v6, 32, v0
	s_delay_alu instid0(VALU_DEP_1) | instskip(NEXT) | instid1(VALU_DEP_1)
	v_subrev_nc_u32_e32 v0, 28, v6
	v_lshlrev_b64_e32 v[0:1], v0, v[4:5]
	s_delay_alu instid0(VALU_DEP_1)
	v_dual_sub_nc_u32 v1, 29, v6 :: v_dual_bitop2_b32 v0, 7, v0 bitop3:0x40
; %bb.791:                              ;   in Loop: Header=BB283_15 Depth=1
	s_or_b32 exec_lo, exec_lo, s19
	v_lshlrev_b32_e32 v6, 8, v4
	s_delay_alu instid0(VALU_DEP_2) | instskip(NEXT) | instid1(VALU_DEP_3)
	v_lshl_add_u32 v1, v1, 10, 0x2000
	v_lshlrev_b32_e32 v0, 7, v0
	s_delay_alu instid0(VALU_DEP_3) | instskip(NEXT) | instid1(VALU_DEP_3)
	v_and_b32_e32 v6, 0x8000, v6
	v_and_b32_e32 v1, 0xfc00, v1
	s_delay_alu instid0(VALU_DEP_1)
	v_or3_b32 v0, v6, v1, v0
	scratch_store_b32 off, v0, s32 offset:288 ; 4-byte Folded Spill
.LBB283_792:                            ;   in Loop: Header=BB283_15 Depth=1
	s_wait_xcnt 0x0
	s_or_b32 exec_lo, exec_lo, s18
.LBB283_793:                            ;   in Loop: Header=BB283_15 Depth=1
	s_delay_alu instid0(SALU_CYCLE_1)
	s_or_b32 exec_lo, exec_lo, s17
.LBB283_794:                            ;   in Loop: Header=BB283_15 Depth=1
	s_delay_alu instid0(SALU_CYCLE_1)
	s_or_b32 exec_lo, exec_lo, s16
	v_lshrrev_b16 v24, 8, v4
	v_dual_mov_b32 v0, 0 :: v_dual_mov_b32 v28, 0
	s_mov_b32 s16, exec_lo
	scratch_store_b32 off, v0, s32 offset:292 ; 4-byte Folded Spill
	s_wait_xcnt 0x0
	v_cmpx_ne_u16_e32 0, v24
	s_cbranch_execz .LBB283_802
; %bb.795:                              ;   in Loop: Header=BB283_15 Depth=1
	v_bfrev_b32_e32 v28, 1
	s_mov_b32 s17, exec_lo
	v_cmpx_ne_u16_e32 0x80, v24
	s_cbranch_execz .LBB283_801
; %bb.796:                              ;   in Loop: Header=BB283_15 Depth=1
	v_and_b32_e32 v0, 0xffff, v24
	v_mov_b32_e32 v28, 0x7c010000
	s_mov_b32 s18, exec_lo
	s_delay_alu instid0(VALU_DEP_2) | instskip(NEXT) | instid1(VALU_DEP_1)
	v_and_b32_e32 v8, 0x7f, v0
	v_cmpx_ne_u32_e32 0x7f, v8
	s_cbranch_execz .LBB283_800
; %bb.797:                              ;   in Loop: Header=BB283_15 Depth=1
	v_and_b32_e32 v1, 7, v0
	v_lshrrev_b32_e32 v6, 3, v8
	s_mov_b32 s19, exec_lo
	v_cmpx_gt_u32_e32 8, v8
; %bb.798:                              ;   in Loop: Header=BB283_15 Depth=1
	s_delay_alu instid0(VALU_DEP_3) | instskip(NEXT) | instid1(VALU_DEP_1)
	v_clz_i32_u32_e32 v1, v1
	v_min_u32_e32 v1, 32, v1
	s_delay_alu instid0(VALU_DEP_1) | instskip(NEXT) | instid1(VALU_DEP_1)
	v_subrev_nc_u32_e32 v6, 28, v1
	v_lshlrev_b64_e32 v[8:9], v6, v[24:25]
	s_delay_alu instid0(VALU_DEP_1)
	v_dual_sub_nc_u32 v6, 29, v1 :: v_dual_bitop2_b32 v1, 7, v8 bitop3:0x40
; %bb.799:                              ;   in Loop: Header=BB283_15 Depth=1
	s_or_b32 exec_lo, exec_lo, s19
	s_delay_alu instid0(VALU_DEP_1) | instskip(NEXT) | instid1(VALU_DEP_2)
	v_dual_lshlrev_b32 v0, 8, v0 :: v_dual_lshlrev_b32 v1, 23, v1
	v_lshl_add_u32 v6, v6, 10, 0x2000
	s_delay_alu instid0(VALU_DEP_1) | instskip(NEXT) | instid1(VALU_DEP_1)
	v_and_or_b32 v0, 0x8000, v0, v6
	v_lshl_or_b32 v28, v0, 16, v1
.LBB283_800:                            ;   in Loop: Header=BB283_15 Depth=1
	s_or_b32 exec_lo, exec_lo, s18
.LBB283_801:                            ;   in Loop: Header=BB283_15 Depth=1
	s_delay_alu instid0(SALU_CYCLE_1)
	s_or_b32 exec_lo, exec_lo, s17
.LBB283_802:                            ;   in Loop: Header=BB283_15 Depth=1
	s_delay_alu instid0(SALU_CYCLE_1) | instskip(SKIP_2) | instid1(VALU_DEP_1)
	s_or_b32 exec_lo, exec_lo, s16
	v_lshrrev_b32_e32 v0, 16, v4
	s_mov_b32 s16, exec_lo
	v_and_b32_e32 v1, 0xff, v0
	s_delay_alu instid0(VALU_DEP_1)
	v_cmpx_ne_u16_e32 0, v1
	s_cbranch_execz .LBB283_810
; %bb.803:                              ;   in Loop: Header=BB283_15 Depth=1
	v_cmp_ne_u16_e64 s1, 0x80, v1
	v_mov_b32_e32 v1, 0x8000
	scratch_store_b32 off, v1, s32 offset:292 ; 4-byte Folded Spill
	s_wait_xcnt 0x0
	s_and_saveexec_b32 s17, s1
	s_cbranch_execz .LBB283_809
; %bb.804:                              ;   in Loop: Header=BB283_15 Depth=1
	v_bfe_u32 v8, v4, 16, 7
	v_mov_b32_e32 v1, 0x7c01
	s_mov_b32 s18, exec_lo
	scratch_store_b32 off, v1, s32 offset:292 ; 4-byte Folded Spill
	s_wait_xcnt 0x0
	v_cmpx_ne_u32_e32 0x7f, v8
	s_cbranch_execz .LBB283_808
; %bb.805:                              ;   in Loop: Header=BB283_15 Depth=1
	v_and_b32_e32 v1, 7, v0
	v_lshrrev_b32_e32 v6, 3, v8
	s_mov_b32 s19, exec_lo
	v_cmpx_gt_u32_e32 8, v8
; %bb.806:                              ;   in Loop: Header=BB283_15 Depth=1
	s_delay_alu instid0(VALU_DEP_3) | instskip(NEXT) | instid1(VALU_DEP_1)
	v_clz_i32_u32_e32 v1, v1
	v_min_u32_e32 v1, 32, v1
	s_delay_alu instid0(VALU_DEP_1) | instskip(NEXT) | instid1(VALU_DEP_1)
	v_subrev_nc_u32_e32 v6, 28, v1
	v_lshlrev_b64_e32 v[8:9], v6, v[0:1]
	s_delay_alu instid0(VALU_DEP_1)
	v_dual_sub_nc_u32 v6, 29, v1 :: v_dual_bitop2_b32 v1, 7, v8 bitop3:0x40
; %bb.807:                              ;   in Loop: Header=BB283_15 Depth=1
	s_or_b32 exec_lo, exec_lo, s19
	s_delay_alu instid0(VALU_DEP_1) | instskip(NEXT) | instid1(VALU_DEP_2)
	v_dual_lshlrev_b32 v0, 8, v0 :: v_dual_lshlrev_b32 v1, 7, v1
	v_lshl_add_u32 v6, v6, 10, 0x2000
	s_delay_alu instid0(VALU_DEP_2) | instskip(NEXT) | instid1(VALU_DEP_2)
	v_and_b32_e32 v0, 0x8000, v0
	v_and_b32_e32 v6, 0xfc00, v6
	s_delay_alu instid0(VALU_DEP_1)
	v_or3_b32 v0, v0, v6, v1
	scratch_store_b32 off, v0, s32 offset:292 ; 4-byte Folded Spill
.LBB283_808:                            ;   in Loop: Header=BB283_15 Depth=1
	s_wait_xcnt 0x0
	s_or_b32 exec_lo, exec_lo, s18
.LBB283_809:                            ;   in Loop: Header=BB283_15 Depth=1
	s_delay_alu instid0(SALU_CYCLE_1)
	s_or_b32 exec_lo, exec_lo, s17
.LBB283_810:                            ;   in Loop: Header=BB283_15 Depth=1
	s_delay_alu instid0(SALU_CYCLE_1)
	s_or_b32 exec_lo, exec_lo, s16
	v_mov_b32_e32 v0, 0
	s_mov_b32 s16, exec_lo
	scratch_store_b32 off, v0, s32 offset:296 ; 4-byte Folded Spill
	s_wait_xcnt 0x0
	v_mov_b32_e32 v0, 0
	scratch_store_b32 off, v0, s32 offset:300 ; 4-byte Folded Spill
	s_wait_xcnt 0x0
	v_cmpx_lt_u32_e32 0xffffff, v4
	s_cbranch_execz .LBB283_818
; %bb.811:                              ;   in Loop: Header=BB283_15 Depth=1
	v_lshrrev_b32_e32 v24, 24, v4
	v_bfrev_b32_e32 v0, 1
	s_mov_b32 s17, exec_lo
	scratch_store_b32 off, v0, s32 offset:300 ; 4-byte Folded Spill
	s_wait_xcnt 0x0
	v_cmpx_ne_u32_e32 0x80, v24
	s_cbranch_execz .LBB283_817
; %bb.812:                              ;   in Loop: Header=BB283_15 Depth=1
	v_and_b32_e32 v6, 0x7f, v24
	v_mov_b32_e32 v0, 0x7c010000
	s_mov_b32 s18, exec_lo
	scratch_store_b32 off, v0, s32 offset:300 ; 4-byte Folded Spill
	s_wait_xcnt 0x0
	v_cmpx_ne_u32_e32 0x7f, v6
	s_cbranch_execz .LBB283_816
; %bb.813:                              ;   in Loop: Header=BB283_15 Depth=1
	v_dual_lshrrev_b32 v1, 3, v6 :: v_dual_bitop2_b32 v0, 7, v24 bitop3:0x40
	s_mov_b32 s19, exec_lo
	v_cmpx_gt_u32_e32 8, v6
; %bb.814:                              ;   in Loop: Header=BB283_15 Depth=1
	s_delay_alu instid0(VALU_DEP_2) | instskip(NEXT) | instid1(VALU_DEP_1)
	v_clz_i32_u32_e32 v0, v0
	v_min_u32_e32 v6, 32, v0
	s_delay_alu instid0(VALU_DEP_1) | instskip(NEXT) | instid1(VALU_DEP_1)
	v_subrev_nc_u32_e32 v0, 28, v6
	v_lshlrev_b64_e32 v[0:1], v0, v[24:25]
	s_delay_alu instid0(VALU_DEP_1)
	v_dual_sub_nc_u32 v1, 29, v6 :: v_dual_bitop2_b32 v0, 7, v0 bitop3:0x40
; %bb.815:                              ;   in Loop: Header=BB283_15 Depth=1
	s_or_b32 exec_lo, exec_lo, s19
	v_lshlrev_b32_e32 v6, 8, v24
	s_delay_alu instid0(VALU_DEP_2) | instskip(NEXT) | instid1(VALU_DEP_3)
	v_lshl_add_u32 v1, v1, 10, 0x2000
	v_lshlrev_b32_e32 v0, 23, v0
	s_delay_alu instid0(VALU_DEP_2) | instskip(NEXT) | instid1(VALU_DEP_1)
	v_and_or_b32 v1, 0x8000, v6, v1
	v_lshl_or_b32 v0, v1, 16, v0
	scratch_store_b32 off, v0, s32 offset:300 ; 4-byte Folded Spill
.LBB283_816:                            ;   in Loop: Header=BB283_15 Depth=1
	s_wait_xcnt 0x0
	s_or_b32 exec_lo, exec_lo, s18
.LBB283_817:                            ;   in Loop: Header=BB283_15 Depth=1
	s_delay_alu instid0(SALU_CYCLE_1)
	s_or_b32 exec_lo, exec_lo, s17
.LBB283_818:                            ;   in Loop: Header=BB283_15 Depth=1
	s_delay_alu instid0(SALU_CYCLE_1) | instskip(SKIP_3) | instid1(VALU_DEP_2)
	s_or_b32 exec_lo, exec_lo, s16
	v_and_b32_e32 v0, 0xff, v5
	v_mov_b32_e32 v24, v5
	s_mov_b32 s16, exec_lo
	v_cmpx_ne_u16_e32 0, v0
	s_cbranch_execz .LBB283_826
; %bb.819:                              ;   in Loop: Header=BB283_15 Depth=1
	v_cmp_ne_u16_e64 s1, 0x80, v0
	v_mov_b32_e32 v0, 0x8000
	scratch_store_b32 off, v0, s32 offset:296 ; 4-byte Folded Spill
	s_wait_xcnt 0x0
	s_and_saveexec_b32 s17, s1
	s_cbranch_execz .LBB283_825
; %bb.820:                              ;   in Loop: Header=BB283_15 Depth=1
	v_and_b32_e32 v6, 0x7f, v5
	v_mov_b32_e32 v0, 0x7c01
	s_mov_b32 s18, exec_lo
	scratch_store_b32 off, v0, s32 offset:296 ; 4-byte Folded Spill
	s_wait_xcnt 0x0
	v_cmpx_ne_u32_e32 0x7f, v6
	s_cbranch_execz .LBB283_824
; %bb.821:                              ;   in Loop: Header=BB283_15 Depth=1
	v_dual_lshrrev_b32 v1, 3, v6 :: v_dual_bitop2_b32 v0, 7, v5 bitop3:0x40
	s_mov_b32 s19, exec_lo
	v_cmpx_gt_u32_e32 8, v6
; %bb.822:                              ;   in Loop: Header=BB283_15 Depth=1
	s_delay_alu instid0(VALU_DEP_2) | instskip(NEXT) | instid1(VALU_DEP_1)
	v_clz_i32_u32_e32 v0, v0
	v_min_u32_e32 v6, 32, v0
	s_delay_alu instid0(VALU_DEP_1) | instskip(NEXT) | instid1(VALU_DEP_1)
	v_subrev_nc_u32_e32 v0, 28, v6
	v_lshlrev_b64_e32 v[0:1], v0, v[24:25]
	s_delay_alu instid0(VALU_DEP_1)
	v_dual_sub_nc_u32 v1, 29, v6 :: v_dual_bitop2_b32 v0, 7, v0 bitop3:0x40
; %bb.823:                              ;   in Loop: Header=BB283_15 Depth=1
	s_or_b32 exec_lo, exec_lo, s19
	s_delay_alu instid0(VALU_DEP_1) | instskip(NEXT) | instid1(VALU_DEP_2)
	v_dual_lshlrev_b32 v6, 8, v5 :: v_dual_lshlrev_b32 v0, 7, v0
	v_lshl_add_u32 v1, v1, 10, 0x2000
	s_delay_alu instid0(VALU_DEP_2) | instskip(NEXT) | instid1(VALU_DEP_2)
	v_and_b32_e32 v6, 0x8000, v6
	v_and_b32_e32 v1, 0xfc00, v1
	s_delay_alu instid0(VALU_DEP_1)
	v_or3_b32 v0, v6, v1, v0
	scratch_store_b32 off, v0, s32 offset:296 ; 4-byte Folded Spill
.LBB283_824:                            ;   in Loop: Header=BB283_15 Depth=1
	s_wait_xcnt 0x0
	s_or_b32 exec_lo, exec_lo, s18
.LBB283_825:                            ;   in Loop: Header=BB283_15 Depth=1
	s_delay_alu instid0(SALU_CYCLE_1)
	s_or_b32 exec_lo, exec_lo, s17
.LBB283_826:                            ;   in Loop: Header=BB283_15 Depth=1
	s_delay_alu instid0(SALU_CYCLE_1)
	s_or_b32 exec_lo, exec_lo, s16
	v_lshrrev_b16 v24, 8, v24
	v_dual_mov_b32 v0, 0 :: v_dual_mov_b32 v31, 0
	s_mov_b32 s16, exec_lo
	scratch_store_b32 off, v0, s32 offset:304 ; 4-byte Folded Spill
	s_wait_xcnt 0x0
	v_cmpx_ne_u16_e32 0, v24
	s_cbranch_execz .LBB283_834
; %bb.827:                              ;   in Loop: Header=BB283_15 Depth=1
	v_bfrev_b32_e32 v31, 1
	s_mov_b32 s17, exec_lo
	v_cmpx_ne_u16_e32 0x80, v24
	s_cbranch_execz .LBB283_833
; %bb.828:                              ;   in Loop: Header=BB283_15 Depth=1
	v_and_b32_e32 v0, 0xffff, v24
	v_mov_b32_e32 v31, 0x7c010000
	s_mov_b32 s18, exec_lo
	s_delay_alu instid0(VALU_DEP_2) | instskip(NEXT) | instid1(VALU_DEP_1)
	v_and_b32_e32 v8, 0x7f, v0
	v_cmpx_ne_u32_e32 0x7f, v8
	s_cbranch_execz .LBB283_832
; %bb.829:                              ;   in Loop: Header=BB283_15 Depth=1
	v_and_b32_e32 v1, 7, v0
	v_lshrrev_b32_e32 v6, 3, v8
	s_mov_b32 s19, exec_lo
	v_cmpx_gt_u32_e32 8, v8
; %bb.830:                              ;   in Loop: Header=BB283_15 Depth=1
	s_delay_alu instid0(VALU_DEP_3) | instskip(NEXT) | instid1(VALU_DEP_1)
	v_clz_i32_u32_e32 v1, v1
	v_min_u32_e32 v1, 32, v1
	s_delay_alu instid0(VALU_DEP_1) | instskip(NEXT) | instid1(VALU_DEP_1)
	v_subrev_nc_u32_e32 v6, 28, v1
	v_lshlrev_b64_e32 v[8:9], v6, v[24:25]
	s_delay_alu instid0(VALU_DEP_1)
	v_dual_sub_nc_u32 v6, 29, v1 :: v_dual_bitop2_b32 v1, 7, v8 bitop3:0x40
; %bb.831:                              ;   in Loop: Header=BB283_15 Depth=1
	s_or_b32 exec_lo, exec_lo, s19
	s_delay_alu instid0(VALU_DEP_1) | instskip(NEXT) | instid1(VALU_DEP_2)
	v_dual_lshlrev_b32 v0, 8, v0 :: v_dual_lshlrev_b32 v1, 23, v1
	v_lshl_add_u32 v6, v6, 10, 0x2000
	s_delay_alu instid0(VALU_DEP_1) | instskip(NEXT) | instid1(VALU_DEP_1)
	v_and_or_b32 v0, 0x8000, v0, v6
	v_lshl_or_b32 v31, v0, 16, v1
.LBB283_832:                            ;   in Loop: Header=BB283_15 Depth=1
	s_or_b32 exec_lo, exec_lo, s18
.LBB283_833:                            ;   in Loop: Header=BB283_15 Depth=1
	s_delay_alu instid0(SALU_CYCLE_1)
	s_or_b32 exec_lo, exec_lo, s17
.LBB283_834:                            ;   in Loop: Header=BB283_15 Depth=1
	s_delay_alu instid0(SALU_CYCLE_1) | instskip(SKIP_2) | instid1(VALU_DEP_1)
	s_or_b32 exec_lo, exec_lo, s16
	v_lshrrev_b32_e32 v0, 16, v5
	s_mov_b32 s16, exec_lo
	v_and_b32_e32 v1, 0xff, v0
	s_delay_alu instid0(VALU_DEP_1)
	v_cmpx_ne_u16_e32 0, v1
	s_cbranch_execz .LBB283_842
; %bb.835:                              ;   in Loop: Header=BB283_15 Depth=1
	v_cmp_ne_u16_e64 s1, 0x80, v1
	v_mov_b32_e32 v1, 0x8000
	scratch_store_b32 off, v1, s32 offset:304 ; 4-byte Folded Spill
	s_wait_xcnt 0x0
	s_and_saveexec_b32 s17, s1
	s_cbranch_execz .LBB283_841
; %bb.836:                              ;   in Loop: Header=BB283_15 Depth=1
	v_bfe_u32 v8, v5, 16, 7
	v_mov_b32_e32 v1, 0x7c01
	s_mov_b32 s18, exec_lo
	scratch_store_b32 off, v1, s32 offset:304 ; 4-byte Folded Spill
	s_wait_xcnt 0x0
	v_cmpx_ne_u32_e32 0x7f, v8
	s_cbranch_execz .LBB283_840
; %bb.837:                              ;   in Loop: Header=BB283_15 Depth=1
	v_and_b32_e32 v1, 7, v0
	v_lshrrev_b32_e32 v6, 3, v8
	s_mov_b32 s19, exec_lo
	v_cmpx_gt_u32_e32 8, v8
; %bb.838:                              ;   in Loop: Header=BB283_15 Depth=1
	s_delay_alu instid0(VALU_DEP_3) | instskip(NEXT) | instid1(VALU_DEP_1)
	v_clz_i32_u32_e32 v1, v1
	v_min_u32_e32 v1, 32, v1
	s_delay_alu instid0(VALU_DEP_1) | instskip(NEXT) | instid1(VALU_DEP_1)
	v_subrev_nc_u32_e32 v6, 28, v1
	v_lshlrev_b64_e32 v[8:9], v6, v[0:1]
	s_delay_alu instid0(VALU_DEP_1)
	v_dual_sub_nc_u32 v6, 29, v1 :: v_dual_bitop2_b32 v1, 7, v8 bitop3:0x40
; %bb.839:                              ;   in Loop: Header=BB283_15 Depth=1
	s_or_b32 exec_lo, exec_lo, s19
	s_delay_alu instid0(VALU_DEP_1) | instskip(NEXT) | instid1(VALU_DEP_2)
	v_dual_lshlrev_b32 v0, 8, v0 :: v_dual_lshlrev_b32 v1, 7, v1
	v_lshl_add_u32 v6, v6, 10, 0x2000
	s_delay_alu instid0(VALU_DEP_2) | instskip(NEXT) | instid1(VALU_DEP_2)
	v_and_b32_e32 v0, 0x8000, v0
	v_and_b32_e32 v6, 0xfc00, v6
	s_delay_alu instid0(VALU_DEP_1)
	v_or3_b32 v0, v0, v6, v1
	scratch_store_b32 off, v0, s32 offset:304 ; 4-byte Folded Spill
.LBB283_840:                            ;   in Loop: Header=BB283_15 Depth=1
	s_wait_xcnt 0x0
	s_or_b32 exec_lo, exec_lo, s18
.LBB283_841:                            ;   in Loop: Header=BB283_15 Depth=1
	s_delay_alu instid0(SALU_CYCLE_1)
	s_or_b32 exec_lo, exec_lo, s17
.LBB283_842:                            ;   in Loop: Header=BB283_15 Depth=1
	s_delay_alu instid0(SALU_CYCLE_1)
	s_or_b32 exec_lo, exec_lo, s16
	v_dual_mov_b32 v0, 0 :: v_dual_mov_b32 v26, 0
	s_mov_b32 s16, exec_lo
	scratch_store_b32 off, v0, s32 offset:308 ; 4-byte Folded Spill
	s_wait_xcnt 0x0
	v_cmpx_lt_u64_e64 s[8:9], v[4:5]
	s_cbranch_execz .LBB283_850
; %bb.843:                              ;   in Loop: Header=BB283_15 Depth=1
	v_lshrrev_b32_e32 v24, 24, v5
	v_bfrev_b32_e32 v26, 1
	s_mov_b32 s17, exec_lo
	s_delay_alu instid0(VALU_DEP_2)
	v_cmpx_ne_u32_e32 0x80, v24
	s_cbranch_execz .LBB283_849
; %bb.844:                              ;   in Loop: Header=BB283_15 Depth=1
	v_and_b32_e32 v4, 0x7f, v24
	v_mov_b32_e32 v26, 0x7c010000
	s_mov_b32 s18, exec_lo
	s_delay_alu instid0(VALU_DEP_2)
	v_cmpx_ne_u32_e32 0x7f, v4
	s_cbranch_execz .LBB283_848
; %bb.845:                              ;   in Loop: Header=BB283_15 Depth=1
	v_and_b32_e32 v0, 7, v24
	v_lshrrev_b32_e32 v1, 3, v4
	s_mov_b32 s19, exec_lo
	v_cmpx_gt_u32_e32 8, v4
; %bb.846:                              ;   in Loop: Header=BB283_15 Depth=1
	s_delay_alu instid0(VALU_DEP_3) | instskip(NEXT) | instid1(VALU_DEP_1)
	v_clz_i32_u32_e32 v0, v0
	v_min_u32_e32 v4, 32, v0
	s_delay_alu instid0(VALU_DEP_1) | instskip(NEXT) | instid1(VALU_DEP_1)
	v_subrev_nc_u32_e32 v0, 28, v4
	v_lshlrev_b64_e32 v[0:1], v0, v[24:25]
	v_sub_nc_u32_e32 v1, 29, v4
	s_delay_alu instid0(VALU_DEP_2)
	v_and_b32_e32 v0, 7, v0
; %bb.847:                              ;   in Loop: Header=BB283_15 Depth=1
	s_or_b32 exec_lo, exec_lo, s19
	v_lshlrev_b32_e32 v4, 8, v24
	s_delay_alu instid0(VALU_DEP_3) | instskip(NEXT) | instid1(VALU_DEP_3)
	v_lshl_add_u32 v1, v1, 10, 0x2000
	v_lshlrev_b32_e32 v0, 23, v0
	s_delay_alu instid0(VALU_DEP_2) | instskip(NEXT) | instid1(VALU_DEP_1)
	v_and_or_b32 v1, 0x8000, v4, v1
	v_lshl_or_b32 v26, v1, 16, v0
.LBB283_848:                            ;   in Loop: Header=BB283_15 Depth=1
	s_or_b32 exec_lo, exec_lo, s18
.LBB283_849:                            ;   in Loop: Header=BB283_15 Depth=1
	s_delay_alu instid0(SALU_CYCLE_1)
	s_or_b32 exec_lo, exec_lo, s17
.LBB283_850:                            ;   in Loop: Header=BB283_15 Depth=1
	s_delay_alu instid0(SALU_CYCLE_1)
	s_or_b32 exec_lo, exec_lo, s16
	flat_load_b64 v[4:5], v[2:3] offset:3080
	s_mov_b32 s16, exec_lo
	s_wait_loadcnt_dscnt 0x0
	v_and_b32_e32 v0, 0xff, v4
	s_wait_xcnt 0x0
	s_delay_alu instid0(VALU_DEP_1)
	v_cmpx_ne_u16_e32 0, v0
	s_cbranch_execz .LBB283_858
; %bb.851:                              ;   in Loop: Header=BB283_15 Depth=1
	v_cmp_ne_u16_e64 s1, 0x80, v0
	v_mov_b32_e32 v0, 0x8000
	scratch_store_b32 off, v0, s32 offset:308 ; 4-byte Folded Spill
	s_wait_xcnt 0x0
	s_and_saveexec_b32 s17, s1
	s_cbranch_execz .LBB283_857
; %bb.852:                              ;   in Loop: Header=BB283_15 Depth=1
	v_and_b32_e32 v6, 0x7f, v4
	v_mov_b32_e32 v0, 0x7c01
	s_mov_b32 s18, exec_lo
	scratch_store_b32 off, v0, s32 offset:308 ; 4-byte Folded Spill
	s_wait_xcnt 0x0
	v_cmpx_ne_u32_e32 0x7f, v6
	s_cbranch_execz .LBB283_856
; %bb.853:                              ;   in Loop: Header=BB283_15 Depth=1
	v_dual_lshrrev_b32 v1, 3, v6 :: v_dual_bitop2_b32 v0, 7, v4 bitop3:0x40
	s_mov_b32 s19, exec_lo
	v_cmpx_gt_u32_e32 8, v6
; %bb.854:                              ;   in Loop: Header=BB283_15 Depth=1
	s_delay_alu instid0(VALU_DEP_2) | instskip(NEXT) | instid1(VALU_DEP_1)
	v_clz_i32_u32_e32 v0, v0
	v_min_u32_e32 v6, 32, v0
	s_delay_alu instid0(VALU_DEP_1) | instskip(NEXT) | instid1(VALU_DEP_1)
	v_subrev_nc_u32_e32 v0, 28, v6
	v_lshlrev_b64_e32 v[0:1], v0, v[4:5]
	s_delay_alu instid0(VALU_DEP_1)
	v_dual_sub_nc_u32 v1, 29, v6 :: v_dual_bitop2_b32 v0, 7, v0 bitop3:0x40
; %bb.855:                              ;   in Loop: Header=BB283_15 Depth=1
	s_or_b32 exec_lo, exec_lo, s19
	v_lshlrev_b32_e32 v6, 8, v4
	s_delay_alu instid0(VALU_DEP_2) | instskip(NEXT) | instid1(VALU_DEP_3)
	v_lshl_add_u32 v1, v1, 10, 0x2000
	v_lshlrev_b32_e32 v0, 7, v0
	s_delay_alu instid0(VALU_DEP_3) | instskip(NEXT) | instid1(VALU_DEP_3)
	v_and_b32_e32 v6, 0x8000, v6
	v_and_b32_e32 v1, 0xfc00, v1
	s_delay_alu instid0(VALU_DEP_1)
	v_or3_b32 v0, v6, v1, v0
	scratch_store_b32 off, v0, s32 offset:308 ; 4-byte Folded Spill
.LBB283_856:                            ;   in Loop: Header=BB283_15 Depth=1
	s_wait_xcnt 0x0
	s_or_b32 exec_lo, exec_lo, s18
.LBB283_857:                            ;   in Loop: Header=BB283_15 Depth=1
	s_delay_alu instid0(SALU_CYCLE_1)
	s_or_b32 exec_lo, exec_lo, s17
.LBB283_858:                            ;   in Loop: Header=BB283_15 Depth=1
	s_delay_alu instid0(SALU_CYCLE_1)
	s_or_b32 exec_lo, exec_lo, s16
	v_lshrrev_b16 v24, 8, v4
	v_dual_mov_b32 v0, 0 :: v_dual_mov_b32 v16, 0
	s_mov_b32 s16, exec_lo
	scratch_store_b32 off, v0, s32 offset:312 ; 4-byte Folded Spill
	s_wait_xcnt 0x0
	v_cmpx_ne_u16_e32 0, v24
	s_cbranch_execz .LBB283_866
; %bb.859:                              ;   in Loop: Header=BB283_15 Depth=1
	v_bfrev_b32_e32 v16, 1
	s_mov_b32 s17, exec_lo
	v_cmpx_ne_u16_e32 0x80, v24
	s_cbranch_execz .LBB283_865
; %bb.860:                              ;   in Loop: Header=BB283_15 Depth=1
	v_and_b32_e32 v0, 0xffff, v24
	v_mov_b32_e32 v16, 0x7c010000
	s_mov_b32 s18, exec_lo
	s_delay_alu instid0(VALU_DEP_2) | instskip(NEXT) | instid1(VALU_DEP_1)
	v_and_b32_e32 v8, 0x7f, v0
	v_cmpx_ne_u32_e32 0x7f, v8
	s_cbranch_execz .LBB283_864
; %bb.861:                              ;   in Loop: Header=BB283_15 Depth=1
	v_and_b32_e32 v1, 7, v0
	v_lshrrev_b32_e32 v6, 3, v8
	s_mov_b32 s19, exec_lo
	v_cmpx_gt_u32_e32 8, v8
; %bb.862:                              ;   in Loop: Header=BB283_15 Depth=1
	s_delay_alu instid0(VALU_DEP_3) | instskip(NEXT) | instid1(VALU_DEP_1)
	v_clz_i32_u32_e32 v1, v1
	v_min_u32_e32 v1, 32, v1
	s_delay_alu instid0(VALU_DEP_1) | instskip(NEXT) | instid1(VALU_DEP_1)
	v_subrev_nc_u32_e32 v6, 28, v1
	v_lshlrev_b64_e32 v[8:9], v6, v[24:25]
	s_delay_alu instid0(VALU_DEP_1)
	v_dual_sub_nc_u32 v6, 29, v1 :: v_dual_bitop2_b32 v1, 7, v8 bitop3:0x40
; %bb.863:                              ;   in Loop: Header=BB283_15 Depth=1
	s_or_b32 exec_lo, exec_lo, s19
	s_delay_alu instid0(VALU_DEP_1) | instskip(NEXT) | instid1(VALU_DEP_2)
	v_dual_lshlrev_b32 v0, 8, v0 :: v_dual_lshlrev_b32 v1, 23, v1
	v_lshl_add_u32 v6, v6, 10, 0x2000
	s_delay_alu instid0(VALU_DEP_1) | instskip(NEXT) | instid1(VALU_DEP_1)
	v_and_or_b32 v0, 0x8000, v0, v6
	v_lshl_or_b32 v16, v0, 16, v1
.LBB283_864:                            ;   in Loop: Header=BB283_15 Depth=1
	s_or_b32 exec_lo, exec_lo, s18
.LBB283_865:                            ;   in Loop: Header=BB283_15 Depth=1
	s_delay_alu instid0(SALU_CYCLE_1)
	s_or_b32 exec_lo, exec_lo, s17
.LBB283_866:                            ;   in Loop: Header=BB283_15 Depth=1
	s_delay_alu instid0(SALU_CYCLE_1) | instskip(SKIP_2) | instid1(VALU_DEP_1)
	s_or_b32 exec_lo, exec_lo, s16
	v_lshrrev_b32_e32 v0, 16, v4
	s_mov_b32 s16, exec_lo
	v_and_b32_e32 v1, 0xff, v0
	s_delay_alu instid0(VALU_DEP_1)
	v_cmpx_ne_u16_e32 0, v1
	s_cbranch_execz .LBB283_874
; %bb.867:                              ;   in Loop: Header=BB283_15 Depth=1
	v_cmp_ne_u16_e64 s1, 0x80, v1
	v_mov_b32_e32 v1, 0x8000
	scratch_store_b32 off, v1, s32 offset:312 ; 4-byte Folded Spill
	s_wait_xcnt 0x0
	s_and_saveexec_b32 s17, s1
	s_cbranch_execz .LBB283_873
; %bb.868:                              ;   in Loop: Header=BB283_15 Depth=1
	v_bfe_u32 v8, v4, 16, 7
	v_mov_b32_e32 v1, 0x7c01
	s_mov_b32 s18, exec_lo
	scratch_store_b32 off, v1, s32 offset:312 ; 4-byte Folded Spill
	s_wait_xcnt 0x0
	v_cmpx_ne_u32_e32 0x7f, v8
	s_cbranch_execz .LBB283_872
; %bb.869:                              ;   in Loop: Header=BB283_15 Depth=1
	v_and_b32_e32 v1, 7, v0
	v_lshrrev_b32_e32 v6, 3, v8
	s_mov_b32 s19, exec_lo
	v_cmpx_gt_u32_e32 8, v8
; %bb.870:                              ;   in Loop: Header=BB283_15 Depth=1
	s_delay_alu instid0(VALU_DEP_3) | instskip(NEXT) | instid1(VALU_DEP_1)
	v_clz_i32_u32_e32 v1, v1
	v_min_u32_e32 v1, 32, v1
	s_delay_alu instid0(VALU_DEP_1) | instskip(NEXT) | instid1(VALU_DEP_1)
	v_subrev_nc_u32_e32 v6, 28, v1
	v_lshlrev_b64_e32 v[8:9], v6, v[0:1]
	s_delay_alu instid0(VALU_DEP_1)
	v_dual_sub_nc_u32 v6, 29, v1 :: v_dual_bitop2_b32 v1, 7, v8 bitop3:0x40
; %bb.871:                              ;   in Loop: Header=BB283_15 Depth=1
	s_or_b32 exec_lo, exec_lo, s19
	s_delay_alu instid0(VALU_DEP_1) | instskip(NEXT) | instid1(VALU_DEP_2)
	v_dual_lshlrev_b32 v0, 8, v0 :: v_dual_lshlrev_b32 v1, 7, v1
	v_lshl_add_u32 v6, v6, 10, 0x2000
	s_delay_alu instid0(VALU_DEP_2) | instskip(NEXT) | instid1(VALU_DEP_2)
	v_and_b32_e32 v0, 0x8000, v0
	v_and_b32_e32 v6, 0xfc00, v6
	s_delay_alu instid0(VALU_DEP_1)
	v_or3_b32 v0, v0, v6, v1
	scratch_store_b32 off, v0, s32 offset:312 ; 4-byte Folded Spill
.LBB283_872:                            ;   in Loop: Header=BB283_15 Depth=1
	s_wait_xcnt 0x0
	s_or_b32 exec_lo, exec_lo, s18
.LBB283_873:                            ;   in Loop: Header=BB283_15 Depth=1
	s_delay_alu instid0(SALU_CYCLE_1)
	s_or_b32 exec_lo, exec_lo, s17
.LBB283_874:                            ;   in Loop: Header=BB283_15 Depth=1
	s_delay_alu instid0(SALU_CYCLE_1)
	s_or_b32 exec_lo, exec_lo, s16
	v_dual_mov_b32 v0, 0 :: v_dual_mov_b32 v17, 0
	s_mov_b32 s16, exec_lo
	scratch_store_b32 off, v0, s32 offset:316 ; 4-byte Folded Spill
	s_wait_xcnt 0x0
	v_cmpx_lt_u32_e32 0xffffff, v4
	s_cbranch_execz .LBB283_882
; %bb.875:                              ;   in Loop: Header=BB283_15 Depth=1
	v_lshrrev_b32_e32 v24, 24, v4
	v_bfrev_b32_e32 v17, 1
	s_mov_b32 s17, exec_lo
	s_delay_alu instid0(VALU_DEP_2)
	v_cmpx_ne_u32_e32 0x80, v24
	s_cbranch_execz .LBB283_881
; %bb.876:                              ;   in Loop: Header=BB283_15 Depth=1
	v_and_b32_e32 v6, 0x7f, v24
	v_mov_b32_e32 v17, 0x7c010000
	s_mov_b32 s18, exec_lo
	s_delay_alu instid0(VALU_DEP_2)
	v_cmpx_ne_u32_e32 0x7f, v6
	s_cbranch_execz .LBB283_880
; %bb.877:                              ;   in Loop: Header=BB283_15 Depth=1
	v_dual_lshrrev_b32 v1, 3, v6 :: v_dual_bitop2_b32 v0, 7, v24 bitop3:0x40
	s_mov_b32 s19, exec_lo
	v_cmpx_gt_u32_e32 8, v6
; %bb.878:                              ;   in Loop: Header=BB283_15 Depth=1
	s_delay_alu instid0(VALU_DEP_2) | instskip(NEXT) | instid1(VALU_DEP_1)
	v_clz_i32_u32_e32 v0, v0
	v_min_u32_e32 v6, 32, v0
	s_delay_alu instid0(VALU_DEP_1) | instskip(NEXT) | instid1(VALU_DEP_1)
	v_subrev_nc_u32_e32 v0, 28, v6
	v_lshlrev_b64_e32 v[0:1], v0, v[24:25]
	s_delay_alu instid0(VALU_DEP_1)
	v_dual_sub_nc_u32 v1, 29, v6 :: v_dual_bitop2_b32 v0, 7, v0 bitop3:0x40
; %bb.879:                              ;   in Loop: Header=BB283_15 Depth=1
	s_or_b32 exec_lo, exec_lo, s19
	v_lshlrev_b32_e32 v6, 8, v24
	s_delay_alu instid0(VALU_DEP_2) | instskip(NEXT) | instid1(VALU_DEP_3)
	v_lshl_add_u32 v1, v1, 10, 0x2000
	v_lshlrev_b32_e32 v0, 23, v0
	s_delay_alu instid0(VALU_DEP_2) | instskip(NEXT) | instid1(VALU_DEP_1)
	v_and_or_b32 v1, 0x8000, v6, v1
	v_lshl_or_b32 v17, v1, 16, v0
.LBB283_880:                            ;   in Loop: Header=BB283_15 Depth=1
	s_or_b32 exec_lo, exec_lo, s18
.LBB283_881:                            ;   in Loop: Header=BB283_15 Depth=1
	s_delay_alu instid0(SALU_CYCLE_1)
	s_or_b32 exec_lo, exec_lo, s17
.LBB283_882:                            ;   in Loop: Header=BB283_15 Depth=1
	s_delay_alu instid0(SALU_CYCLE_1) | instskip(SKIP_3) | instid1(VALU_DEP_2)
	s_or_b32 exec_lo, exec_lo, s16
	v_and_b32_e32 v0, 0xff, v5
	v_mov_b32_e32 v24, v5
	s_mov_b32 s16, exec_lo
	v_cmpx_ne_u16_e32 0, v0
	s_cbranch_execz .LBB283_890
; %bb.883:                              ;   in Loop: Header=BB283_15 Depth=1
	v_cmp_ne_u16_e64 s1, 0x80, v0
	v_mov_b32_e32 v0, 0x8000
	scratch_store_b32 off, v0, s32 offset:316 ; 4-byte Folded Spill
	s_wait_xcnt 0x0
	s_and_saveexec_b32 s17, s1
	s_cbranch_execz .LBB283_889
; %bb.884:                              ;   in Loop: Header=BB283_15 Depth=1
	v_and_b32_e32 v6, 0x7f, v5
	v_mov_b32_e32 v0, 0x7c01
	s_mov_b32 s18, exec_lo
	scratch_store_b32 off, v0, s32 offset:316 ; 4-byte Folded Spill
	s_wait_xcnt 0x0
	v_cmpx_ne_u32_e32 0x7f, v6
	s_cbranch_execz .LBB283_888
; %bb.885:                              ;   in Loop: Header=BB283_15 Depth=1
	v_dual_lshrrev_b32 v1, 3, v6 :: v_dual_bitop2_b32 v0, 7, v5 bitop3:0x40
	s_mov_b32 s19, exec_lo
	v_cmpx_gt_u32_e32 8, v6
; %bb.886:                              ;   in Loop: Header=BB283_15 Depth=1
	s_delay_alu instid0(VALU_DEP_2) | instskip(NEXT) | instid1(VALU_DEP_1)
	v_clz_i32_u32_e32 v0, v0
	v_min_u32_e32 v6, 32, v0
	s_delay_alu instid0(VALU_DEP_1) | instskip(NEXT) | instid1(VALU_DEP_1)
	v_subrev_nc_u32_e32 v0, 28, v6
	v_lshlrev_b64_e32 v[0:1], v0, v[24:25]
	s_delay_alu instid0(VALU_DEP_1)
	v_dual_sub_nc_u32 v1, 29, v6 :: v_dual_bitop2_b32 v0, 7, v0 bitop3:0x40
; %bb.887:                              ;   in Loop: Header=BB283_15 Depth=1
	s_or_b32 exec_lo, exec_lo, s19
	s_delay_alu instid0(VALU_DEP_1) | instskip(NEXT) | instid1(VALU_DEP_2)
	v_dual_lshlrev_b32 v6, 8, v5 :: v_dual_lshlrev_b32 v0, 7, v0
	v_lshl_add_u32 v1, v1, 10, 0x2000
	s_delay_alu instid0(VALU_DEP_2) | instskip(NEXT) | instid1(VALU_DEP_2)
	v_and_b32_e32 v6, 0x8000, v6
	v_and_b32_e32 v1, 0xfc00, v1
	s_delay_alu instid0(VALU_DEP_1)
	v_or3_b32 v0, v6, v1, v0
	scratch_store_b32 off, v0, s32 offset:316 ; 4-byte Folded Spill
.LBB283_888:                            ;   in Loop: Header=BB283_15 Depth=1
	s_wait_xcnt 0x0
	s_or_b32 exec_lo, exec_lo, s18
.LBB283_889:                            ;   in Loop: Header=BB283_15 Depth=1
	s_delay_alu instid0(SALU_CYCLE_1)
	s_or_b32 exec_lo, exec_lo, s17
.LBB283_890:                            ;   in Loop: Header=BB283_15 Depth=1
	s_delay_alu instid0(SALU_CYCLE_1)
	s_or_b32 exec_lo, exec_lo, s16
	v_lshrrev_b16 v24, 8, v24
	v_dual_mov_b32 v0, 0 :: v_dual_mov_b32 v15, 0
	s_mov_b32 s16, exec_lo
	scratch_store_b32 off, v0, s32 offset:320 ; 4-byte Folded Spill
	s_wait_xcnt 0x0
	v_cmpx_ne_u16_e32 0, v24
	s_cbranch_execz .LBB283_898
; %bb.891:                              ;   in Loop: Header=BB283_15 Depth=1
	v_bfrev_b32_e32 v15, 1
	s_mov_b32 s17, exec_lo
	v_cmpx_ne_u16_e32 0x80, v24
	s_cbranch_execz .LBB283_897
; %bb.892:                              ;   in Loop: Header=BB283_15 Depth=1
	v_and_b32_e32 v0, 0xffff, v24
	v_mov_b32_e32 v15, 0x7c010000
	s_mov_b32 s18, exec_lo
	s_delay_alu instid0(VALU_DEP_2) | instskip(NEXT) | instid1(VALU_DEP_1)
	v_and_b32_e32 v8, 0x7f, v0
	v_cmpx_ne_u32_e32 0x7f, v8
	s_cbranch_execz .LBB283_896
; %bb.893:                              ;   in Loop: Header=BB283_15 Depth=1
	v_and_b32_e32 v1, 7, v0
	v_lshrrev_b32_e32 v6, 3, v8
	s_mov_b32 s19, exec_lo
	v_cmpx_gt_u32_e32 8, v8
; %bb.894:                              ;   in Loop: Header=BB283_15 Depth=1
	s_delay_alu instid0(VALU_DEP_3) | instskip(NEXT) | instid1(VALU_DEP_1)
	v_clz_i32_u32_e32 v1, v1
	v_min_u32_e32 v1, 32, v1
	s_delay_alu instid0(VALU_DEP_1) | instskip(NEXT) | instid1(VALU_DEP_1)
	v_subrev_nc_u32_e32 v6, 28, v1
	v_lshlrev_b64_e32 v[8:9], v6, v[24:25]
	s_delay_alu instid0(VALU_DEP_1)
	v_dual_sub_nc_u32 v6, 29, v1 :: v_dual_bitop2_b32 v1, 7, v8 bitop3:0x40
; %bb.895:                              ;   in Loop: Header=BB283_15 Depth=1
	s_or_b32 exec_lo, exec_lo, s19
	s_delay_alu instid0(VALU_DEP_1) | instskip(NEXT) | instid1(VALU_DEP_2)
	v_dual_lshlrev_b32 v0, 8, v0 :: v_dual_lshlrev_b32 v1, 23, v1
	v_lshl_add_u32 v6, v6, 10, 0x2000
	s_delay_alu instid0(VALU_DEP_1) | instskip(NEXT) | instid1(VALU_DEP_1)
	v_and_or_b32 v0, 0x8000, v0, v6
	v_lshl_or_b32 v15, v0, 16, v1
.LBB283_896:                            ;   in Loop: Header=BB283_15 Depth=1
	s_or_b32 exec_lo, exec_lo, s18
.LBB283_897:                            ;   in Loop: Header=BB283_15 Depth=1
	s_delay_alu instid0(SALU_CYCLE_1)
	s_or_b32 exec_lo, exec_lo, s17
.LBB283_898:                            ;   in Loop: Header=BB283_15 Depth=1
	s_delay_alu instid0(SALU_CYCLE_1) | instskip(SKIP_2) | instid1(VALU_DEP_1)
	s_or_b32 exec_lo, exec_lo, s16
	v_lshrrev_b32_e32 v0, 16, v5
	s_mov_b32 s16, exec_lo
	v_and_b32_e32 v1, 0xff, v0
	s_delay_alu instid0(VALU_DEP_1)
	v_cmpx_ne_u16_e32 0, v1
	s_cbranch_execz .LBB283_906
; %bb.899:                              ;   in Loop: Header=BB283_15 Depth=1
	v_cmp_ne_u16_e64 s1, 0x80, v1
	v_mov_b32_e32 v1, 0x8000
	scratch_store_b32 off, v1, s32 offset:320 ; 4-byte Folded Spill
	s_wait_xcnt 0x0
	s_and_saveexec_b32 s17, s1
	s_cbranch_execz .LBB283_905
; %bb.900:                              ;   in Loop: Header=BB283_15 Depth=1
	v_bfe_u32 v8, v5, 16, 7
	v_mov_b32_e32 v1, 0x7c01
	s_mov_b32 s18, exec_lo
	scratch_store_b32 off, v1, s32 offset:320 ; 4-byte Folded Spill
	s_wait_xcnt 0x0
	v_cmpx_ne_u32_e32 0x7f, v8
	s_cbranch_execz .LBB283_904
; %bb.901:                              ;   in Loop: Header=BB283_15 Depth=1
	v_and_b32_e32 v1, 7, v0
	v_lshrrev_b32_e32 v6, 3, v8
	s_mov_b32 s19, exec_lo
	v_cmpx_gt_u32_e32 8, v8
; %bb.902:                              ;   in Loop: Header=BB283_15 Depth=1
	s_delay_alu instid0(VALU_DEP_3) | instskip(NEXT) | instid1(VALU_DEP_1)
	v_clz_i32_u32_e32 v1, v1
	v_min_u32_e32 v1, 32, v1
	s_delay_alu instid0(VALU_DEP_1) | instskip(NEXT) | instid1(VALU_DEP_1)
	v_subrev_nc_u32_e32 v6, 28, v1
	v_lshlrev_b64_e32 v[8:9], v6, v[0:1]
	s_delay_alu instid0(VALU_DEP_1)
	v_dual_sub_nc_u32 v6, 29, v1 :: v_dual_bitop2_b32 v1, 7, v8 bitop3:0x40
; %bb.903:                              ;   in Loop: Header=BB283_15 Depth=1
	s_or_b32 exec_lo, exec_lo, s19
	s_delay_alu instid0(VALU_DEP_1) | instskip(NEXT) | instid1(VALU_DEP_2)
	v_dual_lshlrev_b32 v0, 8, v0 :: v_dual_lshlrev_b32 v1, 7, v1
	v_lshl_add_u32 v6, v6, 10, 0x2000
	s_delay_alu instid0(VALU_DEP_2) | instskip(NEXT) | instid1(VALU_DEP_2)
	v_and_b32_e32 v0, 0x8000, v0
	v_and_b32_e32 v6, 0xfc00, v6
	s_delay_alu instid0(VALU_DEP_1)
	v_or3_b32 v0, v0, v6, v1
	scratch_store_b32 off, v0, s32 offset:320 ; 4-byte Folded Spill
.LBB283_904:                            ;   in Loop: Header=BB283_15 Depth=1
	s_wait_xcnt 0x0
	s_or_b32 exec_lo, exec_lo, s18
.LBB283_905:                            ;   in Loop: Header=BB283_15 Depth=1
	s_delay_alu instid0(SALU_CYCLE_1)
	s_or_b32 exec_lo, exec_lo, s17
.LBB283_906:                            ;   in Loop: Header=BB283_15 Depth=1
	s_delay_alu instid0(SALU_CYCLE_1)
	s_or_b32 exec_lo, exec_lo, s16
	v_dual_mov_b32 v0, 0 :: v_dual_mov_b32 v21, 0
	s_mov_b32 s16, exec_lo
	scratch_store_b32 off, v0, s32 offset:324 ; 4-byte Folded Spill
	s_wait_xcnt 0x0
	v_cmpx_lt_u64_e64 s[8:9], v[4:5]
	s_cbranch_execz .LBB283_914
; %bb.907:                              ;   in Loop: Header=BB283_15 Depth=1
	v_lshrrev_b32_e32 v24, 24, v5
	v_bfrev_b32_e32 v21, 1
	s_mov_b32 s17, exec_lo
	s_delay_alu instid0(VALU_DEP_2)
	v_cmpx_ne_u32_e32 0x80, v24
	s_cbranch_execz .LBB283_913
; %bb.908:                              ;   in Loop: Header=BB283_15 Depth=1
	v_and_b32_e32 v4, 0x7f, v24
	v_mov_b32_e32 v21, 0x7c010000
	s_mov_b32 s18, exec_lo
	s_delay_alu instid0(VALU_DEP_2)
	v_cmpx_ne_u32_e32 0x7f, v4
	s_cbranch_execz .LBB283_912
; %bb.909:                              ;   in Loop: Header=BB283_15 Depth=1
	v_and_b32_e32 v0, 7, v24
	v_lshrrev_b32_e32 v1, 3, v4
	s_mov_b32 s19, exec_lo
	v_cmpx_gt_u32_e32 8, v4
; %bb.910:                              ;   in Loop: Header=BB283_15 Depth=1
	s_delay_alu instid0(VALU_DEP_3) | instskip(NEXT) | instid1(VALU_DEP_1)
	v_clz_i32_u32_e32 v0, v0
	v_min_u32_e32 v4, 32, v0
	s_delay_alu instid0(VALU_DEP_1) | instskip(NEXT) | instid1(VALU_DEP_1)
	v_subrev_nc_u32_e32 v0, 28, v4
	v_lshlrev_b64_e32 v[0:1], v0, v[24:25]
	v_sub_nc_u32_e32 v1, 29, v4
	s_delay_alu instid0(VALU_DEP_2)
	v_and_b32_e32 v0, 7, v0
; %bb.911:                              ;   in Loop: Header=BB283_15 Depth=1
	s_or_b32 exec_lo, exec_lo, s19
	v_lshlrev_b32_e32 v4, 8, v24
	s_delay_alu instid0(VALU_DEP_3) | instskip(NEXT) | instid1(VALU_DEP_3)
	v_lshl_add_u32 v1, v1, 10, 0x2000
	v_lshlrev_b32_e32 v0, 23, v0
	s_delay_alu instid0(VALU_DEP_2) | instskip(NEXT) | instid1(VALU_DEP_1)
	v_and_or_b32 v1, 0x8000, v4, v1
	v_lshl_or_b32 v21, v1, 16, v0
.LBB283_912:                            ;   in Loop: Header=BB283_15 Depth=1
	s_or_b32 exec_lo, exec_lo, s18
.LBB283_913:                            ;   in Loop: Header=BB283_15 Depth=1
	s_delay_alu instid0(SALU_CYCLE_1)
	s_or_b32 exec_lo, exec_lo, s17
.LBB283_914:                            ;   in Loop: Header=BB283_15 Depth=1
	s_delay_alu instid0(SALU_CYCLE_1)
	s_or_b32 exec_lo, exec_lo, s16
	flat_load_b64 v[4:5], v[2:3] offset:3584
	s_mov_b32 s16, exec_lo
	s_wait_loadcnt_dscnt 0x0
	v_and_b32_e32 v0, 0xff, v4
	s_wait_xcnt 0x0
	s_delay_alu instid0(VALU_DEP_1)
	v_cmpx_ne_u16_e32 0, v0
	s_cbranch_execz .LBB283_922
; %bb.915:                              ;   in Loop: Header=BB283_15 Depth=1
	v_cmp_ne_u16_e64 s1, 0x80, v0
	v_mov_b32_e32 v0, 0x8000
	scratch_store_b32 off, v0, s32 offset:324 ; 4-byte Folded Spill
	s_wait_xcnt 0x0
	s_and_saveexec_b32 s17, s1
	s_cbranch_execz .LBB283_921
; %bb.916:                              ;   in Loop: Header=BB283_15 Depth=1
	v_and_b32_e32 v6, 0x7f, v4
	v_mov_b32_e32 v0, 0x7c01
	s_mov_b32 s18, exec_lo
	scratch_store_b32 off, v0, s32 offset:324 ; 4-byte Folded Spill
	s_wait_xcnt 0x0
	v_cmpx_ne_u32_e32 0x7f, v6
	s_cbranch_execz .LBB283_920
; %bb.917:                              ;   in Loop: Header=BB283_15 Depth=1
	v_dual_lshrrev_b32 v1, 3, v6 :: v_dual_bitop2_b32 v0, 7, v4 bitop3:0x40
	s_mov_b32 s19, exec_lo
	v_cmpx_gt_u32_e32 8, v6
; %bb.918:                              ;   in Loop: Header=BB283_15 Depth=1
	s_delay_alu instid0(VALU_DEP_2) | instskip(NEXT) | instid1(VALU_DEP_1)
	v_clz_i32_u32_e32 v0, v0
	v_min_u32_e32 v6, 32, v0
	s_delay_alu instid0(VALU_DEP_1) | instskip(NEXT) | instid1(VALU_DEP_1)
	v_subrev_nc_u32_e32 v0, 28, v6
	v_lshlrev_b64_e32 v[0:1], v0, v[4:5]
	s_delay_alu instid0(VALU_DEP_1)
	v_dual_sub_nc_u32 v1, 29, v6 :: v_dual_bitop2_b32 v0, 7, v0 bitop3:0x40
; %bb.919:                              ;   in Loop: Header=BB283_15 Depth=1
	s_or_b32 exec_lo, exec_lo, s19
	v_lshlrev_b32_e32 v6, 8, v4
	s_delay_alu instid0(VALU_DEP_2) | instskip(NEXT) | instid1(VALU_DEP_3)
	v_lshl_add_u32 v1, v1, 10, 0x2000
	v_lshlrev_b32_e32 v0, 7, v0
	s_delay_alu instid0(VALU_DEP_3) | instskip(NEXT) | instid1(VALU_DEP_3)
	v_and_b32_e32 v6, 0x8000, v6
	v_and_b32_e32 v1, 0xfc00, v1
	s_delay_alu instid0(VALU_DEP_1)
	v_or3_b32 v0, v6, v1, v0
	scratch_store_b32 off, v0, s32 offset:324 ; 4-byte Folded Spill
.LBB283_920:                            ;   in Loop: Header=BB283_15 Depth=1
	s_wait_xcnt 0x0
	s_or_b32 exec_lo, exec_lo, s18
.LBB283_921:                            ;   in Loop: Header=BB283_15 Depth=1
	s_delay_alu instid0(SALU_CYCLE_1)
	s_or_b32 exec_lo, exec_lo, s17
.LBB283_922:                            ;   in Loop: Header=BB283_15 Depth=1
	s_delay_alu instid0(SALU_CYCLE_1)
	s_or_b32 exec_lo, exec_lo, s16
	v_lshrrev_b16 v24, 8, v4
	v_dual_mov_b32 v0, 0 :: v_dual_mov_b32 v27, 0
	s_mov_b32 s16, exec_lo
	scratch_store_b32 off, v0, s32 offset:328 ; 4-byte Folded Spill
	s_wait_xcnt 0x0
	v_cmpx_ne_u16_e32 0, v24
	s_cbranch_execz .LBB283_930
; %bb.923:                              ;   in Loop: Header=BB283_15 Depth=1
	v_bfrev_b32_e32 v27, 1
	s_mov_b32 s17, exec_lo
	v_cmpx_ne_u16_e32 0x80, v24
	s_cbranch_execz .LBB283_929
; %bb.924:                              ;   in Loop: Header=BB283_15 Depth=1
	v_and_b32_e32 v0, 0xffff, v24
	v_mov_b32_e32 v27, 0x7c010000
	s_mov_b32 s18, exec_lo
	s_delay_alu instid0(VALU_DEP_2) | instskip(NEXT) | instid1(VALU_DEP_1)
	v_and_b32_e32 v8, 0x7f, v0
	v_cmpx_ne_u32_e32 0x7f, v8
	s_cbranch_execz .LBB283_928
; %bb.925:                              ;   in Loop: Header=BB283_15 Depth=1
	v_and_b32_e32 v1, 7, v0
	v_lshrrev_b32_e32 v6, 3, v8
	s_mov_b32 s19, exec_lo
	v_cmpx_gt_u32_e32 8, v8
; %bb.926:                              ;   in Loop: Header=BB283_15 Depth=1
	s_delay_alu instid0(VALU_DEP_3) | instskip(NEXT) | instid1(VALU_DEP_1)
	v_clz_i32_u32_e32 v1, v1
	v_min_u32_e32 v1, 32, v1
	s_delay_alu instid0(VALU_DEP_1) | instskip(NEXT) | instid1(VALU_DEP_1)
	v_subrev_nc_u32_e32 v6, 28, v1
	v_lshlrev_b64_e32 v[8:9], v6, v[24:25]
	s_delay_alu instid0(VALU_DEP_1)
	v_dual_sub_nc_u32 v6, 29, v1 :: v_dual_bitop2_b32 v1, 7, v8 bitop3:0x40
; %bb.927:                              ;   in Loop: Header=BB283_15 Depth=1
	s_or_b32 exec_lo, exec_lo, s19
	s_delay_alu instid0(VALU_DEP_1) | instskip(NEXT) | instid1(VALU_DEP_2)
	v_dual_lshlrev_b32 v0, 8, v0 :: v_dual_lshlrev_b32 v1, 23, v1
	v_lshl_add_u32 v6, v6, 10, 0x2000
	s_delay_alu instid0(VALU_DEP_1) | instskip(NEXT) | instid1(VALU_DEP_1)
	v_and_or_b32 v0, 0x8000, v0, v6
	v_lshl_or_b32 v27, v0, 16, v1
.LBB283_928:                            ;   in Loop: Header=BB283_15 Depth=1
	s_or_b32 exec_lo, exec_lo, s18
.LBB283_929:                            ;   in Loop: Header=BB283_15 Depth=1
	s_delay_alu instid0(SALU_CYCLE_1)
	s_or_b32 exec_lo, exec_lo, s17
.LBB283_930:                            ;   in Loop: Header=BB283_15 Depth=1
	s_delay_alu instid0(SALU_CYCLE_1) | instskip(SKIP_2) | instid1(VALU_DEP_1)
	s_or_b32 exec_lo, exec_lo, s16
	v_lshrrev_b32_e32 v0, 16, v4
	s_mov_b32 s16, exec_lo
	v_and_b32_e32 v1, 0xff, v0
	s_delay_alu instid0(VALU_DEP_1)
	v_cmpx_ne_u16_e32 0, v1
	s_cbranch_execz .LBB283_938
; %bb.931:                              ;   in Loop: Header=BB283_15 Depth=1
	v_cmp_ne_u16_e64 s1, 0x80, v1
	v_mov_b32_e32 v1, 0x8000
	scratch_store_b32 off, v1, s32 offset:328 ; 4-byte Folded Spill
	s_wait_xcnt 0x0
	s_and_saveexec_b32 s17, s1
	s_cbranch_execz .LBB283_937
; %bb.932:                              ;   in Loop: Header=BB283_15 Depth=1
	v_bfe_u32 v8, v4, 16, 7
	v_mov_b32_e32 v1, 0x7c01
	s_mov_b32 s18, exec_lo
	scratch_store_b32 off, v1, s32 offset:328 ; 4-byte Folded Spill
	s_wait_xcnt 0x0
	v_cmpx_ne_u32_e32 0x7f, v8
	s_cbranch_execz .LBB283_936
; %bb.933:                              ;   in Loop: Header=BB283_15 Depth=1
	v_and_b32_e32 v1, 7, v0
	v_lshrrev_b32_e32 v6, 3, v8
	s_mov_b32 s19, exec_lo
	v_cmpx_gt_u32_e32 8, v8
; %bb.934:                              ;   in Loop: Header=BB283_15 Depth=1
	s_delay_alu instid0(VALU_DEP_3) | instskip(NEXT) | instid1(VALU_DEP_1)
	v_clz_i32_u32_e32 v1, v1
	v_min_u32_e32 v1, 32, v1
	s_delay_alu instid0(VALU_DEP_1) | instskip(NEXT) | instid1(VALU_DEP_1)
	v_subrev_nc_u32_e32 v6, 28, v1
	v_lshlrev_b64_e32 v[8:9], v6, v[0:1]
	s_delay_alu instid0(VALU_DEP_1)
	v_dual_sub_nc_u32 v6, 29, v1 :: v_dual_bitop2_b32 v1, 7, v8 bitop3:0x40
; %bb.935:                              ;   in Loop: Header=BB283_15 Depth=1
	s_or_b32 exec_lo, exec_lo, s19
	s_delay_alu instid0(VALU_DEP_1) | instskip(NEXT) | instid1(VALU_DEP_2)
	v_dual_lshlrev_b32 v0, 8, v0 :: v_dual_lshlrev_b32 v1, 7, v1
	v_lshl_add_u32 v6, v6, 10, 0x2000
	s_delay_alu instid0(VALU_DEP_2) | instskip(NEXT) | instid1(VALU_DEP_2)
	v_and_b32_e32 v0, 0x8000, v0
	v_and_b32_e32 v6, 0xfc00, v6
	s_delay_alu instid0(VALU_DEP_1)
	v_or3_b32 v0, v0, v6, v1
	scratch_store_b32 off, v0, s32 offset:328 ; 4-byte Folded Spill
.LBB283_936:                            ;   in Loop: Header=BB283_15 Depth=1
	s_wait_xcnt 0x0
	s_or_b32 exec_lo, exec_lo, s18
.LBB283_937:                            ;   in Loop: Header=BB283_15 Depth=1
	s_delay_alu instid0(SALU_CYCLE_1)
	s_or_b32 exec_lo, exec_lo, s17
.LBB283_938:                            ;   in Loop: Header=BB283_15 Depth=1
	s_delay_alu instid0(SALU_CYCLE_1)
	s_or_b32 exec_lo, exec_lo, s16
	v_dual_mov_b32 v0, 0 :: v_dual_mov_b32 v13, 0
	s_mov_b32 s16, exec_lo
	scratch_store_b32 off, v0, s32 offset:332 ; 4-byte Folded Spill
	s_wait_xcnt 0x0
	v_cmpx_lt_u32_e32 0xffffff, v4
	s_cbranch_execz .LBB283_946
; %bb.939:                              ;   in Loop: Header=BB283_15 Depth=1
	v_lshrrev_b32_e32 v24, 24, v4
	v_bfrev_b32_e32 v13, 1
	s_mov_b32 s17, exec_lo
	s_delay_alu instid0(VALU_DEP_2)
	v_cmpx_ne_u32_e32 0x80, v24
	s_cbranch_execz .LBB283_945
; %bb.940:                              ;   in Loop: Header=BB283_15 Depth=1
	v_and_b32_e32 v6, 0x7f, v24
	v_mov_b32_e32 v13, 0x7c010000
	s_mov_b32 s18, exec_lo
	s_delay_alu instid0(VALU_DEP_2)
	v_cmpx_ne_u32_e32 0x7f, v6
	s_cbranch_execz .LBB283_944
; %bb.941:                              ;   in Loop: Header=BB283_15 Depth=1
	v_dual_lshrrev_b32 v1, 3, v6 :: v_dual_bitop2_b32 v0, 7, v24 bitop3:0x40
	s_mov_b32 s19, exec_lo
	v_cmpx_gt_u32_e32 8, v6
; %bb.942:                              ;   in Loop: Header=BB283_15 Depth=1
	s_delay_alu instid0(VALU_DEP_2) | instskip(NEXT) | instid1(VALU_DEP_1)
	v_clz_i32_u32_e32 v0, v0
	v_min_u32_e32 v6, 32, v0
	s_delay_alu instid0(VALU_DEP_1) | instskip(NEXT) | instid1(VALU_DEP_1)
	v_subrev_nc_u32_e32 v0, 28, v6
	v_lshlrev_b64_e32 v[0:1], v0, v[24:25]
	s_delay_alu instid0(VALU_DEP_1)
	v_dual_sub_nc_u32 v1, 29, v6 :: v_dual_bitop2_b32 v0, 7, v0 bitop3:0x40
; %bb.943:                              ;   in Loop: Header=BB283_15 Depth=1
	s_or_b32 exec_lo, exec_lo, s19
	v_lshlrev_b32_e32 v6, 8, v24
	s_delay_alu instid0(VALU_DEP_2) | instskip(NEXT) | instid1(VALU_DEP_3)
	v_lshl_add_u32 v1, v1, 10, 0x2000
	v_lshlrev_b32_e32 v0, 23, v0
	s_delay_alu instid0(VALU_DEP_2) | instskip(NEXT) | instid1(VALU_DEP_1)
	v_and_or_b32 v1, 0x8000, v6, v1
	v_lshl_or_b32 v13, v1, 16, v0
.LBB283_944:                            ;   in Loop: Header=BB283_15 Depth=1
	s_or_b32 exec_lo, exec_lo, s18
.LBB283_945:                            ;   in Loop: Header=BB283_15 Depth=1
	s_delay_alu instid0(SALU_CYCLE_1)
	s_or_b32 exec_lo, exec_lo, s17
.LBB283_946:                            ;   in Loop: Header=BB283_15 Depth=1
	s_delay_alu instid0(SALU_CYCLE_1) | instskip(SKIP_3) | instid1(VALU_DEP_2)
	s_or_b32 exec_lo, exec_lo, s16
	v_and_b32_e32 v0, 0xff, v5
	v_mov_b32_e32 v24, v5
	s_mov_b32 s16, exec_lo
	v_cmpx_ne_u16_e32 0, v0
	s_cbranch_execz .LBB283_954
; %bb.947:                              ;   in Loop: Header=BB283_15 Depth=1
	v_cmp_ne_u16_e64 s1, 0x80, v0
	v_mov_b32_e32 v0, 0x8000
	scratch_store_b32 off, v0, s32 offset:332 ; 4-byte Folded Spill
	s_wait_xcnt 0x0
	s_and_saveexec_b32 s17, s1
	s_cbranch_execz .LBB283_953
; %bb.948:                              ;   in Loop: Header=BB283_15 Depth=1
	v_and_b32_e32 v6, 0x7f, v5
	v_mov_b32_e32 v0, 0x7c01
	s_mov_b32 s18, exec_lo
	scratch_store_b32 off, v0, s32 offset:332 ; 4-byte Folded Spill
	s_wait_xcnt 0x0
	v_cmpx_ne_u32_e32 0x7f, v6
	s_cbranch_execz .LBB283_952
; %bb.949:                              ;   in Loop: Header=BB283_15 Depth=1
	v_dual_lshrrev_b32 v1, 3, v6 :: v_dual_bitop2_b32 v0, 7, v5 bitop3:0x40
	s_mov_b32 s19, exec_lo
	v_cmpx_gt_u32_e32 8, v6
; %bb.950:                              ;   in Loop: Header=BB283_15 Depth=1
	s_delay_alu instid0(VALU_DEP_2) | instskip(NEXT) | instid1(VALU_DEP_1)
	v_clz_i32_u32_e32 v0, v0
	v_min_u32_e32 v6, 32, v0
	s_delay_alu instid0(VALU_DEP_1) | instskip(NEXT) | instid1(VALU_DEP_1)
	v_subrev_nc_u32_e32 v0, 28, v6
	v_lshlrev_b64_e32 v[0:1], v0, v[24:25]
	s_delay_alu instid0(VALU_DEP_1)
	v_dual_sub_nc_u32 v1, 29, v6 :: v_dual_bitop2_b32 v0, 7, v0 bitop3:0x40
; %bb.951:                              ;   in Loop: Header=BB283_15 Depth=1
	s_or_b32 exec_lo, exec_lo, s19
	s_delay_alu instid0(VALU_DEP_1) | instskip(NEXT) | instid1(VALU_DEP_2)
	v_dual_lshlrev_b32 v6, 8, v5 :: v_dual_lshlrev_b32 v0, 7, v0
	v_lshl_add_u32 v1, v1, 10, 0x2000
	s_delay_alu instid0(VALU_DEP_2) | instskip(NEXT) | instid1(VALU_DEP_2)
	v_and_b32_e32 v6, 0x8000, v6
	v_and_b32_e32 v1, 0xfc00, v1
	s_delay_alu instid0(VALU_DEP_1)
	v_or3_b32 v0, v6, v1, v0
	scratch_store_b32 off, v0, s32 offset:332 ; 4-byte Folded Spill
.LBB283_952:                            ;   in Loop: Header=BB283_15 Depth=1
	s_wait_xcnt 0x0
	s_or_b32 exec_lo, exec_lo, s18
.LBB283_953:                            ;   in Loop: Header=BB283_15 Depth=1
	s_delay_alu instid0(SALU_CYCLE_1)
	s_or_b32 exec_lo, exec_lo, s17
.LBB283_954:                            ;   in Loop: Header=BB283_15 Depth=1
	s_delay_alu instid0(SALU_CYCLE_1)
	s_or_b32 exec_lo, exec_lo, s16
	v_lshrrev_b16 v24, 8, v24
	v_dual_mov_b32 v0, 0 :: v_dual_mov_b32 v14, 0
	s_mov_b32 s16, exec_lo
	scratch_store_b32 off, v0, s32 offset:336 ; 4-byte Folded Spill
	s_wait_xcnt 0x0
	v_cmpx_ne_u16_e32 0, v24
	s_cbranch_execz .LBB283_962
; %bb.955:                              ;   in Loop: Header=BB283_15 Depth=1
	v_bfrev_b32_e32 v14, 1
	s_mov_b32 s17, exec_lo
	v_cmpx_ne_u16_e32 0x80, v24
	s_cbranch_execz .LBB283_961
; %bb.956:                              ;   in Loop: Header=BB283_15 Depth=1
	v_and_b32_e32 v0, 0xffff, v24
	v_mov_b32_e32 v14, 0x7c010000
	s_mov_b32 s18, exec_lo
	s_delay_alu instid0(VALU_DEP_2) | instskip(NEXT) | instid1(VALU_DEP_1)
	v_and_b32_e32 v8, 0x7f, v0
	v_cmpx_ne_u32_e32 0x7f, v8
	s_cbranch_execz .LBB283_960
; %bb.957:                              ;   in Loop: Header=BB283_15 Depth=1
	v_and_b32_e32 v1, 7, v0
	v_lshrrev_b32_e32 v6, 3, v8
	s_mov_b32 s19, exec_lo
	v_cmpx_gt_u32_e32 8, v8
; %bb.958:                              ;   in Loop: Header=BB283_15 Depth=1
	s_delay_alu instid0(VALU_DEP_3) | instskip(NEXT) | instid1(VALU_DEP_1)
	v_clz_i32_u32_e32 v1, v1
	v_min_u32_e32 v1, 32, v1
	s_delay_alu instid0(VALU_DEP_1) | instskip(NEXT) | instid1(VALU_DEP_1)
	v_subrev_nc_u32_e32 v6, 28, v1
	v_lshlrev_b64_e32 v[8:9], v6, v[24:25]
	s_delay_alu instid0(VALU_DEP_1)
	v_dual_sub_nc_u32 v6, 29, v1 :: v_dual_bitop2_b32 v1, 7, v8 bitop3:0x40
; %bb.959:                              ;   in Loop: Header=BB283_15 Depth=1
	s_or_b32 exec_lo, exec_lo, s19
	s_delay_alu instid0(VALU_DEP_1) | instskip(NEXT) | instid1(VALU_DEP_2)
	v_dual_lshlrev_b32 v0, 8, v0 :: v_dual_lshlrev_b32 v1, 23, v1
	v_lshl_add_u32 v6, v6, 10, 0x2000
	s_delay_alu instid0(VALU_DEP_1) | instskip(NEXT) | instid1(VALU_DEP_1)
	v_and_or_b32 v0, 0x8000, v0, v6
	v_lshl_or_b32 v14, v0, 16, v1
.LBB283_960:                            ;   in Loop: Header=BB283_15 Depth=1
	s_or_b32 exec_lo, exec_lo, s18
.LBB283_961:                            ;   in Loop: Header=BB283_15 Depth=1
	s_delay_alu instid0(SALU_CYCLE_1)
	s_or_b32 exec_lo, exec_lo, s17
.LBB283_962:                            ;   in Loop: Header=BB283_15 Depth=1
	s_delay_alu instid0(SALU_CYCLE_1) | instskip(SKIP_2) | instid1(VALU_DEP_1)
	s_or_b32 exec_lo, exec_lo, s16
	v_lshrrev_b32_e32 v0, 16, v5
	s_mov_b32 s16, exec_lo
	v_and_b32_e32 v1, 0xff, v0
	s_delay_alu instid0(VALU_DEP_1)
	v_cmpx_ne_u16_e32 0, v1
	s_cbranch_execz .LBB283_970
; %bb.963:                              ;   in Loop: Header=BB283_15 Depth=1
	v_cmp_ne_u16_e64 s1, 0x80, v1
	v_mov_b32_e32 v1, 0x8000
	scratch_store_b32 off, v1, s32 offset:336 ; 4-byte Folded Spill
	s_wait_xcnt 0x0
	s_and_saveexec_b32 s17, s1
	s_cbranch_execz .LBB283_969
; %bb.964:                              ;   in Loop: Header=BB283_15 Depth=1
	v_bfe_u32 v8, v5, 16, 7
	v_mov_b32_e32 v1, 0x7c01
	s_mov_b32 s18, exec_lo
	scratch_store_b32 off, v1, s32 offset:336 ; 4-byte Folded Spill
	s_wait_xcnt 0x0
	v_cmpx_ne_u32_e32 0x7f, v8
	s_cbranch_execz .LBB283_968
; %bb.965:                              ;   in Loop: Header=BB283_15 Depth=1
	v_and_b32_e32 v1, 7, v0
	v_lshrrev_b32_e32 v6, 3, v8
	s_mov_b32 s19, exec_lo
	v_cmpx_gt_u32_e32 8, v8
; %bb.966:                              ;   in Loop: Header=BB283_15 Depth=1
	s_delay_alu instid0(VALU_DEP_3) | instskip(NEXT) | instid1(VALU_DEP_1)
	v_clz_i32_u32_e32 v1, v1
	v_min_u32_e32 v1, 32, v1
	s_delay_alu instid0(VALU_DEP_1) | instskip(NEXT) | instid1(VALU_DEP_1)
	v_subrev_nc_u32_e32 v6, 28, v1
	v_lshlrev_b64_e32 v[8:9], v6, v[0:1]
	s_delay_alu instid0(VALU_DEP_1)
	v_dual_sub_nc_u32 v6, 29, v1 :: v_dual_bitop2_b32 v1, 7, v8 bitop3:0x40
; %bb.967:                              ;   in Loop: Header=BB283_15 Depth=1
	s_or_b32 exec_lo, exec_lo, s19
	s_delay_alu instid0(VALU_DEP_1) | instskip(NEXT) | instid1(VALU_DEP_2)
	v_dual_lshlrev_b32 v0, 8, v0 :: v_dual_lshlrev_b32 v1, 7, v1
	v_lshl_add_u32 v6, v6, 10, 0x2000
	s_delay_alu instid0(VALU_DEP_2) | instskip(NEXT) | instid1(VALU_DEP_2)
	v_and_b32_e32 v0, 0x8000, v0
	v_and_b32_e32 v6, 0xfc00, v6
	s_delay_alu instid0(VALU_DEP_1)
	v_or3_b32 v0, v0, v6, v1
	scratch_store_b32 off, v0, s32 offset:336 ; 4-byte Folded Spill
.LBB283_968:                            ;   in Loop: Header=BB283_15 Depth=1
	s_wait_xcnt 0x0
	s_or_b32 exec_lo, exec_lo, s18
.LBB283_969:                            ;   in Loop: Header=BB283_15 Depth=1
	s_delay_alu instid0(SALU_CYCLE_1)
	s_or_b32 exec_lo, exec_lo, s17
.LBB283_970:                            ;   in Loop: Header=BB283_15 Depth=1
	s_delay_alu instid0(SALU_CYCLE_1)
	s_or_b32 exec_lo, exec_lo, s16
	v_dual_mov_b32 v0, 0 :: v_dual_mov_b32 v6, 0
	s_mov_b32 s16, exec_lo
	scratch_store_b32 off, v0, s32 offset:340 ; 4-byte Folded Spill
	s_wait_xcnt 0x0
	v_cmpx_lt_u64_e64 s[8:9], v[4:5]
	s_cbranch_execz .LBB283_978
; %bb.971:                              ;   in Loop: Header=BB283_15 Depth=1
	v_lshrrev_b32_e32 v24, 24, v5
	v_bfrev_b32_e32 v6, 1
	s_mov_b32 s17, exec_lo
	s_delay_alu instid0(VALU_DEP_2)
	v_cmpx_ne_u32_e32 0x80, v24
	s_cbranch_execz .LBB283_977
; %bb.972:                              ;   in Loop: Header=BB283_15 Depth=1
	v_and_b32_e32 v4, 0x7f, v24
	v_mov_b32_e32 v6, 0x7c010000
	s_mov_b32 s18, exec_lo
	s_delay_alu instid0(VALU_DEP_2)
	v_cmpx_ne_u32_e32 0x7f, v4
	s_cbranch_execz .LBB283_976
; %bb.973:                              ;   in Loop: Header=BB283_15 Depth=1
	v_and_b32_e32 v0, 7, v24
	v_lshrrev_b32_e32 v1, 3, v4
	s_mov_b32 s19, exec_lo
	v_cmpx_gt_u32_e32 8, v4
; %bb.974:                              ;   in Loop: Header=BB283_15 Depth=1
	s_delay_alu instid0(VALU_DEP_3) | instskip(NEXT) | instid1(VALU_DEP_1)
	v_clz_i32_u32_e32 v0, v0
	v_min_u32_e32 v4, 32, v0
	s_delay_alu instid0(VALU_DEP_1) | instskip(NEXT) | instid1(VALU_DEP_1)
	v_subrev_nc_u32_e32 v0, 28, v4
	v_lshlrev_b64_e32 v[0:1], v0, v[24:25]
	v_sub_nc_u32_e32 v1, 29, v4
	s_delay_alu instid0(VALU_DEP_2)
	v_and_b32_e32 v0, 7, v0
; %bb.975:                              ;   in Loop: Header=BB283_15 Depth=1
	s_or_b32 exec_lo, exec_lo, s19
	v_lshlrev_b32_e32 v4, 8, v24
	s_delay_alu instid0(VALU_DEP_3) | instskip(NEXT) | instid1(VALU_DEP_3)
	v_lshl_add_u32 v1, v1, 10, 0x2000
	v_lshlrev_b32_e32 v0, 23, v0
	s_delay_alu instid0(VALU_DEP_2) | instskip(NEXT) | instid1(VALU_DEP_1)
	v_and_or_b32 v1, 0x8000, v4, v1
	v_lshl_or_b32 v6, v1, 16, v0
.LBB283_976:                            ;   in Loop: Header=BB283_15 Depth=1
	s_or_b32 exec_lo, exec_lo, s18
.LBB283_977:                            ;   in Loop: Header=BB283_15 Depth=1
	s_delay_alu instid0(SALU_CYCLE_1)
	s_or_b32 exec_lo, exec_lo, s17
.LBB283_978:                            ;   in Loop: Header=BB283_15 Depth=1
	s_delay_alu instid0(SALU_CYCLE_1)
	s_or_b32 exec_lo, exec_lo, s16
	flat_load_b64 v[2:3], v[2:3] offset:3592
	s_mov_b32 s16, exec_lo
	s_wait_loadcnt_dscnt 0x0
	v_and_b32_e32 v0, 0xff, v2
	s_wait_xcnt 0x0
	s_delay_alu instid0(VALU_DEP_1)
	v_cmpx_ne_u16_e32 0, v0
	s_cbranch_execz .LBB283_986
; %bb.979:                              ;   in Loop: Header=BB283_15 Depth=1
	v_cmp_ne_u16_e64 s1, 0x80, v0
	v_mov_b32_e32 v0, 0x8000
	scratch_store_b32 off, v0, s32 offset:340 ; 4-byte Folded Spill
	s_wait_xcnt 0x0
	s_and_saveexec_b32 s17, s1
	s_cbranch_execz .LBB283_985
; %bb.980:                              ;   in Loop: Header=BB283_15 Depth=1
	v_and_b32_e32 v4, 0x7f, v2
	v_mov_b32_e32 v0, 0x7c01
	s_mov_b32 s18, exec_lo
	scratch_store_b32 off, v0, s32 offset:340 ; 4-byte Folded Spill
	s_wait_xcnt 0x0
	v_cmpx_ne_u32_e32 0x7f, v4
	s_cbranch_execz .LBB283_984
; %bb.981:                              ;   in Loop: Header=BB283_15 Depth=1
	v_dual_lshrrev_b32 v1, 3, v4 :: v_dual_bitop2_b32 v0, 7, v2 bitop3:0x40
	s_mov_b32 s19, exec_lo
	v_cmpx_gt_u32_e32 8, v4
; %bb.982:                              ;   in Loop: Header=BB283_15 Depth=1
	s_delay_alu instid0(VALU_DEP_2) | instskip(NEXT) | instid1(VALU_DEP_1)
	v_clz_i32_u32_e32 v0, v0
	v_min_u32_e32 v4, 32, v0
	s_delay_alu instid0(VALU_DEP_1) | instskip(NEXT) | instid1(VALU_DEP_1)
	v_subrev_nc_u32_e32 v0, 28, v4
	v_lshlrev_b64_e32 v[0:1], v0, v[2:3]
	v_sub_nc_u32_e32 v1, 29, v4
	s_delay_alu instid0(VALU_DEP_2)
	v_and_b32_e32 v0, 7, v0
; %bb.983:                              ;   in Loop: Header=BB283_15 Depth=1
	s_or_b32 exec_lo, exec_lo, s19
	s_delay_alu instid0(VALU_DEP_1) | instskip(NEXT) | instid1(VALU_DEP_3)
	v_dual_lshlrev_b32 v4, 8, v2 :: v_dual_lshlrev_b32 v0, 7, v0
	v_lshl_add_u32 v1, v1, 10, 0x2000
	s_delay_alu instid0(VALU_DEP_2) | instskip(NEXT) | instid1(VALU_DEP_2)
	v_and_b32_e32 v4, 0x8000, v4
	v_and_b32_e32 v1, 0xfc00, v1
	s_delay_alu instid0(VALU_DEP_1)
	v_or3_b32 v0, v4, v1, v0
	scratch_store_b32 off, v0, s32 offset:340 ; 4-byte Folded Spill
.LBB283_984:                            ;   in Loop: Header=BB283_15 Depth=1
	s_wait_xcnt 0x0
	s_or_b32 exec_lo, exec_lo, s18
.LBB283_985:                            ;   in Loop: Header=BB283_15 Depth=1
	s_delay_alu instid0(SALU_CYCLE_1)
	s_or_b32 exec_lo, exec_lo, s17
.LBB283_986:                            ;   in Loop: Header=BB283_15 Depth=1
	s_delay_alu instid0(SALU_CYCLE_1)
	s_or_b32 exec_lo, exec_lo, s16
	v_lshrrev_b16 v24, 8, v2
	v_dual_mov_b32 v0, 0 :: v_dual_mov_b32 v9, 0
	s_mov_b32 s16, exec_lo
	scratch_store_b32 off, v0, s32 offset:344 ; 4-byte Folded Spill
	s_wait_xcnt 0x0
	v_cmpx_ne_u16_e32 0, v24
	s_cbranch_execz .LBB283_994
; %bb.987:                              ;   in Loop: Header=BB283_15 Depth=1
	v_bfrev_b32_e32 v9, 1
	s_mov_b32 s17, exec_lo
	v_cmpx_ne_u16_e32 0x80, v24
	s_cbranch_execz .LBB283_993
; %bb.988:                              ;   in Loop: Header=BB283_15 Depth=1
	v_and_b32_e32 v0, 0xffff, v24
	v_mov_b32_e32 v9, 0x7c010000
	s_mov_b32 s18, exec_lo
	s_delay_alu instid0(VALU_DEP_2) | instskip(NEXT) | instid1(VALU_DEP_1)
	v_and_b32_e32 v5, 0x7f, v0
	v_cmpx_ne_u32_e32 0x7f, v5
	s_cbranch_execz .LBB283_992
; %bb.989:                              ;   in Loop: Header=BB283_15 Depth=1
	v_dual_lshrrev_b32 v4, 3, v5 :: v_dual_bitop2_b32 v1, 7, v0 bitop3:0x40
	s_mov_b32 s19, exec_lo
	v_cmpx_gt_u32_e32 8, v5
; %bb.990:                              ;   in Loop: Header=BB283_15 Depth=1
	s_delay_alu instid0(VALU_DEP_2) | instskip(NEXT) | instid1(VALU_DEP_1)
	v_clz_i32_u32_e32 v1, v1
	v_min_u32_e32 v1, 32, v1
	s_delay_alu instid0(VALU_DEP_1) | instskip(NEXT) | instid1(VALU_DEP_1)
	v_subrev_nc_u32_e32 v4, 28, v1
	v_lshlrev_b64_e32 v[34:35], v4, v[24:25]
	s_delay_alu instid0(VALU_DEP_1)
	v_dual_sub_nc_u32 v4, 29, v1 :: v_dual_bitop2_b32 v1, 7, v34 bitop3:0x40
; %bb.991:                              ;   in Loop: Header=BB283_15 Depth=1
	s_or_b32 exec_lo, exec_lo, s19
	s_delay_alu instid0(VALU_DEP_1) | instskip(NEXT) | instid1(VALU_DEP_2)
	v_dual_lshlrev_b32 v0, 8, v0 :: v_dual_lshlrev_b32 v1, 23, v1
	v_lshl_add_u32 v4, v4, 10, 0x2000
	s_delay_alu instid0(VALU_DEP_1) | instskip(NEXT) | instid1(VALU_DEP_1)
	v_and_or_b32 v0, 0x8000, v0, v4
	v_lshl_or_b32 v9, v0, 16, v1
.LBB283_992:                            ;   in Loop: Header=BB283_15 Depth=1
	s_or_b32 exec_lo, exec_lo, s18
.LBB283_993:                            ;   in Loop: Header=BB283_15 Depth=1
	s_delay_alu instid0(SALU_CYCLE_1)
	s_or_b32 exec_lo, exec_lo, s17
.LBB283_994:                            ;   in Loop: Header=BB283_15 Depth=1
	s_delay_alu instid0(SALU_CYCLE_1) | instskip(SKIP_2) | instid1(VALU_DEP_1)
	s_or_b32 exec_lo, exec_lo, s16
	v_lshrrev_b32_e32 v0, 16, v2
	s_mov_b32 s16, exec_lo
	v_and_b32_e32 v1, 0xff, v0
	s_delay_alu instid0(VALU_DEP_1)
	v_cmpx_ne_u16_e32 0, v1
	s_cbranch_execz .LBB283_1002
; %bb.995:                              ;   in Loop: Header=BB283_15 Depth=1
	v_cmp_ne_u16_e64 s1, 0x80, v1
	v_mov_b32_e32 v1, 0x8000
	scratch_store_b32 off, v1, s32 offset:344 ; 4-byte Folded Spill
	s_wait_xcnt 0x0
	s_and_saveexec_b32 s17, s1
	s_cbranch_execz .LBB283_1001
; %bb.996:                              ;   in Loop: Header=BB283_15 Depth=1
	v_bfe_u32 v5, v2, 16, 7
	v_mov_b32_e32 v1, 0x7c01
	s_mov_b32 s18, exec_lo
	scratch_store_b32 off, v1, s32 offset:344 ; 4-byte Folded Spill
	s_wait_xcnt 0x0
	v_cmpx_ne_u32_e32 0x7f, v5
	s_cbranch_execz .LBB283_1000
; %bb.997:                              ;   in Loop: Header=BB283_15 Depth=1
	v_dual_lshrrev_b32 v4, 3, v5 :: v_dual_bitop2_b32 v1, 7, v0 bitop3:0x40
	s_mov_b32 s19, exec_lo
	v_cmpx_gt_u32_e32 8, v5
; %bb.998:                              ;   in Loop: Header=BB283_15 Depth=1
	s_delay_alu instid0(VALU_DEP_2) | instskip(NEXT) | instid1(VALU_DEP_1)
	v_clz_i32_u32_e32 v1, v1
	v_min_u32_e32 v1, 32, v1
	s_delay_alu instid0(VALU_DEP_1) | instskip(NEXT) | instid1(VALU_DEP_1)
	v_subrev_nc_u32_e32 v4, 28, v1
	v_lshlrev_b64_e32 v[34:35], v4, v[0:1]
	s_delay_alu instid0(VALU_DEP_1)
	v_dual_sub_nc_u32 v4, 29, v1 :: v_dual_bitop2_b32 v1, 7, v34 bitop3:0x40
; %bb.999:                              ;   in Loop: Header=BB283_15 Depth=1
	s_or_b32 exec_lo, exec_lo, s19
	s_delay_alu instid0(VALU_DEP_1) | instskip(NEXT) | instid1(VALU_DEP_2)
	v_dual_lshlrev_b32 v0, 8, v0 :: v_dual_lshlrev_b32 v1, 7, v1
	v_lshl_add_u32 v4, v4, 10, 0x2000
	s_delay_alu instid0(VALU_DEP_2) | instskip(NEXT) | instid1(VALU_DEP_2)
	v_and_b32_e32 v0, 0x8000, v0
	v_and_b32_e32 v4, 0xfc00, v4
	s_delay_alu instid0(VALU_DEP_1)
	v_or3_b32 v0, v0, v4, v1
	scratch_store_b32 off, v0, s32 offset:344 ; 4-byte Folded Spill
.LBB283_1000:                           ;   in Loop: Header=BB283_15 Depth=1
	s_wait_xcnt 0x0
	s_or_b32 exec_lo, exec_lo, s18
.LBB283_1001:                           ;   in Loop: Header=BB283_15 Depth=1
	s_delay_alu instid0(SALU_CYCLE_1)
	s_or_b32 exec_lo, exec_lo, s17
.LBB283_1002:                           ;   in Loop: Header=BB283_15 Depth=1
	s_delay_alu instid0(SALU_CYCLE_1)
	s_or_b32 exec_lo, exec_lo, s16
	v_dual_mov_b32 v8, 0 :: v_dual_mov_b32 v34, 0
	s_mov_b32 s16, exec_lo
	v_cmpx_lt_u32_e32 0xffffff, v2
	s_cbranch_execz .LBB283_1010
; %bb.1003:                             ;   in Loop: Header=BB283_15 Depth=1
	v_lshrrev_b32_e32 v24, 24, v2
	v_bfrev_b32_e32 v34, 1
	s_mov_b32 s17, exec_lo
	s_delay_alu instid0(VALU_DEP_2)
	v_cmpx_ne_u32_e32 0x80, v24
	s_cbranch_execz .LBB283_1009
; %bb.1004:                             ;   in Loop: Header=BB283_15 Depth=1
	v_and_b32_e32 v4, 0x7f, v24
	v_mov_b32_e32 v34, 0x7c010000
	s_mov_b32 s18, exec_lo
	s_delay_alu instid0(VALU_DEP_2)
	v_cmpx_ne_u32_e32 0x7f, v4
	s_cbranch_execz .LBB283_1008
; %bb.1005:                             ;   in Loop: Header=BB283_15 Depth=1
	v_and_b32_e32 v0, 7, v24
	v_lshrrev_b32_e32 v1, 3, v4
	s_mov_b32 s19, exec_lo
	v_cmpx_gt_u32_e32 8, v4
; %bb.1006:                             ;   in Loop: Header=BB283_15 Depth=1
	s_delay_alu instid0(VALU_DEP_3) | instskip(NEXT) | instid1(VALU_DEP_1)
	v_clz_i32_u32_e32 v0, v0
	v_min_u32_e32 v4, 32, v0
	s_delay_alu instid0(VALU_DEP_1) | instskip(NEXT) | instid1(VALU_DEP_1)
	v_subrev_nc_u32_e32 v0, 28, v4
	v_lshlrev_b64_e32 v[0:1], v0, v[24:25]
	v_sub_nc_u32_e32 v1, 29, v4
	s_delay_alu instid0(VALU_DEP_2)
	v_and_b32_e32 v0, 7, v0
; %bb.1007:                             ;   in Loop: Header=BB283_15 Depth=1
	s_or_b32 exec_lo, exec_lo, s19
	v_lshlrev_b32_e32 v4, 8, v24
	s_delay_alu instid0(VALU_DEP_3) | instskip(NEXT) | instid1(VALU_DEP_3)
	v_lshl_add_u32 v1, v1, 10, 0x2000
	v_lshlrev_b32_e32 v0, 23, v0
	s_delay_alu instid0(VALU_DEP_2) | instskip(NEXT) | instid1(VALU_DEP_1)
	v_and_or_b32 v1, 0x8000, v4, v1
	v_lshl_or_b32 v34, v1, 16, v0
.LBB283_1008:                           ;   in Loop: Header=BB283_15 Depth=1
	s_or_b32 exec_lo, exec_lo, s18
.LBB283_1009:                           ;   in Loop: Header=BB283_15 Depth=1
	s_delay_alu instid0(SALU_CYCLE_1)
	s_or_b32 exec_lo, exec_lo, s17
.LBB283_1010:                           ;   in Loop: Header=BB283_15 Depth=1
	s_delay_alu instid0(SALU_CYCLE_1) | instskip(SKIP_3) | instid1(VALU_DEP_2)
	s_or_b32 exec_lo, exec_lo, s16
	v_and_b32_e32 v0, 0xff, v3
	v_mov_b32_e32 v24, v3
	s_mov_b32 s16, exec_lo
	v_cmpx_ne_u16_e32 0, v0
	s_cbranch_execz .LBB283_1018
; %bb.1011:                             ;   in Loop: Header=BB283_15 Depth=1
	v_mov_b32_e32 v8, 0x8000
	s_mov_b32 s17, exec_lo
	v_cmpx_ne_u16_e32 0x80, v0
	s_cbranch_execz .LBB283_1017
; %bb.1012:                             ;   in Loop: Header=BB283_15 Depth=1
	v_and_b32_e32 v4, 0x7f, v3
	v_mov_b32_e32 v8, 0x7c01
	s_mov_b32 s18, exec_lo
	s_delay_alu instid0(VALU_DEP_2)
	v_cmpx_ne_u32_e32 0x7f, v4
	s_cbranch_execz .LBB283_1016
; %bb.1013:                             ;   in Loop: Header=BB283_15 Depth=1
	v_dual_lshrrev_b32 v1, 3, v4 :: v_dual_bitop2_b32 v0, 7, v3 bitop3:0x40
	s_mov_b32 s19, exec_lo
	v_cmpx_gt_u32_e32 8, v4
; %bb.1014:                             ;   in Loop: Header=BB283_15 Depth=1
	s_delay_alu instid0(VALU_DEP_2) | instskip(NEXT) | instid1(VALU_DEP_1)
	v_clz_i32_u32_e32 v0, v0
	v_min_u32_e32 v4, 32, v0
	s_delay_alu instid0(VALU_DEP_1) | instskip(NEXT) | instid1(VALU_DEP_1)
	v_subrev_nc_u32_e32 v0, 28, v4
	v_lshlrev_b64_e32 v[0:1], v0, v[24:25]
	v_sub_nc_u32_e32 v1, 29, v4
	s_delay_alu instid0(VALU_DEP_2)
	v_and_b32_e32 v0, 7, v0
; %bb.1015:                             ;   in Loop: Header=BB283_15 Depth=1
	s_or_b32 exec_lo, exec_lo, s19
	s_delay_alu instid0(VALU_DEP_1) | instskip(NEXT) | instid1(VALU_DEP_3)
	v_dual_lshlrev_b32 v4, 8, v3 :: v_dual_lshlrev_b32 v0, 7, v0
	v_lshl_add_u32 v1, v1, 10, 0x2000
	s_delay_alu instid0(VALU_DEP_2) | instskip(NEXT) | instid1(VALU_DEP_2)
	v_and_b32_e32 v4, 0x8000, v4
	v_and_b32_e32 v1, 0xfc00, v1
	s_delay_alu instid0(VALU_DEP_1)
	v_or3_b32 v8, v4, v1, v0
.LBB283_1016:                           ;   in Loop: Header=BB283_15 Depth=1
	s_or_b32 exec_lo, exec_lo, s18
.LBB283_1017:                           ;   in Loop: Header=BB283_15 Depth=1
	s_delay_alu instid0(SALU_CYCLE_1)
	s_or_b32 exec_lo, exec_lo, s17
.LBB283_1018:                           ;   in Loop: Header=BB283_15 Depth=1
	s_delay_alu instid0(SALU_CYCLE_1) | instskip(SKIP_3) | instid1(VALU_DEP_2)
	s_or_b32 exec_lo, exec_lo, s16
	v_lshrrev_b16 v24, 8, v24
	v_dual_mov_b32 v35, 0 :: v_dual_mov_b32 v20, 0
	s_mov_b32 s16, exec_lo
	v_cmpx_ne_u16_e32 0, v24
	s_cbranch_execz .LBB283_1026
; %bb.1019:                             ;   in Loop: Header=BB283_15 Depth=1
	v_bfrev_b32_e32 v20, 1
	s_mov_b32 s17, exec_lo
	v_cmpx_ne_u16_e32 0x80, v24
	s_cbranch_execz .LBB283_1025
; %bb.1020:                             ;   in Loop: Header=BB283_15 Depth=1
	v_and_b32_e32 v0, 0xffff, v24
	v_mov_b32_e32 v20, 0x7c010000
	s_mov_b32 s18, exec_lo
	s_delay_alu instid0(VALU_DEP_2) | instskip(NEXT) | instid1(VALU_DEP_1)
	v_and_b32_e32 v5, 0x7f, v0
	v_cmpx_ne_u32_e32 0x7f, v5
	s_cbranch_execz .LBB283_1024
; %bb.1021:                             ;   in Loop: Header=BB283_15 Depth=1
	v_dual_lshrrev_b32 v4, 3, v5 :: v_dual_bitop2_b32 v1, 7, v0 bitop3:0x40
	s_mov_b32 s19, exec_lo
	v_cmpx_gt_u32_e32 8, v5
; %bb.1022:                             ;   in Loop: Header=BB283_15 Depth=1
	s_delay_alu instid0(VALU_DEP_2) | instskip(NEXT) | instid1(VALU_DEP_1)
	v_clz_i32_u32_e32 v1, v1
	v_min_u32_e32 v1, 32, v1
	s_delay_alu instid0(VALU_DEP_1) | instskip(NEXT) | instid1(VALU_DEP_1)
	v_subrev_nc_u32_e32 v4, 28, v1
	v_lshlrev_b64_e32 v[52:53], v4, v[24:25]
	s_delay_alu instid0(VALU_DEP_1)
	v_dual_sub_nc_u32 v4, 29, v1 :: v_dual_bitop2_b32 v1, 7, v52 bitop3:0x40
; %bb.1023:                             ;   in Loop: Header=BB283_15 Depth=1
	s_or_b32 exec_lo, exec_lo, s19
	s_delay_alu instid0(VALU_DEP_1) | instskip(NEXT) | instid1(VALU_DEP_2)
	v_dual_lshlrev_b32 v0, 8, v0 :: v_dual_lshlrev_b32 v1, 23, v1
	v_lshl_add_u32 v4, v4, 10, 0x2000
	s_delay_alu instid0(VALU_DEP_1) | instskip(NEXT) | instid1(VALU_DEP_1)
	v_and_or_b32 v0, 0x8000, v0, v4
	v_lshl_or_b32 v20, v0, 16, v1
.LBB283_1024:                           ;   in Loop: Header=BB283_15 Depth=1
	s_or_b32 exec_lo, exec_lo, s18
.LBB283_1025:                           ;   in Loop: Header=BB283_15 Depth=1
	s_delay_alu instid0(SALU_CYCLE_1)
	s_or_b32 exec_lo, exec_lo, s17
.LBB283_1026:                           ;   in Loop: Header=BB283_15 Depth=1
	s_delay_alu instid0(SALU_CYCLE_1) | instskip(SKIP_2) | instid1(VALU_DEP_1)
	s_or_b32 exec_lo, exec_lo, s16
	v_lshrrev_b32_e32 v0, 16, v3
	s_mov_b32 s16, exec_lo
	v_and_b32_e32 v1, 0xff, v0
	s_delay_alu instid0(VALU_DEP_1)
	v_cmpx_ne_u16_e32 0, v1
	s_cbranch_execz .LBB283_1034
; %bb.1027:                             ;   in Loop: Header=BB283_15 Depth=1
	v_mov_b32_e32 v35, 0x8000
	s_mov_b32 s17, exec_lo
	v_cmpx_ne_u16_e32 0x80, v1
	s_cbranch_execz .LBB283_1033
; %bb.1028:                             ;   in Loop: Header=BB283_15 Depth=1
	v_bfe_u32 v5, v3, 16, 7
	v_mov_b32_e32 v35, 0x7c01
	s_mov_b32 s18, exec_lo
	s_delay_alu instid0(VALU_DEP_2)
	v_cmpx_ne_u32_e32 0x7f, v5
	s_cbranch_execz .LBB283_1032
; %bb.1029:                             ;   in Loop: Header=BB283_15 Depth=1
	v_dual_lshrrev_b32 v4, 3, v5 :: v_dual_bitop2_b32 v1, 7, v0 bitop3:0x40
	s_mov_b32 s19, exec_lo
	v_cmpx_gt_u32_e32 8, v5
; %bb.1030:                             ;   in Loop: Header=BB283_15 Depth=1
	s_delay_alu instid0(VALU_DEP_2) | instskip(NEXT) | instid1(VALU_DEP_1)
	v_clz_i32_u32_e32 v1, v1
	v_min_u32_e32 v1, 32, v1
	s_delay_alu instid0(VALU_DEP_1) | instskip(NEXT) | instid1(VALU_DEP_1)
	v_subrev_nc_u32_e32 v4, 28, v1
	v_lshlrev_b64_e32 v[52:53], v4, v[0:1]
	s_delay_alu instid0(VALU_DEP_1)
	v_dual_sub_nc_u32 v4, 29, v1 :: v_dual_bitop2_b32 v1, 7, v52 bitop3:0x40
; %bb.1031:                             ;   in Loop: Header=BB283_15 Depth=1
	s_or_b32 exec_lo, exec_lo, s19
	s_delay_alu instid0(VALU_DEP_1) | instskip(NEXT) | instid1(VALU_DEP_2)
	v_dual_lshlrev_b32 v0, 8, v0 :: v_dual_lshlrev_b32 v1, 7, v1
	v_lshl_add_u32 v4, v4, 10, 0x2000
	s_delay_alu instid0(VALU_DEP_2) | instskip(NEXT) | instid1(VALU_DEP_2)
	v_and_b32_e32 v0, 0x8000, v0
	v_and_b32_e32 v4, 0xfc00, v4
	s_delay_alu instid0(VALU_DEP_1)
	v_or3_b32 v35, v0, v4, v1
.LBB283_1032:                           ;   in Loop: Header=BB283_15 Depth=1
	s_or_b32 exec_lo, exec_lo, s18
.LBB283_1033:                           ;   in Loop: Header=BB283_15 Depth=1
	s_delay_alu instid0(SALU_CYCLE_1)
	s_or_b32 exec_lo, exec_lo, s17
.LBB283_1034:                           ;   in Loop: Header=BB283_15 Depth=1
	s_delay_alu instid0(SALU_CYCLE_1)
	s_or_b32 exec_lo, exec_lo, s16
	v_dual_mov_b32 v98, v103 :: v_dual_mov_b32 v103, v96
	v_dual_mov_b32 v96, v44 :: v_dual_mov_b32 v82, v83
	;; [unrolled: 1-line block ×6, first 2 shown]
	s_mov_b32 s16, exec_lo
	scratch_store_b32 off, v19, s32 offset:372 ; 4-byte Folded Spill
	s_wait_xcnt 0x0
	v_cmpx_lt_u64_e64 s[8:9], v[2:3]
	s_cbranch_execz .LBB283_13
; %bb.1035:                             ;   in Loop: Header=BB283_15 Depth=1
	v_lshrrev_b32_e32 v24, 24, v3
	v_bfrev_b32_e32 v23, 1
	s_mov_b32 s17, exec_lo
	s_delay_alu instid0(VALU_DEP_2)
	v_cmpx_ne_u32_e32 0x80, v24
	s_cbranch_execz .LBB283_12
; %bb.1036:                             ;   in Loop: Header=BB283_15 Depth=1
	v_and_b32_e32 v2, 0x7f, v24
	v_mov_b32_e32 v23, 0x7c010000
	s_mov_b32 s18, exec_lo
	s_delay_alu instid0(VALU_DEP_2)
	v_cmpx_ne_u32_e32 0x7f, v2
	s_cbranch_execz .LBB283_11
; %bb.1037:                             ;   in Loop: Header=BB283_15 Depth=1
	v_dual_lshrrev_b32 v1, 3, v2 :: v_dual_bitop2_b32 v0, 7, v24 bitop3:0x40
	s_mov_b32 s19, exec_lo
	v_cmpx_gt_u32_e32 8, v2
	s_cbranch_execz .LBB283_10
; %bb.1038:                             ;   in Loop: Header=BB283_15 Depth=1
	s_delay_alu instid0(VALU_DEP_2) | instskip(NEXT) | instid1(VALU_DEP_1)
	v_clz_i32_u32_e32 v0, v0
	v_min_u32_e32 v2, 32, v0
	s_delay_alu instid0(VALU_DEP_1) | instskip(NEXT) | instid1(VALU_DEP_1)
	v_subrev_nc_u32_e32 v0, 28, v2
	v_lshlrev_b64_e32 v[0:1], v0, v[24:25]
	s_delay_alu instid0(VALU_DEP_1)
	v_dual_sub_nc_u32 v1, 29, v2 :: v_dual_bitop2_b32 v0, 7, v0 bitop3:0x40
	s_branch .LBB283_10
.LBB283_1039:
	s_or_b32 exec_lo, exec_lo, s15
	s_clause 0x4
	scratch_load_b32 v13, off, s32 offset:456
	scratch_load_b32 v11, off, s32 offset:460
	scratch_load_b64 v[16:17], off, s32 offset:464
	scratch_load_b32 v18, off, s32 offset:472
	scratch_load_b32 v7, off, s32 offset:476
.LBB283_1040:
	s_wait_xcnt 0x0
	s_or_b32 exec_lo, exec_lo, s3
	v_mbcnt_lo_u32_b32 v0, -1, 0
	s_delay_alu instid0(VALU_DEP_1) | instskip(SKIP_1) | instid1(VALU_DEP_2)
	v_dual_max_num_f32 v4, v19, v19 :: v_dual_bitop2_b32 v1, 16, v0 bitop3:0x14
	v_xor_b32_e32 v3, 8, v0
	v_cmp_gt_i32_e32 vcc_lo, 32, v1
	v_cndmask_b32_e32 v1, v0, v1, vcc_lo
	s_delay_alu instid0(VALU_DEP_3) | instskip(NEXT) | instid1(VALU_DEP_2)
	v_cmp_gt_i32_e32 vcc_lo, 32, v3
	v_dual_lshlrev_b32 v1, 2, v1 :: v_dual_cndmask_b32 v3, v0, v3, vcc_lo
	ds_bpermute_b32 v2, v1, v19
	s_wait_dscnt 0x0
	v_dual_max_num_f32 v5, v2, v2 :: v_dual_lshlrev_b32 v2, 2, v3
	s_delay_alu instid0(VALU_DEP_1) | instskip(SKIP_4) | instid1(VALU_DEP_1)
	v_dual_max_num_f32 v4, v4, v5 :: v_dual_bitop2_b32 v5, 4, v0 bitop3:0x14
	ds_bpermute_b32 v3, v2, v4
	v_cmp_gt_i32_e32 vcc_lo, 32, v5
	s_wait_dscnt 0x0
	v_dual_cndmask_b32 v5, v0, v5 :: v_dual_max_num_f32 v6, v3, v3
	v_dual_max_num_f32 v4, v4, v6 :: v_dual_lshlrev_b32 v3, 2, v5
	ds_bpermute_b32 v5, v3, v4
	s_wait_dscnt 0x0
	v_dual_max_num_f32 v5, v5, v5 :: v_dual_bitop2_b32 v6, 2, v0 bitop3:0x14
	s_delay_alu instid0(VALU_DEP_1) | instskip(NEXT) | instid1(VALU_DEP_2)
	v_cmp_gt_i32_e32 vcc_lo, 32, v6
	v_max_num_f32_e32 v4, v4, v5
	v_cndmask_b32_e32 v6, v0, v6, vcc_lo
	s_delay_alu instid0(VALU_DEP_1) | instskip(SKIP_3) | instid1(VALU_DEP_1)
	v_lshlrev_b32_e32 v54, 2, v6
	ds_bpermute_b32 v5, v54, v4
	s_wait_dscnt 0x0
	v_dual_max_num_f32 v5, v5, v5 :: v_dual_bitop2_b32 v6, 1, v0 bitop3:0x14
	v_cmp_gt_i32_e32 vcc_lo, 32, v6
	v_cndmask_b32_e32 v6, v0, v6, vcc_lo
	s_delay_alu instid0(VALU_DEP_3)
	v_max_num_f32_e32 v0, v4, v5
	scratch_load_b32 v4, off, s32 offset:376 ; 4-byte Folded Reload
	s_wait_loadcnt 0x0
	v_cmp_eq_u32_e32 vcc_lo, 0, v4
	scratch_load_b32 v4, off, s32 offset:408 ; 4-byte Folded Reload
	s_wait_loadcnt 0x0
	v_dual_lshlrev_b32 v4, 2, v4 :: v_dual_lshlrev_b32 v53, 2, v6
	ds_bpermute_b32 v5, v53, v0
	s_wait_xcnt 0x0
	s_and_saveexec_b32 s1, vcc_lo
	s_cbranch_execz .LBB283_1042
; %bb.1041:
	s_wait_dscnt 0x0
	v_dual_max_num_f32 v5, v5, v5 :: v_dual_max_num_f32 v0, v0, v0
	s_delay_alu instid0(VALU_DEP_1)
	v_max_num_f32_e32 v0, v0, v5
	ds_store_b32 v4, v0 offset:256
.LBB283_1042:
	s_or_b32 exec_lo, exec_lo, s1
	scratch_load_b32 v0, off, s32 offset:376 ; 4-byte Folded Reload
	s_wait_storecnt 0x0
	s_wait_loadcnt_dscnt 0x0
	s_barrier_signal -1
	s_barrier_wait -1
	v_cmp_gt_u32_e64 s1, 4, v0
	v_mov_b32_e32 v0, 0xff7fffff
	s_and_saveexec_b32 s2, s1
; %bb.1043:
	ds_load_b32 v0, v7 offset:256
; %bb.1044:
	s_or_b32 exec_lo, exec_lo, s2
	s_wait_dscnt 0x0
	ds_bpermute_b32 v5, v54, v0
	s_wait_dscnt 0x0
	v_dual_max_num_f32 v0, v0, v0 :: v_dual_max_num_f32 v5, v5, v5
	s_delay_alu instid0(VALU_DEP_1) | instskip(SKIP_3) | instid1(VALU_DEP_1)
	v_max_num_f32_e32 v0, v0, v5
	ds_bpermute_b32 v5, v53, v0
	s_wait_dscnt 0x0
	v_max_num_f32_e32 v5, v5, v5
	v_dual_max_num_f32 v0, v0, v5 :: v_dual_mov_b32 v5, 0
	ds_bpermute_b32 v6, v5, v0
	scratch_load_b32 v0, off, s32 offset:208 ; 4-byte Folded Reload
	s_wait_loadcnt 0x0
	v_lshlrev_b32_e32 v0, 5, v0
	s_delay_alu instid0(VALU_DEP_1) | instskip(NEXT) | instid1(VALU_DEP_1)
	v_min_i32_e32 v0, v0, v12
	v_cmp_lt_i32_e64 s2, v13, v0
	s_and_saveexec_b32 s8, s2
	s_cbranch_execz .LBB283_1048
; %bb.1045:
	s_load_b32 s3, s[6:7], 0x0
	v_dual_mov_b32 v10, v7 :: v_dual_mov_b32 v5, 0
	v_mov_b32_e32 v8, v13
	s_mov_b32 s9, 0
	s_wait_kmcnt 0x0
	v_lshl_add_u32 v7, v13, 2, s3
.LBB283_1046:                           ; =>This Inner Loop Header: Depth=1
	ds_load_b32 v9, v7
	v_add_nc_u32_e32 v8, 0x80, v8
	s_delay_alu instid0(VALU_DEP_1) | instskip(SKIP_3) | instid1(VALU_DEP_1)
	v_cmp_ge_i32_e64 s3, v8, v0
	s_or_b32 s9, s3, s9
	s_wait_dscnt 0x0
	v_sub_f32_e32 v9, v9, v6
	v_mul_f32_e32 v9, 0x3fb8aa3b, v9
	s_delay_alu instid0(VALU_DEP_1)
	v_exp_f32_e32 v9, v9
	ds_store_b32 v7, v9
	v_nop
	v_add_f32_e32 v5, v5, v9
	v_add_nc_u32_e32 v7, 0x200, v7
	s_and_not1_b32 exec_lo, exec_lo, s9
	s_cbranch_execnz .LBB283_1046
; %bb.1047:
	s_or_b32 exec_lo, exec_lo, s9
	v_mov_b32_e32 v7, v10
.LBB283_1048:
	s_or_b32 exec_lo, exec_lo, s8
	ds_bpermute_b32 v1, v1, v5
	s_wait_dscnt 0x0
	v_add_f32_e32 v1, v5, v1
	ds_bpermute_b32 v2, v2, v1
	s_wait_dscnt 0x0
	v_add_f32_e32 v1, v1, v2
	;; [unrolled: 3-line block ×5, first 2 shown]
	s_and_saveexec_b32 s3, vcc_lo
; %bb.1049:
	ds_store_b32 v4, v1 offset:272
; %bb.1050:
	s_or_b32 exec_lo, exec_lo, s3
	s_wait_dscnt 0x0
	s_barrier_signal -1
	s_barrier_wait -1
	s_and_saveexec_b32 s3, s1
; %bb.1051:
	ds_load_b32 v1, v7 offset:272
; %bb.1052:
	s_or_b32 exec_lo, exec_lo, s3
	s_wait_dscnt 0x0
	ds_bpermute_b32 v2, v54, v1
	s_wait_dscnt 0x0
	v_dual_mov_b32 v3, 0 :: v_dual_add_f32 v1, v1, v2
	ds_bpermute_b32 v2, v53, v1
	s_wait_dscnt 0x0
	v_add_f32_e32 v1, v1, v2
	ds_bpermute_b32 v1, v3, v1
	s_and_saveexec_b32 s1, s2
	s_cbranch_execz .LBB283_1065
; %bb.1053:
	s_wait_dscnt 0x0
	v_add_f32_e32 v1, 0x358637bd, v1
	s_mov_b32 s3, -1
	s_mov_b32 s2, exec_lo
	s_delay_alu instid0(VALU_DEP_1) | instskip(NEXT) | instid1(VALU_DEP_1)
	v_div_scale_f32 v2, null, v1, v1, 1.0
	v_rcp_f32_e32 v4, v2
	v_nop
	s_delay_alu instid0(TRANS32_DEP_1) | instskip(NEXT) | instid1(VALU_DEP_1)
	v_fma_f32 v5, -v2, v4, 1.0
	v_fmac_f32_e32 v4, v5, v4
	v_div_scale_f32 v6, vcc_lo, 1.0, v1, 1.0
	s_delay_alu instid0(VALU_DEP_1) | instskip(NEXT) | instid1(VALU_DEP_1)
	v_mul_f32_e32 v5, v6, v4
	v_fma_f32 v7, -v2, v5, v6
	s_delay_alu instid0(VALU_DEP_1) | instskip(NEXT) | instid1(VALU_DEP_1)
	v_fmac_f32_e32 v5, v7, v4
	v_fma_f32 v6, -v2, v5, v6
	v_xad_u32 v2, v13, -1, v0
	s_delay_alu instid0(VALU_DEP_2) | instskip(NEXT) | instid1(VALU_DEP_1)
	v_div_fmas_f32 v4, v6, v4, v5
	v_div_fixup_f32 v4, v4, v1, 1.0
	v_mov_b32_e32 v1, v13
	s_delay_alu instid0(VALU_DEP_4)
	v_cmpx_lt_u32_e32 0x7f, v2
	s_cbranch_execz .LBB283_1062
; %bb.1054:
	s_delay_alu instid0(VALU_DEP_3) | instskip(NEXT) | instid1(VALU_DEP_1)
	v_dual_lshrrev_b32 v1, 7, v2 :: v_dual_mov_b32 v5, v4
	v_dual_mov_b32 v8, 0 :: v_dual_add_nc_u32 v2, -1, v1
	s_delay_alu instid0(VALU_DEP_1) | instskip(SKIP_1) | instid1(VALU_DEP_2)
	v_lshrrev_b32_e32 v6, 1, v2
	v_cmp_lt_u32_e32 vcc_lo, 13, v2
	v_add_nc_u32_e32 v2, 1, v6
	s_and_saveexec_b32 s3, vcc_lo
	s_cbranch_execz .LBB283_1058
; %bb.1055:
	s_load_b32 s8, s[6:7], 0x0
	v_mov_b64_e32 v[28:29], v[16:17]
	v_dual_mov_b32 v27, v18 :: v_dual_mov_b32 v26, v11
	v_and_b32_e32 v6, -8, v2
	s_mov_b32 s9, 0
	s_wait_kmcnt 0x0
	v_lshl_add_u32 v7, v13, 2, s8
	s_mov_b32 s8, 0
.LBB283_1056:                           ; =>This Inner Loop Header: Depth=1
	ds_load_2addr_stride64_b32 v[8:9], v7 offset1:2
	ds_load_2addr_stride64_b32 v[10:11], v7 offset0:4 offset1:6
	ds_load_2addr_stride64_b32 v[14:15], v7 offset0:8 offset1:10
	;; [unrolled: 1-line block ×7, first 2 shown]
	s_add_co_i32 s9, s9, 16
	v_add_nc_u32_e32 v6, -8, v6
	s_wait_dscnt 0x7
	v_pk_mul_f32 v[8:9], v[4:5], v[8:9]
	s_wait_dscnt 0x6
	v_pk_mul_f32 v[10:11], v[4:5], v[10:11]
	;; [unrolled: 2-line block ×8, first 2 shown]
	ds_store_2addr_stride64_b32 v7, v8, v9 offset1:2
	ds_store_2addr_stride64_b32 v7, v10, v11 offset0:4 offset1:6
	ds_store_2addr_stride64_b32 v7, v14, v15 offset0:8 offset1:10
	;; [unrolled: 1-line block ×7, first 2 shown]
	v_mov_b32_e32 v8, s9
	v_cmp_eq_u32_e32 vcc_lo, 0, v6
	v_add_nc_u32_e32 v7, 0x2000, v7
	s_or_b32 s8, vcc_lo, s8
	s_delay_alu instid0(SALU_CYCLE_1)
	s_and_not1_b32 exec_lo, exec_lo, s8
	s_cbranch_execnz .LBB283_1056
; %bb.1057:
	s_or_b32 exec_lo, exec_lo, s8
	v_mov_b64_e32 v[16:17], v[28:29]
	v_dual_mov_b32 v11, v26 :: v_dual_mov_b32 v18, v27
.LBB283_1058:
	s_or_b32 exec_lo, exec_lo, s3
	s_delay_alu instid0(VALU_DEP_1) | instskip(SKIP_2) | instid1(VALU_DEP_1)
	v_and_b32_e32 v2, 7, v2
	s_mov_b32 s8, 0
	s_mov_b32 s3, exec_lo
	v_cmpx_ne_u32_e32 0, v2
	s_cbranch_execz .LBB283_1061
; %bb.1059:
	s_load_b32 s9, s[6:7], 0x0
	v_dual_lshlrev_b32 v6, 9, v8 :: v_dual_lshlrev_b32 v7, 2, v13
	s_wait_kmcnt 0x0
	s_delay_alu instid0(VALU_DEP_1)
	v_add3_u32 v6, v6, v7, s9
.LBB283_1060:                           ; =>This Inner Loop Header: Depth=1
	ds_load_2addr_stride64_b32 v[8:9], v6 offset1:2
	v_add_nc_u32_e32 v2, -1, v2
	s_delay_alu instid0(VALU_DEP_1)
	v_cmp_eq_u32_e32 vcc_lo, 0, v2
	s_or_b32 s8, vcc_lo, s8
	s_wait_dscnt 0x0
	v_pk_mul_f32 v[8:9], v[4:5], v[8:9]
	ds_store_2addr_stride64_b32 v6, v8, v9 offset1:2
	v_add_nc_u32_e32 v6, 0x400, v6
	s_and_not1_b32 exec_lo, exec_lo, s8
	s_cbranch_execnz .LBB283_1060
.LBB283_1061:
	s_or_b32 exec_lo, exec_lo, s3
	v_add_nc_u32_e32 v1, 1, v1
	s_delay_alu instid0(VALU_DEP_1) | instskip(NEXT) | instid1(VALU_DEP_1)
	v_and_b32_e32 v2, 0x3fffffe, v1
	v_cmp_ne_u32_e32 vcc_lo, v1, v2
	v_lshl_add_u32 v1, v2, 7, v13
	s_or_not1_b32 s3, vcc_lo, exec_lo
.LBB283_1062:
	s_or_b32 exec_lo, exec_lo, s2
	s_delay_alu instid0(SALU_CYCLE_1)
	s_and_b32 exec_lo, exec_lo, s3
	s_cbranch_execz .LBB283_1065
; %bb.1063:
	s_load_b32 s2, s[6:7], 0x0
	s_wait_kmcnt 0x0
	v_lshl_add_u32 v2, v1, 2, s2
	s_mov_b32 s2, 0
.LBB283_1064:                           ; =>This Inner Loop Header: Depth=1
	ds_load_b32 v5, v2
	v_add_nc_u32_e32 v1, 0x80, v1
	s_delay_alu instid0(VALU_DEP_1)
	v_cmp_ge_i32_e32 vcc_lo, v1, v0
	s_or_b32 s2, vcc_lo, s2
	s_wait_dscnt 0x0
	v_mul_f32_e32 v5, v4, v5
	ds_store_b32 v2, v5
	v_add_nc_u32_e32 v2, 0x200, v2
	s_and_not1_b32 exec_lo, exec_lo, s2
	s_cbranch_execnz .LBB283_1064
.LBB283_1065:
	s_or_b32 exec_lo, exec_lo, s1
	v_dual_mov_b32 v61, v13 :: v_dual_bitop2_b32 v55, 3, v13 bitop3:0x40
	v_dual_mov_b32 v2, 0 :: v_dual_mov_b32 v5, 0
	v_dual_mov_b32 v4, 0 :: v_dual_mov_b32 v21, 0
	;; [unrolled: 1-line block ×7, first 2 shown]
	v_mov_b32_e32 v36, 0
	s_wait_dscnt 0x0
	s_barrier_signal -1
	s_barrier_wait -1
	s_and_saveexec_b32 s1, s0
	s_cbranch_execz .LBB283_2127
; %bb.1066:
	s_clause 0x3
	scratch_load_b32 v0, off, s32 offset:412 th:TH_LOAD_LU
	scratch_load_b32 v4, off, s32 offset:208
	scratch_load_b64 v[62:63], off, s32 offset:440
	scratch_load_b32 v10, off, s32 offset:408
	v_dual_mov_b32 v37, 0 :: v_dual_mov_b32 v30, 0
	v_dual_mov_b32 v31, 0 :: v_dual_mov_b32 v32, 0
	;; [unrolled: 1-line block ×6, first 2 shown]
	s_mov_b64 s[2:3], 0xffffffffffffff
	s_mov_b32 s8, 0
	v_dual_lshlrev_b32 v3, 3, v61 :: v_dual_mov_b32 v7, 0
	v_mov_b32_e32 v36, 0
	s_delay_alu instid0(VALU_DEP_2) | instskip(NEXT) | instid1(VALU_DEP_3)
	v_and_b32_e32 v6, 0xf8, v3
	v_dual_mov_b32 v15, v7 :: v_dual_bitop2_b32 v67, 24, v3 bitop3:0x40
	s_wait_loadcnt 0x3
	v_dual_mov_b32 v3, 0 :: v_dual_max_i32 v64, v0, v18
	s_wait_loadcnt 0x2
	v_dual_add_nc_u32 v65, -1, v4 :: v_dual_lshlrev_b32 v8, 5, v55
	s_wait_loadcnt 0x0
	v_mov_b32_e32 v66, v10
	v_cvt_f32_u32_e32 v0, v64
	v_sub_nc_u32_e32 v4, 0, v64
	v_lshl_or_b32 v68, v10, 7, v8
	s_delay_alu instid0(VALU_DEP_3) | instskip(SKIP_3) | instid1(VALU_DEP_1)
	v_rcp_iflag_f32_e32 v2, v0
	scratch_load_b64 v[0:1], off, s32 offset:448 th:TH_LOAD_LU ; 8-byte Folded Reload
	v_nop
	v_dual_mov_b32 v13, v12 :: v_dual_mul_f32 v2, 0x4f7ffffe, v2
	v_cvt_u32_f32_e32 v9, v2
	s_delay_alu instid0(VALU_DEP_1) | instskip(SKIP_1) | instid1(VALU_DEP_2)
	v_mul_lo_u32 v2, v4, v9
	v_mov_b32_e32 v4, 0
	v_mul_hi_u32 v14, v9, v2
	s_delay_alu instid0(VALU_DEP_1) | instskip(SKIP_2) | instid1(VALU_DEP_1)
	v_dual_mov_b32 v2, 0 :: v_dual_add_nc_u32 v14, v9, v14
	s_wait_loadcnt 0x0
	v_add_nc_u64_e32 v[0:1], v[0:1], v[16:17]
	v_add_nc_u64_e32 v[26:27], v[0:1], v[6:7]
	scratch_load_b64 v[0:1], off, s32 offset:424 th:TH_LOAD_LU ; 8-byte Folded Reload
	v_and_b32_e32 v6, 0x7c, v11
	scratch_load_b64 v[10:11], off, s32 offset:416 th:TH_LOAD_LU ; 8-byte Folded Reload
	s_wait_loadcnt 0x1
	v_lshl_add_u64 v[0:1], v[0:1], 2, v[6:7]
	s_wait_loadcnt 0x0
	s_delay_alu instid0(VALU_DEP_1)
	v_add_nc_u64_e32 v[10:11], v[10:11], v[0:1]
	s_branch .LBB283_1069
.LBB283_1067:                           ;   in Loop: Header=BB283_1069 Depth=1
	s_or_b32 exec_lo, exec_lo, s0
	v_dual_add_f32 v8, v51, v52 :: v_dual_add_f32 v17, v57, v58
	v_dual_add_f32 v16, v59, v60 :: v_dual_add_f32 v19, v45, v46
	v_add_f32_e32 v18, v47, v56
	;;#ASMSTART
	v_pk_mul_f16 v9, v97, v9;

	;;#ASMEND
	s_delay_alu instid0(VALU_DEP_3) | instskip(NEXT) | instid1(VALU_DEP_3)
	v_dual_add_f32 v4, v4, v17 :: v_dual_add_f32 v2, v2, v8
	v_dual_add_f32 v8, v43, v44 :: v_dual_add_f32 v20, v20, v19
	v_add_f32_e32 v5, v5, v16
	v_add_f32_e32 v16, v119, v40
	;;#ASMSTART
	v_pk_mul_f16 v6, v87, v6;

	;;#ASMEND
	s_delay_alu instid0(VALU_DEP_3)
	v_add_f32_e32 v25, v25, v8
	v_add_f32_e32 v8, v41, v42
	;;#ASMSTART
	v_pk_mul_f16 v1, v86, v1;

	;;#ASMEND
	;;#ASMSTART
	v_pk_mul_f16 v0, v85, v0;

	;;#ASMEND
	;;#ASMSTART
	v_pk_add_f16 v6, v9, v6;

	;;#ASMEND
	;;#ASMSTART
	v_pk_add_f16 v1, v6, v1;
	;; [unrolled: 4-line block ×3, first 2 shown]

	;;#ASMEND
	v_and_b32_e32 v9, 0xffff, v0
	v_add_f32_e32 v35, v35, v16
	v_dual_lshrrev_b32 v16, 16, v0 :: v_dual_add_f32 v6, v96, v98
	;;#ASMSTART
	v_cvt_f32_f16 v9, v9;
	;;#ASMEND
	v_add_f32_e32 v21, v21, v18
	v_dual_add_f32 v17, v117, v118 :: v_dual_add_f32 v18, v115, v116
	v_dual_add_f32 v19, v113, v114 :: v_dual_add_f32 v24, v24, v8
	;; [unrolled: 1-line block ×4, first 2 shown]
	;;#ASMSTART
	v_cvt_f32_f16 v16, v16;
	;;#ASMEND
	v_dual_add_f32 v9, v9, v16 :: v_dual_add_f32 v34, v34, v17
	v_dual_add_f32 v33, v33, v18 :: v_dual_add_f32 v32, v32, v19
	s_delay_alu instid0(VALU_DEP_3) | instskip(NEXT) | instid1(VALU_DEP_3)
	v_dual_add_f32 v31, v31, v8 :: v_dual_add_f32 v37, v37, v1
	v_dual_add_f32 v30, v30, v0 :: v_dual_add_f32 v3, v3, v9
.LBB283_1068:                           ;   in Loop: Header=BB283_1069 Depth=1
	s_or_b32 exec_lo, exec_lo, s9
	scratch_load_b32 v0, off, s32 offset:208 ; 4-byte Folded Reload
	v_add_nc_u32_e32 v66, 4, v66
	v_add_nc_u64_e32 v[10:11], 16, v[10:11]
	v_add_nc_u32_e32 v62, 0x80, v62
	v_add_nc_u32_e32 v68, 0x200, v68
	s_wait_loadcnt 0x0
	v_cmp_ge_i32_e32 vcc_lo, v66, v0
	s_or_b32 s8, vcc_lo, s8
	s_delay_alu instid0(SALU_CYCLE_1)
	s_and_not1_b32 exec_lo, exec_lo, s8
	s_cbranch_execz .LBB283_2126
.LBB283_1069:                           ; =>This Inner Loop Header: Depth=1
	scratch_load_b64 v[0:1], off, s32 offset:216 ; 8-byte Folded Reload
	v_mov_b32_e32 v63, v7
	s_delay_alu instid0(VALU_DEP_1) | instskip(NEXT) | instid1(VALU_DEP_1)
	v_mov_b64_e32 v[8:9], v[62:63]
	v_mov_b32_e32 v62, v8
	s_wait_loadcnt 0x0
	s_delay_alu instid0(VALU_DEP_2) | instskip(SKIP_4) | instid1(VALU_DEP_1)
	v_mul_u64_e32 v[0:1], v[8:9], v[0:1]
	scratch_load_b32 v9, off, s32 offset:212 ; 4-byte Folded Reload
	v_add_nc_u32_e32 v6, 1, v1
	s_wait_loadcnt 0x0
	v_mul_lo_u32 v0, v1, v9
	v_sub_nc_u32_e32 v0, v8, v0
	s_delay_alu instid0(VALU_DEP_1) | instskip(SKIP_1) | instid1(VALU_DEP_1)
	v_cmp_ge_u32_e32 vcc_lo, v0, v9
	v_dual_cndmask_b32 v1, v1, v6 :: v_dual_sub_nc_u32 v8, v0, v9
	v_dual_cndmask_b32 v0, v0, v8, vcc_lo :: v_dual_add_nc_u32 v6, 1, v1
	s_delay_alu instid0(VALU_DEP_1) | instskip(NEXT) | instid1(VALU_DEP_2)
	v_cmp_ge_u32_e32 vcc_lo, v0, v9
	v_cndmask_b32_e32 v0, v1, v6, vcc_lo
	scratch_load_b32 v1, off, s32 offset:224 ; 4-byte Folded Reload
	s_wait_loadcnt 0x0
	v_xor_b32_e32 v0, v0, v1
	s_delay_alu instid0(VALU_DEP_1) | instskip(SKIP_3) | instid1(VALU_DEP_1)
	v_sub_nc_u32_e32 v8, v0, v1
	scratch_load_b32 v0, off, s32 offset:228 ; 4-byte Folded Reload
	s_wait_loadcnt 0x0
	v_add_nc_u32_e32 v9, v8, v0
	v_sub_nc_u32_e32 v0, 0, v9
	s_delay_alu instid0(VALU_DEP_1) | instskip(NEXT) | instid1(VALU_DEP_1)
	v_max_i32_e32 v6, v9, v0
	v_mul_u64_e32 v[0:1], v[6:7], v[14:15]
	s_delay_alu instid0(VALU_DEP_1) | instskip(NEXT) | instid1(VALU_DEP_1)
	v_mul_lo_u32 v0, v1, v64
	v_dual_sub_nc_u32 v0, v6, v0 :: v_dual_ashrrev_i32 v6, 31, v9
	s_delay_alu instid0(VALU_DEP_1) | instskip(SKIP_1) | instid1(VALU_DEP_2)
	v_sub_nc_u32_e32 v1, v0, v64
	v_cmp_ge_u32_e32 vcc_lo, v0, v64
	v_cndmask_b32_e32 v0, v0, v1, vcc_lo
	s_delay_alu instid0(VALU_DEP_1) | instskip(SKIP_1) | instid1(VALU_DEP_2)
	v_sub_nc_u32_e32 v1, v0, v64
	v_cmp_ge_u32_e32 vcc_lo, v0, v64
	v_cndmask_b32_e32 v0, v0, v1, vcc_lo
	s_delay_alu instid0(VALU_DEP_1) | instskip(NEXT) | instid1(VALU_DEP_1)
	v_xor_b32_e32 v0, v0, v6
	v_sub_nc_u32_e32 v0, v0, v6
	s_delay_alu instid0(VALU_DEP_1) | instskip(SKIP_4) | instid1(SALU_CYCLE_1)
	v_cmp_eq_u32_e32 vcc_lo, 0, v0
	scratch_load_b32 v0, off, s32 offset:232 ; 4-byte Folded Reload
	s_wait_loadcnt 0x0
	v_cmp_gt_i32_e64 s0, v8, v0
	s_or_b32 s0, vcc_lo, s0
	s_and_saveexec_b32 s9, s0
	s_cbranch_execz .LBB283_1068
; %bb.1070:                             ;   in Loop: Header=BB283_1069 Depth=1
	s_load_b32 s0, s[6:7], 0x0
	flat_load_b32 v0, v[10:11]
	s_wait_kmcnt 0x0
	v_add_nc_u32_e32 v1, s0, v68
	s_mov_b32 s0, exec_lo
	ds_load_2addr_b64 v[16:19], v1 offset1:1
	ds_load_2addr_b64 v[48:51], v1 offset0:2 offset1:3
	scratch_load_b64 v[8:9], off, s32 offset:352 ; 8-byte Folded Reload
	s_wait_dscnt 0x1
	;;#ASMSTART
	v_cvt_f16_f32 v87, v16;

	;;#ASMEND
	;;#ASMSTART
	v_cvt_f16_f32 v85, v17;

	;;#ASMEND
	;; [unrolled: 4-line block ×4, first 2 shown]
	s_wait_dscnt 0x0
	;;#ASMSTART
	v_cvt_f16_f32 v99, v48;

	;;#ASMEND
	;;#ASMSTART
	v_cvt_f16_f32 v96, v49;

	;;#ASMEND
	;; [unrolled: 4-line block ×4, first 2 shown]
	s_wait_loadcnt 0x0
	v_mad_nc_i64_i32 v[28:29], v0, v8, v[26:27]
	v_mov_b32_e32 v8, 0
	flat_load_b64 v[48:49], v[28:29]
	scratch_load_b64 v[0:1], off, s32 offset:192 ; 8-byte Folded Reload
	s_wait_loadcnt 0x0
	flat_load_b32 v38, v[0:1]
	s_wait_dscnt 0x1
	s_wait_xcnt 0x0
	v_and_b32_e32 v0, 0xff, v48
	v_mov_b32_e32 v1, 0
	s_delay_alu instid0(VALU_DEP_2)
	v_cmpx_ne_u16_e32 0, v0
	s_cbranch_execz .LBB283_1078
; %bb.1071:                             ;   in Loop: Header=BB283_1069 Depth=1
	v_mov_b32_e32 v8, 0x8000
	s_mov_b32 s14, exec_lo
	v_cmpx_ne_u16_e32 0x80, v0
	s_cbranch_execz .LBB283_1077
; %bb.1072:                             ;   in Loop: Header=BB283_1069 Depth=1
	v_and_b32_e32 v9, 0x7f, v48
	v_mov_b32_e32 v8, 0x7c01
	s_mov_b32 s15, exec_lo
	s_delay_alu instid0(VALU_DEP_2)
	v_cmpx_ne_u32_e32 0x7f, v9
	s_cbranch_execz .LBB283_1076
; %bb.1073:                             ;   in Loop: Header=BB283_1069 Depth=1
	v_dual_lshrrev_b32 v6, 3, v9 :: v_dual_bitop2_b32 v0, 7, v48 bitop3:0x40
	s_mov_b32 s16, exec_lo
	v_cmpx_gt_u32_e32 8, v9
; %bb.1074:                             ;   in Loop: Header=BB283_1069 Depth=1
	s_delay_alu instid0(VALU_DEP_2) | instskip(NEXT) | instid1(VALU_DEP_1)
	v_clz_i32_u32_e32 v0, v0
	v_min_u32_e32 v0, 32, v0
	s_delay_alu instid0(VALU_DEP_1) | instskip(NEXT) | instid1(VALU_DEP_1)
	v_subrev_nc_u32_e32 v6, 28, v0
	v_lshlrev_b64_e32 v[8:9], v6, v[48:49]
	v_sub_nc_u32_e32 v6, 29, v0
	s_delay_alu instid0(VALU_DEP_2)
	v_and_b32_e32 v0, 7, v8
; %bb.1075:                             ;   in Loop: Header=BB283_1069 Depth=1
	s_or_b32 exec_lo, exec_lo, s16
	v_lshlrev_b32_e32 v8, 8, v48
	s_delay_alu instid0(VALU_DEP_3) | instskip(NEXT) | instid1(VALU_DEP_3)
	v_lshl_add_u32 v6, v6, 10, 0x2000
	v_lshlrev_b32_e32 v0, 7, v0
	s_delay_alu instid0(VALU_DEP_3) | instskip(NEXT) | instid1(VALU_DEP_3)
	v_and_b32_e32 v8, 0x8000, v8
	v_and_b32_e32 v6, 0xfc00, v6
	s_delay_alu instid0(VALU_DEP_1)
	v_or3_b32 v8, v8, v6, v0
.LBB283_1076:                           ;   in Loop: Header=BB283_1069 Depth=1
	s_or_b32 exec_lo, exec_lo, s15
.LBB283_1077:                           ;   in Loop: Header=BB283_1069 Depth=1
	s_delay_alu instid0(SALU_CYCLE_1)
	s_or_b32 exec_lo, exec_lo, s14
.LBB283_1078:                           ;   in Loop: Header=BB283_1069 Depth=1
	s_delay_alu instid0(SALU_CYCLE_1) | instskip(SKIP_2) | instid1(VALU_DEP_1)
	s_or_b32 exec_lo, exec_lo, s0
	v_lshrrev_b16 v6, 8, v48
	s_mov_b32 s0, exec_lo
	v_cmpx_ne_u16_e32 0, v6
	s_cbranch_execz .LBB283_1086
; %bb.1079:                             ;   in Loop: Header=BB283_1069 Depth=1
	v_bfrev_b32_e32 v1, 1
	s_mov_b32 s14, exec_lo
	v_cmpx_ne_u16_e32 0x80, v6
	s_cbranch_execz .LBB283_1085
; %bb.1080:                             ;   in Loop: Header=BB283_1069 Depth=1
	v_and_b32_e32 v0, 0xffff, v6
	v_mov_b32_e32 v1, 0x7c010000
	s_mov_b32 s15, exec_lo
	s_delay_alu instid0(VALU_DEP_2) | instskip(NEXT) | instid1(VALU_DEP_1)
	v_and_b32_e32 v16, 0x7f, v0
	v_cmpx_ne_u32_e32 0x7f, v16
	s_cbranch_execz .LBB283_1084
; %bb.1081:                             ;   in Loop: Header=BB283_1069 Depth=1
	v_and_b32_e32 v1, 7, v0
	v_lshrrev_b32_e32 v9, 3, v16
	s_mov_b32 s16, exec_lo
	v_cmpx_gt_u32_e32 8, v16
; %bb.1082:                             ;   in Loop: Header=BB283_1069 Depth=1
	s_delay_alu instid0(VALU_DEP_3) | instskip(NEXT) | instid1(VALU_DEP_1)
	v_clz_i32_u32_e32 v1, v1
	v_min_u32_e32 v1, 32, v1
	s_delay_alu instid0(VALU_DEP_1) | instskip(NEXT) | instid1(VALU_DEP_1)
	v_subrev_nc_u32_e32 v9, 28, v1
	v_lshlrev_b64_e32 v[16:17], v9, v[6:7]
	s_delay_alu instid0(VALU_DEP_1)
	v_dual_sub_nc_u32 v9, 29, v1 :: v_dual_bitop2_b32 v1, 7, v16 bitop3:0x40
; %bb.1083:                             ;   in Loop: Header=BB283_1069 Depth=1
	s_or_b32 exec_lo, exec_lo, s16
	s_delay_alu instid0(VALU_DEP_1) | instskip(NEXT) | instid1(VALU_DEP_2)
	v_dual_lshlrev_b32 v0, 8, v0 :: v_dual_lshlrev_b32 v1, 23, v1
	v_lshl_add_u32 v6, v9, 10, 0x2000
	s_delay_alu instid0(VALU_DEP_1) | instskip(NEXT) | instid1(VALU_DEP_1)
	v_and_or_b32 v0, 0x8000, v0, v6
	v_lshl_or_b32 v1, v0, 16, v1
.LBB283_1084:                           ;   in Loop: Header=BB283_1069 Depth=1
	s_or_b32 exec_lo, exec_lo, s15
.LBB283_1085:                           ;   in Loop: Header=BB283_1069 Depth=1
	s_delay_alu instid0(SALU_CYCLE_1)
	s_or_b32 exec_lo, exec_lo, s14
.LBB283_1086:                           ;   in Loop: Header=BB283_1069 Depth=1
	s_delay_alu instid0(SALU_CYCLE_1) | instskip(SKIP_3) | instid1(VALU_DEP_2)
	s_or_b32 exec_lo, exec_lo, s0
	v_dual_mov_b32 v9, 0 :: v_dual_lshrrev_b32 v0, 16, v48
	v_mov_b32_e32 v16, 0
	s_mov_b32 s0, exec_lo
	v_and_b32_e32 v6, 0xff, v0
	s_delay_alu instid0(VALU_DEP_1)
	v_cmpx_ne_u16_e32 0, v6
	s_cbranch_execz .LBB283_1094
; %bb.1087:                             ;   in Loop: Header=BB283_1069 Depth=1
	v_mov_b32_e32 v16, 0x8000
	s_mov_b32 s14, exec_lo
	v_cmpx_ne_u16_e32 0x80, v6
	s_cbranch_execz .LBB283_1093
; %bb.1088:                             ;   in Loop: Header=BB283_1069 Depth=1
	v_bfe_u32 v17, v48, 16, 7
	v_mov_b32_e32 v16, 0x7c01
	s_mov_b32 s15, exec_lo
	s_delay_alu instid0(VALU_DEP_2)
	v_cmpx_ne_u32_e32 0x7f, v17
	s_cbranch_execz .LBB283_1092
; %bb.1089:                             ;   in Loop: Header=BB283_1069 Depth=1
	v_dual_lshrrev_b32 v16, 3, v17 :: v_dual_bitop2_b32 v6, 7, v0 bitop3:0x40
	s_mov_b32 s16, exec_lo
	v_cmpx_gt_u32_e32 8, v17
; %bb.1090:                             ;   in Loop: Header=BB283_1069 Depth=1
	s_delay_alu instid0(VALU_DEP_2) | instskip(NEXT) | instid1(VALU_DEP_1)
	v_clz_i32_u32_e32 v6, v6
	v_min_u32_e32 v6, 32, v6
	s_delay_alu instid0(VALU_DEP_1) | instskip(NEXT) | instid1(VALU_DEP_1)
	v_subrev_nc_u32_e32 v16, 28, v6
	v_lshlrev_b64_e32 v[18:19], v16, v[0:1]
	v_sub_nc_u32_e32 v16, 29, v6
	s_delay_alu instid0(VALU_DEP_2)
	v_and_b32_e32 v6, 7, v18
; %bb.1091:                             ;   in Loop: Header=BB283_1069 Depth=1
	s_or_b32 exec_lo, exec_lo, s16
	s_delay_alu instid0(VALU_DEP_1) | instskip(NEXT) | instid1(VALU_DEP_3)
	v_dual_lshlrev_b32 v0, 8, v0 :: v_dual_lshlrev_b32 v6, 7, v6
	v_lshl_add_u32 v16, v16, 10, 0x2000
	s_delay_alu instid0(VALU_DEP_2) | instskip(NEXT) | instid1(VALU_DEP_2)
	v_and_b32_e32 v0, 0x8000, v0
	v_and_b32_e32 v16, 0xfc00, v16
	s_delay_alu instid0(VALU_DEP_1)
	v_or3_b32 v16, v0, v16, v6
.LBB283_1092:                           ;   in Loop: Header=BB283_1069 Depth=1
	s_or_b32 exec_lo, exec_lo, s15
.LBB283_1093:                           ;   in Loop: Header=BB283_1069 Depth=1
	s_delay_alu instid0(SALU_CYCLE_1)
	s_or_b32 exec_lo, exec_lo, s14
.LBB283_1094:                           ;   in Loop: Header=BB283_1069 Depth=1
	s_delay_alu instid0(SALU_CYCLE_1) | instskip(NEXT) | instid1(SALU_CYCLE_1)
	s_or_b32 exec_lo, exec_lo, s0
	s_mov_b32 s0, exec_lo
	v_cmpx_lt_u32_e32 0xffffff, v48
	s_cbranch_execz .LBB283_1102
; %bb.1095:                             ;   in Loop: Header=BB283_1069 Depth=1
	v_lshrrev_b32_e32 v6, 24, v48
	v_bfrev_b32_e32 v9, 1
	s_mov_b32 s14, exec_lo
	s_delay_alu instid0(VALU_DEP_2)
	v_cmpx_ne_u32_e32 0x80, v6
	s_cbranch_execz .LBB283_1101
; %bb.1096:                             ;   in Loop: Header=BB283_1069 Depth=1
	v_and_b32_e32 v17, 0x7f, v6
	v_mov_b32_e32 v9, 0x7c010000
	s_mov_b32 s15, exec_lo
	s_delay_alu instid0(VALU_DEP_2)
	v_cmpx_ne_u32_e32 0x7f, v17
	s_cbranch_execz .LBB283_1100
; %bb.1097:                             ;   in Loop: Header=BB283_1069 Depth=1
	v_dual_lshrrev_b32 v9, 3, v17 :: v_dual_bitop2_b32 v0, 7, v6 bitop3:0x40
	s_mov_b32 s16, exec_lo
	v_cmpx_gt_u32_e32 8, v17
; %bb.1098:                             ;   in Loop: Header=BB283_1069 Depth=1
	s_delay_alu instid0(VALU_DEP_2) | instskip(NEXT) | instid1(VALU_DEP_1)
	v_clz_i32_u32_e32 v0, v0
	v_min_u32_e32 v0, 32, v0
	s_delay_alu instid0(VALU_DEP_1) | instskip(NEXT) | instid1(VALU_DEP_1)
	v_subrev_nc_u32_e32 v9, 28, v0
	v_lshlrev_b64_e32 v[18:19], v9, v[6:7]
	s_delay_alu instid0(VALU_DEP_1)
	v_dual_sub_nc_u32 v9, 29, v0 :: v_dual_bitop2_b32 v0, 7, v18 bitop3:0x40
; %bb.1099:                             ;   in Loop: Header=BB283_1069 Depth=1
	s_or_b32 exec_lo, exec_lo, s16
	s_delay_alu instid0(VALU_DEP_1) | instskip(NEXT) | instid1(VALU_DEP_2)
	v_dual_lshlrev_b32 v6, 8, v6 :: v_dual_lshlrev_b32 v0, 23, v0
	v_lshl_add_u32 v9, v9, 10, 0x2000
	s_delay_alu instid0(VALU_DEP_1) | instskip(NEXT) | instid1(VALU_DEP_1)
	v_and_or_b32 v6, 0x8000, v6, v9
	v_lshl_or_b32 v9, v6, 16, v0
.LBB283_1100:                           ;   in Loop: Header=BB283_1069 Depth=1
	s_or_b32 exec_lo, exec_lo, s15
.LBB283_1101:                           ;   in Loop: Header=BB283_1069 Depth=1
	s_delay_alu instid0(SALU_CYCLE_1)
	s_or_b32 exec_lo, exec_lo, s14
.LBB283_1102:                           ;   in Loop: Header=BB283_1069 Depth=1
	s_delay_alu instid0(SALU_CYCLE_1) | instskip(SKIP_4) | instid1(VALU_DEP_3)
	s_or_b32 exec_lo, exec_lo, s0
	v_and_b32_e32 v0, 0xff, v49
	v_dual_mov_b32 v6, v49 :: v_dual_mov_b32 v18, 0
	v_mov_b32_e32 v17, 0
	s_mov_b32 s0, exec_lo
	v_cmpx_ne_u16_e32 0, v0
	s_cbranch_execz .LBB283_1110
; %bb.1103:                             ;   in Loop: Header=BB283_1069 Depth=1
	v_mov_b32_e32 v17, 0x8000
	s_mov_b32 s14, exec_lo
	v_cmpx_ne_u16_e32 0x80, v0
	s_cbranch_execz .LBB283_1109
; %bb.1104:                             ;   in Loop: Header=BB283_1069 Depth=1
	v_and_b32_e32 v19, 0x7f, v49
	v_mov_b32_e32 v17, 0x7c01
	s_mov_b32 s15, exec_lo
	s_delay_alu instid0(VALU_DEP_2)
	v_cmpx_ne_u32_e32 0x7f, v19
	s_cbranch_execz .LBB283_1108
; %bb.1105:                             ;   in Loop: Header=BB283_1069 Depth=1
	v_dual_lshrrev_b32 v17, 3, v19 :: v_dual_bitop2_b32 v0, 7, v49 bitop3:0x40
	s_mov_b32 s16, exec_lo
	v_cmpx_gt_u32_e32 8, v19
; %bb.1106:                             ;   in Loop: Header=BB283_1069 Depth=1
	s_delay_alu instid0(VALU_DEP_2) | instskip(NEXT) | instid1(VALU_DEP_1)
	v_clz_i32_u32_e32 v0, v0
	v_min_u32_e32 v0, 32, v0
	s_delay_alu instid0(VALU_DEP_1) | instskip(NEXT) | instid1(VALU_DEP_1)
	v_subrev_nc_u32_e32 v17, 28, v0
	v_lshlrev_b64_e32 v[22:23], v17, v[6:7]
	s_delay_alu instid0(VALU_DEP_1)
	v_dual_sub_nc_u32 v17, 29, v0 :: v_dual_bitop2_b32 v0, 7, v22 bitop3:0x40
; %bb.1107:                             ;   in Loop: Header=BB283_1069 Depth=1
	s_or_b32 exec_lo, exec_lo, s16
	s_delay_alu instid0(VALU_DEP_1) | instskip(NEXT) | instid1(VALU_DEP_2)
	v_dual_lshlrev_b32 v19, 8, v49 :: v_dual_lshlrev_b32 v0, 7, v0
	v_lshl_add_u32 v17, v17, 10, 0x2000
	s_delay_alu instid0(VALU_DEP_2) | instskip(NEXT) | instid1(VALU_DEP_2)
	v_and_b32_e32 v19, 0x8000, v19
	v_and_b32_e32 v17, 0xfc00, v17
	s_delay_alu instid0(VALU_DEP_1)
	v_or3_b32 v17, v19, v17, v0
.LBB283_1108:                           ;   in Loop: Header=BB283_1069 Depth=1
	s_or_b32 exec_lo, exec_lo, s15
.LBB283_1109:                           ;   in Loop: Header=BB283_1069 Depth=1
	s_delay_alu instid0(SALU_CYCLE_1)
	s_or_b32 exec_lo, exec_lo, s14
.LBB283_1110:                           ;   in Loop: Header=BB283_1069 Depth=1
	s_delay_alu instid0(SALU_CYCLE_1) | instskip(SKIP_3) | instid1(VALU_DEP_2)
	s_or_b32 exec_lo, exec_lo, s0
	v_lshrrev_b16 v6, 8, v6
	v_mov_b32_e32 v19, 0
	s_mov_b32 s0, exec_lo
	v_cmpx_ne_u16_e32 0, v6
	s_cbranch_execz .LBB283_1118
; %bb.1111:                             ;   in Loop: Header=BB283_1069 Depth=1
	v_bfrev_b32_e32 v19, 1
	s_mov_b32 s14, exec_lo
	v_cmpx_ne_u16_e32 0x80, v6
	s_cbranch_execz .LBB283_1117
; %bb.1112:                             ;   in Loop: Header=BB283_1069 Depth=1
	v_and_b32_e32 v0, 0xffff, v6
	v_mov_b32_e32 v19, 0x7c010000
	s_mov_b32 s15, exec_lo
	s_delay_alu instid0(VALU_DEP_2) | instskip(NEXT) | instid1(VALU_DEP_1)
	v_and_b32_e32 v23, 0x7f, v0
	v_cmpx_ne_u32_e32 0x7f, v23
	s_cbranch_execz .LBB283_1116
; %bb.1113:                             ;   in Loop: Header=BB283_1069 Depth=1
	v_dual_lshrrev_b32 v22, 3, v23 :: v_dual_bitop2_b32 v19, 7, v0 bitop3:0x40
	s_mov_b32 s16, exec_lo
	v_cmpx_gt_u32_e32 8, v23
; %bb.1114:                             ;   in Loop: Header=BB283_1069 Depth=1
	s_delay_alu instid0(VALU_DEP_2) | instskip(NEXT) | instid1(VALU_DEP_1)
	v_clz_i32_u32_e32 v19, v19
	v_min_u32_e32 v19, 32, v19
	s_delay_alu instid0(VALU_DEP_1) | instskip(NEXT) | instid1(VALU_DEP_1)
	v_subrev_nc_u32_e32 v22, 28, v19
	v_lshlrev_b64_e32 v[50:51], v22, v[6:7]
	s_delay_alu instid0(VALU_DEP_1)
	v_dual_sub_nc_u32 v22, 29, v19 :: v_dual_bitop2_b32 v19, 7, v50 bitop3:0x40
; %bb.1115:                             ;   in Loop: Header=BB283_1069 Depth=1
	s_or_b32 exec_lo, exec_lo, s16
	v_lshlrev_b32_e32 v0, 8, v0
	s_delay_alu instid0(VALU_DEP_2) | instskip(NEXT) | instid1(VALU_DEP_1)
	v_lshl_add_u32 v6, v22, 10, 0x2000
	v_and_or_b32 v0, 0x8000, v0, v6
	v_lshlrev_b32_e32 v6, 23, v19
	s_delay_alu instid0(VALU_DEP_1)
	v_lshl_or_b32 v19, v0, 16, v6
.LBB283_1116:                           ;   in Loop: Header=BB283_1069 Depth=1
	s_or_b32 exec_lo, exec_lo, s15
.LBB283_1117:                           ;   in Loop: Header=BB283_1069 Depth=1
	s_delay_alu instid0(SALU_CYCLE_1)
	s_or_b32 exec_lo, exec_lo, s14
.LBB283_1118:                           ;   in Loop: Header=BB283_1069 Depth=1
	s_delay_alu instid0(SALU_CYCLE_1) | instskip(SKIP_2) | instid1(VALU_DEP_1)
	s_or_b32 exec_lo, exec_lo, s0
	v_lshrrev_b32_e32 v0, 16, v49
	s_mov_b32 s0, exec_lo
	v_and_b32_e32 v6, 0xff, v0
	s_delay_alu instid0(VALU_DEP_1)
	v_cmpx_ne_u16_e32 0, v6
	s_cbranch_execz .LBB283_1126
; %bb.1119:                             ;   in Loop: Header=BB283_1069 Depth=1
	v_mov_b32_e32 v18, 0x8000
	s_mov_b32 s14, exec_lo
	v_cmpx_ne_u16_e32 0x80, v6
	s_cbranch_execz .LBB283_1125
; %bb.1120:                             ;   in Loop: Header=BB283_1069 Depth=1
	v_bfe_u32 v22, v49, 16, 7
	v_mov_b32_e32 v18, 0x7c01
	s_mov_b32 s15, exec_lo
	s_delay_alu instid0(VALU_DEP_2)
	v_cmpx_ne_u32_e32 0x7f, v22
	s_cbranch_execz .LBB283_1124
; %bb.1121:                             ;   in Loop: Header=BB283_1069 Depth=1
	v_dual_lshrrev_b32 v18, 3, v22 :: v_dual_bitop2_b32 v6, 7, v0 bitop3:0x40
	s_mov_b32 s16, exec_lo
	v_cmpx_gt_u32_e32 8, v22
; %bb.1122:                             ;   in Loop: Header=BB283_1069 Depth=1
	s_delay_alu instid0(VALU_DEP_2) | instskip(NEXT) | instid1(VALU_DEP_1)
	v_clz_i32_u32_e32 v6, v6
	v_min_u32_e32 v6, 32, v6
	s_delay_alu instid0(VALU_DEP_1) | instskip(NEXT) | instid1(VALU_DEP_1)
	v_subrev_nc_u32_e32 v18, 28, v6
	v_lshlrev_b64_e32 v[22:23], v18, v[0:1]
	v_sub_nc_u32_e32 v18, 29, v6
	s_delay_alu instid0(VALU_DEP_2)
	v_and_b32_e32 v6, 7, v22
; %bb.1123:                             ;   in Loop: Header=BB283_1069 Depth=1
	s_or_b32 exec_lo, exec_lo, s16
	s_delay_alu instid0(VALU_DEP_1) | instskip(NEXT) | instid1(VALU_DEP_3)
	v_dual_lshlrev_b32 v0, 8, v0 :: v_dual_lshlrev_b32 v6, 7, v6
	v_lshl_add_u32 v18, v18, 10, 0x2000
	s_delay_alu instid0(VALU_DEP_2) | instskip(NEXT) | instid1(VALU_DEP_2)
	v_and_b32_e32 v0, 0x8000, v0
	v_and_b32_e32 v18, 0xfc00, v18
	s_delay_alu instid0(VALU_DEP_1)
	v_or3_b32 v18, v0, v18, v6
.LBB283_1124:                           ;   in Loop: Header=BB283_1069 Depth=1
	s_or_b32 exec_lo, exec_lo, s15
.LBB283_1125:                           ;   in Loop: Header=BB283_1069 Depth=1
	s_delay_alu instid0(SALU_CYCLE_1)
	s_or_b32 exec_lo, exec_lo, s14
.LBB283_1126:                           ;   in Loop: Header=BB283_1069 Depth=1
	s_delay_alu instid0(SALU_CYCLE_1)
	s_or_b32 exec_lo, exec_lo, s0
	v_mov_b32_e32 v0, 0
	s_mov_b32 s0, exec_lo
	v_cmpx_lt_u64_e64 s[2:3], v[48:49]
	s_cbranch_execz .LBB283_1134
; %bb.1127:                             ;   in Loop: Header=BB283_1069 Depth=1
	v_lshrrev_b32_e32 v6, 24, v49
	v_bfrev_b32_e32 v0, 1
	s_mov_b32 s14, exec_lo
	s_delay_alu instid0(VALU_DEP_2)
	v_cmpx_ne_u32_e32 0x80, v6
	s_cbranch_execz .LBB283_1133
; %bb.1128:                             ;   in Loop: Header=BB283_1069 Depth=1
	v_and_b32_e32 v23, 0x7f, v6
	v_mov_b32_e32 v0, 0x7c010000
	s_mov_b32 s15, exec_lo
	s_delay_alu instid0(VALU_DEP_2)
	v_cmpx_ne_u32_e32 0x7f, v23
	s_cbranch_execz .LBB283_1132
; %bb.1129:                             ;   in Loop: Header=BB283_1069 Depth=1
	v_dual_lshrrev_b32 v22, 3, v23 :: v_dual_bitop2_b32 v0, 7, v6 bitop3:0x40
	s_mov_b32 s16, exec_lo
	v_cmpx_gt_u32_e32 8, v23
; %bb.1130:                             ;   in Loop: Header=BB283_1069 Depth=1
	s_delay_alu instid0(VALU_DEP_2) | instskip(NEXT) | instid1(VALU_DEP_1)
	v_clz_i32_u32_e32 v0, v0
	v_min_u32_e32 v0, 32, v0
	s_delay_alu instid0(VALU_DEP_1) | instskip(NEXT) | instid1(VALU_DEP_1)
	v_subrev_nc_u32_e32 v22, 28, v0
	v_lshlrev_b64_e32 v[48:49], v22, v[6:7]
	v_sub_nc_u32_e32 v22, 29, v0
	s_delay_alu instid0(VALU_DEP_2)
	v_and_b32_e32 v0, 7, v48
; %bb.1131:                             ;   in Loop: Header=BB283_1069 Depth=1
	s_or_b32 exec_lo, exec_lo, s16
	s_delay_alu instid0(VALU_DEP_1) | instskip(NEXT) | instid1(VALU_DEP_3)
	v_dual_lshlrev_b32 v6, 8, v6 :: v_dual_lshlrev_b32 v0, 23, v0
	v_lshl_add_u32 v22, v22, 10, 0x2000
	s_delay_alu instid0(VALU_DEP_1) | instskip(NEXT) | instid1(VALU_DEP_1)
	v_and_or_b32 v6, 0x8000, v6, v22
	v_lshl_or_b32 v0, v6, 16, v0
.LBB283_1132:                           ;   in Loop: Header=BB283_1069 Depth=1
	s_or_b32 exec_lo, exec_lo, s15
.LBB283_1133:                           ;   in Loop: Header=BB283_1069 Depth=1
	s_delay_alu instid0(SALU_CYCLE_1)
	s_or_b32 exec_lo, exec_lo, s14
.LBB283_1134:                           ;   in Loop: Header=BB283_1069 Depth=1
	s_delay_alu instid0(SALU_CYCLE_1) | instskip(SKIP_3) | instid1(VALU_DEP_3)
	s_or_b32 exec_lo, exec_lo, s0
	v_dual_lshrrev_b32 v6, 16, v1 :: v_dual_bitop2_b32 v1, v1, v8 bitop3:0x54
	v_dual_lshrrev_b32 v22, 16, v9 :: v_dual_bitop2_b32 v16, v9, v16 bitop3:0x54
	v_cmp_eq_u32_e32 vcc_lo, v65, v66
	v_cvt_f32_f16_e32 v9, v6
	v_dual_lshrrev_b32 v18, 16, v19 :: v_dual_bitop2_b32 v6, v0, v18 bitop3:0x54
	s_delay_alu instid0(VALU_DEP_4)
	v_cvt_f32_f16_e32 v8, v22
	v_dual_lshrrev_b32 v22, 16, v0 :: v_dual_bitop2_b32 v19, v19, v17 bitop3:0x54
	v_cvt_f32_f16_e32 v0, v16
	v_cvt_f32_f16_e32 v1, v1
	s_wait_loadcnt_dscnt 0x0
	v_pk_mul_f32 v[8:9], v[38:39], v[8:9] op_sel_hi:[0,1]
	v_cvt_f32_f16_e32 v17, v18
	v_cvt_f32_f16_e32 v16, v22
	;; [unrolled: 1-line block ×4, first 2 shown]
	v_pk_mul_f32 v[0:1], v[38:39], v[0:1] op_sel_hi:[0,1]
	v_cvt_pk_f16_f32 v6, v8, v9
	v_pk_mul_f32 v[8:9], v[38:39], v[16:17] op_sel_hi:[0,1]
	s_delay_alu instid0(VALU_DEP_4) | instskip(NEXT) | instid1(VALU_DEP_4)
	v_pk_mul_f32 v[16:17], v[38:39], v[18:19] op_sel_hi:[0,1]
	v_cvt_pk_f16_f32 v0, v0, v1
	s_delay_alu instid0(VALU_DEP_4) | instskip(NEXT) | instid1(VALU_DEP_4)
	v_and_b32_e32 v49, 0xffff0000, v6
	v_cvt_pk_f16_f32 v8, v8, v9
	v_lshlrev_b32_e32 v50, 16, v6
	v_cvt_pk_f16_f32 v6, v16, v17
	v_dual_add_nc_u32 v69, v67, v62 :: v_dual_lshrrev_b32 v51, 16, v0
	v_and_b32_e32 v52, 0xffff, v0
	v_and_b32_e32 v1, 0xffff0000, v8
	s_delay_alu instid0(VALU_DEP_4) | instskip(NEXT) | instid1(VALU_DEP_4)
	v_dual_lshlrev_b32 v0, 16, v8 :: v_dual_lshrrev_b32 v39, 16, v6
	v_or_b32_e32 v19, v49, v51
	v_and_b32_e32 v48, 0xffff, v6
	v_dual_add_nc_u32 v84, 2, v69 :: v_dual_bitop2_b32 v38, v50, v52 bitop3:0x54
	s_delay_alu instid0(VALU_DEP_4) | instskip(SKIP_1) | instid1(VALU_DEP_4)
	v_or_b32_e32 v9, v1, v39
	v_or_b32_e32 v83, 1, v69
	;; [unrolled: 1-line block ×8, first 2 shown]
	s_and_saveexec_b32 s14, vcc_lo
	s_cbranch_execz .LBB283_1136
; %bb.1135:                             ;   in Loop: Header=BB283_1069 Depth=1
	v_cmp_lt_i32_e64 s0, v69, v13
	s_delay_alu instid0(VALU_DEP_1) | instskip(SKIP_1) | instid1(VALU_DEP_1)
	v_cndmask_b32_e64 v6, 0, v51, s0
	v_cmp_lt_i32_e64 s0, v84, v12
	v_cndmask_b32_e64 v8, 0, v52, s0
	v_cmp_lt_i32_e64 s0, v83, v13
	s_delay_alu instid0(VALU_DEP_1) | instskip(SKIP_1) | instid1(VALU_DEP_1)
	v_cndmask_b32_e64 v9, 0, v49, s0
	v_cmp_lt_i32_e64 s0, v82, v12
	v_cndmask_b32_e64 v16, 0, v50, s0
	v_cmp_lt_i32_e64 s0, v81, v13
	s_delay_alu instid0(VALU_DEP_4) | instskip(NEXT) | instid1(VALU_DEP_2)
	v_or_b32_e32 v19, v6, v9
	v_dual_cndmask_b32 v17, 0, v39, s0 :: v_dual_bitop2_b32 v38, v8, v16 bitop3:0x54
	v_cmp_lt_i32_e64 s0, v80, v12
	s_delay_alu instid0(VALU_DEP_1) | instskip(SKIP_1) | instid1(VALU_DEP_1)
	v_cndmask_b32_e64 v18, 0, v48, s0
	v_cmp_lt_i32_e64 s0, v71, v13
	v_cndmask_b32_e64 v1, 0, v1, s0
	v_cmp_lt_i32_e64 s0, v70, v12
	s_delay_alu instid0(VALU_DEP_1) | instskip(NEXT) | instid1(VALU_DEP_1)
	v_dual_cndmask_b32 v0, 0, v0, s0 :: v_dual_bitop2_b32 v9, v17, v1 bitop3:0x54
	v_or_b32_e32 v6, v18, v0
.LBB283_1136:                           ;   in Loop: Header=BB283_1069 Depth=1
	s_or_b32 exec_lo, exec_lo, s14
	v_and_b32_e32 v0, 0xffff, v87
	v_and_b32_e32 v1, 0xffff, v97
	v_and_b32_e32 v8, 0xffff, v99
	v_and_b32_e32 v16, 0xffff, v100
	s_mov_b32 s14, exec_lo
	v_lshl_or_b32 v97, v85, 16, v0
	;;#ASMSTART
	v_pk_mul_f16 v0, v97, v19;

	;;#ASMEND
	v_lshl_or_b32 v87, v86, 16, v1
	v_lshl_or_b32 v86, v96, 16, v8
	v_lshl_or_b32 v85, v98, 16, v16
	;;#ASMSTART
	v_pk_mul_f16 v1, v87, v38;

	;;#ASMEND
	;;#ASMSTART
	v_pk_mul_f16 v8, v86, v9;

	;;#ASMEND
	;; [unrolled: 4-line block ×3, first 2 shown]
	;;#ASMSTART
	v_pk_add_f16 v0, v0, v1;

	;;#ASMEND
	;;#ASMSTART
	v_pk_add_f16 v0, v0, v8;

	;;#ASMEND
	;; [unrolled: 4-line block ×3, first 2 shown]
	v_and_b32_e32 v1, 0xffff, v0
	v_lshrrev_b32_e32 v0, 16, v0
	;;#ASMSTART
	v_cvt_f32_f16 v96, v1;
	;;#ASMEND
	;;#ASMSTART
	v_cvt_f32_f16 v98, v0;
	;;#ASMEND
	flat_load_b64 v[48:49], v[28:29] offset:256
	scratch_load_b64 v[0:1], off, s32 offset:192 ; 8-byte Folded Reload
	v_mov_b32_e32 v8, 0
	s_wait_loadcnt 0x0
	flat_load_b32 v38, v[0:1]
	s_wait_dscnt 0x1
	s_wait_xcnt 0x0
	v_and_b32_e32 v0, 0xff, v48
	v_mov_b32_e32 v1, 0
	s_delay_alu instid0(VALU_DEP_2)
	v_cmpx_ne_u16_e32 0, v0
	s_cbranch_execz .LBB283_1144
; %bb.1137:                             ;   in Loop: Header=BB283_1069 Depth=1
	v_mov_b32_e32 v8, 0x8000
	s_mov_b32 s15, exec_lo
	v_cmpx_ne_u16_e32 0x80, v0
	s_cbranch_execz .LBB283_1143
; %bb.1138:                             ;   in Loop: Header=BB283_1069 Depth=1
	v_and_b32_e32 v9, 0x7f, v48
	v_mov_b32_e32 v8, 0x7c01
	s_mov_b32 s16, exec_lo
	s_delay_alu instid0(VALU_DEP_2)
	v_cmpx_ne_u32_e32 0x7f, v9
	s_cbranch_execz .LBB283_1142
; %bb.1139:                             ;   in Loop: Header=BB283_1069 Depth=1
	v_dual_lshrrev_b32 v6, 3, v9 :: v_dual_bitop2_b32 v0, 7, v48 bitop3:0x40
	s_mov_b32 s17, exec_lo
	v_cmpx_gt_u32_e32 8, v9
; %bb.1140:                             ;   in Loop: Header=BB283_1069 Depth=1
	s_delay_alu instid0(VALU_DEP_2) | instskip(NEXT) | instid1(VALU_DEP_1)
	v_clz_i32_u32_e32 v0, v0
	v_min_u32_e32 v0, 32, v0
	s_delay_alu instid0(VALU_DEP_1) | instskip(NEXT) | instid1(VALU_DEP_1)
	v_subrev_nc_u32_e32 v6, 28, v0
	v_lshlrev_b64_e32 v[8:9], v6, v[48:49]
	v_sub_nc_u32_e32 v6, 29, v0
	s_delay_alu instid0(VALU_DEP_2)
	v_and_b32_e32 v0, 7, v8
; %bb.1141:                             ;   in Loop: Header=BB283_1069 Depth=1
	s_or_b32 exec_lo, exec_lo, s17
	v_lshlrev_b32_e32 v8, 8, v48
	s_delay_alu instid0(VALU_DEP_3) | instskip(NEXT) | instid1(VALU_DEP_3)
	v_lshl_add_u32 v6, v6, 10, 0x2000
	v_lshlrev_b32_e32 v0, 7, v0
	s_delay_alu instid0(VALU_DEP_3) | instskip(NEXT) | instid1(VALU_DEP_3)
	v_and_b32_e32 v8, 0x8000, v8
	v_and_b32_e32 v6, 0xfc00, v6
	s_delay_alu instid0(VALU_DEP_1)
	v_or3_b32 v8, v8, v6, v0
.LBB283_1142:                           ;   in Loop: Header=BB283_1069 Depth=1
	s_or_b32 exec_lo, exec_lo, s16
.LBB283_1143:                           ;   in Loop: Header=BB283_1069 Depth=1
	s_delay_alu instid0(SALU_CYCLE_1)
	s_or_b32 exec_lo, exec_lo, s15
.LBB283_1144:                           ;   in Loop: Header=BB283_1069 Depth=1
	s_delay_alu instid0(SALU_CYCLE_1) | instskip(SKIP_2) | instid1(VALU_DEP_1)
	s_or_b32 exec_lo, exec_lo, s14
	v_lshrrev_b16 v6, 8, v48
	s_mov_b32 s14, exec_lo
	v_cmpx_ne_u16_e32 0, v6
	s_cbranch_execz .LBB283_1152
; %bb.1145:                             ;   in Loop: Header=BB283_1069 Depth=1
	v_bfrev_b32_e32 v1, 1
	s_mov_b32 s15, exec_lo
	v_cmpx_ne_u16_e32 0x80, v6
	s_cbranch_execz .LBB283_1151
; %bb.1146:                             ;   in Loop: Header=BB283_1069 Depth=1
	v_and_b32_e32 v0, 0xffff, v6
	v_mov_b32_e32 v1, 0x7c010000
	s_mov_b32 s16, exec_lo
	s_delay_alu instid0(VALU_DEP_2) | instskip(NEXT) | instid1(VALU_DEP_1)
	v_and_b32_e32 v16, 0x7f, v0
	v_cmpx_ne_u32_e32 0x7f, v16
	s_cbranch_execz .LBB283_1150
; %bb.1147:                             ;   in Loop: Header=BB283_1069 Depth=1
	v_and_b32_e32 v1, 7, v0
	v_lshrrev_b32_e32 v9, 3, v16
	s_mov_b32 s17, exec_lo
	v_cmpx_gt_u32_e32 8, v16
; %bb.1148:                             ;   in Loop: Header=BB283_1069 Depth=1
	s_delay_alu instid0(VALU_DEP_3) | instskip(NEXT) | instid1(VALU_DEP_1)
	v_clz_i32_u32_e32 v1, v1
	v_min_u32_e32 v1, 32, v1
	s_delay_alu instid0(VALU_DEP_1) | instskip(NEXT) | instid1(VALU_DEP_1)
	v_subrev_nc_u32_e32 v9, 28, v1
	v_lshlrev_b64_e32 v[16:17], v9, v[6:7]
	s_delay_alu instid0(VALU_DEP_1)
	v_dual_sub_nc_u32 v9, 29, v1 :: v_dual_bitop2_b32 v1, 7, v16 bitop3:0x40
; %bb.1149:                             ;   in Loop: Header=BB283_1069 Depth=1
	s_or_b32 exec_lo, exec_lo, s17
	s_delay_alu instid0(VALU_DEP_1) | instskip(NEXT) | instid1(VALU_DEP_2)
	v_dual_lshlrev_b32 v0, 8, v0 :: v_dual_lshlrev_b32 v1, 23, v1
	v_lshl_add_u32 v6, v9, 10, 0x2000
	s_delay_alu instid0(VALU_DEP_1) | instskip(NEXT) | instid1(VALU_DEP_1)
	v_and_or_b32 v0, 0x8000, v0, v6
	v_lshl_or_b32 v1, v0, 16, v1
.LBB283_1150:                           ;   in Loop: Header=BB283_1069 Depth=1
	s_or_b32 exec_lo, exec_lo, s16
.LBB283_1151:                           ;   in Loop: Header=BB283_1069 Depth=1
	s_delay_alu instid0(SALU_CYCLE_1)
	s_or_b32 exec_lo, exec_lo, s15
.LBB283_1152:                           ;   in Loop: Header=BB283_1069 Depth=1
	s_delay_alu instid0(SALU_CYCLE_1) | instskip(SKIP_3) | instid1(VALU_DEP_2)
	s_or_b32 exec_lo, exec_lo, s14
	v_dual_mov_b32 v9, 0 :: v_dual_lshrrev_b32 v0, 16, v48
	v_mov_b32_e32 v16, 0
	s_mov_b32 s14, exec_lo
	v_and_b32_e32 v6, 0xff, v0
	s_delay_alu instid0(VALU_DEP_1)
	v_cmpx_ne_u16_e32 0, v6
	s_cbranch_execz .LBB283_1160
; %bb.1153:                             ;   in Loop: Header=BB283_1069 Depth=1
	v_mov_b32_e32 v16, 0x8000
	s_mov_b32 s15, exec_lo
	v_cmpx_ne_u16_e32 0x80, v6
	s_cbranch_execz .LBB283_1159
; %bb.1154:                             ;   in Loop: Header=BB283_1069 Depth=1
	v_bfe_u32 v17, v48, 16, 7
	v_mov_b32_e32 v16, 0x7c01
	s_mov_b32 s16, exec_lo
	s_delay_alu instid0(VALU_DEP_2)
	v_cmpx_ne_u32_e32 0x7f, v17
	s_cbranch_execz .LBB283_1158
; %bb.1155:                             ;   in Loop: Header=BB283_1069 Depth=1
	v_dual_lshrrev_b32 v16, 3, v17 :: v_dual_bitop2_b32 v6, 7, v0 bitop3:0x40
	s_mov_b32 s17, exec_lo
	v_cmpx_gt_u32_e32 8, v17
; %bb.1156:                             ;   in Loop: Header=BB283_1069 Depth=1
	s_delay_alu instid0(VALU_DEP_2) | instskip(NEXT) | instid1(VALU_DEP_1)
	v_clz_i32_u32_e32 v6, v6
	v_min_u32_e32 v6, 32, v6
	s_delay_alu instid0(VALU_DEP_1) | instskip(NEXT) | instid1(VALU_DEP_1)
	v_subrev_nc_u32_e32 v16, 28, v6
	v_lshlrev_b64_e32 v[18:19], v16, v[0:1]
	v_sub_nc_u32_e32 v16, 29, v6
	s_delay_alu instid0(VALU_DEP_2)
	v_and_b32_e32 v6, 7, v18
; %bb.1157:                             ;   in Loop: Header=BB283_1069 Depth=1
	s_or_b32 exec_lo, exec_lo, s17
	s_delay_alu instid0(VALU_DEP_1) | instskip(NEXT) | instid1(VALU_DEP_3)
	v_dual_lshlrev_b32 v0, 8, v0 :: v_dual_lshlrev_b32 v6, 7, v6
	v_lshl_add_u32 v16, v16, 10, 0x2000
	s_delay_alu instid0(VALU_DEP_2) | instskip(NEXT) | instid1(VALU_DEP_2)
	v_and_b32_e32 v0, 0x8000, v0
	v_and_b32_e32 v16, 0xfc00, v16
	s_delay_alu instid0(VALU_DEP_1)
	v_or3_b32 v16, v0, v16, v6
.LBB283_1158:                           ;   in Loop: Header=BB283_1069 Depth=1
	s_or_b32 exec_lo, exec_lo, s16
.LBB283_1159:                           ;   in Loop: Header=BB283_1069 Depth=1
	s_delay_alu instid0(SALU_CYCLE_1)
	s_or_b32 exec_lo, exec_lo, s15
.LBB283_1160:                           ;   in Loop: Header=BB283_1069 Depth=1
	s_delay_alu instid0(SALU_CYCLE_1) | instskip(NEXT) | instid1(SALU_CYCLE_1)
	s_or_b32 exec_lo, exec_lo, s14
	s_mov_b32 s14, exec_lo
	v_cmpx_lt_u32_e32 0xffffff, v48
	s_cbranch_execz .LBB283_1168
; %bb.1161:                             ;   in Loop: Header=BB283_1069 Depth=1
	v_lshrrev_b32_e32 v6, 24, v48
	v_bfrev_b32_e32 v9, 1
	s_mov_b32 s15, exec_lo
	s_delay_alu instid0(VALU_DEP_2)
	v_cmpx_ne_u32_e32 0x80, v6
	s_cbranch_execz .LBB283_1167
; %bb.1162:                             ;   in Loop: Header=BB283_1069 Depth=1
	v_and_b32_e32 v17, 0x7f, v6
	v_mov_b32_e32 v9, 0x7c010000
	s_mov_b32 s16, exec_lo
	s_delay_alu instid0(VALU_DEP_2)
	v_cmpx_ne_u32_e32 0x7f, v17
	s_cbranch_execz .LBB283_1166
; %bb.1163:                             ;   in Loop: Header=BB283_1069 Depth=1
	v_dual_lshrrev_b32 v9, 3, v17 :: v_dual_bitop2_b32 v0, 7, v6 bitop3:0x40
	s_mov_b32 s17, exec_lo
	v_cmpx_gt_u32_e32 8, v17
; %bb.1164:                             ;   in Loop: Header=BB283_1069 Depth=1
	s_delay_alu instid0(VALU_DEP_2) | instskip(NEXT) | instid1(VALU_DEP_1)
	v_clz_i32_u32_e32 v0, v0
	v_min_u32_e32 v0, 32, v0
	s_delay_alu instid0(VALU_DEP_1) | instskip(NEXT) | instid1(VALU_DEP_1)
	v_subrev_nc_u32_e32 v9, 28, v0
	v_lshlrev_b64_e32 v[18:19], v9, v[6:7]
	s_delay_alu instid0(VALU_DEP_1)
	v_dual_sub_nc_u32 v9, 29, v0 :: v_dual_bitop2_b32 v0, 7, v18 bitop3:0x40
; %bb.1165:                             ;   in Loop: Header=BB283_1069 Depth=1
	s_or_b32 exec_lo, exec_lo, s17
	s_delay_alu instid0(VALU_DEP_1) | instskip(NEXT) | instid1(VALU_DEP_2)
	v_dual_lshlrev_b32 v6, 8, v6 :: v_dual_lshlrev_b32 v0, 23, v0
	v_lshl_add_u32 v9, v9, 10, 0x2000
	s_delay_alu instid0(VALU_DEP_1) | instskip(NEXT) | instid1(VALU_DEP_1)
	v_and_or_b32 v6, 0x8000, v6, v9
	v_lshl_or_b32 v9, v6, 16, v0
.LBB283_1166:                           ;   in Loop: Header=BB283_1069 Depth=1
	s_or_b32 exec_lo, exec_lo, s16
.LBB283_1167:                           ;   in Loop: Header=BB283_1069 Depth=1
	s_delay_alu instid0(SALU_CYCLE_1)
	s_or_b32 exec_lo, exec_lo, s15
.LBB283_1168:                           ;   in Loop: Header=BB283_1069 Depth=1
	s_delay_alu instid0(SALU_CYCLE_1) | instskip(SKIP_4) | instid1(VALU_DEP_3)
	s_or_b32 exec_lo, exec_lo, s14
	v_and_b32_e32 v0, 0xff, v49
	v_dual_mov_b32 v6, v49 :: v_dual_mov_b32 v18, 0
	v_mov_b32_e32 v17, 0
	s_mov_b32 s14, exec_lo
	v_cmpx_ne_u16_e32 0, v0
	s_cbranch_execz .LBB283_1176
; %bb.1169:                             ;   in Loop: Header=BB283_1069 Depth=1
	v_mov_b32_e32 v17, 0x8000
	s_mov_b32 s15, exec_lo
	v_cmpx_ne_u16_e32 0x80, v0
	s_cbranch_execz .LBB283_1175
; %bb.1170:                             ;   in Loop: Header=BB283_1069 Depth=1
	v_and_b32_e32 v19, 0x7f, v49
	v_mov_b32_e32 v17, 0x7c01
	s_mov_b32 s16, exec_lo
	s_delay_alu instid0(VALU_DEP_2)
	v_cmpx_ne_u32_e32 0x7f, v19
	s_cbranch_execz .LBB283_1174
; %bb.1171:                             ;   in Loop: Header=BB283_1069 Depth=1
	v_dual_lshrrev_b32 v17, 3, v19 :: v_dual_bitop2_b32 v0, 7, v49 bitop3:0x40
	s_mov_b32 s17, exec_lo
	v_cmpx_gt_u32_e32 8, v19
; %bb.1172:                             ;   in Loop: Header=BB283_1069 Depth=1
	s_delay_alu instid0(VALU_DEP_2) | instskip(NEXT) | instid1(VALU_DEP_1)
	v_clz_i32_u32_e32 v0, v0
	v_min_u32_e32 v0, 32, v0
	s_delay_alu instid0(VALU_DEP_1) | instskip(NEXT) | instid1(VALU_DEP_1)
	v_subrev_nc_u32_e32 v17, 28, v0
	v_lshlrev_b64_e32 v[22:23], v17, v[6:7]
	s_delay_alu instid0(VALU_DEP_1)
	v_dual_sub_nc_u32 v17, 29, v0 :: v_dual_bitop2_b32 v0, 7, v22 bitop3:0x40
; %bb.1173:                             ;   in Loop: Header=BB283_1069 Depth=1
	s_or_b32 exec_lo, exec_lo, s17
	s_delay_alu instid0(VALU_DEP_1) | instskip(NEXT) | instid1(VALU_DEP_2)
	v_dual_lshlrev_b32 v19, 8, v49 :: v_dual_lshlrev_b32 v0, 7, v0
	v_lshl_add_u32 v17, v17, 10, 0x2000
	s_delay_alu instid0(VALU_DEP_2) | instskip(NEXT) | instid1(VALU_DEP_2)
	v_and_b32_e32 v19, 0x8000, v19
	v_and_b32_e32 v17, 0xfc00, v17
	s_delay_alu instid0(VALU_DEP_1)
	v_or3_b32 v17, v19, v17, v0
.LBB283_1174:                           ;   in Loop: Header=BB283_1069 Depth=1
	s_or_b32 exec_lo, exec_lo, s16
.LBB283_1175:                           ;   in Loop: Header=BB283_1069 Depth=1
	s_delay_alu instid0(SALU_CYCLE_1)
	s_or_b32 exec_lo, exec_lo, s15
.LBB283_1176:                           ;   in Loop: Header=BB283_1069 Depth=1
	s_delay_alu instid0(SALU_CYCLE_1) | instskip(SKIP_3) | instid1(VALU_DEP_2)
	s_or_b32 exec_lo, exec_lo, s14
	v_lshrrev_b16 v6, 8, v6
	v_mov_b32_e32 v19, 0
	s_mov_b32 s14, exec_lo
	v_cmpx_ne_u16_e32 0, v6
	s_cbranch_execz .LBB283_1184
; %bb.1177:                             ;   in Loop: Header=BB283_1069 Depth=1
	v_bfrev_b32_e32 v19, 1
	s_mov_b32 s15, exec_lo
	v_cmpx_ne_u16_e32 0x80, v6
	s_cbranch_execz .LBB283_1183
; %bb.1178:                             ;   in Loop: Header=BB283_1069 Depth=1
	v_and_b32_e32 v0, 0xffff, v6
	v_mov_b32_e32 v19, 0x7c010000
	s_mov_b32 s16, exec_lo
	s_delay_alu instid0(VALU_DEP_2) | instskip(NEXT) | instid1(VALU_DEP_1)
	v_and_b32_e32 v23, 0x7f, v0
	v_cmpx_ne_u32_e32 0x7f, v23
	s_cbranch_execz .LBB283_1182
; %bb.1179:                             ;   in Loop: Header=BB283_1069 Depth=1
	v_dual_lshrrev_b32 v22, 3, v23 :: v_dual_bitop2_b32 v19, 7, v0 bitop3:0x40
	s_mov_b32 s17, exec_lo
	v_cmpx_gt_u32_e32 8, v23
; %bb.1180:                             ;   in Loop: Header=BB283_1069 Depth=1
	s_delay_alu instid0(VALU_DEP_2) | instskip(NEXT) | instid1(VALU_DEP_1)
	v_clz_i32_u32_e32 v19, v19
	v_min_u32_e32 v19, 32, v19
	s_delay_alu instid0(VALU_DEP_1) | instskip(NEXT) | instid1(VALU_DEP_1)
	v_subrev_nc_u32_e32 v22, 28, v19
	v_lshlrev_b64_e32 v[50:51], v22, v[6:7]
	s_delay_alu instid0(VALU_DEP_1)
	v_dual_sub_nc_u32 v22, 29, v19 :: v_dual_bitop2_b32 v19, 7, v50 bitop3:0x40
; %bb.1181:                             ;   in Loop: Header=BB283_1069 Depth=1
	s_or_b32 exec_lo, exec_lo, s17
	v_lshlrev_b32_e32 v0, 8, v0
	s_delay_alu instid0(VALU_DEP_2) | instskip(NEXT) | instid1(VALU_DEP_1)
	v_lshl_add_u32 v6, v22, 10, 0x2000
	v_and_or_b32 v0, 0x8000, v0, v6
	v_lshlrev_b32_e32 v6, 23, v19
	s_delay_alu instid0(VALU_DEP_1)
	v_lshl_or_b32 v19, v0, 16, v6
.LBB283_1182:                           ;   in Loop: Header=BB283_1069 Depth=1
	s_or_b32 exec_lo, exec_lo, s16
.LBB283_1183:                           ;   in Loop: Header=BB283_1069 Depth=1
	s_delay_alu instid0(SALU_CYCLE_1)
	s_or_b32 exec_lo, exec_lo, s15
.LBB283_1184:                           ;   in Loop: Header=BB283_1069 Depth=1
	s_delay_alu instid0(SALU_CYCLE_1) | instskip(SKIP_2) | instid1(VALU_DEP_1)
	s_or_b32 exec_lo, exec_lo, s14
	v_lshrrev_b32_e32 v0, 16, v49
	s_mov_b32 s14, exec_lo
	v_and_b32_e32 v6, 0xff, v0
	s_delay_alu instid0(VALU_DEP_1)
	v_cmpx_ne_u16_e32 0, v6
	s_cbranch_execz .LBB283_1192
; %bb.1185:                             ;   in Loop: Header=BB283_1069 Depth=1
	v_mov_b32_e32 v18, 0x8000
	s_mov_b32 s15, exec_lo
	v_cmpx_ne_u16_e32 0x80, v6
	s_cbranch_execz .LBB283_1191
; %bb.1186:                             ;   in Loop: Header=BB283_1069 Depth=1
	v_bfe_u32 v22, v49, 16, 7
	v_mov_b32_e32 v18, 0x7c01
	s_mov_b32 s16, exec_lo
	s_delay_alu instid0(VALU_DEP_2)
	v_cmpx_ne_u32_e32 0x7f, v22
	s_cbranch_execz .LBB283_1190
; %bb.1187:                             ;   in Loop: Header=BB283_1069 Depth=1
	v_dual_lshrrev_b32 v18, 3, v22 :: v_dual_bitop2_b32 v6, 7, v0 bitop3:0x40
	s_mov_b32 s17, exec_lo
	v_cmpx_gt_u32_e32 8, v22
; %bb.1188:                             ;   in Loop: Header=BB283_1069 Depth=1
	s_delay_alu instid0(VALU_DEP_2) | instskip(NEXT) | instid1(VALU_DEP_1)
	v_clz_i32_u32_e32 v6, v6
	v_min_u32_e32 v6, 32, v6
	s_delay_alu instid0(VALU_DEP_1) | instskip(NEXT) | instid1(VALU_DEP_1)
	v_subrev_nc_u32_e32 v18, 28, v6
	v_lshlrev_b64_e32 v[22:23], v18, v[0:1]
	v_sub_nc_u32_e32 v18, 29, v6
	s_delay_alu instid0(VALU_DEP_2)
	v_and_b32_e32 v6, 7, v22
; %bb.1189:                             ;   in Loop: Header=BB283_1069 Depth=1
	s_or_b32 exec_lo, exec_lo, s17
	s_delay_alu instid0(VALU_DEP_1) | instskip(NEXT) | instid1(VALU_DEP_3)
	v_dual_lshlrev_b32 v0, 8, v0 :: v_dual_lshlrev_b32 v6, 7, v6
	v_lshl_add_u32 v18, v18, 10, 0x2000
	s_delay_alu instid0(VALU_DEP_2) | instskip(NEXT) | instid1(VALU_DEP_2)
	v_and_b32_e32 v0, 0x8000, v0
	v_and_b32_e32 v18, 0xfc00, v18
	s_delay_alu instid0(VALU_DEP_1)
	v_or3_b32 v18, v0, v18, v6
.LBB283_1190:                           ;   in Loop: Header=BB283_1069 Depth=1
	s_or_b32 exec_lo, exec_lo, s16
.LBB283_1191:                           ;   in Loop: Header=BB283_1069 Depth=1
	s_delay_alu instid0(SALU_CYCLE_1)
	s_or_b32 exec_lo, exec_lo, s15
.LBB283_1192:                           ;   in Loop: Header=BB283_1069 Depth=1
	s_delay_alu instid0(SALU_CYCLE_1)
	s_or_b32 exec_lo, exec_lo, s14
	v_mov_b32_e32 v0, 0
	s_mov_b32 s14, exec_lo
	v_cmpx_lt_u64_e64 s[2:3], v[48:49]
	s_cbranch_execz .LBB283_1200
; %bb.1193:                             ;   in Loop: Header=BB283_1069 Depth=1
	v_lshrrev_b32_e32 v6, 24, v49
	v_bfrev_b32_e32 v0, 1
	s_mov_b32 s15, exec_lo
	s_delay_alu instid0(VALU_DEP_2)
	v_cmpx_ne_u32_e32 0x80, v6
	s_cbranch_execz .LBB283_1199
; %bb.1194:                             ;   in Loop: Header=BB283_1069 Depth=1
	v_and_b32_e32 v23, 0x7f, v6
	v_mov_b32_e32 v0, 0x7c010000
	s_mov_b32 s16, exec_lo
	s_delay_alu instid0(VALU_DEP_2)
	v_cmpx_ne_u32_e32 0x7f, v23
	s_cbranch_execz .LBB283_1198
; %bb.1195:                             ;   in Loop: Header=BB283_1069 Depth=1
	v_dual_lshrrev_b32 v22, 3, v23 :: v_dual_bitop2_b32 v0, 7, v6 bitop3:0x40
	s_mov_b32 s17, exec_lo
	v_cmpx_gt_u32_e32 8, v23
; %bb.1196:                             ;   in Loop: Header=BB283_1069 Depth=1
	s_delay_alu instid0(VALU_DEP_2) | instskip(NEXT) | instid1(VALU_DEP_1)
	v_clz_i32_u32_e32 v0, v0
	v_min_u32_e32 v0, 32, v0
	s_delay_alu instid0(VALU_DEP_1) | instskip(NEXT) | instid1(VALU_DEP_1)
	v_subrev_nc_u32_e32 v22, 28, v0
	v_lshlrev_b64_e32 v[48:49], v22, v[6:7]
	v_sub_nc_u32_e32 v22, 29, v0
	s_delay_alu instid0(VALU_DEP_2)
	v_and_b32_e32 v0, 7, v48
; %bb.1197:                             ;   in Loop: Header=BB283_1069 Depth=1
	s_or_b32 exec_lo, exec_lo, s17
	s_delay_alu instid0(VALU_DEP_1) | instskip(NEXT) | instid1(VALU_DEP_3)
	v_dual_lshlrev_b32 v6, 8, v6 :: v_dual_lshlrev_b32 v0, 23, v0
	v_lshl_add_u32 v22, v22, 10, 0x2000
	s_delay_alu instid0(VALU_DEP_1) | instskip(NEXT) | instid1(VALU_DEP_1)
	v_and_or_b32 v6, 0x8000, v6, v22
	v_lshl_or_b32 v0, v6, 16, v0
.LBB283_1198:                           ;   in Loop: Header=BB283_1069 Depth=1
	s_or_b32 exec_lo, exec_lo, s16
.LBB283_1199:                           ;   in Loop: Header=BB283_1069 Depth=1
	s_delay_alu instid0(SALU_CYCLE_1)
	s_or_b32 exec_lo, exec_lo, s15
.LBB283_1200:                           ;   in Loop: Header=BB283_1069 Depth=1
	s_delay_alu instid0(SALU_CYCLE_1) | instskip(SKIP_2) | instid1(VALU_DEP_2)
	s_or_b32 exec_lo, exec_lo, s14
	v_dual_lshrrev_b32 v6, 16, v1 :: v_dual_bitop2_b32 v1, v1, v8 bitop3:0x54
	v_dual_lshrrev_b32 v22, 16, v9 :: v_dual_bitop2_b32 v16, v9, v16 bitop3:0x54
	v_cvt_f32_f16_e32 v9, v6
	v_dual_lshrrev_b32 v18, 16, v19 :: v_dual_bitop2_b32 v6, v0, v18 bitop3:0x54
	s_delay_alu instid0(VALU_DEP_3)
	v_cvt_f32_f16_e32 v8, v22
	v_dual_lshrrev_b32 v22, 16, v0 :: v_dual_bitop2_b32 v19, v19, v17 bitop3:0x54
	v_cvt_f32_f16_e32 v0, v16
	v_cvt_f32_f16_e32 v1, v1
	s_wait_loadcnt_dscnt 0x0
	v_pk_mul_f32 v[8:9], v[38:39], v[8:9] op_sel_hi:[0,1]
	v_cvt_f32_f16_e32 v17, v18
	v_cvt_f32_f16_e32 v16, v22
	;; [unrolled: 1-line block ×4, first 2 shown]
	v_pk_mul_f32 v[0:1], v[38:39], v[0:1] op_sel_hi:[0,1]
	v_cvt_pk_f16_f32 v6, v8, v9
	v_pk_mul_f32 v[8:9], v[38:39], v[16:17] op_sel_hi:[0,1]
	s_delay_alu instid0(VALU_DEP_4) | instskip(NEXT) | instid1(VALU_DEP_4)
	v_pk_mul_f32 v[16:17], v[38:39], v[18:19] op_sel_hi:[0,1]
	v_cvt_pk_f16_f32 v0, v0, v1
	s_delay_alu instid0(VALU_DEP_4) | instskip(NEXT) | instid1(VALU_DEP_4)
	v_and_b32_e32 v19, 0xffff0000, v6
	v_cvt_pk_f16_f32 v8, v8, v9
	v_lshlrev_b32_e32 v38, 16, v6
	v_cvt_pk_f16_f32 v6, v16, v17
	v_lshrrev_b32_e32 v51, 16, v0
	v_and_b32_e32 v52, 0xffff, v0
	v_and_b32_e32 v1, 0xffff0000, v8
	s_delay_alu instid0(VALU_DEP_4) | instskip(SKIP_3) | instid1(VALU_DEP_4)
	v_dual_lshlrev_b32 v0, 16, v8 :: v_dual_lshrrev_b32 v9, 16, v6
	v_and_b32_e32 v6, 0xffff, v6
	v_or_b32_e32 v49, v19, v51
	v_or_b32_e32 v50, v38, v52
	;; [unrolled: 1-line block ×3, first 2 shown]
	s_delay_alu instid0(VALU_DEP_4)
	v_or_b32_e32 v48, v0, v6
	s_and_saveexec_b32 s14, vcc_lo
	s_cbranch_execz .LBB283_1202
; %bb.1201:                             ;   in Loop: Header=BB283_1069 Depth=1
	v_cmp_lt_i32_e64 s0, v69, v13
	s_delay_alu instid0(VALU_DEP_1) | instskip(SKIP_1) | instid1(VALU_DEP_1)
	v_cndmask_b32_e64 v8, 0, v51, s0
	v_cmp_lt_i32_e64 s0, v84, v12
	v_cndmask_b32_e64 v16, 0, v52, s0
	v_cmp_lt_i32_e64 s0, v83, v13
	s_delay_alu instid0(VALU_DEP_1) | instskip(SKIP_1) | instid1(VALU_DEP_1)
	v_cndmask_b32_e64 v17, 0, v19, s0
	v_cmp_lt_i32_e64 s0, v82, v12
	v_cndmask_b32_e64 v18, 0, v38, s0
	v_cmp_lt_i32_e64 s0, v81, v13
	s_delay_alu instid0(VALU_DEP_4) | instskip(NEXT) | instid1(VALU_DEP_2)
	v_or_b32_e32 v49, v8, v17
	v_dual_cndmask_b32 v9, 0, v9, s0 :: v_dual_bitop2_b32 v50, v16, v18 bitop3:0x54
	v_cmp_lt_i32_e64 s0, v80, v12
	s_delay_alu instid0(VALU_DEP_1) | instskip(SKIP_1) | instid1(VALU_DEP_1)
	v_cndmask_b32_e64 v6, 0, v6, s0
	v_cmp_lt_i32_e64 s0, v71, v13
	v_cndmask_b32_e64 v1, 0, v1, s0
	v_cmp_lt_i32_e64 s0, v70, v12
	s_delay_alu instid0(VALU_DEP_1) | instskip(NEXT) | instid1(VALU_DEP_1)
	v_dual_cndmask_b32 v0, 0, v0, s0 :: v_dual_bitop2_b32 v39, v9, v1 bitop3:0x54
	v_or_b32_e32 v48, v6, v0
.LBB283_1202:                           ;   in Loop: Header=BB283_1069 Depth=1
	s_or_b32 exec_lo, exec_lo, s14
	;;#ASMSTART
	v_pk_mul_f16 v0, v97, v49;

	;;#ASMEND
	;;#ASMSTART
	v_pk_mul_f16 v1, v87, v50;

	;;#ASMEND
	;; [unrolled: 4-line block ×4, first 2 shown]
	;;#ASMSTART
	v_pk_add_f16 v0, v0, v1;

	;;#ASMEND
	;;#ASMSTART
	v_pk_add_f16 v0, v0, v6;

	;;#ASMEND
	;; [unrolled: 4-line block ×3, first 2 shown]
	v_and_b32_e32 v1, 0xffff, v0
	v_lshrrev_b32_e32 v0, 16, v0
	;;#ASMSTART
	v_cvt_f32_f16 v99, v1;
	;;#ASMEND
	;;#ASMSTART
	v_cvt_f32_f16 v100, v0;
	;;#ASMEND
	flat_load_b64 v[48:49], v[28:29] offset:512
	scratch_load_b64 v[0:1], off, s32 offset:192 ; 8-byte Folded Reload
	v_mov_b32_e32 v8, 0
	s_mov_b32 s14, exec_lo
	s_wait_loadcnt 0x0
	flat_load_b32 v38, v[0:1]
	s_wait_dscnt 0x1
	s_wait_xcnt 0x0
	v_and_b32_e32 v0, 0xff, v48
	v_mov_b32_e32 v1, 0
	s_delay_alu instid0(VALU_DEP_2)
	v_cmpx_ne_u16_e32 0, v0
	s_cbranch_execz .LBB283_1210
; %bb.1203:                             ;   in Loop: Header=BB283_1069 Depth=1
	v_mov_b32_e32 v8, 0x8000
	s_mov_b32 s15, exec_lo
	v_cmpx_ne_u16_e32 0x80, v0
	s_cbranch_execz .LBB283_1209
; %bb.1204:                             ;   in Loop: Header=BB283_1069 Depth=1
	v_and_b32_e32 v9, 0x7f, v48
	v_mov_b32_e32 v8, 0x7c01
	s_mov_b32 s16, exec_lo
	s_delay_alu instid0(VALU_DEP_2)
	v_cmpx_ne_u32_e32 0x7f, v9
	s_cbranch_execz .LBB283_1208
; %bb.1205:                             ;   in Loop: Header=BB283_1069 Depth=1
	v_dual_lshrrev_b32 v6, 3, v9 :: v_dual_bitop2_b32 v0, 7, v48 bitop3:0x40
	s_mov_b32 s17, exec_lo
	v_cmpx_gt_u32_e32 8, v9
; %bb.1206:                             ;   in Loop: Header=BB283_1069 Depth=1
	s_delay_alu instid0(VALU_DEP_2) | instskip(NEXT) | instid1(VALU_DEP_1)
	v_clz_i32_u32_e32 v0, v0
	v_min_u32_e32 v0, 32, v0
	s_delay_alu instid0(VALU_DEP_1) | instskip(NEXT) | instid1(VALU_DEP_1)
	v_subrev_nc_u32_e32 v6, 28, v0
	v_lshlrev_b64_e32 v[8:9], v6, v[48:49]
	v_sub_nc_u32_e32 v6, 29, v0
	s_delay_alu instid0(VALU_DEP_2)
	v_and_b32_e32 v0, 7, v8
; %bb.1207:                             ;   in Loop: Header=BB283_1069 Depth=1
	s_or_b32 exec_lo, exec_lo, s17
	v_lshlrev_b32_e32 v8, 8, v48
	s_delay_alu instid0(VALU_DEP_3) | instskip(NEXT) | instid1(VALU_DEP_3)
	v_lshl_add_u32 v6, v6, 10, 0x2000
	v_lshlrev_b32_e32 v0, 7, v0
	s_delay_alu instid0(VALU_DEP_3) | instskip(NEXT) | instid1(VALU_DEP_3)
	v_and_b32_e32 v8, 0x8000, v8
	v_and_b32_e32 v6, 0xfc00, v6
	s_delay_alu instid0(VALU_DEP_1)
	v_or3_b32 v8, v8, v6, v0
.LBB283_1208:                           ;   in Loop: Header=BB283_1069 Depth=1
	s_or_b32 exec_lo, exec_lo, s16
.LBB283_1209:                           ;   in Loop: Header=BB283_1069 Depth=1
	s_delay_alu instid0(SALU_CYCLE_1)
	s_or_b32 exec_lo, exec_lo, s15
.LBB283_1210:                           ;   in Loop: Header=BB283_1069 Depth=1
	s_delay_alu instid0(SALU_CYCLE_1) | instskip(SKIP_2) | instid1(VALU_DEP_1)
	s_or_b32 exec_lo, exec_lo, s14
	v_lshrrev_b16 v6, 8, v48
	s_mov_b32 s14, exec_lo
	v_cmpx_ne_u16_e32 0, v6
	s_cbranch_execz .LBB283_1218
; %bb.1211:                             ;   in Loop: Header=BB283_1069 Depth=1
	v_bfrev_b32_e32 v1, 1
	s_mov_b32 s15, exec_lo
	v_cmpx_ne_u16_e32 0x80, v6
	s_cbranch_execz .LBB283_1217
; %bb.1212:                             ;   in Loop: Header=BB283_1069 Depth=1
	v_and_b32_e32 v0, 0xffff, v6
	v_mov_b32_e32 v1, 0x7c010000
	s_mov_b32 s16, exec_lo
	s_delay_alu instid0(VALU_DEP_2) | instskip(NEXT) | instid1(VALU_DEP_1)
	v_and_b32_e32 v16, 0x7f, v0
	v_cmpx_ne_u32_e32 0x7f, v16
	s_cbranch_execz .LBB283_1216
; %bb.1213:                             ;   in Loop: Header=BB283_1069 Depth=1
	v_and_b32_e32 v1, 7, v0
	v_lshrrev_b32_e32 v9, 3, v16
	s_mov_b32 s17, exec_lo
	v_cmpx_gt_u32_e32 8, v16
; %bb.1214:                             ;   in Loop: Header=BB283_1069 Depth=1
	s_delay_alu instid0(VALU_DEP_3) | instskip(NEXT) | instid1(VALU_DEP_1)
	v_clz_i32_u32_e32 v1, v1
	v_min_u32_e32 v1, 32, v1
	s_delay_alu instid0(VALU_DEP_1) | instskip(NEXT) | instid1(VALU_DEP_1)
	v_subrev_nc_u32_e32 v9, 28, v1
	v_lshlrev_b64_e32 v[16:17], v9, v[6:7]
	s_delay_alu instid0(VALU_DEP_1)
	v_dual_sub_nc_u32 v9, 29, v1 :: v_dual_bitop2_b32 v1, 7, v16 bitop3:0x40
; %bb.1215:                             ;   in Loop: Header=BB283_1069 Depth=1
	s_or_b32 exec_lo, exec_lo, s17
	s_delay_alu instid0(VALU_DEP_1) | instskip(NEXT) | instid1(VALU_DEP_2)
	v_dual_lshlrev_b32 v0, 8, v0 :: v_dual_lshlrev_b32 v1, 23, v1
	v_lshl_add_u32 v6, v9, 10, 0x2000
	s_delay_alu instid0(VALU_DEP_1) | instskip(NEXT) | instid1(VALU_DEP_1)
	v_and_or_b32 v0, 0x8000, v0, v6
	v_lshl_or_b32 v1, v0, 16, v1
.LBB283_1216:                           ;   in Loop: Header=BB283_1069 Depth=1
	s_or_b32 exec_lo, exec_lo, s16
.LBB283_1217:                           ;   in Loop: Header=BB283_1069 Depth=1
	s_delay_alu instid0(SALU_CYCLE_1)
	s_or_b32 exec_lo, exec_lo, s15
.LBB283_1218:                           ;   in Loop: Header=BB283_1069 Depth=1
	s_delay_alu instid0(SALU_CYCLE_1) | instskip(SKIP_3) | instid1(VALU_DEP_2)
	s_or_b32 exec_lo, exec_lo, s14
	v_dual_mov_b32 v9, 0 :: v_dual_lshrrev_b32 v0, 16, v48
	v_mov_b32_e32 v16, 0
	s_mov_b32 s14, exec_lo
	v_and_b32_e32 v6, 0xff, v0
	s_delay_alu instid0(VALU_DEP_1)
	v_cmpx_ne_u16_e32 0, v6
	s_cbranch_execz .LBB283_1226
; %bb.1219:                             ;   in Loop: Header=BB283_1069 Depth=1
	v_mov_b32_e32 v16, 0x8000
	s_mov_b32 s15, exec_lo
	v_cmpx_ne_u16_e32 0x80, v6
	s_cbranch_execz .LBB283_1225
; %bb.1220:                             ;   in Loop: Header=BB283_1069 Depth=1
	v_bfe_u32 v17, v48, 16, 7
	v_mov_b32_e32 v16, 0x7c01
	s_mov_b32 s16, exec_lo
	s_delay_alu instid0(VALU_DEP_2)
	v_cmpx_ne_u32_e32 0x7f, v17
	s_cbranch_execz .LBB283_1224
; %bb.1221:                             ;   in Loop: Header=BB283_1069 Depth=1
	v_dual_lshrrev_b32 v16, 3, v17 :: v_dual_bitop2_b32 v6, 7, v0 bitop3:0x40
	s_mov_b32 s17, exec_lo
	v_cmpx_gt_u32_e32 8, v17
; %bb.1222:                             ;   in Loop: Header=BB283_1069 Depth=1
	s_delay_alu instid0(VALU_DEP_2) | instskip(NEXT) | instid1(VALU_DEP_1)
	v_clz_i32_u32_e32 v6, v6
	v_min_u32_e32 v6, 32, v6
	s_delay_alu instid0(VALU_DEP_1) | instskip(NEXT) | instid1(VALU_DEP_1)
	v_subrev_nc_u32_e32 v16, 28, v6
	v_lshlrev_b64_e32 v[18:19], v16, v[0:1]
	v_sub_nc_u32_e32 v16, 29, v6
	s_delay_alu instid0(VALU_DEP_2)
	v_and_b32_e32 v6, 7, v18
; %bb.1223:                             ;   in Loop: Header=BB283_1069 Depth=1
	s_or_b32 exec_lo, exec_lo, s17
	s_delay_alu instid0(VALU_DEP_1) | instskip(NEXT) | instid1(VALU_DEP_3)
	v_dual_lshlrev_b32 v0, 8, v0 :: v_dual_lshlrev_b32 v6, 7, v6
	v_lshl_add_u32 v16, v16, 10, 0x2000
	s_delay_alu instid0(VALU_DEP_2) | instskip(NEXT) | instid1(VALU_DEP_2)
	v_and_b32_e32 v0, 0x8000, v0
	v_and_b32_e32 v16, 0xfc00, v16
	s_delay_alu instid0(VALU_DEP_1)
	v_or3_b32 v16, v0, v16, v6
.LBB283_1224:                           ;   in Loop: Header=BB283_1069 Depth=1
	s_or_b32 exec_lo, exec_lo, s16
.LBB283_1225:                           ;   in Loop: Header=BB283_1069 Depth=1
	s_delay_alu instid0(SALU_CYCLE_1)
	s_or_b32 exec_lo, exec_lo, s15
.LBB283_1226:                           ;   in Loop: Header=BB283_1069 Depth=1
	s_delay_alu instid0(SALU_CYCLE_1) | instskip(NEXT) | instid1(SALU_CYCLE_1)
	s_or_b32 exec_lo, exec_lo, s14
	s_mov_b32 s14, exec_lo
	v_cmpx_lt_u32_e32 0xffffff, v48
	s_cbranch_execz .LBB283_1234
; %bb.1227:                             ;   in Loop: Header=BB283_1069 Depth=1
	v_lshrrev_b32_e32 v6, 24, v48
	v_bfrev_b32_e32 v9, 1
	s_mov_b32 s15, exec_lo
	s_delay_alu instid0(VALU_DEP_2)
	v_cmpx_ne_u32_e32 0x80, v6
	s_cbranch_execz .LBB283_1233
; %bb.1228:                             ;   in Loop: Header=BB283_1069 Depth=1
	v_and_b32_e32 v17, 0x7f, v6
	v_mov_b32_e32 v9, 0x7c010000
	s_mov_b32 s16, exec_lo
	s_delay_alu instid0(VALU_DEP_2)
	v_cmpx_ne_u32_e32 0x7f, v17
	s_cbranch_execz .LBB283_1232
; %bb.1229:                             ;   in Loop: Header=BB283_1069 Depth=1
	v_dual_lshrrev_b32 v9, 3, v17 :: v_dual_bitop2_b32 v0, 7, v6 bitop3:0x40
	s_mov_b32 s17, exec_lo
	v_cmpx_gt_u32_e32 8, v17
; %bb.1230:                             ;   in Loop: Header=BB283_1069 Depth=1
	s_delay_alu instid0(VALU_DEP_2) | instskip(NEXT) | instid1(VALU_DEP_1)
	v_clz_i32_u32_e32 v0, v0
	v_min_u32_e32 v0, 32, v0
	s_delay_alu instid0(VALU_DEP_1) | instskip(NEXT) | instid1(VALU_DEP_1)
	v_subrev_nc_u32_e32 v9, 28, v0
	v_lshlrev_b64_e32 v[18:19], v9, v[6:7]
	s_delay_alu instid0(VALU_DEP_1)
	v_dual_sub_nc_u32 v9, 29, v0 :: v_dual_bitop2_b32 v0, 7, v18 bitop3:0x40
; %bb.1231:                             ;   in Loop: Header=BB283_1069 Depth=1
	s_or_b32 exec_lo, exec_lo, s17
	s_delay_alu instid0(VALU_DEP_1) | instskip(NEXT) | instid1(VALU_DEP_2)
	v_dual_lshlrev_b32 v6, 8, v6 :: v_dual_lshlrev_b32 v0, 23, v0
	v_lshl_add_u32 v9, v9, 10, 0x2000
	s_delay_alu instid0(VALU_DEP_1) | instskip(NEXT) | instid1(VALU_DEP_1)
	v_and_or_b32 v6, 0x8000, v6, v9
	v_lshl_or_b32 v9, v6, 16, v0
.LBB283_1232:                           ;   in Loop: Header=BB283_1069 Depth=1
	s_or_b32 exec_lo, exec_lo, s16
.LBB283_1233:                           ;   in Loop: Header=BB283_1069 Depth=1
	s_delay_alu instid0(SALU_CYCLE_1)
	s_or_b32 exec_lo, exec_lo, s15
.LBB283_1234:                           ;   in Loop: Header=BB283_1069 Depth=1
	s_delay_alu instid0(SALU_CYCLE_1) | instskip(SKIP_4) | instid1(VALU_DEP_3)
	s_or_b32 exec_lo, exec_lo, s14
	v_and_b32_e32 v0, 0xff, v49
	v_dual_mov_b32 v6, v49 :: v_dual_mov_b32 v18, 0
	v_mov_b32_e32 v17, 0
	s_mov_b32 s14, exec_lo
	v_cmpx_ne_u16_e32 0, v0
	s_cbranch_execz .LBB283_1242
; %bb.1235:                             ;   in Loop: Header=BB283_1069 Depth=1
	v_mov_b32_e32 v17, 0x8000
	s_mov_b32 s15, exec_lo
	v_cmpx_ne_u16_e32 0x80, v0
	s_cbranch_execz .LBB283_1241
; %bb.1236:                             ;   in Loop: Header=BB283_1069 Depth=1
	v_and_b32_e32 v19, 0x7f, v49
	v_mov_b32_e32 v17, 0x7c01
	s_mov_b32 s16, exec_lo
	s_delay_alu instid0(VALU_DEP_2)
	v_cmpx_ne_u32_e32 0x7f, v19
	s_cbranch_execz .LBB283_1240
; %bb.1237:                             ;   in Loop: Header=BB283_1069 Depth=1
	v_dual_lshrrev_b32 v17, 3, v19 :: v_dual_bitop2_b32 v0, 7, v49 bitop3:0x40
	s_mov_b32 s17, exec_lo
	v_cmpx_gt_u32_e32 8, v19
; %bb.1238:                             ;   in Loop: Header=BB283_1069 Depth=1
	s_delay_alu instid0(VALU_DEP_2) | instskip(NEXT) | instid1(VALU_DEP_1)
	v_clz_i32_u32_e32 v0, v0
	v_min_u32_e32 v0, 32, v0
	s_delay_alu instid0(VALU_DEP_1) | instskip(NEXT) | instid1(VALU_DEP_1)
	v_subrev_nc_u32_e32 v17, 28, v0
	v_lshlrev_b64_e32 v[22:23], v17, v[6:7]
	s_delay_alu instid0(VALU_DEP_1)
	v_dual_sub_nc_u32 v17, 29, v0 :: v_dual_bitop2_b32 v0, 7, v22 bitop3:0x40
; %bb.1239:                             ;   in Loop: Header=BB283_1069 Depth=1
	s_or_b32 exec_lo, exec_lo, s17
	s_delay_alu instid0(VALU_DEP_1) | instskip(NEXT) | instid1(VALU_DEP_2)
	v_dual_lshlrev_b32 v19, 8, v49 :: v_dual_lshlrev_b32 v0, 7, v0
	v_lshl_add_u32 v17, v17, 10, 0x2000
	s_delay_alu instid0(VALU_DEP_2) | instskip(NEXT) | instid1(VALU_DEP_2)
	v_and_b32_e32 v19, 0x8000, v19
	v_and_b32_e32 v17, 0xfc00, v17
	s_delay_alu instid0(VALU_DEP_1)
	v_or3_b32 v17, v19, v17, v0
.LBB283_1240:                           ;   in Loop: Header=BB283_1069 Depth=1
	s_or_b32 exec_lo, exec_lo, s16
.LBB283_1241:                           ;   in Loop: Header=BB283_1069 Depth=1
	s_delay_alu instid0(SALU_CYCLE_1)
	s_or_b32 exec_lo, exec_lo, s15
.LBB283_1242:                           ;   in Loop: Header=BB283_1069 Depth=1
	s_delay_alu instid0(SALU_CYCLE_1) | instskip(SKIP_3) | instid1(VALU_DEP_2)
	s_or_b32 exec_lo, exec_lo, s14
	v_lshrrev_b16 v6, 8, v6
	v_mov_b32_e32 v19, 0
	s_mov_b32 s14, exec_lo
	v_cmpx_ne_u16_e32 0, v6
	s_cbranch_execz .LBB283_1250
; %bb.1243:                             ;   in Loop: Header=BB283_1069 Depth=1
	v_bfrev_b32_e32 v19, 1
	s_mov_b32 s15, exec_lo
	v_cmpx_ne_u16_e32 0x80, v6
	s_cbranch_execz .LBB283_1249
; %bb.1244:                             ;   in Loop: Header=BB283_1069 Depth=1
	v_and_b32_e32 v0, 0xffff, v6
	v_mov_b32_e32 v19, 0x7c010000
	s_mov_b32 s16, exec_lo
	s_delay_alu instid0(VALU_DEP_2) | instskip(NEXT) | instid1(VALU_DEP_1)
	v_and_b32_e32 v23, 0x7f, v0
	v_cmpx_ne_u32_e32 0x7f, v23
	s_cbranch_execz .LBB283_1248
; %bb.1245:                             ;   in Loop: Header=BB283_1069 Depth=1
	v_dual_lshrrev_b32 v22, 3, v23 :: v_dual_bitop2_b32 v19, 7, v0 bitop3:0x40
	s_mov_b32 s17, exec_lo
	v_cmpx_gt_u32_e32 8, v23
; %bb.1246:                             ;   in Loop: Header=BB283_1069 Depth=1
	s_delay_alu instid0(VALU_DEP_2) | instskip(NEXT) | instid1(VALU_DEP_1)
	v_clz_i32_u32_e32 v19, v19
	v_min_u32_e32 v19, 32, v19
	s_delay_alu instid0(VALU_DEP_1) | instskip(NEXT) | instid1(VALU_DEP_1)
	v_subrev_nc_u32_e32 v22, 28, v19
	v_lshlrev_b64_e32 v[50:51], v22, v[6:7]
	s_delay_alu instid0(VALU_DEP_1)
	v_dual_sub_nc_u32 v22, 29, v19 :: v_dual_bitop2_b32 v19, 7, v50 bitop3:0x40
; %bb.1247:                             ;   in Loop: Header=BB283_1069 Depth=1
	s_or_b32 exec_lo, exec_lo, s17
	v_lshlrev_b32_e32 v0, 8, v0
	s_delay_alu instid0(VALU_DEP_2) | instskip(NEXT) | instid1(VALU_DEP_1)
	v_lshl_add_u32 v6, v22, 10, 0x2000
	v_and_or_b32 v0, 0x8000, v0, v6
	v_lshlrev_b32_e32 v6, 23, v19
	s_delay_alu instid0(VALU_DEP_1)
	v_lshl_or_b32 v19, v0, 16, v6
.LBB283_1248:                           ;   in Loop: Header=BB283_1069 Depth=1
	s_or_b32 exec_lo, exec_lo, s16
.LBB283_1249:                           ;   in Loop: Header=BB283_1069 Depth=1
	s_delay_alu instid0(SALU_CYCLE_1)
	s_or_b32 exec_lo, exec_lo, s15
.LBB283_1250:                           ;   in Loop: Header=BB283_1069 Depth=1
	s_delay_alu instid0(SALU_CYCLE_1) | instskip(SKIP_2) | instid1(VALU_DEP_1)
	s_or_b32 exec_lo, exec_lo, s14
	v_lshrrev_b32_e32 v0, 16, v49
	s_mov_b32 s14, exec_lo
	v_and_b32_e32 v6, 0xff, v0
	s_delay_alu instid0(VALU_DEP_1)
	v_cmpx_ne_u16_e32 0, v6
	s_cbranch_execz .LBB283_1258
; %bb.1251:                             ;   in Loop: Header=BB283_1069 Depth=1
	v_mov_b32_e32 v18, 0x8000
	s_mov_b32 s15, exec_lo
	v_cmpx_ne_u16_e32 0x80, v6
	s_cbranch_execz .LBB283_1257
; %bb.1252:                             ;   in Loop: Header=BB283_1069 Depth=1
	v_bfe_u32 v22, v49, 16, 7
	v_mov_b32_e32 v18, 0x7c01
	s_mov_b32 s16, exec_lo
	s_delay_alu instid0(VALU_DEP_2)
	v_cmpx_ne_u32_e32 0x7f, v22
	s_cbranch_execz .LBB283_1256
; %bb.1253:                             ;   in Loop: Header=BB283_1069 Depth=1
	v_dual_lshrrev_b32 v18, 3, v22 :: v_dual_bitop2_b32 v6, 7, v0 bitop3:0x40
	s_mov_b32 s17, exec_lo
	v_cmpx_gt_u32_e32 8, v22
; %bb.1254:                             ;   in Loop: Header=BB283_1069 Depth=1
	s_delay_alu instid0(VALU_DEP_2) | instskip(NEXT) | instid1(VALU_DEP_1)
	v_clz_i32_u32_e32 v6, v6
	v_min_u32_e32 v6, 32, v6
	s_delay_alu instid0(VALU_DEP_1) | instskip(NEXT) | instid1(VALU_DEP_1)
	v_subrev_nc_u32_e32 v18, 28, v6
	v_lshlrev_b64_e32 v[22:23], v18, v[0:1]
	v_sub_nc_u32_e32 v18, 29, v6
	s_delay_alu instid0(VALU_DEP_2)
	v_and_b32_e32 v6, 7, v22
; %bb.1255:                             ;   in Loop: Header=BB283_1069 Depth=1
	s_or_b32 exec_lo, exec_lo, s17
	s_delay_alu instid0(VALU_DEP_1) | instskip(NEXT) | instid1(VALU_DEP_3)
	v_dual_lshlrev_b32 v0, 8, v0 :: v_dual_lshlrev_b32 v6, 7, v6
	v_lshl_add_u32 v18, v18, 10, 0x2000
	s_delay_alu instid0(VALU_DEP_2) | instskip(NEXT) | instid1(VALU_DEP_2)
	v_and_b32_e32 v0, 0x8000, v0
	v_and_b32_e32 v18, 0xfc00, v18
	s_delay_alu instid0(VALU_DEP_1)
	v_or3_b32 v18, v0, v18, v6
.LBB283_1256:                           ;   in Loop: Header=BB283_1069 Depth=1
	s_or_b32 exec_lo, exec_lo, s16
.LBB283_1257:                           ;   in Loop: Header=BB283_1069 Depth=1
	s_delay_alu instid0(SALU_CYCLE_1)
	s_or_b32 exec_lo, exec_lo, s15
.LBB283_1258:                           ;   in Loop: Header=BB283_1069 Depth=1
	s_delay_alu instid0(SALU_CYCLE_1)
	s_or_b32 exec_lo, exec_lo, s14
	v_mov_b32_e32 v0, 0
	s_mov_b32 s14, exec_lo
	v_cmpx_lt_u64_e64 s[2:3], v[48:49]
	s_cbranch_execz .LBB283_1266
; %bb.1259:                             ;   in Loop: Header=BB283_1069 Depth=1
	v_lshrrev_b32_e32 v6, 24, v49
	v_bfrev_b32_e32 v0, 1
	s_mov_b32 s15, exec_lo
	s_delay_alu instid0(VALU_DEP_2)
	v_cmpx_ne_u32_e32 0x80, v6
	s_cbranch_execz .LBB283_1265
; %bb.1260:                             ;   in Loop: Header=BB283_1069 Depth=1
	v_and_b32_e32 v23, 0x7f, v6
	v_mov_b32_e32 v0, 0x7c010000
	s_mov_b32 s16, exec_lo
	s_delay_alu instid0(VALU_DEP_2)
	v_cmpx_ne_u32_e32 0x7f, v23
	s_cbranch_execz .LBB283_1264
; %bb.1261:                             ;   in Loop: Header=BB283_1069 Depth=1
	v_dual_lshrrev_b32 v22, 3, v23 :: v_dual_bitop2_b32 v0, 7, v6 bitop3:0x40
	s_mov_b32 s17, exec_lo
	v_cmpx_gt_u32_e32 8, v23
; %bb.1262:                             ;   in Loop: Header=BB283_1069 Depth=1
	s_delay_alu instid0(VALU_DEP_2) | instskip(NEXT) | instid1(VALU_DEP_1)
	v_clz_i32_u32_e32 v0, v0
	v_min_u32_e32 v0, 32, v0
	s_delay_alu instid0(VALU_DEP_1) | instskip(NEXT) | instid1(VALU_DEP_1)
	v_subrev_nc_u32_e32 v22, 28, v0
	v_lshlrev_b64_e32 v[48:49], v22, v[6:7]
	v_sub_nc_u32_e32 v22, 29, v0
	s_delay_alu instid0(VALU_DEP_2)
	v_and_b32_e32 v0, 7, v48
; %bb.1263:                             ;   in Loop: Header=BB283_1069 Depth=1
	s_or_b32 exec_lo, exec_lo, s17
	s_delay_alu instid0(VALU_DEP_1) | instskip(NEXT) | instid1(VALU_DEP_3)
	v_dual_lshlrev_b32 v6, 8, v6 :: v_dual_lshlrev_b32 v0, 23, v0
	v_lshl_add_u32 v22, v22, 10, 0x2000
	s_delay_alu instid0(VALU_DEP_1) | instskip(NEXT) | instid1(VALU_DEP_1)
	v_and_or_b32 v6, 0x8000, v6, v22
	v_lshl_or_b32 v0, v6, 16, v0
.LBB283_1264:                           ;   in Loop: Header=BB283_1069 Depth=1
	s_or_b32 exec_lo, exec_lo, s16
.LBB283_1265:                           ;   in Loop: Header=BB283_1069 Depth=1
	s_delay_alu instid0(SALU_CYCLE_1)
	s_or_b32 exec_lo, exec_lo, s15
.LBB283_1266:                           ;   in Loop: Header=BB283_1069 Depth=1
	s_delay_alu instid0(SALU_CYCLE_1) | instskip(SKIP_2) | instid1(VALU_DEP_2)
	s_or_b32 exec_lo, exec_lo, s14
	v_dual_lshrrev_b32 v6, 16, v1 :: v_dual_bitop2_b32 v1, v1, v8 bitop3:0x54
	v_dual_lshrrev_b32 v22, 16, v9 :: v_dual_bitop2_b32 v16, v9, v16 bitop3:0x54
	v_cvt_f32_f16_e32 v9, v6
	v_dual_lshrrev_b32 v18, 16, v19 :: v_dual_bitop2_b32 v6, v0, v18 bitop3:0x54
	s_delay_alu instid0(VALU_DEP_3)
	v_cvt_f32_f16_e32 v8, v22
	v_dual_lshrrev_b32 v22, 16, v0 :: v_dual_bitop2_b32 v19, v19, v17 bitop3:0x54
	v_cvt_f32_f16_e32 v0, v16
	v_cvt_f32_f16_e32 v1, v1
	s_wait_loadcnt_dscnt 0x0
	v_pk_mul_f32 v[8:9], v[38:39], v[8:9] op_sel_hi:[0,1]
	v_cvt_f32_f16_e32 v17, v18
	v_cvt_f32_f16_e32 v16, v22
	;; [unrolled: 1-line block ×4, first 2 shown]
	v_pk_mul_f32 v[0:1], v[38:39], v[0:1] op_sel_hi:[0,1]
	v_cvt_pk_f16_f32 v6, v8, v9
	v_pk_mul_f32 v[8:9], v[38:39], v[16:17] op_sel_hi:[0,1]
	s_delay_alu instid0(VALU_DEP_4) | instskip(NEXT) | instid1(VALU_DEP_4)
	v_pk_mul_f32 v[16:17], v[38:39], v[18:19] op_sel_hi:[0,1]
	v_cvt_pk_f16_f32 v0, v0, v1
	s_delay_alu instid0(VALU_DEP_4) | instskip(NEXT) | instid1(VALU_DEP_4)
	v_and_b32_e32 v19, 0xffff0000, v6
	v_cvt_pk_f16_f32 v8, v8, v9
	v_lshlrev_b32_e32 v38, 16, v6
	v_cvt_pk_f16_f32 v6, v16, v17
	v_lshrrev_b32_e32 v51, 16, v0
	v_and_b32_e32 v52, 0xffff, v0
	v_and_b32_e32 v1, 0xffff0000, v8
	s_delay_alu instid0(VALU_DEP_4) | instskip(SKIP_3) | instid1(VALU_DEP_4)
	v_dual_lshlrev_b32 v0, 16, v8 :: v_dual_lshrrev_b32 v9, 16, v6
	v_and_b32_e32 v6, 0xffff, v6
	v_or_b32_e32 v49, v19, v51
	v_or_b32_e32 v50, v38, v52
	;; [unrolled: 1-line block ×3, first 2 shown]
	s_delay_alu instid0(VALU_DEP_4)
	v_or_b32_e32 v48, v0, v6
	s_and_saveexec_b32 s14, vcc_lo
	s_cbranch_execz .LBB283_1268
; %bb.1267:                             ;   in Loop: Header=BB283_1069 Depth=1
	v_cmp_lt_i32_e64 s0, v69, v13
	s_delay_alu instid0(VALU_DEP_1) | instskip(SKIP_1) | instid1(VALU_DEP_1)
	v_cndmask_b32_e64 v8, 0, v51, s0
	v_cmp_lt_i32_e64 s0, v84, v12
	v_cndmask_b32_e64 v16, 0, v52, s0
	v_cmp_lt_i32_e64 s0, v83, v13
	s_delay_alu instid0(VALU_DEP_1) | instskip(SKIP_1) | instid1(VALU_DEP_1)
	v_cndmask_b32_e64 v17, 0, v19, s0
	v_cmp_lt_i32_e64 s0, v82, v12
	v_cndmask_b32_e64 v18, 0, v38, s0
	v_cmp_lt_i32_e64 s0, v81, v13
	s_delay_alu instid0(VALU_DEP_4) | instskip(NEXT) | instid1(VALU_DEP_2)
	v_or_b32_e32 v49, v8, v17
	v_dual_cndmask_b32 v9, 0, v9, s0 :: v_dual_bitop2_b32 v50, v16, v18 bitop3:0x54
	v_cmp_lt_i32_e64 s0, v80, v12
	s_delay_alu instid0(VALU_DEP_1) | instskip(SKIP_1) | instid1(VALU_DEP_1)
	v_cndmask_b32_e64 v6, 0, v6, s0
	v_cmp_lt_i32_e64 s0, v71, v13
	v_cndmask_b32_e64 v1, 0, v1, s0
	v_cmp_lt_i32_e64 s0, v70, v12
	s_delay_alu instid0(VALU_DEP_1) | instskip(NEXT) | instid1(VALU_DEP_1)
	v_dual_cndmask_b32 v0, 0, v0, s0 :: v_dual_bitop2_b32 v39, v9, v1 bitop3:0x54
	v_or_b32_e32 v48, v6, v0
.LBB283_1268:                           ;   in Loop: Header=BB283_1069 Depth=1
	s_or_b32 exec_lo, exec_lo, s14
	;;#ASMSTART
	v_pk_mul_f16 v0, v97, v49;

	;;#ASMEND
	;;#ASMSTART
	v_pk_mul_f16 v1, v87, v50;

	;;#ASMEND
	;; [unrolled: 4-line block ×4, first 2 shown]
	;;#ASMSTART
	v_pk_add_f16 v0, v0, v1;

	;;#ASMEND
	;;#ASMSTART
	v_pk_add_f16 v0, v0, v6;

	;;#ASMEND
	;; [unrolled: 4-line block ×3, first 2 shown]
	v_and_b32_e32 v1, 0xffff, v0
	v_lshrrev_b32_e32 v0, 16, v0
	;;#ASMSTART
	v_cvt_f32_f16 v101, v1;
	;;#ASMEND
	;;#ASMSTART
	v_cvt_f32_f16 v102, v0;
	;;#ASMEND
	flat_load_b64 v[48:49], v[28:29] offset:768
	scratch_load_b64 v[0:1], off, s32 offset:192 ; 8-byte Folded Reload
	v_mov_b32_e32 v8, 0
	s_mov_b32 s14, exec_lo
	s_wait_loadcnt 0x0
	flat_load_b32 v38, v[0:1]
	s_wait_dscnt 0x1
	s_wait_xcnt 0x0
	v_and_b32_e32 v0, 0xff, v48
	v_mov_b32_e32 v1, 0
	s_delay_alu instid0(VALU_DEP_2)
	v_cmpx_ne_u16_e32 0, v0
	s_cbranch_execz .LBB283_1276
; %bb.1269:                             ;   in Loop: Header=BB283_1069 Depth=1
	v_mov_b32_e32 v8, 0x8000
	s_mov_b32 s15, exec_lo
	v_cmpx_ne_u16_e32 0x80, v0
	s_cbranch_execz .LBB283_1275
; %bb.1270:                             ;   in Loop: Header=BB283_1069 Depth=1
	v_and_b32_e32 v9, 0x7f, v48
	v_mov_b32_e32 v8, 0x7c01
	s_mov_b32 s16, exec_lo
	s_delay_alu instid0(VALU_DEP_2)
	v_cmpx_ne_u32_e32 0x7f, v9
	s_cbranch_execz .LBB283_1274
; %bb.1271:                             ;   in Loop: Header=BB283_1069 Depth=1
	v_dual_lshrrev_b32 v6, 3, v9 :: v_dual_bitop2_b32 v0, 7, v48 bitop3:0x40
	s_mov_b32 s17, exec_lo
	v_cmpx_gt_u32_e32 8, v9
; %bb.1272:                             ;   in Loop: Header=BB283_1069 Depth=1
	s_delay_alu instid0(VALU_DEP_2) | instskip(NEXT) | instid1(VALU_DEP_1)
	v_clz_i32_u32_e32 v0, v0
	v_min_u32_e32 v0, 32, v0
	s_delay_alu instid0(VALU_DEP_1) | instskip(NEXT) | instid1(VALU_DEP_1)
	v_subrev_nc_u32_e32 v6, 28, v0
	v_lshlrev_b64_e32 v[8:9], v6, v[48:49]
	v_sub_nc_u32_e32 v6, 29, v0
	s_delay_alu instid0(VALU_DEP_2)
	v_and_b32_e32 v0, 7, v8
; %bb.1273:                             ;   in Loop: Header=BB283_1069 Depth=1
	s_or_b32 exec_lo, exec_lo, s17
	v_lshlrev_b32_e32 v8, 8, v48
	s_delay_alu instid0(VALU_DEP_3) | instskip(NEXT) | instid1(VALU_DEP_3)
	v_lshl_add_u32 v6, v6, 10, 0x2000
	v_lshlrev_b32_e32 v0, 7, v0
	s_delay_alu instid0(VALU_DEP_3) | instskip(NEXT) | instid1(VALU_DEP_3)
	v_and_b32_e32 v8, 0x8000, v8
	v_and_b32_e32 v6, 0xfc00, v6
	s_delay_alu instid0(VALU_DEP_1)
	v_or3_b32 v8, v8, v6, v0
.LBB283_1274:                           ;   in Loop: Header=BB283_1069 Depth=1
	s_or_b32 exec_lo, exec_lo, s16
.LBB283_1275:                           ;   in Loop: Header=BB283_1069 Depth=1
	s_delay_alu instid0(SALU_CYCLE_1)
	s_or_b32 exec_lo, exec_lo, s15
.LBB283_1276:                           ;   in Loop: Header=BB283_1069 Depth=1
	s_delay_alu instid0(SALU_CYCLE_1) | instskip(SKIP_2) | instid1(VALU_DEP_1)
	s_or_b32 exec_lo, exec_lo, s14
	v_lshrrev_b16 v6, 8, v48
	s_mov_b32 s14, exec_lo
	v_cmpx_ne_u16_e32 0, v6
	s_cbranch_execz .LBB283_1284
; %bb.1277:                             ;   in Loop: Header=BB283_1069 Depth=1
	v_bfrev_b32_e32 v1, 1
	s_mov_b32 s15, exec_lo
	v_cmpx_ne_u16_e32 0x80, v6
	s_cbranch_execz .LBB283_1283
; %bb.1278:                             ;   in Loop: Header=BB283_1069 Depth=1
	v_and_b32_e32 v0, 0xffff, v6
	v_mov_b32_e32 v1, 0x7c010000
	s_mov_b32 s16, exec_lo
	s_delay_alu instid0(VALU_DEP_2) | instskip(NEXT) | instid1(VALU_DEP_1)
	v_and_b32_e32 v16, 0x7f, v0
	v_cmpx_ne_u32_e32 0x7f, v16
	s_cbranch_execz .LBB283_1282
; %bb.1279:                             ;   in Loop: Header=BB283_1069 Depth=1
	v_and_b32_e32 v1, 7, v0
	v_lshrrev_b32_e32 v9, 3, v16
	s_mov_b32 s17, exec_lo
	v_cmpx_gt_u32_e32 8, v16
; %bb.1280:                             ;   in Loop: Header=BB283_1069 Depth=1
	s_delay_alu instid0(VALU_DEP_3) | instskip(NEXT) | instid1(VALU_DEP_1)
	v_clz_i32_u32_e32 v1, v1
	v_min_u32_e32 v1, 32, v1
	s_delay_alu instid0(VALU_DEP_1) | instskip(NEXT) | instid1(VALU_DEP_1)
	v_subrev_nc_u32_e32 v9, 28, v1
	v_lshlrev_b64_e32 v[16:17], v9, v[6:7]
	s_delay_alu instid0(VALU_DEP_1)
	v_dual_sub_nc_u32 v9, 29, v1 :: v_dual_bitop2_b32 v1, 7, v16 bitop3:0x40
; %bb.1281:                             ;   in Loop: Header=BB283_1069 Depth=1
	s_or_b32 exec_lo, exec_lo, s17
	s_delay_alu instid0(VALU_DEP_1) | instskip(NEXT) | instid1(VALU_DEP_2)
	v_dual_lshlrev_b32 v0, 8, v0 :: v_dual_lshlrev_b32 v1, 23, v1
	v_lshl_add_u32 v6, v9, 10, 0x2000
	s_delay_alu instid0(VALU_DEP_1) | instskip(NEXT) | instid1(VALU_DEP_1)
	v_and_or_b32 v0, 0x8000, v0, v6
	v_lshl_or_b32 v1, v0, 16, v1
.LBB283_1282:                           ;   in Loop: Header=BB283_1069 Depth=1
	s_or_b32 exec_lo, exec_lo, s16
.LBB283_1283:                           ;   in Loop: Header=BB283_1069 Depth=1
	s_delay_alu instid0(SALU_CYCLE_1)
	s_or_b32 exec_lo, exec_lo, s15
.LBB283_1284:                           ;   in Loop: Header=BB283_1069 Depth=1
	s_delay_alu instid0(SALU_CYCLE_1) | instskip(SKIP_3) | instid1(VALU_DEP_2)
	s_or_b32 exec_lo, exec_lo, s14
	v_dual_mov_b32 v9, 0 :: v_dual_lshrrev_b32 v0, 16, v48
	v_mov_b32_e32 v16, 0
	s_mov_b32 s14, exec_lo
	v_and_b32_e32 v6, 0xff, v0
	s_delay_alu instid0(VALU_DEP_1)
	v_cmpx_ne_u16_e32 0, v6
	s_cbranch_execz .LBB283_1292
; %bb.1285:                             ;   in Loop: Header=BB283_1069 Depth=1
	v_mov_b32_e32 v16, 0x8000
	s_mov_b32 s15, exec_lo
	v_cmpx_ne_u16_e32 0x80, v6
	s_cbranch_execz .LBB283_1291
; %bb.1286:                             ;   in Loop: Header=BB283_1069 Depth=1
	v_bfe_u32 v17, v48, 16, 7
	v_mov_b32_e32 v16, 0x7c01
	s_mov_b32 s16, exec_lo
	s_delay_alu instid0(VALU_DEP_2)
	v_cmpx_ne_u32_e32 0x7f, v17
	s_cbranch_execz .LBB283_1290
; %bb.1287:                             ;   in Loop: Header=BB283_1069 Depth=1
	v_dual_lshrrev_b32 v16, 3, v17 :: v_dual_bitop2_b32 v6, 7, v0 bitop3:0x40
	s_mov_b32 s17, exec_lo
	v_cmpx_gt_u32_e32 8, v17
; %bb.1288:                             ;   in Loop: Header=BB283_1069 Depth=1
	s_delay_alu instid0(VALU_DEP_2) | instskip(NEXT) | instid1(VALU_DEP_1)
	v_clz_i32_u32_e32 v6, v6
	v_min_u32_e32 v6, 32, v6
	s_delay_alu instid0(VALU_DEP_1) | instskip(NEXT) | instid1(VALU_DEP_1)
	v_subrev_nc_u32_e32 v16, 28, v6
	v_lshlrev_b64_e32 v[18:19], v16, v[0:1]
	v_sub_nc_u32_e32 v16, 29, v6
	s_delay_alu instid0(VALU_DEP_2)
	v_and_b32_e32 v6, 7, v18
; %bb.1289:                             ;   in Loop: Header=BB283_1069 Depth=1
	s_or_b32 exec_lo, exec_lo, s17
	s_delay_alu instid0(VALU_DEP_1) | instskip(NEXT) | instid1(VALU_DEP_3)
	v_dual_lshlrev_b32 v0, 8, v0 :: v_dual_lshlrev_b32 v6, 7, v6
	v_lshl_add_u32 v16, v16, 10, 0x2000
	s_delay_alu instid0(VALU_DEP_2) | instskip(NEXT) | instid1(VALU_DEP_2)
	v_and_b32_e32 v0, 0x8000, v0
	v_and_b32_e32 v16, 0xfc00, v16
	s_delay_alu instid0(VALU_DEP_1)
	v_or3_b32 v16, v0, v16, v6
.LBB283_1290:                           ;   in Loop: Header=BB283_1069 Depth=1
	s_or_b32 exec_lo, exec_lo, s16
.LBB283_1291:                           ;   in Loop: Header=BB283_1069 Depth=1
	s_delay_alu instid0(SALU_CYCLE_1)
	s_or_b32 exec_lo, exec_lo, s15
.LBB283_1292:                           ;   in Loop: Header=BB283_1069 Depth=1
	s_delay_alu instid0(SALU_CYCLE_1) | instskip(NEXT) | instid1(SALU_CYCLE_1)
	s_or_b32 exec_lo, exec_lo, s14
	s_mov_b32 s14, exec_lo
	v_cmpx_lt_u32_e32 0xffffff, v48
	s_cbranch_execz .LBB283_1300
; %bb.1293:                             ;   in Loop: Header=BB283_1069 Depth=1
	v_lshrrev_b32_e32 v6, 24, v48
	v_bfrev_b32_e32 v9, 1
	s_mov_b32 s15, exec_lo
	s_delay_alu instid0(VALU_DEP_2)
	v_cmpx_ne_u32_e32 0x80, v6
	s_cbranch_execz .LBB283_1299
; %bb.1294:                             ;   in Loop: Header=BB283_1069 Depth=1
	v_and_b32_e32 v17, 0x7f, v6
	v_mov_b32_e32 v9, 0x7c010000
	s_mov_b32 s16, exec_lo
	s_delay_alu instid0(VALU_DEP_2)
	v_cmpx_ne_u32_e32 0x7f, v17
	s_cbranch_execz .LBB283_1298
; %bb.1295:                             ;   in Loop: Header=BB283_1069 Depth=1
	v_dual_lshrrev_b32 v9, 3, v17 :: v_dual_bitop2_b32 v0, 7, v6 bitop3:0x40
	s_mov_b32 s17, exec_lo
	v_cmpx_gt_u32_e32 8, v17
; %bb.1296:                             ;   in Loop: Header=BB283_1069 Depth=1
	s_delay_alu instid0(VALU_DEP_2) | instskip(NEXT) | instid1(VALU_DEP_1)
	v_clz_i32_u32_e32 v0, v0
	v_min_u32_e32 v0, 32, v0
	s_delay_alu instid0(VALU_DEP_1) | instskip(NEXT) | instid1(VALU_DEP_1)
	v_subrev_nc_u32_e32 v9, 28, v0
	v_lshlrev_b64_e32 v[18:19], v9, v[6:7]
	s_delay_alu instid0(VALU_DEP_1)
	v_dual_sub_nc_u32 v9, 29, v0 :: v_dual_bitop2_b32 v0, 7, v18 bitop3:0x40
; %bb.1297:                             ;   in Loop: Header=BB283_1069 Depth=1
	s_or_b32 exec_lo, exec_lo, s17
	s_delay_alu instid0(VALU_DEP_1) | instskip(NEXT) | instid1(VALU_DEP_2)
	v_dual_lshlrev_b32 v6, 8, v6 :: v_dual_lshlrev_b32 v0, 23, v0
	v_lshl_add_u32 v9, v9, 10, 0x2000
	s_delay_alu instid0(VALU_DEP_1) | instskip(NEXT) | instid1(VALU_DEP_1)
	v_and_or_b32 v6, 0x8000, v6, v9
	v_lshl_or_b32 v9, v6, 16, v0
.LBB283_1298:                           ;   in Loop: Header=BB283_1069 Depth=1
	s_or_b32 exec_lo, exec_lo, s16
.LBB283_1299:                           ;   in Loop: Header=BB283_1069 Depth=1
	s_delay_alu instid0(SALU_CYCLE_1)
	s_or_b32 exec_lo, exec_lo, s15
.LBB283_1300:                           ;   in Loop: Header=BB283_1069 Depth=1
	s_delay_alu instid0(SALU_CYCLE_1) | instskip(SKIP_4) | instid1(VALU_DEP_3)
	s_or_b32 exec_lo, exec_lo, s14
	v_and_b32_e32 v0, 0xff, v49
	v_dual_mov_b32 v6, v49 :: v_dual_mov_b32 v18, 0
	v_mov_b32_e32 v17, 0
	s_mov_b32 s14, exec_lo
	v_cmpx_ne_u16_e32 0, v0
	s_cbranch_execz .LBB283_1308
; %bb.1301:                             ;   in Loop: Header=BB283_1069 Depth=1
	v_mov_b32_e32 v17, 0x8000
	s_mov_b32 s15, exec_lo
	v_cmpx_ne_u16_e32 0x80, v0
	s_cbranch_execz .LBB283_1307
; %bb.1302:                             ;   in Loop: Header=BB283_1069 Depth=1
	v_and_b32_e32 v19, 0x7f, v49
	v_mov_b32_e32 v17, 0x7c01
	s_mov_b32 s16, exec_lo
	s_delay_alu instid0(VALU_DEP_2)
	v_cmpx_ne_u32_e32 0x7f, v19
	s_cbranch_execz .LBB283_1306
; %bb.1303:                             ;   in Loop: Header=BB283_1069 Depth=1
	v_dual_lshrrev_b32 v17, 3, v19 :: v_dual_bitop2_b32 v0, 7, v49 bitop3:0x40
	s_mov_b32 s17, exec_lo
	v_cmpx_gt_u32_e32 8, v19
; %bb.1304:                             ;   in Loop: Header=BB283_1069 Depth=1
	s_delay_alu instid0(VALU_DEP_2) | instskip(NEXT) | instid1(VALU_DEP_1)
	v_clz_i32_u32_e32 v0, v0
	v_min_u32_e32 v0, 32, v0
	s_delay_alu instid0(VALU_DEP_1) | instskip(NEXT) | instid1(VALU_DEP_1)
	v_subrev_nc_u32_e32 v17, 28, v0
	v_lshlrev_b64_e32 v[22:23], v17, v[6:7]
	s_delay_alu instid0(VALU_DEP_1)
	v_dual_sub_nc_u32 v17, 29, v0 :: v_dual_bitop2_b32 v0, 7, v22 bitop3:0x40
; %bb.1305:                             ;   in Loop: Header=BB283_1069 Depth=1
	s_or_b32 exec_lo, exec_lo, s17
	s_delay_alu instid0(VALU_DEP_1) | instskip(NEXT) | instid1(VALU_DEP_2)
	v_dual_lshlrev_b32 v19, 8, v49 :: v_dual_lshlrev_b32 v0, 7, v0
	v_lshl_add_u32 v17, v17, 10, 0x2000
	s_delay_alu instid0(VALU_DEP_2) | instskip(NEXT) | instid1(VALU_DEP_2)
	v_and_b32_e32 v19, 0x8000, v19
	v_and_b32_e32 v17, 0xfc00, v17
	s_delay_alu instid0(VALU_DEP_1)
	v_or3_b32 v17, v19, v17, v0
.LBB283_1306:                           ;   in Loop: Header=BB283_1069 Depth=1
	s_or_b32 exec_lo, exec_lo, s16
.LBB283_1307:                           ;   in Loop: Header=BB283_1069 Depth=1
	s_delay_alu instid0(SALU_CYCLE_1)
	s_or_b32 exec_lo, exec_lo, s15
.LBB283_1308:                           ;   in Loop: Header=BB283_1069 Depth=1
	s_delay_alu instid0(SALU_CYCLE_1) | instskip(SKIP_3) | instid1(VALU_DEP_2)
	s_or_b32 exec_lo, exec_lo, s14
	v_lshrrev_b16 v6, 8, v6
	v_mov_b32_e32 v19, 0
	s_mov_b32 s14, exec_lo
	v_cmpx_ne_u16_e32 0, v6
	s_cbranch_execz .LBB283_1316
; %bb.1309:                             ;   in Loop: Header=BB283_1069 Depth=1
	v_bfrev_b32_e32 v19, 1
	s_mov_b32 s15, exec_lo
	v_cmpx_ne_u16_e32 0x80, v6
	s_cbranch_execz .LBB283_1315
; %bb.1310:                             ;   in Loop: Header=BB283_1069 Depth=1
	v_and_b32_e32 v0, 0xffff, v6
	v_mov_b32_e32 v19, 0x7c010000
	s_mov_b32 s16, exec_lo
	s_delay_alu instid0(VALU_DEP_2) | instskip(NEXT) | instid1(VALU_DEP_1)
	v_and_b32_e32 v23, 0x7f, v0
	v_cmpx_ne_u32_e32 0x7f, v23
	s_cbranch_execz .LBB283_1314
; %bb.1311:                             ;   in Loop: Header=BB283_1069 Depth=1
	v_dual_lshrrev_b32 v22, 3, v23 :: v_dual_bitop2_b32 v19, 7, v0 bitop3:0x40
	s_mov_b32 s17, exec_lo
	v_cmpx_gt_u32_e32 8, v23
; %bb.1312:                             ;   in Loop: Header=BB283_1069 Depth=1
	s_delay_alu instid0(VALU_DEP_2) | instskip(NEXT) | instid1(VALU_DEP_1)
	v_clz_i32_u32_e32 v19, v19
	v_min_u32_e32 v19, 32, v19
	s_delay_alu instid0(VALU_DEP_1) | instskip(NEXT) | instid1(VALU_DEP_1)
	v_subrev_nc_u32_e32 v22, 28, v19
	v_lshlrev_b64_e32 v[50:51], v22, v[6:7]
	s_delay_alu instid0(VALU_DEP_1)
	v_dual_sub_nc_u32 v22, 29, v19 :: v_dual_bitop2_b32 v19, 7, v50 bitop3:0x40
; %bb.1313:                             ;   in Loop: Header=BB283_1069 Depth=1
	s_or_b32 exec_lo, exec_lo, s17
	v_lshlrev_b32_e32 v0, 8, v0
	s_delay_alu instid0(VALU_DEP_2) | instskip(NEXT) | instid1(VALU_DEP_1)
	v_lshl_add_u32 v6, v22, 10, 0x2000
	v_and_or_b32 v0, 0x8000, v0, v6
	v_lshlrev_b32_e32 v6, 23, v19
	s_delay_alu instid0(VALU_DEP_1)
	v_lshl_or_b32 v19, v0, 16, v6
.LBB283_1314:                           ;   in Loop: Header=BB283_1069 Depth=1
	s_or_b32 exec_lo, exec_lo, s16
.LBB283_1315:                           ;   in Loop: Header=BB283_1069 Depth=1
	s_delay_alu instid0(SALU_CYCLE_1)
	s_or_b32 exec_lo, exec_lo, s15
.LBB283_1316:                           ;   in Loop: Header=BB283_1069 Depth=1
	s_delay_alu instid0(SALU_CYCLE_1) | instskip(SKIP_2) | instid1(VALU_DEP_1)
	s_or_b32 exec_lo, exec_lo, s14
	v_lshrrev_b32_e32 v0, 16, v49
	s_mov_b32 s14, exec_lo
	v_and_b32_e32 v6, 0xff, v0
	s_delay_alu instid0(VALU_DEP_1)
	v_cmpx_ne_u16_e32 0, v6
	s_cbranch_execz .LBB283_1324
; %bb.1317:                             ;   in Loop: Header=BB283_1069 Depth=1
	v_mov_b32_e32 v18, 0x8000
	s_mov_b32 s15, exec_lo
	v_cmpx_ne_u16_e32 0x80, v6
	s_cbranch_execz .LBB283_1323
; %bb.1318:                             ;   in Loop: Header=BB283_1069 Depth=1
	v_bfe_u32 v22, v49, 16, 7
	v_mov_b32_e32 v18, 0x7c01
	s_mov_b32 s16, exec_lo
	s_delay_alu instid0(VALU_DEP_2)
	v_cmpx_ne_u32_e32 0x7f, v22
	s_cbranch_execz .LBB283_1322
; %bb.1319:                             ;   in Loop: Header=BB283_1069 Depth=1
	v_dual_lshrrev_b32 v18, 3, v22 :: v_dual_bitop2_b32 v6, 7, v0 bitop3:0x40
	s_mov_b32 s17, exec_lo
	v_cmpx_gt_u32_e32 8, v22
; %bb.1320:                             ;   in Loop: Header=BB283_1069 Depth=1
	s_delay_alu instid0(VALU_DEP_2) | instskip(NEXT) | instid1(VALU_DEP_1)
	v_clz_i32_u32_e32 v6, v6
	v_min_u32_e32 v6, 32, v6
	s_delay_alu instid0(VALU_DEP_1) | instskip(NEXT) | instid1(VALU_DEP_1)
	v_subrev_nc_u32_e32 v18, 28, v6
	v_lshlrev_b64_e32 v[22:23], v18, v[0:1]
	v_sub_nc_u32_e32 v18, 29, v6
	s_delay_alu instid0(VALU_DEP_2)
	v_and_b32_e32 v6, 7, v22
; %bb.1321:                             ;   in Loop: Header=BB283_1069 Depth=1
	s_or_b32 exec_lo, exec_lo, s17
	s_delay_alu instid0(VALU_DEP_1) | instskip(NEXT) | instid1(VALU_DEP_3)
	v_dual_lshlrev_b32 v0, 8, v0 :: v_dual_lshlrev_b32 v6, 7, v6
	v_lshl_add_u32 v18, v18, 10, 0x2000
	s_delay_alu instid0(VALU_DEP_2) | instskip(NEXT) | instid1(VALU_DEP_2)
	v_and_b32_e32 v0, 0x8000, v0
	v_and_b32_e32 v18, 0xfc00, v18
	s_delay_alu instid0(VALU_DEP_1)
	v_or3_b32 v18, v0, v18, v6
.LBB283_1322:                           ;   in Loop: Header=BB283_1069 Depth=1
	s_or_b32 exec_lo, exec_lo, s16
.LBB283_1323:                           ;   in Loop: Header=BB283_1069 Depth=1
	s_delay_alu instid0(SALU_CYCLE_1)
	s_or_b32 exec_lo, exec_lo, s15
.LBB283_1324:                           ;   in Loop: Header=BB283_1069 Depth=1
	s_delay_alu instid0(SALU_CYCLE_1)
	s_or_b32 exec_lo, exec_lo, s14
	v_mov_b32_e32 v0, 0
	s_mov_b32 s14, exec_lo
	v_cmpx_lt_u64_e64 s[2:3], v[48:49]
	s_cbranch_execz .LBB283_1332
; %bb.1325:                             ;   in Loop: Header=BB283_1069 Depth=1
	v_lshrrev_b32_e32 v6, 24, v49
	v_bfrev_b32_e32 v0, 1
	s_mov_b32 s15, exec_lo
	s_delay_alu instid0(VALU_DEP_2)
	v_cmpx_ne_u32_e32 0x80, v6
	s_cbranch_execz .LBB283_1331
; %bb.1326:                             ;   in Loop: Header=BB283_1069 Depth=1
	v_and_b32_e32 v23, 0x7f, v6
	v_mov_b32_e32 v0, 0x7c010000
	s_mov_b32 s16, exec_lo
	s_delay_alu instid0(VALU_DEP_2)
	v_cmpx_ne_u32_e32 0x7f, v23
	s_cbranch_execz .LBB283_1330
; %bb.1327:                             ;   in Loop: Header=BB283_1069 Depth=1
	v_dual_lshrrev_b32 v22, 3, v23 :: v_dual_bitop2_b32 v0, 7, v6 bitop3:0x40
	s_mov_b32 s17, exec_lo
	v_cmpx_gt_u32_e32 8, v23
; %bb.1328:                             ;   in Loop: Header=BB283_1069 Depth=1
	s_delay_alu instid0(VALU_DEP_2) | instskip(NEXT) | instid1(VALU_DEP_1)
	v_clz_i32_u32_e32 v0, v0
	v_min_u32_e32 v0, 32, v0
	s_delay_alu instid0(VALU_DEP_1) | instskip(NEXT) | instid1(VALU_DEP_1)
	v_subrev_nc_u32_e32 v22, 28, v0
	v_lshlrev_b64_e32 v[48:49], v22, v[6:7]
	v_sub_nc_u32_e32 v22, 29, v0
	s_delay_alu instid0(VALU_DEP_2)
	v_and_b32_e32 v0, 7, v48
; %bb.1329:                             ;   in Loop: Header=BB283_1069 Depth=1
	s_or_b32 exec_lo, exec_lo, s17
	s_delay_alu instid0(VALU_DEP_1) | instskip(NEXT) | instid1(VALU_DEP_3)
	v_dual_lshlrev_b32 v6, 8, v6 :: v_dual_lshlrev_b32 v0, 23, v0
	v_lshl_add_u32 v22, v22, 10, 0x2000
	s_delay_alu instid0(VALU_DEP_1) | instskip(NEXT) | instid1(VALU_DEP_1)
	v_and_or_b32 v6, 0x8000, v6, v22
	v_lshl_or_b32 v0, v6, 16, v0
.LBB283_1330:                           ;   in Loop: Header=BB283_1069 Depth=1
	s_or_b32 exec_lo, exec_lo, s16
.LBB283_1331:                           ;   in Loop: Header=BB283_1069 Depth=1
	s_delay_alu instid0(SALU_CYCLE_1)
	s_or_b32 exec_lo, exec_lo, s15
.LBB283_1332:                           ;   in Loop: Header=BB283_1069 Depth=1
	s_delay_alu instid0(SALU_CYCLE_1) | instskip(SKIP_2) | instid1(VALU_DEP_2)
	s_or_b32 exec_lo, exec_lo, s14
	v_dual_lshrrev_b32 v6, 16, v1 :: v_dual_bitop2_b32 v1, v1, v8 bitop3:0x54
	v_dual_lshrrev_b32 v22, 16, v9 :: v_dual_bitop2_b32 v16, v9, v16 bitop3:0x54
	v_cvt_f32_f16_e32 v9, v6
	v_dual_lshrrev_b32 v18, 16, v19 :: v_dual_bitop2_b32 v6, v0, v18 bitop3:0x54
	s_delay_alu instid0(VALU_DEP_3)
	v_cvt_f32_f16_e32 v8, v22
	v_dual_lshrrev_b32 v22, 16, v0 :: v_dual_bitop2_b32 v19, v19, v17 bitop3:0x54
	v_cvt_f32_f16_e32 v0, v16
	v_cvt_f32_f16_e32 v1, v1
	s_wait_loadcnt_dscnt 0x0
	v_pk_mul_f32 v[8:9], v[38:39], v[8:9] op_sel_hi:[0,1]
	v_cvt_f32_f16_e32 v17, v18
	v_cvt_f32_f16_e32 v16, v22
	;; [unrolled: 1-line block ×4, first 2 shown]
	v_pk_mul_f32 v[0:1], v[38:39], v[0:1] op_sel_hi:[0,1]
	v_cvt_pk_f16_f32 v6, v8, v9
	v_pk_mul_f32 v[8:9], v[38:39], v[16:17] op_sel_hi:[0,1]
	s_delay_alu instid0(VALU_DEP_4) | instskip(NEXT) | instid1(VALU_DEP_4)
	v_pk_mul_f32 v[16:17], v[38:39], v[18:19] op_sel_hi:[0,1]
	v_cvt_pk_f16_f32 v0, v0, v1
	s_delay_alu instid0(VALU_DEP_4) | instskip(NEXT) | instid1(VALU_DEP_4)
	v_and_b32_e32 v19, 0xffff0000, v6
	v_cvt_pk_f16_f32 v8, v8, v9
	v_lshlrev_b32_e32 v38, 16, v6
	v_cvt_pk_f16_f32 v6, v16, v17
	v_lshrrev_b32_e32 v51, 16, v0
	v_and_b32_e32 v52, 0xffff, v0
	v_and_b32_e32 v1, 0xffff0000, v8
	s_delay_alu instid0(VALU_DEP_4) | instskip(SKIP_3) | instid1(VALU_DEP_4)
	v_dual_lshlrev_b32 v0, 16, v8 :: v_dual_lshrrev_b32 v9, 16, v6
	v_and_b32_e32 v6, 0xffff, v6
	v_or_b32_e32 v49, v19, v51
	v_or_b32_e32 v50, v38, v52
	;; [unrolled: 1-line block ×3, first 2 shown]
	s_delay_alu instid0(VALU_DEP_4)
	v_or_b32_e32 v48, v0, v6
	s_and_saveexec_b32 s14, vcc_lo
	s_cbranch_execz .LBB283_1334
; %bb.1333:                             ;   in Loop: Header=BB283_1069 Depth=1
	v_cmp_lt_i32_e64 s0, v69, v13
	s_delay_alu instid0(VALU_DEP_1) | instskip(SKIP_1) | instid1(VALU_DEP_1)
	v_cndmask_b32_e64 v8, 0, v51, s0
	v_cmp_lt_i32_e64 s0, v84, v12
	v_cndmask_b32_e64 v16, 0, v52, s0
	v_cmp_lt_i32_e64 s0, v83, v13
	s_delay_alu instid0(VALU_DEP_1) | instskip(SKIP_1) | instid1(VALU_DEP_1)
	v_cndmask_b32_e64 v17, 0, v19, s0
	v_cmp_lt_i32_e64 s0, v82, v12
	v_cndmask_b32_e64 v18, 0, v38, s0
	v_cmp_lt_i32_e64 s0, v81, v13
	s_delay_alu instid0(VALU_DEP_4) | instskip(NEXT) | instid1(VALU_DEP_2)
	v_or_b32_e32 v49, v8, v17
	v_dual_cndmask_b32 v9, 0, v9, s0 :: v_dual_bitop2_b32 v50, v16, v18 bitop3:0x54
	v_cmp_lt_i32_e64 s0, v80, v12
	s_delay_alu instid0(VALU_DEP_1) | instskip(SKIP_1) | instid1(VALU_DEP_1)
	v_cndmask_b32_e64 v6, 0, v6, s0
	v_cmp_lt_i32_e64 s0, v71, v13
	v_cndmask_b32_e64 v1, 0, v1, s0
	v_cmp_lt_i32_e64 s0, v70, v12
	s_delay_alu instid0(VALU_DEP_1) | instskip(NEXT) | instid1(VALU_DEP_1)
	v_dual_cndmask_b32 v0, 0, v0, s0 :: v_dual_bitop2_b32 v39, v9, v1 bitop3:0x54
	v_or_b32_e32 v48, v6, v0
.LBB283_1334:                           ;   in Loop: Header=BB283_1069 Depth=1
	s_or_b32 exec_lo, exec_lo, s14
	;;#ASMSTART
	v_pk_mul_f16 v0, v97, v49;

	;;#ASMEND
	;;#ASMSTART
	v_pk_mul_f16 v1, v87, v50;

	;;#ASMEND
	;; [unrolled: 4-line block ×4, first 2 shown]
	;;#ASMSTART
	v_pk_add_f16 v0, v0, v1;

	;;#ASMEND
	;;#ASMSTART
	v_pk_add_f16 v0, v0, v6;

	;;#ASMEND
	;; [unrolled: 4-line block ×3, first 2 shown]
	v_and_b32_e32 v1, 0xffff, v0
	v_lshrrev_b32_e32 v0, 16, v0
	;;#ASMSTART
	v_cvt_f32_f16 v103, v1;
	;;#ASMEND
	;;#ASMSTART
	v_cvt_f32_f16 v112, v0;
	;;#ASMEND
	flat_load_b64 v[48:49], v[28:29] offset:1024
	scratch_load_b64 v[0:1], off, s32 offset:192 ; 8-byte Folded Reload
	v_mov_b32_e32 v8, 0
	s_mov_b32 s14, exec_lo
	s_wait_loadcnt 0x0
	flat_load_b32 v38, v[0:1]
	s_wait_dscnt 0x1
	s_wait_xcnt 0x0
	v_and_b32_e32 v0, 0xff, v48
	v_mov_b32_e32 v1, 0
	s_delay_alu instid0(VALU_DEP_2)
	v_cmpx_ne_u16_e32 0, v0
	s_cbranch_execz .LBB283_1342
; %bb.1335:                             ;   in Loop: Header=BB283_1069 Depth=1
	v_mov_b32_e32 v8, 0x8000
	s_mov_b32 s15, exec_lo
	v_cmpx_ne_u16_e32 0x80, v0
	s_cbranch_execz .LBB283_1341
; %bb.1336:                             ;   in Loop: Header=BB283_1069 Depth=1
	v_and_b32_e32 v9, 0x7f, v48
	v_mov_b32_e32 v8, 0x7c01
	s_mov_b32 s16, exec_lo
	s_delay_alu instid0(VALU_DEP_2)
	v_cmpx_ne_u32_e32 0x7f, v9
	s_cbranch_execz .LBB283_1340
; %bb.1337:                             ;   in Loop: Header=BB283_1069 Depth=1
	v_dual_lshrrev_b32 v6, 3, v9 :: v_dual_bitop2_b32 v0, 7, v48 bitop3:0x40
	s_mov_b32 s17, exec_lo
	v_cmpx_gt_u32_e32 8, v9
; %bb.1338:                             ;   in Loop: Header=BB283_1069 Depth=1
	s_delay_alu instid0(VALU_DEP_2) | instskip(NEXT) | instid1(VALU_DEP_1)
	v_clz_i32_u32_e32 v0, v0
	v_min_u32_e32 v0, 32, v0
	s_delay_alu instid0(VALU_DEP_1) | instskip(NEXT) | instid1(VALU_DEP_1)
	v_subrev_nc_u32_e32 v6, 28, v0
	v_lshlrev_b64_e32 v[8:9], v6, v[48:49]
	v_sub_nc_u32_e32 v6, 29, v0
	s_delay_alu instid0(VALU_DEP_2)
	v_and_b32_e32 v0, 7, v8
; %bb.1339:                             ;   in Loop: Header=BB283_1069 Depth=1
	s_or_b32 exec_lo, exec_lo, s17
	v_lshlrev_b32_e32 v8, 8, v48
	s_delay_alu instid0(VALU_DEP_3) | instskip(NEXT) | instid1(VALU_DEP_3)
	v_lshl_add_u32 v6, v6, 10, 0x2000
	v_lshlrev_b32_e32 v0, 7, v0
	s_delay_alu instid0(VALU_DEP_3) | instskip(NEXT) | instid1(VALU_DEP_3)
	v_and_b32_e32 v8, 0x8000, v8
	v_and_b32_e32 v6, 0xfc00, v6
	s_delay_alu instid0(VALU_DEP_1)
	v_or3_b32 v8, v8, v6, v0
.LBB283_1340:                           ;   in Loop: Header=BB283_1069 Depth=1
	s_or_b32 exec_lo, exec_lo, s16
.LBB283_1341:                           ;   in Loop: Header=BB283_1069 Depth=1
	s_delay_alu instid0(SALU_CYCLE_1)
	s_or_b32 exec_lo, exec_lo, s15
.LBB283_1342:                           ;   in Loop: Header=BB283_1069 Depth=1
	s_delay_alu instid0(SALU_CYCLE_1) | instskip(SKIP_2) | instid1(VALU_DEP_1)
	s_or_b32 exec_lo, exec_lo, s14
	v_lshrrev_b16 v6, 8, v48
	s_mov_b32 s14, exec_lo
	v_cmpx_ne_u16_e32 0, v6
	s_cbranch_execz .LBB283_1350
; %bb.1343:                             ;   in Loop: Header=BB283_1069 Depth=1
	v_bfrev_b32_e32 v1, 1
	s_mov_b32 s15, exec_lo
	v_cmpx_ne_u16_e32 0x80, v6
	s_cbranch_execz .LBB283_1349
; %bb.1344:                             ;   in Loop: Header=BB283_1069 Depth=1
	v_and_b32_e32 v0, 0xffff, v6
	v_mov_b32_e32 v1, 0x7c010000
	s_mov_b32 s16, exec_lo
	s_delay_alu instid0(VALU_DEP_2) | instskip(NEXT) | instid1(VALU_DEP_1)
	v_and_b32_e32 v16, 0x7f, v0
	v_cmpx_ne_u32_e32 0x7f, v16
	s_cbranch_execz .LBB283_1348
; %bb.1345:                             ;   in Loop: Header=BB283_1069 Depth=1
	v_and_b32_e32 v1, 7, v0
	v_lshrrev_b32_e32 v9, 3, v16
	s_mov_b32 s17, exec_lo
	v_cmpx_gt_u32_e32 8, v16
; %bb.1346:                             ;   in Loop: Header=BB283_1069 Depth=1
	s_delay_alu instid0(VALU_DEP_3) | instskip(NEXT) | instid1(VALU_DEP_1)
	v_clz_i32_u32_e32 v1, v1
	v_min_u32_e32 v1, 32, v1
	s_delay_alu instid0(VALU_DEP_1) | instskip(NEXT) | instid1(VALU_DEP_1)
	v_subrev_nc_u32_e32 v9, 28, v1
	v_lshlrev_b64_e32 v[16:17], v9, v[6:7]
	s_delay_alu instid0(VALU_DEP_1)
	v_dual_sub_nc_u32 v9, 29, v1 :: v_dual_bitop2_b32 v1, 7, v16 bitop3:0x40
; %bb.1347:                             ;   in Loop: Header=BB283_1069 Depth=1
	s_or_b32 exec_lo, exec_lo, s17
	s_delay_alu instid0(VALU_DEP_1) | instskip(NEXT) | instid1(VALU_DEP_2)
	v_dual_lshlrev_b32 v0, 8, v0 :: v_dual_lshlrev_b32 v1, 23, v1
	v_lshl_add_u32 v6, v9, 10, 0x2000
	s_delay_alu instid0(VALU_DEP_1) | instskip(NEXT) | instid1(VALU_DEP_1)
	v_and_or_b32 v0, 0x8000, v0, v6
	v_lshl_or_b32 v1, v0, 16, v1
.LBB283_1348:                           ;   in Loop: Header=BB283_1069 Depth=1
	s_or_b32 exec_lo, exec_lo, s16
.LBB283_1349:                           ;   in Loop: Header=BB283_1069 Depth=1
	s_delay_alu instid0(SALU_CYCLE_1)
	s_or_b32 exec_lo, exec_lo, s15
.LBB283_1350:                           ;   in Loop: Header=BB283_1069 Depth=1
	s_delay_alu instid0(SALU_CYCLE_1) | instskip(SKIP_3) | instid1(VALU_DEP_2)
	s_or_b32 exec_lo, exec_lo, s14
	v_dual_mov_b32 v9, 0 :: v_dual_lshrrev_b32 v0, 16, v48
	v_mov_b32_e32 v16, 0
	s_mov_b32 s14, exec_lo
	v_and_b32_e32 v6, 0xff, v0
	s_delay_alu instid0(VALU_DEP_1)
	v_cmpx_ne_u16_e32 0, v6
	s_cbranch_execz .LBB283_1358
; %bb.1351:                             ;   in Loop: Header=BB283_1069 Depth=1
	v_mov_b32_e32 v16, 0x8000
	s_mov_b32 s15, exec_lo
	v_cmpx_ne_u16_e32 0x80, v6
	s_cbranch_execz .LBB283_1357
; %bb.1352:                             ;   in Loop: Header=BB283_1069 Depth=1
	v_bfe_u32 v17, v48, 16, 7
	v_mov_b32_e32 v16, 0x7c01
	s_mov_b32 s16, exec_lo
	s_delay_alu instid0(VALU_DEP_2)
	v_cmpx_ne_u32_e32 0x7f, v17
	s_cbranch_execz .LBB283_1356
; %bb.1353:                             ;   in Loop: Header=BB283_1069 Depth=1
	v_dual_lshrrev_b32 v16, 3, v17 :: v_dual_bitop2_b32 v6, 7, v0 bitop3:0x40
	s_mov_b32 s17, exec_lo
	v_cmpx_gt_u32_e32 8, v17
; %bb.1354:                             ;   in Loop: Header=BB283_1069 Depth=1
	s_delay_alu instid0(VALU_DEP_2) | instskip(NEXT) | instid1(VALU_DEP_1)
	v_clz_i32_u32_e32 v6, v6
	v_min_u32_e32 v6, 32, v6
	s_delay_alu instid0(VALU_DEP_1) | instskip(NEXT) | instid1(VALU_DEP_1)
	v_subrev_nc_u32_e32 v16, 28, v6
	v_lshlrev_b64_e32 v[18:19], v16, v[0:1]
	v_sub_nc_u32_e32 v16, 29, v6
	s_delay_alu instid0(VALU_DEP_2)
	v_and_b32_e32 v6, 7, v18
; %bb.1355:                             ;   in Loop: Header=BB283_1069 Depth=1
	s_or_b32 exec_lo, exec_lo, s17
	s_delay_alu instid0(VALU_DEP_1) | instskip(NEXT) | instid1(VALU_DEP_3)
	v_dual_lshlrev_b32 v0, 8, v0 :: v_dual_lshlrev_b32 v6, 7, v6
	v_lshl_add_u32 v16, v16, 10, 0x2000
	s_delay_alu instid0(VALU_DEP_2) | instskip(NEXT) | instid1(VALU_DEP_2)
	v_and_b32_e32 v0, 0x8000, v0
	v_and_b32_e32 v16, 0xfc00, v16
	s_delay_alu instid0(VALU_DEP_1)
	v_or3_b32 v16, v0, v16, v6
.LBB283_1356:                           ;   in Loop: Header=BB283_1069 Depth=1
	s_or_b32 exec_lo, exec_lo, s16
.LBB283_1357:                           ;   in Loop: Header=BB283_1069 Depth=1
	s_delay_alu instid0(SALU_CYCLE_1)
	s_or_b32 exec_lo, exec_lo, s15
.LBB283_1358:                           ;   in Loop: Header=BB283_1069 Depth=1
	s_delay_alu instid0(SALU_CYCLE_1) | instskip(NEXT) | instid1(SALU_CYCLE_1)
	s_or_b32 exec_lo, exec_lo, s14
	s_mov_b32 s14, exec_lo
	v_cmpx_lt_u32_e32 0xffffff, v48
	s_cbranch_execz .LBB283_1366
; %bb.1359:                             ;   in Loop: Header=BB283_1069 Depth=1
	v_lshrrev_b32_e32 v6, 24, v48
	v_bfrev_b32_e32 v9, 1
	s_mov_b32 s15, exec_lo
	s_delay_alu instid0(VALU_DEP_2)
	v_cmpx_ne_u32_e32 0x80, v6
	s_cbranch_execz .LBB283_1365
; %bb.1360:                             ;   in Loop: Header=BB283_1069 Depth=1
	v_and_b32_e32 v17, 0x7f, v6
	v_mov_b32_e32 v9, 0x7c010000
	s_mov_b32 s16, exec_lo
	s_delay_alu instid0(VALU_DEP_2)
	v_cmpx_ne_u32_e32 0x7f, v17
	s_cbranch_execz .LBB283_1364
; %bb.1361:                             ;   in Loop: Header=BB283_1069 Depth=1
	v_dual_lshrrev_b32 v9, 3, v17 :: v_dual_bitop2_b32 v0, 7, v6 bitop3:0x40
	s_mov_b32 s17, exec_lo
	v_cmpx_gt_u32_e32 8, v17
; %bb.1362:                             ;   in Loop: Header=BB283_1069 Depth=1
	s_delay_alu instid0(VALU_DEP_2) | instskip(NEXT) | instid1(VALU_DEP_1)
	v_clz_i32_u32_e32 v0, v0
	v_min_u32_e32 v0, 32, v0
	s_delay_alu instid0(VALU_DEP_1) | instskip(NEXT) | instid1(VALU_DEP_1)
	v_subrev_nc_u32_e32 v9, 28, v0
	v_lshlrev_b64_e32 v[18:19], v9, v[6:7]
	s_delay_alu instid0(VALU_DEP_1)
	v_dual_sub_nc_u32 v9, 29, v0 :: v_dual_bitop2_b32 v0, 7, v18 bitop3:0x40
; %bb.1363:                             ;   in Loop: Header=BB283_1069 Depth=1
	s_or_b32 exec_lo, exec_lo, s17
	s_delay_alu instid0(VALU_DEP_1) | instskip(NEXT) | instid1(VALU_DEP_2)
	v_dual_lshlrev_b32 v6, 8, v6 :: v_dual_lshlrev_b32 v0, 23, v0
	v_lshl_add_u32 v9, v9, 10, 0x2000
	s_delay_alu instid0(VALU_DEP_1) | instskip(NEXT) | instid1(VALU_DEP_1)
	v_and_or_b32 v6, 0x8000, v6, v9
	v_lshl_or_b32 v9, v6, 16, v0
.LBB283_1364:                           ;   in Loop: Header=BB283_1069 Depth=1
	s_or_b32 exec_lo, exec_lo, s16
.LBB283_1365:                           ;   in Loop: Header=BB283_1069 Depth=1
	s_delay_alu instid0(SALU_CYCLE_1)
	s_or_b32 exec_lo, exec_lo, s15
.LBB283_1366:                           ;   in Loop: Header=BB283_1069 Depth=1
	s_delay_alu instid0(SALU_CYCLE_1) | instskip(SKIP_4) | instid1(VALU_DEP_3)
	s_or_b32 exec_lo, exec_lo, s14
	v_and_b32_e32 v0, 0xff, v49
	v_dual_mov_b32 v6, v49 :: v_dual_mov_b32 v18, 0
	v_mov_b32_e32 v17, 0
	s_mov_b32 s14, exec_lo
	v_cmpx_ne_u16_e32 0, v0
	s_cbranch_execz .LBB283_1374
; %bb.1367:                             ;   in Loop: Header=BB283_1069 Depth=1
	v_mov_b32_e32 v17, 0x8000
	s_mov_b32 s15, exec_lo
	v_cmpx_ne_u16_e32 0x80, v0
	s_cbranch_execz .LBB283_1373
; %bb.1368:                             ;   in Loop: Header=BB283_1069 Depth=1
	v_and_b32_e32 v19, 0x7f, v49
	v_mov_b32_e32 v17, 0x7c01
	s_mov_b32 s16, exec_lo
	s_delay_alu instid0(VALU_DEP_2)
	v_cmpx_ne_u32_e32 0x7f, v19
	s_cbranch_execz .LBB283_1372
; %bb.1369:                             ;   in Loop: Header=BB283_1069 Depth=1
	v_dual_lshrrev_b32 v17, 3, v19 :: v_dual_bitop2_b32 v0, 7, v49 bitop3:0x40
	s_mov_b32 s17, exec_lo
	v_cmpx_gt_u32_e32 8, v19
; %bb.1370:                             ;   in Loop: Header=BB283_1069 Depth=1
	s_delay_alu instid0(VALU_DEP_2) | instskip(NEXT) | instid1(VALU_DEP_1)
	v_clz_i32_u32_e32 v0, v0
	v_min_u32_e32 v0, 32, v0
	s_delay_alu instid0(VALU_DEP_1) | instskip(NEXT) | instid1(VALU_DEP_1)
	v_subrev_nc_u32_e32 v17, 28, v0
	v_lshlrev_b64_e32 v[22:23], v17, v[6:7]
	s_delay_alu instid0(VALU_DEP_1)
	v_dual_sub_nc_u32 v17, 29, v0 :: v_dual_bitop2_b32 v0, 7, v22 bitop3:0x40
; %bb.1371:                             ;   in Loop: Header=BB283_1069 Depth=1
	s_or_b32 exec_lo, exec_lo, s17
	s_delay_alu instid0(VALU_DEP_1) | instskip(NEXT) | instid1(VALU_DEP_2)
	v_dual_lshlrev_b32 v19, 8, v49 :: v_dual_lshlrev_b32 v0, 7, v0
	v_lshl_add_u32 v17, v17, 10, 0x2000
	s_delay_alu instid0(VALU_DEP_2) | instskip(NEXT) | instid1(VALU_DEP_2)
	v_and_b32_e32 v19, 0x8000, v19
	v_and_b32_e32 v17, 0xfc00, v17
	s_delay_alu instid0(VALU_DEP_1)
	v_or3_b32 v17, v19, v17, v0
.LBB283_1372:                           ;   in Loop: Header=BB283_1069 Depth=1
	s_or_b32 exec_lo, exec_lo, s16
.LBB283_1373:                           ;   in Loop: Header=BB283_1069 Depth=1
	s_delay_alu instid0(SALU_CYCLE_1)
	s_or_b32 exec_lo, exec_lo, s15
.LBB283_1374:                           ;   in Loop: Header=BB283_1069 Depth=1
	s_delay_alu instid0(SALU_CYCLE_1) | instskip(SKIP_3) | instid1(VALU_DEP_2)
	s_or_b32 exec_lo, exec_lo, s14
	v_lshrrev_b16 v6, 8, v6
	v_mov_b32_e32 v19, 0
	s_mov_b32 s14, exec_lo
	v_cmpx_ne_u16_e32 0, v6
	s_cbranch_execz .LBB283_1382
; %bb.1375:                             ;   in Loop: Header=BB283_1069 Depth=1
	v_bfrev_b32_e32 v19, 1
	s_mov_b32 s15, exec_lo
	v_cmpx_ne_u16_e32 0x80, v6
	s_cbranch_execz .LBB283_1381
; %bb.1376:                             ;   in Loop: Header=BB283_1069 Depth=1
	v_and_b32_e32 v0, 0xffff, v6
	v_mov_b32_e32 v19, 0x7c010000
	s_mov_b32 s16, exec_lo
	s_delay_alu instid0(VALU_DEP_2) | instskip(NEXT) | instid1(VALU_DEP_1)
	v_and_b32_e32 v23, 0x7f, v0
	v_cmpx_ne_u32_e32 0x7f, v23
	s_cbranch_execz .LBB283_1380
; %bb.1377:                             ;   in Loop: Header=BB283_1069 Depth=1
	v_dual_lshrrev_b32 v22, 3, v23 :: v_dual_bitop2_b32 v19, 7, v0 bitop3:0x40
	s_mov_b32 s17, exec_lo
	v_cmpx_gt_u32_e32 8, v23
; %bb.1378:                             ;   in Loop: Header=BB283_1069 Depth=1
	s_delay_alu instid0(VALU_DEP_2) | instskip(NEXT) | instid1(VALU_DEP_1)
	v_clz_i32_u32_e32 v19, v19
	v_min_u32_e32 v19, 32, v19
	s_delay_alu instid0(VALU_DEP_1) | instskip(NEXT) | instid1(VALU_DEP_1)
	v_subrev_nc_u32_e32 v22, 28, v19
	v_lshlrev_b64_e32 v[50:51], v22, v[6:7]
	s_delay_alu instid0(VALU_DEP_1)
	v_dual_sub_nc_u32 v22, 29, v19 :: v_dual_bitop2_b32 v19, 7, v50 bitop3:0x40
; %bb.1379:                             ;   in Loop: Header=BB283_1069 Depth=1
	s_or_b32 exec_lo, exec_lo, s17
	v_lshlrev_b32_e32 v0, 8, v0
	s_delay_alu instid0(VALU_DEP_2) | instskip(NEXT) | instid1(VALU_DEP_1)
	v_lshl_add_u32 v6, v22, 10, 0x2000
	v_and_or_b32 v0, 0x8000, v0, v6
	v_lshlrev_b32_e32 v6, 23, v19
	s_delay_alu instid0(VALU_DEP_1)
	v_lshl_or_b32 v19, v0, 16, v6
.LBB283_1380:                           ;   in Loop: Header=BB283_1069 Depth=1
	s_or_b32 exec_lo, exec_lo, s16
.LBB283_1381:                           ;   in Loop: Header=BB283_1069 Depth=1
	s_delay_alu instid0(SALU_CYCLE_1)
	s_or_b32 exec_lo, exec_lo, s15
.LBB283_1382:                           ;   in Loop: Header=BB283_1069 Depth=1
	s_delay_alu instid0(SALU_CYCLE_1) | instskip(SKIP_2) | instid1(VALU_DEP_1)
	s_or_b32 exec_lo, exec_lo, s14
	v_lshrrev_b32_e32 v0, 16, v49
	s_mov_b32 s14, exec_lo
	v_and_b32_e32 v6, 0xff, v0
	s_delay_alu instid0(VALU_DEP_1)
	v_cmpx_ne_u16_e32 0, v6
	s_cbranch_execz .LBB283_1390
; %bb.1383:                             ;   in Loop: Header=BB283_1069 Depth=1
	v_mov_b32_e32 v18, 0x8000
	s_mov_b32 s15, exec_lo
	v_cmpx_ne_u16_e32 0x80, v6
	s_cbranch_execz .LBB283_1389
; %bb.1384:                             ;   in Loop: Header=BB283_1069 Depth=1
	v_bfe_u32 v22, v49, 16, 7
	v_mov_b32_e32 v18, 0x7c01
	s_mov_b32 s16, exec_lo
	s_delay_alu instid0(VALU_DEP_2)
	v_cmpx_ne_u32_e32 0x7f, v22
	s_cbranch_execz .LBB283_1388
; %bb.1385:                             ;   in Loop: Header=BB283_1069 Depth=1
	v_dual_lshrrev_b32 v18, 3, v22 :: v_dual_bitop2_b32 v6, 7, v0 bitop3:0x40
	s_mov_b32 s17, exec_lo
	v_cmpx_gt_u32_e32 8, v22
; %bb.1386:                             ;   in Loop: Header=BB283_1069 Depth=1
	s_delay_alu instid0(VALU_DEP_2) | instskip(NEXT) | instid1(VALU_DEP_1)
	v_clz_i32_u32_e32 v6, v6
	v_min_u32_e32 v6, 32, v6
	s_delay_alu instid0(VALU_DEP_1) | instskip(NEXT) | instid1(VALU_DEP_1)
	v_subrev_nc_u32_e32 v18, 28, v6
	v_lshlrev_b64_e32 v[22:23], v18, v[0:1]
	v_sub_nc_u32_e32 v18, 29, v6
	s_delay_alu instid0(VALU_DEP_2)
	v_and_b32_e32 v6, 7, v22
; %bb.1387:                             ;   in Loop: Header=BB283_1069 Depth=1
	s_or_b32 exec_lo, exec_lo, s17
	s_delay_alu instid0(VALU_DEP_1) | instskip(NEXT) | instid1(VALU_DEP_3)
	v_dual_lshlrev_b32 v0, 8, v0 :: v_dual_lshlrev_b32 v6, 7, v6
	v_lshl_add_u32 v18, v18, 10, 0x2000
	s_delay_alu instid0(VALU_DEP_2) | instskip(NEXT) | instid1(VALU_DEP_2)
	v_and_b32_e32 v0, 0x8000, v0
	v_and_b32_e32 v18, 0xfc00, v18
	s_delay_alu instid0(VALU_DEP_1)
	v_or3_b32 v18, v0, v18, v6
.LBB283_1388:                           ;   in Loop: Header=BB283_1069 Depth=1
	s_or_b32 exec_lo, exec_lo, s16
.LBB283_1389:                           ;   in Loop: Header=BB283_1069 Depth=1
	s_delay_alu instid0(SALU_CYCLE_1)
	s_or_b32 exec_lo, exec_lo, s15
.LBB283_1390:                           ;   in Loop: Header=BB283_1069 Depth=1
	s_delay_alu instid0(SALU_CYCLE_1)
	s_or_b32 exec_lo, exec_lo, s14
	v_mov_b32_e32 v0, 0
	s_mov_b32 s14, exec_lo
	v_cmpx_lt_u64_e64 s[2:3], v[48:49]
	s_cbranch_execz .LBB283_1398
; %bb.1391:                             ;   in Loop: Header=BB283_1069 Depth=1
	v_lshrrev_b32_e32 v6, 24, v49
	v_bfrev_b32_e32 v0, 1
	s_mov_b32 s15, exec_lo
	s_delay_alu instid0(VALU_DEP_2)
	v_cmpx_ne_u32_e32 0x80, v6
	s_cbranch_execz .LBB283_1397
; %bb.1392:                             ;   in Loop: Header=BB283_1069 Depth=1
	v_and_b32_e32 v23, 0x7f, v6
	v_mov_b32_e32 v0, 0x7c010000
	s_mov_b32 s16, exec_lo
	s_delay_alu instid0(VALU_DEP_2)
	v_cmpx_ne_u32_e32 0x7f, v23
	s_cbranch_execz .LBB283_1396
; %bb.1393:                             ;   in Loop: Header=BB283_1069 Depth=1
	v_dual_lshrrev_b32 v22, 3, v23 :: v_dual_bitop2_b32 v0, 7, v6 bitop3:0x40
	s_mov_b32 s17, exec_lo
	v_cmpx_gt_u32_e32 8, v23
; %bb.1394:                             ;   in Loop: Header=BB283_1069 Depth=1
	s_delay_alu instid0(VALU_DEP_2) | instskip(NEXT) | instid1(VALU_DEP_1)
	v_clz_i32_u32_e32 v0, v0
	v_min_u32_e32 v0, 32, v0
	s_delay_alu instid0(VALU_DEP_1) | instskip(NEXT) | instid1(VALU_DEP_1)
	v_subrev_nc_u32_e32 v22, 28, v0
	v_lshlrev_b64_e32 v[48:49], v22, v[6:7]
	v_sub_nc_u32_e32 v22, 29, v0
	s_delay_alu instid0(VALU_DEP_2)
	v_and_b32_e32 v0, 7, v48
; %bb.1395:                             ;   in Loop: Header=BB283_1069 Depth=1
	s_or_b32 exec_lo, exec_lo, s17
	s_delay_alu instid0(VALU_DEP_1) | instskip(NEXT) | instid1(VALU_DEP_3)
	v_dual_lshlrev_b32 v6, 8, v6 :: v_dual_lshlrev_b32 v0, 23, v0
	v_lshl_add_u32 v22, v22, 10, 0x2000
	s_delay_alu instid0(VALU_DEP_1) | instskip(NEXT) | instid1(VALU_DEP_1)
	v_and_or_b32 v6, 0x8000, v6, v22
	v_lshl_or_b32 v0, v6, 16, v0
.LBB283_1396:                           ;   in Loop: Header=BB283_1069 Depth=1
	s_or_b32 exec_lo, exec_lo, s16
.LBB283_1397:                           ;   in Loop: Header=BB283_1069 Depth=1
	s_delay_alu instid0(SALU_CYCLE_1)
	s_or_b32 exec_lo, exec_lo, s15
.LBB283_1398:                           ;   in Loop: Header=BB283_1069 Depth=1
	s_delay_alu instid0(SALU_CYCLE_1) | instskip(SKIP_2) | instid1(VALU_DEP_2)
	s_or_b32 exec_lo, exec_lo, s14
	v_dual_lshrrev_b32 v6, 16, v1 :: v_dual_bitop2_b32 v1, v1, v8 bitop3:0x54
	v_dual_lshrrev_b32 v22, 16, v9 :: v_dual_bitop2_b32 v16, v9, v16 bitop3:0x54
	v_cvt_f32_f16_e32 v9, v6
	v_dual_lshrrev_b32 v18, 16, v19 :: v_dual_bitop2_b32 v6, v0, v18 bitop3:0x54
	s_delay_alu instid0(VALU_DEP_3)
	v_cvt_f32_f16_e32 v8, v22
	v_dual_lshrrev_b32 v22, 16, v0 :: v_dual_bitop2_b32 v19, v19, v17 bitop3:0x54
	v_cvt_f32_f16_e32 v0, v16
	v_cvt_f32_f16_e32 v1, v1
	s_wait_loadcnt_dscnt 0x0
	v_pk_mul_f32 v[8:9], v[38:39], v[8:9] op_sel_hi:[0,1]
	v_cvt_f32_f16_e32 v17, v18
	v_cvt_f32_f16_e32 v16, v22
	;; [unrolled: 1-line block ×4, first 2 shown]
	v_pk_mul_f32 v[0:1], v[38:39], v[0:1] op_sel_hi:[0,1]
	v_cvt_pk_f16_f32 v6, v8, v9
	v_pk_mul_f32 v[8:9], v[38:39], v[16:17] op_sel_hi:[0,1]
	s_delay_alu instid0(VALU_DEP_4) | instskip(NEXT) | instid1(VALU_DEP_4)
	v_pk_mul_f32 v[16:17], v[38:39], v[18:19] op_sel_hi:[0,1]
	v_cvt_pk_f16_f32 v0, v0, v1
	s_delay_alu instid0(VALU_DEP_4) | instskip(NEXT) | instid1(VALU_DEP_4)
	v_and_b32_e32 v19, 0xffff0000, v6
	v_cvt_pk_f16_f32 v8, v8, v9
	v_lshlrev_b32_e32 v38, 16, v6
	v_cvt_pk_f16_f32 v6, v16, v17
	v_lshrrev_b32_e32 v51, 16, v0
	v_and_b32_e32 v52, 0xffff, v0
	v_and_b32_e32 v1, 0xffff0000, v8
	s_delay_alu instid0(VALU_DEP_4) | instskip(SKIP_3) | instid1(VALU_DEP_4)
	v_dual_lshlrev_b32 v0, 16, v8 :: v_dual_lshrrev_b32 v9, 16, v6
	v_and_b32_e32 v6, 0xffff, v6
	v_or_b32_e32 v49, v19, v51
	v_or_b32_e32 v50, v38, v52
	;; [unrolled: 1-line block ×3, first 2 shown]
	s_delay_alu instid0(VALU_DEP_4)
	v_or_b32_e32 v48, v0, v6
	s_and_saveexec_b32 s14, vcc_lo
	s_cbranch_execz .LBB283_1400
; %bb.1399:                             ;   in Loop: Header=BB283_1069 Depth=1
	v_cmp_lt_i32_e64 s0, v69, v13
	s_delay_alu instid0(VALU_DEP_1) | instskip(SKIP_1) | instid1(VALU_DEP_1)
	v_cndmask_b32_e64 v8, 0, v51, s0
	v_cmp_lt_i32_e64 s0, v84, v12
	v_cndmask_b32_e64 v16, 0, v52, s0
	v_cmp_lt_i32_e64 s0, v83, v13
	s_delay_alu instid0(VALU_DEP_1) | instskip(SKIP_1) | instid1(VALU_DEP_1)
	v_cndmask_b32_e64 v17, 0, v19, s0
	v_cmp_lt_i32_e64 s0, v82, v12
	v_cndmask_b32_e64 v18, 0, v38, s0
	v_cmp_lt_i32_e64 s0, v81, v13
	s_delay_alu instid0(VALU_DEP_4) | instskip(NEXT) | instid1(VALU_DEP_2)
	v_or_b32_e32 v49, v8, v17
	v_dual_cndmask_b32 v9, 0, v9, s0 :: v_dual_bitop2_b32 v50, v16, v18 bitop3:0x54
	v_cmp_lt_i32_e64 s0, v80, v12
	s_delay_alu instid0(VALU_DEP_1) | instskip(SKIP_1) | instid1(VALU_DEP_1)
	v_cndmask_b32_e64 v6, 0, v6, s0
	v_cmp_lt_i32_e64 s0, v71, v13
	v_cndmask_b32_e64 v1, 0, v1, s0
	v_cmp_lt_i32_e64 s0, v70, v12
	s_delay_alu instid0(VALU_DEP_1) | instskip(NEXT) | instid1(VALU_DEP_1)
	v_dual_cndmask_b32 v0, 0, v0, s0 :: v_dual_bitop2_b32 v39, v9, v1 bitop3:0x54
	v_or_b32_e32 v48, v6, v0
.LBB283_1400:                           ;   in Loop: Header=BB283_1069 Depth=1
	s_or_b32 exec_lo, exec_lo, s14
	;;#ASMSTART
	v_pk_mul_f16 v0, v97, v49;

	;;#ASMEND
	;;#ASMSTART
	v_pk_mul_f16 v1, v87, v50;

	;;#ASMEND
	;;#ASMSTART
	v_pk_mul_f16 v6, v86, v39;

	;;#ASMEND
	;;#ASMSTART
	v_pk_mul_f16 v8, v85, v48;

	;;#ASMEND
	;;#ASMSTART
	v_pk_add_f16 v0, v0, v1;

	;;#ASMEND
	;;#ASMSTART
	v_pk_add_f16 v0, v0, v6;

	;;#ASMEND
	;; [unrolled: 4-line block ×3, first 2 shown]
	v_and_b32_e32 v1, 0xffff, v0
	v_lshrrev_b32_e32 v0, 16, v0
	;;#ASMSTART
	v_cvt_f32_f16 v113, v1;
	;;#ASMEND
	;;#ASMSTART
	v_cvt_f32_f16 v114, v0;
	;;#ASMEND
	flat_load_b64 v[48:49], v[28:29] offset:1280
	scratch_load_b64 v[0:1], off, s32 offset:192 ; 8-byte Folded Reload
	v_mov_b32_e32 v8, 0
	s_mov_b32 s14, exec_lo
	s_wait_loadcnt 0x0
	flat_load_b32 v38, v[0:1]
	s_wait_dscnt 0x1
	s_wait_xcnt 0x0
	v_and_b32_e32 v0, 0xff, v48
	v_mov_b32_e32 v1, 0
	s_delay_alu instid0(VALU_DEP_2)
	v_cmpx_ne_u16_e32 0, v0
	s_cbranch_execz .LBB283_1408
; %bb.1401:                             ;   in Loop: Header=BB283_1069 Depth=1
	v_mov_b32_e32 v8, 0x8000
	s_mov_b32 s15, exec_lo
	v_cmpx_ne_u16_e32 0x80, v0
	s_cbranch_execz .LBB283_1407
; %bb.1402:                             ;   in Loop: Header=BB283_1069 Depth=1
	v_and_b32_e32 v9, 0x7f, v48
	v_mov_b32_e32 v8, 0x7c01
	s_mov_b32 s16, exec_lo
	s_delay_alu instid0(VALU_DEP_2)
	v_cmpx_ne_u32_e32 0x7f, v9
	s_cbranch_execz .LBB283_1406
; %bb.1403:                             ;   in Loop: Header=BB283_1069 Depth=1
	v_dual_lshrrev_b32 v6, 3, v9 :: v_dual_bitop2_b32 v0, 7, v48 bitop3:0x40
	s_mov_b32 s17, exec_lo
	v_cmpx_gt_u32_e32 8, v9
; %bb.1404:                             ;   in Loop: Header=BB283_1069 Depth=1
	s_delay_alu instid0(VALU_DEP_2) | instskip(NEXT) | instid1(VALU_DEP_1)
	v_clz_i32_u32_e32 v0, v0
	v_min_u32_e32 v0, 32, v0
	s_delay_alu instid0(VALU_DEP_1) | instskip(NEXT) | instid1(VALU_DEP_1)
	v_subrev_nc_u32_e32 v6, 28, v0
	v_lshlrev_b64_e32 v[8:9], v6, v[48:49]
	v_sub_nc_u32_e32 v6, 29, v0
	s_delay_alu instid0(VALU_DEP_2)
	v_and_b32_e32 v0, 7, v8
; %bb.1405:                             ;   in Loop: Header=BB283_1069 Depth=1
	s_or_b32 exec_lo, exec_lo, s17
	v_lshlrev_b32_e32 v8, 8, v48
	s_delay_alu instid0(VALU_DEP_3) | instskip(NEXT) | instid1(VALU_DEP_3)
	v_lshl_add_u32 v6, v6, 10, 0x2000
	v_lshlrev_b32_e32 v0, 7, v0
	s_delay_alu instid0(VALU_DEP_3) | instskip(NEXT) | instid1(VALU_DEP_3)
	v_and_b32_e32 v8, 0x8000, v8
	v_and_b32_e32 v6, 0xfc00, v6
	s_delay_alu instid0(VALU_DEP_1)
	v_or3_b32 v8, v8, v6, v0
.LBB283_1406:                           ;   in Loop: Header=BB283_1069 Depth=1
	s_or_b32 exec_lo, exec_lo, s16
.LBB283_1407:                           ;   in Loop: Header=BB283_1069 Depth=1
	s_delay_alu instid0(SALU_CYCLE_1)
	s_or_b32 exec_lo, exec_lo, s15
.LBB283_1408:                           ;   in Loop: Header=BB283_1069 Depth=1
	s_delay_alu instid0(SALU_CYCLE_1) | instskip(SKIP_2) | instid1(VALU_DEP_1)
	s_or_b32 exec_lo, exec_lo, s14
	v_lshrrev_b16 v6, 8, v48
	s_mov_b32 s14, exec_lo
	v_cmpx_ne_u16_e32 0, v6
	s_cbranch_execz .LBB283_1416
; %bb.1409:                             ;   in Loop: Header=BB283_1069 Depth=1
	v_bfrev_b32_e32 v1, 1
	s_mov_b32 s15, exec_lo
	v_cmpx_ne_u16_e32 0x80, v6
	s_cbranch_execz .LBB283_1415
; %bb.1410:                             ;   in Loop: Header=BB283_1069 Depth=1
	v_and_b32_e32 v0, 0xffff, v6
	v_mov_b32_e32 v1, 0x7c010000
	s_mov_b32 s16, exec_lo
	s_delay_alu instid0(VALU_DEP_2) | instskip(NEXT) | instid1(VALU_DEP_1)
	v_and_b32_e32 v16, 0x7f, v0
	v_cmpx_ne_u32_e32 0x7f, v16
	s_cbranch_execz .LBB283_1414
; %bb.1411:                             ;   in Loop: Header=BB283_1069 Depth=1
	v_and_b32_e32 v1, 7, v0
	v_lshrrev_b32_e32 v9, 3, v16
	s_mov_b32 s17, exec_lo
	v_cmpx_gt_u32_e32 8, v16
; %bb.1412:                             ;   in Loop: Header=BB283_1069 Depth=1
	s_delay_alu instid0(VALU_DEP_3) | instskip(NEXT) | instid1(VALU_DEP_1)
	v_clz_i32_u32_e32 v1, v1
	v_min_u32_e32 v1, 32, v1
	s_delay_alu instid0(VALU_DEP_1) | instskip(NEXT) | instid1(VALU_DEP_1)
	v_subrev_nc_u32_e32 v9, 28, v1
	v_lshlrev_b64_e32 v[16:17], v9, v[6:7]
	s_delay_alu instid0(VALU_DEP_1)
	v_dual_sub_nc_u32 v9, 29, v1 :: v_dual_bitop2_b32 v1, 7, v16 bitop3:0x40
; %bb.1413:                             ;   in Loop: Header=BB283_1069 Depth=1
	s_or_b32 exec_lo, exec_lo, s17
	s_delay_alu instid0(VALU_DEP_1) | instskip(NEXT) | instid1(VALU_DEP_2)
	v_dual_lshlrev_b32 v0, 8, v0 :: v_dual_lshlrev_b32 v1, 23, v1
	v_lshl_add_u32 v6, v9, 10, 0x2000
	s_delay_alu instid0(VALU_DEP_1) | instskip(NEXT) | instid1(VALU_DEP_1)
	v_and_or_b32 v0, 0x8000, v0, v6
	v_lshl_or_b32 v1, v0, 16, v1
.LBB283_1414:                           ;   in Loop: Header=BB283_1069 Depth=1
	s_or_b32 exec_lo, exec_lo, s16
.LBB283_1415:                           ;   in Loop: Header=BB283_1069 Depth=1
	s_delay_alu instid0(SALU_CYCLE_1)
	s_or_b32 exec_lo, exec_lo, s15
.LBB283_1416:                           ;   in Loop: Header=BB283_1069 Depth=1
	s_delay_alu instid0(SALU_CYCLE_1) | instskip(SKIP_3) | instid1(VALU_DEP_2)
	s_or_b32 exec_lo, exec_lo, s14
	v_dual_mov_b32 v9, 0 :: v_dual_lshrrev_b32 v0, 16, v48
	v_mov_b32_e32 v16, 0
	s_mov_b32 s14, exec_lo
	v_and_b32_e32 v6, 0xff, v0
	s_delay_alu instid0(VALU_DEP_1)
	v_cmpx_ne_u16_e32 0, v6
	s_cbranch_execz .LBB283_1424
; %bb.1417:                             ;   in Loop: Header=BB283_1069 Depth=1
	v_mov_b32_e32 v16, 0x8000
	s_mov_b32 s15, exec_lo
	v_cmpx_ne_u16_e32 0x80, v6
	s_cbranch_execz .LBB283_1423
; %bb.1418:                             ;   in Loop: Header=BB283_1069 Depth=1
	v_bfe_u32 v17, v48, 16, 7
	v_mov_b32_e32 v16, 0x7c01
	s_mov_b32 s16, exec_lo
	s_delay_alu instid0(VALU_DEP_2)
	v_cmpx_ne_u32_e32 0x7f, v17
	s_cbranch_execz .LBB283_1422
; %bb.1419:                             ;   in Loop: Header=BB283_1069 Depth=1
	v_dual_lshrrev_b32 v16, 3, v17 :: v_dual_bitop2_b32 v6, 7, v0 bitop3:0x40
	s_mov_b32 s17, exec_lo
	v_cmpx_gt_u32_e32 8, v17
; %bb.1420:                             ;   in Loop: Header=BB283_1069 Depth=1
	s_delay_alu instid0(VALU_DEP_2) | instskip(NEXT) | instid1(VALU_DEP_1)
	v_clz_i32_u32_e32 v6, v6
	v_min_u32_e32 v6, 32, v6
	s_delay_alu instid0(VALU_DEP_1) | instskip(NEXT) | instid1(VALU_DEP_1)
	v_subrev_nc_u32_e32 v16, 28, v6
	v_lshlrev_b64_e32 v[18:19], v16, v[0:1]
	v_sub_nc_u32_e32 v16, 29, v6
	s_delay_alu instid0(VALU_DEP_2)
	v_and_b32_e32 v6, 7, v18
; %bb.1421:                             ;   in Loop: Header=BB283_1069 Depth=1
	s_or_b32 exec_lo, exec_lo, s17
	s_delay_alu instid0(VALU_DEP_1) | instskip(NEXT) | instid1(VALU_DEP_3)
	v_dual_lshlrev_b32 v0, 8, v0 :: v_dual_lshlrev_b32 v6, 7, v6
	v_lshl_add_u32 v16, v16, 10, 0x2000
	s_delay_alu instid0(VALU_DEP_2) | instskip(NEXT) | instid1(VALU_DEP_2)
	v_and_b32_e32 v0, 0x8000, v0
	v_and_b32_e32 v16, 0xfc00, v16
	s_delay_alu instid0(VALU_DEP_1)
	v_or3_b32 v16, v0, v16, v6
.LBB283_1422:                           ;   in Loop: Header=BB283_1069 Depth=1
	s_or_b32 exec_lo, exec_lo, s16
.LBB283_1423:                           ;   in Loop: Header=BB283_1069 Depth=1
	s_delay_alu instid0(SALU_CYCLE_1)
	s_or_b32 exec_lo, exec_lo, s15
.LBB283_1424:                           ;   in Loop: Header=BB283_1069 Depth=1
	s_delay_alu instid0(SALU_CYCLE_1) | instskip(NEXT) | instid1(SALU_CYCLE_1)
	s_or_b32 exec_lo, exec_lo, s14
	s_mov_b32 s14, exec_lo
	v_cmpx_lt_u32_e32 0xffffff, v48
	s_cbranch_execz .LBB283_1432
; %bb.1425:                             ;   in Loop: Header=BB283_1069 Depth=1
	v_lshrrev_b32_e32 v6, 24, v48
	v_bfrev_b32_e32 v9, 1
	s_mov_b32 s15, exec_lo
	s_delay_alu instid0(VALU_DEP_2)
	v_cmpx_ne_u32_e32 0x80, v6
	s_cbranch_execz .LBB283_1431
; %bb.1426:                             ;   in Loop: Header=BB283_1069 Depth=1
	v_and_b32_e32 v17, 0x7f, v6
	v_mov_b32_e32 v9, 0x7c010000
	s_mov_b32 s16, exec_lo
	s_delay_alu instid0(VALU_DEP_2)
	v_cmpx_ne_u32_e32 0x7f, v17
	s_cbranch_execz .LBB283_1430
; %bb.1427:                             ;   in Loop: Header=BB283_1069 Depth=1
	v_dual_lshrrev_b32 v9, 3, v17 :: v_dual_bitop2_b32 v0, 7, v6 bitop3:0x40
	s_mov_b32 s17, exec_lo
	v_cmpx_gt_u32_e32 8, v17
; %bb.1428:                             ;   in Loop: Header=BB283_1069 Depth=1
	s_delay_alu instid0(VALU_DEP_2) | instskip(NEXT) | instid1(VALU_DEP_1)
	v_clz_i32_u32_e32 v0, v0
	v_min_u32_e32 v0, 32, v0
	s_delay_alu instid0(VALU_DEP_1) | instskip(NEXT) | instid1(VALU_DEP_1)
	v_subrev_nc_u32_e32 v9, 28, v0
	v_lshlrev_b64_e32 v[18:19], v9, v[6:7]
	s_delay_alu instid0(VALU_DEP_1)
	v_dual_sub_nc_u32 v9, 29, v0 :: v_dual_bitop2_b32 v0, 7, v18 bitop3:0x40
; %bb.1429:                             ;   in Loop: Header=BB283_1069 Depth=1
	s_or_b32 exec_lo, exec_lo, s17
	s_delay_alu instid0(VALU_DEP_1) | instskip(NEXT) | instid1(VALU_DEP_2)
	v_dual_lshlrev_b32 v6, 8, v6 :: v_dual_lshlrev_b32 v0, 23, v0
	v_lshl_add_u32 v9, v9, 10, 0x2000
	s_delay_alu instid0(VALU_DEP_1) | instskip(NEXT) | instid1(VALU_DEP_1)
	v_and_or_b32 v6, 0x8000, v6, v9
	v_lshl_or_b32 v9, v6, 16, v0
.LBB283_1430:                           ;   in Loop: Header=BB283_1069 Depth=1
	s_or_b32 exec_lo, exec_lo, s16
.LBB283_1431:                           ;   in Loop: Header=BB283_1069 Depth=1
	s_delay_alu instid0(SALU_CYCLE_1)
	s_or_b32 exec_lo, exec_lo, s15
.LBB283_1432:                           ;   in Loop: Header=BB283_1069 Depth=1
	s_delay_alu instid0(SALU_CYCLE_1) | instskip(SKIP_4) | instid1(VALU_DEP_3)
	s_or_b32 exec_lo, exec_lo, s14
	v_and_b32_e32 v0, 0xff, v49
	v_dual_mov_b32 v6, v49 :: v_dual_mov_b32 v18, 0
	v_mov_b32_e32 v17, 0
	s_mov_b32 s14, exec_lo
	v_cmpx_ne_u16_e32 0, v0
	s_cbranch_execz .LBB283_1440
; %bb.1433:                             ;   in Loop: Header=BB283_1069 Depth=1
	v_mov_b32_e32 v17, 0x8000
	s_mov_b32 s15, exec_lo
	v_cmpx_ne_u16_e32 0x80, v0
	s_cbranch_execz .LBB283_1439
; %bb.1434:                             ;   in Loop: Header=BB283_1069 Depth=1
	v_and_b32_e32 v19, 0x7f, v49
	v_mov_b32_e32 v17, 0x7c01
	s_mov_b32 s16, exec_lo
	s_delay_alu instid0(VALU_DEP_2)
	v_cmpx_ne_u32_e32 0x7f, v19
	s_cbranch_execz .LBB283_1438
; %bb.1435:                             ;   in Loop: Header=BB283_1069 Depth=1
	v_dual_lshrrev_b32 v17, 3, v19 :: v_dual_bitop2_b32 v0, 7, v49 bitop3:0x40
	s_mov_b32 s17, exec_lo
	v_cmpx_gt_u32_e32 8, v19
; %bb.1436:                             ;   in Loop: Header=BB283_1069 Depth=1
	s_delay_alu instid0(VALU_DEP_2) | instskip(NEXT) | instid1(VALU_DEP_1)
	v_clz_i32_u32_e32 v0, v0
	v_min_u32_e32 v0, 32, v0
	s_delay_alu instid0(VALU_DEP_1) | instskip(NEXT) | instid1(VALU_DEP_1)
	v_subrev_nc_u32_e32 v17, 28, v0
	v_lshlrev_b64_e32 v[22:23], v17, v[6:7]
	s_delay_alu instid0(VALU_DEP_1)
	v_dual_sub_nc_u32 v17, 29, v0 :: v_dual_bitop2_b32 v0, 7, v22 bitop3:0x40
; %bb.1437:                             ;   in Loop: Header=BB283_1069 Depth=1
	s_or_b32 exec_lo, exec_lo, s17
	s_delay_alu instid0(VALU_DEP_1) | instskip(NEXT) | instid1(VALU_DEP_2)
	v_dual_lshlrev_b32 v19, 8, v49 :: v_dual_lshlrev_b32 v0, 7, v0
	v_lshl_add_u32 v17, v17, 10, 0x2000
	s_delay_alu instid0(VALU_DEP_2) | instskip(NEXT) | instid1(VALU_DEP_2)
	v_and_b32_e32 v19, 0x8000, v19
	v_and_b32_e32 v17, 0xfc00, v17
	s_delay_alu instid0(VALU_DEP_1)
	v_or3_b32 v17, v19, v17, v0
.LBB283_1438:                           ;   in Loop: Header=BB283_1069 Depth=1
	s_or_b32 exec_lo, exec_lo, s16
.LBB283_1439:                           ;   in Loop: Header=BB283_1069 Depth=1
	s_delay_alu instid0(SALU_CYCLE_1)
	s_or_b32 exec_lo, exec_lo, s15
.LBB283_1440:                           ;   in Loop: Header=BB283_1069 Depth=1
	s_delay_alu instid0(SALU_CYCLE_1) | instskip(SKIP_3) | instid1(VALU_DEP_2)
	s_or_b32 exec_lo, exec_lo, s14
	v_lshrrev_b16 v6, 8, v6
	v_mov_b32_e32 v19, 0
	s_mov_b32 s14, exec_lo
	v_cmpx_ne_u16_e32 0, v6
	s_cbranch_execz .LBB283_1448
; %bb.1441:                             ;   in Loop: Header=BB283_1069 Depth=1
	v_bfrev_b32_e32 v19, 1
	s_mov_b32 s15, exec_lo
	v_cmpx_ne_u16_e32 0x80, v6
	s_cbranch_execz .LBB283_1447
; %bb.1442:                             ;   in Loop: Header=BB283_1069 Depth=1
	v_and_b32_e32 v0, 0xffff, v6
	v_mov_b32_e32 v19, 0x7c010000
	s_mov_b32 s16, exec_lo
	s_delay_alu instid0(VALU_DEP_2) | instskip(NEXT) | instid1(VALU_DEP_1)
	v_and_b32_e32 v23, 0x7f, v0
	v_cmpx_ne_u32_e32 0x7f, v23
	s_cbranch_execz .LBB283_1446
; %bb.1443:                             ;   in Loop: Header=BB283_1069 Depth=1
	v_dual_lshrrev_b32 v22, 3, v23 :: v_dual_bitop2_b32 v19, 7, v0 bitop3:0x40
	s_mov_b32 s17, exec_lo
	v_cmpx_gt_u32_e32 8, v23
; %bb.1444:                             ;   in Loop: Header=BB283_1069 Depth=1
	s_delay_alu instid0(VALU_DEP_2) | instskip(NEXT) | instid1(VALU_DEP_1)
	v_clz_i32_u32_e32 v19, v19
	v_min_u32_e32 v19, 32, v19
	s_delay_alu instid0(VALU_DEP_1) | instskip(NEXT) | instid1(VALU_DEP_1)
	v_subrev_nc_u32_e32 v22, 28, v19
	v_lshlrev_b64_e32 v[50:51], v22, v[6:7]
	s_delay_alu instid0(VALU_DEP_1)
	v_dual_sub_nc_u32 v22, 29, v19 :: v_dual_bitop2_b32 v19, 7, v50 bitop3:0x40
; %bb.1445:                             ;   in Loop: Header=BB283_1069 Depth=1
	s_or_b32 exec_lo, exec_lo, s17
	v_lshlrev_b32_e32 v0, 8, v0
	s_delay_alu instid0(VALU_DEP_2) | instskip(NEXT) | instid1(VALU_DEP_1)
	v_lshl_add_u32 v6, v22, 10, 0x2000
	v_and_or_b32 v0, 0x8000, v0, v6
	v_lshlrev_b32_e32 v6, 23, v19
	s_delay_alu instid0(VALU_DEP_1)
	v_lshl_or_b32 v19, v0, 16, v6
.LBB283_1446:                           ;   in Loop: Header=BB283_1069 Depth=1
	s_or_b32 exec_lo, exec_lo, s16
.LBB283_1447:                           ;   in Loop: Header=BB283_1069 Depth=1
	s_delay_alu instid0(SALU_CYCLE_1)
	s_or_b32 exec_lo, exec_lo, s15
.LBB283_1448:                           ;   in Loop: Header=BB283_1069 Depth=1
	s_delay_alu instid0(SALU_CYCLE_1) | instskip(SKIP_2) | instid1(VALU_DEP_1)
	s_or_b32 exec_lo, exec_lo, s14
	v_lshrrev_b32_e32 v0, 16, v49
	s_mov_b32 s14, exec_lo
	v_and_b32_e32 v6, 0xff, v0
	s_delay_alu instid0(VALU_DEP_1)
	v_cmpx_ne_u16_e32 0, v6
	s_cbranch_execz .LBB283_1456
; %bb.1449:                             ;   in Loop: Header=BB283_1069 Depth=1
	v_mov_b32_e32 v18, 0x8000
	s_mov_b32 s15, exec_lo
	v_cmpx_ne_u16_e32 0x80, v6
	s_cbranch_execz .LBB283_1455
; %bb.1450:                             ;   in Loop: Header=BB283_1069 Depth=1
	v_bfe_u32 v22, v49, 16, 7
	v_mov_b32_e32 v18, 0x7c01
	s_mov_b32 s16, exec_lo
	s_delay_alu instid0(VALU_DEP_2)
	v_cmpx_ne_u32_e32 0x7f, v22
	s_cbranch_execz .LBB283_1454
; %bb.1451:                             ;   in Loop: Header=BB283_1069 Depth=1
	v_dual_lshrrev_b32 v18, 3, v22 :: v_dual_bitop2_b32 v6, 7, v0 bitop3:0x40
	s_mov_b32 s17, exec_lo
	v_cmpx_gt_u32_e32 8, v22
; %bb.1452:                             ;   in Loop: Header=BB283_1069 Depth=1
	s_delay_alu instid0(VALU_DEP_2) | instskip(NEXT) | instid1(VALU_DEP_1)
	v_clz_i32_u32_e32 v6, v6
	v_min_u32_e32 v6, 32, v6
	s_delay_alu instid0(VALU_DEP_1) | instskip(NEXT) | instid1(VALU_DEP_1)
	v_subrev_nc_u32_e32 v18, 28, v6
	v_lshlrev_b64_e32 v[22:23], v18, v[0:1]
	v_sub_nc_u32_e32 v18, 29, v6
	s_delay_alu instid0(VALU_DEP_2)
	v_and_b32_e32 v6, 7, v22
; %bb.1453:                             ;   in Loop: Header=BB283_1069 Depth=1
	s_or_b32 exec_lo, exec_lo, s17
	s_delay_alu instid0(VALU_DEP_1) | instskip(NEXT) | instid1(VALU_DEP_3)
	v_dual_lshlrev_b32 v0, 8, v0 :: v_dual_lshlrev_b32 v6, 7, v6
	v_lshl_add_u32 v18, v18, 10, 0x2000
	s_delay_alu instid0(VALU_DEP_2) | instskip(NEXT) | instid1(VALU_DEP_2)
	v_and_b32_e32 v0, 0x8000, v0
	v_and_b32_e32 v18, 0xfc00, v18
	s_delay_alu instid0(VALU_DEP_1)
	v_or3_b32 v18, v0, v18, v6
.LBB283_1454:                           ;   in Loop: Header=BB283_1069 Depth=1
	s_or_b32 exec_lo, exec_lo, s16
.LBB283_1455:                           ;   in Loop: Header=BB283_1069 Depth=1
	s_delay_alu instid0(SALU_CYCLE_1)
	s_or_b32 exec_lo, exec_lo, s15
.LBB283_1456:                           ;   in Loop: Header=BB283_1069 Depth=1
	s_delay_alu instid0(SALU_CYCLE_1)
	s_or_b32 exec_lo, exec_lo, s14
	v_mov_b32_e32 v0, 0
	s_mov_b32 s14, exec_lo
	v_cmpx_lt_u64_e64 s[2:3], v[48:49]
	s_cbranch_execz .LBB283_1464
; %bb.1457:                             ;   in Loop: Header=BB283_1069 Depth=1
	v_lshrrev_b32_e32 v6, 24, v49
	v_bfrev_b32_e32 v0, 1
	s_mov_b32 s15, exec_lo
	s_delay_alu instid0(VALU_DEP_2)
	v_cmpx_ne_u32_e32 0x80, v6
	s_cbranch_execz .LBB283_1463
; %bb.1458:                             ;   in Loop: Header=BB283_1069 Depth=1
	v_and_b32_e32 v23, 0x7f, v6
	v_mov_b32_e32 v0, 0x7c010000
	s_mov_b32 s16, exec_lo
	s_delay_alu instid0(VALU_DEP_2)
	v_cmpx_ne_u32_e32 0x7f, v23
	s_cbranch_execz .LBB283_1462
; %bb.1459:                             ;   in Loop: Header=BB283_1069 Depth=1
	v_dual_lshrrev_b32 v22, 3, v23 :: v_dual_bitop2_b32 v0, 7, v6 bitop3:0x40
	s_mov_b32 s17, exec_lo
	v_cmpx_gt_u32_e32 8, v23
; %bb.1460:                             ;   in Loop: Header=BB283_1069 Depth=1
	s_delay_alu instid0(VALU_DEP_2) | instskip(NEXT) | instid1(VALU_DEP_1)
	v_clz_i32_u32_e32 v0, v0
	v_min_u32_e32 v0, 32, v0
	s_delay_alu instid0(VALU_DEP_1) | instskip(NEXT) | instid1(VALU_DEP_1)
	v_subrev_nc_u32_e32 v22, 28, v0
	v_lshlrev_b64_e32 v[48:49], v22, v[6:7]
	v_sub_nc_u32_e32 v22, 29, v0
	s_delay_alu instid0(VALU_DEP_2)
	v_and_b32_e32 v0, 7, v48
; %bb.1461:                             ;   in Loop: Header=BB283_1069 Depth=1
	s_or_b32 exec_lo, exec_lo, s17
	s_delay_alu instid0(VALU_DEP_1) | instskip(NEXT) | instid1(VALU_DEP_3)
	v_dual_lshlrev_b32 v6, 8, v6 :: v_dual_lshlrev_b32 v0, 23, v0
	v_lshl_add_u32 v22, v22, 10, 0x2000
	s_delay_alu instid0(VALU_DEP_1) | instskip(NEXT) | instid1(VALU_DEP_1)
	v_and_or_b32 v6, 0x8000, v6, v22
	v_lshl_or_b32 v0, v6, 16, v0
.LBB283_1462:                           ;   in Loop: Header=BB283_1069 Depth=1
	s_or_b32 exec_lo, exec_lo, s16
.LBB283_1463:                           ;   in Loop: Header=BB283_1069 Depth=1
	s_delay_alu instid0(SALU_CYCLE_1)
	s_or_b32 exec_lo, exec_lo, s15
.LBB283_1464:                           ;   in Loop: Header=BB283_1069 Depth=1
	s_delay_alu instid0(SALU_CYCLE_1) | instskip(SKIP_2) | instid1(VALU_DEP_2)
	s_or_b32 exec_lo, exec_lo, s14
	v_dual_lshrrev_b32 v6, 16, v1 :: v_dual_bitop2_b32 v1, v1, v8 bitop3:0x54
	v_dual_lshrrev_b32 v22, 16, v9 :: v_dual_bitop2_b32 v16, v9, v16 bitop3:0x54
	v_cvt_f32_f16_e32 v9, v6
	v_dual_lshrrev_b32 v18, 16, v19 :: v_dual_bitop2_b32 v6, v0, v18 bitop3:0x54
	s_delay_alu instid0(VALU_DEP_3)
	v_cvt_f32_f16_e32 v8, v22
	v_dual_lshrrev_b32 v22, 16, v0 :: v_dual_bitop2_b32 v19, v19, v17 bitop3:0x54
	v_cvt_f32_f16_e32 v0, v16
	v_cvt_f32_f16_e32 v1, v1
	s_wait_loadcnt_dscnt 0x0
	v_pk_mul_f32 v[8:9], v[38:39], v[8:9] op_sel_hi:[0,1]
	v_cvt_f32_f16_e32 v17, v18
	v_cvt_f32_f16_e32 v16, v22
	;; [unrolled: 1-line block ×4, first 2 shown]
	v_pk_mul_f32 v[0:1], v[38:39], v[0:1] op_sel_hi:[0,1]
	v_cvt_pk_f16_f32 v6, v8, v9
	v_pk_mul_f32 v[8:9], v[38:39], v[16:17] op_sel_hi:[0,1]
	s_delay_alu instid0(VALU_DEP_4) | instskip(NEXT) | instid1(VALU_DEP_4)
	v_pk_mul_f32 v[16:17], v[38:39], v[18:19] op_sel_hi:[0,1]
	v_cvt_pk_f16_f32 v0, v0, v1
	s_delay_alu instid0(VALU_DEP_4) | instskip(NEXT) | instid1(VALU_DEP_4)
	v_and_b32_e32 v19, 0xffff0000, v6
	v_cvt_pk_f16_f32 v8, v8, v9
	v_lshlrev_b32_e32 v38, 16, v6
	v_cvt_pk_f16_f32 v6, v16, v17
	v_lshrrev_b32_e32 v51, 16, v0
	v_and_b32_e32 v52, 0xffff, v0
	v_and_b32_e32 v1, 0xffff0000, v8
	s_delay_alu instid0(VALU_DEP_4) | instskip(SKIP_3) | instid1(VALU_DEP_4)
	v_dual_lshlrev_b32 v0, 16, v8 :: v_dual_lshrrev_b32 v9, 16, v6
	v_and_b32_e32 v6, 0xffff, v6
	v_or_b32_e32 v49, v19, v51
	v_or_b32_e32 v50, v38, v52
	;; [unrolled: 1-line block ×3, first 2 shown]
	s_delay_alu instid0(VALU_DEP_4)
	v_or_b32_e32 v48, v0, v6
	s_and_saveexec_b32 s14, vcc_lo
	s_cbranch_execz .LBB283_1466
; %bb.1465:                             ;   in Loop: Header=BB283_1069 Depth=1
	v_cmp_lt_i32_e64 s0, v69, v13
	s_delay_alu instid0(VALU_DEP_1) | instskip(SKIP_1) | instid1(VALU_DEP_1)
	v_cndmask_b32_e64 v8, 0, v51, s0
	v_cmp_lt_i32_e64 s0, v84, v12
	v_cndmask_b32_e64 v16, 0, v52, s0
	v_cmp_lt_i32_e64 s0, v83, v13
	s_delay_alu instid0(VALU_DEP_1) | instskip(SKIP_1) | instid1(VALU_DEP_1)
	v_cndmask_b32_e64 v17, 0, v19, s0
	v_cmp_lt_i32_e64 s0, v82, v12
	v_cndmask_b32_e64 v18, 0, v38, s0
	v_cmp_lt_i32_e64 s0, v81, v13
	s_delay_alu instid0(VALU_DEP_4) | instskip(NEXT) | instid1(VALU_DEP_2)
	v_or_b32_e32 v49, v8, v17
	v_dual_cndmask_b32 v9, 0, v9, s0 :: v_dual_bitop2_b32 v50, v16, v18 bitop3:0x54
	v_cmp_lt_i32_e64 s0, v80, v12
	s_delay_alu instid0(VALU_DEP_1) | instskip(SKIP_1) | instid1(VALU_DEP_1)
	v_cndmask_b32_e64 v6, 0, v6, s0
	v_cmp_lt_i32_e64 s0, v71, v13
	v_cndmask_b32_e64 v1, 0, v1, s0
	v_cmp_lt_i32_e64 s0, v70, v12
	s_delay_alu instid0(VALU_DEP_1) | instskip(NEXT) | instid1(VALU_DEP_1)
	v_dual_cndmask_b32 v0, 0, v0, s0 :: v_dual_bitop2_b32 v39, v9, v1 bitop3:0x54
	v_or_b32_e32 v48, v6, v0
.LBB283_1466:                           ;   in Loop: Header=BB283_1069 Depth=1
	s_or_b32 exec_lo, exec_lo, s14
	;;#ASMSTART
	v_pk_mul_f16 v0, v97, v49;

	;;#ASMEND
	;;#ASMSTART
	v_pk_mul_f16 v1, v87, v50;

	;;#ASMEND
	;; [unrolled: 4-line block ×4, first 2 shown]
	;;#ASMSTART
	v_pk_add_f16 v0, v0, v1;

	;;#ASMEND
	;;#ASMSTART
	v_pk_add_f16 v0, v0, v6;

	;;#ASMEND
	;;#ASMSTART
	v_pk_add_f16 v0, v0, v8;

	;;#ASMEND
	v_and_b32_e32 v1, 0xffff, v0
	v_lshrrev_b32_e32 v0, 16, v0
	;;#ASMSTART
	v_cvt_f32_f16 v115, v1;
	;;#ASMEND
	;;#ASMSTART
	v_cvt_f32_f16 v116, v0;
	;;#ASMEND
	flat_load_b64 v[48:49], v[28:29] offset:1536
	scratch_load_b64 v[0:1], off, s32 offset:192 ; 8-byte Folded Reload
	v_mov_b32_e32 v8, 0
	s_mov_b32 s14, exec_lo
	s_wait_loadcnt 0x0
	flat_load_b32 v38, v[0:1]
	s_wait_dscnt 0x1
	s_wait_xcnt 0x0
	v_and_b32_e32 v0, 0xff, v48
	v_mov_b32_e32 v1, 0
	s_delay_alu instid0(VALU_DEP_2)
	v_cmpx_ne_u16_e32 0, v0
	s_cbranch_execz .LBB283_1474
; %bb.1467:                             ;   in Loop: Header=BB283_1069 Depth=1
	v_mov_b32_e32 v8, 0x8000
	s_mov_b32 s15, exec_lo
	v_cmpx_ne_u16_e32 0x80, v0
	s_cbranch_execz .LBB283_1473
; %bb.1468:                             ;   in Loop: Header=BB283_1069 Depth=1
	v_and_b32_e32 v9, 0x7f, v48
	v_mov_b32_e32 v8, 0x7c01
	s_mov_b32 s16, exec_lo
	s_delay_alu instid0(VALU_DEP_2)
	v_cmpx_ne_u32_e32 0x7f, v9
	s_cbranch_execz .LBB283_1472
; %bb.1469:                             ;   in Loop: Header=BB283_1069 Depth=1
	v_dual_lshrrev_b32 v6, 3, v9 :: v_dual_bitop2_b32 v0, 7, v48 bitop3:0x40
	s_mov_b32 s17, exec_lo
	v_cmpx_gt_u32_e32 8, v9
; %bb.1470:                             ;   in Loop: Header=BB283_1069 Depth=1
	s_delay_alu instid0(VALU_DEP_2) | instskip(NEXT) | instid1(VALU_DEP_1)
	v_clz_i32_u32_e32 v0, v0
	v_min_u32_e32 v0, 32, v0
	s_delay_alu instid0(VALU_DEP_1) | instskip(NEXT) | instid1(VALU_DEP_1)
	v_subrev_nc_u32_e32 v6, 28, v0
	v_lshlrev_b64_e32 v[8:9], v6, v[48:49]
	v_sub_nc_u32_e32 v6, 29, v0
	s_delay_alu instid0(VALU_DEP_2)
	v_and_b32_e32 v0, 7, v8
; %bb.1471:                             ;   in Loop: Header=BB283_1069 Depth=1
	s_or_b32 exec_lo, exec_lo, s17
	v_lshlrev_b32_e32 v8, 8, v48
	s_delay_alu instid0(VALU_DEP_3) | instskip(NEXT) | instid1(VALU_DEP_3)
	v_lshl_add_u32 v6, v6, 10, 0x2000
	v_lshlrev_b32_e32 v0, 7, v0
	s_delay_alu instid0(VALU_DEP_3) | instskip(NEXT) | instid1(VALU_DEP_3)
	v_and_b32_e32 v8, 0x8000, v8
	v_and_b32_e32 v6, 0xfc00, v6
	s_delay_alu instid0(VALU_DEP_1)
	v_or3_b32 v8, v8, v6, v0
.LBB283_1472:                           ;   in Loop: Header=BB283_1069 Depth=1
	s_or_b32 exec_lo, exec_lo, s16
.LBB283_1473:                           ;   in Loop: Header=BB283_1069 Depth=1
	s_delay_alu instid0(SALU_CYCLE_1)
	s_or_b32 exec_lo, exec_lo, s15
.LBB283_1474:                           ;   in Loop: Header=BB283_1069 Depth=1
	s_delay_alu instid0(SALU_CYCLE_1) | instskip(SKIP_2) | instid1(VALU_DEP_1)
	s_or_b32 exec_lo, exec_lo, s14
	v_lshrrev_b16 v6, 8, v48
	s_mov_b32 s14, exec_lo
	v_cmpx_ne_u16_e32 0, v6
	s_cbranch_execz .LBB283_1482
; %bb.1475:                             ;   in Loop: Header=BB283_1069 Depth=1
	v_bfrev_b32_e32 v1, 1
	s_mov_b32 s15, exec_lo
	v_cmpx_ne_u16_e32 0x80, v6
	s_cbranch_execz .LBB283_1481
; %bb.1476:                             ;   in Loop: Header=BB283_1069 Depth=1
	v_and_b32_e32 v0, 0xffff, v6
	v_mov_b32_e32 v1, 0x7c010000
	s_mov_b32 s16, exec_lo
	s_delay_alu instid0(VALU_DEP_2) | instskip(NEXT) | instid1(VALU_DEP_1)
	v_and_b32_e32 v16, 0x7f, v0
	v_cmpx_ne_u32_e32 0x7f, v16
	s_cbranch_execz .LBB283_1480
; %bb.1477:                             ;   in Loop: Header=BB283_1069 Depth=1
	v_and_b32_e32 v1, 7, v0
	v_lshrrev_b32_e32 v9, 3, v16
	s_mov_b32 s17, exec_lo
	v_cmpx_gt_u32_e32 8, v16
; %bb.1478:                             ;   in Loop: Header=BB283_1069 Depth=1
	s_delay_alu instid0(VALU_DEP_3) | instskip(NEXT) | instid1(VALU_DEP_1)
	v_clz_i32_u32_e32 v1, v1
	v_min_u32_e32 v1, 32, v1
	s_delay_alu instid0(VALU_DEP_1) | instskip(NEXT) | instid1(VALU_DEP_1)
	v_subrev_nc_u32_e32 v9, 28, v1
	v_lshlrev_b64_e32 v[16:17], v9, v[6:7]
	s_delay_alu instid0(VALU_DEP_1)
	v_dual_sub_nc_u32 v9, 29, v1 :: v_dual_bitop2_b32 v1, 7, v16 bitop3:0x40
; %bb.1479:                             ;   in Loop: Header=BB283_1069 Depth=1
	s_or_b32 exec_lo, exec_lo, s17
	s_delay_alu instid0(VALU_DEP_1) | instskip(NEXT) | instid1(VALU_DEP_2)
	v_dual_lshlrev_b32 v0, 8, v0 :: v_dual_lshlrev_b32 v1, 23, v1
	v_lshl_add_u32 v6, v9, 10, 0x2000
	s_delay_alu instid0(VALU_DEP_1) | instskip(NEXT) | instid1(VALU_DEP_1)
	v_and_or_b32 v0, 0x8000, v0, v6
	v_lshl_or_b32 v1, v0, 16, v1
.LBB283_1480:                           ;   in Loop: Header=BB283_1069 Depth=1
	s_or_b32 exec_lo, exec_lo, s16
.LBB283_1481:                           ;   in Loop: Header=BB283_1069 Depth=1
	s_delay_alu instid0(SALU_CYCLE_1)
	s_or_b32 exec_lo, exec_lo, s15
.LBB283_1482:                           ;   in Loop: Header=BB283_1069 Depth=1
	s_delay_alu instid0(SALU_CYCLE_1) | instskip(SKIP_3) | instid1(VALU_DEP_2)
	s_or_b32 exec_lo, exec_lo, s14
	v_dual_mov_b32 v9, 0 :: v_dual_lshrrev_b32 v0, 16, v48
	v_mov_b32_e32 v16, 0
	s_mov_b32 s14, exec_lo
	v_and_b32_e32 v6, 0xff, v0
	s_delay_alu instid0(VALU_DEP_1)
	v_cmpx_ne_u16_e32 0, v6
	s_cbranch_execz .LBB283_1490
; %bb.1483:                             ;   in Loop: Header=BB283_1069 Depth=1
	v_mov_b32_e32 v16, 0x8000
	s_mov_b32 s15, exec_lo
	v_cmpx_ne_u16_e32 0x80, v6
	s_cbranch_execz .LBB283_1489
; %bb.1484:                             ;   in Loop: Header=BB283_1069 Depth=1
	v_bfe_u32 v17, v48, 16, 7
	v_mov_b32_e32 v16, 0x7c01
	s_mov_b32 s16, exec_lo
	s_delay_alu instid0(VALU_DEP_2)
	v_cmpx_ne_u32_e32 0x7f, v17
	s_cbranch_execz .LBB283_1488
; %bb.1485:                             ;   in Loop: Header=BB283_1069 Depth=1
	v_dual_lshrrev_b32 v16, 3, v17 :: v_dual_bitop2_b32 v6, 7, v0 bitop3:0x40
	s_mov_b32 s17, exec_lo
	v_cmpx_gt_u32_e32 8, v17
; %bb.1486:                             ;   in Loop: Header=BB283_1069 Depth=1
	s_delay_alu instid0(VALU_DEP_2) | instskip(NEXT) | instid1(VALU_DEP_1)
	v_clz_i32_u32_e32 v6, v6
	v_min_u32_e32 v6, 32, v6
	s_delay_alu instid0(VALU_DEP_1) | instskip(NEXT) | instid1(VALU_DEP_1)
	v_subrev_nc_u32_e32 v16, 28, v6
	v_lshlrev_b64_e32 v[18:19], v16, v[0:1]
	v_sub_nc_u32_e32 v16, 29, v6
	s_delay_alu instid0(VALU_DEP_2)
	v_and_b32_e32 v6, 7, v18
; %bb.1487:                             ;   in Loop: Header=BB283_1069 Depth=1
	s_or_b32 exec_lo, exec_lo, s17
	s_delay_alu instid0(VALU_DEP_1) | instskip(NEXT) | instid1(VALU_DEP_3)
	v_dual_lshlrev_b32 v0, 8, v0 :: v_dual_lshlrev_b32 v6, 7, v6
	v_lshl_add_u32 v16, v16, 10, 0x2000
	s_delay_alu instid0(VALU_DEP_2) | instskip(NEXT) | instid1(VALU_DEP_2)
	v_and_b32_e32 v0, 0x8000, v0
	v_and_b32_e32 v16, 0xfc00, v16
	s_delay_alu instid0(VALU_DEP_1)
	v_or3_b32 v16, v0, v16, v6
.LBB283_1488:                           ;   in Loop: Header=BB283_1069 Depth=1
	s_or_b32 exec_lo, exec_lo, s16
.LBB283_1489:                           ;   in Loop: Header=BB283_1069 Depth=1
	s_delay_alu instid0(SALU_CYCLE_1)
	s_or_b32 exec_lo, exec_lo, s15
.LBB283_1490:                           ;   in Loop: Header=BB283_1069 Depth=1
	s_delay_alu instid0(SALU_CYCLE_1) | instskip(NEXT) | instid1(SALU_CYCLE_1)
	s_or_b32 exec_lo, exec_lo, s14
	s_mov_b32 s14, exec_lo
	v_cmpx_lt_u32_e32 0xffffff, v48
	s_cbranch_execz .LBB283_1498
; %bb.1491:                             ;   in Loop: Header=BB283_1069 Depth=1
	v_lshrrev_b32_e32 v6, 24, v48
	v_bfrev_b32_e32 v9, 1
	s_mov_b32 s15, exec_lo
	s_delay_alu instid0(VALU_DEP_2)
	v_cmpx_ne_u32_e32 0x80, v6
	s_cbranch_execz .LBB283_1497
; %bb.1492:                             ;   in Loop: Header=BB283_1069 Depth=1
	v_and_b32_e32 v17, 0x7f, v6
	v_mov_b32_e32 v9, 0x7c010000
	s_mov_b32 s16, exec_lo
	s_delay_alu instid0(VALU_DEP_2)
	v_cmpx_ne_u32_e32 0x7f, v17
	s_cbranch_execz .LBB283_1496
; %bb.1493:                             ;   in Loop: Header=BB283_1069 Depth=1
	v_dual_lshrrev_b32 v9, 3, v17 :: v_dual_bitop2_b32 v0, 7, v6 bitop3:0x40
	s_mov_b32 s17, exec_lo
	v_cmpx_gt_u32_e32 8, v17
; %bb.1494:                             ;   in Loop: Header=BB283_1069 Depth=1
	s_delay_alu instid0(VALU_DEP_2) | instskip(NEXT) | instid1(VALU_DEP_1)
	v_clz_i32_u32_e32 v0, v0
	v_min_u32_e32 v0, 32, v0
	s_delay_alu instid0(VALU_DEP_1) | instskip(NEXT) | instid1(VALU_DEP_1)
	v_subrev_nc_u32_e32 v9, 28, v0
	v_lshlrev_b64_e32 v[18:19], v9, v[6:7]
	s_delay_alu instid0(VALU_DEP_1)
	v_dual_sub_nc_u32 v9, 29, v0 :: v_dual_bitop2_b32 v0, 7, v18 bitop3:0x40
; %bb.1495:                             ;   in Loop: Header=BB283_1069 Depth=1
	s_or_b32 exec_lo, exec_lo, s17
	s_delay_alu instid0(VALU_DEP_1) | instskip(NEXT) | instid1(VALU_DEP_2)
	v_dual_lshlrev_b32 v6, 8, v6 :: v_dual_lshlrev_b32 v0, 23, v0
	v_lshl_add_u32 v9, v9, 10, 0x2000
	s_delay_alu instid0(VALU_DEP_1) | instskip(NEXT) | instid1(VALU_DEP_1)
	v_and_or_b32 v6, 0x8000, v6, v9
	v_lshl_or_b32 v9, v6, 16, v0
.LBB283_1496:                           ;   in Loop: Header=BB283_1069 Depth=1
	s_or_b32 exec_lo, exec_lo, s16
.LBB283_1497:                           ;   in Loop: Header=BB283_1069 Depth=1
	s_delay_alu instid0(SALU_CYCLE_1)
	s_or_b32 exec_lo, exec_lo, s15
.LBB283_1498:                           ;   in Loop: Header=BB283_1069 Depth=1
	s_delay_alu instid0(SALU_CYCLE_1) | instskip(SKIP_4) | instid1(VALU_DEP_3)
	s_or_b32 exec_lo, exec_lo, s14
	v_and_b32_e32 v0, 0xff, v49
	v_dual_mov_b32 v6, v49 :: v_dual_mov_b32 v18, 0
	v_mov_b32_e32 v17, 0
	s_mov_b32 s14, exec_lo
	v_cmpx_ne_u16_e32 0, v0
	s_cbranch_execz .LBB283_1506
; %bb.1499:                             ;   in Loop: Header=BB283_1069 Depth=1
	v_mov_b32_e32 v17, 0x8000
	s_mov_b32 s15, exec_lo
	v_cmpx_ne_u16_e32 0x80, v0
	s_cbranch_execz .LBB283_1505
; %bb.1500:                             ;   in Loop: Header=BB283_1069 Depth=1
	v_and_b32_e32 v19, 0x7f, v49
	v_mov_b32_e32 v17, 0x7c01
	s_mov_b32 s16, exec_lo
	s_delay_alu instid0(VALU_DEP_2)
	v_cmpx_ne_u32_e32 0x7f, v19
	s_cbranch_execz .LBB283_1504
; %bb.1501:                             ;   in Loop: Header=BB283_1069 Depth=1
	v_dual_lshrrev_b32 v17, 3, v19 :: v_dual_bitop2_b32 v0, 7, v49 bitop3:0x40
	s_mov_b32 s17, exec_lo
	v_cmpx_gt_u32_e32 8, v19
; %bb.1502:                             ;   in Loop: Header=BB283_1069 Depth=1
	s_delay_alu instid0(VALU_DEP_2) | instskip(NEXT) | instid1(VALU_DEP_1)
	v_clz_i32_u32_e32 v0, v0
	v_min_u32_e32 v0, 32, v0
	s_delay_alu instid0(VALU_DEP_1) | instskip(NEXT) | instid1(VALU_DEP_1)
	v_subrev_nc_u32_e32 v17, 28, v0
	v_lshlrev_b64_e32 v[22:23], v17, v[6:7]
	s_delay_alu instid0(VALU_DEP_1)
	v_dual_sub_nc_u32 v17, 29, v0 :: v_dual_bitop2_b32 v0, 7, v22 bitop3:0x40
; %bb.1503:                             ;   in Loop: Header=BB283_1069 Depth=1
	s_or_b32 exec_lo, exec_lo, s17
	s_delay_alu instid0(VALU_DEP_1) | instskip(NEXT) | instid1(VALU_DEP_2)
	v_dual_lshlrev_b32 v19, 8, v49 :: v_dual_lshlrev_b32 v0, 7, v0
	v_lshl_add_u32 v17, v17, 10, 0x2000
	s_delay_alu instid0(VALU_DEP_2) | instskip(NEXT) | instid1(VALU_DEP_2)
	v_and_b32_e32 v19, 0x8000, v19
	v_and_b32_e32 v17, 0xfc00, v17
	s_delay_alu instid0(VALU_DEP_1)
	v_or3_b32 v17, v19, v17, v0
.LBB283_1504:                           ;   in Loop: Header=BB283_1069 Depth=1
	s_or_b32 exec_lo, exec_lo, s16
.LBB283_1505:                           ;   in Loop: Header=BB283_1069 Depth=1
	s_delay_alu instid0(SALU_CYCLE_1)
	s_or_b32 exec_lo, exec_lo, s15
.LBB283_1506:                           ;   in Loop: Header=BB283_1069 Depth=1
	s_delay_alu instid0(SALU_CYCLE_1) | instskip(SKIP_3) | instid1(VALU_DEP_2)
	s_or_b32 exec_lo, exec_lo, s14
	v_lshrrev_b16 v6, 8, v6
	v_mov_b32_e32 v19, 0
	s_mov_b32 s14, exec_lo
	v_cmpx_ne_u16_e32 0, v6
	s_cbranch_execz .LBB283_1514
; %bb.1507:                             ;   in Loop: Header=BB283_1069 Depth=1
	v_bfrev_b32_e32 v19, 1
	s_mov_b32 s15, exec_lo
	v_cmpx_ne_u16_e32 0x80, v6
	s_cbranch_execz .LBB283_1513
; %bb.1508:                             ;   in Loop: Header=BB283_1069 Depth=1
	v_and_b32_e32 v0, 0xffff, v6
	v_mov_b32_e32 v19, 0x7c010000
	s_mov_b32 s16, exec_lo
	s_delay_alu instid0(VALU_DEP_2) | instskip(NEXT) | instid1(VALU_DEP_1)
	v_and_b32_e32 v23, 0x7f, v0
	v_cmpx_ne_u32_e32 0x7f, v23
	s_cbranch_execz .LBB283_1512
; %bb.1509:                             ;   in Loop: Header=BB283_1069 Depth=1
	v_dual_lshrrev_b32 v22, 3, v23 :: v_dual_bitop2_b32 v19, 7, v0 bitop3:0x40
	s_mov_b32 s17, exec_lo
	v_cmpx_gt_u32_e32 8, v23
; %bb.1510:                             ;   in Loop: Header=BB283_1069 Depth=1
	s_delay_alu instid0(VALU_DEP_2) | instskip(NEXT) | instid1(VALU_DEP_1)
	v_clz_i32_u32_e32 v19, v19
	v_min_u32_e32 v19, 32, v19
	s_delay_alu instid0(VALU_DEP_1) | instskip(NEXT) | instid1(VALU_DEP_1)
	v_subrev_nc_u32_e32 v22, 28, v19
	v_lshlrev_b64_e32 v[50:51], v22, v[6:7]
	s_delay_alu instid0(VALU_DEP_1)
	v_dual_sub_nc_u32 v22, 29, v19 :: v_dual_bitop2_b32 v19, 7, v50 bitop3:0x40
; %bb.1511:                             ;   in Loop: Header=BB283_1069 Depth=1
	s_or_b32 exec_lo, exec_lo, s17
	v_lshlrev_b32_e32 v0, 8, v0
	s_delay_alu instid0(VALU_DEP_2) | instskip(NEXT) | instid1(VALU_DEP_1)
	v_lshl_add_u32 v6, v22, 10, 0x2000
	v_and_or_b32 v0, 0x8000, v0, v6
	v_lshlrev_b32_e32 v6, 23, v19
	s_delay_alu instid0(VALU_DEP_1)
	v_lshl_or_b32 v19, v0, 16, v6
.LBB283_1512:                           ;   in Loop: Header=BB283_1069 Depth=1
	s_or_b32 exec_lo, exec_lo, s16
.LBB283_1513:                           ;   in Loop: Header=BB283_1069 Depth=1
	s_delay_alu instid0(SALU_CYCLE_1)
	s_or_b32 exec_lo, exec_lo, s15
.LBB283_1514:                           ;   in Loop: Header=BB283_1069 Depth=1
	s_delay_alu instid0(SALU_CYCLE_1) | instskip(SKIP_2) | instid1(VALU_DEP_1)
	s_or_b32 exec_lo, exec_lo, s14
	v_lshrrev_b32_e32 v0, 16, v49
	s_mov_b32 s14, exec_lo
	v_and_b32_e32 v6, 0xff, v0
	s_delay_alu instid0(VALU_DEP_1)
	v_cmpx_ne_u16_e32 0, v6
	s_cbranch_execz .LBB283_1522
; %bb.1515:                             ;   in Loop: Header=BB283_1069 Depth=1
	v_mov_b32_e32 v18, 0x8000
	s_mov_b32 s15, exec_lo
	v_cmpx_ne_u16_e32 0x80, v6
	s_cbranch_execz .LBB283_1521
; %bb.1516:                             ;   in Loop: Header=BB283_1069 Depth=1
	v_bfe_u32 v22, v49, 16, 7
	v_mov_b32_e32 v18, 0x7c01
	s_mov_b32 s16, exec_lo
	s_delay_alu instid0(VALU_DEP_2)
	v_cmpx_ne_u32_e32 0x7f, v22
	s_cbranch_execz .LBB283_1520
; %bb.1517:                             ;   in Loop: Header=BB283_1069 Depth=1
	v_dual_lshrrev_b32 v18, 3, v22 :: v_dual_bitop2_b32 v6, 7, v0 bitop3:0x40
	s_mov_b32 s17, exec_lo
	v_cmpx_gt_u32_e32 8, v22
; %bb.1518:                             ;   in Loop: Header=BB283_1069 Depth=1
	s_delay_alu instid0(VALU_DEP_2) | instskip(NEXT) | instid1(VALU_DEP_1)
	v_clz_i32_u32_e32 v6, v6
	v_min_u32_e32 v6, 32, v6
	s_delay_alu instid0(VALU_DEP_1) | instskip(NEXT) | instid1(VALU_DEP_1)
	v_subrev_nc_u32_e32 v18, 28, v6
	v_lshlrev_b64_e32 v[22:23], v18, v[0:1]
	v_sub_nc_u32_e32 v18, 29, v6
	s_delay_alu instid0(VALU_DEP_2)
	v_and_b32_e32 v6, 7, v22
; %bb.1519:                             ;   in Loop: Header=BB283_1069 Depth=1
	s_or_b32 exec_lo, exec_lo, s17
	s_delay_alu instid0(VALU_DEP_1) | instskip(NEXT) | instid1(VALU_DEP_3)
	v_dual_lshlrev_b32 v0, 8, v0 :: v_dual_lshlrev_b32 v6, 7, v6
	v_lshl_add_u32 v18, v18, 10, 0x2000
	s_delay_alu instid0(VALU_DEP_2) | instskip(NEXT) | instid1(VALU_DEP_2)
	v_and_b32_e32 v0, 0x8000, v0
	v_and_b32_e32 v18, 0xfc00, v18
	s_delay_alu instid0(VALU_DEP_1)
	v_or3_b32 v18, v0, v18, v6
.LBB283_1520:                           ;   in Loop: Header=BB283_1069 Depth=1
	s_or_b32 exec_lo, exec_lo, s16
.LBB283_1521:                           ;   in Loop: Header=BB283_1069 Depth=1
	s_delay_alu instid0(SALU_CYCLE_1)
	s_or_b32 exec_lo, exec_lo, s15
.LBB283_1522:                           ;   in Loop: Header=BB283_1069 Depth=1
	s_delay_alu instid0(SALU_CYCLE_1)
	s_or_b32 exec_lo, exec_lo, s14
	v_mov_b32_e32 v0, 0
	s_mov_b32 s14, exec_lo
	v_cmpx_lt_u64_e64 s[2:3], v[48:49]
	s_cbranch_execz .LBB283_1530
; %bb.1523:                             ;   in Loop: Header=BB283_1069 Depth=1
	v_lshrrev_b32_e32 v6, 24, v49
	v_bfrev_b32_e32 v0, 1
	s_mov_b32 s15, exec_lo
	s_delay_alu instid0(VALU_DEP_2)
	v_cmpx_ne_u32_e32 0x80, v6
	s_cbranch_execz .LBB283_1529
; %bb.1524:                             ;   in Loop: Header=BB283_1069 Depth=1
	v_and_b32_e32 v23, 0x7f, v6
	v_mov_b32_e32 v0, 0x7c010000
	s_mov_b32 s16, exec_lo
	s_delay_alu instid0(VALU_DEP_2)
	v_cmpx_ne_u32_e32 0x7f, v23
	s_cbranch_execz .LBB283_1528
; %bb.1525:                             ;   in Loop: Header=BB283_1069 Depth=1
	v_dual_lshrrev_b32 v22, 3, v23 :: v_dual_bitop2_b32 v0, 7, v6 bitop3:0x40
	s_mov_b32 s17, exec_lo
	v_cmpx_gt_u32_e32 8, v23
; %bb.1526:                             ;   in Loop: Header=BB283_1069 Depth=1
	s_delay_alu instid0(VALU_DEP_2) | instskip(NEXT) | instid1(VALU_DEP_1)
	v_clz_i32_u32_e32 v0, v0
	v_min_u32_e32 v0, 32, v0
	s_delay_alu instid0(VALU_DEP_1) | instskip(NEXT) | instid1(VALU_DEP_1)
	v_subrev_nc_u32_e32 v22, 28, v0
	v_lshlrev_b64_e32 v[48:49], v22, v[6:7]
	v_sub_nc_u32_e32 v22, 29, v0
	s_delay_alu instid0(VALU_DEP_2)
	v_and_b32_e32 v0, 7, v48
; %bb.1527:                             ;   in Loop: Header=BB283_1069 Depth=1
	s_or_b32 exec_lo, exec_lo, s17
	s_delay_alu instid0(VALU_DEP_1) | instskip(NEXT) | instid1(VALU_DEP_3)
	v_dual_lshlrev_b32 v6, 8, v6 :: v_dual_lshlrev_b32 v0, 23, v0
	v_lshl_add_u32 v22, v22, 10, 0x2000
	s_delay_alu instid0(VALU_DEP_1) | instskip(NEXT) | instid1(VALU_DEP_1)
	v_and_or_b32 v6, 0x8000, v6, v22
	v_lshl_or_b32 v0, v6, 16, v0
.LBB283_1528:                           ;   in Loop: Header=BB283_1069 Depth=1
	s_or_b32 exec_lo, exec_lo, s16
.LBB283_1529:                           ;   in Loop: Header=BB283_1069 Depth=1
	s_delay_alu instid0(SALU_CYCLE_1)
	s_or_b32 exec_lo, exec_lo, s15
.LBB283_1530:                           ;   in Loop: Header=BB283_1069 Depth=1
	s_delay_alu instid0(SALU_CYCLE_1) | instskip(SKIP_2) | instid1(VALU_DEP_2)
	s_or_b32 exec_lo, exec_lo, s14
	v_dual_lshrrev_b32 v6, 16, v1 :: v_dual_bitop2_b32 v1, v1, v8 bitop3:0x54
	v_dual_lshrrev_b32 v22, 16, v9 :: v_dual_bitop2_b32 v16, v9, v16 bitop3:0x54
	v_cvt_f32_f16_e32 v9, v6
	v_dual_lshrrev_b32 v18, 16, v19 :: v_dual_bitop2_b32 v6, v0, v18 bitop3:0x54
	s_delay_alu instid0(VALU_DEP_3)
	v_cvt_f32_f16_e32 v8, v22
	v_dual_lshrrev_b32 v22, 16, v0 :: v_dual_bitop2_b32 v19, v19, v17 bitop3:0x54
	v_cvt_f32_f16_e32 v0, v16
	v_cvt_f32_f16_e32 v1, v1
	s_wait_loadcnt_dscnt 0x0
	v_pk_mul_f32 v[8:9], v[38:39], v[8:9] op_sel_hi:[0,1]
	v_cvt_f32_f16_e32 v17, v18
	v_cvt_f32_f16_e32 v16, v22
	;; [unrolled: 1-line block ×4, first 2 shown]
	v_pk_mul_f32 v[0:1], v[38:39], v[0:1] op_sel_hi:[0,1]
	v_cvt_pk_f16_f32 v6, v8, v9
	v_pk_mul_f32 v[8:9], v[38:39], v[16:17] op_sel_hi:[0,1]
	s_delay_alu instid0(VALU_DEP_4) | instskip(NEXT) | instid1(VALU_DEP_4)
	v_pk_mul_f32 v[16:17], v[38:39], v[18:19] op_sel_hi:[0,1]
	v_cvt_pk_f16_f32 v0, v0, v1
	s_delay_alu instid0(VALU_DEP_4) | instskip(NEXT) | instid1(VALU_DEP_4)
	v_and_b32_e32 v19, 0xffff0000, v6
	v_cvt_pk_f16_f32 v8, v8, v9
	v_lshlrev_b32_e32 v38, 16, v6
	v_cvt_pk_f16_f32 v6, v16, v17
	v_lshrrev_b32_e32 v51, 16, v0
	v_and_b32_e32 v52, 0xffff, v0
	v_and_b32_e32 v1, 0xffff0000, v8
	s_delay_alu instid0(VALU_DEP_4) | instskip(SKIP_3) | instid1(VALU_DEP_4)
	v_dual_lshlrev_b32 v0, 16, v8 :: v_dual_lshrrev_b32 v9, 16, v6
	v_and_b32_e32 v6, 0xffff, v6
	v_or_b32_e32 v49, v19, v51
	v_or_b32_e32 v50, v38, v52
	;; [unrolled: 1-line block ×3, first 2 shown]
	s_delay_alu instid0(VALU_DEP_4)
	v_or_b32_e32 v48, v0, v6
	s_and_saveexec_b32 s14, vcc_lo
	s_cbranch_execz .LBB283_1532
; %bb.1531:                             ;   in Loop: Header=BB283_1069 Depth=1
	v_cmp_lt_i32_e64 s0, v69, v13
	s_delay_alu instid0(VALU_DEP_1) | instskip(SKIP_1) | instid1(VALU_DEP_1)
	v_cndmask_b32_e64 v8, 0, v51, s0
	v_cmp_lt_i32_e64 s0, v84, v12
	v_cndmask_b32_e64 v16, 0, v52, s0
	v_cmp_lt_i32_e64 s0, v83, v13
	s_delay_alu instid0(VALU_DEP_1) | instskip(SKIP_1) | instid1(VALU_DEP_1)
	v_cndmask_b32_e64 v17, 0, v19, s0
	v_cmp_lt_i32_e64 s0, v82, v12
	v_cndmask_b32_e64 v18, 0, v38, s0
	v_cmp_lt_i32_e64 s0, v81, v13
	s_delay_alu instid0(VALU_DEP_4) | instskip(NEXT) | instid1(VALU_DEP_2)
	v_or_b32_e32 v49, v8, v17
	v_dual_cndmask_b32 v9, 0, v9, s0 :: v_dual_bitop2_b32 v50, v16, v18 bitop3:0x54
	v_cmp_lt_i32_e64 s0, v80, v12
	s_delay_alu instid0(VALU_DEP_1) | instskip(SKIP_1) | instid1(VALU_DEP_1)
	v_cndmask_b32_e64 v6, 0, v6, s0
	v_cmp_lt_i32_e64 s0, v71, v13
	v_cndmask_b32_e64 v1, 0, v1, s0
	v_cmp_lt_i32_e64 s0, v70, v12
	s_delay_alu instid0(VALU_DEP_1) | instskip(NEXT) | instid1(VALU_DEP_1)
	v_dual_cndmask_b32 v0, 0, v0, s0 :: v_dual_bitop2_b32 v39, v9, v1 bitop3:0x54
	v_or_b32_e32 v48, v6, v0
.LBB283_1532:                           ;   in Loop: Header=BB283_1069 Depth=1
	s_or_b32 exec_lo, exec_lo, s14
	;;#ASMSTART
	v_pk_mul_f16 v0, v97, v49;

	;;#ASMEND
	;;#ASMSTART
	v_pk_mul_f16 v1, v87, v50;

	;;#ASMEND
	;; [unrolled: 4-line block ×4, first 2 shown]
	;;#ASMSTART
	v_pk_add_f16 v0, v0, v1;

	;;#ASMEND
	;;#ASMSTART
	v_pk_add_f16 v0, v0, v6;

	;;#ASMEND
	;; [unrolled: 4-line block ×3, first 2 shown]
	v_and_b32_e32 v1, 0xffff, v0
	v_lshrrev_b32_e32 v0, 16, v0
	;;#ASMSTART
	v_cvt_f32_f16 v117, v1;
	;;#ASMEND
	;;#ASMSTART
	v_cvt_f32_f16 v118, v0;
	;;#ASMEND
	flat_load_b64 v[48:49], v[28:29] offset:1792
	scratch_load_b64 v[0:1], off, s32 offset:192 ; 8-byte Folded Reload
	v_mov_b32_e32 v8, 0
	s_mov_b32 s14, exec_lo
	s_wait_loadcnt 0x0
	flat_load_b32 v38, v[0:1]
	s_wait_dscnt 0x1
	s_wait_xcnt 0x0
	v_and_b32_e32 v0, 0xff, v48
	v_mov_b32_e32 v1, 0
	s_delay_alu instid0(VALU_DEP_2)
	v_cmpx_ne_u16_e32 0, v0
	s_cbranch_execz .LBB283_1540
; %bb.1533:                             ;   in Loop: Header=BB283_1069 Depth=1
	v_mov_b32_e32 v8, 0x8000
	s_mov_b32 s15, exec_lo
	v_cmpx_ne_u16_e32 0x80, v0
	s_cbranch_execz .LBB283_1539
; %bb.1534:                             ;   in Loop: Header=BB283_1069 Depth=1
	v_and_b32_e32 v9, 0x7f, v48
	v_mov_b32_e32 v8, 0x7c01
	s_mov_b32 s16, exec_lo
	s_delay_alu instid0(VALU_DEP_2)
	v_cmpx_ne_u32_e32 0x7f, v9
	s_cbranch_execz .LBB283_1538
; %bb.1535:                             ;   in Loop: Header=BB283_1069 Depth=1
	v_dual_lshrrev_b32 v6, 3, v9 :: v_dual_bitop2_b32 v0, 7, v48 bitop3:0x40
	s_mov_b32 s17, exec_lo
	v_cmpx_gt_u32_e32 8, v9
; %bb.1536:                             ;   in Loop: Header=BB283_1069 Depth=1
	s_delay_alu instid0(VALU_DEP_2) | instskip(NEXT) | instid1(VALU_DEP_1)
	v_clz_i32_u32_e32 v0, v0
	v_min_u32_e32 v0, 32, v0
	s_delay_alu instid0(VALU_DEP_1) | instskip(NEXT) | instid1(VALU_DEP_1)
	v_subrev_nc_u32_e32 v6, 28, v0
	v_lshlrev_b64_e32 v[8:9], v6, v[48:49]
	v_sub_nc_u32_e32 v6, 29, v0
	s_delay_alu instid0(VALU_DEP_2)
	v_and_b32_e32 v0, 7, v8
; %bb.1537:                             ;   in Loop: Header=BB283_1069 Depth=1
	s_or_b32 exec_lo, exec_lo, s17
	v_lshlrev_b32_e32 v8, 8, v48
	s_delay_alu instid0(VALU_DEP_3) | instskip(NEXT) | instid1(VALU_DEP_3)
	v_lshl_add_u32 v6, v6, 10, 0x2000
	v_lshlrev_b32_e32 v0, 7, v0
	s_delay_alu instid0(VALU_DEP_3) | instskip(NEXT) | instid1(VALU_DEP_3)
	v_and_b32_e32 v8, 0x8000, v8
	v_and_b32_e32 v6, 0xfc00, v6
	s_delay_alu instid0(VALU_DEP_1)
	v_or3_b32 v8, v8, v6, v0
.LBB283_1538:                           ;   in Loop: Header=BB283_1069 Depth=1
	s_or_b32 exec_lo, exec_lo, s16
.LBB283_1539:                           ;   in Loop: Header=BB283_1069 Depth=1
	s_delay_alu instid0(SALU_CYCLE_1)
	s_or_b32 exec_lo, exec_lo, s15
.LBB283_1540:                           ;   in Loop: Header=BB283_1069 Depth=1
	s_delay_alu instid0(SALU_CYCLE_1) | instskip(SKIP_2) | instid1(VALU_DEP_1)
	s_or_b32 exec_lo, exec_lo, s14
	v_lshrrev_b16 v6, 8, v48
	s_mov_b32 s14, exec_lo
	v_cmpx_ne_u16_e32 0, v6
	s_cbranch_execz .LBB283_1548
; %bb.1541:                             ;   in Loop: Header=BB283_1069 Depth=1
	v_bfrev_b32_e32 v1, 1
	s_mov_b32 s15, exec_lo
	v_cmpx_ne_u16_e32 0x80, v6
	s_cbranch_execz .LBB283_1547
; %bb.1542:                             ;   in Loop: Header=BB283_1069 Depth=1
	v_and_b32_e32 v0, 0xffff, v6
	v_mov_b32_e32 v1, 0x7c010000
	s_mov_b32 s16, exec_lo
	s_delay_alu instid0(VALU_DEP_2) | instskip(NEXT) | instid1(VALU_DEP_1)
	v_and_b32_e32 v16, 0x7f, v0
	v_cmpx_ne_u32_e32 0x7f, v16
	s_cbranch_execz .LBB283_1546
; %bb.1543:                             ;   in Loop: Header=BB283_1069 Depth=1
	v_and_b32_e32 v1, 7, v0
	v_lshrrev_b32_e32 v9, 3, v16
	s_mov_b32 s17, exec_lo
	v_cmpx_gt_u32_e32 8, v16
; %bb.1544:                             ;   in Loop: Header=BB283_1069 Depth=1
	s_delay_alu instid0(VALU_DEP_3) | instskip(NEXT) | instid1(VALU_DEP_1)
	v_clz_i32_u32_e32 v1, v1
	v_min_u32_e32 v1, 32, v1
	s_delay_alu instid0(VALU_DEP_1) | instskip(NEXT) | instid1(VALU_DEP_1)
	v_subrev_nc_u32_e32 v9, 28, v1
	v_lshlrev_b64_e32 v[16:17], v9, v[6:7]
	s_delay_alu instid0(VALU_DEP_1)
	v_dual_sub_nc_u32 v9, 29, v1 :: v_dual_bitop2_b32 v1, 7, v16 bitop3:0x40
; %bb.1545:                             ;   in Loop: Header=BB283_1069 Depth=1
	s_or_b32 exec_lo, exec_lo, s17
	s_delay_alu instid0(VALU_DEP_1) | instskip(NEXT) | instid1(VALU_DEP_2)
	v_dual_lshlrev_b32 v0, 8, v0 :: v_dual_lshlrev_b32 v1, 23, v1
	v_lshl_add_u32 v6, v9, 10, 0x2000
	s_delay_alu instid0(VALU_DEP_1) | instskip(NEXT) | instid1(VALU_DEP_1)
	v_and_or_b32 v0, 0x8000, v0, v6
	v_lshl_or_b32 v1, v0, 16, v1
.LBB283_1546:                           ;   in Loop: Header=BB283_1069 Depth=1
	s_or_b32 exec_lo, exec_lo, s16
.LBB283_1547:                           ;   in Loop: Header=BB283_1069 Depth=1
	s_delay_alu instid0(SALU_CYCLE_1)
	s_or_b32 exec_lo, exec_lo, s15
.LBB283_1548:                           ;   in Loop: Header=BB283_1069 Depth=1
	s_delay_alu instid0(SALU_CYCLE_1) | instskip(SKIP_3) | instid1(VALU_DEP_2)
	s_or_b32 exec_lo, exec_lo, s14
	v_dual_mov_b32 v9, 0 :: v_dual_lshrrev_b32 v0, 16, v48
	v_mov_b32_e32 v16, 0
	s_mov_b32 s14, exec_lo
	v_and_b32_e32 v6, 0xff, v0
	s_delay_alu instid0(VALU_DEP_1)
	v_cmpx_ne_u16_e32 0, v6
	s_cbranch_execz .LBB283_1556
; %bb.1549:                             ;   in Loop: Header=BB283_1069 Depth=1
	v_mov_b32_e32 v16, 0x8000
	s_mov_b32 s15, exec_lo
	v_cmpx_ne_u16_e32 0x80, v6
	s_cbranch_execz .LBB283_1555
; %bb.1550:                             ;   in Loop: Header=BB283_1069 Depth=1
	v_bfe_u32 v17, v48, 16, 7
	v_mov_b32_e32 v16, 0x7c01
	s_mov_b32 s16, exec_lo
	s_delay_alu instid0(VALU_DEP_2)
	v_cmpx_ne_u32_e32 0x7f, v17
	s_cbranch_execz .LBB283_1554
; %bb.1551:                             ;   in Loop: Header=BB283_1069 Depth=1
	v_dual_lshrrev_b32 v16, 3, v17 :: v_dual_bitop2_b32 v6, 7, v0 bitop3:0x40
	s_mov_b32 s17, exec_lo
	v_cmpx_gt_u32_e32 8, v17
; %bb.1552:                             ;   in Loop: Header=BB283_1069 Depth=1
	s_delay_alu instid0(VALU_DEP_2) | instskip(NEXT) | instid1(VALU_DEP_1)
	v_clz_i32_u32_e32 v6, v6
	v_min_u32_e32 v6, 32, v6
	s_delay_alu instid0(VALU_DEP_1) | instskip(NEXT) | instid1(VALU_DEP_1)
	v_subrev_nc_u32_e32 v16, 28, v6
	v_lshlrev_b64_e32 v[18:19], v16, v[0:1]
	v_sub_nc_u32_e32 v16, 29, v6
	s_delay_alu instid0(VALU_DEP_2)
	v_and_b32_e32 v6, 7, v18
; %bb.1553:                             ;   in Loop: Header=BB283_1069 Depth=1
	s_or_b32 exec_lo, exec_lo, s17
	s_delay_alu instid0(VALU_DEP_1) | instskip(NEXT) | instid1(VALU_DEP_3)
	v_dual_lshlrev_b32 v0, 8, v0 :: v_dual_lshlrev_b32 v6, 7, v6
	v_lshl_add_u32 v16, v16, 10, 0x2000
	s_delay_alu instid0(VALU_DEP_2) | instskip(NEXT) | instid1(VALU_DEP_2)
	v_and_b32_e32 v0, 0x8000, v0
	v_and_b32_e32 v16, 0xfc00, v16
	s_delay_alu instid0(VALU_DEP_1)
	v_or3_b32 v16, v0, v16, v6
.LBB283_1554:                           ;   in Loop: Header=BB283_1069 Depth=1
	s_or_b32 exec_lo, exec_lo, s16
.LBB283_1555:                           ;   in Loop: Header=BB283_1069 Depth=1
	s_delay_alu instid0(SALU_CYCLE_1)
	s_or_b32 exec_lo, exec_lo, s15
.LBB283_1556:                           ;   in Loop: Header=BB283_1069 Depth=1
	s_delay_alu instid0(SALU_CYCLE_1) | instskip(NEXT) | instid1(SALU_CYCLE_1)
	s_or_b32 exec_lo, exec_lo, s14
	s_mov_b32 s14, exec_lo
	v_cmpx_lt_u32_e32 0xffffff, v48
	s_cbranch_execz .LBB283_1564
; %bb.1557:                             ;   in Loop: Header=BB283_1069 Depth=1
	v_lshrrev_b32_e32 v6, 24, v48
	v_bfrev_b32_e32 v9, 1
	s_mov_b32 s15, exec_lo
	s_delay_alu instid0(VALU_DEP_2)
	v_cmpx_ne_u32_e32 0x80, v6
	s_cbranch_execz .LBB283_1563
; %bb.1558:                             ;   in Loop: Header=BB283_1069 Depth=1
	v_and_b32_e32 v17, 0x7f, v6
	v_mov_b32_e32 v9, 0x7c010000
	s_mov_b32 s16, exec_lo
	s_delay_alu instid0(VALU_DEP_2)
	v_cmpx_ne_u32_e32 0x7f, v17
	s_cbranch_execz .LBB283_1562
; %bb.1559:                             ;   in Loop: Header=BB283_1069 Depth=1
	v_dual_lshrrev_b32 v9, 3, v17 :: v_dual_bitop2_b32 v0, 7, v6 bitop3:0x40
	s_mov_b32 s17, exec_lo
	v_cmpx_gt_u32_e32 8, v17
; %bb.1560:                             ;   in Loop: Header=BB283_1069 Depth=1
	s_delay_alu instid0(VALU_DEP_2) | instskip(NEXT) | instid1(VALU_DEP_1)
	v_clz_i32_u32_e32 v0, v0
	v_min_u32_e32 v0, 32, v0
	s_delay_alu instid0(VALU_DEP_1) | instskip(NEXT) | instid1(VALU_DEP_1)
	v_subrev_nc_u32_e32 v9, 28, v0
	v_lshlrev_b64_e32 v[18:19], v9, v[6:7]
	s_delay_alu instid0(VALU_DEP_1)
	v_dual_sub_nc_u32 v9, 29, v0 :: v_dual_bitop2_b32 v0, 7, v18 bitop3:0x40
; %bb.1561:                             ;   in Loop: Header=BB283_1069 Depth=1
	s_or_b32 exec_lo, exec_lo, s17
	s_delay_alu instid0(VALU_DEP_1) | instskip(NEXT) | instid1(VALU_DEP_2)
	v_dual_lshlrev_b32 v6, 8, v6 :: v_dual_lshlrev_b32 v0, 23, v0
	v_lshl_add_u32 v9, v9, 10, 0x2000
	s_delay_alu instid0(VALU_DEP_1) | instskip(NEXT) | instid1(VALU_DEP_1)
	v_and_or_b32 v6, 0x8000, v6, v9
	v_lshl_or_b32 v9, v6, 16, v0
.LBB283_1562:                           ;   in Loop: Header=BB283_1069 Depth=1
	s_or_b32 exec_lo, exec_lo, s16
.LBB283_1563:                           ;   in Loop: Header=BB283_1069 Depth=1
	s_delay_alu instid0(SALU_CYCLE_1)
	s_or_b32 exec_lo, exec_lo, s15
.LBB283_1564:                           ;   in Loop: Header=BB283_1069 Depth=1
	s_delay_alu instid0(SALU_CYCLE_1) | instskip(SKIP_4) | instid1(VALU_DEP_3)
	s_or_b32 exec_lo, exec_lo, s14
	v_and_b32_e32 v0, 0xff, v49
	v_dual_mov_b32 v6, v49 :: v_dual_mov_b32 v18, 0
	v_mov_b32_e32 v17, 0
	s_mov_b32 s14, exec_lo
	v_cmpx_ne_u16_e32 0, v0
	s_cbranch_execz .LBB283_1572
; %bb.1565:                             ;   in Loop: Header=BB283_1069 Depth=1
	v_mov_b32_e32 v17, 0x8000
	s_mov_b32 s15, exec_lo
	v_cmpx_ne_u16_e32 0x80, v0
	s_cbranch_execz .LBB283_1571
; %bb.1566:                             ;   in Loop: Header=BB283_1069 Depth=1
	v_and_b32_e32 v19, 0x7f, v49
	v_mov_b32_e32 v17, 0x7c01
	s_mov_b32 s16, exec_lo
	s_delay_alu instid0(VALU_DEP_2)
	v_cmpx_ne_u32_e32 0x7f, v19
	s_cbranch_execz .LBB283_1570
; %bb.1567:                             ;   in Loop: Header=BB283_1069 Depth=1
	v_dual_lshrrev_b32 v17, 3, v19 :: v_dual_bitop2_b32 v0, 7, v49 bitop3:0x40
	s_mov_b32 s17, exec_lo
	v_cmpx_gt_u32_e32 8, v19
; %bb.1568:                             ;   in Loop: Header=BB283_1069 Depth=1
	s_delay_alu instid0(VALU_DEP_2) | instskip(NEXT) | instid1(VALU_DEP_1)
	v_clz_i32_u32_e32 v0, v0
	v_min_u32_e32 v0, 32, v0
	s_delay_alu instid0(VALU_DEP_1) | instskip(NEXT) | instid1(VALU_DEP_1)
	v_subrev_nc_u32_e32 v17, 28, v0
	v_lshlrev_b64_e32 v[22:23], v17, v[6:7]
	s_delay_alu instid0(VALU_DEP_1)
	v_dual_sub_nc_u32 v17, 29, v0 :: v_dual_bitop2_b32 v0, 7, v22 bitop3:0x40
; %bb.1569:                             ;   in Loop: Header=BB283_1069 Depth=1
	s_or_b32 exec_lo, exec_lo, s17
	s_delay_alu instid0(VALU_DEP_1) | instskip(NEXT) | instid1(VALU_DEP_2)
	v_dual_lshlrev_b32 v19, 8, v49 :: v_dual_lshlrev_b32 v0, 7, v0
	v_lshl_add_u32 v17, v17, 10, 0x2000
	s_delay_alu instid0(VALU_DEP_2) | instskip(NEXT) | instid1(VALU_DEP_2)
	v_and_b32_e32 v19, 0x8000, v19
	v_and_b32_e32 v17, 0xfc00, v17
	s_delay_alu instid0(VALU_DEP_1)
	v_or3_b32 v17, v19, v17, v0
.LBB283_1570:                           ;   in Loop: Header=BB283_1069 Depth=1
	s_or_b32 exec_lo, exec_lo, s16
.LBB283_1571:                           ;   in Loop: Header=BB283_1069 Depth=1
	s_delay_alu instid0(SALU_CYCLE_1)
	s_or_b32 exec_lo, exec_lo, s15
.LBB283_1572:                           ;   in Loop: Header=BB283_1069 Depth=1
	s_delay_alu instid0(SALU_CYCLE_1) | instskip(SKIP_3) | instid1(VALU_DEP_2)
	s_or_b32 exec_lo, exec_lo, s14
	v_lshrrev_b16 v6, 8, v6
	v_mov_b32_e32 v19, 0
	s_mov_b32 s14, exec_lo
	v_cmpx_ne_u16_e32 0, v6
	s_cbranch_execz .LBB283_1580
; %bb.1573:                             ;   in Loop: Header=BB283_1069 Depth=1
	v_bfrev_b32_e32 v19, 1
	s_mov_b32 s15, exec_lo
	v_cmpx_ne_u16_e32 0x80, v6
	s_cbranch_execz .LBB283_1579
; %bb.1574:                             ;   in Loop: Header=BB283_1069 Depth=1
	v_and_b32_e32 v0, 0xffff, v6
	v_mov_b32_e32 v19, 0x7c010000
	s_mov_b32 s16, exec_lo
	s_delay_alu instid0(VALU_DEP_2) | instskip(NEXT) | instid1(VALU_DEP_1)
	v_and_b32_e32 v23, 0x7f, v0
	v_cmpx_ne_u32_e32 0x7f, v23
	s_cbranch_execz .LBB283_1578
; %bb.1575:                             ;   in Loop: Header=BB283_1069 Depth=1
	v_dual_lshrrev_b32 v22, 3, v23 :: v_dual_bitop2_b32 v19, 7, v0 bitop3:0x40
	s_mov_b32 s17, exec_lo
	v_cmpx_gt_u32_e32 8, v23
; %bb.1576:                             ;   in Loop: Header=BB283_1069 Depth=1
	s_delay_alu instid0(VALU_DEP_2) | instskip(NEXT) | instid1(VALU_DEP_1)
	v_clz_i32_u32_e32 v19, v19
	v_min_u32_e32 v19, 32, v19
	s_delay_alu instid0(VALU_DEP_1) | instskip(NEXT) | instid1(VALU_DEP_1)
	v_subrev_nc_u32_e32 v22, 28, v19
	v_lshlrev_b64_e32 v[50:51], v22, v[6:7]
	s_delay_alu instid0(VALU_DEP_1)
	v_dual_sub_nc_u32 v22, 29, v19 :: v_dual_bitop2_b32 v19, 7, v50 bitop3:0x40
; %bb.1577:                             ;   in Loop: Header=BB283_1069 Depth=1
	s_or_b32 exec_lo, exec_lo, s17
	v_lshlrev_b32_e32 v0, 8, v0
	s_delay_alu instid0(VALU_DEP_2) | instskip(NEXT) | instid1(VALU_DEP_1)
	v_lshl_add_u32 v6, v22, 10, 0x2000
	v_and_or_b32 v0, 0x8000, v0, v6
	v_lshlrev_b32_e32 v6, 23, v19
	s_delay_alu instid0(VALU_DEP_1)
	v_lshl_or_b32 v19, v0, 16, v6
.LBB283_1578:                           ;   in Loop: Header=BB283_1069 Depth=1
	s_or_b32 exec_lo, exec_lo, s16
.LBB283_1579:                           ;   in Loop: Header=BB283_1069 Depth=1
	s_delay_alu instid0(SALU_CYCLE_1)
	s_or_b32 exec_lo, exec_lo, s15
.LBB283_1580:                           ;   in Loop: Header=BB283_1069 Depth=1
	s_delay_alu instid0(SALU_CYCLE_1) | instskip(SKIP_2) | instid1(VALU_DEP_1)
	s_or_b32 exec_lo, exec_lo, s14
	v_lshrrev_b32_e32 v0, 16, v49
	s_mov_b32 s14, exec_lo
	v_and_b32_e32 v6, 0xff, v0
	s_delay_alu instid0(VALU_DEP_1)
	v_cmpx_ne_u16_e32 0, v6
	s_cbranch_execz .LBB283_1588
; %bb.1581:                             ;   in Loop: Header=BB283_1069 Depth=1
	v_mov_b32_e32 v18, 0x8000
	s_mov_b32 s15, exec_lo
	v_cmpx_ne_u16_e32 0x80, v6
	s_cbranch_execz .LBB283_1587
; %bb.1582:                             ;   in Loop: Header=BB283_1069 Depth=1
	v_bfe_u32 v22, v49, 16, 7
	v_mov_b32_e32 v18, 0x7c01
	s_mov_b32 s16, exec_lo
	s_delay_alu instid0(VALU_DEP_2)
	v_cmpx_ne_u32_e32 0x7f, v22
	s_cbranch_execz .LBB283_1586
; %bb.1583:                             ;   in Loop: Header=BB283_1069 Depth=1
	v_dual_lshrrev_b32 v18, 3, v22 :: v_dual_bitop2_b32 v6, 7, v0 bitop3:0x40
	s_mov_b32 s17, exec_lo
	v_cmpx_gt_u32_e32 8, v22
; %bb.1584:                             ;   in Loop: Header=BB283_1069 Depth=1
	s_delay_alu instid0(VALU_DEP_2) | instskip(NEXT) | instid1(VALU_DEP_1)
	v_clz_i32_u32_e32 v6, v6
	v_min_u32_e32 v6, 32, v6
	s_delay_alu instid0(VALU_DEP_1) | instskip(NEXT) | instid1(VALU_DEP_1)
	v_subrev_nc_u32_e32 v18, 28, v6
	v_lshlrev_b64_e32 v[22:23], v18, v[0:1]
	v_sub_nc_u32_e32 v18, 29, v6
	s_delay_alu instid0(VALU_DEP_2)
	v_and_b32_e32 v6, 7, v22
; %bb.1585:                             ;   in Loop: Header=BB283_1069 Depth=1
	s_or_b32 exec_lo, exec_lo, s17
	s_delay_alu instid0(VALU_DEP_1) | instskip(NEXT) | instid1(VALU_DEP_3)
	v_dual_lshlrev_b32 v0, 8, v0 :: v_dual_lshlrev_b32 v6, 7, v6
	v_lshl_add_u32 v18, v18, 10, 0x2000
	s_delay_alu instid0(VALU_DEP_2) | instskip(NEXT) | instid1(VALU_DEP_2)
	v_and_b32_e32 v0, 0x8000, v0
	v_and_b32_e32 v18, 0xfc00, v18
	s_delay_alu instid0(VALU_DEP_1)
	v_or3_b32 v18, v0, v18, v6
.LBB283_1586:                           ;   in Loop: Header=BB283_1069 Depth=1
	s_or_b32 exec_lo, exec_lo, s16
.LBB283_1587:                           ;   in Loop: Header=BB283_1069 Depth=1
	s_delay_alu instid0(SALU_CYCLE_1)
	s_or_b32 exec_lo, exec_lo, s15
.LBB283_1588:                           ;   in Loop: Header=BB283_1069 Depth=1
	s_delay_alu instid0(SALU_CYCLE_1)
	s_or_b32 exec_lo, exec_lo, s14
	v_mov_b32_e32 v0, 0
	s_mov_b32 s14, exec_lo
	v_cmpx_lt_u64_e64 s[2:3], v[48:49]
	s_cbranch_execz .LBB283_1596
; %bb.1589:                             ;   in Loop: Header=BB283_1069 Depth=1
	v_lshrrev_b32_e32 v6, 24, v49
	v_bfrev_b32_e32 v0, 1
	s_mov_b32 s15, exec_lo
	s_delay_alu instid0(VALU_DEP_2)
	v_cmpx_ne_u32_e32 0x80, v6
	s_cbranch_execz .LBB283_1595
; %bb.1590:                             ;   in Loop: Header=BB283_1069 Depth=1
	v_and_b32_e32 v23, 0x7f, v6
	v_mov_b32_e32 v0, 0x7c010000
	s_mov_b32 s16, exec_lo
	s_delay_alu instid0(VALU_DEP_2)
	v_cmpx_ne_u32_e32 0x7f, v23
	s_cbranch_execz .LBB283_1594
; %bb.1591:                             ;   in Loop: Header=BB283_1069 Depth=1
	v_dual_lshrrev_b32 v22, 3, v23 :: v_dual_bitop2_b32 v0, 7, v6 bitop3:0x40
	s_mov_b32 s17, exec_lo
	v_cmpx_gt_u32_e32 8, v23
; %bb.1592:                             ;   in Loop: Header=BB283_1069 Depth=1
	s_delay_alu instid0(VALU_DEP_2) | instskip(NEXT) | instid1(VALU_DEP_1)
	v_clz_i32_u32_e32 v0, v0
	v_min_u32_e32 v0, 32, v0
	s_delay_alu instid0(VALU_DEP_1) | instskip(NEXT) | instid1(VALU_DEP_1)
	v_subrev_nc_u32_e32 v22, 28, v0
	v_lshlrev_b64_e32 v[48:49], v22, v[6:7]
	v_sub_nc_u32_e32 v22, 29, v0
	s_delay_alu instid0(VALU_DEP_2)
	v_and_b32_e32 v0, 7, v48
; %bb.1593:                             ;   in Loop: Header=BB283_1069 Depth=1
	s_or_b32 exec_lo, exec_lo, s17
	s_delay_alu instid0(VALU_DEP_1) | instskip(NEXT) | instid1(VALU_DEP_3)
	v_dual_lshlrev_b32 v6, 8, v6 :: v_dual_lshlrev_b32 v0, 23, v0
	v_lshl_add_u32 v22, v22, 10, 0x2000
	s_delay_alu instid0(VALU_DEP_1) | instskip(NEXT) | instid1(VALU_DEP_1)
	v_and_or_b32 v6, 0x8000, v6, v22
	v_lshl_or_b32 v0, v6, 16, v0
.LBB283_1594:                           ;   in Loop: Header=BB283_1069 Depth=1
	s_or_b32 exec_lo, exec_lo, s16
.LBB283_1595:                           ;   in Loop: Header=BB283_1069 Depth=1
	s_delay_alu instid0(SALU_CYCLE_1)
	s_or_b32 exec_lo, exec_lo, s15
.LBB283_1596:                           ;   in Loop: Header=BB283_1069 Depth=1
	s_delay_alu instid0(SALU_CYCLE_1) | instskip(SKIP_2) | instid1(VALU_DEP_2)
	s_or_b32 exec_lo, exec_lo, s14
	v_dual_lshrrev_b32 v6, 16, v1 :: v_dual_bitop2_b32 v1, v1, v8 bitop3:0x54
	v_dual_lshrrev_b32 v22, 16, v9 :: v_dual_bitop2_b32 v16, v9, v16 bitop3:0x54
	v_cvt_f32_f16_e32 v9, v6
	v_dual_lshrrev_b32 v18, 16, v19 :: v_dual_bitop2_b32 v6, v0, v18 bitop3:0x54
	s_delay_alu instid0(VALU_DEP_3)
	v_cvt_f32_f16_e32 v8, v22
	v_dual_lshrrev_b32 v22, 16, v0 :: v_dual_bitop2_b32 v19, v19, v17 bitop3:0x54
	v_cvt_f32_f16_e32 v0, v16
	v_cvt_f32_f16_e32 v1, v1
	s_wait_loadcnt_dscnt 0x0
	v_pk_mul_f32 v[8:9], v[38:39], v[8:9] op_sel_hi:[0,1]
	v_cvt_f32_f16_e32 v17, v18
	v_cvt_f32_f16_e32 v16, v22
	;; [unrolled: 1-line block ×4, first 2 shown]
	v_pk_mul_f32 v[0:1], v[38:39], v[0:1] op_sel_hi:[0,1]
	v_cvt_pk_f16_f32 v6, v8, v9
	v_pk_mul_f32 v[8:9], v[38:39], v[16:17] op_sel_hi:[0,1]
	s_delay_alu instid0(VALU_DEP_4) | instskip(NEXT) | instid1(VALU_DEP_4)
	v_pk_mul_f32 v[16:17], v[38:39], v[18:19] op_sel_hi:[0,1]
	v_cvt_pk_f16_f32 v0, v0, v1
	s_delay_alu instid0(VALU_DEP_4) | instskip(NEXT) | instid1(VALU_DEP_4)
	v_and_b32_e32 v19, 0xffff0000, v6
	v_cvt_pk_f16_f32 v8, v8, v9
	v_lshlrev_b32_e32 v38, 16, v6
	v_cvt_pk_f16_f32 v6, v16, v17
	v_lshrrev_b32_e32 v51, 16, v0
	v_and_b32_e32 v52, 0xffff, v0
	v_and_b32_e32 v1, 0xffff0000, v8
	s_delay_alu instid0(VALU_DEP_4) | instskip(SKIP_3) | instid1(VALU_DEP_4)
	v_dual_lshlrev_b32 v0, 16, v8 :: v_dual_lshrrev_b32 v9, 16, v6
	v_and_b32_e32 v6, 0xffff, v6
	v_or_b32_e32 v49, v19, v51
	v_or_b32_e32 v50, v38, v52
	;; [unrolled: 1-line block ×3, first 2 shown]
	s_delay_alu instid0(VALU_DEP_4)
	v_or_b32_e32 v48, v0, v6
	s_and_saveexec_b32 s14, vcc_lo
	s_cbranch_execz .LBB283_1598
; %bb.1597:                             ;   in Loop: Header=BB283_1069 Depth=1
	v_cmp_lt_i32_e64 s0, v69, v13
	s_delay_alu instid0(VALU_DEP_1) | instskip(SKIP_1) | instid1(VALU_DEP_1)
	v_cndmask_b32_e64 v8, 0, v51, s0
	v_cmp_lt_i32_e64 s0, v84, v12
	v_cndmask_b32_e64 v16, 0, v52, s0
	v_cmp_lt_i32_e64 s0, v83, v13
	s_delay_alu instid0(VALU_DEP_1) | instskip(SKIP_1) | instid1(VALU_DEP_1)
	v_cndmask_b32_e64 v17, 0, v19, s0
	v_cmp_lt_i32_e64 s0, v82, v12
	v_cndmask_b32_e64 v18, 0, v38, s0
	v_cmp_lt_i32_e64 s0, v81, v13
	s_delay_alu instid0(VALU_DEP_4) | instskip(NEXT) | instid1(VALU_DEP_2)
	v_or_b32_e32 v49, v8, v17
	v_dual_cndmask_b32 v9, 0, v9, s0 :: v_dual_bitop2_b32 v50, v16, v18 bitop3:0x54
	v_cmp_lt_i32_e64 s0, v80, v12
	s_delay_alu instid0(VALU_DEP_1) | instskip(SKIP_1) | instid1(VALU_DEP_1)
	v_cndmask_b32_e64 v6, 0, v6, s0
	v_cmp_lt_i32_e64 s0, v71, v13
	v_cndmask_b32_e64 v1, 0, v1, s0
	v_cmp_lt_i32_e64 s0, v70, v12
	s_delay_alu instid0(VALU_DEP_1) | instskip(NEXT) | instid1(VALU_DEP_1)
	v_dual_cndmask_b32 v0, 0, v0, s0 :: v_dual_bitop2_b32 v39, v9, v1 bitop3:0x54
	v_or_b32_e32 v48, v6, v0
.LBB283_1598:                           ;   in Loop: Header=BB283_1069 Depth=1
	s_or_b32 exec_lo, exec_lo, s14
	;;#ASMSTART
	v_pk_mul_f16 v0, v97, v49;

	;;#ASMEND
	;;#ASMSTART
	v_pk_mul_f16 v1, v87, v50;

	;;#ASMEND
	;; [unrolled: 4-line block ×4, first 2 shown]
	;;#ASMSTART
	v_pk_add_f16 v0, v0, v1;

	;;#ASMEND
	;;#ASMSTART
	v_pk_add_f16 v0, v0, v6;

	;;#ASMEND
	;; [unrolled: 4-line block ×3, first 2 shown]
	v_and_b32_e32 v1, 0xffff, v0
	v_lshrrev_b32_e32 v0, 16, v0
	;;#ASMSTART
	v_cvt_f32_f16 v119, v1;
	;;#ASMEND
	;;#ASMSTART
	v_cvt_f32_f16 v40, v0;
	;;#ASMEND
	flat_load_b64 v[48:49], v[28:29] offset:2048
	scratch_load_b64 v[0:1], off, s32 offset:192 ; 8-byte Folded Reload
	v_mov_b32_e32 v8, 0
	s_mov_b32 s14, exec_lo
	s_wait_loadcnt 0x0
	flat_load_b32 v38, v[0:1]
	s_wait_dscnt 0x1
	s_wait_xcnt 0x0
	v_and_b32_e32 v0, 0xff, v48
	v_mov_b32_e32 v1, 0
	s_delay_alu instid0(VALU_DEP_2)
	v_cmpx_ne_u16_e32 0, v0
	s_cbranch_execz .LBB283_1606
; %bb.1599:                             ;   in Loop: Header=BB283_1069 Depth=1
	v_mov_b32_e32 v8, 0x8000
	s_mov_b32 s15, exec_lo
	v_cmpx_ne_u16_e32 0x80, v0
	s_cbranch_execz .LBB283_1605
; %bb.1600:                             ;   in Loop: Header=BB283_1069 Depth=1
	v_and_b32_e32 v9, 0x7f, v48
	v_mov_b32_e32 v8, 0x7c01
	s_mov_b32 s16, exec_lo
	s_delay_alu instid0(VALU_DEP_2)
	v_cmpx_ne_u32_e32 0x7f, v9
	s_cbranch_execz .LBB283_1604
; %bb.1601:                             ;   in Loop: Header=BB283_1069 Depth=1
	v_dual_lshrrev_b32 v6, 3, v9 :: v_dual_bitop2_b32 v0, 7, v48 bitop3:0x40
	s_mov_b32 s17, exec_lo
	v_cmpx_gt_u32_e32 8, v9
; %bb.1602:                             ;   in Loop: Header=BB283_1069 Depth=1
	s_delay_alu instid0(VALU_DEP_2) | instskip(NEXT) | instid1(VALU_DEP_1)
	v_clz_i32_u32_e32 v0, v0
	v_min_u32_e32 v0, 32, v0
	s_delay_alu instid0(VALU_DEP_1) | instskip(NEXT) | instid1(VALU_DEP_1)
	v_subrev_nc_u32_e32 v6, 28, v0
	v_lshlrev_b64_e32 v[8:9], v6, v[48:49]
	v_sub_nc_u32_e32 v6, 29, v0
	s_delay_alu instid0(VALU_DEP_2)
	v_and_b32_e32 v0, 7, v8
; %bb.1603:                             ;   in Loop: Header=BB283_1069 Depth=1
	s_or_b32 exec_lo, exec_lo, s17
	v_lshlrev_b32_e32 v8, 8, v48
	s_delay_alu instid0(VALU_DEP_3) | instskip(NEXT) | instid1(VALU_DEP_3)
	v_lshl_add_u32 v6, v6, 10, 0x2000
	v_lshlrev_b32_e32 v0, 7, v0
	s_delay_alu instid0(VALU_DEP_3) | instskip(NEXT) | instid1(VALU_DEP_3)
	v_and_b32_e32 v8, 0x8000, v8
	v_and_b32_e32 v6, 0xfc00, v6
	s_delay_alu instid0(VALU_DEP_1)
	v_or3_b32 v8, v8, v6, v0
.LBB283_1604:                           ;   in Loop: Header=BB283_1069 Depth=1
	s_or_b32 exec_lo, exec_lo, s16
.LBB283_1605:                           ;   in Loop: Header=BB283_1069 Depth=1
	s_delay_alu instid0(SALU_CYCLE_1)
	s_or_b32 exec_lo, exec_lo, s15
.LBB283_1606:                           ;   in Loop: Header=BB283_1069 Depth=1
	s_delay_alu instid0(SALU_CYCLE_1) | instskip(SKIP_2) | instid1(VALU_DEP_1)
	s_or_b32 exec_lo, exec_lo, s14
	v_lshrrev_b16 v6, 8, v48
	s_mov_b32 s14, exec_lo
	v_cmpx_ne_u16_e32 0, v6
	s_cbranch_execz .LBB283_1614
; %bb.1607:                             ;   in Loop: Header=BB283_1069 Depth=1
	v_bfrev_b32_e32 v1, 1
	s_mov_b32 s15, exec_lo
	v_cmpx_ne_u16_e32 0x80, v6
	s_cbranch_execz .LBB283_1613
; %bb.1608:                             ;   in Loop: Header=BB283_1069 Depth=1
	v_and_b32_e32 v0, 0xffff, v6
	v_mov_b32_e32 v1, 0x7c010000
	s_mov_b32 s16, exec_lo
	s_delay_alu instid0(VALU_DEP_2) | instskip(NEXT) | instid1(VALU_DEP_1)
	v_and_b32_e32 v16, 0x7f, v0
	v_cmpx_ne_u32_e32 0x7f, v16
	s_cbranch_execz .LBB283_1612
; %bb.1609:                             ;   in Loop: Header=BB283_1069 Depth=1
	v_and_b32_e32 v1, 7, v0
	v_lshrrev_b32_e32 v9, 3, v16
	s_mov_b32 s17, exec_lo
	v_cmpx_gt_u32_e32 8, v16
; %bb.1610:                             ;   in Loop: Header=BB283_1069 Depth=1
	s_delay_alu instid0(VALU_DEP_3) | instskip(NEXT) | instid1(VALU_DEP_1)
	v_clz_i32_u32_e32 v1, v1
	v_min_u32_e32 v1, 32, v1
	s_delay_alu instid0(VALU_DEP_1) | instskip(NEXT) | instid1(VALU_DEP_1)
	v_subrev_nc_u32_e32 v9, 28, v1
	v_lshlrev_b64_e32 v[16:17], v9, v[6:7]
	s_delay_alu instid0(VALU_DEP_1)
	v_dual_sub_nc_u32 v9, 29, v1 :: v_dual_bitop2_b32 v1, 7, v16 bitop3:0x40
; %bb.1611:                             ;   in Loop: Header=BB283_1069 Depth=1
	s_or_b32 exec_lo, exec_lo, s17
	s_delay_alu instid0(VALU_DEP_1) | instskip(NEXT) | instid1(VALU_DEP_2)
	v_dual_lshlrev_b32 v0, 8, v0 :: v_dual_lshlrev_b32 v1, 23, v1
	v_lshl_add_u32 v6, v9, 10, 0x2000
	s_delay_alu instid0(VALU_DEP_1) | instskip(NEXT) | instid1(VALU_DEP_1)
	v_and_or_b32 v0, 0x8000, v0, v6
	v_lshl_or_b32 v1, v0, 16, v1
.LBB283_1612:                           ;   in Loop: Header=BB283_1069 Depth=1
	s_or_b32 exec_lo, exec_lo, s16
.LBB283_1613:                           ;   in Loop: Header=BB283_1069 Depth=1
	s_delay_alu instid0(SALU_CYCLE_1)
	s_or_b32 exec_lo, exec_lo, s15
.LBB283_1614:                           ;   in Loop: Header=BB283_1069 Depth=1
	s_delay_alu instid0(SALU_CYCLE_1) | instskip(SKIP_3) | instid1(VALU_DEP_2)
	s_or_b32 exec_lo, exec_lo, s14
	v_dual_mov_b32 v9, 0 :: v_dual_lshrrev_b32 v0, 16, v48
	v_mov_b32_e32 v16, 0
	s_mov_b32 s14, exec_lo
	v_and_b32_e32 v6, 0xff, v0
	s_delay_alu instid0(VALU_DEP_1)
	v_cmpx_ne_u16_e32 0, v6
	s_cbranch_execz .LBB283_1622
; %bb.1615:                             ;   in Loop: Header=BB283_1069 Depth=1
	v_mov_b32_e32 v16, 0x8000
	s_mov_b32 s15, exec_lo
	v_cmpx_ne_u16_e32 0x80, v6
	s_cbranch_execz .LBB283_1621
; %bb.1616:                             ;   in Loop: Header=BB283_1069 Depth=1
	v_bfe_u32 v17, v48, 16, 7
	v_mov_b32_e32 v16, 0x7c01
	s_mov_b32 s16, exec_lo
	s_delay_alu instid0(VALU_DEP_2)
	v_cmpx_ne_u32_e32 0x7f, v17
	s_cbranch_execz .LBB283_1620
; %bb.1617:                             ;   in Loop: Header=BB283_1069 Depth=1
	v_dual_lshrrev_b32 v16, 3, v17 :: v_dual_bitop2_b32 v6, 7, v0 bitop3:0x40
	s_mov_b32 s17, exec_lo
	v_cmpx_gt_u32_e32 8, v17
; %bb.1618:                             ;   in Loop: Header=BB283_1069 Depth=1
	s_delay_alu instid0(VALU_DEP_2) | instskip(NEXT) | instid1(VALU_DEP_1)
	v_clz_i32_u32_e32 v6, v6
	v_min_u32_e32 v6, 32, v6
	s_delay_alu instid0(VALU_DEP_1) | instskip(NEXT) | instid1(VALU_DEP_1)
	v_subrev_nc_u32_e32 v16, 28, v6
	v_lshlrev_b64_e32 v[18:19], v16, v[0:1]
	v_sub_nc_u32_e32 v16, 29, v6
	s_delay_alu instid0(VALU_DEP_2)
	v_and_b32_e32 v6, 7, v18
; %bb.1619:                             ;   in Loop: Header=BB283_1069 Depth=1
	s_or_b32 exec_lo, exec_lo, s17
	s_delay_alu instid0(VALU_DEP_1) | instskip(NEXT) | instid1(VALU_DEP_3)
	v_dual_lshlrev_b32 v0, 8, v0 :: v_dual_lshlrev_b32 v6, 7, v6
	v_lshl_add_u32 v16, v16, 10, 0x2000
	s_delay_alu instid0(VALU_DEP_2) | instskip(NEXT) | instid1(VALU_DEP_2)
	v_and_b32_e32 v0, 0x8000, v0
	v_and_b32_e32 v16, 0xfc00, v16
	s_delay_alu instid0(VALU_DEP_1)
	v_or3_b32 v16, v0, v16, v6
.LBB283_1620:                           ;   in Loop: Header=BB283_1069 Depth=1
	s_or_b32 exec_lo, exec_lo, s16
.LBB283_1621:                           ;   in Loop: Header=BB283_1069 Depth=1
	s_delay_alu instid0(SALU_CYCLE_1)
	s_or_b32 exec_lo, exec_lo, s15
.LBB283_1622:                           ;   in Loop: Header=BB283_1069 Depth=1
	s_delay_alu instid0(SALU_CYCLE_1) | instskip(NEXT) | instid1(SALU_CYCLE_1)
	s_or_b32 exec_lo, exec_lo, s14
	s_mov_b32 s14, exec_lo
	v_cmpx_lt_u32_e32 0xffffff, v48
	s_cbranch_execz .LBB283_1630
; %bb.1623:                             ;   in Loop: Header=BB283_1069 Depth=1
	v_lshrrev_b32_e32 v6, 24, v48
	v_bfrev_b32_e32 v9, 1
	s_mov_b32 s15, exec_lo
	s_delay_alu instid0(VALU_DEP_2)
	v_cmpx_ne_u32_e32 0x80, v6
	s_cbranch_execz .LBB283_1629
; %bb.1624:                             ;   in Loop: Header=BB283_1069 Depth=1
	v_and_b32_e32 v17, 0x7f, v6
	v_mov_b32_e32 v9, 0x7c010000
	s_mov_b32 s16, exec_lo
	s_delay_alu instid0(VALU_DEP_2)
	v_cmpx_ne_u32_e32 0x7f, v17
	s_cbranch_execz .LBB283_1628
; %bb.1625:                             ;   in Loop: Header=BB283_1069 Depth=1
	v_dual_lshrrev_b32 v9, 3, v17 :: v_dual_bitop2_b32 v0, 7, v6 bitop3:0x40
	s_mov_b32 s17, exec_lo
	v_cmpx_gt_u32_e32 8, v17
; %bb.1626:                             ;   in Loop: Header=BB283_1069 Depth=1
	s_delay_alu instid0(VALU_DEP_2) | instskip(NEXT) | instid1(VALU_DEP_1)
	v_clz_i32_u32_e32 v0, v0
	v_min_u32_e32 v0, 32, v0
	s_delay_alu instid0(VALU_DEP_1) | instskip(NEXT) | instid1(VALU_DEP_1)
	v_subrev_nc_u32_e32 v9, 28, v0
	v_lshlrev_b64_e32 v[18:19], v9, v[6:7]
	s_delay_alu instid0(VALU_DEP_1)
	v_dual_sub_nc_u32 v9, 29, v0 :: v_dual_bitop2_b32 v0, 7, v18 bitop3:0x40
; %bb.1627:                             ;   in Loop: Header=BB283_1069 Depth=1
	s_or_b32 exec_lo, exec_lo, s17
	s_delay_alu instid0(VALU_DEP_1) | instskip(NEXT) | instid1(VALU_DEP_2)
	v_dual_lshlrev_b32 v6, 8, v6 :: v_dual_lshlrev_b32 v0, 23, v0
	v_lshl_add_u32 v9, v9, 10, 0x2000
	s_delay_alu instid0(VALU_DEP_1) | instskip(NEXT) | instid1(VALU_DEP_1)
	v_and_or_b32 v6, 0x8000, v6, v9
	v_lshl_or_b32 v9, v6, 16, v0
.LBB283_1628:                           ;   in Loop: Header=BB283_1069 Depth=1
	s_or_b32 exec_lo, exec_lo, s16
.LBB283_1629:                           ;   in Loop: Header=BB283_1069 Depth=1
	s_delay_alu instid0(SALU_CYCLE_1)
	s_or_b32 exec_lo, exec_lo, s15
.LBB283_1630:                           ;   in Loop: Header=BB283_1069 Depth=1
	s_delay_alu instid0(SALU_CYCLE_1) | instskip(SKIP_4) | instid1(VALU_DEP_3)
	s_or_b32 exec_lo, exec_lo, s14
	v_and_b32_e32 v0, 0xff, v49
	v_dual_mov_b32 v6, v49 :: v_dual_mov_b32 v18, 0
	v_mov_b32_e32 v17, 0
	s_mov_b32 s14, exec_lo
	v_cmpx_ne_u16_e32 0, v0
	s_cbranch_execz .LBB283_1638
; %bb.1631:                             ;   in Loop: Header=BB283_1069 Depth=1
	v_mov_b32_e32 v17, 0x8000
	s_mov_b32 s15, exec_lo
	v_cmpx_ne_u16_e32 0x80, v0
	s_cbranch_execz .LBB283_1637
; %bb.1632:                             ;   in Loop: Header=BB283_1069 Depth=1
	v_and_b32_e32 v19, 0x7f, v49
	v_mov_b32_e32 v17, 0x7c01
	s_mov_b32 s16, exec_lo
	s_delay_alu instid0(VALU_DEP_2)
	v_cmpx_ne_u32_e32 0x7f, v19
	s_cbranch_execz .LBB283_1636
; %bb.1633:                             ;   in Loop: Header=BB283_1069 Depth=1
	v_dual_lshrrev_b32 v17, 3, v19 :: v_dual_bitop2_b32 v0, 7, v49 bitop3:0x40
	s_mov_b32 s17, exec_lo
	v_cmpx_gt_u32_e32 8, v19
; %bb.1634:                             ;   in Loop: Header=BB283_1069 Depth=1
	s_delay_alu instid0(VALU_DEP_2) | instskip(NEXT) | instid1(VALU_DEP_1)
	v_clz_i32_u32_e32 v0, v0
	v_min_u32_e32 v0, 32, v0
	s_delay_alu instid0(VALU_DEP_1) | instskip(NEXT) | instid1(VALU_DEP_1)
	v_subrev_nc_u32_e32 v17, 28, v0
	v_lshlrev_b64_e32 v[22:23], v17, v[6:7]
	s_delay_alu instid0(VALU_DEP_1)
	v_dual_sub_nc_u32 v17, 29, v0 :: v_dual_bitop2_b32 v0, 7, v22 bitop3:0x40
; %bb.1635:                             ;   in Loop: Header=BB283_1069 Depth=1
	s_or_b32 exec_lo, exec_lo, s17
	s_delay_alu instid0(VALU_DEP_1) | instskip(NEXT) | instid1(VALU_DEP_2)
	v_dual_lshlrev_b32 v19, 8, v49 :: v_dual_lshlrev_b32 v0, 7, v0
	v_lshl_add_u32 v17, v17, 10, 0x2000
	s_delay_alu instid0(VALU_DEP_2) | instskip(NEXT) | instid1(VALU_DEP_2)
	v_and_b32_e32 v19, 0x8000, v19
	v_and_b32_e32 v17, 0xfc00, v17
	s_delay_alu instid0(VALU_DEP_1)
	v_or3_b32 v17, v19, v17, v0
.LBB283_1636:                           ;   in Loop: Header=BB283_1069 Depth=1
	s_or_b32 exec_lo, exec_lo, s16
.LBB283_1637:                           ;   in Loop: Header=BB283_1069 Depth=1
	s_delay_alu instid0(SALU_CYCLE_1)
	s_or_b32 exec_lo, exec_lo, s15
.LBB283_1638:                           ;   in Loop: Header=BB283_1069 Depth=1
	s_delay_alu instid0(SALU_CYCLE_1) | instskip(SKIP_3) | instid1(VALU_DEP_2)
	s_or_b32 exec_lo, exec_lo, s14
	v_lshrrev_b16 v6, 8, v6
	v_mov_b32_e32 v19, 0
	s_mov_b32 s14, exec_lo
	v_cmpx_ne_u16_e32 0, v6
	s_cbranch_execz .LBB283_1646
; %bb.1639:                             ;   in Loop: Header=BB283_1069 Depth=1
	v_bfrev_b32_e32 v19, 1
	s_mov_b32 s15, exec_lo
	v_cmpx_ne_u16_e32 0x80, v6
	s_cbranch_execz .LBB283_1645
; %bb.1640:                             ;   in Loop: Header=BB283_1069 Depth=1
	v_and_b32_e32 v0, 0xffff, v6
	v_mov_b32_e32 v19, 0x7c010000
	s_mov_b32 s16, exec_lo
	s_delay_alu instid0(VALU_DEP_2) | instskip(NEXT) | instid1(VALU_DEP_1)
	v_and_b32_e32 v23, 0x7f, v0
	v_cmpx_ne_u32_e32 0x7f, v23
	s_cbranch_execz .LBB283_1644
; %bb.1641:                             ;   in Loop: Header=BB283_1069 Depth=1
	v_dual_lshrrev_b32 v22, 3, v23 :: v_dual_bitop2_b32 v19, 7, v0 bitop3:0x40
	s_mov_b32 s17, exec_lo
	v_cmpx_gt_u32_e32 8, v23
; %bb.1642:                             ;   in Loop: Header=BB283_1069 Depth=1
	s_delay_alu instid0(VALU_DEP_2) | instskip(NEXT) | instid1(VALU_DEP_1)
	v_clz_i32_u32_e32 v19, v19
	v_min_u32_e32 v19, 32, v19
	s_delay_alu instid0(VALU_DEP_1) | instskip(NEXT) | instid1(VALU_DEP_1)
	v_subrev_nc_u32_e32 v22, 28, v19
	v_lshlrev_b64_e32 v[50:51], v22, v[6:7]
	s_delay_alu instid0(VALU_DEP_1)
	v_dual_sub_nc_u32 v22, 29, v19 :: v_dual_bitop2_b32 v19, 7, v50 bitop3:0x40
; %bb.1643:                             ;   in Loop: Header=BB283_1069 Depth=1
	s_or_b32 exec_lo, exec_lo, s17
	v_lshlrev_b32_e32 v0, 8, v0
	s_delay_alu instid0(VALU_DEP_2) | instskip(NEXT) | instid1(VALU_DEP_1)
	v_lshl_add_u32 v6, v22, 10, 0x2000
	v_and_or_b32 v0, 0x8000, v0, v6
	v_lshlrev_b32_e32 v6, 23, v19
	s_delay_alu instid0(VALU_DEP_1)
	v_lshl_or_b32 v19, v0, 16, v6
.LBB283_1644:                           ;   in Loop: Header=BB283_1069 Depth=1
	s_or_b32 exec_lo, exec_lo, s16
.LBB283_1645:                           ;   in Loop: Header=BB283_1069 Depth=1
	s_delay_alu instid0(SALU_CYCLE_1)
	s_or_b32 exec_lo, exec_lo, s15
.LBB283_1646:                           ;   in Loop: Header=BB283_1069 Depth=1
	s_delay_alu instid0(SALU_CYCLE_1) | instskip(SKIP_2) | instid1(VALU_DEP_1)
	s_or_b32 exec_lo, exec_lo, s14
	v_lshrrev_b32_e32 v0, 16, v49
	s_mov_b32 s14, exec_lo
	v_and_b32_e32 v6, 0xff, v0
	s_delay_alu instid0(VALU_DEP_1)
	v_cmpx_ne_u16_e32 0, v6
	s_cbranch_execz .LBB283_1654
; %bb.1647:                             ;   in Loop: Header=BB283_1069 Depth=1
	v_mov_b32_e32 v18, 0x8000
	s_mov_b32 s15, exec_lo
	v_cmpx_ne_u16_e32 0x80, v6
	s_cbranch_execz .LBB283_1653
; %bb.1648:                             ;   in Loop: Header=BB283_1069 Depth=1
	v_bfe_u32 v22, v49, 16, 7
	v_mov_b32_e32 v18, 0x7c01
	s_mov_b32 s16, exec_lo
	s_delay_alu instid0(VALU_DEP_2)
	v_cmpx_ne_u32_e32 0x7f, v22
	s_cbranch_execz .LBB283_1652
; %bb.1649:                             ;   in Loop: Header=BB283_1069 Depth=1
	v_dual_lshrrev_b32 v18, 3, v22 :: v_dual_bitop2_b32 v6, 7, v0 bitop3:0x40
	s_mov_b32 s17, exec_lo
	v_cmpx_gt_u32_e32 8, v22
; %bb.1650:                             ;   in Loop: Header=BB283_1069 Depth=1
	s_delay_alu instid0(VALU_DEP_2) | instskip(NEXT) | instid1(VALU_DEP_1)
	v_clz_i32_u32_e32 v6, v6
	v_min_u32_e32 v6, 32, v6
	s_delay_alu instid0(VALU_DEP_1) | instskip(NEXT) | instid1(VALU_DEP_1)
	v_subrev_nc_u32_e32 v18, 28, v6
	v_lshlrev_b64_e32 v[22:23], v18, v[0:1]
	v_sub_nc_u32_e32 v18, 29, v6
	s_delay_alu instid0(VALU_DEP_2)
	v_and_b32_e32 v6, 7, v22
; %bb.1651:                             ;   in Loop: Header=BB283_1069 Depth=1
	s_or_b32 exec_lo, exec_lo, s17
	s_delay_alu instid0(VALU_DEP_1) | instskip(NEXT) | instid1(VALU_DEP_3)
	v_dual_lshlrev_b32 v0, 8, v0 :: v_dual_lshlrev_b32 v6, 7, v6
	v_lshl_add_u32 v18, v18, 10, 0x2000
	s_delay_alu instid0(VALU_DEP_2) | instskip(NEXT) | instid1(VALU_DEP_2)
	v_and_b32_e32 v0, 0x8000, v0
	v_and_b32_e32 v18, 0xfc00, v18
	s_delay_alu instid0(VALU_DEP_1)
	v_or3_b32 v18, v0, v18, v6
.LBB283_1652:                           ;   in Loop: Header=BB283_1069 Depth=1
	s_or_b32 exec_lo, exec_lo, s16
.LBB283_1653:                           ;   in Loop: Header=BB283_1069 Depth=1
	s_delay_alu instid0(SALU_CYCLE_1)
	s_or_b32 exec_lo, exec_lo, s15
.LBB283_1654:                           ;   in Loop: Header=BB283_1069 Depth=1
	s_delay_alu instid0(SALU_CYCLE_1)
	s_or_b32 exec_lo, exec_lo, s14
	v_mov_b32_e32 v0, 0
	s_mov_b32 s14, exec_lo
	v_cmpx_lt_u64_e64 s[2:3], v[48:49]
	s_cbranch_execz .LBB283_1662
; %bb.1655:                             ;   in Loop: Header=BB283_1069 Depth=1
	v_lshrrev_b32_e32 v6, 24, v49
	v_bfrev_b32_e32 v0, 1
	s_mov_b32 s15, exec_lo
	s_delay_alu instid0(VALU_DEP_2)
	v_cmpx_ne_u32_e32 0x80, v6
	s_cbranch_execz .LBB283_1661
; %bb.1656:                             ;   in Loop: Header=BB283_1069 Depth=1
	v_and_b32_e32 v23, 0x7f, v6
	v_mov_b32_e32 v0, 0x7c010000
	s_mov_b32 s16, exec_lo
	s_delay_alu instid0(VALU_DEP_2)
	v_cmpx_ne_u32_e32 0x7f, v23
	s_cbranch_execz .LBB283_1660
; %bb.1657:                             ;   in Loop: Header=BB283_1069 Depth=1
	v_dual_lshrrev_b32 v22, 3, v23 :: v_dual_bitop2_b32 v0, 7, v6 bitop3:0x40
	s_mov_b32 s17, exec_lo
	v_cmpx_gt_u32_e32 8, v23
; %bb.1658:                             ;   in Loop: Header=BB283_1069 Depth=1
	s_delay_alu instid0(VALU_DEP_2) | instskip(NEXT) | instid1(VALU_DEP_1)
	v_clz_i32_u32_e32 v0, v0
	v_min_u32_e32 v0, 32, v0
	s_delay_alu instid0(VALU_DEP_1) | instskip(NEXT) | instid1(VALU_DEP_1)
	v_subrev_nc_u32_e32 v22, 28, v0
	v_lshlrev_b64_e32 v[48:49], v22, v[6:7]
	v_sub_nc_u32_e32 v22, 29, v0
	s_delay_alu instid0(VALU_DEP_2)
	v_and_b32_e32 v0, 7, v48
; %bb.1659:                             ;   in Loop: Header=BB283_1069 Depth=1
	s_or_b32 exec_lo, exec_lo, s17
	s_delay_alu instid0(VALU_DEP_1) | instskip(NEXT) | instid1(VALU_DEP_3)
	v_dual_lshlrev_b32 v6, 8, v6 :: v_dual_lshlrev_b32 v0, 23, v0
	v_lshl_add_u32 v22, v22, 10, 0x2000
	s_delay_alu instid0(VALU_DEP_1) | instskip(NEXT) | instid1(VALU_DEP_1)
	v_and_or_b32 v6, 0x8000, v6, v22
	v_lshl_or_b32 v0, v6, 16, v0
.LBB283_1660:                           ;   in Loop: Header=BB283_1069 Depth=1
	s_or_b32 exec_lo, exec_lo, s16
.LBB283_1661:                           ;   in Loop: Header=BB283_1069 Depth=1
	s_delay_alu instid0(SALU_CYCLE_1)
	s_or_b32 exec_lo, exec_lo, s15
.LBB283_1662:                           ;   in Loop: Header=BB283_1069 Depth=1
	s_delay_alu instid0(SALU_CYCLE_1) | instskip(SKIP_2) | instid1(VALU_DEP_2)
	s_or_b32 exec_lo, exec_lo, s14
	v_dual_lshrrev_b32 v6, 16, v1 :: v_dual_bitop2_b32 v1, v1, v8 bitop3:0x54
	v_dual_lshrrev_b32 v22, 16, v9 :: v_dual_bitop2_b32 v16, v9, v16 bitop3:0x54
	v_cvt_f32_f16_e32 v9, v6
	v_dual_lshrrev_b32 v18, 16, v19 :: v_dual_bitop2_b32 v6, v0, v18 bitop3:0x54
	s_delay_alu instid0(VALU_DEP_3)
	v_cvt_f32_f16_e32 v8, v22
	v_dual_lshrrev_b32 v22, 16, v0 :: v_dual_bitop2_b32 v19, v19, v17 bitop3:0x54
	v_cvt_f32_f16_e32 v0, v16
	v_cvt_f32_f16_e32 v1, v1
	s_wait_loadcnt_dscnt 0x0
	v_pk_mul_f32 v[8:9], v[38:39], v[8:9] op_sel_hi:[0,1]
	v_cvt_f32_f16_e32 v17, v18
	v_cvt_f32_f16_e32 v16, v22
	;; [unrolled: 1-line block ×4, first 2 shown]
	v_pk_mul_f32 v[0:1], v[38:39], v[0:1] op_sel_hi:[0,1]
	v_cvt_pk_f16_f32 v6, v8, v9
	v_pk_mul_f32 v[8:9], v[38:39], v[16:17] op_sel_hi:[0,1]
	s_delay_alu instid0(VALU_DEP_4) | instskip(NEXT) | instid1(VALU_DEP_4)
	v_pk_mul_f32 v[16:17], v[38:39], v[18:19] op_sel_hi:[0,1]
	v_cvt_pk_f16_f32 v0, v0, v1
	s_delay_alu instid0(VALU_DEP_4) | instskip(NEXT) | instid1(VALU_DEP_4)
	v_and_b32_e32 v19, 0xffff0000, v6
	v_cvt_pk_f16_f32 v8, v8, v9
	v_lshlrev_b32_e32 v38, 16, v6
	v_cvt_pk_f16_f32 v6, v16, v17
	v_lshrrev_b32_e32 v51, 16, v0
	v_and_b32_e32 v52, 0xffff, v0
	v_and_b32_e32 v1, 0xffff0000, v8
	s_delay_alu instid0(VALU_DEP_4) | instskip(SKIP_3) | instid1(VALU_DEP_4)
	v_dual_lshlrev_b32 v0, 16, v8 :: v_dual_lshrrev_b32 v9, 16, v6
	v_and_b32_e32 v6, 0xffff, v6
	v_or_b32_e32 v49, v19, v51
	v_or_b32_e32 v50, v38, v52
	;; [unrolled: 1-line block ×3, first 2 shown]
	s_delay_alu instid0(VALU_DEP_4)
	v_or_b32_e32 v48, v0, v6
	s_and_saveexec_b32 s14, vcc_lo
	s_cbranch_execz .LBB283_1664
; %bb.1663:                             ;   in Loop: Header=BB283_1069 Depth=1
	v_cmp_lt_i32_e64 s0, v69, v13
	s_delay_alu instid0(VALU_DEP_1) | instskip(SKIP_1) | instid1(VALU_DEP_1)
	v_cndmask_b32_e64 v8, 0, v51, s0
	v_cmp_lt_i32_e64 s0, v84, v12
	v_cndmask_b32_e64 v16, 0, v52, s0
	v_cmp_lt_i32_e64 s0, v83, v13
	s_delay_alu instid0(VALU_DEP_1) | instskip(SKIP_1) | instid1(VALU_DEP_1)
	v_cndmask_b32_e64 v17, 0, v19, s0
	v_cmp_lt_i32_e64 s0, v82, v12
	v_cndmask_b32_e64 v18, 0, v38, s0
	v_cmp_lt_i32_e64 s0, v81, v13
	s_delay_alu instid0(VALU_DEP_4) | instskip(NEXT) | instid1(VALU_DEP_2)
	v_or_b32_e32 v49, v8, v17
	v_dual_cndmask_b32 v9, 0, v9, s0 :: v_dual_bitop2_b32 v50, v16, v18 bitop3:0x54
	v_cmp_lt_i32_e64 s0, v80, v12
	s_delay_alu instid0(VALU_DEP_1) | instskip(SKIP_1) | instid1(VALU_DEP_1)
	v_cndmask_b32_e64 v6, 0, v6, s0
	v_cmp_lt_i32_e64 s0, v71, v13
	v_cndmask_b32_e64 v1, 0, v1, s0
	v_cmp_lt_i32_e64 s0, v70, v12
	s_delay_alu instid0(VALU_DEP_1) | instskip(NEXT) | instid1(VALU_DEP_1)
	v_dual_cndmask_b32 v0, 0, v0, s0 :: v_dual_bitop2_b32 v39, v9, v1 bitop3:0x54
	v_or_b32_e32 v48, v6, v0
.LBB283_1664:                           ;   in Loop: Header=BB283_1069 Depth=1
	s_or_b32 exec_lo, exec_lo, s14
	;;#ASMSTART
	v_pk_mul_f16 v0, v97, v49;

	;;#ASMEND
	;;#ASMSTART
	v_pk_mul_f16 v1, v87, v50;

	;;#ASMEND
	;;#ASMSTART
	v_pk_mul_f16 v6, v86, v39;

	;;#ASMEND
	;;#ASMSTART
	v_pk_mul_f16 v8, v85, v48;

	;;#ASMEND
	;;#ASMSTART
	v_pk_add_f16 v0, v0, v1;

	;;#ASMEND
	;;#ASMSTART
	v_pk_add_f16 v0, v0, v6;

	;;#ASMEND
	;; [unrolled: 4-line block ×3, first 2 shown]
	v_and_b32_e32 v1, 0xffff, v0
	v_lshrrev_b32_e32 v0, 16, v0
	;;#ASMSTART
	v_cvt_f32_f16 v41, v1;
	;;#ASMEND
	;;#ASMSTART
	v_cvt_f32_f16 v42, v0;
	;;#ASMEND
	flat_load_b64 v[48:49], v[28:29] offset:2304
	scratch_load_b64 v[0:1], off, s32 offset:192 ; 8-byte Folded Reload
	v_mov_b32_e32 v8, 0
	s_mov_b32 s14, exec_lo
	s_wait_loadcnt 0x0
	flat_load_b32 v38, v[0:1]
	s_wait_dscnt 0x1
	s_wait_xcnt 0x0
	v_and_b32_e32 v0, 0xff, v48
	v_mov_b32_e32 v1, 0
	s_delay_alu instid0(VALU_DEP_2)
	v_cmpx_ne_u16_e32 0, v0
	s_cbranch_execz .LBB283_1672
; %bb.1665:                             ;   in Loop: Header=BB283_1069 Depth=1
	v_mov_b32_e32 v8, 0x8000
	s_mov_b32 s15, exec_lo
	v_cmpx_ne_u16_e32 0x80, v0
	s_cbranch_execz .LBB283_1671
; %bb.1666:                             ;   in Loop: Header=BB283_1069 Depth=1
	v_and_b32_e32 v9, 0x7f, v48
	v_mov_b32_e32 v8, 0x7c01
	s_mov_b32 s16, exec_lo
	s_delay_alu instid0(VALU_DEP_2)
	v_cmpx_ne_u32_e32 0x7f, v9
	s_cbranch_execz .LBB283_1670
; %bb.1667:                             ;   in Loop: Header=BB283_1069 Depth=1
	v_dual_lshrrev_b32 v6, 3, v9 :: v_dual_bitop2_b32 v0, 7, v48 bitop3:0x40
	s_mov_b32 s17, exec_lo
	v_cmpx_gt_u32_e32 8, v9
; %bb.1668:                             ;   in Loop: Header=BB283_1069 Depth=1
	s_delay_alu instid0(VALU_DEP_2) | instskip(NEXT) | instid1(VALU_DEP_1)
	v_clz_i32_u32_e32 v0, v0
	v_min_u32_e32 v0, 32, v0
	s_delay_alu instid0(VALU_DEP_1) | instskip(NEXT) | instid1(VALU_DEP_1)
	v_subrev_nc_u32_e32 v6, 28, v0
	v_lshlrev_b64_e32 v[8:9], v6, v[48:49]
	v_sub_nc_u32_e32 v6, 29, v0
	s_delay_alu instid0(VALU_DEP_2)
	v_and_b32_e32 v0, 7, v8
; %bb.1669:                             ;   in Loop: Header=BB283_1069 Depth=1
	s_or_b32 exec_lo, exec_lo, s17
	v_lshlrev_b32_e32 v8, 8, v48
	s_delay_alu instid0(VALU_DEP_3) | instskip(NEXT) | instid1(VALU_DEP_3)
	v_lshl_add_u32 v6, v6, 10, 0x2000
	v_lshlrev_b32_e32 v0, 7, v0
	s_delay_alu instid0(VALU_DEP_3) | instskip(NEXT) | instid1(VALU_DEP_3)
	v_and_b32_e32 v8, 0x8000, v8
	v_and_b32_e32 v6, 0xfc00, v6
	s_delay_alu instid0(VALU_DEP_1)
	v_or3_b32 v8, v8, v6, v0
.LBB283_1670:                           ;   in Loop: Header=BB283_1069 Depth=1
	s_or_b32 exec_lo, exec_lo, s16
.LBB283_1671:                           ;   in Loop: Header=BB283_1069 Depth=1
	s_delay_alu instid0(SALU_CYCLE_1)
	s_or_b32 exec_lo, exec_lo, s15
.LBB283_1672:                           ;   in Loop: Header=BB283_1069 Depth=1
	s_delay_alu instid0(SALU_CYCLE_1) | instskip(SKIP_2) | instid1(VALU_DEP_1)
	s_or_b32 exec_lo, exec_lo, s14
	v_lshrrev_b16 v6, 8, v48
	s_mov_b32 s14, exec_lo
	v_cmpx_ne_u16_e32 0, v6
	s_cbranch_execz .LBB283_1680
; %bb.1673:                             ;   in Loop: Header=BB283_1069 Depth=1
	v_bfrev_b32_e32 v1, 1
	s_mov_b32 s15, exec_lo
	v_cmpx_ne_u16_e32 0x80, v6
	s_cbranch_execz .LBB283_1679
; %bb.1674:                             ;   in Loop: Header=BB283_1069 Depth=1
	v_and_b32_e32 v0, 0xffff, v6
	v_mov_b32_e32 v1, 0x7c010000
	s_mov_b32 s16, exec_lo
	s_delay_alu instid0(VALU_DEP_2) | instskip(NEXT) | instid1(VALU_DEP_1)
	v_and_b32_e32 v16, 0x7f, v0
	v_cmpx_ne_u32_e32 0x7f, v16
	s_cbranch_execz .LBB283_1678
; %bb.1675:                             ;   in Loop: Header=BB283_1069 Depth=1
	v_and_b32_e32 v1, 7, v0
	v_lshrrev_b32_e32 v9, 3, v16
	s_mov_b32 s17, exec_lo
	v_cmpx_gt_u32_e32 8, v16
; %bb.1676:                             ;   in Loop: Header=BB283_1069 Depth=1
	s_delay_alu instid0(VALU_DEP_3) | instskip(NEXT) | instid1(VALU_DEP_1)
	v_clz_i32_u32_e32 v1, v1
	v_min_u32_e32 v1, 32, v1
	s_delay_alu instid0(VALU_DEP_1) | instskip(NEXT) | instid1(VALU_DEP_1)
	v_subrev_nc_u32_e32 v9, 28, v1
	v_lshlrev_b64_e32 v[16:17], v9, v[6:7]
	s_delay_alu instid0(VALU_DEP_1)
	v_dual_sub_nc_u32 v9, 29, v1 :: v_dual_bitop2_b32 v1, 7, v16 bitop3:0x40
; %bb.1677:                             ;   in Loop: Header=BB283_1069 Depth=1
	s_or_b32 exec_lo, exec_lo, s17
	s_delay_alu instid0(VALU_DEP_1) | instskip(NEXT) | instid1(VALU_DEP_2)
	v_dual_lshlrev_b32 v0, 8, v0 :: v_dual_lshlrev_b32 v1, 23, v1
	v_lshl_add_u32 v6, v9, 10, 0x2000
	s_delay_alu instid0(VALU_DEP_1) | instskip(NEXT) | instid1(VALU_DEP_1)
	v_and_or_b32 v0, 0x8000, v0, v6
	v_lshl_or_b32 v1, v0, 16, v1
.LBB283_1678:                           ;   in Loop: Header=BB283_1069 Depth=1
	s_or_b32 exec_lo, exec_lo, s16
.LBB283_1679:                           ;   in Loop: Header=BB283_1069 Depth=1
	s_delay_alu instid0(SALU_CYCLE_1)
	s_or_b32 exec_lo, exec_lo, s15
.LBB283_1680:                           ;   in Loop: Header=BB283_1069 Depth=1
	s_delay_alu instid0(SALU_CYCLE_1) | instskip(SKIP_3) | instid1(VALU_DEP_2)
	s_or_b32 exec_lo, exec_lo, s14
	v_dual_mov_b32 v9, 0 :: v_dual_lshrrev_b32 v0, 16, v48
	v_mov_b32_e32 v16, 0
	s_mov_b32 s14, exec_lo
	v_and_b32_e32 v6, 0xff, v0
	s_delay_alu instid0(VALU_DEP_1)
	v_cmpx_ne_u16_e32 0, v6
	s_cbranch_execz .LBB283_1688
; %bb.1681:                             ;   in Loop: Header=BB283_1069 Depth=1
	v_mov_b32_e32 v16, 0x8000
	s_mov_b32 s15, exec_lo
	v_cmpx_ne_u16_e32 0x80, v6
	s_cbranch_execz .LBB283_1687
; %bb.1682:                             ;   in Loop: Header=BB283_1069 Depth=1
	v_bfe_u32 v17, v48, 16, 7
	v_mov_b32_e32 v16, 0x7c01
	s_mov_b32 s16, exec_lo
	s_delay_alu instid0(VALU_DEP_2)
	v_cmpx_ne_u32_e32 0x7f, v17
	s_cbranch_execz .LBB283_1686
; %bb.1683:                             ;   in Loop: Header=BB283_1069 Depth=1
	v_dual_lshrrev_b32 v16, 3, v17 :: v_dual_bitop2_b32 v6, 7, v0 bitop3:0x40
	s_mov_b32 s17, exec_lo
	v_cmpx_gt_u32_e32 8, v17
; %bb.1684:                             ;   in Loop: Header=BB283_1069 Depth=1
	s_delay_alu instid0(VALU_DEP_2) | instskip(NEXT) | instid1(VALU_DEP_1)
	v_clz_i32_u32_e32 v6, v6
	v_min_u32_e32 v6, 32, v6
	s_delay_alu instid0(VALU_DEP_1) | instskip(NEXT) | instid1(VALU_DEP_1)
	v_subrev_nc_u32_e32 v16, 28, v6
	v_lshlrev_b64_e32 v[18:19], v16, v[0:1]
	v_sub_nc_u32_e32 v16, 29, v6
	s_delay_alu instid0(VALU_DEP_2)
	v_and_b32_e32 v6, 7, v18
; %bb.1685:                             ;   in Loop: Header=BB283_1069 Depth=1
	s_or_b32 exec_lo, exec_lo, s17
	s_delay_alu instid0(VALU_DEP_1) | instskip(NEXT) | instid1(VALU_DEP_3)
	v_dual_lshlrev_b32 v0, 8, v0 :: v_dual_lshlrev_b32 v6, 7, v6
	v_lshl_add_u32 v16, v16, 10, 0x2000
	s_delay_alu instid0(VALU_DEP_2) | instskip(NEXT) | instid1(VALU_DEP_2)
	v_and_b32_e32 v0, 0x8000, v0
	v_and_b32_e32 v16, 0xfc00, v16
	s_delay_alu instid0(VALU_DEP_1)
	v_or3_b32 v16, v0, v16, v6
.LBB283_1686:                           ;   in Loop: Header=BB283_1069 Depth=1
	s_or_b32 exec_lo, exec_lo, s16
.LBB283_1687:                           ;   in Loop: Header=BB283_1069 Depth=1
	s_delay_alu instid0(SALU_CYCLE_1)
	s_or_b32 exec_lo, exec_lo, s15
.LBB283_1688:                           ;   in Loop: Header=BB283_1069 Depth=1
	s_delay_alu instid0(SALU_CYCLE_1) | instskip(NEXT) | instid1(SALU_CYCLE_1)
	s_or_b32 exec_lo, exec_lo, s14
	s_mov_b32 s14, exec_lo
	v_cmpx_lt_u32_e32 0xffffff, v48
	s_cbranch_execz .LBB283_1696
; %bb.1689:                             ;   in Loop: Header=BB283_1069 Depth=1
	v_lshrrev_b32_e32 v6, 24, v48
	v_bfrev_b32_e32 v9, 1
	s_mov_b32 s15, exec_lo
	s_delay_alu instid0(VALU_DEP_2)
	v_cmpx_ne_u32_e32 0x80, v6
	s_cbranch_execz .LBB283_1695
; %bb.1690:                             ;   in Loop: Header=BB283_1069 Depth=1
	v_and_b32_e32 v17, 0x7f, v6
	v_mov_b32_e32 v9, 0x7c010000
	s_mov_b32 s16, exec_lo
	s_delay_alu instid0(VALU_DEP_2)
	v_cmpx_ne_u32_e32 0x7f, v17
	s_cbranch_execz .LBB283_1694
; %bb.1691:                             ;   in Loop: Header=BB283_1069 Depth=1
	v_dual_lshrrev_b32 v9, 3, v17 :: v_dual_bitop2_b32 v0, 7, v6 bitop3:0x40
	s_mov_b32 s17, exec_lo
	v_cmpx_gt_u32_e32 8, v17
; %bb.1692:                             ;   in Loop: Header=BB283_1069 Depth=1
	s_delay_alu instid0(VALU_DEP_2) | instskip(NEXT) | instid1(VALU_DEP_1)
	v_clz_i32_u32_e32 v0, v0
	v_min_u32_e32 v0, 32, v0
	s_delay_alu instid0(VALU_DEP_1) | instskip(NEXT) | instid1(VALU_DEP_1)
	v_subrev_nc_u32_e32 v9, 28, v0
	v_lshlrev_b64_e32 v[18:19], v9, v[6:7]
	s_delay_alu instid0(VALU_DEP_1)
	v_dual_sub_nc_u32 v9, 29, v0 :: v_dual_bitop2_b32 v0, 7, v18 bitop3:0x40
; %bb.1693:                             ;   in Loop: Header=BB283_1069 Depth=1
	s_or_b32 exec_lo, exec_lo, s17
	s_delay_alu instid0(VALU_DEP_1) | instskip(NEXT) | instid1(VALU_DEP_2)
	v_dual_lshlrev_b32 v6, 8, v6 :: v_dual_lshlrev_b32 v0, 23, v0
	v_lshl_add_u32 v9, v9, 10, 0x2000
	s_delay_alu instid0(VALU_DEP_1) | instskip(NEXT) | instid1(VALU_DEP_1)
	v_and_or_b32 v6, 0x8000, v6, v9
	v_lshl_or_b32 v9, v6, 16, v0
.LBB283_1694:                           ;   in Loop: Header=BB283_1069 Depth=1
	s_or_b32 exec_lo, exec_lo, s16
.LBB283_1695:                           ;   in Loop: Header=BB283_1069 Depth=1
	s_delay_alu instid0(SALU_CYCLE_1)
	s_or_b32 exec_lo, exec_lo, s15
.LBB283_1696:                           ;   in Loop: Header=BB283_1069 Depth=1
	s_delay_alu instid0(SALU_CYCLE_1) | instskip(SKIP_4) | instid1(VALU_DEP_3)
	s_or_b32 exec_lo, exec_lo, s14
	v_and_b32_e32 v0, 0xff, v49
	v_dual_mov_b32 v6, v49 :: v_dual_mov_b32 v18, 0
	v_mov_b32_e32 v17, 0
	s_mov_b32 s14, exec_lo
	v_cmpx_ne_u16_e32 0, v0
	s_cbranch_execz .LBB283_1704
; %bb.1697:                             ;   in Loop: Header=BB283_1069 Depth=1
	v_mov_b32_e32 v17, 0x8000
	s_mov_b32 s15, exec_lo
	v_cmpx_ne_u16_e32 0x80, v0
	s_cbranch_execz .LBB283_1703
; %bb.1698:                             ;   in Loop: Header=BB283_1069 Depth=1
	v_and_b32_e32 v19, 0x7f, v49
	v_mov_b32_e32 v17, 0x7c01
	s_mov_b32 s16, exec_lo
	s_delay_alu instid0(VALU_DEP_2)
	v_cmpx_ne_u32_e32 0x7f, v19
	s_cbranch_execz .LBB283_1702
; %bb.1699:                             ;   in Loop: Header=BB283_1069 Depth=1
	v_dual_lshrrev_b32 v17, 3, v19 :: v_dual_bitop2_b32 v0, 7, v49 bitop3:0x40
	s_mov_b32 s17, exec_lo
	v_cmpx_gt_u32_e32 8, v19
; %bb.1700:                             ;   in Loop: Header=BB283_1069 Depth=1
	s_delay_alu instid0(VALU_DEP_2) | instskip(NEXT) | instid1(VALU_DEP_1)
	v_clz_i32_u32_e32 v0, v0
	v_min_u32_e32 v0, 32, v0
	s_delay_alu instid0(VALU_DEP_1) | instskip(NEXT) | instid1(VALU_DEP_1)
	v_subrev_nc_u32_e32 v17, 28, v0
	v_lshlrev_b64_e32 v[22:23], v17, v[6:7]
	s_delay_alu instid0(VALU_DEP_1)
	v_dual_sub_nc_u32 v17, 29, v0 :: v_dual_bitop2_b32 v0, 7, v22 bitop3:0x40
; %bb.1701:                             ;   in Loop: Header=BB283_1069 Depth=1
	s_or_b32 exec_lo, exec_lo, s17
	s_delay_alu instid0(VALU_DEP_1) | instskip(NEXT) | instid1(VALU_DEP_2)
	v_dual_lshlrev_b32 v19, 8, v49 :: v_dual_lshlrev_b32 v0, 7, v0
	v_lshl_add_u32 v17, v17, 10, 0x2000
	s_delay_alu instid0(VALU_DEP_2) | instskip(NEXT) | instid1(VALU_DEP_2)
	v_and_b32_e32 v19, 0x8000, v19
	v_and_b32_e32 v17, 0xfc00, v17
	s_delay_alu instid0(VALU_DEP_1)
	v_or3_b32 v17, v19, v17, v0
.LBB283_1702:                           ;   in Loop: Header=BB283_1069 Depth=1
	s_or_b32 exec_lo, exec_lo, s16
.LBB283_1703:                           ;   in Loop: Header=BB283_1069 Depth=1
	s_delay_alu instid0(SALU_CYCLE_1)
	s_or_b32 exec_lo, exec_lo, s15
.LBB283_1704:                           ;   in Loop: Header=BB283_1069 Depth=1
	s_delay_alu instid0(SALU_CYCLE_1) | instskip(SKIP_3) | instid1(VALU_DEP_2)
	s_or_b32 exec_lo, exec_lo, s14
	v_lshrrev_b16 v6, 8, v6
	v_mov_b32_e32 v19, 0
	s_mov_b32 s14, exec_lo
	v_cmpx_ne_u16_e32 0, v6
	s_cbranch_execz .LBB283_1712
; %bb.1705:                             ;   in Loop: Header=BB283_1069 Depth=1
	v_bfrev_b32_e32 v19, 1
	s_mov_b32 s15, exec_lo
	v_cmpx_ne_u16_e32 0x80, v6
	s_cbranch_execz .LBB283_1711
; %bb.1706:                             ;   in Loop: Header=BB283_1069 Depth=1
	v_and_b32_e32 v0, 0xffff, v6
	v_mov_b32_e32 v19, 0x7c010000
	s_mov_b32 s16, exec_lo
	s_delay_alu instid0(VALU_DEP_2) | instskip(NEXT) | instid1(VALU_DEP_1)
	v_and_b32_e32 v23, 0x7f, v0
	v_cmpx_ne_u32_e32 0x7f, v23
	s_cbranch_execz .LBB283_1710
; %bb.1707:                             ;   in Loop: Header=BB283_1069 Depth=1
	v_dual_lshrrev_b32 v22, 3, v23 :: v_dual_bitop2_b32 v19, 7, v0 bitop3:0x40
	s_mov_b32 s17, exec_lo
	v_cmpx_gt_u32_e32 8, v23
; %bb.1708:                             ;   in Loop: Header=BB283_1069 Depth=1
	s_delay_alu instid0(VALU_DEP_2) | instskip(NEXT) | instid1(VALU_DEP_1)
	v_clz_i32_u32_e32 v19, v19
	v_min_u32_e32 v19, 32, v19
	s_delay_alu instid0(VALU_DEP_1) | instskip(NEXT) | instid1(VALU_DEP_1)
	v_subrev_nc_u32_e32 v22, 28, v19
	v_lshlrev_b64_e32 v[50:51], v22, v[6:7]
	s_delay_alu instid0(VALU_DEP_1)
	v_dual_sub_nc_u32 v22, 29, v19 :: v_dual_bitop2_b32 v19, 7, v50 bitop3:0x40
; %bb.1709:                             ;   in Loop: Header=BB283_1069 Depth=1
	s_or_b32 exec_lo, exec_lo, s17
	v_lshlrev_b32_e32 v0, 8, v0
	s_delay_alu instid0(VALU_DEP_2) | instskip(NEXT) | instid1(VALU_DEP_1)
	v_lshl_add_u32 v6, v22, 10, 0x2000
	v_and_or_b32 v0, 0x8000, v0, v6
	v_lshlrev_b32_e32 v6, 23, v19
	s_delay_alu instid0(VALU_DEP_1)
	v_lshl_or_b32 v19, v0, 16, v6
.LBB283_1710:                           ;   in Loop: Header=BB283_1069 Depth=1
	s_or_b32 exec_lo, exec_lo, s16
.LBB283_1711:                           ;   in Loop: Header=BB283_1069 Depth=1
	s_delay_alu instid0(SALU_CYCLE_1)
	s_or_b32 exec_lo, exec_lo, s15
.LBB283_1712:                           ;   in Loop: Header=BB283_1069 Depth=1
	s_delay_alu instid0(SALU_CYCLE_1) | instskip(SKIP_2) | instid1(VALU_DEP_1)
	s_or_b32 exec_lo, exec_lo, s14
	v_lshrrev_b32_e32 v0, 16, v49
	s_mov_b32 s14, exec_lo
	v_and_b32_e32 v6, 0xff, v0
	s_delay_alu instid0(VALU_DEP_1)
	v_cmpx_ne_u16_e32 0, v6
	s_cbranch_execz .LBB283_1720
; %bb.1713:                             ;   in Loop: Header=BB283_1069 Depth=1
	v_mov_b32_e32 v18, 0x8000
	s_mov_b32 s15, exec_lo
	v_cmpx_ne_u16_e32 0x80, v6
	s_cbranch_execz .LBB283_1719
; %bb.1714:                             ;   in Loop: Header=BB283_1069 Depth=1
	v_bfe_u32 v22, v49, 16, 7
	v_mov_b32_e32 v18, 0x7c01
	s_mov_b32 s16, exec_lo
	s_delay_alu instid0(VALU_DEP_2)
	v_cmpx_ne_u32_e32 0x7f, v22
	s_cbranch_execz .LBB283_1718
; %bb.1715:                             ;   in Loop: Header=BB283_1069 Depth=1
	v_dual_lshrrev_b32 v18, 3, v22 :: v_dual_bitop2_b32 v6, 7, v0 bitop3:0x40
	s_mov_b32 s17, exec_lo
	v_cmpx_gt_u32_e32 8, v22
; %bb.1716:                             ;   in Loop: Header=BB283_1069 Depth=1
	s_delay_alu instid0(VALU_DEP_2) | instskip(NEXT) | instid1(VALU_DEP_1)
	v_clz_i32_u32_e32 v6, v6
	v_min_u32_e32 v6, 32, v6
	s_delay_alu instid0(VALU_DEP_1) | instskip(NEXT) | instid1(VALU_DEP_1)
	v_subrev_nc_u32_e32 v18, 28, v6
	v_lshlrev_b64_e32 v[22:23], v18, v[0:1]
	v_sub_nc_u32_e32 v18, 29, v6
	s_delay_alu instid0(VALU_DEP_2)
	v_and_b32_e32 v6, 7, v22
; %bb.1717:                             ;   in Loop: Header=BB283_1069 Depth=1
	s_or_b32 exec_lo, exec_lo, s17
	s_delay_alu instid0(VALU_DEP_1) | instskip(NEXT) | instid1(VALU_DEP_3)
	v_dual_lshlrev_b32 v0, 8, v0 :: v_dual_lshlrev_b32 v6, 7, v6
	v_lshl_add_u32 v18, v18, 10, 0x2000
	s_delay_alu instid0(VALU_DEP_2) | instskip(NEXT) | instid1(VALU_DEP_2)
	v_and_b32_e32 v0, 0x8000, v0
	v_and_b32_e32 v18, 0xfc00, v18
	s_delay_alu instid0(VALU_DEP_1)
	v_or3_b32 v18, v0, v18, v6
.LBB283_1718:                           ;   in Loop: Header=BB283_1069 Depth=1
	s_or_b32 exec_lo, exec_lo, s16
.LBB283_1719:                           ;   in Loop: Header=BB283_1069 Depth=1
	s_delay_alu instid0(SALU_CYCLE_1)
	s_or_b32 exec_lo, exec_lo, s15
.LBB283_1720:                           ;   in Loop: Header=BB283_1069 Depth=1
	s_delay_alu instid0(SALU_CYCLE_1)
	s_or_b32 exec_lo, exec_lo, s14
	v_mov_b32_e32 v0, 0
	s_mov_b32 s14, exec_lo
	v_cmpx_lt_u64_e64 s[2:3], v[48:49]
	s_cbranch_execz .LBB283_1728
; %bb.1721:                             ;   in Loop: Header=BB283_1069 Depth=1
	v_lshrrev_b32_e32 v6, 24, v49
	v_bfrev_b32_e32 v0, 1
	s_mov_b32 s15, exec_lo
	s_delay_alu instid0(VALU_DEP_2)
	v_cmpx_ne_u32_e32 0x80, v6
	s_cbranch_execz .LBB283_1727
; %bb.1722:                             ;   in Loop: Header=BB283_1069 Depth=1
	v_and_b32_e32 v23, 0x7f, v6
	v_mov_b32_e32 v0, 0x7c010000
	s_mov_b32 s16, exec_lo
	s_delay_alu instid0(VALU_DEP_2)
	v_cmpx_ne_u32_e32 0x7f, v23
	s_cbranch_execz .LBB283_1726
; %bb.1723:                             ;   in Loop: Header=BB283_1069 Depth=1
	v_dual_lshrrev_b32 v22, 3, v23 :: v_dual_bitop2_b32 v0, 7, v6 bitop3:0x40
	s_mov_b32 s17, exec_lo
	v_cmpx_gt_u32_e32 8, v23
; %bb.1724:                             ;   in Loop: Header=BB283_1069 Depth=1
	s_delay_alu instid0(VALU_DEP_2) | instskip(NEXT) | instid1(VALU_DEP_1)
	v_clz_i32_u32_e32 v0, v0
	v_min_u32_e32 v0, 32, v0
	s_delay_alu instid0(VALU_DEP_1) | instskip(NEXT) | instid1(VALU_DEP_1)
	v_subrev_nc_u32_e32 v22, 28, v0
	v_lshlrev_b64_e32 v[48:49], v22, v[6:7]
	v_sub_nc_u32_e32 v22, 29, v0
	s_delay_alu instid0(VALU_DEP_2)
	v_and_b32_e32 v0, 7, v48
; %bb.1725:                             ;   in Loop: Header=BB283_1069 Depth=1
	s_or_b32 exec_lo, exec_lo, s17
	s_delay_alu instid0(VALU_DEP_1) | instskip(NEXT) | instid1(VALU_DEP_3)
	v_dual_lshlrev_b32 v6, 8, v6 :: v_dual_lshlrev_b32 v0, 23, v0
	v_lshl_add_u32 v22, v22, 10, 0x2000
	s_delay_alu instid0(VALU_DEP_1) | instskip(NEXT) | instid1(VALU_DEP_1)
	v_and_or_b32 v6, 0x8000, v6, v22
	v_lshl_or_b32 v0, v6, 16, v0
.LBB283_1726:                           ;   in Loop: Header=BB283_1069 Depth=1
	s_or_b32 exec_lo, exec_lo, s16
.LBB283_1727:                           ;   in Loop: Header=BB283_1069 Depth=1
	s_delay_alu instid0(SALU_CYCLE_1)
	s_or_b32 exec_lo, exec_lo, s15
.LBB283_1728:                           ;   in Loop: Header=BB283_1069 Depth=1
	s_delay_alu instid0(SALU_CYCLE_1) | instskip(SKIP_2) | instid1(VALU_DEP_2)
	s_or_b32 exec_lo, exec_lo, s14
	v_dual_lshrrev_b32 v6, 16, v1 :: v_dual_bitop2_b32 v1, v1, v8 bitop3:0x54
	v_dual_lshrrev_b32 v22, 16, v9 :: v_dual_bitop2_b32 v16, v9, v16 bitop3:0x54
	v_cvt_f32_f16_e32 v9, v6
	v_dual_lshrrev_b32 v18, 16, v19 :: v_dual_bitop2_b32 v6, v0, v18 bitop3:0x54
	s_delay_alu instid0(VALU_DEP_3)
	v_cvt_f32_f16_e32 v8, v22
	v_dual_lshrrev_b32 v22, 16, v0 :: v_dual_bitop2_b32 v19, v19, v17 bitop3:0x54
	v_cvt_f32_f16_e32 v0, v16
	v_cvt_f32_f16_e32 v1, v1
	s_wait_loadcnt_dscnt 0x0
	v_pk_mul_f32 v[8:9], v[38:39], v[8:9] op_sel_hi:[0,1]
	v_cvt_f32_f16_e32 v17, v18
	v_cvt_f32_f16_e32 v16, v22
	;; [unrolled: 1-line block ×4, first 2 shown]
	v_pk_mul_f32 v[0:1], v[38:39], v[0:1] op_sel_hi:[0,1]
	v_cvt_pk_f16_f32 v6, v8, v9
	v_pk_mul_f32 v[8:9], v[38:39], v[16:17] op_sel_hi:[0,1]
	s_delay_alu instid0(VALU_DEP_4) | instskip(NEXT) | instid1(VALU_DEP_4)
	v_pk_mul_f32 v[16:17], v[38:39], v[18:19] op_sel_hi:[0,1]
	v_cvt_pk_f16_f32 v0, v0, v1
	s_delay_alu instid0(VALU_DEP_4) | instskip(NEXT) | instid1(VALU_DEP_4)
	v_and_b32_e32 v19, 0xffff0000, v6
	v_cvt_pk_f16_f32 v8, v8, v9
	v_lshlrev_b32_e32 v38, 16, v6
	v_cvt_pk_f16_f32 v6, v16, v17
	v_lshrrev_b32_e32 v51, 16, v0
	v_and_b32_e32 v52, 0xffff, v0
	v_and_b32_e32 v1, 0xffff0000, v8
	s_delay_alu instid0(VALU_DEP_4) | instskip(SKIP_3) | instid1(VALU_DEP_4)
	v_dual_lshlrev_b32 v0, 16, v8 :: v_dual_lshrrev_b32 v9, 16, v6
	v_and_b32_e32 v6, 0xffff, v6
	v_or_b32_e32 v49, v19, v51
	v_or_b32_e32 v50, v38, v52
	;; [unrolled: 1-line block ×3, first 2 shown]
	s_delay_alu instid0(VALU_DEP_4)
	v_or_b32_e32 v48, v0, v6
	s_and_saveexec_b32 s14, vcc_lo
	s_cbranch_execz .LBB283_1730
; %bb.1729:                             ;   in Loop: Header=BB283_1069 Depth=1
	v_cmp_lt_i32_e64 s0, v69, v13
	s_delay_alu instid0(VALU_DEP_1) | instskip(SKIP_1) | instid1(VALU_DEP_1)
	v_cndmask_b32_e64 v8, 0, v51, s0
	v_cmp_lt_i32_e64 s0, v84, v12
	v_cndmask_b32_e64 v16, 0, v52, s0
	v_cmp_lt_i32_e64 s0, v83, v13
	s_delay_alu instid0(VALU_DEP_1) | instskip(SKIP_1) | instid1(VALU_DEP_1)
	v_cndmask_b32_e64 v17, 0, v19, s0
	v_cmp_lt_i32_e64 s0, v82, v12
	v_cndmask_b32_e64 v18, 0, v38, s0
	v_cmp_lt_i32_e64 s0, v81, v13
	s_delay_alu instid0(VALU_DEP_4) | instskip(NEXT) | instid1(VALU_DEP_2)
	v_or_b32_e32 v49, v8, v17
	v_dual_cndmask_b32 v9, 0, v9, s0 :: v_dual_bitop2_b32 v50, v16, v18 bitop3:0x54
	v_cmp_lt_i32_e64 s0, v80, v12
	s_delay_alu instid0(VALU_DEP_1) | instskip(SKIP_1) | instid1(VALU_DEP_1)
	v_cndmask_b32_e64 v6, 0, v6, s0
	v_cmp_lt_i32_e64 s0, v71, v13
	v_cndmask_b32_e64 v1, 0, v1, s0
	v_cmp_lt_i32_e64 s0, v70, v12
	s_delay_alu instid0(VALU_DEP_1) | instskip(NEXT) | instid1(VALU_DEP_1)
	v_dual_cndmask_b32 v0, 0, v0, s0 :: v_dual_bitop2_b32 v39, v9, v1 bitop3:0x54
	v_or_b32_e32 v48, v6, v0
.LBB283_1730:                           ;   in Loop: Header=BB283_1069 Depth=1
	s_or_b32 exec_lo, exec_lo, s14
	;;#ASMSTART
	v_pk_mul_f16 v0, v97, v49;

	;;#ASMEND
	;;#ASMSTART
	v_pk_mul_f16 v1, v87, v50;

	;;#ASMEND
	;; [unrolled: 4-line block ×4, first 2 shown]
	;;#ASMSTART
	v_pk_add_f16 v0, v0, v1;

	;;#ASMEND
	;;#ASMSTART
	v_pk_add_f16 v0, v0, v6;

	;;#ASMEND
	;; [unrolled: 4-line block ×3, first 2 shown]
	v_and_b32_e32 v1, 0xffff, v0
	v_lshrrev_b32_e32 v0, 16, v0
	;;#ASMSTART
	v_cvt_f32_f16 v43, v1;
	;;#ASMEND
	;;#ASMSTART
	v_cvt_f32_f16 v44, v0;
	;;#ASMEND
	flat_load_b64 v[48:49], v[28:29] offset:2560
	scratch_load_b64 v[0:1], off, s32 offset:192 ; 8-byte Folded Reload
	v_mov_b32_e32 v8, 0
	s_mov_b32 s14, exec_lo
	s_wait_loadcnt 0x0
	flat_load_b32 v38, v[0:1]
	s_wait_dscnt 0x1
	s_wait_xcnt 0x0
	v_and_b32_e32 v0, 0xff, v48
	v_mov_b32_e32 v1, 0
	s_delay_alu instid0(VALU_DEP_2)
	v_cmpx_ne_u16_e32 0, v0
	s_cbranch_execz .LBB283_1738
; %bb.1731:                             ;   in Loop: Header=BB283_1069 Depth=1
	v_mov_b32_e32 v8, 0x8000
	s_mov_b32 s15, exec_lo
	v_cmpx_ne_u16_e32 0x80, v0
	s_cbranch_execz .LBB283_1737
; %bb.1732:                             ;   in Loop: Header=BB283_1069 Depth=1
	v_and_b32_e32 v9, 0x7f, v48
	v_mov_b32_e32 v8, 0x7c01
	s_mov_b32 s16, exec_lo
	s_delay_alu instid0(VALU_DEP_2)
	v_cmpx_ne_u32_e32 0x7f, v9
	s_cbranch_execz .LBB283_1736
; %bb.1733:                             ;   in Loop: Header=BB283_1069 Depth=1
	v_dual_lshrrev_b32 v6, 3, v9 :: v_dual_bitop2_b32 v0, 7, v48 bitop3:0x40
	s_mov_b32 s17, exec_lo
	v_cmpx_gt_u32_e32 8, v9
; %bb.1734:                             ;   in Loop: Header=BB283_1069 Depth=1
	s_delay_alu instid0(VALU_DEP_2) | instskip(NEXT) | instid1(VALU_DEP_1)
	v_clz_i32_u32_e32 v0, v0
	v_min_u32_e32 v0, 32, v0
	s_delay_alu instid0(VALU_DEP_1) | instskip(NEXT) | instid1(VALU_DEP_1)
	v_subrev_nc_u32_e32 v6, 28, v0
	v_lshlrev_b64_e32 v[8:9], v6, v[48:49]
	v_sub_nc_u32_e32 v6, 29, v0
	s_delay_alu instid0(VALU_DEP_2)
	v_and_b32_e32 v0, 7, v8
; %bb.1735:                             ;   in Loop: Header=BB283_1069 Depth=1
	s_or_b32 exec_lo, exec_lo, s17
	v_lshlrev_b32_e32 v8, 8, v48
	s_delay_alu instid0(VALU_DEP_3) | instskip(NEXT) | instid1(VALU_DEP_3)
	v_lshl_add_u32 v6, v6, 10, 0x2000
	v_lshlrev_b32_e32 v0, 7, v0
	s_delay_alu instid0(VALU_DEP_3) | instskip(NEXT) | instid1(VALU_DEP_3)
	v_and_b32_e32 v8, 0x8000, v8
	v_and_b32_e32 v6, 0xfc00, v6
	s_delay_alu instid0(VALU_DEP_1)
	v_or3_b32 v8, v8, v6, v0
.LBB283_1736:                           ;   in Loop: Header=BB283_1069 Depth=1
	s_or_b32 exec_lo, exec_lo, s16
.LBB283_1737:                           ;   in Loop: Header=BB283_1069 Depth=1
	s_delay_alu instid0(SALU_CYCLE_1)
	s_or_b32 exec_lo, exec_lo, s15
.LBB283_1738:                           ;   in Loop: Header=BB283_1069 Depth=1
	s_delay_alu instid0(SALU_CYCLE_1) | instskip(SKIP_2) | instid1(VALU_DEP_1)
	s_or_b32 exec_lo, exec_lo, s14
	v_lshrrev_b16 v6, 8, v48
	s_mov_b32 s14, exec_lo
	v_cmpx_ne_u16_e32 0, v6
	s_cbranch_execz .LBB283_1746
; %bb.1739:                             ;   in Loop: Header=BB283_1069 Depth=1
	v_bfrev_b32_e32 v1, 1
	s_mov_b32 s15, exec_lo
	v_cmpx_ne_u16_e32 0x80, v6
	s_cbranch_execz .LBB283_1745
; %bb.1740:                             ;   in Loop: Header=BB283_1069 Depth=1
	v_and_b32_e32 v0, 0xffff, v6
	v_mov_b32_e32 v1, 0x7c010000
	s_mov_b32 s16, exec_lo
	s_delay_alu instid0(VALU_DEP_2) | instskip(NEXT) | instid1(VALU_DEP_1)
	v_and_b32_e32 v16, 0x7f, v0
	v_cmpx_ne_u32_e32 0x7f, v16
	s_cbranch_execz .LBB283_1744
; %bb.1741:                             ;   in Loop: Header=BB283_1069 Depth=1
	v_and_b32_e32 v1, 7, v0
	v_lshrrev_b32_e32 v9, 3, v16
	s_mov_b32 s17, exec_lo
	v_cmpx_gt_u32_e32 8, v16
; %bb.1742:                             ;   in Loop: Header=BB283_1069 Depth=1
	s_delay_alu instid0(VALU_DEP_3) | instskip(NEXT) | instid1(VALU_DEP_1)
	v_clz_i32_u32_e32 v1, v1
	v_min_u32_e32 v1, 32, v1
	s_delay_alu instid0(VALU_DEP_1) | instskip(NEXT) | instid1(VALU_DEP_1)
	v_subrev_nc_u32_e32 v9, 28, v1
	v_lshlrev_b64_e32 v[16:17], v9, v[6:7]
	s_delay_alu instid0(VALU_DEP_1)
	v_dual_sub_nc_u32 v9, 29, v1 :: v_dual_bitop2_b32 v1, 7, v16 bitop3:0x40
; %bb.1743:                             ;   in Loop: Header=BB283_1069 Depth=1
	s_or_b32 exec_lo, exec_lo, s17
	s_delay_alu instid0(VALU_DEP_1) | instskip(NEXT) | instid1(VALU_DEP_2)
	v_dual_lshlrev_b32 v0, 8, v0 :: v_dual_lshlrev_b32 v1, 23, v1
	v_lshl_add_u32 v6, v9, 10, 0x2000
	s_delay_alu instid0(VALU_DEP_1) | instskip(NEXT) | instid1(VALU_DEP_1)
	v_and_or_b32 v0, 0x8000, v0, v6
	v_lshl_or_b32 v1, v0, 16, v1
.LBB283_1744:                           ;   in Loop: Header=BB283_1069 Depth=1
	s_or_b32 exec_lo, exec_lo, s16
.LBB283_1745:                           ;   in Loop: Header=BB283_1069 Depth=1
	s_delay_alu instid0(SALU_CYCLE_1)
	s_or_b32 exec_lo, exec_lo, s15
.LBB283_1746:                           ;   in Loop: Header=BB283_1069 Depth=1
	s_delay_alu instid0(SALU_CYCLE_1) | instskip(SKIP_3) | instid1(VALU_DEP_2)
	s_or_b32 exec_lo, exec_lo, s14
	v_dual_mov_b32 v9, 0 :: v_dual_lshrrev_b32 v0, 16, v48
	v_mov_b32_e32 v16, 0
	s_mov_b32 s14, exec_lo
	v_and_b32_e32 v6, 0xff, v0
	s_delay_alu instid0(VALU_DEP_1)
	v_cmpx_ne_u16_e32 0, v6
	s_cbranch_execz .LBB283_1754
; %bb.1747:                             ;   in Loop: Header=BB283_1069 Depth=1
	v_mov_b32_e32 v16, 0x8000
	s_mov_b32 s15, exec_lo
	v_cmpx_ne_u16_e32 0x80, v6
	s_cbranch_execz .LBB283_1753
; %bb.1748:                             ;   in Loop: Header=BB283_1069 Depth=1
	v_bfe_u32 v17, v48, 16, 7
	v_mov_b32_e32 v16, 0x7c01
	s_mov_b32 s16, exec_lo
	s_delay_alu instid0(VALU_DEP_2)
	v_cmpx_ne_u32_e32 0x7f, v17
	s_cbranch_execz .LBB283_1752
; %bb.1749:                             ;   in Loop: Header=BB283_1069 Depth=1
	v_dual_lshrrev_b32 v16, 3, v17 :: v_dual_bitop2_b32 v6, 7, v0 bitop3:0x40
	s_mov_b32 s17, exec_lo
	v_cmpx_gt_u32_e32 8, v17
; %bb.1750:                             ;   in Loop: Header=BB283_1069 Depth=1
	s_delay_alu instid0(VALU_DEP_2) | instskip(NEXT) | instid1(VALU_DEP_1)
	v_clz_i32_u32_e32 v6, v6
	v_min_u32_e32 v6, 32, v6
	s_delay_alu instid0(VALU_DEP_1) | instskip(NEXT) | instid1(VALU_DEP_1)
	v_subrev_nc_u32_e32 v16, 28, v6
	v_lshlrev_b64_e32 v[18:19], v16, v[0:1]
	v_sub_nc_u32_e32 v16, 29, v6
	s_delay_alu instid0(VALU_DEP_2)
	v_and_b32_e32 v6, 7, v18
; %bb.1751:                             ;   in Loop: Header=BB283_1069 Depth=1
	s_or_b32 exec_lo, exec_lo, s17
	s_delay_alu instid0(VALU_DEP_1) | instskip(NEXT) | instid1(VALU_DEP_3)
	v_dual_lshlrev_b32 v0, 8, v0 :: v_dual_lshlrev_b32 v6, 7, v6
	v_lshl_add_u32 v16, v16, 10, 0x2000
	s_delay_alu instid0(VALU_DEP_2) | instskip(NEXT) | instid1(VALU_DEP_2)
	v_and_b32_e32 v0, 0x8000, v0
	v_and_b32_e32 v16, 0xfc00, v16
	s_delay_alu instid0(VALU_DEP_1)
	v_or3_b32 v16, v0, v16, v6
.LBB283_1752:                           ;   in Loop: Header=BB283_1069 Depth=1
	s_or_b32 exec_lo, exec_lo, s16
.LBB283_1753:                           ;   in Loop: Header=BB283_1069 Depth=1
	s_delay_alu instid0(SALU_CYCLE_1)
	s_or_b32 exec_lo, exec_lo, s15
.LBB283_1754:                           ;   in Loop: Header=BB283_1069 Depth=1
	s_delay_alu instid0(SALU_CYCLE_1) | instskip(NEXT) | instid1(SALU_CYCLE_1)
	s_or_b32 exec_lo, exec_lo, s14
	s_mov_b32 s14, exec_lo
	v_cmpx_lt_u32_e32 0xffffff, v48
	s_cbranch_execz .LBB283_1762
; %bb.1755:                             ;   in Loop: Header=BB283_1069 Depth=1
	v_lshrrev_b32_e32 v6, 24, v48
	v_bfrev_b32_e32 v9, 1
	s_mov_b32 s15, exec_lo
	s_delay_alu instid0(VALU_DEP_2)
	v_cmpx_ne_u32_e32 0x80, v6
	s_cbranch_execz .LBB283_1761
; %bb.1756:                             ;   in Loop: Header=BB283_1069 Depth=1
	v_and_b32_e32 v17, 0x7f, v6
	v_mov_b32_e32 v9, 0x7c010000
	s_mov_b32 s16, exec_lo
	s_delay_alu instid0(VALU_DEP_2)
	v_cmpx_ne_u32_e32 0x7f, v17
	s_cbranch_execz .LBB283_1760
; %bb.1757:                             ;   in Loop: Header=BB283_1069 Depth=1
	v_dual_lshrrev_b32 v9, 3, v17 :: v_dual_bitop2_b32 v0, 7, v6 bitop3:0x40
	s_mov_b32 s17, exec_lo
	v_cmpx_gt_u32_e32 8, v17
; %bb.1758:                             ;   in Loop: Header=BB283_1069 Depth=1
	s_delay_alu instid0(VALU_DEP_2) | instskip(NEXT) | instid1(VALU_DEP_1)
	v_clz_i32_u32_e32 v0, v0
	v_min_u32_e32 v0, 32, v0
	s_delay_alu instid0(VALU_DEP_1) | instskip(NEXT) | instid1(VALU_DEP_1)
	v_subrev_nc_u32_e32 v9, 28, v0
	v_lshlrev_b64_e32 v[18:19], v9, v[6:7]
	s_delay_alu instid0(VALU_DEP_1)
	v_dual_sub_nc_u32 v9, 29, v0 :: v_dual_bitop2_b32 v0, 7, v18 bitop3:0x40
; %bb.1759:                             ;   in Loop: Header=BB283_1069 Depth=1
	s_or_b32 exec_lo, exec_lo, s17
	s_delay_alu instid0(VALU_DEP_1) | instskip(NEXT) | instid1(VALU_DEP_2)
	v_dual_lshlrev_b32 v6, 8, v6 :: v_dual_lshlrev_b32 v0, 23, v0
	v_lshl_add_u32 v9, v9, 10, 0x2000
	s_delay_alu instid0(VALU_DEP_1) | instskip(NEXT) | instid1(VALU_DEP_1)
	v_and_or_b32 v6, 0x8000, v6, v9
	v_lshl_or_b32 v9, v6, 16, v0
.LBB283_1760:                           ;   in Loop: Header=BB283_1069 Depth=1
	s_or_b32 exec_lo, exec_lo, s16
.LBB283_1761:                           ;   in Loop: Header=BB283_1069 Depth=1
	s_delay_alu instid0(SALU_CYCLE_1)
	s_or_b32 exec_lo, exec_lo, s15
.LBB283_1762:                           ;   in Loop: Header=BB283_1069 Depth=1
	s_delay_alu instid0(SALU_CYCLE_1) | instskip(SKIP_4) | instid1(VALU_DEP_3)
	s_or_b32 exec_lo, exec_lo, s14
	v_and_b32_e32 v0, 0xff, v49
	v_dual_mov_b32 v6, v49 :: v_dual_mov_b32 v18, 0
	v_mov_b32_e32 v17, 0
	s_mov_b32 s14, exec_lo
	v_cmpx_ne_u16_e32 0, v0
	s_cbranch_execz .LBB283_1770
; %bb.1763:                             ;   in Loop: Header=BB283_1069 Depth=1
	v_mov_b32_e32 v17, 0x8000
	s_mov_b32 s15, exec_lo
	v_cmpx_ne_u16_e32 0x80, v0
	s_cbranch_execz .LBB283_1769
; %bb.1764:                             ;   in Loop: Header=BB283_1069 Depth=1
	v_and_b32_e32 v19, 0x7f, v49
	v_mov_b32_e32 v17, 0x7c01
	s_mov_b32 s16, exec_lo
	s_delay_alu instid0(VALU_DEP_2)
	v_cmpx_ne_u32_e32 0x7f, v19
	s_cbranch_execz .LBB283_1768
; %bb.1765:                             ;   in Loop: Header=BB283_1069 Depth=1
	v_dual_lshrrev_b32 v17, 3, v19 :: v_dual_bitop2_b32 v0, 7, v49 bitop3:0x40
	s_mov_b32 s17, exec_lo
	v_cmpx_gt_u32_e32 8, v19
; %bb.1766:                             ;   in Loop: Header=BB283_1069 Depth=1
	s_delay_alu instid0(VALU_DEP_2) | instskip(NEXT) | instid1(VALU_DEP_1)
	v_clz_i32_u32_e32 v0, v0
	v_min_u32_e32 v0, 32, v0
	s_delay_alu instid0(VALU_DEP_1) | instskip(NEXT) | instid1(VALU_DEP_1)
	v_subrev_nc_u32_e32 v17, 28, v0
	v_lshlrev_b64_e32 v[22:23], v17, v[6:7]
	s_delay_alu instid0(VALU_DEP_1)
	v_dual_sub_nc_u32 v17, 29, v0 :: v_dual_bitop2_b32 v0, 7, v22 bitop3:0x40
; %bb.1767:                             ;   in Loop: Header=BB283_1069 Depth=1
	s_or_b32 exec_lo, exec_lo, s17
	s_delay_alu instid0(VALU_DEP_1) | instskip(NEXT) | instid1(VALU_DEP_2)
	v_dual_lshlrev_b32 v19, 8, v49 :: v_dual_lshlrev_b32 v0, 7, v0
	v_lshl_add_u32 v17, v17, 10, 0x2000
	s_delay_alu instid0(VALU_DEP_2) | instskip(NEXT) | instid1(VALU_DEP_2)
	v_and_b32_e32 v19, 0x8000, v19
	v_and_b32_e32 v17, 0xfc00, v17
	s_delay_alu instid0(VALU_DEP_1)
	v_or3_b32 v17, v19, v17, v0
.LBB283_1768:                           ;   in Loop: Header=BB283_1069 Depth=1
	s_or_b32 exec_lo, exec_lo, s16
.LBB283_1769:                           ;   in Loop: Header=BB283_1069 Depth=1
	s_delay_alu instid0(SALU_CYCLE_1)
	s_or_b32 exec_lo, exec_lo, s15
.LBB283_1770:                           ;   in Loop: Header=BB283_1069 Depth=1
	s_delay_alu instid0(SALU_CYCLE_1) | instskip(SKIP_3) | instid1(VALU_DEP_2)
	s_or_b32 exec_lo, exec_lo, s14
	v_lshrrev_b16 v6, 8, v6
	v_mov_b32_e32 v19, 0
	s_mov_b32 s14, exec_lo
	v_cmpx_ne_u16_e32 0, v6
	s_cbranch_execz .LBB283_1778
; %bb.1771:                             ;   in Loop: Header=BB283_1069 Depth=1
	v_bfrev_b32_e32 v19, 1
	s_mov_b32 s15, exec_lo
	v_cmpx_ne_u16_e32 0x80, v6
	s_cbranch_execz .LBB283_1777
; %bb.1772:                             ;   in Loop: Header=BB283_1069 Depth=1
	v_and_b32_e32 v0, 0xffff, v6
	v_mov_b32_e32 v19, 0x7c010000
	s_mov_b32 s16, exec_lo
	s_delay_alu instid0(VALU_DEP_2) | instskip(NEXT) | instid1(VALU_DEP_1)
	v_and_b32_e32 v23, 0x7f, v0
	v_cmpx_ne_u32_e32 0x7f, v23
	s_cbranch_execz .LBB283_1776
; %bb.1773:                             ;   in Loop: Header=BB283_1069 Depth=1
	v_dual_lshrrev_b32 v22, 3, v23 :: v_dual_bitop2_b32 v19, 7, v0 bitop3:0x40
	s_mov_b32 s17, exec_lo
	v_cmpx_gt_u32_e32 8, v23
; %bb.1774:                             ;   in Loop: Header=BB283_1069 Depth=1
	s_delay_alu instid0(VALU_DEP_2) | instskip(NEXT) | instid1(VALU_DEP_1)
	v_clz_i32_u32_e32 v19, v19
	v_min_u32_e32 v19, 32, v19
	s_delay_alu instid0(VALU_DEP_1) | instskip(NEXT) | instid1(VALU_DEP_1)
	v_subrev_nc_u32_e32 v22, 28, v19
	v_lshlrev_b64_e32 v[50:51], v22, v[6:7]
	s_delay_alu instid0(VALU_DEP_1)
	v_dual_sub_nc_u32 v22, 29, v19 :: v_dual_bitop2_b32 v19, 7, v50 bitop3:0x40
; %bb.1775:                             ;   in Loop: Header=BB283_1069 Depth=1
	s_or_b32 exec_lo, exec_lo, s17
	v_lshlrev_b32_e32 v0, 8, v0
	s_delay_alu instid0(VALU_DEP_2) | instskip(NEXT) | instid1(VALU_DEP_1)
	v_lshl_add_u32 v6, v22, 10, 0x2000
	v_and_or_b32 v0, 0x8000, v0, v6
	v_lshlrev_b32_e32 v6, 23, v19
	s_delay_alu instid0(VALU_DEP_1)
	v_lshl_or_b32 v19, v0, 16, v6
.LBB283_1776:                           ;   in Loop: Header=BB283_1069 Depth=1
	s_or_b32 exec_lo, exec_lo, s16
.LBB283_1777:                           ;   in Loop: Header=BB283_1069 Depth=1
	s_delay_alu instid0(SALU_CYCLE_1)
	s_or_b32 exec_lo, exec_lo, s15
.LBB283_1778:                           ;   in Loop: Header=BB283_1069 Depth=1
	s_delay_alu instid0(SALU_CYCLE_1) | instskip(SKIP_2) | instid1(VALU_DEP_1)
	s_or_b32 exec_lo, exec_lo, s14
	v_lshrrev_b32_e32 v0, 16, v49
	s_mov_b32 s14, exec_lo
	v_and_b32_e32 v6, 0xff, v0
	s_delay_alu instid0(VALU_DEP_1)
	v_cmpx_ne_u16_e32 0, v6
	s_cbranch_execz .LBB283_1786
; %bb.1779:                             ;   in Loop: Header=BB283_1069 Depth=1
	v_mov_b32_e32 v18, 0x8000
	s_mov_b32 s15, exec_lo
	v_cmpx_ne_u16_e32 0x80, v6
	s_cbranch_execz .LBB283_1785
; %bb.1780:                             ;   in Loop: Header=BB283_1069 Depth=1
	v_bfe_u32 v22, v49, 16, 7
	v_mov_b32_e32 v18, 0x7c01
	s_mov_b32 s16, exec_lo
	s_delay_alu instid0(VALU_DEP_2)
	v_cmpx_ne_u32_e32 0x7f, v22
	s_cbranch_execz .LBB283_1784
; %bb.1781:                             ;   in Loop: Header=BB283_1069 Depth=1
	v_dual_lshrrev_b32 v18, 3, v22 :: v_dual_bitop2_b32 v6, 7, v0 bitop3:0x40
	s_mov_b32 s17, exec_lo
	v_cmpx_gt_u32_e32 8, v22
; %bb.1782:                             ;   in Loop: Header=BB283_1069 Depth=1
	s_delay_alu instid0(VALU_DEP_2) | instskip(NEXT) | instid1(VALU_DEP_1)
	v_clz_i32_u32_e32 v6, v6
	v_min_u32_e32 v6, 32, v6
	s_delay_alu instid0(VALU_DEP_1) | instskip(NEXT) | instid1(VALU_DEP_1)
	v_subrev_nc_u32_e32 v18, 28, v6
	v_lshlrev_b64_e32 v[22:23], v18, v[0:1]
	v_sub_nc_u32_e32 v18, 29, v6
	s_delay_alu instid0(VALU_DEP_2)
	v_and_b32_e32 v6, 7, v22
; %bb.1783:                             ;   in Loop: Header=BB283_1069 Depth=1
	s_or_b32 exec_lo, exec_lo, s17
	s_delay_alu instid0(VALU_DEP_1) | instskip(NEXT) | instid1(VALU_DEP_3)
	v_dual_lshlrev_b32 v0, 8, v0 :: v_dual_lshlrev_b32 v6, 7, v6
	v_lshl_add_u32 v18, v18, 10, 0x2000
	s_delay_alu instid0(VALU_DEP_2) | instskip(NEXT) | instid1(VALU_DEP_2)
	v_and_b32_e32 v0, 0x8000, v0
	v_and_b32_e32 v18, 0xfc00, v18
	s_delay_alu instid0(VALU_DEP_1)
	v_or3_b32 v18, v0, v18, v6
.LBB283_1784:                           ;   in Loop: Header=BB283_1069 Depth=1
	s_or_b32 exec_lo, exec_lo, s16
.LBB283_1785:                           ;   in Loop: Header=BB283_1069 Depth=1
	s_delay_alu instid0(SALU_CYCLE_1)
	s_or_b32 exec_lo, exec_lo, s15
.LBB283_1786:                           ;   in Loop: Header=BB283_1069 Depth=1
	s_delay_alu instid0(SALU_CYCLE_1)
	s_or_b32 exec_lo, exec_lo, s14
	v_mov_b32_e32 v0, 0
	s_mov_b32 s14, exec_lo
	v_cmpx_lt_u64_e64 s[2:3], v[48:49]
	s_cbranch_execz .LBB283_1794
; %bb.1787:                             ;   in Loop: Header=BB283_1069 Depth=1
	v_lshrrev_b32_e32 v6, 24, v49
	v_bfrev_b32_e32 v0, 1
	s_mov_b32 s15, exec_lo
	s_delay_alu instid0(VALU_DEP_2)
	v_cmpx_ne_u32_e32 0x80, v6
	s_cbranch_execz .LBB283_1793
; %bb.1788:                             ;   in Loop: Header=BB283_1069 Depth=1
	v_and_b32_e32 v23, 0x7f, v6
	v_mov_b32_e32 v0, 0x7c010000
	s_mov_b32 s16, exec_lo
	s_delay_alu instid0(VALU_DEP_2)
	v_cmpx_ne_u32_e32 0x7f, v23
	s_cbranch_execz .LBB283_1792
; %bb.1789:                             ;   in Loop: Header=BB283_1069 Depth=1
	v_dual_lshrrev_b32 v22, 3, v23 :: v_dual_bitop2_b32 v0, 7, v6 bitop3:0x40
	s_mov_b32 s17, exec_lo
	v_cmpx_gt_u32_e32 8, v23
; %bb.1790:                             ;   in Loop: Header=BB283_1069 Depth=1
	s_delay_alu instid0(VALU_DEP_2) | instskip(NEXT) | instid1(VALU_DEP_1)
	v_clz_i32_u32_e32 v0, v0
	v_min_u32_e32 v0, 32, v0
	s_delay_alu instid0(VALU_DEP_1) | instskip(NEXT) | instid1(VALU_DEP_1)
	v_subrev_nc_u32_e32 v22, 28, v0
	v_lshlrev_b64_e32 v[48:49], v22, v[6:7]
	v_sub_nc_u32_e32 v22, 29, v0
	s_delay_alu instid0(VALU_DEP_2)
	v_and_b32_e32 v0, 7, v48
; %bb.1791:                             ;   in Loop: Header=BB283_1069 Depth=1
	s_or_b32 exec_lo, exec_lo, s17
	s_delay_alu instid0(VALU_DEP_1) | instskip(NEXT) | instid1(VALU_DEP_3)
	v_dual_lshlrev_b32 v6, 8, v6 :: v_dual_lshlrev_b32 v0, 23, v0
	v_lshl_add_u32 v22, v22, 10, 0x2000
	s_delay_alu instid0(VALU_DEP_1) | instskip(NEXT) | instid1(VALU_DEP_1)
	v_and_or_b32 v6, 0x8000, v6, v22
	v_lshl_or_b32 v0, v6, 16, v0
.LBB283_1792:                           ;   in Loop: Header=BB283_1069 Depth=1
	s_or_b32 exec_lo, exec_lo, s16
.LBB283_1793:                           ;   in Loop: Header=BB283_1069 Depth=1
	s_delay_alu instid0(SALU_CYCLE_1)
	s_or_b32 exec_lo, exec_lo, s15
.LBB283_1794:                           ;   in Loop: Header=BB283_1069 Depth=1
	s_delay_alu instid0(SALU_CYCLE_1) | instskip(SKIP_2) | instid1(VALU_DEP_2)
	s_or_b32 exec_lo, exec_lo, s14
	v_dual_lshrrev_b32 v6, 16, v1 :: v_dual_bitop2_b32 v1, v1, v8 bitop3:0x54
	v_dual_lshrrev_b32 v22, 16, v9 :: v_dual_bitop2_b32 v16, v9, v16 bitop3:0x54
	v_cvt_f32_f16_e32 v9, v6
	v_dual_lshrrev_b32 v18, 16, v19 :: v_dual_bitop2_b32 v6, v0, v18 bitop3:0x54
	s_delay_alu instid0(VALU_DEP_3)
	v_cvt_f32_f16_e32 v8, v22
	v_dual_lshrrev_b32 v22, 16, v0 :: v_dual_bitop2_b32 v19, v19, v17 bitop3:0x54
	v_cvt_f32_f16_e32 v0, v16
	v_cvt_f32_f16_e32 v1, v1
	s_wait_loadcnt_dscnt 0x0
	v_pk_mul_f32 v[8:9], v[38:39], v[8:9] op_sel_hi:[0,1]
	v_cvt_f32_f16_e32 v17, v18
	v_cvt_f32_f16_e32 v16, v22
	;; [unrolled: 1-line block ×4, first 2 shown]
	v_pk_mul_f32 v[0:1], v[38:39], v[0:1] op_sel_hi:[0,1]
	v_cvt_pk_f16_f32 v6, v8, v9
	v_pk_mul_f32 v[8:9], v[38:39], v[16:17] op_sel_hi:[0,1]
	s_delay_alu instid0(VALU_DEP_4) | instskip(NEXT) | instid1(VALU_DEP_4)
	v_pk_mul_f32 v[16:17], v[38:39], v[18:19] op_sel_hi:[0,1]
	v_cvt_pk_f16_f32 v0, v0, v1
	s_delay_alu instid0(VALU_DEP_4) | instskip(NEXT) | instid1(VALU_DEP_4)
	v_and_b32_e32 v19, 0xffff0000, v6
	v_cvt_pk_f16_f32 v8, v8, v9
	v_lshlrev_b32_e32 v38, 16, v6
	v_cvt_pk_f16_f32 v6, v16, v17
	v_lshrrev_b32_e32 v51, 16, v0
	v_and_b32_e32 v52, 0xffff, v0
	v_and_b32_e32 v1, 0xffff0000, v8
	s_delay_alu instid0(VALU_DEP_4) | instskip(SKIP_3) | instid1(VALU_DEP_4)
	v_dual_lshlrev_b32 v0, 16, v8 :: v_dual_lshrrev_b32 v9, 16, v6
	v_and_b32_e32 v6, 0xffff, v6
	v_or_b32_e32 v49, v19, v51
	v_or_b32_e32 v50, v38, v52
	;; [unrolled: 1-line block ×3, first 2 shown]
	s_delay_alu instid0(VALU_DEP_4)
	v_or_b32_e32 v48, v0, v6
	s_and_saveexec_b32 s14, vcc_lo
	s_cbranch_execz .LBB283_1796
; %bb.1795:                             ;   in Loop: Header=BB283_1069 Depth=1
	v_cmp_lt_i32_e64 s0, v69, v13
	s_delay_alu instid0(VALU_DEP_1) | instskip(SKIP_1) | instid1(VALU_DEP_1)
	v_cndmask_b32_e64 v8, 0, v51, s0
	v_cmp_lt_i32_e64 s0, v84, v12
	v_cndmask_b32_e64 v16, 0, v52, s0
	v_cmp_lt_i32_e64 s0, v83, v13
	s_delay_alu instid0(VALU_DEP_1) | instskip(SKIP_1) | instid1(VALU_DEP_1)
	v_cndmask_b32_e64 v17, 0, v19, s0
	v_cmp_lt_i32_e64 s0, v82, v12
	v_cndmask_b32_e64 v18, 0, v38, s0
	v_cmp_lt_i32_e64 s0, v81, v13
	s_delay_alu instid0(VALU_DEP_4) | instskip(NEXT) | instid1(VALU_DEP_2)
	v_or_b32_e32 v49, v8, v17
	v_dual_cndmask_b32 v9, 0, v9, s0 :: v_dual_bitop2_b32 v50, v16, v18 bitop3:0x54
	v_cmp_lt_i32_e64 s0, v80, v12
	s_delay_alu instid0(VALU_DEP_1) | instskip(SKIP_1) | instid1(VALU_DEP_1)
	v_cndmask_b32_e64 v6, 0, v6, s0
	v_cmp_lt_i32_e64 s0, v71, v13
	v_cndmask_b32_e64 v1, 0, v1, s0
	v_cmp_lt_i32_e64 s0, v70, v12
	s_delay_alu instid0(VALU_DEP_1) | instskip(NEXT) | instid1(VALU_DEP_1)
	v_dual_cndmask_b32 v0, 0, v0, s0 :: v_dual_bitop2_b32 v39, v9, v1 bitop3:0x54
	v_or_b32_e32 v48, v6, v0
.LBB283_1796:                           ;   in Loop: Header=BB283_1069 Depth=1
	s_or_b32 exec_lo, exec_lo, s14
	;;#ASMSTART
	v_pk_mul_f16 v0, v97, v49;

	;;#ASMEND
	;;#ASMSTART
	v_pk_mul_f16 v1, v87, v50;

	;;#ASMEND
	;; [unrolled: 4-line block ×4, first 2 shown]
	;;#ASMSTART
	v_pk_add_f16 v0, v0, v1;

	;;#ASMEND
	;;#ASMSTART
	v_pk_add_f16 v0, v0, v6;

	;;#ASMEND
	;; [unrolled: 4-line block ×3, first 2 shown]
	v_and_b32_e32 v1, 0xffff, v0
	v_lshrrev_b32_e32 v0, 16, v0
	;;#ASMSTART
	v_cvt_f32_f16 v45, v1;
	;;#ASMEND
	;;#ASMSTART
	v_cvt_f32_f16 v46, v0;
	;;#ASMEND
	flat_load_b64 v[48:49], v[28:29] offset:2816
	scratch_load_b64 v[0:1], off, s32 offset:192 ; 8-byte Folded Reload
	v_mov_b32_e32 v8, 0
	s_mov_b32 s14, exec_lo
	s_wait_loadcnt 0x0
	flat_load_b32 v38, v[0:1]
	s_wait_dscnt 0x1
	s_wait_xcnt 0x0
	v_and_b32_e32 v0, 0xff, v48
	v_mov_b32_e32 v1, 0
	s_delay_alu instid0(VALU_DEP_2)
	v_cmpx_ne_u16_e32 0, v0
	s_cbranch_execz .LBB283_1804
; %bb.1797:                             ;   in Loop: Header=BB283_1069 Depth=1
	v_mov_b32_e32 v8, 0x8000
	s_mov_b32 s15, exec_lo
	v_cmpx_ne_u16_e32 0x80, v0
	s_cbranch_execz .LBB283_1803
; %bb.1798:                             ;   in Loop: Header=BB283_1069 Depth=1
	v_and_b32_e32 v9, 0x7f, v48
	v_mov_b32_e32 v8, 0x7c01
	s_mov_b32 s16, exec_lo
	s_delay_alu instid0(VALU_DEP_2)
	v_cmpx_ne_u32_e32 0x7f, v9
	s_cbranch_execz .LBB283_1802
; %bb.1799:                             ;   in Loop: Header=BB283_1069 Depth=1
	v_dual_lshrrev_b32 v6, 3, v9 :: v_dual_bitop2_b32 v0, 7, v48 bitop3:0x40
	s_mov_b32 s17, exec_lo
	v_cmpx_gt_u32_e32 8, v9
; %bb.1800:                             ;   in Loop: Header=BB283_1069 Depth=1
	s_delay_alu instid0(VALU_DEP_2) | instskip(NEXT) | instid1(VALU_DEP_1)
	v_clz_i32_u32_e32 v0, v0
	v_min_u32_e32 v0, 32, v0
	s_delay_alu instid0(VALU_DEP_1) | instskip(NEXT) | instid1(VALU_DEP_1)
	v_subrev_nc_u32_e32 v6, 28, v0
	v_lshlrev_b64_e32 v[8:9], v6, v[48:49]
	v_sub_nc_u32_e32 v6, 29, v0
	s_delay_alu instid0(VALU_DEP_2)
	v_and_b32_e32 v0, 7, v8
; %bb.1801:                             ;   in Loop: Header=BB283_1069 Depth=1
	s_or_b32 exec_lo, exec_lo, s17
	v_lshlrev_b32_e32 v8, 8, v48
	s_delay_alu instid0(VALU_DEP_3) | instskip(NEXT) | instid1(VALU_DEP_3)
	v_lshl_add_u32 v6, v6, 10, 0x2000
	v_lshlrev_b32_e32 v0, 7, v0
	s_delay_alu instid0(VALU_DEP_3) | instskip(NEXT) | instid1(VALU_DEP_3)
	v_and_b32_e32 v8, 0x8000, v8
	v_and_b32_e32 v6, 0xfc00, v6
	s_delay_alu instid0(VALU_DEP_1)
	v_or3_b32 v8, v8, v6, v0
.LBB283_1802:                           ;   in Loop: Header=BB283_1069 Depth=1
	s_or_b32 exec_lo, exec_lo, s16
.LBB283_1803:                           ;   in Loop: Header=BB283_1069 Depth=1
	s_delay_alu instid0(SALU_CYCLE_1)
	s_or_b32 exec_lo, exec_lo, s15
.LBB283_1804:                           ;   in Loop: Header=BB283_1069 Depth=1
	s_delay_alu instid0(SALU_CYCLE_1) | instskip(SKIP_2) | instid1(VALU_DEP_1)
	s_or_b32 exec_lo, exec_lo, s14
	v_lshrrev_b16 v6, 8, v48
	s_mov_b32 s14, exec_lo
	v_cmpx_ne_u16_e32 0, v6
	s_cbranch_execz .LBB283_1812
; %bb.1805:                             ;   in Loop: Header=BB283_1069 Depth=1
	v_bfrev_b32_e32 v1, 1
	s_mov_b32 s15, exec_lo
	v_cmpx_ne_u16_e32 0x80, v6
	s_cbranch_execz .LBB283_1811
; %bb.1806:                             ;   in Loop: Header=BB283_1069 Depth=1
	v_and_b32_e32 v0, 0xffff, v6
	v_mov_b32_e32 v1, 0x7c010000
	s_mov_b32 s16, exec_lo
	s_delay_alu instid0(VALU_DEP_2) | instskip(NEXT) | instid1(VALU_DEP_1)
	v_and_b32_e32 v16, 0x7f, v0
	v_cmpx_ne_u32_e32 0x7f, v16
	s_cbranch_execz .LBB283_1810
; %bb.1807:                             ;   in Loop: Header=BB283_1069 Depth=1
	v_and_b32_e32 v1, 7, v0
	v_lshrrev_b32_e32 v9, 3, v16
	s_mov_b32 s17, exec_lo
	v_cmpx_gt_u32_e32 8, v16
; %bb.1808:                             ;   in Loop: Header=BB283_1069 Depth=1
	s_delay_alu instid0(VALU_DEP_3) | instskip(NEXT) | instid1(VALU_DEP_1)
	v_clz_i32_u32_e32 v1, v1
	v_min_u32_e32 v1, 32, v1
	s_delay_alu instid0(VALU_DEP_1) | instskip(NEXT) | instid1(VALU_DEP_1)
	v_subrev_nc_u32_e32 v9, 28, v1
	v_lshlrev_b64_e32 v[16:17], v9, v[6:7]
	s_delay_alu instid0(VALU_DEP_1)
	v_dual_sub_nc_u32 v9, 29, v1 :: v_dual_bitop2_b32 v1, 7, v16 bitop3:0x40
; %bb.1809:                             ;   in Loop: Header=BB283_1069 Depth=1
	s_or_b32 exec_lo, exec_lo, s17
	s_delay_alu instid0(VALU_DEP_1) | instskip(NEXT) | instid1(VALU_DEP_2)
	v_dual_lshlrev_b32 v0, 8, v0 :: v_dual_lshlrev_b32 v1, 23, v1
	v_lshl_add_u32 v6, v9, 10, 0x2000
	s_delay_alu instid0(VALU_DEP_1) | instskip(NEXT) | instid1(VALU_DEP_1)
	v_and_or_b32 v0, 0x8000, v0, v6
	v_lshl_or_b32 v1, v0, 16, v1
.LBB283_1810:                           ;   in Loop: Header=BB283_1069 Depth=1
	s_or_b32 exec_lo, exec_lo, s16
.LBB283_1811:                           ;   in Loop: Header=BB283_1069 Depth=1
	s_delay_alu instid0(SALU_CYCLE_1)
	s_or_b32 exec_lo, exec_lo, s15
.LBB283_1812:                           ;   in Loop: Header=BB283_1069 Depth=1
	s_delay_alu instid0(SALU_CYCLE_1) | instskip(SKIP_3) | instid1(VALU_DEP_2)
	s_or_b32 exec_lo, exec_lo, s14
	v_dual_mov_b32 v9, 0 :: v_dual_lshrrev_b32 v0, 16, v48
	v_mov_b32_e32 v16, 0
	s_mov_b32 s14, exec_lo
	v_and_b32_e32 v6, 0xff, v0
	s_delay_alu instid0(VALU_DEP_1)
	v_cmpx_ne_u16_e32 0, v6
	s_cbranch_execz .LBB283_1820
; %bb.1813:                             ;   in Loop: Header=BB283_1069 Depth=1
	v_mov_b32_e32 v16, 0x8000
	s_mov_b32 s15, exec_lo
	v_cmpx_ne_u16_e32 0x80, v6
	s_cbranch_execz .LBB283_1819
; %bb.1814:                             ;   in Loop: Header=BB283_1069 Depth=1
	v_bfe_u32 v17, v48, 16, 7
	v_mov_b32_e32 v16, 0x7c01
	s_mov_b32 s16, exec_lo
	s_delay_alu instid0(VALU_DEP_2)
	v_cmpx_ne_u32_e32 0x7f, v17
	s_cbranch_execz .LBB283_1818
; %bb.1815:                             ;   in Loop: Header=BB283_1069 Depth=1
	v_dual_lshrrev_b32 v16, 3, v17 :: v_dual_bitop2_b32 v6, 7, v0 bitop3:0x40
	s_mov_b32 s17, exec_lo
	v_cmpx_gt_u32_e32 8, v17
; %bb.1816:                             ;   in Loop: Header=BB283_1069 Depth=1
	s_delay_alu instid0(VALU_DEP_2) | instskip(NEXT) | instid1(VALU_DEP_1)
	v_clz_i32_u32_e32 v6, v6
	v_min_u32_e32 v6, 32, v6
	s_delay_alu instid0(VALU_DEP_1) | instskip(NEXT) | instid1(VALU_DEP_1)
	v_subrev_nc_u32_e32 v16, 28, v6
	v_lshlrev_b64_e32 v[18:19], v16, v[0:1]
	v_sub_nc_u32_e32 v16, 29, v6
	s_delay_alu instid0(VALU_DEP_2)
	v_and_b32_e32 v6, 7, v18
; %bb.1817:                             ;   in Loop: Header=BB283_1069 Depth=1
	s_or_b32 exec_lo, exec_lo, s17
	s_delay_alu instid0(VALU_DEP_1) | instskip(NEXT) | instid1(VALU_DEP_3)
	v_dual_lshlrev_b32 v0, 8, v0 :: v_dual_lshlrev_b32 v6, 7, v6
	v_lshl_add_u32 v16, v16, 10, 0x2000
	s_delay_alu instid0(VALU_DEP_2) | instskip(NEXT) | instid1(VALU_DEP_2)
	v_and_b32_e32 v0, 0x8000, v0
	v_and_b32_e32 v16, 0xfc00, v16
	s_delay_alu instid0(VALU_DEP_1)
	v_or3_b32 v16, v0, v16, v6
.LBB283_1818:                           ;   in Loop: Header=BB283_1069 Depth=1
	s_or_b32 exec_lo, exec_lo, s16
.LBB283_1819:                           ;   in Loop: Header=BB283_1069 Depth=1
	s_delay_alu instid0(SALU_CYCLE_1)
	s_or_b32 exec_lo, exec_lo, s15
.LBB283_1820:                           ;   in Loop: Header=BB283_1069 Depth=1
	s_delay_alu instid0(SALU_CYCLE_1) | instskip(NEXT) | instid1(SALU_CYCLE_1)
	s_or_b32 exec_lo, exec_lo, s14
	s_mov_b32 s14, exec_lo
	v_cmpx_lt_u32_e32 0xffffff, v48
	s_cbranch_execz .LBB283_1828
; %bb.1821:                             ;   in Loop: Header=BB283_1069 Depth=1
	v_lshrrev_b32_e32 v6, 24, v48
	v_bfrev_b32_e32 v9, 1
	s_mov_b32 s15, exec_lo
	s_delay_alu instid0(VALU_DEP_2)
	v_cmpx_ne_u32_e32 0x80, v6
	s_cbranch_execz .LBB283_1827
; %bb.1822:                             ;   in Loop: Header=BB283_1069 Depth=1
	v_and_b32_e32 v17, 0x7f, v6
	v_mov_b32_e32 v9, 0x7c010000
	s_mov_b32 s16, exec_lo
	s_delay_alu instid0(VALU_DEP_2)
	v_cmpx_ne_u32_e32 0x7f, v17
	s_cbranch_execz .LBB283_1826
; %bb.1823:                             ;   in Loop: Header=BB283_1069 Depth=1
	v_dual_lshrrev_b32 v9, 3, v17 :: v_dual_bitop2_b32 v0, 7, v6 bitop3:0x40
	s_mov_b32 s17, exec_lo
	v_cmpx_gt_u32_e32 8, v17
; %bb.1824:                             ;   in Loop: Header=BB283_1069 Depth=1
	s_delay_alu instid0(VALU_DEP_2) | instskip(NEXT) | instid1(VALU_DEP_1)
	v_clz_i32_u32_e32 v0, v0
	v_min_u32_e32 v0, 32, v0
	s_delay_alu instid0(VALU_DEP_1) | instskip(NEXT) | instid1(VALU_DEP_1)
	v_subrev_nc_u32_e32 v9, 28, v0
	v_lshlrev_b64_e32 v[18:19], v9, v[6:7]
	s_delay_alu instid0(VALU_DEP_1)
	v_dual_sub_nc_u32 v9, 29, v0 :: v_dual_bitop2_b32 v0, 7, v18 bitop3:0x40
; %bb.1825:                             ;   in Loop: Header=BB283_1069 Depth=1
	s_or_b32 exec_lo, exec_lo, s17
	s_delay_alu instid0(VALU_DEP_1) | instskip(NEXT) | instid1(VALU_DEP_2)
	v_dual_lshlrev_b32 v6, 8, v6 :: v_dual_lshlrev_b32 v0, 23, v0
	v_lshl_add_u32 v9, v9, 10, 0x2000
	s_delay_alu instid0(VALU_DEP_1) | instskip(NEXT) | instid1(VALU_DEP_1)
	v_and_or_b32 v6, 0x8000, v6, v9
	v_lshl_or_b32 v9, v6, 16, v0
.LBB283_1826:                           ;   in Loop: Header=BB283_1069 Depth=1
	s_or_b32 exec_lo, exec_lo, s16
.LBB283_1827:                           ;   in Loop: Header=BB283_1069 Depth=1
	s_delay_alu instid0(SALU_CYCLE_1)
	s_or_b32 exec_lo, exec_lo, s15
.LBB283_1828:                           ;   in Loop: Header=BB283_1069 Depth=1
	s_delay_alu instid0(SALU_CYCLE_1) | instskip(SKIP_4) | instid1(VALU_DEP_3)
	s_or_b32 exec_lo, exec_lo, s14
	v_and_b32_e32 v0, 0xff, v49
	v_dual_mov_b32 v6, v49 :: v_dual_mov_b32 v18, 0
	v_mov_b32_e32 v17, 0
	s_mov_b32 s14, exec_lo
	v_cmpx_ne_u16_e32 0, v0
	s_cbranch_execz .LBB283_1836
; %bb.1829:                             ;   in Loop: Header=BB283_1069 Depth=1
	v_mov_b32_e32 v17, 0x8000
	s_mov_b32 s15, exec_lo
	v_cmpx_ne_u16_e32 0x80, v0
	s_cbranch_execz .LBB283_1835
; %bb.1830:                             ;   in Loop: Header=BB283_1069 Depth=1
	v_and_b32_e32 v19, 0x7f, v49
	v_mov_b32_e32 v17, 0x7c01
	s_mov_b32 s16, exec_lo
	s_delay_alu instid0(VALU_DEP_2)
	v_cmpx_ne_u32_e32 0x7f, v19
	s_cbranch_execz .LBB283_1834
; %bb.1831:                             ;   in Loop: Header=BB283_1069 Depth=1
	v_dual_lshrrev_b32 v17, 3, v19 :: v_dual_bitop2_b32 v0, 7, v49 bitop3:0x40
	s_mov_b32 s17, exec_lo
	v_cmpx_gt_u32_e32 8, v19
; %bb.1832:                             ;   in Loop: Header=BB283_1069 Depth=1
	s_delay_alu instid0(VALU_DEP_2) | instskip(NEXT) | instid1(VALU_DEP_1)
	v_clz_i32_u32_e32 v0, v0
	v_min_u32_e32 v0, 32, v0
	s_delay_alu instid0(VALU_DEP_1) | instskip(NEXT) | instid1(VALU_DEP_1)
	v_subrev_nc_u32_e32 v17, 28, v0
	v_lshlrev_b64_e32 v[22:23], v17, v[6:7]
	s_delay_alu instid0(VALU_DEP_1)
	v_dual_sub_nc_u32 v17, 29, v0 :: v_dual_bitop2_b32 v0, 7, v22 bitop3:0x40
; %bb.1833:                             ;   in Loop: Header=BB283_1069 Depth=1
	s_or_b32 exec_lo, exec_lo, s17
	s_delay_alu instid0(VALU_DEP_1) | instskip(NEXT) | instid1(VALU_DEP_2)
	v_dual_lshlrev_b32 v19, 8, v49 :: v_dual_lshlrev_b32 v0, 7, v0
	v_lshl_add_u32 v17, v17, 10, 0x2000
	s_delay_alu instid0(VALU_DEP_2) | instskip(NEXT) | instid1(VALU_DEP_2)
	v_and_b32_e32 v19, 0x8000, v19
	v_and_b32_e32 v17, 0xfc00, v17
	s_delay_alu instid0(VALU_DEP_1)
	v_or3_b32 v17, v19, v17, v0
.LBB283_1834:                           ;   in Loop: Header=BB283_1069 Depth=1
	s_or_b32 exec_lo, exec_lo, s16
.LBB283_1835:                           ;   in Loop: Header=BB283_1069 Depth=1
	s_delay_alu instid0(SALU_CYCLE_1)
	s_or_b32 exec_lo, exec_lo, s15
.LBB283_1836:                           ;   in Loop: Header=BB283_1069 Depth=1
	s_delay_alu instid0(SALU_CYCLE_1) | instskip(SKIP_3) | instid1(VALU_DEP_2)
	s_or_b32 exec_lo, exec_lo, s14
	v_lshrrev_b16 v6, 8, v6
	v_mov_b32_e32 v19, 0
	s_mov_b32 s14, exec_lo
	v_cmpx_ne_u16_e32 0, v6
	s_cbranch_execz .LBB283_1844
; %bb.1837:                             ;   in Loop: Header=BB283_1069 Depth=1
	v_bfrev_b32_e32 v19, 1
	s_mov_b32 s15, exec_lo
	v_cmpx_ne_u16_e32 0x80, v6
	s_cbranch_execz .LBB283_1843
; %bb.1838:                             ;   in Loop: Header=BB283_1069 Depth=1
	v_and_b32_e32 v0, 0xffff, v6
	v_mov_b32_e32 v19, 0x7c010000
	s_mov_b32 s16, exec_lo
	s_delay_alu instid0(VALU_DEP_2) | instskip(NEXT) | instid1(VALU_DEP_1)
	v_and_b32_e32 v23, 0x7f, v0
	v_cmpx_ne_u32_e32 0x7f, v23
	s_cbranch_execz .LBB283_1842
; %bb.1839:                             ;   in Loop: Header=BB283_1069 Depth=1
	v_dual_lshrrev_b32 v22, 3, v23 :: v_dual_bitop2_b32 v19, 7, v0 bitop3:0x40
	s_mov_b32 s17, exec_lo
	v_cmpx_gt_u32_e32 8, v23
; %bb.1840:                             ;   in Loop: Header=BB283_1069 Depth=1
	s_delay_alu instid0(VALU_DEP_2) | instskip(NEXT) | instid1(VALU_DEP_1)
	v_clz_i32_u32_e32 v19, v19
	v_min_u32_e32 v19, 32, v19
	s_delay_alu instid0(VALU_DEP_1) | instskip(NEXT) | instid1(VALU_DEP_1)
	v_subrev_nc_u32_e32 v22, 28, v19
	v_lshlrev_b64_e32 v[50:51], v22, v[6:7]
	s_delay_alu instid0(VALU_DEP_1)
	v_dual_sub_nc_u32 v22, 29, v19 :: v_dual_bitop2_b32 v19, 7, v50 bitop3:0x40
; %bb.1841:                             ;   in Loop: Header=BB283_1069 Depth=1
	s_or_b32 exec_lo, exec_lo, s17
	v_lshlrev_b32_e32 v0, 8, v0
	s_delay_alu instid0(VALU_DEP_2) | instskip(NEXT) | instid1(VALU_DEP_1)
	v_lshl_add_u32 v6, v22, 10, 0x2000
	v_and_or_b32 v0, 0x8000, v0, v6
	v_lshlrev_b32_e32 v6, 23, v19
	s_delay_alu instid0(VALU_DEP_1)
	v_lshl_or_b32 v19, v0, 16, v6
.LBB283_1842:                           ;   in Loop: Header=BB283_1069 Depth=1
	s_or_b32 exec_lo, exec_lo, s16
.LBB283_1843:                           ;   in Loop: Header=BB283_1069 Depth=1
	s_delay_alu instid0(SALU_CYCLE_1)
	s_or_b32 exec_lo, exec_lo, s15
.LBB283_1844:                           ;   in Loop: Header=BB283_1069 Depth=1
	s_delay_alu instid0(SALU_CYCLE_1) | instskip(SKIP_2) | instid1(VALU_DEP_1)
	s_or_b32 exec_lo, exec_lo, s14
	v_lshrrev_b32_e32 v0, 16, v49
	s_mov_b32 s14, exec_lo
	v_and_b32_e32 v6, 0xff, v0
	s_delay_alu instid0(VALU_DEP_1)
	v_cmpx_ne_u16_e32 0, v6
	s_cbranch_execz .LBB283_1852
; %bb.1845:                             ;   in Loop: Header=BB283_1069 Depth=1
	v_mov_b32_e32 v18, 0x8000
	s_mov_b32 s15, exec_lo
	v_cmpx_ne_u16_e32 0x80, v6
	s_cbranch_execz .LBB283_1851
; %bb.1846:                             ;   in Loop: Header=BB283_1069 Depth=1
	v_bfe_u32 v22, v49, 16, 7
	v_mov_b32_e32 v18, 0x7c01
	s_mov_b32 s16, exec_lo
	s_delay_alu instid0(VALU_DEP_2)
	v_cmpx_ne_u32_e32 0x7f, v22
	s_cbranch_execz .LBB283_1850
; %bb.1847:                             ;   in Loop: Header=BB283_1069 Depth=1
	v_dual_lshrrev_b32 v18, 3, v22 :: v_dual_bitop2_b32 v6, 7, v0 bitop3:0x40
	s_mov_b32 s17, exec_lo
	v_cmpx_gt_u32_e32 8, v22
; %bb.1848:                             ;   in Loop: Header=BB283_1069 Depth=1
	s_delay_alu instid0(VALU_DEP_2) | instskip(NEXT) | instid1(VALU_DEP_1)
	v_clz_i32_u32_e32 v6, v6
	v_min_u32_e32 v6, 32, v6
	s_delay_alu instid0(VALU_DEP_1) | instskip(NEXT) | instid1(VALU_DEP_1)
	v_subrev_nc_u32_e32 v18, 28, v6
	v_lshlrev_b64_e32 v[22:23], v18, v[0:1]
	v_sub_nc_u32_e32 v18, 29, v6
	s_delay_alu instid0(VALU_DEP_2)
	v_and_b32_e32 v6, 7, v22
; %bb.1849:                             ;   in Loop: Header=BB283_1069 Depth=1
	s_or_b32 exec_lo, exec_lo, s17
	s_delay_alu instid0(VALU_DEP_1) | instskip(NEXT) | instid1(VALU_DEP_3)
	v_dual_lshlrev_b32 v0, 8, v0 :: v_dual_lshlrev_b32 v6, 7, v6
	v_lshl_add_u32 v18, v18, 10, 0x2000
	s_delay_alu instid0(VALU_DEP_2) | instskip(NEXT) | instid1(VALU_DEP_2)
	v_and_b32_e32 v0, 0x8000, v0
	v_and_b32_e32 v18, 0xfc00, v18
	s_delay_alu instid0(VALU_DEP_1)
	v_or3_b32 v18, v0, v18, v6
.LBB283_1850:                           ;   in Loop: Header=BB283_1069 Depth=1
	s_or_b32 exec_lo, exec_lo, s16
.LBB283_1851:                           ;   in Loop: Header=BB283_1069 Depth=1
	s_delay_alu instid0(SALU_CYCLE_1)
	s_or_b32 exec_lo, exec_lo, s15
.LBB283_1852:                           ;   in Loop: Header=BB283_1069 Depth=1
	s_delay_alu instid0(SALU_CYCLE_1)
	s_or_b32 exec_lo, exec_lo, s14
	v_mov_b32_e32 v0, 0
	s_mov_b32 s14, exec_lo
	v_cmpx_lt_u64_e64 s[2:3], v[48:49]
	s_cbranch_execz .LBB283_1860
; %bb.1853:                             ;   in Loop: Header=BB283_1069 Depth=1
	v_lshrrev_b32_e32 v6, 24, v49
	v_bfrev_b32_e32 v0, 1
	s_mov_b32 s15, exec_lo
	s_delay_alu instid0(VALU_DEP_2)
	v_cmpx_ne_u32_e32 0x80, v6
	s_cbranch_execz .LBB283_1859
; %bb.1854:                             ;   in Loop: Header=BB283_1069 Depth=1
	v_and_b32_e32 v23, 0x7f, v6
	v_mov_b32_e32 v0, 0x7c010000
	s_mov_b32 s16, exec_lo
	s_delay_alu instid0(VALU_DEP_2)
	v_cmpx_ne_u32_e32 0x7f, v23
	s_cbranch_execz .LBB283_1858
; %bb.1855:                             ;   in Loop: Header=BB283_1069 Depth=1
	v_dual_lshrrev_b32 v22, 3, v23 :: v_dual_bitop2_b32 v0, 7, v6 bitop3:0x40
	s_mov_b32 s17, exec_lo
	v_cmpx_gt_u32_e32 8, v23
; %bb.1856:                             ;   in Loop: Header=BB283_1069 Depth=1
	s_delay_alu instid0(VALU_DEP_2) | instskip(NEXT) | instid1(VALU_DEP_1)
	v_clz_i32_u32_e32 v0, v0
	v_min_u32_e32 v0, 32, v0
	s_delay_alu instid0(VALU_DEP_1) | instskip(NEXT) | instid1(VALU_DEP_1)
	v_subrev_nc_u32_e32 v22, 28, v0
	v_lshlrev_b64_e32 v[48:49], v22, v[6:7]
	v_sub_nc_u32_e32 v22, 29, v0
	s_delay_alu instid0(VALU_DEP_2)
	v_and_b32_e32 v0, 7, v48
; %bb.1857:                             ;   in Loop: Header=BB283_1069 Depth=1
	s_or_b32 exec_lo, exec_lo, s17
	s_delay_alu instid0(VALU_DEP_1) | instskip(NEXT) | instid1(VALU_DEP_3)
	v_dual_lshlrev_b32 v6, 8, v6 :: v_dual_lshlrev_b32 v0, 23, v0
	v_lshl_add_u32 v22, v22, 10, 0x2000
	s_delay_alu instid0(VALU_DEP_1) | instskip(NEXT) | instid1(VALU_DEP_1)
	v_and_or_b32 v6, 0x8000, v6, v22
	v_lshl_or_b32 v0, v6, 16, v0
.LBB283_1858:                           ;   in Loop: Header=BB283_1069 Depth=1
	s_or_b32 exec_lo, exec_lo, s16
.LBB283_1859:                           ;   in Loop: Header=BB283_1069 Depth=1
	s_delay_alu instid0(SALU_CYCLE_1)
	s_or_b32 exec_lo, exec_lo, s15
.LBB283_1860:                           ;   in Loop: Header=BB283_1069 Depth=1
	s_delay_alu instid0(SALU_CYCLE_1) | instskip(SKIP_2) | instid1(VALU_DEP_2)
	s_or_b32 exec_lo, exec_lo, s14
	v_dual_lshrrev_b32 v6, 16, v1 :: v_dual_bitop2_b32 v1, v1, v8 bitop3:0x54
	v_dual_lshrrev_b32 v22, 16, v9 :: v_dual_bitop2_b32 v16, v9, v16 bitop3:0x54
	v_cvt_f32_f16_e32 v9, v6
	v_dual_lshrrev_b32 v18, 16, v19 :: v_dual_bitop2_b32 v6, v0, v18 bitop3:0x54
	s_delay_alu instid0(VALU_DEP_3)
	v_cvt_f32_f16_e32 v8, v22
	v_dual_lshrrev_b32 v22, 16, v0 :: v_dual_bitop2_b32 v19, v19, v17 bitop3:0x54
	v_cvt_f32_f16_e32 v0, v16
	v_cvt_f32_f16_e32 v1, v1
	s_wait_loadcnt_dscnt 0x0
	v_pk_mul_f32 v[8:9], v[38:39], v[8:9] op_sel_hi:[0,1]
	v_cvt_f32_f16_e32 v17, v18
	v_cvt_f32_f16_e32 v16, v22
	;; [unrolled: 1-line block ×4, first 2 shown]
	v_pk_mul_f32 v[0:1], v[38:39], v[0:1] op_sel_hi:[0,1]
	v_cvt_pk_f16_f32 v6, v8, v9
	v_pk_mul_f32 v[8:9], v[38:39], v[16:17] op_sel_hi:[0,1]
	s_delay_alu instid0(VALU_DEP_4) | instskip(NEXT) | instid1(VALU_DEP_4)
	v_pk_mul_f32 v[16:17], v[38:39], v[18:19] op_sel_hi:[0,1]
	v_cvt_pk_f16_f32 v0, v0, v1
	s_delay_alu instid0(VALU_DEP_4) | instskip(NEXT) | instid1(VALU_DEP_4)
	v_and_b32_e32 v19, 0xffff0000, v6
	v_cvt_pk_f16_f32 v8, v8, v9
	v_lshlrev_b32_e32 v38, 16, v6
	v_cvt_pk_f16_f32 v6, v16, v17
	v_lshrrev_b32_e32 v51, 16, v0
	v_and_b32_e32 v52, 0xffff, v0
	v_and_b32_e32 v1, 0xffff0000, v8
	s_delay_alu instid0(VALU_DEP_4) | instskip(SKIP_3) | instid1(VALU_DEP_4)
	v_dual_lshlrev_b32 v0, 16, v8 :: v_dual_lshrrev_b32 v9, 16, v6
	v_and_b32_e32 v6, 0xffff, v6
	v_or_b32_e32 v49, v19, v51
	v_or_b32_e32 v50, v38, v52
	;; [unrolled: 1-line block ×3, first 2 shown]
	s_delay_alu instid0(VALU_DEP_4)
	v_or_b32_e32 v48, v0, v6
	s_and_saveexec_b32 s14, vcc_lo
	s_cbranch_execz .LBB283_1862
; %bb.1861:                             ;   in Loop: Header=BB283_1069 Depth=1
	v_cmp_lt_i32_e64 s0, v69, v13
	s_delay_alu instid0(VALU_DEP_1) | instskip(SKIP_1) | instid1(VALU_DEP_1)
	v_cndmask_b32_e64 v8, 0, v51, s0
	v_cmp_lt_i32_e64 s0, v84, v12
	v_cndmask_b32_e64 v16, 0, v52, s0
	v_cmp_lt_i32_e64 s0, v83, v13
	s_delay_alu instid0(VALU_DEP_1) | instskip(SKIP_1) | instid1(VALU_DEP_1)
	v_cndmask_b32_e64 v17, 0, v19, s0
	v_cmp_lt_i32_e64 s0, v82, v12
	v_cndmask_b32_e64 v18, 0, v38, s0
	v_cmp_lt_i32_e64 s0, v81, v13
	s_delay_alu instid0(VALU_DEP_4) | instskip(NEXT) | instid1(VALU_DEP_2)
	v_or_b32_e32 v49, v8, v17
	v_dual_cndmask_b32 v9, 0, v9, s0 :: v_dual_bitop2_b32 v50, v16, v18 bitop3:0x54
	v_cmp_lt_i32_e64 s0, v80, v12
	s_delay_alu instid0(VALU_DEP_1) | instskip(SKIP_1) | instid1(VALU_DEP_1)
	v_cndmask_b32_e64 v6, 0, v6, s0
	v_cmp_lt_i32_e64 s0, v71, v13
	v_cndmask_b32_e64 v1, 0, v1, s0
	v_cmp_lt_i32_e64 s0, v70, v12
	s_delay_alu instid0(VALU_DEP_1) | instskip(NEXT) | instid1(VALU_DEP_1)
	v_dual_cndmask_b32 v0, 0, v0, s0 :: v_dual_bitop2_b32 v39, v9, v1 bitop3:0x54
	v_or_b32_e32 v48, v6, v0
.LBB283_1862:                           ;   in Loop: Header=BB283_1069 Depth=1
	s_or_b32 exec_lo, exec_lo, s14
	;;#ASMSTART
	v_pk_mul_f16 v0, v97, v49;

	;;#ASMEND
	;;#ASMSTART
	v_pk_mul_f16 v1, v87, v50;

	;;#ASMEND
	;; [unrolled: 4-line block ×4, first 2 shown]
	;;#ASMSTART
	v_pk_add_f16 v0, v0, v1;

	;;#ASMEND
	;;#ASMSTART
	v_pk_add_f16 v0, v0, v6;

	;;#ASMEND
	;; [unrolled: 4-line block ×3, first 2 shown]
	v_and_b32_e32 v1, 0xffff, v0
	v_lshrrev_b32_e32 v0, 16, v0
	;;#ASMSTART
	v_cvt_f32_f16 v47, v1;
	;;#ASMEND
	;;#ASMSTART
	v_cvt_f32_f16 v56, v0;
	;;#ASMEND
	flat_load_b64 v[48:49], v[28:29] offset:3072
	scratch_load_b64 v[0:1], off, s32 offset:192 ; 8-byte Folded Reload
	v_mov_b32_e32 v8, 0
	s_mov_b32 s14, exec_lo
	s_wait_loadcnt 0x0
	flat_load_b32 v38, v[0:1]
	s_wait_dscnt 0x1
	s_wait_xcnt 0x0
	v_and_b32_e32 v0, 0xff, v48
	v_mov_b32_e32 v1, 0
	s_delay_alu instid0(VALU_DEP_2)
	v_cmpx_ne_u16_e32 0, v0
	s_cbranch_execz .LBB283_1870
; %bb.1863:                             ;   in Loop: Header=BB283_1069 Depth=1
	v_mov_b32_e32 v8, 0x8000
	s_mov_b32 s15, exec_lo
	v_cmpx_ne_u16_e32 0x80, v0
	s_cbranch_execz .LBB283_1869
; %bb.1864:                             ;   in Loop: Header=BB283_1069 Depth=1
	v_and_b32_e32 v9, 0x7f, v48
	v_mov_b32_e32 v8, 0x7c01
	s_mov_b32 s16, exec_lo
	s_delay_alu instid0(VALU_DEP_2)
	v_cmpx_ne_u32_e32 0x7f, v9
	s_cbranch_execz .LBB283_1868
; %bb.1865:                             ;   in Loop: Header=BB283_1069 Depth=1
	v_dual_lshrrev_b32 v6, 3, v9 :: v_dual_bitop2_b32 v0, 7, v48 bitop3:0x40
	s_mov_b32 s17, exec_lo
	v_cmpx_gt_u32_e32 8, v9
; %bb.1866:                             ;   in Loop: Header=BB283_1069 Depth=1
	s_delay_alu instid0(VALU_DEP_2) | instskip(NEXT) | instid1(VALU_DEP_1)
	v_clz_i32_u32_e32 v0, v0
	v_min_u32_e32 v0, 32, v0
	s_delay_alu instid0(VALU_DEP_1) | instskip(NEXT) | instid1(VALU_DEP_1)
	v_subrev_nc_u32_e32 v6, 28, v0
	v_lshlrev_b64_e32 v[8:9], v6, v[48:49]
	v_sub_nc_u32_e32 v6, 29, v0
	s_delay_alu instid0(VALU_DEP_2)
	v_and_b32_e32 v0, 7, v8
; %bb.1867:                             ;   in Loop: Header=BB283_1069 Depth=1
	s_or_b32 exec_lo, exec_lo, s17
	v_lshlrev_b32_e32 v8, 8, v48
	s_delay_alu instid0(VALU_DEP_3) | instskip(NEXT) | instid1(VALU_DEP_3)
	v_lshl_add_u32 v6, v6, 10, 0x2000
	v_lshlrev_b32_e32 v0, 7, v0
	s_delay_alu instid0(VALU_DEP_3) | instskip(NEXT) | instid1(VALU_DEP_3)
	v_and_b32_e32 v8, 0x8000, v8
	v_and_b32_e32 v6, 0xfc00, v6
	s_delay_alu instid0(VALU_DEP_1)
	v_or3_b32 v8, v8, v6, v0
.LBB283_1868:                           ;   in Loop: Header=BB283_1069 Depth=1
	s_or_b32 exec_lo, exec_lo, s16
.LBB283_1869:                           ;   in Loop: Header=BB283_1069 Depth=1
	s_delay_alu instid0(SALU_CYCLE_1)
	s_or_b32 exec_lo, exec_lo, s15
.LBB283_1870:                           ;   in Loop: Header=BB283_1069 Depth=1
	s_delay_alu instid0(SALU_CYCLE_1) | instskip(SKIP_2) | instid1(VALU_DEP_1)
	s_or_b32 exec_lo, exec_lo, s14
	v_lshrrev_b16 v6, 8, v48
	s_mov_b32 s14, exec_lo
	v_cmpx_ne_u16_e32 0, v6
	s_cbranch_execz .LBB283_1878
; %bb.1871:                             ;   in Loop: Header=BB283_1069 Depth=1
	v_bfrev_b32_e32 v1, 1
	s_mov_b32 s15, exec_lo
	v_cmpx_ne_u16_e32 0x80, v6
	s_cbranch_execz .LBB283_1877
; %bb.1872:                             ;   in Loop: Header=BB283_1069 Depth=1
	v_and_b32_e32 v0, 0xffff, v6
	v_mov_b32_e32 v1, 0x7c010000
	s_mov_b32 s16, exec_lo
	s_delay_alu instid0(VALU_DEP_2) | instskip(NEXT) | instid1(VALU_DEP_1)
	v_and_b32_e32 v16, 0x7f, v0
	v_cmpx_ne_u32_e32 0x7f, v16
	s_cbranch_execz .LBB283_1876
; %bb.1873:                             ;   in Loop: Header=BB283_1069 Depth=1
	v_and_b32_e32 v1, 7, v0
	v_lshrrev_b32_e32 v9, 3, v16
	s_mov_b32 s17, exec_lo
	v_cmpx_gt_u32_e32 8, v16
; %bb.1874:                             ;   in Loop: Header=BB283_1069 Depth=1
	s_delay_alu instid0(VALU_DEP_3) | instskip(NEXT) | instid1(VALU_DEP_1)
	v_clz_i32_u32_e32 v1, v1
	v_min_u32_e32 v1, 32, v1
	s_delay_alu instid0(VALU_DEP_1) | instskip(NEXT) | instid1(VALU_DEP_1)
	v_subrev_nc_u32_e32 v9, 28, v1
	v_lshlrev_b64_e32 v[16:17], v9, v[6:7]
	s_delay_alu instid0(VALU_DEP_1)
	v_dual_sub_nc_u32 v9, 29, v1 :: v_dual_bitop2_b32 v1, 7, v16 bitop3:0x40
; %bb.1875:                             ;   in Loop: Header=BB283_1069 Depth=1
	s_or_b32 exec_lo, exec_lo, s17
	s_delay_alu instid0(VALU_DEP_1) | instskip(NEXT) | instid1(VALU_DEP_2)
	v_dual_lshlrev_b32 v0, 8, v0 :: v_dual_lshlrev_b32 v1, 23, v1
	v_lshl_add_u32 v6, v9, 10, 0x2000
	s_delay_alu instid0(VALU_DEP_1) | instskip(NEXT) | instid1(VALU_DEP_1)
	v_and_or_b32 v0, 0x8000, v0, v6
	v_lshl_or_b32 v1, v0, 16, v1
.LBB283_1876:                           ;   in Loop: Header=BB283_1069 Depth=1
	s_or_b32 exec_lo, exec_lo, s16
.LBB283_1877:                           ;   in Loop: Header=BB283_1069 Depth=1
	s_delay_alu instid0(SALU_CYCLE_1)
	s_or_b32 exec_lo, exec_lo, s15
.LBB283_1878:                           ;   in Loop: Header=BB283_1069 Depth=1
	s_delay_alu instid0(SALU_CYCLE_1) | instskip(SKIP_3) | instid1(VALU_DEP_2)
	s_or_b32 exec_lo, exec_lo, s14
	v_dual_mov_b32 v9, 0 :: v_dual_lshrrev_b32 v0, 16, v48
	v_mov_b32_e32 v16, 0
	s_mov_b32 s14, exec_lo
	v_and_b32_e32 v6, 0xff, v0
	s_delay_alu instid0(VALU_DEP_1)
	v_cmpx_ne_u16_e32 0, v6
	s_cbranch_execz .LBB283_1886
; %bb.1879:                             ;   in Loop: Header=BB283_1069 Depth=1
	v_mov_b32_e32 v16, 0x8000
	s_mov_b32 s15, exec_lo
	v_cmpx_ne_u16_e32 0x80, v6
	s_cbranch_execz .LBB283_1885
; %bb.1880:                             ;   in Loop: Header=BB283_1069 Depth=1
	v_bfe_u32 v17, v48, 16, 7
	v_mov_b32_e32 v16, 0x7c01
	s_mov_b32 s16, exec_lo
	s_delay_alu instid0(VALU_DEP_2)
	v_cmpx_ne_u32_e32 0x7f, v17
	s_cbranch_execz .LBB283_1884
; %bb.1881:                             ;   in Loop: Header=BB283_1069 Depth=1
	v_dual_lshrrev_b32 v16, 3, v17 :: v_dual_bitop2_b32 v6, 7, v0 bitop3:0x40
	s_mov_b32 s17, exec_lo
	v_cmpx_gt_u32_e32 8, v17
; %bb.1882:                             ;   in Loop: Header=BB283_1069 Depth=1
	s_delay_alu instid0(VALU_DEP_2) | instskip(NEXT) | instid1(VALU_DEP_1)
	v_clz_i32_u32_e32 v6, v6
	v_min_u32_e32 v6, 32, v6
	s_delay_alu instid0(VALU_DEP_1) | instskip(NEXT) | instid1(VALU_DEP_1)
	v_subrev_nc_u32_e32 v16, 28, v6
	v_lshlrev_b64_e32 v[18:19], v16, v[0:1]
	v_sub_nc_u32_e32 v16, 29, v6
	s_delay_alu instid0(VALU_DEP_2)
	v_and_b32_e32 v6, 7, v18
; %bb.1883:                             ;   in Loop: Header=BB283_1069 Depth=1
	s_or_b32 exec_lo, exec_lo, s17
	s_delay_alu instid0(VALU_DEP_1) | instskip(NEXT) | instid1(VALU_DEP_3)
	v_dual_lshlrev_b32 v0, 8, v0 :: v_dual_lshlrev_b32 v6, 7, v6
	v_lshl_add_u32 v16, v16, 10, 0x2000
	s_delay_alu instid0(VALU_DEP_2) | instskip(NEXT) | instid1(VALU_DEP_2)
	v_and_b32_e32 v0, 0x8000, v0
	v_and_b32_e32 v16, 0xfc00, v16
	s_delay_alu instid0(VALU_DEP_1)
	v_or3_b32 v16, v0, v16, v6
.LBB283_1884:                           ;   in Loop: Header=BB283_1069 Depth=1
	s_or_b32 exec_lo, exec_lo, s16
.LBB283_1885:                           ;   in Loop: Header=BB283_1069 Depth=1
	s_delay_alu instid0(SALU_CYCLE_1)
	s_or_b32 exec_lo, exec_lo, s15
.LBB283_1886:                           ;   in Loop: Header=BB283_1069 Depth=1
	s_delay_alu instid0(SALU_CYCLE_1) | instskip(NEXT) | instid1(SALU_CYCLE_1)
	s_or_b32 exec_lo, exec_lo, s14
	s_mov_b32 s14, exec_lo
	v_cmpx_lt_u32_e32 0xffffff, v48
	s_cbranch_execz .LBB283_1894
; %bb.1887:                             ;   in Loop: Header=BB283_1069 Depth=1
	v_lshrrev_b32_e32 v6, 24, v48
	v_bfrev_b32_e32 v9, 1
	s_mov_b32 s15, exec_lo
	s_delay_alu instid0(VALU_DEP_2)
	v_cmpx_ne_u32_e32 0x80, v6
	s_cbranch_execz .LBB283_1893
; %bb.1888:                             ;   in Loop: Header=BB283_1069 Depth=1
	v_and_b32_e32 v17, 0x7f, v6
	v_mov_b32_e32 v9, 0x7c010000
	s_mov_b32 s16, exec_lo
	s_delay_alu instid0(VALU_DEP_2)
	v_cmpx_ne_u32_e32 0x7f, v17
	s_cbranch_execz .LBB283_1892
; %bb.1889:                             ;   in Loop: Header=BB283_1069 Depth=1
	v_dual_lshrrev_b32 v9, 3, v17 :: v_dual_bitop2_b32 v0, 7, v6 bitop3:0x40
	s_mov_b32 s17, exec_lo
	v_cmpx_gt_u32_e32 8, v17
; %bb.1890:                             ;   in Loop: Header=BB283_1069 Depth=1
	s_delay_alu instid0(VALU_DEP_2) | instskip(NEXT) | instid1(VALU_DEP_1)
	v_clz_i32_u32_e32 v0, v0
	v_min_u32_e32 v0, 32, v0
	s_delay_alu instid0(VALU_DEP_1) | instskip(NEXT) | instid1(VALU_DEP_1)
	v_subrev_nc_u32_e32 v9, 28, v0
	v_lshlrev_b64_e32 v[18:19], v9, v[6:7]
	s_delay_alu instid0(VALU_DEP_1)
	v_dual_sub_nc_u32 v9, 29, v0 :: v_dual_bitop2_b32 v0, 7, v18 bitop3:0x40
; %bb.1891:                             ;   in Loop: Header=BB283_1069 Depth=1
	s_or_b32 exec_lo, exec_lo, s17
	s_delay_alu instid0(VALU_DEP_1) | instskip(NEXT) | instid1(VALU_DEP_2)
	v_dual_lshlrev_b32 v6, 8, v6 :: v_dual_lshlrev_b32 v0, 23, v0
	v_lshl_add_u32 v9, v9, 10, 0x2000
	s_delay_alu instid0(VALU_DEP_1) | instskip(NEXT) | instid1(VALU_DEP_1)
	v_and_or_b32 v6, 0x8000, v6, v9
	v_lshl_or_b32 v9, v6, 16, v0
.LBB283_1892:                           ;   in Loop: Header=BB283_1069 Depth=1
	s_or_b32 exec_lo, exec_lo, s16
.LBB283_1893:                           ;   in Loop: Header=BB283_1069 Depth=1
	s_delay_alu instid0(SALU_CYCLE_1)
	s_or_b32 exec_lo, exec_lo, s15
.LBB283_1894:                           ;   in Loop: Header=BB283_1069 Depth=1
	s_delay_alu instid0(SALU_CYCLE_1) | instskip(SKIP_4) | instid1(VALU_DEP_3)
	s_or_b32 exec_lo, exec_lo, s14
	v_and_b32_e32 v0, 0xff, v49
	v_dual_mov_b32 v6, v49 :: v_dual_mov_b32 v18, 0
	v_mov_b32_e32 v17, 0
	s_mov_b32 s14, exec_lo
	v_cmpx_ne_u16_e32 0, v0
	s_cbranch_execz .LBB283_1902
; %bb.1895:                             ;   in Loop: Header=BB283_1069 Depth=1
	v_mov_b32_e32 v17, 0x8000
	s_mov_b32 s15, exec_lo
	v_cmpx_ne_u16_e32 0x80, v0
	s_cbranch_execz .LBB283_1901
; %bb.1896:                             ;   in Loop: Header=BB283_1069 Depth=1
	v_and_b32_e32 v19, 0x7f, v49
	v_mov_b32_e32 v17, 0x7c01
	s_mov_b32 s16, exec_lo
	s_delay_alu instid0(VALU_DEP_2)
	v_cmpx_ne_u32_e32 0x7f, v19
	s_cbranch_execz .LBB283_1900
; %bb.1897:                             ;   in Loop: Header=BB283_1069 Depth=1
	v_dual_lshrrev_b32 v17, 3, v19 :: v_dual_bitop2_b32 v0, 7, v49 bitop3:0x40
	s_mov_b32 s17, exec_lo
	v_cmpx_gt_u32_e32 8, v19
; %bb.1898:                             ;   in Loop: Header=BB283_1069 Depth=1
	s_delay_alu instid0(VALU_DEP_2) | instskip(NEXT) | instid1(VALU_DEP_1)
	v_clz_i32_u32_e32 v0, v0
	v_min_u32_e32 v0, 32, v0
	s_delay_alu instid0(VALU_DEP_1) | instskip(NEXT) | instid1(VALU_DEP_1)
	v_subrev_nc_u32_e32 v17, 28, v0
	v_lshlrev_b64_e32 v[22:23], v17, v[6:7]
	s_delay_alu instid0(VALU_DEP_1)
	v_dual_sub_nc_u32 v17, 29, v0 :: v_dual_bitop2_b32 v0, 7, v22 bitop3:0x40
; %bb.1899:                             ;   in Loop: Header=BB283_1069 Depth=1
	s_or_b32 exec_lo, exec_lo, s17
	s_delay_alu instid0(VALU_DEP_1) | instskip(NEXT) | instid1(VALU_DEP_2)
	v_dual_lshlrev_b32 v19, 8, v49 :: v_dual_lshlrev_b32 v0, 7, v0
	v_lshl_add_u32 v17, v17, 10, 0x2000
	s_delay_alu instid0(VALU_DEP_2) | instskip(NEXT) | instid1(VALU_DEP_2)
	v_and_b32_e32 v19, 0x8000, v19
	v_and_b32_e32 v17, 0xfc00, v17
	s_delay_alu instid0(VALU_DEP_1)
	v_or3_b32 v17, v19, v17, v0
.LBB283_1900:                           ;   in Loop: Header=BB283_1069 Depth=1
	s_or_b32 exec_lo, exec_lo, s16
.LBB283_1901:                           ;   in Loop: Header=BB283_1069 Depth=1
	s_delay_alu instid0(SALU_CYCLE_1)
	s_or_b32 exec_lo, exec_lo, s15
.LBB283_1902:                           ;   in Loop: Header=BB283_1069 Depth=1
	s_delay_alu instid0(SALU_CYCLE_1) | instskip(SKIP_3) | instid1(VALU_DEP_2)
	s_or_b32 exec_lo, exec_lo, s14
	v_lshrrev_b16 v6, 8, v6
	v_mov_b32_e32 v19, 0
	s_mov_b32 s14, exec_lo
	v_cmpx_ne_u16_e32 0, v6
	s_cbranch_execz .LBB283_1910
; %bb.1903:                             ;   in Loop: Header=BB283_1069 Depth=1
	v_bfrev_b32_e32 v19, 1
	s_mov_b32 s15, exec_lo
	v_cmpx_ne_u16_e32 0x80, v6
	s_cbranch_execz .LBB283_1909
; %bb.1904:                             ;   in Loop: Header=BB283_1069 Depth=1
	v_and_b32_e32 v0, 0xffff, v6
	v_mov_b32_e32 v19, 0x7c010000
	s_mov_b32 s16, exec_lo
	s_delay_alu instid0(VALU_DEP_2) | instskip(NEXT) | instid1(VALU_DEP_1)
	v_and_b32_e32 v23, 0x7f, v0
	v_cmpx_ne_u32_e32 0x7f, v23
	s_cbranch_execz .LBB283_1908
; %bb.1905:                             ;   in Loop: Header=BB283_1069 Depth=1
	v_dual_lshrrev_b32 v22, 3, v23 :: v_dual_bitop2_b32 v19, 7, v0 bitop3:0x40
	s_mov_b32 s17, exec_lo
	v_cmpx_gt_u32_e32 8, v23
; %bb.1906:                             ;   in Loop: Header=BB283_1069 Depth=1
	s_delay_alu instid0(VALU_DEP_2) | instskip(NEXT) | instid1(VALU_DEP_1)
	v_clz_i32_u32_e32 v19, v19
	v_min_u32_e32 v19, 32, v19
	s_delay_alu instid0(VALU_DEP_1) | instskip(NEXT) | instid1(VALU_DEP_1)
	v_subrev_nc_u32_e32 v22, 28, v19
	v_lshlrev_b64_e32 v[50:51], v22, v[6:7]
	s_delay_alu instid0(VALU_DEP_1)
	v_dual_sub_nc_u32 v22, 29, v19 :: v_dual_bitop2_b32 v19, 7, v50 bitop3:0x40
; %bb.1907:                             ;   in Loop: Header=BB283_1069 Depth=1
	s_or_b32 exec_lo, exec_lo, s17
	v_lshlrev_b32_e32 v0, 8, v0
	s_delay_alu instid0(VALU_DEP_2) | instskip(NEXT) | instid1(VALU_DEP_1)
	v_lshl_add_u32 v6, v22, 10, 0x2000
	v_and_or_b32 v0, 0x8000, v0, v6
	v_lshlrev_b32_e32 v6, 23, v19
	s_delay_alu instid0(VALU_DEP_1)
	v_lshl_or_b32 v19, v0, 16, v6
.LBB283_1908:                           ;   in Loop: Header=BB283_1069 Depth=1
	s_or_b32 exec_lo, exec_lo, s16
.LBB283_1909:                           ;   in Loop: Header=BB283_1069 Depth=1
	s_delay_alu instid0(SALU_CYCLE_1)
	s_or_b32 exec_lo, exec_lo, s15
.LBB283_1910:                           ;   in Loop: Header=BB283_1069 Depth=1
	s_delay_alu instid0(SALU_CYCLE_1) | instskip(SKIP_2) | instid1(VALU_DEP_1)
	s_or_b32 exec_lo, exec_lo, s14
	v_lshrrev_b32_e32 v0, 16, v49
	s_mov_b32 s14, exec_lo
	v_and_b32_e32 v6, 0xff, v0
	s_delay_alu instid0(VALU_DEP_1)
	v_cmpx_ne_u16_e32 0, v6
	s_cbranch_execz .LBB283_1918
; %bb.1911:                             ;   in Loop: Header=BB283_1069 Depth=1
	v_mov_b32_e32 v18, 0x8000
	s_mov_b32 s15, exec_lo
	v_cmpx_ne_u16_e32 0x80, v6
	s_cbranch_execz .LBB283_1917
; %bb.1912:                             ;   in Loop: Header=BB283_1069 Depth=1
	v_bfe_u32 v22, v49, 16, 7
	v_mov_b32_e32 v18, 0x7c01
	s_mov_b32 s16, exec_lo
	s_delay_alu instid0(VALU_DEP_2)
	v_cmpx_ne_u32_e32 0x7f, v22
	s_cbranch_execz .LBB283_1916
; %bb.1913:                             ;   in Loop: Header=BB283_1069 Depth=1
	v_dual_lshrrev_b32 v18, 3, v22 :: v_dual_bitop2_b32 v6, 7, v0 bitop3:0x40
	s_mov_b32 s17, exec_lo
	v_cmpx_gt_u32_e32 8, v22
; %bb.1914:                             ;   in Loop: Header=BB283_1069 Depth=1
	s_delay_alu instid0(VALU_DEP_2) | instskip(NEXT) | instid1(VALU_DEP_1)
	v_clz_i32_u32_e32 v6, v6
	v_min_u32_e32 v6, 32, v6
	s_delay_alu instid0(VALU_DEP_1) | instskip(NEXT) | instid1(VALU_DEP_1)
	v_subrev_nc_u32_e32 v18, 28, v6
	v_lshlrev_b64_e32 v[22:23], v18, v[0:1]
	v_sub_nc_u32_e32 v18, 29, v6
	s_delay_alu instid0(VALU_DEP_2)
	v_and_b32_e32 v6, 7, v22
; %bb.1915:                             ;   in Loop: Header=BB283_1069 Depth=1
	s_or_b32 exec_lo, exec_lo, s17
	s_delay_alu instid0(VALU_DEP_1) | instskip(NEXT) | instid1(VALU_DEP_3)
	v_dual_lshlrev_b32 v0, 8, v0 :: v_dual_lshlrev_b32 v6, 7, v6
	v_lshl_add_u32 v18, v18, 10, 0x2000
	s_delay_alu instid0(VALU_DEP_2) | instskip(NEXT) | instid1(VALU_DEP_2)
	v_and_b32_e32 v0, 0x8000, v0
	v_and_b32_e32 v18, 0xfc00, v18
	s_delay_alu instid0(VALU_DEP_1)
	v_or3_b32 v18, v0, v18, v6
.LBB283_1916:                           ;   in Loop: Header=BB283_1069 Depth=1
	s_or_b32 exec_lo, exec_lo, s16
.LBB283_1917:                           ;   in Loop: Header=BB283_1069 Depth=1
	s_delay_alu instid0(SALU_CYCLE_1)
	s_or_b32 exec_lo, exec_lo, s15
.LBB283_1918:                           ;   in Loop: Header=BB283_1069 Depth=1
	s_delay_alu instid0(SALU_CYCLE_1)
	s_or_b32 exec_lo, exec_lo, s14
	v_mov_b32_e32 v0, 0
	s_mov_b32 s14, exec_lo
	v_cmpx_lt_u64_e64 s[2:3], v[48:49]
	s_cbranch_execz .LBB283_1926
; %bb.1919:                             ;   in Loop: Header=BB283_1069 Depth=1
	v_lshrrev_b32_e32 v6, 24, v49
	v_bfrev_b32_e32 v0, 1
	s_mov_b32 s15, exec_lo
	s_delay_alu instid0(VALU_DEP_2)
	v_cmpx_ne_u32_e32 0x80, v6
	s_cbranch_execz .LBB283_1925
; %bb.1920:                             ;   in Loop: Header=BB283_1069 Depth=1
	v_and_b32_e32 v23, 0x7f, v6
	v_mov_b32_e32 v0, 0x7c010000
	s_mov_b32 s16, exec_lo
	s_delay_alu instid0(VALU_DEP_2)
	v_cmpx_ne_u32_e32 0x7f, v23
	s_cbranch_execz .LBB283_1924
; %bb.1921:                             ;   in Loop: Header=BB283_1069 Depth=1
	v_dual_lshrrev_b32 v22, 3, v23 :: v_dual_bitop2_b32 v0, 7, v6 bitop3:0x40
	s_mov_b32 s17, exec_lo
	v_cmpx_gt_u32_e32 8, v23
; %bb.1922:                             ;   in Loop: Header=BB283_1069 Depth=1
	s_delay_alu instid0(VALU_DEP_2) | instskip(NEXT) | instid1(VALU_DEP_1)
	v_clz_i32_u32_e32 v0, v0
	v_min_u32_e32 v0, 32, v0
	s_delay_alu instid0(VALU_DEP_1) | instskip(NEXT) | instid1(VALU_DEP_1)
	v_subrev_nc_u32_e32 v22, 28, v0
	v_lshlrev_b64_e32 v[48:49], v22, v[6:7]
	v_sub_nc_u32_e32 v22, 29, v0
	s_delay_alu instid0(VALU_DEP_2)
	v_and_b32_e32 v0, 7, v48
; %bb.1923:                             ;   in Loop: Header=BB283_1069 Depth=1
	s_or_b32 exec_lo, exec_lo, s17
	s_delay_alu instid0(VALU_DEP_1) | instskip(NEXT) | instid1(VALU_DEP_3)
	v_dual_lshlrev_b32 v6, 8, v6 :: v_dual_lshlrev_b32 v0, 23, v0
	v_lshl_add_u32 v22, v22, 10, 0x2000
	s_delay_alu instid0(VALU_DEP_1) | instskip(NEXT) | instid1(VALU_DEP_1)
	v_and_or_b32 v6, 0x8000, v6, v22
	v_lshl_or_b32 v0, v6, 16, v0
.LBB283_1924:                           ;   in Loop: Header=BB283_1069 Depth=1
	s_or_b32 exec_lo, exec_lo, s16
.LBB283_1925:                           ;   in Loop: Header=BB283_1069 Depth=1
	s_delay_alu instid0(SALU_CYCLE_1)
	s_or_b32 exec_lo, exec_lo, s15
.LBB283_1926:                           ;   in Loop: Header=BB283_1069 Depth=1
	s_delay_alu instid0(SALU_CYCLE_1) | instskip(SKIP_2) | instid1(VALU_DEP_2)
	s_or_b32 exec_lo, exec_lo, s14
	v_dual_lshrrev_b32 v6, 16, v1 :: v_dual_bitop2_b32 v1, v1, v8 bitop3:0x54
	v_dual_lshrrev_b32 v22, 16, v9 :: v_dual_bitop2_b32 v16, v9, v16 bitop3:0x54
	v_cvt_f32_f16_e32 v9, v6
	v_dual_lshrrev_b32 v18, 16, v19 :: v_dual_bitop2_b32 v6, v0, v18 bitop3:0x54
	s_delay_alu instid0(VALU_DEP_3)
	v_cvt_f32_f16_e32 v8, v22
	v_dual_lshrrev_b32 v22, 16, v0 :: v_dual_bitop2_b32 v19, v19, v17 bitop3:0x54
	v_cvt_f32_f16_e32 v0, v16
	v_cvt_f32_f16_e32 v1, v1
	s_wait_loadcnt_dscnt 0x0
	v_pk_mul_f32 v[8:9], v[38:39], v[8:9] op_sel_hi:[0,1]
	v_cvt_f32_f16_e32 v17, v18
	v_cvt_f32_f16_e32 v16, v22
	;; [unrolled: 1-line block ×4, first 2 shown]
	v_pk_mul_f32 v[0:1], v[38:39], v[0:1] op_sel_hi:[0,1]
	v_cvt_pk_f16_f32 v6, v8, v9
	v_pk_mul_f32 v[8:9], v[38:39], v[16:17] op_sel_hi:[0,1]
	s_delay_alu instid0(VALU_DEP_4) | instskip(NEXT) | instid1(VALU_DEP_4)
	v_pk_mul_f32 v[16:17], v[38:39], v[18:19] op_sel_hi:[0,1]
	v_cvt_pk_f16_f32 v0, v0, v1
	s_delay_alu instid0(VALU_DEP_4) | instskip(NEXT) | instid1(VALU_DEP_4)
	v_and_b32_e32 v19, 0xffff0000, v6
	v_cvt_pk_f16_f32 v8, v8, v9
	v_lshlrev_b32_e32 v38, 16, v6
	v_cvt_pk_f16_f32 v6, v16, v17
	v_lshrrev_b32_e32 v51, 16, v0
	v_and_b32_e32 v52, 0xffff, v0
	v_and_b32_e32 v1, 0xffff0000, v8
	s_delay_alu instid0(VALU_DEP_4) | instskip(SKIP_3) | instid1(VALU_DEP_4)
	v_dual_lshlrev_b32 v0, 16, v8 :: v_dual_lshrrev_b32 v9, 16, v6
	v_and_b32_e32 v6, 0xffff, v6
	v_or_b32_e32 v49, v19, v51
	v_or_b32_e32 v50, v38, v52
	v_or_b32_e32 v39, v1, v9
	s_delay_alu instid0(VALU_DEP_4)
	v_or_b32_e32 v48, v0, v6
	s_and_saveexec_b32 s14, vcc_lo
	s_cbranch_execz .LBB283_1928
; %bb.1927:                             ;   in Loop: Header=BB283_1069 Depth=1
	v_cmp_lt_i32_e64 s0, v69, v13
	s_delay_alu instid0(VALU_DEP_1) | instskip(SKIP_1) | instid1(VALU_DEP_1)
	v_cndmask_b32_e64 v8, 0, v51, s0
	v_cmp_lt_i32_e64 s0, v84, v12
	v_cndmask_b32_e64 v16, 0, v52, s0
	v_cmp_lt_i32_e64 s0, v83, v13
	s_delay_alu instid0(VALU_DEP_1) | instskip(SKIP_1) | instid1(VALU_DEP_1)
	v_cndmask_b32_e64 v17, 0, v19, s0
	v_cmp_lt_i32_e64 s0, v82, v12
	v_cndmask_b32_e64 v18, 0, v38, s0
	v_cmp_lt_i32_e64 s0, v81, v13
	s_delay_alu instid0(VALU_DEP_4) | instskip(NEXT) | instid1(VALU_DEP_2)
	v_or_b32_e32 v49, v8, v17
	v_dual_cndmask_b32 v9, 0, v9, s0 :: v_dual_bitop2_b32 v50, v16, v18 bitop3:0x54
	v_cmp_lt_i32_e64 s0, v80, v12
	s_delay_alu instid0(VALU_DEP_1) | instskip(SKIP_1) | instid1(VALU_DEP_1)
	v_cndmask_b32_e64 v6, 0, v6, s0
	v_cmp_lt_i32_e64 s0, v71, v13
	v_cndmask_b32_e64 v1, 0, v1, s0
	v_cmp_lt_i32_e64 s0, v70, v12
	s_delay_alu instid0(VALU_DEP_1) | instskip(NEXT) | instid1(VALU_DEP_1)
	v_dual_cndmask_b32 v0, 0, v0, s0 :: v_dual_bitop2_b32 v39, v9, v1 bitop3:0x54
	v_or_b32_e32 v48, v6, v0
.LBB283_1928:                           ;   in Loop: Header=BB283_1069 Depth=1
	s_or_b32 exec_lo, exec_lo, s14
	;;#ASMSTART
	v_pk_mul_f16 v0, v97, v49;

	;;#ASMEND
	;;#ASMSTART
	v_pk_mul_f16 v1, v87, v50;

	;;#ASMEND
	;; [unrolled: 4-line block ×4, first 2 shown]
	;;#ASMSTART
	v_pk_add_f16 v0, v0, v1;

	;;#ASMEND
	;;#ASMSTART
	v_pk_add_f16 v0, v0, v6;

	;;#ASMEND
	;; [unrolled: 4-line block ×3, first 2 shown]
	v_and_b32_e32 v1, 0xffff, v0
	v_lshrrev_b32_e32 v0, 16, v0
	;;#ASMSTART
	v_cvt_f32_f16 v57, v1;
	;;#ASMEND
	;;#ASMSTART
	v_cvt_f32_f16 v58, v0;
	;;#ASMEND
	flat_load_b64 v[48:49], v[28:29] offset:3328
	scratch_load_b64 v[0:1], off, s32 offset:192 ; 8-byte Folded Reload
	v_mov_b32_e32 v8, 0
	s_mov_b32 s14, exec_lo
	s_wait_loadcnt 0x0
	flat_load_b32 v38, v[0:1]
	s_wait_dscnt 0x1
	s_wait_xcnt 0x0
	v_and_b32_e32 v0, 0xff, v48
	v_mov_b32_e32 v1, 0
	s_delay_alu instid0(VALU_DEP_2)
	v_cmpx_ne_u16_e32 0, v0
	s_cbranch_execz .LBB283_1936
; %bb.1929:                             ;   in Loop: Header=BB283_1069 Depth=1
	v_mov_b32_e32 v8, 0x8000
	s_mov_b32 s15, exec_lo
	v_cmpx_ne_u16_e32 0x80, v0
	s_cbranch_execz .LBB283_1935
; %bb.1930:                             ;   in Loop: Header=BB283_1069 Depth=1
	v_and_b32_e32 v9, 0x7f, v48
	v_mov_b32_e32 v8, 0x7c01
	s_mov_b32 s16, exec_lo
	s_delay_alu instid0(VALU_DEP_2)
	v_cmpx_ne_u32_e32 0x7f, v9
	s_cbranch_execz .LBB283_1934
; %bb.1931:                             ;   in Loop: Header=BB283_1069 Depth=1
	v_dual_lshrrev_b32 v6, 3, v9 :: v_dual_bitop2_b32 v0, 7, v48 bitop3:0x40
	s_mov_b32 s17, exec_lo
	v_cmpx_gt_u32_e32 8, v9
; %bb.1932:                             ;   in Loop: Header=BB283_1069 Depth=1
	s_delay_alu instid0(VALU_DEP_2) | instskip(NEXT) | instid1(VALU_DEP_1)
	v_clz_i32_u32_e32 v0, v0
	v_min_u32_e32 v0, 32, v0
	s_delay_alu instid0(VALU_DEP_1) | instskip(NEXT) | instid1(VALU_DEP_1)
	v_subrev_nc_u32_e32 v6, 28, v0
	v_lshlrev_b64_e32 v[8:9], v6, v[48:49]
	v_sub_nc_u32_e32 v6, 29, v0
	s_delay_alu instid0(VALU_DEP_2)
	v_and_b32_e32 v0, 7, v8
; %bb.1933:                             ;   in Loop: Header=BB283_1069 Depth=1
	s_or_b32 exec_lo, exec_lo, s17
	v_lshlrev_b32_e32 v8, 8, v48
	s_delay_alu instid0(VALU_DEP_3) | instskip(NEXT) | instid1(VALU_DEP_3)
	v_lshl_add_u32 v6, v6, 10, 0x2000
	v_lshlrev_b32_e32 v0, 7, v0
	s_delay_alu instid0(VALU_DEP_3) | instskip(NEXT) | instid1(VALU_DEP_3)
	v_and_b32_e32 v8, 0x8000, v8
	v_and_b32_e32 v6, 0xfc00, v6
	s_delay_alu instid0(VALU_DEP_1)
	v_or3_b32 v8, v8, v6, v0
.LBB283_1934:                           ;   in Loop: Header=BB283_1069 Depth=1
	s_or_b32 exec_lo, exec_lo, s16
.LBB283_1935:                           ;   in Loop: Header=BB283_1069 Depth=1
	s_delay_alu instid0(SALU_CYCLE_1)
	s_or_b32 exec_lo, exec_lo, s15
.LBB283_1936:                           ;   in Loop: Header=BB283_1069 Depth=1
	s_delay_alu instid0(SALU_CYCLE_1) | instskip(SKIP_2) | instid1(VALU_DEP_1)
	s_or_b32 exec_lo, exec_lo, s14
	v_lshrrev_b16 v6, 8, v48
	s_mov_b32 s14, exec_lo
	v_cmpx_ne_u16_e32 0, v6
	s_cbranch_execz .LBB283_1944
; %bb.1937:                             ;   in Loop: Header=BB283_1069 Depth=1
	v_bfrev_b32_e32 v1, 1
	s_mov_b32 s15, exec_lo
	v_cmpx_ne_u16_e32 0x80, v6
	s_cbranch_execz .LBB283_1943
; %bb.1938:                             ;   in Loop: Header=BB283_1069 Depth=1
	v_and_b32_e32 v0, 0xffff, v6
	v_mov_b32_e32 v1, 0x7c010000
	s_mov_b32 s16, exec_lo
	s_delay_alu instid0(VALU_DEP_2) | instskip(NEXT) | instid1(VALU_DEP_1)
	v_and_b32_e32 v16, 0x7f, v0
	v_cmpx_ne_u32_e32 0x7f, v16
	s_cbranch_execz .LBB283_1942
; %bb.1939:                             ;   in Loop: Header=BB283_1069 Depth=1
	v_and_b32_e32 v1, 7, v0
	v_lshrrev_b32_e32 v9, 3, v16
	s_mov_b32 s17, exec_lo
	v_cmpx_gt_u32_e32 8, v16
; %bb.1940:                             ;   in Loop: Header=BB283_1069 Depth=1
	s_delay_alu instid0(VALU_DEP_3) | instskip(NEXT) | instid1(VALU_DEP_1)
	v_clz_i32_u32_e32 v1, v1
	v_min_u32_e32 v1, 32, v1
	s_delay_alu instid0(VALU_DEP_1) | instskip(NEXT) | instid1(VALU_DEP_1)
	v_subrev_nc_u32_e32 v9, 28, v1
	v_lshlrev_b64_e32 v[16:17], v9, v[6:7]
	s_delay_alu instid0(VALU_DEP_1)
	v_dual_sub_nc_u32 v9, 29, v1 :: v_dual_bitop2_b32 v1, 7, v16 bitop3:0x40
; %bb.1941:                             ;   in Loop: Header=BB283_1069 Depth=1
	s_or_b32 exec_lo, exec_lo, s17
	s_delay_alu instid0(VALU_DEP_1) | instskip(NEXT) | instid1(VALU_DEP_2)
	v_dual_lshlrev_b32 v0, 8, v0 :: v_dual_lshlrev_b32 v1, 23, v1
	v_lshl_add_u32 v6, v9, 10, 0x2000
	s_delay_alu instid0(VALU_DEP_1) | instskip(NEXT) | instid1(VALU_DEP_1)
	v_and_or_b32 v0, 0x8000, v0, v6
	v_lshl_or_b32 v1, v0, 16, v1
.LBB283_1942:                           ;   in Loop: Header=BB283_1069 Depth=1
	s_or_b32 exec_lo, exec_lo, s16
.LBB283_1943:                           ;   in Loop: Header=BB283_1069 Depth=1
	s_delay_alu instid0(SALU_CYCLE_1)
	s_or_b32 exec_lo, exec_lo, s15
.LBB283_1944:                           ;   in Loop: Header=BB283_1069 Depth=1
	s_delay_alu instid0(SALU_CYCLE_1) | instskip(SKIP_3) | instid1(VALU_DEP_2)
	s_or_b32 exec_lo, exec_lo, s14
	v_dual_mov_b32 v9, 0 :: v_dual_lshrrev_b32 v0, 16, v48
	v_mov_b32_e32 v16, 0
	s_mov_b32 s14, exec_lo
	v_and_b32_e32 v6, 0xff, v0
	s_delay_alu instid0(VALU_DEP_1)
	v_cmpx_ne_u16_e32 0, v6
	s_cbranch_execz .LBB283_1952
; %bb.1945:                             ;   in Loop: Header=BB283_1069 Depth=1
	v_mov_b32_e32 v16, 0x8000
	s_mov_b32 s15, exec_lo
	v_cmpx_ne_u16_e32 0x80, v6
	s_cbranch_execz .LBB283_1951
; %bb.1946:                             ;   in Loop: Header=BB283_1069 Depth=1
	v_bfe_u32 v17, v48, 16, 7
	v_mov_b32_e32 v16, 0x7c01
	s_mov_b32 s16, exec_lo
	s_delay_alu instid0(VALU_DEP_2)
	v_cmpx_ne_u32_e32 0x7f, v17
	s_cbranch_execz .LBB283_1950
; %bb.1947:                             ;   in Loop: Header=BB283_1069 Depth=1
	v_dual_lshrrev_b32 v16, 3, v17 :: v_dual_bitop2_b32 v6, 7, v0 bitop3:0x40
	s_mov_b32 s17, exec_lo
	v_cmpx_gt_u32_e32 8, v17
; %bb.1948:                             ;   in Loop: Header=BB283_1069 Depth=1
	s_delay_alu instid0(VALU_DEP_2) | instskip(NEXT) | instid1(VALU_DEP_1)
	v_clz_i32_u32_e32 v6, v6
	v_min_u32_e32 v6, 32, v6
	s_delay_alu instid0(VALU_DEP_1) | instskip(NEXT) | instid1(VALU_DEP_1)
	v_subrev_nc_u32_e32 v16, 28, v6
	v_lshlrev_b64_e32 v[18:19], v16, v[0:1]
	v_sub_nc_u32_e32 v16, 29, v6
	s_delay_alu instid0(VALU_DEP_2)
	v_and_b32_e32 v6, 7, v18
; %bb.1949:                             ;   in Loop: Header=BB283_1069 Depth=1
	s_or_b32 exec_lo, exec_lo, s17
	s_delay_alu instid0(VALU_DEP_1) | instskip(NEXT) | instid1(VALU_DEP_3)
	v_dual_lshlrev_b32 v0, 8, v0 :: v_dual_lshlrev_b32 v6, 7, v6
	v_lshl_add_u32 v16, v16, 10, 0x2000
	s_delay_alu instid0(VALU_DEP_2) | instskip(NEXT) | instid1(VALU_DEP_2)
	v_and_b32_e32 v0, 0x8000, v0
	v_and_b32_e32 v16, 0xfc00, v16
	s_delay_alu instid0(VALU_DEP_1)
	v_or3_b32 v16, v0, v16, v6
.LBB283_1950:                           ;   in Loop: Header=BB283_1069 Depth=1
	s_or_b32 exec_lo, exec_lo, s16
.LBB283_1951:                           ;   in Loop: Header=BB283_1069 Depth=1
	s_delay_alu instid0(SALU_CYCLE_1)
	s_or_b32 exec_lo, exec_lo, s15
.LBB283_1952:                           ;   in Loop: Header=BB283_1069 Depth=1
	s_delay_alu instid0(SALU_CYCLE_1) | instskip(NEXT) | instid1(SALU_CYCLE_1)
	s_or_b32 exec_lo, exec_lo, s14
	s_mov_b32 s14, exec_lo
	v_cmpx_lt_u32_e32 0xffffff, v48
	s_cbranch_execz .LBB283_1960
; %bb.1953:                             ;   in Loop: Header=BB283_1069 Depth=1
	v_lshrrev_b32_e32 v6, 24, v48
	v_bfrev_b32_e32 v9, 1
	s_mov_b32 s15, exec_lo
	s_delay_alu instid0(VALU_DEP_2)
	v_cmpx_ne_u32_e32 0x80, v6
	s_cbranch_execz .LBB283_1959
; %bb.1954:                             ;   in Loop: Header=BB283_1069 Depth=1
	v_and_b32_e32 v17, 0x7f, v6
	v_mov_b32_e32 v9, 0x7c010000
	s_mov_b32 s16, exec_lo
	s_delay_alu instid0(VALU_DEP_2)
	v_cmpx_ne_u32_e32 0x7f, v17
	s_cbranch_execz .LBB283_1958
; %bb.1955:                             ;   in Loop: Header=BB283_1069 Depth=1
	v_dual_lshrrev_b32 v9, 3, v17 :: v_dual_bitop2_b32 v0, 7, v6 bitop3:0x40
	s_mov_b32 s17, exec_lo
	v_cmpx_gt_u32_e32 8, v17
; %bb.1956:                             ;   in Loop: Header=BB283_1069 Depth=1
	s_delay_alu instid0(VALU_DEP_2) | instskip(NEXT) | instid1(VALU_DEP_1)
	v_clz_i32_u32_e32 v0, v0
	v_min_u32_e32 v0, 32, v0
	s_delay_alu instid0(VALU_DEP_1) | instskip(NEXT) | instid1(VALU_DEP_1)
	v_subrev_nc_u32_e32 v9, 28, v0
	v_lshlrev_b64_e32 v[18:19], v9, v[6:7]
	s_delay_alu instid0(VALU_DEP_1)
	v_dual_sub_nc_u32 v9, 29, v0 :: v_dual_bitop2_b32 v0, 7, v18 bitop3:0x40
; %bb.1957:                             ;   in Loop: Header=BB283_1069 Depth=1
	s_or_b32 exec_lo, exec_lo, s17
	s_delay_alu instid0(VALU_DEP_1) | instskip(NEXT) | instid1(VALU_DEP_2)
	v_dual_lshlrev_b32 v6, 8, v6 :: v_dual_lshlrev_b32 v0, 23, v0
	v_lshl_add_u32 v9, v9, 10, 0x2000
	s_delay_alu instid0(VALU_DEP_1) | instskip(NEXT) | instid1(VALU_DEP_1)
	v_and_or_b32 v6, 0x8000, v6, v9
	v_lshl_or_b32 v9, v6, 16, v0
.LBB283_1958:                           ;   in Loop: Header=BB283_1069 Depth=1
	s_or_b32 exec_lo, exec_lo, s16
.LBB283_1959:                           ;   in Loop: Header=BB283_1069 Depth=1
	s_delay_alu instid0(SALU_CYCLE_1)
	s_or_b32 exec_lo, exec_lo, s15
.LBB283_1960:                           ;   in Loop: Header=BB283_1069 Depth=1
	s_delay_alu instid0(SALU_CYCLE_1) | instskip(SKIP_4) | instid1(VALU_DEP_3)
	s_or_b32 exec_lo, exec_lo, s14
	v_and_b32_e32 v0, 0xff, v49
	v_dual_mov_b32 v6, v49 :: v_dual_mov_b32 v18, 0
	v_mov_b32_e32 v17, 0
	s_mov_b32 s14, exec_lo
	v_cmpx_ne_u16_e32 0, v0
	s_cbranch_execz .LBB283_1968
; %bb.1961:                             ;   in Loop: Header=BB283_1069 Depth=1
	v_mov_b32_e32 v17, 0x8000
	s_mov_b32 s15, exec_lo
	v_cmpx_ne_u16_e32 0x80, v0
	s_cbranch_execz .LBB283_1967
; %bb.1962:                             ;   in Loop: Header=BB283_1069 Depth=1
	v_and_b32_e32 v19, 0x7f, v49
	v_mov_b32_e32 v17, 0x7c01
	s_mov_b32 s16, exec_lo
	s_delay_alu instid0(VALU_DEP_2)
	v_cmpx_ne_u32_e32 0x7f, v19
	s_cbranch_execz .LBB283_1966
; %bb.1963:                             ;   in Loop: Header=BB283_1069 Depth=1
	v_dual_lshrrev_b32 v17, 3, v19 :: v_dual_bitop2_b32 v0, 7, v49 bitop3:0x40
	s_mov_b32 s17, exec_lo
	v_cmpx_gt_u32_e32 8, v19
; %bb.1964:                             ;   in Loop: Header=BB283_1069 Depth=1
	s_delay_alu instid0(VALU_DEP_2) | instskip(NEXT) | instid1(VALU_DEP_1)
	v_clz_i32_u32_e32 v0, v0
	v_min_u32_e32 v0, 32, v0
	s_delay_alu instid0(VALU_DEP_1) | instskip(NEXT) | instid1(VALU_DEP_1)
	v_subrev_nc_u32_e32 v17, 28, v0
	v_lshlrev_b64_e32 v[22:23], v17, v[6:7]
	s_delay_alu instid0(VALU_DEP_1)
	v_dual_sub_nc_u32 v17, 29, v0 :: v_dual_bitop2_b32 v0, 7, v22 bitop3:0x40
; %bb.1965:                             ;   in Loop: Header=BB283_1069 Depth=1
	s_or_b32 exec_lo, exec_lo, s17
	s_delay_alu instid0(VALU_DEP_1) | instskip(NEXT) | instid1(VALU_DEP_2)
	v_dual_lshlrev_b32 v19, 8, v49 :: v_dual_lshlrev_b32 v0, 7, v0
	v_lshl_add_u32 v17, v17, 10, 0x2000
	s_delay_alu instid0(VALU_DEP_2) | instskip(NEXT) | instid1(VALU_DEP_2)
	v_and_b32_e32 v19, 0x8000, v19
	v_and_b32_e32 v17, 0xfc00, v17
	s_delay_alu instid0(VALU_DEP_1)
	v_or3_b32 v17, v19, v17, v0
.LBB283_1966:                           ;   in Loop: Header=BB283_1069 Depth=1
	s_or_b32 exec_lo, exec_lo, s16
.LBB283_1967:                           ;   in Loop: Header=BB283_1069 Depth=1
	s_delay_alu instid0(SALU_CYCLE_1)
	s_or_b32 exec_lo, exec_lo, s15
.LBB283_1968:                           ;   in Loop: Header=BB283_1069 Depth=1
	s_delay_alu instid0(SALU_CYCLE_1) | instskip(SKIP_3) | instid1(VALU_DEP_2)
	s_or_b32 exec_lo, exec_lo, s14
	v_lshrrev_b16 v6, 8, v6
	v_mov_b32_e32 v19, 0
	s_mov_b32 s14, exec_lo
	v_cmpx_ne_u16_e32 0, v6
	s_cbranch_execz .LBB283_1976
; %bb.1969:                             ;   in Loop: Header=BB283_1069 Depth=1
	v_bfrev_b32_e32 v19, 1
	s_mov_b32 s15, exec_lo
	v_cmpx_ne_u16_e32 0x80, v6
	s_cbranch_execz .LBB283_1975
; %bb.1970:                             ;   in Loop: Header=BB283_1069 Depth=1
	v_and_b32_e32 v0, 0xffff, v6
	v_mov_b32_e32 v19, 0x7c010000
	s_mov_b32 s16, exec_lo
	s_delay_alu instid0(VALU_DEP_2) | instskip(NEXT) | instid1(VALU_DEP_1)
	v_and_b32_e32 v23, 0x7f, v0
	v_cmpx_ne_u32_e32 0x7f, v23
	s_cbranch_execz .LBB283_1974
; %bb.1971:                             ;   in Loop: Header=BB283_1069 Depth=1
	v_dual_lshrrev_b32 v22, 3, v23 :: v_dual_bitop2_b32 v19, 7, v0 bitop3:0x40
	s_mov_b32 s17, exec_lo
	v_cmpx_gt_u32_e32 8, v23
; %bb.1972:                             ;   in Loop: Header=BB283_1069 Depth=1
	s_delay_alu instid0(VALU_DEP_2) | instskip(NEXT) | instid1(VALU_DEP_1)
	v_clz_i32_u32_e32 v19, v19
	v_min_u32_e32 v19, 32, v19
	s_delay_alu instid0(VALU_DEP_1) | instskip(NEXT) | instid1(VALU_DEP_1)
	v_subrev_nc_u32_e32 v22, 28, v19
	v_lshlrev_b64_e32 v[50:51], v22, v[6:7]
	s_delay_alu instid0(VALU_DEP_1)
	v_dual_sub_nc_u32 v22, 29, v19 :: v_dual_bitop2_b32 v19, 7, v50 bitop3:0x40
; %bb.1973:                             ;   in Loop: Header=BB283_1069 Depth=1
	s_or_b32 exec_lo, exec_lo, s17
	v_lshlrev_b32_e32 v0, 8, v0
	s_delay_alu instid0(VALU_DEP_2) | instskip(NEXT) | instid1(VALU_DEP_1)
	v_lshl_add_u32 v6, v22, 10, 0x2000
	v_and_or_b32 v0, 0x8000, v0, v6
	v_lshlrev_b32_e32 v6, 23, v19
	s_delay_alu instid0(VALU_DEP_1)
	v_lshl_or_b32 v19, v0, 16, v6
.LBB283_1974:                           ;   in Loop: Header=BB283_1069 Depth=1
	s_or_b32 exec_lo, exec_lo, s16
.LBB283_1975:                           ;   in Loop: Header=BB283_1069 Depth=1
	s_delay_alu instid0(SALU_CYCLE_1)
	s_or_b32 exec_lo, exec_lo, s15
.LBB283_1976:                           ;   in Loop: Header=BB283_1069 Depth=1
	s_delay_alu instid0(SALU_CYCLE_1) | instskip(SKIP_2) | instid1(VALU_DEP_1)
	s_or_b32 exec_lo, exec_lo, s14
	v_lshrrev_b32_e32 v0, 16, v49
	s_mov_b32 s14, exec_lo
	v_and_b32_e32 v6, 0xff, v0
	s_delay_alu instid0(VALU_DEP_1)
	v_cmpx_ne_u16_e32 0, v6
	s_cbranch_execz .LBB283_1984
; %bb.1977:                             ;   in Loop: Header=BB283_1069 Depth=1
	v_mov_b32_e32 v18, 0x8000
	s_mov_b32 s15, exec_lo
	v_cmpx_ne_u16_e32 0x80, v6
	s_cbranch_execz .LBB283_1983
; %bb.1978:                             ;   in Loop: Header=BB283_1069 Depth=1
	v_bfe_u32 v22, v49, 16, 7
	v_mov_b32_e32 v18, 0x7c01
	s_mov_b32 s16, exec_lo
	s_delay_alu instid0(VALU_DEP_2)
	v_cmpx_ne_u32_e32 0x7f, v22
	s_cbranch_execz .LBB283_1982
; %bb.1979:                             ;   in Loop: Header=BB283_1069 Depth=1
	v_dual_lshrrev_b32 v18, 3, v22 :: v_dual_bitop2_b32 v6, 7, v0 bitop3:0x40
	s_mov_b32 s17, exec_lo
	v_cmpx_gt_u32_e32 8, v22
; %bb.1980:                             ;   in Loop: Header=BB283_1069 Depth=1
	s_delay_alu instid0(VALU_DEP_2) | instskip(NEXT) | instid1(VALU_DEP_1)
	v_clz_i32_u32_e32 v6, v6
	v_min_u32_e32 v6, 32, v6
	s_delay_alu instid0(VALU_DEP_1) | instskip(NEXT) | instid1(VALU_DEP_1)
	v_subrev_nc_u32_e32 v18, 28, v6
	v_lshlrev_b64_e32 v[22:23], v18, v[0:1]
	v_sub_nc_u32_e32 v18, 29, v6
	s_delay_alu instid0(VALU_DEP_2)
	v_and_b32_e32 v6, 7, v22
; %bb.1981:                             ;   in Loop: Header=BB283_1069 Depth=1
	s_or_b32 exec_lo, exec_lo, s17
	s_delay_alu instid0(VALU_DEP_1) | instskip(NEXT) | instid1(VALU_DEP_3)
	v_dual_lshlrev_b32 v0, 8, v0 :: v_dual_lshlrev_b32 v6, 7, v6
	v_lshl_add_u32 v18, v18, 10, 0x2000
	s_delay_alu instid0(VALU_DEP_2) | instskip(NEXT) | instid1(VALU_DEP_2)
	v_and_b32_e32 v0, 0x8000, v0
	v_and_b32_e32 v18, 0xfc00, v18
	s_delay_alu instid0(VALU_DEP_1)
	v_or3_b32 v18, v0, v18, v6
.LBB283_1982:                           ;   in Loop: Header=BB283_1069 Depth=1
	s_or_b32 exec_lo, exec_lo, s16
.LBB283_1983:                           ;   in Loop: Header=BB283_1069 Depth=1
	s_delay_alu instid0(SALU_CYCLE_1)
	s_or_b32 exec_lo, exec_lo, s15
.LBB283_1984:                           ;   in Loop: Header=BB283_1069 Depth=1
	s_delay_alu instid0(SALU_CYCLE_1)
	s_or_b32 exec_lo, exec_lo, s14
	v_mov_b32_e32 v0, 0
	s_mov_b32 s14, exec_lo
	v_cmpx_lt_u64_e64 s[2:3], v[48:49]
	s_cbranch_execz .LBB283_1992
; %bb.1985:                             ;   in Loop: Header=BB283_1069 Depth=1
	v_lshrrev_b32_e32 v6, 24, v49
	v_bfrev_b32_e32 v0, 1
	s_mov_b32 s15, exec_lo
	s_delay_alu instid0(VALU_DEP_2)
	v_cmpx_ne_u32_e32 0x80, v6
	s_cbranch_execz .LBB283_1991
; %bb.1986:                             ;   in Loop: Header=BB283_1069 Depth=1
	v_and_b32_e32 v23, 0x7f, v6
	v_mov_b32_e32 v0, 0x7c010000
	s_mov_b32 s16, exec_lo
	s_delay_alu instid0(VALU_DEP_2)
	v_cmpx_ne_u32_e32 0x7f, v23
	s_cbranch_execz .LBB283_1990
; %bb.1987:                             ;   in Loop: Header=BB283_1069 Depth=1
	v_dual_lshrrev_b32 v22, 3, v23 :: v_dual_bitop2_b32 v0, 7, v6 bitop3:0x40
	s_mov_b32 s17, exec_lo
	v_cmpx_gt_u32_e32 8, v23
; %bb.1988:                             ;   in Loop: Header=BB283_1069 Depth=1
	s_delay_alu instid0(VALU_DEP_2) | instskip(NEXT) | instid1(VALU_DEP_1)
	v_clz_i32_u32_e32 v0, v0
	v_min_u32_e32 v0, 32, v0
	s_delay_alu instid0(VALU_DEP_1) | instskip(NEXT) | instid1(VALU_DEP_1)
	v_subrev_nc_u32_e32 v22, 28, v0
	v_lshlrev_b64_e32 v[48:49], v22, v[6:7]
	v_sub_nc_u32_e32 v22, 29, v0
	s_delay_alu instid0(VALU_DEP_2)
	v_and_b32_e32 v0, 7, v48
; %bb.1989:                             ;   in Loop: Header=BB283_1069 Depth=1
	s_or_b32 exec_lo, exec_lo, s17
	s_delay_alu instid0(VALU_DEP_1) | instskip(NEXT) | instid1(VALU_DEP_3)
	v_dual_lshlrev_b32 v6, 8, v6 :: v_dual_lshlrev_b32 v0, 23, v0
	v_lshl_add_u32 v22, v22, 10, 0x2000
	s_delay_alu instid0(VALU_DEP_1) | instskip(NEXT) | instid1(VALU_DEP_1)
	v_and_or_b32 v6, 0x8000, v6, v22
	v_lshl_or_b32 v0, v6, 16, v0
.LBB283_1990:                           ;   in Loop: Header=BB283_1069 Depth=1
	s_or_b32 exec_lo, exec_lo, s16
.LBB283_1991:                           ;   in Loop: Header=BB283_1069 Depth=1
	s_delay_alu instid0(SALU_CYCLE_1)
	s_or_b32 exec_lo, exec_lo, s15
.LBB283_1992:                           ;   in Loop: Header=BB283_1069 Depth=1
	s_delay_alu instid0(SALU_CYCLE_1) | instskip(SKIP_2) | instid1(VALU_DEP_2)
	s_or_b32 exec_lo, exec_lo, s14
	v_dual_lshrrev_b32 v6, 16, v1 :: v_dual_bitop2_b32 v1, v1, v8 bitop3:0x54
	v_dual_lshrrev_b32 v22, 16, v9 :: v_dual_bitop2_b32 v16, v9, v16 bitop3:0x54
	v_cvt_f32_f16_e32 v9, v6
	v_dual_lshrrev_b32 v18, 16, v19 :: v_dual_bitop2_b32 v6, v0, v18 bitop3:0x54
	s_delay_alu instid0(VALU_DEP_3)
	v_cvt_f32_f16_e32 v8, v22
	v_dual_lshrrev_b32 v22, 16, v0 :: v_dual_bitop2_b32 v19, v19, v17 bitop3:0x54
	v_cvt_f32_f16_e32 v0, v16
	v_cvt_f32_f16_e32 v1, v1
	s_wait_loadcnt_dscnt 0x0
	v_pk_mul_f32 v[8:9], v[38:39], v[8:9] op_sel_hi:[0,1]
	v_cvt_f32_f16_e32 v17, v18
	v_cvt_f32_f16_e32 v16, v22
	;; [unrolled: 1-line block ×4, first 2 shown]
	v_pk_mul_f32 v[0:1], v[38:39], v[0:1] op_sel_hi:[0,1]
	v_cvt_pk_f16_f32 v6, v8, v9
	v_pk_mul_f32 v[8:9], v[38:39], v[16:17] op_sel_hi:[0,1]
	s_delay_alu instid0(VALU_DEP_4) | instskip(NEXT) | instid1(VALU_DEP_4)
	v_pk_mul_f32 v[16:17], v[38:39], v[18:19] op_sel_hi:[0,1]
	v_cvt_pk_f16_f32 v0, v0, v1
	s_delay_alu instid0(VALU_DEP_4) | instskip(NEXT) | instid1(VALU_DEP_4)
	v_and_b32_e32 v19, 0xffff0000, v6
	v_cvt_pk_f16_f32 v8, v8, v9
	v_lshlrev_b32_e32 v38, 16, v6
	v_cvt_pk_f16_f32 v6, v16, v17
	v_lshrrev_b32_e32 v51, 16, v0
	v_and_b32_e32 v52, 0xffff, v0
	v_and_b32_e32 v1, 0xffff0000, v8
	s_delay_alu instid0(VALU_DEP_4) | instskip(SKIP_3) | instid1(VALU_DEP_4)
	v_dual_lshlrev_b32 v0, 16, v8 :: v_dual_lshrrev_b32 v9, 16, v6
	v_and_b32_e32 v6, 0xffff, v6
	v_or_b32_e32 v49, v19, v51
	v_or_b32_e32 v50, v38, v52
	;; [unrolled: 1-line block ×3, first 2 shown]
	s_delay_alu instid0(VALU_DEP_4)
	v_or_b32_e32 v48, v0, v6
	s_and_saveexec_b32 s14, vcc_lo
	s_cbranch_execz .LBB283_1994
; %bb.1993:                             ;   in Loop: Header=BB283_1069 Depth=1
	v_cmp_lt_i32_e64 s0, v69, v13
	s_delay_alu instid0(VALU_DEP_1) | instskip(SKIP_1) | instid1(VALU_DEP_1)
	v_cndmask_b32_e64 v8, 0, v51, s0
	v_cmp_lt_i32_e64 s0, v84, v12
	v_cndmask_b32_e64 v16, 0, v52, s0
	v_cmp_lt_i32_e64 s0, v83, v13
	s_delay_alu instid0(VALU_DEP_1) | instskip(SKIP_1) | instid1(VALU_DEP_1)
	v_cndmask_b32_e64 v17, 0, v19, s0
	v_cmp_lt_i32_e64 s0, v82, v12
	v_cndmask_b32_e64 v18, 0, v38, s0
	v_cmp_lt_i32_e64 s0, v81, v13
	s_delay_alu instid0(VALU_DEP_4) | instskip(NEXT) | instid1(VALU_DEP_2)
	v_or_b32_e32 v49, v8, v17
	v_dual_cndmask_b32 v9, 0, v9, s0 :: v_dual_bitop2_b32 v50, v16, v18 bitop3:0x54
	v_cmp_lt_i32_e64 s0, v80, v12
	s_delay_alu instid0(VALU_DEP_1) | instskip(SKIP_1) | instid1(VALU_DEP_1)
	v_cndmask_b32_e64 v6, 0, v6, s0
	v_cmp_lt_i32_e64 s0, v71, v13
	v_cndmask_b32_e64 v1, 0, v1, s0
	v_cmp_lt_i32_e64 s0, v70, v12
	s_delay_alu instid0(VALU_DEP_1) | instskip(NEXT) | instid1(VALU_DEP_1)
	v_dual_cndmask_b32 v0, 0, v0, s0 :: v_dual_bitop2_b32 v39, v9, v1 bitop3:0x54
	v_or_b32_e32 v48, v6, v0
.LBB283_1994:                           ;   in Loop: Header=BB283_1069 Depth=1
	s_or_b32 exec_lo, exec_lo, s14
	;;#ASMSTART
	v_pk_mul_f16 v0, v97, v49;

	;;#ASMEND
	;;#ASMSTART
	v_pk_mul_f16 v1, v87, v50;

	;;#ASMEND
	;; [unrolled: 4-line block ×4, first 2 shown]
	;;#ASMSTART
	v_pk_add_f16 v0, v0, v1;

	;;#ASMEND
	;;#ASMSTART
	v_pk_add_f16 v0, v0, v6;

	;;#ASMEND
	;; [unrolled: 4-line block ×3, first 2 shown]
	v_and_b32_e32 v1, 0xffff, v0
	v_lshrrev_b32_e32 v0, 16, v0
	;;#ASMSTART
	v_cvt_f32_f16 v59, v1;
	;;#ASMEND
	;;#ASMSTART
	v_cvt_f32_f16 v60, v0;
	;;#ASMEND
	flat_load_b64 v[48:49], v[28:29] offset:3584
	scratch_load_b64 v[0:1], off, s32 offset:192 ; 8-byte Folded Reload
	v_mov_b32_e32 v8, 0
	s_mov_b32 s14, exec_lo
	s_wait_loadcnt 0x0
	flat_load_b32 v38, v[0:1]
	s_wait_dscnt 0x1
	s_wait_xcnt 0x0
	v_and_b32_e32 v0, 0xff, v48
	v_mov_b32_e32 v1, 0
	s_delay_alu instid0(VALU_DEP_2)
	v_cmpx_ne_u16_e32 0, v0
	s_cbranch_execz .LBB283_2002
; %bb.1995:                             ;   in Loop: Header=BB283_1069 Depth=1
	v_mov_b32_e32 v8, 0x8000
	s_mov_b32 s15, exec_lo
	v_cmpx_ne_u16_e32 0x80, v0
	s_cbranch_execz .LBB283_2001
; %bb.1996:                             ;   in Loop: Header=BB283_1069 Depth=1
	v_and_b32_e32 v9, 0x7f, v48
	v_mov_b32_e32 v8, 0x7c01
	s_mov_b32 s16, exec_lo
	s_delay_alu instid0(VALU_DEP_2)
	v_cmpx_ne_u32_e32 0x7f, v9
	s_cbranch_execz .LBB283_2000
; %bb.1997:                             ;   in Loop: Header=BB283_1069 Depth=1
	v_dual_lshrrev_b32 v6, 3, v9 :: v_dual_bitop2_b32 v0, 7, v48 bitop3:0x40
	s_mov_b32 s17, exec_lo
	v_cmpx_gt_u32_e32 8, v9
; %bb.1998:                             ;   in Loop: Header=BB283_1069 Depth=1
	s_delay_alu instid0(VALU_DEP_2) | instskip(NEXT) | instid1(VALU_DEP_1)
	v_clz_i32_u32_e32 v0, v0
	v_min_u32_e32 v0, 32, v0
	s_delay_alu instid0(VALU_DEP_1) | instskip(NEXT) | instid1(VALU_DEP_1)
	v_subrev_nc_u32_e32 v6, 28, v0
	v_lshlrev_b64_e32 v[8:9], v6, v[48:49]
	v_sub_nc_u32_e32 v6, 29, v0
	s_delay_alu instid0(VALU_DEP_2)
	v_and_b32_e32 v0, 7, v8
; %bb.1999:                             ;   in Loop: Header=BB283_1069 Depth=1
	s_or_b32 exec_lo, exec_lo, s17
	v_lshlrev_b32_e32 v8, 8, v48
	s_delay_alu instid0(VALU_DEP_3) | instskip(NEXT) | instid1(VALU_DEP_3)
	v_lshl_add_u32 v6, v6, 10, 0x2000
	v_lshlrev_b32_e32 v0, 7, v0
	s_delay_alu instid0(VALU_DEP_3) | instskip(NEXT) | instid1(VALU_DEP_3)
	v_and_b32_e32 v8, 0x8000, v8
	v_and_b32_e32 v6, 0xfc00, v6
	s_delay_alu instid0(VALU_DEP_1)
	v_or3_b32 v8, v8, v6, v0
.LBB283_2000:                           ;   in Loop: Header=BB283_1069 Depth=1
	s_or_b32 exec_lo, exec_lo, s16
.LBB283_2001:                           ;   in Loop: Header=BB283_1069 Depth=1
	s_delay_alu instid0(SALU_CYCLE_1)
	s_or_b32 exec_lo, exec_lo, s15
.LBB283_2002:                           ;   in Loop: Header=BB283_1069 Depth=1
	s_delay_alu instid0(SALU_CYCLE_1) | instskip(SKIP_2) | instid1(VALU_DEP_1)
	s_or_b32 exec_lo, exec_lo, s14
	v_lshrrev_b16 v6, 8, v48
	s_mov_b32 s14, exec_lo
	v_cmpx_ne_u16_e32 0, v6
	s_cbranch_execz .LBB283_2010
; %bb.2003:                             ;   in Loop: Header=BB283_1069 Depth=1
	v_bfrev_b32_e32 v1, 1
	s_mov_b32 s15, exec_lo
	v_cmpx_ne_u16_e32 0x80, v6
	s_cbranch_execz .LBB283_2009
; %bb.2004:                             ;   in Loop: Header=BB283_1069 Depth=1
	v_and_b32_e32 v0, 0xffff, v6
	v_mov_b32_e32 v1, 0x7c010000
	s_mov_b32 s16, exec_lo
	s_delay_alu instid0(VALU_DEP_2) | instskip(NEXT) | instid1(VALU_DEP_1)
	v_and_b32_e32 v16, 0x7f, v0
	v_cmpx_ne_u32_e32 0x7f, v16
	s_cbranch_execz .LBB283_2008
; %bb.2005:                             ;   in Loop: Header=BB283_1069 Depth=1
	v_and_b32_e32 v1, 7, v0
	v_lshrrev_b32_e32 v9, 3, v16
	s_mov_b32 s17, exec_lo
	v_cmpx_gt_u32_e32 8, v16
; %bb.2006:                             ;   in Loop: Header=BB283_1069 Depth=1
	s_delay_alu instid0(VALU_DEP_3) | instskip(NEXT) | instid1(VALU_DEP_1)
	v_clz_i32_u32_e32 v1, v1
	v_min_u32_e32 v1, 32, v1
	s_delay_alu instid0(VALU_DEP_1) | instskip(NEXT) | instid1(VALU_DEP_1)
	v_subrev_nc_u32_e32 v9, 28, v1
	v_lshlrev_b64_e32 v[16:17], v9, v[6:7]
	s_delay_alu instid0(VALU_DEP_1)
	v_dual_sub_nc_u32 v9, 29, v1 :: v_dual_bitop2_b32 v1, 7, v16 bitop3:0x40
; %bb.2007:                             ;   in Loop: Header=BB283_1069 Depth=1
	s_or_b32 exec_lo, exec_lo, s17
	s_delay_alu instid0(VALU_DEP_1) | instskip(NEXT) | instid1(VALU_DEP_2)
	v_dual_lshlrev_b32 v0, 8, v0 :: v_dual_lshlrev_b32 v1, 23, v1
	v_lshl_add_u32 v6, v9, 10, 0x2000
	s_delay_alu instid0(VALU_DEP_1) | instskip(NEXT) | instid1(VALU_DEP_1)
	v_and_or_b32 v0, 0x8000, v0, v6
	v_lshl_or_b32 v1, v0, 16, v1
.LBB283_2008:                           ;   in Loop: Header=BB283_1069 Depth=1
	s_or_b32 exec_lo, exec_lo, s16
.LBB283_2009:                           ;   in Loop: Header=BB283_1069 Depth=1
	s_delay_alu instid0(SALU_CYCLE_1)
	s_or_b32 exec_lo, exec_lo, s15
.LBB283_2010:                           ;   in Loop: Header=BB283_1069 Depth=1
	s_delay_alu instid0(SALU_CYCLE_1) | instskip(SKIP_3) | instid1(VALU_DEP_2)
	s_or_b32 exec_lo, exec_lo, s14
	v_dual_mov_b32 v9, 0 :: v_dual_lshrrev_b32 v0, 16, v48
	v_mov_b32_e32 v16, 0
	s_mov_b32 s14, exec_lo
	v_and_b32_e32 v6, 0xff, v0
	s_delay_alu instid0(VALU_DEP_1)
	v_cmpx_ne_u16_e32 0, v6
	s_cbranch_execz .LBB283_2018
; %bb.2011:                             ;   in Loop: Header=BB283_1069 Depth=1
	v_mov_b32_e32 v16, 0x8000
	s_mov_b32 s15, exec_lo
	v_cmpx_ne_u16_e32 0x80, v6
	s_cbranch_execz .LBB283_2017
; %bb.2012:                             ;   in Loop: Header=BB283_1069 Depth=1
	v_bfe_u32 v17, v48, 16, 7
	v_mov_b32_e32 v16, 0x7c01
	s_mov_b32 s16, exec_lo
	s_delay_alu instid0(VALU_DEP_2)
	v_cmpx_ne_u32_e32 0x7f, v17
	s_cbranch_execz .LBB283_2016
; %bb.2013:                             ;   in Loop: Header=BB283_1069 Depth=1
	v_dual_lshrrev_b32 v16, 3, v17 :: v_dual_bitop2_b32 v6, 7, v0 bitop3:0x40
	s_mov_b32 s17, exec_lo
	v_cmpx_gt_u32_e32 8, v17
; %bb.2014:                             ;   in Loop: Header=BB283_1069 Depth=1
	s_delay_alu instid0(VALU_DEP_2) | instskip(NEXT) | instid1(VALU_DEP_1)
	v_clz_i32_u32_e32 v6, v6
	v_min_u32_e32 v6, 32, v6
	s_delay_alu instid0(VALU_DEP_1) | instskip(NEXT) | instid1(VALU_DEP_1)
	v_subrev_nc_u32_e32 v16, 28, v6
	v_lshlrev_b64_e32 v[18:19], v16, v[0:1]
	v_sub_nc_u32_e32 v16, 29, v6
	s_delay_alu instid0(VALU_DEP_2)
	v_and_b32_e32 v6, 7, v18
; %bb.2015:                             ;   in Loop: Header=BB283_1069 Depth=1
	s_or_b32 exec_lo, exec_lo, s17
	s_delay_alu instid0(VALU_DEP_1) | instskip(NEXT) | instid1(VALU_DEP_3)
	v_dual_lshlrev_b32 v0, 8, v0 :: v_dual_lshlrev_b32 v6, 7, v6
	v_lshl_add_u32 v16, v16, 10, 0x2000
	s_delay_alu instid0(VALU_DEP_2) | instskip(NEXT) | instid1(VALU_DEP_2)
	v_and_b32_e32 v0, 0x8000, v0
	v_and_b32_e32 v16, 0xfc00, v16
	s_delay_alu instid0(VALU_DEP_1)
	v_or3_b32 v16, v0, v16, v6
.LBB283_2016:                           ;   in Loop: Header=BB283_1069 Depth=1
	s_or_b32 exec_lo, exec_lo, s16
.LBB283_2017:                           ;   in Loop: Header=BB283_1069 Depth=1
	s_delay_alu instid0(SALU_CYCLE_1)
	s_or_b32 exec_lo, exec_lo, s15
.LBB283_2018:                           ;   in Loop: Header=BB283_1069 Depth=1
	s_delay_alu instid0(SALU_CYCLE_1) | instskip(NEXT) | instid1(SALU_CYCLE_1)
	s_or_b32 exec_lo, exec_lo, s14
	s_mov_b32 s14, exec_lo
	v_cmpx_lt_u32_e32 0xffffff, v48
	s_cbranch_execz .LBB283_2026
; %bb.2019:                             ;   in Loop: Header=BB283_1069 Depth=1
	v_lshrrev_b32_e32 v6, 24, v48
	v_bfrev_b32_e32 v9, 1
	s_mov_b32 s15, exec_lo
	s_delay_alu instid0(VALU_DEP_2)
	v_cmpx_ne_u32_e32 0x80, v6
	s_cbranch_execz .LBB283_2025
; %bb.2020:                             ;   in Loop: Header=BB283_1069 Depth=1
	v_and_b32_e32 v17, 0x7f, v6
	v_mov_b32_e32 v9, 0x7c010000
	s_mov_b32 s16, exec_lo
	s_delay_alu instid0(VALU_DEP_2)
	v_cmpx_ne_u32_e32 0x7f, v17
	s_cbranch_execz .LBB283_2024
; %bb.2021:                             ;   in Loop: Header=BB283_1069 Depth=1
	v_dual_lshrrev_b32 v9, 3, v17 :: v_dual_bitop2_b32 v0, 7, v6 bitop3:0x40
	s_mov_b32 s17, exec_lo
	v_cmpx_gt_u32_e32 8, v17
; %bb.2022:                             ;   in Loop: Header=BB283_1069 Depth=1
	s_delay_alu instid0(VALU_DEP_2) | instskip(NEXT) | instid1(VALU_DEP_1)
	v_clz_i32_u32_e32 v0, v0
	v_min_u32_e32 v0, 32, v0
	s_delay_alu instid0(VALU_DEP_1) | instskip(NEXT) | instid1(VALU_DEP_1)
	v_subrev_nc_u32_e32 v9, 28, v0
	v_lshlrev_b64_e32 v[18:19], v9, v[6:7]
	s_delay_alu instid0(VALU_DEP_1)
	v_dual_sub_nc_u32 v9, 29, v0 :: v_dual_bitop2_b32 v0, 7, v18 bitop3:0x40
; %bb.2023:                             ;   in Loop: Header=BB283_1069 Depth=1
	s_or_b32 exec_lo, exec_lo, s17
	s_delay_alu instid0(VALU_DEP_1) | instskip(NEXT) | instid1(VALU_DEP_2)
	v_dual_lshlrev_b32 v6, 8, v6 :: v_dual_lshlrev_b32 v0, 23, v0
	v_lshl_add_u32 v9, v9, 10, 0x2000
	s_delay_alu instid0(VALU_DEP_1) | instskip(NEXT) | instid1(VALU_DEP_1)
	v_and_or_b32 v6, 0x8000, v6, v9
	v_lshl_or_b32 v9, v6, 16, v0
.LBB283_2024:                           ;   in Loop: Header=BB283_1069 Depth=1
	s_or_b32 exec_lo, exec_lo, s16
.LBB283_2025:                           ;   in Loop: Header=BB283_1069 Depth=1
	s_delay_alu instid0(SALU_CYCLE_1)
	s_or_b32 exec_lo, exec_lo, s15
.LBB283_2026:                           ;   in Loop: Header=BB283_1069 Depth=1
	s_delay_alu instid0(SALU_CYCLE_1) | instskip(SKIP_4) | instid1(VALU_DEP_3)
	s_or_b32 exec_lo, exec_lo, s14
	v_and_b32_e32 v0, 0xff, v49
	v_dual_mov_b32 v6, v49 :: v_dual_mov_b32 v18, 0
	v_mov_b32_e32 v17, 0
	s_mov_b32 s14, exec_lo
	v_cmpx_ne_u16_e32 0, v0
	s_cbranch_execz .LBB283_2034
; %bb.2027:                             ;   in Loop: Header=BB283_1069 Depth=1
	v_mov_b32_e32 v17, 0x8000
	s_mov_b32 s15, exec_lo
	v_cmpx_ne_u16_e32 0x80, v0
	s_cbranch_execz .LBB283_2033
; %bb.2028:                             ;   in Loop: Header=BB283_1069 Depth=1
	v_and_b32_e32 v19, 0x7f, v49
	v_mov_b32_e32 v17, 0x7c01
	s_mov_b32 s16, exec_lo
	s_delay_alu instid0(VALU_DEP_2)
	v_cmpx_ne_u32_e32 0x7f, v19
	s_cbranch_execz .LBB283_2032
; %bb.2029:                             ;   in Loop: Header=BB283_1069 Depth=1
	v_dual_lshrrev_b32 v17, 3, v19 :: v_dual_bitop2_b32 v0, 7, v49 bitop3:0x40
	s_mov_b32 s17, exec_lo
	v_cmpx_gt_u32_e32 8, v19
; %bb.2030:                             ;   in Loop: Header=BB283_1069 Depth=1
	s_delay_alu instid0(VALU_DEP_2) | instskip(NEXT) | instid1(VALU_DEP_1)
	v_clz_i32_u32_e32 v0, v0
	v_min_u32_e32 v0, 32, v0
	s_delay_alu instid0(VALU_DEP_1) | instskip(NEXT) | instid1(VALU_DEP_1)
	v_subrev_nc_u32_e32 v17, 28, v0
	v_lshlrev_b64_e32 v[22:23], v17, v[6:7]
	s_delay_alu instid0(VALU_DEP_1)
	v_dual_sub_nc_u32 v17, 29, v0 :: v_dual_bitop2_b32 v0, 7, v22 bitop3:0x40
; %bb.2031:                             ;   in Loop: Header=BB283_1069 Depth=1
	s_or_b32 exec_lo, exec_lo, s17
	s_delay_alu instid0(VALU_DEP_1) | instskip(NEXT) | instid1(VALU_DEP_2)
	v_dual_lshlrev_b32 v19, 8, v49 :: v_dual_lshlrev_b32 v0, 7, v0
	v_lshl_add_u32 v17, v17, 10, 0x2000
	s_delay_alu instid0(VALU_DEP_2) | instskip(NEXT) | instid1(VALU_DEP_2)
	v_and_b32_e32 v19, 0x8000, v19
	v_and_b32_e32 v17, 0xfc00, v17
	s_delay_alu instid0(VALU_DEP_1)
	v_or3_b32 v17, v19, v17, v0
.LBB283_2032:                           ;   in Loop: Header=BB283_1069 Depth=1
	s_or_b32 exec_lo, exec_lo, s16
.LBB283_2033:                           ;   in Loop: Header=BB283_1069 Depth=1
	s_delay_alu instid0(SALU_CYCLE_1)
	s_or_b32 exec_lo, exec_lo, s15
.LBB283_2034:                           ;   in Loop: Header=BB283_1069 Depth=1
	s_delay_alu instid0(SALU_CYCLE_1) | instskip(SKIP_3) | instid1(VALU_DEP_2)
	s_or_b32 exec_lo, exec_lo, s14
	v_lshrrev_b16 v6, 8, v6
	v_mov_b32_e32 v19, 0
	s_mov_b32 s14, exec_lo
	v_cmpx_ne_u16_e32 0, v6
	s_cbranch_execz .LBB283_2042
; %bb.2035:                             ;   in Loop: Header=BB283_1069 Depth=1
	v_bfrev_b32_e32 v19, 1
	s_mov_b32 s15, exec_lo
	v_cmpx_ne_u16_e32 0x80, v6
	s_cbranch_execz .LBB283_2041
; %bb.2036:                             ;   in Loop: Header=BB283_1069 Depth=1
	v_and_b32_e32 v0, 0xffff, v6
	v_mov_b32_e32 v19, 0x7c010000
	s_mov_b32 s16, exec_lo
	s_delay_alu instid0(VALU_DEP_2) | instskip(NEXT) | instid1(VALU_DEP_1)
	v_and_b32_e32 v23, 0x7f, v0
	v_cmpx_ne_u32_e32 0x7f, v23
	s_cbranch_execz .LBB283_2040
; %bb.2037:                             ;   in Loop: Header=BB283_1069 Depth=1
	v_dual_lshrrev_b32 v22, 3, v23 :: v_dual_bitop2_b32 v19, 7, v0 bitop3:0x40
	s_mov_b32 s17, exec_lo
	v_cmpx_gt_u32_e32 8, v23
; %bb.2038:                             ;   in Loop: Header=BB283_1069 Depth=1
	s_delay_alu instid0(VALU_DEP_2) | instskip(NEXT) | instid1(VALU_DEP_1)
	v_clz_i32_u32_e32 v19, v19
	v_min_u32_e32 v19, 32, v19
	s_delay_alu instid0(VALU_DEP_1) | instskip(NEXT) | instid1(VALU_DEP_1)
	v_subrev_nc_u32_e32 v22, 28, v19
	v_lshlrev_b64_e32 v[50:51], v22, v[6:7]
	s_delay_alu instid0(VALU_DEP_1)
	v_dual_sub_nc_u32 v22, 29, v19 :: v_dual_bitop2_b32 v19, 7, v50 bitop3:0x40
; %bb.2039:                             ;   in Loop: Header=BB283_1069 Depth=1
	s_or_b32 exec_lo, exec_lo, s17
	v_lshlrev_b32_e32 v0, 8, v0
	s_delay_alu instid0(VALU_DEP_2) | instskip(NEXT) | instid1(VALU_DEP_1)
	v_lshl_add_u32 v6, v22, 10, 0x2000
	v_and_or_b32 v0, 0x8000, v0, v6
	v_lshlrev_b32_e32 v6, 23, v19
	s_delay_alu instid0(VALU_DEP_1)
	v_lshl_or_b32 v19, v0, 16, v6
.LBB283_2040:                           ;   in Loop: Header=BB283_1069 Depth=1
	s_or_b32 exec_lo, exec_lo, s16
.LBB283_2041:                           ;   in Loop: Header=BB283_1069 Depth=1
	s_delay_alu instid0(SALU_CYCLE_1)
	s_or_b32 exec_lo, exec_lo, s15
.LBB283_2042:                           ;   in Loop: Header=BB283_1069 Depth=1
	s_delay_alu instid0(SALU_CYCLE_1) | instskip(SKIP_2) | instid1(VALU_DEP_1)
	s_or_b32 exec_lo, exec_lo, s14
	v_lshrrev_b32_e32 v0, 16, v49
	s_mov_b32 s14, exec_lo
	v_and_b32_e32 v6, 0xff, v0
	s_delay_alu instid0(VALU_DEP_1)
	v_cmpx_ne_u16_e32 0, v6
	s_cbranch_execz .LBB283_2050
; %bb.2043:                             ;   in Loop: Header=BB283_1069 Depth=1
	v_mov_b32_e32 v18, 0x8000
	s_mov_b32 s15, exec_lo
	v_cmpx_ne_u16_e32 0x80, v6
	s_cbranch_execz .LBB283_2049
; %bb.2044:                             ;   in Loop: Header=BB283_1069 Depth=1
	v_bfe_u32 v22, v49, 16, 7
	v_mov_b32_e32 v18, 0x7c01
	s_mov_b32 s16, exec_lo
	s_delay_alu instid0(VALU_DEP_2)
	v_cmpx_ne_u32_e32 0x7f, v22
	s_cbranch_execz .LBB283_2048
; %bb.2045:                             ;   in Loop: Header=BB283_1069 Depth=1
	v_dual_lshrrev_b32 v18, 3, v22 :: v_dual_bitop2_b32 v6, 7, v0 bitop3:0x40
	s_mov_b32 s17, exec_lo
	v_cmpx_gt_u32_e32 8, v22
; %bb.2046:                             ;   in Loop: Header=BB283_1069 Depth=1
	s_delay_alu instid0(VALU_DEP_2) | instskip(NEXT) | instid1(VALU_DEP_1)
	v_clz_i32_u32_e32 v6, v6
	v_min_u32_e32 v6, 32, v6
	s_delay_alu instid0(VALU_DEP_1) | instskip(NEXT) | instid1(VALU_DEP_1)
	v_subrev_nc_u32_e32 v18, 28, v6
	v_lshlrev_b64_e32 v[22:23], v18, v[0:1]
	v_sub_nc_u32_e32 v18, 29, v6
	s_delay_alu instid0(VALU_DEP_2)
	v_and_b32_e32 v6, 7, v22
; %bb.2047:                             ;   in Loop: Header=BB283_1069 Depth=1
	s_or_b32 exec_lo, exec_lo, s17
	s_delay_alu instid0(VALU_DEP_1) | instskip(NEXT) | instid1(VALU_DEP_3)
	v_dual_lshlrev_b32 v0, 8, v0 :: v_dual_lshlrev_b32 v6, 7, v6
	v_lshl_add_u32 v18, v18, 10, 0x2000
	s_delay_alu instid0(VALU_DEP_2) | instskip(NEXT) | instid1(VALU_DEP_2)
	v_and_b32_e32 v0, 0x8000, v0
	v_and_b32_e32 v18, 0xfc00, v18
	s_delay_alu instid0(VALU_DEP_1)
	v_or3_b32 v18, v0, v18, v6
.LBB283_2048:                           ;   in Loop: Header=BB283_1069 Depth=1
	s_or_b32 exec_lo, exec_lo, s16
.LBB283_2049:                           ;   in Loop: Header=BB283_1069 Depth=1
	s_delay_alu instid0(SALU_CYCLE_1)
	s_or_b32 exec_lo, exec_lo, s15
.LBB283_2050:                           ;   in Loop: Header=BB283_1069 Depth=1
	s_delay_alu instid0(SALU_CYCLE_1)
	s_or_b32 exec_lo, exec_lo, s14
	v_mov_b32_e32 v0, 0
	s_mov_b32 s14, exec_lo
	v_cmpx_lt_u64_e64 s[2:3], v[48:49]
	s_cbranch_execz .LBB283_2058
; %bb.2051:                             ;   in Loop: Header=BB283_1069 Depth=1
	v_lshrrev_b32_e32 v6, 24, v49
	v_bfrev_b32_e32 v0, 1
	s_mov_b32 s15, exec_lo
	s_delay_alu instid0(VALU_DEP_2)
	v_cmpx_ne_u32_e32 0x80, v6
	s_cbranch_execz .LBB283_2057
; %bb.2052:                             ;   in Loop: Header=BB283_1069 Depth=1
	v_and_b32_e32 v23, 0x7f, v6
	v_mov_b32_e32 v0, 0x7c010000
	s_mov_b32 s16, exec_lo
	s_delay_alu instid0(VALU_DEP_2)
	v_cmpx_ne_u32_e32 0x7f, v23
	s_cbranch_execz .LBB283_2056
; %bb.2053:                             ;   in Loop: Header=BB283_1069 Depth=1
	v_dual_lshrrev_b32 v22, 3, v23 :: v_dual_bitop2_b32 v0, 7, v6 bitop3:0x40
	s_mov_b32 s17, exec_lo
	v_cmpx_gt_u32_e32 8, v23
; %bb.2054:                             ;   in Loop: Header=BB283_1069 Depth=1
	s_delay_alu instid0(VALU_DEP_2) | instskip(NEXT) | instid1(VALU_DEP_1)
	v_clz_i32_u32_e32 v0, v0
	v_min_u32_e32 v0, 32, v0
	s_delay_alu instid0(VALU_DEP_1) | instskip(NEXT) | instid1(VALU_DEP_1)
	v_subrev_nc_u32_e32 v22, 28, v0
	v_lshlrev_b64_e32 v[48:49], v22, v[6:7]
	v_sub_nc_u32_e32 v22, 29, v0
	s_delay_alu instid0(VALU_DEP_2)
	v_and_b32_e32 v0, 7, v48
; %bb.2055:                             ;   in Loop: Header=BB283_1069 Depth=1
	s_or_b32 exec_lo, exec_lo, s17
	s_delay_alu instid0(VALU_DEP_1) | instskip(NEXT) | instid1(VALU_DEP_3)
	v_dual_lshlrev_b32 v6, 8, v6 :: v_dual_lshlrev_b32 v0, 23, v0
	v_lshl_add_u32 v22, v22, 10, 0x2000
	s_delay_alu instid0(VALU_DEP_1) | instskip(NEXT) | instid1(VALU_DEP_1)
	v_and_or_b32 v6, 0x8000, v6, v22
	v_lshl_or_b32 v0, v6, 16, v0
.LBB283_2056:                           ;   in Loop: Header=BB283_1069 Depth=1
	s_or_b32 exec_lo, exec_lo, s16
.LBB283_2057:                           ;   in Loop: Header=BB283_1069 Depth=1
	s_delay_alu instid0(SALU_CYCLE_1)
	s_or_b32 exec_lo, exec_lo, s15
.LBB283_2058:                           ;   in Loop: Header=BB283_1069 Depth=1
	s_delay_alu instid0(SALU_CYCLE_1) | instskip(SKIP_2) | instid1(VALU_DEP_2)
	s_or_b32 exec_lo, exec_lo, s14
	v_dual_lshrrev_b32 v6, 16, v1 :: v_dual_bitop2_b32 v1, v1, v8 bitop3:0x54
	v_dual_lshrrev_b32 v22, 16, v9 :: v_dual_bitop2_b32 v16, v9, v16 bitop3:0x54
	v_cvt_f32_f16_e32 v9, v6
	v_dual_lshrrev_b32 v18, 16, v19 :: v_dual_bitop2_b32 v6, v0, v18 bitop3:0x54
	s_delay_alu instid0(VALU_DEP_3)
	v_cvt_f32_f16_e32 v8, v22
	v_dual_lshrrev_b32 v22, 16, v0 :: v_dual_bitop2_b32 v19, v19, v17 bitop3:0x54
	v_cvt_f32_f16_e32 v0, v16
	v_cvt_f32_f16_e32 v1, v1
	s_wait_loadcnt_dscnt 0x0
	v_pk_mul_f32 v[8:9], v[38:39], v[8:9] op_sel_hi:[0,1]
	v_cvt_f32_f16_e32 v17, v18
	v_cvt_f32_f16_e32 v16, v22
	;; [unrolled: 1-line block ×4, first 2 shown]
	v_pk_mul_f32 v[0:1], v[38:39], v[0:1] op_sel_hi:[0,1]
	v_cvt_pk_f16_f32 v6, v8, v9
	v_pk_mul_f32 v[8:9], v[38:39], v[16:17] op_sel_hi:[0,1]
	s_delay_alu instid0(VALU_DEP_4) | instskip(NEXT) | instid1(VALU_DEP_4)
	v_pk_mul_f32 v[16:17], v[38:39], v[18:19] op_sel_hi:[0,1]
	v_cvt_pk_f16_f32 v0, v0, v1
	s_delay_alu instid0(VALU_DEP_4) | instskip(NEXT) | instid1(VALU_DEP_4)
	v_and_b32_e32 v19, 0xffff0000, v6
	v_cvt_pk_f16_f32 v8, v8, v9
	v_lshlrev_b32_e32 v38, 16, v6
	v_cvt_pk_f16_f32 v6, v16, v17
	v_lshrrev_b32_e32 v51, 16, v0
	v_and_b32_e32 v52, 0xffff, v0
	v_and_b32_e32 v1, 0xffff0000, v8
	s_delay_alu instid0(VALU_DEP_4) | instskip(SKIP_3) | instid1(VALU_DEP_4)
	v_dual_lshlrev_b32 v0, 16, v8 :: v_dual_lshrrev_b32 v9, 16, v6
	v_and_b32_e32 v6, 0xffff, v6
	v_or_b32_e32 v49, v19, v51
	v_or_b32_e32 v50, v38, v52
	;; [unrolled: 1-line block ×3, first 2 shown]
	s_delay_alu instid0(VALU_DEP_4)
	v_or_b32_e32 v48, v0, v6
	s_and_saveexec_b32 s14, vcc_lo
	s_cbranch_execz .LBB283_2060
; %bb.2059:                             ;   in Loop: Header=BB283_1069 Depth=1
	v_cmp_lt_i32_e64 s0, v69, v13
	s_delay_alu instid0(VALU_DEP_1) | instskip(SKIP_1) | instid1(VALU_DEP_1)
	v_cndmask_b32_e64 v8, 0, v51, s0
	v_cmp_lt_i32_e64 s0, v84, v12
	v_cndmask_b32_e64 v16, 0, v52, s0
	v_cmp_lt_i32_e64 s0, v83, v13
	s_delay_alu instid0(VALU_DEP_1) | instskip(SKIP_1) | instid1(VALU_DEP_1)
	v_cndmask_b32_e64 v17, 0, v19, s0
	v_cmp_lt_i32_e64 s0, v82, v12
	v_cndmask_b32_e64 v18, 0, v38, s0
	v_cmp_lt_i32_e64 s0, v81, v13
	s_delay_alu instid0(VALU_DEP_4) | instskip(NEXT) | instid1(VALU_DEP_2)
	v_or_b32_e32 v49, v8, v17
	v_dual_cndmask_b32 v9, 0, v9, s0 :: v_dual_bitop2_b32 v50, v16, v18 bitop3:0x54
	v_cmp_lt_i32_e64 s0, v80, v12
	s_delay_alu instid0(VALU_DEP_1) | instskip(SKIP_1) | instid1(VALU_DEP_1)
	v_cndmask_b32_e64 v6, 0, v6, s0
	v_cmp_lt_i32_e64 s0, v71, v13
	v_cndmask_b32_e64 v1, 0, v1, s0
	v_cmp_lt_i32_e64 s0, v70, v12
	s_delay_alu instid0(VALU_DEP_1) | instskip(NEXT) | instid1(VALU_DEP_1)
	v_dual_cndmask_b32 v0, 0, v0, s0 :: v_dual_bitop2_b32 v39, v9, v1 bitop3:0x54
	v_or_b32_e32 v48, v6, v0
.LBB283_2060:                           ;   in Loop: Header=BB283_1069 Depth=1
	s_or_b32 exec_lo, exec_lo, s14
	;;#ASMSTART
	v_pk_mul_f16 v0, v97, v49;

	;;#ASMEND
	;;#ASMSTART
	v_pk_mul_f16 v1, v87, v50;

	;;#ASMEND
	;; [unrolled: 4-line block ×4, first 2 shown]
	;;#ASMSTART
	v_pk_add_f16 v0, v0, v1;

	;;#ASMEND
	;;#ASMSTART
	v_pk_add_f16 v0, v0, v6;

	;;#ASMEND
	;; [unrolled: 4-line block ×3, first 2 shown]
	v_and_b32_e32 v1, 0xffff, v0
	v_lshrrev_b32_e32 v0, 16, v0
	;;#ASMSTART
	v_cvt_f32_f16 v51, v1;
	;;#ASMEND
	;;#ASMSTART
	v_cvt_f32_f16 v52, v0;
	;;#ASMEND
	flat_load_b64 v[38:39], v[28:29] offset:3840
	scratch_load_b64 v[0:1], off, s32 offset:192 ; 8-byte Folded Reload
	v_mov_b32_e32 v8, 0
	s_mov_b32 s14, exec_lo
	s_wait_loadcnt 0x0
	flat_load_b32 v28, v[0:1]
	s_wait_dscnt 0x1
	s_wait_xcnt 0x0
	v_and_b32_e32 v0, 0xff, v38
	v_mov_b32_e32 v1, 0
	s_delay_alu instid0(VALU_DEP_2)
	v_cmpx_ne_u16_e32 0, v0
	s_cbranch_execz .LBB283_2068
; %bb.2061:                             ;   in Loop: Header=BB283_1069 Depth=1
	v_mov_b32_e32 v8, 0x8000
	s_mov_b32 s15, exec_lo
	v_cmpx_ne_u16_e32 0x80, v0
	s_cbranch_execz .LBB283_2067
; %bb.2062:                             ;   in Loop: Header=BB283_1069 Depth=1
	v_and_b32_e32 v9, 0x7f, v38
	v_mov_b32_e32 v8, 0x7c01
	s_mov_b32 s16, exec_lo
	s_delay_alu instid0(VALU_DEP_2)
	v_cmpx_ne_u32_e32 0x7f, v9
	s_cbranch_execz .LBB283_2066
; %bb.2063:                             ;   in Loop: Header=BB283_1069 Depth=1
	v_dual_lshrrev_b32 v6, 3, v9 :: v_dual_bitop2_b32 v0, 7, v38 bitop3:0x40
	s_mov_b32 s17, exec_lo
	v_cmpx_gt_u32_e32 8, v9
; %bb.2064:                             ;   in Loop: Header=BB283_1069 Depth=1
	s_delay_alu instid0(VALU_DEP_2) | instskip(NEXT) | instid1(VALU_DEP_1)
	v_clz_i32_u32_e32 v0, v0
	v_min_u32_e32 v0, 32, v0
	s_delay_alu instid0(VALU_DEP_1) | instskip(NEXT) | instid1(VALU_DEP_1)
	v_subrev_nc_u32_e32 v6, 28, v0
	v_lshlrev_b64_e32 v[8:9], v6, v[38:39]
	v_sub_nc_u32_e32 v6, 29, v0
	s_delay_alu instid0(VALU_DEP_2)
	v_and_b32_e32 v0, 7, v8
; %bb.2065:                             ;   in Loop: Header=BB283_1069 Depth=1
	s_or_b32 exec_lo, exec_lo, s17
	s_delay_alu instid0(VALU_DEP_1) | instskip(NEXT) | instid1(VALU_DEP_3)
	v_dual_lshlrev_b32 v8, 8, v38 :: v_dual_lshlrev_b32 v0, 7, v0
	v_lshl_add_u32 v6, v6, 10, 0x2000
	s_delay_alu instid0(VALU_DEP_2) | instskip(NEXT) | instid1(VALU_DEP_2)
	v_and_b32_e32 v8, 0x8000, v8
	v_and_b32_e32 v6, 0xfc00, v6
	s_delay_alu instid0(VALU_DEP_1)
	v_or3_b32 v8, v8, v6, v0
.LBB283_2066:                           ;   in Loop: Header=BB283_1069 Depth=1
	s_or_b32 exec_lo, exec_lo, s16
.LBB283_2067:                           ;   in Loop: Header=BB283_1069 Depth=1
	s_delay_alu instid0(SALU_CYCLE_1)
	s_or_b32 exec_lo, exec_lo, s15
.LBB283_2068:                           ;   in Loop: Header=BB283_1069 Depth=1
	s_delay_alu instid0(SALU_CYCLE_1) | instskip(SKIP_2) | instid1(VALU_DEP_1)
	s_or_b32 exec_lo, exec_lo, s14
	v_lshrrev_b16 v6, 8, v38
	s_mov_b32 s14, exec_lo
	v_cmpx_ne_u16_e32 0, v6
	s_cbranch_execz .LBB283_2076
; %bb.2069:                             ;   in Loop: Header=BB283_1069 Depth=1
	v_bfrev_b32_e32 v1, 1
	s_mov_b32 s15, exec_lo
	v_cmpx_ne_u16_e32 0x80, v6
	s_cbranch_execz .LBB283_2075
; %bb.2070:                             ;   in Loop: Header=BB283_1069 Depth=1
	v_and_b32_e32 v0, 0xffff, v6
	v_mov_b32_e32 v1, 0x7c010000
	s_mov_b32 s16, exec_lo
	s_delay_alu instid0(VALU_DEP_2) | instskip(NEXT) | instid1(VALU_DEP_1)
	v_and_b32_e32 v16, 0x7f, v0
	v_cmpx_ne_u32_e32 0x7f, v16
	s_cbranch_execz .LBB283_2074
; %bb.2071:                             ;   in Loop: Header=BB283_1069 Depth=1
	v_and_b32_e32 v1, 7, v0
	v_lshrrev_b32_e32 v9, 3, v16
	s_mov_b32 s17, exec_lo
	v_cmpx_gt_u32_e32 8, v16
; %bb.2072:                             ;   in Loop: Header=BB283_1069 Depth=1
	s_delay_alu instid0(VALU_DEP_3) | instskip(NEXT) | instid1(VALU_DEP_1)
	v_clz_i32_u32_e32 v1, v1
	v_min_u32_e32 v1, 32, v1
	s_delay_alu instid0(VALU_DEP_1) | instskip(NEXT) | instid1(VALU_DEP_1)
	v_subrev_nc_u32_e32 v9, 28, v1
	v_lshlrev_b64_e32 v[16:17], v9, v[6:7]
	s_delay_alu instid0(VALU_DEP_1)
	v_dual_sub_nc_u32 v9, 29, v1 :: v_dual_bitop2_b32 v1, 7, v16 bitop3:0x40
; %bb.2073:                             ;   in Loop: Header=BB283_1069 Depth=1
	s_or_b32 exec_lo, exec_lo, s17
	s_delay_alu instid0(VALU_DEP_1) | instskip(NEXT) | instid1(VALU_DEP_2)
	v_dual_lshlrev_b32 v0, 8, v0 :: v_dual_lshlrev_b32 v1, 23, v1
	v_lshl_add_u32 v6, v9, 10, 0x2000
	s_delay_alu instid0(VALU_DEP_1) | instskip(NEXT) | instid1(VALU_DEP_1)
	v_and_or_b32 v0, 0x8000, v0, v6
	v_lshl_or_b32 v1, v0, 16, v1
.LBB283_2074:                           ;   in Loop: Header=BB283_1069 Depth=1
	s_or_b32 exec_lo, exec_lo, s16
.LBB283_2075:                           ;   in Loop: Header=BB283_1069 Depth=1
	s_delay_alu instid0(SALU_CYCLE_1)
	s_or_b32 exec_lo, exec_lo, s15
.LBB283_2076:                           ;   in Loop: Header=BB283_1069 Depth=1
	s_delay_alu instid0(SALU_CYCLE_1) | instskip(SKIP_3) | instid1(VALU_DEP_2)
	s_or_b32 exec_lo, exec_lo, s14
	v_dual_mov_b32 v9, 0 :: v_dual_lshrrev_b32 v0, 16, v38
	v_mov_b32_e32 v16, 0
	s_mov_b32 s14, exec_lo
	v_and_b32_e32 v6, 0xff, v0
	s_delay_alu instid0(VALU_DEP_1)
	v_cmpx_ne_u16_e32 0, v6
	s_cbranch_execz .LBB283_2084
; %bb.2077:                             ;   in Loop: Header=BB283_1069 Depth=1
	v_mov_b32_e32 v16, 0x8000
	s_mov_b32 s15, exec_lo
	v_cmpx_ne_u16_e32 0x80, v6
	s_cbranch_execz .LBB283_2083
; %bb.2078:                             ;   in Loop: Header=BB283_1069 Depth=1
	v_bfe_u32 v17, v38, 16, 7
	v_mov_b32_e32 v16, 0x7c01
	s_mov_b32 s16, exec_lo
	s_delay_alu instid0(VALU_DEP_2)
	v_cmpx_ne_u32_e32 0x7f, v17
	s_cbranch_execz .LBB283_2082
; %bb.2079:                             ;   in Loop: Header=BB283_1069 Depth=1
	v_dual_lshrrev_b32 v16, 3, v17 :: v_dual_bitop2_b32 v6, 7, v0 bitop3:0x40
	s_mov_b32 s17, exec_lo
	v_cmpx_gt_u32_e32 8, v17
; %bb.2080:                             ;   in Loop: Header=BB283_1069 Depth=1
	s_delay_alu instid0(VALU_DEP_2) | instskip(NEXT) | instid1(VALU_DEP_1)
	v_clz_i32_u32_e32 v6, v6
	v_min_u32_e32 v6, 32, v6
	s_delay_alu instid0(VALU_DEP_1) | instskip(NEXT) | instid1(VALU_DEP_1)
	v_subrev_nc_u32_e32 v16, 28, v6
	v_lshlrev_b64_e32 v[18:19], v16, v[0:1]
	v_sub_nc_u32_e32 v16, 29, v6
	s_delay_alu instid0(VALU_DEP_2)
	v_and_b32_e32 v6, 7, v18
; %bb.2081:                             ;   in Loop: Header=BB283_1069 Depth=1
	s_or_b32 exec_lo, exec_lo, s17
	s_delay_alu instid0(VALU_DEP_1) | instskip(NEXT) | instid1(VALU_DEP_3)
	v_dual_lshlrev_b32 v0, 8, v0 :: v_dual_lshlrev_b32 v6, 7, v6
	v_lshl_add_u32 v16, v16, 10, 0x2000
	s_delay_alu instid0(VALU_DEP_2) | instskip(NEXT) | instid1(VALU_DEP_2)
	v_and_b32_e32 v0, 0x8000, v0
	v_and_b32_e32 v16, 0xfc00, v16
	s_delay_alu instid0(VALU_DEP_1)
	v_or3_b32 v16, v0, v16, v6
.LBB283_2082:                           ;   in Loop: Header=BB283_1069 Depth=1
	s_or_b32 exec_lo, exec_lo, s16
.LBB283_2083:                           ;   in Loop: Header=BB283_1069 Depth=1
	s_delay_alu instid0(SALU_CYCLE_1)
	s_or_b32 exec_lo, exec_lo, s15
.LBB283_2084:                           ;   in Loop: Header=BB283_1069 Depth=1
	s_delay_alu instid0(SALU_CYCLE_1) | instskip(NEXT) | instid1(SALU_CYCLE_1)
	s_or_b32 exec_lo, exec_lo, s14
	s_mov_b32 s14, exec_lo
	v_cmpx_lt_u32_e32 0xffffff, v38
	s_cbranch_execz .LBB283_2092
; %bb.2085:                             ;   in Loop: Header=BB283_1069 Depth=1
	v_lshrrev_b32_e32 v6, 24, v38
	v_bfrev_b32_e32 v9, 1
	s_mov_b32 s15, exec_lo
	s_delay_alu instid0(VALU_DEP_2)
	v_cmpx_ne_u32_e32 0x80, v6
	s_cbranch_execz .LBB283_2091
; %bb.2086:                             ;   in Loop: Header=BB283_1069 Depth=1
	v_and_b32_e32 v17, 0x7f, v6
	v_mov_b32_e32 v9, 0x7c010000
	s_mov_b32 s16, exec_lo
	s_delay_alu instid0(VALU_DEP_2)
	v_cmpx_ne_u32_e32 0x7f, v17
	s_cbranch_execz .LBB283_2090
; %bb.2087:                             ;   in Loop: Header=BB283_1069 Depth=1
	v_dual_lshrrev_b32 v9, 3, v17 :: v_dual_bitop2_b32 v0, 7, v6 bitop3:0x40
	s_mov_b32 s17, exec_lo
	v_cmpx_gt_u32_e32 8, v17
; %bb.2088:                             ;   in Loop: Header=BB283_1069 Depth=1
	s_delay_alu instid0(VALU_DEP_2) | instskip(NEXT) | instid1(VALU_DEP_1)
	v_clz_i32_u32_e32 v0, v0
	v_min_u32_e32 v0, 32, v0
	s_delay_alu instid0(VALU_DEP_1) | instskip(NEXT) | instid1(VALU_DEP_1)
	v_subrev_nc_u32_e32 v9, 28, v0
	v_lshlrev_b64_e32 v[18:19], v9, v[6:7]
	s_delay_alu instid0(VALU_DEP_1)
	v_dual_sub_nc_u32 v9, 29, v0 :: v_dual_bitop2_b32 v0, 7, v18 bitop3:0x40
; %bb.2089:                             ;   in Loop: Header=BB283_1069 Depth=1
	s_or_b32 exec_lo, exec_lo, s17
	s_delay_alu instid0(VALU_DEP_1) | instskip(NEXT) | instid1(VALU_DEP_2)
	v_dual_lshlrev_b32 v6, 8, v6 :: v_dual_lshlrev_b32 v0, 23, v0
	v_lshl_add_u32 v9, v9, 10, 0x2000
	s_delay_alu instid0(VALU_DEP_1) | instskip(NEXT) | instid1(VALU_DEP_1)
	v_and_or_b32 v6, 0x8000, v6, v9
	v_lshl_or_b32 v9, v6, 16, v0
.LBB283_2090:                           ;   in Loop: Header=BB283_1069 Depth=1
	s_or_b32 exec_lo, exec_lo, s16
.LBB283_2091:                           ;   in Loop: Header=BB283_1069 Depth=1
	s_delay_alu instid0(SALU_CYCLE_1)
	s_or_b32 exec_lo, exec_lo, s15
.LBB283_2092:                           ;   in Loop: Header=BB283_1069 Depth=1
	s_delay_alu instid0(SALU_CYCLE_1) | instskip(SKIP_4) | instid1(VALU_DEP_3)
	s_or_b32 exec_lo, exec_lo, s14
	v_and_b32_e32 v0, 0xff, v39
	v_dual_mov_b32 v6, v39 :: v_dual_mov_b32 v18, 0
	v_mov_b32_e32 v17, 0
	s_mov_b32 s14, exec_lo
	v_cmpx_ne_u16_e32 0, v0
	s_cbranch_execz .LBB283_2100
; %bb.2093:                             ;   in Loop: Header=BB283_1069 Depth=1
	v_mov_b32_e32 v17, 0x8000
	s_mov_b32 s15, exec_lo
	v_cmpx_ne_u16_e32 0x80, v0
	s_cbranch_execz .LBB283_2099
; %bb.2094:                             ;   in Loop: Header=BB283_1069 Depth=1
	v_and_b32_e32 v19, 0x7f, v39
	v_mov_b32_e32 v17, 0x7c01
	s_mov_b32 s16, exec_lo
	s_delay_alu instid0(VALU_DEP_2)
	v_cmpx_ne_u32_e32 0x7f, v19
	s_cbranch_execz .LBB283_2098
; %bb.2095:                             ;   in Loop: Header=BB283_1069 Depth=1
	v_and_b32_e32 v0, 7, v39
	v_lshrrev_b32_e32 v17, 3, v19
	s_mov_b32 s17, exec_lo
	v_cmpx_gt_u32_e32 8, v19
; %bb.2096:                             ;   in Loop: Header=BB283_1069 Depth=1
	s_delay_alu instid0(VALU_DEP_3) | instskip(NEXT) | instid1(VALU_DEP_1)
	v_clz_i32_u32_e32 v0, v0
	v_min_u32_e32 v0, 32, v0
	s_delay_alu instid0(VALU_DEP_1) | instskip(NEXT) | instid1(VALU_DEP_1)
	v_subrev_nc_u32_e32 v17, 28, v0
	v_lshlrev_b64_e32 v[22:23], v17, v[6:7]
	s_delay_alu instid0(VALU_DEP_1)
	v_dual_sub_nc_u32 v17, 29, v0 :: v_dual_bitop2_b32 v0, 7, v22 bitop3:0x40
; %bb.2097:                             ;   in Loop: Header=BB283_1069 Depth=1
	s_or_b32 exec_lo, exec_lo, s17
	s_delay_alu instid0(VALU_DEP_1) | instskip(NEXT) | instid1(VALU_DEP_2)
	v_dual_lshlrev_b32 v19, 8, v39 :: v_dual_lshlrev_b32 v0, 7, v0
	v_lshl_add_u32 v17, v17, 10, 0x2000
	s_delay_alu instid0(VALU_DEP_2) | instskip(NEXT) | instid1(VALU_DEP_2)
	v_and_b32_e32 v19, 0x8000, v19
	v_and_b32_e32 v17, 0xfc00, v17
	s_delay_alu instid0(VALU_DEP_1)
	v_or3_b32 v17, v19, v17, v0
.LBB283_2098:                           ;   in Loop: Header=BB283_1069 Depth=1
	s_or_b32 exec_lo, exec_lo, s16
.LBB283_2099:                           ;   in Loop: Header=BB283_1069 Depth=1
	s_delay_alu instid0(SALU_CYCLE_1)
	s_or_b32 exec_lo, exec_lo, s15
.LBB283_2100:                           ;   in Loop: Header=BB283_1069 Depth=1
	s_delay_alu instid0(SALU_CYCLE_1) | instskip(SKIP_3) | instid1(VALU_DEP_2)
	s_or_b32 exec_lo, exec_lo, s14
	v_lshrrev_b16 v6, 8, v6
	v_mov_b32_e32 v19, 0
	s_mov_b32 s14, exec_lo
	v_cmpx_ne_u16_e32 0, v6
	s_cbranch_execz .LBB283_2108
; %bb.2101:                             ;   in Loop: Header=BB283_1069 Depth=1
	v_bfrev_b32_e32 v19, 1
	s_mov_b32 s15, exec_lo
	v_cmpx_ne_u16_e32 0x80, v6
	s_cbranch_execz .LBB283_2107
; %bb.2102:                             ;   in Loop: Header=BB283_1069 Depth=1
	v_and_b32_e32 v0, 0xffff, v6
	v_mov_b32_e32 v19, 0x7c010000
	s_mov_b32 s16, exec_lo
	s_delay_alu instid0(VALU_DEP_2) | instskip(NEXT) | instid1(VALU_DEP_1)
	v_and_b32_e32 v23, 0x7f, v0
	v_cmpx_ne_u32_e32 0x7f, v23
	s_cbranch_execz .LBB283_2106
; %bb.2103:                             ;   in Loop: Header=BB283_1069 Depth=1
	v_dual_lshrrev_b32 v22, 3, v23 :: v_dual_bitop2_b32 v19, 7, v0 bitop3:0x40
	s_mov_b32 s17, exec_lo
	v_cmpx_gt_u32_e32 8, v23
; %bb.2104:                             ;   in Loop: Header=BB283_1069 Depth=1
	s_delay_alu instid0(VALU_DEP_2) | instskip(NEXT) | instid1(VALU_DEP_1)
	v_clz_i32_u32_e32 v19, v19
	v_min_u32_e32 v19, 32, v19
	s_delay_alu instid0(VALU_DEP_1) | instskip(NEXT) | instid1(VALU_DEP_1)
	v_subrev_nc_u32_e32 v22, 28, v19
	v_lshlrev_b64_e32 v[48:49], v22, v[6:7]
	s_delay_alu instid0(VALU_DEP_1)
	v_dual_sub_nc_u32 v22, 29, v19 :: v_dual_bitop2_b32 v19, 7, v48 bitop3:0x40
; %bb.2105:                             ;   in Loop: Header=BB283_1069 Depth=1
	s_or_b32 exec_lo, exec_lo, s17
	v_lshlrev_b32_e32 v0, 8, v0
	s_delay_alu instid0(VALU_DEP_2) | instskip(NEXT) | instid1(VALU_DEP_1)
	v_lshl_add_u32 v6, v22, 10, 0x2000
	v_and_or_b32 v0, 0x8000, v0, v6
	v_lshlrev_b32_e32 v6, 23, v19
	s_delay_alu instid0(VALU_DEP_1)
	v_lshl_or_b32 v19, v0, 16, v6
.LBB283_2106:                           ;   in Loop: Header=BB283_1069 Depth=1
	s_or_b32 exec_lo, exec_lo, s16
.LBB283_2107:                           ;   in Loop: Header=BB283_1069 Depth=1
	s_delay_alu instid0(SALU_CYCLE_1)
	s_or_b32 exec_lo, exec_lo, s15
.LBB283_2108:                           ;   in Loop: Header=BB283_1069 Depth=1
	s_delay_alu instid0(SALU_CYCLE_1) | instskip(SKIP_2) | instid1(VALU_DEP_1)
	s_or_b32 exec_lo, exec_lo, s14
	v_lshrrev_b32_e32 v0, 16, v39
	s_mov_b32 s14, exec_lo
	v_and_b32_e32 v6, 0xff, v0
	s_delay_alu instid0(VALU_DEP_1)
	v_cmpx_ne_u16_e32 0, v6
	s_cbranch_execz .LBB283_2116
; %bb.2109:                             ;   in Loop: Header=BB283_1069 Depth=1
	v_mov_b32_e32 v18, 0x8000
	s_mov_b32 s15, exec_lo
	v_cmpx_ne_u16_e32 0x80, v6
	s_cbranch_execz .LBB283_2115
; %bb.2110:                             ;   in Loop: Header=BB283_1069 Depth=1
	v_bfe_u32 v22, v39, 16, 7
	v_mov_b32_e32 v18, 0x7c01
	s_mov_b32 s16, exec_lo
	s_delay_alu instid0(VALU_DEP_2)
	v_cmpx_ne_u32_e32 0x7f, v22
	s_cbranch_execz .LBB283_2114
; %bb.2111:                             ;   in Loop: Header=BB283_1069 Depth=1
	v_dual_lshrrev_b32 v18, 3, v22 :: v_dual_bitop2_b32 v6, 7, v0 bitop3:0x40
	s_mov_b32 s17, exec_lo
	v_cmpx_gt_u32_e32 8, v22
; %bb.2112:                             ;   in Loop: Header=BB283_1069 Depth=1
	s_delay_alu instid0(VALU_DEP_2) | instskip(NEXT) | instid1(VALU_DEP_1)
	v_clz_i32_u32_e32 v6, v6
	v_min_u32_e32 v6, 32, v6
	s_delay_alu instid0(VALU_DEP_1) | instskip(NEXT) | instid1(VALU_DEP_1)
	v_subrev_nc_u32_e32 v18, 28, v6
	v_lshlrev_b64_e32 v[22:23], v18, v[0:1]
	v_sub_nc_u32_e32 v18, 29, v6
	s_delay_alu instid0(VALU_DEP_2)
	v_and_b32_e32 v6, 7, v22
; %bb.2113:                             ;   in Loop: Header=BB283_1069 Depth=1
	s_or_b32 exec_lo, exec_lo, s17
	s_delay_alu instid0(VALU_DEP_1) | instskip(NEXT) | instid1(VALU_DEP_3)
	v_dual_lshlrev_b32 v0, 8, v0 :: v_dual_lshlrev_b32 v6, 7, v6
	v_lshl_add_u32 v18, v18, 10, 0x2000
	s_delay_alu instid0(VALU_DEP_2) | instskip(NEXT) | instid1(VALU_DEP_2)
	v_and_b32_e32 v0, 0x8000, v0
	v_and_b32_e32 v18, 0xfc00, v18
	s_delay_alu instid0(VALU_DEP_1)
	v_or3_b32 v18, v0, v18, v6
.LBB283_2114:                           ;   in Loop: Header=BB283_1069 Depth=1
	s_or_b32 exec_lo, exec_lo, s16
.LBB283_2115:                           ;   in Loop: Header=BB283_1069 Depth=1
	s_delay_alu instid0(SALU_CYCLE_1)
	s_or_b32 exec_lo, exec_lo, s15
.LBB283_2116:                           ;   in Loop: Header=BB283_1069 Depth=1
	s_delay_alu instid0(SALU_CYCLE_1)
	s_or_b32 exec_lo, exec_lo, s14
	v_mov_b32_e32 v0, 0
	s_mov_b32 s14, exec_lo
	v_cmpx_lt_u64_e64 s[2:3], v[38:39]
	s_cbranch_execz .LBB283_2124
; %bb.2117:                             ;   in Loop: Header=BB283_1069 Depth=1
	v_lshrrev_b32_e32 v6, 24, v39
	v_bfrev_b32_e32 v0, 1
	s_mov_b32 s15, exec_lo
	s_delay_alu instid0(VALU_DEP_2)
	v_cmpx_ne_u32_e32 0x80, v6
	s_cbranch_execz .LBB283_2123
; %bb.2118:                             ;   in Loop: Header=BB283_1069 Depth=1
	v_and_b32_e32 v23, 0x7f, v6
	v_mov_b32_e32 v0, 0x7c010000
	s_mov_b32 s16, exec_lo
	s_delay_alu instid0(VALU_DEP_2)
	v_cmpx_ne_u32_e32 0x7f, v23
	s_cbranch_execz .LBB283_2122
; %bb.2119:                             ;   in Loop: Header=BB283_1069 Depth=1
	v_dual_lshrrev_b32 v22, 3, v23 :: v_dual_bitop2_b32 v0, 7, v6 bitop3:0x40
	s_mov_b32 s17, exec_lo
	v_cmpx_gt_u32_e32 8, v23
; %bb.2120:                             ;   in Loop: Header=BB283_1069 Depth=1
	s_delay_alu instid0(VALU_DEP_2) | instskip(NEXT) | instid1(VALU_DEP_1)
	v_clz_i32_u32_e32 v0, v0
	v_min_u32_e32 v0, 32, v0
	s_delay_alu instid0(VALU_DEP_1) | instskip(NEXT) | instid1(VALU_DEP_1)
	v_subrev_nc_u32_e32 v22, 28, v0
	v_lshlrev_b64_e32 v[38:39], v22, v[6:7]
	s_delay_alu instid0(VALU_DEP_1)
	v_dual_sub_nc_u32 v22, 29, v0 :: v_dual_bitop2_b32 v0, 7, v38 bitop3:0x40
; %bb.2121:                             ;   in Loop: Header=BB283_1069 Depth=1
	s_or_b32 exec_lo, exec_lo, s17
	s_delay_alu instid0(VALU_DEP_1) | instskip(NEXT) | instid1(VALU_DEP_2)
	v_dual_lshlrev_b32 v6, 8, v6 :: v_dual_lshlrev_b32 v0, 23, v0
	v_lshl_add_u32 v22, v22, 10, 0x2000
	s_delay_alu instid0(VALU_DEP_1) | instskip(NEXT) | instid1(VALU_DEP_1)
	v_and_or_b32 v6, 0x8000, v6, v22
	v_lshl_or_b32 v0, v6, 16, v0
.LBB283_2122:                           ;   in Loop: Header=BB283_1069 Depth=1
	s_or_b32 exec_lo, exec_lo, s16
.LBB283_2123:                           ;   in Loop: Header=BB283_1069 Depth=1
	s_delay_alu instid0(SALU_CYCLE_1)
	s_or_b32 exec_lo, exec_lo, s15
.LBB283_2124:                           ;   in Loop: Header=BB283_1069 Depth=1
	s_delay_alu instid0(SALU_CYCLE_1) | instskip(SKIP_2) | instid1(VALU_DEP_2)
	s_or_b32 exec_lo, exec_lo, s14
	v_dual_lshrrev_b32 v6, 16, v1 :: v_dual_bitop2_b32 v1, v1, v8 bitop3:0x54
	v_dual_lshrrev_b32 v22, 16, v9 :: v_dual_bitop2_b32 v16, v9, v16 bitop3:0x54
	v_cvt_f32_f16_e32 v9, v6
	v_dual_lshrrev_b32 v18, 16, v19 :: v_dual_bitop2_b32 v6, v0, v18 bitop3:0x54
	s_delay_alu instid0(VALU_DEP_3)
	v_cvt_f32_f16_e32 v8, v22
	v_dual_lshrrev_b32 v22, 16, v0 :: v_dual_bitop2_b32 v19, v19, v17 bitop3:0x54
	v_cvt_f32_f16_e32 v0, v16
	v_cvt_f32_f16_e32 v1, v1
	s_wait_loadcnt_dscnt 0x0
	v_pk_mul_f32 v[8:9], v[28:29], v[8:9] op_sel_hi:[0,1]
	v_cvt_f32_f16_e32 v17, v18
	v_cvt_f32_f16_e32 v16, v22
	v_cvt_f32_f16_e32 v18, v6
	v_cvt_f32_f16_e32 v19, v19
	v_pk_mul_f32 v[0:1], v[28:29], v[0:1] op_sel_hi:[0,1]
	v_cvt_pk_f16_f32 v6, v8, v9
	v_pk_mul_f32 v[8:9], v[28:29], v[16:17] op_sel_hi:[0,1]
	s_delay_alu instid0(VALU_DEP_4) | instskip(NEXT) | instid1(VALU_DEP_4)
	v_pk_mul_f32 v[16:17], v[28:29], v[18:19] op_sel_hi:[0,1]
	v_cvt_pk_f16_f32 v0, v0, v1
	s_delay_alu instid0(VALU_DEP_4) | instskip(NEXT) | instid1(VALU_DEP_4)
	v_and_b32_e32 v39, 0xffff0000, v6
	v_cvt_pk_f16_f32 v1, v8, v9
	v_lshlrev_b32_e32 v48, 16, v6
	v_cvt_pk_f16_f32 v6, v16, v17
	v_lshrrev_b32_e32 v49, 16, v0
	v_and_b32_e32 v50, 0xffff, v0
	v_and_b32_e32 v19, 0xffff0000, v1
	s_delay_alu instid0(VALU_DEP_4) | instskip(SKIP_3) | instid1(VALU_DEP_4)
	v_dual_lshlrev_b32 v28, 16, v1 :: v_dual_lshrrev_b32 v29, 16, v6
	v_and_b32_e32 v38, 0xffff, v6
	v_or_b32_e32 v9, v39, v49
	v_or_b32_e32 v6, v48, v50
	;; [unrolled: 1-line block ×3, first 2 shown]
	s_delay_alu instid0(VALU_DEP_4)
	v_or_b32_e32 v0, v28, v38
	s_and_saveexec_b32 s0, vcc_lo
	s_cbranch_execz .LBB283_1067
; %bb.2125:                             ;   in Loop: Header=BB283_1069 Depth=1
	v_cmp_lt_i32_e32 vcc_lo, v69, v13
	v_cndmask_b32_e32 v0, 0, v49, vcc_lo
	v_cmp_lt_i32_e32 vcc_lo, v84, v12
	v_cndmask_b32_e32 v1, 0, v50, vcc_lo
	;; [unrolled: 2-line block ×4, first 2 shown]
	v_cmp_lt_i32_e32 vcc_lo, v81, v13
	s_delay_alu instid0(VALU_DEP_4) | instskip(NEXT) | instid1(VALU_DEP_3)
	v_or_b32_e32 v9, v0, v6
	v_dual_cndmask_b32 v16, 0, v29, vcc_lo :: v_dual_bitop2_b32 v6, v1, v8 bitop3:0x54
	v_cmp_lt_i32_e32 vcc_lo, v80, v12
	v_cndmask_b32_e32 v17, 0, v38, vcc_lo
	v_cmp_lt_i32_e32 vcc_lo, v71, v13
	v_cndmask_b32_e32 v18, 0, v19, vcc_lo
	v_cmp_lt_i32_e32 vcc_lo, v70, v12
	s_delay_alu instid0(VALU_DEP_2) | instskip(NEXT) | instid1(VALU_DEP_1)
	v_dual_cndmask_b32 v19, 0, v28, vcc_lo :: v_dual_bitop2_b32 v1, v16, v18 bitop3:0x54
	v_or_b32_e32 v0, v17, v19
	s_branch .LBB283_1067
.LBB283_2126:
	s_or_b32 exec_lo, exec_lo, s8
.LBB283_2127:
	s_delay_alu instid0(SALU_CYCLE_1)
	s_or_b32 exec_lo, exec_lo, s1
	ds_bpermute_b32 v10, v54, v34
	ds_bpermute_b32 v11, v54, v35
	;; [unrolled: 1-line block ×10, first 2 shown]
	s_wait_dscnt 0x0
	s_barrier_signal -1
	s_barrier_wait -1
	ds_bpermute_b32 v6, v54, v30
	ds_bpermute_b32 v7, v54, v31
	;; [unrolled: 1-line block ×6, first 2 shown]
	s_load_b32 s0, s[6:7], 0x0
	v_pk_add_f32 v[26:27], v[34:35], v[10:11]
	s_mov_b32 s1, exec_lo
	v_pk_add_f32 v[20:21], v[20:21], v[14:15]
	v_pk_add_f32 v[34:35], v[4:5], v[16:17]
	;; [unrolled: 1-line block ×4, first 2 shown]
	ds_bpermute_b32 v2, v53, v20
	ds_bpermute_b32 v3, v53, v21
	;; [unrolled: 1-line block ×5, first 2 shown]
	s_wait_dscnt 0x9
	v_pk_add_f32 v[6:7], v[30:31], v[6:7]
	ds_bpermute_b32 v11, v53, v23
	s_wait_dscnt 0x8
	v_pk_add_f32 v[8:9], v[32:33], v[8:9]
	ds_bpermute_b32 v30, v53, v26
	;; [unrolled: 3-line block ×3, first 2 shown]
	ds_bpermute_b32 v13, v53, v7
	ds_bpermute_b32 v28, v53, v8
	;; [unrolled: 1-line block ×8, first 2 shown]
	s_wait_dscnt 0xe
	v_pk_add_f32 v[4:5], v[20:21], v[2:3]
	s_wait_dscnt 0xc
	v_pk_add_f32 v[2:3], v[34:35], v[18:19]
	scratch_load_b32 v18, off, s32 offset:376 ; 4-byte Folded Reload
	s_wait_dscnt 0xa
	v_pk_add_f32 v[14:15], v[22:23], v[10:11]
	v_and_b32_e32 v22, 0x3c3, v61
	s_wait_dscnt 0x7
	v_pk_add_f32 v[12:13], v[6:7], v[12:13]
	s_wait_dscnt 0x5
	v_pk_add_f32 v[10:11], v[8:9], v[28:29]
	;; [unrolled: 2-line block ×4, first 2 shown]
	s_wait_loadcnt 0x0
	v_and_b32_e32 v18, 28, v18
	v_cmpx_ne_u32_e32 64, v22
	s_xor_b32 s1, exec_lo, s1
	s_delay_alu instid0(SALU_CYCLE_1)
	s_or_saveexec_b32 s1, s1
	s_wait_dscnt 0x0
	v_pk_add_f32 v[16:17], v[0:1], v[16:17]
	scratch_load_b32 v0, off, s32 offset:376 th:TH_LOAD_LU ; 4-byte Folded Reload
	s_wait_kmcnt 0x0
	v_add_nc_u32_e32 v1, s0, v18
	scratch_load_b32 v18, off, s32 offset:408 th:TH_LOAD_LU ; 4-byte Folded Reload
	s_wait_loadcnt 0x0
	v_dual_lshrrev_b32 v0, 2, v0 :: v_dual_lshlrev_b32 v18, 9, v18
	s_xor_b32 exec_lo, exec_lo, s1
	s_cbranch_execz .LBB283_2129
; %bb.2128:
	s_delay_alu instid0(VALU_DEP_1) | instskip(NEXT) | instid1(VALU_DEP_1)
	v_add_nc_u32_e32 v19, v1, v18
	v_add_nc_u32_e32 v20, 0xfffffc00, v19
	;; [unrolled: 1-line block ×9, first 2 shown]
	ds_store_b32 v20, v14
	ds_store_b32 v21, v15
	;; [unrolled: 1-line block ×8, first 2 shown]
	v_add_nc_u32_e32 v20, 0xfffffd00, v19
	v_add_nc_u32_e32 v21, 0xfffffd20, v19
	v_add_nc_u32_e32 v22, 0xfffffd40, v19
	v_add_nc_u32_e32 v23, 0xfffffd60, v19
	v_add_nc_u32_e32 v24, 0xfffffd80, v19
	v_add_nc_u32_e32 v25, 0xfffffda0, v19
	v_add_nc_u32_e32 v26, 0xfffffdc0, v19
	v_add_nc_u32_e32 v19, 0xfffffde0, v19
	ds_store_b32 v20, v6
	ds_store_b32 v21, v7
	;; [unrolled: 1-line block ×8, first 2 shown]
.LBB283_2129:
	s_or_b32 exec_lo, exec_lo, s1
	s_delay_alu instid0(VALU_DEP_1)
	v_lshlrev_b32_e32 v0, 2, v0
	s_mov_b32 s1, exec_lo
	v_cmp_eq_u32_e32 vcc_lo, 0, v55
	s_wait_dscnt 0x0
	s_barrier_signal -1
	v_add3_u32 v0, s0, v18, v0
	s_barrier_wait -1
	v_cmpx_gt_u32_e32 64, v61
	s_cbranch_execz .LBB283_2148
; %bb.2130:
	s_and_saveexec_b32 s0, vcc_lo
	s_cbranch_execnz .LBB283_2172
; %bb.2131:
	s_or_b32 exec_lo, exec_lo, s0
	s_and_saveexec_b32 s0, vcc_lo
	s_cbranch_execnz .LBB283_2173
.LBB283_2132:
	s_or_b32 exec_lo, exec_lo, s0
	s_and_saveexec_b32 s0, vcc_lo
	s_cbranch_execnz .LBB283_2174
.LBB283_2133:
	s_or_b32 exec_lo, exec_lo, s0
	s_and_saveexec_b32 s0, vcc_lo
	s_cbranch_execnz .LBB283_2175
.LBB283_2134:
	s_or_b32 exec_lo, exec_lo, s0
	s_and_saveexec_b32 s0, vcc_lo
	s_cbranch_execnz .LBB283_2176
.LBB283_2135:
	s_or_b32 exec_lo, exec_lo, s0
	s_and_saveexec_b32 s0, vcc_lo
	s_cbranch_execnz .LBB283_2177
.LBB283_2136:
	s_or_b32 exec_lo, exec_lo, s0
	s_and_saveexec_b32 s0, vcc_lo
	s_cbranch_execnz .LBB283_2178
.LBB283_2137:
	s_or_b32 exec_lo, exec_lo, s0
	s_and_saveexec_b32 s0, vcc_lo
	s_cbranch_execnz .LBB283_2179
.LBB283_2138:
	s_or_b32 exec_lo, exec_lo, s0
	s_and_saveexec_b32 s0, vcc_lo
	s_cbranch_execnz .LBB283_2180
.LBB283_2139:
	s_or_b32 exec_lo, exec_lo, s0
	s_and_saveexec_b32 s0, vcc_lo
	s_cbranch_execnz .LBB283_2181
.LBB283_2140:
	s_or_b32 exec_lo, exec_lo, s0
	s_and_saveexec_b32 s0, vcc_lo
	s_cbranch_execnz .LBB283_2182
.LBB283_2141:
	s_or_b32 exec_lo, exec_lo, s0
	s_and_saveexec_b32 s0, vcc_lo
	s_cbranch_execnz .LBB283_2183
.LBB283_2142:
	s_or_b32 exec_lo, exec_lo, s0
	s_and_saveexec_b32 s0, vcc_lo
	s_cbranch_execnz .LBB283_2184
.LBB283_2143:
	s_or_b32 exec_lo, exec_lo, s0
	s_and_saveexec_b32 s0, vcc_lo
	s_cbranch_execnz .LBB283_2185
.LBB283_2144:
	s_or_b32 exec_lo, exec_lo, s0
	s_and_saveexec_b32 s0, vcc_lo
	s_cbranch_execnz .LBB283_2186
.LBB283_2145:
	s_or_b32 exec_lo, exec_lo, s0
	s_and_saveexec_b32 s0, vcc_lo
	s_cbranch_execz .LBB283_2147
.LBB283_2146:
	ds_load_b32 v18, v0 offset:480
	s_wait_dscnt 0x0
	v_add_f32_e32 v17, v18, v17
.LBB283_2147:
	s_or_b32 exec_lo, exec_lo, s0
.LBB283_2148:
	s_delay_alu instid0(SALU_CYCLE_1) | instskip(SKIP_4) | instid1(VALU_DEP_1)
	s_or_b32 exec_lo, exec_lo, s1
	v_and_b32_e32 v18, 0x3e3, v61
	s_mov_b32 s1, exec_lo
	s_barrier_signal -1
	s_barrier_wait -1
	v_cmpx_eq_u32_e32 32, v18
	s_cbranch_execz .LBB283_2150
; %bb.2149:
	ds_store_2addr_b32 v1, v14, v15 offset1:8
	ds_store_2addr_b32 v1, v12, v13 offset0:16 offset1:24
	ds_store_2addr_b32 v1, v10, v11 offset0:32 offset1:40
	;; [unrolled: 1-line block ×7, first 2 shown]
.LBB283_2150:
	s_or_b32 exec_lo, exec_lo, s1
	s_delay_alu instid0(SALU_CYCLE_1)
	s_mov_b32 s1, exec_lo
	s_wait_dscnt 0x0
	s_barrier_signal -1
	s_barrier_wait -1
	v_cmpx_gt_u32_e32 32, v61
	s_cbranch_execz .LBB283_2169
; %bb.2151:
	s_and_saveexec_b32 s0, vcc_lo
	s_cbranch_execnz .LBB283_2187
; %bb.2152:
	s_or_b32 exec_lo, exec_lo, s0
	s_and_saveexec_b32 s0, vcc_lo
	s_cbranch_execnz .LBB283_2188
.LBB283_2153:
	s_or_b32 exec_lo, exec_lo, s0
	s_and_saveexec_b32 s0, vcc_lo
	s_cbranch_execnz .LBB283_2189
.LBB283_2154:
	s_or_b32 exec_lo, exec_lo, s0
	s_and_saveexec_b32 s0, vcc_lo
	s_cbranch_execnz .LBB283_2190
.LBB283_2155:
	s_or_b32 exec_lo, exec_lo, s0
	s_and_saveexec_b32 s0, vcc_lo
	s_cbranch_execnz .LBB283_2191
.LBB283_2156:
	s_or_b32 exec_lo, exec_lo, s0
	s_and_saveexec_b32 s0, vcc_lo
	s_cbranch_execnz .LBB283_2192
.LBB283_2157:
	s_or_b32 exec_lo, exec_lo, s0
	s_and_saveexec_b32 s0, vcc_lo
	s_cbranch_execnz .LBB283_2193
.LBB283_2158:
	s_or_b32 exec_lo, exec_lo, s0
	s_and_saveexec_b32 s0, vcc_lo
	s_cbranch_execnz .LBB283_2194
.LBB283_2159:
	s_or_b32 exec_lo, exec_lo, s0
	s_and_saveexec_b32 s0, vcc_lo
	s_cbranch_execnz .LBB283_2195
.LBB283_2160:
	s_or_b32 exec_lo, exec_lo, s0
	s_and_saveexec_b32 s0, vcc_lo
	s_cbranch_execnz .LBB283_2196
.LBB283_2161:
	s_or_b32 exec_lo, exec_lo, s0
	s_and_saveexec_b32 s0, vcc_lo
	s_cbranch_execnz .LBB283_2197
.LBB283_2162:
	s_or_b32 exec_lo, exec_lo, s0
	s_and_saveexec_b32 s0, vcc_lo
	s_cbranch_execnz .LBB283_2198
.LBB283_2163:
	s_or_b32 exec_lo, exec_lo, s0
	s_and_saveexec_b32 s0, vcc_lo
	s_cbranch_execnz .LBB283_2199
.LBB283_2164:
	s_or_b32 exec_lo, exec_lo, s0
	s_and_saveexec_b32 s0, vcc_lo
	s_cbranch_execnz .LBB283_2200
.LBB283_2165:
	s_or_b32 exec_lo, exec_lo, s0
	s_and_saveexec_b32 s0, vcc_lo
	s_cbranch_execnz .LBB283_2201
.LBB283_2166:
	s_or_b32 exec_lo, exec_lo, s0
	s_and_saveexec_b32 s0, vcc_lo
	s_cbranch_execz .LBB283_2168
.LBB283_2167:
	ds_load_b32 v0, v0 offset:480
	s_wait_dscnt 0x0
	v_add_f32_e32 v17, v0, v17
.LBB283_2168:
	s_or_b32 exec_lo, exec_lo, s0
.LBB283_2169:
	s_delay_alu instid0(SALU_CYCLE_1)
	s_or_b32 exec_lo, exec_lo, s1
	s_mov_b32 s1, 0
	s_mov_b32 s2, exec_lo
	s_barrier_signal -1
	s_barrier_wait -1
	v_cmpx_eq_u32_e32 0, v18
	s_cbranch_execz .LBB283_2171
; %bb.2170:
	scratch_load_b64 v[0:1], off, s32 offset:432 th:TH_LOAD_LU ; 8-byte Folded Reload
	s_and_b32 s0, 0xffff, s13
	v_dual_mov_b32 v19, 0 :: v_dual_lshrrev_b32 v18, 1, v61
	s_cmp_lg_u32 s0, 0
	;;#ASMSTART
	v_cvt_f16_f32 v14, v14;

	;;#ASMEND
	s_cselect_b32 s0, -1, 0
	s_delay_alu instid0(SALU_CYCLE_1)
	s_cmp_lg_u32 s0, 0
	s_add_co_ci_u32 s0, s5, 0
	s_bfe_u32 s8, ttmp6, 0x40014
	s_mul_i32 s5, s11, s0
	s_lshr_b32 s3, ttmp7, 16
	s_mul_i32 s5, s5, s12
	s_add_co_i32 s8, s8, 1
	s_lshl_b32 s6, s5, 7
	s_bfe_u32 s9, ttmp6, 0x40008
	s_ashr_i32 s7, s6, 31
	s_mul_i32 s4, s4, s0
	s_mul_i32 s0, s3, s8
	s_ashr_i32 s5, s4, 31
	s_add_co_i32 s9, s9, s0
	s_cmp_eq_u32 s10, 0
	s_cselect_b32 s0, s3, s9
	s_delay_alu instid0(SALU_CYCLE_1) | instskip(SKIP_2) | instid1(VALU_DEP_1)
	s_lshl_b32 s0, s0, 8
	s_wait_loadcnt 0x0
	v_lshl_add_u64 v[0:1], s[6:7], 1, v[0:1]
	v_lshl_add_u64 v[0:1], s[4:5], 1, v[0:1]
	s_delay_alu instid0(VALU_DEP_1) | instskip(NEXT) | instid1(VALU_DEP_1)
	v_add_nc_u64_e32 v[0:1], s[0:1], v[0:1]
	v_add_nc_u64_e32 v[0:1], v[0:1], v[18:19]
	flat_store_b16 v[0:1], v14
	s_wait_xcnt 0x0
	;;#ASMSTART
	v_cvt_f16_f32 v14, v15;

	;;#ASMEND
	flat_store_b16 v[0:1], v14 offset:16
	;;#ASMSTART
	v_cvt_f16_f32 v12, v12;

	;;#ASMEND
	flat_store_b16 v[0:1], v12 offset:32
	s_wait_xcnt 0x0
	;;#ASMSTART
	v_cvt_f16_f32 v12, v13;

	;;#ASMEND
	flat_store_b16 v[0:1], v12 offset:48
	;;#ASMSTART
	v_cvt_f16_f32 v10, v10;

	;;#ASMEND
	flat_store_b16 v[0:1], v10 offset:64
	;; [unrolled: 11-line block ×6, first 2 shown]
	s_wait_xcnt 0x0
	;;#ASMSTART
	v_cvt_f16_f32 v2, v3;

	;;#ASMEND
	flat_store_b16 v[0:1], v2 offset:208
	s_wait_xcnt 0x0
	;;#ASMSTART
	v_cvt_f16_f32 v2, v16;

	;;#ASMEND
	flat_store_b16 v[0:1], v2 offset:224
	;; [unrolled: 6-line block ×3, first 2 shown]
.LBB283_2171:
	s_wait_xcnt 0x0
	s_or_b32 exec_lo, exec_lo, s2
	s_clause 0x2f
	scratch_load_b32 v127, off, s32
	scratch_load_b32 v126, off, s32 offset:4
	scratch_load_b32 v125, off, s32 offset:8
	;; [unrolled: 1-line block ×47, first 2 shown]
	s_wait_loadcnt_dscnt 0x0
	s_set_pc_i64 s[30:31]
.LBB283_2172:
	ds_load_b32 v18, v0
	s_wait_dscnt 0x0
	v_add_f32_e32 v14, v18, v14
	s_or_b32 exec_lo, exec_lo, s0
	s_and_saveexec_b32 s0, vcc_lo
	s_cbranch_execz .LBB283_2132
.LBB283_2173:
	ds_load_b32 v18, v0 offset:32
	s_wait_dscnt 0x0
	v_add_f32_e32 v15, v18, v15
	s_or_b32 exec_lo, exec_lo, s0
	s_and_saveexec_b32 s0, vcc_lo
	s_cbranch_execz .LBB283_2133
.LBB283_2174:
	ds_load_b32 v18, v0 offset:64
	s_wait_dscnt 0x0
	v_add_f32_e32 v12, v18, v12
	s_or_b32 exec_lo, exec_lo, s0
	s_and_saveexec_b32 s0, vcc_lo
	s_cbranch_execz .LBB283_2134
.LBB283_2175:
	ds_load_b32 v18, v0 offset:96
	s_wait_dscnt 0x0
	v_add_f32_e32 v13, v18, v13
	s_or_b32 exec_lo, exec_lo, s0
	s_and_saveexec_b32 s0, vcc_lo
	s_cbranch_execz .LBB283_2135
.LBB283_2176:
	ds_load_b32 v18, v0 offset:128
	s_wait_dscnt 0x0
	v_add_f32_e32 v10, v18, v10
	s_or_b32 exec_lo, exec_lo, s0
	s_and_saveexec_b32 s0, vcc_lo
	s_cbranch_execz .LBB283_2136
.LBB283_2177:
	ds_load_b32 v18, v0 offset:160
	s_wait_dscnt 0x0
	v_add_f32_e32 v11, v18, v11
	s_or_b32 exec_lo, exec_lo, s0
	s_and_saveexec_b32 s0, vcc_lo
	s_cbranch_execz .LBB283_2137
.LBB283_2178:
	ds_load_b32 v18, v0 offset:192
	s_wait_dscnt 0x0
	v_add_f32_e32 v8, v18, v8
	s_or_b32 exec_lo, exec_lo, s0
	s_and_saveexec_b32 s0, vcc_lo
	s_cbranch_execz .LBB283_2138
.LBB283_2179:
	ds_load_b32 v18, v0 offset:224
	s_wait_dscnt 0x0
	v_add_f32_e32 v9, v18, v9
	s_or_b32 exec_lo, exec_lo, s0
	s_and_saveexec_b32 s0, vcc_lo
	s_cbranch_execz .LBB283_2139
.LBB283_2180:
	ds_load_b32 v18, v0 offset:256
	s_wait_dscnt 0x0
	v_add_f32_e32 v6, v18, v6
	s_or_b32 exec_lo, exec_lo, s0
	s_and_saveexec_b32 s0, vcc_lo
	s_cbranch_execz .LBB283_2140
.LBB283_2181:
	ds_load_b32 v18, v0 offset:288
	s_wait_dscnt 0x0
	v_add_f32_e32 v7, v18, v7
	s_or_b32 exec_lo, exec_lo, s0
	s_and_saveexec_b32 s0, vcc_lo
	s_cbranch_execz .LBB283_2141
.LBB283_2182:
	ds_load_b32 v18, v0 offset:320
	s_wait_dscnt 0x0
	v_add_f32_e32 v4, v18, v4
	s_or_b32 exec_lo, exec_lo, s0
	s_and_saveexec_b32 s0, vcc_lo
	s_cbranch_execz .LBB283_2142
.LBB283_2183:
	ds_load_b32 v18, v0 offset:352
	s_wait_dscnt 0x0
	v_add_f32_e32 v5, v18, v5
	s_or_b32 exec_lo, exec_lo, s0
	s_and_saveexec_b32 s0, vcc_lo
	s_cbranch_execz .LBB283_2143
.LBB283_2184:
	ds_load_b32 v18, v0 offset:384
	s_wait_dscnt 0x0
	v_add_f32_e32 v2, v18, v2
	s_or_b32 exec_lo, exec_lo, s0
	s_and_saveexec_b32 s0, vcc_lo
	s_cbranch_execz .LBB283_2144
.LBB283_2185:
	ds_load_b32 v18, v0 offset:416
	s_wait_dscnt 0x0
	v_add_f32_e32 v3, v18, v3
	s_or_b32 exec_lo, exec_lo, s0
	s_and_saveexec_b32 s0, vcc_lo
	s_cbranch_execz .LBB283_2145
.LBB283_2186:
	ds_load_b32 v18, v0 offset:448
	s_wait_dscnt 0x0
	v_add_f32_e32 v16, v18, v16
	s_or_b32 exec_lo, exec_lo, s0
	s_and_saveexec_b32 s0, vcc_lo
	s_cbranch_execnz .LBB283_2146
	s_branch .LBB283_2147
.LBB283_2187:
	ds_load_b32 v1, v0
	s_wait_dscnt 0x0
	v_add_f32_e32 v14, v1, v14
	s_or_b32 exec_lo, exec_lo, s0
	s_and_saveexec_b32 s0, vcc_lo
	s_cbranch_execz .LBB283_2153
.LBB283_2188:
	ds_load_b32 v1, v0 offset:32
	s_wait_dscnt 0x0
	v_add_f32_e32 v15, v1, v15
	s_or_b32 exec_lo, exec_lo, s0
	s_and_saveexec_b32 s0, vcc_lo
	s_cbranch_execz .LBB283_2154
.LBB283_2189:
	ds_load_b32 v1, v0 offset:64
	s_wait_dscnt 0x0
	v_add_f32_e32 v12, v1, v12
	s_or_b32 exec_lo, exec_lo, s0
	s_and_saveexec_b32 s0, vcc_lo
	s_cbranch_execz .LBB283_2155
.LBB283_2190:
	ds_load_b32 v1, v0 offset:96
	s_wait_dscnt 0x0
	v_add_f32_e32 v13, v1, v13
	s_or_b32 exec_lo, exec_lo, s0
	s_and_saveexec_b32 s0, vcc_lo
	s_cbranch_execz .LBB283_2156
.LBB283_2191:
	ds_load_b32 v1, v0 offset:128
	s_wait_dscnt 0x0
	v_add_f32_e32 v10, v1, v10
	s_or_b32 exec_lo, exec_lo, s0
	s_and_saveexec_b32 s0, vcc_lo
	s_cbranch_execz .LBB283_2157
.LBB283_2192:
	ds_load_b32 v1, v0 offset:160
	s_wait_dscnt 0x0
	v_add_f32_e32 v11, v1, v11
	s_or_b32 exec_lo, exec_lo, s0
	s_and_saveexec_b32 s0, vcc_lo
	s_cbranch_execz .LBB283_2158
.LBB283_2193:
	ds_load_b32 v1, v0 offset:192
	s_wait_dscnt 0x0
	v_add_f32_e32 v8, v1, v8
	s_or_b32 exec_lo, exec_lo, s0
	s_and_saveexec_b32 s0, vcc_lo
	s_cbranch_execz .LBB283_2159
.LBB283_2194:
	ds_load_b32 v1, v0 offset:224
	s_wait_dscnt 0x0
	v_add_f32_e32 v9, v1, v9
	s_or_b32 exec_lo, exec_lo, s0
	s_and_saveexec_b32 s0, vcc_lo
	s_cbranch_execz .LBB283_2160
.LBB283_2195:
	ds_load_b32 v1, v0 offset:256
	s_wait_dscnt 0x0
	v_add_f32_e32 v6, v1, v6
	s_or_b32 exec_lo, exec_lo, s0
	s_and_saveexec_b32 s0, vcc_lo
	s_cbranch_execz .LBB283_2161
.LBB283_2196:
	ds_load_b32 v1, v0 offset:288
	s_wait_dscnt 0x0
	v_add_f32_e32 v7, v1, v7
	s_or_b32 exec_lo, exec_lo, s0
	s_and_saveexec_b32 s0, vcc_lo
	s_cbranch_execz .LBB283_2162
.LBB283_2197:
	ds_load_b32 v1, v0 offset:320
	s_wait_dscnt 0x0
	v_add_f32_e32 v4, v1, v4
	s_or_b32 exec_lo, exec_lo, s0
	s_and_saveexec_b32 s0, vcc_lo
	s_cbranch_execz .LBB283_2163
.LBB283_2198:
	ds_load_b32 v1, v0 offset:352
	s_wait_dscnt 0x0
	v_add_f32_e32 v5, v1, v5
	s_or_b32 exec_lo, exec_lo, s0
	s_and_saveexec_b32 s0, vcc_lo
	s_cbranch_execz .LBB283_2164
.LBB283_2199:
	ds_load_b32 v1, v0 offset:384
	s_wait_dscnt 0x0
	v_add_f32_e32 v2, v1, v2
	s_or_b32 exec_lo, exec_lo, s0
	s_and_saveexec_b32 s0, vcc_lo
	s_cbranch_execz .LBB283_2165
.LBB283_2200:
	ds_load_b32 v1, v0 offset:416
	s_wait_dscnt 0x0
	v_add_f32_e32 v3, v1, v3
	s_or_b32 exec_lo, exec_lo, s0
	s_and_saveexec_b32 s0, vcc_lo
	s_cbranch_execz .LBB283_2166
.LBB283_2201:
	ds_load_b32 v1, v0 offset:448
	s_wait_dscnt 0x0
	v_add_f32_e32 v16, v1, v16
	s_or_b32 exec_lo, exec_lo, s0
	s_and_saveexec_b32 s0, vcc_lo
	s_cbranch_execnz .LBB283_2167
	s_branch .LBB283_2168
.Lfunc_end283:
	.size	_ZN4vllm22paged_attention_kernelIthLi128ELi32ELi128ELNS_18Fp8KVCacheDataTypeE1ELb1ELi0EEEvPfS2_PT_PKS3_PKT0_S9_ifPKiSB_iPKfiiiSD_SD_iiiii, .Lfunc_end283-_ZN4vllm22paged_attention_kernelIthLi128ELi32ELi128ELNS_18Fp8KVCacheDataTypeE1ELb1ELi0EEEvPfS2_PT_PKS3_PKT0_S9_ifPKiSB_iPKfiiiSD_SD_iiiii
                                        ; -- End function
	.set .L_ZN4vllm22paged_attention_kernelIthLi128ELi32ELi128ELNS_18Fp8KVCacheDataTypeE1ELb1ELi0EEEvPfS2_PT_PKS3_PKT0_S9_ifPKiSB_iPKfiiiSD_SD_iiiii.num_vgpr, 128
	.set .L_ZN4vllm22paged_attention_kernelIthLi128ELi32ELi128ELNS_18Fp8KVCacheDataTypeE1ELb1ELi0EEEvPfS2_PT_PKS3_PKT0_S9_ifPKiSB_iPKfiiiSD_SD_iiiii.num_agpr, 0
	.set .L_ZN4vllm22paged_attention_kernelIthLi128ELi32ELi128ELNS_18Fp8KVCacheDataTypeE1ELb1ELi0EEEvPfS2_PT_PKS3_PKT0_S9_ifPKiSB_iPKfiiiSD_SD_iiiii.numbered_sgpr, 33
	.set .L_ZN4vllm22paged_attention_kernelIthLi128ELi32ELi128ELNS_18Fp8KVCacheDataTypeE1ELb1ELi0EEEvPfS2_PT_PKS3_PKT0_S9_ifPKiSB_iPKfiiiSD_SD_iiiii.num_named_barrier, 0
	.set .L_ZN4vllm22paged_attention_kernelIthLi128ELi32ELi128ELNS_18Fp8KVCacheDataTypeE1ELb1ELi0EEEvPfS2_PT_PKS3_PKT0_S9_ifPKiSB_iPKfiiiSD_SD_iiiii.private_seg_size, 484
	.set .L_ZN4vllm22paged_attention_kernelIthLi128ELi32ELi128ELNS_18Fp8KVCacheDataTypeE1ELb1ELi0EEEvPfS2_PT_PKS3_PKT0_S9_ifPKiSB_iPKfiiiSD_SD_iiiii.uses_vcc, 1
	.set .L_ZN4vllm22paged_attention_kernelIthLi128ELi32ELi128ELNS_18Fp8KVCacheDataTypeE1ELb1ELi0EEEvPfS2_PT_PKS3_PKT0_S9_ifPKiSB_iPKfiiiSD_SD_iiiii.uses_flat_scratch, 1
	.set .L_ZN4vllm22paged_attention_kernelIthLi128ELi32ELi128ELNS_18Fp8KVCacheDataTypeE1ELb1ELi0EEEvPfS2_PT_PKS3_PKT0_S9_ifPKiSB_iPKfiiiSD_SD_iiiii.has_dyn_sized_stack, 0
	.set .L_ZN4vllm22paged_attention_kernelIthLi128ELi32ELi128ELNS_18Fp8KVCacheDataTypeE1ELb1ELi0EEEvPfS2_PT_PKS3_PKT0_S9_ifPKiSB_iPKfiiiSD_SD_iiiii.has_recursion, 0
	.set .L_ZN4vllm22paged_attention_kernelIthLi128ELi32ELi128ELNS_18Fp8KVCacheDataTypeE1ELb1ELi0EEEvPfS2_PT_PKS3_PKT0_S9_ifPKiSB_iPKfiiiSD_SD_iiiii.has_indirect_call, 0
	.section	.AMDGPU.csdata,"",@progbits
; Function info:
; codeLenInByte = 88064
; TotalNumSgprs: 35
; NumVgprs: 128
; ScratchSize: 484
; MemoryBound: 0
	.section	.text._ZN4vllm25paged_attention_v1_kernelIthLi128ELi32ELi128ELNS_18Fp8KVCacheDataTypeE1ELb1EEEvPT_PKS2_PKT0_S8_ifPKiSA_iPKfiiiSC_SC_iiiii,"axG",@progbits,_ZN4vllm25paged_attention_v1_kernelIthLi128ELi32ELi128ELNS_18Fp8KVCacheDataTypeE1ELb1EEEvPT_PKS2_PKT0_S8_ifPKiSA_iPKfiiiSC_SC_iiiii,comdat
	.protected	_ZN4vllm25paged_attention_v1_kernelIthLi128ELi32ELi128ELNS_18Fp8KVCacheDataTypeE1ELb1EEEvPT_PKS2_PKT0_S8_ifPKiSA_iPKfiiiSC_SC_iiiii ; -- Begin function _ZN4vllm25paged_attention_v1_kernelIthLi128ELi32ELi128ELNS_18Fp8KVCacheDataTypeE1ELb1EEEvPT_PKS2_PKT0_S8_ifPKiSA_iPKfiiiSC_SC_iiiii
	.globl	_ZN4vllm25paged_attention_v1_kernelIthLi128ELi32ELi128ELNS_18Fp8KVCacheDataTypeE1ELb1EEEvPT_PKS2_PKT0_S8_ifPKiSA_iPKfiiiSC_SC_iiiii
	.p2align	8
	.type	_ZN4vllm25paged_attention_v1_kernelIthLi128ELi32ELi128ELNS_18Fp8KVCacheDataTypeE1ELb1EEEvPT_PKS2_PKT0_S8_ifPKiSA_iPKfiiiSC_SC_iiiii,@function
_ZN4vllm25paged_attention_v1_kernelIthLi128ELi32ELi128ELNS_18Fp8KVCacheDataTypeE1ELb1EEEvPT_PKS2_PKT0_S8_ifPKiSA_iPKfiiiSC_SC_iiiii: ; @_ZN4vllm25paged_attention_v1_kernelIthLi128ELi32ELi128ELNS_18Fp8KVCacheDataTypeE1ELb1EEEvPT_PKS2_PKT0_S8_ifPKiSA_iPKfiiiSC_SC_iiiii
; %bb.0:
	s_clause 0x6
	s_load_b256 s[12:19], s[0:1], 0x0
	s_load_b128 s[4:7], s[0:1], 0x20
	s_load_b96 s[28:30], s[0:1], 0x30
	s_load_b64 s[10:11], s[0:1], 0x40
	s_load_b96 s[36:38], s[0:1], 0x48
	s_load_b256 s[20:27], s[0:1], 0x58
	s_load_b32 s31, s[0:1], 0x78
	v_mov_b32_e32 v31, v0
	s_get_pc_i64 s[2:3]
	s_add_nc_u64 s[2:3], s[2:3], _ZN4vllm22paged_attention_kernelIthLi128ELi32ELi128ELNS_18Fp8KVCacheDataTypeE1ELb1ELi0EEEvPfS2_PT_PKS3_PKT0_S9_ifPKiSB_iPKfiiiSD_SD_iiiii@rel64+4
	s_add_nc_u64 s[8:9], s[0:1], 0x80
	s_mov_b32 s32, 0
	s_wait_kmcnt 0x0
	v_dual_mov_b32 v15, s10 :: v_dual_mov_b32 v16, s11
	v_dual_mov_b32 v0, s12 :: v_dual_mov_b32 v1, s13
	;; [unrolled: 1-line block ×14, first 2 shown]
	v_mov_b32_e32 v28, s31
	s_mov_b32 s15, 39
	s_swap_pc_i64 s[30:31], s[2:3]
	s_endpgm
	.section	.rodata,"a",@progbits
	.p2align	6, 0x0
	.amdhsa_kernel _ZN4vllm25paged_attention_v1_kernelIthLi128ELi32ELi128ELNS_18Fp8KVCacheDataTypeE1ELb1EEEvPT_PKS2_PKT0_S8_ifPKiSA_iPKfiiiSC_SC_iiiii
		.amdhsa_group_segment_fixed_size 288
		.amdhsa_private_segment_fixed_size 484
		.amdhsa_kernarg_size 384
		.amdhsa_user_sgpr_count 2
		.amdhsa_user_sgpr_dispatch_ptr 0
		.amdhsa_user_sgpr_queue_ptr 0
		.amdhsa_user_sgpr_kernarg_segment_ptr 1
		.amdhsa_user_sgpr_dispatch_id 0
		.amdhsa_user_sgpr_kernarg_preload_length 0
		.amdhsa_user_sgpr_kernarg_preload_offset 0
		.amdhsa_user_sgpr_private_segment_size 0
		.amdhsa_wavefront_size32 1
		.amdhsa_uses_dynamic_stack 0
		.amdhsa_enable_private_segment 1
		.amdhsa_system_sgpr_workgroup_id_x 1
		.amdhsa_system_sgpr_workgroup_id_y 1
		.amdhsa_system_sgpr_workgroup_id_z 1
		.amdhsa_system_sgpr_workgroup_info 0
		.amdhsa_system_vgpr_workitem_id 0
		.amdhsa_next_free_vgpr 128
		.amdhsa_next_free_sgpr 39
		.amdhsa_named_barrier_count 0
		.amdhsa_reserve_vcc 1
		.amdhsa_float_round_mode_32 0
		.amdhsa_float_round_mode_16_64 0
		.amdhsa_float_denorm_mode_32 3
		.amdhsa_float_denorm_mode_16_64 3
		.amdhsa_fp16_overflow 0
		.amdhsa_memory_ordered 1
		.amdhsa_forward_progress 1
		.amdhsa_inst_pref_size 2
		.amdhsa_round_robin_scheduling 0
		.amdhsa_exception_fp_ieee_invalid_op 0
		.amdhsa_exception_fp_denorm_src 0
		.amdhsa_exception_fp_ieee_div_zero 0
		.amdhsa_exception_fp_ieee_overflow 0
		.amdhsa_exception_fp_ieee_underflow 0
		.amdhsa_exception_fp_ieee_inexact 0
		.amdhsa_exception_int_div_zero 0
	.end_amdhsa_kernel
	.section	.text._ZN4vllm25paged_attention_v1_kernelIthLi128ELi32ELi128ELNS_18Fp8KVCacheDataTypeE1ELb1EEEvPT_PKS2_PKT0_S8_ifPKiSA_iPKfiiiSC_SC_iiiii,"axG",@progbits,_ZN4vllm25paged_attention_v1_kernelIthLi128ELi32ELi128ELNS_18Fp8KVCacheDataTypeE1ELb1EEEvPT_PKS2_PKT0_S8_ifPKiSA_iPKfiiiSC_SC_iiiii,comdat
.Lfunc_end284:
	.size	_ZN4vllm25paged_attention_v1_kernelIthLi128ELi32ELi128ELNS_18Fp8KVCacheDataTypeE1ELb1EEEvPT_PKS2_PKT0_S8_ifPKiSA_iPKfiiiSC_SC_iiiii, .Lfunc_end284-_ZN4vllm25paged_attention_v1_kernelIthLi128ELi32ELi128ELNS_18Fp8KVCacheDataTypeE1ELb1EEEvPT_PKS2_PKT0_S8_ifPKiSA_iPKfiiiSC_SC_iiiii
                                        ; -- End function
	.set _ZN4vllm25paged_attention_v1_kernelIthLi128ELi32ELi128ELNS_18Fp8KVCacheDataTypeE1ELb1EEEvPT_PKS2_PKT0_S8_ifPKiSA_iPKfiiiSC_SC_iiiii.num_vgpr, max(32, .L_ZN4vllm22paged_attention_kernelIthLi128ELi32ELi128ELNS_18Fp8KVCacheDataTypeE1ELb1ELi0EEEvPfS2_PT_PKS3_PKT0_S9_ifPKiSB_iPKfiiiSD_SD_iiiii.num_vgpr)
	.set _ZN4vllm25paged_attention_v1_kernelIthLi128ELi32ELi128ELNS_18Fp8KVCacheDataTypeE1ELb1EEEvPT_PKS2_PKT0_S8_ifPKiSA_iPKfiiiSC_SC_iiiii.num_agpr, max(0, .L_ZN4vllm22paged_attention_kernelIthLi128ELi32ELi128ELNS_18Fp8KVCacheDataTypeE1ELb1ELi0EEEvPfS2_PT_PKS3_PKT0_S9_ifPKiSB_iPKfiiiSD_SD_iiiii.num_agpr)
	.set _ZN4vllm25paged_attention_v1_kernelIthLi128ELi32ELi128ELNS_18Fp8KVCacheDataTypeE1ELb1EEEvPT_PKS2_PKT0_S8_ifPKiSA_iPKfiiiSC_SC_iiiii.numbered_sgpr, max(39, .L_ZN4vllm22paged_attention_kernelIthLi128ELi32ELi128ELNS_18Fp8KVCacheDataTypeE1ELb1ELi0EEEvPfS2_PT_PKS3_PKT0_S9_ifPKiSB_iPKfiiiSD_SD_iiiii.numbered_sgpr)
	.set _ZN4vllm25paged_attention_v1_kernelIthLi128ELi32ELi128ELNS_18Fp8KVCacheDataTypeE1ELb1EEEvPT_PKS2_PKT0_S8_ifPKiSA_iPKfiiiSC_SC_iiiii.num_named_barrier, max(0, .L_ZN4vllm22paged_attention_kernelIthLi128ELi32ELi128ELNS_18Fp8KVCacheDataTypeE1ELb1ELi0EEEvPfS2_PT_PKS3_PKT0_S9_ifPKiSB_iPKfiiiSD_SD_iiiii.num_named_barrier)
	.set _ZN4vllm25paged_attention_v1_kernelIthLi128ELi32ELi128ELNS_18Fp8KVCacheDataTypeE1ELb1EEEvPT_PKS2_PKT0_S8_ifPKiSA_iPKfiiiSC_SC_iiiii.private_seg_size, 0+max(.L_ZN4vllm22paged_attention_kernelIthLi128ELi32ELi128ELNS_18Fp8KVCacheDataTypeE1ELb1ELi0EEEvPfS2_PT_PKS3_PKT0_S9_ifPKiSB_iPKfiiiSD_SD_iiiii.private_seg_size)
	.set _ZN4vllm25paged_attention_v1_kernelIthLi128ELi32ELi128ELNS_18Fp8KVCacheDataTypeE1ELb1EEEvPT_PKS2_PKT0_S8_ifPKiSA_iPKfiiiSC_SC_iiiii.uses_vcc, or(1, .L_ZN4vllm22paged_attention_kernelIthLi128ELi32ELi128ELNS_18Fp8KVCacheDataTypeE1ELb1ELi0EEEvPfS2_PT_PKS3_PKT0_S9_ifPKiSB_iPKfiiiSD_SD_iiiii.uses_vcc)
	.set _ZN4vllm25paged_attention_v1_kernelIthLi128ELi32ELi128ELNS_18Fp8KVCacheDataTypeE1ELb1EEEvPT_PKS2_PKT0_S8_ifPKiSA_iPKfiiiSC_SC_iiiii.uses_flat_scratch, or(0, .L_ZN4vllm22paged_attention_kernelIthLi128ELi32ELi128ELNS_18Fp8KVCacheDataTypeE1ELb1ELi0EEEvPfS2_PT_PKS3_PKT0_S9_ifPKiSB_iPKfiiiSD_SD_iiiii.uses_flat_scratch)
	.set _ZN4vllm25paged_attention_v1_kernelIthLi128ELi32ELi128ELNS_18Fp8KVCacheDataTypeE1ELb1EEEvPT_PKS2_PKT0_S8_ifPKiSA_iPKfiiiSC_SC_iiiii.has_dyn_sized_stack, or(0, .L_ZN4vllm22paged_attention_kernelIthLi128ELi32ELi128ELNS_18Fp8KVCacheDataTypeE1ELb1ELi0EEEvPfS2_PT_PKS3_PKT0_S9_ifPKiSB_iPKfiiiSD_SD_iiiii.has_dyn_sized_stack)
	.set _ZN4vllm25paged_attention_v1_kernelIthLi128ELi32ELi128ELNS_18Fp8KVCacheDataTypeE1ELb1EEEvPT_PKS2_PKT0_S8_ifPKiSA_iPKfiiiSC_SC_iiiii.has_recursion, or(0, .L_ZN4vllm22paged_attention_kernelIthLi128ELi32ELi128ELNS_18Fp8KVCacheDataTypeE1ELb1ELi0EEEvPfS2_PT_PKS3_PKT0_S9_ifPKiSB_iPKfiiiSD_SD_iiiii.has_recursion)
	.set _ZN4vllm25paged_attention_v1_kernelIthLi128ELi32ELi128ELNS_18Fp8KVCacheDataTypeE1ELb1EEEvPT_PKS2_PKT0_S8_ifPKiSA_iPKfiiiSC_SC_iiiii.has_indirect_call, or(0, .L_ZN4vllm22paged_attention_kernelIthLi128ELi32ELi128ELNS_18Fp8KVCacheDataTypeE1ELb1ELi0EEEvPfS2_PT_PKS3_PKT0_S9_ifPKiSB_iPKfiiiSD_SD_iiiii.has_indirect_call)
	.section	.AMDGPU.csdata,"",@progbits
; Kernel info:
; codeLenInByte = 224
; TotalNumSgprs: 41
; NumVgprs: 128
; ScratchSize: 484
; MemoryBound: 0
; FloatMode: 240
; IeeeMode: 1
; LDSByteSize: 288 bytes/workgroup (compile time only)
; SGPRBlocks: 0
; VGPRBlocks: 7
; NumSGPRsForWavesPerEU: 41
; NumVGPRsForWavesPerEU: 128
; NamedBarCnt: 0
; Occupancy: 8
; WaveLimiterHint : 1
; COMPUTE_PGM_RSRC2:SCRATCH_EN: 1
; COMPUTE_PGM_RSRC2:USER_SGPR: 2
; COMPUTE_PGM_RSRC2:TRAP_HANDLER: 0
; COMPUTE_PGM_RSRC2:TGID_X_EN: 1
; COMPUTE_PGM_RSRC2:TGID_Y_EN: 1
; COMPUTE_PGM_RSRC2:TGID_Z_EN: 1
; COMPUTE_PGM_RSRC2:TIDIG_COMP_CNT: 0
	.text
	.p2align	2                               ; -- Begin function _ZN4vllm22paged_attention_kernelIthLi192ELi32ELi128ELNS_18Fp8KVCacheDataTypeE1ELb1ELi0EEEvPfS2_PT_PKS3_PKT0_S9_ifPKiSB_iPKfiiiSD_SD_iiiii
	.type	_ZN4vllm22paged_attention_kernelIthLi192ELi32ELi128ELNS_18Fp8KVCacheDataTypeE1ELb1ELi0EEEvPfS2_PT_PKS3_PKT0_S9_ifPKiSB_iPKfiiiSD_SD_iiiii,@function
_ZN4vllm22paged_attention_kernelIthLi192ELi32ELi128ELNS_18Fp8KVCacheDataTypeE1ELb1ELi0EEEvPfS2_PT_PKS3_PKT0_S9_ifPKiSB_iPKfiiiSD_SD_iiiii: ; @_ZN4vllm22paged_attention_kernelIthLi192ELi32ELi128ELNS_18Fp8KVCacheDataTypeE1ELb1ELi0EEEvPfS2_PT_PKS3_PKT0_S9_ifPKiSB_iPKfiiiSD_SD_iiiii
; %bb.0:
	s_wait_loadcnt_dscnt 0x0
	s_wait_kmcnt 0x0
	s_clause 0x2f
	scratch_store_b32 off, v40, s32 offset:188
	; meta instruction
	scratch_store_b32 off, v41, s32 offset:184
	; meta instruction
	;; [unrolled: 2-line block ×47, first 2 shown]
	scratch_store_b32 off, v127, s32
	s_bfe_u32 s0, ttmp6, 0x4000c
	s_bfe_u32 s3, ttmp6, 0x40010
	s_add_co_i32 s0, s0, 1
	s_and_b32 s1, ttmp6, 15
	s_mul_i32 s0, ttmp9, s0
	s_and_b32 s4, ttmp7, 0xffff
	s_add_co_i32 s3, s3, 1
	s_add_co_i32 s1, s1, s0
	s_mul_i32 s0, s4, s3
	s_bfe_u32 s3, ttmp6, 0x40004
	s_getreg_b32 s10, hwreg(HW_REG_IB_STS2, 6, 4)
	s_add_co_i32 s3, s3, s0
	s_cmp_eq_u32 s10, 0
	s_mov_b32 s7, 0
	s_cselect_b32 s11, s4, s3
	s_cselect_b32 s0, ttmp9, s1
	s_lshl_b32 s6, s11, 2
	s_clause 0x7
	scratch_store_b32 off, v26, s32 offset:664
	scratch_store_b64 off, v[22:23], s32 offset:192
	scratch_store_b64 off, v[20:21], s32 offset:632
	;; [unrolled: 1-line block ×4, first 2 shown]
	scratch_store_b32 off, v9, s32 offset:640
	scratch_store_b64 off, v[6:7], s32 offset:716
	scratch_store_b64 off, v[0:1], s32 offset:700
	s_wait_xcnt 0x1
	v_add_nc_u64_e32 v[6:7], s[6:7], v[12:13]
	s_wait_xcnt 0x0
	v_mov_b32_e32 v1, 0
	s_clause 0x1
	s_load_u16 s1, s[8:9], 0x12
	s_load_b32 s3, s[8:9], 0x0
	v_dual_mov_b32 v33, v16 :: v_dual_mov_b32 v32, v15
	s_mov_b32 s2, s15
	flat_load_b32 v12, v[6:7]
	s_wait_xcnt 0x0
	v_sub_nc_u32_e32 v6, 0, v8
	global_load_u16 v0, v1, s[8:9] offset:22
	v_max_i32_e32 v6, v8, v6
	s_delay_alu instid0(VALU_DEP_1) | instskip(SKIP_2) | instid1(VALU_DEP_1)
	v_cvt_f32_u32_e32 v7, v6
	s_wait_kmcnt 0x0
	s_cmp_lg_u32 s1, 0
	v_rcp_iflag_f32_e32 v7, v7
	s_cselect_b32 s1, -1, 0
	s_delay_alu instid0(SALU_CYCLE_1) | instskip(SKIP_3) | instid1(TRANS32_DEP_1)
	s_cmp_lg_u32 s1, 0
	s_add_co_ci_u32 s12, s3, 0
	s_abs_i32 s6, s0
	v_nop
	v_mul_f32_e32 v7, 0x4f7ffffe, v7
	v_sub_nc_u32_e32 v9, 0, v6
	s_abs_i32 s1, s12
	s_mov_b32 s3, exec_lo
	s_delay_alu instid0(VALU_DEP_2) | instskip(NEXT) | instid1(VALU_DEP_1)
	v_cvt_u32_f32_e32 v7, v7
	v_mul_lo_u32 v9, v9, v7
	s_delay_alu instid0(VALU_DEP_1) | instskip(NEXT) | instid1(VALU_DEP_1)
	v_mul_hi_u32 v9, v7, v9
	v_add_nc_u32_e32 v7, v7, v9
	s_delay_alu instid0(VALU_DEP_1) | instskip(NEXT) | instid1(VALU_DEP_1)
	v_mul_hi_u32 v7, s1, v7
	v_mul_lo_u32 v9, v7, v6
	s_delay_alu instid0(VALU_DEP_1) | instskip(NEXT) | instid1(VALU_DEP_1)
	v_dual_add_nc_u32 v10, 1, v7 :: v_dual_sub_nc_u32 v9, s1, v9
	v_sub_nc_u32_e32 v11, v9, v6
	v_cmp_ge_u32_e32 vcc_lo, v9, v6
	s_delay_alu instid0(VALU_DEP_3) | instskip(NEXT) | instid1(VALU_DEP_3)
	v_dual_cndmask_b32 v7, v7, v10, vcc_lo :: v_dual_bitop2_b32 v10, s12, v8 bitop3:0x14
	v_cndmask_b32_e32 v9, v9, v11, vcc_lo
	s_delay_alu instid0(VALU_DEP_2) | instskip(NEXT) | instid1(VALU_DEP_2)
	v_dual_add_nc_u32 v11, 1, v7 :: v_dual_ashrrev_i32 v10, 31, v10
	v_cmp_ge_u32_e32 vcc_lo, v9, v6
	s_delay_alu instid0(VALU_DEP_2) | instskip(NEXT) | instid1(VALU_DEP_1)
	v_cndmask_b32_e32 v6, v7, v11, vcc_lo
	v_xor_b32_e32 v6, v6, v10
	s_delay_alu instid0(VALU_DEP_1) | instskip(NEXT) | instid1(VALU_DEP_1)
	v_sub_nc_u32_e32 v7, v6, v10
	v_sub_nc_u32_e32 v6, 0, v7
	s_delay_alu instid0(VALU_DEP_1) | instskip(NEXT) | instid1(VALU_DEP_1)
	v_max_i32_e32 v6, v7, v6
	v_cvt_f32_u32_e32 v9, v6
	v_sub_nc_u32_e32 v10, 0, v6
	s_delay_alu instid0(VALU_DEP_2) | instskip(SKIP_1) | instid1(TRANS32_DEP_1)
	v_rcp_iflag_f32_e32 v9, v9
	v_nop
	v_mul_f32_e32 v9, 0x4f7ffffe, v9
	s_delay_alu instid0(VALU_DEP_1) | instskip(NEXT) | instid1(VALU_DEP_1)
	v_cvt_u32_f32_e32 v9, v9
	v_mul_lo_u32 v10, v10, v9
	s_delay_alu instid0(VALU_DEP_1) | instskip(SKIP_2) | instid1(VALU_DEP_2)
	v_mul_hi_u32 v10, v9, v10
	s_wait_loadcnt 0x0
	v_readfirstlane_b32 s13, v0
	v_add_nc_u32_e32 v0, v9, v10
	v_mov_b32_e32 v9, v1
	scratch_store_b32 off, v9, s32 offset:628 ; 4-byte Folded Spill
	s_wait_xcnt 0x0
	v_cmpx_ne_u64_e32 0, v[32:33]
	s_cbranch_execz .LBB285_2
; %bb.1:
	s_ashr_i32 s1, s0, 31
	s_delay_alu instid0(SALU_CYCLE_1)
	v_lshl_add_u64 v[10:11], s[0:1], 2, v[32:33]
	flat_load_b32 v9, v[10:11]
	s_wait_loadcnt_dscnt 0x0
	scratch_store_b32 off, v9, s32 offset:628 ; 4-byte Folded Spill
.LBB285_2:
	s_wait_xcnt 0x0
	s_or_b32 exec_lo, exec_lo, s3
	v_mul_u64_e32 v[0:1], s[6:7], v[0:1]
	v_and_b32_e32 v13, 0x3ff, v31
	v_ashrrev_i32_e32 v0, 31, v7
	s_ashr_i32 s1, s0, 31
	s_mul_i32 s4, s0, 0xc0
	s_mov_b32 s3, exec_lo
	v_cmpx_gt_u32_e32 24, v13
	s_cbranch_execz .LBB285_4
; %bb.3:
	v_mul_lo_u32 v10, v17, s11
	s_ashr_i32 s5, s4, 31
	s_delay_alu instid0(VALU_DEP_1) | instskip(NEXT) | instid1(VALU_DEP_1)
	v_ashrrev_i32_e32 v11, 31, v10
	v_lshl_add_u64 v[2:3], v[10:11], 1, v[2:3]
	v_dual_mov_b32 v11, 0 :: v_dual_lshlrev_b32 v10, 4, v13
	s_delay_alu instid0(VALU_DEP_2) | instskip(NEXT) | instid1(VALU_DEP_1)
	v_lshl_add_u64 v[2:3], s[4:5], 1, v[2:3]
	v_add_nc_u64_e32 v[2:3], v[2:3], v[10:11]
	flat_load_b128 v[20:23], v[2:3]
	s_wait_loadcnt_dscnt 0x0
	ds_store_b128 v10, v[20:23]
.LBB285_4:
	s_wait_xcnt 0x0
	s_or_b32 exec_lo, exec_lo, s3
	s_delay_alu instid0(VALU_DEP_4) | instskip(SKIP_3) | instid1(VALU_DEP_3)
	v_dual_sub_nc_u32 v2, 0, v27 :: v_dual_add_nc_u32 v9, 1, v1
	v_mul_lo_u32 v3, v1, v6
	v_xor_b32_e32 v11, s1, v0
	s_mov_b32 s1, exec_lo
	v_max_i32_e32 v7, v27, v2
	s_delay_alu instid0(VALU_DEP_1) | instskip(NEXT) | instid1(VALU_DEP_4)
	v_cvt_f32_u32_e32 v2, v7
	v_sub_nc_u32_e32 v3, s6, v3
	s_delay_alu instid0(VALU_DEP_2) | instskip(NEXT) | instid1(VALU_DEP_1)
	v_rcp_iflag_f32_e32 v2, v2
	v_cmp_ge_u32_e32 vcc_lo, v3, v6
	s_delay_alu instid0(TRANS32_DEP_1) | instskip(SKIP_4) | instid1(VALU_DEP_2)
	v_mul_f32_e32 v2, 0x4f7ffffe, v2
	scratch_store_b32 off, v7, s32 offset:212 ; 4-byte Folded Spill
	s_wait_xcnt 0x0
	v_dual_sub_nc_u32 v7, 0, v7 :: v_dual_cndmask_b32 v1, v1, v9, vcc_lo
	v_cvt_u32_f32_e32 v2, v2
	v_add_nc_u32_e32 v9, 1, v1
	s_delay_alu instid0(VALU_DEP_2) | instskip(SKIP_2) | instid1(VALU_DEP_1)
	v_mul_lo_u32 v10, v7, v2
	v_sub_nc_u32_e32 v7, v3, v6
	s_wait_dscnt 0x0
	v_dual_cndmask_b32 v3, v3, v7, vcc_lo :: v_dual_add_nc_u32 v7, -1, v12
	s_delay_alu instid0(VALU_DEP_1) | instskip(NEXT) | instid1(VALU_DEP_4)
	v_cmp_ge_u32_e32 vcc_lo, v3, v6
	v_mul_hi_u32 v10, v2, v10
	v_dual_cndmask_b32 v0, v1, v9 :: v_dual_mov_b32 v1, 0
	s_delay_alu instid0(VALU_DEP_4) | instskip(NEXT) | instid1(VALU_DEP_2)
	v_sub_nc_u32_e32 v3, 0, v7
	v_dual_mov_b32 v17, v1 :: v_dual_bitop2_b32 v6, v0, v11 bitop3:0x14
	s_delay_alu instid0(VALU_DEP_2) | instskip(NEXT) | instid1(VALU_DEP_2)
	v_dual_add_nc_u32 v16, v2, v10 :: v_dual_max_i32 v0, v7, v3
                                        ; implicit-def: $vgpr2
                                        ; kill: killed $vgpr2
	v_sub_nc_u32_e32 v6, v6, v11
	scratch_store_b64 off, v[16:17], s32 offset:216 ; 8-byte Folded Spill
	s_wait_storecnt 0x0
	s_barrier_signal -1
	s_barrier_wait -1
	s_wait_xcnt 0x0
	v_cmpx_gt_i32_e32 0, v28
	s_xor_b32 s1, exec_lo, s1
	s_cbranch_execz .LBB285_6
; %bb.5:
	v_mad_u32 v2, v24, v8, v6
                                        ; implicit-def: $vgpr24
	s_delay_alu instid0(VALU_DEP_1) | instskip(NEXT) | instid1(VALU_DEP_1)
	v_mul_lo_u32 v2, v2, v28
                                        ; implicit-def: $vgpr28
	v_sub_nc_u32_e32 v2, 1, v2
	scratch_store_b32 off, v2, s32 offset:228 ; 4-byte Folded Spill
.LBB285_6:
	s_wait_xcnt 0x0
	s_or_saveexec_b32 s1, s1
	scratch_load_b64 v[2:3], off, s32 offset:216 ; 8-byte Folded Reload
	s_wait_loadcnt 0x0
	v_mul_u64_e32 v[2:3], v[0:1], v[2:3]
	v_ashrrev_i32_e32 v1, 31, v7
	v_ashrrev_i32_e32 v2, 31, v27
	scratch_store_b32 off, v2, s32 offset:224 ; 4-byte Folded Spill
	s_wait_xcnt 0x0
	s_xor_b32 exec_lo, exec_lo, s1
	s_cbranch_execz .LBB285_8
; %bb.7:
	v_mad_u32 v2, s12, v24, s0
	s_delay_alu instid0(VALU_DEP_1)
	v_mad_u32 v2, v2, v28, 1
	scratch_store_b32 off, v2, s32 offset:228 ; 4-byte Folded Spill
.LBB285_8:
	s_wait_xcnt 0x0
	s_or_b32 exec_lo, exec_lo, s1
	scratch_load_b32 v11, off, s32 offset:212 ; 4-byte Folded Reload
	v_mul_lo_u32 v14, v14, s11
	v_mul_lo_u32 v16, v6, v19
	s_load_b32 s5, s[8:9], 0x8
	v_mov_b32_e32 v26, 0xff7fffff
	s_ashr_i32 s3, s2, 31
	s_get_pc_i64 s[6:7]
	s_add_nc_u64 s[6:7], s[6:7], llvm.amdgcn.dynlds.offset.table@rel64+4
	s_lshl_b64 s[2:3], s[2:3], 2
	v_lshrrev_b32_e32 v9, 5, v13
	s_add_nc_u64 s[6:7], s[6:7], s[2:3]
	s_delay_alu instid0(VALU_DEP_4) | instskip(SKIP_3) | instid1(VALU_DEP_1)
	v_ashrrev_i32_e32 v15, 31, v14
	scratch_store_b64 off, v[14:15], s32 offset:676 ; 8-byte Folded Spill
	s_wait_loadcnt 0x0
	v_mul_lo_u32 v2, v3, v11
	v_dual_sub_nc_u32 v0, v0, v2 :: v_dual_add_nc_u32 v2, 1, v3
	s_delay_alu instid0(VALU_DEP_1) | instskip(SKIP_1) | instid1(VALU_DEP_3)
	v_dual_add_nc_u32 v7, 31, v12 :: v_dual_sub_nc_u32 v8, v0, v11
	v_cmp_ge_u32_e32 vcc_lo, v0, v11
	v_cndmask_b32_e32 v2, v3, v2, vcc_lo
	scratch_load_b32 v3, off, s32 offset:224 ; 4-byte Folded Reload
	v_cndmask_b32_e32 v0, v0, v8, vcc_lo
	s_delay_alu instid0(VALU_DEP_1) | instskip(SKIP_3) | instid1(VALU_DEP_1)
	v_cmp_ge_u32_e32 vcc_lo, v0, v11
	s_wait_loadcnt 0x0
	v_xor_b32_e32 v1, v1, v3
	v_dual_ashrrev_i32 v3, 31, v7 :: v_dual_add_nc_u32 v8, 1, v2
	v_dual_lshrrev_b32 v3, 27, v3 :: v_dual_bitop2_b32 v10, 31, v13 bitop3:0x40
	s_delay_alu instid0(VALU_DEP_2)
	v_cndmask_b32_e32 v0, v2, v8, vcc_lo
	scratch_store_b32 off, v10, s32 offset:624 ; 4-byte Folded Spill
	s_wait_xcnt 0x0
	v_dual_lshlrev_b32 v10, 2, v10 :: v_dual_add_nc_u32 v2, v7, v3
	scratch_load_b32 v3, off, s32 offset:664 ; 4-byte Folded Reload
	v_xor_b32_e32 v0, v0, v1
	v_dual_lshlrev_b32 v6, 5, v9 :: v_dual_ashrrev_i32 v2, 5, v2
	scratch_store_b64 off, v[6:7], s32 offset:708 ; 8-byte Folded Spill
	v_cmp_lt_i32_e64 s0, v9, v2
	s_wait_loadcnt 0x0
	v_dual_sub_nc_u32 v3, 0, v3 :: v_dual_sub_nc_u32 v0, v0, v1
	v_ashrrev_i32_e32 v17, 31, v16
	scratch_store_b32 off, v3, s32 offset:696 ; 4-byte Folded Spill
	v_sub_nc_u32_e32 v0, v0, v25
	s_clause 0x3
	scratch_store_b64 off, v[16:17], s32 offset:688
	scratch_store_b32 off, v9, s32 offset:656
	scratch_store_b32 off, v2, s32 offset:200
	scratch_store_b32 off, v0, s32 offset:232
	s_wait_xcnt 0x0
	v_lshrrev_b32_e32 v0, 3, v13
	scratch_store_b32 off, v0, s32 offset:684 ; 4-byte Folded Spill
	s_wait_xcnt 0x0
	s_mov_b32 s3, exec_lo
	s_delay_alu instid0(SALU_CYCLE_1)
	s_and_b32 s1, s3, s0
	scratch_store_b32 off, v13, s32 offset:660 ; 4-byte Folded Spill
	s_wait_xcnt 0x0
	s_mov_b32 exec_lo, s1
	s_cbranch_execz .LBB285_1552
; %bb.9:
	s_clause 0x1
	scratch_load_b32 v0, off, s32 offset:664
	scratch_load_b32 v1, off, s32 offset:696
	s_load_b32 s14, s[6:7], 0x0
	v_mov_b32_e32 v26, 0xff7fffff
	s_mov_b64 s[8:9], 0xffffffffffffff
	s_mov_b32 s15, 0
	s_clause 0x1
	scratch_store_b32 off, v10, s32 offset:724
	scratch_load_b32 v31, off, s32 offset:656
	s_wait_loadcnt 0x1
	v_dual_mov_b32 v25, 0 :: v_dual_max_i32 v1, v0, v1
	s_delay_alu instid0(VALU_DEP_1) | instskip(SKIP_1) | instid1(VALU_DEP_2)
	v_cvt_f32_u32_e32 v0, v1
	s_wait_loadcnt 0x0
	v_dual_mov_b32 v7, v25 :: v_dual_lshlrev_b32 v32, 5, v31
	v_lshl_or_b32 v27, v31, 7, v10
	s_delay_alu instid0(VALU_DEP_3) | instskip(SKIP_1) | instid1(TRANS32_DEP_1)
	v_rcp_iflag_f32_e32 v0, v0
	v_nop
	v_mul_f32_e32 v0, 0x4f7ffffe, v0
	scratch_store_b32 off, v1, s32 offset:604 ; 4-byte Folded Spill
	s_wait_xcnt 0x0
	v_sub_nc_u32_e32 v1, 0, v1
	v_cvt_u32_f32_e32 v2, v0
	s_delay_alu instid0(VALU_DEP_1) | instskip(SKIP_2) | instid1(VALU_DEP_1)
	v_mul_lo_u32 v3, v1, v2
	scratch_load_b64 v[0:1], off, s32 offset:688 ; 8-byte Folded Reload
	v_mul_hi_u32 v3, v2, v3
	v_add_nc_u32_e32 v6, v2, v3
	scratch_store_b64 off, v[6:7], s32 offset:608 ; 8-byte Folded Spill
	s_wait_loadcnt 0x0
	v_add_nc_u64_e32 v[0:1], v[4:5], v[0:1]
	s_clause 0x1
	scratch_load_b32 v4, off, s32 offset:624
	scratch_load_b32 v5, off, s32 offset:628
	s_wait_loadcnt 0x1
	v_lshlrev_b32_e32 v24, 4, v4
	v_sub_nc_u32_e32 v4, v4, v12
	s_wait_loadcnt 0x0
	v_cmp_neq_f32_e32 vcc_lo, 0, v5
	s_delay_alu instid0(VALU_DEP_3) | instskip(NEXT) | instid1(VALU_DEP_3)
	v_add_nc_u64_e32 v[0:1], v[0:1], v[24:25]
	v_add_nc_u32_e32 v4, 1, v4
	s_clause 0x3
	scratch_store_b32 off, v4, s32 offset:652
	scratch_store_b64 off, v[0:1], s32 offset:644
	scratch_load_b32 v0, off, s32 offset:684
	scratch_load_b64 v[4:5], off, s32 offset:668
	s_wait_loadcnt 0x1
	v_and_b32_e32 v24, 0x7c, v0
	scratch_load_b64 v[0:1], off, s32 offset:676 ; 8-byte Folded Reload
	s_wait_loadcnt 0x0
	v_lshl_add_u64 v[0:1], v[0:1], 2, v[24:25]
	s_delay_alu instid0(VALU_DEP_1)
	v_add_nc_u64_e32 v[0:1], v[4:5], v[0:1]
	scratch_store_b64 off, v[0:1], s32 offset:204 ; 8-byte Folded Spill
	s_branch .LBB285_15
.LBB285_10:                             ;   in Loop: Header=BB285_15 Depth=1
	s_or_b32 exec_lo, exec_lo, s19
	v_lshlrev_b32_e32 v1, 8, v24
	v_lshl_add_u32 v2, v2, 10, 0x2000
	v_lshlrev_b32_e32 v0, 23, v0
	s_delay_alu instid0(VALU_DEP_2) | instskip(NEXT) | instid1(VALU_DEP_1)
	v_and_or_b32 v1, 0x8000, v1, v2
	v_lshl_or_b32 v22, v1, 16, v0
.LBB285_11:                             ;   in Loop: Header=BB285_15 Depth=1
	s_or_b32 exec_lo, exec_lo, s18
.LBB285_12:                             ;   in Loop: Header=BB285_15 Depth=1
	s_delay_alu instid0(SALU_CYCLE_1)
	s_or_b32 exec_lo, exec_lo, s17
.LBB285_13:                             ;   in Loop: Header=BB285_15 Depth=1
	s_delay_alu instid0(SALU_CYCLE_1)
	s_or_b32 exec_lo, exec_lo, s16
	ds_load_b128 v[2:5], v25
	s_load_b32 s16, s[6:7], 0x0
	v_or_b32_e32 v9, v22, v9
	v_fma_mixlo_f16 v22, v33, v22, 0 op_sel:[0,1,0] op_sel_hi:[0,1,0]
	s_wait_dscnt 0x0
	v_lshrrev_b32_e32 v0, 16, v2
	v_and_b32_e32 v1, 0xffff, v2
	v_lshrrev_b32_e32 v2, 16, v3
	;;#ASMSTART
	v_cvt_f32_f16 v66, v1;
	;;#ASMEND
	;;#ASMSTART
	v_cvt_f32_f16 v67, v0;
	;;#ASMEND
	v_or_b32_e32 v0, v51, v39
	v_fma_mixlo_f16 v1, v33, v51, 0 op_sel:[0,1,0] op_sel_hi:[0,1,0]
	v_and_b32_e32 v3, 0xffff, v3
	v_dual_lshrrev_b32 v10, 16, v4 :: v_dual_lshrrev_b32 v11, 16, v5
	s_delay_alu instid0(VALU_DEP_4) | instskip(NEXT) | instid1(VALU_DEP_4)
	v_fma_mixlo_f16 v0, v33, v0, 0 op_sel_hi:[0,1,0]
	v_and_b32_e32 v1, 0xffff, v1
	v_and_b32_e32 v4, 0xffff, v4
	v_and_b32_e32 v5, 0xffff, v5
	s_delay_alu instid0(VALU_DEP_4)
	v_and_b32_e32 v0, 0xffff, v0
	;;#ASMSTART
	v_cvt_f32_f16 v68, v0;
	;;#ASMEND
	v_or_b32_e32 v0, v53, v50
	;;#ASMSTART
	v_cvt_f32_f16 v69, v1;
	;;#ASMEND
	v_fma_mixlo_f16 v1, v33, v53, 0 op_sel:[0,1,0] op_sel_hi:[0,1,0]
	;;#ASMSTART
	v_cvt_f32_f16 v55, v3;
	;;#ASMEND
	;;#ASMSTART
	v_cvt_f32_f16 v54, v2;
	;;#ASMEND
	v_fma_mixlo_f16 v0, v33, v0, 0 op_sel_hi:[0,1,0]
	s_delay_alu instid0(VALU_DEP_2) | instskip(NEXT) | instid1(VALU_DEP_2)
	v_and_b32_e32 v1, 0xffff, v1
	v_and_b32_e32 v0, 0xffff, v0
	;;#ASMSTART
	v_cvt_f32_f16 v65, v0;
	;;#ASMEND
	v_or_b32_e32 v0, v38, v52
	;;#ASMSTART
	v_cvt_f32_f16 v64, v1;
	;;#ASMEND
	v_fma_mixlo_f16 v1, v33, v38, 0 op_sel:[0,1,0] op_sel_hi:[0,1,0]
	;;#ASMSTART
	v_cvt_f32_f16 v51, v4;
	;;#ASMEND
	;;#ASMSTART
	v_cvt_f32_f16 v50, v10;
	;;#ASMEND
	v_fma_mixlo_f16 v0, v33, v0, 0 op_sel_hi:[0,1,0]
	v_fma_mixlo_f16 v10, v33, v71, 0 op_sel:[0,1,0] op_sel_hi:[0,1,0]
	v_and_b32_e32 v1, 0xffff, v1
	s_delay_alu instid0(VALU_DEP_3)
	v_and_b32_e32 v0, 0xffff, v0
	;;#ASMSTART
	v_cvt_f32_f16 v53, v0;
	;;#ASMEND
	v_or_b32_e32 v0, v48, v49
	;;#ASMSTART
	v_cvt_f32_f16 v52, v1;
	;;#ASMEND
	v_fma_mixlo_f16 v1, v33, v48, 0 op_sel:[0,1,0] op_sel_hi:[0,1,0]
	;;#ASMSTART
	v_cvt_f32_f16 v39, v5;
	;;#ASMEND
	;;#ASMSTART
	v_cvt_f32_f16 v38, v11;
	;;#ASMEND
	v_fma_mixlo_f16 v0, v33, v0, 0 op_sel_hi:[0,1,0]
	v_and_b32_e32 v10, 0xffff, v10
	v_and_b32_e32 v1, 0xffff, v1
	s_delay_alu instid0(VALU_DEP_3)
	v_and_b32_e32 v0, 0xffff, v0
	;;#ASMSTART
	v_cvt_f32_f16 v49, v0;
	;;#ASMEND
	;;#ASMSTART
	v_cvt_f32_f16 v48, v1;
	;;#ASMEND
	ds_load_b128 v[2:5], v25 offset:16
	s_wait_dscnt 0x0
	v_and_b32_e32 v0, 0xffff, v2
	v_lshrrev_b32_e32 v1, 16, v2
	v_or_b32_e32 v2, v71, v70
	;;#ASMSTART
	v_cvt_f32_f16 v0, v0;
	;;#ASMEND
	;;#ASMSTART
	v_cvt_f32_f16 v1, v1;
	;;#ASMEND
	v_lshrrev_b32_e32 v21, 16, v4
	v_and_b32_e32 v4, 0xffff, v4
	v_fma_mixlo_f16 v2, v33, v2, 0 op_sel_hi:[0,1,0]
	v_lshrrev_b32_e32 v24, 16, v5
	v_and_b32_e32 v26, 0xffff, v5
	v_fma_mixlo_f16 v5, v33, v15, 0 op_sel:[0,1,0] op_sel_hi:[0,1,0]
	s_delay_alu instid0(VALU_DEP_4)
	v_and_b32_e32 v2, 0xffff, v2
	;;#ASMSTART
	v_cvt_f32_f16 v70, v2;
	;;#ASMEND
	;;#ASMSTART
	v_cvt_f32_f16 v71, v10;
	;;#ASMEND
	v_pk_mul_f32 v[70:71], v[0:1], v[70:71]
	v_lshrrev_b32_e32 v0, 16, v3
	v_and_b32_e32 v1, 0xffff, v3
	;;#ASMSTART
	v_cvt_f32_f16 v3, v1;
	;;#ASMEND
	;;#ASMSTART
	v_cvt_f32_f16 v2, v0;
	;;#ASMEND
	v_or_b32_e32 v0, v14, v28
	v_and_b32_e32 v5, 0xffff, v5
	v_fma_mixlo_f16 v1, v33, v14, 0 op_sel:[0,1,0] op_sel_hi:[0,1,0]
	v_pk_fma_f32 v[10:11], v[66:67], v[68:69], v[70:71]
	s_delay_alu instid0(VALU_DEP_4) | instskip(NEXT) | instid1(VALU_DEP_3)
	v_fma_mixlo_f16 v0, v33, v0, 0 op_sel_hi:[0,1,0]
	v_and_b32_e32 v1, 0xffff, v1
	s_delay_alu instid0(VALU_DEP_2)
	v_and_b32_e32 v0, 0xffff, v0
	;;#ASMSTART
	v_cvt_f32_f16 v29, v0;
	;;#ASMEND
	;;#ASMSTART
	v_cvt_f32_f16 v28, v1;
	;;#ASMEND
	;;#ASMSTART
	v_cvt_f32_f16 v1, v4;
	;;#ASMEND
	v_or_b32_e32 v4, v15, v87
	;;#ASMSTART
	v_cvt_f32_f16 v0, v21;
	;;#ASMEND
	v_or_b32_e32 v21, v44, v45
	v_pk_mul_f32 v[2:3], v[2:3], v[28:29]
	s_delay_alu instid0(VALU_DEP_3) | instskip(NEXT) | instid1(VALU_DEP_3)
	v_fma_mixlo_f16 v4, v33, v4, 0 op_sel_hi:[0,1,0]
	v_fma_mixlo_f16 v21, v33, v21, 0 op_sel_hi:[0,1,0]
	s_delay_alu instid0(VALU_DEP_3) | instskip(NEXT) | instid1(VALU_DEP_3)
	v_pk_fma_f32 v[64:65], v[54:55], v[64:65], v[2:3]
	v_and_b32_e32 v4, 0xffff, v4
	;;#ASMSTART
	v_cvt_f32_f16 v15, v4;
	;;#ASMEND
	;;#ASMSTART
	v_cvt_f32_f16 v14, v5;
	;;#ASMEND
	;; [unrolled: 3-line block ×4, first 2 shown]
	v_fma_mixlo_f16 v24, v33, v44, 0 op_sel:[0,1,0] op_sel_hi:[0,1,0]
	v_and_b32_e32 v21, 0xffff, v21
	;;#ASMSTART
	v_cvt_f32_f16 v67, v21;
	;;#ASMEND
	v_pk_mul_f32 v[0:1], v[0:1], v[14:15]
	s_delay_alu instid0(VALU_DEP_3) | instskip(SKIP_4) | instid1(VALU_DEP_1)
	v_and_b32_e32 v24, 0xffff, v24
	;;#ASMSTART
	v_cvt_f32_f16 v66, v24;
	;;#ASMEND
	ds_load_b128 v[68:71], v25 offset:32
	v_pk_fma_f32 v[52:53], v[50:51], v[52:53], v[0:1]
	v_pk_mul_f32 v[4:5], v[4:5], v[66:67]
	v_pk_fma_f32 v[4:5], v[38:39], v[48:49], v[4:5]
	s_wait_dscnt 0x0
	v_and_b32_e32 v21, 0xffff, v68
	v_lshrrev_b32_e32 v24, 16, v68
	;;#ASMSTART
	v_cvt_f32_f16 v26, v21;
	;;#ASMEND
	v_or_b32_e32 v21, v120, v47
	;;#ASMSTART
	v_cvt_f32_f16 v27, v24;
	;;#ASMEND
	v_lshrrev_b32_e32 v2, 16, v69
	v_fma_mixlo_f16 v24, v33, v120, 0 op_sel:[0,1,0] op_sel_hi:[0,1,0]
	v_and_b32_e32 v3, 0xffff, v69
	v_fma_mixlo_f16 v21, v33, v21, 0 op_sel_hi:[0,1,0]
	s_delay_alu instid0(VALU_DEP_3) | instskip(NEXT) | instid1(VALU_DEP_2)
	v_and_b32_e32 v24, 0xffff, v24
	v_and_b32_e32 v21, 0xffff, v21
	;;#ASMSTART
	v_cvt_f32_f16 v44, v21;
	;;#ASMEND
	;;#ASMSTART
	v_cvt_f32_f16 v45, v24;
	;;#ASMEND
	v_pk_fma_f32 v[26:27], v[26:27], v[44:45], v[10:11]
	v_lshrrev_b32_e32 v21, 16, v71
	;;#ASMSTART
	v_cvt_f32_f16 v45, v3;
	;;#ASMEND
	;;#ASMSTART
	v_cvt_f32_f16 v44, v2;
	;;#ASMEND
	v_or_b32_e32 v2, v117, v86
	v_fma_mixlo_f16 v3, v33, v117, 0 op_sel:[0,1,0] op_sel_hi:[0,1,0]
	v_lshrrev_b32_e32 v10, 16, v70
	v_and_b32_e32 v11, 0xffff, v70
	v_and_b32_e32 v24, 0xffff, v71
	v_fma_mixlo_f16 v2, v33, v2, 0 op_sel_hi:[0,1,0]
	v_and_b32_e32 v3, 0xffff, v3
	s_delay_alu instid0(VALU_DEP_2)
	v_and_b32_e32 v2, 0xffff, v2
	;;#ASMSTART
	v_cvt_f32_f16 v87, v2;
	;;#ASMEND
	v_or_b32_e32 v2, v112, v121
	;;#ASMSTART
	v_cvt_f32_f16 v86, v3;
	;;#ASMEND
	v_fma_mixlo_f16 v3, v33, v112, 0 op_sel:[0,1,0] op_sel_hi:[0,1,0]
	;;#ASMSTART
	v_cvt_f32_f16 v11, v11;
	;;#ASMEND
	;;#ASMSTART
	v_cvt_f32_f16 v10, v10;
	;;#ASMEND
	v_fma_mixlo_f16 v2, v33, v2, 0 op_sel_hi:[0,1,0]
	v_pk_fma_f32 v[64:65], v[44:45], v[86:87], v[64:65]
	v_and_b32_e32 v3, 0xffff, v3
	s_delay_alu instid0(VALU_DEP_3)
	v_and_b32_e32 v2, 0xffff, v2
	;;#ASMSTART
	v_cvt_f32_f16 v29, v2;
	;;#ASMEND
	;;#ASMSTART
	v_cvt_f32_f16 v28, v3;
	;;#ASMEND
	;; [unrolled: 3-line block ×4, first 2 shown]
	scratch_load_b32 v24, off, s32 offset:236 th:TH_LOAD_LU ; 4-byte Folded Reload
	v_pk_fma_f32 v[10:11], v[10:11], v[28:29], v[52:53]
	s_wait_loadcnt 0x0
	v_or_b32_e32 v21, v24, v113
	v_fma_mixlo_f16 v24, v33, v24, 0 op_sel:[0,1,0] op_sel_hi:[0,1,0]
	s_delay_alu instid0(VALU_DEP_2) | instskip(NEXT) | instid1(VALU_DEP_2)
	v_fma_mixlo_f16 v21, v33, v21, 0 op_sel_hi:[0,1,0]
	v_and_b32_e32 v24, 0xffff, v24
	s_delay_alu instid0(VALU_DEP_2)
	v_and_b32_e32 v21, 0xffff, v21
	;;#ASMSTART
	v_cvt_f32_f16 v55, v21;
	;;#ASMEND
	;;#ASMSTART
	v_cvt_f32_f16 v54, v24;
	;;#ASMEND
	ds_load_b128 v[68:71], v25 offset:48
	s_wait_dscnt 0x0
	v_lshrrev_b32_e32 v24, 16, v68
	v_and_b32_e32 v21, 0xffff, v68
	;;#ASMSTART
	v_cvt_f32_f16 v112, v21;
	;;#ASMEND
	;;#ASMSTART
	v_cvt_f32_f16 v113, v24;
	;;#ASMEND
	scratch_load_b32 v24, off, s32 offset:244 th:TH_LOAD_LU ; 4-byte Folded Reload
	v_lshrrev_b32_e32 v0, 16, v69
	v_and_b32_e32 v1, 0xffff, v69
	v_lshrrev_b32_e32 v14, 16, v70
	v_and_b32_e32 v15, 0xffff, v70
	s_wait_loadcnt 0x0
	v_or_b32_e32 v21, v24, v46
	v_fma_mixlo_f16 v24, v33, v24, 0 op_sel:[0,1,0] op_sel_hi:[0,1,0]
	s_delay_alu instid0(VALU_DEP_2) | instskip(NEXT) | instid1(VALU_DEP_2)
	v_fma_mixlo_f16 v21, v33, v21, 0 op_sel_hi:[0,1,0]
	v_and_b32_e32 v24, 0xffff, v24
	s_delay_alu instid0(VALU_DEP_2)
	v_and_b32_e32 v21, 0xffff, v21
	;;#ASMSTART
	v_cvt_f32_f16 v120, v21;
	;;#ASMEND
	;;#ASMSTART
	v_cvt_f32_f16 v121, v24;
	;;#ASMEND
	;; [unrolled: 3-line block ×4, first 2 shown]
	s_clause 0x1
	scratch_load_b32 v0, off, s32 offset:240 th:TH_LOAD_LU
	scratch_load_b32 v1, off, s32 offset:252 th:TH_LOAD_LU
	v_lshrrev_b32_e32 v21, 16, v71
	v_pk_fma_f32 v[112:113], v[112:113], v[120:121], v[26:27]
	v_and_b32_e32 v24, 0xffff, v71
	s_wait_loadcnt 0x0
	v_or_b32_e32 v0, v1, v0
	v_fma_mixlo_f16 v1, v33, v1, 0 op_sel:[0,1,0] op_sel_hi:[0,1,0]
	s_delay_alu instid0(VALU_DEP_2) | instskip(NEXT) | instid1(VALU_DEP_2)
	v_fma_mixlo_f16 v0, v33, v0, 0 op_sel_hi:[0,1,0]
	v_and_b32_e32 v1, 0xffff, v1
	s_delay_alu instid0(VALU_DEP_2)
	v_and_b32_e32 v0, 0xffff, v0
	;;#ASMSTART
	v_cvt_f32_f16 v45, v0;
	;;#ASMEND
	;;#ASMSTART
	v_cvt_f32_f16 v44, v1;
	;;#ASMEND
	;; [unrolled: 3-line block ×4, first 2 shown]
	s_clause 0x1
	scratch_load_b32 v0, off, s32 offset:248 th:TH_LOAD_LU
	scratch_load_b32 v1, off, s32 offset:260 th:TH_LOAD_LU
	v_pk_fma_f32 v[86:87], v[86:87], v[44:45], v[64:65]
	s_wait_loadcnt 0x0
	v_or_b32_e32 v0, v1, v0
	v_fma_mixlo_f16 v1, v33, v1, 0 op_sel:[0,1,0] op_sel_hi:[0,1,0]
	s_delay_alu instid0(VALU_DEP_2) | instskip(NEXT) | instid1(VALU_DEP_2)
	v_fma_mixlo_f16 v0, v33, v0, 0 op_sel_hi:[0,1,0]
	v_and_b32_e32 v1, 0xffff, v1
	s_delay_alu instid0(VALU_DEP_2)
	v_and_b32_e32 v0, 0xffff, v0
	;;#ASMSTART
	v_cvt_f32_f16 v51, v0;
	;;#ASMEND
	;;#ASMSTART
	v_cvt_f32_f16 v50, v1;
	;;#ASMEND
	;; [unrolled: 3-line block ×4, first 2 shown]
	s_clause 0x1
	scratch_load_b32 v0, off, s32 offset:256 th:TH_LOAD_LU
	scratch_load_b32 v1, off, s32 offset:268 th:TH_LOAD_LU
	v_pk_fma_f32 v[26:27], v[26:27], v[50:51], v[10:11]
	s_wait_loadcnt 0x0
	v_or_b32_e32 v0, v1, v0
	v_fma_mixlo_f16 v1, v33, v1, 0 op_sel:[0,1,0] op_sel_hi:[0,1,0]
	s_delay_alu instid0(VALU_DEP_2) | instskip(NEXT) | instid1(VALU_DEP_2)
	v_fma_mixlo_f16 v0, v33, v0, 0 op_sel_hi:[0,1,0]
	v_and_b32_e32 v21, 0xffff, v1
	s_delay_alu instid0(VALU_DEP_2)
	v_and_b32_e32 v0, 0xffff, v0
	;;#ASMSTART
	v_cvt_f32_f16 v1, v0;
	;;#ASMEND
	;;#ASMSTART
	v_cvt_f32_f16 v0, v21;
	;;#ASMEND
	ds_load_b128 v[68:71], v25 offset:64
	s_wait_dscnt 0x0
	v_and_b32_e32 v21, 0xffff, v68
	v_lshrrev_b32_e32 v24, 16, v68
	;;#ASMSTART
	v_cvt_f32_f16 v120, v21;
	;;#ASMEND
	;;#ASMSTART
	v_cvt_f32_f16 v121, v24;
	;;#ASMEND
	s_clause 0x1
	scratch_load_b32 v21, off, s32 offset:264 th:TH_LOAD_LU
	scratch_load_b32 v24, off, s32 offset:276 th:TH_LOAD_LU
	v_lshrrev_b32_e32 v28, 16, v70
	v_and_b32_e32 v29, 0xffff, v70
	v_lshrrev_b32_e32 v64, 16, v71
	v_and_b32_e32 v65, 0xffff, v71
	s_wait_loadcnt 0x0
	v_or_b32_e32 v21, v24, v21
	v_fma_mixlo_f16 v24, v33, v24, 0 op_sel:[0,1,0] op_sel_hi:[0,1,0]
	s_delay_alu instid0(VALU_DEP_2) | instskip(NEXT) | instid1(VALU_DEP_2)
	v_fma_mixlo_f16 v21, v33, v21, 0 op_sel_hi:[0,1,0]
	v_and_b32_e32 v24, 0xffff, v24
	s_delay_alu instid0(VALU_DEP_2)
	v_and_b32_e32 v21, 0xffff, v21
	;;#ASMSTART
	v_cvt_f32_f16 v46, v21;
	;;#ASMEND
	;;#ASMSTART
	v_cvt_f32_f16 v47, v24;
	;;#ASMEND
	v_lshrrev_b32_e32 v21, 16, v69
	v_and_b32_e32 v24, 0xffff, v69
	;;#ASMSTART
	v_cvt_f32_f16 v39, v24;
	;;#ASMEND
	;;#ASMSTART
	v_cvt_f32_f16 v38, v21;
	;;#ASMEND
	s_clause 0x1
	scratch_load_b32 v21, off, s32 offset:272 th:TH_LOAD_LU
	scratch_load_b32 v24, off, s32 offset:284 th:TH_LOAD_LU
	v_pk_fma_f32 v[112:113], v[120:121], v[46:47], v[112:113]
	s_wait_loadcnt 0x0
	v_or_b32_e32 v21, v24, v21
	v_fma_mixlo_f16 v24, v33, v24, 0 op_sel:[0,1,0] op_sel_hi:[0,1,0]
	s_delay_alu instid0(VALU_DEP_2) | instskip(NEXT) | instid1(VALU_DEP_2)
	v_fma_mixlo_f16 v21, v33, v21, 0 op_sel_hi:[0,1,0]
	v_and_b32_e32 v24, 0xffff, v24
	s_delay_alu instid0(VALU_DEP_2)
	v_and_b32_e32 v21, 0xffff, v21
	;;#ASMSTART
	v_cvt_f32_f16 v49, v21;
	;;#ASMEND
	;;#ASMSTART
	v_cvt_f32_f16 v48, v24;
	;;#ASMEND
	;; [unrolled: 3-line block ×4, first 2 shown]
	s_clause 0x1
	scratch_load_b32 v21, off, s32 offset:280 th:TH_LOAD_LU
	scratch_load_b32 v24, off, s32 offset:292 th:TH_LOAD_LU
	v_pk_fma_f32 v[38:39], v[38:39], v[48:49], v[86:87]
	v_pk_fma_f32 v[48:49], v[2:3], v[54:55], v[4:5]
	s_delay_alu instid0(VALU_DEP_1) | instskip(SKIP_3) | instid1(VALU_DEP_2)
	v_pk_fma_f32 v[14:15], v[14:15], v[0:1], v[48:49]
	s_wait_loadcnt 0x0
	v_or_b32_e32 v21, v24, v21
	v_fma_mixlo_f16 v24, v33, v24, 0 op_sel:[0,1,0] op_sel_hi:[0,1,0]
	v_fma_mixlo_f16 v21, v33, v21, 0 op_sel_hi:[0,1,0]
	s_delay_alu instid0(VALU_DEP_2) | instskip(NEXT) | instid1(VALU_DEP_2)
	v_and_b32_e32 v24, 0xffff, v24
	v_and_b32_e32 v21, 0xffff, v21
	;;#ASMSTART
	v_cvt_f32_f16 v69, v21;
	;;#ASMEND
	;;#ASMSTART
	v_cvt_f32_f16 v68, v24;
	;;#ASMEND
	;; [unrolled: 3-line block ×4, first 2 shown]
	s_clause 0x1
	scratch_load_b32 v21, off, s32 offset:288 th:TH_LOAD_LU
	scratch_load_b32 v24, off, s32 offset:300 th:TH_LOAD_LU
	v_pk_fma_f32 v[26:27], v[52:53], v[68:69], v[26:27]
	s_wait_loadcnt 0x0
	v_or_b32_e32 v21, v24, v21
	v_fma_mixlo_f16 v24, v33, v24, 0 op_sel:[0,1,0] op_sel_hi:[0,1,0]
	s_delay_alu instid0(VALU_DEP_2) | instskip(NEXT) | instid1(VALU_DEP_2)
	v_fma_mixlo_f16 v21, v33, v21, 0 op_sel_hi:[0,1,0]
	v_and_b32_e32 v24, 0xffff, v24
	s_delay_alu instid0(VALU_DEP_2)
	v_and_b32_e32 v21, 0xffff, v21
	;;#ASMSTART
	v_cvt_f32_f16 v71, v21;
	;;#ASMEND
	;;#ASMSTART
	v_cvt_f32_f16 v70, v24;
	;;#ASMEND
	ds_load_b128 v[64:67], v25 offset:80
	v_pk_fma_f32 v[14:15], v[28:29], v[70:71], v[14:15]
	s_wait_dscnt 0x0
	v_and_b32_e32 v21, 0xffff, v64
	v_lshrrev_b32_e32 v24, 16, v64
	;;#ASMSTART
	v_cvt_f32_f16 v44, v21;
	;;#ASMEND
	;;#ASMSTART
	v_cvt_f32_f16 v45, v24;
	;;#ASMEND
	s_clause 0x1
	scratch_load_b32 v21, off, s32 offset:296 th:TH_LOAD_LU
	scratch_load_b32 v24, off, s32 offset:308 th:TH_LOAD_LU
	v_lshrrev_b32_e32 v2, 16, v65
	v_and_b32_e32 v3, 0xffff, v65
	v_lshrrev_b32_e32 v4, 16, v66
	v_and_b32_e32 v5, 0xffff, v66
	v_lshrrev_b32_e32 v10, 16, v67
	v_and_b32_e32 v11, 0xffff, v67
	s_wait_loadcnt 0x0
	v_or_b32_e32 v21, v24, v21
	v_fma_mixlo_f16 v24, v33, v24, 0 op_sel:[0,1,0] op_sel_hi:[0,1,0]
	s_delay_alu instid0(VALU_DEP_2) | instskip(NEXT) | instid1(VALU_DEP_2)
	v_fma_mixlo_f16 v21, v33, v21, 0 op_sel_hi:[0,1,0]
	v_and_b32_e32 v24, 0xffff, v24
	s_delay_alu instid0(VALU_DEP_2)
	v_and_b32_e32 v21, 0xffff, v21
	;;#ASMSTART
	v_cvt_f32_f16 v46, v21;
	;;#ASMEND
	;;#ASMSTART
	v_cvt_f32_f16 v47, v24;
	;;#ASMEND
	;; [unrolled: 3-line block ×4, first 2 shown]
	s_clause 0x1
	scratch_load_b32 v2, off, s32 offset:304 th:TH_LOAD_LU
	scratch_load_b32 v3, off, s32 offset:316 th:TH_LOAD_LU
	v_pk_fma_f32 v[112:113], v[44:45], v[46:47], v[112:113]
	s_wait_loadcnt 0x0
	v_or_b32_e32 v2, v3, v2
	v_fma_mixlo_f16 v3, v33, v3, 0 op_sel:[0,1,0] op_sel_hi:[0,1,0]
	s_delay_alu instid0(VALU_DEP_2) | instskip(NEXT) | instid1(VALU_DEP_2)
	v_fma_mixlo_f16 v2, v33, v2, 0 op_sel_hi:[0,1,0]
	v_and_b32_e32 v3, 0xffff, v3
	s_delay_alu instid0(VALU_DEP_2)
	v_and_b32_e32 v2, 0xffff, v2
	;;#ASMSTART
	v_cvt_f32_f16 v55, v2;
	;;#ASMEND
	;;#ASMSTART
	v_cvt_f32_f16 v54, v3;
	;;#ASMEND
	;; [unrolled: 3-line block ×4, first 2 shown]
	s_clause 0x1
	scratch_load_b32 v2, off, s32 offset:312 th:TH_LOAD_LU
	scratch_load_b32 v3, off, s32 offset:324 th:TH_LOAD_LU
	v_pk_fma_f32 v[38:39], v[50:51], v[54:55], v[38:39]
	s_wait_loadcnt 0x0
	v_or_b32_e32 v2, v3, v2
	v_fma_mixlo_f16 v3, v33, v3, 0 op_sel:[0,1,0] op_sel_hi:[0,1,0]
	s_delay_alu instid0(VALU_DEP_2) | instskip(NEXT) | instid1(VALU_DEP_2)
	v_fma_mixlo_f16 v2, v33, v2, 0 op_sel_hi:[0,1,0]
	v_and_b32_e32 v3, 0xffff, v3
	s_delay_alu instid0(VALU_DEP_2)
	v_and_b32_e32 v2, 0xffff, v2
	;;#ASMSTART
	v_cvt_f32_f16 v67, v2;
	;;#ASMEND
	;;#ASMSTART
	v_cvt_f32_f16 v66, v3;
	;;#ASMEND
	;; [unrolled: 3-line block ×4, first 2 shown]
	s_clause 0x1
	scratch_load_b32 v2, off, s32 offset:320 th:TH_LOAD_LU
	scratch_load_b32 v3, off, s32 offset:332 th:TH_LOAD_LU
	s_wait_loadcnt 0x0
	v_or_b32_e32 v2, v3, v2
	v_fma_mixlo_f16 v3, v33, v3, 0 op_sel:[0,1,0] op_sel_hi:[0,1,0]
	s_delay_alu instid0(VALU_DEP_2) | instskip(NEXT) | instid1(VALU_DEP_2)
	v_fma_mixlo_f16 v2, v33, v2, 0 op_sel_hi:[0,1,0]
	v_and_b32_e32 v3, 0xffff, v3
	s_delay_alu instid0(VALU_DEP_2)
	v_and_b32_e32 v2, 0xffff, v2
	;;#ASMSTART
	v_cvt_f32_f16 v87, v2;
	;;#ASMEND
	;;#ASMSTART
	v_cvt_f32_f16 v86, v3;
	;;#ASMEND
	ds_load_b128 v[2:5], v25 offset:96
	v_pk_fma_f32 v[10:11], v[10:11], v[86:87], v[14:15]
	s_wait_dscnt 0x0
	v_and_b32_e32 v21, 0xffff, v2
	v_lshrrev_b32_e32 v2, 16, v2
	;;#ASMSTART
	v_cvt_f32_f16 v44, v21;
	;;#ASMEND
	;;#ASMSTART
	v_cvt_f32_f16 v45, v2;
	;;#ASMEND
	s_clause 0x1
	scratch_load_b32 v2, off, s32 offset:328 th:TH_LOAD_LU
	scratch_load_b32 v21, off, s32 offset:340 th:TH_LOAD_LU
	v_lshrrev_b32_e32 v0, 16, v3
	v_and_b32_e32 v1, 0xffff, v3
	v_and_b32_e32 v3, 0xffff, v4
	s_wait_loadcnt 0x0
	v_or_b32_e32 v2, v21, v2
	v_fma_mixlo_f16 v21, v33, v21, 0 op_sel:[0,1,0] op_sel_hi:[0,1,0]
	s_delay_alu instid0(VALU_DEP_2) | instskip(NEXT) | instid1(VALU_DEP_2)
	v_fma_mixlo_f16 v2, v33, v2, 0 op_sel_hi:[0,1,0]
	v_and_b32_e32 v21, 0xffff, v21
	s_delay_alu instid0(VALU_DEP_2)
	v_and_b32_e32 v2, 0xffff, v2
	;;#ASMSTART
	v_cvt_f32_f16 v46, v2;
	;;#ASMEND
	;;#ASMSTART
	v_cvt_f32_f16 v47, v21;
	;;#ASMEND
	;; [unrolled: 3-line block ×4, first 2 shown]
	s_clause 0x1
	scratch_load_b32 v0, off, s32 offset:336 th:TH_LOAD_LU
	scratch_load_b32 v1, off, s32 offset:348 th:TH_LOAD_LU
	v_dual_lshrrev_b32 v2, 16, v4 :: v_dual_lshrrev_b32 v4, 16, v5
	v_and_b32_e32 v5, 0xffff, v5
	v_pk_fma_f32 v[112:113], v[44:45], v[46:47], v[112:113]
	s_wait_loadcnt 0x0
	v_or_b32_e32 v0, v1, v0
	v_fma_mixlo_f16 v1, v33, v1, 0 op_sel:[0,1,0] op_sel_hi:[0,1,0]
	s_delay_alu instid0(VALU_DEP_2) | instskip(NEXT) | instid1(VALU_DEP_2)
	v_fma_mixlo_f16 v0, v33, v0, 0 op_sel_hi:[0,1,0]
	v_and_b32_e32 v1, 0xffff, v1
	s_delay_alu instid0(VALU_DEP_2)
	v_and_b32_e32 v0, 0xffff, v0
	;;#ASMSTART
	v_cvt_f32_f16 v51, v0;
	;;#ASMEND
	;;#ASMSTART
	v_cvt_f32_f16 v50, v1;
	;;#ASMEND
	;;#ASMSTART
	v_cvt_f32_f16 v53, v3;
	;;#ASMEND
	;;#ASMSTART
	v_cvt_f32_f16 v52, v2;
	;;#ASMEND
	s_clause 0x1
	scratch_load_b32 v0, off, s32 offset:344 th:TH_LOAD_LU
	scratch_load_b32 v1, off, s32 offset:356 th:TH_LOAD_LU
	v_pk_fma_f32 v[38:39], v[48:49], v[50:51], v[38:39]
	v_pk_fma_f32 v[48:49], v[64:65], v[66:67], v[26:27]
	s_wait_loadcnt 0x0
	v_or_b32_e32 v0, v1, v0
	v_fma_mixlo_f16 v1, v33, v1, 0 op_sel:[0,1,0] op_sel_hi:[0,1,0]
	s_delay_alu instid0(VALU_DEP_2) | instskip(NEXT) | instid1(VALU_DEP_2)
	v_fma_mixlo_f16 v0, v33, v0, 0 op_sel_hi:[0,1,0]
	v_and_b32_e32 v1, 0xffff, v1
	s_delay_alu instid0(VALU_DEP_2)
	v_and_b32_e32 v0, 0xffff, v0
	;;#ASMSTART
	v_cvt_f32_f16 v55, v0;
	;;#ASMEND
	;;#ASMSTART
	v_cvt_f32_f16 v54, v1;
	;;#ASMEND
	;; [unrolled: 3-line block ×4, first 2 shown]
	s_clause 0x1
	scratch_load_b32 v0, off, s32 offset:352 th:TH_LOAD_LU
	scratch_load_b32 v1, off, s32 offset:364 th:TH_LOAD_LU
	v_pk_fma_f32 v[48:49], v[52:53], v[54:55], v[48:49]
	s_wait_loadcnt 0x0
	v_or_b32_e32 v0, v1, v0
	v_fma_mixlo_f16 v1, v33, v1, 0 op_sel:[0,1,0] op_sel_hi:[0,1,0]
	s_delay_alu instid0(VALU_DEP_2) | instskip(NEXT) | instid1(VALU_DEP_2)
	v_fma_mixlo_f16 v0, v33, v0, 0 op_sel_hi:[0,1,0]
	v_and_b32_e32 v1, 0xffff, v1
	s_delay_alu instid0(VALU_DEP_2)
	v_and_b32_e32 v0, 0xffff, v0
	;;#ASMSTART
	v_cvt_f32_f16 v69, v0;
	;;#ASMEND
	;;#ASMSTART
	v_cvt_f32_f16 v68, v1;
	;;#ASMEND
	ds_load_b128 v[0:3], v25 offset:112
	v_pk_fma_f32 v[4:5], v[4:5], v[68:69], v[10:11]
	s_wait_dscnt 0x0
	v_and_b32_e32 v21, 0xffff, v0
	v_lshrrev_b32_e32 v0, 16, v0
	;;#ASMSTART
	v_cvt_f32_f16 v44, v21;
	;;#ASMEND
	;;#ASMSTART
	v_cvt_f32_f16 v45, v0;
	;;#ASMEND
	s_clause 0x1
	scratch_load_b32 v0, off, s32 offset:360 th:TH_LOAD_LU
	scratch_load_b32 v21, off, s32 offset:372 th:TH_LOAD_LU
	v_and_b32_e32 v24, 0xffff, v2
	v_lshrrev_b32_e32 v26, 16, v3
	v_and_b32_e32 v27, 0xffff, v3
	s_wait_loadcnt 0x0
	v_or_b32_e32 v0, v21, v0
	v_fma_mixlo_f16 v21, v33, v21, 0 op_sel:[0,1,0] op_sel_hi:[0,1,0]
	s_delay_alu instid0(VALU_DEP_2) | instskip(NEXT) | instid1(VALU_DEP_2)
	v_fma_mixlo_f16 v0, v33, v0, 0 op_sel_hi:[0,1,0]
	v_and_b32_e32 v21, 0xffff, v21
	s_delay_alu instid0(VALU_DEP_2)
	v_and_b32_e32 v0, 0xffff, v0
	;;#ASMSTART
	v_cvt_f32_f16 v46, v0;
	;;#ASMEND
	v_lshrrev_b32_e32 v0, 16, v1
	v_and_b32_e32 v1, 0xffff, v1
	;;#ASMSTART
	v_cvt_f32_f16 v47, v21;
	;;#ASMEND
	v_lshrrev_b32_e32 v21, 16, v2
	;;#ASMSTART
	v_cvt_f32_f16 v1, v1;
	;;#ASMEND
	;;#ASMSTART
	v_cvt_f32_f16 v0, v0;
	;;#ASMEND
	s_clause 0x1
	scratch_load_b32 v2, off, s32 offset:368 th:TH_LOAD_LU
	scratch_load_b32 v3, off, s32 offset:380 th:TH_LOAD_LU
	v_pk_fma_f32 v[112:113], v[44:45], v[46:47], v[112:113]
	s_wait_loadcnt 0x0
	v_or_b32_e32 v2, v3, v2
	v_fma_mixlo_f16 v3, v33, v3, 0 op_sel:[0,1,0] op_sel_hi:[0,1,0]
	s_delay_alu instid0(VALU_DEP_2) | instskip(NEXT) | instid1(VALU_DEP_2)
	v_fma_mixlo_f16 v2, v33, v2, 0 op_sel_hi:[0,1,0]
	v_and_b32_e32 v3, 0xffff, v3
	s_delay_alu instid0(VALU_DEP_2)
	v_and_b32_e32 v2, 0xffff, v2
	;;#ASMSTART
	v_cvt_f32_f16 v51, v2;
	;;#ASMEND
	;;#ASMSTART
	v_cvt_f32_f16 v50, v3;
	;;#ASMEND
	;; [unrolled: 3-line block ×4, first 2 shown]
	s_clause 0x1
	scratch_load_b32 v2, off, s32 offset:376 th:TH_LOAD_LU
	scratch_load_b32 v3, off, s32 offset:388 th:TH_LOAD_LU
	v_pk_fma_f32 v[38:39], v[0:1], v[50:51], v[38:39]
	s_wait_loadcnt 0x0
	v_or_b32_e32 v2, v3, v2
	v_fma_mixlo_f16 v3, v33, v3, 0 op_sel:[0,1,0] op_sel_hi:[0,1,0]
	s_delay_alu instid0(VALU_DEP_2) | instskip(NEXT) | instid1(VALU_DEP_2)
	v_fma_mixlo_f16 v2, v33, v2, 0 op_sel_hi:[0,1,0]
	v_and_b32_e32 v3, 0xffff, v3
	s_delay_alu instid0(VALU_DEP_2)
	v_and_b32_e32 v2, 0xffff, v2
	;;#ASMSTART
	v_cvt_f32_f16 v67, v2;
	;;#ASMEND
	;;#ASMSTART
	v_cvt_f32_f16 v66, v3;
	;;#ASMEND
	;; [unrolled: 3-line block ×4, first 2 shown]
	s_clause 0x1
	scratch_load_b32 v21, off, s32 offset:384 th:TH_LOAD_LU
	scratch_load_b32 v24, off, s32 offset:396 th:TH_LOAD_LU
	s_wait_loadcnt 0x0
	v_or_b32_e32 v21, v24, v21
	v_fma_mixlo_f16 v24, v33, v24, 0 op_sel:[0,1,0] op_sel_hi:[0,1,0]
	s_delay_alu instid0(VALU_DEP_2) | instskip(NEXT) | instid1(VALU_DEP_2)
	v_fma_mixlo_f16 v21, v33, v21, 0 op_sel_hi:[0,1,0]
	v_and_b32_e32 v24, 0xffff, v24
	s_delay_alu instid0(VALU_DEP_2)
	v_and_b32_e32 v21, 0xffff, v21
	;;#ASMSTART
	v_cvt_f32_f16 v71, v21;
	;;#ASMEND
	;;#ASMSTART
	v_cvt_f32_f16 v70, v24;
	;;#ASMEND
	ds_load_b128 v[26:29], v25 offset:128
	s_wait_dscnt 0x0
	v_and_b32_e32 v21, 0xffff, v26
	v_lshrrev_b32_e32 v24, 16, v26
	;;#ASMSTART
	v_cvt_f32_f16 v44, v21;
	;;#ASMEND
	;;#ASMSTART
	v_cvt_f32_f16 v45, v24;
	;;#ASMEND
	s_clause 0x1
	scratch_load_b32 v21, off, s32 offset:392 th:TH_LOAD_LU
	scratch_load_b32 v24, off, s32 offset:404 th:TH_LOAD_LU
	v_lshrrev_b32_e32 v0, 16, v27
	v_and_b32_e32 v1, 0xffff, v27
	v_lshrrev_b32_e32 v26, 16, v29
	v_and_b32_e32 v27, 0xffff, v29
	s_wait_loadcnt 0x0
	v_or_b32_e32 v21, v24, v21
	v_fma_mixlo_f16 v24, v33, v24, 0 op_sel:[0,1,0] op_sel_hi:[0,1,0]
	s_delay_alu instid0(VALU_DEP_2) | instskip(NEXT) | instid1(VALU_DEP_2)
	v_fma_mixlo_f16 v21, v33, v21, 0 op_sel_hi:[0,1,0]
	v_and_b32_e32 v24, 0xffff, v24
	s_delay_alu instid0(VALU_DEP_2)
	v_and_b32_e32 v21, 0xffff, v21
	;;#ASMSTART
	v_cvt_f32_f16 v46, v21;
	;;#ASMEND
	;;#ASMSTART
	v_cvt_f32_f16 v47, v24;
	;;#ASMEND
	;; [unrolled: 3-line block ×4, first 2 shown]
	s_clause 0x1
	scratch_load_b32 v0, off, s32 offset:400 th:TH_LOAD_LU
	scratch_load_b32 v1, off, s32 offset:412 th:TH_LOAD_LU
	v_lshrrev_b32_e32 v21, 16, v28
	v_and_b32_e32 v24, 0xffff, v28
	v_pk_fma_f32 v[112:113], v[44:45], v[46:47], v[112:113]
	s_wait_loadcnt 0x0
	v_or_b32_e32 v0, v1, v0
	v_fma_mixlo_f16 v1, v33, v1, 0 op_sel:[0,1,0] op_sel_hi:[0,1,0]
	s_delay_alu instid0(VALU_DEP_2) | instskip(NEXT) | instid1(VALU_DEP_2)
	v_fma_mixlo_f16 v0, v33, v0, 0 op_sel_hi:[0,1,0]
	v_and_b32_e32 v1, 0xffff, v1
	s_delay_alu instid0(VALU_DEP_2)
	v_and_b32_e32 v0, 0xffff, v0
	;;#ASMSTART
	v_cvt_f32_f16 v51, v0;
	;;#ASMEND
	;;#ASMSTART
	v_cvt_f32_f16 v50, v1;
	;;#ASMEND
	;; [unrolled: 3-line block ×4, first 2 shown]
	s_clause 0x1
	scratch_load_b32 v0, off, s32 offset:408 th:TH_LOAD_LU
	scratch_load_b32 v1, off, s32 offset:420 th:TH_LOAD_LU
	v_fma_mixlo_f16 v24, v33, v93, 0 op_sel:[0,1,0] op_sel_hi:[0,1,0]
	v_pk_fma_f32 v[14:15], v[14:15], v[50:51], v[38:39]
	v_pk_fma_f32 v[38:39], v[64:65], v[66:67], v[48:49]
	s_delay_alu instid0(VALU_DEP_3) | instskip(SKIP_3) | instid1(VALU_DEP_2)
	v_and_b32_e32 v24, 0xffff, v24
	s_wait_loadcnt 0x0
	v_or_b32_e32 v0, v1, v0
	v_fma_mixlo_f16 v1, v33, v1, 0 op_sel:[0,1,0] op_sel_hi:[0,1,0]
	v_fma_mixlo_f16 v0, v33, v0, 0 op_sel_hi:[0,1,0]
	s_delay_alu instid0(VALU_DEP_2) | instskip(NEXT) | instid1(VALU_DEP_2)
	v_and_b32_e32 v1, 0xffff, v1
	v_and_b32_e32 v0, 0xffff, v0
	;;#ASMSTART
	v_cvt_f32_f16 v55, v0;
	;;#ASMEND
	;;#ASMSTART
	v_cvt_f32_f16 v54, v1;
	;;#ASMEND
	;; [unrolled: 3-line block ×4, first 2 shown]
	scratch_load_b32 v21, off, s32 offset:416 th:TH_LOAD_LU ; 4-byte Folded Reload
	s_wait_loadcnt 0x0
	v_or_b32_e32 v21, v93, v21
	s_delay_alu instid0(VALU_DEP_1) | instskip(NEXT) | instid1(VALU_DEP_1)
	v_fma_mixlo_f16 v21, v33, v21, 0 op_sel_hi:[0,1,0]
	v_and_b32_e32 v21, 0xffff, v21
	;;#ASMSTART
	v_cvt_f32_f16 v87, v21;
	;;#ASMEND
	;;#ASMSTART
	v_cvt_f32_f16 v86, v24;
	;;#ASMEND
	ds_load_b128 v[26:29], v25 offset:144
	s_wait_dscnt 0x0
	v_and_b32_e32 v21, 0xffff, v26
	v_lshrrev_b32_e32 v24, 16, v26
	;;#ASMSTART
	v_cvt_f32_f16 v44, v21;
	;;#ASMEND
	;;#ASMSTART
	v_cvt_f32_f16 v45, v24;
	;;#ASMEND
	scratch_load_b32 v21, off, s32 offset:424 th:TH_LOAD_LU ; 4-byte Folded Reload
	v_lshrrev_b32_e32 v10, 16, v27
	v_fma_mixlo_f16 v24, v33, v109, 0 op_sel:[0,1,0] op_sel_hi:[0,1,0]
	v_and_b32_e32 v11, 0xffff, v27
	v_lshrrev_b32_e32 v26, 16, v28
	v_and_b32_e32 v27, 0xffff, v28
	v_lshrrev_b32_e32 v28, 16, v29
	v_and_b32_e32 v24, 0xffff, v24
	v_and_b32_e32 v29, 0xffff, v29
	s_wait_loadcnt 0x0
	v_or_b32_e32 v21, v109, v21
	s_delay_alu instid0(VALU_DEP_1) | instskip(NEXT) | instid1(VALU_DEP_1)
	v_fma_mixlo_f16 v21, v33, v21, 0 op_sel_hi:[0,1,0]
	v_and_b32_e32 v21, 0xffff, v21
	;;#ASMSTART
	v_cvt_f32_f16 v46, v21;
	;;#ASMEND
	;;#ASMSTART
	v_cvt_f32_f16 v47, v24;
	;;#ASMEND
	;; [unrolled: 3-line block ×4, first 2 shown]
	scratch_load_b32 v21, off, s32 offset:428 th:TH_LOAD_LU ; 4-byte Folded Reload
	v_fma_mixlo_f16 v24, v33, v91, 0 op_sel:[0,1,0] op_sel_hi:[0,1,0]
	v_pk_fma_f32 v[112:113], v[44:45], v[46:47], v[112:113]
	s_delay_alu instid0(VALU_DEP_2) | instskip(SKIP_2) | instid1(VALU_DEP_1)
	v_and_b32_e32 v24, 0xffff, v24
	s_wait_loadcnt 0x0
	v_or_b32_e32 v21, v91, v21
	v_fma_mixlo_f16 v21, v33, v21, 0 op_sel_hi:[0,1,0]
	s_delay_alu instid0(VALU_DEP_1)
	v_and_b32_e32 v21, 0xffff, v21
	;;#ASMSTART
	v_cvt_f32_f16 v49, v21;
	;;#ASMEND
	;;#ASMSTART
	v_cvt_f32_f16 v48, v24;
	;;#ASMEND
	;; [unrolled: 3-line block ×4, first 2 shown]
	scratch_load_b32 v21, off, s32 offset:432 th:TH_LOAD_LU ; 4-byte Folded Reload
	v_fma_mixlo_f16 v24, v33, v42, 0 op_sel:[0,1,0] op_sel_hi:[0,1,0]
	v_pk_fma_f32 v[10:11], v[10:11], v[48:49], v[14:15]
	v_pk_fma_f32 v[14:15], v[52:53], v[54:55], v[38:39]
	;; [unrolled: 1-line block ×3, first 2 shown]
	s_delay_alu instid0(VALU_DEP_4) | instskip(NEXT) | instid1(VALU_DEP_2)
	v_and_b32_e32 v24, 0xffff, v24
	v_pk_fma_f32 v[0:1], v[0:1], v[86:87], v[38:39]
	s_wait_loadcnt 0x0
	v_or_b32_e32 v21, v42, v21
	s_delay_alu instid0(VALU_DEP_1) | instskip(NEXT) | instid1(VALU_DEP_1)
	v_fma_mixlo_f16 v21, v33, v21, 0 op_sel_hi:[0,1,0]
	v_and_b32_e32 v21, 0xffff, v21
	;;#ASMSTART
	v_cvt_f32_f16 v65, v21;
	;;#ASMEND
	;;#ASMSTART
	v_cvt_f32_f16 v64, v24;
	;;#ASMEND
	;; [unrolled: 3-line block ×4, first 2 shown]
	scratch_load_b32 v21, off, s32 offset:436 th:TH_LOAD_LU ; 4-byte Folded Reload
	v_fma_mixlo_f16 v24, v33, v119, 0 op_sel:[0,1,0] op_sel_hi:[0,1,0]
	v_pk_fma_f32 v[14:15], v[50:51], v[64:65], v[14:15]
	s_delay_alu instid0(VALU_DEP_2) | instskip(SKIP_2) | instid1(VALU_DEP_1)
	v_and_b32_e32 v24, 0xffff, v24
	s_wait_loadcnt 0x0
	v_or_b32_e32 v21, v119, v21
	v_fma_mixlo_f16 v21, v33, v21, 0 op_sel_hi:[0,1,0]
	s_delay_alu instid0(VALU_DEP_1)
	v_and_b32_e32 v21, 0xffff, v21
	;;#ASMSTART
	v_cvt_f32_f16 v69, v21;
	;;#ASMEND
	;;#ASMSTART
	v_cvt_f32_f16 v68, v24;
	;;#ASMEND
	ds_load_b128 v[26:29], v25 offset:160
	v_pk_fma_f32 v[0:1], v[66:67], v[68:69], v[0:1]
	s_wait_dscnt 0x0
	v_and_b32_e32 v21, 0xffff, v26
	v_lshrrev_b32_e32 v24, 16, v26
	;;#ASMSTART
	v_cvt_f32_f16 v44, v21;
	;;#ASMEND
	;;#ASMSTART
	v_cvt_f32_f16 v45, v24;
	;;#ASMEND
	scratch_load_b32 v21, off, s32 offset:440 th:TH_LOAD_LU ; 4-byte Folded Reload
	v_lshrrev_b32_e32 v2, 16, v27
	v_fma_mixlo_f16 v24, v33, v57, 0 op_sel:[0,1,0] op_sel_hi:[0,1,0]
	v_and_b32_e32 v3, 0xffff, v27
	v_lshrrev_b32_e32 v4, 16, v28
	v_and_b32_e32 v5, 0xffff, v28
	s_delay_alu instid0(VALU_DEP_4) | instskip(SKIP_2) | instid1(VALU_DEP_1)
	v_and_b32_e32 v24, 0xffff, v24
	s_wait_loadcnt 0x0
	v_or_b32_e32 v21, v57, v21
	v_fma_mixlo_f16 v21, v33, v21, 0 op_sel_hi:[0,1,0]
	s_delay_alu instid0(VALU_DEP_1)
	v_and_b32_e32 v21, 0xffff, v21
	;;#ASMSTART
	v_cvt_f32_f16 v46, v21;
	;;#ASMEND
	;;#ASMSTART
	v_cvt_f32_f16 v47, v24;
	;;#ASMEND
	;; [unrolled: 3-line block ×4, first 2 shown]
	scratch_load_b32 v2, off, s32 offset:444 th:TH_LOAD_LU ; 4-byte Folded Reload
	v_lshrrev_b32_e32 v21, 16, v29
	v_fma_mixlo_f16 v3, v33, v43, 0 op_sel:[0,1,0] op_sel_hi:[0,1,0]
	v_and_b32_e32 v24, 0xffff, v29
	v_pk_fma_f32 v[112:113], v[44:45], v[46:47], v[112:113]
	s_delay_alu instid0(VALU_DEP_3) | instskip(SKIP_2) | instid1(VALU_DEP_1)
	v_and_b32_e32 v3, 0xffff, v3
	s_wait_loadcnt 0x0
	v_or_b32_e32 v2, v43, v2
	v_fma_mixlo_f16 v2, v33, v2, 0 op_sel_hi:[0,1,0]
	s_delay_alu instid0(VALU_DEP_1)
	v_and_b32_e32 v2, 0xffff, v2
	;;#ASMSTART
	v_cvt_f32_f16 v29, v2;
	;;#ASMEND
	;;#ASMSTART
	v_cvt_f32_f16 v28, v3;
	;;#ASMEND
	;; [unrolled: 3-line block ×4, first 2 shown]
	scratch_load_b32 v2, off, s32 offset:448 th:TH_LOAD_LU ; 4-byte Folded Reload
	v_fma_mixlo_f16 v3, v33, v116, 0 op_sel:[0,1,0] op_sel_hi:[0,1,0]
	v_pk_fma_f32 v[10:11], v[26:27], v[28:29], v[10:11]
	s_delay_alu instid0(VALU_DEP_2) | instskip(SKIP_2) | instid1(VALU_DEP_1)
	v_and_b32_e32 v3, 0xffff, v3
	s_wait_loadcnt 0x0
	v_or_b32_e32 v2, v116, v2
	v_fma_mixlo_f16 v2, v33, v2, 0 op_sel_hi:[0,1,0]
	s_delay_alu instid0(VALU_DEP_1)
	v_and_b32_e32 v2, 0xffff, v2
	;;#ASMSTART
	v_cvt_f32_f16 v55, v2;
	;;#ASMEND
	;;#ASMSTART
	v_cvt_f32_f16 v54, v3;
	;;#ASMEND
	;; [unrolled: 3-line block ×4, first 2 shown]
	scratch_load_b32 v2, off, s32 offset:452 th:TH_LOAD_LU ; 4-byte Folded Reload
	v_fma_mixlo_f16 v3, v33, v100, 0 op_sel:[0,1,0] op_sel_hi:[0,1,0]
	v_fma_mixlo_f16 v24, v33, v82, 0 op_sel:[0,1,0] op_sel_hi:[0,1,0]
	s_delay_alu instid0(VALU_DEP_2) | instskip(NEXT) | instid1(VALU_DEP_2)
	v_and_b32_e32 v3, 0xffff, v3
	v_and_b32_e32 v24, 0xffff, v24
	s_wait_loadcnt 0x0
	v_or_b32_e32 v2, v100, v2
	s_delay_alu instid0(VALU_DEP_1) | instskip(NEXT) | instid1(VALU_DEP_1)
	v_fma_mixlo_f16 v2, v33, v2, 0 op_sel_hi:[0,1,0]
	v_and_b32_e32 v2, 0xffff, v2
	;;#ASMSTART
	v_cvt_f32_f16 v117, v2;
	;;#ASMEND
	;;#ASMSTART
	v_cvt_f32_f16 v116, v3;
	;;#ASMEND
	ds_load_b128 v[2:5], v25 offset:176
	v_pk_fma_f32 v[0:1], v[70:71], v[116:117], v[0:1]
	s_wait_dscnt 0x0
	v_and_b32_e32 v21, 0xffff, v2
	v_lshrrev_b32_e32 v2, 16, v2
	;;#ASMSTART
	v_cvt_f32_f16 v52, v21;
	;;#ASMEND
	;;#ASMSTART
	v_cvt_f32_f16 v53, v2;
	;;#ASMEND
	scratch_load_b32 v2, off, s32 offset:456 th:TH_LOAD_LU ; 4-byte Folded Reload
	v_fma_mixlo_f16 v21, v33, v115, 0 op_sel:[0,1,0] op_sel_hi:[0,1,0]
	s_delay_alu instid0(VALU_DEP_1) | instskip(SKIP_2) | instid1(VALU_DEP_1)
	v_and_b32_e32 v21, 0xffff, v21
	s_wait_loadcnt 0x0
	v_or_b32_e32 v2, v115, v2
	v_fma_mixlo_f16 v2, v33, v2, 0 op_sel_hi:[0,1,0]
	s_delay_alu instid0(VALU_DEP_1)
	v_and_b32_e32 v2, 0xffff, v2
	;;#ASMSTART
	v_cvt_f32_f16 v42, v2;
	;;#ASMEND
	;;#ASMSTART
	v_cvt_f32_f16 v43, v21;
	;;#ASMEND
	v_and_b32_e32 v2, 0xffff, v3
	v_lshrrev_b32_e32 v21, 16, v3
	;;#ASMSTART
	v_cvt_f32_f16 v3, v2;
	;;#ASMEND
	;;#ASMSTART
	v_cvt_f32_f16 v2, v21;
	;;#ASMEND
	scratch_load_b32 v21, off, s32 offset:464 th:TH_LOAD_LU ; 4-byte Folded Reload
	v_pk_fma_f32 v[52:53], v[52:53], v[42:43], v[112:113]
	s_wait_loadcnt 0x0
	v_or_b32_e32 v21, v82, v21
	s_delay_alu instid0(VALU_DEP_1) | instskip(NEXT) | instid1(VALU_DEP_1)
	v_fma_mixlo_f16 v21, v33, v21, 0 op_sel_hi:[0,1,0]
	v_and_b32_e32 v21, 0xffff, v21
	;;#ASMSTART
	v_cvt_f32_f16 v27, v21;
	;;#ASMEND
	;;#ASMSTART
	v_cvt_f32_f16 v26, v24;
	;;#ASMEND
	v_pk_fma_f32 v[50:51], v[2:3], v[26:27], v[10:11]
	v_and_b32_e32 v10, 0xffff, v4
	v_lshrrev_b32_e32 v4, 16, v4
	;;#ASMSTART
	v_cvt_f32_f16 v11, v10;
	;;#ASMEND
	;;#ASMSTART
	v_cvt_f32_f16 v10, v4;
	;;#ASMEND
	scratch_load_b32 v4, off, s32 offset:472 th:TH_LOAD_LU ; 4-byte Folded Reload
	v_pk_fma_f32 v[2:3], v[48:49], v[54:55], v[14:15]
	v_fma_mixlo_f16 v14, v33, v98, 0 op_sel:[0,1,0] op_sel_hi:[0,1,0]
	s_delay_alu instid0(VALU_DEP_1) | instskip(SKIP_2) | instid1(VALU_DEP_1)
	v_and_b32_e32 v14, 0xffff, v14
	s_wait_loadcnt 0x0
	v_or_b32_e32 v4, v98, v4
	v_fma_mixlo_f16 v4, v33, v4, 0 op_sel_hi:[0,1,0]
	s_delay_alu instid0(VALU_DEP_1)
	v_and_b32_e32 v4, 0xffff, v4
	;;#ASMSTART
	v_cvt_f32_f16 v15, v4;
	;;#ASMEND
	;;#ASMSTART
	v_cvt_f32_f16 v14, v14;
	;;#ASMEND
	v_pk_fma_f32 v[48:49], v[10:11], v[14:15], v[2:3]
	scratch_load_b32 v2, off, s32 offset:480 th:TH_LOAD_LU ; 4-byte Folded Reload
	v_fma_mixlo_f16 v3, v33, v114, 0 op_sel:[0,1,0] op_sel_hi:[0,1,0]
	v_and_b32_e32 v4, 0xffff, v5
	v_lshrrev_b32_e32 v5, 16, v5
	s_delay_alu instid0(VALU_DEP_3) | instskip(SKIP_3) | instid1(VALU_DEP_1)
	v_and_b32_e32 v11, 0xffff, v3
	;;#ASMSTART
	v_cvt_f32_f16 v3, v4;
	;;#ASMEND
	s_wait_loadcnt 0x0
	v_or_b32_e32 v2, v114, v2
	v_fma_mixlo_f16 v2, v33, v2, 0 op_sel_hi:[0,1,0]
	s_delay_alu instid0(VALU_DEP_1)
	v_and_b32_e32 v10, 0xffff, v2
	;;#ASMSTART
	v_cvt_f32_f16 v2, v5;
	;;#ASMEND
	;;#ASMSTART
	v_cvt_f32_f16 v5, v10;
	;;#ASMEND
	;; [unrolled: 3-line block ×3, first 2 shown]
	v_pk_fma_f32 v[38:39], v[2:3], v[4:5], v[0:1]
	scratch_load_b32 v0, off, s32 offset:488 th:TH_LOAD_LU ; 4-byte Folded Reload
	ds_load_b128 v[2:5], v25 offset:192
	v_fma_mixlo_f16 v1, v33, v118, 0 op_sel:[0,1,0] op_sel_hi:[0,1,0]
	s_delay_alu instid0(VALU_DEP_1)
	v_and_b32_e32 v1, 0xffff, v1
	s_wait_dscnt 0x0
	v_and_b32_e32 v10, 0xffff, v2
	v_lshrrev_b32_e32 v2, 16, v2
	;;#ASMSTART
	v_cvt_f32_f16 v54, v10;
	;;#ASMEND
	;;#ASMSTART
	v_cvt_f32_f16 v55, v2;
	;;#ASMEND
	v_and_b32_e32 v2, 0xffff, v3
	v_lshrrev_b32_e32 v3, 16, v3
	v_and_b32_e32 v14, 0xffff, v4
	v_dual_lshrrev_b32 v4, 16, v4 :: v_dual_lshrrev_b32 v15, 16, v5
	v_and_b32_e32 v5, 0xffff, v5
	s_wait_loadcnt 0x0
	v_or_b32_e32 v0, v118, v0
	s_delay_alu instid0(VALU_DEP_1) | instskip(NEXT) | instid1(VALU_DEP_1)
	v_fma_mixlo_f16 v0, v33, v0, 0 op_sel_hi:[0,1,0]
	v_and_b32_e32 v0, 0xffff, v0
	;;#ASMSTART
	v_cvt_f32_f16 v64, v0;
	;;#ASMEND
	;;#ASMSTART
	v_cvt_f32_f16 v65, v1;
	;;#ASMEND
	scratch_load_b32 v0, off, s32 offset:460 th:TH_LOAD_LU ; 4-byte Folded Reload
	v_fma_mixlo_f16 v1, v33, v90, 0 op_sel:[0,1,0] op_sel_hi:[0,1,0]
	v_pk_fma_f32 v[10:11], v[54:55], v[64:65], v[52:53]
	s_wait_loadcnt 0x0
	v_or_b32_e32 v0, v90, v0
	s_delay_alu instid0(VALU_DEP_1) | instskip(NEXT) | instid1(VALU_DEP_1)
	v_fma_mixlo_f16 v0, v33, v0, 0 op_sel_hi:[0,1,0]
	v_and_b32_e32 v21, 0xffff, v0
	scratch_load_b32 v0, off, s32 offset:468 th:TH_LOAD_LU ; 4-byte Folded Reload
	;;#ASMSTART
	v_cvt_f32_f16 v117, v2;
	;;#ASMEND
	v_and_b32_e32 v2, 0xffff, v1
	;;#ASMSTART
	v_cvt_f32_f16 v116, v3;
	;;#ASMEND
	;;#ASMSTART
	v_cvt_f32_f16 v119, v21;
	;;#ASMEND
	scratch_load_b32 v1, off, s32 offset:476 th:TH_LOAD_LU ; 4-byte Folded Reload
	;;#ASMSTART
	v_cvt_f32_f16 v118, v2;
	;;#ASMEND
	v_fma_mixlo_f16 v2, v33, v84, 0 op_sel:[0,1,0] op_sel_hi:[0,1,0]
	;;#ASMSTART
	v_cvt_f32_f16 v43, v14;
	;;#ASMEND
	;;#ASMSTART
	v_cvt_f32_f16 v42, v4;
	;;#ASMEND
	v_fma_mixlo_f16 v14, v33, v108, 0 op_sel:[0,1,0] op_sel_hi:[0,1,0]
	s_delay_alu instid0(VALU_DEP_2) | instskip(SKIP_2) | instid1(VALU_DEP_1)
	v_and_b32_e32 v2, 0xffff, v2
	s_wait_loadcnt 0x1
	v_or_b32_e32 v0, v84, v0
	v_fma_mixlo_f16 v0, v33, v0, 0 op_sel_hi:[0,1,0]
	s_wait_loadcnt 0x0
	v_or_b32_e32 v1, v102, v1
	s_delay_alu instid0(VALU_DEP_2) | instskip(NEXT) | instid1(VALU_DEP_2)
	v_and_b32_e32 v3, 0xffff, v0
	v_fma_mixlo_f16 v0, v33, v1, 0 op_sel_hi:[0,1,0]
	v_fma_mixlo_f16 v1, v33, v102, 0 op_sel:[0,1,0] op_sel_hi:[0,1,0]
	;;#ASMSTART
	v_cvt_f32_f16 v45, v3;
	;;#ASMEND
	;;#ASMSTART
	v_cvt_f32_f16 v44, v2;
	;;#ASMEND
	;; [unrolled: 3-line block ×3, first 2 shown]
	v_and_b32_e32 v0, 0xffff, v0
	v_and_b32_e32 v1, 0xffff, v1
	;;#ASMSTART
	v_cvt_f32_f16 v52, v15;
	;;#ASMEND
	;;#ASMSTART
	v_cvt_f32_f16 v55, v0;
	;;#ASMEND
	;; [unrolled: 3-line block ×3, first 2 shown]
	ds_load_b128 v[0:3], v25 offset:208
	v_and_b32_e32 v15, 0xffff, v14
	s_wait_dscnt 0x0
	v_and_b32_e32 v4, 0xffff, v0
	v_lshrrev_b32_e32 v0, 16, v0
	;;#ASMSTART
	v_cvt_f32_f16 v4, v4;
	;;#ASMEND
	;;#ASMSTART
	v_cvt_f32_f16 v5, v0;
	;;#ASMEND
	scratch_load_b32 v0, off, s32 offset:484 th:TH_LOAD_LU ; 4-byte Folded Reload
	s_wait_loadcnt 0x0
	v_or_b32_e32 v0, v108, v0
	s_delay_alu instid0(VALU_DEP_1) | instskip(NEXT) | instid1(VALU_DEP_1)
	v_fma_mixlo_f16 v0, v33, v0, 0 op_sel_hi:[0,1,0]
	v_and_b32_e32 v0, 0xffff, v0
	;;#ASMSTART
	v_cvt_f32_f16 v14, v0;
	;;#ASMEND
	v_lshrrev_b32_e32 v0, 16, v1
	;;#ASMSTART
	v_cvt_f32_f16 v15, v15;
	;;#ASMEND
	v_and_b32_e32 v1, 0xffff, v1
	;;#ASMSTART
	v_cvt_f32_f16 v47, v1;
	;;#ASMEND
	;;#ASMSTART
	v_cvt_f32_f16 v46, v0;
	;;#ASMEND
	scratch_load_b32 v0, off, s32 offset:492 th:TH_LOAD_LU ; 4-byte Folded Reload
	v_pk_fma_f32 v[4:5], v[4:5], v[14:15], v[10:11]
	v_fma_mixlo_f16 v1, v33, v56, 0 op_sel:[0,1,0] op_sel_hi:[0,1,0]
	v_lshrrev_b32_e32 v10, 16, v2
	v_and_b32_e32 v2, 0xffff, v2
	v_lshrrev_b32_e32 v11, 16, v3
	v_and_b32_e32 v3, 0xffff, v3
	v_and_b32_e32 v1, 0xffff, v1
	v_fma_mixlo_f16 v14, v33, v78, 0 op_sel:[0,1,0] op_sel_hi:[0,1,0]
	s_delay_alu instid0(VALU_DEP_1) | instskip(SKIP_2) | instid1(VALU_DEP_1)
	v_and_b32_e32 v15, 0xffff, v14
	s_wait_loadcnt 0x0
	v_or_b32_e32 v0, v56, v0
	v_fma_mixlo_f16 v0, v33, v0, 0 op_sel_hi:[0,1,0]
	s_delay_alu instid0(VALU_DEP_1)
	v_and_b32_e32 v0, 0xffff, v0
	;;#ASMSTART
	v_cvt_f32_f16 v57, v0;
	;;#ASMEND
	;;#ASMSTART
	v_cvt_f32_f16 v56, v1;
	;;#ASMEND
	;; [unrolled: 3-line block ×4, first 2 shown]
	scratch_load_b32 v0, off, s32 offset:496 th:TH_LOAD_LU ; 4-byte Folded Reload
	v_fma_mixlo_f16 v1, v33, v62, 0 op_sel:[0,1,0] op_sel_hi:[0,1,0]
	s_delay_alu instid0(VALU_DEP_1) | instskip(SKIP_2) | instid1(VALU_DEP_1)
	v_and_b32_e32 v1, 0xffff, v1
	s_wait_loadcnt 0x0
	v_or_b32_e32 v0, v62, v0
	v_fma_mixlo_f16 v0, v33, v0, 0 op_sel_hi:[0,1,0]
	s_delay_alu instid0(VALU_DEP_1)
	v_and_b32_e32 v0, 0xffff, v0
	;;#ASMSTART
	v_cvt_f32_f16 v115, v0;
	;;#ASMEND
	;;#ASMSTART
	v_cvt_f32_f16 v114, v1;
	;;#ASMEND
	;; [unrolled: 3-line block ×4, first 2 shown]
	scratch_load_b32 v0, off, s32 offset:500 th:TH_LOAD_LU ; 4-byte Folded Reload
	v_fma_mixlo_f16 v1, v33, v74, 0 op_sel:[0,1,0] op_sel_hi:[0,1,0]
	s_delay_alu instid0(VALU_DEP_1) | instskip(SKIP_2) | instid1(VALU_DEP_1)
	v_and_b32_e32 v1, 0xffff, v1
	s_wait_loadcnt 0x0
	v_or_b32_e32 v0, v74, v0
	v_fma_mixlo_f16 v0, v33, v0, 0 op_sel_hi:[0,1,0]
	s_delay_alu instid0(VALU_DEP_1)
	v_and_b32_e32 v0, 0xffff, v0
	;;#ASMSTART
	v_cvt_f32_f16 v67, v0;
	;;#ASMEND
	;;#ASMSTART
	v_cvt_f32_f16 v66, v1;
	;;#ASMEND
	ds_load_b128 v[0:3], v25 offset:224
	s_wait_dscnt 0x0
	v_and_b32_e32 v10, 0xffff, v0
	v_lshrrev_b32_e32 v0, 16, v0
	;;#ASMSTART
	v_cvt_f32_f16 v10, v10;
	;;#ASMEND
	;;#ASMSTART
	v_cvt_f32_f16 v11, v0;
	;;#ASMEND
	scratch_load_b32 v0, off, s32 offset:504 th:TH_LOAD_LU ; 4-byte Folded Reload
	s_wait_loadcnt 0x0
	v_or_b32_e32 v0, v78, v0
	s_delay_alu instid0(VALU_DEP_1) | instskip(NEXT) | instid1(VALU_DEP_1)
	v_fma_mixlo_f16 v0, v33, v0, 0 op_sel_hi:[0,1,0]
	v_and_b32_e32 v0, 0xffff, v0
	;;#ASMSTART
	v_cvt_f32_f16 v14, v0;
	;;#ASMEND
	v_lshrrev_b32_e32 v0, 16, v1
	;;#ASMSTART
	v_cvt_f32_f16 v15, v15;
	;;#ASMEND
	v_and_b32_e32 v1, 0xffff, v1
	;;#ASMSTART
	v_cvt_f32_f16 v91, v1;
	;;#ASMEND
	;;#ASMSTART
	v_cvt_f32_f16 v90, v0;
	;;#ASMEND
	scratch_load_b32 v0, off, s32 offset:508 th:TH_LOAD_LU ; 4-byte Folded Reload
	v_pk_fma_f32 v[10:11], v[10:11], v[14:15], v[4:5]
	v_fma_mixlo_f16 v1, v33, v92, 0 op_sel:[0,1,0] op_sel_hi:[0,1,0]
	v_lshrrev_b32_e32 v4, 16, v2
	v_and_b32_e32 v2, 0xffff, v2
	v_lshrrev_b32_e32 v14, 16, v3
	v_and_b32_e32 v15, 0xffff, v3
	v_and_b32_e32 v1, 0xffff, v1
	s_wait_loadcnt 0x0
	v_or_b32_e32 v0, v92, v0
	s_delay_alu instid0(VALU_DEP_1) | instskip(NEXT) | instid1(VALU_DEP_1)
	v_fma_mixlo_f16 v0, v33, v0, 0 op_sel_hi:[0,1,0]
	v_and_b32_e32 v0, 0xffff, v0
	;;#ASMSTART
	v_cvt_f32_f16 v93, v0;
	;;#ASMEND
	;;#ASMSTART
	v_cvt_f32_f16 v92, v1;
	;;#ASMEND
	;; [unrolled: 3-line block ×4, first 2 shown]
	scratch_load_b32 v0, off, s32 offset:512 th:TH_LOAD_LU ; 4-byte Folded Reload
	v_fma_mixlo_f16 v1, v33, v80, 0 op_sel:[0,1,0] op_sel_hi:[0,1,0]
	s_delay_alu instid0(VALU_DEP_1) | instskip(SKIP_2) | instid1(VALU_DEP_1)
	v_and_b32_e32 v1, 0xffff, v1
	s_wait_loadcnt 0x0
	v_or_b32_e32 v0, v80, v0
	v_fma_mixlo_f16 v0, v33, v0, 0 op_sel_hi:[0,1,0]
	s_delay_alu instid0(VALU_DEP_1)
	v_and_b32_e32 v0, 0xffff, v0
	;;#ASMSTART
	v_cvt_f32_f16 v5, v0;
	;;#ASMEND
	;;#ASMSTART
	v_cvt_f32_f16 v4, v1;
	;;#ASMEND
	;; [unrolled: 3-line block ×4, first 2 shown]
	scratch_load_b32 v0, off, s32 offset:516 th:TH_LOAD_LU ; 4-byte Folded Reload
	v_fma_mixlo_f16 v1, v33, v106, 0 op_sel:[0,1,0] op_sel_hi:[0,1,0]
	v_fma_mixlo_f16 v15, v33, v85, 0 op_sel:[0,1,0] op_sel_hi:[0,1,0]
	s_delay_alu instid0(VALU_DEP_2) | instskip(NEXT) | instid1(VALU_DEP_2)
	v_and_b32_e32 v1, 0xffff, v1
	v_and_b32_e32 v15, 0xffff, v15
	s_wait_loadcnt 0x0
	v_or_b32_e32 v0, v106, v0
	s_delay_alu instid0(VALU_DEP_1) | instskip(NEXT) | instid1(VALU_DEP_1)
	v_fma_mixlo_f16 v0, v33, v0, 0 op_sel_hi:[0,1,0]
	v_and_b32_e32 v0, 0xffff, v0
	;;#ASMSTART
	v_cvt_f32_f16 v71, v0;
	;;#ASMEND
	;;#ASMSTART
	v_cvt_f32_f16 v70, v1;
	;;#ASMEND
	ds_load_b128 v[26:29], v25 offset:240
	s_wait_dscnt 0x0
	v_and_b32_e32 v0, 0xffff, v26
	v_lshrrev_b32_e32 v1, 16, v26
	;;#ASMSTART
	v_cvt_f32_f16 v0, v0;
	;;#ASMEND
	;;#ASMSTART
	v_cvt_f32_f16 v1, v1;
	;;#ASMEND
	scratch_load_b32 v14, off, s32 offset:520 th:TH_LOAD_LU ; 4-byte Folded Reload
	v_lshrrev_b32_e32 v21, 16, v29
	v_and_b32_e32 v24, 0xffff, v29
	s_wait_loadcnt 0x0
	v_or_b32_e32 v14, v85, v14
	s_delay_alu instid0(VALU_DEP_1) | instskip(NEXT) | instid1(VALU_DEP_1)
	v_fma_mixlo_f16 v14, v33, v14, 0 op_sel_hi:[0,1,0]
	v_and_b32_e32 v14, 0xffff, v14
	;;#ASMSTART
	v_cvt_f32_f16 v14, v14;
	;;#ASMEND
	;;#ASMSTART
	v_cvt_f32_f16 v15, v15;
	;;#ASMEND
	s_delay_alu instid0(VALU_DEP_1)
	v_pk_fma_f32 v[0:1], v[0:1], v[14:15], v[10:11]
	v_lshrrev_b32_e32 v10, 16, v27
	v_and_b32_e32 v11, 0xffff, v27
	;;#ASMSTART
	v_cvt_f32_f16 v109, v11;
	;;#ASMEND
	;;#ASMSTART
	v_cvt_f32_f16 v108, v10;
	;;#ASMEND
	v_dual_lshrrev_b32 v14, 16, v28 :: v_dual_bitop2_b32 v10, v110, v83 bitop3:0x54
	s_delay_alu instid0(VALU_DEP_2) | instskip(SKIP_1) | instid1(VALU_DEP_3)
	v_fma_mixlo_f16 v11, v33, v110, 0 op_sel:[0,1,0] op_sel_hi:[0,1,0]
	v_and_b32_e32 v15, 0xffff, v28
	v_fma_mixlo_f16 v10, v33, v10, 0 op_sel_hi:[0,1,0]
	s_delay_alu instid0(VALU_DEP_3) | instskip(NEXT) | instid1(VALU_DEP_2)
	v_and_b32_e32 v11, 0xffff, v11
	v_and_b32_e32 v10, 0xffff, v10
	;;#ASMSTART
	v_cvt_f32_f16 v121, v10;
	;;#ASMEND
	v_or_b32_e32 v10, v99, v81
	;;#ASMSTART
	v_cvt_f32_f16 v120, v11;
	;;#ASMEND
	v_fma_mixlo_f16 v11, v33, v99, 0 op_sel:[0,1,0] op_sel_hi:[0,1,0]
	;;#ASMSTART
	v_cvt_f32_f16 v85, v15;
	;;#ASMEND
	;;#ASMSTART
	v_cvt_f32_f16 v84, v14;
	;;#ASMEND
	v_fma_mixlo_f16 v10, v33, v10, 0 op_sel_hi:[0,1,0]
	v_or_b32_e32 v14, v72, v96
	v_and_b32_e32 v11, 0xffff, v11
	v_fma_mixlo_f16 v15, v33, v72, 0 op_sel:[0,1,0] op_sel_hi:[0,1,0]
	s_delay_alu instid0(VALU_DEP_4)
	v_and_b32_e32 v10, 0xffff, v10
	;;#ASMSTART
	v_cvt_f32_f16 v87, v10;
	;;#ASMEND
	v_or_b32_e32 v10, v101, v63
	;;#ASMSTART
	v_cvt_f32_f16 v86, v11;
	;;#ASMEND
	v_fma_mixlo_f16 v11, v33, v101, 0 op_sel:[0,1,0] op_sel_hi:[0,1,0]
	;;#ASMSTART
	v_cvt_f32_f16 v81, v24;
	;;#ASMEND
	;;#ASMSTART
	v_cvt_f32_f16 v80, v21;
	;;#ASMEND
	v_fma_mixlo_f16 v10, v33, v10, 0 op_sel_hi:[0,1,0]
	v_fma_mixlo_f16 v14, v33, v14, 0 op_sel_hi:[0,1,0]
	v_and_b32_e32 v11, 0xffff, v11
	v_and_b32_e32 v15, 0xffff, v15
	s_delay_alu instid0(VALU_DEP_4)
	v_and_b32_e32 v10, 0xffff, v10
	;;#ASMSTART
	v_cvt_f32_f16 v83, v10;
	;;#ASMEND
	;;#ASMSTART
	v_cvt_f32_f16 v82, v11;
	;;#ASMEND
	ds_load_b128 v[26:29], v25 offset:256
	v_and_b32_e32 v14, 0xffff, v14
	s_wait_dscnt 0x0
	v_and_b32_e32 v10, 0xffff, v26
	v_lshrrev_b32_e32 v11, 16, v26
	;;#ASMSTART
	v_cvt_f32_f16 v10, v10;
	;;#ASMEND
	;;#ASMSTART
	v_cvt_f32_f16 v11, v11;
	;;#ASMEND
	;; [unrolled: 3-line block ×4, first 2 shown]
	v_pk_fma_f32 v[0:1], v[10:11], v[14:15], v[0:1]
	v_lshrrev_b32_e32 v10, 16, v27
	v_and_b32_e32 v11, 0xffff, v27
	;;#ASMSTART
	v_cvt_f32_f16 v63, v11;
	;;#ASMEND
	;;#ASMSTART
	v_cvt_f32_f16 v62, v10;
	;;#ASMEND
	v_dual_lshrrev_b32 v14, 16, v28 :: v_dual_bitop2_b32 v10, v73, v103 bitop3:0x54
	s_delay_alu instid0(VALU_DEP_2) | instskip(SKIP_2) | instid1(VALU_DEP_4)
	v_fma_mixlo_f16 v11, v33, v73, 0 op_sel:[0,1,0] op_sel_hi:[0,1,0]
	v_and_b32_e32 v15, 0xffff, v28
	v_lshrrev_b32_e32 v21, 16, v29
	v_fma_mixlo_f16 v10, v33, v10, 0 op_sel_hi:[0,1,0]
	v_and_b32_e32 v24, 0xffff, v29
	v_and_b32_e32 v11, 0xffff, v11
	s_delay_alu instid0(VALU_DEP_3)
	v_and_b32_e32 v10, 0xffff, v10
	;;#ASMSTART
	v_cvt_f32_f16 v73, v10;
	;;#ASMEND
	v_or_b32_e32 v10, v41, v97
	;;#ASMSTART
	v_cvt_f32_f16 v72, v11;
	;;#ASMEND
	v_fma_mixlo_f16 v11, v33, v41, 0 op_sel:[0,1,0] op_sel_hi:[0,1,0]
	;;#ASMSTART
	v_cvt_f32_f16 v101, v15;
	;;#ASMEND
	;;#ASMSTART
	v_cvt_f32_f16 v100, v14;
	;;#ASMEND
	v_fma_mixlo_f16 v10, v33, v10, 0 op_sel_hi:[0,1,0]
	v_fma_mixlo_f16 v15, v33, v88, 0 op_sel:[0,1,0] op_sel_hi:[0,1,0]
	v_and_b32_e32 v11, 0xffff, v11
	s_delay_alu instid0(VALU_DEP_3)
	v_and_b32_e32 v10, 0xffff, v10
	;;#ASMSTART
	v_cvt_f32_f16 v103, v10;
	;;#ASMEND
	;;#ASMSTART
	v_cvt_f32_f16 v102, v11;
	;;#ASMEND
	;; [unrolled: 3-line block ×4, first 2 shown]
	scratch_load_b32 v10, off, s32 offset:524 th:TH_LOAD_LU ; 4-byte Folded Reload
	v_fma_mixlo_f16 v11, v33, v79, 0 op_sel:[0,1,0] op_sel_hi:[0,1,0]
	v_and_b32_e32 v15, 0xffff, v15
	s_delay_alu instid0(VALU_DEP_2) | instskip(SKIP_2) | instid1(VALU_DEP_1)
	v_and_b32_e32 v11, 0xffff, v11
	s_wait_loadcnt 0x0
	v_or_b32_e32 v10, v79, v10
	v_fma_mixlo_f16 v10, v33, v10, 0 op_sel_hi:[0,1,0]
	s_delay_alu instid0(VALU_DEP_1)
	v_and_b32_e32 v10, 0xffff, v10
	;;#ASMSTART
	v_cvt_f32_f16 v99, v10;
	;;#ASMEND
	;;#ASMSTART
	v_cvt_f32_f16 v98, v11;
	;;#ASMEND
	ds_load_b128 v[26:29], v25 offset:272
	s_wait_dscnt 0x0
	v_and_b32_e32 v10, 0xffff, v26
	v_lshrrev_b32_e32 v11, 16, v26
	;;#ASMSTART
	v_cvt_f32_f16 v10, v10;
	;;#ASMEND
	;;#ASMSTART
	v_cvt_f32_f16 v11, v11;
	;;#ASMEND
	scratch_load_b32 v14, off, s32 offset:528 th:TH_LOAD_LU ; 4-byte Folded Reload
	v_lshrrev_b32_e32 v21, 16, v28
	v_and_b32_e32 v24, 0xffff, v28
	s_wait_loadcnt 0x0
	v_dual_lshrrev_b32 v26, 16, v29 :: v_dual_bitop2_b32 v14, v88, v14 bitop3:0x54
	s_delay_alu instid0(VALU_DEP_1) | instskip(NEXT) | instid1(VALU_DEP_1)
	v_fma_mixlo_f16 v14, v33, v14, 0 op_sel_hi:[0,1,0]
	v_and_b32_e32 v14, 0xffff, v14
	;;#ASMSTART
	v_cvt_f32_f16 v14, v14;
	;;#ASMEND
	;;#ASMSTART
	v_cvt_f32_f16 v15, v15;
	;;#ASMEND
	s_delay_alu instid0(VALU_DEP_1)
	v_pk_fma_f32 v[0:1], v[10:11], v[14:15], v[0:1]
	v_lshrrev_b32_e32 v14, 16, v27
	v_and_b32_e32 v15, 0xffff, v27
	;;#ASMSTART
	v_cvt_f32_f16 v79, v15;
	;;#ASMEND
	;;#ASMSTART
	v_cvt_f32_f16 v78, v14;
	;;#ASMEND
	v_or_b32_e32 v14, v61, v89
	v_pk_fma_f32 v[10:11], v[116:117], v[118:119], v[50:51]
	v_fma_mixlo_f16 v15, v33, v61, 0 op_sel:[0,1,0] op_sel_hi:[0,1,0]
	v_and_b32_e32 v27, 0xffff, v29
	s_delay_alu instid0(VALU_DEP_4) | instskip(NEXT) | instid1(VALU_DEP_4)
	v_fma_mixlo_f16 v14, v33, v14, 0 op_sel_hi:[0,1,0]
	v_pk_fma_f32 v[10:11], v[46:47], v[56:57], v[10:11]
	s_delay_alu instid0(VALU_DEP_4) | instskip(NEXT) | instid1(VALU_DEP_3)
	v_and_b32_e32 v15, 0xffff, v15
	v_and_b32_e32 v14, 0xffff, v14
	;;#ASMSTART
	v_cvt_f32_f16 v89, v14;
	;;#ASMEND
	v_or_b32_e32 v14, v40, v59
	;;#ASMSTART
	v_cvt_f32_f16 v88, v15;
	;;#ASMEND
	v_fma_mixlo_f16 v15, v33, v40, 0 op_sel:[0,1,0] op_sel_hi:[0,1,0]
	;;#ASMSTART
	v_cvt_f32_f16 v119, v24;
	;;#ASMEND
	;;#ASMSTART
	v_cvt_f32_f16 v118, v21;
	;;#ASMEND
	v_fma_mixlo_f16 v14, v33, v14, 0 op_sel_hi:[0,1,0]
	v_or_b32_e32 v21, v76, v75
	v_and_b32_e32 v15, 0xffff, v15
	v_fma_mixlo_f16 v24, v33, v76, 0 op_sel:[0,1,0] op_sel_hi:[0,1,0]
	v_pk_fma_f32 v[10:11], v[90:91], v[92:93], v[10:11]
	v_and_b32_e32 v14, 0xffff, v14
	;;#ASMSTART
	v_cvt_f32_f16 v41, v14;
	;;#ASMEND
	v_or_b32_e32 v14, v60, v58
	;;#ASMSTART
	v_cvt_f32_f16 v40, v15;
	;;#ASMEND
	v_fma_mixlo_f16 v15, v33, v60, 0 op_sel:[0,1,0] op_sel_hi:[0,1,0]
	;;#ASMSTART
	v_cvt_f32_f16 v51, v27;
	;;#ASMEND
	;;#ASMSTART
	v_cvt_f32_f16 v50, v26;
	;;#ASMEND
	v_fma_mixlo_f16 v14, v33, v14, 0 op_sel_hi:[0,1,0]
	v_fma_mixlo_f16 v21, v33, v21, 0 op_sel_hi:[0,1,0]
	v_and_b32_e32 v15, 0xffff, v15
	v_and_b32_e32 v24, 0xffff, v24
	v_pk_fma_f32 v[10:11], v[108:109], v[120:121], v[10:11]
	v_and_b32_e32 v14, 0xffff, v14
	;;#ASMSTART
	v_cvt_f32_f16 v117, v14;
	;;#ASMEND
	;;#ASMSTART
	v_cvt_f32_f16 v116, v15;
	;;#ASMEND
	ds_load_b128 v[26:29], v25 offset:288
	v_and_b32_e32 v21, 0xffff, v21
	s_wait_dscnt 0x0
	v_and_b32_e32 v14, 0xffff, v26
	v_lshrrev_b32_e32 v15, 16, v26
	;;#ASMSTART
	v_cvt_f32_f16 v14, v14;
	;;#ASMEND
	;;#ASMSTART
	v_cvt_f32_f16 v15, v15;
	;;#ASMEND
	;; [unrolled: 3-line block ×4, first 2 shown]
	v_pk_fma_f32 v[0:1], v[14:15], v[58:59], v[0:1]
	v_lshrrev_b32_e32 v14, 16, v27
	v_and_b32_e32 v15, 0xffff, v27
	;;#ASMSTART
	v_cvt_f32_f16 v75, v15;
	;;#ASMEND
	;;#ASMSTART
	v_cvt_f32_f16 v74, v14;
	;;#ASMEND
	v_dual_lshrrev_b32 v21, 16, v28 :: v_dual_bitop2_b32 v14, v95, v77 bitop3:0x54
	s_delay_alu instid0(VALU_DEP_2) | instskip(SKIP_2) | instid1(VALU_DEP_4)
	v_fma_mixlo_f16 v15, v33, v95, 0 op_sel:[0,1,0] op_sel_hi:[0,1,0]
	v_and_b32_e32 v24, 0xffff, v28
	v_lshrrev_b32_e32 v26, 16, v29
	v_fma_mixlo_f16 v14, v33, v14, 0 op_sel_hi:[0,1,0]
	v_and_b32_e32 v27, 0xffff, v29
	v_and_b32_e32 v15, 0xffff, v15
	s_delay_alu instid0(VALU_DEP_3)
	v_and_b32_e32 v14, 0xffff, v14
	;;#ASMSTART
	v_cvt_f32_f16 v77, v14;
	;;#ASMEND
	;;#ASMSTART
	v_cvt_f32_f16 v76, v15;
	;;#ASMEND
	;; [unrolled: 3-line block ×4, first 2 shown]
	scratch_load_b32 v14, off, s32 offset:532 th:TH_LOAD_LU ; 4-byte Folded Reload
	v_fma_mixlo_f16 v15, v33, v107, 0 op_sel:[0,1,0] op_sel_hi:[0,1,0]
	v_or_b32_e32 v21, v125, v111
	v_fma_mixlo_f16 v24, v33, v125, 0 op_sel:[0,1,0] op_sel_hi:[0,1,0]
	s_delay_alu instid0(VALU_DEP_3) | instskip(NEXT) | instid1(VALU_DEP_3)
	v_and_b32_e32 v15, 0xffff, v15
	v_fma_mixlo_f16 v21, v33, v21, 0 op_sel_hi:[0,1,0]
	s_delay_alu instid0(VALU_DEP_3) | instskip(NEXT) | instid1(VALU_DEP_2)
	v_and_b32_e32 v24, 0xffff, v24
	v_and_b32_e32 v21, 0xffff, v21
	s_wait_loadcnt 0x0
	v_or_b32_e32 v14, v107, v14
	s_delay_alu instid0(VALU_DEP_1) | instskip(NEXT) | instid1(VALU_DEP_1)
	v_fma_mixlo_f16 v14, v33, v14, 0 op_sel_hi:[0,1,0]
	v_and_b32_e32 v14, 0xffff, v14
	;;#ASMSTART
	v_cvt_f32_f16 v61, v14;
	;;#ASMEND
	;;#ASMSTART
	v_cvt_f32_f16 v60, v15;
	;;#ASMEND
	;; [unrolled: 3-line block ×4, first 2 shown]
	scratch_load_b32 v14, off, s32 offset:536 th:TH_LOAD_LU ; 4-byte Folded Reload
	v_fma_mixlo_f16 v15, v33, v123, 0 op_sel:[0,1,0] op_sel_hi:[0,1,0]
	s_delay_alu instid0(VALU_DEP_1) | instskip(SKIP_2) | instid1(VALU_DEP_1)
	v_and_b32_e32 v15, 0xffff, v15
	s_wait_loadcnt 0x0
	v_or_b32_e32 v14, v123, v14
	v_fma_mixlo_f16 v14, v33, v14, 0 op_sel_hi:[0,1,0]
	s_delay_alu instid0(VALU_DEP_1)
	v_and_b32_e32 v14, 0xffff, v14
	;;#ASMSTART
	v_cvt_f32_f16 v57, v14;
	;;#ASMEND
	;;#ASMSTART
	v_cvt_f32_f16 v56, v15;
	;;#ASMEND
	ds_load_b128 v[26:29], v25 offset:304
	s_wait_dscnt 0x0
	v_and_b32_e32 v14, 0xffff, v26
	v_lshrrev_b32_e32 v15, 16, v26
	;;#ASMSTART
	v_cvt_f32_f16 v14, v14;
	;;#ASMEND
	;;#ASMSTART
	v_cvt_f32_f16 v15, v15;
	;;#ASMEND
	;;#ASMSTART
	v_cvt_f32_f16 v106, v21;
	;;#ASMEND
	;;#ASMSTART
	v_cvt_f32_f16 v107, v24;
	;;#ASMEND
	v_pk_fma_f32 v[0:1], v[14:15], v[106:107], v[0:1]
	v_lshrrev_b32_e32 v14, 16, v27
	v_and_b32_e32 v15, 0xffff, v27
	;;#ASMSTART
	v_cvt_f32_f16 v107, v15;
	;;#ASMEND
	;;#ASMSTART
	v_cvt_f32_f16 v106, v14;
	;;#ASMEND
	v_dual_lshrrev_b32 v21, 16, v28 :: v_dual_bitop2_b32 v14, v104, v94 bitop3:0x54
	s_delay_alu instid0(VALU_DEP_2) | instskip(SKIP_2) | instid1(VALU_DEP_4)
	v_fma_mixlo_f16 v15, v33, v104, 0 op_sel:[0,1,0] op_sel_hi:[0,1,0]
	v_and_b32_e32 v24, 0xffff, v28
	v_lshrrev_b32_e32 v26, 16, v29
	v_fma_mixlo_f16 v14, v33, v14, 0 op_sel_hi:[0,1,0]
	v_and_b32_e32 v27, 0xffff, v29
	v_and_b32_e32 v15, 0xffff, v15
	s_delay_alu instid0(VALU_DEP_3)
	v_and_b32_e32 v14, 0xffff, v14
	;;#ASMSTART
	v_cvt_f32_f16 v111, v14;
	;;#ASMEND
	;;#ASMSTART
	v_cvt_f32_f16 v110, v15;
	;;#ASMEND
	;;#ASMSTART
	v_cvt_f32_f16 v95, v24;
	;;#ASMEND
	;;#ASMSTART
	v_cvt_f32_f16 v94, v21;
	;;#ASMEND
	scratch_load_b32 v14, off, s32 offset:540 th:TH_LOAD_LU ; 4-byte Folded Reload
	v_fma_mixlo_f16 v15, v33, v105, 0 op_sel:[0,1,0] op_sel_hi:[0,1,0]
	s_delay_alu instid0(VALU_DEP_1) | instskip(SKIP_2) | instid1(VALU_DEP_1)
	v_and_b32_e32 v15, 0xffff, v15
	s_wait_loadcnt 0x0
	v_or_b32_e32 v14, v105, v14
	v_fma_mixlo_f16 v14, v33, v14, 0 op_sel_hi:[0,1,0]
	s_delay_alu instid0(VALU_DEP_1)
	v_and_b32_e32 v14, 0xffff, v14
	;;#ASMSTART
	v_cvt_f32_f16 v105, v14;
	;;#ASMEND
	;;#ASMSTART
	v_cvt_f32_f16 v104, v15;
	;;#ASMEND
	;; [unrolled: 3-line block ×4, first 2 shown]
	scratch_load_b32 v14, off, s32 offset:544 th:TH_LOAD_LU ; 4-byte Folded Reload
	v_fma_mixlo_f16 v15, v33, v122, 0 op_sel:[0,1,0] op_sel_hi:[0,1,0]
	s_delay_alu instid0(VALU_DEP_1) | instskip(SKIP_2) | instid1(VALU_DEP_1)
	v_and_b32_e32 v15, 0xffff, v15
	s_wait_loadcnt 0x0
	v_or_b32_e32 v14, v122, v14
	v_fma_mixlo_f16 v14, v33, v14, 0 op_sel_hi:[0,1,0]
	s_delay_alu instid0(VALU_DEP_1)
	v_and_b32_e32 v14, 0xffff, v14
	;;#ASMSTART
	v_cvt_f32_f16 v93, v14;
	;;#ASMEND
	;;#ASMSTART
	v_cvt_f32_f16 v92, v15;
	;;#ASMEND
	ds_load_b128 v[26:29], v25 offset:320
	s_wait_dscnt 0x0
	v_and_b32_e32 v14, 0xffff, v26
	v_lshrrev_b32_e32 v15, 16, v26
	;;#ASMSTART
	v_cvt_f32_f16 v14, v14;
	;;#ASMEND
	;;#ASMSTART
	v_cvt_f32_f16 v15, v15;
	;;#ASMEND
	scratch_load_b32 v21, off, s32 offset:548 th:TH_LOAD_LU ; 4-byte Folded Reload
	v_lshrrev_b32_e32 v24, 16, v28
	v_and_b32_e32 v26, 0xffff, v28
	v_and_b32_e32 v28, 0xffff, v29
	s_wait_loadcnt 0x0
	v_or_b32_e32 v21, v7, v21
	v_fma_mixlo_f16 v7, v33, v7, 0 op_sel:[0,1,0] op_sel_hi:[0,1,0]
	s_delay_alu instid0(VALU_DEP_2) | instskip(NEXT) | instid1(VALU_DEP_2)
	v_fma_mixlo_f16 v21, v33, v21, 0 op_sel_hi:[0,1,0]
	v_and_b32_e32 v7, 0xffff, v7
	s_delay_alu instid0(VALU_DEP_2)
	v_and_b32_e32 v21, 0xffff, v21
	;;#ASMSTART
	v_cvt_f32_f16 v122, v21;
	;;#ASMEND
	;;#ASMSTART
	v_cvt_f32_f16 v123, v7;
	;;#ASMEND
	v_lshrrev_b32_e32 v7, 16, v27
	v_and_b32_e32 v21, 0xffff, v27
	;;#ASMSTART
	v_cvt_f32_f16 v121, v21;
	;;#ASMEND
	;;#ASMSTART
	v_cvt_f32_f16 v120, v7;
	;;#ASMEND
	scratch_load_b32 v7, off, s32 offset:552 th:TH_LOAD_LU ; 4-byte Folded Reload
	v_pk_fma_f32 v[0:1], v[14:15], v[122:123], v[0:1]
	v_pk_fma_f32 v[14:15], v[42:43], v[44:45], v[48:49]
	s_wait_loadcnt 0x0
	v_dual_lshrrev_b32 v27, 16, v29 :: v_dual_bitop2_b32 v7, v17, v7 bitop3:0x54
	v_fma_mixlo_f16 v17, v33, v17, 0 op_sel:[0,1,0] op_sel_hi:[0,1,0]
	s_delay_alu instid0(VALU_DEP_2) | instskip(NEXT) | instid1(VALU_DEP_2)
	v_fma_mixlo_f16 v7, v33, v7, 0 op_sel_hi:[0,1,0]
	v_and_b32_e32 v17, 0xffff, v17
	s_delay_alu instid0(VALU_DEP_2)
	v_and_b32_e32 v7, 0xffff, v7
	;;#ASMSTART
	v_cvt_f32_f16 v123, v7;
	;;#ASMEND
	;;#ASMSTART
	v_cvt_f32_f16 v122, v17;
	;;#ASMEND
	;; [unrolled: 3-line block ×4, first 2 shown]
	scratch_load_b32 v7, off, s32 offset:556 th:TH_LOAD_LU ; 4-byte Folded Reload
	s_wait_loadcnt 0x0
	v_or_b32_e32 v7, v6, v7
	v_fma_mixlo_f16 v6, v33, v6, 0 op_sel:[0,1,0] op_sel_hi:[0,1,0]
	s_delay_alu instid0(VALU_DEP_2) | instskip(NEXT) | instid1(VALU_DEP_2)
	v_fma_mixlo_f16 v7, v33, v7, 0 op_sel_hi:[0,1,0]
	v_and_b32_e32 v6, 0xffff, v6
	s_delay_alu instid0(VALU_DEP_2)
	v_and_b32_e32 v7, 0xffff, v7
	;;#ASMSTART
	v_cvt_f32_f16 v109, v7;
	;;#ASMEND
	;;#ASMSTART
	v_cvt_f32_f16 v108, v6;
	;;#ASMEND
	;; [unrolled: 3-line block ×4, first 2 shown]
	scratch_load_b32 v6, off, s32 offset:560 th:TH_LOAD_LU ; 4-byte Folded Reload
	v_fma_mixlo_f16 v7, v33, v124, 0 op_sel:[0,1,0] op_sel_hi:[0,1,0]
	s_delay_alu instid0(VALU_DEP_1) | instskip(SKIP_2) | instid1(VALU_DEP_1)
	v_and_b32_e32 v7, 0xffff, v7
	s_wait_loadcnt 0x0
	v_or_b32_e32 v6, v124, v6
	v_fma_mixlo_f16 v6, v33, v6, 0 op_sel_hi:[0,1,0]
	s_delay_alu instid0(VALU_DEP_1)
	v_and_b32_e32 v6, 0xffff, v6
	;;#ASMSTART
	v_cvt_f32_f16 v43, v6;
	;;#ASMEND
	;;#ASMSTART
	v_cvt_f32_f16 v42, v7;
	;;#ASMEND
	ds_load_b128 v[26:29], v25 offset:336
	s_wait_dscnt 0x0
	v_and_b32_e32 v6, 0xffff, v26
	v_lshrrev_b32_e32 v7, 16, v26
	;;#ASMSTART
	v_cvt_f32_f16 v124, v6;
	;;#ASMEND
	;;#ASMSTART
	v_cvt_f32_f16 v125, v7;
	;;#ASMEND
	scratch_load_b32 v6, off, s32 offset:564 th:TH_LOAD_LU ; 4-byte Folded Reload
	v_lshrrev_b32_e32 v17, 16, v28
	v_fma_mixlo_f16 v7, v33, v19, 0 op_sel:[0,1,0] op_sel_hi:[0,1,0]
	v_lshrrev_b32_e32 v21, 16, v29
	v_and_b32_e32 v24, 0xffff, v29
	s_delay_alu instid0(VALU_DEP_3) | instskip(SKIP_3) | instid1(VALU_DEP_2)
	v_and_b32_e32 v7, 0xffff, v7
	s_wait_loadcnt 0x0
	v_or_b32_e32 v6, v19, v6
	v_and_b32_e32 v19, 0xffff, v28
	v_fma_mixlo_f16 v6, v33, v6, 0 op_sel_hi:[0,1,0]
	s_delay_alu instid0(VALU_DEP_1) | instskip(SKIP_2) | instid1(VALU_DEP_1)
	v_and_b32_e32 v6, 0xffff, v6
	;;#ASMSTART
	v_cvt_f32_f16 v6, v6;
	;;#ASMEND
	;;#ASMSTART
	v_cvt_f32_f16 v7, v7;
	;;#ASMEND
	v_pk_fma_f32 v[0:1], v[124:125], v[6:7], v[0:1]
	v_pk_fma_f32 v[6:7], v[62:63], v[72:73], v[10:11]
	v_pk_fma_f32 v[10:11], v[112:113], v[114:115], v[14:15]
	v_lshrrev_b32_e32 v14, 16, v27
	v_and_b32_e32 v15, 0xffff, v27
	;;#ASMSTART
	v_cvt_f32_f16 v125, v15;
	;;#ASMEND
	;;#ASMSTART
	v_cvt_f32_f16 v124, v14;
	;;#ASMEND
	v_or_b32_e32 v14, v126, v127
	v_pk_fma_f32 v[6:7], v[78:79], v[88:89], v[6:7]
	v_fma_mixlo_f16 v15, v33, v126, 0 op_sel:[0,1,0] op_sel_hi:[0,1,0]
	s_delay_alu instid0(VALU_DEP_3) | instskip(NEXT) | instid1(VALU_DEP_3)
	v_fma_mixlo_f16 v14, v33, v14, 0 op_sel_hi:[0,1,0]
	v_pk_fma_f32 v[6:7], v[74:75], v[76:77], v[6:7]
	s_delay_alu instid0(VALU_DEP_3) | instskip(NEXT) | instid1(VALU_DEP_3)
	v_and_b32_e32 v15, 0xffff, v15
	v_and_b32_e32 v14, 0xffff, v14
	;;#ASMSTART
	v_cvt_f32_f16 v127, v14;
	;;#ASMEND
	;;#ASMSTART
	v_cvt_f32_f16 v126, v15;
	;;#ASMEND
	;; [unrolled: 3-line block ×4, first 2 shown]
	scratch_load_b32 v14, off, s32 offset:568 th:TH_LOAD_LU ; 4-byte Folded Reload
	v_fma_mixlo_f16 v15, v33, v16, 0 op_sel:[0,1,0] op_sel_hi:[0,1,0]
	s_delay_alu instid0(VALU_DEP_1) | instskip(SKIP_2) | instid1(VALU_DEP_1)
	v_and_b32_e32 v15, 0xffff, v15
	s_wait_loadcnt 0x0
	v_or_b32_e32 v14, v16, v14
	v_fma_mixlo_f16 v14, v33, v14, 0 op_sel_hi:[0,1,0]
	s_delay_alu instid0(VALU_DEP_1)
	v_and_b32_e32 v14, 0xffff, v14
	;;#ASMSTART
	v_cvt_f32_f16 v73, v14;
	;;#ASMEND
	;;#ASMSTART
	v_cvt_f32_f16 v72, v15;
	;;#ASMEND
	;;#ASMSTART
	v_cvt_f32_f16 v113, v24;
	;;#ASMEND
	;;#ASMSTART
	v_cvt_f32_f16 v112, v21;
	;;#ASMEND
	scratch_load_b32 v14, off, s32 offset:572 th:TH_LOAD_LU ; 4-byte Folded Reload
	v_fma_mixlo_f16 v15, v33, v18, 0 op_sel:[0,1,0] op_sel_hi:[0,1,0]
	s_delay_alu instid0(VALU_DEP_1) | instskip(SKIP_2) | instid1(VALU_DEP_1)
	v_and_b32_e32 v15, 0xffff, v15
	s_wait_loadcnt 0x0
	v_or_b32_e32 v14, v18, v14
	v_fma_mixlo_f16 v14, v33, v14, 0 op_sel_hi:[0,1,0]
	s_delay_alu instid0(VALU_DEP_1)
	v_and_b32_e32 v14, 0xffff, v14
	;;#ASMSTART
	v_cvt_f32_f16 v115, v14;
	;;#ASMEND
	;;#ASMSTART
	v_cvt_f32_f16 v114, v15;
	;;#ASMEND
	ds_load_b128 v[14:17], v25 offset:352
	s_wait_dscnt 0x0
	v_and_b32_e32 v18, 0xffff, v14
	v_lshrrev_b32_e32 v14, 16, v14
	;;#ASMSTART
	v_cvt_f32_f16 v18, v18;
	;;#ASMEND
	;;#ASMSTART
	v_cvt_f32_f16 v19, v14;
	;;#ASMEND
	scratch_load_b32 v14, off, s32 offset:576 th:TH_LOAD_LU ; 4-byte Folded Reload
	s_wait_loadcnt 0x0
	v_or_b32_e32 v14, v20, v14
	v_fma_mixlo_f16 v20, v33, v20, 0 op_sel:[0,1,0] op_sel_hi:[0,1,0]
	s_delay_alu instid0(VALU_DEP_2) | instskip(NEXT) | instid1(VALU_DEP_2)
	v_fma_mixlo_f16 v14, v33, v14, 0 op_sel_hi:[0,1,0]
	v_and_b32_e32 v20, 0xffff, v20
	s_delay_alu instid0(VALU_DEP_2)
	v_and_b32_e32 v14, 0xffff, v14
	;;#ASMSTART
	v_cvt_f32_f16 v26, v14;
	;;#ASMEND
	;;#ASMSTART
	v_cvt_f32_f16 v27, v20;
	;;#ASMEND
	v_pk_fma_f32 v[18:19], v[18:19], v[26:27], v[0:1]
	v_lshrrev_b32_e32 v0, 16, v15
	v_and_b32_e32 v1, 0xffff, v15
	;;#ASMSTART
	v_cvt_f32_f16 v29, v1;
	;;#ASMEND
	;;#ASMSTART
	v_cvt_f32_f16 v28, v0;
	;;#ASMEND
	scratch_load_b32 v0, off, s32 offset:580 th:TH_LOAD_LU ; 4-byte Folded Reload
	v_pk_fma_f32 v[20:21], v[2:3], v[4:5], v[10:11]
	v_fma_mixlo_f16 v1, v33, v8, 0 op_sel:[0,1,0] op_sel_hi:[0,1,0]
	v_lshrrev_b32_e32 v2, 16, v16
	v_and_b32_e32 v3, 0xffff, v16
	v_lshrrev_b32_e32 v4, 16, v17
	v_and_b32_e32 v5, 0xffff, v17
	v_and_b32_e32 v1, 0xffff, v1
	s_wait_loadcnt 0x0
	v_or_b32_e32 v0, v8, v0
	s_delay_alu instid0(VALU_DEP_1) | instskip(NEXT) | instid1(VALU_DEP_1)
	v_fma_mixlo_f16 v0, v33, v0, 0 op_sel_hi:[0,1,0]
	v_and_b32_e32 v0, 0xffff, v0
	;;#ASMSTART
	v_cvt_f32_f16 v27, v0;
	;;#ASMEND
	;;#ASMSTART
	v_cvt_f32_f16 v26, v1;
	;;#ASMEND
	;; [unrolled: 3-line block ×4, first 2 shown]
	scratch_load_b32 v0, off, s32 offset:584 th:TH_LOAD_LU ; 4-byte Folded Reload
	v_fma_mixlo_f16 v1, v33, v23, 0 op_sel:[0,1,0] op_sel_hi:[0,1,0]
	v_fma_mixlo_f16 v3, v33, v35, 0 op_sel:[0,1,0] op_sel_hi:[0,1,0]
	s_delay_alu instid0(VALU_DEP_2) | instskip(NEXT) | instid1(VALU_DEP_2)
	v_and_b32_e32 v2, 0xffff, v1
	v_and_b32_e32 v3, 0xffff, v3
	s_wait_loadcnt 0x0
	v_or_b32_e32 v0, v23, v0
	v_fma_mixlo_f16 v23, v33, v37, 0 op_sel:[0,1,0] op_sel_hi:[0,1,0]
	s_delay_alu instid0(VALU_DEP_2) | instskip(NEXT) | instid1(VALU_DEP_1)
	v_fma_mixlo_f16 v0, v33, v0, 0 op_sel_hi:[0,1,0]
	v_and_b32_e32 v0, 0xffff, v0
	;;#ASMSTART
	v_cvt_f32_f16 v1, v0;
	;;#ASMEND
	;;#ASMSTART
	v_cvt_f32_f16 v0, v2;
	;;#ASMEND
	;; [unrolled: 3-line block ×4, first 2 shown]
	scratch_load_b32 v2, off, s32 offset:588 th:TH_LOAD_LU ; 4-byte Folded Reload
	s_wait_loadcnt 0x0
	v_or_b32_e32 v2, v35, v2
	s_delay_alu instid0(VALU_DEP_1) | instskip(NEXT) | instid1(VALU_DEP_1)
	v_fma_mixlo_f16 v2, v33, v2, 0 op_sel_hi:[0,1,0]
	v_and_b32_e32 v2, 0xffff, v2
	;;#ASMSTART
	v_cvt_f32_f16 v15, v2;
	;;#ASMEND
	;;#ASMSTART
	v_cvt_f32_f16 v14, v3;
	;;#ASMEND
	ds_load_b128 v[2:5], v25 offset:368
	s_wait_dscnt 0x0
	v_and_b32_e32 v8, 0xffff, v2
	v_lshrrev_b32_e32 v2, 16, v2
	;;#ASMSTART
	v_cvt_f32_f16 v10, v8;
	;;#ASMEND
	;;#ASMSTART
	v_cvt_f32_f16 v11, v2;
	;;#ASMEND
	scratch_load_b32 v2, off, s32 offset:592 th:TH_LOAD_LU ; 4-byte Folded Reload
	v_fma_mixlo_f16 v8, v33, v34, 0 op_sel:[0,1,0] op_sel_hi:[0,1,0]
	s_delay_alu instid0(VALU_DEP_1) | instskip(SKIP_2) | instid1(VALU_DEP_1)
	v_and_b32_e32 v8, 0xffff, v8
	s_wait_loadcnt 0x0
	v_or_b32_e32 v2, v34, v2
	v_fma_mixlo_f16 v2, v33, v2, 0 op_sel_hi:[0,1,0]
	s_delay_alu instid0(VALU_DEP_1)
	v_and_b32_e32 v2, 0xffff, v2
	;;#ASMSTART
	v_cvt_f32_f16 v16, v2;
	;;#ASMEND
	;;#ASMSTART
	v_cvt_f32_f16 v17, v8;
	;;#ASMEND
	scratch_load_b32 v2, off, s32 offset:652 ; 4-byte Folded Reload
	v_pk_fma_f32 v[10:11], v[10:11], v[16:17], v[18:19]
	v_pk_fma_f32 v[16:17], v[52:53], v[54:55], v[38:39]
	v_or_b32_e32 v8, v30, v13
	v_pk_fma_f32 v[18:19], v[84:85], v[86:87], v[20:21]
	v_fma_mixlo_f16 v20, v33, v30, 0 op_sel:[0,1,0] op_sel_hi:[0,1,0]
	v_fma_mixlo_f16 v30, v33, v9, 0 op_sel_hi:[0,1,0]
	s_delay_alu instid0(VALU_DEP_4) | instskip(SKIP_3) | instid1(VALU_DEP_3)
	v_fma_mixlo_f16 v21, v33, v8, 0 op_sel_hi:[0,1,0]
	v_pk_fma_f32 v[8:9], v[64:65], v[66:67], v[16:17]
	v_lshrrev_b32_e32 v16, 16, v3
	v_and_b32_e32 v20, 0xffff, v20
	v_pk_fma_f32 v[8:9], v[68:69], v[70:71], v[8:9]
	s_delay_alu instid0(VALU_DEP_1) | instskip(NEXT) | instid1(VALU_DEP_1)
	v_pk_fma_f32 v[8:9], v[80:81], v[82:83], v[8:9]
	v_pk_fma_f32 v[8:9], v[96:97], v[98:99], v[8:9]
	s_delay_alu instid0(VALU_DEP_1) | instskip(NEXT) | instid1(VALU_DEP_1)
	v_pk_fma_f32 v[8:9], v[50:51], v[116:117], v[8:9]
	v_pk_fma_f32 v[8:9], v[46:47], v[56:57], v[8:9]
	s_delay_alu instid0(VALU_DEP_1) | instskip(SKIP_2) | instid1(VALU_DEP_1)
	v_pk_fma_f32 v[8:9], v[90:91], v[92:93], v[8:9]
	s_wait_loadcnt 0x0
	v_add_nc_u32_e32 v2, v2, v32
	v_cvt_f32_i32_e32 v13, v2
	v_or_b32_e32 v2, v37, v36
	s_delay_alu instid0(VALU_DEP_1)
	v_fma_mixlo_f16 v24, v33, v2, 0 op_sel_hi:[0,1,0]
	v_and_b32_e32 v33, 0xffff, v3
	v_pk_fma_f32 v[2:3], v[106:107], v[110:111], v[6:7]
	v_pk_fma_f32 v[6:7], v[100:101], v[102:103], v[18:19]
	v_and_b32_e32 v18, 0xffff, v21
	;;#ASMSTART
	v_cvt_f32_f16 v17, v33;
	;;#ASMEND
	;;#ASMSTART
	v_cvt_f32_f16 v16, v16;
	;;#ASMEND
	v_pk_fma_f32 v[2:3], v[120:121], v[122:123], v[2:3]
	v_pk_fma_f32 v[6:7], v[118:119], v[40:41], v[6:7]
	;;#ASMSTART
	v_cvt_f32_f16 v19, v18;
	;;#ASMEND
	;;#ASMSTART
	v_cvt_f32_f16 v18, v20;
	;;#ASMEND
	v_and_b32_e32 v20, 0xffff, v4
	v_pk_fma_f32 v[2:3], v[124:125], v[126:127], v[2:3]
	v_pk_fma_f32 v[6:7], v[58:59], v[60:61], v[6:7]
	v_lshrrev_b32_e32 v4, 16, v4
	s_delay_alu instid0(VALU_DEP_3) | instskip(NEXT) | instid1(VALU_DEP_3)
	v_pk_fma_f32 v[2:3], v[28:29], v[26:27], v[2:3]
	v_pk_fma_f32 v[6:7], v[94:95], v[104:105], v[6:7]
	s_delay_alu instid0(VALU_DEP_2) | instskip(NEXT) | instid1(VALU_DEP_2)
	v_pk_fma_f32 v[2:3], v[16:17], v[18:19], v[2:3]
	v_pk_fma_f32 v[6:7], v[44:45], v[108:109], v[6:7]
	;;#ASMSTART
	v_cvt_f32_f16 v17, v20;
	;;#ASMEND
	;;#ASMSTART
	v_cvt_f32_f16 v16, v4;
	;;#ASMEND
	v_add_f32_e32 v4, v10, v11
	v_and_b32_e32 v18, 0xffff, v24
	v_pk_fma_f32 v[6:7], v[62:63], v[72:73], v[6:7]
	v_and_b32_e32 v19, 0xffff, v23
	;;#ASMSTART
	v_cvt_f32_f16 v11, v18;
	;;#ASMEND
	v_add_f32_e32 v3, v4, v3
	;;#ASMSTART
	v_cvt_f32_f16 v10, v19;
	;;#ASMEND
	v_pk_fma_f32 v[0:1], v[88:89], v[0:1], v[6:7]
	v_pk_fma_f32 v[6:7], v[48:49], v[42:43], v[8:9]
	v_and_b32_e32 v8, 0xffff, v5
	v_dual_add_f32 v2, v2, v3 :: v_dual_lshrrev_b32 v9, 16, v5
	s_delay_alu instid0(VALU_DEP_4) | instskip(NEXT) | instid1(VALU_DEP_4)
	v_pk_fma_f32 v[0:1], v[16:17], v[10:11], v[0:1]
	v_pk_fma_f32 v[4:5], v[112:113], v[114:115], v[6:7]
	;;#ASMSTART
	v_cvt_f32_f16 v3, v8;
	;;#ASMEND
	v_and_b32_e32 v6, 0xffff, v30
	v_and_b32_e32 v8, 0xffff, v22
	v_add_f32_e32 v1, v2, v1
	v_pk_fma_f32 v[4:5], v[78:79], v[14:15], v[4:5]
	;;#ASMSTART
	v_cvt_f32_f16 v2, v9;
	;;#ASMEND
	;;#ASMSTART
	v_cvt_f32_f16 v7, v6;
	;;#ASMEND
	;; [unrolled: 3-line block ×3, first 2 shown]
	v_add_f32_e32 v0, v0, v1
	v_pk_fma_f32 v[2:3], v[2:3], v[6:7], v[4:5]
	s_clause 0x2
	scratch_load_b32 v1, off, s32 offset:628
	scratch_load_b32 v26, off, s32 offset:616 th:TH_LOAD_LU
	scratch_load_b32 v27, off, s32 offset:620
	v_add_f32_e32 v0, v0, v3
	scratch_load_b32 v3, off, s32 offset:640 ; 4-byte Folded Reload
	v_add_f32_e32 v0, v2, v0
	scratch_load_b32 v2, off, s32 offset:624 ; 4-byte Folded Reload
	s_wait_loadcnt 0x4
	v_mul_f32_e32 v1, v1, v13
	s_delay_alu instid0(VALU_DEP_1) | instskip(SKIP_1) | instid1(VALU_DEP_1)
	v_cndmask_b32_e32 v1, 0, v1, vcc_lo
	s_wait_loadcnt 0x1
	v_fmac_f32_e32 v1, v3, v0
	s_wait_loadcnt 0x0
	v_add_nc_u32_e32 v2, v2, v32
	v_max_num_f32_e32 v0, v26, v26
	s_delay_alu instid0(VALU_DEP_2) | instskip(SKIP_1) | instid1(VALU_DEP_2)
	v_cmp_lt_i32_e64 s1, v2, v12
	s_wait_kmcnt 0x0
	v_dual_add_nc_u32 v2, s16, v27 :: v_dual_max_num_f32 v0, v0, v1
	s_delay_alu instid0(VALU_DEP_1)
	v_dual_cndmask_b32 v1, 0, v1, s1 :: v_dual_cndmask_b32 v26, v26, v0, s1
	ds_store_b32 v2, v1
.LBB285_14:                             ;   in Loop: Header=BB285_15 Depth=1
	s_wait_xcnt 0x0
	s_or_b32 exec_lo, exec_lo, s2
	scratch_load_b32 v0, off, s32 offset:200 ; 4-byte Folded Reload
	v_add_nc_u32_e32 v31, 4, v31
	v_add_nc_u32_e32 v32, 0x80, v32
	;; [unrolled: 1-line block ×3, first 2 shown]
	s_wait_loadcnt 0x0
	s_delay_alu instid0(VALU_DEP_3)
	v_cmp_ge_i32_e64 s1, v31, v0
	scratch_load_b64 v[0:1], off, s32 offset:204 ; 8-byte Folded Reload
	s_or_b32 s15, s1, s15
	s_wait_loadcnt 0x0
	v_add_nc_u64_e32 v[0:1], 16, v[0:1]
	scratch_store_b64 off, v[0:1], s32 offset:204 ; 8-byte Folded Spill
	s_wait_xcnt 0x0
	s_and_not1_b32 exec_lo, exec_lo, s15
	s_cbranch_execz .LBB285_1551
.LBB285_15:                             ; =>This Inner Loop Header: Depth=1
	s_clause 0x1
	scratch_load_b64 v[0:1], off, s32 offset:216
	scratch_load_b32 v4, off, s32 offset:212
	v_mov_b32_e32 v33, v25
	s_wait_loadcnt 0x1
	s_delay_alu instid0(VALU_DEP_1) | instskip(SKIP_1) | instid1(VALU_DEP_1)
	v_mul_u64_e32 v[0:1], v[32:33], v[0:1]
	s_wait_loadcnt 0x0
	v_mul_lo_u32 v0, v1, v4
	s_delay_alu instid0(VALU_DEP_1) | instskip(NEXT) | instid1(VALU_DEP_1)
	v_dual_sub_nc_u32 v0, v32, v0 :: v_dual_add_nc_u32 v2, 1, v1
	v_sub_nc_u32_e32 v3, v0, v4
	v_cmp_ge_u32_e64 s1, v0, v4
	s_delay_alu instid0(VALU_DEP_1) | instskip(NEXT) | instid1(VALU_DEP_1)
	v_dual_cndmask_b32 v1, v1, v2, s1 :: v_dual_cndmask_b32 v0, v0, v3, s1
	v_add_nc_u32_e32 v2, 1, v1
	s_delay_alu instid0(VALU_DEP_2)
	v_cmp_ge_u32_e64 s1, v0, v4
	scratch_load_b32 v4, off, s32 offset:604 ; 4-byte Folded Reload
	v_cndmask_b32_e64 v0, v1, v2, s1
	scratch_load_b32 v1, off, s32 offset:224 ; 4-byte Folded Reload
	s_wait_loadcnt 0x0
	v_xor_b32_e32 v0, v0, v1
	s_delay_alu instid0(VALU_DEP_1) | instskip(SKIP_3) | instid1(VALU_DEP_1)
	v_sub_nc_u32_e32 v2, v0, v1
	scratch_load_b32 v0, off, s32 offset:228 ; 4-byte Folded Reload
	s_wait_loadcnt 0x0
	v_add_nc_u32_e32 v3, v2, v0
	v_sub_nc_u32_e32 v0, 0, v3
	s_delay_alu instid0(VALU_DEP_1) | instskip(SKIP_3) | instid1(VALU_DEP_1)
	v_max_i32_e32 v24, v3, v0
	scratch_load_b64 v[0:1], off, s32 offset:608 ; 8-byte Folded Reload
	s_wait_loadcnt 0x0
	v_mul_u64_e32 v[0:1], v[24:25], v[0:1]
	v_mul_lo_u32 v0, v1, v4
	s_delay_alu instid0(VALU_DEP_1) | instskip(NEXT) | instid1(VALU_DEP_1)
	v_dual_sub_nc_u32 v0, v24, v0 :: v_dual_ashrrev_i32 v3, 31, v3
	v_sub_nc_u32_e32 v1, v0, v4
	v_cmp_ge_u32_e64 s1, v0, v4
	s_delay_alu instid0(VALU_DEP_1) | instskip(NEXT) | instid1(VALU_DEP_1)
	v_cndmask_b32_e64 v0, v0, v1, s1
	v_sub_nc_u32_e32 v1, v0, v4
	v_cmp_ge_u32_e64 s1, v0, v4
	s_delay_alu instid0(VALU_DEP_1) | instskip(NEXT) | instid1(VALU_DEP_1)
	v_cndmask_b32_e64 v0, v0, v1, s1
	v_xor_b32_e32 v0, v0, v3
	s_delay_alu instid0(VALU_DEP_1) | instskip(NEXT) | instid1(VALU_DEP_1)
	v_sub_nc_u32_e32 v0, v0, v3
	v_cmp_ne_u32_e64 s1, 0, v0
	scratch_load_b32 v0, off, s32 offset:232 ; 4-byte Folded Reload
	s_wait_loadcnt 0x0
	v_cmp_le_i32_e64 s2, v2, v0
	s_and_b32 s1, s1, s2
	s_wait_xcnt 0x0
	s_and_saveexec_b32 s2, s1
	s_delay_alu instid0(SALU_CYCLE_1)
	s_xor_b32 s1, exec_lo, s2
	s_cbranch_execz .LBB285_17
; %bb.16:                               ;   in Loop: Header=BB285_15 Depth=1
	s_wait_kmcnt 0x0
	v_dual_mov_b32 v1, 0xff7fffff :: v_dual_add_nc_u32 v0, s14, v27
	ds_store_b32 v0, v1
.LBB285_17:                             ;   in Loop: Header=BB285_15 Depth=1
	s_and_not1_saveexec_b32 s2, s1
	s_cbranch_execz .LBB285_14
; %bb.18:                               ;   in Loop: Header=BB285_15 Depth=1
	scratch_load_b64 v[0:1], off, s32 offset:204 ; 8-byte Folded Reload
	v_dual_mov_b32 v51, 0 :: v_dual_mov_b32 v39, 0
	s_mov_b32 s16, exec_lo
	s_wait_loadcnt 0x0
	flat_load_b32 v0, v[0:1]
	s_clause 0x1
	scratch_load_b64 v[2:3], off, s32 offset:596
	scratch_load_b64 v[4:5], off, s32 offset:644
	s_wait_loadcnt_dscnt 0x0
	v_mad_nc_i64_i32 v[2:3], v0, v2, v[4:5]
	flat_load_b64 v[4:5], v[2:3]
	scratch_load_b64 v[0:1], off, s32 offset:632 ; 8-byte Folded Reload
	s_wait_loadcnt 0x0
	flat_load_b32 v33, v[0:1]
	s_wait_dscnt 0x1
	s_wait_xcnt 0x0
	v_and_b32_e32 v0, 0xff, v4
	s_delay_alu instid0(VALU_DEP_1)
	v_cmpx_ne_u16_e32 0, v0
	s_cbranch_execz .LBB285_26
; %bb.19:                               ;   in Loop: Header=BB285_15 Depth=1
	v_mov_b32_e32 v39, 0x8000
	s_mov_b32 s17, exec_lo
	v_cmpx_ne_u16_e32 0x80, v0
	s_cbranch_execz .LBB285_25
; %bb.20:                               ;   in Loop: Header=BB285_15 Depth=1
	v_and_b32_e32 v6, 0x7f, v4
	v_mov_b32_e32 v39, 0x7c01
	s_mov_b32 s18, exec_lo
	s_delay_alu instid0(VALU_DEP_2)
	v_cmpx_ne_u32_e32 0x7f, v6
	s_cbranch_execz .LBB285_24
; %bb.21:                               ;   in Loop: Header=BB285_15 Depth=1
	v_dual_lshrrev_b32 v1, 3, v6 :: v_dual_bitop2_b32 v0, 7, v4 bitop3:0x40
	s_mov_b32 s19, exec_lo
	v_cmpx_gt_u32_e32 8, v6
; %bb.22:                               ;   in Loop: Header=BB285_15 Depth=1
	s_delay_alu instid0(VALU_DEP_2) | instskip(NEXT) | instid1(VALU_DEP_1)
	v_clz_i32_u32_e32 v0, v0
	v_min_u32_e32 v6, 32, v0
	s_delay_alu instid0(VALU_DEP_1) | instskip(NEXT) | instid1(VALU_DEP_1)
	v_subrev_nc_u32_e32 v0, 28, v6
	v_lshlrev_b64_e32 v[0:1], v0, v[4:5]
	s_delay_alu instid0(VALU_DEP_1)
	v_dual_sub_nc_u32 v1, 29, v6 :: v_dual_bitop2_b32 v0, 7, v0 bitop3:0x40
; %bb.23:                               ;   in Loop: Header=BB285_15 Depth=1
	s_or_b32 exec_lo, exec_lo, s19
	v_lshlrev_b32_e32 v6, 8, v4
	s_delay_alu instid0(VALU_DEP_2) | instskip(NEXT) | instid1(VALU_DEP_3)
	v_lshl_add_u32 v1, v1, 10, 0x2000
	v_lshlrev_b32_e32 v0, 7, v0
	s_delay_alu instid0(VALU_DEP_3) | instskip(NEXT) | instid1(VALU_DEP_3)
	v_and_b32_e32 v6, 0x8000, v6
	v_and_b32_e32 v1, 0xfc00, v1
	s_delay_alu instid0(VALU_DEP_1)
	v_or3_b32 v39, v6, v1, v0
.LBB285_24:                             ;   in Loop: Header=BB285_15 Depth=1
	s_or_b32 exec_lo, exec_lo, s18
.LBB285_25:                             ;   in Loop: Header=BB285_15 Depth=1
	s_delay_alu instid0(SALU_CYCLE_1)
	s_or_b32 exec_lo, exec_lo, s17
.LBB285_26:                             ;   in Loop: Header=BB285_15 Depth=1
	s_delay_alu instid0(SALU_CYCLE_1) | instskip(SKIP_2) | instid1(VALU_DEP_1)
	s_or_b32 exec_lo, exec_lo, s16
	v_lshrrev_b16 v24, 8, v4
	s_mov_b32 s16, exec_lo
	v_cmpx_ne_u16_e32 0, v24
	s_cbranch_execz .LBB285_34
; %bb.27:                               ;   in Loop: Header=BB285_15 Depth=1
	v_bfrev_b32_e32 v51, 1
	s_mov_b32 s17, exec_lo
	v_cmpx_ne_u16_e32 0x80, v24
	s_cbranch_execz .LBB285_33
; %bb.28:                               ;   in Loop: Header=BB285_15 Depth=1
	v_and_b32_e32 v0, 0xffff, v24
	v_mov_b32_e32 v51, 0x7c010000
	s_mov_b32 s18, exec_lo
	s_delay_alu instid0(VALU_DEP_2) | instskip(NEXT) | instid1(VALU_DEP_1)
	v_and_b32_e32 v8, 0x7f, v0
	v_cmpx_ne_u32_e32 0x7f, v8
	s_cbranch_execz .LBB285_32
; %bb.29:                               ;   in Loop: Header=BB285_15 Depth=1
	v_and_b32_e32 v1, 7, v0
	v_lshrrev_b32_e32 v6, 3, v8
	s_mov_b32 s19, exec_lo
	v_cmpx_gt_u32_e32 8, v8
; %bb.30:                               ;   in Loop: Header=BB285_15 Depth=1
	s_delay_alu instid0(VALU_DEP_3) | instskip(NEXT) | instid1(VALU_DEP_1)
	v_clz_i32_u32_e32 v1, v1
	v_min_u32_e32 v1, 32, v1
	s_delay_alu instid0(VALU_DEP_1) | instskip(NEXT) | instid1(VALU_DEP_1)
	v_subrev_nc_u32_e32 v6, 28, v1
	v_lshlrev_b64_e32 v[8:9], v6, v[24:25]
	s_delay_alu instid0(VALU_DEP_1)
	v_dual_sub_nc_u32 v6, 29, v1 :: v_dual_bitop2_b32 v1, 7, v8 bitop3:0x40
; %bb.31:                               ;   in Loop: Header=BB285_15 Depth=1
	s_or_b32 exec_lo, exec_lo, s19
	s_delay_alu instid0(VALU_DEP_1) | instskip(NEXT) | instid1(VALU_DEP_2)
	v_dual_lshlrev_b32 v0, 8, v0 :: v_dual_lshlrev_b32 v1, 23, v1
	v_lshl_add_u32 v6, v6, 10, 0x2000
	s_delay_alu instid0(VALU_DEP_1) | instskip(NEXT) | instid1(VALU_DEP_1)
	v_and_or_b32 v0, 0x8000, v0, v6
	v_lshl_or_b32 v51, v0, 16, v1
.LBB285_32:                             ;   in Loop: Header=BB285_15 Depth=1
	s_or_b32 exec_lo, exec_lo, s18
.LBB285_33:                             ;   in Loop: Header=BB285_15 Depth=1
	s_delay_alu instid0(SALU_CYCLE_1)
	s_or_b32 exec_lo, exec_lo, s17
.LBB285_34:                             ;   in Loop: Header=BB285_15 Depth=1
	s_delay_alu instid0(SALU_CYCLE_1) | instskip(SKIP_3) | instid1(VALU_DEP_2)
	s_or_b32 exec_lo, exec_lo, s16
	v_dual_mov_b32 v53, 0 :: v_dual_lshrrev_b32 v0, 16, v4
	v_mov_b32_e32 v50, 0
	s_mov_b32 s16, exec_lo
	v_and_b32_e32 v1, 0xff, v0
	s_delay_alu instid0(VALU_DEP_1)
	v_cmpx_ne_u16_e32 0, v1
	s_cbranch_execz .LBB285_42
; %bb.35:                               ;   in Loop: Header=BB285_15 Depth=1
	v_mov_b32_e32 v50, 0x8000
	s_mov_b32 s17, exec_lo
	v_cmpx_ne_u16_e32 0x80, v1
	s_cbranch_execz .LBB285_41
; %bb.36:                               ;   in Loop: Header=BB285_15 Depth=1
	v_bfe_u32 v8, v4, 16, 7
	v_mov_b32_e32 v50, 0x7c01
	s_mov_b32 s18, exec_lo
	s_delay_alu instid0(VALU_DEP_2)
	v_cmpx_ne_u32_e32 0x7f, v8
	s_cbranch_execz .LBB285_40
; %bb.37:                               ;   in Loop: Header=BB285_15 Depth=1
	v_and_b32_e32 v1, 7, v0
	v_lshrrev_b32_e32 v6, 3, v8
	s_mov_b32 s19, exec_lo
	v_cmpx_gt_u32_e32 8, v8
; %bb.38:                               ;   in Loop: Header=BB285_15 Depth=1
	s_delay_alu instid0(VALU_DEP_3) | instskip(NEXT) | instid1(VALU_DEP_1)
	v_clz_i32_u32_e32 v1, v1
	v_min_u32_e32 v1, 32, v1
	s_delay_alu instid0(VALU_DEP_1) | instskip(NEXT) | instid1(VALU_DEP_1)
	v_subrev_nc_u32_e32 v6, 28, v1
	v_lshlrev_b64_e32 v[8:9], v6, v[0:1]
	s_delay_alu instid0(VALU_DEP_1)
	v_dual_sub_nc_u32 v6, 29, v1 :: v_dual_bitop2_b32 v1, 7, v8 bitop3:0x40
; %bb.39:                               ;   in Loop: Header=BB285_15 Depth=1
	s_or_b32 exec_lo, exec_lo, s19
	s_delay_alu instid0(VALU_DEP_1) | instskip(NEXT) | instid1(VALU_DEP_2)
	v_dual_lshlrev_b32 v0, 8, v0 :: v_dual_lshlrev_b32 v1, 7, v1
	v_lshl_add_u32 v6, v6, 10, 0x2000
	s_delay_alu instid0(VALU_DEP_2) | instskip(NEXT) | instid1(VALU_DEP_2)
	v_and_b32_e32 v0, 0x8000, v0
	v_and_b32_e32 v6, 0xfc00, v6
	s_delay_alu instid0(VALU_DEP_1)
	v_or3_b32 v50, v0, v6, v1
.LBB285_40:                             ;   in Loop: Header=BB285_15 Depth=1
	s_or_b32 exec_lo, exec_lo, s18
.LBB285_41:                             ;   in Loop: Header=BB285_15 Depth=1
	s_delay_alu instid0(SALU_CYCLE_1)
	s_or_b32 exec_lo, exec_lo, s17
.LBB285_42:                             ;   in Loop: Header=BB285_15 Depth=1
	s_delay_alu instid0(SALU_CYCLE_1) | instskip(NEXT) | instid1(SALU_CYCLE_1)
	s_or_b32 exec_lo, exec_lo, s16
	s_mov_b32 s16, exec_lo
	v_cmpx_lt_u32_e32 0xffffff, v4
	s_cbranch_execz .LBB285_50
; %bb.43:                               ;   in Loop: Header=BB285_15 Depth=1
	v_lshrrev_b32_e32 v24, 24, v4
	v_bfrev_b32_e32 v53, 1
	s_mov_b32 s17, exec_lo
	s_delay_alu instid0(VALU_DEP_2)
	v_cmpx_ne_u32_e32 0x80, v24
	s_cbranch_execz .LBB285_49
; %bb.44:                               ;   in Loop: Header=BB285_15 Depth=1
	v_and_b32_e32 v6, 0x7f, v24
	v_mov_b32_e32 v53, 0x7c010000
	s_mov_b32 s18, exec_lo
	s_delay_alu instid0(VALU_DEP_2)
	v_cmpx_ne_u32_e32 0x7f, v6
	s_cbranch_execz .LBB285_48
; %bb.45:                               ;   in Loop: Header=BB285_15 Depth=1
	v_dual_lshrrev_b32 v1, 3, v6 :: v_dual_bitop2_b32 v0, 7, v24 bitop3:0x40
	s_mov_b32 s19, exec_lo
	v_cmpx_gt_u32_e32 8, v6
; %bb.46:                               ;   in Loop: Header=BB285_15 Depth=1
	s_delay_alu instid0(VALU_DEP_2) | instskip(NEXT) | instid1(VALU_DEP_1)
	v_clz_i32_u32_e32 v0, v0
	v_min_u32_e32 v6, 32, v0
	s_delay_alu instid0(VALU_DEP_1) | instskip(NEXT) | instid1(VALU_DEP_1)
	v_subrev_nc_u32_e32 v0, 28, v6
	v_lshlrev_b64_e32 v[0:1], v0, v[24:25]
	s_delay_alu instid0(VALU_DEP_1)
	v_dual_sub_nc_u32 v1, 29, v6 :: v_dual_bitop2_b32 v0, 7, v0 bitop3:0x40
; %bb.47:                               ;   in Loop: Header=BB285_15 Depth=1
	s_or_b32 exec_lo, exec_lo, s19
	v_lshlrev_b32_e32 v6, 8, v24
	s_delay_alu instid0(VALU_DEP_2) | instskip(NEXT) | instid1(VALU_DEP_3)
	v_lshl_add_u32 v1, v1, 10, 0x2000
	v_lshlrev_b32_e32 v0, 23, v0
	s_delay_alu instid0(VALU_DEP_2) | instskip(NEXT) | instid1(VALU_DEP_1)
	v_and_or_b32 v1, 0x8000, v6, v1
	v_lshl_or_b32 v53, v1, 16, v0
.LBB285_48:                             ;   in Loop: Header=BB285_15 Depth=1
	s_or_b32 exec_lo, exec_lo, s18
.LBB285_49:                             ;   in Loop: Header=BB285_15 Depth=1
	s_delay_alu instid0(SALU_CYCLE_1)
	s_or_b32 exec_lo, exec_lo, s17
.LBB285_50:                             ;   in Loop: Header=BB285_15 Depth=1
	s_delay_alu instid0(SALU_CYCLE_1) | instskip(SKIP_4) | instid1(VALU_DEP_3)
	s_or_b32 exec_lo, exec_lo, s16
	v_and_b32_e32 v0, 0xff, v5
	v_dual_mov_b32 v24, v5 :: v_dual_mov_b32 v49, 0
	v_mov_b32_e32 v52, 0
	s_mov_b32 s16, exec_lo
	v_cmpx_ne_u16_e32 0, v0
	s_cbranch_execz .LBB285_58
; %bb.51:                               ;   in Loop: Header=BB285_15 Depth=1
	v_mov_b32_e32 v52, 0x8000
	s_mov_b32 s17, exec_lo
	v_cmpx_ne_u16_e32 0x80, v0
	s_cbranch_execz .LBB285_57
; %bb.52:                               ;   in Loop: Header=BB285_15 Depth=1
	v_and_b32_e32 v6, 0x7f, v5
	v_mov_b32_e32 v52, 0x7c01
	s_mov_b32 s18, exec_lo
	s_delay_alu instid0(VALU_DEP_2)
	v_cmpx_ne_u32_e32 0x7f, v6
	s_cbranch_execz .LBB285_56
; %bb.53:                               ;   in Loop: Header=BB285_15 Depth=1
	v_dual_lshrrev_b32 v1, 3, v6 :: v_dual_bitop2_b32 v0, 7, v5 bitop3:0x40
	s_mov_b32 s19, exec_lo
	v_cmpx_gt_u32_e32 8, v6
; %bb.54:                               ;   in Loop: Header=BB285_15 Depth=1
	s_delay_alu instid0(VALU_DEP_2) | instskip(NEXT) | instid1(VALU_DEP_1)
	v_clz_i32_u32_e32 v0, v0
	v_min_u32_e32 v6, 32, v0
	s_delay_alu instid0(VALU_DEP_1) | instskip(NEXT) | instid1(VALU_DEP_1)
	v_subrev_nc_u32_e32 v0, 28, v6
	v_lshlrev_b64_e32 v[0:1], v0, v[24:25]
	s_delay_alu instid0(VALU_DEP_1)
	v_dual_sub_nc_u32 v1, 29, v6 :: v_dual_bitop2_b32 v0, 7, v0 bitop3:0x40
; %bb.55:                               ;   in Loop: Header=BB285_15 Depth=1
	s_or_b32 exec_lo, exec_lo, s19
	s_delay_alu instid0(VALU_DEP_1) | instskip(NEXT) | instid1(VALU_DEP_2)
	v_dual_lshlrev_b32 v6, 8, v5 :: v_dual_lshlrev_b32 v0, 7, v0
	v_lshl_add_u32 v1, v1, 10, 0x2000
	s_delay_alu instid0(VALU_DEP_2) | instskip(NEXT) | instid1(VALU_DEP_2)
	v_and_b32_e32 v6, 0x8000, v6
	v_and_b32_e32 v1, 0xfc00, v1
	s_delay_alu instid0(VALU_DEP_1)
	v_or3_b32 v52, v6, v1, v0
.LBB285_56:                             ;   in Loop: Header=BB285_15 Depth=1
	s_or_b32 exec_lo, exec_lo, s18
.LBB285_57:                             ;   in Loop: Header=BB285_15 Depth=1
	s_delay_alu instid0(SALU_CYCLE_1)
	s_or_b32 exec_lo, exec_lo, s17
.LBB285_58:                             ;   in Loop: Header=BB285_15 Depth=1
	s_delay_alu instid0(SALU_CYCLE_1) | instskip(SKIP_3) | instid1(VALU_DEP_2)
	s_or_b32 exec_lo, exec_lo, s16
	v_lshrrev_b16 v24, 8, v24
	v_mov_b32_e32 v38, 0
	s_mov_b32 s16, exec_lo
	v_cmpx_ne_u16_e32 0, v24
	s_cbranch_execz .LBB285_66
; %bb.59:                               ;   in Loop: Header=BB285_15 Depth=1
	v_bfrev_b32_e32 v38, 1
	s_mov_b32 s17, exec_lo
	v_cmpx_ne_u16_e32 0x80, v24
	s_cbranch_execz .LBB285_65
; %bb.60:                               ;   in Loop: Header=BB285_15 Depth=1
	v_and_b32_e32 v0, 0xffff, v24
	v_mov_b32_e32 v38, 0x7c010000
	s_mov_b32 s18, exec_lo
	s_delay_alu instid0(VALU_DEP_2) | instskip(NEXT) | instid1(VALU_DEP_1)
	v_and_b32_e32 v8, 0x7f, v0
	v_cmpx_ne_u32_e32 0x7f, v8
	s_cbranch_execz .LBB285_64
; %bb.61:                               ;   in Loop: Header=BB285_15 Depth=1
	v_and_b32_e32 v1, 7, v0
	v_lshrrev_b32_e32 v6, 3, v8
	s_mov_b32 s19, exec_lo
	v_cmpx_gt_u32_e32 8, v8
; %bb.62:                               ;   in Loop: Header=BB285_15 Depth=1
	s_delay_alu instid0(VALU_DEP_3) | instskip(NEXT) | instid1(VALU_DEP_1)
	v_clz_i32_u32_e32 v1, v1
	v_min_u32_e32 v1, 32, v1
	s_delay_alu instid0(VALU_DEP_1) | instskip(NEXT) | instid1(VALU_DEP_1)
	v_subrev_nc_u32_e32 v6, 28, v1
	v_lshlrev_b64_e32 v[8:9], v6, v[24:25]
	s_delay_alu instid0(VALU_DEP_1)
	v_dual_sub_nc_u32 v6, 29, v1 :: v_dual_bitop2_b32 v1, 7, v8 bitop3:0x40
; %bb.63:                               ;   in Loop: Header=BB285_15 Depth=1
	s_or_b32 exec_lo, exec_lo, s19
	s_delay_alu instid0(VALU_DEP_1) | instskip(NEXT) | instid1(VALU_DEP_2)
	v_dual_lshlrev_b32 v0, 8, v0 :: v_dual_lshlrev_b32 v1, 23, v1
	v_lshl_add_u32 v6, v6, 10, 0x2000
	s_delay_alu instid0(VALU_DEP_1) | instskip(NEXT) | instid1(VALU_DEP_1)
	v_and_or_b32 v0, 0x8000, v0, v6
	v_lshl_or_b32 v38, v0, 16, v1
.LBB285_64:                             ;   in Loop: Header=BB285_15 Depth=1
	s_or_b32 exec_lo, exec_lo, s18
.LBB285_65:                             ;   in Loop: Header=BB285_15 Depth=1
	s_delay_alu instid0(SALU_CYCLE_1)
	s_or_b32 exec_lo, exec_lo, s17
.LBB285_66:                             ;   in Loop: Header=BB285_15 Depth=1
	s_delay_alu instid0(SALU_CYCLE_1) | instskip(SKIP_2) | instid1(VALU_DEP_1)
	s_or_b32 exec_lo, exec_lo, s16
	v_lshrrev_b32_e32 v0, 16, v5
	s_mov_b32 s16, exec_lo
	v_and_b32_e32 v1, 0xff, v0
	s_delay_alu instid0(VALU_DEP_1)
	v_cmpx_ne_u16_e32 0, v1
	s_cbranch_execz .LBB285_74
; %bb.67:                               ;   in Loop: Header=BB285_15 Depth=1
	v_mov_b32_e32 v49, 0x8000
	s_mov_b32 s17, exec_lo
	v_cmpx_ne_u16_e32 0x80, v1
	s_cbranch_execz .LBB285_73
; %bb.68:                               ;   in Loop: Header=BB285_15 Depth=1
	v_bfe_u32 v8, v5, 16, 7
	v_mov_b32_e32 v49, 0x7c01
	s_mov_b32 s18, exec_lo
	s_delay_alu instid0(VALU_DEP_2)
	v_cmpx_ne_u32_e32 0x7f, v8
	s_cbranch_execz .LBB285_72
; %bb.69:                               ;   in Loop: Header=BB285_15 Depth=1
	v_and_b32_e32 v1, 7, v0
	v_lshrrev_b32_e32 v6, 3, v8
	s_mov_b32 s19, exec_lo
	v_cmpx_gt_u32_e32 8, v8
; %bb.70:                               ;   in Loop: Header=BB285_15 Depth=1
	s_delay_alu instid0(VALU_DEP_3) | instskip(NEXT) | instid1(VALU_DEP_1)
	v_clz_i32_u32_e32 v1, v1
	v_min_u32_e32 v1, 32, v1
	s_delay_alu instid0(VALU_DEP_1) | instskip(NEXT) | instid1(VALU_DEP_1)
	v_subrev_nc_u32_e32 v6, 28, v1
	v_lshlrev_b64_e32 v[8:9], v6, v[0:1]
	s_delay_alu instid0(VALU_DEP_1)
	v_dual_sub_nc_u32 v6, 29, v1 :: v_dual_bitop2_b32 v1, 7, v8 bitop3:0x40
; %bb.71:                               ;   in Loop: Header=BB285_15 Depth=1
	s_or_b32 exec_lo, exec_lo, s19
	s_delay_alu instid0(VALU_DEP_1) | instskip(NEXT) | instid1(VALU_DEP_2)
	v_dual_lshlrev_b32 v0, 8, v0 :: v_dual_lshlrev_b32 v1, 7, v1
	v_lshl_add_u32 v6, v6, 10, 0x2000
	s_delay_alu instid0(VALU_DEP_2) | instskip(NEXT) | instid1(VALU_DEP_2)
	v_and_b32_e32 v0, 0x8000, v0
	v_and_b32_e32 v6, 0xfc00, v6
	s_delay_alu instid0(VALU_DEP_1)
	v_or3_b32 v49, v0, v6, v1
.LBB285_72:                             ;   in Loop: Header=BB285_15 Depth=1
	s_or_b32 exec_lo, exec_lo, s18
.LBB285_73:                             ;   in Loop: Header=BB285_15 Depth=1
	s_delay_alu instid0(SALU_CYCLE_1)
	s_or_b32 exec_lo, exec_lo, s17
.LBB285_74:                             ;   in Loop: Header=BB285_15 Depth=1
	s_delay_alu instid0(SALU_CYCLE_1)
	s_or_b32 exec_lo, exec_lo, s16
	v_dual_mov_b32 v70, 0 :: v_dual_mov_b32 v48, 0
	s_mov_b32 s16, exec_lo
	v_cmpx_lt_u64_e64 s[8:9], v[4:5]
	s_cbranch_execz .LBB285_82
; %bb.75:                               ;   in Loop: Header=BB285_15 Depth=1
	v_lshrrev_b32_e32 v24, 24, v5
	v_bfrev_b32_e32 v48, 1
	s_mov_b32 s17, exec_lo
	s_delay_alu instid0(VALU_DEP_2)
	v_cmpx_ne_u32_e32 0x80, v24
	s_cbranch_execz .LBB285_81
; %bb.76:                               ;   in Loop: Header=BB285_15 Depth=1
	v_and_b32_e32 v4, 0x7f, v24
	v_mov_b32_e32 v48, 0x7c010000
	s_mov_b32 s18, exec_lo
	s_delay_alu instid0(VALU_DEP_2)
	v_cmpx_ne_u32_e32 0x7f, v4
	s_cbranch_execz .LBB285_80
; %bb.77:                               ;   in Loop: Header=BB285_15 Depth=1
	v_and_b32_e32 v0, 7, v24
	v_lshrrev_b32_e32 v1, 3, v4
	s_mov_b32 s19, exec_lo
	v_cmpx_gt_u32_e32 8, v4
; %bb.78:                               ;   in Loop: Header=BB285_15 Depth=1
	s_delay_alu instid0(VALU_DEP_3) | instskip(NEXT) | instid1(VALU_DEP_1)
	v_clz_i32_u32_e32 v0, v0
	v_min_u32_e32 v4, 32, v0
	s_delay_alu instid0(VALU_DEP_1) | instskip(NEXT) | instid1(VALU_DEP_1)
	v_subrev_nc_u32_e32 v0, 28, v4
	v_lshlrev_b64_e32 v[0:1], v0, v[24:25]
	v_sub_nc_u32_e32 v1, 29, v4
	s_delay_alu instid0(VALU_DEP_2)
	v_and_b32_e32 v0, 7, v0
; %bb.79:                               ;   in Loop: Header=BB285_15 Depth=1
	s_or_b32 exec_lo, exec_lo, s19
	v_lshlrev_b32_e32 v4, 8, v24
	s_delay_alu instid0(VALU_DEP_3) | instskip(NEXT) | instid1(VALU_DEP_3)
	v_lshl_add_u32 v1, v1, 10, 0x2000
	v_lshlrev_b32_e32 v0, 23, v0
	s_delay_alu instid0(VALU_DEP_2) | instskip(NEXT) | instid1(VALU_DEP_1)
	v_and_or_b32 v1, 0x8000, v4, v1
	v_lshl_or_b32 v48, v1, 16, v0
.LBB285_80:                             ;   in Loop: Header=BB285_15 Depth=1
	s_or_b32 exec_lo, exec_lo, s18
.LBB285_81:                             ;   in Loop: Header=BB285_15 Depth=1
	s_delay_alu instid0(SALU_CYCLE_1)
	s_or_b32 exec_lo, exec_lo, s17
.LBB285_82:                             ;   in Loop: Header=BB285_15 Depth=1
	s_delay_alu instid0(SALU_CYCLE_1)
	s_or_b32 exec_lo, exec_lo, s16
	flat_load_b64 v[4:5], v[2:3] offset:8
	s_mov_b32 s16, exec_lo
	s_wait_loadcnt_dscnt 0x0
	v_and_b32_e32 v0, 0xff, v4
	s_wait_xcnt 0x0
	s_delay_alu instid0(VALU_DEP_1)
	v_cmpx_ne_u16_e32 0, v0
	s_cbranch_execz .LBB285_90
; %bb.83:                               ;   in Loop: Header=BB285_15 Depth=1
	v_mov_b32_e32 v70, 0x8000
	s_mov_b32 s17, exec_lo
	v_cmpx_ne_u16_e32 0x80, v0
	s_cbranch_execz .LBB285_89
; %bb.84:                               ;   in Loop: Header=BB285_15 Depth=1
	v_and_b32_e32 v6, 0x7f, v4
	v_mov_b32_e32 v70, 0x7c01
	s_mov_b32 s18, exec_lo
	s_delay_alu instid0(VALU_DEP_2)
	v_cmpx_ne_u32_e32 0x7f, v6
	s_cbranch_execz .LBB285_88
; %bb.85:                               ;   in Loop: Header=BB285_15 Depth=1
	v_dual_lshrrev_b32 v1, 3, v6 :: v_dual_bitop2_b32 v0, 7, v4 bitop3:0x40
	s_mov_b32 s19, exec_lo
	v_cmpx_gt_u32_e32 8, v6
; %bb.86:                               ;   in Loop: Header=BB285_15 Depth=1
	s_delay_alu instid0(VALU_DEP_2) | instskip(NEXT) | instid1(VALU_DEP_1)
	v_clz_i32_u32_e32 v0, v0
	v_min_u32_e32 v6, 32, v0
	s_delay_alu instid0(VALU_DEP_1) | instskip(NEXT) | instid1(VALU_DEP_1)
	v_subrev_nc_u32_e32 v0, 28, v6
	v_lshlrev_b64_e32 v[0:1], v0, v[4:5]
	s_delay_alu instid0(VALU_DEP_1)
	v_dual_sub_nc_u32 v1, 29, v6 :: v_dual_bitop2_b32 v0, 7, v0 bitop3:0x40
; %bb.87:                               ;   in Loop: Header=BB285_15 Depth=1
	s_or_b32 exec_lo, exec_lo, s19
	v_lshlrev_b32_e32 v6, 8, v4
	s_delay_alu instid0(VALU_DEP_2) | instskip(NEXT) | instid1(VALU_DEP_3)
	v_lshl_add_u32 v1, v1, 10, 0x2000
	v_lshlrev_b32_e32 v0, 7, v0
	s_delay_alu instid0(VALU_DEP_3) | instskip(NEXT) | instid1(VALU_DEP_3)
	v_and_b32_e32 v6, 0x8000, v6
	v_and_b32_e32 v1, 0xfc00, v1
	s_delay_alu instid0(VALU_DEP_1)
	v_or3_b32 v70, v6, v1, v0
.LBB285_88:                             ;   in Loop: Header=BB285_15 Depth=1
	s_or_b32 exec_lo, exec_lo, s18
.LBB285_89:                             ;   in Loop: Header=BB285_15 Depth=1
	s_delay_alu instid0(SALU_CYCLE_1)
	s_or_b32 exec_lo, exec_lo, s17
.LBB285_90:                             ;   in Loop: Header=BB285_15 Depth=1
	s_delay_alu instid0(SALU_CYCLE_1) | instskip(SKIP_3) | instid1(VALU_DEP_2)
	s_or_b32 exec_lo, exec_lo, s16
	v_lshrrev_b16 v24, 8, v4
	v_dual_mov_b32 v28, 0 :: v_dual_mov_b32 v71, 0
	s_mov_b32 s16, exec_lo
	v_cmpx_ne_u16_e32 0, v24
	s_cbranch_execz .LBB285_98
; %bb.91:                               ;   in Loop: Header=BB285_15 Depth=1
	v_bfrev_b32_e32 v71, 1
	s_mov_b32 s17, exec_lo
	v_cmpx_ne_u16_e32 0x80, v24
	s_cbranch_execz .LBB285_97
; %bb.92:                               ;   in Loop: Header=BB285_15 Depth=1
	v_and_b32_e32 v0, 0xffff, v24
	v_mov_b32_e32 v71, 0x7c010000
	s_mov_b32 s18, exec_lo
	s_delay_alu instid0(VALU_DEP_2) | instskip(NEXT) | instid1(VALU_DEP_1)
	v_and_b32_e32 v8, 0x7f, v0
	v_cmpx_ne_u32_e32 0x7f, v8
	s_cbranch_execz .LBB285_96
; %bb.93:                               ;   in Loop: Header=BB285_15 Depth=1
	v_and_b32_e32 v1, 7, v0
	v_lshrrev_b32_e32 v6, 3, v8
	s_mov_b32 s19, exec_lo
	v_cmpx_gt_u32_e32 8, v8
; %bb.94:                               ;   in Loop: Header=BB285_15 Depth=1
	s_delay_alu instid0(VALU_DEP_3) | instskip(NEXT) | instid1(VALU_DEP_1)
	v_clz_i32_u32_e32 v1, v1
	v_min_u32_e32 v1, 32, v1
	s_delay_alu instid0(VALU_DEP_1) | instskip(NEXT) | instid1(VALU_DEP_1)
	v_subrev_nc_u32_e32 v6, 28, v1
	v_lshlrev_b64_e32 v[8:9], v6, v[24:25]
	s_delay_alu instid0(VALU_DEP_1)
	v_dual_sub_nc_u32 v6, 29, v1 :: v_dual_bitop2_b32 v1, 7, v8 bitop3:0x40
; %bb.95:                               ;   in Loop: Header=BB285_15 Depth=1
	s_or_b32 exec_lo, exec_lo, s19
	s_delay_alu instid0(VALU_DEP_1) | instskip(NEXT) | instid1(VALU_DEP_2)
	v_dual_lshlrev_b32 v0, 8, v0 :: v_dual_lshlrev_b32 v1, 23, v1
	v_lshl_add_u32 v6, v6, 10, 0x2000
	s_delay_alu instid0(VALU_DEP_1) | instskip(NEXT) | instid1(VALU_DEP_1)
	v_and_or_b32 v0, 0x8000, v0, v6
	v_lshl_or_b32 v71, v0, 16, v1
.LBB285_96:                             ;   in Loop: Header=BB285_15 Depth=1
	s_or_b32 exec_lo, exec_lo, s18
.LBB285_97:                             ;   in Loop: Header=BB285_15 Depth=1
	s_delay_alu instid0(SALU_CYCLE_1)
	s_or_b32 exec_lo, exec_lo, s17
.LBB285_98:                             ;   in Loop: Header=BB285_15 Depth=1
	s_delay_alu instid0(SALU_CYCLE_1) | instskip(SKIP_2) | instid1(VALU_DEP_1)
	s_or_b32 exec_lo, exec_lo, s16
	v_lshrrev_b32_e32 v0, 16, v4
	s_mov_b32 s16, exec_lo
	v_and_b32_e32 v1, 0xff, v0
	s_delay_alu instid0(VALU_DEP_1)
	v_cmpx_ne_u16_e32 0, v1
	s_cbranch_execz .LBB285_106
; %bb.99:                               ;   in Loop: Header=BB285_15 Depth=1
	v_mov_b32_e32 v28, 0x8000
	s_mov_b32 s17, exec_lo
	v_cmpx_ne_u16_e32 0x80, v1
	s_cbranch_execz .LBB285_105
; %bb.100:                              ;   in Loop: Header=BB285_15 Depth=1
	v_bfe_u32 v8, v4, 16, 7
	v_mov_b32_e32 v28, 0x7c01
	s_mov_b32 s18, exec_lo
	s_delay_alu instid0(VALU_DEP_2)
	v_cmpx_ne_u32_e32 0x7f, v8
	s_cbranch_execz .LBB285_104
; %bb.101:                              ;   in Loop: Header=BB285_15 Depth=1
	v_and_b32_e32 v1, 7, v0
	v_lshrrev_b32_e32 v6, 3, v8
	s_mov_b32 s19, exec_lo
	v_cmpx_gt_u32_e32 8, v8
; %bb.102:                              ;   in Loop: Header=BB285_15 Depth=1
	s_delay_alu instid0(VALU_DEP_3) | instskip(NEXT) | instid1(VALU_DEP_1)
	v_clz_i32_u32_e32 v1, v1
	v_min_u32_e32 v1, 32, v1
	s_delay_alu instid0(VALU_DEP_1) | instskip(NEXT) | instid1(VALU_DEP_1)
	v_subrev_nc_u32_e32 v6, 28, v1
	v_lshlrev_b64_e32 v[8:9], v6, v[0:1]
	s_delay_alu instid0(VALU_DEP_1)
	v_dual_sub_nc_u32 v6, 29, v1 :: v_dual_bitop2_b32 v1, 7, v8 bitop3:0x40
; %bb.103:                              ;   in Loop: Header=BB285_15 Depth=1
	s_or_b32 exec_lo, exec_lo, s19
	s_delay_alu instid0(VALU_DEP_1) | instskip(NEXT) | instid1(VALU_DEP_2)
	v_dual_lshlrev_b32 v0, 8, v0 :: v_dual_lshlrev_b32 v1, 7, v1
	v_lshl_add_u32 v6, v6, 10, 0x2000
	s_delay_alu instid0(VALU_DEP_2) | instskip(NEXT) | instid1(VALU_DEP_2)
	v_and_b32_e32 v0, 0x8000, v0
	v_and_b32_e32 v6, 0xfc00, v6
	s_delay_alu instid0(VALU_DEP_1)
	v_or3_b32 v28, v0, v6, v1
.LBB285_104:                            ;   in Loop: Header=BB285_15 Depth=1
	s_or_b32 exec_lo, exec_lo, s18
.LBB285_105:                            ;   in Loop: Header=BB285_15 Depth=1
	s_delay_alu instid0(SALU_CYCLE_1)
	s_or_b32 exec_lo, exec_lo, s17
.LBB285_106:                            ;   in Loop: Header=BB285_15 Depth=1
	s_delay_alu instid0(SALU_CYCLE_1)
	s_or_b32 exec_lo, exec_lo, s16
	v_dual_mov_b32 v87, 0 :: v_dual_mov_b32 v14, 0
	s_mov_b32 s16, exec_lo
	v_cmpx_lt_u32_e32 0xffffff, v4
	s_cbranch_execz .LBB285_114
; %bb.107:                              ;   in Loop: Header=BB285_15 Depth=1
	v_lshrrev_b32_e32 v24, 24, v4
	v_bfrev_b32_e32 v14, 1
	s_mov_b32 s17, exec_lo
	s_delay_alu instid0(VALU_DEP_2)
	v_cmpx_ne_u32_e32 0x80, v24
	s_cbranch_execz .LBB285_113
; %bb.108:                              ;   in Loop: Header=BB285_15 Depth=1
	v_and_b32_e32 v6, 0x7f, v24
	v_mov_b32_e32 v14, 0x7c010000
	s_mov_b32 s18, exec_lo
	s_delay_alu instid0(VALU_DEP_2)
	v_cmpx_ne_u32_e32 0x7f, v6
	s_cbranch_execz .LBB285_112
; %bb.109:                              ;   in Loop: Header=BB285_15 Depth=1
	v_dual_lshrrev_b32 v1, 3, v6 :: v_dual_bitop2_b32 v0, 7, v24 bitop3:0x40
	s_mov_b32 s19, exec_lo
	v_cmpx_gt_u32_e32 8, v6
; %bb.110:                              ;   in Loop: Header=BB285_15 Depth=1
	s_delay_alu instid0(VALU_DEP_2) | instskip(NEXT) | instid1(VALU_DEP_1)
	v_clz_i32_u32_e32 v0, v0
	v_min_u32_e32 v6, 32, v0
	s_delay_alu instid0(VALU_DEP_1) | instskip(NEXT) | instid1(VALU_DEP_1)
	v_subrev_nc_u32_e32 v0, 28, v6
	v_lshlrev_b64_e32 v[0:1], v0, v[24:25]
	s_delay_alu instid0(VALU_DEP_1)
	v_dual_sub_nc_u32 v1, 29, v6 :: v_dual_bitop2_b32 v0, 7, v0 bitop3:0x40
; %bb.111:                              ;   in Loop: Header=BB285_15 Depth=1
	s_or_b32 exec_lo, exec_lo, s19
	v_lshlrev_b32_e32 v6, 8, v24
	s_delay_alu instid0(VALU_DEP_2) | instskip(NEXT) | instid1(VALU_DEP_3)
	v_lshl_add_u32 v1, v1, 10, 0x2000
	v_lshlrev_b32_e32 v0, 23, v0
	s_delay_alu instid0(VALU_DEP_2) | instskip(NEXT) | instid1(VALU_DEP_1)
	v_and_or_b32 v1, 0x8000, v6, v1
	v_lshl_or_b32 v14, v1, 16, v0
.LBB285_112:                            ;   in Loop: Header=BB285_15 Depth=1
	s_or_b32 exec_lo, exec_lo, s18
.LBB285_113:                            ;   in Loop: Header=BB285_15 Depth=1
	s_delay_alu instid0(SALU_CYCLE_1)
	s_or_b32 exec_lo, exec_lo, s17
.LBB285_114:                            ;   in Loop: Header=BB285_15 Depth=1
	s_delay_alu instid0(SALU_CYCLE_1) | instskip(SKIP_3) | instid1(VALU_DEP_2)
	s_or_b32 exec_lo, exec_lo, s16
	v_and_b32_e32 v0, 0xff, v5
	v_mov_b32_e32 v24, v5
	s_mov_b32 s16, exec_lo
	v_cmpx_ne_u16_e32 0, v0
	s_cbranch_execz .LBB285_122
; %bb.115:                              ;   in Loop: Header=BB285_15 Depth=1
	v_mov_b32_e32 v87, 0x8000
	s_mov_b32 s17, exec_lo
	v_cmpx_ne_u16_e32 0x80, v0
	s_cbranch_execz .LBB285_121
; %bb.116:                              ;   in Loop: Header=BB285_15 Depth=1
	v_and_b32_e32 v8, 0x7f, v5
	v_mov_b32_e32 v87, 0x7c01
	s_mov_b32 s18, exec_lo
	s_delay_alu instid0(VALU_DEP_2)
	v_cmpx_ne_u32_e32 0x7f, v8
	s_cbranch_execz .LBB285_120
; %bb.117:                              ;   in Loop: Header=BB285_15 Depth=1
	v_dual_lshrrev_b32 v6, 3, v8 :: v_dual_bitop2_b32 v0, 7, v5 bitop3:0x40
	s_mov_b32 s19, exec_lo
	v_cmpx_gt_u32_e32 8, v8
; %bb.118:                              ;   in Loop: Header=BB285_15 Depth=1
	s_delay_alu instid0(VALU_DEP_2) | instskip(NEXT) | instid1(VALU_DEP_1)
	v_clz_i32_u32_e32 v0, v0
	v_min_u32_e32 v0, 32, v0
	s_delay_alu instid0(VALU_DEP_1) | instskip(SKIP_1) | instid1(VALU_DEP_2)
	v_subrev_nc_u32_e32 v1, 28, v0
	v_sub_nc_u32_e32 v6, 29, v0
	v_lshlrev_b64_e32 v[8:9], v1, v[24:25]
	s_delay_alu instid0(VALU_DEP_1)
	v_and_b32_e32 v0, 7, v8
; %bb.119:                              ;   in Loop: Header=BB285_15 Depth=1
	s_or_b32 exec_lo, exec_lo, s19
	s_delay_alu instid0(VALU_DEP_1) | instskip(SKIP_1) | instid1(VALU_DEP_2)
	v_dual_lshlrev_b32 v1, 8, v5 :: v_dual_lshlrev_b32 v0, 7, v0
	v_lshl_add_u32 v6, v6, 10, 0x2000
	v_and_b32_e32 v1, 0x8000, v1
	s_delay_alu instid0(VALU_DEP_2) | instskip(NEXT) | instid1(VALU_DEP_1)
	v_and_b32_e32 v6, 0xfc00, v6
	v_or3_b32 v87, v1, v6, v0
.LBB285_120:                            ;   in Loop: Header=BB285_15 Depth=1
	s_or_b32 exec_lo, exec_lo, s18
.LBB285_121:                            ;   in Loop: Header=BB285_15 Depth=1
	s_delay_alu instid0(SALU_CYCLE_1)
	s_or_b32 exec_lo, exec_lo, s17
.LBB285_122:                            ;   in Loop: Header=BB285_15 Depth=1
	s_delay_alu instid0(SALU_CYCLE_1) | instskip(SKIP_3) | instid1(VALU_DEP_2)
	s_or_b32 exec_lo, exec_lo, s16
	v_lshrrev_b16 v24, 8, v24
	v_dual_mov_b32 v45, 0 :: v_dual_mov_b32 v15, 0
	s_mov_b32 s16, exec_lo
	v_cmpx_ne_u16_e32 0, v24
	s_cbranch_execz .LBB285_130
; %bb.123:                              ;   in Loop: Header=BB285_15 Depth=1
	v_bfrev_b32_e32 v15, 1
	s_mov_b32 s17, exec_lo
	v_cmpx_ne_u16_e32 0x80, v24
	s_cbranch_execz .LBB285_129
; %bb.124:                              ;   in Loop: Header=BB285_15 Depth=1
	v_and_b32_e32 v0, 0xffff, v24
	v_mov_b32_e32 v15, 0x7c010000
	s_mov_b32 s18, exec_lo
	s_delay_alu instid0(VALU_DEP_2) | instskip(NEXT) | instid1(VALU_DEP_1)
	v_and_b32_e32 v9, 0x7f, v0
	v_cmpx_ne_u32_e32 0x7f, v9
	s_cbranch_execz .LBB285_128
; %bb.125:                              ;   in Loop: Header=BB285_15 Depth=1
	v_dual_lshrrev_b32 v8, 3, v9 :: v_dual_bitop2_b32 v6, 7, v0 bitop3:0x40
	s_mov_b32 s19, exec_lo
	v_cmpx_gt_u32_e32 8, v9
; %bb.126:                              ;   in Loop: Header=BB285_15 Depth=1
	s_delay_alu instid0(VALU_DEP_2) | instskip(NEXT) | instid1(VALU_DEP_1)
	v_clz_i32_u32_e32 v1, v6
	v_min_u32_e32 v1, 32, v1
	s_delay_alu instid0(VALU_DEP_1) | instskip(NEXT) | instid1(VALU_DEP_1)
	v_subrev_nc_u32_e32 v6, 28, v1
	v_lshlrev_b64_e32 v[10:11], v6, v[24:25]
	s_delay_alu instid0(VALU_DEP_1)
	v_dual_sub_nc_u32 v8, 29, v1 :: v_dual_bitop2_b32 v6, 7, v10 bitop3:0x40
; %bb.127:                              ;   in Loop: Header=BB285_15 Depth=1
	s_or_b32 exec_lo, exec_lo, s19
	v_lshlrev_b32_e32 v0, 8, v0
	s_delay_alu instid0(VALU_DEP_2) | instskip(NEXT) | instid1(VALU_DEP_1)
	v_lshl_add_u32 v1, v8, 10, 0x2000
	v_and_or_b32 v0, 0x8000, v0, v1
	v_lshlrev_b32_e32 v1, 23, v6
	s_delay_alu instid0(VALU_DEP_1)
	v_lshl_or_b32 v15, v0, 16, v1
.LBB285_128:                            ;   in Loop: Header=BB285_15 Depth=1
	s_or_b32 exec_lo, exec_lo, s18
.LBB285_129:                            ;   in Loop: Header=BB285_15 Depth=1
	s_delay_alu instid0(SALU_CYCLE_1)
	s_or_b32 exec_lo, exec_lo, s17
.LBB285_130:                            ;   in Loop: Header=BB285_15 Depth=1
	s_delay_alu instid0(SALU_CYCLE_1) | instskip(SKIP_2) | instid1(VALU_DEP_1)
	s_or_b32 exec_lo, exec_lo, s16
	v_lshrrev_b32_e32 v0, 16, v5
	s_mov_b32 s16, exec_lo
	v_and_b32_e32 v6, 0xff, v0
	s_delay_alu instid0(VALU_DEP_1)
	v_cmpx_ne_u16_e32 0, v6
	s_cbranch_execz .LBB285_138
; %bb.131:                              ;   in Loop: Header=BB285_15 Depth=1
	v_mov_b32_e32 v45, 0x8000
	s_mov_b32 s17, exec_lo
	v_cmpx_ne_u16_e32 0x80, v6
	s_cbranch_execz .LBB285_137
; %bb.132:                              ;   in Loop: Header=BB285_15 Depth=1
	v_bfe_u32 v9, v5, 16, 7
	v_mov_b32_e32 v45, 0x7c01
	s_mov_b32 s18, exec_lo
	s_delay_alu instid0(VALU_DEP_2)
	v_cmpx_ne_u32_e32 0x7f, v9
	s_cbranch_execz .LBB285_136
; %bb.133:                              ;   in Loop: Header=BB285_15 Depth=1
	v_dual_lshrrev_b32 v8, 3, v9 :: v_dual_bitop2_b32 v6, 7, v0 bitop3:0x40
	s_mov_b32 s19, exec_lo
	v_cmpx_gt_u32_e32 8, v9
; %bb.134:                              ;   in Loop: Header=BB285_15 Depth=1
	s_delay_alu instid0(VALU_DEP_2) | instskip(NEXT) | instid1(VALU_DEP_1)
	v_clz_i32_u32_e32 v1, v6
	v_min_u32_e32 v1, 32, v1
	s_delay_alu instid0(VALU_DEP_1) | instskip(NEXT) | instid1(VALU_DEP_1)
	v_subrev_nc_u32_e32 v6, 28, v1
	v_lshlrev_b64_e32 v[10:11], v6, v[0:1]
	s_delay_alu instid0(VALU_DEP_1)
	v_dual_sub_nc_u32 v8, 29, v1 :: v_dual_bitop2_b32 v6, 7, v10 bitop3:0x40
; %bb.135:                              ;   in Loop: Header=BB285_15 Depth=1
	s_or_b32 exec_lo, exec_lo, s19
	s_delay_alu instid0(VALU_DEP_1) | instskip(NEXT) | instid1(VALU_DEP_2)
	v_dual_lshlrev_b32 v0, 8, v0 :: v_dual_lshlrev_b32 v6, 7, v6
	v_lshl_add_u32 v1, v8, 10, 0x2000
	s_delay_alu instid0(VALU_DEP_2) | instskip(NEXT) | instid1(VALU_DEP_2)
	v_and_b32_e32 v0, 0x8000, v0
	v_and_b32_e32 v1, 0xfc00, v1
	s_delay_alu instid0(VALU_DEP_1)
	v_or3_b32 v45, v0, v1, v6
.LBB285_136:                            ;   in Loop: Header=BB285_15 Depth=1
	s_or_b32 exec_lo, exec_lo, s18
.LBB285_137:                            ;   in Loop: Header=BB285_15 Depth=1
	s_delay_alu instid0(SALU_CYCLE_1)
	s_or_b32 exec_lo, exec_lo, s17
.LBB285_138:                            ;   in Loop: Header=BB285_15 Depth=1
	s_delay_alu instid0(SALU_CYCLE_1)
	s_or_b32 exec_lo, exec_lo, s16
	v_dual_mov_b32 v47, 0 :: v_dual_mov_b32 v44, 0
	s_mov_b32 s16, exec_lo
	v_cmpx_lt_u64_e64 s[8:9], v[4:5]
	s_cbranch_execz .LBB285_146
; %bb.139:                              ;   in Loop: Header=BB285_15 Depth=1
	v_lshrrev_b32_e32 v24, 24, v5
	v_bfrev_b32_e32 v44, 1
	s_mov_b32 s17, exec_lo
	s_delay_alu instid0(VALU_DEP_2)
	v_cmpx_ne_u32_e32 0x80, v24
	s_cbranch_execz .LBB285_145
; %bb.140:                              ;   in Loop: Header=BB285_15 Depth=1
	v_and_b32_e32 v5, 0x7f, v24
	v_mov_b32_e32 v44, 0x7c010000
	s_mov_b32 s18, exec_lo
	s_delay_alu instid0(VALU_DEP_2)
	v_cmpx_ne_u32_e32 0x7f, v5
	s_cbranch_execz .LBB285_144
; %bb.141:                              ;   in Loop: Header=BB285_15 Depth=1
	v_dual_lshrrev_b32 v4, 3, v5 :: v_dual_bitop2_b32 v0, 7, v24 bitop3:0x40
	s_mov_b32 s19, exec_lo
	v_cmpx_gt_u32_e32 8, v5
; %bb.142:                              ;   in Loop: Header=BB285_15 Depth=1
	s_delay_alu instid0(VALU_DEP_2) | instskip(NEXT) | instid1(VALU_DEP_1)
	v_clz_i32_u32_e32 v0, v0
	v_min_u32_e32 v0, 32, v0
	s_delay_alu instid0(VALU_DEP_1) | instskip(SKIP_1) | instid1(VALU_DEP_2)
	v_subrev_nc_u32_e32 v1, 28, v0
	v_sub_nc_u32_e32 v4, 29, v0
	v_lshlrev_b64_e32 v[8:9], v1, v[24:25]
	s_delay_alu instid0(VALU_DEP_1)
	v_and_b32_e32 v0, 7, v8
; %bb.143:                              ;   in Loop: Header=BB285_15 Depth=1
	s_or_b32 exec_lo, exec_lo, s19
	v_lshlrev_b32_e32 v1, 8, v24
	v_lshl_add_u32 v4, v4, 10, 0x2000
	s_delay_alu instid0(VALU_DEP_3) | instskip(NEXT) | instid1(VALU_DEP_2)
	v_lshlrev_b32_e32 v0, 23, v0
	v_and_or_b32 v1, 0x8000, v1, v4
	s_delay_alu instid0(VALU_DEP_1)
	v_lshl_or_b32 v44, v1, 16, v0
.LBB285_144:                            ;   in Loop: Header=BB285_15 Depth=1
	s_or_b32 exec_lo, exec_lo, s18
.LBB285_145:                            ;   in Loop: Header=BB285_15 Depth=1
	s_delay_alu instid0(SALU_CYCLE_1)
	s_or_b32 exec_lo, exec_lo, s17
.LBB285_146:                            ;   in Loop: Header=BB285_15 Depth=1
	s_delay_alu instid0(SALU_CYCLE_1)
	s_or_b32 exec_lo, exec_lo, s16
	flat_load_b64 v[4:5], v[2:3] offset:512
	s_mov_b32 s16, exec_lo
	s_wait_loadcnt_dscnt 0x0
	v_and_b32_e32 v0, 0xff, v4
	s_wait_xcnt 0x0
	s_delay_alu instid0(VALU_DEP_1)
	v_cmpx_ne_u16_e32 0, v0
	s_cbranch_execz .LBB285_154
; %bb.147:                              ;   in Loop: Header=BB285_15 Depth=1
	v_mov_b32_e32 v47, 0x8000
	s_mov_b32 s17, exec_lo
	v_cmpx_ne_u16_e32 0x80, v0
	s_cbranch_execz .LBB285_153
; %bb.148:                              ;   in Loop: Header=BB285_15 Depth=1
	v_and_b32_e32 v8, 0x7f, v4
	v_mov_b32_e32 v47, 0x7c01
	s_mov_b32 s18, exec_lo
	s_delay_alu instid0(VALU_DEP_2)
	v_cmpx_ne_u32_e32 0x7f, v8
	s_cbranch_execz .LBB285_152
; %bb.149:                              ;   in Loop: Header=BB285_15 Depth=1
	v_and_b32_e32 v0, 7, v4
	v_lshrrev_b32_e32 v6, 3, v8
	s_mov_b32 s19, exec_lo
	v_cmpx_gt_u32_e32 8, v8
; %bb.150:                              ;   in Loop: Header=BB285_15 Depth=1
	s_delay_alu instid0(VALU_DEP_3) | instskip(NEXT) | instid1(VALU_DEP_1)
	v_clz_i32_u32_e32 v0, v0
	v_min_u32_e32 v0, 32, v0
	s_delay_alu instid0(VALU_DEP_1) | instskip(SKIP_1) | instid1(VALU_DEP_2)
	v_subrev_nc_u32_e32 v1, 28, v0
	v_sub_nc_u32_e32 v6, 29, v0
	v_lshlrev_b64_e32 v[8:9], v1, v[4:5]
	s_delay_alu instid0(VALU_DEP_1)
	v_and_b32_e32 v0, 7, v8
; %bb.151:                              ;   in Loop: Header=BB285_15 Depth=1
	s_or_b32 exec_lo, exec_lo, s19
	v_lshlrev_b32_e32 v1, 8, v4
	v_lshl_add_u32 v6, v6, 10, 0x2000
	s_delay_alu instid0(VALU_DEP_3) | instskip(NEXT) | instid1(VALU_DEP_3)
	v_lshlrev_b32_e32 v0, 7, v0
	v_and_b32_e32 v1, 0x8000, v1
	s_delay_alu instid0(VALU_DEP_3) | instskip(NEXT) | instid1(VALU_DEP_1)
	v_and_b32_e32 v6, 0xfc00, v6
	v_or3_b32 v47, v1, v6, v0
.LBB285_152:                            ;   in Loop: Header=BB285_15 Depth=1
	s_or_b32 exec_lo, exec_lo, s18
.LBB285_153:                            ;   in Loop: Header=BB285_15 Depth=1
	s_delay_alu instid0(SALU_CYCLE_1)
	s_or_b32 exec_lo, exec_lo, s17
.LBB285_154:                            ;   in Loop: Header=BB285_15 Depth=1
	s_delay_alu instid0(SALU_CYCLE_1) | instskip(SKIP_3) | instid1(VALU_DEP_2)
	s_or_b32 exec_lo, exec_lo, s16
	v_lshrrev_b16 v24, 8, v4
	v_dual_mov_b32 v86, 0 :: v_dual_mov_b32 v120, 0
	s_mov_b32 s16, exec_lo
	v_cmpx_ne_u16_e32 0, v24
	s_cbranch_execz .LBB285_162
; %bb.155:                              ;   in Loop: Header=BB285_15 Depth=1
	v_bfrev_b32_e32 v120, 1
	s_mov_b32 s17, exec_lo
	v_cmpx_ne_u16_e32 0x80, v24
	s_cbranch_execz .LBB285_161
; %bb.156:                              ;   in Loop: Header=BB285_15 Depth=1
	v_and_b32_e32 v0, 0xffff, v24
	v_mov_b32_e32 v120, 0x7c010000
	s_mov_b32 s18, exec_lo
	s_delay_alu instid0(VALU_DEP_2) | instskip(NEXT) | instid1(VALU_DEP_1)
	v_and_b32_e32 v9, 0x7f, v0
	v_cmpx_ne_u32_e32 0x7f, v9
	s_cbranch_execz .LBB285_160
; %bb.157:                              ;   in Loop: Header=BB285_15 Depth=1
	v_dual_lshrrev_b32 v8, 3, v9 :: v_dual_bitop2_b32 v6, 7, v0 bitop3:0x40
	s_mov_b32 s19, exec_lo
	v_cmpx_gt_u32_e32 8, v9
; %bb.158:                              ;   in Loop: Header=BB285_15 Depth=1
	s_delay_alu instid0(VALU_DEP_2) | instskip(NEXT) | instid1(VALU_DEP_1)
	v_clz_i32_u32_e32 v1, v6
	v_min_u32_e32 v1, 32, v1
	s_delay_alu instid0(VALU_DEP_1) | instskip(NEXT) | instid1(VALU_DEP_1)
	v_subrev_nc_u32_e32 v6, 28, v1
	v_lshlrev_b64_e32 v[16:17], v6, v[24:25]
	s_delay_alu instid0(VALU_DEP_1)
	v_dual_sub_nc_u32 v8, 29, v1 :: v_dual_bitop2_b32 v6, 7, v16 bitop3:0x40
; %bb.159:                              ;   in Loop: Header=BB285_15 Depth=1
	s_or_b32 exec_lo, exec_lo, s19
	v_lshlrev_b32_e32 v0, 8, v0
	s_delay_alu instid0(VALU_DEP_2) | instskip(NEXT) | instid1(VALU_DEP_1)
	v_lshl_add_u32 v1, v8, 10, 0x2000
	v_and_or_b32 v0, 0x8000, v0, v1
	v_lshlrev_b32_e32 v1, 23, v6
	s_delay_alu instid0(VALU_DEP_1)
	v_lshl_or_b32 v120, v0, 16, v1
.LBB285_160:                            ;   in Loop: Header=BB285_15 Depth=1
	s_or_b32 exec_lo, exec_lo, s18
.LBB285_161:                            ;   in Loop: Header=BB285_15 Depth=1
	s_delay_alu instid0(SALU_CYCLE_1)
	s_or_b32 exec_lo, exec_lo, s17
.LBB285_162:                            ;   in Loop: Header=BB285_15 Depth=1
	s_delay_alu instid0(SALU_CYCLE_1) | instskip(SKIP_2) | instid1(VALU_DEP_1)
	s_or_b32 exec_lo, exec_lo, s16
	v_lshrrev_b32_e32 v0, 16, v4
	s_mov_b32 s16, exec_lo
	v_and_b32_e32 v6, 0xff, v0
	s_delay_alu instid0(VALU_DEP_1)
	v_cmpx_ne_u16_e32 0, v6
	s_cbranch_execz .LBB285_170
; %bb.163:                              ;   in Loop: Header=BB285_15 Depth=1
	v_mov_b32_e32 v86, 0x8000
	s_mov_b32 s17, exec_lo
	v_cmpx_ne_u16_e32 0x80, v6
	s_cbranch_execz .LBB285_169
; %bb.164:                              ;   in Loop: Header=BB285_15 Depth=1
	v_bfe_u32 v9, v4, 16, 7
	v_mov_b32_e32 v86, 0x7c01
	s_mov_b32 s18, exec_lo
	s_delay_alu instid0(VALU_DEP_2)
	v_cmpx_ne_u32_e32 0x7f, v9
	s_cbranch_execz .LBB285_168
; %bb.165:                              ;   in Loop: Header=BB285_15 Depth=1
	v_dual_lshrrev_b32 v8, 3, v9 :: v_dual_bitop2_b32 v6, 7, v0 bitop3:0x40
	s_mov_b32 s19, exec_lo
	v_cmpx_gt_u32_e32 8, v9
; %bb.166:                              ;   in Loop: Header=BB285_15 Depth=1
	s_delay_alu instid0(VALU_DEP_2) | instskip(NEXT) | instid1(VALU_DEP_1)
	v_clz_i32_u32_e32 v1, v6
	v_min_u32_e32 v1, 32, v1
	s_delay_alu instid0(VALU_DEP_1) | instskip(NEXT) | instid1(VALU_DEP_1)
	v_subrev_nc_u32_e32 v6, 28, v1
	v_lshlrev_b64_e32 v[16:17], v6, v[0:1]
	s_delay_alu instid0(VALU_DEP_1)
	v_dual_sub_nc_u32 v8, 29, v1 :: v_dual_bitop2_b32 v6, 7, v16 bitop3:0x40
; %bb.167:                              ;   in Loop: Header=BB285_15 Depth=1
	s_or_b32 exec_lo, exec_lo, s19
	s_delay_alu instid0(VALU_DEP_1) | instskip(NEXT) | instid1(VALU_DEP_2)
	v_dual_lshlrev_b32 v0, 8, v0 :: v_dual_lshlrev_b32 v6, 7, v6
	v_lshl_add_u32 v1, v8, 10, 0x2000
	s_delay_alu instid0(VALU_DEP_2) | instskip(NEXT) | instid1(VALU_DEP_2)
	v_and_b32_e32 v0, 0x8000, v0
	v_and_b32_e32 v1, 0xfc00, v1
	s_delay_alu instid0(VALU_DEP_1)
	v_or3_b32 v86, v0, v1, v6
.LBB285_168:                            ;   in Loop: Header=BB285_15 Depth=1
	s_or_b32 exec_lo, exec_lo, s18
.LBB285_169:                            ;   in Loop: Header=BB285_15 Depth=1
	s_delay_alu instid0(SALU_CYCLE_1)
	s_or_b32 exec_lo, exec_lo, s17
.LBB285_170:                            ;   in Loop: Header=BB285_15 Depth=1
	s_delay_alu instid0(SALU_CYCLE_1)
	s_or_b32 exec_lo, exec_lo, s16
	v_dual_mov_b32 v121, 0 :: v_dual_mov_b32 v117, 0
	s_mov_b32 s16, exec_lo
	v_cmpx_lt_u32_e32 0xffffff, v4
	s_cbranch_execz .LBB285_178
; %bb.171:                              ;   in Loop: Header=BB285_15 Depth=1
	v_lshrrev_b32_e32 v24, 24, v4
	v_bfrev_b32_e32 v117, 1
	s_mov_b32 s17, exec_lo
	s_delay_alu instid0(VALU_DEP_2)
	v_cmpx_ne_u32_e32 0x80, v24
	s_cbranch_execz .LBB285_177
; %bb.172:                              ;   in Loop: Header=BB285_15 Depth=1
	v_and_b32_e32 v8, 0x7f, v24
	v_mov_b32_e32 v117, 0x7c010000
	s_mov_b32 s18, exec_lo
	s_delay_alu instid0(VALU_DEP_2)
	v_cmpx_ne_u32_e32 0x7f, v8
	s_cbranch_execz .LBB285_176
; %bb.173:                              ;   in Loop: Header=BB285_15 Depth=1
	v_and_b32_e32 v0, 7, v24
	v_lshrrev_b32_e32 v6, 3, v8
	s_mov_b32 s19, exec_lo
	v_cmpx_gt_u32_e32 8, v8
; %bb.174:                              ;   in Loop: Header=BB285_15 Depth=1
	s_delay_alu instid0(VALU_DEP_3) | instskip(NEXT) | instid1(VALU_DEP_1)
	v_clz_i32_u32_e32 v0, v0
	v_min_u32_e32 v0, 32, v0
	s_delay_alu instid0(VALU_DEP_1) | instskip(SKIP_1) | instid1(VALU_DEP_2)
	v_subrev_nc_u32_e32 v1, 28, v0
	v_sub_nc_u32_e32 v6, 29, v0
	v_lshlrev_b64_e32 v[8:9], v1, v[24:25]
	s_delay_alu instid0(VALU_DEP_1)
	v_and_b32_e32 v0, 7, v8
; %bb.175:                              ;   in Loop: Header=BB285_15 Depth=1
	s_or_b32 exec_lo, exec_lo, s19
	v_lshlrev_b32_e32 v1, 8, v24
	v_lshl_add_u32 v6, v6, 10, 0x2000
	s_delay_alu instid0(VALU_DEP_3) | instskip(NEXT) | instid1(VALU_DEP_2)
	v_lshlrev_b32_e32 v0, 23, v0
	v_and_or_b32 v1, 0x8000, v1, v6
	s_delay_alu instid0(VALU_DEP_1)
	v_lshl_or_b32 v117, v1, 16, v0
.LBB285_176:                            ;   in Loop: Header=BB285_15 Depth=1
	s_or_b32 exec_lo, exec_lo, s18
.LBB285_177:                            ;   in Loop: Header=BB285_15 Depth=1
	s_delay_alu instid0(SALU_CYCLE_1)
	s_or_b32 exec_lo, exec_lo, s17
.LBB285_178:                            ;   in Loop: Header=BB285_15 Depth=1
	s_delay_alu instid0(SALU_CYCLE_1) | instskip(SKIP_3) | instid1(VALU_DEP_2)
	s_or_b32 exec_lo, exec_lo, s16
	v_and_b32_e32 v0, 0xff, v5
	v_mov_b32_e32 v24, v5
	s_mov_b32 s16, exec_lo
	v_cmpx_ne_u16_e32 0, v0
	s_cbranch_execz .LBB285_186
; %bb.179:                              ;   in Loop: Header=BB285_15 Depth=1
	v_mov_b32_e32 v121, 0x8000
	s_mov_b32 s17, exec_lo
	v_cmpx_ne_u16_e32 0x80, v0
	s_cbranch_execz .LBB285_185
; %bb.180:                              ;   in Loop: Header=BB285_15 Depth=1
	v_and_b32_e32 v8, 0x7f, v5
	v_mov_b32_e32 v121, 0x7c01
	s_mov_b32 s18, exec_lo
	s_delay_alu instid0(VALU_DEP_2)
	v_cmpx_ne_u32_e32 0x7f, v8
	s_cbranch_execz .LBB285_184
; %bb.181:                              ;   in Loop: Header=BB285_15 Depth=1
	v_dual_lshrrev_b32 v6, 3, v8 :: v_dual_bitop2_b32 v0, 7, v5 bitop3:0x40
	s_mov_b32 s19, exec_lo
	v_cmpx_gt_u32_e32 8, v8
; %bb.182:                              ;   in Loop: Header=BB285_15 Depth=1
	s_delay_alu instid0(VALU_DEP_2) | instskip(NEXT) | instid1(VALU_DEP_1)
	v_clz_i32_u32_e32 v0, v0
	v_min_u32_e32 v0, 32, v0
	s_delay_alu instid0(VALU_DEP_1) | instskip(SKIP_1) | instid1(VALU_DEP_2)
	v_subrev_nc_u32_e32 v1, 28, v0
	v_sub_nc_u32_e32 v6, 29, v0
	v_lshlrev_b64_e32 v[8:9], v1, v[24:25]
	s_delay_alu instid0(VALU_DEP_1)
	v_and_b32_e32 v0, 7, v8
; %bb.183:                              ;   in Loop: Header=BB285_15 Depth=1
	s_or_b32 exec_lo, exec_lo, s19
	s_delay_alu instid0(VALU_DEP_1) | instskip(SKIP_1) | instid1(VALU_DEP_2)
	v_dual_lshlrev_b32 v1, 8, v5 :: v_dual_lshlrev_b32 v0, 7, v0
	v_lshl_add_u32 v6, v6, 10, 0x2000
	v_and_b32_e32 v1, 0x8000, v1
	s_delay_alu instid0(VALU_DEP_2) | instskip(NEXT) | instid1(VALU_DEP_1)
	v_and_b32_e32 v6, 0xfc00, v6
	v_or3_b32 v121, v1, v6, v0
.LBB285_184:                            ;   in Loop: Header=BB285_15 Depth=1
	s_or_b32 exec_lo, exec_lo, s18
.LBB285_185:                            ;   in Loop: Header=BB285_15 Depth=1
	s_delay_alu instid0(SALU_CYCLE_1)
	s_or_b32 exec_lo, exec_lo, s17
.LBB285_186:                            ;   in Loop: Header=BB285_15 Depth=1
	s_delay_alu instid0(SALU_CYCLE_1) | instskip(SKIP_3) | instid1(VALU_DEP_2)
	s_or_b32 exec_lo, exec_lo, s16
	v_lshrrev_b16 v24, 8, v24
	v_dual_mov_b32 v113, 0 :: v_dual_mov_b32 v112, 0
	s_mov_b32 s16, exec_lo
	v_cmpx_ne_u16_e32 0, v24
	s_cbranch_execz .LBB285_194
; %bb.187:                              ;   in Loop: Header=BB285_15 Depth=1
	v_bfrev_b32_e32 v112, 1
	s_mov_b32 s17, exec_lo
	v_cmpx_ne_u16_e32 0x80, v24
	s_cbranch_execz .LBB285_193
; %bb.188:                              ;   in Loop: Header=BB285_15 Depth=1
	v_and_b32_e32 v0, 0xffff, v24
	v_mov_b32_e32 v112, 0x7c010000
	s_mov_b32 s18, exec_lo
	s_delay_alu instid0(VALU_DEP_2) | instskip(NEXT) | instid1(VALU_DEP_1)
	v_and_b32_e32 v9, 0x7f, v0
	v_cmpx_ne_u32_e32 0x7f, v9
	s_cbranch_execz .LBB285_192
; %bb.189:                              ;   in Loop: Header=BB285_15 Depth=1
	v_dual_lshrrev_b32 v8, 3, v9 :: v_dual_bitop2_b32 v6, 7, v0 bitop3:0x40
	s_mov_b32 s19, exec_lo
	v_cmpx_gt_u32_e32 8, v9
; %bb.190:                              ;   in Loop: Header=BB285_15 Depth=1
	s_delay_alu instid0(VALU_DEP_2) | instskip(NEXT) | instid1(VALU_DEP_1)
	v_clz_i32_u32_e32 v1, v6
	v_min_u32_e32 v1, 32, v1
	s_delay_alu instid0(VALU_DEP_1) | instskip(NEXT) | instid1(VALU_DEP_1)
	v_subrev_nc_u32_e32 v6, 28, v1
	v_lshlrev_b64_e32 v[16:17], v6, v[24:25]
	s_delay_alu instid0(VALU_DEP_1)
	v_dual_sub_nc_u32 v8, 29, v1 :: v_dual_bitop2_b32 v6, 7, v16 bitop3:0x40
; %bb.191:                              ;   in Loop: Header=BB285_15 Depth=1
	s_or_b32 exec_lo, exec_lo, s19
	v_lshlrev_b32_e32 v0, 8, v0
	s_delay_alu instid0(VALU_DEP_2) | instskip(NEXT) | instid1(VALU_DEP_1)
	v_lshl_add_u32 v1, v8, 10, 0x2000
	v_and_or_b32 v0, 0x8000, v0, v1
	v_lshlrev_b32_e32 v1, 23, v6
	s_delay_alu instid0(VALU_DEP_1)
	v_lshl_or_b32 v112, v0, 16, v1
.LBB285_192:                            ;   in Loop: Header=BB285_15 Depth=1
	s_or_b32 exec_lo, exec_lo, s18
.LBB285_193:                            ;   in Loop: Header=BB285_15 Depth=1
	s_delay_alu instid0(SALU_CYCLE_1)
	s_or_b32 exec_lo, exec_lo, s17
.LBB285_194:                            ;   in Loop: Header=BB285_15 Depth=1
	s_delay_alu instid0(SALU_CYCLE_1) | instskip(SKIP_2) | instid1(VALU_DEP_1)
	s_or_b32 exec_lo, exec_lo, s16
	v_lshrrev_b32_e32 v0, 16, v5
	s_mov_b32 s16, exec_lo
	v_and_b32_e32 v6, 0xff, v0
	s_delay_alu instid0(VALU_DEP_1)
	v_cmpx_ne_u16_e32 0, v6
	s_cbranch_execz .LBB285_202
; %bb.195:                              ;   in Loop: Header=BB285_15 Depth=1
	v_mov_b32_e32 v113, 0x8000
	s_mov_b32 s17, exec_lo
	v_cmpx_ne_u16_e32 0x80, v6
	s_cbranch_execz .LBB285_201
; %bb.196:                              ;   in Loop: Header=BB285_15 Depth=1
	v_bfe_u32 v9, v5, 16, 7
	v_mov_b32_e32 v113, 0x7c01
	s_mov_b32 s18, exec_lo
	s_delay_alu instid0(VALU_DEP_2)
	v_cmpx_ne_u32_e32 0x7f, v9
	s_cbranch_execz .LBB285_200
; %bb.197:                              ;   in Loop: Header=BB285_15 Depth=1
	v_dual_lshrrev_b32 v8, 3, v9 :: v_dual_bitop2_b32 v6, 7, v0 bitop3:0x40
	s_mov_b32 s19, exec_lo
	v_cmpx_gt_u32_e32 8, v9
; %bb.198:                              ;   in Loop: Header=BB285_15 Depth=1
	s_delay_alu instid0(VALU_DEP_2) | instskip(NEXT) | instid1(VALU_DEP_1)
	v_clz_i32_u32_e32 v1, v6
	v_min_u32_e32 v1, 32, v1
	s_delay_alu instid0(VALU_DEP_1) | instskip(NEXT) | instid1(VALU_DEP_1)
	v_subrev_nc_u32_e32 v6, 28, v1
	v_lshlrev_b64_e32 v[16:17], v6, v[0:1]
	s_delay_alu instid0(VALU_DEP_1)
	v_dual_sub_nc_u32 v8, 29, v1 :: v_dual_bitop2_b32 v6, 7, v16 bitop3:0x40
; %bb.199:                              ;   in Loop: Header=BB285_15 Depth=1
	s_or_b32 exec_lo, exec_lo, s19
	s_delay_alu instid0(VALU_DEP_1) | instskip(NEXT) | instid1(VALU_DEP_2)
	v_dual_lshlrev_b32 v0, 8, v0 :: v_dual_lshlrev_b32 v6, 7, v6
	v_lshl_add_u32 v1, v8, 10, 0x2000
	s_delay_alu instid0(VALU_DEP_2) | instskip(NEXT) | instid1(VALU_DEP_2)
	v_and_b32_e32 v0, 0x8000, v0
	v_and_b32_e32 v1, 0xfc00, v1
	s_delay_alu instid0(VALU_DEP_1)
	v_or3_b32 v113, v0, v1, v6
.LBB285_200:                            ;   in Loop: Header=BB285_15 Depth=1
	s_or_b32 exec_lo, exec_lo, s18
.LBB285_201:                            ;   in Loop: Header=BB285_15 Depth=1
	s_delay_alu instid0(SALU_CYCLE_1)
	s_or_b32 exec_lo, exec_lo, s17
.LBB285_202:                            ;   in Loop: Header=BB285_15 Depth=1
	s_delay_alu instid0(SALU_CYCLE_1)
	s_or_b32 exec_lo, exec_lo, s16
	v_dual_mov_b32 v46, 0 :: v_dual_mov_b32 v0, 0
	s_mov_b32 s16, exec_lo
	scratch_store_b32 off, v0, s32 offset:236 ; 4-byte Folded Spill
	s_wait_xcnt 0x0
	v_cmpx_lt_u64_e64 s[8:9], v[4:5]
	s_cbranch_execz .LBB285_210
; %bb.203:                              ;   in Loop: Header=BB285_15 Depth=1
	v_lshrrev_b32_e32 v24, 24, v5
	v_bfrev_b32_e32 v0, 1
	s_mov_b32 s17, exec_lo
	scratch_store_b32 off, v0, s32 offset:236 ; 4-byte Folded Spill
	s_wait_xcnt 0x0
	v_cmpx_ne_u32_e32 0x80, v24
	s_cbranch_execz .LBB285_209
; %bb.204:                              ;   in Loop: Header=BB285_15 Depth=1
	v_and_b32_e32 v5, 0x7f, v24
	v_mov_b32_e32 v0, 0x7c010000
	s_mov_b32 s18, exec_lo
	scratch_store_b32 off, v0, s32 offset:236 ; 4-byte Folded Spill
	s_wait_xcnt 0x0
	v_cmpx_ne_u32_e32 0x7f, v5
	s_cbranch_execz .LBB285_208
; %bb.205:                              ;   in Loop: Header=BB285_15 Depth=1
	v_dual_lshrrev_b32 v4, 3, v5 :: v_dual_bitop2_b32 v0, 7, v24 bitop3:0x40
	s_mov_b32 s19, exec_lo
	v_cmpx_gt_u32_e32 8, v5
; %bb.206:                              ;   in Loop: Header=BB285_15 Depth=1
	s_delay_alu instid0(VALU_DEP_2) | instskip(NEXT) | instid1(VALU_DEP_1)
	v_clz_i32_u32_e32 v0, v0
	v_min_u32_e32 v0, 32, v0
	s_delay_alu instid0(VALU_DEP_1) | instskip(SKIP_1) | instid1(VALU_DEP_2)
	v_subrev_nc_u32_e32 v1, 28, v0
	v_sub_nc_u32_e32 v4, 29, v0
	v_lshlrev_b64_e32 v[8:9], v1, v[24:25]
	s_delay_alu instid0(VALU_DEP_1)
	v_and_b32_e32 v0, 7, v8
; %bb.207:                              ;   in Loop: Header=BB285_15 Depth=1
	s_or_b32 exec_lo, exec_lo, s19
	v_lshlrev_b32_e32 v1, 8, v24
	v_lshl_add_u32 v4, v4, 10, 0x2000
	s_delay_alu instid0(VALU_DEP_3) | instskip(NEXT) | instid1(VALU_DEP_2)
	v_lshlrev_b32_e32 v0, 23, v0
	v_and_or_b32 v1, 0x8000, v1, v4
	s_delay_alu instid0(VALU_DEP_1)
	v_lshl_or_b32 v0, v1, 16, v0
	scratch_store_b32 off, v0, s32 offset:236 ; 4-byte Folded Spill
.LBB285_208:                            ;   in Loop: Header=BB285_15 Depth=1
	s_wait_xcnt 0x0
	s_or_b32 exec_lo, exec_lo, s18
.LBB285_209:                            ;   in Loop: Header=BB285_15 Depth=1
	s_delay_alu instid0(SALU_CYCLE_1)
	s_or_b32 exec_lo, exec_lo, s17
.LBB285_210:                            ;   in Loop: Header=BB285_15 Depth=1
	s_delay_alu instid0(SALU_CYCLE_1)
	s_or_b32 exec_lo, exec_lo, s16
	flat_load_b64 v[4:5], v[2:3] offset:520
	s_mov_b32 s16, exec_lo
	s_wait_loadcnt_dscnt 0x0
	v_and_b32_e32 v0, 0xff, v4
	s_wait_xcnt 0x0
	s_delay_alu instid0(VALU_DEP_1)
	v_cmpx_ne_u16_e32 0, v0
	s_cbranch_execz .LBB285_218
; %bb.211:                              ;   in Loop: Header=BB285_15 Depth=1
	v_mov_b32_e32 v46, 0x8000
	s_mov_b32 s17, exec_lo
	v_cmpx_ne_u16_e32 0x80, v0
	s_cbranch_execz .LBB285_217
; %bb.212:                              ;   in Loop: Header=BB285_15 Depth=1
	v_and_b32_e32 v8, 0x7f, v4
	v_mov_b32_e32 v46, 0x7c01
	s_mov_b32 s18, exec_lo
	s_delay_alu instid0(VALU_DEP_2)
	v_cmpx_ne_u32_e32 0x7f, v8
	s_cbranch_execz .LBB285_216
; %bb.213:                              ;   in Loop: Header=BB285_15 Depth=1
	v_and_b32_e32 v0, 7, v4
	v_lshrrev_b32_e32 v6, 3, v8
	s_mov_b32 s19, exec_lo
	v_cmpx_gt_u32_e32 8, v8
; %bb.214:                              ;   in Loop: Header=BB285_15 Depth=1
	s_delay_alu instid0(VALU_DEP_3) | instskip(NEXT) | instid1(VALU_DEP_1)
	v_clz_i32_u32_e32 v0, v0
	v_min_u32_e32 v0, 32, v0
	s_delay_alu instid0(VALU_DEP_1) | instskip(SKIP_1) | instid1(VALU_DEP_2)
	v_subrev_nc_u32_e32 v1, 28, v0
	v_sub_nc_u32_e32 v6, 29, v0
	v_lshlrev_b64_e32 v[8:9], v1, v[4:5]
	s_delay_alu instid0(VALU_DEP_1)
	v_and_b32_e32 v0, 7, v8
; %bb.215:                              ;   in Loop: Header=BB285_15 Depth=1
	s_or_b32 exec_lo, exec_lo, s19
	v_lshlrev_b32_e32 v1, 8, v4
	v_lshl_add_u32 v6, v6, 10, 0x2000
	s_delay_alu instid0(VALU_DEP_3) | instskip(NEXT) | instid1(VALU_DEP_3)
	v_lshlrev_b32_e32 v0, 7, v0
	v_and_b32_e32 v1, 0x8000, v1
	s_delay_alu instid0(VALU_DEP_3) | instskip(NEXT) | instid1(VALU_DEP_1)
	v_and_b32_e32 v6, 0xfc00, v6
	v_or3_b32 v46, v1, v6, v0
.LBB285_216:                            ;   in Loop: Header=BB285_15 Depth=1
	s_or_b32 exec_lo, exec_lo, s18
.LBB285_217:                            ;   in Loop: Header=BB285_15 Depth=1
	s_delay_alu instid0(SALU_CYCLE_1)
	s_or_b32 exec_lo, exec_lo, s17
.LBB285_218:                            ;   in Loop: Header=BB285_15 Depth=1
	s_delay_alu instid0(SALU_CYCLE_1)
	s_or_b32 exec_lo, exec_lo, s16
	v_mov_b32_e32 v0, 0
	v_lshrrev_b16 v24, 8, v4
	s_mov_b32 s16, exec_lo
	scratch_store_b32 off, v0, s32 offset:240 ; 4-byte Folded Spill
	s_wait_xcnt 0x0
	v_mov_b32_e32 v0, 0
	scratch_store_b32 off, v0, s32 offset:244 ; 4-byte Folded Spill
	s_wait_xcnt 0x0
	v_cmpx_ne_u16_e32 0, v24
	s_cbranch_execz .LBB285_226
; %bb.219:                              ;   in Loop: Header=BB285_15 Depth=1
	v_bfrev_b32_e32 v0, 1
	s_mov_b32 s17, exec_lo
	scratch_store_b32 off, v0, s32 offset:244 ; 4-byte Folded Spill
	s_wait_xcnt 0x0
	v_cmpx_ne_u16_e32 0x80, v24
	s_cbranch_execz .LBB285_225
; %bb.220:                              ;   in Loop: Header=BB285_15 Depth=1
	v_and_b32_e32 v0, 0xffff, v24
	v_mov_b32_e32 v1, 0x7c010000
	s_mov_b32 s18, exec_lo
	s_delay_alu instid0(VALU_DEP_2)
	v_and_b32_e32 v9, 0x7f, v0
	scratch_store_b32 off, v1, s32 offset:244 ; 4-byte Folded Spill
	s_wait_xcnt 0x0
	v_cmpx_ne_u32_e32 0x7f, v9
	s_cbranch_execz .LBB285_224
; %bb.221:                              ;   in Loop: Header=BB285_15 Depth=1
	v_dual_lshrrev_b32 v8, 3, v9 :: v_dual_bitop2_b32 v6, 7, v0 bitop3:0x40
	s_mov_b32 s19, exec_lo
	v_cmpx_gt_u32_e32 8, v9
; %bb.222:                              ;   in Loop: Header=BB285_15 Depth=1
	s_delay_alu instid0(VALU_DEP_2) | instskip(NEXT) | instid1(VALU_DEP_1)
	v_clz_i32_u32_e32 v1, v6
	v_min_u32_e32 v1, 32, v1
	s_delay_alu instid0(VALU_DEP_1) | instskip(NEXT) | instid1(VALU_DEP_1)
	v_subrev_nc_u32_e32 v6, 28, v1
	v_lshlrev_b64_e32 v[16:17], v6, v[24:25]
	s_delay_alu instid0(VALU_DEP_1)
	v_dual_sub_nc_u32 v8, 29, v1 :: v_dual_bitop2_b32 v6, 7, v16 bitop3:0x40
; %bb.223:                              ;   in Loop: Header=BB285_15 Depth=1
	s_or_b32 exec_lo, exec_lo, s19
	v_lshlrev_b32_e32 v0, 8, v0
	s_delay_alu instid0(VALU_DEP_2) | instskip(NEXT) | instid1(VALU_DEP_1)
	v_lshl_add_u32 v1, v8, 10, 0x2000
	v_and_or_b32 v0, 0x8000, v0, v1
	v_lshlrev_b32_e32 v1, 23, v6
	s_delay_alu instid0(VALU_DEP_1)
	v_lshl_or_b32 v0, v0, 16, v1
	scratch_store_b32 off, v0, s32 offset:244 ; 4-byte Folded Spill
.LBB285_224:                            ;   in Loop: Header=BB285_15 Depth=1
	s_wait_xcnt 0x0
	s_or_b32 exec_lo, exec_lo, s18
.LBB285_225:                            ;   in Loop: Header=BB285_15 Depth=1
	s_delay_alu instid0(SALU_CYCLE_1)
	s_or_b32 exec_lo, exec_lo, s17
.LBB285_226:                            ;   in Loop: Header=BB285_15 Depth=1
	s_delay_alu instid0(SALU_CYCLE_1) | instskip(SKIP_2) | instid1(VALU_DEP_1)
	s_or_b32 exec_lo, exec_lo, s16
	v_lshrrev_b32_e32 v0, 16, v4
	s_mov_b32 s16, exec_lo
	v_and_b32_e32 v6, 0xff, v0
	s_delay_alu instid0(VALU_DEP_1)
	v_cmpx_ne_u16_e32 0, v6
	s_cbranch_execz .LBB285_234
; %bb.227:                              ;   in Loop: Header=BB285_15 Depth=1
	v_mov_b32_e32 v1, 0x8000
	s_mov_b32 s17, exec_lo
	scratch_store_b32 off, v1, s32 offset:240 ; 4-byte Folded Spill
	s_wait_xcnt 0x0
	v_cmpx_ne_u16_e32 0x80, v6
	s_cbranch_execz .LBB285_233
; %bb.228:                              ;   in Loop: Header=BB285_15 Depth=1
	v_bfe_u32 v9, v4, 16, 7
	v_mov_b32_e32 v1, 0x7c01
	s_mov_b32 s18, exec_lo
	scratch_store_b32 off, v1, s32 offset:240 ; 4-byte Folded Spill
	s_wait_xcnt 0x0
	v_cmpx_ne_u32_e32 0x7f, v9
	s_cbranch_execz .LBB285_232
; %bb.229:                              ;   in Loop: Header=BB285_15 Depth=1
	v_dual_lshrrev_b32 v8, 3, v9 :: v_dual_bitop2_b32 v6, 7, v0 bitop3:0x40
	s_mov_b32 s19, exec_lo
	v_cmpx_gt_u32_e32 8, v9
; %bb.230:                              ;   in Loop: Header=BB285_15 Depth=1
	s_delay_alu instid0(VALU_DEP_2) | instskip(NEXT) | instid1(VALU_DEP_1)
	v_clz_i32_u32_e32 v1, v6
	v_min_u32_e32 v1, 32, v1
	s_delay_alu instid0(VALU_DEP_1) | instskip(NEXT) | instid1(VALU_DEP_1)
	v_subrev_nc_u32_e32 v6, 28, v1
	v_lshlrev_b64_e32 v[16:17], v6, v[0:1]
	s_delay_alu instid0(VALU_DEP_1)
	v_dual_sub_nc_u32 v8, 29, v1 :: v_dual_bitop2_b32 v6, 7, v16 bitop3:0x40
; %bb.231:                              ;   in Loop: Header=BB285_15 Depth=1
	s_or_b32 exec_lo, exec_lo, s19
	s_delay_alu instid0(VALU_DEP_1) | instskip(NEXT) | instid1(VALU_DEP_2)
	v_dual_lshlrev_b32 v0, 8, v0 :: v_dual_lshlrev_b32 v6, 7, v6
	v_lshl_add_u32 v1, v8, 10, 0x2000
	s_delay_alu instid0(VALU_DEP_2) | instskip(NEXT) | instid1(VALU_DEP_2)
	v_and_b32_e32 v0, 0x8000, v0
	v_and_b32_e32 v1, 0xfc00, v1
	s_delay_alu instid0(VALU_DEP_1)
	v_or3_b32 v0, v0, v1, v6
	scratch_store_b32 off, v0, s32 offset:240 ; 4-byte Folded Spill
.LBB285_232:                            ;   in Loop: Header=BB285_15 Depth=1
	s_wait_xcnt 0x0
	s_or_b32 exec_lo, exec_lo, s18
.LBB285_233:                            ;   in Loop: Header=BB285_15 Depth=1
	s_delay_alu instid0(SALU_CYCLE_1)
	s_or_b32 exec_lo, exec_lo, s17
.LBB285_234:                            ;   in Loop: Header=BB285_15 Depth=1
	s_delay_alu instid0(SALU_CYCLE_1)
	s_or_b32 exec_lo, exec_lo, s16
	v_mov_b32_e32 v0, 0
	s_mov_b32 s16, exec_lo
	scratch_store_b32 off, v0, s32 offset:248 ; 4-byte Folded Spill
	s_wait_xcnt 0x0
	v_mov_b32_e32 v0, 0
	scratch_store_b32 off, v0, s32 offset:252 ; 4-byte Folded Spill
	s_wait_xcnt 0x0
	v_cmpx_lt_u32_e32 0xffffff, v4
	s_cbranch_execz .LBB285_242
; %bb.235:                              ;   in Loop: Header=BB285_15 Depth=1
	v_lshrrev_b32_e32 v24, 24, v4
	v_bfrev_b32_e32 v0, 1
	s_mov_b32 s17, exec_lo
	scratch_store_b32 off, v0, s32 offset:252 ; 4-byte Folded Spill
	s_wait_xcnt 0x0
	v_cmpx_ne_u32_e32 0x80, v24
	s_cbranch_execz .LBB285_241
; %bb.236:                              ;   in Loop: Header=BB285_15 Depth=1
	v_and_b32_e32 v8, 0x7f, v24
	v_mov_b32_e32 v0, 0x7c010000
	s_mov_b32 s18, exec_lo
	scratch_store_b32 off, v0, s32 offset:252 ; 4-byte Folded Spill
	s_wait_xcnt 0x0
	v_cmpx_ne_u32_e32 0x7f, v8
	s_cbranch_execz .LBB285_240
; %bb.237:                              ;   in Loop: Header=BB285_15 Depth=1
	v_and_b32_e32 v0, 7, v24
	v_lshrrev_b32_e32 v6, 3, v8
	s_mov_b32 s19, exec_lo
	v_cmpx_gt_u32_e32 8, v8
; %bb.238:                              ;   in Loop: Header=BB285_15 Depth=1
	s_delay_alu instid0(VALU_DEP_3) | instskip(NEXT) | instid1(VALU_DEP_1)
	v_clz_i32_u32_e32 v0, v0
	v_min_u32_e32 v0, 32, v0
	s_delay_alu instid0(VALU_DEP_1) | instskip(SKIP_1) | instid1(VALU_DEP_2)
	v_subrev_nc_u32_e32 v1, 28, v0
	v_sub_nc_u32_e32 v6, 29, v0
	v_lshlrev_b64_e32 v[8:9], v1, v[24:25]
	s_delay_alu instid0(VALU_DEP_1)
	v_and_b32_e32 v0, 7, v8
; %bb.239:                              ;   in Loop: Header=BB285_15 Depth=1
	s_or_b32 exec_lo, exec_lo, s19
	v_lshlrev_b32_e32 v1, 8, v24
	v_lshl_add_u32 v6, v6, 10, 0x2000
	s_delay_alu instid0(VALU_DEP_3) | instskip(NEXT) | instid1(VALU_DEP_2)
	v_lshlrev_b32_e32 v0, 23, v0
	v_and_or_b32 v1, 0x8000, v1, v6
	s_delay_alu instid0(VALU_DEP_1)
	v_lshl_or_b32 v0, v1, 16, v0
	scratch_store_b32 off, v0, s32 offset:252 ; 4-byte Folded Spill
.LBB285_240:                            ;   in Loop: Header=BB285_15 Depth=1
	s_wait_xcnt 0x0
	s_or_b32 exec_lo, exec_lo, s18
.LBB285_241:                            ;   in Loop: Header=BB285_15 Depth=1
	s_delay_alu instid0(SALU_CYCLE_1)
	s_or_b32 exec_lo, exec_lo, s17
.LBB285_242:                            ;   in Loop: Header=BB285_15 Depth=1
	s_delay_alu instid0(SALU_CYCLE_1) | instskip(SKIP_3) | instid1(VALU_DEP_2)
	s_or_b32 exec_lo, exec_lo, s16
	v_and_b32_e32 v0, 0xff, v5
	v_mov_b32_e32 v24, v5
	s_mov_b32 s16, exec_lo
	v_cmpx_ne_u16_e32 0, v0
	s_cbranch_execz .LBB285_250
; %bb.243:                              ;   in Loop: Header=BB285_15 Depth=1
	v_cmp_ne_u16_e64 s1, 0x80, v0
	v_mov_b32_e32 v0, 0x8000
	scratch_store_b32 off, v0, s32 offset:248 ; 4-byte Folded Spill
	s_wait_xcnt 0x0
	s_and_saveexec_b32 s17, s1
	s_cbranch_execz .LBB285_249
; %bb.244:                              ;   in Loop: Header=BB285_15 Depth=1
	v_and_b32_e32 v8, 0x7f, v5
	v_mov_b32_e32 v0, 0x7c01
	s_mov_b32 s18, exec_lo
	scratch_store_b32 off, v0, s32 offset:248 ; 4-byte Folded Spill
	s_wait_xcnt 0x0
	v_cmpx_ne_u32_e32 0x7f, v8
	s_cbranch_execz .LBB285_248
; %bb.245:                              ;   in Loop: Header=BB285_15 Depth=1
	v_dual_lshrrev_b32 v6, 3, v8 :: v_dual_bitop2_b32 v0, 7, v5 bitop3:0x40
	s_mov_b32 s19, exec_lo
	v_cmpx_gt_u32_e32 8, v8
; %bb.246:                              ;   in Loop: Header=BB285_15 Depth=1
	s_delay_alu instid0(VALU_DEP_2) | instskip(NEXT) | instid1(VALU_DEP_1)
	v_clz_i32_u32_e32 v0, v0
	v_min_u32_e32 v0, 32, v0
	s_delay_alu instid0(VALU_DEP_1) | instskip(SKIP_1) | instid1(VALU_DEP_2)
	v_subrev_nc_u32_e32 v1, 28, v0
	v_sub_nc_u32_e32 v6, 29, v0
	v_lshlrev_b64_e32 v[8:9], v1, v[24:25]
	s_delay_alu instid0(VALU_DEP_1)
	v_and_b32_e32 v0, 7, v8
; %bb.247:                              ;   in Loop: Header=BB285_15 Depth=1
	s_or_b32 exec_lo, exec_lo, s19
	s_delay_alu instid0(VALU_DEP_1) | instskip(SKIP_1) | instid1(VALU_DEP_2)
	v_dual_lshlrev_b32 v1, 8, v5 :: v_dual_lshlrev_b32 v0, 7, v0
	v_lshl_add_u32 v6, v6, 10, 0x2000
	v_and_b32_e32 v1, 0x8000, v1
	s_delay_alu instid0(VALU_DEP_2) | instskip(NEXT) | instid1(VALU_DEP_1)
	v_and_b32_e32 v6, 0xfc00, v6
	v_or3_b32 v0, v1, v6, v0
	scratch_store_b32 off, v0, s32 offset:248 ; 4-byte Folded Spill
.LBB285_248:                            ;   in Loop: Header=BB285_15 Depth=1
	s_wait_xcnt 0x0
	s_or_b32 exec_lo, exec_lo, s18
.LBB285_249:                            ;   in Loop: Header=BB285_15 Depth=1
	s_delay_alu instid0(SALU_CYCLE_1)
	s_or_b32 exec_lo, exec_lo, s17
.LBB285_250:                            ;   in Loop: Header=BB285_15 Depth=1
	s_delay_alu instid0(SALU_CYCLE_1)
	s_or_b32 exec_lo, exec_lo, s16
	v_mov_b32_e32 v0, 0
	v_lshrrev_b16 v24, 8, v24
	s_mov_b32 s16, exec_lo
	scratch_store_b32 off, v0, s32 offset:256 ; 4-byte Folded Spill
	s_wait_xcnt 0x0
	v_mov_b32_e32 v0, 0
	scratch_store_b32 off, v0, s32 offset:260 ; 4-byte Folded Spill
	s_wait_xcnt 0x0
	v_cmpx_ne_u16_e32 0, v24
	s_cbranch_execz .LBB285_258
; %bb.251:                              ;   in Loop: Header=BB285_15 Depth=1
	v_bfrev_b32_e32 v0, 1
	s_mov_b32 s17, exec_lo
	scratch_store_b32 off, v0, s32 offset:260 ; 4-byte Folded Spill
	s_wait_xcnt 0x0
	v_cmpx_ne_u16_e32 0x80, v24
	s_cbranch_execz .LBB285_257
; %bb.252:                              ;   in Loop: Header=BB285_15 Depth=1
	v_and_b32_e32 v0, 0xffff, v24
	v_mov_b32_e32 v1, 0x7c010000
	s_mov_b32 s18, exec_lo
	s_delay_alu instid0(VALU_DEP_2)
	v_and_b32_e32 v9, 0x7f, v0
	scratch_store_b32 off, v1, s32 offset:260 ; 4-byte Folded Spill
	s_wait_xcnt 0x0
	v_cmpx_ne_u32_e32 0x7f, v9
	s_cbranch_execz .LBB285_256
; %bb.253:                              ;   in Loop: Header=BB285_15 Depth=1
	v_dual_lshrrev_b32 v8, 3, v9 :: v_dual_bitop2_b32 v6, 7, v0 bitop3:0x40
	s_mov_b32 s19, exec_lo
	v_cmpx_gt_u32_e32 8, v9
; %bb.254:                              ;   in Loop: Header=BB285_15 Depth=1
	s_delay_alu instid0(VALU_DEP_2) | instskip(NEXT) | instid1(VALU_DEP_1)
	v_clz_i32_u32_e32 v1, v6
	v_min_u32_e32 v1, 32, v1
	s_delay_alu instid0(VALU_DEP_1) | instskip(NEXT) | instid1(VALU_DEP_1)
	v_subrev_nc_u32_e32 v6, 28, v1
	v_lshlrev_b64_e32 v[16:17], v6, v[24:25]
	s_delay_alu instid0(VALU_DEP_1)
	v_dual_sub_nc_u32 v8, 29, v1 :: v_dual_bitop2_b32 v6, 7, v16 bitop3:0x40
; %bb.255:                              ;   in Loop: Header=BB285_15 Depth=1
	s_or_b32 exec_lo, exec_lo, s19
	v_lshlrev_b32_e32 v0, 8, v0
	s_delay_alu instid0(VALU_DEP_2) | instskip(NEXT) | instid1(VALU_DEP_1)
	v_lshl_add_u32 v1, v8, 10, 0x2000
	v_and_or_b32 v0, 0x8000, v0, v1
	v_lshlrev_b32_e32 v1, 23, v6
	s_delay_alu instid0(VALU_DEP_1)
	v_lshl_or_b32 v0, v0, 16, v1
	scratch_store_b32 off, v0, s32 offset:260 ; 4-byte Folded Spill
.LBB285_256:                            ;   in Loop: Header=BB285_15 Depth=1
	s_wait_xcnt 0x0
	s_or_b32 exec_lo, exec_lo, s18
.LBB285_257:                            ;   in Loop: Header=BB285_15 Depth=1
	s_delay_alu instid0(SALU_CYCLE_1)
	s_or_b32 exec_lo, exec_lo, s17
.LBB285_258:                            ;   in Loop: Header=BB285_15 Depth=1
	s_delay_alu instid0(SALU_CYCLE_1) | instskip(SKIP_2) | instid1(VALU_DEP_1)
	s_or_b32 exec_lo, exec_lo, s16
	v_lshrrev_b32_e32 v0, 16, v5
	s_mov_b32 s16, exec_lo
	v_and_b32_e32 v6, 0xff, v0
	s_delay_alu instid0(VALU_DEP_1)
	v_cmpx_ne_u16_e32 0, v6
	s_cbranch_execz .LBB285_266
; %bb.259:                              ;   in Loop: Header=BB285_15 Depth=1
	v_mov_b32_e32 v1, 0x8000
	s_mov_b32 s17, exec_lo
	scratch_store_b32 off, v1, s32 offset:256 ; 4-byte Folded Spill
	s_wait_xcnt 0x0
	v_cmpx_ne_u16_e32 0x80, v6
	s_cbranch_execz .LBB285_265
; %bb.260:                              ;   in Loop: Header=BB285_15 Depth=1
	v_bfe_u32 v9, v5, 16, 7
	v_mov_b32_e32 v1, 0x7c01
	s_mov_b32 s18, exec_lo
	scratch_store_b32 off, v1, s32 offset:256 ; 4-byte Folded Spill
	s_wait_xcnt 0x0
	v_cmpx_ne_u32_e32 0x7f, v9
	s_cbranch_execz .LBB285_264
; %bb.261:                              ;   in Loop: Header=BB285_15 Depth=1
	v_dual_lshrrev_b32 v8, 3, v9 :: v_dual_bitop2_b32 v6, 7, v0 bitop3:0x40
	s_mov_b32 s19, exec_lo
	v_cmpx_gt_u32_e32 8, v9
; %bb.262:                              ;   in Loop: Header=BB285_15 Depth=1
	s_delay_alu instid0(VALU_DEP_2) | instskip(NEXT) | instid1(VALU_DEP_1)
	v_clz_i32_u32_e32 v1, v6
	v_min_u32_e32 v1, 32, v1
	s_delay_alu instid0(VALU_DEP_1) | instskip(NEXT) | instid1(VALU_DEP_1)
	v_subrev_nc_u32_e32 v6, 28, v1
	v_lshlrev_b64_e32 v[16:17], v6, v[0:1]
	s_delay_alu instid0(VALU_DEP_1)
	v_dual_sub_nc_u32 v8, 29, v1 :: v_dual_bitop2_b32 v6, 7, v16 bitop3:0x40
; %bb.263:                              ;   in Loop: Header=BB285_15 Depth=1
	s_or_b32 exec_lo, exec_lo, s19
	s_delay_alu instid0(VALU_DEP_1) | instskip(NEXT) | instid1(VALU_DEP_2)
	v_dual_lshlrev_b32 v0, 8, v0 :: v_dual_lshlrev_b32 v6, 7, v6
	v_lshl_add_u32 v1, v8, 10, 0x2000
	s_delay_alu instid0(VALU_DEP_2) | instskip(NEXT) | instid1(VALU_DEP_2)
	v_and_b32_e32 v0, 0x8000, v0
	v_and_b32_e32 v1, 0xfc00, v1
	s_delay_alu instid0(VALU_DEP_1)
	v_or3_b32 v0, v0, v1, v6
	scratch_store_b32 off, v0, s32 offset:256 ; 4-byte Folded Spill
.LBB285_264:                            ;   in Loop: Header=BB285_15 Depth=1
	s_wait_xcnt 0x0
	s_or_b32 exec_lo, exec_lo, s18
.LBB285_265:                            ;   in Loop: Header=BB285_15 Depth=1
	s_delay_alu instid0(SALU_CYCLE_1)
	s_or_b32 exec_lo, exec_lo, s17
.LBB285_266:                            ;   in Loop: Header=BB285_15 Depth=1
	s_delay_alu instid0(SALU_CYCLE_1)
	s_or_b32 exec_lo, exec_lo, s16
	v_mov_b32_e32 v0, 0
	s_mov_b32 s16, exec_lo
	scratch_store_b32 off, v0, s32 offset:264 ; 4-byte Folded Spill
	s_wait_xcnt 0x0
	v_mov_b32_e32 v0, 0
	scratch_store_b32 off, v0, s32 offset:268 ; 4-byte Folded Spill
	s_wait_xcnt 0x0
	v_cmpx_lt_u64_e64 s[8:9], v[4:5]
	s_cbranch_execz .LBB285_274
; %bb.267:                              ;   in Loop: Header=BB285_15 Depth=1
	v_lshrrev_b32_e32 v24, 24, v5
	v_bfrev_b32_e32 v0, 1
	s_mov_b32 s17, exec_lo
	scratch_store_b32 off, v0, s32 offset:268 ; 4-byte Folded Spill
	s_wait_xcnt 0x0
	v_cmpx_ne_u32_e32 0x80, v24
	s_cbranch_execz .LBB285_273
; %bb.268:                              ;   in Loop: Header=BB285_15 Depth=1
	v_and_b32_e32 v5, 0x7f, v24
	v_mov_b32_e32 v0, 0x7c010000
	s_mov_b32 s18, exec_lo
	scratch_store_b32 off, v0, s32 offset:268 ; 4-byte Folded Spill
	s_wait_xcnt 0x0
	v_cmpx_ne_u32_e32 0x7f, v5
	s_cbranch_execz .LBB285_272
; %bb.269:                              ;   in Loop: Header=BB285_15 Depth=1
	v_dual_lshrrev_b32 v4, 3, v5 :: v_dual_bitop2_b32 v0, 7, v24 bitop3:0x40
	s_mov_b32 s19, exec_lo
	v_cmpx_gt_u32_e32 8, v5
; %bb.270:                              ;   in Loop: Header=BB285_15 Depth=1
	s_delay_alu instid0(VALU_DEP_2) | instskip(NEXT) | instid1(VALU_DEP_1)
	v_clz_i32_u32_e32 v0, v0
	v_min_u32_e32 v0, 32, v0
	s_delay_alu instid0(VALU_DEP_1) | instskip(SKIP_1) | instid1(VALU_DEP_2)
	v_subrev_nc_u32_e32 v1, 28, v0
	v_sub_nc_u32_e32 v4, 29, v0
	v_lshlrev_b64_e32 v[8:9], v1, v[24:25]
	s_delay_alu instid0(VALU_DEP_1)
	v_and_b32_e32 v0, 7, v8
; %bb.271:                              ;   in Loop: Header=BB285_15 Depth=1
	s_or_b32 exec_lo, exec_lo, s19
	v_lshlrev_b32_e32 v1, 8, v24
	v_lshl_add_u32 v4, v4, 10, 0x2000
	s_delay_alu instid0(VALU_DEP_3) | instskip(NEXT) | instid1(VALU_DEP_2)
	v_lshlrev_b32_e32 v0, 23, v0
	v_and_or_b32 v1, 0x8000, v1, v4
	s_delay_alu instid0(VALU_DEP_1)
	v_lshl_or_b32 v0, v1, 16, v0
	scratch_store_b32 off, v0, s32 offset:268 ; 4-byte Folded Spill
.LBB285_272:                            ;   in Loop: Header=BB285_15 Depth=1
	s_wait_xcnt 0x0
	s_or_b32 exec_lo, exec_lo, s18
.LBB285_273:                            ;   in Loop: Header=BB285_15 Depth=1
	s_delay_alu instid0(SALU_CYCLE_1)
	s_or_b32 exec_lo, exec_lo, s17
.LBB285_274:                            ;   in Loop: Header=BB285_15 Depth=1
	s_delay_alu instid0(SALU_CYCLE_1)
	s_or_b32 exec_lo, exec_lo, s16
	flat_load_b64 v[4:5], v[2:3] offset:1024
	s_mov_b32 s16, exec_lo
	s_wait_loadcnt_dscnt 0x0
	v_and_b32_e32 v0, 0xff, v4
	s_wait_xcnt 0x0
	s_delay_alu instid0(VALU_DEP_1)
	v_cmpx_ne_u16_e32 0, v0
	s_cbranch_execz .LBB285_282
; %bb.275:                              ;   in Loop: Header=BB285_15 Depth=1
	v_cmp_ne_u16_e64 s1, 0x80, v0
	v_mov_b32_e32 v0, 0x8000
	scratch_store_b32 off, v0, s32 offset:264 ; 4-byte Folded Spill
	s_wait_xcnt 0x0
	s_and_saveexec_b32 s17, s1
	s_cbranch_execz .LBB285_281
; %bb.276:                              ;   in Loop: Header=BB285_15 Depth=1
	v_and_b32_e32 v8, 0x7f, v4
	v_mov_b32_e32 v0, 0x7c01
	s_mov_b32 s18, exec_lo
	scratch_store_b32 off, v0, s32 offset:264 ; 4-byte Folded Spill
	s_wait_xcnt 0x0
	v_cmpx_ne_u32_e32 0x7f, v8
	s_cbranch_execz .LBB285_280
; %bb.277:                              ;   in Loop: Header=BB285_15 Depth=1
	v_and_b32_e32 v0, 7, v4
	v_lshrrev_b32_e32 v6, 3, v8
	s_mov_b32 s19, exec_lo
	v_cmpx_gt_u32_e32 8, v8
; %bb.278:                              ;   in Loop: Header=BB285_15 Depth=1
	s_delay_alu instid0(VALU_DEP_3) | instskip(NEXT) | instid1(VALU_DEP_1)
	v_clz_i32_u32_e32 v0, v0
	v_min_u32_e32 v0, 32, v0
	s_delay_alu instid0(VALU_DEP_1) | instskip(SKIP_1) | instid1(VALU_DEP_2)
	v_subrev_nc_u32_e32 v1, 28, v0
	v_sub_nc_u32_e32 v6, 29, v0
	v_lshlrev_b64_e32 v[8:9], v1, v[4:5]
	s_delay_alu instid0(VALU_DEP_1)
	v_and_b32_e32 v0, 7, v8
; %bb.279:                              ;   in Loop: Header=BB285_15 Depth=1
	s_or_b32 exec_lo, exec_lo, s19
	v_lshlrev_b32_e32 v1, 8, v4
	v_lshl_add_u32 v6, v6, 10, 0x2000
	s_delay_alu instid0(VALU_DEP_3) | instskip(NEXT) | instid1(VALU_DEP_3)
	v_lshlrev_b32_e32 v0, 7, v0
	v_and_b32_e32 v1, 0x8000, v1
	s_delay_alu instid0(VALU_DEP_3) | instskip(NEXT) | instid1(VALU_DEP_1)
	v_and_b32_e32 v6, 0xfc00, v6
	v_or3_b32 v0, v1, v6, v0
	scratch_store_b32 off, v0, s32 offset:264 ; 4-byte Folded Spill
.LBB285_280:                            ;   in Loop: Header=BB285_15 Depth=1
	s_wait_xcnt 0x0
	s_or_b32 exec_lo, exec_lo, s18
.LBB285_281:                            ;   in Loop: Header=BB285_15 Depth=1
	s_delay_alu instid0(SALU_CYCLE_1)
	s_or_b32 exec_lo, exec_lo, s17
.LBB285_282:                            ;   in Loop: Header=BB285_15 Depth=1
	s_delay_alu instid0(SALU_CYCLE_1)
	s_or_b32 exec_lo, exec_lo, s16
	v_mov_b32_e32 v0, 0
	v_lshrrev_b16 v24, 8, v4
	s_mov_b32 s16, exec_lo
	scratch_store_b32 off, v0, s32 offset:272 ; 4-byte Folded Spill
	s_wait_xcnt 0x0
	v_mov_b32_e32 v0, 0
	scratch_store_b32 off, v0, s32 offset:276 ; 4-byte Folded Spill
	s_wait_xcnt 0x0
	v_cmpx_ne_u16_e32 0, v24
	s_cbranch_execz .LBB285_290
; %bb.283:                              ;   in Loop: Header=BB285_15 Depth=1
	v_bfrev_b32_e32 v0, 1
	s_mov_b32 s17, exec_lo
	scratch_store_b32 off, v0, s32 offset:276 ; 4-byte Folded Spill
	s_wait_xcnt 0x0
	v_cmpx_ne_u16_e32 0x80, v24
	s_cbranch_execz .LBB285_289
; %bb.284:                              ;   in Loop: Header=BB285_15 Depth=1
	v_and_b32_e32 v0, 0xffff, v24
	v_mov_b32_e32 v1, 0x7c010000
	s_mov_b32 s18, exec_lo
	s_delay_alu instid0(VALU_DEP_2)
	v_and_b32_e32 v9, 0x7f, v0
	scratch_store_b32 off, v1, s32 offset:276 ; 4-byte Folded Spill
	s_wait_xcnt 0x0
	v_cmpx_ne_u32_e32 0x7f, v9
	s_cbranch_execz .LBB285_288
; %bb.285:                              ;   in Loop: Header=BB285_15 Depth=1
	v_dual_lshrrev_b32 v8, 3, v9 :: v_dual_bitop2_b32 v6, 7, v0 bitop3:0x40
	s_mov_b32 s19, exec_lo
	v_cmpx_gt_u32_e32 8, v9
; %bb.286:                              ;   in Loop: Header=BB285_15 Depth=1
	s_delay_alu instid0(VALU_DEP_2) | instskip(NEXT) | instid1(VALU_DEP_1)
	v_clz_i32_u32_e32 v1, v6
	v_min_u32_e32 v1, 32, v1
	s_delay_alu instid0(VALU_DEP_1) | instskip(NEXT) | instid1(VALU_DEP_1)
	v_subrev_nc_u32_e32 v6, 28, v1
	v_lshlrev_b64_e32 v[16:17], v6, v[24:25]
	s_delay_alu instid0(VALU_DEP_1)
	v_dual_sub_nc_u32 v8, 29, v1 :: v_dual_bitop2_b32 v6, 7, v16 bitop3:0x40
; %bb.287:                              ;   in Loop: Header=BB285_15 Depth=1
	s_or_b32 exec_lo, exec_lo, s19
	v_lshlrev_b32_e32 v0, 8, v0
	s_delay_alu instid0(VALU_DEP_2) | instskip(NEXT) | instid1(VALU_DEP_1)
	v_lshl_add_u32 v1, v8, 10, 0x2000
	v_and_or_b32 v0, 0x8000, v0, v1
	v_lshlrev_b32_e32 v1, 23, v6
	s_delay_alu instid0(VALU_DEP_1)
	v_lshl_or_b32 v0, v0, 16, v1
	scratch_store_b32 off, v0, s32 offset:276 ; 4-byte Folded Spill
.LBB285_288:                            ;   in Loop: Header=BB285_15 Depth=1
	s_wait_xcnt 0x0
	s_or_b32 exec_lo, exec_lo, s18
.LBB285_289:                            ;   in Loop: Header=BB285_15 Depth=1
	s_delay_alu instid0(SALU_CYCLE_1)
	s_or_b32 exec_lo, exec_lo, s17
.LBB285_290:                            ;   in Loop: Header=BB285_15 Depth=1
	s_delay_alu instid0(SALU_CYCLE_1) | instskip(SKIP_2) | instid1(VALU_DEP_1)
	s_or_b32 exec_lo, exec_lo, s16
	v_lshrrev_b32_e32 v0, 16, v4
	s_mov_b32 s16, exec_lo
	v_and_b32_e32 v6, 0xff, v0
	s_delay_alu instid0(VALU_DEP_1)
	v_cmpx_ne_u16_e32 0, v6
	s_cbranch_execz .LBB285_298
; %bb.291:                              ;   in Loop: Header=BB285_15 Depth=1
	v_mov_b32_e32 v1, 0x8000
	s_mov_b32 s17, exec_lo
	scratch_store_b32 off, v1, s32 offset:272 ; 4-byte Folded Spill
	s_wait_xcnt 0x0
	v_cmpx_ne_u16_e32 0x80, v6
	s_cbranch_execz .LBB285_297
; %bb.292:                              ;   in Loop: Header=BB285_15 Depth=1
	v_bfe_u32 v9, v4, 16, 7
	v_mov_b32_e32 v1, 0x7c01
	s_mov_b32 s18, exec_lo
	scratch_store_b32 off, v1, s32 offset:272 ; 4-byte Folded Spill
	s_wait_xcnt 0x0
	v_cmpx_ne_u32_e32 0x7f, v9
	s_cbranch_execz .LBB285_296
; %bb.293:                              ;   in Loop: Header=BB285_15 Depth=1
	v_dual_lshrrev_b32 v8, 3, v9 :: v_dual_bitop2_b32 v6, 7, v0 bitop3:0x40
	s_mov_b32 s19, exec_lo
	v_cmpx_gt_u32_e32 8, v9
; %bb.294:                              ;   in Loop: Header=BB285_15 Depth=1
	s_delay_alu instid0(VALU_DEP_2) | instskip(NEXT) | instid1(VALU_DEP_1)
	v_clz_i32_u32_e32 v1, v6
	v_min_u32_e32 v1, 32, v1
	s_delay_alu instid0(VALU_DEP_1) | instskip(NEXT) | instid1(VALU_DEP_1)
	v_subrev_nc_u32_e32 v6, 28, v1
	v_lshlrev_b64_e32 v[16:17], v6, v[0:1]
	s_delay_alu instid0(VALU_DEP_1)
	v_dual_sub_nc_u32 v8, 29, v1 :: v_dual_bitop2_b32 v6, 7, v16 bitop3:0x40
; %bb.295:                              ;   in Loop: Header=BB285_15 Depth=1
	s_or_b32 exec_lo, exec_lo, s19
	s_delay_alu instid0(VALU_DEP_1) | instskip(NEXT) | instid1(VALU_DEP_2)
	v_dual_lshlrev_b32 v0, 8, v0 :: v_dual_lshlrev_b32 v6, 7, v6
	v_lshl_add_u32 v1, v8, 10, 0x2000
	s_delay_alu instid0(VALU_DEP_2) | instskip(NEXT) | instid1(VALU_DEP_2)
	v_and_b32_e32 v0, 0x8000, v0
	v_and_b32_e32 v1, 0xfc00, v1
	s_delay_alu instid0(VALU_DEP_1)
	v_or3_b32 v0, v0, v1, v6
	scratch_store_b32 off, v0, s32 offset:272 ; 4-byte Folded Spill
.LBB285_296:                            ;   in Loop: Header=BB285_15 Depth=1
	s_wait_xcnt 0x0
	s_or_b32 exec_lo, exec_lo, s18
.LBB285_297:                            ;   in Loop: Header=BB285_15 Depth=1
	s_delay_alu instid0(SALU_CYCLE_1)
	s_or_b32 exec_lo, exec_lo, s17
.LBB285_298:                            ;   in Loop: Header=BB285_15 Depth=1
	s_delay_alu instid0(SALU_CYCLE_1)
	s_or_b32 exec_lo, exec_lo, s16
	v_mov_b32_e32 v0, 0
	s_mov_b32 s16, exec_lo
	scratch_store_b32 off, v0, s32 offset:280 ; 4-byte Folded Spill
	s_wait_xcnt 0x0
	v_mov_b32_e32 v0, 0
	scratch_store_b32 off, v0, s32 offset:284 ; 4-byte Folded Spill
	s_wait_xcnt 0x0
	v_cmpx_lt_u32_e32 0xffffff, v4
	s_cbranch_execz .LBB285_306
; %bb.299:                              ;   in Loop: Header=BB285_15 Depth=1
	v_lshrrev_b32_e32 v24, 24, v4
	v_bfrev_b32_e32 v0, 1
	s_mov_b32 s17, exec_lo
	scratch_store_b32 off, v0, s32 offset:284 ; 4-byte Folded Spill
	s_wait_xcnt 0x0
	v_cmpx_ne_u32_e32 0x80, v24
	s_cbranch_execz .LBB285_305
; %bb.300:                              ;   in Loop: Header=BB285_15 Depth=1
	v_and_b32_e32 v8, 0x7f, v24
	v_mov_b32_e32 v0, 0x7c010000
	s_mov_b32 s18, exec_lo
	scratch_store_b32 off, v0, s32 offset:284 ; 4-byte Folded Spill
	s_wait_xcnt 0x0
	v_cmpx_ne_u32_e32 0x7f, v8
	s_cbranch_execz .LBB285_304
; %bb.301:                              ;   in Loop: Header=BB285_15 Depth=1
	v_and_b32_e32 v0, 7, v24
	v_lshrrev_b32_e32 v6, 3, v8
	s_mov_b32 s19, exec_lo
	v_cmpx_gt_u32_e32 8, v8
; %bb.302:                              ;   in Loop: Header=BB285_15 Depth=1
	s_delay_alu instid0(VALU_DEP_3) | instskip(NEXT) | instid1(VALU_DEP_1)
	v_clz_i32_u32_e32 v0, v0
	v_min_u32_e32 v0, 32, v0
	s_delay_alu instid0(VALU_DEP_1) | instskip(SKIP_1) | instid1(VALU_DEP_2)
	v_subrev_nc_u32_e32 v1, 28, v0
	v_sub_nc_u32_e32 v6, 29, v0
	v_lshlrev_b64_e32 v[8:9], v1, v[24:25]
	s_delay_alu instid0(VALU_DEP_1)
	v_and_b32_e32 v0, 7, v8
; %bb.303:                              ;   in Loop: Header=BB285_15 Depth=1
	s_or_b32 exec_lo, exec_lo, s19
	v_lshlrev_b32_e32 v1, 8, v24
	v_lshl_add_u32 v6, v6, 10, 0x2000
	s_delay_alu instid0(VALU_DEP_3) | instskip(NEXT) | instid1(VALU_DEP_2)
	v_lshlrev_b32_e32 v0, 23, v0
	v_and_or_b32 v1, 0x8000, v1, v6
	s_delay_alu instid0(VALU_DEP_1)
	v_lshl_or_b32 v0, v1, 16, v0
	scratch_store_b32 off, v0, s32 offset:284 ; 4-byte Folded Spill
.LBB285_304:                            ;   in Loop: Header=BB285_15 Depth=1
	s_wait_xcnt 0x0
	s_or_b32 exec_lo, exec_lo, s18
.LBB285_305:                            ;   in Loop: Header=BB285_15 Depth=1
	s_delay_alu instid0(SALU_CYCLE_1)
	s_or_b32 exec_lo, exec_lo, s17
.LBB285_306:                            ;   in Loop: Header=BB285_15 Depth=1
	s_delay_alu instid0(SALU_CYCLE_1) | instskip(SKIP_3) | instid1(VALU_DEP_2)
	s_or_b32 exec_lo, exec_lo, s16
	v_and_b32_e32 v0, 0xff, v5
	v_mov_b32_e32 v24, v5
	s_mov_b32 s16, exec_lo
	v_cmpx_ne_u16_e32 0, v0
	s_cbranch_execz .LBB285_314
; %bb.307:                              ;   in Loop: Header=BB285_15 Depth=1
	v_cmp_ne_u16_e64 s1, 0x80, v0
	v_mov_b32_e32 v0, 0x8000
	scratch_store_b32 off, v0, s32 offset:280 ; 4-byte Folded Spill
	s_wait_xcnt 0x0
	s_and_saveexec_b32 s17, s1
	s_cbranch_execz .LBB285_313
; %bb.308:                              ;   in Loop: Header=BB285_15 Depth=1
	v_and_b32_e32 v8, 0x7f, v5
	v_mov_b32_e32 v0, 0x7c01
	s_mov_b32 s18, exec_lo
	scratch_store_b32 off, v0, s32 offset:280 ; 4-byte Folded Spill
	s_wait_xcnt 0x0
	v_cmpx_ne_u32_e32 0x7f, v8
	s_cbranch_execz .LBB285_312
; %bb.309:                              ;   in Loop: Header=BB285_15 Depth=1
	v_dual_lshrrev_b32 v6, 3, v8 :: v_dual_bitop2_b32 v0, 7, v5 bitop3:0x40
	s_mov_b32 s19, exec_lo
	v_cmpx_gt_u32_e32 8, v8
; %bb.310:                              ;   in Loop: Header=BB285_15 Depth=1
	s_delay_alu instid0(VALU_DEP_2) | instskip(NEXT) | instid1(VALU_DEP_1)
	v_clz_i32_u32_e32 v0, v0
	v_min_u32_e32 v0, 32, v0
	s_delay_alu instid0(VALU_DEP_1) | instskip(SKIP_1) | instid1(VALU_DEP_2)
	v_subrev_nc_u32_e32 v1, 28, v0
	v_sub_nc_u32_e32 v6, 29, v0
	v_lshlrev_b64_e32 v[8:9], v1, v[24:25]
	s_delay_alu instid0(VALU_DEP_1)
	v_and_b32_e32 v0, 7, v8
; %bb.311:                              ;   in Loop: Header=BB285_15 Depth=1
	s_or_b32 exec_lo, exec_lo, s19
	s_delay_alu instid0(VALU_DEP_1) | instskip(SKIP_1) | instid1(VALU_DEP_2)
	v_dual_lshlrev_b32 v1, 8, v5 :: v_dual_lshlrev_b32 v0, 7, v0
	v_lshl_add_u32 v6, v6, 10, 0x2000
	v_and_b32_e32 v1, 0x8000, v1
	s_delay_alu instid0(VALU_DEP_2) | instskip(NEXT) | instid1(VALU_DEP_1)
	v_and_b32_e32 v6, 0xfc00, v6
	v_or3_b32 v0, v1, v6, v0
	scratch_store_b32 off, v0, s32 offset:280 ; 4-byte Folded Spill
.LBB285_312:                            ;   in Loop: Header=BB285_15 Depth=1
	s_wait_xcnt 0x0
	s_or_b32 exec_lo, exec_lo, s18
.LBB285_313:                            ;   in Loop: Header=BB285_15 Depth=1
	s_delay_alu instid0(SALU_CYCLE_1)
	s_or_b32 exec_lo, exec_lo, s17
.LBB285_314:                            ;   in Loop: Header=BB285_15 Depth=1
	s_delay_alu instid0(SALU_CYCLE_1)
	s_or_b32 exec_lo, exec_lo, s16
	v_mov_b32_e32 v0, 0
	v_lshrrev_b16 v24, 8, v24
	s_mov_b32 s16, exec_lo
	scratch_store_b32 off, v0, s32 offset:288 ; 4-byte Folded Spill
	s_wait_xcnt 0x0
	v_mov_b32_e32 v0, 0
	scratch_store_b32 off, v0, s32 offset:292 ; 4-byte Folded Spill
	s_wait_xcnt 0x0
	v_cmpx_ne_u16_e32 0, v24
	s_cbranch_execz .LBB285_322
; %bb.315:                              ;   in Loop: Header=BB285_15 Depth=1
	v_bfrev_b32_e32 v0, 1
	s_mov_b32 s17, exec_lo
	scratch_store_b32 off, v0, s32 offset:292 ; 4-byte Folded Spill
	s_wait_xcnt 0x0
	v_cmpx_ne_u16_e32 0x80, v24
	s_cbranch_execz .LBB285_321
; %bb.316:                              ;   in Loop: Header=BB285_15 Depth=1
	v_and_b32_e32 v0, 0xffff, v24
	v_mov_b32_e32 v1, 0x7c010000
	s_mov_b32 s18, exec_lo
	s_delay_alu instid0(VALU_DEP_2)
	v_and_b32_e32 v9, 0x7f, v0
	scratch_store_b32 off, v1, s32 offset:292 ; 4-byte Folded Spill
	s_wait_xcnt 0x0
	v_cmpx_ne_u32_e32 0x7f, v9
	s_cbranch_execz .LBB285_320
; %bb.317:                              ;   in Loop: Header=BB285_15 Depth=1
	v_dual_lshrrev_b32 v8, 3, v9 :: v_dual_bitop2_b32 v6, 7, v0 bitop3:0x40
	s_mov_b32 s19, exec_lo
	v_cmpx_gt_u32_e32 8, v9
; %bb.318:                              ;   in Loop: Header=BB285_15 Depth=1
	s_delay_alu instid0(VALU_DEP_2) | instskip(NEXT) | instid1(VALU_DEP_1)
	v_clz_i32_u32_e32 v1, v6
	v_min_u32_e32 v1, 32, v1
	s_delay_alu instid0(VALU_DEP_1) | instskip(NEXT) | instid1(VALU_DEP_1)
	v_subrev_nc_u32_e32 v6, 28, v1
	v_lshlrev_b64_e32 v[16:17], v6, v[24:25]
	s_delay_alu instid0(VALU_DEP_1)
	v_dual_sub_nc_u32 v8, 29, v1 :: v_dual_bitop2_b32 v6, 7, v16 bitop3:0x40
; %bb.319:                              ;   in Loop: Header=BB285_15 Depth=1
	s_or_b32 exec_lo, exec_lo, s19
	v_lshlrev_b32_e32 v0, 8, v0
	s_delay_alu instid0(VALU_DEP_2) | instskip(NEXT) | instid1(VALU_DEP_1)
	v_lshl_add_u32 v1, v8, 10, 0x2000
	v_and_or_b32 v0, 0x8000, v0, v1
	v_lshlrev_b32_e32 v1, 23, v6
	s_delay_alu instid0(VALU_DEP_1)
	v_lshl_or_b32 v0, v0, 16, v1
	scratch_store_b32 off, v0, s32 offset:292 ; 4-byte Folded Spill
.LBB285_320:                            ;   in Loop: Header=BB285_15 Depth=1
	s_wait_xcnt 0x0
	s_or_b32 exec_lo, exec_lo, s18
.LBB285_321:                            ;   in Loop: Header=BB285_15 Depth=1
	s_delay_alu instid0(SALU_CYCLE_1)
	s_or_b32 exec_lo, exec_lo, s17
.LBB285_322:                            ;   in Loop: Header=BB285_15 Depth=1
	s_delay_alu instid0(SALU_CYCLE_1) | instskip(SKIP_2) | instid1(VALU_DEP_1)
	s_or_b32 exec_lo, exec_lo, s16
	v_lshrrev_b32_e32 v0, 16, v5
	s_mov_b32 s16, exec_lo
	v_and_b32_e32 v6, 0xff, v0
	s_delay_alu instid0(VALU_DEP_1)
	v_cmpx_ne_u16_e32 0, v6
	s_cbranch_execz .LBB285_330
; %bb.323:                              ;   in Loop: Header=BB285_15 Depth=1
	v_mov_b32_e32 v1, 0x8000
	s_mov_b32 s17, exec_lo
	scratch_store_b32 off, v1, s32 offset:288 ; 4-byte Folded Spill
	s_wait_xcnt 0x0
	v_cmpx_ne_u16_e32 0x80, v6
	s_cbranch_execz .LBB285_329
; %bb.324:                              ;   in Loop: Header=BB285_15 Depth=1
	v_bfe_u32 v9, v5, 16, 7
	v_mov_b32_e32 v1, 0x7c01
	s_mov_b32 s18, exec_lo
	scratch_store_b32 off, v1, s32 offset:288 ; 4-byte Folded Spill
	s_wait_xcnt 0x0
	v_cmpx_ne_u32_e32 0x7f, v9
	s_cbranch_execz .LBB285_328
; %bb.325:                              ;   in Loop: Header=BB285_15 Depth=1
	v_dual_lshrrev_b32 v8, 3, v9 :: v_dual_bitop2_b32 v6, 7, v0 bitop3:0x40
	s_mov_b32 s19, exec_lo
	v_cmpx_gt_u32_e32 8, v9
; %bb.326:                              ;   in Loop: Header=BB285_15 Depth=1
	s_delay_alu instid0(VALU_DEP_2) | instskip(NEXT) | instid1(VALU_DEP_1)
	v_clz_i32_u32_e32 v1, v6
	v_min_u32_e32 v1, 32, v1
	s_delay_alu instid0(VALU_DEP_1) | instskip(NEXT) | instid1(VALU_DEP_1)
	v_subrev_nc_u32_e32 v6, 28, v1
	v_lshlrev_b64_e32 v[16:17], v6, v[0:1]
	s_delay_alu instid0(VALU_DEP_1)
	v_dual_sub_nc_u32 v8, 29, v1 :: v_dual_bitop2_b32 v6, 7, v16 bitop3:0x40
; %bb.327:                              ;   in Loop: Header=BB285_15 Depth=1
	s_or_b32 exec_lo, exec_lo, s19
	s_delay_alu instid0(VALU_DEP_1) | instskip(NEXT) | instid1(VALU_DEP_2)
	v_dual_lshlrev_b32 v0, 8, v0 :: v_dual_lshlrev_b32 v6, 7, v6
	v_lshl_add_u32 v1, v8, 10, 0x2000
	s_delay_alu instid0(VALU_DEP_2) | instskip(NEXT) | instid1(VALU_DEP_2)
	v_and_b32_e32 v0, 0x8000, v0
	v_and_b32_e32 v1, 0xfc00, v1
	s_delay_alu instid0(VALU_DEP_1)
	v_or3_b32 v0, v0, v1, v6
	scratch_store_b32 off, v0, s32 offset:288 ; 4-byte Folded Spill
.LBB285_328:                            ;   in Loop: Header=BB285_15 Depth=1
	s_wait_xcnt 0x0
	s_or_b32 exec_lo, exec_lo, s18
.LBB285_329:                            ;   in Loop: Header=BB285_15 Depth=1
	s_delay_alu instid0(SALU_CYCLE_1)
	s_or_b32 exec_lo, exec_lo, s17
.LBB285_330:                            ;   in Loop: Header=BB285_15 Depth=1
	s_delay_alu instid0(SALU_CYCLE_1)
	s_or_b32 exec_lo, exec_lo, s16
	v_mov_b32_e32 v0, 0
	s_mov_b32 s16, exec_lo
	scratch_store_b32 off, v0, s32 offset:296 ; 4-byte Folded Spill
	s_wait_xcnt 0x0
	v_mov_b32_e32 v0, 0
	scratch_store_b32 off, v0, s32 offset:300 ; 4-byte Folded Spill
	s_wait_xcnt 0x0
	v_cmpx_lt_u64_e64 s[8:9], v[4:5]
	s_cbranch_execz .LBB285_338
; %bb.331:                              ;   in Loop: Header=BB285_15 Depth=1
	v_lshrrev_b32_e32 v24, 24, v5
	v_bfrev_b32_e32 v0, 1
	s_mov_b32 s17, exec_lo
	scratch_store_b32 off, v0, s32 offset:300 ; 4-byte Folded Spill
	s_wait_xcnt 0x0
	v_cmpx_ne_u32_e32 0x80, v24
	s_cbranch_execz .LBB285_337
; %bb.332:                              ;   in Loop: Header=BB285_15 Depth=1
	v_and_b32_e32 v5, 0x7f, v24
	v_mov_b32_e32 v0, 0x7c010000
	s_mov_b32 s18, exec_lo
	scratch_store_b32 off, v0, s32 offset:300 ; 4-byte Folded Spill
	s_wait_xcnt 0x0
	v_cmpx_ne_u32_e32 0x7f, v5
	s_cbranch_execz .LBB285_336
; %bb.333:                              ;   in Loop: Header=BB285_15 Depth=1
	v_dual_lshrrev_b32 v4, 3, v5 :: v_dual_bitop2_b32 v0, 7, v24 bitop3:0x40
	s_mov_b32 s19, exec_lo
	v_cmpx_gt_u32_e32 8, v5
; %bb.334:                              ;   in Loop: Header=BB285_15 Depth=1
	s_delay_alu instid0(VALU_DEP_2) | instskip(NEXT) | instid1(VALU_DEP_1)
	v_clz_i32_u32_e32 v0, v0
	v_min_u32_e32 v0, 32, v0
	s_delay_alu instid0(VALU_DEP_1) | instskip(SKIP_1) | instid1(VALU_DEP_2)
	v_subrev_nc_u32_e32 v1, 28, v0
	v_sub_nc_u32_e32 v4, 29, v0
	v_lshlrev_b64_e32 v[8:9], v1, v[24:25]
	s_delay_alu instid0(VALU_DEP_1)
	v_and_b32_e32 v0, 7, v8
; %bb.335:                              ;   in Loop: Header=BB285_15 Depth=1
	s_or_b32 exec_lo, exec_lo, s19
	v_lshlrev_b32_e32 v1, 8, v24
	v_lshl_add_u32 v4, v4, 10, 0x2000
	s_delay_alu instid0(VALU_DEP_3) | instskip(NEXT) | instid1(VALU_DEP_2)
	v_lshlrev_b32_e32 v0, 23, v0
	v_and_or_b32 v1, 0x8000, v1, v4
	s_delay_alu instid0(VALU_DEP_1)
	v_lshl_or_b32 v0, v1, 16, v0
	scratch_store_b32 off, v0, s32 offset:300 ; 4-byte Folded Spill
.LBB285_336:                            ;   in Loop: Header=BB285_15 Depth=1
	s_wait_xcnt 0x0
	s_or_b32 exec_lo, exec_lo, s18
.LBB285_337:                            ;   in Loop: Header=BB285_15 Depth=1
	s_delay_alu instid0(SALU_CYCLE_1)
	s_or_b32 exec_lo, exec_lo, s17
.LBB285_338:                            ;   in Loop: Header=BB285_15 Depth=1
	s_delay_alu instid0(SALU_CYCLE_1)
	s_or_b32 exec_lo, exec_lo, s16
	flat_load_b64 v[4:5], v[2:3] offset:1032
	s_mov_b32 s16, exec_lo
	s_wait_loadcnt_dscnt 0x0
	v_and_b32_e32 v0, 0xff, v4
	s_wait_xcnt 0x0
	s_delay_alu instid0(VALU_DEP_1)
	v_cmpx_ne_u16_e32 0, v0
	s_cbranch_execz .LBB285_346
; %bb.339:                              ;   in Loop: Header=BB285_15 Depth=1
	v_cmp_ne_u16_e64 s1, 0x80, v0
	v_mov_b32_e32 v0, 0x8000
	scratch_store_b32 off, v0, s32 offset:296 ; 4-byte Folded Spill
	s_wait_xcnt 0x0
	s_and_saveexec_b32 s17, s1
	s_cbranch_execz .LBB285_345
; %bb.340:                              ;   in Loop: Header=BB285_15 Depth=1
	v_and_b32_e32 v8, 0x7f, v4
	v_mov_b32_e32 v0, 0x7c01
	s_mov_b32 s18, exec_lo
	scratch_store_b32 off, v0, s32 offset:296 ; 4-byte Folded Spill
	s_wait_xcnt 0x0
	v_cmpx_ne_u32_e32 0x7f, v8
	s_cbranch_execz .LBB285_344
; %bb.341:                              ;   in Loop: Header=BB285_15 Depth=1
	v_and_b32_e32 v0, 7, v4
	v_lshrrev_b32_e32 v6, 3, v8
	s_mov_b32 s19, exec_lo
	v_cmpx_gt_u32_e32 8, v8
; %bb.342:                              ;   in Loop: Header=BB285_15 Depth=1
	s_delay_alu instid0(VALU_DEP_3) | instskip(NEXT) | instid1(VALU_DEP_1)
	v_clz_i32_u32_e32 v0, v0
	v_min_u32_e32 v0, 32, v0
	s_delay_alu instid0(VALU_DEP_1) | instskip(SKIP_1) | instid1(VALU_DEP_2)
	v_subrev_nc_u32_e32 v1, 28, v0
	v_sub_nc_u32_e32 v6, 29, v0
	v_lshlrev_b64_e32 v[8:9], v1, v[4:5]
	s_delay_alu instid0(VALU_DEP_1)
	v_and_b32_e32 v0, 7, v8
; %bb.343:                              ;   in Loop: Header=BB285_15 Depth=1
	s_or_b32 exec_lo, exec_lo, s19
	v_lshlrev_b32_e32 v1, 8, v4
	v_lshl_add_u32 v6, v6, 10, 0x2000
	s_delay_alu instid0(VALU_DEP_3) | instskip(NEXT) | instid1(VALU_DEP_3)
	v_lshlrev_b32_e32 v0, 7, v0
	v_and_b32_e32 v1, 0x8000, v1
	s_delay_alu instid0(VALU_DEP_3) | instskip(NEXT) | instid1(VALU_DEP_1)
	v_and_b32_e32 v6, 0xfc00, v6
	v_or3_b32 v0, v1, v6, v0
	scratch_store_b32 off, v0, s32 offset:296 ; 4-byte Folded Spill
.LBB285_344:                            ;   in Loop: Header=BB285_15 Depth=1
	s_wait_xcnt 0x0
	s_or_b32 exec_lo, exec_lo, s18
.LBB285_345:                            ;   in Loop: Header=BB285_15 Depth=1
	s_delay_alu instid0(SALU_CYCLE_1)
	s_or_b32 exec_lo, exec_lo, s17
.LBB285_346:                            ;   in Loop: Header=BB285_15 Depth=1
	s_delay_alu instid0(SALU_CYCLE_1)
	s_or_b32 exec_lo, exec_lo, s16
	v_mov_b32_e32 v0, 0
	v_lshrrev_b16 v24, 8, v4
	s_mov_b32 s16, exec_lo
	scratch_store_b32 off, v0, s32 offset:304 ; 4-byte Folded Spill
	s_wait_xcnt 0x0
	v_mov_b32_e32 v0, 0
	scratch_store_b32 off, v0, s32 offset:308 ; 4-byte Folded Spill
	s_wait_xcnt 0x0
	v_cmpx_ne_u16_e32 0, v24
	s_cbranch_execz .LBB285_354
; %bb.347:                              ;   in Loop: Header=BB285_15 Depth=1
	v_bfrev_b32_e32 v0, 1
	s_mov_b32 s17, exec_lo
	scratch_store_b32 off, v0, s32 offset:308 ; 4-byte Folded Spill
	s_wait_xcnt 0x0
	v_cmpx_ne_u16_e32 0x80, v24
	s_cbranch_execz .LBB285_353
; %bb.348:                              ;   in Loop: Header=BB285_15 Depth=1
	v_and_b32_e32 v0, 0xffff, v24
	v_mov_b32_e32 v1, 0x7c010000
	s_mov_b32 s18, exec_lo
	s_delay_alu instid0(VALU_DEP_2)
	v_and_b32_e32 v9, 0x7f, v0
	scratch_store_b32 off, v1, s32 offset:308 ; 4-byte Folded Spill
	s_wait_xcnt 0x0
	v_cmpx_ne_u32_e32 0x7f, v9
	s_cbranch_execz .LBB285_352
; %bb.349:                              ;   in Loop: Header=BB285_15 Depth=1
	v_dual_lshrrev_b32 v8, 3, v9 :: v_dual_bitop2_b32 v6, 7, v0 bitop3:0x40
	s_mov_b32 s19, exec_lo
	v_cmpx_gt_u32_e32 8, v9
; %bb.350:                              ;   in Loop: Header=BB285_15 Depth=1
	s_delay_alu instid0(VALU_DEP_2) | instskip(NEXT) | instid1(VALU_DEP_1)
	v_clz_i32_u32_e32 v1, v6
	v_min_u32_e32 v1, 32, v1
	s_delay_alu instid0(VALU_DEP_1) | instskip(NEXT) | instid1(VALU_DEP_1)
	v_subrev_nc_u32_e32 v6, 28, v1
	v_lshlrev_b64_e32 v[16:17], v6, v[24:25]
	s_delay_alu instid0(VALU_DEP_1)
	v_dual_sub_nc_u32 v8, 29, v1 :: v_dual_bitop2_b32 v6, 7, v16 bitop3:0x40
; %bb.351:                              ;   in Loop: Header=BB285_15 Depth=1
	s_or_b32 exec_lo, exec_lo, s19
	v_lshlrev_b32_e32 v0, 8, v0
	s_delay_alu instid0(VALU_DEP_2) | instskip(NEXT) | instid1(VALU_DEP_1)
	v_lshl_add_u32 v1, v8, 10, 0x2000
	v_and_or_b32 v0, 0x8000, v0, v1
	v_lshlrev_b32_e32 v1, 23, v6
	s_delay_alu instid0(VALU_DEP_1)
	v_lshl_or_b32 v0, v0, 16, v1
	scratch_store_b32 off, v0, s32 offset:308 ; 4-byte Folded Spill
.LBB285_352:                            ;   in Loop: Header=BB285_15 Depth=1
	s_wait_xcnt 0x0
	s_or_b32 exec_lo, exec_lo, s18
.LBB285_353:                            ;   in Loop: Header=BB285_15 Depth=1
	s_delay_alu instid0(SALU_CYCLE_1)
	s_or_b32 exec_lo, exec_lo, s17
.LBB285_354:                            ;   in Loop: Header=BB285_15 Depth=1
	s_delay_alu instid0(SALU_CYCLE_1) | instskip(SKIP_2) | instid1(VALU_DEP_1)
	s_or_b32 exec_lo, exec_lo, s16
	v_lshrrev_b32_e32 v0, 16, v4
	s_mov_b32 s16, exec_lo
	v_and_b32_e32 v6, 0xff, v0
	s_delay_alu instid0(VALU_DEP_1)
	v_cmpx_ne_u16_e32 0, v6
	s_cbranch_execz .LBB285_362
; %bb.355:                              ;   in Loop: Header=BB285_15 Depth=1
	v_mov_b32_e32 v1, 0x8000
	s_mov_b32 s17, exec_lo
	scratch_store_b32 off, v1, s32 offset:304 ; 4-byte Folded Spill
	s_wait_xcnt 0x0
	v_cmpx_ne_u16_e32 0x80, v6
	s_cbranch_execz .LBB285_361
; %bb.356:                              ;   in Loop: Header=BB285_15 Depth=1
	v_bfe_u32 v9, v4, 16, 7
	v_mov_b32_e32 v1, 0x7c01
	s_mov_b32 s18, exec_lo
	scratch_store_b32 off, v1, s32 offset:304 ; 4-byte Folded Spill
	s_wait_xcnt 0x0
	v_cmpx_ne_u32_e32 0x7f, v9
	s_cbranch_execz .LBB285_360
; %bb.357:                              ;   in Loop: Header=BB285_15 Depth=1
	v_dual_lshrrev_b32 v8, 3, v9 :: v_dual_bitop2_b32 v6, 7, v0 bitop3:0x40
	s_mov_b32 s19, exec_lo
	v_cmpx_gt_u32_e32 8, v9
; %bb.358:                              ;   in Loop: Header=BB285_15 Depth=1
	s_delay_alu instid0(VALU_DEP_2) | instskip(NEXT) | instid1(VALU_DEP_1)
	v_clz_i32_u32_e32 v1, v6
	v_min_u32_e32 v1, 32, v1
	s_delay_alu instid0(VALU_DEP_1) | instskip(NEXT) | instid1(VALU_DEP_1)
	v_subrev_nc_u32_e32 v6, 28, v1
	v_lshlrev_b64_e32 v[16:17], v6, v[0:1]
	s_delay_alu instid0(VALU_DEP_1)
	v_dual_sub_nc_u32 v8, 29, v1 :: v_dual_bitop2_b32 v6, 7, v16 bitop3:0x40
; %bb.359:                              ;   in Loop: Header=BB285_15 Depth=1
	s_or_b32 exec_lo, exec_lo, s19
	s_delay_alu instid0(VALU_DEP_1) | instskip(NEXT) | instid1(VALU_DEP_2)
	v_dual_lshlrev_b32 v0, 8, v0 :: v_dual_lshlrev_b32 v6, 7, v6
	v_lshl_add_u32 v1, v8, 10, 0x2000
	s_delay_alu instid0(VALU_DEP_2) | instskip(NEXT) | instid1(VALU_DEP_2)
	v_and_b32_e32 v0, 0x8000, v0
	v_and_b32_e32 v1, 0xfc00, v1
	s_delay_alu instid0(VALU_DEP_1)
	v_or3_b32 v0, v0, v1, v6
	scratch_store_b32 off, v0, s32 offset:304 ; 4-byte Folded Spill
.LBB285_360:                            ;   in Loop: Header=BB285_15 Depth=1
	s_wait_xcnt 0x0
	s_or_b32 exec_lo, exec_lo, s18
.LBB285_361:                            ;   in Loop: Header=BB285_15 Depth=1
	s_delay_alu instid0(SALU_CYCLE_1)
	s_or_b32 exec_lo, exec_lo, s17
.LBB285_362:                            ;   in Loop: Header=BB285_15 Depth=1
	s_delay_alu instid0(SALU_CYCLE_1)
	s_or_b32 exec_lo, exec_lo, s16
	v_mov_b32_e32 v0, 0
	s_mov_b32 s16, exec_lo
	scratch_store_b32 off, v0, s32 offset:312 ; 4-byte Folded Spill
	s_wait_xcnt 0x0
	v_mov_b32_e32 v0, 0
	scratch_store_b32 off, v0, s32 offset:316 ; 4-byte Folded Spill
	s_wait_xcnt 0x0
	v_cmpx_lt_u32_e32 0xffffff, v4
	s_cbranch_execz .LBB285_370
; %bb.363:                              ;   in Loop: Header=BB285_15 Depth=1
	v_lshrrev_b32_e32 v24, 24, v4
	v_bfrev_b32_e32 v0, 1
	s_mov_b32 s17, exec_lo
	scratch_store_b32 off, v0, s32 offset:316 ; 4-byte Folded Spill
	s_wait_xcnt 0x0
	v_cmpx_ne_u32_e32 0x80, v24
	s_cbranch_execz .LBB285_369
; %bb.364:                              ;   in Loop: Header=BB285_15 Depth=1
	v_and_b32_e32 v8, 0x7f, v24
	v_mov_b32_e32 v0, 0x7c010000
	s_mov_b32 s18, exec_lo
	scratch_store_b32 off, v0, s32 offset:316 ; 4-byte Folded Spill
	s_wait_xcnt 0x0
	v_cmpx_ne_u32_e32 0x7f, v8
	s_cbranch_execz .LBB285_368
; %bb.365:                              ;   in Loop: Header=BB285_15 Depth=1
	v_and_b32_e32 v0, 7, v24
	v_lshrrev_b32_e32 v6, 3, v8
	s_mov_b32 s19, exec_lo
	v_cmpx_gt_u32_e32 8, v8
; %bb.366:                              ;   in Loop: Header=BB285_15 Depth=1
	s_delay_alu instid0(VALU_DEP_3) | instskip(NEXT) | instid1(VALU_DEP_1)
	v_clz_i32_u32_e32 v0, v0
	v_min_u32_e32 v0, 32, v0
	s_delay_alu instid0(VALU_DEP_1) | instskip(SKIP_1) | instid1(VALU_DEP_2)
	v_subrev_nc_u32_e32 v1, 28, v0
	v_sub_nc_u32_e32 v6, 29, v0
	v_lshlrev_b64_e32 v[8:9], v1, v[24:25]
	s_delay_alu instid0(VALU_DEP_1)
	v_and_b32_e32 v0, 7, v8
; %bb.367:                              ;   in Loop: Header=BB285_15 Depth=1
	s_or_b32 exec_lo, exec_lo, s19
	v_lshlrev_b32_e32 v1, 8, v24
	v_lshl_add_u32 v6, v6, 10, 0x2000
	s_delay_alu instid0(VALU_DEP_3) | instskip(NEXT) | instid1(VALU_DEP_2)
	v_lshlrev_b32_e32 v0, 23, v0
	v_and_or_b32 v1, 0x8000, v1, v6
	s_delay_alu instid0(VALU_DEP_1)
	v_lshl_or_b32 v0, v1, 16, v0
	scratch_store_b32 off, v0, s32 offset:316 ; 4-byte Folded Spill
.LBB285_368:                            ;   in Loop: Header=BB285_15 Depth=1
	s_wait_xcnt 0x0
	s_or_b32 exec_lo, exec_lo, s18
.LBB285_369:                            ;   in Loop: Header=BB285_15 Depth=1
	s_delay_alu instid0(SALU_CYCLE_1)
	s_or_b32 exec_lo, exec_lo, s17
.LBB285_370:                            ;   in Loop: Header=BB285_15 Depth=1
	s_delay_alu instid0(SALU_CYCLE_1) | instskip(SKIP_3) | instid1(VALU_DEP_2)
	s_or_b32 exec_lo, exec_lo, s16
	v_and_b32_e32 v0, 0xff, v5
	v_mov_b32_e32 v24, v5
	s_mov_b32 s16, exec_lo
	v_cmpx_ne_u16_e32 0, v0
	s_cbranch_execz .LBB285_378
; %bb.371:                              ;   in Loop: Header=BB285_15 Depth=1
	v_cmp_ne_u16_e64 s1, 0x80, v0
	v_mov_b32_e32 v0, 0x8000
	scratch_store_b32 off, v0, s32 offset:312 ; 4-byte Folded Spill
	s_wait_xcnt 0x0
	s_and_saveexec_b32 s17, s1
	s_cbranch_execz .LBB285_377
; %bb.372:                              ;   in Loop: Header=BB285_15 Depth=1
	v_and_b32_e32 v8, 0x7f, v5
	v_mov_b32_e32 v0, 0x7c01
	s_mov_b32 s18, exec_lo
	scratch_store_b32 off, v0, s32 offset:312 ; 4-byte Folded Spill
	s_wait_xcnt 0x0
	v_cmpx_ne_u32_e32 0x7f, v8
	s_cbranch_execz .LBB285_376
; %bb.373:                              ;   in Loop: Header=BB285_15 Depth=1
	v_dual_lshrrev_b32 v6, 3, v8 :: v_dual_bitop2_b32 v0, 7, v5 bitop3:0x40
	s_mov_b32 s19, exec_lo
	v_cmpx_gt_u32_e32 8, v8
; %bb.374:                              ;   in Loop: Header=BB285_15 Depth=1
	s_delay_alu instid0(VALU_DEP_2) | instskip(NEXT) | instid1(VALU_DEP_1)
	v_clz_i32_u32_e32 v0, v0
	v_min_u32_e32 v0, 32, v0
	s_delay_alu instid0(VALU_DEP_1) | instskip(SKIP_1) | instid1(VALU_DEP_2)
	v_subrev_nc_u32_e32 v1, 28, v0
	v_sub_nc_u32_e32 v6, 29, v0
	v_lshlrev_b64_e32 v[8:9], v1, v[24:25]
	s_delay_alu instid0(VALU_DEP_1)
	v_and_b32_e32 v0, 7, v8
; %bb.375:                              ;   in Loop: Header=BB285_15 Depth=1
	s_or_b32 exec_lo, exec_lo, s19
	s_delay_alu instid0(VALU_DEP_1) | instskip(SKIP_1) | instid1(VALU_DEP_2)
	v_dual_lshlrev_b32 v1, 8, v5 :: v_dual_lshlrev_b32 v0, 7, v0
	v_lshl_add_u32 v6, v6, 10, 0x2000
	v_and_b32_e32 v1, 0x8000, v1
	s_delay_alu instid0(VALU_DEP_2) | instskip(NEXT) | instid1(VALU_DEP_1)
	v_and_b32_e32 v6, 0xfc00, v6
	v_or3_b32 v0, v1, v6, v0
	scratch_store_b32 off, v0, s32 offset:312 ; 4-byte Folded Spill
.LBB285_376:                            ;   in Loop: Header=BB285_15 Depth=1
	s_wait_xcnt 0x0
	s_or_b32 exec_lo, exec_lo, s18
.LBB285_377:                            ;   in Loop: Header=BB285_15 Depth=1
	s_delay_alu instid0(SALU_CYCLE_1)
	s_or_b32 exec_lo, exec_lo, s17
.LBB285_378:                            ;   in Loop: Header=BB285_15 Depth=1
	s_delay_alu instid0(SALU_CYCLE_1)
	s_or_b32 exec_lo, exec_lo, s16
	v_mov_b32_e32 v0, 0
	v_lshrrev_b16 v24, 8, v24
	s_mov_b32 s16, exec_lo
	scratch_store_b32 off, v0, s32 offset:320 ; 4-byte Folded Spill
	s_wait_xcnt 0x0
	v_mov_b32_e32 v0, 0
	scratch_store_b32 off, v0, s32 offset:324 ; 4-byte Folded Spill
	s_wait_xcnt 0x0
	v_cmpx_ne_u16_e32 0, v24
	s_cbranch_execz .LBB285_386
; %bb.379:                              ;   in Loop: Header=BB285_15 Depth=1
	v_bfrev_b32_e32 v0, 1
	s_mov_b32 s17, exec_lo
	scratch_store_b32 off, v0, s32 offset:324 ; 4-byte Folded Spill
	s_wait_xcnt 0x0
	v_cmpx_ne_u16_e32 0x80, v24
	s_cbranch_execz .LBB285_385
; %bb.380:                              ;   in Loop: Header=BB285_15 Depth=1
	v_and_b32_e32 v0, 0xffff, v24
	v_mov_b32_e32 v1, 0x7c010000
	s_mov_b32 s18, exec_lo
	s_delay_alu instid0(VALU_DEP_2)
	v_and_b32_e32 v9, 0x7f, v0
	scratch_store_b32 off, v1, s32 offset:324 ; 4-byte Folded Spill
	s_wait_xcnt 0x0
	v_cmpx_ne_u32_e32 0x7f, v9
	s_cbranch_execz .LBB285_384
; %bb.381:                              ;   in Loop: Header=BB285_15 Depth=1
	v_dual_lshrrev_b32 v8, 3, v9 :: v_dual_bitop2_b32 v6, 7, v0 bitop3:0x40
	s_mov_b32 s19, exec_lo
	v_cmpx_gt_u32_e32 8, v9
; %bb.382:                              ;   in Loop: Header=BB285_15 Depth=1
	s_delay_alu instid0(VALU_DEP_2) | instskip(NEXT) | instid1(VALU_DEP_1)
	v_clz_i32_u32_e32 v1, v6
	v_min_u32_e32 v1, 32, v1
	s_delay_alu instid0(VALU_DEP_1) | instskip(NEXT) | instid1(VALU_DEP_1)
	v_subrev_nc_u32_e32 v6, 28, v1
	v_lshlrev_b64_e32 v[16:17], v6, v[24:25]
	s_delay_alu instid0(VALU_DEP_1)
	v_dual_sub_nc_u32 v8, 29, v1 :: v_dual_bitop2_b32 v6, 7, v16 bitop3:0x40
; %bb.383:                              ;   in Loop: Header=BB285_15 Depth=1
	s_or_b32 exec_lo, exec_lo, s19
	v_lshlrev_b32_e32 v0, 8, v0
	s_delay_alu instid0(VALU_DEP_2) | instskip(NEXT) | instid1(VALU_DEP_1)
	v_lshl_add_u32 v1, v8, 10, 0x2000
	v_and_or_b32 v0, 0x8000, v0, v1
	v_lshlrev_b32_e32 v1, 23, v6
	s_delay_alu instid0(VALU_DEP_1)
	v_lshl_or_b32 v0, v0, 16, v1
	scratch_store_b32 off, v0, s32 offset:324 ; 4-byte Folded Spill
.LBB285_384:                            ;   in Loop: Header=BB285_15 Depth=1
	s_wait_xcnt 0x0
	s_or_b32 exec_lo, exec_lo, s18
.LBB285_385:                            ;   in Loop: Header=BB285_15 Depth=1
	s_delay_alu instid0(SALU_CYCLE_1)
	s_or_b32 exec_lo, exec_lo, s17
.LBB285_386:                            ;   in Loop: Header=BB285_15 Depth=1
	s_delay_alu instid0(SALU_CYCLE_1) | instskip(SKIP_2) | instid1(VALU_DEP_1)
	s_or_b32 exec_lo, exec_lo, s16
	v_lshrrev_b32_e32 v0, 16, v5
	s_mov_b32 s16, exec_lo
	v_and_b32_e32 v6, 0xff, v0
	s_delay_alu instid0(VALU_DEP_1)
	v_cmpx_ne_u16_e32 0, v6
	s_cbranch_execz .LBB285_394
; %bb.387:                              ;   in Loop: Header=BB285_15 Depth=1
	v_mov_b32_e32 v1, 0x8000
	s_mov_b32 s17, exec_lo
	scratch_store_b32 off, v1, s32 offset:320 ; 4-byte Folded Spill
	s_wait_xcnt 0x0
	v_cmpx_ne_u16_e32 0x80, v6
	s_cbranch_execz .LBB285_393
; %bb.388:                              ;   in Loop: Header=BB285_15 Depth=1
	v_bfe_u32 v9, v5, 16, 7
	v_mov_b32_e32 v1, 0x7c01
	s_mov_b32 s18, exec_lo
	scratch_store_b32 off, v1, s32 offset:320 ; 4-byte Folded Spill
	s_wait_xcnt 0x0
	v_cmpx_ne_u32_e32 0x7f, v9
	s_cbranch_execz .LBB285_392
; %bb.389:                              ;   in Loop: Header=BB285_15 Depth=1
	v_dual_lshrrev_b32 v8, 3, v9 :: v_dual_bitop2_b32 v6, 7, v0 bitop3:0x40
	s_mov_b32 s19, exec_lo
	v_cmpx_gt_u32_e32 8, v9
; %bb.390:                              ;   in Loop: Header=BB285_15 Depth=1
	s_delay_alu instid0(VALU_DEP_2) | instskip(NEXT) | instid1(VALU_DEP_1)
	v_clz_i32_u32_e32 v1, v6
	v_min_u32_e32 v1, 32, v1
	s_delay_alu instid0(VALU_DEP_1) | instskip(NEXT) | instid1(VALU_DEP_1)
	v_subrev_nc_u32_e32 v6, 28, v1
	v_lshlrev_b64_e32 v[16:17], v6, v[0:1]
	s_delay_alu instid0(VALU_DEP_1)
	v_dual_sub_nc_u32 v8, 29, v1 :: v_dual_bitop2_b32 v6, 7, v16 bitop3:0x40
; %bb.391:                              ;   in Loop: Header=BB285_15 Depth=1
	s_or_b32 exec_lo, exec_lo, s19
	s_delay_alu instid0(VALU_DEP_1) | instskip(NEXT) | instid1(VALU_DEP_2)
	v_dual_lshlrev_b32 v0, 8, v0 :: v_dual_lshlrev_b32 v6, 7, v6
	v_lshl_add_u32 v1, v8, 10, 0x2000
	s_delay_alu instid0(VALU_DEP_2) | instskip(NEXT) | instid1(VALU_DEP_2)
	v_and_b32_e32 v0, 0x8000, v0
	v_and_b32_e32 v1, 0xfc00, v1
	s_delay_alu instid0(VALU_DEP_1)
	v_or3_b32 v0, v0, v1, v6
	scratch_store_b32 off, v0, s32 offset:320 ; 4-byte Folded Spill
.LBB285_392:                            ;   in Loop: Header=BB285_15 Depth=1
	s_wait_xcnt 0x0
	s_or_b32 exec_lo, exec_lo, s18
.LBB285_393:                            ;   in Loop: Header=BB285_15 Depth=1
	s_delay_alu instid0(SALU_CYCLE_1)
	s_or_b32 exec_lo, exec_lo, s17
.LBB285_394:                            ;   in Loop: Header=BB285_15 Depth=1
	s_delay_alu instid0(SALU_CYCLE_1)
	s_or_b32 exec_lo, exec_lo, s16
	v_mov_b32_e32 v0, 0
	s_mov_b32 s16, exec_lo
	scratch_store_b32 off, v0, s32 offset:328 ; 4-byte Folded Spill
	s_wait_xcnt 0x0
	v_mov_b32_e32 v0, 0
	scratch_store_b32 off, v0, s32 offset:332 ; 4-byte Folded Spill
	s_wait_xcnt 0x0
	v_cmpx_lt_u64_e64 s[8:9], v[4:5]
	s_cbranch_execz .LBB285_402
; %bb.395:                              ;   in Loop: Header=BB285_15 Depth=1
	v_lshrrev_b32_e32 v24, 24, v5
	v_bfrev_b32_e32 v0, 1
	s_mov_b32 s17, exec_lo
	scratch_store_b32 off, v0, s32 offset:332 ; 4-byte Folded Spill
	s_wait_xcnt 0x0
	v_cmpx_ne_u32_e32 0x80, v24
	s_cbranch_execz .LBB285_401
; %bb.396:                              ;   in Loop: Header=BB285_15 Depth=1
	v_and_b32_e32 v5, 0x7f, v24
	v_mov_b32_e32 v0, 0x7c010000
	s_mov_b32 s18, exec_lo
	scratch_store_b32 off, v0, s32 offset:332 ; 4-byte Folded Spill
	s_wait_xcnt 0x0
	v_cmpx_ne_u32_e32 0x7f, v5
	s_cbranch_execz .LBB285_400
; %bb.397:                              ;   in Loop: Header=BB285_15 Depth=1
	v_dual_lshrrev_b32 v4, 3, v5 :: v_dual_bitop2_b32 v0, 7, v24 bitop3:0x40
	s_mov_b32 s19, exec_lo
	v_cmpx_gt_u32_e32 8, v5
; %bb.398:                              ;   in Loop: Header=BB285_15 Depth=1
	s_delay_alu instid0(VALU_DEP_2) | instskip(NEXT) | instid1(VALU_DEP_1)
	v_clz_i32_u32_e32 v0, v0
	v_min_u32_e32 v0, 32, v0
	s_delay_alu instid0(VALU_DEP_1) | instskip(SKIP_1) | instid1(VALU_DEP_2)
	v_subrev_nc_u32_e32 v1, 28, v0
	v_sub_nc_u32_e32 v4, 29, v0
	v_lshlrev_b64_e32 v[8:9], v1, v[24:25]
	s_delay_alu instid0(VALU_DEP_1)
	v_and_b32_e32 v0, 7, v8
; %bb.399:                              ;   in Loop: Header=BB285_15 Depth=1
	s_or_b32 exec_lo, exec_lo, s19
	v_lshlrev_b32_e32 v1, 8, v24
	v_lshl_add_u32 v4, v4, 10, 0x2000
	s_delay_alu instid0(VALU_DEP_3) | instskip(NEXT) | instid1(VALU_DEP_2)
	v_lshlrev_b32_e32 v0, 23, v0
	v_and_or_b32 v1, 0x8000, v1, v4
	s_delay_alu instid0(VALU_DEP_1)
	v_lshl_or_b32 v0, v1, 16, v0
	scratch_store_b32 off, v0, s32 offset:332 ; 4-byte Folded Spill
.LBB285_400:                            ;   in Loop: Header=BB285_15 Depth=1
	s_wait_xcnt 0x0
	s_or_b32 exec_lo, exec_lo, s18
.LBB285_401:                            ;   in Loop: Header=BB285_15 Depth=1
	s_delay_alu instid0(SALU_CYCLE_1)
	s_or_b32 exec_lo, exec_lo, s17
.LBB285_402:                            ;   in Loop: Header=BB285_15 Depth=1
	s_delay_alu instid0(SALU_CYCLE_1)
	s_or_b32 exec_lo, exec_lo, s16
	flat_load_b64 v[4:5], v[2:3] offset:1536
	s_mov_b32 s16, exec_lo
	s_wait_loadcnt_dscnt 0x0
	v_and_b32_e32 v0, 0xff, v4
	s_wait_xcnt 0x0
	s_delay_alu instid0(VALU_DEP_1)
	v_cmpx_ne_u16_e32 0, v0
	s_cbranch_execz .LBB285_410
; %bb.403:                              ;   in Loop: Header=BB285_15 Depth=1
	v_cmp_ne_u16_e64 s1, 0x80, v0
	v_mov_b32_e32 v0, 0x8000
	scratch_store_b32 off, v0, s32 offset:328 ; 4-byte Folded Spill
	s_wait_xcnt 0x0
	s_and_saveexec_b32 s17, s1
	s_cbranch_execz .LBB285_409
; %bb.404:                              ;   in Loop: Header=BB285_15 Depth=1
	v_and_b32_e32 v8, 0x7f, v4
	v_mov_b32_e32 v0, 0x7c01
	s_mov_b32 s18, exec_lo
	scratch_store_b32 off, v0, s32 offset:328 ; 4-byte Folded Spill
	s_wait_xcnt 0x0
	v_cmpx_ne_u32_e32 0x7f, v8
	s_cbranch_execz .LBB285_408
; %bb.405:                              ;   in Loop: Header=BB285_15 Depth=1
	v_and_b32_e32 v0, 7, v4
	v_lshrrev_b32_e32 v6, 3, v8
	s_mov_b32 s19, exec_lo
	v_cmpx_gt_u32_e32 8, v8
; %bb.406:                              ;   in Loop: Header=BB285_15 Depth=1
	s_delay_alu instid0(VALU_DEP_3) | instskip(NEXT) | instid1(VALU_DEP_1)
	v_clz_i32_u32_e32 v0, v0
	v_min_u32_e32 v0, 32, v0
	s_delay_alu instid0(VALU_DEP_1) | instskip(SKIP_1) | instid1(VALU_DEP_2)
	v_subrev_nc_u32_e32 v1, 28, v0
	v_sub_nc_u32_e32 v6, 29, v0
	v_lshlrev_b64_e32 v[8:9], v1, v[4:5]
	s_delay_alu instid0(VALU_DEP_1)
	v_and_b32_e32 v0, 7, v8
; %bb.407:                              ;   in Loop: Header=BB285_15 Depth=1
	s_or_b32 exec_lo, exec_lo, s19
	v_lshlrev_b32_e32 v1, 8, v4
	v_lshl_add_u32 v6, v6, 10, 0x2000
	s_delay_alu instid0(VALU_DEP_3) | instskip(NEXT) | instid1(VALU_DEP_3)
	v_lshlrev_b32_e32 v0, 7, v0
	v_and_b32_e32 v1, 0x8000, v1
	s_delay_alu instid0(VALU_DEP_3) | instskip(NEXT) | instid1(VALU_DEP_1)
	v_and_b32_e32 v6, 0xfc00, v6
	v_or3_b32 v0, v1, v6, v0
	scratch_store_b32 off, v0, s32 offset:328 ; 4-byte Folded Spill
.LBB285_408:                            ;   in Loop: Header=BB285_15 Depth=1
	s_wait_xcnt 0x0
	s_or_b32 exec_lo, exec_lo, s18
.LBB285_409:                            ;   in Loop: Header=BB285_15 Depth=1
	s_delay_alu instid0(SALU_CYCLE_1)
	s_or_b32 exec_lo, exec_lo, s17
.LBB285_410:                            ;   in Loop: Header=BB285_15 Depth=1
	s_delay_alu instid0(SALU_CYCLE_1)
	s_or_b32 exec_lo, exec_lo, s16
	v_mov_b32_e32 v0, 0
	v_lshrrev_b16 v24, 8, v4
	s_mov_b32 s16, exec_lo
	scratch_store_b32 off, v0, s32 offset:336 ; 4-byte Folded Spill
	s_wait_xcnt 0x0
	v_mov_b32_e32 v0, 0
	scratch_store_b32 off, v0, s32 offset:340 ; 4-byte Folded Spill
	s_wait_xcnt 0x0
	v_cmpx_ne_u16_e32 0, v24
	s_cbranch_execz .LBB285_418
; %bb.411:                              ;   in Loop: Header=BB285_15 Depth=1
	v_bfrev_b32_e32 v0, 1
	s_mov_b32 s17, exec_lo
	scratch_store_b32 off, v0, s32 offset:340 ; 4-byte Folded Spill
	s_wait_xcnt 0x0
	v_cmpx_ne_u16_e32 0x80, v24
	s_cbranch_execz .LBB285_417
; %bb.412:                              ;   in Loop: Header=BB285_15 Depth=1
	v_and_b32_e32 v0, 0xffff, v24
	v_mov_b32_e32 v1, 0x7c010000
	s_mov_b32 s18, exec_lo
	s_delay_alu instid0(VALU_DEP_2)
	v_and_b32_e32 v9, 0x7f, v0
	scratch_store_b32 off, v1, s32 offset:340 ; 4-byte Folded Spill
	s_wait_xcnt 0x0
	v_cmpx_ne_u32_e32 0x7f, v9
	s_cbranch_execz .LBB285_416
; %bb.413:                              ;   in Loop: Header=BB285_15 Depth=1
	v_dual_lshrrev_b32 v8, 3, v9 :: v_dual_bitop2_b32 v6, 7, v0 bitop3:0x40
	s_mov_b32 s19, exec_lo
	v_cmpx_gt_u32_e32 8, v9
; %bb.414:                              ;   in Loop: Header=BB285_15 Depth=1
	s_delay_alu instid0(VALU_DEP_2) | instskip(NEXT) | instid1(VALU_DEP_1)
	v_clz_i32_u32_e32 v1, v6
	v_min_u32_e32 v1, 32, v1
	s_delay_alu instid0(VALU_DEP_1) | instskip(NEXT) | instid1(VALU_DEP_1)
	v_subrev_nc_u32_e32 v6, 28, v1
	v_lshlrev_b64_e32 v[16:17], v6, v[24:25]
	s_delay_alu instid0(VALU_DEP_1)
	v_dual_sub_nc_u32 v8, 29, v1 :: v_dual_bitop2_b32 v6, 7, v16 bitop3:0x40
; %bb.415:                              ;   in Loop: Header=BB285_15 Depth=1
	s_or_b32 exec_lo, exec_lo, s19
	v_lshlrev_b32_e32 v0, 8, v0
	s_delay_alu instid0(VALU_DEP_2) | instskip(NEXT) | instid1(VALU_DEP_1)
	v_lshl_add_u32 v1, v8, 10, 0x2000
	v_and_or_b32 v0, 0x8000, v0, v1
	v_lshlrev_b32_e32 v1, 23, v6
	s_delay_alu instid0(VALU_DEP_1)
	v_lshl_or_b32 v0, v0, 16, v1
	scratch_store_b32 off, v0, s32 offset:340 ; 4-byte Folded Spill
.LBB285_416:                            ;   in Loop: Header=BB285_15 Depth=1
	s_wait_xcnt 0x0
	s_or_b32 exec_lo, exec_lo, s18
.LBB285_417:                            ;   in Loop: Header=BB285_15 Depth=1
	s_delay_alu instid0(SALU_CYCLE_1)
	s_or_b32 exec_lo, exec_lo, s17
.LBB285_418:                            ;   in Loop: Header=BB285_15 Depth=1
	s_delay_alu instid0(SALU_CYCLE_1) | instskip(SKIP_2) | instid1(VALU_DEP_1)
	s_or_b32 exec_lo, exec_lo, s16
	v_lshrrev_b32_e32 v0, 16, v4
	s_mov_b32 s16, exec_lo
	v_and_b32_e32 v6, 0xff, v0
	s_delay_alu instid0(VALU_DEP_1)
	v_cmpx_ne_u16_e32 0, v6
	s_cbranch_execz .LBB285_426
; %bb.419:                              ;   in Loop: Header=BB285_15 Depth=1
	v_mov_b32_e32 v1, 0x8000
	s_mov_b32 s17, exec_lo
	scratch_store_b32 off, v1, s32 offset:336 ; 4-byte Folded Spill
	s_wait_xcnt 0x0
	v_cmpx_ne_u16_e32 0x80, v6
	s_cbranch_execz .LBB285_425
; %bb.420:                              ;   in Loop: Header=BB285_15 Depth=1
	v_bfe_u32 v9, v4, 16, 7
	v_mov_b32_e32 v1, 0x7c01
	s_mov_b32 s18, exec_lo
	scratch_store_b32 off, v1, s32 offset:336 ; 4-byte Folded Spill
	s_wait_xcnt 0x0
	v_cmpx_ne_u32_e32 0x7f, v9
	s_cbranch_execz .LBB285_424
; %bb.421:                              ;   in Loop: Header=BB285_15 Depth=1
	v_dual_lshrrev_b32 v8, 3, v9 :: v_dual_bitop2_b32 v6, 7, v0 bitop3:0x40
	s_mov_b32 s19, exec_lo
	v_cmpx_gt_u32_e32 8, v9
; %bb.422:                              ;   in Loop: Header=BB285_15 Depth=1
	s_delay_alu instid0(VALU_DEP_2) | instskip(NEXT) | instid1(VALU_DEP_1)
	v_clz_i32_u32_e32 v1, v6
	v_min_u32_e32 v1, 32, v1
	s_delay_alu instid0(VALU_DEP_1) | instskip(NEXT) | instid1(VALU_DEP_1)
	v_subrev_nc_u32_e32 v6, 28, v1
	v_lshlrev_b64_e32 v[16:17], v6, v[0:1]
	s_delay_alu instid0(VALU_DEP_1)
	v_dual_sub_nc_u32 v8, 29, v1 :: v_dual_bitop2_b32 v6, 7, v16 bitop3:0x40
; %bb.423:                              ;   in Loop: Header=BB285_15 Depth=1
	s_or_b32 exec_lo, exec_lo, s19
	s_delay_alu instid0(VALU_DEP_1) | instskip(NEXT) | instid1(VALU_DEP_2)
	v_dual_lshlrev_b32 v0, 8, v0 :: v_dual_lshlrev_b32 v6, 7, v6
	v_lshl_add_u32 v1, v8, 10, 0x2000
	s_delay_alu instid0(VALU_DEP_2) | instskip(NEXT) | instid1(VALU_DEP_2)
	v_and_b32_e32 v0, 0x8000, v0
	v_and_b32_e32 v1, 0xfc00, v1
	s_delay_alu instid0(VALU_DEP_1)
	v_or3_b32 v0, v0, v1, v6
	scratch_store_b32 off, v0, s32 offset:336 ; 4-byte Folded Spill
.LBB285_424:                            ;   in Loop: Header=BB285_15 Depth=1
	s_wait_xcnt 0x0
	s_or_b32 exec_lo, exec_lo, s18
.LBB285_425:                            ;   in Loop: Header=BB285_15 Depth=1
	s_delay_alu instid0(SALU_CYCLE_1)
	s_or_b32 exec_lo, exec_lo, s17
.LBB285_426:                            ;   in Loop: Header=BB285_15 Depth=1
	s_delay_alu instid0(SALU_CYCLE_1)
	s_or_b32 exec_lo, exec_lo, s16
	v_mov_b32_e32 v0, 0
	s_mov_b32 s16, exec_lo
	scratch_store_b32 off, v0, s32 offset:344 ; 4-byte Folded Spill
	s_wait_xcnt 0x0
	v_mov_b32_e32 v0, 0
	scratch_store_b32 off, v0, s32 offset:348 ; 4-byte Folded Spill
	s_wait_xcnt 0x0
	v_cmpx_lt_u32_e32 0xffffff, v4
	s_cbranch_execz .LBB285_434
; %bb.427:                              ;   in Loop: Header=BB285_15 Depth=1
	v_lshrrev_b32_e32 v24, 24, v4
	v_bfrev_b32_e32 v0, 1
	s_mov_b32 s17, exec_lo
	scratch_store_b32 off, v0, s32 offset:348 ; 4-byte Folded Spill
	s_wait_xcnt 0x0
	v_cmpx_ne_u32_e32 0x80, v24
	s_cbranch_execz .LBB285_433
; %bb.428:                              ;   in Loop: Header=BB285_15 Depth=1
	v_and_b32_e32 v8, 0x7f, v24
	v_mov_b32_e32 v0, 0x7c010000
	s_mov_b32 s18, exec_lo
	scratch_store_b32 off, v0, s32 offset:348 ; 4-byte Folded Spill
	s_wait_xcnt 0x0
	v_cmpx_ne_u32_e32 0x7f, v8
	s_cbranch_execz .LBB285_432
; %bb.429:                              ;   in Loop: Header=BB285_15 Depth=1
	v_and_b32_e32 v0, 7, v24
	v_lshrrev_b32_e32 v6, 3, v8
	s_mov_b32 s19, exec_lo
	v_cmpx_gt_u32_e32 8, v8
; %bb.430:                              ;   in Loop: Header=BB285_15 Depth=1
	s_delay_alu instid0(VALU_DEP_3) | instskip(NEXT) | instid1(VALU_DEP_1)
	v_clz_i32_u32_e32 v0, v0
	v_min_u32_e32 v0, 32, v0
	s_delay_alu instid0(VALU_DEP_1) | instskip(SKIP_1) | instid1(VALU_DEP_2)
	v_subrev_nc_u32_e32 v1, 28, v0
	v_sub_nc_u32_e32 v6, 29, v0
	v_lshlrev_b64_e32 v[8:9], v1, v[24:25]
	s_delay_alu instid0(VALU_DEP_1)
	v_and_b32_e32 v0, 7, v8
; %bb.431:                              ;   in Loop: Header=BB285_15 Depth=1
	s_or_b32 exec_lo, exec_lo, s19
	v_lshlrev_b32_e32 v1, 8, v24
	v_lshl_add_u32 v6, v6, 10, 0x2000
	s_delay_alu instid0(VALU_DEP_3) | instskip(NEXT) | instid1(VALU_DEP_2)
	v_lshlrev_b32_e32 v0, 23, v0
	v_and_or_b32 v1, 0x8000, v1, v6
	s_delay_alu instid0(VALU_DEP_1)
	v_lshl_or_b32 v0, v1, 16, v0
	scratch_store_b32 off, v0, s32 offset:348 ; 4-byte Folded Spill
.LBB285_432:                            ;   in Loop: Header=BB285_15 Depth=1
	s_wait_xcnt 0x0
	s_or_b32 exec_lo, exec_lo, s18
.LBB285_433:                            ;   in Loop: Header=BB285_15 Depth=1
	s_delay_alu instid0(SALU_CYCLE_1)
	s_or_b32 exec_lo, exec_lo, s17
.LBB285_434:                            ;   in Loop: Header=BB285_15 Depth=1
	s_delay_alu instid0(SALU_CYCLE_1) | instskip(SKIP_3) | instid1(VALU_DEP_2)
	s_or_b32 exec_lo, exec_lo, s16
	v_and_b32_e32 v0, 0xff, v5
	v_mov_b32_e32 v24, v5
	s_mov_b32 s16, exec_lo
	v_cmpx_ne_u16_e32 0, v0
	s_cbranch_execz .LBB285_442
; %bb.435:                              ;   in Loop: Header=BB285_15 Depth=1
	v_cmp_ne_u16_e64 s1, 0x80, v0
	v_mov_b32_e32 v0, 0x8000
	scratch_store_b32 off, v0, s32 offset:344 ; 4-byte Folded Spill
	s_wait_xcnt 0x0
	s_and_saveexec_b32 s17, s1
	s_cbranch_execz .LBB285_441
; %bb.436:                              ;   in Loop: Header=BB285_15 Depth=1
	v_and_b32_e32 v8, 0x7f, v5
	v_mov_b32_e32 v0, 0x7c01
	s_mov_b32 s18, exec_lo
	scratch_store_b32 off, v0, s32 offset:344 ; 4-byte Folded Spill
	s_wait_xcnt 0x0
	v_cmpx_ne_u32_e32 0x7f, v8
	s_cbranch_execz .LBB285_440
; %bb.437:                              ;   in Loop: Header=BB285_15 Depth=1
	v_dual_lshrrev_b32 v6, 3, v8 :: v_dual_bitop2_b32 v0, 7, v5 bitop3:0x40
	s_mov_b32 s19, exec_lo
	v_cmpx_gt_u32_e32 8, v8
; %bb.438:                              ;   in Loop: Header=BB285_15 Depth=1
	s_delay_alu instid0(VALU_DEP_2) | instskip(NEXT) | instid1(VALU_DEP_1)
	v_clz_i32_u32_e32 v0, v0
	v_min_u32_e32 v0, 32, v0
	s_delay_alu instid0(VALU_DEP_1) | instskip(SKIP_1) | instid1(VALU_DEP_2)
	v_subrev_nc_u32_e32 v1, 28, v0
	v_sub_nc_u32_e32 v6, 29, v0
	v_lshlrev_b64_e32 v[8:9], v1, v[24:25]
	s_delay_alu instid0(VALU_DEP_1)
	v_and_b32_e32 v0, 7, v8
; %bb.439:                              ;   in Loop: Header=BB285_15 Depth=1
	s_or_b32 exec_lo, exec_lo, s19
	s_delay_alu instid0(VALU_DEP_1) | instskip(SKIP_1) | instid1(VALU_DEP_2)
	v_dual_lshlrev_b32 v1, 8, v5 :: v_dual_lshlrev_b32 v0, 7, v0
	v_lshl_add_u32 v6, v6, 10, 0x2000
	v_and_b32_e32 v1, 0x8000, v1
	s_delay_alu instid0(VALU_DEP_2) | instskip(NEXT) | instid1(VALU_DEP_1)
	v_and_b32_e32 v6, 0xfc00, v6
	v_or3_b32 v0, v1, v6, v0
	scratch_store_b32 off, v0, s32 offset:344 ; 4-byte Folded Spill
.LBB285_440:                            ;   in Loop: Header=BB285_15 Depth=1
	s_wait_xcnt 0x0
	s_or_b32 exec_lo, exec_lo, s18
.LBB285_441:                            ;   in Loop: Header=BB285_15 Depth=1
	s_delay_alu instid0(SALU_CYCLE_1)
	s_or_b32 exec_lo, exec_lo, s17
.LBB285_442:                            ;   in Loop: Header=BB285_15 Depth=1
	s_delay_alu instid0(SALU_CYCLE_1)
	s_or_b32 exec_lo, exec_lo, s16
	v_mov_b32_e32 v0, 0
	v_lshrrev_b16 v24, 8, v24
	s_mov_b32 s16, exec_lo
	scratch_store_b32 off, v0, s32 offset:352 ; 4-byte Folded Spill
	s_wait_xcnt 0x0
	v_mov_b32_e32 v0, 0
	scratch_store_b32 off, v0, s32 offset:356 ; 4-byte Folded Spill
	s_wait_xcnt 0x0
	v_cmpx_ne_u16_e32 0, v24
	s_cbranch_execz .LBB285_450
; %bb.443:                              ;   in Loop: Header=BB285_15 Depth=1
	v_bfrev_b32_e32 v0, 1
	s_mov_b32 s17, exec_lo
	scratch_store_b32 off, v0, s32 offset:356 ; 4-byte Folded Spill
	s_wait_xcnt 0x0
	v_cmpx_ne_u16_e32 0x80, v24
	s_cbranch_execz .LBB285_449
; %bb.444:                              ;   in Loop: Header=BB285_15 Depth=1
	v_and_b32_e32 v0, 0xffff, v24
	v_mov_b32_e32 v1, 0x7c010000
	s_mov_b32 s18, exec_lo
	s_delay_alu instid0(VALU_DEP_2)
	v_and_b32_e32 v9, 0x7f, v0
	scratch_store_b32 off, v1, s32 offset:356 ; 4-byte Folded Spill
	s_wait_xcnt 0x0
	v_cmpx_ne_u32_e32 0x7f, v9
	s_cbranch_execz .LBB285_448
; %bb.445:                              ;   in Loop: Header=BB285_15 Depth=1
	v_dual_lshrrev_b32 v8, 3, v9 :: v_dual_bitop2_b32 v6, 7, v0 bitop3:0x40
	s_mov_b32 s19, exec_lo
	v_cmpx_gt_u32_e32 8, v9
; %bb.446:                              ;   in Loop: Header=BB285_15 Depth=1
	s_delay_alu instid0(VALU_DEP_2) | instskip(NEXT) | instid1(VALU_DEP_1)
	v_clz_i32_u32_e32 v1, v6
	v_min_u32_e32 v1, 32, v1
	s_delay_alu instid0(VALU_DEP_1) | instskip(NEXT) | instid1(VALU_DEP_1)
	v_subrev_nc_u32_e32 v6, 28, v1
	v_lshlrev_b64_e32 v[16:17], v6, v[24:25]
	s_delay_alu instid0(VALU_DEP_1)
	v_dual_sub_nc_u32 v8, 29, v1 :: v_dual_bitop2_b32 v6, 7, v16 bitop3:0x40
; %bb.447:                              ;   in Loop: Header=BB285_15 Depth=1
	s_or_b32 exec_lo, exec_lo, s19
	v_lshlrev_b32_e32 v0, 8, v0
	s_delay_alu instid0(VALU_DEP_2) | instskip(NEXT) | instid1(VALU_DEP_1)
	v_lshl_add_u32 v1, v8, 10, 0x2000
	v_and_or_b32 v0, 0x8000, v0, v1
	v_lshlrev_b32_e32 v1, 23, v6
	s_delay_alu instid0(VALU_DEP_1)
	v_lshl_or_b32 v0, v0, 16, v1
	scratch_store_b32 off, v0, s32 offset:356 ; 4-byte Folded Spill
.LBB285_448:                            ;   in Loop: Header=BB285_15 Depth=1
	s_wait_xcnt 0x0
	s_or_b32 exec_lo, exec_lo, s18
.LBB285_449:                            ;   in Loop: Header=BB285_15 Depth=1
	s_delay_alu instid0(SALU_CYCLE_1)
	s_or_b32 exec_lo, exec_lo, s17
.LBB285_450:                            ;   in Loop: Header=BB285_15 Depth=1
	s_delay_alu instid0(SALU_CYCLE_1) | instskip(SKIP_2) | instid1(VALU_DEP_1)
	s_or_b32 exec_lo, exec_lo, s16
	v_lshrrev_b32_e32 v0, 16, v5
	s_mov_b32 s16, exec_lo
	v_and_b32_e32 v6, 0xff, v0
	s_delay_alu instid0(VALU_DEP_1)
	v_cmpx_ne_u16_e32 0, v6
	s_cbranch_execz .LBB285_458
; %bb.451:                              ;   in Loop: Header=BB285_15 Depth=1
	v_mov_b32_e32 v1, 0x8000
	s_mov_b32 s17, exec_lo
	scratch_store_b32 off, v1, s32 offset:352 ; 4-byte Folded Spill
	s_wait_xcnt 0x0
	v_cmpx_ne_u16_e32 0x80, v6
	s_cbranch_execz .LBB285_457
; %bb.452:                              ;   in Loop: Header=BB285_15 Depth=1
	v_bfe_u32 v9, v5, 16, 7
	v_mov_b32_e32 v1, 0x7c01
	s_mov_b32 s18, exec_lo
	scratch_store_b32 off, v1, s32 offset:352 ; 4-byte Folded Spill
	s_wait_xcnt 0x0
	v_cmpx_ne_u32_e32 0x7f, v9
	s_cbranch_execz .LBB285_456
; %bb.453:                              ;   in Loop: Header=BB285_15 Depth=1
	v_dual_lshrrev_b32 v8, 3, v9 :: v_dual_bitop2_b32 v6, 7, v0 bitop3:0x40
	s_mov_b32 s19, exec_lo
	v_cmpx_gt_u32_e32 8, v9
; %bb.454:                              ;   in Loop: Header=BB285_15 Depth=1
	s_delay_alu instid0(VALU_DEP_2) | instskip(NEXT) | instid1(VALU_DEP_1)
	v_clz_i32_u32_e32 v1, v6
	v_min_u32_e32 v1, 32, v1
	s_delay_alu instid0(VALU_DEP_1) | instskip(NEXT) | instid1(VALU_DEP_1)
	v_subrev_nc_u32_e32 v6, 28, v1
	v_lshlrev_b64_e32 v[16:17], v6, v[0:1]
	s_delay_alu instid0(VALU_DEP_1)
	v_dual_sub_nc_u32 v8, 29, v1 :: v_dual_bitop2_b32 v6, 7, v16 bitop3:0x40
; %bb.455:                              ;   in Loop: Header=BB285_15 Depth=1
	s_or_b32 exec_lo, exec_lo, s19
	s_delay_alu instid0(VALU_DEP_1) | instskip(NEXT) | instid1(VALU_DEP_2)
	v_dual_lshlrev_b32 v0, 8, v0 :: v_dual_lshlrev_b32 v6, 7, v6
	v_lshl_add_u32 v1, v8, 10, 0x2000
	s_delay_alu instid0(VALU_DEP_2) | instskip(NEXT) | instid1(VALU_DEP_2)
	v_and_b32_e32 v0, 0x8000, v0
	v_and_b32_e32 v1, 0xfc00, v1
	s_delay_alu instid0(VALU_DEP_1)
	v_or3_b32 v0, v0, v1, v6
	scratch_store_b32 off, v0, s32 offset:352 ; 4-byte Folded Spill
.LBB285_456:                            ;   in Loop: Header=BB285_15 Depth=1
	s_wait_xcnt 0x0
	s_or_b32 exec_lo, exec_lo, s18
.LBB285_457:                            ;   in Loop: Header=BB285_15 Depth=1
	s_delay_alu instid0(SALU_CYCLE_1)
	s_or_b32 exec_lo, exec_lo, s17
.LBB285_458:                            ;   in Loop: Header=BB285_15 Depth=1
	s_delay_alu instid0(SALU_CYCLE_1)
	s_or_b32 exec_lo, exec_lo, s16
	v_mov_b32_e32 v0, 0
	s_mov_b32 s16, exec_lo
	scratch_store_b32 off, v0, s32 offset:360 ; 4-byte Folded Spill
	s_wait_xcnt 0x0
	v_mov_b32_e32 v0, 0
	scratch_store_b32 off, v0, s32 offset:364 ; 4-byte Folded Spill
	s_wait_xcnt 0x0
	v_cmpx_lt_u64_e64 s[8:9], v[4:5]
	s_cbranch_execz .LBB285_466
; %bb.459:                              ;   in Loop: Header=BB285_15 Depth=1
	v_lshrrev_b32_e32 v24, 24, v5
	v_bfrev_b32_e32 v0, 1
	s_mov_b32 s17, exec_lo
	scratch_store_b32 off, v0, s32 offset:364 ; 4-byte Folded Spill
	s_wait_xcnt 0x0
	v_cmpx_ne_u32_e32 0x80, v24
	s_cbranch_execz .LBB285_465
; %bb.460:                              ;   in Loop: Header=BB285_15 Depth=1
	v_and_b32_e32 v5, 0x7f, v24
	v_mov_b32_e32 v0, 0x7c010000
	s_mov_b32 s18, exec_lo
	scratch_store_b32 off, v0, s32 offset:364 ; 4-byte Folded Spill
	s_wait_xcnt 0x0
	v_cmpx_ne_u32_e32 0x7f, v5
	s_cbranch_execz .LBB285_464
; %bb.461:                              ;   in Loop: Header=BB285_15 Depth=1
	v_dual_lshrrev_b32 v4, 3, v5 :: v_dual_bitop2_b32 v0, 7, v24 bitop3:0x40
	s_mov_b32 s19, exec_lo
	v_cmpx_gt_u32_e32 8, v5
; %bb.462:                              ;   in Loop: Header=BB285_15 Depth=1
	s_delay_alu instid0(VALU_DEP_2) | instskip(NEXT) | instid1(VALU_DEP_1)
	v_clz_i32_u32_e32 v0, v0
	v_min_u32_e32 v0, 32, v0
	s_delay_alu instid0(VALU_DEP_1) | instskip(SKIP_1) | instid1(VALU_DEP_2)
	v_subrev_nc_u32_e32 v1, 28, v0
	v_sub_nc_u32_e32 v4, 29, v0
	v_lshlrev_b64_e32 v[8:9], v1, v[24:25]
	s_delay_alu instid0(VALU_DEP_1)
	v_and_b32_e32 v0, 7, v8
; %bb.463:                              ;   in Loop: Header=BB285_15 Depth=1
	s_or_b32 exec_lo, exec_lo, s19
	v_lshlrev_b32_e32 v1, 8, v24
	v_lshl_add_u32 v4, v4, 10, 0x2000
	s_delay_alu instid0(VALU_DEP_3) | instskip(NEXT) | instid1(VALU_DEP_2)
	v_lshlrev_b32_e32 v0, 23, v0
	v_and_or_b32 v1, 0x8000, v1, v4
	s_delay_alu instid0(VALU_DEP_1)
	v_lshl_or_b32 v0, v1, 16, v0
	scratch_store_b32 off, v0, s32 offset:364 ; 4-byte Folded Spill
.LBB285_464:                            ;   in Loop: Header=BB285_15 Depth=1
	s_wait_xcnt 0x0
	s_or_b32 exec_lo, exec_lo, s18
.LBB285_465:                            ;   in Loop: Header=BB285_15 Depth=1
	s_delay_alu instid0(SALU_CYCLE_1)
	s_or_b32 exec_lo, exec_lo, s17
.LBB285_466:                            ;   in Loop: Header=BB285_15 Depth=1
	s_delay_alu instid0(SALU_CYCLE_1)
	s_or_b32 exec_lo, exec_lo, s16
	flat_load_b64 v[4:5], v[2:3] offset:1544
	s_mov_b32 s16, exec_lo
	s_wait_loadcnt_dscnt 0x0
	v_and_b32_e32 v0, 0xff, v4
	s_wait_xcnt 0x0
	s_delay_alu instid0(VALU_DEP_1)
	v_cmpx_ne_u16_e32 0, v0
	s_cbranch_execz .LBB285_474
; %bb.467:                              ;   in Loop: Header=BB285_15 Depth=1
	v_cmp_ne_u16_e64 s1, 0x80, v0
	v_mov_b32_e32 v0, 0x8000
	scratch_store_b32 off, v0, s32 offset:360 ; 4-byte Folded Spill
	s_wait_xcnt 0x0
	s_and_saveexec_b32 s17, s1
	s_cbranch_execz .LBB285_473
; %bb.468:                              ;   in Loop: Header=BB285_15 Depth=1
	v_and_b32_e32 v8, 0x7f, v4
	v_mov_b32_e32 v0, 0x7c01
	s_mov_b32 s18, exec_lo
	scratch_store_b32 off, v0, s32 offset:360 ; 4-byte Folded Spill
	s_wait_xcnt 0x0
	v_cmpx_ne_u32_e32 0x7f, v8
	s_cbranch_execz .LBB285_472
; %bb.469:                              ;   in Loop: Header=BB285_15 Depth=1
	v_and_b32_e32 v0, 7, v4
	v_lshrrev_b32_e32 v6, 3, v8
	s_mov_b32 s19, exec_lo
	v_cmpx_gt_u32_e32 8, v8
; %bb.470:                              ;   in Loop: Header=BB285_15 Depth=1
	s_delay_alu instid0(VALU_DEP_3) | instskip(NEXT) | instid1(VALU_DEP_1)
	v_clz_i32_u32_e32 v0, v0
	v_min_u32_e32 v0, 32, v0
	s_delay_alu instid0(VALU_DEP_1) | instskip(SKIP_1) | instid1(VALU_DEP_2)
	v_subrev_nc_u32_e32 v1, 28, v0
	v_sub_nc_u32_e32 v6, 29, v0
	v_lshlrev_b64_e32 v[8:9], v1, v[4:5]
	s_delay_alu instid0(VALU_DEP_1)
	v_and_b32_e32 v0, 7, v8
; %bb.471:                              ;   in Loop: Header=BB285_15 Depth=1
	s_or_b32 exec_lo, exec_lo, s19
	v_lshlrev_b32_e32 v1, 8, v4
	v_lshl_add_u32 v6, v6, 10, 0x2000
	s_delay_alu instid0(VALU_DEP_3) | instskip(NEXT) | instid1(VALU_DEP_3)
	v_lshlrev_b32_e32 v0, 7, v0
	v_and_b32_e32 v1, 0x8000, v1
	s_delay_alu instid0(VALU_DEP_3) | instskip(NEXT) | instid1(VALU_DEP_1)
	v_and_b32_e32 v6, 0xfc00, v6
	v_or3_b32 v0, v1, v6, v0
	scratch_store_b32 off, v0, s32 offset:360 ; 4-byte Folded Spill
.LBB285_472:                            ;   in Loop: Header=BB285_15 Depth=1
	s_wait_xcnt 0x0
	s_or_b32 exec_lo, exec_lo, s18
.LBB285_473:                            ;   in Loop: Header=BB285_15 Depth=1
	s_delay_alu instid0(SALU_CYCLE_1)
	s_or_b32 exec_lo, exec_lo, s17
.LBB285_474:                            ;   in Loop: Header=BB285_15 Depth=1
	s_delay_alu instid0(SALU_CYCLE_1)
	s_or_b32 exec_lo, exec_lo, s16
	v_mov_b32_e32 v0, 0
	v_lshrrev_b16 v24, 8, v4
	s_mov_b32 s16, exec_lo
	scratch_store_b32 off, v0, s32 offset:368 ; 4-byte Folded Spill
	s_wait_xcnt 0x0
	v_mov_b32_e32 v0, 0
	scratch_store_b32 off, v0, s32 offset:372 ; 4-byte Folded Spill
	s_wait_xcnt 0x0
	v_cmpx_ne_u16_e32 0, v24
	s_cbranch_execz .LBB285_482
; %bb.475:                              ;   in Loop: Header=BB285_15 Depth=1
	v_bfrev_b32_e32 v0, 1
	s_mov_b32 s17, exec_lo
	scratch_store_b32 off, v0, s32 offset:372 ; 4-byte Folded Spill
	s_wait_xcnt 0x0
	v_cmpx_ne_u16_e32 0x80, v24
	s_cbranch_execz .LBB285_481
; %bb.476:                              ;   in Loop: Header=BB285_15 Depth=1
	v_and_b32_e32 v0, 0xffff, v24
	v_mov_b32_e32 v1, 0x7c010000
	s_mov_b32 s18, exec_lo
	s_delay_alu instid0(VALU_DEP_2)
	v_and_b32_e32 v9, 0x7f, v0
	scratch_store_b32 off, v1, s32 offset:372 ; 4-byte Folded Spill
	s_wait_xcnt 0x0
	v_cmpx_ne_u32_e32 0x7f, v9
	s_cbranch_execz .LBB285_480
; %bb.477:                              ;   in Loop: Header=BB285_15 Depth=1
	v_dual_lshrrev_b32 v8, 3, v9 :: v_dual_bitop2_b32 v6, 7, v0 bitop3:0x40
	s_mov_b32 s19, exec_lo
	v_cmpx_gt_u32_e32 8, v9
; %bb.478:                              ;   in Loop: Header=BB285_15 Depth=1
	s_delay_alu instid0(VALU_DEP_2) | instskip(NEXT) | instid1(VALU_DEP_1)
	v_clz_i32_u32_e32 v1, v6
	v_min_u32_e32 v1, 32, v1
	s_delay_alu instid0(VALU_DEP_1) | instskip(NEXT) | instid1(VALU_DEP_1)
	v_subrev_nc_u32_e32 v6, 28, v1
	v_lshlrev_b64_e32 v[16:17], v6, v[24:25]
	s_delay_alu instid0(VALU_DEP_1)
	v_dual_sub_nc_u32 v8, 29, v1 :: v_dual_bitop2_b32 v6, 7, v16 bitop3:0x40
; %bb.479:                              ;   in Loop: Header=BB285_15 Depth=1
	s_or_b32 exec_lo, exec_lo, s19
	v_lshlrev_b32_e32 v0, 8, v0
	s_delay_alu instid0(VALU_DEP_2) | instskip(NEXT) | instid1(VALU_DEP_1)
	v_lshl_add_u32 v1, v8, 10, 0x2000
	v_and_or_b32 v0, 0x8000, v0, v1
	v_lshlrev_b32_e32 v1, 23, v6
	s_delay_alu instid0(VALU_DEP_1)
	v_lshl_or_b32 v0, v0, 16, v1
	scratch_store_b32 off, v0, s32 offset:372 ; 4-byte Folded Spill
.LBB285_480:                            ;   in Loop: Header=BB285_15 Depth=1
	s_wait_xcnt 0x0
	s_or_b32 exec_lo, exec_lo, s18
.LBB285_481:                            ;   in Loop: Header=BB285_15 Depth=1
	s_delay_alu instid0(SALU_CYCLE_1)
	s_or_b32 exec_lo, exec_lo, s17
.LBB285_482:                            ;   in Loop: Header=BB285_15 Depth=1
	s_delay_alu instid0(SALU_CYCLE_1) | instskip(SKIP_2) | instid1(VALU_DEP_1)
	s_or_b32 exec_lo, exec_lo, s16
	v_lshrrev_b32_e32 v0, 16, v4
	s_mov_b32 s16, exec_lo
	v_and_b32_e32 v6, 0xff, v0
	s_delay_alu instid0(VALU_DEP_1)
	v_cmpx_ne_u16_e32 0, v6
	s_cbranch_execz .LBB285_490
; %bb.483:                              ;   in Loop: Header=BB285_15 Depth=1
	v_mov_b32_e32 v1, 0x8000
	s_mov_b32 s17, exec_lo
	scratch_store_b32 off, v1, s32 offset:368 ; 4-byte Folded Spill
	s_wait_xcnt 0x0
	v_cmpx_ne_u16_e32 0x80, v6
	s_cbranch_execz .LBB285_489
; %bb.484:                              ;   in Loop: Header=BB285_15 Depth=1
	v_bfe_u32 v9, v4, 16, 7
	v_mov_b32_e32 v1, 0x7c01
	s_mov_b32 s18, exec_lo
	scratch_store_b32 off, v1, s32 offset:368 ; 4-byte Folded Spill
	s_wait_xcnt 0x0
	v_cmpx_ne_u32_e32 0x7f, v9
	s_cbranch_execz .LBB285_488
; %bb.485:                              ;   in Loop: Header=BB285_15 Depth=1
	v_dual_lshrrev_b32 v8, 3, v9 :: v_dual_bitop2_b32 v6, 7, v0 bitop3:0x40
	s_mov_b32 s19, exec_lo
	v_cmpx_gt_u32_e32 8, v9
; %bb.486:                              ;   in Loop: Header=BB285_15 Depth=1
	s_delay_alu instid0(VALU_DEP_2) | instskip(NEXT) | instid1(VALU_DEP_1)
	v_clz_i32_u32_e32 v1, v6
	v_min_u32_e32 v1, 32, v1
	s_delay_alu instid0(VALU_DEP_1) | instskip(NEXT) | instid1(VALU_DEP_1)
	v_subrev_nc_u32_e32 v6, 28, v1
	v_lshlrev_b64_e32 v[16:17], v6, v[0:1]
	s_delay_alu instid0(VALU_DEP_1)
	v_dual_sub_nc_u32 v8, 29, v1 :: v_dual_bitop2_b32 v6, 7, v16 bitop3:0x40
; %bb.487:                              ;   in Loop: Header=BB285_15 Depth=1
	s_or_b32 exec_lo, exec_lo, s19
	s_delay_alu instid0(VALU_DEP_1) | instskip(NEXT) | instid1(VALU_DEP_2)
	v_dual_lshlrev_b32 v0, 8, v0 :: v_dual_lshlrev_b32 v6, 7, v6
	v_lshl_add_u32 v1, v8, 10, 0x2000
	s_delay_alu instid0(VALU_DEP_2) | instskip(NEXT) | instid1(VALU_DEP_2)
	v_and_b32_e32 v0, 0x8000, v0
	v_and_b32_e32 v1, 0xfc00, v1
	s_delay_alu instid0(VALU_DEP_1)
	v_or3_b32 v0, v0, v1, v6
	scratch_store_b32 off, v0, s32 offset:368 ; 4-byte Folded Spill
.LBB285_488:                            ;   in Loop: Header=BB285_15 Depth=1
	s_wait_xcnt 0x0
	s_or_b32 exec_lo, exec_lo, s18
.LBB285_489:                            ;   in Loop: Header=BB285_15 Depth=1
	s_delay_alu instid0(SALU_CYCLE_1)
	s_or_b32 exec_lo, exec_lo, s17
.LBB285_490:                            ;   in Loop: Header=BB285_15 Depth=1
	s_delay_alu instid0(SALU_CYCLE_1)
	s_or_b32 exec_lo, exec_lo, s16
	v_mov_b32_e32 v0, 0
	s_mov_b32 s16, exec_lo
	scratch_store_b32 off, v0, s32 offset:376 ; 4-byte Folded Spill
	s_wait_xcnt 0x0
	v_mov_b32_e32 v0, 0
	scratch_store_b32 off, v0, s32 offset:380 ; 4-byte Folded Spill
	s_wait_xcnt 0x0
	v_cmpx_lt_u32_e32 0xffffff, v4
	s_cbranch_execz .LBB285_498
; %bb.491:                              ;   in Loop: Header=BB285_15 Depth=1
	v_lshrrev_b32_e32 v24, 24, v4
	v_bfrev_b32_e32 v0, 1
	s_mov_b32 s17, exec_lo
	scratch_store_b32 off, v0, s32 offset:380 ; 4-byte Folded Spill
	s_wait_xcnt 0x0
	v_cmpx_ne_u32_e32 0x80, v24
	s_cbranch_execz .LBB285_497
; %bb.492:                              ;   in Loop: Header=BB285_15 Depth=1
	v_and_b32_e32 v8, 0x7f, v24
	v_mov_b32_e32 v0, 0x7c010000
	s_mov_b32 s18, exec_lo
	scratch_store_b32 off, v0, s32 offset:380 ; 4-byte Folded Spill
	s_wait_xcnt 0x0
	v_cmpx_ne_u32_e32 0x7f, v8
	s_cbranch_execz .LBB285_496
; %bb.493:                              ;   in Loop: Header=BB285_15 Depth=1
	v_and_b32_e32 v0, 7, v24
	v_lshrrev_b32_e32 v6, 3, v8
	s_mov_b32 s19, exec_lo
	v_cmpx_gt_u32_e32 8, v8
; %bb.494:                              ;   in Loop: Header=BB285_15 Depth=1
	s_delay_alu instid0(VALU_DEP_3) | instskip(NEXT) | instid1(VALU_DEP_1)
	v_clz_i32_u32_e32 v0, v0
	v_min_u32_e32 v0, 32, v0
	s_delay_alu instid0(VALU_DEP_1) | instskip(SKIP_1) | instid1(VALU_DEP_2)
	v_subrev_nc_u32_e32 v1, 28, v0
	v_sub_nc_u32_e32 v6, 29, v0
	v_lshlrev_b64_e32 v[8:9], v1, v[24:25]
	s_delay_alu instid0(VALU_DEP_1)
	v_and_b32_e32 v0, 7, v8
; %bb.495:                              ;   in Loop: Header=BB285_15 Depth=1
	s_or_b32 exec_lo, exec_lo, s19
	v_lshlrev_b32_e32 v1, 8, v24
	v_lshl_add_u32 v6, v6, 10, 0x2000
	s_delay_alu instid0(VALU_DEP_3) | instskip(NEXT) | instid1(VALU_DEP_2)
	v_lshlrev_b32_e32 v0, 23, v0
	v_and_or_b32 v1, 0x8000, v1, v6
	s_delay_alu instid0(VALU_DEP_1)
	v_lshl_or_b32 v0, v1, 16, v0
	scratch_store_b32 off, v0, s32 offset:380 ; 4-byte Folded Spill
.LBB285_496:                            ;   in Loop: Header=BB285_15 Depth=1
	s_wait_xcnt 0x0
	s_or_b32 exec_lo, exec_lo, s18
.LBB285_497:                            ;   in Loop: Header=BB285_15 Depth=1
	s_delay_alu instid0(SALU_CYCLE_1)
	s_or_b32 exec_lo, exec_lo, s17
.LBB285_498:                            ;   in Loop: Header=BB285_15 Depth=1
	s_delay_alu instid0(SALU_CYCLE_1) | instskip(SKIP_3) | instid1(VALU_DEP_2)
	s_or_b32 exec_lo, exec_lo, s16
	v_and_b32_e32 v0, 0xff, v5
	v_mov_b32_e32 v24, v5
	s_mov_b32 s16, exec_lo
	v_cmpx_ne_u16_e32 0, v0
	s_cbranch_execz .LBB285_506
; %bb.499:                              ;   in Loop: Header=BB285_15 Depth=1
	v_cmp_ne_u16_e64 s1, 0x80, v0
	v_mov_b32_e32 v0, 0x8000
	scratch_store_b32 off, v0, s32 offset:376 ; 4-byte Folded Spill
	s_wait_xcnt 0x0
	s_and_saveexec_b32 s17, s1
	s_cbranch_execz .LBB285_505
; %bb.500:                              ;   in Loop: Header=BB285_15 Depth=1
	v_and_b32_e32 v8, 0x7f, v5
	v_mov_b32_e32 v0, 0x7c01
	s_mov_b32 s18, exec_lo
	scratch_store_b32 off, v0, s32 offset:376 ; 4-byte Folded Spill
	s_wait_xcnt 0x0
	v_cmpx_ne_u32_e32 0x7f, v8
	s_cbranch_execz .LBB285_504
; %bb.501:                              ;   in Loop: Header=BB285_15 Depth=1
	v_dual_lshrrev_b32 v6, 3, v8 :: v_dual_bitop2_b32 v0, 7, v5 bitop3:0x40
	s_mov_b32 s19, exec_lo
	v_cmpx_gt_u32_e32 8, v8
; %bb.502:                              ;   in Loop: Header=BB285_15 Depth=1
	s_delay_alu instid0(VALU_DEP_2) | instskip(NEXT) | instid1(VALU_DEP_1)
	v_clz_i32_u32_e32 v0, v0
	v_min_u32_e32 v0, 32, v0
	s_delay_alu instid0(VALU_DEP_1) | instskip(SKIP_1) | instid1(VALU_DEP_2)
	v_subrev_nc_u32_e32 v1, 28, v0
	v_sub_nc_u32_e32 v6, 29, v0
	v_lshlrev_b64_e32 v[8:9], v1, v[24:25]
	s_delay_alu instid0(VALU_DEP_1)
	v_and_b32_e32 v0, 7, v8
; %bb.503:                              ;   in Loop: Header=BB285_15 Depth=1
	s_or_b32 exec_lo, exec_lo, s19
	s_delay_alu instid0(VALU_DEP_1) | instskip(SKIP_1) | instid1(VALU_DEP_2)
	v_dual_lshlrev_b32 v1, 8, v5 :: v_dual_lshlrev_b32 v0, 7, v0
	v_lshl_add_u32 v6, v6, 10, 0x2000
	v_and_b32_e32 v1, 0x8000, v1
	s_delay_alu instid0(VALU_DEP_2) | instskip(NEXT) | instid1(VALU_DEP_1)
	v_and_b32_e32 v6, 0xfc00, v6
	v_or3_b32 v0, v1, v6, v0
	scratch_store_b32 off, v0, s32 offset:376 ; 4-byte Folded Spill
.LBB285_504:                            ;   in Loop: Header=BB285_15 Depth=1
	s_wait_xcnt 0x0
	s_or_b32 exec_lo, exec_lo, s18
.LBB285_505:                            ;   in Loop: Header=BB285_15 Depth=1
	s_delay_alu instid0(SALU_CYCLE_1)
	s_or_b32 exec_lo, exec_lo, s17
.LBB285_506:                            ;   in Loop: Header=BB285_15 Depth=1
	s_delay_alu instid0(SALU_CYCLE_1)
	s_or_b32 exec_lo, exec_lo, s16
	v_mov_b32_e32 v0, 0
	v_lshrrev_b16 v24, 8, v24
	s_mov_b32 s16, exec_lo
	scratch_store_b32 off, v0, s32 offset:384 ; 4-byte Folded Spill
	s_wait_xcnt 0x0
	v_mov_b32_e32 v0, 0
	scratch_store_b32 off, v0, s32 offset:388 ; 4-byte Folded Spill
	s_wait_xcnt 0x0
	v_cmpx_ne_u16_e32 0, v24
	s_cbranch_execz .LBB285_514
; %bb.507:                              ;   in Loop: Header=BB285_15 Depth=1
	v_bfrev_b32_e32 v0, 1
	s_mov_b32 s17, exec_lo
	scratch_store_b32 off, v0, s32 offset:388 ; 4-byte Folded Spill
	s_wait_xcnt 0x0
	v_cmpx_ne_u16_e32 0x80, v24
	s_cbranch_execz .LBB285_513
; %bb.508:                              ;   in Loop: Header=BB285_15 Depth=1
	v_and_b32_e32 v0, 0xffff, v24
	v_mov_b32_e32 v1, 0x7c010000
	s_mov_b32 s18, exec_lo
	s_delay_alu instid0(VALU_DEP_2)
	v_and_b32_e32 v9, 0x7f, v0
	scratch_store_b32 off, v1, s32 offset:388 ; 4-byte Folded Spill
	s_wait_xcnt 0x0
	v_cmpx_ne_u32_e32 0x7f, v9
	s_cbranch_execz .LBB285_512
; %bb.509:                              ;   in Loop: Header=BB285_15 Depth=1
	v_dual_lshrrev_b32 v8, 3, v9 :: v_dual_bitop2_b32 v6, 7, v0 bitop3:0x40
	s_mov_b32 s19, exec_lo
	v_cmpx_gt_u32_e32 8, v9
; %bb.510:                              ;   in Loop: Header=BB285_15 Depth=1
	s_delay_alu instid0(VALU_DEP_2) | instskip(NEXT) | instid1(VALU_DEP_1)
	v_clz_i32_u32_e32 v1, v6
	v_min_u32_e32 v1, 32, v1
	s_delay_alu instid0(VALU_DEP_1) | instskip(NEXT) | instid1(VALU_DEP_1)
	v_subrev_nc_u32_e32 v6, 28, v1
	v_lshlrev_b64_e32 v[16:17], v6, v[24:25]
	s_delay_alu instid0(VALU_DEP_1)
	v_dual_sub_nc_u32 v8, 29, v1 :: v_dual_bitop2_b32 v6, 7, v16 bitop3:0x40
; %bb.511:                              ;   in Loop: Header=BB285_15 Depth=1
	s_or_b32 exec_lo, exec_lo, s19
	v_lshlrev_b32_e32 v0, 8, v0
	s_delay_alu instid0(VALU_DEP_2) | instskip(NEXT) | instid1(VALU_DEP_1)
	v_lshl_add_u32 v1, v8, 10, 0x2000
	v_and_or_b32 v0, 0x8000, v0, v1
	v_lshlrev_b32_e32 v1, 23, v6
	s_delay_alu instid0(VALU_DEP_1)
	v_lshl_or_b32 v0, v0, 16, v1
	scratch_store_b32 off, v0, s32 offset:388 ; 4-byte Folded Spill
.LBB285_512:                            ;   in Loop: Header=BB285_15 Depth=1
	s_wait_xcnt 0x0
	s_or_b32 exec_lo, exec_lo, s18
.LBB285_513:                            ;   in Loop: Header=BB285_15 Depth=1
	s_delay_alu instid0(SALU_CYCLE_1)
	s_or_b32 exec_lo, exec_lo, s17
.LBB285_514:                            ;   in Loop: Header=BB285_15 Depth=1
	s_delay_alu instid0(SALU_CYCLE_1) | instskip(SKIP_2) | instid1(VALU_DEP_1)
	s_or_b32 exec_lo, exec_lo, s16
	v_lshrrev_b32_e32 v0, 16, v5
	s_mov_b32 s16, exec_lo
	v_and_b32_e32 v6, 0xff, v0
	s_delay_alu instid0(VALU_DEP_1)
	v_cmpx_ne_u16_e32 0, v6
	s_cbranch_execz .LBB285_522
; %bb.515:                              ;   in Loop: Header=BB285_15 Depth=1
	v_mov_b32_e32 v1, 0x8000
	s_mov_b32 s17, exec_lo
	scratch_store_b32 off, v1, s32 offset:384 ; 4-byte Folded Spill
	s_wait_xcnt 0x0
	v_cmpx_ne_u16_e32 0x80, v6
	s_cbranch_execz .LBB285_521
; %bb.516:                              ;   in Loop: Header=BB285_15 Depth=1
	v_bfe_u32 v9, v5, 16, 7
	v_mov_b32_e32 v1, 0x7c01
	s_mov_b32 s18, exec_lo
	scratch_store_b32 off, v1, s32 offset:384 ; 4-byte Folded Spill
	s_wait_xcnt 0x0
	v_cmpx_ne_u32_e32 0x7f, v9
	s_cbranch_execz .LBB285_520
; %bb.517:                              ;   in Loop: Header=BB285_15 Depth=1
	v_dual_lshrrev_b32 v8, 3, v9 :: v_dual_bitop2_b32 v6, 7, v0 bitop3:0x40
	s_mov_b32 s19, exec_lo
	v_cmpx_gt_u32_e32 8, v9
; %bb.518:                              ;   in Loop: Header=BB285_15 Depth=1
	s_delay_alu instid0(VALU_DEP_2) | instskip(NEXT) | instid1(VALU_DEP_1)
	v_clz_i32_u32_e32 v1, v6
	v_min_u32_e32 v1, 32, v1
	s_delay_alu instid0(VALU_DEP_1) | instskip(NEXT) | instid1(VALU_DEP_1)
	v_subrev_nc_u32_e32 v6, 28, v1
	v_lshlrev_b64_e32 v[16:17], v6, v[0:1]
	s_delay_alu instid0(VALU_DEP_1)
	v_dual_sub_nc_u32 v8, 29, v1 :: v_dual_bitop2_b32 v6, 7, v16 bitop3:0x40
; %bb.519:                              ;   in Loop: Header=BB285_15 Depth=1
	s_or_b32 exec_lo, exec_lo, s19
	s_delay_alu instid0(VALU_DEP_1) | instskip(NEXT) | instid1(VALU_DEP_2)
	v_dual_lshlrev_b32 v0, 8, v0 :: v_dual_lshlrev_b32 v6, 7, v6
	v_lshl_add_u32 v1, v8, 10, 0x2000
	s_delay_alu instid0(VALU_DEP_2) | instskip(NEXT) | instid1(VALU_DEP_2)
	v_and_b32_e32 v0, 0x8000, v0
	v_and_b32_e32 v1, 0xfc00, v1
	s_delay_alu instid0(VALU_DEP_1)
	v_or3_b32 v0, v0, v1, v6
	scratch_store_b32 off, v0, s32 offset:384 ; 4-byte Folded Spill
.LBB285_520:                            ;   in Loop: Header=BB285_15 Depth=1
	s_wait_xcnt 0x0
	s_or_b32 exec_lo, exec_lo, s18
.LBB285_521:                            ;   in Loop: Header=BB285_15 Depth=1
	s_delay_alu instid0(SALU_CYCLE_1)
	s_or_b32 exec_lo, exec_lo, s17
.LBB285_522:                            ;   in Loop: Header=BB285_15 Depth=1
	s_delay_alu instid0(SALU_CYCLE_1)
	s_or_b32 exec_lo, exec_lo, s16
	v_mov_b32_e32 v0, 0
	s_mov_b32 s16, exec_lo
	scratch_store_b32 off, v0, s32 offset:392 ; 4-byte Folded Spill
	s_wait_xcnt 0x0
	v_mov_b32_e32 v0, 0
	scratch_store_b32 off, v0, s32 offset:396 ; 4-byte Folded Spill
	s_wait_xcnt 0x0
	v_cmpx_lt_u64_e64 s[8:9], v[4:5]
	s_cbranch_execz .LBB285_530
; %bb.523:                              ;   in Loop: Header=BB285_15 Depth=1
	v_lshrrev_b32_e32 v24, 24, v5
	v_bfrev_b32_e32 v0, 1
	s_mov_b32 s17, exec_lo
	scratch_store_b32 off, v0, s32 offset:396 ; 4-byte Folded Spill
	s_wait_xcnt 0x0
	v_cmpx_ne_u32_e32 0x80, v24
	s_cbranch_execz .LBB285_529
; %bb.524:                              ;   in Loop: Header=BB285_15 Depth=1
	v_and_b32_e32 v5, 0x7f, v24
	v_mov_b32_e32 v0, 0x7c010000
	s_mov_b32 s18, exec_lo
	scratch_store_b32 off, v0, s32 offset:396 ; 4-byte Folded Spill
	s_wait_xcnt 0x0
	v_cmpx_ne_u32_e32 0x7f, v5
	s_cbranch_execz .LBB285_528
; %bb.525:                              ;   in Loop: Header=BB285_15 Depth=1
	v_dual_lshrrev_b32 v4, 3, v5 :: v_dual_bitop2_b32 v0, 7, v24 bitop3:0x40
	s_mov_b32 s19, exec_lo
	v_cmpx_gt_u32_e32 8, v5
; %bb.526:                              ;   in Loop: Header=BB285_15 Depth=1
	s_delay_alu instid0(VALU_DEP_2) | instskip(NEXT) | instid1(VALU_DEP_1)
	v_clz_i32_u32_e32 v0, v0
	v_min_u32_e32 v0, 32, v0
	s_delay_alu instid0(VALU_DEP_1) | instskip(SKIP_1) | instid1(VALU_DEP_2)
	v_subrev_nc_u32_e32 v1, 28, v0
	v_sub_nc_u32_e32 v4, 29, v0
	v_lshlrev_b64_e32 v[8:9], v1, v[24:25]
	s_delay_alu instid0(VALU_DEP_1)
	v_and_b32_e32 v0, 7, v8
; %bb.527:                              ;   in Loop: Header=BB285_15 Depth=1
	s_or_b32 exec_lo, exec_lo, s19
	v_lshlrev_b32_e32 v1, 8, v24
	v_lshl_add_u32 v4, v4, 10, 0x2000
	s_delay_alu instid0(VALU_DEP_3) | instskip(NEXT) | instid1(VALU_DEP_2)
	v_lshlrev_b32_e32 v0, 23, v0
	v_and_or_b32 v1, 0x8000, v1, v4
	s_delay_alu instid0(VALU_DEP_1)
	v_lshl_or_b32 v0, v1, 16, v0
	scratch_store_b32 off, v0, s32 offset:396 ; 4-byte Folded Spill
.LBB285_528:                            ;   in Loop: Header=BB285_15 Depth=1
	s_wait_xcnt 0x0
	s_or_b32 exec_lo, exec_lo, s18
.LBB285_529:                            ;   in Loop: Header=BB285_15 Depth=1
	s_delay_alu instid0(SALU_CYCLE_1)
	s_or_b32 exec_lo, exec_lo, s17
.LBB285_530:                            ;   in Loop: Header=BB285_15 Depth=1
	s_delay_alu instid0(SALU_CYCLE_1)
	s_or_b32 exec_lo, exec_lo, s16
	flat_load_b64 v[4:5], v[2:3] offset:2048
	s_mov_b32 s16, exec_lo
	s_wait_loadcnt_dscnt 0x0
	v_and_b32_e32 v0, 0xff, v4
	s_wait_xcnt 0x0
	s_delay_alu instid0(VALU_DEP_1)
	v_cmpx_ne_u16_e32 0, v0
	s_cbranch_execz .LBB285_538
; %bb.531:                              ;   in Loop: Header=BB285_15 Depth=1
	v_cmp_ne_u16_e64 s1, 0x80, v0
	v_mov_b32_e32 v0, 0x8000
	scratch_store_b32 off, v0, s32 offset:392 ; 4-byte Folded Spill
	s_wait_xcnt 0x0
	s_and_saveexec_b32 s17, s1
	s_cbranch_execz .LBB285_537
; %bb.532:                              ;   in Loop: Header=BB285_15 Depth=1
	v_and_b32_e32 v8, 0x7f, v4
	v_mov_b32_e32 v0, 0x7c01
	s_mov_b32 s18, exec_lo
	scratch_store_b32 off, v0, s32 offset:392 ; 4-byte Folded Spill
	s_wait_xcnt 0x0
	v_cmpx_ne_u32_e32 0x7f, v8
	s_cbranch_execz .LBB285_536
; %bb.533:                              ;   in Loop: Header=BB285_15 Depth=1
	v_and_b32_e32 v0, 7, v4
	v_lshrrev_b32_e32 v6, 3, v8
	s_mov_b32 s19, exec_lo
	v_cmpx_gt_u32_e32 8, v8
; %bb.534:                              ;   in Loop: Header=BB285_15 Depth=1
	s_delay_alu instid0(VALU_DEP_3) | instskip(NEXT) | instid1(VALU_DEP_1)
	v_clz_i32_u32_e32 v0, v0
	v_min_u32_e32 v0, 32, v0
	s_delay_alu instid0(VALU_DEP_1) | instskip(SKIP_1) | instid1(VALU_DEP_2)
	v_subrev_nc_u32_e32 v1, 28, v0
	v_sub_nc_u32_e32 v6, 29, v0
	v_lshlrev_b64_e32 v[8:9], v1, v[4:5]
	s_delay_alu instid0(VALU_DEP_1)
	v_and_b32_e32 v0, 7, v8
; %bb.535:                              ;   in Loop: Header=BB285_15 Depth=1
	s_or_b32 exec_lo, exec_lo, s19
	v_lshlrev_b32_e32 v1, 8, v4
	v_lshl_add_u32 v6, v6, 10, 0x2000
	s_delay_alu instid0(VALU_DEP_3) | instskip(NEXT) | instid1(VALU_DEP_3)
	v_lshlrev_b32_e32 v0, 7, v0
	v_and_b32_e32 v1, 0x8000, v1
	s_delay_alu instid0(VALU_DEP_3) | instskip(NEXT) | instid1(VALU_DEP_1)
	v_and_b32_e32 v6, 0xfc00, v6
	v_or3_b32 v0, v1, v6, v0
	scratch_store_b32 off, v0, s32 offset:392 ; 4-byte Folded Spill
.LBB285_536:                            ;   in Loop: Header=BB285_15 Depth=1
	s_wait_xcnt 0x0
	s_or_b32 exec_lo, exec_lo, s18
.LBB285_537:                            ;   in Loop: Header=BB285_15 Depth=1
	s_delay_alu instid0(SALU_CYCLE_1)
	s_or_b32 exec_lo, exec_lo, s17
.LBB285_538:                            ;   in Loop: Header=BB285_15 Depth=1
	s_delay_alu instid0(SALU_CYCLE_1)
	s_or_b32 exec_lo, exec_lo, s16
	v_mov_b32_e32 v0, 0
	v_lshrrev_b16 v24, 8, v4
	s_mov_b32 s16, exec_lo
	scratch_store_b32 off, v0, s32 offset:400 ; 4-byte Folded Spill
	s_wait_xcnt 0x0
	v_mov_b32_e32 v0, 0
	scratch_store_b32 off, v0, s32 offset:404 ; 4-byte Folded Spill
	s_wait_xcnt 0x0
	v_cmpx_ne_u16_e32 0, v24
	s_cbranch_execz .LBB285_546
; %bb.539:                              ;   in Loop: Header=BB285_15 Depth=1
	v_bfrev_b32_e32 v0, 1
	s_mov_b32 s17, exec_lo
	scratch_store_b32 off, v0, s32 offset:404 ; 4-byte Folded Spill
	s_wait_xcnt 0x0
	v_cmpx_ne_u16_e32 0x80, v24
	s_cbranch_execz .LBB285_545
; %bb.540:                              ;   in Loop: Header=BB285_15 Depth=1
	v_and_b32_e32 v0, 0xffff, v24
	v_mov_b32_e32 v1, 0x7c010000
	s_mov_b32 s18, exec_lo
	s_delay_alu instid0(VALU_DEP_2)
	v_and_b32_e32 v9, 0x7f, v0
	scratch_store_b32 off, v1, s32 offset:404 ; 4-byte Folded Spill
	s_wait_xcnt 0x0
	v_cmpx_ne_u32_e32 0x7f, v9
	s_cbranch_execz .LBB285_544
; %bb.541:                              ;   in Loop: Header=BB285_15 Depth=1
	v_dual_lshrrev_b32 v8, 3, v9 :: v_dual_bitop2_b32 v6, 7, v0 bitop3:0x40
	s_mov_b32 s19, exec_lo
	v_cmpx_gt_u32_e32 8, v9
; %bb.542:                              ;   in Loop: Header=BB285_15 Depth=1
	s_delay_alu instid0(VALU_DEP_2) | instskip(NEXT) | instid1(VALU_DEP_1)
	v_clz_i32_u32_e32 v1, v6
	v_min_u32_e32 v1, 32, v1
	s_delay_alu instid0(VALU_DEP_1) | instskip(NEXT) | instid1(VALU_DEP_1)
	v_subrev_nc_u32_e32 v6, 28, v1
	v_lshlrev_b64_e32 v[16:17], v6, v[24:25]
	s_delay_alu instid0(VALU_DEP_1)
	v_dual_sub_nc_u32 v8, 29, v1 :: v_dual_bitop2_b32 v6, 7, v16 bitop3:0x40
; %bb.543:                              ;   in Loop: Header=BB285_15 Depth=1
	s_or_b32 exec_lo, exec_lo, s19
	v_lshlrev_b32_e32 v0, 8, v0
	s_delay_alu instid0(VALU_DEP_2) | instskip(NEXT) | instid1(VALU_DEP_1)
	v_lshl_add_u32 v1, v8, 10, 0x2000
	v_and_or_b32 v0, 0x8000, v0, v1
	v_lshlrev_b32_e32 v1, 23, v6
	s_delay_alu instid0(VALU_DEP_1)
	v_lshl_or_b32 v0, v0, 16, v1
	scratch_store_b32 off, v0, s32 offset:404 ; 4-byte Folded Spill
.LBB285_544:                            ;   in Loop: Header=BB285_15 Depth=1
	s_wait_xcnt 0x0
	s_or_b32 exec_lo, exec_lo, s18
.LBB285_545:                            ;   in Loop: Header=BB285_15 Depth=1
	s_delay_alu instid0(SALU_CYCLE_1)
	s_or_b32 exec_lo, exec_lo, s17
.LBB285_546:                            ;   in Loop: Header=BB285_15 Depth=1
	s_delay_alu instid0(SALU_CYCLE_1) | instskip(SKIP_2) | instid1(VALU_DEP_1)
	s_or_b32 exec_lo, exec_lo, s16
	v_lshrrev_b32_e32 v0, 16, v4
	s_mov_b32 s16, exec_lo
	v_and_b32_e32 v6, 0xff, v0
	s_delay_alu instid0(VALU_DEP_1)
	v_cmpx_ne_u16_e32 0, v6
	s_cbranch_execz .LBB285_554
; %bb.547:                              ;   in Loop: Header=BB285_15 Depth=1
	v_mov_b32_e32 v1, 0x8000
	s_mov_b32 s17, exec_lo
	scratch_store_b32 off, v1, s32 offset:400 ; 4-byte Folded Spill
	s_wait_xcnt 0x0
	v_cmpx_ne_u16_e32 0x80, v6
	s_cbranch_execz .LBB285_553
; %bb.548:                              ;   in Loop: Header=BB285_15 Depth=1
	v_bfe_u32 v9, v4, 16, 7
	v_mov_b32_e32 v1, 0x7c01
	s_mov_b32 s18, exec_lo
	scratch_store_b32 off, v1, s32 offset:400 ; 4-byte Folded Spill
	s_wait_xcnt 0x0
	v_cmpx_ne_u32_e32 0x7f, v9
	s_cbranch_execz .LBB285_552
; %bb.549:                              ;   in Loop: Header=BB285_15 Depth=1
	v_dual_lshrrev_b32 v8, 3, v9 :: v_dual_bitop2_b32 v6, 7, v0 bitop3:0x40
	s_mov_b32 s19, exec_lo
	v_cmpx_gt_u32_e32 8, v9
; %bb.550:                              ;   in Loop: Header=BB285_15 Depth=1
	s_delay_alu instid0(VALU_DEP_2) | instskip(NEXT) | instid1(VALU_DEP_1)
	v_clz_i32_u32_e32 v1, v6
	v_min_u32_e32 v1, 32, v1
	s_delay_alu instid0(VALU_DEP_1) | instskip(NEXT) | instid1(VALU_DEP_1)
	v_subrev_nc_u32_e32 v6, 28, v1
	v_lshlrev_b64_e32 v[16:17], v6, v[0:1]
	s_delay_alu instid0(VALU_DEP_1)
	v_dual_sub_nc_u32 v8, 29, v1 :: v_dual_bitop2_b32 v6, 7, v16 bitop3:0x40
; %bb.551:                              ;   in Loop: Header=BB285_15 Depth=1
	s_or_b32 exec_lo, exec_lo, s19
	s_delay_alu instid0(VALU_DEP_1) | instskip(NEXT) | instid1(VALU_DEP_2)
	v_dual_lshlrev_b32 v0, 8, v0 :: v_dual_lshlrev_b32 v6, 7, v6
	v_lshl_add_u32 v1, v8, 10, 0x2000
	s_delay_alu instid0(VALU_DEP_2) | instskip(NEXT) | instid1(VALU_DEP_2)
	v_and_b32_e32 v0, 0x8000, v0
	v_and_b32_e32 v1, 0xfc00, v1
	s_delay_alu instid0(VALU_DEP_1)
	v_or3_b32 v0, v0, v1, v6
	scratch_store_b32 off, v0, s32 offset:400 ; 4-byte Folded Spill
.LBB285_552:                            ;   in Loop: Header=BB285_15 Depth=1
	s_wait_xcnt 0x0
	s_or_b32 exec_lo, exec_lo, s18
.LBB285_553:                            ;   in Loop: Header=BB285_15 Depth=1
	s_delay_alu instid0(SALU_CYCLE_1)
	s_or_b32 exec_lo, exec_lo, s17
.LBB285_554:                            ;   in Loop: Header=BB285_15 Depth=1
	s_delay_alu instid0(SALU_CYCLE_1)
	s_or_b32 exec_lo, exec_lo, s16
	v_mov_b32_e32 v0, 0
	s_mov_b32 s16, exec_lo
	scratch_store_b32 off, v0, s32 offset:408 ; 4-byte Folded Spill
	s_wait_xcnt 0x0
	v_mov_b32_e32 v0, 0
	scratch_store_b32 off, v0, s32 offset:412 ; 4-byte Folded Spill
	s_wait_xcnt 0x0
	v_cmpx_lt_u32_e32 0xffffff, v4
	s_cbranch_execz .LBB285_562
; %bb.555:                              ;   in Loop: Header=BB285_15 Depth=1
	v_lshrrev_b32_e32 v24, 24, v4
	v_bfrev_b32_e32 v0, 1
	s_mov_b32 s17, exec_lo
	scratch_store_b32 off, v0, s32 offset:412 ; 4-byte Folded Spill
	s_wait_xcnt 0x0
	v_cmpx_ne_u32_e32 0x80, v24
	s_cbranch_execz .LBB285_561
; %bb.556:                              ;   in Loop: Header=BB285_15 Depth=1
	v_and_b32_e32 v8, 0x7f, v24
	v_mov_b32_e32 v0, 0x7c010000
	s_mov_b32 s18, exec_lo
	scratch_store_b32 off, v0, s32 offset:412 ; 4-byte Folded Spill
	s_wait_xcnt 0x0
	v_cmpx_ne_u32_e32 0x7f, v8
	s_cbranch_execz .LBB285_560
; %bb.557:                              ;   in Loop: Header=BB285_15 Depth=1
	v_and_b32_e32 v0, 7, v24
	v_lshrrev_b32_e32 v6, 3, v8
	s_mov_b32 s19, exec_lo
	v_cmpx_gt_u32_e32 8, v8
; %bb.558:                              ;   in Loop: Header=BB285_15 Depth=1
	s_delay_alu instid0(VALU_DEP_3) | instskip(NEXT) | instid1(VALU_DEP_1)
	v_clz_i32_u32_e32 v0, v0
	v_min_u32_e32 v0, 32, v0
	s_delay_alu instid0(VALU_DEP_1) | instskip(SKIP_1) | instid1(VALU_DEP_2)
	v_subrev_nc_u32_e32 v1, 28, v0
	v_sub_nc_u32_e32 v6, 29, v0
	v_lshlrev_b64_e32 v[8:9], v1, v[24:25]
	s_delay_alu instid0(VALU_DEP_1)
	v_and_b32_e32 v0, 7, v8
; %bb.559:                              ;   in Loop: Header=BB285_15 Depth=1
	s_or_b32 exec_lo, exec_lo, s19
	v_lshlrev_b32_e32 v1, 8, v24
	v_lshl_add_u32 v6, v6, 10, 0x2000
	s_delay_alu instid0(VALU_DEP_3) | instskip(NEXT) | instid1(VALU_DEP_2)
	v_lshlrev_b32_e32 v0, 23, v0
	v_and_or_b32 v1, 0x8000, v1, v6
	s_delay_alu instid0(VALU_DEP_1)
	v_lshl_or_b32 v0, v1, 16, v0
	scratch_store_b32 off, v0, s32 offset:412 ; 4-byte Folded Spill
.LBB285_560:                            ;   in Loop: Header=BB285_15 Depth=1
	s_wait_xcnt 0x0
	s_or_b32 exec_lo, exec_lo, s18
.LBB285_561:                            ;   in Loop: Header=BB285_15 Depth=1
	s_delay_alu instid0(SALU_CYCLE_1)
	s_or_b32 exec_lo, exec_lo, s17
.LBB285_562:                            ;   in Loop: Header=BB285_15 Depth=1
	s_delay_alu instid0(SALU_CYCLE_1) | instskip(SKIP_3) | instid1(VALU_DEP_2)
	s_or_b32 exec_lo, exec_lo, s16
	v_and_b32_e32 v0, 0xff, v5
	v_mov_b32_e32 v24, v5
	s_mov_b32 s16, exec_lo
	v_cmpx_ne_u16_e32 0, v0
	s_cbranch_execz .LBB285_570
; %bb.563:                              ;   in Loop: Header=BB285_15 Depth=1
	v_cmp_ne_u16_e64 s1, 0x80, v0
	v_mov_b32_e32 v0, 0x8000
	scratch_store_b32 off, v0, s32 offset:408 ; 4-byte Folded Spill
	s_wait_xcnt 0x0
	s_and_saveexec_b32 s17, s1
	s_cbranch_execz .LBB285_569
; %bb.564:                              ;   in Loop: Header=BB285_15 Depth=1
	v_and_b32_e32 v8, 0x7f, v5
	v_mov_b32_e32 v0, 0x7c01
	s_mov_b32 s18, exec_lo
	scratch_store_b32 off, v0, s32 offset:408 ; 4-byte Folded Spill
	s_wait_xcnt 0x0
	v_cmpx_ne_u32_e32 0x7f, v8
	s_cbranch_execz .LBB285_568
; %bb.565:                              ;   in Loop: Header=BB285_15 Depth=1
	v_dual_lshrrev_b32 v6, 3, v8 :: v_dual_bitop2_b32 v0, 7, v5 bitop3:0x40
	s_mov_b32 s19, exec_lo
	v_cmpx_gt_u32_e32 8, v8
; %bb.566:                              ;   in Loop: Header=BB285_15 Depth=1
	s_delay_alu instid0(VALU_DEP_2) | instskip(NEXT) | instid1(VALU_DEP_1)
	v_clz_i32_u32_e32 v0, v0
	v_min_u32_e32 v0, 32, v0
	s_delay_alu instid0(VALU_DEP_1) | instskip(SKIP_1) | instid1(VALU_DEP_2)
	v_subrev_nc_u32_e32 v1, 28, v0
	v_sub_nc_u32_e32 v6, 29, v0
	v_lshlrev_b64_e32 v[8:9], v1, v[24:25]
	s_delay_alu instid0(VALU_DEP_1)
	v_and_b32_e32 v0, 7, v8
; %bb.567:                              ;   in Loop: Header=BB285_15 Depth=1
	s_or_b32 exec_lo, exec_lo, s19
	s_delay_alu instid0(VALU_DEP_1) | instskip(SKIP_1) | instid1(VALU_DEP_2)
	v_dual_lshlrev_b32 v1, 8, v5 :: v_dual_lshlrev_b32 v0, 7, v0
	v_lshl_add_u32 v6, v6, 10, 0x2000
	v_and_b32_e32 v1, 0x8000, v1
	s_delay_alu instid0(VALU_DEP_2) | instskip(NEXT) | instid1(VALU_DEP_1)
	v_and_b32_e32 v6, 0xfc00, v6
	v_or3_b32 v0, v1, v6, v0
	scratch_store_b32 off, v0, s32 offset:408 ; 4-byte Folded Spill
.LBB285_568:                            ;   in Loop: Header=BB285_15 Depth=1
	s_wait_xcnt 0x0
	s_or_b32 exec_lo, exec_lo, s18
.LBB285_569:                            ;   in Loop: Header=BB285_15 Depth=1
	s_delay_alu instid0(SALU_CYCLE_1)
	s_or_b32 exec_lo, exec_lo, s17
.LBB285_570:                            ;   in Loop: Header=BB285_15 Depth=1
	s_delay_alu instid0(SALU_CYCLE_1)
	s_or_b32 exec_lo, exec_lo, s16
	v_mov_b32_e32 v0, 0
	v_lshrrev_b16 v24, 8, v24
	s_mov_b32 s16, exec_lo
	scratch_store_b32 off, v0, s32 offset:416 ; 4-byte Folded Spill
	s_wait_xcnt 0x0
	v_mov_b32_e32 v0, 0
	scratch_store_b32 off, v0, s32 offset:420 ; 4-byte Folded Spill
	s_wait_xcnt 0x0
	v_cmpx_ne_u16_e32 0, v24
	s_cbranch_execz .LBB285_578
; %bb.571:                              ;   in Loop: Header=BB285_15 Depth=1
	v_bfrev_b32_e32 v0, 1
	s_mov_b32 s17, exec_lo
	scratch_store_b32 off, v0, s32 offset:420 ; 4-byte Folded Spill
	s_wait_xcnt 0x0
	v_cmpx_ne_u16_e32 0x80, v24
	s_cbranch_execz .LBB285_577
; %bb.572:                              ;   in Loop: Header=BB285_15 Depth=1
	v_and_b32_e32 v0, 0xffff, v24
	v_mov_b32_e32 v1, 0x7c010000
	s_mov_b32 s18, exec_lo
	s_delay_alu instid0(VALU_DEP_2)
	v_and_b32_e32 v9, 0x7f, v0
	scratch_store_b32 off, v1, s32 offset:420 ; 4-byte Folded Spill
	s_wait_xcnt 0x0
	v_cmpx_ne_u32_e32 0x7f, v9
	s_cbranch_execz .LBB285_576
; %bb.573:                              ;   in Loop: Header=BB285_15 Depth=1
	v_dual_lshrrev_b32 v8, 3, v9 :: v_dual_bitop2_b32 v6, 7, v0 bitop3:0x40
	s_mov_b32 s19, exec_lo
	v_cmpx_gt_u32_e32 8, v9
; %bb.574:                              ;   in Loop: Header=BB285_15 Depth=1
	s_delay_alu instid0(VALU_DEP_2) | instskip(NEXT) | instid1(VALU_DEP_1)
	v_clz_i32_u32_e32 v1, v6
	v_min_u32_e32 v1, 32, v1
	s_delay_alu instid0(VALU_DEP_1) | instskip(NEXT) | instid1(VALU_DEP_1)
	v_subrev_nc_u32_e32 v6, 28, v1
	v_lshlrev_b64_e32 v[16:17], v6, v[24:25]
	s_delay_alu instid0(VALU_DEP_1)
	v_dual_sub_nc_u32 v8, 29, v1 :: v_dual_bitop2_b32 v6, 7, v16 bitop3:0x40
; %bb.575:                              ;   in Loop: Header=BB285_15 Depth=1
	s_or_b32 exec_lo, exec_lo, s19
	v_lshlrev_b32_e32 v0, 8, v0
	s_delay_alu instid0(VALU_DEP_2) | instskip(NEXT) | instid1(VALU_DEP_1)
	v_lshl_add_u32 v1, v8, 10, 0x2000
	v_and_or_b32 v0, 0x8000, v0, v1
	v_lshlrev_b32_e32 v1, 23, v6
	s_delay_alu instid0(VALU_DEP_1)
	v_lshl_or_b32 v0, v0, 16, v1
	scratch_store_b32 off, v0, s32 offset:420 ; 4-byte Folded Spill
.LBB285_576:                            ;   in Loop: Header=BB285_15 Depth=1
	s_wait_xcnt 0x0
	s_or_b32 exec_lo, exec_lo, s18
.LBB285_577:                            ;   in Loop: Header=BB285_15 Depth=1
	s_delay_alu instid0(SALU_CYCLE_1)
	s_or_b32 exec_lo, exec_lo, s17
.LBB285_578:                            ;   in Loop: Header=BB285_15 Depth=1
	s_delay_alu instid0(SALU_CYCLE_1) | instskip(SKIP_2) | instid1(VALU_DEP_1)
	s_or_b32 exec_lo, exec_lo, s16
	v_lshrrev_b32_e32 v0, 16, v5
	s_mov_b32 s16, exec_lo
	v_and_b32_e32 v6, 0xff, v0
	s_delay_alu instid0(VALU_DEP_1)
	v_cmpx_ne_u16_e32 0, v6
	s_cbranch_execz .LBB285_586
; %bb.579:                              ;   in Loop: Header=BB285_15 Depth=1
	v_mov_b32_e32 v1, 0x8000
	s_mov_b32 s17, exec_lo
	scratch_store_b32 off, v1, s32 offset:416 ; 4-byte Folded Spill
	s_wait_xcnt 0x0
	v_cmpx_ne_u16_e32 0x80, v6
	s_cbranch_execz .LBB285_585
; %bb.580:                              ;   in Loop: Header=BB285_15 Depth=1
	v_bfe_u32 v9, v5, 16, 7
	v_mov_b32_e32 v1, 0x7c01
	s_mov_b32 s18, exec_lo
	scratch_store_b32 off, v1, s32 offset:416 ; 4-byte Folded Spill
	s_wait_xcnt 0x0
	v_cmpx_ne_u32_e32 0x7f, v9
	s_cbranch_execz .LBB285_584
; %bb.581:                              ;   in Loop: Header=BB285_15 Depth=1
	v_dual_lshrrev_b32 v8, 3, v9 :: v_dual_bitop2_b32 v6, 7, v0 bitop3:0x40
	s_mov_b32 s19, exec_lo
	v_cmpx_gt_u32_e32 8, v9
; %bb.582:                              ;   in Loop: Header=BB285_15 Depth=1
	s_delay_alu instid0(VALU_DEP_2) | instskip(NEXT) | instid1(VALU_DEP_1)
	v_clz_i32_u32_e32 v1, v6
	v_min_u32_e32 v1, 32, v1
	s_delay_alu instid0(VALU_DEP_1) | instskip(NEXT) | instid1(VALU_DEP_1)
	v_subrev_nc_u32_e32 v6, 28, v1
	v_lshlrev_b64_e32 v[16:17], v6, v[0:1]
	s_delay_alu instid0(VALU_DEP_1)
	v_dual_sub_nc_u32 v8, 29, v1 :: v_dual_bitop2_b32 v6, 7, v16 bitop3:0x40
; %bb.583:                              ;   in Loop: Header=BB285_15 Depth=1
	s_or_b32 exec_lo, exec_lo, s19
	s_delay_alu instid0(VALU_DEP_1) | instskip(NEXT) | instid1(VALU_DEP_2)
	v_dual_lshlrev_b32 v0, 8, v0 :: v_dual_lshlrev_b32 v6, 7, v6
	v_lshl_add_u32 v1, v8, 10, 0x2000
	s_delay_alu instid0(VALU_DEP_2) | instskip(NEXT) | instid1(VALU_DEP_2)
	v_and_b32_e32 v0, 0x8000, v0
	v_and_b32_e32 v1, 0xfc00, v1
	s_delay_alu instid0(VALU_DEP_1)
	v_or3_b32 v0, v0, v1, v6
	scratch_store_b32 off, v0, s32 offset:416 ; 4-byte Folded Spill
.LBB285_584:                            ;   in Loop: Header=BB285_15 Depth=1
	s_wait_xcnt 0x0
	s_or_b32 exec_lo, exec_lo, s18
.LBB285_585:                            ;   in Loop: Header=BB285_15 Depth=1
	s_delay_alu instid0(SALU_CYCLE_1)
	s_or_b32 exec_lo, exec_lo, s17
.LBB285_586:                            ;   in Loop: Header=BB285_15 Depth=1
	s_delay_alu instid0(SALU_CYCLE_1)
	s_or_b32 exec_lo, exec_lo, s16
	v_dual_mov_b32 v0, 0 :: v_dual_mov_b32 v93, 0
	s_mov_b32 s16, exec_lo
	scratch_store_b32 off, v0, s32 offset:424 ; 4-byte Folded Spill
	s_wait_xcnt 0x0
	v_cmpx_lt_u64_e64 s[8:9], v[4:5]
	s_cbranch_execz .LBB285_594
; %bb.587:                              ;   in Loop: Header=BB285_15 Depth=1
	v_lshrrev_b32_e32 v24, 24, v5
	v_bfrev_b32_e32 v93, 1
	s_mov_b32 s17, exec_lo
	s_delay_alu instid0(VALU_DEP_2)
	v_cmpx_ne_u32_e32 0x80, v24
	s_cbranch_execz .LBB285_593
; %bb.588:                              ;   in Loop: Header=BB285_15 Depth=1
	v_and_b32_e32 v5, 0x7f, v24
	v_mov_b32_e32 v93, 0x7c010000
	s_mov_b32 s18, exec_lo
	s_delay_alu instid0(VALU_DEP_2)
	v_cmpx_ne_u32_e32 0x7f, v5
	s_cbranch_execz .LBB285_592
; %bb.589:                              ;   in Loop: Header=BB285_15 Depth=1
	v_dual_lshrrev_b32 v4, 3, v5 :: v_dual_bitop2_b32 v0, 7, v24 bitop3:0x40
	s_mov_b32 s19, exec_lo
	v_cmpx_gt_u32_e32 8, v5
; %bb.590:                              ;   in Loop: Header=BB285_15 Depth=1
	s_delay_alu instid0(VALU_DEP_2) | instskip(NEXT) | instid1(VALU_DEP_1)
	v_clz_i32_u32_e32 v0, v0
	v_min_u32_e32 v0, 32, v0
	s_delay_alu instid0(VALU_DEP_1) | instskip(SKIP_1) | instid1(VALU_DEP_2)
	v_subrev_nc_u32_e32 v1, 28, v0
	v_sub_nc_u32_e32 v4, 29, v0
	v_lshlrev_b64_e32 v[8:9], v1, v[24:25]
	s_delay_alu instid0(VALU_DEP_1)
	v_and_b32_e32 v0, 7, v8
; %bb.591:                              ;   in Loop: Header=BB285_15 Depth=1
	s_or_b32 exec_lo, exec_lo, s19
	v_lshlrev_b32_e32 v1, 8, v24
	v_lshl_add_u32 v4, v4, 10, 0x2000
	s_delay_alu instid0(VALU_DEP_3) | instskip(NEXT) | instid1(VALU_DEP_2)
	v_lshlrev_b32_e32 v0, 23, v0
	v_and_or_b32 v1, 0x8000, v1, v4
	s_delay_alu instid0(VALU_DEP_1)
	v_lshl_or_b32 v93, v1, 16, v0
.LBB285_592:                            ;   in Loop: Header=BB285_15 Depth=1
	s_or_b32 exec_lo, exec_lo, s18
.LBB285_593:                            ;   in Loop: Header=BB285_15 Depth=1
	s_delay_alu instid0(SALU_CYCLE_1)
	s_or_b32 exec_lo, exec_lo, s17
.LBB285_594:                            ;   in Loop: Header=BB285_15 Depth=1
	s_delay_alu instid0(SALU_CYCLE_1)
	s_or_b32 exec_lo, exec_lo, s16
	flat_load_b64 v[4:5], v[2:3] offset:2056
	s_mov_b32 s16, exec_lo
	s_wait_loadcnt_dscnt 0x0
	v_and_b32_e32 v0, 0xff, v4
	s_wait_xcnt 0x0
	s_delay_alu instid0(VALU_DEP_1)
	v_cmpx_ne_u16_e32 0, v0
	s_cbranch_execz .LBB285_602
; %bb.595:                              ;   in Loop: Header=BB285_15 Depth=1
	v_cmp_ne_u16_e64 s1, 0x80, v0
	v_mov_b32_e32 v0, 0x8000
	scratch_store_b32 off, v0, s32 offset:424 ; 4-byte Folded Spill
	s_wait_xcnt 0x0
	s_and_saveexec_b32 s17, s1
	s_cbranch_execz .LBB285_601
; %bb.596:                              ;   in Loop: Header=BB285_15 Depth=1
	v_and_b32_e32 v8, 0x7f, v4
	v_mov_b32_e32 v0, 0x7c01
	s_mov_b32 s18, exec_lo
	scratch_store_b32 off, v0, s32 offset:424 ; 4-byte Folded Spill
	s_wait_xcnt 0x0
	v_cmpx_ne_u32_e32 0x7f, v8
	s_cbranch_execz .LBB285_600
; %bb.597:                              ;   in Loop: Header=BB285_15 Depth=1
	v_and_b32_e32 v0, 7, v4
	v_lshrrev_b32_e32 v6, 3, v8
	s_mov_b32 s19, exec_lo
	v_cmpx_gt_u32_e32 8, v8
; %bb.598:                              ;   in Loop: Header=BB285_15 Depth=1
	s_delay_alu instid0(VALU_DEP_3) | instskip(NEXT) | instid1(VALU_DEP_1)
	v_clz_i32_u32_e32 v0, v0
	v_min_u32_e32 v0, 32, v0
	s_delay_alu instid0(VALU_DEP_1) | instskip(SKIP_1) | instid1(VALU_DEP_2)
	v_subrev_nc_u32_e32 v1, 28, v0
	v_sub_nc_u32_e32 v6, 29, v0
	v_lshlrev_b64_e32 v[8:9], v1, v[4:5]
	s_delay_alu instid0(VALU_DEP_1)
	v_and_b32_e32 v0, 7, v8
; %bb.599:                              ;   in Loop: Header=BB285_15 Depth=1
	s_or_b32 exec_lo, exec_lo, s19
	v_lshlrev_b32_e32 v1, 8, v4
	v_lshl_add_u32 v6, v6, 10, 0x2000
	s_delay_alu instid0(VALU_DEP_3) | instskip(NEXT) | instid1(VALU_DEP_3)
	v_lshlrev_b32_e32 v0, 7, v0
	v_and_b32_e32 v1, 0x8000, v1
	s_delay_alu instid0(VALU_DEP_3) | instskip(NEXT) | instid1(VALU_DEP_1)
	v_and_b32_e32 v6, 0xfc00, v6
	v_or3_b32 v0, v1, v6, v0
	scratch_store_b32 off, v0, s32 offset:424 ; 4-byte Folded Spill
.LBB285_600:                            ;   in Loop: Header=BB285_15 Depth=1
	s_wait_xcnt 0x0
	s_or_b32 exec_lo, exec_lo, s18
.LBB285_601:                            ;   in Loop: Header=BB285_15 Depth=1
	s_delay_alu instid0(SALU_CYCLE_1)
	s_or_b32 exec_lo, exec_lo, s17
.LBB285_602:                            ;   in Loop: Header=BB285_15 Depth=1
	s_delay_alu instid0(SALU_CYCLE_1)
	s_or_b32 exec_lo, exec_lo, s16
	v_lshrrev_b16 v24, 8, v4
	v_dual_mov_b32 v0, 0 :: v_dual_mov_b32 v109, 0
	s_mov_b32 s16, exec_lo
	scratch_store_b32 off, v0, s32 offset:428 ; 4-byte Folded Spill
	s_wait_xcnt 0x0
	v_cmpx_ne_u16_e32 0, v24
	s_cbranch_execz .LBB285_610
; %bb.603:                              ;   in Loop: Header=BB285_15 Depth=1
	v_bfrev_b32_e32 v109, 1
	s_mov_b32 s17, exec_lo
	v_cmpx_ne_u16_e32 0x80, v24
	s_cbranch_execz .LBB285_609
; %bb.604:                              ;   in Loop: Header=BB285_15 Depth=1
	v_and_b32_e32 v0, 0xffff, v24
	v_mov_b32_e32 v109, 0x7c010000
	s_mov_b32 s18, exec_lo
	s_delay_alu instid0(VALU_DEP_2) | instskip(NEXT) | instid1(VALU_DEP_1)
	v_and_b32_e32 v9, 0x7f, v0
	v_cmpx_ne_u32_e32 0x7f, v9
	s_cbranch_execz .LBB285_608
; %bb.605:                              ;   in Loop: Header=BB285_15 Depth=1
	v_dual_lshrrev_b32 v8, 3, v9 :: v_dual_bitop2_b32 v6, 7, v0 bitop3:0x40
	s_mov_b32 s19, exec_lo
	v_cmpx_gt_u32_e32 8, v9
; %bb.606:                              ;   in Loop: Header=BB285_15 Depth=1
	s_delay_alu instid0(VALU_DEP_2) | instskip(NEXT) | instid1(VALU_DEP_1)
	v_clz_i32_u32_e32 v1, v6
	v_min_u32_e32 v1, 32, v1
	s_delay_alu instid0(VALU_DEP_1) | instskip(NEXT) | instid1(VALU_DEP_1)
	v_subrev_nc_u32_e32 v6, 28, v1
	v_lshlrev_b64_e32 v[16:17], v6, v[24:25]
	s_delay_alu instid0(VALU_DEP_1)
	v_dual_sub_nc_u32 v8, 29, v1 :: v_dual_bitop2_b32 v6, 7, v16 bitop3:0x40
; %bb.607:                              ;   in Loop: Header=BB285_15 Depth=1
	s_or_b32 exec_lo, exec_lo, s19
	v_lshlrev_b32_e32 v0, 8, v0
	s_delay_alu instid0(VALU_DEP_2) | instskip(NEXT) | instid1(VALU_DEP_1)
	v_lshl_add_u32 v1, v8, 10, 0x2000
	v_and_or_b32 v0, 0x8000, v0, v1
	v_lshlrev_b32_e32 v1, 23, v6
	s_delay_alu instid0(VALU_DEP_1)
	v_lshl_or_b32 v109, v0, 16, v1
.LBB285_608:                            ;   in Loop: Header=BB285_15 Depth=1
	s_or_b32 exec_lo, exec_lo, s18
.LBB285_609:                            ;   in Loop: Header=BB285_15 Depth=1
	s_delay_alu instid0(SALU_CYCLE_1)
	s_or_b32 exec_lo, exec_lo, s17
.LBB285_610:                            ;   in Loop: Header=BB285_15 Depth=1
	s_delay_alu instid0(SALU_CYCLE_1) | instskip(SKIP_2) | instid1(VALU_DEP_1)
	s_or_b32 exec_lo, exec_lo, s16
	v_lshrrev_b32_e32 v0, 16, v4
	s_mov_b32 s16, exec_lo
	v_and_b32_e32 v6, 0xff, v0
	s_delay_alu instid0(VALU_DEP_1)
	v_cmpx_ne_u16_e32 0, v6
	s_cbranch_execz .LBB285_618
; %bb.611:                              ;   in Loop: Header=BB285_15 Depth=1
	v_mov_b32_e32 v1, 0x8000
	s_mov_b32 s17, exec_lo
	scratch_store_b32 off, v1, s32 offset:428 ; 4-byte Folded Spill
	s_wait_xcnt 0x0
	v_cmpx_ne_u16_e32 0x80, v6
	s_cbranch_execz .LBB285_617
; %bb.612:                              ;   in Loop: Header=BB285_15 Depth=1
	v_bfe_u32 v9, v4, 16, 7
	v_mov_b32_e32 v1, 0x7c01
	s_mov_b32 s18, exec_lo
	scratch_store_b32 off, v1, s32 offset:428 ; 4-byte Folded Spill
	s_wait_xcnt 0x0
	v_cmpx_ne_u32_e32 0x7f, v9
	s_cbranch_execz .LBB285_616
; %bb.613:                              ;   in Loop: Header=BB285_15 Depth=1
	v_dual_lshrrev_b32 v8, 3, v9 :: v_dual_bitop2_b32 v6, 7, v0 bitop3:0x40
	s_mov_b32 s19, exec_lo
	v_cmpx_gt_u32_e32 8, v9
; %bb.614:                              ;   in Loop: Header=BB285_15 Depth=1
	s_delay_alu instid0(VALU_DEP_2) | instskip(NEXT) | instid1(VALU_DEP_1)
	v_clz_i32_u32_e32 v1, v6
	v_min_u32_e32 v1, 32, v1
	s_delay_alu instid0(VALU_DEP_1) | instskip(NEXT) | instid1(VALU_DEP_1)
	v_subrev_nc_u32_e32 v6, 28, v1
	v_lshlrev_b64_e32 v[16:17], v6, v[0:1]
	s_delay_alu instid0(VALU_DEP_1)
	v_dual_sub_nc_u32 v8, 29, v1 :: v_dual_bitop2_b32 v6, 7, v16 bitop3:0x40
; %bb.615:                              ;   in Loop: Header=BB285_15 Depth=1
	s_or_b32 exec_lo, exec_lo, s19
	s_delay_alu instid0(VALU_DEP_1) | instskip(NEXT) | instid1(VALU_DEP_2)
	v_dual_lshlrev_b32 v0, 8, v0 :: v_dual_lshlrev_b32 v6, 7, v6
	v_lshl_add_u32 v1, v8, 10, 0x2000
	s_delay_alu instid0(VALU_DEP_2) | instskip(NEXT) | instid1(VALU_DEP_2)
	v_and_b32_e32 v0, 0x8000, v0
	v_and_b32_e32 v1, 0xfc00, v1
	s_delay_alu instid0(VALU_DEP_1)
	v_or3_b32 v0, v0, v1, v6
	scratch_store_b32 off, v0, s32 offset:428 ; 4-byte Folded Spill
.LBB285_616:                            ;   in Loop: Header=BB285_15 Depth=1
	s_wait_xcnt 0x0
	s_or_b32 exec_lo, exec_lo, s18
.LBB285_617:                            ;   in Loop: Header=BB285_15 Depth=1
	s_delay_alu instid0(SALU_CYCLE_1)
	s_or_b32 exec_lo, exec_lo, s17
.LBB285_618:                            ;   in Loop: Header=BB285_15 Depth=1
	s_delay_alu instid0(SALU_CYCLE_1)
	s_or_b32 exec_lo, exec_lo, s16
	v_dual_mov_b32 v0, 0 :: v_dual_mov_b32 v91, 0
	s_mov_b32 s16, exec_lo
	scratch_store_b32 off, v0, s32 offset:432 ; 4-byte Folded Spill
	s_wait_xcnt 0x0
	v_cmpx_lt_u32_e32 0xffffff, v4
	s_cbranch_execz .LBB285_626
; %bb.619:                              ;   in Loop: Header=BB285_15 Depth=1
	v_lshrrev_b32_e32 v24, 24, v4
	v_bfrev_b32_e32 v91, 1
	s_mov_b32 s17, exec_lo
	s_delay_alu instid0(VALU_DEP_2)
	v_cmpx_ne_u32_e32 0x80, v24
	s_cbranch_execz .LBB285_625
; %bb.620:                              ;   in Loop: Header=BB285_15 Depth=1
	v_and_b32_e32 v8, 0x7f, v24
	v_mov_b32_e32 v91, 0x7c010000
	s_mov_b32 s18, exec_lo
	s_delay_alu instid0(VALU_DEP_2)
	v_cmpx_ne_u32_e32 0x7f, v8
	s_cbranch_execz .LBB285_624
; %bb.621:                              ;   in Loop: Header=BB285_15 Depth=1
	v_and_b32_e32 v0, 7, v24
	v_lshrrev_b32_e32 v6, 3, v8
	s_mov_b32 s19, exec_lo
	v_cmpx_gt_u32_e32 8, v8
; %bb.622:                              ;   in Loop: Header=BB285_15 Depth=1
	s_delay_alu instid0(VALU_DEP_3) | instskip(NEXT) | instid1(VALU_DEP_1)
	v_clz_i32_u32_e32 v0, v0
	v_min_u32_e32 v0, 32, v0
	s_delay_alu instid0(VALU_DEP_1) | instskip(SKIP_1) | instid1(VALU_DEP_2)
	v_subrev_nc_u32_e32 v1, 28, v0
	v_sub_nc_u32_e32 v6, 29, v0
	v_lshlrev_b64_e32 v[8:9], v1, v[24:25]
	s_delay_alu instid0(VALU_DEP_1)
	v_and_b32_e32 v0, 7, v8
; %bb.623:                              ;   in Loop: Header=BB285_15 Depth=1
	s_or_b32 exec_lo, exec_lo, s19
	v_lshlrev_b32_e32 v1, 8, v24
	v_lshl_add_u32 v6, v6, 10, 0x2000
	s_delay_alu instid0(VALU_DEP_3) | instskip(NEXT) | instid1(VALU_DEP_2)
	v_lshlrev_b32_e32 v0, 23, v0
	v_and_or_b32 v1, 0x8000, v1, v6
	s_delay_alu instid0(VALU_DEP_1)
	v_lshl_or_b32 v91, v1, 16, v0
.LBB285_624:                            ;   in Loop: Header=BB285_15 Depth=1
	s_or_b32 exec_lo, exec_lo, s18
.LBB285_625:                            ;   in Loop: Header=BB285_15 Depth=1
	s_delay_alu instid0(SALU_CYCLE_1)
	s_or_b32 exec_lo, exec_lo, s17
.LBB285_626:                            ;   in Loop: Header=BB285_15 Depth=1
	s_delay_alu instid0(SALU_CYCLE_1) | instskip(SKIP_3) | instid1(VALU_DEP_2)
	s_or_b32 exec_lo, exec_lo, s16
	v_and_b32_e32 v0, 0xff, v5
	v_mov_b32_e32 v24, v5
	s_mov_b32 s16, exec_lo
	v_cmpx_ne_u16_e32 0, v0
	s_cbranch_execz .LBB285_634
; %bb.627:                              ;   in Loop: Header=BB285_15 Depth=1
	v_cmp_ne_u16_e64 s1, 0x80, v0
	v_mov_b32_e32 v0, 0x8000
	scratch_store_b32 off, v0, s32 offset:432 ; 4-byte Folded Spill
	s_wait_xcnt 0x0
	s_and_saveexec_b32 s17, s1
	s_cbranch_execz .LBB285_633
; %bb.628:                              ;   in Loop: Header=BB285_15 Depth=1
	v_and_b32_e32 v8, 0x7f, v5
	v_mov_b32_e32 v0, 0x7c01
	s_mov_b32 s18, exec_lo
	scratch_store_b32 off, v0, s32 offset:432 ; 4-byte Folded Spill
	s_wait_xcnt 0x0
	v_cmpx_ne_u32_e32 0x7f, v8
	s_cbranch_execz .LBB285_632
; %bb.629:                              ;   in Loop: Header=BB285_15 Depth=1
	v_dual_lshrrev_b32 v6, 3, v8 :: v_dual_bitop2_b32 v0, 7, v5 bitop3:0x40
	s_mov_b32 s19, exec_lo
	v_cmpx_gt_u32_e32 8, v8
; %bb.630:                              ;   in Loop: Header=BB285_15 Depth=1
	s_delay_alu instid0(VALU_DEP_2) | instskip(NEXT) | instid1(VALU_DEP_1)
	v_clz_i32_u32_e32 v0, v0
	v_min_u32_e32 v0, 32, v0
	s_delay_alu instid0(VALU_DEP_1) | instskip(SKIP_1) | instid1(VALU_DEP_2)
	v_subrev_nc_u32_e32 v1, 28, v0
	v_sub_nc_u32_e32 v6, 29, v0
	v_lshlrev_b64_e32 v[8:9], v1, v[24:25]
	s_delay_alu instid0(VALU_DEP_1)
	v_and_b32_e32 v0, 7, v8
; %bb.631:                              ;   in Loop: Header=BB285_15 Depth=1
	s_or_b32 exec_lo, exec_lo, s19
	s_delay_alu instid0(VALU_DEP_1) | instskip(SKIP_1) | instid1(VALU_DEP_2)
	v_dual_lshlrev_b32 v1, 8, v5 :: v_dual_lshlrev_b32 v0, 7, v0
	v_lshl_add_u32 v6, v6, 10, 0x2000
	v_and_b32_e32 v1, 0x8000, v1
	s_delay_alu instid0(VALU_DEP_2) | instskip(NEXT) | instid1(VALU_DEP_1)
	v_and_b32_e32 v6, 0xfc00, v6
	v_or3_b32 v0, v1, v6, v0
	scratch_store_b32 off, v0, s32 offset:432 ; 4-byte Folded Spill
.LBB285_632:                            ;   in Loop: Header=BB285_15 Depth=1
	s_wait_xcnt 0x0
	s_or_b32 exec_lo, exec_lo, s18
.LBB285_633:                            ;   in Loop: Header=BB285_15 Depth=1
	s_delay_alu instid0(SALU_CYCLE_1)
	s_or_b32 exec_lo, exec_lo, s17
.LBB285_634:                            ;   in Loop: Header=BB285_15 Depth=1
	s_delay_alu instid0(SALU_CYCLE_1)
	s_or_b32 exec_lo, exec_lo, s16
	v_lshrrev_b16 v24, 8, v24
	v_dual_mov_b32 v0, 0 :: v_dual_mov_b32 v42, 0
	s_mov_b32 s16, exec_lo
	scratch_store_b32 off, v0, s32 offset:436 ; 4-byte Folded Spill
	s_wait_xcnt 0x0
	v_cmpx_ne_u16_e32 0, v24
	s_cbranch_execz .LBB285_642
; %bb.635:                              ;   in Loop: Header=BB285_15 Depth=1
	v_bfrev_b32_e32 v42, 1
	s_mov_b32 s17, exec_lo
	v_cmpx_ne_u16_e32 0x80, v24
	s_cbranch_execz .LBB285_641
; %bb.636:                              ;   in Loop: Header=BB285_15 Depth=1
	v_and_b32_e32 v0, 0xffff, v24
	v_mov_b32_e32 v42, 0x7c010000
	s_mov_b32 s18, exec_lo
	s_delay_alu instid0(VALU_DEP_2) | instskip(NEXT) | instid1(VALU_DEP_1)
	v_and_b32_e32 v9, 0x7f, v0
	v_cmpx_ne_u32_e32 0x7f, v9
	s_cbranch_execz .LBB285_640
; %bb.637:                              ;   in Loop: Header=BB285_15 Depth=1
	v_dual_lshrrev_b32 v8, 3, v9 :: v_dual_bitop2_b32 v6, 7, v0 bitop3:0x40
	s_mov_b32 s19, exec_lo
	v_cmpx_gt_u32_e32 8, v9
; %bb.638:                              ;   in Loop: Header=BB285_15 Depth=1
	s_delay_alu instid0(VALU_DEP_2) | instskip(NEXT) | instid1(VALU_DEP_1)
	v_clz_i32_u32_e32 v1, v6
	v_min_u32_e32 v1, 32, v1
	s_delay_alu instid0(VALU_DEP_1) | instskip(NEXT) | instid1(VALU_DEP_1)
	v_subrev_nc_u32_e32 v6, 28, v1
	v_lshlrev_b64_e32 v[16:17], v6, v[24:25]
	s_delay_alu instid0(VALU_DEP_1)
	v_dual_sub_nc_u32 v8, 29, v1 :: v_dual_bitop2_b32 v6, 7, v16 bitop3:0x40
; %bb.639:                              ;   in Loop: Header=BB285_15 Depth=1
	s_or_b32 exec_lo, exec_lo, s19
	v_lshlrev_b32_e32 v0, 8, v0
	s_delay_alu instid0(VALU_DEP_2) | instskip(NEXT) | instid1(VALU_DEP_1)
	v_lshl_add_u32 v1, v8, 10, 0x2000
	v_and_or_b32 v0, 0x8000, v0, v1
	v_lshlrev_b32_e32 v1, 23, v6
	s_delay_alu instid0(VALU_DEP_1)
	v_lshl_or_b32 v42, v0, 16, v1
.LBB285_640:                            ;   in Loop: Header=BB285_15 Depth=1
	s_or_b32 exec_lo, exec_lo, s18
.LBB285_641:                            ;   in Loop: Header=BB285_15 Depth=1
	s_delay_alu instid0(SALU_CYCLE_1)
	s_or_b32 exec_lo, exec_lo, s17
.LBB285_642:                            ;   in Loop: Header=BB285_15 Depth=1
	s_delay_alu instid0(SALU_CYCLE_1) | instskip(SKIP_2) | instid1(VALU_DEP_1)
	s_or_b32 exec_lo, exec_lo, s16
	v_lshrrev_b32_e32 v0, 16, v5
	s_mov_b32 s16, exec_lo
	v_and_b32_e32 v6, 0xff, v0
	s_delay_alu instid0(VALU_DEP_1)
	v_cmpx_ne_u16_e32 0, v6
	s_cbranch_execz .LBB285_650
; %bb.643:                              ;   in Loop: Header=BB285_15 Depth=1
	v_mov_b32_e32 v1, 0x8000
	s_mov_b32 s17, exec_lo
	scratch_store_b32 off, v1, s32 offset:436 ; 4-byte Folded Spill
	s_wait_xcnt 0x0
	v_cmpx_ne_u16_e32 0x80, v6
	s_cbranch_execz .LBB285_649
; %bb.644:                              ;   in Loop: Header=BB285_15 Depth=1
	v_bfe_u32 v9, v5, 16, 7
	v_mov_b32_e32 v1, 0x7c01
	s_mov_b32 s18, exec_lo
	scratch_store_b32 off, v1, s32 offset:436 ; 4-byte Folded Spill
	s_wait_xcnt 0x0
	v_cmpx_ne_u32_e32 0x7f, v9
	s_cbranch_execz .LBB285_648
; %bb.645:                              ;   in Loop: Header=BB285_15 Depth=1
	v_dual_lshrrev_b32 v8, 3, v9 :: v_dual_bitop2_b32 v6, 7, v0 bitop3:0x40
	s_mov_b32 s19, exec_lo
	v_cmpx_gt_u32_e32 8, v9
; %bb.646:                              ;   in Loop: Header=BB285_15 Depth=1
	s_delay_alu instid0(VALU_DEP_2) | instskip(NEXT) | instid1(VALU_DEP_1)
	v_clz_i32_u32_e32 v1, v6
	v_min_u32_e32 v1, 32, v1
	s_delay_alu instid0(VALU_DEP_1) | instskip(NEXT) | instid1(VALU_DEP_1)
	v_subrev_nc_u32_e32 v6, 28, v1
	v_lshlrev_b64_e32 v[16:17], v6, v[0:1]
	s_delay_alu instid0(VALU_DEP_1)
	v_dual_sub_nc_u32 v8, 29, v1 :: v_dual_bitop2_b32 v6, 7, v16 bitop3:0x40
; %bb.647:                              ;   in Loop: Header=BB285_15 Depth=1
	s_or_b32 exec_lo, exec_lo, s19
	s_delay_alu instid0(VALU_DEP_1) | instskip(NEXT) | instid1(VALU_DEP_2)
	v_dual_lshlrev_b32 v0, 8, v0 :: v_dual_lshlrev_b32 v6, 7, v6
	v_lshl_add_u32 v1, v8, 10, 0x2000
	s_delay_alu instid0(VALU_DEP_2) | instskip(NEXT) | instid1(VALU_DEP_2)
	v_and_b32_e32 v0, 0x8000, v0
	v_and_b32_e32 v1, 0xfc00, v1
	s_delay_alu instid0(VALU_DEP_1)
	v_or3_b32 v0, v0, v1, v6
	scratch_store_b32 off, v0, s32 offset:436 ; 4-byte Folded Spill
.LBB285_648:                            ;   in Loop: Header=BB285_15 Depth=1
	s_wait_xcnt 0x0
	s_or_b32 exec_lo, exec_lo, s18
.LBB285_649:                            ;   in Loop: Header=BB285_15 Depth=1
	s_delay_alu instid0(SALU_CYCLE_1)
	s_or_b32 exec_lo, exec_lo, s17
.LBB285_650:                            ;   in Loop: Header=BB285_15 Depth=1
	s_delay_alu instid0(SALU_CYCLE_1)
	s_or_b32 exec_lo, exec_lo, s16
	v_dual_mov_b32 v0, 0 :: v_dual_mov_b32 v119, 0
	s_mov_b32 s16, exec_lo
	scratch_store_b32 off, v0, s32 offset:440 ; 4-byte Folded Spill
	s_wait_xcnt 0x0
	v_cmpx_lt_u64_e64 s[8:9], v[4:5]
	s_cbranch_execz .LBB285_658
; %bb.651:                              ;   in Loop: Header=BB285_15 Depth=1
	v_lshrrev_b32_e32 v24, 24, v5
	v_bfrev_b32_e32 v119, 1
	s_mov_b32 s17, exec_lo
	s_delay_alu instid0(VALU_DEP_2)
	v_cmpx_ne_u32_e32 0x80, v24
	s_cbranch_execz .LBB285_657
; %bb.652:                              ;   in Loop: Header=BB285_15 Depth=1
	v_and_b32_e32 v5, 0x7f, v24
	v_mov_b32_e32 v119, 0x7c010000
	s_mov_b32 s18, exec_lo
	s_delay_alu instid0(VALU_DEP_2)
	v_cmpx_ne_u32_e32 0x7f, v5
	s_cbranch_execz .LBB285_656
; %bb.653:                              ;   in Loop: Header=BB285_15 Depth=1
	v_dual_lshrrev_b32 v4, 3, v5 :: v_dual_bitop2_b32 v0, 7, v24 bitop3:0x40
	s_mov_b32 s19, exec_lo
	v_cmpx_gt_u32_e32 8, v5
; %bb.654:                              ;   in Loop: Header=BB285_15 Depth=1
	s_delay_alu instid0(VALU_DEP_2) | instskip(NEXT) | instid1(VALU_DEP_1)
	v_clz_i32_u32_e32 v0, v0
	v_min_u32_e32 v0, 32, v0
	s_delay_alu instid0(VALU_DEP_1) | instskip(SKIP_1) | instid1(VALU_DEP_2)
	v_subrev_nc_u32_e32 v1, 28, v0
	v_sub_nc_u32_e32 v4, 29, v0
	v_lshlrev_b64_e32 v[8:9], v1, v[24:25]
	s_delay_alu instid0(VALU_DEP_1)
	v_and_b32_e32 v0, 7, v8
; %bb.655:                              ;   in Loop: Header=BB285_15 Depth=1
	s_or_b32 exec_lo, exec_lo, s19
	v_lshlrev_b32_e32 v1, 8, v24
	v_lshl_add_u32 v4, v4, 10, 0x2000
	s_delay_alu instid0(VALU_DEP_3) | instskip(NEXT) | instid1(VALU_DEP_2)
	v_lshlrev_b32_e32 v0, 23, v0
	v_and_or_b32 v1, 0x8000, v1, v4
	s_delay_alu instid0(VALU_DEP_1)
	v_lshl_or_b32 v119, v1, 16, v0
.LBB285_656:                            ;   in Loop: Header=BB285_15 Depth=1
	s_or_b32 exec_lo, exec_lo, s18
.LBB285_657:                            ;   in Loop: Header=BB285_15 Depth=1
	s_delay_alu instid0(SALU_CYCLE_1)
	s_or_b32 exec_lo, exec_lo, s17
.LBB285_658:                            ;   in Loop: Header=BB285_15 Depth=1
	s_delay_alu instid0(SALU_CYCLE_1)
	s_or_b32 exec_lo, exec_lo, s16
	flat_load_b64 v[4:5], v[2:3] offset:2560
	s_mov_b32 s16, exec_lo
	s_wait_loadcnt_dscnt 0x0
	v_and_b32_e32 v0, 0xff, v4
	s_wait_xcnt 0x0
	s_delay_alu instid0(VALU_DEP_1)
	v_cmpx_ne_u16_e32 0, v0
	s_cbranch_execz .LBB285_666
; %bb.659:                              ;   in Loop: Header=BB285_15 Depth=1
	v_cmp_ne_u16_e64 s1, 0x80, v0
	v_mov_b32_e32 v0, 0x8000
	scratch_store_b32 off, v0, s32 offset:440 ; 4-byte Folded Spill
	s_wait_xcnt 0x0
	s_and_saveexec_b32 s17, s1
	s_cbranch_execz .LBB285_665
; %bb.660:                              ;   in Loop: Header=BB285_15 Depth=1
	v_and_b32_e32 v8, 0x7f, v4
	v_mov_b32_e32 v0, 0x7c01
	s_mov_b32 s18, exec_lo
	scratch_store_b32 off, v0, s32 offset:440 ; 4-byte Folded Spill
	s_wait_xcnt 0x0
	v_cmpx_ne_u32_e32 0x7f, v8
	s_cbranch_execz .LBB285_664
; %bb.661:                              ;   in Loop: Header=BB285_15 Depth=1
	v_and_b32_e32 v0, 7, v4
	v_lshrrev_b32_e32 v6, 3, v8
	s_mov_b32 s19, exec_lo
	v_cmpx_gt_u32_e32 8, v8
; %bb.662:                              ;   in Loop: Header=BB285_15 Depth=1
	s_delay_alu instid0(VALU_DEP_3) | instskip(NEXT) | instid1(VALU_DEP_1)
	v_clz_i32_u32_e32 v0, v0
	v_min_u32_e32 v0, 32, v0
	s_delay_alu instid0(VALU_DEP_1) | instskip(SKIP_1) | instid1(VALU_DEP_2)
	v_subrev_nc_u32_e32 v1, 28, v0
	v_sub_nc_u32_e32 v6, 29, v0
	v_lshlrev_b64_e32 v[8:9], v1, v[4:5]
	s_delay_alu instid0(VALU_DEP_1)
	v_and_b32_e32 v0, 7, v8
; %bb.663:                              ;   in Loop: Header=BB285_15 Depth=1
	s_or_b32 exec_lo, exec_lo, s19
	v_lshlrev_b32_e32 v1, 8, v4
	v_lshl_add_u32 v6, v6, 10, 0x2000
	s_delay_alu instid0(VALU_DEP_3) | instskip(NEXT) | instid1(VALU_DEP_3)
	v_lshlrev_b32_e32 v0, 7, v0
	v_and_b32_e32 v1, 0x8000, v1
	s_delay_alu instid0(VALU_DEP_3) | instskip(NEXT) | instid1(VALU_DEP_1)
	v_and_b32_e32 v6, 0xfc00, v6
	v_or3_b32 v0, v1, v6, v0
	scratch_store_b32 off, v0, s32 offset:440 ; 4-byte Folded Spill
.LBB285_664:                            ;   in Loop: Header=BB285_15 Depth=1
	s_wait_xcnt 0x0
	s_or_b32 exec_lo, exec_lo, s18
.LBB285_665:                            ;   in Loop: Header=BB285_15 Depth=1
	s_delay_alu instid0(SALU_CYCLE_1)
	s_or_b32 exec_lo, exec_lo, s17
.LBB285_666:                            ;   in Loop: Header=BB285_15 Depth=1
	s_delay_alu instid0(SALU_CYCLE_1)
	s_or_b32 exec_lo, exec_lo, s16
	v_lshrrev_b16 v24, 8, v4
	v_dual_mov_b32 v0, 0 :: v_dual_mov_b32 v57, 0
	s_mov_b32 s16, exec_lo
	scratch_store_b32 off, v0, s32 offset:444 ; 4-byte Folded Spill
	s_wait_xcnt 0x0
	v_cmpx_ne_u16_e32 0, v24
	s_cbranch_execz .LBB285_674
; %bb.667:                              ;   in Loop: Header=BB285_15 Depth=1
	v_bfrev_b32_e32 v57, 1
	s_mov_b32 s17, exec_lo
	v_cmpx_ne_u16_e32 0x80, v24
	s_cbranch_execz .LBB285_673
; %bb.668:                              ;   in Loop: Header=BB285_15 Depth=1
	v_and_b32_e32 v0, 0xffff, v24
	v_mov_b32_e32 v57, 0x7c010000
	s_mov_b32 s18, exec_lo
	s_delay_alu instid0(VALU_DEP_2) | instskip(NEXT) | instid1(VALU_DEP_1)
	v_and_b32_e32 v9, 0x7f, v0
	v_cmpx_ne_u32_e32 0x7f, v9
	s_cbranch_execz .LBB285_672
; %bb.669:                              ;   in Loop: Header=BB285_15 Depth=1
	v_dual_lshrrev_b32 v8, 3, v9 :: v_dual_bitop2_b32 v6, 7, v0 bitop3:0x40
	s_mov_b32 s19, exec_lo
	v_cmpx_gt_u32_e32 8, v9
; %bb.670:                              ;   in Loop: Header=BB285_15 Depth=1
	s_delay_alu instid0(VALU_DEP_2) | instskip(NEXT) | instid1(VALU_DEP_1)
	v_clz_i32_u32_e32 v1, v6
	v_min_u32_e32 v1, 32, v1
	s_delay_alu instid0(VALU_DEP_1) | instskip(NEXT) | instid1(VALU_DEP_1)
	v_subrev_nc_u32_e32 v6, 28, v1
	v_lshlrev_b64_e32 v[16:17], v6, v[24:25]
	s_delay_alu instid0(VALU_DEP_1)
	v_dual_sub_nc_u32 v8, 29, v1 :: v_dual_bitop2_b32 v6, 7, v16 bitop3:0x40
; %bb.671:                              ;   in Loop: Header=BB285_15 Depth=1
	s_or_b32 exec_lo, exec_lo, s19
	v_lshlrev_b32_e32 v0, 8, v0
	s_delay_alu instid0(VALU_DEP_2) | instskip(NEXT) | instid1(VALU_DEP_1)
	v_lshl_add_u32 v1, v8, 10, 0x2000
	v_and_or_b32 v0, 0x8000, v0, v1
	v_lshlrev_b32_e32 v1, 23, v6
	s_delay_alu instid0(VALU_DEP_1)
	v_lshl_or_b32 v57, v0, 16, v1
.LBB285_672:                            ;   in Loop: Header=BB285_15 Depth=1
	s_or_b32 exec_lo, exec_lo, s18
.LBB285_673:                            ;   in Loop: Header=BB285_15 Depth=1
	s_delay_alu instid0(SALU_CYCLE_1)
	s_or_b32 exec_lo, exec_lo, s17
.LBB285_674:                            ;   in Loop: Header=BB285_15 Depth=1
	s_delay_alu instid0(SALU_CYCLE_1) | instskip(SKIP_2) | instid1(VALU_DEP_1)
	s_or_b32 exec_lo, exec_lo, s16
	v_lshrrev_b32_e32 v0, 16, v4
	s_mov_b32 s16, exec_lo
	v_and_b32_e32 v6, 0xff, v0
	s_delay_alu instid0(VALU_DEP_1)
	v_cmpx_ne_u16_e32 0, v6
	s_cbranch_execz .LBB285_682
; %bb.675:                              ;   in Loop: Header=BB285_15 Depth=1
	v_mov_b32_e32 v1, 0x8000
	s_mov_b32 s17, exec_lo
	scratch_store_b32 off, v1, s32 offset:444 ; 4-byte Folded Spill
	s_wait_xcnt 0x0
	v_cmpx_ne_u16_e32 0x80, v6
	s_cbranch_execz .LBB285_681
; %bb.676:                              ;   in Loop: Header=BB285_15 Depth=1
	v_bfe_u32 v9, v4, 16, 7
	v_mov_b32_e32 v1, 0x7c01
	s_mov_b32 s18, exec_lo
	scratch_store_b32 off, v1, s32 offset:444 ; 4-byte Folded Spill
	s_wait_xcnt 0x0
	v_cmpx_ne_u32_e32 0x7f, v9
	s_cbranch_execz .LBB285_680
; %bb.677:                              ;   in Loop: Header=BB285_15 Depth=1
	v_dual_lshrrev_b32 v8, 3, v9 :: v_dual_bitop2_b32 v6, 7, v0 bitop3:0x40
	s_mov_b32 s19, exec_lo
	v_cmpx_gt_u32_e32 8, v9
; %bb.678:                              ;   in Loop: Header=BB285_15 Depth=1
	s_delay_alu instid0(VALU_DEP_2) | instskip(NEXT) | instid1(VALU_DEP_1)
	v_clz_i32_u32_e32 v1, v6
	v_min_u32_e32 v1, 32, v1
	s_delay_alu instid0(VALU_DEP_1) | instskip(NEXT) | instid1(VALU_DEP_1)
	v_subrev_nc_u32_e32 v6, 28, v1
	v_lshlrev_b64_e32 v[16:17], v6, v[0:1]
	s_delay_alu instid0(VALU_DEP_1)
	v_dual_sub_nc_u32 v8, 29, v1 :: v_dual_bitop2_b32 v6, 7, v16 bitop3:0x40
; %bb.679:                              ;   in Loop: Header=BB285_15 Depth=1
	s_or_b32 exec_lo, exec_lo, s19
	s_delay_alu instid0(VALU_DEP_1) | instskip(NEXT) | instid1(VALU_DEP_2)
	v_dual_lshlrev_b32 v0, 8, v0 :: v_dual_lshlrev_b32 v6, 7, v6
	v_lshl_add_u32 v1, v8, 10, 0x2000
	s_delay_alu instid0(VALU_DEP_2) | instskip(NEXT) | instid1(VALU_DEP_2)
	v_and_b32_e32 v0, 0x8000, v0
	v_and_b32_e32 v1, 0xfc00, v1
	s_delay_alu instid0(VALU_DEP_1)
	v_or3_b32 v0, v0, v1, v6
	scratch_store_b32 off, v0, s32 offset:444 ; 4-byte Folded Spill
.LBB285_680:                            ;   in Loop: Header=BB285_15 Depth=1
	s_wait_xcnt 0x0
	s_or_b32 exec_lo, exec_lo, s18
.LBB285_681:                            ;   in Loop: Header=BB285_15 Depth=1
	s_delay_alu instid0(SALU_CYCLE_1)
	s_or_b32 exec_lo, exec_lo, s17
.LBB285_682:                            ;   in Loop: Header=BB285_15 Depth=1
	s_delay_alu instid0(SALU_CYCLE_1)
	s_or_b32 exec_lo, exec_lo, s16
	v_dual_mov_b32 v0, 0 :: v_dual_mov_b32 v43, 0
	s_mov_b32 s16, exec_lo
	scratch_store_b32 off, v0, s32 offset:448 ; 4-byte Folded Spill
	s_wait_xcnt 0x0
	v_cmpx_lt_u32_e32 0xffffff, v4
	s_cbranch_execz .LBB285_690
; %bb.683:                              ;   in Loop: Header=BB285_15 Depth=1
	v_lshrrev_b32_e32 v24, 24, v4
	v_bfrev_b32_e32 v43, 1
	s_mov_b32 s17, exec_lo
	s_delay_alu instid0(VALU_DEP_2)
	v_cmpx_ne_u32_e32 0x80, v24
	s_cbranch_execz .LBB285_689
; %bb.684:                              ;   in Loop: Header=BB285_15 Depth=1
	v_and_b32_e32 v8, 0x7f, v24
	v_mov_b32_e32 v43, 0x7c010000
	s_mov_b32 s18, exec_lo
	s_delay_alu instid0(VALU_DEP_2)
	v_cmpx_ne_u32_e32 0x7f, v8
	s_cbranch_execz .LBB285_688
; %bb.685:                              ;   in Loop: Header=BB285_15 Depth=1
	v_and_b32_e32 v0, 7, v24
	v_lshrrev_b32_e32 v6, 3, v8
	s_mov_b32 s19, exec_lo
	v_cmpx_gt_u32_e32 8, v8
; %bb.686:                              ;   in Loop: Header=BB285_15 Depth=1
	s_delay_alu instid0(VALU_DEP_3) | instskip(NEXT) | instid1(VALU_DEP_1)
	v_clz_i32_u32_e32 v0, v0
	v_min_u32_e32 v0, 32, v0
	s_delay_alu instid0(VALU_DEP_1) | instskip(SKIP_1) | instid1(VALU_DEP_2)
	v_subrev_nc_u32_e32 v1, 28, v0
	v_sub_nc_u32_e32 v6, 29, v0
	v_lshlrev_b64_e32 v[8:9], v1, v[24:25]
	s_delay_alu instid0(VALU_DEP_1)
	v_and_b32_e32 v0, 7, v8
; %bb.687:                              ;   in Loop: Header=BB285_15 Depth=1
	s_or_b32 exec_lo, exec_lo, s19
	v_lshlrev_b32_e32 v1, 8, v24
	v_lshl_add_u32 v6, v6, 10, 0x2000
	s_delay_alu instid0(VALU_DEP_3) | instskip(NEXT) | instid1(VALU_DEP_2)
	v_lshlrev_b32_e32 v0, 23, v0
	v_and_or_b32 v1, 0x8000, v1, v6
	s_delay_alu instid0(VALU_DEP_1)
	v_lshl_or_b32 v43, v1, 16, v0
.LBB285_688:                            ;   in Loop: Header=BB285_15 Depth=1
	s_or_b32 exec_lo, exec_lo, s18
.LBB285_689:                            ;   in Loop: Header=BB285_15 Depth=1
	s_delay_alu instid0(SALU_CYCLE_1)
	s_or_b32 exec_lo, exec_lo, s17
.LBB285_690:                            ;   in Loop: Header=BB285_15 Depth=1
	s_delay_alu instid0(SALU_CYCLE_1) | instskip(SKIP_3) | instid1(VALU_DEP_2)
	s_or_b32 exec_lo, exec_lo, s16
	v_and_b32_e32 v0, 0xff, v5
	v_mov_b32_e32 v24, v5
	s_mov_b32 s16, exec_lo
	v_cmpx_ne_u16_e32 0, v0
	s_cbranch_execz .LBB285_698
; %bb.691:                              ;   in Loop: Header=BB285_15 Depth=1
	v_cmp_ne_u16_e64 s1, 0x80, v0
	v_mov_b32_e32 v0, 0x8000
	scratch_store_b32 off, v0, s32 offset:448 ; 4-byte Folded Spill
	s_wait_xcnt 0x0
	s_and_saveexec_b32 s17, s1
	s_cbranch_execz .LBB285_697
; %bb.692:                              ;   in Loop: Header=BB285_15 Depth=1
	v_and_b32_e32 v8, 0x7f, v5
	v_mov_b32_e32 v0, 0x7c01
	s_mov_b32 s18, exec_lo
	scratch_store_b32 off, v0, s32 offset:448 ; 4-byte Folded Spill
	s_wait_xcnt 0x0
	v_cmpx_ne_u32_e32 0x7f, v8
	s_cbranch_execz .LBB285_696
; %bb.693:                              ;   in Loop: Header=BB285_15 Depth=1
	v_dual_lshrrev_b32 v6, 3, v8 :: v_dual_bitop2_b32 v0, 7, v5 bitop3:0x40
	s_mov_b32 s19, exec_lo
	v_cmpx_gt_u32_e32 8, v8
; %bb.694:                              ;   in Loop: Header=BB285_15 Depth=1
	s_delay_alu instid0(VALU_DEP_2) | instskip(NEXT) | instid1(VALU_DEP_1)
	v_clz_i32_u32_e32 v0, v0
	v_min_u32_e32 v0, 32, v0
	s_delay_alu instid0(VALU_DEP_1) | instskip(SKIP_1) | instid1(VALU_DEP_2)
	v_subrev_nc_u32_e32 v1, 28, v0
	v_sub_nc_u32_e32 v6, 29, v0
	v_lshlrev_b64_e32 v[8:9], v1, v[24:25]
	s_delay_alu instid0(VALU_DEP_1)
	v_and_b32_e32 v0, 7, v8
; %bb.695:                              ;   in Loop: Header=BB285_15 Depth=1
	s_or_b32 exec_lo, exec_lo, s19
	s_delay_alu instid0(VALU_DEP_1) | instskip(SKIP_1) | instid1(VALU_DEP_2)
	v_dual_lshlrev_b32 v1, 8, v5 :: v_dual_lshlrev_b32 v0, 7, v0
	v_lshl_add_u32 v6, v6, 10, 0x2000
	v_and_b32_e32 v1, 0x8000, v1
	s_delay_alu instid0(VALU_DEP_2) | instskip(NEXT) | instid1(VALU_DEP_1)
	v_and_b32_e32 v6, 0xfc00, v6
	v_or3_b32 v0, v1, v6, v0
	scratch_store_b32 off, v0, s32 offset:448 ; 4-byte Folded Spill
.LBB285_696:                            ;   in Loop: Header=BB285_15 Depth=1
	s_wait_xcnt 0x0
	s_or_b32 exec_lo, exec_lo, s18
.LBB285_697:                            ;   in Loop: Header=BB285_15 Depth=1
	s_delay_alu instid0(SALU_CYCLE_1)
	s_or_b32 exec_lo, exec_lo, s17
.LBB285_698:                            ;   in Loop: Header=BB285_15 Depth=1
	s_delay_alu instid0(SALU_CYCLE_1)
	s_or_b32 exec_lo, exec_lo, s16
	v_lshrrev_b16 v24, 8, v24
	v_dual_mov_b32 v0, 0 :: v_dual_mov_b32 v116, 0
	s_mov_b32 s16, exec_lo
	scratch_store_b32 off, v0, s32 offset:452 ; 4-byte Folded Spill
	s_wait_xcnt 0x0
	v_cmpx_ne_u16_e32 0, v24
	s_cbranch_execz .LBB285_706
; %bb.699:                              ;   in Loop: Header=BB285_15 Depth=1
	v_bfrev_b32_e32 v116, 1
	s_mov_b32 s17, exec_lo
	v_cmpx_ne_u16_e32 0x80, v24
	s_cbranch_execz .LBB285_705
; %bb.700:                              ;   in Loop: Header=BB285_15 Depth=1
	v_and_b32_e32 v0, 0xffff, v24
	v_mov_b32_e32 v116, 0x7c010000
	s_mov_b32 s18, exec_lo
	s_delay_alu instid0(VALU_DEP_2) | instskip(NEXT) | instid1(VALU_DEP_1)
	v_and_b32_e32 v9, 0x7f, v0
	v_cmpx_ne_u32_e32 0x7f, v9
	s_cbranch_execz .LBB285_704
; %bb.701:                              ;   in Loop: Header=BB285_15 Depth=1
	v_dual_lshrrev_b32 v8, 3, v9 :: v_dual_bitop2_b32 v6, 7, v0 bitop3:0x40
	s_mov_b32 s19, exec_lo
	v_cmpx_gt_u32_e32 8, v9
; %bb.702:                              ;   in Loop: Header=BB285_15 Depth=1
	s_delay_alu instid0(VALU_DEP_2) | instskip(NEXT) | instid1(VALU_DEP_1)
	v_clz_i32_u32_e32 v1, v6
	v_min_u32_e32 v1, 32, v1
	s_delay_alu instid0(VALU_DEP_1) | instskip(NEXT) | instid1(VALU_DEP_1)
	v_subrev_nc_u32_e32 v6, 28, v1
	v_lshlrev_b64_e32 v[16:17], v6, v[24:25]
	s_delay_alu instid0(VALU_DEP_1)
	v_dual_sub_nc_u32 v8, 29, v1 :: v_dual_bitop2_b32 v6, 7, v16 bitop3:0x40
; %bb.703:                              ;   in Loop: Header=BB285_15 Depth=1
	s_or_b32 exec_lo, exec_lo, s19
	v_lshlrev_b32_e32 v0, 8, v0
	s_delay_alu instid0(VALU_DEP_2) | instskip(NEXT) | instid1(VALU_DEP_1)
	v_lshl_add_u32 v1, v8, 10, 0x2000
	v_and_or_b32 v0, 0x8000, v0, v1
	v_lshlrev_b32_e32 v1, 23, v6
	s_delay_alu instid0(VALU_DEP_1)
	v_lshl_or_b32 v116, v0, 16, v1
.LBB285_704:                            ;   in Loop: Header=BB285_15 Depth=1
	s_or_b32 exec_lo, exec_lo, s18
.LBB285_705:                            ;   in Loop: Header=BB285_15 Depth=1
	s_delay_alu instid0(SALU_CYCLE_1)
	s_or_b32 exec_lo, exec_lo, s17
.LBB285_706:                            ;   in Loop: Header=BB285_15 Depth=1
	s_delay_alu instid0(SALU_CYCLE_1) | instskip(SKIP_2) | instid1(VALU_DEP_1)
	s_or_b32 exec_lo, exec_lo, s16
	v_lshrrev_b32_e32 v0, 16, v5
	s_mov_b32 s16, exec_lo
	v_and_b32_e32 v6, 0xff, v0
	s_delay_alu instid0(VALU_DEP_1)
	v_cmpx_ne_u16_e32 0, v6
	s_cbranch_execz .LBB285_714
; %bb.707:                              ;   in Loop: Header=BB285_15 Depth=1
	v_mov_b32_e32 v1, 0x8000
	s_mov_b32 s17, exec_lo
	scratch_store_b32 off, v1, s32 offset:452 ; 4-byte Folded Spill
	s_wait_xcnt 0x0
	v_cmpx_ne_u16_e32 0x80, v6
	s_cbranch_execz .LBB285_713
; %bb.708:                              ;   in Loop: Header=BB285_15 Depth=1
	v_bfe_u32 v9, v5, 16, 7
	v_mov_b32_e32 v1, 0x7c01
	s_mov_b32 s18, exec_lo
	scratch_store_b32 off, v1, s32 offset:452 ; 4-byte Folded Spill
	s_wait_xcnt 0x0
	v_cmpx_ne_u32_e32 0x7f, v9
	s_cbranch_execz .LBB285_712
; %bb.709:                              ;   in Loop: Header=BB285_15 Depth=1
	v_dual_lshrrev_b32 v8, 3, v9 :: v_dual_bitop2_b32 v6, 7, v0 bitop3:0x40
	s_mov_b32 s19, exec_lo
	v_cmpx_gt_u32_e32 8, v9
; %bb.710:                              ;   in Loop: Header=BB285_15 Depth=1
	s_delay_alu instid0(VALU_DEP_2) | instskip(NEXT) | instid1(VALU_DEP_1)
	v_clz_i32_u32_e32 v1, v6
	v_min_u32_e32 v1, 32, v1
	s_delay_alu instid0(VALU_DEP_1) | instskip(NEXT) | instid1(VALU_DEP_1)
	v_subrev_nc_u32_e32 v6, 28, v1
	v_lshlrev_b64_e32 v[16:17], v6, v[0:1]
	s_delay_alu instid0(VALU_DEP_1)
	v_dual_sub_nc_u32 v8, 29, v1 :: v_dual_bitop2_b32 v6, 7, v16 bitop3:0x40
; %bb.711:                              ;   in Loop: Header=BB285_15 Depth=1
	s_or_b32 exec_lo, exec_lo, s19
	s_delay_alu instid0(VALU_DEP_1) | instskip(NEXT) | instid1(VALU_DEP_2)
	v_dual_lshlrev_b32 v0, 8, v0 :: v_dual_lshlrev_b32 v6, 7, v6
	v_lshl_add_u32 v1, v8, 10, 0x2000
	s_delay_alu instid0(VALU_DEP_2) | instskip(NEXT) | instid1(VALU_DEP_2)
	v_and_b32_e32 v0, 0x8000, v0
	v_and_b32_e32 v1, 0xfc00, v1
	s_delay_alu instid0(VALU_DEP_1)
	v_or3_b32 v0, v0, v1, v6
	scratch_store_b32 off, v0, s32 offset:452 ; 4-byte Folded Spill
.LBB285_712:                            ;   in Loop: Header=BB285_15 Depth=1
	s_wait_xcnt 0x0
	s_or_b32 exec_lo, exec_lo, s18
.LBB285_713:                            ;   in Loop: Header=BB285_15 Depth=1
	s_delay_alu instid0(SALU_CYCLE_1)
	s_or_b32 exec_lo, exec_lo, s17
.LBB285_714:                            ;   in Loop: Header=BB285_15 Depth=1
	s_delay_alu instid0(SALU_CYCLE_1)
	s_or_b32 exec_lo, exec_lo, s16
	v_dual_mov_b32 v0, 0 :: v_dual_mov_b32 v100, 0
	s_mov_b32 s16, exec_lo
	scratch_store_b32 off, v0, s32 offset:456 ; 4-byte Folded Spill
	s_wait_xcnt 0x0
	v_cmpx_lt_u64_e64 s[8:9], v[4:5]
	s_cbranch_execz .LBB285_722
; %bb.715:                              ;   in Loop: Header=BB285_15 Depth=1
	v_lshrrev_b32_e32 v24, 24, v5
	v_bfrev_b32_e32 v100, 1
	s_mov_b32 s17, exec_lo
	s_delay_alu instid0(VALU_DEP_2)
	v_cmpx_ne_u32_e32 0x80, v24
	s_cbranch_execz .LBB285_721
; %bb.716:                              ;   in Loop: Header=BB285_15 Depth=1
	v_and_b32_e32 v5, 0x7f, v24
	v_mov_b32_e32 v100, 0x7c010000
	s_mov_b32 s18, exec_lo
	s_delay_alu instid0(VALU_DEP_2)
	v_cmpx_ne_u32_e32 0x7f, v5
	s_cbranch_execz .LBB285_720
; %bb.717:                              ;   in Loop: Header=BB285_15 Depth=1
	v_dual_lshrrev_b32 v4, 3, v5 :: v_dual_bitop2_b32 v0, 7, v24 bitop3:0x40
	s_mov_b32 s19, exec_lo
	v_cmpx_gt_u32_e32 8, v5
; %bb.718:                              ;   in Loop: Header=BB285_15 Depth=1
	s_delay_alu instid0(VALU_DEP_2) | instskip(NEXT) | instid1(VALU_DEP_1)
	v_clz_i32_u32_e32 v0, v0
	v_min_u32_e32 v0, 32, v0
	s_delay_alu instid0(VALU_DEP_1) | instskip(SKIP_1) | instid1(VALU_DEP_2)
	v_subrev_nc_u32_e32 v1, 28, v0
	v_sub_nc_u32_e32 v4, 29, v0
	v_lshlrev_b64_e32 v[8:9], v1, v[24:25]
	s_delay_alu instid0(VALU_DEP_1)
	v_and_b32_e32 v0, 7, v8
; %bb.719:                              ;   in Loop: Header=BB285_15 Depth=1
	s_or_b32 exec_lo, exec_lo, s19
	v_lshlrev_b32_e32 v1, 8, v24
	v_lshl_add_u32 v4, v4, 10, 0x2000
	s_delay_alu instid0(VALU_DEP_3) | instskip(NEXT) | instid1(VALU_DEP_2)
	v_lshlrev_b32_e32 v0, 23, v0
	v_and_or_b32 v1, 0x8000, v1, v4
	s_delay_alu instid0(VALU_DEP_1)
	v_lshl_or_b32 v100, v1, 16, v0
.LBB285_720:                            ;   in Loop: Header=BB285_15 Depth=1
	s_or_b32 exec_lo, exec_lo, s18
.LBB285_721:                            ;   in Loop: Header=BB285_15 Depth=1
	s_delay_alu instid0(SALU_CYCLE_1)
	s_or_b32 exec_lo, exec_lo, s17
.LBB285_722:                            ;   in Loop: Header=BB285_15 Depth=1
	s_delay_alu instid0(SALU_CYCLE_1)
	s_or_b32 exec_lo, exec_lo, s16
	flat_load_b64 v[4:5], v[2:3] offset:2568
	s_mov_b32 s16, exec_lo
	s_wait_loadcnt_dscnt 0x0
	v_and_b32_e32 v0, 0xff, v4
	s_wait_xcnt 0x0
	s_delay_alu instid0(VALU_DEP_1)
	v_cmpx_ne_u16_e32 0, v0
	s_cbranch_execz .LBB285_730
; %bb.723:                              ;   in Loop: Header=BB285_15 Depth=1
	v_cmp_ne_u16_e64 s1, 0x80, v0
	v_mov_b32_e32 v0, 0x8000
	scratch_store_b32 off, v0, s32 offset:456 ; 4-byte Folded Spill
	s_wait_xcnt 0x0
	s_and_saveexec_b32 s17, s1
	s_cbranch_execz .LBB285_729
; %bb.724:                              ;   in Loop: Header=BB285_15 Depth=1
	v_and_b32_e32 v8, 0x7f, v4
	v_mov_b32_e32 v0, 0x7c01
	s_mov_b32 s18, exec_lo
	scratch_store_b32 off, v0, s32 offset:456 ; 4-byte Folded Spill
	s_wait_xcnt 0x0
	v_cmpx_ne_u32_e32 0x7f, v8
	s_cbranch_execz .LBB285_728
; %bb.725:                              ;   in Loop: Header=BB285_15 Depth=1
	v_and_b32_e32 v0, 7, v4
	v_lshrrev_b32_e32 v6, 3, v8
	s_mov_b32 s19, exec_lo
	v_cmpx_gt_u32_e32 8, v8
; %bb.726:                              ;   in Loop: Header=BB285_15 Depth=1
	s_delay_alu instid0(VALU_DEP_3) | instskip(NEXT) | instid1(VALU_DEP_1)
	v_clz_i32_u32_e32 v0, v0
	v_min_u32_e32 v0, 32, v0
	s_delay_alu instid0(VALU_DEP_1) | instskip(SKIP_1) | instid1(VALU_DEP_2)
	v_subrev_nc_u32_e32 v1, 28, v0
	v_sub_nc_u32_e32 v6, 29, v0
	v_lshlrev_b64_e32 v[8:9], v1, v[4:5]
	s_delay_alu instid0(VALU_DEP_1)
	v_and_b32_e32 v0, 7, v8
; %bb.727:                              ;   in Loop: Header=BB285_15 Depth=1
	s_or_b32 exec_lo, exec_lo, s19
	v_lshlrev_b32_e32 v1, 8, v4
	v_lshl_add_u32 v6, v6, 10, 0x2000
	s_delay_alu instid0(VALU_DEP_3) | instskip(NEXT) | instid1(VALU_DEP_3)
	v_lshlrev_b32_e32 v0, 7, v0
	v_and_b32_e32 v1, 0x8000, v1
	s_delay_alu instid0(VALU_DEP_3) | instskip(NEXT) | instid1(VALU_DEP_1)
	v_and_b32_e32 v6, 0xfc00, v6
	v_or3_b32 v0, v1, v6, v0
	scratch_store_b32 off, v0, s32 offset:456 ; 4-byte Folded Spill
.LBB285_728:                            ;   in Loop: Header=BB285_15 Depth=1
	s_wait_xcnt 0x0
	s_or_b32 exec_lo, exec_lo, s18
.LBB285_729:                            ;   in Loop: Header=BB285_15 Depth=1
	s_delay_alu instid0(SALU_CYCLE_1)
	s_or_b32 exec_lo, exec_lo, s17
.LBB285_730:                            ;   in Loop: Header=BB285_15 Depth=1
	s_delay_alu instid0(SALU_CYCLE_1)
	s_or_b32 exec_lo, exec_lo, s16
	v_lshrrev_b16 v24, 8, v4
	v_dual_mov_b32 v0, 0 :: v_dual_mov_b32 v115, 0
	s_mov_b32 s16, exec_lo
	scratch_store_b32 off, v0, s32 offset:464 ; 4-byte Folded Spill
	s_wait_xcnt 0x0
	v_cmpx_ne_u16_e32 0, v24
	s_cbranch_execz .LBB285_738
; %bb.731:                              ;   in Loop: Header=BB285_15 Depth=1
	v_bfrev_b32_e32 v115, 1
	s_mov_b32 s17, exec_lo
	v_cmpx_ne_u16_e32 0x80, v24
	s_cbranch_execz .LBB285_737
; %bb.732:                              ;   in Loop: Header=BB285_15 Depth=1
	v_and_b32_e32 v0, 0xffff, v24
	v_mov_b32_e32 v115, 0x7c010000
	s_mov_b32 s18, exec_lo
	s_delay_alu instid0(VALU_DEP_2) | instskip(NEXT) | instid1(VALU_DEP_1)
	v_and_b32_e32 v9, 0x7f, v0
	v_cmpx_ne_u32_e32 0x7f, v9
	s_cbranch_execz .LBB285_736
; %bb.733:                              ;   in Loop: Header=BB285_15 Depth=1
	v_dual_lshrrev_b32 v8, 3, v9 :: v_dual_bitop2_b32 v6, 7, v0 bitop3:0x40
	s_mov_b32 s19, exec_lo
	v_cmpx_gt_u32_e32 8, v9
; %bb.734:                              ;   in Loop: Header=BB285_15 Depth=1
	s_delay_alu instid0(VALU_DEP_2) | instskip(NEXT) | instid1(VALU_DEP_1)
	v_clz_i32_u32_e32 v1, v6
	v_min_u32_e32 v1, 32, v1
	s_delay_alu instid0(VALU_DEP_1) | instskip(NEXT) | instid1(VALU_DEP_1)
	v_subrev_nc_u32_e32 v6, 28, v1
	v_lshlrev_b64_e32 v[16:17], v6, v[24:25]
	s_delay_alu instid0(VALU_DEP_1)
	v_dual_sub_nc_u32 v8, 29, v1 :: v_dual_bitop2_b32 v6, 7, v16 bitop3:0x40
; %bb.735:                              ;   in Loop: Header=BB285_15 Depth=1
	s_or_b32 exec_lo, exec_lo, s19
	v_lshlrev_b32_e32 v0, 8, v0
	s_delay_alu instid0(VALU_DEP_2) | instskip(NEXT) | instid1(VALU_DEP_1)
	v_lshl_add_u32 v1, v8, 10, 0x2000
	v_and_or_b32 v0, 0x8000, v0, v1
	v_lshlrev_b32_e32 v1, 23, v6
	s_delay_alu instid0(VALU_DEP_1)
	v_lshl_or_b32 v115, v0, 16, v1
.LBB285_736:                            ;   in Loop: Header=BB285_15 Depth=1
	s_or_b32 exec_lo, exec_lo, s18
.LBB285_737:                            ;   in Loop: Header=BB285_15 Depth=1
	s_delay_alu instid0(SALU_CYCLE_1)
	s_or_b32 exec_lo, exec_lo, s17
.LBB285_738:                            ;   in Loop: Header=BB285_15 Depth=1
	s_delay_alu instid0(SALU_CYCLE_1) | instskip(SKIP_2) | instid1(VALU_DEP_1)
	s_or_b32 exec_lo, exec_lo, s16
	v_lshrrev_b32_e32 v0, 16, v4
	s_mov_b32 s16, exec_lo
	v_and_b32_e32 v6, 0xff, v0
	s_delay_alu instid0(VALU_DEP_1)
	v_cmpx_ne_u16_e32 0, v6
	s_cbranch_execz .LBB285_746
; %bb.739:                              ;   in Loop: Header=BB285_15 Depth=1
	v_mov_b32_e32 v1, 0x8000
	s_mov_b32 s17, exec_lo
	scratch_store_b32 off, v1, s32 offset:464 ; 4-byte Folded Spill
	s_wait_xcnt 0x0
	v_cmpx_ne_u16_e32 0x80, v6
	s_cbranch_execz .LBB285_745
; %bb.740:                              ;   in Loop: Header=BB285_15 Depth=1
	v_bfe_u32 v9, v4, 16, 7
	v_mov_b32_e32 v1, 0x7c01
	s_mov_b32 s18, exec_lo
	scratch_store_b32 off, v1, s32 offset:464 ; 4-byte Folded Spill
	s_wait_xcnt 0x0
	v_cmpx_ne_u32_e32 0x7f, v9
	s_cbranch_execz .LBB285_744
; %bb.741:                              ;   in Loop: Header=BB285_15 Depth=1
	v_dual_lshrrev_b32 v8, 3, v9 :: v_dual_bitop2_b32 v6, 7, v0 bitop3:0x40
	s_mov_b32 s19, exec_lo
	v_cmpx_gt_u32_e32 8, v9
; %bb.742:                              ;   in Loop: Header=BB285_15 Depth=1
	s_delay_alu instid0(VALU_DEP_2) | instskip(NEXT) | instid1(VALU_DEP_1)
	v_clz_i32_u32_e32 v1, v6
	v_min_u32_e32 v1, 32, v1
	s_delay_alu instid0(VALU_DEP_1) | instskip(NEXT) | instid1(VALU_DEP_1)
	v_subrev_nc_u32_e32 v6, 28, v1
	v_lshlrev_b64_e32 v[16:17], v6, v[0:1]
	s_delay_alu instid0(VALU_DEP_1)
	v_dual_sub_nc_u32 v8, 29, v1 :: v_dual_bitop2_b32 v6, 7, v16 bitop3:0x40
; %bb.743:                              ;   in Loop: Header=BB285_15 Depth=1
	s_or_b32 exec_lo, exec_lo, s19
	s_delay_alu instid0(VALU_DEP_1) | instskip(NEXT) | instid1(VALU_DEP_2)
	v_dual_lshlrev_b32 v0, 8, v0 :: v_dual_lshlrev_b32 v6, 7, v6
	v_lshl_add_u32 v1, v8, 10, 0x2000
	s_delay_alu instid0(VALU_DEP_2) | instskip(NEXT) | instid1(VALU_DEP_2)
	v_and_b32_e32 v0, 0x8000, v0
	v_and_b32_e32 v1, 0xfc00, v1
	s_delay_alu instid0(VALU_DEP_1)
	v_or3_b32 v0, v0, v1, v6
	scratch_store_b32 off, v0, s32 offset:464 ; 4-byte Folded Spill
.LBB285_744:                            ;   in Loop: Header=BB285_15 Depth=1
	s_wait_xcnt 0x0
	s_or_b32 exec_lo, exec_lo, s18
.LBB285_745:                            ;   in Loop: Header=BB285_15 Depth=1
	s_delay_alu instid0(SALU_CYCLE_1)
	s_or_b32 exec_lo, exec_lo, s17
.LBB285_746:                            ;   in Loop: Header=BB285_15 Depth=1
	s_delay_alu instid0(SALU_CYCLE_1)
	s_or_b32 exec_lo, exec_lo, s16
	v_dual_mov_b32 v0, 0 :: v_dual_mov_b32 v82, 0
	s_mov_b32 s16, exec_lo
	scratch_store_b32 off, v0, s32 offset:472 ; 4-byte Folded Spill
	s_wait_xcnt 0x0
	v_cmpx_lt_u32_e32 0xffffff, v4
	s_cbranch_execz .LBB285_754
; %bb.747:                              ;   in Loop: Header=BB285_15 Depth=1
	v_lshrrev_b32_e32 v24, 24, v4
	v_bfrev_b32_e32 v82, 1
	s_mov_b32 s17, exec_lo
	s_delay_alu instid0(VALU_DEP_2)
	v_cmpx_ne_u32_e32 0x80, v24
	s_cbranch_execz .LBB285_753
; %bb.748:                              ;   in Loop: Header=BB285_15 Depth=1
	v_and_b32_e32 v8, 0x7f, v24
	v_mov_b32_e32 v82, 0x7c010000
	s_mov_b32 s18, exec_lo
	s_delay_alu instid0(VALU_DEP_2)
	v_cmpx_ne_u32_e32 0x7f, v8
	s_cbranch_execz .LBB285_752
; %bb.749:                              ;   in Loop: Header=BB285_15 Depth=1
	v_and_b32_e32 v0, 7, v24
	v_lshrrev_b32_e32 v6, 3, v8
	s_mov_b32 s19, exec_lo
	v_cmpx_gt_u32_e32 8, v8
; %bb.750:                              ;   in Loop: Header=BB285_15 Depth=1
	s_delay_alu instid0(VALU_DEP_3) | instskip(NEXT) | instid1(VALU_DEP_1)
	v_clz_i32_u32_e32 v0, v0
	v_min_u32_e32 v0, 32, v0
	s_delay_alu instid0(VALU_DEP_1) | instskip(SKIP_1) | instid1(VALU_DEP_2)
	v_subrev_nc_u32_e32 v1, 28, v0
	v_sub_nc_u32_e32 v6, 29, v0
	v_lshlrev_b64_e32 v[8:9], v1, v[24:25]
	s_delay_alu instid0(VALU_DEP_1)
	v_and_b32_e32 v0, 7, v8
; %bb.751:                              ;   in Loop: Header=BB285_15 Depth=1
	s_or_b32 exec_lo, exec_lo, s19
	v_lshlrev_b32_e32 v1, 8, v24
	v_lshl_add_u32 v6, v6, 10, 0x2000
	s_delay_alu instid0(VALU_DEP_3) | instskip(NEXT) | instid1(VALU_DEP_2)
	v_lshlrev_b32_e32 v0, 23, v0
	v_and_or_b32 v1, 0x8000, v1, v6
	s_delay_alu instid0(VALU_DEP_1)
	v_lshl_or_b32 v82, v1, 16, v0
.LBB285_752:                            ;   in Loop: Header=BB285_15 Depth=1
	s_or_b32 exec_lo, exec_lo, s18
.LBB285_753:                            ;   in Loop: Header=BB285_15 Depth=1
	s_delay_alu instid0(SALU_CYCLE_1)
	s_or_b32 exec_lo, exec_lo, s17
.LBB285_754:                            ;   in Loop: Header=BB285_15 Depth=1
	s_delay_alu instid0(SALU_CYCLE_1) | instskip(SKIP_3) | instid1(VALU_DEP_2)
	s_or_b32 exec_lo, exec_lo, s16
	v_and_b32_e32 v0, 0xff, v5
	v_mov_b32_e32 v24, v5
	s_mov_b32 s16, exec_lo
	v_cmpx_ne_u16_e32 0, v0
	s_cbranch_execz .LBB285_762
; %bb.755:                              ;   in Loop: Header=BB285_15 Depth=1
	v_cmp_ne_u16_e64 s1, 0x80, v0
	v_mov_b32_e32 v0, 0x8000
	scratch_store_b32 off, v0, s32 offset:472 ; 4-byte Folded Spill
	s_wait_xcnt 0x0
	s_and_saveexec_b32 s17, s1
	s_cbranch_execz .LBB285_761
; %bb.756:                              ;   in Loop: Header=BB285_15 Depth=1
	v_and_b32_e32 v8, 0x7f, v5
	v_mov_b32_e32 v0, 0x7c01
	s_mov_b32 s18, exec_lo
	scratch_store_b32 off, v0, s32 offset:472 ; 4-byte Folded Spill
	s_wait_xcnt 0x0
	v_cmpx_ne_u32_e32 0x7f, v8
	s_cbranch_execz .LBB285_760
; %bb.757:                              ;   in Loop: Header=BB285_15 Depth=1
	v_dual_lshrrev_b32 v6, 3, v8 :: v_dual_bitop2_b32 v0, 7, v5 bitop3:0x40
	s_mov_b32 s19, exec_lo
	v_cmpx_gt_u32_e32 8, v8
; %bb.758:                              ;   in Loop: Header=BB285_15 Depth=1
	s_delay_alu instid0(VALU_DEP_2) | instskip(NEXT) | instid1(VALU_DEP_1)
	v_clz_i32_u32_e32 v0, v0
	v_min_u32_e32 v0, 32, v0
	s_delay_alu instid0(VALU_DEP_1) | instskip(SKIP_1) | instid1(VALU_DEP_2)
	v_subrev_nc_u32_e32 v1, 28, v0
	v_sub_nc_u32_e32 v6, 29, v0
	v_lshlrev_b64_e32 v[8:9], v1, v[24:25]
	s_delay_alu instid0(VALU_DEP_1)
	v_and_b32_e32 v0, 7, v8
; %bb.759:                              ;   in Loop: Header=BB285_15 Depth=1
	s_or_b32 exec_lo, exec_lo, s19
	s_delay_alu instid0(VALU_DEP_1) | instskip(SKIP_1) | instid1(VALU_DEP_2)
	v_dual_lshlrev_b32 v1, 8, v5 :: v_dual_lshlrev_b32 v0, 7, v0
	v_lshl_add_u32 v6, v6, 10, 0x2000
	v_and_b32_e32 v1, 0x8000, v1
	s_delay_alu instid0(VALU_DEP_2) | instskip(NEXT) | instid1(VALU_DEP_1)
	v_and_b32_e32 v6, 0xfc00, v6
	v_or3_b32 v0, v1, v6, v0
	scratch_store_b32 off, v0, s32 offset:472 ; 4-byte Folded Spill
.LBB285_760:                            ;   in Loop: Header=BB285_15 Depth=1
	s_wait_xcnt 0x0
	s_or_b32 exec_lo, exec_lo, s18
.LBB285_761:                            ;   in Loop: Header=BB285_15 Depth=1
	s_delay_alu instid0(SALU_CYCLE_1)
	s_or_b32 exec_lo, exec_lo, s17
.LBB285_762:                            ;   in Loop: Header=BB285_15 Depth=1
	s_delay_alu instid0(SALU_CYCLE_1)
	s_or_b32 exec_lo, exec_lo, s16
	v_lshrrev_b16 v24, 8, v24
	v_dual_mov_b32 v0, 0 :: v_dual_mov_b32 v98, 0
	s_mov_b32 s16, exec_lo
	scratch_store_b32 off, v0, s32 offset:480 ; 4-byte Folded Spill
	s_wait_xcnt 0x0
	v_cmpx_ne_u16_e32 0, v24
	s_cbranch_execz .LBB285_770
; %bb.763:                              ;   in Loop: Header=BB285_15 Depth=1
	v_bfrev_b32_e32 v98, 1
	s_mov_b32 s17, exec_lo
	v_cmpx_ne_u16_e32 0x80, v24
	s_cbranch_execz .LBB285_769
; %bb.764:                              ;   in Loop: Header=BB285_15 Depth=1
	v_and_b32_e32 v0, 0xffff, v24
	v_mov_b32_e32 v98, 0x7c010000
	s_mov_b32 s18, exec_lo
	s_delay_alu instid0(VALU_DEP_2) | instskip(NEXT) | instid1(VALU_DEP_1)
	v_and_b32_e32 v9, 0x7f, v0
	v_cmpx_ne_u32_e32 0x7f, v9
	s_cbranch_execz .LBB285_768
; %bb.765:                              ;   in Loop: Header=BB285_15 Depth=1
	v_dual_lshrrev_b32 v8, 3, v9 :: v_dual_bitop2_b32 v6, 7, v0 bitop3:0x40
	s_mov_b32 s19, exec_lo
	v_cmpx_gt_u32_e32 8, v9
; %bb.766:                              ;   in Loop: Header=BB285_15 Depth=1
	s_delay_alu instid0(VALU_DEP_2) | instskip(NEXT) | instid1(VALU_DEP_1)
	v_clz_i32_u32_e32 v1, v6
	v_min_u32_e32 v1, 32, v1
	s_delay_alu instid0(VALU_DEP_1) | instskip(NEXT) | instid1(VALU_DEP_1)
	v_subrev_nc_u32_e32 v6, 28, v1
	v_lshlrev_b64_e32 v[16:17], v6, v[24:25]
	s_delay_alu instid0(VALU_DEP_1)
	v_dual_sub_nc_u32 v8, 29, v1 :: v_dual_bitop2_b32 v6, 7, v16 bitop3:0x40
; %bb.767:                              ;   in Loop: Header=BB285_15 Depth=1
	s_or_b32 exec_lo, exec_lo, s19
	v_lshlrev_b32_e32 v0, 8, v0
	s_delay_alu instid0(VALU_DEP_2) | instskip(NEXT) | instid1(VALU_DEP_1)
	v_lshl_add_u32 v1, v8, 10, 0x2000
	v_and_or_b32 v0, 0x8000, v0, v1
	v_lshlrev_b32_e32 v1, 23, v6
	s_delay_alu instid0(VALU_DEP_1)
	v_lshl_or_b32 v98, v0, 16, v1
.LBB285_768:                            ;   in Loop: Header=BB285_15 Depth=1
	s_or_b32 exec_lo, exec_lo, s18
.LBB285_769:                            ;   in Loop: Header=BB285_15 Depth=1
	s_delay_alu instid0(SALU_CYCLE_1)
	s_or_b32 exec_lo, exec_lo, s17
.LBB285_770:                            ;   in Loop: Header=BB285_15 Depth=1
	s_delay_alu instid0(SALU_CYCLE_1) | instskip(SKIP_2) | instid1(VALU_DEP_1)
	s_or_b32 exec_lo, exec_lo, s16
	v_lshrrev_b32_e32 v0, 16, v5
	s_mov_b32 s16, exec_lo
	v_and_b32_e32 v6, 0xff, v0
	s_delay_alu instid0(VALU_DEP_1)
	v_cmpx_ne_u16_e32 0, v6
	s_cbranch_execz .LBB285_778
; %bb.771:                              ;   in Loop: Header=BB285_15 Depth=1
	v_mov_b32_e32 v1, 0x8000
	s_mov_b32 s17, exec_lo
	scratch_store_b32 off, v1, s32 offset:480 ; 4-byte Folded Spill
	s_wait_xcnt 0x0
	v_cmpx_ne_u16_e32 0x80, v6
	s_cbranch_execz .LBB285_777
; %bb.772:                              ;   in Loop: Header=BB285_15 Depth=1
	v_bfe_u32 v9, v5, 16, 7
	v_mov_b32_e32 v1, 0x7c01
	s_mov_b32 s18, exec_lo
	scratch_store_b32 off, v1, s32 offset:480 ; 4-byte Folded Spill
	s_wait_xcnt 0x0
	v_cmpx_ne_u32_e32 0x7f, v9
	s_cbranch_execz .LBB285_776
; %bb.773:                              ;   in Loop: Header=BB285_15 Depth=1
	v_dual_lshrrev_b32 v8, 3, v9 :: v_dual_bitop2_b32 v6, 7, v0 bitop3:0x40
	s_mov_b32 s19, exec_lo
	v_cmpx_gt_u32_e32 8, v9
; %bb.774:                              ;   in Loop: Header=BB285_15 Depth=1
	s_delay_alu instid0(VALU_DEP_2) | instskip(NEXT) | instid1(VALU_DEP_1)
	v_clz_i32_u32_e32 v1, v6
	v_min_u32_e32 v1, 32, v1
	s_delay_alu instid0(VALU_DEP_1) | instskip(NEXT) | instid1(VALU_DEP_1)
	v_subrev_nc_u32_e32 v6, 28, v1
	v_lshlrev_b64_e32 v[16:17], v6, v[0:1]
	s_delay_alu instid0(VALU_DEP_1)
	v_dual_sub_nc_u32 v8, 29, v1 :: v_dual_bitop2_b32 v6, 7, v16 bitop3:0x40
; %bb.775:                              ;   in Loop: Header=BB285_15 Depth=1
	s_or_b32 exec_lo, exec_lo, s19
	s_delay_alu instid0(VALU_DEP_1) | instskip(NEXT) | instid1(VALU_DEP_2)
	v_dual_lshlrev_b32 v0, 8, v0 :: v_dual_lshlrev_b32 v6, 7, v6
	v_lshl_add_u32 v1, v8, 10, 0x2000
	s_delay_alu instid0(VALU_DEP_2) | instskip(NEXT) | instid1(VALU_DEP_2)
	v_and_b32_e32 v0, 0x8000, v0
	v_and_b32_e32 v1, 0xfc00, v1
	s_delay_alu instid0(VALU_DEP_1)
	v_or3_b32 v0, v0, v1, v6
	scratch_store_b32 off, v0, s32 offset:480 ; 4-byte Folded Spill
.LBB285_776:                            ;   in Loop: Header=BB285_15 Depth=1
	s_wait_xcnt 0x0
	s_or_b32 exec_lo, exec_lo, s18
.LBB285_777:                            ;   in Loop: Header=BB285_15 Depth=1
	s_delay_alu instid0(SALU_CYCLE_1)
	s_or_b32 exec_lo, exec_lo, s17
.LBB285_778:                            ;   in Loop: Header=BB285_15 Depth=1
	s_delay_alu instid0(SALU_CYCLE_1)
	s_or_b32 exec_lo, exec_lo, s16
	v_dual_mov_b32 v0, 0 :: v_dual_mov_b32 v114, 0
	s_mov_b32 s16, exec_lo
	scratch_store_b32 off, v0, s32 offset:488 ; 4-byte Folded Spill
	s_wait_xcnt 0x0
	v_cmpx_lt_u64_e64 s[8:9], v[4:5]
	s_cbranch_execz .LBB285_786
; %bb.779:                              ;   in Loop: Header=BB285_15 Depth=1
	v_lshrrev_b32_e32 v24, 24, v5
	v_bfrev_b32_e32 v114, 1
	s_mov_b32 s17, exec_lo
	s_delay_alu instid0(VALU_DEP_2)
	v_cmpx_ne_u32_e32 0x80, v24
	s_cbranch_execz .LBB285_785
; %bb.780:                              ;   in Loop: Header=BB285_15 Depth=1
	v_and_b32_e32 v5, 0x7f, v24
	v_mov_b32_e32 v114, 0x7c010000
	s_mov_b32 s18, exec_lo
	s_delay_alu instid0(VALU_DEP_2)
	v_cmpx_ne_u32_e32 0x7f, v5
	s_cbranch_execz .LBB285_784
; %bb.781:                              ;   in Loop: Header=BB285_15 Depth=1
	v_dual_lshrrev_b32 v4, 3, v5 :: v_dual_bitop2_b32 v0, 7, v24 bitop3:0x40
	s_mov_b32 s19, exec_lo
	v_cmpx_gt_u32_e32 8, v5
; %bb.782:                              ;   in Loop: Header=BB285_15 Depth=1
	s_delay_alu instid0(VALU_DEP_2) | instskip(NEXT) | instid1(VALU_DEP_1)
	v_clz_i32_u32_e32 v0, v0
	v_min_u32_e32 v0, 32, v0
	s_delay_alu instid0(VALU_DEP_1) | instskip(SKIP_1) | instid1(VALU_DEP_2)
	v_subrev_nc_u32_e32 v1, 28, v0
	v_sub_nc_u32_e32 v4, 29, v0
	v_lshlrev_b64_e32 v[8:9], v1, v[24:25]
	s_delay_alu instid0(VALU_DEP_1)
	v_and_b32_e32 v0, 7, v8
; %bb.783:                              ;   in Loop: Header=BB285_15 Depth=1
	s_or_b32 exec_lo, exec_lo, s19
	v_lshlrev_b32_e32 v1, 8, v24
	v_lshl_add_u32 v4, v4, 10, 0x2000
	s_delay_alu instid0(VALU_DEP_3) | instskip(NEXT) | instid1(VALU_DEP_2)
	v_lshlrev_b32_e32 v0, 23, v0
	v_and_or_b32 v1, 0x8000, v1, v4
	s_delay_alu instid0(VALU_DEP_1)
	v_lshl_or_b32 v114, v1, 16, v0
.LBB285_784:                            ;   in Loop: Header=BB285_15 Depth=1
	s_or_b32 exec_lo, exec_lo, s18
.LBB285_785:                            ;   in Loop: Header=BB285_15 Depth=1
	s_delay_alu instid0(SALU_CYCLE_1)
	s_or_b32 exec_lo, exec_lo, s17
.LBB285_786:                            ;   in Loop: Header=BB285_15 Depth=1
	s_delay_alu instid0(SALU_CYCLE_1)
	s_or_b32 exec_lo, exec_lo, s16
	flat_load_b64 v[4:5], v[2:3] offset:3072
	s_mov_b32 s16, exec_lo
	s_wait_loadcnt_dscnt 0x0
	v_and_b32_e32 v0, 0xff, v4
	s_wait_xcnt 0x0
	s_delay_alu instid0(VALU_DEP_1)
	v_cmpx_ne_u16_e32 0, v0
	s_cbranch_execz .LBB285_794
; %bb.787:                              ;   in Loop: Header=BB285_15 Depth=1
	v_cmp_ne_u16_e64 s1, 0x80, v0
	v_mov_b32_e32 v0, 0x8000
	scratch_store_b32 off, v0, s32 offset:488 ; 4-byte Folded Spill
	s_wait_xcnt 0x0
	s_and_saveexec_b32 s17, s1
	s_cbranch_execz .LBB285_793
; %bb.788:                              ;   in Loop: Header=BB285_15 Depth=1
	v_and_b32_e32 v8, 0x7f, v4
	v_mov_b32_e32 v0, 0x7c01
	s_mov_b32 s18, exec_lo
	scratch_store_b32 off, v0, s32 offset:488 ; 4-byte Folded Spill
	s_wait_xcnt 0x0
	v_cmpx_ne_u32_e32 0x7f, v8
	s_cbranch_execz .LBB285_792
; %bb.789:                              ;   in Loop: Header=BB285_15 Depth=1
	v_and_b32_e32 v0, 7, v4
	v_lshrrev_b32_e32 v6, 3, v8
	s_mov_b32 s19, exec_lo
	v_cmpx_gt_u32_e32 8, v8
; %bb.790:                              ;   in Loop: Header=BB285_15 Depth=1
	s_delay_alu instid0(VALU_DEP_3) | instskip(NEXT) | instid1(VALU_DEP_1)
	v_clz_i32_u32_e32 v0, v0
	v_min_u32_e32 v0, 32, v0
	s_delay_alu instid0(VALU_DEP_1) | instskip(SKIP_1) | instid1(VALU_DEP_2)
	v_subrev_nc_u32_e32 v1, 28, v0
	v_sub_nc_u32_e32 v6, 29, v0
	v_lshlrev_b64_e32 v[8:9], v1, v[4:5]
	s_delay_alu instid0(VALU_DEP_1)
	v_and_b32_e32 v0, 7, v8
; %bb.791:                              ;   in Loop: Header=BB285_15 Depth=1
	s_or_b32 exec_lo, exec_lo, s19
	v_lshlrev_b32_e32 v1, 8, v4
	v_lshl_add_u32 v6, v6, 10, 0x2000
	s_delay_alu instid0(VALU_DEP_3) | instskip(NEXT) | instid1(VALU_DEP_3)
	v_lshlrev_b32_e32 v0, 7, v0
	v_and_b32_e32 v1, 0x8000, v1
	s_delay_alu instid0(VALU_DEP_3) | instskip(NEXT) | instid1(VALU_DEP_1)
	v_and_b32_e32 v6, 0xfc00, v6
	v_or3_b32 v0, v1, v6, v0
	scratch_store_b32 off, v0, s32 offset:488 ; 4-byte Folded Spill
.LBB285_792:                            ;   in Loop: Header=BB285_15 Depth=1
	s_wait_xcnt 0x0
	s_or_b32 exec_lo, exec_lo, s18
.LBB285_793:                            ;   in Loop: Header=BB285_15 Depth=1
	s_delay_alu instid0(SALU_CYCLE_1)
	s_or_b32 exec_lo, exec_lo, s17
.LBB285_794:                            ;   in Loop: Header=BB285_15 Depth=1
	s_delay_alu instid0(SALU_CYCLE_1)
	s_or_b32 exec_lo, exec_lo, s16
	v_lshrrev_b16 v24, 8, v4
	v_dual_mov_b32 v0, 0 :: v_dual_mov_b32 v118, 0
	s_mov_b32 s16, exec_lo
	scratch_store_b32 off, v0, s32 offset:460 ; 4-byte Folded Spill
	s_wait_xcnt 0x0
	v_cmpx_ne_u16_e32 0, v24
	s_cbranch_execz .LBB285_802
; %bb.795:                              ;   in Loop: Header=BB285_15 Depth=1
	v_bfrev_b32_e32 v118, 1
	s_mov_b32 s17, exec_lo
	v_cmpx_ne_u16_e32 0x80, v24
	s_cbranch_execz .LBB285_801
; %bb.796:                              ;   in Loop: Header=BB285_15 Depth=1
	v_and_b32_e32 v0, 0xffff, v24
	v_mov_b32_e32 v118, 0x7c010000
	s_mov_b32 s18, exec_lo
	s_delay_alu instid0(VALU_DEP_2) | instskip(NEXT) | instid1(VALU_DEP_1)
	v_and_b32_e32 v9, 0x7f, v0
	v_cmpx_ne_u32_e32 0x7f, v9
	s_cbranch_execz .LBB285_800
; %bb.797:                              ;   in Loop: Header=BB285_15 Depth=1
	v_dual_lshrrev_b32 v8, 3, v9 :: v_dual_bitop2_b32 v6, 7, v0 bitop3:0x40
	s_mov_b32 s19, exec_lo
	v_cmpx_gt_u32_e32 8, v9
; %bb.798:                              ;   in Loop: Header=BB285_15 Depth=1
	s_delay_alu instid0(VALU_DEP_2) | instskip(NEXT) | instid1(VALU_DEP_1)
	v_clz_i32_u32_e32 v1, v6
	v_min_u32_e32 v1, 32, v1
	s_delay_alu instid0(VALU_DEP_1) | instskip(NEXT) | instid1(VALU_DEP_1)
	v_subrev_nc_u32_e32 v6, 28, v1
	v_lshlrev_b64_e32 v[16:17], v6, v[24:25]
	s_delay_alu instid0(VALU_DEP_1)
	v_dual_sub_nc_u32 v8, 29, v1 :: v_dual_bitop2_b32 v6, 7, v16 bitop3:0x40
; %bb.799:                              ;   in Loop: Header=BB285_15 Depth=1
	s_or_b32 exec_lo, exec_lo, s19
	v_lshlrev_b32_e32 v0, 8, v0
	s_delay_alu instid0(VALU_DEP_2) | instskip(NEXT) | instid1(VALU_DEP_1)
	v_lshl_add_u32 v1, v8, 10, 0x2000
	v_and_or_b32 v0, 0x8000, v0, v1
	v_lshlrev_b32_e32 v1, 23, v6
	s_delay_alu instid0(VALU_DEP_1)
	v_lshl_or_b32 v118, v0, 16, v1
.LBB285_800:                            ;   in Loop: Header=BB285_15 Depth=1
	s_or_b32 exec_lo, exec_lo, s18
.LBB285_801:                            ;   in Loop: Header=BB285_15 Depth=1
	s_delay_alu instid0(SALU_CYCLE_1)
	s_or_b32 exec_lo, exec_lo, s17
.LBB285_802:                            ;   in Loop: Header=BB285_15 Depth=1
	s_delay_alu instid0(SALU_CYCLE_1) | instskip(SKIP_2) | instid1(VALU_DEP_1)
	s_or_b32 exec_lo, exec_lo, s16
	v_lshrrev_b32_e32 v0, 16, v4
	s_mov_b32 s16, exec_lo
	v_and_b32_e32 v6, 0xff, v0
	s_delay_alu instid0(VALU_DEP_1)
	v_cmpx_ne_u16_e32 0, v6
	s_cbranch_execz .LBB285_810
; %bb.803:                              ;   in Loop: Header=BB285_15 Depth=1
	v_mov_b32_e32 v1, 0x8000
	s_mov_b32 s17, exec_lo
	scratch_store_b32 off, v1, s32 offset:460 ; 4-byte Folded Spill
	s_wait_xcnt 0x0
	v_cmpx_ne_u16_e32 0x80, v6
	s_cbranch_execz .LBB285_809
; %bb.804:                              ;   in Loop: Header=BB285_15 Depth=1
	v_bfe_u32 v9, v4, 16, 7
	v_mov_b32_e32 v1, 0x7c01
	s_mov_b32 s18, exec_lo
	scratch_store_b32 off, v1, s32 offset:460 ; 4-byte Folded Spill
	s_wait_xcnt 0x0
	v_cmpx_ne_u32_e32 0x7f, v9
	s_cbranch_execz .LBB285_808
; %bb.805:                              ;   in Loop: Header=BB285_15 Depth=1
	v_dual_lshrrev_b32 v8, 3, v9 :: v_dual_bitop2_b32 v6, 7, v0 bitop3:0x40
	s_mov_b32 s19, exec_lo
	v_cmpx_gt_u32_e32 8, v9
; %bb.806:                              ;   in Loop: Header=BB285_15 Depth=1
	s_delay_alu instid0(VALU_DEP_2) | instskip(NEXT) | instid1(VALU_DEP_1)
	v_clz_i32_u32_e32 v1, v6
	v_min_u32_e32 v1, 32, v1
	s_delay_alu instid0(VALU_DEP_1) | instskip(NEXT) | instid1(VALU_DEP_1)
	v_subrev_nc_u32_e32 v6, 28, v1
	v_lshlrev_b64_e32 v[16:17], v6, v[0:1]
	s_delay_alu instid0(VALU_DEP_1)
	v_dual_sub_nc_u32 v8, 29, v1 :: v_dual_bitop2_b32 v6, 7, v16 bitop3:0x40
; %bb.807:                              ;   in Loop: Header=BB285_15 Depth=1
	s_or_b32 exec_lo, exec_lo, s19
	s_delay_alu instid0(VALU_DEP_1) | instskip(NEXT) | instid1(VALU_DEP_2)
	v_dual_lshlrev_b32 v0, 8, v0 :: v_dual_lshlrev_b32 v6, 7, v6
	v_lshl_add_u32 v1, v8, 10, 0x2000
	s_delay_alu instid0(VALU_DEP_2) | instskip(NEXT) | instid1(VALU_DEP_2)
	v_and_b32_e32 v0, 0x8000, v0
	v_and_b32_e32 v1, 0xfc00, v1
	s_delay_alu instid0(VALU_DEP_1)
	v_or3_b32 v0, v0, v1, v6
	scratch_store_b32 off, v0, s32 offset:460 ; 4-byte Folded Spill
.LBB285_808:                            ;   in Loop: Header=BB285_15 Depth=1
	s_wait_xcnt 0x0
	s_or_b32 exec_lo, exec_lo, s18
.LBB285_809:                            ;   in Loop: Header=BB285_15 Depth=1
	s_delay_alu instid0(SALU_CYCLE_1)
	s_or_b32 exec_lo, exec_lo, s17
.LBB285_810:                            ;   in Loop: Header=BB285_15 Depth=1
	s_delay_alu instid0(SALU_CYCLE_1)
	s_or_b32 exec_lo, exec_lo, s16
	v_dual_mov_b32 v0, 0 :: v_dual_mov_b32 v90, 0
	s_mov_b32 s16, exec_lo
	scratch_store_b32 off, v0, s32 offset:468 ; 4-byte Folded Spill
	s_wait_xcnt 0x0
	v_cmpx_lt_u32_e32 0xffffff, v4
	s_cbranch_execz .LBB285_818
; %bb.811:                              ;   in Loop: Header=BB285_15 Depth=1
	v_lshrrev_b32_e32 v24, 24, v4
	v_bfrev_b32_e32 v90, 1
	s_mov_b32 s17, exec_lo
	s_delay_alu instid0(VALU_DEP_2)
	v_cmpx_ne_u32_e32 0x80, v24
	s_cbranch_execz .LBB285_817
; %bb.812:                              ;   in Loop: Header=BB285_15 Depth=1
	v_and_b32_e32 v8, 0x7f, v24
	v_mov_b32_e32 v90, 0x7c010000
	s_mov_b32 s18, exec_lo
	s_delay_alu instid0(VALU_DEP_2)
	v_cmpx_ne_u32_e32 0x7f, v8
	s_cbranch_execz .LBB285_816
; %bb.813:                              ;   in Loop: Header=BB285_15 Depth=1
	v_and_b32_e32 v0, 7, v24
	v_lshrrev_b32_e32 v6, 3, v8
	s_mov_b32 s19, exec_lo
	v_cmpx_gt_u32_e32 8, v8
; %bb.814:                              ;   in Loop: Header=BB285_15 Depth=1
	s_delay_alu instid0(VALU_DEP_3) | instskip(NEXT) | instid1(VALU_DEP_1)
	v_clz_i32_u32_e32 v0, v0
	v_min_u32_e32 v0, 32, v0
	s_delay_alu instid0(VALU_DEP_1) | instskip(SKIP_1) | instid1(VALU_DEP_2)
	v_subrev_nc_u32_e32 v1, 28, v0
	v_sub_nc_u32_e32 v6, 29, v0
	v_lshlrev_b64_e32 v[8:9], v1, v[24:25]
	s_delay_alu instid0(VALU_DEP_1)
	v_and_b32_e32 v0, 7, v8
; %bb.815:                              ;   in Loop: Header=BB285_15 Depth=1
	s_or_b32 exec_lo, exec_lo, s19
	v_lshlrev_b32_e32 v1, 8, v24
	v_lshl_add_u32 v6, v6, 10, 0x2000
	s_delay_alu instid0(VALU_DEP_3) | instskip(NEXT) | instid1(VALU_DEP_2)
	v_lshlrev_b32_e32 v0, 23, v0
	v_and_or_b32 v1, 0x8000, v1, v6
	s_delay_alu instid0(VALU_DEP_1)
	v_lshl_or_b32 v90, v1, 16, v0
.LBB285_816:                            ;   in Loop: Header=BB285_15 Depth=1
	s_or_b32 exec_lo, exec_lo, s18
.LBB285_817:                            ;   in Loop: Header=BB285_15 Depth=1
	s_delay_alu instid0(SALU_CYCLE_1)
	s_or_b32 exec_lo, exec_lo, s17
.LBB285_818:                            ;   in Loop: Header=BB285_15 Depth=1
	s_delay_alu instid0(SALU_CYCLE_1) | instskip(SKIP_3) | instid1(VALU_DEP_2)
	s_or_b32 exec_lo, exec_lo, s16
	v_and_b32_e32 v0, 0xff, v5
	v_mov_b32_e32 v24, v5
	s_mov_b32 s16, exec_lo
	v_cmpx_ne_u16_e32 0, v0
	s_cbranch_execz .LBB285_826
; %bb.819:                              ;   in Loop: Header=BB285_15 Depth=1
	v_cmp_ne_u16_e64 s1, 0x80, v0
	v_mov_b32_e32 v0, 0x8000
	scratch_store_b32 off, v0, s32 offset:468 ; 4-byte Folded Spill
	s_wait_xcnt 0x0
	s_and_saveexec_b32 s17, s1
	s_cbranch_execz .LBB285_825
; %bb.820:                              ;   in Loop: Header=BB285_15 Depth=1
	v_and_b32_e32 v8, 0x7f, v5
	v_mov_b32_e32 v0, 0x7c01
	s_mov_b32 s18, exec_lo
	scratch_store_b32 off, v0, s32 offset:468 ; 4-byte Folded Spill
	s_wait_xcnt 0x0
	v_cmpx_ne_u32_e32 0x7f, v8
	s_cbranch_execz .LBB285_824
; %bb.821:                              ;   in Loop: Header=BB285_15 Depth=1
	v_dual_lshrrev_b32 v6, 3, v8 :: v_dual_bitop2_b32 v0, 7, v5 bitop3:0x40
	s_mov_b32 s19, exec_lo
	v_cmpx_gt_u32_e32 8, v8
; %bb.822:                              ;   in Loop: Header=BB285_15 Depth=1
	s_delay_alu instid0(VALU_DEP_2) | instskip(NEXT) | instid1(VALU_DEP_1)
	v_clz_i32_u32_e32 v0, v0
	v_min_u32_e32 v0, 32, v0
	s_delay_alu instid0(VALU_DEP_1) | instskip(SKIP_1) | instid1(VALU_DEP_2)
	v_subrev_nc_u32_e32 v1, 28, v0
	v_sub_nc_u32_e32 v6, 29, v0
	v_lshlrev_b64_e32 v[8:9], v1, v[24:25]
	s_delay_alu instid0(VALU_DEP_1)
	v_and_b32_e32 v0, 7, v8
; %bb.823:                              ;   in Loop: Header=BB285_15 Depth=1
	s_or_b32 exec_lo, exec_lo, s19
	s_delay_alu instid0(VALU_DEP_1) | instskip(SKIP_1) | instid1(VALU_DEP_2)
	v_dual_lshlrev_b32 v1, 8, v5 :: v_dual_lshlrev_b32 v0, 7, v0
	v_lshl_add_u32 v6, v6, 10, 0x2000
	v_and_b32_e32 v1, 0x8000, v1
	s_delay_alu instid0(VALU_DEP_2) | instskip(NEXT) | instid1(VALU_DEP_1)
	v_and_b32_e32 v6, 0xfc00, v6
	v_or3_b32 v0, v1, v6, v0
	scratch_store_b32 off, v0, s32 offset:468 ; 4-byte Folded Spill
.LBB285_824:                            ;   in Loop: Header=BB285_15 Depth=1
	s_wait_xcnt 0x0
	s_or_b32 exec_lo, exec_lo, s18
.LBB285_825:                            ;   in Loop: Header=BB285_15 Depth=1
	s_delay_alu instid0(SALU_CYCLE_1)
	s_or_b32 exec_lo, exec_lo, s17
.LBB285_826:                            ;   in Loop: Header=BB285_15 Depth=1
	s_delay_alu instid0(SALU_CYCLE_1)
	s_or_b32 exec_lo, exec_lo, s16
	v_lshrrev_b16 v24, 8, v24
	v_dual_mov_b32 v0, 0 :: v_dual_mov_b32 v84, 0
	s_mov_b32 s16, exec_lo
	scratch_store_b32 off, v0, s32 offset:476 ; 4-byte Folded Spill
	s_wait_xcnt 0x0
	v_cmpx_ne_u16_e32 0, v24
	s_cbranch_execz .LBB285_834
; %bb.827:                              ;   in Loop: Header=BB285_15 Depth=1
	v_bfrev_b32_e32 v84, 1
	s_mov_b32 s17, exec_lo
	v_cmpx_ne_u16_e32 0x80, v24
	s_cbranch_execz .LBB285_833
; %bb.828:                              ;   in Loop: Header=BB285_15 Depth=1
	v_and_b32_e32 v0, 0xffff, v24
	v_mov_b32_e32 v84, 0x7c010000
	s_mov_b32 s18, exec_lo
	s_delay_alu instid0(VALU_DEP_2) | instskip(NEXT) | instid1(VALU_DEP_1)
	v_and_b32_e32 v9, 0x7f, v0
	v_cmpx_ne_u32_e32 0x7f, v9
	s_cbranch_execz .LBB285_832
; %bb.829:                              ;   in Loop: Header=BB285_15 Depth=1
	v_dual_lshrrev_b32 v8, 3, v9 :: v_dual_bitop2_b32 v6, 7, v0 bitop3:0x40
	s_mov_b32 s19, exec_lo
	v_cmpx_gt_u32_e32 8, v9
; %bb.830:                              ;   in Loop: Header=BB285_15 Depth=1
	s_delay_alu instid0(VALU_DEP_2) | instskip(NEXT) | instid1(VALU_DEP_1)
	v_clz_i32_u32_e32 v1, v6
	v_min_u32_e32 v1, 32, v1
	s_delay_alu instid0(VALU_DEP_1) | instskip(NEXT) | instid1(VALU_DEP_1)
	v_subrev_nc_u32_e32 v6, 28, v1
	v_lshlrev_b64_e32 v[16:17], v6, v[24:25]
	s_delay_alu instid0(VALU_DEP_1)
	v_dual_sub_nc_u32 v8, 29, v1 :: v_dual_bitop2_b32 v6, 7, v16 bitop3:0x40
; %bb.831:                              ;   in Loop: Header=BB285_15 Depth=1
	s_or_b32 exec_lo, exec_lo, s19
	v_lshlrev_b32_e32 v0, 8, v0
	s_delay_alu instid0(VALU_DEP_2) | instskip(NEXT) | instid1(VALU_DEP_1)
	v_lshl_add_u32 v1, v8, 10, 0x2000
	v_and_or_b32 v0, 0x8000, v0, v1
	v_lshlrev_b32_e32 v1, 23, v6
	s_delay_alu instid0(VALU_DEP_1)
	v_lshl_or_b32 v84, v0, 16, v1
.LBB285_832:                            ;   in Loop: Header=BB285_15 Depth=1
	s_or_b32 exec_lo, exec_lo, s18
.LBB285_833:                            ;   in Loop: Header=BB285_15 Depth=1
	s_delay_alu instid0(SALU_CYCLE_1)
	s_or_b32 exec_lo, exec_lo, s17
.LBB285_834:                            ;   in Loop: Header=BB285_15 Depth=1
	s_delay_alu instid0(SALU_CYCLE_1) | instskip(SKIP_2) | instid1(VALU_DEP_1)
	s_or_b32 exec_lo, exec_lo, s16
	v_lshrrev_b32_e32 v0, 16, v5
	s_mov_b32 s16, exec_lo
	v_and_b32_e32 v6, 0xff, v0
	s_delay_alu instid0(VALU_DEP_1)
	v_cmpx_ne_u16_e32 0, v6
	s_cbranch_execz .LBB285_842
; %bb.835:                              ;   in Loop: Header=BB285_15 Depth=1
	v_mov_b32_e32 v1, 0x8000
	s_mov_b32 s17, exec_lo
	scratch_store_b32 off, v1, s32 offset:476 ; 4-byte Folded Spill
	s_wait_xcnt 0x0
	v_cmpx_ne_u16_e32 0x80, v6
	s_cbranch_execz .LBB285_841
; %bb.836:                              ;   in Loop: Header=BB285_15 Depth=1
	v_bfe_u32 v9, v5, 16, 7
	v_mov_b32_e32 v1, 0x7c01
	s_mov_b32 s18, exec_lo
	scratch_store_b32 off, v1, s32 offset:476 ; 4-byte Folded Spill
	s_wait_xcnt 0x0
	v_cmpx_ne_u32_e32 0x7f, v9
	s_cbranch_execz .LBB285_840
; %bb.837:                              ;   in Loop: Header=BB285_15 Depth=1
	v_dual_lshrrev_b32 v8, 3, v9 :: v_dual_bitop2_b32 v6, 7, v0 bitop3:0x40
	s_mov_b32 s19, exec_lo
	v_cmpx_gt_u32_e32 8, v9
; %bb.838:                              ;   in Loop: Header=BB285_15 Depth=1
	s_delay_alu instid0(VALU_DEP_2) | instskip(NEXT) | instid1(VALU_DEP_1)
	v_clz_i32_u32_e32 v1, v6
	v_min_u32_e32 v1, 32, v1
	s_delay_alu instid0(VALU_DEP_1) | instskip(NEXT) | instid1(VALU_DEP_1)
	v_subrev_nc_u32_e32 v6, 28, v1
	v_lshlrev_b64_e32 v[16:17], v6, v[0:1]
	s_delay_alu instid0(VALU_DEP_1)
	v_dual_sub_nc_u32 v8, 29, v1 :: v_dual_bitop2_b32 v6, 7, v16 bitop3:0x40
; %bb.839:                              ;   in Loop: Header=BB285_15 Depth=1
	s_or_b32 exec_lo, exec_lo, s19
	s_delay_alu instid0(VALU_DEP_1) | instskip(NEXT) | instid1(VALU_DEP_2)
	v_dual_lshlrev_b32 v0, 8, v0 :: v_dual_lshlrev_b32 v6, 7, v6
	v_lshl_add_u32 v1, v8, 10, 0x2000
	s_delay_alu instid0(VALU_DEP_2) | instskip(NEXT) | instid1(VALU_DEP_2)
	v_and_b32_e32 v0, 0x8000, v0
	v_and_b32_e32 v1, 0xfc00, v1
	s_delay_alu instid0(VALU_DEP_1)
	v_or3_b32 v0, v0, v1, v6
	scratch_store_b32 off, v0, s32 offset:476 ; 4-byte Folded Spill
.LBB285_840:                            ;   in Loop: Header=BB285_15 Depth=1
	s_wait_xcnt 0x0
	s_or_b32 exec_lo, exec_lo, s18
.LBB285_841:                            ;   in Loop: Header=BB285_15 Depth=1
	s_delay_alu instid0(SALU_CYCLE_1)
	s_or_b32 exec_lo, exec_lo, s17
.LBB285_842:                            ;   in Loop: Header=BB285_15 Depth=1
	s_delay_alu instid0(SALU_CYCLE_1)
	s_or_b32 exec_lo, exec_lo, s16
	v_dual_mov_b32 v0, 0 :: v_dual_mov_b32 v102, 0
	s_mov_b32 s16, exec_lo
	scratch_store_b32 off, v0, s32 offset:484 ; 4-byte Folded Spill
	s_wait_xcnt 0x0
	v_cmpx_lt_u64_e64 s[8:9], v[4:5]
	s_cbranch_execz .LBB285_850
; %bb.843:                              ;   in Loop: Header=BB285_15 Depth=1
	v_lshrrev_b32_e32 v24, 24, v5
	v_bfrev_b32_e32 v102, 1
	s_mov_b32 s17, exec_lo
	s_delay_alu instid0(VALU_DEP_2)
	v_cmpx_ne_u32_e32 0x80, v24
	s_cbranch_execz .LBB285_849
; %bb.844:                              ;   in Loop: Header=BB285_15 Depth=1
	v_and_b32_e32 v5, 0x7f, v24
	v_mov_b32_e32 v102, 0x7c010000
	s_mov_b32 s18, exec_lo
	s_delay_alu instid0(VALU_DEP_2)
	v_cmpx_ne_u32_e32 0x7f, v5
	s_cbranch_execz .LBB285_848
; %bb.845:                              ;   in Loop: Header=BB285_15 Depth=1
	v_dual_lshrrev_b32 v4, 3, v5 :: v_dual_bitop2_b32 v0, 7, v24 bitop3:0x40
	s_mov_b32 s19, exec_lo
	v_cmpx_gt_u32_e32 8, v5
; %bb.846:                              ;   in Loop: Header=BB285_15 Depth=1
	s_delay_alu instid0(VALU_DEP_2) | instskip(NEXT) | instid1(VALU_DEP_1)
	v_clz_i32_u32_e32 v0, v0
	v_min_u32_e32 v0, 32, v0
	s_delay_alu instid0(VALU_DEP_1) | instskip(SKIP_1) | instid1(VALU_DEP_2)
	v_subrev_nc_u32_e32 v1, 28, v0
	v_sub_nc_u32_e32 v4, 29, v0
	v_lshlrev_b64_e32 v[8:9], v1, v[24:25]
	s_delay_alu instid0(VALU_DEP_1)
	v_and_b32_e32 v0, 7, v8
; %bb.847:                              ;   in Loop: Header=BB285_15 Depth=1
	s_or_b32 exec_lo, exec_lo, s19
	v_lshlrev_b32_e32 v1, 8, v24
	v_lshl_add_u32 v4, v4, 10, 0x2000
	s_delay_alu instid0(VALU_DEP_3) | instskip(NEXT) | instid1(VALU_DEP_2)
	v_lshlrev_b32_e32 v0, 23, v0
	v_and_or_b32 v1, 0x8000, v1, v4
	s_delay_alu instid0(VALU_DEP_1)
	v_lshl_or_b32 v102, v1, 16, v0
.LBB285_848:                            ;   in Loop: Header=BB285_15 Depth=1
	s_or_b32 exec_lo, exec_lo, s18
.LBB285_849:                            ;   in Loop: Header=BB285_15 Depth=1
	s_delay_alu instid0(SALU_CYCLE_1)
	s_or_b32 exec_lo, exec_lo, s17
.LBB285_850:                            ;   in Loop: Header=BB285_15 Depth=1
	s_delay_alu instid0(SALU_CYCLE_1)
	s_or_b32 exec_lo, exec_lo, s16
	flat_load_b64 v[4:5], v[2:3] offset:3080
	s_mov_b32 s16, exec_lo
	s_wait_loadcnt_dscnt 0x0
	v_and_b32_e32 v0, 0xff, v4
	s_wait_xcnt 0x0
	s_delay_alu instid0(VALU_DEP_1)
	v_cmpx_ne_u16_e32 0, v0
	s_cbranch_execz .LBB285_858
; %bb.851:                              ;   in Loop: Header=BB285_15 Depth=1
	v_cmp_ne_u16_e64 s1, 0x80, v0
	v_mov_b32_e32 v0, 0x8000
	scratch_store_b32 off, v0, s32 offset:484 ; 4-byte Folded Spill
	s_wait_xcnt 0x0
	s_and_saveexec_b32 s17, s1
	s_cbranch_execz .LBB285_857
; %bb.852:                              ;   in Loop: Header=BB285_15 Depth=1
	v_and_b32_e32 v8, 0x7f, v4
	v_mov_b32_e32 v0, 0x7c01
	s_mov_b32 s18, exec_lo
	scratch_store_b32 off, v0, s32 offset:484 ; 4-byte Folded Spill
	s_wait_xcnt 0x0
	v_cmpx_ne_u32_e32 0x7f, v8
	s_cbranch_execz .LBB285_856
; %bb.853:                              ;   in Loop: Header=BB285_15 Depth=1
	v_and_b32_e32 v0, 7, v4
	v_lshrrev_b32_e32 v6, 3, v8
	s_mov_b32 s19, exec_lo
	v_cmpx_gt_u32_e32 8, v8
; %bb.854:                              ;   in Loop: Header=BB285_15 Depth=1
	s_delay_alu instid0(VALU_DEP_3) | instskip(NEXT) | instid1(VALU_DEP_1)
	v_clz_i32_u32_e32 v0, v0
	v_min_u32_e32 v0, 32, v0
	s_delay_alu instid0(VALU_DEP_1) | instskip(SKIP_1) | instid1(VALU_DEP_2)
	v_subrev_nc_u32_e32 v1, 28, v0
	v_sub_nc_u32_e32 v6, 29, v0
	v_lshlrev_b64_e32 v[8:9], v1, v[4:5]
	s_delay_alu instid0(VALU_DEP_1)
	v_and_b32_e32 v0, 7, v8
; %bb.855:                              ;   in Loop: Header=BB285_15 Depth=1
	s_or_b32 exec_lo, exec_lo, s19
	v_lshlrev_b32_e32 v1, 8, v4
	v_lshl_add_u32 v6, v6, 10, 0x2000
	s_delay_alu instid0(VALU_DEP_3) | instskip(NEXT) | instid1(VALU_DEP_3)
	v_lshlrev_b32_e32 v0, 7, v0
	v_and_b32_e32 v1, 0x8000, v1
	s_delay_alu instid0(VALU_DEP_3) | instskip(NEXT) | instid1(VALU_DEP_1)
	v_and_b32_e32 v6, 0xfc00, v6
	v_or3_b32 v0, v1, v6, v0
	scratch_store_b32 off, v0, s32 offset:484 ; 4-byte Folded Spill
.LBB285_856:                            ;   in Loop: Header=BB285_15 Depth=1
	s_wait_xcnt 0x0
	s_or_b32 exec_lo, exec_lo, s18
.LBB285_857:                            ;   in Loop: Header=BB285_15 Depth=1
	s_delay_alu instid0(SALU_CYCLE_1)
	s_or_b32 exec_lo, exec_lo, s17
.LBB285_858:                            ;   in Loop: Header=BB285_15 Depth=1
	s_delay_alu instid0(SALU_CYCLE_1)
	s_or_b32 exec_lo, exec_lo, s16
	v_lshrrev_b16 v24, 8, v4
	v_dual_mov_b32 v0, 0 :: v_dual_mov_b32 v108, 0
	s_mov_b32 s16, exec_lo
	scratch_store_b32 off, v0, s32 offset:492 ; 4-byte Folded Spill
	s_wait_xcnt 0x0
	v_cmpx_ne_u16_e32 0, v24
	s_cbranch_execz .LBB285_866
; %bb.859:                              ;   in Loop: Header=BB285_15 Depth=1
	v_bfrev_b32_e32 v108, 1
	s_mov_b32 s17, exec_lo
	v_cmpx_ne_u16_e32 0x80, v24
	s_cbranch_execz .LBB285_865
; %bb.860:                              ;   in Loop: Header=BB285_15 Depth=1
	v_and_b32_e32 v0, 0xffff, v24
	v_mov_b32_e32 v108, 0x7c010000
	s_mov_b32 s18, exec_lo
	s_delay_alu instid0(VALU_DEP_2) | instskip(NEXT) | instid1(VALU_DEP_1)
	v_and_b32_e32 v9, 0x7f, v0
	v_cmpx_ne_u32_e32 0x7f, v9
	s_cbranch_execz .LBB285_864
; %bb.861:                              ;   in Loop: Header=BB285_15 Depth=1
	v_dual_lshrrev_b32 v8, 3, v9 :: v_dual_bitop2_b32 v6, 7, v0 bitop3:0x40
	s_mov_b32 s19, exec_lo
	v_cmpx_gt_u32_e32 8, v9
; %bb.862:                              ;   in Loop: Header=BB285_15 Depth=1
	s_delay_alu instid0(VALU_DEP_2) | instskip(NEXT) | instid1(VALU_DEP_1)
	v_clz_i32_u32_e32 v1, v6
	v_min_u32_e32 v1, 32, v1
	s_delay_alu instid0(VALU_DEP_1) | instskip(NEXT) | instid1(VALU_DEP_1)
	v_subrev_nc_u32_e32 v6, 28, v1
	v_lshlrev_b64_e32 v[16:17], v6, v[24:25]
	s_delay_alu instid0(VALU_DEP_1)
	v_dual_sub_nc_u32 v8, 29, v1 :: v_dual_bitop2_b32 v6, 7, v16 bitop3:0x40
; %bb.863:                              ;   in Loop: Header=BB285_15 Depth=1
	s_or_b32 exec_lo, exec_lo, s19
	v_lshlrev_b32_e32 v0, 8, v0
	s_delay_alu instid0(VALU_DEP_2) | instskip(NEXT) | instid1(VALU_DEP_1)
	v_lshl_add_u32 v1, v8, 10, 0x2000
	v_and_or_b32 v0, 0x8000, v0, v1
	v_lshlrev_b32_e32 v1, 23, v6
	s_delay_alu instid0(VALU_DEP_1)
	v_lshl_or_b32 v108, v0, 16, v1
.LBB285_864:                            ;   in Loop: Header=BB285_15 Depth=1
	s_or_b32 exec_lo, exec_lo, s18
.LBB285_865:                            ;   in Loop: Header=BB285_15 Depth=1
	s_delay_alu instid0(SALU_CYCLE_1)
	s_or_b32 exec_lo, exec_lo, s17
.LBB285_866:                            ;   in Loop: Header=BB285_15 Depth=1
	s_delay_alu instid0(SALU_CYCLE_1) | instskip(SKIP_2) | instid1(VALU_DEP_1)
	s_or_b32 exec_lo, exec_lo, s16
	v_lshrrev_b32_e32 v0, 16, v4
	s_mov_b32 s16, exec_lo
	v_and_b32_e32 v6, 0xff, v0
	s_delay_alu instid0(VALU_DEP_1)
	v_cmpx_ne_u16_e32 0, v6
	s_cbranch_execz .LBB285_874
; %bb.867:                              ;   in Loop: Header=BB285_15 Depth=1
	v_mov_b32_e32 v1, 0x8000
	s_mov_b32 s17, exec_lo
	scratch_store_b32 off, v1, s32 offset:492 ; 4-byte Folded Spill
	s_wait_xcnt 0x0
	v_cmpx_ne_u16_e32 0x80, v6
	s_cbranch_execz .LBB285_873
; %bb.868:                              ;   in Loop: Header=BB285_15 Depth=1
	v_bfe_u32 v9, v4, 16, 7
	v_mov_b32_e32 v1, 0x7c01
	s_mov_b32 s18, exec_lo
	scratch_store_b32 off, v1, s32 offset:492 ; 4-byte Folded Spill
	s_wait_xcnt 0x0
	v_cmpx_ne_u32_e32 0x7f, v9
	s_cbranch_execz .LBB285_872
; %bb.869:                              ;   in Loop: Header=BB285_15 Depth=1
	v_dual_lshrrev_b32 v8, 3, v9 :: v_dual_bitop2_b32 v6, 7, v0 bitop3:0x40
	s_mov_b32 s19, exec_lo
	v_cmpx_gt_u32_e32 8, v9
; %bb.870:                              ;   in Loop: Header=BB285_15 Depth=1
	s_delay_alu instid0(VALU_DEP_2) | instskip(NEXT) | instid1(VALU_DEP_1)
	v_clz_i32_u32_e32 v1, v6
	v_min_u32_e32 v1, 32, v1
	s_delay_alu instid0(VALU_DEP_1) | instskip(NEXT) | instid1(VALU_DEP_1)
	v_subrev_nc_u32_e32 v6, 28, v1
	v_lshlrev_b64_e32 v[16:17], v6, v[0:1]
	s_delay_alu instid0(VALU_DEP_1)
	v_dual_sub_nc_u32 v8, 29, v1 :: v_dual_bitop2_b32 v6, 7, v16 bitop3:0x40
; %bb.871:                              ;   in Loop: Header=BB285_15 Depth=1
	s_or_b32 exec_lo, exec_lo, s19
	s_delay_alu instid0(VALU_DEP_1) | instskip(NEXT) | instid1(VALU_DEP_2)
	v_dual_lshlrev_b32 v0, 8, v0 :: v_dual_lshlrev_b32 v6, 7, v6
	v_lshl_add_u32 v1, v8, 10, 0x2000
	s_delay_alu instid0(VALU_DEP_2) | instskip(NEXT) | instid1(VALU_DEP_2)
	v_and_b32_e32 v0, 0x8000, v0
	v_and_b32_e32 v1, 0xfc00, v1
	s_delay_alu instid0(VALU_DEP_1)
	v_or3_b32 v0, v0, v1, v6
	scratch_store_b32 off, v0, s32 offset:492 ; 4-byte Folded Spill
.LBB285_872:                            ;   in Loop: Header=BB285_15 Depth=1
	s_wait_xcnt 0x0
	s_or_b32 exec_lo, exec_lo, s18
.LBB285_873:                            ;   in Loop: Header=BB285_15 Depth=1
	s_delay_alu instid0(SALU_CYCLE_1)
	s_or_b32 exec_lo, exec_lo, s17
.LBB285_874:                            ;   in Loop: Header=BB285_15 Depth=1
	s_delay_alu instid0(SALU_CYCLE_1)
	s_or_b32 exec_lo, exec_lo, s16
	v_dual_mov_b32 v0, 0 :: v_dual_mov_b32 v56, 0
	s_mov_b32 s16, exec_lo
	scratch_store_b32 off, v0, s32 offset:496 ; 4-byte Folded Spill
	s_wait_xcnt 0x0
	v_cmpx_lt_u32_e32 0xffffff, v4
	s_cbranch_execz .LBB285_882
; %bb.875:                              ;   in Loop: Header=BB285_15 Depth=1
	v_lshrrev_b32_e32 v24, 24, v4
	v_bfrev_b32_e32 v56, 1
	s_mov_b32 s17, exec_lo
	s_delay_alu instid0(VALU_DEP_2)
	v_cmpx_ne_u32_e32 0x80, v24
	s_cbranch_execz .LBB285_881
; %bb.876:                              ;   in Loop: Header=BB285_15 Depth=1
	v_and_b32_e32 v8, 0x7f, v24
	v_mov_b32_e32 v56, 0x7c010000
	s_mov_b32 s18, exec_lo
	s_delay_alu instid0(VALU_DEP_2)
	v_cmpx_ne_u32_e32 0x7f, v8
	s_cbranch_execz .LBB285_880
; %bb.877:                              ;   in Loop: Header=BB285_15 Depth=1
	v_and_b32_e32 v0, 7, v24
	v_lshrrev_b32_e32 v6, 3, v8
	s_mov_b32 s19, exec_lo
	v_cmpx_gt_u32_e32 8, v8
; %bb.878:                              ;   in Loop: Header=BB285_15 Depth=1
	s_delay_alu instid0(VALU_DEP_3) | instskip(NEXT) | instid1(VALU_DEP_1)
	v_clz_i32_u32_e32 v0, v0
	v_min_u32_e32 v0, 32, v0
	s_delay_alu instid0(VALU_DEP_1) | instskip(SKIP_1) | instid1(VALU_DEP_2)
	v_subrev_nc_u32_e32 v1, 28, v0
	v_sub_nc_u32_e32 v6, 29, v0
	v_lshlrev_b64_e32 v[8:9], v1, v[24:25]
	s_delay_alu instid0(VALU_DEP_1)
	v_and_b32_e32 v0, 7, v8
; %bb.879:                              ;   in Loop: Header=BB285_15 Depth=1
	s_or_b32 exec_lo, exec_lo, s19
	v_lshlrev_b32_e32 v1, 8, v24
	v_lshl_add_u32 v6, v6, 10, 0x2000
	s_delay_alu instid0(VALU_DEP_3) | instskip(NEXT) | instid1(VALU_DEP_2)
	v_lshlrev_b32_e32 v0, 23, v0
	v_and_or_b32 v1, 0x8000, v1, v6
	s_delay_alu instid0(VALU_DEP_1)
	v_lshl_or_b32 v56, v1, 16, v0
.LBB285_880:                            ;   in Loop: Header=BB285_15 Depth=1
	s_or_b32 exec_lo, exec_lo, s18
.LBB285_881:                            ;   in Loop: Header=BB285_15 Depth=1
	s_delay_alu instid0(SALU_CYCLE_1)
	s_or_b32 exec_lo, exec_lo, s17
.LBB285_882:                            ;   in Loop: Header=BB285_15 Depth=1
	s_delay_alu instid0(SALU_CYCLE_1) | instskip(SKIP_3) | instid1(VALU_DEP_2)
	s_or_b32 exec_lo, exec_lo, s16
	v_and_b32_e32 v0, 0xff, v5
	v_mov_b32_e32 v24, v5
	s_mov_b32 s16, exec_lo
	v_cmpx_ne_u16_e32 0, v0
	s_cbranch_execz .LBB285_890
; %bb.883:                              ;   in Loop: Header=BB285_15 Depth=1
	v_cmp_ne_u16_e64 s1, 0x80, v0
	v_mov_b32_e32 v0, 0x8000
	scratch_store_b32 off, v0, s32 offset:496 ; 4-byte Folded Spill
	s_wait_xcnt 0x0
	s_and_saveexec_b32 s17, s1
	s_cbranch_execz .LBB285_889
; %bb.884:                              ;   in Loop: Header=BB285_15 Depth=1
	v_and_b32_e32 v8, 0x7f, v5
	v_mov_b32_e32 v0, 0x7c01
	s_mov_b32 s18, exec_lo
	scratch_store_b32 off, v0, s32 offset:496 ; 4-byte Folded Spill
	s_wait_xcnt 0x0
	v_cmpx_ne_u32_e32 0x7f, v8
	s_cbranch_execz .LBB285_888
; %bb.885:                              ;   in Loop: Header=BB285_15 Depth=1
	v_dual_lshrrev_b32 v6, 3, v8 :: v_dual_bitop2_b32 v0, 7, v5 bitop3:0x40
	s_mov_b32 s19, exec_lo
	v_cmpx_gt_u32_e32 8, v8
; %bb.886:                              ;   in Loop: Header=BB285_15 Depth=1
	s_delay_alu instid0(VALU_DEP_2) | instskip(NEXT) | instid1(VALU_DEP_1)
	v_clz_i32_u32_e32 v0, v0
	v_min_u32_e32 v0, 32, v0
	s_delay_alu instid0(VALU_DEP_1) | instskip(SKIP_1) | instid1(VALU_DEP_2)
	v_subrev_nc_u32_e32 v1, 28, v0
	v_sub_nc_u32_e32 v6, 29, v0
	v_lshlrev_b64_e32 v[8:9], v1, v[24:25]
	s_delay_alu instid0(VALU_DEP_1)
	v_and_b32_e32 v0, 7, v8
; %bb.887:                              ;   in Loop: Header=BB285_15 Depth=1
	s_or_b32 exec_lo, exec_lo, s19
	s_delay_alu instid0(VALU_DEP_1) | instskip(SKIP_1) | instid1(VALU_DEP_2)
	v_dual_lshlrev_b32 v1, 8, v5 :: v_dual_lshlrev_b32 v0, 7, v0
	v_lshl_add_u32 v6, v6, 10, 0x2000
	v_and_b32_e32 v1, 0x8000, v1
	s_delay_alu instid0(VALU_DEP_2) | instskip(NEXT) | instid1(VALU_DEP_1)
	v_and_b32_e32 v6, 0xfc00, v6
	v_or3_b32 v0, v1, v6, v0
	scratch_store_b32 off, v0, s32 offset:496 ; 4-byte Folded Spill
.LBB285_888:                            ;   in Loop: Header=BB285_15 Depth=1
	s_wait_xcnt 0x0
	s_or_b32 exec_lo, exec_lo, s18
.LBB285_889:                            ;   in Loop: Header=BB285_15 Depth=1
	s_delay_alu instid0(SALU_CYCLE_1)
	s_or_b32 exec_lo, exec_lo, s17
.LBB285_890:                            ;   in Loop: Header=BB285_15 Depth=1
	s_delay_alu instid0(SALU_CYCLE_1)
	s_or_b32 exec_lo, exec_lo, s16
	v_lshrrev_b16 v24, 8, v24
	v_dual_mov_b32 v0, 0 :: v_dual_mov_b32 v62, 0
	s_mov_b32 s16, exec_lo
	scratch_store_b32 off, v0, s32 offset:500 ; 4-byte Folded Spill
	s_wait_xcnt 0x0
	v_cmpx_ne_u16_e32 0, v24
	s_cbranch_execz .LBB285_898
; %bb.891:                              ;   in Loop: Header=BB285_15 Depth=1
	v_bfrev_b32_e32 v62, 1
	s_mov_b32 s17, exec_lo
	v_cmpx_ne_u16_e32 0x80, v24
	s_cbranch_execz .LBB285_897
; %bb.892:                              ;   in Loop: Header=BB285_15 Depth=1
	v_and_b32_e32 v0, 0xffff, v24
	v_mov_b32_e32 v62, 0x7c010000
	s_mov_b32 s18, exec_lo
	s_delay_alu instid0(VALU_DEP_2) | instskip(NEXT) | instid1(VALU_DEP_1)
	v_and_b32_e32 v9, 0x7f, v0
	v_cmpx_ne_u32_e32 0x7f, v9
	s_cbranch_execz .LBB285_896
; %bb.893:                              ;   in Loop: Header=BB285_15 Depth=1
	v_dual_lshrrev_b32 v8, 3, v9 :: v_dual_bitop2_b32 v6, 7, v0 bitop3:0x40
	s_mov_b32 s19, exec_lo
	v_cmpx_gt_u32_e32 8, v9
; %bb.894:                              ;   in Loop: Header=BB285_15 Depth=1
	s_delay_alu instid0(VALU_DEP_2) | instskip(NEXT) | instid1(VALU_DEP_1)
	v_clz_i32_u32_e32 v1, v6
	v_min_u32_e32 v1, 32, v1
	s_delay_alu instid0(VALU_DEP_1) | instskip(NEXT) | instid1(VALU_DEP_1)
	v_subrev_nc_u32_e32 v6, 28, v1
	v_lshlrev_b64_e32 v[16:17], v6, v[24:25]
	s_delay_alu instid0(VALU_DEP_1)
	v_dual_sub_nc_u32 v8, 29, v1 :: v_dual_bitop2_b32 v6, 7, v16 bitop3:0x40
; %bb.895:                              ;   in Loop: Header=BB285_15 Depth=1
	s_or_b32 exec_lo, exec_lo, s19
	v_lshlrev_b32_e32 v0, 8, v0
	s_delay_alu instid0(VALU_DEP_2) | instskip(NEXT) | instid1(VALU_DEP_1)
	v_lshl_add_u32 v1, v8, 10, 0x2000
	v_and_or_b32 v0, 0x8000, v0, v1
	v_lshlrev_b32_e32 v1, 23, v6
	s_delay_alu instid0(VALU_DEP_1)
	v_lshl_or_b32 v62, v0, 16, v1
.LBB285_896:                            ;   in Loop: Header=BB285_15 Depth=1
	s_or_b32 exec_lo, exec_lo, s18
.LBB285_897:                            ;   in Loop: Header=BB285_15 Depth=1
	s_delay_alu instid0(SALU_CYCLE_1)
	s_or_b32 exec_lo, exec_lo, s17
.LBB285_898:                            ;   in Loop: Header=BB285_15 Depth=1
	s_delay_alu instid0(SALU_CYCLE_1) | instskip(SKIP_2) | instid1(VALU_DEP_1)
	s_or_b32 exec_lo, exec_lo, s16
	v_lshrrev_b32_e32 v0, 16, v5
	s_mov_b32 s16, exec_lo
	v_and_b32_e32 v6, 0xff, v0
	s_delay_alu instid0(VALU_DEP_1)
	v_cmpx_ne_u16_e32 0, v6
	s_cbranch_execz .LBB285_906
; %bb.899:                              ;   in Loop: Header=BB285_15 Depth=1
	v_mov_b32_e32 v1, 0x8000
	s_mov_b32 s17, exec_lo
	scratch_store_b32 off, v1, s32 offset:500 ; 4-byte Folded Spill
	s_wait_xcnt 0x0
	v_cmpx_ne_u16_e32 0x80, v6
	s_cbranch_execz .LBB285_905
; %bb.900:                              ;   in Loop: Header=BB285_15 Depth=1
	v_bfe_u32 v9, v5, 16, 7
	v_mov_b32_e32 v1, 0x7c01
	s_mov_b32 s18, exec_lo
	scratch_store_b32 off, v1, s32 offset:500 ; 4-byte Folded Spill
	s_wait_xcnt 0x0
	v_cmpx_ne_u32_e32 0x7f, v9
	s_cbranch_execz .LBB285_904
; %bb.901:                              ;   in Loop: Header=BB285_15 Depth=1
	v_dual_lshrrev_b32 v8, 3, v9 :: v_dual_bitop2_b32 v6, 7, v0 bitop3:0x40
	s_mov_b32 s19, exec_lo
	v_cmpx_gt_u32_e32 8, v9
; %bb.902:                              ;   in Loop: Header=BB285_15 Depth=1
	s_delay_alu instid0(VALU_DEP_2) | instskip(NEXT) | instid1(VALU_DEP_1)
	v_clz_i32_u32_e32 v1, v6
	v_min_u32_e32 v1, 32, v1
	s_delay_alu instid0(VALU_DEP_1) | instskip(NEXT) | instid1(VALU_DEP_1)
	v_subrev_nc_u32_e32 v6, 28, v1
	v_lshlrev_b64_e32 v[16:17], v6, v[0:1]
	s_delay_alu instid0(VALU_DEP_1)
	v_dual_sub_nc_u32 v8, 29, v1 :: v_dual_bitop2_b32 v6, 7, v16 bitop3:0x40
; %bb.903:                              ;   in Loop: Header=BB285_15 Depth=1
	s_or_b32 exec_lo, exec_lo, s19
	s_delay_alu instid0(VALU_DEP_1) | instskip(NEXT) | instid1(VALU_DEP_2)
	v_dual_lshlrev_b32 v0, 8, v0 :: v_dual_lshlrev_b32 v6, 7, v6
	v_lshl_add_u32 v1, v8, 10, 0x2000
	s_delay_alu instid0(VALU_DEP_2) | instskip(NEXT) | instid1(VALU_DEP_2)
	v_and_b32_e32 v0, 0x8000, v0
	v_and_b32_e32 v1, 0xfc00, v1
	s_delay_alu instid0(VALU_DEP_1)
	v_or3_b32 v0, v0, v1, v6
	scratch_store_b32 off, v0, s32 offset:500 ; 4-byte Folded Spill
.LBB285_904:                            ;   in Loop: Header=BB285_15 Depth=1
	s_wait_xcnt 0x0
	s_or_b32 exec_lo, exec_lo, s18
.LBB285_905:                            ;   in Loop: Header=BB285_15 Depth=1
	s_delay_alu instid0(SALU_CYCLE_1)
	s_or_b32 exec_lo, exec_lo, s17
.LBB285_906:                            ;   in Loop: Header=BB285_15 Depth=1
	s_delay_alu instid0(SALU_CYCLE_1)
	s_or_b32 exec_lo, exec_lo, s16
	v_dual_mov_b32 v0, 0 :: v_dual_mov_b32 v74, 0
	s_mov_b32 s16, exec_lo
	scratch_store_b32 off, v0, s32 offset:504 ; 4-byte Folded Spill
	s_wait_xcnt 0x0
	v_cmpx_lt_u64_e64 s[8:9], v[4:5]
	s_cbranch_execz .LBB285_914
; %bb.907:                              ;   in Loop: Header=BB285_15 Depth=1
	v_lshrrev_b32_e32 v24, 24, v5
	v_bfrev_b32_e32 v74, 1
	s_mov_b32 s17, exec_lo
	s_delay_alu instid0(VALU_DEP_2)
	v_cmpx_ne_u32_e32 0x80, v24
	s_cbranch_execz .LBB285_913
; %bb.908:                              ;   in Loop: Header=BB285_15 Depth=1
	v_and_b32_e32 v5, 0x7f, v24
	v_mov_b32_e32 v74, 0x7c010000
	s_mov_b32 s18, exec_lo
	s_delay_alu instid0(VALU_DEP_2)
	v_cmpx_ne_u32_e32 0x7f, v5
	s_cbranch_execz .LBB285_912
; %bb.909:                              ;   in Loop: Header=BB285_15 Depth=1
	v_dual_lshrrev_b32 v4, 3, v5 :: v_dual_bitop2_b32 v0, 7, v24 bitop3:0x40
	s_mov_b32 s19, exec_lo
	v_cmpx_gt_u32_e32 8, v5
; %bb.910:                              ;   in Loop: Header=BB285_15 Depth=1
	s_delay_alu instid0(VALU_DEP_2) | instskip(NEXT) | instid1(VALU_DEP_1)
	v_clz_i32_u32_e32 v0, v0
	v_min_u32_e32 v0, 32, v0
	s_delay_alu instid0(VALU_DEP_1) | instskip(SKIP_1) | instid1(VALU_DEP_2)
	v_subrev_nc_u32_e32 v1, 28, v0
	v_sub_nc_u32_e32 v4, 29, v0
	v_lshlrev_b64_e32 v[8:9], v1, v[24:25]
	s_delay_alu instid0(VALU_DEP_1)
	v_and_b32_e32 v0, 7, v8
; %bb.911:                              ;   in Loop: Header=BB285_15 Depth=1
	s_or_b32 exec_lo, exec_lo, s19
	v_lshlrev_b32_e32 v1, 8, v24
	v_lshl_add_u32 v4, v4, 10, 0x2000
	s_delay_alu instid0(VALU_DEP_3) | instskip(NEXT) | instid1(VALU_DEP_2)
	v_lshlrev_b32_e32 v0, 23, v0
	v_and_or_b32 v1, 0x8000, v1, v4
	s_delay_alu instid0(VALU_DEP_1)
	v_lshl_or_b32 v74, v1, 16, v0
.LBB285_912:                            ;   in Loop: Header=BB285_15 Depth=1
	s_or_b32 exec_lo, exec_lo, s18
.LBB285_913:                            ;   in Loop: Header=BB285_15 Depth=1
	s_delay_alu instid0(SALU_CYCLE_1)
	s_or_b32 exec_lo, exec_lo, s17
.LBB285_914:                            ;   in Loop: Header=BB285_15 Depth=1
	s_delay_alu instid0(SALU_CYCLE_1)
	s_or_b32 exec_lo, exec_lo, s16
	flat_load_b64 v[4:5], v[2:3] offset:3584
	s_mov_b32 s16, exec_lo
	s_wait_loadcnt_dscnt 0x0
	v_and_b32_e32 v0, 0xff, v4
	s_wait_xcnt 0x0
	s_delay_alu instid0(VALU_DEP_1)
	v_cmpx_ne_u16_e32 0, v0
	s_cbranch_execz .LBB285_922
; %bb.915:                              ;   in Loop: Header=BB285_15 Depth=1
	v_cmp_ne_u16_e64 s1, 0x80, v0
	v_mov_b32_e32 v0, 0x8000
	scratch_store_b32 off, v0, s32 offset:504 ; 4-byte Folded Spill
	s_wait_xcnt 0x0
	s_and_saveexec_b32 s17, s1
	s_cbranch_execz .LBB285_921
; %bb.916:                              ;   in Loop: Header=BB285_15 Depth=1
	v_and_b32_e32 v8, 0x7f, v4
	v_mov_b32_e32 v0, 0x7c01
	s_mov_b32 s18, exec_lo
	scratch_store_b32 off, v0, s32 offset:504 ; 4-byte Folded Spill
	s_wait_xcnt 0x0
	v_cmpx_ne_u32_e32 0x7f, v8
	s_cbranch_execz .LBB285_920
; %bb.917:                              ;   in Loop: Header=BB285_15 Depth=1
	v_and_b32_e32 v0, 7, v4
	v_lshrrev_b32_e32 v6, 3, v8
	s_mov_b32 s19, exec_lo
	v_cmpx_gt_u32_e32 8, v8
; %bb.918:                              ;   in Loop: Header=BB285_15 Depth=1
	s_delay_alu instid0(VALU_DEP_3) | instskip(NEXT) | instid1(VALU_DEP_1)
	v_clz_i32_u32_e32 v0, v0
	v_min_u32_e32 v0, 32, v0
	s_delay_alu instid0(VALU_DEP_1) | instskip(SKIP_1) | instid1(VALU_DEP_2)
	v_subrev_nc_u32_e32 v1, 28, v0
	v_sub_nc_u32_e32 v6, 29, v0
	v_lshlrev_b64_e32 v[8:9], v1, v[4:5]
	s_delay_alu instid0(VALU_DEP_1)
	v_and_b32_e32 v0, 7, v8
; %bb.919:                              ;   in Loop: Header=BB285_15 Depth=1
	s_or_b32 exec_lo, exec_lo, s19
	v_lshlrev_b32_e32 v1, 8, v4
	v_lshl_add_u32 v6, v6, 10, 0x2000
	s_delay_alu instid0(VALU_DEP_3) | instskip(NEXT) | instid1(VALU_DEP_3)
	v_lshlrev_b32_e32 v0, 7, v0
	v_and_b32_e32 v1, 0x8000, v1
	s_delay_alu instid0(VALU_DEP_3) | instskip(NEXT) | instid1(VALU_DEP_1)
	v_and_b32_e32 v6, 0xfc00, v6
	v_or3_b32 v0, v1, v6, v0
	scratch_store_b32 off, v0, s32 offset:504 ; 4-byte Folded Spill
.LBB285_920:                            ;   in Loop: Header=BB285_15 Depth=1
	s_wait_xcnt 0x0
	s_or_b32 exec_lo, exec_lo, s18
.LBB285_921:                            ;   in Loop: Header=BB285_15 Depth=1
	s_delay_alu instid0(SALU_CYCLE_1)
	s_or_b32 exec_lo, exec_lo, s17
.LBB285_922:                            ;   in Loop: Header=BB285_15 Depth=1
	s_delay_alu instid0(SALU_CYCLE_1)
	s_or_b32 exec_lo, exec_lo, s16
	v_lshrrev_b16 v24, 8, v4
	v_dual_mov_b32 v0, 0 :: v_dual_mov_b32 v78, 0
	s_mov_b32 s16, exec_lo
	scratch_store_b32 off, v0, s32 offset:508 ; 4-byte Folded Spill
	s_wait_xcnt 0x0
	v_cmpx_ne_u16_e32 0, v24
	s_cbranch_execz .LBB285_930
; %bb.923:                              ;   in Loop: Header=BB285_15 Depth=1
	v_bfrev_b32_e32 v78, 1
	s_mov_b32 s17, exec_lo
	v_cmpx_ne_u16_e32 0x80, v24
	s_cbranch_execz .LBB285_929
; %bb.924:                              ;   in Loop: Header=BB285_15 Depth=1
	v_and_b32_e32 v0, 0xffff, v24
	v_mov_b32_e32 v78, 0x7c010000
	s_mov_b32 s18, exec_lo
	s_delay_alu instid0(VALU_DEP_2) | instskip(NEXT) | instid1(VALU_DEP_1)
	v_and_b32_e32 v9, 0x7f, v0
	v_cmpx_ne_u32_e32 0x7f, v9
	s_cbranch_execz .LBB285_928
; %bb.925:                              ;   in Loop: Header=BB285_15 Depth=1
	v_dual_lshrrev_b32 v8, 3, v9 :: v_dual_bitop2_b32 v6, 7, v0 bitop3:0x40
	s_mov_b32 s19, exec_lo
	v_cmpx_gt_u32_e32 8, v9
; %bb.926:                              ;   in Loop: Header=BB285_15 Depth=1
	s_delay_alu instid0(VALU_DEP_2) | instskip(NEXT) | instid1(VALU_DEP_1)
	v_clz_i32_u32_e32 v1, v6
	v_min_u32_e32 v1, 32, v1
	s_delay_alu instid0(VALU_DEP_1) | instskip(NEXT) | instid1(VALU_DEP_1)
	v_subrev_nc_u32_e32 v6, 28, v1
	v_lshlrev_b64_e32 v[16:17], v6, v[24:25]
	s_delay_alu instid0(VALU_DEP_1)
	v_dual_sub_nc_u32 v8, 29, v1 :: v_dual_bitop2_b32 v6, 7, v16 bitop3:0x40
; %bb.927:                              ;   in Loop: Header=BB285_15 Depth=1
	s_or_b32 exec_lo, exec_lo, s19
	v_lshlrev_b32_e32 v0, 8, v0
	s_delay_alu instid0(VALU_DEP_2) | instskip(NEXT) | instid1(VALU_DEP_1)
	v_lshl_add_u32 v1, v8, 10, 0x2000
	v_and_or_b32 v0, 0x8000, v0, v1
	v_lshlrev_b32_e32 v1, 23, v6
	s_delay_alu instid0(VALU_DEP_1)
	v_lshl_or_b32 v78, v0, 16, v1
.LBB285_928:                            ;   in Loop: Header=BB285_15 Depth=1
	s_or_b32 exec_lo, exec_lo, s18
.LBB285_929:                            ;   in Loop: Header=BB285_15 Depth=1
	s_delay_alu instid0(SALU_CYCLE_1)
	s_or_b32 exec_lo, exec_lo, s17
.LBB285_930:                            ;   in Loop: Header=BB285_15 Depth=1
	s_delay_alu instid0(SALU_CYCLE_1) | instskip(SKIP_2) | instid1(VALU_DEP_1)
	s_or_b32 exec_lo, exec_lo, s16
	v_lshrrev_b32_e32 v0, 16, v4
	s_mov_b32 s16, exec_lo
	v_and_b32_e32 v6, 0xff, v0
	s_delay_alu instid0(VALU_DEP_1)
	v_cmpx_ne_u16_e32 0, v6
	s_cbranch_execz .LBB285_938
; %bb.931:                              ;   in Loop: Header=BB285_15 Depth=1
	v_mov_b32_e32 v1, 0x8000
	s_mov_b32 s17, exec_lo
	scratch_store_b32 off, v1, s32 offset:508 ; 4-byte Folded Spill
	s_wait_xcnt 0x0
	v_cmpx_ne_u16_e32 0x80, v6
	s_cbranch_execz .LBB285_937
; %bb.932:                              ;   in Loop: Header=BB285_15 Depth=1
	v_bfe_u32 v9, v4, 16, 7
	v_mov_b32_e32 v1, 0x7c01
	s_mov_b32 s18, exec_lo
	scratch_store_b32 off, v1, s32 offset:508 ; 4-byte Folded Spill
	s_wait_xcnt 0x0
	v_cmpx_ne_u32_e32 0x7f, v9
	s_cbranch_execz .LBB285_936
; %bb.933:                              ;   in Loop: Header=BB285_15 Depth=1
	v_dual_lshrrev_b32 v8, 3, v9 :: v_dual_bitop2_b32 v6, 7, v0 bitop3:0x40
	s_mov_b32 s19, exec_lo
	v_cmpx_gt_u32_e32 8, v9
; %bb.934:                              ;   in Loop: Header=BB285_15 Depth=1
	s_delay_alu instid0(VALU_DEP_2) | instskip(NEXT) | instid1(VALU_DEP_1)
	v_clz_i32_u32_e32 v1, v6
	v_min_u32_e32 v1, 32, v1
	s_delay_alu instid0(VALU_DEP_1) | instskip(NEXT) | instid1(VALU_DEP_1)
	v_subrev_nc_u32_e32 v6, 28, v1
	v_lshlrev_b64_e32 v[16:17], v6, v[0:1]
	s_delay_alu instid0(VALU_DEP_1)
	v_dual_sub_nc_u32 v8, 29, v1 :: v_dual_bitop2_b32 v6, 7, v16 bitop3:0x40
; %bb.935:                              ;   in Loop: Header=BB285_15 Depth=1
	s_or_b32 exec_lo, exec_lo, s19
	s_delay_alu instid0(VALU_DEP_1) | instskip(NEXT) | instid1(VALU_DEP_2)
	v_dual_lshlrev_b32 v0, 8, v0 :: v_dual_lshlrev_b32 v6, 7, v6
	v_lshl_add_u32 v1, v8, 10, 0x2000
	s_delay_alu instid0(VALU_DEP_2) | instskip(NEXT) | instid1(VALU_DEP_2)
	v_and_b32_e32 v0, 0x8000, v0
	v_and_b32_e32 v1, 0xfc00, v1
	s_delay_alu instid0(VALU_DEP_1)
	v_or3_b32 v0, v0, v1, v6
	scratch_store_b32 off, v0, s32 offset:508 ; 4-byte Folded Spill
.LBB285_936:                            ;   in Loop: Header=BB285_15 Depth=1
	s_wait_xcnt 0x0
	s_or_b32 exec_lo, exec_lo, s18
.LBB285_937:                            ;   in Loop: Header=BB285_15 Depth=1
	s_delay_alu instid0(SALU_CYCLE_1)
	s_or_b32 exec_lo, exec_lo, s17
.LBB285_938:                            ;   in Loop: Header=BB285_15 Depth=1
	s_delay_alu instid0(SALU_CYCLE_1)
	s_or_b32 exec_lo, exec_lo, s16
	v_dual_mov_b32 v0, 0 :: v_dual_mov_b32 v92, 0
	s_mov_b32 s16, exec_lo
	scratch_store_b32 off, v0, s32 offset:512 ; 4-byte Folded Spill
	s_wait_xcnt 0x0
	v_cmpx_lt_u32_e32 0xffffff, v4
	s_cbranch_execz .LBB285_946
; %bb.939:                              ;   in Loop: Header=BB285_15 Depth=1
	v_lshrrev_b32_e32 v24, 24, v4
	v_bfrev_b32_e32 v92, 1
	s_mov_b32 s17, exec_lo
	s_delay_alu instid0(VALU_DEP_2)
	v_cmpx_ne_u32_e32 0x80, v24
	s_cbranch_execz .LBB285_945
; %bb.940:                              ;   in Loop: Header=BB285_15 Depth=1
	v_and_b32_e32 v8, 0x7f, v24
	v_mov_b32_e32 v92, 0x7c010000
	s_mov_b32 s18, exec_lo
	s_delay_alu instid0(VALU_DEP_2)
	v_cmpx_ne_u32_e32 0x7f, v8
	s_cbranch_execz .LBB285_944
; %bb.941:                              ;   in Loop: Header=BB285_15 Depth=1
	v_and_b32_e32 v0, 7, v24
	v_lshrrev_b32_e32 v6, 3, v8
	s_mov_b32 s19, exec_lo
	v_cmpx_gt_u32_e32 8, v8
; %bb.942:                              ;   in Loop: Header=BB285_15 Depth=1
	s_delay_alu instid0(VALU_DEP_3) | instskip(NEXT) | instid1(VALU_DEP_1)
	v_clz_i32_u32_e32 v0, v0
	v_min_u32_e32 v0, 32, v0
	s_delay_alu instid0(VALU_DEP_1) | instskip(SKIP_1) | instid1(VALU_DEP_2)
	v_subrev_nc_u32_e32 v1, 28, v0
	v_sub_nc_u32_e32 v6, 29, v0
	v_lshlrev_b64_e32 v[8:9], v1, v[24:25]
	s_delay_alu instid0(VALU_DEP_1)
	v_and_b32_e32 v0, 7, v8
; %bb.943:                              ;   in Loop: Header=BB285_15 Depth=1
	s_or_b32 exec_lo, exec_lo, s19
	v_lshlrev_b32_e32 v1, 8, v24
	v_lshl_add_u32 v6, v6, 10, 0x2000
	s_delay_alu instid0(VALU_DEP_3) | instskip(NEXT) | instid1(VALU_DEP_2)
	v_lshlrev_b32_e32 v0, 23, v0
	v_and_or_b32 v1, 0x8000, v1, v6
	s_delay_alu instid0(VALU_DEP_1)
	v_lshl_or_b32 v92, v1, 16, v0
.LBB285_944:                            ;   in Loop: Header=BB285_15 Depth=1
	s_or_b32 exec_lo, exec_lo, s18
.LBB285_945:                            ;   in Loop: Header=BB285_15 Depth=1
	s_delay_alu instid0(SALU_CYCLE_1)
	s_or_b32 exec_lo, exec_lo, s17
.LBB285_946:                            ;   in Loop: Header=BB285_15 Depth=1
	s_delay_alu instid0(SALU_CYCLE_1) | instskip(SKIP_3) | instid1(VALU_DEP_2)
	s_or_b32 exec_lo, exec_lo, s16
	v_and_b32_e32 v0, 0xff, v5
	v_mov_b32_e32 v24, v5
	s_mov_b32 s16, exec_lo
	v_cmpx_ne_u16_e32 0, v0
	s_cbranch_execz .LBB285_954
; %bb.947:                              ;   in Loop: Header=BB285_15 Depth=1
	v_cmp_ne_u16_e64 s1, 0x80, v0
	v_mov_b32_e32 v0, 0x8000
	scratch_store_b32 off, v0, s32 offset:512 ; 4-byte Folded Spill
	s_wait_xcnt 0x0
	s_and_saveexec_b32 s17, s1
	s_cbranch_execz .LBB285_953
; %bb.948:                              ;   in Loop: Header=BB285_15 Depth=1
	v_and_b32_e32 v8, 0x7f, v5
	v_mov_b32_e32 v0, 0x7c01
	s_mov_b32 s18, exec_lo
	scratch_store_b32 off, v0, s32 offset:512 ; 4-byte Folded Spill
	s_wait_xcnt 0x0
	v_cmpx_ne_u32_e32 0x7f, v8
	s_cbranch_execz .LBB285_952
; %bb.949:                              ;   in Loop: Header=BB285_15 Depth=1
	v_dual_lshrrev_b32 v6, 3, v8 :: v_dual_bitop2_b32 v0, 7, v5 bitop3:0x40
	s_mov_b32 s19, exec_lo
	v_cmpx_gt_u32_e32 8, v8
; %bb.950:                              ;   in Loop: Header=BB285_15 Depth=1
	s_delay_alu instid0(VALU_DEP_2) | instskip(NEXT) | instid1(VALU_DEP_1)
	v_clz_i32_u32_e32 v0, v0
	v_min_u32_e32 v0, 32, v0
	s_delay_alu instid0(VALU_DEP_1) | instskip(SKIP_1) | instid1(VALU_DEP_2)
	v_subrev_nc_u32_e32 v1, 28, v0
	v_sub_nc_u32_e32 v6, 29, v0
	v_lshlrev_b64_e32 v[8:9], v1, v[24:25]
	s_delay_alu instid0(VALU_DEP_1)
	v_and_b32_e32 v0, 7, v8
; %bb.951:                              ;   in Loop: Header=BB285_15 Depth=1
	s_or_b32 exec_lo, exec_lo, s19
	s_delay_alu instid0(VALU_DEP_1) | instskip(SKIP_1) | instid1(VALU_DEP_2)
	v_dual_lshlrev_b32 v1, 8, v5 :: v_dual_lshlrev_b32 v0, 7, v0
	v_lshl_add_u32 v6, v6, 10, 0x2000
	v_and_b32_e32 v1, 0x8000, v1
	s_delay_alu instid0(VALU_DEP_2) | instskip(NEXT) | instid1(VALU_DEP_1)
	v_and_b32_e32 v6, 0xfc00, v6
	v_or3_b32 v0, v1, v6, v0
	scratch_store_b32 off, v0, s32 offset:512 ; 4-byte Folded Spill
.LBB285_952:                            ;   in Loop: Header=BB285_15 Depth=1
	s_wait_xcnt 0x0
	s_or_b32 exec_lo, exec_lo, s18
.LBB285_953:                            ;   in Loop: Header=BB285_15 Depth=1
	s_delay_alu instid0(SALU_CYCLE_1)
	s_or_b32 exec_lo, exec_lo, s17
.LBB285_954:                            ;   in Loop: Header=BB285_15 Depth=1
	s_delay_alu instid0(SALU_CYCLE_1)
	s_or_b32 exec_lo, exec_lo, s16
	v_lshrrev_b16 v24, 8, v24
	v_dual_mov_b32 v0, 0 :: v_dual_mov_b32 v80, 0
	s_mov_b32 s16, exec_lo
	scratch_store_b32 off, v0, s32 offset:516 ; 4-byte Folded Spill
	s_wait_xcnt 0x0
	v_cmpx_ne_u16_e32 0, v24
	s_cbranch_execz .LBB285_962
; %bb.955:                              ;   in Loop: Header=BB285_15 Depth=1
	v_bfrev_b32_e32 v80, 1
	s_mov_b32 s17, exec_lo
	v_cmpx_ne_u16_e32 0x80, v24
	s_cbranch_execz .LBB285_961
; %bb.956:                              ;   in Loop: Header=BB285_15 Depth=1
	v_and_b32_e32 v0, 0xffff, v24
	v_mov_b32_e32 v80, 0x7c010000
	s_mov_b32 s18, exec_lo
	s_delay_alu instid0(VALU_DEP_2) | instskip(NEXT) | instid1(VALU_DEP_1)
	v_and_b32_e32 v9, 0x7f, v0
	v_cmpx_ne_u32_e32 0x7f, v9
	s_cbranch_execz .LBB285_960
; %bb.957:                              ;   in Loop: Header=BB285_15 Depth=1
	v_dual_lshrrev_b32 v8, 3, v9 :: v_dual_bitop2_b32 v6, 7, v0 bitop3:0x40
	s_mov_b32 s19, exec_lo
	v_cmpx_gt_u32_e32 8, v9
; %bb.958:                              ;   in Loop: Header=BB285_15 Depth=1
	s_delay_alu instid0(VALU_DEP_2) | instskip(NEXT) | instid1(VALU_DEP_1)
	v_clz_i32_u32_e32 v1, v6
	v_min_u32_e32 v1, 32, v1
	s_delay_alu instid0(VALU_DEP_1) | instskip(NEXT) | instid1(VALU_DEP_1)
	v_subrev_nc_u32_e32 v6, 28, v1
	v_lshlrev_b64_e32 v[16:17], v6, v[24:25]
	s_delay_alu instid0(VALU_DEP_1)
	v_dual_sub_nc_u32 v8, 29, v1 :: v_dual_bitop2_b32 v6, 7, v16 bitop3:0x40
; %bb.959:                              ;   in Loop: Header=BB285_15 Depth=1
	s_or_b32 exec_lo, exec_lo, s19
	v_lshlrev_b32_e32 v0, 8, v0
	s_delay_alu instid0(VALU_DEP_2) | instskip(NEXT) | instid1(VALU_DEP_1)
	v_lshl_add_u32 v1, v8, 10, 0x2000
	v_and_or_b32 v0, 0x8000, v0, v1
	v_lshlrev_b32_e32 v1, 23, v6
	s_delay_alu instid0(VALU_DEP_1)
	v_lshl_or_b32 v80, v0, 16, v1
.LBB285_960:                            ;   in Loop: Header=BB285_15 Depth=1
	s_or_b32 exec_lo, exec_lo, s18
.LBB285_961:                            ;   in Loop: Header=BB285_15 Depth=1
	s_delay_alu instid0(SALU_CYCLE_1)
	s_or_b32 exec_lo, exec_lo, s17
.LBB285_962:                            ;   in Loop: Header=BB285_15 Depth=1
	s_delay_alu instid0(SALU_CYCLE_1) | instskip(SKIP_2) | instid1(VALU_DEP_1)
	s_or_b32 exec_lo, exec_lo, s16
	v_lshrrev_b32_e32 v0, 16, v5
	s_mov_b32 s16, exec_lo
	v_and_b32_e32 v6, 0xff, v0
	s_delay_alu instid0(VALU_DEP_1)
	v_cmpx_ne_u16_e32 0, v6
	s_cbranch_execz .LBB285_970
; %bb.963:                              ;   in Loop: Header=BB285_15 Depth=1
	v_mov_b32_e32 v1, 0x8000
	s_mov_b32 s17, exec_lo
	scratch_store_b32 off, v1, s32 offset:516 ; 4-byte Folded Spill
	s_wait_xcnt 0x0
	v_cmpx_ne_u16_e32 0x80, v6
	s_cbranch_execz .LBB285_969
; %bb.964:                              ;   in Loop: Header=BB285_15 Depth=1
	v_bfe_u32 v9, v5, 16, 7
	v_mov_b32_e32 v1, 0x7c01
	s_mov_b32 s18, exec_lo
	scratch_store_b32 off, v1, s32 offset:516 ; 4-byte Folded Spill
	s_wait_xcnt 0x0
	v_cmpx_ne_u32_e32 0x7f, v9
	s_cbranch_execz .LBB285_968
; %bb.965:                              ;   in Loop: Header=BB285_15 Depth=1
	v_dual_lshrrev_b32 v8, 3, v9 :: v_dual_bitop2_b32 v6, 7, v0 bitop3:0x40
	s_mov_b32 s19, exec_lo
	v_cmpx_gt_u32_e32 8, v9
; %bb.966:                              ;   in Loop: Header=BB285_15 Depth=1
	s_delay_alu instid0(VALU_DEP_2) | instskip(NEXT) | instid1(VALU_DEP_1)
	v_clz_i32_u32_e32 v1, v6
	v_min_u32_e32 v1, 32, v1
	s_delay_alu instid0(VALU_DEP_1) | instskip(NEXT) | instid1(VALU_DEP_1)
	v_subrev_nc_u32_e32 v6, 28, v1
	v_lshlrev_b64_e32 v[16:17], v6, v[0:1]
	s_delay_alu instid0(VALU_DEP_1)
	v_dual_sub_nc_u32 v8, 29, v1 :: v_dual_bitop2_b32 v6, 7, v16 bitop3:0x40
; %bb.967:                              ;   in Loop: Header=BB285_15 Depth=1
	s_or_b32 exec_lo, exec_lo, s19
	s_delay_alu instid0(VALU_DEP_1) | instskip(NEXT) | instid1(VALU_DEP_2)
	v_dual_lshlrev_b32 v0, 8, v0 :: v_dual_lshlrev_b32 v6, 7, v6
	v_lshl_add_u32 v1, v8, 10, 0x2000
	s_delay_alu instid0(VALU_DEP_2) | instskip(NEXT) | instid1(VALU_DEP_2)
	v_and_b32_e32 v0, 0x8000, v0
	v_and_b32_e32 v1, 0xfc00, v1
	s_delay_alu instid0(VALU_DEP_1)
	v_or3_b32 v0, v0, v1, v6
	scratch_store_b32 off, v0, s32 offset:516 ; 4-byte Folded Spill
.LBB285_968:                            ;   in Loop: Header=BB285_15 Depth=1
	s_wait_xcnt 0x0
	s_or_b32 exec_lo, exec_lo, s18
.LBB285_969:                            ;   in Loop: Header=BB285_15 Depth=1
	s_delay_alu instid0(SALU_CYCLE_1)
	s_or_b32 exec_lo, exec_lo, s17
.LBB285_970:                            ;   in Loop: Header=BB285_15 Depth=1
	s_delay_alu instid0(SALU_CYCLE_1)
	s_or_b32 exec_lo, exec_lo, s16
	v_dual_mov_b32 v0, 0 :: v_dual_mov_b32 v106, 0
	s_mov_b32 s16, exec_lo
	scratch_store_b32 off, v0, s32 offset:520 ; 4-byte Folded Spill
	s_wait_xcnt 0x0
	v_cmpx_lt_u64_e64 s[8:9], v[4:5]
	s_cbranch_execz .LBB285_978
; %bb.971:                              ;   in Loop: Header=BB285_15 Depth=1
	v_lshrrev_b32_e32 v24, 24, v5
	v_bfrev_b32_e32 v106, 1
	s_mov_b32 s17, exec_lo
	s_delay_alu instid0(VALU_DEP_2)
	v_cmpx_ne_u32_e32 0x80, v24
	s_cbranch_execz .LBB285_977
; %bb.972:                              ;   in Loop: Header=BB285_15 Depth=1
	v_and_b32_e32 v5, 0x7f, v24
	v_mov_b32_e32 v106, 0x7c010000
	s_mov_b32 s18, exec_lo
	s_delay_alu instid0(VALU_DEP_2)
	v_cmpx_ne_u32_e32 0x7f, v5
	s_cbranch_execz .LBB285_976
; %bb.973:                              ;   in Loop: Header=BB285_15 Depth=1
	v_dual_lshrrev_b32 v4, 3, v5 :: v_dual_bitop2_b32 v0, 7, v24 bitop3:0x40
	s_mov_b32 s19, exec_lo
	v_cmpx_gt_u32_e32 8, v5
; %bb.974:                              ;   in Loop: Header=BB285_15 Depth=1
	s_delay_alu instid0(VALU_DEP_2) | instskip(NEXT) | instid1(VALU_DEP_1)
	v_clz_i32_u32_e32 v0, v0
	v_min_u32_e32 v0, 32, v0
	s_delay_alu instid0(VALU_DEP_1) | instskip(SKIP_1) | instid1(VALU_DEP_2)
	v_subrev_nc_u32_e32 v1, 28, v0
	v_sub_nc_u32_e32 v4, 29, v0
	v_lshlrev_b64_e32 v[8:9], v1, v[24:25]
	s_delay_alu instid0(VALU_DEP_1)
	v_and_b32_e32 v0, 7, v8
; %bb.975:                              ;   in Loop: Header=BB285_15 Depth=1
	s_or_b32 exec_lo, exec_lo, s19
	v_lshlrev_b32_e32 v1, 8, v24
	v_lshl_add_u32 v4, v4, 10, 0x2000
	s_delay_alu instid0(VALU_DEP_3) | instskip(NEXT) | instid1(VALU_DEP_2)
	v_lshlrev_b32_e32 v0, 23, v0
	v_and_or_b32 v1, 0x8000, v1, v4
	s_delay_alu instid0(VALU_DEP_1)
	v_lshl_or_b32 v106, v1, 16, v0
.LBB285_976:                            ;   in Loop: Header=BB285_15 Depth=1
	s_or_b32 exec_lo, exec_lo, s18
.LBB285_977:                            ;   in Loop: Header=BB285_15 Depth=1
	s_delay_alu instid0(SALU_CYCLE_1)
	s_or_b32 exec_lo, exec_lo, s17
.LBB285_978:                            ;   in Loop: Header=BB285_15 Depth=1
	s_delay_alu instid0(SALU_CYCLE_1)
	s_or_b32 exec_lo, exec_lo, s16
	flat_load_b64 v[4:5], v[2:3] offset:3592
	s_mov_b32 s16, exec_lo
	s_wait_loadcnt_dscnt 0x0
	v_and_b32_e32 v0, 0xff, v4
	s_wait_xcnt 0x0
	s_delay_alu instid0(VALU_DEP_1)
	v_cmpx_ne_u16_e32 0, v0
	s_cbranch_execz .LBB285_986
; %bb.979:                              ;   in Loop: Header=BB285_15 Depth=1
	v_cmp_ne_u16_e64 s1, 0x80, v0
	v_mov_b32_e32 v0, 0x8000
	scratch_store_b32 off, v0, s32 offset:520 ; 4-byte Folded Spill
	s_wait_xcnt 0x0
	s_and_saveexec_b32 s17, s1
	s_cbranch_execz .LBB285_985
; %bb.980:                              ;   in Loop: Header=BB285_15 Depth=1
	v_and_b32_e32 v8, 0x7f, v4
	v_mov_b32_e32 v0, 0x7c01
	s_mov_b32 s18, exec_lo
	scratch_store_b32 off, v0, s32 offset:520 ; 4-byte Folded Spill
	s_wait_xcnt 0x0
	v_cmpx_ne_u32_e32 0x7f, v8
	s_cbranch_execz .LBB285_984
; %bb.981:                              ;   in Loop: Header=BB285_15 Depth=1
	v_and_b32_e32 v0, 7, v4
	v_lshrrev_b32_e32 v6, 3, v8
	s_mov_b32 s19, exec_lo
	v_cmpx_gt_u32_e32 8, v8
; %bb.982:                              ;   in Loop: Header=BB285_15 Depth=1
	s_delay_alu instid0(VALU_DEP_3) | instskip(NEXT) | instid1(VALU_DEP_1)
	v_clz_i32_u32_e32 v0, v0
	v_min_u32_e32 v0, 32, v0
	s_delay_alu instid0(VALU_DEP_1) | instskip(SKIP_1) | instid1(VALU_DEP_2)
	v_subrev_nc_u32_e32 v1, 28, v0
	v_sub_nc_u32_e32 v6, 29, v0
	v_lshlrev_b64_e32 v[8:9], v1, v[4:5]
	s_delay_alu instid0(VALU_DEP_1)
	v_and_b32_e32 v0, 7, v8
; %bb.983:                              ;   in Loop: Header=BB285_15 Depth=1
	s_or_b32 exec_lo, exec_lo, s19
	v_lshlrev_b32_e32 v1, 8, v4
	v_lshl_add_u32 v6, v6, 10, 0x2000
	s_delay_alu instid0(VALU_DEP_3) | instskip(NEXT) | instid1(VALU_DEP_3)
	v_lshlrev_b32_e32 v0, 7, v0
	v_and_b32_e32 v1, 0x8000, v1
	s_delay_alu instid0(VALU_DEP_3) | instskip(NEXT) | instid1(VALU_DEP_1)
	v_and_b32_e32 v6, 0xfc00, v6
	v_or3_b32 v0, v1, v6, v0
	scratch_store_b32 off, v0, s32 offset:520 ; 4-byte Folded Spill
.LBB285_984:                            ;   in Loop: Header=BB285_15 Depth=1
	s_wait_xcnt 0x0
	s_or_b32 exec_lo, exec_lo, s18
.LBB285_985:                            ;   in Loop: Header=BB285_15 Depth=1
	s_delay_alu instid0(SALU_CYCLE_1)
	s_or_b32 exec_lo, exec_lo, s17
.LBB285_986:                            ;   in Loop: Header=BB285_15 Depth=1
	s_delay_alu instid0(SALU_CYCLE_1) | instskip(SKIP_3) | instid1(VALU_DEP_2)
	s_or_b32 exec_lo, exec_lo, s16
	v_lshrrev_b16 v24, 8, v4
	v_dual_mov_b32 v83, 0 :: v_dual_mov_b32 v85, 0
	s_mov_b32 s16, exec_lo
	v_cmpx_ne_u16_e32 0, v24
	s_cbranch_execz .LBB285_994
; %bb.987:                              ;   in Loop: Header=BB285_15 Depth=1
	v_bfrev_b32_e32 v85, 1
	s_mov_b32 s17, exec_lo
	v_cmpx_ne_u16_e32 0x80, v24
	s_cbranch_execz .LBB285_993
; %bb.988:                              ;   in Loop: Header=BB285_15 Depth=1
	v_and_b32_e32 v0, 0xffff, v24
	v_mov_b32_e32 v85, 0x7c010000
	s_mov_b32 s18, exec_lo
	s_delay_alu instid0(VALU_DEP_2) | instskip(NEXT) | instid1(VALU_DEP_1)
	v_and_b32_e32 v9, 0x7f, v0
	v_cmpx_ne_u32_e32 0x7f, v9
	s_cbranch_execz .LBB285_992
; %bb.989:                              ;   in Loop: Header=BB285_15 Depth=1
	v_dual_lshrrev_b32 v8, 3, v9 :: v_dual_bitop2_b32 v6, 7, v0 bitop3:0x40
	s_mov_b32 s19, exec_lo
	v_cmpx_gt_u32_e32 8, v9
; %bb.990:                              ;   in Loop: Header=BB285_15 Depth=1
	s_delay_alu instid0(VALU_DEP_2) | instskip(NEXT) | instid1(VALU_DEP_1)
	v_clz_i32_u32_e32 v1, v6
	v_min_u32_e32 v1, 32, v1
	s_delay_alu instid0(VALU_DEP_1) | instskip(NEXT) | instid1(VALU_DEP_1)
	v_subrev_nc_u32_e32 v6, 28, v1
	v_lshlrev_b64_e32 v[16:17], v6, v[24:25]
	s_delay_alu instid0(VALU_DEP_1)
	v_dual_sub_nc_u32 v8, 29, v1 :: v_dual_bitop2_b32 v6, 7, v16 bitop3:0x40
; %bb.991:                              ;   in Loop: Header=BB285_15 Depth=1
	s_or_b32 exec_lo, exec_lo, s19
	v_lshlrev_b32_e32 v0, 8, v0
	s_delay_alu instid0(VALU_DEP_2) | instskip(NEXT) | instid1(VALU_DEP_1)
	v_lshl_add_u32 v1, v8, 10, 0x2000
	v_and_or_b32 v0, 0x8000, v0, v1
	v_lshlrev_b32_e32 v1, 23, v6
	s_delay_alu instid0(VALU_DEP_1)
	v_lshl_or_b32 v85, v0, 16, v1
.LBB285_992:                            ;   in Loop: Header=BB285_15 Depth=1
	s_or_b32 exec_lo, exec_lo, s18
.LBB285_993:                            ;   in Loop: Header=BB285_15 Depth=1
	s_delay_alu instid0(SALU_CYCLE_1)
	s_or_b32 exec_lo, exec_lo, s17
.LBB285_994:                            ;   in Loop: Header=BB285_15 Depth=1
	s_delay_alu instid0(SALU_CYCLE_1) | instskip(SKIP_2) | instid1(VALU_DEP_1)
	s_or_b32 exec_lo, exec_lo, s16
	v_lshrrev_b32_e32 v0, 16, v4
	s_mov_b32 s16, exec_lo
	v_and_b32_e32 v6, 0xff, v0
	s_delay_alu instid0(VALU_DEP_1)
	v_cmpx_ne_u16_e32 0, v6
	s_cbranch_execz .LBB285_1002
; %bb.995:                              ;   in Loop: Header=BB285_15 Depth=1
	v_mov_b32_e32 v83, 0x8000
	s_mov_b32 s17, exec_lo
	v_cmpx_ne_u16_e32 0x80, v6
	s_cbranch_execz .LBB285_1001
; %bb.996:                              ;   in Loop: Header=BB285_15 Depth=1
	v_bfe_u32 v9, v4, 16, 7
	v_mov_b32_e32 v83, 0x7c01
	s_mov_b32 s18, exec_lo
	s_delay_alu instid0(VALU_DEP_2)
	v_cmpx_ne_u32_e32 0x7f, v9
	s_cbranch_execz .LBB285_1000
; %bb.997:                              ;   in Loop: Header=BB285_15 Depth=1
	v_dual_lshrrev_b32 v8, 3, v9 :: v_dual_bitop2_b32 v6, 7, v0 bitop3:0x40
	s_mov_b32 s19, exec_lo
	v_cmpx_gt_u32_e32 8, v9
; %bb.998:                              ;   in Loop: Header=BB285_15 Depth=1
	s_delay_alu instid0(VALU_DEP_2) | instskip(NEXT) | instid1(VALU_DEP_1)
	v_clz_i32_u32_e32 v1, v6
	v_min_u32_e32 v1, 32, v1
	s_delay_alu instid0(VALU_DEP_1) | instskip(NEXT) | instid1(VALU_DEP_1)
	v_subrev_nc_u32_e32 v6, 28, v1
	v_lshlrev_b64_e32 v[16:17], v6, v[0:1]
	s_delay_alu instid0(VALU_DEP_1)
	v_dual_sub_nc_u32 v8, 29, v1 :: v_dual_bitop2_b32 v6, 7, v16 bitop3:0x40
; %bb.999:                              ;   in Loop: Header=BB285_15 Depth=1
	s_or_b32 exec_lo, exec_lo, s19
	s_delay_alu instid0(VALU_DEP_1) | instskip(NEXT) | instid1(VALU_DEP_2)
	v_dual_lshlrev_b32 v0, 8, v0 :: v_dual_lshlrev_b32 v6, 7, v6
	v_lshl_add_u32 v1, v8, 10, 0x2000
	s_delay_alu instid0(VALU_DEP_2) | instskip(NEXT) | instid1(VALU_DEP_2)
	v_and_b32_e32 v0, 0x8000, v0
	v_and_b32_e32 v1, 0xfc00, v1
	s_delay_alu instid0(VALU_DEP_1)
	v_or3_b32 v83, v0, v1, v6
.LBB285_1000:                           ;   in Loop: Header=BB285_15 Depth=1
	s_or_b32 exec_lo, exec_lo, s18
.LBB285_1001:                           ;   in Loop: Header=BB285_15 Depth=1
	s_delay_alu instid0(SALU_CYCLE_1)
	s_or_b32 exec_lo, exec_lo, s17
.LBB285_1002:                           ;   in Loop: Header=BB285_15 Depth=1
	s_delay_alu instid0(SALU_CYCLE_1)
	s_or_b32 exec_lo, exec_lo, s16
	v_dual_mov_b32 v81, 0 :: v_dual_mov_b32 v110, 0
	s_mov_b32 s16, exec_lo
	v_cmpx_lt_u32_e32 0xffffff, v4
	s_cbranch_execz .LBB285_1010
; %bb.1003:                             ;   in Loop: Header=BB285_15 Depth=1
	v_lshrrev_b32_e32 v24, 24, v4
	v_bfrev_b32_e32 v110, 1
	s_mov_b32 s17, exec_lo
	s_delay_alu instid0(VALU_DEP_2)
	v_cmpx_ne_u32_e32 0x80, v24
	s_cbranch_execz .LBB285_1009
; %bb.1004:                             ;   in Loop: Header=BB285_15 Depth=1
	v_and_b32_e32 v8, 0x7f, v24
	v_mov_b32_e32 v110, 0x7c010000
	s_mov_b32 s18, exec_lo
	s_delay_alu instid0(VALU_DEP_2)
	v_cmpx_ne_u32_e32 0x7f, v8
	s_cbranch_execz .LBB285_1008
; %bb.1005:                             ;   in Loop: Header=BB285_15 Depth=1
	v_and_b32_e32 v0, 7, v24
	v_lshrrev_b32_e32 v6, 3, v8
	s_mov_b32 s19, exec_lo
	v_cmpx_gt_u32_e32 8, v8
; %bb.1006:                             ;   in Loop: Header=BB285_15 Depth=1
	s_delay_alu instid0(VALU_DEP_3) | instskip(NEXT) | instid1(VALU_DEP_1)
	v_clz_i32_u32_e32 v0, v0
	v_min_u32_e32 v0, 32, v0
	s_delay_alu instid0(VALU_DEP_1) | instskip(SKIP_1) | instid1(VALU_DEP_2)
	v_subrev_nc_u32_e32 v1, 28, v0
	v_sub_nc_u32_e32 v6, 29, v0
	v_lshlrev_b64_e32 v[8:9], v1, v[24:25]
	s_delay_alu instid0(VALU_DEP_1)
	v_and_b32_e32 v0, 7, v8
; %bb.1007:                             ;   in Loop: Header=BB285_15 Depth=1
	s_or_b32 exec_lo, exec_lo, s19
	v_lshlrev_b32_e32 v1, 8, v24
	v_lshl_add_u32 v6, v6, 10, 0x2000
	s_delay_alu instid0(VALU_DEP_3) | instskip(NEXT) | instid1(VALU_DEP_2)
	v_lshlrev_b32_e32 v0, 23, v0
	v_and_or_b32 v1, 0x8000, v1, v6
	s_delay_alu instid0(VALU_DEP_1)
	v_lshl_or_b32 v110, v1, 16, v0
.LBB285_1008:                           ;   in Loop: Header=BB285_15 Depth=1
	s_or_b32 exec_lo, exec_lo, s18
.LBB285_1009:                           ;   in Loop: Header=BB285_15 Depth=1
	s_delay_alu instid0(SALU_CYCLE_1)
	s_or_b32 exec_lo, exec_lo, s17
.LBB285_1010:                           ;   in Loop: Header=BB285_15 Depth=1
	s_delay_alu instid0(SALU_CYCLE_1) | instskip(SKIP_3) | instid1(VALU_DEP_2)
	s_or_b32 exec_lo, exec_lo, s16
	v_and_b32_e32 v0, 0xff, v5
	v_mov_b32_e32 v24, v5
	s_mov_b32 s16, exec_lo
	v_cmpx_ne_u16_e32 0, v0
	s_cbranch_execz .LBB285_1018
; %bb.1011:                             ;   in Loop: Header=BB285_15 Depth=1
	v_mov_b32_e32 v81, 0x8000
	s_mov_b32 s17, exec_lo
	v_cmpx_ne_u16_e32 0x80, v0
	s_cbranch_execz .LBB285_1017
; %bb.1012:                             ;   in Loop: Header=BB285_15 Depth=1
	v_and_b32_e32 v8, 0x7f, v5
	v_mov_b32_e32 v81, 0x7c01
	s_mov_b32 s18, exec_lo
	s_delay_alu instid0(VALU_DEP_2)
	v_cmpx_ne_u32_e32 0x7f, v8
	s_cbranch_execz .LBB285_1016
; %bb.1013:                             ;   in Loop: Header=BB285_15 Depth=1
	v_dual_lshrrev_b32 v6, 3, v8 :: v_dual_bitop2_b32 v0, 7, v5 bitop3:0x40
	s_mov_b32 s19, exec_lo
	v_cmpx_gt_u32_e32 8, v8
; %bb.1014:                             ;   in Loop: Header=BB285_15 Depth=1
	s_delay_alu instid0(VALU_DEP_2) | instskip(NEXT) | instid1(VALU_DEP_1)
	v_clz_i32_u32_e32 v0, v0
	v_min_u32_e32 v0, 32, v0
	s_delay_alu instid0(VALU_DEP_1) | instskip(SKIP_1) | instid1(VALU_DEP_2)
	v_subrev_nc_u32_e32 v1, 28, v0
	v_sub_nc_u32_e32 v6, 29, v0
	v_lshlrev_b64_e32 v[8:9], v1, v[24:25]
	s_delay_alu instid0(VALU_DEP_1)
	v_and_b32_e32 v0, 7, v8
; %bb.1015:                             ;   in Loop: Header=BB285_15 Depth=1
	s_or_b32 exec_lo, exec_lo, s19
	s_delay_alu instid0(VALU_DEP_1) | instskip(SKIP_1) | instid1(VALU_DEP_2)
	v_dual_lshlrev_b32 v1, 8, v5 :: v_dual_lshlrev_b32 v0, 7, v0
	v_lshl_add_u32 v6, v6, 10, 0x2000
	v_and_b32_e32 v1, 0x8000, v1
	s_delay_alu instid0(VALU_DEP_2) | instskip(NEXT) | instid1(VALU_DEP_1)
	v_and_b32_e32 v6, 0xfc00, v6
	v_or3_b32 v81, v1, v6, v0
.LBB285_1016:                           ;   in Loop: Header=BB285_15 Depth=1
	s_or_b32 exec_lo, exec_lo, s18
.LBB285_1017:                           ;   in Loop: Header=BB285_15 Depth=1
	s_delay_alu instid0(SALU_CYCLE_1)
	s_or_b32 exec_lo, exec_lo, s17
.LBB285_1018:                           ;   in Loop: Header=BB285_15 Depth=1
	s_delay_alu instid0(SALU_CYCLE_1) | instskip(SKIP_3) | instid1(VALU_DEP_2)
	s_or_b32 exec_lo, exec_lo, s16
	v_lshrrev_b16 v24, 8, v24
	v_dual_mov_b32 v63, 0 :: v_dual_mov_b32 v99, 0
	s_mov_b32 s16, exec_lo
	v_cmpx_ne_u16_e32 0, v24
	s_cbranch_execz .LBB285_1026
; %bb.1019:                             ;   in Loop: Header=BB285_15 Depth=1
	v_bfrev_b32_e32 v99, 1
	s_mov_b32 s17, exec_lo
	v_cmpx_ne_u16_e32 0x80, v24
	s_cbranch_execz .LBB285_1025
; %bb.1020:                             ;   in Loop: Header=BB285_15 Depth=1
	v_and_b32_e32 v0, 0xffff, v24
	v_mov_b32_e32 v99, 0x7c010000
	s_mov_b32 s18, exec_lo
	s_delay_alu instid0(VALU_DEP_2) | instskip(NEXT) | instid1(VALU_DEP_1)
	v_and_b32_e32 v9, 0x7f, v0
	v_cmpx_ne_u32_e32 0x7f, v9
	s_cbranch_execz .LBB285_1024
; %bb.1021:                             ;   in Loop: Header=BB285_15 Depth=1
	v_dual_lshrrev_b32 v8, 3, v9 :: v_dual_bitop2_b32 v6, 7, v0 bitop3:0x40
	s_mov_b32 s19, exec_lo
	v_cmpx_gt_u32_e32 8, v9
; %bb.1022:                             ;   in Loop: Header=BB285_15 Depth=1
	s_delay_alu instid0(VALU_DEP_2) | instskip(NEXT) | instid1(VALU_DEP_1)
	v_clz_i32_u32_e32 v1, v6
	v_min_u32_e32 v1, 32, v1
	s_delay_alu instid0(VALU_DEP_1) | instskip(NEXT) | instid1(VALU_DEP_1)
	v_subrev_nc_u32_e32 v6, 28, v1
	v_lshlrev_b64_e32 v[16:17], v6, v[24:25]
	s_delay_alu instid0(VALU_DEP_1)
	v_dual_sub_nc_u32 v8, 29, v1 :: v_dual_bitop2_b32 v6, 7, v16 bitop3:0x40
; %bb.1023:                             ;   in Loop: Header=BB285_15 Depth=1
	s_or_b32 exec_lo, exec_lo, s19
	v_lshlrev_b32_e32 v0, 8, v0
	s_delay_alu instid0(VALU_DEP_2) | instskip(NEXT) | instid1(VALU_DEP_1)
	v_lshl_add_u32 v1, v8, 10, 0x2000
	v_and_or_b32 v0, 0x8000, v0, v1
	v_lshlrev_b32_e32 v1, 23, v6
	s_delay_alu instid0(VALU_DEP_1)
	v_lshl_or_b32 v99, v0, 16, v1
.LBB285_1024:                           ;   in Loop: Header=BB285_15 Depth=1
	s_or_b32 exec_lo, exec_lo, s18
.LBB285_1025:                           ;   in Loop: Header=BB285_15 Depth=1
	s_delay_alu instid0(SALU_CYCLE_1)
	s_or_b32 exec_lo, exec_lo, s17
.LBB285_1026:                           ;   in Loop: Header=BB285_15 Depth=1
	s_delay_alu instid0(SALU_CYCLE_1) | instskip(SKIP_2) | instid1(VALU_DEP_1)
	s_or_b32 exec_lo, exec_lo, s16
	v_lshrrev_b32_e32 v0, 16, v5
	s_mov_b32 s16, exec_lo
	v_and_b32_e32 v6, 0xff, v0
	s_delay_alu instid0(VALU_DEP_1)
	v_cmpx_ne_u16_e32 0, v6
	s_cbranch_execz .LBB285_1034
; %bb.1027:                             ;   in Loop: Header=BB285_15 Depth=1
	v_mov_b32_e32 v63, 0x8000
	s_mov_b32 s17, exec_lo
	v_cmpx_ne_u16_e32 0x80, v6
	s_cbranch_execz .LBB285_1033
; %bb.1028:                             ;   in Loop: Header=BB285_15 Depth=1
	v_bfe_u32 v9, v5, 16, 7
	v_mov_b32_e32 v63, 0x7c01
	s_mov_b32 s18, exec_lo
	s_delay_alu instid0(VALU_DEP_2)
	v_cmpx_ne_u32_e32 0x7f, v9
	s_cbranch_execz .LBB285_1032
; %bb.1029:                             ;   in Loop: Header=BB285_15 Depth=1
	v_dual_lshrrev_b32 v8, 3, v9 :: v_dual_bitop2_b32 v6, 7, v0 bitop3:0x40
	s_mov_b32 s19, exec_lo
	v_cmpx_gt_u32_e32 8, v9
; %bb.1030:                             ;   in Loop: Header=BB285_15 Depth=1
	s_delay_alu instid0(VALU_DEP_2) | instskip(NEXT) | instid1(VALU_DEP_1)
	v_clz_i32_u32_e32 v1, v6
	v_min_u32_e32 v1, 32, v1
	s_delay_alu instid0(VALU_DEP_1) | instskip(NEXT) | instid1(VALU_DEP_1)
	v_subrev_nc_u32_e32 v6, 28, v1
	v_lshlrev_b64_e32 v[16:17], v6, v[0:1]
	s_delay_alu instid0(VALU_DEP_1)
	v_dual_sub_nc_u32 v8, 29, v1 :: v_dual_bitop2_b32 v6, 7, v16 bitop3:0x40
; %bb.1031:                             ;   in Loop: Header=BB285_15 Depth=1
	s_or_b32 exec_lo, exec_lo, s19
	s_delay_alu instid0(VALU_DEP_1) | instskip(NEXT) | instid1(VALU_DEP_2)
	v_dual_lshlrev_b32 v0, 8, v0 :: v_dual_lshlrev_b32 v6, 7, v6
	v_lshl_add_u32 v1, v8, 10, 0x2000
	s_delay_alu instid0(VALU_DEP_2) | instskip(NEXT) | instid1(VALU_DEP_2)
	v_and_b32_e32 v0, 0x8000, v0
	v_and_b32_e32 v1, 0xfc00, v1
	s_delay_alu instid0(VALU_DEP_1)
	v_or3_b32 v63, v0, v1, v6
.LBB285_1032:                           ;   in Loop: Header=BB285_15 Depth=1
	s_or_b32 exec_lo, exec_lo, s18
.LBB285_1033:                           ;   in Loop: Header=BB285_15 Depth=1
	s_delay_alu instid0(SALU_CYCLE_1)
	s_or_b32 exec_lo, exec_lo, s17
.LBB285_1034:                           ;   in Loop: Header=BB285_15 Depth=1
	s_delay_alu instid0(SALU_CYCLE_1)
	s_or_b32 exec_lo, exec_lo, s16
	v_dual_mov_b32 v96, 0 :: v_dual_mov_b32 v101, 0
	s_mov_b32 s16, exec_lo
	v_cmpx_lt_u64_e64 s[8:9], v[4:5]
	s_cbranch_execz .LBB285_1042
; %bb.1035:                             ;   in Loop: Header=BB285_15 Depth=1
	v_lshrrev_b32_e32 v24, 24, v5
	v_bfrev_b32_e32 v101, 1
	s_mov_b32 s17, exec_lo
	s_delay_alu instid0(VALU_DEP_2)
	v_cmpx_ne_u32_e32 0x80, v24
	s_cbranch_execz .LBB285_1041
; %bb.1036:                             ;   in Loop: Header=BB285_15 Depth=1
	v_and_b32_e32 v5, 0x7f, v24
	v_mov_b32_e32 v101, 0x7c010000
	s_mov_b32 s18, exec_lo
	s_delay_alu instid0(VALU_DEP_2)
	v_cmpx_ne_u32_e32 0x7f, v5
	s_cbranch_execz .LBB285_1040
; %bb.1037:                             ;   in Loop: Header=BB285_15 Depth=1
	v_dual_lshrrev_b32 v4, 3, v5 :: v_dual_bitop2_b32 v0, 7, v24 bitop3:0x40
	s_mov_b32 s19, exec_lo
	v_cmpx_gt_u32_e32 8, v5
; %bb.1038:                             ;   in Loop: Header=BB285_15 Depth=1
	s_delay_alu instid0(VALU_DEP_2) | instskip(NEXT) | instid1(VALU_DEP_1)
	v_clz_i32_u32_e32 v0, v0
	v_min_u32_e32 v0, 32, v0
	s_delay_alu instid0(VALU_DEP_1) | instskip(SKIP_1) | instid1(VALU_DEP_2)
	v_subrev_nc_u32_e32 v1, 28, v0
	v_sub_nc_u32_e32 v4, 29, v0
	v_lshlrev_b64_e32 v[8:9], v1, v[24:25]
	s_delay_alu instid0(VALU_DEP_1)
	v_and_b32_e32 v0, 7, v8
; %bb.1039:                             ;   in Loop: Header=BB285_15 Depth=1
	s_or_b32 exec_lo, exec_lo, s19
	v_lshlrev_b32_e32 v1, 8, v24
	v_lshl_add_u32 v4, v4, 10, 0x2000
	s_delay_alu instid0(VALU_DEP_3) | instskip(NEXT) | instid1(VALU_DEP_2)
	v_lshlrev_b32_e32 v0, 23, v0
	v_and_or_b32 v1, 0x8000, v1, v4
	s_delay_alu instid0(VALU_DEP_1)
	v_lshl_or_b32 v101, v1, 16, v0
.LBB285_1040:                           ;   in Loop: Header=BB285_15 Depth=1
	s_or_b32 exec_lo, exec_lo, s18
.LBB285_1041:                           ;   in Loop: Header=BB285_15 Depth=1
	s_delay_alu instid0(SALU_CYCLE_1)
	s_or_b32 exec_lo, exec_lo, s17
.LBB285_1042:                           ;   in Loop: Header=BB285_15 Depth=1
	s_delay_alu instid0(SALU_CYCLE_1)
	s_or_b32 exec_lo, exec_lo, s16
	flat_load_b64 v[4:5], v[2:3] offset:4096
	s_mov_b32 s16, exec_lo
	s_wait_loadcnt_dscnt 0x0
	v_and_b32_e32 v0, 0xff, v4
	s_wait_xcnt 0x0
	s_delay_alu instid0(VALU_DEP_1)
	v_cmpx_ne_u16_e32 0, v0
	s_cbranch_execz .LBB285_1050
; %bb.1043:                             ;   in Loop: Header=BB285_15 Depth=1
	v_mov_b32_e32 v96, 0x8000
	s_mov_b32 s17, exec_lo
	v_cmpx_ne_u16_e32 0x80, v0
	s_cbranch_execz .LBB285_1049
; %bb.1044:                             ;   in Loop: Header=BB285_15 Depth=1
	v_and_b32_e32 v8, 0x7f, v4
	v_mov_b32_e32 v96, 0x7c01
	s_mov_b32 s18, exec_lo
	s_delay_alu instid0(VALU_DEP_2)
	v_cmpx_ne_u32_e32 0x7f, v8
	s_cbranch_execz .LBB285_1048
; %bb.1045:                             ;   in Loop: Header=BB285_15 Depth=1
	v_and_b32_e32 v0, 7, v4
	v_lshrrev_b32_e32 v6, 3, v8
	s_mov_b32 s19, exec_lo
	v_cmpx_gt_u32_e32 8, v8
; %bb.1046:                             ;   in Loop: Header=BB285_15 Depth=1
	s_delay_alu instid0(VALU_DEP_3) | instskip(NEXT) | instid1(VALU_DEP_1)
	v_clz_i32_u32_e32 v0, v0
	v_min_u32_e32 v0, 32, v0
	s_delay_alu instid0(VALU_DEP_1) | instskip(SKIP_1) | instid1(VALU_DEP_2)
	v_subrev_nc_u32_e32 v1, 28, v0
	v_sub_nc_u32_e32 v6, 29, v0
	v_lshlrev_b64_e32 v[8:9], v1, v[4:5]
	s_delay_alu instid0(VALU_DEP_1)
	v_and_b32_e32 v0, 7, v8
; %bb.1047:                             ;   in Loop: Header=BB285_15 Depth=1
	s_or_b32 exec_lo, exec_lo, s19
	v_lshlrev_b32_e32 v1, 8, v4
	v_lshl_add_u32 v6, v6, 10, 0x2000
	s_delay_alu instid0(VALU_DEP_3) | instskip(NEXT) | instid1(VALU_DEP_3)
	v_lshlrev_b32_e32 v0, 7, v0
	v_and_b32_e32 v1, 0x8000, v1
	s_delay_alu instid0(VALU_DEP_3) | instskip(NEXT) | instid1(VALU_DEP_1)
	v_and_b32_e32 v6, 0xfc00, v6
	v_or3_b32 v96, v1, v6, v0
.LBB285_1048:                           ;   in Loop: Header=BB285_15 Depth=1
	s_or_b32 exec_lo, exec_lo, s18
.LBB285_1049:                           ;   in Loop: Header=BB285_15 Depth=1
	s_delay_alu instid0(SALU_CYCLE_1)
	s_or_b32 exec_lo, exec_lo, s17
.LBB285_1050:                           ;   in Loop: Header=BB285_15 Depth=1
	s_delay_alu instid0(SALU_CYCLE_1) | instskip(SKIP_3) | instid1(VALU_DEP_2)
	s_or_b32 exec_lo, exec_lo, s16
	v_lshrrev_b16 v24, 8, v4
	v_dual_mov_b32 v103, 0 :: v_dual_mov_b32 v72, 0
	s_mov_b32 s16, exec_lo
	v_cmpx_ne_u16_e32 0, v24
	s_cbranch_execz .LBB285_1058
; %bb.1051:                             ;   in Loop: Header=BB285_15 Depth=1
	v_bfrev_b32_e32 v72, 1
	s_mov_b32 s17, exec_lo
	v_cmpx_ne_u16_e32 0x80, v24
	s_cbranch_execz .LBB285_1057
; %bb.1052:                             ;   in Loop: Header=BB285_15 Depth=1
	v_and_b32_e32 v0, 0xffff, v24
	v_mov_b32_e32 v72, 0x7c010000
	s_mov_b32 s18, exec_lo
	s_delay_alu instid0(VALU_DEP_2) | instskip(NEXT) | instid1(VALU_DEP_1)
	v_and_b32_e32 v9, 0x7f, v0
	v_cmpx_ne_u32_e32 0x7f, v9
	s_cbranch_execz .LBB285_1056
; %bb.1053:                             ;   in Loop: Header=BB285_15 Depth=1
	v_dual_lshrrev_b32 v8, 3, v9 :: v_dual_bitop2_b32 v6, 7, v0 bitop3:0x40
	s_mov_b32 s19, exec_lo
	v_cmpx_gt_u32_e32 8, v9
; %bb.1054:                             ;   in Loop: Header=BB285_15 Depth=1
	s_delay_alu instid0(VALU_DEP_2) | instskip(NEXT) | instid1(VALU_DEP_1)
	v_clz_i32_u32_e32 v1, v6
	v_min_u32_e32 v1, 32, v1
	s_delay_alu instid0(VALU_DEP_1) | instskip(NEXT) | instid1(VALU_DEP_1)
	v_subrev_nc_u32_e32 v6, 28, v1
	v_lshlrev_b64_e32 v[16:17], v6, v[24:25]
	s_delay_alu instid0(VALU_DEP_1)
	v_dual_sub_nc_u32 v8, 29, v1 :: v_dual_bitop2_b32 v6, 7, v16 bitop3:0x40
; %bb.1055:                             ;   in Loop: Header=BB285_15 Depth=1
	s_or_b32 exec_lo, exec_lo, s19
	v_lshlrev_b32_e32 v0, 8, v0
	s_delay_alu instid0(VALU_DEP_2) | instskip(NEXT) | instid1(VALU_DEP_1)
	v_lshl_add_u32 v1, v8, 10, 0x2000
	v_and_or_b32 v0, 0x8000, v0, v1
	v_lshlrev_b32_e32 v1, 23, v6
	s_delay_alu instid0(VALU_DEP_1)
	v_lshl_or_b32 v72, v0, 16, v1
.LBB285_1056:                           ;   in Loop: Header=BB285_15 Depth=1
	s_or_b32 exec_lo, exec_lo, s18
.LBB285_1057:                           ;   in Loop: Header=BB285_15 Depth=1
	s_delay_alu instid0(SALU_CYCLE_1)
	s_or_b32 exec_lo, exec_lo, s17
.LBB285_1058:                           ;   in Loop: Header=BB285_15 Depth=1
	s_delay_alu instid0(SALU_CYCLE_1) | instskip(SKIP_2) | instid1(VALU_DEP_1)
	s_or_b32 exec_lo, exec_lo, s16
	v_lshrrev_b32_e32 v0, 16, v4
	s_mov_b32 s16, exec_lo
	v_and_b32_e32 v6, 0xff, v0
	s_delay_alu instid0(VALU_DEP_1)
	v_cmpx_ne_u16_e32 0, v6
	s_cbranch_execz .LBB285_1066
; %bb.1059:                             ;   in Loop: Header=BB285_15 Depth=1
	v_mov_b32_e32 v103, 0x8000
	s_mov_b32 s17, exec_lo
	v_cmpx_ne_u16_e32 0x80, v6
	s_cbranch_execz .LBB285_1065
; %bb.1060:                             ;   in Loop: Header=BB285_15 Depth=1
	v_bfe_u32 v9, v4, 16, 7
	v_mov_b32_e32 v103, 0x7c01
	s_mov_b32 s18, exec_lo
	s_delay_alu instid0(VALU_DEP_2)
	v_cmpx_ne_u32_e32 0x7f, v9
	s_cbranch_execz .LBB285_1064
; %bb.1061:                             ;   in Loop: Header=BB285_15 Depth=1
	v_dual_lshrrev_b32 v8, 3, v9 :: v_dual_bitop2_b32 v6, 7, v0 bitop3:0x40
	s_mov_b32 s19, exec_lo
	v_cmpx_gt_u32_e32 8, v9
; %bb.1062:                             ;   in Loop: Header=BB285_15 Depth=1
	s_delay_alu instid0(VALU_DEP_2) | instskip(NEXT) | instid1(VALU_DEP_1)
	v_clz_i32_u32_e32 v1, v6
	v_min_u32_e32 v1, 32, v1
	s_delay_alu instid0(VALU_DEP_1) | instskip(NEXT) | instid1(VALU_DEP_1)
	v_subrev_nc_u32_e32 v6, 28, v1
	v_lshlrev_b64_e32 v[16:17], v6, v[0:1]
	s_delay_alu instid0(VALU_DEP_1)
	v_dual_sub_nc_u32 v8, 29, v1 :: v_dual_bitop2_b32 v6, 7, v16 bitop3:0x40
; %bb.1063:                             ;   in Loop: Header=BB285_15 Depth=1
	s_or_b32 exec_lo, exec_lo, s19
	s_delay_alu instid0(VALU_DEP_1) | instskip(NEXT) | instid1(VALU_DEP_2)
	v_dual_lshlrev_b32 v0, 8, v0 :: v_dual_lshlrev_b32 v6, 7, v6
	v_lshl_add_u32 v1, v8, 10, 0x2000
	s_delay_alu instid0(VALU_DEP_2) | instskip(NEXT) | instid1(VALU_DEP_2)
	v_and_b32_e32 v0, 0x8000, v0
	v_and_b32_e32 v1, 0xfc00, v1
	s_delay_alu instid0(VALU_DEP_1)
	v_or3_b32 v103, v0, v1, v6
.LBB285_1064:                           ;   in Loop: Header=BB285_15 Depth=1
	s_or_b32 exec_lo, exec_lo, s18
.LBB285_1065:                           ;   in Loop: Header=BB285_15 Depth=1
	s_delay_alu instid0(SALU_CYCLE_1)
	s_or_b32 exec_lo, exec_lo, s17
.LBB285_1066:                           ;   in Loop: Header=BB285_15 Depth=1
	s_delay_alu instid0(SALU_CYCLE_1)
	s_or_b32 exec_lo, exec_lo, s16
	v_dual_mov_b32 v97, 0 :: v_dual_mov_b32 v73, 0
	s_mov_b32 s16, exec_lo
	v_cmpx_lt_u32_e32 0xffffff, v4
	s_cbranch_execz .LBB285_1074
; %bb.1067:                             ;   in Loop: Header=BB285_15 Depth=1
	v_lshrrev_b32_e32 v24, 24, v4
	v_bfrev_b32_e32 v73, 1
	s_mov_b32 s17, exec_lo
	s_delay_alu instid0(VALU_DEP_2)
	v_cmpx_ne_u32_e32 0x80, v24
	s_cbranch_execz .LBB285_1073
; %bb.1068:                             ;   in Loop: Header=BB285_15 Depth=1
	v_and_b32_e32 v8, 0x7f, v24
	v_mov_b32_e32 v73, 0x7c010000
	s_mov_b32 s18, exec_lo
	s_delay_alu instid0(VALU_DEP_2)
	v_cmpx_ne_u32_e32 0x7f, v8
	s_cbranch_execz .LBB285_1072
; %bb.1069:                             ;   in Loop: Header=BB285_15 Depth=1
	v_and_b32_e32 v0, 7, v24
	v_lshrrev_b32_e32 v6, 3, v8
	s_mov_b32 s19, exec_lo
	v_cmpx_gt_u32_e32 8, v8
; %bb.1070:                             ;   in Loop: Header=BB285_15 Depth=1
	s_delay_alu instid0(VALU_DEP_3) | instskip(NEXT) | instid1(VALU_DEP_1)
	v_clz_i32_u32_e32 v0, v0
	v_min_u32_e32 v0, 32, v0
	s_delay_alu instid0(VALU_DEP_1) | instskip(SKIP_1) | instid1(VALU_DEP_2)
	v_subrev_nc_u32_e32 v1, 28, v0
	v_sub_nc_u32_e32 v6, 29, v0
	v_lshlrev_b64_e32 v[8:9], v1, v[24:25]
	s_delay_alu instid0(VALU_DEP_1)
	v_and_b32_e32 v0, 7, v8
; %bb.1071:                             ;   in Loop: Header=BB285_15 Depth=1
	s_or_b32 exec_lo, exec_lo, s19
	v_lshlrev_b32_e32 v1, 8, v24
	v_lshl_add_u32 v6, v6, 10, 0x2000
	s_delay_alu instid0(VALU_DEP_3) | instskip(NEXT) | instid1(VALU_DEP_2)
	v_lshlrev_b32_e32 v0, 23, v0
	v_and_or_b32 v1, 0x8000, v1, v6
	s_delay_alu instid0(VALU_DEP_1)
	v_lshl_or_b32 v73, v1, 16, v0
.LBB285_1072:                           ;   in Loop: Header=BB285_15 Depth=1
	s_or_b32 exec_lo, exec_lo, s18
.LBB285_1073:                           ;   in Loop: Header=BB285_15 Depth=1
	s_delay_alu instid0(SALU_CYCLE_1)
	s_or_b32 exec_lo, exec_lo, s17
.LBB285_1074:                           ;   in Loop: Header=BB285_15 Depth=1
	s_delay_alu instid0(SALU_CYCLE_1) | instskip(SKIP_3) | instid1(VALU_DEP_2)
	s_or_b32 exec_lo, exec_lo, s16
	v_and_b32_e32 v0, 0xff, v5
	v_mov_b32_e32 v24, v5
	s_mov_b32 s16, exec_lo
	v_cmpx_ne_u16_e32 0, v0
	s_cbranch_execz .LBB285_1082
; %bb.1075:                             ;   in Loop: Header=BB285_15 Depth=1
	v_mov_b32_e32 v97, 0x8000
	s_mov_b32 s17, exec_lo
	v_cmpx_ne_u16_e32 0x80, v0
	s_cbranch_execz .LBB285_1081
; %bb.1076:                             ;   in Loop: Header=BB285_15 Depth=1
	v_and_b32_e32 v8, 0x7f, v5
	v_mov_b32_e32 v97, 0x7c01
	s_mov_b32 s18, exec_lo
	s_delay_alu instid0(VALU_DEP_2)
	v_cmpx_ne_u32_e32 0x7f, v8
	s_cbranch_execz .LBB285_1080
; %bb.1077:                             ;   in Loop: Header=BB285_15 Depth=1
	v_dual_lshrrev_b32 v6, 3, v8 :: v_dual_bitop2_b32 v0, 7, v5 bitop3:0x40
	s_mov_b32 s19, exec_lo
	v_cmpx_gt_u32_e32 8, v8
; %bb.1078:                             ;   in Loop: Header=BB285_15 Depth=1
	s_delay_alu instid0(VALU_DEP_2) | instskip(NEXT) | instid1(VALU_DEP_1)
	v_clz_i32_u32_e32 v0, v0
	v_min_u32_e32 v0, 32, v0
	s_delay_alu instid0(VALU_DEP_1) | instskip(SKIP_1) | instid1(VALU_DEP_2)
	v_subrev_nc_u32_e32 v1, 28, v0
	v_sub_nc_u32_e32 v6, 29, v0
	v_lshlrev_b64_e32 v[8:9], v1, v[24:25]
	s_delay_alu instid0(VALU_DEP_1)
	v_and_b32_e32 v0, 7, v8
; %bb.1079:                             ;   in Loop: Header=BB285_15 Depth=1
	s_or_b32 exec_lo, exec_lo, s19
	s_delay_alu instid0(VALU_DEP_1) | instskip(SKIP_1) | instid1(VALU_DEP_2)
	v_dual_lshlrev_b32 v1, 8, v5 :: v_dual_lshlrev_b32 v0, 7, v0
	v_lshl_add_u32 v6, v6, 10, 0x2000
	v_and_b32_e32 v1, 0x8000, v1
	s_delay_alu instid0(VALU_DEP_2) | instskip(NEXT) | instid1(VALU_DEP_1)
	v_and_b32_e32 v6, 0xfc00, v6
	v_or3_b32 v97, v1, v6, v0
.LBB285_1080:                           ;   in Loop: Header=BB285_15 Depth=1
	s_or_b32 exec_lo, exec_lo, s18
.LBB285_1081:                           ;   in Loop: Header=BB285_15 Depth=1
	s_delay_alu instid0(SALU_CYCLE_1)
	s_or_b32 exec_lo, exec_lo, s17
.LBB285_1082:                           ;   in Loop: Header=BB285_15 Depth=1
	s_delay_alu instid0(SALU_CYCLE_1)
	s_or_b32 exec_lo, exec_lo, s16
	v_lshrrev_b16 v24, 8, v24
	v_dual_mov_b32 v0, 0 :: v_dual_mov_b32 v41, 0
	s_mov_b32 s16, exec_lo
	scratch_store_b32 off, v0, s32 offset:524 ; 4-byte Folded Spill
	s_wait_xcnt 0x0
	v_cmpx_ne_u16_e32 0, v24
	s_cbranch_execz .LBB285_1090
; %bb.1083:                             ;   in Loop: Header=BB285_15 Depth=1
	v_bfrev_b32_e32 v41, 1
	s_mov_b32 s17, exec_lo
	v_cmpx_ne_u16_e32 0x80, v24
	s_cbranch_execz .LBB285_1089
; %bb.1084:                             ;   in Loop: Header=BB285_15 Depth=1
	v_and_b32_e32 v0, 0xffff, v24
	v_mov_b32_e32 v41, 0x7c010000
	s_mov_b32 s18, exec_lo
	s_delay_alu instid0(VALU_DEP_2) | instskip(NEXT) | instid1(VALU_DEP_1)
	v_and_b32_e32 v9, 0x7f, v0
	v_cmpx_ne_u32_e32 0x7f, v9
	s_cbranch_execz .LBB285_1088
; %bb.1085:                             ;   in Loop: Header=BB285_15 Depth=1
	v_dual_lshrrev_b32 v8, 3, v9 :: v_dual_bitop2_b32 v6, 7, v0 bitop3:0x40
	s_mov_b32 s19, exec_lo
	v_cmpx_gt_u32_e32 8, v9
; %bb.1086:                             ;   in Loop: Header=BB285_15 Depth=1
	s_delay_alu instid0(VALU_DEP_2) | instskip(NEXT) | instid1(VALU_DEP_1)
	v_clz_i32_u32_e32 v1, v6
	v_min_u32_e32 v1, 32, v1
	s_delay_alu instid0(VALU_DEP_1) | instskip(NEXT) | instid1(VALU_DEP_1)
	v_subrev_nc_u32_e32 v6, 28, v1
	v_lshlrev_b64_e32 v[16:17], v6, v[24:25]
	s_delay_alu instid0(VALU_DEP_1)
	v_dual_sub_nc_u32 v8, 29, v1 :: v_dual_bitop2_b32 v6, 7, v16 bitop3:0x40
; %bb.1087:                             ;   in Loop: Header=BB285_15 Depth=1
	s_or_b32 exec_lo, exec_lo, s19
	v_lshlrev_b32_e32 v0, 8, v0
	s_delay_alu instid0(VALU_DEP_2) | instskip(NEXT) | instid1(VALU_DEP_1)
	v_lshl_add_u32 v1, v8, 10, 0x2000
	v_and_or_b32 v0, 0x8000, v0, v1
	v_lshlrev_b32_e32 v1, 23, v6
	s_delay_alu instid0(VALU_DEP_1)
	v_lshl_or_b32 v41, v0, 16, v1
.LBB285_1088:                           ;   in Loop: Header=BB285_15 Depth=1
	s_or_b32 exec_lo, exec_lo, s18
.LBB285_1089:                           ;   in Loop: Header=BB285_15 Depth=1
	s_delay_alu instid0(SALU_CYCLE_1)
	s_or_b32 exec_lo, exec_lo, s17
.LBB285_1090:                           ;   in Loop: Header=BB285_15 Depth=1
	s_delay_alu instid0(SALU_CYCLE_1) | instskip(SKIP_2) | instid1(VALU_DEP_1)
	s_or_b32 exec_lo, exec_lo, s16
	v_lshrrev_b32_e32 v0, 16, v5
	s_mov_b32 s16, exec_lo
	v_and_b32_e32 v6, 0xff, v0
	s_delay_alu instid0(VALU_DEP_1)
	v_cmpx_ne_u16_e32 0, v6
	s_cbranch_execz .LBB285_1098
; %bb.1091:                             ;   in Loop: Header=BB285_15 Depth=1
	v_mov_b32_e32 v1, 0x8000
	s_mov_b32 s17, exec_lo
	scratch_store_b32 off, v1, s32 offset:524 ; 4-byte Folded Spill
	s_wait_xcnt 0x0
	v_cmpx_ne_u16_e32 0x80, v6
	s_cbranch_execz .LBB285_1097
; %bb.1092:                             ;   in Loop: Header=BB285_15 Depth=1
	v_bfe_u32 v9, v5, 16, 7
	v_mov_b32_e32 v1, 0x7c01
	s_mov_b32 s18, exec_lo
	scratch_store_b32 off, v1, s32 offset:524 ; 4-byte Folded Spill
	s_wait_xcnt 0x0
	v_cmpx_ne_u32_e32 0x7f, v9
	s_cbranch_execz .LBB285_1096
; %bb.1093:                             ;   in Loop: Header=BB285_15 Depth=1
	v_dual_lshrrev_b32 v8, 3, v9 :: v_dual_bitop2_b32 v6, 7, v0 bitop3:0x40
	s_mov_b32 s19, exec_lo
	v_cmpx_gt_u32_e32 8, v9
; %bb.1094:                             ;   in Loop: Header=BB285_15 Depth=1
	s_delay_alu instid0(VALU_DEP_2) | instskip(NEXT) | instid1(VALU_DEP_1)
	v_clz_i32_u32_e32 v1, v6
	v_min_u32_e32 v1, 32, v1
	s_delay_alu instid0(VALU_DEP_1) | instskip(NEXT) | instid1(VALU_DEP_1)
	v_subrev_nc_u32_e32 v6, 28, v1
	v_lshlrev_b64_e32 v[16:17], v6, v[0:1]
	s_delay_alu instid0(VALU_DEP_1)
	v_dual_sub_nc_u32 v8, 29, v1 :: v_dual_bitop2_b32 v6, 7, v16 bitop3:0x40
; %bb.1095:                             ;   in Loop: Header=BB285_15 Depth=1
	s_or_b32 exec_lo, exec_lo, s19
	s_delay_alu instid0(VALU_DEP_1) | instskip(NEXT) | instid1(VALU_DEP_2)
	v_dual_lshlrev_b32 v0, 8, v0 :: v_dual_lshlrev_b32 v6, 7, v6
	v_lshl_add_u32 v1, v8, 10, 0x2000
	s_delay_alu instid0(VALU_DEP_2) | instskip(NEXT) | instid1(VALU_DEP_2)
	v_and_b32_e32 v0, 0x8000, v0
	v_and_b32_e32 v1, 0xfc00, v1
	s_delay_alu instid0(VALU_DEP_1)
	v_or3_b32 v0, v0, v1, v6
	scratch_store_b32 off, v0, s32 offset:524 ; 4-byte Folded Spill
.LBB285_1096:                           ;   in Loop: Header=BB285_15 Depth=1
	s_wait_xcnt 0x0
	s_or_b32 exec_lo, exec_lo, s18
.LBB285_1097:                           ;   in Loop: Header=BB285_15 Depth=1
	s_delay_alu instid0(SALU_CYCLE_1)
	s_or_b32 exec_lo, exec_lo, s17
.LBB285_1098:                           ;   in Loop: Header=BB285_15 Depth=1
	s_delay_alu instid0(SALU_CYCLE_1)
	s_or_b32 exec_lo, exec_lo, s16
	v_dual_mov_b32 v0, 0 :: v_dual_mov_b32 v79, 0
	s_mov_b32 s16, exec_lo
	scratch_store_b32 off, v0, s32 offset:528 ; 4-byte Folded Spill
	s_wait_xcnt 0x0
	v_cmpx_lt_u64_e64 s[8:9], v[4:5]
	s_cbranch_execz .LBB285_1106
; %bb.1099:                             ;   in Loop: Header=BB285_15 Depth=1
	v_lshrrev_b32_e32 v24, 24, v5
	v_bfrev_b32_e32 v79, 1
	s_mov_b32 s17, exec_lo
	s_delay_alu instid0(VALU_DEP_2)
	v_cmpx_ne_u32_e32 0x80, v24
	s_cbranch_execz .LBB285_1105
; %bb.1100:                             ;   in Loop: Header=BB285_15 Depth=1
	v_and_b32_e32 v5, 0x7f, v24
	v_mov_b32_e32 v79, 0x7c010000
	s_mov_b32 s18, exec_lo
	s_delay_alu instid0(VALU_DEP_2)
	v_cmpx_ne_u32_e32 0x7f, v5
	s_cbranch_execz .LBB285_1104
; %bb.1101:                             ;   in Loop: Header=BB285_15 Depth=1
	v_dual_lshrrev_b32 v4, 3, v5 :: v_dual_bitop2_b32 v0, 7, v24 bitop3:0x40
	s_mov_b32 s19, exec_lo
	v_cmpx_gt_u32_e32 8, v5
; %bb.1102:                             ;   in Loop: Header=BB285_15 Depth=1
	s_delay_alu instid0(VALU_DEP_2) | instskip(NEXT) | instid1(VALU_DEP_1)
	v_clz_i32_u32_e32 v0, v0
	v_min_u32_e32 v0, 32, v0
	s_delay_alu instid0(VALU_DEP_1) | instskip(SKIP_1) | instid1(VALU_DEP_2)
	v_subrev_nc_u32_e32 v1, 28, v0
	v_sub_nc_u32_e32 v4, 29, v0
	v_lshlrev_b64_e32 v[8:9], v1, v[24:25]
	s_delay_alu instid0(VALU_DEP_1)
	v_and_b32_e32 v0, 7, v8
; %bb.1103:                             ;   in Loop: Header=BB285_15 Depth=1
	s_or_b32 exec_lo, exec_lo, s19
	v_lshlrev_b32_e32 v1, 8, v24
	v_lshl_add_u32 v4, v4, 10, 0x2000
	s_delay_alu instid0(VALU_DEP_3) | instskip(NEXT) | instid1(VALU_DEP_2)
	v_lshlrev_b32_e32 v0, 23, v0
	v_and_or_b32 v1, 0x8000, v1, v4
	s_delay_alu instid0(VALU_DEP_1)
	v_lshl_or_b32 v79, v1, 16, v0
.LBB285_1104:                           ;   in Loop: Header=BB285_15 Depth=1
	s_or_b32 exec_lo, exec_lo, s18
.LBB285_1105:                           ;   in Loop: Header=BB285_15 Depth=1
	s_delay_alu instid0(SALU_CYCLE_1)
	s_or_b32 exec_lo, exec_lo, s17
.LBB285_1106:                           ;   in Loop: Header=BB285_15 Depth=1
	s_delay_alu instid0(SALU_CYCLE_1)
	s_or_b32 exec_lo, exec_lo, s16
	flat_load_b64 v[4:5], v[2:3] offset:4104
	s_mov_b32 s16, exec_lo
	s_wait_loadcnt_dscnt 0x0
	v_and_b32_e32 v0, 0xff, v4
	s_wait_xcnt 0x0
	s_delay_alu instid0(VALU_DEP_1)
	v_cmpx_ne_u16_e32 0, v0
	s_cbranch_execz .LBB285_1114
; %bb.1107:                             ;   in Loop: Header=BB285_15 Depth=1
	v_cmp_ne_u16_e64 s1, 0x80, v0
	v_mov_b32_e32 v0, 0x8000
	scratch_store_b32 off, v0, s32 offset:528 ; 4-byte Folded Spill
	s_wait_xcnt 0x0
	s_and_saveexec_b32 s17, s1
	s_cbranch_execz .LBB285_1113
; %bb.1108:                             ;   in Loop: Header=BB285_15 Depth=1
	v_and_b32_e32 v8, 0x7f, v4
	v_mov_b32_e32 v0, 0x7c01
	s_mov_b32 s18, exec_lo
	scratch_store_b32 off, v0, s32 offset:528 ; 4-byte Folded Spill
	s_wait_xcnt 0x0
	v_cmpx_ne_u32_e32 0x7f, v8
	s_cbranch_execz .LBB285_1112
; %bb.1109:                             ;   in Loop: Header=BB285_15 Depth=1
	v_and_b32_e32 v0, 7, v4
	v_lshrrev_b32_e32 v6, 3, v8
	s_mov_b32 s19, exec_lo
	v_cmpx_gt_u32_e32 8, v8
; %bb.1110:                             ;   in Loop: Header=BB285_15 Depth=1
	s_delay_alu instid0(VALU_DEP_3) | instskip(NEXT) | instid1(VALU_DEP_1)
	v_clz_i32_u32_e32 v0, v0
	v_min_u32_e32 v0, 32, v0
	s_delay_alu instid0(VALU_DEP_1) | instskip(SKIP_1) | instid1(VALU_DEP_2)
	v_subrev_nc_u32_e32 v1, 28, v0
	v_sub_nc_u32_e32 v6, 29, v0
	v_lshlrev_b64_e32 v[8:9], v1, v[4:5]
	s_delay_alu instid0(VALU_DEP_1)
	v_and_b32_e32 v0, 7, v8
; %bb.1111:                             ;   in Loop: Header=BB285_15 Depth=1
	s_or_b32 exec_lo, exec_lo, s19
	v_lshlrev_b32_e32 v1, 8, v4
	v_lshl_add_u32 v6, v6, 10, 0x2000
	s_delay_alu instid0(VALU_DEP_3) | instskip(NEXT) | instid1(VALU_DEP_3)
	v_lshlrev_b32_e32 v0, 7, v0
	v_and_b32_e32 v1, 0x8000, v1
	s_delay_alu instid0(VALU_DEP_3) | instskip(NEXT) | instid1(VALU_DEP_1)
	v_and_b32_e32 v6, 0xfc00, v6
	v_or3_b32 v0, v1, v6, v0
	scratch_store_b32 off, v0, s32 offset:528 ; 4-byte Folded Spill
.LBB285_1112:                           ;   in Loop: Header=BB285_15 Depth=1
	s_wait_xcnt 0x0
	s_or_b32 exec_lo, exec_lo, s18
.LBB285_1113:                           ;   in Loop: Header=BB285_15 Depth=1
	s_delay_alu instid0(SALU_CYCLE_1)
	s_or_b32 exec_lo, exec_lo, s17
.LBB285_1114:                           ;   in Loop: Header=BB285_15 Depth=1
	s_delay_alu instid0(SALU_CYCLE_1) | instskip(SKIP_3) | instid1(VALU_DEP_2)
	s_or_b32 exec_lo, exec_lo, s16
	v_lshrrev_b16 v24, 8, v4
	v_dual_mov_b32 v89, 0 :: v_dual_mov_b32 v88, 0
	s_mov_b32 s16, exec_lo
	v_cmpx_ne_u16_e32 0, v24
	s_cbranch_execz .LBB285_1122
; %bb.1115:                             ;   in Loop: Header=BB285_15 Depth=1
	v_bfrev_b32_e32 v88, 1
	s_mov_b32 s17, exec_lo
	v_cmpx_ne_u16_e32 0x80, v24
	s_cbranch_execz .LBB285_1121
; %bb.1116:                             ;   in Loop: Header=BB285_15 Depth=1
	v_and_b32_e32 v0, 0xffff, v24
	v_mov_b32_e32 v88, 0x7c010000
	s_mov_b32 s18, exec_lo
	s_delay_alu instid0(VALU_DEP_2) | instskip(NEXT) | instid1(VALU_DEP_1)
	v_and_b32_e32 v9, 0x7f, v0
	v_cmpx_ne_u32_e32 0x7f, v9
	s_cbranch_execz .LBB285_1120
; %bb.1117:                             ;   in Loop: Header=BB285_15 Depth=1
	v_dual_lshrrev_b32 v8, 3, v9 :: v_dual_bitop2_b32 v6, 7, v0 bitop3:0x40
	s_mov_b32 s19, exec_lo
	v_cmpx_gt_u32_e32 8, v9
; %bb.1118:                             ;   in Loop: Header=BB285_15 Depth=1
	s_delay_alu instid0(VALU_DEP_2) | instskip(NEXT) | instid1(VALU_DEP_1)
	v_clz_i32_u32_e32 v1, v6
	v_min_u32_e32 v1, 32, v1
	s_delay_alu instid0(VALU_DEP_1) | instskip(NEXT) | instid1(VALU_DEP_1)
	v_subrev_nc_u32_e32 v6, 28, v1
	v_lshlrev_b64_e32 v[16:17], v6, v[24:25]
	s_delay_alu instid0(VALU_DEP_1)
	v_dual_sub_nc_u32 v8, 29, v1 :: v_dual_bitop2_b32 v6, 7, v16 bitop3:0x40
; %bb.1119:                             ;   in Loop: Header=BB285_15 Depth=1
	s_or_b32 exec_lo, exec_lo, s19
	v_lshlrev_b32_e32 v0, 8, v0
	s_delay_alu instid0(VALU_DEP_2) | instskip(NEXT) | instid1(VALU_DEP_1)
	v_lshl_add_u32 v1, v8, 10, 0x2000
	v_and_or_b32 v0, 0x8000, v0, v1
	v_lshlrev_b32_e32 v1, 23, v6
	s_delay_alu instid0(VALU_DEP_1)
	v_lshl_or_b32 v88, v0, 16, v1
.LBB285_1120:                           ;   in Loop: Header=BB285_15 Depth=1
	s_or_b32 exec_lo, exec_lo, s18
.LBB285_1121:                           ;   in Loop: Header=BB285_15 Depth=1
	s_delay_alu instid0(SALU_CYCLE_1)
	s_or_b32 exec_lo, exec_lo, s17
.LBB285_1122:                           ;   in Loop: Header=BB285_15 Depth=1
	s_delay_alu instid0(SALU_CYCLE_1) | instskip(SKIP_2) | instid1(VALU_DEP_1)
	s_or_b32 exec_lo, exec_lo, s16
	v_lshrrev_b32_e32 v0, 16, v4
	s_mov_b32 s16, exec_lo
	v_and_b32_e32 v6, 0xff, v0
	s_delay_alu instid0(VALU_DEP_1)
	v_cmpx_ne_u16_e32 0, v6
	s_cbranch_execz .LBB285_1130
; %bb.1123:                             ;   in Loop: Header=BB285_15 Depth=1
	v_mov_b32_e32 v89, 0x8000
	s_mov_b32 s17, exec_lo
	v_cmpx_ne_u16_e32 0x80, v6
	s_cbranch_execz .LBB285_1129
; %bb.1124:                             ;   in Loop: Header=BB285_15 Depth=1
	v_bfe_u32 v9, v4, 16, 7
	v_mov_b32_e32 v89, 0x7c01
	s_mov_b32 s18, exec_lo
	s_delay_alu instid0(VALU_DEP_2)
	v_cmpx_ne_u32_e32 0x7f, v9
	s_cbranch_execz .LBB285_1128
; %bb.1125:                             ;   in Loop: Header=BB285_15 Depth=1
	v_dual_lshrrev_b32 v8, 3, v9 :: v_dual_bitop2_b32 v6, 7, v0 bitop3:0x40
	s_mov_b32 s19, exec_lo
	v_cmpx_gt_u32_e32 8, v9
; %bb.1126:                             ;   in Loop: Header=BB285_15 Depth=1
	s_delay_alu instid0(VALU_DEP_2) | instskip(NEXT) | instid1(VALU_DEP_1)
	v_clz_i32_u32_e32 v1, v6
	v_min_u32_e32 v1, 32, v1
	s_delay_alu instid0(VALU_DEP_1) | instskip(NEXT) | instid1(VALU_DEP_1)
	v_subrev_nc_u32_e32 v6, 28, v1
	v_lshlrev_b64_e32 v[16:17], v6, v[0:1]
	s_delay_alu instid0(VALU_DEP_1)
	v_dual_sub_nc_u32 v8, 29, v1 :: v_dual_bitop2_b32 v6, 7, v16 bitop3:0x40
; %bb.1127:                             ;   in Loop: Header=BB285_15 Depth=1
	s_or_b32 exec_lo, exec_lo, s19
	s_delay_alu instid0(VALU_DEP_1) | instskip(NEXT) | instid1(VALU_DEP_2)
	v_dual_lshlrev_b32 v0, 8, v0 :: v_dual_lshlrev_b32 v6, 7, v6
	v_lshl_add_u32 v1, v8, 10, 0x2000
	s_delay_alu instid0(VALU_DEP_2) | instskip(NEXT) | instid1(VALU_DEP_2)
	v_and_b32_e32 v0, 0x8000, v0
	v_and_b32_e32 v1, 0xfc00, v1
	s_delay_alu instid0(VALU_DEP_1)
	v_or3_b32 v89, v0, v1, v6
.LBB285_1128:                           ;   in Loop: Header=BB285_15 Depth=1
	s_or_b32 exec_lo, exec_lo, s18
.LBB285_1129:                           ;   in Loop: Header=BB285_15 Depth=1
	s_delay_alu instid0(SALU_CYCLE_1)
	s_or_b32 exec_lo, exec_lo, s17
.LBB285_1130:                           ;   in Loop: Header=BB285_15 Depth=1
	s_delay_alu instid0(SALU_CYCLE_1)
	s_or_b32 exec_lo, exec_lo, s16
	v_dual_mov_b32 v59, 0 :: v_dual_mov_b32 v61, 0
	s_mov_b32 s16, exec_lo
	v_cmpx_lt_u32_e32 0xffffff, v4
	s_cbranch_execz .LBB285_1138
; %bb.1131:                             ;   in Loop: Header=BB285_15 Depth=1
	v_lshrrev_b32_e32 v24, 24, v4
	v_bfrev_b32_e32 v61, 1
	s_mov_b32 s17, exec_lo
	s_delay_alu instid0(VALU_DEP_2)
	v_cmpx_ne_u32_e32 0x80, v24
	s_cbranch_execz .LBB285_1137
; %bb.1132:                             ;   in Loop: Header=BB285_15 Depth=1
	v_and_b32_e32 v8, 0x7f, v24
	v_mov_b32_e32 v61, 0x7c010000
	s_mov_b32 s18, exec_lo
	s_delay_alu instid0(VALU_DEP_2)
	v_cmpx_ne_u32_e32 0x7f, v8
	s_cbranch_execz .LBB285_1136
; %bb.1133:                             ;   in Loop: Header=BB285_15 Depth=1
	v_and_b32_e32 v0, 7, v24
	v_lshrrev_b32_e32 v6, 3, v8
	s_mov_b32 s19, exec_lo
	v_cmpx_gt_u32_e32 8, v8
; %bb.1134:                             ;   in Loop: Header=BB285_15 Depth=1
	s_delay_alu instid0(VALU_DEP_3) | instskip(NEXT) | instid1(VALU_DEP_1)
	v_clz_i32_u32_e32 v0, v0
	v_min_u32_e32 v0, 32, v0
	s_delay_alu instid0(VALU_DEP_1) | instskip(SKIP_1) | instid1(VALU_DEP_2)
	v_subrev_nc_u32_e32 v1, 28, v0
	v_sub_nc_u32_e32 v6, 29, v0
	v_lshlrev_b64_e32 v[8:9], v1, v[24:25]
	s_delay_alu instid0(VALU_DEP_1)
	v_and_b32_e32 v0, 7, v8
; %bb.1135:                             ;   in Loop: Header=BB285_15 Depth=1
	s_or_b32 exec_lo, exec_lo, s19
	v_lshlrev_b32_e32 v1, 8, v24
	v_lshl_add_u32 v6, v6, 10, 0x2000
	s_delay_alu instid0(VALU_DEP_3) | instskip(NEXT) | instid1(VALU_DEP_2)
	v_lshlrev_b32_e32 v0, 23, v0
	v_and_or_b32 v1, 0x8000, v1, v6
	s_delay_alu instid0(VALU_DEP_1)
	v_lshl_or_b32 v61, v1, 16, v0
.LBB285_1136:                           ;   in Loop: Header=BB285_15 Depth=1
	s_or_b32 exec_lo, exec_lo, s18
.LBB285_1137:                           ;   in Loop: Header=BB285_15 Depth=1
	s_delay_alu instid0(SALU_CYCLE_1)
	s_or_b32 exec_lo, exec_lo, s17
.LBB285_1138:                           ;   in Loop: Header=BB285_15 Depth=1
	s_delay_alu instid0(SALU_CYCLE_1) | instskip(SKIP_3) | instid1(VALU_DEP_2)
	s_or_b32 exec_lo, exec_lo, s16
	v_and_b32_e32 v0, 0xff, v5
	v_mov_b32_e32 v24, v5
	s_mov_b32 s16, exec_lo
	v_cmpx_ne_u16_e32 0, v0
	s_cbranch_execz .LBB285_1146
; %bb.1139:                             ;   in Loop: Header=BB285_15 Depth=1
	v_mov_b32_e32 v59, 0x8000
	s_mov_b32 s17, exec_lo
	v_cmpx_ne_u16_e32 0x80, v0
	s_cbranch_execz .LBB285_1145
; %bb.1140:                             ;   in Loop: Header=BB285_15 Depth=1
	v_and_b32_e32 v8, 0x7f, v5
	v_mov_b32_e32 v59, 0x7c01
	s_mov_b32 s18, exec_lo
	s_delay_alu instid0(VALU_DEP_2)
	v_cmpx_ne_u32_e32 0x7f, v8
	s_cbranch_execz .LBB285_1144
; %bb.1141:                             ;   in Loop: Header=BB285_15 Depth=1
	v_dual_lshrrev_b32 v6, 3, v8 :: v_dual_bitop2_b32 v0, 7, v5 bitop3:0x40
	s_mov_b32 s19, exec_lo
	v_cmpx_gt_u32_e32 8, v8
; %bb.1142:                             ;   in Loop: Header=BB285_15 Depth=1
	s_delay_alu instid0(VALU_DEP_2) | instskip(NEXT) | instid1(VALU_DEP_1)
	v_clz_i32_u32_e32 v0, v0
	v_min_u32_e32 v0, 32, v0
	s_delay_alu instid0(VALU_DEP_1) | instskip(SKIP_1) | instid1(VALU_DEP_2)
	v_subrev_nc_u32_e32 v1, 28, v0
	v_sub_nc_u32_e32 v6, 29, v0
	v_lshlrev_b64_e32 v[8:9], v1, v[24:25]
	s_delay_alu instid0(VALU_DEP_1)
	v_and_b32_e32 v0, 7, v8
; %bb.1143:                             ;   in Loop: Header=BB285_15 Depth=1
	s_or_b32 exec_lo, exec_lo, s19
	s_delay_alu instid0(VALU_DEP_1) | instskip(SKIP_1) | instid1(VALU_DEP_2)
	v_dual_lshlrev_b32 v1, 8, v5 :: v_dual_lshlrev_b32 v0, 7, v0
	v_lshl_add_u32 v6, v6, 10, 0x2000
	v_and_b32_e32 v1, 0x8000, v1
	s_delay_alu instid0(VALU_DEP_2) | instskip(NEXT) | instid1(VALU_DEP_1)
	v_and_b32_e32 v6, 0xfc00, v6
	v_or3_b32 v59, v1, v6, v0
.LBB285_1144:                           ;   in Loop: Header=BB285_15 Depth=1
	s_or_b32 exec_lo, exec_lo, s18
.LBB285_1145:                           ;   in Loop: Header=BB285_15 Depth=1
	s_delay_alu instid0(SALU_CYCLE_1)
	s_or_b32 exec_lo, exec_lo, s17
.LBB285_1146:                           ;   in Loop: Header=BB285_15 Depth=1
	s_delay_alu instid0(SALU_CYCLE_1) | instskip(SKIP_3) | instid1(VALU_DEP_2)
	s_or_b32 exec_lo, exec_lo, s16
	v_lshrrev_b16 v24, 8, v24
	v_dual_mov_b32 v58, 0 :: v_dual_mov_b32 v40, 0
	s_mov_b32 s16, exec_lo
	v_cmpx_ne_u16_e32 0, v24
	s_cbranch_execz .LBB285_1154
; %bb.1147:                             ;   in Loop: Header=BB285_15 Depth=1
	v_bfrev_b32_e32 v40, 1
	s_mov_b32 s17, exec_lo
	v_cmpx_ne_u16_e32 0x80, v24
	s_cbranch_execz .LBB285_1153
; %bb.1148:                             ;   in Loop: Header=BB285_15 Depth=1
	v_and_b32_e32 v0, 0xffff, v24
	v_mov_b32_e32 v40, 0x7c010000
	s_mov_b32 s18, exec_lo
	s_delay_alu instid0(VALU_DEP_2) | instskip(NEXT) | instid1(VALU_DEP_1)
	v_and_b32_e32 v9, 0x7f, v0
	v_cmpx_ne_u32_e32 0x7f, v9
	s_cbranch_execz .LBB285_1152
; %bb.1149:                             ;   in Loop: Header=BB285_15 Depth=1
	v_dual_lshrrev_b32 v8, 3, v9 :: v_dual_bitop2_b32 v6, 7, v0 bitop3:0x40
	s_mov_b32 s19, exec_lo
	v_cmpx_gt_u32_e32 8, v9
; %bb.1150:                             ;   in Loop: Header=BB285_15 Depth=1
	s_delay_alu instid0(VALU_DEP_2) | instskip(NEXT) | instid1(VALU_DEP_1)
	v_clz_i32_u32_e32 v1, v6
	v_min_u32_e32 v1, 32, v1
	s_delay_alu instid0(VALU_DEP_1) | instskip(NEXT) | instid1(VALU_DEP_1)
	v_subrev_nc_u32_e32 v6, 28, v1
	v_lshlrev_b64_e32 v[16:17], v6, v[24:25]
	s_delay_alu instid0(VALU_DEP_1)
	v_dual_sub_nc_u32 v8, 29, v1 :: v_dual_bitop2_b32 v6, 7, v16 bitop3:0x40
; %bb.1151:                             ;   in Loop: Header=BB285_15 Depth=1
	s_or_b32 exec_lo, exec_lo, s19
	v_lshlrev_b32_e32 v0, 8, v0
	s_delay_alu instid0(VALU_DEP_2) | instskip(NEXT) | instid1(VALU_DEP_1)
	v_lshl_add_u32 v1, v8, 10, 0x2000
	v_and_or_b32 v0, 0x8000, v0, v1
	v_lshlrev_b32_e32 v1, 23, v6
	s_delay_alu instid0(VALU_DEP_1)
	v_lshl_or_b32 v40, v0, 16, v1
.LBB285_1152:                           ;   in Loop: Header=BB285_15 Depth=1
	s_or_b32 exec_lo, exec_lo, s18
.LBB285_1153:                           ;   in Loop: Header=BB285_15 Depth=1
	s_delay_alu instid0(SALU_CYCLE_1)
	s_or_b32 exec_lo, exec_lo, s17
.LBB285_1154:                           ;   in Loop: Header=BB285_15 Depth=1
	s_delay_alu instid0(SALU_CYCLE_1) | instskip(SKIP_2) | instid1(VALU_DEP_1)
	s_or_b32 exec_lo, exec_lo, s16
	v_lshrrev_b32_e32 v0, 16, v5
	s_mov_b32 s16, exec_lo
	v_and_b32_e32 v6, 0xff, v0
	s_delay_alu instid0(VALU_DEP_1)
	v_cmpx_ne_u16_e32 0, v6
	s_cbranch_execz .LBB285_1162
; %bb.1155:                             ;   in Loop: Header=BB285_15 Depth=1
	v_mov_b32_e32 v58, 0x8000
	s_mov_b32 s17, exec_lo
	v_cmpx_ne_u16_e32 0x80, v6
	s_cbranch_execz .LBB285_1161
; %bb.1156:                             ;   in Loop: Header=BB285_15 Depth=1
	v_bfe_u32 v9, v5, 16, 7
	v_mov_b32_e32 v58, 0x7c01
	s_mov_b32 s18, exec_lo
	s_delay_alu instid0(VALU_DEP_2)
	v_cmpx_ne_u32_e32 0x7f, v9
	s_cbranch_execz .LBB285_1160
; %bb.1157:                             ;   in Loop: Header=BB285_15 Depth=1
	v_dual_lshrrev_b32 v8, 3, v9 :: v_dual_bitop2_b32 v6, 7, v0 bitop3:0x40
	s_mov_b32 s19, exec_lo
	v_cmpx_gt_u32_e32 8, v9
; %bb.1158:                             ;   in Loop: Header=BB285_15 Depth=1
	s_delay_alu instid0(VALU_DEP_2) | instskip(NEXT) | instid1(VALU_DEP_1)
	v_clz_i32_u32_e32 v1, v6
	v_min_u32_e32 v1, 32, v1
	s_delay_alu instid0(VALU_DEP_1) | instskip(NEXT) | instid1(VALU_DEP_1)
	v_subrev_nc_u32_e32 v6, 28, v1
	v_lshlrev_b64_e32 v[16:17], v6, v[0:1]
	s_delay_alu instid0(VALU_DEP_1)
	v_dual_sub_nc_u32 v8, 29, v1 :: v_dual_bitop2_b32 v6, 7, v16 bitop3:0x40
; %bb.1159:                             ;   in Loop: Header=BB285_15 Depth=1
	s_or_b32 exec_lo, exec_lo, s19
	s_delay_alu instid0(VALU_DEP_1) | instskip(NEXT) | instid1(VALU_DEP_2)
	v_dual_lshlrev_b32 v0, 8, v0 :: v_dual_lshlrev_b32 v6, 7, v6
	v_lshl_add_u32 v1, v8, 10, 0x2000
	s_delay_alu instid0(VALU_DEP_2) | instskip(NEXT) | instid1(VALU_DEP_2)
	v_and_b32_e32 v0, 0x8000, v0
	v_and_b32_e32 v1, 0xfc00, v1
	s_delay_alu instid0(VALU_DEP_1)
	v_or3_b32 v58, v0, v1, v6
.LBB285_1160:                           ;   in Loop: Header=BB285_15 Depth=1
	s_or_b32 exec_lo, exec_lo, s18
.LBB285_1161:                           ;   in Loop: Header=BB285_15 Depth=1
	s_delay_alu instid0(SALU_CYCLE_1)
	s_or_b32 exec_lo, exec_lo, s17
.LBB285_1162:                           ;   in Loop: Header=BB285_15 Depth=1
	s_delay_alu instid0(SALU_CYCLE_1)
	s_or_b32 exec_lo, exec_lo, s16
	v_dual_mov_b32 v75, 0 :: v_dual_mov_b32 v60, 0
	s_mov_b32 s16, exec_lo
	v_cmpx_lt_u64_e64 s[8:9], v[4:5]
	s_cbranch_execz .LBB285_1170
; %bb.1163:                             ;   in Loop: Header=BB285_15 Depth=1
	v_lshrrev_b32_e32 v24, 24, v5
	v_bfrev_b32_e32 v60, 1
	s_mov_b32 s17, exec_lo
	s_delay_alu instid0(VALU_DEP_2)
	v_cmpx_ne_u32_e32 0x80, v24
	s_cbranch_execz .LBB285_1169
; %bb.1164:                             ;   in Loop: Header=BB285_15 Depth=1
	v_and_b32_e32 v5, 0x7f, v24
	v_mov_b32_e32 v60, 0x7c010000
	s_mov_b32 s18, exec_lo
	s_delay_alu instid0(VALU_DEP_2)
	v_cmpx_ne_u32_e32 0x7f, v5
	s_cbranch_execz .LBB285_1168
; %bb.1165:                             ;   in Loop: Header=BB285_15 Depth=1
	v_dual_lshrrev_b32 v4, 3, v5 :: v_dual_bitop2_b32 v0, 7, v24 bitop3:0x40
	s_mov_b32 s19, exec_lo
	v_cmpx_gt_u32_e32 8, v5
; %bb.1166:                             ;   in Loop: Header=BB285_15 Depth=1
	s_delay_alu instid0(VALU_DEP_2) | instskip(NEXT) | instid1(VALU_DEP_1)
	v_clz_i32_u32_e32 v0, v0
	v_min_u32_e32 v0, 32, v0
	s_delay_alu instid0(VALU_DEP_1) | instskip(SKIP_1) | instid1(VALU_DEP_2)
	v_subrev_nc_u32_e32 v1, 28, v0
	v_sub_nc_u32_e32 v4, 29, v0
	v_lshlrev_b64_e32 v[8:9], v1, v[24:25]
	s_delay_alu instid0(VALU_DEP_1)
	v_and_b32_e32 v0, 7, v8
; %bb.1167:                             ;   in Loop: Header=BB285_15 Depth=1
	s_or_b32 exec_lo, exec_lo, s19
	v_lshlrev_b32_e32 v1, 8, v24
	v_lshl_add_u32 v4, v4, 10, 0x2000
	s_delay_alu instid0(VALU_DEP_3) | instskip(NEXT) | instid1(VALU_DEP_2)
	v_lshlrev_b32_e32 v0, 23, v0
	v_and_or_b32 v1, 0x8000, v1, v4
	s_delay_alu instid0(VALU_DEP_1)
	v_lshl_or_b32 v60, v1, 16, v0
.LBB285_1168:                           ;   in Loop: Header=BB285_15 Depth=1
	s_or_b32 exec_lo, exec_lo, s18
.LBB285_1169:                           ;   in Loop: Header=BB285_15 Depth=1
	s_delay_alu instid0(SALU_CYCLE_1)
	s_or_b32 exec_lo, exec_lo, s17
.LBB285_1170:                           ;   in Loop: Header=BB285_15 Depth=1
	s_delay_alu instid0(SALU_CYCLE_1)
	s_or_b32 exec_lo, exec_lo, s16
	flat_load_b64 v[4:5], v[2:3] offset:4608
	s_mov_b32 s16, exec_lo
	s_wait_loadcnt_dscnt 0x0
	v_and_b32_e32 v0, 0xff, v4
	s_wait_xcnt 0x0
	s_delay_alu instid0(VALU_DEP_1)
	v_cmpx_ne_u16_e32 0, v0
	s_cbranch_execz .LBB285_1178
; %bb.1171:                             ;   in Loop: Header=BB285_15 Depth=1
	v_mov_b32_e32 v75, 0x8000
	s_mov_b32 s17, exec_lo
	v_cmpx_ne_u16_e32 0x80, v0
	s_cbranch_execz .LBB285_1177
; %bb.1172:                             ;   in Loop: Header=BB285_15 Depth=1
	v_and_b32_e32 v8, 0x7f, v4
	v_mov_b32_e32 v75, 0x7c01
	s_mov_b32 s18, exec_lo
	s_delay_alu instid0(VALU_DEP_2)
	v_cmpx_ne_u32_e32 0x7f, v8
	s_cbranch_execz .LBB285_1176
; %bb.1173:                             ;   in Loop: Header=BB285_15 Depth=1
	v_and_b32_e32 v0, 7, v4
	v_lshrrev_b32_e32 v6, 3, v8
	s_mov_b32 s19, exec_lo
	v_cmpx_gt_u32_e32 8, v8
; %bb.1174:                             ;   in Loop: Header=BB285_15 Depth=1
	s_delay_alu instid0(VALU_DEP_3) | instskip(NEXT) | instid1(VALU_DEP_1)
	v_clz_i32_u32_e32 v0, v0
	v_min_u32_e32 v0, 32, v0
	s_delay_alu instid0(VALU_DEP_1) | instskip(SKIP_1) | instid1(VALU_DEP_2)
	v_subrev_nc_u32_e32 v1, 28, v0
	v_sub_nc_u32_e32 v6, 29, v0
	v_lshlrev_b64_e32 v[8:9], v1, v[4:5]
	s_delay_alu instid0(VALU_DEP_1)
	v_and_b32_e32 v0, 7, v8
; %bb.1175:                             ;   in Loop: Header=BB285_15 Depth=1
	s_or_b32 exec_lo, exec_lo, s19
	v_lshlrev_b32_e32 v1, 8, v4
	v_lshl_add_u32 v6, v6, 10, 0x2000
	s_delay_alu instid0(VALU_DEP_3) | instskip(NEXT) | instid1(VALU_DEP_3)
	v_lshlrev_b32_e32 v0, 7, v0
	v_and_b32_e32 v1, 0x8000, v1
	s_delay_alu instid0(VALU_DEP_3) | instskip(NEXT) | instid1(VALU_DEP_1)
	v_and_b32_e32 v6, 0xfc00, v6
	v_or3_b32 v75, v1, v6, v0
.LBB285_1176:                           ;   in Loop: Header=BB285_15 Depth=1
	s_or_b32 exec_lo, exec_lo, s18
.LBB285_1177:                           ;   in Loop: Header=BB285_15 Depth=1
	s_delay_alu instid0(SALU_CYCLE_1)
	s_or_b32 exec_lo, exec_lo, s17
.LBB285_1178:                           ;   in Loop: Header=BB285_15 Depth=1
	s_delay_alu instid0(SALU_CYCLE_1) | instskip(SKIP_3) | instid1(VALU_DEP_2)
	s_or_b32 exec_lo, exec_lo, s16
	v_lshrrev_b16 v24, 8, v4
	v_dual_mov_b32 v77, 0 :: v_dual_mov_b32 v76, 0
	s_mov_b32 s16, exec_lo
	v_cmpx_ne_u16_e32 0, v24
	s_cbranch_execz .LBB285_1186
; %bb.1179:                             ;   in Loop: Header=BB285_15 Depth=1
	v_bfrev_b32_e32 v76, 1
	s_mov_b32 s17, exec_lo
	v_cmpx_ne_u16_e32 0x80, v24
	s_cbranch_execz .LBB285_1185
; %bb.1180:                             ;   in Loop: Header=BB285_15 Depth=1
	v_and_b32_e32 v0, 0xffff, v24
	v_mov_b32_e32 v76, 0x7c010000
	s_mov_b32 s18, exec_lo
	s_delay_alu instid0(VALU_DEP_2) | instskip(NEXT) | instid1(VALU_DEP_1)
	v_and_b32_e32 v9, 0x7f, v0
	v_cmpx_ne_u32_e32 0x7f, v9
	s_cbranch_execz .LBB285_1184
; %bb.1181:                             ;   in Loop: Header=BB285_15 Depth=1
	v_dual_lshrrev_b32 v8, 3, v9 :: v_dual_bitop2_b32 v6, 7, v0 bitop3:0x40
	s_mov_b32 s19, exec_lo
	v_cmpx_gt_u32_e32 8, v9
; %bb.1182:                             ;   in Loop: Header=BB285_15 Depth=1
	s_delay_alu instid0(VALU_DEP_2) | instskip(NEXT) | instid1(VALU_DEP_1)
	v_clz_i32_u32_e32 v1, v6
	v_min_u32_e32 v1, 32, v1
	s_delay_alu instid0(VALU_DEP_1) | instskip(NEXT) | instid1(VALU_DEP_1)
	v_subrev_nc_u32_e32 v6, 28, v1
	v_lshlrev_b64_e32 v[16:17], v6, v[24:25]
	s_delay_alu instid0(VALU_DEP_1)
	v_dual_sub_nc_u32 v8, 29, v1 :: v_dual_bitop2_b32 v6, 7, v16 bitop3:0x40
; %bb.1183:                             ;   in Loop: Header=BB285_15 Depth=1
	s_or_b32 exec_lo, exec_lo, s19
	v_lshlrev_b32_e32 v0, 8, v0
	s_delay_alu instid0(VALU_DEP_2) | instskip(NEXT) | instid1(VALU_DEP_1)
	v_lshl_add_u32 v1, v8, 10, 0x2000
	v_and_or_b32 v0, 0x8000, v0, v1
	v_lshlrev_b32_e32 v1, 23, v6
	s_delay_alu instid0(VALU_DEP_1)
	v_lshl_or_b32 v76, v0, 16, v1
.LBB285_1184:                           ;   in Loop: Header=BB285_15 Depth=1
	s_or_b32 exec_lo, exec_lo, s18
.LBB285_1185:                           ;   in Loop: Header=BB285_15 Depth=1
	s_delay_alu instid0(SALU_CYCLE_1)
	s_or_b32 exec_lo, exec_lo, s17
.LBB285_1186:                           ;   in Loop: Header=BB285_15 Depth=1
	s_delay_alu instid0(SALU_CYCLE_1) | instskip(SKIP_2) | instid1(VALU_DEP_1)
	s_or_b32 exec_lo, exec_lo, s16
	v_lshrrev_b32_e32 v0, 16, v4
	s_mov_b32 s16, exec_lo
	v_and_b32_e32 v6, 0xff, v0
	s_delay_alu instid0(VALU_DEP_1)
	v_cmpx_ne_u16_e32 0, v6
	s_cbranch_execz .LBB285_1194
; %bb.1187:                             ;   in Loop: Header=BB285_15 Depth=1
	v_mov_b32_e32 v77, 0x8000
	s_mov_b32 s17, exec_lo
	v_cmpx_ne_u16_e32 0x80, v6
	s_cbranch_execz .LBB285_1193
; %bb.1188:                             ;   in Loop: Header=BB285_15 Depth=1
	v_bfe_u32 v9, v4, 16, 7
	v_mov_b32_e32 v77, 0x7c01
	s_mov_b32 s18, exec_lo
	s_delay_alu instid0(VALU_DEP_2)
	v_cmpx_ne_u32_e32 0x7f, v9
	s_cbranch_execz .LBB285_1192
; %bb.1189:                             ;   in Loop: Header=BB285_15 Depth=1
	v_dual_lshrrev_b32 v8, 3, v9 :: v_dual_bitop2_b32 v6, 7, v0 bitop3:0x40
	s_mov_b32 s19, exec_lo
	v_cmpx_gt_u32_e32 8, v9
; %bb.1190:                             ;   in Loop: Header=BB285_15 Depth=1
	s_delay_alu instid0(VALU_DEP_2) | instskip(NEXT) | instid1(VALU_DEP_1)
	v_clz_i32_u32_e32 v1, v6
	v_min_u32_e32 v1, 32, v1
	s_delay_alu instid0(VALU_DEP_1) | instskip(NEXT) | instid1(VALU_DEP_1)
	v_subrev_nc_u32_e32 v6, 28, v1
	v_lshlrev_b64_e32 v[16:17], v6, v[0:1]
	s_delay_alu instid0(VALU_DEP_1)
	v_dual_sub_nc_u32 v8, 29, v1 :: v_dual_bitop2_b32 v6, 7, v16 bitop3:0x40
; %bb.1191:                             ;   in Loop: Header=BB285_15 Depth=1
	s_or_b32 exec_lo, exec_lo, s19
	s_delay_alu instid0(VALU_DEP_1) | instskip(NEXT) | instid1(VALU_DEP_2)
	v_dual_lshlrev_b32 v0, 8, v0 :: v_dual_lshlrev_b32 v6, 7, v6
	v_lshl_add_u32 v1, v8, 10, 0x2000
	s_delay_alu instid0(VALU_DEP_2) | instskip(NEXT) | instid1(VALU_DEP_2)
	v_and_b32_e32 v0, 0x8000, v0
	v_and_b32_e32 v1, 0xfc00, v1
	s_delay_alu instid0(VALU_DEP_1)
	v_or3_b32 v77, v0, v1, v6
.LBB285_1192:                           ;   in Loop: Header=BB285_15 Depth=1
	s_or_b32 exec_lo, exec_lo, s18
.LBB285_1193:                           ;   in Loop: Header=BB285_15 Depth=1
	s_delay_alu instid0(SALU_CYCLE_1)
	s_or_b32 exec_lo, exec_lo, s17
.LBB285_1194:                           ;   in Loop: Header=BB285_15 Depth=1
	s_delay_alu instid0(SALU_CYCLE_1)
	s_or_b32 exec_lo, exec_lo, s16
	v_dual_mov_b32 v0, 0 :: v_dual_mov_b32 v95, 0
	s_mov_b32 s16, exec_lo
	scratch_store_b32 off, v0, s32 offset:532 ; 4-byte Folded Spill
	s_wait_xcnt 0x0
	v_cmpx_lt_u32_e32 0xffffff, v4
	s_cbranch_execz .LBB285_1202
; %bb.1195:                             ;   in Loop: Header=BB285_15 Depth=1
	v_lshrrev_b32_e32 v24, 24, v4
	v_bfrev_b32_e32 v95, 1
	s_mov_b32 s17, exec_lo
	s_delay_alu instid0(VALU_DEP_2)
	v_cmpx_ne_u32_e32 0x80, v24
	s_cbranch_execz .LBB285_1201
; %bb.1196:                             ;   in Loop: Header=BB285_15 Depth=1
	v_and_b32_e32 v8, 0x7f, v24
	v_mov_b32_e32 v95, 0x7c010000
	s_mov_b32 s18, exec_lo
	s_delay_alu instid0(VALU_DEP_2)
	v_cmpx_ne_u32_e32 0x7f, v8
	s_cbranch_execz .LBB285_1200
; %bb.1197:                             ;   in Loop: Header=BB285_15 Depth=1
	v_and_b32_e32 v0, 7, v24
	v_lshrrev_b32_e32 v6, 3, v8
	s_mov_b32 s19, exec_lo
	v_cmpx_gt_u32_e32 8, v8
; %bb.1198:                             ;   in Loop: Header=BB285_15 Depth=1
	s_delay_alu instid0(VALU_DEP_3) | instskip(NEXT) | instid1(VALU_DEP_1)
	v_clz_i32_u32_e32 v0, v0
	v_min_u32_e32 v0, 32, v0
	s_delay_alu instid0(VALU_DEP_1) | instskip(SKIP_1) | instid1(VALU_DEP_2)
	v_subrev_nc_u32_e32 v1, 28, v0
	v_sub_nc_u32_e32 v6, 29, v0
	v_lshlrev_b64_e32 v[8:9], v1, v[24:25]
	s_delay_alu instid0(VALU_DEP_1)
	v_and_b32_e32 v0, 7, v8
; %bb.1199:                             ;   in Loop: Header=BB285_15 Depth=1
	s_or_b32 exec_lo, exec_lo, s19
	v_lshlrev_b32_e32 v1, 8, v24
	v_lshl_add_u32 v6, v6, 10, 0x2000
	s_delay_alu instid0(VALU_DEP_3) | instskip(NEXT) | instid1(VALU_DEP_2)
	v_lshlrev_b32_e32 v0, 23, v0
	v_and_or_b32 v1, 0x8000, v1, v6
	s_delay_alu instid0(VALU_DEP_1)
	v_lshl_or_b32 v95, v1, 16, v0
.LBB285_1200:                           ;   in Loop: Header=BB285_15 Depth=1
	s_or_b32 exec_lo, exec_lo, s18
.LBB285_1201:                           ;   in Loop: Header=BB285_15 Depth=1
	s_delay_alu instid0(SALU_CYCLE_1)
	s_or_b32 exec_lo, exec_lo, s17
.LBB285_1202:                           ;   in Loop: Header=BB285_15 Depth=1
	s_delay_alu instid0(SALU_CYCLE_1) | instskip(SKIP_3) | instid1(VALU_DEP_2)
	s_or_b32 exec_lo, exec_lo, s16
	v_and_b32_e32 v0, 0xff, v5
	v_mov_b32_e32 v24, v5
	s_mov_b32 s16, exec_lo
	v_cmpx_ne_u16_e32 0, v0
	s_cbranch_execz .LBB285_1210
; %bb.1203:                             ;   in Loop: Header=BB285_15 Depth=1
	v_cmp_ne_u16_e64 s1, 0x80, v0
	v_mov_b32_e32 v0, 0x8000
	scratch_store_b32 off, v0, s32 offset:532 ; 4-byte Folded Spill
	s_wait_xcnt 0x0
	s_and_saveexec_b32 s17, s1
	s_cbranch_execz .LBB285_1209
; %bb.1204:                             ;   in Loop: Header=BB285_15 Depth=1
	v_and_b32_e32 v8, 0x7f, v5
	v_mov_b32_e32 v0, 0x7c01
	s_mov_b32 s18, exec_lo
	scratch_store_b32 off, v0, s32 offset:532 ; 4-byte Folded Spill
	s_wait_xcnt 0x0
	v_cmpx_ne_u32_e32 0x7f, v8
	s_cbranch_execz .LBB285_1208
; %bb.1205:                             ;   in Loop: Header=BB285_15 Depth=1
	v_dual_lshrrev_b32 v6, 3, v8 :: v_dual_bitop2_b32 v0, 7, v5 bitop3:0x40
	s_mov_b32 s19, exec_lo
	v_cmpx_gt_u32_e32 8, v8
; %bb.1206:                             ;   in Loop: Header=BB285_15 Depth=1
	s_delay_alu instid0(VALU_DEP_2) | instskip(NEXT) | instid1(VALU_DEP_1)
	v_clz_i32_u32_e32 v0, v0
	v_min_u32_e32 v0, 32, v0
	s_delay_alu instid0(VALU_DEP_1) | instskip(SKIP_1) | instid1(VALU_DEP_2)
	v_subrev_nc_u32_e32 v1, 28, v0
	v_sub_nc_u32_e32 v6, 29, v0
	v_lshlrev_b64_e32 v[8:9], v1, v[24:25]
	s_delay_alu instid0(VALU_DEP_1)
	v_and_b32_e32 v0, 7, v8
; %bb.1207:                             ;   in Loop: Header=BB285_15 Depth=1
	s_or_b32 exec_lo, exec_lo, s19
	s_delay_alu instid0(VALU_DEP_1) | instskip(SKIP_1) | instid1(VALU_DEP_2)
	v_dual_lshlrev_b32 v1, 8, v5 :: v_dual_lshlrev_b32 v0, 7, v0
	v_lshl_add_u32 v6, v6, 10, 0x2000
	v_and_b32_e32 v1, 0x8000, v1
	s_delay_alu instid0(VALU_DEP_2) | instskip(NEXT) | instid1(VALU_DEP_1)
	v_and_b32_e32 v6, 0xfc00, v6
	v_or3_b32 v0, v1, v6, v0
	scratch_store_b32 off, v0, s32 offset:532 ; 4-byte Folded Spill
.LBB285_1208:                           ;   in Loop: Header=BB285_15 Depth=1
	s_wait_xcnt 0x0
	s_or_b32 exec_lo, exec_lo, s18
.LBB285_1209:                           ;   in Loop: Header=BB285_15 Depth=1
	s_delay_alu instid0(SALU_CYCLE_1)
	s_or_b32 exec_lo, exec_lo, s17
.LBB285_1210:                           ;   in Loop: Header=BB285_15 Depth=1
	s_delay_alu instid0(SALU_CYCLE_1)
	s_or_b32 exec_lo, exec_lo, s16
	v_lshrrev_b16 v24, 8, v24
	v_dual_mov_b32 v0, 0 :: v_dual_mov_b32 v107, 0
	s_mov_b32 s16, exec_lo
	scratch_store_b32 off, v0, s32 offset:536 ; 4-byte Folded Spill
	s_wait_xcnt 0x0
	v_cmpx_ne_u16_e32 0, v24
	s_cbranch_execz .LBB285_1218
; %bb.1211:                             ;   in Loop: Header=BB285_15 Depth=1
	v_bfrev_b32_e32 v107, 1
	s_mov_b32 s17, exec_lo
	v_cmpx_ne_u16_e32 0x80, v24
	s_cbranch_execz .LBB285_1217
; %bb.1212:                             ;   in Loop: Header=BB285_15 Depth=1
	v_and_b32_e32 v0, 0xffff, v24
	v_mov_b32_e32 v107, 0x7c010000
	s_mov_b32 s18, exec_lo
	s_delay_alu instid0(VALU_DEP_2) | instskip(NEXT) | instid1(VALU_DEP_1)
	v_and_b32_e32 v9, 0x7f, v0
	v_cmpx_ne_u32_e32 0x7f, v9
	s_cbranch_execz .LBB285_1216
; %bb.1213:                             ;   in Loop: Header=BB285_15 Depth=1
	v_dual_lshrrev_b32 v8, 3, v9 :: v_dual_bitop2_b32 v6, 7, v0 bitop3:0x40
	s_mov_b32 s19, exec_lo
	v_cmpx_gt_u32_e32 8, v9
; %bb.1214:                             ;   in Loop: Header=BB285_15 Depth=1
	s_delay_alu instid0(VALU_DEP_2) | instskip(NEXT) | instid1(VALU_DEP_1)
	v_clz_i32_u32_e32 v1, v6
	v_min_u32_e32 v1, 32, v1
	s_delay_alu instid0(VALU_DEP_1) | instskip(NEXT) | instid1(VALU_DEP_1)
	v_subrev_nc_u32_e32 v6, 28, v1
	v_lshlrev_b64_e32 v[16:17], v6, v[24:25]
	s_delay_alu instid0(VALU_DEP_1)
	v_dual_sub_nc_u32 v8, 29, v1 :: v_dual_bitop2_b32 v6, 7, v16 bitop3:0x40
; %bb.1215:                             ;   in Loop: Header=BB285_15 Depth=1
	s_or_b32 exec_lo, exec_lo, s19
	v_lshlrev_b32_e32 v0, 8, v0
	s_delay_alu instid0(VALU_DEP_2) | instskip(NEXT) | instid1(VALU_DEP_1)
	v_lshl_add_u32 v1, v8, 10, 0x2000
	v_and_or_b32 v0, 0x8000, v0, v1
	v_lshlrev_b32_e32 v1, 23, v6
	s_delay_alu instid0(VALU_DEP_1)
	v_lshl_or_b32 v107, v0, 16, v1
.LBB285_1216:                           ;   in Loop: Header=BB285_15 Depth=1
	s_or_b32 exec_lo, exec_lo, s18
.LBB285_1217:                           ;   in Loop: Header=BB285_15 Depth=1
	s_delay_alu instid0(SALU_CYCLE_1)
	s_or_b32 exec_lo, exec_lo, s17
.LBB285_1218:                           ;   in Loop: Header=BB285_15 Depth=1
	s_delay_alu instid0(SALU_CYCLE_1) | instskip(SKIP_2) | instid1(VALU_DEP_1)
	s_or_b32 exec_lo, exec_lo, s16
	v_lshrrev_b32_e32 v0, 16, v5
	s_mov_b32 s16, exec_lo
	v_and_b32_e32 v6, 0xff, v0
	s_delay_alu instid0(VALU_DEP_1)
	v_cmpx_ne_u16_e32 0, v6
	s_cbranch_execz .LBB285_1226
; %bb.1219:                             ;   in Loop: Header=BB285_15 Depth=1
	v_mov_b32_e32 v1, 0x8000
	s_mov_b32 s17, exec_lo
	scratch_store_b32 off, v1, s32 offset:536 ; 4-byte Folded Spill
	s_wait_xcnt 0x0
	v_cmpx_ne_u16_e32 0x80, v6
	s_cbranch_execz .LBB285_1225
; %bb.1220:                             ;   in Loop: Header=BB285_15 Depth=1
	v_bfe_u32 v9, v5, 16, 7
	v_mov_b32_e32 v1, 0x7c01
	s_mov_b32 s18, exec_lo
	scratch_store_b32 off, v1, s32 offset:536 ; 4-byte Folded Spill
	s_wait_xcnt 0x0
	v_cmpx_ne_u32_e32 0x7f, v9
	s_cbranch_execz .LBB285_1224
; %bb.1221:                             ;   in Loop: Header=BB285_15 Depth=1
	v_dual_lshrrev_b32 v8, 3, v9 :: v_dual_bitop2_b32 v6, 7, v0 bitop3:0x40
	s_mov_b32 s19, exec_lo
	v_cmpx_gt_u32_e32 8, v9
; %bb.1222:                             ;   in Loop: Header=BB285_15 Depth=1
	s_delay_alu instid0(VALU_DEP_2) | instskip(NEXT) | instid1(VALU_DEP_1)
	v_clz_i32_u32_e32 v1, v6
	v_min_u32_e32 v1, 32, v1
	s_delay_alu instid0(VALU_DEP_1) | instskip(NEXT) | instid1(VALU_DEP_1)
	v_subrev_nc_u32_e32 v6, 28, v1
	v_lshlrev_b64_e32 v[16:17], v6, v[0:1]
	s_delay_alu instid0(VALU_DEP_1)
	v_dual_sub_nc_u32 v8, 29, v1 :: v_dual_bitop2_b32 v6, 7, v16 bitop3:0x40
; %bb.1223:                             ;   in Loop: Header=BB285_15 Depth=1
	s_or_b32 exec_lo, exec_lo, s19
	s_delay_alu instid0(VALU_DEP_1) | instskip(NEXT) | instid1(VALU_DEP_2)
	v_dual_lshlrev_b32 v0, 8, v0 :: v_dual_lshlrev_b32 v6, 7, v6
	v_lshl_add_u32 v1, v8, 10, 0x2000
	s_delay_alu instid0(VALU_DEP_2) | instskip(NEXT) | instid1(VALU_DEP_2)
	v_and_b32_e32 v0, 0x8000, v0
	v_and_b32_e32 v1, 0xfc00, v1
	s_delay_alu instid0(VALU_DEP_1)
	v_or3_b32 v0, v0, v1, v6
	scratch_store_b32 off, v0, s32 offset:536 ; 4-byte Folded Spill
.LBB285_1224:                           ;   in Loop: Header=BB285_15 Depth=1
	s_wait_xcnt 0x0
	s_or_b32 exec_lo, exec_lo, s18
.LBB285_1225:                           ;   in Loop: Header=BB285_15 Depth=1
	s_delay_alu instid0(SALU_CYCLE_1)
	s_or_b32 exec_lo, exec_lo, s17
.LBB285_1226:                           ;   in Loop: Header=BB285_15 Depth=1
	s_delay_alu instid0(SALU_CYCLE_1)
	s_or_b32 exec_lo, exec_lo, s16
	v_dual_mov_b32 v111, 0 :: v_dual_mov_b32 v123, 0
	s_mov_b32 s16, exec_lo
	v_cmpx_lt_u64_e64 s[8:9], v[4:5]
	s_cbranch_execz .LBB285_1234
; %bb.1227:                             ;   in Loop: Header=BB285_15 Depth=1
	v_lshrrev_b32_e32 v24, 24, v5
	v_bfrev_b32_e32 v123, 1
	s_mov_b32 s17, exec_lo
	s_delay_alu instid0(VALU_DEP_2)
	v_cmpx_ne_u32_e32 0x80, v24
	s_cbranch_execz .LBB285_1233
; %bb.1228:                             ;   in Loop: Header=BB285_15 Depth=1
	v_and_b32_e32 v5, 0x7f, v24
	v_mov_b32_e32 v123, 0x7c010000
	s_mov_b32 s18, exec_lo
	s_delay_alu instid0(VALU_DEP_2)
	v_cmpx_ne_u32_e32 0x7f, v5
	s_cbranch_execz .LBB285_1232
; %bb.1229:                             ;   in Loop: Header=BB285_15 Depth=1
	v_dual_lshrrev_b32 v4, 3, v5 :: v_dual_bitop2_b32 v0, 7, v24 bitop3:0x40
	s_mov_b32 s19, exec_lo
	v_cmpx_gt_u32_e32 8, v5
; %bb.1230:                             ;   in Loop: Header=BB285_15 Depth=1
	s_delay_alu instid0(VALU_DEP_2) | instskip(NEXT) | instid1(VALU_DEP_1)
	v_clz_i32_u32_e32 v0, v0
	v_min_u32_e32 v0, 32, v0
	s_delay_alu instid0(VALU_DEP_1) | instskip(SKIP_1) | instid1(VALU_DEP_2)
	v_subrev_nc_u32_e32 v1, 28, v0
	v_sub_nc_u32_e32 v4, 29, v0
	v_lshlrev_b64_e32 v[8:9], v1, v[24:25]
	s_delay_alu instid0(VALU_DEP_1)
	v_and_b32_e32 v0, 7, v8
; %bb.1231:                             ;   in Loop: Header=BB285_15 Depth=1
	s_or_b32 exec_lo, exec_lo, s19
	v_lshlrev_b32_e32 v1, 8, v24
	v_lshl_add_u32 v4, v4, 10, 0x2000
	s_delay_alu instid0(VALU_DEP_3) | instskip(NEXT) | instid1(VALU_DEP_2)
	v_lshlrev_b32_e32 v0, 23, v0
	v_and_or_b32 v1, 0x8000, v1, v4
	s_delay_alu instid0(VALU_DEP_1)
	v_lshl_or_b32 v123, v1, 16, v0
.LBB285_1232:                           ;   in Loop: Header=BB285_15 Depth=1
	s_or_b32 exec_lo, exec_lo, s18
.LBB285_1233:                           ;   in Loop: Header=BB285_15 Depth=1
	s_delay_alu instid0(SALU_CYCLE_1)
	s_or_b32 exec_lo, exec_lo, s17
.LBB285_1234:                           ;   in Loop: Header=BB285_15 Depth=1
	s_delay_alu instid0(SALU_CYCLE_1)
	s_or_b32 exec_lo, exec_lo, s16
	flat_load_b64 v[4:5], v[2:3] offset:4616
	s_mov_b32 s16, exec_lo
	s_wait_loadcnt_dscnt 0x0
	v_and_b32_e32 v0, 0xff, v4
	s_wait_xcnt 0x0
	s_delay_alu instid0(VALU_DEP_1)
	v_cmpx_ne_u16_e32 0, v0
	s_cbranch_execz .LBB285_1242
; %bb.1235:                             ;   in Loop: Header=BB285_15 Depth=1
	v_mov_b32_e32 v111, 0x8000
	s_mov_b32 s17, exec_lo
	v_cmpx_ne_u16_e32 0x80, v0
	s_cbranch_execz .LBB285_1241
; %bb.1236:                             ;   in Loop: Header=BB285_15 Depth=1
	v_and_b32_e32 v8, 0x7f, v4
	v_mov_b32_e32 v111, 0x7c01
	s_mov_b32 s18, exec_lo
	s_delay_alu instid0(VALU_DEP_2)
	v_cmpx_ne_u32_e32 0x7f, v8
	s_cbranch_execz .LBB285_1240
; %bb.1237:                             ;   in Loop: Header=BB285_15 Depth=1
	v_and_b32_e32 v0, 7, v4
	v_lshrrev_b32_e32 v6, 3, v8
	s_mov_b32 s19, exec_lo
	v_cmpx_gt_u32_e32 8, v8
; %bb.1238:                             ;   in Loop: Header=BB285_15 Depth=1
	s_delay_alu instid0(VALU_DEP_3) | instskip(NEXT) | instid1(VALU_DEP_1)
	v_clz_i32_u32_e32 v0, v0
	v_min_u32_e32 v0, 32, v0
	s_delay_alu instid0(VALU_DEP_1) | instskip(SKIP_1) | instid1(VALU_DEP_2)
	v_subrev_nc_u32_e32 v1, 28, v0
	v_sub_nc_u32_e32 v6, 29, v0
	v_lshlrev_b64_e32 v[8:9], v1, v[4:5]
	s_delay_alu instid0(VALU_DEP_1)
	v_and_b32_e32 v0, 7, v8
; %bb.1239:                             ;   in Loop: Header=BB285_15 Depth=1
	s_or_b32 exec_lo, exec_lo, s19
	v_lshlrev_b32_e32 v1, 8, v4
	v_lshl_add_u32 v6, v6, 10, 0x2000
	s_delay_alu instid0(VALU_DEP_3) | instskip(NEXT) | instid1(VALU_DEP_3)
	v_lshlrev_b32_e32 v0, 7, v0
	v_and_b32_e32 v1, 0x8000, v1
	s_delay_alu instid0(VALU_DEP_3) | instskip(NEXT) | instid1(VALU_DEP_1)
	v_and_b32_e32 v6, 0xfc00, v6
	v_or3_b32 v111, v1, v6, v0
.LBB285_1240:                           ;   in Loop: Header=BB285_15 Depth=1
	s_or_b32 exec_lo, exec_lo, s18
.LBB285_1241:                           ;   in Loop: Header=BB285_15 Depth=1
	s_delay_alu instid0(SALU_CYCLE_1)
	s_or_b32 exec_lo, exec_lo, s17
.LBB285_1242:                           ;   in Loop: Header=BB285_15 Depth=1
	s_delay_alu instid0(SALU_CYCLE_1) | instskip(SKIP_3) | instid1(VALU_DEP_2)
	s_or_b32 exec_lo, exec_lo, s16
	v_lshrrev_b16 v24, 8, v4
	v_dual_mov_b32 v94, 0 :: v_dual_mov_b32 v125, 0
	s_mov_b32 s16, exec_lo
	v_cmpx_ne_u16_e32 0, v24
	s_cbranch_execz .LBB285_1250
; %bb.1243:                             ;   in Loop: Header=BB285_15 Depth=1
	v_bfrev_b32_e32 v125, 1
	s_mov_b32 s17, exec_lo
	v_cmpx_ne_u16_e32 0x80, v24
	s_cbranch_execz .LBB285_1249
; %bb.1244:                             ;   in Loop: Header=BB285_15 Depth=1
	v_and_b32_e32 v0, 0xffff, v24
	v_mov_b32_e32 v125, 0x7c010000
	s_mov_b32 s18, exec_lo
	s_delay_alu instid0(VALU_DEP_2) | instskip(NEXT) | instid1(VALU_DEP_1)
	v_and_b32_e32 v9, 0x7f, v0
	v_cmpx_ne_u32_e32 0x7f, v9
	s_cbranch_execz .LBB285_1248
; %bb.1245:                             ;   in Loop: Header=BB285_15 Depth=1
	v_dual_lshrrev_b32 v8, 3, v9 :: v_dual_bitop2_b32 v6, 7, v0 bitop3:0x40
	s_mov_b32 s19, exec_lo
	v_cmpx_gt_u32_e32 8, v9
; %bb.1246:                             ;   in Loop: Header=BB285_15 Depth=1
	s_delay_alu instid0(VALU_DEP_2) | instskip(NEXT) | instid1(VALU_DEP_1)
	v_clz_i32_u32_e32 v1, v6
	v_min_u32_e32 v1, 32, v1
	s_delay_alu instid0(VALU_DEP_1) | instskip(NEXT) | instid1(VALU_DEP_1)
	v_subrev_nc_u32_e32 v6, 28, v1
	v_lshlrev_b64_e32 v[16:17], v6, v[24:25]
	s_delay_alu instid0(VALU_DEP_1)
	v_dual_sub_nc_u32 v8, 29, v1 :: v_dual_bitop2_b32 v6, 7, v16 bitop3:0x40
; %bb.1247:                             ;   in Loop: Header=BB285_15 Depth=1
	s_or_b32 exec_lo, exec_lo, s19
	v_lshlrev_b32_e32 v0, 8, v0
	s_delay_alu instid0(VALU_DEP_2) | instskip(NEXT) | instid1(VALU_DEP_1)
	v_lshl_add_u32 v1, v8, 10, 0x2000
	v_and_or_b32 v0, 0x8000, v0, v1
	v_lshlrev_b32_e32 v1, 23, v6
	s_delay_alu instid0(VALU_DEP_1)
	v_lshl_or_b32 v125, v0, 16, v1
.LBB285_1248:                           ;   in Loop: Header=BB285_15 Depth=1
	s_or_b32 exec_lo, exec_lo, s18
.LBB285_1249:                           ;   in Loop: Header=BB285_15 Depth=1
	s_delay_alu instid0(SALU_CYCLE_1)
	s_or_b32 exec_lo, exec_lo, s17
.LBB285_1250:                           ;   in Loop: Header=BB285_15 Depth=1
	s_delay_alu instid0(SALU_CYCLE_1) | instskip(SKIP_2) | instid1(VALU_DEP_1)
	s_or_b32 exec_lo, exec_lo, s16
	v_lshrrev_b32_e32 v0, 16, v4
	s_mov_b32 s16, exec_lo
	v_and_b32_e32 v6, 0xff, v0
	s_delay_alu instid0(VALU_DEP_1)
	v_cmpx_ne_u16_e32 0, v6
	s_cbranch_execz .LBB285_1258
; %bb.1251:                             ;   in Loop: Header=BB285_15 Depth=1
	v_mov_b32_e32 v94, 0x8000
	s_mov_b32 s17, exec_lo
	v_cmpx_ne_u16_e32 0x80, v6
	s_cbranch_execz .LBB285_1257
; %bb.1252:                             ;   in Loop: Header=BB285_15 Depth=1
	v_bfe_u32 v9, v4, 16, 7
	v_mov_b32_e32 v94, 0x7c01
	s_mov_b32 s18, exec_lo
	s_delay_alu instid0(VALU_DEP_2)
	v_cmpx_ne_u32_e32 0x7f, v9
	s_cbranch_execz .LBB285_1256
; %bb.1253:                             ;   in Loop: Header=BB285_15 Depth=1
	v_dual_lshrrev_b32 v8, 3, v9 :: v_dual_bitop2_b32 v6, 7, v0 bitop3:0x40
	s_mov_b32 s19, exec_lo
	v_cmpx_gt_u32_e32 8, v9
; %bb.1254:                             ;   in Loop: Header=BB285_15 Depth=1
	s_delay_alu instid0(VALU_DEP_2) | instskip(NEXT) | instid1(VALU_DEP_1)
	v_clz_i32_u32_e32 v1, v6
	v_min_u32_e32 v1, 32, v1
	s_delay_alu instid0(VALU_DEP_1) | instskip(NEXT) | instid1(VALU_DEP_1)
	v_subrev_nc_u32_e32 v6, 28, v1
	v_lshlrev_b64_e32 v[16:17], v6, v[0:1]
	s_delay_alu instid0(VALU_DEP_1)
	v_dual_sub_nc_u32 v8, 29, v1 :: v_dual_bitop2_b32 v6, 7, v16 bitop3:0x40
; %bb.1255:                             ;   in Loop: Header=BB285_15 Depth=1
	s_or_b32 exec_lo, exec_lo, s19
	s_delay_alu instid0(VALU_DEP_1) | instskip(NEXT) | instid1(VALU_DEP_2)
	v_dual_lshlrev_b32 v0, 8, v0 :: v_dual_lshlrev_b32 v6, 7, v6
	v_lshl_add_u32 v1, v8, 10, 0x2000
	s_delay_alu instid0(VALU_DEP_2) | instskip(NEXT) | instid1(VALU_DEP_2)
	v_and_b32_e32 v0, 0x8000, v0
	v_and_b32_e32 v1, 0xfc00, v1
	s_delay_alu instid0(VALU_DEP_1)
	v_or3_b32 v94, v0, v1, v6
.LBB285_1256:                           ;   in Loop: Header=BB285_15 Depth=1
	s_or_b32 exec_lo, exec_lo, s18
.LBB285_1257:                           ;   in Loop: Header=BB285_15 Depth=1
	s_delay_alu instid0(SALU_CYCLE_1)
	s_or_b32 exec_lo, exec_lo, s17
.LBB285_1258:                           ;   in Loop: Header=BB285_15 Depth=1
	s_delay_alu instid0(SALU_CYCLE_1)
	s_or_b32 exec_lo, exec_lo, s16
	v_dual_mov_b32 v0, 0 :: v_dual_mov_b32 v104, 0
	s_mov_b32 s16, exec_lo
	scratch_store_b32 off, v0, s32 offset:540 ; 4-byte Folded Spill
	s_wait_xcnt 0x0
	v_cmpx_lt_u32_e32 0xffffff, v4
	s_cbranch_execz .LBB285_1266
; %bb.1259:                             ;   in Loop: Header=BB285_15 Depth=1
	v_lshrrev_b32_e32 v24, 24, v4
	v_bfrev_b32_e32 v104, 1
	s_mov_b32 s17, exec_lo
	s_delay_alu instid0(VALU_DEP_2)
	v_cmpx_ne_u32_e32 0x80, v24
	s_cbranch_execz .LBB285_1265
; %bb.1260:                             ;   in Loop: Header=BB285_15 Depth=1
	v_and_b32_e32 v8, 0x7f, v24
	v_mov_b32_e32 v104, 0x7c010000
	s_mov_b32 s18, exec_lo
	s_delay_alu instid0(VALU_DEP_2)
	v_cmpx_ne_u32_e32 0x7f, v8
	s_cbranch_execz .LBB285_1264
; %bb.1261:                             ;   in Loop: Header=BB285_15 Depth=1
	v_and_b32_e32 v0, 7, v24
	v_lshrrev_b32_e32 v6, 3, v8
	s_mov_b32 s19, exec_lo
	v_cmpx_gt_u32_e32 8, v8
; %bb.1262:                             ;   in Loop: Header=BB285_15 Depth=1
	s_delay_alu instid0(VALU_DEP_3) | instskip(NEXT) | instid1(VALU_DEP_1)
	v_clz_i32_u32_e32 v0, v0
	v_min_u32_e32 v0, 32, v0
	s_delay_alu instid0(VALU_DEP_1) | instskip(SKIP_1) | instid1(VALU_DEP_2)
	v_subrev_nc_u32_e32 v1, 28, v0
	v_sub_nc_u32_e32 v6, 29, v0
	v_lshlrev_b64_e32 v[8:9], v1, v[24:25]
	s_delay_alu instid0(VALU_DEP_1)
	v_and_b32_e32 v0, 7, v8
; %bb.1263:                             ;   in Loop: Header=BB285_15 Depth=1
	s_or_b32 exec_lo, exec_lo, s19
	v_lshlrev_b32_e32 v1, 8, v24
	v_lshl_add_u32 v6, v6, 10, 0x2000
	s_delay_alu instid0(VALU_DEP_3) | instskip(NEXT) | instid1(VALU_DEP_2)
	v_lshlrev_b32_e32 v0, 23, v0
	v_and_or_b32 v1, 0x8000, v1, v6
	s_delay_alu instid0(VALU_DEP_1)
	v_lshl_or_b32 v104, v1, 16, v0
.LBB285_1264:                           ;   in Loop: Header=BB285_15 Depth=1
	s_or_b32 exec_lo, exec_lo, s18
.LBB285_1265:                           ;   in Loop: Header=BB285_15 Depth=1
	s_delay_alu instid0(SALU_CYCLE_1)
	s_or_b32 exec_lo, exec_lo, s17
.LBB285_1266:                           ;   in Loop: Header=BB285_15 Depth=1
	s_delay_alu instid0(SALU_CYCLE_1) | instskip(SKIP_3) | instid1(VALU_DEP_2)
	s_or_b32 exec_lo, exec_lo, s16
	v_and_b32_e32 v0, 0xff, v5
	v_mov_b32_e32 v24, v5
	s_mov_b32 s16, exec_lo
	v_cmpx_ne_u16_e32 0, v0
	s_cbranch_execz .LBB285_1274
; %bb.1267:                             ;   in Loop: Header=BB285_15 Depth=1
	v_cmp_ne_u16_e64 s1, 0x80, v0
	v_mov_b32_e32 v0, 0x8000
	scratch_store_b32 off, v0, s32 offset:540 ; 4-byte Folded Spill
	s_wait_xcnt 0x0
	s_and_saveexec_b32 s17, s1
	s_cbranch_execz .LBB285_1273
; %bb.1268:                             ;   in Loop: Header=BB285_15 Depth=1
	v_and_b32_e32 v8, 0x7f, v5
	v_mov_b32_e32 v0, 0x7c01
	s_mov_b32 s18, exec_lo
	scratch_store_b32 off, v0, s32 offset:540 ; 4-byte Folded Spill
	s_wait_xcnt 0x0
	v_cmpx_ne_u32_e32 0x7f, v8
	s_cbranch_execz .LBB285_1272
; %bb.1269:                             ;   in Loop: Header=BB285_15 Depth=1
	v_dual_lshrrev_b32 v6, 3, v8 :: v_dual_bitop2_b32 v0, 7, v5 bitop3:0x40
	s_mov_b32 s19, exec_lo
	v_cmpx_gt_u32_e32 8, v8
; %bb.1270:                             ;   in Loop: Header=BB285_15 Depth=1
	s_delay_alu instid0(VALU_DEP_2) | instskip(NEXT) | instid1(VALU_DEP_1)
	v_clz_i32_u32_e32 v0, v0
	v_min_u32_e32 v0, 32, v0
	s_delay_alu instid0(VALU_DEP_1) | instskip(SKIP_1) | instid1(VALU_DEP_2)
	v_subrev_nc_u32_e32 v1, 28, v0
	v_sub_nc_u32_e32 v6, 29, v0
	v_lshlrev_b64_e32 v[8:9], v1, v[24:25]
	s_delay_alu instid0(VALU_DEP_1)
	v_and_b32_e32 v0, 7, v8
; %bb.1271:                             ;   in Loop: Header=BB285_15 Depth=1
	s_or_b32 exec_lo, exec_lo, s19
	s_delay_alu instid0(VALU_DEP_1) | instskip(SKIP_1) | instid1(VALU_DEP_2)
	v_dual_lshlrev_b32 v1, 8, v5 :: v_dual_lshlrev_b32 v0, 7, v0
	v_lshl_add_u32 v6, v6, 10, 0x2000
	v_and_b32_e32 v1, 0x8000, v1
	s_delay_alu instid0(VALU_DEP_2) | instskip(NEXT) | instid1(VALU_DEP_1)
	v_and_b32_e32 v6, 0xfc00, v6
	v_or3_b32 v0, v1, v6, v0
	scratch_store_b32 off, v0, s32 offset:540 ; 4-byte Folded Spill
.LBB285_1272:                           ;   in Loop: Header=BB285_15 Depth=1
	s_wait_xcnt 0x0
	s_or_b32 exec_lo, exec_lo, s18
.LBB285_1273:                           ;   in Loop: Header=BB285_15 Depth=1
	s_delay_alu instid0(SALU_CYCLE_1)
	s_or_b32 exec_lo, exec_lo, s17
.LBB285_1274:                           ;   in Loop: Header=BB285_15 Depth=1
	s_delay_alu instid0(SALU_CYCLE_1)
	s_or_b32 exec_lo, exec_lo, s16
	v_lshrrev_b16 v24, 8, v24
	v_dual_mov_b32 v0, 0 :: v_dual_mov_b32 v105, 0
	s_mov_b32 s16, exec_lo
	scratch_store_b32 off, v0, s32 offset:544 ; 4-byte Folded Spill
	s_wait_xcnt 0x0
	v_cmpx_ne_u16_e32 0, v24
	s_cbranch_execz .LBB285_1282
; %bb.1275:                             ;   in Loop: Header=BB285_15 Depth=1
	v_bfrev_b32_e32 v105, 1
	s_mov_b32 s17, exec_lo
	v_cmpx_ne_u16_e32 0x80, v24
	s_cbranch_execz .LBB285_1281
; %bb.1276:                             ;   in Loop: Header=BB285_15 Depth=1
	v_and_b32_e32 v0, 0xffff, v24
	v_mov_b32_e32 v105, 0x7c010000
	s_mov_b32 s18, exec_lo
	s_delay_alu instid0(VALU_DEP_2) | instskip(NEXT) | instid1(VALU_DEP_1)
	v_and_b32_e32 v9, 0x7f, v0
	v_cmpx_ne_u32_e32 0x7f, v9
	s_cbranch_execz .LBB285_1280
; %bb.1277:                             ;   in Loop: Header=BB285_15 Depth=1
	v_dual_lshrrev_b32 v8, 3, v9 :: v_dual_bitop2_b32 v6, 7, v0 bitop3:0x40
	s_mov_b32 s19, exec_lo
	v_cmpx_gt_u32_e32 8, v9
; %bb.1278:                             ;   in Loop: Header=BB285_15 Depth=1
	s_delay_alu instid0(VALU_DEP_2) | instskip(NEXT) | instid1(VALU_DEP_1)
	v_clz_i32_u32_e32 v1, v6
	v_min_u32_e32 v1, 32, v1
	s_delay_alu instid0(VALU_DEP_1) | instskip(NEXT) | instid1(VALU_DEP_1)
	v_subrev_nc_u32_e32 v6, 28, v1
	v_lshlrev_b64_e32 v[16:17], v6, v[24:25]
	s_delay_alu instid0(VALU_DEP_1)
	v_dual_sub_nc_u32 v8, 29, v1 :: v_dual_bitop2_b32 v6, 7, v16 bitop3:0x40
; %bb.1279:                             ;   in Loop: Header=BB285_15 Depth=1
	s_or_b32 exec_lo, exec_lo, s19
	v_lshlrev_b32_e32 v0, 8, v0
	s_delay_alu instid0(VALU_DEP_2) | instskip(NEXT) | instid1(VALU_DEP_1)
	v_lshl_add_u32 v1, v8, 10, 0x2000
	v_and_or_b32 v0, 0x8000, v0, v1
	v_lshlrev_b32_e32 v1, 23, v6
	s_delay_alu instid0(VALU_DEP_1)
	v_lshl_or_b32 v105, v0, 16, v1
.LBB285_1280:                           ;   in Loop: Header=BB285_15 Depth=1
	s_or_b32 exec_lo, exec_lo, s18
.LBB285_1281:                           ;   in Loop: Header=BB285_15 Depth=1
	s_delay_alu instid0(SALU_CYCLE_1)
	s_or_b32 exec_lo, exec_lo, s17
.LBB285_1282:                           ;   in Loop: Header=BB285_15 Depth=1
	s_delay_alu instid0(SALU_CYCLE_1) | instskip(SKIP_2) | instid1(VALU_DEP_1)
	s_or_b32 exec_lo, exec_lo, s16
	v_lshrrev_b32_e32 v0, 16, v5
	s_mov_b32 s16, exec_lo
	v_and_b32_e32 v6, 0xff, v0
	s_delay_alu instid0(VALU_DEP_1)
	v_cmpx_ne_u16_e32 0, v6
	s_cbranch_execz .LBB285_1290
; %bb.1283:                             ;   in Loop: Header=BB285_15 Depth=1
	v_mov_b32_e32 v1, 0x8000
	s_mov_b32 s17, exec_lo
	scratch_store_b32 off, v1, s32 offset:544 ; 4-byte Folded Spill
	s_wait_xcnt 0x0
	v_cmpx_ne_u16_e32 0x80, v6
	s_cbranch_execz .LBB285_1289
; %bb.1284:                             ;   in Loop: Header=BB285_15 Depth=1
	v_bfe_u32 v9, v5, 16, 7
	v_mov_b32_e32 v1, 0x7c01
	s_mov_b32 s18, exec_lo
	scratch_store_b32 off, v1, s32 offset:544 ; 4-byte Folded Spill
	s_wait_xcnt 0x0
	v_cmpx_ne_u32_e32 0x7f, v9
	s_cbranch_execz .LBB285_1288
; %bb.1285:                             ;   in Loop: Header=BB285_15 Depth=1
	v_dual_lshrrev_b32 v8, 3, v9 :: v_dual_bitop2_b32 v6, 7, v0 bitop3:0x40
	s_mov_b32 s19, exec_lo
	v_cmpx_gt_u32_e32 8, v9
; %bb.1286:                             ;   in Loop: Header=BB285_15 Depth=1
	s_delay_alu instid0(VALU_DEP_2) | instskip(NEXT) | instid1(VALU_DEP_1)
	v_clz_i32_u32_e32 v1, v6
	v_min_u32_e32 v1, 32, v1
	s_delay_alu instid0(VALU_DEP_1) | instskip(NEXT) | instid1(VALU_DEP_1)
	v_subrev_nc_u32_e32 v6, 28, v1
	v_lshlrev_b64_e32 v[16:17], v6, v[0:1]
	s_delay_alu instid0(VALU_DEP_1)
	v_dual_sub_nc_u32 v8, 29, v1 :: v_dual_bitop2_b32 v6, 7, v16 bitop3:0x40
; %bb.1287:                             ;   in Loop: Header=BB285_15 Depth=1
	s_or_b32 exec_lo, exec_lo, s19
	s_delay_alu instid0(VALU_DEP_1) | instskip(NEXT) | instid1(VALU_DEP_2)
	v_dual_lshlrev_b32 v0, 8, v0 :: v_dual_lshlrev_b32 v6, 7, v6
	v_lshl_add_u32 v1, v8, 10, 0x2000
	s_delay_alu instid0(VALU_DEP_2) | instskip(NEXT) | instid1(VALU_DEP_2)
	v_and_b32_e32 v0, 0x8000, v0
	v_and_b32_e32 v1, 0xfc00, v1
	s_delay_alu instid0(VALU_DEP_1)
	v_or3_b32 v0, v0, v1, v6
	scratch_store_b32 off, v0, s32 offset:544 ; 4-byte Folded Spill
.LBB285_1288:                           ;   in Loop: Header=BB285_15 Depth=1
	s_wait_xcnt 0x0
	s_or_b32 exec_lo, exec_lo, s18
.LBB285_1289:                           ;   in Loop: Header=BB285_15 Depth=1
	s_delay_alu instid0(SALU_CYCLE_1)
	s_or_b32 exec_lo, exec_lo, s17
.LBB285_1290:                           ;   in Loop: Header=BB285_15 Depth=1
	s_delay_alu instid0(SALU_CYCLE_1)
	s_or_b32 exec_lo, exec_lo, s16
	v_dual_mov_b32 v0, 0 :: v_dual_mov_b32 v122, 0
	s_mov_b32 s16, exec_lo
	scratch_store_b32 off, v0, s32 offset:548 ; 4-byte Folded Spill
	s_wait_xcnt 0x0
	v_cmpx_lt_u64_e64 s[8:9], v[4:5]
	s_cbranch_execz .LBB285_1298
; %bb.1291:                             ;   in Loop: Header=BB285_15 Depth=1
	v_lshrrev_b32_e32 v24, 24, v5
	v_bfrev_b32_e32 v122, 1
	s_mov_b32 s17, exec_lo
	s_delay_alu instid0(VALU_DEP_2)
	v_cmpx_ne_u32_e32 0x80, v24
	s_cbranch_execz .LBB285_1297
; %bb.1292:                             ;   in Loop: Header=BB285_15 Depth=1
	v_and_b32_e32 v5, 0x7f, v24
	v_mov_b32_e32 v122, 0x7c010000
	s_mov_b32 s18, exec_lo
	s_delay_alu instid0(VALU_DEP_2)
	v_cmpx_ne_u32_e32 0x7f, v5
	s_cbranch_execz .LBB285_1296
; %bb.1293:                             ;   in Loop: Header=BB285_15 Depth=1
	v_dual_lshrrev_b32 v4, 3, v5 :: v_dual_bitop2_b32 v0, 7, v24 bitop3:0x40
	s_mov_b32 s19, exec_lo
	v_cmpx_gt_u32_e32 8, v5
; %bb.1294:                             ;   in Loop: Header=BB285_15 Depth=1
	s_delay_alu instid0(VALU_DEP_2) | instskip(NEXT) | instid1(VALU_DEP_1)
	v_clz_i32_u32_e32 v0, v0
	v_min_u32_e32 v0, 32, v0
	s_delay_alu instid0(VALU_DEP_1) | instskip(SKIP_1) | instid1(VALU_DEP_2)
	v_subrev_nc_u32_e32 v1, 28, v0
	v_sub_nc_u32_e32 v4, 29, v0
	v_lshlrev_b64_e32 v[8:9], v1, v[24:25]
	s_delay_alu instid0(VALU_DEP_1)
	v_and_b32_e32 v0, 7, v8
; %bb.1295:                             ;   in Loop: Header=BB285_15 Depth=1
	s_or_b32 exec_lo, exec_lo, s19
	v_lshlrev_b32_e32 v1, 8, v24
	v_lshl_add_u32 v4, v4, 10, 0x2000
	s_delay_alu instid0(VALU_DEP_3) | instskip(NEXT) | instid1(VALU_DEP_2)
	v_lshlrev_b32_e32 v0, 23, v0
	v_and_or_b32 v1, 0x8000, v1, v4
	s_delay_alu instid0(VALU_DEP_1)
	v_lshl_or_b32 v122, v1, 16, v0
.LBB285_1296:                           ;   in Loop: Header=BB285_15 Depth=1
	s_or_b32 exec_lo, exec_lo, s18
.LBB285_1297:                           ;   in Loop: Header=BB285_15 Depth=1
	s_delay_alu instid0(SALU_CYCLE_1)
	s_or_b32 exec_lo, exec_lo, s17
.LBB285_1298:                           ;   in Loop: Header=BB285_15 Depth=1
	s_delay_alu instid0(SALU_CYCLE_1)
	s_or_b32 exec_lo, exec_lo, s16
	flat_load_b64 v[4:5], v[2:3] offset:5120
	s_mov_b32 s16, exec_lo
	s_wait_loadcnt_dscnt 0x0
	v_and_b32_e32 v0, 0xff, v4
	s_wait_xcnt 0x0
	s_delay_alu instid0(VALU_DEP_1)
	v_cmpx_ne_u16_e32 0, v0
	s_cbranch_execz .LBB285_1306
; %bb.1299:                             ;   in Loop: Header=BB285_15 Depth=1
	v_cmp_ne_u16_e64 s1, 0x80, v0
	v_mov_b32_e32 v0, 0x8000
	scratch_store_b32 off, v0, s32 offset:548 ; 4-byte Folded Spill
	s_wait_xcnt 0x0
	s_and_saveexec_b32 s17, s1
	s_cbranch_execz .LBB285_1305
; %bb.1300:                             ;   in Loop: Header=BB285_15 Depth=1
	v_and_b32_e32 v8, 0x7f, v4
	v_mov_b32_e32 v0, 0x7c01
	s_mov_b32 s18, exec_lo
	scratch_store_b32 off, v0, s32 offset:548 ; 4-byte Folded Spill
	s_wait_xcnt 0x0
	v_cmpx_ne_u32_e32 0x7f, v8
	s_cbranch_execz .LBB285_1304
; %bb.1301:                             ;   in Loop: Header=BB285_15 Depth=1
	v_and_b32_e32 v0, 7, v4
	v_lshrrev_b32_e32 v6, 3, v8
	s_mov_b32 s19, exec_lo
	v_cmpx_gt_u32_e32 8, v8
; %bb.1302:                             ;   in Loop: Header=BB285_15 Depth=1
	s_delay_alu instid0(VALU_DEP_3) | instskip(NEXT) | instid1(VALU_DEP_1)
	v_clz_i32_u32_e32 v0, v0
	v_min_u32_e32 v0, 32, v0
	s_delay_alu instid0(VALU_DEP_1) | instskip(SKIP_1) | instid1(VALU_DEP_2)
	v_subrev_nc_u32_e32 v1, 28, v0
	v_sub_nc_u32_e32 v6, 29, v0
	v_lshlrev_b64_e32 v[8:9], v1, v[4:5]
	s_delay_alu instid0(VALU_DEP_1)
	v_and_b32_e32 v0, 7, v8
; %bb.1303:                             ;   in Loop: Header=BB285_15 Depth=1
	s_or_b32 exec_lo, exec_lo, s19
	v_lshlrev_b32_e32 v1, 8, v4
	v_lshl_add_u32 v6, v6, 10, 0x2000
	s_delay_alu instid0(VALU_DEP_3) | instskip(NEXT) | instid1(VALU_DEP_3)
	v_lshlrev_b32_e32 v0, 7, v0
	v_and_b32_e32 v1, 0x8000, v1
	s_delay_alu instid0(VALU_DEP_3) | instskip(NEXT) | instid1(VALU_DEP_1)
	v_and_b32_e32 v6, 0xfc00, v6
	v_or3_b32 v0, v1, v6, v0
	scratch_store_b32 off, v0, s32 offset:548 ; 4-byte Folded Spill
.LBB285_1304:                           ;   in Loop: Header=BB285_15 Depth=1
	s_wait_xcnt 0x0
	s_or_b32 exec_lo, exec_lo, s18
.LBB285_1305:                           ;   in Loop: Header=BB285_15 Depth=1
	s_delay_alu instid0(SALU_CYCLE_1)
	s_or_b32 exec_lo, exec_lo, s17
.LBB285_1306:                           ;   in Loop: Header=BB285_15 Depth=1
	s_delay_alu instid0(SALU_CYCLE_1)
	s_or_b32 exec_lo, exec_lo, s16
	v_lshrrev_b16 v24, 8, v4
	v_dual_mov_b32 v0, 0 :: v_dual_mov_b32 v7, 0
	s_mov_b32 s16, exec_lo
	scratch_store_b32 off, v0, s32 offset:552 ; 4-byte Folded Spill
	s_wait_xcnt 0x0
	v_cmpx_ne_u16_e32 0, v24
	s_cbranch_execz .LBB285_1314
; %bb.1307:                             ;   in Loop: Header=BB285_15 Depth=1
	v_bfrev_b32_e32 v7, 1
	s_mov_b32 s17, exec_lo
	v_cmpx_ne_u16_e32 0x80, v24
	s_cbranch_execz .LBB285_1313
; %bb.1308:                             ;   in Loop: Header=BB285_15 Depth=1
	v_and_b32_e32 v0, 0xffff, v24
	v_mov_b32_e32 v7, 0x7c010000
	s_mov_b32 s18, exec_lo
	s_delay_alu instid0(VALU_DEP_2) | instskip(NEXT) | instid1(VALU_DEP_1)
	v_and_b32_e32 v13, 0x7f, v0
	v_cmpx_ne_u32_e32 0x7f, v13
	s_cbranch_execz .LBB285_1312
; %bb.1309:                             ;   in Loop: Header=BB285_15 Depth=1
	v_dual_lshrrev_b32 v8, 3, v13 :: v_dual_bitop2_b32 v6, 7, v0 bitop3:0x40
	s_mov_b32 s19, exec_lo
	v_cmpx_gt_u32_e32 8, v13
; %bb.1310:                             ;   in Loop: Header=BB285_15 Depth=1
	s_delay_alu instid0(VALU_DEP_2) | instskip(NEXT) | instid1(VALU_DEP_1)
	v_clz_i32_u32_e32 v1, v6
	v_min_u32_e32 v1, 32, v1
	s_delay_alu instid0(VALU_DEP_1) | instskip(NEXT) | instid1(VALU_DEP_1)
	v_subrev_nc_u32_e32 v6, 28, v1
	v_lshlrev_b64_e32 v[16:17], v6, v[24:25]
	s_delay_alu instid0(VALU_DEP_1)
	v_dual_sub_nc_u32 v8, 29, v1 :: v_dual_bitop2_b32 v6, 7, v16 bitop3:0x40
; %bb.1311:                             ;   in Loop: Header=BB285_15 Depth=1
	s_or_b32 exec_lo, exec_lo, s19
	v_lshlrev_b32_e32 v0, 8, v0
	s_delay_alu instid0(VALU_DEP_2) | instskip(NEXT) | instid1(VALU_DEP_1)
	v_lshl_add_u32 v1, v8, 10, 0x2000
	v_and_or_b32 v0, 0x8000, v0, v1
	v_lshlrev_b32_e32 v1, 23, v6
	s_delay_alu instid0(VALU_DEP_1)
	v_lshl_or_b32 v7, v0, 16, v1
.LBB285_1312:                           ;   in Loop: Header=BB285_15 Depth=1
	s_or_b32 exec_lo, exec_lo, s18
.LBB285_1313:                           ;   in Loop: Header=BB285_15 Depth=1
	s_delay_alu instid0(SALU_CYCLE_1)
	s_or_b32 exec_lo, exec_lo, s17
.LBB285_1314:                           ;   in Loop: Header=BB285_15 Depth=1
	s_delay_alu instid0(SALU_CYCLE_1) | instskip(SKIP_2) | instid1(VALU_DEP_1)
	s_or_b32 exec_lo, exec_lo, s16
	v_lshrrev_b32_e32 v0, 16, v4
	s_mov_b32 s16, exec_lo
	v_and_b32_e32 v6, 0xff, v0
	s_delay_alu instid0(VALU_DEP_1)
	v_cmpx_ne_u16_e32 0, v6
	s_cbranch_execz .LBB285_1322
; %bb.1315:                             ;   in Loop: Header=BB285_15 Depth=1
	v_mov_b32_e32 v1, 0x8000
	s_mov_b32 s17, exec_lo
	scratch_store_b32 off, v1, s32 offset:552 ; 4-byte Folded Spill
	s_wait_xcnt 0x0
	v_cmpx_ne_u16_e32 0x80, v6
	s_cbranch_execz .LBB285_1321
; %bb.1316:                             ;   in Loop: Header=BB285_15 Depth=1
	v_bfe_u32 v13, v4, 16, 7
	v_mov_b32_e32 v1, 0x7c01
	s_mov_b32 s18, exec_lo
	scratch_store_b32 off, v1, s32 offset:552 ; 4-byte Folded Spill
	s_wait_xcnt 0x0
	v_cmpx_ne_u32_e32 0x7f, v13
	s_cbranch_execz .LBB285_1320
; %bb.1317:                             ;   in Loop: Header=BB285_15 Depth=1
	v_dual_lshrrev_b32 v8, 3, v13 :: v_dual_bitop2_b32 v6, 7, v0 bitop3:0x40
	s_mov_b32 s19, exec_lo
	v_cmpx_gt_u32_e32 8, v13
; %bb.1318:                             ;   in Loop: Header=BB285_15 Depth=1
	s_delay_alu instid0(VALU_DEP_2) | instskip(NEXT) | instid1(VALU_DEP_1)
	v_clz_i32_u32_e32 v1, v6
	v_min_u32_e32 v1, 32, v1
	s_delay_alu instid0(VALU_DEP_1) | instskip(NEXT) | instid1(VALU_DEP_1)
	v_subrev_nc_u32_e32 v6, 28, v1
	v_lshlrev_b64_e32 v[16:17], v6, v[0:1]
	s_delay_alu instid0(VALU_DEP_1)
	v_dual_sub_nc_u32 v8, 29, v1 :: v_dual_bitop2_b32 v6, 7, v16 bitop3:0x40
; %bb.1319:                             ;   in Loop: Header=BB285_15 Depth=1
	s_or_b32 exec_lo, exec_lo, s19
	s_delay_alu instid0(VALU_DEP_1) | instskip(NEXT) | instid1(VALU_DEP_2)
	v_dual_lshlrev_b32 v0, 8, v0 :: v_dual_lshlrev_b32 v6, 7, v6
	v_lshl_add_u32 v1, v8, 10, 0x2000
	s_delay_alu instid0(VALU_DEP_2) | instskip(NEXT) | instid1(VALU_DEP_2)
	v_and_b32_e32 v0, 0x8000, v0
	v_and_b32_e32 v1, 0xfc00, v1
	s_delay_alu instid0(VALU_DEP_1)
	v_or3_b32 v0, v0, v1, v6
	scratch_store_b32 off, v0, s32 offset:552 ; 4-byte Folded Spill
.LBB285_1320:                           ;   in Loop: Header=BB285_15 Depth=1
	s_wait_xcnt 0x0
	s_or_b32 exec_lo, exec_lo, s18
.LBB285_1321:                           ;   in Loop: Header=BB285_15 Depth=1
	s_delay_alu instid0(SALU_CYCLE_1)
	s_or_b32 exec_lo, exec_lo, s17
.LBB285_1322:                           ;   in Loop: Header=BB285_15 Depth=1
	s_delay_alu instid0(SALU_CYCLE_1)
	s_or_b32 exec_lo, exec_lo, s16
	v_dual_mov_b32 v0, 0 :: v_dual_mov_b32 v17, 0
	s_mov_b32 s16, exec_lo
	scratch_store_b32 off, v0, s32 offset:556 ; 4-byte Folded Spill
	s_wait_xcnt 0x0
	v_cmpx_lt_u32_e32 0xffffff, v4
	s_cbranch_execz .LBB285_1330
; %bb.1323:                             ;   in Loop: Header=BB285_15 Depth=1
	v_lshrrev_b32_e32 v24, 24, v4
	v_bfrev_b32_e32 v17, 1
	s_mov_b32 s17, exec_lo
	s_delay_alu instid0(VALU_DEP_2)
	v_cmpx_ne_u32_e32 0x80, v24
	s_cbranch_execz .LBB285_1329
; %bb.1324:                             ;   in Loop: Header=BB285_15 Depth=1
	v_and_b32_e32 v8, 0x7f, v24
	v_mov_b32_e32 v17, 0x7c010000
	s_mov_b32 s18, exec_lo
	s_delay_alu instid0(VALU_DEP_2)
	v_cmpx_ne_u32_e32 0x7f, v8
	s_cbranch_execz .LBB285_1328
; %bb.1325:                             ;   in Loop: Header=BB285_15 Depth=1
	v_and_b32_e32 v0, 7, v24
	v_lshrrev_b32_e32 v6, 3, v8
	s_mov_b32 s19, exec_lo
	v_cmpx_gt_u32_e32 8, v8
; %bb.1326:                             ;   in Loop: Header=BB285_15 Depth=1
	s_delay_alu instid0(VALU_DEP_3) | instskip(NEXT) | instid1(VALU_DEP_1)
	v_clz_i32_u32_e32 v0, v0
	v_min_u32_e32 v0, 32, v0
	s_delay_alu instid0(VALU_DEP_1) | instskip(SKIP_1) | instid1(VALU_DEP_2)
	v_subrev_nc_u32_e32 v1, 28, v0
	v_sub_nc_u32_e32 v6, 29, v0
	v_lshlrev_b64_e32 v[16:17], v1, v[24:25]
	s_delay_alu instid0(VALU_DEP_1)
	v_and_b32_e32 v0, 7, v16
; %bb.1327:                             ;   in Loop: Header=BB285_15 Depth=1
	s_or_b32 exec_lo, exec_lo, s19
	v_lshlrev_b32_e32 v1, 8, v24
	v_lshl_add_u32 v6, v6, 10, 0x2000
	s_delay_alu instid0(VALU_DEP_3) | instskip(NEXT) | instid1(VALU_DEP_2)
	v_lshlrev_b32_e32 v0, 23, v0
	v_and_or_b32 v1, 0x8000, v1, v6
	s_delay_alu instid0(VALU_DEP_1)
	v_lshl_or_b32 v17, v1, 16, v0
.LBB285_1328:                           ;   in Loop: Header=BB285_15 Depth=1
	s_or_b32 exec_lo, exec_lo, s18
.LBB285_1329:                           ;   in Loop: Header=BB285_15 Depth=1
	s_delay_alu instid0(SALU_CYCLE_1)
	s_or_b32 exec_lo, exec_lo, s17
.LBB285_1330:                           ;   in Loop: Header=BB285_15 Depth=1
	s_delay_alu instid0(SALU_CYCLE_1) | instskip(SKIP_3) | instid1(VALU_DEP_2)
	s_or_b32 exec_lo, exec_lo, s16
	v_and_b32_e32 v0, 0xff, v5
	v_mov_b32_e32 v24, v5
	s_mov_b32 s16, exec_lo
	v_cmpx_ne_u16_e32 0, v0
	s_cbranch_execz .LBB285_1338
; %bb.1331:                             ;   in Loop: Header=BB285_15 Depth=1
	v_cmp_ne_u16_e64 s1, 0x80, v0
	v_mov_b32_e32 v0, 0x8000
	scratch_store_b32 off, v0, s32 offset:556 ; 4-byte Folded Spill
	s_wait_xcnt 0x0
	s_and_saveexec_b32 s17, s1
	s_cbranch_execz .LBB285_1337
; %bb.1332:                             ;   in Loop: Header=BB285_15 Depth=1
	v_and_b32_e32 v8, 0x7f, v5
	v_mov_b32_e32 v0, 0x7c01
	s_mov_b32 s18, exec_lo
	scratch_store_b32 off, v0, s32 offset:556 ; 4-byte Folded Spill
	s_wait_xcnt 0x0
	v_cmpx_ne_u32_e32 0x7f, v8
	s_cbranch_execz .LBB285_1336
; %bb.1333:                             ;   in Loop: Header=BB285_15 Depth=1
	v_dual_lshrrev_b32 v6, 3, v8 :: v_dual_bitop2_b32 v0, 7, v5 bitop3:0x40
	s_mov_b32 s19, exec_lo
	v_cmpx_gt_u32_e32 8, v8
; %bb.1334:                             ;   in Loop: Header=BB285_15 Depth=1
	s_delay_alu instid0(VALU_DEP_2) | instskip(NEXT) | instid1(VALU_DEP_1)
	v_clz_i32_u32_e32 v0, v0
	v_min_u32_e32 v0, 32, v0
	s_delay_alu instid0(VALU_DEP_1) | instskip(NEXT) | instid1(VALU_DEP_1)
	v_subrev_nc_u32_e32 v1, 28, v0
	v_lshlrev_b64_e32 v[18:19], v1, v[24:25]
	s_delay_alu instid0(VALU_DEP_1)
	v_dual_sub_nc_u32 v6, 29, v0 :: v_dual_bitop2_b32 v0, 7, v18 bitop3:0x40
; %bb.1335:                             ;   in Loop: Header=BB285_15 Depth=1
	s_or_b32 exec_lo, exec_lo, s19
	s_delay_alu instid0(VALU_DEP_1) | instskip(NEXT) | instid1(VALU_DEP_2)
	v_dual_lshlrev_b32 v1, 8, v5 :: v_dual_lshlrev_b32 v0, 7, v0
	v_lshl_add_u32 v6, v6, 10, 0x2000
	s_delay_alu instid0(VALU_DEP_2) | instskip(NEXT) | instid1(VALU_DEP_2)
	v_and_b32_e32 v1, 0x8000, v1
	v_and_b32_e32 v6, 0xfc00, v6
	s_delay_alu instid0(VALU_DEP_1)
	v_or3_b32 v0, v1, v6, v0
	scratch_store_b32 off, v0, s32 offset:556 ; 4-byte Folded Spill
.LBB285_1336:                           ;   in Loop: Header=BB285_15 Depth=1
	s_wait_xcnt 0x0
	s_or_b32 exec_lo, exec_lo, s18
.LBB285_1337:                           ;   in Loop: Header=BB285_15 Depth=1
	s_delay_alu instid0(SALU_CYCLE_1)
	s_or_b32 exec_lo, exec_lo, s17
.LBB285_1338:                           ;   in Loop: Header=BB285_15 Depth=1
	s_delay_alu instid0(SALU_CYCLE_1)
	s_or_b32 exec_lo, exec_lo, s16
	v_lshrrev_b16 v24, 8, v24
	v_dual_mov_b32 v0, 0 :: v_dual_mov_b32 v6, 0
	s_mov_b32 s16, exec_lo
	scratch_store_b32 off, v0, s32 offset:560 ; 4-byte Folded Spill
	s_wait_xcnt 0x0
	v_cmpx_ne_u16_e32 0, v24
	s_cbranch_execz .LBB285_1346
; %bb.1339:                             ;   in Loop: Header=BB285_15 Depth=1
	v_bfrev_b32_e32 v6, 1
	s_mov_b32 s17, exec_lo
	v_cmpx_ne_u16_e32 0x80, v24
	s_cbranch_execz .LBB285_1345
; %bb.1340:                             ;   in Loop: Header=BB285_15 Depth=1
	v_and_b32_e32 v0, 0xffff, v24
	v_mov_b32_e32 v6, 0x7c010000
	s_mov_b32 s18, exec_lo
	s_delay_alu instid0(VALU_DEP_2) | instskip(NEXT) | instid1(VALU_DEP_1)
	v_and_b32_e32 v13, 0x7f, v0
	v_cmpx_ne_u32_e32 0x7f, v13
	s_cbranch_execz .LBB285_1344
; %bb.1341:                             ;   in Loop: Header=BB285_15 Depth=1
	v_dual_lshrrev_b32 v8, 3, v13 :: v_dual_bitop2_b32 v6, 7, v0 bitop3:0x40
	s_mov_b32 s19, exec_lo
	v_cmpx_gt_u32_e32 8, v13
; %bb.1342:                             ;   in Loop: Header=BB285_15 Depth=1
	s_delay_alu instid0(VALU_DEP_2) | instskip(NEXT) | instid1(VALU_DEP_1)
	v_clz_i32_u32_e32 v1, v6
	v_min_u32_e32 v1, 32, v1
	s_delay_alu instid0(VALU_DEP_1) | instskip(NEXT) | instid1(VALU_DEP_1)
	v_subrev_nc_u32_e32 v6, 28, v1
	v_lshlrev_b64_e32 v[18:19], v6, v[24:25]
	s_delay_alu instid0(VALU_DEP_1)
	v_dual_sub_nc_u32 v8, 29, v1 :: v_dual_bitop2_b32 v6, 7, v18 bitop3:0x40
; %bb.1343:                             ;   in Loop: Header=BB285_15 Depth=1
	s_or_b32 exec_lo, exec_lo, s19
	v_lshlrev_b32_e32 v0, 8, v0
	s_delay_alu instid0(VALU_DEP_2) | instskip(NEXT) | instid1(VALU_DEP_1)
	v_lshl_add_u32 v1, v8, 10, 0x2000
	v_and_or_b32 v0, 0x8000, v0, v1
	v_lshlrev_b32_e32 v1, 23, v6
	s_delay_alu instid0(VALU_DEP_1)
	v_lshl_or_b32 v6, v0, 16, v1
.LBB285_1344:                           ;   in Loop: Header=BB285_15 Depth=1
	s_or_b32 exec_lo, exec_lo, s18
.LBB285_1345:                           ;   in Loop: Header=BB285_15 Depth=1
	s_delay_alu instid0(SALU_CYCLE_1)
	s_or_b32 exec_lo, exec_lo, s17
.LBB285_1346:                           ;   in Loop: Header=BB285_15 Depth=1
	s_delay_alu instid0(SALU_CYCLE_1) | instskip(SKIP_2) | instid1(VALU_DEP_1)
	s_or_b32 exec_lo, exec_lo, s16
	v_lshrrev_b32_e32 v0, 16, v5
	s_mov_b32 s16, exec_lo
	v_and_b32_e32 v8, 0xff, v0
	s_delay_alu instid0(VALU_DEP_1)
	v_cmpx_ne_u16_e32 0, v8
	s_cbranch_execz .LBB285_1354
; %bb.1347:                             ;   in Loop: Header=BB285_15 Depth=1
	v_mov_b32_e32 v1, 0x8000
	s_mov_b32 s17, exec_lo
	scratch_store_b32 off, v1, s32 offset:560 ; 4-byte Folded Spill
	s_wait_xcnt 0x0
	v_cmpx_ne_u16_e32 0x80, v8
	s_cbranch_execz .LBB285_1353
; %bb.1348:                             ;   in Loop: Header=BB285_15 Depth=1
	v_bfe_u32 v16, v5, 16, 7
	v_mov_b32_e32 v1, 0x7c01
	s_mov_b32 s18, exec_lo
	scratch_store_b32 off, v1, s32 offset:560 ; 4-byte Folded Spill
	s_wait_xcnt 0x0
	v_cmpx_ne_u32_e32 0x7f, v16
	s_cbranch_execz .LBB285_1352
; %bb.1349:                             ;   in Loop: Header=BB285_15 Depth=1
	v_and_b32_e32 v8, 7, v0
	v_lshrrev_b32_e32 v13, 3, v16
	s_mov_b32 s19, exec_lo
	v_cmpx_gt_u32_e32 8, v16
; %bb.1350:                             ;   in Loop: Header=BB285_15 Depth=1
	s_delay_alu instid0(VALU_DEP_3) | instskip(NEXT) | instid1(VALU_DEP_1)
	v_clz_i32_u32_e32 v1, v8
	v_min_u32_e32 v1, 32, v1
	s_delay_alu instid0(VALU_DEP_1) | instskip(NEXT) | instid1(VALU_DEP_1)
	v_subrev_nc_u32_e32 v8, 28, v1
	v_lshlrev_b64_e32 v[18:19], v8, v[0:1]
	s_delay_alu instid0(VALU_DEP_1)
	v_dual_sub_nc_u32 v13, 29, v1 :: v_dual_bitop2_b32 v8, 7, v18 bitop3:0x40
; %bb.1351:                             ;   in Loop: Header=BB285_15 Depth=1
	s_or_b32 exec_lo, exec_lo, s19
	v_lshlrev_b32_e32 v0, 8, v0
	s_delay_alu instid0(VALU_DEP_2) | instskip(NEXT) | instid1(VALU_DEP_3)
	v_lshl_add_u32 v1, v13, 10, 0x2000
	v_lshlrev_b32_e32 v8, 7, v8
	s_delay_alu instid0(VALU_DEP_3) | instskip(NEXT) | instid1(VALU_DEP_3)
	v_and_b32_e32 v0, 0x8000, v0
	v_and_b32_e32 v1, 0xfc00, v1
	s_delay_alu instid0(VALU_DEP_1)
	v_or3_b32 v0, v0, v1, v8
	scratch_store_b32 off, v0, s32 offset:560 ; 4-byte Folded Spill
.LBB285_1352:                           ;   in Loop: Header=BB285_15 Depth=1
	s_wait_xcnt 0x0
	s_or_b32 exec_lo, exec_lo, s18
.LBB285_1353:                           ;   in Loop: Header=BB285_15 Depth=1
	s_delay_alu instid0(SALU_CYCLE_1)
	s_or_b32 exec_lo, exec_lo, s17
.LBB285_1354:                           ;   in Loop: Header=BB285_15 Depth=1
	s_delay_alu instid0(SALU_CYCLE_1)
	s_or_b32 exec_lo, exec_lo, s16
	v_dual_mov_b32 v0, 0 :: v_dual_mov_b32 v124, 0
	s_mov_b32 s16, exec_lo
	scratch_store_b32 off, v0, s32 offset:564 ; 4-byte Folded Spill
	s_wait_xcnt 0x0
	v_cmpx_lt_u64_e64 s[8:9], v[4:5]
	s_cbranch_execz .LBB285_1362
; %bb.1355:                             ;   in Loop: Header=BB285_15 Depth=1
	v_lshrrev_b32_e32 v24, 24, v5
	v_bfrev_b32_e32 v124, 1
	s_mov_b32 s17, exec_lo
	s_delay_alu instid0(VALU_DEP_2)
	v_cmpx_ne_u32_e32 0x80, v24
	s_cbranch_execz .LBB285_1361
; %bb.1356:                             ;   in Loop: Header=BB285_15 Depth=1
	v_and_b32_e32 v5, 0x7f, v24
	v_mov_b32_e32 v124, 0x7c010000
	s_mov_b32 s18, exec_lo
	s_delay_alu instid0(VALU_DEP_2)
	v_cmpx_ne_u32_e32 0x7f, v5
	s_cbranch_execz .LBB285_1360
; %bb.1357:                             ;   in Loop: Header=BB285_15 Depth=1
	v_dual_lshrrev_b32 v4, 3, v5 :: v_dual_bitop2_b32 v0, 7, v24 bitop3:0x40
	s_mov_b32 s19, exec_lo
	v_cmpx_gt_u32_e32 8, v5
; %bb.1358:                             ;   in Loop: Header=BB285_15 Depth=1
	s_delay_alu instid0(VALU_DEP_2) | instskip(NEXT) | instid1(VALU_DEP_1)
	v_clz_i32_u32_e32 v0, v0
	v_min_u32_e32 v0, 32, v0
	s_delay_alu instid0(VALU_DEP_1) | instskip(NEXT) | instid1(VALU_DEP_1)
	v_subrev_nc_u32_e32 v1, 28, v0
	v_lshlrev_b64_e32 v[18:19], v1, v[24:25]
	s_delay_alu instid0(VALU_DEP_1)
	v_dual_sub_nc_u32 v4, 29, v0 :: v_dual_bitop2_b32 v0, 7, v18 bitop3:0x40
; %bb.1359:                             ;   in Loop: Header=BB285_15 Depth=1
	s_or_b32 exec_lo, exec_lo, s19
	v_lshlrev_b32_e32 v1, 8, v24
	s_delay_alu instid0(VALU_DEP_2) | instskip(NEXT) | instid1(VALU_DEP_3)
	v_lshl_add_u32 v4, v4, 10, 0x2000
	v_lshlrev_b32_e32 v0, 23, v0
	s_delay_alu instid0(VALU_DEP_2) | instskip(NEXT) | instid1(VALU_DEP_1)
	v_and_or_b32 v1, 0x8000, v1, v4
	v_lshl_or_b32 v124, v1, 16, v0
.LBB285_1360:                           ;   in Loop: Header=BB285_15 Depth=1
	s_or_b32 exec_lo, exec_lo, s18
.LBB285_1361:                           ;   in Loop: Header=BB285_15 Depth=1
	s_delay_alu instid0(SALU_CYCLE_1)
	s_or_b32 exec_lo, exec_lo, s17
.LBB285_1362:                           ;   in Loop: Header=BB285_15 Depth=1
	s_delay_alu instid0(SALU_CYCLE_1)
	s_or_b32 exec_lo, exec_lo, s16
	flat_load_b64 v[4:5], v[2:3] offset:5128
	s_mov_b32 s16, exec_lo
	s_wait_loadcnt_dscnt 0x0
	v_and_b32_e32 v0, 0xff, v4
	s_wait_xcnt 0x0
	s_delay_alu instid0(VALU_DEP_1)
	v_cmpx_ne_u16_e32 0, v0
	s_cbranch_execz .LBB285_1370
; %bb.1363:                             ;   in Loop: Header=BB285_15 Depth=1
	v_cmp_ne_u16_e64 s1, 0x80, v0
	v_mov_b32_e32 v0, 0x8000
	scratch_store_b32 off, v0, s32 offset:564 ; 4-byte Folded Spill
	s_wait_xcnt 0x0
	s_and_saveexec_b32 s17, s1
	s_cbranch_execz .LBB285_1369
; %bb.1364:                             ;   in Loop: Header=BB285_15 Depth=1
	v_and_b32_e32 v13, 0x7f, v4
	v_mov_b32_e32 v0, 0x7c01
	s_mov_b32 s18, exec_lo
	scratch_store_b32 off, v0, s32 offset:564 ; 4-byte Folded Spill
	s_wait_xcnt 0x0
	v_cmpx_ne_u32_e32 0x7f, v13
	s_cbranch_execz .LBB285_1368
; %bb.1365:                             ;   in Loop: Header=BB285_15 Depth=1
	v_dual_lshrrev_b32 v8, 3, v13 :: v_dual_bitop2_b32 v0, 7, v4 bitop3:0x40
	s_mov_b32 s19, exec_lo
	v_cmpx_gt_u32_e32 8, v13
; %bb.1366:                             ;   in Loop: Header=BB285_15 Depth=1
	s_delay_alu instid0(VALU_DEP_2) | instskip(NEXT) | instid1(VALU_DEP_1)
	v_clz_i32_u32_e32 v0, v0
	v_min_u32_e32 v0, 32, v0
	s_delay_alu instid0(VALU_DEP_1) | instskip(NEXT) | instid1(VALU_DEP_1)
	v_subrev_nc_u32_e32 v1, 28, v0
	v_lshlrev_b64_e32 v[18:19], v1, v[4:5]
	s_delay_alu instid0(VALU_DEP_1)
	v_dual_sub_nc_u32 v8, 29, v0 :: v_dual_bitop2_b32 v0, 7, v18 bitop3:0x40
; %bb.1367:                             ;   in Loop: Header=BB285_15 Depth=1
	s_or_b32 exec_lo, exec_lo, s19
	v_lshlrev_b32_e32 v1, 8, v4
	s_delay_alu instid0(VALU_DEP_2) | instskip(NEXT) | instid1(VALU_DEP_3)
	v_lshl_add_u32 v8, v8, 10, 0x2000
	v_lshlrev_b32_e32 v0, 7, v0
	s_delay_alu instid0(VALU_DEP_3) | instskip(NEXT) | instid1(VALU_DEP_3)
	v_and_b32_e32 v1, 0x8000, v1
	v_and_b32_e32 v8, 0xfc00, v8
	s_delay_alu instid0(VALU_DEP_1)
	v_or3_b32 v0, v1, v8, v0
	scratch_store_b32 off, v0, s32 offset:564 ; 4-byte Folded Spill
.LBB285_1368:                           ;   in Loop: Header=BB285_15 Depth=1
	s_wait_xcnt 0x0
	s_or_b32 exec_lo, exec_lo, s18
.LBB285_1369:                           ;   in Loop: Header=BB285_15 Depth=1
	s_delay_alu instid0(SALU_CYCLE_1)
	s_or_b32 exec_lo, exec_lo, s17
.LBB285_1370:                           ;   in Loop: Header=BB285_15 Depth=1
	s_delay_alu instid0(SALU_CYCLE_1) | instskip(SKIP_3) | instid1(VALU_DEP_2)
	s_or_b32 exec_lo, exec_lo, s16
	v_lshrrev_b16 v24, 8, v4
	v_dual_mov_b32 v127, 0 :: v_dual_mov_b32 v19, 0
	s_mov_b32 s16, exec_lo
	v_cmpx_ne_u16_e32 0, v24
	s_cbranch_execz .LBB285_1378
; %bb.1371:                             ;   in Loop: Header=BB285_15 Depth=1
	v_bfrev_b32_e32 v19, 1
	s_mov_b32 s17, exec_lo
	v_cmpx_ne_u16_e32 0x80, v24
	s_cbranch_execz .LBB285_1377
; %bb.1372:                             ;   in Loop: Header=BB285_15 Depth=1
	v_and_b32_e32 v0, 0xffff, v24
	v_mov_b32_e32 v19, 0x7c010000
	s_mov_b32 s18, exec_lo
	s_delay_alu instid0(VALU_DEP_2) | instskip(NEXT) | instid1(VALU_DEP_1)
	v_and_b32_e32 v16, 0x7f, v0
	v_cmpx_ne_u32_e32 0x7f, v16
	s_cbranch_execz .LBB285_1376
; %bb.1373:                             ;   in Loop: Header=BB285_15 Depth=1
	v_and_b32_e32 v8, 7, v0
	v_lshrrev_b32_e32 v13, 3, v16
	s_mov_b32 s19, exec_lo
	v_cmpx_gt_u32_e32 8, v16
; %bb.1374:                             ;   in Loop: Header=BB285_15 Depth=1
	s_delay_alu instid0(VALU_DEP_3) | instskip(NEXT) | instid1(VALU_DEP_1)
	v_clz_i32_u32_e32 v1, v8
	v_min_u32_e32 v1, 32, v1
	s_delay_alu instid0(VALU_DEP_1) | instskip(NEXT) | instid1(VALU_DEP_1)
	v_subrev_nc_u32_e32 v8, 28, v1
	v_lshlrev_b64_e32 v[18:19], v8, v[24:25]
	s_delay_alu instid0(VALU_DEP_1)
	v_dual_sub_nc_u32 v13, 29, v1 :: v_dual_bitop2_b32 v8, 7, v18 bitop3:0x40
; %bb.1375:                             ;   in Loop: Header=BB285_15 Depth=1
	s_or_b32 exec_lo, exec_lo, s19
	v_lshlrev_b32_e32 v0, 8, v0
	s_delay_alu instid0(VALU_DEP_2) | instskip(NEXT) | instid1(VALU_DEP_1)
	v_lshl_add_u32 v1, v13, 10, 0x2000
	v_and_or_b32 v0, 0x8000, v0, v1
	v_lshlrev_b32_e32 v1, 23, v8
	s_delay_alu instid0(VALU_DEP_1)
	v_lshl_or_b32 v19, v0, 16, v1
.LBB285_1376:                           ;   in Loop: Header=BB285_15 Depth=1
	s_or_b32 exec_lo, exec_lo, s18
.LBB285_1377:                           ;   in Loop: Header=BB285_15 Depth=1
	s_delay_alu instid0(SALU_CYCLE_1)
	s_or_b32 exec_lo, exec_lo, s17
.LBB285_1378:                           ;   in Loop: Header=BB285_15 Depth=1
	s_delay_alu instid0(SALU_CYCLE_1) | instskip(SKIP_2) | instid1(VALU_DEP_1)
	s_or_b32 exec_lo, exec_lo, s16
	v_lshrrev_b32_e32 v0, 16, v4
	s_mov_b32 s16, exec_lo
	v_and_b32_e32 v8, 0xff, v0
	s_delay_alu instid0(VALU_DEP_1)
	v_cmpx_ne_u16_e32 0, v8
	s_cbranch_execz .LBB285_1386
; %bb.1379:                             ;   in Loop: Header=BB285_15 Depth=1
	v_mov_b32_e32 v127, 0x8000
	s_mov_b32 s17, exec_lo
	v_cmpx_ne_u16_e32 0x80, v8
	s_cbranch_execz .LBB285_1385
; %bb.1380:                             ;   in Loop: Header=BB285_15 Depth=1
	v_bfe_u32 v16, v4, 16, 7
	v_mov_b32_e32 v127, 0x7c01
	s_mov_b32 s18, exec_lo
	s_delay_alu instid0(VALU_DEP_2)
	v_cmpx_ne_u32_e32 0x7f, v16
	s_cbranch_execz .LBB285_1384
; %bb.1381:                             ;   in Loop: Header=BB285_15 Depth=1
	v_and_b32_e32 v8, 7, v0
	v_lshrrev_b32_e32 v13, 3, v16
	s_mov_b32 s19, exec_lo
	v_cmpx_gt_u32_e32 8, v16
; %bb.1382:                             ;   in Loop: Header=BB285_15 Depth=1
	s_delay_alu instid0(VALU_DEP_3) | instskip(NEXT) | instid1(VALU_DEP_1)
	v_clz_i32_u32_e32 v1, v8
	v_min_u32_e32 v1, 32, v1
	s_delay_alu instid0(VALU_DEP_1) | instskip(NEXT) | instid1(VALU_DEP_1)
	v_subrev_nc_u32_e32 v8, 28, v1
	v_lshlrev_b64_e32 v[20:21], v8, v[0:1]
	s_delay_alu instid0(VALU_DEP_1)
	v_dual_sub_nc_u32 v13, 29, v1 :: v_dual_bitop2_b32 v8, 7, v20 bitop3:0x40
; %bb.1383:                             ;   in Loop: Header=BB285_15 Depth=1
	s_or_b32 exec_lo, exec_lo, s19
	v_lshlrev_b32_e32 v0, 8, v0
	s_delay_alu instid0(VALU_DEP_2) | instskip(NEXT) | instid1(VALU_DEP_3)
	v_lshl_add_u32 v1, v13, 10, 0x2000
	v_lshlrev_b32_e32 v8, 7, v8
	s_delay_alu instid0(VALU_DEP_3) | instskip(NEXT) | instid1(VALU_DEP_3)
	v_and_b32_e32 v0, 0x8000, v0
	v_and_b32_e32 v1, 0xfc00, v1
	s_delay_alu instid0(VALU_DEP_1)
	v_or3_b32 v127, v0, v1, v8
.LBB285_1384:                           ;   in Loop: Header=BB285_15 Depth=1
	s_or_b32 exec_lo, exec_lo, s18
.LBB285_1385:                           ;   in Loop: Header=BB285_15 Depth=1
	s_delay_alu instid0(SALU_CYCLE_1)
	s_or_b32 exec_lo, exec_lo, s17
.LBB285_1386:                           ;   in Loop: Header=BB285_15 Depth=1
	s_delay_alu instid0(SALU_CYCLE_1)
	s_or_b32 exec_lo, exec_lo, s16
	v_dual_mov_b32 v0, 0 :: v_dual_mov_b32 v126, 0
	s_mov_b32 s16, exec_lo
	scratch_store_b32 off, v0, s32 offset:568 ; 4-byte Folded Spill
	s_wait_xcnt 0x0
	v_cmpx_lt_u32_e32 0xffffff, v4
	s_cbranch_execz .LBB285_1394
; %bb.1387:                             ;   in Loop: Header=BB285_15 Depth=1
	v_lshrrev_b32_e32 v24, 24, v4
	v_bfrev_b32_e32 v126, 1
	s_mov_b32 s17, exec_lo
	s_delay_alu instid0(VALU_DEP_2)
	v_cmpx_ne_u32_e32 0x80, v24
	s_cbranch_execz .LBB285_1393
; %bb.1388:                             ;   in Loop: Header=BB285_15 Depth=1
	v_and_b32_e32 v13, 0x7f, v24
	v_mov_b32_e32 v126, 0x7c010000
	s_mov_b32 s18, exec_lo
	s_delay_alu instid0(VALU_DEP_2)
	v_cmpx_ne_u32_e32 0x7f, v13
	s_cbranch_execz .LBB285_1392
; %bb.1389:                             ;   in Loop: Header=BB285_15 Depth=1
	v_dual_lshrrev_b32 v8, 3, v13 :: v_dual_bitop2_b32 v0, 7, v24 bitop3:0x40
	s_mov_b32 s19, exec_lo
	v_cmpx_gt_u32_e32 8, v13
; %bb.1390:                             ;   in Loop: Header=BB285_15 Depth=1
	s_delay_alu instid0(VALU_DEP_2) | instskip(NEXT) | instid1(VALU_DEP_1)
	v_clz_i32_u32_e32 v0, v0
	v_min_u32_e32 v0, 32, v0
	s_delay_alu instid0(VALU_DEP_1) | instskip(SKIP_1) | instid1(VALU_DEP_2)
	v_subrev_nc_u32_e32 v1, 28, v0
	v_sub_nc_u32_e32 v8, 29, v0
	v_lshlrev_b64_e32 v[20:21], v1, v[24:25]
	s_delay_alu instid0(VALU_DEP_1)
	v_and_b32_e32 v0, 7, v20
; %bb.1391:                             ;   in Loop: Header=BB285_15 Depth=1
	s_or_b32 exec_lo, exec_lo, s19
	v_lshlrev_b32_e32 v1, 8, v24
	v_lshl_add_u32 v8, v8, 10, 0x2000
	s_delay_alu instid0(VALU_DEP_3) | instskip(NEXT) | instid1(VALU_DEP_2)
	v_lshlrev_b32_e32 v0, 23, v0
	v_and_or_b32 v1, 0x8000, v1, v8
	s_delay_alu instid0(VALU_DEP_1)
	v_lshl_or_b32 v126, v1, 16, v0
.LBB285_1392:                           ;   in Loop: Header=BB285_15 Depth=1
	s_or_b32 exec_lo, exec_lo, s18
.LBB285_1393:                           ;   in Loop: Header=BB285_15 Depth=1
	s_delay_alu instid0(SALU_CYCLE_1)
	s_or_b32 exec_lo, exec_lo, s17
.LBB285_1394:                           ;   in Loop: Header=BB285_15 Depth=1
	s_delay_alu instid0(SALU_CYCLE_1) | instskip(SKIP_3) | instid1(VALU_DEP_2)
	s_or_b32 exec_lo, exec_lo, s16
	v_and_b32_e32 v0, 0xff, v5
	v_mov_b32_e32 v24, v5
	s_mov_b32 s16, exec_lo
	v_cmpx_ne_u16_e32 0, v0
	s_cbranch_execz .LBB285_1402
; %bb.1395:                             ;   in Loop: Header=BB285_15 Depth=1
	v_cmp_ne_u16_e64 s1, 0x80, v0
	v_mov_b32_e32 v0, 0x8000
	scratch_store_b32 off, v0, s32 offset:568 ; 4-byte Folded Spill
	s_wait_xcnt 0x0
	s_and_saveexec_b32 s17, s1
	s_cbranch_execz .LBB285_1401
; %bb.1396:                             ;   in Loop: Header=BB285_15 Depth=1
	v_and_b32_e32 v13, 0x7f, v5
	v_mov_b32_e32 v0, 0x7c01
	s_mov_b32 s18, exec_lo
	scratch_store_b32 off, v0, s32 offset:568 ; 4-byte Folded Spill
	s_wait_xcnt 0x0
	v_cmpx_ne_u32_e32 0x7f, v13
	s_cbranch_execz .LBB285_1400
; %bb.1397:                             ;   in Loop: Header=BB285_15 Depth=1
	v_and_b32_e32 v0, 7, v5
	v_lshrrev_b32_e32 v8, 3, v13
	s_mov_b32 s19, exec_lo
	v_cmpx_gt_u32_e32 8, v13
; %bb.1398:                             ;   in Loop: Header=BB285_15 Depth=1
	s_delay_alu instid0(VALU_DEP_3) | instskip(NEXT) | instid1(VALU_DEP_1)
	v_clz_i32_u32_e32 v0, v0
	v_min_u32_e32 v0, 32, v0
	s_delay_alu instid0(VALU_DEP_1) | instskip(SKIP_1) | instid1(VALU_DEP_2)
	v_subrev_nc_u32_e32 v1, 28, v0
	v_sub_nc_u32_e32 v8, 29, v0
	v_lshlrev_b64_e32 v[20:21], v1, v[24:25]
	s_delay_alu instid0(VALU_DEP_1)
	v_and_b32_e32 v0, 7, v20
; %bb.1399:                             ;   in Loop: Header=BB285_15 Depth=1
	s_or_b32 exec_lo, exec_lo, s19
	s_delay_alu instid0(VALU_DEP_1) | instskip(SKIP_1) | instid1(VALU_DEP_2)
	v_dual_lshlrev_b32 v1, 8, v5 :: v_dual_lshlrev_b32 v0, 7, v0
	v_lshl_add_u32 v8, v8, 10, 0x2000
	v_and_b32_e32 v1, 0x8000, v1
	s_delay_alu instid0(VALU_DEP_2) | instskip(NEXT) | instid1(VALU_DEP_1)
	v_and_b32_e32 v8, 0xfc00, v8
	v_or3_b32 v0, v1, v8, v0
	scratch_store_b32 off, v0, s32 offset:568 ; 4-byte Folded Spill
.LBB285_1400:                           ;   in Loop: Header=BB285_15 Depth=1
	s_wait_xcnt 0x0
	s_or_b32 exec_lo, exec_lo, s18
.LBB285_1401:                           ;   in Loop: Header=BB285_15 Depth=1
	s_delay_alu instid0(SALU_CYCLE_1)
	s_or_b32 exec_lo, exec_lo, s17
.LBB285_1402:                           ;   in Loop: Header=BB285_15 Depth=1
	s_delay_alu instid0(SALU_CYCLE_1)
	s_or_b32 exec_lo, exec_lo, s16
	v_lshrrev_b16 v24, 8, v24
	v_dual_mov_b32 v0, 0 :: v_dual_mov_b32 v16, 0
	s_mov_b32 s16, exec_lo
	scratch_store_b32 off, v0, s32 offset:572 ; 4-byte Folded Spill
	s_wait_xcnt 0x0
	v_cmpx_ne_u16_e32 0, v24
	s_cbranch_execz .LBB285_1410
; %bb.1403:                             ;   in Loop: Header=BB285_15 Depth=1
	v_bfrev_b32_e32 v16, 1
	s_mov_b32 s17, exec_lo
	v_cmpx_ne_u16_e32 0x80, v24
	s_cbranch_execz .LBB285_1409
; %bb.1404:                             ;   in Loop: Header=BB285_15 Depth=1
	v_and_b32_e32 v0, 0xffff, v24
	v_mov_b32_e32 v16, 0x7c010000
	s_mov_b32 s18, exec_lo
	s_delay_alu instid0(VALU_DEP_2) | instskip(NEXT) | instid1(VALU_DEP_1)
	v_and_b32_e32 v18, 0x7f, v0
	v_cmpx_ne_u32_e32 0x7f, v18
	s_cbranch_execz .LBB285_1408
; %bb.1405:                             ;   in Loop: Header=BB285_15 Depth=1
	v_dual_lshrrev_b32 v13, 3, v18 :: v_dual_bitop2_b32 v8, 7, v0 bitop3:0x40
	s_mov_b32 s19, exec_lo
	v_cmpx_gt_u32_e32 8, v18
; %bb.1406:                             ;   in Loop: Header=BB285_15 Depth=1
	s_delay_alu instid0(VALU_DEP_2) | instskip(NEXT) | instid1(VALU_DEP_1)
	v_clz_i32_u32_e32 v1, v8
	v_min_u32_e32 v1, 32, v1
	s_delay_alu instid0(VALU_DEP_1) | instskip(NEXT) | instid1(VALU_DEP_1)
	v_subrev_nc_u32_e32 v8, 28, v1
	v_lshlrev_b64_e32 v[20:21], v8, v[24:25]
	s_delay_alu instid0(VALU_DEP_1)
	v_dual_sub_nc_u32 v13, 29, v1 :: v_dual_bitop2_b32 v8, 7, v20 bitop3:0x40
; %bb.1407:                             ;   in Loop: Header=BB285_15 Depth=1
	s_or_b32 exec_lo, exec_lo, s19
	v_lshlrev_b32_e32 v0, 8, v0
	s_delay_alu instid0(VALU_DEP_2) | instskip(NEXT) | instid1(VALU_DEP_1)
	v_lshl_add_u32 v1, v13, 10, 0x2000
	v_and_or_b32 v0, 0x8000, v0, v1
	v_lshlrev_b32_e32 v1, 23, v8
	s_delay_alu instid0(VALU_DEP_1)
	v_lshl_or_b32 v16, v0, 16, v1
.LBB285_1408:                           ;   in Loop: Header=BB285_15 Depth=1
	s_or_b32 exec_lo, exec_lo, s18
.LBB285_1409:                           ;   in Loop: Header=BB285_15 Depth=1
	s_delay_alu instid0(SALU_CYCLE_1)
	s_or_b32 exec_lo, exec_lo, s17
.LBB285_1410:                           ;   in Loop: Header=BB285_15 Depth=1
	s_delay_alu instid0(SALU_CYCLE_1) | instskip(SKIP_2) | instid1(VALU_DEP_1)
	s_or_b32 exec_lo, exec_lo, s16
	v_lshrrev_b32_e32 v0, 16, v5
	s_mov_b32 s16, exec_lo
	v_and_b32_e32 v8, 0xff, v0
	s_delay_alu instid0(VALU_DEP_1)
	v_cmpx_ne_u16_e32 0, v8
	s_cbranch_execz .LBB285_1418
; %bb.1411:                             ;   in Loop: Header=BB285_15 Depth=1
	v_mov_b32_e32 v1, 0x8000
	s_mov_b32 s17, exec_lo
	scratch_store_b32 off, v1, s32 offset:572 ; 4-byte Folded Spill
	s_wait_xcnt 0x0
	v_cmpx_ne_u16_e32 0x80, v8
	s_cbranch_execz .LBB285_1417
; %bb.1412:                             ;   in Loop: Header=BB285_15 Depth=1
	v_bfe_u32 v18, v5, 16, 7
	v_mov_b32_e32 v1, 0x7c01
	s_mov_b32 s18, exec_lo
	scratch_store_b32 off, v1, s32 offset:572 ; 4-byte Folded Spill
	s_wait_xcnt 0x0
	v_cmpx_ne_u32_e32 0x7f, v18
	s_cbranch_execz .LBB285_1416
; %bb.1413:                             ;   in Loop: Header=BB285_15 Depth=1
	v_dual_lshrrev_b32 v13, 3, v18 :: v_dual_bitop2_b32 v8, 7, v0 bitop3:0x40
	s_mov_b32 s19, exec_lo
	v_cmpx_gt_u32_e32 8, v18
; %bb.1414:                             ;   in Loop: Header=BB285_15 Depth=1
	s_delay_alu instid0(VALU_DEP_2) | instskip(NEXT) | instid1(VALU_DEP_1)
	v_clz_i32_u32_e32 v1, v8
	v_min_u32_e32 v1, 32, v1
	s_delay_alu instid0(VALU_DEP_1) | instskip(NEXT) | instid1(VALU_DEP_1)
	v_subrev_nc_u32_e32 v8, 28, v1
	v_lshlrev_b64_e32 v[20:21], v8, v[0:1]
	s_delay_alu instid0(VALU_DEP_1)
	v_dual_sub_nc_u32 v13, 29, v1 :: v_dual_bitop2_b32 v8, 7, v20 bitop3:0x40
; %bb.1415:                             ;   in Loop: Header=BB285_15 Depth=1
	s_or_b32 exec_lo, exec_lo, s19
	v_lshlrev_b32_e32 v0, 8, v0
	s_delay_alu instid0(VALU_DEP_2) | instskip(NEXT) | instid1(VALU_DEP_3)
	v_lshl_add_u32 v1, v13, 10, 0x2000
	v_lshlrev_b32_e32 v8, 7, v8
	s_delay_alu instid0(VALU_DEP_3) | instskip(NEXT) | instid1(VALU_DEP_3)
	v_and_b32_e32 v0, 0x8000, v0
	v_and_b32_e32 v1, 0xfc00, v1
	s_delay_alu instid0(VALU_DEP_1)
	v_or3_b32 v0, v0, v1, v8
	scratch_store_b32 off, v0, s32 offset:572 ; 4-byte Folded Spill
.LBB285_1416:                           ;   in Loop: Header=BB285_15 Depth=1
	s_wait_xcnt 0x0
	s_or_b32 exec_lo, exec_lo, s18
.LBB285_1417:                           ;   in Loop: Header=BB285_15 Depth=1
	s_delay_alu instid0(SALU_CYCLE_1)
	s_or_b32 exec_lo, exec_lo, s17
.LBB285_1418:                           ;   in Loop: Header=BB285_15 Depth=1
	s_delay_alu instid0(SALU_CYCLE_1)
	s_or_b32 exec_lo, exec_lo, s16
	v_dual_mov_b32 v0, 0 :: v_dual_mov_b32 v18, 0
	s_mov_b32 s16, exec_lo
	scratch_store_b32 off, v0, s32 offset:576 ; 4-byte Folded Spill
	s_wait_xcnt 0x0
	v_cmpx_lt_u64_e64 s[8:9], v[4:5]
	s_cbranch_execz .LBB285_1426
; %bb.1419:                             ;   in Loop: Header=BB285_15 Depth=1
	v_lshrrev_b32_e32 v24, 24, v5
	v_bfrev_b32_e32 v18, 1
	s_mov_b32 s17, exec_lo
	s_delay_alu instid0(VALU_DEP_2)
	v_cmpx_ne_u32_e32 0x80, v24
	s_cbranch_execz .LBB285_1425
; %bb.1420:                             ;   in Loop: Header=BB285_15 Depth=1
	v_and_b32_e32 v5, 0x7f, v24
	v_mov_b32_e32 v18, 0x7c010000
	s_mov_b32 s18, exec_lo
	s_delay_alu instid0(VALU_DEP_2)
	v_cmpx_ne_u32_e32 0x7f, v5
	s_cbranch_execz .LBB285_1424
; %bb.1421:                             ;   in Loop: Header=BB285_15 Depth=1
	v_dual_lshrrev_b32 v4, 3, v5 :: v_dual_bitop2_b32 v0, 7, v24 bitop3:0x40
	s_mov_b32 s19, exec_lo
	v_cmpx_gt_u32_e32 8, v5
; %bb.1422:                             ;   in Loop: Header=BB285_15 Depth=1
	s_delay_alu instid0(VALU_DEP_2) | instskip(NEXT) | instid1(VALU_DEP_1)
	v_clz_i32_u32_e32 v0, v0
	v_min_u32_e32 v0, 32, v0
	s_delay_alu instid0(VALU_DEP_1) | instskip(SKIP_1) | instid1(VALU_DEP_2)
	v_subrev_nc_u32_e32 v1, 28, v0
	v_sub_nc_u32_e32 v4, 29, v0
	v_lshlrev_b64_e32 v[20:21], v1, v[24:25]
	s_delay_alu instid0(VALU_DEP_1)
	v_and_b32_e32 v0, 7, v20
; %bb.1423:                             ;   in Loop: Header=BB285_15 Depth=1
	s_or_b32 exec_lo, exec_lo, s19
	v_lshlrev_b32_e32 v1, 8, v24
	v_lshl_add_u32 v4, v4, 10, 0x2000
	s_delay_alu instid0(VALU_DEP_3) | instskip(NEXT) | instid1(VALU_DEP_2)
	v_lshlrev_b32_e32 v0, 23, v0
	v_and_or_b32 v1, 0x8000, v1, v4
	s_delay_alu instid0(VALU_DEP_1)
	v_lshl_or_b32 v18, v1, 16, v0
.LBB285_1424:                           ;   in Loop: Header=BB285_15 Depth=1
	s_or_b32 exec_lo, exec_lo, s18
.LBB285_1425:                           ;   in Loop: Header=BB285_15 Depth=1
	s_delay_alu instid0(SALU_CYCLE_1)
	s_or_b32 exec_lo, exec_lo, s17
.LBB285_1426:                           ;   in Loop: Header=BB285_15 Depth=1
	s_delay_alu instid0(SALU_CYCLE_1)
	s_or_b32 exec_lo, exec_lo, s16
	flat_load_b64 v[4:5], v[2:3] offset:5632
	s_mov_b32 s16, exec_lo
	s_wait_loadcnt_dscnt 0x0
	v_and_b32_e32 v0, 0xff, v4
	s_wait_xcnt 0x0
	s_delay_alu instid0(VALU_DEP_1)
	v_cmpx_ne_u16_e32 0, v0
	s_cbranch_execz .LBB285_1434
; %bb.1427:                             ;   in Loop: Header=BB285_15 Depth=1
	v_cmp_ne_u16_e64 s1, 0x80, v0
	v_mov_b32_e32 v0, 0x8000
	scratch_store_b32 off, v0, s32 offset:576 ; 4-byte Folded Spill
	s_wait_xcnt 0x0
	s_and_saveexec_b32 s17, s1
	s_cbranch_execz .LBB285_1433
; %bb.1428:                             ;   in Loop: Header=BB285_15 Depth=1
	v_and_b32_e32 v13, 0x7f, v4
	v_mov_b32_e32 v0, 0x7c01
	s_mov_b32 s18, exec_lo
	scratch_store_b32 off, v0, s32 offset:576 ; 4-byte Folded Spill
	s_wait_xcnt 0x0
	v_cmpx_ne_u32_e32 0x7f, v13
	s_cbranch_execz .LBB285_1432
; %bb.1429:                             ;   in Loop: Header=BB285_15 Depth=1
	v_dual_lshrrev_b32 v8, 3, v13 :: v_dual_bitop2_b32 v0, 7, v4 bitop3:0x40
	s_mov_b32 s19, exec_lo
	v_cmpx_gt_u32_e32 8, v13
; %bb.1430:                             ;   in Loop: Header=BB285_15 Depth=1
	s_delay_alu instid0(VALU_DEP_2) | instskip(NEXT) | instid1(VALU_DEP_1)
	v_clz_i32_u32_e32 v0, v0
	v_min_u32_e32 v0, 32, v0
	s_delay_alu instid0(VALU_DEP_1) | instskip(SKIP_1) | instid1(VALU_DEP_2)
	v_subrev_nc_u32_e32 v1, 28, v0
	v_sub_nc_u32_e32 v8, 29, v0
	v_lshlrev_b64_e32 v[20:21], v1, v[4:5]
	s_delay_alu instid0(VALU_DEP_1)
	v_and_b32_e32 v0, 7, v20
; %bb.1431:                             ;   in Loop: Header=BB285_15 Depth=1
	s_or_b32 exec_lo, exec_lo, s19
	v_lshlrev_b32_e32 v1, 8, v4
	v_lshl_add_u32 v8, v8, 10, 0x2000
	s_delay_alu instid0(VALU_DEP_3) | instskip(NEXT) | instid1(VALU_DEP_3)
	v_lshlrev_b32_e32 v0, 7, v0
	v_and_b32_e32 v1, 0x8000, v1
	s_delay_alu instid0(VALU_DEP_3) | instskip(NEXT) | instid1(VALU_DEP_1)
	v_and_b32_e32 v8, 0xfc00, v8
	v_or3_b32 v0, v1, v8, v0
	scratch_store_b32 off, v0, s32 offset:576 ; 4-byte Folded Spill
.LBB285_1432:                           ;   in Loop: Header=BB285_15 Depth=1
	s_wait_xcnt 0x0
	s_or_b32 exec_lo, exec_lo, s18
.LBB285_1433:                           ;   in Loop: Header=BB285_15 Depth=1
	s_delay_alu instid0(SALU_CYCLE_1)
	s_or_b32 exec_lo, exec_lo, s17
.LBB285_1434:                           ;   in Loop: Header=BB285_15 Depth=1
	s_delay_alu instid0(SALU_CYCLE_1)
	s_or_b32 exec_lo, exec_lo, s16
	v_lshrrev_b16 v24, 8, v4
	v_dual_mov_b32 v0, 0 :: v_dual_mov_b32 v20, 0
	s_mov_b32 s16, exec_lo
	scratch_store_b32 off, v0, s32 offset:580 ; 4-byte Folded Spill
	s_wait_xcnt 0x0
	v_cmpx_ne_u16_e32 0, v24
	s_cbranch_execz .LBB285_1442
; %bb.1435:                             ;   in Loop: Header=BB285_15 Depth=1
	v_bfrev_b32_e32 v20, 1
	s_mov_b32 s17, exec_lo
	v_cmpx_ne_u16_e32 0x80, v24
	s_cbranch_execz .LBB285_1441
; %bb.1436:                             ;   in Loop: Header=BB285_15 Depth=1
	v_and_b32_e32 v0, 0xffff, v24
	v_mov_b32_e32 v20, 0x7c010000
	s_mov_b32 s18, exec_lo
	s_delay_alu instid0(VALU_DEP_2) | instskip(NEXT) | instid1(VALU_DEP_1)
	v_and_b32_e32 v21, 0x7f, v0
	v_cmpx_ne_u32_e32 0x7f, v21
	s_cbranch_execz .LBB285_1440
; %bb.1437:                             ;   in Loop: Header=BB285_15 Depth=1
	v_dual_lshrrev_b32 v13, 3, v21 :: v_dual_bitop2_b32 v8, 7, v0 bitop3:0x40
	s_mov_b32 s19, exec_lo
	v_cmpx_gt_u32_e32 8, v21
; %bb.1438:                             ;   in Loop: Header=BB285_15 Depth=1
	s_delay_alu instid0(VALU_DEP_2) | instskip(NEXT) | instid1(VALU_DEP_1)
	v_clz_i32_u32_e32 v1, v8
	v_min_u32_e32 v1, 32, v1
	s_delay_alu instid0(VALU_DEP_1) | instskip(NEXT) | instid1(VALU_DEP_1)
	v_subrev_nc_u32_e32 v8, 28, v1
	v_lshlrev_b64_e32 v[20:21], v8, v[24:25]
	s_delay_alu instid0(VALU_DEP_1)
	v_dual_sub_nc_u32 v13, 29, v1 :: v_dual_bitop2_b32 v8, 7, v20 bitop3:0x40
; %bb.1439:                             ;   in Loop: Header=BB285_15 Depth=1
	s_or_b32 exec_lo, exec_lo, s19
	v_lshlrev_b32_e32 v0, 8, v0
	s_delay_alu instid0(VALU_DEP_2) | instskip(NEXT) | instid1(VALU_DEP_1)
	v_lshl_add_u32 v1, v13, 10, 0x2000
	v_and_or_b32 v0, 0x8000, v0, v1
	v_lshlrev_b32_e32 v1, 23, v8
	s_delay_alu instid0(VALU_DEP_1)
	v_lshl_or_b32 v20, v0, 16, v1
.LBB285_1440:                           ;   in Loop: Header=BB285_15 Depth=1
	s_or_b32 exec_lo, exec_lo, s18
.LBB285_1441:                           ;   in Loop: Header=BB285_15 Depth=1
	s_delay_alu instid0(SALU_CYCLE_1)
	s_or_b32 exec_lo, exec_lo, s17
.LBB285_1442:                           ;   in Loop: Header=BB285_15 Depth=1
	s_delay_alu instid0(SALU_CYCLE_1) | instskip(SKIP_2) | instid1(VALU_DEP_1)
	s_or_b32 exec_lo, exec_lo, s16
	v_lshrrev_b32_e32 v0, 16, v4
	s_mov_b32 s16, exec_lo
	v_and_b32_e32 v8, 0xff, v0
	s_delay_alu instid0(VALU_DEP_1)
	v_cmpx_ne_u16_e32 0, v8
	s_cbranch_execz .LBB285_1450
; %bb.1443:                             ;   in Loop: Header=BB285_15 Depth=1
	v_mov_b32_e32 v1, 0x8000
	s_mov_b32 s17, exec_lo
	scratch_store_b32 off, v1, s32 offset:580 ; 4-byte Folded Spill
	s_wait_xcnt 0x0
	v_cmpx_ne_u16_e32 0x80, v8
	s_cbranch_execz .LBB285_1449
; %bb.1444:                             ;   in Loop: Header=BB285_15 Depth=1
	v_bfe_u32 v21, v4, 16, 7
	v_mov_b32_e32 v1, 0x7c01
	s_mov_b32 s18, exec_lo
	scratch_store_b32 off, v1, s32 offset:580 ; 4-byte Folded Spill
	s_wait_xcnt 0x0
	v_cmpx_ne_u32_e32 0x7f, v21
	s_cbranch_execz .LBB285_1448
; %bb.1445:                             ;   in Loop: Header=BB285_15 Depth=1
	v_dual_lshrrev_b32 v13, 3, v21 :: v_dual_bitop2_b32 v8, 7, v0 bitop3:0x40
	s_mov_b32 s19, exec_lo
	v_cmpx_gt_u32_e32 8, v21
; %bb.1446:                             ;   in Loop: Header=BB285_15 Depth=1
	s_delay_alu instid0(VALU_DEP_2) | instskip(NEXT) | instid1(VALU_DEP_1)
	v_clz_i32_u32_e32 v1, v8
	v_min_u32_e32 v1, 32, v1
	s_delay_alu instid0(VALU_DEP_1) | instskip(NEXT) | instid1(VALU_DEP_1)
	v_subrev_nc_u32_e32 v8, 28, v1
	v_lshlrev_b64_e32 v[22:23], v8, v[0:1]
	s_delay_alu instid0(VALU_DEP_1)
	v_dual_sub_nc_u32 v13, 29, v1 :: v_dual_bitop2_b32 v8, 7, v22 bitop3:0x40
; %bb.1447:                             ;   in Loop: Header=BB285_15 Depth=1
	s_or_b32 exec_lo, exec_lo, s19
	v_lshlrev_b32_e32 v0, 8, v0
	s_delay_alu instid0(VALU_DEP_2) | instskip(NEXT) | instid1(VALU_DEP_3)
	v_lshl_add_u32 v1, v13, 10, 0x2000
	v_lshlrev_b32_e32 v8, 7, v8
	s_delay_alu instid0(VALU_DEP_3) | instskip(NEXT) | instid1(VALU_DEP_3)
	v_and_b32_e32 v0, 0x8000, v0
	v_and_b32_e32 v1, 0xfc00, v1
	s_delay_alu instid0(VALU_DEP_1)
	v_or3_b32 v0, v0, v1, v8
	scratch_store_b32 off, v0, s32 offset:580 ; 4-byte Folded Spill
.LBB285_1448:                           ;   in Loop: Header=BB285_15 Depth=1
	s_wait_xcnt 0x0
	s_or_b32 exec_lo, exec_lo, s18
.LBB285_1449:                           ;   in Loop: Header=BB285_15 Depth=1
	s_delay_alu instid0(SALU_CYCLE_1)
	s_or_b32 exec_lo, exec_lo, s17
.LBB285_1450:                           ;   in Loop: Header=BB285_15 Depth=1
	s_delay_alu instid0(SALU_CYCLE_1)
	s_or_b32 exec_lo, exec_lo, s16
	v_dual_mov_b32 v0, 0 :: v_dual_mov_b32 v8, 0
	s_mov_b32 s16, exec_lo
	scratch_store_b32 off, v0, s32 offset:584 ; 4-byte Folded Spill
	s_wait_xcnt 0x0
	v_cmpx_lt_u32_e32 0xffffff, v4
	s_cbranch_execz .LBB285_1458
; %bb.1451:                             ;   in Loop: Header=BB285_15 Depth=1
	v_lshrrev_b32_e32 v24, 24, v4
	v_bfrev_b32_e32 v8, 1
	s_mov_b32 s17, exec_lo
	s_delay_alu instid0(VALU_DEP_2)
	v_cmpx_ne_u32_e32 0x80, v24
	s_cbranch_execz .LBB285_1457
; %bb.1452:                             ;   in Loop: Header=BB285_15 Depth=1
	v_and_b32_e32 v13, 0x7f, v24
	v_mov_b32_e32 v8, 0x7c010000
	s_mov_b32 s18, exec_lo
	s_delay_alu instid0(VALU_DEP_2)
	v_cmpx_ne_u32_e32 0x7f, v13
	s_cbranch_execz .LBB285_1456
; %bb.1453:                             ;   in Loop: Header=BB285_15 Depth=1
	v_dual_lshrrev_b32 v8, 3, v13 :: v_dual_bitop2_b32 v0, 7, v24 bitop3:0x40
	s_mov_b32 s19, exec_lo
	v_cmpx_gt_u32_e32 8, v13
; %bb.1454:                             ;   in Loop: Header=BB285_15 Depth=1
	s_delay_alu instid0(VALU_DEP_2) | instskip(NEXT) | instid1(VALU_DEP_1)
	v_clz_i32_u32_e32 v0, v0
	v_min_u32_e32 v0, 32, v0
	s_delay_alu instid0(VALU_DEP_1) | instskip(NEXT) | instid1(VALU_DEP_1)
	v_subrev_nc_u32_e32 v1, 28, v0
	v_lshlrev_b64_e32 v[22:23], v1, v[24:25]
	s_delay_alu instid0(VALU_DEP_1)
	v_dual_sub_nc_u32 v8, 29, v0 :: v_dual_bitop2_b32 v0, 7, v22 bitop3:0x40
; %bb.1455:                             ;   in Loop: Header=BB285_15 Depth=1
	s_or_b32 exec_lo, exec_lo, s19
	v_lshlrev_b32_e32 v1, 8, v24
	s_delay_alu instid0(VALU_DEP_2) | instskip(NEXT) | instid1(VALU_DEP_3)
	v_lshl_add_u32 v8, v8, 10, 0x2000
	v_lshlrev_b32_e32 v0, 23, v0
	s_delay_alu instid0(VALU_DEP_2) | instskip(NEXT) | instid1(VALU_DEP_1)
	v_and_or_b32 v1, 0x8000, v1, v8
	v_lshl_or_b32 v8, v1, 16, v0
.LBB285_1456:                           ;   in Loop: Header=BB285_15 Depth=1
	s_or_b32 exec_lo, exec_lo, s18
.LBB285_1457:                           ;   in Loop: Header=BB285_15 Depth=1
	s_delay_alu instid0(SALU_CYCLE_1)
	s_or_b32 exec_lo, exec_lo, s17
.LBB285_1458:                           ;   in Loop: Header=BB285_15 Depth=1
	s_delay_alu instid0(SALU_CYCLE_1) | instskip(SKIP_3) | instid1(VALU_DEP_2)
	s_or_b32 exec_lo, exec_lo, s16
	v_and_b32_e32 v0, 0xff, v5
	v_mov_b32_e32 v24, v5
	s_mov_b32 s16, exec_lo
	v_cmpx_ne_u16_e32 0, v0
	s_cbranch_execz .LBB285_1466
; %bb.1459:                             ;   in Loop: Header=BB285_15 Depth=1
	v_cmp_ne_u16_e64 s1, 0x80, v0
	v_mov_b32_e32 v0, 0x8000
	scratch_store_b32 off, v0, s32 offset:584 ; 4-byte Folded Spill
	s_wait_xcnt 0x0
	s_and_saveexec_b32 s17, s1
	s_cbranch_execz .LBB285_1465
; %bb.1460:                             ;   in Loop: Header=BB285_15 Depth=1
	v_and_b32_e32 v21, 0x7f, v5
	v_mov_b32_e32 v0, 0x7c01
	s_mov_b32 s18, exec_lo
	scratch_store_b32 off, v0, s32 offset:584 ; 4-byte Folded Spill
	s_wait_xcnt 0x0
	v_cmpx_ne_u32_e32 0x7f, v21
	s_cbranch_execz .LBB285_1464
; %bb.1461:                             ;   in Loop: Header=BB285_15 Depth=1
	v_and_b32_e32 v0, 7, v5
	v_lshrrev_b32_e32 v13, 3, v21
	s_mov_b32 s19, exec_lo
	v_cmpx_gt_u32_e32 8, v21
; %bb.1462:                             ;   in Loop: Header=BB285_15 Depth=1
	s_delay_alu instid0(VALU_DEP_3) | instskip(NEXT) | instid1(VALU_DEP_1)
	v_clz_i32_u32_e32 v0, v0
	v_min_u32_e32 v0, 32, v0
	s_delay_alu instid0(VALU_DEP_1) | instskip(NEXT) | instid1(VALU_DEP_1)
	v_subrev_nc_u32_e32 v1, 28, v0
	v_lshlrev_b64_e32 v[22:23], v1, v[24:25]
	s_delay_alu instid0(VALU_DEP_1)
	v_dual_sub_nc_u32 v13, 29, v0 :: v_dual_bitop2_b32 v0, 7, v22 bitop3:0x40
; %bb.1463:                             ;   in Loop: Header=BB285_15 Depth=1
	s_or_b32 exec_lo, exec_lo, s19
	s_delay_alu instid0(VALU_DEP_1) | instskip(NEXT) | instid1(VALU_DEP_2)
	v_dual_lshlrev_b32 v1, 8, v5 :: v_dual_lshlrev_b32 v0, 7, v0
	v_lshl_add_u32 v9, v13, 10, 0x2000
	s_delay_alu instid0(VALU_DEP_2) | instskip(NEXT) | instid1(VALU_DEP_2)
	v_and_b32_e32 v1, 0x8000, v1
	v_and_b32_e32 v9, 0xfc00, v9
	s_delay_alu instid0(VALU_DEP_1)
	v_or3_b32 v0, v1, v9, v0
	scratch_store_b32 off, v0, s32 offset:584 ; 4-byte Folded Spill
.LBB285_1464:                           ;   in Loop: Header=BB285_15 Depth=1
	s_wait_xcnt 0x0
	s_or_b32 exec_lo, exec_lo, s18
.LBB285_1465:                           ;   in Loop: Header=BB285_15 Depth=1
	s_delay_alu instid0(SALU_CYCLE_1)
	s_or_b32 exec_lo, exec_lo, s17
.LBB285_1466:                           ;   in Loop: Header=BB285_15 Depth=1
	s_delay_alu instid0(SALU_CYCLE_1)
	s_or_b32 exec_lo, exec_lo, s16
	v_lshrrev_b16 v24, 8, v24
	v_dual_mov_b32 v0, 0 :: v_dual_mov_b32 v23, 0
	s_mov_b32 s16, exec_lo
	scratch_store_b32 off, v0, s32 offset:588 ; 4-byte Folded Spill
	s_wait_xcnt 0x0
	v_cmpx_ne_u16_e32 0, v24
	s_cbranch_execz .LBB285_1474
; %bb.1467:                             ;   in Loop: Header=BB285_15 Depth=1
	v_bfrev_b32_e32 v23, 1
	s_mov_b32 s17, exec_lo
	v_cmpx_ne_u16_e32 0x80, v24
	s_cbranch_execz .LBB285_1473
; %bb.1468:                             ;   in Loop: Header=BB285_15 Depth=1
	v_and_b32_e32 v0, 0xffff, v24
	v_mov_b32_e32 v23, 0x7c010000
	s_mov_b32 s18, exec_lo
	s_delay_alu instid0(VALU_DEP_2) | instskip(NEXT) | instid1(VALU_DEP_1)
	v_and_b32_e32 v22, 0x7f, v0
	v_cmpx_ne_u32_e32 0x7f, v22
	s_cbranch_execz .LBB285_1472
; %bb.1469:                             ;   in Loop: Header=BB285_15 Depth=1
	v_dual_lshrrev_b32 v21, 3, v22 :: v_dual_bitop2_b32 v13, 7, v0 bitop3:0x40
	s_mov_b32 s19, exec_lo
	v_cmpx_gt_u32_e32 8, v22
; %bb.1470:                             ;   in Loop: Header=BB285_15 Depth=1
	s_delay_alu instid0(VALU_DEP_2) | instskip(NEXT) | instid1(VALU_DEP_1)
	v_clz_i32_u32_e32 v1, v13
	v_min_u32_e32 v1, 32, v1
	s_delay_alu instid0(VALU_DEP_1) | instskip(NEXT) | instid1(VALU_DEP_1)
	v_subrev_nc_u32_e32 v9, 28, v1
	v_lshlrev_b64_e32 v[22:23], v9, v[24:25]
	s_delay_alu instid0(VALU_DEP_1)
	v_dual_sub_nc_u32 v21, 29, v1 :: v_dual_bitop2_b32 v13, 7, v22 bitop3:0x40
; %bb.1471:                             ;   in Loop: Header=BB285_15 Depth=1
	s_or_b32 exec_lo, exec_lo, s19
	v_lshlrev_b32_e32 v0, 8, v0
	s_delay_alu instid0(VALU_DEP_2) | instskip(NEXT) | instid1(VALU_DEP_1)
	v_lshl_add_u32 v1, v21, 10, 0x2000
	v_and_or_b32 v0, 0x8000, v0, v1
	v_lshlrev_b32_e32 v1, 23, v13
	s_delay_alu instid0(VALU_DEP_1)
	v_lshl_or_b32 v23, v0, 16, v1
.LBB285_1472:                           ;   in Loop: Header=BB285_15 Depth=1
	s_or_b32 exec_lo, exec_lo, s18
.LBB285_1473:                           ;   in Loop: Header=BB285_15 Depth=1
	s_delay_alu instid0(SALU_CYCLE_1)
	s_or_b32 exec_lo, exec_lo, s17
.LBB285_1474:                           ;   in Loop: Header=BB285_15 Depth=1
	s_delay_alu instid0(SALU_CYCLE_1) | instskip(SKIP_2) | instid1(VALU_DEP_1)
	s_or_b32 exec_lo, exec_lo, s16
	v_lshrrev_b32_e32 v0, 16, v5
	s_mov_b32 s16, exec_lo
	v_and_b32_e32 v13, 0xff, v0
	s_delay_alu instid0(VALU_DEP_1)
	v_cmpx_ne_u16_e32 0, v13
	s_cbranch_execz .LBB285_1482
; %bb.1475:                             ;   in Loop: Header=BB285_15 Depth=1
	v_mov_b32_e32 v1, 0x8000
	s_mov_b32 s17, exec_lo
	scratch_store_b32 off, v1, s32 offset:588 ; 4-byte Folded Spill
	s_wait_xcnt 0x0
	v_cmpx_ne_u16_e32 0x80, v13
	s_cbranch_execz .LBB285_1481
; %bb.1476:                             ;   in Loop: Header=BB285_15 Depth=1
	v_bfe_u32 v22, v5, 16, 7
	v_mov_b32_e32 v1, 0x7c01
	s_mov_b32 s18, exec_lo
	scratch_store_b32 off, v1, s32 offset:588 ; 4-byte Folded Spill
	s_wait_xcnt 0x0
	v_cmpx_ne_u32_e32 0x7f, v22
	s_cbranch_execz .LBB285_1480
; %bb.1477:                             ;   in Loop: Header=BB285_15 Depth=1
	v_dual_lshrrev_b32 v21, 3, v22 :: v_dual_bitop2_b32 v13, 7, v0 bitop3:0x40
	s_mov_b32 s19, exec_lo
	v_cmpx_gt_u32_e32 8, v22
; %bb.1478:                             ;   in Loop: Header=BB285_15 Depth=1
	s_delay_alu instid0(VALU_DEP_2) | instskip(NEXT) | instid1(VALU_DEP_1)
	v_clz_i32_u32_e32 v1, v13
	v_min_u32_e32 v1, 32, v1
	s_delay_alu instid0(VALU_DEP_1) | instskip(NEXT) | instid1(VALU_DEP_1)
	v_subrev_nc_u32_e32 v9, 28, v1
	v_lshlrev_b64_e32 v[34:35], v9, v[0:1]
	s_delay_alu instid0(VALU_DEP_1)
	v_dual_sub_nc_u32 v21, 29, v1 :: v_dual_bitop2_b32 v13, 7, v34 bitop3:0x40
; %bb.1479:                             ;   in Loop: Header=BB285_15 Depth=1
	s_or_b32 exec_lo, exec_lo, s19
	s_delay_alu instid0(VALU_DEP_1) | instskip(NEXT) | instid1(VALU_DEP_2)
	v_dual_lshlrev_b32 v0, 8, v0 :: v_dual_lshlrev_b32 v9, 7, v13
	v_lshl_add_u32 v1, v21, 10, 0x2000
	s_delay_alu instid0(VALU_DEP_2) | instskip(NEXT) | instid1(VALU_DEP_2)
	v_and_b32_e32 v0, 0x8000, v0
	v_and_b32_e32 v1, 0xfc00, v1
	s_delay_alu instid0(VALU_DEP_1)
	v_or3_b32 v0, v0, v1, v9
	scratch_store_b32 off, v0, s32 offset:588 ; 4-byte Folded Spill
.LBB285_1480:                           ;   in Loop: Header=BB285_15 Depth=1
	s_wait_xcnt 0x0
	s_or_b32 exec_lo, exec_lo, s18
.LBB285_1481:                           ;   in Loop: Header=BB285_15 Depth=1
	s_delay_alu instid0(SALU_CYCLE_1)
	s_or_b32 exec_lo, exec_lo, s17
.LBB285_1482:                           ;   in Loop: Header=BB285_15 Depth=1
	s_delay_alu instid0(SALU_CYCLE_1)
	s_or_b32 exec_lo, exec_lo, s16
	v_dual_mov_b32 v0, 0 :: v_dual_mov_b32 v35, 0
	s_mov_b32 s16, exec_lo
	scratch_store_b32 off, v0, s32 offset:592 ; 4-byte Folded Spill
	s_wait_xcnt 0x0
	v_cmpx_lt_u64_e64 s[8:9], v[4:5]
	s_cbranch_execz .LBB285_1490
; %bb.1483:                             ;   in Loop: Header=BB285_15 Depth=1
	v_lshrrev_b32_e32 v24, 24, v5
	v_bfrev_b32_e32 v35, 1
	s_mov_b32 s17, exec_lo
	s_delay_alu instid0(VALU_DEP_2)
	v_cmpx_ne_u32_e32 0x80, v24
	s_cbranch_execz .LBB285_1489
; %bb.1484:                             ;   in Loop: Header=BB285_15 Depth=1
	v_and_b32_e32 v5, 0x7f, v24
	v_mov_b32_e32 v35, 0x7c010000
	s_mov_b32 s18, exec_lo
	s_delay_alu instid0(VALU_DEP_2)
	v_cmpx_ne_u32_e32 0x7f, v5
	s_cbranch_execz .LBB285_1488
; %bb.1485:                             ;   in Loop: Header=BB285_15 Depth=1
	v_dual_lshrrev_b32 v4, 3, v5 :: v_dual_bitop2_b32 v0, 7, v24 bitop3:0x40
	s_mov_b32 s19, exec_lo
	v_cmpx_gt_u32_e32 8, v5
; %bb.1486:                             ;   in Loop: Header=BB285_15 Depth=1
	s_delay_alu instid0(VALU_DEP_2) | instskip(NEXT) | instid1(VALU_DEP_1)
	v_clz_i32_u32_e32 v0, v0
	v_min_u32_e32 v0, 32, v0
	s_delay_alu instid0(VALU_DEP_1) | instskip(NEXT) | instid1(VALU_DEP_1)
	v_subrev_nc_u32_e32 v1, 28, v0
	v_lshlrev_b64_e32 v[34:35], v1, v[24:25]
	s_delay_alu instid0(VALU_DEP_1)
	v_dual_sub_nc_u32 v4, 29, v0 :: v_dual_bitop2_b32 v0, 7, v34 bitop3:0x40
; %bb.1487:                             ;   in Loop: Header=BB285_15 Depth=1
	s_or_b32 exec_lo, exec_lo, s19
	v_lshlrev_b32_e32 v1, 8, v24
	s_delay_alu instid0(VALU_DEP_2) | instskip(NEXT) | instid1(VALU_DEP_3)
	v_lshl_add_u32 v4, v4, 10, 0x2000
	v_lshlrev_b32_e32 v0, 23, v0
	s_delay_alu instid0(VALU_DEP_2) | instskip(NEXT) | instid1(VALU_DEP_1)
	v_and_or_b32 v1, 0x8000, v1, v4
	v_lshl_or_b32 v35, v1, 16, v0
.LBB285_1488:                           ;   in Loop: Header=BB285_15 Depth=1
	s_or_b32 exec_lo, exec_lo, s18
.LBB285_1489:                           ;   in Loop: Header=BB285_15 Depth=1
	s_delay_alu instid0(SALU_CYCLE_1)
	s_or_b32 exec_lo, exec_lo, s17
.LBB285_1490:                           ;   in Loop: Header=BB285_15 Depth=1
	s_delay_alu instid0(SALU_CYCLE_1)
	s_or_b32 exec_lo, exec_lo, s16
	flat_load_b64 v[2:3], v[2:3] offset:5640
	s_mov_b32 s16, exec_lo
	s_wait_loadcnt_dscnt 0x0
	v_and_b32_e32 v0, 0xff, v2
	s_wait_xcnt 0x0
	s_delay_alu instid0(VALU_DEP_1)
	v_cmpx_ne_u16_e32 0, v0
	s_cbranch_execz .LBB285_1498
; %bb.1491:                             ;   in Loop: Header=BB285_15 Depth=1
	v_cmp_ne_u16_e64 s1, 0x80, v0
	v_mov_b32_e32 v0, 0x8000
	scratch_store_b32 off, v0, s32 offset:592 ; 4-byte Folded Spill
	s_wait_xcnt 0x0
	s_and_saveexec_b32 s17, s1
	s_cbranch_execz .LBB285_1497
; %bb.1492:                             ;   in Loop: Header=BB285_15 Depth=1
	v_and_b32_e32 v5, 0x7f, v2
	v_mov_b32_e32 v0, 0x7c01
	s_mov_b32 s18, exec_lo
	scratch_store_b32 off, v0, s32 offset:592 ; 4-byte Folded Spill
	s_wait_xcnt 0x0
	v_cmpx_ne_u32_e32 0x7f, v5
	s_cbranch_execz .LBB285_1496
; %bb.1493:                             ;   in Loop: Header=BB285_15 Depth=1
	v_dual_lshrrev_b32 v4, 3, v5 :: v_dual_bitop2_b32 v0, 7, v2 bitop3:0x40
	s_mov_b32 s19, exec_lo
	v_cmpx_gt_u32_e32 8, v5
; %bb.1494:                             ;   in Loop: Header=BB285_15 Depth=1
	s_delay_alu instid0(VALU_DEP_2) | instskip(NEXT) | instid1(VALU_DEP_1)
	v_clz_i32_u32_e32 v0, v0
	v_min_u32_e32 v0, 32, v0
	s_delay_alu instid0(VALU_DEP_1) | instskip(SKIP_1) | instid1(VALU_DEP_2)
	v_subrev_nc_u32_e32 v1, 28, v0
	v_sub_nc_u32_e32 v4, 29, v0
	v_lshlrev_b64_e32 v[36:37], v1, v[2:3]
	s_delay_alu instid0(VALU_DEP_1)
	v_and_b32_e32 v0, 7, v36
; %bb.1495:                             ;   in Loop: Header=BB285_15 Depth=1
	s_or_b32 exec_lo, exec_lo, s19
	s_delay_alu instid0(VALU_DEP_1) | instskip(SKIP_1) | instid1(VALU_DEP_2)
	v_dual_lshlrev_b32 v1, 8, v2 :: v_dual_lshlrev_b32 v0, 7, v0
	v_lshl_add_u32 v4, v4, 10, 0x2000
	v_and_b32_e32 v1, 0x8000, v1
	s_delay_alu instid0(VALU_DEP_2) | instskip(NEXT) | instid1(VALU_DEP_1)
	v_and_b32_e32 v4, 0xfc00, v4
	v_or3_b32 v0, v1, v4, v0
	scratch_store_b32 off, v0, s32 offset:592 ; 4-byte Folded Spill
.LBB285_1496:                           ;   in Loop: Header=BB285_15 Depth=1
	s_wait_xcnt 0x0
	s_or_b32 exec_lo, exec_lo, s18
.LBB285_1497:                           ;   in Loop: Header=BB285_15 Depth=1
	s_delay_alu instid0(SALU_CYCLE_1)
	s_or_b32 exec_lo, exec_lo, s17
.LBB285_1498:                           ;   in Loop: Header=BB285_15 Depth=1
	s_delay_alu instid0(SALU_CYCLE_1) | instskip(SKIP_3) | instid1(VALU_DEP_2)
	s_or_b32 exec_lo, exec_lo, s16
	v_lshrrev_b16 v24, 8, v2
	v_dual_mov_b32 v13, 0 :: v_dual_mov_b32 v34, 0
	s_mov_b32 s16, exec_lo
	v_cmpx_ne_u16_e32 0, v24
	s_cbranch_execz .LBB285_1506
; %bb.1499:                             ;   in Loop: Header=BB285_15 Depth=1
	v_bfrev_b32_e32 v34, 1
	s_mov_b32 s17, exec_lo
	v_cmpx_ne_u16_e32 0x80, v24
	s_cbranch_execz .LBB285_1505
; %bb.1500:                             ;   in Loop: Header=BB285_15 Depth=1
	v_and_b32_e32 v0, 0xffff, v24
	v_mov_b32_e32 v34, 0x7c010000
	s_mov_b32 s18, exec_lo
	s_delay_alu instid0(VALU_DEP_2) | instskip(NEXT) | instid1(VALU_DEP_1)
	v_and_b32_e32 v21, 0x7f, v0
	v_cmpx_ne_u32_e32 0x7f, v21
	s_cbranch_execz .LBB285_1504
; %bb.1501:                             ;   in Loop: Header=BB285_15 Depth=1
	v_dual_lshrrev_b32 v5, 3, v21 :: v_dual_bitop2_b32 v4, 7, v0 bitop3:0x40
	s_mov_b32 s19, exec_lo
	v_cmpx_gt_u32_e32 8, v21
; %bb.1502:                             ;   in Loop: Header=BB285_15 Depth=1
	s_delay_alu instid0(VALU_DEP_2) | instskip(NEXT) | instid1(VALU_DEP_1)
	v_clz_i32_u32_e32 v1, v4
	v_min_u32_e32 v1, 32, v1
	s_delay_alu instid0(VALU_DEP_1) | instskip(NEXT) | instid1(VALU_DEP_1)
	v_subrev_nc_u32_e32 v4, 28, v1
	v_lshlrev_b64_e32 v[4:5], v4, v[24:25]
	s_delay_alu instid0(VALU_DEP_1)
	v_dual_sub_nc_u32 v5, 29, v1 :: v_dual_bitop2_b32 v4, 7, v4 bitop3:0x40
; %bb.1503:                             ;   in Loop: Header=BB285_15 Depth=1
	s_or_b32 exec_lo, exec_lo, s19
	v_lshlrev_b32_e32 v0, 8, v0
	s_delay_alu instid0(VALU_DEP_2) | instskip(NEXT) | instid1(VALU_DEP_1)
	v_lshl_add_u32 v1, v5, 10, 0x2000
	v_and_or_b32 v0, 0x8000, v0, v1
	v_lshlrev_b32_e32 v1, 23, v4
	s_delay_alu instid0(VALU_DEP_1)
	v_lshl_or_b32 v34, v0, 16, v1
.LBB285_1504:                           ;   in Loop: Header=BB285_15 Depth=1
	s_or_b32 exec_lo, exec_lo, s18
.LBB285_1505:                           ;   in Loop: Header=BB285_15 Depth=1
	s_delay_alu instid0(SALU_CYCLE_1)
	s_or_b32 exec_lo, exec_lo, s17
.LBB285_1506:                           ;   in Loop: Header=BB285_15 Depth=1
	s_delay_alu instid0(SALU_CYCLE_1) | instskip(SKIP_2) | instid1(VALU_DEP_1)
	s_or_b32 exec_lo, exec_lo, s16
	v_lshrrev_b32_e32 v0, 16, v2
	s_mov_b32 s16, exec_lo
	v_and_b32_e32 v4, 0xff, v0
	s_delay_alu instid0(VALU_DEP_1)
	v_cmpx_ne_u16_e32 0, v4
	s_cbranch_execz .LBB285_1514
; %bb.1507:                             ;   in Loop: Header=BB285_15 Depth=1
	v_mov_b32_e32 v13, 0x8000
	s_mov_b32 s17, exec_lo
	v_cmpx_ne_u16_e32 0x80, v4
	s_cbranch_execz .LBB285_1513
; %bb.1508:                             ;   in Loop: Header=BB285_15 Depth=1
	v_bfe_u32 v21, v2, 16, 7
	v_mov_b32_e32 v13, 0x7c01
	s_mov_b32 s18, exec_lo
	s_delay_alu instid0(VALU_DEP_2)
	v_cmpx_ne_u32_e32 0x7f, v21
	s_cbranch_execz .LBB285_1512
; %bb.1509:                             ;   in Loop: Header=BB285_15 Depth=1
	v_dual_lshrrev_b32 v5, 3, v21 :: v_dual_bitop2_b32 v4, 7, v0 bitop3:0x40
	s_mov_b32 s19, exec_lo
	v_cmpx_gt_u32_e32 8, v21
; %bb.1510:                             ;   in Loop: Header=BB285_15 Depth=1
	s_delay_alu instid0(VALU_DEP_2) | instskip(NEXT) | instid1(VALU_DEP_1)
	v_clz_i32_u32_e32 v1, v4
	v_min_u32_e32 v1, 32, v1
	s_delay_alu instid0(VALU_DEP_1) | instskip(NEXT) | instid1(VALU_DEP_1)
	v_subrev_nc_u32_e32 v4, 28, v1
	v_lshlrev_b64_e32 v[4:5], v4, v[0:1]
	s_delay_alu instid0(VALU_DEP_1)
	v_dual_sub_nc_u32 v5, 29, v1 :: v_dual_bitop2_b32 v4, 7, v4 bitop3:0x40
; %bb.1511:                             ;   in Loop: Header=BB285_15 Depth=1
	s_or_b32 exec_lo, exec_lo, s19
	v_lshlrev_b32_e32 v0, 8, v0
	s_delay_alu instid0(VALU_DEP_2) | instskip(NEXT) | instid1(VALU_DEP_3)
	v_lshl_add_u32 v1, v5, 10, 0x2000
	v_lshlrev_b32_e32 v4, 7, v4
	s_delay_alu instid0(VALU_DEP_3) | instskip(NEXT) | instid1(VALU_DEP_3)
	v_and_b32_e32 v0, 0x8000, v0
	v_and_b32_e32 v1, 0xfc00, v1
	s_delay_alu instid0(VALU_DEP_1)
	v_or3_b32 v13, v0, v1, v4
.LBB285_1512:                           ;   in Loop: Header=BB285_15 Depth=1
	s_or_b32 exec_lo, exec_lo, s18
.LBB285_1513:                           ;   in Loop: Header=BB285_15 Depth=1
	s_delay_alu instid0(SALU_CYCLE_1)
	s_or_b32 exec_lo, exec_lo, s17
.LBB285_1514:                           ;   in Loop: Header=BB285_15 Depth=1
	s_delay_alu instid0(SALU_CYCLE_1)
	s_or_b32 exec_lo, exec_lo, s16
	v_dual_mov_b32 v36, 0 :: v_dual_mov_b32 v30, 0
	s_mov_b32 s16, exec_lo
	v_cmpx_lt_u32_e32 0xffffff, v2
	s_cbranch_execz .LBB285_1522
; %bb.1515:                             ;   in Loop: Header=BB285_15 Depth=1
	v_lshrrev_b32_e32 v24, 24, v2
	v_bfrev_b32_e32 v30, 1
	s_mov_b32 s17, exec_lo
	s_delay_alu instid0(VALU_DEP_2)
	v_cmpx_ne_u32_e32 0x80, v24
	s_cbranch_execz .LBB285_1521
; %bb.1516:                             ;   in Loop: Header=BB285_15 Depth=1
	v_and_b32_e32 v5, 0x7f, v24
	v_mov_b32_e32 v30, 0x7c010000
	s_mov_b32 s18, exec_lo
	s_delay_alu instid0(VALU_DEP_2)
	v_cmpx_ne_u32_e32 0x7f, v5
	s_cbranch_execz .LBB285_1520
; %bb.1517:                             ;   in Loop: Header=BB285_15 Depth=1
	v_dual_lshrrev_b32 v4, 3, v5 :: v_dual_bitop2_b32 v0, 7, v24 bitop3:0x40
	s_mov_b32 s19, exec_lo
	v_cmpx_gt_u32_e32 8, v5
; %bb.1518:                             ;   in Loop: Header=BB285_15 Depth=1
	s_delay_alu instid0(VALU_DEP_2) | instskip(NEXT) | instid1(VALU_DEP_1)
	v_clz_i32_u32_e32 v0, v0
	v_min_u32_e32 v0, 32, v0
	s_delay_alu instid0(VALU_DEP_1) | instskip(NEXT) | instid1(VALU_DEP_1)
	v_subrev_nc_u32_e32 v1, 28, v0
	v_lshlrev_b64_e32 v[54:55], v1, v[24:25]
	s_delay_alu instid0(VALU_DEP_1)
	v_dual_sub_nc_u32 v4, 29, v0 :: v_dual_bitop2_b32 v0, 7, v54 bitop3:0x40
; %bb.1519:                             ;   in Loop: Header=BB285_15 Depth=1
	s_or_b32 exec_lo, exec_lo, s19
	v_lshlrev_b32_e32 v1, 8, v24
	s_delay_alu instid0(VALU_DEP_2) | instskip(NEXT) | instid1(VALU_DEP_3)
	v_lshl_add_u32 v4, v4, 10, 0x2000
	v_lshlrev_b32_e32 v0, 23, v0
	s_delay_alu instid0(VALU_DEP_2) | instskip(NEXT) | instid1(VALU_DEP_1)
	v_and_or_b32 v1, 0x8000, v1, v4
	v_lshl_or_b32 v30, v1, 16, v0
.LBB285_1520:                           ;   in Loop: Header=BB285_15 Depth=1
	s_or_b32 exec_lo, exec_lo, s18
.LBB285_1521:                           ;   in Loop: Header=BB285_15 Depth=1
	s_delay_alu instid0(SALU_CYCLE_1)
	s_or_b32 exec_lo, exec_lo, s17
.LBB285_1522:                           ;   in Loop: Header=BB285_15 Depth=1
	s_delay_alu instid0(SALU_CYCLE_1) | instskip(SKIP_3) | instid1(VALU_DEP_2)
	s_or_b32 exec_lo, exec_lo, s16
	v_and_b32_e32 v0, 0xff, v3
	v_mov_b32_e32 v24, v3
	s_mov_b32 s16, exec_lo
	v_cmpx_ne_u16_e32 0, v0
	s_cbranch_execz .LBB285_1530
; %bb.1523:                             ;   in Loop: Header=BB285_15 Depth=1
	v_mov_b32_e32 v36, 0x8000
	s_mov_b32 s17, exec_lo
	v_cmpx_ne_u16_e32 0x80, v0
	s_cbranch_execz .LBB285_1529
; %bb.1524:                             ;   in Loop: Header=BB285_15 Depth=1
	v_and_b32_e32 v5, 0x7f, v3
	v_mov_b32_e32 v36, 0x7c01
	s_mov_b32 s18, exec_lo
	s_delay_alu instid0(VALU_DEP_2)
	v_cmpx_ne_u32_e32 0x7f, v5
	s_cbranch_execz .LBB285_1528
; %bb.1525:                             ;   in Loop: Header=BB285_15 Depth=1
	v_dual_lshrrev_b32 v4, 3, v5 :: v_dual_bitop2_b32 v0, 7, v3 bitop3:0x40
	s_mov_b32 s19, exec_lo
	v_cmpx_gt_u32_e32 8, v5
; %bb.1526:                             ;   in Loop: Header=BB285_15 Depth=1
	s_delay_alu instid0(VALU_DEP_2) | instskip(NEXT) | instid1(VALU_DEP_1)
	v_clz_i32_u32_e32 v0, v0
	v_min_u32_e32 v0, 32, v0
	s_delay_alu instid0(VALU_DEP_1) | instskip(SKIP_1) | instid1(VALU_DEP_2)
	v_subrev_nc_u32_e32 v1, 28, v0
	v_sub_nc_u32_e32 v4, 29, v0
	v_lshlrev_b64_e32 v[36:37], v1, v[24:25]
	s_delay_alu instid0(VALU_DEP_1)
	v_and_b32_e32 v0, 7, v36
; %bb.1527:                             ;   in Loop: Header=BB285_15 Depth=1
	s_or_b32 exec_lo, exec_lo, s19
	s_delay_alu instid0(VALU_DEP_1) | instskip(SKIP_1) | instid1(VALU_DEP_2)
	v_dual_lshlrev_b32 v1, 8, v3 :: v_dual_lshlrev_b32 v0, 7, v0
	v_lshl_add_u32 v4, v4, 10, 0x2000
	v_and_b32_e32 v1, 0x8000, v1
	s_delay_alu instid0(VALU_DEP_2) | instskip(NEXT) | instid1(VALU_DEP_1)
	v_and_b32_e32 v4, 0xfc00, v4
	v_or3_b32 v36, v1, v4, v0
.LBB285_1528:                           ;   in Loop: Header=BB285_15 Depth=1
	s_or_b32 exec_lo, exec_lo, s18
.LBB285_1529:                           ;   in Loop: Header=BB285_15 Depth=1
	s_delay_alu instid0(SALU_CYCLE_1)
	s_or_b32 exec_lo, exec_lo, s17
.LBB285_1530:                           ;   in Loop: Header=BB285_15 Depth=1
	s_delay_alu instid0(SALU_CYCLE_1) | instskip(SKIP_3) | instid1(VALU_DEP_2)
	s_or_b32 exec_lo, exec_lo, s16
	v_lshrrev_b16 v24, 8, v24
	v_dual_mov_b32 v9, 0 :: v_dual_mov_b32 v37, 0
	s_mov_b32 s16, exec_lo
	v_cmpx_ne_u16_e32 0, v24
	s_cbranch_execz .LBB285_1538
; %bb.1531:                             ;   in Loop: Header=BB285_15 Depth=1
	v_bfrev_b32_e32 v37, 1
	s_mov_b32 s17, exec_lo
	v_cmpx_ne_u16_e32 0x80, v24
	s_cbranch_execz .LBB285_1537
; %bb.1532:                             ;   in Loop: Header=BB285_15 Depth=1
	v_and_b32_e32 v0, 0xffff, v24
	v_mov_b32_e32 v37, 0x7c010000
	s_mov_b32 s18, exec_lo
	s_delay_alu instid0(VALU_DEP_2) | instskip(NEXT) | instid1(VALU_DEP_1)
	v_and_b32_e32 v22, 0x7f, v0
	v_cmpx_ne_u32_e32 0x7f, v22
	s_cbranch_execz .LBB285_1536
; %bb.1533:                             ;   in Loop: Header=BB285_15 Depth=1
	v_dual_lshrrev_b32 v5, 3, v22 :: v_dual_bitop2_b32 v4, 7, v0 bitop3:0x40
	s_mov_b32 s19, exec_lo
	v_cmpx_gt_u32_e32 8, v22
; %bb.1534:                             ;   in Loop: Header=BB285_15 Depth=1
	s_delay_alu instid0(VALU_DEP_2) | instskip(NEXT) | instid1(VALU_DEP_1)
	v_clz_i32_u32_e32 v1, v4
	v_min_u32_e32 v1, 32, v1
	s_delay_alu instid0(VALU_DEP_1) | instskip(NEXT) | instid1(VALU_DEP_1)
	v_subrev_nc_u32_e32 v4, 28, v1
	v_lshlrev_b64_e32 v[4:5], v4, v[24:25]
	s_delay_alu instid0(VALU_DEP_1)
	v_dual_sub_nc_u32 v5, 29, v1 :: v_dual_bitop2_b32 v4, 7, v4 bitop3:0x40
; %bb.1535:                             ;   in Loop: Header=BB285_15 Depth=1
	s_or_b32 exec_lo, exec_lo, s19
	v_lshlrev_b32_e32 v0, 8, v0
	s_delay_alu instid0(VALU_DEP_2) | instskip(NEXT) | instid1(VALU_DEP_1)
	v_lshl_add_u32 v1, v5, 10, 0x2000
	v_and_or_b32 v0, 0x8000, v0, v1
	v_lshlrev_b32_e32 v1, 23, v4
	s_delay_alu instid0(VALU_DEP_1)
	v_lshl_or_b32 v37, v0, 16, v1
.LBB285_1536:                           ;   in Loop: Header=BB285_15 Depth=1
	s_or_b32 exec_lo, exec_lo, s18
.LBB285_1537:                           ;   in Loop: Header=BB285_15 Depth=1
	s_delay_alu instid0(SALU_CYCLE_1)
	s_or_b32 exec_lo, exec_lo, s17
.LBB285_1538:                           ;   in Loop: Header=BB285_15 Depth=1
	s_delay_alu instid0(SALU_CYCLE_1) | instskip(SKIP_2) | instid1(VALU_DEP_1)
	s_or_b32 exec_lo, exec_lo, s16
	v_lshrrev_b32_e32 v0, 16, v3
	s_mov_b32 s16, exec_lo
	v_and_b32_e32 v4, 0xff, v0
	s_delay_alu instid0(VALU_DEP_1)
	v_cmpx_ne_u16_e32 0, v4
	s_cbranch_execz .LBB285_1546
; %bb.1539:                             ;   in Loop: Header=BB285_15 Depth=1
	v_mov_b32_e32 v9, 0x8000
	s_mov_b32 s17, exec_lo
	v_cmpx_ne_u16_e32 0x80, v4
	s_cbranch_execz .LBB285_1545
; %bb.1540:                             ;   in Loop: Header=BB285_15 Depth=1
	v_bfe_u32 v22, v3, 16, 7
	v_mov_b32_e32 v9, 0x7c01
	s_mov_b32 s18, exec_lo
	s_delay_alu instid0(VALU_DEP_2)
	v_cmpx_ne_u32_e32 0x7f, v22
	s_cbranch_execz .LBB285_1544
; %bb.1541:                             ;   in Loop: Header=BB285_15 Depth=1
	v_dual_lshrrev_b32 v5, 3, v22 :: v_dual_bitop2_b32 v4, 7, v0 bitop3:0x40
	s_mov_b32 s19, exec_lo
	v_cmpx_gt_u32_e32 8, v22
; %bb.1542:                             ;   in Loop: Header=BB285_15 Depth=1
	s_delay_alu instid0(VALU_DEP_2) | instskip(NEXT) | instid1(VALU_DEP_1)
	v_clz_i32_u32_e32 v1, v4
	v_min_u32_e32 v1, 32, v1
	s_delay_alu instid0(VALU_DEP_1) | instskip(NEXT) | instid1(VALU_DEP_1)
	v_subrev_nc_u32_e32 v4, 28, v1
	v_lshlrev_b64_e32 v[4:5], v4, v[0:1]
	s_delay_alu instid0(VALU_DEP_1)
	v_dual_sub_nc_u32 v5, 29, v1 :: v_dual_bitop2_b32 v4, 7, v4 bitop3:0x40
; %bb.1543:                             ;   in Loop: Header=BB285_15 Depth=1
	s_or_b32 exec_lo, exec_lo, s19
	v_lshlrev_b32_e32 v0, 8, v0
	s_delay_alu instid0(VALU_DEP_2) | instskip(NEXT) | instid1(VALU_DEP_3)
	v_lshl_add_u32 v1, v5, 10, 0x2000
	v_lshlrev_b32_e32 v4, 7, v4
	s_delay_alu instid0(VALU_DEP_3) | instskip(NEXT) | instid1(VALU_DEP_3)
	v_and_b32_e32 v0, 0x8000, v0
	v_and_b32_e32 v1, 0xfc00, v1
	s_delay_alu instid0(VALU_DEP_1)
	v_or3_b32 v9, v0, v1, v4
.LBB285_1544:                           ;   in Loop: Header=BB285_15 Depth=1
	s_or_b32 exec_lo, exec_lo, s18
.LBB285_1545:                           ;   in Loop: Header=BB285_15 Depth=1
	s_delay_alu instid0(SALU_CYCLE_1)
	s_or_b32 exec_lo, exec_lo, s17
.LBB285_1546:                           ;   in Loop: Header=BB285_15 Depth=1
	s_delay_alu instid0(SALU_CYCLE_1)
	s_or_b32 exec_lo, exec_lo, s16
	v_mov_b32_e32 v22, 0
	s_mov_b32 s16, exec_lo
	s_clause 0x1
	scratch_store_b32 off, v27, s32 offset:620
	scratch_store_b32 off, v26, s32 offset:616
	s_wait_xcnt 0x0
	v_cmpx_lt_u64_e64 s[8:9], v[2:3]
	s_cbranch_execz .LBB285_13
; %bb.1547:                             ;   in Loop: Header=BB285_15 Depth=1
	v_lshrrev_b32_e32 v24, 24, v3
	v_bfrev_b32_e32 v22, 1
	s_mov_b32 s17, exec_lo
	s_delay_alu instid0(VALU_DEP_2)
	v_cmpx_ne_u32_e32 0x80, v24
	s_cbranch_execz .LBB285_12
; %bb.1548:                             ;   in Loop: Header=BB285_15 Depth=1
	v_and_b32_e32 v3, 0x7f, v24
	v_mov_b32_e32 v22, 0x7c010000
	s_mov_b32 s18, exec_lo
	s_delay_alu instid0(VALU_DEP_2)
	v_cmpx_ne_u32_e32 0x7f, v3
	s_cbranch_execz .LBB285_11
; %bb.1549:                             ;   in Loop: Header=BB285_15 Depth=1
	v_dual_lshrrev_b32 v2, 3, v3 :: v_dual_bitop2_b32 v0, 7, v24 bitop3:0x40
	s_mov_b32 s19, exec_lo
	v_cmpx_gt_u32_e32 8, v3
	s_cbranch_execz .LBB285_10
; %bb.1550:                             ;   in Loop: Header=BB285_15 Depth=1
	s_delay_alu instid0(VALU_DEP_2) | instskip(NEXT) | instid1(VALU_DEP_1)
	v_clz_i32_u32_e32 v0, v0
	v_min_u32_e32 v0, 32, v0
	s_delay_alu instid0(VALU_DEP_1) | instskip(SKIP_1) | instid1(VALU_DEP_2)
	v_subrev_nc_u32_e32 v1, 28, v0
	v_sub_nc_u32_e32 v2, 29, v0
	v_lshlrev_b64_e32 v[4:5], v1, v[24:25]
	s_delay_alu instid0(VALU_DEP_1)
	v_and_b32_e32 v0, 7, v4
	s_branch .LBB285_10
.LBB285_1551:
	s_or_b32 exec_lo, exec_lo, s15
	s_clause 0x1
	scratch_load_b32 v13, off, s32 offset:660
	scratch_load_b32 v10, off, s32 offset:724
.LBB285_1552:
	s_wait_xcnt 0x0
	s_or_b32 exec_lo, exec_lo, s3
	v_mbcnt_lo_u32_b32 v0, -1, 0
	s_delay_alu instid0(VALU_DEP_1) | instskip(SKIP_1) | instid1(VALU_DEP_2)
	v_dual_max_num_f32 v4, v26, v26 :: v_dual_bitop2_b32 v1, 16, v0 bitop3:0x14
	v_xor_b32_e32 v3, 8, v0
	v_cmp_gt_i32_e32 vcc_lo, 32, v1
	v_cndmask_b32_e32 v1, v0, v1, vcc_lo
	s_delay_alu instid0(VALU_DEP_3) | instskip(NEXT) | instid1(VALU_DEP_2)
	v_cmp_gt_i32_e32 vcc_lo, 32, v3
	v_dual_lshlrev_b32 v1, 2, v1 :: v_dual_cndmask_b32 v3, v0, v3, vcc_lo
	ds_bpermute_b32 v2, v1, v26
	s_wait_dscnt 0x0
	v_dual_max_num_f32 v5, v2, v2 :: v_dual_lshlrev_b32 v2, 2, v3
	s_delay_alu instid0(VALU_DEP_1) | instskip(SKIP_4) | instid1(VALU_DEP_1)
	v_dual_max_num_f32 v4, v4, v5 :: v_dual_bitop2_b32 v5, 4, v0 bitop3:0x14
	ds_bpermute_b32 v3, v2, v4
	v_cmp_gt_i32_e32 vcc_lo, 32, v5
	s_wait_dscnt 0x0
	v_dual_cndmask_b32 v5, v0, v5 :: v_dual_max_num_f32 v6, v3, v3
	v_dual_max_num_f32 v4, v4, v6 :: v_dual_lshlrev_b32 v3, 2, v5
	ds_bpermute_b32 v5, v3, v4
	s_wait_dscnt 0x0
	v_dual_max_num_f32 v5, v5, v5 :: v_dual_bitop2_b32 v6, 2, v0 bitop3:0x14
	s_delay_alu instid0(VALU_DEP_1) | instskip(NEXT) | instid1(VALU_DEP_2)
	v_cmp_gt_i32_e32 vcc_lo, 32, v6
	v_max_num_f32_e32 v4, v4, v5
	v_cndmask_b32_e32 v6, v0, v6, vcc_lo
	s_delay_alu instid0(VALU_DEP_1) | instskip(SKIP_3) | instid1(VALU_DEP_1)
	v_lshlrev_b32_e32 v70, 2, v6
	ds_bpermute_b32 v5, v70, v4
	s_wait_dscnt 0x0
	v_dual_max_num_f32 v5, v5, v5 :: v_dual_bitop2_b32 v6, 1, v0 bitop3:0x14
	v_cmp_gt_i32_e32 vcc_lo, 32, v6
	v_cndmask_b32_e32 v6, v0, v6, vcc_lo
	s_delay_alu instid0(VALU_DEP_3)
	v_max_num_f32_e32 v0, v4, v5
	scratch_load_b32 v4, off, s32 offset:624 ; 4-byte Folded Reload
	s_wait_loadcnt 0x0
	v_cmp_eq_u32_e32 vcc_lo, 0, v4
	scratch_load_b32 v4, off, s32 offset:656 ; 4-byte Folded Reload
	s_wait_loadcnt 0x0
	v_dual_lshlrev_b32 v4, 2, v4 :: v_dual_lshlrev_b32 v69, 2, v6
	ds_bpermute_b32 v5, v69, v0
	s_wait_xcnt 0x0
	s_and_saveexec_b32 s1, vcc_lo
	s_cbranch_execz .LBB285_1554
; %bb.1553:
	s_wait_dscnt 0x0
	v_dual_max_num_f32 v5, v5, v5 :: v_dual_max_num_f32 v0, v0, v0
	s_delay_alu instid0(VALU_DEP_1)
	v_max_num_f32_e32 v0, v0, v5
	ds_store_b32 v4, v0 offset:384
.LBB285_1554:
	s_or_b32 exec_lo, exec_lo, s1
	scratch_load_b32 v0, off, s32 offset:624 ; 4-byte Folded Reload
	s_wait_storecnt 0x0
	s_wait_loadcnt_dscnt 0x0
	s_barrier_signal -1
	s_barrier_wait -1
	v_cmp_gt_u32_e64 s1, 4, v0
	v_mov_b32_e32 v0, 0xff7fffff
	s_and_saveexec_b32 s2, s1
; %bb.1555:
	ds_load_b32 v0, v10 offset:384
; %bb.1556:
	s_or_b32 exec_lo, exec_lo, s2
	s_wait_dscnt 0x0
	ds_bpermute_b32 v5, v70, v0
	s_wait_dscnt 0x0
	v_dual_max_num_f32 v0, v0, v0 :: v_dual_max_num_f32 v5, v5, v5
	s_delay_alu instid0(VALU_DEP_1) | instskip(SKIP_3) | instid1(VALU_DEP_1)
	v_max_num_f32_e32 v0, v0, v5
	ds_bpermute_b32 v5, v69, v0
	s_wait_dscnt 0x0
	v_max_num_f32_e32 v5, v5, v5
	v_dual_max_num_f32 v0, v0, v5 :: v_dual_mov_b32 v5, 0
	ds_bpermute_b32 v6, v5, v0
	scratch_load_b32 v0, off, s32 offset:200 ; 4-byte Folded Reload
	s_wait_loadcnt 0x0
	v_lshlrev_b32_e32 v0, 5, v0
	s_delay_alu instid0(VALU_DEP_1) | instskip(NEXT) | instid1(VALU_DEP_1)
	v_min_i32_e32 v0, v0, v12
	v_cmp_lt_i32_e64 s2, v13, v0
	s_and_saveexec_b32 s8, s2
	s_cbranch_execz .LBB285_1560
; %bb.1557:
	s_load_b32 s3, s[6:7], 0x0
	v_dual_mov_b32 v5, 0 :: v_dual_mov_b32 v8, v13
	s_mov_b32 s9, 0
	s_wait_kmcnt 0x0
	v_lshl_add_u32 v7, v13, 2, s3
.LBB285_1558:                           ; =>This Inner Loop Header: Depth=1
	ds_load_b32 v9, v7
	v_add_nc_u32_e32 v8, 0x80, v8
	s_delay_alu instid0(VALU_DEP_1) | instskip(SKIP_3) | instid1(VALU_DEP_1)
	v_cmp_ge_i32_e64 s3, v8, v0
	s_or_b32 s9, s3, s9
	s_wait_dscnt 0x0
	v_sub_f32_e32 v9, v9, v6
	v_mul_f32_e32 v9, 0x3fb8aa3b, v9
	s_delay_alu instid0(VALU_DEP_1)
	v_exp_f32_e32 v9, v9
	ds_store_b32 v7, v9
	v_nop
	v_add_f32_e32 v5, v5, v9
	v_add_nc_u32_e32 v7, 0x200, v7
	s_and_not1_b32 exec_lo, exec_lo, s9
	s_cbranch_execnz .LBB285_1558
; %bb.1559:
	s_or_b32 exec_lo, exec_lo, s9
.LBB285_1560:
	s_delay_alu instid0(SALU_CYCLE_1)
	s_or_b32 exec_lo, exec_lo, s8
	ds_bpermute_b32 v1, v1, v5
	s_wait_dscnt 0x0
	v_add_f32_e32 v1, v5, v1
	ds_bpermute_b32 v2, v2, v1
	s_wait_dscnt 0x0
	v_add_f32_e32 v1, v1, v2
	;; [unrolled: 3-line block ×5, first 2 shown]
	s_and_saveexec_b32 s3, vcc_lo
; %bb.1561:
	ds_store_b32 v4, v1 offset:400
; %bb.1562:
	s_or_b32 exec_lo, exec_lo, s3
	s_wait_dscnt 0x0
	s_barrier_signal -1
	s_barrier_wait -1
	s_and_saveexec_b32 s3, s1
; %bb.1563:
	ds_load_b32 v1, v10 offset:400
; %bb.1564:
	s_or_b32 exec_lo, exec_lo, s3
	s_wait_dscnt 0x0
	ds_bpermute_b32 v2, v70, v1
	s_wait_dscnt 0x0
	v_dual_mov_b32 v3, 0 :: v_dual_add_f32 v1, v1, v2
	ds_bpermute_b32 v2, v69, v1
	s_wait_dscnt 0x0
	v_add_f32_e32 v1, v1, v2
	ds_bpermute_b32 v1, v3, v1
	s_and_saveexec_b32 s1, s2
	s_cbranch_execz .LBB285_1577
; %bb.1565:
	s_wait_dscnt 0x0
	v_add_f32_e32 v1, 0x358637bd, v1
	s_mov_b32 s3, -1
	s_mov_b32 s2, exec_lo
	s_delay_alu instid0(VALU_DEP_1) | instskip(NEXT) | instid1(VALU_DEP_1)
	v_div_scale_f32 v2, null, v1, v1, 1.0
	v_rcp_f32_e32 v4, v2
	v_nop
	s_delay_alu instid0(TRANS32_DEP_1) | instskip(NEXT) | instid1(VALU_DEP_1)
	v_fma_f32 v5, -v2, v4, 1.0
	v_fmac_f32_e32 v4, v5, v4
	v_div_scale_f32 v6, vcc_lo, 1.0, v1, 1.0
	s_delay_alu instid0(VALU_DEP_1) | instskip(NEXT) | instid1(VALU_DEP_1)
	v_mul_f32_e32 v5, v6, v4
	v_fma_f32 v7, -v2, v5, v6
	s_delay_alu instid0(VALU_DEP_1) | instskip(NEXT) | instid1(VALU_DEP_1)
	v_fmac_f32_e32 v5, v7, v4
	v_fma_f32 v6, -v2, v5, v6
	v_xad_u32 v2, v13, -1, v0
	s_delay_alu instid0(VALU_DEP_2) | instskip(NEXT) | instid1(VALU_DEP_1)
	v_div_fmas_f32 v4, v6, v4, v5
	v_div_fixup_f32 v4, v4, v1, 1.0
	v_mov_b32_e32 v1, v13
	s_delay_alu instid0(VALU_DEP_4)
	v_cmpx_lt_u32_e32 0x7f, v2
	s_cbranch_execz .LBB285_1574
; %bb.1566:
	s_delay_alu instid0(VALU_DEP_3) | instskip(NEXT) | instid1(VALU_DEP_1)
	v_dual_lshrrev_b32 v1, 7, v2 :: v_dual_mov_b32 v5, v4
	v_dual_mov_b32 v8, 0 :: v_dual_add_nc_u32 v2, -1, v1
	s_delay_alu instid0(VALU_DEP_1) | instskip(SKIP_1) | instid1(VALU_DEP_2)
	v_lshrrev_b32_e32 v6, 1, v2
	v_cmp_lt_u32_e32 vcc_lo, 13, v2
	v_add_nc_u32_e32 v2, 1, v6
	s_and_saveexec_b32 s3, vcc_lo
	s_cbranch_execz .LBB285_1570
; %bb.1567:
	s_load_b32 s8, s[6:7], 0x0
	s_delay_alu instid0(VALU_DEP_1)
	v_and_b32_e32 v6, -8, v2
	s_mov_b32 s9, 0
	s_wait_kmcnt 0x0
	v_lshl_add_u32 v7, v13, 2, s8
	s_mov_b32 s8, 0
.LBB285_1568:                           ; =>This Inner Loop Header: Depth=1
	ds_load_2addr_stride64_b32 v[8:9], v7 offset1:2
	ds_load_2addr_stride64_b32 v[10:11], v7 offset0:4 offset1:6
	ds_load_2addr_stride64_b32 v[14:15], v7 offset0:8 offset1:10
	;; [unrolled: 1-line block ×7, first 2 shown]
	s_add_co_i32 s9, s9, 16
	v_add_nc_u32_e32 v6, -8, v6
	s_wait_dscnt 0x7
	v_pk_mul_f32 v[8:9], v[4:5], v[8:9]
	s_wait_dscnt 0x6
	v_pk_mul_f32 v[10:11], v[4:5], v[10:11]
	s_wait_dscnt 0x5
	v_pk_mul_f32 v[14:15], v[4:5], v[14:15]
	s_wait_dscnt 0x4
	v_pk_mul_f32 v[16:17], v[4:5], v[16:17]
	s_wait_dscnt 0x3
	v_pk_mul_f32 v[18:19], v[4:5], v[18:19]
	s_wait_dscnt 0x2
	v_pk_mul_f32 v[20:21], v[4:5], v[20:21]
	s_wait_dscnt 0x1
	v_pk_mul_f32 v[22:23], v[4:5], v[22:23]
	s_wait_dscnt 0x0
	v_pk_mul_f32 v[24:25], v[4:5], v[24:25]
	ds_store_2addr_stride64_b32 v7, v8, v9 offset1:2
	ds_store_2addr_stride64_b32 v7, v10, v11 offset0:4 offset1:6
	ds_store_2addr_stride64_b32 v7, v14, v15 offset0:8 offset1:10
	;; [unrolled: 1-line block ×7, first 2 shown]
	v_mov_b32_e32 v8, s9
	v_cmp_eq_u32_e32 vcc_lo, 0, v6
	v_add_nc_u32_e32 v7, 0x2000, v7
	s_or_b32 s8, vcc_lo, s8
	s_delay_alu instid0(SALU_CYCLE_1)
	s_and_not1_b32 exec_lo, exec_lo, s8
	s_cbranch_execnz .LBB285_1568
; %bb.1569:
	s_or_b32 exec_lo, exec_lo, s8
.LBB285_1570:
	s_delay_alu instid0(SALU_CYCLE_1) | instskip(NEXT) | instid1(VALU_DEP_1)
	s_or_b32 exec_lo, exec_lo, s3
	v_and_b32_e32 v2, 7, v2
	s_mov_b32 s8, 0
	s_mov_b32 s3, exec_lo
	s_delay_alu instid0(VALU_DEP_1)
	v_cmpx_ne_u32_e32 0, v2
	s_cbranch_execz .LBB285_1573
; %bb.1571:
	s_load_b32 s9, s[6:7], 0x0
	v_dual_lshlrev_b32 v6, 9, v8 :: v_dual_lshlrev_b32 v7, 2, v13
	s_wait_kmcnt 0x0
	s_delay_alu instid0(VALU_DEP_1)
	v_add3_u32 v6, v6, v7, s9
.LBB285_1572:                           ; =>This Inner Loop Header: Depth=1
	ds_load_2addr_stride64_b32 v[8:9], v6 offset1:2
	v_add_nc_u32_e32 v2, -1, v2
	s_delay_alu instid0(VALU_DEP_1)
	v_cmp_eq_u32_e32 vcc_lo, 0, v2
	s_or_b32 s8, vcc_lo, s8
	s_wait_dscnt 0x0
	v_pk_mul_f32 v[8:9], v[4:5], v[8:9]
	ds_store_2addr_stride64_b32 v6, v8, v9 offset1:2
	v_add_nc_u32_e32 v6, 0x400, v6
	s_and_not1_b32 exec_lo, exec_lo, s8
	s_cbranch_execnz .LBB285_1572
.LBB285_1573:
	s_or_b32 exec_lo, exec_lo, s3
	v_add_nc_u32_e32 v1, 1, v1
	s_delay_alu instid0(VALU_DEP_1) | instskip(NEXT) | instid1(VALU_DEP_1)
	v_and_b32_e32 v2, 0x3fffffe, v1
	v_cmp_ne_u32_e32 vcc_lo, v1, v2
	v_lshl_add_u32 v1, v2, 7, v13
	s_or_not1_b32 s3, vcc_lo, exec_lo
.LBB285_1574:
	s_or_b32 exec_lo, exec_lo, s2
	s_delay_alu instid0(SALU_CYCLE_1)
	s_and_b32 exec_lo, exec_lo, s3
	s_cbranch_execz .LBB285_1577
; %bb.1575:
	s_load_b32 s2, s[6:7], 0x0
	s_wait_kmcnt 0x0
	v_lshl_add_u32 v2, v1, 2, s2
	s_mov_b32 s2, 0
.LBB285_1576:                           ; =>This Inner Loop Header: Depth=1
	ds_load_b32 v5, v2
	v_add_nc_u32_e32 v1, 0x80, v1
	s_delay_alu instid0(VALU_DEP_1)
	v_cmp_ge_i32_e32 vcc_lo, v1, v0
	s_or_b32 s2, vcc_lo, s2
	s_wait_dscnt 0x0
	v_mul_f32_e32 v5, v4, v5
	ds_store_b32 v2, v5
	v_add_nc_u32_e32 v2, 0x200, v2
	s_and_not1_b32 exec_lo, exec_lo, s2
	s_cbranch_execnz .LBB285_1576
.LBB285_1577:
	s_or_b32 exec_lo, exec_lo, s1
	v_dual_mov_b32 v2, 0 :: v_dual_bitop2_b32 v71, 3, v13 bitop3:0x40
	v_dual_mov_b32 v5, 0 :: v_dual_mov_b32 v4, 0
	v_dual_mov_b32 v21, 0 :: v_dual_mov_b32 v20, 0
	;; [unrolled: 1-line block ×11, first 2 shown]
	s_wait_dscnt 0x0
	s_barrier_signal -1
	s_barrier_wait -1
	s_and_saveexec_b32 s1, s0
	s_cbranch_execz .LBB285_3167
; %bb.1578:
	s_clause 0x1
	scratch_load_b32 v0, off, s32 offset:664 th:TH_LOAD_LU
	scratch_load_b32 v1, off, s32 offset:696 th:TH_LOAD_LU
	v_dual_mov_b32 v7, 0 :: v_dual_mov_b32 v13, v12
	v_dual_mov_b32 v52, 0 :: v_dual_mov_b32 v53, 0
	;; [unrolled: 1-line block ×10, first 2 shown]
	s_mov_b64 s[2:3], 0xffffffffffffff
	s_mov_b32 s8, 0
	v_dual_mov_b32 v49, 0 :: v_dual_mov_b32 v37, 0
	s_wait_loadcnt 0x0
	v_max_i32_e32 v80, v0, v1
	scratch_load_b32 v0, off, s32 offset:660 ; 4-byte Folded Reload
	s_wait_loadcnt 0x0
	v_lshlrev_b32_e32 v3, 3, v0
	s_clause 0x2
	scratch_load_b64 v[0:1], off, s32 offset:716 th:TH_LOAD_LU
	scratch_load_b64 v[4:5], off, s32 offset:688 th:TH_LOAD_LU
	scratch_load_b32 v10, off, s32 offset:656
	v_cvt_f32_u32_e32 v2, v80
	scratch_load_b64 v[108:109], off, s32 offset:708 ; 8-byte Folded Reload
	v_and_b32_e32 v6, 0xf8, v3
	v_dual_mov_b32 v3, 0 :: v_dual_bitop2_b32 v82, 24, v3 bitop3:0x40
	v_rcp_iflag_f32_e32 v2, v2
	v_nop
	s_delay_alu instid0(TRANS32_DEP_1) | instskip(NEXT) | instid1(VALU_DEP_1)
	v_mul_f32_e32 v2, 0x4f7ffffe, v2
	v_cvt_u32_f32_e32 v9, v2
	s_wait_loadcnt 0x2
	v_add_nc_u64_e32 v[0:1], v[0:1], v[4:5]
	v_dual_mov_b32 v5, 0 :: v_dual_sub_nc_u32 v4, 0, v80
	s_delay_alu instid0(VALU_DEP_1) | instskip(NEXT) | instid1(VALU_DEP_3)
	v_mul_lo_u32 v2, v4, v9
	v_add_nc_u64_e32 v[26:27], v[0:1], v[6:7]
	scratch_load_b32 v0, off, s32 offset:684 th:TH_LOAD_LU ; 4-byte Folded Reload
	v_mov_b32_e32 v4, 0
	v_mul_hi_u32 v14, v9, v2
	v_dual_mov_b32 v2, 0 :: v_dual_mov_b32 v15, v7
	s_delay_alu instid0(VALU_DEP_2) | instskip(SKIP_4) | instid1(VALU_DEP_1)
	v_add_nc_u32_e32 v14, v9, v14
	s_wait_loadcnt 0x0
	v_and_b32_e32 v6, 0x7c, v0
	scratch_load_b64 v[0:1], off, s32 offset:676 th:TH_LOAD_LU ; 8-byte Folded Reload
	v_dual_mov_b32 v81, v10 :: v_dual_lshlrev_b32 v8, 5, v71
	v_lshl_or_b32 v83, v10, 7, v8
	scratch_load_b64 v[10:11], off, s32 offset:668 th:TH_LOAD_LU ; 8-byte Folded Reload
	s_wait_loadcnt 0x1
	v_lshl_add_u64 v[0:1], v[0:1], 2, v[6:7]
	s_wait_loadcnt 0x0
	s_delay_alu instid0(VALU_DEP_1)
	v_add_nc_u64_e32 v[10:11], v[10:11], v[0:1]
	s_branch .LBB285_1581
.LBB285_1579:                           ;   in Loop: Header=BB285_1581 Depth=1
	s_or_b32 exec_lo, exec_lo, s0
	v_dual_add_f32 v8, v67, v68 :: v_dual_add_f32 v16, v106, v107
	v_dual_add_f32 v17, v104, v105 :: v_dual_add_f32 v18, v94, v95
	;;#ASMSTART
	v_pk_mul_f16 v9, v112, v9;

	;;#ASMEND
	s_delay_alu instid0(VALU_DEP_2) | instskip(NEXT) | instid1(VALU_DEP_3)
	v_add_f32_e32 v2, v2, v8
	v_dual_add_f32 v5, v5, v16 :: v_dual_add_f32 v8, v92, v93
	s_delay_alu instid0(VALU_DEP_3) | instskip(SKIP_2) | instid1(VALU_DEP_3)
	v_dual_add_f32 v21, v21, v18 :: v_dual_add_f32 v16, v90, v91
	v_add_f32_e32 v4, v4, v17
	v_dual_add_f32 v17, v88, v89 :: v_dual_add_f32 v18, v78, v79
	v_dual_add_f32 v19, v76, v77 :: v_dual_add_f32 v25, v25, v16
	;; [unrolled: 1-line block ×3, first 2 shown]
	v_add_f32_e32 v16, v72, v73
	s_delay_alu instid0(VALU_DEP_3) | instskip(SKIP_3) | instid1(VALU_DEP_3)
	v_dual_add_f32 v24, v24, v17 :: v_dual_add_f32 v30, v30, v19
	v_dual_add_f32 v31, v31, v18 :: v_dual_add_f32 v17, v62, v63
	;; [unrolled: 1-line block ×3, first 2 shown]
	v_add_f32_e32 v33, v33, v8
	v_dual_add_f32 v32, v32, v16 :: v_dual_add_f32 v35, v35, v17
	v_dual_add_f32 v8, v56, v57 :: v_dual_add_f32 v16, v46, v47
	;;#ASMSTART
	v_pk_mul_f16 v6, v102, v6;

	;;#ASMEND
	;;#ASMSTART
	v_pk_mul_f16 v1, v101, v1;

	;;#ASMEND
	;; [unrolled: 4-line block ×3, first 2 shown]
	;;#ASMSTART
	v_pk_add_f16 v6, v9, v6;

	;;#ASMEND
	;;#ASMSTART
	v_pk_add_f16 v1, v6, v1;

	;;#ASMEND
	;; [unrolled: 4-line block ×3, first 2 shown]
	v_and_b32_e32 v9, 0xffff, v0
	v_dual_add_f32 v34, v34, v18 :: v_dual_add_f32 v39, v39, v19
	v_dual_add_f32 v17, v44, v45 :: v_dual_add_f32 v18, v42, v43
	;; [unrolled: 1-line block ×3, first 2 shown]
	s_delay_alu instid0(VALU_DEP_2) | instskip(SKIP_4) | instid1(VALU_DEP_2)
	v_dual_add_f32 v37, v37, v16 :: v_dual_add_f32 v36, v36, v17
	v_dual_add_f32 v8, v118, v119 :: v_dual_lshrrev_b32 v16, 16, v0
	;;#ASMSTART
	v_cvt_f32_f16 v9, v9;
	;;#ASMEND
	v_dual_add_f32 v0, v116, v117 :: v_dual_add_f32 v1, v114, v115
	;;#ASMSTART
	v_cvt_f32_f16 v16, v16;
	;;#ASMEND
	v_dual_add_f32 v6, v103, v113 :: v_dual_add_f32 v9, v9, v16
	v_dual_add_f32 v49, v49, v18 :: v_dual_add_f32 v48, v48, v19
	s_delay_alu instid0(VALU_DEP_3) | instskip(NEXT) | instid1(VALU_DEP_3)
	v_dual_add_f32 v51, v51, v8 :: v_dual_add_f32 v53, v53, v1
	v_dual_add_f32 v50, v50, v0 :: v_dual_add_f32 v52, v52, v6
	s_delay_alu instid0(VALU_DEP_4)
	v_add_f32_e32 v3, v3, v9
.LBB285_1580:                           ;   in Loop: Header=BB285_1581 Depth=1
	s_or_b32 exec_lo, exec_lo, s9
	scratch_load_b32 v0, off, s32 offset:200 ; 4-byte Folded Reload
	v_add_nc_u32_e32 v81, 4, v81
	v_add_nc_u64_e32 v[10:11], 16, v[10:11]
	v_add_nc_u32_e32 v108, 0x80, v108
	v_add_nc_u32_e32 v83, 0x200, v83
	s_wait_loadcnt 0x0
	v_cmp_ge_i32_e32 vcc_lo, v81, v0
	s_or_b32 s8, vcc_lo, s8
	s_delay_alu instid0(SALU_CYCLE_1)
	s_and_not1_b32 exec_lo, exec_lo, s8
	s_cbranch_execz .LBB285_3166
.LBB285_1581:                           ; =>This Inner Loop Header: Depth=1
	scratch_load_b64 v[0:1], off, s32 offset:216 ; 8-byte Folded Reload
	v_mov_b32_e32 v109, v7
	s_delay_alu instid0(VALU_DEP_1) | instskip(NEXT) | instid1(VALU_DEP_1)
	v_mov_b64_e32 v[8:9], v[108:109]
	v_mov_b32_e32 v108, v8
	s_wait_loadcnt 0x0
	s_delay_alu instid0(VALU_DEP_2) | instskip(SKIP_4) | instid1(VALU_DEP_1)
	v_mul_u64_e32 v[0:1], v[8:9], v[0:1]
	scratch_load_b32 v9, off, s32 offset:212 ; 4-byte Folded Reload
	v_add_nc_u32_e32 v6, 1, v1
	s_wait_loadcnt 0x0
	v_mul_lo_u32 v0, v1, v9
	v_sub_nc_u32_e32 v0, v8, v0
	s_delay_alu instid0(VALU_DEP_1) | instskip(SKIP_1) | instid1(VALU_DEP_1)
	v_cmp_ge_u32_e32 vcc_lo, v0, v9
	v_dual_cndmask_b32 v1, v1, v6 :: v_dual_sub_nc_u32 v8, v0, v9
	v_dual_cndmask_b32 v0, v0, v8, vcc_lo :: v_dual_add_nc_u32 v6, 1, v1
	s_delay_alu instid0(VALU_DEP_1) | instskip(NEXT) | instid1(VALU_DEP_2)
	v_cmp_ge_u32_e32 vcc_lo, v0, v9
	v_cndmask_b32_e32 v0, v1, v6, vcc_lo
	scratch_load_b32 v1, off, s32 offset:224 ; 4-byte Folded Reload
	s_wait_loadcnt 0x0
	v_xor_b32_e32 v0, v0, v1
	s_delay_alu instid0(VALU_DEP_1) | instskip(SKIP_3) | instid1(VALU_DEP_1)
	v_sub_nc_u32_e32 v8, v0, v1
	scratch_load_b32 v0, off, s32 offset:228 ; 4-byte Folded Reload
	s_wait_loadcnt 0x0
	v_add_nc_u32_e32 v9, v8, v0
	v_sub_nc_u32_e32 v0, 0, v9
	s_delay_alu instid0(VALU_DEP_1) | instskip(NEXT) | instid1(VALU_DEP_1)
	v_max_i32_e32 v6, v9, v0
	v_mul_u64_e32 v[0:1], v[6:7], v[14:15]
	s_delay_alu instid0(VALU_DEP_1) | instskip(NEXT) | instid1(VALU_DEP_1)
	v_mul_lo_u32 v0, v1, v80
	v_dual_sub_nc_u32 v0, v6, v0 :: v_dual_ashrrev_i32 v6, 31, v9
	s_delay_alu instid0(VALU_DEP_1) | instskip(SKIP_1) | instid1(VALU_DEP_2)
	v_sub_nc_u32_e32 v1, v0, v80
	v_cmp_ge_u32_e32 vcc_lo, v0, v80
	v_cndmask_b32_e32 v0, v0, v1, vcc_lo
	s_delay_alu instid0(VALU_DEP_1) | instskip(SKIP_1) | instid1(VALU_DEP_2)
	v_sub_nc_u32_e32 v1, v0, v80
	v_cmp_ge_u32_e32 vcc_lo, v0, v80
	v_cndmask_b32_e32 v0, v0, v1, vcc_lo
	s_delay_alu instid0(VALU_DEP_1) | instskip(NEXT) | instid1(VALU_DEP_1)
	v_xor_b32_e32 v0, v0, v6
	v_sub_nc_u32_e32 v0, v0, v6
	s_delay_alu instid0(VALU_DEP_1) | instskip(SKIP_4) | instid1(SALU_CYCLE_1)
	v_cmp_eq_u32_e32 vcc_lo, 0, v0
	scratch_load_b32 v0, off, s32 offset:232 ; 4-byte Folded Reload
	s_wait_loadcnt 0x0
	v_cmp_gt_i32_e64 s0, v8, v0
	s_or_b32 s0, vcc_lo, s0
	s_and_saveexec_b32 s9, s0
	s_cbranch_execz .LBB285_1580
; %bb.1582:                             ;   in Loop: Header=BB285_1581 Depth=1
	s_load_b32 s0, s[6:7], 0x0
	flat_load_b32 v0, v[10:11]
	s_wait_kmcnt 0x0
	v_add_nc_u32_e32 v1, s0, v83
	s_mov_b32 s0, exec_lo
	ds_load_2addr_b64 v[16:19], v1 offset1:1
	ds_load_2addr_b64 v[64:67], v1 offset0:2 offset1:3
	scratch_load_b64 v[8:9], off, s32 offset:596 ; 8-byte Folded Reload
	s_wait_dscnt 0x1
	;;#ASMSTART
	v_cvt_f16_f32 v102, v16;

	;;#ASMEND
	;;#ASMSTART
	v_cvt_f16_f32 v100, v17;

	;;#ASMEND
	;;#ASMSTART
	v_cvt_f16_f32 v112, v18;

	;;#ASMEND
	;;#ASMSTART
	v_cvt_f16_f32 v101, v19;

	;;#ASMEND
	s_wait_dscnt 0x0
	;;#ASMSTART
	v_cvt_f16_f32 v114, v64;

	;;#ASMEND
	;;#ASMSTART
	v_cvt_f16_f32 v103, v65;

	;;#ASMEND
	;; [unrolled: 4-line block ×4, first 2 shown]
	s_wait_loadcnt 0x0
	v_mad_nc_i64_i32 v[28:29], v0, v8, v[26:27]
	v_mov_b32_e32 v8, 0
	flat_load_b64 v[64:65], v[28:29]
	scratch_load_b64 v[0:1], off, s32 offset:192 ; 8-byte Folded Reload
	s_wait_loadcnt 0x0
	flat_load_b32 v54, v[0:1]
	s_wait_dscnt 0x1
	s_wait_xcnt 0x0
	v_and_b32_e32 v0, 0xff, v64
	v_mov_b32_e32 v1, 0
	s_delay_alu instid0(VALU_DEP_2)
	v_cmpx_ne_u16_e32 0, v0
	s_cbranch_execz .LBB285_1590
; %bb.1583:                             ;   in Loop: Header=BB285_1581 Depth=1
	v_mov_b32_e32 v8, 0x8000
	s_mov_b32 s14, exec_lo
	v_cmpx_ne_u16_e32 0x80, v0
	s_cbranch_execz .LBB285_1589
; %bb.1584:                             ;   in Loop: Header=BB285_1581 Depth=1
	v_and_b32_e32 v9, 0x7f, v64
	v_mov_b32_e32 v8, 0x7c01
	s_mov_b32 s15, exec_lo
	s_delay_alu instid0(VALU_DEP_2)
	v_cmpx_ne_u32_e32 0x7f, v9
	s_cbranch_execz .LBB285_1588
; %bb.1585:                             ;   in Loop: Header=BB285_1581 Depth=1
	v_dual_lshrrev_b32 v6, 3, v9 :: v_dual_bitop2_b32 v0, 7, v64 bitop3:0x40
	s_mov_b32 s16, exec_lo
	v_cmpx_gt_u32_e32 8, v9
; %bb.1586:                             ;   in Loop: Header=BB285_1581 Depth=1
	s_delay_alu instid0(VALU_DEP_2) | instskip(NEXT) | instid1(VALU_DEP_1)
	v_clz_i32_u32_e32 v0, v0
	v_min_u32_e32 v0, 32, v0
	s_delay_alu instid0(VALU_DEP_1) | instskip(NEXT) | instid1(VALU_DEP_1)
	v_subrev_nc_u32_e32 v6, 28, v0
	v_lshlrev_b64_e32 v[8:9], v6, v[64:65]
	v_sub_nc_u32_e32 v6, 29, v0
	s_delay_alu instid0(VALU_DEP_2)
	v_and_b32_e32 v0, 7, v8
; %bb.1587:                             ;   in Loop: Header=BB285_1581 Depth=1
	s_or_b32 exec_lo, exec_lo, s16
	v_lshlrev_b32_e32 v8, 8, v64
	s_delay_alu instid0(VALU_DEP_3) | instskip(NEXT) | instid1(VALU_DEP_3)
	v_lshl_add_u32 v6, v6, 10, 0x2000
	v_lshlrev_b32_e32 v0, 7, v0
	s_delay_alu instid0(VALU_DEP_3) | instskip(NEXT) | instid1(VALU_DEP_3)
	v_and_b32_e32 v8, 0x8000, v8
	v_and_b32_e32 v6, 0xfc00, v6
	s_delay_alu instid0(VALU_DEP_1)
	v_or3_b32 v8, v8, v6, v0
.LBB285_1588:                           ;   in Loop: Header=BB285_1581 Depth=1
	s_or_b32 exec_lo, exec_lo, s15
.LBB285_1589:                           ;   in Loop: Header=BB285_1581 Depth=1
	s_delay_alu instid0(SALU_CYCLE_1)
	s_or_b32 exec_lo, exec_lo, s14
.LBB285_1590:                           ;   in Loop: Header=BB285_1581 Depth=1
	s_delay_alu instid0(SALU_CYCLE_1) | instskip(SKIP_2) | instid1(VALU_DEP_1)
	s_or_b32 exec_lo, exec_lo, s0
	v_lshrrev_b16 v6, 8, v64
	s_mov_b32 s0, exec_lo
	v_cmpx_ne_u16_e32 0, v6
	s_cbranch_execz .LBB285_1598
; %bb.1591:                             ;   in Loop: Header=BB285_1581 Depth=1
	v_bfrev_b32_e32 v1, 1
	s_mov_b32 s14, exec_lo
	v_cmpx_ne_u16_e32 0x80, v6
	s_cbranch_execz .LBB285_1597
; %bb.1592:                             ;   in Loop: Header=BB285_1581 Depth=1
	v_and_b32_e32 v0, 0xffff, v6
	v_mov_b32_e32 v1, 0x7c010000
	s_mov_b32 s15, exec_lo
	s_delay_alu instid0(VALU_DEP_2) | instskip(NEXT) | instid1(VALU_DEP_1)
	v_and_b32_e32 v16, 0x7f, v0
	v_cmpx_ne_u32_e32 0x7f, v16
	s_cbranch_execz .LBB285_1596
; %bb.1593:                             ;   in Loop: Header=BB285_1581 Depth=1
	v_and_b32_e32 v1, 7, v0
	v_lshrrev_b32_e32 v9, 3, v16
	s_mov_b32 s16, exec_lo
	v_cmpx_gt_u32_e32 8, v16
; %bb.1594:                             ;   in Loop: Header=BB285_1581 Depth=1
	s_delay_alu instid0(VALU_DEP_3) | instskip(NEXT) | instid1(VALU_DEP_1)
	v_clz_i32_u32_e32 v1, v1
	v_min_u32_e32 v1, 32, v1
	s_delay_alu instid0(VALU_DEP_1) | instskip(NEXT) | instid1(VALU_DEP_1)
	v_subrev_nc_u32_e32 v9, 28, v1
	v_lshlrev_b64_e32 v[16:17], v9, v[6:7]
	s_delay_alu instid0(VALU_DEP_1)
	v_dual_sub_nc_u32 v9, 29, v1 :: v_dual_bitop2_b32 v1, 7, v16 bitop3:0x40
; %bb.1595:                             ;   in Loop: Header=BB285_1581 Depth=1
	s_or_b32 exec_lo, exec_lo, s16
	s_delay_alu instid0(VALU_DEP_1) | instskip(NEXT) | instid1(VALU_DEP_2)
	v_dual_lshlrev_b32 v0, 8, v0 :: v_dual_lshlrev_b32 v1, 23, v1
	v_lshl_add_u32 v6, v9, 10, 0x2000
	s_delay_alu instid0(VALU_DEP_1) | instskip(NEXT) | instid1(VALU_DEP_1)
	v_and_or_b32 v0, 0x8000, v0, v6
	v_lshl_or_b32 v1, v0, 16, v1
.LBB285_1596:                           ;   in Loop: Header=BB285_1581 Depth=1
	s_or_b32 exec_lo, exec_lo, s15
.LBB285_1597:                           ;   in Loop: Header=BB285_1581 Depth=1
	s_delay_alu instid0(SALU_CYCLE_1)
	s_or_b32 exec_lo, exec_lo, s14
.LBB285_1598:                           ;   in Loop: Header=BB285_1581 Depth=1
	s_delay_alu instid0(SALU_CYCLE_1) | instskip(SKIP_3) | instid1(VALU_DEP_2)
	s_or_b32 exec_lo, exec_lo, s0
	v_dual_mov_b32 v9, 0 :: v_dual_lshrrev_b32 v0, 16, v64
	v_mov_b32_e32 v16, 0
	s_mov_b32 s0, exec_lo
	v_and_b32_e32 v6, 0xff, v0
	s_delay_alu instid0(VALU_DEP_1)
	v_cmpx_ne_u16_e32 0, v6
	s_cbranch_execz .LBB285_1606
; %bb.1599:                             ;   in Loop: Header=BB285_1581 Depth=1
	v_mov_b32_e32 v16, 0x8000
	s_mov_b32 s14, exec_lo
	v_cmpx_ne_u16_e32 0x80, v6
	s_cbranch_execz .LBB285_1605
; %bb.1600:                             ;   in Loop: Header=BB285_1581 Depth=1
	v_bfe_u32 v17, v64, 16, 7
	v_mov_b32_e32 v16, 0x7c01
	s_mov_b32 s15, exec_lo
	s_delay_alu instid0(VALU_DEP_2)
	v_cmpx_ne_u32_e32 0x7f, v17
	s_cbranch_execz .LBB285_1604
; %bb.1601:                             ;   in Loop: Header=BB285_1581 Depth=1
	v_dual_lshrrev_b32 v16, 3, v17 :: v_dual_bitop2_b32 v6, 7, v0 bitop3:0x40
	s_mov_b32 s16, exec_lo
	v_cmpx_gt_u32_e32 8, v17
; %bb.1602:                             ;   in Loop: Header=BB285_1581 Depth=1
	s_delay_alu instid0(VALU_DEP_2) | instskip(NEXT) | instid1(VALU_DEP_1)
	v_clz_i32_u32_e32 v6, v6
	v_min_u32_e32 v6, 32, v6
	s_delay_alu instid0(VALU_DEP_1) | instskip(NEXT) | instid1(VALU_DEP_1)
	v_subrev_nc_u32_e32 v16, 28, v6
	v_lshlrev_b64_e32 v[18:19], v16, v[0:1]
	v_sub_nc_u32_e32 v16, 29, v6
	s_delay_alu instid0(VALU_DEP_2)
	v_and_b32_e32 v6, 7, v18
; %bb.1603:                             ;   in Loop: Header=BB285_1581 Depth=1
	s_or_b32 exec_lo, exec_lo, s16
	s_delay_alu instid0(VALU_DEP_1) | instskip(NEXT) | instid1(VALU_DEP_3)
	v_dual_lshlrev_b32 v0, 8, v0 :: v_dual_lshlrev_b32 v6, 7, v6
	v_lshl_add_u32 v16, v16, 10, 0x2000
	s_delay_alu instid0(VALU_DEP_2) | instskip(NEXT) | instid1(VALU_DEP_2)
	v_and_b32_e32 v0, 0x8000, v0
	v_and_b32_e32 v16, 0xfc00, v16
	s_delay_alu instid0(VALU_DEP_1)
	v_or3_b32 v16, v0, v16, v6
.LBB285_1604:                           ;   in Loop: Header=BB285_1581 Depth=1
	s_or_b32 exec_lo, exec_lo, s15
.LBB285_1605:                           ;   in Loop: Header=BB285_1581 Depth=1
	s_delay_alu instid0(SALU_CYCLE_1)
	s_or_b32 exec_lo, exec_lo, s14
.LBB285_1606:                           ;   in Loop: Header=BB285_1581 Depth=1
	s_delay_alu instid0(SALU_CYCLE_1) | instskip(NEXT) | instid1(SALU_CYCLE_1)
	s_or_b32 exec_lo, exec_lo, s0
	s_mov_b32 s0, exec_lo
	v_cmpx_lt_u32_e32 0xffffff, v64
	s_cbranch_execz .LBB285_1614
; %bb.1607:                             ;   in Loop: Header=BB285_1581 Depth=1
	v_lshrrev_b32_e32 v6, 24, v64
	v_bfrev_b32_e32 v9, 1
	s_mov_b32 s14, exec_lo
	s_delay_alu instid0(VALU_DEP_2)
	v_cmpx_ne_u32_e32 0x80, v6
	s_cbranch_execz .LBB285_1613
; %bb.1608:                             ;   in Loop: Header=BB285_1581 Depth=1
	v_and_b32_e32 v17, 0x7f, v6
	v_mov_b32_e32 v9, 0x7c010000
	s_mov_b32 s15, exec_lo
	s_delay_alu instid0(VALU_DEP_2)
	v_cmpx_ne_u32_e32 0x7f, v17
	s_cbranch_execz .LBB285_1612
; %bb.1609:                             ;   in Loop: Header=BB285_1581 Depth=1
	v_dual_lshrrev_b32 v9, 3, v17 :: v_dual_bitop2_b32 v0, 7, v6 bitop3:0x40
	s_mov_b32 s16, exec_lo
	v_cmpx_gt_u32_e32 8, v17
; %bb.1610:                             ;   in Loop: Header=BB285_1581 Depth=1
	s_delay_alu instid0(VALU_DEP_2) | instskip(NEXT) | instid1(VALU_DEP_1)
	v_clz_i32_u32_e32 v0, v0
	v_min_u32_e32 v0, 32, v0
	s_delay_alu instid0(VALU_DEP_1) | instskip(NEXT) | instid1(VALU_DEP_1)
	v_subrev_nc_u32_e32 v9, 28, v0
	v_lshlrev_b64_e32 v[18:19], v9, v[6:7]
	s_delay_alu instid0(VALU_DEP_1)
	v_dual_sub_nc_u32 v9, 29, v0 :: v_dual_bitop2_b32 v0, 7, v18 bitop3:0x40
; %bb.1611:                             ;   in Loop: Header=BB285_1581 Depth=1
	s_or_b32 exec_lo, exec_lo, s16
	s_delay_alu instid0(VALU_DEP_1) | instskip(NEXT) | instid1(VALU_DEP_2)
	v_dual_lshlrev_b32 v6, 8, v6 :: v_dual_lshlrev_b32 v0, 23, v0
	v_lshl_add_u32 v9, v9, 10, 0x2000
	s_delay_alu instid0(VALU_DEP_1) | instskip(NEXT) | instid1(VALU_DEP_1)
	v_and_or_b32 v6, 0x8000, v6, v9
	v_lshl_or_b32 v9, v6, 16, v0
.LBB285_1612:                           ;   in Loop: Header=BB285_1581 Depth=1
	s_or_b32 exec_lo, exec_lo, s15
.LBB285_1613:                           ;   in Loop: Header=BB285_1581 Depth=1
	s_delay_alu instid0(SALU_CYCLE_1)
	s_or_b32 exec_lo, exec_lo, s14
.LBB285_1614:                           ;   in Loop: Header=BB285_1581 Depth=1
	s_delay_alu instid0(SALU_CYCLE_1) | instskip(SKIP_4) | instid1(VALU_DEP_3)
	s_or_b32 exec_lo, exec_lo, s0
	v_and_b32_e32 v0, 0xff, v65
	v_dual_mov_b32 v6, v65 :: v_dual_mov_b32 v18, 0
	v_mov_b32_e32 v17, 0
	s_mov_b32 s0, exec_lo
	v_cmpx_ne_u16_e32 0, v0
	s_cbranch_execz .LBB285_1622
; %bb.1615:                             ;   in Loop: Header=BB285_1581 Depth=1
	v_mov_b32_e32 v17, 0x8000
	s_mov_b32 s14, exec_lo
	v_cmpx_ne_u16_e32 0x80, v0
	s_cbranch_execz .LBB285_1621
; %bb.1616:                             ;   in Loop: Header=BB285_1581 Depth=1
	v_and_b32_e32 v19, 0x7f, v65
	v_mov_b32_e32 v17, 0x7c01
	s_mov_b32 s15, exec_lo
	s_delay_alu instid0(VALU_DEP_2)
	v_cmpx_ne_u32_e32 0x7f, v19
	s_cbranch_execz .LBB285_1620
; %bb.1617:                             ;   in Loop: Header=BB285_1581 Depth=1
	v_dual_lshrrev_b32 v17, 3, v19 :: v_dual_bitop2_b32 v0, 7, v65 bitop3:0x40
	s_mov_b32 s16, exec_lo
	v_cmpx_gt_u32_e32 8, v19
; %bb.1618:                             ;   in Loop: Header=BB285_1581 Depth=1
	s_delay_alu instid0(VALU_DEP_2) | instskip(NEXT) | instid1(VALU_DEP_1)
	v_clz_i32_u32_e32 v0, v0
	v_min_u32_e32 v0, 32, v0
	s_delay_alu instid0(VALU_DEP_1) | instskip(NEXT) | instid1(VALU_DEP_1)
	v_subrev_nc_u32_e32 v17, 28, v0
	v_lshlrev_b64_e32 v[22:23], v17, v[6:7]
	s_delay_alu instid0(VALU_DEP_1)
	v_dual_sub_nc_u32 v17, 29, v0 :: v_dual_bitop2_b32 v0, 7, v22 bitop3:0x40
; %bb.1619:                             ;   in Loop: Header=BB285_1581 Depth=1
	s_or_b32 exec_lo, exec_lo, s16
	s_delay_alu instid0(VALU_DEP_1) | instskip(NEXT) | instid1(VALU_DEP_2)
	v_dual_lshlrev_b32 v19, 8, v65 :: v_dual_lshlrev_b32 v0, 7, v0
	v_lshl_add_u32 v17, v17, 10, 0x2000
	s_delay_alu instid0(VALU_DEP_2) | instskip(NEXT) | instid1(VALU_DEP_2)
	v_and_b32_e32 v19, 0x8000, v19
	v_and_b32_e32 v17, 0xfc00, v17
	s_delay_alu instid0(VALU_DEP_1)
	v_or3_b32 v17, v19, v17, v0
.LBB285_1620:                           ;   in Loop: Header=BB285_1581 Depth=1
	s_or_b32 exec_lo, exec_lo, s15
.LBB285_1621:                           ;   in Loop: Header=BB285_1581 Depth=1
	s_delay_alu instid0(SALU_CYCLE_1)
	s_or_b32 exec_lo, exec_lo, s14
.LBB285_1622:                           ;   in Loop: Header=BB285_1581 Depth=1
	s_delay_alu instid0(SALU_CYCLE_1) | instskip(SKIP_3) | instid1(VALU_DEP_2)
	s_or_b32 exec_lo, exec_lo, s0
	v_lshrrev_b16 v6, 8, v6
	v_mov_b32_e32 v19, 0
	s_mov_b32 s0, exec_lo
	v_cmpx_ne_u16_e32 0, v6
	s_cbranch_execz .LBB285_1630
; %bb.1623:                             ;   in Loop: Header=BB285_1581 Depth=1
	v_bfrev_b32_e32 v19, 1
	s_mov_b32 s14, exec_lo
	v_cmpx_ne_u16_e32 0x80, v6
	s_cbranch_execz .LBB285_1629
; %bb.1624:                             ;   in Loop: Header=BB285_1581 Depth=1
	v_and_b32_e32 v0, 0xffff, v6
	v_mov_b32_e32 v19, 0x7c010000
	s_mov_b32 s15, exec_lo
	s_delay_alu instid0(VALU_DEP_2) | instskip(NEXT) | instid1(VALU_DEP_1)
	v_and_b32_e32 v23, 0x7f, v0
	v_cmpx_ne_u32_e32 0x7f, v23
	s_cbranch_execz .LBB285_1628
; %bb.1625:                             ;   in Loop: Header=BB285_1581 Depth=1
	v_dual_lshrrev_b32 v22, 3, v23 :: v_dual_bitop2_b32 v19, 7, v0 bitop3:0x40
	s_mov_b32 s16, exec_lo
	v_cmpx_gt_u32_e32 8, v23
; %bb.1626:                             ;   in Loop: Header=BB285_1581 Depth=1
	s_delay_alu instid0(VALU_DEP_2) | instskip(NEXT) | instid1(VALU_DEP_1)
	v_clz_i32_u32_e32 v19, v19
	v_min_u32_e32 v19, 32, v19
	s_delay_alu instid0(VALU_DEP_1) | instskip(NEXT) | instid1(VALU_DEP_1)
	v_subrev_nc_u32_e32 v22, 28, v19
	v_lshlrev_b64_e32 v[66:67], v22, v[6:7]
	s_delay_alu instid0(VALU_DEP_1)
	v_dual_sub_nc_u32 v22, 29, v19 :: v_dual_bitop2_b32 v19, 7, v66 bitop3:0x40
; %bb.1627:                             ;   in Loop: Header=BB285_1581 Depth=1
	s_or_b32 exec_lo, exec_lo, s16
	v_lshlrev_b32_e32 v0, 8, v0
	s_delay_alu instid0(VALU_DEP_2) | instskip(NEXT) | instid1(VALU_DEP_1)
	v_lshl_add_u32 v6, v22, 10, 0x2000
	v_and_or_b32 v0, 0x8000, v0, v6
	v_lshlrev_b32_e32 v6, 23, v19
	s_delay_alu instid0(VALU_DEP_1)
	v_lshl_or_b32 v19, v0, 16, v6
.LBB285_1628:                           ;   in Loop: Header=BB285_1581 Depth=1
	s_or_b32 exec_lo, exec_lo, s15
.LBB285_1629:                           ;   in Loop: Header=BB285_1581 Depth=1
	s_delay_alu instid0(SALU_CYCLE_1)
	s_or_b32 exec_lo, exec_lo, s14
.LBB285_1630:                           ;   in Loop: Header=BB285_1581 Depth=1
	s_delay_alu instid0(SALU_CYCLE_1) | instskip(SKIP_2) | instid1(VALU_DEP_1)
	s_or_b32 exec_lo, exec_lo, s0
	v_lshrrev_b32_e32 v0, 16, v65
	s_mov_b32 s0, exec_lo
	v_and_b32_e32 v6, 0xff, v0
	s_delay_alu instid0(VALU_DEP_1)
	v_cmpx_ne_u16_e32 0, v6
	s_cbranch_execz .LBB285_1638
; %bb.1631:                             ;   in Loop: Header=BB285_1581 Depth=1
	v_mov_b32_e32 v18, 0x8000
	s_mov_b32 s14, exec_lo
	v_cmpx_ne_u16_e32 0x80, v6
	s_cbranch_execz .LBB285_1637
; %bb.1632:                             ;   in Loop: Header=BB285_1581 Depth=1
	v_bfe_u32 v22, v65, 16, 7
	v_mov_b32_e32 v18, 0x7c01
	s_mov_b32 s15, exec_lo
	s_delay_alu instid0(VALU_DEP_2)
	v_cmpx_ne_u32_e32 0x7f, v22
	s_cbranch_execz .LBB285_1636
; %bb.1633:                             ;   in Loop: Header=BB285_1581 Depth=1
	v_dual_lshrrev_b32 v18, 3, v22 :: v_dual_bitop2_b32 v6, 7, v0 bitop3:0x40
	s_mov_b32 s16, exec_lo
	v_cmpx_gt_u32_e32 8, v22
; %bb.1634:                             ;   in Loop: Header=BB285_1581 Depth=1
	s_delay_alu instid0(VALU_DEP_2) | instskip(NEXT) | instid1(VALU_DEP_1)
	v_clz_i32_u32_e32 v6, v6
	v_min_u32_e32 v6, 32, v6
	s_delay_alu instid0(VALU_DEP_1) | instskip(NEXT) | instid1(VALU_DEP_1)
	v_subrev_nc_u32_e32 v18, 28, v6
	v_lshlrev_b64_e32 v[22:23], v18, v[0:1]
	v_sub_nc_u32_e32 v18, 29, v6
	s_delay_alu instid0(VALU_DEP_2)
	v_and_b32_e32 v6, 7, v22
; %bb.1635:                             ;   in Loop: Header=BB285_1581 Depth=1
	s_or_b32 exec_lo, exec_lo, s16
	s_delay_alu instid0(VALU_DEP_1) | instskip(NEXT) | instid1(VALU_DEP_3)
	v_dual_lshlrev_b32 v0, 8, v0 :: v_dual_lshlrev_b32 v6, 7, v6
	v_lshl_add_u32 v18, v18, 10, 0x2000
	s_delay_alu instid0(VALU_DEP_2) | instskip(NEXT) | instid1(VALU_DEP_2)
	v_and_b32_e32 v0, 0x8000, v0
	v_and_b32_e32 v18, 0xfc00, v18
	s_delay_alu instid0(VALU_DEP_1)
	v_or3_b32 v18, v0, v18, v6
.LBB285_1636:                           ;   in Loop: Header=BB285_1581 Depth=1
	s_or_b32 exec_lo, exec_lo, s15
.LBB285_1637:                           ;   in Loop: Header=BB285_1581 Depth=1
	s_delay_alu instid0(SALU_CYCLE_1)
	s_or_b32 exec_lo, exec_lo, s14
.LBB285_1638:                           ;   in Loop: Header=BB285_1581 Depth=1
	s_delay_alu instid0(SALU_CYCLE_1)
	s_or_b32 exec_lo, exec_lo, s0
	v_mov_b32_e32 v0, 0
	s_mov_b32 s0, exec_lo
	v_cmpx_lt_u64_e64 s[2:3], v[64:65]
	s_cbranch_execz .LBB285_1646
; %bb.1639:                             ;   in Loop: Header=BB285_1581 Depth=1
	v_lshrrev_b32_e32 v6, 24, v65
	v_bfrev_b32_e32 v0, 1
	s_mov_b32 s14, exec_lo
	s_delay_alu instid0(VALU_DEP_2)
	v_cmpx_ne_u32_e32 0x80, v6
	s_cbranch_execz .LBB285_1645
; %bb.1640:                             ;   in Loop: Header=BB285_1581 Depth=1
	v_and_b32_e32 v23, 0x7f, v6
	v_mov_b32_e32 v0, 0x7c010000
	s_mov_b32 s15, exec_lo
	s_delay_alu instid0(VALU_DEP_2)
	v_cmpx_ne_u32_e32 0x7f, v23
	s_cbranch_execz .LBB285_1644
; %bb.1641:                             ;   in Loop: Header=BB285_1581 Depth=1
	v_dual_lshrrev_b32 v22, 3, v23 :: v_dual_bitop2_b32 v0, 7, v6 bitop3:0x40
	s_mov_b32 s16, exec_lo
	v_cmpx_gt_u32_e32 8, v23
; %bb.1642:                             ;   in Loop: Header=BB285_1581 Depth=1
	s_delay_alu instid0(VALU_DEP_2) | instskip(NEXT) | instid1(VALU_DEP_1)
	v_clz_i32_u32_e32 v0, v0
	v_min_u32_e32 v0, 32, v0
	s_delay_alu instid0(VALU_DEP_1) | instskip(NEXT) | instid1(VALU_DEP_1)
	v_subrev_nc_u32_e32 v22, 28, v0
	v_lshlrev_b64_e32 v[64:65], v22, v[6:7]
	v_sub_nc_u32_e32 v22, 29, v0
	s_delay_alu instid0(VALU_DEP_2)
	v_and_b32_e32 v0, 7, v64
; %bb.1643:                             ;   in Loop: Header=BB285_1581 Depth=1
	s_or_b32 exec_lo, exec_lo, s16
	s_delay_alu instid0(VALU_DEP_1) | instskip(NEXT) | instid1(VALU_DEP_3)
	v_dual_lshlrev_b32 v6, 8, v6 :: v_dual_lshlrev_b32 v0, 23, v0
	v_lshl_add_u32 v22, v22, 10, 0x2000
	s_delay_alu instid0(VALU_DEP_1) | instskip(NEXT) | instid1(VALU_DEP_1)
	v_and_or_b32 v6, 0x8000, v6, v22
	v_lshl_or_b32 v0, v6, 16, v0
.LBB285_1644:                           ;   in Loop: Header=BB285_1581 Depth=1
	s_or_b32 exec_lo, exec_lo, s15
.LBB285_1645:                           ;   in Loop: Header=BB285_1581 Depth=1
	s_delay_alu instid0(SALU_CYCLE_1)
	s_or_b32 exec_lo, exec_lo, s14
.LBB285_1646:                           ;   in Loop: Header=BB285_1581 Depth=1
	s_delay_alu instid0(SALU_CYCLE_1) | instskip(SKIP_2) | instid1(VALU_DEP_2)
	s_or_b32 exec_lo, exec_lo, s0
	v_dual_lshrrev_b32 v6, 16, v1 :: v_dual_bitop2_b32 v1, v1, v8 bitop3:0x54
	v_dual_lshrrev_b32 v22, 16, v9 :: v_dual_bitop2_b32 v16, v9, v16 bitop3:0x54
	v_cvt_f32_f16_e32 v9, v6
	v_dual_lshrrev_b32 v18, 16, v19 :: v_dual_bitop2_b32 v6, v0, v18 bitop3:0x54
	s_delay_alu instid0(VALU_DEP_3)
	v_cvt_f32_f16_e32 v8, v22
	v_dual_lshrrev_b32 v22, 16, v0 :: v_dual_bitop2_b32 v19, v19, v17 bitop3:0x54
	v_cvt_f32_f16_e32 v0, v16
	v_cvt_f32_f16_e32 v1, v1
	s_wait_loadcnt_dscnt 0x0
	v_pk_mul_f32 v[8:9], v[54:55], v[8:9] op_sel_hi:[0,1]
	v_cvt_f32_f16_e32 v17, v18
	v_cvt_f32_f16_e32 v16, v22
	;; [unrolled: 1-line block ×3, first 2 shown]
	v_pk_mul_f32 v[0:1], v[54:55], v[0:1] op_sel_hi:[0,1]
	v_cvt_f32_f16_e32 v19, v19
	v_cvt_pk_f16_f32 v6, v8, v9
	v_pk_mul_f32 v[16:17], v[54:55], v[16:17] op_sel_hi:[0,1]
	v_add_nc_u32_e32 v84, v82, v108
	v_cvt_pk_f16_f32 v0, v0, v1
	v_pk_mul_f32 v[18:19], v[54:55], v[18:19] op_sel_hi:[0,1]
	v_and_b32_e32 v9, 0xffff0000, v6
	v_cvt_pk_f16_f32 v8, v16, v17
	s_delay_alu instid0(VALU_DEP_4)
	v_dual_lshlrev_b32 v64, 16, v6 :: v_dual_lshrrev_b32 v67, 16, v0
	v_and_b32_e32 v68, 0xffff, v0
	scratch_load_b32 v0, off, s32 offset:200 ; 4-byte Folded Reload
	v_cvt_pk_f16_f32 v6, v18, v19
	v_and_b32_e32 v1, 0xffff0000, v8
	v_or_b32_e32 v98, 1, v84
	v_or_b32_e32 v54, v64, v68
	;; [unrolled: 1-line block ×3, first 2 shown]
	v_and_b32_e32 v66, 0xffff, v6
	v_or_b32_e32 v96, 4, v84
	v_or_b32_e32 v87, 6, v84
	;; [unrolled: 1-line block ×3, first 2 shown]
	v_dual_lshrrev_b32 v65, 16, v6 :: v_dual_bitop2_b32 v85, 7, v84 bitop3:0x54
	s_delay_alu instid0(VALU_DEP_1) | instskip(SKIP_3) | instid1(VALU_DEP_2)
	v_dual_add_nc_u32 v99, 2, v84 :: v_dual_bitop2_b32 v19, v1, v65 bitop3:0x54
	s_wait_loadcnt 0x0
	v_add_nc_u32_e32 v16, -1, v0
	v_dual_lshlrev_b32 v0, 16, v8 :: v_dual_bitop2_b32 v55, v9, v67 bitop3:0x54
	v_cmp_eq_u32_e32 vcc_lo, v16, v81
	s_delay_alu instid0(VALU_DEP_2)
	v_or_b32_e32 v6, v0, v66
	s_and_saveexec_b32 s14, vcc_lo
	s_cbranch_execz .LBB285_1648
; %bb.1647:                             ;   in Loop: Header=BB285_1581 Depth=1
	v_cmp_lt_i32_e64 s0, v84, v13
	s_delay_alu instid0(VALU_DEP_1) | instskip(SKIP_1) | instid1(VALU_DEP_1)
	v_cndmask_b32_e64 v6, 0, v67, s0
	v_cmp_lt_i32_e64 s0, v99, v12
	v_cndmask_b32_e64 v8, 0, v68, s0
	v_cmp_lt_i32_e64 s0, v98, v13
	s_delay_alu instid0(VALU_DEP_1) | instskip(SKIP_1) | instid1(VALU_DEP_1)
	v_cndmask_b32_e64 v9, 0, v9, s0
	v_cmp_lt_i32_e64 s0, v97, v12
	v_cndmask_b32_e64 v16, 0, v64, s0
	v_cmp_lt_i32_e64 s0, v96, v13
	s_delay_alu instid0(VALU_DEP_4) | instskip(NEXT) | instid1(VALU_DEP_2)
	v_or_b32_e32 v55, v6, v9
	v_dual_cndmask_b32 v17, 0, v65, s0 :: v_dual_bitop2_b32 v54, v8, v16 bitop3:0x54
	v_cmp_lt_i32_e64 s0, v87, v12
	s_delay_alu instid0(VALU_DEP_1) | instskip(SKIP_1) | instid1(VALU_DEP_1)
	v_cndmask_b32_e64 v18, 0, v66, s0
	v_cmp_lt_i32_e64 s0, v86, v13
	v_cndmask_b32_e64 v1, 0, v1, s0
	v_cmp_lt_i32_e64 s0, v85, v12
	s_delay_alu instid0(VALU_DEP_1) | instskip(NEXT) | instid1(VALU_DEP_1)
	v_dual_cndmask_b32 v0, 0, v0, s0 :: v_dual_bitop2_b32 v19, v17, v1 bitop3:0x54
	v_or_b32_e32 v6, v18, v0
.LBB285_1648:                           ;   in Loop: Header=BB285_1581 Depth=1
	s_or_b32 exec_lo, exec_lo, s14
	v_and_b32_e32 v0, 0xffff, v102
	v_and_b32_e32 v1, 0xffff, v112
	v_and_b32_e32 v8, 0xffff, v114
	v_and_b32_e32 v9, 0xffff, v115
	s_mov_b32 s14, exec_lo
	v_lshl_or_b32 v112, v100, 16, v0
	;;#ASMSTART
	v_pk_mul_f16 v0, v112, v55;

	;;#ASMEND
	v_lshl_or_b32 v102, v101, 16, v1
	v_lshl_or_b32 v101, v103, 16, v8
	;; [unrolled: 1-line block ×3, first 2 shown]
	;;#ASMSTART
	v_pk_mul_f16 v1, v102, v54;

	;;#ASMEND
	;;#ASMSTART
	v_pk_mul_f16 v8, v101, v19;

	;;#ASMEND
	;; [unrolled: 4-line block ×3, first 2 shown]
	;;#ASMSTART
	v_pk_add_f16 v0, v0, v1;

	;;#ASMEND
	;;#ASMSTART
	v_pk_add_f16 v0, v0, v8;

	;;#ASMEND
	;; [unrolled: 4-line block ×3, first 2 shown]
	v_and_b32_e32 v1, 0xffff, v0
	v_lshrrev_b32_e32 v0, 16, v0
	;;#ASMSTART
	v_cvt_f32_f16 v103, v1;
	;;#ASMEND
	;;#ASMSTART
	v_cvt_f32_f16 v113, v0;
	;;#ASMEND
	flat_load_b64 v[64:65], v[28:29] offset:256
	scratch_load_b64 v[0:1], off, s32 offset:192 ; 8-byte Folded Reload
	v_mov_b32_e32 v8, 0
	s_wait_loadcnt 0x0
	flat_load_b32 v54, v[0:1]
	s_wait_dscnt 0x1
	s_wait_xcnt 0x0
	v_and_b32_e32 v0, 0xff, v64
	v_mov_b32_e32 v1, 0
	s_delay_alu instid0(VALU_DEP_2)
	v_cmpx_ne_u16_e32 0, v0
	s_cbranch_execz .LBB285_1656
; %bb.1649:                             ;   in Loop: Header=BB285_1581 Depth=1
	v_mov_b32_e32 v8, 0x8000
	s_mov_b32 s15, exec_lo
	v_cmpx_ne_u16_e32 0x80, v0
	s_cbranch_execz .LBB285_1655
; %bb.1650:                             ;   in Loop: Header=BB285_1581 Depth=1
	v_and_b32_e32 v9, 0x7f, v64
	v_mov_b32_e32 v8, 0x7c01
	s_mov_b32 s16, exec_lo
	s_delay_alu instid0(VALU_DEP_2)
	v_cmpx_ne_u32_e32 0x7f, v9
	s_cbranch_execz .LBB285_1654
; %bb.1651:                             ;   in Loop: Header=BB285_1581 Depth=1
	v_dual_lshrrev_b32 v6, 3, v9 :: v_dual_bitop2_b32 v0, 7, v64 bitop3:0x40
	s_mov_b32 s17, exec_lo
	v_cmpx_gt_u32_e32 8, v9
; %bb.1652:                             ;   in Loop: Header=BB285_1581 Depth=1
	s_delay_alu instid0(VALU_DEP_2) | instskip(NEXT) | instid1(VALU_DEP_1)
	v_clz_i32_u32_e32 v0, v0
	v_min_u32_e32 v0, 32, v0
	s_delay_alu instid0(VALU_DEP_1) | instskip(NEXT) | instid1(VALU_DEP_1)
	v_subrev_nc_u32_e32 v6, 28, v0
	v_lshlrev_b64_e32 v[8:9], v6, v[64:65]
	v_sub_nc_u32_e32 v6, 29, v0
	s_delay_alu instid0(VALU_DEP_2)
	v_and_b32_e32 v0, 7, v8
; %bb.1653:                             ;   in Loop: Header=BB285_1581 Depth=1
	s_or_b32 exec_lo, exec_lo, s17
	v_lshlrev_b32_e32 v8, 8, v64
	s_delay_alu instid0(VALU_DEP_3) | instskip(NEXT) | instid1(VALU_DEP_3)
	v_lshl_add_u32 v6, v6, 10, 0x2000
	v_lshlrev_b32_e32 v0, 7, v0
	s_delay_alu instid0(VALU_DEP_3) | instskip(NEXT) | instid1(VALU_DEP_3)
	v_and_b32_e32 v8, 0x8000, v8
	v_and_b32_e32 v6, 0xfc00, v6
	s_delay_alu instid0(VALU_DEP_1)
	v_or3_b32 v8, v8, v6, v0
.LBB285_1654:                           ;   in Loop: Header=BB285_1581 Depth=1
	s_or_b32 exec_lo, exec_lo, s16
.LBB285_1655:                           ;   in Loop: Header=BB285_1581 Depth=1
	s_delay_alu instid0(SALU_CYCLE_1)
	s_or_b32 exec_lo, exec_lo, s15
.LBB285_1656:                           ;   in Loop: Header=BB285_1581 Depth=1
	s_delay_alu instid0(SALU_CYCLE_1) | instskip(SKIP_2) | instid1(VALU_DEP_1)
	s_or_b32 exec_lo, exec_lo, s14
	v_lshrrev_b16 v6, 8, v64
	s_mov_b32 s14, exec_lo
	v_cmpx_ne_u16_e32 0, v6
	s_cbranch_execz .LBB285_1664
; %bb.1657:                             ;   in Loop: Header=BB285_1581 Depth=1
	v_bfrev_b32_e32 v1, 1
	s_mov_b32 s15, exec_lo
	v_cmpx_ne_u16_e32 0x80, v6
	s_cbranch_execz .LBB285_1663
; %bb.1658:                             ;   in Loop: Header=BB285_1581 Depth=1
	v_and_b32_e32 v0, 0xffff, v6
	v_mov_b32_e32 v1, 0x7c010000
	s_mov_b32 s16, exec_lo
	s_delay_alu instid0(VALU_DEP_2) | instskip(NEXT) | instid1(VALU_DEP_1)
	v_and_b32_e32 v16, 0x7f, v0
	v_cmpx_ne_u32_e32 0x7f, v16
	s_cbranch_execz .LBB285_1662
; %bb.1659:                             ;   in Loop: Header=BB285_1581 Depth=1
	v_and_b32_e32 v1, 7, v0
	v_lshrrev_b32_e32 v9, 3, v16
	s_mov_b32 s17, exec_lo
	v_cmpx_gt_u32_e32 8, v16
; %bb.1660:                             ;   in Loop: Header=BB285_1581 Depth=1
	s_delay_alu instid0(VALU_DEP_3) | instskip(NEXT) | instid1(VALU_DEP_1)
	v_clz_i32_u32_e32 v1, v1
	v_min_u32_e32 v1, 32, v1
	s_delay_alu instid0(VALU_DEP_1) | instskip(NEXT) | instid1(VALU_DEP_1)
	v_subrev_nc_u32_e32 v9, 28, v1
	v_lshlrev_b64_e32 v[16:17], v9, v[6:7]
	s_delay_alu instid0(VALU_DEP_1)
	v_dual_sub_nc_u32 v9, 29, v1 :: v_dual_bitop2_b32 v1, 7, v16 bitop3:0x40
; %bb.1661:                             ;   in Loop: Header=BB285_1581 Depth=1
	s_or_b32 exec_lo, exec_lo, s17
	s_delay_alu instid0(VALU_DEP_1) | instskip(NEXT) | instid1(VALU_DEP_2)
	v_dual_lshlrev_b32 v0, 8, v0 :: v_dual_lshlrev_b32 v1, 23, v1
	v_lshl_add_u32 v6, v9, 10, 0x2000
	s_delay_alu instid0(VALU_DEP_1) | instskip(NEXT) | instid1(VALU_DEP_1)
	v_and_or_b32 v0, 0x8000, v0, v6
	v_lshl_or_b32 v1, v0, 16, v1
.LBB285_1662:                           ;   in Loop: Header=BB285_1581 Depth=1
	s_or_b32 exec_lo, exec_lo, s16
.LBB285_1663:                           ;   in Loop: Header=BB285_1581 Depth=1
	s_delay_alu instid0(SALU_CYCLE_1)
	s_or_b32 exec_lo, exec_lo, s15
.LBB285_1664:                           ;   in Loop: Header=BB285_1581 Depth=1
	s_delay_alu instid0(SALU_CYCLE_1) | instskip(SKIP_3) | instid1(VALU_DEP_2)
	s_or_b32 exec_lo, exec_lo, s14
	v_dual_mov_b32 v9, 0 :: v_dual_lshrrev_b32 v0, 16, v64
	v_mov_b32_e32 v16, 0
	s_mov_b32 s14, exec_lo
	v_and_b32_e32 v6, 0xff, v0
	s_delay_alu instid0(VALU_DEP_1)
	v_cmpx_ne_u16_e32 0, v6
	s_cbranch_execz .LBB285_1672
; %bb.1665:                             ;   in Loop: Header=BB285_1581 Depth=1
	v_mov_b32_e32 v16, 0x8000
	s_mov_b32 s15, exec_lo
	v_cmpx_ne_u16_e32 0x80, v6
	s_cbranch_execz .LBB285_1671
; %bb.1666:                             ;   in Loop: Header=BB285_1581 Depth=1
	v_bfe_u32 v17, v64, 16, 7
	v_mov_b32_e32 v16, 0x7c01
	s_mov_b32 s16, exec_lo
	s_delay_alu instid0(VALU_DEP_2)
	v_cmpx_ne_u32_e32 0x7f, v17
	s_cbranch_execz .LBB285_1670
; %bb.1667:                             ;   in Loop: Header=BB285_1581 Depth=1
	v_dual_lshrrev_b32 v16, 3, v17 :: v_dual_bitop2_b32 v6, 7, v0 bitop3:0x40
	s_mov_b32 s17, exec_lo
	v_cmpx_gt_u32_e32 8, v17
; %bb.1668:                             ;   in Loop: Header=BB285_1581 Depth=1
	s_delay_alu instid0(VALU_DEP_2) | instskip(NEXT) | instid1(VALU_DEP_1)
	v_clz_i32_u32_e32 v6, v6
	v_min_u32_e32 v6, 32, v6
	s_delay_alu instid0(VALU_DEP_1) | instskip(NEXT) | instid1(VALU_DEP_1)
	v_subrev_nc_u32_e32 v16, 28, v6
	v_lshlrev_b64_e32 v[18:19], v16, v[0:1]
	v_sub_nc_u32_e32 v16, 29, v6
	s_delay_alu instid0(VALU_DEP_2)
	v_and_b32_e32 v6, 7, v18
; %bb.1669:                             ;   in Loop: Header=BB285_1581 Depth=1
	s_or_b32 exec_lo, exec_lo, s17
	s_delay_alu instid0(VALU_DEP_1) | instskip(NEXT) | instid1(VALU_DEP_3)
	v_dual_lshlrev_b32 v0, 8, v0 :: v_dual_lshlrev_b32 v6, 7, v6
	v_lshl_add_u32 v16, v16, 10, 0x2000
	s_delay_alu instid0(VALU_DEP_2) | instskip(NEXT) | instid1(VALU_DEP_2)
	v_and_b32_e32 v0, 0x8000, v0
	v_and_b32_e32 v16, 0xfc00, v16
	s_delay_alu instid0(VALU_DEP_1)
	v_or3_b32 v16, v0, v16, v6
.LBB285_1670:                           ;   in Loop: Header=BB285_1581 Depth=1
	s_or_b32 exec_lo, exec_lo, s16
.LBB285_1671:                           ;   in Loop: Header=BB285_1581 Depth=1
	s_delay_alu instid0(SALU_CYCLE_1)
	s_or_b32 exec_lo, exec_lo, s15
.LBB285_1672:                           ;   in Loop: Header=BB285_1581 Depth=1
	s_delay_alu instid0(SALU_CYCLE_1) | instskip(NEXT) | instid1(SALU_CYCLE_1)
	s_or_b32 exec_lo, exec_lo, s14
	s_mov_b32 s14, exec_lo
	v_cmpx_lt_u32_e32 0xffffff, v64
	s_cbranch_execz .LBB285_1680
; %bb.1673:                             ;   in Loop: Header=BB285_1581 Depth=1
	v_lshrrev_b32_e32 v6, 24, v64
	v_bfrev_b32_e32 v9, 1
	s_mov_b32 s15, exec_lo
	s_delay_alu instid0(VALU_DEP_2)
	v_cmpx_ne_u32_e32 0x80, v6
	s_cbranch_execz .LBB285_1679
; %bb.1674:                             ;   in Loop: Header=BB285_1581 Depth=1
	v_and_b32_e32 v17, 0x7f, v6
	v_mov_b32_e32 v9, 0x7c010000
	s_mov_b32 s16, exec_lo
	s_delay_alu instid0(VALU_DEP_2)
	v_cmpx_ne_u32_e32 0x7f, v17
	s_cbranch_execz .LBB285_1678
; %bb.1675:                             ;   in Loop: Header=BB285_1581 Depth=1
	v_dual_lshrrev_b32 v9, 3, v17 :: v_dual_bitop2_b32 v0, 7, v6 bitop3:0x40
	s_mov_b32 s17, exec_lo
	v_cmpx_gt_u32_e32 8, v17
; %bb.1676:                             ;   in Loop: Header=BB285_1581 Depth=1
	s_delay_alu instid0(VALU_DEP_2) | instskip(NEXT) | instid1(VALU_DEP_1)
	v_clz_i32_u32_e32 v0, v0
	v_min_u32_e32 v0, 32, v0
	s_delay_alu instid0(VALU_DEP_1) | instskip(NEXT) | instid1(VALU_DEP_1)
	v_subrev_nc_u32_e32 v9, 28, v0
	v_lshlrev_b64_e32 v[18:19], v9, v[6:7]
	s_delay_alu instid0(VALU_DEP_1)
	v_dual_sub_nc_u32 v9, 29, v0 :: v_dual_bitop2_b32 v0, 7, v18 bitop3:0x40
; %bb.1677:                             ;   in Loop: Header=BB285_1581 Depth=1
	s_or_b32 exec_lo, exec_lo, s17
	s_delay_alu instid0(VALU_DEP_1) | instskip(NEXT) | instid1(VALU_DEP_2)
	v_dual_lshlrev_b32 v6, 8, v6 :: v_dual_lshlrev_b32 v0, 23, v0
	v_lshl_add_u32 v9, v9, 10, 0x2000
	s_delay_alu instid0(VALU_DEP_1) | instskip(NEXT) | instid1(VALU_DEP_1)
	v_and_or_b32 v6, 0x8000, v6, v9
	v_lshl_or_b32 v9, v6, 16, v0
.LBB285_1678:                           ;   in Loop: Header=BB285_1581 Depth=1
	s_or_b32 exec_lo, exec_lo, s16
.LBB285_1679:                           ;   in Loop: Header=BB285_1581 Depth=1
	s_delay_alu instid0(SALU_CYCLE_1)
	s_or_b32 exec_lo, exec_lo, s15
.LBB285_1680:                           ;   in Loop: Header=BB285_1581 Depth=1
	s_delay_alu instid0(SALU_CYCLE_1) | instskip(SKIP_4) | instid1(VALU_DEP_3)
	s_or_b32 exec_lo, exec_lo, s14
	v_and_b32_e32 v0, 0xff, v65
	v_dual_mov_b32 v6, v65 :: v_dual_mov_b32 v18, 0
	v_mov_b32_e32 v17, 0
	s_mov_b32 s14, exec_lo
	v_cmpx_ne_u16_e32 0, v0
	s_cbranch_execz .LBB285_1688
; %bb.1681:                             ;   in Loop: Header=BB285_1581 Depth=1
	v_mov_b32_e32 v17, 0x8000
	s_mov_b32 s15, exec_lo
	v_cmpx_ne_u16_e32 0x80, v0
	s_cbranch_execz .LBB285_1687
; %bb.1682:                             ;   in Loop: Header=BB285_1581 Depth=1
	v_and_b32_e32 v19, 0x7f, v65
	v_mov_b32_e32 v17, 0x7c01
	s_mov_b32 s16, exec_lo
	s_delay_alu instid0(VALU_DEP_2)
	v_cmpx_ne_u32_e32 0x7f, v19
	s_cbranch_execz .LBB285_1686
; %bb.1683:                             ;   in Loop: Header=BB285_1581 Depth=1
	v_dual_lshrrev_b32 v17, 3, v19 :: v_dual_bitop2_b32 v0, 7, v65 bitop3:0x40
	s_mov_b32 s17, exec_lo
	v_cmpx_gt_u32_e32 8, v19
; %bb.1684:                             ;   in Loop: Header=BB285_1581 Depth=1
	s_delay_alu instid0(VALU_DEP_2) | instskip(NEXT) | instid1(VALU_DEP_1)
	v_clz_i32_u32_e32 v0, v0
	v_min_u32_e32 v0, 32, v0
	s_delay_alu instid0(VALU_DEP_1) | instskip(NEXT) | instid1(VALU_DEP_1)
	v_subrev_nc_u32_e32 v17, 28, v0
	v_lshlrev_b64_e32 v[22:23], v17, v[6:7]
	s_delay_alu instid0(VALU_DEP_1)
	v_dual_sub_nc_u32 v17, 29, v0 :: v_dual_bitop2_b32 v0, 7, v22 bitop3:0x40
; %bb.1685:                             ;   in Loop: Header=BB285_1581 Depth=1
	s_or_b32 exec_lo, exec_lo, s17
	s_delay_alu instid0(VALU_DEP_1) | instskip(NEXT) | instid1(VALU_DEP_2)
	v_dual_lshlrev_b32 v19, 8, v65 :: v_dual_lshlrev_b32 v0, 7, v0
	v_lshl_add_u32 v17, v17, 10, 0x2000
	s_delay_alu instid0(VALU_DEP_2) | instskip(NEXT) | instid1(VALU_DEP_2)
	v_and_b32_e32 v19, 0x8000, v19
	v_and_b32_e32 v17, 0xfc00, v17
	s_delay_alu instid0(VALU_DEP_1)
	v_or3_b32 v17, v19, v17, v0
.LBB285_1686:                           ;   in Loop: Header=BB285_1581 Depth=1
	s_or_b32 exec_lo, exec_lo, s16
.LBB285_1687:                           ;   in Loop: Header=BB285_1581 Depth=1
	s_delay_alu instid0(SALU_CYCLE_1)
	s_or_b32 exec_lo, exec_lo, s15
.LBB285_1688:                           ;   in Loop: Header=BB285_1581 Depth=1
	s_delay_alu instid0(SALU_CYCLE_1) | instskip(SKIP_3) | instid1(VALU_DEP_2)
	s_or_b32 exec_lo, exec_lo, s14
	v_lshrrev_b16 v6, 8, v6
	v_mov_b32_e32 v19, 0
	s_mov_b32 s14, exec_lo
	v_cmpx_ne_u16_e32 0, v6
	s_cbranch_execz .LBB285_1696
; %bb.1689:                             ;   in Loop: Header=BB285_1581 Depth=1
	v_bfrev_b32_e32 v19, 1
	s_mov_b32 s15, exec_lo
	v_cmpx_ne_u16_e32 0x80, v6
	s_cbranch_execz .LBB285_1695
; %bb.1690:                             ;   in Loop: Header=BB285_1581 Depth=1
	v_and_b32_e32 v0, 0xffff, v6
	v_mov_b32_e32 v19, 0x7c010000
	s_mov_b32 s16, exec_lo
	s_delay_alu instid0(VALU_DEP_2) | instskip(NEXT) | instid1(VALU_DEP_1)
	v_and_b32_e32 v23, 0x7f, v0
	v_cmpx_ne_u32_e32 0x7f, v23
	s_cbranch_execz .LBB285_1694
; %bb.1691:                             ;   in Loop: Header=BB285_1581 Depth=1
	v_dual_lshrrev_b32 v22, 3, v23 :: v_dual_bitop2_b32 v19, 7, v0 bitop3:0x40
	s_mov_b32 s17, exec_lo
	v_cmpx_gt_u32_e32 8, v23
; %bb.1692:                             ;   in Loop: Header=BB285_1581 Depth=1
	s_delay_alu instid0(VALU_DEP_2) | instskip(NEXT) | instid1(VALU_DEP_1)
	v_clz_i32_u32_e32 v19, v19
	v_min_u32_e32 v19, 32, v19
	s_delay_alu instid0(VALU_DEP_1) | instskip(NEXT) | instid1(VALU_DEP_1)
	v_subrev_nc_u32_e32 v22, 28, v19
	v_lshlrev_b64_e32 v[66:67], v22, v[6:7]
	s_delay_alu instid0(VALU_DEP_1)
	v_dual_sub_nc_u32 v22, 29, v19 :: v_dual_bitop2_b32 v19, 7, v66 bitop3:0x40
; %bb.1693:                             ;   in Loop: Header=BB285_1581 Depth=1
	s_or_b32 exec_lo, exec_lo, s17
	v_lshlrev_b32_e32 v0, 8, v0
	s_delay_alu instid0(VALU_DEP_2) | instskip(NEXT) | instid1(VALU_DEP_1)
	v_lshl_add_u32 v6, v22, 10, 0x2000
	v_and_or_b32 v0, 0x8000, v0, v6
	v_lshlrev_b32_e32 v6, 23, v19
	s_delay_alu instid0(VALU_DEP_1)
	v_lshl_or_b32 v19, v0, 16, v6
.LBB285_1694:                           ;   in Loop: Header=BB285_1581 Depth=1
	s_or_b32 exec_lo, exec_lo, s16
.LBB285_1695:                           ;   in Loop: Header=BB285_1581 Depth=1
	s_delay_alu instid0(SALU_CYCLE_1)
	s_or_b32 exec_lo, exec_lo, s15
.LBB285_1696:                           ;   in Loop: Header=BB285_1581 Depth=1
	s_delay_alu instid0(SALU_CYCLE_1) | instskip(SKIP_2) | instid1(VALU_DEP_1)
	s_or_b32 exec_lo, exec_lo, s14
	v_lshrrev_b32_e32 v0, 16, v65
	s_mov_b32 s14, exec_lo
	v_and_b32_e32 v6, 0xff, v0
	s_delay_alu instid0(VALU_DEP_1)
	v_cmpx_ne_u16_e32 0, v6
	s_cbranch_execz .LBB285_1704
; %bb.1697:                             ;   in Loop: Header=BB285_1581 Depth=1
	v_mov_b32_e32 v18, 0x8000
	s_mov_b32 s15, exec_lo
	v_cmpx_ne_u16_e32 0x80, v6
	s_cbranch_execz .LBB285_1703
; %bb.1698:                             ;   in Loop: Header=BB285_1581 Depth=1
	v_bfe_u32 v22, v65, 16, 7
	v_mov_b32_e32 v18, 0x7c01
	s_mov_b32 s16, exec_lo
	s_delay_alu instid0(VALU_DEP_2)
	v_cmpx_ne_u32_e32 0x7f, v22
	s_cbranch_execz .LBB285_1702
; %bb.1699:                             ;   in Loop: Header=BB285_1581 Depth=1
	v_dual_lshrrev_b32 v18, 3, v22 :: v_dual_bitop2_b32 v6, 7, v0 bitop3:0x40
	s_mov_b32 s17, exec_lo
	v_cmpx_gt_u32_e32 8, v22
; %bb.1700:                             ;   in Loop: Header=BB285_1581 Depth=1
	s_delay_alu instid0(VALU_DEP_2) | instskip(NEXT) | instid1(VALU_DEP_1)
	v_clz_i32_u32_e32 v6, v6
	v_min_u32_e32 v6, 32, v6
	s_delay_alu instid0(VALU_DEP_1) | instskip(NEXT) | instid1(VALU_DEP_1)
	v_subrev_nc_u32_e32 v18, 28, v6
	v_lshlrev_b64_e32 v[22:23], v18, v[0:1]
	v_sub_nc_u32_e32 v18, 29, v6
	s_delay_alu instid0(VALU_DEP_2)
	v_and_b32_e32 v6, 7, v22
; %bb.1701:                             ;   in Loop: Header=BB285_1581 Depth=1
	s_or_b32 exec_lo, exec_lo, s17
	s_delay_alu instid0(VALU_DEP_1) | instskip(NEXT) | instid1(VALU_DEP_3)
	v_dual_lshlrev_b32 v0, 8, v0 :: v_dual_lshlrev_b32 v6, 7, v6
	v_lshl_add_u32 v18, v18, 10, 0x2000
	s_delay_alu instid0(VALU_DEP_2) | instskip(NEXT) | instid1(VALU_DEP_2)
	v_and_b32_e32 v0, 0x8000, v0
	v_and_b32_e32 v18, 0xfc00, v18
	s_delay_alu instid0(VALU_DEP_1)
	v_or3_b32 v18, v0, v18, v6
.LBB285_1702:                           ;   in Loop: Header=BB285_1581 Depth=1
	s_or_b32 exec_lo, exec_lo, s16
.LBB285_1703:                           ;   in Loop: Header=BB285_1581 Depth=1
	s_delay_alu instid0(SALU_CYCLE_1)
	s_or_b32 exec_lo, exec_lo, s15
.LBB285_1704:                           ;   in Loop: Header=BB285_1581 Depth=1
	s_delay_alu instid0(SALU_CYCLE_1)
	s_or_b32 exec_lo, exec_lo, s14
	v_mov_b32_e32 v0, 0
	s_mov_b32 s14, exec_lo
	v_cmpx_lt_u64_e64 s[2:3], v[64:65]
	s_cbranch_execz .LBB285_1712
; %bb.1705:                             ;   in Loop: Header=BB285_1581 Depth=1
	v_lshrrev_b32_e32 v6, 24, v65
	v_bfrev_b32_e32 v0, 1
	s_mov_b32 s15, exec_lo
	s_delay_alu instid0(VALU_DEP_2)
	v_cmpx_ne_u32_e32 0x80, v6
	s_cbranch_execz .LBB285_1711
; %bb.1706:                             ;   in Loop: Header=BB285_1581 Depth=1
	v_and_b32_e32 v23, 0x7f, v6
	v_mov_b32_e32 v0, 0x7c010000
	s_mov_b32 s16, exec_lo
	s_delay_alu instid0(VALU_DEP_2)
	v_cmpx_ne_u32_e32 0x7f, v23
	s_cbranch_execz .LBB285_1710
; %bb.1707:                             ;   in Loop: Header=BB285_1581 Depth=1
	v_dual_lshrrev_b32 v22, 3, v23 :: v_dual_bitop2_b32 v0, 7, v6 bitop3:0x40
	s_mov_b32 s17, exec_lo
	v_cmpx_gt_u32_e32 8, v23
; %bb.1708:                             ;   in Loop: Header=BB285_1581 Depth=1
	s_delay_alu instid0(VALU_DEP_2) | instskip(NEXT) | instid1(VALU_DEP_1)
	v_clz_i32_u32_e32 v0, v0
	v_min_u32_e32 v0, 32, v0
	s_delay_alu instid0(VALU_DEP_1) | instskip(NEXT) | instid1(VALU_DEP_1)
	v_subrev_nc_u32_e32 v22, 28, v0
	v_lshlrev_b64_e32 v[64:65], v22, v[6:7]
	v_sub_nc_u32_e32 v22, 29, v0
	s_delay_alu instid0(VALU_DEP_2)
	v_and_b32_e32 v0, 7, v64
; %bb.1709:                             ;   in Loop: Header=BB285_1581 Depth=1
	s_or_b32 exec_lo, exec_lo, s17
	s_delay_alu instid0(VALU_DEP_1) | instskip(NEXT) | instid1(VALU_DEP_3)
	v_dual_lshlrev_b32 v6, 8, v6 :: v_dual_lshlrev_b32 v0, 23, v0
	v_lshl_add_u32 v22, v22, 10, 0x2000
	s_delay_alu instid0(VALU_DEP_1) | instskip(NEXT) | instid1(VALU_DEP_1)
	v_and_or_b32 v6, 0x8000, v6, v22
	v_lshl_or_b32 v0, v6, 16, v0
.LBB285_1710:                           ;   in Loop: Header=BB285_1581 Depth=1
	s_or_b32 exec_lo, exec_lo, s16
.LBB285_1711:                           ;   in Loop: Header=BB285_1581 Depth=1
	s_delay_alu instid0(SALU_CYCLE_1)
	s_or_b32 exec_lo, exec_lo, s15
.LBB285_1712:                           ;   in Loop: Header=BB285_1581 Depth=1
	s_delay_alu instid0(SALU_CYCLE_1) | instskip(SKIP_2) | instid1(VALU_DEP_2)
	s_or_b32 exec_lo, exec_lo, s14
	v_dual_lshrrev_b32 v6, 16, v1 :: v_dual_bitop2_b32 v1, v1, v8 bitop3:0x54
	v_dual_lshrrev_b32 v22, 16, v9 :: v_dual_bitop2_b32 v16, v9, v16 bitop3:0x54
	v_cvt_f32_f16_e32 v9, v6
	v_dual_lshrrev_b32 v18, 16, v19 :: v_dual_bitop2_b32 v6, v0, v18 bitop3:0x54
	s_delay_alu instid0(VALU_DEP_3)
	v_cvt_f32_f16_e32 v8, v22
	v_dual_lshrrev_b32 v22, 16, v0 :: v_dual_bitop2_b32 v19, v19, v17 bitop3:0x54
	v_cvt_f32_f16_e32 v0, v16
	v_cvt_f32_f16_e32 v1, v1
	s_wait_loadcnt_dscnt 0x0
	v_pk_mul_f32 v[8:9], v[54:55], v[8:9] op_sel_hi:[0,1]
	v_cvt_f32_f16_e32 v17, v18
	v_cvt_f32_f16_e32 v16, v22
	;; [unrolled: 1-line block ×4, first 2 shown]
	v_pk_mul_f32 v[0:1], v[54:55], v[0:1] op_sel_hi:[0,1]
	v_cvt_pk_f16_f32 v6, v8, v9
	v_pk_mul_f32 v[8:9], v[54:55], v[16:17] op_sel_hi:[0,1]
	s_delay_alu instid0(VALU_DEP_4) | instskip(NEXT) | instid1(VALU_DEP_4)
	v_pk_mul_f32 v[16:17], v[54:55], v[18:19] op_sel_hi:[0,1]
	v_cvt_pk_f16_f32 v0, v0, v1
	s_delay_alu instid0(VALU_DEP_4) | instskip(NEXT) | instid1(VALU_DEP_4)
	v_and_b32_e32 v19, 0xffff0000, v6
	v_cvt_pk_f16_f32 v8, v8, v9
	v_lshlrev_b32_e32 v54, 16, v6
	v_cvt_pk_f16_f32 v6, v16, v17
	v_lshrrev_b32_e32 v67, 16, v0
	v_and_b32_e32 v68, 0xffff, v0
	v_and_b32_e32 v1, 0xffff0000, v8
	s_delay_alu instid0(VALU_DEP_4) | instskip(SKIP_3) | instid1(VALU_DEP_4)
	v_dual_lshlrev_b32 v0, 16, v8 :: v_dual_lshrrev_b32 v9, 16, v6
	v_and_b32_e32 v6, 0xffff, v6
	v_or_b32_e32 v65, v19, v67
	v_or_b32_e32 v66, v54, v68
	;; [unrolled: 1-line block ×3, first 2 shown]
	s_delay_alu instid0(VALU_DEP_4)
	v_or_b32_e32 v64, v0, v6
	s_and_saveexec_b32 s14, vcc_lo
	s_cbranch_execz .LBB285_1714
; %bb.1713:                             ;   in Loop: Header=BB285_1581 Depth=1
	v_cmp_lt_i32_e64 s0, v84, v13
	s_delay_alu instid0(VALU_DEP_1) | instskip(SKIP_1) | instid1(VALU_DEP_1)
	v_cndmask_b32_e64 v8, 0, v67, s0
	v_cmp_lt_i32_e64 s0, v99, v12
	v_cndmask_b32_e64 v16, 0, v68, s0
	v_cmp_lt_i32_e64 s0, v98, v13
	s_delay_alu instid0(VALU_DEP_1) | instskip(SKIP_1) | instid1(VALU_DEP_1)
	v_cndmask_b32_e64 v17, 0, v19, s0
	v_cmp_lt_i32_e64 s0, v97, v12
	v_cndmask_b32_e64 v18, 0, v54, s0
	v_cmp_lt_i32_e64 s0, v96, v13
	s_delay_alu instid0(VALU_DEP_4) | instskip(NEXT) | instid1(VALU_DEP_2)
	v_or_b32_e32 v65, v8, v17
	v_dual_cndmask_b32 v9, 0, v9, s0 :: v_dual_bitop2_b32 v66, v16, v18 bitop3:0x54
	v_cmp_lt_i32_e64 s0, v87, v12
	s_delay_alu instid0(VALU_DEP_1) | instskip(SKIP_1) | instid1(VALU_DEP_1)
	v_cndmask_b32_e64 v6, 0, v6, s0
	v_cmp_lt_i32_e64 s0, v86, v13
	v_cndmask_b32_e64 v1, 0, v1, s0
	v_cmp_lt_i32_e64 s0, v85, v12
	s_delay_alu instid0(VALU_DEP_1) | instskip(NEXT) | instid1(VALU_DEP_1)
	v_dual_cndmask_b32 v0, 0, v0, s0 :: v_dual_bitop2_b32 v55, v9, v1 bitop3:0x54
	v_or_b32_e32 v64, v6, v0
.LBB285_1714:                           ;   in Loop: Header=BB285_1581 Depth=1
	s_or_b32 exec_lo, exec_lo, s14
	;;#ASMSTART
	v_pk_mul_f16 v0, v112, v65;

	;;#ASMEND
	;;#ASMSTART
	v_pk_mul_f16 v1, v102, v66;

	;;#ASMEND
	;; [unrolled: 4-line block ×4, first 2 shown]
	;;#ASMSTART
	v_pk_add_f16 v0, v0, v1;

	;;#ASMEND
	;;#ASMSTART
	v_pk_add_f16 v0, v0, v6;

	;;#ASMEND
	;; [unrolled: 4-line block ×3, first 2 shown]
	v_and_b32_e32 v1, 0xffff, v0
	v_lshrrev_b32_e32 v0, 16, v0
	;;#ASMSTART
	v_cvt_f32_f16 v114, v1;
	;;#ASMEND
	;;#ASMSTART
	v_cvt_f32_f16 v115, v0;
	;;#ASMEND
	flat_load_b64 v[64:65], v[28:29] offset:512
	scratch_load_b64 v[0:1], off, s32 offset:192 ; 8-byte Folded Reload
	v_mov_b32_e32 v8, 0
	s_mov_b32 s14, exec_lo
	s_wait_loadcnt 0x0
	flat_load_b32 v54, v[0:1]
	s_wait_dscnt 0x1
	s_wait_xcnt 0x0
	v_and_b32_e32 v0, 0xff, v64
	v_mov_b32_e32 v1, 0
	s_delay_alu instid0(VALU_DEP_2)
	v_cmpx_ne_u16_e32 0, v0
	s_cbranch_execz .LBB285_1722
; %bb.1715:                             ;   in Loop: Header=BB285_1581 Depth=1
	v_mov_b32_e32 v8, 0x8000
	s_mov_b32 s15, exec_lo
	v_cmpx_ne_u16_e32 0x80, v0
	s_cbranch_execz .LBB285_1721
; %bb.1716:                             ;   in Loop: Header=BB285_1581 Depth=1
	v_and_b32_e32 v9, 0x7f, v64
	v_mov_b32_e32 v8, 0x7c01
	s_mov_b32 s16, exec_lo
	s_delay_alu instid0(VALU_DEP_2)
	v_cmpx_ne_u32_e32 0x7f, v9
	s_cbranch_execz .LBB285_1720
; %bb.1717:                             ;   in Loop: Header=BB285_1581 Depth=1
	v_dual_lshrrev_b32 v6, 3, v9 :: v_dual_bitop2_b32 v0, 7, v64 bitop3:0x40
	s_mov_b32 s17, exec_lo
	v_cmpx_gt_u32_e32 8, v9
; %bb.1718:                             ;   in Loop: Header=BB285_1581 Depth=1
	s_delay_alu instid0(VALU_DEP_2) | instskip(NEXT) | instid1(VALU_DEP_1)
	v_clz_i32_u32_e32 v0, v0
	v_min_u32_e32 v0, 32, v0
	s_delay_alu instid0(VALU_DEP_1) | instskip(NEXT) | instid1(VALU_DEP_1)
	v_subrev_nc_u32_e32 v6, 28, v0
	v_lshlrev_b64_e32 v[8:9], v6, v[64:65]
	v_sub_nc_u32_e32 v6, 29, v0
	s_delay_alu instid0(VALU_DEP_2)
	v_and_b32_e32 v0, 7, v8
; %bb.1719:                             ;   in Loop: Header=BB285_1581 Depth=1
	s_or_b32 exec_lo, exec_lo, s17
	v_lshlrev_b32_e32 v8, 8, v64
	s_delay_alu instid0(VALU_DEP_3) | instskip(NEXT) | instid1(VALU_DEP_3)
	v_lshl_add_u32 v6, v6, 10, 0x2000
	v_lshlrev_b32_e32 v0, 7, v0
	s_delay_alu instid0(VALU_DEP_3) | instskip(NEXT) | instid1(VALU_DEP_3)
	v_and_b32_e32 v8, 0x8000, v8
	v_and_b32_e32 v6, 0xfc00, v6
	s_delay_alu instid0(VALU_DEP_1)
	v_or3_b32 v8, v8, v6, v0
.LBB285_1720:                           ;   in Loop: Header=BB285_1581 Depth=1
	s_or_b32 exec_lo, exec_lo, s16
.LBB285_1721:                           ;   in Loop: Header=BB285_1581 Depth=1
	s_delay_alu instid0(SALU_CYCLE_1)
	s_or_b32 exec_lo, exec_lo, s15
.LBB285_1722:                           ;   in Loop: Header=BB285_1581 Depth=1
	s_delay_alu instid0(SALU_CYCLE_1) | instskip(SKIP_2) | instid1(VALU_DEP_1)
	s_or_b32 exec_lo, exec_lo, s14
	v_lshrrev_b16 v6, 8, v64
	s_mov_b32 s14, exec_lo
	v_cmpx_ne_u16_e32 0, v6
	s_cbranch_execz .LBB285_1730
; %bb.1723:                             ;   in Loop: Header=BB285_1581 Depth=1
	v_bfrev_b32_e32 v1, 1
	s_mov_b32 s15, exec_lo
	v_cmpx_ne_u16_e32 0x80, v6
	s_cbranch_execz .LBB285_1729
; %bb.1724:                             ;   in Loop: Header=BB285_1581 Depth=1
	v_and_b32_e32 v0, 0xffff, v6
	v_mov_b32_e32 v1, 0x7c010000
	s_mov_b32 s16, exec_lo
	s_delay_alu instid0(VALU_DEP_2) | instskip(NEXT) | instid1(VALU_DEP_1)
	v_and_b32_e32 v16, 0x7f, v0
	v_cmpx_ne_u32_e32 0x7f, v16
	s_cbranch_execz .LBB285_1728
; %bb.1725:                             ;   in Loop: Header=BB285_1581 Depth=1
	v_and_b32_e32 v1, 7, v0
	v_lshrrev_b32_e32 v9, 3, v16
	s_mov_b32 s17, exec_lo
	v_cmpx_gt_u32_e32 8, v16
; %bb.1726:                             ;   in Loop: Header=BB285_1581 Depth=1
	s_delay_alu instid0(VALU_DEP_3) | instskip(NEXT) | instid1(VALU_DEP_1)
	v_clz_i32_u32_e32 v1, v1
	v_min_u32_e32 v1, 32, v1
	s_delay_alu instid0(VALU_DEP_1) | instskip(NEXT) | instid1(VALU_DEP_1)
	v_subrev_nc_u32_e32 v9, 28, v1
	v_lshlrev_b64_e32 v[16:17], v9, v[6:7]
	s_delay_alu instid0(VALU_DEP_1)
	v_dual_sub_nc_u32 v9, 29, v1 :: v_dual_bitop2_b32 v1, 7, v16 bitop3:0x40
; %bb.1727:                             ;   in Loop: Header=BB285_1581 Depth=1
	s_or_b32 exec_lo, exec_lo, s17
	s_delay_alu instid0(VALU_DEP_1) | instskip(NEXT) | instid1(VALU_DEP_2)
	v_dual_lshlrev_b32 v0, 8, v0 :: v_dual_lshlrev_b32 v1, 23, v1
	v_lshl_add_u32 v6, v9, 10, 0x2000
	s_delay_alu instid0(VALU_DEP_1) | instskip(NEXT) | instid1(VALU_DEP_1)
	v_and_or_b32 v0, 0x8000, v0, v6
	v_lshl_or_b32 v1, v0, 16, v1
.LBB285_1728:                           ;   in Loop: Header=BB285_1581 Depth=1
	s_or_b32 exec_lo, exec_lo, s16
.LBB285_1729:                           ;   in Loop: Header=BB285_1581 Depth=1
	s_delay_alu instid0(SALU_CYCLE_1)
	s_or_b32 exec_lo, exec_lo, s15
.LBB285_1730:                           ;   in Loop: Header=BB285_1581 Depth=1
	s_delay_alu instid0(SALU_CYCLE_1) | instskip(SKIP_3) | instid1(VALU_DEP_2)
	s_or_b32 exec_lo, exec_lo, s14
	v_dual_mov_b32 v9, 0 :: v_dual_lshrrev_b32 v0, 16, v64
	v_mov_b32_e32 v16, 0
	s_mov_b32 s14, exec_lo
	v_and_b32_e32 v6, 0xff, v0
	s_delay_alu instid0(VALU_DEP_1)
	v_cmpx_ne_u16_e32 0, v6
	s_cbranch_execz .LBB285_1738
; %bb.1731:                             ;   in Loop: Header=BB285_1581 Depth=1
	v_mov_b32_e32 v16, 0x8000
	s_mov_b32 s15, exec_lo
	v_cmpx_ne_u16_e32 0x80, v6
	s_cbranch_execz .LBB285_1737
; %bb.1732:                             ;   in Loop: Header=BB285_1581 Depth=1
	v_bfe_u32 v17, v64, 16, 7
	v_mov_b32_e32 v16, 0x7c01
	s_mov_b32 s16, exec_lo
	s_delay_alu instid0(VALU_DEP_2)
	v_cmpx_ne_u32_e32 0x7f, v17
	s_cbranch_execz .LBB285_1736
; %bb.1733:                             ;   in Loop: Header=BB285_1581 Depth=1
	v_dual_lshrrev_b32 v16, 3, v17 :: v_dual_bitop2_b32 v6, 7, v0 bitop3:0x40
	s_mov_b32 s17, exec_lo
	v_cmpx_gt_u32_e32 8, v17
; %bb.1734:                             ;   in Loop: Header=BB285_1581 Depth=1
	s_delay_alu instid0(VALU_DEP_2) | instskip(NEXT) | instid1(VALU_DEP_1)
	v_clz_i32_u32_e32 v6, v6
	v_min_u32_e32 v6, 32, v6
	s_delay_alu instid0(VALU_DEP_1) | instskip(NEXT) | instid1(VALU_DEP_1)
	v_subrev_nc_u32_e32 v16, 28, v6
	v_lshlrev_b64_e32 v[18:19], v16, v[0:1]
	v_sub_nc_u32_e32 v16, 29, v6
	s_delay_alu instid0(VALU_DEP_2)
	v_and_b32_e32 v6, 7, v18
; %bb.1735:                             ;   in Loop: Header=BB285_1581 Depth=1
	s_or_b32 exec_lo, exec_lo, s17
	s_delay_alu instid0(VALU_DEP_1) | instskip(NEXT) | instid1(VALU_DEP_3)
	v_dual_lshlrev_b32 v0, 8, v0 :: v_dual_lshlrev_b32 v6, 7, v6
	v_lshl_add_u32 v16, v16, 10, 0x2000
	s_delay_alu instid0(VALU_DEP_2) | instskip(NEXT) | instid1(VALU_DEP_2)
	v_and_b32_e32 v0, 0x8000, v0
	v_and_b32_e32 v16, 0xfc00, v16
	s_delay_alu instid0(VALU_DEP_1)
	v_or3_b32 v16, v0, v16, v6
.LBB285_1736:                           ;   in Loop: Header=BB285_1581 Depth=1
	s_or_b32 exec_lo, exec_lo, s16
.LBB285_1737:                           ;   in Loop: Header=BB285_1581 Depth=1
	s_delay_alu instid0(SALU_CYCLE_1)
	s_or_b32 exec_lo, exec_lo, s15
.LBB285_1738:                           ;   in Loop: Header=BB285_1581 Depth=1
	s_delay_alu instid0(SALU_CYCLE_1) | instskip(NEXT) | instid1(SALU_CYCLE_1)
	s_or_b32 exec_lo, exec_lo, s14
	s_mov_b32 s14, exec_lo
	v_cmpx_lt_u32_e32 0xffffff, v64
	s_cbranch_execz .LBB285_1746
; %bb.1739:                             ;   in Loop: Header=BB285_1581 Depth=1
	v_lshrrev_b32_e32 v6, 24, v64
	v_bfrev_b32_e32 v9, 1
	s_mov_b32 s15, exec_lo
	s_delay_alu instid0(VALU_DEP_2)
	v_cmpx_ne_u32_e32 0x80, v6
	s_cbranch_execz .LBB285_1745
; %bb.1740:                             ;   in Loop: Header=BB285_1581 Depth=1
	v_and_b32_e32 v17, 0x7f, v6
	v_mov_b32_e32 v9, 0x7c010000
	s_mov_b32 s16, exec_lo
	s_delay_alu instid0(VALU_DEP_2)
	v_cmpx_ne_u32_e32 0x7f, v17
	s_cbranch_execz .LBB285_1744
; %bb.1741:                             ;   in Loop: Header=BB285_1581 Depth=1
	v_dual_lshrrev_b32 v9, 3, v17 :: v_dual_bitop2_b32 v0, 7, v6 bitop3:0x40
	s_mov_b32 s17, exec_lo
	v_cmpx_gt_u32_e32 8, v17
; %bb.1742:                             ;   in Loop: Header=BB285_1581 Depth=1
	s_delay_alu instid0(VALU_DEP_2) | instskip(NEXT) | instid1(VALU_DEP_1)
	v_clz_i32_u32_e32 v0, v0
	v_min_u32_e32 v0, 32, v0
	s_delay_alu instid0(VALU_DEP_1) | instskip(NEXT) | instid1(VALU_DEP_1)
	v_subrev_nc_u32_e32 v9, 28, v0
	v_lshlrev_b64_e32 v[18:19], v9, v[6:7]
	s_delay_alu instid0(VALU_DEP_1)
	v_dual_sub_nc_u32 v9, 29, v0 :: v_dual_bitop2_b32 v0, 7, v18 bitop3:0x40
; %bb.1743:                             ;   in Loop: Header=BB285_1581 Depth=1
	s_or_b32 exec_lo, exec_lo, s17
	s_delay_alu instid0(VALU_DEP_1) | instskip(NEXT) | instid1(VALU_DEP_2)
	v_dual_lshlrev_b32 v6, 8, v6 :: v_dual_lshlrev_b32 v0, 23, v0
	v_lshl_add_u32 v9, v9, 10, 0x2000
	s_delay_alu instid0(VALU_DEP_1) | instskip(NEXT) | instid1(VALU_DEP_1)
	v_and_or_b32 v6, 0x8000, v6, v9
	v_lshl_or_b32 v9, v6, 16, v0
.LBB285_1744:                           ;   in Loop: Header=BB285_1581 Depth=1
	s_or_b32 exec_lo, exec_lo, s16
.LBB285_1745:                           ;   in Loop: Header=BB285_1581 Depth=1
	s_delay_alu instid0(SALU_CYCLE_1)
	s_or_b32 exec_lo, exec_lo, s15
.LBB285_1746:                           ;   in Loop: Header=BB285_1581 Depth=1
	s_delay_alu instid0(SALU_CYCLE_1) | instskip(SKIP_4) | instid1(VALU_DEP_3)
	s_or_b32 exec_lo, exec_lo, s14
	v_and_b32_e32 v0, 0xff, v65
	v_dual_mov_b32 v6, v65 :: v_dual_mov_b32 v18, 0
	v_mov_b32_e32 v17, 0
	s_mov_b32 s14, exec_lo
	v_cmpx_ne_u16_e32 0, v0
	s_cbranch_execz .LBB285_1754
; %bb.1747:                             ;   in Loop: Header=BB285_1581 Depth=1
	v_mov_b32_e32 v17, 0x8000
	s_mov_b32 s15, exec_lo
	v_cmpx_ne_u16_e32 0x80, v0
	s_cbranch_execz .LBB285_1753
; %bb.1748:                             ;   in Loop: Header=BB285_1581 Depth=1
	v_and_b32_e32 v19, 0x7f, v65
	v_mov_b32_e32 v17, 0x7c01
	s_mov_b32 s16, exec_lo
	s_delay_alu instid0(VALU_DEP_2)
	v_cmpx_ne_u32_e32 0x7f, v19
	s_cbranch_execz .LBB285_1752
; %bb.1749:                             ;   in Loop: Header=BB285_1581 Depth=1
	v_dual_lshrrev_b32 v17, 3, v19 :: v_dual_bitop2_b32 v0, 7, v65 bitop3:0x40
	s_mov_b32 s17, exec_lo
	v_cmpx_gt_u32_e32 8, v19
; %bb.1750:                             ;   in Loop: Header=BB285_1581 Depth=1
	s_delay_alu instid0(VALU_DEP_2) | instskip(NEXT) | instid1(VALU_DEP_1)
	v_clz_i32_u32_e32 v0, v0
	v_min_u32_e32 v0, 32, v0
	s_delay_alu instid0(VALU_DEP_1) | instskip(NEXT) | instid1(VALU_DEP_1)
	v_subrev_nc_u32_e32 v17, 28, v0
	v_lshlrev_b64_e32 v[22:23], v17, v[6:7]
	s_delay_alu instid0(VALU_DEP_1)
	v_dual_sub_nc_u32 v17, 29, v0 :: v_dual_bitop2_b32 v0, 7, v22 bitop3:0x40
; %bb.1751:                             ;   in Loop: Header=BB285_1581 Depth=1
	s_or_b32 exec_lo, exec_lo, s17
	s_delay_alu instid0(VALU_DEP_1) | instskip(NEXT) | instid1(VALU_DEP_2)
	v_dual_lshlrev_b32 v19, 8, v65 :: v_dual_lshlrev_b32 v0, 7, v0
	v_lshl_add_u32 v17, v17, 10, 0x2000
	s_delay_alu instid0(VALU_DEP_2) | instskip(NEXT) | instid1(VALU_DEP_2)
	v_and_b32_e32 v19, 0x8000, v19
	v_and_b32_e32 v17, 0xfc00, v17
	s_delay_alu instid0(VALU_DEP_1)
	v_or3_b32 v17, v19, v17, v0
.LBB285_1752:                           ;   in Loop: Header=BB285_1581 Depth=1
	s_or_b32 exec_lo, exec_lo, s16
.LBB285_1753:                           ;   in Loop: Header=BB285_1581 Depth=1
	s_delay_alu instid0(SALU_CYCLE_1)
	s_or_b32 exec_lo, exec_lo, s15
.LBB285_1754:                           ;   in Loop: Header=BB285_1581 Depth=1
	s_delay_alu instid0(SALU_CYCLE_1) | instskip(SKIP_3) | instid1(VALU_DEP_2)
	s_or_b32 exec_lo, exec_lo, s14
	v_lshrrev_b16 v6, 8, v6
	v_mov_b32_e32 v19, 0
	s_mov_b32 s14, exec_lo
	v_cmpx_ne_u16_e32 0, v6
	s_cbranch_execz .LBB285_1762
; %bb.1755:                             ;   in Loop: Header=BB285_1581 Depth=1
	v_bfrev_b32_e32 v19, 1
	s_mov_b32 s15, exec_lo
	v_cmpx_ne_u16_e32 0x80, v6
	s_cbranch_execz .LBB285_1761
; %bb.1756:                             ;   in Loop: Header=BB285_1581 Depth=1
	v_and_b32_e32 v0, 0xffff, v6
	v_mov_b32_e32 v19, 0x7c010000
	s_mov_b32 s16, exec_lo
	s_delay_alu instid0(VALU_DEP_2) | instskip(NEXT) | instid1(VALU_DEP_1)
	v_and_b32_e32 v23, 0x7f, v0
	v_cmpx_ne_u32_e32 0x7f, v23
	s_cbranch_execz .LBB285_1760
; %bb.1757:                             ;   in Loop: Header=BB285_1581 Depth=1
	v_dual_lshrrev_b32 v22, 3, v23 :: v_dual_bitop2_b32 v19, 7, v0 bitop3:0x40
	s_mov_b32 s17, exec_lo
	v_cmpx_gt_u32_e32 8, v23
; %bb.1758:                             ;   in Loop: Header=BB285_1581 Depth=1
	s_delay_alu instid0(VALU_DEP_2) | instskip(NEXT) | instid1(VALU_DEP_1)
	v_clz_i32_u32_e32 v19, v19
	v_min_u32_e32 v19, 32, v19
	s_delay_alu instid0(VALU_DEP_1) | instskip(NEXT) | instid1(VALU_DEP_1)
	v_subrev_nc_u32_e32 v22, 28, v19
	v_lshlrev_b64_e32 v[66:67], v22, v[6:7]
	s_delay_alu instid0(VALU_DEP_1)
	v_dual_sub_nc_u32 v22, 29, v19 :: v_dual_bitop2_b32 v19, 7, v66 bitop3:0x40
; %bb.1759:                             ;   in Loop: Header=BB285_1581 Depth=1
	s_or_b32 exec_lo, exec_lo, s17
	v_lshlrev_b32_e32 v0, 8, v0
	s_delay_alu instid0(VALU_DEP_2) | instskip(NEXT) | instid1(VALU_DEP_1)
	v_lshl_add_u32 v6, v22, 10, 0x2000
	v_and_or_b32 v0, 0x8000, v0, v6
	v_lshlrev_b32_e32 v6, 23, v19
	s_delay_alu instid0(VALU_DEP_1)
	v_lshl_or_b32 v19, v0, 16, v6
.LBB285_1760:                           ;   in Loop: Header=BB285_1581 Depth=1
	s_or_b32 exec_lo, exec_lo, s16
.LBB285_1761:                           ;   in Loop: Header=BB285_1581 Depth=1
	s_delay_alu instid0(SALU_CYCLE_1)
	s_or_b32 exec_lo, exec_lo, s15
.LBB285_1762:                           ;   in Loop: Header=BB285_1581 Depth=1
	s_delay_alu instid0(SALU_CYCLE_1) | instskip(SKIP_2) | instid1(VALU_DEP_1)
	s_or_b32 exec_lo, exec_lo, s14
	v_lshrrev_b32_e32 v0, 16, v65
	s_mov_b32 s14, exec_lo
	v_and_b32_e32 v6, 0xff, v0
	s_delay_alu instid0(VALU_DEP_1)
	v_cmpx_ne_u16_e32 0, v6
	s_cbranch_execz .LBB285_1770
; %bb.1763:                             ;   in Loop: Header=BB285_1581 Depth=1
	v_mov_b32_e32 v18, 0x8000
	s_mov_b32 s15, exec_lo
	v_cmpx_ne_u16_e32 0x80, v6
	s_cbranch_execz .LBB285_1769
; %bb.1764:                             ;   in Loop: Header=BB285_1581 Depth=1
	v_bfe_u32 v22, v65, 16, 7
	v_mov_b32_e32 v18, 0x7c01
	s_mov_b32 s16, exec_lo
	s_delay_alu instid0(VALU_DEP_2)
	v_cmpx_ne_u32_e32 0x7f, v22
	s_cbranch_execz .LBB285_1768
; %bb.1765:                             ;   in Loop: Header=BB285_1581 Depth=1
	v_dual_lshrrev_b32 v18, 3, v22 :: v_dual_bitop2_b32 v6, 7, v0 bitop3:0x40
	s_mov_b32 s17, exec_lo
	v_cmpx_gt_u32_e32 8, v22
; %bb.1766:                             ;   in Loop: Header=BB285_1581 Depth=1
	s_delay_alu instid0(VALU_DEP_2) | instskip(NEXT) | instid1(VALU_DEP_1)
	v_clz_i32_u32_e32 v6, v6
	v_min_u32_e32 v6, 32, v6
	s_delay_alu instid0(VALU_DEP_1) | instskip(NEXT) | instid1(VALU_DEP_1)
	v_subrev_nc_u32_e32 v18, 28, v6
	v_lshlrev_b64_e32 v[22:23], v18, v[0:1]
	v_sub_nc_u32_e32 v18, 29, v6
	s_delay_alu instid0(VALU_DEP_2)
	v_and_b32_e32 v6, 7, v22
; %bb.1767:                             ;   in Loop: Header=BB285_1581 Depth=1
	s_or_b32 exec_lo, exec_lo, s17
	s_delay_alu instid0(VALU_DEP_1) | instskip(NEXT) | instid1(VALU_DEP_3)
	v_dual_lshlrev_b32 v0, 8, v0 :: v_dual_lshlrev_b32 v6, 7, v6
	v_lshl_add_u32 v18, v18, 10, 0x2000
	s_delay_alu instid0(VALU_DEP_2) | instskip(NEXT) | instid1(VALU_DEP_2)
	v_and_b32_e32 v0, 0x8000, v0
	v_and_b32_e32 v18, 0xfc00, v18
	s_delay_alu instid0(VALU_DEP_1)
	v_or3_b32 v18, v0, v18, v6
.LBB285_1768:                           ;   in Loop: Header=BB285_1581 Depth=1
	s_or_b32 exec_lo, exec_lo, s16
.LBB285_1769:                           ;   in Loop: Header=BB285_1581 Depth=1
	s_delay_alu instid0(SALU_CYCLE_1)
	s_or_b32 exec_lo, exec_lo, s15
.LBB285_1770:                           ;   in Loop: Header=BB285_1581 Depth=1
	s_delay_alu instid0(SALU_CYCLE_1)
	s_or_b32 exec_lo, exec_lo, s14
	v_mov_b32_e32 v0, 0
	s_mov_b32 s14, exec_lo
	v_cmpx_lt_u64_e64 s[2:3], v[64:65]
	s_cbranch_execz .LBB285_1778
; %bb.1771:                             ;   in Loop: Header=BB285_1581 Depth=1
	v_lshrrev_b32_e32 v6, 24, v65
	v_bfrev_b32_e32 v0, 1
	s_mov_b32 s15, exec_lo
	s_delay_alu instid0(VALU_DEP_2)
	v_cmpx_ne_u32_e32 0x80, v6
	s_cbranch_execz .LBB285_1777
; %bb.1772:                             ;   in Loop: Header=BB285_1581 Depth=1
	v_and_b32_e32 v23, 0x7f, v6
	v_mov_b32_e32 v0, 0x7c010000
	s_mov_b32 s16, exec_lo
	s_delay_alu instid0(VALU_DEP_2)
	v_cmpx_ne_u32_e32 0x7f, v23
	s_cbranch_execz .LBB285_1776
; %bb.1773:                             ;   in Loop: Header=BB285_1581 Depth=1
	v_dual_lshrrev_b32 v22, 3, v23 :: v_dual_bitop2_b32 v0, 7, v6 bitop3:0x40
	s_mov_b32 s17, exec_lo
	v_cmpx_gt_u32_e32 8, v23
; %bb.1774:                             ;   in Loop: Header=BB285_1581 Depth=1
	s_delay_alu instid0(VALU_DEP_2) | instskip(NEXT) | instid1(VALU_DEP_1)
	v_clz_i32_u32_e32 v0, v0
	v_min_u32_e32 v0, 32, v0
	s_delay_alu instid0(VALU_DEP_1) | instskip(NEXT) | instid1(VALU_DEP_1)
	v_subrev_nc_u32_e32 v22, 28, v0
	v_lshlrev_b64_e32 v[64:65], v22, v[6:7]
	v_sub_nc_u32_e32 v22, 29, v0
	s_delay_alu instid0(VALU_DEP_2)
	v_and_b32_e32 v0, 7, v64
; %bb.1775:                             ;   in Loop: Header=BB285_1581 Depth=1
	s_or_b32 exec_lo, exec_lo, s17
	s_delay_alu instid0(VALU_DEP_1) | instskip(NEXT) | instid1(VALU_DEP_3)
	v_dual_lshlrev_b32 v6, 8, v6 :: v_dual_lshlrev_b32 v0, 23, v0
	v_lshl_add_u32 v22, v22, 10, 0x2000
	s_delay_alu instid0(VALU_DEP_1) | instskip(NEXT) | instid1(VALU_DEP_1)
	v_and_or_b32 v6, 0x8000, v6, v22
	v_lshl_or_b32 v0, v6, 16, v0
.LBB285_1776:                           ;   in Loop: Header=BB285_1581 Depth=1
	s_or_b32 exec_lo, exec_lo, s16
.LBB285_1777:                           ;   in Loop: Header=BB285_1581 Depth=1
	s_delay_alu instid0(SALU_CYCLE_1)
	s_or_b32 exec_lo, exec_lo, s15
.LBB285_1778:                           ;   in Loop: Header=BB285_1581 Depth=1
	s_delay_alu instid0(SALU_CYCLE_1) | instskip(SKIP_2) | instid1(VALU_DEP_2)
	s_or_b32 exec_lo, exec_lo, s14
	v_dual_lshrrev_b32 v6, 16, v1 :: v_dual_bitop2_b32 v1, v1, v8 bitop3:0x54
	v_dual_lshrrev_b32 v22, 16, v9 :: v_dual_bitop2_b32 v16, v9, v16 bitop3:0x54
	v_cvt_f32_f16_e32 v9, v6
	v_dual_lshrrev_b32 v18, 16, v19 :: v_dual_bitop2_b32 v6, v0, v18 bitop3:0x54
	s_delay_alu instid0(VALU_DEP_3)
	v_cvt_f32_f16_e32 v8, v22
	v_dual_lshrrev_b32 v22, 16, v0 :: v_dual_bitop2_b32 v19, v19, v17 bitop3:0x54
	v_cvt_f32_f16_e32 v0, v16
	v_cvt_f32_f16_e32 v1, v1
	s_wait_loadcnt_dscnt 0x0
	v_pk_mul_f32 v[8:9], v[54:55], v[8:9] op_sel_hi:[0,1]
	v_cvt_f32_f16_e32 v17, v18
	v_cvt_f32_f16_e32 v16, v22
	v_cvt_f32_f16_e32 v18, v6
	v_cvt_f32_f16_e32 v19, v19
	v_pk_mul_f32 v[0:1], v[54:55], v[0:1] op_sel_hi:[0,1]
	v_cvt_pk_f16_f32 v6, v8, v9
	v_pk_mul_f32 v[8:9], v[54:55], v[16:17] op_sel_hi:[0,1]
	s_delay_alu instid0(VALU_DEP_4) | instskip(NEXT) | instid1(VALU_DEP_4)
	v_pk_mul_f32 v[16:17], v[54:55], v[18:19] op_sel_hi:[0,1]
	v_cvt_pk_f16_f32 v0, v0, v1
	s_delay_alu instid0(VALU_DEP_4) | instskip(NEXT) | instid1(VALU_DEP_4)
	v_and_b32_e32 v19, 0xffff0000, v6
	v_cvt_pk_f16_f32 v8, v8, v9
	v_lshlrev_b32_e32 v54, 16, v6
	v_cvt_pk_f16_f32 v6, v16, v17
	v_lshrrev_b32_e32 v67, 16, v0
	v_and_b32_e32 v68, 0xffff, v0
	v_and_b32_e32 v1, 0xffff0000, v8
	s_delay_alu instid0(VALU_DEP_4) | instskip(SKIP_3) | instid1(VALU_DEP_4)
	v_dual_lshlrev_b32 v0, 16, v8 :: v_dual_lshrrev_b32 v9, 16, v6
	v_and_b32_e32 v6, 0xffff, v6
	v_or_b32_e32 v65, v19, v67
	v_or_b32_e32 v66, v54, v68
	;; [unrolled: 1-line block ×3, first 2 shown]
	s_delay_alu instid0(VALU_DEP_4)
	v_or_b32_e32 v64, v0, v6
	s_and_saveexec_b32 s14, vcc_lo
	s_cbranch_execz .LBB285_1780
; %bb.1779:                             ;   in Loop: Header=BB285_1581 Depth=1
	v_cmp_lt_i32_e64 s0, v84, v13
	s_delay_alu instid0(VALU_DEP_1) | instskip(SKIP_1) | instid1(VALU_DEP_1)
	v_cndmask_b32_e64 v8, 0, v67, s0
	v_cmp_lt_i32_e64 s0, v99, v12
	v_cndmask_b32_e64 v16, 0, v68, s0
	v_cmp_lt_i32_e64 s0, v98, v13
	s_delay_alu instid0(VALU_DEP_1) | instskip(SKIP_1) | instid1(VALU_DEP_1)
	v_cndmask_b32_e64 v17, 0, v19, s0
	v_cmp_lt_i32_e64 s0, v97, v12
	v_cndmask_b32_e64 v18, 0, v54, s0
	v_cmp_lt_i32_e64 s0, v96, v13
	s_delay_alu instid0(VALU_DEP_4) | instskip(NEXT) | instid1(VALU_DEP_2)
	v_or_b32_e32 v65, v8, v17
	v_dual_cndmask_b32 v9, 0, v9, s0 :: v_dual_bitop2_b32 v66, v16, v18 bitop3:0x54
	v_cmp_lt_i32_e64 s0, v87, v12
	s_delay_alu instid0(VALU_DEP_1) | instskip(SKIP_1) | instid1(VALU_DEP_1)
	v_cndmask_b32_e64 v6, 0, v6, s0
	v_cmp_lt_i32_e64 s0, v86, v13
	v_cndmask_b32_e64 v1, 0, v1, s0
	v_cmp_lt_i32_e64 s0, v85, v12
	s_delay_alu instid0(VALU_DEP_1) | instskip(NEXT) | instid1(VALU_DEP_1)
	v_dual_cndmask_b32 v0, 0, v0, s0 :: v_dual_bitop2_b32 v55, v9, v1 bitop3:0x54
	v_or_b32_e32 v64, v6, v0
.LBB285_1780:                           ;   in Loop: Header=BB285_1581 Depth=1
	s_or_b32 exec_lo, exec_lo, s14
	;;#ASMSTART
	v_pk_mul_f16 v0, v112, v65;

	;;#ASMEND
	;;#ASMSTART
	v_pk_mul_f16 v1, v102, v66;

	;;#ASMEND
	;; [unrolled: 4-line block ×4, first 2 shown]
	;;#ASMSTART
	v_pk_add_f16 v0, v0, v1;

	;;#ASMEND
	;;#ASMSTART
	v_pk_add_f16 v0, v0, v6;

	;;#ASMEND
	;; [unrolled: 4-line block ×3, first 2 shown]
	v_and_b32_e32 v1, 0xffff, v0
	v_lshrrev_b32_e32 v0, 16, v0
	;;#ASMSTART
	v_cvt_f32_f16 v116, v1;
	;;#ASMEND
	;;#ASMSTART
	v_cvt_f32_f16 v117, v0;
	;;#ASMEND
	flat_load_b64 v[64:65], v[28:29] offset:768
	scratch_load_b64 v[0:1], off, s32 offset:192 ; 8-byte Folded Reload
	v_mov_b32_e32 v8, 0
	s_mov_b32 s14, exec_lo
	s_wait_loadcnt 0x0
	flat_load_b32 v54, v[0:1]
	s_wait_dscnt 0x1
	s_wait_xcnt 0x0
	v_and_b32_e32 v0, 0xff, v64
	v_mov_b32_e32 v1, 0
	s_delay_alu instid0(VALU_DEP_2)
	v_cmpx_ne_u16_e32 0, v0
	s_cbranch_execz .LBB285_1788
; %bb.1781:                             ;   in Loop: Header=BB285_1581 Depth=1
	v_mov_b32_e32 v8, 0x8000
	s_mov_b32 s15, exec_lo
	v_cmpx_ne_u16_e32 0x80, v0
	s_cbranch_execz .LBB285_1787
; %bb.1782:                             ;   in Loop: Header=BB285_1581 Depth=1
	v_and_b32_e32 v9, 0x7f, v64
	v_mov_b32_e32 v8, 0x7c01
	s_mov_b32 s16, exec_lo
	s_delay_alu instid0(VALU_DEP_2)
	v_cmpx_ne_u32_e32 0x7f, v9
	s_cbranch_execz .LBB285_1786
; %bb.1783:                             ;   in Loop: Header=BB285_1581 Depth=1
	v_dual_lshrrev_b32 v6, 3, v9 :: v_dual_bitop2_b32 v0, 7, v64 bitop3:0x40
	s_mov_b32 s17, exec_lo
	v_cmpx_gt_u32_e32 8, v9
; %bb.1784:                             ;   in Loop: Header=BB285_1581 Depth=1
	s_delay_alu instid0(VALU_DEP_2) | instskip(NEXT) | instid1(VALU_DEP_1)
	v_clz_i32_u32_e32 v0, v0
	v_min_u32_e32 v0, 32, v0
	s_delay_alu instid0(VALU_DEP_1) | instskip(NEXT) | instid1(VALU_DEP_1)
	v_subrev_nc_u32_e32 v6, 28, v0
	v_lshlrev_b64_e32 v[8:9], v6, v[64:65]
	v_sub_nc_u32_e32 v6, 29, v0
	s_delay_alu instid0(VALU_DEP_2)
	v_and_b32_e32 v0, 7, v8
; %bb.1785:                             ;   in Loop: Header=BB285_1581 Depth=1
	s_or_b32 exec_lo, exec_lo, s17
	v_lshlrev_b32_e32 v8, 8, v64
	s_delay_alu instid0(VALU_DEP_3) | instskip(NEXT) | instid1(VALU_DEP_3)
	v_lshl_add_u32 v6, v6, 10, 0x2000
	v_lshlrev_b32_e32 v0, 7, v0
	s_delay_alu instid0(VALU_DEP_3) | instskip(NEXT) | instid1(VALU_DEP_3)
	v_and_b32_e32 v8, 0x8000, v8
	v_and_b32_e32 v6, 0xfc00, v6
	s_delay_alu instid0(VALU_DEP_1)
	v_or3_b32 v8, v8, v6, v0
.LBB285_1786:                           ;   in Loop: Header=BB285_1581 Depth=1
	s_or_b32 exec_lo, exec_lo, s16
.LBB285_1787:                           ;   in Loop: Header=BB285_1581 Depth=1
	s_delay_alu instid0(SALU_CYCLE_1)
	s_or_b32 exec_lo, exec_lo, s15
.LBB285_1788:                           ;   in Loop: Header=BB285_1581 Depth=1
	s_delay_alu instid0(SALU_CYCLE_1) | instskip(SKIP_2) | instid1(VALU_DEP_1)
	s_or_b32 exec_lo, exec_lo, s14
	v_lshrrev_b16 v6, 8, v64
	s_mov_b32 s14, exec_lo
	v_cmpx_ne_u16_e32 0, v6
	s_cbranch_execz .LBB285_1796
; %bb.1789:                             ;   in Loop: Header=BB285_1581 Depth=1
	v_bfrev_b32_e32 v1, 1
	s_mov_b32 s15, exec_lo
	v_cmpx_ne_u16_e32 0x80, v6
	s_cbranch_execz .LBB285_1795
; %bb.1790:                             ;   in Loop: Header=BB285_1581 Depth=1
	v_and_b32_e32 v0, 0xffff, v6
	v_mov_b32_e32 v1, 0x7c010000
	s_mov_b32 s16, exec_lo
	s_delay_alu instid0(VALU_DEP_2) | instskip(NEXT) | instid1(VALU_DEP_1)
	v_and_b32_e32 v16, 0x7f, v0
	v_cmpx_ne_u32_e32 0x7f, v16
	s_cbranch_execz .LBB285_1794
; %bb.1791:                             ;   in Loop: Header=BB285_1581 Depth=1
	v_and_b32_e32 v1, 7, v0
	v_lshrrev_b32_e32 v9, 3, v16
	s_mov_b32 s17, exec_lo
	v_cmpx_gt_u32_e32 8, v16
; %bb.1792:                             ;   in Loop: Header=BB285_1581 Depth=1
	s_delay_alu instid0(VALU_DEP_3) | instskip(NEXT) | instid1(VALU_DEP_1)
	v_clz_i32_u32_e32 v1, v1
	v_min_u32_e32 v1, 32, v1
	s_delay_alu instid0(VALU_DEP_1) | instskip(NEXT) | instid1(VALU_DEP_1)
	v_subrev_nc_u32_e32 v9, 28, v1
	v_lshlrev_b64_e32 v[16:17], v9, v[6:7]
	s_delay_alu instid0(VALU_DEP_1)
	v_dual_sub_nc_u32 v9, 29, v1 :: v_dual_bitop2_b32 v1, 7, v16 bitop3:0x40
; %bb.1793:                             ;   in Loop: Header=BB285_1581 Depth=1
	s_or_b32 exec_lo, exec_lo, s17
	s_delay_alu instid0(VALU_DEP_1) | instskip(NEXT) | instid1(VALU_DEP_2)
	v_dual_lshlrev_b32 v0, 8, v0 :: v_dual_lshlrev_b32 v1, 23, v1
	v_lshl_add_u32 v6, v9, 10, 0x2000
	s_delay_alu instid0(VALU_DEP_1) | instskip(NEXT) | instid1(VALU_DEP_1)
	v_and_or_b32 v0, 0x8000, v0, v6
	v_lshl_or_b32 v1, v0, 16, v1
.LBB285_1794:                           ;   in Loop: Header=BB285_1581 Depth=1
	s_or_b32 exec_lo, exec_lo, s16
.LBB285_1795:                           ;   in Loop: Header=BB285_1581 Depth=1
	s_delay_alu instid0(SALU_CYCLE_1)
	s_or_b32 exec_lo, exec_lo, s15
.LBB285_1796:                           ;   in Loop: Header=BB285_1581 Depth=1
	s_delay_alu instid0(SALU_CYCLE_1) | instskip(SKIP_3) | instid1(VALU_DEP_2)
	s_or_b32 exec_lo, exec_lo, s14
	v_dual_mov_b32 v9, 0 :: v_dual_lshrrev_b32 v0, 16, v64
	v_mov_b32_e32 v16, 0
	s_mov_b32 s14, exec_lo
	v_and_b32_e32 v6, 0xff, v0
	s_delay_alu instid0(VALU_DEP_1)
	v_cmpx_ne_u16_e32 0, v6
	s_cbranch_execz .LBB285_1804
; %bb.1797:                             ;   in Loop: Header=BB285_1581 Depth=1
	v_mov_b32_e32 v16, 0x8000
	s_mov_b32 s15, exec_lo
	v_cmpx_ne_u16_e32 0x80, v6
	s_cbranch_execz .LBB285_1803
; %bb.1798:                             ;   in Loop: Header=BB285_1581 Depth=1
	v_bfe_u32 v17, v64, 16, 7
	v_mov_b32_e32 v16, 0x7c01
	s_mov_b32 s16, exec_lo
	s_delay_alu instid0(VALU_DEP_2)
	v_cmpx_ne_u32_e32 0x7f, v17
	s_cbranch_execz .LBB285_1802
; %bb.1799:                             ;   in Loop: Header=BB285_1581 Depth=1
	v_dual_lshrrev_b32 v16, 3, v17 :: v_dual_bitop2_b32 v6, 7, v0 bitop3:0x40
	s_mov_b32 s17, exec_lo
	v_cmpx_gt_u32_e32 8, v17
; %bb.1800:                             ;   in Loop: Header=BB285_1581 Depth=1
	s_delay_alu instid0(VALU_DEP_2) | instskip(NEXT) | instid1(VALU_DEP_1)
	v_clz_i32_u32_e32 v6, v6
	v_min_u32_e32 v6, 32, v6
	s_delay_alu instid0(VALU_DEP_1) | instskip(NEXT) | instid1(VALU_DEP_1)
	v_subrev_nc_u32_e32 v16, 28, v6
	v_lshlrev_b64_e32 v[18:19], v16, v[0:1]
	v_sub_nc_u32_e32 v16, 29, v6
	s_delay_alu instid0(VALU_DEP_2)
	v_and_b32_e32 v6, 7, v18
; %bb.1801:                             ;   in Loop: Header=BB285_1581 Depth=1
	s_or_b32 exec_lo, exec_lo, s17
	s_delay_alu instid0(VALU_DEP_1) | instskip(NEXT) | instid1(VALU_DEP_3)
	v_dual_lshlrev_b32 v0, 8, v0 :: v_dual_lshlrev_b32 v6, 7, v6
	v_lshl_add_u32 v16, v16, 10, 0x2000
	s_delay_alu instid0(VALU_DEP_2) | instskip(NEXT) | instid1(VALU_DEP_2)
	v_and_b32_e32 v0, 0x8000, v0
	v_and_b32_e32 v16, 0xfc00, v16
	s_delay_alu instid0(VALU_DEP_1)
	v_or3_b32 v16, v0, v16, v6
.LBB285_1802:                           ;   in Loop: Header=BB285_1581 Depth=1
	s_or_b32 exec_lo, exec_lo, s16
.LBB285_1803:                           ;   in Loop: Header=BB285_1581 Depth=1
	s_delay_alu instid0(SALU_CYCLE_1)
	s_or_b32 exec_lo, exec_lo, s15
.LBB285_1804:                           ;   in Loop: Header=BB285_1581 Depth=1
	s_delay_alu instid0(SALU_CYCLE_1) | instskip(NEXT) | instid1(SALU_CYCLE_1)
	s_or_b32 exec_lo, exec_lo, s14
	s_mov_b32 s14, exec_lo
	v_cmpx_lt_u32_e32 0xffffff, v64
	s_cbranch_execz .LBB285_1812
; %bb.1805:                             ;   in Loop: Header=BB285_1581 Depth=1
	v_lshrrev_b32_e32 v6, 24, v64
	v_bfrev_b32_e32 v9, 1
	s_mov_b32 s15, exec_lo
	s_delay_alu instid0(VALU_DEP_2)
	v_cmpx_ne_u32_e32 0x80, v6
	s_cbranch_execz .LBB285_1811
; %bb.1806:                             ;   in Loop: Header=BB285_1581 Depth=1
	v_and_b32_e32 v17, 0x7f, v6
	v_mov_b32_e32 v9, 0x7c010000
	s_mov_b32 s16, exec_lo
	s_delay_alu instid0(VALU_DEP_2)
	v_cmpx_ne_u32_e32 0x7f, v17
	s_cbranch_execz .LBB285_1810
; %bb.1807:                             ;   in Loop: Header=BB285_1581 Depth=1
	v_dual_lshrrev_b32 v9, 3, v17 :: v_dual_bitop2_b32 v0, 7, v6 bitop3:0x40
	s_mov_b32 s17, exec_lo
	v_cmpx_gt_u32_e32 8, v17
; %bb.1808:                             ;   in Loop: Header=BB285_1581 Depth=1
	s_delay_alu instid0(VALU_DEP_2) | instskip(NEXT) | instid1(VALU_DEP_1)
	v_clz_i32_u32_e32 v0, v0
	v_min_u32_e32 v0, 32, v0
	s_delay_alu instid0(VALU_DEP_1) | instskip(NEXT) | instid1(VALU_DEP_1)
	v_subrev_nc_u32_e32 v9, 28, v0
	v_lshlrev_b64_e32 v[18:19], v9, v[6:7]
	s_delay_alu instid0(VALU_DEP_1)
	v_dual_sub_nc_u32 v9, 29, v0 :: v_dual_bitop2_b32 v0, 7, v18 bitop3:0x40
; %bb.1809:                             ;   in Loop: Header=BB285_1581 Depth=1
	s_or_b32 exec_lo, exec_lo, s17
	s_delay_alu instid0(VALU_DEP_1) | instskip(NEXT) | instid1(VALU_DEP_2)
	v_dual_lshlrev_b32 v6, 8, v6 :: v_dual_lshlrev_b32 v0, 23, v0
	v_lshl_add_u32 v9, v9, 10, 0x2000
	s_delay_alu instid0(VALU_DEP_1) | instskip(NEXT) | instid1(VALU_DEP_1)
	v_and_or_b32 v6, 0x8000, v6, v9
	v_lshl_or_b32 v9, v6, 16, v0
.LBB285_1810:                           ;   in Loop: Header=BB285_1581 Depth=1
	s_or_b32 exec_lo, exec_lo, s16
.LBB285_1811:                           ;   in Loop: Header=BB285_1581 Depth=1
	s_delay_alu instid0(SALU_CYCLE_1)
	s_or_b32 exec_lo, exec_lo, s15
.LBB285_1812:                           ;   in Loop: Header=BB285_1581 Depth=1
	s_delay_alu instid0(SALU_CYCLE_1) | instskip(SKIP_4) | instid1(VALU_DEP_3)
	s_or_b32 exec_lo, exec_lo, s14
	v_and_b32_e32 v0, 0xff, v65
	v_dual_mov_b32 v6, v65 :: v_dual_mov_b32 v18, 0
	v_mov_b32_e32 v17, 0
	s_mov_b32 s14, exec_lo
	v_cmpx_ne_u16_e32 0, v0
	s_cbranch_execz .LBB285_1820
; %bb.1813:                             ;   in Loop: Header=BB285_1581 Depth=1
	v_mov_b32_e32 v17, 0x8000
	s_mov_b32 s15, exec_lo
	v_cmpx_ne_u16_e32 0x80, v0
	s_cbranch_execz .LBB285_1819
; %bb.1814:                             ;   in Loop: Header=BB285_1581 Depth=1
	v_and_b32_e32 v19, 0x7f, v65
	v_mov_b32_e32 v17, 0x7c01
	s_mov_b32 s16, exec_lo
	s_delay_alu instid0(VALU_DEP_2)
	v_cmpx_ne_u32_e32 0x7f, v19
	s_cbranch_execz .LBB285_1818
; %bb.1815:                             ;   in Loop: Header=BB285_1581 Depth=1
	v_dual_lshrrev_b32 v17, 3, v19 :: v_dual_bitop2_b32 v0, 7, v65 bitop3:0x40
	s_mov_b32 s17, exec_lo
	v_cmpx_gt_u32_e32 8, v19
; %bb.1816:                             ;   in Loop: Header=BB285_1581 Depth=1
	s_delay_alu instid0(VALU_DEP_2) | instskip(NEXT) | instid1(VALU_DEP_1)
	v_clz_i32_u32_e32 v0, v0
	v_min_u32_e32 v0, 32, v0
	s_delay_alu instid0(VALU_DEP_1) | instskip(NEXT) | instid1(VALU_DEP_1)
	v_subrev_nc_u32_e32 v17, 28, v0
	v_lshlrev_b64_e32 v[22:23], v17, v[6:7]
	s_delay_alu instid0(VALU_DEP_1)
	v_dual_sub_nc_u32 v17, 29, v0 :: v_dual_bitop2_b32 v0, 7, v22 bitop3:0x40
; %bb.1817:                             ;   in Loop: Header=BB285_1581 Depth=1
	s_or_b32 exec_lo, exec_lo, s17
	s_delay_alu instid0(VALU_DEP_1) | instskip(NEXT) | instid1(VALU_DEP_2)
	v_dual_lshlrev_b32 v19, 8, v65 :: v_dual_lshlrev_b32 v0, 7, v0
	v_lshl_add_u32 v17, v17, 10, 0x2000
	s_delay_alu instid0(VALU_DEP_2) | instskip(NEXT) | instid1(VALU_DEP_2)
	v_and_b32_e32 v19, 0x8000, v19
	v_and_b32_e32 v17, 0xfc00, v17
	s_delay_alu instid0(VALU_DEP_1)
	v_or3_b32 v17, v19, v17, v0
.LBB285_1818:                           ;   in Loop: Header=BB285_1581 Depth=1
	s_or_b32 exec_lo, exec_lo, s16
.LBB285_1819:                           ;   in Loop: Header=BB285_1581 Depth=1
	s_delay_alu instid0(SALU_CYCLE_1)
	s_or_b32 exec_lo, exec_lo, s15
.LBB285_1820:                           ;   in Loop: Header=BB285_1581 Depth=1
	s_delay_alu instid0(SALU_CYCLE_1) | instskip(SKIP_3) | instid1(VALU_DEP_2)
	s_or_b32 exec_lo, exec_lo, s14
	v_lshrrev_b16 v6, 8, v6
	v_mov_b32_e32 v19, 0
	s_mov_b32 s14, exec_lo
	v_cmpx_ne_u16_e32 0, v6
	s_cbranch_execz .LBB285_1828
; %bb.1821:                             ;   in Loop: Header=BB285_1581 Depth=1
	v_bfrev_b32_e32 v19, 1
	s_mov_b32 s15, exec_lo
	v_cmpx_ne_u16_e32 0x80, v6
	s_cbranch_execz .LBB285_1827
; %bb.1822:                             ;   in Loop: Header=BB285_1581 Depth=1
	v_and_b32_e32 v0, 0xffff, v6
	v_mov_b32_e32 v19, 0x7c010000
	s_mov_b32 s16, exec_lo
	s_delay_alu instid0(VALU_DEP_2) | instskip(NEXT) | instid1(VALU_DEP_1)
	v_and_b32_e32 v23, 0x7f, v0
	v_cmpx_ne_u32_e32 0x7f, v23
	s_cbranch_execz .LBB285_1826
; %bb.1823:                             ;   in Loop: Header=BB285_1581 Depth=1
	v_dual_lshrrev_b32 v22, 3, v23 :: v_dual_bitop2_b32 v19, 7, v0 bitop3:0x40
	s_mov_b32 s17, exec_lo
	v_cmpx_gt_u32_e32 8, v23
; %bb.1824:                             ;   in Loop: Header=BB285_1581 Depth=1
	s_delay_alu instid0(VALU_DEP_2) | instskip(NEXT) | instid1(VALU_DEP_1)
	v_clz_i32_u32_e32 v19, v19
	v_min_u32_e32 v19, 32, v19
	s_delay_alu instid0(VALU_DEP_1) | instskip(NEXT) | instid1(VALU_DEP_1)
	v_subrev_nc_u32_e32 v22, 28, v19
	v_lshlrev_b64_e32 v[66:67], v22, v[6:7]
	s_delay_alu instid0(VALU_DEP_1)
	v_dual_sub_nc_u32 v22, 29, v19 :: v_dual_bitop2_b32 v19, 7, v66 bitop3:0x40
; %bb.1825:                             ;   in Loop: Header=BB285_1581 Depth=1
	s_or_b32 exec_lo, exec_lo, s17
	v_lshlrev_b32_e32 v0, 8, v0
	s_delay_alu instid0(VALU_DEP_2) | instskip(NEXT) | instid1(VALU_DEP_1)
	v_lshl_add_u32 v6, v22, 10, 0x2000
	v_and_or_b32 v0, 0x8000, v0, v6
	v_lshlrev_b32_e32 v6, 23, v19
	s_delay_alu instid0(VALU_DEP_1)
	v_lshl_or_b32 v19, v0, 16, v6
.LBB285_1826:                           ;   in Loop: Header=BB285_1581 Depth=1
	s_or_b32 exec_lo, exec_lo, s16
.LBB285_1827:                           ;   in Loop: Header=BB285_1581 Depth=1
	s_delay_alu instid0(SALU_CYCLE_1)
	s_or_b32 exec_lo, exec_lo, s15
.LBB285_1828:                           ;   in Loop: Header=BB285_1581 Depth=1
	s_delay_alu instid0(SALU_CYCLE_1) | instskip(SKIP_2) | instid1(VALU_DEP_1)
	s_or_b32 exec_lo, exec_lo, s14
	v_lshrrev_b32_e32 v0, 16, v65
	s_mov_b32 s14, exec_lo
	v_and_b32_e32 v6, 0xff, v0
	s_delay_alu instid0(VALU_DEP_1)
	v_cmpx_ne_u16_e32 0, v6
	s_cbranch_execz .LBB285_1836
; %bb.1829:                             ;   in Loop: Header=BB285_1581 Depth=1
	v_mov_b32_e32 v18, 0x8000
	s_mov_b32 s15, exec_lo
	v_cmpx_ne_u16_e32 0x80, v6
	s_cbranch_execz .LBB285_1835
; %bb.1830:                             ;   in Loop: Header=BB285_1581 Depth=1
	v_bfe_u32 v22, v65, 16, 7
	v_mov_b32_e32 v18, 0x7c01
	s_mov_b32 s16, exec_lo
	s_delay_alu instid0(VALU_DEP_2)
	v_cmpx_ne_u32_e32 0x7f, v22
	s_cbranch_execz .LBB285_1834
; %bb.1831:                             ;   in Loop: Header=BB285_1581 Depth=1
	v_dual_lshrrev_b32 v18, 3, v22 :: v_dual_bitop2_b32 v6, 7, v0 bitop3:0x40
	s_mov_b32 s17, exec_lo
	v_cmpx_gt_u32_e32 8, v22
; %bb.1832:                             ;   in Loop: Header=BB285_1581 Depth=1
	s_delay_alu instid0(VALU_DEP_2) | instskip(NEXT) | instid1(VALU_DEP_1)
	v_clz_i32_u32_e32 v6, v6
	v_min_u32_e32 v6, 32, v6
	s_delay_alu instid0(VALU_DEP_1) | instskip(NEXT) | instid1(VALU_DEP_1)
	v_subrev_nc_u32_e32 v18, 28, v6
	v_lshlrev_b64_e32 v[22:23], v18, v[0:1]
	v_sub_nc_u32_e32 v18, 29, v6
	s_delay_alu instid0(VALU_DEP_2)
	v_and_b32_e32 v6, 7, v22
; %bb.1833:                             ;   in Loop: Header=BB285_1581 Depth=1
	s_or_b32 exec_lo, exec_lo, s17
	s_delay_alu instid0(VALU_DEP_1) | instskip(NEXT) | instid1(VALU_DEP_3)
	v_dual_lshlrev_b32 v0, 8, v0 :: v_dual_lshlrev_b32 v6, 7, v6
	v_lshl_add_u32 v18, v18, 10, 0x2000
	s_delay_alu instid0(VALU_DEP_2) | instskip(NEXT) | instid1(VALU_DEP_2)
	v_and_b32_e32 v0, 0x8000, v0
	v_and_b32_e32 v18, 0xfc00, v18
	s_delay_alu instid0(VALU_DEP_1)
	v_or3_b32 v18, v0, v18, v6
.LBB285_1834:                           ;   in Loop: Header=BB285_1581 Depth=1
	s_or_b32 exec_lo, exec_lo, s16
.LBB285_1835:                           ;   in Loop: Header=BB285_1581 Depth=1
	s_delay_alu instid0(SALU_CYCLE_1)
	s_or_b32 exec_lo, exec_lo, s15
.LBB285_1836:                           ;   in Loop: Header=BB285_1581 Depth=1
	s_delay_alu instid0(SALU_CYCLE_1)
	s_or_b32 exec_lo, exec_lo, s14
	v_mov_b32_e32 v0, 0
	s_mov_b32 s14, exec_lo
	v_cmpx_lt_u64_e64 s[2:3], v[64:65]
	s_cbranch_execz .LBB285_1844
; %bb.1837:                             ;   in Loop: Header=BB285_1581 Depth=1
	v_lshrrev_b32_e32 v6, 24, v65
	v_bfrev_b32_e32 v0, 1
	s_mov_b32 s15, exec_lo
	s_delay_alu instid0(VALU_DEP_2)
	v_cmpx_ne_u32_e32 0x80, v6
	s_cbranch_execz .LBB285_1843
; %bb.1838:                             ;   in Loop: Header=BB285_1581 Depth=1
	v_and_b32_e32 v23, 0x7f, v6
	v_mov_b32_e32 v0, 0x7c010000
	s_mov_b32 s16, exec_lo
	s_delay_alu instid0(VALU_DEP_2)
	v_cmpx_ne_u32_e32 0x7f, v23
	s_cbranch_execz .LBB285_1842
; %bb.1839:                             ;   in Loop: Header=BB285_1581 Depth=1
	v_dual_lshrrev_b32 v22, 3, v23 :: v_dual_bitop2_b32 v0, 7, v6 bitop3:0x40
	s_mov_b32 s17, exec_lo
	v_cmpx_gt_u32_e32 8, v23
; %bb.1840:                             ;   in Loop: Header=BB285_1581 Depth=1
	s_delay_alu instid0(VALU_DEP_2) | instskip(NEXT) | instid1(VALU_DEP_1)
	v_clz_i32_u32_e32 v0, v0
	v_min_u32_e32 v0, 32, v0
	s_delay_alu instid0(VALU_DEP_1) | instskip(NEXT) | instid1(VALU_DEP_1)
	v_subrev_nc_u32_e32 v22, 28, v0
	v_lshlrev_b64_e32 v[64:65], v22, v[6:7]
	v_sub_nc_u32_e32 v22, 29, v0
	s_delay_alu instid0(VALU_DEP_2)
	v_and_b32_e32 v0, 7, v64
; %bb.1841:                             ;   in Loop: Header=BB285_1581 Depth=1
	s_or_b32 exec_lo, exec_lo, s17
	s_delay_alu instid0(VALU_DEP_1) | instskip(NEXT) | instid1(VALU_DEP_3)
	v_dual_lshlrev_b32 v6, 8, v6 :: v_dual_lshlrev_b32 v0, 23, v0
	v_lshl_add_u32 v22, v22, 10, 0x2000
	s_delay_alu instid0(VALU_DEP_1) | instskip(NEXT) | instid1(VALU_DEP_1)
	v_and_or_b32 v6, 0x8000, v6, v22
	v_lshl_or_b32 v0, v6, 16, v0
.LBB285_1842:                           ;   in Loop: Header=BB285_1581 Depth=1
	s_or_b32 exec_lo, exec_lo, s16
.LBB285_1843:                           ;   in Loop: Header=BB285_1581 Depth=1
	s_delay_alu instid0(SALU_CYCLE_1)
	s_or_b32 exec_lo, exec_lo, s15
.LBB285_1844:                           ;   in Loop: Header=BB285_1581 Depth=1
	s_delay_alu instid0(SALU_CYCLE_1) | instskip(SKIP_2) | instid1(VALU_DEP_2)
	s_or_b32 exec_lo, exec_lo, s14
	v_dual_lshrrev_b32 v6, 16, v1 :: v_dual_bitop2_b32 v1, v1, v8 bitop3:0x54
	v_dual_lshrrev_b32 v22, 16, v9 :: v_dual_bitop2_b32 v16, v9, v16 bitop3:0x54
	v_cvt_f32_f16_e32 v9, v6
	v_dual_lshrrev_b32 v18, 16, v19 :: v_dual_bitop2_b32 v6, v0, v18 bitop3:0x54
	s_delay_alu instid0(VALU_DEP_3)
	v_cvt_f32_f16_e32 v8, v22
	v_dual_lshrrev_b32 v22, 16, v0 :: v_dual_bitop2_b32 v19, v19, v17 bitop3:0x54
	v_cvt_f32_f16_e32 v0, v16
	v_cvt_f32_f16_e32 v1, v1
	s_wait_loadcnt_dscnt 0x0
	v_pk_mul_f32 v[8:9], v[54:55], v[8:9] op_sel_hi:[0,1]
	v_cvt_f32_f16_e32 v17, v18
	v_cvt_f32_f16_e32 v16, v22
	;; [unrolled: 1-line block ×4, first 2 shown]
	v_pk_mul_f32 v[0:1], v[54:55], v[0:1] op_sel_hi:[0,1]
	v_cvt_pk_f16_f32 v6, v8, v9
	v_pk_mul_f32 v[8:9], v[54:55], v[16:17] op_sel_hi:[0,1]
	s_delay_alu instid0(VALU_DEP_4) | instskip(NEXT) | instid1(VALU_DEP_4)
	v_pk_mul_f32 v[16:17], v[54:55], v[18:19] op_sel_hi:[0,1]
	v_cvt_pk_f16_f32 v0, v0, v1
	s_delay_alu instid0(VALU_DEP_4) | instskip(NEXT) | instid1(VALU_DEP_4)
	v_and_b32_e32 v19, 0xffff0000, v6
	v_cvt_pk_f16_f32 v8, v8, v9
	v_lshlrev_b32_e32 v54, 16, v6
	v_cvt_pk_f16_f32 v6, v16, v17
	v_lshrrev_b32_e32 v67, 16, v0
	v_and_b32_e32 v68, 0xffff, v0
	v_and_b32_e32 v1, 0xffff0000, v8
	s_delay_alu instid0(VALU_DEP_4) | instskip(SKIP_3) | instid1(VALU_DEP_4)
	v_dual_lshlrev_b32 v0, 16, v8 :: v_dual_lshrrev_b32 v9, 16, v6
	v_and_b32_e32 v6, 0xffff, v6
	v_or_b32_e32 v65, v19, v67
	v_or_b32_e32 v66, v54, v68
	;; [unrolled: 1-line block ×3, first 2 shown]
	s_delay_alu instid0(VALU_DEP_4)
	v_or_b32_e32 v64, v0, v6
	s_and_saveexec_b32 s14, vcc_lo
	s_cbranch_execz .LBB285_1846
; %bb.1845:                             ;   in Loop: Header=BB285_1581 Depth=1
	v_cmp_lt_i32_e64 s0, v84, v13
	s_delay_alu instid0(VALU_DEP_1) | instskip(SKIP_1) | instid1(VALU_DEP_1)
	v_cndmask_b32_e64 v8, 0, v67, s0
	v_cmp_lt_i32_e64 s0, v99, v12
	v_cndmask_b32_e64 v16, 0, v68, s0
	v_cmp_lt_i32_e64 s0, v98, v13
	s_delay_alu instid0(VALU_DEP_1) | instskip(SKIP_1) | instid1(VALU_DEP_1)
	v_cndmask_b32_e64 v17, 0, v19, s0
	v_cmp_lt_i32_e64 s0, v97, v12
	v_cndmask_b32_e64 v18, 0, v54, s0
	v_cmp_lt_i32_e64 s0, v96, v13
	s_delay_alu instid0(VALU_DEP_4) | instskip(NEXT) | instid1(VALU_DEP_2)
	v_or_b32_e32 v65, v8, v17
	v_dual_cndmask_b32 v9, 0, v9, s0 :: v_dual_bitop2_b32 v66, v16, v18 bitop3:0x54
	v_cmp_lt_i32_e64 s0, v87, v12
	s_delay_alu instid0(VALU_DEP_1) | instskip(SKIP_1) | instid1(VALU_DEP_1)
	v_cndmask_b32_e64 v6, 0, v6, s0
	v_cmp_lt_i32_e64 s0, v86, v13
	v_cndmask_b32_e64 v1, 0, v1, s0
	v_cmp_lt_i32_e64 s0, v85, v12
	s_delay_alu instid0(VALU_DEP_1) | instskip(NEXT) | instid1(VALU_DEP_1)
	v_dual_cndmask_b32 v0, 0, v0, s0 :: v_dual_bitop2_b32 v55, v9, v1 bitop3:0x54
	v_or_b32_e32 v64, v6, v0
.LBB285_1846:                           ;   in Loop: Header=BB285_1581 Depth=1
	s_or_b32 exec_lo, exec_lo, s14
	;;#ASMSTART
	v_pk_mul_f16 v0, v112, v65;

	;;#ASMEND
	;;#ASMSTART
	v_pk_mul_f16 v1, v102, v66;

	;;#ASMEND
	;; [unrolled: 4-line block ×4, first 2 shown]
	;;#ASMSTART
	v_pk_add_f16 v0, v0, v1;

	;;#ASMEND
	;;#ASMSTART
	v_pk_add_f16 v0, v0, v6;

	;;#ASMEND
	;; [unrolled: 4-line block ×3, first 2 shown]
	v_and_b32_e32 v1, 0xffff, v0
	v_lshrrev_b32_e32 v0, 16, v0
	;;#ASMSTART
	v_cvt_f32_f16 v118, v1;
	;;#ASMEND
	;;#ASMSTART
	v_cvt_f32_f16 v119, v0;
	;;#ASMEND
	flat_load_b64 v[64:65], v[28:29] offset:1024
	scratch_load_b64 v[0:1], off, s32 offset:192 ; 8-byte Folded Reload
	v_mov_b32_e32 v8, 0
	s_mov_b32 s14, exec_lo
	s_wait_loadcnt 0x0
	flat_load_b32 v54, v[0:1]
	s_wait_dscnt 0x1
	s_wait_xcnt 0x0
	v_and_b32_e32 v0, 0xff, v64
	v_mov_b32_e32 v1, 0
	s_delay_alu instid0(VALU_DEP_2)
	v_cmpx_ne_u16_e32 0, v0
	s_cbranch_execz .LBB285_1854
; %bb.1847:                             ;   in Loop: Header=BB285_1581 Depth=1
	v_mov_b32_e32 v8, 0x8000
	s_mov_b32 s15, exec_lo
	v_cmpx_ne_u16_e32 0x80, v0
	s_cbranch_execz .LBB285_1853
; %bb.1848:                             ;   in Loop: Header=BB285_1581 Depth=1
	v_and_b32_e32 v9, 0x7f, v64
	v_mov_b32_e32 v8, 0x7c01
	s_mov_b32 s16, exec_lo
	s_delay_alu instid0(VALU_DEP_2)
	v_cmpx_ne_u32_e32 0x7f, v9
	s_cbranch_execz .LBB285_1852
; %bb.1849:                             ;   in Loop: Header=BB285_1581 Depth=1
	v_dual_lshrrev_b32 v6, 3, v9 :: v_dual_bitop2_b32 v0, 7, v64 bitop3:0x40
	s_mov_b32 s17, exec_lo
	v_cmpx_gt_u32_e32 8, v9
; %bb.1850:                             ;   in Loop: Header=BB285_1581 Depth=1
	s_delay_alu instid0(VALU_DEP_2) | instskip(NEXT) | instid1(VALU_DEP_1)
	v_clz_i32_u32_e32 v0, v0
	v_min_u32_e32 v0, 32, v0
	s_delay_alu instid0(VALU_DEP_1) | instskip(NEXT) | instid1(VALU_DEP_1)
	v_subrev_nc_u32_e32 v6, 28, v0
	v_lshlrev_b64_e32 v[8:9], v6, v[64:65]
	v_sub_nc_u32_e32 v6, 29, v0
	s_delay_alu instid0(VALU_DEP_2)
	v_and_b32_e32 v0, 7, v8
; %bb.1851:                             ;   in Loop: Header=BB285_1581 Depth=1
	s_or_b32 exec_lo, exec_lo, s17
	v_lshlrev_b32_e32 v8, 8, v64
	s_delay_alu instid0(VALU_DEP_3) | instskip(NEXT) | instid1(VALU_DEP_3)
	v_lshl_add_u32 v6, v6, 10, 0x2000
	v_lshlrev_b32_e32 v0, 7, v0
	s_delay_alu instid0(VALU_DEP_3) | instskip(NEXT) | instid1(VALU_DEP_3)
	v_and_b32_e32 v8, 0x8000, v8
	v_and_b32_e32 v6, 0xfc00, v6
	s_delay_alu instid0(VALU_DEP_1)
	v_or3_b32 v8, v8, v6, v0
.LBB285_1852:                           ;   in Loop: Header=BB285_1581 Depth=1
	s_or_b32 exec_lo, exec_lo, s16
.LBB285_1853:                           ;   in Loop: Header=BB285_1581 Depth=1
	s_delay_alu instid0(SALU_CYCLE_1)
	s_or_b32 exec_lo, exec_lo, s15
.LBB285_1854:                           ;   in Loop: Header=BB285_1581 Depth=1
	s_delay_alu instid0(SALU_CYCLE_1) | instskip(SKIP_2) | instid1(VALU_DEP_1)
	s_or_b32 exec_lo, exec_lo, s14
	v_lshrrev_b16 v6, 8, v64
	s_mov_b32 s14, exec_lo
	v_cmpx_ne_u16_e32 0, v6
	s_cbranch_execz .LBB285_1862
; %bb.1855:                             ;   in Loop: Header=BB285_1581 Depth=1
	v_bfrev_b32_e32 v1, 1
	s_mov_b32 s15, exec_lo
	v_cmpx_ne_u16_e32 0x80, v6
	s_cbranch_execz .LBB285_1861
; %bb.1856:                             ;   in Loop: Header=BB285_1581 Depth=1
	v_and_b32_e32 v0, 0xffff, v6
	v_mov_b32_e32 v1, 0x7c010000
	s_mov_b32 s16, exec_lo
	s_delay_alu instid0(VALU_DEP_2) | instskip(NEXT) | instid1(VALU_DEP_1)
	v_and_b32_e32 v16, 0x7f, v0
	v_cmpx_ne_u32_e32 0x7f, v16
	s_cbranch_execz .LBB285_1860
; %bb.1857:                             ;   in Loop: Header=BB285_1581 Depth=1
	v_and_b32_e32 v1, 7, v0
	v_lshrrev_b32_e32 v9, 3, v16
	s_mov_b32 s17, exec_lo
	v_cmpx_gt_u32_e32 8, v16
; %bb.1858:                             ;   in Loop: Header=BB285_1581 Depth=1
	s_delay_alu instid0(VALU_DEP_3) | instskip(NEXT) | instid1(VALU_DEP_1)
	v_clz_i32_u32_e32 v1, v1
	v_min_u32_e32 v1, 32, v1
	s_delay_alu instid0(VALU_DEP_1) | instskip(NEXT) | instid1(VALU_DEP_1)
	v_subrev_nc_u32_e32 v9, 28, v1
	v_lshlrev_b64_e32 v[16:17], v9, v[6:7]
	s_delay_alu instid0(VALU_DEP_1)
	v_dual_sub_nc_u32 v9, 29, v1 :: v_dual_bitop2_b32 v1, 7, v16 bitop3:0x40
; %bb.1859:                             ;   in Loop: Header=BB285_1581 Depth=1
	s_or_b32 exec_lo, exec_lo, s17
	s_delay_alu instid0(VALU_DEP_1) | instskip(NEXT) | instid1(VALU_DEP_2)
	v_dual_lshlrev_b32 v0, 8, v0 :: v_dual_lshlrev_b32 v1, 23, v1
	v_lshl_add_u32 v6, v9, 10, 0x2000
	s_delay_alu instid0(VALU_DEP_1) | instskip(NEXT) | instid1(VALU_DEP_1)
	v_and_or_b32 v0, 0x8000, v0, v6
	v_lshl_or_b32 v1, v0, 16, v1
.LBB285_1860:                           ;   in Loop: Header=BB285_1581 Depth=1
	s_or_b32 exec_lo, exec_lo, s16
.LBB285_1861:                           ;   in Loop: Header=BB285_1581 Depth=1
	s_delay_alu instid0(SALU_CYCLE_1)
	s_or_b32 exec_lo, exec_lo, s15
.LBB285_1862:                           ;   in Loop: Header=BB285_1581 Depth=1
	s_delay_alu instid0(SALU_CYCLE_1) | instskip(SKIP_3) | instid1(VALU_DEP_2)
	s_or_b32 exec_lo, exec_lo, s14
	v_dual_mov_b32 v9, 0 :: v_dual_lshrrev_b32 v0, 16, v64
	v_mov_b32_e32 v16, 0
	s_mov_b32 s14, exec_lo
	v_and_b32_e32 v6, 0xff, v0
	s_delay_alu instid0(VALU_DEP_1)
	v_cmpx_ne_u16_e32 0, v6
	s_cbranch_execz .LBB285_1870
; %bb.1863:                             ;   in Loop: Header=BB285_1581 Depth=1
	v_mov_b32_e32 v16, 0x8000
	s_mov_b32 s15, exec_lo
	v_cmpx_ne_u16_e32 0x80, v6
	s_cbranch_execz .LBB285_1869
; %bb.1864:                             ;   in Loop: Header=BB285_1581 Depth=1
	v_bfe_u32 v17, v64, 16, 7
	v_mov_b32_e32 v16, 0x7c01
	s_mov_b32 s16, exec_lo
	s_delay_alu instid0(VALU_DEP_2)
	v_cmpx_ne_u32_e32 0x7f, v17
	s_cbranch_execz .LBB285_1868
; %bb.1865:                             ;   in Loop: Header=BB285_1581 Depth=1
	v_dual_lshrrev_b32 v16, 3, v17 :: v_dual_bitop2_b32 v6, 7, v0 bitop3:0x40
	s_mov_b32 s17, exec_lo
	v_cmpx_gt_u32_e32 8, v17
; %bb.1866:                             ;   in Loop: Header=BB285_1581 Depth=1
	s_delay_alu instid0(VALU_DEP_2) | instskip(NEXT) | instid1(VALU_DEP_1)
	v_clz_i32_u32_e32 v6, v6
	v_min_u32_e32 v6, 32, v6
	s_delay_alu instid0(VALU_DEP_1) | instskip(NEXT) | instid1(VALU_DEP_1)
	v_subrev_nc_u32_e32 v16, 28, v6
	v_lshlrev_b64_e32 v[18:19], v16, v[0:1]
	v_sub_nc_u32_e32 v16, 29, v6
	s_delay_alu instid0(VALU_DEP_2)
	v_and_b32_e32 v6, 7, v18
; %bb.1867:                             ;   in Loop: Header=BB285_1581 Depth=1
	s_or_b32 exec_lo, exec_lo, s17
	s_delay_alu instid0(VALU_DEP_1) | instskip(NEXT) | instid1(VALU_DEP_3)
	v_dual_lshlrev_b32 v0, 8, v0 :: v_dual_lshlrev_b32 v6, 7, v6
	v_lshl_add_u32 v16, v16, 10, 0x2000
	s_delay_alu instid0(VALU_DEP_2) | instskip(NEXT) | instid1(VALU_DEP_2)
	v_and_b32_e32 v0, 0x8000, v0
	v_and_b32_e32 v16, 0xfc00, v16
	s_delay_alu instid0(VALU_DEP_1)
	v_or3_b32 v16, v0, v16, v6
.LBB285_1868:                           ;   in Loop: Header=BB285_1581 Depth=1
	s_or_b32 exec_lo, exec_lo, s16
.LBB285_1869:                           ;   in Loop: Header=BB285_1581 Depth=1
	s_delay_alu instid0(SALU_CYCLE_1)
	s_or_b32 exec_lo, exec_lo, s15
.LBB285_1870:                           ;   in Loop: Header=BB285_1581 Depth=1
	s_delay_alu instid0(SALU_CYCLE_1) | instskip(NEXT) | instid1(SALU_CYCLE_1)
	s_or_b32 exec_lo, exec_lo, s14
	s_mov_b32 s14, exec_lo
	v_cmpx_lt_u32_e32 0xffffff, v64
	s_cbranch_execz .LBB285_1878
; %bb.1871:                             ;   in Loop: Header=BB285_1581 Depth=1
	v_lshrrev_b32_e32 v6, 24, v64
	v_bfrev_b32_e32 v9, 1
	s_mov_b32 s15, exec_lo
	s_delay_alu instid0(VALU_DEP_2)
	v_cmpx_ne_u32_e32 0x80, v6
	s_cbranch_execz .LBB285_1877
; %bb.1872:                             ;   in Loop: Header=BB285_1581 Depth=1
	v_and_b32_e32 v17, 0x7f, v6
	v_mov_b32_e32 v9, 0x7c010000
	s_mov_b32 s16, exec_lo
	s_delay_alu instid0(VALU_DEP_2)
	v_cmpx_ne_u32_e32 0x7f, v17
	s_cbranch_execz .LBB285_1876
; %bb.1873:                             ;   in Loop: Header=BB285_1581 Depth=1
	v_dual_lshrrev_b32 v9, 3, v17 :: v_dual_bitop2_b32 v0, 7, v6 bitop3:0x40
	s_mov_b32 s17, exec_lo
	v_cmpx_gt_u32_e32 8, v17
; %bb.1874:                             ;   in Loop: Header=BB285_1581 Depth=1
	s_delay_alu instid0(VALU_DEP_2) | instskip(NEXT) | instid1(VALU_DEP_1)
	v_clz_i32_u32_e32 v0, v0
	v_min_u32_e32 v0, 32, v0
	s_delay_alu instid0(VALU_DEP_1) | instskip(NEXT) | instid1(VALU_DEP_1)
	v_subrev_nc_u32_e32 v9, 28, v0
	v_lshlrev_b64_e32 v[18:19], v9, v[6:7]
	s_delay_alu instid0(VALU_DEP_1)
	v_dual_sub_nc_u32 v9, 29, v0 :: v_dual_bitop2_b32 v0, 7, v18 bitop3:0x40
; %bb.1875:                             ;   in Loop: Header=BB285_1581 Depth=1
	s_or_b32 exec_lo, exec_lo, s17
	s_delay_alu instid0(VALU_DEP_1) | instskip(NEXT) | instid1(VALU_DEP_2)
	v_dual_lshlrev_b32 v6, 8, v6 :: v_dual_lshlrev_b32 v0, 23, v0
	v_lshl_add_u32 v9, v9, 10, 0x2000
	s_delay_alu instid0(VALU_DEP_1) | instskip(NEXT) | instid1(VALU_DEP_1)
	v_and_or_b32 v6, 0x8000, v6, v9
	v_lshl_or_b32 v9, v6, 16, v0
.LBB285_1876:                           ;   in Loop: Header=BB285_1581 Depth=1
	s_or_b32 exec_lo, exec_lo, s16
.LBB285_1877:                           ;   in Loop: Header=BB285_1581 Depth=1
	s_delay_alu instid0(SALU_CYCLE_1)
	s_or_b32 exec_lo, exec_lo, s15
.LBB285_1878:                           ;   in Loop: Header=BB285_1581 Depth=1
	s_delay_alu instid0(SALU_CYCLE_1) | instskip(SKIP_4) | instid1(VALU_DEP_3)
	s_or_b32 exec_lo, exec_lo, s14
	v_and_b32_e32 v0, 0xff, v65
	v_dual_mov_b32 v6, v65 :: v_dual_mov_b32 v18, 0
	v_mov_b32_e32 v17, 0
	s_mov_b32 s14, exec_lo
	v_cmpx_ne_u16_e32 0, v0
	s_cbranch_execz .LBB285_1886
; %bb.1879:                             ;   in Loop: Header=BB285_1581 Depth=1
	v_mov_b32_e32 v17, 0x8000
	s_mov_b32 s15, exec_lo
	v_cmpx_ne_u16_e32 0x80, v0
	s_cbranch_execz .LBB285_1885
; %bb.1880:                             ;   in Loop: Header=BB285_1581 Depth=1
	v_and_b32_e32 v19, 0x7f, v65
	v_mov_b32_e32 v17, 0x7c01
	s_mov_b32 s16, exec_lo
	s_delay_alu instid0(VALU_DEP_2)
	v_cmpx_ne_u32_e32 0x7f, v19
	s_cbranch_execz .LBB285_1884
; %bb.1881:                             ;   in Loop: Header=BB285_1581 Depth=1
	v_dual_lshrrev_b32 v17, 3, v19 :: v_dual_bitop2_b32 v0, 7, v65 bitop3:0x40
	s_mov_b32 s17, exec_lo
	v_cmpx_gt_u32_e32 8, v19
; %bb.1882:                             ;   in Loop: Header=BB285_1581 Depth=1
	s_delay_alu instid0(VALU_DEP_2) | instskip(NEXT) | instid1(VALU_DEP_1)
	v_clz_i32_u32_e32 v0, v0
	v_min_u32_e32 v0, 32, v0
	s_delay_alu instid0(VALU_DEP_1) | instskip(NEXT) | instid1(VALU_DEP_1)
	v_subrev_nc_u32_e32 v17, 28, v0
	v_lshlrev_b64_e32 v[22:23], v17, v[6:7]
	s_delay_alu instid0(VALU_DEP_1)
	v_dual_sub_nc_u32 v17, 29, v0 :: v_dual_bitop2_b32 v0, 7, v22 bitop3:0x40
; %bb.1883:                             ;   in Loop: Header=BB285_1581 Depth=1
	s_or_b32 exec_lo, exec_lo, s17
	s_delay_alu instid0(VALU_DEP_1) | instskip(NEXT) | instid1(VALU_DEP_2)
	v_dual_lshlrev_b32 v19, 8, v65 :: v_dual_lshlrev_b32 v0, 7, v0
	v_lshl_add_u32 v17, v17, 10, 0x2000
	s_delay_alu instid0(VALU_DEP_2) | instskip(NEXT) | instid1(VALU_DEP_2)
	v_and_b32_e32 v19, 0x8000, v19
	v_and_b32_e32 v17, 0xfc00, v17
	s_delay_alu instid0(VALU_DEP_1)
	v_or3_b32 v17, v19, v17, v0
.LBB285_1884:                           ;   in Loop: Header=BB285_1581 Depth=1
	s_or_b32 exec_lo, exec_lo, s16
.LBB285_1885:                           ;   in Loop: Header=BB285_1581 Depth=1
	s_delay_alu instid0(SALU_CYCLE_1)
	s_or_b32 exec_lo, exec_lo, s15
.LBB285_1886:                           ;   in Loop: Header=BB285_1581 Depth=1
	s_delay_alu instid0(SALU_CYCLE_1) | instskip(SKIP_3) | instid1(VALU_DEP_2)
	s_or_b32 exec_lo, exec_lo, s14
	v_lshrrev_b16 v6, 8, v6
	v_mov_b32_e32 v19, 0
	s_mov_b32 s14, exec_lo
	v_cmpx_ne_u16_e32 0, v6
	s_cbranch_execz .LBB285_1894
; %bb.1887:                             ;   in Loop: Header=BB285_1581 Depth=1
	v_bfrev_b32_e32 v19, 1
	s_mov_b32 s15, exec_lo
	v_cmpx_ne_u16_e32 0x80, v6
	s_cbranch_execz .LBB285_1893
; %bb.1888:                             ;   in Loop: Header=BB285_1581 Depth=1
	v_and_b32_e32 v0, 0xffff, v6
	v_mov_b32_e32 v19, 0x7c010000
	s_mov_b32 s16, exec_lo
	s_delay_alu instid0(VALU_DEP_2) | instskip(NEXT) | instid1(VALU_DEP_1)
	v_and_b32_e32 v23, 0x7f, v0
	v_cmpx_ne_u32_e32 0x7f, v23
	s_cbranch_execz .LBB285_1892
; %bb.1889:                             ;   in Loop: Header=BB285_1581 Depth=1
	v_dual_lshrrev_b32 v22, 3, v23 :: v_dual_bitop2_b32 v19, 7, v0 bitop3:0x40
	s_mov_b32 s17, exec_lo
	v_cmpx_gt_u32_e32 8, v23
; %bb.1890:                             ;   in Loop: Header=BB285_1581 Depth=1
	s_delay_alu instid0(VALU_DEP_2) | instskip(NEXT) | instid1(VALU_DEP_1)
	v_clz_i32_u32_e32 v19, v19
	v_min_u32_e32 v19, 32, v19
	s_delay_alu instid0(VALU_DEP_1) | instskip(NEXT) | instid1(VALU_DEP_1)
	v_subrev_nc_u32_e32 v22, 28, v19
	v_lshlrev_b64_e32 v[66:67], v22, v[6:7]
	s_delay_alu instid0(VALU_DEP_1)
	v_dual_sub_nc_u32 v22, 29, v19 :: v_dual_bitop2_b32 v19, 7, v66 bitop3:0x40
; %bb.1891:                             ;   in Loop: Header=BB285_1581 Depth=1
	s_or_b32 exec_lo, exec_lo, s17
	v_lshlrev_b32_e32 v0, 8, v0
	s_delay_alu instid0(VALU_DEP_2) | instskip(NEXT) | instid1(VALU_DEP_1)
	v_lshl_add_u32 v6, v22, 10, 0x2000
	v_and_or_b32 v0, 0x8000, v0, v6
	v_lshlrev_b32_e32 v6, 23, v19
	s_delay_alu instid0(VALU_DEP_1)
	v_lshl_or_b32 v19, v0, 16, v6
.LBB285_1892:                           ;   in Loop: Header=BB285_1581 Depth=1
	s_or_b32 exec_lo, exec_lo, s16
.LBB285_1893:                           ;   in Loop: Header=BB285_1581 Depth=1
	s_delay_alu instid0(SALU_CYCLE_1)
	s_or_b32 exec_lo, exec_lo, s15
.LBB285_1894:                           ;   in Loop: Header=BB285_1581 Depth=1
	s_delay_alu instid0(SALU_CYCLE_1) | instskip(SKIP_2) | instid1(VALU_DEP_1)
	s_or_b32 exec_lo, exec_lo, s14
	v_lshrrev_b32_e32 v0, 16, v65
	s_mov_b32 s14, exec_lo
	v_and_b32_e32 v6, 0xff, v0
	s_delay_alu instid0(VALU_DEP_1)
	v_cmpx_ne_u16_e32 0, v6
	s_cbranch_execz .LBB285_1902
; %bb.1895:                             ;   in Loop: Header=BB285_1581 Depth=1
	v_mov_b32_e32 v18, 0x8000
	s_mov_b32 s15, exec_lo
	v_cmpx_ne_u16_e32 0x80, v6
	s_cbranch_execz .LBB285_1901
; %bb.1896:                             ;   in Loop: Header=BB285_1581 Depth=1
	v_bfe_u32 v22, v65, 16, 7
	v_mov_b32_e32 v18, 0x7c01
	s_mov_b32 s16, exec_lo
	s_delay_alu instid0(VALU_DEP_2)
	v_cmpx_ne_u32_e32 0x7f, v22
	s_cbranch_execz .LBB285_1900
; %bb.1897:                             ;   in Loop: Header=BB285_1581 Depth=1
	v_dual_lshrrev_b32 v18, 3, v22 :: v_dual_bitop2_b32 v6, 7, v0 bitop3:0x40
	s_mov_b32 s17, exec_lo
	v_cmpx_gt_u32_e32 8, v22
; %bb.1898:                             ;   in Loop: Header=BB285_1581 Depth=1
	s_delay_alu instid0(VALU_DEP_2) | instskip(NEXT) | instid1(VALU_DEP_1)
	v_clz_i32_u32_e32 v6, v6
	v_min_u32_e32 v6, 32, v6
	s_delay_alu instid0(VALU_DEP_1) | instskip(NEXT) | instid1(VALU_DEP_1)
	v_subrev_nc_u32_e32 v18, 28, v6
	v_lshlrev_b64_e32 v[22:23], v18, v[0:1]
	v_sub_nc_u32_e32 v18, 29, v6
	s_delay_alu instid0(VALU_DEP_2)
	v_and_b32_e32 v6, 7, v22
; %bb.1899:                             ;   in Loop: Header=BB285_1581 Depth=1
	s_or_b32 exec_lo, exec_lo, s17
	s_delay_alu instid0(VALU_DEP_1) | instskip(NEXT) | instid1(VALU_DEP_3)
	v_dual_lshlrev_b32 v0, 8, v0 :: v_dual_lshlrev_b32 v6, 7, v6
	v_lshl_add_u32 v18, v18, 10, 0x2000
	s_delay_alu instid0(VALU_DEP_2) | instskip(NEXT) | instid1(VALU_DEP_2)
	v_and_b32_e32 v0, 0x8000, v0
	v_and_b32_e32 v18, 0xfc00, v18
	s_delay_alu instid0(VALU_DEP_1)
	v_or3_b32 v18, v0, v18, v6
.LBB285_1900:                           ;   in Loop: Header=BB285_1581 Depth=1
	s_or_b32 exec_lo, exec_lo, s16
.LBB285_1901:                           ;   in Loop: Header=BB285_1581 Depth=1
	s_delay_alu instid0(SALU_CYCLE_1)
	s_or_b32 exec_lo, exec_lo, s15
.LBB285_1902:                           ;   in Loop: Header=BB285_1581 Depth=1
	s_delay_alu instid0(SALU_CYCLE_1)
	s_or_b32 exec_lo, exec_lo, s14
	v_mov_b32_e32 v0, 0
	s_mov_b32 s14, exec_lo
	v_cmpx_lt_u64_e64 s[2:3], v[64:65]
	s_cbranch_execz .LBB285_1910
; %bb.1903:                             ;   in Loop: Header=BB285_1581 Depth=1
	v_lshrrev_b32_e32 v6, 24, v65
	v_bfrev_b32_e32 v0, 1
	s_mov_b32 s15, exec_lo
	s_delay_alu instid0(VALU_DEP_2)
	v_cmpx_ne_u32_e32 0x80, v6
	s_cbranch_execz .LBB285_1909
; %bb.1904:                             ;   in Loop: Header=BB285_1581 Depth=1
	v_and_b32_e32 v23, 0x7f, v6
	v_mov_b32_e32 v0, 0x7c010000
	s_mov_b32 s16, exec_lo
	s_delay_alu instid0(VALU_DEP_2)
	v_cmpx_ne_u32_e32 0x7f, v23
	s_cbranch_execz .LBB285_1908
; %bb.1905:                             ;   in Loop: Header=BB285_1581 Depth=1
	v_dual_lshrrev_b32 v22, 3, v23 :: v_dual_bitop2_b32 v0, 7, v6 bitop3:0x40
	s_mov_b32 s17, exec_lo
	v_cmpx_gt_u32_e32 8, v23
; %bb.1906:                             ;   in Loop: Header=BB285_1581 Depth=1
	s_delay_alu instid0(VALU_DEP_2) | instskip(NEXT) | instid1(VALU_DEP_1)
	v_clz_i32_u32_e32 v0, v0
	v_min_u32_e32 v0, 32, v0
	s_delay_alu instid0(VALU_DEP_1) | instskip(NEXT) | instid1(VALU_DEP_1)
	v_subrev_nc_u32_e32 v22, 28, v0
	v_lshlrev_b64_e32 v[64:65], v22, v[6:7]
	v_sub_nc_u32_e32 v22, 29, v0
	s_delay_alu instid0(VALU_DEP_2)
	v_and_b32_e32 v0, 7, v64
; %bb.1907:                             ;   in Loop: Header=BB285_1581 Depth=1
	s_or_b32 exec_lo, exec_lo, s17
	s_delay_alu instid0(VALU_DEP_1) | instskip(NEXT) | instid1(VALU_DEP_3)
	v_dual_lshlrev_b32 v6, 8, v6 :: v_dual_lshlrev_b32 v0, 23, v0
	v_lshl_add_u32 v22, v22, 10, 0x2000
	s_delay_alu instid0(VALU_DEP_1) | instskip(NEXT) | instid1(VALU_DEP_1)
	v_and_or_b32 v6, 0x8000, v6, v22
	v_lshl_or_b32 v0, v6, 16, v0
.LBB285_1908:                           ;   in Loop: Header=BB285_1581 Depth=1
	s_or_b32 exec_lo, exec_lo, s16
.LBB285_1909:                           ;   in Loop: Header=BB285_1581 Depth=1
	s_delay_alu instid0(SALU_CYCLE_1)
	s_or_b32 exec_lo, exec_lo, s15
.LBB285_1910:                           ;   in Loop: Header=BB285_1581 Depth=1
	s_delay_alu instid0(SALU_CYCLE_1) | instskip(SKIP_2) | instid1(VALU_DEP_2)
	s_or_b32 exec_lo, exec_lo, s14
	v_dual_lshrrev_b32 v6, 16, v1 :: v_dual_bitop2_b32 v1, v1, v8 bitop3:0x54
	v_dual_lshrrev_b32 v22, 16, v9 :: v_dual_bitop2_b32 v16, v9, v16 bitop3:0x54
	v_cvt_f32_f16_e32 v9, v6
	v_dual_lshrrev_b32 v18, 16, v19 :: v_dual_bitop2_b32 v6, v0, v18 bitop3:0x54
	s_delay_alu instid0(VALU_DEP_3)
	v_cvt_f32_f16_e32 v8, v22
	v_dual_lshrrev_b32 v22, 16, v0 :: v_dual_bitop2_b32 v19, v19, v17 bitop3:0x54
	v_cvt_f32_f16_e32 v0, v16
	v_cvt_f32_f16_e32 v1, v1
	s_wait_loadcnt_dscnt 0x0
	v_pk_mul_f32 v[8:9], v[54:55], v[8:9] op_sel_hi:[0,1]
	v_cvt_f32_f16_e32 v17, v18
	v_cvt_f32_f16_e32 v16, v22
	;; [unrolled: 1-line block ×4, first 2 shown]
	v_pk_mul_f32 v[0:1], v[54:55], v[0:1] op_sel_hi:[0,1]
	v_cvt_pk_f16_f32 v6, v8, v9
	v_pk_mul_f32 v[8:9], v[54:55], v[16:17] op_sel_hi:[0,1]
	s_delay_alu instid0(VALU_DEP_4) | instskip(NEXT) | instid1(VALU_DEP_4)
	v_pk_mul_f32 v[16:17], v[54:55], v[18:19] op_sel_hi:[0,1]
	v_cvt_pk_f16_f32 v0, v0, v1
	s_delay_alu instid0(VALU_DEP_4) | instskip(NEXT) | instid1(VALU_DEP_4)
	v_and_b32_e32 v19, 0xffff0000, v6
	v_cvt_pk_f16_f32 v8, v8, v9
	v_lshlrev_b32_e32 v54, 16, v6
	v_cvt_pk_f16_f32 v6, v16, v17
	v_lshrrev_b32_e32 v67, 16, v0
	v_and_b32_e32 v68, 0xffff, v0
	v_and_b32_e32 v1, 0xffff0000, v8
	s_delay_alu instid0(VALU_DEP_4) | instskip(SKIP_3) | instid1(VALU_DEP_4)
	v_dual_lshlrev_b32 v0, 16, v8 :: v_dual_lshrrev_b32 v9, 16, v6
	v_and_b32_e32 v6, 0xffff, v6
	v_or_b32_e32 v65, v19, v67
	v_or_b32_e32 v66, v54, v68
	;; [unrolled: 1-line block ×3, first 2 shown]
	s_delay_alu instid0(VALU_DEP_4)
	v_or_b32_e32 v64, v0, v6
	s_and_saveexec_b32 s14, vcc_lo
	s_cbranch_execz .LBB285_1912
; %bb.1911:                             ;   in Loop: Header=BB285_1581 Depth=1
	v_cmp_lt_i32_e64 s0, v84, v13
	s_delay_alu instid0(VALU_DEP_1) | instskip(SKIP_1) | instid1(VALU_DEP_1)
	v_cndmask_b32_e64 v8, 0, v67, s0
	v_cmp_lt_i32_e64 s0, v99, v12
	v_cndmask_b32_e64 v16, 0, v68, s0
	v_cmp_lt_i32_e64 s0, v98, v13
	s_delay_alu instid0(VALU_DEP_1) | instskip(SKIP_1) | instid1(VALU_DEP_1)
	v_cndmask_b32_e64 v17, 0, v19, s0
	v_cmp_lt_i32_e64 s0, v97, v12
	v_cndmask_b32_e64 v18, 0, v54, s0
	v_cmp_lt_i32_e64 s0, v96, v13
	s_delay_alu instid0(VALU_DEP_4) | instskip(NEXT) | instid1(VALU_DEP_2)
	v_or_b32_e32 v65, v8, v17
	v_dual_cndmask_b32 v9, 0, v9, s0 :: v_dual_bitop2_b32 v66, v16, v18 bitop3:0x54
	v_cmp_lt_i32_e64 s0, v87, v12
	s_delay_alu instid0(VALU_DEP_1) | instskip(SKIP_1) | instid1(VALU_DEP_1)
	v_cndmask_b32_e64 v6, 0, v6, s0
	v_cmp_lt_i32_e64 s0, v86, v13
	v_cndmask_b32_e64 v1, 0, v1, s0
	v_cmp_lt_i32_e64 s0, v85, v12
	s_delay_alu instid0(VALU_DEP_1) | instskip(NEXT) | instid1(VALU_DEP_1)
	v_dual_cndmask_b32 v0, 0, v0, s0 :: v_dual_bitop2_b32 v55, v9, v1 bitop3:0x54
	v_or_b32_e32 v64, v6, v0
.LBB285_1912:                           ;   in Loop: Header=BB285_1581 Depth=1
	s_or_b32 exec_lo, exec_lo, s14
	;;#ASMSTART
	v_pk_mul_f16 v0, v112, v65;

	;;#ASMEND
	;;#ASMSTART
	v_pk_mul_f16 v1, v102, v66;

	;;#ASMEND
	;; [unrolled: 4-line block ×4, first 2 shown]
	;;#ASMSTART
	v_pk_add_f16 v0, v0, v1;

	;;#ASMEND
	;;#ASMSTART
	v_pk_add_f16 v0, v0, v6;

	;;#ASMEND
	;; [unrolled: 4-line block ×3, first 2 shown]
	v_and_b32_e32 v1, 0xffff, v0
	v_lshrrev_b32_e32 v0, 16, v0
	;;#ASMSTART
	v_cvt_f32_f16 v40, v1;
	;;#ASMEND
	;;#ASMSTART
	v_cvt_f32_f16 v41, v0;
	;;#ASMEND
	flat_load_b64 v[64:65], v[28:29] offset:1280
	scratch_load_b64 v[0:1], off, s32 offset:192 ; 8-byte Folded Reload
	v_mov_b32_e32 v8, 0
	s_mov_b32 s14, exec_lo
	s_wait_loadcnt 0x0
	flat_load_b32 v54, v[0:1]
	s_wait_dscnt 0x1
	s_wait_xcnt 0x0
	v_and_b32_e32 v0, 0xff, v64
	v_mov_b32_e32 v1, 0
	s_delay_alu instid0(VALU_DEP_2)
	v_cmpx_ne_u16_e32 0, v0
	s_cbranch_execz .LBB285_1920
; %bb.1913:                             ;   in Loop: Header=BB285_1581 Depth=1
	v_mov_b32_e32 v8, 0x8000
	s_mov_b32 s15, exec_lo
	v_cmpx_ne_u16_e32 0x80, v0
	s_cbranch_execz .LBB285_1919
; %bb.1914:                             ;   in Loop: Header=BB285_1581 Depth=1
	v_and_b32_e32 v9, 0x7f, v64
	v_mov_b32_e32 v8, 0x7c01
	s_mov_b32 s16, exec_lo
	s_delay_alu instid0(VALU_DEP_2)
	v_cmpx_ne_u32_e32 0x7f, v9
	s_cbranch_execz .LBB285_1918
; %bb.1915:                             ;   in Loop: Header=BB285_1581 Depth=1
	v_dual_lshrrev_b32 v6, 3, v9 :: v_dual_bitop2_b32 v0, 7, v64 bitop3:0x40
	s_mov_b32 s17, exec_lo
	v_cmpx_gt_u32_e32 8, v9
; %bb.1916:                             ;   in Loop: Header=BB285_1581 Depth=1
	s_delay_alu instid0(VALU_DEP_2) | instskip(NEXT) | instid1(VALU_DEP_1)
	v_clz_i32_u32_e32 v0, v0
	v_min_u32_e32 v0, 32, v0
	s_delay_alu instid0(VALU_DEP_1) | instskip(NEXT) | instid1(VALU_DEP_1)
	v_subrev_nc_u32_e32 v6, 28, v0
	v_lshlrev_b64_e32 v[8:9], v6, v[64:65]
	v_sub_nc_u32_e32 v6, 29, v0
	s_delay_alu instid0(VALU_DEP_2)
	v_and_b32_e32 v0, 7, v8
; %bb.1917:                             ;   in Loop: Header=BB285_1581 Depth=1
	s_or_b32 exec_lo, exec_lo, s17
	v_lshlrev_b32_e32 v8, 8, v64
	s_delay_alu instid0(VALU_DEP_3) | instskip(NEXT) | instid1(VALU_DEP_3)
	v_lshl_add_u32 v6, v6, 10, 0x2000
	v_lshlrev_b32_e32 v0, 7, v0
	s_delay_alu instid0(VALU_DEP_3) | instskip(NEXT) | instid1(VALU_DEP_3)
	v_and_b32_e32 v8, 0x8000, v8
	v_and_b32_e32 v6, 0xfc00, v6
	s_delay_alu instid0(VALU_DEP_1)
	v_or3_b32 v8, v8, v6, v0
.LBB285_1918:                           ;   in Loop: Header=BB285_1581 Depth=1
	s_or_b32 exec_lo, exec_lo, s16
.LBB285_1919:                           ;   in Loop: Header=BB285_1581 Depth=1
	s_delay_alu instid0(SALU_CYCLE_1)
	s_or_b32 exec_lo, exec_lo, s15
.LBB285_1920:                           ;   in Loop: Header=BB285_1581 Depth=1
	s_delay_alu instid0(SALU_CYCLE_1) | instskip(SKIP_2) | instid1(VALU_DEP_1)
	s_or_b32 exec_lo, exec_lo, s14
	v_lshrrev_b16 v6, 8, v64
	s_mov_b32 s14, exec_lo
	v_cmpx_ne_u16_e32 0, v6
	s_cbranch_execz .LBB285_1928
; %bb.1921:                             ;   in Loop: Header=BB285_1581 Depth=1
	v_bfrev_b32_e32 v1, 1
	s_mov_b32 s15, exec_lo
	v_cmpx_ne_u16_e32 0x80, v6
	s_cbranch_execz .LBB285_1927
; %bb.1922:                             ;   in Loop: Header=BB285_1581 Depth=1
	v_and_b32_e32 v0, 0xffff, v6
	v_mov_b32_e32 v1, 0x7c010000
	s_mov_b32 s16, exec_lo
	s_delay_alu instid0(VALU_DEP_2) | instskip(NEXT) | instid1(VALU_DEP_1)
	v_and_b32_e32 v16, 0x7f, v0
	v_cmpx_ne_u32_e32 0x7f, v16
	s_cbranch_execz .LBB285_1926
; %bb.1923:                             ;   in Loop: Header=BB285_1581 Depth=1
	v_and_b32_e32 v1, 7, v0
	v_lshrrev_b32_e32 v9, 3, v16
	s_mov_b32 s17, exec_lo
	v_cmpx_gt_u32_e32 8, v16
; %bb.1924:                             ;   in Loop: Header=BB285_1581 Depth=1
	s_delay_alu instid0(VALU_DEP_3) | instskip(NEXT) | instid1(VALU_DEP_1)
	v_clz_i32_u32_e32 v1, v1
	v_min_u32_e32 v1, 32, v1
	s_delay_alu instid0(VALU_DEP_1) | instskip(NEXT) | instid1(VALU_DEP_1)
	v_subrev_nc_u32_e32 v9, 28, v1
	v_lshlrev_b64_e32 v[16:17], v9, v[6:7]
	s_delay_alu instid0(VALU_DEP_1)
	v_dual_sub_nc_u32 v9, 29, v1 :: v_dual_bitop2_b32 v1, 7, v16 bitop3:0x40
; %bb.1925:                             ;   in Loop: Header=BB285_1581 Depth=1
	s_or_b32 exec_lo, exec_lo, s17
	s_delay_alu instid0(VALU_DEP_1) | instskip(NEXT) | instid1(VALU_DEP_2)
	v_dual_lshlrev_b32 v0, 8, v0 :: v_dual_lshlrev_b32 v1, 23, v1
	v_lshl_add_u32 v6, v9, 10, 0x2000
	s_delay_alu instid0(VALU_DEP_1) | instskip(NEXT) | instid1(VALU_DEP_1)
	v_and_or_b32 v0, 0x8000, v0, v6
	v_lshl_or_b32 v1, v0, 16, v1
.LBB285_1926:                           ;   in Loop: Header=BB285_1581 Depth=1
	s_or_b32 exec_lo, exec_lo, s16
.LBB285_1927:                           ;   in Loop: Header=BB285_1581 Depth=1
	s_delay_alu instid0(SALU_CYCLE_1)
	s_or_b32 exec_lo, exec_lo, s15
.LBB285_1928:                           ;   in Loop: Header=BB285_1581 Depth=1
	s_delay_alu instid0(SALU_CYCLE_1) | instskip(SKIP_3) | instid1(VALU_DEP_2)
	s_or_b32 exec_lo, exec_lo, s14
	v_dual_mov_b32 v9, 0 :: v_dual_lshrrev_b32 v0, 16, v64
	v_mov_b32_e32 v16, 0
	s_mov_b32 s14, exec_lo
	v_and_b32_e32 v6, 0xff, v0
	s_delay_alu instid0(VALU_DEP_1)
	v_cmpx_ne_u16_e32 0, v6
	s_cbranch_execz .LBB285_1936
; %bb.1929:                             ;   in Loop: Header=BB285_1581 Depth=1
	v_mov_b32_e32 v16, 0x8000
	s_mov_b32 s15, exec_lo
	v_cmpx_ne_u16_e32 0x80, v6
	s_cbranch_execz .LBB285_1935
; %bb.1930:                             ;   in Loop: Header=BB285_1581 Depth=1
	v_bfe_u32 v17, v64, 16, 7
	v_mov_b32_e32 v16, 0x7c01
	s_mov_b32 s16, exec_lo
	s_delay_alu instid0(VALU_DEP_2)
	v_cmpx_ne_u32_e32 0x7f, v17
	s_cbranch_execz .LBB285_1934
; %bb.1931:                             ;   in Loop: Header=BB285_1581 Depth=1
	v_dual_lshrrev_b32 v16, 3, v17 :: v_dual_bitop2_b32 v6, 7, v0 bitop3:0x40
	s_mov_b32 s17, exec_lo
	v_cmpx_gt_u32_e32 8, v17
; %bb.1932:                             ;   in Loop: Header=BB285_1581 Depth=1
	s_delay_alu instid0(VALU_DEP_2) | instskip(NEXT) | instid1(VALU_DEP_1)
	v_clz_i32_u32_e32 v6, v6
	v_min_u32_e32 v6, 32, v6
	s_delay_alu instid0(VALU_DEP_1) | instskip(NEXT) | instid1(VALU_DEP_1)
	v_subrev_nc_u32_e32 v16, 28, v6
	v_lshlrev_b64_e32 v[18:19], v16, v[0:1]
	v_sub_nc_u32_e32 v16, 29, v6
	s_delay_alu instid0(VALU_DEP_2)
	v_and_b32_e32 v6, 7, v18
; %bb.1933:                             ;   in Loop: Header=BB285_1581 Depth=1
	s_or_b32 exec_lo, exec_lo, s17
	s_delay_alu instid0(VALU_DEP_1) | instskip(NEXT) | instid1(VALU_DEP_3)
	v_dual_lshlrev_b32 v0, 8, v0 :: v_dual_lshlrev_b32 v6, 7, v6
	v_lshl_add_u32 v16, v16, 10, 0x2000
	s_delay_alu instid0(VALU_DEP_2) | instskip(NEXT) | instid1(VALU_DEP_2)
	v_and_b32_e32 v0, 0x8000, v0
	v_and_b32_e32 v16, 0xfc00, v16
	s_delay_alu instid0(VALU_DEP_1)
	v_or3_b32 v16, v0, v16, v6
.LBB285_1934:                           ;   in Loop: Header=BB285_1581 Depth=1
	s_or_b32 exec_lo, exec_lo, s16
.LBB285_1935:                           ;   in Loop: Header=BB285_1581 Depth=1
	s_delay_alu instid0(SALU_CYCLE_1)
	s_or_b32 exec_lo, exec_lo, s15
.LBB285_1936:                           ;   in Loop: Header=BB285_1581 Depth=1
	s_delay_alu instid0(SALU_CYCLE_1) | instskip(NEXT) | instid1(SALU_CYCLE_1)
	s_or_b32 exec_lo, exec_lo, s14
	s_mov_b32 s14, exec_lo
	v_cmpx_lt_u32_e32 0xffffff, v64
	s_cbranch_execz .LBB285_1944
; %bb.1937:                             ;   in Loop: Header=BB285_1581 Depth=1
	v_lshrrev_b32_e32 v6, 24, v64
	v_bfrev_b32_e32 v9, 1
	s_mov_b32 s15, exec_lo
	s_delay_alu instid0(VALU_DEP_2)
	v_cmpx_ne_u32_e32 0x80, v6
	s_cbranch_execz .LBB285_1943
; %bb.1938:                             ;   in Loop: Header=BB285_1581 Depth=1
	v_and_b32_e32 v17, 0x7f, v6
	v_mov_b32_e32 v9, 0x7c010000
	s_mov_b32 s16, exec_lo
	s_delay_alu instid0(VALU_DEP_2)
	v_cmpx_ne_u32_e32 0x7f, v17
	s_cbranch_execz .LBB285_1942
; %bb.1939:                             ;   in Loop: Header=BB285_1581 Depth=1
	v_dual_lshrrev_b32 v9, 3, v17 :: v_dual_bitop2_b32 v0, 7, v6 bitop3:0x40
	s_mov_b32 s17, exec_lo
	v_cmpx_gt_u32_e32 8, v17
; %bb.1940:                             ;   in Loop: Header=BB285_1581 Depth=1
	s_delay_alu instid0(VALU_DEP_2) | instskip(NEXT) | instid1(VALU_DEP_1)
	v_clz_i32_u32_e32 v0, v0
	v_min_u32_e32 v0, 32, v0
	s_delay_alu instid0(VALU_DEP_1) | instskip(NEXT) | instid1(VALU_DEP_1)
	v_subrev_nc_u32_e32 v9, 28, v0
	v_lshlrev_b64_e32 v[18:19], v9, v[6:7]
	s_delay_alu instid0(VALU_DEP_1)
	v_dual_sub_nc_u32 v9, 29, v0 :: v_dual_bitop2_b32 v0, 7, v18 bitop3:0x40
; %bb.1941:                             ;   in Loop: Header=BB285_1581 Depth=1
	s_or_b32 exec_lo, exec_lo, s17
	s_delay_alu instid0(VALU_DEP_1) | instskip(NEXT) | instid1(VALU_DEP_2)
	v_dual_lshlrev_b32 v6, 8, v6 :: v_dual_lshlrev_b32 v0, 23, v0
	v_lshl_add_u32 v9, v9, 10, 0x2000
	s_delay_alu instid0(VALU_DEP_1) | instskip(NEXT) | instid1(VALU_DEP_1)
	v_and_or_b32 v6, 0x8000, v6, v9
	v_lshl_or_b32 v9, v6, 16, v0
.LBB285_1942:                           ;   in Loop: Header=BB285_1581 Depth=1
	s_or_b32 exec_lo, exec_lo, s16
.LBB285_1943:                           ;   in Loop: Header=BB285_1581 Depth=1
	s_delay_alu instid0(SALU_CYCLE_1)
	s_or_b32 exec_lo, exec_lo, s15
.LBB285_1944:                           ;   in Loop: Header=BB285_1581 Depth=1
	s_delay_alu instid0(SALU_CYCLE_1) | instskip(SKIP_4) | instid1(VALU_DEP_3)
	s_or_b32 exec_lo, exec_lo, s14
	v_and_b32_e32 v0, 0xff, v65
	v_dual_mov_b32 v6, v65 :: v_dual_mov_b32 v18, 0
	v_mov_b32_e32 v17, 0
	s_mov_b32 s14, exec_lo
	v_cmpx_ne_u16_e32 0, v0
	s_cbranch_execz .LBB285_1952
; %bb.1945:                             ;   in Loop: Header=BB285_1581 Depth=1
	v_mov_b32_e32 v17, 0x8000
	s_mov_b32 s15, exec_lo
	v_cmpx_ne_u16_e32 0x80, v0
	s_cbranch_execz .LBB285_1951
; %bb.1946:                             ;   in Loop: Header=BB285_1581 Depth=1
	v_and_b32_e32 v19, 0x7f, v65
	v_mov_b32_e32 v17, 0x7c01
	s_mov_b32 s16, exec_lo
	s_delay_alu instid0(VALU_DEP_2)
	v_cmpx_ne_u32_e32 0x7f, v19
	s_cbranch_execz .LBB285_1950
; %bb.1947:                             ;   in Loop: Header=BB285_1581 Depth=1
	v_dual_lshrrev_b32 v17, 3, v19 :: v_dual_bitop2_b32 v0, 7, v65 bitop3:0x40
	s_mov_b32 s17, exec_lo
	v_cmpx_gt_u32_e32 8, v19
; %bb.1948:                             ;   in Loop: Header=BB285_1581 Depth=1
	s_delay_alu instid0(VALU_DEP_2) | instskip(NEXT) | instid1(VALU_DEP_1)
	v_clz_i32_u32_e32 v0, v0
	v_min_u32_e32 v0, 32, v0
	s_delay_alu instid0(VALU_DEP_1) | instskip(NEXT) | instid1(VALU_DEP_1)
	v_subrev_nc_u32_e32 v17, 28, v0
	v_lshlrev_b64_e32 v[22:23], v17, v[6:7]
	s_delay_alu instid0(VALU_DEP_1)
	v_dual_sub_nc_u32 v17, 29, v0 :: v_dual_bitop2_b32 v0, 7, v22 bitop3:0x40
; %bb.1949:                             ;   in Loop: Header=BB285_1581 Depth=1
	s_or_b32 exec_lo, exec_lo, s17
	s_delay_alu instid0(VALU_DEP_1) | instskip(NEXT) | instid1(VALU_DEP_2)
	v_dual_lshlrev_b32 v19, 8, v65 :: v_dual_lshlrev_b32 v0, 7, v0
	v_lshl_add_u32 v17, v17, 10, 0x2000
	s_delay_alu instid0(VALU_DEP_2) | instskip(NEXT) | instid1(VALU_DEP_2)
	v_and_b32_e32 v19, 0x8000, v19
	v_and_b32_e32 v17, 0xfc00, v17
	s_delay_alu instid0(VALU_DEP_1)
	v_or3_b32 v17, v19, v17, v0
.LBB285_1950:                           ;   in Loop: Header=BB285_1581 Depth=1
	s_or_b32 exec_lo, exec_lo, s16
.LBB285_1951:                           ;   in Loop: Header=BB285_1581 Depth=1
	s_delay_alu instid0(SALU_CYCLE_1)
	s_or_b32 exec_lo, exec_lo, s15
.LBB285_1952:                           ;   in Loop: Header=BB285_1581 Depth=1
	s_delay_alu instid0(SALU_CYCLE_1) | instskip(SKIP_3) | instid1(VALU_DEP_2)
	s_or_b32 exec_lo, exec_lo, s14
	v_lshrrev_b16 v6, 8, v6
	v_mov_b32_e32 v19, 0
	s_mov_b32 s14, exec_lo
	v_cmpx_ne_u16_e32 0, v6
	s_cbranch_execz .LBB285_1960
; %bb.1953:                             ;   in Loop: Header=BB285_1581 Depth=1
	v_bfrev_b32_e32 v19, 1
	s_mov_b32 s15, exec_lo
	v_cmpx_ne_u16_e32 0x80, v6
	s_cbranch_execz .LBB285_1959
; %bb.1954:                             ;   in Loop: Header=BB285_1581 Depth=1
	v_and_b32_e32 v0, 0xffff, v6
	v_mov_b32_e32 v19, 0x7c010000
	s_mov_b32 s16, exec_lo
	s_delay_alu instid0(VALU_DEP_2) | instskip(NEXT) | instid1(VALU_DEP_1)
	v_and_b32_e32 v23, 0x7f, v0
	v_cmpx_ne_u32_e32 0x7f, v23
	s_cbranch_execz .LBB285_1958
; %bb.1955:                             ;   in Loop: Header=BB285_1581 Depth=1
	v_dual_lshrrev_b32 v22, 3, v23 :: v_dual_bitop2_b32 v19, 7, v0 bitop3:0x40
	s_mov_b32 s17, exec_lo
	v_cmpx_gt_u32_e32 8, v23
; %bb.1956:                             ;   in Loop: Header=BB285_1581 Depth=1
	s_delay_alu instid0(VALU_DEP_2) | instskip(NEXT) | instid1(VALU_DEP_1)
	v_clz_i32_u32_e32 v19, v19
	v_min_u32_e32 v19, 32, v19
	s_delay_alu instid0(VALU_DEP_1) | instskip(NEXT) | instid1(VALU_DEP_1)
	v_subrev_nc_u32_e32 v22, 28, v19
	v_lshlrev_b64_e32 v[66:67], v22, v[6:7]
	s_delay_alu instid0(VALU_DEP_1)
	v_dual_sub_nc_u32 v22, 29, v19 :: v_dual_bitop2_b32 v19, 7, v66 bitop3:0x40
; %bb.1957:                             ;   in Loop: Header=BB285_1581 Depth=1
	s_or_b32 exec_lo, exec_lo, s17
	v_lshlrev_b32_e32 v0, 8, v0
	s_delay_alu instid0(VALU_DEP_2) | instskip(NEXT) | instid1(VALU_DEP_1)
	v_lshl_add_u32 v6, v22, 10, 0x2000
	v_and_or_b32 v0, 0x8000, v0, v6
	v_lshlrev_b32_e32 v6, 23, v19
	s_delay_alu instid0(VALU_DEP_1)
	v_lshl_or_b32 v19, v0, 16, v6
.LBB285_1958:                           ;   in Loop: Header=BB285_1581 Depth=1
	s_or_b32 exec_lo, exec_lo, s16
.LBB285_1959:                           ;   in Loop: Header=BB285_1581 Depth=1
	s_delay_alu instid0(SALU_CYCLE_1)
	s_or_b32 exec_lo, exec_lo, s15
.LBB285_1960:                           ;   in Loop: Header=BB285_1581 Depth=1
	s_delay_alu instid0(SALU_CYCLE_1) | instskip(SKIP_2) | instid1(VALU_DEP_1)
	s_or_b32 exec_lo, exec_lo, s14
	v_lshrrev_b32_e32 v0, 16, v65
	s_mov_b32 s14, exec_lo
	v_and_b32_e32 v6, 0xff, v0
	s_delay_alu instid0(VALU_DEP_1)
	v_cmpx_ne_u16_e32 0, v6
	s_cbranch_execz .LBB285_1968
; %bb.1961:                             ;   in Loop: Header=BB285_1581 Depth=1
	v_mov_b32_e32 v18, 0x8000
	s_mov_b32 s15, exec_lo
	v_cmpx_ne_u16_e32 0x80, v6
	s_cbranch_execz .LBB285_1967
; %bb.1962:                             ;   in Loop: Header=BB285_1581 Depth=1
	v_bfe_u32 v22, v65, 16, 7
	v_mov_b32_e32 v18, 0x7c01
	s_mov_b32 s16, exec_lo
	s_delay_alu instid0(VALU_DEP_2)
	v_cmpx_ne_u32_e32 0x7f, v22
	s_cbranch_execz .LBB285_1966
; %bb.1963:                             ;   in Loop: Header=BB285_1581 Depth=1
	v_dual_lshrrev_b32 v18, 3, v22 :: v_dual_bitop2_b32 v6, 7, v0 bitop3:0x40
	s_mov_b32 s17, exec_lo
	v_cmpx_gt_u32_e32 8, v22
; %bb.1964:                             ;   in Loop: Header=BB285_1581 Depth=1
	s_delay_alu instid0(VALU_DEP_2) | instskip(NEXT) | instid1(VALU_DEP_1)
	v_clz_i32_u32_e32 v6, v6
	v_min_u32_e32 v6, 32, v6
	s_delay_alu instid0(VALU_DEP_1) | instskip(NEXT) | instid1(VALU_DEP_1)
	v_subrev_nc_u32_e32 v18, 28, v6
	v_lshlrev_b64_e32 v[22:23], v18, v[0:1]
	v_sub_nc_u32_e32 v18, 29, v6
	s_delay_alu instid0(VALU_DEP_2)
	v_and_b32_e32 v6, 7, v22
; %bb.1965:                             ;   in Loop: Header=BB285_1581 Depth=1
	s_or_b32 exec_lo, exec_lo, s17
	s_delay_alu instid0(VALU_DEP_1) | instskip(NEXT) | instid1(VALU_DEP_3)
	v_dual_lshlrev_b32 v0, 8, v0 :: v_dual_lshlrev_b32 v6, 7, v6
	v_lshl_add_u32 v18, v18, 10, 0x2000
	s_delay_alu instid0(VALU_DEP_2) | instskip(NEXT) | instid1(VALU_DEP_2)
	v_and_b32_e32 v0, 0x8000, v0
	v_and_b32_e32 v18, 0xfc00, v18
	s_delay_alu instid0(VALU_DEP_1)
	v_or3_b32 v18, v0, v18, v6
.LBB285_1966:                           ;   in Loop: Header=BB285_1581 Depth=1
	s_or_b32 exec_lo, exec_lo, s16
.LBB285_1967:                           ;   in Loop: Header=BB285_1581 Depth=1
	s_delay_alu instid0(SALU_CYCLE_1)
	s_or_b32 exec_lo, exec_lo, s15
.LBB285_1968:                           ;   in Loop: Header=BB285_1581 Depth=1
	s_delay_alu instid0(SALU_CYCLE_1)
	s_or_b32 exec_lo, exec_lo, s14
	v_mov_b32_e32 v0, 0
	s_mov_b32 s14, exec_lo
	v_cmpx_lt_u64_e64 s[2:3], v[64:65]
	s_cbranch_execz .LBB285_1976
; %bb.1969:                             ;   in Loop: Header=BB285_1581 Depth=1
	v_lshrrev_b32_e32 v6, 24, v65
	v_bfrev_b32_e32 v0, 1
	s_mov_b32 s15, exec_lo
	s_delay_alu instid0(VALU_DEP_2)
	v_cmpx_ne_u32_e32 0x80, v6
	s_cbranch_execz .LBB285_1975
; %bb.1970:                             ;   in Loop: Header=BB285_1581 Depth=1
	v_and_b32_e32 v23, 0x7f, v6
	v_mov_b32_e32 v0, 0x7c010000
	s_mov_b32 s16, exec_lo
	s_delay_alu instid0(VALU_DEP_2)
	v_cmpx_ne_u32_e32 0x7f, v23
	s_cbranch_execz .LBB285_1974
; %bb.1971:                             ;   in Loop: Header=BB285_1581 Depth=1
	v_dual_lshrrev_b32 v22, 3, v23 :: v_dual_bitop2_b32 v0, 7, v6 bitop3:0x40
	s_mov_b32 s17, exec_lo
	v_cmpx_gt_u32_e32 8, v23
; %bb.1972:                             ;   in Loop: Header=BB285_1581 Depth=1
	s_delay_alu instid0(VALU_DEP_2) | instskip(NEXT) | instid1(VALU_DEP_1)
	v_clz_i32_u32_e32 v0, v0
	v_min_u32_e32 v0, 32, v0
	s_delay_alu instid0(VALU_DEP_1) | instskip(NEXT) | instid1(VALU_DEP_1)
	v_subrev_nc_u32_e32 v22, 28, v0
	v_lshlrev_b64_e32 v[64:65], v22, v[6:7]
	v_sub_nc_u32_e32 v22, 29, v0
	s_delay_alu instid0(VALU_DEP_2)
	v_and_b32_e32 v0, 7, v64
; %bb.1973:                             ;   in Loop: Header=BB285_1581 Depth=1
	s_or_b32 exec_lo, exec_lo, s17
	s_delay_alu instid0(VALU_DEP_1) | instskip(NEXT) | instid1(VALU_DEP_3)
	v_dual_lshlrev_b32 v6, 8, v6 :: v_dual_lshlrev_b32 v0, 23, v0
	v_lshl_add_u32 v22, v22, 10, 0x2000
	s_delay_alu instid0(VALU_DEP_1) | instskip(NEXT) | instid1(VALU_DEP_1)
	v_and_or_b32 v6, 0x8000, v6, v22
	v_lshl_or_b32 v0, v6, 16, v0
.LBB285_1974:                           ;   in Loop: Header=BB285_1581 Depth=1
	s_or_b32 exec_lo, exec_lo, s16
.LBB285_1975:                           ;   in Loop: Header=BB285_1581 Depth=1
	s_delay_alu instid0(SALU_CYCLE_1)
	s_or_b32 exec_lo, exec_lo, s15
.LBB285_1976:                           ;   in Loop: Header=BB285_1581 Depth=1
	s_delay_alu instid0(SALU_CYCLE_1) | instskip(SKIP_2) | instid1(VALU_DEP_2)
	s_or_b32 exec_lo, exec_lo, s14
	v_dual_lshrrev_b32 v6, 16, v1 :: v_dual_bitop2_b32 v1, v1, v8 bitop3:0x54
	v_dual_lshrrev_b32 v22, 16, v9 :: v_dual_bitop2_b32 v16, v9, v16 bitop3:0x54
	v_cvt_f32_f16_e32 v9, v6
	v_dual_lshrrev_b32 v18, 16, v19 :: v_dual_bitop2_b32 v6, v0, v18 bitop3:0x54
	s_delay_alu instid0(VALU_DEP_3)
	v_cvt_f32_f16_e32 v8, v22
	v_dual_lshrrev_b32 v22, 16, v0 :: v_dual_bitop2_b32 v19, v19, v17 bitop3:0x54
	v_cvt_f32_f16_e32 v0, v16
	v_cvt_f32_f16_e32 v1, v1
	s_wait_loadcnt_dscnt 0x0
	v_pk_mul_f32 v[8:9], v[54:55], v[8:9] op_sel_hi:[0,1]
	v_cvt_f32_f16_e32 v17, v18
	v_cvt_f32_f16_e32 v16, v22
	;; [unrolled: 1-line block ×4, first 2 shown]
	v_pk_mul_f32 v[0:1], v[54:55], v[0:1] op_sel_hi:[0,1]
	v_cvt_pk_f16_f32 v6, v8, v9
	v_pk_mul_f32 v[8:9], v[54:55], v[16:17] op_sel_hi:[0,1]
	s_delay_alu instid0(VALU_DEP_4) | instskip(NEXT) | instid1(VALU_DEP_4)
	v_pk_mul_f32 v[16:17], v[54:55], v[18:19] op_sel_hi:[0,1]
	v_cvt_pk_f16_f32 v0, v0, v1
	s_delay_alu instid0(VALU_DEP_4) | instskip(NEXT) | instid1(VALU_DEP_4)
	v_and_b32_e32 v19, 0xffff0000, v6
	v_cvt_pk_f16_f32 v8, v8, v9
	v_lshlrev_b32_e32 v54, 16, v6
	v_cvt_pk_f16_f32 v6, v16, v17
	v_lshrrev_b32_e32 v67, 16, v0
	v_and_b32_e32 v68, 0xffff, v0
	v_and_b32_e32 v1, 0xffff0000, v8
	s_delay_alu instid0(VALU_DEP_4) | instskip(SKIP_3) | instid1(VALU_DEP_4)
	v_dual_lshlrev_b32 v0, 16, v8 :: v_dual_lshrrev_b32 v9, 16, v6
	v_and_b32_e32 v6, 0xffff, v6
	v_or_b32_e32 v65, v19, v67
	v_or_b32_e32 v66, v54, v68
	;; [unrolled: 1-line block ×3, first 2 shown]
	s_delay_alu instid0(VALU_DEP_4)
	v_or_b32_e32 v64, v0, v6
	s_and_saveexec_b32 s14, vcc_lo
	s_cbranch_execz .LBB285_1978
; %bb.1977:                             ;   in Loop: Header=BB285_1581 Depth=1
	v_cmp_lt_i32_e64 s0, v84, v13
	s_delay_alu instid0(VALU_DEP_1) | instskip(SKIP_1) | instid1(VALU_DEP_1)
	v_cndmask_b32_e64 v8, 0, v67, s0
	v_cmp_lt_i32_e64 s0, v99, v12
	v_cndmask_b32_e64 v16, 0, v68, s0
	v_cmp_lt_i32_e64 s0, v98, v13
	s_delay_alu instid0(VALU_DEP_1) | instskip(SKIP_1) | instid1(VALU_DEP_1)
	v_cndmask_b32_e64 v17, 0, v19, s0
	v_cmp_lt_i32_e64 s0, v97, v12
	v_cndmask_b32_e64 v18, 0, v54, s0
	v_cmp_lt_i32_e64 s0, v96, v13
	s_delay_alu instid0(VALU_DEP_4) | instskip(NEXT) | instid1(VALU_DEP_2)
	v_or_b32_e32 v65, v8, v17
	v_dual_cndmask_b32 v9, 0, v9, s0 :: v_dual_bitop2_b32 v66, v16, v18 bitop3:0x54
	v_cmp_lt_i32_e64 s0, v87, v12
	s_delay_alu instid0(VALU_DEP_1) | instskip(SKIP_1) | instid1(VALU_DEP_1)
	v_cndmask_b32_e64 v6, 0, v6, s0
	v_cmp_lt_i32_e64 s0, v86, v13
	v_cndmask_b32_e64 v1, 0, v1, s0
	v_cmp_lt_i32_e64 s0, v85, v12
	s_delay_alu instid0(VALU_DEP_1) | instskip(NEXT) | instid1(VALU_DEP_1)
	v_dual_cndmask_b32 v0, 0, v0, s0 :: v_dual_bitop2_b32 v55, v9, v1 bitop3:0x54
	v_or_b32_e32 v64, v6, v0
.LBB285_1978:                           ;   in Loop: Header=BB285_1581 Depth=1
	s_or_b32 exec_lo, exec_lo, s14
	;;#ASMSTART
	v_pk_mul_f16 v0, v112, v65;

	;;#ASMEND
	;;#ASMSTART
	v_pk_mul_f16 v1, v102, v66;

	;;#ASMEND
	;; [unrolled: 4-line block ×4, first 2 shown]
	;;#ASMSTART
	v_pk_add_f16 v0, v0, v1;

	;;#ASMEND
	;;#ASMSTART
	v_pk_add_f16 v0, v0, v6;

	;;#ASMEND
	;; [unrolled: 4-line block ×3, first 2 shown]
	v_and_b32_e32 v1, 0xffff, v0
	v_lshrrev_b32_e32 v0, 16, v0
	;;#ASMSTART
	v_cvt_f32_f16 v42, v1;
	;;#ASMEND
	;;#ASMSTART
	v_cvt_f32_f16 v43, v0;
	;;#ASMEND
	flat_load_b64 v[64:65], v[28:29] offset:1536
	scratch_load_b64 v[0:1], off, s32 offset:192 ; 8-byte Folded Reload
	v_mov_b32_e32 v8, 0
	s_mov_b32 s14, exec_lo
	s_wait_loadcnt 0x0
	flat_load_b32 v54, v[0:1]
	s_wait_dscnt 0x1
	s_wait_xcnt 0x0
	v_and_b32_e32 v0, 0xff, v64
	v_mov_b32_e32 v1, 0
	s_delay_alu instid0(VALU_DEP_2)
	v_cmpx_ne_u16_e32 0, v0
	s_cbranch_execz .LBB285_1986
; %bb.1979:                             ;   in Loop: Header=BB285_1581 Depth=1
	v_mov_b32_e32 v8, 0x8000
	s_mov_b32 s15, exec_lo
	v_cmpx_ne_u16_e32 0x80, v0
	s_cbranch_execz .LBB285_1985
; %bb.1980:                             ;   in Loop: Header=BB285_1581 Depth=1
	v_and_b32_e32 v9, 0x7f, v64
	v_mov_b32_e32 v8, 0x7c01
	s_mov_b32 s16, exec_lo
	s_delay_alu instid0(VALU_DEP_2)
	v_cmpx_ne_u32_e32 0x7f, v9
	s_cbranch_execz .LBB285_1984
; %bb.1981:                             ;   in Loop: Header=BB285_1581 Depth=1
	v_dual_lshrrev_b32 v6, 3, v9 :: v_dual_bitop2_b32 v0, 7, v64 bitop3:0x40
	s_mov_b32 s17, exec_lo
	v_cmpx_gt_u32_e32 8, v9
; %bb.1982:                             ;   in Loop: Header=BB285_1581 Depth=1
	s_delay_alu instid0(VALU_DEP_2) | instskip(NEXT) | instid1(VALU_DEP_1)
	v_clz_i32_u32_e32 v0, v0
	v_min_u32_e32 v0, 32, v0
	s_delay_alu instid0(VALU_DEP_1) | instskip(NEXT) | instid1(VALU_DEP_1)
	v_subrev_nc_u32_e32 v6, 28, v0
	v_lshlrev_b64_e32 v[8:9], v6, v[64:65]
	v_sub_nc_u32_e32 v6, 29, v0
	s_delay_alu instid0(VALU_DEP_2)
	v_and_b32_e32 v0, 7, v8
; %bb.1983:                             ;   in Loop: Header=BB285_1581 Depth=1
	s_or_b32 exec_lo, exec_lo, s17
	v_lshlrev_b32_e32 v8, 8, v64
	s_delay_alu instid0(VALU_DEP_3) | instskip(NEXT) | instid1(VALU_DEP_3)
	v_lshl_add_u32 v6, v6, 10, 0x2000
	v_lshlrev_b32_e32 v0, 7, v0
	s_delay_alu instid0(VALU_DEP_3) | instskip(NEXT) | instid1(VALU_DEP_3)
	v_and_b32_e32 v8, 0x8000, v8
	v_and_b32_e32 v6, 0xfc00, v6
	s_delay_alu instid0(VALU_DEP_1)
	v_or3_b32 v8, v8, v6, v0
.LBB285_1984:                           ;   in Loop: Header=BB285_1581 Depth=1
	s_or_b32 exec_lo, exec_lo, s16
.LBB285_1985:                           ;   in Loop: Header=BB285_1581 Depth=1
	s_delay_alu instid0(SALU_CYCLE_1)
	s_or_b32 exec_lo, exec_lo, s15
.LBB285_1986:                           ;   in Loop: Header=BB285_1581 Depth=1
	s_delay_alu instid0(SALU_CYCLE_1) | instskip(SKIP_2) | instid1(VALU_DEP_1)
	s_or_b32 exec_lo, exec_lo, s14
	v_lshrrev_b16 v6, 8, v64
	s_mov_b32 s14, exec_lo
	v_cmpx_ne_u16_e32 0, v6
	s_cbranch_execz .LBB285_1994
; %bb.1987:                             ;   in Loop: Header=BB285_1581 Depth=1
	v_bfrev_b32_e32 v1, 1
	s_mov_b32 s15, exec_lo
	v_cmpx_ne_u16_e32 0x80, v6
	s_cbranch_execz .LBB285_1993
; %bb.1988:                             ;   in Loop: Header=BB285_1581 Depth=1
	v_and_b32_e32 v0, 0xffff, v6
	v_mov_b32_e32 v1, 0x7c010000
	s_mov_b32 s16, exec_lo
	s_delay_alu instid0(VALU_DEP_2) | instskip(NEXT) | instid1(VALU_DEP_1)
	v_and_b32_e32 v16, 0x7f, v0
	v_cmpx_ne_u32_e32 0x7f, v16
	s_cbranch_execz .LBB285_1992
; %bb.1989:                             ;   in Loop: Header=BB285_1581 Depth=1
	v_and_b32_e32 v1, 7, v0
	v_lshrrev_b32_e32 v9, 3, v16
	s_mov_b32 s17, exec_lo
	v_cmpx_gt_u32_e32 8, v16
; %bb.1990:                             ;   in Loop: Header=BB285_1581 Depth=1
	s_delay_alu instid0(VALU_DEP_3) | instskip(NEXT) | instid1(VALU_DEP_1)
	v_clz_i32_u32_e32 v1, v1
	v_min_u32_e32 v1, 32, v1
	s_delay_alu instid0(VALU_DEP_1) | instskip(NEXT) | instid1(VALU_DEP_1)
	v_subrev_nc_u32_e32 v9, 28, v1
	v_lshlrev_b64_e32 v[16:17], v9, v[6:7]
	s_delay_alu instid0(VALU_DEP_1)
	v_dual_sub_nc_u32 v9, 29, v1 :: v_dual_bitop2_b32 v1, 7, v16 bitop3:0x40
; %bb.1991:                             ;   in Loop: Header=BB285_1581 Depth=1
	s_or_b32 exec_lo, exec_lo, s17
	s_delay_alu instid0(VALU_DEP_1) | instskip(NEXT) | instid1(VALU_DEP_2)
	v_dual_lshlrev_b32 v0, 8, v0 :: v_dual_lshlrev_b32 v1, 23, v1
	v_lshl_add_u32 v6, v9, 10, 0x2000
	s_delay_alu instid0(VALU_DEP_1) | instskip(NEXT) | instid1(VALU_DEP_1)
	v_and_or_b32 v0, 0x8000, v0, v6
	v_lshl_or_b32 v1, v0, 16, v1
.LBB285_1992:                           ;   in Loop: Header=BB285_1581 Depth=1
	s_or_b32 exec_lo, exec_lo, s16
.LBB285_1993:                           ;   in Loop: Header=BB285_1581 Depth=1
	s_delay_alu instid0(SALU_CYCLE_1)
	s_or_b32 exec_lo, exec_lo, s15
.LBB285_1994:                           ;   in Loop: Header=BB285_1581 Depth=1
	s_delay_alu instid0(SALU_CYCLE_1) | instskip(SKIP_3) | instid1(VALU_DEP_2)
	s_or_b32 exec_lo, exec_lo, s14
	v_dual_mov_b32 v9, 0 :: v_dual_lshrrev_b32 v0, 16, v64
	v_mov_b32_e32 v16, 0
	s_mov_b32 s14, exec_lo
	v_and_b32_e32 v6, 0xff, v0
	s_delay_alu instid0(VALU_DEP_1)
	v_cmpx_ne_u16_e32 0, v6
	s_cbranch_execz .LBB285_2002
; %bb.1995:                             ;   in Loop: Header=BB285_1581 Depth=1
	v_mov_b32_e32 v16, 0x8000
	s_mov_b32 s15, exec_lo
	v_cmpx_ne_u16_e32 0x80, v6
	s_cbranch_execz .LBB285_2001
; %bb.1996:                             ;   in Loop: Header=BB285_1581 Depth=1
	v_bfe_u32 v17, v64, 16, 7
	v_mov_b32_e32 v16, 0x7c01
	s_mov_b32 s16, exec_lo
	s_delay_alu instid0(VALU_DEP_2)
	v_cmpx_ne_u32_e32 0x7f, v17
	s_cbranch_execz .LBB285_2000
; %bb.1997:                             ;   in Loop: Header=BB285_1581 Depth=1
	v_dual_lshrrev_b32 v16, 3, v17 :: v_dual_bitop2_b32 v6, 7, v0 bitop3:0x40
	s_mov_b32 s17, exec_lo
	v_cmpx_gt_u32_e32 8, v17
; %bb.1998:                             ;   in Loop: Header=BB285_1581 Depth=1
	s_delay_alu instid0(VALU_DEP_2) | instskip(NEXT) | instid1(VALU_DEP_1)
	v_clz_i32_u32_e32 v6, v6
	v_min_u32_e32 v6, 32, v6
	s_delay_alu instid0(VALU_DEP_1) | instskip(NEXT) | instid1(VALU_DEP_1)
	v_subrev_nc_u32_e32 v16, 28, v6
	v_lshlrev_b64_e32 v[18:19], v16, v[0:1]
	v_sub_nc_u32_e32 v16, 29, v6
	s_delay_alu instid0(VALU_DEP_2)
	v_and_b32_e32 v6, 7, v18
; %bb.1999:                             ;   in Loop: Header=BB285_1581 Depth=1
	s_or_b32 exec_lo, exec_lo, s17
	s_delay_alu instid0(VALU_DEP_1) | instskip(NEXT) | instid1(VALU_DEP_3)
	v_dual_lshlrev_b32 v0, 8, v0 :: v_dual_lshlrev_b32 v6, 7, v6
	v_lshl_add_u32 v16, v16, 10, 0x2000
	s_delay_alu instid0(VALU_DEP_2) | instskip(NEXT) | instid1(VALU_DEP_2)
	v_and_b32_e32 v0, 0x8000, v0
	v_and_b32_e32 v16, 0xfc00, v16
	s_delay_alu instid0(VALU_DEP_1)
	v_or3_b32 v16, v0, v16, v6
.LBB285_2000:                           ;   in Loop: Header=BB285_1581 Depth=1
	s_or_b32 exec_lo, exec_lo, s16
.LBB285_2001:                           ;   in Loop: Header=BB285_1581 Depth=1
	s_delay_alu instid0(SALU_CYCLE_1)
	s_or_b32 exec_lo, exec_lo, s15
.LBB285_2002:                           ;   in Loop: Header=BB285_1581 Depth=1
	s_delay_alu instid0(SALU_CYCLE_1) | instskip(NEXT) | instid1(SALU_CYCLE_1)
	s_or_b32 exec_lo, exec_lo, s14
	s_mov_b32 s14, exec_lo
	v_cmpx_lt_u32_e32 0xffffff, v64
	s_cbranch_execz .LBB285_2010
; %bb.2003:                             ;   in Loop: Header=BB285_1581 Depth=1
	v_lshrrev_b32_e32 v6, 24, v64
	v_bfrev_b32_e32 v9, 1
	s_mov_b32 s15, exec_lo
	s_delay_alu instid0(VALU_DEP_2)
	v_cmpx_ne_u32_e32 0x80, v6
	s_cbranch_execz .LBB285_2009
; %bb.2004:                             ;   in Loop: Header=BB285_1581 Depth=1
	v_and_b32_e32 v17, 0x7f, v6
	v_mov_b32_e32 v9, 0x7c010000
	s_mov_b32 s16, exec_lo
	s_delay_alu instid0(VALU_DEP_2)
	v_cmpx_ne_u32_e32 0x7f, v17
	s_cbranch_execz .LBB285_2008
; %bb.2005:                             ;   in Loop: Header=BB285_1581 Depth=1
	v_dual_lshrrev_b32 v9, 3, v17 :: v_dual_bitop2_b32 v0, 7, v6 bitop3:0x40
	s_mov_b32 s17, exec_lo
	v_cmpx_gt_u32_e32 8, v17
; %bb.2006:                             ;   in Loop: Header=BB285_1581 Depth=1
	s_delay_alu instid0(VALU_DEP_2) | instskip(NEXT) | instid1(VALU_DEP_1)
	v_clz_i32_u32_e32 v0, v0
	v_min_u32_e32 v0, 32, v0
	s_delay_alu instid0(VALU_DEP_1) | instskip(NEXT) | instid1(VALU_DEP_1)
	v_subrev_nc_u32_e32 v9, 28, v0
	v_lshlrev_b64_e32 v[18:19], v9, v[6:7]
	s_delay_alu instid0(VALU_DEP_1)
	v_dual_sub_nc_u32 v9, 29, v0 :: v_dual_bitop2_b32 v0, 7, v18 bitop3:0x40
; %bb.2007:                             ;   in Loop: Header=BB285_1581 Depth=1
	s_or_b32 exec_lo, exec_lo, s17
	s_delay_alu instid0(VALU_DEP_1) | instskip(NEXT) | instid1(VALU_DEP_2)
	v_dual_lshlrev_b32 v6, 8, v6 :: v_dual_lshlrev_b32 v0, 23, v0
	v_lshl_add_u32 v9, v9, 10, 0x2000
	s_delay_alu instid0(VALU_DEP_1) | instskip(NEXT) | instid1(VALU_DEP_1)
	v_and_or_b32 v6, 0x8000, v6, v9
	v_lshl_or_b32 v9, v6, 16, v0
.LBB285_2008:                           ;   in Loop: Header=BB285_1581 Depth=1
	s_or_b32 exec_lo, exec_lo, s16
.LBB285_2009:                           ;   in Loop: Header=BB285_1581 Depth=1
	s_delay_alu instid0(SALU_CYCLE_1)
	s_or_b32 exec_lo, exec_lo, s15
.LBB285_2010:                           ;   in Loop: Header=BB285_1581 Depth=1
	s_delay_alu instid0(SALU_CYCLE_1) | instskip(SKIP_4) | instid1(VALU_DEP_3)
	s_or_b32 exec_lo, exec_lo, s14
	v_and_b32_e32 v0, 0xff, v65
	v_dual_mov_b32 v6, v65 :: v_dual_mov_b32 v18, 0
	v_mov_b32_e32 v17, 0
	s_mov_b32 s14, exec_lo
	v_cmpx_ne_u16_e32 0, v0
	s_cbranch_execz .LBB285_2018
; %bb.2011:                             ;   in Loop: Header=BB285_1581 Depth=1
	v_mov_b32_e32 v17, 0x8000
	s_mov_b32 s15, exec_lo
	v_cmpx_ne_u16_e32 0x80, v0
	s_cbranch_execz .LBB285_2017
; %bb.2012:                             ;   in Loop: Header=BB285_1581 Depth=1
	v_and_b32_e32 v19, 0x7f, v65
	v_mov_b32_e32 v17, 0x7c01
	s_mov_b32 s16, exec_lo
	s_delay_alu instid0(VALU_DEP_2)
	v_cmpx_ne_u32_e32 0x7f, v19
	s_cbranch_execz .LBB285_2016
; %bb.2013:                             ;   in Loop: Header=BB285_1581 Depth=1
	v_dual_lshrrev_b32 v17, 3, v19 :: v_dual_bitop2_b32 v0, 7, v65 bitop3:0x40
	s_mov_b32 s17, exec_lo
	v_cmpx_gt_u32_e32 8, v19
; %bb.2014:                             ;   in Loop: Header=BB285_1581 Depth=1
	s_delay_alu instid0(VALU_DEP_2) | instskip(NEXT) | instid1(VALU_DEP_1)
	v_clz_i32_u32_e32 v0, v0
	v_min_u32_e32 v0, 32, v0
	s_delay_alu instid0(VALU_DEP_1) | instskip(NEXT) | instid1(VALU_DEP_1)
	v_subrev_nc_u32_e32 v17, 28, v0
	v_lshlrev_b64_e32 v[22:23], v17, v[6:7]
	s_delay_alu instid0(VALU_DEP_1)
	v_dual_sub_nc_u32 v17, 29, v0 :: v_dual_bitop2_b32 v0, 7, v22 bitop3:0x40
; %bb.2015:                             ;   in Loop: Header=BB285_1581 Depth=1
	s_or_b32 exec_lo, exec_lo, s17
	s_delay_alu instid0(VALU_DEP_1) | instskip(NEXT) | instid1(VALU_DEP_2)
	v_dual_lshlrev_b32 v19, 8, v65 :: v_dual_lshlrev_b32 v0, 7, v0
	v_lshl_add_u32 v17, v17, 10, 0x2000
	s_delay_alu instid0(VALU_DEP_2) | instskip(NEXT) | instid1(VALU_DEP_2)
	v_and_b32_e32 v19, 0x8000, v19
	v_and_b32_e32 v17, 0xfc00, v17
	s_delay_alu instid0(VALU_DEP_1)
	v_or3_b32 v17, v19, v17, v0
.LBB285_2016:                           ;   in Loop: Header=BB285_1581 Depth=1
	s_or_b32 exec_lo, exec_lo, s16
.LBB285_2017:                           ;   in Loop: Header=BB285_1581 Depth=1
	s_delay_alu instid0(SALU_CYCLE_1)
	s_or_b32 exec_lo, exec_lo, s15
.LBB285_2018:                           ;   in Loop: Header=BB285_1581 Depth=1
	s_delay_alu instid0(SALU_CYCLE_1) | instskip(SKIP_3) | instid1(VALU_DEP_2)
	s_or_b32 exec_lo, exec_lo, s14
	v_lshrrev_b16 v6, 8, v6
	v_mov_b32_e32 v19, 0
	s_mov_b32 s14, exec_lo
	v_cmpx_ne_u16_e32 0, v6
	s_cbranch_execz .LBB285_2026
; %bb.2019:                             ;   in Loop: Header=BB285_1581 Depth=1
	v_bfrev_b32_e32 v19, 1
	s_mov_b32 s15, exec_lo
	v_cmpx_ne_u16_e32 0x80, v6
	s_cbranch_execz .LBB285_2025
; %bb.2020:                             ;   in Loop: Header=BB285_1581 Depth=1
	v_and_b32_e32 v0, 0xffff, v6
	v_mov_b32_e32 v19, 0x7c010000
	s_mov_b32 s16, exec_lo
	s_delay_alu instid0(VALU_DEP_2) | instskip(NEXT) | instid1(VALU_DEP_1)
	v_and_b32_e32 v23, 0x7f, v0
	v_cmpx_ne_u32_e32 0x7f, v23
	s_cbranch_execz .LBB285_2024
; %bb.2021:                             ;   in Loop: Header=BB285_1581 Depth=1
	v_dual_lshrrev_b32 v22, 3, v23 :: v_dual_bitop2_b32 v19, 7, v0 bitop3:0x40
	s_mov_b32 s17, exec_lo
	v_cmpx_gt_u32_e32 8, v23
; %bb.2022:                             ;   in Loop: Header=BB285_1581 Depth=1
	s_delay_alu instid0(VALU_DEP_2) | instskip(NEXT) | instid1(VALU_DEP_1)
	v_clz_i32_u32_e32 v19, v19
	v_min_u32_e32 v19, 32, v19
	s_delay_alu instid0(VALU_DEP_1) | instskip(NEXT) | instid1(VALU_DEP_1)
	v_subrev_nc_u32_e32 v22, 28, v19
	v_lshlrev_b64_e32 v[66:67], v22, v[6:7]
	s_delay_alu instid0(VALU_DEP_1)
	v_dual_sub_nc_u32 v22, 29, v19 :: v_dual_bitop2_b32 v19, 7, v66 bitop3:0x40
; %bb.2023:                             ;   in Loop: Header=BB285_1581 Depth=1
	s_or_b32 exec_lo, exec_lo, s17
	v_lshlrev_b32_e32 v0, 8, v0
	s_delay_alu instid0(VALU_DEP_2) | instskip(NEXT) | instid1(VALU_DEP_1)
	v_lshl_add_u32 v6, v22, 10, 0x2000
	v_and_or_b32 v0, 0x8000, v0, v6
	v_lshlrev_b32_e32 v6, 23, v19
	s_delay_alu instid0(VALU_DEP_1)
	v_lshl_or_b32 v19, v0, 16, v6
.LBB285_2024:                           ;   in Loop: Header=BB285_1581 Depth=1
	s_or_b32 exec_lo, exec_lo, s16
.LBB285_2025:                           ;   in Loop: Header=BB285_1581 Depth=1
	s_delay_alu instid0(SALU_CYCLE_1)
	s_or_b32 exec_lo, exec_lo, s15
.LBB285_2026:                           ;   in Loop: Header=BB285_1581 Depth=1
	s_delay_alu instid0(SALU_CYCLE_1) | instskip(SKIP_2) | instid1(VALU_DEP_1)
	s_or_b32 exec_lo, exec_lo, s14
	v_lshrrev_b32_e32 v0, 16, v65
	s_mov_b32 s14, exec_lo
	v_and_b32_e32 v6, 0xff, v0
	s_delay_alu instid0(VALU_DEP_1)
	v_cmpx_ne_u16_e32 0, v6
	s_cbranch_execz .LBB285_2034
; %bb.2027:                             ;   in Loop: Header=BB285_1581 Depth=1
	v_mov_b32_e32 v18, 0x8000
	s_mov_b32 s15, exec_lo
	v_cmpx_ne_u16_e32 0x80, v6
	s_cbranch_execz .LBB285_2033
; %bb.2028:                             ;   in Loop: Header=BB285_1581 Depth=1
	v_bfe_u32 v22, v65, 16, 7
	v_mov_b32_e32 v18, 0x7c01
	s_mov_b32 s16, exec_lo
	s_delay_alu instid0(VALU_DEP_2)
	v_cmpx_ne_u32_e32 0x7f, v22
	s_cbranch_execz .LBB285_2032
; %bb.2029:                             ;   in Loop: Header=BB285_1581 Depth=1
	v_dual_lshrrev_b32 v18, 3, v22 :: v_dual_bitop2_b32 v6, 7, v0 bitop3:0x40
	s_mov_b32 s17, exec_lo
	v_cmpx_gt_u32_e32 8, v22
; %bb.2030:                             ;   in Loop: Header=BB285_1581 Depth=1
	s_delay_alu instid0(VALU_DEP_2) | instskip(NEXT) | instid1(VALU_DEP_1)
	v_clz_i32_u32_e32 v6, v6
	v_min_u32_e32 v6, 32, v6
	s_delay_alu instid0(VALU_DEP_1) | instskip(NEXT) | instid1(VALU_DEP_1)
	v_subrev_nc_u32_e32 v18, 28, v6
	v_lshlrev_b64_e32 v[22:23], v18, v[0:1]
	v_sub_nc_u32_e32 v18, 29, v6
	s_delay_alu instid0(VALU_DEP_2)
	v_and_b32_e32 v6, 7, v22
; %bb.2031:                             ;   in Loop: Header=BB285_1581 Depth=1
	s_or_b32 exec_lo, exec_lo, s17
	s_delay_alu instid0(VALU_DEP_1) | instskip(NEXT) | instid1(VALU_DEP_3)
	v_dual_lshlrev_b32 v0, 8, v0 :: v_dual_lshlrev_b32 v6, 7, v6
	v_lshl_add_u32 v18, v18, 10, 0x2000
	s_delay_alu instid0(VALU_DEP_2) | instskip(NEXT) | instid1(VALU_DEP_2)
	v_and_b32_e32 v0, 0x8000, v0
	v_and_b32_e32 v18, 0xfc00, v18
	s_delay_alu instid0(VALU_DEP_1)
	v_or3_b32 v18, v0, v18, v6
.LBB285_2032:                           ;   in Loop: Header=BB285_1581 Depth=1
	s_or_b32 exec_lo, exec_lo, s16
.LBB285_2033:                           ;   in Loop: Header=BB285_1581 Depth=1
	s_delay_alu instid0(SALU_CYCLE_1)
	s_or_b32 exec_lo, exec_lo, s15
.LBB285_2034:                           ;   in Loop: Header=BB285_1581 Depth=1
	s_delay_alu instid0(SALU_CYCLE_1)
	s_or_b32 exec_lo, exec_lo, s14
	v_mov_b32_e32 v0, 0
	s_mov_b32 s14, exec_lo
	v_cmpx_lt_u64_e64 s[2:3], v[64:65]
	s_cbranch_execz .LBB285_2042
; %bb.2035:                             ;   in Loop: Header=BB285_1581 Depth=1
	v_lshrrev_b32_e32 v6, 24, v65
	v_bfrev_b32_e32 v0, 1
	s_mov_b32 s15, exec_lo
	s_delay_alu instid0(VALU_DEP_2)
	v_cmpx_ne_u32_e32 0x80, v6
	s_cbranch_execz .LBB285_2041
; %bb.2036:                             ;   in Loop: Header=BB285_1581 Depth=1
	v_and_b32_e32 v23, 0x7f, v6
	v_mov_b32_e32 v0, 0x7c010000
	s_mov_b32 s16, exec_lo
	s_delay_alu instid0(VALU_DEP_2)
	v_cmpx_ne_u32_e32 0x7f, v23
	s_cbranch_execz .LBB285_2040
; %bb.2037:                             ;   in Loop: Header=BB285_1581 Depth=1
	v_dual_lshrrev_b32 v22, 3, v23 :: v_dual_bitop2_b32 v0, 7, v6 bitop3:0x40
	s_mov_b32 s17, exec_lo
	v_cmpx_gt_u32_e32 8, v23
; %bb.2038:                             ;   in Loop: Header=BB285_1581 Depth=1
	s_delay_alu instid0(VALU_DEP_2) | instskip(NEXT) | instid1(VALU_DEP_1)
	v_clz_i32_u32_e32 v0, v0
	v_min_u32_e32 v0, 32, v0
	s_delay_alu instid0(VALU_DEP_1) | instskip(NEXT) | instid1(VALU_DEP_1)
	v_subrev_nc_u32_e32 v22, 28, v0
	v_lshlrev_b64_e32 v[64:65], v22, v[6:7]
	v_sub_nc_u32_e32 v22, 29, v0
	s_delay_alu instid0(VALU_DEP_2)
	v_and_b32_e32 v0, 7, v64
; %bb.2039:                             ;   in Loop: Header=BB285_1581 Depth=1
	s_or_b32 exec_lo, exec_lo, s17
	s_delay_alu instid0(VALU_DEP_1) | instskip(NEXT) | instid1(VALU_DEP_3)
	v_dual_lshlrev_b32 v6, 8, v6 :: v_dual_lshlrev_b32 v0, 23, v0
	v_lshl_add_u32 v22, v22, 10, 0x2000
	s_delay_alu instid0(VALU_DEP_1) | instskip(NEXT) | instid1(VALU_DEP_1)
	v_and_or_b32 v6, 0x8000, v6, v22
	v_lshl_or_b32 v0, v6, 16, v0
.LBB285_2040:                           ;   in Loop: Header=BB285_1581 Depth=1
	s_or_b32 exec_lo, exec_lo, s16
.LBB285_2041:                           ;   in Loop: Header=BB285_1581 Depth=1
	s_delay_alu instid0(SALU_CYCLE_1)
	s_or_b32 exec_lo, exec_lo, s15
.LBB285_2042:                           ;   in Loop: Header=BB285_1581 Depth=1
	s_delay_alu instid0(SALU_CYCLE_1) | instskip(SKIP_2) | instid1(VALU_DEP_2)
	s_or_b32 exec_lo, exec_lo, s14
	v_dual_lshrrev_b32 v6, 16, v1 :: v_dual_bitop2_b32 v1, v1, v8 bitop3:0x54
	v_dual_lshrrev_b32 v22, 16, v9 :: v_dual_bitop2_b32 v16, v9, v16 bitop3:0x54
	v_cvt_f32_f16_e32 v9, v6
	v_dual_lshrrev_b32 v18, 16, v19 :: v_dual_bitop2_b32 v6, v0, v18 bitop3:0x54
	s_delay_alu instid0(VALU_DEP_3)
	v_cvt_f32_f16_e32 v8, v22
	v_dual_lshrrev_b32 v22, 16, v0 :: v_dual_bitop2_b32 v19, v19, v17 bitop3:0x54
	v_cvt_f32_f16_e32 v0, v16
	v_cvt_f32_f16_e32 v1, v1
	s_wait_loadcnt_dscnt 0x0
	v_pk_mul_f32 v[8:9], v[54:55], v[8:9] op_sel_hi:[0,1]
	v_cvt_f32_f16_e32 v17, v18
	v_cvt_f32_f16_e32 v16, v22
	;; [unrolled: 1-line block ×4, first 2 shown]
	v_pk_mul_f32 v[0:1], v[54:55], v[0:1] op_sel_hi:[0,1]
	v_cvt_pk_f16_f32 v6, v8, v9
	v_pk_mul_f32 v[8:9], v[54:55], v[16:17] op_sel_hi:[0,1]
	s_delay_alu instid0(VALU_DEP_4) | instskip(NEXT) | instid1(VALU_DEP_4)
	v_pk_mul_f32 v[16:17], v[54:55], v[18:19] op_sel_hi:[0,1]
	v_cvt_pk_f16_f32 v0, v0, v1
	s_delay_alu instid0(VALU_DEP_4) | instskip(NEXT) | instid1(VALU_DEP_4)
	v_and_b32_e32 v19, 0xffff0000, v6
	v_cvt_pk_f16_f32 v8, v8, v9
	v_lshlrev_b32_e32 v54, 16, v6
	v_cvt_pk_f16_f32 v6, v16, v17
	v_lshrrev_b32_e32 v67, 16, v0
	v_and_b32_e32 v68, 0xffff, v0
	v_and_b32_e32 v1, 0xffff0000, v8
	s_delay_alu instid0(VALU_DEP_4) | instskip(SKIP_3) | instid1(VALU_DEP_4)
	v_dual_lshlrev_b32 v0, 16, v8 :: v_dual_lshrrev_b32 v9, 16, v6
	v_and_b32_e32 v6, 0xffff, v6
	v_or_b32_e32 v65, v19, v67
	v_or_b32_e32 v66, v54, v68
	;; [unrolled: 1-line block ×3, first 2 shown]
	s_delay_alu instid0(VALU_DEP_4)
	v_or_b32_e32 v64, v0, v6
	s_and_saveexec_b32 s14, vcc_lo
	s_cbranch_execz .LBB285_2044
; %bb.2043:                             ;   in Loop: Header=BB285_1581 Depth=1
	v_cmp_lt_i32_e64 s0, v84, v13
	s_delay_alu instid0(VALU_DEP_1) | instskip(SKIP_1) | instid1(VALU_DEP_1)
	v_cndmask_b32_e64 v8, 0, v67, s0
	v_cmp_lt_i32_e64 s0, v99, v12
	v_cndmask_b32_e64 v16, 0, v68, s0
	v_cmp_lt_i32_e64 s0, v98, v13
	s_delay_alu instid0(VALU_DEP_1) | instskip(SKIP_1) | instid1(VALU_DEP_1)
	v_cndmask_b32_e64 v17, 0, v19, s0
	v_cmp_lt_i32_e64 s0, v97, v12
	v_cndmask_b32_e64 v18, 0, v54, s0
	v_cmp_lt_i32_e64 s0, v96, v13
	s_delay_alu instid0(VALU_DEP_4) | instskip(NEXT) | instid1(VALU_DEP_2)
	v_or_b32_e32 v65, v8, v17
	v_dual_cndmask_b32 v9, 0, v9, s0 :: v_dual_bitop2_b32 v66, v16, v18 bitop3:0x54
	v_cmp_lt_i32_e64 s0, v87, v12
	s_delay_alu instid0(VALU_DEP_1) | instskip(SKIP_1) | instid1(VALU_DEP_1)
	v_cndmask_b32_e64 v6, 0, v6, s0
	v_cmp_lt_i32_e64 s0, v86, v13
	v_cndmask_b32_e64 v1, 0, v1, s0
	v_cmp_lt_i32_e64 s0, v85, v12
	s_delay_alu instid0(VALU_DEP_1) | instskip(NEXT) | instid1(VALU_DEP_1)
	v_dual_cndmask_b32 v0, 0, v0, s0 :: v_dual_bitop2_b32 v55, v9, v1 bitop3:0x54
	v_or_b32_e32 v64, v6, v0
.LBB285_2044:                           ;   in Loop: Header=BB285_1581 Depth=1
	s_or_b32 exec_lo, exec_lo, s14
	;;#ASMSTART
	v_pk_mul_f16 v0, v112, v65;

	;;#ASMEND
	;;#ASMSTART
	v_pk_mul_f16 v1, v102, v66;

	;;#ASMEND
	;; [unrolled: 4-line block ×4, first 2 shown]
	;;#ASMSTART
	v_pk_add_f16 v0, v0, v1;

	;;#ASMEND
	;;#ASMSTART
	v_pk_add_f16 v0, v0, v6;

	;;#ASMEND
	;; [unrolled: 4-line block ×3, first 2 shown]
	v_and_b32_e32 v1, 0xffff, v0
	v_lshrrev_b32_e32 v0, 16, v0
	;;#ASMSTART
	v_cvt_f32_f16 v44, v1;
	;;#ASMEND
	;;#ASMSTART
	v_cvt_f32_f16 v45, v0;
	;;#ASMEND
	flat_load_b64 v[64:65], v[28:29] offset:1792
	scratch_load_b64 v[0:1], off, s32 offset:192 ; 8-byte Folded Reload
	v_mov_b32_e32 v8, 0
	s_mov_b32 s14, exec_lo
	s_wait_loadcnt 0x0
	flat_load_b32 v54, v[0:1]
	s_wait_dscnt 0x1
	s_wait_xcnt 0x0
	v_and_b32_e32 v0, 0xff, v64
	v_mov_b32_e32 v1, 0
	s_delay_alu instid0(VALU_DEP_2)
	v_cmpx_ne_u16_e32 0, v0
	s_cbranch_execz .LBB285_2052
; %bb.2045:                             ;   in Loop: Header=BB285_1581 Depth=1
	v_mov_b32_e32 v8, 0x8000
	s_mov_b32 s15, exec_lo
	v_cmpx_ne_u16_e32 0x80, v0
	s_cbranch_execz .LBB285_2051
; %bb.2046:                             ;   in Loop: Header=BB285_1581 Depth=1
	v_and_b32_e32 v9, 0x7f, v64
	v_mov_b32_e32 v8, 0x7c01
	s_mov_b32 s16, exec_lo
	s_delay_alu instid0(VALU_DEP_2)
	v_cmpx_ne_u32_e32 0x7f, v9
	s_cbranch_execz .LBB285_2050
; %bb.2047:                             ;   in Loop: Header=BB285_1581 Depth=1
	v_dual_lshrrev_b32 v6, 3, v9 :: v_dual_bitop2_b32 v0, 7, v64 bitop3:0x40
	s_mov_b32 s17, exec_lo
	v_cmpx_gt_u32_e32 8, v9
; %bb.2048:                             ;   in Loop: Header=BB285_1581 Depth=1
	s_delay_alu instid0(VALU_DEP_2) | instskip(NEXT) | instid1(VALU_DEP_1)
	v_clz_i32_u32_e32 v0, v0
	v_min_u32_e32 v0, 32, v0
	s_delay_alu instid0(VALU_DEP_1) | instskip(NEXT) | instid1(VALU_DEP_1)
	v_subrev_nc_u32_e32 v6, 28, v0
	v_lshlrev_b64_e32 v[8:9], v6, v[64:65]
	v_sub_nc_u32_e32 v6, 29, v0
	s_delay_alu instid0(VALU_DEP_2)
	v_and_b32_e32 v0, 7, v8
; %bb.2049:                             ;   in Loop: Header=BB285_1581 Depth=1
	s_or_b32 exec_lo, exec_lo, s17
	v_lshlrev_b32_e32 v8, 8, v64
	s_delay_alu instid0(VALU_DEP_3) | instskip(NEXT) | instid1(VALU_DEP_3)
	v_lshl_add_u32 v6, v6, 10, 0x2000
	v_lshlrev_b32_e32 v0, 7, v0
	s_delay_alu instid0(VALU_DEP_3) | instskip(NEXT) | instid1(VALU_DEP_3)
	v_and_b32_e32 v8, 0x8000, v8
	v_and_b32_e32 v6, 0xfc00, v6
	s_delay_alu instid0(VALU_DEP_1)
	v_or3_b32 v8, v8, v6, v0
.LBB285_2050:                           ;   in Loop: Header=BB285_1581 Depth=1
	s_or_b32 exec_lo, exec_lo, s16
.LBB285_2051:                           ;   in Loop: Header=BB285_1581 Depth=1
	s_delay_alu instid0(SALU_CYCLE_1)
	s_or_b32 exec_lo, exec_lo, s15
.LBB285_2052:                           ;   in Loop: Header=BB285_1581 Depth=1
	s_delay_alu instid0(SALU_CYCLE_1) | instskip(SKIP_2) | instid1(VALU_DEP_1)
	s_or_b32 exec_lo, exec_lo, s14
	v_lshrrev_b16 v6, 8, v64
	s_mov_b32 s14, exec_lo
	v_cmpx_ne_u16_e32 0, v6
	s_cbranch_execz .LBB285_2060
; %bb.2053:                             ;   in Loop: Header=BB285_1581 Depth=1
	v_bfrev_b32_e32 v1, 1
	s_mov_b32 s15, exec_lo
	v_cmpx_ne_u16_e32 0x80, v6
	s_cbranch_execz .LBB285_2059
; %bb.2054:                             ;   in Loop: Header=BB285_1581 Depth=1
	v_and_b32_e32 v0, 0xffff, v6
	v_mov_b32_e32 v1, 0x7c010000
	s_mov_b32 s16, exec_lo
	s_delay_alu instid0(VALU_DEP_2) | instskip(NEXT) | instid1(VALU_DEP_1)
	v_and_b32_e32 v16, 0x7f, v0
	v_cmpx_ne_u32_e32 0x7f, v16
	s_cbranch_execz .LBB285_2058
; %bb.2055:                             ;   in Loop: Header=BB285_1581 Depth=1
	v_and_b32_e32 v1, 7, v0
	v_lshrrev_b32_e32 v9, 3, v16
	s_mov_b32 s17, exec_lo
	v_cmpx_gt_u32_e32 8, v16
; %bb.2056:                             ;   in Loop: Header=BB285_1581 Depth=1
	s_delay_alu instid0(VALU_DEP_3) | instskip(NEXT) | instid1(VALU_DEP_1)
	v_clz_i32_u32_e32 v1, v1
	v_min_u32_e32 v1, 32, v1
	s_delay_alu instid0(VALU_DEP_1) | instskip(NEXT) | instid1(VALU_DEP_1)
	v_subrev_nc_u32_e32 v9, 28, v1
	v_lshlrev_b64_e32 v[16:17], v9, v[6:7]
	s_delay_alu instid0(VALU_DEP_1)
	v_dual_sub_nc_u32 v9, 29, v1 :: v_dual_bitop2_b32 v1, 7, v16 bitop3:0x40
; %bb.2057:                             ;   in Loop: Header=BB285_1581 Depth=1
	s_or_b32 exec_lo, exec_lo, s17
	s_delay_alu instid0(VALU_DEP_1) | instskip(NEXT) | instid1(VALU_DEP_2)
	v_dual_lshlrev_b32 v0, 8, v0 :: v_dual_lshlrev_b32 v1, 23, v1
	v_lshl_add_u32 v6, v9, 10, 0x2000
	s_delay_alu instid0(VALU_DEP_1) | instskip(NEXT) | instid1(VALU_DEP_1)
	v_and_or_b32 v0, 0x8000, v0, v6
	v_lshl_or_b32 v1, v0, 16, v1
.LBB285_2058:                           ;   in Loop: Header=BB285_1581 Depth=1
	s_or_b32 exec_lo, exec_lo, s16
.LBB285_2059:                           ;   in Loop: Header=BB285_1581 Depth=1
	s_delay_alu instid0(SALU_CYCLE_1)
	s_or_b32 exec_lo, exec_lo, s15
.LBB285_2060:                           ;   in Loop: Header=BB285_1581 Depth=1
	s_delay_alu instid0(SALU_CYCLE_1) | instskip(SKIP_3) | instid1(VALU_DEP_2)
	s_or_b32 exec_lo, exec_lo, s14
	v_dual_mov_b32 v9, 0 :: v_dual_lshrrev_b32 v0, 16, v64
	v_mov_b32_e32 v16, 0
	s_mov_b32 s14, exec_lo
	v_and_b32_e32 v6, 0xff, v0
	s_delay_alu instid0(VALU_DEP_1)
	v_cmpx_ne_u16_e32 0, v6
	s_cbranch_execz .LBB285_2068
; %bb.2061:                             ;   in Loop: Header=BB285_1581 Depth=1
	v_mov_b32_e32 v16, 0x8000
	s_mov_b32 s15, exec_lo
	v_cmpx_ne_u16_e32 0x80, v6
	s_cbranch_execz .LBB285_2067
; %bb.2062:                             ;   in Loop: Header=BB285_1581 Depth=1
	v_bfe_u32 v17, v64, 16, 7
	v_mov_b32_e32 v16, 0x7c01
	s_mov_b32 s16, exec_lo
	s_delay_alu instid0(VALU_DEP_2)
	v_cmpx_ne_u32_e32 0x7f, v17
	s_cbranch_execz .LBB285_2066
; %bb.2063:                             ;   in Loop: Header=BB285_1581 Depth=1
	v_dual_lshrrev_b32 v16, 3, v17 :: v_dual_bitop2_b32 v6, 7, v0 bitop3:0x40
	s_mov_b32 s17, exec_lo
	v_cmpx_gt_u32_e32 8, v17
; %bb.2064:                             ;   in Loop: Header=BB285_1581 Depth=1
	s_delay_alu instid0(VALU_DEP_2) | instskip(NEXT) | instid1(VALU_DEP_1)
	v_clz_i32_u32_e32 v6, v6
	v_min_u32_e32 v6, 32, v6
	s_delay_alu instid0(VALU_DEP_1) | instskip(NEXT) | instid1(VALU_DEP_1)
	v_subrev_nc_u32_e32 v16, 28, v6
	v_lshlrev_b64_e32 v[18:19], v16, v[0:1]
	v_sub_nc_u32_e32 v16, 29, v6
	s_delay_alu instid0(VALU_DEP_2)
	v_and_b32_e32 v6, 7, v18
; %bb.2065:                             ;   in Loop: Header=BB285_1581 Depth=1
	s_or_b32 exec_lo, exec_lo, s17
	s_delay_alu instid0(VALU_DEP_1) | instskip(NEXT) | instid1(VALU_DEP_3)
	v_dual_lshlrev_b32 v0, 8, v0 :: v_dual_lshlrev_b32 v6, 7, v6
	v_lshl_add_u32 v16, v16, 10, 0x2000
	s_delay_alu instid0(VALU_DEP_2) | instskip(NEXT) | instid1(VALU_DEP_2)
	v_and_b32_e32 v0, 0x8000, v0
	v_and_b32_e32 v16, 0xfc00, v16
	s_delay_alu instid0(VALU_DEP_1)
	v_or3_b32 v16, v0, v16, v6
.LBB285_2066:                           ;   in Loop: Header=BB285_1581 Depth=1
	s_or_b32 exec_lo, exec_lo, s16
.LBB285_2067:                           ;   in Loop: Header=BB285_1581 Depth=1
	s_delay_alu instid0(SALU_CYCLE_1)
	s_or_b32 exec_lo, exec_lo, s15
.LBB285_2068:                           ;   in Loop: Header=BB285_1581 Depth=1
	s_delay_alu instid0(SALU_CYCLE_1) | instskip(NEXT) | instid1(SALU_CYCLE_1)
	s_or_b32 exec_lo, exec_lo, s14
	s_mov_b32 s14, exec_lo
	v_cmpx_lt_u32_e32 0xffffff, v64
	s_cbranch_execz .LBB285_2076
; %bb.2069:                             ;   in Loop: Header=BB285_1581 Depth=1
	v_lshrrev_b32_e32 v6, 24, v64
	v_bfrev_b32_e32 v9, 1
	s_mov_b32 s15, exec_lo
	s_delay_alu instid0(VALU_DEP_2)
	v_cmpx_ne_u32_e32 0x80, v6
	s_cbranch_execz .LBB285_2075
; %bb.2070:                             ;   in Loop: Header=BB285_1581 Depth=1
	v_and_b32_e32 v17, 0x7f, v6
	v_mov_b32_e32 v9, 0x7c010000
	s_mov_b32 s16, exec_lo
	s_delay_alu instid0(VALU_DEP_2)
	v_cmpx_ne_u32_e32 0x7f, v17
	s_cbranch_execz .LBB285_2074
; %bb.2071:                             ;   in Loop: Header=BB285_1581 Depth=1
	v_dual_lshrrev_b32 v9, 3, v17 :: v_dual_bitop2_b32 v0, 7, v6 bitop3:0x40
	s_mov_b32 s17, exec_lo
	v_cmpx_gt_u32_e32 8, v17
; %bb.2072:                             ;   in Loop: Header=BB285_1581 Depth=1
	s_delay_alu instid0(VALU_DEP_2) | instskip(NEXT) | instid1(VALU_DEP_1)
	v_clz_i32_u32_e32 v0, v0
	v_min_u32_e32 v0, 32, v0
	s_delay_alu instid0(VALU_DEP_1) | instskip(NEXT) | instid1(VALU_DEP_1)
	v_subrev_nc_u32_e32 v9, 28, v0
	v_lshlrev_b64_e32 v[18:19], v9, v[6:7]
	s_delay_alu instid0(VALU_DEP_1)
	v_dual_sub_nc_u32 v9, 29, v0 :: v_dual_bitop2_b32 v0, 7, v18 bitop3:0x40
; %bb.2073:                             ;   in Loop: Header=BB285_1581 Depth=1
	s_or_b32 exec_lo, exec_lo, s17
	s_delay_alu instid0(VALU_DEP_1) | instskip(NEXT) | instid1(VALU_DEP_2)
	v_dual_lshlrev_b32 v6, 8, v6 :: v_dual_lshlrev_b32 v0, 23, v0
	v_lshl_add_u32 v9, v9, 10, 0x2000
	s_delay_alu instid0(VALU_DEP_1) | instskip(NEXT) | instid1(VALU_DEP_1)
	v_and_or_b32 v6, 0x8000, v6, v9
	v_lshl_or_b32 v9, v6, 16, v0
.LBB285_2074:                           ;   in Loop: Header=BB285_1581 Depth=1
	s_or_b32 exec_lo, exec_lo, s16
.LBB285_2075:                           ;   in Loop: Header=BB285_1581 Depth=1
	s_delay_alu instid0(SALU_CYCLE_1)
	s_or_b32 exec_lo, exec_lo, s15
.LBB285_2076:                           ;   in Loop: Header=BB285_1581 Depth=1
	s_delay_alu instid0(SALU_CYCLE_1) | instskip(SKIP_4) | instid1(VALU_DEP_3)
	s_or_b32 exec_lo, exec_lo, s14
	v_and_b32_e32 v0, 0xff, v65
	v_dual_mov_b32 v6, v65 :: v_dual_mov_b32 v18, 0
	v_mov_b32_e32 v17, 0
	s_mov_b32 s14, exec_lo
	v_cmpx_ne_u16_e32 0, v0
	s_cbranch_execz .LBB285_2084
; %bb.2077:                             ;   in Loop: Header=BB285_1581 Depth=1
	v_mov_b32_e32 v17, 0x8000
	s_mov_b32 s15, exec_lo
	v_cmpx_ne_u16_e32 0x80, v0
	s_cbranch_execz .LBB285_2083
; %bb.2078:                             ;   in Loop: Header=BB285_1581 Depth=1
	v_and_b32_e32 v19, 0x7f, v65
	v_mov_b32_e32 v17, 0x7c01
	s_mov_b32 s16, exec_lo
	s_delay_alu instid0(VALU_DEP_2)
	v_cmpx_ne_u32_e32 0x7f, v19
	s_cbranch_execz .LBB285_2082
; %bb.2079:                             ;   in Loop: Header=BB285_1581 Depth=1
	v_dual_lshrrev_b32 v17, 3, v19 :: v_dual_bitop2_b32 v0, 7, v65 bitop3:0x40
	s_mov_b32 s17, exec_lo
	v_cmpx_gt_u32_e32 8, v19
; %bb.2080:                             ;   in Loop: Header=BB285_1581 Depth=1
	s_delay_alu instid0(VALU_DEP_2) | instskip(NEXT) | instid1(VALU_DEP_1)
	v_clz_i32_u32_e32 v0, v0
	v_min_u32_e32 v0, 32, v0
	s_delay_alu instid0(VALU_DEP_1) | instskip(NEXT) | instid1(VALU_DEP_1)
	v_subrev_nc_u32_e32 v17, 28, v0
	v_lshlrev_b64_e32 v[22:23], v17, v[6:7]
	s_delay_alu instid0(VALU_DEP_1)
	v_dual_sub_nc_u32 v17, 29, v0 :: v_dual_bitop2_b32 v0, 7, v22 bitop3:0x40
; %bb.2081:                             ;   in Loop: Header=BB285_1581 Depth=1
	s_or_b32 exec_lo, exec_lo, s17
	s_delay_alu instid0(VALU_DEP_1) | instskip(NEXT) | instid1(VALU_DEP_2)
	v_dual_lshlrev_b32 v19, 8, v65 :: v_dual_lshlrev_b32 v0, 7, v0
	v_lshl_add_u32 v17, v17, 10, 0x2000
	s_delay_alu instid0(VALU_DEP_2) | instskip(NEXT) | instid1(VALU_DEP_2)
	v_and_b32_e32 v19, 0x8000, v19
	v_and_b32_e32 v17, 0xfc00, v17
	s_delay_alu instid0(VALU_DEP_1)
	v_or3_b32 v17, v19, v17, v0
.LBB285_2082:                           ;   in Loop: Header=BB285_1581 Depth=1
	s_or_b32 exec_lo, exec_lo, s16
.LBB285_2083:                           ;   in Loop: Header=BB285_1581 Depth=1
	s_delay_alu instid0(SALU_CYCLE_1)
	s_or_b32 exec_lo, exec_lo, s15
.LBB285_2084:                           ;   in Loop: Header=BB285_1581 Depth=1
	s_delay_alu instid0(SALU_CYCLE_1) | instskip(SKIP_3) | instid1(VALU_DEP_2)
	s_or_b32 exec_lo, exec_lo, s14
	v_lshrrev_b16 v6, 8, v6
	v_mov_b32_e32 v19, 0
	s_mov_b32 s14, exec_lo
	v_cmpx_ne_u16_e32 0, v6
	s_cbranch_execz .LBB285_2092
; %bb.2085:                             ;   in Loop: Header=BB285_1581 Depth=1
	v_bfrev_b32_e32 v19, 1
	s_mov_b32 s15, exec_lo
	v_cmpx_ne_u16_e32 0x80, v6
	s_cbranch_execz .LBB285_2091
; %bb.2086:                             ;   in Loop: Header=BB285_1581 Depth=1
	v_and_b32_e32 v0, 0xffff, v6
	v_mov_b32_e32 v19, 0x7c010000
	s_mov_b32 s16, exec_lo
	s_delay_alu instid0(VALU_DEP_2) | instskip(NEXT) | instid1(VALU_DEP_1)
	v_and_b32_e32 v23, 0x7f, v0
	v_cmpx_ne_u32_e32 0x7f, v23
	s_cbranch_execz .LBB285_2090
; %bb.2087:                             ;   in Loop: Header=BB285_1581 Depth=1
	v_dual_lshrrev_b32 v22, 3, v23 :: v_dual_bitop2_b32 v19, 7, v0 bitop3:0x40
	s_mov_b32 s17, exec_lo
	v_cmpx_gt_u32_e32 8, v23
; %bb.2088:                             ;   in Loop: Header=BB285_1581 Depth=1
	s_delay_alu instid0(VALU_DEP_2) | instskip(NEXT) | instid1(VALU_DEP_1)
	v_clz_i32_u32_e32 v19, v19
	v_min_u32_e32 v19, 32, v19
	s_delay_alu instid0(VALU_DEP_1) | instskip(NEXT) | instid1(VALU_DEP_1)
	v_subrev_nc_u32_e32 v22, 28, v19
	v_lshlrev_b64_e32 v[66:67], v22, v[6:7]
	s_delay_alu instid0(VALU_DEP_1)
	v_dual_sub_nc_u32 v22, 29, v19 :: v_dual_bitop2_b32 v19, 7, v66 bitop3:0x40
; %bb.2089:                             ;   in Loop: Header=BB285_1581 Depth=1
	s_or_b32 exec_lo, exec_lo, s17
	v_lshlrev_b32_e32 v0, 8, v0
	s_delay_alu instid0(VALU_DEP_2) | instskip(NEXT) | instid1(VALU_DEP_1)
	v_lshl_add_u32 v6, v22, 10, 0x2000
	v_and_or_b32 v0, 0x8000, v0, v6
	v_lshlrev_b32_e32 v6, 23, v19
	s_delay_alu instid0(VALU_DEP_1)
	v_lshl_or_b32 v19, v0, 16, v6
.LBB285_2090:                           ;   in Loop: Header=BB285_1581 Depth=1
	s_or_b32 exec_lo, exec_lo, s16
.LBB285_2091:                           ;   in Loop: Header=BB285_1581 Depth=1
	s_delay_alu instid0(SALU_CYCLE_1)
	s_or_b32 exec_lo, exec_lo, s15
.LBB285_2092:                           ;   in Loop: Header=BB285_1581 Depth=1
	s_delay_alu instid0(SALU_CYCLE_1) | instskip(SKIP_2) | instid1(VALU_DEP_1)
	s_or_b32 exec_lo, exec_lo, s14
	v_lshrrev_b32_e32 v0, 16, v65
	s_mov_b32 s14, exec_lo
	v_and_b32_e32 v6, 0xff, v0
	s_delay_alu instid0(VALU_DEP_1)
	v_cmpx_ne_u16_e32 0, v6
	s_cbranch_execz .LBB285_2100
; %bb.2093:                             ;   in Loop: Header=BB285_1581 Depth=1
	v_mov_b32_e32 v18, 0x8000
	s_mov_b32 s15, exec_lo
	v_cmpx_ne_u16_e32 0x80, v6
	s_cbranch_execz .LBB285_2099
; %bb.2094:                             ;   in Loop: Header=BB285_1581 Depth=1
	v_bfe_u32 v22, v65, 16, 7
	v_mov_b32_e32 v18, 0x7c01
	s_mov_b32 s16, exec_lo
	s_delay_alu instid0(VALU_DEP_2)
	v_cmpx_ne_u32_e32 0x7f, v22
	s_cbranch_execz .LBB285_2098
; %bb.2095:                             ;   in Loop: Header=BB285_1581 Depth=1
	v_dual_lshrrev_b32 v18, 3, v22 :: v_dual_bitop2_b32 v6, 7, v0 bitop3:0x40
	s_mov_b32 s17, exec_lo
	v_cmpx_gt_u32_e32 8, v22
; %bb.2096:                             ;   in Loop: Header=BB285_1581 Depth=1
	s_delay_alu instid0(VALU_DEP_2) | instskip(NEXT) | instid1(VALU_DEP_1)
	v_clz_i32_u32_e32 v6, v6
	v_min_u32_e32 v6, 32, v6
	s_delay_alu instid0(VALU_DEP_1) | instskip(NEXT) | instid1(VALU_DEP_1)
	v_subrev_nc_u32_e32 v18, 28, v6
	v_lshlrev_b64_e32 v[22:23], v18, v[0:1]
	v_sub_nc_u32_e32 v18, 29, v6
	s_delay_alu instid0(VALU_DEP_2)
	v_and_b32_e32 v6, 7, v22
; %bb.2097:                             ;   in Loop: Header=BB285_1581 Depth=1
	s_or_b32 exec_lo, exec_lo, s17
	s_delay_alu instid0(VALU_DEP_1) | instskip(NEXT) | instid1(VALU_DEP_3)
	v_dual_lshlrev_b32 v0, 8, v0 :: v_dual_lshlrev_b32 v6, 7, v6
	v_lshl_add_u32 v18, v18, 10, 0x2000
	s_delay_alu instid0(VALU_DEP_2) | instskip(NEXT) | instid1(VALU_DEP_2)
	v_and_b32_e32 v0, 0x8000, v0
	v_and_b32_e32 v18, 0xfc00, v18
	s_delay_alu instid0(VALU_DEP_1)
	v_or3_b32 v18, v0, v18, v6
.LBB285_2098:                           ;   in Loop: Header=BB285_1581 Depth=1
	s_or_b32 exec_lo, exec_lo, s16
.LBB285_2099:                           ;   in Loop: Header=BB285_1581 Depth=1
	s_delay_alu instid0(SALU_CYCLE_1)
	s_or_b32 exec_lo, exec_lo, s15
.LBB285_2100:                           ;   in Loop: Header=BB285_1581 Depth=1
	s_delay_alu instid0(SALU_CYCLE_1)
	s_or_b32 exec_lo, exec_lo, s14
	v_mov_b32_e32 v0, 0
	s_mov_b32 s14, exec_lo
	v_cmpx_lt_u64_e64 s[2:3], v[64:65]
	s_cbranch_execz .LBB285_2108
; %bb.2101:                             ;   in Loop: Header=BB285_1581 Depth=1
	v_lshrrev_b32_e32 v6, 24, v65
	v_bfrev_b32_e32 v0, 1
	s_mov_b32 s15, exec_lo
	s_delay_alu instid0(VALU_DEP_2)
	v_cmpx_ne_u32_e32 0x80, v6
	s_cbranch_execz .LBB285_2107
; %bb.2102:                             ;   in Loop: Header=BB285_1581 Depth=1
	v_and_b32_e32 v23, 0x7f, v6
	v_mov_b32_e32 v0, 0x7c010000
	s_mov_b32 s16, exec_lo
	s_delay_alu instid0(VALU_DEP_2)
	v_cmpx_ne_u32_e32 0x7f, v23
	s_cbranch_execz .LBB285_2106
; %bb.2103:                             ;   in Loop: Header=BB285_1581 Depth=1
	v_dual_lshrrev_b32 v22, 3, v23 :: v_dual_bitop2_b32 v0, 7, v6 bitop3:0x40
	s_mov_b32 s17, exec_lo
	v_cmpx_gt_u32_e32 8, v23
; %bb.2104:                             ;   in Loop: Header=BB285_1581 Depth=1
	s_delay_alu instid0(VALU_DEP_2) | instskip(NEXT) | instid1(VALU_DEP_1)
	v_clz_i32_u32_e32 v0, v0
	v_min_u32_e32 v0, 32, v0
	s_delay_alu instid0(VALU_DEP_1) | instskip(NEXT) | instid1(VALU_DEP_1)
	v_subrev_nc_u32_e32 v22, 28, v0
	v_lshlrev_b64_e32 v[64:65], v22, v[6:7]
	v_sub_nc_u32_e32 v22, 29, v0
	s_delay_alu instid0(VALU_DEP_2)
	v_and_b32_e32 v0, 7, v64
; %bb.2105:                             ;   in Loop: Header=BB285_1581 Depth=1
	s_or_b32 exec_lo, exec_lo, s17
	s_delay_alu instid0(VALU_DEP_1) | instskip(NEXT) | instid1(VALU_DEP_3)
	v_dual_lshlrev_b32 v6, 8, v6 :: v_dual_lshlrev_b32 v0, 23, v0
	v_lshl_add_u32 v22, v22, 10, 0x2000
	s_delay_alu instid0(VALU_DEP_1) | instskip(NEXT) | instid1(VALU_DEP_1)
	v_and_or_b32 v6, 0x8000, v6, v22
	v_lshl_or_b32 v0, v6, 16, v0
.LBB285_2106:                           ;   in Loop: Header=BB285_1581 Depth=1
	s_or_b32 exec_lo, exec_lo, s16
.LBB285_2107:                           ;   in Loop: Header=BB285_1581 Depth=1
	s_delay_alu instid0(SALU_CYCLE_1)
	s_or_b32 exec_lo, exec_lo, s15
.LBB285_2108:                           ;   in Loop: Header=BB285_1581 Depth=1
	s_delay_alu instid0(SALU_CYCLE_1) | instskip(SKIP_2) | instid1(VALU_DEP_2)
	s_or_b32 exec_lo, exec_lo, s14
	v_dual_lshrrev_b32 v6, 16, v1 :: v_dual_bitop2_b32 v1, v1, v8 bitop3:0x54
	v_dual_lshrrev_b32 v22, 16, v9 :: v_dual_bitop2_b32 v16, v9, v16 bitop3:0x54
	v_cvt_f32_f16_e32 v9, v6
	v_dual_lshrrev_b32 v18, 16, v19 :: v_dual_bitop2_b32 v6, v0, v18 bitop3:0x54
	s_delay_alu instid0(VALU_DEP_3)
	v_cvt_f32_f16_e32 v8, v22
	v_dual_lshrrev_b32 v22, 16, v0 :: v_dual_bitop2_b32 v19, v19, v17 bitop3:0x54
	v_cvt_f32_f16_e32 v0, v16
	v_cvt_f32_f16_e32 v1, v1
	s_wait_loadcnt_dscnt 0x0
	v_pk_mul_f32 v[8:9], v[54:55], v[8:9] op_sel_hi:[0,1]
	v_cvt_f32_f16_e32 v17, v18
	v_cvt_f32_f16_e32 v16, v22
	;; [unrolled: 1-line block ×4, first 2 shown]
	v_pk_mul_f32 v[0:1], v[54:55], v[0:1] op_sel_hi:[0,1]
	v_cvt_pk_f16_f32 v6, v8, v9
	v_pk_mul_f32 v[8:9], v[54:55], v[16:17] op_sel_hi:[0,1]
	s_delay_alu instid0(VALU_DEP_4) | instskip(NEXT) | instid1(VALU_DEP_4)
	v_pk_mul_f32 v[16:17], v[54:55], v[18:19] op_sel_hi:[0,1]
	v_cvt_pk_f16_f32 v0, v0, v1
	s_delay_alu instid0(VALU_DEP_4) | instskip(NEXT) | instid1(VALU_DEP_4)
	v_and_b32_e32 v19, 0xffff0000, v6
	v_cvt_pk_f16_f32 v8, v8, v9
	v_lshlrev_b32_e32 v54, 16, v6
	v_cvt_pk_f16_f32 v6, v16, v17
	v_lshrrev_b32_e32 v67, 16, v0
	v_and_b32_e32 v68, 0xffff, v0
	v_and_b32_e32 v1, 0xffff0000, v8
	s_delay_alu instid0(VALU_DEP_4) | instskip(SKIP_3) | instid1(VALU_DEP_4)
	v_dual_lshlrev_b32 v0, 16, v8 :: v_dual_lshrrev_b32 v9, 16, v6
	v_and_b32_e32 v6, 0xffff, v6
	v_or_b32_e32 v65, v19, v67
	v_or_b32_e32 v66, v54, v68
	;; [unrolled: 1-line block ×3, first 2 shown]
	s_delay_alu instid0(VALU_DEP_4)
	v_or_b32_e32 v64, v0, v6
	s_and_saveexec_b32 s14, vcc_lo
	s_cbranch_execz .LBB285_2110
; %bb.2109:                             ;   in Loop: Header=BB285_1581 Depth=1
	v_cmp_lt_i32_e64 s0, v84, v13
	s_delay_alu instid0(VALU_DEP_1) | instskip(SKIP_1) | instid1(VALU_DEP_1)
	v_cndmask_b32_e64 v8, 0, v67, s0
	v_cmp_lt_i32_e64 s0, v99, v12
	v_cndmask_b32_e64 v16, 0, v68, s0
	v_cmp_lt_i32_e64 s0, v98, v13
	s_delay_alu instid0(VALU_DEP_1) | instskip(SKIP_1) | instid1(VALU_DEP_1)
	v_cndmask_b32_e64 v17, 0, v19, s0
	v_cmp_lt_i32_e64 s0, v97, v12
	v_cndmask_b32_e64 v18, 0, v54, s0
	v_cmp_lt_i32_e64 s0, v96, v13
	s_delay_alu instid0(VALU_DEP_4) | instskip(NEXT) | instid1(VALU_DEP_2)
	v_or_b32_e32 v65, v8, v17
	v_dual_cndmask_b32 v9, 0, v9, s0 :: v_dual_bitop2_b32 v66, v16, v18 bitop3:0x54
	v_cmp_lt_i32_e64 s0, v87, v12
	s_delay_alu instid0(VALU_DEP_1) | instskip(SKIP_1) | instid1(VALU_DEP_1)
	v_cndmask_b32_e64 v6, 0, v6, s0
	v_cmp_lt_i32_e64 s0, v86, v13
	v_cndmask_b32_e64 v1, 0, v1, s0
	v_cmp_lt_i32_e64 s0, v85, v12
	s_delay_alu instid0(VALU_DEP_1) | instskip(NEXT) | instid1(VALU_DEP_1)
	v_dual_cndmask_b32 v0, 0, v0, s0 :: v_dual_bitop2_b32 v55, v9, v1 bitop3:0x54
	v_or_b32_e32 v64, v6, v0
.LBB285_2110:                           ;   in Loop: Header=BB285_1581 Depth=1
	s_or_b32 exec_lo, exec_lo, s14
	;;#ASMSTART
	v_pk_mul_f16 v0, v112, v65;

	;;#ASMEND
	;;#ASMSTART
	v_pk_mul_f16 v1, v102, v66;

	;;#ASMEND
	;; [unrolled: 4-line block ×4, first 2 shown]
	;;#ASMSTART
	v_pk_add_f16 v0, v0, v1;

	;;#ASMEND
	;;#ASMSTART
	v_pk_add_f16 v0, v0, v6;

	;;#ASMEND
	;; [unrolled: 4-line block ×3, first 2 shown]
	v_and_b32_e32 v1, 0xffff, v0
	v_lshrrev_b32_e32 v0, 16, v0
	;;#ASMSTART
	v_cvt_f32_f16 v46, v1;
	;;#ASMEND
	;;#ASMSTART
	v_cvt_f32_f16 v47, v0;
	;;#ASMEND
	flat_load_b64 v[64:65], v[28:29] offset:2048
	scratch_load_b64 v[0:1], off, s32 offset:192 ; 8-byte Folded Reload
	v_mov_b32_e32 v8, 0
	s_mov_b32 s14, exec_lo
	s_wait_loadcnt 0x0
	flat_load_b32 v54, v[0:1]
	s_wait_dscnt 0x1
	s_wait_xcnt 0x0
	v_and_b32_e32 v0, 0xff, v64
	v_mov_b32_e32 v1, 0
	s_delay_alu instid0(VALU_DEP_2)
	v_cmpx_ne_u16_e32 0, v0
	s_cbranch_execz .LBB285_2118
; %bb.2111:                             ;   in Loop: Header=BB285_1581 Depth=1
	v_mov_b32_e32 v8, 0x8000
	s_mov_b32 s15, exec_lo
	v_cmpx_ne_u16_e32 0x80, v0
	s_cbranch_execz .LBB285_2117
; %bb.2112:                             ;   in Loop: Header=BB285_1581 Depth=1
	v_and_b32_e32 v9, 0x7f, v64
	v_mov_b32_e32 v8, 0x7c01
	s_mov_b32 s16, exec_lo
	s_delay_alu instid0(VALU_DEP_2)
	v_cmpx_ne_u32_e32 0x7f, v9
	s_cbranch_execz .LBB285_2116
; %bb.2113:                             ;   in Loop: Header=BB285_1581 Depth=1
	v_dual_lshrrev_b32 v6, 3, v9 :: v_dual_bitop2_b32 v0, 7, v64 bitop3:0x40
	s_mov_b32 s17, exec_lo
	v_cmpx_gt_u32_e32 8, v9
; %bb.2114:                             ;   in Loop: Header=BB285_1581 Depth=1
	s_delay_alu instid0(VALU_DEP_2) | instskip(NEXT) | instid1(VALU_DEP_1)
	v_clz_i32_u32_e32 v0, v0
	v_min_u32_e32 v0, 32, v0
	s_delay_alu instid0(VALU_DEP_1) | instskip(NEXT) | instid1(VALU_DEP_1)
	v_subrev_nc_u32_e32 v6, 28, v0
	v_lshlrev_b64_e32 v[8:9], v6, v[64:65]
	v_sub_nc_u32_e32 v6, 29, v0
	s_delay_alu instid0(VALU_DEP_2)
	v_and_b32_e32 v0, 7, v8
; %bb.2115:                             ;   in Loop: Header=BB285_1581 Depth=1
	s_or_b32 exec_lo, exec_lo, s17
	v_lshlrev_b32_e32 v8, 8, v64
	s_delay_alu instid0(VALU_DEP_3) | instskip(NEXT) | instid1(VALU_DEP_3)
	v_lshl_add_u32 v6, v6, 10, 0x2000
	v_lshlrev_b32_e32 v0, 7, v0
	s_delay_alu instid0(VALU_DEP_3) | instskip(NEXT) | instid1(VALU_DEP_3)
	v_and_b32_e32 v8, 0x8000, v8
	v_and_b32_e32 v6, 0xfc00, v6
	s_delay_alu instid0(VALU_DEP_1)
	v_or3_b32 v8, v8, v6, v0
.LBB285_2116:                           ;   in Loop: Header=BB285_1581 Depth=1
	s_or_b32 exec_lo, exec_lo, s16
.LBB285_2117:                           ;   in Loop: Header=BB285_1581 Depth=1
	s_delay_alu instid0(SALU_CYCLE_1)
	s_or_b32 exec_lo, exec_lo, s15
.LBB285_2118:                           ;   in Loop: Header=BB285_1581 Depth=1
	s_delay_alu instid0(SALU_CYCLE_1) | instskip(SKIP_2) | instid1(VALU_DEP_1)
	s_or_b32 exec_lo, exec_lo, s14
	v_lshrrev_b16 v6, 8, v64
	s_mov_b32 s14, exec_lo
	v_cmpx_ne_u16_e32 0, v6
	s_cbranch_execz .LBB285_2126
; %bb.2119:                             ;   in Loop: Header=BB285_1581 Depth=1
	v_bfrev_b32_e32 v1, 1
	s_mov_b32 s15, exec_lo
	v_cmpx_ne_u16_e32 0x80, v6
	s_cbranch_execz .LBB285_2125
; %bb.2120:                             ;   in Loop: Header=BB285_1581 Depth=1
	v_and_b32_e32 v0, 0xffff, v6
	v_mov_b32_e32 v1, 0x7c010000
	s_mov_b32 s16, exec_lo
	s_delay_alu instid0(VALU_DEP_2) | instskip(NEXT) | instid1(VALU_DEP_1)
	v_and_b32_e32 v16, 0x7f, v0
	v_cmpx_ne_u32_e32 0x7f, v16
	s_cbranch_execz .LBB285_2124
; %bb.2121:                             ;   in Loop: Header=BB285_1581 Depth=1
	v_and_b32_e32 v1, 7, v0
	v_lshrrev_b32_e32 v9, 3, v16
	s_mov_b32 s17, exec_lo
	v_cmpx_gt_u32_e32 8, v16
; %bb.2122:                             ;   in Loop: Header=BB285_1581 Depth=1
	s_delay_alu instid0(VALU_DEP_3) | instskip(NEXT) | instid1(VALU_DEP_1)
	v_clz_i32_u32_e32 v1, v1
	v_min_u32_e32 v1, 32, v1
	s_delay_alu instid0(VALU_DEP_1) | instskip(NEXT) | instid1(VALU_DEP_1)
	v_subrev_nc_u32_e32 v9, 28, v1
	v_lshlrev_b64_e32 v[16:17], v9, v[6:7]
	s_delay_alu instid0(VALU_DEP_1)
	v_dual_sub_nc_u32 v9, 29, v1 :: v_dual_bitop2_b32 v1, 7, v16 bitop3:0x40
; %bb.2123:                             ;   in Loop: Header=BB285_1581 Depth=1
	s_or_b32 exec_lo, exec_lo, s17
	s_delay_alu instid0(VALU_DEP_1) | instskip(NEXT) | instid1(VALU_DEP_2)
	v_dual_lshlrev_b32 v0, 8, v0 :: v_dual_lshlrev_b32 v1, 23, v1
	v_lshl_add_u32 v6, v9, 10, 0x2000
	s_delay_alu instid0(VALU_DEP_1) | instskip(NEXT) | instid1(VALU_DEP_1)
	v_and_or_b32 v0, 0x8000, v0, v6
	v_lshl_or_b32 v1, v0, 16, v1
.LBB285_2124:                           ;   in Loop: Header=BB285_1581 Depth=1
	s_or_b32 exec_lo, exec_lo, s16
.LBB285_2125:                           ;   in Loop: Header=BB285_1581 Depth=1
	s_delay_alu instid0(SALU_CYCLE_1)
	s_or_b32 exec_lo, exec_lo, s15
.LBB285_2126:                           ;   in Loop: Header=BB285_1581 Depth=1
	s_delay_alu instid0(SALU_CYCLE_1) | instskip(SKIP_3) | instid1(VALU_DEP_2)
	s_or_b32 exec_lo, exec_lo, s14
	v_dual_mov_b32 v9, 0 :: v_dual_lshrrev_b32 v0, 16, v64
	v_mov_b32_e32 v16, 0
	s_mov_b32 s14, exec_lo
	v_and_b32_e32 v6, 0xff, v0
	s_delay_alu instid0(VALU_DEP_1)
	v_cmpx_ne_u16_e32 0, v6
	s_cbranch_execz .LBB285_2134
; %bb.2127:                             ;   in Loop: Header=BB285_1581 Depth=1
	v_mov_b32_e32 v16, 0x8000
	s_mov_b32 s15, exec_lo
	v_cmpx_ne_u16_e32 0x80, v6
	s_cbranch_execz .LBB285_2133
; %bb.2128:                             ;   in Loop: Header=BB285_1581 Depth=1
	v_bfe_u32 v17, v64, 16, 7
	v_mov_b32_e32 v16, 0x7c01
	s_mov_b32 s16, exec_lo
	s_delay_alu instid0(VALU_DEP_2)
	v_cmpx_ne_u32_e32 0x7f, v17
	s_cbranch_execz .LBB285_2132
; %bb.2129:                             ;   in Loop: Header=BB285_1581 Depth=1
	v_dual_lshrrev_b32 v16, 3, v17 :: v_dual_bitop2_b32 v6, 7, v0 bitop3:0x40
	s_mov_b32 s17, exec_lo
	v_cmpx_gt_u32_e32 8, v17
; %bb.2130:                             ;   in Loop: Header=BB285_1581 Depth=1
	s_delay_alu instid0(VALU_DEP_2) | instskip(NEXT) | instid1(VALU_DEP_1)
	v_clz_i32_u32_e32 v6, v6
	v_min_u32_e32 v6, 32, v6
	s_delay_alu instid0(VALU_DEP_1) | instskip(NEXT) | instid1(VALU_DEP_1)
	v_subrev_nc_u32_e32 v16, 28, v6
	v_lshlrev_b64_e32 v[18:19], v16, v[0:1]
	v_sub_nc_u32_e32 v16, 29, v6
	s_delay_alu instid0(VALU_DEP_2)
	v_and_b32_e32 v6, 7, v18
; %bb.2131:                             ;   in Loop: Header=BB285_1581 Depth=1
	s_or_b32 exec_lo, exec_lo, s17
	s_delay_alu instid0(VALU_DEP_1) | instskip(NEXT) | instid1(VALU_DEP_3)
	v_dual_lshlrev_b32 v0, 8, v0 :: v_dual_lshlrev_b32 v6, 7, v6
	v_lshl_add_u32 v16, v16, 10, 0x2000
	s_delay_alu instid0(VALU_DEP_2) | instskip(NEXT) | instid1(VALU_DEP_2)
	v_and_b32_e32 v0, 0x8000, v0
	v_and_b32_e32 v16, 0xfc00, v16
	s_delay_alu instid0(VALU_DEP_1)
	v_or3_b32 v16, v0, v16, v6
.LBB285_2132:                           ;   in Loop: Header=BB285_1581 Depth=1
	s_or_b32 exec_lo, exec_lo, s16
.LBB285_2133:                           ;   in Loop: Header=BB285_1581 Depth=1
	s_delay_alu instid0(SALU_CYCLE_1)
	s_or_b32 exec_lo, exec_lo, s15
.LBB285_2134:                           ;   in Loop: Header=BB285_1581 Depth=1
	s_delay_alu instid0(SALU_CYCLE_1) | instskip(NEXT) | instid1(SALU_CYCLE_1)
	s_or_b32 exec_lo, exec_lo, s14
	s_mov_b32 s14, exec_lo
	v_cmpx_lt_u32_e32 0xffffff, v64
	s_cbranch_execz .LBB285_2142
; %bb.2135:                             ;   in Loop: Header=BB285_1581 Depth=1
	v_lshrrev_b32_e32 v6, 24, v64
	v_bfrev_b32_e32 v9, 1
	s_mov_b32 s15, exec_lo
	s_delay_alu instid0(VALU_DEP_2)
	v_cmpx_ne_u32_e32 0x80, v6
	s_cbranch_execz .LBB285_2141
; %bb.2136:                             ;   in Loop: Header=BB285_1581 Depth=1
	v_and_b32_e32 v17, 0x7f, v6
	v_mov_b32_e32 v9, 0x7c010000
	s_mov_b32 s16, exec_lo
	s_delay_alu instid0(VALU_DEP_2)
	v_cmpx_ne_u32_e32 0x7f, v17
	s_cbranch_execz .LBB285_2140
; %bb.2137:                             ;   in Loop: Header=BB285_1581 Depth=1
	v_dual_lshrrev_b32 v9, 3, v17 :: v_dual_bitop2_b32 v0, 7, v6 bitop3:0x40
	s_mov_b32 s17, exec_lo
	v_cmpx_gt_u32_e32 8, v17
; %bb.2138:                             ;   in Loop: Header=BB285_1581 Depth=1
	s_delay_alu instid0(VALU_DEP_2) | instskip(NEXT) | instid1(VALU_DEP_1)
	v_clz_i32_u32_e32 v0, v0
	v_min_u32_e32 v0, 32, v0
	s_delay_alu instid0(VALU_DEP_1) | instskip(NEXT) | instid1(VALU_DEP_1)
	v_subrev_nc_u32_e32 v9, 28, v0
	v_lshlrev_b64_e32 v[18:19], v9, v[6:7]
	s_delay_alu instid0(VALU_DEP_1)
	v_dual_sub_nc_u32 v9, 29, v0 :: v_dual_bitop2_b32 v0, 7, v18 bitop3:0x40
; %bb.2139:                             ;   in Loop: Header=BB285_1581 Depth=1
	s_or_b32 exec_lo, exec_lo, s17
	s_delay_alu instid0(VALU_DEP_1) | instskip(NEXT) | instid1(VALU_DEP_2)
	v_dual_lshlrev_b32 v6, 8, v6 :: v_dual_lshlrev_b32 v0, 23, v0
	v_lshl_add_u32 v9, v9, 10, 0x2000
	s_delay_alu instid0(VALU_DEP_1) | instskip(NEXT) | instid1(VALU_DEP_1)
	v_and_or_b32 v6, 0x8000, v6, v9
	v_lshl_or_b32 v9, v6, 16, v0
.LBB285_2140:                           ;   in Loop: Header=BB285_1581 Depth=1
	s_or_b32 exec_lo, exec_lo, s16
.LBB285_2141:                           ;   in Loop: Header=BB285_1581 Depth=1
	s_delay_alu instid0(SALU_CYCLE_1)
	s_or_b32 exec_lo, exec_lo, s15
.LBB285_2142:                           ;   in Loop: Header=BB285_1581 Depth=1
	s_delay_alu instid0(SALU_CYCLE_1) | instskip(SKIP_4) | instid1(VALU_DEP_3)
	s_or_b32 exec_lo, exec_lo, s14
	v_and_b32_e32 v0, 0xff, v65
	v_dual_mov_b32 v6, v65 :: v_dual_mov_b32 v18, 0
	v_mov_b32_e32 v17, 0
	s_mov_b32 s14, exec_lo
	v_cmpx_ne_u16_e32 0, v0
	s_cbranch_execz .LBB285_2150
; %bb.2143:                             ;   in Loop: Header=BB285_1581 Depth=1
	v_mov_b32_e32 v17, 0x8000
	s_mov_b32 s15, exec_lo
	v_cmpx_ne_u16_e32 0x80, v0
	s_cbranch_execz .LBB285_2149
; %bb.2144:                             ;   in Loop: Header=BB285_1581 Depth=1
	v_and_b32_e32 v19, 0x7f, v65
	v_mov_b32_e32 v17, 0x7c01
	s_mov_b32 s16, exec_lo
	s_delay_alu instid0(VALU_DEP_2)
	v_cmpx_ne_u32_e32 0x7f, v19
	s_cbranch_execz .LBB285_2148
; %bb.2145:                             ;   in Loop: Header=BB285_1581 Depth=1
	v_dual_lshrrev_b32 v17, 3, v19 :: v_dual_bitop2_b32 v0, 7, v65 bitop3:0x40
	s_mov_b32 s17, exec_lo
	v_cmpx_gt_u32_e32 8, v19
; %bb.2146:                             ;   in Loop: Header=BB285_1581 Depth=1
	s_delay_alu instid0(VALU_DEP_2) | instskip(NEXT) | instid1(VALU_DEP_1)
	v_clz_i32_u32_e32 v0, v0
	v_min_u32_e32 v0, 32, v0
	s_delay_alu instid0(VALU_DEP_1) | instskip(NEXT) | instid1(VALU_DEP_1)
	v_subrev_nc_u32_e32 v17, 28, v0
	v_lshlrev_b64_e32 v[22:23], v17, v[6:7]
	s_delay_alu instid0(VALU_DEP_1)
	v_dual_sub_nc_u32 v17, 29, v0 :: v_dual_bitop2_b32 v0, 7, v22 bitop3:0x40
; %bb.2147:                             ;   in Loop: Header=BB285_1581 Depth=1
	s_or_b32 exec_lo, exec_lo, s17
	s_delay_alu instid0(VALU_DEP_1) | instskip(NEXT) | instid1(VALU_DEP_2)
	v_dual_lshlrev_b32 v19, 8, v65 :: v_dual_lshlrev_b32 v0, 7, v0
	v_lshl_add_u32 v17, v17, 10, 0x2000
	s_delay_alu instid0(VALU_DEP_2) | instskip(NEXT) | instid1(VALU_DEP_2)
	v_and_b32_e32 v19, 0x8000, v19
	v_and_b32_e32 v17, 0xfc00, v17
	s_delay_alu instid0(VALU_DEP_1)
	v_or3_b32 v17, v19, v17, v0
.LBB285_2148:                           ;   in Loop: Header=BB285_1581 Depth=1
	s_or_b32 exec_lo, exec_lo, s16
.LBB285_2149:                           ;   in Loop: Header=BB285_1581 Depth=1
	s_delay_alu instid0(SALU_CYCLE_1)
	s_or_b32 exec_lo, exec_lo, s15
.LBB285_2150:                           ;   in Loop: Header=BB285_1581 Depth=1
	s_delay_alu instid0(SALU_CYCLE_1) | instskip(SKIP_3) | instid1(VALU_DEP_2)
	s_or_b32 exec_lo, exec_lo, s14
	v_lshrrev_b16 v6, 8, v6
	v_mov_b32_e32 v19, 0
	s_mov_b32 s14, exec_lo
	v_cmpx_ne_u16_e32 0, v6
	s_cbranch_execz .LBB285_2158
; %bb.2151:                             ;   in Loop: Header=BB285_1581 Depth=1
	v_bfrev_b32_e32 v19, 1
	s_mov_b32 s15, exec_lo
	v_cmpx_ne_u16_e32 0x80, v6
	s_cbranch_execz .LBB285_2157
; %bb.2152:                             ;   in Loop: Header=BB285_1581 Depth=1
	v_and_b32_e32 v0, 0xffff, v6
	v_mov_b32_e32 v19, 0x7c010000
	s_mov_b32 s16, exec_lo
	s_delay_alu instid0(VALU_DEP_2) | instskip(NEXT) | instid1(VALU_DEP_1)
	v_and_b32_e32 v23, 0x7f, v0
	v_cmpx_ne_u32_e32 0x7f, v23
	s_cbranch_execz .LBB285_2156
; %bb.2153:                             ;   in Loop: Header=BB285_1581 Depth=1
	v_dual_lshrrev_b32 v22, 3, v23 :: v_dual_bitop2_b32 v19, 7, v0 bitop3:0x40
	s_mov_b32 s17, exec_lo
	v_cmpx_gt_u32_e32 8, v23
; %bb.2154:                             ;   in Loop: Header=BB285_1581 Depth=1
	s_delay_alu instid0(VALU_DEP_2) | instskip(NEXT) | instid1(VALU_DEP_1)
	v_clz_i32_u32_e32 v19, v19
	v_min_u32_e32 v19, 32, v19
	s_delay_alu instid0(VALU_DEP_1) | instskip(NEXT) | instid1(VALU_DEP_1)
	v_subrev_nc_u32_e32 v22, 28, v19
	v_lshlrev_b64_e32 v[66:67], v22, v[6:7]
	s_delay_alu instid0(VALU_DEP_1)
	v_dual_sub_nc_u32 v22, 29, v19 :: v_dual_bitop2_b32 v19, 7, v66 bitop3:0x40
; %bb.2155:                             ;   in Loop: Header=BB285_1581 Depth=1
	s_or_b32 exec_lo, exec_lo, s17
	v_lshlrev_b32_e32 v0, 8, v0
	s_delay_alu instid0(VALU_DEP_2) | instskip(NEXT) | instid1(VALU_DEP_1)
	v_lshl_add_u32 v6, v22, 10, 0x2000
	v_and_or_b32 v0, 0x8000, v0, v6
	v_lshlrev_b32_e32 v6, 23, v19
	s_delay_alu instid0(VALU_DEP_1)
	v_lshl_or_b32 v19, v0, 16, v6
.LBB285_2156:                           ;   in Loop: Header=BB285_1581 Depth=1
	s_or_b32 exec_lo, exec_lo, s16
.LBB285_2157:                           ;   in Loop: Header=BB285_1581 Depth=1
	s_delay_alu instid0(SALU_CYCLE_1)
	s_or_b32 exec_lo, exec_lo, s15
.LBB285_2158:                           ;   in Loop: Header=BB285_1581 Depth=1
	s_delay_alu instid0(SALU_CYCLE_1) | instskip(SKIP_2) | instid1(VALU_DEP_1)
	s_or_b32 exec_lo, exec_lo, s14
	v_lshrrev_b32_e32 v0, 16, v65
	s_mov_b32 s14, exec_lo
	v_and_b32_e32 v6, 0xff, v0
	s_delay_alu instid0(VALU_DEP_1)
	v_cmpx_ne_u16_e32 0, v6
	s_cbranch_execz .LBB285_2166
; %bb.2159:                             ;   in Loop: Header=BB285_1581 Depth=1
	v_mov_b32_e32 v18, 0x8000
	s_mov_b32 s15, exec_lo
	v_cmpx_ne_u16_e32 0x80, v6
	s_cbranch_execz .LBB285_2165
; %bb.2160:                             ;   in Loop: Header=BB285_1581 Depth=1
	v_bfe_u32 v22, v65, 16, 7
	v_mov_b32_e32 v18, 0x7c01
	s_mov_b32 s16, exec_lo
	s_delay_alu instid0(VALU_DEP_2)
	v_cmpx_ne_u32_e32 0x7f, v22
	s_cbranch_execz .LBB285_2164
; %bb.2161:                             ;   in Loop: Header=BB285_1581 Depth=1
	v_dual_lshrrev_b32 v18, 3, v22 :: v_dual_bitop2_b32 v6, 7, v0 bitop3:0x40
	s_mov_b32 s17, exec_lo
	v_cmpx_gt_u32_e32 8, v22
; %bb.2162:                             ;   in Loop: Header=BB285_1581 Depth=1
	s_delay_alu instid0(VALU_DEP_2) | instskip(NEXT) | instid1(VALU_DEP_1)
	v_clz_i32_u32_e32 v6, v6
	v_min_u32_e32 v6, 32, v6
	s_delay_alu instid0(VALU_DEP_1) | instskip(NEXT) | instid1(VALU_DEP_1)
	v_subrev_nc_u32_e32 v18, 28, v6
	v_lshlrev_b64_e32 v[22:23], v18, v[0:1]
	v_sub_nc_u32_e32 v18, 29, v6
	s_delay_alu instid0(VALU_DEP_2)
	v_and_b32_e32 v6, 7, v22
; %bb.2163:                             ;   in Loop: Header=BB285_1581 Depth=1
	s_or_b32 exec_lo, exec_lo, s17
	s_delay_alu instid0(VALU_DEP_1) | instskip(NEXT) | instid1(VALU_DEP_3)
	v_dual_lshlrev_b32 v0, 8, v0 :: v_dual_lshlrev_b32 v6, 7, v6
	v_lshl_add_u32 v18, v18, 10, 0x2000
	s_delay_alu instid0(VALU_DEP_2) | instskip(NEXT) | instid1(VALU_DEP_2)
	v_and_b32_e32 v0, 0x8000, v0
	v_and_b32_e32 v18, 0xfc00, v18
	s_delay_alu instid0(VALU_DEP_1)
	v_or3_b32 v18, v0, v18, v6
.LBB285_2164:                           ;   in Loop: Header=BB285_1581 Depth=1
	s_or_b32 exec_lo, exec_lo, s16
.LBB285_2165:                           ;   in Loop: Header=BB285_1581 Depth=1
	s_delay_alu instid0(SALU_CYCLE_1)
	s_or_b32 exec_lo, exec_lo, s15
.LBB285_2166:                           ;   in Loop: Header=BB285_1581 Depth=1
	s_delay_alu instid0(SALU_CYCLE_1)
	s_or_b32 exec_lo, exec_lo, s14
	v_mov_b32_e32 v0, 0
	s_mov_b32 s14, exec_lo
	v_cmpx_lt_u64_e64 s[2:3], v[64:65]
	s_cbranch_execz .LBB285_2174
; %bb.2167:                             ;   in Loop: Header=BB285_1581 Depth=1
	v_lshrrev_b32_e32 v6, 24, v65
	v_bfrev_b32_e32 v0, 1
	s_mov_b32 s15, exec_lo
	s_delay_alu instid0(VALU_DEP_2)
	v_cmpx_ne_u32_e32 0x80, v6
	s_cbranch_execz .LBB285_2173
; %bb.2168:                             ;   in Loop: Header=BB285_1581 Depth=1
	v_and_b32_e32 v23, 0x7f, v6
	v_mov_b32_e32 v0, 0x7c010000
	s_mov_b32 s16, exec_lo
	s_delay_alu instid0(VALU_DEP_2)
	v_cmpx_ne_u32_e32 0x7f, v23
	s_cbranch_execz .LBB285_2172
; %bb.2169:                             ;   in Loop: Header=BB285_1581 Depth=1
	v_dual_lshrrev_b32 v22, 3, v23 :: v_dual_bitop2_b32 v0, 7, v6 bitop3:0x40
	s_mov_b32 s17, exec_lo
	v_cmpx_gt_u32_e32 8, v23
; %bb.2170:                             ;   in Loop: Header=BB285_1581 Depth=1
	s_delay_alu instid0(VALU_DEP_2) | instskip(NEXT) | instid1(VALU_DEP_1)
	v_clz_i32_u32_e32 v0, v0
	v_min_u32_e32 v0, 32, v0
	s_delay_alu instid0(VALU_DEP_1) | instskip(NEXT) | instid1(VALU_DEP_1)
	v_subrev_nc_u32_e32 v22, 28, v0
	v_lshlrev_b64_e32 v[64:65], v22, v[6:7]
	v_sub_nc_u32_e32 v22, 29, v0
	s_delay_alu instid0(VALU_DEP_2)
	v_and_b32_e32 v0, 7, v64
; %bb.2171:                             ;   in Loop: Header=BB285_1581 Depth=1
	s_or_b32 exec_lo, exec_lo, s17
	s_delay_alu instid0(VALU_DEP_1) | instskip(NEXT) | instid1(VALU_DEP_3)
	v_dual_lshlrev_b32 v6, 8, v6 :: v_dual_lshlrev_b32 v0, 23, v0
	v_lshl_add_u32 v22, v22, 10, 0x2000
	s_delay_alu instid0(VALU_DEP_1) | instskip(NEXT) | instid1(VALU_DEP_1)
	v_and_or_b32 v6, 0x8000, v6, v22
	v_lshl_or_b32 v0, v6, 16, v0
.LBB285_2172:                           ;   in Loop: Header=BB285_1581 Depth=1
	s_or_b32 exec_lo, exec_lo, s16
.LBB285_2173:                           ;   in Loop: Header=BB285_1581 Depth=1
	s_delay_alu instid0(SALU_CYCLE_1)
	s_or_b32 exec_lo, exec_lo, s15
.LBB285_2174:                           ;   in Loop: Header=BB285_1581 Depth=1
	s_delay_alu instid0(SALU_CYCLE_1) | instskip(SKIP_2) | instid1(VALU_DEP_2)
	s_or_b32 exec_lo, exec_lo, s14
	v_dual_lshrrev_b32 v6, 16, v1 :: v_dual_bitop2_b32 v1, v1, v8 bitop3:0x54
	v_dual_lshrrev_b32 v22, 16, v9 :: v_dual_bitop2_b32 v16, v9, v16 bitop3:0x54
	v_cvt_f32_f16_e32 v9, v6
	v_dual_lshrrev_b32 v18, 16, v19 :: v_dual_bitop2_b32 v6, v0, v18 bitop3:0x54
	s_delay_alu instid0(VALU_DEP_3)
	v_cvt_f32_f16_e32 v8, v22
	v_dual_lshrrev_b32 v22, 16, v0 :: v_dual_bitop2_b32 v19, v19, v17 bitop3:0x54
	v_cvt_f32_f16_e32 v0, v16
	v_cvt_f32_f16_e32 v1, v1
	s_wait_loadcnt_dscnt 0x0
	v_pk_mul_f32 v[8:9], v[54:55], v[8:9] op_sel_hi:[0,1]
	v_cvt_f32_f16_e32 v17, v18
	v_cvt_f32_f16_e32 v16, v22
	;; [unrolled: 1-line block ×4, first 2 shown]
	v_pk_mul_f32 v[0:1], v[54:55], v[0:1] op_sel_hi:[0,1]
	v_cvt_pk_f16_f32 v6, v8, v9
	v_pk_mul_f32 v[8:9], v[54:55], v[16:17] op_sel_hi:[0,1]
	s_delay_alu instid0(VALU_DEP_4) | instskip(NEXT) | instid1(VALU_DEP_4)
	v_pk_mul_f32 v[16:17], v[54:55], v[18:19] op_sel_hi:[0,1]
	v_cvt_pk_f16_f32 v0, v0, v1
	s_delay_alu instid0(VALU_DEP_4) | instskip(NEXT) | instid1(VALU_DEP_4)
	v_and_b32_e32 v19, 0xffff0000, v6
	v_cvt_pk_f16_f32 v8, v8, v9
	v_lshlrev_b32_e32 v54, 16, v6
	v_cvt_pk_f16_f32 v6, v16, v17
	v_lshrrev_b32_e32 v67, 16, v0
	v_and_b32_e32 v68, 0xffff, v0
	v_and_b32_e32 v1, 0xffff0000, v8
	s_delay_alu instid0(VALU_DEP_4) | instskip(SKIP_3) | instid1(VALU_DEP_4)
	v_dual_lshlrev_b32 v0, 16, v8 :: v_dual_lshrrev_b32 v9, 16, v6
	v_and_b32_e32 v6, 0xffff, v6
	v_or_b32_e32 v65, v19, v67
	v_or_b32_e32 v66, v54, v68
	;; [unrolled: 1-line block ×3, first 2 shown]
	s_delay_alu instid0(VALU_DEP_4)
	v_or_b32_e32 v64, v0, v6
	s_and_saveexec_b32 s14, vcc_lo
	s_cbranch_execz .LBB285_2176
; %bb.2175:                             ;   in Loop: Header=BB285_1581 Depth=1
	v_cmp_lt_i32_e64 s0, v84, v13
	s_delay_alu instid0(VALU_DEP_1) | instskip(SKIP_1) | instid1(VALU_DEP_1)
	v_cndmask_b32_e64 v8, 0, v67, s0
	v_cmp_lt_i32_e64 s0, v99, v12
	v_cndmask_b32_e64 v16, 0, v68, s0
	v_cmp_lt_i32_e64 s0, v98, v13
	s_delay_alu instid0(VALU_DEP_1) | instskip(SKIP_1) | instid1(VALU_DEP_1)
	v_cndmask_b32_e64 v17, 0, v19, s0
	v_cmp_lt_i32_e64 s0, v97, v12
	v_cndmask_b32_e64 v18, 0, v54, s0
	v_cmp_lt_i32_e64 s0, v96, v13
	s_delay_alu instid0(VALU_DEP_4) | instskip(NEXT) | instid1(VALU_DEP_2)
	v_or_b32_e32 v65, v8, v17
	v_dual_cndmask_b32 v9, 0, v9, s0 :: v_dual_bitop2_b32 v66, v16, v18 bitop3:0x54
	v_cmp_lt_i32_e64 s0, v87, v12
	s_delay_alu instid0(VALU_DEP_1) | instskip(SKIP_1) | instid1(VALU_DEP_1)
	v_cndmask_b32_e64 v6, 0, v6, s0
	v_cmp_lt_i32_e64 s0, v86, v13
	v_cndmask_b32_e64 v1, 0, v1, s0
	v_cmp_lt_i32_e64 s0, v85, v12
	s_delay_alu instid0(VALU_DEP_1) | instskip(NEXT) | instid1(VALU_DEP_1)
	v_dual_cndmask_b32 v0, 0, v0, s0 :: v_dual_bitop2_b32 v55, v9, v1 bitop3:0x54
	v_or_b32_e32 v64, v6, v0
.LBB285_2176:                           ;   in Loop: Header=BB285_1581 Depth=1
	s_or_b32 exec_lo, exec_lo, s14
	;;#ASMSTART
	v_pk_mul_f16 v0, v112, v65;

	;;#ASMEND
	;;#ASMSTART
	v_pk_mul_f16 v1, v102, v66;

	;;#ASMEND
	;; [unrolled: 4-line block ×4, first 2 shown]
	;;#ASMSTART
	v_pk_add_f16 v0, v0, v1;

	;;#ASMEND
	;;#ASMSTART
	v_pk_add_f16 v0, v0, v6;

	;;#ASMEND
	;; [unrolled: 4-line block ×3, first 2 shown]
	v_and_b32_e32 v1, 0xffff, v0
	v_lshrrev_b32_e32 v0, 16, v0
	;;#ASMSTART
	v_cvt_f32_f16 v56, v1;
	;;#ASMEND
	;;#ASMSTART
	v_cvt_f32_f16 v57, v0;
	;;#ASMEND
	flat_load_b64 v[64:65], v[28:29] offset:2304
	scratch_load_b64 v[0:1], off, s32 offset:192 ; 8-byte Folded Reload
	v_mov_b32_e32 v8, 0
	s_mov_b32 s14, exec_lo
	s_wait_loadcnt 0x0
	flat_load_b32 v54, v[0:1]
	s_wait_dscnt 0x1
	s_wait_xcnt 0x0
	v_and_b32_e32 v0, 0xff, v64
	v_mov_b32_e32 v1, 0
	s_delay_alu instid0(VALU_DEP_2)
	v_cmpx_ne_u16_e32 0, v0
	s_cbranch_execz .LBB285_2184
; %bb.2177:                             ;   in Loop: Header=BB285_1581 Depth=1
	v_mov_b32_e32 v8, 0x8000
	s_mov_b32 s15, exec_lo
	v_cmpx_ne_u16_e32 0x80, v0
	s_cbranch_execz .LBB285_2183
; %bb.2178:                             ;   in Loop: Header=BB285_1581 Depth=1
	v_and_b32_e32 v9, 0x7f, v64
	v_mov_b32_e32 v8, 0x7c01
	s_mov_b32 s16, exec_lo
	s_delay_alu instid0(VALU_DEP_2)
	v_cmpx_ne_u32_e32 0x7f, v9
	s_cbranch_execz .LBB285_2182
; %bb.2179:                             ;   in Loop: Header=BB285_1581 Depth=1
	v_dual_lshrrev_b32 v6, 3, v9 :: v_dual_bitop2_b32 v0, 7, v64 bitop3:0x40
	s_mov_b32 s17, exec_lo
	v_cmpx_gt_u32_e32 8, v9
; %bb.2180:                             ;   in Loop: Header=BB285_1581 Depth=1
	s_delay_alu instid0(VALU_DEP_2) | instskip(NEXT) | instid1(VALU_DEP_1)
	v_clz_i32_u32_e32 v0, v0
	v_min_u32_e32 v0, 32, v0
	s_delay_alu instid0(VALU_DEP_1) | instskip(NEXT) | instid1(VALU_DEP_1)
	v_subrev_nc_u32_e32 v6, 28, v0
	v_lshlrev_b64_e32 v[8:9], v6, v[64:65]
	v_sub_nc_u32_e32 v6, 29, v0
	s_delay_alu instid0(VALU_DEP_2)
	v_and_b32_e32 v0, 7, v8
; %bb.2181:                             ;   in Loop: Header=BB285_1581 Depth=1
	s_or_b32 exec_lo, exec_lo, s17
	v_lshlrev_b32_e32 v8, 8, v64
	s_delay_alu instid0(VALU_DEP_3) | instskip(NEXT) | instid1(VALU_DEP_3)
	v_lshl_add_u32 v6, v6, 10, 0x2000
	v_lshlrev_b32_e32 v0, 7, v0
	s_delay_alu instid0(VALU_DEP_3) | instskip(NEXT) | instid1(VALU_DEP_3)
	v_and_b32_e32 v8, 0x8000, v8
	v_and_b32_e32 v6, 0xfc00, v6
	s_delay_alu instid0(VALU_DEP_1)
	v_or3_b32 v8, v8, v6, v0
.LBB285_2182:                           ;   in Loop: Header=BB285_1581 Depth=1
	s_or_b32 exec_lo, exec_lo, s16
.LBB285_2183:                           ;   in Loop: Header=BB285_1581 Depth=1
	s_delay_alu instid0(SALU_CYCLE_1)
	s_or_b32 exec_lo, exec_lo, s15
.LBB285_2184:                           ;   in Loop: Header=BB285_1581 Depth=1
	s_delay_alu instid0(SALU_CYCLE_1) | instskip(SKIP_2) | instid1(VALU_DEP_1)
	s_or_b32 exec_lo, exec_lo, s14
	v_lshrrev_b16 v6, 8, v64
	s_mov_b32 s14, exec_lo
	v_cmpx_ne_u16_e32 0, v6
	s_cbranch_execz .LBB285_2192
; %bb.2185:                             ;   in Loop: Header=BB285_1581 Depth=1
	v_bfrev_b32_e32 v1, 1
	s_mov_b32 s15, exec_lo
	v_cmpx_ne_u16_e32 0x80, v6
	s_cbranch_execz .LBB285_2191
; %bb.2186:                             ;   in Loop: Header=BB285_1581 Depth=1
	v_and_b32_e32 v0, 0xffff, v6
	v_mov_b32_e32 v1, 0x7c010000
	s_mov_b32 s16, exec_lo
	s_delay_alu instid0(VALU_DEP_2) | instskip(NEXT) | instid1(VALU_DEP_1)
	v_and_b32_e32 v16, 0x7f, v0
	v_cmpx_ne_u32_e32 0x7f, v16
	s_cbranch_execz .LBB285_2190
; %bb.2187:                             ;   in Loop: Header=BB285_1581 Depth=1
	v_and_b32_e32 v1, 7, v0
	v_lshrrev_b32_e32 v9, 3, v16
	s_mov_b32 s17, exec_lo
	v_cmpx_gt_u32_e32 8, v16
; %bb.2188:                             ;   in Loop: Header=BB285_1581 Depth=1
	s_delay_alu instid0(VALU_DEP_3) | instskip(NEXT) | instid1(VALU_DEP_1)
	v_clz_i32_u32_e32 v1, v1
	v_min_u32_e32 v1, 32, v1
	s_delay_alu instid0(VALU_DEP_1) | instskip(NEXT) | instid1(VALU_DEP_1)
	v_subrev_nc_u32_e32 v9, 28, v1
	v_lshlrev_b64_e32 v[16:17], v9, v[6:7]
	s_delay_alu instid0(VALU_DEP_1)
	v_dual_sub_nc_u32 v9, 29, v1 :: v_dual_bitop2_b32 v1, 7, v16 bitop3:0x40
; %bb.2189:                             ;   in Loop: Header=BB285_1581 Depth=1
	s_or_b32 exec_lo, exec_lo, s17
	s_delay_alu instid0(VALU_DEP_1) | instskip(NEXT) | instid1(VALU_DEP_2)
	v_dual_lshlrev_b32 v0, 8, v0 :: v_dual_lshlrev_b32 v1, 23, v1
	v_lshl_add_u32 v6, v9, 10, 0x2000
	s_delay_alu instid0(VALU_DEP_1) | instskip(NEXT) | instid1(VALU_DEP_1)
	v_and_or_b32 v0, 0x8000, v0, v6
	v_lshl_or_b32 v1, v0, 16, v1
.LBB285_2190:                           ;   in Loop: Header=BB285_1581 Depth=1
	s_or_b32 exec_lo, exec_lo, s16
.LBB285_2191:                           ;   in Loop: Header=BB285_1581 Depth=1
	s_delay_alu instid0(SALU_CYCLE_1)
	s_or_b32 exec_lo, exec_lo, s15
.LBB285_2192:                           ;   in Loop: Header=BB285_1581 Depth=1
	s_delay_alu instid0(SALU_CYCLE_1) | instskip(SKIP_3) | instid1(VALU_DEP_2)
	s_or_b32 exec_lo, exec_lo, s14
	v_dual_mov_b32 v9, 0 :: v_dual_lshrrev_b32 v0, 16, v64
	v_mov_b32_e32 v16, 0
	s_mov_b32 s14, exec_lo
	v_and_b32_e32 v6, 0xff, v0
	s_delay_alu instid0(VALU_DEP_1)
	v_cmpx_ne_u16_e32 0, v6
	s_cbranch_execz .LBB285_2200
; %bb.2193:                             ;   in Loop: Header=BB285_1581 Depth=1
	v_mov_b32_e32 v16, 0x8000
	s_mov_b32 s15, exec_lo
	v_cmpx_ne_u16_e32 0x80, v6
	s_cbranch_execz .LBB285_2199
; %bb.2194:                             ;   in Loop: Header=BB285_1581 Depth=1
	v_bfe_u32 v17, v64, 16, 7
	v_mov_b32_e32 v16, 0x7c01
	s_mov_b32 s16, exec_lo
	s_delay_alu instid0(VALU_DEP_2)
	v_cmpx_ne_u32_e32 0x7f, v17
	s_cbranch_execz .LBB285_2198
; %bb.2195:                             ;   in Loop: Header=BB285_1581 Depth=1
	v_dual_lshrrev_b32 v16, 3, v17 :: v_dual_bitop2_b32 v6, 7, v0 bitop3:0x40
	s_mov_b32 s17, exec_lo
	v_cmpx_gt_u32_e32 8, v17
; %bb.2196:                             ;   in Loop: Header=BB285_1581 Depth=1
	s_delay_alu instid0(VALU_DEP_2) | instskip(NEXT) | instid1(VALU_DEP_1)
	v_clz_i32_u32_e32 v6, v6
	v_min_u32_e32 v6, 32, v6
	s_delay_alu instid0(VALU_DEP_1) | instskip(NEXT) | instid1(VALU_DEP_1)
	v_subrev_nc_u32_e32 v16, 28, v6
	v_lshlrev_b64_e32 v[18:19], v16, v[0:1]
	v_sub_nc_u32_e32 v16, 29, v6
	s_delay_alu instid0(VALU_DEP_2)
	v_and_b32_e32 v6, 7, v18
; %bb.2197:                             ;   in Loop: Header=BB285_1581 Depth=1
	s_or_b32 exec_lo, exec_lo, s17
	s_delay_alu instid0(VALU_DEP_1) | instskip(NEXT) | instid1(VALU_DEP_3)
	v_dual_lshlrev_b32 v0, 8, v0 :: v_dual_lshlrev_b32 v6, 7, v6
	v_lshl_add_u32 v16, v16, 10, 0x2000
	s_delay_alu instid0(VALU_DEP_2) | instskip(NEXT) | instid1(VALU_DEP_2)
	v_and_b32_e32 v0, 0x8000, v0
	v_and_b32_e32 v16, 0xfc00, v16
	s_delay_alu instid0(VALU_DEP_1)
	v_or3_b32 v16, v0, v16, v6
.LBB285_2198:                           ;   in Loop: Header=BB285_1581 Depth=1
	s_or_b32 exec_lo, exec_lo, s16
.LBB285_2199:                           ;   in Loop: Header=BB285_1581 Depth=1
	s_delay_alu instid0(SALU_CYCLE_1)
	s_or_b32 exec_lo, exec_lo, s15
.LBB285_2200:                           ;   in Loop: Header=BB285_1581 Depth=1
	s_delay_alu instid0(SALU_CYCLE_1) | instskip(NEXT) | instid1(SALU_CYCLE_1)
	s_or_b32 exec_lo, exec_lo, s14
	s_mov_b32 s14, exec_lo
	v_cmpx_lt_u32_e32 0xffffff, v64
	s_cbranch_execz .LBB285_2208
; %bb.2201:                             ;   in Loop: Header=BB285_1581 Depth=1
	v_lshrrev_b32_e32 v6, 24, v64
	v_bfrev_b32_e32 v9, 1
	s_mov_b32 s15, exec_lo
	s_delay_alu instid0(VALU_DEP_2)
	v_cmpx_ne_u32_e32 0x80, v6
	s_cbranch_execz .LBB285_2207
; %bb.2202:                             ;   in Loop: Header=BB285_1581 Depth=1
	v_and_b32_e32 v17, 0x7f, v6
	v_mov_b32_e32 v9, 0x7c010000
	s_mov_b32 s16, exec_lo
	s_delay_alu instid0(VALU_DEP_2)
	v_cmpx_ne_u32_e32 0x7f, v17
	s_cbranch_execz .LBB285_2206
; %bb.2203:                             ;   in Loop: Header=BB285_1581 Depth=1
	v_dual_lshrrev_b32 v9, 3, v17 :: v_dual_bitop2_b32 v0, 7, v6 bitop3:0x40
	s_mov_b32 s17, exec_lo
	v_cmpx_gt_u32_e32 8, v17
; %bb.2204:                             ;   in Loop: Header=BB285_1581 Depth=1
	s_delay_alu instid0(VALU_DEP_2) | instskip(NEXT) | instid1(VALU_DEP_1)
	v_clz_i32_u32_e32 v0, v0
	v_min_u32_e32 v0, 32, v0
	s_delay_alu instid0(VALU_DEP_1) | instskip(NEXT) | instid1(VALU_DEP_1)
	v_subrev_nc_u32_e32 v9, 28, v0
	v_lshlrev_b64_e32 v[18:19], v9, v[6:7]
	s_delay_alu instid0(VALU_DEP_1)
	v_dual_sub_nc_u32 v9, 29, v0 :: v_dual_bitop2_b32 v0, 7, v18 bitop3:0x40
; %bb.2205:                             ;   in Loop: Header=BB285_1581 Depth=1
	s_or_b32 exec_lo, exec_lo, s17
	s_delay_alu instid0(VALU_DEP_1) | instskip(NEXT) | instid1(VALU_DEP_2)
	v_dual_lshlrev_b32 v6, 8, v6 :: v_dual_lshlrev_b32 v0, 23, v0
	v_lshl_add_u32 v9, v9, 10, 0x2000
	s_delay_alu instid0(VALU_DEP_1) | instskip(NEXT) | instid1(VALU_DEP_1)
	v_and_or_b32 v6, 0x8000, v6, v9
	v_lshl_or_b32 v9, v6, 16, v0
.LBB285_2206:                           ;   in Loop: Header=BB285_1581 Depth=1
	s_or_b32 exec_lo, exec_lo, s16
.LBB285_2207:                           ;   in Loop: Header=BB285_1581 Depth=1
	s_delay_alu instid0(SALU_CYCLE_1)
	s_or_b32 exec_lo, exec_lo, s15
.LBB285_2208:                           ;   in Loop: Header=BB285_1581 Depth=1
	s_delay_alu instid0(SALU_CYCLE_1) | instskip(SKIP_4) | instid1(VALU_DEP_3)
	s_or_b32 exec_lo, exec_lo, s14
	v_and_b32_e32 v0, 0xff, v65
	v_dual_mov_b32 v6, v65 :: v_dual_mov_b32 v18, 0
	v_mov_b32_e32 v17, 0
	s_mov_b32 s14, exec_lo
	v_cmpx_ne_u16_e32 0, v0
	s_cbranch_execz .LBB285_2216
; %bb.2209:                             ;   in Loop: Header=BB285_1581 Depth=1
	v_mov_b32_e32 v17, 0x8000
	s_mov_b32 s15, exec_lo
	v_cmpx_ne_u16_e32 0x80, v0
	s_cbranch_execz .LBB285_2215
; %bb.2210:                             ;   in Loop: Header=BB285_1581 Depth=1
	v_and_b32_e32 v19, 0x7f, v65
	v_mov_b32_e32 v17, 0x7c01
	s_mov_b32 s16, exec_lo
	s_delay_alu instid0(VALU_DEP_2)
	v_cmpx_ne_u32_e32 0x7f, v19
	s_cbranch_execz .LBB285_2214
; %bb.2211:                             ;   in Loop: Header=BB285_1581 Depth=1
	v_dual_lshrrev_b32 v17, 3, v19 :: v_dual_bitop2_b32 v0, 7, v65 bitop3:0x40
	s_mov_b32 s17, exec_lo
	v_cmpx_gt_u32_e32 8, v19
; %bb.2212:                             ;   in Loop: Header=BB285_1581 Depth=1
	s_delay_alu instid0(VALU_DEP_2) | instskip(NEXT) | instid1(VALU_DEP_1)
	v_clz_i32_u32_e32 v0, v0
	v_min_u32_e32 v0, 32, v0
	s_delay_alu instid0(VALU_DEP_1) | instskip(NEXT) | instid1(VALU_DEP_1)
	v_subrev_nc_u32_e32 v17, 28, v0
	v_lshlrev_b64_e32 v[22:23], v17, v[6:7]
	s_delay_alu instid0(VALU_DEP_1)
	v_dual_sub_nc_u32 v17, 29, v0 :: v_dual_bitop2_b32 v0, 7, v22 bitop3:0x40
; %bb.2213:                             ;   in Loop: Header=BB285_1581 Depth=1
	s_or_b32 exec_lo, exec_lo, s17
	s_delay_alu instid0(VALU_DEP_1) | instskip(NEXT) | instid1(VALU_DEP_2)
	v_dual_lshlrev_b32 v19, 8, v65 :: v_dual_lshlrev_b32 v0, 7, v0
	v_lshl_add_u32 v17, v17, 10, 0x2000
	s_delay_alu instid0(VALU_DEP_2) | instskip(NEXT) | instid1(VALU_DEP_2)
	v_and_b32_e32 v19, 0x8000, v19
	v_and_b32_e32 v17, 0xfc00, v17
	s_delay_alu instid0(VALU_DEP_1)
	v_or3_b32 v17, v19, v17, v0
.LBB285_2214:                           ;   in Loop: Header=BB285_1581 Depth=1
	s_or_b32 exec_lo, exec_lo, s16
.LBB285_2215:                           ;   in Loop: Header=BB285_1581 Depth=1
	s_delay_alu instid0(SALU_CYCLE_1)
	s_or_b32 exec_lo, exec_lo, s15
.LBB285_2216:                           ;   in Loop: Header=BB285_1581 Depth=1
	s_delay_alu instid0(SALU_CYCLE_1) | instskip(SKIP_3) | instid1(VALU_DEP_2)
	s_or_b32 exec_lo, exec_lo, s14
	v_lshrrev_b16 v6, 8, v6
	v_mov_b32_e32 v19, 0
	s_mov_b32 s14, exec_lo
	v_cmpx_ne_u16_e32 0, v6
	s_cbranch_execz .LBB285_2224
; %bb.2217:                             ;   in Loop: Header=BB285_1581 Depth=1
	v_bfrev_b32_e32 v19, 1
	s_mov_b32 s15, exec_lo
	v_cmpx_ne_u16_e32 0x80, v6
	s_cbranch_execz .LBB285_2223
; %bb.2218:                             ;   in Loop: Header=BB285_1581 Depth=1
	v_and_b32_e32 v0, 0xffff, v6
	v_mov_b32_e32 v19, 0x7c010000
	s_mov_b32 s16, exec_lo
	s_delay_alu instid0(VALU_DEP_2) | instskip(NEXT) | instid1(VALU_DEP_1)
	v_and_b32_e32 v23, 0x7f, v0
	v_cmpx_ne_u32_e32 0x7f, v23
	s_cbranch_execz .LBB285_2222
; %bb.2219:                             ;   in Loop: Header=BB285_1581 Depth=1
	v_dual_lshrrev_b32 v22, 3, v23 :: v_dual_bitop2_b32 v19, 7, v0 bitop3:0x40
	s_mov_b32 s17, exec_lo
	v_cmpx_gt_u32_e32 8, v23
; %bb.2220:                             ;   in Loop: Header=BB285_1581 Depth=1
	s_delay_alu instid0(VALU_DEP_2) | instskip(NEXT) | instid1(VALU_DEP_1)
	v_clz_i32_u32_e32 v19, v19
	v_min_u32_e32 v19, 32, v19
	s_delay_alu instid0(VALU_DEP_1) | instskip(NEXT) | instid1(VALU_DEP_1)
	v_subrev_nc_u32_e32 v22, 28, v19
	v_lshlrev_b64_e32 v[66:67], v22, v[6:7]
	s_delay_alu instid0(VALU_DEP_1)
	v_dual_sub_nc_u32 v22, 29, v19 :: v_dual_bitop2_b32 v19, 7, v66 bitop3:0x40
; %bb.2221:                             ;   in Loop: Header=BB285_1581 Depth=1
	s_or_b32 exec_lo, exec_lo, s17
	v_lshlrev_b32_e32 v0, 8, v0
	s_delay_alu instid0(VALU_DEP_2) | instskip(NEXT) | instid1(VALU_DEP_1)
	v_lshl_add_u32 v6, v22, 10, 0x2000
	v_and_or_b32 v0, 0x8000, v0, v6
	v_lshlrev_b32_e32 v6, 23, v19
	s_delay_alu instid0(VALU_DEP_1)
	v_lshl_or_b32 v19, v0, 16, v6
.LBB285_2222:                           ;   in Loop: Header=BB285_1581 Depth=1
	s_or_b32 exec_lo, exec_lo, s16
.LBB285_2223:                           ;   in Loop: Header=BB285_1581 Depth=1
	s_delay_alu instid0(SALU_CYCLE_1)
	s_or_b32 exec_lo, exec_lo, s15
.LBB285_2224:                           ;   in Loop: Header=BB285_1581 Depth=1
	s_delay_alu instid0(SALU_CYCLE_1) | instskip(SKIP_2) | instid1(VALU_DEP_1)
	s_or_b32 exec_lo, exec_lo, s14
	v_lshrrev_b32_e32 v0, 16, v65
	s_mov_b32 s14, exec_lo
	v_and_b32_e32 v6, 0xff, v0
	s_delay_alu instid0(VALU_DEP_1)
	v_cmpx_ne_u16_e32 0, v6
	s_cbranch_execz .LBB285_2232
; %bb.2225:                             ;   in Loop: Header=BB285_1581 Depth=1
	v_mov_b32_e32 v18, 0x8000
	s_mov_b32 s15, exec_lo
	v_cmpx_ne_u16_e32 0x80, v6
	s_cbranch_execz .LBB285_2231
; %bb.2226:                             ;   in Loop: Header=BB285_1581 Depth=1
	v_bfe_u32 v22, v65, 16, 7
	v_mov_b32_e32 v18, 0x7c01
	s_mov_b32 s16, exec_lo
	s_delay_alu instid0(VALU_DEP_2)
	v_cmpx_ne_u32_e32 0x7f, v22
	s_cbranch_execz .LBB285_2230
; %bb.2227:                             ;   in Loop: Header=BB285_1581 Depth=1
	v_dual_lshrrev_b32 v18, 3, v22 :: v_dual_bitop2_b32 v6, 7, v0 bitop3:0x40
	s_mov_b32 s17, exec_lo
	v_cmpx_gt_u32_e32 8, v22
; %bb.2228:                             ;   in Loop: Header=BB285_1581 Depth=1
	s_delay_alu instid0(VALU_DEP_2) | instskip(NEXT) | instid1(VALU_DEP_1)
	v_clz_i32_u32_e32 v6, v6
	v_min_u32_e32 v6, 32, v6
	s_delay_alu instid0(VALU_DEP_1) | instskip(NEXT) | instid1(VALU_DEP_1)
	v_subrev_nc_u32_e32 v18, 28, v6
	v_lshlrev_b64_e32 v[22:23], v18, v[0:1]
	v_sub_nc_u32_e32 v18, 29, v6
	s_delay_alu instid0(VALU_DEP_2)
	v_and_b32_e32 v6, 7, v22
; %bb.2229:                             ;   in Loop: Header=BB285_1581 Depth=1
	s_or_b32 exec_lo, exec_lo, s17
	s_delay_alu instid0(VALU_DEP_1) | instskip(NEXT) | instid1(VALU_DEP_3)
	v_dual_lshlrev_b32 v0, 8, v0 :: v_dual_lshlrev_b32 v6, 7, v6
	v_lshl_add_u32 v18, v18, 10, 0x2000
	s_delay_alu instid0(VALU_DEP_2) | instskip(NEXT) | instid1(VALU_DEP_2)
	v_and_b32_e32 v0, 0x8000, v0
	v_and_b32_e32 v18, 0xfc00, v18
	s_delay_alu instid0(VALU_DEP_1)
	v_or3_b32 v18, v0, v18, v6
.LBB285_2230:                           ;   in Loop: Header=BB285_1581 Depth=1
	s_or_b32 exec_lo, exec_lo, s16
.LBB285_2231:                           ;   in Loop: Header=BB285_1581 Depth=1
	s_delay_alu instid0(SALU_CYCLE_1)
	s_or_b32 exec_lo, exec_lo, s15
.LBB285_2232:                           ;   in Loop: Header=BB285_1581 Depth=1
	s_delay_alu instid0(SALU_CYCLE_1)
	s_or_b32 exec_lo, exec_lo, s14
	v_mov_b32_e32 v0, 0
	s_mov_b32 s14, exec_lo
	v_cmpx_lt_u64_e64 s[2:3], v[64:65]
	s_cbranch_execz .LBB285_2240
; %bb.2233:                             ;   in Loop: Header=BB285_1581 Depth=1
	v_lshrrev_b32_e32 v6, 24, v65
	v_bfrev_b32_e32 v0, 1
	s_mov_b32 s15, exec_lo
	s_delay_alu instid0(VALU_DEP_2)
	v_cmpx_ne_u32_e32 0x80, v6
	s_cbranch_execz .LBB285_2239
; %bb.2234:                             ;   in Loop: Header=BB285_1581 Depth=1
	v_and_b32_e32 v23, 0x7f, v6
	v_mov_b32_e32 v0, 0x7c010000
	s_mov_b32 s16, exec_lo
	s_delay_alu instid0(VALU_DEP_2)
	v_cmpx_ne_u32_e32 0x7f, v23
	s_cbranch_execz .LBB285_2238
; %bb.2235:                             ;   in Loop: Header=BB285_1581 Depth=1
	v_dual_lshrrev_b32 v22, 3, v23 :: v_dual_bitop2_b32 v0, 7, v6 bitop3:0x40
	s_mov_b32 s17, exec_lo
	v_cmpx_gt_u32_e32 8, v23
; %bb.2236:                             ;   in Loop: Header=BB285_1581 Depth=1
	s_delay_alu instid0(VALU_DEP_2) | instskip(NEXT) | instid1(VALU_DEP_1)
	v_clz_i32_u32_e32 v0, v0
	v_min_u32_e32 v0, 32, v0
	s_delay_alu instid0(VALU_DEP_1) | instskip(NEXT) | instid1(VALU_DEP_1)
	v_subrev_nc_u32_e32 v22, 28, v0
	v_lshlrev_b64_e32 v[64:65], v22, v[6:7]
	v_sub_nc_u32_e32 v22, 29, v0
	s_delay_alu instid0(VALU_DEP_2)
	v_and_b32_e32 v0, 7, v64
; %bb.2237:                             ;   in Loop: Header=BB285_1581 Depth=1
	s_or_b32 exec_lo, exec_lo, s17
	s_delay_alu instid0(VALU_DEP_1) | instskip(NEXT) | instid1(VALU_DEP_3)
	v_dual_lshlrev_b32 v6, 8, v6 :: v_dual_lshlrev_b32 v0, 23, v0
	v_lshl_add_u32 v22, v22, 10, 0x2000
	s_delay_alu instid0(VALU_DEP_1) | instskip(NEXT) | instid1(VALU_DEP_1)
	v_and_or_b32 v6, 0x8000, v6, v22
	v_lshl_or_b32 v0, v6, 16, v0
.LBB285_2238:                           ;   in Loop: Header=BB285_1581 Depth=1
	s_or_b32 exec_lo, exec_lo, s16
.LBB285_2239:                           ;   in Loop: Header=BB285_1581 Depth=1
	s_delay_alu instid0(SALU_CYCLE_1)
	s_or_b32 exec_lo, exec_lo, s15
.LBB285_2240:                           ;   in Loop: Header=BB285_1581 Depth=1
	s_delay_alu instid0(SALU_CYCLE_1) | instskip(SKIP_2) | instid1(VALU_DEP_2)
	s_or_b32 exec_lo, exec_lo, s14
	v_dual_lshrrev_b32 v6, 16, v1 :: v_dual_bitop2_b32 v1, v1, v8 bitop3:0x54
	v_dual_lshrrev_b32 v22, 16, v9 :: v_dual_bitop2_b32 v16, v9, v16 bitop3:0x54
	v_cvt_f32_f16_e32 v9, v6
	v_dual_lshrrev_b32 v18, 16, v19 :: v_dual_bitop2_b32 v6, v0, v18 bitop3:0x54
	s_delay_alu instid0(VALU_DEP_3)
	v_cvt_f32_f16_e32 v8, v22
	v_dual_lshrrev_b32 v22, 16, v0 :: v_dual_bitop2_b32 v19, v19, v17 bitop3:0x54
	v_cvt_f32_f16_e32 v0, v16
	v_cvt_f32_f16_e32 v1, v1
	s_wait_loadcnt_dscnt 0x0
	v_pk_mul_f32 v[8:9], v[54:55], v[8:9] op_sel_hi:[0,1]
	v_cvt_f32_f16_e32 v17, v18
	v_cvt_f32_f16_e32 v16, v22
	v_cvt_f32_f16_e32 v18, v6
	v_cvt_f32_f16_e32 v19, v19
	v_pk_mul_f32 v[0:1], v[54:55], v[0:1] op_sel_hi:[0,1]
	v_cvt_pk_f16_f32 v6, v8, v9
	v_pk_mul_f32 v[8:9], v[54:55], v[16:17] op_sel_hi:[0,1]
	s_delay_alu instid0(VALU_DEP_4) | instskip(NEXT) | instid1(VALU_DEP_4)
	v_pk_mul_f32 v[16:17], v[54:55], v[18:19] op_sel_hi:[0,1]
	v_cvt_pk_f16_f32 v0, v0, v1
	s_delay_alu instid0(VALU_DEP_4) | instskip(NEXT) | instid1(VALU_DEP_4)
	v_and_b32_e32 v19, 0xffff0000, v6
	v_cvt_pk_f16_f32 v8, v8, v9
	v_lshlrev_b32_e32 v54, 16, v6
	v_cvt_pk_f16_f32 v6, v16, v17
	v_lshrrev_b32_e32 v67, 16, v0
	v_and_b32_e32 v68, 0xffff, v0
	v_and_b32_e32 v1, 0xffff0000, v8
	s_delay_alu instid0(VALU_DEP_4) | instskip(SKIP_3) | instid1(VALU_DEP_4)
	v_dual_lshlrev_b32 v0, 16, v8 :: v_dual_lshrrev_b32 v9, 16, v6
	v_and_b32_e32 v6, 0xffff, v6
	v_or_b32_e32 v65, v19, v67
	v_or_b32_e32 v66, v54, v68
	;; [unrolled: 1-line block ×3, first 2 shown]
	s_delay_alu instid0(VALU_DEP_4)
	v_or_b32_e32 v64, v0, v6
	s_and_saveexec_b32 s14, vcc_lo
	s_cbranch_execz .LBB285_2242
; %bb.2241:                             ;   in Loop: Header=BB285_1581 Depth=1
	v_cmp_lt_i32_e64 s0, v84, v13
	s_delay_alu instid0(VALU_DEP_1) | instskip(SKIP_1) | instid1(VALU_DEP_1)
	v_cndmask_b32_e64 v8, 0, v67, s0
	v_cmp_lt_i32_e64 s0, v99, v12
	v_cndmask_b32_e64 v16, 0, v68, s0
	v_cmp_lt_i32_e64 s0, v98, v13
	s_delay_alu instid0(VALU_DEP_1) | instskip(SKIP_1) | instid1(VALU_DEP_1)
	v_cndmask_b32_e64 v17, 0, v19, s0
	v_cmp_lt_i32_e64 s0, v97, v12
	v_cndmask_b32_e64 v18, 0, v54, s0
	v_cmp_lt_i32_e64 s0, v96, v13
	s_delay_alu instid0(VALU_DEP_4) | instskip(NEXT) | instid1(VALU_DEP_2)
	v_or_b32_e32 v65, v8, v17
	v_dual_cndmask_b32 v9, 0, v9, s0 :: v_dual_bitop2_b32 v66, v16, v18 bitop3:0x54
	v_cmp_lt_i32_e64 s0, v87, v12
	s_delay_alu instid0(VALU_DEP_1) | instskip(SKIP_1) | instid1(VALU_DEP_1)
	v_cndmask_b32_e64 v6, 0, v6, s0
	v_cmp_lt_i32_e64 s0, v86, v13
	v_cndmask_b32_e64 v1, 0, v1, s0
	v_cmp_lt_i32_e64 s0, v85, v12
	s_delay_alu instid0(VALU_DEP_1) | instskip(NEXT) | instid1(VALU_DEP_1)
	v_dual_cndmask_b32 v0, 0, v0, s0 :: v_dual_bitop2_b32 v55, v9, v1 bitop3:0x54
	v_or_b32_e32 v64, v6, v0
.LBB285_2242:                           ;   in Loop: Header=BB285_1581 Depth=1
	s_or_b32 exec_lo, exec_lo, s14
	;;#ASMSTART
	v_pk_mul_f16 v0, v112, v65;

	;;#ASMEND
	;;#ASMSTART
	v_pk_mul_f16 v1, v102, v66;

	;;#ASMEND
	;; [unrolled: 4-line block ×4, first 2 shown]
	;;#ASMSTART
	v_pk_add_f16 v0, v0, v1;

	;;#ASMEND
	;;#ASMSTART
	v_pk_add_f16 v0, v0, v6;

	;;#ASMEND
	;; [unrolled: 4-line block ×3, first 2 shown]
	v_and_b32_e32 v1, 0xffff, v0
	v_lshrrev_b32_e32 v0, 16, v0
	;;#ASMSTART
	v_cvt_f32_f16 v58, v1;
	;;#ASMEND
	;;#ASMSTART
	v_cvt_f32_f16 v59, v0;
	;;#ASMEND
	flat_load_b64 v[64:65], v[28:29] offset:2560
	scratch_load_b64 v[0:1], off, s32 offset:192 ; 8-byte Folded Reload
	v_mov_b32_e32 v8, 0
	s_mov_b32 s14, exec_lo
	s_wait_loadcnt 0x0
	flat_load_b32 v54, v[0:1]
	s_wait_dscnt 0x1
	s_wait_xcnt 0x0
	v_and_b32_e32 v0, 0xff, v64
	v_mov_b32_e32 v1, 0
	s_delay_alu instid0(VALU_DEP_2)
	v_cmpx_ne_u16_e32 0, v0
	s_cbranch_execz .LBB285_2250
; %bb.2243:                             ;   in Loop: Header=BB285_1581 Depth=1
	v_mov_b32_e32 v8, 0x8000
	s_mov_b32 s15, exec_lo
	v_cmpx_ne_u16_e32 0x80, v0
	s_cbranch_execz .LBB285_2249
; %bb.2244:                             ;   in Loop: Header=BB285_1581 Depth=1
	v_and_b32_e32 v9, 0x7f, v64
	v_mov_b32_e32 v8, 0x7c01
	s_mov_b32 s16, exec_lo
	s_delay_alu instid0(VALU_DEP_2)
	v_cmpx_ne_u32_e32 0x7f, v9
	s_cbranch_execz .LBB285_2248
; %bb.2245:                             ;   in Loop: Header=BB285_1581 Depth=1
	v_dual_lshrrev_b32 v6, 3, v9 :: v_dual_bitop2_b32 v0, 7, v64 bitop3:0x40
	s_mov_b32 s17, exec_lo
	v_cmpx_gt_u32_e32 8, v9
; %bb.2246:                             ;   in Loop: Header=BB285_1581 Depth=1
	s_delay_alu instid0(VALU_DEP_2) | instskip(NEXT) | instid1(VALU_DEP_1)
	v_clz_i32_u32_e32 v0, v0
	v_min_u32_e32 v0, 32, v0
	s_delay_alu instid0(VALU_DEP_1) | instskip(NEXT) | instid1(VALU_DEP_1)
	v_subrev_nc_u32_e32 v6, 28, v0
	v_lshlrev_b64_e32 v[8:9], v6, v[64:65]
	v_sub_nc_u32_e32 v6, 29, v0
	s_delay_alu instid0(VALU_DEP_2)
	v_and_b32_e32 v0, 7, v8
; %bb.2247:                             ;   in Loop: Header=BB285_1581 Depth=1
	s_or_b32 exec_lo, exec_lo, s17
	v_lshlrev_b32_e32 v8, 8, v64
	s_delay_alu instid0(VALU_DEP_3) | instskip(NEXT) | instid1(VALU_DEP_3)
	v_lshl_add_u32 v6, v6, 10, 0x2000
	v_lshlrev_b32_e32 v0, 7, v0
	s_delay_alu instid0(VALU_DEP_3) | instskip(NEXT) | instid1(VALU_DEP_3)
	v_and_b32_e32 v8, 0x8000, v8
	v_and_b32_e32 v6, 0xfc00, v6
	s_delay_alu instid0(VALU_DEP_1)
	v_or3_b32 v8, v8, v6, v0
.LBB285_2248:                           ;   in Loop: Header=BB285_1581 Depth=1
	s_or_b32 exec_lo, exec_lo, s16
.LBB285_2249:                           ;   in Loop: Header=BB285_1581 Depth=1
	s_delay_alu instid0(SALU_CYCLE_1)
	s_or_b32 exec_lo, exec_lo, s15
.LBB285_2250:                           ;   in Loop: Header=BB285_1581 Depth=1
	s_delay_alu instid0(SALU_CYCLE_1) | instskip(SKIP_2) | instid1(VALU_DEP_1)
	s_or_b32 exec_lo, exec_lo, s14
	v_lshrrev_b16 v6, 8, v64
	s_mov_b32 s14, exec_lo
	v_cmpx_ne_u16_e32 0, v6
	s_cbranch_execz .LBB285_2258
; %bb.2251:                             ;   in Loop: Header=BB285_1581 Depth=1
	v_bfrev_b32_e32 v1, 1
	s_mov_b32 s15, exec_lo
	v_cmpx_ne_u16_e32 0x80, v6
	s_cbranch_execz .LBB285_2257
; %bb.2252:                             ;   in Loop: Header=BB285_1581 Depth=1
	v_and_b32_e32 v0, 0xffff, v6
	v_mov_b32_e32 v1, 0x7c010000
	s_mov_b32 s16, exec_lo
	s_delay_alu instid0(VALU_DEP_2) | instskip(NEXT) | instid1(VALU_DEP_1)
	v_and_b32_e32 v16, 0x7f, v0
	v_cmpx_ne_u32_e32 0x7f, v16
	s_cbranch_execz .LBB285_2256
; %bb.2253:                             ;   in Loop: Header=BB285_1581 Depth=1
	v_and_b32_e32 v1, 7, v0
	v_lshrrev_b32_e32 v9, 3, v16
	s_mov_b32 s17, exec_lo
	v_cmpx_gt_u32_e32 8, v16
; %bb.2254:                             ;   in Loop: Header=BB285_1581 Depth=1
	s_delay_alu instid0(VALU_DEP_3) | instskip(NEXT) | instid1(VALU_DEP_1)
	v_clz_i32_u32_e32 v1, v1
	v_min_u32_e32 v1, 32, v1
	s_delay_alu instid0(VALU_DEP_1) | instskip(NEXT) | instid1(VALU_DEP_1)
	v_subrev_nc_u32_e32 v9, 28, v1
	v_lshlrev_b64_e32 v[16:17], v9, v[6:7]
	s_delay_alu instid0(VALU_DEP_1)
	v_dual_sub_nc_u32 v9, 29, v1 :: v_dual_bitop2_b32 v1, 7, v16 bitop3:0x40
; %bb.2255:                             ;   in Loop: Header=BB285_1581 Depth=1
	s_or_b32 exec_lo, exec_lo, s17
	s_delay_alu instid0(VALU_DEP_1) | instskip(NEXT) | instid1(VALU_DEP_2)
	v_dual_lshlrev_b32 v0, 8, v0 :: v_dual_lshlrev_b32 v1, 23, v1
	v_lshl_add_u32 v6, v9, 10, 0x2000
	s_delay_alu instid0(VALU_DEP_1) | instskip(NEXT) | instid1(VALU_DEP_1)
	v_and_or_b32 v0, 0x8000, v0, v6
	v_lshl_or_b32 v1, v0, 16, v1
.LBB285_2256:                           ;   in Loop: Header=BB285_1581 Depth=1
	s_or_b32 exec_lo, exec_lo, s16
.LBB285_2257:                           ;   in Loop: Header=BB285_1581 Depth=1
	s_delay_alu instid0(SALU_CYCLE_1)
	s_or_b32 exec_lo, exec_lo, s15
.LBB285_2258:                           ;   in Loop: Header=BB285_1581 Depth=1
	s_delay_alu instid0(SALU_CYCLE_1) | instskip(SKIP_3) | instid1(VALU_DEP_2)
	s_or_b32 exec_lo, exec_lo, s14
	v_dual_mov_b32 v9, 0 :: v_dual_lshrrev_b32 v0, 16, v64
	v_mov_b32_e32 v16, 0
	s_mov_b32 s14, exec_lo
	v_and_b32_e32 v6, 0xff, v0
	s_delay_alu instid0(VALU_DEP_1)
	v_cmpx_ne_u16_e32 0, v6
	s_cbranch_execz .LBB285_2266
; %bb.2259:                             ;   in Loop: Header=BB285_1581 Depth=1
	v_mov_b32_e32 v16, 0x8000
	s_mov_b32 s15, exec_lo
	v_cmpx_ne_u16_e32 0x80, v6
	s_cbranch_execz .LBB285_2265
; %bb.2260:                             ;   in Loop: Header=BB285_1581 Depth=1
	v_bfe_u32 v17, v64, 16, 7
	v_mov_b32_e32 v16, 0x7c01
	s_mov_b32 s16, exec_lo
	s_delay_alu instid0(VALU_DEP_2)
	v_cmpx_ne_u32_e32 0x7f, v17
	s_cbranch_execz .LBB285_2264
; %bb.2261:                             ;   in Loop: Header=BB285_1581 Depth=1
	v_dual_lshrrev_b32 v16, 3, v17 :: v_dual_bitop2_b32 v6, 7, v0 bitop3:0x40
	s_mov_b32 s17, exec_lo
	v_cmpx_gt_u32_e32 8, v17
; %bb.2262:                             ;   in Loop: Header=BB285_1581 Depth=1
	s_delay_alu instid0(VALU_DEP_2) | instskip(NEXT) | instid1(VALU_DEP_1)
	v_clz_i32_u32_e32 v6, v6
	v_min_u32_e32 v6, 32, v6
	s_delay_alu instid0(VALU_DEP_1) | instskip(NEXT) | instid1(VALU_DEP_1)
	v_subrev_nc_u32_e32 v16, 28, v6
	v_lshlrev_b64_e32 v[18:19], v16, v[0:1]
	v_sub_nc_u32_e32 v16, 29, v6
	s_delay_alu instid0(VALU_DEP_2)
	v_and_b32_e32 v6, 7, v18
; %bb.2263:                             ;   in Loop: Header=BB285_1581 Depth=1
	s_or_b32 exec_lo, exec_lo, s17
	s_delay_alu instid0(VALU_DEP_1) | instskip(NEXT) | instid1(VALU_DEP_3)
	v_dual_lshlrev_b32 v0, 8, v0 :: v_dual_lshlrev_b32 v6, 7, v6
	v_lshl_add_u32 v16, v16, 10, 0x2000
	s_delay_alu instid0(VALU_DEP_2) | instskip(NEXT) | instid1(VALU_DEP_2)
	v_and_b32_e32 v0, 0x8000, v0
	v_and_b32_e32 v16, 0xfc00, v16
	s_delay_alu instid0(VALU_DEP_1)
	v_or3_b32 v16, v0, v16, v6
.LBB285_2264:                           ;   in Loop: Header=BB285_1581 Depth=1
	s_or_b32 exec_lo, exec_lo, s16
.LBB285_2265:                           ;   in Loop: Header=BB285_1581 Depth=1
	s_delay_alu instid0(SALU_CYCLE_1)
	s_or_b32 exec_lo, exec_lo, s15
.LBB285_2266:                           ;   in Loop: Header=BB285_1581 Depth=1
	s_delay_alu instid0(SALU_CYCLE_1) | instskip(NEXT) | instid1(SALU_CYCLE_1)
	s_or_b32 exec_lo, exec_lo, s14
	s_mov_b32 s14, exec_lo
	v_cmpx_lt_u32_e32 0xffffff, v64
	s_cbranch_execz .LBB285_2274
; %bb.2267:                             ;   in Loop: Header=BB285_1581 Depth=1
	v_lshrrev_b32_e32 v6, 24, v64
	v_bfrev_b32_e32 v9, 1
	s_mov_b32 s15, exec_lo
	s_delay_alu instid0(VALU_DEP_2)
	v_cmpx_ne_u32_e32 0x80, v6
	s_cbranch_execz .LBB285_2273
; %bb.2268:                             ;   in Loop: Header=BB285_1581 Depth=1
	v_and_b32_e32 v17, 0x7f, v6
	v_mov_b32_e32 v9, 0x7c010000
	s_mov_b32 s16, exec_lo
	s_delay_alu instid0(VALU_DEP_2)
	v_cmpx_ne_u32_e32 0x7f, v17
	s_cbranch_execz .LBB285_2272
; %bb.2269:                             ;   in Loop: Header=BB285_1581 Depth=1
	v_dual_lshrrev_b32 v9, 3, v17 :: v_dual_bitop2_b32 v0, 7, v6 bitop3:0x40
	s_mov_b32 s17, exec_lo
	v_cmpx_gt_u32_e32 8, v17
; %bb.2270:                             ;   in Loop: Header=BB285_1581 Depth=1
	s_delay_alu instid0(VALU_DEP_2) | instskip(NEXT) | instid1(VALU_DEP_1)
	v_clz_i32_u32_e32 v0, v0
	v_min_u32_e32 v0, 32, v0
	s_delay_alu instid0(VALU_DEP_1) | instskip(NEXT) | instid1(VALU_DEP_1)
	v_subrev_nc_u32_e32 v9, 28, v0
	v_lshlrev_b64_e32 v[18:19], v9, v[6:7]
	s_delay_alu instid0(VALU_DEP_1)
	v_dual_sub_nc_u32 v9, 29, v0 :: v_dual_bitop2_b32 v0, 7, v18 bitop3:0x40
; %bb.2271:                             ;   in Loop: Header=BB285_1581 Depth=1
	s_or_b32 exec_lo, exec_lo, s17
	s_delay_alu instid0(VALU_DEP_1) | instskip(NEXT) | instid1(VALU_DEP_2)
	v_dual_lshlrev_b32 v6, 8, v6 :: v_dual_lshlrev_b32 v0, 23, v0
	v_lshl_add_u32 v9, v9, 10, 0x2000
	s_delay_alu instid0(VALU_DEP_1) | instskip(NEXT) | instid1(VALU_DEP_1)
	v_and_or_b32 v6, 0x8000, v6, v9
	v_lshl_or_b32 v9, v6, 16, v0
.LBB285_2272:                           ;   in Loop: Header=BB285_1581 Depth=1
	s_or_b32 exec_lo, exec_lo, s16
.LBB285_2273:                           ;   in Loop: Header=BB285_1581 Depth=1
	s_delay_alu instid0(SALU_CYCLE_1)
	s_or_b32 exec_lo, exec_lo, s15
.LBB285_2274:                           ;   in Loop: Header=BB285_1581 Depth=1
	s_delay_alu instid0(SALU_CYCLE_1) | instskip(SKIP_4) | instid1(VALU_DEP_3)
	s_or_b32 exec_lo, exec_lo, s14
	v_and_b32_e32 v0, 0xff, v65
	v_dual_mov_b32 v6, v65 :: v_dual_mov_b32 v18, 0
	v_mov_b32_e32 v17, 0
	s_mov_b32 s14, exec_lo
	v_cmpx_ne_u16_e32 0, v0
	s_cbranch_execz .LBB285_2282
; %bb.2275:                             ;   in Loop: Header=BB285_1581 Depth=1
	v_mov_b32_e32 v17, 0x8000
	s_mov_b32 s15, exec_lo
	v_cmpx_ne_u16_e32 0x80, v0
	s_cbranch_execz .LBB285_2281
; %bb.2276:                             ;   in Loop: Header=BB285_1581 Depth=1
	v_and_b32_e32 v19, 0x7f, v65
	v_mov_b32_e32 v17, 0x7c01
	s_mov_b32 s16, exec_lo
	s_delay_alu instid0(VALU_DEP_2)
	v_cmpx_ne_u32_e32 0x7f, v19
	s_cbranch_execz .LBB285_2280
; %bb.2277:                             ;   in Loop: Header=BB285_1581 Depth=1
	v_dual_lshrrev_b32 v17, 3, v19 :: v_dual_bitop2_b32 v0, 7, v65 bitop3:0x40
	s_mov_b32 s17, exec_lo
	v_cmpx_gt_u32_e32 8, v19
; %bb.2278:                             ;   in Loop: Header=BB285_1581 Depth=1
	s_delay_alu instid0(VALU_DEP_2) | instskip(NEXT) | instid1(VALU_DEP_1)
	v_clz_i32_u32_e32 v0, v0
	v_min_u32_e32 v0, 32, v0
	s_delay_alu instid0(VALU_DEP_1) | instskip(NEXT) | instid1(VALU_DEP_1)
	v_subrev_nc_u32_e32 v17, 28, v0
	v_lshlrev_b64_e32 v[22:23], v17, v[6:7]
	s_delay_alu instid0(VALU_DEP_1)
	v_dual_sub_nc_u32 v17, 29, v0 :: v_dual_bitop2_b32 v0, 7, v22 bitop3:0x40
; %bb.2279:                             ;   in Loop: Header=BB285_1581 Depth=1
	s_or_b32 exec_lo, exec_lo, s17
	s_delay_alu instid0(VALU_DEP_1) | instskip(NEXT) | instid1(VALU_DEP_2)
	v_dual_lshlrev_b32 v19, 8, v65 :: v_dual_lshlrev_b32 v0, 7, v0
	v_lshl_add_u32 v17, v17, 10, 0x2000
	s_delay_alu instid0(VALU_DEP_2) | instskip(NEXT) | instid1(VALU_DEP_2)
	v_and_b32_e32 v19, 0x8000, v19
	v_and_b32_e32 v17, 0xfc00, v17
	s_delay_alu instid0(VALU_DEP_1)
	v_or3_b32 v17, v19, v17, v0
.LBB285_2280:                           ;   in Loop: Header=BB285_1581 Depth=1
	s_or_b32 exec_lo, exec_lo, s16
.LBB285_2281:                           ;   in Loop: Header=BB285_1581 Depth=1
	s_delay_alu instid0(SALU_CYCLE_1)
	s_or_b32 exec_lo, exec_lo, s15
.LBB285_2282:                           ;   in Loop: Header=BB285_1581 Depth=1
	s_delay_alu instid0(SALU_CYCLE_1) | instskip(SKIP_3) | instid1(VALU_DEP_2)
	s_or_b32 exec_lo, exec_lo, s14
	v_lshrrev_b16 v6, 8, v6
	v_mov_b32_e32 v19, 0
	s_mov_b32 s14, exec_lo
	v_cmpx_ne_u16_e32 0, v6
	s_cbranch_execz .LBB285_2290
; %bb.2283:                             ;   in Loop: Header=BB285_1581 Depth=1
	v_bfrev_b32_e32 v19, 1
	s_mov_b32 s15, exec_lo
	v_cmpx_ne_u16_e32 0x80, v6
	s_cbranch_execz .LBB285_2289
; %bb.2284:                             ;   in Loop: Header=BB285_1581 Depth=1
	v_and_b32_e32 v0, 0xffff, v6
	v_mov_b32_e32 v19, 0x7c010000
	s_mov_b32 s16, exec_lo
	s_delay_alu instid0(VALU_DEP_2) | instskip(NEXT) | instid1(VALU_DEP_1)
	v_and_b32_e32 v23, 0x7f, v0
	v_cmpx_ne_u32_e32 0x7f, v23
	s_cbranch_execz .LBB285_2288
; %bb.2285:                             ;   in Loop: Header=BB285_1581 Depth=1
	v_dual_lshrrev_b32 v22, 3, v23 :: v_dual_bitop2_b32 v19, 7, v0 bitop3:0x40
	s_mov_b32 s17, exec_lo
	v_cmpx_gt_u32_e32 8, v23
; %bb.2286:                             ;   in Loop: Header=BB285_1581 Depth=1
	s_delay_alu instid0(VALU_DEP_2) | instskip(NEXT) | instid1(VALU_DEP_1)
	v_clz_i32_u32_e32 v19, v19
	v_min_u32_e32 v19, 32, v19
	s_delay_alu instid0(VALU_DEP_1) | instskip(NEXT) | instid1(VALU_DEP_1)
	v_subrev_nc_u32_e32 v22, 28, v19
	v_lshlrev_b64_e32 v[66:67], v22, v[6:7]
	s_delay_alu instid0(VALU_DEP_1)
	v_dual_sub_nc_u32 v22, 29, v19 :: v_dual_bitop2_b32 v19, 7, v66 bitop3:0x40
; %bb.2287:                             ;   in Loop: Header=BB285_1581 Depth=1
	s_or_b32 exec_lo, exec_lo, s17
	v_lshlrev_b32_e32 v0, 8, v0
	s_delay_alu instid0(VALU_DEP_2) | instskip(NEXT) | instid1(VALU_DEP_1)
	v_lshl_add_u32 v6, v22, 10, 0x2000
	v_and_or_b32 v0, 0x8000, v0, v6
	v_lshlrev_b32_e32 v6, 23, v19
	s_delay_alu instid0(VALU_DEP_1)
	v_lshl_or_b32 v19, v0, 16, v6
.LBB285_2288:                           ;   in Loop: Header=BB285_1581 Depth=1
	s_or_b32 exec_lo, exec_lo, s16
.LBB285_2289:                           ;   in Loop: Header=BB285_1581 Depth=1
	s_delay_alu instid0(SALU_CYCLE_1)
	s_or_b32 exec_lo, exec_lo, s15
.LBB285_2290:                           ;   in Loop: Header=BB285_1581 Depth=1
	s_delay_alu instid0(SALU_CYCLE_1) | instskip(SKIP_2) | instid1(VALU_DEP_1)
	s_or_b32 exec_lo, exec_lo, s14
	v_lshrrev_b32_e32 v0, 16, v65
	s_mov_b32 s14, exec_lo
	v_and_b32_e32 v6, 0xff, v0
	s_delay_alu instid0(VALU_DEP_1)
	v_cmpx_ne_u16_e32 0, v6
	s_cbranch_execz .LBB285_2298
; %bb.2291:                             ;   in Loop: Header=BB285_1581 Depth=1
	v_mov_b32_e32 v18, 0x8000
	s_mov_b32 s15, exec_lo
	v_cmpx_ne_u16_e32 0x80, v6
	s_cbranch_execz .LBB285_2297
; %bb.2292:                             ;   in Loop: Header=BB285_1581 Depth=1
	v_bfe_u32 v22, v65, 16, 7
	v_mov_b32_e32 v18, 0x7c01
	s_mov_b32 s16, exec_lo
	s_delay_alu instid0(VALU_DEP_2)
	v_cmpx_ne_u32_e32 0x7f, v22
	s_cbranch_execz .LBB285_2296
; %bb.2293:                             ;   in Loop: Header=BB285_1581 Depth=1
	v_dual_lshrrev_b32 v18, 3, v22 :: v_dual_bitop2_b32 v6, 7, v0 bitop3:0x40
	s_mov_b32 s17, exec_lo
	v_cmpx_gt_u32_e32 8, v22
; %bb.2294:                             ;   in Loop: Header=BB285_1581 Depth=1
	s_delay_alu instid0(VALU_DEP_2) | instskip(NEXT) | instid1(VALU_DEP_1)
	v_clz_i32_u32_e32 v6, v6
	v_min_u32_e32 v6, 32, v6
	s_delay_alu instid0(VALU_DEP_1) | instskip(NEXT) | instid1(VALU_DEP_1)
	v_subrev_nc_u32_e32 v18, 28, v6
	v_lshlrev_b64_e32 v[22:23], v18, v[0:1]
	v_sub_nc_u32_e32 v18, 29, v6
	s_delay_alu instid0(VALU_DEP_2)
	v_and_b32_e32 v6, 7, v22
; %bb.2295:                             ;   in Loop: Header=BB285_1581 Depth=1
	s_or_b32 exec_lo, exec_lo, s17
	s_delay_alu instid0(VALU_DEP_1) | instskip(NEXT) | instid1(VALU_DEP_3)
	v_dual_lshlrev_b32 v0, 8, v0 :: v_dual_lshlrev_b32 v6, 7, v6
	v_lshl_add_u32 v18, v18, 10, 0x2000
	s_delay_alu instid0(VALU_DEP_2) | instskip(NEXT) | instid1(VALU_DEP_2)
	v_and_b32_e32 v0, 0x8000, v0
	v_and_b32_e32 v18, 0xfc00, v18
	s_delay_alu instid0(VALU_DEP_1)
	v_or3_b32 v18, v0, v18, v6
.LBB285_2296:                           ;   in Loop: Header=BB285_1581 Depth=1
	s_or_b32 exec_lo, exec_lo, s16
.LBB285_2297:                           ;   in Loop: Header=BB285_1581 Depth=1
	s_delay_alu instid0(SALU_CYCLE_1)
	s_or_b32 exec_lo, exec_lo, s15
.LBB285_2298:                           ;   in Loop: Header=BB285_1581 Depth=1
	s_delay_alu instid0(SALU_CYCLE_1)
	s_or_b32 exec_lo, exec_lo, s14
	v_mov_b32_e32 v0, 0
	s_mov_b32 s14, exec_lo
	v_cmpx_lt_u64_e64 s[2:3], v[64:65]
	s_cbranch_execz .LBB285_2306
; %bb.2299:                             ;   in Loop: Header=BB285_1581 Depth=1
	v_lshrrev_b32_e32 v6, 24, v65
	v_bfrev_b32_e32 v0, 1
	s_mov_b32 s15, exec_lo
	s_delay_alu instid0(VALU_DEP_2)
	v_cmpx_ne_u32_e32 0x80, v6
	s_cbranch_execz .LBB285_2305
; %bb.2300:                             ;   in Loop: Header=BB285_1581 Depth=1
	v_and_b32_e32 v23, 0x7f, v6
	v_mov_b32_e32 v0, 0x7c010000
	s_mov_b32 s16, exec_lo
	s_delay_alu instid0(VALU_DEP_2)
	v_cmpx_ne_u32_e32 0x7f, v23
	s_cbranch_execz .LBB285_2304
; %bb.2301:                             ;   in Loop: Header=BB285_1581 Depth=1
	v_dual_lshrrev_b32 v22, 3, v23 :: v_dual_bitop2_b32 v0, 7, v6 bitop3:0x40
	s_mov_b32 s17, exec_lo
	v_cmpx_gt_u32_e32 8, v23
; %bb.2302:                             ;   in Loop: Header=BB285_1581 Depth=1
	s_delay_alu instid0(VALU_DEP_2) | instskip(NEXT) | instid1(VALU_DEP_1)
	v_clz_i32_u32_e32 v0, v0
	v_min_u32_e32 v0, 32, v0
	s_delay_alu instid0(VALU_DEP_1) | instskip(NEXT) | instid1(VALU_DEP_1)
	v_subrev_nc_u32_e32 v22, 28, v0
	v_lshlrev_b64_e32 v[64:65], v22, v[6:7]
	v_sub_nc_u32_e32 v22, 29, v0
	s_delay_alu instid0(VALU_DEP_2)
	v_and_b32_e32 v0, 7, v64
; %bb.2303:                             ;   in Loop: Header=BB285_1581 Depth=1
	s_or_b32 exec_lo, exec_lo, s17
	s_delay_alu instid0(VALU_DEP_1) | instskip(NEXT) | instid1(VALU_DEP_3)
	v_dual_lshlrev_b32 v6, 8, v6 :: v_dual_lshlrev_b32 v0, 23, v0
	v_lshl_add_u32 v22, v22, 10, 0x2000
	s_delay_alu instid0(VALU_DEP_1) | instskip(NEXT) | instid1(VALU_DEP_1)
	v_and_or_b32 v6, 0x8000, v6, v22
	v_lshl_or_b32 v0, v6, 16, v0
.LBB285_2304:                           ;   in Loop: Header=BB285_1581 Depth=1
	s_or_b32 exec_lo, exec_lo, s16
.LBB285_2305:                           ;   in Loop: Header=BB285_1581 Depth=1
	s_delay_alu instid0(SALU_CYCLE_1)
	s_or_b32 exec_lo, exec_lo, s15
.LBB285_2306:                           ;   in Loop: Header=BB285_1581 Depth=1
	s_delay_alu instid0(SALU_CYCLE_1) | instskip(SKIP_2) | instid1(VALU_DEP_2)
	s_or_b32 exec_lo, exec_lo, s14
	v_dual_lshrrev_b32 v6, 16, v1 :: v_dual_bitop2_b32 v1, v1, v8 bitop3:0x54
	v_dual_lshrrev_b32 v22, 16, v9 :: v_dual_bitop2_b32 v16, v9, v16 bitop3:0x54
	v_cvt_f32_f16_e32 v9, v6
	v_dual_lshrrev_b32 v18, 16, v19 :: v_dual_bitop2_b32 v6, v0, v18 bitop3:0x54
	s_delay_alu instid0(VALU_DEP_3)
	v_cvt_f32_f16_e32 v8, v22
	v_dual_lshrrev_b32 v22, 16, v0 :: v_dual_bitop2_b32 v19, v19, v17 bitop3:0x54
	v_cvt_f32_f16_e32 v0, v16
	v_cvt_f32_f16_e32 v1, v1
	s_wait_loadcnt_dscnt 0x0
	v_pk_mul_f32 v[8:9], v[54:55], v[8:9] op_sel_hi:[0,1]
	v_cvt_f32_f16_e32 v17, v18
	v_cvt_f32_f16_e32 v16, v22
	;; [unrolled: 1-line block ×4, first 2 shown]
	v_pk_mul_f32 v[0:1], v[54:55], v[0:1] op_sel_hi:[0,1]
	v_cvt_pk_f16_f32 v6, v8, v9
	v_pk_mul_f32 v[8:9], v[54:55], v[16:17] op_sel_hi:[0,1]
	s_delay_alu instid0(VALU_DEP_4) | instskip(NEXT) | instid1(VALU_DEP_4)
	v_pk_mul_f32 v[16:17], v[54:55], v[18:19] op_sel_hi:[0,1]
	v_cvt_pk_f16_f32 v0, v0, v1
	s_delay_alu instid0(VALU_DEP_4) | instskip(NEXT) | instid1(VALU_DEP_4)
	v_and_b32_e32 v19, 0xffff0000, v6
	v_cvt_pk_f16_f32 v8, v8, v9
	v_lshlrev_b32_e32 v54, 16, v6
	v_cvt_pk_f16_f32 v6, v16, v17
	v_lshrrev_b32_e32 v67, 16, v0
	v_and_b32_e32 v68, 0xffff, v0
	v_and_b32_e32 v1, 0xffff0000, v8
	s_delay_alu instid0(VALU_DEP_4) | instskip(SKIP_3) | instid1(VALU_DEP_4)
	v_dual_lshlrev_b32 v0, 16, v8 :: v_dual_lshrrev_b32 v9, 16, v6
	v_and_b32_e32 v6, 0xffff, v6
	v_or_b32_e32 v65, v19, v67
	v_or_b32_e32 v66, v54, v68
	v_or_b32_e32 v55, v1, v9
	s_delay_alu instid0(VALU_DEP_4)
	v_or_b32_e32 v64, v0, v6
	s_and_saveexec_b32 s14, vcc_lo
	s_cbranch_execz .LBB285_2308
; %bb.2307:                             ;   in Loop: Header=BB285_1581 Depth=1
	v_cmp_lt_i32_e64 s0, v84, v13
	s_delay_alu instid0(VALU_DEP_1) | instskip(SKIP_1) | instid1(VALU_DEP_1)
	v_cndmask_b32_e64 v8, 0, v67, s0
	v_cmp_lt_i32_e64 s0, v99, v12
	v_cndmask_b32_e64 v16, 0, v68, s0
	v_cmp_lt_i32_e64 s0, v98, v13
	s_delay_alu instid0(VALU_DEP_1) | instskip(SKIP_1) | instid1(VALU_DEP_1)
	v_cndmask_b32_e64 v17, 0, v19, s0
	v_cmp_lt_i32_e64 s0, v97, v12
	v_cndmask_b32_e64 v18, 0, v54, s0
	v_cmp_lt_i32_e64 s0, v96, v13
	s_delay_alu instid0(VALU_DEP_4) | instskip(NEXT) | instid1(VALU_DEP_2)
	v_or_b32_e32 v65, v8, v17
	v_dual_cndmask_b32 v9, 0, v9, s0 :: v_dual_bitop2_b32 v66, v16, v18 bitop3:0x54
	v_cmp_lt_i32_e64 s0, v87, v12
	s_delay_alu instid0(VALU_DEP_1) | instskip(SKIP_1) | instid1(VALU_DEP_1)
	v_cndmask_b32_e64 v6, 0, v6, s0
	v_cmp_lt_i32_e64 s0, v86, v13
	v_cndmask_b32_e64 v1, 0, v1, s0
	v_cmp_lt_i32_e64 s0, v85, v12
	s_delay_alu instid0(VALU_DEP_1) | instskip(NEXT) | instid1(VALU_DEP_1)
	v_dual_cndmask_b32 v0, 0, v0, s0 :: v_dual_bitop2_b32 v55, v9, v1 bitop3:0x54
	v_or_b32_e32 v64, v6, v0
.LBB285_2308:                           ;   in Loop: Header=BB285_1581 Depth=1
	s_or_b32 exec_lo, exec_lo, s14
	;;#ASMSTART
	v_pk_mul_f16 v0, v112, v65;

	;;#ASMEND
	;;#ASMSTART
	v_pk_mul_f16 v1, v102, v66;

	;;#ASMEND
	;; [unrolled: 4-line block ×4, first 2 shown]
	;;#ASMSTART
	v_pk_add_f16 v0, v0, v1;

	;;#ASMEND
	;;#ASMSTART
	v_pk_add_f16 v0, v0, v6;

	;;#ASMEND
	;; [unrolled: 4-line block ×3, first 2 shown]
	v_and_b32_e32 v1, 0xffff, v0
	v_lshrrev_b32_e32 v0, 16, v0
	;;#ASMSTART
	v_cvt_f32_f16 v60, v1;
	;;#ASMEND
	;;#ASMSTART
	v_cvt_f32_f16 v61, v0;
	;;#ASMEND
	flat_load_b64 v[64:65], v[28:29] offset:2816
	scratch_load_b64 v[0:1], off, s32 offset:192 ; 8-byte Folded Reload
	v_mov_b32_e32 v8, 0
	s_mov_b32 s14, exec_lo
	s_wait_loadcnt 0x0
	flat_load_b32 v54, v[0:1]
	s_wait_dscnt 0x1
	s_wait_xcnt 0x0
	v_and_b32_e32 v0, 0xff, v64
	v_mov_b32_e32 v1, 0
	s_delay_alu instid0(VALU_DEP_2)
	v_cmpx_ne_u16_e32 0, v0
	s_cbranch_execz .LBB285_2316
; %bb.2309:                             ;   in Loop: Header=BB285_1581 Depth=1
	v_mov_b32_e32 v8, 0x8000
	s_mov_b32 s15, exec_lo
	v_cmpx_ne_u16_e32 0x80, v0
	s_cbranch_execz .LBB285_2315
; %bb.2310:                             ;   in Loop: Header=BB285_1581 Depth=1
	v_and_b32_e32 v9, 0x7f, v64
	v_mov_b32_e32 v8, 0x7c01
	s_mov_b32 s16, exec_lo
	s_delay_alu instid0(VALU_DEP_2)
	v_cmpx_ne_u32_e32 0x7f, v9
	s_cbranch_execz .LBB285_2314
; %bb.2311:                             ;   in Loop: Header=BB285_1581 Depth=1
	v_dual_lshrrev_b32 v6, 3, v9 :: v_dual_bitop2_b32 v0, 7, v64 bitop3:0x40
	s_mov_b32 s17, exec_lo
	v_cmpx_gt_u32_e32 8, v9
; %bb.2312:                             ;   in Loop: Header=BB285_1581 Depth=1
	s_delay_alu instid0(VALU_DEP_2) | instskip(NEXT) | instid1(VALU_DEP_1)
	v_clz_i32_u32_e32 v0, v0
	v_min_u32_e32 v0, 32, v0
	s_delay_alu instid0(VALU_DEP_1) | instskip(NEXT) | instid1(VALU_DEP_1)
	v_subrev_nc_u32_e32 v6, 28, v0
	v_lshlrev_b64_e32 v[8:9], v6, v[64:65]
	v_sub_nc_u32_e32 v6, 29, v0
	s_delay_alu instid0(VALU_DEP_2)
	v_and_b32_e32 v0, 7, v8
; %bb.2313:                             ;   in Loop: Header=BB285_1581 Depth=1
	s_or_b32 exec_lo, exec_lo, s17
	v_lshlrev_b32_e32 v8, 8, v64
	s_delay_alu instid0(VALU_DEP_3) | instskip(NEXT) | instid1(VALU_DEP_3)
	v_lshl_add_u32 v6, v6, 10, 0x2000
	v_lshlrev_b32_e32 v0, 7, v0
	s_delay_alu instid0(VALU_DEP_3) | instskip(NEXT) | instid1(VALU_DEP_3)
	v_and_b32_e32 v8, 0x8000, v8
	v_and_b32_e32 v6, 0xfc00, v6
	s_delay_alu instid0(VALU_DEP_1)
	v_or3_b32 v8, v8, v6, v0
.LBB285_2314:                           ;   in Loop: Header=BB285_1581 Depth=1
	s_or_b32 exec_lo, exec_lo, s16
.LBB285_2315:                           ;   in Loop: Header=BB285_1581 Depth=1
	s_delay_alu instid0(SALU_CYCLE_1)
	s_or_b32 exec_lo, exec_lo, s15
.LBB285_2316:                           ;   in Loop: Header=BB285_1581 Depth=1
	s_delay_alu instid0(SALU_CYCLE_1) | instskip(SKIP_2) | instid1(VALU_DEP_1)
	s_or_b32 exec_lo, exec_lo, s14
	v_lshrrev_b16 v6, 8, v64
	s_mov_b32 s14, exec_lo
	v_cmpx_ne_u16_e32 0, v6
	s_cbranch_execz .LBB285_2324
; %bb.2317:                             ;   in Loop: Header=BB285_1581 Depth=1
	v_bfrev_b32_e32 v1, 1
	s_mov_b32 s15, exec_lo
	v_cmpx_ne_u16_e32 0x80, v6
	s_cbranch_execz .LBB285_2323
; %bb.2318:                             ;   in Loop: Header=BB285_1581 Depth=1
	v_and_b32_e32 v0, 0xffff, v6
	v_mov_b32_e32 v1, 0x7c010000
	s_mov_b32 s16, exec_lo
	s_delay_alu instid0(VALU_DEP_2) | instskip(NEXT) | instid1(VALU_DEP_1)
	v_and_b32_e32 v16, 0x7f, v0
	v_cmpx_ne_u32_e32 0x7f, v16
	s_cbranch_execz .LBB285_2322
; %bb.2319:                             ;   in Loop: Header=BB285_1581 Depth=1
	v_and_b32_e32 v1, 7, v0
	v_lshrrev_b32_e32 v9, 3, v16
	s_mov_b32 s17, exec_lo
	v_cmpx_gt_u32_e32 8, v16
; %bb.2320:                             ;   in Loop: Header=BB285_1581 Depth=1
	s_delay_alu instid0(VALU_DEP_3) | instskip(NEXT) | instid1(VALU_DEP_1)
	v_clz_i32_u32_e32 v1, v1
	v_min_u32_e32 v1, 32, v1
	s_delay_alu instid0(VALU_DEP_1) | instskip(NEXT) | instid1(VALU_DEP_1)
	v_subrev_nc_u32_e32 v9, 28, v1
	v_lshlrev_b64_e32 v[16:17], v9, v[6:7]
	s_delay_alu instid0(VALU_DEP_1)
	v_dual_sub_nc_u32 v9, 29, v1 :: v_dual_bitop2_b32 v1, 7, v16 bitop3:0x40
; %bb.2321:                             ;   in Loop: Header=BB285_1581 Depth=1
	s_or_b32 exec_lo, exec_lo, s17
	s_delay_alu instid0(VALU_DEP_1) | instskip(NEXT) | instid1(VALU_DEP_2)
	v_dual_lshlrev_b32 v0, 8, v0 :: v_dual_lshlrev_b32 v1, 23, v1
	v_lshl_add_u32 v6, v9, 10, 0x2000
	s_delay_alu instid0(VALU_DEP_1) | instskip(NEXT) | instid1(VALU_DEP_1)
	v_and_or_b32 v0, 0x8000, v0, v6
	v_lshl_or_b32 v1, v0, 16, v1
.LBB285_2322:                           ;   in Loop: Header=BB285_1581 Depth=1
	s_or_b32 exec_lo, exec_lo, s16
.LBB285_2323:                           ;   in Loop: Header=BB285_1581 Depth=1
	s_delay_alu instid0(SALU_CYCLE_1)
	s_or_b32 exec_lo, exec_lo, s15
.LBB285_2324:                           ;   in Loop: Header=BB285_1581 Depth=1
	s_delay_alu instid0(SALU_CYCLE_1) | instskip(SKIP_3) | instid1(VALU_DEP_2)
	s_or_b32 exec_lo, exec_lo, s14
	v_dual_mov_b32 v9, 0 :: v_dual_lshrrev_b32 v0, 16, v64
	v_mov_b32_e32 v16, 0
	s_mov_b32 s14, exec_lo
	v_and_b32_e32 v6, 0xff, v0
	s_delay_alu instid0(VALU_DEP_1)
	v_cmpx_ne_u16_e32 0, v6
	s_cbranch_execz .LBB285_2332
; %bb.2325:                             ;   in Loop: Header=BB285_1581 Depth=1
	v_mov_b32_e32 v16, 0x8000
	s_mov_b32 s15, exec_lo
	v_cmpx_ne_u16_e32 0x80, v6
	s_cbranch_execz .LBB285_2331
; %bb.2326:                             ;   in Loop: Header=BB285_1581 Depth=1
	v_bfe_u32 v17, v64, 16, 7
	v_mov_b32_e32 v16, 0x7c01
	s_mov_b32 s16, exec_lo
	s_delay_alu instid0(VALU_DEP_2)
	v_cmpx_ne_u32_e32 0x7f, v17
	s_cbranch_execz .LBB285_2330
; %bb.2327:                             ;   in Loop: Header=BB285_1581 Depth=1
	v_dual_lshrrev_b32 v16, 3, v17 :: v_dual_bitop2_b32 v6, 7, v0 bitop3:0x40
	s_mov_b32 s17, exec_lo
	v_cmpx_gt_u32_e32 8, v17
; %bb.2328:                             ;   in Loop: Header=BB285_1581 Depth=1
	s_delay_alu instid0(VALU_DEP_2) | instskip(NEXT) | instid1(VALU_DEP_1)
	v_clz_i32_u32_e32 v6, v6
	v_min_u32_e32 v6, 32, v6
	s_delay_alu instid0(VALU_DEP_1) | instskip(NEXT) | instid1(VALU_DEP_1)
	v_subrev_nc_u32_e32 v16, 28, v6
	v_lshlrev_b64_e32 v[18:19], v16, v[0:1]
	v_sub_nc_u32_e32 v16, 29, v6
	s_delay_alu instid0(VALU_DEP_2)
	v_and_b32_e32 v6, 7, v18
; %bb.2329:                             ;   in Loop: Header=BB285_1581 Depth=1
	s_or_b32 exec_lo, exec_lo, s17
	s_delay_alu instid0(VALU_DEP_1) | instskip(NEXT) | instid1(VALU_DEP_3)
	v_dual_lshlrev_b32 v0, 8, v0 :: v_dual_lshlrev_b32 v6, 7, v6
	v_lshl_add_u32 v16, v16, 10, 0x2000
	s_delay_alu instid0(VALU_DEP_2) | instskip(NEXT) | instid1(VALU_DEP_2)
	v_and_b32_e32 v0, 0x8000, v0
	v_and_b32_e32 v16, 0xfc00, v16
	s_delay_alu instid0(VALU_DEP_1)
	v_or3_b32 v16, v0, v16, v6
.LBB285_2330:                           ;   in Loop: Header=BB285_1581 Depth=1
	s_or_b32 exec_lo, exec_lo, s16
.LBB285_2331:                           ;   in Loop: Header=BB285_1581 Depth=1
	s_delay_alu instid0(SALU_CYCLE_1)
	s_or_b32 exec_lo, exec_lo, s15
.LBB285_2332:                           ;   in Loop: Header=BB285_1581 Depth=1
	s_delay_alu instid0(SALU_CYCLE_1) | instskip(NEXT) | instid1(SALU_CYCLE_1)
	s_or_b32 exec_lo, exec_lo, s14
	s_mov_b32 s14, exec_lo
	v_cmpx_lt_u32_e32 0xffffff, v64
	s_cbranch_execz .LBB285_2340
; %bb.2333:                             ;   in Loop: Header=BB285_1581 Depth=1
	v_lshrrev_b32_e32 v6, 24, v64
	v_bfrev_b32_e32 v9, 1
	s_mov_b32 s15, exec_lo
	s_delay_alu instid0(VALU_DEP_2)
	v_cmpx_ne_u32_e32 0x80, v6
	s_cbranch_execz .LBB285_2339
; %bb.2334:                             ;   in Loop: Header=BB285_1581 Depth=1
	v_and_b32_e32 v17, 0x7f, v6
	v_mov_b32_e32 v9, 0x7c010000
	s_mov_b32 s16, exec_lo
	s_delay_alu instid0(VALU_DEP_2)
	v_cmpx_ne_u32_e32 0x7f, v17
	s_cbranch_execz .LBB285_2338
; %bb.2335:                             ;   in Loop: Header=BB285_1581 Depth=1
	v_dual_lshrrev_b32 v9, 3, v17 :: v_dual_bitop2_b32 v0, 7, v6 bitop3:0x40
	s_mov_b32 s17, exec_lo
	v_cmpx_gt_u32_e32 8, v17
; %bb.2336:                             ;   in Loop: Header=BB285_1581 Depth=1
	s_delay_alu instid0(VALU_DEP_2) | instskip(NEXT) | instid1(VALU_DEP_1)
	v_clz_i32_u32_e32 v0, v0
	v_min_u32_e32 v0, 32, v0
	s_delay_alu instid0(VALU_DEP_1) | instskip(NEXT) | instid1(VALU_DEP_1)
	v_subrev_nc_u32_e32 v9, 28, v0
	v_lshlrev_b64_e32 v[18:19], v9, v[6:7]
	s_delay_alu instid0(VALU_DEP_1)
	v_dual_sub_nc_u32 v9, 29, v0 :: v_dual_bitop2_b32 v0, 7, v18 bitop3:0x40
; %bb.2337:                             ;   in Loop: Header=BB285_1581 Depth=1
	s_or_b32 exec_lo, exec_lo, s17
	s_delay_alu instid0(VALU_DEP_1) | instskip(NEXT) | instid1(VALU_DEP_2)
	v_dual_lshlrev_b32 v6, 8, v6 :: v_dual_lshlrev_b32 v0, 23, v0
	v_lshl_add_u32 v9, v9, 10, 0x2000
	s_delay_alu instid0(VALU_DEP_1) | instskip(NEXT) | instid1(VALU_DEP_1)
	v_and_or_b32 v6, 0x8000, v6, v9
	v_lshl_or_b32 v9, v6, 16, v0
.LBB285_2338:                           ;   in Loop: Header=BB285_1581 Depth=1
	s_or_b32 exec_lo, exec_lo, s16
.LBB285_2339:                           ;   in Loop: Header=BB285_1581 Depth=1
	s_delay_alu instid0(SALU_CYCLE_1)
	s_or_b32 exec_lo, exec_lo, s15
.LBB285_2340:                           ;   in Loop: Header=BB285_1581 Depth=1
	s_delay_alu instid0(SALU_CYCLE_1) | instskip(SKIP_4) | instid1(VALU_DEP_3)
	s_or_b32 exec_lo, exec_lo, s14
	v_and_b32_e32 v0, 0xff, v65
	v_dual_mov_b32 v6, v65 :: v_dual_mov_b32 v18, 0
	v_mov_b32_e32 v17, 0
	s_mov_b32 s14, exec_lo
	v_cmpx_ne_u16_e32 0, v0
	s_cbranch_execz .LBB285_2348
; %bb.2341:                             ;   in Loop: Header=BB285_1581 Depth=1
	v_mov_b32_e32 v17, 0x8000
	s_mov_b32 s15, exec_lo
	v_cmpx_ne_u16_e32 0x80, v0
	s_cbranch_execz .LBB285_2347
; %bb.2342:                             ;   in Loop: Header=BB285_1581 Depth=1
	v_and_b32_e32 v19, 0x7f, v65
	v_mov_b32_e32 v17, 0x7c01
	s_mov_b32 s16, exec_lo
	s_delay_alu instid0(VALU_DEP_2)
	v_cmpx_ne_u32_e32 0x7f, v19
	s_cbranch_execz .LBB285_2346
; %bb.2343:                             ;   in Loop: Header=BB285_1581 Depth=1
	v_dual_lshrrev_b32 v17, 3, v19 :: v_dual_bitop2_b32 v0, 7, v65 bitop3:0x40
	s_mov_b32 s17, exec_lo
	v_cmpx_gt_u32_e32 8, v19
; %bb.2344:                             ;   in Loop: Header=BB285_1581 Depth=1
	s_delay_alu instid0(VALU_DEP_2) | instskip(NEXT) | instid1(VALU_DEP_1)
	v_clz_i32_u32_e32 v0, v0
	v_min_u32_e32 v0, 32, v0
	s_delay_alu instid0(VALU_DEP_1) | instskip(NEXT) | instid1(VALU_DEP_1)
	v_subrev_nc_u32_e32 v17, 28, v0
	v_lshlrev_b64_e32 v[22:23], v17, v[6:7]
	s_delay_alu instid0(VALU_DEP_1)
	v_dual_sub_nc_u32 v17, 29, v0 :: v_dual_bitop2_b32 v0, 7, v22 bitop3:0x40
; %bb.2345:                             ;   in Loop: Header=BB285_1581 Depth=1
	s_or_b32 exec_lo, exec_lo, s17
	s_delay_alu instid0(VALU_DEP_1) | instskip(NEXT) | instid1(VALU_DEP_2)
	v_dual_lshlrev_b32 v19, 8, v65 :: v_dual_lshlrev_b32 v0, 7, v0
	v_lshl_add_u32 v17, v17, 10, 0x2000
	s_delay_alu instid0(VALU_DEP_2) | instskip(NEXT) | instid1(VALU_DEP_2)
	v_and_b32_e32 v19, 0x8000, v19
	v_and_b32_e32 v17, 0xfc00, v17
	s_delay_alu instid0(VALU_DEP_1)
	v_or3_b32 v17, v19, v17, v0
.LBB285_2346:                           ;   in Loop: Header=BB285_1581 Depth=1
	s_or_b32 exec_lo, exec_lo, s16
.LBB285_2347:                           ;   in Loop: Header=BB285_1581 Depth=1
	s_delay_alu instid0(SALU_CYCLE_1)
	s_or_b32 exec_lo, exec_lo, s15
.LBB285_2348:                           ;   in Loop: Header=BB285_1581 Depth=1
	s_delay_alu instid0(SALU_CYCLE_1) | instskip(SKIP_3) | instid1(VALU_DEP_2)
	s_or_b32 exec_lo, exec_lo, s14
	v_lshrrev_b16 v6, 8, v6
	v_mov_b32_e32 v19, 0
	s_mov_b32 s14, exec_lo
	v_cmpx_ne_u16_e32 0, v6
	s_cbranch_execz .LBB285_2356
; %bb.2349:                             ;   in Loop: Header=BB285_1581 Depth=1
	v_bfrev_b32_e32 v19, 1
	s_mov_b32 s15, exec_lo
	v_cmpx_ne_u16_e32 0x80, v6
	s_cbranch_execz .LBB285_2355
; %bb.2350:                             ;   in Loop: Header=BB285_1581 Depth=1
	v_and_b32_e32 v0, 0xffff, v6
	v_mov_b32_e32 v19, 0x7c010000
	s_mov_b32 s16, exec_lo
	s_delay_alu instid0(VALU_DEP_2) | instskip(NEXT) | instid1(VALU_DEP_1)
	v_and_b32_e32 v23, 0x7f, v0
	v_cmpx_ne_u32_e32 0x7f, v23
	s_cbranch_execz .LBB285_2354
; %bb.2351:                             ;   in Loop: Header=BB285_1581 Depth=1
	v_dual_lshrrev_b32 v22, 3, v23 :: v_dual_bitop2_b32 v19, 7, v0 bitop3:0x40
	s_mov_b32 s17, exec_lo
	v_cmpx_gt_u32_e32 8, v23
; %bb.2352:                             ;   in Loop: Header=BB285_1581 Depth=1
	s_delay_alu instid0(VALU_DEP_2) | instskip(NEXT) | instid1(VALU_DEP_1)
	v_clz_i32_u32_e32 v19, v19
	v_min_u32_e32 v19, 32, v19
	s_delay_alu instid0(VALU_DEP_1) | instskip(NEXT) | instid1(VALU_DEP_1)
	v_subrev_nc_u32_e32 v22, 28, v19
	v_lshlrev_b64_e32 v[66:67], v22, v[6:7]
	s_delay_alu instid0(VALU_DEP_1)
	v_dual_sub_nc_u32 v22, 29, v19 :: v_dual_bitop2_b32 v19, 7, v66 bitop3:0x40
; %bb.2353:                             ;   in Loop: Header=BB285_1581 Depth=1
	s_or_b32 exec_lo, exec_lo, s17
	v_lshlrev_b32_e32 v0, 8, v0
	s_delay_alu instid0(VALU_DEP_2) | instskip(NEXT) | instid1(VALU_DEP_1)
	v_lshl_add_u32 v6, v22, 10, 0x2000
	v_and_or_b32 v0, 0x8000, v0, v6
	v_lshlrev_b32_e32 v6, 23, v19
	s_delay_alu instid0(VALU_DEP_1)
	v_lshl_or_b32 v19, v0, 16, v6
.LBB285_2354:                           ;   in Loop: Header=BB285_1581 Depth=1
	s_or_b32 exec_lo, exec_lo, s16
.LBB285_2355:                           ;   in Loop: Header=BB285_1581 Depth=1
	s_delay_alu instid0(SALU_CYCLE_1)
	s_or_b32 exec_lo, exec_lo, s15
.LBB285_2356:                           ;   in Loop: Header=BB285_1581 Depth=1
	s_delay_alu instid0(SALU_CYCLE_1) | instskip(SKIP_2) | instid1(VALU_DEP_1)
	s_or_b32 exec_lo, exec_lo, s14
	v_lshrrev_b32_e32 v0, 16, v65
	s_mov_b32 s14, exec_lo
	v_and_b32_e32 v6, 0xff, v0
	s_delay_alu instid0(VALU_DEP_1)
	v_cmpx_ne_u16_e32 0, v6
	s_cbranch_execz .LBB285_2364
; %bb.2357:                             ;   in Loop: Header=BB285_1581 Depth=1
	v_mov_b32_e32 v18, 0x8000
	s_mov_b32 s15, exec_lo
	v_cmpx_ne_u16_e32 0x80, v6
	s_cbranch_execz .LBB285_2363
; %bb.2358:                             ;   in Loop: Header=BB285_1581 Depth=1
	v_bfe_u32 v22, v65, 16, 7
	v_mov_b32_e32 v18, 0x7c01
	s_mov_b32 s16, exec_lo
	s_delay_alu instid0(VALU_DEP_2)
	v_cmpx_ne_u32_e32 0x7f, v22
	s_cbranch_execz .LBB285_2362
; %bb.2359:                             ;   in Loop: Header=BB285_1581 Depth=1
	v_dual_lshrrev_b32 v18, 3, v22 :: v_dual_bitop2_b32 v6, 7, v0 bitop3:0x40
	s_mov_b32 s17, exec_lo
	v_cmpx_gt_u32_e32 8, v22
; %bb.2360:                             ;   in Loop: Header=BB285_1581 Depth=1
	s_delay_alu instid0(VALU_DEP_2) | instskip(NEXT) | instid1(VALU_DEP_1)
	v_clz_i32_u32_e32 v6, v6
	v_min_u32_e32 v6, 32, v6
	s_delay_alu instid0(VALU_DEP_1) | instskip(NEXT) | instid1(VALU_DEP_1)
	v_subrev_nc_u32_e32 v18, 28, v6
	v_lshlrev_b64_e32 v[22:23], v18, v[0:1]
	v_sub_nc_u32_e32 v18, 29, v6
	s_delay_alu instid0(VALU_DEP_2)
	v_and_b32_e32 v6, 7, v22
; %bb.2361:                             ;   in Loop: Header=BB285_1581 Depth=1
	s_or_b32 exec_lo, exec_lo, s17
	s_delay_alu instid0(VALU_DEP_1) | instskip(NEXT) | instid1(VALU_DEP_3)
	v_dual_lshlrev_b32 v0, 8, v0 :: v_dual_lshlrev_b32 v6, 7, v6
	v_lshl_add_u32 v18, v18, 10, 0x2000
	s_delay_alu instid0(VALU_DEP_2) | instskip(NEXT) | instid1(VALU_DEP_2)
	v_and_b32_e32 v0, 0x8000, v0
	v_and_b32_e32 v18, 0xfc00, v18
	s_delay_alu instid0(VALU_DEP_1)
	v_or3_b32 v18, v0, v18, v6
.LBB285_2362:                           ;   in Loop: Header=BB285_1581 Depth=1
	s_or_b32 exec_lo, exec_lo, s16
.LBB285_2363:                           ;   in Loop: Header=BB285_1581 Depth=1
	s_delay_alu instid0(SALU_CYCLE_1)
	s_or_b32 exec_lo, exec_lo, s15
.LBB285_2364:                           ;   in Loop: Header=BB285_1581 Depth=1
	s_delay_alu instid0(SALU_CYCLE_1)
	s_or_b32 exec_lo, exec_lo, s14
	v_mov_b32_e32 v0, 0
	s_mov_b32 s14, exec_lo
	v_cmpx_lt_u64_e64 s[2:3], v[64:65]
	s_cbranch_execz .LBB285_2372
; %bb.2365:                             ;   in Loop: Header=BB285_1581 Depth=1
	v_lshrrev_b32_e32 v6, 24, v65
	v_bfrev_b32_e32 v0, 1
	s_mov_b32 s15, exec_lo
	s_delay_alu instid0(VALU_DEP_2)
	v_cmpx_ne_u32_e32 0x80, v6
	s_cbranch_execz .LBB285_2371
; %bb.2366:                             ;   in Loop: Header=BB285_1581 Depth=1
	v_and_b32_e32 v23, 0x7f, v6
	v_mov_b32_e32 v0, 0x7c010000
	s_mov_b32 s16, exec_lo
	s_delay_alu instid0(VALU_DEP_2)
	v_cmpx_ne_u32_e32 0x7f, v23
	s_cbranch_execz .LBB285_2370
; %bb.2367:                             ;   in Loop: Header=BB285_1581 Depth=1
	v_dual_lshrrev_b32 v22, 3, v23 :: v_dual_bitop2_b32 v0, 7, v6 bitop3:0x40
	s_mov_b32 s17, exec_lo
	v_cmpx_gt_u32_e32 8, v23
; %bb.2368:                             ;   in Loop: Header=BB285_1581 Depth=1
	s_delay_alu instid0(VALU_DEP_2) | instskip(NEXT) | instid1(VALU_DEP_1)
	v_clz_i32_u32_e32 v0, v0
	v_min_u32_e32 v0, 32, v0
	s_delay_alu instid0(VALU_DEP_1) | instskip(NEXT) | instid1(VALU_DEP_1)
	v_subrev_nc_u32_e32 v22, 28, v0
	v_lshlrev_b64_e32 v[64:65], v22, v[6:7]
	v_sub_nc_u32_e32 v22, 29, v0
	s_delay_alu instid0(VALU_DEP_2)
	v_and_b32_e32 v0, 7, v64
; %bb.2369:                             ;   in Loop: Header=BB285_1581 Depth=1
	s_or_b32 exec_lo, exec_lo, s17
	s_delay_alu instid0(VALU_DEP_1) | instskip(NEXT) | instid1(VALU_DEP_3)
	v_dual_lshlrev_b32 v6, 8, v6 :: v_dual_lshlrev_b32 v0, 23, v0
	v_lshl_add_u32 v22, v22, 10, 0x2000
	s_delay_alu instid0(VALU_DEP_1) | instskip(NEXT) | instid1(VALU_DEP_1)
	v_and_or_b32 v6, 0x8000, v6, v22
	v_lshl_or_b32 v0, v6, 16, v0
.LBB285_2370:                           ;   in Loop: Header=BB285_1581 Depth=1
	s_or_b32 exec_lo, exec_lo, s16
.LBB285_2371:                           ;   in Loop: Header=BB285_1581 Depth=1
	s_delay_alu instid0(SALU_CYCLE_1)
	s_or_b32 exec_lo, exec_lo, s15
.LBB285_2372:                           ;   in Loop: Header=BB285_1581 Depth=1
	s_delay_alu instid0(SALU_CYCLE_1) | instskip(SKIP_2) | instid1(VALU_DEP_2)
	s_or_b32 exec_lo, exec_lo, s14
	v_dual_lshrrev_b32 v6, 16, v1 :: v_dual_bitop2_b32 v1, v1, v8 bitop3:0x54
	v_dual_lshrrev_b32 v22, 16, v9 :: v_dual_bitop2_b32 v16, v9, v16 bitop3:0x54
	v_cvt_f32_f16_e32 v9, v6
	v_dual_lshrrev_b32 v18, 16, v19 :: v_dual_bitop2_b32 v6, v0, v18 bitop3:0x54
	s_delay_alu instid0(VALU_DEP_3)
	v_cvt_f32_f16_e32 v8, v22
	v_dual_lshrrev_b32 v22, 16, v0 :: v_dual_bitop2_b32 v19, v19, v17 bitop3:0x54
	v_cvt_f32_f16_e32 v0, v16
	v_cvt_f32_f16_e32 v1, v1
	s_wait_loadcnt_dscnt 0x0
	v_pk_mul_f32 v[8:9], v[54:55], v[8:9] op_sel_hi:[0,1]
	v_cvt_f32_f16_e32 v17, v18
	v_cvt_f32_f16_e32 v16, v22
	;; [unrolled: 1-line block ×4, first 2 shown]
	v_pk_mul_f32 v[0:1], v[54:55], v[0:1] op_sel_hi:[0,1]
	v_cvt_pk_f16_f32 v6, v8, v9
	v_pk_mul_f32 v[8:9], v[54:55], v[16:17] op_sel_hi:[0,1]
	s_delay_alu instid0(VALU_DEP_4) | instskip(NEXT) | instid1(VALU_DEP_4)
	v_pk_mul_f32 v[16:17], v[54:55], v[18:19] op_sel_hi:[0,1]
	v_cvt_pk_f16_f32 v0, v0, v1
	s_delay_alu instid0(VALU_DEP_4) | instskip(NEXT) | instid1(VALU_DEP_4)
	v_and_b32_e32 v19, 0xffff0000, v6
	v_cvt_pk_f16_f32 v8, v8, v9
	v_lshlrev_b32_e32 v54, 16, v6
	v_cvt_pk_f16_f32 v6, v16, v17
	v_lshrrev_b32_e32 v67, 16, v0
	v_and_b32_e32 v68, 0xffff, v0
	v_and_b32_e32 v1, 0xffff0000, v8
	s_delay_alu instid0(VALU_DEP_4) | instskip(SKIP_3) | instid1(VALU_DEP_4)
	v_dual_lshlrev_b32 v0, 16, v8 :: v_dual_lshrrev_b32 v9, 16, v6
	v_and_b32_e32 v6, 0xffff, v6
	v_or_b32_e32 v65, v19, v67
	v_or_b32_e32 v66, v54, v68
	;; [unrolled: 1-line block ×3, first 2 shown]
	s_delay_alu instid0(VALU_DEP_4)
	v_or_b32_e32 v64, v0, v6
	s_and_saveexec_b32 s14, vcc_lo
	s_cbranch_execz .LBB285_2374
; %bb.2373:                             ;   in Loop: Header=BB285_1581 Depth=1
	v_cmp_lt_i32_e64 s0, v84, v13
	s_delay_alu instid0(VALU_DEP_1) | instskip(SKIP_1) | instid1(VALU_DEP_1)
	v_cndmask_b32_e64 v8, 0, v67, s0
	v_cmp_lt_i32_e64 s0, v99, v12
	v_cndmask_b32_e64 v16, 0, v68, s0
	v_cmp_lt_i32_e64 s0, v98, v13
	s_delay_alu instid0(VALU_DEP_1) | instskip(SKIP_1) | instid1(VALU_DEP_1)
	v_cndmask_b32_e64 v17, 0, v19, s0
	v_cmp_lt_i32_e64 s0, v97, v12
	v_cndmask_b32_e64 v18, 0, v54, s0
	v_cmp_lt_i32_e64 s0, v96, v13
	s_delay_alu instid0(VALU_DEP_4) | instskip(NEXT) | instid1(VALU_DEP_2)
	v_or_b32_e32 v65, v8, v17
	v_dual_cndmask_b32 v9, 0, v9, s0 :: v_dual_bitop2_b32 v66, v16, v18 bitop3:0x54
	v_cmp_lt_i32_e64 s0, v87, v12
	s_delay_alu instid0(VALU_DEP_1) | instskip(SKIP_1) | instid1(VALU_DEP_1)
	v_cndmask_b32_e64 v6, 0, v6, s0
	v_cmp_lt_i32_e64 s0, v86, v13
	v_cndmask_b32_e64 v1, 0, v1, s0
	v_cmp_lt_i32_e64 s0, v85, v12
	s_delay_alu instid0(VALU_DEP_1) | instskip(NEXT) | instid1(VALU_DEP_1)
	v_dual_cndmask_b32 v0, 0, v0, s0 :: v_dual_bitop2_b32 v55, v9, v1 bitop3:0x54
	v_or_b32_e32 v64, v6, v0
.LBB285_2374:                           ;   in Loop: Header=BB285_1581 Depth=1
	s_or_b32 exec_lo, exec_lo, s14
	;;#ASMSTART
	v_pk_mul_f16 v0, v112, v65;

	;;#ASMEND
	;;#ASMSTART
	v_pk_mul_f16 v1, v102, v66;

	;;#ASMEND
	;; [unrolled: 4-line block ×4, first 2 shown]
	;;#ASMSTART
	v_pk_add_f16 v0, v0, v1;

	;;#ASMEND
	;;#ASMSTART
	v_pk_add_f16 v0, v0, v6;

	;;#ASMEND
	;; [unrolled: 4-line block ×3, first 2 shown]
	v_and_b32_e32 v1, 0xffff, v0
	v_lshrrev_b32_e32 v0, 16, v0
	;;#ASMSTART
	v_cvt_f32_f16 v62, v1;
	;;#ASMEND
	;;#ASMSTART
	v_cvt_f32_f16 v63, v0;
	;;#ASMEND
	flat_load_b64 v[64:65], v[28:29] offset:3072
	scratch_load_b64 v[0:1], off, s32 offset:192 ; 8-byte Folded Reload
	v_mov_b32_e32 v8, 0
	s_mov_b32 s14, exec_lo
	s_wait_loadcnt 0x0
	flat_load_b32 v54, v[0:1]
	s_wait_dscnt 0x1
	s_wait_xcnt 0x0
	v_and_b32_e32 v0, 0xff, v64
	v_mov_b32_e32 v1, 0
	s_delay_alu instid0(VALU_DEP_2)
	v_cmpx_ne_u16_e32 0, v0
	s_cbranch_execz .LBB285_2382
; %bb.2375:                             ;   in Loop: Header=BB285_1581 Depth=1
	v_mov_b32_e32 v8, 0x8000
	s_mov_b32 s15, exec_lo
	v_cmpx_ne_u16_e32 0x80, v0
	s_cbranch_execz .LBB285_2381
; %bb.2376:                             ;   in Loop: Header=BB285_1581 Depth=1
	v_and_b32_e32 v9, 0x7f, v64
	v_mov_b32_e32 v8, 0x7c01
	s_mov_b32 s16, exec_lo
	s_delay_alu instid0(VALU_DEP_2)
	v_cmpx_ne_u32_e32 0x7f, v9
	s_cbranch_execz .LBB285_2380
; %bb.2377:                             ;   in Loop: Header=BB285_1581 Depth=1
	v_dual_lshrrev_b32 v6, 3, v9 :: v_dual_bitop2_b32 v0, 7, v64 bitop3:0x40
	s_mov_b32 s17, exec_lo
	v_cmpx_gt_u32_e32 8, v9
; %bb.2378:                             ;   in Loop: Header=BB285_1581 Depth=1
	s_delay_alu instid0(VALU_DEP_2) | instskip(NEXT) | instid1(VALU_DEP_1)
	v_clz_i32_u32_e32 v0, v0
	v_min_u32_e32 v0, 32, v0
	s_delay_alu instid0(VALU_DEP_1) | instskip(NEXT) | instid1(VALU_DEP_1)
	v_subrev_nc_u32_e32 v6, 28, v0
	v_lshlrev_b64_e32 v[8:9], v6, v[64:65]
	v_sub_nc_u32_e32 v6, 29, v0
	s_delay_alu instid0(VALU_DEP_2)
	v_and_b32_e32 v0, 7, v8
; %bb.2379:                             ;   in Loop: Header=BB285_1581 Depth=1
	s_or_b32 exec_lo, exec_lo, s17
	v_lshlrev_b32_e32 v8, 8, v64
	s_delay_alu instid0(VALU_DEP_3) | instskip(NEXT) | instid1(VALU_DEP_3)
	v_lshl_add_u32 v6, v6, 10, 0x2000
	v_lshlrev_b32_e32 v0, 7, v0
	s_delay_alu instid0(VALU_DEP_3) | instskip(NEXT) | instid1(VALU_DEP_3)
	v_and_b32_e32 v8, 0x8000, v8
	v_and_b32_e32 v6, 0xfc00, v6
	s_delay_alu instid0(VALU_DEP_1)
	v_or3_b32 v8, v8, v6, v0
.LBB285_2380:                           ;   in Loop: Header=BB285_1581 Depth=1
	s_or_b32 exec_lo, exec_lo, s16
.LBB285_2381:                           ;   in Loop: Header=BB285_1581 Depth=1
	s_delay_alu instid0(SALU_CYCLE_1)
	s_or_b32 exec_lo, exec_lo, s15
.LBB285_2382:                           ;   in Loop: Header=BB285_1581 Depth=1
	s_delay_alu instid0(SALU_CYCLE_1) | instskip(SKIP_2) | instid1(VALU_DEP_1)
	s_or_b32 exec_lo, exec_lo, s14
	v_lshrrev_b16 v6, 8, v64
	s_mov_b32 s14, exec_lo
	v_cmpx_ne_u16_e32 0, v6
	s_cbranch_execz .LBB285_2390
; %bb.2383:                             ;   in Loop: Header=BB285_1581 Depth=1
	v_bfrev_b32_e32 v1, 1
	s_mov_b32 s15, exec_lo
	v_cmpx_ne_u16_e32 0x80, v6
	s_cbranch_execz .LBB285_2389
; %bb.2384:                             ;   in Loop: Header=BB285_1581 Depth=1
	v_and_b32_e32 v0, 0xffff, v6
	v_mov_b32_e32 v1, 0x7c010000
	s_mov_b32 s16, exec_lo
	s_delay_alu instid0(VALU_DEP_2) | instskip(NEXT) | instid1(VALU_DEP_1)
	v_and_b32_e32 v16, 0x7f, v0
	v_cmpx_ne_u32_e32 0x7f, v16
	s_cbranch_execz .LBB285_2388
; %bb.2385:                             ;   in Loop: Header=BB285_1581 Depth=1
	v_and_b32_e32 v1, 7, v0
	v_lshrrev_b32_e32 v9, 3, v16
	s_mov_b32 s17, exec_lo
	v_cmpx_gt_u32_e32 8, v16
; %bb.2386:                             ;   in Loop: Header=BB285_1581 Depth=1
	s_delay_alu instid0(VALU_DEP_3) | instskip(NEXT) | instid1(VALU_DEP_1)
	v_clz_i32_u32_e32 v1, v1
	v_min_u32_e32 v1, 32, v1
	s_delay_alu instid0(VALU_DEP_1) | instskip(NEXT) | instid1(VALU_DEP_1)
	v_subrev_nc_u32_e32 v9, 28, v1
	v_lshlrev_b64_e32 v[16:17], v9, v[6:7]
	s_delay_alu instid0(VALU_DEP_1)
	v_dual_sub_nc_u32 v9, 29, v1 :: v_dual_bitop2_b32 v1, 7, v16 bitop3:0x40
; %bb.2387:                             ;   in Loop: Header=BB285_1581 Depth=1
	s_or_b32 exec_lo, exec_lo, s17
	s_delay_alu instid0(VALU_DEP_1) | instskip(NEXT) | instid1(VALU_DEP_2)
	v_dual_lshlrev_b32 v0, 8, v0 :: v_dual_lshlrev_b32 v1, 23, v1
	v_lshl_add_u32 v6, v9, 10, 0x2000
	s_delay_alu instid0(VALU_DEP_1) | instskip(NEXT) | instid1(VALU_DEP_1)
	v_and_or_b32 v0, 0x8000, v0, v6
	v_lshl_or_b32 v1, v0, 16, v1
.LBB285_2388:                           ;   in Loop: Header=BB285_1581 Depth=1
	s_or_b32 exec_lo, exec_lo, s16
.LBB285_2389:                           ;   in Loop: Header=BB285_1581 Depth=1
	s_delay_alu instid0(SALU_CYCLE_1)
	s_or_b32 exec_lo, exec_lo, s15
.LBB285_2390:                           ;   in Loop: Header=BB285_1581 Depth=1
	s_delay_alu instid0(SALU_CYCLE_1) | instskip(SKIP_3) | instid1(VALU_DEP_2)
	s_or_b32 exec_lo, exec_lo, s14
	v_dual_mov_b32 v9, 0 :: v_dual_lshrrev_b32 v0, 16, v64
	v_mov_b32_e32 v16, 0
	s_mov_b32 s14, exec_lo
	v_and_b32_e32 v6, 0xff, v0
	s_delay_alu instid0(VALU_DEP_1)
	v_cmpx_ne_u16_e32 0, v6
	s_cbranch_execz .LBB285_2398
; %bb.2391:                             ;   in Loop: Header=BB285_1581 Depth=1
	v_mov_b32_e32 v16, 0x8000
	s_mov_b32 s15, exec_lo
	v_cmpx_ne_u16_e32 0x80, v6
	s_cbranch_execz .LBB285_2397
; %bb.2392:                             ;   in Loop: Header=BB285_1581 Depth=1
	v_bfe_u32 v17, v64, 16, 7
	v_mov_b32_e32 v16, 0x7c01
	s_mov_b32 s16, exec_lo
	s_delay_alu instid0(VALU_DEP_2)
	v_cmpx_ne_u32_e32 0x7f, v17
	s_cbranch_execz .LBB285_2396
; %bb.2393:                             ;   in Loop: Header=BB285_1581 Depth=1
	v_dual_lshrrev_b32 v16, 3, v17 :: v_dual_bitop2_b32 v6, 7, v0 bitop3:0x40
	s_mov_b32 s17, exec_lo
	v_cmpx_gt_u32_e32 8, v17
; %bb.2394:                             ;   in Loop: Header=BB285_1581 Depth=1
	s_delay_alu instid0(VALU_DEP_2) | instskip(NEXT) | instid1(VALU_DEP_1)
	v_clz_i32_u32_e32 v6, v6
	v_min_u32_e32 v6, 32, v6
	s_delay_alu instid0(VALU_DEP_1) | instskip(NEXT) | instid1(VALU_DEP_1)
	v_subrev_nc_u32_e32 v16, 28, v6
	v_lshlrev_b64_e32 v[18:19], v16, v[0:1]
	v_sub_nc_u32_e32 v16, 29, v6
	s_delay_alu instid0(VALU_DEP_2)
	v_and_b32_e32 v6, 7, v18
; %bb.2395:                             ;   in Loop: Header=BB285_1581 Depth=1
	s_or_b32 exec_lo, exec_lo, s17
	s_delay_alu instid0(VALU_DEP_1) | instskip(NEXT) | instid1(VALU_DEP_3)
	v_dual_lshlrev_b32 v0, 8, v0 :: v_dual_lshlrev_b32 v6, 7, v6
	v_lshl_add_u32 v16, v16, 10, 0x2000
	s_delay_alu instid0(VALU_DEP_2) | instskip(NEXT) | instid1(VALU_DEP_2)
	v_and_b32_e32 v0, 0x8000, v0
	v_and_b32_e32 v16, 0xfc00, v16
	s_delay_alu instid0(VALU_DEP_1)
	v_or3_b32 v16, v0, v16, v6
.LBB285_2396:                           ;   in Loop: Header=BB285_1581 Depth=1
	s_or_b32 exec_lo, exec_lo, s16
.LBB285_2397:                           ;   in Loop: Header=BB285_1581 Depth=1
	s_delay_alu instid0(SALU_CYCLE_1)
	s_or_b32 exec_lo, exec_lo, s15
.LBB285_2398:                           ;   in Loop: Header=BB285_1581 Depth=1
	s_delay_alu instid0(SALU_CYCLE_1) | instskip(NEXT) | instid1(SALU_CYCLE_1)
	s_or_b32 exec_lo, exec_lo, s14
	s_mov_b32 s14, exec_lo
	v_cmpx_lt_u32_e32 0xffffff, v64
	s_cbranch_execz .LBB285_2406
; %bb.2399:                             ;   in Loop: Header=BB285_1581 Depth=1
	v_lshrrev_b32_e32 v6, 24, v64
	v_bfrev_b32_e32 v9, 1
	s_mov_b32 s15, exec_lo
	s_delay_alu instid0(VALU_DEP_2)
	v_cmpx_ne_u32_e32 0x80, v6
	s_cbranch_execz .LBB285_2405
; %bb.2400:                             ;   in Loop: Header=BB285_1581 Depth=1
	v_and_b32_e32 v17, 0x7f, v6
	v_mov_b32_e32 v9, 0x7c010000
	s_mov_b32 s16, exec_lo
	s_delay_alu instid0(VALU_DEP_2)
	v_cmpx_ne_u32_e32 0x7f, v17
	s_cbranch_execz .LBB285_2404
; %bb.2401:                             ;   in Loop: Header=BB285_1581 Depth=1
	v_dual_lshrrev_b32 v9, 3, v17 :: v_dual_bitop2_b32 v0, 7, v6 bitop3:0x40
	s_mov_b32 s17, exec_lo
	v_cmpx_gt_u32_e32 8, v17
; %bb.2402:                             ;   in Loop: Header=BB285_1581 Depth=1
	s_delay_alu instid0(VALU_DEP_2) | instskip(NEXT) | instid1(VALU_DEP_1)
	v_clz_i32_u32_e32 v0, v0
	v_min_u32_e32 v0, 32, v0
	s_delay_alu instid0(VALU_DEP_1) | instskip(NEXT) | instid1(VALU_DEP_1)
	v_subrev_nc_u32_e32 v9, 28, v0
	v_lshlrev_b64_e32 v[18:19], v9, v[6:7]
	s_delay_alu instid0(VALU_DEP_1)
	v_dual_sub_nc_u32 v9, 29, v0 :: v_dual_bitop2_b32 v0, 7, v18 bitop3:0x40
; %bb.2403:                             ;   in Loop: Header=BB285_1581 Depth=1
	s_or_b32 exec_lo, exec_lo, s17
	s_delay_alu instid0(VALU_DEP_1) | instskip(NEXT) | instid1(VALU_DEP_2)
	v_dual_lshlrev_b32 v6, 8, v6 :: v_dual_lshlrev_b32 v0, 23, v0
	v_lshl_add_u32 v9, v9, 10, 0x2000
	s_delay_alu instid0(VALU_DEP_1) | instskip(NEXT) | instid1(VALU_DEP_1)
	v_and_or_b32 v6, 0x8000, v6, v9
	v_lshl_or_b32 v9, v6, 16, v0
.LBB285_2404:                           ;   in Loop: Header=BB285_1581 Depth=1
	s_or_b32 exec_lo, exec_lo, s16
.LBB285_2405:                           ;   in Loop: Header=BB285_1581 Depth=1
	s_delay_alu instid0(SALU_CYCLE_1)
	s_or_b32 exec_lo, exec_lo, s15
.LBB285_2406:                           ;   in Loop: Header=BB285_1581 Depth=1
	s_delay_alu instid0(SALU_CYCLE_1) | instskip(SKIP_4) | instid1(VALU_DEP_3)
	s_or_b32 exec_lo, exec_lo, s14
	v_and_b32_e32 v0, 0xff, v65
	v_dual_mov_b32 v6, v65 :: v_dual_mov_b32 v18, 0
	v_mov_b32_e32 v17, 0
	s_mov_b32 s14, exec_lo
	v_cmpx_ne_u16_e32 0, v0
	s_cbranch_execz .LBB285_2414
; %bb.2407:                             ;   in Loop: Header=BB285_1581 Depth=1
	v_mov_b32_e32 v17, 0x8000
	s_mov_b32 s15, exec_lo
	v_cmpx_ne_u16_e32 0x80, v0
	s_cbranch_execz .LBB285_2413
; %bb.2408:                             ;   in Loop: Header=BB285_1581 Depth=1
	v_and_b32_e32 v19, 0x7f, v65
	v_mov_b32_e32 v17, 0x7c01
	s_mov_b32 s16, exec_lo
	s_delay_alu instid0(VALU_DEP_2)
	v_cmpx_ne_u32_e32 0x7f, v19
	s_cbranch_execz .LBB285_2412
; %bb.2409:                             ;   in Loop: Header=BB285_1581 Depth=1
	v_dual_lshrrev_b32 v17, 3, v19 :: v_dual_bitop2_b32 v0, 7, v65 bitop3:0x40
	s_mov_b32 s17, exec_lo
	v_cmpx_gt_u32_e32 8, v19
; %bb.2410:                             ;   in Loop: Header=BB285_1581 Depth=1
	s_delay_alu instid0(VALU_DEP_2) | instskip(NEXT) | instid1(VALU_DEP_1)
	v_clz_i32_u32_e32 v0, v0
	v_min_u32_e32 v0, 32, v0
	s_delay_alu instid0(VALU_DEP_1) | instskip(NEXT) | instid1(VALU_DEP_1)
	v_subrev_nc_u32_e32 v17, 28, v0
	v_lshlrev_b64_e32 v[22:23], v17, v[6:7]
	s_delay_alu instid0(VALU_DEP_1)
	v_dual_sub_nc_u32 v17, 29, v0 :: v_dual_bitop2_b32 v0, 7, v22 bitop3:0x40
; %bb.2411:                             ;   in Loop: Header=BB285_1581 Depth=1
	s_or_b32 exec_lo, exec_lo, s17
	s_delay_alu instid0(VALU_DEP_1) | instskip(NEXT) | instid1(VALU_DEP_2)
	v_dual_lshlrev_b32 v19, 8, v65 :: v_dual_lshlrev_b32 v0, 7, v0
	v_lshl_add_u32 v17, v17, 10, 0x2000
	s_delay_alu instid0(VALU_DEP_2) | instskip(NEXT) | instid1(VALU_DEP_2)
	v_and_b32_e32 v19, 0x8000, v19
	v_and_b32_e32 v17, 0xfc00, v17
	s_delay_alu instid0(VALU_DEP_1)
	v_or3_b32 v17, v19, v17, v0
.LBB285_2412:                           ;   in Loop: Header=BB285_1581 Depth=1
	s_or_b32 exec_lo, exec_lo, s16
.LBB285_2413:                           ;   in Loop: Header=BB285_1581 Depth=1
	s_delay_alu instid0(SALU_CYCLE_1)
	s_or_b32 exec_lo, exec_lo, s15
.LBB285_2414:                           ;   in Loop: Header=BB285_1581 Depth=1
	s_delay_alu instid0(SALU_CYCLE_1) | instskip(SKIP_3) | instid1(VALU_DEP_2)
	s_or_b32 exec_lo, exec_lo, s14
	v_lshrrev_b16 v6, 8, v6
	v_mov_b32_e32 v19, 0
	s_mov_b32 s14, exec_lo
	v_cmpx_ne_u16_e32 0, v6
	s_cbranch_execz .LBB285_2422
; %bb.2415:                             ;   in Loop: Header=BB285_1581 Depth=1
	v_bfrev_b32_e32 v19, 1
	s_mov_b32 s15, exec_lo
	v_cmpx_ne_u16_e32 0x80, v6
	s_cbranch_execz .LBB285_2421
; %bb.2416:                             ;   in Loop: Header=BB285_1581 Depth=1
	v_and_b32_e32 v0, 0xffff, v6
	v_mov_b32_e32 v19, 0x7c010000
	s_mov_b32 s16, exec_lo
	s_delay_alu instid0(VALU_DEP_2) | instskip(NEXT) | instid1(VALU_DEP_1)
	v_and_b32_e32 v23, 0x7f, v0
	v_cmpx_ne_u32_e32 0x7f, v23
	s_cbranch_execz .LBB285_2420
; %bb.2417:                             ;   in Loop: Header=BB285_1581 Depth=1
	v_dual_lshrrev_b32 v22, 3, v23 :: v_dual_bitop2_b32 v19, 7, v0 bitop3:0x40
	s_mov_b32 s17, exec_lo
	v_cmpx_gt_u32_e32 8, v23
; %bb.2418:                             ;   in Loop: Header=BB285_1581 Depth=1
	s_delay_alu instid0(VALU_DEP_2) | instskip(NEXT) | instid1(VALU_DEP_1)
	v_clz_i32_u32_e32 v19, v19
	v_min_u32_e32 v19, 32, v19
	s_delay_alu instid0(VALU_DEP_1) | instskip(NEXT) | instid1(VALU_DEP_1)
	v_subrev_nc_u32_e32 v22, 28, v19
	v_lshlrev_b64_e32 v[66:67], v22, v[6:7]
	s_delay_alu instid0(VALU_DEP_1)
	v_dual_sub_nc_u32 v22, 29, v19 :: v_dual_bitop2_b32 v19, 7, v66 bitop3:0x40
; %bb.2419:                             ;   in Loop: Header=BB285_1581 Depth=1
	s_or_b32 exec_lo, exec_lo, s17
	v_lshlrev_b32_e32 v0, 8, v0
	s_delay_alu instid0(VALU_DEP_2) | instskip(NEXT) | instid1(VALU_DEP_1)
	v_lshl_add_u32 v6, v22, 10, 0x2000
	v_and_or_b32 v0, 0x8000, v0, v6
	v_lshlrev_b32_e32 v6, 23, v19
	s_delay_alu instid0(VALU_DEP_1)
	v_lshl_or_b32 v19, v0, 16, v6
.LBB285_2420:                           ;   in Loop: Header=BB285_1581 Depth=1
	s_or_b32 exec_lo, exec_lo, s16
.LBB285_2421:                           ;   in Loop: Header=BB285_1581 Depth=1
	s_delay_alu instid0(SALU_CYCLE_1)
	s_or_b32 exec_lo, exec_lo, s15
.LBB285_2422:                           ;   in Loop: Header=BB285_1581 Depth=1
	s_delay_alu instid0(SALU_CYCLE_1) | instskip(SKIP_2) | instid1(VALU_DEP_1)
	s_or_b32 exec_lo, exec_lo, s14
	v_lshrrev_b32_e32 v0, 16, v65
	s_mov_b32 s14, exec_lo
	v_and_b32_e32 v6, 0xff, v0
	s_delay_alu instid0(VALU_DEP_1)
	v_cmpx_ne_u16_e32 0, v6
	s_cbranch_execz .LBB285_2430
; %bb.2423:                             ;   in Loop: Header=BB285_1581 Depth=1
	v_mov_b32_e32 v18, 0x8000
	s_mov_b32 s15, exec_lo
	v_cmpx_ne_u16_e32 0x80, v6
	s_cbranch_execz .LBB285_2429
; %bb.2424:                             ;   in Loop: Header=BB285_1581 Depth=1
	v_bfe_u32 v22, v65, 16, 7
	v_mov_b32_e32 v18, 0x7c01
	s_mov_b32 s16, exec_lo
	s_delay_alu instid0(VALU_DEP_2)
	v_cmpx_ne_u32_e32 0x7f, v22
	s_cbranch_execz .LBB285_2428
; %bb.2425:                             ;   in Loop: Header=BB285_1581 Depth=1
	v_dual_lshrrev_b32 v18, 3, v22 :: v_dual_bitop2_b32 v6, 7, v0 bitop3:0x40
	s_mov_b32 s17, exec_lo
	v_cmpx_gt_u32_e32 8, v22
; %bb.2426:                             ;   in Loop: Header=BB285_1581 Depth=1
	s_delay_alu instid0(VALU_DEP_2) | instskip(NEXT) | instid1(VALU_DEP_1)
	v_clz_i32_u32_e32 v6, v6
	v_min_u32_e32 v6, 32, v6
	s_delay_alu instid0(VALU_DEP_1) | instskip(NEXT) | instid1(VALU_DEP_1)
	v_subrev_nc_u32_e32 v18, 28, v6
	v_lshlrev_b64_e32 v[22:23], v18, v[0:1]
	v_sub_nc_u32_e32 v18, 29, v6
	s_delay_alu instid0(VALU_DEP_2)
	v_and_b32_e32 v6, 7, v22
; %bb.2427:                             ;   in Loop: Header=BB285_1581 Depth=1
	s_or_b32 exec_lo, exec_lo, s17
	s_delay_alu instid0(VALU_DEP_1) | instskip(NEXT) | instid1(VALU_DEP_3)
	v_dual_lshlrev_b32 v0, 8, v0 :: v_dual_lshlrev_b32 v6, 7, v6
	v_lshl_add_u32 v18, v18, 10, 0x2000
	s_delay_alu instid0(VALU_DEP_2) | instskip(NEXT) | instid1(VALU_DEP_2)
	v_and_b32_e32 v0, 0x8000, v0
	v_and_b32_e32 v18, 0xfc00, v18
	s_delay_alu instid0(VALU_DEP_1)
	v_or3_b32 v18, v0, v18, v6
.LBB285_2428:                           ;   in Loop: Header=BB285_1581 Depth=1
	s_or_b32 exec_lo, exec_lo, s16
.LBB285_2429:                           ;   in Loop: Header=BB285_1581 Depth=1
	s_delay_alu instid0(SALU_CYCLE_1)
	s_or_b32 exec_lo, exec_lo, s15
.LBB285_2430:                           ;   in Loop: Header=BB285_1581 Depth=1
	s_delay_alu instid0(SALU_CYCLE_1)
	s_or_b32 exec_lo, exec_lo, s14
	v_mov_b32_e32 v0, 0
	s_mov_b32 s14, exec_lo
	v_cmpx_lt_u64_e64 s[2:3], v[64:65]
	s_cbranch_execz .LBB285_2438
; %bb.2431:                             ;   in Loop: Header=BB285_1581 Depth=1
	v_lshrrev_b32_e32 v6, 24, v65
	v_bfrev_b32_e32 v0, 1
	s_mov_b32 s15, exec_lo
	s_delay_alu instid0(VALU_DEP_2)
	v_cmpx_ne_u32_e32 0x80, v6
	s_cbranch_execz .LBB285_2437
; %bb.2432:                             ;   in Loop: Header=BB285_1581 Depth=1
	v_and_b32_e32 v23, 0x7f, v6
	v_mov_b32_e32 v0, 0x7c010000
	s_mov_b32 s16, exec_lo
	s_delay_alu instid0(VALU_DEP_2)
	v_cmpx_ne_u32_e32 0x7f, v23
	s_cbranch_execz .LBB285_2436
; %bb.2433:                             ;   in Loop: Header=BB285_1581 Depth=1
	v_dual_lshrrev_b32 v22, 3, v23 :: v_dual_bitop2_b32 v0, 7, v6 bitop3:0x40
	s_mov_b32 s17, exec_lo
	v_cmpx_gt_u32_e32 8, v23
; %bb.2434:                             ;   in Loop: Header=BB285_1581 Depth=1
	s_delay_alu instid0(VALU_DEP_2) | instskip(NEXT) | instid1(VALU_DEP_1)
	v_clz_i32_u32_e32 v0, v0
	v_min_u32_e32 v0, 32, v0
	s_delay_alu instid0(VALU_DEP_1) | instskip(NEXT) | instid1(VALU_DEP_1)
	v_subrev_nc_u32_e32 v22, 28, v0
	v_lshlrev_b64_e32 v[64:65], v22, v[6:7]
	v_sub_nc_u32_e32 v22, 29, v0
	s_delay_alu instid0(VALU_DEP_2)
	v_and_b32_e32 v0, 7, v64
; %bb.2435:                             ;   in Loop: Header=BB285_1581 Depth=1
	s_or_b32 exec_lo, exec_lo, s17
	s_delay_alu instid0(VALU_DEP_1) | instskip(NEXT) | instid1(VALU_DEP_3)
	v_dual_lshlrev_b32 v6, 8, v6 :: v_dual_lshlrev_b32 v0, 23, v0
	v_lshl_add_u32 v22, v22, 10, 0x2000
	s_delay_alu instid0(VALU_DEP_1) | instskip(NEXT) | instid1(VALU_DEP_1)
	v_and_or_b32 v6, 0x8000, v6, v22
	v_lshl_or_b32 v0, v6, 16, v0
.LBB285_2436:                           ;   in Loop: Header=BB285_1581 Depth=1
	s_or_b32 exec_lo, exec_lo, s16
.LBB285_2437:                           ;   in Loop: Header=BB285_1581 Depth=1
	s_delay_alu instid0(SALU_CYCLE_1)
	s_or_b32 exec_lo, exec_lo, s15
.LBB285_2438:                           ;   in Loop: Header=BB285_1581 Depth=1
	s_delay_alu instid0(SALU_CYCLE_1) | instskip(SKIP_2) | instid1(VALU_DEP_2)
	s_or_b32 exec_lo, exec_lo, s14
	v_dual_lshrrev_b32 v6, 16, v1 :: v_dual_bitop2_b32 v1, v1, v8 bitop3:0x54
	v_dual_lshrrev_b32 v22, 16, v9 :: v_dual_bitop2_b32 v16, v9, v16 bitop3:0x54
	v_cvt_f32_f16_e32 v9, v6
	v_dual_lshrrev_b32 v18, 16, v19 :: v_dual_bitop2_b32 v6, v0, v18 bitop3:0x54
	s_delay_alu instid0(VALU_DEP_3)
	v_cvt_f32_f16_e32 v8, v22
	v_dual_lshrrev_b32 v22, 16, v0 :: v_dual_bitop2_b32 v19, v19, v17 bitop3:0x54
	v_cvt_f32_f16_e32 v0, v16
	v_cvt_f32_f16_e32 v1, v1
	s_wait_loadcnt_dscnt 0x0
	v_pk_mul_f32 v[8:9], v[54:55], v[8:9] op_sel_hi:[0,1]
	v_cvt_f32_f16_e32 v17, v18
	v_cvt_f32_f16_e32 v16, v22
	;; [unrolled: 1-line block ×4, first 2 shown]
	v_pk_mul_f32 v[0:1], v[54:55], v[0:1] op_sel_hi:[0,1]
	v_cvt_pk_f16_f32 v6, v8, v9
	v_pk_mul_f32 v[8:9], v[54:55], v[16:17] op_sel_hi:[0,1]
	s_delay_alu instid0(VALU_DEP_4) | instskip(NEXT) | instid1(VALU_DEP_4)
	v_pk_mul_f32 v[16:17], v[54:55], v[18:19] op_sel_hi:[0,1]
	v_cvt_pk_f16_f32 v0, v0, v1
	s_delay_alu instid0(VALU_DEP_4) | instskip(NEXT) | instid1(VALU_DEP_4)
	v_and_b32_e32 v19, 0xffff0000, v6
	v_cvt_pk_f16_f32 v8, v8, v9
	v_lshlrev_b32_e32 v54, 16, v6
	v_cvt_pk_f16_f32 v6, v16, v17
	v_lshrrev_b32_e32 v67, 16, v0
	v_and_b32_e32 v68, 0xffff, v0
	v_and_b32_e32 v1, 0xffff0000, v8
	s_delay_alu instid0(VALU_DEP_4) | instskip(SKIP_3) | instid1(VALU_DEP_4)
	v_dual_lshlrev_b32 v0, 16, v8 :: v_dual_lshrrev_b32 v9, 16, v6
	v_and_b32_e32 v6, 0xffff, v6
	v_or_b32_e32 v65, v19, v67
	v_or_b32_e32 v66, v54, v68
	;; [unrolled: 1-line block ×3, first 2 shown]
	s_delay_alu instid0(VALU_DEP_4)
	v_or_b32_e32 v64, v0, v6
	s_and_saveexec_b32 s14, vcc_lo
	s_cbranch_execz .LBB285_2440
; %bb.2439:                             ;   in Loop: Header=BB285_1581 Depth=1
	v_cmp_lt_i32_e64 s0, v84, v13
	s_delay_alu instid0(VALU_DEP_1) | instskip(SKIP_1) | instid1(VALU_DEP_1)
	v_cndmask_b32_e64 v8, 0, v67, s0
	v_cmp_lt_i32_e64 s0, v99, v12
	v_cndmask_b32_e64 v16, 0, v68, s0
	v_cmp_lt_i32_e64 s0, v98, v13
	s_delay_alu instid0(VALU_DEP_1) | instskip(SKIP_1) | instid1(VALU_DEP_1)
	v_cndmask_b32_e64 v17, 0, v19, s0
	v_cmp_lt_i32_e64 s0, v97, v12
	v_cndmask_b32_e64 v18, 0, v54, s0
	v_cmp_lt_i32_e64 s0, v96, v13
	s_delay_alu instid0(VALU_DEP_4) | instskip(NEXT) | instid1(VALU_DEP_2)
	v_or_b32_e32 v65, v8, v17
	v_dual_cndmask_b32 v9, 0, v9, s0 :: v_dual_bitop2_b32 v66, v16, v18 bitop3:0x54
	v_cmp_lt_i32_e64 s0, v87, v12
	s_delay_alu instid0(VALU_DEP_1) | instskip(SKIP_1) | instid1(VALU_DEP_1)
	v_cndmask_b32_e64 v6, 0, v6, s0
	v_cmp_lt_i32_e64 s0, v86, v13
	v_cndmask_b32_e64 v1, 0, v1, s0
	v_cmp_lt_i32_e64 s0, v85, v12
	s_delay_alu instid0(VALU_DEP_1) | instskip(NEXT) | instid1(VALU_DEP_1)
	v_dual_cndmask_b32 v0, 0, v0, s0 :: v_dual_bitop2_b32 v55, v9, v1 bitop3:0x54
	v_or_b32_e32 v64, v6, v0
.LBB285_2440:                           ;   in Loop: Header=BB285_1581 Depth=1
	s_or_b32 exec_lo, exec_lo, s14
	;;#ASMSTART
	v_pk_mul_f16 v0, v112, v65;

	;;#ASMEND
	;;#ASMSTART
	v_pk_mul_f16 v1, v102, v66;

	;;#ASMEND
	;; [unrolled: 4-line block ×4, first 2 shown]
	;;#ASMSTART
	v_pk_add_f16 v0, v0, v1;

	;;#ASMEND
	;;#ASMSTART
	v_pk_add_f16 v0, v0, v6;

	;;#ASMEND
	;; [unrolled: 4-line block ×3, first 2 shown]
	v_and_b32_e32 v1, 0xffff, v0
	v_lshrrev_b32_e32 v0, 16, v0
	;;#ASMSTART
	v_cvt_f32_f16 v72, v1;
	;;#ASMEND
	;;#ASMSTART
	v_cvt_f32_f16 v73, v0;
	;;#ASMEND
	flat_load_b64 v[64:65], v[28:29] offset:3328
	scratch_load_b64 v[0:1], off, s32 offset:192 ; 8-byte Folded Reload
	v_mov_b32_e32 v8, 0
	s_mov_b32 s14, exec_lo
	s_wait_loadcnt 0x0
	flat_load_b32 v54, v[0:1]
	s_wait_dscnt 0x1
	s_wait_xcnt 0x0
	v_and_b32_e32 v0, 0xff, v64
	v_mov_b32_e32 v1, 0
	s_delay_alu instid0(VALU_DEP_2)
	v_cmpx_ne_u16_e32 0, v0
	s_cbranch_execz .LBB285_2448
; %bb.2441:                             ;   in Loop: Header=BB285_1581 Depth=1
	v_mov_b32_e32 v8, 0x8000
	s_mov_b32 s15, exec_lo
	v_cmpx_ne_u16_e32 0x80, v0
	s_cbranch_execz .LBB285_2447
; %bb.2442:                             ;   in Loop: Header=BB285_1581 Depth=1
	v_and_b32_e32 v9, 0x7f, v64
	v_mov_b32_e32 v8, 0x7c01
	s_mov_b32 s16, exec_lo
	s_delay_alu instid0(VALU_DEP_2)
	v_cmpx_ne_u32_e32 0x7f, v9
	s_cbranch_execz .LBB285_2446
; %bb.2443:                             ;   in Loop: Header=BB285_1581 Depth=1
	v_dual_lshrrev_b32 v6, 3, v9 :: v_dual_bitop2_b32 v0, 7, v64 bitop3:0x40
	s_mov_b32 s17, exec_lo
	v_cmpx_gt_u32_e32 8, v9
; %bb.2444:                             ;   in Loop: Header=BB285_1581 Depth=1
	s_delay_alu instid0(VALU_DEP_2) | instskip(NEXT) | instid1(VALU_DEP_1)
	v_clz_i32_u32_e32 v0, v0
	v_min_u32_e32 v0, 32, v0
	s_delay_alu instid0(VALU_DEP_1) | instskip(NEXT) | instid1(VALU_DEP_1)
	v_subrev_nc_u32_e32 v6, 28, v0
	v_lshlrev_b64_e32 v[8:9], v6, v[64:65]
	v_sub_nc_u32_e32 v6, 29, v0
	s_delay_alu instid0(VALU_DEP_2)
	v_and_b32_e32 v0, 7, v8
; %bb.2445:                             ;   in Loop: Header=BB285_1581 Depth=1
	s_or_b32 exec_lo, exec_lo, s17
	v_lshlrev_b32_e32 v8, 8, v64
	s_delay_alu instid0(VALU_DEP_3) | instskip(NEXT) | instid1(VALU_DEP_3)
	v_lshl_add_u32 v6, v6, 10, 0x2000
	v_lshlrev_b32_e32 v0, 7, v0
	s_delay_alu instid0(VALU_DEP_3) | instskip(NEXT) | instid1(VALU_DEP_3)
	v_and_b32_e32 v8, 0x8000, v8
	v_and_b32_e32 v6, 0xfc00, v6
	s_delay_alu instid0(VALU_DEP_1)
	v_or3_b32 v8, v8, v6, v0
.LBB285_2446:                           ;   in Loop: Header=BB285_1581 Depth=1
	s_or_b32 exec_lo, exec_lo, s16
.LBB285_2447:                           ;   in Loop: Header=BB285_1581 Depth=1
	s_delay_alu instid0(SALU_CYCLE_1)
	s_or_b32 exec_lo, exec_lo, s15
.LBB285_2448:                           ;   in Loop: Header=BB285_1581 Depth=1
	s_delay_alu instid0(SALU_CYCLE_1) | instskip(SKIP_2) | instid1(VALU_DEP_1)
	s_or_b32 exec_lo, exec_lo, s14
	v_lshrrev_b16 v6, 8, v64
	s_mov_b32 s14, exec_lo
	v_cmpx_ne_u16_e32 0, v6
	s_cbranch_execz .LBB285_2456
; %bb.2449:                             ;   in Loop: Header=BB285_1581 Depth=1
	v_bfrev_b32_e32 v1, 1
	s_mov_b32 s15, exec_lo
	v_cmpx_ne_u16_e32 0x80, v6
	s_cbranch_execz .LBB285_2455
; %bb.2450:                             ;   in Loop: Header=BB285_1581 Depth=1
	v_and_b32_e32 v0, 0xffff, v6
	v_mov_b32_e32 v1, 0x7c010000
	s_mov_b32 s16, exec_lo
	s_delay_alu instid0(VALU_DEP_2) | instskip(NEXT) | instid1(VALU_DEP_1)
	v_and_b32_e32 v16, 0x7f, v0
	v_cmpx_ne_u32_e32 0x7f, v16
	s_cbranch_execz .LBB285_2454
; %bb.2451:                             ;   in Loop: Header=BB285_1581 Depth=1
	v_and_b32_e32 v1, 7, v0
	v_lshrrev_b32_e32 v9, 3, v16
	s_mov_b32 s17, exec_lo
	v_cmpx_gt_u32_e32 8, v16
; %bb.2452:                             ;   in Loop: Header=BB285_1581 Depth=1
	s_delay_alu instid0(VALU_DEP_3) | instskip(NEXT) | instid1(VALU_DEP_1)
	v_clz_i32_u32_e32 v1, v1
	v_min_u32_e32 v1, 32, v1
	s_delay_alu instid0(VALU_DEP_1) | instskip(NEXT) | instid1(VALU_DEP_1)
	v_subrev_nc_u32_e32 v9, 28, v1
	v_lshlrev_b64_e32 v[16:17], v9, v[6:7]
	s_delay_alu instid0(VALU_DEP_1)
	v_dual_sub_nc_u32 v9, 29, v1 :: v_dual_bitop2_b32 v1, 7, v16 bitop3:0x40
; %bb.2453:                             ;   in Loop: Header=BB285_1581 Depth=1
	s_or_b32 exec_lo, exec_lo, s17
	s_delay_alu instid0(VALU_DEP_1) | instskip(NEXT) | instid1(VALU_DEP_2)
	v_dual_lshlrev_b32 v0, 8, v0 :: v_dual_lshlrev_b32 v1, 23, v1
	v_lshl_add_u32 v6, v9, 10, 0x2000
	s_delay_alu instid0(VALU_DEP_1) | instskip(NEXT) | instid1(VALU_DEP_1)
	v_and_or_b32 v0, 0x8000, v0, v6
	v_lshl_or_b32 v1, v0, 16, v1
.LBB285_2454:                           ;   in Loop: Header=BB285_1581 Depth=1
	s_or_b32 exec_lo, exec_lo, s16
.LBB285_2455:                           ;   in Loop: Header=BB285_1581 Depth=1
	s_delay_alu instid0(SALU_CYCLE_1)
	s_or_b32 exec_lo, exec_lo, s15
.LBB285_2456:                           ;   in Loop: Header=BB285_1581 Depth=1
	s_delay_alu instid0(SALU_CYCLE_1) | instskip(SKIP_3) | instid1(VALU_DEP_2)
	s_or_b32 exec_lo, exec_lo, s14
	v_dual_mov_b32 v9, 0 :: v_dual_lshrrev_b32 v0, 16, v64
	v_mov_b32_e32 v16, 0
	s_mov_b32 s14, exec_lo
	v_and_b32_e32 v6, 0xff, v0
	s_delay_alu instid0(VALU_DEP_1)
	v_cmpx_ne_u16_e32 0, v6
	s_cbranch_execz .LBB285_2464
; %bb.2457:                             ;   in Loop: Header=BB285_1581 Depth=1
	v_mov_b32_e32 v16, 0x8000
	s_mov_b32 s15, exec_lo
	v_cmpx_ne_u16_e32 0x80, v6
	s_cbranch_execz .LBB285_2463
; %bb.2458:                             ;   in Loop: Header=BB285_1581 Depth=1
	v_bfe_u32 v17, v64, 16, 7
	v_mov_b32_e32 v16, 0x7c01
	s_mov_b32 s16, exec_lo
	s_delay_alu instid0(VALU_DEP_2)
	v_cmpx_ne_u32_e32 0x7f, v17
	s_cbranch_execz .LBB285_2462
; %bb.2459:                             ;   in Loop: Header=BB285_1581 Depth=1
	v_dual_lshrrev_b32 v16, 3, v17 :: v_dual_bitop2_b32 v6, 7, v0 bitop3:0x40
	s_mov_b32 s17, exec_lo
	v_cmpx_gt_u32_e32 8, v17
; %bb.2460:                             ;   in Loop: Header=BB285_1581 Depth=1
	s_delay_alu instid0(VALU_DEP_2) | instskip(NEXT) | instid1(VALU_DEP_1)
	v_clz_i32_u32_e32 v6, v6
	v_min_u32_e32 v6, 32, v6
	s_delay_alu instid0(VALU_DEP_1) | instskip(NEXT) | instid1(VALU_DEP_1)
	v_subrev_nc_u32_e32 v16, 28, v6
	v_lshlrev_b64_e32 v[18:19], v16, v[0:1]
	v_sub_nc_u32_e32 v16, 29, v6
	s_delay_alu instid0(VALU_DEP_2)
	v_and_b32_e32 v6, 7, v18
; %bb.2461:                             ;   in Loop: Header=BB285_1581 Depth=1
	s_or_b32 exec_lo, exec_lo, s17
	s_delay_alu instid0(VALU_DEP_1) | instskip(NEXT) | instid1(VALU_DEP_3)
	v_dual_lshlrev_b32 v0, 8, v0 :: v_dual_lshlrev_b32 v6, 7, v6
	v_lshl_add_u32 v16, v16, 10, 0x2000
	s_delay_alu instid0(VALU_DEP_2) | instskip(NEXT) | instid1(VALU_DEP_2)
	v_and_b32_e32 v0, 0x8000, v0
	v_and_b32_e32 v16, 0xfc00, v16
	s_delay_alu instid0(VALU_DEP_1)
	v_or3_b32 v16, v0, v16, v6
.LBB285_2462:                           ;   in Loop: Header=BB285_1581 Depth=1
	s_or_b32 exec_lo, exec_lo, s16
.LBB285_2463:                           ;   in Loop: Header=BB285_1581 Depth=1
	s_delay_alu instid0(SALU_CYCLE_1)
	s_or_b32 exec_lo, exec_lo, s15
.LBB285_2464:                           ;   in Loop: Header=BB285_1581 Depth=1
	s_delay_alu instid0(SALU_CYCLE_1) | instskip(NEXT) | instid1(SALU_CYCLE_1)
	s_or_b32 exec_lo, exec_lo, s14
	s_mov_b32 s14, exec_lo
	v_cmpx_lt_u32_e32 0xffffff, v64
	s_cbranch_execz .LBB285_2472
; %bb.2465:                             ;   in Loop: Header=BB285_1581 Depth=1
	v_lshrrev_b32_e32 v6, 24, v64
	v_bfrev_b32_e32 v9, 1
	s_mov_b32 s15, exec_lo
	s_delay_alu instid0(VALU_DEP_2)
	v_cmpx_ne_u32_e32 0x80, v6
	s_cbranch_execz .LBB285_2471
; %bb.2466:                             ;   in Loop: Header=BB285_1581 Depth=1
	v_and_b32_e32 v17, 0x7f, v6
	v_mov_b32_e32 v9, 0x7c010000
	s_mov_b32 s16, exec_lo
	s_delay_alu instid0(VALU_DEP_2)
	v_cmpx_ne_u32_e32 0x7f, v17
	s_cbranch_execz .LBB285_2470
; %bb.2467:                             ;   in Loop: Header=BB285_1581 Depth=1
	v_dual_lshrrev_b32 v9, 3, v17 :: v_dual_bitop2_b32 v0, 7, v6 bitop3:0x40
	s_mov_b32 s17, exec_lo
	v_cmpx_gt_u32_e32 8, v17
; %bb.2468:                             ;   in Loop: Header=BB285_1581 Depth=1
	s_delay_alu instid0(VALU_DEP_2) | instskip(NEXT) | instid1(VALU_DEP_1)
	v_clz_i32_u32_e32 v0, v0
	v_min_u32_e32 v0, 32, v0
	s_delay_alu instid0(VALU_DEP_1) | instskip(NEXT) | instid1(VALU_DEP_1)
	v_subrev_nc_u32_e32 v9, 28, v0
	v_lshlrev_b64_e32 v[18:19], v9, v[6:7]
	s_delay_alu instid0(VALU_DEP_1)
	v_dual_sub_nc_u32 v9, 29, v0 :: v_dual_bitop2_b32 v0, 7, v18 bitop3:0x40
; %bb.2469:                             ;   in Loop: Header=BB285_1581 Depth=1
	s_or_b32 exec_lo, exec_lo, s17
	s_delay_alu instid0(VALU_DEP_1) | instskip(NEXT) | instid1(VALU_DEP_2)
	v_dual_lshlrev_b32 v6, 8, v6 :: v_dual_lshlrev_b32 v0, 23, v0
	v_lshl_add_u32 v9, v9, 10, 0x2000
	s_delay_alu instid0(VALU_DEP_1) | instskip(NEXT) | instid1(VALU_DEP_1)
	v_and_or_b32 v6, 0x8000, v6, v9
	v_lshl_or_b32 v9, v6, 16, v0
.LBB285_2470:                           ;   in Loop: Header=BB285_1581 Depth=1
	s_or_b32 exec_lo, exec_lo, s16
.LBB285_2471:                           ;   in Loop: Header=BB285_1581 Depth=1
	s_delay_alu instid0(SALU_CYCLE_1)
	s_or_b32 exec_lo, exec_lo, s15
.LBB285_2472:                           ;   in Loop: Header=BB285_1581 Depth=1
	s_delay_alu instid0(SALU_CYCLE_1) | instskip(SKIP_4) | instid1(VALU_DEP_3)
	s_or_b32 exec_lo, exec_lo, s14
	v_and_b32_e32 v0, 0xff, v65
	v_dual_mov_b32 v6, v65 :: v_dual_mov_b32 v18, 0
	v_mov_b32_e32 v17, 0
	s_mov_b32 s14, exec_lo
	v_cmpx_ne_u16_e32 0, v0
	s_cbranch_execz .LBB285_2480
; %bb.2473:                             ;   in Loop: Header=BB285_1581 Depth=1
	v_mov_b32_e32 v17, 0x8000
	s_mov_b32 s15, exec_lo
	v_cmpx_ne_u16_e32 0x80, v0
	s_cbranch_execz .LBB285_2479
; %bb.2474:                             ;   in Loop: Header=BB285_1581 Depth=1
	v_and_b32_e32 v19, 0x7f, v65
	v_mov_b32_e32 v17, 0x7c01
	s_mov_b32 s16, exec_lo
	s_delay_alu instid0(VALU_DEP_2)
	v_cmpx_ne_u32_e32 0x7f, v19
	s_cbranch_execz .LBB285_2478
; %bb.2475:                             ;   in Loop: Header=BB285_1581 Depth=1
	v_dual_lshrrev_b32 v17, 3, v19 :: v_dual_bitop2_b32 v0, 7, v65 bitop3:0x40
	s_mov_b32 s17, exec_lo
	v_cmpx_gt_u32_e32 8, v19
; %bb.2476:                             ;   in Loop: Header=BB285_1581 Depth=1
	s_delay_alu instid0(VALU_DEP_2) | instskip(NEXT) | instid1(VALU_DEP_1)
	v_clz_i32_u32_e32 v0, v0
	v_min_u32_e32 v0, 32, v0
	s_delay_alu instid0(VALU_DEP_1) | instskip(NEXT) | instid1(VALU_DEP_1)
	v_subrev_nc_u32_e32 v17, 28, v0
	v_lshlrev_b64_e32 v[22:23], v17, v[6:7]
	s_delay_alu instid0(VALU_DEP_1)
	v_dual_sub_nc_u32 v17, 29, v0 :: v_dual_bitop2_b32 v0, 7, v22 bitop3:0x40
; %bb.2477:                             ;   in Loop: Header=BB285_1581 Depth=1
	s_or_b32 exec_lo, exec_lo, s17
	s_delay_alu instid0(VALU_DEP_1) | instskip(NEXT) | instid1(VALU_DEP_2)
	v_dual_lshlrev_b32 v19, 8, v65 :: v_dual_lshlrev_b32 v0, 7, v0
	v_lshl_add_u32 v17, v17, 10, 0x2000
	s_delay_alu instid0(VALU_DEP_2) | instskip(NEXT) | instid1(VALU_DEP_2)
	v_and_b32_e32 v19, 0x8000, v19
	v_and_b32_e32 v17, 0xfc00, v17
	s_delay_alu instid0(VALU_DEP_1)
	v_or3_b32 v17, v19, v17, v0
.LBB285_2478:                           ;   in Loop: Header=BB285_1581 Depth=1
	s_or_b32 exec_lo, exec_lo, s16
.LBB285_2479:                           ;   in Loop: Header=BB285_1581 Depth=1
	s_delay_alu instid0(SALU_CYCLE_1)
	s_or_b32 exec_lo, exec_lo, s15
.LBB285_2480:                           ;   in Loop: Header=BB285_1581 Depth=1
	s_delay_alu instid0(SALU_CYCLE_1) | instskip(SKIP_3) | instid1(VALU_DEP_2)
	s_or_b32 exec_lo, exec_lo, s14
	v_lshrrev_b16 v6, 8, v6
	v_mov_b32_e32 v19, 0
	s_mov_b32 s14, exec_lo
	v_cmpx_ne_u16_e32 0, v6
	s_cbranch_execz .LBB285_2488
; %bb.2481:                             ;   in Loop: Header=BB285_1581 Depth=1
	v_bfrev_b32_e32 v19, 1
	s_mov_b32 s15, exec_lo
	v_cmpx_ne_u16_e32 0x80, v6
	s_cbranch_execz .LBB285_2487
; %bb.2482:                             ;   in Loop: Header=BB285_1581 Depth=1
	v_and_b32_e32 v0, 0xffff, v6
	v_mov_b32_e32 v19, 0x7c010000
	s_mov_b32 s16, exec_lo
	s_delay_alu instid0(VALU_DEP_2) | instskip(NEXT) | instid1(VALU_DEP_1)
	v_and_b32_e32 v23, 0x7f, v0
	v_cmpx_ne_u32_e32 0x7f, v23
	s_cbranch_execz .LBB285_2486
; %bb.2483:                             ;   in Loop: Header=BB285_1581 Depth=1
	v_dual_lshrrev_b32 v22, 3, v23 :: v_dual_bitop2_b32 v19, 7, v0 bitop3:0x40
	s_mov_b32 s17, exec_lo
	v_cmpx_gt_u32_e32 8, v23
; %bb.2484:                             ;   in Loop: Header=BB285_1581 Depth=1
	s_delay_alu instid0(VALU_DEP_2) | instskip(NEXT) | instid1(VALU_DEP_1)
	v_clz_i32_u32_e32 v19, v19
	v_min_u32_e32 v19, 32, v19
	s_delay_alu instid0(VALU_DEP_1) | instskip(NEXT) | instid1(VALU_DEP_1)
	v_subrev_nc_u32_e32 v22, 28, v19
	v_lshlrev_b64_e32 v[66:67], v22, v[6:7]
	s_delay_alu instid0(VALU_DEP_1)
	v_dual_sub_nc_u32 v22, 29, v19 :: v_dual_bitop2_b32 v19, 7, v66 bitop3:0x40
; %bb.2485:                             ;   in Loop: Header=BB285_1581 Depth=1
	s_or_b32 exec_lo, exec_lo, s17
	v_lshlrev_b32_e32 v0, 8, v0
	s_delay_alu instid0(VALU_DEP_2) | instskip(NEXT) | instid1(VALU_DEP_1)
	v_lshl_add_u32 v6, v22, 10, 0x2000
	v_and_or_b32 v0, 0x8000, v0, v6
	v_lshlrev_b32_e32 v6, 23, v19
	s_delay_alu instid0(VALU_DEP_1)
	v_lshl_or_b32 v19, v0, 16, v6
.LBB285_2486:                           ;   in Loop: Header=BB285_1581 Depth=1
	s_or_b32 exec_lo, exec_lo, s16
.LBB285_2487:                           ;   in Loop: Header=BB285_1581 Depth=1
	s_delay_alu instid0(SALU_CYCLE_1)
	s_or_b32 exec_lo, exec_lo, s15
.LBB285_2488:                           ;   in Loop: Header=BB285_1581 Depth=1
	s_delay_alu instid0(SALU_CYCLE_1) | instskip(SKIP_2) | instid1(VALU_DEP_1)
	s_or_b32 exec_lo, exec_lo, s14
	v_lshrrev_b32_e32 v0, 16, v65
	s_mov_b32 s14, exec_lo
	v_and_b32_e32 v6, 0xff, v0
	s_delay_alu instid0(VALU_DEP_1)
	v_cmpx_ne_u16_e32 0, v6
	s_cbranch_execz .LBB285_2496
; %bb.2489:                             ;   in Loop: Header=BB285_1581 Depth=1
	v_mov_b32_e32 v18, 0x8000
	s_mov_b32 s15, exec_lo
	v_cmpx_ne_u16_e32 0x80, v6
	s_cbranch_execz .LBB285_2495
; %bb.2490:                             ;   in Loop: Header=BB285_1581 Depth=1
	v_bfe_u32 v22, v65, 16, 7
	v_mov_b32_e32 v18, 0x7c01
	s_mov_b32 s16, exec_lo
	s_delay_alu instid0(VALU_DEP_2)
	v_cmpx_ne_u32_e32 0x7f, v22
	s_cbranch_execz .LBB285_2494
; %bb.2491:                             ;   in Loop: Header=BB285_1581 Depth=1
	v_dual_lshrrev_b32 v18, 3, v22 :: v_dual_bitop2_b32 v6, 7, v0 bitop3:0x40
	s_mov_b32 s17, exec_lo
	v_cmpx_gt_u32_e32 8, v22
; %bb.2492:                             ;   in Loop: Header=BB285_1581 Depth=1
	s_delay_alu instid0(VALU_DEP_2) | instskip(NEXT) | instid1(VALU_DEP_1)
	v_clz_i32_u32_e32 v6, v6
	v_min_u32_e32 v6, 32, v6
	s_delay_alu instid0(VALU_DEP_1) | instskip(NEXT) | instid1(VALU_DEP_1)
	v_subrev_nc_u32_e32 v18, 28, v6
	v_lshlrev_b64_e32 v[22:23], v18, v[0:1]
	v_sub_nc_u32_e32 v18, 29, v6
	s_delay_alu instid0(VALU_DEP_2)
	v_and_b32_e32 v6, 7, v22
; %bb.2493:                             ;   in Loop: Header=BB285_1581 Depth=1
	s_or_b32 exec_lo, exec_lo, s17
	s_delay_alu instid0(VALU_DEP_1) | instskip(NEXT) | instid1(VALU_DEP_3)
	v_dual_lshlrev_b32 v0, 8, v0 :: v_dual_lshlrev_b32 v6, 7, v6
	v_lshl_add_u32 v18, v18, 10, 0x2000
	s_delay_alu instid0(VALU_DEP_2) | instskip(NEXT) | instid1(VALU_DEP_2)
	v_and_b32_e32 v0, 0x8000, v0
	v_and_b32_e32 v18, 0xfc00, v18
	s_delay_alu instid0(VALU_DEP_1)
	v_or3_b32 v18, v0, v18, v6
.LBB285_2494:                           ;   in Loop: Header=BB285_1581 Depth=1
	s_or_b32 exec_lo, exec_lo, s16
.LBB285_2495:                           ;   in Loop: Header=BB285_1581 Depth=1
	s_delay_alu instid0(SALU_CYCLE_1)
	s_or_b32 exec_lo, exec_lo, s15
.LBB285_2496:                           ;   in Loop: Header=BB285_1581 Depth=1
	s_delay_alu instid0(SALU_CYCLE_1)
	s_or_b32 exec_lo, exec_lo, s14
	v_mov_b32_e32 v0, 0
	s_mov_b32 s14, exec_lo
	v_cmpx_lt_u64_e64 s[2:3], v[64:65]
	s_cbranch_execz .LBB285_2504
; %bb.2497:                             ;   in Loop: Header=BB285_1581 Depth=1
	v_lshrrev_b32_e32 v6, 24, v65
	v_bfrev_b32_e32 v0, 1
	s_mov_b32 s15, exec_lo
	s_delay_alu instid0(VALU_DEP_2)
	v_cmpx_ne_u32_e32 0x80, v6
	s_cbranch_execz .LBB285_2503
; %bb.2498:                             ;   in Loop: Header=BB285_1581 Depth=1
	v_and_b32_e32 v23, 0x7f, v6
	v_mov_b32_e32 v0, 0x7c010000
	s_mov_b32 s16, exec_lo
	s_delay_alu instid0(VALU_DEP_2)
	v_cmpx_ne_u32_e32 0x7f, v23
	s_cbranch_execz .LBB285_2502
; %bb.2499:                             ;   in Loop: Header=BB285_1581 Depth=1
	v_dual_lshrrev_b32 v22, 3, v23 :: v_dual_bitop2_b32 v0, 7, v6 bitop3:0x40
	s_mov_b32 s17, exec_lo
	v_cmpx_gt_u32_e32 8, v23
; %bb.2500:                             ;   in Loop: Header=BB285_1581 Depth=1
	s_delay_alu instid0(VALU_DEP_2) | instskip(NEXT) | instid1(VALU_DEP_1)
	v_clz_i32_u32_e32 v0, v0
	v_min_u32_e32 v0, 32, v0
	s_delay_alu instid0(VALU_DEP_1) | instskip(NEXT) | instid1(VALU_DEP_1)
	v_subrev_nc_u32_e32 v22, 28, v0
	v_lshlrev_b64_e32 v[64:65], v22, v[6:7]
	v_sub_nc_u32_e32 v22, 29, v0
	s_delay_alu instid0(VALU_DEP_2)
	v_and_b32_e32 v0, 7, v64
; %bb.2501:                             ;   in Loop: Header=BB285_1581 Depth=1
	s_or_b32 exec_lo, exec_lo, s17
	s_delay_alu instid0(VALU_DEP_1) | instskip(NEXT) | instid1(VALU_DEP_3)
	v_dual_lshlrev_b32 v6, 8, v6 :: v_dual_lshlrev_b32 v0, 23, v0
	v_lshl_add_u32 v22, v22, 10, 0x2000
	s_delay_alu instid0(VALU_DEP_1) | instskip(NEXT) | instid1(VALU_DEP_1)
	v_and_or_b32 v6, 0x8000, v6, v22
	v_lshl_or_b32 v0, v6, 16, v0
.LBB285_2502:                           ;   in Loop: Header=BB285_1581 Depth=1
	s_or_b32 exec_lo, exec_lo, s16
.LBB285_2503:                           ;   in Loop: Header=BB285_1581 Depth=1
	s_delay_alu instid0(SALU_CYCLE_1)
	s_or_b32 exec_lo, exec_lo, s15
.LBB285_2504:                           ;   in Loop: Header=BB285_1581 Depth=1
	s_delay_alu instid0(SALU_CYCLE_1) | instskip(SKIP_2) | instid1(VALU_DEP_2)
	s_or_b32 exec_lo, exec_lo, s14
	v_dual_lshrrev_b32 v6, 16, v1 :: v_dual_bitop2_b32 v1, v1, v8 bitop3:0x54
	v_dual_lshrrev_b32 v22, 16, v9 :: v_dual_bitop2_b32 v16, v9, v16 bitop3:0x54
	v_cvt_f32_f16_e32 v9, v6
	v_dual_lshrrev_b32 v18, 16, v19 :: v_dual_bitop2_b32 v6, v0, v18 bitop3:0x54
	s_delay_alu instid0(VALU_DEP_3)
	v_cvt_f32_f16_e32 v8, v22
	v_dual_lshrrev_b32 v22, 16, v0 :: v_dual_bitop2_b32 v19, v19, v17 bitop3:0x54
	v_cvt_f32_f16_e32 v0, v16
	v_cvt_f32_f16_e32 v1, v1
	s_wait_loadcnt_dscnt 0x0
	v_pk_mul_f32 v[8:9], v[54:55], v[8:9] op_sel_hi:[0,1]
	v_cvt_f32_f16_e32 v17, v18
	v_cvt_f32_f16_e32 v16, v22
	;; [unrolled: 1-line block ×4, first 2 shown]
	v_pk_mul_f32 v[0:1], v[54:55], v[0:1] op_sel_hi:[0,1]
	v_cvt_pk_f16_f32 v6, v8, v9
	v_pk_mul_f32 v[8:9], v[54:55], v[16:17] op_sel_hi:[0,1]
	s_delay_alu instid0(VALU_DEP_4) | instskip(NEXT) | instid1(VALU_DEP_4)
	v_pk_mul_f32 v[16:17], v[54:55], v[18:19] op_sel_hi:[0,1]
	v_cvt_pk_f16_f32 v0, v0, v1
	s_delay_alu instid0(VALU_DEP_4) | instskip(NEXT) | instid1(VALU_DEP_4)
	v_and_b32_e32 v19, 0xffff0000, v6
	v_cvt_pk_f16_f32 v8, v8, v9
	v_lshlrev_b32_e32 v54, 16, v6
	v_cvt_pk_f16_f32 v6, v16, v17
	v_lshrrev_b32_e32 v67, 16, v0
	v_and_b32_e32 v68, 0xffff, v0
	v_and_b32_e32 v1, 0xffff0000, v8
	s_delay_alu instid0(VALU_DEP_4) | instskip(SKIP_3) | instid1(VALU_DEP_4)
	v_dual_lshlrev_b32 v0, 16, v8 :: v_dual_lshrrev_b32 v9, 16, v6
	v_and_b32_e32 v6, 0xffff, v6
	v_or_b32_e32 v65, v19, v67
	v_or_b32_e32 v66, v54, v68
	;; [unrolled: 1-line block ×3, first 2 shown]
	s_delay_alu instid0(VALU_DEP_4)
	v_or_b32_e32 v64, v0, v6
	s_and_saveexec_b32 s14, vcc_lo
	s_cbranch_execz .LBB285_2506
; %bb.2505:                             ;   in Loop: Header=BB285_1581 Depth=1
	v_cmp_lt_i32_e64 s0, v84, v13
	s_delay_alu instid0(VALU_DEP_1) | instskip(SKIP_1) | instid1(VALU_DEP_1)
	v_cndmask_b32_e64 v8, 0, v67, s0
	v_cmp_lt_i32_e64 s0, v99, v12
	v_cndmask_b32_e64 v16, 0, v68, s0
	v_cmp_lt_i32_e64 s0, v98, v13
	s_delay_alu instid0(VALU_DEP_1) | instskip(SKIP_1) | instid1(VALU_DEP_1)
	v_cndmask_b32_e64 v17, 0, v19, s0
	v_cmp_lt_i32_e64 s0, v97, v12
	v_cndmask_b32_e64 v18, 0, v54, s0
	v_cmp_lt_i32_e64 s0, v96, v13
	s_delay_alu instid0(VALU_DEP_4) | instskip(NEXT) | instid1(VALU_DEP_2)
	v_or_b32_e32 v65, v8, v17
	v_dual_cndmask_b32 v9, 0, v9, s0 :: v_dual_bitop2_b32 v66, v16, v18 bitop3:0x54
	v_cmp_lt_i32_e64 s0, v87, v12
	s_delay_alu instid0(VALU_DEP_1) | instskip(SKIP_1) | instid1(VALU_DEP_1)
	v_cndmask_b32_e64 v6, 0, v6, s0
	v_cmp_lt_i32_e64 s0, v86, v13
	v_cndmask_b32_e64 v1, 0, v1, s0
	v_cmp_lt_i32_e64 s0, v85, v12
	s_delay_alu instid0(VALU_DEP_1) | instskip(NEXT) | instid1(VALU_DEP_1)
	v_dual_cndmask_b32 v0, 0, v0, s0 :: v_dual_bitop2_b32 v55, v9, v1 bitop3:0x54
	v_or_b32_e32 v64, v6, v0
.LBB285_2506:                           ;   in Loop: Header=BB285_1581 Depth=1
	s_or_b32 exec_lo, exec_lo, s14
	;;#ASMSTART
	v_pk_mul_f16 v0, v112, v65;

	;;#ASMEND
	;;#ASMSTART
	v_pk_mul_f16 v1, v102, v66;

	;;#ASMEND
	;; [unrolled: 4-line block ×4, first 2 shown]
	;;#ASMSTART
	v_pk_add_f16 v0, v0, v1;

	;;#ASMEND
	;;#ASMSTART
	v_pk_add_f16 v0, v0, v6;

	;;#ASMEND
	;; [unrolled: 4-line block ×3, first 2 shown]
	v_and_b32_e32 v1, 0xffff, v0
	v_lshrrev_b32_e32 v0, 16, v0
	;;#ASMSTART
	v_cvt_f32_f16 v74, v1;
	;;#ASMEND
	;;#ASMSTART
	v_cvt_f32_f16 v75, v0;
	;;#ASMEND
	flat_load_b64 v[64:65], v[28:29] offset:3584
	scratch_load_b64 v[0:1], off, s32 offset:192 ; 8-byte Folded Reload
	v_mov_b32_e32 v8, 0
	s_mov_b32 s14, exec_lo
	s_wait_loadcnt 0x0
	flat_load_b32 v54, v[0:1]
	s_wait_dscnt 0x1
	s_wait_xcnt 0x0
	v_and_b32_e32 v0, 0xff, v64
	v_mov_b32_e32 v1, 0
	s_delay_alu instid0(VALU_DEP_2)
	v_cmpx_ne_u16_e32 0, v0
	s_cbranch_execz .LBB285_2514
; %bb.2507:                             ;   in Loop: Header=BB285_1581 Depth=1
	v_mov_b32_e32 v8, 0x8000
	s_mov_b32 s15, exec_lo
	v_cmpx_ne_u16_e32 0x80, v0
	s_cbranch_execz .LBB285_2513
; %bb.2508:                             ;   in Loop: Header=BB285_1581 Depth=1
	v_and_b32_e32 v9, 0x7f, v64
	v_mov_b32_e32 v8, 0x7c01
	s_mov_b32 s16, exec_lo
	s_delay_alu instid0(VALU_DEP_2)
	v_cmpx_ne_u32_e32 0x7f, v9
	s_cbranch_execz .LBB285_2512
; %bb.2509:                             ;   in Loop: Header=BB285_1581 Depth=1
	v_dual_lshrrev_b32 v6, 3, v9 :: v_dual_bitop2_b32 v0, 7, v64 bitop3:0x40
	s_mov_b32 s17, exec_lo
	v_cmpx_gt_u32_e32 8, v9
; %bb.2510:                             ;   in Loop: Header=BB285_1581 Depth=1
	s_delay_alu instid0(VALU_DEP_2) | instskip(NEXT) | instid1(VALU_DEP_1)
	v_clz_i32_u32_e32 v0, v0
	v_min_u32_e32 v0, 32, v0
	s_delay_alu instid0(VALU_DEP_1) | instskip(NEXT) | instid1(VALU_DEP_1)
	v_subrev_nc_u32_e32 v6, 28, v0
	v_lshlrev_b64_e32 v[8:9], v6, v[64:65]
	v_sub_nc_u32_e32 v6, 29, v0
	s_delay_alu instid0(VALU_DEP_2)
	v_and_b32_e32 v0, 7, v8
; %bb.2511:                             ;   in Loop: Header=BB285_1581 Depth=1
	s_or_b32 exec_lo, exec_lo, s17
	v_lshlrev_b32_e32 v8, 8, v64
	s_delay_alu instid0(VALU_DEP_3) | instskip(NEXT) | instid1(VALU_DEP_3)
	v_lshl_add_u32 v6, v6, 10, 0x2000
	v_lshlrev_b32_e32 v0, 7, v0
	s_delay_alu instid0(VALU_DEP_3) | instskip(NEXT) | instid1(VALU_DEP_3)
	v_and_b32_e32 v8, 0x8000, v8
	v_and_b32_e32 v6, 0xfc00, v6
	s_delay_alu instid0(VALU_DEP_1)
	v_or3_b32 v8, v8, v6, v0
.LBB285_2512:                           ;   in Loop: Header=BB285_1581 Depth=1
	s_or_b32 exec_lo, exec_lo, s16
.LBB285_2513:                           ;   in Loop: Header=BB285_1581 Depth=1
	s_delay_alu instid0(SALU_CYCLE_1)
	s_or_b32 exec_lo, exec_lo, s15
.LBB285_2514:                           ;   in Loop: Header=BB285_1581 Depth=1
	s_delay_alu instid0(SALU_CYCLE_1) | instskip(SKIP_2) | instid1(VALU_DEP_1)
	s_or_b32 exec_lo, exec_lo, s14
	v_lshrrev_b16 v6, 8, v64
	s_mov_b32 s14, exec_lo
	v_cmpx_ne_u16_e32 0, v6
	s_cbranch_execz .LBB285_2522
; %bb.2515:                             ;   in Loop: Header=BB285_1581 Depth=1
	v_bfrev_b32_e32 v1, 1
	s_mov_b32 s15, exec_lo
	v_cmpx_ne_u16_e32 0x80, v6
	s_cbranch_execz .LBB285_2521
; %bb.2516:                             ;   in Loop: Header=BB285_1581 Depth=1
	v_and_b32_e32 v0, 0xffff, v6
	v_mov_b32_e32 v1, 0x7c010000
	s_mov_b32 s16, exec_lo
	s_delay_alu instid0(VALU_DEP_2) | instskip(NEXT) | instid1(VALU_DEP_1)
	v_and_b32_e32 v16, 0x7f, v0
	v_cmpx_ne_u32_e32 0x7f, v16
	s_cbranch_execz .LBB285_2520
; %bb.2517:                             ;   in Loop: Header=BB285_1581 Depth=1
	v_and_b32_e32 v1, 7, v0
	v_lshrrev_b32_e32 v9, 3, v16
	s_mov_b32 s17, exec_lo
	v_cmpx_gt_u32_e32 8, v16
; %bb.2518:                             ;   in Loop: Header=BB285_1581 Depth=1
	s_delay_alu instid0(VALU_DEP_3) | instskip(NEXT) | instid1(VALU_DEP_1)
	v_clz_i32_u32_e32 v1, v1
	v_min_u32_e32 v1, 32, v1
	s_delay_alu instid0(VALU_DEP_1) | instskip(NEXT) | instid1(VALU_DEP_1)
	v_subrev_nc_u32_e32 v9, 28, v1
	v_lshlrev_b64_e32 v[16:17], v9, v[6:7]
	s_delay_alu instid0(VALU_DEP_1)
	v_dual_sub_nc_u32 v9, 29, v1 :: v_dual_bitop2_b32 v1, 7, v16 bitop3:0x40
; %bb.2519:                             ;   in Loop: Header=BB285_1581 Depth=1
	s_or_b32 exec_lo, exec_lo, s17
	s_delay_alu instid0(VALU_DEP_1) | instskip(NEXT) | instid1(VALU_DEP_2)
	v_dual_lshlrev_b32 v0, 8, v0 :: v_dual_lshlrev_b32 v1, 23, v1
	v_lshl_add_u32 v6, v9, 10, 0x2000
	s_delay_alu instid0(VALU_DEP_1) | instskip(NEXT) | instid1(VALU_DEP_1)
	v_and_or_b32 v0, 0x8000, v0, v6
	v_lshl_or_b32 v1, v0, 16, v1
.LBB285_2520:                           ;   in Loop: Header=BB285_1581 Depth=1
	s_or_b32 exec_lo, exec_lo, s16
.LBB285_2521:                           ;   in Loop: Header=BB285_1581 Depth=1
	s_delay_alu instid0(SALU_CYCLE_1)
	s_or_b32 exec_lo, exec_lo, s15
.LBB285_2522:                           ;   in Loop: Header=BB285_1581 Depth=1
	s_delay_alu instid0(SALU_CYCLE_1) | instskip(SKIP_3) | instid1(VALU_DEP_2)
	s_or_b32 exec_lo, exec_lo, s14
	v_dual_mov_b32 v9, 0 :: v_dual_lshrrev_b32 v0, 16, v64
	v_mov_b32_e32 v16, 0
	s_mov_b32 s14, exec_lo
	v_and_b32_e32 v6, 0xff, v0
	s_delay_alu instid0(VALU_DEP_1)
	v_cmpx_ne_u16_e32 0, v6
	s_cbranch_execz .LBB285_2530
; %bb.2523:                             ;   in Loop: Header=BB285_1581 Depth=1
	v_mov_b32_e32 v16, 0x8000
	s_mov_b32 s15, exec_lo
	v_cmpx_ne_u16_e32 0x80, v6
	s_cbranch_execz .LBB285_2529
; %bb.2524:                             ;   in Loop: Header=BB285_1581 Depth=1
	v_bfe_u32 v17, v64, 16, 7
	v_mov_b32_e32 v16, 0x7c01
	s_mov_b32 s16, exec_lo
	s_delay_alu instid0(VALU_DEP_2)
	v_cmpx_ne_u32_e32 0x7f, v17
	s_cbranch_execz .LBB285_2528
; %bb.2525:                             ;   in Loop: Header=BB285_1581 Depth=1
	v_dual_lshrrev_b32 v16, 3, v17 :: v_dual_bitop2_b32 v6, 7, v0 bitop3:0x40
	s_mov_b32 s17, exec_lo
	v_cmpx_gt_u32_e32 8, v17
; %bb.2526:                             ;   in Loop: Header=BB285_1581 Depth=1
	s_delay_alu instid0(VALU_DEP_2) | instskip(NEXT) | instid1(VALU_DEP_1)
	v_clz_i32_u32_e32 v6, v6
	v_min_u32_e32 v6, 32, v6
	s_delay_alu instid0(VALU_DEP_1) | instskip(NEXT) | instid1(VALU_DEP_1)
	v_subrev_nc_u32_e32 v16, 28, v6
	v_lshlrev_b64_e32 v[18:19], v16, v[0:1]
	v_sub_nc_u32_e32 v16, 29, v6
	s_delay_alu instid0(VALU_DEP_2)
	v_and_b32_e32 v6, 7, v18
; %bb.2527:                             ;   in Loop: Header=BB285_1581 Depth=1
	s_or_b32 exec_lo, exec_lo, s17
	s_delay_alu instid0(VALU_DEP_1) | instskip(NEXT) | instid1(VALU_DEP_3)
	v_dual_lshlrev_b32 v0, 8, v0 :: v_dual_lshlrev_b32 v6, 7, v6
	v_lshl_add_u32 v16, v16, 10, 0x2000
	s_delay_alu instid0(VALU_DEP_2) | instskip(NEXT) | instid1(VALU_DEP_2)
	v_and_b32_e32 v0, 0x8000, v0
	v_and_b32_e32 v16, 0xfc00, v16
	s_delay_alu instid0(VALU_DEP_1)
	v_or3_b32 v16, v0, v16, v6
.LBB285_2528:                           ;   in Loop: Header=BB285_1581 Depth=1
	s_or_b32 exec_lo, exec_lo, s16
.LBB285_2529:                           ;   in Loop: Header=BB285_1581 Depth=1
	s_delay_alu instid0(SALU_CYCLE_1)
	s_or_b32 exec_lo, exec_lo, s15
.LBB285_2530:                           ;   in Loop: Header=BB285_1581 Depth=1
	s_delay_alu instid0(SALU_CYCLE_1) | instskip(NEXT) | instid1(SALU_CYCLE_1)
	s_or_b32 exec_lo, exec_lo, s14
	s_mov_b32 s14, exec_lo
	v_cmpx_lt_u32_e32 0xffffff, v64
	s_cbranch_execz .LBB285_2538
; %bb.2531:                             ;   in Loop: Header=BB285_1581 Depth=1
	v_lshrrev_b32_e32 v6, 24, v64
	v_bfrev_b32_e32 v9, 1
	s_mov_b32 s15, exec_lo
	s_delay_alu instid0(VALU_DEP_2)
	v_cmpx_ne_u32_e32 0x80, v6
	s_cbranch_execz .LBB285_2537
; %bb.2532:                             ;   in Loop: Header=BB285_1581 Depth=1
	v_and_b32_e32 v17, 0x7f, v6
	v_mov_b32_e32 v9, 0x7c010000
	s_mov_b32 s16, exec_lo
	s_delay_alu instid0(VALU_DEP_2)
	v_cmpx_ne_u32_e32 0x7f, v17
	s_cbranch_execz .LBB285_2536
; %bb.2533:                             ;   in Loop: Header=BB285_1581 Depth=1
	v_dual_lshrrev_b32 v9, 3, v17 :: v_dual_bitop2_b32 v0, 7, v6 bitop3:0x40
	s_mov_b32 s17, exec_lo
	v_cmpx_gt_u32_e32 8, v17
; %bb.2534:                             ;   in Loop: Header=BB285_1581 Depth=1
	s_delay_alu instid0(VALU_DEP_2) | instskip(NEXT) | instid1(VALU_DEP_1)
	v_clz_i32_u32_e32 v0, v0
	v_min_u32_e32 v0, 32, v0
	s_delay_alu instid0(VALU_DEP_1) | instskip(NEXT) | instid1(VALU_DEP_1)
	v_subrev_nc_u32_e32 v9, 28, v0
	v_lshlrev_b64_e32 v[18:19], v9, v[6:7]
	s_delay_alu instid0(VALU_DEP_1)
	v_dual_sub_nc_u32 v9, 29, v0 :: v_dual_bitop2_b32 v0, 7, v18 bitop3:0x40
; %bb.2535:                             ;   in Loop: Header=BB285_1581 Depth=1
	s_or_b32 exec_lo, exec_lo, s17
	s_delay_alu instid0(VALU_DEP_1) | instskip(NEXT) | instid1(VALU_DEP_2)
	v_dual_lshlrev_b32 v6, 8, v6 :: v_dual_lshlrev_b32 v0, 23, v0
	v_lshl_add_u32 v9, v9, 10, 0x2000
	s_delay_alu instid0(VALU_DEP_1) | instskip(NEXT) | instid1(VALU_DEP_1)
	v_and_or_b32 v6, 0x8000, v6, v9
	v_lshl_or_b32 v9, v6, 16, v0
.LBB285_2536:                           ;   in Loop: Header=BB285_1581 Depth=1
	s_or_b32 exec_lo, exec_lo, s16
.LBB285_2537:                           ;   in Loop: Header=BB285_1581 Depth=1
	s_delay_alu instid0(SALU_CYCLE_1)
	s_or_b32 exec_lo, exec_lo, s15
.LBB285_2538:                           ;   in Loop: Header=BB285_1581 Depth=1
	s_delay_alu instid0(SALU_CYCLE_1) | instskip(SKIP_4) | instid1(VALU_DEP_3)
	s_or_b32 exec_lo, exec_lo, s14
	v_and_b32_e32 v0, 0xff, v65
	v_dual_mov_b32 v6, v65 :: v_dual_mov_b32 v18, 0
	v_mov_b32_e32 v17, 0
	s_mov_b32 s14, exec_lo
	v_cmpx_ne_u16_e32 0, v0
	s_cbranch_execz .LBB285_2546
; %bb.2539:                             ;   in Loop: Header=BB285_1581 Depth=1
	v_mov_b32_e32 v17, 0x8000
	s_mov_b32 s15, exec_lo
	v_cmpx_ne_u16_e32 0x80, v0
	s_cbranch_execz .LBB285_2545
; %bb.2540:                             ;   in Loop: Header=BB285_1581 Depth=1
	v_and_b32_e32 v19, 0x7f, v65
	v_mov_b32_e32 v17, 0x7c01
	s_mov_b32 s16, exec_lo
	s_delay_alu instid0(VALU_DEP_2)
	v_cmpx_ne_u32_e32 0x7f, v19
	s_cbranch_execz .LBB285_2544
; %bb.2541:                             ;   in Loop: Header=BB285_1581 Depth=1
	v_dual_lshrrev_b32 v17, 3, v19 :: v_dual_bitop2_b32 v0, 7, v65 bitop3:0x40
	s_mov_b32 s17, exec_lo
	v_cmpx_gt_u32_e32 8, v19
; %bb.2542:                             ;   in Loop: Header=BB285_1581 Depth=1
	s_delay_alu instid0(VALU_DEP_2) | instskip(NEXT) | instid1(VALU_DEP_1)
	v_clz_i32_u32_e32 v0, v0
	v_min_u32_e32 v0, 32, v0
	s_delay_alu instid0(VALU_DEP_1) | instskip(NEXT) | instid1(VALU_DEP_1)
	v_subrev_nc_u32_e32 v17, 28, v0
	v_lshlrev_b64_e32 v[22:23], v17, v[6:7]
	s_delay_alu instid0(VALU_DEP_1)
	v_dual_sub_nc_u32 v17, 29, v0 :: v_dual_bitop2_b32 v0, 7, v22 bitop3:0x40
; %bb.2543:                             ;   in Loop: Header=BB285_1581 Depth=1
	s_or_b32 exec_lo, exec_lo, s17
	s_delay_alu instid0(VALU_DEP_1) | instskip(NEXT) | instid1(VALU_DEP_2)
	v_dual_lshlrev_b32 v19, 8, v65 :: v_dual_lshlrev_b32 v0, 7, v0
	v_lshl_add_u32 v17, v17, 10, 0x2000
	s_delay_alu instid0(VALU_DEP_2) | instskip(NEXT) | instid1(VALU_DEP_2)
	v_and_b32_e32 v19, 0x8000, v19
	v_and_b32_e32 v17, 0xfc00, v17
	s_delay_alu instid0(VALU_DEP_1)
	v_or3_b32 v17, v19, v17, v0
.LBB285_2544:                           ;   in Loop: Header=BB285_1581 Depth=1
	s_or_b32 exec_lo, exec_lo, s16
.LBB285_2545:                           ;   in Loop: Header=BB285_1581 Depth=1
	s_delay_alu instid0(SALU_CYCLE_1)
	s_or_b32 exec_lo, exec_lo, s15
.LBB285_2546:                           ;   in Loop: Header=BB285_1581 Depth=1
	s_delay_alu instid0(SALU_CYCLE_1) | instskip(SKIP_3) | instid1(VALU_DEP_2)
	s_or_b32 exec_lo, exec_lo, s14
	v_lshrrev_b16 v6, 8, v6
	v_mov_b32_e32 v19, 0
	s_mov_b32 s14, exec_lo
	v_cmpx_ne_u16_e32 0, v6
	s_cbranch_execz .LBB285_2554
; %bb.2547:                             ;   in Loop: Header=BB285_1581 Depth=1
	v_bfrev_b32_e32 v19, 1
	s_mov_b32 s15, exec_lo
	v_cmpx_ne_u16_e32 0x80, v6
	s_cbranch_execz .LBB285_2553
; %bb.2548:                             ;   in Loop: Header=BB285_1581 Depth=1
	v_and_b32_e32 v0, 0xffff, v6
	v_mov_b32_e32 v19, 0x7c010000
	s_mov_b32 s16, exec_lo
	s_delay_alu instid0(VALU_DEP_2) | instskip(NEXT) | instid1(VALU_DEP_1)
	v_and_b32_e32 v23, 0x7f, v0
	v_cmpx_ne_u32_e32 0x7f, v23
	s_cbranch_execz .LBB285_2552
; %bb.2549:                             ;   in Loop: Header=BB285_1581 Depth=1
	v_dual_lshrrev_b32 v22, 3, v23 :: v_dual_bitop2_b32 v19, 7, v0 bitop3:0x40
	s_mov_b32 s17, exec_lo
	v_cmpx_gt_u32_e32 8, v23
; %bb.2550:                             ;   in Loop: Header=BB285_1581 Depth=1
	s_delay_alu instid0(VALU_DEP_2) | instskip(NEXT) | instid1(VALU_DEP_1)
	v_clz_i32_u32_e32 v19, v19
	v_min_u32_e32 v19, 32, v19
	s_delay_alu instid0(VALU_DEP_1) | instskip(NEXT) | instid1(VALU_DEP_1)
	v_subrev_nc_u32_e32 v22, 28, v19
	v_lshlrev_b64_e32 v[66:67], v22, v[6:7]
	s_delay_alu instid0(VALU_DEP_1)
	v_dual_sub_nc_u32 v22, 29, v19 :: v_dual_bitop2_b32 v19, 7, v66 bitop3:0x40
; %bb.2551:                             ;   in Loop: Header=BB285_1581 Depth=1
	s_or_b32 exec_lo, exec_lo, s17
	v_lshlrev_b32_e32 v0, 8, v0
	s_delay_alu instid0(VALU_DEP_2) | instskip(NEXT) | instid1(VALU_DEP_1)
	v_lshl_add_u32 v6, v22, 10, 0x2000
	v_and_or_b32 v0, 0x8000, v0, v6
	v_lshlrev_b32_e32 v6, 23, v19
	s_delay_alu instid0(VALU_DEP_1)
	v_lshl_or_b32 v19, v0, 16, v6
.LBB285_2552:                           ;   in Loop: Header=BB285_1581 Depth=1
	s_or_b32 exec_lo, exec_lo, s16
.LBB285_2553:                           ;   in Loop: Header=BB285_1581 Depth=1
	s_delay_alu instid0(SALU_CYCLE_1)
	s_or_b32 exec_lo, exec_lo, s15
.LBB285_2554:                           ;   in Loop: Header=BB285_1581 Depth=1
	s_delay_alu instid0(SALU_CYCLE_1) | instskip(SKIP_2) | instid1(VALU_DEP_1)
	s_or_b32 exec_lo, exec_lo, s14
	v_lshrrev_b32_e32 v0, 16, v65
	s_mov_b32 s14, exec_lo
	v_and_b32_e32 v6, 0xff, v0
	s_delay_alu instid0(VALU_DEP_1)
	v_cmpx_ne_u16_e32 0, v6
	s_cbranch_execz .LBB285_2562
; %bb.2555:                             ;   in Loop: Header=BB285_1581 Depth=1
	v_mov_b32_e32 v18, 0x8000
	s_mov_b32 s15, exec_lo
	v_cmpx_ne_u16_e32 0x80, v6
	s_cbranch_execz .LBB285_2561
; %bb.2556:                             ;   in Loop: Header=BB285_1581 Depth=1
	v_bfe_u32 v22, v65, 16, 7
	v_mov_b32_e32 v18, 0x7c01
	s_mov_b32 s16, exec_lo
	s_delay_alu instid0(VALU_DEP_2)
	v_cmpx_ne_u32_e32 0x7f, v22
	s_cbranch_execz .LBB285_2560
; %bb.2557:                             ;   in Loop: Header=BB285_1581 Depth=1
	v_dual_lshrrev_b32 v18, 3, v22 :: v_dual_bitop2_b32 v6, 7, v0 bitop3:0x40
	s_mov_b32 s17, exec_lo
	v_cmpx_gt_u32_e32 8, v22
; %bb.2558:                             ;   in Loop: Header=BB285_1581 Depth=1
	s_delay_alu instid0(VALU_DEP_2) | instskip(NEXT) | instid1(VALU_DEP_1)
	v_clz_i32_u32_e32 v6, v6
	v_min_u32_e32 v6, 32, v6
	s_delay_alu instid0(VALU_DEP_1) | instskip(NEXT) | instid1(VALU_DEP_1)
	v_subrev_nc_u32_e32 v18, 28, v6
	v_lshlrev_b64_e32 v[22:23], v18, v[0:1]
	v_sub_nc_u32_e32 v18, 29, v6
	s_delay_alu instid0(VALU_DEP_2)
	v_and_b32_e32 v6, 7, v22
; %bb.2559:                             ;   in Loop: Header=BB285_1581 Depth=1
	s_or_b32 exec_lo, exec_lo, s17
	s_delay_alu instid0(VALU_DEP_1) | instskip(NEXT) | instid1(VALU_DEP_3)
	v_dual_lshlrev_b32 v0, 8, v0 :: v_dual_lshlrev_b32 v6, 7, v6
	v_lshl_add_u32 v18, v18, 10, 0x2000
	s_delay_alu instid0(VALU_DEP_2) | instskip(NEXT) | instid1(VALU_DEP_2)
	v_and_b32_e32 v0, 0x8000, v0
	v_and_b32_e32 v18, 0xfc00, v18
	s_delay_alu instid0(VALU_DEP_1)
	v_or3_b32 v18, v0, v18, v6
.LBB285_2560:                           ;   in Loop: Header=BB285_1581 Depth=1
	s_or_b32 exec_lo, exec_lo, s16
.LBB285_2561:                           ;   in Loop: Header=BB285_1581 Depth=1
	s_delay_alu instid0(SALU_CYCLE_1)
	s_or_b32 exec_lo, exec_lo, s15
.LBB285_2562:                           ;   in Loop: Header=BB285_1581 Depth=1
	s_delay_alu instid0(SALU_CYCLE_1)
	s_or_b32 exec_lo, exec_lo, s14
	v_mov_b32_e32 v0, 0
	s_mov_b32 s14, exec_lo
	v_cmpx_lt_u64_e64 s[2:3], v[64:65]
	s_cbranch_execz .LBB285_2570
; %bb.2563:                             ;   in Loop: Header=BB285_1581 Depth=1
	v_lshrrev_b32_e32 v6, 24, v65
	v_bfrev_b32_e32 v0, 1
	s_mov_b32 s15, exec_lo
	s_delay_alu instid0(VALU_DEP_2)
	v_cmpx_ne_u32_e32 0x80, v6
	s_cbranch_execz .LBB285_2569
; %bb.2564:                             ;   in Loop: Header=BB285_1581 Depth=1
	v_and_b32_e32 v23, 0x7f, v6
	v_mov_b32_e32 v0, 0x7c010000
	s_mov_b32 s16, exec_lo
	s_delay_alu instid0(VALU_DEP_2)
	v_cmpx_ne_u32_e32 0x7f, v23
	s_cbranch_execz .LBB285_2568
; %bb.2565:                             ;   in Loop: Header=BB285_1581 Depth=1
	v_dual_lshrrev_b32 v22, 3, v23 :: v_dual_bitop2_b32 v0, 7, v6 bitop3:0x40
	s_mov_b32 s17, exec_lo
	v_cmpx_gt_u32_e32 8, v23
; %bb.2566:                             ;   in Loop: Header=BB285_1581 Depth=1
	s_delay_alu instid0(VALU_DEP_2) | instskip(NEXT) | instid1(VALU_DEP_1)
	v_clz_i32_u32_e32 v0, v0
	v_min_u32_e32 v0, 32, v0
	s_delay_alu instid0(VALU_DEP_1) | instskip(NEXT) | instid1(VALU_DEP_1)
	v_subrev_nc_u32_e32 v22, 28, v0
	v_lshlrev_b64_e32 v[64:65], v22, v[6:7]
	v_sub_nc_u32_e32 v22, 29, v0
	s_delay_alu instid0(VALU_DEP_2)
	v_and_b32_e32 v0, 7, v64
; %bb.2567:                             ;   in Loop: Header=BB285_1581 Depth=1
	s_or_b32 exec_lo, exec_lo, s17
	s_delay_alu instid0(VALU_DEP_1) | instskip(NEXT) | instid1(VALU_DEP_3)
	v_dual_lshlrev_b32 v6, 8, v6 :: v_dual_lshlrev_b32 v0, 23, v0
	v_lshl_add_u32 v22, v22, 10, 0x2000
	s_delay_alu instid0(VALU_DEP_1) | instskip(NEXT) | instid1(VALU_DEP_1)
	v_and_or_b32 v6, 0x8000, v6, v22
	v_lshl_or_b32 v0, v6, 16, v0
.LBB285_2568:                           ;   in Loop: Header=BB285_1581 Depth=1
	s_or_b32 exec_lo, exec_lo, s16
.LBB285_2569:                           ;   in Loop: Header=BB285_1581 Depth=1
	s_delay_alu instid0(SALU_CYCLE_1)
	s_or_b32 exec_lo, exec_lo, s15
.LBB285_2570:                           ;   in Loop: Header=BB285_1581 Depth=1
	s_delay_alu instid0(SALU_CYCLE_1) | instskip(SKIP_2) | instid1(VALU_DEP_2)
	s_or_b32 exec_lo, exec_lo, s14
	v_dual_lshrrev_b32 v6, 16, v1 :: v_dual_bitop2_b32 v1, v1, v8 bitop3:0x54
	v_dual_lshrrev_b32 v22, 16, v9 :: v_dual_bitop2_b32 v16, v9, v16 bitop3:0x54
	v_cvt_f32_f16_e32 v9, v6
	v_dual_lshrrev_b32 v18, 16, v19 :: v_dual_bitop2_b32 v6, v0, v18 bitop3:0x54
	s_delay_alu instid0(VALU_DEP_3)
	v_cvt_f32_f16_e32 v8, v22
	v_dual_lshrrev_b32 v22, 16, v0 :: v_dual_bitop2_b32 v19, v19, v17 bitop3:0x54
	v_cvt_f32_f16_e32 v0, v16
	v_cvt_f32_f16_e32 v1, v1
	s_wait_loadcnt_dscnt 0x0
	v_pk_mul_f32 v[8:9], v[54:55], v[8:9] op_sel_hi:[0,1]
	v_cvt_f32_f16_e32 v17, v18
	v_cvt_f32_f16_e32 v16, v22
	;; [unrolled: 1-line block ×4, first 2 shown]
	v_pk_mul_f32 v[0:1], v[54:55], v[0:1] op_sel_hi:[0,1]
	v_cvt_pk_f16_f32 v6, v8, v9
	v_pk_mul_f32 v[8:9], v[54:55], v[16:17] op_sel_hi:[0,1]
	s_delay_alu instid0(VALU_DEP_4) | instskip(NEXT) | instid1(VALU_DEP_4)
	v_pk_mul_f32 v[16:17], v[54:55], v[18:19] op_sel_hi:[0,1]
	v_cvt_pk_f16_f32 v0, v0, v1
	s_delay_alu instid0(VALU_DEP_4) | instskip(NEXT) | instid1(VALU_DEP_4)
	v_and_b32_e32 v19, 0xffff0000, v6
	v_cvt_pk_f16_f32 v8, v8, v9
	v_lshlrev_b32_e32 v54, 16, v6
	v_cvt_pk_f16_f32 v6, v16, v17
	v_lshrrev_b32_e32 v67, 16, v0
	v_and_b32_e32 v68, 0xffff, v0
	v_and_b32_e32 v1, 0xffff0000, v8
	s_delay_alu instid0(VALU_DEP_4) | instskip(SKIP_3) | instid1(VALU_DEP_4)
	v_dual_lshlrev_b32 v0, 16, v8 :: v_dual_lshrrev_b32 v9, 16, v6
	v_and_b32_e32 v6, 0xffff, v6
	v_or_b32_e32 v65, v19, v67
	v_or_b32_e32 v66, v54, v68
	;; [unrolled: 1-line block ×3, first 2 shown]
	s_delay_alu instid0(VALU_DEP_4)
	v_or_b32_e32 v64, v0, v6
	s_and_saveexec_b32 s14, vcc_lo
	s_cbranch_execz .LBB285_2572
; %bb.2571:                             ;   in Loop: Header=BB285_1581 Depth=1
	v_cmp_lt_i32_e64 s0, v84, v13
	s_delay_alu instid0(VALU_DEP_1) | instskip(SKIP_1) | instid1(VALU_DEP_1)
	v_cndmask_b32_e64 v8, 0, v67, s0
	v_cmp_lt_i32_e64 s0, v99, v12
	v_cndmask_b32_e64 v16, 0, v68, s0
	v_cmp_lt_i32_e64 s0, v98, v13
	s_delay_alu instid0(VALU_DEP_1) | instskip(SKIP_1) | instid1(VALU_DEP_1)
	v_cndmask_b32_e64 v17, 0, v19, s0
	v_cmp_lt_i32_e64 s0, v97, v12
	v_cndmask_b32_e64 v18, 0, v54, s0
	v_cmp_lt_i32_e64 s0, v96, v13
	s_delay_alu instid0(VALU_DEP_4) | instskip(NEXT) | instid1(VALU_DEP_2)
	v_or_b32_e32 v65, v8, v17
	v_dual_cndmask_b32 v9, 0, v9, s0 :: v_dual_bitop2_b32 v66, v16, v18 bitop3:0x54
	v_cmp_lt_i32_e64 s0, v87, v12
	s_delay_alu instid0(VALU_DEP_1) | instskip(SKIP_1) | instid1(VALU_DEP_1)
	v_cndmask_b32_e64 v6, 0, v6, s0
	v_cmp_lt_i32_e64 s0, v86, v13
	v_cndmask_b32_e64 v1, 0, v1, s0
	v_cmp_lt_i32_e64 s0, v85, v12
	s_delay_alu instid0(VALU_DEP_1) | instskip(NEXT) | instid1(VALU_DEP_1)
	v_dual_cndmask_b32 v0, 0, v0, s0 :: v_dual_bitop2_b32 v55, v9, v1 bitop3:0x54
	v_or_b32_e32 v64, v6, v0
.LBB285_2572:                           ;   in Loop: Header=BB285_1581 Depth=1
	s_or_b32 exec_lo, exec_lo, s14
	;;#ASMSTART
	v_pk_mul_f16 v0, v112, v65;

	;;#ASMEND
	;;#ASMSTART
	v_pk_mul_f16 v1, v102, v66;

	;;#ASMEND
	;; [unrolled: 4-line block ×4, first 2 shown]
	;;#ASMSTART
	v_pk_add_f16 v0, v0, v1;

	;;#ASMEND
	;;#ASMSTART
	v_pk_add_f16 v0, v0, v6;

	;;#ASMEND
	;; [unrolled: 4-line block ×3, first 2 shown]
	v_and_b32_e32 v1, 0xffff, v0
	v_lshrrev_b32_e32 v0, 16, v0
	;;#ASMSTART
	v_cvt_f32_f16 v76, v1;
	;;#ASMEND
	;;#ASMSTART
	v_cvt_f32_f16 v77, v0;
	;;#ASMEND
	flat_load_b64 v[64:65], v[28:29] offset:3840
	scratch_load_b64 v[0:1], off, s32 offset:192 ; 8-byte Folded Reload
	v_mov_b32_e32 v8, 0
	s_mov_b32 s14, exec_lo
	s_wait_loadcnt 0x0
	flat_load_b32 v54, v[0:1]
	s_wait_dscnt 0x1
	s_wait_xcnt 0x0
	v_and_b32_e32 v0, 0xff, v64
	v_mov_b32_e32 v1, 0
	s_delay_alu instid0(VALU_DEP_2)
	v_cmpx_ne_u16_e32 0, v0
	s_cbranch_execz .LBB285_2580
; %bb.2573:                             ;   in Loop: Header=BB285_1581 Depth=1
	v_mov_b32_e32 v8, 0x8000
	s_mov_b32 s15, exec_lo
	v_cmpx_ne_u16_e32 0x80, v0
	s_cbranch_execz .LBB285_2579
; %bb.2574:                             ;   in Loop: Header=BB285_1581 Depth=1
	v_and_b32_e32 v9, 0x7f, v64
	v_mov_b32_e32 v8, 0x7c01
	s_mov_b32 s16, exec_lo
	s_delay_alu instid0(VALU_DEP_2)
	v_cmpx_ne_u32_e32 0x7f, v9
	s_cbranch_execz .LBB285_2578
; %bb.2575:                             ;   in Loop: Header=BB285_1581 Depth=1
	v_dual_lshrrev_b32 v6, 3, v9 :: v_dual_bitop2_b32 v0, 7, v64 bitop3:0x40
	s_mov_b32 s17, exec_lo
	v_cmpx_gt_u32_e32 8, v9
; %bb.2576:                             ;   in Loop: Header=BB285_1581 Depth=1
	s_delay_alu instid0(VALU_DEP_2) | instskip(NEXT) | instid1(VALU_DEP_1)
	v_clz_i32_u32_e32 v0, v0
	v_min_u32_e32 v0, 32, v0
	s_delay_alu instid0(VALU_DEP_1) | instskip(NEXT) | instid1(VALU_DEP_1)
	v_subrev_nc_u32_e32 v6, 28, v0
	v_lshlrev_b64_e32 v[8:9], v6, v[64:65]
	v_sub_nc_u32_e32 v6, 29, v0
	s_delay_alu instid0(VALU_DEP_2)
	v_and_b32_e32 v0, 7, v8
; %bb.2577:                             ;   in Loop: Header=BB285_1581 Depth=1
	s_or_b32 exec_lo, exec_lo, s17
	v_lshlrev_b32_e32 v8, 8, v64
	s_delay_alu instid0(VALU_DEP_3) | instskip(NEXT) | instid1(VALU_DEP_3)
	v_lshl_add_u32 v6, v6, 10, 0x2000
	v_lshlrev_b32_e32 v0, 7, v0
	s_delay_alu instid0(VALU_DEP_3) | instskip(NEXT) | instid1(VALU_DEP_3)
	v_and_b32_e32 v8, 0x8000, v8
	v_and_b32_e32 v6, 0xfc00, v6
	s_delay_alu instid0(VALU_DEP_1)
	v_or3_b32 v8, v8, v6, v0
.LBB285_2578:                           ;   in Loop: Header=BB285_1581 Depth=1
	s_or_b32 exec_lo, exec_lo, s16
.LBB285_2579:                           ;   in Loop: Header=BB285_1581 Depth=1
	s_delay_alu instid0(SALU_CYCLE_1)
	s_or_b32 exec_lo, exec_lo, s15
.LBB285_2580:                           ;   in Loop: Header=BB285_1581 Depth=1
	s_delay_alu instid0(SALU_CYCLE_1) | instskip(SKIP_2) | instid1(VALU_DEP_1)
	s_or_b32 exec_lo, exec_lo, s14
	v_lshrrev_b16 v6, 8, v64
	s_mov_b32 s14, exec_lo
	v_cmpx_ne_u16_e32 0, v6
	s_cbranch_execz .LBB285_2588
; %bb.2581:                             ;   in Loop: Header=BB285_1581 Depth=1
	v_bfrev_b32_e32 v1, 1
	s_mov_b32 s15, exec_lo
	v_cmpx_ne_u16_e32 0x80, v6
	s_cbranch_execz .LBB285_2587
; %bb.2582:                             ;   in Loop: Header=BB285_1581 Depth=1
	v_and_b32_e32 v0, 0xffff, v6
	v_mov_b32_e32 v1, 0x7c010000
	s_mov_b32 s16, exec_lo
	s_delay_alu instid0(VALU_DEP_2) | instskip(NEXT) | instid1(VALU_DEP_1)
	v_and_b32_e32 v16, 0x7f, v0
	v_cmpx_ne_u32_e32 0x7f, v16
	s_cbranch_execz .LBB285_2586
; %bb.2583:                             ;   in Loop: Header=BB285_1581 Depth=1
	v_and_b32_e32 v1, 7, v0
	v_lshrrev_b32_e32 v9, 3, v16
	s_mov_b32 s17, exec_lo
	v_cmpx_gt_u32_e32 8, v16
; %bb.2584:                             ;   in Loop: Header=BB285_1581 Depth=1
	s_delay_alu instid0(VALU_DEP_3) | instskip(NEXT) | instid1(VALU_DEP_1)
	v_clz_i32_u32_e32 v1, v1
	v_min_u32_e32 v1, 32, v1
	s_delay_alu instid0(VALU_DEP_1) | instskip(NEXT) | instid1(VALU_DEP_1)
	v_subrev_nc_u32_e32 v9, 28, v1
	v_lshlrev_b64_e32 v[16:17], v9, v[6:7]
	s_delay_alu instid0(VALU_DEP_1)
	v_dual_sub_nc_u32 v9, 29, v1 :: v_dual_bitop2_b32 v1, 7, v16 bitop3:0x40
; %bb.2585:                             ;   in Loop: Header=BB285_1581 Depth=1
	s_or_b32 exec_lo, exec_lo, s17
	s_delay_alu instid0(VALU_DEP_1) | instskip(NEXT) | instid1(VALU_DEP_2)
	v_dual_lshlrev_b32 v0, 8, v0 :: v_dual_lshlrev_b32 v1, 23, v1
	v_lshl_add_u32 v6, v9, 10, 0x2000
	s_delay_alu instid0(VALU_DEP_1) | instskip(NEXT) | instid1(VALU_DEP_1)
	v_and_or_b32 v0, 0x8000, v0, v6
	v_lshl_or_b32 v1, v0, 16, v1
.LBB285_2586:                           ;   in Loop: Header=BB285_1581 Depth=1
	s_or_b32 exec_lo, exec_lo, s16
.LBB285_2587:                           ;   in Loop: Header=BB285_1581 Depth=1
	s_delay_alu instid0(SALU_CYCLE_1)
	s_or_b32 exec_lo, exec_lo, s15
.LBB285_2588:                           ;   in Loop: Header=BB285_1581 Depth=1
	s_delay_alu instid0(SALU_CYCLE_1) | instskip(SKIP_3) | instid1(VALU_DEP_2)
	s_or_b32 exec_lo, exec_lo, s14
	v_dual_mov_b32 v9, 0 :: v_dual_lshrrev_b32 v0, 16, v64
	v_mov_b32_e32 v16, 0
	s_mov_b32 s14, exec_lo
	v_and_b32_e32 v6, 0xff, v0
	s_delay_alu instid0(VALU_DEP_1)
	v_cmpx_ne_u16_e32 0, v6
	s_cbranch_execz .LBB285_2596
; %bb.2589:                             ;   in Loop: Header=BB285_1581 Depth=1
	v_mov_b32_e32 v16, 0x8000
	s_mov_b32 s15, exec_lo
	v_cmpx_ne_u16_e32 0x80, v6
	s_cbranch_execz .LBB285_2595
; %bb.2590:                             ;   in Loop: Header=BB285_1581 Depth=1
	v_bfe_u32 v17, v64, 16, 7
	v_mov_b32_e32 v16, 0x7c01
	s_mov_b32 s16, exec_lo
	s_delay_alu instid0(VALU_DEP_2)
	v_cmpx_ne_u32_e32 0x7f, v17
	s_cbranch_execz .LBB285_2594
; %bb.2591:                             ;   in Loop: Header=BB285_1581 Depth=1
	v_dual_lshrrev_b32 v16, 3, v17 :: v_dual_bitop2_b32 v6, 7, v0 bitop3:0x40
	s_mov_b32 s17, exec_lo
	v_cmpx_gt_u32_e32 8, v17
; %bb.2592:                             ;   in Loop: Header=BB285_1581 Depth=1
	s_delay_alu instid0(VALU_DEP_2) | instskip(NEXT) | instid1(VALU_DEP_1)
	v_clz_i32_u32_e32 v6, v6
	v_min_u32_e32 v6, 32, v6
	s_delay_alu instid0(VALU_DEP_1) | instskip(NEXT) | instid1(VALU_DEP_1)
	v_subrev_nc_u32_e32 v16, 28, v6
	v_lshlrev_b64_e32 v[18:19], v16, v[0:1]
	v_sub_nc_u32_e32 v16, 29, v6
	s_delay_alu instid0(VALU_DEP_2)
	v_and_b32_e32 v6, 7, v18
; %bb.2593:                             ;   in Loop: Header=BB285_1581 Depth=1
	s_or_b32 exec_lo, exec_lo, s17
	s_delay_alu instid0(VALU_DEP_1) | instskip(NEXT) | instid1(VALU_DEP_3)
	v_dual_lshlrev_b32 v0, 8, v0 :: v_dual_lshlrev_b32 v6, 7, v6
	v_lshl_add_u32 v16, v16, 10, 0x2000
	s_delay_alu instid0(VALU_DEP_2) | instskip(NEXT) | instid1(VALU_DEP_2)
	v_and_b32_e32 v0, 0x8000, v0
	v_and_b32_e32 v16, 0xfc00, v16
	s_delay_alu instid0(VALU_DEP_1)
	v_or3_b32 v16, v0, v16, v6
.LBB285_2594:                           ;   in Loop: Header=BB285_1581 Depth=1
	s_or_b32 exec_lo, exec_lo, s16
.LBB285_2595:                           ;   in Loop: Header=BB285_1581 Depth=1
	s_delay_alu instid0(SALU_CYCLE_1)
	s_or_b32 exec_lo, exec_lo, s15
.LBB285_2596:                           ;   in Loop: Header=BB285_1581 Depth=1
	s_delay_alu instid0(SALU_CYCLE_1) | instskip(NEXT) | instid1(SALU_CYCLE_1)
	s_or_b32 exec_lo, exec_lo, s14
	s_mov_b32 s14, exec_lo
	v_cmpx_lt_u32_e32 0xffffff, v64
	s_cbranch_execz .LBB285_2604
; %bb.2597:                             ;   in Loop: Header=BB285_1581 Depth=1
	v_lshrrev_b32_e32 v6, 24, v64
	v_bfrev_b32_e32 v9, 1
	s_mov_b32 s15, exec_lo
	s_delay_alu instid0(VALU_DEP_2)
	v_cmpx_ne_u32_e32 0x80, v6
	s_cbranch_execz .LBB285_2603
; %bb.2598:                             ;   in Loop: Header=BB285_1581 Depth=1
	v_and_b32_e32 v17, 0x7f, v6
	v_mov_b32_e32 v9, 0x7c010000
	s_mov_b32 s16, exec_lo
	s_delay_alu instid0(VALU_DEP_2)
	v_cmpx_ne_u32_e32 0x7f, v17
	s_cbranch_execz .LBB285_2602
; %bb.2599:                             ;   in Loop: Header=BB285_1581 Depth=1
	v_dual_lshrrev_b32 v9, 3, v17 :: v_dual_bitop2_b32 v0, 7, v6 bitop3:0x40
	s_mov_b32 s17, exec_lo
	v_cmpx_gt_u32_e32 8, v17
; %bb.2600:                             ;   in Loop: Header=BB285_1581 Depth=1
	s_delay_alu instid0(VALU_DEP_2) | instskip(NEXT) | instid1(VALU_DEP_1)
	v_clz_i32_u32_e32 v0, v0
	v_min_u32_e32 v0, 32, v0
	s_delay_alu instid0(VALU_DEP_1) | instskip(NEXT) | instid1(VALU_DEP_1)
	v_subrev_nc_u32_e32 v9, 28, v0
	v_lshlrev_b64_e32 v[18:19], v9, v[6:7]
	s_delay_alu instid0(VALU_DEP_1)
	v_dual_sub_nc_u32 v9, 29, v0 :: v_dual_bitop2_b32 v0, 7, v18 bitop3:0x40
; %bb.2601:                             ;   in Loop: Header=BB285_1581 Depth=1
	s_or_b32 exec_lo, exec_lo, s17
	s_delay_alu instid0(VALU_DEP_1) | instskip(NEXT) | instid1(VALU_DEP_2)
	v_dual_lshlrev_b32 v6, 8, v6 :: v_dual_lshlrev_b32 v0, 23, v0
	v_lshl_add_u32 v9, v9, 10, 0x2000
	s_delay_alu instid0(VALU_DEP_1) | instskip(NEXT) | instid1(VALU_DEP_1)
	v_and_or_b32 v6, 0x8000, v6, v9
	v_lshl_or_b32 v9, v6, 16, v0
.LBB285_2602:                           ;   in Loop: Header=BB285_1581 Depth=1
	s_or_b32 exec_lo, exec_lo, s16
.LBB285_2603:                           ;   in Loop: Header=BB285_1581 Depth=1
	s_delay_alu instid0(SALU_CYCLE_1)
	s_or_b32 exec_lo, exec_lo, s15
.LBB285_2604:                           ;   in Loop: Header=BB285_1581 Depth=1
	s_delay_alu instid0(SALU_CYCLE_1) | instskip(SKIP_4) | instid1(VALU_DEP_3)
	s_or_b32 exec_lo, exec_lo, s14
	v_and_b32_e32 v0, 0xff, v65
	v_dual_mov_b32 v6, v65 :: v_dual_mov_b32 v18, 0
	v_mov_b32_e32 v17, 0
	s_mov_b32 s14, exec_lo
	v_cmpx_ne_u16_e32 0, v0
	s_cbranch_execz .LBB285_2612
; %bb.2605:                             ;   in Loop: Header=BB285_1581 Depth=1
	v_mov_b32_e32 v17, 0x8000
	s_mov_b32 s15, exec_lo
	v_cmpx_ne_u16_e32 0x80, v0
	s_cbranch_execz .LBB285_2611
; %bb.2606:                             ;   in Loop: Header=BB285_1581 Depth=1
	v_and_b32_e32 v19, 0x7f, v65
	v_mov_b32_e32 v17, 0x7c01
	s_mov_b32 s16, exec_lo
	s_delay_alu instid0(VALU_DEP_2)
	v_cmpx_ne_u32_e32 0x7f, v19
	s_cbranch_execz .LBB285_2610
; %bb.2607:                             ;   in Loop: Header=BB285_1581 Depth=1
	v_dual_lshrrev_b32 v17, 3, v19 :: v_dual_bitop2_b32 v0, 7, v65 bitop3:0x40
	s_mov_b32 s17, exec_lo
	v_cmpx_gt_u32_e32 8, v19
; %bb.2608:                             ;   in Loop: Header=BB285_1581 Depth=1
	s_delay_alu instid0(VALU_DEP_2) | instskip(NEXT) | instid1(VALU_DEP_1)
	v_clz_i32_u32_e32 v0, v0
	v_min_u32_e32 v0, 32, v0
	s_delay_alu instid0(VALU_DEP_1) | instskip(NEXT) | instid1(VALU_DEP_1)
	v_subrev_nc_u32_e32 v17, 28, v0
	v_lshlrev_b64_e32 v[22:23], v17, v[6:7]
	s_delay_alu instid0(VALU_DEP_1)
	v_dual_sub_nc_u32 v17, 29, v0 :: v_dual_bitop2_b32 v0, 7, v22 bitop3:0x40
; %bb.2609:                             ;   in Loop: Header=BB285_1581 Depth=1
	s_or_b32 exec_lo, exec_lo, s17
	s_delay_alu instid0(VALU_DEP_1) | instskip(NEXT) | instid1(VALU_DEP_2)
	v_dual_lshlrev_b32 v19, 8, v65 :: v_dual_lshlrev_b32 v0, 7, v0
	v_lshl_add_u32 v17, v17, 10, 0x2000
	s_delay_alu instid0(VALU_DEP_2) | instskip(NEXT) | instid1(VALU_DEP_2)
	v_and_b32_e32 v19, 0x8000, v19
	v_and_b32_e32 v17, 0xfc00, v17
	s_delay_alu instid0(VALU_DEP_1)
	v_or3_b32 v17, v19, v17, v0
.LBB285_2610:                           ;   in Loop: Header=BB285_1581 Depth=1
	s_or_b32 exec_lo, exec_lo, s16
.LBB285_2611:                           ;   in Loop: Header=BB285_1581 Depth=1
	s_delay_alu instid0(SALU_CYCLE_1)
	s_or_b32 exec_lo, exec_lo, s15
.LBB285_2612:                           ;   in Loop: Header=BB285_1581 Depth=1
	s_delay_alu instid0(SALU_CYCLE_1) | instskip(SKIP_3) | instid1(VALU_DEP_2)
	s_or_b32 exec_lo, exec_lo, s14
	v_lshrrev_b16 v6, 8, v6
	v_mov_b32_e32 v19, 0
	s_mov_b32 s14, exec_lo
	v_cmpx_ne_u16_e32 0, v6
	s_cbranch_execz .LBB285_2620
; %bb.2613:                             ;   in Loop: Header=BB285_1581 Depth=1
	v_bfrev_b32_e32 v19, 1
	s_mov_b32 s15, exec_lo
	v_cmpx_ne_u16_e32 0x80, v6
	s_cbranch_execz .LBB285_2619
; %bb.2614:                             ;   in Loop: Header=BB285_1581 Depth=1
	v_and_b32_e32 v0, 0xffff, v6
	v_mov_b32_e32 v19, 0x7c010000
	s_mov_b32 s16, exec_lo
	s_delay_alu instid0(VALU_DEP_2) | instskip(NEXT) | instid1(VALU_DEP_1)
	v_and_b32_e32 v23, 0x7f, v0
	v_cmpx_ne_u32_e32 0x7f, v23
	s_cbranch_execz .LBB285_2618
; %bb.2615:                             ;   in Loop: Header=BB285_1581 Depth=1
	v_dual_lshrrev_b32 v22, 3, v23 :: v_dual_bitop2_b32 v19, 7, v0 bitop3:0x40
	s_mov_b32 s17, exec_lo
	v_cmpx_gt_u32_e32 8, v23
; %bb.2616:                             ;   in Loop: Header=BB285_1581 Depth=1
	s_delay_alu instid0(VALU_DEP_2) | instskip(NEXT) | instid1(VALU_DEP_1)
	v_clz_i32_u32_e32 v19, v19
	v_min_u32_e32 v19, 32, v19
	s_delay_alu instid0(VALU_DEP_1) | instskip(NEXT) | instid1(VALU_DEP_1)
	v_subrev_nc_u32_e32 v22, 28, v19
	v_lshlrev_b64_e32 v[66:67], v22, v[6:7]
	s_delay_alu instid0(VALU_DEP_1)
	v_dual_sub_nc_u32 v22, 29, v19 :: v_dual_bitop2_b32 v19, 7, v66 bitop3:0x40
; %bb.2617:                             ;   in Loop: Header=BB285_1581 Depth=1
	s_or_b32 exec_lo, exec_lo, s17
	v_lshlrev_b32_e32 v0, 8, v0
	s_delay_alu instid0(VALU_DEP_2) | instskip(NEXT) | instid1(VALU_DEP_1)
	v_lshl_add_u32 v6, v22, 10, 0x2000
	v_and_or_b32 v0, 0x8000, v0, v6
	v_lshlrev_b32_e32 v6, 23, v19
	s_delay_alu instid0(VALU_DEP_1)
	v_lshl_or_b32 v19, v0, 16, v6
.LBB285_2618:                           ;   in Loop: Header=BB285_1581 Depth=1
	s_or_b32 exec_lo, exec_lo, s16
.LBB285_2619:                           ;   in Loop: Header=BB285_1581 Depth=1
	s_delay_alu instid0(SALU_CYCLE_1)
	s_or_b32 exec_lo, exec_lo, s15
.LBB285_2620:                           ;   in Loop: Header=BB285_1581 Depth=1
	s_delay_alu instid0(SALU_CYCLE_1) | instskip(SKIP_2) | instid1(VALU_DEP_1)
	s_or_b32 exec_lo, exec_lo, s14
	v_lshrrev_b32_e32 v0, 16, v65
	s_mov_b32 s14, exec_lo
	v_and_b32_e32 v6, 0xff, v0
	s_delay_alu instid0(VALU_DEP_1)
	v_cmpx_ne_u16_e32 0, v6
	s_cbranch_execz .LBB285_2628
; %bb.2621:                             ;   in Loop: Header=BB285_1581 Depth=1
	v_mov_b32_e32 v18, 0x8000
	s_mov_b32 s15, exec_lo
	v_cmpx_ne_u16_e32 0x80, v6
	s_cbranch_execz .LBB285_2627
; %bb.2622:                             ;   in Loop: Header=BB285_1581 Depth=1
	v_bfe_u32 v22, v65, 16, 7
	v_mov_b32_e32 v18, 0x7c01
	s_mov_b32 s16, exec_lo
	s_delay_alu instid0(VALU_DEP_2)
	v_cmpx_ne_u32_e32 0x7f, v22
	s_cbranch_execz .LBB285_2626
; %bb.2623:                             ;   in Loop: Header=BB285_1581 Depth=1
	v_dual_lshrrev_b32 v18, 3, v22 :: v_dual_bitop2_b32 v6, 7, v0 bitop3:0x40
	s_mov_b32 s17, exec_lo
	v_cmpx_gt_u32_e32 8, v22
; %bb.2624:                             ;   in Loop: Header=BB285_1581 Depth=1
	s_delay_alu instid0(VALU_DEP_2) | instskip(NEXT) | instid1(VALU_DEP_1)
	v_clz_i32_u32_e32 v6, v6
	v_min_u32_e32 v6, 32, v6
	s_delay_alu instid0(VALU_DEP_1) | instskip(NEXT) | instid1(VALU_DEP_1)
	v_subrev_nc_u32_e32 v18, 28, v6
	v_lshlrev_b64_e32 v[22:23], v18, v[0:1]
	v_sub_nc_u32_e32 v18, 29, v6
	s_delay_alu instid0(VALU_DEP_2)
	v_and_b32_e32 v6, 7, v22
; %bb.2625:                             ;   in Loop: Header=BB285_1581 Depth=1
	s_or_b32 exec_lo, exec_lo, s17
	s_delay_alu instid0(VALU_DEP_1) | instskip(NEXT) | instid1(VALU_DEP_3)
	v_dual_lshlrev_b32 v0, 8, v0 :: v_dual_lshlrev_b32 v6, 7, v6
	v_lshl_add_u32 v18, v18, 10, 0x2000
	s_delay_alu instid0(VALU_DEP_2) | instskip(NEXT) | instid1(VALU_DEP_2)
	v_and_b32_e32 v0, 0x8000, v0
	v_and_b32_e32 v18, 0xfc00, v18
	s_delay_alu instid0(VALU_DEP_1)
	v_or3_b32 v18, v0, v18, v6
.LBB285_2626:                           ;   in Loop: Header=BB285_1581 Depth=1
	s_or_b32 exec_lo, exec_lo, s16
.LBB285_2627:                           ;   in Loop: Header=BB285_1581 Depth=1
	s_delay_alu instid0(SALU_CYCLE_1)
	s_or_b32 exec_lo, exec_lo, s15
.LBB285_2628:                           ;   in Loop: Header=BB285_1581 Depth=1
	s_delay_alu instid0(SALU_CYCLE_1)
	s_or_b32 exec_lo, exec_lo, s14
	v_mov_b32_e32 v0, 0
	s_mov_b32 s14, exec_lo
	v_cmpx_lt_u64_e64 s[2:3], v[64:65]
	s_cbranch_execz .LBB285_2636
; %bb.2629:                             ;   in Loop: Header=BB285_1581 Depth=1
	v_lshrrev_b32_e32 v6, 24, v65
	v_bfrev_b32_e32 v0, 1
	s_mov_b32 s15, exec_lo
	s_delay_alu instid0(VALU_DEP_2)
	v_cmpx_ne_u32_e32 0x80, v6
	s_cbranch_execz .LBB285_2635
; %bb.2630:                             ;   in Loop: Header=BB285_1581 Depth=1
	v_and_b32_e32 v23, 0x7f, v6
	v_mov_b32_e32 v0, 0x7c010000
	s_mov_b32 s16, exec_lo
	s_delay_alu instid0(VALU_DEP_2)
	v_cmpx_ne_u32_e32 0x7f, v23
	s_cbranch_execz .LBB285_2634
; %bb.2631:                             ;   in Loop: Header=BB285_1581 Depth=1
	v_dual_lshrrev_b32 v22, 3, v23 :: v_dual_bitop2_b32 v0, 7, v6 bitop3:0x40
	s_mov_b32 s17, exec_lo
	v_cmpx_gt_u32_e32 8, v23
; %bb.2632:                             ;   in Loop: Header=BB285_1581 Depth=1
	s_delay_alu instid0(VALU_DEP_2) | instskip(NEXT) | instid1(VALU_DEP_1)
	v_clz_i32_u32_e32 v0, v0
	v_min_u32_e32 v0, 32, v0
	s_delay_alu instid0(VALU_DEP_1) | instskip(NEXT) | instid1(VALU_DEP_1)
	v_subrev_nc_u32_e32 v22, 28, v0
	v_lshlrev_b64_e32 v[64:65], v22, v[6:7]
	v_sub_nc_u32_e32 v22, 29, v0
	s_delay_alu instid0(VALU_DEP_2)
	v_and_b32_e32 v0, 7, v64
; %bb.2633:                             ;   in Loop: Header=BB285_1581 Depth=1
	s_or_b32 exec_lo, exec_lo, s17
	s_delay_alu instid0(VALU_DEP_1) | instskip(NEXT) | instid1(VALU_DEP_3)
	v_dual_lshlrev_b32 v6, 8, v6 :: v_dual_lshlrev_b32 v0, 23, v0
	v_lshl_add_u32 v22, v22, 10, 0x2000
	s_delay_alu instid0(VALU_DEP_1) | instskip(NEXT) | instid1(VALU_DEP_1)
	v_and_or_b32 v6, 0x8000, v6, v22
	v_lshl_or_b32 v0, v6, 16, v0
.LBB285_2634:                           ;   in Loop: Header=BB285_1581 Depth=1
	s_or_b32 exec_lo, exec_lo, s16
.LBB285_2635:                           ;   in Loop: Header=BB285_1581 Depth=1
	s_delay_alu instid0(SALU_CYCLE_1)
	s_or_b32 exec_lo, exec_lo, s15
.LBB285_2636:                           ;   in Loop: Header=BB285_1581 Depth=1
	s_delay_alu instid0(SALU_CYCLE_1) | instskip(SKIP_2) | instid1(VALU_DEP_2)
	s_or_b32 exec_lo, exec_lo, s14
	v_dual_lshrrev_b32 v6, 16, v1 :: v_dual_bitop2_b32 v1, v1, v8 bitop3:0x54
	v_dual_lshrrev_b32 v22, 16, v9 :: v_dual_bitop2_b32 v16, v9, v16 bitop3:0x54
	v_cvt_f32_f16_e32 v9, v6
	v_dual_lshrrev_b32 v18, 16, v19 :: v_dual_bitop2_b32 v6, v0, v18 bitop3:0x54
	s_delay_alu instid0(VALU_DEP_3)
	v_cvt_f32_f16_e32 v8, v22
	v_dual_lshrrev_b32 v22, 16, v0 :: v_dual_bitop2_b32 v19, v19, v17 bitop3:0x54
	v_cvt_f32_f16_e32 v0, v16
	v_cvt_f32_f16_e32 v1, v1
	s_wait_loadcnt_dscnt 0x0
	v_pk_mul_f32 v[8:9], v[54:55], v[8:9] op_sel_hi:[0,1]
	v_cvt_f32_f16_e32 v17, v18
	v_cvt_f32_f16_e32 v16, v22
	;; [unrolled: 1-line block ×4, first 2 shown]
	v_pk_mul_f32 v[0:1], v[54:55], v[0:1] op_sel_hi:[0,1]
	v_cvt_pk_f16_f32 v6, v8, v9
	v_pk_mul_f32 v[8:9], v[54:55], v[16:17] op_sel_hi:[0,1]
	s_delay_alu instid0(VALU_DEP_4) | instskip(NEXT) | instid1(VALU_DEP_4)
	v_pk_mul_f32 v[16:17], v[54:55], v[18:19] op_sel_hi:[0,1]
	v_cvt_pk_f16_f32 v0, v0, v1
	s_delay_alu instid0(VALU_DEP_4) | instskip(NEXT) | instid1(VALU_DEP_4)
	v_and_b32_e32 v19, 0xffff0000, v6
	v_cvt_pk_f16_f32 v8, v8, v9
	v_lshlrev_b32_e32 v54, 16, v6
	v_cvt_pk_f16_f32 v6, v16, v17
	v_lshrrev_b32_e32 v67, 16, v0
	v_and_b32_e32 v68, 0xffff, v0
	v_and_b32_e32 v1, 0xffff0000, v8
	s_delay_alu instid0(VALU_DEP_4) | instskip(SKIP_3) | instid1(VALU_DEP_4)
	v_dual_lshlrev_b32 v0, 16, v8 :: v_dual_lshrrev_b32 v9, 16, v6
	v_and_b32_e32 v6, 0xffff, v6
	v_or_b32_e32 v65, v19, v67
	v_or_b32_e32 v66, v54, v68
	;; [unrolled: 1-line block ×3, first 2 shown]
	s_delay_alu instid0(VALU_DEP_4)
	v_or_b32_e32 v64, v0, v6
	s_and_saveexec_b32 s14, vcc_lo
	s_cbranch_execz .LBB285_2638
; %bb.2637:                             ;   in Loop: Header=BB285_1581 Depth=1
	v_cmp_lt_i32_e64 s0, v84, v13
	s_delay_alu instid0(VALU_DEP_1) | instskip(SKIP_1) | instid1(VALU_DEP_1)
	v_cndmask_b32_e64 v8, 0, v67, s0
	v_cmp_lt_i32_e64 s0, v99, v12
	v_cndmask_b32_e64 v16, 0, v68, s0
	v_cmp_lt_i32_e64 s0, v98, v13
	s_delay_alu instid0(VALU_DEP_1) | instskip(SKIP_1) | instid1(VALU_DEP_1)
	v_cndmask_b32_e64 v17, 0, v19, s0
	v_cmp_lt_i32_e64 s0, v97, v12
	v_cndmask_b32_e64 v18, 0, v54, s0
	v_cmp_lt_i32_e64 s0, v96, v13
	s_delay_alu instid0(VALU_DEP_4) | instskip(NEXT) | instid1(VALU_DEP_2)
	v_or_b32_e32 v65, v8, v17
	v_dual_cndmask_b32 v9, 0, v9, s0 :: v_dual_bitop2_b32 v66, v16, v18 bitop3:0x54
	v_cmp_lt_i32_e64 s0, v87, v12
	s_delay_alu instid0(VALU_DEP_1) | instskip(SKIP_1) | instid1(VALU_DEP_1)
	v_cndmask_b32_e64 v6, 0, v6, s0
	v_cmp_lt_i32_e64 s0, v86, v13
	v_cndmask_b32_e64 v1, 0, v1, s0
	v_cmp_lt_i32_e64 s0, v85, v12
	s_delay_alu instid0(VALU_DEP_1) | instskip(NEXT) | instid1(VALU_DEP_1)
	v_dual_cndmask_b32 v0, 0, v0, s0 :: v_dual_bitop2_b32 v55, v9, v1 bitop3:0x54
	v_or_b32_e32 v64, v6, v0
.LBB285_2638:                           ;   in Loop: Header=BB285_1581 Depth=1
	s_or_b32 exec_lo, exec_lo, s14
	;;#ASMSTART
	v_pk_mul_f16 v0, v112, v65;

	;;#ASMEND
	;;#ASMSTART
	v_pk_mul_f16 v1, v102, v66;

	;;#ASMEND
	;; [unrolled: 4-line block ×4, first 2 shown]
	;;#ASMSTART
	v_pk_add_f16 v0, v0, v1;

	;;#ASMEND
	;;#ASMSTART
	v_pk_add_f16 v0, v0, v6;

	;;#ASMEND
	;; [unrolled: 4-line block ×3, first 2 shown]
	v_and_b32_e32 v1, 0xffff, v0
	v_lshrrev_b32_e32 v0, 16, v0
	;;#ASMSTART
	v_cvt_f32_f16 v78, v1;
	;;#ASMEND
	;;#ASMSTART
	v_cvt_f32_f16 v79, v0;
	;;#ASMEND
	flat_load_b64 v[64:65], v[28:29] offset:4096
	scratch_load_b64 v[0:1], off, s32 offset:192 ; 8-byte Folded Reload
	v_mov_b32_e32 v8, 0
	s_mov_b32 s14, exec_lo
	s_wait_loadcnt 0x0
	flat_load_b32 v54, v[0:1]
	s_wait_dscnt 0x1
	s_wait_xcnt 0x0
	v_and_b32_e32 v0, 0xff, v64
	v_mov_b32_e32 v1, 0
	s_delay_alu instid0(VALU_DEP_2)
	v_cmpx_ne_u16_e32 0, v0
	s_cbranch_execz .LBB285_2646
; %bb.2639:                             ;   in Loop: Header=BB285_1581 Depth=1
	v_mov_b32_e32 v8, 0x8000
	s_mov_b32 s15, exec_lo
	v_cmpx_ne_u16_e32 0x80, v0
	s_cbranch_execz .LBB285_2645
; %bb.2640:                             ;   in Loop: Header=BB285_1581 Depth=1
	v_and_b32_e32 v9, 0x7f, v64
	v_mov_b32_e32 v8, 0x7c01
	s_mov_b32 s16, exec_lo
	s_delay_alu instid0(VALU_DEP_2)
	v_cmpx_ne_u32_e32 0x7f, v9
	s_cbranch_execz .LBB285_2644
; %bb.2641:                             ;   in Loop: Header=BB285_1581 Depth=1
	v_dual_lshrrev_b32 v6, 3, v9 :: v_dual_bitop2_b32 v0, 7, v64 bitop3:0x40
	s_mov_b32 s17, exec_lo
	v_cmpx_gt_u32_e32 8, v9
; %bb.2642:                             ;   in Loop: Header=BB285_1581 Depth=1
	s_delay_alu instid0(VALU_DEP_2) | instskip(NEXT) | instid1(VALU_DEP_1)
	v_clz_i32_u32_e32 v0, v0
	v_min_u32_e32 v0, 32, v0
	s_delay_alu instid0(VALU_DEP_1) | instskip(NEXT) | instid1(VALU_DEP_1)
	v_subrev_nc_u32_e32 v6, 28, v0
	v_lshlrev_b64_e32 v[8:9], v6, v[64:65]
	v_sub_nc_u32_e32 v6, 29, v0
	s_delay_alu instid0(VALU_DEP_2)
	v_and_b32_e32 v0, 7, v8
; %bb.2643:                             ;   in Loop: Header=BB285_1581 Depth=1
	s_or_b32 exec_lo, exec_lo, s17
	v_lshlrev_b32_e32 v8, 8, v64
	s_delay_alu instid0(VALU_DEP_3) | instskip(NEXT) | instid1(VALU_DEP_3)
	v_lshl_add_u32 v6, v6, 10, 0x2000
	v_lshlrev_b32_e32 v0, 7, v0
	s_delay_alu instid0(VALU_DEP_3) | instskip(NEXT) | instid1(VALU_DEP_3)
	v_and_b32_e32 v8, 0x8000, v8
	v_and_b32_e32 v6, 0xfc00, v6
	s_delay_alu instid0(VALU_DEP_1)
	v_or3_b32 v8, v8, v6, v0
.LBB285_2644:                           ;   in Loop: Header=BB285_1581 Depth=1
	s_or_b32 exec_lo, exec_lo, s16
.LBB285_2645:                           ;   in Loop: Header=BB285_1581 Depth=1
	s_delay_alu instid0(SALU_CYCLE_1)
	s_or_b32 exec_lo, exec_lo, s15
.LBB285_2646:                           ;   in Loop: Header=BB285_1581 Depth=1
	s_delay_alu instid0(SALU_CYCLE_1) | instskip(SKIP_2) | instid1(VALU_DEP_1)
	s_or_b32 exec_lo, exec_lo, s14
	v_lshrrev_b16 v6, 8, v64
	s_mov_b32 s14, exec_lo
	v_cmpx_ne_u16_e32 0, v6
	s_cbranch_execz .LBB285_2654
; %bb.2647:                             ;   in Loop: Header=BB285_1581 Depth=1
	v_bfrev_b32_e32 v1, 1
	s_mov_b32 s15, exec_lo
	v_cmpx_ne_u16_e32 0x80, v6
	s_cbranch_execz .LBB285_2653
; %bb.2648:                             ;   in Loop: Header=BB285_1581 Depth=1
	v_and_b32_e32 v0, 0xffff, v6
	v_mov_b32_e32 v1, 0x7c010000
	s_mov_b32 s16, exec_lo
	s_delay_alu instid0(VALU_DEP_2) | instskip(NEXT) | instid1(VALU_DEP_1)
	v_and_b32_e32 v16, 0x7f, v0
	v_cmpx_ne_u32_e32 0x7f, v16
	s_cbranch_execz .LBB285_2652
; %bb.2649:                             ;   in Loop: Header=BB285_1581 Depth=1
	v_and_b32_e32 v1, 7, v0
	v_lshrrev_b32_e32 v9, 3, v16
	s_mov_b32 s17, exec_lo
	v_cmpx_gt_u32_e32 8, v16
; %bb.2650:                             ;   in Loop: Header=BB285_1581 Depth=1
	s_delay_alu instid0(VALU_DEP_3) | instskip(NEXT) | instid1(VALU_DEP_1)
	v_clz_i32_u32_e32 v1, v1
	v_min_u32_e32 v1, 32, v1
	s_delay_alu instid0(VALU_DEP_1) | instskip(NEXT) | instid1(VALU_DEP_1)
	v_subrev_nc_u32_e32 v9, 28, v1
	v_lshlrev_b64_e32 v[16:17], v9, v[6:7]
	s_delay_alu instid0(VALU_DEP_1)
	v_dual_sub_nc_u32 v9, 29, v1 :: v_dual_bitop2_b32 v1, 7, v16 bitop3:0x40
; %bb.2651:                             ;   in Loop: Header=BB285_1581 Depth=1
	s_or_b32 exec_lo, exec_lo, s17
	s_delay_alu instid0(VALU_DEP_1) | instskip(NEXT) | instid1(VALU_DEP_2)
	v_dual_lshlrev_b32 v0, 8, v0 :: v_dual_lshlrev_b32 v1, 23, v1
	v_lshl_add_u32 v6, v9, 10, 0x2000
	s_delay_alu instid0(VALU_DEP_1) | instskip(NEXT) | instid1(VALU_DEP_1)
	v_and_or_b32 v0, 0x8000, v0, v6
	v_lshl_or_b32 v1, v0, 16, v1
.LBB285_2652:                           ;   in Loop: Header=BB285_1581 Depth=1
	s_or_b32 exec_lo, exec_lo, s16
.LBB285_2653:                           ;   in Loop: Header=BB285_1581 Depth=1
	s_delay_alu instid0(SALU_CYCLE_1)
	s_or_b32 exec_lo, exec_lo, s15
.LBB285_2654:                           ;   in Loop: Header=BB285_1581 Depth=1
	s_delay_alu instid0(SALU_CYCLE_1) | instskip(SKIP_3) | instid1(VALU_DEP_2)
	s_or_b32 exec_lo, exec_lo, s14
	v_dual_mov_b32 v9, 0 :: v_dual_lshrrev_b32 v0, 16, v64
	v_mov_b32_e32 v16, 0
	s_mov_b32 s14, exec_lo
	v_and_b32_e32 v6, 0xff, v0
	s_delay_alu instid0(VALU_DEP_1)
	v_cmpx_ne_u16_e32 0, v6
	s_cbranch_execz .LBB285_2662
; %bb.2655:                             ;   in Loop: Header=BB285_1581 Depth=1
	v_mov_b32_e32 v16, 0x8000
	s_mov_b32 s15, exec_lo
	v_cmpx_ne_u16_e32 0x80, v6
	s_cbranch_execz .LBB285_2661
; %bb.2656:                             ;   in Loop: Header=BB285_1581 Depth=1
	v_bfe_u32 v17, v64, 16, 7
	v_mov_b32_e32 v16, 0x7c01
	s_mov_b32 s16, exec_lo
	s_delay_alu instid0(VALU_DEP_2)
	v_cmpx_ne_u32_e32 0x7f, v17
	s_cbranch_execz .LBB285_2660
; %bb.2657:                             ;   in Loop: Header=BB285_1581 Depth=1
	v_dual_lshrrev_b32 v16, 3, v17 :: v_dual_bitop2_b32 v6, 7, v0 bitop3:0x40
	s_mov_b32 s17, exec_lo
	v_cmpx_gt_u32_e32 8, v17
; %bb.2658:                             ;   in Loop: Header=BB285_1581 Depth=1
	s_delay_alu instid0(VALU_DEP_2) | instskip(NEXT) | instid1(VALU_DEP_1)
	v_clz_i32_u32_e32 v6, v6
	v_min_u32_e32 v6, 32, v6
	s_delay_alu instid0(VALU_DEP_1) | instskip(NEXT) | instid1(VALU_DEP_1)
	v_subrev_nc_u32_e32 v16, 28, v6
	v_lshlrev_b64_e32 v[18:19], v16, v[0:1]
	v_sub_nc_u32_e32 v16, 29, v6
	s_delay_alu instid0(VALU_DEP_2)
	v_and_b32_e32 v6, 7, v18
; %bb.2659:                             ;   in Loop: Header=BB285_1581 Depth=1
	s_or_b32 exec_lo, exec_lo, s17
	s_delay_alu instid0(VALU_DEP_1) | instskip(NEXT) | instid1(VALU_DEP_3)
	v_dual_lshlrev_b32 v0, 8, v0 :: v_dual_lshlrev_b32 v6, 7, v6
	v_lshl_add_u32 v16, v16, 10, 0x2000
	s_delay_alu instid0(VALU_DEP_2) | instskip(NEXT) | instid1(VALU_DEP_2)
	v_and_b32_e32 v0, 0x8000, v0
	v_and_b32_e32 v16, 0xfc00, v16
	s_delay_alu instid0(VALU_DEP_1)
	v_or3_b32 v16, v0, v16, v6
.LBB285_2660:                           ;   in Loop: Header=BB285_1581 Depth=1
	s_or_b32 exec_lo, exec_lo, s16
.LBB285_2661:                           ;   in Loop: Header=BB285_1581 Depth=1
	s_delay_alu instid0(SALU_CYCLE_1)
	s_or_b32 exec_lo, exec_lo, s15
.LBB285_2662:                           ;   in Loop: Header=BB285_1581 Depth=1
	s_delay_alu instid0(SALU_CYCLE_1) | instskip(NEXT) | instid1(SALU_CYCLE_1)
	s_or_b32 exec_lo, exec_lo, s14
	s_mov_b32 s14, exec_lo
	v_cmpx_lt_u32_e32 0xffffff, v64
	s_cbranch_execz .LBB285_2670
; %bb.2663:                             ;   in Loop: Header=BB285_1581 Depth=1
	v_lshrrev_b32_e32 v6, 24, v64
	v_bfrev_b32_e32 v9, 1
	s_mov_b32 s15, exec_lo
	s_delay_alu instid0(VALU_DEP_2)
	v_cmpx_ne_u32_e32 0x80, v6
	s_cbranch_execz .LBB285_2669
; %bb.2664:                             ;   in Loop: Header=BB285_1581 Depth=1
	v_and_b32_e32 v17, 0x7f, v6
	v_mov_b32_e32 v9, 0x7c010000
	s_mov_b32 s16, exec_lo
	s_delay_alu instid0(VALU_DEP_2)
	v_cmpx_ne_u32_e32 0x7f, v17
	s_cbranch_execz .LBB285_2668
; %bb.2665:                             ;   in Loop: Header=BB285_1581 Depth=1
	v_dual_lshrrev_b32 v9, 3, v17 :: v_dual_bitop2_b32 v0, 7, v6 bitop3:0x40
	s_mov_b32 s17, exec_lo
	v_cmpx_gt_u32_e32 8, v17
; %bb.2666:                             ;   in Loop: Header=BB285_1581 Depth=1
	s_delay_alu instid0(VALU_DEP_2) | instskip(NEXT) | instid1(VALU_DEP_1)
	v_clz_i32_u32_e32 v0, v0
	v_min_u32_e32 v0, 32, v0
	s_delay_alu instid0(VALU_DEP_1) | instskip(NEXT) | instid1(VALU_DEP_1)
	v_subrev_nc_u32_e32 v9, 28, v0
	v_lshlrev_b64_e32 v[18:19], v9, v[6:7]
	s_delay_alu instid0(VALU_DEP_1)
	v_dual_sub_nc_u32 v9, 29, v0 :: v_dual_bitop2_b32 v0, 7, v18 bitop3:0x40
; %bb.2667:                             ;   in Loop: Header=BB285_1581 Depth=1
	s_or_b32 exec_lo, exec_lo, s17
	s_delay_alu instid0(VALU_DEP_1) | instskip(NEXT) | instid1(VALU_DEP_2)
	v_dual_lshlrev_b32 v6, 8, v6 :: v_dual_lshlrev_b32 v0, 23, v0
	v_lshl_add_u32 v9, v9, 10, 0x2000
	s_delay_alu instid0(VALU_DEP_1) | instskip(NEXT) | instid1(VALU_DEP_1)
	v_and_or_b32 v6, 0x8000, v6, v9
	v_lshl_or_b32 v9, v6, 16, v0
.LBB285_2668:                           ;   in Loop: Header=BB285_1581 Depth=1
	s_or_b32 exec_lo, exec_lo, s16
.LBB285_2669:                           ;   in Loop: Header=BB285_1581 Depth=1
	s_delay_alu instid0(SALU_CYCLE_1)
	s_or_b32 exec_lo, exec_lo, s15
.LBB285_2670:                           ;   in Loop: Header=BB285_1581 Depth=1
	s_delay_alu instid0(SALU_CYCLE_1) | instskip(SKIP_4) | instid1(VALU_DEP_3)
	s_or_b32 exec_lo, exec_lo, s14
	v_and_b32_e32 v0, 0xff, v65
	v_dual_mov_b32 v6, v65 :: v_dual_mov_b32 v18, 0
	v_mov_b32_e32 v17, 0
	s_mov_b32 s14, exec_lo
	v_cmpx_ne_u16_e32 0, v0
	s_cbranch_execz .LBB285_2678
; %bb.2671:                             ;   in Loop: Header=BB285_1581 Depth=1
	v_mov_b32_e32 v17, 0x8000
	s_mov_b32 s15, exec_lo
	v_cmpx_ne_u16_e32 0x80, v0
	s_cbranch_execz .LBB285_2677
; %bb.2672:                             ;   in Loop: Header=BB285_1581 Depth=1
	v_and_b32_e32 v19, 0x7f, v65
	v_mov_b32_e32 v17, 0x7c01
	s_mov_b32 s16, exec_lo
	s_delay_alu instid0(VALU_DEP_2)
	v_cmpx_ne_u32_e32 0x7f, v19
	s_cbranch_execz .LBB285_2676
; %bb.2673:                             ;   in Loop: Header=BB285_1581 Depth=1
	v_dual_lshrrev_b32 v17, 3, v19 :: v_dual_bitop2_b32 v0, 7, v65 bitop3:0x40
	s_mov_b32 s17, exec_lo
	v_cmpx_gt_u32_e32 8, v19
; %bb.2674:                             ;   in Loop: Header=BB285_1581 Depth=1
	s_delay_alu instid0(VALU_DEP_2) | instskip(NEXT) | instid1(VALU_DEP_1)
	v_clz_i32_u32_e32 v0, v0
	v_min_u32_e32 v0, 32, v0
	s_delay_alu instid0(VALU_DEP_1) | instskip(NEXT) | instid1(VALU_DEP_1)
	v_subrev_nc_u32_e32 v17, 28, v0
	v_lshlrev_b64_e32 v[22:23], v17, v[6:7]
	s_delay_alu instid0(VALU_DEP_1)
	v_dual_sub_nc_u32 v17, 29, v0 :: v_dual_bitop2_b32 v0, 7, v22 bitop3:0x40
; %bb.2675:                             ;   in Loop: Header=BB285_1581 Depth=1
	s_or_b32 exec_lo, exec_lo, s17
	s_delay_alu instid0(VALU_DEP_1) | instskip(NEXT) | instid1(VALU_DEP_2)
	v_dual_lshlrev_b32 v19, 8, v65 :: v_dual_lshlrev_b32 v0, 7, v0
	v_lshl_add_u32 v17, v17, 10, 0x2000
	s_delay_alu instid0(VALU_DEP_2) | instskip(NEXT) | instid1(VALU_DEP_2)
	v_and_b32_e32 v19, 0x8000, v19
	v_and_b32_e32 v17, 0xfc00, v17
	s_delay_alu instid0(VALU_DEP_1)
	v_or3_b32 v17, v19, v17, v0
.LBB285_2676:                           ;   in Loop: Header=BB285_1581 Depth=1
	s_or_b32 exec_lo, exec_lo, s16
.LBB285_2677:                           ;   in Loop: Header=BB285_1581 Depth=1
	s_delay_alu instid0(SALU_CYCLE_1)
	s_or_b32 exec_lo, exec_lo, s15
.LBB285_2678:                           ;   in Loop: Header=BB285_1581 Depth=1
	s_delay_alu instid0(SALU_CYCLE_1) | instskip(SKIP_3) | instid1(VALU_DEP_2)
	s_or_b32 exec_lo, exec_lo, s14
	v_lshrrev_b16 v6, 8, v6
	v_mov_b32_e32 v19, 0
	s_mov_b32 s14, exec_lo
	v_cmpx_ne_u16_e32 0, v6
	s_cbranch_execz .LBB285_2686
; %bb.2679:                             ;   in Loop: Header=BB285_1581 Depth=1
	v_bfrev_b32_e32 v19, 1
	s_mov_b32 s15, exec_lo
	v_cmpx_ne_u16_e32 0x80, v6
	s_cbranch_execz .LBB285_2685
; %bb.2680:                             ;   in Loop: Header=BB285_1581 Depth=1
	v_and_b32_e32 v0, 0xffff, v6
	v_mov_b32_e32 v19, 0x7c010000
	s_mov_b32 s16, exec_lo
	s_delay_alu instid0(VALU_DEP_2) | instskip(NEXT) | instid1(VALU_DEP_1)
	v_and_b32_e32 v23, 0x7f, v0
	v_cmpx_ne_u32_e32 0x7f, v23
	s_cbranch_execz .LBB285_2684
; %bb.2681:                             ;   in Loop: Header=BB285_1581 Depth=1
	v_dual_lshrrev_b32 v22, 3, v23 :: v_dual_bitop2_b32 v19, 7, v0 bitop3:0x40
	s_mov_b32 s17, exec_lo
	v_cmpx_gt_u32_e32 8, v23
; %bb.2682:                             ;   in Loop: Header=BB285_1581 Depth=1
	s_delay_alu instid0(VALU_DEP_2) | instskip(NEXT) | instid1(VALU_DEP_1)
	v_clz_i32_u32_e32 v19, v19
	v_min_u32_e32 v19, 32, v19
	s_delay_alu instid0(VALU_DEP_1) | instskip(NEXT) | instid1(VALU_DEP_1)
	v_subrev_nc_u32_e32 v22, 28, v19
	v_lshlrev_b64_e32 v[66:67], v22, v[6:7]
	s_delay_alu instid0(VALU_DEP_1)
	v_dual_sub_nc_u32 v22, 29, v19 :: v_dual_bitop2_b32 v19, 7, v66 bitop3:0x40
; %bb.2683:                             ;   in Loop: Header=BB285_1581 Depth=1
	s_or_b32 exec_lo, exec_lo, s17
	v_lshlrev_b32_e32 v0, 8, v0
	s_delay_alu instid0(VALU_DEP_2) | instskip(NEXT) | instid1(VALU_DEP_1)
	v_lshl_add_u32 v6, v22, 10, 0x2000
	v_and_or_b32 v0, 0x8000, v0, v6
	v_lshlrev_b32_e32 v6, 23, v19
	s_delay_alu instid0(VALU_DEP_1)
	v_lshl_or_b32 v19, v0, 16, v6
.LBB285_2684:                           ;   in Loop: Header=BB285_1581 Depth=1
	s_or_b32 exec_lo, exec_lo, s16
.LBB285_2685:                           ;   in Loop: Header=BB285_1581 Depth=1
	s_delay_alu instid0(SALU_CYCLE_1)
	s_or_b32 exec_lo, exec_lo, s15
.LBB285_2686:                           ;   in Loop: Header=BB285_1581 Depth=1
	s_delay_alu instid0(SALU_CYCLE_1) | instskip(SKIP_2) | instid1(VALU_DEP_1)
	s_or_b32 exec_lo, exec_lo, s14
	v_lshrrev_b32_e32 v0, 16, v65
	s_mov_b32 s14, exec_lo
	v_and_b32_e32 v6, 0xff, v0
	s_delay_alu instid0(VALU_DEP_1)
	v_cmpx_ne_u16_e32 0, v6
	s_cbranch_execz .LBB285_2694
; %bb.2687:                             ;   in Loop: Header=BB285_1581 Depth=1
	v_mov_b32_e32 v18, 0x8000
	s_mov_b32 s15, exec_lo
	v_cmpx_ne_u16_e32 0x80, v6
	s_cbranch_execz .LBB285_2693
; %bb.2688:                             ;   in Loop: Header=BB285_1581 Depth=1
	v_bfe_u32 v22, v65, 16, 7
	v_mov_b32_e32 v18, 0x7c01
	s_mov_b32 s16, exec_lo
	s_delay_alu instid0(VALU_DEP_2)
	v_cmpx_ne_u32_e32 0x7f, v22
	s_cbranch_execz .LBB285_2692
; %bb.2689:                             ;   in Loop: Header=BB285_1581 Depth=1
	v_dual_lshrrev_b32 v18, 3, v22 :: v_dual_bitop2_b32 v6, 7, v0 bitop3:0x40
	s_mov_b32 s17, exec_lo
	v_cmpx_gt_u32_e32 8, v22
; %bb.2690:                             ;   in Loop: Header=BB285_1581 Depth=1
	s_delay_alu instid0(VALU_DEP_2) | instskip(NEXT) | instid1(VALU_DEP_1)
	v_clz_i32_u32_e32 v6, v6
	v_min_u32_e32 v6, 32, v6
	s_delay_alu instid0(VALU_DEP_1) | instskip(NEXT) | instid1(VALU_DEP_1)
	v_subrev_nc_u32_e32 v18, 28, v6
	v_lshlrev_b64_e32 v[22:23], v18, v[0:1]
	v_sub_nc_u32_e32 v18, 29, v6
	s_delay_alu instid0(VALU_DEP_2)
	v_and_b32_e32 v6, 7, v22
; %bb.2691:                             ;   in Loop: Header=BB285_1581 Depth=1
	s_or_b32 exec_lo, exec_lo, s17
	s_delay_alu instid0(VALU_DEP_1) | instskip(NEXT) | instid1(VALU_DEP_3)
	v_dual_lshlrev_b32 v0, 8, v0 :: v_dual_lshlrev_b32 v6, 7, v6
	v_lshl_add_u32 v18, v18, 10, 0x2000
	s_delay_alu instid0(VALU_DEP_2) | instskip(NEXT) | instid1(VALU_DEP_2)
	v_and_b32_e32 v0, 0x8000, v0
	v_and_b32_e32 v18, 0xfc00, v18
	s_delay_alu instid0(VALU_DEP_1)
	v_or3_b32 v18, v0, v18, v6
.LBB285_2692:                           ;   in Loop: Header=BB285_1581 Depth=1
	s_or_b32 exec_lo, exec_lo, s16
.LBB285_2693:                           ;   in Loop: Header=BB285_1581 Depth=1
	s_delay_alu instid0(SALU_CYCLE_1)
	s_or_b32 exec_lo, exec_lo, s15
.LBB285_2694:                           ;   in Loop: Header=BB285_1581 Depth=1
	s_delay_alu instid0(SALU_CYCLE_1)
	s_or_b32 exec_lo, exec_lo, s14
	v_mov_b32_e32 v0, 0
	s_mov_b32 s14, exec_lo
	v_cmpx_lt_u64_e64 s[2:3], v[64:65]
	s_cbranch_execz .LBB285_2702
; %bb.2695:                             ;   in Loop: Header=BB285_1581 Depth=1
	v_lshrrev_b32_e32 v6, 24, v65
	v_bfrev_b32_e32 v0, 1
	s_mov_b32 s15, exec_lo
	s_delay_alu instid0(VALU_DEP_2)
	v_cmpx_ne_u32_e32 0x80, v6
	s_cbranch_execz .LBB285_2701
; %bb.2696:                             ;   in Loop: Header=BB285_1581 Depth=1
	v_and_b32_e32 v23, 0x7f, v6
	v_mov_b32_e32 v0, 0x7c010000
	s_mov_b32 s16, exec_lo
	s_delay_alu instid0(VALU_DEP_2)
	v_cmpx_ne_u32_e32 0x7f, v23
	s_cbranch_execz .LBB285_2700
; %bb.2697:                             ;   in Loop: Header=BB285_1581 Depth=1
	v_dual_lshrrev_b32 v22, 3, v23 :: v_dual_bitop2_b32 v0, 7, v6 bitop3:0x40
	s_mov_b32 s17, exec_lo
	v_cmpx_gt_u32_e32 8, v23
; %bb.2698:                             ;   in Loop: Header=BB285_1581 Depth=1
	s_delay_alu instid0(VALU_DEP_2) | instskip(NEXT) | instid1(VALU_DEP_1)
	v_clz_i32_u32_e32 v0, v0
	v_min_u32_e32 v0, 32, v0
	s_delay_alu instid0(VALU_DEP_1) | instskip(NEXT) | instid1(VALU_DEP_1)
	v_subrev_nc_u32_e32 v22, 28, v0
	v_lshlrev_b64_e32 v[64:65], v22, v[6:7]
	v_sub_nc_u32_e32 v22, 29, v0
	s_delay_alu instid0(VALU_DEP_2)
	v_and_b32_e32 v0, 7, v64
; %bb.2699:                             ;   in Loop: Header=BB285_1581 Depth=1
	s_or_b32 exec_lo, exec_lo, s17
	s_delay_alu instid0(VALU_DEP_1) | instskip(NEXT) | instid1(VALU_DEP_3)
	v_dual_lshlrev_b32 v6, 8, v6 :: v_dual_lshlrev_b32 v0, 23, v0
	v_lshl_add_u32 v22, v22, 10, 0x2000
	s_delay_alu instid0(VALU_DEP_1) | instskip(NEXT) | instid1(VALU_DEP_1)
	v_and_or_b32 v6, 0x8000, v6, v22
	v_lshl_or_b32 v0, v6, 16, v0
.LBB285_2700:                           ;   in Loop: Header=BB285_1581 Depth=1
	s_or_b32 exec_lo, exec_lo, s16
.LBB285_2701:                           ;   in Loop: Header=BB285_1581 Depth=1
	s_delay_alu instid0(SALU_CYCLE_1)
	s_or_b32 exec_lo, exec_lo, s15
.LBB285_2702:                           ;   in Loop: Header=BB285_1581 Depth=1
	s_delay_alu instid0(SALU_CYCLE_1) | instskip(SKIP_2) | instid1(VALU_DEP_2)
	s_or_b32 exec_lo, exec_lo, s14
	v_dual_lshrrev_b32 v6, 16, v1 :: v_dual_bitop2_b32 v1, v1, v8 bitop3:0x54
	v_dual_lshrrev_b32 v22, 16, v9 :: v_dual_bitop2_b32 v16, v9, v16 bitop3:0x54
	v_cvt_f32_f16_e32 v9, v6
	v_dual_lshrrev_b32 v18, 16, v19 :: v_dual_bitop2_b32 v6, v0, v18 bitop3:0x54
	s_delay_alu instid0(VALU_DEP_3)
	v_cvt_f32_f16_e32 v8, v22
	v_dual_lshrrev_b32 v22, 16, v0 :: v_dual_bitop2_b32 v19, v19, v17 bitop3:0x54
	v_cvt_f32_f16_e32 v0, v16
	v_cvt_f32_f16_e32 v1, v1
	s_wait_loadcnt_dscnt 0x0
	v_pk_mul_f32 v[8:9], v[54:55], v[8:9] op_sel_hi:[0,1]
	v_cvt_f32_f16_e32 v17, v18
	v_cvt_f32_f16_e32 v16, v22
	;; [unrolled: 1-line block ×4, first 2 shown]
	v_pk_mul_f32 v[0:1], v[54:55], v[0:1] op_sel_hi:[0,1]
	v_cvt_pk_f16_f32 v6, v8, v9
	v_pk_mul_f32 v[8:9], v[54:55], v[16:17] op_sel_hi:[0,1]
	s_delay_alu instid0(VALU_DEP_4) | instskip(NEXT) | instid1(VALU_DEP_4)
	v_pk_mul_f32 v[16:17], v[54:55], v[18:19] op_sel_hi:[0,1]
	v_cvt_pk_f16_f32 v0, v0, v1
	s_delay_alu instid0(VALU_DEP_4) | instskip(NEXT) | instid1(VALU_DEP_4)
	v_and_b32_e32 v19, 0xffff0000, v6
	v_cvt_pk_f16_f32 v8, v8, v9
	v_lshlrev_b32_e32 v54, 16, v6
	v_cvt_pk_f16_f32 v6, v16, v17
	v_lshrrev_b32_e32 v67, 16, v0
	v_and_b32_e32 v68, 0xffff, v0
	v_and_b32_e32 v1, 0xffff0000, v8
	s_delay_alu instid0(VALU_DEP_4) | instskip(SKIP_3) | instid1(VALU_DEP_4)
	v_dual_lshlrev_b32 v0, 16, v8 :: v_dual_lshrrev_b32 v9, 16, v6
	v_and_b32_e32 v6, 0xffff, v6
	v_or_b32_e32 v65, v19, v67
	v_or_b32_e32 v66, v54, v68
	;; [unrolled: 1-line block ×3, first 2 shown]
	s_delay_alu instid0(VALU_DEP_4)
	v_or_b32_e32 v64, v0, v6
	s_and_saveexec_b32 s14, vcc_lo
	s_cbranch_execz .LBB285_2704
; %bb.2703:                             ;   in Loop: Header=BB285_1581 Depth=1
	v_cmp_lt_i32_e64 s0, v84, v13
	s_delay_alu instid0(VALU_DEP_1) | instskip(SKIP_1) | instid1(VALU_DEP_1)
	v_cndmask_b32_e64 v8, 0, v67, s0
	v_cmp_lt_i32_e64 s0, v99, v12
	v_cndmask_b32_e64 v16, 0, v68, s0
	v_cmp_lt_i32_e64 s0, v98, v13
	s_delay_alu instid0(VALU_DEP_1) | instskip(SKIP_1) | instid1(VALU_DEP_1)
	v_cndmask_b32_e64 v17, 0, v19, s0
	v_cmp_lt_i32_e64 s0, v97, v12
	v_cndmask_b32_e64 v18, 0, v54, s0
	v_cmp_lt_i32_e64 s0, v96, v13
	s_delay_alu instid0(VALU_DEP_4) | instskip(NEXT) | instid1(VALU_DEP_2)
	v_or_b32_e32 v65, v8, v17
	v_dual_cndmask_b32 v9, 0, v9, s0 :: v_dual_bitop2_b32 v66, v16, v18 bitop3:0x54
	v_cmp_lt_i32_e64 s0, v87, v12
	s_delay_alu instid0(VALU_DEP_1) | instskip(SKIP_1) | instid1(VALU_DEP_1)
	v_cndmask_b32_e64 v6, 0, v6, s0
	v_cmp_lt_i32_e64 s0, v86, v13
	v_cndmask_b32_e64 v1, 0, v1, s0
	v_cmp_lt_i32_e64 s0, v85, v12
	s_delay_alu instid0(VALU_DEP_1) | instskip(NEXT) | instid1(VALU_DEP_1)
	v_dual_cndmask_b32 v0, 0, v0, s0 :: v_dual_bitop2_b32 v55, v9, v1 bitop3:0x54
	v_or_b32_e32 v64, v6, v0
.LBB285_2704:                           ;   in Loop: Header=BB285_1581 Depth=1
	s_or_b32 exec_lo, exec_lo, s14
	;;#ASMSTART
	v_pk_mul_f16 v0, v112, v65;

	;;#ASMEND
	;;#ASMSTART
	v_pk_mul_f16 v1, v102, v66;

	;;#ASMEND
	;; [unrolled: 4-line block ×4, first 2 shown]
	;;#ASMSTART
	v_pk_add_f16 v0, v0, v1;

	;;#ASMEND
	;;#ASMSTART
	v_pk_add_f16 v0, v0, v6;

	;;#ASMEND
	;; [unrolled: 4-line block ×3, first 2 shown]
	v_and_b32_e32 v1, 0xffff, v0
	v_lshrrev_b32_e32 v0, 16, v0
	;;#ASMSTART
	v_cvt_f32_f16 v88, v1;
	;;#ASMEND
	;;#ASMSTART
	v_cvt_f32_f16 v89, v0;
	;;#ASMEND
	flat_load_b64 v[64:65], v[28:29] offset:4352
	scratch_load_b64 v[0:1], off, s32 offset:192 ; 8-byte Folded Reload
	v_mov_b32_e32 v8, 0
	s_mov_b32 s14, exec_lo
	s_wait_loadcnt 0x0
	flat_load_b32 v54, v[0:1]
	s_wait_dscnt 0x1
	s_wait_xcnt 0x0
	v_and_b32_e32 v0, 0xff, v64
	v_mov_b32_e32 v1, 0
	s_delay_alu instid0(VALU_DEP_2)
	v_cmpx_ne_u16_e32 0, v0
	s_cbranch_execz .LBB285_2712
; %bb.2705:                             ;   in Loop: Header=BB285_1581 Depth=1
	v_mov_b32_e32 v8, 0x8000
	s_mov_b32 s15, exec_lo
	v_cmpx_ne_u16_e32 0x80, v0
	s_cbranch_execz .LBB285_2711
; %bb.2706:                             ;   in Loop: Header=BB285_1581 Depth=1
	v_and_b32_e32 v9, 0x7f, v64
	v_mov_b32_e32 v8, 0x7c01
	s_mov_b32 s16, exec_lo
	s_delay_alu instid0(VALU_DEP_2)
	v_cmpx_ne_u32_e32 0x7f, v9
	s_cbranch_execz .LBB285_2710
; %bb.2707:                             ;   in Loop: Header=BB285_1581 Depth=1
	v_dual_lshrrev_b32 v6, 3, v9 :: v_dual_bitop2_b32 v0, 7, v64 bitop3:0x40
	s_mov_b32 s17, exec_lo
	v_cmpx_gt_u32_e32 8, v9
; %bb.2708:                             ;   in Loop: Header=BB285_1581 Depth=1
	s_delay_alu instid0(VALU_DEP_2) | instskip(NEXT) | instid1(VALU_DEP_1)
	v_clz_i32_u32_e32 v0, v0
	v_min_u32_e32 v0, 32, v0
	s_delay_alu instid0(VALU_DEP_1) | instskip(NEXT) | instid1(VALU_DEP_1)
	v_subrev_nc_u32_e32 v6, 28, v0
	v_lshlrev_b64_e32 v[8:9], v6, v[64:65]
	v_sub_nc_u32_e32 v6, 29, v0
	s_delay_alu instid0(VALU_DEP_2)
	v_and_b32_e32 v0, 7, v8
; %bb.2709:                             ;   in Loop: Header=BB285_1581 Depth=1
	s_or_b32 exec_lo, exec_lo, s17
	v_lshlrev_b32_e32 v8, 8, v64
	s_delay_alu instid0(VALU_DEP_3) | instskip(NEXT) | instid1(VALU_DEP_3)
	v_lshl_add_u32 v6, v6, 10, 0x2000
	v_lshlrev_b32_e32 v0, 7, v0
	s_delay_alu instid0(VALU_DEP_3) | instskip(NEXT) | instid1(VALU_DEP_3)
	v_and_b32_e32 v8, 0x8000, v8
	v_and_b32_e32 v6, 0xfc00, v6
	s_delay_alu instid0(VALU_DEP_1)
	v_or3_b32 v8, v8, v6, v0
.LBB285_2710:                           ;   in Loop: Header=BB285_1581 Depth=1
	s_or_b32 exec_lo, exec_lo, s16
.LBB285_2711:                           ;   in Loop: Header=BB285_1581 Depth=1
	s_delay_alu instid0(SALU_CYCLE_1)
	s_or_b32 exec_lo, exec_lo, s15
.LBB285_2712:                           ;   in Loop: Header=BB285_1581 Depth=1
	s_delay_alu instid0(SALU_CYCLE_1) | instskip(SKIP_2) | instid1(VALU_DEP_1)
	s_or_b32 exec_lo, exec_lo, s14
	v_lshrrev_b16 v6, 8, v64
	s_mov_b32 s14, exec_lo
	v_cmpx_ne_u16_e32 0, v6
	s_cbranch_execz .LBB285_2720
; %bb.2713:                             ;   in Loop: Header=BB285_1581 Depth=1
	v_bfrev_b32_e32 v1, 1
	s_mov_b32 s15, exec_lo
	v_cmpx_ne_u16_e32 0x80, v6
	s_cbranch_execz .LBB285_2719
; %bb.2714:                             ;   in Loop: Header=BB285_1581 Depth=1
	v_and_b32_e32 v0, 0xffff, v6
	v_mov_b32_e32 v1, 0x7c010000
	s_mov_b32 s16, exec_lo
	s_delay_alu instid0(VALU_DEP_2) | instskip(NEXT) | instid1(VALU_DEP_1)
	v_and_b32_e32 v16, 0x7f, v0
	v_cmpx_ne_u32_e32 0x7f, v16
	s_cbranch_execz .LBB285_2718
; %bb.2715:                             ;   in Loop: Header=BB285_1581 Depth=1
	v_and_b32_e32 v1, 7, v0
	v_lshrrev_b32_e32 v9, 3, v16
	s_mov_b32 s17, exec_lo
	v_cmpx_gt_u32_e32 8, v16
; %bb.2716:                             ;   in Loop: Header=BB285_1581 Depth=1
	s_delay_alu instid0(VALU_DEP_3) | instskip(NEXT) | instid1(VALU_DEP_1)
	v_clz_i32_u32_e32 v1, v1
	v_min_u32_e32 v1, 32, v1
	s_delay_alu instid0(VALU_DEP_1) | instskip(NEXT) | instid1(VALU_DEP_1)
	v_subrev_nc_u32_e32 v9, 28, v1
	v_lshlrev_b64_e32 v[16:17], v9, v[6:7]
	s_delay_alu instid0(VALU_DEP_1)
	v_dual_sub_nc_u32 v9, 29, v1 :: v_dual_bitop2_b32 v1, 7, v16 bitop3:0x40
; %bb.2717:                             ;   in Loop: Header=BB285_1581 Depth=1
	s_or_b32 exec_lo, exec_lo, s17
	s_delay_alu instid0(VALU_DEP_1) | instskip(NEXT) | instid1(VALU_DEP_2)
	v_dual_lshlrev_b32 v0, 8, v0 :: v_dual_lshlrev_b32 v1, 23, v1
	v_lshl_add_u32 v6, v9, 10, 0x2000
	s_delay_alu instid0(VALU_DEP_1) | instskip(NEXT) | instid1(VALU_DEP_1)
	v_and_or_b32 v0, 0x8000, v0, v6
	v_lshl_or_b32 v1, v0, 16, v1
.LBB285_2718:                           ;   in Loop: Header=BB285_1581 Depth=1
	s_or_b32 exec_lo, exec_lo, s16
.LBB285_2719:                           ;   in Loop: Header=BB285_1581 Depth=1
	s_delay_alu instid0(SALU_CYCLE_1)
	s_or_b32 exec_lo, exec_lo, s15
.LBB285_2720:                           ;   in Loop: Header=BB285_1581 Depth=1
	s_delay_alu instid0(SALU_CYCLE_1) | instskip(SKIP_3) | instid1(VALU_DEP_2)
	s_or_b32 exec_lo, exec_lo, s14
	v_dual_mov_b32 v9, 0 :: v_dual_lshrrev_b32 v0, 16, v64
	v_mov_b32_e32 v16, 0
	s_mov_b32 s14, exec_lo
	v_and_b32_e32 v6, 0xff, v0
	s_delay_alu instid0(VALU_DEP_1)
	v_cmpx_ne_u16_e32 0, v6
	s_cbranch_execz .LBB285_2728
; %bb.2721:                             ;   in Loop: Header=BB285_1581 Depth=1
	v_mov_b32_e32 v16, 0x8000
	s_mov_b32 s15, exec_lo
	v_cmpx_ne_u16_e32 0x80, v6
	s_cbranch_execz .LBB285_2727
; %bb.2722:                             ;   in Loop: Header=BB285_1581 Depth=1
	v_bfe_u32 v17, v64, 16, 7
	v_mov_b32_e32 v16, 0x7c01
	s_mov_b32 s16, exec_lo
	s_delay_alu instid0(VALU_DEP_2)
	v_cmpx_ne_u32_e32 0x7f, v17
	s_cbranch_execz .LBB285_2726
; %bb.2723:                             ;   in Loop: Header=BB285_1581 Depth=1
	v_dual_lshrrev_b32 v16, 3, v17 :: v_dual_bitop2_b32 v6, 7, v0 bitop3:0x40
	s_mov_b32 s17, exec_lo
	v_cmpx_gt_u32_e32 8, v17
; %bb.2724:                             ;   in Loop: Header=BB285_1581 Depth=1
	s_delay_alu instid0(VALU_DEP_2) | instskip(NEXT) | instid1(VALU_DEP_1)
	v_clz_i32_u32_e32 v6, v6
	v_min_u32_e32 v6, 32, v6
	s_delay_alu instid0(VALU_DEP_1) | instskip(NEXT) | instid1(VALU_DEP_1)
	v_subrev_nc_u32_e32 v16, 28, v6
	v_lshlrev_b64_e32 v[18:19], v16, v[0:1]
	v_sub_nc_u32_e32 v16, 29, v6
	s_delay_alu instid0(VALU_DEP_2)
	v_and_b32_e32 v6, 7, v18
; %bb.2725:                             ;   in Loop: Header=BB285_1581 Depth=1
	s_or_b32 exec_lo, exec_lo, s17
	s_delay_alu instid0(VALU_DEP_1) | instskip(NEXT) | instid1(VALU_DEP_3)
	v_dual_lshlrev_b32 v0, 8, v0 :: v_dual_lshlrev_b32 v6, 7, v6
	v_lshl_add_u32 v16, v16, 10, 0x2000
	s_delay_alu instid0(VALU_DEP_2) | instskip(NEXT) | instid1(VALU_DEP_2)
	v_and_b32_e32 v0, 0x8000, v0
	v_and_b32_e32 v16, 0xfc00, v16
	s_delay_alu instid0(VALU_DEP_1)
	v_or3_b32 v16, v0, v16, v6
.LBB285_2726:                           ;   in Loop: Header=BB285_1581 Depth=1
	s_or_b32 exec_lo, exec_lo, s16
.LBB285_2727:                           ;   in Loop: Header=BB285_1581 Depth=1
	s_delay_alu instid0(SALU_CYCLE_1)
	s_or_b32 exec_lo, exec_lo, s15
.LBB285_2728:                           ;   in Loop: Header=BB285_1581 Depth=1
	s_delay_alu instid0(SALU_CYCLE_1) | instskip(NEXT) | instid1(SALU_CYCLE_1)
	s_or_b32 exec_lo, exec_lo, s14
	s_mov_b32 s14, exec_lo
	v_cmpx_lt_u32_e32 0xffffff, v64
	s_cbranch_execz .LBB285_2736
; %bb.2729:                             ;   in Loop: Header=BB285_1581 Depth=1
	v_lshrrev_b32_e32 v6, 24, v64
	v_bfrev_b32_e32 v9, 1
	s_mov_b32 s15, exec_lo
	s_delay_alu instid0(VALU_DEP_2)
	v_cmpx_ne_u32_e32 0x80, v6
	s_cbranch_execz .LBB285_2735
; %bb.2730:                             ;   in Loop: Header=BB285_1581 Depth=1
	v_and_b32_e32 v17, 0x7f, v6
	v_mov_b32_e32 v9, 0x7c010000
	s_mov_b32 s16, exec_lo
	s_delay_alu instid0(VALU_DEP_2)
	v_cmpx_ne_u32_e32 0x7f, v17
	s_cbranch_execz .LBB285_2734
; %bb.2731:                             ;   in Loop: Header=BB285_1581 Depth=1
	v_dual_lshrrev_b32 v9, 3, v17 :: v_dual_bitop2_b32 v0, 7, v6 bitop3:0x40
	s_mov_b32 s17, exec_lo
	v_cmpx_gt_u32_e32 8, v17
; %bb.2732:                             ;   in Loop: Header=BB285_1581 Depth=1
	s_delay_alu instid0(VALU_DEP_2) | instskip(NEXT) | instid1(VALU_DEP_1)
	v_clz_i32_u32_e32 v0, v0
	v_min_u32_e32 v0, 32, v0
	s_delay_alu instid0(VALU_DEP_1) | instskip(NEXT) | instid1(VALU_DEP_1)
	v_subrev_nc_u32_e32 v9, 28, v0
	v_lshlrev_b64_e32 v[18:19], v9, v[6:7]
	s_delay_alu instid0(VALU_DEP_1)
	v_dual_sub_nc_u32 v9, 29, v0 :: v_dual_bitop2_b32 v0, 7, v18 bitop3:0x40
; %bb.2733:                             ;   in Loop: Header=BB285_1581 Depth=1
	s_or_b32 exec_lo, exec_lo, s17
	s_delay_alu instid0(VALU_DEP_1) | instskip(NEXT) | instid1(VALU_DEP_2)
	v_dual_lshlrev_b32 v6, 8, v6 :: v_dual_lshlrev_b32 v0, 23, v0
	v_lshl_add_u32 v9, v9, 10, 0x2000
	s_delay_alu instid0(VALU_DEP_1) | instskip(NEXT) | instid1(VALU_DEP_1)
	v_and_or_b32 v6, 0x8000, v6, v9
	v_lshl_or_b32 v9, v6, 16, v0
.LBB285_2734:                           ;   in Loop: Header=BB285_1581 Depth=1
	s_or_b32 exec_lo, exec_lo, s16
.LBB285_2735:                           ;   in Loop: Header=BB285_1581 Depth=1
	s_delay_alu instid0(SALU_CYCLE_1)
	s_or_b32 exec_lo, exec_lo, s15
.LBB285_2736:                           ;   in Loop: Header=BB285_1581 Depth=1
	s_delay_alu instid0(SALU_CYCLE_1) | instskip(SKIP_4) | instid1(VALU_DEP_3)
	s_or_b32 exec_lo, exec_lo, s14
	v_and_b32_e32 v0, 0xff, v65
	v_dual_mov_b32 v6, v65 :: v_dual_mov_b32 v18, 0
	v_mov_b32_e32 v17, 0
	s_mov_b32 s14, exec_lo
	v_cmpx_ne_u16_e32 0, v0
	s_cbranch_execz .LBB285_2744
; %bb.2737:                             ;   in Loop: Header=BB285_1581 Depth=1
	v_mov_b32_e32 v17, 0x8000
	s_mov_b32 s15, exec_lo
	v_cmpx_ne_u16_e32 0x80, v0
	s_cbranch_execz .LBB285_2743
; %bb.2738:                             ;   in Loop: Header=BB285_1581 Depth=1
	v_and_b32_e32 v19, 0x7f, v65
	v_mov_b32_e32 v17, 0x7c01
	s_mov_b32 s16, exec_lo
	s_delay_alu instid0(VALU_DEP_2)
	v_cmpx_ne_u32_e32 0x7f, v19
	s_cbranch_execz .LBB285_2742
; %bb.2739:                             ;   in Loop: Header=BB285_1581 Depth=1
	v_dual_lshrrev_b32 v17, 3, v19 :: v_dual_bitop2_b32 v0, 7, v65 bitop3:0x40
	s_mov_b32 s17, exec_lo
	v_cmpx_gt_u32_e32 8, v19
; %bb.2740:                             ;   in Loop: Header=BB285_1581 Depth=1
	s_delay_alu instid0(VALU_DEP_2) | instskip(NEXT) | instid1(VALU_DEP_1)
	v_clz_i32_u32_e32 v0, v0
	v_min_u32_e32 v0, 32, v0
	s_delay_alu instid0(VALU_DEP_1) | instskip(NEXT) | instid1(VALU_DEP_1)
	v_subrev_nc_u32_e32 v17, 28, v0
	v_lshlrev_b64_e32 v[22:23], v17, v[6:7]
	s_delay_alu instid0(VALU_DEP_1)
	v_dual_sub_nc_u32 v17, 29, v0 :: v_dual_bitop2_b32 v0, 7, v22 bitop3:0x40
; %bb.2741:                             ;   in Loop: Header=BB285_1581 Depth=1
	s_or_b32 exec_lo, exec_lo, s17
	s_delay_alu instid0(VALU_DEP_1) | instskip(NEXT) | instid1(VALU_DEP_2)
	v_dual_lshlrev_b32 v19, 8, v65 :: v_dual_lshlrev_b32 v0, 7, v0
	v_lshl_add_u32 v17, v17, 10, 0x2000
	s_delay_alu instid0(VALU_DEP_2) | instskip(NEXT) | instid1(VALU_DEP_2)
	v_and_b32_e32 v19, 0x8000, v19
	v_and_b32_e32 v17, 0xfc00, v17
	s_delay_alu instid0(VALU_DEP_1)
	v_or3_b32 v17, v19, v17, v0
.LBB285_2742:                           ;   in Loop: Header=BB285_1581 Depth=1
	s_or_b32 exec_lo, exec_lo, s16
.LBB285_2743:                           ;   in Loop: Header=BB285_1581 Depth=1
	s_delay_alu instid0(SALU_CYCLE_1)
	s_or_b32 exec_lo, exec_lo, s15
.LBB285_2744:                           ;   in Loop: Header=BB285_1581 Depth=1
	s_delay_alu instid0(SALU_CYCLE_1) | instskip(SKIP_3) | instid1(VALU_DEP_2)
	s_or_b32 exec_lo, exec_lo, s14
	v_lshrrev_b16 v6, 8, v6
	v_mov_b32_e32 v19, 0
	s_mov_b32 s14, exec_lo
	v_cmpx_ne_u16_e32 0, v6
	s_cbranch_execz .LBB285_2752
; %bb.2745:                             ;   in Loop: Header=BB285_1581 Depth=1
	v_bfrev_b32_e32 v19, 1
	s_mov_b32 s15, exec_lo
	v_cmpx_ne_u16_e32 0x80, v6
	s_cbranch_execz .LBB285_2751
; %bb.2746:                             ;   in Loop: Header=BB285_1581 Depth=1
	v_and_b32_e32 v0, 0xffff, v6
	v_mov_b32_e32 v19, 0x7c010000
	s_mov_b32 s16, exec_lo
	s_delay_alu instid0(VALU_DEP_2) | instskip(NEXT) | instid1(VALU_DEP_1)
	v_and_b32_e32 v23, 0x7f, v0
	v_cmpx_ne_u32_e32 0x7f, v23
	s_cbranch_execz .LBB285_2750
; %bb.2747:                             ;   in Loop: Header=BB285_1581 Depth=1
	v_dual_lshrrev_b32 v22, 3, v23 :: v_dual_bitop2_b32 v19, 7, v0 bitop3:0x40
	s_mov_b32 s17, exec_lo
	v_cmpx_gt_u32_e32 8, v23
; %bb.2748:                             ;   in Loop: Header=BB285_1581 Depth=1
	s_delay_alu instid0(VALU_DEP_2) | instskip(NEXT) | instid1(VALU_DEP_1)
	v_clz_i32_u32_e32 v19, v19
	v_min_u32_e32 v19, 32, v19
	s_delay_alu instid0(VALU_DEP_1) | instskip(NEXT) | instid1(VALU_DEP_1)
	v_subrev_nc_u32_e32 v22, 28, v19
	v_lshlrev_b64_e32 v[66:67], v22, v[6:7]
	s_delay_alu instid0(VALU_DEP_1)
	v_dual_sub_nc_u32 v22, 29, v19 :: v_dual_bitop2_b32 v19, 7, v66 bitop3:0x40
; %bb.2749:                             ;   in Loop: Header=BB285_1581 Depth=1
	s_or_b32 exec_lo, exec_lo, s17
	v_lshlrev_b32_e32 v0, 8, v0
	s_delay_alu instid0(VALU_DEP_2) | instskip(NEXT) | instid1(VALU_DEP_1)
	v_lshl_add_u32 v6, v22, 10, 0x2000
	v_and_or_b32 v0, 0x8000, v0, v6
	v_lshlrev_b32_e32 v6, 23, v19
	s_delay_alu instid0(VALU_DEP_1)
	v_lshl_or_b32 v19, v0, 16, v6
.LBB285_2750:                           ;   in Loop: Header=BB285_1581 Depth=1
	s_or_b32 exec_lo, exec_lo, s16
.LBB285_2751:                           ;   in Loop: Header=BB285_1581 Depth=1
	s_delay_alu instid0(SALU_CYCLE_1)
	s_or_b32 exec_lo, exec_lo, s15
.LBB285_2752:                           ;   in Loop: Header=BB285_1581 Depth=1
	s_delay_alu instid0(SALU_CYCLE_1) | instskip(SKIP_2) | instid1(VALU_DEP_1)
	s_or_b32 exec_lo, exec_lo, s14
	v_lshrrev_b32_e32 v0, 16, v65
	s_mov_b32 s14, exec_lo
	v_and_b32_e32 v6, 0xff, v0
	s_delay_alu instid0(VALU_DEP_1)
	v_cmpx_ne_u16_e32 0, v6
	s_cbranch_execz .LBB285_2760
; %bb.2753:                             ;   in Loop: Header=BB285_1581 Depth=1
	v_mov_b32_e32 v18, 0x8000
	s_mov_b32 s15, exec_lo
	v_cmpx_ne_u16_e32 0x80, v6
	s_cbranch_execz .LBB285_2759
; %bb.2754:                             ;   in Loop: Header=BB285_1581 Depth=1
	v_bfe_u32 v22, v65, 16, 7
	v_mov_b32_e32 v18, 0x7c01
	s_mov_b32 s16, exec_lo
	s_delay_alu instid0(VALU_DEP_2)
	v_cmpx_ne_u32_e32 0x7f, v22
	s_cbranch_execz .LBB285_2758
; %bb.2755:                             ;   in Loop: Header=BB285_1581 Depth=1
	v_dual_lshrrev_b32 v18, 3, v22 :: v_dual_bitop2_b32 v6, 7, v0 bitop3:0x40
	s_mov_b32 s17, exec_lo
	v_cmpx_gt_u32_e32 8, v22
; %bb.2756:                             ;   in Loop: Header=BB285_1581 Depth=1
	s_delay_alu instid0(VALU_DEP_2) | instskip(NEXT) | instid1(VALU_DEP_1)
	v_clz_i32_u32_e32 v6, v6
	v_min_u32_e32 v6, 32, v6
	s_delay_alu instid0(VALU_DEP_1) | instskip(NEXT) | instid1(VALU_DEP_1)
	v_subrev_nc_u32_e32 v18, 28, v6
	v_lshlrev_b64_e32 v[22:23], v18, v[0:1]
	v_sub_nc_u32_e32 v18, 29, v6
	s_delay_alu instid0(VALU_DEP_2)
	v_and_b32_e32 v6, 7, v22
; %bb.2757:                             ;   in Loop: Header=BB285_1581 Depth=1
	s_or_b32 exec_lo, exec_lo, s17
	s_delay_alu instid0(VALU_DEP_1) | instskip(NEXT) | instid1(VALU_DEP_3)
	v_dual_lshlrev_b32 v0, 8, v0 :: v_dual_lshlrev_b32 v6, 7, v6
	v_lshl_add_u32 v18, v18, 10, 0x2000
	s_delay_alu instid0(VALU_DEP_2) | instskip(NEXT) | instid1(VALU_DEP_2)
	v_and_b32_e32 v0, 0x8000, v0
	v_and_b32_e32 v18, 0xfc00, v18
	s_delay_alu instid0(VALU_DEP_1)
	v_or3_b32 v18, v0, v18, v6
.LBB285_2758:                           ;   in Loop: Header=BB285_1581 Depth=1
	s_or_b32 exec_lo, exec_lo, s16
.LBB285_2759:                           ;   in Loop: Header=BB285_1581 Depth=1
	s_delay_alu instid0(SALU_CYCLE_1)
	s_or_b32 exec_lo, exec_lo, s15
.LBB285_2760:                           ;   in Loop: Header=BB285_1581 Depth=1
	s_delay_alu instid0(SALU_CYCLE_1)
	s_or_b32 exec_lo, exec_lo, s14
	v_mov_b32_e32 v0, 0
	s_mov_b32 s14, exec_lo
	v_cmpx_lt_u64_e64 s[2:3], v[64:65]
	s_cbranch_execz .LBB285_2768
; %bb.2761:                             ;   in Loop: Header=BB285_1581 Depth=1
	v_lshrrev_b32_e32 v6, 24, v65
	v_bfrev_b32_e32 v0, 1
	s_mov_b32 s15, exec_lo
	s_delay_alu instid0(VALU_DEP_2)
	v_cmpx_ne_u32_e32 0x80, v6
	s_cbranch_execz .LBB285_2767
; %bb.2762:                             ;   in Loop: Header=BB285_1581 Depth=1
	v_and_b32_e32 v23, 0x7f, v6
	v_mov_b32_e32 v0, 0x7c010000
	s_mov_b32 s16, exec_lo
	s_delay_alu instid0(VALU_DEP_2)
	v_cmpx_ne_u32_e32 0x7f, v23
	s_cbranch_execz .LBB285_2766
; %bb.2763:                             ;   in Loop: Header=BB285_1581 Depth=1
	v_dual_lshrrev_b32 v22, 3, v23 :: v_dual_bitop2_b32 v0, 7, v6 bitop3:0x40
	s_mov_b32 s17, exec_lo
	v_cmpx_gt_u32_e32 8, v23
; %bb.2764:                             ;   in Loop: Header=BB285_1581 Depth=1
	s_delay_alu instid0(VALU_DEP_2) | instskip(NEXT) | instid1(VALU_DEP_1)
	v_clz_i32_u32_e32 v0, v0
	v_min_u32_e32 v0, 32, v0
	s_delay_alu instid0(VALU_DEP_1) | instskip(NEXT) | instid1(VALU_DEP_1)
	v_subrev_nc_u32_e32 v22, 28, v0
	v_lshlrev_b64_e32 v[64:65], v22, v[6:7]
	v_sub_nc_u32_e32 v22, 29, v0
	s_delay_alu instid0(VALU_DEP_2)
	v_and_b32_e32 v0, 7, v64
; %bb.2765:                             ;   in Loop: Header=BB285_1581 Depth=1
	s_or_b32 exec_lo, exec_lo, s17
	s_delay_alu instid0(VALU_DEP_1) | instskip(NEXT) | instid1(VALU_DEP_3)
	v_dual_lshlrev_b32 v6, 8, v6 :: v_dual_lshlrev_b32 v0, 23, v0
	v_lshl_add_u32 v22, v22, 10, 0x2000
	s_delay_alu instid0(VALU_DEP_1) | instskip(NEXT) | instid1(VALU_DEP_1)
	v_and_or_b32 v6, 0x8000, v6, v22
	v_lshl_or_b32 v0, v6, 16, v0
.LBB285_2766:                           ;   in Loop: Header=BB285_1581 Depth=1
	s_or_b32 exec_lo, exec_lo, s16
.LBB285_2767:                           ;   in Loop: Header=BB285_1581 Depth=1
	s_delay_alu instid0(SALU_CYCLE_1)
	s_or_b32 exec_lo, exec_lo, s15
.LBB285_2768:                           ;   in Loop: Header=BB285_1581 Depth=1
	s_delay_alu instid0(SALU_CYCLE_1) | instskip(SKIP_2) | instid1(VALU_DEP_2)
	s_or_b32 exec_lo, exec_lo, s14
	v_dual_lshrrev_b32 v6, 16, v1 :: v_dual_bitop2_b32 v1, v1, v8 bitop3:0x54
	v_dual_lshrrev_b32 v22, 16, v9 :: v_dual_bitop2_b32 v16, v9, v16 bitop3:0x54
	v_cvt_f32_f16_e32 v9, v6
	v_dual_lshrrev_b32 v18, 16, v19 :: v_dual_bitop2_b32 v6, v0, v18 bitop3:0x54
	s_delay_alu instid0(VALU_DEP_3)
	v_cvt_f32_f16_e32 v8, v22
	v_dual_lshrrev_b32 v22, 16, v0 :: v_dual_bitop2_b32 v19, v19, v17 bitop3:0x54
	v_cvt_f32_f16_e32 v0, v16
	v_cvt_f32_f16_e32 v1, v1
	s_wait_loadcnt_dscnt 0x0
	v_pk_mul_f32 v[8:9], v[54:55], v[8:9] op_sel_hi:[0,1]
	v_cvt_f32_f16_e32 v17, v18
	v_cvt_f32_f16_e32 v16, v22
	;; [unrolled: 1-line block ×4, first 2 shown]
	v_pk_mul_f32 v[0:1], v[54:55], v[0:1] op_sel_hi:[0,1]
	v_cvt_pk_f16_f32 v6, v8, v9
	v_pk_mul_f32 v[8:9], v[54:55], v[16:17] op_sel_hi:[0,1]
	s_delay_alu instid0(VALU_DEP_4) | instskip(NEXT) | instid1(VALU_DEP_4)
	v_pk_mul_f32 v[16:17], v[54:55], v[18:19] op_sel_hi:[0,1]
	v_cvt_pk_f16_f32 v0, v0, v1
	s_delay_alu instid0(VALU_DEP_4) | instskip(NEXT) | instid1(VALU_DEP_4)
	v_and_b32_e32 v19, 0xffff0000, v6
	v_cvt_pk_f16_f32 v8, v8, v9
	v_lshlrev_b32_e32 v54, 16, v6
	v_cvt_pk_f16_f32 v6, v16, v17
	v_lshrrev_b32_e32 v67, 16, v0
	v_and_b32_e32 v68, 0xffff, v0
	v_and_b32_e32 v1, 0xffff0000, v8
	s_delay_alu instid0(VALU_DEP_4) | instskip(SKIP_3) | instid1(VALU_DEP_4)
	v_dual_lshlrev_b32 v0, 16, v8 :: v_dual_lshrrev_b32 v9, 16, v6
	v_and_b32_e32 v6, 0xffff, v6
	v_or_b32_e32 v65, v19, v67
	v_or_b32_e32 v66, v54, v68
	;; [unrolled: 1-line block ×3, first 2 shown]
	s_delay_alu instid0(VALU_DEP_4)
	v_or_b32_e32 v64, v0, v6
	s_and_saveexec_b32 s14, vcc_lo
	s_cbranch_execz .LBB285_2770
; %bb.2769:                             ;   in Loop: Header=BB285_1581 Depth=1
	v_cmp_lt_i32_e64 s0, v84, v13
	s_delay_alu instid0(VALU_DEP_1) | instskip(SKIP_1) | instid1(VALU_DEP_1)
	v_cndmask_b32_e64 v8, 0, v67, s0
	v_cmp_lt_i32_e64 s0, v99, v12
	v_cndmask_b32_e64 v16, 0, v68, s0
	v_cmp_lt_i32_e64 s0, v98, v13
	s_delay_alu instid0(VALU_DEP_1) | instskip(SKIP_1) | instid1(VALU_DEP_1)
	v_cndmask_b32_e64 v17, 0, v19, s0
	v_cmp_lt_i32_e64 s0, v97, v12
	v_cndmask_b32_e64 v18, 0, v54, s0
	v_cmp_lt_i32_e64 s0, v96, v13
	s_delay_alu instid0(VALU_DEP_4) | instskip(NEXT) | instid1(VALU_DEP_2)
	v_or_b32_e32 v65, v8, v17
	v_dual_cndmask_b32 v9, 0, v9, s0 :: v_dual_bitop2_b32 v66, v16, v18 bitop3:0x54
	v_cmp_lt_i32_e64 s0, v87, v12
	s_delay_alu instid0(VALU_DEP_1) | instskip(SKIP_1) | instid1(VALU_DEP_1)
	v_cndmask_b32_e64 v6, 0, v6, s0
	v_cmp_lt_i32_e64 s0, v86, v13
	v_cndmask_b32_e64 v1, 0, v1, s0
	v_cmp_lt_i32_e64 s0, v85, v12
	s_delay_alu instid0(VALU_DEP_1) | instskip(NEXT) | instid1(VALU_DEP_1)
	v_dual_cndmask_b32 v0, 0, v0, s0 :: v_dual_bitop2_b32 v55, v9, v1 bitop3:0x54
	v_or_b32_e32 v64, v6, v0
.LBB285_2770:                           ;   in Loop: Header=BB285_1581 Depth=1
	s_or_b32 exec_lo, exec_lo, s14
	;;#ASMSTART
	v_pk_mul_f16 v0, v112, v65;

	;;#ASMEND
	;;#ASMSTART
	v_pk_mul_f16 v1, v102, v66;

	;;#ASMEND
	;; [unrolled: 4-line block ×4, first 2 shown]
	;;#ASMSTART
	v_pk_add_f16 v0, v0, v1;

	;;#ASMEND
	;;#ASMSTART
	v_pk_add_f16 v0, v0, v6;

	;;#ASMEND
	;; [unrolled: 4-line block ×3, first 2 shown]
	v_and_b32_e32 v1, 0xffff, v0
	v_lshrrev_b32_e32 v0, 16, v0
	;;#ASMSTART
	v_cvt_f32_f16 v90, v1;
	;;#ASMEND
	;;#ASMSTART
	v_cvt_f32_f16 v91, v0;
	;;#ASMEND
	flat_load_b64 v[64:65], v[28:29] offset:4608
	scratch_load_b64 v[0:1], off, s32 offset:192 ; 8-byte Folded Reload
	v_mov_b32_e32 v8, 0
	s_mov_b32 s14, exec_lo
	s_wait_loadcnt 0x0
	flat_load_b32 v54, v[0:1]
	s_wait_dscnt 0x1
	s_wait_xcnt 0x0
	v_and_b32_e32 v0, 0xff, v64
	v_mov_b32_e32 v1, 0
	s_delay_alu instid0(VALU_DEP_2)
	v_cmpx_ne_u16_e32 0, v0
	s_cbranch_execz .LBB285_2778
; %bb.2771:                             ;   in Loop: Header=BB285_1581 Depth=1
	v_mov_b32_e32 v8, 0x8000
	s_mov_b32 s15, exec_lo
	v_cmpx_ne_u16_e32 0x80, v0
	s_cbranch_execz .LBB285_2777
; %bb.2772:                             ;   in Loop: Header=BB285_1581 Depth=1
	v_and_b32_e32 v9, 0x7f, v64
	v_mov_b32_e32 v8, 0x7c01
	s_mov_b32 s16, exec_lo
	s_delay_alu instid0(VALU_DEP_2)
	v_cmpx_ne_u32_e32 0x7f, v9
	s_cbranch_execz .LBB285_2776
; %bb.2773:                             ;   in Loop: Header=BB285_1581 Depth=1
	v_dual_lshrrev_b32 v6, 3, v9 :: v_dual_bitop2_b32 v0, 7, v64 bitop3:0x40
	s_mov_b32 s17, exec_lo
	v_cmpx_gt_u32_e32 8, v9
; %bb.2774:                             ;   in Loop: Header=BB285_1581 Depth=1
	s_delay_alu instid0(VALU_DEP_2) | instskip(NEXT) | instid1(VALU_DEP_1)
	v_clz_i32_u32_e32 v0, v0
	v_min_u32_e32 v0, 32, v0
	s_delay_alu instid0(VALU_DEP_1) | instskip(NEXT) | instid1(VALU_DEP_1)
	v_subrev_nc_u32_e32 v6, 28, v0
	v_lshlrev_b64_e32 v[8:9], v6, v[64:65]
	v_sub_nc_u32_e32 v6, 29, v0
	s_delay_alu instid0(VALU_DEP_2)
	v_and_b32_e32 v0, 7, v8
; %bb.2775:                             ;   in Loop: Header=BB285_1581 Depth=1
	s_or_b32 exec_lo, exec_lo, s17
	v_lshlrev_b32_e32 v8, 8, v64
	s_delay_alu instid0(VALU_DEP_3) | instskip(NEXT) | instid1(VALU_DEP_3)
	v_lshl_add_u32 v6, v6, 10, 0x2000
	v_lshlrev_b32_e32 v0, 7, v0
	s_delay_alu instid0(VALU_DEP_3) | instskip(NEXT) | instid1(VALU_DEP_3)
	v_and_b32_e32 v8, 0x8000, v8
	v_and_b32_e32 v6, 0xfc00, v6
	s_delay_alu instid0(VALU_DEP_1)
	v_or3_b32 v8, v8, v6, v0
.LBB285_2776:                           ;   in Loop: Header=BB285_1581 Depth=1
	s_or_b32 exec_lo, exec_lo, s16
.LBB285_2777:                           ;   in Loop: Header=BB285_1581 Depth=1
	s_delay_alu instid0(SALU_CYCLE_1)
	s_or_b32 exec_lo, exec_lo, s15
.LBB285_2778:                           ;   in Loop: Header=BB285_1581 Depth=1
	s_delay_alu instid0(SALU_CYCLE_1) | instskip(SKIP_2) | instid1(VALU_DEP_1)
	s_or_b32 exec_lo, exec_lo, s14
	v_lshrrev_b16 v6, 8, v64
	s_mov_b32 s14, exec_lo
	v_cmpx_ne_u16_e32 0, v6
	s_cbranch_execz .LBB285_2786
; %bb.2779:                             ;   in Loop: Header=BB285_1581 Depth=1
	v_bfrev_b32_e32 v1, 1
	s_mov_b32 s15, exec_lo
	v_cmpx_ne_u16_e32 0x80, v6
	s_cbranch_execz .LBB285_2785
; %bb.2780:                             ;   in Loop: Header=BB285_1581 Depth=1
	v_and_b32_e32 v0, 0xffff, v6
	v_mov_b32_e32 v1, 0x7c010000
	s_mov_b32 s16, exec_lo
	s_delay_alu instid0(VALU_DEP_2) | instskip(NEXT) | instid1(VALU_DEP_1)
	v_and_b32_e32 v16, 0x7f, v0
	v_cmpx_ne_u32_e32 0x7f, v16
	s_cbranch_execz .LBB285_2784
; %bb.2781:                             ;   in Loop: Header=BB285_1581 Depth=1
	v_and_b32_e32 v1, 7, v0
	v_lshrrev_b32_e32 v9, 3, v16
	s_mov_b32 s17, exec_lo
	v_cmpx_gt_u32_e32 8, v16
; %bb.2782:                             ;   in Loop: Header=BB285_1581 Depth=1
	s_delay_alu instid0(VALU_DEP_3) | instskip(NEXT) | instid1(VALU_DEP_1)
	v_clz_i32_u32_e32 v1, v1
	v_min_u32_e32 v1, 32, v1
	s_delay_alu instid0(VALU_DEP_1) | instskip(NEXT) | instid1(VALU_DEP_1)
	v_subrev_nc_u32_e32 v9, 28, v1
	v_lshlrev_b64_e32 v[16:17], v9, v[6:7]
	s_delay_alu instid0(VALU_DEP_1)
	v_dual_sub_nc_u32 v9, 29, v1 :: v_dual_bitop2_b32 v1, 7, v16 bitop3:0x40
; %bb.2783:                             ;   in Loop: Header=BB285_1581 Depth=1
	s_or_b32 exec_lo, exec_lo, s17
	s_delay_alu instid0(VALU_DEP_1) | instskip(NEXT) | instid1(VALU_DEP_2)
	v_dual_lshlrev_b32 v0, 8, v0 :: v_dual_lshlrev_b32 v1, 23, v1
	v_lshl_add_u32 v6, v9, 10, 0x2000
	s_delay_alu instid0(VALU_DEP_1) | instskip(NEXT) | instid1(VALU_DEP_1)
	v_and_or_b32 v0, 0x8000, v0, v6
	v_lshl_or_b32 v1, v0, 16, v1
.LBB285_2784:                           ;   in Loop: Header=BB285_1581 Depth=1
	s_or_b32 exec_lo, exec_lo, s16
.LBB285_2785:                           ;   in Loop: Header=BB285_1581 Depth=1
	s_delay_alu instid0(SALU_CYCLE_1)
	s_or_b32 exec_lo, exec_lo, s15
.LBB285_2786:                           ;   in Loop: Header=BB285_1581 Depth=1
	s_delay_alu instid0(SALU_CYCLE_1) | instskip(SKIP_3) | instid1(VALU_DEP_2)
	s_or_b32 exec_lo, exec_lo, s14
	v_dual_mov_b32 v9, 0 :: v_dual_lshrrev_b32 v0, 16, v64
	v_mov_b32_e32 v16, 0
	s_mov_b32 s14, exec_lo
	v_and_b32_e32 v6, 0xff, v0
	s_delay_alu instid0(VALU_DEP_1)
	v_cmpx_ne_u16_e32 0, v6
	s_cbranch_execz .LBB285_2794
; %bb.2787:                             ;   in Loop: Header=BB285_1581 Depth=1
	v_mov_b32_e32 v16, 0x8000
	s_mov_b32 s15, exec_lo
	v_cmpx_ne_u16_e32 0x80, v6
	s_cbranch_execz .LBB285_2793
; %bb.2788:                             ;   in Loop: Header=BB285_1581 Depth=1
	v_bfe_u32 v17, v64, 16, 7
	v_mov_b32_e32 v16, 0x7c01
	s_mov_b32 s16, exec_lo
	s_delay_alu instid0(VALU_DEP_2)
	v_cmpx_ne_u32_e32 0x7f, v17
	s_cbranch_execz .LBB285_2792
; %bb.2789:                             ;   in Loop: Header=BB285_1581 Depth=1
	v_dual_lshrrev_b32 v16, 3, v17 :: v_dual_bitop2_b32 v6, 7, v0 bitop3:0x40
	s_mov_b32 s17, exec_lo
	v_cmpx_gt_u32_e32 8, v17
; %bb.2790:                             ;   in Loop: Header=BB285_1581 Depth=1
	s_delay_alu instid0(VALU_DEP_2) | instskip(NEXT) | instid1(VALU_DEP_1)
	v_clz_i32_u32_e32 v6, v6
	v_min_u32_e32 v6, 32, v6
	s_delay_alu instid0(VALU_DEP_1) | instskip(NEXT) | instid1(VALU_DEP_1)
	v_subrev_nc_u32_e32 v16, 28, v6
	v_lshlrev_b64_e32 v[18:19], v16, v[0:1]
	v_sub_nc_u32_e32 v16, 29, v6
	s_delay_alu instid0(VALU_DEP_2)
	v_and_b32_e32 v6, 7, v18
; %bb.2791:                             ;   in Loop: Header=BB285_1581 Depth=1
	s_or_b32 exec_lo, exec_lo, s17
	s_delay_alu instid0(VALU_DEP_1) | instskip(NEXT) | instid1(VALU_DEP_3)
	v_dual_lshlrev_b32 v0, 8, v0 :: v_dual_lshlrev_b32 v6, 7, v6
	v_lshl_add_u32 v16, v16, 10, 0x2000
	s_delay_alu instid0(VALU_DEP_2) | instskip(NEXT) | instid1(VALU_DEP_2)
	v_and_b32_e32 v0, 0x8000, v0
	v_and_b32_e32 v16, 0xfc00, v16
	s_delay_alu instid0(VALU_DEP_1)
	v_or3_b32 v16, v0, v16, v6
.LBB285_2792:                           ;   in Loop: Header=BB285_1581 Depth=1
	s_or_b32 exec_lo, exec_lo, s16
.LBB285_2793:                           ;   in Loop: Header=BB285_1581 Depth=1
	s_delay_alu instid0(SALU_CYCLE_1)
	s_or_b32 exec_lo, exec_lo, s15
.LBB285_2794:                           ;   in Loop: Header=BB285_1581 Depth=1
	s_delay_alu instid0(SALU_CYCLE_1) | instskip(NEXT) | instid1(SALU_CYCLE_1)
	s_or_b32 exec_lo, exec_lo, s14
	s_mov_b32 s14, exec_lo
	v_cmpx_lt_u32_e32 0xffffff, v64
	s_cbranch_execz .LBB285_2802
; %bb.2795:                             ;   in Loop: Header=BB285_1581 Depth=1
	v_lshrrev_b32_e32 v6, 24, v64
	v_bfrev_b32_e32 v9, 1
	s_mov_b32 s15, exec_lo
	s_delay_alu instid0(VALU_DEP_2)
	v_cmpx_ne_u32_e32 0x80, v6
	s_cbranch_execz .LBB285_2801
; %bb.2796:                             ;   in Loop: Header=BB285_1581 Depth=1
	v_and_b32_e32 v17, 0x7f, v6
	v_mov_b32_e32 v9, 0x7c010000
	s_mov_b32 s16, exec_lo
	s_delay_alu instid0(VALU_DEP_2)
	v_cmpx_ne_u32_e32 0x7f, v17
	s_cbranch_execz .LBB285_2800
; %bb.2797:                             ;   in Loop: Header=BB285_1581 Depth=1
	v_dual_lshrrev_b32 v9, 3, v17 :: v_dual_bitop2_b32 v0, 7, v6 bitop3:0x40
	s_mov_b32 s17, exec_lo
	v_cmpx_gt_u32_e32 8, v17
; %bb.2798:                             ;   in Loop: Header=BB285_1581 Depth=1
	s_delay_alu instid0(VALU_DEP_2) | instskip(NEXT) | instid1(VALU_DEP_1)
	v_clz_i32_u32_e32 v0, v0
	v_min_u32_e32 v0, 32, v0
	s_delay_alu instid0(VALU_DEP_1) | instskip(NEXT) | instid1(VALU_DEP_1)
	v_subrev_nc_u32_e32 v9, 28, v0
	v_lshlrev_b64_e32 v[18:19], v9, v[6:7]
	s_delay_alu instid0(VALU_DEP_1)
	v_dual_sub_nc_u32 v9, 29, v0 :: v_dual_bitop2_b32 v0, 7, v18 bitop3:0x40
; %bb.2799:                             ;   in Loop: Header=BB285_1581 Depth=1
	s_or_b32 exec_lo, exec_lo, s17
	s_delay_alu instid0(VALU_DEP_1) | instskip(NEXT) | instid1(VALU_DEP_2)
	v_dual_lshlrev_b32 v6, 8, v6 :: v_dual_lshlrev_b32 v0, 23, v0
	v_lshl_add_u32 v9, v9, 10, 0x2000
	s_delay_alu instid0(VALU_DEP_1) | instskip(NEXT) | instid1(VALU_DEP_1)
	v_and_or_b32 v6, 0x8000, v6, v9
	v_lshl_or_b32 v9, v6, 16, v0
.LBB285_2800:                           ;   in Loop: Header=BB285_1581 Depth=1
	s_or_b32 exec_lo, exec_lo, s16
.LBB285_2801:                           ;   in Loop: Header=BB285_1581 Depth=1
	s_delay_alu instid0(SALU_CYCLE_1)
	s_or_b32 exec_lo, exec_lo, s15
.LBB285_2802:                           ;   in Loop: Header=BB285_1581 Depth=1
	s_delay_alu instid0(SALU_CYCLE_1) | instskip(SKIP_4) | instid1(VALU_DEP_3)
	s_or_b32 exec_lo, exec_lo, s14
	v_and_b32_e32 v0, 0xff, v65
	v_dual_mov_b32 v6, v65 :: v_dual_mov_b32 v18, 0
	v_mov_b32_e32 v17, 0
	s_mov_b32 s14, exec_lo
	v_cmpx_ne_u16_e32 0, v0
	s_cbranch_execz .LBB285_2810
; %bb.2803:                             ;   in Loop: Header=BB285_1581 Depth=1
	v_mov_b32_e32 v17, 0x8000
	s_mov_b32 s15, exec_lo
	v_cmpx_ne_u16_e32 0x80, v0
	s_cbranch_execz .LBB285_2809
; %bb.2804:                             ;   in Loop: Header=BB285_1581 Depth=1
	v_and_b32_e32 v19, 0x7f, v65
	v_mov_b32_e32 v17, 0x7c01
	s_mov_b32 s16, exec_lo
	s_delay_alu instid0(VALU_DEP_2)
	v_cmpx_ne_u32_e32 0x7f, v19
	s_cbranch_execz .LBB285_2808
; %bb.2805:                             ;   in Loop: Header=BB285_1581 Depth=1
	v_dual_lshrrev_b32 v17, 3, v19 :: v_dual_bitop2_b32 v0, 7, v65 bitop3:0x40
	s_mov_b32 s17, exec_lo
	v_cmpx_gt_u32_e32 8, v19
; %bb.2806:                             ;   in Loop: Header=BB285_1581 Depth=1
	s_delay_alu instid0(VALU_DEP_2) | instskip(NEXT) | instid1(VALU_DEP_1)
	v_clz_i32_u32_e32 v0, v0
	v_min_u32_e32 v0, 32, v0
	s_delay_alu instid0(VALU_DEP_1) | instskip(NEXT) | instid1(VALU_DEP_1)
	v_subrev_nc_u32_e32 v17, 28, v0
	v_lshlrev_b64_e32 v[22:23], v17, v[6:7]
	s_delay_alu instid0(VALU_DEP_1)
	v_dual_sub_nc_u32 v17, 29, v0 :: v_dual_bitop2_b32 v0, 7, v22 bitop3:0x40
; %bb.2807:                             ;   in Loop: Header=BB285_1581 Depth=1
	s_or_b32 exec_lo, exec_lo, s17
	s_delay_alu instid0(VALU_DEP_1) | instskip(NEXT) | instid1(VALU_DEP_2)
	v_dual_lshlrev_b32 v19, 8, v65 :: v_dual_lshlrev_b32 v0, 7, v0
	v_lshl_add_u32 v17, v17, 10, 0x2000
	s_delay_alu instid0(VALU_DEP_2) | instskip(NEXT) | instid1(VALU_DEP_2)
	v_and_b32_e32 v19, 0x8000, v19
	v_and_b32_e32 v17, 0xfc00, v17
	s_delay_alu instid0(VALU_DEP_1)
	v_or3_b32 v17, v19, v17, v0
.LBB285_2808:                           ;   in Loop: Header=BB285_1581 Depth=1
	s_or_b32 exec_lo, exec_lo, s16
.LBB285_2809:                           ;   in Loop: Header=BB285_1581 Depth=1
	s_delay_alu instid0(SALU_CYCLE_1)
	s_or_b32 exec_lo, exec_lo, s15
.LBB285_2810:                           ;   in Loop: Header=BB285_1581 Depth=1
	s_delay_alu instid0(SALU_CYCLE_1) | instskip(SKIP_3) | instid1(VALU_DEP_2)
	s_or_b32 exec_lo, exec_lo, s14
	v_lshrrev_b16 v6, 8, v6
	v_mov_b32_e32 v19, 0
	s_mov_b32 s14, exec_lo
	v_cmpx_ne_u16_e32 0, v6
	s_cbranch_execz .LBB285_2818
; %bb.2811:                             ;   in Loop: Header=BB285_1581 Depth=1
	v_bfrev_b32_e32 v19, 1
	s_mov_b32 s15, exec_lo
	v_cmpx_ne_u16_e32 0x80, v6
	s_cbranch_execz .LBB285_2817
; %bb.2812:                             ;   in Loop: Header=BB285_1581 Depth=1
	v_and_b32_e32 v0, 0xffff, v6
	v_mov_b32_e32 v19, 0x7c010000
	s_mov_b32 s16, exec_lo
	s_delay_alu instid0(VALU_DEP_2) | instskip(NEXT) | instid1(VALU_DEP_1)
	v_and_b32_e32 v23, 0x7f, v0
	v_cmpx_ne_u32_e32 0x7f, v23
	s_cbranch_execz .LBB285_2816
; %bb.2813:                             ;   in Loop: Header=BB285_1581 Depth=1
	v_dual_lshrrev_b32 v22, 3, v23 :: v_dual_bitop2_b32 v19, 7, v0 bitop3:0x40
	s_mov_b32 s17, exec_lo
	v_cmpx_gt_u32_e32 8, v23
; %bb.2814:                             ;   in Loop: Header=BB285_1581 Depth=1
	s_delay_alu instid0(VALU_DEP_2) | instskip(NEXT) | instid1(VALU_DEP_1)
	v_clz_i32_u32_e32 v19, v19
	v_min_u32_e32 v19, 32, v19
	s_delay_alu instid0(VALU_DEP_1) | instskip(NEXT) | instid1(VALU_DEP_1)
	v_subrev_nc_u32_e32 v22, 28, v19
	v_lshlrev_b64_e32 v[66:67], v22, v[6:7]
	s_delay_alu instid0(VALU_DEP_1)
	v_dual_sub_nc_u32 v22, 29, v19 :: v_dual_bitop2_b32 v19, 7, v66 bitop3:0x40
; %bb.2815:                             ;   in Loop: Header=BB285_1581 Depth=1
	s_or_b32 exec_lo, exec_lo, s17
	v_lshlrev_b32_e32 v0, 8, v0
	s_delay_alu instid0(VALU_DEP_2) | instskip(NEXT) | instid1(VALU_DEP_1)
	v_lshl_add_u32 v6, v22, 10, 0x2000
	v_and_or_b32 v0, 0x8000, v0, v6
	v_lshlrev_b32_e32 v6, 23, v19
	s_delay_alu instid0(VALU_DEP_1)
	v_lshl_or_b32 v19, v0, 16, v6
.LBB285_2816:                           ;   in Loop: Header=BB285_1581 Depth=1
	s_or_b32 exec_lo, exec_lo, s16
.LBB285_2817:                           ;   in Loop: Header=BB285_1581 Depth=1
	s_delay_alu instid0(SALU_CYCLE_1)
	s_or_b32 exec_lo, exec_lo, s15
.LBB285_2818:                           ;   in Loop: Header=BB285_1581 Depth=1
	s_delay_alu instid0(SALU_CYCLE_1) | instskip(SKIP_2) | instid1(VALU_DEP_1)
	s_or_b32 exec_lo, exec_lo, s14
	v_lshrrev_b32_e32 v0, 16, v65
	s_mov_b32 s14, exec_lo
	v_and_b32_e32 v6, 0xff, v0
	s_delay_alu instid0(VALU_DEP_1)
	v_cmpx_ne_u16_e32 0, v6
	s_cbranch_execz .LBB285_2826
; %bb.2819:                             ;   in Loop: Header=BB285_1581 Depth=1
	v_mov_b32_e32 v18, 0x8000
	s_mov_b32 s15, exec_lo
	v_cmpx_ne_u16_e32 0x80, v6
	s_cbranch_execz .LBB285_2825
; %bb.2820:                             ;   in Loop: Header=BB285_1581 Depth=1
	v_bfe_u32 v22, v65, 16, 7
	v_mov_b32_e32 v18, 0x7c01
	s_mov_b32 s16, exec_lo
	s_delay_alu instid0(VALU_DEP_2)
	v_cmpx_ne_u32_e32 0x7f, v22
	s_cbranch_execz .LBB285_2824
; %bb.2821:                             ;   in Loop: Header=BB285_1581 Depth=1
	v_dual_lshrrev_b32 v18, 3, v22 :: v_dual_bitop2_b32 v6, 7, v0 bitop3:0x40
	s_mov_b32 s17, exec_lo
	v_cmpx_gt_u32_e32 8, v22
; %bb.2822:                             ;   in Loop: Header=BB285_1581 Depth=1
	s_delay_alu instid0(VALU_DEP_2) | instskip(NEXT) | instid1(VALU_DEP_1)
	v_clz_i32_u32_e32 v6, v6
	v_min_u32_e32 v6, 32, v6
	s_delay_alu instid0(VALU_DEP_1) | instskip(NEXT) | instid1(VALU_DEP_1)
	v_subrev_nc_u32_e32 v18, 28, v6
	v_lshlrev_b64_e32 v[22:23], v18, v[0:1]
	v_sub_nc_u32_e32 v18, 29, v6
	s_delay_alu instid0(VALU_DEP_2)
	v_and_b32_e32 v6, 7, v22
; %bb.2823:                             ;   in Loop: Header=BB285_1581 Depth=1
	s_or_b32 exec_lo, exec_lo, s17
	s_delay_alu instid0(VALU_DEP_1) | instskip(NEXT) | instid1(VALU_DEP_3)
	v_dual_lshlrev_b32 v0, 8, v0 :: v_dual_lshlrev_b32 v6, 7, v6
	v_lshl_add_u32 v18, v18, 10, 0x2000
	s_delay_alu instid0(VALU_DEP_2) | instskip(NEXT) | instid1(VALU_DEP_2)
	v_and_b32_e32 v0, 0x8000, v0
	v_and_b32_e32 v18, 0xfc00, v18
	s_delay_alu instid0(VALU_DEP_1)
	v_or3_b32 v18, v0, v18, v6
.LBB285_2824:                           ;   in Loop: Header=BB285_1581 Depth=1
	s_or_b32 exec_lo, exec_lo, s16
.LBB285_2825:                           ;   in Loop: Header=BB285_1581 Depth=1
	s_delay_alu instid0(SALU_CYCLE_1)
	s_or_b32 exec_lo, exec_lo, s15
.LBB285_2826:                           ;   in Loop: Header=BB285_1581 Depth=1
	s_delay_alu instid0(SALU_CYCLE_1)
	s_or_b32 exec_lo, exec_lo, s14
	v_mov_b32_e32 v0, 0
	s_mov_b32 s14, exec_lo
	v_cmpx_lt_u64_e64 s[2:3], v[64:65]
	s_cbranch_execz .LBB285_2834
; %bb.2827:                             ;   in Loop: Header=BB285_1581 Depth=1
	v_lshrrev_b32_e32 v6, 24, v65
	v_bfrev_b32_e32 v0, 1
	s_mov_b32 s15, exec_lo
	s_delay_alu instid0(VALU_DEP_2)
	v_cmpx_ne_u32_e32 0x80, v6
	s_cbranch_execz .LBB285_2833
; %bb.2828:                             ;   in Loop: Header=BB285_1581 Depth=1
	v_and_b32_e32 v23, 0x7f, v6
	v_mov_b32_e32 v0, 0x7c010000
	s_mov_b32 s16, exec_lo
	s_delay_alu instid0(VALU_DEP_2)
	v_cmpx_ne_u32_e32 0x7f, v23
	s_cbranch_execz .LBB285_2832
; %bb.2829:                             ;   in Loop: Header=BB285_1581 Depth=1
	v_dual_lshrrev_b32 v22, 3, v23 :: v_dual_bitop2_b32 v0, 7, v6 bitop3:0x40
	s_mov_b32 s17, exec_lo
	v_cmpx_gt_u32_e32 8, v23
; %bb.2830:                             ;   in Loop: Header=BB285_1581 Depth=1
	s_delay_alu instid0(VALU_DEP_2) | instskip(NEXT) | instid1(VALU_DEP_1)
	v_clz_i32_u32_e32 v0, v0
	v_min_u32_e32 v0, 32, v0
	s_delay_alu instid0(VALU_DEP_1) | instskip(NEXT) | instid1(VALU_DEP_1)
	v_subrev_nc_u32_e32 v22, 28, v0
	v_lshlrev_b64_e32 v[64:65], v22, v[6:7]
	v_sub_nc_u32_e32 v22, 29, v0
	s_delay_alu instid0(VALU_DEP_2)
	v_and_b32_e32 v0, 7, v64
; %bb.2831:                             ;   in Loop: Header=BB285_1581 Depth=1
	s_or_b32 exec_lo, exec_lo, s17
	s_delay_alu instid0(VALU_DEP_1) | instskip(NEXT) | instid1(VALU_DEP_3)
	v_dual_lshlrev_b32 v6, 8, v6 :: v_dual_lshlrev_b32 v0, 23, v0
	v_lshl_add_u32 v22, v22, 10, 0x2000
	s_delay_alu instid0(VALU_DEP_1) | instskip(NEXT) | instid1(VALU_DEP_1)
	v_and_or_b32 v6, 0x8000, v6, v22
	v_lshl_or_b32 v0, v6, 16, v0
.LBB285_2832:                           ;   in Loop: Header=BB285_1581 Depth=1
	s_or_b32 exec_lo, exec_lo, s16
.LBB285_2833:                           ;   in Loop: Header=BB285_1581 Depth=1
	s_delay_alu instid0(SALU_CYCLE_1)
	s_or_b32 exec_lo, exec_lo, s15
.LBB285_2834:                           ;   in Loop: Header=BB285_1581 Depth=1
	s_delay_alu instid0(SALU_CYCLE_1) | instskip(SKIP_2) | instid1(VALU_DEP_2)
	s_or_b32 exec_lo, exec_lo, s14
	v_dual_lshrrev_b32 v6, 16, v1 :: v_dual_bitop2_b32 v1, v1, v8 bitop3:0x54
	v_dual_lshrrev_b32 v22, 16, v9 :: v_dual_bitop2_b32 v16, v9, v16 bitop3:0x54
	v_cvt_f32_f16_e32 v9, v6
	v_dual_lshrrev_b32 v18, 16, v19 :: v_dual_bitop2_b32 v6, v0, v18 bitop3:0x54
	s_delay_alu instid0(VALU_DEP_3)
	v_cvt_f32_f16_e32 v8, v22
	v_dual_lshrrev_b32 v22, 16, v0 :: v_dual_bitop2_b32 v19, v19, v17 bitop3:0x54
	v_cvt_f32_f16_e32 v0, v16
	v_cvt_f32_f16_e32 v1, v1
	s_wait_loadcnt_dscnt 0x0
	v_pk_mul_f32 v[8:9], v[54:55], v[8:9] op_sel_hi:[0,1]
	v_cvt_f32_f16_e32 v17, v18
	v_cvt_f32_f16_e32 v16, v22
	;; [unrolled: 1-line block ×4, first 2 shown]
	v_pk_mul_f32 v[0:1], v[54:55], v[0:1] op_sel_hi:[0,1]
	v_cvt_pk_f16_f32 v6, v8, v9
	v_pk_mul_f32 v[8:9], v[54:55], v[16:17] op_sel_hi:[0,1]
	s_delay_alu instid0(VALU_DEP_4) | instskip(NEXT) | instid1(VALU_DEP_4)
	v_pk_mul_f32 v[16:17], v[54:55], v[18:19] op_sel_hi:[0,1]
	v_cvt_pk_f16_f32 v0, v0, v1
	s_delay_alu instid0(VALU_DEP_4) | instskip(NEXT) | instid1(VALU_DEP_4)
	v_and_b32_e32 v19, 0xffff0000, v6
	v_cvt_pk_f16_f32 v8, v8, v9
	v_lshlrev_b32_e32 v54, 16, v6
	v_cvt_pk_f16_f32 v6, v16, v17
	v_lshrrev_b32_e32 v67, 16, v0
	v_and_b32_e32 v68, 0xffff, v0
	v_and_b32_e32 v1, 0xffff0000, v8
	s_delay_alu instid0(VALU_DEP_4) | instskip(SKIP_3) | instid1(VALU_DEP_4)
	v_dual_lshlrev_b32 v0, 16, v8 :: v_dual_lshrrev_b32 v9, 16, v6
	v_and_b32_e32 v6, 0xffff, v6
	v_or_b32_e32 v65, v19, v67
	v_or_b32_e32 v66, v54, v68
	;; [unrolled: 1-line block ×3, first 2 shown]
	s_delay_alu instid0(VALU_DEP_4)
	v_or_b32_e32 v64, v0, v6
	s_and_saveexec_b32 s14, vcc_lo
	s_cbranch_execz .LBB285_2836
; %bb.2835:                             ;   in Loop: Header=BB285_1581 Depth=1
	v_cmp_lt_i32_e64 s0, v84, v13
	s_delay_alu instid0(VALU_DEP_1) | instskip(SKIP_1) | instid1(VALU_DEP_1)
	v_cndmask_b32_e64 v8, 0, v67, s0
	v_cmp_lt_i32_e64 s0, v99, v12
	v_cndmask_b32_e64 v16, 0, v68, s0
	v_cmp_lt_i32_e64 s0, v98, v13
	s_delay_alu instid0(VALU_DEP_1) | instskip(SKIP_1) | instid1(VALU_DEP_1)
	v_cndmask_b32_e64 v17, 0, v19, s0
	v_cmp_lt_i32_e64 s0, v97, v12
	v_cndmask_b32_e64 v18, 0, v54, s0
	v_cmp_lt_i32_e64 s0, v96, v13
	s_delay_alu instid0(VALU_DEP_4) | instskip(NEXT) | instid1(VALU_DEP_2)
	v_or_b32_e32 v65, v8, v17
	v_dual_cndmask_b32 v9, 0, v9, s0 :: v_dual_bitop2_b32 v66, v16, v18 bitop3:0x54
	v_cmp_lt_i32_e64 s0, v87, v12
	s_delay_alu instid0(VALU_DEP_1) | instskip(SKIP_1) | instid1(VALU_DEP_1)
	v_cndmask_b32_e64 v6, 0, v6, s0
	v_cmp_lt_i32_e64 s0, v86, v13
	v_cndmask_b32_e64 v1, 0, v1, s0
	v_cmp_lt_i32_e64 s0, v85, v12
	s_delay_alu instid0(VALU_DEP_1) | instskip(NEXT) | instid1(VALU_DEP_1)
	v_dual_cndmask_b32 v0, 0, v0, s0 :: v_dual_bitop2_b32 v55, v9, v1 bitop3:0x54
	v_or_b32_e32 v64, v6, v0
.LBB285_2836:                           ;   in Loop: Header=BB285_1581 Depth=1
	s_or_b32 exec_lo, exec_lo, s14
	;;#ASMSTART
	v_pk_mul_f16 v0, v112, v65;

	;;#ASMEND
	;;#ASMSTART
	v_pk_mul_f16 v1, v102, v66;

	;;#ASMEND
	;; [unrolled: 4-line block ×4, first 2 shown]
	;;#ASMSTART
	v_pk_add_f16 v0, v0, v1;

	;;#ASMEND
	;;#ASMSTART
	v_pk_add_f16 v0, v0, v6;

	;;#ASMEND
	;; [unrolled: 4-line block ×3, first 2 shown]
	v_and_b32_e32 v1, 0xffff, v0
	v_lshrrev_b32_e32 v0, 16, v0
	;;#ASMSTART
	v_cvt_f32_f16 v92, v1;
	;;#ASMEND
	;;#ASMSTART
	v_cvt_f32_f16 v93, v0;
	;;#ASMEND
	flat_load_b64 v[64:65], v[28:29] offset:4864
	scratch_load_b64 v[0:1], off, s32 offset:192 ; 8-byte Folded Reload
	v_mov_b32_e32 v8, 0
	s_mov_b32 s14, exec_lo
	s_wait_loadcnt 0x0
	flat_load_b32 v54, v[0:1]
	s_wait_dscnt 0x1
	s_wait_xcnt 0x0
	v_and_b32_e32 v0, 0xff, v64
	v_mov_b32_e32 v1, 0
	s_delay_alu instid0(VALU_DEP_2)
	v_cmpx_ne_u16_e32 0, v0
	s_cbranch_execz .LBB285_2844
; %bb.2837:                             ;   in Loop: Header=BB285_1581 Depth=1
	v_mov_b32_e32 v8, 0x8000
	s_mov_b32 s15, exec_lo
	v_cmpx_ne_u16_e32 0x80, v0
	s_cbranch_execz .LBB285_2843
; %bb.2838:                             ;   in Loop: Header=BB285_1581 Depth=1
	v_and_b32_e32 v9, 0x7f, v64
	v_mov_b32_e32 v8, 0x7c01
	s_mov_b32 s16, exec_lo
	s_delay_alu instid0(VALU_DEP_2)
	v_cmpx_ne_u32_e32 0x7f, v9
	s_cbranch_execz .LBB285_2842
; %bb.2839:                             ;   in Loop: Header=BB285_1581 Depth=1
	v_dual_lshrrev_b32 v6, 3, v9 :: v_dual_bitop2_b32 v0, 7, v64 bitop3:0x40
	s_mov_b32 s17, exec_lo
	v_cmpx_gt_u32_e32 8, v9
; %bb.2840:                             ;   in Loop: Header=BB285_1581 Depth=1
	s_delay_alu instid0(VALU_DEP_2) | instskip(NEXT) | instid1(VALU_DEP_1)
	v_clz_i32_u32_e32 v0, v0
	v_min_u32_e32 v0, 32, v0
	s_delay_alu instid0(VALU_DEP_1) | instskip(NEXT) | instid1(VALU_DEP_1)
	v_subrev_nc_u32_e32 v6, 28, v0
	v_lshlrev_b64_e32 v[8:9], v6, v[64:65]
	v_sub_nc_u32_e32 v6, 29, v0
	s_delay_alu instid0(VALU_DEP_2)
	v_and_b32_e32 v0, 7, v8
; %bb.2841:                             ;   in Loop: Header=BB285_1581 Depth=1
	s_or_b32 exec_lo, exec_lo, s17
	v_lshlrev_b32_e32 v8, 8, v64
	s_delay_alu instid0(VALU_DEP_3) | instskip(NEXT) | instid1(VALU_DEP_3)
	v_lshl_add_u32 v6, v6, 10, 0x2000
	v_lshlrev_b32_e32 v0, 7, v0
	s_delay_alu instid0(VALU_DEP_3) | instskip(NEXT) | instid1(VALU_DEP_3)
	v_and_b32_e32 v8, 0x8000, v8
	v_and_b32_e32 v6, 0xfc00, v6
	s_delay_alu instid0(VALU_DEP_1)
	v_or3_b32 v8, v8, v6, v0
.LBB285_2842:                           ;   in Loop: Header=BB285_1581 Depth=1
	s_or_b32 exec_lo, exec_lo, s16
.LBB285_2843:                           ;   in Loop: Header=BB285_1581 Depth=1
	s_delay_alu instid0(SALU_CYCLE_1)
	s_or_b32 exec_lo, exec_lo, s15
.LBB285_2844:                           ;   in Loop: Header=BB285_1581 Depth=1
	s_delay_alu instid0(SALU_CYCLE_1) | instskip(SKIP_2) | instid1(VALU_DEP_1)
	s_or_b32 exec_lo, exec_lo, s14
	v_lshrrev_b16 v6, 8, v64
	s_mov_b32 s14, exec_lo
	v_cmpx_ne_u16_e32 0, v6
	s_cbranch_execz .LBB285_2852
; %bb.2845:                             ;   in Loop: Header=BB285_1581 Depth=1
	v_bfrev_b32_e32 v1, 1
	s_mov_b32 s15, exec_lo
	v_cmpx_ne_u16_e32 0x80, v6
	s_cbranch_execz .LBB285_2851
; %bb.2846:                             ;   in Loop: Header=BB285_1581 Depth=1
	v_and_b32_e32 v0, 0xffff, v6
	v_mov_b32_e32 v1, 0x7c010000
	s_mov_b32 s16, exec_lo
	s_delay_alu instid0(VALU_DEP_2) | instskip(NEXT) | instid1(VALU_DEP_1)
	v_and_b32_e32 v16, 0x7f, v0
	v_cmpx_ne_u32_e32 0x7f, v16
	s_cbranch_execz .LBB285_2850
; %bb.2847:                             ;   in Loop: Header=BB285_1581 Depth=1
	v_and_b32_e32 v1, 7, v0
	v_lshrrev_b32_e32 v9, 3, v16
	s_mov_b32 s17, exec_lo
	v_cmpx_gt_u32_e32 8, v16
; %bb.2848:                             ;   in Loop: Header=BB285_1581 Depth=1
	s_delay_alu instid0(VALU_DEP_3) | instskip(NEXT) | instid1(VALU_DEP_1)
	v_clz_i32_u32_e32 v1, v1
	v_min_u32_e32 v1, 32, v1
	s_delay_alu instid0(VALU_DEP_1) | instskip(NEXT) | instid1(VALU_DEP_1)
	v_subrev_nc_u32_e32 v9, 28, v1
	v_lshlrev_b64_e32 v[16:17], v9, v[6:7]
	s_delay_alu instid0(VALU_DEP_1)
	v_dual_sub_nc_u32 v9, 29, v1 :: v_dual_bitop2_b32 v1, 7, v16 bitop3:0x40
; %bb.2849:                             ;   in Loop: Header=BB285_1581 Depth=1
	s_or_b32 exec_lo, exec_lo, s17
	s_delay_alu instid0(VALU_DEP_1) | instskip(NEXT) | instid1(VALU_DEP_2)
	v_dual_lshlrev_b32 v0, 8, v0 :: v_dual_lshlrev_b32 v1, 23, v1
	v_lshl_add_u32 v6, v9, 10, 0x2000
	s_delay_alu instid0(VALU_DEP_1) | instskip(NEXT) | instid1(VALU_DEP_1)
	v_and_or_b32 v0, 0x8000, v0, v6
	v_lshl_or_b32 v1, v0, 16, v1
.LBB285_2850:                           ;   in Loop: Header=BB285_1581 Depth=1
	s_or_b32 exec_lo, exec_lo, s16
.LBB285_2851:                           ;   in Loop: Header=BB285_1581 Depth=1
	s_delay_alu instid0(SALU_CYCLE_1)
	s_or_b32 exec_lo, exec_lo, s15
.LBB285_2852:                           ;   in Loop: Header=BB285_1581 Depth=1
	s_delay_alu instid0(SALU_CYCLE_1) | instskip(SKIP_3) | instid1(VALU_DEP_2)
	s_or_b32 exec_lo, exec_lo, s14
	v_dual_mov_b32 v9, 0 :: v_dual_lshrrev_b32 v0, 16, v64
	v_mov_b32_e32 v16, 0
	s_mov_b32 s14, exec_lo
	v_and_b32_e32 v6, 0xff, v0
	s_delay_alu instid0(VALU_DEP_1)
	v_cmpx_ne_u16_e32 0, v6
	s_cbranch_execz .LBB285_2860
; %bb.2853:                             ;   in Loop: Header=BB285_1581 Depth=1
	v_mov_b32_e32 v16, 0x8000
	s_mov_b32 s15, exec_lo
	v_cmpx_ne_u16_e32 0x80, v6
	s_cbranch_execz .LBB285_2859
; %bb.2854:                             ;   in Loop: Header=BB285_1581 Depth=1
	v_bfe_u32 v17, v64, 16, 7
	v_mov_b32_e32 v16, 0x7c01
	s_mov_b32 s16, exec_lo
	s_delay_alu instid0(VALU_DEP_2)
	v_cmpx_ne_u32_e32 0x7f, v17
	s_cbranch_execz .LBB285_2858
; %bb.2855:                             ;   in Loop: Header=BB285_1581 Depth=1
	v_dual_lshrrev_b32 v16, 3, v17 :: v_dual_bitop2_b32 v6, 7, v0 bitop3:0x40
	s_mov_b32 s17, exec_lo
	v_cmpx_gt_u32_e32 8, v17
; %bb.2856:                             ;   in Loop: Header=BB285_1581 Depth=1
	s_delay_alu instid0(VALU_DEP_2) | instskip(NEXT) | instid1(VALU_DEP_1)
	v_clz_i32_u32_e32 v6, v6
	v_min_u32_e32 v6, 32, v6
	s_delay_alu instid0(VALU_DEP_1) | instskip(NEXT) | instid1(VALU_DEP_1)
	v_subrev_nc_u32_e32 v16, 28, v6
	v_lshlrev_b64_e32 v[18:19], v16, v[0:1]
	v_sub_nc_u32_e32 v16, 29, v6
	s_delay_alu instid0(VALU_DEP_2)
	v_and_b32_e32 v6, 7, v18
; %bb.2857:                             ;   in Loop: Header=BB285_1581 Depth=1
	s_or_b32 exec_lo, exec_lo, s17
	s_delay_alu instid0(VALU_DEP_1) | instskip(NEXT) | instid1(VALU_DEP_3)
	v_dual_lshlrev_b32 v0, 8, v0 :: v_dual_lshlrev_b32 v6, 7, v6
	v_lshl_add_u32 v16, v16, 10, 0x2000
	s_delay_alu instid0(VALU_DEP_2) | instskip(NEXT) | instid1(VALU_DEP_2)
	v_and_b32_e32 v0, 0x8000, v0
	v_and_b32_e32 v16, 0xfc00, v16
	s_delay_alu instid0(VALU_DEP_1)
	v_or3_b32 v16, v0, v16, v6
.LBB285_2858:                           ;   in Loop: Header=BB285_1581 Depth=1
	s_or_b32 exec_lo, exec_lo, s16
.LBB285_2859:                           ;   in Loop: Header=BB285_1581 Depth=1
	s_delay_alu instid0(SALU_CYCLE_1)
	s_or_b32 exec_lo, exec_lo, s15
.LBB285_2860:                           ;   in Loop: Header=BB285_1581 Depth=1
	s_delay_alu instid0(SALU_CYCLE_1) | instskip(NEXT) | instid1(SALU_CYCLE_1)
	s_or_b32 exec_lo, exec_lo, s14
	s_mov_b32 s14, exec_lo
	v_cmpx_lt_u32_e32 0xffffff, v64
	s_cbranch_execz .LBB285_2868
; %bb.2861:                             ;   in Loop: Header=BB285_1581 Depth=1
	v_lshrrev_b32_e32 v6, 24, v64
	v_bfrev_b32_e32 v9, 1
	s_mov_b32 s15, exec_lo
	s_delay_alu instid0(VALU_DEP_2)
	v_cmpx_ne_u32_e32 0x80, v6
	s_cbranch_execz .LBB285_2867
; %bb.2862:                             ;   in Loop: Header=BB285_1581 Depth=1
	v_and_b32_e32 v17, 0x7f, v6
	v_mov_b32_e32 v9, 0x7c010000
	s_mov_b32 s16, exec_lo
	s_delay_alu instid0(VALU_DEP_2)
	v_cmpx_ne_u32_e32 0x7f, v17
	s_cbranch_execz .LBB285_2866
; %bb.2863:                             ;   in Loop: Header=BB285_1581 Depth=1
	v_dual_lshrrev_b32 v9, 3, v17 :: v_dual_bitop2_b32 v0, 7, v6 bitop3:0x40
	s_mov_b32 s17, exec_lo
	v_cmpx_gt_u32_e32 8, v17
; %bb.2864:                             ;   in Loop: Header=BB285_1581 Depth=1
	s_delay_alu instid0(VALU_DEP_2) | instskip(NEXT) | instid1(VALU_DEP_1)
	v_clz_i32_u32_e32 v0, v0
	v_min_u32_e32 v0, 32, v0
	s_delay_alu instid0(VALU_DEP_1) | instskip(NEXT) | instid1(VALU_DEP_1)
	v_subrev_nc_u32_e32 v9, 28, v0
	v_lshlrev_b64_e32 v[18:19], v9, v[6:7]
	s_delay_alu instid0(VALU_DEP_1)
	v_dual_sub_nc_u32 v9, 29, v0 :: v_dual_bitop2_b32 v0, 7, v18 bitop3:0x40
; %bb.2865:                             ;   in Loop: Header=BB285_1581 Depth=1
	s_or_b32 exec_lo, exec_lo, s17
	s_delay_alu instid0(VALU_DEP_1) | instskip(NEXT) | instid1(VALU_DEP_2)
	v_dual_lshlrev_b32 v6, 8, v6 :: v_dual_lshlrev_b32 v0, 23, v0
	v_lshl_add_u32 v9, v9, 10, 0x2000
	s_delay_alu instid0(VALU_DEP_1) | instskip(NEXT) | instid1(VALU_DEP_1)
	v_and_or_b32 v6, 0x8000, v6, v9
	v_lshl_or_b32 v9, v6, 16, v0
.LBB285_2866:                           ;   in Loop: Header=BB285_1581 Depth=1
	s_or_b32 exec_lo, exec_lo, s16
.LBB285_2867:                           ;   in Loop: Header=BB285_1581 Depth=1
	s_delay_alu instid0(SALU_CYCLE_1)
	s_or_b32 exec_lo, exec_lo, s15
.LBB285_2868:                           ;   in Loop: Header=BB285_1581 Depth=1
	s_delay_alu instid0(SALU_CYCLE_1) | instskip(SKIP_4) | instid1(VALU_DEP_3)
	s_or_b32 exec_lo, exec_lo, s14
	v_and_b32_e32 v0, 0xff, v65
	v_dual_mov_b32 v6, v65 :: v_dual_mov_b32 v18, 0
	v_mov_b32_e32 v17, 0
	s_mov_b32 s14, exec_lo
	v_cmpx_ne_u16_e32 0, v0
	s_cbranch_execz .LBB285_2876
; %bb.2869:                             ;   in Loop: Header=BB285_1581 Depth=1
	v_mov_b32_e32 v17, 0x8000
	s_mov_b32 s15, exec_lo
	v_cmpx_ne_u16_e32 0x80, v0
	s_cbranch_execz .LBB285_2875
; %bb.2870:                             ;   in Loop: Header=BB285_1581 Depth=1
	v_and_b32_e32 v19, 0x7f, v65
	v_mov_b32_e32 v17, 0x7c01
	s_mov_b32 s16, exec_lo
	s_delay_alu instid0(VALU_DEP_2)
	v_cmpx_ne_u32_e32 0x7f, v19
	s_cbranch_execz .LBB285_2874
; %bb.2871:                             ;   in Loop: Header=BB285_1581 Depth=1
	v_dual_lshrrev_b32 v17, 3, v19 :: v_dual_bitop2_b32 v0, 7, v65 bitop3:0x40
	s_mov_b32 s17, exec_lo
	v_cmpx_gt_u32_e32 8, v19
; %bb.2872:                             ;   in Loop: Header=BB285_1581 Depth=1
	s_delay_alu instid0(VALU_DEP_2) | instskip(NEXT) | instid1(VALU_DEP_1)
	v_clz_i32_u32_e32 v0, v0
	v_min_u32_e32 v0, 32, v0
	s_delay_alu instid0(VALU_DEP_1) | instskip(NEXT) | instid1(VALU_DEP_1)
	v_subrev_nc_u32_e32 v17, 28, v0
	v_lshlrev_b64_e32 v[22:23], v17, v[6:7]
	s_delay_alu instid0(VALU_DEP_1)
	v_dual_sub_nc_u32 v17, 29, v0 :: v_dual_bitop2_b32 v0, 7, v22 bitop3:0x40
; %bb.2873:                             ;   in Loop: Header=BB285_1581 Depth=1
	s_or_b32 exec_lo, exec_lo, s17
	s_delay_alu instid0(VALU_DEP_1) | instskip(NEXT) | instid1(VALU_DEP_2)
	v_dual_lshlrev_b32 v19, 8, v65 :: v_dual_lshlrev_b32 v0, 7, v0
	v_lshl_add_u32 v17, v17, 10, 0x2000
	s_delay_alu instid0(VALU_DEP_2) | instskip(NEXT) | instid1(VALU_DEP_2)
	v_and_b32_e32 v19, 0x8000, v19
	v_and_b32_e32 v17, 0xfc00, v17
	s_delay_alu instid0(VALU_DEP_1)
	v_or3_b32 v17, v19, v17, v0
.LBB285_2874:                           ;   in Loop: Header=BB285_1581 Depth=1
	s_or_b32 exec_lo, exec_lo, s16
.LBB285_2875:                           ;   in Loop: Header=BB285_1581 Depth=1
	s_delay_alu instid0(SALU_CYCLE_1)
	s_or_b32 exec_lo, exec_lo, s15
.LBB285_2876:                           ;   in Loop: Header=BB285_1581 Depth=1
	s_delay_alu instid0(SALU_CYCLE_1) | instskip(SKIP_3) | instid1(VALU_DEP_2)
	s_or_b32 exec_lo, exec_lo, s14
	v_lshrrev_b16 v6, 8, v6
	v_mov_b32_e32 v19, 0
	s_mov_b32 s14, exec_lo
	v_cmpx_ne_u16_e32 0, v6
	s_cbranch_execz .LBB285_2884
; %bb.2877:                             ;   in Loop: Header=BB285_1581 Depth=1
	v_bfrev_b32_e32 v19, 1
	s_mov_b32 s15, exec_lo
	v_cmpx_ne_u16_e32 0x80, v6
	s_cbranch_execz .LBB285_2883
; %bb.2878:                             ;   in Loop: Header=BB285_1581 Depth=1
	v_and_b32_e32 v0, 0xffff, v6
	v_mov_b32_e32 v19, 0x7c010000
	s_mov_b32 s16, exec_lo
	s_delay_alu instid0(VALU_DEP_2) | instskip(NEXT) | instid1(VALU_DEP_1)
	v_and_b32_e32 v23, 0x7f, v0
	v_cmpx_ne_u32_e32 0x7f, v23
	s_cbranch_execz .LBB285_2882
; %bb.2879:                             ;   in Loop: Header=BB285_1581 Depth=1
	v_dual_lshrrev_b32 v22, 3, v23 :: v_dual_bitop2_b32 v19, 7, v0 bitop3:0x40
	s_mov_b32 s17, exec_lo
	v_cmpx_gt_u32_e32 8, v23
; %bb.2880:                             ;   in Loop: Header=BB285_1581 Depth=1
	s_delay_alu instid0(VALU_DEP_2) | instskip(NEXT) | instid1(VALU_DEP_1)
	v_clz_i32_u32_e32 v19, v19
	v_min_u32_e32 v19, 32, v19
	s_delay_alu instid0(VALU_DEP_1) | instskip(NEXT) | instid1(VALU_DEP_1)
	v_subrev_nc_u32_e32 v22, 28, v19
	v_lshlrev_b64_e32 v[66:67], v22, v[6:7]
	s_delay_alu instid0(VALU_DEP_1)
	v_dual_sub_nc_u32 v22, 29, v19 :: v_dual_bitop2_b32 v19, 7, v66 bitop3:0x40
; %bb.2881:                             ;   in Loop: Header=BB285_1581 Depth=1
	s_or_b32 exec_lo, exec_lo, s17
	v_lshlrev_b32_e32 v0, 8, v0
	s_delay_alu instid0(VALU_DEP_2) | instskip(NEXT) | instid1(VALU_DEP_1)
	v_lshl_add_u32 v6, v22, 10, 0x2000
	v_and_or_b32 v0, 0x8000, v0, v6
	v_lshlrev_b32_e32 v6, 23, v19
	s_delay_alu instid0(VALU_DEP_1)
	v_lshl_or_b32 v19, v0, 16, v6
.LBB285_2882:                           ;   in Loop: Header=BB285_1581 Depth=1
	s_or_b32 exec_lo, exec_lo, s16
.LBB285_2883:                           ;   in Loop: Header=BB285_1581 Depth=1
	s_delay_alu instid0(SALU_CYCLE_1)
	s_or_b32 exec_lo, exec_lo, s15
.LBB285_2884:                           ;   in Loop: Header=BB285_1581 Depth=1
	s_delay_alu instid0(SALU_CYCLE_1) | instskip(SKIP_2) | instid1(VALU_DEP_1)
	s_or_b32 exec_lo, exec_lo, s14
	v_lshrrev_b32_e32 v0, 16, v65
	s_mov_b32 s14, exec_lo
	v_and_b32_e32 v6, 0xff, v0
	s_delay_alu instid0(VALU_DEP_1)
	v_cmpx_ne_u16_e32 0, v6
	s_cbranch_execz .LBB285_2892
; %bb.2885:                             ;   in Loop: Header=BB285_1581 Depth=1
	v_mov_b32_e32 v18, 0x8000
	s_mov_b32 s15, exec_lo
	v_cmpx_ne_u16_e32 0x80, v6
	s_cbranch_execz .LBB285_2891
; %bb.2886:                             ;   in Loop: Header=BB285_1581 Depth=1
	v_bfe_u32 v22, v65, 16, 7
	v_mov_b32_e32 v18, 0x7c01
	s_mov_b32 s16, exec_lo
	s_delay_alu instid0(VALU_DEP_2)
	v_cmpx_ne_u32_e32 0x7f, v22
	s_cbranch_execz .LBB285_2890
; %bb.2887:                             ;   in Loop: Header=BB285_1581 Depth=1
	v_dual_lshrrev_b32 v18, 3, v22 :: v_dual_bitop2_b32 v6, 7, v0 bitop3:0x40
	s_mov_b32 s17, exec_lo
	v_cmpx_gt_u32_e32 8, v22
; %bb.2888:                             ;   in Loop: Header=BB285_1581 Depth=1
	s_delay_alu instid0(VALU_DEP_2) | instskip(NEXT) | instid1(VALU_DEP_1)
	v_clz_i32_u32_e32 v6, v6
	v_min_u32_e32 v6, 32, v6
	s_delay_alu instid0(VALU_DEP_1) | instskip(NEXT) | instid1(VALU_DEP_1)
	v_subrev_nc_u32_e32 v18, 28, v6
	v_lshlrev_b64_e32 v[22:23], v18, v[0:1]
	v_sub_nc_u32_e32 v18, 29, v6
	s_delay_alu instid0(VALU_DEP_2)
	v_and_b32_e32 v6, 7, v22
; %bb.2889:                             ;   in Loop: Header=BB285_1581 Depth=1
	s_or_b32 exec_lo, exec_lo, s17
	s_delay_alu instid0(VALU_DEP_1) | instskip(NEXT) | instid1(VALU_DEP_3)
	v_dual_lshlrev_b32 v0, 8, v0 :: v_dual_lshlrev_b32 v6, 7, v6
	v_lshl_add_u32 v18, v18, 10, 0x2000
	s_delay_alu instid0(VALU_DEP_2) | instskip(NEXT) | instid1(VALU_DEP_2)
	v_and_b32_e32 v0, 0x8000, v0
	v_and_b32_e32 v18, 0xfc00, v18
	s_delay_alu instid0(VALU_DEP_1)
	v_or3_b32 v18, v0, v18, v6
.LBB285_2890:                           ;   in Loop: Header=BB285_1581 Depth=1
	s_or_b32 exec_lo, exec_lo, s16
.LBB285_2891:                           ;   in Loop: Header=BB285_1581 Depth=1
	s_delay_alu instid0(SALU_CYCLE_1)
	s_or_b32 exec_lo, exec_lo, s15
.LBB285_2892:                           ;   in Loop: Header=BB285_1581 Depth=1
	s_delay_alu instid0(SALU_CYCLE_1)
	s_or_b32 exec_lo, exec_lo, s14
	v_mov_b32_e32 v0, 0
	s_mov_b32 s14, exec_lo
	v_cmpx_lt_u64_e64 s[2:3], v[64:65]
	s_cbranch_execz .LBB285_2900
; %bb.2893:                             ;   in Loop: Header=BB285_1581 Depth=1
	v_lshrrev_b32_e32 v6, 24, v65
	v_bfrev_b32_e32 v0, 1
	s_mov_b32 s15, exec_lo
	s_delay_alu instid0(VALU_DEP_2)
	v_cmpx_ne_u32_e32 0x80, v6
	s_cbranch_execz .LBB285_2899
; %bb.2894:                             ;   in Loop: Header=BB285_1581 Depth=1
	v_and_b32_e32 v23, 0x7f, v6
	v_mov_b32_e32 v0, 0x7c010000
	s_mov_b32 s16, exec_lo
	s_delay_alu instid0(VALU_DEP_2)
	v_cmpx_ne_u32_e32 0x7f, v23
	s_cbranch_execz .LBB285_2898
; %bb.2895:                             ;   in Loop: Header=BB285_1581 Depth=1
	v_dual_lshrrev_b32 v22, 3, v23 :: v_dual_bitop2_b32 v0, 7, v6 bitop3:0x40
	s_mov_b32 s17, exec_lo
	v_cmpx_gt_u32_e32 8, v23
; %bb.2896:                             ;   in Loop: Header=BB285_1581 Depth=1
	s_delay_alu instid0(VALU_DEP_2) | instskip(NEXT) | instid1(VALU_DEP_1)
	v_clz_i32_u32_e32 v0, v0
	v_min_u32_e32 v0, 32, v0
	s_delay_alu instid0(VALU_DEP_1) | instskip(NEXT) | instid1(VALU_DEP_1)
	v_subrev_nc_u32_e32 v22, 28, v0
	v_lshlrev_b64_e32 v[64:65], v22, v[6:7]
	v_sub_nc_u32_e32 v22, 29, v0
	s_delay_alu instid0(VALU_DEP_2)
	v_and_b32_e32 v0, 7, v64
; %bb.2897:                             ;   in Loop: Header=BB285_1581 Depth=1
	s_or_b32 exec_lo, exec_lo, s17
	s_delay_alu instid0(VALU_DEP_1) | instskip(NEXT) | instid1(VALU_DEP_3)
	v_dual_lshlrev_b32 v6, 8, v6 :: v_dual_lshlrev_b32 v0, 23, v0
	v_lshl_add_u32 v22, v22, 10, 0x2000
	s_delay_alu instid0(VALU_DEP_1) | instskip(NEXT) | instid1(VALU_DEP_1)
	v_and_or_b32 v6, 0x8000, v6, v22
	v_lshl_or_b32 v0, v6, 16, v0
.LBB285_2898:                           ;   in Loop: Header=BB285_1581 Depth=1
	s_or_b32 exec_lo, exec_lo, s16
.LBB285_2899:                           ;   in Loop: Header=BB285_1581 Depth=1
	s_delay_alu instid0(SALU_CYCLE_1)
	s_or_b32 exec_lo, exec_lo, s15
.LBB285_2900:                           ;   in Loop: Header=BB285_1581 Depth=1
	s_delay_alu instid0(SALU_CYCLE_1) | instskip(SKIP_2) | instid1(VALU_DEP_2)
	s_or_b32 exec_lo, exec_lo, s14
	v_dual_lshrrev_b32 v6, 16, v1 :: v_dual_bitop2_b32 v1, v1, v8 bitop3:0x54
	v_dual_lshrrev_b32 v22, 16, v9 :: v_dual_bitop2_b32 v16, v9, v16 bitop3:0x54
	v_cvt_f32_f16_e32 v9, v6
	v_dual_lshrrev_b32 v18, 16, v19 :: v_dual_bitop2_b32 v6, v0, v18 bitop3:0x54
	s_delay_alu instid0(VALU_DEP_3)
	v_cvt_f32_f16_e32 v8, v22
	v_dual_lshrrev_b32 v22, 16, v0 :: v_dual_bitop2_b32 v19, v19, v17 bitop3:0x54
	v_cvt_f32_f16_e32 v0, v16
	v_cvt_f32_f16_e32 v1, v1
	s_wait_loadcnt_dscnt 0x0
	v_pk_mul_f32 v[8:9], v[54:55], v[8:9] op_sel_hi:[0,1]
	v_cvt_f32_f16_e32 v17, v18
	v_cvt_f32_f16_e32 v16, v22
	;; [unrolled: 1-line block ×4, first 2 shown]
	v_pk_mul_f32 v[0:1], v[54:55], v[0:1] op_sel_hi:[0,1]
	v_cvt_pk_f16_f32 v6, v8, v9
	v_pk_mul_f32 v[8:9], v[54:55], v[16:17] op_sel_hi:[0,1]
	s_delay_alu instid0(VALU_DEP_4) | instskip(NEXT) | instid1(VALU_DEP_4)
	v_pk_mul_f32 v[16:17], v[54:55], v[18:19] op_sel_hi:[0,1]
	v_cvt_pk_f16_f32 v0, v0, v1
	s_delay_alu instid0(VALU_DEP_4) | instskip(NEXT) | instid1(VALU_DEP_4)
	v_and_b32_e32 v19, 0xffff0000, v6
	v_cvt_pk_f16_f32 v8, v8, v9
	v_lshlrev_b32_e32 v54, 16, v6
	v_cvt_pk_f16_f32 v6, v16, v17
	v_lshrrev_b32_e32 v67, 16, v0
	v_and_b32_e32 v68, 0xffff, v0
	v_and_b32_e32 v1, 0xffff0000, v8
	s_delay_alu instid0(VALU_DEP_4) | instskip(SKIP_3) | instid1(VALU_DEP_4)
	v_dual_lshlrev_b32 v0, 16, v8 :: v_dual_lshrrev_b32 v9, 16, v6
	v_and_b32_e32 v6, 0xffff, v6
	v_or_b32_e32 v65, v19, v67
	v_or_b32_e32 v66, v54, v68
	v_or_b32_e32 v55, v1, v9
	s_delay_alu instid0(VALU_DEP_4)
	v_or_b32_e32 v64, v0, v6
	s_and_saveexec_b32 s14, vcc_lo
	s_cbranch_execz .LBB285_2902
; %bb.2901:                             ;   in Loop: Header=BB285_1581 Depth=1
	v_cmp_lt_i32_e64 s0, v84, v13
	s_delay_alu instid0(VALU_DEP_1) | instskip(SKIP_1) | instid1(VALU_DEP_1)
	v_cndmask_b32_e64 v8, 0, v67, s0
	v_cmp_lt_i32_e64 s0, v99, v12
	v_cndmask_b32_e64 v16, 0, v68, s0
	v_cmp_lt_i32_e64 s0, v98, v13
	s_delay_alu instid0(VALU_DEP_1) | instskip(SKIP_1) | instid1(VALU_DEP_1)
	v_cndmask_b32_e64 v17, 0, v19, s0
	v_cmp_lt_i32_e64 s0, v97, v12
	v_cndmask_b32_e64 v18, 0, v54, s0
	v_cmp_lt_i32_e64 s0, v96, v13
	s_delay_alu instid0(VALU_DEP_4) | instskip(NEXT) | instid1(VALU_DEP_2)
	v_or_b32_e32 v65, v8, v17
	v_dual_cndmask_b32 v9, 0, v9, s0 :: v_dual_bitop2_b32 v66, v16, v18 bitop3:0x54
	v_cmp_lt_i32_e64 s0, v87, v12
	s_delay_alu instid0(VALU_DEP_1) | instskip(SKIP_1) | instid1(VALU_DEP_1)
	v_cndmask_b32_e64 v6, 0, v6, s0
	v_cmp_lt_i32_e64 s0, v86, v13
	v_cndmask_b32_e64 v1, 0, v1, s0
	v_cmp_lt_i32_e64 s0, v85, v12
	s_delay_alu instid0(VALU_DEP_1) | instskip(NEXT) | instid1(VALU_DEP_1)
	v_dual_cndmask_b32 v0, 0, v0, s0 :: v_dual_bitop2_b32 v55, v9, v1 bitop3:0x54
	v_or_b32_e32 v64, v6, v0
.LBB285_2902:                           ;   in Loop: Header=BB285_1581 Depth=1
	s_or_b32 exec_lo, exec_lo, s14
	;;#ASMSTART
	v_pk_mul_f16 v0, v112, v65;

	;;#ASMEND
	;;#ASMSTART
	v_pk_mul_f16 v1, v102, v66;

	;;#ASMEND
	;; [unrolled: 4-line block ×4, first 2 shown]
	;;#ASMSTART
	v_pk_add_f16 v0, v0, v1;

	;;#ASMEND
	;;#ASMSTART
	v_pk_add_f16 v0, v0, v6;

	;;#ASMEND
	;; [unrolled: 4-line block ×3, first 2 shown]
	v_and_b32_e32 v1, 0xffff, v0
	v_lshrrev_b32_e32 v0, 16, v0
	;;#ASMSTART
	v_cvt_f32_f16 v94, v1;
	;;#ASMEND
	;;#ASMSTART
	v_cvt_f32_f16 v95, v0;
	;;#ASMEND
	flat_load_b64 v[64:65], v[28:29] offset:5120
	scratch_load_b64 v[0:1], off, s32 offset:192 ; 8-byte Folded Reload
	v_mov_b32_e32 v8, 0
	s_mov_b32 s14, exec_lo
	s_wait_loadcnt 0x0
	flat_load_b32 v54, v[0:1]
	s_wait_dscnt 0x1
	s_wait_xcnt 0x0
	v_and_b32_e32 v0, 0xff, v64
	v_mov_b32_e32 v1, 0
	s_delay_alu instid0(VALU_DEP_2)
	v_cmpx_ne_u16_e32 0, v0
	s_cbranch_execz .LBB285_2910
; %bb.2903:                             ;   in Loop: Header=BB285_1581 Depth=1
	v_mov_b32_e32 v8, 0x8000
	s_mov_b32 s15, exec_lo
	v_cmpx_ne_u16_e32 0x80, v0
	s_cbranch_execz .LBB285_2909
; %bb.2904:                             ;   in Loop: Header=BB285_1581 Depth=1
	v_and_b32_e32 v9, 0x7f, v64
	v_mov_b32_e32 v8, 0x7c01
	s_mov_b32 s16, exec_lo
	s_delay_alu instid0(VALU_DEP_2)
	v_cmpx_ne_u32_e32 0x7f, v9
	s_cbranch_execz .LBB285_2908
; %bb.2905:                             ;   in Loop: Header=BB285_1581 Depth=1
	v_dual_lshrrev_b32 v6, 3, v9 :: v_dual_bitop2_b32 v0, 7, v64 bitop3:0x40
	s_mov_b32 s17, exec_lo
	v_cmpx_gt_u32_e32 8, v9
; %bb.2906:                             ;   in Loop: Header=BB285_1581 Depth=1
	s_delay_alu instid0(VALU_DEP_2) | instskip(NEXT) | instid1(VALU_DEP_1)
	v_clz_i32_u32_e32 v0, v0
	v_min_u32_e32 v0, 32, v0
	s_delay_alu instid0(VALU_DEP_1) | instskip(NEXT) | instid1(VALU_DEP_1)
	v_subrev_nc_u32_e32 v6, 28, v0
	v_lshlrev_b64_e32 v[8:9], v6, v[64:65]
	v_sub_nc_u32_e32 v6, 29, v0
	s_delay_alu instid0(VALU_DEP_2)
	v_and_b32_e32 v0, 7, v8
; %bb.2907:                             ;   in Loop: Header=BB285_1581 Depth=1
	s_or_b32 exec_lo, exec_lo, s17
	v_lshlrev_b32_e32 v8, 8, v64
	s_delay_alu instid0(VALU_DEP_3) | instskip(NEXT) | instid1(VALU_DEP_3)
	v_lshl_add_u32 v6, v6, 10, 0x2000
	v_lshlrev_b32_e32 v0, 7, v0
	s_delay_alu instid0(VALU_DEP_3) | instskip(NEXT) | instid1(VALU_DEP_3)
	v_and_b32_e32 v8, 0x8000, v8
	v_and_b32_e32 v6, 0xfc00, v6
	s_delay_alu instid0(VALU_DEP_1)
	v_or3_b32 v8, v8, v6, v0
.LBB285_2908:                           ;   in Loop: Header=BB285_1581 Depth=1
	s_or_b32 exec_lo, exec_lo, s16
.LBB285_2909:                           ;   in Loop: Header=BB285_1581 Depth=1
	s_delay_alu instid0(SALU_CYCLE_1)
	s_or_b32 exec_lo, exec_lo, s15
.LBB285_2910:                           ;   in Loop: Header=BB285_1581 Depth=1
	s_delay_alu instid0(SALU_CYCLE_1) | instskip(SKIP_2) | instid1(VALU_DEP_1)
	s_or_b32 exec_lo, exec_lo, s14
	v_lshrrev_b16 v6, 8, v64
	s_mov_b32 s14, exec_lo
	v_cmpx_ne_u16_e32 0, v6
	s_cbranch_execz .LBB285_2918
; %bb.2911:                             ;   in Loop: Header=BB285_1581 Depth=1
	v_bfrev_b32_e32 v1, 1
	s_mov_b32 s15, exec_lo
	v_cmpx_ne_u16_e32 0x80, v6
	s_cbranch_execz .LBB285_2917
; %bb.2912:                             ;   in Loop: Header=BB285_1581 Depth=1
	v_and_b32_e32 v0, 0xffff, v6
	v_mov_b32_e32 v1, 0x7c010000
	s_mov_b32 s16, exec_lo
	s_delay_alu instid0(VALU_DEP_2) | instskip(NEXT) | instid1(VALU_DEP_1)
	v_and_b32_e32 v16, 0x7f, v0
	v_cmpx_ne_u32_e32 0x7f, v16
	s_cbranch_execz .LBB285_2916
; %bb.2913:                             ;   in Loop: Header=BB285_1581 Depth=1
	v_and_b32_e32 v1, 7, v0
	v_lshrrev_b32_e32 v9, 3, v16
	s_mov_b32 s17, exec_lo
	v_cmpx_gt_u32_e32 8, v16
; %bb.2914:                             ;   in Loop: Header=BB285_1581 Depth=1
	s_delay_alu instid0(VALU_DEP_3) | instskip(NEXT) | instid1(VALU_DEP_1)
	v_clz_i32_u32_e32 v1, v1
	v_min_u32_e32 v1, 32, v1
	s_delay_alu instid0(VALU_DEP_1) | instskip(NEXT) | instid1(VALU_DEP_1)
	v_subrev_nc_u32_e32 v9, 28, v1
	v_lshlrev_b64_e32 v[16:17], v9, v[6:7]
	s_delay_alu instid0(VALU_DEP_1)
	v_dual_sub_nc_u32 v9, 29, v1 :: v_dual_bitop2_b32 v1, 7, v16 bitop3:0x40
; %bb.2915:                             ;   in Loop: Header=BB285_1581 Depth=1
	s_or_b32 exec_lo, exec_lo, s17
	s_delay_alu instid0(VALU_DEP_1) | instskip(NEXT) | instid1(VALU_DEP_2)
	v_dual_lshlrev_b32 v0, 8, v0 :: v_dual_lshlrev_b32 v1, 23, v1
	v_lshl_add_u32 v6, v9, 10, 0x2000
	s_delay_alu instid0(VALU_DEP_1) | instskip(NEXT) | instid1(VALU_DEP_1)
	v_and_or_b32 v0, 0x8000, v0, v6
	v_lshl_or_b32 v1, v0, 16, v1
.LBB285_2916:                           ;   in Loop: Header=BB285_1581 Depth=1
	s_or_b32 exec_lo, exec_lo, s16
.LBB285_2917:                           ;   in Loop: Header=BB285_1581 Depth=1
	s_delay_alu instid0(SALU_CYCLE_1)
	s_or_b32 exec_lo, exec_lo, s15
.LBB285_2918:                           ;   in Loop: Header=BB285_1581 Depth=1
	s_delay_alu instid0(SALU_CYCLE_1) | instskip(SKIP_3) | instid1(VALU_DEP_2)
	s_or_b32 exec_lo, exec_lo, s14
	v_dual_mov_b32 v9, 0 :: v_dual_lshrrev_b32 v0, 16, v64
	v_mov_b32_e32 v16, 0
	s_mov_b32 s14, exec_lo
	v_and_b32_e32 v6, 0xff, v0
	s_delay_alu instid0(VALU_DEP_1)
	v_cmpx_ne_u16_e32 0, v6
	s_cbranch_execz .LBB285_2926
; %bb.2919:                             ;   in Loop: Header=BB285_1581 Depth=1
	v_mov_b32_e32 v16, 0x8000
	s_mov_b32 s15, exec_lo
	v_cmpx_ne_u16_e32 0x80, v6
	s_cbranch_execz .LBB285_2925
; %bb.2920:                             ;   in Loop: Header=BB285_1581 Depth=1
	v_bfe_u32 v17, v64, 16, 7
	v_mov_b32_e32 v16, 0x7c01
	s_mov_b32 s16, exec_lo
	s_delay_alu instid0(VALU_DEP_2)
	v_cmpx_ne_u32_e32 0x7f, v17
	s_cbranch_execz .LBB285_2924
; %bb.2921:                             ;   in Loop: Header=BB285_1581 Depth=1
	v_dual_lshrrev_b32 v16, 3, v17 :: v_dual_bitop2_b32 v6, 7, v0 bitop3:0x40
	s_mov_b32 s17, exec_lo
	v_cmpx_gt_u32_e32 8, v17
; %bb.2922:                             ;   in Loop: Header=BB285_1581 Depth=1
	s_delay_alu instid0(VALU_DEP_2) | instskip(NEXT) | instid1(VALU_DEP_1)
	v_clz_i32_u32_e32 v6, v6
	v_min_u32_e32 v6, 32, v6
	s_delay_alu instid0(VALU_DEP_1) | instskip(NEXT) | instid1(VALU_DEP_1)
	v_subrev_nc_u32_e32 v16, 28, v6
	v_lshlrev_b64_e32 v[18:19], v16, v[0:1]
	v_sub_nc_u32_e32 v16, 29, v6
	s_delay_alu instid0(VALU_DEP_2)
	v_and_b32_e32 v6, 7, v18
; %bb.2923:                             ;   in Loop: Header=BB285_1581 Depth=1
	s_or_b32 exec_lo, exec_lo, s17
	s_delay_alu instid0(VALU_DEP_1) | instskip(NEXT) | instid1(VALU_DEP_3)
	v_dual_lshlrev_b32 v0, 8, v0 :: v_dual_lshlrev_b32 v6, 7, v6
	v_lshl_add_u32 v16, v16, 10, 0x2000
	s_delay_alu instid0(VALU_DEP_2) | instskip(NEXT) | instid1(VALU_DEP_2)
	v_and_b32_e32 v0, 0x8000, v0
	v_and_b32_e32 v16, 0xfc00, v16
	s_delay_alu instid0(VALU_DEP_1)
	v_or3_b32 v16, v0, v16, v6
.LBB285_2924:                           ;   in Loop: Header=BB285_1581 Depth=1
	s_or_b32 exec_lo, exec_lo, s16
.LBB285_2925:                           ;   in Loop: Header=BB285_1581 Depth=1
	s_delay_alu instid0(SALU_CYCLE_1)
	s_or_b32 exec_lo, exec_lo, s15
.LBB285_2926:                           ;   in Loop: Header=BB285_1581 Depth=1
	s_delay_alu instid0(SALU_CYCLE_1) | instskip(NEXT) | instid1(SALU_CYCLE_1)
	s_or_b32 exec_lo, exec_lo, s14
	s_mov_b32 s14, exec_lo
	v_cmpx_lt_u32_e32 0xffffff, v64
	s_cbranch_execz .LBB285_2934
; %bb.2927:                             ;   in Loop: Header=BB285_1581 Depth=1
	v_lshrrev_b32_e32 v6, 24, v64
	v_bfrev_b32_e32 v9, 1
	s_mov_b32 s15, exec_lo
	s_delay_alu instid0(VALU_DEP_2)
	v_cmpx_ne_u32_e32 0x80, v6
	s_cbranch_execz .LBB285_2933
; %bb.2928:                             ;   in Loop: Header=BB285_1581 Depth=1
	v_and_b32_e32 v17, 0x7f, v6
	v_mov_b32_e32 v9, 0x7c010000
	s_mov_b32 s16, exec_lo
	s_delay_alu instid0(VALU_DEP_2)
	v_cmpx_ne_u32_e32 0x7f, v17
	s_cbranch_execz .LBB285_2932
; %bb.2929:                             ;   in Loop: Header=BB285_1581 Depth=1
	v_dual_lshrrev_b32 v9, 3, v17 :: v_dual_bitop2_b32 v0, 7, v6 bitop3:0x40
	s_mov_b32 s17, exec_lo
	v_cmpx_gt_u32_e32 8, v17
; %bb.2930:                             ;   in Loop: Header=BB285_1581 Depth=1
	s_delay_alu instid0(VALU_DEP_2) | instskip(NEXT) | instid1(VALU_DEP_1)
	v_clz_i32_u32_e32 v0, v0
	v_min_u32_e32 v0, 32, v0
	s_delay_alu instid0(VALU_DEP_1) | instskip(NEXT) | instid1(VALU_DEP_1)
	v_subrev_nc_u32_e32 v9, 28, v0
	v_lshlrev_b64_e32 v[18:19], v9, v[6:7]
	s_delay_alu instid0(VALU_DEP_1)
	v_dual_sub_nc_u32 v9, 29, v0 :: v_dual_bitop2_b32 v0, 7, v18 bitop3:0x40
; %bb.2931:                             ;   in Loop: Header=BB285_1581 Depth=1
	s_or_b32 exec_lo, exec_lo, s17
	s_delay_alu instid0(VALU_DEP_1) | instskip(NEXT) | instid1(VALU_DEP_2)
	v_dual_lshlrev_b32 v6, 8, v6 :: v_dual_lshlrev_b32 v0, 23, v0
	v_lshl_add_u32 v9, v9, 10, 0x2000
	s_delay_alu instid0(VALU_DEP_1) | instskip(NEXT) | instid1(VALU_DEP_1)
	v_and_or_b32 v6, 0x8000, v6, v9
	v_lshl_or_b32 v9, v6, 16, v0
.LBB285_2932:                           ;   in Loop: Header=BB285_1581 Depth=1
	s_or_b32 exec_lo, exec_lo, s16
.LBB285_2933:                           ;   in Loop: Header=BB285_1581 Depth=1
	s_delay_alu instid0(SALU_CYCLE_1)
	s_or_b32 exec_lo, exec_lo, s15
.LBB285_2934:                           ;   in Loop: Header=BB285_1581 Depth=1
	s_delay_alu instid0(SALU_CYCLE_1) | instskip(SKIP_4) | instid1(VALU_DEP_3)
	s_or_b32 exec_lo, exec_lo, s14
	v_and_b32_e32 v0, 0xff, v65
	v_dual_mov_b32 v6, v65 :: v_dual_mov_b32 v18, 0
	v_mov_b32_e32 v17, 0
	s_mov_b32 s14, exec_lo
	v_cmpx_ne_u16_e32 0, v0
	s_cbranch_execz .LBB285_2942
; %bb.2935:                             ;   in Loop: Header=BB285_1581 Depth=1
	v_mov_b32_e32 v17, 0x8000
	s_mov_b32 s15, exec_lo
	v_cmpx_ne_u16_e32 0x80, v0
	s_cbranch_execz .LBB285_2941
; %bb.2936:                             ;   in Loop: Header=BB285_1581 Depth=1
	v_and_b32_e32 v19, 0x7f, v65
	v_mov_b32_e32 v17, 0x7c01
	s_mov_b32 s16, exec_lo
	s_delay_alu instid0(VALU_DEP_2)
	v_cmpx_ne_u32_e32 0x7f, v19
	s_cbranch_execz .LBB285_2940
; %bb.2937:                             ;   in Loop: Header=BB285_1581 Depth=1
	v_dual_lshrrev_b32 v17, 3, v19 :: v_dual_bitop2_b32 v0, 7, v65 bitop3:0x40
	s_mov_b32 s17, exec_lo
	v_cmpx_gt_u32_e32 8, v19
; %bb.2938:                             ;   in Loop: Header=BB285_1581 Depth=1
	s_delay_alu instid0(VALU_DEP_2) | instskip(NEXT) | instid1(VALU_DEP_1)
	v_clz_i32_u32_e32 v0, v0
	v_min_u32_e32 v0, 32, v0
	s_delay_alu instid0(VALU_DEP_1) | instskip(NEXT) | instid1(VALU_DEP_1)
	v_subrev_nc_u32_e32 v17, 28, v0
	v_lshlrev_b64_e32 v[22:23], v17, v[6:7]
	s_delay_alu instid0(VALU_DEP_1)
	v_dual_sub_nc_u32 v17, 29, v0 :: v_dual_bitop2_b32 v0, 7, v22 bitop3:0x40
; %bb.2939:                             ;   in Loop: Header=BB285_1581 Depth=1
	s_or_b32 exec_lo, exec_lo, s17
	s_delay_alu instid0(VALU_DEP_1) | instskip(NEXT) | instid1(VALU_DEP_2)
	v_dual_lshlrev_b32 v19, 8, v65 :: v_dual_lshlrev_b32 v0, 7, v0
	v_lshl_add_u32 v17, v17, 10, 0x2000
	s_delay_alu instid0(VALU_DEP_2) | instskip(NEXT) | instid1(VALU_DEP_2)
	v_and_b32_e32 v19, 0x8000, v19
	v_and_b32_e32 v17, 0xfc00, v17
	s_delay_alu instid0(VALU_DEP_1)
	v_or3_b32 v17, v19, v17, v0
.LBB285_2940:                           ;   in Loop: Header=BB285_1581 Depth=1
	s_or_b32 exec_lo, exec_lo, s16
.LBB285_2941:                           ;   in Loop: Header=BB285_1581 Depth=1
	s_delay_alu instid0(SALU_CYCLE_1)
	s_or_b32 exec_lo, exec_lo, s15
.LBB285_2942:                           ;   in Loop: Header=BB285_1581 Depth=1
	s_delay_alu instid0(SALU_CYCLE_1) | instskip(SKIP_3) | instid1(VALU_DEP_2)
	s_or_b32 exec_lo, exec_lo, s14
	v_lshrrev_b16 v6, 8, v6
	v_mov_b32_e32 v19, 0
	s_mov_b32 s14, exec_lo
	v_cmpx_ne_u16_e32 0, v6
	s_cbranch_execz .LBB285_2950
; %bb.2943:                             ;   in Loop: Header=BB285_1581 Depth=1
	v_bfrev_b32_e32 v19, 1
	s_mov_b32 s15, exec_lo
	v_cmpx_ne_u16_e32 0x80, v6
	s_cbranch_execz .LBB285_2949
; %bb.2944:                             ;   in Loop: Header=BB285_1581 Depth=1
	v_and_b32_e32 v0, 0xffff, v6
	v_mov_b32_e32 v19, 0x7c010000
	s_mov_b32 s16, exec_lo
	s_delay_alu instid0(VALU_DEP_2) | instskip(NEXT) | instid1(VALU_DEP_1)
	v_and_b32_e32 v23, 0x7f, v0
	v_cmpx_ne_u32_e32 0x7f, v23
	s_cbranch_execz .LBB285_2948
; %bb.2945:                             ;   in Loop: Header=BB285_1581 Depth=1
	v_dual_lshrrev_b32 v22, 3, v23 :: v_dual_bitop2_b32 v19, 7, v0 bitop3:0x40
	s_mov_b32 s17, exec_lo
	v_cmpx_gt_u32_e32 8, v23
; %bb.2946:                             ;   in Loop: Header=BB285_1581 Depth=1
	s_delay_alu instid0(VALU_DEP_2) | instskip(NEXT) | instid1(VALU_DEP_1)
	v_clz_i32_u32_e32 v19, v19
	v_min_u32_e32 v19, 32, v19
	s_delay_alu instid0(VALU_DEP_1) | instskip(NEXT) | instid1(VALU_DEP_1)
	v_subrev_nc_u32_e32 v22, 28, v19
	v_lshlrev_b64_e32 v[66:67], v22, v[6:7]
	s_delay_alu instid0(VALU_DEP_1)
	v_dual_sub_nc_u32 v22, 29, v19 :: v_dual_bitop2_b32 v19, 7, v66 bitop3:0x40
; %bb.2947:                             ;   in Loop: Header=BB285_1581 Depth=1
	s_or_b32 exec_lo, exec_lo, s17
	v_lshlrev_b32_e32 v0, 8, v0
	s_delay_alu instid0(VALU_DEP_2) | instskip(NEXT) | instid1(VALU_DEP_1)
	v_lshl_add_u32 v6, v22, 10, 0x2000
	v_and_or_b32 v0, 0x8000, v0, v6
	v_lshlrev_b32_e32 v6, 23, v19
	s_delay_alu instid0(VALU_DEP_1)
	v_lshl_or_b32 v19, v0, 16, v6
.LBB285_2948:                           ;   in Loop: Header=BB285_1581 Depth=1
	s_or_b32 exec_lo, exec_lo, s16
.LBB285_2949:                           ;   in Loop: Header=BB285_1581 Depth=1
	s_delay_alu instid0(SALU_CYCLE_1)
	s_or_b32 exec_lo, exec_lo, s15
.LBB285_2950:                           ;   in Loop: Header=BB285_1581 Depth=1
	s_delay_alu instid0(SALU_CYCLE_1) | instskip(SKIP_2) | instid1(VALU_DEP_1)
	s_or_b32 exec_lo, exec_lo, s14
	v_lshrrev_b32_e32 v0, 16, v65
	s_mov_b32 s14, exec_lo
	v_and_b32_e32 v6, 0xff, v0
	s_delay_alu instid0(VALU_DEP_1)
	v_cmpx_ne_u16_e32 0, v6
	s_cbranch_execz .LBB285_2958
; %bb.2951:                             ;   in Loop: Header=BB285_1581 Depth=1
	v_mov_b32_e32 v18, 0x8000
	s_mov_b32 s15, exec_lo
	v_cmpx_ne_u16_e32 0x80, v6
	s_cbranch_execz .LBB285_2957
; %bb.2952:                             ;   in Loop: Header=BB285_1581 Depth=1
	v_bfe_u32 v22, v65, 16, 7
	v_mov_b32_e32 v18, 0x7c01
	s_mov_b32 s16, exec_lo
	s_delay_alu instid0(VALU_DEP_2)
	v_cmpx_ne_u32_e32 0x7f, v22
	s_cbranch_execz .LBB285_2956
; %bb.2953:                             ;   in Loop: Header=BB285_1581 Depth=1
	v_dual_lshrrev_b32 v18, 3, v22 :: v_dual_bitop2_b32 v6, 7, v0 bitop3:0x40
	s_mov_b32 s17, exec_lo
	v_cmpx_gt_u32_e32 8, v22
; %bb.2954:                             ;   in Loop: Header=BB285_1581 Depth=1
	s_delay_alu instid0(VALU_DEP_2) | instskip(NEXT) | instid1(VALU_DEP_1)
	v_clz_i32_u32_e32 v6, v6
	v_min_u32_e32 v6, 32, v6
	s_delay_alu instid0(VALU_DEP_1) | instskip(NEXT) | instid1(VALU_DEP_1)
	v_subrev_nc_u32_e32 v18, 28, v6
	v_lshlrev_b64_e32 v[22:23], v18, v[0:1]
	v_sub_nc_u32_e32 v18, 29, v6
	s_delay_alu instid0(VALU_DEP_2)
	v_and_b32_e32 v6, 7, v22
; %bb.2955:                             ;   in Loop: Header=BB285_1581 Depth=1
	s_or_b32 exec_lo, exec_lo, s17
	s_delay_alu instid0(VALU_DEP_1) | instskip(NEXT) | instid1(VALU_DEP_3)
	v_dual_lshlrev_b32 v0, 8, v0 :: v_dual_lshlrev_b32 v6, 7, v6
	v_lshl_add_u32 v18, v18, 10, 0x2000
	s_delay_alu instid0(VALU_DEP_2) | instskip(NEXT) | instid1(VALU_DEP_2)
	v_and_b32_e32 v0, 0x8000, v0
	v_and_b32_e32 v18, 0xfc00, v18
	s_delay_alu instid0(VALU_DEP_1)
	v_or3_b32 v18, v0, v18, v6
.LBB285_2956:                           ;   in Loop: Header=BB285_1581 Depth=1
	s_or_b32 exec_lo, exec_lo, s16
.LBB285_2957:                           ;   in Loop: Header=BB285_1581 Depth=1
	s_delay_alu instid0(SALU_CYCLE_1)
	s_or_b32 exec_lo, exec_lo, s15
.LBB285_2958:                           ;   in Loop: Header=BB285_1581 Depth=1
	s_delay_alu instid0(SALU_CYCLE_1)
	s_or_b32 exec_lo, exec_lo, s14
	v_mov_b32_e32 v0, 0
	s_mov_b32 s14, exec_lo
	v_cmpx_lt_u64_e64 s[2:3], v[64:65]
	s_cbranch_execz .LBB285_2966
; %bb.2959:                             ;   in Loop: Header=BB285_1581 Depth=1
	v_lshrrev_b32_e32 v6, 24, v65
	v_bfrev_b32_e32 v0, 1
	s_mov_b32 s15, exec_lo
	s_delay_alu instid0(VALU_DEP_2)
	v_cmpx_ne_u32_e32 0x80, v6
	s_cbranch_execz .LBB285_2965
; %bb.2960:                             ;   in Loop: Header=BB285_1581 Depth=1
	v_and_b32_e32 v23, 0x7f, v6
	v_mov_b32_e32 v0, 0x7c010000
	s_mov_b32 s16, exec_lo
	s_delay_alu instid0(VALU_DEP_2)
	v_cmpx_ne_u32_e32 0x7f, v23
	s_cbranch_execz .LBB285_2964
; %bb.2961:                             ;   in Loop: Header=BB285_1581 Depth=1
	v_dual_lshrrev_b32 v22, 3, v23 :: v_dual_bitop2_b32 v0, 7, v6 bitop3:0x40
	s_mov_b32 s17, exec_lo
	v_cmpx_gt_u32_e32 8, v23
; %bb.2962:                             ;   in Loop: Header=BB285_1581 Depth=1
	s_delay_alu instid0(VALU_DEP_2) | instskip(NEXT) | instid1(VALU_DEP_1)
	v_clz_i32_u32_e32 v0, v0
	v_min_u32_e32 v0, 32, v0
	s_delay_alu instid0(VALU_DEP_1) | instskip(NEXT) | instid1(VALU_DEP_1)
	v_subrev_nc_u32_e32 v22, 28, v0
	v_lshlrev_b64_e32 v[64:65], v22, v[6:7]
	v_sub_nc_u32_e32 v22, 29, v0
	s_delay_alu instid0(VALU_DEP_2)
	v_and_b32_e32 v0, 7, v64
; %bb.2963:                             ;   in Loop: Header=BB285_1581 Depth=1
	s_or_b32 exec_lo, exec_lo, s17
	s_delay_alu instid0(VALU_DEP_1) | instskip(NEXT) | instid1(VALU_DEP_3)
	v_dual_lshlrev_b32 v6, 8, v6 :: v_dual_lshlrev_b32 v0, 23, v0
	v_lshl_add_u32 v22, v22, 10, 0x2000
	s_delay_alu instid0(VALU_DEP_1) | instskip(NEXT) | instid1(VALU_DEP_1)
	v_and_or_b32 v6, 0x8000, v6, v22
	v_lshl_or_b32 v0, v6, 16, v0
.LBB285_2964:                           ;   in Loop: Header=BB285_1581 Depth=1
	s_or_b32 exec_lo, exec_lo, s16
.LBB285_2965:                           ;   in Loop: Header=BB285_1581 Depth=1
	s_delay_alu instid0(SALU_CYCLE_1)
	s_or_b32 exec_lo, exec_lo, s15
.LBB285_2966:                           ;   in Loop: Header=BB285_1581 Depth=1
	s_delay_alu instid0(SALU_CYCLE_1) | instskip(SKIP_2) | instid1(VALU_DEP_2)
	s_or_b32 exec_lo, exec_lo, s14
	v_dual_lshrrev_b32 v6, 16, v1 :: v_dual_bitop2_b32 v1, v1, v8 bitop3:0x54
	v_dual_lshrrev_b32 v22, 16, v9 :: v_dual_bitop2_b32 v16, v9, v16 bitop3:0x54
	v_cvt_f32_f16_e32 v9, v6
	v_dual_lshrrev_b32 v18, 16, v19 :: v_dual_bitop2_b32 v6, v0, v18 bitop3:0x54
	s_delay_alu instid0(VALU_DEP_3)
	v_cvt_f32_f16_e32 v8, v22
	v_dual_lshrrev_b32 v22, 16, v0 :: v_dual_bitop2_b32 v19, v19, v17 bitop3:0x54
	v_cvt_f32_f16_e32 v0, v16
	v_cvt_f32_f16_e32 v1, v1
	s_wait_loadcnt_dscnt 0x0
	v_pk_mul_f32 v[8:9], v[54:55], v[8:9] op_sel_hi:[0,1]
	v_cvt_f32_f16_e32 v17, v18
	v_cvt_f32_f16_e32 v16, v22
	;; [unrolled: 1-line block ×4, first 2 shown]
	v_pk_mul_f32 v[0:1], v[54:55], v[0:1] op_sel_hi:[0,1]
	v_cvt_pk_f16_f32 v6, v8, v9
	v_pk_mul_f32 v[8:9], v[54:55], v[16:17] op_sel_hi:[0,1]
	s_delay_alu instid0(VALU_DEP_4) | instskip(NEXT) | instid1(VALU_DEP_4)
	v_pk_mul_f32 v[16:17], v[54:55], v[18:19] op_sel_hi:[0,1]
	v_cvt_pk_f16_f32 v0, v0, v1
	s_delay_alu instid0(VALU_DEP_4) | instskip(NEXT) | instid1(VALU_DEP_4)
	v_and_b32_e32 v19, 0xffff0000, v6
	v_cvt_pk_f16_f32 v8, v8, v9
	v_lshlrev_b32_e32 v54, 16, v6
	v_cvt_pk_f16_f32 v6, v16, v17
	v_lshrrev_b32_e32 v67, 16, v0
	v_and_b32_e32 v68, 0xffff, v0
	v_and_b32_e32 v1, 0xffff0000, v8
	s_delay_alu instid0(VALU_DEP_4) | instskip(SKIP_3) | instid1(VALU_DEP_4)
	v_dual_lshlrev_b32 v0, 16, v8 :: v_dual_lshrrev_b32 v9, 16, v6
	v_and_b32_e32 v6, 0xffff, v6
	v_or_b32_e32 v65, v19, v67
	v_or_b32_e32 v66, v54, v68
	;; [unrolled: 1-line block ×3, first 2 shown]
	s_delay_alu instid0(VALU_DEP_4)
	v_or_b32_e32 v64, v0, v6
	s_and_saveexec_b32 s14, vcc_lo
	s_cbranch_execz .LBB285_2968
; %bb.2967:                             ;   in Loop: Header=BB285_1581 Depth=1
	v_cmp_lt_i32_e64 s0, v84, v13
	s_delay_alu instid0(VALU_DEP_1) | instskip(SKIP_1) | instid1(VALU_DEP_1)
	v_cndmask_b32_e64 v8, 0, v67, s0
	v_cmp_lt_i32_e64 s0, v99, v12
	v_cndmask_b32_e64 v16, 0, v68, s0
	v_cmp_lt_i32_e64 s0, v98, v13
	s_delay_alu instid0(VALU_DEP_1) | instskip(SKIP_1) | instid1(VALU_DEP_1)
	v_cndmask_b32_e64 v17, 0, v19, s0
	v_cmp_lt_i32_e64 s0, v97, v12
	v_cndmask_b32_e64 v18, 0, v54, s0
	v_cmp_lt_i32_e64 s0, v96, v13
	s_delay_alu instid0(VALU_DEP_4) | instskip(NEXT) | instid1(VALU_DEP_2)
	v_or_b32_e32 v65, v8, v17
	v_dual_cndmask_b32 v9, 0, v9, s0 :: v_dual_bitop2_b32 v66, v16, v18 bitop3:0x54
	v_cmp_lt_i32_e64 s0, v87, v12
	s_delay_alu instid0(VALU_DEP_1) | instskip(SKIP_1) | instid1(VALU_DEP_1)
	v_cndmask_b32_e64 v6, 0, v6, s0
	v_cmp_lt_i32_e64 s0, v86, v13
	v_cndmask_b32_e64 v1, 0, v1, s0
	v_cmp_lt_i32_e64 s0, v85, v12
	s_delay_alu instid0(VALU_DEP_1) | instskip(NEXT) | instid1(VALU_DEP_1)
	v_dual_cndmask_b32 v0, 0, v0, s0 :: v_dual_bitop2_b32 v55, v9, v1 bitop3:0x54
	v_or_b32_e32 v64, v6, v0
.LBB285_2968:                           ;   in Loop: Header=BB285_1581 Depth=1
	s_or_b32 exec_lo, exec_lo, s14
	;;#ASMSTART
	v_pk_mul_f16 v0, v112, v65;

	;;#ASMEND
	;;#ASMSTART
	v_pk_mul_f16 v1, v102, v66;

	;;#ASMEND
	;; [unrolled: 4-line block ×4, first 2 shown]
	;;#ASMSTART
	v_pk_add_f16 v0, v0, v1;

	;;#ASMEND
	;;#ASMSTART
	v_pk_add_f16 v0, v0, v6;

	;;#ASMEND
	;; [unrolled: 4-line block ×3, first 2 shown]
	v_and_b32_e32 v1, 0xffff, v0
	v_lshrrev_b32_e32 v0, 16, v0
	;;#ASMSTART
	v_cvt_f32_f16 v104, v1;
	;;#ASMEND
	;;#ASMSTART
	v_cvt_f32_f16 v105, v0;
	;;#ASMEND
	flat_load_b64 v[64:65], v[28:29] offset:5376
	scratch_load_b64 v[0:1], off, s32 offset:192 ; 8-byte Folded Reload
	v_mov_b32_e32 v8, 0
	s_mov_b32 s14, exec_lo
	s_wait_loadcnt 0x0
	flat_load_b32 v54, v[0:1]
	s_wait_dscnt 0x1
	s_wait_xcnt 0x0
	v_and_b32_e32 v0, 0xff, v64
	v_mov_b32_e32 v1, 0
	s_delay_alu instid0(VALU_DEP_2)
	v_cmpx_ne_u16_e32 0, v0
	s_cbranch_execz .LBB285_2976
; %bb.2969:                             ;   in Loop: Header=BB285_1581 Depth=1
	v_mov_b32_e32 v8, 0x8000
	s_mov_b32 s15, exec_lo
	v_cmpx_ne_u16_e32 0x80, v0
	s_cbranch_execz .LBB285_2975
; %bb.2970:                             ;   in Loop: Header=BB285_1581 Depth=1
	v_and_b32_e32 v9, 0x7f, v64
	v_mov_b32_e32 v8, 0x7c01
	s_mov_b32 s16, exec_lo
	s_delay_alu instid0(VALU_DEP_2)
	v_cmpx_ne_u32_e32 0x7f, v9
	s_cbranch_execz .LBB285_2974
; %bb.2971:                             ;   in Loop: Header=BB285_1581 Depth=1
	v_dual_lshrrev_b32 v6, 3, v9 :: v_dual_bitop2_b32 v0, 7, v64 bitop3:0x40
	s_mov_b32 s17, exec_lo
	v_cmpx_gt_u32_e32 8, v9
; %bb.2972:                             ;   in Loop: Header=BB285_1581 Depth=1
	s_delay_alu instid0(VALU_DEP_2) | instskip(NEXT) | instid1(VALU_DEP_1)
	v_clz_i32_u32_e32 v0, v0
	v_min_u32_e32 v0, 32, v0
	s_delay_alu instid0(VALU_DEP_1) | instskip(NEXT) | instid1(VALU_DEP_1)
	v_subrev_nc_u32_e32 v6, 28, v0
	v_lshlrev_b64_e32 v[8:9], v6, v[64:65]
	v_sub_nc_u32_e32 v6, 29, v0
	s_delay_alu instid0(VALU_DEP_2)
	v_and_b32_e32 v0, 7, v8
; %bb.2973:                             ;   in Loop: Header=BB285_1581 Depth=1
	s_or_b32 exec_lo, exec_lo, s17
	v_lshlrev_b32_e32 v8, 8, v64
	s_delay_alu instid0(VALU_DEP_3) | instskip(NEXT) | instid1(VALU_DEP_3)
	v_lshl_add_u32 v6, v6, 10, 0x2000
	v_lshlrev_b32_e32 v0, 7, v0
	s_delay_alu instid0(VALU_DEP_3) | instskip(NEXT) | instid1(VALU_DEP_3)
	v_and_b32_e32 v8, 0x8000, v8
	v_and_b32_e32 v6, 0xfc00, v6
	s_delay_alu instid0(VALU_DEP_1)
	v_or3_b32 v8, v8, v6, v0
.LBB285_2974:                           ;   in Loop: Header=BB285_1581 Depth=1
	s_or_b32 exec_lo, exec_lo, s16
.LBB285_2975:                           ;   in Loop: Header=BB285_1581 Depth=1
	s_delay_alu instid0(SALU_CYCLE_1)
	s_or_b32 exec_lo, exec_lo, s15
.LBB285_2976:                           ;   in Loop: Header=BB285_1581 Depth=1
	s_delay_alu instid0(SALU_CYCLE_1) | instskip(SKIP_2) | instid1(VALU_DEP_1)
	s_or_b32 exec_lo, exec_lo, s14
	v_lshrrev_b16 v6, 8, v64
	s_mov_b32 s14, exec_lo
	v_cmpx_ne_u16_e32 0, v6
	s_cbranch_execz .LBB285_2984
; %bb.2977:                             ;   in Loop: Header=BB285_1581 Depth=1
	v_bfrev_b32_e32 v1, 1
	s_mov_b32 s15, exec_lo
	v_cmpx_ne_u16_e32 0x80, v6
	s_cbranch_execz .LBB285_2983
; %bb.2978:                             ;   in Loop: Header=BB285_1581 Depth=1
	v_and_b32_e32 v0, 0xffff, v6
	v_mov_b32_e32 v1, 0x7c010000
	s_mov_b32 s16, exec_lo
	s_delay_alu instid0(VALU_DEP_2) | instskip(NEXT) | instid1(VALU_DEP_1)
	v_and_b32_e32 v16, 0x7f, v0
	v_cmpx_ne_u32_e32 0x7f, v16
	s_cbranch_execz .LBB285_2982
; %bb.2979:                             ;   in Loop: Header=BB285_1581 Depth=1
	v_and_b32_e32 v1, 7, v0
	v_lshrrev_b32_e32 v9, 3, v16
	s_mov_b32 s17, exec_lo
	v_cmpx_gt_u32_e32 8, v16
; %bb.2980:                             ;   in Loop: Header=BB285_1581 Depth=1
	s_delay_alu instid0(VALU_DEP_3) | instskip(NEXT) | instid1(VALU_DEP_1)
	v_clz_i32_u32_e32 v1, v1
	v_min_u32_e32 v1, 32, v1
	s_delay_alu instid0(VALU_DEP_1) | instskip(NEXT) | instid1(VALU_DEP_1)
	v_subrev_nc_u32_e32 v9, 28, v1
	v_lshlrev_b64_e32 v[16:17], v9, v[6:7]
	s_delay_alu instid0(VALU_DEP_1)
	v_dual_sub_nc_u32 v9, 29, v1 :: v_dual_bitop2_b32 v1, 7, v16 bitop3:0x40
; %bb.2981:                             ;   in Loop: Header=BB285_1581 Depth=1
	s_or_b32 exec_lo, exec_lo, s17
	s_delay_alu instid0(VALU_DEP_1) | instskip(NEXT) | instid1(VALU_DEP_2)
	v_dual_lshlrev_b32 v0, 8, v0 :: v_dual_lshlrev_b32 v1, 23, v1
	v_lshl_add_u32 v6, v9, 10, 0x2000
	s_delay_alu instid0(VALU_DEP_1) | instskip(NEXT) | instid1(VALU_DEP_1)
	v_and_or_b32 v0, 0x8000, v0, v6
	v_lshl_or_b32 v1, v0, 16, v1
.LBB285_2982:                           ;   in Loop: Header=BB285_1581 Depth=1
	s_or_b32 exec_lo, exec_lo, s16
.LBB285_2983:                           ;   in Loop: Header=BB285_1581 Depth=1
	s_delay_alu instid0(SALU_CYCLE_1)
	s_or_b32 exec_lo, exec_lo, s15
.LBB285_2984:                           ;   in Loop: Header=BB285_1581 Depth=1
	s_delay_alu instid0(SALU_CYCLE_1) | instskip(SKIP_3) | instid1(VALU_DEP_2)
	s_or_b32 exec_lo, exec_lo, s14
	v_dual_mov_b32 v9, 0 :: v_dual_lshrrev_b32 v0, 16, v64
	v_mov_b32_e32 v16, 0
	s_mov_b32 s14, exec_lo
	v_and_b32_e32 v6, 0xff, v0
	s_delay_alu instid0(VALU_DEP_1)
	v_cmpx_ne_u16_e32 0, v6
	s_cbranch_execz .LBB285_2992
; %bb.2985:                             ;   in Loop: Header=BB285_1581 Depth=1
	v_mov_b32_e32 v16, 0x8000
	s_mov_b32 s15, exec_lo
	v_cmpx_ne_u16_e32 0x80, v6
	s_cbranch_execz .LBB285_2991
; %bb.2986:                             ;   in Loop: Header=BB285_1581 Depth=1
	v_bfe_u32 v17, v64, 16, 7
	v_mov_b32_e32 v16, 0x7c01
	s_mov_b32 s16, exec_lo
	s_delay_alu instid0(VALU_DEP_2)
	v_cmpx_ne_u32_e32 0x7f, v17
	s_cbranch_execz .LBB285_2990
; %bb.2987:                             ;   in Loop: Header=BB285_1581 Depth=1
	v_dual_lshrrev_b32 v16, 3, v17 :: v_dual_bitop2_b32 v6, 7, v0 bitop3:0x40
	s_mov_b32 s17, exec_lo
	v_cmpx_gt_u32_e32 8, v17
; %bb.2988:                             ;   in Loop: Header=BB285_1581 Depth=1
	s_delay_alu instid0(VALU_DEP_2) | instskip(NEXT) | instid1(VALU_DEP_1)
	v_clz_i32_u32_e32 v6, v6
	v_min_u32_e32 v6, 32, v6
	s_delay_alu instid0(VALU_DEP_1) | instskip(NEXT) | instid1(VALU_DEP_1)
	v_subrev_nc_u32_e32 v16, 28, v6
	v_lshlrev_b64_e32 v[18:19], v16, v[0:1]
	v_sub_nc_u32_e32 v16, 29, v6
	s_delay_alu instid0(VALU_DEP_2)
	v_and_b32_e32 v6, 7, v18
; %bb.2989:                             ;   in Loop: Header=BB285_1581 Depth=1
	s_or_b32 exec_lo, exec_lo, s17
	s_delay_alu instid0(VALU_DEP_1) | instskip(NEXT) | instid1(VALU_DEP_3)
	v_dual_lshlrev_b32 v0, 8, v0 :: v_dual_lshlrev_b32 v6, 7, v6
	v_lshl_add_u32 v16, v16, 10, 0x2000
	s_delay_alu instid0(VALU_DEP_2) | instskip(NEXT) | instid1(VALU_DEP_2)
	v_and_b32_e32 v0, 0x8000, v0
	v_and_b32_e32 v16, 0xfc00, v16
	s_delay_alu instid0(VALU_DEP_1)
	v_or3_b32 v16, v0, v16, v6
.LBB285_2990:                           ;   in Loop: Header=BB285_1581 Depth=1
	s_or_b32 exec_lo, exec_lo, s16
.LBB285_2991:                           ;   in Loop: Header=BB285_1581 Depth=1
	s_delay_alu instid0(SALU_CYCLE_1)
	s_or_b32 exec_lo, exec_lo, s15
.LBB285_2992:                           ;   in Loop: Header=BB285_1581 Depth=1
	s_delay_alu instid0(SALU_CYCLE_1) | instskip(NEXT) | instid1(SALU_CYCLE_1)
	s_or_b32 exec_lo, exec_lo, s14
	s_mov_b32 s14, exec_lo
	v_cmpx_lt_u32_e32 0xffffff, v64
	s_cbranch_execz .LBB285_3000
; %bb.2993:                             ;   in Loop: Header=BB285_1581 Depth=1
	v_lshrrev_b32_e32 v6, 24, v64
	v_bfrev_b32_e32 v9, 1
	s_mov_b32 s15, exec_lo
	s_delay_alu instid0(VALU_DEP_2)
	v_cmpx_ne_u32_e32 0x80, v6
	s_cbranch_execz .LBB285_2999
; %bb.2994:                             ;   in Loop: Header=BB285_1581 Depth=1
	v_and_b32_e32 v17, 0x7f, v6
	v_mov_b32_e32 v9, 0x7c010000
	s_mov_b32 s16, exec_lo
	s_delay_alu instid0(VALU_DEP_2)
	v_cmpx_ne_u32_e32 0x7f, v17
	s_cbranch_execz .LBB285_2998
; %bb.2995:                             ;   in Loop: Header=BB285_1581 Depth=1
	v_dual_lshrrev_b32 v9, 3, v17 :: v_dual_bitop2_b32 v0, 7, v6 bitop3:0x40
	s_mov_b32 s17, exec_lo
	v_cmpx_gt_u32_e32 8, v17
; %bb.2996:                             ;   in Loop: Header=BB285_1581 Depth=1
	s_delay_alu instid0(VALU_DEP_2) | instskip(NEXT) | instid1(VALU_DEP_1)
	v_clz_i32_u32_e32 v0, v0
	v_min_u32_e32 v0, 32, v0
	s_delay_alu instid0(VALU_DEP_1) | instskip(NEXT) | instid1(VALU_DEP_1)
	v_subrev_nc_u32_e32 v9, 28, v0
	v_lshlrev_b64_e32 v[18:19], v9, v[6:7]
	s_delay_alu instid0(VALU_DEP_1)
	v_dual_sub_nc_u32 v9, 29, v0 :: v_dual_bitop2_b32 v0, 7, v18 bitop3:0x40
; %bb.2997:                             ;   in Loop: Header=BB285_1581 Depth=1
	s_or_b32 exec_lo, exec_lo, s17
	s_delay_alu instid0(VALU_DEP_1) | instskip(NEXT) | instid1(VALU_DEP_2)
	v_dual_lshlrev_b32 v6, 8, v6 :: v_dual_lshlrev_b32 v0, 23, v0
	v_lshl_add_u32 v9, v9, 10, 0x2000
	s_delay_alu instid0(VALU_DEP_1) | instskip(NEXT) | instid1(VALU_DEP_1)
	v_and_or_b32 v6, 0x8000, v6, v9
	v_lshl_or_b32 v9, v6, 16, v0
.LBB285_2998:                           ;   in Loop: Header=BB285_1581 Depth=1
	s_or_b32 exec_lo, exec_lo, s16
.LBB285_2999:                           ;   in Loop: Header=BB285_1581 Depth=1
	s_delay_alu instid0(SALU_CYCLE_1)
	s_or_b32 exec_lo, exec_lo, s15
.LBB285_3000:                           ;   in Loop: Header=BB285_1581 Depth=1
	s_delay_alu instid0(SALU_CYCLE_1) | instskip(SKIP_4) | instid1(VALU_DEP_3)
	s_or_b32 exec_lo, exec_lo, s14
	v_and_b32_e32 v0, 0xff, v65
	v_dual_mov_b32 v6, v65 :: v_dual_mov_b32 v18, 0
	v_mov_b32_e32 v17, 0
	s_mov_b32 s14, exec_lo
	v_cmpx_ne_u16_e32 0, v0
	s_cbranch_execz .LBB285_3008
; %bb.3001:                             ;   in Loop: Header=BB285_1581 Depth=1
	v_mov_b32_e32 v17, 0x8000
	s_mov_b32 s15, exec_lo
	v_cmpx_ne_u16_e32 0x80, v0
	s_cbranch_execz .LBB285_3007
; %bb.3002:                             ;   in Loop: Header=BB285_1581 Depth=1
	v_and_b32_e32 v19, 0x7f, v65
	v_mov_b32_e32 v17, 0x7c01
	s_mov_b32 s16, exec_lo
	s_delay_alu instid0(VALU_DEP_2)
	v_cmpx_ne_u32_e32 0x7f, v19
	s_cbranch_execz .LBB285_3006
; %bb.3003:                             ;   in Loop: Header=BB285_1581 Depth=1
	v_dual_lshrrev_b32 v17, 3, v19 :: v_dual_bitop2_b32 v0, 7, v65 bitop3:0x40
	s_mov_b32 s17, exec_lo
	v_cmpx_gt_u32_e32 8, v19
; %bb.3004:                             ;   in Loop: Header=BB285_1581 Depth=1
	s_delay_alu instid0(VALU_DEP_2) | instskip(NEXT) | instid1(VALU_DEP_1)
	v_clz_i32_u32_e32 v0, v0
	v_min_u32_e32 v0, 32, v0
	s_delay_alu instid0(VALU_DEP_1) | instskip(NEXT) | instid1(VALU_DEP_1)
	v_subrev_nc_u32_e32 v17, 28, v0
	v_lshlrev_b64_e32 v[22:23], v17, v[6:7]
	s_delay_alu instid0(VALU_DEP_1)
	v_dual_sub_nc_u32 v17, 29, v0 :: v_dual_bitop2_b32 v0, 7, v22 bitop3:0x40
; %bb.3005:                             ;   in Loop: Header=BB285_1581 Depth=1
	s_or_b32 exec_lo, exec_lo, s17
	s_delay_alu instid0(VALU_DEP_1) | instskip(NEXT) | instid1(VALU_DEP_2)
	v_dual_lshlrev_b32 v19, 8, v65 :: v_dual_lshlrev_b32 v0, 7, v0
	v_lshl_add_u32 v17, v17, 10, 0x2000
	s_delay_alu instid0(VALU_DEP_2) | instskip(NEXT) | instid1(VALU_DEP_2)
	v_and_b32_e32 v19, 0x8000, v19
	v_and_b32_e32 v17, 0xfc00, v17
	s_delay_alu instid0(VALU_DEP_1)
	v_or3_b32 v17, v19, v17, v0
.LBB285_3006:                           ;   in Loop: Header=BB285_1581 Depth=1
	s_or_b32 exec_lo, exec_lo, s16
.LBB285_3007:                           ;   in Loop: Header=BB285_1581 Depth=1
	s_delay_alu instid0(SALU_CYCLE_1)
	s_or_b32 exec_lo, exec_lo, s15
.LBB285_3008:                           ;   in Loop: Header=BB285_1581 Depth=1
	s_delay_alu instid0(SALU_CYCLE_1) | instskip(SKIP_3) | instid1(VALU_DEP_2)
	s_or_b32 exec_lo, exec_lo, s14
	v_lshrrev_b16 v6, 8, v6
	v_mov_b32_e32 v19, 0
	s_mov_b32 s14, exec_lo
	v_cmpx_ne_u16_e32 0, v6
	s_cbranch_execz .LBB285_3016
; %bb.3009:                             ;   in Loop: Header=BB285_1581 Depth=1
	v_bfrev_b32_e32 v19, 1
	s_mov_b32 s15, exec_lo
	v_cmpx_ne_u16_e32 0x80, v6
	s_cbranch_execz .LBB285_3015
; %bb.3010:                             ;   in Loop: Header=BB285_1581 Depth=1
	v_and_b32_e32 v0, 0xffff, v6
	v_mov_b32_e32 v19, 0x7c010000
	s_mov_b32 s16, exec_lo
	s_delay_alu instid0(VALU_DEP_2) | instskip(NEXT) | instid1(VALU_DEP_1)
	v_and_b32_e32 v23, 0x7f, v0
	v_cmpx_ne_u32_e32 0x7f, v23
	s_cbranch_execz .LBB285_3014
; %bb.3011:                             ;   in Loop: Header=BB285_1581 Depth=1
	v_dual_lshrrev_b32 v22, 3, v23 :: v_dual_bitop2_b32 v19, 7, v0 bitop3:0x40
	s_mov_b32 s17, exec_lo
	v_cmpx_gt_u32_e32 8, v23
; %bb.3012:                             ;   in Loop: Header=BB285_1581 Depth=1
	s_delay_alu instid0(VALU_DEP_2) | instskip(NEXT) | instid1(VALU_DEP_1)
	v_clz_i32_u32_e32 v19, v19
	v_min_u32_e32 v19, 32, v19
	s_delay_alu instid0(VALU_DEP_1) | instskip(NEXT) | instid1(VALU_DEP_1)
	v_subrev_nc_u32_e32 v22, 28, v19
	v_lshlrev_b64_e32 v[66:67], v22, v[6:7]
	s_delay_alu instid0(VALU_DEP_1)
	v_dual_sub_nc_u32 v22, 29, v19 :: v_dual_bitop2_b32 v19, 7, v66 bitop3:0x40
; %bb.3013:                             ;   in Loop: Header=BB285_1581 Depth=1
	s_or_b32 exec_lo, exec_lo, s17
	v_lshlrev_b32_e32 v0, 8, v0
	s_delay_alu instid0(VALU_DEP_2) | instskip(NEXT) | instid1(VALU_DEP_1)
	v_lshl_add_u32 v6, v22, 10, 0x2000
	v_and_or_b32 v0, 0x8000, v0, v6
	v_lshlrev_b32_e32 v6, 23, v19
	s_delay_alu instid0(VALU_DEP_1)
	v_lshl_or_b32 v19, v0, 16, v6
.LBB285_3014:                           ;   in Loop: Header=BB285_1581 Depth=1
	s_or_b32 exec_lo, exec_lo, s16
.LBB285_3015:                           ;   in Loop: Header=BB285_1581 Depth=1
	s_delay_alu instid0(SALU_CYCLE_1)
	s_or_b32 exec_lo, exec_lo, s15
.LBB285_3016:                           ;   in Loop: Header=BB285_1581 Depth=1
	s_delay_alu instid0(SALU_CYCLE_1) | instskip(SKIP_2) | instid1(VALU_DEP_1)
	s_or_b32 exec_lo, exec_lo, s14
	v_lshrrev_b32_e32 v0, 16, v65
	s_mov_b32 s14, exec_lo
	v_and_b32_e32 v6, 0xff, v0
	s_delay_alu instid0(VALU_DEP_1)
	v_cmpx_ne_u16_e32 0, v6
	s_cbranch_execz .LBB285_3024
; %bb.3017:                             ;   in Loop: Header=BB285_1581 Depth=1
	v_mov_b32_e32 v18, 0x8000
	s_mov_b32 s15, exec_lo
	v_cmpx_ne_u16_e32 0x80, v6
	s_cbranch_execz .LBB285_3023
; %bb.3018:                             ;   in Loop: Header=BB285_1581 Depth=1
	v_bfe_u32 v22, v65, 16, 7
	v_mov_b32_e32 v18, 0x7c01
	s_mov_b32 s16, exec_lo
	s_delay_alu instid0(VALU_DEP_2)
	v_cmpx_ne_u32_e32 0x7f, v22
	s_cbranch_execz .LBB285_3022
; %bb.3019:                             ;   in Loop: Header=BB285_1581 Depth=1
	v_dual_lshrrev_b32 v18, 3, v22 :: v_dual_bitop2_b32 v6, 7, v0 bitop3:0x40
	s_mov_b32 s17, exec_lo
	v_cmpx_gt_u32_e32 8, v22
; %bb.3020:                             ;   in Loop: Header=BB285_1581 Depth=1
	s_delay_alu instid0(VALU_DEP_2) | instskip(NEXT) | instid1(VALU_DEP_1)
	v_clz_i32_u32_e32 v6, v6
	v_min_u32_e32 v6, 32, v6
	s_delay_alu instid0(VALU_DEP_1) | instskip(NEXT) | instid1(VALU_DEP_1)
	v_subrev_nc_u32_e32 v18, 28, v6
	v_lshlrev_b64_e32 v[22:23], v18, v[0:1]
	v_sub_nc_u32_e32 v18, 29, v6
	s_delay_alu instid0(VALU_DEP_2)
	v_and_b32_e32 v6, 7, v22
; %bb.3021:                             ;   in Loop: Header=BB285_1581 Depth=1
	s_or_b32 exec_lo, exec_lo, s17
	s_delay_alu instid0(VALU_DEP_1) | instskip(NEXT) | instid1(VALU_DEP_3)
	v_dual_lshlrev_b32 v0, 8, v0 :: v_dual_lshlrev_b32 v6, 7, v6
	v_lshl_add_u32 v18, v18, 10, 0x2000
	s_delay_alu instid0(VALU_DEP_2) | instskip(NEXT) | instid1(VALU_DEP_2)
	v_and_b32_e32 v0, 0x8000, v0
	v_and_b32_e32 v18, 0xfc00, v18
	s_delay_alu instid0(VALU_DEP_1)
	v_or3_b32 v18, v0, v18, v6
.LBB285_3022:                           ;   in Loop: Header=BB285_1581 Depth=1
	s_or_b32 exec_lo, exec_lo, s16
.LBB285_3023:                           ;   in Loop: Header=BB285_1581 Depth=1
	s_delay_alu instid0(SALU_CYCLE_1)
	s_or_b32 exec_lo, exec_lo, s15
.LBB285_3024:                           ;   in Loop: Header=BB285_1581 Depth=1
	s_delay_alu instid0(SALU_CYCLE_1)
	s_or_b32 exec_lo, exec_lo, s14
	v_mov_b32_e32 v0, 0
	s_mov_b32 s14, exec_lo
	v_cmpx_lt_u64_e64 s[2:3], v[64:65]
	s_cbranch_execz .LBB285_3032
; %bb.3025:                             ;   in Loop: Header=BB285_1581 Depth=1
	v_lshrrev_b32_e32 v6, 24, v65
	v_bfrev_b32_e32 v0, 1
	s_mov_b32 s15, exec_lo
	s_delay_alu instid0(VALU_DEP_2)
	v_cmpx_ne_u32_e32 0x80, v6
	s_cbranch_execz .LBB285_3031
; %bb.3026:                             ;   in Loop: Header=BB285_1581 Depth=1
	v_and_b32_e32 v23, 0x7f, v6
	v_mov_b32_e32 v0, 0x7c010000
	s_mov_b32 s16, exec_lo
	s_delay_alu instid0(VALU_DEP_2)
	v_cmpx_ne_u32_e32 0x7f, v23
	s_cbranch_execz .LBB285_3030
; %bb.3027:                             ;   in Loop: Header=BB285_1581 Depth=1
	v_dual_lshrrev_b32 v22, 3, v23 :: v_dual_bitop2_b32 v0, 7, v6 bitop3:0x40
	s_mov_b32 s17, exec_lo
	v_cmpx_gt_u32_e32 8, v23
; %bb.3028:                             ;   in Loop: Header=BB285_1581 Depth=1
	s_delay_alu instid0(VALU_DEP_2) | instskip(NEXT) | instid1(VALU_DEP_1)
	v_clz_i32_u32_e32 v0, v0
	v_min_u32_e32 v0, 32, v0
	s_delay_alu instid0(VALU_DEP_1) | instskip(NEXT) | instid1(VALU_DEP_1)
	v_subrev_nc_u32_e32 v22, 28, v0
	v_lshlrev_b64_e32 v[64:65], v22, v[6:7]
	v_sub_nc_u32_e32 v22, 29, v0
	s_delay_alu instid0(VALU_DEP_2)
	v_and_b32_e32 v0, 7, v64
; %bb.3029:                             ;   in Loop: Header=BB285_1581 Depth=1
	s_or_b32 exec_lo, exec_lo, s17
	s_delay_alu instid0(VALU_DEP_1) | instskip(NEXT) | instid1(VALU_DEP_3)
	v_dual_lshlrev_b32 v6, 8, v6 :: v_dual_lshlrev_b32 v0, 23, v0
	v_lshl_add_u32 v22, v22, 10, 0x2000
	s_delay_alu instid0(VALU_DEP_1) | instskip(NEXT) | instid1(VALU_DEP_1)
	v_and_or_b32 v6, 0x8000, v6, v22
	v_lshl_or_b32 v0, v6, 16, v0
.LBB285_3030:                           ;   in Loop: Header=BB285_1581 Depth=1
	s_or_b32 exec_lo, exec_lo, s16
.LBB285_3031:                           ;   in Loop: Header=BB285_1581 Depth=1
	s_delay_alu instid0(SALU_CYCLE_1)
	s_or_b32 exec_lo, exec_lo, s15
.LBB285_3032:                           ;   in Loop: Header=BB285_1581 Depth=1
	s_delay_alu instid0(SALU_CYCLE_1) | instskip(SKIP_2) | instid1(VALU_DEP_2)
	s_or_b32 exec_lo, exec_lo, s14
	v_dual_lshrrev_b32 v6, 16, v1 :: v_dual_bitop2_b32 v1, v1, v8 bitop3:0x54
	v_dual_lshrrev_b32 v22, 16, v9 :: v_dual_bitop2_b32 v16, v9, v16 bitop3:0x54
	v_cvt_f32_f16_e32 v9, v6
	v_dual_lshrrev_b32 v18, 16, v19 :: v_dual_bitop2_b32 v6, v0, v18 bitop3:0x54
	s_delay_alu instid0(VALU_DEP_3)
	v_cvt_f32_f16_e32 v8, v22
	v_dual_lshrrev_b32 v22, 16, v0 :: v_dual_bitop2_b32 v19, v19, v17 bitop3:0x54
	v_cvt_f32_f16_e32 v0, v16
	v_cvt_f32_f16_e32 v1, v1
	s_wait_loadcnt_dscnt 0x0
	v_pk_mul_f32 v[8:9], v[54:55], v[8:9] op_sel_hi:[0,1]
	v_cvt_f32_f16_e32 v17, v18
	v_cvt_f32_f16_e32 v16, v22
	v_cvt_f32_f16_e32 v18, v6
	v_cvt_f32_f16_e32 v19, v19
	v_pk_mul_f32 v[0:1], v[54:55], v[0:1] op_sel_hi:[0,1]
	v_cvt_pk_f16_f32 v6, v8, v9
	v_pk_mul_f32 v[8:9], v[54:55], v[16:17] op_sel_hi:[0,1]
	s_delay_alu instid0(VALU_DEP_4) | instskip(NEXT) | instid1(VALU_DEP_4)
	v_pk_mul_f32 v[16:17], v[54:55], v[18:19] op_sel_hi:[0,1]
	v_cvt_pk_f16_f32 v0, v0, v1
	s_delay_alu instid0(VALU_DEP_4) | instskip(NEXT) | instid1(VALU_DEP_4)
	v_and_b32_e32 v19, 0xffff0000, v6
	v_cvt_pk_f16_f32 v8, v8, v9
	v_lshlrev_b32_e32 v54, 16, v6
	v_cvt_pk_f16_f32 v6, v16, v17
	v_lshrrev_b32_e32 v67, 16, v0
	v_and_b32_e32 v68, 0xffff, v0
	v_and_b32_e32 v1, 0xffff0000, v8
	s_delay_alu instid0(VALU_DEP_4) | instskip(SKIP_3) | instid1(VALU_DEP_4)
	v_dual_lshlrev_b32 v0, 16, v8 :: v_dual_lshrrev_b32 v9, 16, v6
	v_and_b32_e32 v6, 0xffff, v6
	v_or_b32_e32 v65, v19, v67
	v_or_b32_e32 v66, v54, v68
	;; [unrolled: 1-line block ×3, first 2 shown]
	s_delay_alu instid0(VALU_DEP_4)
	v_or_b32_e32 v64, v0, v6
	s_and_saveexec_b32 s14, vcc_lo
	s_cbranch_execz .LBB285_3034
; %bb.3033:                             ;   in Loop: Header=BB285_1581 Depth=1
	v_cmp_lt_i32_e64 s0, v84, v13
	s_delay_alu instid0(VALU_DEP_1) | instskip(SKIP_1) | instid1(VALU_DEP_1)
	v_cndmask_b32_e64 v8, 0, v67, s0
	v_cmp_lt_i32_e64 s0, v99, v12
	v_cndmask_b32_e64 v16, 0, v68, s0
	v_cmp_lt_i32_e64 s0, v98, v13
	s_delay_alu instid0(VALU_DEP_1) | instskip(SKIP_1) | instid1(VALU_DEP_1)
	v_cndmask_b32_e64 v17, 0, v19, s0
	v_cmp_lt_i32_e64 s0, v97, v12
	v_cndmask_b32_e64 v18, 0, v54, s0
	v_cmp_lt_i32_e64 s0, v96, v13
	s_delay_alu instid0(VALU_DEP_4) | instskip(NEXT) | instid1(VALU_DEP_2)
	v_or_b32_e32 v65, v8, v17
	v_dual_cndmask_b32 v9, 0, v9, s0 :: v_dual_bitop2_b32 v66, v16, v18 bitop3:0x54
	v_cmp_lt_i32_e64 s0, v87, v12
	s_delay_alu instid0(VALU_DEP_1) | instskip(SKIP_1) | instid1(VALU_DEP_1)
	v_cndmask_b32_e64 v6, 0, v6, s0
	v_cmp_lt_i32_e64 s0, v86, v13
	v_cndmask_b32_e64 v1, 0, v1, s0
	v_cmp_lt_i32_e64 s0, v85, v12
	s_delay_alu instid0(VALU_DEP_1) | instskip(NEXT) | instid1(VALU_DEP_1)
	v_dual_cndmask_b32 v0, 0, v0, s0 :: v_dual_bitop2_b32 v55, v9, v1 bitop3:0x54
	v_or_b32_e32 v64, v6, v0
.LBB285_3034:                           ;   in Loop: Header=BB285_1581 Depth=1
	s_or_b32 exec_lo, exec_lo, s14
	;;#ASMSTART
	v_pk_mul_f16 v0, v112, v65;

	;;#ASMEND
	;;#ASMSTART
	v_pk_mul_f16 v1, v102, v66;

	;;#ASMEND
	;; [unrolled: 4-line block ×4, first 2 shown]
	;;#ASMSTART
	v_pk_add_f16 v0, v0, v1;

	;;#ASMEND
	;;#ASMSTART
	v_pk_add_f16 v0, v0, v6;

	;;#ASMEND
	;; [unrolled: 4-line block ×3, first 2 shown]
	v_and_b32_e32 v1, 0xffff, v0
	v_lshrrev_b32_e32 v0, 16, v0
	;;#ASMSTART
	v_cvt_f32_f16 v106, v1;
	;;#ASMEND
	;;#ASMSTART
	v_cvt_f32_f16 v107, v0;
	;;#ASMEND
	flat_load_b64 v[64:65], v[28:29] offset:5632
	scratch_load_b64 v[0:1], off, s32 offset:192 ; 8-byte Folded Reload
	v_mov_b32_e32 v8, 0
	s_mov_b32 s14, exec_lo
	s_wait_loadcnt 0x0
	flat_load_b32 v54, v[0:1]
	s_wait_dscnt 0x1
	s_wait_xcnt 0x0
	v_and_b32_e32 v0, 0xff, v64
	v_mov_b32_e32 v1, 0
	s_delay_alu instid0(VALU_DEP_2)
	v_cmpx_ne_u16_e32 0, v0
	s_cbranch_execz .LBB285_3042
; %bb.3035:                             ;   in Loop: Header=BB285_1581 Depth=1
	v_mov_b32_e32 v8, 0x8000
	s_mov_b32 s15, exec_lo
	v_cmpx_ne_u16_e32 0x80, v0
	s_cbranch_execz .LBB285_3041
; %bb.3036:                             ;   in Loop: Header=BB285_1581 Depth=1
	v_and_b32_e32 v9, 0x7f, v64
	v_mov_b32_e32 v8, 0x7c01
	s_mov_b32 s16, exec_lo
	s_delay_alu instid0(VALU_DEP_2)
	v_cmpx_ne_u32_e32 0x7f, v9
	s_cbranch_execz .LBB285_3040
; %bb.3037:                             ;   in Loop: Header=BB285_1581 Depth=1
	v_dual_lshrrev_b32 v6, 3, v9 :: v_dual_bitop2_b32 v0, 7, v64 bitop3:0x40
	s_mov_b32 s17, exec_lo
	v_cmpx_gt_u32_e32 8, v9
; %bb.3038:                             ;   in Loop: Header=BB285_1581 Depth=1
	s_delay_alu instid0(VALU_DEP_2) | instskip(NEXT) | instid1(VALU_DEP_1)
	v_clz_i32_u32_e32 v0, v0
	v_min_u32_e32 v0, 32, v0
	s_delay_alu instid0(VALU_DEP_1) | instskip(NEXT) | instid1(VALU_DEP_1)
	v_subrev_nc_u32_e32 v6, 28, v0
	v_lshlrev_b64_e32 v[8:9], v6, v[64:65]
	v_sub_nc_u32_e32 v6, 29, v0
	s_delay_alu instid0(VALU_DEP_2)
	v_and_b32_e32 v0, 7, v8
; %bb.3039:                             ;   in Loop: Header=BB285_1581 Depth=1
	s_or_b32 exec_lo, exec_lo, s17
	v_lshlrev_b32_e32 v8, 8, v64
	s_delay_alu instid0(VALU_DEP_3) | instskip(NEXT) | instid1(VALU_DEP_3)
	v_lshl_add_u32 v6, v6, 10, 0x2000
	v_lshlrev_b32_e32 v0, 7, v0
	s_delay_alu instid0(VALU_DEP_3) | instskip(NEXT) | instid1(VALU_DEP_3)
	v_and_b32_e32 v8, 0x8000, v8
	v_and_b32_e32 v6, 0xfc00, v6
	s_delay_alu instid0(VALU_DEP_1)
	v_or3_b32 v8, v8, v6, v0
.LBB285_3040:                           ;   in Loop: Header=BB285_1581 Depth=1
	s_or_b32 exec_lo, exec_lo, s16
.LBB285_3041:                           ;   in Loop: Header=BB285_1581 Depth=1
	s_delay_alu instid0(SALU_CYCLE_1)
	s_or_b32 exec_lo, exec_lo, s15
.LBB285_3042:                           ;   in Loop: Header=BB285_1581 Depth=1
	s_delay_alu instid0(SALU_CYCLE_1) | instskip(SKIP_2) | instid1(VALU_DEP_1)
	s_or_b32 exec_lo, exec_lo, s14
	v_lshrrev_b16 v6, 8, v64
	s_mov_b32 s14, exec_lo
	v_cmpx_ne_u16_e32 0, v6
	s_cbranch_execz .LBB285_3050
; %bb.3043:                             ;   in Loop: Header=BB285_1581 Depth=1
	v_bfrev_b32_e32 v1, 1
	s_mov_b32 s15, exec_lo
	v_cmpx_ne_u16_e32 0x80, v6
	s_cbranch_execz .LBB285_3049
; %bb.3044:                             ;   in Loop: Header=BB285_1581 Depth=1
	v_and_b32_e32 v0, 0xffff, v6
	v_mov_b32_e32 v1, 0x7c010000
	s_mov_b32 s16, exec_lo
	s_delay_alu instid0(VALU_DEP_2) | instskip(NEXT) | instid1(VALU_DEP_1)
	v_and_b32_e32 v16, 0x7f, v0
	v_cmpx_ne_u32_e32 0x7f, v16
	s_cbranch_execz .LBB285_3048
; %bb.3045:                             ;   in Loop: Header=BB285_1581 Depth=1
	v_and_b32_e32 v1, 7, v0
	v_lshrrev_b32_e32 v9, 3, v16
	s_mov_b32 s17, exec_lo
	v_cmpx_gt_u32_e32 8, v16
; %bb.3046:                             ;   in Loop: Header=BB285_1581 Depth=1
	s_delay_alu instid0(VALU_DEP_3) | instskip(NEXT) | instid1(VALU_DEP_1)
	v_clz_i32_u32_e32 v1, v1
	v_min_u32_e32 v1, 32, v1
	s_delay_alu instid0(VALU_DEP_1) | instskip(NEXT) | instid1(VALU_DEP_1)
	v_subrev_nc_u32_e32 v9, 28, v1
	v_lshlrev_b64_e32 v[16:17], v9, v[6:7]
	s_delay_alu instid0(VALU_DEP_1)
	v_dual_sub_nc_u32 v9, 29, v1 :: v_dual_bitop2_b32 v1, 7, v16 bitop3:0x40
; %bb.3047:                             ;   in Loop: Header=BB285_1581 Depth=1
	s_or_b32 exec_lo, exec_lo, s17
	s_delay_alu instid0(VALU_DEP_1) | instskip(NEXT) | instid1(VALU_DEP_2)
	v_dual_lshlrev_b32 v0, 8, v0 :: v_dual_lshlrev_b32 v1, 23, v1
	v_lshl_add_u32 v6, v9, 10, 0x2000
	s_delay_alu instid0(VALU_DEP_1) | instskip(NEXT) | instid1(VALU_DEP_1)
	v_and_or_b32 v0, 0x8000, v0, v6
	v_lshl_or_b32 v1, v0, 16, v1
.LBB285_3048:                           ;   in Loop: Header=BB285_1581 Depth=1
	s_or_b32 exec_lo, exec_lo, s16
.LBB285_3049:                           ;   in Loop: Header=BB285_1581 Depth=1
	s_delay_alu instid0(SALU_CYCLE_1)
	s_or_b32 exec_lo, exec_lo, s15
.LBB285_3050:                           ;   in Loop: Header=BB285_1581 Depth=1
	s_delay_alu instid0(SALU_CYCLE_1) | instskip(SKIP_3) | instid1(VALU_DEP_2)
	s_or_b32 exec_lo, exec_lo, s14
	v_dual_mov_b32 v9, 0 :: v_dual_lshrrev_b32 v0, 16, v64
	v_mov_b32_e32 v16, 0
	s_mov_b32 s14, exec_lo
	v_and_b32_e32 v6, 0xff, v0
	s_delay_alu instid0(VALU_DEP_1)
	v_cmpx_ne_u16_e32 0, v6
	s_cbranch_execz .LBB285_3058
; %bb.3051:                             ;   in Loop: Header=BB285_1581 Depth=1
	v_mov_b32_e32 v16, 0x8000
	s_mov_b32 s15, exec_lo
	v_cmpx_ne_u16_e32 0x80, v6
	s_cbranch_execz .LBB285_3057
; %bb.3052:                             ;   in Loop: Header=BB285_1581 Depth=1
	v_bfe_u32 v17, v64, 16, 7
	v_mov_b32_e32 v16, 0x7c01
	s_mov_b32 s16, exec_lo
	s_delay_alu instid0(VALU_DEP_2)
	v_cmpx_ne_u32_e32 0x7f, v17
	s_cbranch_execz .LBB285_3056
; %bb.3053:                             ;   in Loop: Header=BB285_1581 Depth=1
	v_dual_lshrrev_b32 v16, 3, v17 :: v_dual_bitop2_b32 v6, 7, v0 bitop3:0x40
	s_mov_b32 s17, exec_lo
	v_cmpx_gt_u32_e32 8, v17
; %bb.3054:                             ;   in Loop: Header=BB285_1581 Depth=1
	s_delay_alu instid0(VALU_DEP_2) | instskip(NEXT) | instid1(VALU_DEP_1)
	v_clz_i32_u32_e32 v6, v6
	v_min_u32_e32 v6, 32, v6
	s_delay_alu instid0(VALU_DEP_1) | instskip(NEXT) | instid1(VALU_DEP_1)
	v_subrev_nc_u32_e32 v16, 28, v6
	v_lshlrev_b64_e32 v[18:19], v16, v[0:1]
	v_sub_nc_u32_e32 v16, 29, v6
	s_delay_alu instid0(VALU_DEP_2)
	v_and_b32_e32 v6, 7, v18
; %bb.3055:                             ;   in Loop: Header=BB285_1581 Depth=1
	s_or_b32 exec_lo, exec_lo, s17
	s_delay_alu instid0(VALU_DEP_1) | instskip(NEXT) | instid1(VALU_DEP_3)
	v_dual_lshlrev_b32 v0, 8, v0 :: v_dual_lshlrev_b32 v6, 7, v6
	v_lshl_add_u32 v16, v16, 10, 0x2000
	s_delay_alu instid0(VALU_DEP_2) | instskip(NEXT) | instid1(VALU_DEP_2)
	v_and_b32_e32 v0, 0x8000, v0
	v_and_b32_e32 v16, 0xfc00, v16
	s_delay_alu instid0(VALU_DEP_1)
	v_or3_b32 v16, v0, v16, v6
.LBB285_3056:                           ;   in Loop: Header=BB285_1581 Depth=1
	s_or_b32 exec_lo, exec_lo, s16
.LBB285_3057:                           ;   in Loop: Header=BB285_1581 Depth=1
	s_delay_alu instid0(SALU_CYCLE_1)
	s_or_b32 exec_lo, exec_lo, s15
.LBB285_3058:                           ;   in Loop: Header=BB285_1581 Depth=1
	s_delay_alu instid0(SALU_CYCLE_1) | instskip(NEXT) | instid1(SALU_CYCLE_1)
	s_or_b32 exec_lo, exec_lo, s14
	s_mov_b32 s14, exec_lo
	v_cmpx_lt_u32_e32 0xffffff, v64
	s_cbranch_execz .LBB285_3066
; %bb.3059:                             ;   in Loop: Header=BB285_1581 Depth=1
	v_lshrrev_b32_e32 v6, 24, v64
	v_bfrev_b32_e32 v9, 1
	s_mov_b32 s15, exec_lo
	s_delay_alu instid0(VALU_DEP_2)
	v_cmpx_ne_u32_e32 0x80, v6
	s_cbranch_execz .LBB285_3065
; %bb.3060:                             ;   in Loop: Header=BB285_1581 Depth=1
	v_and_b32_e32 v17, 0x7f, v6
	v_mov_b32_e32 v9, 0x7c010000
	s_mov_b32 s16, exec_lo
	s_delay_alu instid0(VALU_DEP_2)
	v_cmpx_ne_u32_e32 0x7f, v17
	s_cbranch_execz .LBB285_3064
; %bb.3061:                             ;   in Loop: Header=BB285_1581 Depth=1
	v_dual_lshrrev_b32 v9, 3, v17 :: v_dual_bitop2_b32 v0, 7, v6 bitop3:0x40
	s_mov_b32 s17, exec_lo
	v_cmpx_gt_u32_e32 8, v17
; %bb.3062:                             ;   in Loop: Header=BB285_1581 Depth=1
	s_delay_alu instid0(VALU_DEP_2) | instskip(NEXT) | instid1(VALU_DEP_1)
	v_clz_i32_u32_e32 v0, v0
	v_min_u32_e32 v0, 32, v0
	s_delay_alu instid0(VALU_DEP_1) | instskip(NEXT) | instid1(VALU_DEP_1)
	v_subrev_nc_u32_e32 v9, 28, v0
	v_lshlrev_b64_e32 v[18:19], v9, v[6:7]
	s_delay_alu instid0(VALU_DEP_1)
	v_dual_sub_nc_u32 v9, 29, v0 :: v_dual_bitop2_b32 v0, 7, v18 bitop3:0x40
; %bb.3063:                             ;   in Loop: Header=BB285_1581 Depth=1
	s_or_b32 exec_lo, exec_lo, s17
	s_delay_alu instid0(VALU_DEP_1) | instskip(NEXT) | instid1(VALU_DEP_2)
	v_dual_lshlrev_b32 v6, 8, v6 :: v_dual_lshlrev_b32 v0, 23, v0
	v_lshl_add_u32 v9, v9, 10, 0x2000
	s_delay_alu instid0(VALU_DEP_1) | instskip(NEXT) | instid1(VALU_DEP_1)
	v_and_or_b32 v6, 0x8000, v6, v9
	v_lshl_or_b32 v9, v6, 16, v0
.LBB285_3064:                           ;   in Loop: Header=BB285_1581 Depth=1
	s_or_b32 exec_lo, exec_lo, s16
.LBB285_3065:                           ;   in Loop: Header=BB285_1581 Depth=1
	s_delay_alu instid0(SALU_CYCLE_1)
	s_or_b32 exec_lo, exec_lo, s15
.LBB285_3066:                           ;   in Loop: Header=BB285_1581 Depth=1
	s_delay_alu instid0(SALU_CYCLE_1) | instskip(SKIP_4) | instid1(VALU_DEP_3)
	s_or_b32 exec_lo, exec_lo, s14
	v_and_b32_e32 v0, 0xff, v65
	v_dual_mov_b32 v6, v65 :: v_dual_mov_b32 v18, 0
	v_mov_b32_e32 v17, 0
	s_mov_b32 s14, exec_lo
	v_cmpx_ne_u16_e32 0, v0
	s_cbranch_execz .LBB285_3074
; %bb.3067:                             ;   in Loop: Header=BB285_1581 Depth=1
	v_mov_b32_e32 v17, 0x8000
	s_mov_b32 s15, exec_lo
	v_cmpx_ne_u16_e32 0x80, v0
	s_cbranch_execz .LBB285_3073
; %bb.3068:                             ;   in Loop: Header=BB285_1581 Depth=1
	v_and_b32_e32 v19, 0x7f, v65
	v_mov_b32_e32 v17, 0x7c01
	s_mov_b32 s16, exec_lo
	s_delay_alu instid0(VALU_DEP_2)
	v_cmpx_ne_u32_e32 0x7f, v19
	s_cbranch_execz .LBB285_3072
; %bb.3069:                             ;   in Loop: Header=BB285_1581 Depth=1
	v_dual_lshrrev_b32 v17, 3, v19 :: v_dual_bitop2_b32 v0, 7, v65 bitop3:0x40
	s_mov_b32 s17, exec_lo
	v_cmpx_gt_u32_e32 8, v19
; %bb.3070:                             ;   in Loop: Header=BB285_1581 Depth=1
	s_delay_alu instid0(VALU_DEP_2) | instskip(NEXT) | instid1(VALU_DEP_1)
	v_clz_i32_u32_e32 v0, v0
	v_min_u32_e32 v0, 32, v0
	s_delay_alu instid0(VALU_DEP_1) | instskip(NEXT) | instid1(VALU_DEP_1)
	v_subrev_nc_u32_e32 v17, 28, v0
	v_lshlrev_b64_e32 v[22:23], v17, v[6:7]
	s_delay_alu instid0(VALU_DEP_1)
	v_dual_sub_nc_u32 v17, 29, v0 :: v_dual_bitop2_b32 v0, 7, v22 bitop3:0x40
; %bb.3071:                             ;   in Loop: Header=BB285_1581 Depth=1
	s_or_b32 exec_lo, exec_lo, s17
	s_delay_alu instid0(VALU_DEP_1) | instskip(NEXT) | instid1(VALU_DEP_2)
	v_dual_lshlrev_b32 v19, 8, v65 :: v_dual_lshlrev_b32 v0, 7, v0
	v_lshl_add_u32 v17, v17, 10, 0x2000
	s_delay_alu instid0(VALU_DEP_2) | instskip(NEXT) | instid1(VALU_DEP_2)
	v_and_b32_e32 v19, 0x8000, v19
	v_and_b32_e32 v17, 0xfc00, v17
	s_delay_alu instid0(VALU_DEP_1)
	v_or3_b32 v17, v19, v17, v0
.LBB285_3072:                           ;   in Loop: Header=BB285_1581 Depth=1
	s_or_b32 exec_lo, exec_lo, s16
.LBB285_3073:                           ;   in Loop: Header=BB285_1581 Depth=1
	s_delay_alu instid0(SALU_CYCLE_1)
	s_or_b32 exec_lo, exec_lo, s15
.LBB285_3074:                           ;   in Loop: Header=BB285_1581 Depth=1
	s_delay_alu instid0(SALU_CYCLE_1) | instskip(SKIP_3) | instid1(VALU_DEP_2)
	s_or_b32 exec_lo, exec_lo, s14
	v_lshrrev_b16 v6, 8, v6
	v_mov_b32_e32 v19, 0
	s_mov_b32 s14, exec_lo
	v_cmpx_ne_u16_e32 0, v6
	s_cbranch_execz .LBB285_3082
; %bb.3075:                             ;   in Loop: Header=BB285_1581 Depth=1
	v_bfrev_b32_e32 v19, 1
	s_mov_b32 s15, exec_lo
	v_cmpx_ne_u16_e32 0x80, v6
	s_cbranch_execz .LBB285_3081
; %bb.3076:                             ;   in Loop: Header=BB285_1581 Depth=1
	v_and_b32_e32 v0, 0xffff, v6
	v_mov_b32_e32 v19, 0x7c010000
	s_mov_b32 s16, exec_lo
	s_delay_alu instid0(VALU_DEP_2) | instskip(NEXT) | instid1(VALU_DEP_1)
	v_and_b32_e32 v23, 0x7f, v0
	v_cmpx_ne_u32_e32 0x7f, v23
	s_cbranch_execz .LBB285_3080
; %bb.3077:                             ;   in Loop: Header=BB285_1581 Depth=1
	v_dual_lshrrev_b32 v22, 3, v23 :: v_dual_bitop2_b32 v19, 7, v0 bitop3:0x40
	s_mov_b32 s17, exec_lo
	v_cmpx_gt_u32_e32 8, v23
; %bb.3078:                             ;   in Loop: Header=BB285_1581 Depth=1
	s_delay_alu instid0(VALU_DEP_2) | instskip(NEXT) | instid1(VALU_DEP_1)
	v_clz_i32_u32_e32 v19, v19
	v_min_u32_e32 v19, 32, v19
	s_delay_alu instid0(VALU_DEP_1) | instskip(NEXT) | instid1(VALU_DEP_1)
	v_subrev_nc_u32_e32 v22, 28, v19
	v_lshlrev_b64_e32 v[66:67], v22, v[6:7]
	s_delay_alu instid0(VALU_DEP_1)
	v_dual_sub_nc_u32 v22, 29, v19 :: v_dual_bitop2_b32 v19, 7, v66 bitop3:0x40
; %bb.3079:                             ;   in Loop: Header=BB285_1581 Depth=1
	s_or_b32 exec_lo, exec_lo, s17
	v_lshlrev_b32_e32 v0, 8, v0
	s_delay_alu instid0(VALU_DEP_2) | instskip(NEXT) | instid1(VALU_DEP_1)
	v_lshl_add_u32 v6, v22, 10, 0x2000
	v_and_or_b32 v0, 0x8000, v0, v6
	v_lshlrev_b32_e32 v6, 23, v19
	s_delay_alu instid0(VALU_DEP_1)
	v_lshl_or_b32 v19, v0, 16, v6
.LBB285_3080:                           ;   in Loop: Header=BB285_1581 Depth=1
	s_or_b32 exec_lo, exec_lo, s16
.LBB285_3081:                           ;   in Loop: Header=BB285_1581 Depth=1
	s_delay_alu instid0(SALU_CYCLE_1)
	s_or_b32 exec_lo, exec_lo, s15
.LBB285_3082:                           ;   in Loop: Header=BB285_1581 Depth=1
	s_delay_alu instid0(SALU_CYCLE_1) | instskip(SKIP_2) | instid1(VALU_DEP_1)
	s_or_b32 exec_lo, exec_lo, s14
	v_lshrrev_b32_e32 v0, 16, v65
	s_mov_b32 s14, exec_lo
	v_and_b32_e32 v6, 0xff, v0
	s_delay_alu instid0(VALU_DEP_1)
	v_cmpx_ne_u16_e32 0, v6
	s_cbranch_execz .LBB285_3090
; %bb.3083:                             ;   in Loop: Header=BB285_1581 Depth=1
	v_mov_b32_e32 v18, 0x8000
	s_mov_b32 s15, exec_lo
	v_cmpx_ne_u16_e32 0x80, v6
	s_cbranch_execz .LBB285_3089
; %bb.3084:                             ;   in Loop: Header=BB285_1581 Depth=1
	v_bfe_u32 v22, v65, 16, 7
	v_mov_b32_e32 v18, 0x7c01
	s_mov_b32 s16, exec_lo
	s_delay_alu instid0(VALU_DEP_2)
	v_cmpx_ne_u32_e32 0x7f, v22
	s_cbranch_execz .LBB285_3088
; %bb.3085:                             ;   in Loop: Header=BB285_1581 Depth=1
	v_dual_lshrrev_b32 v18, 3, v22 :: v_dual_bitop2_b32 v6, 7, v0 bitop3:0x40
	s_mov_b32 s17, exec_lo
	v_cmpx_gt_u32_e32 8, v22
; %bb.3086:                             ;   in Loop: Header=BB285_1581 Depth=1
	s_delay_alu instid0(VALU_DEP_2) | instskip(NEXT) | instid1(VALU_DEP_1)
	v_clz_i32_u32_e32 v6, v6
	v_min_u32_e32 v6, 32, v6
	s_delay_alu instid0(VALU_DEP_1) | instskip(NEXT) | instid1(VALU_DEP_1)
	v_subrev_nc_u32_e32 v18, 28, v6
	v_lshlrev_b64_e32 v[22:23], v18, v[0:1]
	v_sub_nc_u32_e32 v18, 29, v6
	s_delay_alu instid0(VALU_DEP_2)
	v_and_b32_e32 v6, 7, v22
; %bb.3087:                             ;   in Loop: Header=BB285_1581 Depth=1
	s_or_b32 exec_lo, exec_lo, s17
	s_delay_alu instid0(VALU_DEP_1) | instskip(NEXT) | instid1(VALU_DEP_3)
	v_dual_lshlrev_b32 v0, 8, v0 :: v_dual_lshlrev_b32 v6, 7, v6
	v_lshl_add_u32 v18, v18, 10, 0x2000
	s_delay_alu instid0(VALU_DEP_2) | instskip(NEXT) | instid1(VALU_DEP_2)
	v_and_b32_e32 v0, 0x8000, v0
	v_and_b32_e32 v18, 0xfc00, v18
	s_delay_alu instid0(VALU_DEP_1)
	v_or3_b32 v18, v0, v18, v6
.LBB285_3088:                           ;   in Loop: Header=BB285_1581 Depth=1
	s_or_b32 exec_lo, exec_lo, s16
.LBB285_3089:                           ;   in Loop: Header=BB285_1581 Depth=1
	s_delay_alu instid0(SALU_CYCLE_1)
	s_or_b32 exec_lo, exec_lo, s15
.LBB285_3090:                           ;   in Loop: Header=BB285_1581 Depth=1
	s_delay_alu instid0(SALU_CYCLE_1)
	s_or_b32 exec_lo, exec_lo, s14
	v_mov_b32_e32 v0, 0
	s_mov_b32 s14, exec_lo
	v_cmpx_lt_u64_e64 s[2:3], v[64:65]
	s_cbranch_execz .LBB285_3098
; %bb.3091:                             ;   in Loop: Header=BB285_1581 Depth=1
	v_lshrrev_b32_e32 v6, 24, v65
	v_bfrev_b32_e32 v0, 1
	s_mov_b32 s15, exec_lo
	s_delay_alu instid0(VALU_DEP_2)
	v_cmpx_ne_u32_e32 0x80, v6
	s_cbranch_execz .LBB285_3097
; %bb.3092:                             ;   in Loop: Header=BB285_1581 Depth=1
	v_and_b32_e32 v23, 0x7f, v6
	v_mov_b32_e32 v0, 0x7c010000
	s_mov_b32 s16, exec_lo
	s_delay_alu instid0(VALU_DEP_2)
	v_cmpx_ne_u32_e32 0x7f, v23
	s_cbranch_execz .LBB285_3096
; %bb.3093:                             ;   in Loop: Header=BB285_1581 Depth=1
	v_dual_lshrrev_b32 v22, 3, v23 :: v_dual_bitop2_b32 v0, 7, v6 bitop3:0x40
	s_mov_b32 s17, exec_lo
	v_cmpx_gt_u32_e32 8, v23
; %bb.3094:                             ;   in Loop: Header=BB285_1581 Depth=1
	s_delay_alu instid0(VALU_DEP_2) | instskip(NEXT) | instid1(VALU_DEP_1)
	v_clz_i32_u32_e32 v0, v0
	v_min_u32_e32 v0, 32, v0
	s_delay_alu instid0(VALU_DEP_1) | instskip(NEXT) | instid1(VALU_DEP_1)
	v_subrev_nc_u32_e32 v22, 28, v0
	v_lshlrev_b64_e32 v[64:65], v22, v[6:7]
	v_sub_nc_u32_e32 v22, 29, v0
	s_delay_alu instid0(VALU_DEP_2)
	v_and_b32_e32 v0, 7, v64
; %bb.3095:                             ;   in Loop: Header=BB285_1581 Depth=1
	s_or_b32 exec_lo, exec_lo, s17
	s_delay_alu instid0(VALU_DEP_1) | instskip(NEXT) | instid1(VALU_DEP_3)
	v_dual_lshlrev_b32 v6, 8, v6 :: v_dual_lshlrev_b32 v0, 23, v0
	v_lshl_add_u32 v22, v22, 10, 0x2000
	s_delay_alu instid0(VALU_DEP_1) | instskip(NEXT) | instid1(VALU_DEP_1)
	v_and_or_b32 v6, 0x8000, v6, v22
	v_lshl_or_b32 v0, v6, 16, v0
.LBB285_3096:                           ;   in Loop: Header=BB285_1581 Depth=1
	s_or_b32 exec_lo, exec_lo, s16
.LBB285_3097:                           ;   in Loop: Header=BB285_1581 Depth=1
	s_delay_alu instid0(SALU_CYCLE_1)
	s_or_b32 exec_lo, exec_lo, s15
.LBB285_3098:                           ;   in Loop: Header=BB285_1581 Depth=1
	s_delay_alu instid0(SALU_CYCLE_1) | instskip(SKIP_2) | instid1(VALU_DEP_2)
	s_or_b32 exec_lo, exec_lo, s14
	v_dual_lshrrev_b32 v6, 16, v1 :: v_dual_bitop2_b32 v1, v1, v8 bitop3:0x54
	v_dual_lshrrev_b32 v22, 16, v9 :: v_dual_bitop2_b32 v16, v9, v16 bitop3:0x54
	v_cvt_f32_f16_e32 v9, v6
	v_dual_lshrrev_b32 v18, 16, v19 :: v_dual_bitop2_b32 v6, v0, v18 bitop3:0x54
	s_delay_alu instid0(VALU_DEP_3)
	v_cvt_f32_f16_e32 v8, v22
	v_dual_lshrrev_b32 v22, 16, v0 :: v_dual_bitop2_b32 v19, v19, v17 bitop3:0x54
	v_cvt_f32_f16_e32 v0, v16
	v_cvt_f32_f16_e32 v1, v1
	s_wait_loadcnt_dscnt 0x0
	v_pk_mul_f32 v[8:9], v[54:55], v[8:9] op_sel_hi:[0,1]
	v_cvt_f32_f16_e32 v17, v18
	v_cvt_f32_f16_e32 v16, v22
	;; [unrolled: 1-line block ×4, first 2 shown]
	v_pk_mul_f32 v[0:1], v[54:55], v[0:1] op_sel_hi:[0,1]
	v_cvt_pk_f16_f32 v6, v8, v9
	v_pk_mul_f32 v[8:9], v[54:55], v[16:17] op_sel_hi:[0,1]
	s_delay_alu instid0(VALU_DEP_4) | instskip(NEXT) | instid1(VALU_DEP_4)
	v_pk_mul_f32 v[16:17], v[54:55], v[18:19] op_sel_hi:[0,1]
	v_cvt_pk_f16_f32 v0, v0, v1
	s_delay_alu instid0(VALU_DEP_4) | instskip(NEXT) | instid1(VALU_DEP_4)
	v_and_b32_e32 v19, 0xffff0000, v6
	v_cvt_pk_f16_f32 v8, v8, v9
	v_lshlrev_b32_e32 v54, 16, v6
	v_cvt_pk_f16_f32 v6, v16, v17
	v_lshrrev_b32_e32 v67, 16, v0
	v_and_b32_e32 v68, 0xffff, v0
	v_and_b32_e32 v1, 0xffff0000, v8
	s_delay_alu instid0(VALU_DEP_4) | instskip(SKIP_3) | instid1(VALU_DEP_4)
	v_dual_lshlrev_b32 v0, 16, v8 :: v_dual_lshrrev_b32 v9, 16, v6
	v_and_b32_e32 v6, 0xffff, v6
	v_or_b32_e32 v65, v19, v67
	v_or_b32_e32 v66, v54, v68
	;; [unrolled: 1-line block ×3, first 2 shown]
	s_delay_alu instid0(VALU_DEP_4)
	v_or_b32_e32 v64, v0, v6
	s_and_saveexec_b32 s14, vcc_lo
	s_cbranch_execz .LBB285_3100
; %bb.3099:                             ;   in Loop: Header=BB285_1581 Depth=1
	v_cmp_lt_i32_e64 s0, v84, v13
	s_delay_alu instid0(VALU_DEP_1) | instskip(SKIP_1) | instid1(VALU_DEP_1)
	v_cndmask_b32_e64 v8, 0, v67, s0
	v_cmp_lt_i32_e64 s0, v99, v12
	v_cndmask_b32_e64 v16, 0, v68, s0
	v_cmp_lt_i32_e64 s0, v98, v13
	s_delay_alu instid0(VALU_DEP_1) | instskip(SKIP_1) | instid1(VALU_DEP_1)
	v_cndmask_b32_e64 v17, 0, v19, s0
	v_cmp_lt_i32_e64 s0, v97, v12
	v_cndmask_b32_e64 v18, 0, v54, s0
	v_cmp_lt_i32_e64 s0, v96, v13
	s_delay_alu instid0(VALU_DEP_4) | instskip(NEXT) | instid1(VALU_DEP_2)
	v_or_b32_e32 v65, v8, v17
	v_dual_cndmask_b32 v9, 0, v9, s0 :: v_dual_bitop2_b32 v66, v16, v18 bitop3:0x54
	v_cmp_lt_i32_e64 s0, v87, v12
	s_delay_alu instid0(VALU_DEP_1) | instskip(SKIP_1) | instid1(VALU_DEP_1)
	v_cndmask_b32_e64 v6, 0, v6, s0
	v_cmp_lt_i32_e64 s0, v86, v13
	v_cndmask_b32_e64 v1, 0, v1, s0
	v_cmp_lt_i32_e64 s0, v85, v12
	s_delay_alu instid0(VALU_DEP_1) | instskip(NEXT) | instid1(VALU_DEP_1)
	v_dual_cndmask_b32 v0, 0, v0, s0 :: v_dual_bitop2_b32 v55, v9, v1 bitop3:0x54
	v_or_b32_e32 v64, v6, v0
.LBB285_3100:                           ;   in Loop: Header=BB285_1581 Depth=1
	s_or_b32 exec_lo, exec_lo, s14
	;;#ASMSTART
	v_pk_mul_f16 v0, v112, v65;

	;;#ASMEND
	;;#ASMSTART
	v_pk_mul_f16 v1, v102, v66;

	;;#ASMEND
	;; [unrolled: 4-line block ×4, first 2 shown]
	;;#ASMSTART
	v_pk_add_f16 v0, v0, v1;

	;;#ASMEND
	;;#ASMSTART
	v_pk_add_f16 v0, v0, v6;

	;;#ASMEND
	;; [unrolled: 4-line block ×3, first 2 shown]
	v_and_b32_e32 v1, 0xffff, v0
	v_lshrrev_b32_e32 v0, 16, v0
	;;#ASMSTART
	v_cvt_f32_f16 v67, v1;
	;;#ASMEND
	;;#ASMSTART
	v_cvt_f32_f16 v68, v0;
	;;#ASMEND
	flat_load_b64 v[54:55], v[28:29] offset:5888
	scratch_load_b64 v[0:1], off, s32 offset:192 ; 8-byte Folded Reload
	v_mov_b32_e32 v8, 0
	s_mov_b32 s14, exec_lo
	s_wait_loadcnt 0x0
	flat_load_b32 v28, v[0:1]
	s_wait_dscnt 0x1
	s_wait_xcnt 0x0
	v_and_b32_e32 v0, 0xff, v54
	v_mov_b32_e32 v1, 0
	s_delay_alu instid0(VALU_DEP_2)
	v_cmpx_ne_u16_e32 0, v0
	s_cbranch_execz .LBB285_3108
; %bb.3101:                             ;   in Loop: Header=BB285_1581 Depth=1
	v_mov_b32_e32 v8, 0x8000
	s_mov_b32 s15, exec_lo
	v_cmpx_ne_u16_e32 0x80, v0
	s_cbranch_execz .LBB285_3107
; %bb.3102:                             ;   in Loop: Header=BB285_1581 Depth=1
	v_and_b32_e32 v9, 0x7f, v54
	v_mov_b32_e32 v8, 0x7c01
	s_mov_b32 s16, exec_lo
	s_delay_alu instid0(VALU_DEP_2)
	v_cmpx_ne_u32_e32 0x7f, v9
	s_cbranch_execz .LBB285_3106
; %bb.3103:                             ;   in Loop: Header=BB285_1581 Depth=1
	v_dual_lshrrev_b32 v6, 3, v9 :: v_dual_bitop2_b32 v0, 7, v54 bitop3:0x40
	s_mov_b32 s17, exec_lo
	v_cmpx_gt_u32_e32 8, v9
; %bb.3104:                             ;   in Loop: Header=BB285_1581 Depth=1
	s_delay_alu instid0(VALU_DEP_2) | instskip(NEXT) | instid1(VALU_DEP_1)
	v_clz_i32_u32_e32 v0, v0
	v_min_u32_e32 v0, 32, v0
	s_delay_alu instid0(VALU_DEP_1) | instskip(NEXT) | instid1(VALU_DEP_1)
	v_subrev_nc_u32_e32 v6, 28, v0
	v_lshlrev_b64_e32 v[8:9], v6, v[54:55]
	v_sub_nc_u32_e32 v6, 29, v0
	s_delay_alu instid0(VALU_DEP_2)
	v_and_b32_e32 v0, 7, v8
; %bb.3105:                             ;   in Loop: Header=BB285_1581 Depth=1
	s_or_b32 exec_lo, exec_lo, s17
	s_delay_alu instid0(VALU_DEP_1) | instskip(NEXT) | instid1(VALU_DEP_3)
	v_dual_lshlrev_b32 v8, 8, v54 :: v_dual_lshlrev_b32 v0, 7, v0
	v_lshl_add_u32 v6, v6, 10, 0x2000
	s_delay_alu instid0(VALU_DEP_2) | instskip(NEXT) | instid1(VALU_DEP_2)
	v_and_b32_e32 v8, 0x8000, v8
	v_and_b32_e32 v6, 0xfc00, v6
	s_delay_alu instid0(VALU_DEP_1)
	v_or3_b32 v8, v8, v6, v0
.LBB285_3106:                           ;   in Loop: Header=BB285_1581 Depth=1
	s_or_b32 exec_lo, exec_lo, s16
.LBB285_3107:                           ;   in Loop: Header=BB285_1581 Depth=1
	s_delay_alu instid0(SALU_CYCLE_1)
	s_or_b32 exec_lo, exec_lo, s15
.LBB285_3108:                           ;   in Loop: Header=BB285_1581 Depth=1
	s_delay_alu instid0(SALU_CYCLE_1) | instskip(SKIP_2) | instid1(VALU_DEP_1)
	s_or_b32 exec_lo, exec_lo, s14
	v_lshrrev_b16 v6, 8, v54
	s_mov_b32 s14, exec_lo
	v_cmpx_ne_u16_e32 0, v6
	s_cbranch_execz .LBB285_3116
; %bb.3109:                             ;   in Loop: Header=BB285_1581 Depth=1
	v_bfrev_b32_e32 v1, 1
	s_mov_b32 s15, exec_lo
	v_cmpx_ne_u16_e32 0x80, v6
	s_cbranch_execz .LBB285_3115
; %bb.3110:                             ;   in Loop: Header=BB285_1581 Depth=1
	v_and_b32_e32 v0, 0xffff, v6
	v_mov_b32_e32 v1, 0x7c010000
	s_mov_b32 s16, exec_lo
	s_delay_alu instid0(VALU_DEP_2) | instskip(NEXT) | instid1(VALU_DEP_1)
	v_and_b32_e32 v16, 0x7f, v0
	v_cmpx_ne_u32_e32 0x7f, v16
	s_cbranch_execz .LBB285_3114
; %bb.3111:                             ;   in Loop: Header=BB285_1581 Depth=1
	v_and_b32_e32 v1, 7, v0
	v_lshrrev_b32_e32 v9, 3, v16
	s_mov_b32 s17, exec_lo
	v_cmpx_gt_u32_e32 8, v16
; %bb.3112:                             ;   in Loop: Header=BB285_1581 Depth=1
	s_delay_alu instid0(VALU_DEP_3) | instskip(NEXT) | instid1(VALU_DEP_1)
	v_clz_i32_u32_e32 v1, v1
	v_min_u32_e32 v1, 32, v1
	s_delay_alu instid0(VALU_DEP_1) | instskip(NEXT) | instid1(VALU_DEP_1)
	v_subrev_nc_u32_e32 v9, 28, v1
	v_lshlrev_b64_e32 v[16:17], v9, v[6:7]
	s_delay_alu instid0(VALU_DEP_1)
	v_dual_sub_nc_u32 v9, 29, v1 :: v_dual_bitop2_b32 v1, 7, v16 bitop3:0x40
; %bb.3113:                             ;   in Loop: Header=BB285_1581 Depth=1
	s_or_b32 exec_lo, exec_lo, s17
	s_delay_alu instid0(VALU_DEP_1) | instskip(NEXT) | instid1(VALU_DEP_2)
	v_dual_lshlrev_b32 v0, 8, v0 :: v_dual_lshlrev_b32 v1, 23, v1
	v_lshl_add_u32 v6, v9, 10, 0x2000
	s_delay_alu instid0(VALU_DEP_1) | instskip(NEXT) | instid1(VALU_DEP_1)
	v_and_or_b32 v0, 0x8000, v0, v6
	v_lshl_or_b32 v1, v0, 16, v1
.LBB285_3114:                           ;   in Loop: Header=BB285_1581 Depth=1
	s_or_b32 exec_lo, exec_lo, s16
.LBB285_3115:                           ;   in Loop: Header=BB285_1581 Depth=1
	s_delay_alu instid0(SALU_CYCLE_1)
	s_or_b32 exec_lo, exec_lo, s15
.LBB285_3116:                           ;   in Loop: Header=BB285_1581 Depth=1
	s_delay_alu instid0(SALU_CYCLE_1) | instskip(SKIP_3) | instid1(VALU_DEP_2)
	s_or_b32 exec_lo, exec_lo, s14
	v_dual_mov_b32 v9, 0 :: v_dual_lshrrev_b32 v0, 16, v54
	v_mov_b32_e32 v16, 0
	s_mov_b32 s14, exec_lo
	v_and_b32_e32 v6, 0xff, v0
	s_delay_alu instid0(VALU_DEP_1)
	v_cmpx_ne_u16_e32 0, v6
	s_cbranch_execz .LBB285_3124
; %bb.3117:                             ;   in Loop: Header=BB285_1581 Depth=1
	v_mov_b32_e32 v16, 0x8000
	s_mov_b32 s15, exec_lo
	v_cmpx_ne_u16_e32 0x80, v6
	s_cbranch_execz .LBB285_3123
; %bb.3118:                             ;   in Loop: Header=BB285_1581 Depth=1
	v_bfe_u32 v17, v54, 16, 7
	v_mov_b32_e32 v16, 0x7c01
	s_mov_b32 s16, exec_lo
	s_delay_alu instid0(VALU_DEP_2)
	v_cmpx_ne_u32_e32 0x7f, v17
	s_cbranch_execz .LBB285_3122
; %bb.3119:                             ;   in Loop: Header=BB285_1581 Depth=1
	v_dual_lshrrev_b32 v16, 3, v17 :: v_dual_bitop2_b32 v6, 7, v0 bitop3:0x40
	s_mov_b32 s17, exec_lo
	v_cmpx_gt_u32_e32 8, v17
; %bb.3120:                             ;   in Loop: Header=BB285_1581 Depth=1
	s_delay_alu instid0(VALU_DEP_2) | instskip(NEXT) | instid1(VALU_DEP_1)
	v_clz_i32_u32_e32 v6, v6
	v_min_u32_e32 v6, 32, v6
	s_delay_alu instid0(VALU_DEP_1) | instskip(NEXT) | instid1(VALU_DEP_1)
	v_subrev_nc_u32_e32 v16, 28, v6
	v_lshlrev_b64_e32 v[18:19], v16, v[0:1]
	v_sub_nc_u32_e32 v16, 29, v6
	s_delay_alu instid0(VALU_DEP_2)
	v_and_b32_e32 v6, 7, v18
; %bb.3121:                             ;   in Loop: Header=BB285_1581 Depth=1
	s_or_b32 exec_lo, exec_lo, s17
	s_delay_alu instid0(VALU_DEP_1) | instskip(NEXT) | instid1(VALU_DEP_3)
	v_dual_lshlrev_b32 v0, 8, v0 :: v_dual_lshlrev_b32 v6, 7, v6
	v_lshl_add_u32 v16, v16, 10, 0x2000
	s_delay_alu instid0(VALU_DEP_2) | instskip(NEXT) | instid1(VALU_DEP_2)
	v_and_b32_e32 v0, 0x8000, v0
	v_and_b32_e32 v16, 0xfc00, v16
	s_delay_alu instid0(VALU_DEP_1)
	v_or3_b32 v16, v0, v16, v6
.LBB285_3122:                           ;   in Loop: Header=BB285_1581 Depth=1
	s_or_b32 exec_lo, exec_lo, s16
.LBB285_3123:                           ;   in Loop: Header=BB285_1581 Depth=1
	s_delay_alu instid0(SALU_CYCLE_1)
	s_or_b32 exec_lo, exec_lo, s15
.LBB285_3124:                           ;   in Loop: Header=BB285_1581 Depth=1
	s_delay_alu instid0(SALU_CYCLE_1) | instskip(NEXT) | instid1(SALU_CYCLE_1)
	s_or_b32 exec_lo, exec_lo, s14
	s_mov_b32 s14, exec_lo
	v_cmpx_lt_u32_e32 0xffffff, v54
	s_cbranch_execz .LBB285_3132
; %bb.3125:                             ;   in Loop: Header=BB285_1581 Depth=1
	v_lshrrev_b32_e32 v6, 24, v54
	v_bfrev_b32_e32 v9, 1
	s_mov_b32 s15, exec_lo
	s_delay_alu instid0(VALU_DEP_2)
	v_cmpx_ne_u32_e32 0x80, v6
	s_cbranch_execz .LBB285_3131
; %bb.3126:                             ;   in Loop: Header=BB285_1581 Depth=1
	v_and_b32_e32 v17, 0x7f, v6
	v_mov_b32_e32 v9, 0x7c010000
	s_mov_b32 s16, exec_lo
	s_delay_alu instid0(VALU_DEP_2)
	v_cmpx_ne_u32_e32 0x7f, v17
	s_cbranch_execz .LBB285_3130
; %bb.3127:                             ;   in Loop: Header=BB285_1581 Depth=1
	v_dual_lshrrev_b32 v9, 3, v17 :: v_dual_bitop2_b32 v0, 7, v6 bitop3:0x40
	s_mov_b32 s17, exec_lo
	v_cmpx_gt_u32_e32 8, v17
; %bb.3128:                             ;   in Loop: Header=BB285_1581 Depth=1
	s_delay_alu instid0(VALU_DEP_2) | instskip(NEXT) | instid1(VALU_DEP_1)
	v_clz_i32_u32_e32 v0, v0
	v_min_u32_e32 v0, 32, v0
	s_delay_alu instid0(VALU_DEP_1) | instskip(NEXT) | instid1(VALU_DEP_1)
	v_subrev_nc_u32_e32 v9, 28, v0
	v_lshlrev_b64_e32 v[18:19], v9, v[6:7]
	s_delay_alu instid0(VALU_DEP_1)
	v_dual_sub_nc_u32 v9, 29, v0 :: v_dual_bitop2_b32 v0, 7, v18 bitop3:0x40
; %bb.3129:                             ;   in Loop: Header=BB285_1581 Depth=1
	s_or_b32 exec_lo, exec_lo, s17
	s_delay_alu instid0(VALU_DEP_1) | instskip(NEXT) | instid1(VALU_DEP_2)
	v_dual_lshlrev_b32 v6, 8, v6 :: v_dual_lshlrev_b32 v0, 23, v0
	v_lshl_add_u32 v9, v9, 10, 0x2000
	s_delay_alu instid0(VALU_DEP_1) | instskip(NEXT) | instid1(VALU_DEP_1)
	v_and_or_b32 v6, 0x8000, v6, v9
	v_lshl_or_b32 v9, v6, 16, v0
.LBB285_3130:                           ;   in Loop: Header=BB285_1581 Depth=1
	s_or_b32 exec_lo, exec_lo, s16
.LBB285_3131:                           ;   in Loop: Header=BB285_1581 Depth=1
	s_delay_alu instid0(SALU_CYCLE_1)
	s_or_b32 exec_lo, exec_lo, s15
.LBB285_3132:                           ;   in Loop: Header=BB285_1581 Depth=1
	s_delay_alu instid0(SALU_CYCLE_1) | instskip(SKIP_4) | instid1(VALU_DEP_3)
	s_or_b32 exec_lo, exec_lo, s14
	v_and_b32_e32 v0, 0xff, v55
	v_dual_mov_b32 v6, v55 :: v_dual_mov_b32 v18, 0
	v_mov_b32_e32 v17, 0
	s_mov_b32 s14, exec_lo
	v_cmpx_ne_u16_e32 0, v0
	s_cbranch_execz .LBB285_3140
; %bb.3133:                             ;   in Loop: Header=BB285_1581 Depth=1
	v_mov_b32_e32 v17, 0x8000
	s_mov_b32 s15, exec_lo
	v_cmpx_ne_u16_e32 0x80, v0
	s_cbranch_execz .LBB285_3139
; %bb.3134:                             ;   in Loop: Header=BB285_1581 Depth=1
	v_and_b32_e32 v19, 0x7f, v55
	v_mov_b32_e32 v17, 0x7c01
	s_mov_b32 s16, exec_lo
	s_delay_alu instid0(VALU_DEP_2)
	v_cmpx_ne_u32_e32 0x7f, v19
	s_cbranch_execz .LBB285_3138
; %bb.3135:                             ;   in Loop: Header=BB285_1581 Depth=1
	v_and_b32_e32 v0, 7, v55
	v_lshrrev_b32_e32 v17, 3, v19
	s_mov_b32 s17, exec_lo
	v_cmpx_gt_u32_e32 8, v19
; %bb.3136:                             ;   in Loop: Header=BB285_1581 Depth=1
	s_delay_alu instid0(VALU_DEP_3) | instskip(NEXT) | instid1(VALU_DEP_1)
	v_clz_i32_u32_e32 v0, v0
	v_min_u32_e32 v0, 32, v0
	s_delay_alu instid0(VALU_DEP_1) | instskip(NEXT) | instid1(VALU_DEP_1)
	v_subrev_nc_u32_e32 v17, 28, v0
	v_lshlrev_b64_e32 v[22:23], v17, v[6:7]
	s_delay_alu instid0(VALU_DEP_1)
	v_dual_sub_nc_u32 v17, 29, v0 :: v_dual_bitop2_b32 v0, 7, v22 bitop3:0x40
; %bb.3137:                             ;   in Loop: Header=BB285_1581 Depth=1
	s_or_b32 exec_lo, exec_lo, s17
	s_delay_alu instid0(VALU_DEP_1) | instskip(NEXT) | instid1(VALU_DEP_2)
	v_dual_lshlrev_b32 v19, 8, v55 :: v_dual_lshlrev_b32 v0, 7, v0
	v_lshl_add_u32 v17, v17, 10, 0x2000
	s_delay_alu instid0(VALU_DEP_2) | instskip(NEXT) | instid1(VALU_DEP_2)
	v_and_b32_e32 v19, 0x8000, v19
	v_and_b32_e32 v17, 0xfc00, v17
	s_delay_alu instid0(VALU_DEP_1)
	v_or3_b32 v17, v19, v17, v0
.LBB285_3138:                           ;   in Loop: Header=BB285_1581 Depth=1
	s_or_b32 exec_lo, exec_lo, s16
.LBB285_3139:                           ;   in Loop: Header=BB285_1581 Depth=1
	s_delay_alu instid0(SALU_CYCLE_1)
	s_or_b32 exec_lo, exec_lo, s15
.LBB285_3140:                           ;   in Loop: Header=BB285_1581 Depth=1
	s_delay_alu instid0(SALU_CYCLE_1) | instskip(SKIP_3) | instid1(VALU_DEP_2)
	s_or_b32 exec_lo, exec_lo, s14
	v_lshrrev_b16 v6, 8, v6
	v_mov_b32_e32 v19, 0
	s_mov_b32 s14, exec_lo
	v_cmpx_ne_u16_e32 0, v6
	s_cbranch_execz .LBB285_3148
; %bb.3141:                             ;   in Loop: Header=BB285_1581 Depth=1
	v_bfrev_b32_e32 v19, 1
	s_mov_b32 s15, exec_lo
	v_cmpx_ne_u16_e32 0x80, v6
	s_cbranch_execz .LBB285_3147
; %bb.3142:                             ;   in Loop: Header=BB285_1581 Depth=1
	v_and_b32_e32 v0, 0xffff, v6
	v_mov_b32_e32 v19, 0x7c010000
	s_mov_b32 s16, exec_lo
	s_delay_alu instid0(VALU_DEP_2) | instskip(NEXT) | instid1(VALU_DEP_1)
	v_and_b32_e32 v23, 0x7f, v0
	v_cmpx_ne_u32_e32 0x7f, v23
	s_cbranch_execz .LBB285_3146
; %bb.3143:                             ;   in Loop: Header=BB285_1581 Depth=1
	v_dual_lshrrev_b32 v22, 3, v23 :: v_dual_bitop2_b32 v19, 7, v0 bitop3:0x40
	s_mov_b32 s17, exec_lo
	v_cmpx_gt_u32_e32 8, v23
; %bb.3144:                             ;   in Loop: Header=BB285_1581 Depth=1
	s_delay_alu instid0(VALU_DEP_2) | instskip(NEXT) | instid1(VALU_DEP_1)
	v_clz_i32_u32_e32 v19, v19
	v_min_u32_e32 v19, 32, v19
	s_delay_alu instid0(VALU_DEP_1) | instskip(NEXT) | instid1(VALU_DEP_1)
	v_subrev_nc_u32_e32 v22, 28, v19
	v_lshlrev_b64_e32 v[64:65], v22, v[6:7]
	s_delay_alu instid0(VALU_DEP_1)
	v_dual_sub_nc_u32 v22, 29, v19 :: v_dual_bitop2_b32 v19, 7, v64 bitop3:0x40
; %bb.3145:                             ;   in Loop: Header=BB285_1581 Depth=1
	s_or_b32 exec_lo, exec_lo, s17
	v_lshlrev_b32_e32 v0, 8, v0
	s_delay_alu instid0(VALU_DEP_2) | instskip(NEXT) | instid1(VALU_DEP_1)
	v_lshl_add_u32 v6, v22, 10, 0x2000
	v_and_or_b32 v0, 0x8000, v0, v6
	v_lshlrev_b32_e32 v6, 23, v19
	s_delay_alu instid0(VALU_DEP_1)
	v_lshl_or_b32 v19, v0, 16, v6
.LBB285_3146:                           ;   in Loop: Header=BB285_1581 Depth=1
	s_or_b32 exec_lo, exec_lo, s16
.LBB285_3147:                           ;   in Loop: Header=BB285_1581 Depth=1
	s_delay_alu instid0(SALU_CYCLE_1)
	s_or_b32 exec_lo, exec_lo, s15
.LBB285_3148:                           ;   in Loop: Header=BB285_1581 Depth=1
	s_delay_alu instid0(SALU_CYCLE_1) | instskip(SKIP_2) | instid1(VALU_DEP_1)
	s_or_b32 exec_lo, exec_lo, s14
	v_lshrrev_b32_e32 v0, 16, v55
	s_mov_b32 s14, exec_lo
	v_and_b32_e32 v6, 0xff, v0
	s_delay_alu instid0(VALU_DEP_1)
	v_cmpx_ne_u16_e32 0, v6
	s_cbranch_execz .LBB285_3156
; %bb.3149:                             ;   in Loop: Header=BB285_1581 Depth=1
	v_mov_b32_e32 v18, 0x8000
	s_mov_b32 s15, exec_lo
	v_cmpx_ne_u16_e32 0x80, v6
	s_cbranch_execz .LBB285_3155
; %bb.3150:                             ;   in Loop: Header=BB285_1581 Depth=1
	v_bfe_u32 v22, v55, 16, 7
	v_mov_b32_e32 v18, 0x7c01
	s_mov_b32 s16, exec_lo
	s_delay_alu instid0(VALU_DEP_2)
	v_cmpx_ne_u32_e32 0x7f, v22
	s_cbranch_execz .LBB285_3154
; %bb.3151:                             ;   in Loop: Header=BB285_1581 Depth=1
	v_dual_lshrrev_b32 v18, 3, v22 :: v_dual_bitop2_b32 v6, 7, v0 bitop3:0x40
	s_mov_b32 s17, exec_lo
	v_cmpx_gt_u32_e32 8, v22
; %bb.3152:                             ;   in Loop: Header=BB285_1581 Depth=1
	s_delay_alu instid0(VALU_DEP_2) | instskip(NEXT) | instid1(VALU_DEP_1)
	v_clz_i32_u32_e32 v6, v6
	v_min_u32_e32 v6, 32, v6
	s_delay_alu instid0(VALU_DEP_1) | instskip(NEXT) | instid1(VALU_DEP_1)
	v_subrev_nc_u32_e32 v18, 28, v6
	v_lshlrev_b64_e32 v[22:23], v18, v[0:1]
	v_sub_nc_u32_e32 v18, 29, v6
	s_delay_alu instid0(VALU_DEP_2)
	v_and_b32_e32 v6, 7, v22
; %bb.3153:                             ;   in Loop: Header=BB285_1581 Depth=1
	s_or_b32 exec_lo, exec_lo, s17
	s_delay_alu instid0(VALU_DEP_1) | instskip(NEXT) | instid1(VALU_DEP_3)
	v_dual_lshlrev_b32 v0, 8, v0 :: v_dual_lshlrev_b32 v6, 7, v6
	v_lshl_add_u32 v18, v18, 10, 0x2000
	s_delay_alu instid0(VALU_DEP_2) | instskip(NEXT) | instid1(VALU_DEP_2)
	v_and_b32_e32 v0, 0x8000, v0
	v_and_b32_e32 v18, 0xfc00, v18
	s_delay_alu instid0(VALU_DEP_1)
	v_or3_b32 v18, v0, v18, v6
.LBB285_3154:                           ;   in Loop: Header=BB285_1581 Depth=1
	s_or_b32 exec_lo, exec_lo, s16
.LBB285_3155:                           ;   in Loop: Header=BB285_1581 Depth=1
	s_delay_alu instid0(SALU_CYCLE_1)
	s_or_b32 exec_lo, exec_lo, s15
.LBB285_3156:                           ;   in Loop: Header=BB285_1581 Depth=1
	s_delay_alu instid0(SALU_CYCLE_1)
	s_or_b32 exec_lo, exec_lo, s14
	v_mov_b32_e32 v0, 0
	s_mov_b32 s14, exec_lo
	v_cmpx_lt_u64_e64 s[2:3], v[54:55]
	s_cbranch_execz .LBB285_3164
; %bb.3157:                             ;   in Loop: Header=BB285_1581 Depth=1
	v_lshrrev_b32_e32 v6, 24, v55
	v_bfrev_b32_e32 v0, 1
	s_mov_b32 s15, exec_lo
	s_delay_alu instid0(VALU_DEP_2)
	v_cmpx_ne_u32_e32 0x80, v6
	s_cbranch_execz .LBB285_3163
; %bb.3158:                             ;   in Loop: Header=BB285_1581 Depth=1
	v_and_b32_e32 v23, 0x7f, v6
	v_mov_b32_e32 v0, 0x7c010000
	s_mov_b32 s16, exec_lo
	s_delay_alu instid0(VALU_DEP_2)
	v_cmpx_ne_u32_e32 0x7f, v23
	s_cbranch_execz .LBB285_3162
; %bb.3159:                             ;   in Loop: Header=BB285_1581 Depth=1
	v_dual_lshrrev_b32 v22, 3, v23 :: v_dual_bitop2_b32 v0, 7, v6 bitop3:0x40
	s_mov_b32 s17, exec_lo
	v_cmpx_gt_u32_e32 8, v23
; %bb.3160:                             ;   in Loop: Header=BB285_1581 Depth=1
	s_delay_alu instid0(VALU_DEP_2) | instskip(NEXT) | instid1(VALU_DEP_1)
	v_clz_i32_u32_e32 v0, v0
	v_min_u32_e32 v0, 32, v0
	s_delay_alu instid0(VALU_DEP_1) | instskip(NEXT) | instid1(VALU_DEP_1)
	v_subrev_nc_u32_e32 v22, 28, v0
	v_lshlrev_b64_e32 v[54:55], v22, v[6:7]
	s_delay_alu instid0(VALU_DEP_1)
	v_dual_sub_nc_u32 v22, 29, v0 :: v_dual_bitop2_b32 v0, 7, v54 bitop3:0x40
; %bb.3161:                             ;   in Loop: Header=BB285_1581 Depth=1
	s_or_b32 exec_lo, exec_lo, s17
	s_delay_alu instid0(VALU_DEP_1) | instskip(NEXT) | instid1(VALU_DEP_2)
	v_dual_lshlrev_b32 v6, 8, v6 :: v_dual_lshlrev_b32 v0, 23, v0
	v_lshl_add_u32 v22, v22, 10, 0x2000
	s_delay_alu instid0(VALU_DEP_1) | instskip(NEXT) | instid1(VALU_DEP_1)
	v_and_or_b32 v6, 0x8000, v6, v22
	v_lshl_or_b32 v0, v6, 16, v0
.LBB285_3162:                           ;   in Loop: Header=BB285_1581 Depth=1
	s_or_b32 exec_lo, exec_lo, s16
.LBB285_3163:                           ;   in Loop: Header=BB285_1581 Depth=1
	s_delay_alu instid0(SALU_CYCLE_1)
	s_or_b32 exec_lo, exec_lo, s15
.LBB285_3164:                           ;   in Loop: Header=BB285_1581 Depth=1
	s_delay_alu instid0(SALU_CYCLE_1) | instskip(SKIP_2) | instid1(VALU_DEP_2)
	s_or_b32 exec_lo, exec_lo, s14
	v_dual_lshrrev_b32 v6, 16, v1 :: v_dual_bitop2_b32 v1, v1, v8 bitop3:0x54
	v_dual_lshrrev_b32 v22, 16, v9 :: v_dual_bitop2_b32 v16, v9, v16 bitop3:0x54
	v_cvt_f32_f16_e32 v9, v6
	v_dual_lshrrev_b32 v18, 16, v19 :: v_dual_bitop2_b32 v6, v0, v18 bitop3:0x54
	s_delay_alu instid0(VALU_DEP_3)
	v_cvt_f32_f16_e32 v8, v22
	v_dual_lshrrev_b32 v22, 16, v0 :: v_dual_bitop2_b32 v19, v19, v17 bitop3:0x54
	v_cvt_f32_f16_e32 v0, v16
	v_cvt_f32_f16_e32 v1, v1
	s_wait_loadcnt_dscnt 0x0
	v_pk_mul_f32 v[8:9], v[28:29], v[8:9] op_sel_hi:[0,1]
	v_cvt_f32_f16_e32 v17, v18
	v_cvt_f32_f16_e32 v16, v22
	;; [unrolled: 1-line block ×4, first 2 shown]
	v_pk_mul_f32 v[0:1], v[28:29], v[0:1] op_sel_hi:[0,1]
	v_cvt_pk_f16_f32 v6, v8, v9
	v_pk_mul_f32 v[8:9], v[28:29], v[16:17] op_sel_hi:[0,1]
	s_delay_alu instid0(VALU_DEP_4) | instskip(NEXT) | instid1(VALU_DEP_4)
	v_pk_mul_f32 v[16:17], v[28:29], v[18:19] op_sel_hi:[0,1]
	v_cvt_pk_f16_f32 v0, v0, v1
	s_delay_alu instid0(VALU_DEP_4) | instskip(NEXT) | instid1(VALU_DEP_4)
	v_and_b32_e32 v55, 0xffff0000, v6
	v_cvt_pk_f16_f32 v1, v8, v9
	v_lshlrev_b32_e32 v64, 16, v6
	v_cvt_pk_f16_f32 v6, v16, v17
	v_lshrrev_b32_e32 v65, 16, v0
	v_and_b32_e32 v66, 0xffff, v0
	v_and_b32_e32 v19, 0xffff0000, v1
	s_delay_alu instid0(VALU_DEP_4) | instskip(SKIP_3) | instid1(VALU_DEP_4)
	v_dual_lshlrev_b32 v28, 16, v1 :: v_dual_lshrrev_b32 v29, 16, v6
	v_and_b32_e32 v54, 0xffff, v6
	v_or_b32_e32 v9, v55, v65
	v_or_b32_e32 v6, v64, v66
	;; [unrolled: 1-line block ×3, first 2 shown]
	s_delay_alu instid0(VALU_DEP_4)
	v_or_b32_e32 v0, v28, v54
	s_and_saveexec_b32 s0, vcc_lo
	s_cbranch_execz .LBB285_1579
; %bb.3165:                             ;   in Loop: Header=BB285_1581 Depth=1
	v_cmp_lt_i32_e32 vcc_lo, v84, v13
	v_cndmask_b32_e32 v0, 0, v65, vcc_lo
	v_cmp_lt_i32_e32 vcc_lo, v99, v12
	v_cndmask_b32_e32 v1, 0, v66, vcc_lo
	;; [unrolled: 2-line block ×4, first 2 shown]
	v_cmp_lt_i32_e32 vcc_lo, v96, v13
	s_delay_alu instid0(VALU_DEP_4) | instskip(NEXT) | instid1(VALU_DEP_3)
	v_or_b32_e32 v9, v0, v6
	v_dual_cndmask_b32 v16, 0, v29, vcc_lo :: v_dual_bitop2_b32 v6, v1, v8 bitop3:0x54
	v_cmp_lt_i32_e32 vcc_lo, v87, v12
	v_cndmask_b32_e32 v17, 0, v54, vcc_lo
	v_cmp_lt_i32_e32 vcc_lo, v86, v13
	v_cndmask_b32_e32 v18, 0, v19, vcc_lo
	v_cmp_lt_i32_e32 vcc_lo, v85, v12
	s_delay_alu instid0(VALU_DEP_2) | instskip(NEXT) | instid1(VALU_DEP_1)
	v_dual_cndmask_b32 v19, 0, v28, vcc_lo :: v_dual_bitop2_b32 v1, v16, v18 bitop3:0x54
	v_or_b32_e32 v0, v17, v19
	s_branch .LBB285_1579
.LBB285_3166:
	s_or_b32 exec_lo, exec_lo, s8
.LBB285_3167:
	s_delay_alu instid0(SALU_CYCLE_1)
	s_or_b32 exec_lo, exec_lo, s1
	ds_bpermute_b32 v0, v70, v52
	ds_bpermute_b32 v1, v70, v53
	;; [unrolled: 1-line block ×6, first 2 shown]
	s_wait_dscnt 0x0
	s_barrier_signal -1
	s_barrier_wait -1
	ds_bpermute_b32 v12, v70, v38
	ds_bpermute_b32 v13, v70, v39
	;; [unrolled: 1-line block ×10, first 2 shown]
	s_load_b32 s0, s[6:7], 0x0
	v_pk_add_f32 v[22:23], v[52:53], v[0:1]
	ds_bpermute_b32 v0, v70, v24
	v_pk_add_f32 v[6:7], v[50:51], v[6:7]
	ds_bpermute_b32 v1, v70, v25
	;; [unrolled: 2-line block ×3, first 2 shown]
	ds_bpermute_b32 v27, v69, v23
	ds_bpermute_b32 v28, v69, v6
	;; [unrolled: 1-line block ×5, first 2 shown]
	s_wait_dscnt 0x10
	v_pk_add_f32 v[12:13], v[38:39], v[12:13]
	ds_bpermute_b32 v38, v70, v4
	ds_bpermute_b32 v39, v70, v5
	;; [unrolled: 1-line block ×4, first 2 shown]
	s_wait_dscnt 0x12
	v_pk_add_f32 v[8:9], v[48:49], v[8:9]
	s_wait_dscnt 0x10
	v_pk_add_f32 v[34:35], v[34:35], v[14:15]
	;; [unrolled: 2-line block ×4, first 2 shown]
	ds_bpermute_b32 v52, v69, v10
	ds_bpermute_b32 v48, v69, v8
	;; [unrolled: 1-line block ×3, first 2 shown]
	s_wait_dscnt 0xd
	v_pk_add_f32 v[66:67], v[24:25], v[0:1]
	ds_bpermute_b32 v53, v69, v11
	ds_bpermute_b32 v14, v69, v12
	s_wait_dscnt 0xd
	v_pk_add_f32 v[22:23], v[22:23], v[26:27]
	scratch_load_b32 v26, off, s32 offset:624 ; 4-byte Folded Reload
	ds_bpermute_b32 v15, v69, v13
	ds_bpermute_b32 v54, v69, v34
	s_wait_dscnt 0xb
	v_pk_add_f32 v[36:37], v[20:21], v[36:37]
	v_pk_add_f32 v[20:21], v[6:7], v[28:29]
	scratch_load_b32 v28, off, s32 offset:660 ; 4-byte Folded Reload
	s_wait_dscnt 0x9
	v_pk_add_f32 v[38:39], v[4:5], v[38:39]
	ds_bpermute_b32 v55, v69, v35
	ds_bpermute_b32 v64, v69, v32
	;; [unrolled: 1-line block ×7, first 2 shown]
	s_wait_dscnt 0xe
	v_pk_add_f32 v[0:1], v[2:3], v[50:51]
	ds_bpermute_b32 v2, v69, v36
	ds_bpermute_b32 v3, v69, v37
	;; [unrolled: 1-line block ×6, first 2 shown]
	s_wait_dscnt 0x11
	v_pk_add_f32 v[18:19], v[8:9], v[48:49]
	s_wait_dscnt 0x10
	v_pk_add_f32 v[16:17], v[10:11], v[52:53]
	;; [unrolled: 2-line block ×3, first 2 shown]
	s_mov_b32 s1, exec_lo
	s_wait_dscnt 0xc
	v_pk_add_f32 v[12:13], v[34:35], v[54:55]
	s_wait_dscnt 0xa
	v_pk_add_f32 v[10:11], v[32:33], v[64:65]
	;; [unrolled: 2-line block ×6, first 2 shown]
	s_wait_loadcnt 0x1
	v_and_b32_e32 v26, 28, v26
	s_wait_loadcnt 0x0
	v_and_b32_e32 v27, 0x3c3, v28
	s_delay_alu instid0(VALU_DEP_1) | instskip(SKIP_1) | instid1(SALU_CYCLE_1)
	v_cmpx_ne_u32_e32 64, v27
	s_xor_b32 s1, exec_lo, s1
	s_or_saveexec_b32 s1, s1
	s_wait_dscnt 0x0
	v_pk_add_f32 v[24:25], v[0:1], v[24:25]
	scratch_load_b32 v0, off, s32 offset:624 th:TH_LOAD_LU ; 4-byte Folded Reload
	s_wait_kmcnt 0x0
	v_add_nc_u32_e32 v1, s0, v26
	scratch_load_b32 v26, off, s32 offset:656 th:TH_LOAD_LU ; 4-byte Folded Reload
	s_wait_loadcnt 0x1
	v_lshrrev_b32_e32 v0, 2, v0
	s_wait_loadcnt 0x0
	v_mul_u32_u24_e32 v26, 0x300, v26
	s_xor_b32 exec_lo, exec_lo, s1
	s_cbranch_execz .LBB285_3169
; %bb.3168:
	s_delay_alu instid0(VALU_DEP_1) | instskip(NEXT) | instid1(VALU_DEP_1)
	v_add_nc_u32_e32 v27, v1, v26
	v_add_nc_u32_e32 v28, 0xfffffa00, v27
	;; [unrolled: 1-line block ×9, first 2 shown]
	ds_store_b32 v28, v22
	ds_store_b32 v29, v23
	;; [unrolled: 1-line block ×8, first 2 shown]
	v_add_nc_u32_e32 v28, 0xfffffb00, v27
	v_add_nc_u32_e32 v29, 0xfffffb20, v27
	;; [unrolled: 1-line block ×8, first 2 shown]
	ds_store_b32 v28, v14
	ds_store_b32 v29, v15
	;; [unrolled: 1-line block ×8, first 2 shown]
	v_add_nc_u32_e32 v28, 0xfffffc00, v27
	v_add_nc_u32_e32 v29, 0xfffffc20, v27
	;; [unrolled: 1-line block ×4, first 2 shown]
	ds_store_b32 v28, v6
	ds_store_b32 v29, v7
	ds_store_b32 v30, v4
	ds_store_b32 v31, v5
	scratch_load_b32 v28, off, s32 offset:660 ; 4-byte Folded Reload
	v_add_nc_u32_e32 v32, 0xfffffc80, v27
	v_add_nc_u32_e32 v33, 0xfffffca0, v27
	;; [unrolled: 1-line block ×4, first 2 shown]
	ds_store_b32 v32, v2
	ds_store_b32 v33, v3
	;; [unrolled: 1-line block ×4, first 2 shown]
.LBB285_3169:
	s_wait_xcnt 0x0
	s_or_b32 exec_lo, exec_lo, s1
	v_lshlrev_b32_e32 v0, 2, v0
	s_mov_b32 s1, exec_lo
	v_cmp_eq_u32_e32 vcc_lo, 0, v71
	s_wait_loadcnt_dscnt 0x0
	s_barrier_signal -1
	v_add3_u32 v0, s0, v26, v0
	s_barrier_wait -1
	v_cmpx_gt_u32_e32 64, v28
	s_cbranch_execz .LBB285_3196
; %bb.3170:
	s_and_saveexec_b32 s0, vcc_lo
	s_cbranch_execnz .LBB285_3228
; %bb.3171:
	s_or_b32 exec_lo, exec_lo, s0
	s_and_saveexec_b32 s0, vcc_lo
	s_cbranch_execnz .LBB285_3229
.LBB285_3172:
	s_or_b32 exec_lo, exec_lo, s0
	s_and_saveexec_b32 s0, vcc_lo
	s_cbranch_execnz .LBB285_3230
.LBB285_3173:
	s_or_b32 exec_lo, exec_lo, s0
	s_and_saveexec_b32 s0, vcc_lo
	s_cbranch_execnz .LBB285_3231
.LBB285_3174:
	s_or_b32 exec_lo, exec_lo, s0
	s_and_saveexec_b32 s0, vcc_lo
	s_cbranch_execnz .LBB285_3232
.LBB285_3175:
	s_or_b32 exec_lo, exec_lo, s0
	s_and_saveexec_b32 s0, vcc_lo
	s_cbranch_execnz .LBB285_3233
.LBB285_3176:
	s_or_b32 exec_lo, exec_lo, s0
	s_and_saveexec_b32 s0, vcc_lo
	s_cbranch_execnz .LBB285_3234
.LBB285_3177:
	s_or_b32 exec_lo, exec_lo, s0
	s_and_saveexec_b32 s0, vcc_lo
	s_cbranch_execnz .LBB285_3235
.LBB285_3178:
	s_or_b32 exec_lo, exec_lo, s0
	s_and_saveexec_b32 s0, vcc_lo
	s_cbranch_execnz .LBB285_3236
.LBB285_3179:
	s_or_b32 exec_lo, exec_lo, s0
	s_and_saveexec_b32 s0, vcc_lo
	s_cbranch_execnz .LBB285_3237
.LBB285_3180:
	s_or_b32 exec_lo, exec_lo, s0
	s_and_saveexec_b32 s0, vcc_lo
	s_cbranch_execnz .LBB285_3238
.LBB285_3181:
	s_or_b32 exec_lo, exec_lo, s0
	s_and_saveexec_b32 s0, vcc_lo
	s_cbranch_execnz .LBB285_3239
.LBB285_3182:
	s_or_b32 exec_lo, exec_lo, s0
	s_and_saveexec_b32 s0, vcc_lo
	s_cbranch_execnz .LBB285_3240
.LBB285_3183:
	s_or_b32 exec_lo, exec_lo, s0
	s_and_saveexec_b32 s0, vcc_lo
	s_cbranch_execnz .LBB285_3241
.LBB285_3184:
	s_or_b32 exec_lo, exec_lo, s0
	s_and_saveexec_b32 s0, vcc_lo
	s_cbranch_execnz .LBB285_3242
.LBB285_3185:
	s_or_b32 exec_lo, exec_lo, s0
	s_and_saveexec_b32 s0, vcc_lo
	s_cbranch_execnz .LBB285_3243
.LBB285_3186:
	s_or_b32 exec_lo, exec_lo, s0
	s_and_saveexec_b32 s0, vcc_lo
	s_cbranch_execnz .LBB285_3244
.LBB285_3187:
	s_or_b32 exec_lo, exec_lo, s0
	s_and_saveexec_b32 s0, vcc_lo
	s_cbranch_execnz .LBB285_3245
.LBB285_3188:
	s_or_b32 exec_lo, exec_lo, s0
	s_and_saveexec_b32 s0, vcc_lo
	s_cbranch_execnz .LBB285_3246
.LBB285_3189:
	s_or_b32 exec_lo, exec_lo, s0
	s_and_saveexec_b32 s0, vcc_lo
	s_cbranch_execnz .LBB285_3247
.LBB285_3190:
	s_or_b32 exec_lo, exec_lo, s0
	s_and_saveexec_b32 s0, vcc_lo
	s_cbranch_execnz .LBB285_3248
.LBB285_3191:
	s_or_b32 exec_lo, exec_lo, s0
	s_and_saveexec_b32 s0, vcc_lo
	s_cbranch_execnz .LBB285_3249
.LBB285_3192:
	s_or_b32 exec_lo, exec_lo, s0
	s_and_saveexec_b32 s0, vcc_lo
	s_cbranch_execnz .LBB285_3250
.LBB285_3193:
	s_or_b32 exec_lo, exec_lo, s0
	s_and_saveexec_b32 s0, vcc_lo
	s_cbranch_execz .LBB285_3195
.LBB285_3194:
	ds_load_b32 v26, v0 offset:736
	s_wait_dscnt 0x0
	v_add_f32_e32 v25, v26, v25
.LBB285_3195:
	s_or_b32 exec_lo, exec_lo, s0
.LBB285_3196:
	s_delay_alu instid0(SALU_CYCLE_1) | instskip(SKIP_4) | instid1(VALU_DEP_1)
	s_or_b32 exec_lo, exec_lo, s1
	v_and_b32_e32 v26, 0x3e3, v28
	s_mov_b32 s1, exec_lo
	s_barrier_signal -1
	s_barrier_wait -1
	v_cmpx_eq_u32_e32 32, v26
	s_cbranch_execz .LBB285_3198
; %bb.3197:
	ds_store_2addr_b32 v1, v22, v23 offset1:8
	ds_store_2addr_b32 v1, v20, v21 offset0:16 offset1:24
	ds_store_2addr_b32 v1, v18, v19 offset0:32 offset1:40
	;; [unrolled: 1-line block ×11, first 2 shown]
.LBB285_3198:
	s_or_b32 exec_lo, exec_lo, s1
	s_delay_alu instid0(SALU_CYCLE_1)
	s_mov_b32 s1, exec_lo
	s_wait_dscnt 0x0
	s_barrier_signal -1
	s_barrier_wait -1
	v_cmpx_gt_u32_e32 32, v28
	s_cbranch_execz .LBB285_3225
; %bb.3199:
	s_and_saveexec_b32 s0, vcc_lo
	s_cbranch_execnz .LBB285_3251
; %bb.3200:
	s_or_b32 exec_lo, exec_lo, s0
	s_and_saveexec_b32 s0, vcc_lo
	s_cbranch_execnz .LBB285_3252
.LBB285_3201:
	s_or_b32 exec_lo, exec_lo, s0
	s_and_saveexec_b32 s0, vcc_lo
	s_cbranch_execnz .LBB285_3253
.LBB285_3202:
	s_or_b32 exec_lo, exec_lo, s0
	s_and_saveexec_b32 s0, vcc_lo
	s_cbranch_execnz .LBB285_3254
.LBB285_3203:
	s_or_b32 exec_lo, exec_lo, s0
	s_and_saveexec_b32 s0, vcc_lo
	s_cbranch_execnz .LBB285_3255
.LBB285_3204:
	s_or_b32 exec_lo, exec_lo, s0
	s_and_saveexec_b32 s0, vcc_lo
	s_cbranch_execnz .LBB285_3256
.LBB285_3205:
	s_or_b32 exec_lo, exec_lo, s0
	s_and_saveexec_b32 s0, vcc_lo
	s_cbranch_execnz .LBB285_3257
.LBB285_3206:
	s_or_b32 exec_lo, exec_lo, s0
	s_and_saveexec_b32 s0, vcc_lo
	s_cbranch_execnz .LBB285_3258
.LBB285_3207:
	s_or_b32 exec_lo, exec_lo, s0
	s_and_saveexec_b32 s0, vcc_lo
	s_cbranch_execnz .LBB285_3259
.LBB285_3208:
	s_or_b32 exec_lo, exec_lo, s0
	s_and_saveexec_b32 s0, vcc_lo
	s_cbranch_execnz .LBB285_3260
.LBB285_3209:
	s_or_b32 exec_lo, exec_lo, s0
	s_and_saveexec_b32 s0, vcc_lo
	s_cbranch_execnz .LBB285_3261
.LBB285_3210:
	s_or_b32 exec_lo, exec_lo, s0
	s_and_saveexec_b32 s0, vcc_lo
	s_cbranch_execnz .LBB285_3262
.LBB285_3211:
	s_or_b32 exec_lo, exec_lo, s0
	s_and_saveexec_b32 s0, vcc_lo
	s_cbranch_execnz .LBB285_3263
.LBB285_3212:
	s_or_b32 exec_lo, exec_lo, s0
	s_and_saveexec_b32 s0, vcc_lo
	s_cbranch_execnz .LBB285_3264
.LBB285_3213:
	s_or_b32 exec_lo, exec_lo, s0
	s_and_saveexec_b32 s0, vcc_lo
	s_cbranch_execnz .LBB285_3265
.LBB285_3214:
	s_or_b32 exec_lo, exec_lo, s0
	s_and_saveexec_b32 s0, vcc_lo
	s_cbranch_execnz .LBB285_3266
.LBB285_3215:
	s_or_b32 exec_lo, exec_lo, s0
	s_and_saveexec_b32 s0, vcc_lo
	s_cbranch_execnz .LBB285_3267
.LBB285_3216:
	s_or_b32 exec_lo, exec_lo, s0
	s_and_saveexec_b32 s0, vcc_lo
	s_cbranch_execnz .LBB285_3268
.LBB285_3217:
	s_or_b32 exec_lo, exec_lo, s0
	s_and_saveexec_b32 s0, vcc_lo
	s_cbranch_execnz .LBB285_3269
.LBB285_3218:
	s_or_b32 exec_lo, exec_lo, s0
	s_and_saveexec_b32 s0, vcc_lo
	s_cbranch_execnz .LBB285_3270
.LBB285_3219:
	s_or_b32 exec_lo, exec_lo, s0
	s_and_saveexec_b32 s0, vcc_lo
	s_cbranch_execnz .LBB285_3271
.LBB285_3220:
	s_or_b32 exec_lo, exec_lo, s0
	s_and_saveexec_b32 s0, vcc_lo
	s_cbranch_execnz .LBB285_3272
.LBB285_3221:
	s_or_b32 exec_lo, exec_lo, s0
	s_and_saveexec_b32 s0, vcc_lo
	s_cbranch_execnz .LBB285_3273
.LBB285_3222:
	s_or_b32 exec_lo, exec_lo, s0
	s_and_saveexec_b32 s0, vcc_lo
	s_cbranch_execz .LBB285_3224
.LBB285_3223:
	ds_load_b32 v0, v0 offset:736
	s_wait_dscnt 0x0
	v_add_f32_e32 v25, v0, v25
.LBB285_3224:
	s_or_b32 exec_lo, exec_lo, s0
.LBB285_3225:
	s_delay_alu instid0(SALU_CYCLE_1)
	s_or_b32 exec_lo, exec_lo, s1
	s_mov_b32 s1, 0
	s_mov_b32 s2, exec_lo
	s_barrier_signal -1
	s_barrier_wait -1
	v_cmpx_eq_u32_e32 0, v26
	s_cbranch_execz .LBB285_3227
; %bb.3226:
	scratch_load_b64 v[0:1], off, s32 offset:700 th:TH_LOAD_LU ; 8-byte Folded Reload
	s_and_b32 s0, 0xffff, s13
	v_dual_mov_b32 v27, 0 :: v_dual_lshrrev_b32 v26, 1, v28
	s_cmp_lg_u32 s0, 0
	;;#ASMSTART
	v_cvt_f16_f32 v22, v22;

	;;#ASMEND
	s_cselect_b32 s0, -1, 0
	s_delay_alu instid0(SALU_CYCLE_1)
	s_cmp_lg_u32 s0, 0
	s_add_co_ci_u32 s0, s5, 0
	s_bfe_u32 s8, ttmp6, 0x40014
	s_mul_i32 s5, s0, s11
	s_lshr_b32 s3, ttmp7, 16
	s_mul_i32 s5, s5, s12
	s_add_co_i32 s8, s8, 1
	s_mul_i32 s6, s5, 0xc0
	s_bfe_u32 s9, ttmp6, 0x40008
	s_ashr_i32 s7, s6, 31
	s_mul_i32 s4, s4, s0
	s_mul_i32 s0, s3, s8
	s_ashr_i32 s5, s4, 31
	s_add_co_i32 s9, s9, s0
	s_cmp_eq_u32 s10, 0
	s_cselect_b32 s0, s3, s9
	s_delay_alu instid0(SALU_CYCLE_1) | instskip(SKIP_2) | instid1(VALU_DEP_1)
	s_mulk_i32 s0, 0x180
	s_wait_loadcnt 0x0
	v_lshl_add_u64 v[0:1], s[6:7], 1, v[0:1]
	v_lshl_add_u64 v[0:1], s[4:5], 1, v[0:1]
	s_delay_alu instid0(VALU_DEP_1) | instskip(NEXT) | instid1(VALU_DEP_1)
	v_add_nc_u64_e32 v[0:1], s[0:1], v[0:1]
	v_add_nc_u64_e32 v[0:1], v[0:1], v[26:27]
	flat_store_b16 v[0:1], v22
	s_wait_xcnt 0x0
	;;#ASMSTART
	v_cvt_f16_f32 v22, v23;

	;;#ASMEND
	flat_store_b16 v[0:1], v22 offset:16
	;;#ASMSTART
	v_cvt_f16_f32 v20, v20;

	;;#ASMEND
	flat_store_b16 v[0:1], v20 offset:32
	s_wait_xcnt 0x0
	;;#ASMSTART
	v_cvt_f16_f32 v20, v21;

	;;#ASMEND
	flat_store_b16 v[0:1], v20 offset:48
	;;#ASMSTART
	v_cvt_f16_f32 v18, v18;

	;;#ASMEND
	flat_store_b16 v[0:1], v18 offset:64
	;; [unrolled: 11-line block ×10, first 2 shown]
	s_wait_xcnt 0x0
	;;#ASMSTART
	v_cvt_f16_f32 v2, v3;

	;;#ASMEND
	flat_store_b16 v[0:1], v2 offset:336
	s_wait_xcnt 0x0
	;;#ASMSTART
	v_cvt_f16_f32 v2, v24;

	;;#ASMEND
	flat_store_b16 v[0:1], v2 offset:352
	;; [unrolled: 6-line block ×3, first 2 shown]
.LBB285_3227:
	s_wait_xcnt 0x0
	s_or_b32 exec_lo, exec_lo, s2
	s_clause 0x2f
	scratch_load_b32 v127, off, s32
	scratch_load_b32 v126, off, s32 offset:4
	scratch_load_b32 v125, off, s32 offset:8
	;; [unrolled: 1-line block ×47, first 2 shown]
	s_wait_loadcnt_dscnt 0x0
	s_set_pc_i64 s[30:31]
.LBB285_3228:
	ds_load_b32 v26, v0
	s_wait_dscnt 0x0
	v_add_f32_e32 v22, v26, v22
	s_or_b32 exec_lo, exec_lo, s0
	s_and_saveexec_b32 s0, vcc_lo
	s_cbranch_execz .LBB285_3172
.LBB285_3229:
	ds_load_b32 v26, v0 offset:32
	s_wait_dscnt 0x0
	v_add_f32_e32 v23, v26, v23
	s_or_b32 exec_lo, exec_lo, s0
	s_and_saveexec_b32 s0, vcc_lo
	s_cbranch_execz .LBB285_3173
.LBB285_3230:
	ds_load_b32 v26, v0 offset:64
	s_wait_dscnt 0x0
	v_add_f32_e32 v20, v26, v20
	s_or_b32 exec_lo, exec_lo, s0
	s_and_saveexec_b32 s0, vcc_lo
	s_cbranch_execz .LBB285_3174
.LBB285_3231:
	ds_load_b32 v26, v0 offset:96
	s_wait_dscnt 0x0
	v_add_f32_e32 v21, v26, v21
	s_or_b32 exec_lo, exec_lo, s0
	s_and_saveexec_b32 s0, vcc_lo
	s_cbranch_execz .LBB285_3175
.LBB285_3232:
	ds_load_b32 v26, v0 offset:128
	s_wait_dscnt 0x0
	v_add_f32_e32 v18, v26, v18
	s_or_b32 exec_lo, exec_lo, s0
	s_and_saveexec_b32 s0, vcc_lo
	s_cbranch_execz .LBB285_3176
.LBB285_3233:
	ds_load_b32 v26, v0 offset:160
	s_wait_dscnt 0x0
	v_add_f32_e32 v19, v26, v19
	s_or_b32 exec_lo, exec_lo, s0
	s_and_saveexec_b32 s0, vcc_lo
	s_cbranch_execz .LBB285_3177
.LBB285_3234:
	ds_load_b32 v26, v0 offset:192
	s_wait_dscnt 0x0
	v_add_f32_e32 v16, v26, v16
	s_or_b32 exec_lo, exec_lo, s0
	s_and_saveexec_b32 s0, vcc_lo
	s_cbranch_execz .LBB285_3178
.LBB285_3235:
	ds_load_b32 v26, v0 offset:224
	s_wait_dscnt 0x0
	v_add_f32_e32 v17, v26, v17
	s_or_b32 exec_lo, exec_lo, s0
	s_and_saveexec_b32 s0, vcc_lo
	s_cbranch_execz .LBB285_3179
.LBB285_3236:
	ds_load_b32 v26, v0 offset:256
	s_wait_dscnt 0x0
	v_add_f32_e32 v14, v26, v14
	s_or_b32 exec_lo, exec_lo, s0
	s_and_saveexec_b32 s0, vcc_lo
	s_cbranch_execz .LBB285_3180
.LBB285_3237:
	ds_load_b32 v26, v0 offset:288
	s_wait_dscnt 0x0
	v_add_f32_e32 v15, v26, v15
	s_or_b32 exec_lo, exec_lo, s0
	s_and_saveexec_b32 s0, vcc_lo
	s_cbranch_execz .LBB285_3181
.LBB285_3238:
	ds_load_b32 v26, v0 offset:320
	s_wait_dscnt 0x0
	v_add_f32_e32 v12, v26, v12
	s_or_b32 exec_lo, exec_lo, s0
	s_and_saveexec_b32 s0, vcc_lo
	s_cbranch_execz .LBB285_3182
.LBB285_3239:
	ds_load_b32 v26, v0 offset:352
	s_wait_dscnt 0x0
	v_add_f32_e32 v13, v26, v13
	s_or_b32 exec_lo, exec_lo, s0
	s_and_saveexec_b32 s0, vcc_lo
	s_cbranch_execz .LBB285_3183
.LBB285_3240:
	ds_load_b32 v26, v0 offset:384
	s_wait_dscnt 0x0
	v_add_f32_e32 v10, v26, v10
	s_or_b32 exec_lo, exec_lo, s0
	s_and_saveexec_b32 s0, vcc_lo
	s_cbranch_execz .LBB285_3184
.LBB285_3241:
	ds_load_b32 v26, v0 offset:416
	s_wait_dscnt 0x0
	v_add_f32_e32 v11, v26, v11
	s_or_b32 exec_lo, exec_lo, s0
	s_and_saveexec_b32 s0, vcc_lo
	s_cbranch_execz .LBB285_3185
.LBB285_3242:
	ds_load_b32 v26, v0 offset:448
	s_wait_dscnt 0x0
	v_add_f32_e32 v8, v26, v8
	s_or_b32 exec_lo, exec_lo, s0
	s_and_saveexec_b32 s0, vcc_lo
	s_cbranch_execz .LBB285_3186
.LBB285_3243:
	ds_load_b32 v26, v0 offset:480
	s_wait_dscnt 0x0
	v_add_f32_e32 v9, v26, v9
	s_or_b32 exec_lo, exec_lo, s0
	s_and_saveexec_b32 s0, vcc_lo
	s_cbranch_execz .LBB285_3187
.LBB285_3244:
	ds_load_b32 v26, v0 offset:512
	s_wait_dscnt 0x0
	v_add_f32_e32 v6, v26, v6
	s_or_b32 exec_lo, exec_lo, s0
	s_and_saveexec_b32 s0, vcc_lo
	s_cbranch_execz .LBB285_3188
.LBB285_3245:
	ds_load_b32 v26, v0 offset:544
	s_wait_dscnt 0x0
	v_add_f32_e32 v7, v26, v7
	s_or_b32 exec_lo, exec_lo, s0
	s_and_saveexec_b32 s0, vcc_lo
	s_cbranch_execz .LBB285_3189
.LBB285_3246:
	ds_load_b32 v26, v0 offset:576
	s_wait_dscnt 0x0
	v_add_f32_e32 v4, v26, v4
	s_or_b32 exec_lo, exec_lo, s0
	s_and_saveexec_b32 s0, vcc_lo
	s_cbranch_execz .LBB285_3190
.LBB285_3247:
	ds_load_b32 v26, v0 offset:608
	s_wait_dscnt 0x0
	v_add_f32_e32 v5, v26, v5
	s_or_b32 exec_lo, exec_lo, s0
	s_and_saveexec_b32 s0, vcc_lo
	s_cbranch_execz .LBB285_3191
.LBB285_3248:
	ds_load_b32 v26, v0 offset:640
	s_wait_dscnt 0x0
	v_add_f32_e32 v2, v26, v2
	s_or_b32 exec_lo, exec_lo, s0
	s_and_saveexec_b32 s0, vcc_lo
	s_cbranch_execz .LBB285_3192
.LBB285_3249:
	ds_load_b32 v26, v0 offset:672
	s_wait_dscnt 0x0
	v_add_f32_e32 v3, v26, v3
	s_or_b32 exec_lo, exec_lo, s0
	s_and_saveexec_b32 s0, vcc_lo
	s_cbranch_execz .LBB285_3193
.LBB285_3250:
	ds_load_b32 v26, v0 offset:704
	s_wait_dscnt 0x0
	v_add_f32_e32 v24, v26, v24
	s_or_b32 exec_lo, exec_lo, s0
	s_and_saveexec_b32 s0, vcc_lo
	s_cbranch_execnz .LBB285_3194
	s_branch .LBB285_3195
.LBB285_3251:
	ds_load_b32 v1, v0
	s_wait_dscnt 0x0
	v_add_f32_e32 v22, v1, v22
	s_or_b32 exec_lo, exec_lo, s0
	s_and_saveexec_b32 s0, vcc_lo
	s_cbranch_execz .LBB285_3201
.LBB285_3252:
	ds_load_b32 v1, v0 offset:32
	s_wait_dscnt 0x0
	v_add_f32_e32 v23, v1, v23
	s_or_b32 exec_lo, exec_lo, s0
	s_and_saveexec_b32 s0, vcc_lo
	s_cbranch_execz .LBB285_3202
.LBB285_3253:
	ds_load_b32 v1, v0 offset:64
	s_wait_dscnt 0x0
	v_add_f32_e32 v20, v1, v20
	s_or_b32 exec_lo, exec_lo, s0
	s_and_saveexec_b32 s0, vcc_lo
	s_cbranch_execz .LBB285_3203
.LBB285_3254:
	ds_load_b32 v1, v0 offset:96
	s_wait_dscnt 0x0
	v_add_f32_e32 v21, v1, v21
	s_or_b32 exec_lo, exec_lo, s0
	s_and_saveexec_b32 s0, vcc_lo
	s_cbranch_execz .LBB285_3204
.LBB285_3255:
	ds_load_b32 v1, v0 offset:128
	s_wait_dscnt 0x0
	v_add_f32_e32 v18, v1, v18
	s_or_b32 exec_lo, exec_lo, s0
	s_and_saveexec_b32 s0, vcc_lo
	s_cbranch_execz .LBB285_3205
.LBB285_3256:
	ds_load_b32 v1, v0 offset:160
	s_wait_dscnt 0x0
	v_add_f32_e32 v19, v1, v19
	s_or_b32 exec_lo, exec_lo, s0
	s_and_saveexec_b32 s0, vcc_lo
	s_cbranch_execz .LBB285_3206
.LBB285_3257:
	ds_load_b32 v1, v0 offset:192
	s_wait_dscnt 0x0
	v_add_f32_e32 v16, v1, v16
	s_or_b32 exec_lo, exec_lo, s0
	s_and_saveexec_b32 s0, vcc_lo
	s_cbranch_execz .LBB285_3207
.LBB285_3258:
	ds_load_b32 v1, v0 offset:224
	s_wait_dscnt 0x0
	v_add_f32_e32 v17, v1, v17
	s_or_b32 exec_lo, exec_lo, s0
	s_and_saveexec_b32 s0, vcc_lo
	s_cbranch_execz .LBB285_3208
.LBB285_3259:
	ds_load_b32 v1, v0 offset:256
	s_wait_dscnt 0x0
	v_add_f32_e32 v14, v1, v14
	s_or_b32 exec_lo, exec_lo, s0
	s_and_saveexec_b32 s0, vcc_lo
	s_cbranch_execz .LBB285_3209
.LBB285_3260:
	ds_load_b32 v1, v0 offset:288
	s_wait_dscnt 0x0
	v_add_f32_e32 v15, v1, v15
	s_or_b32 exec_lo, exec_lo, s0
	s_and_saveexec_b32 s0, vcc_lo
	s_cbranch_execz .LBB285_3210
.LBB285_3261:
	ds_load_b32 v1, v0 offset:320
	s_wait_dscnt 0x0
	v_add_f32_e32 v12, v1, v12
	s_or_b32 exec_lo, exec_lo, s0
	s_and_saveexec_b32 s0, vcc_lo
	s_cbranch_execz .LBB285_3211
.LBB285_3262:
	ds_load_b32 v1, v0 offset:352
	s_wait_dscnt 0x0
	v_add_f32_e32 v13, v1, v13
	s_or_b32 exec_lo, exec_lo, s0
	s_and_saveexec_b32 s0, vcc_lo
	s_cbranch_execz .LBB285_3212
.LBB285_3263:
	ds_load_b32 v1, v0 offset:384
	s_wait_dscnt 0x0
	v_add_f32_e32 v10, v1, v10
	s_or_b32 exec_lo, exec_lo, s0
	s_and_saveexec_b32 s0, vcc_lo
	s_cbranch_execz .LBB285_3213
.LBB285_3264:
	ds_load_b32 v1, v0 offset:416
	s_wait_dscnt 0x0
	v_add_f32_e32 v11, v1, v11
	s_or_b32 exec_lo, exec_lo, s0
	s_and_saveexec_b32 s0, vcc_lo
	s_cbranch_execz .LBB285_3214
.LBB285_3265:
	ds_load_b32 v1, v0 offset:448
	s_wait_dscnt 0x0
	v_add_f32_e32 v8, v1, v8
	s_or_b32 exec_lo, exec_lo, s0
	s_and_saveexec_b32 s0, vcc_lo
	s_cbranch_execz .LBB285_3215
.LBB285_3266:
	ds_load_b32 v1, v0 offset:480
	s_wait_dscnt 0x0
	v_add_f32_e32 v9, v1, v9
	s_or_b32 exec_lo, exec_lo, s0
	s_and_saveexec_b32 s0, vcc_lo
	s_cbranch_execz .LBB285_3216
.LBB285_3267:
	ds_load_b32 v1, v0 offset:512
	s_wait_dscnt 0x0
	v_add_f32_e32 v6, v1, v6
	s_or_b32 exec_lo, exec_lo, s0
	s_and_saveexec_b32 s0, vcc_lo
	s_cbranch_execz .LBB285_3217
.LBB285_3268:
	ds_load_b32 v1, v0 offset:544
	s_wait_dscnt 0x0
	v_add_f32_e32 v7, v1, v7
	s_or_b32 exec_lo, exec_lo, s0
	s_and_saveexec_b32 s0, vcc_lo
	s_cbranch_execz .LBB285_3218
.LBB285_3269:
	ds_load_b32 v1, v0 offset:576
	s_wait_dscnt 0x0
	v_add_f32_e32 v4, v1, v4
	s_or_b32 exec_lo, exec_lo, s0
	s_and_saveexec_b32 s0, vcc_lo
	s_cbranch_execz .LBB285_3219
.LBB285_3270:
	ds_load_b32 v1, v0 offset:608
	s_wait_dscnt 0x0
	v_add_f32_e32 v5, v1, v5
	s_or_b32 exec_lo, exec_lo, s0
	s_and_saveexec_b32 s0, vcc_lo
	s_cbranch_execz .LBB285_3220
.LBB285_3271:
	ds_load_b32 v1, v0 offset:640
	s_wait_dscnt 0x0
	v_add_f32_e32 v2, v1, v2
	s_or_b32 exec_lo, exec_lo, s0
	s_and_saveexec_b32 s0, vcc_lo
	s_cbranch_execz .LBB285_3221
.LBB285_3272:
	ds_load_b32 v1, v0 offset:672
	s_wait_dscnt 0x0
	v_add_f32_e32 v3, v1, v3
	s_or_b32 exec_lo, exec_lo, s0
	s_and_saveexec_b32 s0, vcc_lo
	s_cbranch_execz .LBB285_3222
.LBB285_3273:
	ds_load_b32 v1, v0 offset:704
	s_wait_dscnt 0x0
	v_add_f32_e32 v24, v1, v24
	s_or_b32 exec_lo, exec_lo, s0
	s_and_saveexec_b32 s0, vcc_lo
	s_cbranch_execnz .LBB285_3223
	s_branch .LBB285_3224
.Lfunc_end285:
	.size	_ZN4vllm22paged_attention_kernelIthLi192ELi32ELi128ELNS_18Fp8KVCacheDataTypeE1ELb1ELi0EEEvPfS2_PT_PKS3_PKT0_S9_ifPKiSB_iPKfiiiSD_SD_iiiii, .Lfunc_end285-_ZN4vllm22paged_attention_kernelIthLi192ELi32ELi128ELNS_18Fp8KVCacheDataTypeE1ELb1ELi0EEEvPfS2_PT_PKS3_PKT0_S9_ifPKiSB_iPKfiiiSD_SD_iiiii
                                        ; -- End function
	.set .L_ZN4vllm22paged_attention_kernelIthLi192ELi32ELi128ELNS_18Fp8KVCacheDataTypeE1ELb1ELi0EEEvPfS2_PT_PKS3_PKT0_S9_ifPKiSB_iPKfiiiSD_SD_iiiii.num_vgpr, 128
	.set .L_ZN4vllm22paged_attention_kernelIthLi192ELi32ELi128ELNS_18Fp8KVCacheDataTypeE1ELb1ELi0EEEvPfS2_PT_PKS3_PKT0_S9_ifPKiSB_iPKfiiiSD_SD_iiiii.num_agpr, 0
	.set .L_ZN4vllm22paged_attention_kernelIthLi192ELi32ELi128ELNS_18Fp8KVCacheDataTypeE1ELb1ELi0EEEvPfS2_PT_PKS3_PKT0_S9_ifPKiSB_iPKfiiiSD_SD_iiiii.numbered_sgpr, 33
	.set .L_ZN4vllm22paged_attention_kernelIthLi192ELi32ELi128ELNS_18Fp8KVCacheDataTypeE1ELb1ELi0EEEvPfS2_PT_PKS3_PKT0_S9_ifPKiSB_iPKfiiiSD_SD_iiiii.num_named_barrier, 0
	.set .L_ZN4vllm22paged_attention_kernelIthLi192ELi32ELi128ELNS_18Fp8KVCacheDataTypeE1ELb1ELi0EEEvPfS2_PT_PKS3_PKT0_S9_ifPKiSB_iPKfiiiSD_SD_iiiii.private_seg_size, 732
	.set .L_ZN4vllm22paged_attention_kernelIthLi192ELi32ELi128ELNS_18Fp8KVCacheDataTypeE1ELb1ELi0EEEvPfS2_PT_PKS3_PKT0_S9_ifPKiSB_iPKfiiiSD_SD_iiiii.uses_vcc, 1
	.set .L_ZN4vllm22paged_attention_kernelIthLi192ELi32ELi128ELNS_18Fp8KVCacheDataTypeE1ELb1ELi0EEEvPfS2_PT_PKS3_PKT0_S9_ifPKiSB_iPKfiiiSD_SD_iiiii.uses_flat_scratch, 1
	.set .L_ZN4vllm22paged_attention_kernelIthLi192ELi32ELi128ELNS_18Fp8KVCacheDataTypeE1ELb1ELi0EEEvPfS2_PT_PKS3_PKT0_S9_ifPKiSB_iPKfiiiSD_SD_iiiii.has_dyn_sized_stack, 0
	.set .L_ZN4vllm22paged_attention_kernelIthLi192ELi32ELi128ELNS_18Fp8KVCacheDataTypeE1ELb1ELi0EEEvPfS2_PT_PKS3_PKT0_S9_ifPKiSB_iPKfiiiSD_SD_iiiii.has_recursion, 0
	.set .L_ZN4vllm22paged_attention_kernelIthLi192ELi32ELi128ELNS_18Fp8KVCacheDataTypeE1ELb1ELi0EEEvPfS2_PT_PKS3_PKT0_S9_ifPKiSB_iPKfiiiSD_SD_iiiii.has_indirect_call, 0
	.section	.AMDGPU.csdata,"",@progbits
; Function info:
; codeLenInByte = 131944
; TotalNumSgprs: 35
; NumVgprs: 128
; ScratchSize: 732
; MemoryBound: 0
	.section	.text._ZN4vllm25paged_attention_v1_kernelIthLi192ELi32ELi128ELNS_18Fp8KVCacheDataTypeE1ELb1EEEvPT_PKS2_PKT0_S8_ifPKiSA_iPKfiiiSC_SC_iiiii,"axG",@progbits,_ZN4vllm25paged_attention_v1_kernelIthLi192ELi32ELi128ELNS_18Fp8KVCacheDataTypeE1ELb1EEEvPT_PKS2_PKT0_S8_ifPKiSA_iPKfiiiSC_SC_iiiii,comdat
	.protected	_ZN4vllm25paged_attention_v1_kernelIthLi192ELi32ELi128ELNS_18Fp8KVCacheDataTypeE1ELb1EEEvPT_PKS2_PKT0_S8_ifPKiSA_iPKfiiiSC_SC_iiiii ; -- Begin function _ZN4vllm25paged_attention_v1_kernelIthLi192ELi32ELi128ELNS_18Fp8KVCacheDataTypeE1ELb1EEEvPT_PKS2_PKT0_S8_ifPKiSA_iPKfiiiSC_SC_iiiii
	.globl	_ZN4vllm25paged_attention_v1_kernelIthLi192ELi32ELi128ELNS_18Fp8KVCacheDataTypeE1ELb1EEEvPT_PKS2_PKT0_S8_ifPKiSA_iPKfiiiSC_SC_iiiii
	.p2align	8
	.type	_ZN4vllm25paged_attention_v1_kernelIthLi192ELi32ELi128ELNS_18Fp8KVCacheDataTypeE1ELb1EEEvPT_PKS2_PKT0_S8_ifPKiSA_iPKfiiiSC_SC_iiiii,@function
_ZN4vllm25paged_attention_v1_kernelIthLi192ELi32ELi128ELNS_18Fp8KVCacheDataTypeE1ELb1EEEvPT_PKS2_PKT0_S8_ifPKiSA_iPKfiiiSC_SC_iiiii: ; @_ZN4vllm25paged_attention_v1_kernelIthLi192ELi32ELi128ELNS_18Fp8KVCacheDataTypeE1ELb1EEEvPT_PKS2_PKT0_S8_ifPKiSA_iPKfiiiSC_SC_iiiii
; %bb.0:
	s_clause 0x6
	s_load_b256 s[12:19], s[0:1], 0x0
	s_load_b128 s[4:7], s[0:1], 0x20
	s_load_b96 s[28:30], s[0:1], 0x30
	s_load_b64 s[10:11], s[0:1], 0x40
	s_load_b96 s[36:38], s[0:1], 0x48
	s_load_b256 s[20:27], s[0:1], 0x58
	s_load_b32 s31, s[0:1], 0x78
	v_mov_b32_e32 v31, v0
	s_get_pc_i64 s[2:3]
	s_add_nc_u64 s[2:3], s[2:3], _ZN4vllm22paged_attention_kernelIthLi192ELi32ELi128ELNS_18Fp8KVCacheDataTypeE1ELb1ELi0EEEvPfS2_PT_PKS3_PKT0_S9_ifPKiSB_iPKfiiiSD_SD_iiiii@rel64+4
	s_add_nc_u64 s[8:9], s[0:1], 0x80
	s_mov_b32 s32, 0
	s_wait_kmcnt 0x0
	v_dual_mov_b32 v15, s10 :: v_dual_mov_b32 v16, s11
	v_dual_mov_b32 v0, s12 :: v_dual_mov_b32 v1, s13
	;; [unrolled: 1-line block ×14, first 2 shown]
	v_mov_b32_e32 v28, s31
	s_mov_b32 s15, 43
	s_swap_pc_i64 s[30:31], s[2:3]
	s_endpgm
	.section	.rodata,"a",@progbits
	.p2align	6, 0x0
	.amdhsa_kernel _ZN4vllm25paged_attention_v1_kernelIthLi192ELi32ELi128ELNS_18Fp8KVCacheDataTypeE1ELb1EEEvPT_PKS2_PKT0_S8_ifPKiSA_iPKfiiiSC_SC_iiiii
		.amdhsa_group_segment_fixed_size 416
		.amdhsa_private_segment_fixed_size 732
		.amdhsa_kernarg_size 384
		.amdhsa_user_sgpr_count 2
		.amdhsa_user_sgpr_dispatch_ptr 0
		.amdhsa_user_sgpr_queue_ptr 0
		.amdhsa_user_sgpr_kernarg_segment_ptr 1
		.amdhsa_user_sgpr_dispatch_id 0
		.amdhsa_user_sgpr_kernarg_preload_length 0
		.amdhsa_user_sgpr_kernarg_preload_offset 0
		.amdhsa_user_sgpr_private_segment_size 0
		.amdhsa_wavefront_size32 1
		.amdhsa_uses_dynamic_stack 0
		.amdhsa_enable_private_segment 1
		.amdhsa_system_sgpr_workgroup_id_x 1
		.amdhsa_system_sgpr_workgroup_id_y 1
		.amdhsa_system_sgpr_workgroup_id_z 1
		.amdhsa_system_sgpr_workgroup_info 0
		.amdhsa_system_vgpr_workitem_id 0
		.amdhsa_next_free_vgpr 128
		.amdhsa_next_free_sgpr 39
		.amdhsa_named_barrier_count 0
		.amdhsa_reserve_vcc 1
		.amdhsa_float_round_mode_32 0
		.amdhsa_float_round_mode_16_64 0
		.amdhsa_float_denorm_mode_32 3
		.amdhsa_float_denorm_mode_16_64 3
		.amdhsa_fp16_overflow 0
		.amdhsa_memory_ordered 1
		.amdhsa_forward_progress 1
		.amdhsa_inst_pref_size 2
		.amdhsa_round_robin_scheduling 0
		.amdhsa_exception_fp_ieee_invalid_op 0
		.amdhsa_exception_fp_denorm_src 0
		.amdhsa_exception_fp_ieee_div_zero 0
		.amdhsa_exception_fp_ieee_overflow 0
		.amdhsa_exception_fp_ieee_underflow 0
		.amdhsa_exception_fp_ieee_inexact 0
		.amdhsa_exception_int_div_zero 0
	.end_amdhsa_kernel
	.section	.text._ZN4vllm25paged_attention_v1_kernelIthLi192ELi32ELi128ELNS_18Fp8KVCacheDataTypeE1ELb1EEEvPT_PKS2_PKT0_S8_ifPKiSA_iPKfiiiSC_SC_iiiii,"axG",@progbits,_ZN4vllm25paged_attention_v1_kernelIthLi192ELi32ELi128ELNS_18Fp8KVCacheDataTypeE1ELb1EEEvPT_PKS2_PKT0_S8_ifPKiSA_iPKfiiiSC_SC_iiiii,comdat
.Lfunc_end286:
	.size	_ZN4vllm25paged_attention_v1_kernelIthLi192ELi32ELi128ELNS_18Fp8KVCacheDataTypeE1ELb1EEEvPT_PKS2_PKT0_S8_ifPKiSA_iPKfiiiSC_SC_iiiii, .Lfunc_end286-_ZN4vllm25paged_attention_v1_kernelIthLi192ELi32ELi128ELNS_18Fp8KVCacheDataTypeE1ELb1EEEvPT_PKS2_PKT0_S8_ifPKiSA_iPKfiiiSC_SC_iiiii
                                        ; -- End function
	.set _ZN4vllm25paged_attention_v1_kernelIthLi192ELi32ELi128ELNS_18Fp8KVCacheDataTypeE1ELb1EEEvPT_PKS2_PKT0_S8_ifPKiSA_iPKfiiiSC_SC_iiiii.num_vgpr, max(32, .L_ZN4vllm22paged_attention_kernelIthLi192ELi32ELi128ELNS_18Fp8KVCacheDataTypeE1ELb1ELi0EEEvPfS2_PT_PKS3_PKT0_S9_ifPKiSB_iPKfiiiSD_SD_iiiii.num_vgpr)
	.set _ZN4vllm25paged_attention_v1_kernelIthLi192ELi32ELi128ELNS_18Fp8KVCacheDataTypeE1ELb1EEEvPT_PKS2_PKT0_S8_ifPKiSA_iPKfiiiSC_SC_iiiii.num_agpr, max(0, .L_ZN4vllm22paged_attention_kernelIthLi192ELi32ELi128ELNS_18Fp8KVCacheDataTypeE1ELb1ELi0EEEvPfS2_PT_PKS3_PKT0_S9_ifPKiSB_iPKfiiiSD_SD_iiiii.num_agpr)
	.set _ZN4vllm25paged_attention_v1_kernelIthLi192ELi32ELi128ELNS_18Fp8KVCacheDataTypeE1ELb1EEEvPT_PKS2_PKT0_S8_ifPKiSA_iPKfiiiSC_SC_iiiii.numbered_sgpr, max(39, .L_ZN4vllm22paged_attention_kernelIthLi192ELi32ELi128ELNS_18Fp8KVCacheDataTypeE1ELb1ELi0EEEvPfS2_PT_PKS3_PKT0_S9_ifPKiSB_iPKfiiiSD_SD_iiiii.numbered_sgpr)
	.set _ZN4vllm25paged_attention_v1_kernelIthLi192ELi32ELi128ELNS_18Fp8KVCacheDataTypeE1ELb1EEEvPT_PKS2_PKT0_S8_ifPKiSA_iPKfiiiSC_SC_iiiii.num_named_barrier, max(0, .L_ZN4vllm22paged_attention_kernelIthLi192ELi32ELi128ELNS_18Fp8KVCacheDataTypeE1ELb1ELi0EEEvPfS2_PT_PKS3_PKT0_S9_ifPKiSB_iPKfiiiSD_SD_iiiii.num_named_barrier)
	.set _ZN4vllm25paged_attention_v1_kernelIthLi192ELi32ELi128ELNS_18Fp8KVCacheDataTypeE1ELb1EEEvPT_PKS2_PKT0_S8_ifPKiSA_iPKfiiiSC_SC_iiiii.private_seg_size, 0+max(.L_ZN4vllm22paged_attention_kernelIthLi192ELi32ELi128ELNS_18Fp8KVCacheDataTypeE1ELb1ELi0EEEvPfS2_PT_PKS3_PKT0_S9_ifPKiSB_iPKfiiiSD_SD_iiiii.private_seg_size)
	.set _ZN4vllm25paged_attention_v1_kernelIthLi192ELi32ELi128ELNS_18Fp8KVCacheDataTypeE1ELb1EEEvPT_PKS2_PKT0_S8_ifPKiSA_iPKfiiiSC_SC_iiiii.uses_vcc, or(1, .L_ZN4vllm22paged_attention_kernelIthLi192ELi32ELi128ELNS_18Fp8KVCacheDataTypeE1ELb1ELi0EEEvPfS2_PT_PKS3_PKT0_S9_ifPKiSB_iPKfiiiSD_SD_iiiii.uses_vcc)
	.set _ZN4vllm25paged_attention_v1_kernelIthLi192ELi32ELi128ELNS_18Fp8KVCacheDataTypeE1ELb1EEEvPT_PKS2_PKT0_S8_ifPKiSA_iPKfiiiSC_SC_iiiii.uses_flat_scratch, or(0, .L_ZN4vllm22paged_attention_kernelIthLi192ELi32ELi128ELNS_18Fp8KVCacheDataTypeE1ELb1ELi0EEEvPfS2_PT_PKS3_PKT0_S9_ifPKiSB_iPKfiiiSD_SD_iiiii.uses_flat_scratch)
	.set _ZN4vllm25paged_attention_v1_kernelIthLi192ELi32ELi128ELNS_18Fp8KVCacheDataTypeE1ELb1EEEvPT_PKS2_PKT0_S8_ifPKiSA_iPKfiiiSC_SC_iiiii.has_dyn_sized_stack, or(0, .L_ZN4vllm22paged_attention_kernelIthLi192ELi32ELi128ELNS_18Fp8KVCacheDataTypeE1ELb1ELi0EEEvPfS2_PT_PKS3_PKT0_S9_ifPKiSB_iPKfiiiSD_SD_iiiii.has_dyn_sized_stack)
	.set _ZN4vllm25paged_attention_v1_kernelIthLi192ELi32ELi128ELNS_18Fp8KVCacheDataTypeE1ELb1EEEvPT_PKS2_PKT0_S8_ifPKiSA_iPKfiiiSC_SC_iiiii.has_recursion, or(0, .L_ZN4vllm22paged_attention_kernelIthLi192ELi32ELi128ELNS_18Fp8KVCacheDataTypeE1ELb1ELi0EEEvPfS2_PT_PKS3_PKT0_S9_ifPKiSB_iPKfiiiSD_SD_iiiii.has_recursion)
	.set _ZN4vllm25paged_attention_v1_kernelIthLi192ELi32ELi128ELNS_18Fp8KVCacheDataTypeE1ELb1EEEvPT_PKS2_PKT0_S8_ifPKiSA_iPKfiiiSC_SC_iiiii.has_indirect_call, or(0, .L_ZN4vllm22paged_attention_kernelIthLi192ELi32ELi128ELNS_18Fp8KVCacheDataTypeE1ELb1ELi0EEEvPfS2_PT_PKS3_PKT0_S9_ifPKiSB_iPKfiiiSD_SD_iiiii.has_indirect_call)
	.section	.AMDGPU.csdata,"",@progbits
; Kernel info:
; codeLenInByte = 224
; TotalNumSgprs: 41
; NumVgprs: 128
; ScratchSize: 732
; MemoryBound: 0
; FloatMode: 240
; IeeeMode: 1
; LDSByteSize: 416 bytes/workgroup (compile time only)
; SGPRBlocks: 0
; VGPRBlocks: 7
; NumSGPRsForWavesPerEU: 41
; NumVGPRsForWavesPerEU: 128
; NamedBarCnt: 0
; Occupancy: 8
; WaveLimiterHint : 1
; COMPUTE_PGM_RSRC2:SCRATCH_EN: 1
; COMPUTE_PGM_RSRC2:USER_SGPR: 2
; COMPUTE_PGM_RSRC2:TRAP_HANDLER: 0
; COMPUTE_PGM_RSRC2:TGID_X_EN: 1
; COMPUTE_PGM_RSRC2:TGID_Y_EN: 1
; COMPUTE_PGM_RSRC2:TGID_Z_EN: 1
; COMPUTE_PGM_RSRC2:TIDIG_COMP_CNT: 0
	.text
	.p2align	2                               ; -- Begin function _ZN4vllm22paged_attention_kernelIthLi256ELi32ELi128ELNS_18Fp8KVCacheDataTypeE1ELb1ELi0EEEvPfS2_PT_PKS3_PKT0_S9_ifPKiSB_iPKfiiiSD_SD_iiiii
	.type	_ZN4vllm22paged_attention_kernelIthLi256ELi32ELi128ELNS_18Fp8KVCacheDataTypeE1ELb1ELi0EEEvPfS2_PT_PKS3_PKT0_S9_ifPKiSB_iPKfiiiSD_SD_iiiii,@function
_ZN4vllm22paged_attention_kernelIthLi256ELi32ELi128ELNS_18Fp8KVCacheDataTypeE1ELb1ELi0EEEvPfS2_PT_PKS3_PKT0_S9_ifPKiSB_iPKfiiiSD_SD_iiiii: ; @_ZN4vllm22paged_attention_kernelIthLi256ELi32ELi128ELNS_18Fp8KVCacheDataTypeE1ELb1ELi0EEEvPfS2_PT_PKS3_PKT0_S9_ifPKiSB_iPKfiiiSD_SD_iiiii
; %bb.0:
	s_wait_loadcnt_dscnt 0x0
	s_wait_kmcnt 0x0
	s_clause 0x2f
	scratch_store_b32 off, v40, s32 offset:188
	; meta instruction
	scratch_store_b32 off, v41, s32 offset:184
	; meta instruction
	;; [unrolled: 2-line block ×47, first 2 shown]
	scratch_store_b32 off, v127, s32
	s_bfe_u32 s0, ttmp6, 0x4000c
	s_bfe_u32 s3, ttmp6, 0x40010
	s_add_co_i32 s0, s0, 1
	s_and_b32 s1, ttmp6, 15
	s_mul_i32 s0, ttmp9, s0
	s_and_b32 s4, ttmp7, 0xffff
	s_add_co_i32 s3, s3, 1
	s_add_co_i32 s1, s1, s0
	s_mul_i32 s0, s4, s3
	s_bfe_u32 s3, ttmp6, 0x40004
	s_getreg_b32 s16, hwreg(HW_REG_IB_STS2, 6, 4)
	s_add_co_i32 s3, s3, s0
	s_cmp_eq_u32 s16, 0
	s_mov_b32 s5, 0
	s_cselect_b32 s17, s4, s3
	s_cselect_b32 s0, ttmp9, s1
	s_lshl_b32 s4, s17, 2
	s_clause 0x6
	scratch_store_b32 off, v26, s32 offset:932
	scratch_store_b64 off, v[20:21], s32 offset:900
	scratch_store_b64 off, v[18:19], s32 offset:860
	;; [unrolled: 1-line block ×3, first 2 shown]
	scratch_store_b32 off, v9, s32 offset:908
	scratch_store_b64 off, v[6:7], s32 offset:984
	scratch_store_b64 off, v[0:1], s32 offset:968
	s_wait_xcnt 0x1
	v_add_nc_u64_e32 v[6:7], s[4:5], v[12:13]
	s_wait_xcnt 0x0
	v_mov_b32_e32 v1, 0
	s_clause 0x1
	s_load_u16 s1, s[8:9], 0x12
	s_load_b32 s3, s[8:9], 0x0
	v_dual_mov_b32 v33, v16 :: v_dual_mov_b32 v32, v15
	s_mov_b32 s2, s15
	flat_load_b32 v6, v[6:7]
	s_wait_kmcnt 0x0
	s_cmp_lg_u32 s1, 0
	s_cselect_b32 s1, -1, 0
	s_delay_alu instid0(SALU_CYCLE_1)
	s_cmp_lg_u32 s1, 0
	s_add_co_ci_u32 s18, s3, 0
	s_abs_i32 s4, s0
	s_mov_b32 s3, exec_lo
	s_abs_i32 s1, s18
	s_wait_loadcnt_dscnt 0x0
	scratch_store_b64 off, v[6:7], s32 offset:852 ; 8-byte Folded Spill
	s_wait_xcnt 0x0
	v_sub_nc_u32_e32 v6, 0, v8
	global_load_u16 v0, v1, s[8:9] offset:22
	v_max_i32_e32 v6, v8, v6
	s_delay_alu instid0(VALU_DEP_1) | instskip(NEXT) | instid1(VALU_DEP_1)
	v_cvt_f32_u32_e32 v7, v6
	v_rcp_iflag_f32_e32 v7, v7
	v_nop
	s_delay_alu instid0(TRANS32_DEP_1) | instskip(SKIP_1) | instid1(VALU_DEP_2)
	v_mul_f32_e32 v7, 0x4f7ffffe, v7
	v_sub_nc_u32_e32 v9, 0, v6
	v_cvt_u32_f32_e32 v7, v7
	s_delay_alu instid0(VALU_DEP_1) | instskip(NEXT) | instid1(VALU_DEP_1)
	v_mul_lo_u32 v9, v9, v7
	v_mul_hi_u32 v9, v7, v9
	s_delay_alu instid0(VALU_DEP_1) | instskip(NEXT) | instid1(VALU_DEP_1)
	v_add_nc_u32_e32 v7, v7, v9
	v_mul_hi_u32 v7, s1, v7
	s_delay_alu instid0(VALU_DEP_1) | instskip(NEXT) | instid1(VALU_DEP_1)
	v_mul_lo_u32 v9, v7, v6
	v_dual_add_nc_u32 v10, 1, v7 :: v_dual_sub_nc_u32 v9, s1, v9
	s_delay_alu instid0(VALU_DEP_1) | instskip(SKIP_1) | instid1(VALU_DEP_3)
	v_sub_nc_u32_e32 v11, v9, v6
	v_cmp_ge_u32_e32 vcc_lo, v9, v6
	v_dual_cndmask_b32 v7, v7, v10, vcc_lo :: v_dual_bitop2_b32 v10, s18, v8 bitop3:0x14
	s_delay_alu instid0(VALU_DEP_3) | instskip(NEXT) | instid1(VALU_DEP_2)
	v_cndmask_b32_e32 v9, v9, v11, vcc_lo
	v_dual_add_nc_u32 v11, 1, v7 :: v_dual_ashrrev_i32 v10, 31, v10
	s_delay_alu instid0(VALU_DEP_2) | instskip(NEXT) | instid1(VALU_DEP_2)
	v_cmp_ge_u32_e32 vcc_lo, v9, v6
	v_cndmask_b32_e32 v6, v7, v11, vcc_lo
	s_delay_alu instid0(VALU_DEP_1) | instskip(NEXT) | instid1(VALU_DEP_1)
	v_xor_b32_e32 v6, v6, v10
	v_sub_nc_u32_e32 v7, v6, v10
	s_delay_alu instid0(VALU_DEP_1) | instskip(NEXT) | instid1(VALU_DEP_1)
	v_sub_nc_u32_e32 v6, 0, v7
	v_max_i32_e32 v6, v7, v6
	s_delay_alu instid0(VALU_DEP_1) | instskip(SKIP_1) | instid1(VALU_DEP_2)
	v_cvt_f32_u32_e32 v9, v6
	v_sub_nc_u32_e32 v10, 0, v6
	v_rcp_iflag_f32_e32 v9, v9
	v_nop
	s_delay_alu instid0(TRANS32_DEP_1) | instskip(NEXT) | instid1(VALU_DEP_1)
	v_mul_f32_e32 v9, 0x4f7ffffe, v9
	v_cvt_u32_f32_e32 v9, v9
	s_delay_alu instid0(VALU_DEP_1) | instskip(NEXT) | instid1(VALU_DEP_1)
	v_mul_lo_u32 v10, v10, v9
	v_mul_hi_u32 v10, v9, v10
	s_wait_loadcnt 0x0
	v_readfirstlane_b32 s19, v0
	s_delay_alu instid0(VALU_DEP_2)
	v_add_nc_u32_e32 v0, v9, v10
	v_mov_b32_e32 v9, v1
	scratch_store_b32 off, v9, s32 offset:896 ; 4-byte Folded Spill
	s_wait_xcnt 0x0
	v_cmpx_ne_u64_e32 0, v[32:33]
	s_cbranch_execz .LBB287_2
; %bb.1:
	s_ashr_i32 s1, s0, 31
	s_delay_alu instid0(SALU_CYCLE_1)
	v_lshl_add_u64 v[10:11], s[0:1], 2, v[32:33]
	flat_load_b32 v9, v[10:11]
	s_wait_loadcnt_dscnt 0x0
	scratch_store_b32 off, v9, s32 offset:896 ; 4-byte Folded Spill
.LBB287_2:
	s_wait_xcnt 0x0
	s_or_b32 exec_lo, exec_lo, s3
	v_mul_u64_e32 v[0:1], s[4:5], v[0:1]
	v_and_b32_e32 v9, 0x3ff, v31
	v_ashrrev_i32_e32 v0, 31, v7
	s_ashr_i32 s1, s0, 31
	s_lshl_b32 s10, s0, 8
	s_mov_b32 s3, exec_lo
	scratch_store_b32 off, v9, s32 offset:924 ; 4-byte Folded Spill
	s_wait_xcnt 0x0
	v_cmpx_gt_u32_e32 32, v9
	s_cbranch_execz .LBB287_4
; %bb.3:
	scratch_load_b32 v7, off, s32 offset:924 ; 4-byte Folded Reload
	v_mul_lo_u32 v10, v17, s17
	s_ashr_i32 s11, s10, 31
	s_delay_alu instid0(VALU_DEP_1) | instskip(SKIP_2) | instid1(VALU_DEP_2)
	v_dual_mov_b32 v17, 0 :: v_dual_ashrrev_i32 v11, 31, v10
	s_wait_loadcnt 0x0
	v_lshlrev_b32_e32 v16, 4, v7
	v_lshl_add_u64 v[2:3], v[10:11], 1, v[2:3]
	s_delay_alu instid0(VALU_DEP_1) | instskip(NEXT) | instid1(VALU_DEP_1)
	v_lshl_add_u64 v[2:3], s[10:11], 1, v[2:3]
	v_add_nc_u64_e32 v[2:3], v[2:3], v[16:17]
	flat_load_b128 v[10:13], v[2:3]
	s_wait_loadcnt_dscnt 0x0
	ds_store_b128 v16, v[10:13]
.LBB287_4:
	s_wait_xcnt 0x0
	s_or_b32 exec_lo, exec_lo, s3
	scratch_load_b64 v[12:13], off, s32 offset:852 ; 8-byte Folded Reload
	v_dual_sub_nc_u32 v2, 0, v27 :: v_dual_add_nc_u32 v9, 1, v1
	v_mul_lo_u32 v3, v1, v6
	v_xor_b32_e32 v11, s1, v0
	s_mov_b32 s1, exec_lo
	s_delay_alu instid0(VALU_DEP_3) | instskip(NEXT) | instid1(VALU_DEP_1)
	v_max_i32_e32 v7, v27, v2
	v_cvt_f32_u32_e32 v2, v7
	s_delay_alu instid0(VALU_DEP_4) | instskip(NEXT) | instid1(VALU_DEP_2)
	v_sub_nc_u32_e32 v3, s4, v3
	v_rcp_iflag_f32_e32 v2, v2
	s_delay_alu instid0(VALU_DEP_1) | instskip(NEXT) | instid1(TRANS32_DEP_1)
	v_cmp_ge_u32_e32 vcc_lo, v3, v6
	v_mul_f32_e32 v2, 0x4f7ffffe, v2
	scratch_store_b32 off, v7, s32 offset:204 ; 4-byte Folded Spill
	s_wait_xcnt 0x0
	v_dual_sub_nc_u32 v7, 0, v7 :: v_dual_cndmask_b32 v1, v1, v9, vcc_lo
	v_cvt_u32_f32_e32 v2, v2
	s_delay_alu instid0(VALU_DEP_2) | instskip(NEXT) | instid1(VALU_DEP_2)
	v_add_nc_u32_e32 v9, 1, v1
	v_mul_lo_u32 v10, v7, v2
	v_sub_nc_u32_e32 v7, v3, v6
	s_delay_alu instid0(VALU_DEP_1) | instskip(NEXT) | instid1(VALU_DEP_3)
	v_cndmask_b32_e32 v3, v3, v7, vcc_lo
	v_mul_hi_u32 v10, v2, v10
	s_wait_loadcnt 0x0
	v_add_nc_u32_e32 v7, -1, v12
	s_delay_alu instid0(VALU_DEP_3) | instskip(NEXT) | instid1(VALU_DEP_3)
	v_cmp_ge_u32_e32 vcc_lo, v3, v6
	v_add_nc_u32_e32 v12, v2, v10
                                        ; implicit-def: $vgpr2
                                        ; kill: killed $vgpr2
	v_dual_cndmask_b32 v0, v1, v9 :: v_dual_mov_b32 v1, 0
	s_delay_alu instid0(VALU_DEP_4) | instskip(NEXT) | instid1(VALU_DEP_2)
	v_sub_nc_u32_e32 v3, 0, v7
	v_dual_mov_b32 v13, v1 :: v_dual_bitop2_b32 v6, v0, v11 bitop3:0x14
	s_delay_alu instid0(VALU_DEP_2) | instskip(NEXT) | instid1(VALU_DEP_2)
	v_max_i32_e32 v0, v7, v3
	v_sub_nc_u32_e32 v6, v6, v11
	scratch_store_b64 off, v[12:13], s32 offset:208 ; 8-byte Folded Spill
	s_wait_storecnt_dscnt 0x0
	s_barrier_signal -1
	s_barrier_wait -1
	s_wait_xcnt 0x0
	v_cmpx_gt_i32_e32 0, v28
	s_xor_b32 s1, exec_lo, s1
	s_cbranch_execz .LBB287_6
; %bb.5:
	v_mad_u32 v2, v24, v8, v6
                                        ; implicit-def: $vgpr24
	s_delay_alu instid0(VALU_DEP_1) | instskip(NEXT) | instid1(VALU_DEP_1)
	v_mul_lo_u32 v2, v2, v28
                                        ; implicit-def: $vgpr28
	v_sub_nc_u32_e32 v2, 1, v2
	scratch_store_b32 off, v2, s32 offset:220 ; 4-byte Folded Spill
.LBB287_6:
	s_wait_xcnt 0x0
	s_or_saveexec_b32 s1, s1
	scratch_load_b64 v[2:3], off, s32 offset:208 ; 8-byte Folded Reload
	s_wait_loadcnt 0x0
	v_mul_u64_e32 v[2:3], v[0:1], v[2:3]
	v_ashrrev_i32_e32 v1, 31, v7
	v_ashrrev_i32_e32 v2, 31, v27
	scratch_store_b32 off, v2, s32 offset:216 ; 4-byte Folded Spill
	s_wait_xcnt 0x0
	s_xor_b32 exec_lo, exec_lo, s1
	s_cbranch_execz .LBB287_8
; %bb.7:
	v_mad_u32 v2, s18, v24, s0
	s_delay_alu instid0(VALU_DEP_1)
	v_mad_u32 v2, v2, v28, 1
	scratch_store_b32 off, v2, s32 offset:220 ; 4-byte Folded Spill
.LBB287_8:
	s_wait_xcnt 0x0
	s_or_b32 exec_lo, exec_lo, s1
	s_clause 0x1
	scratch_load_b32 v12, off, s32 offset:204
	scratch_load_b64 v[8:9], off, s32 offset:852
	v_mul_lo_u32 v14, v14, s17
	s_load_b32 s9, s[8:9], 0x8
	s_ashr_i32 s3, s2, 31
	s_get_pc_i64 s[4:5]
	s_add_nc_u64 s[4:5], s[4:5], llvm.amdgcn.dynlds.offset.table@rel64+4
	s_lshl_b64 s[2:3], s[2:3], 2
	s_wait_loadcnt 0x0
	scratch_load_b32 v9, off, s32 offset:924 ; 4-byte Folded Reload
	s_add_nc_u64 s[12:13], s[4:5], s[2:3]
	v_mul_lo_u32 v2, v3, v12
	s_wait_loadcnt 0x0
	v_dual_mov_b32 v21, 0xff7fffff :: v_dual_lshrrev_b32 v10, 5, v9
	s_delay_alu instid0(VALU_DEP_2) | instskip(NEXT) | instid1(VALU_DEP_1)
	v_dual_sub_nc_u32 v0, v0, v2 :: v_dual_add_nc_u32 v2, 1, v3
	v_cmp_ge_u32_e32 vcc_lo, v0, v12
	s_delay_alu instid0(VALU_DEP_2) | instskip(SKIP_3) | instid1(VALU_DEP_1)
	v_dual_cndmask_b32 v2, v3, v2 :: v_dual_add_nc_u32 v7, 31, v8
	scratch_load_b32 v3, off, s32 offset:216 ; 4-byte Folded Reload
	s_wait_loadcnt 0x0
	v_dual_sub_nc_u32 v8, v0, v12 :: v_dual_bitop2_b32 v1, v1, v3 bitop3:0x14
	v_dual_cndmask_b32 v0, v0, v8 :: v_dual_ashrrev_i32 v3, 31, v7
	v_dual_add_nc_u32 v8, 1, v2 :: v_dual_bitop2_b32 v11, 31, v9 bitop3:0x40
	s_delay_alu instid0(VALU_DEP_2) | instskip(NEXT) | instid1(VALU_DEP_3)
	v_lshrrev_b32_e32 v3, 27, v3
	v_cmp_ge_u32_e32 vcc_lo, v0, v12
	v_mul_lo_u32 v12, v6, v19
	s_delay_alu instid0(VALU_DEP_4) | instskip(NEXT) | instid1(VALU_DEP_4)
	v_dual_lshlrev_b32 v6, 5, v10 :: v_dual_cndmask_b32 v0, v2, v8, vcc_lo
	v_add_nc_u32_e32 v2, v7, v3
	s_clause 0x1
	scratch_load_b32 v3, off, s32 offset:932
	scratch_store_b64 off, v[6:7], s32 offset:976
	v_dual_ashrrev_i32 v13, 31, v12 :: v_dual_bitop2_b32 v0, v0, v1 bitop3:0x14
	s_wait_loadcnt 0x0
	v_dual_sub_nc_u32 v3, 0, v3 :: v_dual_ashrrev_i32 v2, 5, v2
	s_delay_alu instid0(VALU_DEP_2) | instskip(NEXT) | instid1(VALU_DEP_2)
	v_dual_sub_nc_u32 v0, v0, v1 :: v_dual_ashrrev_i32 v15, 31, v14
	v_cmp_lt_i32_e64 s0, v10, v2
	s_delay_alu instid0(VALU_DEP_2)
	v_sub_nc_u32_e32 v0, v0, v25
	s_clause 0x2
	scratch_store_b32 off, v11, s32 offset:892
	scratch_store_b32 off, v3, s32 offset:964
	scratch_store_b64 off, v[14:15], s32 offset:944
	s_wait_xcnt 0x2
	v_lshlrev_b32_e32 v11, 2, v11
	s_clause 0x3
	scratch_store_b64 off, v[12:13], s32 offset:956
	scratch_store_b32 off, v10, s32 offset:928
	scratch_store_b32 off, v2, s32 offset:192
	;; [unrolled: 1-line block ×3, first 2 shown]
	s_wait_xcnt 0x0
	v_lshrrev_b32_e32 v0, 3, v9
	scratch_store_b32 off, v0, s32 offset:952 ; 4-byte Folded Spill
	s_wait_xcnt 0x0
	s_and_saveexec_b32 s3, s0
	s_cbranch_execz .LBB287_2064
; %bb.9:
	s_clause 0x1
	scratch_load_b32 v0, off, s32 offset:932
	scratch_load_b32 v1, off, s32 offset:964
	v_mov_b32_e32 v25, 0
	s_load_b32 s6, s[12:13], 0x0
	s_mov_b64 s[4:5], 0xffffffffffffff
	s_mov_b32 s7, 0
	s_clause 0x1
	scratch_store_b32 off, v11, s32 offset:992
	scratch_load_b64 v[6:7], off, s32 offset:936
	v_mov_b32_e32 v21, 0xff7fffff
	s_wait_loadcnt 0x1
	v_max_i32_e32 v1, v0, v1
	s_delay_alu instid0(VALU_DEP_1) | instskip(NEXT) | instid1(VALU_DEP_1)
	v_cvt_f32_u32_e32 v0, v1
	v_rcp_iflag_f32_e32 v0, v0
	v_nop
	s_delay_alu instid0(TRANS32_DEP_1) | instskip(SKIP_4) | instid1(VALU_DEP_1)
	v_mul_f32_e32 v0, 0x4f7ffffe, v0
	scratch_store_b32 off, v1, s32 offset:868 ; 4-byte Folded Spill
	s_wait_xcnt 0x0
	v_sub_nc_u32_e32 v1, 0, v1
	v_cvt_u32_f32_e32 v2, v0
	v_mul_lo_u32 v3, v1, v2
	scratch_load_b64 v[0:1], off, s32 offset:956 ; 8-byte Folded Reload
	v_mul_hi_u32 v3, v2, v3
	s_delay_alu instid0(VALU_DEP_1)
	v_add_nc_u32_e32 v8, v2, v3
	s_wait_loadcnt 0x0
	v_add_nc_u64_e32 v[0:1], v[4:5], v[0:1]
	s_clause 0x1
	scratch_load_b32 v4, off, s32 offset:892
	scratch_load_b32 v5, off, s32 offset:896
	s_wait_loadcnt 0x1
	v_lshlrev_b32_e32 v24, 4, v4
	s_delay_alu instid0(VALU_DEP_1)
	v_add_nc_u64_e32 v[0:1], v[0:1], v[24:25]
	s_clause 0x1
	scratch_store_b64 off, v[0:1], s32 offset:912
	scratch_load_b32 v0, off, s32 offset:952
	s_wait_loadcnt 0x0
	v_and_b32_e32 v24, 0x7c, v0
	scratch_load_b64 v[0:1], off, s32 offset:852 ; 8-byte Folded Reload
	v_cmp_neq_f32_e32 vcc_lo, 0, v5
	scratch_load_b32 v5, off, s32 offset:928 ; 4-byte Folded Reload
	s_wait_loadcnt 0x1
	v_sub_nc_u32_e32 v4, v4, v0
	scratch_load_b64 v[0:1], off, s32 offset:944 ; 8-byte Folded Reload
	s_wait_loadcnt 0x1
	v_lshlrev_b32_e32 v32, 5, v5
	v_lshl_or_b32 v11, v5, 7, v11
	v_dual_mov_b32 v9, v25 :: v_dual_add_nc_u32 v4, 1, v4
	scratch_store_b64 off, v[8:9], s32 offset:872 ; 8-byte Folded Spill
	s_wait_loadcnt 0x0
	v_lshl_add_u64 v[0:1], v[0:1], 2, v[24:25]
	s_delay_alu instid0(VALU_DEP_1)
	v_add_nc_u64_e32 v[0:1], v[6:7], v[0:1]
	s_clause 0x1
	scratch_store_b64 off, v[0:1], s32 offset:196
	scratch_store_b32 off, v4, s32 offset:920
	s_branch .LBB287_15
.LBB287_10:                             ;   in Loop: Header=BB287_15 Depth=1
	s_or_b32 exec_lo, exec_lo, s15
	v_lshlrev_b32_e32 v3, 8, v24
	v_lshl_add_u32 v2, v2, 10, 0x2000
	v_lshlrev_b32_e32 v0, 23, v0
	s_delay_alu instid0(VALU_DEP_2) | instskip(NEXT) | instid1(VALU_DEP_1)
	v_and_or_b32 v2, 0x8000, v3, v2
	v_lshl_or_b32 v6, v2, 16, v0
.LBB287_11:                             ;   in Loop: Header=BB287_15 Depth=1
	s_or_b32 exec_lo, exec_lo, s14
.LBB287_12:                             ;   in Loop: Header=BB287_15 Depth=1
	s_delay_alu instid0(SALU_CYCLE_1)
	s_or_b32 exec_lo, exec_lo, s11
.LBB287_13:                             ;   in Loop: Header=BB287_15 Depth=1
	s_delay_alu instid0(SALU_CYCLE_1)
	s_or_b32 exec_lo, exec_lo, s8
	ds_load_b128 v[2:5], v25
	s_load_b32 s8, s[12:13], 0x0
	s_wait_dscnt 0x0
	v_dual_lshrrev_b32 v0, 16, v2 :: v_dual_lshrrev_b32 v10, 16, v3
	v_and_b32_e32 v2, 0xffff, v2
	;;#ASMSTART
	v_cvt_f32_f16 v66, v2;
	;;#ASMEND
	;;#ASMSTART
	v_cvt_f32_f16 v67, v0;
	;;#ASMEND
	v_or_b32_e32 v0, v1, v38
	v_fma_mixlo_f16 v1, v33, v1, 0 op_sel:[0,1,0] op_sel_hi:[0,1,0]
	v_and_b32_e32 v3, 0xffff, v3
	v_dual_lshrrev_b32 v11, 16, v4 :: v_dual_lshrrev_b32 v21, 16, v5
	s_delay_alu instid0(VALU_DEP_4) | instskip(NEXT) | instid1(VALU_DEP_4)
	v_fma_mixlo_f16 v0, v33, v0, 0 op_sel_hi:[0,1,0]
	v_and_b32_e32 v1, 0xffff, v1
	v_and_b32_e32 v4, 0xffff, v4
	;; [unrolled: 1-line block ×3, first 2 shown]
	s_delay_alu instid0(VALU_DEP_4)
	v_and_b32_e32 v0, 0xffff, v0
	;;#ASMSTART
	v_cvt_f32_f16 v68, v0;
	;;#ASMEND
	v_or_b32_e32 v0, v51, v50
	;;#ASMSTART
	v_cvt_f32_f16 v69, v1;
	;;#ASMEND
	v_fma_mixlo_f16 v1, v33, v51, 0 op_sel:[0,1,0] op_sel_hi:[0,1,0]
	;;#ASMSTART
	v_cvt_f32_f16 v55, v3;
	;;#ASMEND
	;;#ASMSTART
	v_cvt_f32_f16 v54, v10;
	;;#ASMEND
	v_fma_mixlo_f16 v0, v33, v0, 0 op_sel_hi:[0,1,0]
	s_delay_alu instid0(VALU_DEP_2) | instskip(NEXT) | instid1(VALU_DEP_2)
	v_and_b32_e32 v1, 0xffff, v1
	v_and_b32_e32 v0, 0xffff, v0
	;;#ASMSTART
	v_cvt_f32_f16 v65, v0;
	;;#ASMEND
	v_or_b32_e32 v0, v52, v39
	;;#ASMSTART
	v_cvt_f32_f16 v64, v1;
	;;#ASMEND
	v_fma_mixlo_f16 v1, v33, v52, 0 op_sel:[0,1,0] op_sel_hi:[0,1,0]
	;;#ASMSTART
	v_cvt_f32_f16 v51, v4;
	;;#ASMEND
	;;#ASMSTART
	v_cvt_f32_f16 v50, v11;
	;;#ASMEND
	v_fma_mixlo_f16 v0, v33, v0, 0 op_sel_hi:[0,1,0]
	s_delay_alu instid0(VALU_DEP_2) | instskip(NEXT) | instid1(VALU_DEP_2)
	v_and_b32_e32 v1, 0xffff, v1
	;; [unrolled: 18-line block ×3, first 2 shown]
	v_and_b32_e32 v0, 0xffff, v0
	;;#ASMSTART
	v_cvt_f32_f16 v49, v0;
	;;#ASMEND
	;;#ASMSTART
	v_cvt_f32_f16 v48, v1;
	;;#ASMEND
	ds_load_b128 v[2:5], v25 offset:16
	s_wait_dscnt 0x0
	v_and_b32_e32 v0, 0xffff, v2
	v_lshrrev_b32_e32 v1, 16, v2
	;;#ASMSTART
	v_cvt_f32_f16 v70, v0;
	;;#ASMEND
	v_or_b32_e32 v0, v81, v80
	;;#ASMSTART
	v_cvt_f32_f16 v71, v1;
	;;#ASMEND
	v_lshrrev_b32_e32 v2, 16, v4
	v_fma_mixlo_f16 v1, v33, v81, 0 op_sel:[0,1,0] op_sel_hi:[0,1,0]
	s_delay_alu instid0(VALU_DEP_3) | instskip(NEXT) | instid1(VALU_DEP_2)
	v_fma_mixlo_f16 v0, v33, v0, 0 op_sel_hi:[0,1,0]
	v_and_b32_e32 v1, 0xffff, v1
	s_delay_alu instid0(VALU_DEP_2) | instskip(SKIP_3) | instid1(VALU_DEP_1)
	v_and_b32_e32 v0, 0xffff, v0
	;;#ASMSTART
	v_cvt_f32_f16 v80, v0;
	;;#ASMEND
	;;#ASMSTART
	v_cvt_f32_f16 v81, v1;
	;;#ASMEND
	v_pk_mul_f32 v[0:1], v[70:71], v[80:81]
	v_pk_fma_f32 v[70:71], v[66:67], v[68:69], v[0:1]
	v_lshrrev_b32_e32 v0, 16, v3
	v_and_b32_e32 v1, 0xffff, v3
	;;#ASMSTART
	v_cvt_f32_f16 v81, v1;
	;;#ASMEND
	;;#ASMSTART
	v_cvt_f32_f16 v80, v0;
	;;#ASMEND
	v_or_b32_e32 v0, v15, v26
	v_and_b32_e32 v3, 0xffff, v4
	v_fma_mixlo_f16 v1, v33, v15, 0 op_sel:[0,1,0] op_sel_hi:[0,1,0]
	v_lshrrev_b32_e32 v4, 16, v5
	v_and_b32_e32 v5, 0xffff, v5
	v_fma_mixlo_f16 v0, v33, v0, 0 op_sel_hi:[0,1,0]
	s_delay_alu instid0(VALU_DEP_4) | instskip(NEXT) | instid1(VALU_DEP_2)
	v_and_b32_e32 v1, 0xffff, v1
	v_and_b32_e32 v0, 0xffff, v0
	;;#ASMSTART
	v_cvt_f32_f16 v11, v0;
	;;#ASMEND
	;;#ASMSTART
	v_cvt_f32_f16 v10, v1;
	;;#ASMEND
	;; [unrolled: 3-line block ×4, first 2 shown]
	v_or_b32_e32 v2, v14, v27
	v_fma_mixlo_f16 v3, v33, v14, 0 op_sel:[0,1,0] op_sel_hi:[0,1,0]
	v_pk_mul_f32 v[10:11], v[80:81], v[10:11]
	s_delay_alu instid0(VALU_DEP_3) | instskip(NEXT) | instid1(VALU_DEP_3)
	v_fma_mixlo_f16 v2, v33, v2, 0 op_sel_hi:[0,1,0]
	v_and_b32_e32 v3, 0xffff, v3
	s_delay_alu instid0(VALU_DEP_2)
	v_and_b32_e32 v2, 0xffff, v2
	;;#ASMSTART
	v_cvt_f32_f16 v15, v2;
	;;#ASMEND
	;;#ASMSTART
	v_cvt_f32_f16 v14, v3;
	;;#ASMEND
	;; [unrolled: 3-line block ×4, first 2 shown]
	v_or_b32_e32 v4, v29, v28
	v_fma_mixlo_f16 v5, v33, v29, 0 op_sel:[0,1,0] op_sel_hi:[0,1,0]
	v_pk_mul_f32 v[0:1], v[0:1], v[14:15]
	s_delay_alu instid0(VALU_DEP_3) | instskip(NEXT) | instid1(VALU_DEP_3)
	v_fma_mixlo_f16 v4, v33, v4, 0 op_sel_hi:[0,1,0]
	v_and_b32_e32 v21, 0xffff, v5
	s_delay_alu instid0(VALU_DEP_3) | instskip(NEXT) | instid1(VALU_DEP_3)
	v_pk_fma_f32 v[52:53], v[50:51], v[52:53], v[0:1]
	v_and_b32_e32 v4, 0xffff, v4
	;;#ASMSTART
	v_cvt_f32_f16 v5, v4;
	;;#ASMEND
	;;#ASMSTART
	v_cvt_f32_f16 v4, v21;
	;;#ASMEND
	ds_load_b128 v[66:69], v25 offset:32
	v_pk_mul_f32 v[2:3], v[2:3], v[4:5]
	s_delay_alu instid0(VALU_DEP_1)
	v_pk_fma_f32 v[2:3], v[38:39], v[48:49], v[2:3]
	s_wait_dscnt 0x0
	v_and_b32_e32 v21, 0xffff, v66
	v_lshrrev_b32_e32 v24, 16, v66
	;;#ASMSTART
	v_cvt_f32_f16 v28, v21;
	;;#ASMEND
	v_or_b32_e32 v21, v30, v31
	;;#ASMSTART
	v_cvt_f32_f16 v29, v24;
	;;#ASMEND
	v_and_b32_e32 v31, 0xffff, v69
	v_fma_mixlo_f16 v24, v33, v30, 0 op_sel:[0,1,0] op_sel_hi:[0,1,0]
	v_lshrrev_b32_e32 v30, 16, v69
	v_fma_mixlo_f16 v21, v33, v21, 0 op_sel_hi:[0,1,0]
	s_delay_alu instid0(VALU_DEP_3) | instskip(NEXT) | instid1(VALU_DEP_2)
	v_and_b32_e32 v24, 0xffff, v24
	v_and_b32_e32 v21, 0xffff, v21
	;;#ASMSTART
	v_cvt_f32_f16 v26, v21;
	;;#ASMEND
	;;#ASMSTART
	v_cvt_f32_f16 v27, v24;
	;;#ASMEND
	v_pk_fma_f32 v[26:27], v[28:29], v[26:27], v[70:71]
	v_pk_fma_f32 v[70:71], v[54:55], v[64:65], v[10:11]
	v_lshrrev_b32_e32 v10, 16, v67
	v_and_b32_e32 v11, 0xffff, v67
	;;#ASMSTART
	v_cvt_f32_f16 v81, v11;
	;;#ASMEND
	;;#ASMSTART
	v_cvt_f32_f16 v80, v10;
	;;#ASMEND
	v_dual_lshrrev_b32 v21, 16, v68 :: v_dual_bitop2_b32 v10, v84, v85 bitop3:0x54
	s_delay_alu instid0(VALU_DEP_2) | instskip(SKIP_1) | instid1(VALU_DEP_3)
	v_fma_mixlo_f16 v11, v33, v84, 0 op_sel:[0,1,0] op_sel_hi:[0,1,0]
	v_and_b32_e32 v24, 0xffff, v68
	v_fma_mixlo_f16 v10, v33, v10, 0 op_sel_hi:[0,1,0]
	s_delay_alu instid0(VALU_DEP_3) | instskip(NEXT) | instid1(VALU_DEP_2)
	v_and_b32_e32 v11, 0xffff, v11
	v_and_b32_e32 v10, 0xffff, v10
	;;#ASMSTART
	v_cvt_f32_f16 v85, v10;
	;;#ASMEND
	;;#ASMSTART
	v_cvt_f32_f16 v84, v11;
	;;#ASMEND
	;; [unrolled: 3-line block ×4, first 2 shown]
	v_or_b32_e32 v21, v56, v57
	v_fma_mixlo_f16 v24, v33, v56, 0 op_sel:[0,1,0] op_sel_hi:[0,1,0]
	v_pk_fma_f32 v[70:71], v[80:81], v[84:85], v[70:71]
	s_delay_alu instid0(VALU_DEP_3) | instskip(NEXT) | instid1(VALU_DEP_3)
	v_fma_mixlo_f16 v21, v33, v21, 0 op_sel_hi:[0,1,0]
	v_and_b32_e32 v24, 0xffff, v24
	s_delay_alu instid0(VALU_DEP_2)
	v_and_b32_e32 v21, 0xffff, v21
	;;#ASMSTART
	v_cvt_f32_f16 v29, v21;
	;;#ASMEND
	v_or_b32_e32 v21, v87, v73
	;;#ASMSTART
	v_cvt_f32_f16 v28, v24;
	;;#ASMEND
	v_fma_mixlo_f16 v24, v33, v87, 0 op_sel:[0,1,0] op_sel_hi:[0,1,0]
	;;#ASMSTART
	v_cvt_f32_f16 v55, v31;
	;;#ASMEND
	;;#ASMSTART
	v_cvt_f32_f16 v54, v30;
	;;#ASMEND
	v_fma_mixlo_f16 v21, v33, v21, 0 op_sel_hi:[0,1,0]
	v_pk_fma_f32 v[10:11], v[10:11], v[28:29], v[52:53]
	v_and_b32_e32 v24, 0xffff, v24
	s_delay_alu instid0(VALU_DEP_3)
	v_and_b32_e32 v21, 0xffff, v21
	;;#ASMSTART
	v_cvt_f32_f16 v65, v21;
	;;#ASMEND
	;;#ASMSTART
	v_cvt_f32_f16 v64, v24;
	;;#ASMEND
	ds_load_b128 v[66:69], v25 offset:48
	s_wait_dscnt 0x0
	v_and_b32_e32 v21, 0xffff, v66
	;;#ASMSTART
	v_cvt_f32_f16 v56, v21;
	;;#ASMEND
	v_or_b32_e32 v21, v119, v86
	v_lshrrev_b32_e32 v24, 16, v66
	;;#ASMSTART
	v_cvt_f32_f16 v57, v24;
	;;#ASMEND
	v_lshrrev_b32_e32 v0, 16, v67
	v_and_b32_e32 v1, 0xffff, v67
	v_fma_mixlo_f16 v21, v33, v21, 0 op_sel_hi:[0,1,0]
	v_fma_mixlo_f16 v24, v33, v119, 0 op_sel:[0,1,0] op_sel_hi:[0,1,0]
	v_lshrrev_b32_e32 v14, 16, v68
	v_and_b32_e32 v15, 0xffff, v68
	s_delay_alu instid0(VALU_DEP_4) | instskip(NEXT) | instid1(VALU_DEP_4)
	v_and_b32_e32 v21, 0xffff, v21
	v_and_b32_e32 v24, 0xffff, v24
	;;#ASMSTART
	v_cvt_f32_f16 v86, v21;
	;;#ASMEND
	;;#ASMSTART
	v_cvt_f32_f16 v87, v24;
	;;#ASMEND
	v_lshrrev_b32_e32 v21, 16, v69
	;;#ASMSTART
	v_cvt_f32_f16 v81, v1;
	;;#ASMEND
	;;#ASMSTART
	v_cvt_f32_f16 v80, v0;
	;;#ASMEND
	v_or_b32_e32 v0, v117, v72
	v_fma_mixlo_f16 v1, v33, v117, 0 op_sel:[0,1,0] op_sel_hi:[0,1,0]
	v_pk_fma_f32 v[86:87], v[56:57], v[86:87], v[26:27]
	v_and_b32_e32 v24, 0xffff, v69
	s_delay_alu instid0(VALU_DEP_4) | instskip(NEXT) | instid1(VALU_DEP_4)
	v_fma_mixlo_f16 v0, v33, v0, 0 op_sel_hi:[0,1,0]
	v_and_b32_e32 v1, 0xffff, v1
	s_delay_alu instid0(VALU_DEP_2)
	v_and_b32_e32 v0, 0xffff, v0
	;;#ASMSTART
	v_cvt_f32_f16 v85, v0;
	;;#ASMEND
	;;#ASMSTART
	v_cvt_f32_f16 v84, v1;
	;;#ASMEND
	;; [unrolled: 3-line block ×4, first 2 shown]
	scratch_load_b32 v1, off, s32 offset:232 th:TH_LOAD_LU ; 4-byte Folded Reload
	v_pk_fma_f32 v[70:71], v[80:81], v[84:85], v[70:71]
	s_wait_loadcnt 0x0
	v_or_b32_e32 v0, v1, v42
	v_fma_mixlo_f16 v1, v33, v1, 0 op_sel:[0,1,0] op_sel_hi:[0,1,0]
	s_delay_alu instid0(VALU_DEP_2) | instskip(NEXT) | instid1(VALU_DEP_2)
	v_fma_mixlo_f16 v0, v33, v0, 0 op_sel_hi:[0,1,0]
	v_and_b32_e32 v1, 0xffff, v1
	s_delay_alu instid0(VALU_DEP_2)
	v_and_b32_e32 v0, 0xffff, v0
	;;#ASMSTART
	v_cvt_f32_f16 v51, v0;
	;;#ASMEND
	;;#ASMSTART
	v_cvt_f32_f16 v50, v1;
	;;#ASMEND
	;; [unrolled: 3-line block ×4, first 2 shown]
	scratch_load_b32 v15, off, s32 offset:244 th:TH_LOAD_LU ; 4-byte Folded Reload
	v_pk_fma_f32 v[10:11], v[26:27], v[50:51], v[10:11]
	v_pk_fma_f32 v[50:51], v[54:55], v[64:65], v[2:3]
	s_wait_loadcnt 0x0
	v_or_b32_e32 v14, v15, v115
	v_fma_mixlo_f16 v15, v33, v15, 0 op_sel:[0,1,0] op_sel_hi:[0,1,0]
	s_delay_alu instid0(VALU_DEP_2) | instskip(NEXT) | instid1(VALU_DEP_2)
	v_fma_mixlo_f16 v14, v33, v14, 0 op_sel_hi:[0,1,0]
	v_and_b32_e32 v21, 0xffff, v15
	s_delay_alu instid0(VALU_DEP_2)
	v_and_b32_e32 v14, 0xffff, v14
	;;#ASMSTART
	v_cvt_f32_f16 v15, v14;
	;;#ASMEND
	;;#ASMSTART
	v_cvt_f32_f16 v14, v21;
	;;#ASMEND
	ds_load_b128 v[66:69], v25 offset:64
	v_pk_fma_f32 v[0:1], v[0:1], v[14:15], v[50:51]
	s_wait_dscnt 0x0
	v_and_b32_e32 v21, 0xffff, v66
	v_lshrrev_b32_e32 v24, 16, v66
	;;#ASMSTART
	v_cvt_f32_f16 v56, v21;
	;;#ASMEND
	;;#ASMSTART
	v_cvt_f32_f16 v57, v24;
	;;#ASMEND
	s_clause 0x1
	scratch_load_b32 v21, off, s32 offset:240 th:TH_LOAD_LU
	scratch_load_b32 v24, off, s32 offset:260 th:TH_LOAD_LU
	v_lshrrev_b32_e32 v4, 16, v67
	v_and_b32_e32 v5, 0xffff, v67
	v_lshrrev_b32_e32 v30, 16, v69
	v_and_b32_e32 v31, 0xffff, v69
	s_wait_loadcnt 0x0
	v_or_b32_e32 v21, v24, v21
	v_fma_mixlo_f16 v24, v33, v24, 0 op_sel:[0,1,0] op_sel_hi:[0,1,0]
	s_delay_alu instid0(VALU_DEP_2) | instskip(NEXT) | instid1(VALU_DEP_2)
	v_fma_mixlo_f16 v21, v33, v21, 0 op_sel_hi:[0,1,0]
	v_and_b32_e32 v24, 0xffff, v24
	s_delay_alu instid0(VALU_DEP_2)
	v_and_b32_e32 v21, 0xffff, v21
	;;#ASMSTART
	v_cvt_f32_f16 v72, v21;
	;;#ASMEND
	;;#ASMSTART
	v_cvt_f32_f16 v73, v24;
	;;#ASMEND
	;; [unrolled: 3-line block ×4, first 2 shown]
	s_clause 0x1
	scratch_load_b32 v4, off, s32 offset:252 th:TH_LOAD_LU
	scratch_load_b32 v5, off, s32 offset:268 th:TH_LOAD_LU
	v_lshrrev_b32_e32 v21, 16, v68
	v_and_b32_e32 v24, 0xffff, v68
	v_pk_fma_f32 v[86:87], v[56:57], v[72:73], v[86:87]
	s_wait_loadcnt 0x0
	v_or_b32_e32 v4, v5, v4
	v_fma_mixlo_f16 v5, v33, v5, 0 op_sel:[0,1,0] op_sel_hi:[0,1,0]
	s_delay_alu instid0(VALU_DEP_2) | instskip(NEXT) | instid1(VALU_DEP_2)
	v_fma_mixlo_f16 v4, v33, v4, 0 op_sel_hi:[0,1,0]
	v_and_b32_e32 v5, 0xffff, v5
	s_delay_alu instid0(VALU_DEP_2)
	v_and_b32_e32 v4, 0xffff, v4
	;;#ASMSTART
	v_cvt_f32_f16 v39, v4;
	;;#ASMEND
	;;#ASMSTART
	v_cvt_f32_f16 v38, v5;
	;;#ASMEND
	;; [unrolled: 3-line block ×4, first 2 shown]
	s_clause 0x1
	scratch_load_b32 v4, off, s32 offset:264 th:TH_LOAD_LU
	scratch_load_b32 v5, off, s32 offset:276 th:TH_LOAD_LU
	v_pk_fma_f32 v[38:39], v[28:29], v[38:39], v[70:71]
	s_wait_loadcnt 0x0
	v_or_b32_e32 v4, v5, v4
	v_fma_mixlo_f16 v5, v33, v5, 0 op_sel:[0,1,0] op_sel_hi:[0,1,0]
	s_delay_alu instid0(VALU_DEP_2) | instskip(NEXT) | instid1(VALU_DEP_2)
	v_fma_mixlo_f16 v4, v33, v4, 0 op_sel_hi:[0,1,0]
	v_and_b32_e32 v5, 0xffff, v5
	s_delay_alu instid0(VALU_DEP_2)
	v_and_b32_e32 v4, 0xffff, v4
	;;#ASMSTART
	v_cvt_f32_f16 v53, v4;
	;;#ASMEND
	;;#ASMSTART
	v_cvt_f32_f16 v52, v5;
	;;#ASMEND
	;; [unrolled: 3-line block ×4, first 2 shown]
	s_clause 0x1
	scratch_load_b32 v21, off, s32 offset:272 th:TH_LOAD_LU
	scratch_load_b32 v24, off, s32 offset:284 th:TH_LOAD_LU
	v_pk_fma_f32 v[10:11], v[48:49], v[52:53], v[10:11]
	s_wait_loadcnt 0x0
	v_or_b32_e32 v21, v24, v21
	v_fma_mixlo_f16 v24, v33, v24, 0 op_sel:[0,1,0] op_sel_hi:[0,1,0]
	s_delay_alu instid0(VALU_DEP_2) | instskip(NEXT) | instid1(VALU_DEP_2)
	v_fma_mixlo_f16 v21, v33, v21, 0 op_sel_hi:[0,1,0]
	v_and_b32_e32 v24, 0xffff, v24
	s_delay_alu instid0(VALU_DEP_2)
	v_and_b32_e32 v21, 0xffff, v21
	;;#ASMSTART
	v_cvt_f32_f16 v81, v21;
	;;#ASMEND
	;;#ASMSTART
	v_cvt_f32_f16 v80, v24;
	;;#ASMEND
	ds_load_b128 v[66:69], v25 offset:80
	v_pk_fma_f32 v[0:1], v[4:5], v[80:81], v[0:1]
	s_wait_dscnt 0x0
	v_and_b32_e32 v21, 0xffff, v66
	v_lshrrev_b32_e32 v24, 16, v66
	;;#ASMSTART
	v_cvt_f32_f16 v84, v21;
	;;#ASMEND
	;;#ASMSTART
	v_cvt_f32_f16 v85, v24;
	;;#ASMEND
	s_clause 0x1
	scratch_load_b32 v21, off, s32 offset:280 th:TH_LOAD_LU
	scratch_load_b32 v24, off, s32 offset:292 th:TH_LOAD_LU
	v_lshrrev_b32_e32 v2, 16, v67
	v_and_b32_e32 v3, 0xffff, v67
	v_lshrrev_b32_e32 v26, 16, v69
	v_and_b32_e32 v27, 0xffff, v69
	s_wait_loadcnt 0x0
	v_or_b32_e32 v21, v24, v21
	v_fma_mixlo_f16 v24, v33, v24, 0 op_sel:[0,1,0] op_sel_hi:[0,1,0]
	s_delay_alu instid0(VALU_DEP_2) | instskip(NEXT) | instid1(VALU_DEP_2)
	v_fma_mixlo_f16 v21, v33, v21, 0 op_sel_hi:[0,1,0]
	v_and_b32_e32 v24, 0xffff, v24
	s_delay_alu instid0(VALU_DEP_2)
	v_and_b32_e32 v21, 0xffff, v21
	;;#ASMSTART
	v_cvt_f32_f16 v56, v21;
	;;#ASMEND
	;;#ASMSTART
	v_cvt_f32_f16 v57, v24;
	;;#ASMEND
	;;#ASMSTART
	v_cvt_f32_f16 v55, v3;
	;;#ASMEND
	;;#ASMSTART
	v_cvt_f32_f16 v54, v2;
	;;#ASMEND
	s_clause 0x1
	scratch_load_b32 v2, off, s32 offset:288 th:TH_LOAD_LU
	scratch_load_b32 v3, off, s32 offset:300 th:TH_LOAD_LU
	v_lshrrev_b32_e32 v21, 16, v68
	v_and_b32_e32 v24, 0xffff, v68
	v_pk_fma_f32 v[84:85], v[84:85], v[56:57], v[86:87]
	s_wait_loadcnt 0x0
	v_or_b32_e32 v2, v3, v2
	v_fma_mixlo_f16 v3, v33, v3, 0 op_sel:[0,1,0] op_sel_hi:[0,1,0]
	s_delay_alu instid0(VALU_DEP_2) | instskip(NEXT) | instid1(VALU_DEP_2)
	v_fma_mixlo_f16 v2, v33, v2, 0 op_sel_hi:[0,1,0]
	v_and_b32_e32 v3, 0xffff, v3
	s_delay_alu instid0(VALU_DEP_2)
	v_and_b32_e32 v2, 0xffff, v2
	;;#ASMSTART
	v_cvt_f32_f16 v65, v2;
	;;#ASMEND
	;;#ASMSTART
	v_cvt_f32_f16 v64, v3;
	;;#ASMEND
	;; [unrolled: 3-line block ×4, first 2 shown]
	s_clause 0x1
	scratch_load_b32 v2, off, s32 offset:296 th:TH_LOAD_LU
	scratch_load_b32 v3, off, s32 offset:308 th:TH_LOAD_LU
	v_pk_fma_f32 v[38:39], v[54:55], v[64:65], v[38:39]
	s_wait_loadcnt 0x0
	v_or_b32_e32 v2, v3, v2
	v_fma_mixlo_f16 v3, v33, v3, 0 op_sel:[0,1,0] op_sel_hi:[0,1,0]
	s_delay_alu instid0(VALU_DEP_2) | instskip(NEXT) | instid1(VALU_DEP_2)
	v_fma_mixlo_f16 v2, v33, v2, 0 op_sel_hi:[0,1,0]
	v_and_b32_e32 v3, 0xffff, v3
	s_delay_alu instid0(VALU_DEP_2)
	v_and_b32_e32 v2, 0xffff, v2
	;;#ASMSTART
	v_cvt_f32_f16 v69, v2;
	;;#ASMEND
	;;#ASMSTART
	v_cvt_f32_f16 v68, v3;
	;;#ASMEND
	;; [unrolled: 3-line block ×4, first 2 shown]
	s_clause 0x1
	scratch_load_b32 v21, off, s32 offset:304 th:TH_LOAD_LU
	scratch_load_b32 v24, off, s32 offset:316 th:TH_LOAD_LU
	v_pk_fma_f32 v[10:11], v[66:67], v[68:69], v[10:11]
	s_wait_loadcnt 0x0
	v_or_b32_e32 v21, v24, v21
	v_fma_mixlo_f16 v24, v33, v24, 0 op_sel:[0,1,0] op_sel_hi:[0,1,0]
	s_delay_alu instid0(VALU_DEP_2) | instskip(NEXT) | instid1(VALU_DEP_2)
	v_fma_mixlo_f16 v21, v33, v21, 0 op_sel_hi:[0,1,0]
	v_and_b32_e32 v24, 0xffff, v24
	s_delay_alu instid0(VALU_DEP_2)
	v_and_b32_e32 v21, 0xffff, v21
	;;#ASMSTART
	v_cvt_f32_f16 v71, v21;
	;;#ASMEND
	;;#ASMSTART
	v_cvt_f32_f16 v70, v24;
	;;#ASMEND
	ds_load_b128 v[26:29], v25 offset:96
	v_pk_fma_f32 v[0:1], v[2:3], v[70:71], v[0:1]
	s_wait_dscnt 0x0
	v_and_b32_e32 v21, 0xffff, v26
	v_lshrrev_b32_e32 v24, 16, v26
	;;#ASMSTART
	v_cvt_f32_f16 v86, v21;
	;;#ASMEND
	;;#ASMSTART
	v_cvt_f32_f16 v87, v24;
	;;#ASMEND
	s_clause 0x1
	scratch_load_b32 v21, off, s32 offset:312 th:TH_LOAD_LU
	scratch_load_b32 v24, off, s32 offset:324 th:TH_LOAD_LU
	v_lshrrev_b32_e32 v14, 16, v27
	v_and_b32_e32 v15, 0xffff, v27
	v_lshrrev_b32_e32 v26, 16, v28
	v_and_b32_e32 v27, 0xffff, v28
	;; [unrolled: 2-line block ×3, first 2 shown]
	s_wait_loadcnt 0x0
	v_or_b32_e32 v21, v24, v21
	v_fma_mixlo_f16 v24, v33, v24, 0 op_sel:[0,1,0] op_sel_hi:[0,1,0]
	s_delay_alu instid0(VALU_DEP_2) | instskip(NEXT) | instid1(VALU_DEP_2)
	v_fma_mixlo_f16 v21, v33, v21, 0 op_sel_hi:[0,1,0]
	v_and_b32_e32 v24, 0xffff, v24
	s_delay_alu instid0(VALU_DEP_2)
	v_and_b32_e32 v21, 0xffff, v21
	;;#ASMSTART
	v_cvt_f32_f16 v56, v21;
	;;#ASMEND
	;;#ASMSTART
	v_cvt_f32_f16 v57, v24;
	;;#ASMEND
	;;#ASMSTART
	v_cvt_f32_f16 v15, v15;
	;;#ASMEND
	;;#ASMSTART
	v_cvt_f32_f16 v14, v14;
	;;#ASMEND
	s_clause 0x1
	scratch_load_b32 v21, off, s32 offset:320 th:TH_LOAD_LU
	scratch_load_b32 v24, off, s32 offset:332 th:TH_LOAD_LU
	v_pk_fma_f32 v[84:85], v[86:87], v[56:57], v[84:85]
	s_wait_loadcnt 0x0
	v_or_b32_e32 v21, v24, v21
	v_fma_mixlo_f16 v24, v33, v24, 0 op_sel:[0,1,0] op_sel_hi:[0,1,0]
	s_delay_alu instid0(VALU_DEP_2) | instskip(NEXT) | instid1(VALU_DEP_2)
	v_fma_mixlo_f16 v21, v33, v21, 0 op_sel_hi:[0,1,0]
	v_and_b32_e32 v24, 0xffff, v24
	s_delay_alu instid0(VALU_DEP_2)
	v_and_b32_e32 v21, 0xffff, v21
	;;#ASMSTART
	v_cvt_f32_f16 v49, v21;
	;;#ASMEND
	;;#ASMSTART
	v_cvt_f32_f16 v48, v24;
	;;#ASMEND
	;;#ASMSTART
	v_cvt_f32_f16 v51, v27;
	;;#ASMEND
	;;#ASMSTART
	v_cvt_f32_f16 v50, v26;
	;;#ASMEND
	s_clause 0x1
	scratch_load_b32 v21, off, s32 offset:328 th:TH_LOAD_LU
	scratch_load_b32 v24, off, s32 offset:340 th:TH_LOAD_LU
	v_pk_fma_f32 v[14:15], v[14:15], v[48:49], v[38:39]
	s_wait_loadcnt 0x0
	v_or_b32_e32 v21, v24, v21
	v_fma_mixlo_f16 v24, v33, v24, 0 op_sel:[0,1,0] op_sel_hi:[0,1,0]
	s_delay_alu instid0(VALU_DEP_2) | instskip(NEXT) | instid1(VALU_DEP_2)
	v_fma_mixlo_f16 v21, v33, v21, 0 op_sel_hi:[0,1,0]
	v_and_b32_e32 v24, 0xffff, v24
	s_delay_alu instid0(VALU_DEP_2)
	v_and_b32_e32 v21, 0xffff, v21
	;;#ASMSTART
	v_cvt_f32_f16 v55, v21;
	;;#ASMEND
	;;#ASMSTART
	v_cvt_f32_f16 v54, v24;
	;;#ASMEND
	;;#ASMSTART
	v_cvt_f32_f16 v65, v29;
	;;#ASMEND
	;;#ASMSTART
	v_cvt_f32_f16 v64, v28;
	;;#ASMEND
	s_clause 0x1
	scratch_load_b32 v21, off, s32 offset:336 th:TH_LOAD_LU
	scratch_load_b32 v24, off, s32 offset:348 th:TH_LOAD_LU
	v_pk_fma_f32 v[10:11], v[50:51], v[54:55], v[10:11]
	s_wait_loadcnt 0x0
	v_or_b32_e32 v21, v24, v21
	v_fma_mixlo_f16 v24, v33, v24, 0 op_sel:[0,1,0] op_sel_hi:[0,1,0]
	s_delay_alu instid0(VALU_DEP_2) | instskip(NEXT) | instid1(VALU_DEP_2)
	v_fma_mixlo_f16 v21, v33, v21, 0 op_sel_hi:[0,1,0]
	v_and_b32_e32 v24, 0xffff, v24
	s_delay_alu instid0(VALU_DEP_2)
	v_and_b32_e32 v21, 0xffff, v21
	;;#ASMSTART
	v_cvt_f32_f16 v87, v21;
	;;#ASMEND
	;;#ASMSTART
	v_cvt_f32_f16 v86, v24;
	;;#ASMEND
	ds_load_b128 v[26:29], v25 offset:112
	v_pk_fma_f32 v[0:1], v[64:65], v[86:87], v[0:1]
	s_wait_dscnt 0x0
	v_and_b32_e32 v21, 0xffff, v26
	v_lshrrev_b32_e32 v24, 16, v26
	;;#ASMSTART
	v_cvt_f32_f16 v52, v21;
	;;#ASMEND
	;;#ASMSTART
	v_cvt_f32_f16 v53, v24;
	;;#ASMEND
	s_clause 0x1
	scratch_load_b32 v21, off, s32 offset:344 th:TH_LOAD_LU
	scratch_load_b32 v24, off, s32 offset:356 th:TH_LOAD_LU
	v_lshrrev_b32_e32 v4, 16, v27
	v_and_b32_e32 v5, 0xffff, v27
	v_lshrrev_b32_e32 v26, 16, v28
	v_and_b32_e32 v27, 0xffff, v28
	;; [unrolled: 2-line block ×3, first 2 shown]
	s_wait_loadcnt 0x0
	v_or_b32_e32 v21, v24, v21
	v_fma_mixlo_f16 v24, v33, v24, 0 op_sel:[0,1,0] op_sel_hi:[0,1,0]
	s_delay_alu instid0(VALU_DEP_2) | instskip(NEXT) | instid1(VALU_DEP_2)
	v_fma_mixlo_f16 v21, v33, v21, 0 op_sel_hi:[0,1,0]
	v_and_b32_e32 v24, 0xffff, v24
	s_delay_alu instid0(VALU_DEP_2)
	v_and_b32_e32 v21, 0xffff, v21
	;;#ASMSTART
	v_cvt_f32_f16 v56, v21;
	;;#ASMEND
	;;#ASMSTART
	v_cvt_f32_f16 v57, v24;
	;;#ASMEND
	;; [unrolled: 3-line block ×4, first 2 shown]
	s_clause 0x1
	scratch_load_b32 v21, off, s32 offset:352 th:TH_LOAD_LU
	scratch_load_b32 v24, off, s32 offset:364 th:TH_LOAD_LU
	v_pk_fma_f32 v[52:53], v[52:53], v[56:57], v[84:85]
	s_wait_loadcnt 0x0
	v_or_b32_e32 v21, v24, v21
	v_fma_mixlo_f16 v24, v33, v24, 0 op_sel:[0,1,0] op_sel_hi:[0,1,0]
	s_delay_alu instid0(VALU_DEP_2) | instskip(NEXT) | instid1(VALU_DEP_2)
	v_fma_mixlo_f16 v21, v33, v21, 0 op_sel_hi:[0,1,0]
	v_and_b32_e32 v24, 0xffff, v24
	s_delay_alu instid0(VALU_DEP_2)
	v_and_b32_e32 v21, 0xffff, v21
	;;#ASMSTART
	v_cvt_f32_f16 v39, v21;
	;;#ASMEND
	;;#ASMSTART
	v_cvt_f32_f16 v38, v24;
	;;#ASMEND
	;;#ASMSTART
	v_cvt_f32_f16 v49, v27;
	;;#ASMEND
	;;#ASMSTART
	v_cvt_f32_f16 v48, v26;
	;;#ASMEND
	s_clause 0x1
	scratch_load_b32 v21, off, s32 offset:360 th:TH_LOAD_LU
	scratch_load_b32 v24, off, s32 offset:372 th:TH_LOAD_LU
	v_pk_fma_f32 v[4:5], v[4:5], v[38:39], v[14:15]
	s_wait_loadcnt 0x0
	v_or_b32_e32 v21, v24, v21
	v_fma_mixlo_f16 v24, v33, v24, 0 op_sel:[0,1,0] op_sel_hi:[0,1,0]
	s_delay_alu instid0(VALU_DEP_2) | instskip(NEXT) | instid1(VALU_DEP_2)
	v_fma_mixlo_f16 v21, v33, v21, 0 op_sel_hi:[0,1,0]
	v_and_b32_e32 v24, 0xffff, v24
	s_delay_alu instid0(VALU_DEP_2)
	v_and_b32_e32 v21, 0xffff, v21
	;;#ASMSTART
	v_cvt_f32_f16 v67, v21;
	;;#ASMEND
	;;#ASMSTART
	v_cvt_f32_f16 v66, v24;
	;;#ASMEND
	;; [unrolled: 3-line block ×4, first 2 shown]
	s_clause 0x1
	scratch_load_b32 v21, off, s32 offset:368 th:TH_LOAD_LU
	scratch_load_b32 v24, off, s32 offset:380 th:TH_LOAD_LU
	s_wait_loadcnt 0x0
	v_or_b32_e32 v21, v24, v21
	v_fma_mixlo_f16 v24, v33, v24, 0 op_sel:[0,1,0] op_sel_hi:[0,1,0]
	s_delay_alu instid0(VALU_DEP_2) | instskip(NEXT) | instid1(VALU_DEP_2)
	v_fma_mixlo_f16 v21, v33, v21, 0 op_sel_hi:[0,1,0]
	v_and_b32_e32 v24, 0xffff, v24
	s_delay_alu instid0(VALU_DEP_2)
	v_and_b32_e32 v21, 0xffff, v21
	;;#ASMSTART
	v_cvt_f32_f16 v81, v21;
	;;#ASMEND
	;;#ASMSTART
	v_cvt_f32_f16 v80, v24;
	;;#ASMEND
	ds_load_b128 v[26:29], v25 offset:128
	v_pk_fma_f32 v[0:1], v[68:69], v[80:81], v[0:1]
	s_wait_dscnt 0x0
	v_and_b32_e32 v21, 0xffff, v26
	v_lshrrev_b32_e32 v24, 16, v26
	;;#ASMSTART
	v_cvt_f32_f16 v84, v21;
	;;#ASMEND
	;;#ASMSTART
	v_cvt_f32_f16 v85, v24;
	;;#ASMEND
	s_clause 0x1
	scratch_load_b32 v21, off, s32 offset:376 th:TH_LOAD_LU
	scratch_load_b32 v24, off, s32 offset:388 th:TH_LOAD_LU
	v_and_b32_e32 v2, 0xffff, v27
	s_wait_loadcnt 0x0
	v_dual_lshrrev_b32 v14, 16, v27 :: v_dual_bitop2_b32 v21, v24, v21 bitop3:0x54
	v_fma_mixlo_f16 v24, v33, v24, 0 op_sel:[0,1,0] op_sel_hi:[0,1,0]
	s_delay_alu instid0(VALU_DEP_2) | instskip(NEXT) | instid1(VALU_DEP_2)
	v_fma_mixlo_f16 v21, v33, v21, 0 op_sel_hi:[0,1,0]
	v_and_b32_e32 v24, 0xffff, v24
	s_delay_alu instid0(VALU_DEP_2)
	v_and_b32_e32 v21, 0xffff, v21
	;;#ASMSTART
	v_cvt_f32_f16 v56, v21;
	;;#ASMEND
	;;#ASMSTART
	v_cvt_f32_f16 v57, v24;
	;;#ASMEND
	;; [unrolled: 3-line block ×4, first 2 shown]
	s_clause 0x1
	scratch_load_b32 v14, off, s32 offset:384 th:TH_LOAD_LU
	scratch_load_b32 v15, off, s32 offset:400 th:TH_LOAD_LU
	v_pk_fma_f32 v[52:53], v[84:85], v[56:57], v[52:53]
	s_wait_loadcnt 0x0
	v_or_b32_e32 v14, v15, v14
	v_fma_mixlo_f16 v15, v33, v15, 0 op_sel:[0,1,0] op_sel_hi:[0,1,0]
	s_delay_alu instid0(VALU_DEP_2) | instskip(NEXT) | instid1(VALU_DEP_2)
	v_fma_mixlo_f16 v14, v33, v14, 0 op_sel_hi:[0,1,0]
	v_and_b32_e32 v21, 0xffff, v15
	s_delay_alu instid0(VALU_DEP_2) | instskip(SKIP_2) | instid1(VALU_DEP_1)
	v_and_b32_e32 v14, 0xffff, v14
	;;#ASMSTART
	v_cvt_f32_f16 v15, v14;
	;;#ASMEND
	;;#ASMSTART
	v_cvt_f32_f16 v14, v21;
	;;#ASMEND
	v_pk_fma_f32 v[50:51], v[2:3], v[14:15], v[4:5]
	v_pk_fma_f32 v[2:3], v[48:49], v[66:67], v[10:11]
	v_and_b32_e32 v4, 0xffff, v28
	v_lshrrev_b32_e32 v10, 16, v28
	;;#ASMSTART
	v_cvt_f32_f16 v5, v4;
	;;#ASMEND
	;;#ASMSTART
	v_cvt_f32_f16 v4, v10;
	;;#ASMEND
	s_clause 0x1
	scratch_load_b32 v10, off, s32 offset:396 th:TH_LOAD_LU
	scratch_load_b32 v11, off, s32 offset:416 th:TH_LOAD_LU
	s_wait_loadcnt 0x0
	v_or_b32_e32 v10, v11, v10
	v_fma_mixlo_f16 v11, v33, v11, 0 op_sel:[0,1,0] op_sel_hi:[0,1,0]
	s_delay_alu instid0(VALU_DEP_2) | instskip(NEXT) | instid1(VALU_DEP_2)
	v_fma_mixlo_f16 v10, v33, v10, 0 op_sel_hi:[0,1,0]
	v_and_b32_e32 v14, 0xffff, v11
	s_delay_alu instid0(VALU_DEP_2) | instskip(SKIP_2) | instid1(VALU_DEP_1)
	v_and_b32_e32 v10, 0xffff, v10
	;;#ASMSTART
	v_cvt_f32_f16 v11, v10;
	;;#ASMEND
	;;#ASMSTART
	v_cvt_f32_f16 v10, v14;
	;;#ASMEND
	v_pk_fma_f32 v[48:49], v[4:5], v[10:11], v[2:3]
	v_and_b32_e32 v2, 0xffff, v29
	v_lshrrev_b32_e32 v4, 16, v29
	;;#ASMSTART
	v_cvt_f32_f16 v3, v2;
	;;#ASMEND
	;;#ASMSTART
	v_cvt_f32_f16 v2, v4;
	;;#ASMEND
	s_clause 0x1
	scratch_load_b32 v4, off, s32 offset:412 th:TH_LOAD_LU
	scratch_load_b32 v5, off, s32 offset:432 th:TH_LOAD_LU
	s_wait_loadcnt 0x0
	v_or_b32_e32 v4, v5, v4
	v_fma_mixlo_f16 v5, v33, v5, 0 op_sel:[0,1,0] op_sel_hi:[0,1,0]
	s_delay_alu instid0(VALU_DEP_2) | instskip(NEXT) | instid1(VALU_DEP_2)
	v_fma_mixlo_f16 v4, v33, v4, 0 op_sel_hi:[0,1,0]
	v_and_b32_e32 v10, 0xffff, v5
	s_delay_alu instid0(VALU_DEP_2) | instskip(SKIP_2) | instid1(VALU_DEP_1)
	v_and_b32_e32 v4, 0xffff, v4
	;;#ASMSTART
	v_cvt_f32_f16 v5, v4;
	;;#ASMEND
	;;#ASMSTART
	v_cvt_f32_f16 v4, v10;
	;;#ASMEND
	v_pk_fma_f32 v[38:39], v[2:3], v[4:5], v[0:1]
	ds_load_b128 v[2:5], v25 offset:144
	s_wait_dscnt 0x0
	v_and_b32_e32 v0, 0xffff, v2
	v_lshrrev_b32_e32 v1, 16, v2
	;;#ASMSTART
	v_cvt_f32_f16 v54, v0;
	;;#ASMEND
	;;#ASMSTART
	v_cvt_f32_f16 v55, v1;
	;;#ASMEND
	s_clause 0x1
	scratch_load_b32 v0, off, s32 offset:428 th:TH_LOAD_LU
	scratch_load_b32 v1, off, s32 offset:448 th:TH_LOAD_LU
	v_lshrrev_b32_e32 v2, 16, v3
	v_and_b32_e32 v3, 0xffff, v3
	v_lshrrev_b32_e32 v24, 16, v5
	v_and_b32_e32 v5, 0xffff, v5
	s_wait_loadcnt 0x0
	v_or_b32_e32 v0, v1, v0
	v_fma_mixlo_f16 v1, v33, v1, 0 op_sel:[0,1,0] op_sel_hi:[0,1,0]
	s_delay_alu instid0(VALU_DEP_2) | instskip(NEXT) | instid1(VALU_DEP_2)
	v_fma_mixlo_f16 v0, v33, v0, 0 op_sel_hi:[0,1,0]
	v_and_b32_e32 v1, 0xffff, v1
	s_delay_alu instid0(VALU_DEP_2)
	v_and_b32_e32 v0, 0xffff, v0
	;;#ASMSTART
	v_cvt_f32_f16 v64, v0;
	;;#ASMEND
	;;#ASMSTART
	v_cvt_f32_f16 v65, v1;
	;;#ASMEND
	;; [unrolled: 3-line block ×4, first 2 shown]
	s_clause 0x1
	scratch_load_b32 v2, off, s32 offset:392 th:TH_LOAD_LU
	scratch_load_b32 v3, off, s32 offset:408 th:TH_LOAD_LU
	v_lshrrev_b32_e32 v21, 16, v4
	v_pk_fma_f32 v[0:1], v[54:55], v[64:65], v[52:53]
	v_and_b32_e32 v4, 0xffff, v4
	s_wait_loadcnt 0x0
	v_or_b32_e32 v2, v3, v2
	v_fma_mixlo_f16 v3, v33, v3, 0 op_sel:[0,1,0] op_sel_hi:[0,1,0]
	s_delay_alu instid0(VALU_DEP_2) | instskip(NEXT) | instid1(VALU_DEP_2)
	v_fma_mixlo_f16 v2, v33, v2, 0 op_sel_hi:[0,1,0]
	v_and_b32_e32 v3, 0xffff, v3
	s_delay_alu instid0(VALU_DEP_2)
	v_and_b32_e32 v2, 0xffff, v2
	;;#ASMSTART
	v_cvt_f32_f16 v15, v2;
	;;#ASMEND
	;;#ASMSTART
	v_cvt_f32_f16 v14, v3;
	;;#ASMEND
	;; [unrolled: 3-line block ×4, first 2 shown]
	s_clause 0x1
	scratch_load_b32 v2, off, s32 offset:404 th:TH_LOAD_LU
	scratch_load_b32 v3, off, s32 offset:424 th:TH_LOAD_LU
	v_pk_fma_f32 v[14:15], v[10:11], v[14:15], v[50:51]
	s_wait_loadcnt 0x0
	v_or_b32_e32 v2, v3, v2
	v_fma_mixlo_f16 v3, v33, v3, 0 op_sel:[0,1,0] op_sel_hi:[0,1,0]
	s_delay_alu instid0(VALU_DEP_2) | instskip(NEXT) | instid1(VALU_DEP_2)
	v_fma_mixlo_f16 v2, v33, v2, 0 op_sel_hi:[0,1,0]
	v_and_b32_e32 v3, 0xffff, v3
	s_delay_alu instid0(VALU_DEP_2)
	v_and_b32_e32 v2, 0xffff, v2
	;;#ASMSTART
	v_cvt_f32_f16 v65, v2;
	;;#ASMEND
	;;#ASMSTART
	v_cvt_f32_f16 v64, v3;
	;;#ASMEND
	;; [unrolled: 3-line block ×4, first 2 shown]
	s_clause 0x1
	scratch_load_b32 v4, off, s32 offset:420 th:TH_LOAD_LU
	scratch_load_b32 v5, off, s32 offset:440 th:TH_LOAD_LU
	v_pk_fma_f32 v[54:55], v[54:55], v[64:65], v[48:49]
	s_wait_loadcnt 0x0
	v_or_b32_e32 v4, v5, v4
	v_fma_mixlo_f16 v5, v33, v5, 0 op_sel:[0,1,0] op_sel_hi:[0,1,0]
	s_delay_alu instid0(VALU_DEP_2) | instskip(NEXT) | instid1(VALU_DEP_2)
	v_fma_mixlo_f16 v4, v33, v4, 0 op_sel_hi:[0,1,0]
	v_and_b32_e32 v21, 0xffff, v5
	s_delay_alu instid0(VALU_DEP_2)
	v_and_b32_e32 v4, 0xffff, v4
	;;#ASMSTART
	v_cvt_f32_f16 v5, v4;
	;;#ASMEND
	;;#ASMSTART
	v_cvt_f32_f16 v4, v21;
	;;#ASMEND
	ds_load_b128 v[26:29], v25 offset:160
	v_pk_fma_f32 v[4:5], v[2:3], v[4:5], v[38:39]
	s_wait_dscnt 0x0
	v_and_b32_e32 v21, 0xffff, v26
	v_lshrrev_b32_e32 v24, 16, v26
	;;#ASMSTART
	v_cvt_f32_f16 v52, v21;
	;;#ASMEND
	;;#ASMSTART
	v_cvt_f32_f16 v53, v24;
	;;#ASMEND
	s_clause 0x1
	scratch_load_b32 v21, off, s32 offset:436 th:TH_LOAD_LU
	scratch_load_b32 v24, off, s32 offset:452 th:TH_LOAD_LU
	v_lshrrev_b32_e32 v10, 16, v27
	v_and_b32_e32 v11, 0xffff, v27
	v_lshrrev_b32_e32 v30, 16, v29
	v_and_b32_e32 v31, 0xffff, v29
	s_wait_loadcnt 0x0
	v_or_b32_e32 v21, v24, v21
	v_fma_mixlo_f16 v24, v33, v24, 0 op_sel:[0,1,0] op_sel_hi:[0,1,0]
	s_delay_alu instid0(VALU_DEP_2) | instskip(NEXT) | instid1(VALU_DEP_2)
	v_fma_mixlo_f16 v21, v33, v21, 0 op_sel_hi:[0,1,0]
	v_and_b32_e32 v24, 0xffff, v24
	s_delay_alu instid0(VALU_DEP_2)
	v_and_b32_e32 v21, 0xffff, v21
	;;#ASMSTART
	v_cvt_f32_f16 v66, v21;
	;;#ASMEND
	;;#ASMSTART
	v_cvt_f32_f16 v67, v24;
	;;#ASMEND
	;; [unrolled: 3-line block ×4, first 2 shown]
	s_clause 0x1
	scratch_load_b32 v10, off, s32 offset:444 th:TH_LOAD_LU
	scratch_load_b32 v11, off, s32 offset:460 th:TH_LOAD_LU
	v_lshrrev_b32_e32 v21, 16, v28
	v_and_b32_e32 v24, 0xffff, v28
	v_pk_fma_f32 v[0:1], v[52:53], v[66:67], v[0:1]
	s_wait_loadcnt 0x0
	v_or_b32_e32 v10, v11, v10
	v_fma_mixlo_f16 v11, v33, v11, 0 op_sel:[0,1,0] op_sel_hi:[0,1,0]
	s_delay_alu instid0(VALU_DEP_2) | instskip(NEXT) | instid1(VALU_DEP_2)
	v_fma_mixlo_f16 v10, v33, v10, 0 op_sel_hi:[0,1,0]
	v_and_b32_e32 v11, 0xffff, v11
	s_delay_alu instid0(VALU_DEP_2)
	v_and_b32_e32 v10, 0xffff, v10
	;;#ASMSTART
	v_cvt_f32_f16 v71, v10;
	;;#ASMEND
	;;#ASMSTART
	v_cvt_f32_f16 v70, v11;
	;;#ASMEND
	;; [unrolled: 3-line block ×4, first 2 shown]
	s_clause 0x1
	scratch_load_b32 v21, off, s32 offset:456 th:TH_LOAD_LU
	scratch_load_b32 v24, off, s32 offset:468 th:TH_LOAD_LU
	v_pk_fma_f32 v[70:71], v[26:27], v[70:71], v[14:15]
	s_wait_loadcnt 0x0
	v_or_b32_e32 v21, v24, v21
	v_fma_mixlo_f16 v24, v33, v24, 0 op_sel:[0,1,0] op_sel_hi:[0,1,0]
	s_delay_alu instid0(VALU_DEP_2) | instskip(NEXT) | instid1(VALU_DEP_2)
	v_fma_mixlo_f16 v21, v33, v21, 0 op_sel_hi:[0,1,0]
	v_and_b32_e32 v24, 0xffff, v24
	s_delay_alu instid0(VALU_DEP_2)
	v_and_b32_e32 v21, 0xffff, v21
	;;#ASMSTART
	v_cvt_f32_f16 v29, v21;
	;;#ASMEND
	;;#ASMSTART
	v_cvt_f32_f16 v28, v24;
	;;#ASMEND
	;; [unrolled: 3-line block ×4, first 2 shown]
	s_clause 0x1
	scratch_load_b32 v21, off, s32 offset:464 th:TH_LOAD_LU
	scratch_load_b32 v24, off, s32 offset:476 th:TH_LOAD_LU
	v_pk_fma_f32 v[10:11], v[10:11], v[28:29], v[54:55]
	s_wait_loadcnt 0x0
	v_or_b32_e32 v21, v24, v21
	v_fma_mixlo_f16 v24, v33, v24, 0 op_sel:[0,1,0] op_sel_hi:[0,1,0]
	s_delay_alu instid0(VALU_DEP_2) | instskip(NEXT) | instid1(VALU_DEP_2)
	v_fma_mixlo_f16 v21, v33, v21, 0 op_sel_hi:[0,1,0]
	v_and_b32_e32 v24, 0xffff, v24
	s_delay_alu instid0(VALU_DEP_2)
	v_and_b32_e32 v21, 0xffff, v21
	;;#ASMSTART
	v_cvt_f32_f16 v53, v21;
	;;#ASMEND
	;;#ASMSTART
	v_cvt_f32_f16 v52, v24;
	;;#ASMEND
	ds_load_b128 v[66:69], v25 offset:176
	v_pk_fma_f32 v[4:5], v[50:51], v[52:53], v[4:5]
	s_wait_dscnt 0x0
	v_and_b32_e32 v21, 0xffff, v66
	v_lshrrev_b32_e32 v24, 16, v66
	;;#ASMSTART
	v_cvt_f32_f16 v80, v21;
	;;#ASMEND
	;;#ASMSTART
	v_cvt_f32_f16 v81, v24;
	;;#ASMEND
	s_clause 0x1
	scratch_load_b32 v21, off, s32 offset:472 th:TH_LOAD_LU
	scratch_load_b32 v24, off, s32 offset:484 th:TH_LOAD_LU
	v_lshrrev_b32_e32 v14, 16, v68
	v_and_b32_e32 v15, 0xffff, v68
	s_wait_loadcnt 0x0
	v_or_b32_e32 v21, v24, v21
	v_fma_mixlo_f16 v24, v33, v24, 0 op_sel:[0,1,0] op_sel_hi:[0,1,0]
	s_delay_alu instid0(VALU_DEP_2) | instskip(NEXT) | instid1(VALU_DEP_2)
	v_fma_mixlo_f16 v21, v33, v21, 0 op_sel_hi:[0,1,0]
	v_and_b32_e32 v24, 0xffff, v24
	s_delay_alu instid0(VALU_DEP_2)
	v_and_b32_e32 v21, 0xffff, v21
	;;#ASMSTART
	v_cvt_f32_f16 v84, v21;
	;;#ASMEND
	;;#ASMSTART
	v_cvt_f32_f16 v85, v24;
	;;#ASMEND
	v_pk_fma_f32 v[80:81], v[80:81], v[84:85], v[0:1]
	v_lshrrev_b32_e32 v0, 16, v67
	v_and_b32_e32 v1, 0xffff, v67
	v_lshrrev_b32_e32 v21, 16, v69
	v_and_b32_e32 v24, 0xffff, v69
	;;#ASMSTART
	v_cvt_f32_f16 v69, v1;
	;;#ASMEND
	;;#ASMSTART
	v_cvt_f32_f16 v68, v0;
	;;#ASMEND
	s_clause 0x1
	scratch_load_b32 v0, off, s32 offset:480 th:TH_LOAD_LU
	scratch_load_b32 v1, off, s32 offset:492 th:TH_LOAD_LU
	s_wait_loadcnt 0x0
	v_or_b32_e32 v0, v1, v0
	v_fma_mixlo_f16 v1, v33, v1, 0 op_sel:[0,1,0] op_sel_hi:[0,1,0]
	s_delay_alu instid0(VALU_DEP_2) | instskip(NEXT) | instid1(VALU_DEP_2)
	v_fma_mixlo_f16 v0, v33, v0, 0 op_sel_hi:[0,1,0]
	v_and_b32_e32 v1, 0xffff, v1
	s_delay_alu instid0(VALU_DEP_2)
	v_and_b32_e32 v0, 0xffff, v0
	;;#ASMSTART
	v_cvt_f32_f16 v85, v0;
	;;#ASMEND
	;;#ASMSTART
	v_cvt_f32_f16 v84, v1;
	;;#ASMEND
	;;#ASMSTART
	v_cvt_f32_f16 v27, v15;
	;;#ASMEND
	;;#ASMSTART
	v_cvt_f32_f16 v26, v14;
	;;#ASMEND
	s_clause 0x1
	scratch_load_b32 v0, off, s32 offset:488 th:TH_LOAD_LU
	scratch_load_b32 v1, off, s32 offset:500 th:TH_LOAD_LU
	v_pk_fma_f32 v[68:69], v[68:69], v[84:85], v[70:71]
	s_wait_loadcnt 0x0
	v_or_b32_e32 v0, v1, v0
	v_fma_mixlo_f16 v1, v33, v1, 0 op_sel:[0,1,0] op_sel_hi:[0,1,0]
	s_delay_alu instid0(VALU_DEP_2) | instskip(NEXT) | instid1(VALU_DEP_2)
	v_fma_mixlo_f16 v0, v33, v0, 0 op_sel_hi:[0,1,0]
	v_and_b32_e32 v1, 0xffff, v1
	s_delay_alu instid0(VALU_DEP_2)
	v_and_b32_e32 v0, 0xffff, v0
	;;#ASMSTART
	v_cvt_f32_f16 v49, v0;
	;;#ASMEND
	;;#ASMSTART
	v_cvt_f32_f16 v48, v1;
	;;#ASMEND
	;; [unrolled: 3-line block ×4, first 2 shown]
	s_clause 0x1
	scratch_load_b32 v0, off, s32 offset:496 th:TH_LOAD_LU
	scratch_load_b32 v1, off, s32 offset:508 th:TH_LOAD_LU
	v_pk_fma_f32 v[48:49], v[26:27], v[48:49], v[10:11]
	s_wait_loadcnt 0x0
	v_or_b32_e32 v0, v1, v0
	v_fma_mixlo_f16 v1, v33, v1, 0 op_sel:[0,1,0] op_sel_hi:[0,1,0]
	s_delay_alu instid0(VALU_DEP_2) | instskip(NEXT) | instid1(VALU_DEP_2)
	v_fma_mixlo_f16 v0, v33, v0, 0 op_sel_hi:[0,1,0]
	v_and_b32_e32 v21, 0xffff, v1
	s_delay_alu instid0(VALU_DEP_2)
	v_and_b32_e32 v0, 0xffff, v0
	;;#ASMSTART
	v_cvt_f32_f16 v1, v0;
	;;#ASMEND
	;;#ASMSTART
	v_cvt_f32_f16 v0, v21;
	;;#ASMEND
	ds_load_b128 v[64:67], v25 offset:192
	v_pk_fma_f32 v[0:1], v[14:15], v[0:1], v[4:5]
	s_wait_dscnt 0x0
	v_and_b32_e32 v21, 0xffff, v64
	v_lshrrev_b32_e32 v24, 16, v64
	;;#ASMSTART
	v_cvt_f32_f16 v86, v21;
	;;#ASMEND
	;;#ASMSTART
	v_cvt_f32_f16 v87, v24;
	;;#ASMEND
	s_clause 0x1
	scratch_load_b32 v21, off, s32 offset:504 th:TH_LOAD_LU
	scratch_load_b32 v24, off, s32 offset:516 th:TH_LOAD_LU
	v_lshrrev_b32_e32 v2, 16, v65
	v_and_b32_e32 v3, 0xffff, v65
	v_lshrrev_b32_e32 v30, 16, v67
	v_and_b32_e32 v31, 0xffff, v67
	s_wait_loadcnt 0x0
	v_or_b32_e32 v21, v24, v21
	v_fma_mixlo_f16 v24, v33, v24, 0 op_sel:[0,1,0] op_sel_hi:[0,1,0]
	s_delay_alu instid0(VALU_DEP_2) | instskip(NEXT) | instid1(VALU_DEP_2)
	v_fma_mixlo_f16 v21, v33, v21, 0 op_sel_hi:[0,1,0]
	v_and_b32_e32 v24, 0xffff, v24
	s_delay_alu instid0(VALU_DEP_2)
	v_and_b32_e32 v21, 0xffff, v21
	;;#ASMSTART
	v_cvt_f32_f16 v56, v21;
	;;#ASMEND
	;;#ASMSTART
	v_cvt_f32_f16 v57, v24;
	;;#ASMEND
	;; [unrolled: 3-line block ×4, first 2 shown]
	s_clause 0x1
	scratch_load_b32 v2, off, s32 offset:512 th:TH_LOAD_LU
	scratch_load_b32 v3, off, s32 offset:524 th:TH_LOAD_LU
	v_lshrrev_b32_e32 v21, 16, v66
	v_and_b32_e32 v24, 0xffff, v66
	v_pk_fma_f32 v[80:81], v[86:87], v[56:57], v[80:81]
	s_wait_loadcnt 0x0
	v_or_b32_e32 v2, v3, v2
	v_fma_mixlo_f16 v3, v33, v3, 0 op_sel:[0,1,0] op_sel_hi:[0,1,0]
	s_delay_alu instid0(VALU_DEP_2) | instskip(NEXT) | instid1(VALU_DEP_2)
	v_fma_mixlo_f16 v2, v33, v2, 0 op_sel_hi:[0,1,0]
	v_and_b32_e32 v3, 0xffff, v3
	s_delay_alu instid0(VALU_DEP_2)
	v_and_b32_e32 v2, 0xffff, v2
	;;#ASMSTART
	v_cvt_f32_f16 v39, v2;
	;;#ASMEND
	;;#ASMSTART
	v_cvt_f32_f16 v38, v3;
	;;#ASMEND
	;; [unrolled: 3-line block ×4, first 2 shown]
	s_clause 0x1
	scratch_load_b32 v2, off, s32 offset:520 th:TH_LOAD_LU
	scratch_load_b32 v3, off, s32 offset:532 th:TH_LOAD_LU
	v_pk_fma_f32 v[38:39], v[28:29], v[38:39], v[68:69]
	s_wait_loadcnt 0x0
	v_or_b32_e32 v2, v3, v2
	v_fma_mixlo_f16 v3, v33, v3, 0 op_sel:[0,1,0] op_sel_hi:[0,1,0]
	s_delay_alu instid0(VALU_DEP_2) | instskip(NEXT) | instid1(VALU_DEP_2)
	v_fma_mixlo_f16 v2, v33, v2, 0 op_sel_hi:[0,1,0]
	v_and_b32_e32 v3, 0xffff, v3
	s_delay_alu instid0(VALU_DEP_2)
	v_and_b32_e32 v2, 0xffff, v2
	;;#ASMSTART
	v_cvt_f32_f16 v71, v2;
	;;#ASMEND
	;;#ASMSTART
	v_cvt_f32_f16 v70, v3;
	;;#ASMEND
	;; [unrolled: 3-line block ×4, first 2 shown]
	s_clause 0x1
	scratch_load_b32 v21, off, s32 offset:528 th:TH_LOAD_LU
	scratch_load_b32 v24, off, s32 offset:540 th:TH_LOAD_LU
	v_pk_fma_f32 v[48:49], v[54:55], v[70:71], v[48:49]
	s_wait_loadcnt 0x0
	v_or_b32_e32 v21, v24, v21
	v_fma_mixlo_f16 v24, v33, v24, 0 op_sel:[0,1,0] op_sel_hi:[0,1,0]
	s_delay_alu instid0(VALU_DEP_2) | instskip(NEXT) | instid1(VALU_DEP_2)
	v_fma_mixlo_f16 v21, v33, v21, 0 op_sel_hi:[0,1,0]
	v_and_b32_e32 v24, 0xffff, v24
	s_delay_alu instid0(VALU_DEP_2)
	v_and_b32_e32 v21, 0xffff, v21
	;;#ASMSTART
	v_cvt_f32_f16 v85, v21;
	;;#ASMEND
	;;#ASMSTART
	v_cvt_f32_f16 v84, v24;
	;;#ASMEND
	ds_load_b128 v[64:67], v25 offset:208
	v_pk_fma_f32 v[0:1], v[2:3], v[84:85], v[0:1]
	s_wait_dscnt 0x0
	v_and_b32_e32 v21, 0xffff, v64
	v_lshrrev_b32_e32 v24, 16, v64
	;;#ASMSTART
	v_cvt_f32_f16 v86, v21;
	;;#ASMEND
	;;#ASMSTART
	v_cvt_f32_f16 v87, v24;
	;;#ASMEND
	s_clause 0x1
	scratch_load_b32 v21, off, s32 offset:536 th:TH_LOAD_LU
	scratch_load_b32 v24, off, s32 offset:548 th:TH_LOAD_LU
	v_lshrrev_b32_e32 v10, 16, v65
	v_and_b32_e32 v11, 0xffff, v65
	v_lshrrev_b32_e32 v26, 16, v67
	v_and_b32_e32 v27, 0xffff, v67
	s_wait_loadcnt 0x0
	v_or_b32_e32 v21, v24, v21
	v_fma_mixlo_f16 v24, v33, v24, 0 op_sel:[0,1,0] op_sel_hi:[0,1,0]
	s_delay_alu instid0(VALU_DEP_2) | instskip(NEXT) | instid1(VALU_DEP_2)
	v_fma_mixlo_f16 v21, v33, v21, 0 op_sel_hi:[0,1,0]
	v_and_b32_e32 v24, 0xffff, v24
	s_delay_alu instid0(VALU_DEP_2)
	v_and_b32_e32 v21, 0xffff, v21
	;;#ASMSTART
	v_cvt_f32_f16 v56, v21;
	;;#ASMEND
	;;#ASMSTART
	v_cvt_f32_f16 v57, v24;
	;;#ASMEND
	;; [unrolled: 3-line block ×4, first 2 shown]
	s_clause 0x1
	scratch_load_b32 v10, off, s32 offset:544 th:TH_LOAD_LU
	scratch_load_b32 v11, off, s32 offset:556 th:TH_LOAD_LU
	v_lshrrev_b32_e32 v21, 16, v66
	v_and_b32_e32 v24, 0xffff, v66
	v_pk_fma_f32 v[80:81], v[86:87], v[56:57], v[80:81]
	s_wait_loadcnt 0x0
	v_or_b32_e32 v10, v11, v10
	v_fma_mixlo_f16 v11, v33, v11, 0 op_sel:[0,1,0] op_sel_hi:[0,1,0]
	s_delay_alu instid0(VALU_DEP_2) | instskip(NEXT) | instid1(VALU_DEP_2)
	v_fma_mixlo_f16 v10, v33, v10, 0 op_sel_hi:[0,1,0]
	v_and_b32_e32 v11, 0xffff, v11
	s_delay_alu instid0(VALU_DEP_2)
	v_and_b32_e32 v10, 0xffff, v10
	;;#ASMSTART
	v_cvt_f32_f16 v53, v10;
	;;#ASMEND
	;;#ASMSTART
	v_cvt_f32_f16 v52, v11;
	;;#ASMEND
	;; [unrolled: 3-line block ×4, first 2 shown]
	s_clause 0x1
	scratch_load_b32 v10, off, s32 offset:552 th:TH_LOAD_LU
	scratch_load_b32 v11, off, s32 offset:564 th:TH_LOAD_LU
	v_pk_fma_f32 v[38:39], v[50:51], v[52:53], v[38:39]
	s_wait_loadcnt 0x0
	v_or_b32_e32 v10, v11, v10
	v_fma_mixlo_f16 v11, v33, v11, 0 op_sel:[0,1,0] op_sel_hi:[0,1,0]
	s_delay_alu instid0(VALU_DEP_2) | instskip(NEXT) | instid1(VALU_DEP_2)
	v_fma_mixlo_f16 v10, v33, v10, 0 op_sel_hi:[0,1,0]
	v_and_b32_e32 v11, 0xffff, v11
	s_delay_alu instid0(VALU_DEP_2)
	v_and_b32_e32 v10, 0xffff, v10
	;;#ASMSTART
	v_cvt_f32_f16 v67, v10;
	;;#ASMEND
	;;#ASMSTART
	v_cvt_f32_f16 v66, v11;
	;;#ASMEND
	;; [unrolled: 3-line block ×4, first 2 shown]
	s_clause 0x1
	scratch_load_b32 v21, off, s32 offset:560 th:TH_LOAD_LU
	scratch_load_b32 v24, off, s32 offset:572 th:TH_LOAD_LU
	s_wait_loadcnt 0x0
	v_or_b32_e32 v21, v24, v21
	v_fma_mixlo_f16 v24, v33, v24, 0 op_sel:[0,1,0] op_sel_hi:[0,1,0]
	s_delay_alu instid0(VALU_DEP_2) | instskip(NEXT) | instid1(VALU_DEP_2)
	v_fma_mixlo_f16 v21, v33, v21, 0 op_sel_hi:[0,1,0]
	v_and_b32_e32 v24, 0xffff, v24
	s_delay_alu instid0(VALU_DEP_2)
	v_and_b32_e32 v21, 0xffff, v21
	;;#ASMSTART
	v_cvt_f32_f16 v69, v21;
	;;#ASMEND
	;;#ASMSTART
	v_cvt_f32_f16 v68, v24;
	;;#ASMEND
	ds_load_b128 v[26:29], v25 offset:224
	v_pk_fma_f32 v[10:11], v[10:11], v[68:69], v[0:1]
	s_wait_dscnt 0x0
	v_and_b32_e32 v21, 0xffff, v26
	v_lshrrev_b32_e32 v24, 16, v26
	;;#ASMSTART
	v_cvt_f32_f16 v86, v21;
	;;#ASMEND
	;;#ASMSTART
	v_cvt_f32_f16 v87, v24;
	;;#ASMEND
	s_clause 0x1
	scratch_load_b32 v21, off, s32 offset:568 th:TH_LOAD_LU
	scratch_load_b32 v24, off, s32 offset:580 th:TH_LOAD_LU
	v_lshrrev_b32_e32 v4, 16, v27
	v_and_b32_e32 v5, 0xffff, v27
	v_lshrrev_b32_e32 v26, 16, v29
	v_and_b32_e32 v27, 0xffff, v29
	s_wait_loadcnt 0x0
	v_or_b32_e32 v21, v24, v21
	v_fma_mixlo_f16 v24, v33, v24, 0 op_sel:[0,1,0] op_sel_hi:[0,1,0]
	s_delay_alu instid0(VALU_DEP_2) | instskip(NEXT) | instid1(VALU_DEP_2)
	v_fma_mixlo_f16 v21, v33, v21, 0 op_sel_hi:[0,1,0]
	v_and_b32_e32 v24, 0xffff, v24
	s_delay_alu instid0(VALU_DEP_2)
	v_and_b32_e32 v21, 0xffff, v21
	;;#ASMSTART
	v_cvt_f32_f16 v56, v21;
	;;#ASMEND
	;;#ASMSTART
	v_cvt_f32_f16 v57, v24;
	;;#ASMEND
	;; [unrolled: 3-line block ×4, first 2 shown]
	s_clause 0x1
	scratch_load_b32 v4, off, s32 offset:576 th:TH_LOAD_LU
	scratch_load_b32 v5, off, s32 offset:588 th:TH_LOAD_LU
	v_lshrrev_b32_e32 v21, 16, v28
	v_and_b32_e32 v24, 0xffff, v28
	v_pk_fma_f32 v[80:81], v[86:87], v[56:57], v[80:81]
	s_wait_loadcnt 0x0
	v_or_b32_e32 v4, v5, v4
	v_fma_mixlo_f16 v5, v33, v5, 0 op_sel:[0,1,0] op_sel_hi:[0,1,0]
	s_delay_alu instid0(VALU_DEP_2) | instskip(NEXT) | instid1(VALU_DEP_2)
	v_fma_mixlo_f16 v4, v33, v4, 0 op_sel_hi:[0,1,0]
	v_and_b32_e32 v5, 0xffff, v5
	s_delay_alu instid0(VALU_DEP_2)
	v_and_b32_e32 v4, 0xffff, v4
	;;#ASMSTART
	v_cvt_f32_f16 v51, v4;
	;;#ASMEND
	;;#ASMSTART
	v_cvt_f32_f16 v50, v5;
	;;#ASMEND
	;; [unrolled: 3-line block ×4, first 2 shown]
	s_clause 0x1
	scratch_load_b32 v4, off, s32 offset:584 th:TH_LOAD_LU
	scratch_load_b32 v5, off, s32 offset:596 th:TH_LOAD_LU
	v_pk_fma_f32 v[14:15], v[14:15], v[50:51], v[38:39]
	v_pk_fma_f32 v[38:39], v[64:65], v[66:67], v[48:49]
	s_wait_loadcnt 0x0
	v_or_b32_e32 v4, v5, v4
	v_fma_mixlo_f16 v5, v33, v5, 0 op_sel:[0,1,0] op_sel_hi:[0,1,0]
	s_delay_alu instid0(VALU_DEP_2) | instskip(NEXT) | instid1(VALU_DEP_2)
	v_fma_mixlo_f16 v4, v33, v4, 0 op_sel_hi:[0,1,0]
	v_and_b32_e32 v5, 0xffff, v5
	s_delay_alu instid0(VALU_DEP_2)
	v_and_b32_e32 v4, 0xffff, v4
	;;#ASMSTART
	v_cvt_f32_f16 v55, v4;
	;;#ASMEND
	;;#ASMSTART
	v_cvt_f32_f16 v54, v5;
	;;#ASMEND
	;; [unrolled: 3-line block ×4, first 2 shown]
	s_clause 0x1
	scratch_load_b32 v21, off, s32 offset:592 th:TH_LOAD_LU
	scratch_load_b32 v24, off, s32 offset:604 th:TH_LOAD_LU
	v_pk_fma_f32 v[38:39], v[52:53], v[54:55], v[38:39]
	s_wait_loadcnt 0x0
	v_or_b32_e32 v21, v24, v21
	v_fma_mixlo_f16 v24, v33, v24, 0 op_sel:[0,1,0] op_sel_hi:[0,1,0]
	s_delay_alu instid0(VALU_DEP_2) | instskip(NEXT) | instid1(VALU_DEP_2)
	v_fma_mixlo_f16 v21, v33, v21, 0 op_sel_hi:[0,1,0]
	v_and_b32_e32 v24, 0xffff, v24
	s_delay_alu instid0(VALU_DEP_2)
	v_and_b32_e32 v21, 0xffff, v21
	;;#ASMSTART
	v_cvt_f32_f16 v71, v21;
	;;#ASMEND
	;;#ASMSTART
	v_cvt_f32_f16 v70, v24;
	;;#ASMEND
	ds_load_b128 v[26:29], v25 offset:240
	v_pk_fma_f32 v[4:5], v[4:5], v[70:71], v[10:11]
	s_wait_dscnt 0x0
	v_and_b32_e32 v21, 0xffff, v26
	v_lshrrev_b32_e32 v24, 16, v26
	;;#ASMSTART
	v_cvt_f32_f16 v86, v21;
	;;#ASMEND
	;;#ASMSTART
	v_cvt_f32_f16 v87, v24;
	;;#ASMEND
	s_clause 0x1
	scratch_load_b32 v21, off, s32 offset:600 th:TH_LOAD_LU
	scratch_load_b32 v24, off, s32 offset:612 th:TH_LOAD_LU
	v_lshrrev_b32_e32 v2, 16, v27
	v_and_b32_e32 v3, 0xffff, v27
	v_lshrrev_b32_e32 v26, 16, v29
	v_and_b32_e32 v27, 0xffff, v29
	s_wait_loadcnt 0x0
	v_or_b32_e32 v21, v24, v21
	v_fma_mixlo_f16 v24, v33, v24, 0 op_sel:[0,1,0] op_sel_hi:[0,1,0]
	s_delay_alu instid0(VALU_DEP_2) | instskip(NEXT) | instid1(VALU_DEP_2)
	v_fma_mixlo_f16 v21, v33, v21, 0 op_sel_hi:[0,1,0]
	v_and_b32_e32 v24, 0xffff, v24
	s_delay_alu instid0(VALU_DEP_2)
	v_and_b32_e32 v21, 0xffff, v21
	;;#ASMSTART
	v_cvt_f32_f16 v56, v21;
	;;#ASMEND
	;;#ASMSTART
	v_cvt_f32_f16 v57, v24;
	;;#ASMEND
	;; [unrolled: 3-line block ×4, first 2 shown]
	s_clause 0x1
	scratch_load_b32 v2, off, s32 offset:608 th:TH_LOAD_LU
	scratch_load_b32 v3, off, s32 offset:620 th:TH_LOAD_LU
	v_lshrrev_b32_e32 v21, 16, v28
	v_and_b32_e32 v24, 0xffff, v28
	v_pk_fma_f32 v[80:81], v[86:87], v[56:57], v[80:81]
	s_wait_loadcnt 0x0
	v_or_b32_e32 v2, v3, v2
	v_fma_mixlo_f16 v3, v33, v3, 0 op_sel:[0,1,0] op_sel_hi:[0,1,0]
	s_delay_alu instid0(VALU_DEP_2) | instskip(NEXT) | instid1(VALU_DEP_2)
	v_fma_mixlo_f16 v2, v33, v2, 0 op_sel_hi:[0,1,0]
	v_and_b32_e32 v3, 0xffff, v3
	s_delay_alu instid0(VALU_DEP_2)
	v_and_b32_e32 v2, 0xffff, v2
	;;#ASMSTART
	v_cvt_f32_f16 v51, v2;
	;;#ASMEND
	;;#ASMSTART
	v_cvt_f32_f16 v50, v3;
	;;#ASMEND
	;; [unrolled: 3-line block ×4, first 2 shown]
	s_clause 0x1
	scratch_load_b32 v2, off, s32 offset:616 th:TH_LOAD_LU
	scratch_load_b32 v3, off, s32 offset:628 th:TH_LOAD_LU
	v_pk_fma_f32 v[14:15], v[48:49], v[50:51], v[14:15]
	s_wait_loadcnt 0x0
	v_or_b32_e32 v2, v3, v2
	v_fma_mixlo_f16 v3, v33, v3, 0 op_sel:[0,1,0] op_sel_hi:[0,1,0]
	s_delay_alu instid0(VALU_DEP_2) | instskip(NEXT) | instid1(VALU_DEP_2)
	v_fma_mixlo_f16 v2, v33, v2, 0 op_sel_hi:[0,1,0]
	v_and_b32_e32 v3, 0xffff, v3
	s_delay_alu instid0(VALU_DEP_2)
	v_and_b32_e32 v2, 0xffff, v2
	;;#ASMSTART
	v_cvt_f32_f16 v67, v2;
	;;#ASMEND
	;;#ASMSTART
	v_cvt_f32_f16 v66, v3;
	;;#ASMEND
	;; [unrolled: 3-line block ×4, first 2 shown]
	s_clause 0x1
	scratch_load_b32 v21, off, s32 offset:624 th:TH_LOAD_LU
	scratch_load_b32 v24, off, s32 offset:636 th:TH_LOAD_LU
	v_pk_fma_f32 v[38:39], v[64:65], v[66:67], v[38:39]
	s_wait_loadcnt 0x0
	v_or_b32_e32 v21, v24, v21
	v_fma_mixlo_f16 v24, v33, v24, 0 op_sel:[0,1,0] op_sel_hi:[0,1,0]
	s_delay_alu instid0(VALU_DEP_2) | instskip(NEXT) | instid1(VALU_DEP_2)
	v_fma_mixlo_f16 v21, v33, v21, 0 op_sel_hi:[0,1,0]
	v_and_b32_e32 v24, 0xffff, v24
	s_delay_alu instid0(VALU_DEP_2)
	v_and_b32_e32 v21, 0xffff, v21
	;;#ASMSTART
	v_cvt_f32_f16 v85, v21;
	;;#ASMEND
	;;#ASMSTART
	v_cvt_f32_f16 v84, v24;
	;;#ASMEND
	ds_load_b128 v[26:29], v25 offset:256
	s_wait_dscnt 0x0
	v_and_b32_e32 v21, 0xffff, v26
	v_lshrrev_b32_e32 v24, 16, v26
	;;#ASMSTART
	v_cvt_f32_f16 v86, v21;
	;;#ASMEND
	;;#ASMSTART
	v_cvt_f32_f16 v87, v24;
	;;#ASMEND
	s_clause 0x1
	scratch_load_b32 v21, off, s32 offset:632 th:TH_LOAD_LU
	scratch_load_b32 v24, off, s32 offset:644 th:TH_LOAD_LU
	v_lshrrev_b32_e32 v0, 16, v27
	v_and_b32_e32 v1, 0xffff, v27
	v_lshrrev_b32_e32 v26, 16, v29
	v_and_b32_e32 v27, 0xffff, v29
	s_wait_loadcnt 0x0
	v_or_b32_e32 v21, v24, v21
	v_fma_mixlo_f16 v24, v33, v24, 0 op_sel:[0,1,0] op_sel_hi:[0,1,0]
	s_delay_alu instid0(VALU_DEP_2) | instskip(NEXT) | instid1(VALU_DEP_2)
	v_fma_mixlo_f16 v21, v33, v21, 0 op_sel_hi:[0,1,0]
	v_and_b32_e32 v24, 0xffff, v24
	s_delay_alu instid0(VALU_DEP_2)
	v_and_b32_e32 v21, 0xffff, v21
	;;#ASMSTART
	v_cvt_f32_f16 v56, v21;
	;;#ASMEND
	;;#ASMSTART
	v_cvt_f32_f16 v57, v24;
	;;#ASMEND
	;; [unrolled: 3-line block ×4, first 2 shown]
	s_clause 0x1
	scratch_load_b32 v0, off, s32 offset:640 th:TH_LOAD_LU
	scratch_load_b32 v1, off, s32 offset:652 th:TH_LOAD_LU
	v_lshrrev_b32_e32 v21, 16, v28
	v_and_b32_e32 v24, 0xffff, v28
	v_pk_fma_f32 v[80:81], v[86:87], v[56:57], v[80:81]
	s_wait_loadcnt 0x0
	v_or_b32_e32 v0, v1, v0
	v_fma_mixlo_f16 v1, v33, v1, 0 op_sel:[0,1,0] op_sel_hi:[0,1,0]
	s_delay_alu instid0(VALU_DEP_2) | instskip(NEXT) | instid1(VALU_DEP_2)
	v_fma_mixlo_f16 v0, v33, v0, 0 op_sel_hi:[0,1,0]
	v_and_b32_e32 v1, 0xffff, v1
	s_delay_alu instid0(VALU_DEP_2)
	v_and_b32_e32 v0, 0xffff, v0
	;;#ASMSTART
	v_cvt_f32_f16 v51, v0;
	;;#ASMEND
	;;#ASMSTART
	v_cvt_f32_f16 v50, v1;
	;;#ASMEND
	;; [unrolled: 3-line block ×4, first 2 shown]
	s_clause 0x1
	scratch_load_b32 v0, off, s32 offset:648 th:TH_LOAD_LU
	scratch_load_b32 v1, off, s32 offset:660 th:TH_LOAD_LU
	v_pk_fma_f32 v[14:15], v[48:49], v[50:51], v[14:15]
	s_wait_loadcnt 0x0
	v_or_b32_e32 v0, v1, v0
	v_fma_mixlo_f16 v1, v33, v1, 0 op_sel:[0,1,0] op_sel_hi:[0,1,0]
	s_delay_alu instid0(VALU_DEP_2) | instskip(NEXT) | instid1(VALU_DEP_2)
	v_fma_mixlo_f16 v0, v33, v0, 0 op_sel_hi:[0,1,0]
	v_and_b32_e32 v1, 0xffff, v1
	s_delay_alu instid0(VALU_DEP_2)
	v_and_b32_e32 v0, 0xffff, v0
	;;#ASMSTART
	v_cvt_f32_f16 v55, v0;
	;;#ASMEND
	;;#ASMSTART
	v_cvt_f32_f16 v54, v1;
	;;#ASMEND
	;; [unrolled: 3-line block ×4, first 2 shown]
	s_clause 0x1
	scratch_load_b32 v21, off, s32 offset:656 th:TH_LOAD_LU
	scratch_load_b32 v24, off, s32 offset:668 th:TH_LOAD_LU
	s_wait_loadcnt 0x0
	v_or_b32_e32 v21, v24, v21
	v_fma_mixlo_f16 v24, v33, v24, 0 op_sel:[0,1,0] op_sel_hi:[0,1,0]
	s_delay_alu instid0(VALU_DEP_2) | instskip(NEXT) | instid1(VALU_DEP_2)
	v_fma_mixlo_f16 v21, v33, v21, 0 op_sel_hi:[0,1,0]
	v_and_b32_e32 v24, 0xffff, v24
	s_delay_alu instid0(VALU_DEP_2)
	v_and_b32_e32 v21, 0xffff, v21
	;;#ASMSTART
	v_cvt_f32_f16 v69, v21;
	;;#ASMEND
	;;#ASMSTART
	v_cvt_f32_f16 v68, v24;
	;;#ASMEND
	ds_load_b128 v[26:29], v25 offset:272
	s_wait_dscnt 0x0
	v_and_b32_e32 v21, 0xffff, v26
	v_lshrrev_b32_e32 v24, 16, v26
	;;#ASMSTART
	v_cvt_f32_f16 v86, v21;
	;;#ASMEND
	;;#ASMSTART
	v_cvt_f32_f16 v87, v24;
	;;#ASMEND
	scratch_load_b32 v21, off, s32 offset:664 th:TH_LOAD_LU ; 4-byte Folded Reload
	v_lshrrev_b32_e32 v10, 16, v27
	v_fma_mixlo_f16 v24, v33, v120, 0 op_sel:[0,1,0] op_sel_hi:[0,1,0]
	v_and_b32_e32 v11, 0xffff, v27
	v_lshrrev_b32_e32 v26, 16, v28
	v_and_b32_e32 v27, 0xffff, v28
	v_lshrrev_b32_e32 v28, 16, v29
	v_and_b32_e32 v24, 0xffff, v24
	v_and_b32_e32 v29, 0xffff, v29
	s_wait_loadcnt 0x0
	v_or_b32_e32 v21, v120, v21
	s_delay_alu instid0(VALU_DEP_1) | instskip(NEXT) | instid1(VALU_DEP_1)
	v_fma_mixlo_f16 v21, v33, v21, 0 op_sel_hi:[0,1,0]
	v_and_b32_e32 v21, 0xffff, v21
	;;#ASMSTART
	v_cvt_f32_f16 v56, v21;
	;;#ASMEND
	;;#ASMSTART
	v_cvt_f32_f16 v57, v24;
	;;#ASMEND
	;;#ASMSTART
	v_cvt_f32_f16 v11, v11;
	;;#ASMEND
	;;#ASMSTART
	v_cvt_f32_f16 v10, v10;
	;;#ASMEND
	scratch_load_b32 v21, off, s32 offset:672 th:TH_LOAD_LU ; 4-byte Folded Reload
	v_fma_mixlo_f16 v24, v33, v108, 0 op_sel:[0,1,0] op_sel_hi:[0,1,0]
	v_pk_fma_f32 v[80:81], v[86:87], v[56:57], v[80:81]
	s_delay_alu instid0(VALU_DEP_2) | instskip(SKIP_2) | instid1(VALU_DEP_1)
	v_and_b32_e32 v24, 0xffff, v24
	s_wait_loadcnt 0x0
	v_or_b32_e32 v21, v108, v21
	v_fma_mixlo_f16 v21, v33, v21, 0 op_sel_hi:[0,1,0]
	s_delay_alu instid0(VALU_DEP_1)
	v_and_b32_e32 v21, 0xffff, v21
	;;#ASMSTART
	v_cvt_f32_f16 v49, v21;
	;;#ASMEND
	;;#ASMSTART
	v_cvt_f32_f16 v48, v24;
	;;#ASMEND
	;; [unrolled: 3-line block ×4, first 2 shown]
	scratch_load_b32 v21, off, s32 offset:676 th:TH_LOAD_LU ; 4-byte Folded Reload
	v_fma_mixlo_f16 v24, v33, v112, 0 op_sel:[0,1,0] op_sel_hi:[0,1,0]
	v_pk_fma_f32 v[10:11], v[10:11], v[48:49], v[14:15]
	v_pk_fma_f32 v[14:15], v[52:53], v[54:55], v[38:39]
	;; [unrolled: 1-line block ×3, first 2 shown]
	s_delay_alu instid0(VALU_DEP_4) | instskip(NEXT) | instid1(VALU_DEP_2)
	v_and_b32_e32 v24, 0xffff, v24
	v_pk_fma_f32 v[0:1], v[0:1], v[68:69], v[38:39]
	s_wait_loadcnt 0x0
	v_or_b32_e32 v21, v112, v21
	s_delay_alu instid0(VALU_DEP_1) | instskip(NEXT) | instid1(VALU_DEP_1)
	v_fma_mixlo_f16 v21, v33, v21, 0 op_sel_hi:[0,1,0]
	v_and_b32_e32 v21, 0xffff, v21
	;;#ASMSTART
	v_cvt_f32_f16 v65, v21;
	;;#ASMEND
	;;#ASMSTART
	v_cvt_f32_f16 v64, v24;
	;;#ASMEND
	;; [unrolled: 3-line block ×4, first 2 shown]
	scratch_load_b32 v21, off, s32 offset:680 th:TH_LOAD_LU ; 4-byte Folded Reload
	v_fma_mixlo_f16 v24, v33, v118, 0 op_sel:[0,1,0] op_sel_hi:[0,1,0]
	v_pk_fma_f32 v[14:15], v[50:51], v[64:65], v[14:15]
	s_delay_alu instid0(VALU_DEP_2) | instskip(SKIP_2) | instid1(VALU_DEP_1)
	v_and_b32_e32 v24, 0xffff, v24
	s_wait_loadcnt 0x0
	v_or_b32_e32 v21, v118, v21
	v_fma_mixlo_f16 v21, v33, v21, 0 op_sel_hi:[0,1,0]
	s_delay_alu instid0(VALU_DEP_1)
	v_and_b32_e32 v21, 0xffff, v21
	;;#ASMSTART
	v_cvt_f32_f16 v71, v21;
	;;#ASMEND
	;;#ASMSTART
	v_cvt_f32_f16 v70, v24;
	;;#ASMEND
	ds_load_b128 v[26:29], v25 offset:288
	v_pk_fma_f32 v[0:1], v[66:67], v[70:71], v[0:1]
	s_wait_dscnt 0x0
	v_and_b32_e32 v21, 0xffff, v26
	v_lshrrev_b32_e32 v24, 16, v26
	;;#ASMSTART
	v_cvt_f32_f16 v86, v21;
	;;#ASMEND
	;;#ASMSTART
	v_cvt_f32_f16 v87, v24;
	;;#ASMEND
	scratch_load_b32 v21, off, s32 offset:684 th:TH_LOAD_LU ; 4-byte Folded Reload
	v_lshrrev_b32_e32 v2, 16, v27
	v_fma_mixlo_f16 v24, v33, v45, 0 op_sel:[0,1,0] op_sel_hi:[0,1,0]
	v_and_b32_e32 v3, 0xffff, v27
	v_lshrrev_b32_e32 v4, 16, v28
	v_and_b32_e32 v5, 0xffff, v28
	s_delay_alu instid0(VALU_DEP_4) | instskip(SKIP_2) | instid1(VALU_DEP_1)
	v_and_b32_e32 v24, 0xffff, v24
	s_wait_loadcnt 0x0
	v_or_b32_e32 v21, v45, v21
	v_fma_mixlo_f16 v21, v33, v21, 0 op_sel_hi:[0,1,0]
	s_delay_alu instid0(VALU_DEP_1)
	v_and_b32_e32 v21, 0xffff, v21
	;;#ASMSTART
	v_cvt_f32_f16 v118, v21;
	;;#ASMEND
	;;#ASMSTART
	v_cvt_f32_f16 v119, v24;
	;;#ASMEND
	;; [unrolled: 3-line block ×4, first 2 shown]
	scratch_load_b32 v2, off, s32 offset:688 th:TH_LOAD_LU ; 4-byte Folded Reload
	v_fma_mixlo_f16 v3, v33, v114, 0 op_sel:[0,1,0] op_sel_hi:[0,1,0]
	v_lshrrev_b32_e32 v21, 16, v29
	v_and_b32_e32 v24, 0xffff, v29
	v_pk_fma_f32 v[80:81], v[86:87], v[118:119], v[80:81]
	s_delay_alu instid0(VALU_DEP_4) | instskip(SKIP_2) | instid1(VALU_DEP_1)
	v_and_b32_e32 v3, 0xffff, v3
	s_wait_loadcnt 0x0
	v_or_b32_e32 v2, v114, v2
	v_fma_mixlo_f16 v2, v33, v2, 0 op_sel_hi:[0,1,0]
	s_delay_alu instid0(VALU_DEP_1)
	v_and_b32_e32 v2, 0xffff, v2
	;;#ASMSTART
	v_cvt_f32_f16 v29, v2;
	;;#ASMEND
	;;#ASMSTART
	v_cvt_f32_f16 v28, v3;
	;;#ASMEND
	;; [unrolled: 3-line block ×4, first 2 shown]
	scratch_load_b32 v2, off, s32 offset:692 th:TH_LOAD_LU ; 4-byte Folded Reload
	v_fma_mixlo_f16 v3, v33, v113, 0 op_sel:[0,1,0] op_sel_hi:[0,1,0]
	v_pk_fma_f32 v[10:11], v[26:27], v[28:29], v[10:11]
	s_delay_alu instid0(VALU_DEP_2) | instskip(SKIP_2) | instid1(VALU_DEP_1)
	v_and_b32_e32 v3, 0xffff, v3
	s_wait_loadcnt 0x0
	v_or_b32_e32 v2, v113, v2
	v_fma_mixlo_f16 v2, v33, v2, 0 op_sel_hi:[0,1,0]
	s_delay_alu instid0(VALU_DEP_1)
	v_and_b32_e32 v2, 0xffff, v2
	;;#ASMSTART
	v_cvt_f32_f16 v55, v2;
	;;#ASMEND
	;;#ASMSTART
	v_cvt_f32_f16 v54, v3;
	;;#ASMEND
	;; [unrolled: 3-line block ×4, first 2 shown]
	scratch_load_b32 v2, off, s32 offset:696 th:TH_LOAD_LU ; 4-byte Folded Reload
	v_fma_mixlo_f16 v3, v33, v44, 0 op_sel:[0,1,0] op_sel_hi:[0,1,0]
	v_fma_mixlo_f16 v24, v33, v79, 0 op_sel:[0,1,0] op_sel_hi:[0,1,0]
	s_delay_alu instid0(VALU_DEP_2) | instskip(NEXT) | instid1(VALU_DEP_2)
	v_and_b32_e32 v3, 0xffff, v3
	v_and_b32_e32 v24, 0xffff, v24
	s_wait_loadcnt 0x0
	v_or_b32_e32 v2, v44, v2
	s_delay_alu instid0(VALU_DEP_1) | instskip(NEXT) | instid1(VALU_DEP_1)
	v_fma_mixlo_f16 v2, v33, v2, 0 op_sel_hi:[0,1,0]
	v_and_b32_e32 v2, 0xffff, v2
	;;#ASMSTART
	v_cvt_f32_f16 v87, v2;
	;;#ASMEND
	;;#ASMSTART
	v_cvt_f32_f16 v86, v3;
	;;#ASMEND
	ds_load_b128 v[2:5], v25 offset:304
	v_pk_fma_f32 v[0:1], v[84:85], v[86:87], v[0:1]
	s_wait_dscnt 0x0
	v_and_b32_e32 v21, 0xffff, v2
	v_lshrrev_b32_e32 v2, 16, v2
	;;#ASMSTART
	v_cvt_f32_f16 v52, v21;
	;;#ASMEND
	;;#ASMSTART
	v_cvt_f32_f16 v53, v2;
	;;#ASMEND
	scratch_load_b32 v2, off, s32 offset:700 th:TH_LOAD_LU ; 4-byte Folded Reload
	v_fma_mixlo_f16 v21, v33, v40, 0 op_sel:[0,1,0] op_sel_hi:[0,1,0]
	s_delay_alu instid0(VALU_DEP_1) | instskip(SKIP_2) | instid1(VALU_DEP_1)
	v_and_b32_e32 v21, 0xffff, v21
	s_wait_loadcnt 0x0
	v_or_b32_e32 v2, v40, v2
	v_fma_mixlo_f16 v2, v33, v2, 0 op_sel_hi:[0,1,0]
	s_delay_alu instid0(VALU_DEP_1)
	v_and_b32_e32 v2, 0xffff, v2
	;;#ASMSTART
	v_cvt_f32_f16 v112, v2;
	;;#ASMEND
	;;#ASMSTART
	v_cvt_f32_f16 v113, v21;
	;;#ASMEND
	v_and_b32_e32 v2, 0xffff, v3
	v_lshrrev_b32_e32 v21, 16, v3
	;;#ASMSTART
	v_cvt_f32_f16 v3, v2;
	;;#ASMEND
	;;#ASMSTART
	v_cvt_f32_f16 v2, v21;
	;;#ASMEND
	scratch_load_b32 v21, off, s32 offset:708 th:TH_LOAD_LU ; 4-byte Folded Reload
	v_pk_fma_f32 v[52:53], v[52:53], v[112:113], v[80:81]
	s_wait_loadcnt 0x0
	v_or_b32_e32 v21, v79, v21
	s_delay_alu instid0(VALU_DEP_1) | instskip(NEXT) | instid1(VALU_DEP_1)
	v_fma_mixlo_f16 v21, v33, v21, 0 op_sel_hi:[0,1,0]
	v_and_b32_e32 v21, 0xffff, v21
	;;#ASMSTART
	v_cvt_f32_f16 v27, v21;
	;;#ASMEND
	;;#ASMSTART
	v_cvt_f32_f16 v26, v24;
	;;#ASMEND
	v_pk_fma_f32 v[50:51], v[2:3], v[26:27], v[10:11]
	v_and_b32_e32 v10, 0xffff, v4
	v_lshrrev_b32_e32 v4, 16, v4
	;;#ASMSTART
	v_cvt_f32_f16 v11, v10;
	;;#ASMEND
	;;#ASMSTART
	v_cvt_f32_f16 v10, v4;
	;;#ASMEND
	scratch_load_b32 v4, off, s32 offset:716 th:TH_LOAD_LU ; 4-byte Folded Reload
	v_pk_fma_f32 v[2:3], v[48:49], v[54:55], v[14:15]
	v_fma_mixlo_f16 v14, v33, v116, 0 op_sel:[0,1,0] op_sel_hi:[0,1,0]
	s_delay_alu instid0(VALU_DEP_1) | instskip(SKIP_2) | instid1(VALU_DEP_1)
	v_and_b32_e32 v14, 0xffff, v14
	s_wait_loadcnt 0x0
	v_or_b32_e32 v4, v116, v4
	v_fma_mixlo_f16 v4, v33, v4, 0 op_sel_hi:[0,1,0]
	s_delay_alu instid0(VALU_DEP_1)
	v_and_b32_e32 v4, 0xffff, v4
	;;#ASMSTART
	v_cvt_f32_f16 v15, v4;
	;;#ASMEND
	;;#ASMSTART
	v_cvt_f32_f16 v14, v14;
	;;#ASMEND
	v_pk_fma_f32 v[48:49], v[10:11], v[14:15], v[2:3]
	scratch_load_b32 v2, off, s32 offset:724 th:TH_LOAD_LU ; 4-byte Folded Reload
	v_fma_mixlo_f16 v3, v33, v62, 0 op_sel:[0,1,0] op_sel_hi:[0,1,0]
	v_and_b32_e32 v4, 0xffff, v5
	v_lshrrev_b32_e32 v5, 16, v5
	s_delay_alu instid0(VALU_DEP_3) | instskip(SKIP_3) | instid1(VALU_DEP_1)
	v_and_b32_e32 v11, 0xffff, v3
	;;#ASMSTART
	v_cvt_f32_f16 v3, v4;
	;;#ASMEND
	s_wait_loadcnt 0x0
	v_or_b32_e32 v2, v62, v2
	v_fma_mixlo_f16 v2, v33, v2, 0 op_sel_hi:[0,1,0]
	s_delay_alu instid0(VALU_DEP_1)
	v_and_b32_e32 v10, 0xffff, v2
	;;#ASMSTART
	v_cvt_f32_f16 v2, v5;
	;;#ASMEND
	;;#ASMSTART
	v_cvt_f32_f16 v5, v10;
	;;#ASMEND
	;; [unrolled: 3-line block ×3, first 2 shown]
	v_pk_fma_f32 v[38:39], v[2:3], v[4:5], v[0:1]
	scratch_load_b32 v0, off, s32 offset:732 th:TH_LOAD_LU ; 4-byte Folded Reload
	ds_load_b128 v[2:5], v25 offset:320
	v_fma_mixlo_f16 v1, v33, v74, 0 op_sel:[0,1,0] op_sel_hi:[0,1,0]
	s_delay_alu instid0(VALU_DEP_1)
	v_and_b32_e32 v1, 0xffff, v1
	s_wait_dscnt 0x0
	v_and_b32_e32 v10, 0xffff, v2
	v_lshrrev_b32_e32 v2, 16, v2
	;;#ASMSTART
	v_cvt_f32_f16 v54, v10;
	;;#ASMEND
	;;#ASMSTART
	v_cvt_f32_f16 v55, v2;
	;;#ASMEND
	v_and_b32_e32 v2, 0xffff, v3
	v_lshrrev_b32_e32 v3, 16, v3
	v_and_b32_e32 v14, 0xffff, v4
	v_dual_lshrrev_b32 v4, 16, v4 :: v_dual_lshrrev_b32 v15, 16, v5
	v_and_b32_e32 v5, 0xffff, v5
	s_wait_loadcnt 0x0
	v_or_b32_e32 v0, v74, v0
	s_delay_alu instid0(VALU_DEP_1) | instskip(NEXT) | instid1(VALU_DEP_1)
	v_fma_mixlo_f16 v0, v33, v0, 0 op_sel_hi:[0,1,0]
	v_and_b32_e32 v0, 0xffff, v0
	;;#ASMSTART
	v_cvt_f32_f16 v64, v0;
	;;#ASMEND
	;;#ASMSTART
	v_cvt_f32_f16 v65, v1;
	;;#ASMEND
	scratch_load_b32 v0, off, s32 offset:704 th:TH_LOAD_LU ; 4-byte Folded Reload
	v_fma_mixlo_f16 v1, v33, v43, 0 op_sel:[0,1,0] op_sel_hi:[0,1,0]
	v_pk_fma_f32 v[10:11], v[54:55], v[64:65], v[52:53]
	s_wait_loadcnt 0x0
	v_or_b32_e32 v0, v43, v0
	s_delay_alu instid0(VALU_DEP_1) | instskip(NEXT) | instid1(VALU_DEP_1)
	v_fma_mixlo_f16 v0, v33, v0, 0 op_sel_hi:[0,1,0]
	v_and_b32_e32 v21, 0xffff, v0
	scratch_load_b32 v0, off, s32 offset:712 th:TH_LOAD_LU ; 4-byte Folded Reload
	;;#ASMSTART
	v_cvt_f32_f16 v117, v2;
	;;#ASMEND
	v_and_b32_e32 v2, 0xffff, v1
	;;#ASMSTART
	v_cvt_f32_f16 v116, v3;
	;;#ASMEND
	;;#ASMSTART
	v_cvt_f32_f16 v119, v21;
	;;#ASMEND
	scratch_load_b32 v1, off, s32 offset:720 th:TH_LOAD_LU ; 4-byte Folded Reload
	;;#ASMSTART
	v_cvt_f32_f16 v118, v2;
	;;#ASMEND
	v_fma_mixlo_f16 v2, v33, v46, 0 op_sel:[0,1,0] op_sel_hi:[0,1,0]
	;;#ASMSTART
	v_cvt_f32_f16 v43, v14;
	;;#ASMEND
	;;#ASMSTART
	v_cvt_f32_f16 v42, v4;
	;;#ASMEND
	v_fma_mixlo_f16 v14, v33, v47, 0 op_sel:[0,1,0] op_sel_hi:[0,1,0]
	s_delay_alu instid0(VALU_DEP_2) | instskip(SKIP_2) | instid1(VALU_DEP_1)
	v_and_b32_e32 v2, 0xffff, v2
	s_wait_loadcnt 0x1
	v_or_b32_e32 v0, v46, v0
	v_fma_mixlo_f16 v0, v33, v0, 0 op_sel_hi:[0,1,0]
	s_wait_loadcnt 0x0
	v_or_b32_e32 v1, v60, v1
	s_delay_alu instid0(VALU_DEP_2) | instskip(NEXT) | instid1(VALU_DEP_2)
	v_and_b32_e32 v3, 0xffff, v0
	v_fma_mixlo_f16 v0, v33, v1, 0 op_sel_hi:[0,1,0]
	v_fma_mixlo_f16 v1, v33, v60, 0 op_sel:[0,1,0] op_sel_hi:[0,1,0]
	;;#ASMSTART
	v_cvt_f32_f16 v45, v3;
	;;#ASMEND
	;;#ASMSTART
	v_cvt_f32_f16 v44, v2;
	;;#ASMEND
	;; [unrolled: 3-line block ×3, first 2 shown]
	v_and_b32_e32 v0, 0xffff, v0
	v_and_b32_e32 v1, 0xffff, v1
	;;#ASMSTART
	v_cvt_f32_f16 v52, v15;
	;;#ASMEND
	;;#ASMSTART
	v_cvt_f32_f16 v55, v0;
	;;#ASMEND
	;; [unrolled: 3-line block ×3, first 2 shown]
	ds_load_b128 v[0:3], v25 offset:336
	v_and_b32_e32 v15, 0xffff, v14
	s_wait_dscnt 0x0
	v_and_b32_e32 v4, 0xffff, v0
	v_lshrrev_b32_e32 v0, 16, v0
	;;#ASMSTART
	v_cvt_f32_f16 v4, v4;
	;;#ASMEND
	;;#ASMSTART
	v_cvt_f32_f16 v5, v0;
	;;#ASMEND
	scratch_load_b32 v0, off, s32 offset:728 th:TH_LOAD_LU ; 4-byte Folded Reload
	s_wait_loadcnt 0x0
	v_or_b32_e32 v0, v47, v0
	s_delay_alu instid0(VALU_DEP_1) | instskip(NEXT) | instid1(VALU_DEP_1)
	v_fma_mixlo_f16 v0, v33, v0, 0 op_sel_hi:[0,1,0]
	v_and_b32_e32 v0, 0xffff, v0
	;;#ASMSTART
	v_cvt_f32_f16 v14, v0;
	;;#ASMEND
	v_lshrrev_b32_e32 v0, 16, v1
	;;#ASMSTART
	v_cvt_f32_f16 v15, v15;
	;;#ASMEND
	v_and_b32_e32 v1, 0xffff, v1
	;;#ASMSTART
	v_cvt_f32_f16 v47, v1;
	;;#ASMEND
	;;#ASMSTART
	v_cvt_f32_f16 v46, v0;
	;;#ASMEND
	scratch_load_b32 v0, off, s32 offset:736 th:TH_LOAD_LU ; 4-byte Folded Reload
	v_pk_fma_f32 v[4:5], v[4:5], v[14:15], v[10:11]
	v_fma_mixlo_f16 v1, v33, v76, 0 op_sel:[0,1,0] op_sel_hi:[0,1,0]
	v_lshrrev_b32_e32 v10, 16, v2
	v_and_b32_e32 v2, 0xffff, v2
	v_lshrrev_b32_e32 v11, 16, v3
	v_and_b32_e32 v3, 0xffff, v3
	v_and_b32_e32 v1, 0xffff, v1
	v_fma_mixlo_f16 v14, v33, v90, 0 op_sel:[0,1,0] op_sel_hi:[0,1,0]
	s_delay_alu instid0(VALU_DEP_1) | instskip(SKIP_2) | instid1(VALU_DEP_1)
	v_and_b32_e32 v15, 0xffff, v14
	s_wait_loadcnt 0x0
	v_or_b32_e32 v0, v76, v0
	v_fma_mixlo_f16 v0, v33, v0, 0 op_sel_hi:[0,1,0]
	s_delay_alu instid0(VALU_DEP_1)
	v_and_b32_e32 v0, 0xffff, v0
	;;#ASMSTART
	v_cvt_f32_f16 v57, v0;
	;;#ASMEND
	;;#ASMSTART
	v_cvt_f32_f16 v56, v1;
	;;#ASMEND
	;; [unrolled: 3-line block ×4, first 2 shown]
	scratch_load_b32 v0, off, s32 offset:740 th:TH_LOAD_LU ; 4-byte Folded Reload
	v_fma_mixlo_f16 v1, v33, v93, 0 op_sel:[0,1,0] op_sel_hi:[0,1,0]
	s_delay_alu instid0(VALU_DEP_1) | instskip(SKIP_2) | instid1(VALU_DEP_1)
	v_and_b32_e32 v1, 0xffff, v1
	s_wait_loadcnt 0x0
	v_or_b32_e32 v0, v93, v0
	v_fma_mixlo_f16 v0, v33, v0, 0 op_sel_hi:[0,1,0]
	s_delay_alu instid0(VALU_DEP_1)
	v_and_b32_e32 v0, 0xffff, v0
	;;#ASMSTART
	v_cvt_f32_f16 v115, v0;
	;;#ASMEND
	;;#ASMSTART
	v_cvt_f32_f16 v114, v1;
	;;#ASMEND
	;; [unrolled: 3-line block ×4, first 2 shown]
	scratch_load_b32 v0, off, s32 offset:744 th:TH_LOAD_LU ; 4-byte Folded Reload
	v_fma_mixlo_f16 v1, v33, v91, 0 op_sel:[0,1,0] op_sel_hi:[0,1,0]
	s_delay_alu instid0(VALU_DEP_1) | instskip(SKIP_2) | instid1(VALU_DEP_1)
	v_and_b32_e32 v1, 0xffff, v1
	s_wait_loadcnt 0x0
	v_or_b32_e32 v0, v91, v0
	v_fma_mixlo_f16 v0, v33, v0, 0 op_sel_hi:[0,1,0]
	s_delay_alu instid0(VALU_DEP_1)
	v_and_b32_e32 v0, 0xffff, v0
	;;#ASMSTART
	v_cvt_f32_f16 v67, v0;
	;;#ASMEND
	;;#ASMSTART
	v_cvt_f32_f16 v66, v1;
	;;#ASMEND
	ds_load_b128 v[0:3], v25 offset:352
	s_wait_dscnt 0x0
	v_and_b32_e32 v10, 0xffff, v0
	v_lshrrev_b32_e32 v0, 16, v0
	;;#ASMSTART
	v_cvt_f32_f16 v10, v10;
	;;#ASMEND
	;;#ASMSTART
	v_cvt_f32_f16 v11, v0;
	;;#ASMEND
	scratch_load_b32 v0, off, s32 offset:748 th:TH_LOAD_LU ; 4-byte Folded Reload
	s_wait_loadcnt 0x0
	v_or_b32_e32 v0, v90, v0
	s_delay_alu instid0(VALU_DEP_1) | instskip(NEXT) | instid1(VALU_DEP_1)
	v_fma_mixlo_f16 v0, v33, v0, 0 op_sel_hi:[0,1,0]
	v_and_b32_e32 v0, 0xffff, v0
	;;#ASMSTART
	v_cvt_f32_f16 v14, v0;
	;;#ASMEND
	v_lshrrev_b32_e32 v0, 16, v1
	;;#ASMSTART
	v_cvt_f32_f16 v15, v15;
	;;#ASMEND
	v_and_b32_e32 v1, 0xffff, v1
	;;#ASMSTART
	v_cvt_f32_f16 v91, v1;
	;;#ASMEND
	;;#ASMSTART
	v_cvt_f32_f16 v90, v0;
	;;#ASMEND
	scratch_load_b32 v0, off, s32 offset:752 th:TH_LOAD_LU ; 4-byte Folded Reload
	v_pk_fma_f32 v[10:11], v[10:11], v[14:15], v[4:5]
	v_fma_mixlo_f16 v1, v33, v92, 0 op_sel:[0,1,0] op_sel_hi:[0,1,0]
	v_lshrrev_b32_e32 v4, 16, v2
	v_and_b32_e32 v2, 0xffff, v2
	v_lshrrev_b32_e32 v14, 16, v3
	v_and_b32_e32 v15, 0xffff, v3
	v_and_b32_e32 v1, 0xffff, v1
	s_wait_loadcnt 0x0
	v_or_b32_e32 v0, v92, v0
	s_delay_alu instid0(VALU_DEP_1) | instskip(NEXT) | instid1(VALU_DEP_1)
	v_fma_mixlo_f16 v0, v33, v0, 0 op_sel_hi:[0,1,0]
	v_and_b32_e32 v0, 0xffff, v0
	;;#ASMSTART
	v_cvt_f32_f16 v93, v0;
	;;#ASMEND
	;;#ASMSTART
	v_cvt_f32_f16 v92, v1;
	;;#ASMEND
	;; [unrolled: 3-line block ×4, first 2 shown]
	scratch_load_b32 v0, off, s32 offset:756 th:TH_LOAD_LU ; 4-byte Folded Reload
	v_fma_mixlo_f16 v1, v33, v63, 0 op_sel:[0,1,0] op_sel_hi:[0,1,0]
	s_delay_alu instid0(VALU_DEP_1) | instskip(SKIP_2) | instid1(VALU_DEP_1)
	v_and_b32_e32 v1, 0xffff, v1
	s_wait_loadcnt 0x0
	v_or_b32_e32 v0, v63, v0
	v_fma_mixlo_f16 v0, v33, v0, 0 op_sel_hi:[0,1,0]
	s_delay_alu instid0(VALU_DEP_1)
	v_and_b32_e32 v0, 0xffff, v0
	;;#ASMSTART
	v_cvt_f32_f16 v5, v0;
	;;#ASMEND
	;;#ASMSTART
	v_cvt_f32_f16 v4, v1;
	;;#ASMEND
	;; [unrolled: 3-line block ×4, first 2 shown]
	scratch_load_b32 v0, off, s32 offset:760 th:TH_LOAD_LU ; 4-byte Folded Reload
	v_fma_mixlo_f16 v1, v33, v107, 0 op_sel:[0,1,0] op_sel_hi:[0,1,0]
	v_fma_mixlo_f16 v15, v33, v109, 0 op_sel:[0,1,0] op_sel_hi:[0,1,0]
	s_delay_alu instid0(VALU_DEP_2) | instskip(NEXT) | instid1(VALU_DEP_2)
	v_and_b32_e32 v1, 0xffff, v1
	v_and_b32_e32 v15, 0xffff, v15
	s_wait_loadcnt 0x0
	v_or_b32_e32 v0, v107, v0
	s_delay_alu instid0(VALU_DEP_1) | instskip(NEXT) | instid1(VALU_DEP_1)
	v_fma_mixlo_f16 v0, v33, v0, 0 op_sel_hi:[0,1,0]
	v_and_b32_e32 v0, 0xffff, v0
	;;#ASMSTART
	v_cvt_f32_f16 v71, v0;
	;;#ASMEND
	;;#ASMSTART
	v_cvt_f32_f16 v70, v1;
	;;#ASMEND
	ds_load_b128 v[26:29], v25 offset:368
	s_wait_dscnt 0x0
	v_and_b32_e32 v0, 0xffff, v26
	v_lshrrev_b32_e32 v1, 16, v26
	;;#ASMSTART
	v_cvt_f32_f16 v0, v0;
	;;#ASMEND
	;;#ASMSTART
	v_cvt_f32_f16 v1, v1;
	;;#ASMEND
	scratch_load_b32 v14, off, s32 offset:764 th:TH_LOAD_LU ; 4-byte Folded Reload
	v_lshrrev_b32_e32 v21, 16, v29
	v_and_b32_e32 v24, 0xffff, v29
	s_wait_loadcnt 0x0
	v_or_b32_e32 v14, v109, v14
	s_delay_alu instid0(VALU_DEP_1) | instskip(NEXT) | instid1(VALU_DEP_1)
	v_fma_mixlo_f16 v14, v33, v14, 0 op_sel_hi:[0,1,0]
	v_and_b32_e32 v14, 0xffff, v14
	;;#ASMSTART
	v_cvt_f32_f16 v14, v14;
	;;#ASMEND
	;;#ASMSTART
	v_cvt_f32_f16 v15, v15;
	;;#ASMEND
	s_delay_alu instid0(VALU_DEP_1)
	v_pk_fma_f32 v[0:1], v[0:1], v[14:15], v[10:11]
	v_lshrrev_b32_e32 v10, 16, v27
	v_and_b32_e32 v11, 0xffff, v27
	;;#ASMSTART
	v_cvt_f32_f16 v109, v11;
	;;#ASMEND
	;;#ASMSTART
	v_cvt_f32_f16 v108, v10;
	;;#ASMEND
	scratch_load_b32 v10, off, s32 offset:768 th:TH_LOAD_LU ; 4-byte Folded Reload
	v_lshrrev_b32_e32 v14, 16, v28
	v_fma_mixlo_f16 v11, v33, v121, 0 op_sel:[0,1,0] op_sel_hi:[0,1,0]
	v_and_b32_e32 v15, 0xffff, v28
	s_delay_alu instid0(VALU_DEP_2) | instskip(SKIP_2) | instid1(VALU_DEP_1)
	v_and_b32_e32 v11, 0xffff, v11
	s_wait_loadcnt 0x0
	v_or_b32_e32 v10, v121, v10
	v_fma_mixlo_f16 v10, v33, v10, 0 op_sel_hi:[0,1,0]
	s_delay_alu instid0(VALU_DEP_1)
	v_and_b32_e32 v10, 0xffff, v10
	;;#ASMSTART
	v_cvt_f32_f16 v121, v10;
	;;#ASMEND
	;;#ASMSTART
	v_cvt_f32_f16 v120, v11;
	;;#ASMEND
	;;#ASMSTART
	v_cvt_f32_f16 v85, v15;
	;;#ASMEND
	;;#ASMSTART
	v_cvt_f32_f16 v84, v14;
	;;#ASMEND
	scratch_load_b32 v10, off, s32 offset:772 th:TH_LOAD_LU ; 4-byte Folded Reload
	v_fma_mixlo_f16 v11, v33, v83, 0 op_sel:[0,1,0] op_sel_hi:[0,1,0]
	v_or_b32_e32 v14, v101, v96
	v_fma_mixlo_f16 v15, v33, v101, 0 op_sel:[0,1,0] op_sel_hi:[0,1,0]
	s_delay_alu instid0(VALU_DEP_3) | instskip(NEXT) | instid1(VALU_DEP_3)
	v_and_b32_e32 v11, 0xffff, v11
	v_fma_mixlo_f16 v14, v33, v14, 0 op_sel_hi:[0,1,0]
	s_delay_alu instid0(VALU_DEP_3) | instskip(NEXT) | instid1(VALU_DEP_2)
	v_and_b32_e32 v15, 0xffff, v15
	v_and_b32_e32 v14, 0xffff, v14
	s_wait_loadcnt 0x0
	v_or_b32_e32 v10, v83, v10
	s_delay_alu instid0(VALU_DEP_1) | instskip(NEXT) | instid1(VALU_DEP_1)
	v_fma_mixlo_f16 v10, v33, v10, 0 op_sel_hi:[0,1,0]
	v_and_b32_e32 v10, 0xffff, v10
	;;#ASMSTART
	v_cvt_f32_f16 v87, v10;
	;;#ASMEND
	v_or_b32_e32 v10, v97, v82
	;;#ASMSTART
	v_cvt_f32_f16 v86, v11;
	;;#ASMEND
	v_fma_mixlo_f16 v11, v33, v97, 0 op_sel:[0,1,0] op_sel_hi:[0,1,0]
	;;#ASMSTART
	v_cvt_f32_f16 v81, v24;
	;;#ASMEND
	;;#ASMSTART
	v_cvt_f32_f16 v80, v21;
	;;#ASMEND
	v_fma_mixlo_f16 v10, v33, v10, 0 op_sel_hi:[0,1,0]
	s_delay_alu instid0(VALU_DEP_2) | instskip(NEXT) | instid1(VALU_DEP_2)
	v_and_b32_e32 v11, 0xffff, v11
	v_and_b32_e32 v10, 0xffff, v10
	;;#ASMSTART
	v_cvt_f32_f16 v83, v10;
	;;#ASMEND
	;;#ASMSTART
	v_cvt_f32_f16 v82, v11;
	;;#ASMEND
	ds_load_b128 v[26:29], v25 offset:384
	s_wait_dscnt 0x0
	v_and_b32_e32 v10, 0xffff, v26
	v_lshrrev_b32_e32 v11, 16, v26
	;;#ASMSTART
	v_cvt_f32_f16 v10, v10;
	;;#ASMEND
	;;#ASMSTART
	v_cvt_f32_f16 v11, v11;
	;;#ASMEND
	;; [unrolled: 3-line block ×4, first 2 shown]
	v_pk_fma_f32 v[0:1], v[10:11], v[14:15], v[0:1]
	v_lshrrev_b32_e32 v10, 16, v27
	v_and_b32_e32 v11, 0xffff, v27
	;;#ASMSTART
	v_cvt_f32_f16 v63, v11;
	;;#ASMEND
	;;#ASMSTART
	v_cvt_f32_f16 v62, v10;
	;;#ASMEND
	v_dual_lshrrev_b32 v14, 16, v28 :: v_dual_bitop2_b32 v10, v100, v103 bitop3:0x54
	s_delay_alu instid0(VALU_DEP_2) | instskip(SKIP_2) | instid1(VALU_DEP_4)
	v_fma_mixlo_f16 v11, v33, v100, 0 op_sel:[0,1,0] op_sel_hi:[0,1,0]
	v_and_b32_e32 v15, 0xffff, v28
	v_lshrrev_b32_e32 v21, 16, v29
	v_fma_mixlo_f16 v10, v33, v10, 0 op_sel_hi:[0,1,0]
	v_and_b32_e32 v24, 0xffff, v29
	v_and_b32_e32 v11, 0xffff, v11
	s_delay_alu instid0(VALU_DEP_3)
	v_and_b32_e32 v10, 0xffff, v10
	;;#ASMSTART
	v_cvt_f32_f16 v73, v10;
	;;#ASMEND
	v_or_b32_e32 v10, v102, v78
	;;#ASMSTART
	v_cvt_f32_f16 v72, v11;
	;;#ASMEND
	v_fma_mixlo_f16 v11, v33, v102, 0 op_sel:[0,1,0] op_sel_hi:[0,1,0]
	;;#ASMSTART
	v_cvt_f32_f16 v101, v15;
	;;#ASMEND
	;;#ASMSTART
	v_cvt_f32_f16 v100, v14;
	;;#ASMEND
	v_fma_mixlo_f16 v10, v33, v10, 0 op_sel_hi:[0,1,0]
	v_or_b32_e32 v14, v106, v88
	v_and_b32_e32 v11, 0xffff, v11
	v_fma_mixlo_f16 v15, v33, v106, 0 op_sel:[0,1,0] op_sel_hi:[0,1,0]
	s_delay_alu instid0(VALU_DEP_4)
	v_and_b32_e32 v10, 0xffff, v10
	;;#ASMSTART
	v_cvt_f32_f16 v103, v10;
	;;#ASMEND
	v_or_b32_e32 v10, v99, v98
	;;#ASMSTART
	v_cvt_f32_f16 v102, v11;
	;;#ASMEND
	v_fma_mixlo_f16 v11, v33, v99, 0 op_sel:[0,1,0] op_sel_hi:[0,1,0]
	;;#ASMSTART
	v_cvt_f32_f16 v97, v24;
	;;#ASMEND
	;;#ASMSTART
	v_cvt_f32_f16 v96, v21;
	;;#ASMEND
	v_fma_mixlo_f16 v10, v33, v10, 0 op_sel_hi:[0,1,0]
	v_fma_mixlo_f16 v14, v33, v14, 0 op_sel_hi:[0,1,0]
	v_and_b32_e32 v11, 0xffff, v11
	v_and_b32_e32 v15, 0xffff, v15
	s_delay_alu instid0(VALU_DEP_4)
	v_and_b32_e32 v10, 0xffff, v10
	;;#ASMSTART
	v_cvt_f32_f16 v99, v10;
	;;#ASMEND
	;;#ASMSTART
	v_cvt_f32_f16 v98, v11;
	;;#ASMEND
	ds_load_b128 v[26:29], v25 offset:400
	v_and_b32_e32 v14, 0xffff, v14
	s_wait_dscnt 0x0
	v_and_b32_e32 v10, 0xffff, v26
	v_lshrrev_b32_e32 v11, 16, v26
	;;#ASMSTART
	v_cvt_f32_f16 v10, v10;
	;;#ASMEND
	;;#ASMSTART
	v_cvt_f32_f16 v11, v11;
	;;#ASMEND
	;; [unrolled: 3-line block ×4, first 2 shown]
	v_pk_fma_f32 v[0:1], v[10:11], v[14:15], v[0:1]
	v_lshrrev_b32_e32 v14, 16, v27
	v_and_b32_e32 v15, 0xffff, v27
	;;#ASMSTART
	v_cvt_f32_f16 v79, v15;
	;;#ASMEND
	;;#ASMSTART
	v_cvt_f32_f16 v78, v14;
	;;#ASMEND
	v_or_b32_e32 v14, v122, v89
	v_pk_fma_f32 v[10:11], v[116:117], v[118:119], v[50:51]
	v_fma_mixlo_f16 v15, v33, v122, 0 op_sel:[0,1,0] op_sel_hi:[0,1,0]
	v_lshrrev_b32_e32 v21, 16, v28
	v_and_b32_e32 v24, 0xffff, v28
	v_fma_mixlo_f16 v14, v33, v14, 0 op_sel_hi:[0,1,0]
	v_lshrrev_b32_e32 v26, 16, v29
	v_and_b32_e32 v15, 0xffff, v15
	v_and_b32_e32 v27, 0xffff, v29
	v_pk_fma_f32 v[10:11], v[46:47], v[56:57], v[10:11]
	v_and_b32_e32 v14, 0xffff, v14
	;;#ASMSTART
	v_cvt_f32_f16 v89, v14;
	;;#ASMEND
	v_or_b32_e32 v14, v105, v41
	;;#ASMSTART
	v_cvt_f32_f16 v88, v15;
	;;#ASMEND
	v_fma_mixlo_f16 v15, v33, v105, 0 op_sel:[0,1,0] op_sel_hi:[0,1,0]
	;;#ASMSTART
	v_cvt_f32_f16 v119, v24;
	;;#ASMEND
	;;#ASMSTART
	v_cvt_f32_f16 v118, v21;
	;;#ASMEND
	v_fma_mixlo_f16 v14, v33, v14, 0 op_sel_hi:[0,1,0]
	v_or_b32_e32 v21, v77, v75
	v_and_b32_e32 v15, 0xffff, v15
	v_fma_mixlo_f16 v24, v33, v77, 0 op_sel:[0,1,0] op_sel_hi:[0,1,0]
	v_pk_fma_f32 v[10:11], v[90:91], v[92:93], v[10:11]
	v_and_b32_e32 v14, 0xffff, v14
	;;#ASMSTART
	v_cvt_f32_f16 v41, v14;
	;;#ASMEND
	;;#ASMSTART
	v_cvt_f32_f16 v40, v15;
	;;#ASMEND
	;; [unrolled: 3-line block ×4, first 2 shown]
	scratch_load_b32 v14, off, s32 offset:776 th:TH_LOAD_LU ; 4-byte Folded Reload
	v_fma_mixlo_f16 v15, v33, v94, 0 op_sel:[0,1,0] op_sel_hi:[0,1,0]
	v_fma_mixlo_f16 v21, v33, v21, 0 op_sel_hi:[0,1,0]
	v_and_b32_e32 v24, 0xffff, v24
	v_pk_fma_f32 v[10:11], v[108:109], v[120:121], v[10:11]
	s_delay_alu instid0(VALU_DEP_4) | instskip(NEXT) | instid1(VALU_DEP_4)
	v_and_b32_e32 v15, 0xffff, v15
	v_and_b32_e32 v21, 0xffff, v21
	s_wait_loadcnt 0x0
	v_or_b32_e32 v14, v94, v14
	s_delay_alu instid0(VALU_DEP_1) | instskip(NEXT) | instid1(VALU_DEP_1)
	v_fma_mixlo_f16 v14, v33, v14, 0 op_sel_hi:[0,1,0]
	v_and_b32_e32 v14, 0xffff, v14
	;;#ASMSTART
	v_cvt_f32_f16 v117, v14;
	;;#ASMEND
	;;#ASMSTART
	v_cvt_f32_f16 v116, v15;
	;;#ASMEND
	ds_load_b128 v[26:29], v25 offset:416
	s_wait_dscnt 0x0
	v_and_b32_e32 v14, 0xffff, v26
	v_lshrrev_b32_e32 v15, 16, v26
	;;#ASMSTART
	v_cvt_f32_f16 v14, v14;
	;;#ASMEND
	;;#ASMSTART
	v_cvt_f32_f16 v15, v15;
	;;#ASMEND
	;; [unrolled: 3-line block ×4, first 2 shown]
	v_pk_fma_f32 v[0:1], v[14:15], v[74:75], v[0:1]
	v_lshrrev_b32_e32 v14, 16, v27
	v_and_b32_e32 v15, 0xffff, v27
	;;#ASMSTART
	v_cvt_f32_f16 v75, v15;
	;;#ASMEND
	;;#ASMSTART
	v_cvt_f32_f16 v74, v14;
	;;#ASMEND
	v_dual_lshrrev_b32 v21, 16, v28 :: v_dual_bitop2_b32 v14, v58, v59 bitop3:0x54
	s_delay_alu instid0(VALU_DEP_2) | instskip(SKIP_2) | instid1(VALU_DEP_4)
	v_fma_mixlo_f16 v15, v33, v58, 0 op_sel:[0,1,0] op_sel_hi:[0,1,0]
	v_and_b32_e32 v24, 0xffff, v28
	v_lshrrev_b32_e32 v26, 16, v29
	v_fma_mixlo_f16 v14, v33, v14, 0 op_sel_hi:[0,1,0]
	v_and_b32_e32 v27, 0xffff, v29
	v_and_b32_e32 v15, 0xffff, v15
	s_delay_alu instid0(VALU_DEP_3)
	v_and_b32_e32 v14, 0xffff, v14
	;;#ASMSTART
	v_cvt_f32_f16 v77, v14;
	;;#ASMEND
	v_or_b32_e32 v14, v123, v61
	;;#ASMSTART
	v_cvt_f32_f16 v76, v15;
	;;#ASMEND
	v_fma_mixlo_f16 v15, v33, v123, 0 op_sel:[0,1,0] op_sel_hi:[0,1,0]
	;;#ASMSTART
	v_cvt_f32_f16 v59, v24;
	;;#ASMEND
	;;#ASMSTART
	v_cvt_f32_f16 v58, v21;
	;;#ASMEND
	v_fma_mixlo_f16 v14, v33, v14, 0 op_sel_hi:[0,1,0]
	v_fma_mixlo_f16 v24, v33, v95, 0 op_sel:[0,1,0] op_sel_hi:[0,1,0]
	v_and_b32_e32 v15, 0xffff, v15
	s_delay_alu instid0(VALU_DEP_3)
	v_and_b32_e32 v14, 0xffff, v14
	;;#ASMSTART
	v_cvt_f32_f16 v61, v14;
	;;#ASMEND
	;;#ASMSTART
	v_cvt_f32_f16 v60, v15;
	;;#ASMEND
	;; [unrolled: 3-line block ×4, first 2 shown]
	scratch_load_b32 v14, off, s32 offset:780 th:TH_LOAD_LU ; 4-byte Folded Reload
	v_fma_mixlo_f16 v15, v33, v111, 0 op_sel:[0,1,0] op_sel_hi:[0,1,0]
	v_and_b32_e32 v24, 0xffff, v24
	s_delay_alu instid0(VALU_DEP_2) | instskip(SKIP_2) | instid1(VALU_DEP_1)
	v_and_b32_e32 v15, 0xffff, v15
	s_wait_loadcnt 0x0
	v_or_b32_e32 v14, v111, v14
	v_fma_mixlo_f16 v14, v33, v14, 0 op_sel_hi:[0,1,0]
	s_delay_alu instid0(VALU_DEP_1)
	v_and_b32_e32 v14, 0xffff, v14
	;;#ASMSTART
	v_cvt_f32_f16 v57, v14;
	;;#ASMEND
	;;#ASMSTART
	v_cvt_f32_f16 v56, v15;
	;;#ASMEND
	ds_load_b128 v[26:29], v25 offset:432
	s_wait_dscnt 0x0
	v_and_b32_e32 v14, 0xffff, v26
	v_lshrrev_b32_e32 v15, 16, v26
	;;#ASMSTART
	v_cvt_f32_f16 v14, v14;
	;;#ASMEND
	;;#ASMSTART
	v_cvt_f32_f16 v15, v15;
	;;#ASMEND
	scratch_load_b32 v21, off, s32 offset:784 th:TH_LOAD_LU ; 4-byte Folded Reload
	v_lshrrev_b32_e32 v26, 16, v29
	s_wait_loadcnt 0x0
	v_or_b32_e32 v21, v95, v21
	s_delay_alu instid0(VALU_DEP_1) | instskip(NEXT) | instid1(VALU_DEP_1)
	v_fma_mixlo_f16 v21, v33, v21, 0 op_sel_hi:[0,1,0]
	v_and_b32_e32 v21, 0xffff, v21
	;;#ASMSTART
	v_cvt_f32_f16 v94, v21;
	;;#ASMEND
	;;#ASMSTART
	v_cvt_f32_f16 v95, v24;
	;;#ASMEND
	v_pk_fma_f32 v[0:1], v[14:15], v[94:95], v[0:1]
	v_lshrrev_b32_e32 v14, 16, v27
	v_and_b32_e32 v15, 0xffff, v27
	;;#ASMSTART
	v_cvt_f32_f16 v107, v15;
	;;#ASMEND
	;;#ASMSTART
	v_cvt_f32_f16 v106, v14;
	;;#ASMEND
	scratch_load_b32 v14, off, s32 offset:788 th:TH_LOAD_LU ; 4-byte Folded Reload
	v_lshrrev_b32_e32 v21, 16, v28
	v_fma_mixlo_f16 v15, v33, v110, 0 op_sel:[0,1,0] op_sel_hi:[0,1,0]
	v_and_b32_e32 v24, 0xffff, v28
	v_and_b32_e32 v27, 0xffff, v29
	s_delay_alu instid0(VALU_DEP_3) | instskip(SKIP_2) | instid1(VALU_DEP_1)
	v_and_b32_e32 v15, 0xffff, v15
	s_wait_loadcnt 0x0
	v_or_b32_e32 v14, v110, v14
	v_fma_mixlo_f16 v14, v33, v14, 0 op_sel_hi:[0,1,0]
	s_delay_alu instid0(VALU_DEP_1)
	v_and_b32_e32 v14, 0xffff, v14
	;;#ASMSTART
	v_cvt_f32_f16 v111, v14;
	;;#ASMEND
	;;#ASMSTART
	v_cvt_f32_f16 v110, v15;
	;;#ASMEND
	;; [unrolled: 3-line block ×4, first 2 shown]
	scratch_load_b32 v14, off, s32 offset:792 th:TH_LOAD_LU ; 4-byte Folded Reload
	v_fma_mixlo_f16 v15, v33, v104, 0 op_sel:[0,1,0] op_sel_hi:[0,1,0]
	s_delay_alu instid0(VALU_DEP_1) | instskip(SKIP_2) | instid1(VALU_DEP_1)
	v_and_b32_e32 v15, 0xffff, v15
	s_wait_loadcnt 0x0
	v_or_b32_e32 v14, v104, v14
	v_fma_mixlo_f16 v14, v33, v14, 0 op_sel_hi:[0,1,0]
	s_delay_alu instid0(VALU_DEP_1)
	v_and_b32_e32 v14, 0xffff, v14
	;;#ASMSTART
	v_cvt_f32_f16 v105, v14;
	;;#ASMEND
	;;#ASMSTART
	v_cvt_f32_f16 v104, v15;
	;;#ASMEND
	;; [unrolled: 3-line block ×4, first 2 shown]
	scratch_load_b32 v14, off, s32 offset:796 th:TH_LOAD_LU ; 4-byte Folded Reload
	s_wait_loadcnt 0x0
	v_or_b32_e32 v14, v13, v14
	v_fma_mixlo_f16 v13, v33, v13, 0 op_sel:[0,1,0] op_sel_hi:[0,1,0]
	s_delay_alu instid0(VALU_DEP_2) | instskip(NEXT) | instid1(VALU_DEP_2)
	v_fma_mixlo_f16 v14, v33, v14, 0 op_sel_hi:[0,1,0]
	v_and_b32_e32 v13, 0xffff, v13
	s_delay_alu instid0(VALU_DEP_2)
	v_and_b32_e32 v14, 0xffff, v14
	;;#ASMSTART
	v_cvt_f32_f16 v93, v14;
	;;#ASMEND
	;;#ASMSTART
	v_cvt_f32_f16 v92, v13;
	;;#ASMEND
	ds_load_b128 v[26:29], v25 offset:448
	s_wait_dscnt 0x0
	v_and_b32_e32 v13, 0xffff, v26
	v_lshrrev_b32_e32 v15, 16, v26
	;;#ASMSTART
	v_cvt_f32_f16 v14, v13;
	;;#ASMEND
	;;#ASMSTART
	v_cvt_f32_f16 v15, v15;
	;;#ASMEND
	scratch_load_b32 v13, off, s32 offset:800 th:TH_LOAD_LU ; 4-byte Folded Reload
	v_lshrrev_b32_e32 v21, 16, v28
	v_and_b32_e32 v24, 0xffff, v28
	v_lshrrev_b32_e32 v26, 16, v29
	s_wait_loadcnt 0x0
	v_or_b32_e32 v13, v20, v13
	v_fma_mixlo_f16 v20, v33, v20, 0 op_sel:[0,1,0] op_sel_hi:[0,1,0]
	s_delay_alu instid0(VALU_DEP_2) | instskip(NEXT) | instid1(VALU_DEP_2)
	v_fma_mixlo_f16 v13, v33, v13, 0 op_sel_hi:[0,1,0]
	v_and_b32_e32 v20, 0xffff, v20
	s_delay_alu instid0(VALU_DEP_2)
	v_and_b32_e32 v13, 0xffff, v13
	;;#ASMSTART
	v_cvt_f32_f16 v122, v13;
	;;#ASMEND
	v_lshrrev_b32_e32 v13, 16, v27
	;;#ASMSTART
	v_cvt_f32_f16 v123, v20;
	;;#ASMEND
	v_and_b32_e32 v20, 0xffff, v27
	;;#ASMSTART
	v_cvt_f32_f16 v121, v20;
	;;#ASMEND
	;;#ASMSTART
	v_cvt_f32_f16 v120, v13;
	;;#ASMEND
	scratch_load_b32 v13, off, s32 offset:804 th:TH_LOAD_LU ; 4-byte Folded Reload
	v_pk_fma_f32 v[0:1], v[14:15], v[122:123], v[0:1]
	v_fma_mixlo_f16 v20, v33, v35, 0 op_sel:[0,1,0] op_sel_hi:[0,1,0]
	v_pk_fma_f32 v[14:15], v[42:43], v[44:45], v[48:49]
	v_and_b32_e32 v27, 0xffff, v29
	s_delay_alu instid0(VALU_DEP_3) | instskip(NEXT) | instid1(VALU_DEP_3)
	v_and_b32_e32 v20, 0xffff, v20
	v_pk_fma_f32 v[14:15], v[112:113], v[114:115], v[14:15]
	s_wait_loadcnt 0x0
	v_or_b32_e32 v13, v35, v13
	s_delay_alu instid0(VALU_DEP_1) | instskip(NEXT) | instid1(VALU_DEP_1)
	v_fma_mixlo_f16 v13, v33, v13, 0 op_sel_hi:[0,1,0]
	v_and_b32_e32 v13, 0xffff, v13
	;;#ASMSTART
	v_cvt_f32_f16 v123, v13;
	;;#ASMEND
	;;#ASMSTART
	v_cvt_f32_f16 v122, v20;
	;;#ASMEND
	;; [unrolled: 3-line block ×4, first 2 shown]
	scratch_load_b32 v13, off, s32 offset:808 th:TH_LOAD_LU ; 4-byte Folded Reload
	v_fma_mixlo_f16 v24, v33, v37, 0 op_sel:[0,1,0] op_sel_hi:[0,1,0]
	s_wait_loadcnt 0x0
	v_or_b32_e32 v13, v8, v13
	v_fma_mixlo_f16 v8, v33, v8, 0 op_sel:[0,1,0] op_sel_hi:[0,1,0]
	s_delay_alu instid0(VALU_DEP_2) | instskip(NEXT) | instid1(VALU_DEP_2)
	v_fma_mixlo_f16 v13, v33, v13, 0 op_sel_hi:[0,1,0]
	v_and_b32_e32 v8, 0xffff, v8
	s_delay_alu instid0(VALU_DEP_2)
	v_and_b32_e32 v13, 0xffff, v13
	;;#ASMSTART
	v_cvt_f32_f16 v109, v13;
	;;#ASMEND
	;;#ASMSTART
	v_cvt_f32_f16 v108, v8;
	;;#ASMEND
	;; [unrolled: 3-line block ×4, first 2 shown]
	scratch_load_b32 v8, off, s32 offset:812 th:TH_LOAD_LU ; 4-byte Folded Reload
	v_fma_mixlo_f16 v13, v33, v124, 0 op_sel:[0,1,0] op_sel_hi:[0,1,0]
	s_delay_alu instid0(VALU_DEP_1) | instskip(SKIP_2) | instid1(VALU_DEP_1)
	v_and_b32_e32 v13, 0xffff, v13
	s_wait_loadcnt 0x0
	v_or_b32_e32 v8, v124, v8
	v_fma_mixlo_f16 v8, v33, v8, 0 op_sel_hi:[0,1,0]
	s_delay_alu instid0(VALU_DEP_1)
	v_and_b32_e32 v8, 0xffff, v8
	;;#ASMSTART
	v_cvt_f32_f16 v43, v8;
	;;#ASMEND
	;;#ASMSTART
	v_cvt_f32_f16 v42, v13;
	;;#ASMEND
	ds_load_b128 v[26:29], v25 offset:464
	s_wait_dscnt 0x0
	v_and_b32_e32 v8, 0xffff, v26
	v_lshrrev_b32_e32 v13, 16, v26
	;;#ASMSTART
	v_cvt_f32_f16 v30, v8;
	;;#ASMEND
	;;#ASMSTART
	v_cvt_f32_f16 v31, v13;
	;;#ASMEND
	scratch_load_b32 v8, off, s32 offset:816 th:TH_LOAD_LU ; 4-byte Folded Reload
	v_lshrrev_b32_e32 v20, 16, v29
	v_fma_mixlo_f16 v13, v33, v125, 0 op_sel:[0,1,0] op_sel_hi:[0,1,0]
	v_and_b32_e32 v21, 0xffff, v29
	s_delay_alu instid0(VALU_DEP_2) | instskip(SKIP_2) | instid1(VALU_DEP_1)
	v_and_b32_e32 v13, 0xffff, v13
	s_wait_loadcnt 0x0
	v_or_b32_e32 v8, v125, v8
	v_fma_mixlo_f16 v8, v33, v8, 0 op_sel_hi:[0,1,0]
	s_delay_alu instid0(VALU_DEP_1)
	v_and_b32_e32 v8, 0xffff, v8
	;;#ASMSTART
	v_cvt_f32_f16 v124, v8;
	;;#ASMEND
	;;#ASMSTART
	v_cvt_f32_f16 v125, v13;
	;;#ASMEND
	v_lshrrev_b32_e32 v8, 16, v27
	v_pk_fma_f32 v[0:1], v[30:31], v[124:125], v[0:1]
	v_pk_fma_f32 v[30:31], v[62:63], v[72:73], v[10:11]
	v_and_b32_e32 v10, 0xffff, v27
	;;#ASMSTART
	v_cvt_f32_f16 v125, v10;
	;;#ASMEND
	;;#ASMSTART
	v_cvt_f32_f16 v124, v8;
	;;#ASMEND
	v_dual_lshrrev_b32 v11, 16, v28 :: v_dual_bitop2_b32 v8, v127, v126 bitop3:0x54
	s_delay_alu instid0(VALU_DEP_2) | instskip(SKIP_2) | instid1(VALU_DEP_4)
	v_fma_mixlo_f16 v10, v33, v127, 0 op_sel:[0,1,0] op_sel_hi:[0,1,0]
	v_and_b32_e32 v13, 0xffff, v28
	v_pk_fma_f32 v[30:31], v[78:79], v[88:89], v[30:31]
	v_fma_mixlo_f16 v8, v33, v8, 0 op_sel_hi:[0,1,0]
	s_delay_alu instid0(VALU_DEP_4) | instskip(NEXT) | instid1(VALU_DEP_2)
	v_and_b32_e32 v10, 0xffff, v10
	v_and_b32_e32 v8, 0xffff, v8
	;;#ASMSTART
	v_cvt_f32_f16 v127, v8;
	;;#ASMEND
	;;#ASMSTART
	v_cvt_f32_f16 v126, v10;
	;;#ASMEND
	;; [unrolled: 3-line block ×4, first 2 shown]
	scratch_load_b32 v8, off, s32 offset:820 th:TH_LOAD_LU ; 4-byte Folded Reload
	v_fma_mixlo_f16 v10, v33, v12, 0 op_sel:[0,1,0] op_sel_hi:[0,1,0]
	s_delay_alu instid0(VALU_DEP_1) | instskip(SKIP_2) | instid1(VALU_DEP_1)
	v_and_b32_e32 v10, 0xffff, v10
	s_wait_loadcnt 0x0
	v_or_b32_e32 v8, v12, v8
	v_fma_mixlo_f16 v8, v33, v8, 0 op_sel_hi:[0,1,0]
	s_delay_alu instid0(VALU_DEP_1)
	v_and_b32_e32 v8, 0xffff, v8
	;;#ASMSTART
	v_cvt_f32_f16 v73, v8;
	;;#ASMEND
	;;#ASMSTART
	v_cvt_f32_f16 v72, v10;
	;;#ASMEND
	;; [unrolled: 3-line block ×4, first 2 shown]
	scratch_load_b32 v8, off, s32 offset:824 th:TH_LOAD_LU ; 4-byte Folded Reload
	v_pk_fma_f32 v[20:21], v[2:3], v[4:5], v[14:15]
	s_delay_alu instid0(VALU_DEP_1) | instskip(SKIP_3) | instid1(VALU_DEP_2)
	v_pk_fma_f32 v[20:21], v[84:85], v[86:87], v[20:21]
	s_wait_loadcnt 0x0
	v_or_b32_e32 v8, v9, v8
	v_fma_mixlo_f16 v9, v33, v9, 0 op_sel:[0,1,0] op_sel_hi:[0,1,0]
	v_fma_mixlo_f16 v8, v33, v8, 0 op_sel_hi:[0,1,0]
	s_delay_alu instid0(VALU_DEP_2) | instskip(NEXT) | instid1(VALU_DEP_2)
	v_and_b32_e32 v9, 0xffff, v9
	v_and_b32_e32 v8, 0xffff, v8
	;;#ASMSTART
	v_cvt_f32_f16 v115, v8;
	;;#ASMEND
	;;#ASMSTART
	v_cvt_f32_f16 v114, v9;
	;;#ASMEND
	ds_load_b128 v[8:11], v25 offset:480
	s_wait_dscnt 0x0
	v_and_b32_e32 v12, 0xffff, v8
	v_lshrrev_b32_e32 v8, 16, v8
	;;#ASMSTART
	v_cvt_f32_f16 v26, v12;
	;;#ASMEND
	;;#ASMSTART
	v_cvt_f32_f16 v27, v8;
	;;#ASMEND
	scratch_load_b32 v8, off, s32 offset:828 th:TH_LOAD_LU ; 4-byte Folded Reload
	v_lshrrev_b32_e32 v2, 16, v10
	v_and_b32_e32 v3, 0xffff, v10
	v_lshrrev_b32_e32 v4, 16, v11
	v_and_b32_e32 v5, 0xffff, v11
	s_wait_loadcnt 0x0
	v_or_b32_e32 v8, v7, v8
	v_fma_mixlo_f16 v7, v33, v7, 0 op_sel:[0,1,0] op_sel_hi:[0,1,0]
	s_delay_alu instid0(VALU_DEP_2) | instskip(NEXT) | instid1(VALU_DEP_2)
	v_fma_mixlo_f16 v8, v33, v8, 0 op_sel_hi:[0,1,0]
	v_and_b32_e32 v7, 0xffff, v7
	s_delay_alu instid0(VALU_DEP_2)
	v_and_b32_e32 v8, 0xffff, v8
	;;#ASMSTART
	v_cvt_f32_f16 v28, v8;
	;;#ASMEND
	;;#ASMSTART
	v_cvt_f32_f16 v29, v7;
	;;#ASMEND
	v_pk_fma_f32 v[12:13], v[26:27], v[28:29], v[0:1]
	v_lshrrev_b32_e32 v0, 16, v9
	v_and_b32_e32 v1, 0xffff, v9
	;;#ASMSTART
	v_cvt_f32_f16 v29, v1;
	;;#ASMEND
	;;#ASMSTART
	v_cvt_f32_f16 v28, v0;
	;;#ASMEND
	scratch_load_b32 v0, off, s32 offset:832 th:TH_LOAD_LU ; 4-byte Folded Reload
	v_fma_mixlo_f16 v1, v33, v16, 0 op_sel:[0,1,0] op_sel_hi:[0,1,0]
	s_delay_alu instid0(VALU_DEP_1) | instskip(SKIP_2) | instid1(VALU_DEP_1)
	v_and_b32_e32 v1, 0xffff, v1
	s_wait_loadcnt 0x0
	v_or_b32_e32 v0, v16, v0
	v_fma_mixlo_f16 v0, v33, v0, 0 op_sel_hi:[0,1,0]
	s_delay_alu instid0(VALU_DEP_1)
	v_and_b32_e32 v0, 0xffff, v0
	;;#ASMSTART
	v_cvt_f32_f16 v27, v0;
	;;#ASMEND
	;;#ASMSTART
	v_cvt_f32_f16 v26, v1;
	;;#ASMEND
	;; [unrolled: 3-line block ×4, first 2 shown]
	scratch_load_b32 v0, off, s32 offset:836 th:TH_LOAD_LU ; 4-byte Folded Reload
	v_fma_mixlo_f16 v1, v33, v36, 0 op_sel:[0,1,0] op_sel_hi:[0,1,0]
	v_fma_mixlo_f16 v3, v33, v34, 0 op_sel:[0,1,0] op_sel_hi:[0,1,0]
	s_delay_alu instid0(VALU_DEP_2) | instskip(NEXT) | instid1(VALU_DEP_2)
	v_and_b32_e32 v2, 0xffff, v1
	v_and_b32_e32 v3, 0xffff, v3
	s_wait_loadcnt 0x0
	v_or_b32_e32 v0, v36, v0
	s_delay_alu instid0(VALU_DEP_1) | instskip(NEXT) | instid1(VALU_DEP_1)
	v_fma_mixlo_f16 v0, v33, v0, 0 op_sel_hi:[0,1,0]
	v_and_b32_e32 v0, 0xffff, v0
	;;#ASMSTART
	v_cvt_f32_f16 v1, v0;
	;;#ASMEND
	;;#ASMSTART
	v_cvt_f32_f16 v0, v2;
	;;#ASMEND
	;; [unrolled: 3-line block ×4, first 2 shown]
	scratch_load_b32 v2, off, s32 offset:840 th:TH_LOAD_LU ; 4-byte Folded Reload
	s_wait_loadcnt 0x0
	v_or_b32_e32 v2, v34, v2
	s_delay_alu instid0(VALU_DEP_1) | instskip(NEXT) | instid1(VALU_DEP_1)
	v_fma_mixlo_f16 v2, v33, v2, 0 op_sel_hi:[0,1,0]
	v_and_b32_e32 v2, 0xffff, v2
	;;#ASMSTART
	v_cvt_f32_f16 v15, v2;
	;;#ASMEND
	;;#ASMSTART
	v_cvt_f32_f16 v14, v3;
	;;#ASMEND
	ds_load_b128 v[2:5], v25 offset:496
	s_wait_dscnt 0x0
	v_and_b32_e32 v7, 0xffff, v2
	v_lshrrev_b32_e32 v2, 16, v2
	;;#ASMSTART
	v_cvt_f32_f16 v8, v7;
	;;#ASMEND
	;;#ASMSTART
	v_cvt_f32_f16 v9, v2;
	;;#ASMEND
	scratch_load_b32 v2, off, s32 offset:888 th:TH_LOAD_LU ; 4-byte Folded Reload
	v_fma_mixlo_f16 v7, v33, v19, 0 op_sel:[0,1,0] op_sel_hi:[0,1,0]
	v_lshrrev_b32_e32 v34, 16, v3
	s_delay_alu instid0(VALU_DEP_2) | instskip(SKIP_2) | instid1(VALU_DEP_1)
	v_and_b32_e32 v7, 0xffff, v7
	s_wait_loadcnt 0x0
	v_or_b32_e32 v2, v19, v2
	v_fma_mixlo_f16 v2, v33, v2, 0 op_sel_hi:[0,1,0]
	s_delay_alu instid0(VALU_DEP_1)
	v_and_b32_e32 v2, 0xffff, v2
	;;#ASMSTART
	v_cvt_f32_f16 v10, v2;
	;;#ASMEND
	;;#ASMSTART
	v_cvt_f32_f16 v11, v7;
	;;#ASMEND
	s_clause 0x1
	scratch_load_b32 v2, off, s32 offset:920
	scratch_load_b32 v7, off, s32 offset:844 th:TH_LOAD_LU
	v_pk_fma_f32 v[10:11], v[8:9], v[10:11], v[12:13]
	v_pk_fma_f32 v[8:9], v[52:53], v[54:55], v[38:39]
	;; [unrolled: 1-line block ×3, first 2 shown]
	s_wait_loadcnt 0x1
	v_add_nc_u32_e32 v2, v2, v32
	s_delay_alu instid0(VALU_DEP_1)
	v_cvt_f32_i32_e32 v19, v2
	scratch_load_b32 v2, off, s32 offset:848 th:TH_LOAD_LU ; 4-byte Folded Reload
	s_wait_loadcnt 0x1
	v_or_b32_e32 v7, v17, v7
	v_or_b32_e32 v16, v6, v18
	v_fma_mixlo_f16 v17, v33, v17, 0 op_sel:[0,1,0] op_sel_hi:[0,1,0]
	s_delay_alu instid0(VALU_DEP_3) | instskip(NEXT) | instid1(VALU_DEP_3)
	v_fma_mixlo_f16 v18, v33, v7, 0 op_sel_hi:[0,1,0]
	v_fma_mixlo_f16 v31, v33, v16, 0 op_sel_hi:[0,1,0]
	v_and_b32_e32 v16, 0xffff, v3
	s_wait_loadcnt 0x0
	v_or_b32_e32 v2, v37, v2
	s_delay_alu instid0(VALU_DEP_1)
	v_fma_mixlo_f16 v30, v33, v2, 0 op_sel_hi:[0,1,0]
	v_fma_mixlo_f16 v33, v33, v6, 0 op_sel:[0,1,0] op_sel_hi:[0,1,0]
	v_pk_fma_f32 v[6:7], v[64:65], v[66:67], v[8:9]
	v_pk_fma_f32 v[8:9], v[100:101], v[102:103], v[20:21]
	;; [unrolled: 1-line block ×3, first 2 shown]
	;;#ASMSTART
	v_cvt_f32_f16 v13, v16;
	;;#ASMEND
	v_and_b32_e32 v16, 0xffff, v18
	v_pk_fma_f32 v[6:7], v[68:69], v[70:71], v[6:7]
	v_pk_fma_f32 v[8:9], v[118:119], v[40:41], v[8:9]
	;; [unrolled: 1-line block ×3, first 2 shown]
	v_and_b32_e32 v18, 0xffff, v17
	;;#ASMSTART
	v_cvt_f32_f16 v12, v34;
	;;#ASMEND
	v_pk_fma_f32 v[6:7], v[80:81], v[82:83], v[6:7]
	v_pk_fma_f32 v[8:9], v[58:59], v[60:61], v[8:9]
	;; [unrolled: 1-line block ×3, first 2 shown]
	;;#ASMSTART
	v_cvt_f32_f16 v17, v16;
	;;#ASMEND
	;;#ASMSTART
	v_cvt_f32_f16 v16, v18;
	;;#ASMEND
	v_pk_fma_f32 v[6:7], v[96:97], v[98:99], v[6:7]
	v_pk_fma_f32 v[8:9], v[94:95], v[104:105], v[8:9]
	;; [unrolled: 1-line block ×3, first 2 shown]
	v_and_b32_e32 v18, 0xffff, v4
	v_lshrrev_b32_e32 v4, 16, v4
	v_pk_fma_f32 v[6:7], v[50:51], v[116:117], v[6:7]
	v_pk_fma_f32 v[8:9], v[44:45], v[108:109], v[8:9]
	;; [unrolled: 1-line block ×3, first 2 shown]
	;;#ASMSTART
	v_cvt_f32_f16 v13, v18;
	;;#ASMEND
	;;#ASMSTART
	v_cvt_f32_f16 v12, v4;
	;;#ASMEND
	v_pk_fma_f32 v[6:7], v[46:47], v[56:57], v[6:7]
	v_pk_fma_f32 v[8:9], v[62:63], v[72:73], v[8:9]
	v_add_f32_e32 v4, v10, v11
	v_and_b32_e32 v16, 0xffff, v30
	v_and_b32_e32 v17, 0xffff, v24
	v_pk_fma_f32 v[6:7], v[90:91], v[92:93], v[6:7]
	v_pk_fma_f32 v[0:1], v[88:89], v[0:1], v[8:9]
	v_add_f32_e32 v3, v4, v3
	;;#ASMSTART
	v_cvt_f32_f16 v11, v16;
	;;#ASMEND
	;;#ASMSTART
	v_cvt_f32_f16 v10, v17;
	;;#ASMEND
	v_pk_fma_f32 v[6:7], v[48:49], v[42:43], v[6:7]
	v_and_b32_e32 v8, 0xffff, v5
	v_pk_fma_f32 v[0:1], v[12:13], v[10:11], v[0:1]
	v_dual_add_f32 v2, v2, v3 :: v_dual_lshrrev_b32 v9, 16, v5
	s_delay_alu instid0(VALU_DEP_4)
	v_pk_fma_f32 v[4:5], v[112:113], v[114:115], v[6:7]
	;;#ASMSTART
	v_cvt_f32_f16 v3, v8;
	;;#ASMEND
	v_and_b32_e32 v6, 0xffff, v31
	v_and_b32_e32 v8, 0xffff, v33
	v_add_f32_e32 v1, v2, v1
	v_pk_fma_f32 v[4:5], v[78:79], v[14:15], v[4:5]
	;;#ASMSTART
	v_cvt_f32_f16 v2, v9;
	;;#ASMEND
	;;#ASMSTART
	v_cvt_f32_f16 v7, v6;
	;;#ASMEND
	;; [unrolled: 3-line block ×3, first 2 shown]
	v_add_f32_e32 v0, v0, v1
	v_pk_fma_f32 v[2:3], v[2:3], v[6:7], v[4:5]
	s_clause 0x3
	scratch_load_b32 v1, off, s32 offset:896
	scratch_load_b32 v21, off, s32 offset:880 th:TH_LOAD_LU
	scratch_load_b32 v11, off, s32 offset:884
	scratch_load_b64 v[4:5], off, s32 offset:852
	v_add_f32_e32 v0, v0, v3
	scratch_load_b32 v3, off, s32 offset:908 ; 4-byte Folded Reload
	v_add_f32_e32 v0, v2, v0
	scratch_load_b32 v2, off, s32 offset:892 ; 4-byte Folded Reload
	s_wait_loadcnt 0x5
	v_mul_f32_e32 v1, v1, v19
	s_wait_loadcnt 0x0
	s_delay_alu instid0(VALU_DEP_1) | instskip(NEXT) | instid1(VALU_DEP_1)
	v_dual_cndmask_b32 v1, 0, v1 :: v_dual_add_nc_u32 v2, v2, v32
	v_cmp_lt_i32_e64 s1, v2, v4
	s_wait_kmcnt 0x0
	s_delay_alu instid0(VALU_DEP_2) | instskip(SKIP_1) | instid1(VALU_DEP_1)
	v_dual_fmac_f32 v1, v3, v0 :: v_dual_add_nc_u32 v2, s8, v11
	v_max_num_f32_e32 v0, v21, v21
	v_dual_max_num_f32 v0, v0, v1 :: v_dual_cndmask_b32 v1, 0, v1, s1
	s_delay_alu instid0(VALU_DEP_1)
	v_cndmask_b32_e64 v21, v21, v0, s1
	ds_store_b32 v2, v1
.LBB287_14:                             ;   in Loop: Header=BB287_15 Depth=1
	s_wait_xcnt 0x0
	s_or_b32 exec_lo, exec_lo, s2
	s_clause 0x1
	scratch_load_b32 v5, off, s32 offset:228
	scratch_load_b32 v0, off, s32 offset:192
	v_add_nc_u32_e32 v32, 0x80, v32
	v_add_nc_u32_e32 v11, 0x200, v11
	s_wait_loadcnt 0x1
	v_add_nc_u32_e32 v5, 4, v5
	s_wait_loadcnt 0x0
	s_delay_alu instid0(VALU_DEP_1)
	v_cmp_ge_i32_e64 s1, v5, v0
	scratch_load_b64 v[0:1], off, s32 offset:196 ; 8-byte Folded Reload
	s_or_b32 s7, s1, s7
	s_wait_loadcnt 0x0
	v_add_nc_u64_e32 v[0:1], 16, v[0:1]
	scratch_store_b64 off, v[0:1], s32 offset:196 ; 8-byte Folded Spill
	s_wait_xcnt 0x0
	s_and_not1_b32 exec_lo, exec_lo, s7
	s_cbranch_execz .LBB287_2063
.LBB287_15:                             ; =>This Inner Loop Header: Depth=1
	s_clause 0x1
	scratch_load_b64 v[0:1], off, s32 offset:208
	scratch_load_b32 v4, off, s32 offset:204
	v_mov_b32_e32 v33, v25
	scratch_store_b32 off, v5, s32 offset:228 ; 4-byte Folded Spill
	s_wait_loadcnt 0x1
	v_mul_u64_e32 v[0:1], v[32:33], v[0:1]
	s_wait_loadcnt 0x0
	s_delay_alu instid0(VALU_DEP_1) | instskip(NEXT) | instid1(VALU_DEP_1)
	v_mul_lo_u32 v0, v1, v4
	v_dual_sub_nc_u32 v0, v32, v0 :: v_dual_add_nc_u32 v2, 1, v1
	s_delay_alu instid0(VALU_DEP_1) | instskip(SKIP_1) | instid1(VALU_DEP_1)
	v_sub_nc_u32_e32 v3, v0, v4
	v_cmp_ge_u32_e64 s1, v0, v4
	v_dual_cndmask_b32 v1, v1, v2, s1 :: v_dual_cndmask_b32 v0, v0, v3, s1
	s_delay_alu instid0(VALU_DEP_1) | instskip(NEXT) | instid1(VALU_DEP_2)
	v_add_nc_u32_e32 v2, 1, v1
	v_cmp_ge_u32_e64 s1, v0, v4
	scratch_load_b32 v4, off, s32 offset:868 ; 4-byte Folded Reload
	v_cndmask_b32_e64 v0, v1, v2, s1
	scratch_load_b32 v1, off, s32 offset:216 ; 4-byte Folded Reload
	s_wait_loadcnt 0x0
	v_xor_b32_e32 v0, v0, v1
	s_delay_alu instid0(VALU_DEP_1) | instskip(SKIP_3) | instid1(VALU_DEP_1)
	v_sub_nc_u32_e32 v2, v0, v1
	scratch_load_b32 v0, off, s32 offset:220 ; 4-byte Folded Reload
	s_wait_loadcnt 0x0
	v_add_nc_u32_e32 v3, v2, v0
	v_sub_nc_u32_e32 v0, 0, v3
	s_delay_alu instid0(VALU_DEP_1) | instskip(SKIP_3) | instid1(VALU_DEP_1)
	v_max_i32_e32 v24, v3, v0
	scratch_load_b64 v[0:1], off, s32 offset:872 ; 8-byte Folded Reload
	s_wait_loadcnt 0x0
	v_mul_u64_e32 v[0:1], v[24:25], v[0:1]
	v_mul_lo_u32 v0, v1, v4
	s_delay_alu instid0(VALU_DEP_1) | instskip(NEXT) | instid1(VALU_DEP_1)
	v_dual_sub_nc_u32 v0, v24, v0 :: v_dual_ashrrev_i32 v3, 31, v3
	v_sub_nc_u32_e32 v1, v0, v4
	v_cmp_ge_u32_e64 s1, v0, v4
	s_delay_alu instid0(VALU_DEP_1) | instskip(NEXT) | instid1(VALU_DEP_1)
	v_cndmask_b32_e64 v0, v0, v1, s1
	v_sub_nc_u32_e32 v1, v0, v4
	v_cmp_ge_u32_e64 s1, v0, v4
	s_delay_alu instid0(VALU_DEP_1) | instskip(NEXT) | instid1(VALU_DEP_1)
	v_cndmask_b32_e64 v0, v0, v1, s1
	v_xor_b32_e32 v0, v0, v3
	s_delay_alu instid0(VALU_DEP_1) | instskip(NEXT) | instid1(VALU_DEP_1)
	v_sub_nc_u32_e32 v0, v0, v3
	v_cmp_ne_u32_e64 s1, 0, v0
	scratch_load_b32 v0, off, s32 offset:224 ; 4-byte Folded Reload
	s_wait_loadcnt 0x0
	v_cmp_le_i32_e64 s2, v2, v0
	s_and_b32 s1, s1, s2
	s_wait_xcnt 0x0
	s_and_saveexec_b32 s2, s1
	s_delay_alu instid0(SALU_CYCLE_1)
	s_xor_b32 s1, exec_lo, s2
	s_cbranch_execz .LBB287_17
; %bb.16:                               ;   in Loop: Header=BB287_15 Depth=1
	s_wait_kmcnt 0x0
	v_dual_mov_b32 v1, 0xff7fffff :: v_dual_add_nc_u32 v0, s6, v11
	ds_store_b32 v0, v1
.LBB287_17:                             ;   in Loop: Header=BB287_15 Depth=1
	s_and_not1_saveexec_b32 s2, s1
	s_cbranch_execz .LBB287_14
; %bb.18:                               ;   in Loop: Header=BB287_15 Depth=1
	scratch_load_b64 v[0:1], off, s32 offset:196 ; 8-byte Folded Reload
	s_mov_b32 s8, exec_lo
	s_wait_loadcnt 0x0
	flat_load_b32 v0, v[0:1]
	s_clause 0x1
	scratch_load_b64 v[2:3], off, s32 offset:860
	scratch_load_b64 v[4:5], off, s32 offset:912
	v_mov_b32_e32 v38, 0
	s_wait_loadcnt_dscnt 0x0
	v_mad_nc_i64_i32 v[2:3], v0, v2, v[4:5]
	flat_load_b64 v[4:5], v[2:3]
	scratch_load_b64 v[0:1], off, s32 offset:900 ; 8-byte Folded Reload
	s_wait_loadcnt 0x0
	flat_load_b32 v33, v[0:1]
	s_wait_dscnt 0x1
	s_wait_xcnt 0x0
	v_and_b32_e32 v0, 0xff, v4
	v_mov_b32_e32 v1, 0
	s_delay_alu instid0(VALU_DEP_2)
	v_cmpx_ne_u16_e32 0, v0
	s_cbranch_execz .LBB287_26
; %bb.19:                               ;   in Loop: Header=BB287_15 Depth=1
	v_mov_b32_e32 v38, 0x8000
	s_mov_b32 s11, exec_lo
	v_cmpx_ne_u16_e32 0x80, v0
	s_cbranch_execz .LBB287_25
; %bb.20:                               ;   in Loop: Header=BB287_15 Depth=1
	v_and_b32_e32 v7, 0x7f, v4
	v_mov_b32_e32 v38, 0x7c01
	s_mov_b32 s14, exec_lo
	s_delay_alu instid0(VALU_DEP_2)
	v_cmpx_ne_u32_e32 0x7f, v7
	s_cbranch_execz .LBB287_24
; %bb.21:                               ;   in Loop: Header=BB287_15 Depth=1
	v_dual_lshrrev_b32 v6, 3, v7 :: v_dual_bitop2_b32 v0, 7, v4 bitop3:0x40
	s_mov_b32 s15, exec_lo
	v_cmpx_gt_u32_e32 8, v7
; %bb.22:                               ;   in Loop: Header=BB287_15 Depth=1
	s_delay_alu instid0(VALU_DEP_2) | instskip(NEXT) | instid1(VALU_DEP_1)
	v_clz_i32_u32_e32 v0, v0
	v_min_u32_e32 v0, 32, v0
	s_delay_alu instid0(VALU_DEP_1) | instskip(NEXT) | instid1(VALU_DEP_1)
	v_subrev_nc_u32_e32 v6, 28, v0
	v_lshlrev_b64_e32 v[8:9], v6, v[4:5]
	v_sub_nc_u32_e32 v6, 29, v0
	s_delay_alu instid0(VALU_DEP_2)
	v_and_b32_e32 v0, 7, v8
; %bb.23:                               ;   in Loop: Header=BB287_15 Depth=1
	s_or_b32 exec_lo, exec_lo, s15
	v_lshlrev_b32_e32 v7, 8, v4
	s_delay_alu instid0(VALU_DEP_3) | instskip(NEXT) | instid1(VALU_DEP_3)
	v_lshl_add_u32 v6, v6, 10, 0x2000
	v_lshlrev_b32_e32 v0, 7, v0
	s_delay_alu instid0(VALU_DEP_3) | instskip(NEXT) | instid1(VALU_DEP_3)
	v_and_b32_e32 v7, 0x8000, v7
	v_and_b32_e32 v6, 0xfc00, v6
	s_delay_alu instid0(VALU_DEP_1)
	v_or3_b32 v38, v7, v6, v0
.LBB287_24:                             ;   in Loop: Header=BB287_15 Depth=1
	s_or_b32 exec_lo, exec_lo, s14
.LBB287_25:                             ;   in Loop: Header=BB287_15 Depth=1
	s_delay_alu instid0(SALU_CYCLE_1)
	s_or_b32 exec_lo, exec_lo, s11
.LBB287_26:                             ;   in Loop: Header=BB287_15 Depth=1
	s_delay_alu instid0(SALU_CYCLE_1) | instskip(SKIP_2) | instid1(VALU_DEP_1)
	s_or_b32 exec_lo, exec_lo, s8
	v_lshrrev_b16 v24, 8, v4
	s_mov_b32 s8, exec_lo
	v_cmpx_ne_u16_e32 0, v24
	s_cbranch_execz .LBB287_34
; %bb.27:                               ;   in Loop: Header=BB287_15 Depth=1
	v_bfrev_b32_e32 v1, 1
	s_mov_b32 s11, exec_lo
	v_cmpx_ne_u16_e32 0x80, v24
	s_cbranch_execz .LBB287_33
; %bb.28:                               ;   in Loop: Header=BB287_15 Depth=1
	v_and_b32_e32 v0, 0xffff, v24
	v_mov_b32_e32 v1, 0x7c010000
	s_mov_b32 s14, exec_lo
	s_delay_alu instid0(VALU_DEP_2) | instskip(NEXT) | instid1(VALU_DEP_1)
	v_and_b32_e32 v7, 0x7f, v0
	v_cmpx_ne_u32_e32 0x7f, v7
	s_cbranch_execz .LBB287_32
; %bb.29:                               ;   in Loop: Header=BB287_15 Depth=1
	v_dual_lshrrev_b32 v6, 3, v7 :: v_dual_bitop2_b32 v1, 7, v0 bitop3:0x40
	s_mov_b32 s15, exec_lo
	v_cmpx_gt_u32_e32 8, v7
; %bb.30:                               ;   in Loop: Header=BB287_15 Depth=1
	s_delay_alu instid0(VALU_DEP_2) | instskip(NEXT) | instid1(VALU_DEP_1)
	v_clz_i32_u32_e32 v1, v1
	v_min_u32_e32 v1, 32, v1
	s_delay_alu instid0(VALU_DEP_1) | instskip(NEXT) | instid1(VALU_DEP_1)
	v_subrev_nc_u32_e32 v6, 28, v1
	v_lshlrev_b64_e32 v[8:9], v6, v[24:25]
	s_delay_alu instid0(VALU_DEP_1)
	v_dual_sub_nc_u32 v6, 29, v1 :: v_dual_bitop2_b32 v1, 7, v8 bitop3:0x40
; %bb.31:                               ;   in Loop: Header=BB287_15 Depth=1
	s_or_b32 exec_lo, exec_lo, s15
	s_delay_alu instid0(VALU_DEP_1) | instskip(NEXT) | instid1(VALU_DEP_2)
	v_dual_lshlrev_b32 v0, 8, v0 :: v_dual_lshlrev_b32 v1, 23, v1
	v_lshl_add_u32 v6, v6, 10, 0x2000
	s_delay_alu instid0(VALU_DEP_1) | instskip(NEXT) | instid1(VALU_DEP_1)
	v_and_or_b32 v0, 0x8000, v0, v6
	v_lshl_or_b32 v1, v0, 16, v1
.LBB287_32:                             ;   in Loop: Header=BB287_15 Depth=1
	s_or_b32 exec_lo, exec_lo, s14
.LBB287_33:                             ;   in Loop: Header=BB287_15 Depth=1
	s_delay_alu instid0(SALU_CYCLE_1)
	s_or_b32 exec_lo, exec_lo, s11
.LBB287_34:                             ;   in Loop: Header=BB287_15 Depth=1
	s_delay_alu instid0(SALU_CYCLE_1) | instskip(SKIP_3) | instid1(VALU_DEP_2)
	s_or_b32 exec_lo, exec_lo, s8
	v_dual_mov_b32 v51, 0 :: v_dual_lshrrev_b32 v0, 16, v4
	v_mov_b32_e32 v50, 0
	s_mov_b32 s8, exec_lo
	v_and_b32_e32 v6, 0xff, v0
	s_delay_alu instid0(VALU_DEP_1)
	v_cmpx_ne_u16_e32 0, v6
	s_cbranch_execz .LBB287_42
; %bb.35:                               ;   in Loop: Header=BB287_15 Depth=1
	v_mov_b32_e32 v50, 0x8000
	s_mov_b32 s11, exec_lo
	v_cmpx_ne_u16_e32 0x80, v6
	s_cbranch_execz .LBB287_41
; %bb.36:                               ;   in Loop: Header=BB287_15 Depth=1
	v_bfe_u32 v8, v4, 16, 7
	v_mov_b32_e32 v50, 0x7c01
	s_mov_b32 s14, exec_lo
	s_delay_alu instid0(VALU_DEP_2)
	v_cmpx_ne_u32_e32 0x7f, v8
	s_cbranch_execz .LBB287_40
; %bb.37:                               ;   in Loop: Header=BB287_15 Depth=1
	v_and_b32_e32 v6, 7, v0
	v_lshrrev_b32_e32 v7, 3, v8
	s_mov_b32 s15, exec_lo
	v_cmpx_gt_u32_e32 8, v8
; %bb.38:                               ;   in Loop: Header=BB287_15 Depth=1
	s_delay_alu instid0(VALU_DEP_3) | instskip(NEXT) | instid1(VALU_DEP_1)
	v_clz_i32_u32_e32 v6, v6
	v_min_u32_e32 v8, 32, v6
	s_delay_alu instid0(VALU_DEP_1) | instskip(NEXT) | instid1(VALU_DEP_1)
	v_subrev_nc_u32_e32 v6, 28, v8
	v_lshlrev_b64_e32 v[6:7], v6, v[0:1]
	s_delay_alu instid0(VALU_DEP_1)
	v_dual_sub_nc_u32 v7, 29, v8 :: v_dual_bitop2_b32 v6, 7, v6 bitop3:0x40
; %bb.39:                               ;   in Loop: Header=BB287_15 Depth=1
	s_or_b32 exec_lo, exec_lo, s15
	s_delay_alu instid0(VALU_DEP_1) | instskip(NEXT) | instid1(VALU_DEP_2)
	v_dual_lshlrev_b32 v0, 8, v0 :: v_dual_lshlrev_b32 v6, 7, v6
	v_lshl_add_u32 v7, v7, 10, 0x2000
	s_delay_alu instid0(VALU_DEP_2) | instskip(NEXT) | instid1(VALU_DEP_2)
	v_and_b32_e32 v0, 0x8000, v0
	v_and_b32_e32 v7, 0xfc00, v7
	s_delay_alu instid0(VALU_DEP_1)
	v_or3_b32 v50, v0, v7, v6
.LBB287_40:                             ;   in Loop: Header=BB287_15 Depth=1
	s_or_b32 exec_lo, exec_lo, s14
.LBB287_41:                             ;   in Loop: Header=BB287_15 Depth=1
	s_delay_alu instid0(SALU_CYCLE_1)
	s_or_b32 exec_lo, exec_lo, s11
.LBB287_42:                             ;   in Loop: Header=BB287_15 Depth=1
	s_delay_alu instid0(SALU_CYCLE_1) | instskip(NEXT) | instid1(SALU_CYCLE_1)
	s_or_b32 exec_lo, exec_lo, s8
	s_mov_b32 s8, exec_lo
	v_cmpx_lt_u32_e32 0xffffff, v4
	s_cbranch_execz .LBB287_50
; %bb.43:                               ;   in Loop: Header=BB287_15 Depth=1
	v_lshrrev_b32_e32 v24, 24, v4
	v_bfrev_b32_e32 v51, 1
	s_mov_b32 s11, exec_lo
	s_delay_alu instid0(VALU_DEP_2)
	v_cmpx_ne_u32_e32 0x80, v24
	s_cbranch_execz .LBB287_49
; %bb.44:                               ;   in Loop: Header=BB287_15 Depth=1
	v_and_b32_e32 v7, 0x7f, v24
	v_mov_b32_e32 v51, 0x7c010000
	s_mov_b32 s14, exec_lo
	s_delay_alu instid0(VALU_DEP_2)
	v_cmpx_ne_u32_e32 0x7f, v7
	s_cbranch_execz .LBB287_48
; %bb.45:                               ;   in Loop: Header=BB287_15 Depth=1
	v_dual_lshrrev_b32 v6, 3, v7 :: v_dual_bitop2_b32 v0, 7, v24 bitop3:0x40
	s_mov_b32 s15, exec_lo
	v_cmpx_gt_u32_e32 8, v7
; %bb.46:                               ;   in Loop: Header=BB287_15 Depth=1
	s_delay_alu instid0(VALU_DEP_2) | instskip(NEXT) | instid1(VALU_DEP_1)
	v_clz_i32_u32_e32 v0, v0
	v_min_u32_e32 v0, 32, v0
	s_delay_alu instid0(VALU_DEP_1) | instskip(NEXT) | instid1(VALU_DEP_1)
	v_subrev_nc_u32_e32 v6, 28, v0
	v_lshlrev_b64_e32 v[8:9], v6, v[24:25]
	v_sub_nc_u32_e32 v6, 29, v0
	s_delay_alu instid0(VALU_DEP_2)
	v_and_b32_e32 v0, 7, v8
; %bb.47:                               ;   in Loop: Header=BB287_15 Depth=1
	s_or_b32 exec_lo, exec_lo, s15
	v_lshlrev_b32_e32 v7, 8, v24
	s_delay_alu instid0(VALU_DEP_3) | instskip(NEXT) | instid1(VALU_DEP_3)
	v_lshl_add_u32 v6, v6, 10, 0x2000
	v_lshlrev_b32_e32 v0, 23, v0
	s_delay_alu instid0(VALU_DEP_2) | instskip(NEXT) | instid1(VALU_DEP_1)
	v_and_or_b32 v6, 0x8000, v7, v6
	v_lshl_or_b32 v51, v6, 16, v0
.LBB287_48:                             ;   in Loop: Header=BB287_15 Depth=1
	s_or_b32 exec_lo, exec_lo, s14
.LBB287_49:                             ;   in Loop: Header=BB287_15 Depth=1
	s_delay_alu instid0(SALU_CYCLE_1)
	s_or_b32 exec_lo, exec_lo, s11
.LBB287_50:                             ;   in Loop: Header=BB287_15 Depth=1
	s_delay_alu instid0(SALU_CYCLE_1) | instskip(SKIP_4) | instid1(VALU_DEP_3)
	s_or_b32 exec_lo, exec_lo, s8
	v_and_b32_e32 v0, 0xff, v5
	v_dual_mov_b32 v24, v5 :: v_dual_mov_b32 v49, 0
	v_mov_b32_e32 v39, 0
	s_mov_b32 s8, exec_lo
	v_cmpx_ne_u16_e32 0, v0
	s_cbranch_execz .LBB287_58
; %bb.51:                               ;   in Loop: Header=BB287_15 Depth=1
	v_mov_b32_e32 v39, 0x8000
	s_mov_b32 s11, exec_lo
	v_cmpx_ne_u16_e32 0x80, v0
	s_cbranch_execz .LBB287_57
; %bb.52:                               ;   in Loop: Header=BB287_15 Depth=1
	v_and_b32_e32 v7, 0x7f, v5
	v_mov_b32_e32 v39, 0x7c01
	s_mov_b32 s14, exec_lo
	s_delay_alu instid0(VALU_DEP_2)
	v_cmpx_ne_u32_e32 0x7f, v7
	s_cbranch_execz .LBB287_56
; %bb.53:                               ;   in Loop: Header=BB287_15 Depth=1
	v_dual_lshrrev_b32 v6, 3, v7 :: v_dual_bitop2_b32 v0, 7, v5 bitop3:0x40
	s_mov_b32 s15, exec_lo
	v_cmpx_gt_u32_e32 8, v7
; %bb.54:                               ;   in Loop: Header=BB287_15 Depth=1
	s_delay_alu instid0(VALU_DEP_2) | instskip(NEXT) | instid1(VALU_DEP_1)
	v_clz_i32_u32_e32 v0, v0
	v_min_u32_e32 v0, 32, v0
	s_delay_alu instid0(VALU_DEP_1) | instskip(NEXT) | instid1(VALU_DEP_1)
	v_subrev_nc_u32_e32 v6, 28, v0
	v_lshlrev_b64_e32 v[8:9], v6, v[24:25]
	v_sub_nc_u32_e32 v6, 29, v0
	s_delay_alu instid0(VALU_DEP_2)
	v_and_b32_e32 v0, 7, v8
; %bb.55:                               ;   in Loop: Header=BB287_15 Depth=1
	s_or_b32 exec_lo, exec_lo, s15
	s_delay_alu instid0(VALU_DEP_1) | instskip(NEXT) | instid1(VALU_DEP_3)
	v_dual_lshlrev_b32 v7, 8, v5 :: v_dual_lshlrev_b32 v0, 7, v0
	v_lshl_add_u32 v6, v6, 10, 0x2000
	s_delay_alu instid0(VALU_DEP_2) | instskip(NEXT) | instid1(VALU_DEP_2)
	v_and_b32_e32 v7, 0x8000, v7
	v_and_b32_e32 v6, 0xfc00, v6
	s_delay_alu instid0(VALU_DEP_1)
	v_or3_b32 v39, v7, v6, v0
.LBB287_56:                             ;   in Loop: Header=BB287_15 Depth=1
	s_or_b32 exec_lo, exec_lo, s14
.LBB287_57:                             ;   in Loop: Header=BB287_15 Depth=1
	s_delay_alu instid0(SALU_CYCLE_1)
	s_or_b32 exec_lo, exec_lo, s11
.LBB287_58:                             ;   in Loop: Header=BB287_15 Depth=1
	s_delay_alu instid0(SALU_CYCLE_1) | instskip(SKIP_3) | instid1(VALU_DEP_2)
	s_or_b32 exec_lo, exec_lo, s8
	v_lshrrev_b16 v24, 8, v24
	v_mov_b32_e32 v52, 0
	s_mov_b32 s8, exec_lo
	v_cmpx_ne_u16_e32 0, v24
	s_cbranch_execz .LBB287_66
; %bb.59:                               ;   in Loop: Header=BB287_15 Depth=1
	v_bfrev_b32_e32 v52, 1
	s_mov_b32 s11, exec_lo
	v_cmpx_ne_u16_e32 0x80, v24
	s_cbranch_execz .LBB287_65
; %bb.60:                               ;   in Loop: Header=BB287_15 Depth=1
	v_and_b32_e32 v0, 0xffff, v24
	v_mov_b32_e32 v52, 0x7c010000
	s_mov_b32 s14, exec_lo
	s_delay_alu instid0(VALU_DEP_2) | instskip(NEXT) | instid1(VALU_DEP_1)
	v_and_b32_e32 v8, 0x7f, v0
	v_cmpx_ne_u32_e32 0x7f, v8
	s_cbranch_execz .LBB287_64
; %bb.61:                               ;   in Loop: Header=BB287_15 Depth=1
	v_and_b32_e32 v6, 7, v0
	v_lshrrev_b32_e32 v7, 3, v8
	s_mov_b32 s15, exec_lo
	v_cmpx_gt_u32_e32 8, v8
; %bb.62:                               ;   in Loop: Header=BB287_15 Depth=1
	s_delay_alu instid0(VALU_DEP_3) | instskip(NEXT) | instid1(VALU_DEP_1)
	v_clz_i32_u32_e32 v6, v6
	v_min_u32_e32 v8, 32, v6
	s_delay_alu instid0(VALU_DEP_1) | instskip(NEXT) | instid1(VALU_DEP_1)
	v_subrev_nc_u32_e32 v6, 28, v8
	v_lshlrev_b64_e32 v[6:7], v6, v[24:25]
	s_delay_alu instid0(VALU_DEP_1)
	v_dual_sub_nc_u32 v7, 29, v8 :: v_dual_bitop2_b32 v6, 7, v6 bitop3:0x40
; %bb.63:                               ;   in Loop: Header=BB287_15 Depth=1
	s_or_b32 exec_lo, exec_lo, s15
	s_delay_alu instid0(VALU_DEP_1) | instskip(NEXT) | instid1(VALU_DEP_2)
	v_dual_lshlrev_b32 v0, 8, v0 :: v_dual_lshlrev_b32 v6, 23, v6
	v_lshl_add_u32 v7, v7, 10, 0x2000
	s_delay_alu instid0(VALU_DEP_1) | instskip(NEXT) | instid1(VALU_DEP_1)
	v_and_or_b32 v0, 0x8000, v0, v7
	v_lshl_or_b32 v52, v0, 16, v6
.LBB287_64:                             ;   in Loop: Header=BB287_15 Depth=1
	s_or_b32 exec_lo, exec_lo, s14
.LBB287_65:                             ;   in Loop: Header=BB287_15 Depth=1
	s_delay_alu instid0(SALU_CYCLE_1)
	s_or_b32 exec_lo, exec_lo, s11
.LBB287_66:                             ;   in Loop: Header=BB287_15 Depth=1
	s_delay_alu instid0(SALU_CYCLE_1) | instskip(SKIP_2) | instid1(VALU_DEP_1)
	s_or_b32 exec_lo, exec_lo, s8
	v_lshrrev_b32_e32 v0, 16, v5
	s_mov_b32 s8, exec_lo
	v_and_b32_e32 v6, 0xff, v0
	s_delay_alu instid0(VALU_DEP_1)
	v_cmpx_ne_u16_e32 0, v6
	s_cbranch_execz .LBB287_74
; %bb.67:                               ;   in Loop: Header=BB287_15 Depth=1
	v_mov_b32_e32 v49, 0x8000
	s_mov_b32 s11, exec_lo
	v_cmpx_ne_u16_e32 0x80, v6
	s_cbranch_execz .LBB287_73
; %bb.68:                               ;   in Loop: Header=BB287_15 Depth=1
	v_bfe_u32 v8, v5, 16, 7
	v_mov_b32_e32 v49, 0x7c01
	s_mov_b32 s14, exec_lo
	s_delay_alu instid0(VALU_DEP_2)
	v_cmpx_ne_u32_e32 0x7f, v8
	s_cbranch_execz .LBB287_72
; %bb.69:                               ;   in Loop: Header=BB287_15 Depth=1
	v_and_b32_e32 v6, 7, v0
	v_lshrrev_b32_e32 v7, 3, v8
	s_mov_b32 s15, exec_lo
	v_cmpx_gt_u32_e32 8, v8
; %bb.70:                               ;   in Loop: Header=BB287_15 Depth=1
	s_delay_alu instid0(VALU_DEP_3) | instskip(NEXT) | instid1(VALU_DEP_1)
	v_clz_i32_u32_e32 v6, v6
	v_min_u32_e32 v8, 32, v6
	s_delay_alu instid0(VALU_DEP_1) | instskip(NEXT) | instid1(VALU_DEP_1)
	v_subrev_nc_u32_e32 v6, 28, v8
	v_lshlrev_b64_e32 v[6:7], v6, v[0:1]
	s_delay_alu instid0(VALU_DEP_1)
	v_dual_sub_nc_u32 v7, 29, v8 :: v_dual_bitop2_b32 v6, 7, v6 bitop3:0x40
; %bb.71:                               ;   in Loop: Header=BB287_15 Depth=1
	s_or_b32 exec_lo, exec_lo, s15
	s_delay_alu instid0(VALU_DEP_1) | instskip(NEXT) | instid1(VALU_DEP_2)
	v_dual_lshlrev_b32 v0, 8, v0 :: v_dual_lshlrev_b32 v6, 7, v6
	v_lshl_add_u32 v7, v7, 10, 0x2000
	s_delay_alu instid0(VALU_DEP_2) | instskip(NEXT) | instid1(VALU_DEP_2)
	v_and_b32_e32 v0, 0x8000, v0
	v_and_b32_e32 v7, 0xfc00, v7
	s_delay_alu instid0(VALU_DEP_1)
	v_or3_b32 v49, v0, v7, v6
.LBB287_72:                             ;   in Loop: Header=BB287_15 Depth=1
	s_or_b32 exec_lo, exec_lo, s14
.LBB287_73:                             ;   in Loop: Header=BB287_15 Depth=1
	s_delay_alu instid0(SALU_CYCLE_1)
	s_or_b32 exec_lo, exec_lo, s11
.LBB287_74:                             ;   in Loop: Header=BB287_15 Depth=1
	s_delay_alu instid0(SALU_CYCLE_1)
	s_or_b32 exec_lo, exec_lo, s8
	v_dual_mov_b32 v80, 0 :: v_dual_mov_b32 v48, 0
	s_mov_b32 s8, exec_lo
	v_cmpx_lt_u64_e64 s[4:5], v[4:5]
	s_cbranch_execz .LBB287_82
; %bb.75:                               ;   in Loop: Header=BB287_15 Depth=1
	v_lshrrev_b32_e32 v24, 24, v5
	v_bfrev_b32_e32 v48, 1
	s_mov_b32 s11, exec_lo
	s_delay_alu instid0(VALU_DEP_2)
	v_cmpx_ne_u32_e32 0x80, v24
	s_cbranch_execz .LBB287_81
; %bb.76:                               ;   in Loop: Header=BB287_15 Depth=1
	v_and_b32_e32 v5, 0x7f, v24
	v_mov_b32_e32 v48, 0x7c010000
	s_mov_b32 s14, exec_lo
	s_delay_alu instid0(VALU_DEP_2)
	v_cmpx_ne_u32_e32 0x7f, v5
	s_cbranch_execz .LBB287_80
; %bb.77:                               ;   in Loop: Header=BB287_15 Depth=1
	v_dual_lshrrev_b32 v4, 3, v5 :: v_dual_bitop2_b32 v0, 7, v24 bitop3:0x40
	s_mov_b32 s15, exec_lo
	v_cmpx_gt_u32_e32 8, v5
; %bb.78:                               ;   in Loop: Header=BB287_15 Depth=1
	s_delay_alu instid0(VALU_DEP_2) | instskip(NEXT) | instid1(VALU_DEP_1)
	v_clz_i32_u32_e32 v0, v0
	v_min_u32_e32 v0, 32, v0
	s_delay_alu instid0(VALU_DEP_1) | instskip(NEXT) | instid1(VALU_DEP_1)
	v_subrev_nc_u32_e32 v4, 28, v0
	v_lshlrev_b64_e32 v[6:7], v4, v[24:25]
	s_delay_alu instid0(VALU_DEP_1)
	v_dual_sub_nc_u32 v4, 29, v0 :: v_dual_bitop2_b32 v0, 7, v6 bitop3:0x40
; %bb.79:                               ;   in Loop: Header=BB287_15 Depth=1
	s_or_b32 exec_lo, exec_lo, s15
	v_lshlrev_b32_e32 v5, 8, v24
	s_delay_alu instid0(VALU_DEP_2) | instskip(NEXT) | instid1(VALU_DEP_3)
	v_lshl_add_u32 v4, v4, 10, 0x2000
	v_lshlrev_b32_e32 v0, 23, v0
	s_delay_alu instid0(VALU_DEP_2) | instskip(NEXT) | instid1(VALU_DEP_1)
	v_and_or_b32 v4, 0x8000, v5, v4
	v_lshl_or_b32 v48, v4, 16, v0
.LBB287_80:                             ;   in Loop: Header=BB287_15 Depth=1
	s_or_b32 exec_lo, exec_lo, s14
.LBB287_81:                             ;   in Loop: Header=BB287_15 Depth=1
	s_delay_alu instid0(SALU_CYCLE_1)
	s_or_b32 exec_lo, exec_lo, s11
.LBB287_82:                             ;   in Loop: Header=BB287_15 Depth=1
	s_delay_alu instid0(SALU_CYCLE_1)
	s_or_b32 exec_lo, exec_lo, s8
	flat_load_b64 v[4:5], v[2:3] offset:8
	s_mov_b32 s8, exec_lo
	s_wait_loadcnt_dscnt 0x0
	v_and_b32_e32 v0, 0xff, v4
	s_wait_xcnt 0x0
	s_delay_alu instid0(VALU_DEP_1)
	v_cmpx_ne_u16_e32 0, v0
	s_cbranch_execz .LBB287_90
; %bb.83:                               ;   in Loop: Header=BB287_15 Depth=1
	v_mov_b32_e32 v80, 0x8000
	s_mov_b32 s11, exec_lo
	v_cmpx_ne_u16_e32 0x80, v0
	s_cbranch_execz .LBB287_89
; %bb.84:                               ;   in Loop: Header=BB287_15 Depth=1
	v_and_b32_e32 v7, 0x7f, v4
	v_mov_b32_e32 v80, 0x7c01
	s_mov_b32 s14, exec_lo
	s_delay_alu instid0(VALU_DEP_2)
	v_cmpx_ne_u32_e32 0x7f, v7
	s_cbranch_execz .LBB287_88
; %bb.85:                               ;   in Loop: Header=BB287_15 Depth=1
	v_dual_lshrrev_b32 v6, 3, v7 :: v_dual_bitop2_b32 v0, 7, v4 bitop3:0x40
	s_mov_b32 s15, exec_lo
	v_cmpx_gt_u32_e32 8, v7
; %bb.86:                               ;   in Loop: Header=BB287_15 Depth=1
	s_delay_alu instid0(VALU_DEP_2) | instskip(NEXT) | instid1(VALU_DEP_1)
	v_clz_i32_u32_e32 v0, v0
	v_min_u32_e32 v0, 32, v0
	s_delay_alu instid0(VALU_DEP_1) | instskip(NEXT) | instid1(VALU_DEP_1)
	v_subrev_nc_u32_e32 v6, 28, v0
	v_lshlrev_b64_e32 v[8:9], v6, v[4:5]
	v_sub_nc_u32_e32 v6, 29, v0
	s_delay_alu instid0(VALU_DEP_2)
	v_and_b32_e32 v0, 7, v8
; %bb.87:                               ;   in Loop: Header=BB287_15 Depth=1
	s_or_b32 exec_lo, exec_lo, s15
	v_lshlrev_b32_e32 v7, 8, v4
	s_delay_alu instid0(VALU_DEP_3) | instskip(NEXT) | instid1(VALU_DEP_3)
	v_lshl_add_u32 v6, v6, 10, 0x2000
	v_lshlrev_b32_e32 v0, 7, v0
	s_delay_alu instid0(VALU_DEP_3) | instskip(NEXT) | instid1(VALU_DEP_3)
	v_and_b32_e32 v7, 0x8000, v7
	v_and_b32_e32 v6, 0xfc00, v6
	s_delay_alu instid0(VALU_DEP_1)
	v_or3_b32 v80, v7, v6, v0
.LBB287_88:                             ;   in Loop: Header=BB287_15 Depth=1
	s_or_b32 exec_lo, exec_lo, s14
.LBB287_89:                             ;   in Loop: Header=BB287_15 Depth=1
	s_delay_alu instid0(SALU_CYCLE_1)
	s_or_b32 exec_lo, exec_lo, s11
.LBB287_90:                             ;   in Loop: Header=BB287_15 Depth=1
	s_delay_alu instid0(SALU_CYCLE_1) | instskip(SKIP_3) | instid1(VALU_DEP_2)
	s_or_b32 exec_lo, exec_lo, s8
	v_lshrrev_b16 v24, 8, v4
	v_dual_mov_b32 v26, 0 :: v_dual_mov_b32 v81, 0
	s_mov_b32 s8, exec_lo
	v_cmpx_ne_u16_e32 0, v24
	s_cbranch_execz .LBB287_98
; %bb.91:                               ;   in Loop: Header=BB287_15 Depth=1
	v_bfrev_b32_e32 v81, 1
	s_mov_b32 s11, exec_lo
	v_cmpx_ne_u16_e32 0x80, v24
	s_cbranch_execz .LBB287_97
; %bb.92:                               ;   in Loop: Header=BB287_15 Depth=1
	v_and_b32_e32 v0, 0xffff, v24
	v_mov_b32_e32 v81, 0x7c010000
	s_mov_b32 s14, exec_lo
	s_delay_alu instid0(VALU_DEP_2) | instskip(NEXT) | instid1(VALU_DEP_1)
	v_and_b32_e32 v8, 0x7f, v0
	v_cmpx_ne_u32_e32 0x7f, v8
	s_cbranch_execz .LBB287_96
; %bb.93:                               ;   in Loop: Header=BB287_15 Depth=1
	v_and_b32_e32 v6, 7, v0
	v_lshrrev_b32_e32 v7, 3, v8
	s_mov_b32 s15, exec_lo
	v_cmpx_gt_u32_e32 8, v8
; %bb.94:                               ;   in Loop: Header=BB287_15 Depth=1
	s_delay_alu instid0(VALU_DEP_3) | instskip(NEXT) | instid1(VALU_DEP_1)
	v_clz_i32_u32_e32 v6, v6
	v_min_u32_e32 v8, 32, v6
	s_delay_alu instid0(VALU_DEP_1) | instskip(NEXT) | instid1(VALU_DEP_1)
	v_subrev_nc_u32_e32 v6, 28, v8
	v_lshlrev_b64_e32 v[6:7], v6, v[24:25]
	s_delay_alu instid0(VALU_DEP_1)
	v_dual_sub_nc_u32 v7, 29, v8 :: v_dual_bitop2_b32 v6, 7, v6 bitop3:0x40
; %bb.95:                               ;   in Loop: Header=BB287_15 Depth=1
	s_or_b32 exec_lo, exec_lo, s15
	s_delay_alu instid0(VALU_DEP_1) | instskip(NEXT) | instid1(VALU_DEP_2)
	v_dual_lshlrev_b32 v0, 8, v0 :: v_dual_lshlrev_b32 v6, 23, v6
	v_lshl_add_u32 v7, v7, 10, 0x2000
	s_delay_alu instid0(VALU_DEP_1) | instskip(NEXT) | instid1(VALU_DEP_1)
	v_and_or_b32 v0, 0x8000, v0, v7
	v_lshl_or_b32 v81, v0, 16, v6
.LBB287_96:                             ;   in Loop: Header=BB287_15 Depth=1
	s_or_b32 exec_lo, exec_lo, s14
.LBB287_97:                             ;   in Loop: Header=BB287_15 Depth=1
	s_delay_alu instid0(SALU_CYCLE_1)
	s_or_b32 exec_lo, exec_lo, s11
.LBB287_98:                             ;   in Loop: Header=BB287_15 Depth=1
	s_delay_alu instid0(SALU_CYCLE_1) | instskip(SKIP_2) | instid1(VALU_DEP_1)
	s_or_b32 exec_lo, exec_lo, s8
	v_lshrrev_b32_e32 v0, 16, v4
	s_mov_b32 s8, exec_lo
	v_and_b32_e32 v6, 0xff, v0
	s_delay_alu instid0(VALU_DEP_1)
	v_cmpx_ne_u16_e32 0, v6
	s_cbranch_execz .LBB287_106
; %bb.99:                               ;   in Loop: Header=BB287_15 Depth=1
	v_mov_b32_e32 v26, 0x8000
	s_mov_b32 s11, exec_lo
	v_cmpx_ne_u16_e32 0x80, v6
	s_cbranch_execz .LBB287_105
; %bb.100:                              ;   in Loop: Header=BB287_15 Depth=1
	v_bfe_u32 v8, v4, 16, 7
	v_mov_b32_e32 v26, 0x7c01
	s_mov_b32 s14, exec_lo
	s_delay_alu instid0(VALU_DEP_2)
	v_cmpx_ne_u32_e32 0x7f, v8
	s_cbranch_execz .LBB287_104
; %bb.101:                              ;   in Loop: Header=BB287_15 Depth=1
	v_and_b32_e32 v6, 7, v0
	v_lshrrev_b32_e32 v7, 3, v8
	s_mov_b32 s15, exec_lo
	v_cmpx_gt_u32_e32 8, v8
; %bb.102:                              ;   in Loop: Header=BB287_15 Depth=1
	s_delay_alu instid0(VALU_DEP_3) | instskip(NEXT) | instid1(VALU_DEP_1)
	v_clz_i32_u32_e32 v6, v6
	v_min_u32_e32 v8, 32, v6
	s_delay_alu instid0(VALU_DEP_1) | instskip(NEXT) | instid1(VALU_DEP_1)
	v_subrev_nc_u32_e32 v6, 28, v8
	v_lshlrev_b64_e32 v[6:7], v6, v[0:1]
	s_delay_alu instid0(VALU_DEP_1)
	v_dual_sub_nc_u32 v7, 29, v8 :: v_dual_bitop2_b32 v6, 7, v6 bitop3:0x40
; %bb.103:                              ;   in Loop: Header=BB287_15 Depth=1
	s_or_b32 exec_lo, exec_lo, s15
	s_delay_alu instid0(VALU_DEP_1) | instskip(NEXT) | instid1(VALU_DEP_2)
	v_dual_lshlrev_b32 v0, 8, v0 :: v_dual_lshlrev_b32 v6, 7, v6
	v_lshl_add_u32 v7, v7, 10, 0x2000
	s_delay_alu instid0(VALU_DEP_2) | instskip(NEXT) | instid1(VALU_DEP_2)
	v_and_b32_e32 v0, 0x8000, v0
	v_and_b32_e32 v7, 0xfc00, v7
	s_delay_alu instid0(VALU_DEP_1)
	v_or3_b32 v26, v0, v7, v6
.LBB287_104:                            ;   in Loop: Header=BB287_15 Depth=1
	s_or_b32 exec_lo, exec_lo, s14
.LBB287_105:                            ;   in Loop: Header=BB287_15 Depth=1
	s_delay_alu instid0(SALU_CYCLE_1)
	s_or_b32 exec_lo, exec_lo, s11
.LBB287_106:                            ;   in Loop: Header=BB287_15 Depth=1
	s_delay_alu instid0(SALU_CYCLE_1)
	s_or_b32 exec_lo, exec_lo, s8
	v_dual_mov_b32 v27, 0 :: v_dual_mov_b32 v15, 0
	s_mov_b32 s8, exec_lo
	v_cmpx_lt_u32_e32 0xffffff, v4
	s_cbranch_execz .LBB287_114
; %bb.107:                              ;   in Loop: Header=BB287_15 Depth=1
	v_lshrrev_b32_e32 v24, 24, v4
	v_bfrev_b32_e32 v15, 1
	s_mov_b32 s11, exec_lo
	s_delay_alu instid0(VALU_DEP_2)
	v_cmpx_ne_u32_e32 0x80, v24
	s_cbranch_execz .LBB287_113
; %bb.108:                              ;   in Loop: Header=BB287_15 Depth=1
	v_and_b32_e32 v7, 0x7f, v24
	v_mov_b32_e32 v15, 0x7c010000
	s_mov_b32 s14, exec_lo
	s_delay_alu instid0(VALU_DEP_2)
	v_cmpx_ne_u32_e32 0x7f, v7
	s_cbranch_execz .LBB287_112
; %bb.109:                              ;   in Loop: Header=BB287_15 Depth=1
	v_dual_lshrrev_b32 v6, 3, v7 :: v_dual_bitop2_b32 v0, 7, v24 bitop3:0x40
	s_mov_b32 s15, exec_lo
	v_cmpx_gt_u32_e32 8, v7
; %bb.110:                              ;   in Loop: Header=BB287_15 Depth=1
	s_delay_alu instid0(VALU_DEP_2) | instskip(NEXT) | instid1(VALU_DEP_1)
	v_clz_i32_u32_e32 v0, v0
	v_min_u32_e32 v0, 32, v0
	s_delay_alu instid0(VALU_DEP_1) | instskip(NEXT) | instid1(VALU_DEP_1)
	v_subrev_nc_u32_e32 v6, 28, v0
	v_lshlrev_b64_e32 v[8:9], v6, v[24:25]
	v_sub_nc_u32_e32 v6, 29, v0
	s_delay_alu instid0(VALU_DEP_2)
	v_and_b32_e32 v0, 7, v8
; %bb.111:                              ;   in Loop: Header=BB287_15 Depth=1
	s_or_b32 exec_lo, exec_lo, s15
	v_lshlrev_b32_e32 v7, 8, v24
	s_delay_alu instid0(VALU_DEP_3) | instskip(NEXT) | instid1(VALU_DEP_3)
	v_lshl_add_u32 v6, v6, 10, 0x2000
	v_lshlrev_b32_e32 v0, 23, v0
	s_delay_alu instid0(VALU_DEP_2) | instskip(NEXT) | instid1(VALU_DEP_1)
	v_and_or_b32 v6, 0x8000, v7, v6
	v_lshl_or_b32 v15, v6, 16, v0
.LBB287_112:                            ;   in Loop: Header=BB287_15 Depth=1
	s_or_b32 exec_lo, exec_lo, s14
.LBB287_113:                            ;   in Loop: Header=BB287_15 Depth=1
	s_delay_alu instid0(SALU_CYCLE_1)
	s_or_b32 exec_lo, exec_lo, s11
.LBB287_114:                            ;   in Loop: Header=BB287_15 Depth=1
	s_delay_alu instid0(SALU_CYCLE_1) | instskip(SKIP_3) | instid1(VALU_DEP_2)
	s_or_b32 exec_lo, exec_lo, s8
	v_and_b32_e32 v0, 0xff, v5
	v_mov_b32_e32 v24, v5
	s_mov_b32 s8, exec_lo
	v_cmpx_ne_u16_e32 0, v0
	s_cbranch_execz .LBB287_122
; %bb.115:                              ;   in Loop: Header=BB287_15 Depth=1
	v_mov_b32_e32 v27, 0x8000
	s_mov_b32 s11, exec_lo
	v_cmpx_ne_u16_e32 0x80, v0
	s_cbranch_execz .LBB287_121
; %bb.116:                              ;   in Loop: Header=BB287_15 Depth=1
	v_and_b32_e32 v7, 0x7f, v5
	v_mov_b32_e32 v27, 0x7c01
	s_mov_b32 s14, exec_lo
	s_delay_alu instid0(VALU_DEP_2)
	v_cmpx_ne_u32_e32 0x7f, v7
	s_cbranch_execz .LBB287_120
; %bb.117:                              ;   in Loop: Header=BB287_15 Depth=1
	v_dual_lshrrev_b32 v6, 3, v7 :: v_dual_bitop2_b32 v0, 7, v5 bitop3:0x40
	s_mov_b32 s15, exec_lo
	v_cmpx_gt_u32_e32 8, v7
; %bb.118:                              ;   in Loop: Header=BB287_15 Depth=1
	s_delay_alu instid0(VALU_DEP_2) | instskip(NEXT) | instid1(VALU_DEP_1)
	v_clz_i32_u32_e32 v0, v0
	v_min_u32_e32 v0, 32, v0
	s_delay_alu instid0(VALU_DEP_1) | instskip(NEXT) | instid1(VALU_DEP_1)
	v_subrev_nc_u32_e32 v6, 28, v0
	v_lshlrev_b64_e32 v[8:9], v6, v[24:25]
	v_sub_nc_u32_e32 v6, 29, v0
	s_delay_alu instid0(VALU_DEP_2)
	v_and_b32_e32 v0, 7, v8
; %bb.119:                              ;   in Loop: Header=BB287_15 Depth=1
	s_or_b32 exec_lo, exec_lo, s15
	s_delay_alu instid0(VALU_DEP_1) | instskip(NEXT) | instid1(VALU_DEP_3)
	v_dual_lshlrev_b32 v7, 8, v5 :: v_dual_lshlrev_b32 v0, 7, v0
	v_lshl_add_u32 v6, v6, 10, 0x2000
	s_delay_alu instid0(VALU_DEP_2) | instskip(NEXT) | instid1(VALU_DEP_2)
	v_and_b32_e32 v7, 0x8000, v7
	v_and_b32_e32 v6, 0xfc00, v6
	s_delay_alu instid0(VALU_DEP_1)
	v_or3_b32 v27, v7, v6, v0
.LBB287_120:                            ;   in Loop: Header=BB287_15 Depth=1
	s_or_b32 exec_lo, exec_lo, s14
.LBB287_121:                            ;   in Loop: Header=BB287_15 Depth=1
	s_delay_alu instid0(SALU_CYCLE_1)
	s_or_b32 exec_lo, exec_lo, s11
.LBB287_122:                            ;   in Loop: Header=BB287_15 Depth=1
	s_delay_alu instid0(SALU_CYCLE_1) | instskip(SKIP_3) | instid1(VALU_DEP_2)
	s_or_b32 exec_lo, exec_lo, s8
	v_lshrrev_b16 v24, 8, v24
	v_dual_mov_b32 v28, 0 :: v_dual_mov_b32 v14, 0
	s_mov_b32 s8, exec_lo
	v_cmpx_ne_u16_e32 0, v24
	s_cbranch_execz .LBB287_130
; %bb.123:                              ;   in Loop: Header=BB287_15 Depth=1
	v_bfrev_b32_e32 v14, 1
	s_mov_b32 s11, exec_lo
	v_cmpx_ne_u16_e32 0x80, v24
	s_cbranch_execz .LBB287_129
; %bb.124:                              ;   in Loop: Header=BB287_15 Depth=1
	v_and_b32_e32 v0, 0xffff, v24
	v_mov_b32_e32 v14, 0x7c010000
	s_mov_b32 s14, exec_lo
	s_delay_alu instid0(VALU_DEP_2) | instskip(NEXT) | instid1(VALU_DEP_1)
	v_and_b32_e32 v8, 0x7f, v0
	v_cmpx_ne_u32_e32 0x7f, v8
	s_cbranch_execz .LBB287_128
; %bb.125:                              ;   in Loop: Header=BB287_15 Depth=1
	v_and_b32_e32 v6, 7, v0
	v_lshrrev_b32_e32 v7, 3, v8
	s_mov_b32 s15, exec_lo
	v_cmpx_gt_u32_e32 8, v8
; %bb.126:                              ;   in Loop: Header=BB287_15 Depth=1
	s_delay_alu instid0(VALU_DEP_3) | instskip(NEXT) | instid1(VALU_DEP_1)
	v_clz_i32_u32_e32 v6, v6
	v_min_u32_e32 v8, 32, v6
	s_delay_alu instid0(VALU_DEP_1) | instskip(NEXT) | instid1(VALU_DEP_1)
	v_subrev_nc_u32_e32 v6, 28, v8
	v_lshlrev_b64_e32 v[6:7], v6, v[24:25]
	s_delay_alu instid0(VALU_DEP_1)
	v_dual_sub_nc_u32 v7, 29, v8 :: v_dual_bitop2_b32 v6, 7, v6 bitop3:0x40
; %bb.127:                              ;   in Loop: Header=BB287_15 Depth=1
	s_or_b32 exec_lo, exec_lo, s15
	s_delay_alu instid0(VALU_DEP_1) | instskip(NEXT) | instid1(VALU_DEP_2)
	v_dual_lshlrev_b32 v0, 8, v0 :: v_dual_lshlrev_b32 v6, 23, v6
	v_lshl_add_u32 v7, v7, 10, 0x2000
	s_delay_alu instid0(VALU_DEP_1) | instskip(NEXT) | instid1(VALU_DEP_1)
	v_and_or_b32 v0, 0x8000, v0, v7
	v_lshl_or_b32 v14, v0, 16, v6
.LBB287_128:                            ;   in Loop: Header=BB287_15 Depth=1
	s_or_b32 exec_lo, exec_lo, s14
.LBB287_129:                            ;   in Loop: Header=BB287_15 Depth=1
	s_delay_alu instid0(SALU_CYCLE_1)
	s_or_b32 exec_lo, exec_lo, s11
.LBB287_130:                            ;   in Loop: Header=BB287_15 Depth=1
	s_delay_alu instid0(SALU_CYCLE_1) | instskip(SKIP_2) | instid1(VALU_DEP_1)
	s_or_b32 exec_lo, exec_lo, s8
	v_lshrrev_b32_e32 v0, 16, v5
	s_mov_b32 s8, exec_lo
	v_and_b32_e32 v6, 0xff, v0
	s_delay_alu instid0(VALU_DEP_1)
	v_cmpx_ne_u16_e32 0, v6
	s_cbranch_execz .LBB287_138
; %bb.131:                              ;   in Loop: Header=BB287_15 Depth=1
	v_mov_b32_e32 v28, 0x8000
	s_mov_b32 s11, exec_lo
	v_cmpx_ne_u16_e32 0x80, v6
	s_cbranch_execz .LBB287_137
; %bb.132:                              ;   in Loop: Header=BB287_15 Depth=1
	v_bfe_u32 v8, v5, 16, 7
	v_mov_b32_e32 v28, 0x7c01
	s_mov_b32 s14, exec_lo
	s_delay_alu instid0(VALU_DEP_2)
	v_cmpx_ne_u32_e32 0x7f, v8
	s_cbranch_execz .LBB287_136
; %bb.133:                              ;   in Loop: Header=BB287_15 Depth=1
	v_and_b32_e32 v6, 7, v0
	v_lshrrev_b32_e32 v7, 3, v8
	s_mov_b32 s15, exec_lo
	v_cmpx_gt_u32_e32 8, v8
; %bb.134:                              ;   in Loop: Header=BB287_15 Depth=1
	s_delay_alu instid0(VALU_DEP_3) | instskip(NEXT) | instid1(VALU_DEP_1)
	v_clz_i32_u32_e32 v6, v6
	v_min_u32_e32 v8, 32, v6
	s_delay_alu instid0(VALU_DEP_1) | instskip(NEXT) | instid1(VALU_DEP_1)
	v_subrev_nc_u32_e32 v6, 28, v8
	v_lshlrev_b64_e32 v[6:7], v6, v[0:1]
	s_delay_alu instid0(VALU_DEP_1)
	v_dual_sub_nc_u32 v7, 29, v8 :: v_dual_bitop2_b32 v6, 7, v6 bitop3:0x40
; %bb.135:                              ;   in Loop: Header=BB287_15 Depth=1
	s_or_b32 exec_lo, exec_lo, s15
	s_delay_alu instid0(VALU_DEP_1) | instskip(NEXT) | instid1(VALU_DEP_2)
	v_dual_lshlrev_b32 v0, 8, v0 :: v_dual_lshlrev_b32 v6, 7, v6
	v_lshl_add_u32 v7, v7, 10, 0x2000
	s_delay_alu instid0(VALU_DEP_2) | instskip(NEXT) | instid1(VALU_DEP_2)
	v_and_b32_e32 v0, 0x8000, v0
	v_and_b32_e32 v7, 0xfc00, v7
	s_delay_alu instid0(VALU_DEP_1)
	v_or3_b32 v28, v0, v7, v6
.LBB287_136:                            ;   in Loop: Header=BB287_15 Depth=1
	s_or_b32 exec_lo, exec_lo, s14
.LBB287_137:                            ;   in Loop: Header=BB287_15 Depth=1
	s_delay_alu instid0(SALU_CYCLE_1)
	s_or_b32 exec_lo, exec_lo, s11
.LBB287_138:                            ;   in Loop: Header=BB287_15 Depth=1
	s_delay_alu instid0(SALU_CYCLE_1)
	s_or_b32 exec_lo, exec_lo, s8
	v_dual_mov_b32 v31, 0 :: v_dual_mov_b32 v29, 0
	s_mov_b32 s8, exec_lo
	v_cmpx_lt_u64_e64 s[4:5], v[4:5]
	s_cbranch_execz .LBB287_146
; %bb.139:                              ;   in Loop: Header=BB287_15 Depth=1
	v_lshrrev_b32_e32 v24, 24, v5
	v_bfrev_b32_e32 v29, 1
	s_mov_b32 s11, exec_lo
	s_delay_alu instid0(VALU_DEP_2)
	v_cmpx_ne_u32_e32 0x80, v24
	s_cbranch_execz .LBB287_145
; %bb.140:                              ;   in Loop: Header=BB287_15 Depth=1
	v_and_b32_e32 v5, 0x7f, v24
	v_mov_b32_e32 v29, 0x7c010000
	s_mov_b32 s14, exec_lo
	s_delay_alu instid0(VALU_DEP_2)
	v_cmpx_ne_u32_e32 0x7f, v5
	s_cbranch_execz .LBB287_144
; %bb.141:                              ;   in Loop: Header=BB287_15 Depth=1
	v_dual_lshrrev_b32 v4, 3, v5 :: v_dual_bitop2_b32 v0, 7, v24 bitop3:0x40
	s_mov_b32 s15, exec_lo
	v_cmpx_gt_u32_e32 8, v5
; %bb.142:                              ;   in Loop: Header=BB287_15 Depth=1
	s_delay_alu instid0(VALU_DEP_2) | instskip(NEXT) | instid1(VALU_DEP_1)
	v_clz_i32_u32_e32 v0, v0
	v_min_u32_e32 v0, 32, v0
	s_delay_alu instid0(VALU_DEP_1) | instskip(NEXT) | instid1(VALU_DEP_1)
	v_subrev_nc_u32_e32 v4, 28, v0
	v_lshlrev_b64_e32 v[6:7], v4, v[24:25]
	s_delay_alu instid0(VALU_DEP_1)
	v_dual_sub_nc_u32 v4, 29, v0 :: v_dual_bitop2_b32 v0, 7, v6 bitop3:0x40
; %bb.143:                              ;   in Loop: Header=BB287_15 Depth=1
	s_or_b32 exec_lo, exec_lo, s15
	v_lshlrev_b32_e32 v5, 8, v24
	s_delay_alu instid0(VALU_DEP_2) | instskip(NEXT) | instid1(VALU_DEP_3)
	v_lshl_add_u32 v4, v4, 10, 0x2000
	v_lshlrev_b32_e32 v0, 23, v0
	s_delay_alu instid0(VALU_DEP_2) | instskip(NEXT) | instid1(VALU_DEP_1)
	v_and_or_b32 v4, 0x8000, v5, v4
	v_lshl_or_b32 v29, v4, 16, v0
.LBB287_144:                            ;   in Loop: Header=BB287_15 Depth=1
	s_or_b32 exec_lo, exec_lo, s14
.LBB287_145:                            ;   in Loop: Header=BB287_15 Depth=1
	s_delay_alu instid0(SALU_CYCLE_1)
	s_or_b32 exec_lo, exec_lo, s11
.LBB287_146:                            ;   in Loop: Header=BB287_15 Depth=1
	s_delay_alu instid0(SALU_CYCLE_1)
	s_or_b32 exec_lo, exec_lo, s8
	flat_load_b64 v[4:5], v[2:3] offset:512
	s_mov_b32 s8, exec_lo
	s_wait_loadcnt_dscnt 0x0
	v_and_b32_e32 v0, 0xff, v4
	s_wait_xcnt 0x0
	s_delay_alu instid0(VALU_DEP_1)
	v_cmpx_ne_u16_e32 0, v0
	s_cbranch_execz .LBB287_154
; %bb.147:                              ;   in Loop: Header=BB287_15 Depth=1
	v_mov_b32_e32 v31, 0x8000
	s_mov_b32 s11, exec_lo
	v_cmpx_ne_u16_e32 0x80, v0
	s_cbranch_execz .LBB287_153
; %bb.148:                              ;   in Loop: Header=BB287_15 Depth=1
	v_and_b32_e32 v7, 0x7f, v4
	v_mov_b32_e32 v31, 0x7c01
	s_mov_b32 s14, exec_lo
	s_delay_alu instid0(VALU_DEP_2)
	v_cmpx_ne_u32_e32 0x7f, v7
	s_cbranch_execz .LBB287_152
; %bb.149:                              ;   in Loop: Header=BB287_15 Depth=1
	v_dual_lshrrev_b32 v6, 3, v7 :: v_dual_bitop2_b32 v0, 7, v4 bitop3:0x40
	s_mov_b32 s15, exec_lo
	v_cmpx_gt_u32_e32 8, v7
; %bb.150:                              ;   in Loop: Header=BB287_15 Depth=1
	s_delay_alu instid0(VALU_DEP_2) | instskip(NEXT) | instid1(VALU_DEP_1)
	v_clz_i32_u32_e32 v0, v0
	v_min_u32_e32 v0, 32, v0
	s_delay_alu instid0(VALU_DEP_1) | instskip(NEXT) | instid1(VALU_DEP_1)
	v_subrev_nc_u32_e32 v6, 28, v0
	v_lshlrev_b64_e32 v[8:9], v6, v[4:5]
	v_sub_nc_u32_e32 v6, 29, v0
	s_delay_alu instid0(VALU_DEP_2)
	v_and_b32_e32 v0, 7, v8
; %bb.151:                              ;   in Loop: Header=BB287_15 Depth=1
	s_or_b32 exec_lo, exec_lo, s15
	v_lshlrev_b32_e32 v7, 8, v4
	s_delay_alu instid0(VALU_DEP_3) | instskip(NEXT) | instid1(VALU_DEP_3)
	v_lshl_add_u32 v6, v6, 10, 0x2000
	v_lshlrev_b32_e32 v0, 7, v0
	s_delay_alu instid0(VALU_DEP_3) | instskip(NEXT) | instid1(VALU_DEP_3)
	v_and_b32_e32 v7, 0x8000, v7
	v_and_b32_e32 v6, 0xfc00, v6
	s_delay_alu instid0(VALU_DEP_1)
	v_or3_b32 v31, v7, v6, v0
.LBB287_152:                            ;   in Loop: Header=BB287_15 Depth=1
	s_or_b32 exec_lo, exec_lo, s14
.LBB287_153:                            ;   in Loop: Header=BB287_15 Depth=1
	s_delay_alu instid0(SALU_CYCLE_1)
	s_or_b32 exec_lo, exec_lo, s11
.LBB287_154:                            ;   in Loop: Header=BB287_15 Depth=1
	s_delay_alu instid0(SALU_CYCLE_1) | instskip(SKIP_3) | instid1(VALU_DEP_2)
	s_or_b32 exec_lo, exec_lo, s8
	v_lshrrev_b16 v24, 8, v4
	v_dual_mov_b32 v85, 0 :: v_dual_mov_b32 v30, 0
	s_mov_b32 s8, exec_lo
	v_cmpx_ne_u16_e32 0, v24
	s_cbranch_execz .LBB287_162
; %bb.155:                              ;   in Loop: Header=BB287_15 Depth=1
	v_bfrev_b32_e32 v30, 1
	s_mov_b32 s11, exec_lo
	v_cmpx_ne_u16_e32 0x80, v24
	s_cbranch_execz .LBB287_161
; %bb.156:                              ;   in Loop: Header=BB287_15 Depth=1
	v_and_b32_e32 v0, 0xffff, v24
	v_mov_b32_e32 v30, 0x7c010000
	s_mov_b32 s14, exec_lo
	s_delay_alu instid0(VALU_DEP_2) | instskip(NEXT) | instid1(VALU_DEP_1)
	v_and_b32_e32 v8, 0x7f, v0
	v_cmpx_ne_u32_e32 0x7f, v8
	s_cbranch_execz .LBB287_160
; %bb.157:                              ;   in Loop: Header=BB287_15 Depth=1
	v_and_b32_e32 v6, 7, v0
	v_lshrrev_b32_e32 v7, 3, v8
	s_mov_b32 s15, exec_lo
	v_cmpx_gt_u32_e32 8, v8
; %bb.158:                              ;   in Loop: Header=BB287_15 Depth=1
	s_delay_alu instid0(VALU_DEP_3) | instskip(NEXT) | instid1(VALU_DEP_1)
	v_clz_i32_u32_e32 v6, v6
	v_min_u32_e32 v8, 32, v6
	s_delay_alu instid0(VALU_DEP_1) | instskip(NEXT) | instid1(VALU_DEP_1)
	v_subrev_nc_u32_e32 v6, 28, v8
	v_lshlrev_b64_e32 v[6:7], v6, v[24:25]
	s_delay_alu instid0(VALU_DEP_1)
	v_dual_sub_nc_u32 v7, 29, v8 :: v_dual_bitop2_b32 v6, 7, v6 bitop3:0x40
; %bb.159:                              ;   in Loop: Header=BB287_15 Depth=1
	s_or_b32 exec_lo, exec_lo, s15
	s_delay_alu instid0(VALU_DEP_1) | instskip(NEXT) | instid1(VALU_DEP_2)
	v_dual_lshlrev_b32 v0, 8, v0 :: v_dual_lshlrev_b32 v6, 23, v6
	v_lshl_add_u32 v7, v7, 10, 0x2000
	s_delay_alu instid0(VALU_DEP_1) | instskip(NEXT) | instid1(VALU_DEP_1)
	v_and_or_b32 v0, 0x8000, v0, v7
	v_lshl_or_b32 v30, v0, 16, v6
.LBB287_160:                            ;   in Loop: Header=BB287_15 Depth=1
	s_or_b32 exec_lo, exec_lo, s14
.LBB287_161:                            ;   in Loop: Header=BB287_15 Depth=1
	s_delay_alu instid0(SALU_CYCLE_1)
	s_or_b32 exec_lo, exec_lo, s11
.LBB287_162:                            ;   in Loop: Header=BB287_15 Depth=1
	s_delay_alu instid0(SALU_CYCLE_1) | instskip(SKIP_2) | instid1(VALU_DEP_1)
	s_or_b32 exec_lo, exec_lo, s8
	v_lshrrev_b32_e32 v0, 16, v4
	s_mov_b32 s8, exec_lo
	v_and_b32_e32 v6, 0xff, v0
	s_delay_alu instid0(VALU_DEP_1)
	v_cmpx_ne_u16_e32 0, v6
	s_cbranch_execz .LBB287_170
; %bb.163:                              ;   in Loop: Header=BB287_15 Depth=1
	v_mov_b32_e32 v85, 0x8000
	s_mov_b32 s11, exec_lo
	v_cmpx_ne_u16_e32 0x80, v6
	s_cbranch_execz .LBB287_169
; %bb.164:                              ;   in Loop: Header=BB287_15 Depth=1
	v_bfe_u32 v8, v4, 16, 7
	v_mov_b32_e32 v85, 0x7c01
	s_mov_b32 s14, exec_lo
	s_delay_alu instid0(VALU_DEP_2)
	v_cmpx_ne_u32_e32 0x7f, v8
	s_cbranch_execz .LBB287_168
; %bb.165:                              ;   in Loop: Header=BB287_15 Depth=1
	v_and_b32_e32 v6, 7, v0
	v_lshrrev_b32_e32 v7, 3, v8
	s_mov_b32 s15, exec_lo
	v_cmpx_gt_u32_e32 8, v8
; %bb.166:                              ;   in Loop: Header=BB287_15 Depth=1
	s_delay_alu instid0(VALU_DEP_3) | instskip(NEXT) | instid1(VALU_DEP_1)
	v_clz_i32_u32_e32 v6, v6
	v_min_u32_e32 v8, 32, v6
	s_delay_alu instid0(VALU_DEP_1) | instskip(NEXT) | instid1(VALU_DEP_1)
	v_subrev_nc_u32_e32 v6, 28, v8
	v_lshlrev_b64_e32 v[6:7], v6, v[0:1]
	s_delay_alu instid0(VALU_DEP_1)
	v_dual_sub_nc_u32 v7, 29, v8 :: v_dual_bitop2_b32 v6, 7, v6 bitop3:0x40
; %bb.167:                              ;   in Loop: Header=BB287_15 Depth=1
	s_or_b32 exec_lo, exec_lo, s15
	s_delay_alu instid0(VALU_DEP_1) | instskip(NEXT) | instid1(VALU_DEP_2)
	v_dual_lshlrev_b32 v0, 8, v0 :: v_dual_lshlrev_b32 v6, 7, v6
	v_lshl_add_u32 v7, v7, 10, 0x2000
	s_delay_alu instid0(VALU_DEP_2) | instskip(NEXT) | instid1(VALU_DEP_2)
	v_and_b32_e32 v0, 0x8000, v0
	v_and_b32_e32 v7, 0xfc00, v7
	s_delay_alu instid0(VALU_DEP_1)
	v_or3_b32 v85, v0, v7, v6
.LBB287_168:                            ;   in Loop: Header=BB287_15 Depth=1
	s_or_b32 exec_lo, exec_lo, s14
.LBB287_169:                            ;   in Loop: Header=BB287_15 Depth=1
	s_delay_alu instid0(SALU_CYCLE_1)
	s_or_b32 exec_lo, exec_lo, s11
.LBB287_170:                            ;   in Loop: Header=BB287_15 Depth=1
	s_delay_alu instid0(SALU_CYCLE_1)
	s_or_b32 exec_lo, exec_lo, s8
	v_dual_mov_b32 v57, 0 :: v_dual_mov_b32 v84, 0
	s_mov_b32 s8, exec_lo
	v_cmpx_lt_u32_e32 0xffffff, v4
	s_cbranch_execz .LBB287_178
; %bb.171:                              ;   in Loop: Header=BB287_15 Depth=1
	v_lshrrev_b32_e32 v24, 24, v4
	v_bfrev_b32_e32 v84, 1
	s_mov_b32 s11, exec_lo
	s_delay_alu instid0(VALU_DEP_2)
	v_cmpx_ne_u32_e32 0x80, v24
	s_cbranch_execz .LBB287_177
; %bb.172:                              ;   in Loop: Header=BB287_15 Depth=1
	v_and_b32_e32 v7, 0x7f, v24
	v_mov_b32_e32 v84, 0x7c010000
	s_mov_b32 s14, exec_lo
	s_delay_alu instid0(VALU_DEP_2)
	v_cmpx_ne_u32_e32 0x7f, v7
	s_cbranch_execz .LBB287_176
; %bb.173:                              ;   in Loop: Header=BB287_15 Depth=1
	v_dual_lshrrev_b32 v6, 3, v7 :: v_dual_bitop2_b32 v0, 7, v24 bitop3:0x40
	s_mov_b32 s15, exec_lo
	v_cmpx_gt_u32_e32 8, v7
; %bb.174:                              ;   in Loop: Header=BB287_15 Depth=1
	s_delay_alu instid0(VALU_DEP_2) | instskip(NEXT) | instid1(VALU_DEP_1)
	v_clz_i32_u32_e32 v0, v0
	v_min_u32_e32 v0, 32, v0
	s_delay_alu instid0(VALU_DEP_1) | instskip(NEXT) | instid1(VALU_DEP_1)
	v_subrev_nc_u32_e32 v6, 28, v0
	v_lshlrev_b64_e32 v[8:9], v6, v[24:25]
	v_sub_nc_u32_e32 v6, 29, v0
	s_delay_alu instid0(VALU_DEP_2)
	v_and_b32_e32 v0, 7, v8
; %bb.175:                              ;   in Loop: Header=BB287_15 Depth=1
	s_or_b32 exec_lo, exec_lo, s15
	v_lshlrev_b32_e32 v7, 8, v24
	s_delay_alu instid0(VALU_DEP_3) | instskip(NEXT) | instid1(VALU_DEP_3)
	v_lshl_add_u32 v6, v6, 10, 0x2000
	v_lshlrev_b32_e32 v0, 23, v0
	s_delay_alu instid0(VALU_DEP_2) | instskip(NEXT) | instid1(VALU_DEP_1)
	v_and_or_b32 v6, 0x8000, v7, v6
	v_lshl_or_b32 v84, v6, 16, v0
.LBB287_176:                            ;   in Loop: Header=BB287_15 Depth=1
	s_or_b32 exec_lo, exec_lo, s14
.LBB287_177:                            ;   in Loop: Header=BB287_15 Depth=1
	s_delay_alu instid0(SALU_CYCLE_1)
	s_or_b32 exec_lo, exec_lo, s11
.LBB287_178:                            ;   in Loop: Header=BB287_15 Depth=1
	s_delay_alu instid0(SALU_CYCLE_1) | instskip(SKIP_3) | instid1(VALU_DEP_2)
	s_or_b32 exec_lo, exec_lo, s8
	v_and_b32_e32 v0, 0xff, v5
	v_mov_b32_e32 v24, v5
	s_mov_b32 s8, exec_lo
	v_cmpx_ne_u16_e32 0, v0
	s_cbranch_execz .LBB287_186
; %bb.179:                              ;   in Loop: Header=BB287_15 Depth=1
	v_mov_b32_e32 v57, 0x8000
	s_mov_b32 s11, exec_lo
	v_cmpx_ne_u16_e32 0x80, v0
	s_cbranch_execz .LBB287_185
; %bb.180:                              ;   in Loop: Header=BB287_15 Depth=1
	v_and_b32_e32 v7, 0x7f, v5
	v_mov_b32_e32 v57, 0x7c01
	s_mov_b32 s14, exec_lo
	s_delay_alu instid0(VALU_DEP_2)
	v_cmpx_ne_u32_e32 0x7f, v7
	s_cbranch_execz .LBB287_184
; %bb.181:                              ;   in Loop: Header=BB287_15 Depth=1
	v_dual_lshrrev_b32 v6, 3, v7 :: v_dual_bitop2_b32 v0, 7, v5 bitop3:0x40
	s_mov_b32 s15, exec_lo
	v_cmpx_gt_u32_e32 8, v7
; %bb.182:                              ;   in Loop: Header=BB287_15 Depth=1
	s_delay_alu instid0(VALU_DEP_2) | instskip(NEXT) | instid1(VALU_DEP_1)
	v_clz_i32_u32_e32 v0, v0
	v_min_u32_e32 v0, 32, v0
	s_delay_alu instid0(VALU_DEP_1) | instskip(NEXT) | instid1(VALU_DEP_1)
	v_subrev_nc_u32_e32 v6, 28, v0
	v_lshlrev_b64_e32 v[8:9], v6, v[24:25]
	v_sub_nc_u32_e32 v6, 29, v0
	s_delay_alu instid0(VALU_DEP_2)
	v_and_b32_e32 v0, 7, v8
; %bb.183:                              ;   in Loop: Header=BB287_15 Depth=1
	s_or_b32 exec_lo, exec_lo, s15
	s_delay_alu instid0(VALU_DEP_1) | instskip(NEXT) | instid1(VALU_DEP_3)
	v_dual_lshlrev_b32 v7, 8, v5 :: v_dual_lshlrev_b32 v0, 7, v0
	v_lshl_add_u32 v6, v6, 10, 0x2000
	s_delay_alu instid0(VALU_DEP_2) | instskip(NEXT) | instid1(VALU_DEP_2)
	v_and_b32_e32 v7, 0x8000, v7
	v_and_b32_e32 v6, 0xfc00, v6
	s_delay_alu instid0(VALU_DEP_1)
	v_or3_b32 v57, v7, v6, v0
.LBB287_184:                            ;   in Loop: Header=BB287_15 Depth=1
	s_or_b32 exec_lo, exec_lo, s14
.LBB287_185:                            ;   in Loop: Header=BB287_15 Depth=1
	s_delay_alu instid0(SALU_CYCLE_1)
	s_or_b32 exec_lo, exec_lo, s11
.LBB287_186:                            ;   in Loop: Header=BB287_15 Depth=1
	s_delay_alu instid0(SALU_CYCLE_1) | instskip(SKIP_3) | instid1(VALU_DEP_2)
	s_or_b32 exec_lo, exec_lo, s8
	v_lshrrev_b16 v24, 8, v24
	v_dual_mov_b32 v73, 0 :: v_dual_mov_b32 v56, 0
	s_mov_b32 s8, exec_lo
	v_cmpx_ne_u16_e32 0, v24
	s_cbranch_execz .LBB287_194
; %bb.187:                              ;   in Loop: Header=BB287_15 Depth=1
	v_bfrev_b32_e32 v56, 1
	s_mov_b32 s11, exec_lo
	v_cmpx_ne_u16_e32 0x80, v24
	s_cbranch_execz .LBB287_193
; %bb.188:                              ;   in Loop: Header=BB287_15 Depth=1
	v_and_b32_e32 v0, 0xffff, v24
	v_mov_b32_e32 v56, 0x7c010000
	s_mov_b32 s14, exec_lo
	s_delay_alu instid0(VALU_DEP_2) | instskip(NEXT) | instid1(VALU_DEP_1)
	v_and_b32_e32 v8, 0x7f, v0
	v_cmpx_ne_u32_e32 0x7f, v8
	s_cbranch_execz .LBB287_192
; %bb.189:                              ;   in Loop: Header=BB287_15 Depth=1
	v_and_b32_e32 v6, 7, v0
	v_lshrrev_b32_e32 v7, 3, v8
	s_mov_b32 s15, exec_lo
	v_cmpx_gt_u32_e32 8, v8
; %bb.190:                              ;   in Loop: Header=BB287_15 Depth=1
	s_delay_alu instid0(VALU_DEP_3) | instskip(NEXT) | instid1(VALU_DEP_1)
	v_clz_i32_u32_e32 v6, v6
	v_min_u32_e32 v8, 32, v6
	s_delay_alu instid0(VALU_DEP_1) | instskip(NEXT) | instid1(VALU_DEP_1)
	v_subrev_nc_u32_e32 v6, 28, v8
	v_lshlrev_b64_e32 v[6:7], v6, v[24:25]
	s_delay_alu instid0(VALU_DEP_1)
	v_dual_sub_nc_u32 v7, 29, v8 :: v_dual_bitop2_b32 v6, 7, v6 bitop3:0x40
; %bb.191:                              ;   in Loop: Header=BB287_15 Depth=1
	s_or_b32 exec_lo, exec_lo, s15
	s_delay_alu instid0(VALU_DEP_1) | instskip(NEXT) | instid1(VALU_DEP_2)
	v_dual_lshlrev_b32 v0, 8, v0 :: v_dual_lshlrev_b32 v6, 23, v6
	v_lshl_add_u32 v7, v7, 10, 0x2000
	s_delay_alu instid0(VALU_DEP_1) | instskip(NEXT) | instid1(VALU_DEP_1)
	v_and_or_b32 v0, 0x8000, v0, v7
	v_lshl_or_b32 v56, v0, 16, v6
.LBB287_192:                            ;   in Loop: Header=BB287_15 Depth=1
	s_or_b32 exec_lo, exec_lo, s14
.LBB287_193:                            ;   in Loop: Header=BB287_15 Depth=1
	s_delay_alu instid0(SALU_CYCLE_1)
	s_or_b32 exec_lo, exec_lo, s11
.LBB287_194:                            ;   in Loop: Header=BB287_15 Depth=1
	s_delay_alu instid0(SALU_CYCLE_1) | instskip(SKIP_2) | instid1(VALU_DEP_1)
	s_or_b32 exec_lo, exec_lo, s8
	v_lshrrev_b32_e32 v0, 16, v5
	s_mov_b32 s8, exec_lo
	v_and_b32_e32 v6, 0xff, v0
	s_delay_alu instid0(VALU_DEP_1)
	v_cmpx_ne_u16_e32 0, v6
	s_cbranch_execz .LBB287_202
; %bb.195:                              ;   in Loop: Header=BB287_15 Depth=1
	v_mov_b32_e32 v73, 0x8000
	s_mov_b32 s11, exec_lo
	v_cmpx_ne_u16_e32 0x80, v6
	s_cbranch_execz .LBB287_201
; %bb.196:                              ;   in Loop: Header=BB287_15 Depth=1
	v_bfe_u32 v8, v5, 16, 7
	v_mov_b32_e32 v73, 0x7c01
	s_mov_b32 s14, exec_lo
	s_delay_alu instid0(VALU_DEP_2)
	v_cmpx_ne_u32_e32 0x7f, v8
	s_cbranch_execz .LBB287_200
; %bb.197:                              ;   in Loop: Header=BB287_15 Depth=1
	v_and_b32_e32 v6, 7, v0
	v_lshrrev_b32_e32 v7, 3, v8
	s_mov_b32 s15, exec_lo
	v_cmpx_gt_u32_e32 8, v8
; %bb.198:                              ;   in Loop: Header=BB287_15 Depth=1
	s_delay_alu instid0(VALU_DEP_3) | instskip(NEXT) | instid1(VALU_DEP_1)
	v_clz_i32_u32_e32 v6, v6
	v_min_u32_e32 v8, 32, v6
	s_delay_alu instid0(VALU_DEP_1) | instskip(NEXT) | instid1(VALU_DEP_1)
	v_subrev_nc_u32_e32 v6, 28, v8
	v_lshlrev_b64_e32 v[6:7], v6, v[0:1]
	s_delay_alu instid0(VALU_DEP_1)
	v_dual_sub_nc_u32 v7, 29, v8 :: v_dual_bitop2_b32 v6, 7, v6 bitop3:0x40
; %bb.199:                              ;   in Loop: Header=BB287_15 Depth=1
	s_or_b32 exec_lo, exec_lo, s15
	s_delay_alu instid0(VALU_DEP_1) | instskip(NEXT) | instid1(VALU_DEP_2)
	v_dual_lshlrev_b32 v0, 8, v0 :: v_dual_lshlrev_b32 v6, 7, v6
	v_lshl_add_u32 v7, v7, 10, 0x2000
	s_delay_alu instid0(VALU_DEP_2) | instskip(NEXT) | instid1(VALU_DEP_2)
	v_and_b32_e32 v0, 0x8000, v0
	v_and_b32_e32 v7, 0xfc00, v7
	s_delay_alu instid0(VALU_DEP_1)
	v_or3_b32 v73, v0, v7, v6
.LBB287_200:                            ;   in Loop: Header=BB287_15 Depth=1
	s_or_b32 exec_lo, exec_lo, s14
.LBB287_201:                            ;   in Loop: Header=BB287_15 Depth=1
	s_delay_alu instid0(SALU_CYCLE_1)
	s_or_b32 exec_lo, exec_lo, s11
.LBB287_202:                            ;   in Loop: Header=BB287_15 Depth=1
	s_delay_alu instid0(SALU_CYCLE_1)
	s_or_b32 exec_lo, exec_lo, s8
	v_dual_mov_b32 v86, 0 :: v_dual_mov_b32 v87, 0
	s_mov_b32 s8, exec_lo
	v_cmpx_lt_u64_e64 s[4:5], v[4:5]
	s_cbranch_execz .LBB287_210
; %bb.203:                              ;   in Loop: Header=BB287_15 Depth=1
	v_lshrrev_b32_e32 v24, 24, v5
	v_bfrev_b32_e32 v87, 1
	s_mov_b32 s11, exec_lo
	s_delay_alu instid0(VALU_DEP_2)
	v_cmpx_ne_u32_e32 0x80, v24
	s_cbranch_execz .LBB287_209
; %bb.204:                              ;   in Loop: Header=BB287_15 Depth=1
	v_and_b32_e32 v5, 0x7f, v24
	v_mov_b32_e32 v87, 0x7c010000
	s_mov_b32 s14, exec_lo
	s_delay_alu instid0(VALU_DEP_2)
	v_cmpx_ne_u32_e32 0x7f, v5
	s_cbranch_execz .LBB287_208
; %bb.205:                              ;   in Loop: Header=BB287_15 Depth=1
	v_dual_lshrrev_b32 v4, 3, v5 :: v_dual_bitop2_b32 v0, 7, v24 bitop3:0x40
	s_mov_b32 s15, exec_lo
	v_cmpx_gt_u32_e32 8, v5
; %bb.206:                              ;   in Loop: Header=BB287_15 Depth=1
	s_delay_alu instid0(VALU_DEP_2) | instskip(NEXT) | instid1(VALU_DEP_1)
	v_clz_i32_u32_e32 v0, v0
	v_min_u32_e32 v0, 32, v0
	s_delay_alu instid0(VALU_DEP_1) | instskip(NEXT) | instid1(VALU_DEP_1)
	v_subrev_nc_u32_e32 v4, 28, v0
	v_lshlrev_b64_e32 v[6:7], v4, v[24:25]
	s_delay_alu instid0(VALU_DEP_1)
	v_dual_sub_nc_u32 v4, 29, v0 :: v_dual_bitop2_b32 v0, 7, v6 bitop3:0x40
; %bb.207:                              ;   in Loop: Header=BB287_15 Depth=1
	s_or_b32 exec_lo, exec_lo, s15
	v_lshlrev_b32_e32 v5, 8, v24
	s_delay_alu instid0(VALU_DEP_2) | instskip(NEXT) | instid1(VALU_DEP_3)
	v_lshl_add_u32 v4, v4, 10, 0x2000
	v_lshlrev_b32_e32 v0, 23, v0
	s_delay_alu instid0(VALU_DEP_2) | instskip(NEXT) | instid1(VALU_DEP_1)
	v_and_or_b32 v4, 0x8000, v5, v4
	v_lshl_or_b32 v87, v4, 16, v0
.LBB287_208:                            ;   in Loop: Header=BB287_15 Depth=1
	s_or_b32 exec_lo, exec_lo, s14
.LBB287_209:                            ;   in Loop: Header=BB287_15 Depth=1
	s_delay_alu instid0(SALU_CYCLE_1)
	s_or_b32 exec_lo, exec_lo, s11
.LBB287_210:                            ;   in Loop: Header=BB287_15 Depth=1
	s_delay_alu instid0(SALU_CYCLE_1)
	s_or_b32 exec_lo, exec_lo, s8
	flat_load_b64 v[4:5], v[2:3] offset:520
	s_mov_b32 s8, exec_lo
	s_wait_loadcnt_dscnt 0x0
	v_and_b32_e32 v0, 0xff, v4
	s_wait_xcnt 0x0
	s_delay_alu instid0(VALU_DEP_1)
	v_cmpx_ne_u16_e32 0, v0
	s_cbranch_execz .LBB287_218
; %bb.211:                              ;   in Loop: Header=BB287_15 Depth=1
	v_mov_b32_e32 v86, 0x8000
	s_mov_b32 s11, exec_lo
	v_cmpx_ne_u16_e32 0x80, v0
	s_cbranch_execz .LBB287_217
; %bb.212:                              ;   in Loop: Header=BB287_15 Depth=1
	v_and_b32_e32 v7, 0x7f, v4
	v_mov_b32_e32 v86, 0x7c01
	s_mov_b32 s14, exec_lo
	s_delay_alu instid0(VALU_DEP_2)
	v_cmpx_ne_u32_e32 0x7f, v7
	s_cbranch_execz .LBB287_216
; %bb.213:                              ;   in Loop: Header=BB287_15 Depth=1
	v_dual_lshrrev_b32 v6, 3, v7 :: v_dual_bitop2_b32 v0, 7, v4 bitop3:0x40
	s_mov_b32 s15, exec_lo
	v_cmpx_gt_u32_e32 8, v7
; %bb.214:                              ;   in Loop: Header=BB287_15 Depth=1
	s_delay_alu instid0(VALU_DEP_2) | instskip(NEXT) | instid1(VALU_DEP_1)
	v_clz_i32_u32_e32 v0, v0
	v_min_u32_e32 v0, 32, v0
	s_delay_alu instid0(VALU_DEP_1) | instskip(NEXT) | instid1(VALU_DEP_1)
	v_subrev_nc_u32_e32 v6, 28, v0
	v_lshlrev_b64_e32 v[8:9], v6, v[4:5]
	v_sub_nc_u32_e32 v6, 29, v0
	s_delay_alu instid0(VALU_DEP_2)
	v_and_b32_e32 v0, 7, v8
; %bb.215:                              ;   in Loop: Header=BB287_15 Depth=1
	s_or_b32 exec_lo, exec_lo, s15
	v_lshlrev_b32_e32 v7, 8, v4
	s_delay_alu instid0(VALU_DEP_3) | instskip(NEXT) | instid1(VALU_DEP_3)
	v_lshl_add_u32 v6, v6, 10, 0x2000
	v_lshlrev_b32_e32 v0, 7, v0
	s_delay_alu instid0(VALU_DEP_3) | instskip(NEXT) | instid1(VALU_DEP_3)
	v_and_b32_e32 v7, 0x8000, v7
	v_and_b32_e32 v6, 0xfc00, v6
	s_delay_alu instid0(VALU_DEP_1)
	v_or3_b32 v86, v7, v6, v0
.LBB287_216:                            ;   in Loop: Header=BB287_15 Depth=1
	s_or_b32 exec_lo, exec_lo, s14
.LBB287_217:                            ;   in Loop: Header=BB287_15 Depth=1
	s_delay_alu instid0(SALU_CYCLE_1)
	s_or_b32 exec_lo, exec_lo, s11
.LBB287_218:                            ;   in Loop: Header=BB287_15 Depth=1
	s_delay_alu instid0(SALU_CYCLE_1) | instskip(SKIP_3) | instid1(VALU_DEP_2)
	s_or_b32 exec_lo, exec_lo, s8
	v_lshrrev_b16 v24, 8, v4
	v_dual_mov_b32 v72, 0 :: v_dual_mov_b32 v119, 0
	s_mov_b32 s8, exec_lo
	v_cmpx_ne_u16_e32 0, v24
	s_cbranch_execz .LBB287_226
; %bb.219:                              ;   in Loop: Header=BB287_15 Depth=1
	v_bfrev_b32_e32 v119, 1
	s_mov_b32 s11, exec_lo
	v_cmpx_ne_u16_e32 0x80, v24
	s_cbranch_execz .LBB287_225
; %bb.220:                              ;   in Loop: Header=BB287_15 Depth=1
	v_and_b32_e32 v0, 0xffff, v24
	v_mov_b32_e32 v119, 0x7c010000
	s_mov_b32 s14, exec_lo
	s_delay_alu instid0(VALU_DEP_2) | instskip(NEXT) | instid1(VALU_DEP_1)
	v_and_b32_e32 v8, 0x7f, v0
	v_cmpx_ne_u32_e32 0x7f, v8
	s_cbranch_execz .LBB287_224
; %bb.221:                              ;   in Loop: Header=BB287_15 Depth=1
	v_and_b32_e32 v6, 7, v0
	v_lshrrev_b32_e32 v7, 3, v8
	s_mov_b32 s15, exec_lo
	v_cmpx_gt_u32_e32 8, v8
; %bb.222:                              ;   in Loop: Header=BB287_15 Depth=1
	s_delay_alu instid0(VALU_DEP_3) | instskip(NEXT) | instid1(VALU_DEP_1)
	v_clz_i32_u32_e32 v6, v6
	v_min_u32_e32 v8, 32, v6
	s_delay_alu instid0(VALU_DEP_1) | instskip(NEXT) | instid1(VALU_DEP_1)
	v_subrev_nc_u32_e32 v6, 28, v8
	v_lshlrev_b64_e32 v[6:7], v6, v[24:25]
	s_delay_alu instid0(VALU_DEP_1)
	v_dual_sub_nc_u32 v7, 29, v8 :: v_dual_bitop2_b32 v6, 7, v6 bitop3:0x40
; %bb.223:                              ;   in Loop: Header=BB287_15 Depth=1
	s_or_b32 exec_lo, exec_lo, s15
	s_delay_alu instid0(VALU_DEP_1) | instskip(NEXT) | instid1(VALU_DEP_2)
	v_dual_lshlrev_b32 v0, 8, v0 :: v_dual_lshlrev_b32 v6, 23, v6
	v_lshl_add_u32 v7, v7, 10, 0x2000
	s_delay_alu instid0(VALU_DEP_1) | instskip(NEXT) | instid1(VALU_DEP_1)
	v_and_or_b32 v0, 0x8000, v0, v7
	v_lshl_or_b32 v119, v0, 16, v6
.LBB287_224:                            ;   in Loop: Header=BB287_15 Depth=1
	s_or_b32 exec_lo, exec_lo, s14
.LBB287_225:                            ;   in Loop: Header=BB287_15 Depth=1
	s_delay_alu instid0(SALU_CYCLE_1)
	s_or_b32 exec_lo, exec_lo, s11
.LBB287_226:                            ;   in Loop: Header=BB287_15 Depth=1
	s_delay_alu instid0(SALU_CYCLE_1) | instskip(SKIP_2) | instid1(VALU_DEP_1)
	s_or_b32 exec_lo, exec_lo, s8
	v_lshrrev_b32_e32 v0, 16, v4
	s_mov_b32 s8, exec_lo
	v_and_b32_e32 v6, 0xff, v0
	s_delay_alu instid0(VALU_DEP_1)
	v_cmpx_ne_u16_e32 0, v6
	s_cbranch_execz .LBB287_234
; %bb.227:                              ;   in Loop: Header=BB287_15 Depth=1
	v_mov_b32_e32 v72, 0x8000
	s_mov_b32 s11, exec_lo
	v_cmpx_ne_u16_e32 0x80, v6
	s_cbranch_execz .LBB287_233
; %bb.228:                              ;   in Loop: Header=BB287_15 Depth=1
	v_bfe_u32 v8, v4, 16, 7
	v_mov_b32_e32 v72, 0x7c01
	s_mov_b32 s14, exec_lo
	s_delay_alu instid0(VALU_DEP_2)
	v_cmpx_ne_u32_e32 0x7f, v8
	s_cbranch_execz .LBB287_232
; %bb.229:                              ;   in Loop: Header=BB287_15 Depth=1
	v_and_b32_e32 v6, 7, v0
	v_lshrrev_b32_e32 v7, 3, v8
	s_mov_b32 s15, exec_lo
	v_cmpx_gt_u32_e32 8, v8
; %bb.230:                              ;   in Loop: Header=BB287_15 Depth=1
	s_delay_alu instid0(VALU_DEP_3) | instskip(NEXT) | instid1(VALU_DEP_1)
	v_clz_i32_u32_e32 v6, v6
	v_min_u32_e32 v8, 32, v6
	s_delay_alu instid0(VALU_DEP_1) | instskip(NEXT) | instid1(VALU_DEP_1)
	v_subrev_nc_u32_e32 v6, 28, v8
	v_lshlrev_b64_e32 v[6:7], v6, v[0:1]
	s_delay_alu instid0(VALU_DEP_1)
	v_dual_sub_nc_u32 v7, 29, v8 :: v_dual_bitop2_b32 v6, 7, v6 bitop3:0x40
; %bb.231:                              ;   in Loop: Header=BB287_15 Depth=1
	s_or_b32 exec_lo, exec_lo, s15
	s_delay_alu instid0(VALU_DEP_1) | instskip(NEXT) | instid1(VALU_DEP_2)
	v_dual_lshlrev_b32 v0, 8, v0 :: v_dual_lshlrev_b32 v6, 7, v6
	v_lshl_add_u32 v7, v7, 10, 0x2000
	s_delay_alu instid0(VALU_DEP_2) | instskip(NEXT) | instid1(VALU_DEP_2)
	v_and_b32_e32 v0, 0x8000, v0
	v_and_b32_e32 v7, 0xfc00, v7
	s_delay_alu instid0(VALU_DEP_1)
	v_or3_b32 v72, v0, v7, v6
.LBB287_232:                            ;   in Loop: Header=BB287_15 Depth=1
	s_or_b32 exec_lo, exec_lo, s14
.LBB287_233:                            ;   in Loop: Header=BB287_15 Depth=1
	s_delay_alu instid0(SALU_CYCLE_1)
	s_or_b32 exec_lo, exec_lo, s11
.LBB287_234:                            ;   in Loop: Header=BB287_15 Depth=1
	s_delay_alu instid0(SALU_CYCLE_1)
	s_or_b32 exec_lo, exec_lo, s8
	v_dual_mov_b32 v42, 0 :: v_dual_mov_b32 v117, 0
	s_mov_b32 s8, exec_lo
	v_cmpx_lt_u32_e32 0xffffff, v4
	s_cbranch_execz .LBB287_242
; %bb.235:                              ;   in Loop: Header=BB287_15 Depth=1
	v_lshrrev_b32_e32 v24, 24, v4
	v_bfrev_b32_e32 v117, 1
	s_mov_b32 s11, exec_lo
	s_delay_alu instid0(VALU_DEP_2)
	v_cmpx_ne_u32_e32 0x80, v24
	s_cbranch_execz .LBB287_241
; %bb.236:                              ;   in Loop: Header=BB287_15 Depth=1
	v_and_b32_e32 v7, 0x7f, v24
	v_mov_b32_e32 v117, 0x7c010000
	s_mov_b32 s14, exec_lo
	s_delay_alu instid0(VALU_DEP_2)
	v_cmpx_ne_u32_e32 0x7f, v7
	s_cbranch_execz .LBB287_240
; %bb.237:                              ;   in Loop: Header=BB287_15 Depth=1
	v_dual_lshrrev_b32 v6, 3, v7 :: v_dual_bitop2_b32 v0, 7, v24 bitop3:0x40
	s_mov_b32 s15, exec_lo
	v_cmpx_gt_u32_e32 8, v7
; %bb.238:                              ;   in Loop: Header=BB287_15 Depth=1
	s_delay_alu instid0(VALU_DEP_2) | instskip(NEXT) | instid1(VALU_DEP_1)
	v_clz_i32_u32_e32 v0, v0
	v_min_u32_e32 v0, 32, v0
	s_delay_alu instid0(VALU_DEP_1) | instskip(NEXT) | instid1(VALU_DEP_1)
	v_subrev_nc_u32_e32 v6, 28, v0
	v_lshlrev_b64_e32 v[8:9], v6, v[24:25]
	v_sub_nc_u32_e32 v6, 29, v0
	s_delay_alu instid0(VALU_DEP_2)
	v_and_b32_e32 v0, 7, v8
; %bb.239:                              ;   in Loop: Header=BB287_15 Depth=1
	s_or_b32 exec_lo, exec_lo, s15
	v_lshlrev_b32_e32 v7, 8, v24
	s_delay_alu instid0(VALU_DEP_3) | instskip(NEXT) | instid1(VALU_DEP_3)
	v_lshl_add_u32 v6, v6, 10, 0x2000
	v_lshlrev_b32_e32 v0, 23, v0
	s_delay_alu instid0(VALU_DEP_2) | instskip(NEXT) | instid1(VALU_DEP_1)
	v_and_or_b32 v6, 0x8000, v7, v6
	v_lshl_or_b32 v117, v6, 16, v0
.LBB287_240:                            ;   in Loop: Header=BB287_15 Depth=1
	s_or_b32 exec_lo, exec_lo, s14
.LBB287_241:                            ;   in Loop: Header=BB287_15 Depth=1
	s_delay_alu instid0(SALU_CYCLE_1)
	s_or_b32 exec_lo, exec_lo, s11
.LBB287_242:                            ;   in Loop: Header=BB287_15 Depth=1
	s_delay_alu instid0(SALU_CYCLE_1) | instskip(SKIP_3) | instid1(VALU_DEP_2)
	s_or_b32 exec_lo, exec_lo, s8
	v_and_b32_e32 v0, 0xff, v5
	v_mov_b32_e32 v24, v5
	s_mov_b32 s8, exec_lo
	v_cmpx_ne_u16_e32 0, v0
	s_cbranch_execz .LBB287_250
; %bb.243:                              ;   in Loop: Header=BB287_15 Depth=1
	v_mov_b32_e32 v42, 0x8000
	s_mov_b32 s11, exec_lo
	v_cmpx_ne_u16_e32 0x80, v0
	s_cbranch_execz .LBB287_249
; %bb.244:                              ;   in Loop: Header=BB287_15 Depth=1
	v_and_b32_e32 v7, 0x7f, v5
	v_mov_b32_e32 v42, 0x7c01
	s_mov_b32 s14, exec_lo
	s_delay_alu instid0(VALU_DEP_2)
	v_cmpx_ne_u32_e32 0x7f, v7
	s_cbranch_execz .LBB287_248
; %bb.245:                              ;   in Loop: Header=BB287_15 Depth=1
	v_dual_lshrrev_b32 v6, 3, v7 :: v_dual_bitop2_b32 v0, 7, v5 bitop3:0x40
	s_mov_b32 s15, exec_lo
	v_cmpx_gt_u32_e32 8, v7
; %bb.246:                              ;   in Loop: Header=BB287_15 Depth=1
	s_delay_alu instid0(VALU_DEP_2) | instskip(NEXT) | instid1(VALU_DEP_1)
	v_clz_i32_u32_e32 v0, v0
	v_min_u32_e32 v0, 32, v0
	s_delay_alu instid0(VALU_DEP_1) | instskip(NEXT) | instid1(VALU_DEP_1)
	v_subrev_nc_u32_e32 v6, 28, v0
	v_lshlrev_b64_e32 v[8:9], v6, v[24:25]
	v_sub_nc_u32_e32 v6, 29, v0
	s_delay_alu instid0(VALU_DEP_2)
	v_and_b32_e32 v0, 7, v8
; %bb.247:                              ;   in Loop: Header=BB287_15 Depth=1
	s_or_b32 exec_lo, exec_lo, s15
	s_delay_alu instid0(VALU_DEP_1) | instskip(NEXT) | instid1(VALU_DEP_3)
	v_dual_lshlrev_b32 v7, 8, v5 :: v_dual_lshlrev_b32 v0, 7, v0
	v_lshl_add_u32 v6, v6, 10, 0x2000
	s_delay_alu instid0(VALU_DEP_2) | instskip(NEXT) | instid1(VALU_DEP_2)
	v_and_b32_e32 v7, 0x8000, v7
	v_and_b32_e32 v6, 0xfc00, v6
	s_delay_alu instid0(VALU_DEP_1)
	v_or3_b32 v42, v7, v6, v0
.LBB287_248:                            ;   in Loop: Header=BB287_15 Depth=1
	s_or_b32 exec_lo, exec_lo, s14
.LBB287_249:                            ;   in Loop: Header=BB287_15 Depth=1
	s_delay_alu instid0(SALU_CYCLE_1)
	s_or_b32 exec_lo, exec_lo, s11
.LBB287_250:                            ;   in Loop: Header=BB287_15 Depth=1
	s_delay_alu instid0(SALU_CYCLE_1)
	s_or_b32 exec_lo, exec_lo, s8
	v_lshrrev_b16 v24, 8, v24
	v_dual_mov_b32 v115, 0 :: v_dual_mov_b32 v0, 0
	s_mov_b32 s8, exec_lo
	scratch_store_b32 off, v0, s32 offset:232 ; 4-byte Folded Spill
	s_wait_xcnt 0x0
	v_cmpx_ne_u16_e32 0, v24
	s_cbranch_execz .LBB287_258
; %bb.251:                              ;   in Loop: Header=BB287_15 Depth=1
	v_bfrev_b32_e32 v0, 1
	s_mov_b32 s11, exec_lo
	scratch_store_b32 off, v0, s32 offset:232 ; 4-byte Folded Spill
	s_wait_xcnt 0x0
	v_cmpx_ne_u16_e32 0x80, v24
	s_cbranch_execz .LBB287_257
; %bb.252:                              ;   in Loop: Header=BB287_15 Depth=1
	v_and_b32_e32 v0, 0xffff, v24
	v_mov_b32_e32 v6, 0x7c010000
	s_mov_b32 s14, exec_lo
	s_delay_alu instid0(VALU_DEP_2)
	v_and_b32_e32 v8, 0x7f, v0
	scratch_store_b32 off, v6, s32 offset:232 ; 4-byte Folded Spill
	s_wait_xcnt 0x0
	v_cmpx_ne_u32_e32 0x7f, v8
	s_cbranch_execz .LBB287_256
; %bb.253:                              ;   in Loop: Header=BB287_15 Depth=1
	v_and_b32_e32 v6, 7, v0
	v_lshrrev_b32_e32 v7, 3, v8
	s_mov_b32 s15, exec_lo
	v_cmpx_gt_u32_e32 8, v8
; %bb.254:                              ;   in Loop: Header=BB287_15 Depth=1
	s_delay_alu instid0(VALU_DEP_3) | instskip(NEXT) | instid1(VALU_DEP_1)
	v_clz_i32_u32_e32 v6, v6
	v_min_u32_e32 v8, 32, v6
	s_delay_alu instid0(VALU_DEP_1) | instskip(NEXT) | instid1(VALU_DEP_1)
	v_subrev_nc_u32_e32 v6, 28, v8
	v_lshlrev_b64_e32 v[6:7], v6, v[24:25]
	s_delay_alu instid0(VALU_DEP_1)
	v_dual_sub_nc_u32 v7, 29, v8 :: v_dual_bitop2_b32 v6, 7, v6 bitop3:0x40
; %bb.255:                              ;   in Loop: Header=BB287_15 Depth=1
	s_or_b32 exec_lo, exec_lo, s15
	s_delay_alu instid0(VALU_DEP_1) | instskip(NEXT) | instid1(VALU_DEP_2)
	v_dual_lshlrev_b32 v0, 8, v0 :: v_dual_lshlrev_b32 v6, 23, v6
	v_lshl_add_u32 v7, v7, 10, 0x2000
	s_delay_alu instid0(VALU_DEP_1) | instskip(NEXT) | instid1(VALU_DEP_1)
	v_and_or_b32 v0, 0x8000, v0, v7
	v_lshl_or_b32 v0, v0, 16, v6
	scratch_store_b32 off, v0, s32 offset:232 ; 4-byte Folded Spill
.LBB287_256:                            ;   in Loop: Header=BB287_15 Depth=1
	s_wait_xcnt 0x0
	s_or_b32 exec_lo, exec_lo, s14
.LBB287_257:                            ;   in Loop: Header=BB287_15 Depth=1
	s_delay_alu instid0(SALU_CYCLE_1)
	s_or_b32 exec_lo, exec_lo, s11
.LBB287_258:                            ;   in Loop: Header=BB287_15 Depth=1
	s_delay_alu instid0(SALU_CYCLE_1) | instskip(SKIP_2) | instid1(VALU_DEP_1)
	s_or_b32 exec_lo, exec_lo, s8
	v_lshrrev_b32_e32 v0, 16, v5
	s_mov_b32 s8, exec_lo
	v_and_b32_e32 v6, 0xff, v0
	s_delay_alu instid0(VALU_DEP_1)
	v_cmpx_ne_u16_e32 0, v6
	s_cbranch_execz .LBB287_266
; %bb.259:                              ;   in Loop: Header=BB287_15 Depth=1
	v_mov_b32_e32 v115, 0x8000
	s_mov_b32 s11, exec_lo
	v_cmpx_ne_u16_e32 0x80, v6
	s_cbranch_execz .LBB287_265
; %bb.260:                              ;   in Loop: Header=BB287_15 Depth=1
	v_bfe_u32 v8, v5, 16, 7
	v_mov_b32_e32 v115, 0x7c01
	s_mov_b32 s14, exec_lo
	s_delay_alu instid0(VALU_DEP_2)
	v_cmpx_ne_u32_e32 0x7f, v8
	s_cbranch_execz .LBB287_264
; %bb.261:                              ;   in Loop: Header=BB287_15 Depth=1
	v_and_b32_e32 v6, 7, v0
	v_lshrrev_b32_e32 v7, 3, v8
	s_mov_b32 s15, exec_lo
	v_cmpx_gt_u32_e32 8, v8
; %bb.262:                              ;   in Loop: Header=BB287_15 Depth=1
	s_delay_alu instid0(VALU_DEP_3) | instskip(NEXT) | instid1(VALU_DEP_1)
	v_clz_i32_u32_e32 v6, v6
	v_min_u32_e32 v8, 32, v6
	s_delay_alu instid0(VALU_DEP_1) | instskip(NEXT) | instid1(VALU_DEP_1)
	v_subrev_nc_u32_e32 v6, 28, v8
	v_lshlrev_b64_e32 v[6:7], v6, v[0:1]
	s_delay_alu instid0(VALU_DEP_1)
	v_dual_sub_nc_u32 v7, 29, v8 :: v_dual_bitop2_b32 v6, 7, v6 bitop3:0x40
; %bb.263:                              ;   in Loop: Header=BB287_15 Depth=1
	s_or_b32 exec_lo, exec_lo, s15
	s_delay_alu instid0(VALU_DEP_1) | instskip(NEXT) | instid1(VALU_DEP_2)
	v_dual_lshlrev_b32 v0, 8, v0 :: v_dual_lshlrev_b32 v6, 7, v6
	v_lshl_add_u32 v7, v7, 10, 0x2000
	s_delay_alu instid0(VALU_DEP_2) | instskip(NEXT) | instid1(VALU_DEP_2)
	v_and_b32_e32 v0, 0x8000, v0
	v_and_b32_e32 v7, 0xfc00, v7
	s_delay_alu instid0(VALU_DEP_1)
	v_or3_b32 v115, v0, v7, v6
.LBB287_264:                            ;   in Loop: Header=BB287_15 Depth=1
	s_or_b32 exec_lo, exec_lo, s14
.LBB287_265:                            ;   in Loop: Header=BB287_15 Depth=1
	s_delay_alu instid0(SALU_CYCLE_1)
	s_or_b32 exec_lo, exec_lo, s11
.LBB287_266:                            ;   in Loop: Header=BB287_15 Depth=1
	s_delay_alu instid0(SALU_CYCLE_1)
	s_or_b32 exec_lo, exec_lo, s8
	v_mov_b32_e32 v0, 0
	s_mov_b32 s8, exec_lo
	scratch_store_b32 off, v0, s32 offset:240 ; 4-byte Folded Spill
	s_wait_xcnt 0x0
	v_mov_b32_e32 v0, 0
	scratch_store_b32 off, v0, s32 offset:244 ; 4-byte Folded Spill
	s_wait_xcnt 0x0
	v_cmpx_lt_u64_e64 s[4:5], v[4:5]
	s_cbranch_execz .LBB287_274
; %bb.267:                              ;   in Loop: Header=BB287_15 Depth=1
	v_lshrrev_b32_e32 v24, 24, v5
	v_bfrev_b32_e32 v0, 1
	s_mov_b32 s11, exec_lo
	scratch_store_b32 off, v0, s32 offset:244 ; 4-byte Folded Spill
	s_wait_xcnt 0x0
	v_cmpx_ne_u32_e32 0x80, v24
	s_cbranch_execz .LBB287_273
; %bb.268:                              ;   in Loop: Header=BB287_15 Depth=1
	v_and_b32_e32 v5, 0x7f, v24
	v_mov_b32_e32 v0, 0x7c010000
	s_mov_b32 s14, exec_lo
	scratch_store_b32 off, v0, s32 offset:244 ; 4-byte Folded Spill
	s_wait_xcnt 0x0
	v_cmpx_ne_u32_e32 0x7f, v5
	s_cbranch_execz .LBB287_272
; %bb.269:                              ;   in Loop: Header=BB287_15 Depth=1
	v_dual_lshrrev_b32 v4, 3, v5 :: v_dual_bitop2_b32 v0, 7, v24 bitop3:0x40
	s_mov_b32 s15, exec_lo
	v_cmpx_gt_u32_e32 8, v5
; %bb.270:                              ;   in Loop: Header=BB287_15 Depth=1
	s_delay_alu instid0(VALU_DEP_2) | instskip(NEXT) | instid1(VALU_DEP_1)
	v_clz_i32_u32_e32 v0, v0
	v_min_u32_e32 v0, 32, v0
	s_delay_alu instid0(VALU_DEP_1) | instskip(NEXT) | instid1(VALU_DEP_1)
	v_subrev_nc_u32_e32 v4, 28, v0
	v_lshlrev_b64_e32 v[6:7], v4, v[24:25]
	s_delay_alu instid0(VALU_DEP_1)
	v_dual_sub_nc_u32 v4, 29, v0 :: v_dual_bitop2_b32 v0, 7, v6 bitop3:0x40
; %bb.271:                              ;   in Loop: Header=BB287_15 Depth=1
	s_or_b32 exec_lo, exec_lo, s15
	v_lshlrev_b32_e32 v5, 8, v24
	s_delay_alu instid0(VALU_DEP_2) | instskip(NEXT) | instid1(VALU_DEP_3)
	v_lshl_add_u32 v4, v4, 10, 0x2000
	v_lshlrev_b32_e32 v0, 23, v0
	s_delay_alu instid0(VALU_DEP_2) | instskip(NEXT) | instid1(VALU_DEP_1)
	v_and_or_b32 v4, 0x8000, v5, v4
	v_lshl_or_b32 v0, v4, 16, v0
	scratch_store_b32 off, v0, s32 offset:244 ; 4-byte Folded Spill
.LBB287_272:                            ;   in Loop: Header=BB287_15 Depth=1
	s_wait_xcnt 0x0
	s_or_b32 exec_lo, exec_lo, s14
.LBB287_273:                            ;   in Loop: Header=BB287_15 Depth=1
	s_delay_alu instid0(SALU_CYCLE_1)
	s_or_b32 exec_lo, exec_lo, s11
.LBB287_274:                            ;   in Loop: Header=BB287_15 Depth=1
	s_delay_alu instid0(SALU_CYCLE_1)
	s_or_b32 exec_lo, exec_lo, s8
	flat_load_b64 v[4:5], v[2:3] offset:1024
	s_mov_b32 s8, exec_lo
	s_wait_loadcnt_dscnt 0x0
	v_and_b32_e32 v0, 0xff, v4
	s_wait_xcnt 0x0
	s_delay_alu instid0(VALU_DEP_1)
	v_cmpx_ne_u16_e32 0, v0
	s_cbranch_execz .LBB287_282
; %bb.275:                              ;   in Loop: Header=BB287_15 Depth=1
	v_cmp_ne_u16_e64 s1, 0x80, v0
	v_mov_b32_e32 v0, 0x8000
	scratch_store_b32 off, v0, s32 offset:240 ; 4-byte Folded Spill
	s_wait_xcnt 0x0
	s_and_saveexec_b32 s11, s1
	s_cbranch_execz .LBB287_281
; %bb.276:                              ;   in Loop: Header=BB287_15 Depth=1
	v_and_b32_e32 v7, 0x7f, v4
	v_mov_b32_e32 v0, 0x7c01
	s_mov_b32 s14, exec_lo
	scratch_store_b32 off, v0, s32 offset:240 ; 4-byte Folded Spill
	s_wait_xcnt 0x0
	v_cmpx_ne_u32_e32 0x7f, v7
	s_cbranch_execz .LBB287_280
; %bb.277:                              ;   in Loop: Header=BB287_15 Depth=1
	v_dual_lshrrev_b32 v6, 3, v7 :: v_dual_bitop2_b32 v0, 7, v4 bitop3:0x40
	s_mov_b32 s15, exec_lo
	v_cmpx_gt_u32_e32 8, v7
; %bb.278:                              ;   in Loop: Header=BB287_15 Depth=1
	s_delay_alu instid0(VALU_DEP_2) | instskip(NEXT) | instid1(VALU_DEP_1)
	v_clz_i32_u32_e32 v0, v0
	v_min_u32_e32 v0, 32, v0
	s_delay_alu instid0(VALU_DEP_1) | instskip(NEXT) | instid1(VALU_DEP_1)
	v_subrev_nc_u32_e32 v6, 28, v0
	v_lshlrev_b64_e32 v[8:9], v6, v[4:5]
	v_sub_nc_u32_e32 v6, 29, v0
	s_delay_alu instid0(VALU_DEP_2)
	v_and_b32_e32 v0, 7, v8
; %bb.279:                              ;   in Loop: Header=BB287_15 Depth=1
	s_or_b32 exec_lo, exec_lo, s15
	v_lshlrev_b32_e32 v7, 8, v4
	s_delay_alu instid0(VALU_DEP_3) | instskip(NEXT) | instid1(VALU_DEP_3)
	v_lshl_add_u32 v6, v6, 10, 0x2000
	v_lshlrev_b32_e32 v0, 7, v0
	s_delay_alu instid0(VALU_DEP_3) | instskip(NEXT) | instid1(VALU_DEP_3)
	v_and_b32_e32 v7, 0x8000, v7
	v_and_b32_e32 v6, 0xfc00, v6
	s_delay_alu instid0(VALU_DEP_1)
	v_or3_b32 v0, v7, v6, v0
	scratch_store_b32 off, v0, s32 offset:240 ; 4-byte Folded Spill
.LBB287_280:                            ;   in Loop: Header=BB287_15 Depth=1
	s_wait_xcnt 0x0
	s_or_b32 exec_lo, exec_lo, s14
.LBB287_281:                            ;   in Loop: Header=BB287_15 Depth=1
	s_delay_alu instid0(SALU_CYCLE_1)
	s_or_b32 exec_lo, exec_lo, s11
.LBB287_282:                            ;   in Loop: Header=BB287_15 Depth=1
	s_delay_alu instid0(SALU_CYCLE_1)
	s_or_b32 exec_lo, exec_lo, s8
	v_mov_b32_e32 v0, 0
	v_lshrrev_b16 v24, 8, v4
	s_mov_b32 s8, exec_lo
	scratch_store_b32 off, v0, s32 offset:252 ; 4-byte Folded Spill
	s_wait_xcnt 0x0
	v_mov_b32_e32 v0, 0
	scratch_store_b32 off, v0, s32 offset:260 ; 4-byte Folded Spill
	s_wait_xcnt 0x0
	v_cmpx_ne_u16_e32 0, v24
	s_cbranch_execz .LBB287_290
; %bb.283:                              ;   in Loop: Header=BB287_15 Depth=1
	v_bfrev_b32_e32 v0, 1
	s_mov_b32 s11, exec_lo
	scratch_store_b32 off, v0, s32 offset:260 ; 4-byte Folded Spill
	s_wait_xcnt 0x0
	v_cmpx_ne_u16_e32 0x80, v24
	s_cbranch_execz .LBB287_289
; %bb.284:                              ;   in Loop: Header=BB287_15 Depth=1
	v_and_b32_e32 v0, 0xffff, v24
	v_mov_b32_e32 v6, 0x7c010000
	s_mov_b32 s14, exec_lo
	s_delay_alu instid0(VALU_DEP_2)
	v_and_b32_e32 v8, 0x7f, v0
	scratch_store_b32 off, v6, s32 offset:260 ; 4-byte Folded Spill
	s_wait_xcnt 0x0
	v_cmpx_ne_u32_e32 0x7f, v8
	s_cbranch_execz .LBB287_288
; %bb.285:                              ;   in Loop: Header=BB287_15 Depth=1
	v_and_b32_e32 v6, 7, v0
	v_lshrrev_b32_e32 v7, 3, v8
	s_mov_b32 s15, exec_lo
	v_cmpx_gt_u32_e32 8, v8
; %bb.286:                              ;   in Loop: Header=BB287_15 Depth=1
	s_delay_alu instid0(VALU_DEP_3) | instskip(NEXT) | instid1(VALU_DEP_1)
	v_clz_i32_u32_e32 v6, v6
	v_min_u32_e32 v8, 32, v6
	s_delay_alu instid0(VALU_DEP_1) | instskip(NEXT) | instid1(VALU_DEP_1)
	v_subrev_nc_u32_e32 v6, 28, v8
	v_lshlrev_b64_e32 v[6:7], v6, v[24:25]
	s_delay_alu instid0(VALU_DEP_1)
	v_dual_sub_nc_u32 v7, 29, v8 :: v_dual_bitop2_b32 v6, 7, v6 bitop3:0x40
; %bb.287:                              ;   in Loop: Header=BB287_15 Depth=1
	s_or_b32 exec_lo, exec_lo, s15
	s_delay_alu instid0(VALU_DEP_1) | instskip(NEXT) | instid1(VALU_DEP_2)
	v_dual_lshlrev_b32 v0, 8, v0 :: v_dual_lshlrev_b32 v6, 23, v6
	v_lshl_add_u32 v7, v7, 10, 0x2000
	s_delay_alu instid0(VALU_DEP_1) | instskip(NEXT) | instid1(VALU_DEP_1)
	v_and_or_b32 v0, 0x8000, v0, v7
	v_lshl_or_b32 v0, v0, 16, v6
	scratch_store_b32 off, v0, s32 offset:260 ; 4-byte Folded Spill
.LBB287_288:                            ;   in Loop: Header=BB287_15 Depth=1
	s_wait_xcnt 0x0
	s_or_b32 exec_lo, exec_lo, s14
.LBB287_289:                            ;   in Loop: Header=BB287_15 Depth=1
	s_delay_alu instid0(SALU_CYCLE_1)
	s_or_b32 exec_lo, exec_lo, s11
.LBB287_290:                            ;   in Loop: Header=BB287_15 Depth=1
	s_delay_alu instid0(SALU_CYCLE_1) | instskip(SKIP_2) | instid1(VALU_DEP_1)
	s_or_b32 exec_lo, exec_lo, s8
	v_lshrrev_b32_e32 v0, 16, v4
	s_mov_b32 s8, exec_lo
	v_and_b32_e32 v6, 0xff, v0
	s_delay_alu instid0(VALU_DEP_1)
	v_cmpx_ne_u16_e32 0, v6
	s_cbranch_execz .LBB287_298
; %bb.291:                              ;   in Loop: Header=BB287_15 Depth=1
	v_cmp_ne_u16_e64 s1, 0x80, v6
	v_mov_b32_e32 v6, 0x8000
	scratch_store_b32 off, v6, s32 offset:252 ; 4-byte Folded Spill
	s_wait_xcnt 0x0
	s_and_saveexec_b32 s11, s1
	s_cbranch_execz .LBB287_297
; %bb.292:                              ;   in Loop: Header=BB287_15 Depth=1
	v_bfe_u32 v8, v4, 16, 7
	v_mov_b32_e32 v6, 0x7c01
	s_mov_b32 s14, exec_lo
	scratch_store_b32 off, v6, s32 offset:252 ; 4-byte Folded Spill
	s_wait_xcnt 0x0
	v_cmpx_ne_u32_e32 0x7f, v8
	s_cbranch_execz .LBB287_296
; %bb.293:                              ;   in Loop: Header=BB287_15 Depth=1
	v_and_b32_e32 v6, 7, v0
	v_lshrrev_b32_e32 v7, 3, v8
	s_mov_b32 s15, exec_lo
	v_cmpx_gt_u32_e32 8, v8
; %bb.294:                              ;   in Loop: Header=BB287_15 Depth=1
	s_delay_alu instid0(VALU_DEP_3) | instskip(NEXT) | instid1(VALU_DEP_1)
	v_clz_i32_u32_e32 v6, v6
	v_min_u32_e32 v8, 32, v6
	s_delay_alu instid0(VALU_DEP_1) | instskip(NEXT) | instid1(VALU_DEP_1)
	v_subrev_nc_u32_e32 v6, 28, v8
	v_lshlrev_b64_e32 v[6:7], v6, v[0:1]
	s_delay_alu instid0(VALU_DEP_1)
	v_dual_sub_nc_u32 v7, 29, v8 :: v_dual_bitop2_b32 v6, 7, v6 bitop3:0x40
; %bb.295:                              ;   in Loop: Header=BB287_15 Depth=1
	s_or_b32 exec_lo, exec_lo, s15
	s_delay_alu instid0(VALU_DEP_1) | instskip(NEXT) | instid1(VALU_DEP_2)
	v_dual_lshlrev_b32 v0, 8, v0 :: v_dual_lshlrev_b32 v6, 7, v6
	v_lshl_add_u32 v7, v7, 10, 0x2000
	s_delay_alu instid0(VALU_DEP_2) | instskip(NEXT) | instid1(VALU_DEP_2)
	v_and_b32_e32 v0, 0x8000, v0
	v_and_b32_e32 v7, 0xfc00, v7
	s_delay_alu instid0(VALU_DEP_1)
	v_or3_b32 v0, v0, v7, v6
	scratch_store_b32 off, v0, s32 offset:252 ; 4-byte Folded Spill
.LBB287_296:                            ;   in Loop: Header=BB287_15 Depth=1
	s_wait_xcnt 0x0
	s_or_b32 exec_lo, exec_lo, s14
.LBB287_297:                            ;   in Loop: Header=BB287_15 Depth=1
	s_delay_alu instid0(SALU_CYCLE_1)
	s_or_b32 exec_lo, exec_lo, s11
.LBB287_298:                            ;   in Loop: Header=BB287_15 Depth=1
	s_delay_alu instid0(SALU_CYCLE_1)
	s_or_b32 exec_lo, exec_lo, s8
	v_mov_b32_e32 v0, 0
	s_mov_b32 s8, exec_lo
	scratch_store_b32 off, v0, s32 offset:264 ; 4-byte Folded Spill
	s_wait_xcnt 0x0
	v_mov_b32_e32 v0, 0
	scratch_store_b32 off, v0, s32 offset:268 ; 4-byte Folded Spill
	s_wait_xcnt 0x0
	v_cmpx_lt_u32_e32 0xffffff, v4
	s_cbranch_execz .LBB287_306
; %bb.299:                              ;   in Loop: Header=BB287_15 Depth=1
	v_lshrrev_b32_e32 v24, 24, v4
	v_bfrev_b32_e32 v0, 1
	s_mov_b32 s11, exec_lo
	scratch_store_b32 off, v0, s32 offset:268 ; 4-byte Folded Spill
	s_wait_xcnt 0x0
	v_cmpx_ne_u32_e32 0x80, v24
	s_cbranch_execz .LBB287_305
; %bb.300:                              ;   in Loop: Header=BB287_15 Depth=1
	v_and_b32_e32 v7, 0x7f, v24
	v_mov_b32_e32 v0, 0x7c010000
	s_mov_b32 s14, exec_lo
	scratch_store_b32 off, v0, s32 offset:268 ; 4-byte Folded Spill
	s_wait_xcnt 0x0
	v_cmpx_ne_u32_e32 0x7f, v7
	s_cbranch_execz .LBB287_304
; %bb.301:                              ;   in Loop: Header=BB287_15 Depth=1
	v_dual_lshrrev_b32 v6, 3, v7 :: v_dual_bitop2_b32 v0, 7, v24 bitop3:0x40
	s_mov_b32 s15, exec_lo
	v_cmpx_gt_u32_e32 8, v7
; %bb.302:                              ;   in Loop: Header=BB287_15 Depth=1
	s_delay_alu instid0(VALU_DEP_2) | instskip(NEXT) | instid1(VALU_DEP_1)
	v_clz_i32_u32_e32 v0, v0
	v_min_u32_e32 v0, 32, v0
	s_delay_alu instid0(VALU_DEP_1) | instskip(NEXT) | instid1(VALU_DEP_1)
	v_subrev_nc_u32_e32 v6, 28, v0
	v_lshlrev_b64_e32 v[8:9], v6, v[24:25]
	v_sub_nc_u32_e32 v6, 29, v0
	s_delay_alu instid0(VALU_DEP_2)
	v_and_b32_e32 v0, 7, v8
; %bb.303:                              ;   in Loop: Header=BB287_15 Depth=1
	s_or_b32 exec_lo, exec_lo, s15
	v_lshlrev_b32_e32 v7, 8, v24
	s_delay_alu instid0(VALU_DEP_3) | instskip(NEXT) | instid1(VALU_DEP_3)
	v_lshl_add_u32 v6, v6, 10, 0x2000
	v_lshlrev_b32_e32 v0, 23, v0
	s_delay_alu instid0(VALU_DEP_2) | instskip(NEXT) | instid1(VALU_DEP_1)
	v_and_or_b32 v6, 0x8000, v7, v6
	v_lshl_or_b32 v0, v6, 16, v0
	scratch_store_b32 off, v0, s32 offset:268 ; 4-byte Folded Spill
.LBB287_304:                            ;   in Loop: Header=BB287_15 Depth=1
	s_wait_xcnt 0x0
	s_or_b32 exec_lo, exec_lo, s14
.LBB287_305:                            ;   in Loop: Header=BB287_15 Depth=1
	s_delay_alu instid0(SALU_CYCLE_1)
	s_or_b32 exec_lo, exec_lo, s11
.LBB287_306:                            ;   in Loop: Header=BB287_15 Depth=1
	s_delay_alu instid0(SALU_CYCLE_1) | instskip(SKIP_3) | instid1(VALU_DEP_2)
	s_or_b32 exec_lo, exec_lo, s8
	v_and_b32_e32 v0, 0xff, v5
	v_mov_b32_e32 v24, v5
	s_mov_b32 s8, exec_lo
	v_cmpx_ne_u16_e32 0, v0
	s_cbranch_execz .LBB287_314
; %bb.307:                              ;   in Loop: Header=BB287_15 Depth=1
	v_cmp_ne_u16_e64 s1, 0x80, v0
	v_mov_b32_e32 v0, 0x8000
	scratch_store_b32 off, v0, s32 offset:264 ; 4-byte Folded Spill
	s_wait_xcnt 0x0
	s_and_saveexec_b32 s11, s1
	s_cbranch_execz .LBB287_313
; %bb.308:                              ;   in Loop: Header=BB287_15 Depth=1
	v_and_b32_e32 v7, 0x7f, v5
	v_mov_b32_e32 v0, 0x7c01
	s_mov_b32 s14, exec_lo
	scratch_store_b32 off, v0, s32 offset:264 ; 4-byte Folded Spill
	s_wait_xcnt 0x0
	v_cmpx_ne_u32_e32 0x7f, v7
	s_cbranch_execz .LBB287_312
; %bb.309:                              ;   in Loop: Header=BB287_15 Depth=1
	v_dual_lshrrev_b32 v6, 3, v7 :: v_dual_bitop2_b32 v0, 7, v5 bitop3:0x40
	s_mov_b32 s15, exec_lo
	v_cmpx_gt_u32_e32 8, v7
; %bb.310:                              ;   in Loop: Header=BB287_15 Depth=1
	s_delay_alu instid0(VALU_DEP_2) | instskip(NEXT) | instid1(VALU_DEP_1)
	v_clz_i32_u32_e32 v0, v0
	v_min_u32_e32 v0, 32, v0
	s_delay_alu instid0(VALU_DEP_1) | instskip(NEXT) | instid1(VALU_DEP_1)
	v_subrev_nc_u32_e32 v6, 28, v0
	v_lshlrev_b64_e32 v[8:9], v6, v[24:25]
	v_sub_nc_u32_e32 v6, 29, v0
	s_delay_alu instid0(VALU_DEP_2)
	v_and_b32_e32 v0, 7, v8
; %bb.311:                              ;   in Loop: Header=BB287_15 Depth=1
	s_or_b32 exec_lo, exec_lo, s15
	s_delay_alu instid0(VALU_DEP_1) | instskip(NEXT) | instid1(VALU_DEP_3)
	v_dual_lshlrev_b32 v7, 8, v5 :: v_dual_lshlrev_b32 v0, 7, v0
	v_lshl_add_u32 v6, v6, 10, 0x2000
	s_delay_alu instid0(VALU_DEP_2) | instskip(NEXT) | instid1(VALU_DEP_2)
	v_and_b32_e32 v7, 0x8000, v7
	v_and_b32_e32 v6, 0xfc00, v6
	s_delay_alu instid0(VALU_DEP_1)
	v_or3_b32 v0, v7, v6, v0
	scratch_store_b32 off, v0, s32 offset:264 ; 4-byte Folded Spill
.LBB287_312:                            ;   in Loop: Header=BB287_15 Depth=1
	s_wait_xcnt 0x0
	s_or_b32 exec_lo, exec_lo, s14
.LBB287_313:                            ;   in Loop: Header=BB287_15 Depth=1
	s_delay_alu instid0(SALU_CYCLE_1)
	s_or_b32 exec_lo, exec_lo, s11
.LBB287_314:                            ;   in Loop: Header=BB287_15 Depth=1
	s_delay_alu instid0(SALU_CYCLE_1)
	s_or_b32 exec_lo, exec_lo, s8
	v_mov_b32_e32 v0, 0
	v_lshrrev_b16 v24, 8, v24
	s_mov_b32 s8, exec_lo
	scratch_store_b32 off, v0, s32 offset:272 ; 4-byte Folded Spill
	s_wait_xcnt 0x0
	v_mov_b32_e32 v0, 0
	scratch_store_b32 off, v0, s32 offset:276 ; 4-byte Folded Spill
	s_wait_xcnt 0x0
	v_cmpx_ne_u16_e32 0, v24
	s_cbranch_execz .LBB287_322
; %bb.315:                              ;   in Loop: Header=BB287_15 Depth=1
	v_bfrev_b32_e32 v0, 1
	s_mov_b32 s11, exec_lo
	scratch_store_b32 off, v0, s32 offset:276 ; 4-byte Folded Spill
	s_wait_xcnt 0x0
	v_cmpx_ne_u16_e32 0x80, v24
	s_cbranch_execz .LBB287_321
; %bb.316:                              ;   in Loop: Header=BB287_15 Depth=1
	v_and_b32_e32 v0, 0xffff, v24
	v_mov_b32_e32 v6, 0x7c010000
	s_mov_b32 s14, exec_lo
	s_delay_alu instid0(VALU_DEP_2)
	v_and_b32_e32 v8, 0x7f, v0
	scratch_store_b32 off, v6, s32 offset:276 ; 4-byte Folded Spill
	s_wait_xcnt 0x0
	v_cmpx_ne_u32_e32 0x7f, v8
	s_cbranch_execz .LBB287_320
; %bb.317:                              ;   in Loop: Header=BB287_15 Depth=1
	v_and_b32_e32 v6, 7, v0
	v_lshrrev_b32_e32 v7, 3, v8
	s_mov_b32 s15, exec_lo
	v_cmpx_gt_u32_e32 8, v8
; %bb.318:                              ;   in Loop: Header=BB287_15 Depth=1
	s_delay_alu instid0(VALU_DEP_3) | instskip(NEXT) | instid1(VALU_DEP_1)
	v_clz_i32_u32_e32 v6, v6
	v_min_u32_e32 v8, 32, v6
	s_delay_alu instid0(VALU_DEP_1) | instskip(NEXT) | instid1(VALU_DEP_1)
	v_subrev_nc_u32_e32 v6, 28, v8
	v_lshlrev_b64_e32 v[6:7], v6, v[24:25]
	s_delay_alu instid0(VALU_DEP_1)
	v_dual_sub_nc_u32 v7, 29, v8 :: v_dual_bitop2_b32 v6, 7, v6 bitop3:0x40
; %bb.319:                              ;   in Loop: Header=BB287_15 Depth=1
	s_or_b32 exec_lo, exec_lo, s15
	s_delay_alu instid0(VALU_DEP_1) | instskip(NEXT) | instid1(VALU_DEP_2)
	v_dual_lshlrev_b32 v0, 8, v0 :: v_dual_lshlrev_b32 v6, 23, v6
	v_lshl_add_u32 v7, v7, 10, 0x2000
	s_delay_alu instid0(VALU_DEP_1) | instskip(NEXT) | instid1(VALU_DEP_1)
	v_and_or_b32 v0, 0x8000, v0, v7
	v_lshl_or_b32 v0, v0, 16, v6
	scratch_store_b32 off, v0, s32 offset:276 ; 4-byte Folded Spill
.LBB287_320:                            ;   in Loop: Header=BB287_15 Depth=1
	s_wait_xcnt 0x0
	s_or_b32 exec_lo, exec_lo, s14
.LBB287_321:                            ;   in Loop: Header=BB287_15 Depth=1
	s_delay_alu instid0(SALU_CYCLE_1)
	s_or_b32 exec_lo, exec_lo, s11
.LBB287_322:                            ;   in Loop: Header=BB287_15 Depth=1
	s_delay_alu instid0(SALU_CYCLE_1) | instskip(SKIP_2) | instid1(VALU_DEP_1)
	s_or_b32 exec_lo, exec_lo, s8
	v_lshrrev_b32_e32 v0, 16, v5
	s_mov_b32 s8, exec_lo
	v_and_b32_e32 v6, 0xff, v0
	s_delay_alu instid0(VALU_DEP_1)
	v_cmpx_ne_u16_e32 0, v6
	s_cbranch_execz .LBB287_330
; %bb.323:                              ;   in Loop: Header=BB287_15 Depth=1
	v_cmp_ne_u16_e64 s1, 0x80, v6
	v_mov_b32_e32 v6, 0x8000
	scratch_store_b32 off, v6, s32 offset:272 ; 4-byte Folded Spill
	s_wait_xcnt 0x0
	s_and_saveexec_b32 s11, s1
	s_cbranch_execz .LBB287_329
; %bb.324:                              ;   in Loop: Header=BB287_15 Depth=1
	v_bfe_u32 v8, v5, 16, 7
	v_mov_b32_e32 v6, 0x7c01
	s_mov_b32 s14, exec_lo
	scratch_store_b32 off, v6, s32 offset:272 ; 4-byte Folded Spill
	s_wait_xcnt 0x0
	v_cmpx_ne_u32_e32 0x7f, v8
	s_cbranch_execz .LBB287_328
; %bb.325:                              ;   in Loop: Header=BB287_15 Depth=1
	v_and_b32_e32 v6, 7, v0
	v_lshrrev_b32_e32 v7, 3, v8
	s_mov_b32 s15, exec_lo
	v_cmpx_gt_u32_e32 8, v8
; %bb.326:                              ;   in Loop: Header=BB287_15 Depth=1
	s_delay_alu instid0(VALU_DEP_3) | instskip(NEXT) | instid1(VALU_DEP_1)
	v_clz_i32_u32_e32 v6, v6
	v_min_u32_e32 v8, 32, v6
	s_delay_alu instid0(VALU_DEP_1) | instskip(NEXT) | instid1(VALU_DEP_1)
	v_subrev_nc_u32_e32 v6, 28, v8
	v_lshlrev_b64_e32 v[6:7], v6, v[0:1]
	s_delay_alu instid0(VALU_DEP_1)
	v_dual_sub_nc_u32 v7, 29, v8 :: v_dual_bitop2_b32 v6, 7, v6 bitop3:0x40
; %bb.327:                              ;   in Loop: Header=BB287_15 Depth=1
	s_or_b32 exec_lo, exec_lo, s15
	s_delay_alu instid0(VALU_DEP_1) | instskip(NEXT) | instid1(VALU_DEP_2)
	v_dual_lshlrev_b32 v0, 8, v0 :: v_dual_lshlrev_b32 v6, 7, v6
	v_lshl_add_u32 v7, v7, 10, 0x2000
	s_delay_alu instid0(VALU_DEP_2) | instskip(NEXT) | instid1(VALU_DEP_2)
	v_and_b32_e32 v0, 0x8000, v0
	v_and_b32_e32 v7, 0xfc00, v7
	s_delay_alu instid0(VALU_DEP_1)
	v_or3_b32 v0, v0, v7, v6
	scratch_store_b32 off, v0, s32 offset:272 ; 4-byte Folded Spill
.LBB287_328:                            ;   in Loop: Header=BB287_15 Depth=1
	s_wait_xcnt 0x0
	s_or_b32 exec_lo, exec_lo, s14
.LBB287_329:                            ;   in Loop: Header=BB287_15 Depth=1
	s_delay_alu instid0(SALU_CYCLE_1)
	s_or_b32 exec_lo, exec_lo, s11
.LBB287_330:                            ;   in Loop: Header=BB287_15 Depth=1
	s_delay_alu instid0(SALU_CYCLE_1)
	s_or_b32 exec_lo, exec_lo, s8
	v_mov_b32_e32 v0, 0
	s_mov_b32 s8, exec_lo
	scratch_store_b32 off, v0, s32 offset:280 ; 4-byte Folded Spill
	s_wait_xcnt 0x0
	v_mov_b32_e32 v0, 0
	scratch_store_b32 off, v0, s32 offset:284 ; 4-byte Folded Spill
	s_wait_xcnt 0x0
	v_cmpx_lt_u64_e64 s[4:5], v[4:5]
	s_cbranch_execz .LBB287_338
; %bb.331:                              ;   in Loop: Header=BB287_15 Depth=1
	v_lshrrev_b32_e32 v24, 24, v5
	v_bfrev_b32_e32 v0, 1
	s_mov_b32 s11, exec_lo
	scratch_store_b32 off, v0, s32 offset:284 ; 4-byte Folded Spill
	s_wait_xcnt 0x0
	v_cmpx_ne_u32_e32 0x80, v24
	s_cbranch_execz .LBB287_337
; %bb.332:                              ;   in Loop: Header=BB287_15 Depth=1
	v_and_b32_e32 v5, 0x7f, v24
	v_mov_b32_e32 v0, 0x7c010000
	s_mov_b32 s14, exec_lo
	scratch_store_b32 off, v0, s32 offset:284 ; 4-byte Folded Spill
	s_wait_xcnt 0x0
	v_cmpx_ne_u32_e32 0x7f, v5
	s_cbranch_execz .LBB287_336
; %bb.333:                              ;   in Loop: Header=BB287_15 Depth=1
	v_dual_lshrrev_b32 v4, 3, v5 :: v_dual_bitop2_b32 v0, 7, v24 bitop3:0x40
	s_mov_b32 s15, exec_lo
	v_cmpx_gt_u32_e32 8, v5
; %bb.334:                              ;   in Loop: Header=BB287_15 Depth=1
	s_delay_alu instid0(VALU_DEP_2) | instskip(NEXT) | instid1(VALU_DEP_1)
	v_clz_i32_u32_e32 v0, v0
	v_min_u32_e32 v0, 32, v0
	s_delay_alu instid0(VALU_DEP_1) | instskip(NEXT) | instid1(VALU_DEP_1)
	v_subrev_nc_u32_e32 v4, 28, v0
	v_lshlrev_b64_e32 v[6:7], v4, v[24:25]
	s_delay_alu instid0(VALU_DEP_1)
	v_dual_sub_nc_u32 v4, 29, v0 :: v_dual_bitop2_b32 v0, 7, v6 bitop3:0x40
; %bb.335:                              ;   in Loop: Header=BB287_15 Depth=1
	s_or_b32 exec_lo, exec_lo, s15
	v_lshlrev_b32_e32 v5, 8, v24
	s_delay_alu instid0(VALU_DEP_2) | instskip(NEXT) | instid1(VALU_DEP_3)
	v_lshl_add_u32 v4, v4, 10, 0x2000
	v_lshlrev_b32_e32 v0, 23, v0
	s_delay_alu instid0(VALU_DEP_2) | instskip(NEXT) | instid1(VALU_DEP_1)
	v_and_or_b32 v4, 0x8000, v5, v4
	v_lshl_or_b32 v0, v4, 16, v0
	scratch_store_b32 off, v0, s32 offset:284 ; 4-byte Folded Spill
.LBB287_336:                            ;   in Loop: Header=BB287_15 Depth=1
	s_wait_xcnt 0x0
	s_or_b32 exec_lo, exec_lo, s14
.LBB287_337:                            ;   in Loop: Header=BB287_15 Depth=1
	s_delay_alu instid0(SALU_CYCLE_1)
	s_or_b32 exec_lo, exec_lo, s11
.LBB287_338:                            ;   in Loop: Header=BB287_15 Depth=1
	s_delay_alu instid0(SALU_CYCLE_1)
	s_or_b32 exec_lo, exec_lo, s8
	flat_load_b64 v[4:5], v[2:3] offset:1032
	s_mov_b32 s8, exec_lo
	s_wait_loadcnt_dscnt 0x0
	v_and_b32_e32 v0, 0xff, v4
	s_wait_xcnt 0x0
	s_delay_alu instid0(VALU_DEP_1)
	v_cmpx_ne_u16_e32 0, v0
	s_cbranch_execz .LBB287_346
; %bb.339:                              ;   in Loop: Header=BB287_15 Depth=1
	v_cmp_ne_u16_e64 s1, 0x80, v0
	v_mov_b32_e32 v0, 0x8000
	scratch_store_b32 off, v0, s32 offset:280 ; 4-byte Folded Spill
	s_wait_xcnt 0x0
	s_and_saveexec_b32 s11, s1
	s_cbranch_execz .LBB287_345
; %bb.340:                              ;   in Loop: Header=BB287_15 Depth=1
	v_and_b32_e32 v7, 0x7f, v4
	v_mov_b32_e32 v0, 0x7c01
	s_mov_b32 s14, exec_lo
	scratch_store_b32 off, v0, s32 offset:280 ; 4-byte Folded Spill
	s_wait_xcnt 0x0
	v_cmpx_ne_u32_e32 0x7f, v7
	s_cbranch_execz .LBB287_344
; %bb.341:                              ;   in Loop: Header=BB287_15 Depth=1
	v_dual_lshrrev_b32 v6, 3, v7 :: v_dual_bitop2_b32 v0, 7, v4 bitop3:0x40
	s_mov_b32 s15, exec_lo
	v_cmpx_gt_u32_e32 8, v7
; %bb.342:                              ;   in Loop: Header=BB287_15 Depth=1
	s_delay_alu instid0(VALU_DEP_2) | instskip(NEXT) | instid1(VALU_DEP_1)
	v_clz_i32_u32_e32 v0, v0
	v_min_u32_e32 v0, 32, v0
	s_delay_alu instid0(VALU_DEP_1) | instskip(NEXT) | instid1(VALU_DEP_1)
	v_subrev_nc_u32_e32 v6, 28, v0
	v_lshlrev_b64_e32 v[8:9], v6, v[4:5]
	v_sub_nc_u32_e32 v6, 29, v0
	s_delay_alu instid0(VALU_DEP_2)
	v_and_b32_e32 v0, 7, v8
; %bb.343:                              ;   in Loop: Header=BB287_15 Depth=1
	s_or_b32 exec_lo, exec_lo, s15
	v_lshlrev_b32_e32 v7, 8, v4
	s_delay_alu instid0(VALU_DEP_3) | instskip(NEXT) | instid1(VALU_DEP_3)
	v_lshl_add_u32 v6, v6, 10, 0x2000
	v_lshlrev_b32_e32 v0, 7, v0
	s_delay_alu instid0(VALU_DEP_3) | instskip(NEXT) | instid1(VALU_DEP_3)
	v_and_b32_e32 v7, 0x8000, v7
	v_and_b32_e32 v6, 0xfc00, v6
	s_delay_alu instid0(VALU_DEP_1)
	v_or3_b32 v0, v7, v6, v0
	scratch_store_b32 off, v0, s32 offset:280 ; 4-byte Folded Spill
.LBB287_344:                            ;   in Loop: Header=BB287_15 Depth=1
	s_wait_xcnt 0x0
	s_or_b32 exec_lo, exec_lo, s14
.LBB287_345:                            ;   in Loop: Header=BB287_15 Depth=1
	s_delay_alu instid0(SALU_CYCLE_1)
	s_or_b32 exec_lo, exec_lo, s11
.LBB287_346:                            ;   in Loop: Header=BB287_15 Depth=1
	s_delay_alu instid0(SALU_CYCLE_1)
	s_or_b32 exec_lo, exec_lo, s8
	v_mov_b32_e32 v0, 0
	v_lshrrev_b16 v24, 8, v4
	s_mov_b32 s8, exec_lo
	scratch_store_b32 off, v0, s32 offset:288 ; 4-byte Folded Spill
	s_wait_xcnt 0x0
	v_mov_b32_e32 v0, 0
	scratch_store_b32 off, v0, s32 offset:292 ; 4-byte Folded Spill
	s_wait_xcnt 0x0
	v_cmpx_ne_u16_e32 0, v24
	s_cbranch_execz .LBB287_354
; %bb.347:                              ;   in Loop: Header=BB287_15 Depth=1
	v_bfrev_b32_e32 v0, 1
	s_mov_b32 s11, exec_lo
	scratch_store_b32 off, v0, s32 offset:292 ; 4-byte Folded Spill
	s_wait_xcnt 0x0
	v_cmpx_ne_u16_e32 0x80, v24
	s_cbranch_execz .LBB287_353
; %bb.348:                              ;   in Loop: Header=BB287_15 Depth=1
	v_and_b32_e32 v0, 0xffff, v24
	v_mov_b32_e32 v6, 0x7c010000
	s_mov_b32 s14, exec_lo
	s_delay_alu instid0(VALU_DEP_2)
	v_and_b32_e32 v8, 0x7f, v0
	scratch_store_b32 off, v6, s32 offset:292 ; 4-byte Folded Spill
	s_wait_xcnt 0x0
	v_cmpx_ne_u32_e32 0x7f, v8
	s_cbranch_execz .LBB287_352
; %bb.349:                              ;   in Loop: Header=BB287_15 Depth=1
	v_and_b32_e32 v6, 7, v0
	v_lshrrev_b32_e32 v7, 3, v8
	s_mov_b32 s15, exec_lo
	v_cmpx_gt_u32_e32 8, v8
; %bb.350:                              ;   in Loop: Header=BB287_15 Depth=1
	s_delay_alu instid0(VALU_DEP_3) | instskip(NEXT) | instid1(VALU_DEP_1)
	v_clz_i32_u32_e32 v6, v6
	v_min_u32_e32 v8, 32, v6
	s_delay_alu instid0(VALU_DEP_1) | instskip(NEXT) | instid1(VALU_DEP_1)
	v_subrev_nc_u32_e32 v6, 28, v8
	v_lshlrev_b64_e32 v[6:7], v6, v[24:25]
	s_delay_alu instid0(VALU_DEP_1)
	v_dual_sub_nc_u32 v7, 29, v8 :: v_dual_bitop2_b32 v6, 7, v6 bitop3:0x40
; %bb.351:                              ;   in Loop: Header=BB287_15 Depth=1
	s_or_b32 exec_lo, exec_lo, s15
	s_delay_alu instid0(VALU_DEP_1) | instskip(NEXT) | instid1(VALU_DEP_2)
	v_dual_lshlrev_b32 v0, 8, v0 :: v_dual_lshlrev_b32 v6, 23, v6
	v_lshl_add_u32 v7, v7, 10, 0x2000
	s_delay_alu instid0(VALU_DEP_1) | instskip(NEXT) | instid1(VALU_DEP_1)
	v_and_or_b32 v0, 0x8000, v0, v7
	v_lshl_or_b32 v0, v0, 16, v6
	scratch_store_b32 off, v0, s32 offset:292 ; 4-byte Folded Spill
.LBB287_352:                            ;   in Loop: Header=BB287_15 Depth=1
	s_wait_xcnt 0x0
	s_or_b32 exec_lo, exec_lo, s14
.LBB287_353:                            ;   in Loop: Header=BB287_15 Depth=1
	s_delay_alu instid0(SALU_CYCLE_1)
	s_or_b32 exec_lo, exec_lo, s11
.LBB287_354:                            ;   in Loop: Header=BB287_15 Depth=1
	s_delay_alu instid0(SALU_CYCLE_1) | instskip(SKIP_2) | instid1(VALU_DEP_1)
	s_or_b32 exec_lo, exec_lo, s8
	v_lshrrev_b32_e32 v0, 16, v4
	s_mov_b32 s8, exec_lo
	v_and_b32_e32 v6, 0xff, v0
	s_delay_alu instid0(VALU_DEP_1)
	v_cmpx_ne_u16_e32 0, v6
	s_cbranch_execz .LBB287_362
; %bb.355:                              ;   in Loop: Header=BB287_15 Depth=1
	v_cmp_ne_u16_e64 s1, 0x80, v6
	v_mov_b32_e32 v6, 0x8000
	scratch_store_b32 off, v6, s32 offset:288 ; 4-byte Folded Spill
	s_wait_xcnt 0x0
	s_and_saveexec_b32 s11, s1
	s_cbranch_execz .LBB287_361
; %bb.356:                              ;   in Loop: Header=BB287_15 Depth=1
	v_bfe_u32 v8, v4, 16, 7
	v_mov_b32_e32 v6, 0x7c01
	s_mov_b32 s14, exec_lo
	scratch_store_b32 off, v6, s32 offset:288 ; 4-byte Folded Spill
	s_wait_xcnt 0x0
	v_cmpx_ne_u32_e32 0x7f, v8
	s_cbranch_execz .LBB287_360
; %bb.357:                              ;   in Loop: Header=BB287_15 Depth=1
	v_and_b32_e32 v6, 7, v0
	v_lshrrev_b32_e32 v7, 3, v8
	s_mov_b32 s15, exec_lo
	v_cmpx_gt_u32_e32 8, v8
; %bb.358:                              ;   in Loop: Header=BB287_15 Depth=1
	s_delay_alu instid0(VALU_DEP_3) | instskip(NEXT) | instid1(VALU_DEP_1)
	v_clz_i32_u32_e32 v6, v6
	v_min_u32_e32 v8, 32, v6
	s_delay_alu instid0(VALU_DEP_1) | instskip(NEXT) | instid1(VALU_DEP_1)
	v_subrev_nc_u32_e32 v6, 28, v8
	v_lshlrev_b64_e32 v[6:7], v6, v[0:1]
	s_delay_alu instid0(VALU_DEP_1)
	v_dual_sub_nc_u32 v7, 29, v8 :: v_dual_bitop2_b32 v6, 7, v6 bitop3:0x40
; %bb.359:                              ;   in Loop: Header=BB287_15 Depth=1
	s_or_b32 exec_lo, exec_lo, s15
	s_delay_alu instid0(VALU_DEP_1) | instskip(NEXT) | instid1(VALU_DEP_2)
	v_dual_lshlrev_b32 v0, 8, v0 :: v_dual_lshlrev_b32 v6, 7, v6
	v_lshl_add_u32 v7, v7, 10, 0x2000
	s_delay_alu instid0(VALU_DEP_2) | instskip(NEXT) | instid1(VALU_DEP_2)
	v_and_b32_e32 v0, 0x8000, v0
	v_and_b32_e32 v7, 0xfc00, v7
	s_delay_alu instid0(VALU_DEP_1)
	v_or3_b32 v0, v0, v7, v6
	scratch_store_b32 off, v0, s32 offset:288 ; 4-byte Folded Spill
.LBB287_360:                            ;   in Loop: Header=BB287_15 Depth=1
	s_wait_xcnt 0x0
	s_or_b32 exec_lo, exec_lo, s14
.LBB287_361:                            ;   in Loop: Header=BB287_15 Depth=1
	s_delay_alu instid0(SALU_CYCLE_1)
	s_or_b32 exec_lo, exec_lo, s11
.LBB287_362:                            ;   in Loop: Header=BB287_15 Depth=1
	s_delay_alu instid0(SALU_CYCLE_1)
	s_or_b32 exec_lo, exec_lo, s8
	v_mov_b32_e32 v0, 0
	s_mov_b32 s8, exec_lo
	scratch_store_b32 off, v0, s32 offset:296 ; 4-byte Folded Spill
	s_wait_xcnt 0x0
	v_mov_b32_e32 v0, 0
	scratch_store_b32 off, v0, s32 offset:300 ; 4-byte Folded Spill
	s_wait_xcnt 0x0
	v_cmpx_lt_u32_e32 0xffffff, v4
	s_cbranch_execz .LBB287_370
; %bb.363:                              ;   in Loop: Header=BB287_15 Depth=1
	v_lshrrev_b32_e32 v24, 24, v4
	v_bfrev_b32_e32 v0, 1
	s_mov_b32 s11, exec_lo
	scratch_store_b32 off, v0, s32 offset:300 ; 4-byte Folded Spill
	s_wait_xcnt 0x0
	v_cmpx_ne_u32_e32 0x80, v24
	s_cbranch_execz .LBB287_369
; %bb.364:                              ;   in Loop: Header=BB287_15 Depth=1
	v_and_b32_e32 v7, 0x7f, v24
	v_mov_b32_e32 v0, 0x7c010000
	s_mov_b32 s14, exec_lo
	scratch_store_b32 off, v0, s32 offset:300 ; 4-byte Folded Spill
	s_wait_xcnt 0x0
	v_cmpx_ne_u32_e32 0x7f, v7
	s_cbranch_execz .LBB287_368
; %bb.365:                              ;   in Loop: Header=BB287_15 Depth=1
	v_dual_lshrrev_b32 v6, 3, v7 :: v_dual_bitop2_b32 v0, 7, v24 bitop3:0x40
	s_mov_b32 s15, exec_lo
	v_cmpx_gt_u32_e32 8, v7
; %bb.366:                              ;   in Loop: Header=BB287_15 Depth=1
	s_delay_alu instid0(VALU_DEP_2) | instskip(NEXT) | instid1(VALU_DEP_1)
	v_clz_i32_u32_e32 v0, v0
	v_min_u32_e32 v0, 32, v0
	s_delay_alu instid0(VALU_DEP_1) | instskip(NEXT) | instid1(VALU_DEP_1)
	v_subrev_nc_u32_e32 v6, 28, v0
	v_lshlrev_b64_e32 v[8:9], v6, v[24:25]
	v_sub_nc_u32_e32 v6, 29, v0
	s_delay_alu instid0(VALU_DEP_2)
	v_and_b32_e32 v0, 7, v8
; %bb.367:                              ;   in Loop: Header=BB287_15 Depth=1
	s_or_b32 exec_lo, exec_lo, s15
	v_lshlrev_b32_e32 v7, 8, v24
	s_delay_alu instid0(VALU_DEP_3) | instskip(NEXT) | instid1(VALU_DEP_3)
	v_lshl_add_u32 v6, v6, 10, 0x2000
	v_lshlrev_b32_e32 v0, 23, v0
	s_delay_alu instid0(VALU_DEP_2) | instskip(NEXT) | instid1(VALU_DEP_1)
	v_and_or_b32 v6, 0x8000, v7, v6
	v_lshl_or_b32 v0, v6, 16, v0
	scratch_store_b32 off, v0, s32 offset:300 ; 4-byte Folded Spill
.LBB287_368:                            ;   in Loop: Header=BB287_15 Depth=1
	s_wait_xcnt 0x0
	s_or_b32 exec_lo, exec_lo, s14
.LBB287_369:                            ;   in Loop: Header=BB287_15 Depth=1
	s_delay_alu instid0(SALU_CYCLE_1)
	s_or_b32 exec_lo, exec_lo, s11
.LBB287_370:                            ;   in Loop: Header=BB287_15 Depth=1
	s_delay_alu instid0(SALU_CYCLE_1) | instskip(SKIP_3) | instid1(VALU_DEP_2)
	s_or_b32 exec_lo, exec_lo, s8
	v_and_b32_e32 v0, 0xff, v5
	v_mov_b32_e32 v24, v5
	s_mov_b32 s8, exec_lo
	v_cmpx_ne_u16_e32 0, v0
	s_cbranch_execz .LBB287_378
; %bb.371:                              ;   in Loop: Header=BB287_15 Depth=1
	v_cmp_ne_u16_e64 s1, 0x80, v0
	v_mov_b32_e32 v0, 0x8000
	scratch_store_b32 off, v0, s32 offset:296 ; 4-byte Folded Spill
	s_wait_xcnt 0x0
	s_and_saveexec_b32 s11, s1
	s_cbranch_execz .LBB287_377
; %bb.372:                              ;   in Loop: Header=BB287_15 Depth=1
	v_and_b32_e32 v7, 0x7f, v5
	v_mov_b32_e32 v0, 0x7c01
	s_mov_b32 s14, exec_lo
	scratch_store_b32 off, v0, s32 offset:296 ; 4-byte Folded Spill
	s_wait_xcnt 0x0
	v_cmpx_ne_u32_e32 0x7f, v7
	s_cbranch_execz .LBB287_376
; %bb.373:                              ;   in Loop: Header=BB287_15 Depth=1
	v_dual_lshrrev_b32 v6, 3, v7 :: v_dual_bitop2_b32 v0, 7, v5 bitop3:0x40
	s_mov_b32 s15, exec_lo
	v_cmpx_gt_u32_e32 8, v7
; %bb.374:                              ;   in Loop: Header=BB287_15 Depth=1
	s_delay_alu instid0(VALU_DEP_2) | instskip(NEXT) | instid1(VALU_DEP_1)
	v_clz_i32_u32_e32 v0, v0
	v_min_u32_e32 v0, 32, v0
	s_delay_alu instid0(VALU_DEP_1) | instskip(NEXT) | instid1(VALU_DEP_1)
	v_subrev_nc_u32_e32 v6, 28, v0
	v_lshlrev_b64_e32 v[8:9], v6, v[24:25]
	v_sub_nc_u32_e32 v6, 29, v0
	s_delay_alu instid0(VALU_DEP_2)
	v_and_b32_e32 v0, 7, v8
; %bb.375:                              ;   in Loop: Header=BB287_15 Depth=1
	s_or_b32 exec_lo, exec_lo, s15
	s_delay_alu instid0(VALU_DEP_1) | instskip(NEXT) | instid1(VALU_DEP_3)
	v_dual_lshlrev_b32 v7, 8, v5 :: v_dual_lshlrev_b32 v0, 7, v0
	v_lshl_add_u32 v6, v6, 10, 0x2000
	s_delay_alu instid0(VALU_DEP_2) | instskip(NEXT) | instid1(VALU_DEP_2)
	v_and_b32_e32 v7, 0x8000, v7
	v_and_b32_e32 v6, 0xfc00, v6
	s_delay_alu instid0(VALU_DEP_1)
	v_or3_b32 v0, v7, v6, v0
	scratch_store_b32 off, v0, s32 offset:296 ; 4-byte Folded Spill
.LBB287_376:                            ;   in Loop: Header=BB287_15 Depth=1
	s_wait_xcnt 0x0
	s_or_b32 exec_lo, exec_lo, s14
.LBB287_377:                            ;   in Loop: Header=BB287_15 Depth=1
	s_delay_alu instid0(SALU_CYCLE_1)
	s_or_b32 exec_lo, exec_lo, s11
.LBB287_378:                            ;   in Loop: Header=BB287_15 Depth=1
	s_delay_alu instid0(SALU_CYCLE_1)
	s_or_b32 exec_lo, exec_lo, s8
	v_mov_b32_e32 v0, 0
	v_lshrrev_b16 v24, 8, v24
	s_mov_b32 s8, exec_lo
	scratch_store_b32 off, v0, s32 offset:304 ; 4-byte Folded Spill
	s_wait_xcnt 0x0
	v_mov_b32_e32 v0, 0
	scratch_store_b32 off, v0, s32 offset:308 ; 4-byte Folded Spill
	s_wait_xcnt 0x0
	v_cmpx_ne_u16_e32 0, v24
	s_cbranch_execz .LBB287_386
; %bb.379:                              ;   in Loop: Header=BB287_15 Depth=1
	v_bfrev_b32_e32 v0, 1
	s_mov_b32 s11, exec_lo
	scratch_store_b32 off, v0, s32 offset:308 ; 4-byte Folded Spill
	s_wait_xcnt 0x0
	v_cmpx_ne_u16_e32 0x80, v24
	s_cbranch_execz .LBB287_385
; %bb.380:                              ;   in Loop: Header=BB287_15 Depth=1
	v_and_b32_e32 v0, 0xffff, v24
	v_mov_b32_e32 v6, 0x7c010000
	s_mov_b32 s14, exec_lo
	s_delay_alu instid0(VALU_DEP_2)
	v_and_b32_e32 v8, 0x7f, v0
	scratch_store_b32 off, v6, s32 offset:308 ; 4-byte Folded Spill
	s_wait_xcnt 0x0
	v_cmpx_ne_u32_e32 0x7f, v8
	s_cbranch_execz .LBB287_384
; %bb.381:                              ;   in Loop: Header=BB287_15 Depth=1
	v_and_b32_e32 v6, 7, v0
	v_lshrrev_b32_e32 v7, 3, v8
	s_mov_b32 s15, exec_lo
	v_cmpx_gt_u32_e32 8, v8
; %bb.382:                              ;   in Loop: Header=BB287_15 Depth=1
	s_delay_alu instid0(VALU_DEP_3) | instskip(NEXT) | instid1(VALU_DEP_1)
	v_clz_i32_u32_e32 v6, v6
	v_min_u32_e32 v8, 32, v6
	s_delay_alu instid0(VALU_DEP_1) | instskip(NEXT) | instid1(VALU_DEP_1)
	v_subrev_nc_u32_e32 v6, 28, v8
	v_lshlrev_b64_e32 v[6:7], v6, v[24:25]
	s_delay_alu instid0(VALU_DEP_1)
	v_dual_sub_nc_u32 v7, 29, v8 :: v_dual_bitop2_b32 v6, 7, v6 bitop3:0x40
; %bb.383:                              ;   in Loop: Header=BB287_15 Depth=1
	s_or_b32 exec_lo, exec_lo, s15
	s_delay_alu instid0(VALU_DEP_1) | instskip(NEXT) | instid1(VALU_DEP_2)
	v_dual_lshlrev_b32 v0, 8, v0 :: v_dual_lshlrev_b32 v6, 23, v6
	v_lshl_add_u32 v7, v7, 10, 0x2000
	s_delay_alu instid0(VALU_DEP_1) | instskip(NEXT) | instid1(VALU_DEP_1)
	v_and_or_b32 v0, 0x8000, v0, v7
	v_lshl_or_b32 v0, v0, 16, v6
	scratch_store_b32 off, v0, s32 offset:308 ; 4-byte Folded Spill
.LBB287_384:                            ;   in Loop: Header=BB287_15 Depth=1
	s_wait_xcnt 0x0
	s_or_b32 exec_lo, exec_lo, s14
.LBB287_385:                            ;   in Loop: Header=BB287_15 Depth=1
	s_delay_alu instid0(SALU_CYCLE_1)
	s_or_b32 exec_lo, exec_lo, s11
.LBB287_386:                            ;   in Loop: Header=BB287_15 Depth=1
	s_delay_alu instid0(SALU_CYCLE_1) | instskip(SKIP_2) | instid1(VALU_DEP_1)
	s_or_b32 exec_lo, exec_lo, s8
	v_lshrrev_b32_e32 v0, 16, v5
	s_mov_b32 s8, exec_lo
	v_and_b32_e32 v6, 0xff, v0
	s_delay_alu instid0(VALU_DEP_1)
	v_cmpx_ne_u16_e32 0, v6
	s_cbranch_execz .LBB287_394
; %bb.387:                              ;   in Loop: Header=BB287_15 Depth=1
	v_cmp_ne_u16_e64 s1, 0x80, v6
	v_mov_b32_e32 v6, 0x8000
	scratch_store_b32 off, v6, s32 offset:304 ; 4-byte Folded Spill
	s_wait_xcnt 0x0
	s_and_saveexec_b32 s11, s1
	s_cbranch_execz .LBB287_393
; %bb.388:                              ;   in Loop: Header=BB287_15 Depth=1
	v_bfe_u32 v8, v5, 16, 7
	v_mov_b32_e32 v6, 0x7c01
	s_mov_b32 s14, exec_lo
	scratch_store_b32 off, v6, s32 offset:304 ; 4-byte Folded Spill
	s_wait_xcnt 0x0
	v_cmpx_ne_u32_e32 0x7f, v8
	s_cbranch_execz .LBB287_392
; %bb.389:                              ;   in Loop: Header=BB287_15 Depth=1
	v_and_b32_e32 v6, 7, v0
	v_lshrrev_b32_e32 v7, 3, v8
	s_mov_b32 s15, exec_lo
	v_cmpx_gt_u32_e32 8, v8
; %bb.390:                              ;   in Loop: Header=BB287_15 Depth=1
	s_delay_alu instid0(VALU_DEP_3) | instskip(NEXT) | instid1(VALU_DEP_1)
	v_clz_i32_u32_e32 v6, v6
	v_min_u32_e32 v8, 32, v6
	s_delay_alu instid0(VALU_DEP_1) | instskip(NEXT) | instid1(VALU_DEP_1)
	v_subrev_nc_u32_e32 v6, 28, v8
	v_lshlrev_b64_e32 v[6:7], v6, v[0:1]
	s_delay_alu instid0(VALU_DEP_1)
	v_dual_sub_nc_u32 v7, 29, v8 :: v_dual_bitop2_b32 v6, 7, v6 bitop3:0x40
; %bb.391:                              ;   in Loop: Header=BB287_15 Depth=1
	s_or_b32 exec_lo, exec_lo, s15
	s_delay_alu instid0(VALU_DEP_1) | instskip(NEXT) | instid1(VALU_DEP_2)
	v_dual_lshlrev_b32 v0, 8, v0 :: v_dual_lshlrev_b32 v6, 7, v6
	v_lshl_add_u32 v7, v7, 10, 0x2000
	s_delay_alu instid0(VALU_DEP_2) | instskip(NEXT) | instid1(VALU_DEP_2)
	v_and_b32_e32 v0, 0x8000, v0
	v_and_b32_e32 v7, 0xfc00, v7
	s_delay_alu instid0(VALU_DEP_1)
	v_or3_b32 v0, v0, v7, v6
	scratch_store_b32 off, v0, s32 offset:304 ; 4-byte Folded Spill
.LBB287_392:                            ;   in Loop: Header=BB287_15 Depth=1
	s_wait_xcnt 0x0
	s_or_b32 exec_lo, exec_lo, s14
.LBB287_393:                            ;   in Loop: Header=BB287_15 Depth=1
	s_delay_alu instid0(SALU_CYCLE_1)
	s_or_b32 exec_lo, exec_lo, s11
.LBB287_394:                            ;   in Loop: Header=BB287_15 Depth=1
	s_delay_alu instid0(SALU_CYCLE_1)
	s_or_b32 exec_lo, exec_lo, s8
	v_mov_b32_e32 v0, 0
	s_mov_b32 s8, exec_lo
	scratch_store_b32 off, v0, s32 offset:312 ; 4-byte Folded Spill
	s_wait_xcnt 0x0
	v_mov_b32_e32 v0, 0
	scratch_store_b32 off, v0, s32 offset:316 ; 4-byte Folded Spill
	s_wait_xcnt 0x0
	v_cmpx_lt_u64_e64 s[4:5], v[4:5]
	s_cbranch_execz .LBB287_402
; %bb.395:                              ;   in Loop: Header=BB287_15 Depth=1
	v_lshrrev_b32_e32 v24, 24, v5
	v_bfrev_b32_e32 v0, 1
	s_mov_b32 s11, exec_lo
	scratch_store_b32 off, v0, s32 offset:316 ; 4-byte Folded Spill
	s_wait_xcnt 0x0
	v_cmpx_ne_u32_e32 0x80, v24
	s_cbranch_execz .LBB287_401
; %bb.396:                              ;   in Loop: Header=BB287_15 Depth=1
	v_and_b32_e32 v5, 0x7f, v24
	v_mov_b32_e32 v0, 0x7c010000
	s_mov_b32 s14, exec_lo
	scratch_store_b32 off, v0, s32 offset:316 ; 4-byte Folded Spill
	s_wait_xcnt 0x0
	v_cmpx_ne_u32_e32 0x7f, v5
	s_cbranch_execz .LBB287_400
; %bb.397:                              ;   in Loop: Header=BB287_15 Depth=1
	v_dual_lshrrev_b32 v4, 3, v5 :: v_dual_bitop2_b32 v0, 7, v24 bitop3:0x40
	s_mov_b32 s15, exec_lo
	v_cmpx_gt_u32_e32 8, v5
; %bb.398:                              ;   in Loop: Header=BB287_15 Depth=1
	s_delay_alu instid0(VALU_DEP_2) | instskip(NEXT) | instid1(VALU_DEP_1)
	v_clz_i32_u32_e32 v0, v0
	v_min_u32_e32 v0, 32, v0
	s_delay_alu instid0(VALU_DEP_1) | instskip(NEXT) | instid1(VALU_DEP_1)
	v_subrev_nc_u32_e32 v4, 28, v0
	v_lshlrev_b64_e32 v[6:7], v4, v[24:25]
	s_delay_alu instid0(VALU_DEP_1)
	v_dual_sub_nc_u32 v4, 29, v0 :: v_dual_bitop2_b32 v0, 7, v6 bitop3:0x40
; %bb.399:                              ;   in Loop: Header=BB287_15 Depth=1
	s_or_b32 exec_lo, exec_lo, s15
	v_lshlrev_b32_e32 v5, 8, v24
	s_delay_alu instid0(VALU_DEP_2) | instskip(NEXT) | instid1(VALU_DEP_3)
	v_lshl_add_u32 v4, v4, 10, 0x2000
	v_lshlrev_b32_e32 v0, 23, v0
	s_delay_alu instid0(VALU_DEP_2) | instskip(NEXT) | instid1(VALU_DEP_1)
	v_and_or_b32 v4, 0x8000, v5, v4
	v_lshl_or_b32 v0, v4, 16, v0
	scratch_store_b32 off, v0, s32 offset:316 ; 4-byte Folded Spill
.LBB287_400:                            ;   in Loop: Header=BB287_15 Depth=1
	s_wait_xcnt 0x0
	s_or_b32 exec_lo, exec_lo, s14
.LBB287_401:                            ;   in Loop: Header=BB287_15 Depth=1
	s_delay_alu instid0(SALU_CYCLE_1)
	s_or_b32 exec_lo, exec_lo, s11
.LBB287_402:                            ;   in Loop: Header=BB287_15 Depth=1
	s_delay_alu instid0(SALU_CYCLE_1)
	s_or_b32 exec_lo, exec_lo, s8
	flat_load_b64 v[4:5], v[2:3] offset:1536
	s_mov_b32 s8, exec_lo
	s_wait_loadcnt_dscnt 0x0
	v_and_b32_e32 v0, 0xff, v4
	s_wait_xcnt 0x0
	s_delay_alu instid0(VALU_DEP_1)
	v_cmpx_ne_u16_e32 0, v0
	s_cbranch_execz .LBB287_410
; %bb.403:                              ;   in Loop: Header=BB287_15 Depth=1
	v_cmp_ne_u16_e64 s1, 0x80, v0
	v_mov_b32_e32 v0, 0x8000
	scratch_store_b32 off, v0, s32 offset:312 ; 4-byte Folded Spill
	s_wait_xcnt 0x0
	s_and_saveexec_b32 s11, s1
	s_cbranch_execz .LBB287_409
; %bb.404:                              ;   in Loop: Header=BB287_15 Depth=1
	v_and_b32_e32 v7, 0x7f, v4
	v_mov_b32_e32 v0, 0x7c01
	s_mov_b32 s14, exec_lo
	scratch_store_b32 off, v0, s32 offset:312 ; 4-byte Folded Spill
	s_wait_xcnt 0x0
	v_cmpx_ne_u32_e32 0x7f, v7
	s_cbranch_execz .LBB287_408
; %bb.405:                              ;   in Loop: Header=BB287_15 Depth=1
	v_dual_lshrrev_b32 v6, 3, v7 :: v_dual_bitop2_b32 v0, 7, v4 bitop3:0x40
	s_mov_b32 s15, exec_lo
	v_cmpx_gt_u32_e32 8, v7
; %bb.406:                              ;   in Loop: Header=BB287_15 Depth=1
	s_delay_alu instid0(VALU_DEP_2) | instskip(NEXT) | instid1(VALU_DEP_1)
	v_clz_i32_u32_e32 v0, v0
	v_min_u32_e32 v0, 32, v0
	s_delay_alu instid0(VALU_DEP_1) | instskip(NEXT) | instid1(VALU_DEP_1)
	v_subrev_nc_u32_e32 v6, 28, v0
	v_lshlrev_b64_e32 v[8:9], v6, v[4:5]
	v_sub_nc_u32_e32 v6, 29, v0
	s_delay_alu instid0(VALU_DEP_2)
	v_and_b32_e32 v0, 7, v8
; %bb.407:                              ;   in Loop: Header=BB287_15 Depth=1
	s_or_b32 exec_lo, exec_lo, s15
	v_lshlrev_b32_e32 v7, 8, v4
	s_delay_alu instid0(VALU_DEP_3) | instskip(NEXT) | instid1(VALU_DEP_3)
	v_lshl_add_u32 v6, v6, 10, 0x2000
	v_lshlrev_b32_e32 v0, 7, v0
	s_delay_alu instid0(VALU_DEP_3) | instskip(NEXT) | instid1(VALU_DEP_3)
	v_and_b32_e32 v7, 0x8000, v7
	v_and_b32_e32 v6, 0xfc00, v6
	s_delay_alu instid0(VALU_DEP_1)
	v_or3_b32 v0, v7, v6, v0
	scratch_store_b32 off, v0, s32 offset:312 ; 4-byte Folded Spill
.LBB287_408:                            ;   in Loop: Header=BB287_15 Depth=1
	s_wait_xcnt 0x0
	s_or_b32 exec_lo, exec_lo, s14
.LBB287_409:                            ;   in Loop: Header=BB287_15 Depth=1
	s_delay_alu instid0(SALU_CYCLE_1)
	s_or_b32 exec_lo, exec_lo, s11
.LBB287_410:                            ;   in Loop: Header=BB287_15 Depth=1
	s_delay_alu instid0(SALU_CYCLE_1)
	s_or_b32 exec_lo, exec_lo, s8
	v_mov_b32_e32 v0, 0
	v_lshrrev_b16 v24, 8, v4
	s_mov_b32 s8, exec_lo
	scratch_store_b32 off, v0, s32 offset:320 ; 4-byte Folded Spill
	s_wait_xcnt 0x0
	v_mov_b32_e32 v0, 0
	scratch_store_b32 off, v0, s32 offset:324 ; 4-byte Folded Spill
	s_wait_xcnt 0x0
	v_cmpx_ne_u16_e32 0, v24
	s_cbranch_execz .LBB287_418
; %bb.411:                              ;   in Loop: Header=BB287_15 Depth=1
	v_bfrev_b32_e32 v0, 1
	s_mov_b32 s11, exec_lo
	scratch_store_b32 off, v0, s32 offset:324 ; 4-byte Folded Spill
	s_wait_xcnt 0x0
	v_cmpx_ne_u16_e32 0x80, v24
	s_cbranch_execz .LBB287_417
; %bb.412:                              ;   in Loop: Header=BB287_15 Depth=1
	v_and_b32_e32 v0, 0xffff, v24
	v_mov_b32_e32 v6, 0x7c010000
	s_mov_b32 s14, exec_lo
	s_delay_alu instid0(VALU_DEP_2)
	v_and_b32_e32 v8, 0x7f, v0
	scratch_store_b32 off, v6, s32 offset:324 ; 4-byte Folded Spill
	s_wait_xcnt 0x0
	v_cmpx_ne_u32_e32 0x7f, v8
	s_cbranch_execz .LBB287_416
; %bb.413:                              ;   in Loop: Header=BB287_15 Depth=1
	v_and_b32_e32 v6, 7, v0
	v_lshrrev_b32_e32 v7, 3, v8
	s_mov_b32 s15, exec_lo
	v_cmpx_gt_u32_e32 8, v8
; %bb.414:                              ;   in Loop: Header=BB287_15 Depth=1
	s_delay_alu instid0(VALU_DEP_3) | instskip(NEXT) | instid1(VALU_DEP_1)
	v_clz_i32_u32_e32 v6, v6
	v_min_u32_e32 v8, 32, v6
	s_delay_alu instid0(VALU_DEP_1) | instskip(NEXT) | instid1(VALU_DEP_1)
	v_subrev_nc_u32_e32 v6, 28, v8
	v_lshlrev_b64_e32 v[6:7], v6, v[24:25]
	s_delay_alu instid0(VALU_DEP_1)
	v_dual_sub_nc_u32 v7, 29, v8 :: v_dual_bitop2_b32 v6, 7, v6 bitop3:0x40
; %bb.415:                              ;   in Loop: Header=BB287_15 Depth=1
	s_or_b32 exec_lo, exec_lo, s15
	s_delay_alu instid0(VALU_DEP_1) | instskip(NEXT) | instid1(VALU_DEP_2)
	v_dual_lshlrev_b32 v0, 8, v0 :: v_dual_lshlrev_b32 v6, 23, v6
	v_lshl_add_u32 v7, v7, 10, 0x2000
	s_delay_alu instid0(VALU_DEP_1) | instskip(NEXT) | instid1(VALU_DEP_1)
	v_and_or_b32 v0, 0x8000, v0, v7
	v_lshl_or_b32 v0, v0, 16, v6
	scratch_store_b32 off, v0, s32 offset:324 ; 4-byte Folded Spill
.LBB287_416:                            ;   in Loop: Header=BB287_15 Depth=1
	s_wait_xcnt 0x0
	s_or_b32 exec_lo, exec_lo, s14
.LBB287_417:                            ;   in Loop: Header=BB287_15 Depth=1
	s_delay_alu instid0(SALU_CYCLE_1)
	s_or_b32 exec_lo, exec_lo, s11
.LBB287_418:                            ;   in Loop: Header=BB287_15 Depth=1
	s_delay_alu instid0(SALU_CYCLE_1) | instskip(SKIP_2) | instid1(VALU_DEP_1)
	s_or_b32 exec_lo, exec_lo, s8
	v_lshrrev_b32_e32 v0, 16, v4
	s_mov_b32 s8, exec_lo
	v_and_b32_e32 v6, 0xff, v0
	s_delay_alu instid0(VALU_DEP_1)
	v_cmpx_ne_u16_e32 0, v6
	s_cbranch_execz .LBB287_426
; %bb.419:                              ;   in Loop: Header=BB287_15 Depth=1
	v_cmp_ne_u16_e64 s1, 0x80, v6
	v_mov_b32_e32 v6, 0x8000
	scratch_store_b32 off, v6, s32 offset:320 ; 4-byte Folded Spill
	s_wait_xcnt 0x0
	s_and_saveexec_b32 s11, s1
	s_cbranch_execz .LBB287_425
; %bb.420:                              ;   in Loop: Header=BB287_15 Depth=1
	v_bfe_u32 v8, v4, 16, 7
	v_mov_b32_e32 v6, 0x7c01
	s_mov_b32 s14, exec_lo
	scratch_store_b32 off, v6, s32 offset:320 ; 4-byte Folded Spill
	s_wait_xcnt 0x0
	v_cmpx_ne_u32_e32 0x7f, v8
	s_cbranch_execz .LBB287_424
; %bb.421:                              ;   in Loop: Header=BB287_15 Depth=1
	v_and_b32_e32 v6, 7, v0
	v_lshrrev_b32_e32 v7, 3, v8
	s_mov_b32 s15, exec_lo
	v_cmpx_gt_u32_e32 8, v8
; %bb.422:                              ;   in Loop: Header=BB287_15 Depth=1
	s_delay_alu instid0(VALU_DEP_3) | instskip(NEXT) | instid1(VALU_DEP_1)
	v_clz_i32_u32_e32 v6, v6
	v_min_u32_e32 v8, 32, v6
	s_delay_alu instid0(VALU_DEP_1) | instskip(NEXT) | instid1(VALU_DEP_1)
	v_subrev_nc_u32_e32 v6, 28, v8
	v_lshlrev_b64_e32 v[6:7], v6, v[0:1]
	s_delay_alu instid0(VALU_DEP_1)
	v_dual_sub_nc_u32 v7, 29, v8 :: v_dual_bitop2_b32 v6, 7, v6 bitop3:0x40
; %bb.423:                              ;   in Loop: Header=BB287_15 Depth=1
	s_or_b32 exec_lo, exec_lo, s15
	s_delay_alu instid0(VALU_DEP_1) | instskip(NEXT) | instid1(VALU_DEP_2)
	v_dual_lshlrev_b32 v0, 8, v0 :: v_dual_lshlrev_b32 v6, 7, v6
	v_lshl_add_u32 v7, v7, 10, 0x2000
	s_delay_alu instid0(VALU_DEP_2) | instskip(NEXT) | instid1(VALU_DEP_2)
	v_and_b32_e32 v0, 0x8000, v0
	v_and_b32_e32 v7, 0xfc00, v7
	s_delay_alu instid0(VALU_DEP_1)
	v_or3_b32 v0, v0, v7, v6
	scratch_store_b32 off, v0, s32 offset:320 ; 4-byte Folded Spill
.LBB287_424:                            ;   in Loop: Header=BB287_15 Depth=1
	s_wait_xcnt 0x0
	s_or_b32 exec_lo, exec_lo, s14
.LBB287_425:                            ;   in Loop: Header=BB287_15 Depth=1
	s_delay_alu instid0(SALU_CYCLE_1)
	s_or_b32 exec_lo, exec_lo, s11
.LBB287_426:                            ;   in Loop: Header=BB287_15 Depth=1
	s_delay_alu instid0(SALU_CYCLE_1)
	s_or_b32 exec_lo, exec_lo, s8
	v_mov_b32_e32 v0, 0
	s_mov_b32 s8, exec_lo
	scratch_store_b32 off, v0, s32 offset:328 ; 4-byte Folded Spill
	s_wait_xcnt 0x0
	v_mov_b32_e32 v0, 0
	scratch_store_b32 off, v0, s32 offset:332 ; 4-byte Folded Spill
	s_wait_xcnt 0x0
	v_cmpx_lt_u32_e32 0xffffff, v4
	s_cbranch_execz .LBB287_434
; %bb.427:                              ;   in Loop: Header=BB287_15 Depth=1
	v_lshrrev_b32_e32 v24, 24, v4
	v_bfrev_b32_e32 v0, 1
	s_mov_b32 s11, exec_lo
	scratch_store_b32 off, v0, s32 offset:332 ; 4-byte Folded Spill
	s_wait_xcnt 0x0
	v_cmpx_ne_u32_e32 0x80, v24
	s_cbranch_execz .LBB287_433
; %bb.428:                              ;   in Loop: Header=BB287_15 Depth=1
	v_and_b32_e32 v7, 0x7f, v24
	v_mov_b32_e32 v0, 0x7c010000
	s_mov_b32 s14, exec_lo
	scratch_store_b32 off, v0, s32 offset:332 ; 4-byte Folded Spill
	s_wait_xcnt 0x0
	v_cmpx_ne_u32_e32 0x7f, v7
	s_cbranch_execz .LBB287_432
; %bb.429:                              ;   in Loop: Header=BB287_15 Depth=1
	v_dual_lshrrev_b32 v6, 3, v7 :: v_dual_bitop2_b32 v0, 7, v24 bitop3:0x40
	s_mov_b32 s15, exec_lo
	v_cmpx_gt_u32_e32 8, v7
; %bb.430:                              ;   in Loop: Header=BB287_15 Depth=1
	s_delay_alu instid0(VALU_DEP_2) | instskip(NEXT) | instid1(VALU_DEP_1)
	v_clz_i32_u32_e32 v0, v0
	v_min_u32_e32 v0, 32, v0
	s_delay_alu instid0(VALU_DEP_1) | instskip(NEXT) | instid1(VALU_DEP_1)
	v_subrev_nc_u32_e32 v6, 28, v0
	v_lshlrev_b64_e32 v[8:9], v6, v[24:25]
	v_sub_nc_u32_e32 v6, 29, v0
	s_delay_alu instid0(VALU_DEP_2)
	v_and_b32_e32 v0, 7, v8
; %bb.431:                              ;   in Loop: Header=BB287_15 Depth=1
	s_or_b32 exec_lo, exec_lo, s15
	v_lshlrev_b32_e32 v7, 8, v24
	s_delay_alu instid0(VALU_DEP_3) | instskip(NEXT) | instid1(VALU_DEP_3)
	v_lshl_add_u32 v6, v6, 10, 0x2000
	v_lshlrev_b32_e32 v0, 23, v0
	s_delay_alu instid0(VALU_DEP_2) | instskip(NEXT) | instid1(VALU_DEP_1)
	v_and_or_b32 v6, 0x8000, v7, v6
	v_lshl_or_b32 v0, v6, 16, v0
	scratch_store_b32 off, v0, s32 offset:332 ; 4-byte Folded Spill
.LBB287_432:                            ;   in Loop: Header=BB287_15 Depth=1
	s_wait_xcnt 0x0
	s_or_b32 exec_lo, exec_lo, s14
.LBB287_433:                            ;   in Loop: Header=BB287_15 Depth=1
	s_delay_alu instid0(SALU_CYCLE_1)
	s_or_b32 exec_lo, exec_lo, s11
.LBB287_434:                            ;   in Loop: Header=BB287_15 Depth=1
	s_delay_alu instid0(SALU_CYCLE_1) | instskip(SKIP_3) | instid1(VALU_DEP_2)
	s_or_b32 exec_lo, exec_lo, s8
	v_and_b32_e32 v0, 0xff, v5
	v_mov_b32_e32 v24, v5
	s_mov_b32 s8, exec_lo
	v_cmpx_ne_u16_e32 0, v0
	s_cbranch_execz .LBB287_442
; %bb.435:                              ;   in Loop: Header=BB287_15 Depth=1
	v_cmp_ne_u16_e64 s1, 0x80, v0
	v_mov_b32_e32 v0, 0x8000
	scratch_store_b32 off, v0, s32 offset:328 ; 4-byte Folded Spill
	s_wait_xcnt 0x0
	s_and_saveexec_b32 s11, s1
	s_cbranch_execz .LBB287_441
; %bb.436:                              ;   in Loop: Header=BB287_15 Depth=1
	v_and_b32_e32 v7, 0x7f, v5
	v_mov_b32_e32 v0, 0x7c01
	s_mov_b32 s14, exec_lo
	scratch_store_b32 off, v0, s32 offset:328 ; 4-byte Folded Spill
	s_wait_xcnt 0x0
	v_cmpx_ne_u32_e32 0x7f, v7
	s_cbranch_execz .LBB287_440
; %bb.437:                              ;   in Loop: Header=BB287_15 Depth=1
	v_dual_lshrrev_b32 v6, 3, v7 :: v_dual_bitop2_b32 v0, 7, v5 bitop3:0x40
	s_mov_b32 s15, exec_lo
	v_cmpx_gt_u32_e32 8, v7
; %bb.438:                              ;   in Loop: Header=BB287_15 Depth=1
	s_delay_alu instid0(VALU_DEP_2) | instskip(NEXT) | instid1(VALU_DEP_1)
	v_clz_i32_u32_e32 v0, v0
	v_min_u32_e32 v0, 32, v0
	s_delay_alu instid0(VALU_DEP_1) | instskip(NEXT) | instid1(VALU_DEP_1)
	v_subrev_nc_u32_e32 v6, 28, v0
	v_lshlrev_b64_e32 v[8:9], v6, v[24:25]
	v_sub_nc_u32_e32 v6, 29, v0
	s_delay_alu instid0(VALU_DEP_2)
	v_and_b32_e32 v0, 7, v8
; %bb.439:                              ;   in Loop: Header=BB287_15 Depth=1
	s_or_b32 exec_lo, exec_lo, s15
	s_delay_alu instid0(VALU_DEP_1) | instskip(NEXT) | instid1(VALU_DEP_3)
	v_dual_lshlrev_b32 v7, 8, v5 :: v_dual_lshlrev_b32 v0, 7, v0
	v_lshl_add_u32 v6, v6, 10, 0x2000
	s_delay_alu instid0(VALU_DEP_2) | instskip(NEXT) | instid1(VALU_DEP_2)
	v_and_b32_e32 v7, 0x8000, v7
	v_and_b32_e32 v6, 0xfc00, v6
	s_delay_alu instid0(VALU_DEP_1)
	v_or3_b32 v0, v7, v6, v0
	scratch_store_b32 off, v0, s32 offset:328 ; 4-byte Folded Spill
.LBB287_440:                            ;   in Loop: Header=BB287_15 Depth=1
	s_wait_xcnt 0x0
	s_or_b32 exec_lo, exec_lo, s14
.LBB287_441:                            ;   in Loop: Header=BB287_15 Depth=1
	s_delay_alu instid0(SALU_CYCLE_1)
	s_or_b32 exec_lo, exec_lo, s11
.LBB287_442:                            ;   in Loop: Header=BB287_15 Depth=1
	s_delay_alu instid0(SALU_CYCLE_1)
	s_or_b32 exec_lo, exec_lo, s8
	v_mov_b32_e32 v0, 0
	v_lshrrev_b16 v24, 8, v24
	s_mov_b32 s8, exec_lo
	scratch_store_b32 off, v0, s32 offset:336 ; 4-byte Folded Spill
	s_wait_xcnt 0x0
	v_mov_b32_e32 v0, 0
	scratch_store_b32 off, v0, s32 offset:340 ; 4-byte Folded Spill
	s_wait_xcnt 0x0
	v_cmpx_ne_u16_e32 0, v24
	s_cbranch_execz .LBB287_450
; %bb.443:                              ;   in Loop: Header=BB287_15 Depth=1
	v_bfrev_b32_e32 v0, 1
	s_mov_b32 s11, exec_lo
	scratch_store_b32 off, v0, s32 offset:340 ; 4-byte Folded Spill
	s_wait_xcnt 0x0
	v_cmpx_ne_u16_e32 0x80, v24
	s_cbranch_execz .LBB287_449
; %bb.444:                              ;   in Loop: Header=BB287_15 Depth=1
	v_and_b32_e32 v0, 0xffff, v24
	v_mov_b32_e32 v6, 0x7c010000
	s_mov_b32 s14, exec_lo
	s_delay_alu instid0(VALU_DEP_2)
	v_and_b32_e32 v8, 0x7f, v0
	scratch_store_b32 off, v6, s32 offset:340 ; 4-byte Folded Spill
	s_wait_xcnt 0x0
	v_cmpx_ne_u32_e32 0x7f, v8
	s_cbranch_execz .LBB287_448
; %bb.445:                              ;   in Loop: Header=BB287_15 Depth=1
	v_and_b32_e32 v6, 7, v0
	v_lshrrev_b32_e32 v7, 3, v8
	s_mov_b32 s15, exec_lo
	v_cmpx_gt_u32_e32 8, v8
; %bb.446:                              ;   in Loop: Header=BB287_15 Depth=1
	s_delay_alu instid0(VALU_DEP_3) | instskip(NEXT) | instid1(VALU_DEP_1)
	v_clz_i32_u32_e32 v6, v6
	v_min_u32_e32 v8, 32, v6
	s_delay_alu instid0(VALU_DEP_1) | instskip(NEXT) | instid1(VALU_DEP_1)
	v_subrev_nc_u32_e32 v6, 28, v8
	v_lshlrev_b64_e32 v[6:7], v6, v[24:25]
	s_delay_alu instid0(VALU_DEP_1)
	v_dual_sub_nc_u32 v7, 29, v8 :: v_dual_bitop2_b32 v6, 7, v6 bitop3:0x40
; %bb.447:                              ;   in Loop: Header=BB287_15 Depth=1
	s_or_b32 exec_lo, exec_lo, s15
	s_delay_alu instid0(VALU_DEP_1) | instskip(NEXT) | instid1(VALU_DEP_2)
	v_dual_lshlrev_b32 v0, 8, v0 :: v_dual_lshlrev_b32 v6, 23, v6
	v_lshl_add_u32 v7, v7, 10, 0x2000
	s_delay_alu instid0(VALU_DEP_1) | instskip(NEXT) | instid1(VALU_DEP_1)
	v_and_or_b32 v0, 0x8000, v0, v7
	v_lshl_or_b32 v0, v0, 16, v6
	scratch_store_b32 off, v0, s32 offset:340 ; 4-byte Folded Spill
.LBB287_448:                            ;   in Loop: Header=BB287_15 Depth=1
	s_wait_xcnt 0x0
	s_or_b32 exec_lo, exec_lo, s14
.LBB287_449:                            ;   in Loop: Header=BB287_15 Depth=1
	s_delay_alu instid0(SALU_CYCLE_1)
	s_or_b32 exec_lo, exec_lo, s11
.LBB287_450:                            ;   in Loop: Header=BB287_15 Depth=1
	s_delay_alu instid0(SALU_CYCLE_1) | instskip(SKIP_2) | instid1(VALU_DEP_1)
	s_or_b32 exec_lo, exec_lo, s8
	v_lshrrev_b32_e32 v0, 16, v5
	s_mov_b32 s8, exec_lo
	v_and_b32_e32 v6, 0xff, v0
	s_delay_alu instid0(VALU_DEP_1)
	v_cmpx_ne_u16_e32 0, v6
	s_cbranch_execz .LBB287_458
; %bb.451:                              ;   in Loop: Header=BB287_15 Depth=1
	v_cmp_ne_u16_e64 s1, 0x80, v6
	v_mov_b32_e32 v6, 0x8000
	scratch_store_b32 off, v6, s32 offset:336 ; 4-byte Folded Spill
	s_wait_xcnt 0x0
	s_and_saveexec_b32 s11, s1
	s_cbranch_execz .LBB287_457
; %bb.452:                              ;   in Loop: Header=BB287_15 Depth=1
	v_bfe_u32 v8, v5, 16, 7
	v_mov_b32_e32 v6, 0x7c01
	s_mov_b32 s14, exec_lo
	scratch_store_b32 off, v6, s32 offset:336 ; 4-byte Folded Spill
	s_wait_xcnt 0x0
	v_cmpx_ne_u32_e32 0x7f, v8
	s_cbranch_execz .LBB287_456
; %bb.453:                              ;   in Loop: Header=BB287_15 Depth=1
	v_and_b32_e32 v6, 7, v0
	v_lshrrev_b32_e32 v7, 3, v8
	s_mov_b32 s15, exec_lo
	v_cmpx_gt_u32_e32 8, v8
; %bb.454:                              ;   in Loop: Header=BB287_15 Depth=1
	s_delay_alu instid0(VALU_DEP_3) | instskip(NEXT) | instid1(VALU_DEP_1)
	v_clz_i32_u32_e32 v6, v6
	v_min_u32_e32 v8, 32, v6
	s_delay_alu instid0(VALU_DEP_1) | instskip(NEXT) | instid1(VALU_DEP_1)
	v_subrev_nc_u32_e32 v6, 28, v8
	v_lshlrev_b64_e32 v[6:7], v6, v[0:1]
	s_delay_alu instid0(VALU_DEP_1)
	v_dual_sub_nc_u32 v7, 29, v8 :: v_dual_bitop2_b32 v6, 7, v6 bitop3:0x40
; %bb.455:                              ;   in Loop: Header=BB287_15 Depth=1
	s_or_b32 exec_lo, exec_lo, s15
	s_delay_alu instid0(VALU_DEP_1) | instskip(NEXT) | instid1(VALU_DEP_2)
	v_dual_lshlrev_b32 v0, 8, v0 :: v_dual_lshlrev_b32 v6, 7, v6
	v_lshl_add_u32 v7, v7, 10, 0x2000
	s_delay_alu instid0(VALU_DEP_2) | instskip(NEXT) | instid1(VALU_DEP_2)
	v_and_b32_e32 v0, 0x8000, v0
	v_and_b32_e32 v7, 0xfc00, v7
	s_delay_alu instid0(VALU_DEP_1)
	v_or3_b32 v0, v0, v7, v6
	scratch_store_b32 off, v0, s32 offset:336 ; 4-byte Folded Spill
.LBB287_456:                            ;   in Loop: Header=BB287_15 Depth=1
	s_wait_xcnt 0x0
	s_or_b32 exec_lo, exec_lo, s14
.LBB287_457:                            ;   in Loop: Header=BB287_15 Depth=1
	s_delay_alu instid0(SALU_CYCLE_1)
	s_or_b32 exec_lo, exec_lo, s11
.LBB287_458:                            ;   in Loop: Header=BB287_15 Depth=1
	s_delay_alu instid0(SALU_CYCLE_1)
	s_or_b32 exec_lo, exec_lo, s8
	v_mov_b32_e32 v0, 0
	s_mov_b32 s8, exec_lo
	scratch_store_b32 off, v0, s32 offset:344 ; 4-byte Folded Spill
	s_wait_xcnt 0x0
	v_mov_b32_e32 v0, 0
	scratch_store_b32 off, v0, s32 offset:348 ; 4-byte Folded Spill
	s_wait_xcnt 0x0
	v_cmpx_lt_u64_e64 s[4:5], v[4:5]
	s_cbranch_execz .LBB287_466
; %bb.459:                              ;   in Loop: Header=BB287_15 Depth=1
	v_lshrrev_b32_e32 v24, 24, v5
	v_bfrev_b32_e32 v0, 1
	s_mov_b32 s11, exec_lo
	scratch_store_b32 off, v0, s32 offset:348 ; 4-byte Folded Spill
	s_wait_xcnt 0x0
	v_cmpx_ne_u32_e32 0x80, v24
	s_cbranch_execz .LBB287_465
; %bb.460:                              ;   in Loop: Header=BB287_15 Depth=1
	v_and_b32_e32 v5, 0x7f, v24
	v_mov_b32_e32 v0, 0x7c010000
	s_mov_b32 s14, exec_lo
	scratch_store_b32 off, v0, s32 offset:348 ; 4-byte Folded Spill
	s_wait_xcnt 0x0
	v_cmpx_ne_u32_e32 0x7f, v5
	s_cbranch_execz .LBB287_464
; %bb.461:                              ;   in Loop: Header=BB287_15 Depth=1
	v_dual_lshrrev_b32 v4, 3, v5 :: v_dual_bitop2_b32 v0, 7, v24 bitop3:0x40
	s_mov_b32 s15, exec_lo
	v_cmpx_gt_u32_e32 8, v5
; %bb.462:                              ;   in Loop: Header=BB287_15 Depth=1
	s_delay_alu instid0(VALU_DEP_2) | instskip(NEXT) | instid1(VALU_DEP_1)
	v_clz_i32_u32_e32 v0, v0
	v_min_u32_e32 v0, 32, v0
	s_delay_alu instid0(VALU_DEP_1) | instskip(NEXT) | instid1(VALU_DEP_1)
	v_subrev_nc_u32_e32 v4, 28, v0
	v_lshlrev_b64_e32 v[6:7], v4, v[24:25]
	s_delay_alu instid0(VALU_DEP_1)
	v_dual_sub_nc_u32 v4, 29, v0 :: v_dual_bitop2_b32 v0, 7, v6 bitop3:0x40
; %bb.463:                              ;   in Loop: Header=BB287_15 Depth=1
	s_or_b32 exec_lo, exec_lo, s15
	v_lshlrev_b32_e32 v5, 8, v24
	s_delay_alu instid0(VALU_DEP_2) | instskip(NEXT) | instid1(VALU_DEP_3)
	v_lshl_add_u32 v4, v4, 10, 0x2000
	v_lshlrev_b32_e32 v0, 23, v0
	s_delay_alu instid0(VALU_DEP_2) | instskip(NEXT) | instid1(VALU_DEP_1)
	v_and_or_b32 v4, 0x8000, v5, v4
	v_lshl_or_b32 v0, v4, 16, v0
	scratch_store_b32 off, v0, s32 offset:348 ; 4-byte Folded Spill
.LBB287_464:                            ;   in Loop: Header=BB287_15 Depth=1
	s_wait_xcnt 0x0
	s_or_b32 exec_lo, exec_lo, s14
.LBB287_465:                            ;   in Loop: Header=BB287_15 Depth=1
	s_delay_alu instid0(SALU_CYCLE_1)
	s_or_b32 exec_lo, exec_lo, s11
.LBB287_466:                            ;   in Loop: Header=BB287_15 Depth=1
	s_delay_alu instid0(SALU_CYCLE_1)
	s_or_b32 exec_lo, exec_lo, s8
	flat_load_b64 v[4:5], v[2:3] offset:1544
	s_mov_b32 s8, exec_lo
	s_wait_loadcnt_dscnt 0x0
	v_and_b32_e32 v0, 0xff, v4
	s_wait_xcnt 0x0
	s_delay_alu instid0(VALU_DEP_1)
	v_cmpx_ne_u16_e32 0, v0
	s_cbranch_execz .LBB287_474
; %bb.467:                              ;   in Loop: Header=BB287_15 Depth=1
	v_cmp_ne_u16_e64 s1, 0x80, v0
	v_mov_b32_e32 v0, 0x8000
	scratch_store_b32 off, v0, s32 offset:344 ; 4-byte Folded Spill
	s_wait_xcnt 0x0
	s_and_saveexec_b32 s11, s1
	s_cbranch_execz .LBB287_473
; %bb.468:                              ;   in Loop: Header=BB287_15 Depth=1
	v_and_b32_e32 v7, 0x7f, v4
	v_mov_b32_e32 v0, 0x7c01
	s_mov_b32 s14, exec_lo
	scratch_store_b32 off, v0, s32 offset:344 ; 4-byte Folded Spill
	s_wait_xcnt 0x0
	v_cmpx_ne_u32_e32 0x7f, v7
	s_cbranch_execz .LBB287_472
; %bb.469:                              ;   in Loop: Header=BB287_15 Depth=1
	v_dual_lshrrev_b32 v6, 3, v7 :: v_dual_bitop2_b32 v0, 7, v4 bitop3:0x40
	s_mov_b32 s15, exec_lo
	v_cmpx_gt_u32_e32 8, v7
; %bb.470:                              ;   in Loop: Header=BB287_15 Depth=1
	s_delay_alu instid0(VALU_DEP_2) | instskip(NEXT) | instid1(VALU_DEP_1)
	v_clz_i32_u32_e32 v0, v0
	v_min_u32_e32 v0, 32, v0
	s_delay_alu instid0(VALU_DEP_1) | instskip(NEXT) | instid1(VALU_DEP_1)
	v_subrev_nc_u32_e32 v6, 28, v0
	v_lshlrev_b64_e32 v[8:9], v6, v[4:5]
	v_sub_nc_u32_e32 v6, 29, v0
	s_delay_alu instid0(VALU_DEP_2)
	v_and_b32_e32 v0, 7, v8
; %bb.471:                              ;   in Loop: Header=BB287_15 Depth=1
	s_or_b32 exec_lo, exec_lo, s15
	v_lshlrev_b32_e32 v7, 8, v4
	s_delay_alu instid0(VALU_DEP_3) | instskip(NEXT) | instid1(VALU_DEP_3)
	v_lshl_add_u32 v6, v6, 10, 0x2000
	v_lshlrev_b32_e32 v0, 7, v0
	s_delay_alu instid0(VALU_DEP_3) | instskip(NEXT) | instid1(VALU_DEP_3)
	v_and_b32_e32 v7, 0x8000, v7
	v_and_b32_e32 v6, 0xfc00, v6
	s_delay_alu instid0(VALU_DEP_1)
	v_or3_b32 v0, v7, v6, v0
	scratch_store_b32 off, v0, s32 offset:344 ; 4-byte Folded Spill
.LBB287_472:                            ;   in Loop: Header=BB287_15 Depth=1
	s_wait_xcnt 0x0
	s_or_b32 exec_lo, exec_lo, s14
.LBB287_473:                            ;   in Loop: Header=BB287_15 Depth=1
	s_delay_alu instid0(SALU_CYCLE_1)
	s_or_b32 exec_lo, exec_lo, s11
.LBB287_474:                            ;   in Loop: Header=BB287_15 Depth=1
	s_delay_alu instid0(SALU_CYCLE_1)
	s_or_b32 exec_lo, exec_lo, s8
	v_mov_b32_e32 v0, 0
	v_lshrrev_b16 v24, 8, v4
	s_mov_b32 s8, exec_lo
	scratch_store_b32 off, v0, s32 offset:352 ; 4-byte Folded Spill
	s_wait_xcnt 0x0
	v_mov_b32_e32 v0, 0
	scratch_store_b32 off, v0, s32 offset:356 ; 4-byte Folded Spill
	s_wait_xcnt 0x0
	v_cmpx_ne_u16_e32 0, v24
	s_cbranch_execz .LBB287_482
; %bb.475:                              ;   in Loop: Header=BB287_15 Depth=1
	v_bfrev_b32_e32 v0, 1
	s_mov_b32 s11, exec_lo
	scratch_store_b32 off, v0, s32 offset:356 ; 4-byte Folded Spill
	s_wait_xcnt 0x0
	v_cmpx_ne_u16_e32 0x80, v24
	s_cbranch_execz .LBB287_481
; %bb.476:                              ;   in Loop: Header=BB287_15 Depth=1
	v_and_b32_e32 v0, 0xffff, v24
	v_mov_b32_e32 v6, 0x7c010000
	s_mov_b32 s14, exec_lo
	s_delay_alu instid0(VALU_DEP_2)
	v_and_b32_e32 v8, 0x7f, v0
	scratch_store_b32 off, v6, s32 offset:356 ; 4-byte Folded Spill
	s_wait_xcnt 0x0
	v_cmpx_ne_u32_e32 0x7f, v8
	s_cbranch_execz .LBB287_480
; %bb.477:                              ;   in Loop: Header=BB287_15 Depth=1
	v_and_b32_e32 v6, 7, v0
	v_lshrrev_b32_e32 v7, 3, v8
	s_mov_b32 s15, exec_lo
	v_cmpx_gt_u32_e32 8, v8
; %bb.478:                              ;   in Loop: Header=BB287_15 Depth=1
	s_delay_alu instid0(VALU_DEP_3) | instskip(NEXT) | instid1(VALU_DEP_1)
	v_clz_i32_u32_e32 v6, v6
	v_min_u32_e32 v8, 32, v6
	s_delay_alu instid0(VALU_DEP_1) | instskip(NEXT) | instid1(VALU_DEP_1)
	v_subrev_nc_u32_e32 v6, 28, v8
	v_lshlrev_b64_e32 v[6:7], v6, v[24:25]
	s_delay_alu instid0(VALU_DEP_1)
	v_dual_sub_nc_u32 v7, 29, v8 :: v_dual_bitop2_b32 v6, 7, v6 bitop3:0x40
; %bb.479:                              ;   in Loop: Header=BB287_15 Depth=1
	s_or_b32 exec_lo, exec_lo, s15
	s_delay_alu instid0(VALU_DEP_1) | instskip(NEXT) | instid1(VALU_DEP_2)
	v_dual_lshlrev_b32 v0, 8, v0 :: v_dual_lshlrev_b32 v6, 23, v6
	v_lshl_add_u32 v7, v7, 10, 0x2000
	s_delay_alu instid0(VALU_DEP_1) | instskip(NEXT) | instid1(VALU_DEP_1)
	v_and_or_b32 v0, 0x8000, v0, v7
	v_lshl_or_b32 v0, v0, 16, v6
	scratch_store_b32 off, v0, s32 offset:356 ; 4-byte Folded Spill
.LBB287_480:                            ;   in Loop: Header=BB287_15 Depth=1
	s_wait_xcnt 0x0
	s_or_b32 exec_lo, exec_lo, s14
.LBB287_481:                            ;   in Loop: Header=BB287_15 Depth=1
	s_delay_alu instid0(SALU_CYCLE_1)
	s_or_b32 exec_lo, exec_lo, s11
.LBB287_482:                            ;   in Loop: Header=BB287_15 Depth=1
	s_delay_alu instid0(SALU_CYCLE_1) | instskip(SKIP_2) | instid1(VALU_DEP_1)
	s_or_b32 exec_lo, exec_lo, s8
	v_lshrrev_b32_e32 v0, 16, v4
	s_mov_b32 s8, exec_lo
	v_and_b32_e32 v6, 0xff, v0
	s_delay_alu instid0(VALU_DEP_1)
	v_cmpx_ne_u16_e32 0, v6
	s_cbranch_execz .LBB287_490
; %bb.483:                              ;   in Loop: Header=BB287_15 Depth=1
	v_cmp_ne_u16_e64 s1, 0x80, v6
	v_mov_b32_e32 v6, 0x8000
	scratch_store_b32 off, v6, s32 offset:352 ; 4-byte Folded Spill
	s_wait_xcnt 0x0
	s_and_saveexec_b32 s11, s1
	s_cbranch_execz .LBB287_489
; %bb.484:                              ;   in Loop: Header=BB287_15 Depth=1
	v_bfe_u32 v8, v4, 16, 7
	v_mov_b32_e32 v6, 0x7c01
	s_mov_b32 s14, exec_lo
	scratch_store_b32 off, v6, s32 offset:352 ; 4-byte Folded Spill
	s_wait_xcnt 0x0
	v_cmpx_ne_u32_e32 0x7f, v8
	s_cbranch_execz .LBB287_488
; %bb.485:                              ;   in Loop: Header=BB287_15 Depth=1
	v_and_b32_e32 v6, 7, v0
	v_lshrrev_b32_e32 v7, 3, v8
	s_mov_b32 s15, exec_lo
	v_cmpx_gt_u32_e32 8, v8
; %bb.486:                              ;   in Loop: Header=BB287_15 Depth=1
	s_delay_alu instid0(VALU_DEP_3) | instskip(NEXT) | instid1(VALU_DEP_1)
	v_clz_i32_u32_e32 v6, v6
	v_min_u32_e32 v8, 32, v6
	s_delay_alu instid0(VALU_DEP_1) | instskip(NEXT) | instid1(VALU_DEP_1)
	v_subrev_nc_u32_e32 v6, 28, v8
	v_lshlrev_b64_e32 v[6:7], v6, v[0:1]
	s_delay_alu instid0(VALU_DEP_1)
	v_dual_sub_nc_u32 v7, 29, v8 :: v_dual_bitop2_b32 v6, 7, v6 bitop3:0x40
; %bb.487:                              ;   in Loop: Header=BB287_15 Depth=1
	s_or_b32 exec_lo, exec_lo, s15
	s_delay_alu instid0(VALU_DEP_1) | instskip(NEXT) | instid1(VALU_DEP_2)
	v_dual_lshlrev_b32 v0, 8, v0 :: v_dual_lshlrev_b32 v6, 7, v6
	v_lshl_add_u32 v7, v7, 10, 0x2000
	s_delay_alu instid0(VALU_DEP_2) | instskip(NEXT) | instid1(VALU_DEP_2)
	v_and_b32_e32 v0, 0x8000, v0
	v_and_b32_e32 v7, 0xfc00, v7
	s_delay_alu instid0(VALU_DEP_1)
	v_or3_b32 v0, v0, v7, v6
	scratch_store_b32 off, v0, s32 offset:352 ; 4-byte Folded Spill
.LBB287_488:                            ;   in Loop: Header=BB287_15 Depth=1
	s_wait_xcnt 0x0
	s_or_b32 exec_lo, exec_lo, s14
.LBB287_489:                            ;   in Loop: Header=BB287_15 Depth=1
	s_delay_alu instid0(SALU_CYCLE_1)
	s_or_b32 exec_lo, exec_lo, s11
.LBB287_490:                            ;   in Loop: Header=BB287_15 Depth=1
	s_delay_alu instid0(SALU_CYCLE_1)
	s_or_b32 exec_lo, exec_lo, s8
	v_mov_b32_e32 v0, 0
	s_mov_b32 s8, exec_lo
	scratch_store_b32 off, v0, s32 offset:360 ; 4-byte Folded Spill
	s_wait_xcnt 0x0
	v_mov_b32_e32 v0, 0
	scratch_store_b32 off, v0, s32 offset:364 ; 4-byte Folded Spill
	s_wait_xcnt 0x0
	v_cmpx_lt_u32_e32 0xffffff, v4
	s_cbranch_execz .LBB287_498
; %bb.491:                              ;   in Loop: Header=BB287_15 Depth=1
	v_lshrrev_b32_e32 v24, 24, v4
	v_bfrev_b32_e32 v0, 1
	s_mov_b32 s11, exec_lo
	scratch_store_b32 off, v0, s32 offset:364 ; 4-byte Folded Spill
	s_wait_xcnt 0x0
	v_cmpx_ne_u32_e32 0x80, v24
	s_cbranch_execz .LBB287_497
; %bb.492:                              ;   in Loop: Header=BB287_15 Depth=1
	v_and_b32_e32 v7, 0x7f, v24
	v_mov_b32_e32 v0, 0x7c010000
	s_mov_b32 s14, exec_lo
	scratch_store_b32 off, v0, s32 offset:364 ; 4-byte Folded Spill
	s_wait_xcnt 0x0
	v_cmpx_ne_u32_e32 0x7f, v7
	s_cbranch_execz .LBB287_496
; %bb.493:                              ;   in Loop: Header=BB287_15 Depth=1
	v_dual_lshrrev_b32 v6, 3, v7 :: v_dual_bitop2_b32 v0, 7, v24 bitop3:0x40
	s_mov_b32 s15, exec_lo
	v_cmpx_gt_u32_e32 8, v7
; %bb.494:                              ;   in Loop: Header=BB287_15 Depth=1
	s_delay_alu instid0(VALU_DEP_2) | instskip(NEXT) | instid1(VALU_DEP_1)
	v_clz_i32_u32_e32 v0, v0
	v_min_u32_e32 v0, 32, v0
	s_delay_alu instid0(VALU_DEP_1) | instskip(NEXT) | instid1(VALU_DEP_1)
	v_subrev_nc_u32_e32 v6, 28, v0
	v_lshlrev_b64_e32 v[8:9], v6, v[24:25]
	v_sub_nc_u32_e32 v6, 29, v0
	s_delay_alu instid0(VALU_DEP_2)
	v_and_b32_e32 v0, 7, v8
; %bb.495:                              ;   in Loop: Header=BB287_15 Depth=1
	s_or_b32 exec_lo, exec_lo, s15
	v_lshlrev_b32_e32 v7, 8, v24
	s_delay_alu instid0(VALU_DEP_3) | instskip(NEXT) | instid1(VALU_DEP_3)
	v_lshl_add_u32 v6, v6, 10, 0x2000
	v_lshlrev_b32_e32 v0, 23, v0
	s_delay_alu instid0(VALU_DEP_2) | instskip(NEXT) | instid1(VALU_DEP_1)
	v_and_or_b32 v6, 0x8000, v7, v6
	v_lshl_or_b32 v0, v6, 16, v0
	scratch_store_b32 off, v0, s32 offset:364 ; 4-byte Folded Spill
.LBB287_496:                            ;   in Loop: Header=BB287_15 Depth=1
	s_wait_xcnt 0x0
	s_or_b32 exec_lo, exec_lo, s14
.LBB287_497:                            ;   in Loop: Header=BB287_15 Depth=1
	s_delay_alu instid0(SALU_CYCLE_1)
	s_or_b32 exec_lo, exec_lo, s11
.LBB287_498:                            ;   in Loop: Header=BB287_15 Depth=1
	s_delay_alu instid0(SALU_CYCLE_1) | instskip(SKIP_3) | instid1(VALU_DEP_2)
	s_or_b32 exec_lo, exec_lo, s8
	v_and_b32_e32 v0, 0xff, v5
	v_mov_b32_e32 v24, v5
	s_mov_b32 s8, exec_lo
	v_cmpx_ne_u16_e32 0, v0
	s_cbranch_execz .LBB287_506
; %bb.499:                              ;   in Loop: Header=BB287_15 Depth=1
	v_cmp_ne_u16_e64 s1, 0x80, v0
	v_mov_b32_e32 v0, 0x8000
	scratch_store_b32 off, v0, s32 offset:360 ; 4-byte Folded Spill
	s_wait_xcnt 0x0
	s_and_saveexec_b32 s11, s1
	s_cbranch_execz .LBB287_505
; %bb.500:                              ;   in Loop: Header=BB287_15 Depth=1
	v_and_b32_e32 v7, 0x7f, v5
	v_mov_b32_e32 v0, 0x7c01
	s_mov_b32 s14, exec_lo
	scratch_store_b32 off, v0, s32 offset:360 ; 4-byte Folded Spill
	s_wait_xcnt 0x0
	v_cmpx_ne_u32_e32 0x7f, v7
	s_cbranch_execz .LBB287_504
; %bb.501:                              ;   in Loop: Header=BB287_15 Depth=1
	v_dual_lshrrev_b32 v6, 3, v7 :: v_dual_bitop2_b32 v0, 7, v5 bitop3:0x40
	s_mov_b32 s15, exec_lo
	v_cmpx_gt_u32_e32 8, v7
; %bb.502:                              ;   in Loop: Header=BB287_15 Depth=1
	s_delay_alu instid0(VALU_DEP_2) | instskip(NEXT) | instid1(VALU_DEP_1)
	v_clz_i32_u32_e32 v0, v0
	v_min_u32_e32 v0, 32, v0
	s_delay_alu instid0(VALU_DEP_1) | instskip(NEXT) | instid1(VALU_DEP_1)
	v_subrev_nc_u32_e32 v6, 28, v0
	v_lshlrev_b64_e32 v[8:9], v6, v[24:25]
	v_sub_nc_u32_e32 v6, 29, v0
	s_delay_alu instid0(VALU_DEP_2)
	v_and_b32_e32 v0, 7, v8
; %bb.503:                              ;   in Loop: Header=BB287_15 Depth=1
	s_or_b32 exec_lo, exec_lo, s15
	s_delay_alu instid0(VALU_DEP_1) | instskip(NEXT) | instid1(VALU_DEP_3)
	v_dual_lshlrev_b32 v7, 8, v5 :: v_dual_lshlrev_b32 v0, 7, v0
	v_lshl_add_u32 v6, v6, 10, 0x2000
	s_delay_alu instid0(VALU_DEP_2) | instskip(NEXT) | instid1(VALU_DEP_2)
	v_and_b32_e32 v7, 0x8000, v7
	v_and_b32_e32 v6, 0xfc00, v6
	s_delay_alu instid0(VALU_DEP_1)
	v_or3_b32 v0, v7, v6, v0
	scratch_store_b32 off, v0, s32 offset:360 ; 4-byte Folded Spill
.LBB287_504:                            ;   in Loop: Header=BB287_15 Depth=1
	s_wait_xcnt 0x0
	s_or_b32 exec_lo, exec_lo, s14
.LBB287_505:                            ;   in Loop: Header=BB287_15 Depth=1
	s_delay_alu instid0(SALU_CYCLE_1)
	s_or_b32 exec_lo, exec_lo, s11
.LBB287_506:                            ;   in Loop: Header=BB287_15 Depth=1
	s_delay_alu instid0(SALU_CYCLE_1)
	s_or_b32 exec_lo, exec_lo, s8
	v_mov_b32_e32 v0, 0
	v_lshrrev_b16 v24, 8, v24
	s_mov_b32 s8, exec_lo
	scratch_store_b32 off, v0, s32 offset:368 ; 4-byte Folded Spill
	s_wait_xcnt 0x0
	v_mov_b32_e32 v0, 0
	scratch_store_b32 off, v0, s32 offset:372 ; 4-byte Folded Spill
	s_wait_xcnt 0x0
	v_cmpx_ne_u16_e32 0, v24
	s_cbranch_execz .LBB287_514
; %bb.507:                              ;   in Loop: Header=BB287_15 Depth=1
	v_bfrev_b32_e32 v0, 1
	s_mov_b32 s11, exec_lo
	scratch_store_b32 off, v0, s32 offset:372 ; 4-byte Folded Spill
	s_wait_xcnt 0x0
	v_cmpx_ne_u16_e32 0x80, v24
	s_cbranch_execz .LBB287_513
; %bb.508:                              ;   in Loop: Header=BB287_15 Depth=1
	v_and_b32_e32 v0, 0xffff, v24
	v_mov_b32_e32 v6, 0x7c010000
	s_mov_b32 s14, exec_lo
	s_delay_alu instid0(VALU_DEP_2)
	v_and_b32_e32 v8, 0x7f, v0
	scratch_store_b32 off, v6, s32 offset:372 ; 4-byte Folded Spill
	s_wait_xcnt 0x0
	v_cmpx_ne_u32_e32 0x7f, v8
	s_cbranch_execz .LBB287_512
; %bb.509:                              ;   in Loop: Header=BB287_15 Depth=1
	v_and_b32_e32 v6, 7, v0
	v_lshrrev_b32_e32 v7, 3, v8
	s_mov_b32 s15, exec_lo
	v_cmpx_gt_u32_e32 8, v8
; %bb.510:                              ;   in Loop: Header=BB287_15 Depth=1
	s_delay_alu instid0(VALU_DEP_3) | instskip(NEXT) | instid1(VALU_DEP_1)
	v_clz_i32_u32_e32 v6, v6
	v_min_u32_e32 v8, 32, v6
	s_delay_alu instid0(VALU_DEP_1) | instskip(NEXT) | instid1(VALU_DEP_1)
	v_subrev_nc_u32_e32 v6, 28, v8
	v_lshlrev_b64_e32 v[6:7], v6, v[24:25]
	s_delay_alu instid0(VALU_DEP_1)
	v_dual_sub_nc_u32 v7, 29, v8 :: v_dual_bitop2_b32 v6, 7, v6 bitop3:0x40
; %bb.511:                              ;   in Loop: Header=BB287_15 Depth=1
	s_or_b32 exec_lo, exec_lo, s15
	s_delay_alu instid0(VALU_DEP_1) | instskip(NEXT) | instid1(VALU_DEP_2)
	v_dual_lshlrev_b32 v0, 8, v0 :: v_dual_lshlrev_b32 v6, 23, v6
	v_lshl_add_u32 v7, v7, 10, 0x2000
	s_delay_alu instid0(VALU_DEP_1) | instskip(NEXT) | instid1(VALU_DEP_1)
	v_and_or_b32 v0, 0x8000, v0, v7
	v_lshl_or_b32 v0, v0, 16, v6
	scratch_store_b32 off, v0, s32 offset:372 ; 4-byte Folded Spill
.LBB287_512:                            ;   in Loop: Header=BB287_15 Depth=1
	s_wait_xcnt 0x0
	s_or_b32 exec_lo, exec_lo, s14
.LBB287_513:                            ;   in Loop: Header=BB287_15 Depth=1
	s_delay_alu instid0(SALU_CYCLE_1)
	s_or_b32 exec_lo, exec_lo, s11
.LBB287_514:                            ;   in Loop: Header=BB287_15 Depth=1
	s_delay_alu instid0(SALU_CYCLE_1) | instskip(SKIP_2) | instid1(VALU_DEP_1)
	s_or_b32 exec_lo, exec_lo, s8
	v_lshrrev_b32_e32 v0, 16, v5
	s_mov_b32 s8, exec_lo
	v_and_b32_e32 v6, 0xff, v0
	s_delay_alu instid0(VALU_DEP_1)
	v_cmpx_ne_u16_e32 0, v6
	s_cbranch_execz .LBB287_522
; %bb.515:                              ;   in Loop: Header=BB287_15 Depth=1
	v_cmp_ne_u16_e64 s1, 0x80, v6
	v_mov_b32_e32 v6, 0x8000
	scratch_store_b32 off, v6, s32 offset:368 ; 4-byte Folded Spill
	s_wait_xcnt 0x0
	s_and_saveexec_b32 s11, s1
	s_cbranch_execz .LBB287_521
; %bb.516:                              ;   in Loop: Header=BB287_15 Depth=1
	v_bfe_u32 v8, v5, 16, 7
	v_mov_b32_e32 v6, 0x7c01
	s_mov_b32 s14, exec_lo
	scratch_store_b32 off, v6, s32 offset:368 ; 4-byte Folded Spill
	s_wait_xcnt 0x0
	v_cmpx_ne_u32_e32 0x7f, v8
	s_cbranch_execz .LBB287_520
; %bb.517:                              ;   in Loop: Header=BB287_15 Depth=1
	v_and_b32_e32 v6, 7, v0
	v_lshrrev_b32_e32 v7, 3, v8
	s_mov_b32 s15, exec_lo
	v_cmpx_gt_u32_e32 8, v8
; %bb.518:                              ;   in Loop: Header=BB287_15 Depth=1
	s_delay_alu instid0(VALU_DEP_3) | instskip(NEXT) | instid1(VALU_DEP_1)
	v_clz_i32_u32_e32 v6, v6
	v_min_u32_e32 v8, 32, v6
	s_delay_alu instid0(VALU_DEP_1) | instskip(NEXT) | instid1(VALU_DEP_1)
	v_subrev_nc_u32_e32 v6, 28, v8
	v_lshlrev_b64_e32 v[6:7], v6, v[0:1]
	s_delay_alu instid0(VALU_DEP_1)
	v_dual_sub_nc_u32 v7, 29, v8 :: v_dual_bitop2_b32 v6, 7, v6 bitop3:0x40
; %bb.519:                              ;   in Loop: Header=BB287_15 Depth=1
	s_or_b32 exec_lo, exec_lo, s15
	s_delay_alu instid0(VALU_DEP_1) | instskip(NEXT) | instid1(VALU_DEP_2)
	v_dual_lshlrev_b32 v0, 8, v0 :: v_dual_lshlrev_b32 v6, 7, v6
	v_lshl_add_u32 v7, v7, 10, 0x2000
	s_delay_alu instid0(VALU_DEP_2) | instskip(NEXT) | instid1(VALU_DEP_2)
	v_and_b32_e32 v0, 0x8000, v0
	v_and_b32_e32 v7, 0xfc00, v7
	s_delay_alu instid0(VALU_DEP_1)
	v_or3_b32 v0, v0, v7, v6
	scratch_store_b32 off, v0, s32 offset:368 ; 4-byte Folded Spill
.LBB287_520:                            ;   in Loop: Header=BB287_15 Depth=1
	s_wait_xcnt 0x0
	s_or_b32 exec_lo, exec_lo, s14
.LBB287_521:                            ;   in Loop: Header=BB287_15 Depth=1
	s_delay_alu instid0(SALU_CYCLE_1)
	s_or_b32 exec_lo, exec_lo, s11
.LBB287_522:                            ;   in Loop: Header=BB287_15 Depth=1
	s_delay_alu instid0(SALU_CYCLE_1)
	s_or_b32 exec_lo, exec_lo, s8
	v_mov_b32_e32 v0, 0
	s_mov_b32 s8, exec_lo
	scratch_store_b32 off, v0, s32 offset:376 ; 4-byte Folded Spill
	s_wait_xcnt 0x0
	v_mov_b32_e32 v0, 0
	scratch_store_b32 off, v0, s32 offset:380 ; 4-byte Folded Spill
	s_wait_xcnt 0x0
	v_cmpx_lt_u64_e64 s[4:5], v[4:5]
	s_cbranch_execz .LBB287_530
; %bb.523:                              ;   in Loop: Header=BB287_15 Depth=1
	v_lshrrev_b32_e32 v24, 24, v5
	v_bfrev_b32_e32 v0, 1
	s_mov_b32 s11, exec_lo
	scratch_store_b32 off, v0, s32 offset:380 ; 4-byte Folded Spill
	s_wait_xcnt 0x0
	v_cmpx_ne_u32_e32 0x80, v24
	s_cbranch_execz .LBB287_529
; %bb.524:                              ;   in Loop: Header=BB287_15 Depth=1
	v_and_b32_e32 v5, 0x7f, v24
	v_mov_b32_e32 v0, 0x7c010000
	s_mov_b32 s14, exec_lo
	scratch_store_b32 off, v0, s32 offset:380 ; 4-byte Folded Spill
	s_wait_xcnt 0x0
	v_cmpx_ne_u32_e32 0x7f, v5
	s_cbranch_execz .LBB287_528
; %bb.525:                              ;   in Loop: Header=BB287_15 Depth=1
	v_dual_lshrrev_b32 v4, 3, v5 :: v_dual_bitop2_b32 v0, 7, v24 bitop3:0x40
	s_mov_b32 s15, exec_lo
	v_cmpx_gt_u32_e32 8, v5
; %bb.526:                              ;   in Loop: Header=BB287_15 Depth=1
	s_delay_alu instid0(VALU_DEP_2) | instskip(NEXT) | instid1(VALU_DEP_1)
	v_clz_i32_u32_e32 v0, v0
	v_min_u32_e32 v0, 32, v0
	s_delay_alu instid0(VALU_DEP_1) | instskip(NEXT) | instid1(VALU_DEP_1)
	v_subrev_nc_u32_e32 v4, 28, v0
	v_lshlrev_b64_e32 v[6:7], v4, v[24:25]
	s_delay_alu instid0(VALU_DEP_1)
	v_dual_sub_nc_u32 v4, 29, v0 :: v_dual_bitop2_b32 v0, 7, v6 bitop3:0x40
; %bb.527:                              ;   in Loop: Header=BB287_15 Depth=1
	s_or_b32 exec_lo, exec_lo, s15
	v_lshlrev_b32_e32 v5, 8, v24
	s_delay_alu instid0(VALU_DEP_2) | instskip(NEXT) | instid1(VALU_DEP_3)
	v_lshl_add_u32 v4, v4, 10, 0x2000
	v_lshlrev_b32_e32 v0, 23, v0
	s_delay_alu instid0(VALU_DEP_2) | instskip(NEXT) | instid1(VALU_DEP_1)
	v_and_or_b32 v4, 0x8000, v5, v4
	v_lshl_or_b32 v0, v4, 16, v0
	scratch_store_b32 off, v0, s32 offset:380 ; 4-byte Folded Spill
.LBB287_528:                            ;   in Loop: Header=BB287_15 Depth=1
	s_wait_xcnt 0x0
	s_or_b32 exec_lo, exec_lo, s14
.LBB287_529:                            ;   in Loop: Header=BB287_15 Depth=1
	s_delay_alu instid0(SALU_CYCLE_1)
	s_or_b32 exec_lo, exec_lo, s11
.LBB287_530:                            ;   in Loop: Header=BB287_15 Depth=1
	s_delay_alu instid0(SALU_CYCLE_1)
	s_or_b32 exec_lo, exec_lo, s8
	flat_load_b64 v[4:5], v[2:3] offset:2048
	s_mov_b32 s8, exec_lo
	s_wait_loadcnt_dscnt 0x0
	v_and_b32_e32 v0, 0xff, v4
	s_wait_xcnt 0x0
	s_delay_alu instid0(VALU_DEP_1)
	v_cmpx_ne_u16_e32 0, v0
	s_cbranch_execz .LBB287_538
; %bb.531:                              ;   in Loop: Header=BB287_15 Depth=1
	v_cmp_ne_u16_e64 s1, 0x80, v0
	v_mov_b32_e32 v0, 0x8000
	scratch_store_b32 off, v0, s32 offset:376 ; 4-byte Folded Spill
	s_wait_xcnt 0x0
	s_and_saveexec_b32 s11, s1
	s_cbranch_execz .LBB287_537
; %bb.532:                              ;   in Loop: Header=BB287_15 Depth=1
	v_and_b32_e32 v7, 0x7f, v4
	v_mov_b32_e32 v0, 0x7c01
	s_mov_b32 s14, exec_lo
	scratch_store_b32 off, v0, s32 offset:376 ; 4-byte Folded Spill
	s_wait_xcnt 0x0
	v_cmpx_ne_u32_e32 0x7f, v7
	s_cbranch_execz .LBB287_536
; %bb.533:                              ;   in Loop: Header=BB287_15 Depth=1
	v_dual_lshrrev_b32 v6, 3, v7 :: v_dual_bitop2_b32 v0, 7, v4 bitop3:0x40
	s_mov_b32 s15, exec_lo
	v_cmpx_gt_u32_e32 8, v7
; %bb.534:                              ;   in Loop: Header=BB287_15 Depth=1
	s_delay_alu instid0(VALU_DEP_2) | instskip(NEXT) | instid1(VALU_DEP_1)
	v_clz_i32_u32_e32 v0, v0
	v_min_u32_e32 v0, 32, v0
	s_delay_alu instid0(VALU_DEP_1) | instskip(NEXT) | instid1(VALU_DEP_1)
	v_subrev_nc_u32_e32 v6, 28, v0
	v_lshlrev_b64_e32 v[8:9], v6, v[4:5]
	v_sub_nc_u32_e32 v6, 29, v0
	s_delay_alu instid0(VALU_DEP_2)
	v_and_b32_e32 v0, 7, v8
; %bb.535:                              ;   in Loop: Header=BB287_15 Depth=1
	s_or_b32 exec_lo, exec_lo, s15
	v_lshlrev_b32_e32 v7, 8, v4
	s_delay_alu instid0(VALU_DEP_3) | instskip(NEXT) | instid1(VALU_DEP_3)
	v_lshl_add_u32 v6, v6, 10, 0x2000
	v_lshlrev_b32_e32 v0, 7, v0
	s_delay_alu instid0(VALU_DEP_3) | instskip(NEXT) | instid1(VALU_DEP_3)
	v_and_b32_e32 v7, 0x8000, v7
	v_and_b32_e32 v6, 0xfc00, v6
	s_delay_alu instid0(VALU_DEP_1)
	v_or3_b32 v0, v7, v6, v0
	scratch_store_b32 off, v0, s32 offset:376 ; 4-byte Folded Spill
.LBB287_536:                            ;   in Loop: Header=BB287_15 Depth=1
	s_wait_xcnt 0x0
	s_or_b32 exec_lo, exec_lo, s14
.LBB287_537:                            ;   in Loop: Header=BB287_15 Depth=1
	s_delay_alu instid0(SALU_CYCLE_1)
	s_or_b32 exec_lo, exec_lo, s11
.LBB287_538:                            ;   in Loop: Header=BB287_15 Depth=1
	s_delay_alu instid0(SALU_CYCLE_1)
	s_or_b32 exec_lo, exec_lo, s8
	v_mov_b32_e32 v0, 0
	v_lshrrev_b16 v24, 8, v4
	s_mov_b32 s8, exec_lo
	scratch_store_b32 off, v0, s32 offset:384 ; 4-byte Folded Spill
	s_wait_xcnt 0x0
	v_mov_b32_e32 v0, 0
	scratch_store_b32 off, v0, s32 offset:388 ; 4-byte Folded Spill
	s_wait_xcnt 0x0
	v_cmpx_ne_u16_e32 0, v24
	s_cbranch_execz .LBB287_546
; %bb.539:                              ;   in Loop: Header=BB287_15 Depth=1
	v_bfrev_b32_e32 v0, 1
	s_mov_b32 s11, exec_lo
	scratch_store_b32 off, v0, s32 offset:388 ; 4-byte Folded Spill
	s_wait_xcnt 0x0
	v_cmpx_ne_u16_e32 0x80, v24
	s_cbranch_execz .LBB287_545
; %bb.540:                              ;   in Loop: Header=BB287_15 Depth=1
	v_and_b32_e32 v0, 0xffff, v24
	v_mov_b32_e32 v6, 0x7c010000
	s_mov_b32 s14, exec_lo
	s_delay_alu instid0(VALU_DEP_2)
	v_and_b32_e32 v8, 0x7f, v0
	scratch_store_b32 off, v6, s32 offset:388 ; 4-byte Folded Spill
	s_wait_xcnt 0x0
	v_cmpx_ne_u32_e32 0x7f, v8
	s_cbranch_execz .LBB287_544
; %bb.541:                              ;   in Loop: Header=BB287_15 Depth=1
	v_and_b32_e32 v6, 7, v0
	v_lshrrev_b32_e32 v7, 3, v8
	s_mov_b32 s15, exec_lo
	v_cmpx_gt_u32_e32 8, v8
; %bb.542:                              ;   in Loop: Header=BB287_15 Depth=1
	s_delay_alu instid0(VALU_DEP_3) | instskip(NEXT) | instid1(VALU_DEP_1)
	v_clz_i32_u32_e32 v6, v6
	v_min_u32_e32 v8, 32, v6
	s_delay_alu instid0(VALU_DEP_1) | instskip(NEXT) | instid1(VALU_DEP_1)
	v_subrev_nc_u32_e32 v6, 28, v8
	v_lshlrev_b64_e32 v[6:7], v6, v[24:25]
	s_delay_alu instid0(VALU_DEP_1)
	v_dual_sub_nc_u32 v7, 29, v8 :: v_dual_bitop2_b32 v6, 7, v6 bitop3:0x40
; %bb.543:                              ;   in Loop: Header=BB287_15 Depth=1
	s_or_b32 exec_lo, exec_lo, s15
	s_delay_alu instid0(VALU_DEP_1) | instskip(NEXT) | instid1(VALU_DEP_2)
	v_dual_lshlrev_b32 v0, 8, v0 :: v_dual_lshlrev_b32 v6, 23, v6
	v_lshl_add_u32 v7, v7, 10, 0x2000
	s_delay_alu instid0(VALU_DEP_1) | instskip(NEXT) | instid1(VALU_DEP_1)
	v_and_or_b32 v0, 0x8000, v0, v7
	v_lshl_or_b32 v0, v0, 16, v6
	scratch_store_b32 off, v0, s32 offset:388 ; 4-byte Folded Spill
.LBB287_544:                            ;   in Loop: Header=BB287_15 Depth=1
	s_wait_xcnt 0x0
	s_or_b32 exec_lo, exec_lo, s14
.LBB287_545:                            ;   in Loop: Header=BB287_15 Depth=1
	s_delay_alu instid0(SALU_CYCLE_1)
	s_or_b32 exec_lo, exec_lo, s11
.LBB287_546:                            ;   in Loop: Header=BB287_15 Depth=1
	s_delay_alu instid0(SALU_CYCLE_1) | instskip(SKIP_2) | instid1(VALU_DEP_1)
	s_or_b32 exec_lo, exec_lo, s8
	v_lshrrev_b32_e32 v0, 16, v4
	s_mov_b32 s8, exec_lo
	v_and_b32_e32 v6, 0xff, v0
	s_delay_alu instid0(VALU_DEP_1)
	v_cmpx_ne_u16_e32 0, v6
	s_cbranch_execz .LBB287_554
; %bb.547:                              ;   in Loop: Header=BB287_15 Depth=1
	v_cmp_ne_u16_e64 s1, 0x80, v6
	v_mov_b32_e32 v6, 0x8000
	scratch_store_b32 off, v6, s32 offset:384 ; 4-byte Folded Spill
	s_wait_xcnt 0x0
	s_and_saveexec_b32 s11, s1
	s_cbranch_execz .LBB287_553
; %bb.548:                              ;   in Loop: Header=BB287_15 Depth=1
	v_bfe_u32 v8, v4, 16, 7
	v_mov_b32_e32 v6, 0x7c01
	s_mov_b32 s14, exec_lo
	scratch_store_b32 off, v6, s32 offset:384 ; 4-byte Folded Spill
	s_wait_xcnt 0x0
	v_cmpx_ne_u32_e32 0x7f, v8
	s_cbranch_execz .LBB287_552
; %bb.549:                              ;   in Loop: Header=BB287_15 Depth=1
	v_and_b32_e32 v6, 7, v0
	v_lshrrev_b32_e32 v7, 3, v8
	s_mov_b32 s15, exec_lo
	v_cmpx_gt_u32_e32 8, v8
; %bb.550:                              ;   in Loop: Header=BB287_15 Depth=1
	s_delay_alu instid0(VALU_DEP_3) | instskip(NEXT) | instid1(VALU_DEP_1)
	v_clz_i32_u32_e32 v6, v6
	v_min_u32_e32 v8, 32, v6
	s_delay_alu instid0(VALU_DEP_1) | instskip(NEXT) | instid1(VALU_DEP_1)
	v_subrev_nc_u32_e32 v6, 28, v8
	v_lshlrev_b64_e32 v[6:7], v6, v[0:1]
	s_delay_alu instid0(VALU_DEP_1)
	v_dual_sub_nc_u32 v7, 29, v8 :: v_dual_bitop2_b32 v6, 7, v6 bitop3:0x40
; %bb.551:                              ;   in Loop: Header=BB287_15 Depth=1
	s_or_b32 exec_lo, exec_lo, s15
	s_delay_alu instid0(VALU_DEP_1) | instskip(NEXT) | instid1(VALU_DEP_2)
	v_dual_lshlrev_b32 v0, 8, v0 :: v_dual_lshlrev_b32 v6, 7, v6
	v_lshl_add_u32 v7, v7, 10, 0x2000
	s_delay_alu instid0(VALU_DEP_2) | instskip(NEXT) | instid1(VALU_DEP_2)
	v_and_b32_e32 v0, 0x8000, v0
	v_and_b32_e32 v7, 0xfc00, v7
	s_delay_alu instid0(VALU_DEP_1)
	v_or3_b32 v0, v0, v7, v6
	scratch_store_b32 off, v0, s32 offset:384 ; 4-byte Folded Spill
.LBB287_552:                            ;   in Loop: Header=BB287_15 Depth=1
	s_wait_xcnt 0x0
	s_or_b32 exec_lo, exec_lo, s14
.LBB287_553:                            ;   in Loop: Header=BB287_15 Depth=1
	s_delay_alu instid0(SALU_CYCLE_1)
	s_or_b32 exec_lo, exec_lo, s11
.LBB287_554:                            ;   in Loop: Header=BB287_15 Depth=1
	s_delay_alu instid0(SALU_CYCLE_1)
	s_or_b32 exec_lo, exec_lo, s8
	v_mov_b32_e32 v0, 0
	s_mov_b32 s8, exec_lo
	scratch_store_b32 off, v0, s32 offset:396 ; 4-byte Folded Spill
	s_wait_xcnt 0x0
	v_mov_b32_e32 v0, 0
	scratch_store_b32 off, v0, s32 offset:400 ; 4-byte Folded Spill
	s_wait_xcnt 0x0
	v_cmpx_lt_u32_e32 0xffffff, v4
	s_cbranch_execz .LBB287_562
; %bb.555:                              ;   in Loop: Header=BB287_15 Depth=1
	v_lshrrev_b32_e32 v24, 24, v4
	v_bfrev_b32_e32 v0, 1
	s_mov_b32 s11, exec_lo
	scratch_store_b32 off, v0, s32 offset:400 ; 4-byte Folded Spill
	s_wait_xcnt 0x0
	v_cmpx_ne_u32_e32 0x80, v24
	s_cbranch_execz .LBB287_561
; %bb.556:                              ;   in Loop: Header=BB287_15 Depth=1
	v_and_b32_e32 v7, 0x7f, v24
	v_mov_b32_e32 v0, 0x7c010000
	s_mov_b32 s14, exec_lo
	scratch_store_b32 off, v0, s32 offset:400 ; 4-byte Folded Spill
	s_wait_xcnt 0x0
	v_cmpx_ne_u32_e32 0x7f, v7
	s_cbranch_execz .LBB287_560
; %bb.557:                              ;   in Loop: Header=BB287_15 Depth=1
	v_dual_lshrrev_b32 v6, 3, v7 :: v_dual_bitop2_b32 v0, 7, v24 bitop3:0x40
	s_mov_b32 s15, exec_lo
	v_cmpx_gt_u32_e32 8, v7
; %bb.558:                              ;   in Loop: Header=BB287_15 Depth=1
	s_delay_alu instid0(VALU_DEP_2) | instskip(NEXT) | instid1(VALU_DEP_1)
	v_clz_i32_u32_e32 v0, v0
	v_min_u32_e32 v0, 32, v0
	s_delay_alu instid0(VALU_DEP_1) | instskip(NEXT) | instid1(VALU_DEP_1)
	v_subrev_nc_u32_e32 v6, 28, v0
	v_lshlrev_b64_e32 v[8:9], v6, v[24:25]
	v_sub_nc_u32_e32 v6, 29, v0
	s_delay_alu instid0(VALU_DEP_2)
	v_and_b32_e32 v0, 7, v8
; %bb.559:                              ;   in Loop: Header=BB287_15 Depth=1
	s_or_b32 exec_lo, exec_lo, s15
	v_lshlrev_b32_e32 v7, 8, v24
	s_delay_alu instid0(VALU_DEP_3) | instskip(NEXT) | instid1(VALU_DEP_3)
	v_lshl_add_u32 v6, v6, 10, 0x2000
	v_lshlrev_b32_e32 v0, 23, v0
	s_delay_alu instid0(VALU_DEP_2) | instskip(NEXT) | instid1(VALU_DEP_1)
	v_and_or_b32 v6, 0x8000, v7, v6
	v_lshl_or_b32 v0, v6, 16, v0
	scratch_store_b32 off, v0, s32 offset:400 ; 4-byte Folded Spill
.LBB287_560:                            ;   in Loop: Header=BB287_15 Depth=1
	s_wait_xcnt 0x0
	s_or_b32 exec_lo, exec_lo, s14
.LBB287_561:                            ;   in Loop: Header=BB287_15 Depth=1
	s_delay_alu instid0(SALU_CYCLE_1)
	s_or_b32 exec_lo, exec_lo, s11
.LBB287_562:                            ;   in Loop: Header=BB287_15 Depth=1
	s_delay_alu instid0(SALU_CYCLE_1) | instskip(SKIP_3) | instid1(VALU_DEP_2)
	s_or_b32 exec_lo, exec_lo, s8
	v_and_b32_e32 v0, 0xff, v5
	v_mov_b32_e32 v24, v5
	s_mov_b32 s8, exec_lo
	v_cmpx_ne_u16_e32 0, v0
	s_cbranch_execz .LBB287_570
; %bb.563:                              ;   in Loop: Header=BB287_15 Depth=1
	v_cmp_ne_u16_e64 s1, 0x80, v0
	v_mov_b32_e32 v0, 0x8000
	scratch_store_b32 off, v0, s32 offset:396 ; 4-byte Folded Spill
	s_wait_xcnt 0x0
	s_and_saveexec_b32 s11, s1
	s_cbranch_execz .LBB287_569
; %bb.564:                              ;   in Loop: Header=BB287_15 Depth=1
	v_and_b32_e32 v7, 0x7f, v5
	v_mov_b32_e32 v0, 0x7c01
	s_mov_b32 s14, exec_lo
	scratch_store_b32 off, v0, s32 offset:396 ; 4-byte Folded Spill
	s_wait_xcnt 0x0
	v_cmpx_ne_u32_e32 0x7f, v7
	s_cbranch_execz .LBB287_568
; %bb.565:                              ;   in Loop: Header=BB287_15 Depth=1
	v_dual_lshrrev_b32 v6, 3, v7 :: v_dual_bitop2_b32 v0, 7, v5 bitop3:0x40
	s_mov_b32 s15, exec_lo
	v_cmpx_gt_u32_e32 8, v7
; %bb.566:                              ;   in Loop: Header=BB287_15 Depth=1
	s_delay_alu instid0(VALU_DEP_2) | instskip(NEXT) | instid1(VALU_DEP_1)
	v_clz_i32_u32_e32 v0, v0
	v_min_u32_e32 v0, 32, v0
	s_delay_alu instid0(VALU_DEP_1) | instskip(NEXT) | instid1(VALU_DEP_1)
	v_subrev_nc_u32_e32 v6, 28, v0
	v_lshlrev_b64_e32 v[8:9], v6, v[24:25]
	v_sub_nc_u32_e32 v6, 29, v0
	s_delay_alu instid0(VALU_DEP_2)
	v_and_b32_e32 v0, 7, v8
; %bb.567:                              ;   in Loop: Header=BB287_15 Depth=1
	s_or_b32 exec_lo, exec_lo, s15
	s_delay_alu instid0(VALU_DEP_1) | instskip(NEXT) | instid1(VALU_DEP_3)
	v_dual_lshlrev_b32 v7, 8, v5 :: v_dual_lshlrev_b32 v0, 7, v0
	v_lshl_add_u32 v6, v6, 10, 0x2000
	s_delay_alu instid0(VALU_DEP_2) | instskip(NEXT) | instid1(VALU_DEP_2)
	v_and_b32_e32 v7, 0x8000, v7
	v_and_b32_e32 v6, 0xfc00, v6
	s_delay_alu instid0(VALU_DEP_1)
	v_or3_b32 v0, v7, v6, v0
	scratch_store_b32 off, v0, s32 offset:396 ; 4-byte Folded Spill
.LBB287_568:                            ;   in Loop: Header=BB287_15 Depth=1
	s_wait_xcnt 0x0
	s_or_b32 exec_lo, exec_lo, s14
.LBB287_569:                            ;   in Loop: Header=BB287_15 Depth=1
	s_delay_alu instid0(SALU_CYCLE_1)
	s_or_b32 exec_lo, exec_lo, s11
.LBB287_570:                            ;   in Loop: Header=BB287_15 Depth=1
	s_delay_alu instid0(SALU_CYCLE_1)
	s_or_b32 exec_lo, exec_lo, s8
	v_mov_b32_e32 v0, 0
	v_lshrrev_b16 v24, 8, v24
	s_mov_b32 s8, exec_lo
	scratch_store_b32 off, v0, s32 offset:412 ; 4-byte Folded Spill
	s_wait_xcnt 0x0
	v_mov_b32_e32 v0, 0
	scratch_store_b32 off, v0, s32 offset:416 ; 4-byte Folded Spill
	s_wait_xcnt 0x0
	v_cmpx_ne_u16_e32 0, v24
	s_cbranch_execz .LBB287_578
; %bb.571:                              ;   in Loop: Header=BB287_15 Depth=1
	v_bfrev_b32_e32 v0, 1
	s_mov_b32 s11, exec_lo
	scratch_store_b32 off, v0, s32 offset:416 ; 4-byte Folded Spill
	s_wait_xcnt 0x0
	v_cmpx_ne_u16_e32 0x80, v24
	s_cbranch_execz .LBB287_577
; %bb.572:                              ;   in Loop: Header=BB287_15 Depth=1
	v_and_b32_e32 v0, 0xffff, v24
	v_mov_b32_e32 v6, 0x7c010000
	s_mov_b32 s14, exec_lo
	s_delay_alu instid0(VALU_DEP_2)
	v_and_b32_e32 v8, 0x7f, v0
	scratch_store_b32 off, v6, s32 offset:416 ; 4-byte Folded Spill
	s_wait_xcnt 0x0
	v_cmpx_ne_u32_e32 0x7f, v8
	s_cbranch_execz .LBB287_576
; %bb.573:                              ;   in Loop: Header=BB287_15 Depth=1
	v_and_b32_e32 v6, 7, v0
	v_lshrrev_b32_e32 v7, 3, v8
	s_mov_b32 s15, exec_lo
	v_cmpx_gt_u32_e32 8, v8
; %bb.574:                              ;   in Loop: Header=BB287_15 Depth=1
	s_delay_alu instid0(VALU_DEP_3) | instskip(NEXT) | instid1(VALU_DEP_1)
	v_clz_i32_u32_e32 v6, v6
	v_min_u32_e32 v8, 32, v6
	s_delay_alu instid0(VALU_DEP_1) | instskip(NEXT) | instid1(VALU_DEP_1)
	v_subrev_nc_u32_e32 v6, 28, v8
	v_lshlrev_b64_e32 v[6:7], v6, v[24:25]
	s_delay_alu instid0(VALU_DEP_1)
	v_dual_sub_nc_u32 v7, 29, v8 :: v_dual_bitop2_b32 v6, 7, v6 bitop3:0x40
; %bb.575:                              ;   in Loop: Header=BB287_15 Depth=1
	s_or_b32 exec_lo, exec_lo, s15
	s_delay_alu instid0(VALU_DEP_1) | instskip(NEXT) | instid1(VALU_DEP_2)
	v_dual_lshlrev_b32 v0, 8, v0 :: v_dual_lshlrev_b32 v6, 23, v6
	v_lshl_add_u32 v7, v7, 10, 0x2000
	s_delay_alu instid0(VALU_DEP_1) | instskip(NEXT) | instid1(VALU_DEP_1)
	v_and_or_b32 v0, 0x8000, v0, v7
	v_lshl_or_b32 v0, v0, 16, v6
	scratch_store_b32 off, v0, s32 offset:416 ; 4-byte Folded Spill
.LBB287_576:                            ;   in Loop: Header=BB287_15 Depth=1
	s_wait_xcnt 0x0
	s_or_b32 exec_lo, exec_lo, s14
.LBB287_577:                            ;   in Loop: Header=BB287_15 Depth=1
	s_delay_alu instid0(SALU_CYCLE_1)
	s_or_b32 exec_lo, exec_lo, s11
.LBB287_578:                            ;   in Loop: Header=BB287_15 Depth=1
	s_delay_alu instid0(SALU_CYCLE_1) | instskip(SKIP_2) | instid1(VALU_DEP_1)
	s_or_b32 exec_lo, exec_lo, s8
	v_lshrrev_b32_e32 v0, 16, v5
	s_mov_b32 s8, exec_lo
	v_and_b32_e32 v6, 0xff, v0
	s_delay_alu instid0(VALU_DEP_1)
	v_cmpx_ne_u16_e32 0, v6
	s_cbranch_execz .LBB287_586
; %bb.579:                              ;   in Loop: Header=BB287_15 Depth=1
	v_cmp_ne_u16_e64 s1, 0x80, v6
	v_mov_b32_e32 v6, 0x8000
	scratch_store_b32 off, v6, s32 offset:412 ; 4-byte Folded Spill
	s_wait_xcnt 0x0
	s_and_saveexec_b32 s11, s1
	s_cbranch_execz .LBB287_585
; %bb.580:                              ;   in Loop: Header=BB287_15 Depth=1
	v_bfe_u32 v8, v5, 16, 7
	v_mov_b32_e32 v6, 0x7c01
	s_mov_b32 s14, exec_lo
	scratch_store_b32 off, v6, s32 offset:412 ; 4-byte Folded Spill
	s_wait_xcnt 0x0
	v_cmpx_ne_u32_e32 0x7f, v8
	s_cbranch_execz .LBB287_584
; %bb.581:                              ;   in Loop: Header=BB287_15 Depth=1
	v_and_b32_e32 v6, 7, v0
	v_lshrrev_b32_e32 v7, 3, v8
	s_mov_b32 s15, exec_lo
	v_cmpx_gt_u32_e32 8, v8
; %bb.582:                              ;   in Loop: Header=BB287_15 Depth=1
	s_delay_alu instid0(VALU_DEP_3) | instskip(NEXT) | instid1(VALU_DEP_1)
	v_clz_i32_u32_e32 v6, v6
	v_min_u32_e32 v8, 32, v6
	s_delay_alu instid0(VALU_DEP_1) | instskip(NEXT) | instid1(VALU_DEP_1)
	v_subrev_nc_u32_e32 v6, 28, v8
	v_lshlrev_b64_e32 v[6:7], v6, v[0:1]
	s_delay_alu instid0(VALU_DEP_1)
	v_dual_sub_nc_u32 v7, 29, v8 :: v_dual_bitop2_b32 v6, 7, v6 bitop3:0x40
; %bb.583:                              ;   in Loop: Header=BB287_15 Depth=1
	s_or_b32 exec_lo, exec_lo, s15
	s_delay_alu instid0(VALU_DEP_1) | instskip(NEXT) | instid1(VALU_DEP_2)
	v_dual_lshlrev_b32 v0, 8, v0 :: v_dual_lshlrev_b32 v6, 7, v6
	v_lshl_add_u32 v7, v7, 10, 0x2000
	s_delay_alu instid0(VALU_DEP_2) | instskip(NEXT) | instid1(VALU_DEP_2)
	v_and_b32_e32 v0, 0x8000, v0
	v_and_b32_e32 v7, 0xfc00, v7
	s_delay_alu instid0(VALU_DEP_1)
	v_or3_b32 v0, v0, v7, v6
	scratch_store_b32 off, v0, s32 offset:412 ; 4-byte Folded Spill
.LBB287_584:                            ;   in Loop: Header=BB287_15 Depth=1
	s_wait_xcnt 0x0
	s_or_b32 exec_lo, exec_lo, s14
.LBB287_585:                            ;   in Loop: Header=BB287_15 Depth=1
	s_delay_alu instid0(SALU_CYCLE_1)
	s_or_b32 exec_lo, exec_lo, s11
.LBB287_586:                            ;   in Loop: Header=BB287_15 Depth=1
	s_delay_alu instid0(SALU_CYCLE_1)
	s_or_b32 exec_lo, exec_lo, s8
	v_mov_b32_e32 v0, 0
	s_mov_b32 s8, exec_lo
	scratch_store_b32 off, v0, s32 offset:428 ; 4-byte Folded Spill
	s_wait_xcnt 0x0
	v_mov_b32_e32 v0, 0
	scratch_store_b32 off, v0, s32 offset:432 ; 4-byte Folded Spill
	s_wait_xcnt 0x0
	v_cmpx_lt_u64_e64 s[4:5], v[4:5]
	s_cbranch_execz .LBB287_594
; %bb.587:                              ;   in Loop: Header=BB287_15 Depth=1
	v_lshrrev_b32_e32 v24, 24, v5
	v_bfrev_b32_e32 v0, 1
	s_mov_b32 s11, exec_lo
	scratch_store_b32 off, v0, s32 offset:432 ; 4-byte Folded Spill
	s_wait_xcnt 0x0
	v_cmpx_ne_u32_e32 0x80, v24
	s_cbranch_execz .LBB287_593
; %bb.588:                              ;   in Loop: Header=BB287_15 Depth=1
	v_and_b32_e32 v5, 0x7f, v24
	v_mov_b32_e32 v0, 0x7c010000
	s_mov_b32 s14, exec_lo
	scratch_store_b32 off, v0, s32 offset:432 ; 4-byte Folded Spill
	s_wait_xcnt 0x0
	v_cmpx_ne_u32_e32 0x7f, v5
	s_cbranch_execz .LBB287_592
; %bb.589:                              ;   in Loop: Header=BB287_15 Depth=1
	v_dual_lshrrev_b32 v4, 3, v5 :: v_dual_bitop2_b32 v0, 7, v24 bitop3:0x40
	s_mov_b32 s15, exec_lo
	v_cmpx_gt_u32_e32 8, v5
; %bb.590:                              ;   in Loop: Header=BB287_15 Depth=1
	s_delay_alu instid0(VALU_DEP_2) | instskip(NEXT) | instid1(VALU_DEP_1)
	v_clz_i32_u32_e32 v0, v0
	v_min_u32_e32 v0, 32, v0
	s_delay_alu instid0(VALU_DEP_1) | instskip(NEXT) | instid1(VALU_DEP_1)
	v_subrev_nc_u32_e32 v4, 28, v0
	v_lshlrev_b64_e32 v[6:7], v4, v[24:25]
	s_delay_alu instid0(VALU_DEP_1)
	v_dual_sub_nc_u32 v4, 29, v0 :: v_dual_bitop2_b32 v0, 7, v6 bitop3:0x40
; %bb.591:                              ;   in Loop: Header=BB287_15 Depth=1
	s_or_b32 exec_lo, exec_lo, s15
	v_lshlrev_b32_e32 v5, 8, v24
	s_delay_alu instid0(VALU_DEP_2) | instskip(NEXT) | instid1(VALU_DEP_3)
	v_lshl_add_u32 v4, v4, 10, 0x2000
	v_lshlrev_b32_e32 v0, 23, v0
	s_delay_alu instid0(VALU_DEP_2) | instskip(NEXT) | instid1(VALU_DEP_1)
	v_and_or_b32 v4, 0x8000, v5, v4
	v_lshl_or_b32 v0, v4, 16, v0
	scratch_store_b32 off, v0, s32 offset:432 ; 4-byte Folded Spill
.LBB287_592:                            ;   in Loop: Header=BB287_15 Depth=1
	s_wait_xcnt 0x0
	s_or_b32 exec_lo, exec_lo, s14
.LBB287_593:                            ;   in Loop: Header=BB287_15 Depth=1
	s_delay_alu instid0(SALU_CYCLE_1)
	s_or_b32 exec_lo, exec_lo, s11
.LBB287_594:                            ;   in Loop: Header=BB287_15 Depth=1
	s_delay_alu instid0(SALU_CYCLE_1)
	s_or_b32 exec_lo, exec_lo, s8
	flat_load_b64 v[4:5], v[2:3] offset:2056
	s_mov_b32 s8, exec_lo
	s_wait_loadcnt_dscnt 0x0
	v_and_b32_e32 v0, 0xff, v4
	s_wait_xcnt 0x0
	s_delay_alu instid0(VALU_DEP_1)
	v_cmpx_ne_u16_e32 0, v0
	s_cbranch_execz .LBB287_602
; %bb.595:                              ;   in Loop: Header=BB287_15 Depth=1
	v_cmp_ne_u16_e64 s1, 0x80, v0
	v_mov_b32_e32 v0, 0x8000
	scratch_store_b32 off, v0, s32 offset:428 ; 4-byte Folded Spill
	s_wait_xcnt 0x0
	s_and_saveexec_b32 s11, s1
	s_cbranch_execz .LBB287_601
; %bb.596:                              ;   in Loop: Header=BB287_15 Depth=1
	v_and_b32_e32 v7, 0x7f, v4
	v_mov_b32_e32 v0, 0x7c01
	s_mov_b32 s14, exec_lo
	scratch_store_b32 off, v0, s32 offset:428 ; 4-byte Folded Spill
	s_wait_xcnt 0x0
	v_cmpx_ne_u32_e32 0x7f, v7
	s_cbranch_execz .LBB287_600
; %bb.597:                              ;   in Loop: Header=BB287_15 Depth=1
	v_dual_lshrrev_b32 v6, 3, v7 :: v_dual_bitop2_b32 v0, 7, v4 bitop3:0x40
	s_mov_b32 s15, exec_lo
	v_cmpx_gt_u32_e32 8, v7
; %bb.598:                              ;   in Loop: Header=BB287_15 Depth=1
	s_delay_alu instid0(VALU_DEP_2) | instskip(NEXT) | instid1(VALU_DEP_1)
	v_clz_i32_u32_e32 v0, v0
	v_min_u32_e32 v0, 32, v0
	s_delay_alu instid0(VALU_DEP_1) | instskip(NEXT) | instid1(VALU_DEP_1)
	v_subrev_nc_u32_e32 v6, 28, v0
	v_lshlrev_b64_e32 v[8:9], v6, v[4:5]
	v_sub_nc_u32_e32 v6, 29, v0
	s_delay_alu instid0(VALU_DEP_2)
	v_and_b32_e32 v0, 7, v8
; %bb.599:                              ;   in Loop: Header=BB287_15 Depth=1
	s_or_b32 exec_lo, exec_lo, s15
	v_lshlrev_b32_e32 v7, 8, v4
	s_delay_alu instid0(VALU_DEP_3) | instskip(NEXT) | instid1(VALU_DEP_3)
	v_lshl_add_u32 v6, v6, 10, 0x2000
	v_lshlrev_b32_e32 v0, 7, v0
	s_delay_alu instid0(VALU_DEP_3) | instskip(NEXT) | instid1(VALU_DEP_3)
	v_and_b32_e32 v7, 0x8000, v7
	v_and_b32_e32 v6, 0xfc00, v6
	s_delay_alu instid0(VALU_DEP_1)
	v_or3_b32 v0, v7, v6, v0
	scratch_store_b32 off, v0, s32 offset:428 ; 4-byte Folded Spill
.LBB287_600:                            ;   in Loop: Header=BB287_15 Depth=1
	s_wait_xcnt 0x0
	s_or_b32 exec_lo, exec_lo, s14
.LBB287_601:                            ;   in Loop: Header=BB287_15 Depth=1
	s_delay_alu instid0(SALU_CYCLE_1)
	s_or_b32 exec_lo, exec_lo, s11
.LBB287_602:                            ;   in Loop: Header=BB287_15 Depth=1
	s_delay_alu instid0(SALU_CYCLE_1)
	s_or_b32 exec_lo, exec_lo, s8
	v_mov_b32_e32 v0, 0
	v_lshrrev_b16 v24, 8, v4
	s_mov_b32 s8, exec_lo
	scratch_store_b32 off, v0, s32 offset:392 ; 4-byte Folded Spill
	s_wait_xcnt 0x0
	v_mov_b32_e32 v0, 0
	scratch_store_b32 off, v0, s32 offset:448 ; 4-byte Folded Spill
	s_wait_xcnt 0x0
	v_cmpx_ne_u16_e32 0, v24
	s_cbranch_execz .LBB287_610
; %bb.603:                              ;   in Loop: Header=BB287_15 Depth=1
	v_bfrev_b32_e32 v0, 1
	s_mov_b32 s11, exec_lo
	scratch_store_b32 off, v0, s32 offset:448 ; 4-byte Folded Spill
	s_wait_xcnt 0x0
	v_cmpx_ne_u16_e32 0x80, v24
	s_cbranch_execz .LBB287_609
; %bb.604:                              ;   in Loop: Header=BB287_15 Depth=1
	v_and_b32_e32 v0, 0xffff, v24
	v_mov_b32_e32 v6, 0x7c010000
	s_mov_b32 s14, exec_lo
	s_delay_alu instid0(VALU_DEP_2)
	v_and_b32_e32 v8, 0x7f, v0
	scratch_store_b32 off, v6, s32 offset:448 ; 4-byte Folded Spill
	s_wait_xcnt 0x0
	v_cmpx_ne_u32_e32 0x7f, v8
	s_cbranch_execz .LBB287_608
; %bb.605:                              ;   in Loop: Header=BB287_15 Depth=1
	v_and_b32_e32 v6, 7, v0
	v_lshrrev_b32_e32 v7, 3, v8
	s_mov_b32 s15, exec_lo
	v_cmpx_gt_u32_e32 8, v8
; %bb.606:                              ;   in Loop: Header=BB287_15 Depth=1
	s_delay_alu instid0(VALU_DEP_3) | instskip(NEXT) | instid1(VALU_DEP_1)
	v_clz_i32_u32_e32 v6, v6
	v_min_u32_e32 v8, 32, v6
	s_delay_alu instid0(VALU_DEP_1) | instskip(NEXT) | instid1(VALU_DEP_1)
	v_subrev_nc_u32_e32 v6, 28, v8
	v_lshlrev_b64_e32 v[6:7], v6, v[24:25]
	s_delay_alu instid0(VALU_DEP_1)
	v_dual_sub_nc_u32 v7, 29, v8 :: v_dual_bitop2_b32 v6, 7, v6 bitop3:0x40
; %bb.607:                              ;   in Loop: Header=BB287_15 Depth=1
	s_or_b32 exec_lo, exec_lo, s15
	s_delay_alu instid0(VALU_DEP_1) | instskip(NEXT) | instid1(VALU_DEP_2)
	v_dual_lshlrev_b32 v0, 8, v0 :: v_dual_lshlrev_b32 v6, 23, v6
	v_lshl_add_u32 v7, v7, 10, 0x2000
	s_delay_alu instid0(VALU_DEP_1) | instskip(NEXT) | instid1(VALU_DEP_1)
	v_and_or_b32 v0, 0x8000, v0, v7
	v_lshl_or_b32 v0, v0, 16, v6
	scratch_store_b32 off, v0, s32 offset:448 ; 4-byte Folded Spill
.LBB287_608:                            ;   in Loop: Header=BB287_15 Depth=1
	s_wait_xcnt 0x0
	s_or_b32 exec_lo, exec_lo, s14
.LBB287_609:                            ;   in Loop: Header=BB287_15 Depth=1
	s_delay_alu instid0(SALU_CYCLE_1)
	s_or_b32 exec_lo, exec_lo, s11
.LBB287_610:                            ;   in Loop: Header=BB287_15 Depth=1
	s_delay_alu instid0(SALU_CYCLE_1) | instskip(SKIP_2) | instid1(VALU_DEP_1)
	s_or_b32 exec_lo, exec_lo, s8
	v_lshrrev_b32_e32 v0, 16, v4
	s_mov_b32 s8, exec_lo
	v_and_b32_e32 v6, 0xff, v0
	s_delay_alu instid0(VALU_DEP_1)
	v_cmpx_ne_u16_e32 0, v6
	s_cbranch_execz .LBB287_618
; %bb.611:                              ;   in Loop: Header=BB287_15 Depth=1
	v_cmp_ne_u16_e64 s1, 0x80, v6
	v_mov_b32_e32 v6, 0x8000
	scratch_store_b32 off, v6, s32 offset:392 ; 4-byte Folded Spill
	s_wait_xcnt 0x0
	s_and_saveexec_b32 s11, s1
	s_cbranch_execz .LBB287_617
; %bb.612:                              ;   in Loop: Header=BB287_15 Depth=1
	v_bfe_u32 v8, v4, 16, 7
	v_mov_b32_e32 v6, 0x7c01
	s_mov_b32 s14, exec_lo
	scratch_store_b32 off, v6, s32 offset:392 ; 4-byte Folded Spill
	s_wait_xcnt 0x0
	v_cmpx_ne_u32_e32 0x7f, v8
	s_cbranch_execz .LBB287_616
; %bb.613:                              ;   in Loop: Header=BB287_15 Depth=1
	v_and_b32_e32 v6, 7, v0
	v_lshrrev_b32_e32 v7, 3, v8
	s_mov_b32 s15, exec_lo
	v_cmpx_gt_u32_e32 8, v8
; %bb.614:                              ;   in Loop: Header=BB287_15 Depth=1
	s_delay_alu instid0(VALU_DEP_3) | instskip(NEXT) | instid1(VALU_DEP_1)
	v_clz_i32_u32_e32 v6, v6
	v_min_u32_e32 v8, 32, v6
	s_delay_alu instid0(VALU_DEP_1) | instskip(NEXT) | instid1(VALU_DEP_1)
	v_subrev_nc_u32_e32 v6, 28, v8
	v_lshlrev_b64_e32 v[6:7], v6, v[0:1]
	s_delay_alu instid0(VALU_DEP_1)
	v_dual_sub_nc_u32 v7, 29, v8 :: v_dual_bitop2_b32 v6, 7, v6 bitop3:0x40
; %bb.615:                              ;   in Loop: Header=BB287_15 Depth=1
	s_or_b32 exec_lo, exec_lo, s15
	s_delay_alu instid0(VALU_DEP_1) | instskip(NEXT) | instid1(VALU_DEP_2)
	v_dual_lshlrev_b32 v0, 8, v0 :: v_dual_lshlrev_b32 v6, 7, v6
	v_lshl_add_u32 v7, v7, 10, 0x2000
	s_delay_alu instid0(VALU_DEP_2) | instskip(NEXT) | instid1(VALU_DEP_2)
	v_and_b32_e32 v0, 0x8000, v0
	v_and_b32_e32 v7, 0xfc00, v7
	s_delay_alu instid0(VALU_DEP_1)
	v_or3_b32 v0, v0, v7, v6
	scratch_store_b32 off, v0, s32 offset:392 ; 4-byte Folded Spill
.LBB287_616:                            ;   in Loop: Header=BB287_15 Depth=1
	s_wait_xcnt 0x0
	s_or_b32 exec_lo, exec_lo, s14
.LBB287_617:                            ;   in Loop: Header=BB287_15 Depth=1
	s_delay_alu instid0(SALU_CYCLE_1)
	s_or_b32 exec_lo, exec_lo, s11
.LBB287_618:                            ;   in Loop: Header=BB287_15 Depth=1
	s_delay_alu instid0(SALU_CYCLE_1)
	s_or_b32 exec_lo, exec_lo, s8
	v_mov_b32_e32 v0, 0
	s_mov_b32 s8, exec_lo
	scratch_store_b32 off, v0, s32 offset:404 ; 4-byte Folded Spill
	s_wait_xcnt 0x0
	v_mov_b32_e32 v0, 0
	scratch_store_b32 off, v0, s32 offset:408 ; 4-byte Folded Spill
	s_wait_xcnt 0x0
	v_cmpx_lt_u32_e32 0xffffff, v4
	s_cbranch_execz .LBB287_626
; %bb.619:                              ;   in Loop: Header=BB287_15 Depth=1
	v_lshrrev_b32_e32 v24, 24, v4
	v_bfrev_b32_e32 v0, 1
	s_mov_b32 s11, exec_lo
	scratch_store_b32 off, v0, s32 offset:408 ; 4-byte Folded Spill
	s_wait_xcnt 0x0
	v_cmpx_ne_u32_e32 0x80, v24
	s_cbranch_execz .LBB287_625
; %bb.620:                              ;   in Loop: Header=BB287_15 Depth=1
	v_and_b32_e32 v7, 0x7f, v24
	v_mov_b32_e32 v0, 0x7c010000
	s_mov_b32 s14, exec_lo
	scratch_store_b32 off, v0, s32 offset:408 ; 4-byte Folded Spill
	s_wait_xcnt 0x0
	v_cmpx_ne_u32_e32 0x7f, v7
	s_cbranch_execz .LBB287_624
; %bb.621:                              ;   in Loop: Header=BB287_15 Depth=1
	v_dual_lshrrev_b32 v6, 3, v7 :: v_dual_bitop2_b32 v0, 7, v24 bitop3:0x40
	s_mov_b32 s15, exec_lo
	v_cmpx_gt_u32_e32 8, v7
; %bb.622:                              ;   in Loop: Header=BB287_15 Depth=1
	s_delay_alu instid0(VALU_DEP_2) | instskip(NEXT) | instid1(VALU_DEP_1)
	v_clz_i32_u32_e32 v0, v0
	v_min_u32_e32 v0, 32, v0
	s_delay_alu instid0(VALU_DEP_1) | instskip(NEXT) | instid1(VALU_DEP_1)
	v_subrev_nc_u32_e32 v6, 28, v0
	v_lshlrev_b64_e32 v[8:9], v6, v[24:25]
	v_sub_nc_u32_e32 v6, 29, v0
	s_delay_alu instid0(VALU_DEP_2)
	v_and_b32_e32 v0, 7, v8
; %bb.623:                              ;   in Loop: Header=BB287_15 Depth=1
	s_or_b32 exec_lo, exec_lo, s15
	v_lshlrev_b32_e32 v7, 8, v24
	s_delay_alu instid0(VALU_DEP_3) | instskip(NEXT) | instid1(VALU_DEP_3)
	v_lshl_add_u32 v6, v6, 10, 0x2000
	v_lshlrev_b32_e32 v0, 23, v0
	s_delay_alu instid0(VALU_DEP_2) | instskip(NEXT) | instid1(VALU_DEP_1)
	v_and_or_b32 v6, 0x8000, v7, v6
	v_lshl_or_b32 v0, v6, 16, v0
	scratch_store_b32 off, v0, s32 offset:408 ; 4-byte Folded Spill
.LBB287_624:                            ;   in Loop: Header=BB287_15 Depth=1
	s_wait_xcnt 0x0
	s_or_b32 exec_lo, exec_lo, s14
.LBB287_625:                            ;   in Loop: Header=BB287_15 Depth=1
	s_delay_alu instid0(SALU_CYCLE_1)
	s_or_b32 exec_lo, exec_lo, s11
.LBB287_626:                            ;   in Loop: Header=BB287_15 Depth=1
	s_delay_alu instid0(SALU_CYCLE_1) | instskip(SKIP_3) | instid1(VALU_DEP_2)
	s_or_b32 exec_lo, exec_lo, s8
	v_and_b32_e32 v0, 0xff, v5
	v_mov_b32_e32 v24, v5
	s_mov_b32 s8, exec_lo
	v_cmpx_ne_u16_e32 0, v0
	s_cbranch_execz .LBB287_634
; %bb.627:                              ;   in Loop: Header=BB287_15 Depth=1
	v_cmp_ne_u16_e64 s1, 0x80, v0
	v_mov_b32_e32 v0, 0x8000
	scratch_store_b32 off, v0, s32 offset:404 ; 4-byte Folded Spill
	s_wait_xcnt 0x0
	s_and_saveexec_b32 s11, s1
	s_cbranch_execz .LBB287_633
; %bb.628:                              ;   in Loop: Header=BB287_15 Depth=1
	v_and_b32_e32 v7, 0x7f, v5
	v_mov_b32_e32 v0, 0x7c01
	s_mov_b32 s14, exec_lo
	scratch_store_b32 off, v0, s32 offset:404 ; 4-byte Folded Spill
	s_wait_xcnt 0x0
	v_cmpx_ne_u32_e32 0x7f, v7
	s_cbranch_execz .LBB287_632
; %bb.629:                              ;   in Loop: Header=BB287_15 Depth=1
	v_dual_lshrrev_b32 v6, 3, v7 :: v_dual_bitop2_b32 v0, 7, v5 bitop3:0x40
	s_mov_b32 s15, exec_lo
	v_cmpx_gt_u32_e32 8, v7
; %bb.630:                              ;   in Loop: Header=BB287_15 Depth=1
	s_delay_alu instid0(VALU_DEP_2) | instskip(NEXT) | instid1(VALU_DEP_1)
	v_clz_i32_u32_e32 v0, v0
	v_min_u32_e32 v0, 32, v0
	s_delay_alu instid0(VALU_DEP_1) | instskip(NEXT) | instid1(VALU_DEP_1)
	v_subrev_nc_u32_e32 v6, 28, v0
	v_lshlrev_b64_e32 v[8:9], v6, v[24:25]
	v_sub_nc_u32_e32 v6, 29, v0
	s_delay_alu instid0(VALU_DEP_2)
	v_and_b32_e32 v0, 7, v8
; %bb.631:                              ;   in Loop: Header=BB287_15 Depth=1
	s_or_b32 exec_lo, exec_lo, s15
	s_delay_alu instid0(VALU_DEP_1) | instskip(NEXT) | instid1(VALU_DEP_3)
	v_dual_lshlrev_b32 v7, 8, v5 :: v_dual_lshlrev_b32 v0, 7, v0
	v_lshl_add_u32 v6, v6, 10, 0x2000
	s_delay_alu instid0(VALU_DEP_2) | instskip(NEXT) | instid1(VALU_DEP_2)
	v_and_b32_e32 v7, 0x8000, v7
	v_and_b32_e32 v6, 0xfc00, v6
	s_delay_alu instid0(VALU_DEP_1)
	v_or3_b32 v0, v7, v6, v0
	scratch_store_b32 off, v0, s32 offset:404 ; 4-byte Folded Spill
.LBB287_632:                            ;   in Loop: Header=BB287_15 Depth=1
	s_wait_xcnt 0x0
	s_or_b32 exec_lo, exec_lo, s14
.LBB287_633:                            ;   in Loop: Header=BB287_15 Depth=1
	s_delay_alu instid0(SALU_CYCLE_1)
	s_or_b32 exec_lo, exec_lo, s11
.LBB287_634:                            ;   in Loop: Header=BB287_15 Depth=1
	s_delay_alu instid0(SALU_CYCLE_1)
	s_or_b32 exec_lo, exec_lo, s8
	v_mov_b32_e32 v0, 0
	v_lshrrev_b16 v24, 8, v24
	s_mov_b32 s8, exec_lo
	scratch_store_b32 off, v0, s32 offset:420 ; 4-byte Folded Spill
	s_wait_xcnt 0x0
	v_mov_b32_e32 v0, 0
	scratch_store_b32 off, v0, s32 offset:424 ; 4-byte Folded Spill
	s_wait_xcnt 0x0
	v_cmpx_ne_u16_e32 0, v24
	s_cbranch_execz .LBB287_642
; %bb.635:                              ;   in Loop: Header=BB287_15 Depth=1
	v_bfrev_b32_e32 v0, 1
	s_mov_b32 s11, exec_lo
	scratch_store_b32 off, v0, s32 offset:424 ; 4-byte Folded Spill
	s_wait_xcnt 0x0
	v_cmpx_ne_u16_e32 0x80, v24
	s_cbranch_execz .LBB287_641
; %bb.636:                              ;   in Loop: Header=BB287_15 Depth=1
	v_and_b32_e32 v0, 0xffff, v24
	v_mov_b32_e32 v6, 0x7c010000
	s_mov_b32 s14, exec_lo
	s_delay_alu instid0(VALU_DEP_2)
	v_and_b32_e32 v8, 0x7f, v0
	scratch_store_b32 off, v6, s32 offset:424 ; 4-byte Folded Spill
	s_wait_xcnt 0x0
	v_cmpx_ne_u32_e32 0x7f, v8
	s_cbranch_execz .LBB287_640
; %bb.637:                              ;   in Loop: Header=BB287_15 Depth=1
	v_and_b32_e32 v6, 7, v0
	v_lshrrev_b32_e32 v7, 3, v8
	s_mov_b32 s15, exec_lo
	v_cmpx_gt_u32_e32 8, v8
; %bb.638:                              ;   in Loop: Header=BB287_15 Depth=1
	s_delay_alu instid0(VALU_DEP_3) | instskip(NEXT) | instid1(VALU_DEP_1)
	v_clz_i32_u32_e32 v6, v6
	v_min_u32_e32 v8, 32, v6
	s_delay_alu instid0(VALU_DEP_1) | instskip(NEXT) | instid1(VALU_DEP_1)
	v_subrev_nc_u32_e32 v6, 28, v8
	v_lshlrev_b64_e32 v[6:7], v6, v[24:25]
	s_delay_alu instid0(VALU_DEP_1)
	v_dual_sub_nc_u32 v7, 29, v8 :: v_dual_bitop2_b32 v6, 7, v6 bitop3:0x40
; %bb.639:                              ;   in Loop: Header=BB287_15 Depth=1
	s_or_b32 exec_lo, exec_lo, s15
	s_delay_alu instid0(VALU_DEP_1) | instskip(NEXT) | instid1(VALU_DEP_2)
	v_dual_lshlrev_b32 v0, 8, v0 :: v_dual_lshlrev_b32 v6, 23, v6
	v_lshl_add_u32 v7, v7, 10, 0x2000
	s_delay_alu instid0(VALU_DEP_1) | instskip(NEXT) | instid1(VALU_DEP_1)
	v_and_or_b32 v0, 0x8000, v0, v7
	v_lshl_or_b32 v0, v0, 16, v6
	scratch_store_b32 off, v0, s32 offset:424 ; 4-byte Folded Spill
.LBB287_640:                            ;   in Loop: Header=BB287_15 Depth=1
	s_wait_xcnt 0x0
	s_or_b32 exec_lo, exec_lo, s14
.LBB287_641:                            ;   in Loop: Header=BB287_15 Depth=1
	s_delay_alu instid0(SALU_CYCLE_1)
	s_or_b32 exec_lo, exec_lo, s11
.LBB287_642:                            ;   in Loop: Header=BB287_15 Depth=1
	s_delay_alu instid0(SALU_CYCLE_1) | instskip(SKIP_2) | instid1(VALU_DEP_1)
	s_or_b32 exec_lo, exec_lo, s8
	v_lshrrev_b32_e32 v0, 16, v5
	s_mov_b32 s8, exec_lo
	v_and_b32_e32 v6, 0xff, v0
	s_delay_alu instid0(VALU_DEP_1)
	v_cmpx_ne_u16_e32 0, v6
	s_cbranch_execz .LBB287_650
; %bb.643:                              ;   in Loop: Header=BB287_15 Depth=1
	v_cmp_ne_u16_e64 s1, 0x80, v6
	v_mov_b32_e32 v6, 0x8000
	scratch_store_b32 off, v6, s32 offset:420 ; 4-byte Folded Spill
	s_wait_xcnt 0x0
	s_and_saveexec_b32 s11, s1
	s_cbranch_execz .LBB287_649
; %bb.644:                              ;   in Loop: Header=BB287_15 Depth=1
	v_bfe_u32 v8, v5, 16, 7
	v_mov_b32_e32 v6, 0x7c01
	s_mov_b32 s14, exec_lo
	scratch_store_b32 off, v6, s32 offset:420 ; 4-byte Folded Spill
	s_wait_xcnt 0x0
	v_cmpx_ne_u32_e32 0x7f, v8
	s_cbranch_execz .LBB287_648
; %bb.645:                              ;   in Loop: Header=BB287_15 Depth=1
	v_and_b32_e32 v6, 7, v0
	v_lshrrev_b32_e32 v7, 3, v8
	s_mov_b32 s15, exec_lo
	v_cmpx_gt_u32_e32 8, v8
; %bb.646:                              ;   in Loop: Header=BB287_15 Depth=1
	s_delay_alu instid0(VALU_DEP_3) | instskip(NEXT) | instid1(VALU_DEP_1)
	v_clz_i32_u32_e32 v6, v6
	v_min_u32_e32 v8, 32, v6
	s_delay_alu instid0(VALU_DEP_1) | instskip(NEXT) | instid1(VALU_DEP_1)
	v_subrev_nc_u32_e32 v6, 28, v8
	v_lshlrev_b64_e32 v[6:7], v6, v[0:1]
	s_delay_alu instid0(VALU_DEP_1)
	v_dual_sub_nc_u32 v7, 29, v8 :: v_dual_bitop2_b32 v6, 7, v6 bitop3:0x40
; %bb.647:                              ;   in Loop: Header=BB287_15 Depth=1
	s_or_b32 exec_lo, exec_lo, s15
	s_delay_alu instid0(VALU_DEP_1) | instskip(NEXT) | instid1(VALU_DEP_2)
	v_dual_lshlrev_b32 v0, 8, v0 :: v_dual_lshlrev_b32 v6, 7, v6
	v_lshl_add_u32 v7, v7, 10, 0x2000
	s_delay_alu instid0(VALU_DEP_2) | instskip(NEXT) | instid1(VALU_DEP_2)
	v_and_b32_e32 v0, 0x8000, v0
	v_and_b32_e32 v7, 0xfc00, v7
	s_delay_alu instid0(VALU_DEP_1)
	v_or3_b32 v0, v0, v7, v6
	scratch_store_b32 off, v0, s32 offset:420 ; 4-byte Folded Spill
.LBB287_648:                            ;   in Loop: Header=BB287_15 Depth=1
	s_wait_xcnt 0x0
	s_or_b32 exec_lo, exec_lo, s14
.LBB287_649:                            ;   in Loop: Header=BB287_15 Depth=1
	s_delay_alu instid0(SALU_CYCLE_1)
	s_or_b32 exec_lo, exec_lo, s11
.LBB287_650:                            ;   in Loop: Header=BB287_15 Depth=1
	s_delay_alu instid0(SALU_CYCLE_1)
	s_or_b32 exec_lo, exec_lo, s8
	v_mov_b32_e32 v0, 0
	s_mov_b32 s8, exec_lo
	scratch_store_b32 off, v0, s32 offset:436 ; 4-byte Folded Spill
	s_wait_xcnt 0x0
	v_mov_b32_e32 v0, 0
	scratch_store_b32 off, v0, s32 offset:440 ; 4-byte Folded Spill
	s_wait_xcnt 0x0
	v_cmpx_lt_u64_e64 s[4:5], v[4:5]
	s_cbranch_execz .LBB287_658
; %bb.651:                              ;   in Loop: Header=BB287_15 Depth=1
	v_lshrrev_b32_e32 v24, 24, v5
	v_bfrev_b32_e32 v0, 1
	s_mov_b32 s11, exec_lo
	scratch_store_b32 off, v0, s32 offset:440 ; 4-byte Folded Spill
	s_wait_xcnt 0x0
	v_cmpx_ne_u32_e32 0x80, v24
	s_cbranch_execz .LBB287_657
; %bb.652:                              ;   in Loop: Header=BB287_15 Depth=1
	v_and_b32_e32 v5, 0x7f, v24
	v_mov_b32_e32 v0, 0x7c010000
	s_mov_b32 s14, exec_lo
	scratch_store_b32 off, v0, s32 offset:440 ; 4-byte Folded Spill
	s_wait_xcnt 0x0
	v_cmpx_ne_u32_e32 0x7f, v5
	s_cbranch_execz .LBB287_656
; %bb.653:                              ;   in Loop: Header=BB287_15 Depth=1
	v_dual_lshrrev_b32 v4, 3, v5 :: v_dual_bitop2_b32 v0, 7, v24 bitop3:0x40
	s_mov_b32 s15, exec_lo
	v_cmpx_gt_u32_e32 8, v5
; %bb.654:                              ;   in Loop: Header=BB287_15 Depth=1
	s_delay_alu instid0(VALU_DEP_2) | instskip(NEXT) | instid1(VALU_DEP_1)
	v_clz_i32_u32_e32 v0, v0
	v_min_u32_e32 v0, 32, v0
	s_delay_alu instid0(VALU_DEP_1) | instskip(NEXT) | instid1(VALU_DEP_1)
	v_subrev_nc_u32_e32 v4, 28, v0
	v_lshlrev_b64_e32 v[6:7], v4, v[24:25]
	s_delay_alu instid0(VALU_DEP_1)
	v_dual_sub_nc_u32 v4, 29, v0 :: v_dual_bitop2_b32 v0, 7, v6 bitop3:0x40
; %bb.655:                              ;   in Loop: Header=BB287_15 Depth=1
	s_or_b32 exec_lo, exec_lo, s15
	v_lshlrev_b32_e32 v5, 8, v24
	s_delay_alu instid0(VALU_DEP_2) | instskip(NEXT) | instid1(VALU_DEP_3)
	v_lshl_add_u32 v4, v4, 10, 0x2000
	v_lshlrev_b32_e32 v0, 23, v0
	s_delay_alu instid0(VALU_DEP_2) | instskip(NEXT) | instid1(VALU_DEP_1)
	v_and_or_b32 v4, 0x8000, v5, v4
	v_lshl_or_b32 v0, v4, 16, v0
	scratch_store_b32 off, v0, s32 offset:440 ; 4-byte Folded Spill
.LBB287_656:                            ;   in Loop: Header=BB287_15 Depth=1
	s_wait_xcnt 0x0
	s_or_b32 exec_lo, exec_lo, s14
.LBB287_657:                            ;   in Loop: Header=BB287_15 Depth=1
	s_delay_alu instid0(SALU_CYCLE_1)
	s_or_b32 exec_lo, exec_lo, s11
.LBB287_658:                            ;   in Loop: Header=BB287_15 Depth=1
	s_delay_alu instid0(SALU_CYCLE_1)
	s_or_b32 exec_lo, exec_lo, s8
	flat_load_b64 v[4:5], v[2:3] offset:2560
	s_mov_b32 s8, exec_lo
	s_wait_loadcnt_dscnt 0x0
	v_and_b32_e32 v0, 0xff, v4
	s_wait_xcnt 0x0
	s_delay_alu instid0(VALU_DEP_1)
	v_cmpx_ne_u16_e32 0, v0
	s_cbranch_execz .LBB287_666
; %bb.659:                              ;   in Loop: Header=BB287_15 Depth=1
	v_cmp_ne_u16_e64 s1, 0x80, v0
	v_mov_b32_e32 v0, 0x8000
	scratch_store_b32 off, v0, s32 offset:436 ; 4-byte Folded Spill
	s_wait_xcnt 0x0
	s_and_saveexec_b32 s11, s1
	s_cbranch_execz .LBB287_665
; %bb.660:                              ;   in Loop: Header=BB287_15 Depth=1
	v_and_b32_e32 v7, 0x7f, v4
	v_mov_b32_e32 v0, 0x7c01
	s_mov_b32 s14, exec_lo
	scratch_store_b32 off, v0, s32 offset:436 ; 4-byte Folded Spill
	s_wait_xcnt 0x0
	v_cmpx_ne_u32_e32 0x7f, v7
	s_cbranch_execz .LBB287_664
; %bb.661:                              ;   in Loop: Header=BB287_15 Depth=1
	v_dual_lshrrev_b32 v6, 3, v7 :: v_dual_bitop2_b32 v0, 7, v4 bitop3:0x40
	s_mov_b32 s15, exec_lo
	v_cmpx_gt_u32_e32 8, v7
; %bb.662:                              ;   in Loop: Header=BB287_15 Depth=1
	s_delay_alu instid0(VALU_DEP_2) | instskip(NEXT) | instid1(VALU_DEP_1)
	v_clz_i32_u32_e32 v0, v0
	v_min_u32_e32 v0, 32, v0
	s_delay_alu instid0(VALU_DEP_1) | instskip(NEXT) | instid1(VALU_DEP_1)
	v_subrev_nc_u32_e32 v6, 28, v0
	v_lshlrev_b64_e32 v[8:9], v6, v[4:5]
	v_sub_nc_u32_e32 v6, 29, v0
	s_delay_alu instid0(VALU_DEP_2)
	v_and_b32_e32 v0, 7, v8
; %bb.663:                              ;   in Loop: Header=BB287_15 Depth=1
	s_or_b32 exec_lo, exec_lo, s15
	v_lshlrev_b32_e32 v7, 8, v4
	s_delay_alu instid0(VALU_DEP_3) | instskip(NEXT) | instid1(VALU_DEP_3)
	v_lshl_add_u32 v6, v6, 10, 0x2000
	v_lshlrev_b32_e32 v0, 7, v0
	s_delay_alu instid0(VALU_DEP_3) | instskip(NEXT) | instid1(VALU_DEP_3)
	v_and_b32_e32 v7, 0x8000, v7
	v_and_b32_e32 v6, 0xfc00, v6
	s_delay_alu instid0(VALU_DEP_1)
	v_or3_b32 v0, v7, v6, v0
	scratch_store_b32 off, v0, s32 offset:436 ; 4-byte Folded Spill
.LBB287_664:                            ;   in Loop: Header=BB287_15 Depth=1
	s_wait_xcnt 0x0
	s_or_b32 exec_lo, exec_lo, s14
.LBB287_665:                            ;   in Loop: Header=BB287_15 Depth=1
	s_delay_alu instid0(SALU_CYCLE_1)
	s_or_b32 exec_lo, exec_lo, s11
.LBB287_666:                            ;   in Loop: Header=BB287_15 Depth=1
	s_delay_alu instid0(SALU_CYCLE_1)
	s_or_b32 exec_lo, exec_lo, s8
	v_mov_b32_e32 v0, 0
	v_lshrrev_b16 v24, 8, v4
	s_mov_b32 s8, exec_lo
	scratch_store_b32 off, v0, s32 offset:444 ; 4-byte Folded Spill
	s_wait_xcnt 0x0
	v_mov_b32_e32 v0, 0
	scratch_store_b32 off, v0, s32 offset:452 ; 4-byte Folded Spill
	s_wait_xcnt 0x0
	v_cmpx_ne_u16_e32 0, v24
	s_cbranch_execz .LBB287_674
; %bb.667:                              ;   in Loop: Header=BB287_15 Depth=1
	v_bfrev_b32_e32 v0, 1
	s_mov_b32 s11, exec_lo
	scratch_store_b32 off, v0, s32 offset:452 ; 4-byte Folded Spill
	s_wait_xcnt 0x0
	v_cmpx_ne_u16_e32 0x80, v24
	s_cbranch_execz .LBB287_673
; %bb.668:                              ;   in Loop: Header=BB287_15 Depth=1
	v_and_b32_e32 v0, 0xffff, v24
	v_mov_b32_e32 v6, 0x7c010000
	s_mov_b32 s14, exec_lo
	s_delay_alu instid0(VALU_DEP_2)
	v_and_b32_e32 v8, 0x7f, v0
	scratch_store_b32 off, v6, s32 offset:452 ; 4-byte Folded Spill
	s_wait_xcnt 0x0
	v_cmpx_ne_u32_e32 0x7f, v8
	s_cbranch_execz .LBB287_672
; %bb.669:                              ;   in Loop: Header=BB287_15 Depth=1
	v_and_b32_e32 v6, 7, v0
	v_lshrrev_b32_e32 v7, 3, v8
	s_mov_b32 s15, exec_lo
	v_cmpx_gt_u32_e32 8, v8
; %bb.670:                              ;   in Loop: Header=BB287_15 Depth=1
	s_delay_alu instid0(VALU_DEP_3) | instskip(NEXT) | instid1(VALU_DEP_1)
	v_clz_i32_u32_e32 v6, v6
	v_min_u32_e32 v8, 32, v6
	s_delay_alu instid0(VALU_DEP_1) | instskip(NEXT) | instid1(VALU_DEP_1)
	v_subrev_nc_u32_e32 v6, 28, v8
	v_lshlrev_b64_e32 v[6:7], v6, v[24:25]
	s_delay_alu instid0(VALU_DEP_1)
	v_dual_sub_nc_u32 v7, 29, v8 :: v_dual_bitop2_b32 v6, 7, v6 bitop3:0x40
; %bb.671:                              ;   in Loop: Header=BB287_15 Depth=1
	s_or_b32 exec_lo, exec_lo, s15
	s_delay_alu instid0(VALU_DEP_1) | instskip(NEXT) | instid1(VALU_DEP_2)
	v_dual_lshlrev_b32 v0, 8, v0 :: v_dual_lshlrev_b32 v6, 23, v6
	v_lshl_add_u32 v7, v7, 10, 0x2000
	s_delay_alu instid0(VALU_DEP_1) | instskip(NEXT) | instid1(VALU_DEP_1)
	v_and_or_b32 v0, 0x8000, v0, v7
	v_lshl_or_b32 v0, v0, 16, v6
	scratch_store_b32 off, v0, s32 offset:452 ; 4-byte Folded Spill
.LBB287_672:                            ;   in Loop: Header=BB287_15 Depth=1
	s_wait_xcnt 0x0
	s_or_b32 exec_lo, exec_lo, s14
.LBB287_673:                            ;   in Loop: Header=BB287_15 Depth=1
	s_delay_alu instid0(SALU_CYCLE_1)
	s_or_b32 exec_lo, exec_lo, s11
.LBB287_674:                            ;   in Loop: Header=BB287_15 Depth=1
	s_delay_alu instid0(SALU_CYCLE_1) | instskip(SKIP_2) | instid1(VALU_DEP_1)
	s_or_b32 exec_lo, exec_lo, s8
	v_lshrrev_b32_e32 v0, 16, v4
	s_mov_b32 s8, exec_lo
	v_and_b32_e32 v6, 0xff, v0
	s_delay_alu instid0(VALU_DEP_1)
	v_cmpx_ne_u16_e32 0, v6
	s_cbranch_execz .LBB287_682
; %bb.675:                              ;   in Loop: Header=BB287_15 Depth=1
	v_cmp_ne_u16_e64 s1, 0x80, v6
	v_mov_b32_e32 v6, 0x8000
	scratch_store_b32 off, v6, s32 offset:444 ; 4-byte Folded Spill
	s_wait_xcnt 0x0
	s_and_saveexec_b32 s11, s1
	s_cbranch_execz .LBB287_681
; %bb.676:                              ;   in Loop: Header=BB287_15 Depth=1
	v_bfe_u32 v8, v4, 16, 7
	v_mov_b32_e32 v6, 0x7c01
	s_mov_b32 s14, exec_lo
	scratch_store_b32 off, v6, s32 offset:444 ; 4-byte Folded Spill
	s_wait_xcnt 0x0
	v_cmpx_ne_u32_e32 0x7f, v8
	s_cbranch_execz .LBB287_680
; %bb.677:                              ;   in Loop: Header=BB287_15 Depth=1
	v_and_b32_e32 v6, 7, v0
	v_lshrrev_b32_e32 v7, 3, v8
	s_mov_b32 s15, exec_lo
	v_cmpx_gt_u32_e32 8, v8
; %bb.678:                              ;   in Loop: Header=BB287_15 Depth=1
	s_delay_alu instid0(VALU_DEP_3) | instskip(NEXT) | instid1(VALU_DEP_1)
	v_clz_i32_u32_e32 v6, v6
	v_min_u32_e32 v8, 32, v6
	s_delay_alu instid0(VALU_DEP_1) | instskip(NEXT) | instid1(VALU_DEP_1)
	v_subrev_nc_u32_e32 v6, 28, v8
	v_lshlrev_b64_e32 v[6:7], v6, v[0:1]
	s_delay_alu instid0(VALU_DEP_1)
	v_dual_sub_nc_u32 v7, 29, v8 :: v_dual_bitop2_b32 v6, 7, v6 bitop3:0x40
; %bb.679:                              ;   in Loop: Header=BB287_15 Depth=1
	s_or_b32 exec_lo, exec_lo, s15
	s_delay_alu instid0(VALU_DEP_1) | instskip(NEXT) | instid1(VALU_DEP_2)
	v_dual_lshlrev_b32 v0, 8, v0 :: v_dual_lshlrev_b32 v6, 7, v6
	v_lshl_add_u32 v7, v7, 10, 0x2000
	s_delay_alu instid0(VALU_DEP_2) | instskip(NEXT) | instid1(VALU_DEP_2)
	v_and_b32_e32 v0, 0x8000, v0
	v_and_b32_e32 v7, 0xfc00, v7
	s_delay_alu instid0(VALU_DEP_1)
	v_or3_b32 v0, v0, v7, v6
	scratch_store_b32 off, v0, s32 offset:444 ; 4-byte Folded Spill
.LBB287_680:                            ;   in Loop: Header=BB287_15 Depth=1
	s_wait_xcnt 0x0
	s_or_b32 exec_lo, exec_lo, s14
.LBB287_681:                            ;   in Loop: Header=BB287_15 Depth=1
	s_delay_alu instid0(SALU_CYCLE_1)
	s_or_b32 exec_lo, exec_lo, s11
.LBB287_682:                            ;   in Loop: Header=BB287_15 Depth=1
	s_delay_alu instid0(SALU_CYCLE_1)
	s_or_b32 exec_lo, exec_lo, s8
	v_mov_b32_e32 v0, 0
	s_mov_b32 s8, exec_lo
	scratch_store_b32 off, v0, s32 offset:456 ; 4-byte Folded Spill
	s_wait_xcnt 0x0
	v_mov_b32_e32 v0, 0
	scratch_store_b32 off, v0, s32 offset:460 ; 4-byte Folded Spill
	s_wait_xcnt 0x0
	v_cmpx_lt_u32_e32 0xffffff, v4
	s_cbranch_execz .LBB287_690
; %bb.683:                              ;   in Loop: Header=BB287_15 Depth=1
	v_lshrrev_b32_e32 v24, 24, v4
	v_bfrev_b32_e32 v0, 1
	s_mov_b32 s11, exec_lo
	scratch_store_b32 off, v0, s32 offset:460 ; 4-byte Folded Spill
	s_wait_xcnt 0x0
	v_cmpx_ne_u32_e32 0x80, v24
	s_cbranch_execz .LBB287_689
; %bb.684:                              ;   in Loop: Header=BB287_15 Depth=1
	v_and_b32_e32 v7, 0x7f, v24
	v_mov_b32_e32 v0, 0x7c010000
	s_mov_b32 s14, exec_lo
	scratch_store_b32 off, v0, s32 offset:460 ; 4-byte Folded Spill
	s_wait_xcnt 0x0
	v_cmpx_ne_u32_e32 0x7f, v7
	s_cbranch_execz .LBB287_688
; %bb.685:                              ;   in Loop: Header=BB287_15 Depth=1
	v_dual_lshrrev_b32 v6, 3, v7 :: v_dual_bitop2_b32 v0, 7, v24 bitop3:0x40
	s_mov_b32 s15, exec_lo
	v_cmpx_gt_u32_e32 8, v7
; %bb.686:                              ;   in Loop: Header=BB287_15 Depth=1
	s_delay_alu instid0(VALU_DEP_2) | instskip(NEXT) | instid1(VALU_DEP_1)
	v_clz_i32_u32_e32 v0, v0
	v_min_u32_e32 v0, 32, v0
	s_delay_alu instid0(VALU_DEP_1) | instskip(NEXT) | instid1(VALU_DEP_1)
	v_subrev_nc_u32_e32 v6, 28, v0
	v_lshlrev_b64_e32 v[8:9], v6, v[24:25]
	v_sub_nc_u32_e32 v6, 29, v0
	s_delay_alu instid0(VALU_DEP_2)
	v_and_b32_e32 v0, 7, v8
; %bb.687:                              ;   in Loop: Header=BB287_15 Depth=1
	s_or_b32 exec_lo, exec_lo, s15
	v_lshlrev_b32_e32 v7, 8, v24
	s_delay_alu instid0(VALU_DEP_3) | instskip(NEXT) | instid1(VALU_DEP_3)
	v_lshl_add_u32 v6, v6, 10, 0x2000
	v_lshlrev_b32_e32 v0, 23, v0
	s_delay_alu instid0(VALU_DEP_2) | instskip(NEXT) | instid1(VALU_DEP_1)
	v_and_or_b32 v6, 0x8000, v7, v6
	v_lshl_or_b32 v0, v6, 16, v0
	scratch_store_b32 off, v0, s32 offset:460 ; 4-byte Folded Spill
.LBB287_688:                            ;   in Loop: Header=BB287_15 Depth=1
	s_wait_xcnt 0x0
	s_or_b32 exec_lo, exec_lo, s14
.LBB287_689:                            ;   in Loop: Header=BB287_15 Depth=1
	s_delay_alu instid0(SALU_CYCLE_1)
	s_or_b32 exec_lo, exec_lo, s11
.LBB287_690:                            ;   in Loop: Header=BB287_15 Depth=1
	s_delay_alu instid0(SALU_CYCLE_1) | instskip(SKIP_3) | instid1(VALU_DEP_2)
	s_or_b32 exec_lo, exec_lo, s8
	v_and_b32_e32 v0, 0xff, v5
	v_mov_b32_e32 v24, v5
	s_mov_b32 s8, exec_lo
	v_cmpx_ne_u16_e32 0, v0
	s_cbranch_execz .LBB287_698
; %bb.691:                              ;   in Loop: Header=BB287_15 Depth=1
	v_cmp_ne_u16_e64 s1, 0x80, v0
	v_mov_b32_e32 v0, 0x8000
	scratch_store_b32 off, v0, s32 offset:456 ; 4-byte Folded Spill
	s_wait_xcnt 0x0
	s_and_saveexec_b32 s11, s1
	s_cbranch_execz .LBB287_697
; %bb.692:                              ;   in Loop: Header=BB287_15 Depth=1
	v_and_b32_e32 v7, 0x7f, v5
	v_mov_b32_e32 v0, 0x7c01
	s_mov_b32 s14, exec_lo
	scratch_store_b32 off, v0, s32 offset:456 ; 4-byte Folded Spill
	s_wait_xcnt 0x0
	v_cmpx_ne_u32_e32 0x7f, v7
	s_cbranch_execz .LBB287_696
; %bb.693:                              ;   in Loop: Header=BB287_15 Depth=1
	v_dual_lshrrev_b32 v6, 3, v7 :: v_dual_bitop2_b32 v0, 7, v5 bitop3:0x40
	s_mov_b32 s15, exec_lo
	v_cmpx_gt_u32_e32 8, v7
; %bb.694:                              ;   in Loop: Header=BB287_15 Depth=1
	s_delay_alu instid0(VALU_DEP_2) | instskip(NEXT) | instid1(VALU_DEP_1)
	v_clz_i32_u32_e32 v0, v0
	v_min_u32_e32 v0, 32, v0
	s_delay_alu instid0(VALU_DEP_1) | instskip(NEXT) | instid1(VALU_DEP_1)
	v_subrev_nc_u32_e32 v6, 28, v0
	v_lshlrev_b64_e32 v[8:9], v6, v[24:25]
	v_sub_nc_u32_e32 v6, 29, v0
	s_delay_alu instid0(VALU_DEP_2)
	v_and_b32_e32 v0, 7, v8
; %bb.695:                              ;   in Loop: Header=BB287_15 Depth=1
	s_or_b32 exec_lo, exec_lo, s15
	s_delay_alu instid0(VALU_DEP_1) | instskip(NEXT) | instid1(VALU_DEP_3)
	v_dual_lshlrev_b32 v7, 8, v5 :: v_dual_lshlrev_b32 v0, 7, v0
	v_lshl_add_u32 v6, v6, 10, 0x2000
	s_delay_alu instid0(VALU_DEP_2) | instskip(NEXT) | instid1(VALU_DEP_2)
	v_and_b32_e32 v7, 0x8000, v7
	v_and_b32_e32 v6, 0xfc00, v6
	s_delay_alu instid0(VALU_DEP_1)
	v_or3_b32 v0, v7, v6, v0
	scratch_store_b32 off, v0, s32 offset:456 ; 4-byte Folded Spill
.LBB287_696:                            ;   in Loop: Header=BB287_15 Depth=1
	s_wait_xcnt 0x0
	s_or_b32 exec_lo, exec_lo, s14
.LBB287_697:                            ;   in Loop: Header=BB287_15 Depth=1
	s_delay_alu instid0(SALU_CYCLE_1)
	s_or_b32 exec_lo, exec_lo, s11
.LBB287_698:                            ;   in Loop: Header=BB287_15 Depth=1
	s_delay_alu instid0(SALU_CYCLE_1)
	s_or_b32 exec_lo, exec_lo, s8
	v_mov_b32_e32 v0, 0
	v_lshrrev_b16 v24, 8, v24
	s_mov_b32 s8, exec_lo
	scratch_store_b32 off, v0, s32 offset:464 ; 4-byte Folded Spill
	s_wait_xcnt 0x0
	v_mov_b32_e32 v0, 0
	scratch_store_b32 off, v0, s32 offset:468 ; 4-byte Folded Spill
	s_wait_xcnt 0x0
	v_cmpx_ne_u16_e32 0, v24
	s_cbranch_execz .LBB287_706
; %bb.699:                              ;   in Loop: Header=BB287_15 Depth=1
	v_bfrev_b32_e32 v0, 1
	s_mov_b32 s11, exec_lo
	scratch_store_b32 off, v0, s32 offset:468 ; 4-byte Folded Spill
	s_wait_xcnt 0x0
	v_cmpx_ne_u16_e32 0x80, v24
	s_cbranch_execz .LBB287_705
; %bb.700:                              ;   in Loop: Header=BB287_15 Depth=1
	v_and_b32_e32 v0, 0xffff, v24
	v_mov_b32_e32 v6, 0x7c010000
	s_mov_b32 s14, exec_lo
	s_delay_alu instid0(VALU_DEP_2)
	v_and_b32_e32 v8, 0x7f, v0
	scratch_store_b32 off, v6, s32 offset:468 ; 4-byte Folded Spill
	s_wait_xcnt 0x0
	v_cmpx_ne_u32_e32 0x7f, v8
	s_cbranch_execz .LBB287_704
; %bb.701:                              ;   in Loop: Header=BB287_15 Depth=1
	v_and_b32_e32 v6, 7, v0
	v_lshrrev_b32_e32 v7, 3, v8
	s_mov_b32 s15, exec_lo
	v_cmpx_gt_u32_e32 8, v8
; %bb.702:                              ;   in Loop: Header=BB287_15 Depth=1
	s_delay_alu instid0(VALU_DEP_3) | instskip(NEXT) | instid1(VALU_DEP_1)
	v_clz_i32_u32_e32 v6, v6
	v_min_u32_e32 v8, 32, v6
	s_delay_alu instid0(VALU_DEP_1) | instskip(NEXT) | instid1(VALU_DEP_1)
	v_subrev_nc_u32_e32 v6, 28, v8
	v_lshlrev_b64_e32 v[6:7], v6, v[24:25]
	s_delay_alu instid0(VALU_DEP_1)
	v_dual_sub_nc_u32 v7, 29, v8 :: v_dual_bitop2_b32 v6, 7, v6 bitop3:0x40
; %bb.703:                              ;   in Loop: Header=BB287_15 Depth=1
	s_or_b32 exec_lo, exec_lo, s15
	s_delay_alu instid0(VALU_DEP_1) | instskip(NEXT) | instid1(VALU_DEP_2)
	v_dual_lshlrev_b32 v0, 8, v0 :: v_dual_lshlrev_b32 v6, 23, v6
	v_lshl_add_u32 v7, v7, 10, 0x2000
	s_delay_alu instid0(VALU_DEP_1) | instskip(NEXT) | instid1(VALU_DEP_1)
	v_and_or_b32 v0, 0x8000, v0, v7
	v_lshl_or_b32 v0, v0, 16, v6
	scratch_store_b32 off, v0, s32 offset:468 ; 4-byte Folded Spill
.LBB287_704:                            ;   in Loop: Header=BB287_15 Depth=1
	s_wait_xcnt 0x0
	s_or_b32 exec_lo, exec_lo, s14
.LBB287_705:                            ;   in Loop: Header=BB287_15 Depth=1
	s_delay_alu instid0(SALU_CYCLE_1)
	s_or_b32 exec_lo, exec_lo, s11
.LBB287_706:                            ;   in Loop: Header=BB287_15 Depth=1
	s_delay_alu instid0(SALU_CYCLE_1) | instskip(SKIP_2) | instid1(VALU_DEP_1)
	s_or_b32 exec_lo, exec_lo, s8
	v_lshrrev_b32_e32 v0, 16, v5
	s_mov_b32 s8, exec_lo
	v_and_b32_e32 v6, 0xff, v0
	s_delay_alu instid0(VALU_DEP_1)
	v_cmpx_ne_u16_e32 0, v6
	s_cbranch_execz .LBB287_714
; %bb.707:                              ;   in Loop: Header=BB287_15 Depth=1
	v_cmp_ne_u16_e64 s1, 0x80, v6
	v_mov_b32_e32 v6, 0x8000
	scratch_store_b32 off, v6, s32 offset:464 ; 4-byte Folded Spill
	s_wait_xcnt 0x0
	s_and_saveexec_b32 s11, s1
	s_cbranch_execz .LBB287_713
; %bb.708:                              ;   in Loop: Header=BB287_15 Depth=1
	v_bfe_u32 v8, v5, 16, 7
	v_mov_b32_e32 v6, 0x7c01
	s_mov_b32 s14, exec_lo
	scratch_store_b32 off, v6, s32 offset:464 ; 4-byte Folded Spill
	s_wait_xcnt 0x0
	v_cmpx_ne_u32_e32 0x7f, v8
	s_cbranch_execz .LBB287_712
; %bb.709:                              ;   in Loop: Header=BB287_15 Depth=1
	v_and_b32_e32 v6, 7, v0
	v_lshrrev_b32_e32 v7, 3, v8
	s_mov_b32 s15, exec_lo
	v_cmpx_gt_u32_e32 8, v8
; %bb.710:                              ;   in Loop: Header=BB287_15 Depth=1
	s_delay_alu instid0(VALU_DEP_3) | instskip(NEXT) | instid1(VALU_DEP_1)
	v_clz_i32_u32_e32 v6, v6
	v_min_u32_e32 v8, 32, v6
	s_delay_alu instid0(VALU_DEP_1) | instskip(NEXT) | instid1(VALU_DEP_1)
	v_subrev_nc_u32_e32 v6, 28, v8
	v_lshlrev_b64_e32 v[6:7], v6, v[0:1]
	s_delay_alu instid0(VALU_DEP_1)
	v_dual_sub_nc_u32 v7, 29, v8 :: v_dual_bitop2_b32 v6, 7, v6 bitop3:0x40
; %bb.711:                              ;   in Loop: Header=BB287_15 Depth=1
	s_or_b32 exec_lo, exec_lo, s15
	s_delay_alu instid0(VALU_DEP_1) | instskip(NEXT) | instid1(VALU_DEP_2)
	v_dual_lshlrev_b32 v0, 8, v0 :: v_dual_lshlrev_b32 v6, 7, v6
	v_lshl_add_u32 v7, v7, 10, 0x2000
	s_delay_alu instid0(VALU_DEP_2) | instskip(NEXT) | instid1(VALU_DEP_2)
	v_and_b32_e32 v0, 0x8000, v0
	v_and_b32_e32 v7, 0xfc00, v7
	s_delay_alu instid0(VALU_DEP_1)
	v_or3_b32 v0, v0, v7, v6
	scratch_store_b32 off, v0, s32 offset:464 ; 4-byte Folded Spill
.LBB287_712:                            ;   in Loop: Header=BB287_15 Depth=1
	s_wait_xcnt 0x0
	s_or_b32 exec_lo, exec_lo, s14
.LBB287_713:                            ;   in Loop: Header=BB287_15 Depth=1
	s_delay_alu instid0(SALU_CYCLE_1)
	s_or_b32 exec_lo, exec_lo, s11
.LBB287_714:                            ;   in Loop: Header=BB287_15 Depth=1
	s_delay_alu instid0(SALU_CYCLE_1)
	s_or_b32 exec_lo, exec_lo, s8
	v_mov_b32_e32 v0, 0
	s_mov_b32 s8, exec_lo
	scratch_store_b32 off, v0, s32 offset:472 ; 4-byte Folded Spill
	s_wait_xcnt 0x0
	v_mov_b32_e32 v0, 0
	scratch_store_b32 off, v0, s32 offset:476 ; 4-byte Folded Spill
	s_wait_xcnt 0x0
	v_cmpx_lt_u64_e64 s[4:5], v[4:5]
	s_cbranch_execz .LBB287_722
; %bb.715:                              ;   in Loop: Header=BB287_15 Depth=1
	v_lshrrev_b32_e32 v24, 24, v5
	v_bfrev_b32_e32 v0, 1
	s_mov_b32 s11, exec_lo
	scratch_store_b32 off, v0, s32 offset:476 ; 4-byte Folded Spill
	s_wait_xcnt 0x0
	v_cmpx_ne_u32_e32 0x80, v24
	s_cbranch_execz .LBB287_721
; %bb.716:                              ;   in Loop: Header=BB287_15 Depth=1
	v_and_b32_e32 v5, 0x7f, v24
	v_mov_b32_e32 v0, 0x7c010000
	s_mov_b32 s14, exec_lo
	scratch_store_b32 off, v0, s32 offset:476 ; 4-byte Folded Spill
	s_wait_xcnt 0x0
	v_cmpx_ne_u32_e32 0x7f, v5
	s_cbranch_execz .LBB287_720
; %bb.717:                              ;   in Loop: Header=BB287_15 Depth=1
	v_dual_lshrrev_b32 v4, 3, v5 :: v_dual_bitop2_b32 v0, 7, v24 bitop3:0x40
	s_mov_b32 s15, exec_lo
	v_cmpx_gt_u32_e32 8, v5
; %bb.718:                              ;   in Loop: Header=BB287_15 Depth=1
	s_delay_alu instid0(VALU_DEP_2) | instskip(NEXT) | instid1(VALU_DEP_1)
	v_clz_i32_u32_e32 v0, v0
	v_min_u32_e32 v0, 32, v0
	s_delay_alu instid0(VALU_DEP_1) | instskip(NEXT) | instid1(VALU_DEP_1)
	v_subrev_nc_u32_e32 v4, 28, v0
	v_lshlrev_b64_e32 v[6:7], v4, v[24:25]
	s_delay_alu instid0(VALU_DEP_1)
	v_dual_sub_nc_u32 v4, 29, v0 :: v_dual_bitop2_b32 v0, 7, v6 bitop3:0x40
; %bb.719:                              ;   in Loop: Header=BB287_15 Depth=1
	s_or_b32 exec_lo, exec_lo, s15
	v_lshlrev_b32_e32 v5, 8, v24
	s_delay_alu instid0(VALU_DEP_2) | instskip(NEXT) | instid1(VALU_DEP_3)
	v_lshl_add_u32 v4, v4, 10, 0x2000
	v_lshlrev_b32_e32 v0, 23, v0
	s_delay_alu instid0(VALU_DEP_2) | instskip(NEXT) | instid1(VALU_DEP_1)
	v_and_or_b32 v4, 0x8000, v5, v4
	v_lshl_or_b32 v0, v4, 16, v0
	scratch_store_b32 off, v0, s32 offset:476 ; 4-byte Folded Spill
.LBB287_720:                            ;   in Loop: Header=BB287_15 Depth=1
	s_wait_xcnt 0x0
	s_or_b32 exec_lo, exec_lo, s14
.LBB287_721:                            ;   in Loop: Header=BB287_15 Depth=1
	s_delay_alu instid0(SALU_CYCLE_1)
	s_or_b32 exec_lo, exec_lo, s11
.LBB287_722:                            ;   in Loop: Header=BB287_15 Depth=1
	s_delay_alu instid0(SALU_CYCLE_1)
	s_or_b32 exec_lo, exec_lo, s8
	flat_load_b64 v[4:5], v[2:3] offset:2568
	s_mov_b32 s8, exec_lo
	s_wait_loadcnt_dscnt 0x0
	v_and_b32_e32 v0, 0xff, v4
	s_wait_xcnt 0x0
	s_delay_alu instid0(VALU_DEP_1)
	v_cmpx_ne_u16_e32 0, v0
	s_cbranch_execz .LBB287_730
; %bb.723:                              ;   in Loop: Header=BB287_15 Depth=1
	v_cmp_ne_u16_e64 s1, 0x80, v0
	v_mov_b32_e32 v0, 0x8000
	scratch_store_b32 off, v0, s32 offset:472 ; 4-byte Folded Spill
	s_wait_xcnt 0x0
	s_and_saveexec_b32 s11, s1
	s_cbranch_execz .LBB287_729
; %bb.724:                              ;   in Loop: Header=BB287_15 Depth=1
	v_and_b32_e32 v7, 0x7f, v4
	v_mov_b32_e32 v0, 0x7c01
	s_mov_b32 s14, exec_lo
	scratch_store_b32 off, v0, s32 offset:472 ; 4-byte Folded Spill
	s_wait_xcnt 0x0
	v_cmpx_ne_u32_e32 0x7f, v7
	s_cbranch_execz .LBB287_728
; %bb.725:                              ;   in Loop: Header=BB287_15 Depth=1
	v_dual_lshrrev_b32 v6, 3, v7 :: v_dual_bitop2_b32 v0, 7, v4 bitop3:0x40
	s_mov_b32 s15, exec_lo
	v_cmpx_gt_u32_e32 8, v7
; %bb.726:                              ;   in Loop: Header=BB287_15 Depth=1
	s_delay_alu instid0(VALU_DEP_2) | instskip(NEXT) | instid1(VALU_DEP_1)
	v_clz_i32_u32_e32 v0, v0
	v_min_u32_e32 v0, 32, v0
	s_delay_alu instid0(VALU_DEP_1) | instskip(NEXT) | instid1(VALU_DEP_1)
	v_subrev_nc_u32_e32 v6, 28, v0
	v_lshlrev_b64_e32 v[8:9], v6, v[4:5]
	v_sub_nc_u32_e32 v6, 29, v0
	s_delay_alu instid0(VALU_DEP_2)
	v_and_b32_e32 v0, 7, v8
; %bb.727:                              ;   in Loop: Header=BB287_15 Depth=1
	s_or_b32 exec_lo, exec_lo, s15
	v_lshlrev_b32_e32 v7, 8, v4
	s_delay_alu instid0(VALU_DEP_3) | instskip(NEXT) | instid1(VALU_DEP_3)
	v_lshl_add_u32 v6, v6, 10, 0x2000
	v_lshlrev_b32_e32 v0, 7, v0
	s_delay_alu instid0(VALU_DEP_3) | instskip(NEXT) | instid1(VALU_DEP_3)
	v_and_b32_e32 v7, 0x8000, v7
	v_and_b32_e32 v6, 0xfc00, v6
	s_delay_alu instid0(VALU_DEP_1)
	v_or3_b32 v0, v7, v6, v0
	scratch_store_b32 off, v0, s32 offset:472 ; 4-byte Folded Spill
.LBB287_728:                            ;   in Loop: Header=BB287_15 Depth=1
	s_wait_xcnt 0x0
	s_or_b32 exec_lo, exec_lo, s14
.LBB287_729:                            ;   in Loop: Header=BB287_15 Depth=1
	s_delay_alu instid0(SALU_CYCLE_1)
	s_or_b32 exec_lo, exec_lo, s11
.LBB287_730:                            ;   in Loop: Header=BB287_15 Depth=1
	s_delay_alu instid0(SALU_CYCLE_1)
	s_or_b32 exec_lo, exec_lo, s8
	v_mov_b32_e32 v0, 0
	v_lshrrev_b16 v24, 8, v4
	s_mov_b32 s8, exec_lo
	scratch_store_b32 off, v0, s32 offset:480 ; 4-byte Folded Spill
	s_wait_xcnt 0x0
	v_mov_b32_e32 v0, 0
	scratch_store_b32 off, v0, s32 offset:484 ; 4-byte Folded Spill
	s_wait_xcnt 0x0
	v_cmpx_ne_u16_e32 0, v24
	s_cbranch_execz .LBB287_738
; %bb.731:                              ;   in Loop: Header=BB287_15 Depth=1
	v_bfrev_b32_e32 v0, 1
	s_mov_b32 s11, exec_lo
	scratch_store_b32 off, v0, s32 offset:484 ; 4-byte Folded Spill
	s_wait_xcnt 0x0
	v_cmpx_ne_u16_e32 0x80, v24
	s_cbranch_execz .LBB287_737
; %bb.732:                              ;   in Loop: Header=BB287_15 Depth=1
	v_and_b32_e32 v0, 0xffff, v24
	v_mov_b32_e32 v6, 0x7c010000
	s_mov_b32 s14, exec_lo
	s_delay_alu instid0(VALU_DEP_2)
	v_and_b32_e32 v8, 0x7f, v0
	scratch_store_b32 off, v6, s32 offset:484 ; 4-byte Folded Spill
	s_wait_xcnt 0x0
	v_cmpx_ne_u32_e32 0x7f, v8
	s_cbranch_execz .LBB287_736
; %bb.733:                              ;   in Loop: Header=BB287_15 Depth=1
	v_and_b32_e32 v6, 7, v0
	v_lshrrev_b32_e32 v7, 3, v8
	s_mov_b32 s15, exec_lo
	v_cmpx_gt_u32_e32 8, v8
; %bb.734:                              ;   in Loop: Header=BB287_15 Depth=1
	s_delay_alu instid0(VALU_DEP_3) | instskip(NEXT) | instid1(VALU_DEP_1)
	v_clz_i32_u32_e32 v6, v6
	v_min_u32_e32 v8, 32, v6
	s_delay_alu instid0(VALU_DEP_1) | instskip(NEXT) | instid1(VALU_DEP_1)
	v_subrev_nc_u32_e32 v6, 28, v8
	v_lshlrev_b64_e32 v[6:7], v6, v[24:25]
	s_delay_alu instid0(VALU_DEP_1)
	v_dual_sub_nc_u32 v7, 29, v8 :: v_dual_bitop2_b32 v6, 7, v6 bitop3:0x40
; %bb.735:                              ;   in Loop: Header=BB287_15 Depth=1
	s_or_b32 exec_lo, exec_lo, s15
	s_delay_alu instid0(VALU_DEP_1) | instskip(NEXT) | instid1(VALU_DEP_2)
	v_dual_lshlrev_b32 v0, 8, v0 :: v_dual_lshlrev_b32 v6, 23, v6
	v_lshl_add_u32 v7, v7, 10, 0x2000
	s_delay_alu instid0(VALU_DEP_1) | instskip(NEXT) | instid1(VALU_DEP_1)
	v_and_or_b32 v0, 0x8000, v0, v7
	v_lshl_or_b32 v0, v0, 16, v6
	scratch_store_b32 off, v0, s32 offset:484 ; 4-byte Folded Spill
.LBB287_736:                            ;   in Loop: Header=BB287_15 Depth=1
	s_wait_xcnt 0x0
	s_or_b32 exec_lo, exec_lo, s14
.LBB287_737:                            ;   in Loop: Header=BB287_15 Depth=1
	s_delay_alu instid0(SALU_CYCLE_1)
	s_or_b32 exec_lo, exec_lo, s11
.LBB287_738:                            ;   in Loop: Header=BB287_15 Depth=1
	s_delay_alu instid0(SALU_CYCLE_1) | instskip(SKIP_2) | instid1(VALU_DEP_1)
	s_or_b32 exec_lo, exec_lo, s8
	v_lshrrev_b32_e32 v0, 16, v4
	s_mov_b32 s8, exec_lo
	v_and_b32_e32 v6, 0xff, v0
	s_delay_alu instid0(VALU_DEP_1)
	v_cmpx_ne_u16_e32 0, v6
	s_cbranch_execz .LBB287_746
; %bb.739:                              ;   in Loop: Header=BB287_15 Depth=1
	v_cmp_ne_u16_e64 s1, 0x80, v6
	v_mov_b32_e32 v6, 0x8000
	scratch_store_b32 off, v6, s32 offset:480 ; 4-byte Folded Spill
	s_wait_xcnt 0x0
	s_and_saveexec_b32 s11, s1
	s_cbranch_execz .LBB287_745
; %bb.740:                              ;   in Loop: Header=BB287_15 Depth=1
	v_bfe_u32 v8, v4, 16, 7
	v_mov_b32_e32 v6, 0x7c01
	s_mov_b32 s14, exec_lo
	scratch_store_b32 off, v6, s32 offset:480 ; 4-byte Folded Spill
	s_wait_xcnt 0x0
	v_cmpx_ne_u32_e32 0x7f, v8
	s_cbranch_execz .LBB287_744
; %bb.741:                              ;   in Loop: Header=BB287_15 Depth=1
	v_and_b32_e32 v6, 7, v0
	v_lshrrev_b32_e32 v7, 3, v8
	s_mov_b32 s15, exec_lo
	v_cmpx_gt_u32_e32 8, v8
; %bb.742:                              ;   in Loop: Header=BB287_15 Depth=1
	s_delay_alu instid0(VALU_DEP_3) | instskip(NEXT) | instid1(VALU_DEP_1)
	v_clz_i32_u32_e32 v6, v6
	v_min_u32_e32 v8, 32, v6
	s_delay_alu instid0(VALU_DEP_1) | instskip(NEXT) | instid1(VALU_DEP_1)
	v_subrev_nc_u32_e32 v6, 28, v8
	v_lshlrev_b64_e32 v[6:7], v6, v[0:1]
	s_delay_alu instid0(VALU_DEP_1)
	v_dual_sub_nc_u32 v7, 29, v8 :: v_dual_bitop2_b32 v6, 7, v6 bitop3:0x40
; %bb.743:                              ;   in Loop: Header=BB287_15 Depth=1
	s_or_b32 exec_lo, exec_lo, s15
	s_delay_alu instid0(VALU_DEP_1) | instskip(NEXT) | instid1(VALU_DEP_2)
	v_dual_lshlrev_b32 v0, 8, v0 :: v_dual_lshlrev_b32 v6, 7, v6
	v_lshl_add_u32 v7, v7, 10, 0x2000
	s_delay_alu instid0(VALU_DEP_2) | instskip(NEXT) | instid1(VALU_DEP_2)
	v_and_b32_e32 v0, 0x8000, v0
	v_and_b32_e32 v7, 0xfc00, v7
	s_delay_alu instid0(VALU_DEP_1)
	v_or3_b32 v0, v0, v7, v6
	scratch_store_b32 off, v0, s32 offset:480 ; 4-byte Folded Spill
.LBB287_744:                            ;   in Loop: Header=BB287_15 Depth=1
	s_wait_xcnt 0x0
	s_or_b32 exec_lo, exec_lo, s14
.LBB287_745:                            ;   in Loop: Header=BB287_15 Depth=1
	s_delay_alu instid0(SALU_CYCLE_1)
	s_or_b32 exec_lo, exec_lo, s11
.LBB287_746:                            ;   in Loop: Header=BB287_15 Depth=1
	s_delay_alu instid0(SALU_CYCLE_1)
	s_or_b32 exec_lo, exec_lo, s8
	v_mov_b32_e32 v0, 0
	s_mov_b32 s8, exec_lo
	scratch_store_b32 off, v0, s32 offset:488 ; 4-byte Folded Spill
	s_wait_xcnt 0x0
	v_mov_b32_e32 v0, 0
	scratch_store_b32 off, v0, s32 offset:492 ; 4-byte Folded Spill
	s_wait_xcnt 0x0
	v_cmpx_lt_u32_e32 0xffffff, v4
	s_cbranch_execz .LBB287_754
; %bb.747:                              ;   in Loop: Header=BB287_15 Depth=1
	v_lshrrev_b32_e32 v24, 24, v4
	v_bfrev_b32_e32 v0, 1
	s_mov_b32 s11, exec_lo
	scratch_store_b32 off, v0, s32 offset:492 ; 4-byte Folded Spill
	s_wait_xcnt 0x0
	v_cmpx_ne_u32_e32 0x80, v24
	s_cbranch_execz .LBB287_753
; %bb.748:                              ;   in Loop: Header=BB287_15 Depth=1
	v_and_b32_e32 v7, 0x7f, v24
	v_mov_b32_e32 v0, 0x7c010000
	s_mov_b32 s14, exec_lo
	scratch_store_b32 off, v0, s32 offset:492 ; 4-byte Folded Spill
	s_wait_xcnt 0x0
	v_cmpx_ne_u32_e32 0x7f, v7
	s_cbranch_execz .LBB287_752
; %bb.749:                              ;   in Loop: Header=BB287_15 Depth=1
	v_dual_lshrrev_b32 v6, 3, v7 :: v_dual_bitop2_b32 v0, 7, v24 bitop3:0x40
	s_mov_b32 s15, exec_lo
	v_cmpx_gt_u32_e32 8, v7
; %bb.750:                              ;   in Loop: Header=BB287_15 Depth=1
	s_delay_alu instid0(VALU_DEP_2) | instskip(NEXT) | instid1(VALU_DEP_1)
	v_clz_i32_u32_e32 v0, v0
	v_min_u32_e32 v0, 32, v0
	s_delay_alu instid0(VALU_DEP_1) | instskip(NEXT) | instid1(VALU_DEP_1)
	v_subrev_nc_u32_e32 v6, 28, v0
	v_lshlrev_b64_e32 v[8:9], v6, v[24:25]
	v_sub_nc_u32_e32 v6, 29, v0
	s_delay_alu instid0(VALU_DEP_2)
	v_and_b32_e32 v0, 7, v8
; %bb.751:                              ;   in Loop: Header=BB287_15 Depth=1
	s_or_b32 exec_lo, exec_lo, s15
	v_lshlrev_b32_e32 v7, 8, v24
	s_delay_alu instid0(VALU_DEP_3) | instskip(NEXT) | instid1(VALU_DEP_3)
	v_lshl_add_u32 v6, v6, 10, 0x2000
	v_lshlrev_b32_e32 v0, 23, v0
	s_delay_alu instid0(VALU_DEP_2) | instskip(NEXT) | instid1(VALU_DEP_1)
	v_and_or_b32 v6, 0x8000, v7, v6
	v_lshl_or_b32 v0, v6, 16, v0
	scratch_store_b32 off, v0, s32 offset:492 ; 4-byte Folded Spill
.LBB287_752:                            ;   in Loop: Header=BB287_15 Depth=1
	s_wait_xcnt 0x0
	s_or_b32 exec_lo, exec_lo, s14
.LBB287_753:                            ;   in Loop: Header=BB287_15 Depth=1
	s_delay_alu instid0(SALU_CYCLE_1)
	s_or_b32 exec_lo, exec_lo, s11
.LBB287_754:                            ;   in Loop: Header=BB287_15 Depth=1
	s_delay_alu instid0(SALU_CYCLE_1) | instskip(SKIP_3) | instid1(VALU_DEP_2)
	s_or_b32 exec_lo, exec_lo, s8
	v_and_b32_e32 v0, 0xff, v5
	v_mov_b32_e32 v24, v5
	s_mov_b32 s8, exec_lo
	v_cmpx_ne_u16_e32 0, v0
	s_cbranch_execz .LBB287_762
; %bb.755:                              ;   in Loop: Header=BB287_15 Depth=1
	v_cmp_ne_u16_e64 s1, 0x80, v0
	v_mov_b32_e32 v0, 0x8000
	scratch_store_b32 off, v0, s32 offset:488 ; 4-byte Folded Spill
	s_wait_xcnt 0x0
	s_and_saveexec_b32 s11, s1
	s_cbranch_execz .LBB287_761
; %bb.756:                              ;   in Loop: Header=BB287_15 Depth=1
	v_and_b32_e32 v7, 0x7f, v5
	v_mov_b32_e32 v0, 0x7c01
	s_mov_b32 s14, exec_lo
	scratch_store_b32 off, v0, s32 offset:488 ; 4-byte Folded Spill
	s_wait_xcnt 0x0
	v_cmpx_ne_u32_e32 0x7f, v7
	s_cbranch_execz .LBB287_760
; %bb.757:                              ;   in Loop: Header=BB287_15 Depth=1
	v_dual_lshrrev_b32 v6, 3, v7 :: v_dual_bitop2_b32 v0, 7, v5 bitop3:0x40
	s_mov_b32 s15, exec_lo
	v_cmpx_gt_u32_e32 8, v7
; %bb.758:                              ;   in Loop: Header=BB287_15 Depth=1
	s_delay_alu instid0(VALU_DEP_2) | instskip(NEXT) | instid1(VALU_DEP_1)
	v_clz_i32_u32_e32 v0, v0
	v_min_u32_e32 v0, 32, v0
	s_delay_alu instid0(VALU_DEP_1) | instskip(NEXT) | instid1(VALU_DEP_1)
	v_subrev_nc_u32_e32 v6, 28, v0
	v_lshlrev_b64_e32 v[8:9], v6, v[24:25]
	v_sub_nc_u32_e32 v6, 29, v0
	s_delay_alu instid0(VALU_DEP_2)
	v_and_b32_e32 v0, 7, v8
; %bb.759:                              ;   in Loop: Header=BB287_15 Depth=1
	s_or_b32 exec_lo, exec_lo, s15
	s_delay_alu instid0(VALU_DEP_1) | instskip(NEXT) | instid1(VALU_DEP_3)
	v_dual_lshlrev_b32 v7, 8, v5 :: v_dual_lshlrev_b32 v0, 7, v0
	v_lshl_add_u32 v6, v6, 10, 0x2000
	s_delay_alu instid0(VALU_DEP_2) | instskip(NEXT) | instid1(VALU_DEP_2)
	v_and_b32_e32 v7, 0x8000, v7
	v_and_b32_e32 v6, 0xfc00, v6
	s_delay_alu instid0(VALU_DEP_1)
	v_or3_b32 v0, v7, v6, v0
	scratch_store_b32 off, v0, s32 offset:488 ; 4-byte Folded Spill
.LBB287_760:                            ;   in Loop: Header=BB287_15 Depth=1
	s_wait_xcnt 0x0
	s_or_b32 exec_lo, exec_lo, s14
.LBB287_761:                            ;   in Loop: Header=BB287_15 Depth=1
	s_delay_alu instid0(SALU_CYCLE_1)
	s_or_b32 exec_lo, exec_lo, s11
.LBB287_762:                            ;   in Loop: Header=BB287_15 Depth=1
	s_delay_alu instid0(SALU_CYCLE_1)
	s_or_b32 exec_lo, exec_lo, s8
	v_mov_b32_e32 v0, 0
	v_lshrrev_b16 v24, 8, v24
	s_mov_b32 s8, exec_lo
	scratch_store_b32 off, v0, s32 offset:496 ; 4-byte Folded Spill
	s_wait_xcnt 0x0
	v_mov_b32_e32 v0, 0
	scratch_store_b32 off, v0, s32 offset:500 ; 4-byte Folded Spill
	s_wait_xcnt 0x0
	v_cmpx_ne_u16_e32 0, v24
	s_cbranch_execz .LBB287_770
; %bb.763:                              ;   in Loop: Header=BB287_15 Depth=1
	v_bfrev_b32_e32 v0, 1
	s_mov_b32 s11, exec_lo
	scratch_store_b32 off, v0, s32 offset:500 ; 4-byte Folded Spill
	s_wait_xcnt 0x0
	v_cmpx_ne_u16_e32 0x80, v24
	s_cbranch_execz .LBB287_769
; %bb.764:                              ;   in Loop: Header=BB287_15 Depth=1
	v_and_b32_e32 v0, 0xffff, v24
	v_mov_b32_e32 v6, 0x7c010000
	s_mov_b32 s14, exec_lo
	s_delay_alu instid0(VALU_DEP_2)
	v_and_b32_e32 v8, 0x7f, v0
	scratch_store_b32 off, v6, s32 offset:500 ; 4-byte Folded Spill
	s_wait_xcnt 0x0
	v_cmpx_ne_u32_e32 0x7f, v8
	s_cbranch_execz .LBB287_768
; %bb.765:                              ;   in Loop: Header=BB287_15 Depth=1
	v_and_b32_e32 v6, 7, v0
	v_lshrrev_b32_e32 v7, 3, v8
	s_mov_b32 s15, exec_lo
	v_cmpx_gt_u32_e32 8, v8
; %bb.766:                              ;   in Loop: Header=BB287_15 Depth=1
	s_delay_alu instid0(VALU_DEP_3) | instskip(NEXT) | instid1(VALU_DEP_1)
	v_clz_i32_u32_e32 v6, v6
	v_min_u32_e32 v8, 32, v6
	s_delay_alu instid0(VALU_DEP_1) | instskip(NEXT) | instid1(VALU_DEP_1)
	v_subrev_nc_u32_e32 v6, 28, v8
	v_lshlrev_b64_e32 v[6:7], v6, v[24:25]
	s_delay_alu instid0(VALU_DEP_1)
	v_dual_sub_nc_u32 v7, 29, v8 :: v_dual_bitop2_b32 v6, 7, v6 bitop3:0x40
; %bb.767:                              ;   in Loop: Header=BB287_15 Depth=1
	s_or_b32 exec_lo, exec_lo, s15
	s_delay_alu instid0(VALU_DEP_1) | instskip(NEXT) | instid1(VALU_DEP_2)
	v_dual_lshlrev_b32 v0, 8, v0 :: v_dual_lshlrev_b32 v6, 23, v6
	v_lshl_add_u32 v7, v7, 10, 0x2000
	s_delay_alu instid0(VALU_DEP_1) | instskip(NEXT) | instid1(VALU_DEP_1)
	v_and_or_b32 v0, 0x8000, v0, v7
	v_lshl_or_b32 v0, v0, 16, v6
	scratch_store_b32 off, v0, s32 offset:500 ; 4-byte Folded Spill
.LBB287_768:                            ;   in Loop: Header=BB287_15 Depth=1
	s_wait_xcnt 0x0
	s_or_b32 exec_lo, exec_lo, s14
.LBB287_769:                            ;   in Loop: Header=BB287_15 Depth=1
	s_delay_alu instid0(SALU_CYCLE_1)
	s_or_b32 exec_lo, exec_lo, s11
.LBB287_770:                            ;   in Loop: Header=BB287_15 Depth=1
	s_delay_alu instid0(SALU_CYCLE_1) | instskip(SKIP_2) | instid1(VALU_DEP_1)
	s_or_b32 exec_lo, exec_lo, s8
	v_lshrrev_b32_e32 v0, 16, v5
	s_mov_b32 s8, exec_lo
	v_and_b32_e32 v6, 0xff, v0
	s_delay_alu instid0(VALU_DEP_1)
	v_cmpx_ne_u16_e32 0, v6
	s_cbranch_execz .LBB287_778
; %bb.771:                              ;   in Loop: Header=BB287_15 Depth=1
	v_cmp_ne_u16_e64 s1, 0x80, v6
	v_mov_b32_e32 v6, 0x8000
	scratch_store_b32 off, v6, s32 offset:496 ; 4-byte Folded Spill
	s_wait_xcnt 0x0
	s_and_saveexec_b32 s11, s1
	s_cbranch_execz .LBB287_777
; %bb.772:                              ;   in Loop: Header=BB287_15 Depth=1
	v_bfe_u32 v8, v5, 16, 7
	v_mov_b32_e32 v6, 0x7c01
	s_mov_b32 s14, exec_lo
	scratch_store_b32 off, v6, s32 offset:496 ; 4-byte Folded Spill
	s_wait_xcnt 0x0
	v_cmpx_ne_u32_e32 0x7f, v8
	s_cbranch_execz .LBB287_776
; %bb.773:                              ;   in Loop: Header=BB287_15 Depth=1
	v_and_b32_e32 v6, 7, v0
	v_lshrrev_b32_e32 v7, 3, v8
	s_mov_b32 s15, exec_lo
	v_cmpx_gt_u32_e32 8, v8
; %bb.774:                              ;   in Loop: Header=BB287_15 Depth=1
	s_delay_alu instid0(VALU_DEP_3) | instskip(NEXT) | instid1(VALU_DEP_1)
	v_clz_i32_u32_e32 v6, v6
	v_min_u32_e32 v8, 32, v6
	s_delay_alu instid0(VALU_DEP_1) | instskip(NEXT) | instid1(VALU_DEP_1)
	v_subrev_nc_u32_e32 v6, 28, v8
	v_lshlrev_b64_e32 v[6:7], v6, v[0:1]
	s_delay_alu instid0(VALU_DEP_1)
	v_dual_sub_nc_u32 v7, 29, v8 :: v_dual_bitop2_b32 v6, 7, v6 bitop3:0x40
; %bb.775:                              ;   in Loop: Header=BB287_15 Depth=1
	s_or_b32 exec_lo, exec_lo, s15
	s_delay_alu instid0(VALU_DEP_1) | instskip(NEXT) | instid1(VALU_DEP_2)
	v_dual_lshlrev_b32 v0, 8, v0 :: v_dual_lshlrev_b32 v6, 7, v6
	v_lshl_add_u32 v7, v7, 10, 0x2000
	s_delay_alu instid0(VALU_DEP_2) | instskip(NEXT) | instid1(VALU_DEP_2)
	v_and_b32_e32 v0, 0x8000, v0
	v_and_b32_e32 v7, 0xfc00, v7
	s_delay_alu instid0(VALU_DEP_1)
	v_or3_b32 v0, v0, v7, v6
	scratch_store_b32 off, v0, s32 offset:496 ; 4-byte Folded Spill
.LBB287_776:                            ;   in Loop: Header=BB287_15 Depth=1
	s_wait_xcnt 0x0
	s_or_b32 exec_lo, exec_lo, s14
.LBB287_777:                            ;   in Loop: Header=BB287_15 Depth=1
	s_delay_alu instid0(SALU_CYCLE_1)
	s_or_b32 exec_lo, exec_lo, s11
.LBB287_778:                            ;   in Loop: Header=BB287_15 Depth=1
	s_delay_alu instid0(SALU_CYCLE_1)
	s_or_b32 exec_lo, exec_lo, s8
	v_mov_b32_e32 v0, 0
	s_mov_b32 s8, exec_lo
	scratch_store_b32 off, v0, s32 offset:504 ; 4-byte Folded Spill
	s_wait_xcnt 0x0
	v_mov_b32_e32 v0, 0
	scratch_store_b32 off, v0, s32 offset:508 ; 4-byte Folded Spill
	s_wait_xcnt 0x0
	v_cmpx_lt_u64_e64 s[4:5], v[4:5]
	s_cbranch_execz .LBB287_786
; %bb.779:                              ;   in Loop: Header=BB287_15 Depth=1
	v_lshrrev_b32_e32 v24, 24, v5
	v_bfrev_b32_e32 v0, 1
	s_mov_b32 s11, exec_lo
	scratch_store_b32 off, v0, s32 offset:508 ; 4-byte Folded Spill
	s_wait_xcnt 0x0
	v_cmpx_ne_u32_e32 0x80, v24
	s_cbranch_execz .LBB287_785
; %bb.780:                              ;   in Loop: Header=BB287_15 Depth=1
	v_and_b32_e32 v5, 0x7f, v24
	v_mov_b32_e32 v0, 0x7c010000
	s_mov_b32 s14, exec_lo
	scratch_store_b32 off, v0, s32 offset:508 ; 4-byte Folded Spill
	s_wait_xcnt 0x0
	v_cmpx_ne_u32_e32 0x7f, v5
	s_cbranch_execz .LBB287_784
; %bb.781:                              ;   in Loop: Header=BB287_15 Depth=1
	v_dual_lshrrev_b32 v4, 3, v5 :: v_dual_bitop2_b32 v0, 7, v24 bitop3:0x40
	s_mov_b32 s15, exec_lo
	v_cmpx_gt_u32_e32 8, v5
; %bb.782:                              ;   in Loop: Header=BB287_15 Depth=1
	s_delay_alu instid0(VALU_DEP_2) | instskip(NEXT) | instid1(VALU_DEP_1)
	v_clz_i32_u32_e32 v0, v0
	v_min_u32_e32 v0, 32, v0
	s_delay_alu instid0(VALU_DEP_1) | instskip(NEXT) | instid1(VALU_DEP_1)
	v_subrev_nc_u32_e32 v4, 28, v0
	v_lshlrev_b64_e32 v[6:7], v4, v[24:25]
	s_delay_alu instid0(VALU_DEP_1)
	v_dual_sub_nc_u32 v4, 29, v0 :: v_dual_bitop2_b32 v0, 7, v6 bitop3:0x40
; %bb.783:                              ;   in Loop: Header=BB287_15 Depth=1
	s_or_b32 exec_lo, exec_lo, s15
	v_lshlrev_b32_e32 v5, 8, v24
	s_delay_alu instid0(VALU_DEP_2) | instskip(NEXT) | instid1(VALU_DEP_3)
	v_lshl_add_u32 v4, v4, 10, 0x2000
	v_lshlrev_b32_e32 v0, 23, v0
	s_delay_alu instid0(VALU_DEP_2) | instskip(NEXT) | instid1(VALU_DEP_1)
	v_and_or_b32 v4, 0x8000, v5, v4
	v_lshl_or_b32 v0, v4, 16, v0
	scratch_store_b32 off, v0, s32 offset:508 ; 4-byte Folded Spill
.LBB287_784:                            ;   in Loop: Header=BB287_15 Depth=1
	s_wait_xcnt 0x0
	s_or_b32 exec_lo, exec_lo, s14
.LBB287_785:                            ;   in Loop: Header=BB287_15 Depth=1
	s_delay_alu instid0(SALU_CYCLE_1)
	s_or_b32 exec_lo, exec_lo, s11
.LBB287_786:                            ;   in Loop: Header=BB287_15 Depth=1
	s_delay_alu instid0(SALU_CYCLE_1)
	s_or_b32 exec_lo, exec_lo, s8
	flat_load_b64 v[4:5], v[2:3] offset:3072
	s_mov_b32 s8, exec_lo
	s_wait_loadcnt_dscnt 0x0
	v_and_b32_e32 v0, 0xff, v4
	s_wait_xcnt 0x0
	s_delay_alu instid0(VALU_DEP_1)
	v_cmpx_ne_u16_e32 0, v0
	s_cbranch_execz .LBB287_794
; %bb.787:                              ;   in Loop: Header=BB287_15 Depth=1
	v_cmp_ne_u16_e64 s1, 0x80, v0
	v_mov_b32_e32 v0, 0x8000
	scratch_store_b32 off, v0, s32 offset:504 ; 4-byte Folded Spill
	s_wait_xcnt 0x0
	s_and_saveexec_b32 s11, s1
	s_cbranch_execz .LBB287_793
; %bb.788:                              ;   in Loop: Header=BB287_15 Depth=1
	v_and_b32_e32 v7, 0x7f, v4
	v_mov_b32_e32 v0, 0x7c01
	s_mov_b32 s14, exec_lo
	scratch_store_b32 off, v0, s32 offset:504 ; 4-byte Folded Spill
	s_wait_xcnt 0x0
	v_cmpx_ne_u32_e32 0x7f, v7
	s_cbranch_execz .LBB287_792
; %bb.789:                              ;   in Loop: Header=BB287_15 Depth=1
	v_dual_lshrrev_b32 v6, 3, v7 :: v_dual_bitop2_b32 v0, 7, v4 bitop3:0x40
	s_mov_b32 s15, exec_lo
	v_cmpx_gt_u32_e32 8, v7
; %bb.790:                              ;   in Loop: Header=BB287_15 Depth=1
	s_delay_alu instid0(VALU_DEP_2) | instskip(NEXT) | instid1(VALU_DEP_1)
	v_clz_i32_u32_e32 v0, v0
	v_min_u32_e32 v0, 32, v0
	s_delay_alu instid0(VALU_DEP_1) | instskip(NEXT) | instid1(VALU_DEP_1)
	v_subrev_nc_u32_e32 v6, 28, v0
	v_lshlrev_b64_e32 v[8:9], v6, v[4:5]
	v_sub_nc_u32_e32 v6, 29, v0
	s_delay_alu instid0(VALU_DEP_2)
	v_and_b32_e32 v0, 7, v8
; %bb.791:                              ;   in Loop: Header=BB287_15 Depth=1
	s_or_b32 exec_lo, exec_lo, s15
	v_lshlrev_b32_e32 v7, 8, v4
	s_delay_alu instid0(VALU_DEP_3) | instskip(NEXT) | instid1(VALU_DEP_3)
	v_lshl_add_u32 v6, v6, 10, 0x2000
	v_lshlrev_b32_e32 v0, 7, v0
	s_delay_alu instid0(VALU_DEP_3) | instskip(NEXT) | instid1(VALU_DEP_3)
	v_and_b32_e32 v7, 0x8000, v7
	v_and_b32_e32 v6, 0xfc00, v6
	s_delay_alu instid0(VALU_DEP_1)
	v_or3_b32 v0, v7, v6, v0
	scratch_store_b32 off, v0, s32 offset:504 ; 4-byte Folded Spill
.LBB287_792:                            ;   in Loop: Header=BB287_15 Depth=1
	s_wait_xcnt 0x0
	s_or_b32 exec_lo, exec_lo, s14
.LBB287_793:                            ;   in Loop: Header=BB287_15 Depth=1
	s_delay_alu instid0(SALU_CYCLE_1)
	s_or_b32 exec_lo, exec_lo, s11
.LBB287_794:                            ;   in Loop: Header=BB287_15 Depth=1
	s_delay_alu instid0(SALU_CYCLE_1)
	s_or_b32 exec_lo, exec_lo, s8
	v_mov_b32_e32 v0, 0
	v_lshrrev_b16 v24, 8, v4
	s_mov_b32 s8, exec_lo
	scratch_store_b32 off, v0, s32 offset:512 ; 4-byte Folded Spill
	s_wait_xcnt 0x0
	v_mov_b32_e32 v0, 0
	scratch_store_b32 off, v0, s32 offset:516 ; 4-byte Folded Spill
	s_wait_xcnt 0x0
	v_cmpx_ne_u16_e32 0, v24
	s_cbranch_execz .LBB287_802
; %bb.795:                              ;   in Loop: Header=BB287_15 Depth=1
	v_bfrev_b32_e32 v0, 1
	s_mov_b32 s11, exec_lo
	scratch_store_b32 off, v0, s32 offset:516 ; 4-byte Folded Spill
	s_wait_xcnt 0x0
	v_cmpx_ne_u16_e32 0x80, v24
	s_cbranch_execz .LBB287_801
; %bb.796:                              ;   in Loop: Header=BB287_15 Depth=1
	v_and_b32_e32 v0, 0xffff, v24
	v_mov_b32_e32 v6, 0x7c010000
	s_mov_b32 s14, exec_lo
	s_delay_alu instid0(VALU_DEP_2)
	v_and_b32_e32 v8, 0x7f, v0
	scratch_store_b32 off, v6, s32 offset:516 ; 4-byte Folded Spill
	s_wait_xcnt 0x0
	v_cmpx_ne_u32_e32 0x7f, v8
	s_cbranch_execz .LBB287_800
; %bb.797:                              ;   in Loop: Header=BB287_15 Depth=1
	v_and_b32_e32 v6, 7, v0
	v_lshrrev_b32_e32 v7, 3, v8
	s_mov_b32 s15, exec_lo
	v_cmpx_gt_u32_e32 8, v8
; %bb.798:                              ;   in Loop: Header=BB287_15 Depth=1
	s_delay_alu instid0(VALU_DEP_3) | instskip(NEXT) | instid1(VALU_DEP_1)
	v_clz_i32_u32_e32 v6, v6
	v_min_u32_e32 v8, 32, v6
	s_delay_alu instid0(VALU_DEP_1) | instskip(NEXT) | instid1(VALU_DEP_1)
	v_subrev_nc_u32_e32 v6, 28, v8
	v_lshlrev_b64_e32 v[6:7], v6, v[24:25]
	s_delay_alu instid0(VALU_DEP_1)
	v_dual_sub_nc_u32 v7, 29, v8 :: v_dual_bitop2_b32 v6, 7, v6 bitop3:0x40
; %bb.799:                              ;   in Loop: Header=BB287_15 Depth=1
	s_or_b32 exec_lo, exec_lo, s15
	s_delay_alu instid0(VALU_DEP_1) | instskip(NEXT) | instid1(VALU_DEP_2)
	v_dual_lshlrev_b32 v0, 8, v0 :: v_dual_lshlrev_b32 v6, 23, v6
	v_lshl_add_u32 v7, v7, 10, 0x2000
	s_delay_alu instid0(VALU_DEP_1) | instskip(NEXT) | instid1(VALU_DEP_1)
	v_and_or_b32 v0, 0x8000, v0, v7
	v_lshl_or_b32 v0, v0, 16, v6
	scratch_store_b32 off, v0, s32 offset:516 ; 4-byte Folded Spill
.LBB287_800:                            ;   in Loop: Header=BB287_15 Depth=1
	s_wait_xcnt 0x0
	s_or_b32 exec_lo, exec_lo, s14
.LBB287_801:                            ;   in Loop: Header=BB287_15 Depth=1
	s_delay_alu instid0(SALU_CYCLE_1)
	s_or_b32 exec_lo, exec_lo, s11
.LBB287_802:                            ;   in Loop: Header=BB287_15 Depth=1
	s_delay_alu instid0(SALU_CYCLE_1) | instskip(SKIP_2) | instid1(VALU_DEP_1)
	s_or_b32 exec_lo, exec_lo, s8
	v_lshrrev_b32_e32 v0, 16, v4
	s_mov_b32 s8, exec_lo
	v_and_b32_e32 v6, 0xff, v0
	s_delay_alu instid0(VALU_DEP_1)
	v_cmpx_ne_u16_e32 0, v6
	s_cbranch_execz .LBB287_810
; %bb.803:                              ;   in Loop: Header=BB287_15 Depth=1
	v_cmp_ne_u16_e64 s1, 0x80, v6
	v_mov_b32_e32 v6, 0x8000
	scratch_store_b32 off, v6, s32 offset:512 ; 4-byte Folded Spill
	s_wait_xcnt 0x0
	s_and_saveexec_b32 s11, s1
	s_cbranch_execz .LBB287_809
; %bb.804:                              ;   in Loop: Header=BB287_15 Depth=1
	v_bfe_u32 v8, v4, 16, 7
	v_mov_b32_e32 v6, 0x7c01
	s_mov_b32 s14, exec_lo
	scratch_store_b32 off, v6, s32 offset:512 ; 4-byte Folded Spill
	s_wait_xcnt 0x0
	v_cmpx_ne_u32_e32 0x7f, v8
	s_cbranch_execz .LBB287_808
; %bb.805:                              ;   in Loop: Header=BB287_15 Depth=1
	v_and_b32_e32 v6, 7, v0
	v_lshrrev_b32_e32 v7, 3, v8
	s_mov_b32 s15, exec_lo
	v_cmpx_gt_u32_e32 8, v8
; %bb.806:                              ;   in Loop: Header=BB287_15 Depth=1
	s_delay_alu instid0(VALU_DEP_3) | instskip(NEXT) | instid1(VALU_DEP_1)
	v_clz_i32_u32_e32 v6, v6
	v_min_u32_e32 v8, 32, v6
	s_delay_alu instid0(VALU_DEP_1) | instskip(NEXT) | instid1(VALU_DEP_1)
	v_subrev_nc_u32_e32 v6, 28, v8
	v_lshlrev_b64_e32 v[6:7], v6, v[0:1]
	s_delay_alu instid0(VALU_DEP_1)
	v_dual_sub_nc_u32 v7, 29, v8 :: v_dual_bitop2_b32 v6, 7, v6 bitop3:0x40
; %bb.807:                              ;   in Loop: Header=BB287_15 Depth=1
	s_or_b32 exec_lo, exec_lo, s15
	s_delay_alu instid0(VALU_DEP_1) | instskip(NEXT) | instid1(VALU_DEP_2)
	v_dual_lshlrev_b32 v0, 8, v0 :: v_dual_lshlrev_b32 v6, 7, v6
	v_lshl_add_u32 v7, v7, 10, 0x2000
	s_delay_alu instid0(VALU_DEP_2) | instskip(NEXT) | instid1(VALU_DEP_2)
	v_and_b32_e32 v0, 0x8000, v0
	v_and_b32_e32 v7, 0xfc00, v7
	s_delay_alu instid0(VALU_DEP_1)
	v_or3_b32 v0, v0, v7, v6
	scratch_store_b32 off, v0, s32 offset:512 ; 4-byte Folded Spill
.LBB287_808:                            ;   in Loop: Header=BB287_15 Depth=1
	s_wait_xcnt 0x0
	s_or_b32 exec_lo, exec_lo, s14
.LBB287_809:                            ;   in Loop: Header=BB287_15 Depth=1
	s_delay_alu instid0(SALU_CYCLE_1)
	s_or_b32 exec_lo, exec_lo, s11
.LBB287_810:                            ;   in Loop: Header=BB287_15 Depth=1
	s_delay_alu instid0(SALU_CYCLE_1)
	s_or_b32 exec_lo, exec_lo, s8
	v_mov_b32_e32 v0, 0
	s_mov_b32 s8, exec_lo
	scratch_store_b32 off, v0, s32 offset:520 ; 4-byte Folded Spill
	s_wait_xcnt 0x0
	v_mov_b32_e32 v0, 0
	scratch_store_b32 off, v0, s32 offset:524 ; 4-byte Folded Spill
	s_wait_xcnt 0x0
	v_cmpx_lt_u32_e32 0xffffff, v4
	s_cbranch_execz .LBB287_818
; %bb.811:                              ;   in Loop: Header=BB287_15 Depth=1
	v_lshrrev_b32_e32 v24, 24, v4
	v_bfrev_b32_e32 v0, 1
	s_mov_b32 s11, exec_lo
	scratch_store_b32 off, v0, s32 offset:524 ; 4-byte Folded Spill
	s_wait_xcnt 0x0
	v_cmpx_ne_u32_e32 0x80, v24
	s_cbranch_execz .LBB287_817
; %bb.812:                              ;   in Loop: Header=BB287_15 Depth=1
	v_and_b32_e32 v7, 0x7f, v24
	v_mov_b32_e32 v0, 0x7c010000
	s_mov_b32 s14, exec_lo
	scratch_store_b32 off, v0, s32 offset:524 ; 4-byte Folded Spill
	s_wait_xcnt 0x0
	v_cmpx_ne_u32_e32 0x7f, v7
	s_cbranch_execz .LBB287_816
; %bb.813:                              ;   in Loop: Header=BB287_15 Depth=1
	v_dual_lshrrev_b32 v6, 3, v7 :: v_dual_bitop2_b32 v0, 7, v24 bitop3:0x40
	s_mov_b32 s15, exec_lo
	v_cmpx_gt_u32_e32 8, v7
; %bb.814:                              ;   in Loop: Header=BB287_15 Depth=1
	s_delay_alu instid0(VALU_DEP_2) | instskip(NEXT) | instid1(VALU_DEP_1)
	v_clz_i32_u32_e32 v0, v0
	v_min_u32_e32 v0, 32, v0
	s_delay_alu instid0(VALU_DEP_1) | instskip(NEXT) | instid1(VALU_DEP_1)
	v_subrev_nc_u32_e32 v6, 28, v0
	v_lshlrev_b64_e32 v[8:9], v6, v[24:25]
	v_sub_nc_u32_e32 v6, 29, v0
	s_delay_alu instid0(VALU_DEP_2)
	v_and_b32_e32 v0, 7, v8
; %bb.815:                              ;   in Loop: Header=BB287_15 Depth=1
	s_or_b32 exec_lo, exec_lo, s15
	v_lshlrev_b32_e32 v7, 8, v24
	s_delay_alu instid0(VALU_DEP_3) | instskip(NEXT) | instid1(VALU_DEP_3)
	v_lshl_add_u32 v6, v6, 10, 0x2000
	v_lshlrev_b32_e32 v0, 23, v0
	s_delay_alu instid0(VALU_DEP_2) | instskip(NEXT) | instid1(VALU_DEP_1)
	v_and_or_b32 v6, 0x8000, v7, v6
	v_lshl_or_b32 v0, v6, 16, v0
	scratch_store_b32 off, v0, s32 offset:524 ; 4-byte Folded Spill
.LBB287_816:                            ;   in Loop: Header=BB287_15 Depth=1
	s_wait_xcnt 0x0
	s_or_b32 exec_lo, exec_lo, s14
.LBB287_817:                            ;   in Loop: Header=BB287_15 Depth=1
	s_delay_alu instid0(SALU_CYCLE_1)
	s_or_b32 exec_lo, exec_lo, s11
.LBB287_818:                            ;   in Loop: Header=BB287_15 Depth=1
	s_delay_alu instid0(SALU_CYCLE_1) | instskip(SKIP_3) | instid1(VALU_DEP_2)
	s_or_b32 exec_lo, exec_lo, s8
	v_and_b32_e32 v0, 0xff, v5
	v_mov_b32_e32 v24, v5
	s_mov_b32 s8, exec_lo
	v_cmpx_ne_u16_e32 0, v0
	s_cbranch_execz .LBB287_826
; %bb.819:                              ;   in Loop: Header=BB287_15 Depth=1
	v_cmp_ne_u16_e64 s1, 0x80, v0
	v_mov_b32_e32 v0, 0x8000
	scratch_store_b32 off, v0, s32 offset:520 ; 4-byte Folded Spill
	s_wait_xcnt 0x0
	s_and_saveexec_b32 s11, s1
	s_cbranch_execz .LBB287_825
; %bb.820:                              ;   in Loop: Header=BB287_15 Depth=1
	v_and_b32_e32 v7, 0x7f, v5
	v_mov_b32_e32 v0, 0x7c01
	s_mov_b32 s14, exec_lo
	scratch_store_b32 off, v0, s32 offset:520 ; 4-byte Folded Spill
	s_wait_xcnt 0x0
	v_cmpx_ne_u32_e32 0x7f, v7
	s_cbranch_execz .LBB287_824
; %bb.821:                              ;   in Loop: Header=BB287_15 Depth=1
	v_dual_lshrrev_b32 v6, 3, v7 :: v_dual_bitop2_b32 v0, 7, v5 bitop3:0x40
	s_mov_b32 s15, exec_lo
	v_cmpx_gt_u32_e32 8, v7
; %bb.822:                              ;   in Loop: Header=BB287_15 Depth=1
	s_delay_alu instid0(VALU_DEP_2) | instskip(NEXT) | instid1(VALU_DEP_1)
	v_clz_i32_u32_e32 v0, v0
	v_min_u32_e32 v0, 32, v0
	s_delay_alu instid0(VALU_DEP_1) | instskip(NEXT) | instid1(VALU_DEP_1)
	v_subrev_nc_u32_e32 v6, 28, v0
	v_lshlrev_b64_e32 v[8:9], v6, v[24:25]
	v_sub_nc_u32_e32 v6, 29, v0
	s_delay_alu instid0(VALU_DEP_2)
	v_and_b32_e32 v0, 7, v8
; %bb.823:                              ;   in Loop: Header=BB287_15 Depth=1
	s_or_b32 exec_lo, exec_lo, s15
	s_delay_alu instid0(VALU_DEP_1) | instskip(NEXT) | instid1(VALU_DEP_3)
	v_dual_lshlrev_b32 v7, 8, v5 :: v_dual_lshlrev_b32 v0, 7, v0
	v_lshl_add_u32 v6, v6, 10, 0x2000
	s_delay_alu instid0(VALU_DEP_2) | instskip(NEXT) | instid1(VALU_DEP_2)
	v_and_b32_e32 v7, 0x8000, v7
	v_and_b32_e32 v6, 0xfc00, v6
	s_delay_alu instid0(VALU_DEP_1)
	v_or3_b32 v0, v7, v6, v0
	scratch_store_b32 off, v0, s32 offset:520 ; 4-byte Folded Spill
.LBB287_824:                            ;   in Loop: Header=BB287_15 Depth=1
	s_wait_xcnt 0x0
	s_or_b32 exec_lo, exec_lo, s14
.LBB287_825:                            ;   in Loop: Header=BB287_15 Depth=1
	s_delay_alu instid0(SALU_CYCLE_1)
	s_or_b32 exec_lo, exec_lo, s11
.LBB287_826:                            ;   in Loop: Header=BB287_15 Depth=1
	s_delay_alu instid0(SALU_CYCLE_1)
	s_or_b32 exec_lo, exec_lo, s8
	v_mov_b32_e32 v0, 0
	v_lshrrev_b16 v24, 8, v24
	s_mov_b32 s8, exec_lo
	scratch_store_b32 off, v0, s32 offset:528 ; 4-byte Folded Spill
	s_wait_xcnt 0x0
	v_mov_b32_e32 v0, 0
	scratch_store_b32 off, v0, s32 offset:532 ; 4-byte Folded Spill
	s_wait_xcnt 0x0
	v_cmpx_ne_u16_e32 0, v24
	s_cbranch_execz .LBB287_834
; %bb.827:                              ;   in Loop: Header=BB287_15 Depth=1
	v_bfrev_b32_e32 v0, 1
	s_mov_b32 s11, exec_lo
	scratch_store_b32 off, v0, s32 offset:532 ; 4-byte Folded Spill
	s_wait_xcnt 0x0
	v_cmpx_ne_u16_e32 0x80, v24
	s_cbranch_execz .LBB287_833
; %bb.828:                              ;   in Loop: Header=BB287_15 Depth=1
	v_and_b32_e32 v0, 0xffff, v24
	v_mov_b32_e32 v6, 0x7c010000
	s_mov_b32 s14, exec_lo
	s_delay_alu instid0(VALU_DEP_2)
	v_and_b32_e32 v8, 0x7f, v0
	scratch_store_b32 off, v6, s32 offset:532 ; 4-byte Folded Spill
	s_wait_xcnt 0x0
	v_cmpx_ne_u32_e32 0x7f, v8
	s_cbranch_execz .LBB287_832
; %bb.829:                              ;   in Loop: Header=BB287_15 Depth=1
	v_and_b32_e32 v6, 7, v0
	v_lshrrev_b32_e32 v7, 3, v8
	s_mov_b32 s15, exec_lo
	v_cmpx_gt_u32_e32 8, v8
; %bb.830:                              ;   in Loop: Header=BB287_15 Depth=1
	s_delay_alu instid0(VALU_DEP_3) | instskip(NEXT) | instid1(VALU_DEP_1)
	v_clz_i32_u32_e32 v6, v6
	v_min_u32_e32 v8, 32, v6
	s_delay_alu instid0(VALU_DEP_1) | instskip(NEXT) | instid1(VALU_DEP_1)
	v_subrev_nc_u32_e32 v6, 28, v8
	v_lshlrev_b64_e32 v[6:7], v6, v[24:25]
	s_delay_alu instid0(VALU_DEP_1)
	v_dual_sub_nc_u32 v7, 29, v8 :: v_dual_bitop2_b32 v6, 7, v6 bitop3:0x40
; %bb.831:                              ;   in Loop: Header=BB287_15 Depth=1
	s_or_b32 exec_lo, exec_lo, s15
	s_delay_alu instid0(VALU_DEP_1) | instskip(NEXT) | instid1(VALU_DEP_2)
	v_dual_lshlrev_b32 v0, 8, v0 :: v_dual_lshlrev_b32 v6, 23, v6
	v_lshl_add_u32 v7, v7, 10, 0x2000
	s_delay_alu instid0(VALU_DEP_1) | instskip(NEXT) | instid1(VALU_DEP_1)
	v_and_or_b32 v0, 0x8000, v0, v7
	v_lshl_or_b32 v0, v0, 16, v6
	scratch_store_b32 off, v0, s32 offset:532 ; 4-byte Folded Spill
.LBB287_832:                            ;   in Loop: Header=BB287_15 Depth=1
	s_wait_xcnt 0x0
	s_or_b32 exec_lo, exec_lo, s14
.LBB287_833:                            ;   in Loop: Header=BB287_15 Depth=1
	s_delay_alu instid0(SALU_CYCLE_1)
	s_or_b32 exec_lo, exec_lo, s11
.LBB287_834:                            ;   in Loop: Header=BB287_15 Depth=1
	s_delay_alu instid0(SALU_CYCLE_1) | instskip(SKIP_2) | instid1(VALU_DEP_1)
	s_or_b32 exec_lo, exec_lo, s8
	v_lshrrev_b32_e32 v0, 16, v5
	s_mov_b32 s8, exec_lo
	v_and_b32_e32 v6, 0xff, v0
	s_delay_alu instid0(VALU_DEP_1)
	v_cmpx_ne_u16_e32 0, v6
	s_cbranch_execz .LBB287_842
; %bb.835:                              ;   in Loop: Header=BB287_15 Depth=1
	v_cmp_ne_u16_e64 s1, 0x80, v6
	v_mov_b32_e32 v6, 0x8000
	scratch_store_b32 off, v6, s32 offset:528 ; 4-byte Folded Spill
	s_wait_xcnt 0x0
	s_and_saveexec_b32 s11, s1
	s_cbranch_execz .LBB287_841
; %bb.836:                              ;   in Loop: Header=BB287_15 Depth=1
	v_bfe_u32 v8, v5, 16, 7
	v_mov_b32_e32 v6, 0x7c01
	s_mov_b32 s14, exec_lo
	scratch_store_b32 off, v6, s32 offset:528 ; 4-byte Folded Spill
	s_wait_xcnt 0x0
	v_cmpx_ne_u32_e32 0x7f, v8
	s_cbranch_execz .LBB287_840
; %bb.837:                              ;   in Loop: Header=BB287_15 Depth=1
	v_and_b32_e32 v6, 7, v0
	v_lshrrev_b32_e32 v7, 3, v8
	s_mov_b32 s15, exec_lo
	v_cmpx_gt_u32_e32 8, v8
; %bb.838:                              ;   in Loop: Header=BB287_15 Depth=1
	s_delay_alu instid0(VALU_DEP_3) | instskip(NEXT) | instid1(VALU_DEP_1)
	v_clz_i32_u32_e32 v6, v6
	v_min_u32_e32 v8, 32, v6
	s_delay_alu instid0(VALU_DEP_1) | instskip(NEXT) | instid1(VALU_DEP_1)
	v_subrev_nc_u32_e32 v6, 28, v8
	v_lshlrev_b64_e32 v[6:7], v6, v[0:1]
	s_delay_alu instid0(VALU_DEP_1)
	v_dual_sub_nc_u32 v7, 29, v8 :: v_dual_bitop2_b32 v6, 7, v6 bitop3:0x40
; %bb.839:                              ;   in Loop: Header=BB287_15 Depth=1
	s_or_b32 exec_lo, exec_lo, s15
	s_delay_alu instid0(VALU_DEP_1) | instskip(NEXT) | instid1(VALU_DEP_2)
	v_dual_lshlrev_b32 v0, 8, v0 :: v_dual_lshlrev_b32 v6, 7, v6
	v_lshl_add_u32 v7, v7, 10, 0x2000
	s_delay_alu instid0(VALU_DEP_2) | instskip(NEXT) | instid1(VALU_DEP_2)
	v_and_b32_e32 v0, 0x8000, v0
	v_and_b32_e32 v7, 0xfc00, v7
	s_delay_alu instid0(VALU_DEP_1)
	v_or3_b32 v0, v0, v7, v6
	scratch_store_b32 off, v0, s32 offset:528 ; 4-byte Folded Spill
.LBB287_840:                            ;   in Loop: Header=BB287_15 Depth=1
	s_wait_xcnt 0x0
	s_or_b32 exec_lo, exec_lo, s14
.LBB287_841:                            ;   in Loop: Header=BB287_15 Depth=1
	s_delay_alu instid0(SALU_CYCLE_1)
	s_or_b32 exec_lo, exec_lo, s11
.LBB287_842:                            ;   in Loop: Header=BB287_15 Depth=1
	s_delay_alu instid0(SALU_CYCLE_1)
	s_or_b32 exec_lo, exec_lo, s8
	v_mov_b32_e32 v0, 0
	s_mov_b32 s8, exec_lo
	scratch_store_b32 off, v0, s32 offset:536 ; 4-byte Folded Spill
	s_wait_xcnt 0x0
	v_mov_b32_e32 v0, 0
	scratch_store_b32 off, v0, s32 offset:540 ; 4-byte Folded Spill
	s_wait_xcnt 0x0
	v_cmpx_lt_u64_e64 s[4:5], v[4:5]
	s_cbranch_execz .LBB287_850
; %bb.843:                              ;   in Loop: Header=BB287_15 Depth=1
	v_lshrrev_b32_e32 v24, 24, v5
	v_bfrev_b32_e32 v0, 1
	s_mov_b32 s11, exec_lo
	scratch_store_b32 off, v0, s32 offset:540 ; 4-byte Folded Spill
	s_wait_xcnt 0x0
	v_cmpx_ne_u32_e32 0x80, v24
	s_cbranch_execz .LBB287_849
; %bb.844:                              ;   in Loop: Header=BB287_15 Depth=1
	v_and_b32_e32 v5, 0x7f, v24
	v_mov_b32_e32 v0, 0x7c010000
	s_mov_b32 s14, exec_lo
	scratch_store_b32 off, v0, s32 offset:540 ; 4-byte Folded Spill
	s_wait_xcnt 0x0
	v_cmpx_ne_u32_e32 0x7f, v5
	s_cbranch_execz .LBB287_848
; %bb.845:                              ;   in Loop: Header=BB287_15 Depth=1
	v_dual_lshrrev_b32 v4, 3, v5 :: v_dual_bitop2_b32 v0, 7, v24 bitop3:0x40
	s_mov_b32 s15, exec_lo
	v_cmpx_gt_u32_e32 8, v5
; %bb.846:                              ;   in Loop: Header=BB287_15 Depth=1
	s_delay_alu instid0(VALU_DEP_2) | instskip(NEXT) | instid1(VALU_DEP_1)
	v_clz_i32_u32_e32 v0, v0
	v_min_u32_e32 v0, 32, v0
	s_delay_alu instid0(VALU_DEP_1) | instskip(NEXT) | instid1(VALU_DEP_1)
	v_subrev_nc_u32_e32 v4, 28, v0
	v_lshlrev_b64_e32 v[6:7], v4, v[24:25]
	s_delay_alu instid0(VALU_DEP_1)
	v_dual_sub_nc_u32 v4, 29, v0 :: v_dual_bitop2_b32 v0, 7, v6 bitop3:0x40
; %bb.847:                              ;   in Loop: Header=BB287_15 Depth=1
	s_or_b32 exec_lo, exec_lo, s15
	v_lshlrev_b32_e32 v5, 8, v24
	s_delay_alu instid0(VALU_DEP_2) | instskip(NEXT) | instid1(VALU_DEP_3)
	v_lshl_add_u32 v4, v4, 10, 0x2000
	v_lshlrev_b32_e32 v0, 23, v0
	s_delay_alu instid0(VALU_DEP_2) | instskip(NEXT) | instid1(VALU_DEP_1)
	v_and_or_b32 v4, 0x8000, v5, v4
	v_lshl_or_b32 v0, v4, 16, v0
	scratch_store_b32 off, v0, s32 offset:540 ; 4-byte Folded Spill
.LBB287_848:                            ;   in Loop: Header=BB287_15 Depth=1
	s_wait_xcnt 0x0
	s_or_b32 exec_lo, exec_lo, s14
.LBB287_849:                            ;   in Loop: Header=BB287_15 Depth=1
	s_delay_alu instid0(SALU_CYCLE_1)
	s_or_b32 exec_lo, exec_lo, s11
.LBB287_850:                            ;   in Loop: Header=BB287_15 Depth=1
	s_delay_alu instid0(SALU_CYCLE_1)
	s_or_b32 exec_lo, exec_lo, s8
	flat_load_b64 v[4:5], v[2:3] offset:3080
	s_mov_b32 s8, exec_lo
	s_wait_loadcnt_dscnt 0x0
	v_and_b32_e32 v0, 0xff, v4
	s_wait_xcnt 0x0
	s_delay_alu instid0(VALU_DEP_1)
	v_cmpx_ne_u16_e32 0, v0
	s_cbranch_execz .LBB287_858
; %bb.851:                              ;   in Loop: Header=BB287_15 Depth=1
	v_cmp_ne_u16_e64 s1, 0x80, v0
	v_mov_b32_e32 v0, 0x8000
	scratch_store_b32 off, v0, s32 offset:536 ; 4-byte Folded Spill
	s_wait_xcnt 0x0
	s_and_saveexec_b32 s11, s1
	s_cbranch_execz .LBB287_857
; %bb.852:                              ;   in Loop: Header=BB287_15 Depth=1
	v_and_b32_e32 v7, 0x7f, v4
	v_mov_b32_e32 v0, 0x7c01
	s_mov_b32 s14, exec_lo
	scratch_store_b32 off, v0, s32 offset:536 ; 4-byte Folded Spill
	s_wait_xcnt 0x0
	v_cmpx_ne_u32_e32 0x7f, v7
	s_cbranch_execz .LBB287_856
; %bb.853:                              ;   in Loop: Header=BB287_15 Depth=1
	v_dual_lshrrev_b32 v6, 3, v7 :: v_dual_bitop2_b32 v0, 7, v4 bitop3:0x40
	s_mov_b32 s15, exec_lo
	v_cmpx_gt_u32_e32 8, v7
; %bb.854:                              ;   in Loop: Header=BB287_15 Depth=1
	s_delay_alu instid0(VALU_DEP_2) | instskip(NEXT) | instid1(VALU_DEP_1)
	v_clz_i32_u32_e32 v0, v0
	v_min_u32_e32 v0, 32, v0
	s_delay_alu instid0(VALU_DEP_1) | instskip(NEXT) | instid1(VALU_DEP_1)
	v_subrev_nc_u32_e32 v6, 28, v0
	v_lshlrev_b64_e32 v[8:9], v6, v[4:5]
	v_sub_nc_u32_e32 v6, 29, v0
	s_delay_alu instid0(VALU_DEP_2)
	v_and_b32_e32 v0, 7, v8
; %bb.855:                              ;   in Loop: Header=BB287_15 Depth=1
	s_or_b32 exec_lo, exec_lo, s15
	v_lshlrev_b32_e32 v7, 8, v4
	s_delay_alu instid0(VALU_DEP_3) | instskip(NEXT) | instid1(VALU_DEP_3)
	v_lshl_add_u32 v6, v6, 10, 0x2000
	v_lshlrev_b32_e32 v0, 7, v0
	s_delay_alu instid0(VALU_DEP_3) | instskip(NEXT) | instid1(VALU_DEP_3)
	v_and_b32_e32 v7, 0x8000, v7
	v_and_b32_e32 v6, 0xfc00, v6
	s_delay_alu instid0(VALU_DEP_1)
	v_or3_b32 v0, v7, v6, v0
	scratch_store_b32 off, v0, s32 offset:536 ; 4-byte Folded Spill
.LBB287_856:                            ;   in Loop: Header=BB287_15 Depth=1
	s_wait_xcnt 0x0
	s_or_b32 exec_lo, exec_lo, s14
.LBB287_857:                            ;   in Loop: Header=BB287_15 Depth=1
	s_delay_alu instid0(SALU_CYCLE_1)
	s_or_b32 exec_lo, exec_lo, s11
.LBB287_858:                            ;   in Loop: Header=BB287_15 Depth=1
	s_delay_alu instid0(SALU_CYCLE_1)
	s_or_b32 exec_lo, exec_lo, s8
	v_mov_b32_e32 v0, 0
	v_lshrrev_b16 v24, 8, v4
	s_mov_b32 s8, exec_lo
	scratch_store_b32 off, v0, s32 offset:544 ; 4-byte Folded Spill
	s_wait_xcnt 0x0
	v_mov_b32_e32 v0, 0
	scratch_store_b32 off, v0, s32 offset:548 ; 4-byte Folded Spill
	s_wait_xcnt 0x0
	v_cmpx_ne_u16_e32 0, v24
	s_cbranch_execz .LBB287_866
; %bb.859:                              ;   in Loop: Header=BB287_15 Depth=1
	v_bfrev_b32_e32 v0, 1
	s_mov_b32 s11, exec_lo
	scratch_store_b32 off, v0, s32 offset:548 ; 4-byte Folded Spill
	s_wait_xcnt 0x0
	v_cmpx_ne_u16_e32 0x80, v24
	s_cbranch_execz .LBB287_865
; %bb.860:                              ;   in Loop: Header=BB287_15 Depth=1
	v_and_b32_e32 v0, 0xffff, v24
	v_mov_b32_e32 v6, 0x7c010000
	s_mov_b32 s14, exec_lo
	s_delay_alu instid0(VALU_DEP_2)
	v_and_b32_e32 v8, 0x7f, v0
	scratch_store_b32 off, v6, s32 offset:548 ; 4-byte Folded Spill
	s_wait_xcnt 0x0
	v_cmpx_ne_u32_e32 0x7f, v8
	s_cbranch_execz .LBB287_864
; %bb.861:                              ;   in Loop: Header=BB287_15 Depth=1
	v_and_b32_e32 v6, 7, v0
	v_lshrrev_b32_e32 v7, 3, v8
	s_mov_b32 s15, exec_lo
	v_cmpx_gt_u32_e32 8, v8
; %bb.862:                              ;   in Loop: Header=BB287_15 Depth=1
	s_delay_alu instid0(VALU_DEP_3) | instskip(NEXT) | instid1(VALU_DEP_1)
	v_clz_i32_u32_e32 v6, v6
	v_min_u32_e32 v8, 32, v6
	s_delay_alu instid0(VALU_DEP_1) | instskip(NEXT) | instid1(VALU_DEP_1)
	v_subrev_nc_u32_e32 v6, 28, v8
	v_lshlrev_b64_e32 v[6:7], v6, v[24:25]
	s_delay_alu instid0(VALU_DEP_1)
	v_dual_sub_nc_u32 v7, 29, v8 :: v_dual_bitop2_b32 v6, 7, v6 bitop3:0x40
; %bb.863:                              ;   in Loop: Header=BB287_15 Depth=1
	s_or_b32 exec_lo, exec_lo, s15
	s_delay_alu instid0(VALU_DEP_1) | instskip(NEXT) | instid1(VALU_DEP_2)
	v_dual_lshlrev_b32 v0, 8, v0 :: v_dual_lshlrev_b32 v6, 23, v6
	v_lshl_add_u32 v7, v7, 10, 0x2000
	s_delay_alu instid0(VALU_DEP_1) | instskip(NEXT) | instid1(VALU_DEP_1)
	v_and_or_b32 v0, 0x8000, v0, v7
	v_lshl_or_b32 v0, v0, 16, v6
	scratch_store_b32 off, v0, s32 offset:548 ; 4-byte Folded Spill
.LBB287_864:                            ;   in Loop: Header=BB287_15 Depth=1
	s_wait_xcnt 0x0
	s_or_b32 exec_lo, exec_lo, s14
.LBB287_865:                            ;   in Loop: Header=BB287_15 Depth=1
	s_delay_alu instid0(SALU_CYCLE_1)
	s_or_b32 exec_lo, exec_lo, s11
.LBB287_866:                            ;   in Loop: Header=BB287_15 Depth=1
	s_delay_alu instid0(SALU_CYCLE_1) | instskip(SKIP_2) | instid1(VALU_DEP_1)
	s_or_b32 exec_lo, exec_lo, s8
	v_lshrrev_b32_e32 v0, 16, v4
	s_mov_b32 s8, exec_lo
	v_and_b32_e32 v6, 0xff, v0
	s_delay_alu instid0(VALU_DEP_1)
	v_cmpx_ne_u16_e32 0, v6
	s_cbranch_execz .LBB287_874
; %bb.867:                              ;   in Loop: Header=BB287_15 Depth=1
	v_cmp_ne_u16_e64 s1, 0x80, v6
	v_mov_b32_e32 v6, 0x8000
	scratch_store_b32 off, v6, s32 offset:544 ; 4-byte Folded Spill
	s_wait_xcnt 0x0
	s_and_saveexec_b32 s11, s1
	s_cbranch_execz .LBB287_873
; %bb.868:                              ;   in Loop: Header=BB287_15 Depth=1
	v_bfe_u32 v8, v4, 16, 7
	v_mov_b32_e32 v6, 0x7c01
	s_mov_b32 s14, exec_lo
	scratch_store_b32 off, v6, s32 offset:544 ; 4-byte Folded Spill
	s_wait_xcnt 0x0
	v_cmpx_ne_u32_e32 0x7f, v8
	s_cbranch_execz .LBB287_872
; %bb.869:                              ;   in Loop: Header=BB287_15 Depth=1
	v_and_b32_e32 v6, 7, v0
	v_lshrrev_b32_e32 v7, 3, v8
	s_mov_b32 s15, exec_lo
	v_cmpx_gt_u32_e32 8, v8
; %bb.870:                              ;   in Loop: Header=BB287_15 Depth=1
	s_delay_alu instid0(VALU_DEP_3) | instskip(NEXT) | instid1(VALU_DEP_1)
	v_clz_i32_u32_e32 v6, v6
	v_min_u32_e32 v8, 32, v6
	s_delay_alu instid0(VALU_DEP_1) | instskip(NEXT) | instid1(VALU_DEP_1)
	v_subrev_nc_u32_e32 v6, 28, v8
	v_lshlrev_b64_e32 v[6:7], v6, v[0:1]
	s_delay_alu instid0(VALU_DEP_1)
	v_dual_sub_nc_u32 v7, 29, v8 :: v_dual_bitop2_b32 v6, 7, v6 bitop3:0x40
; %bb.871:                              ;   in Loop: Header=BB287_15 Depth=1
	s_or_b32 exec_lo, exec_lo, s15
	s_delay_alu instid0(VALU_DEP_1) | instskip(NEXT) | instid1(VALU_DEP_2)
	v_dual_lshlrev_b32 v0, 8, v0 :: v_dual_lshlrev_b32 v6, 7, v6
	v_lshl_add_u32 v7, v7, 10, 0x2000
	s_delay_alu instid0(VALU_DEP_2) | instskip(NEXT) | instid1(VALU_DEP_2)
	v_and_b32_e32 v0, 0x8000, v0
	v_and_b32_e32 v7, 0xfc00, v7
	s_delay_alu instid0(VALU_DEP_1)
	v_or3_b32 v0, v0, v7, v6
	scratch_store_b32 off, v0, s32 offset:544 ; 4-byte Folded Spill
.LBB287_872:                            ;   in Loop: Header=BB287_15 Depth=1
	s_wait_xcnt 0x0
	s_or_b32 exec_lo, exec_lo, s14
.LBB287_873:                            ;   in Loop: Header=BB287_15 Depth=1
	s_delay_alu instid0(SALU_CYCLE_1)
	s_or_b32 exec_lo, exec_lo, s11
.LBB287_874:                            ;   in Loop: Header=BB287_15 Depth=1
	s_delay_alu instid0(SALU_CYCLE_1)
	s_or_b32 exec_lo, exec_lo, s8
	v_mov_b32_e32 v0, 0
	s_mov_b32 s8, exec_lo
	scratch_store_b32 off, v0, s32 offset:552 ; 4-byte Folded Spill
	s_wait_xcnt 0x0
	v_mov_b32_e32 v0, 0
	scratch_store_b32 off, v0, s32 offset:556 ; 4-byte Folded Spill
	s_wait_xcnt 0x0
	v_cmpx_lt_u32_e32 0xffffff, v4
	s_cbranch_execz .LBB287_882
; %bb.875:                              ;   in Loop: Header=BB287_15 Depth=1
	v_lshrrev_b32_e32 v24, 24, v4
	v_bfrev_b32_e32 v0, 1
	s_mov_b32 s11, exec_lo
	scratch_store_b32 off, v0, s32 offset:556 ; 4-byte Folded Spill
	s_wait_xcnt 0x0
	v_cmpx_ne_u32_e32 0x80, v24
	s_cbranch_execz .LBB287_881
; %bb.876:                              ;   in Loop: Header=BB287_15 Depth=1
	v_and_b32_e32 v7, 0x7f, v24
	v_mov_b32_e32 v0, 0x7c010000
	s_mov_b32 s14, exec_lo
	scratch_store_b32 off, v0, s32 offset:556 ; 4-byte Folded Spill
	s_wait_xcnt 0x0
	v_cmpx_ne_u32_e32 0x7f, v7
	s_cbranch_execz .LBB287_880
; %bb.877:                              ;   in Loop: Header=BB287_15 Depth=1
	v_dual_lshrrev_b32 v6, 3, v7 :: v_dual_bitop2_b32 v0, 7, v24 bitop3:0x40
	s_mov_b32 s15, exec_lo
	v_cmpx_gt_u32_e32 8, v7
; %bb.878:                              ;   in Loop: Header=BB287_15 Depth=1
	s_delay_alu instid0(VALU_DEP_2) | instskip(NEXT) | instid1(VALU_DEP_1)
	v_clz_i32_u32_e32 v0, v0
	v_min_u32_e32 v0, 32, v0
	s_delay_alu instid0(VALU_DEP_1) | instskip(NEXT) | instid1(VALU_DEP_1)
	v_subrev_nc_u32_e32 v6, 28, v0
	v_lshlrev_b64_e32 v[8:9], v6, v[24:25]
	v_sub_nc_u32_e32 v6, 29, v0
	s_delay_alu instid0(VALU_DEP_2)
	v_and_b32_e32 v0, 7, v8
; %bb.879:                              ;   in Loop: Header=BB287_15 Depth=1
	s_or_b32 exec_lo, exec_lo, s15
	v_lshlrev_b32_e32 v7, 8, v24
	s_delay_alu instid0(VALU_DEP_3) | instskip(NEXT) | instid1(VALU_DEP_3)
	v_lshl_add_u32 v6, v6, 10, 0x2000
	v_lshlrev_b32_e32 v0, 23, v0
	s_delay_alu instid0(VALU_DEP_2) | instskip(NEXT) | instid1(VALU_DEP_1)
	v_and_or_b32 v6, 0x8000, v7, v6
	v_lshl_or_b32 v0, v6, 16, v0
	scratch_store_b32 off, v0, s32 offset:556 ; 4-byte Folded Spill
.LBB287_880:                            ;   in Loop: Header=BB287_15 Depth=1
	s_wait_xcnt 0x0
	s_or_b32 exec_lo, exec_lo, s14
.LBB287_881:                            ;   in Loop: Header=BB287_15 Depth=1
	s_delay_alu instid0(SALU_CYCLE_1)
	s_or_b32 exec_lo, exec_lo, s11
.LBB287_882:                            ;   in Loop: Header=BB287_15 Depth=1
	s_delay_alu instid0(SALU_CYCLE_1) | instskip(SKIP_3) | instid1(VALU_DEP_2)
	s_or_b32 exec_lo, exec_lo, s8
	v_and_b32_e32 v0, 0xff, v5
	v_mov_b32_e32 v24, v5
	s_mov_b32 s8, exec_lo
	v_cmpx_ne_u16_e32 0, v0
	s_cbranch_execz .LBB287_890
; %bb.883:                              ;   in Loop: Header=BB287_15 Depth=1
	v_cmp_ne_u16_e64 s1, 0x80, v0
	v_mov_b32_e32 v0, 0x8000
	scratch_store_b32 off, v0, s32 offset:552 ; 4-byte Folded Spill
	s_wait_xcnt 0x0
	s_and_saveexec_b32 s11, s1
	s_cbranch_execz .LBB287_889
; %bb.884:                              ;   in Loop: Header=BB287_15 Depth=1
	v_and_b32_e32 v7, 0x7f, v5
	v_mov_b32_e32 v0, 0x7c01
	s_mov_b32 s14, exec_lo
	scratch_store_b32 off, v0, s32 offset:552 ; 4-byte Folded Spill
	s_wait_xcnt 0x0
	v_cmpx_ne_u32_e32 0x7f, v7
	s_cbranch_execz .LBB287_888
; %bb.885:                              ;   in Loop: Header=BB287_15 Depth=1
	v_dual_lshrrev_b32 v6, 3, v7 :: v_dual_bitop2_b32 v0, 7, v5 bitop3:0x40
	s_mov_b32 s15, exec_lo
	v_cmpx_gt_u32_e32 8, v7
; %bb.886:                              ;   in Loop: Header=BB287_15 Depth=1
	s_delay_alu instid0(VALU_DEP_2) | instskip(NEXT) | instid1(VALU_DEP_1)
	v_clz_i32_u32_e32 v0, v0
	v_min_u32_e32 v0, 32, v0
	s_delay_alu instid0(VALU_DEP_1) | instskip(NEXT) | instid1(VALU_DEP_1)
	v_subrev_nc_u32_e32 v6, 28, v0
	v_lshlrev_b64_e32 v[8:9], v6, v[24:25]
	v_sub_nc_u32_e32 v6, 29, v0
	s_delay_alu instid0(VALU_DEP_2)
	v_and_b32_e32 v0, 7, v8
; %bb.887:                              ;   in Loop: Header=BB287_15 Depth=1
	s_or_b32 exec_lo, exec_lo, s15
	s_delay_alu instid0(VALU_DEP_1) | instskip(NEXT) | instid1(VALU_DEP_3)
	v_dual_lshlrev_b32 v7, 8, v5 :: v_dual_lshlrev_b32 v0, 7, v0
	v_lshl_add_u32 v6, v6, 10, 0x2000
	s_delay_alu instid0(VALU_DEP_2) | instskip(NEXT) | instid1(VALU_DEP_2)
	v_and_b32_e32 v7, 0x8000, v7
	v_and_b32_e32 v6, 0xfc00, v6
	s_delay_alu instid0(VALU_DEP_1)
	v_or3_b32 v0, v7, v6, v0
	scratch_store_b32 off, v0, s32 offset:552 ; 4-byte Folded Spill
.LBB287_888:                            ;   in Loop: Header=BB287_15 Depth=1
	s_wait_xcnt 0x0
	s_or_b32 exec_lo, exec_lo, s14
.LBB287_889:                            ;   in Loop: Header=BB287_15 Depth=1
	s_delay_alu instid0(SALU_CYCLE_1)
	s_or_b32 exec_lo, exec_lo, s11
.LBB287_890:                            ;   in Loop: Header=BB287_15 Depth=1
	s_delay_alu instid0(SALU_CYCLE_1)
	s_or_b32 exec_lo, exec_lo, s8
	v_mov_b32_e32 v0, 0
	v_lshrrev_b16 v24, 8, v24
	s_mov_b32 s8, exec_lo
	scratch_store_b32 off, v0, s32 offset:560 ; 4-byte Folded Spill
	s_wait_xcnt 0x0
	v_mov_b32_e32 v0, 0
	scratch_store_b32 off, v0, s32 offset:564 ; 4-byte Folded Spill
	s_wait_xcnt 0x0
	v_cmpx_ne_u16_e32 0, v24
	s_cbranch_execz .LBB287_898
; %bb.891:                              ;   in Loop: Header=BB287_15 Depth=1
	v_bfrev_b32_e32 v0, 1
	s_mov_b32 s11, exec_lo
	scratch_store_b32 off, v0, s32 offset:564 ; 4-byte Folded Spill
	s_wait_xcnt 0x0
	v_cmpx_ne_u16_e32 0x80, v24
	s_cbranch_execz .LBB287_897
; %bb.892:                              ;   in Loop: Header=BB287_15 Depth=1
	v_and_b32_e32 v0, 0xffff, v24
	v_mov_b32_e32 v6, 0x7c010000
	s_mov_b32 s14, exec_lo
	s_delay_alu instid0(VALU_DEP_2)
	v_and_b32_e32 v8, 0x7f, v0
	scratch_store_b32 off, v6, s32 offset:564 ; 4-byte Folded Spill
	s_wait_xcnt 0x0
	v_cmpx_ne_u32_e32 0x7f, v8
	s_cbranch_execz .LBB287_896
; %bb.893:                              ;   in Loop: Header=BB287_15 Depth=1
	v_and_b32_e32 v6, 7, v0
	v_lshrrev_b32_e32 v7, 3, v8
	s_mov_b32 s15, exec_lo
	v_cmpx_gt_u32_e32 8, v8
; %bb.894:                              ;   in Loop: Header=BB287_15 Depth=1
	s_delay_alu instid0(VALU_DEP_3) | instskip(NEXT) | instid1(VALU_DEP_1)
	v_clz_i32_u32_e32 v6, v6
	v_min_u32_e32 v8, 32, v6
	s_delay_alu instid0(VALU_DEP_1) | instskip(NEXT) | instid1(VALU_DEP_1)
	v_subrev_nc_u32_e32 v6, 28, v8
	v_lshlrev_b64_e32 v[6:7], v6, v[24:25]
	s_delay_alu instid0(VALU_DEP_1)
	v_dual_sub_nc_u32 v7, 29, v8 :: v_dual_bitop2_b32 v6, 7, v6 bitop3:0x40
; %bb.895:                              ;   in Loop: Header=BB287_15 Depth=1
	s_or_b32 exec_lo, exec_lo, s15
	s_delay_alu instid0(VALU_DEP_1) | instskip(NEXT) | instid1(VALU_DEP_2)
	v_dual_lshlrev_b32 v0, 8, v0 :: v_dual_lshlrev_b32 v6, 23, v6
	v_lshl_add_u32 v7, v7, 10, 0x2000
	s_delay_alu instid0(VALU_DEP_1) | instskip(NEXT) | instid1(VALU_DEP_1)
	v_and_or_b32 v0, 0x8000, v0, v7
	v_lshl_or_b32 v0, v0, 16, v6
	scratch_store_b32 off, v0, s32 offset:564 ; 4-byte Folded Spill
.LBB287_896:                            ;   in Loop: Header=BB287_15 Depth=1
	s_wait_xcnt 0x0
	s_or_b32 exec_lo, exec_lo, s14
.LBB287_897:                            ;   in Loop: Header=BB287_15 Depth=1
	s_delay_alu instid0(SALU_CYCLE_1)
	s_or_b32 exec_lo, exec_lo, s11
.LBB287_898:                            ;   in Loop: Header=BB287_15 Depth=1
	s_delay_alu instid0(SALU_CYCLE_1) | instskip(SKIP_2) | instid1(VALU_DEP_1)
	s_or_b32 exec_lo, exec_lo, s8
	v_lshrrev_b32_e32 v0, 16, v5
	s_mov_b32 s8, exec_lo
	v_and_b32_e32 v6, 0xff, v0
	s_delay_alu instid0(VALU_DEP_1)
	v_cmpx_ne_u16_e32 0, v6
	s_cbranch_execz .LBB287_906
; %bb.899:                              ;   in Loop: Header=BB287_15 Depth=1
	v_cmp_ne_u16_e64 s1, 0x80, v6
	v_mov_b32_e32 v6, 0x8000
	scratch_store_b32 off, v6, s32 offset:560 ; 4-byte Folded Spill
	s_wait_xcnt 0x0
	s_and_saveexec_b32 s11, s1
	s_cbranch_execz .LBB287_905
; %bb.900:                              ;   in Loop: Header=BB287_15 Depth=1
	v_bfe_u32 v8, v5, 16, 7
	v_mov_b32_e32 v6, 0x7c01
	s_mov_b32 s14, exec_lo
	scratch_store_b32 off, v6, s32 offset:560 ; 4-byte Folded Spill
	s_wait_xcnt 0x0
	v_cmpx_ne_u32_e32 0x7f, v8
	s_cbranch_execz .LBB287_904
; %bb.901:                              ;   in Loop: Header=BB287_15 Depth=1
	v_and_b32_e32 v6, 7, v0
	v_lshrrev_b32_e32 v7, 3, v8
	s_mov_b32 s15, exec_lo
	v_cmpx_gt_u32_e32 8, v8
; %bb.902:                              ;   in Loop: Header=BB287_15 Depth=1
	s_delay_alu instid0(VALU_DEP_3) | instskip(NEXT) | instid1(VALU_DEP_1)
	v_clz_i32_u32_e32 v6, v6
	v_min_u32_e32 v8, 32, v6
	s_delay_alu instid0(VALU_DEP_1) | instskip(NEXT) | instid1(VALU_DEP_1)
	v_subrev_nc_u32_e32 v6, 28, v8
	v_lshlrev_b64_e32 v[6:7], v6, v[0:1]
	s_delay_alu instid0(VALU_DEP_1)
	v_dual_sub_nc_u32 v7, 29, v8 :: v_dual_bitop2_b32 v6, 7, v6 bitop3:0x40
; %bb.903:                              ;   in Loop: Header=BB287_15 Depth=1
	s_or_b32 exec_lo, exec_lo, s15
	s_delay_alu instid0(VALU_DEP_1) | instskip(NEXT) | instid1(VALU_DEP_2)
	v_dual_lshlrev_b32 v0, 8, v0 :: v_dual_lshlrev_b32 v6, 7, v6
	v_lshl_add_u32 v7, v7, 10, 0x2000
	s_delay_alu instid0(VALU_DEP_2) | instskip(NEXT) | instid1(VALU_DEP_2)
	v_and_b32_e32 v0, 0x8000, v0
	v_and_b32_e32 v7, 0xfc00, v7
	s_delay_alu instid0(VALU_DEP_1)
	v_or3_b32 v0, v0, v7, v6
	scratch_store_b32 off, v0, s32 offset:560 ; 4-byte Folded Spill
.LBB287_904:                            ;   in Loop: Header=BB287_15 Depth=1
	s_wait_xcnt 0x0
	s_or_b32 exec_lo, exec_lo, s14
.LBB287_905:                            ;   in Loop: Header=BB287_15 Depth=1
	s_delay_alu instid0(SALU_CYCLE_1)
	s_or_b32 exec_lo, exec_lo, s11
.LBB287_906:                            ;   in Loop: Header=BB287_15 Depth=1
	s_delay_alu instid0(SALU_CYCLE_1)
	s_or_b32 exec_lo, exec_lo, s8
	v_mov_b32_e32 v0, 0
	s_mov_b32 s8, exec_lo
	scratch_store_b32 off, v0, s32 offset:568 ; 4-byte Folded Spill
	s_wait_xcnt 0x0
	v_mov_b32_e32 v0, 0
	scratch_store_b32 off, v0, s32 offset:572 ; 4-byte Folded Spill
	s_wait_xcnt 0x0
	v_cmpx_lt_u64_e64 s[4:5], v[4:5]
	s_cbranch_execz .LBB287_914
; %bb.907:                              ;   in Loop: Header=BB287_15 Depth=1
	v_lshrrev_b32_e32 v24, 24, v5
	v_bfrev_b32_e32 v0, 1
	s_mov_b32 s11, exec_lo
	scratch_store_b32 off, v0, s32 offset:572 ; 4-byte Folded Spill
	s_wait_xcnt 0x0
	v_cmpx_ne_u32_e32 0x80, v24
	s_cbranch_execz .LBB287_913
; %bb.908:                              ;   in Loop: Header=BB287_15 Depth=1
	v_and_b32_e32 v5, 0x7f, v24
	v_mov_b32_e32 v0, 0x7c010000
	s_mov_b32 s14, exec_lo
	scratch_store_b32 off, v0, s32 offset:572 ; 4-byte Folded Spill
	s_wait_xcnt 0x0
	v_cmpx_ne_u32_e32 0x7f, v5
	s_cbranch_execz .LBB287_912
; %bb.909:                              ;   in Loop: Header=BB287_15 Depth=1
	v_dual_lshrrev_b32 v4, 3, v5 :: v_dual_bitop2_b32 v0, 7, v24 bitop3:0x40
	s_mov_b32 s15, exec_lo
	v_cmpx_gt_u32_e32 8, v5
; %bb.910:                              ;   in Loop: Header=BB287_15 Depth=1
	s_delay_alu instid0(VALU_DEP_2) | instskip(NEXT) | instid1(VALU_DEP_1)
	v_clz_i32_u32_e32 v0, v0
	v_min_u32_e32 v0, 32, v0
	s_delay_alu instid0(VALU_DEP_1) | instskip(NEXT) | instid1(VALU_DEP_1)
	v_subrev_nc_u32_e32 v4, 28, v0
	v_lshlrev_b64_e32 v[6:7], v4, v[24:25]
	s_delay_alu instid0(VALU_DEP_1)
	v_dual_sub_nc_u32 v4, 29, v0 :: v_dual_bitop2_b32 v0, 7, v6 bitop3:0x40
; %bb.911:                              ;   in Loop: Header=BB287_15 Depth=1
	s_or_b32 exec_lo, exec_lo, s15
	v_lshlrev_b32_e32 v5, 8, v24
	s_delay_alu instid0(VALU_DEP_2) | instskip(NEXT) | instid1(VALU_DEP_3)
	v_lshl_add_u32 v4, v4, 10, 0x2000
	v_lshlrev_b32_e32 v0, 23, v0
	s_delay_alu instid0(VALU_DEP_2) | instskip(NEXT) | instid1(VALU_DEP_1)
	v_and_or_b32 v4, 0x8000, v5, v4
	v_lshl_or_b32 v0, v4, 16, v0
	scratch_store_b32 off, v0, s32 offset:572 ; 4-byte Folded Spill
.LBB287_912:                            ;   in Loop: Header=BB287_15 Depth=1
	s_wait_xcnt 0x0
	s_or_b32 exec_lo, exec_lo, s14
.LBB287_913:                            ;   in Loop: Header=BB287_15 Depth=1
	s_delay_alu instid0(SALU_CYCLE_1)
	s_or_b32 exec_lo, exec_lo, s11
.LBB287_914:                            ;   in Loop: Header=BB287_15 Depth=1
	s_delay_alu instid0(SALU_CYCLE_1)
	s_or_b32 exec_lo, exec_lo, s8
	flat_load_b64 v[4:5], v[2:3] offset:3584
	s_mov_b32 s8, exec_lo
	s_wait_loadcnt_dscnt 0x0
	v_and_b32_e32 v0, 0xff, v4
	s_wait_xcnt 0x0
	s_delay_alu instid0(VALU_DEP_1)
	v_cmpx_ne_u16_e32 0, v0
	s_cbranch_execz .LBB287_922
; %bb.915:                              ;   in Loop: Header=BB287_15 Depth=1
	v_cmp_ne_u16_e64 s1, 0x80, v0
	v_mov_b32_e32 v0, 0x8000
	scratch_store_b32 off, v0, s32 offset:568 ; 4-byte Folded Spill
	s_wait_xcnt 0x0
	s_and_saveexec_b32 s11, s1
	s_cbranch_execz .LBB287_921
; %bb.916:                              ;   in Loop: Header=BB287_15 Depth=1
	v_and_b32_e32 v7, 0x7f, v4
	v_mov_b32_e32 v0, 0x7c01
	s_mov_b32 s14, exec_lo
	scratch_store_b32 off, v0, s32 offset:568 ; 4-byte Folded Spill
	s_wait_xcnt 0x0
	v_cmpx_ne_u32_e32 0x7f, v7
	s_cbranch_execz .LBB287_920
; %bb.917:                              ;   in Loop: Header=BB287_15 Depth=1
	v_dual_lshrrev_b32 v6, 3, v7 :: v_dual_bitop2_b32 v0, 7, v4 bitop3:0x40
	s_mov_b32 s15, exec_lo
	v_cmpx_gt_u32_e32 8, v7
; %bb.918:                              ;   in Loop: Header=BB287_15 Depth=1
	s_delay_alu instid0(VALU_DEP_2) | instskip(NEXT) | instid1(VALU_DEP_1)
	v_clz_i32_u32_e32 v0, v0
	v_min_u32_e32 v0, 32, v0
	s_delay_alu instid0(VALU_DEP_1) | instskip(NEXT) | instid1(VALU_DEP_1)
	v_subrev_nc_u32_e32 v6, 28, v0
	v_lshlrev_b64_e32 v[8:9], v6, v[4:5]
	v_sub_nc_u32_e32 v6, 29, v0
	s_delay_alu instid0(VALU_DEP_2)
	v_and_b32_e32 v0, 7, v8
; %bb.919:                              ;   in Loop: Header=BB287_15 Depth=1
	s_or_b32 exec_lo, exec_lo, s15
	v_lshlrev_b32_e32 v7, 8, v4
	s_delay_alu instid0(VALU_DEP_3) | instskip(NEXT) | instid1(VALU_DEP_3)
	v_lshl_add_u32 v6, v6, 10, 0x2000
	v_lshlrev_b32_e32 v0, 7, v0
	s_delay_alu instid0(VALU_DEP_3) | instskip(NEXT) | instid1(VALU_DEP_3)
	v_and_b32_e32 v7, 0x8000, v7
	v_and_b32_e32 v6, 0xfc00, v6
	s_delay_alu instid0(VALU_DEP_1)
	v_or3_b32 v0, v7, v6, v0
	scratch_store_b32 off, v0, s32 offset:568 ; 4-byte Folded Spill
.LBB287_920:                            ;   in Loop: Header=BB287_15 Depth=1
	s_wait_xcnt 0x0
	s_or_b32 exec_lo, exec_lo, s14
.LBB287_921:                            ;   in Loop: Header=BB287_15 Depth=1
	s_delay_alu instid0(SALU_CYCLE_1)
	s_or_b32 exec_lo, exec_lo, s11
.LBB287_922:                            ;   in Loop: Header=BB287_15 Depth=1
	s_delay_alu instid0(SALU_CYCLE_1)
	s_or_b32 exec_lo, exec_lo, s8
	v_mov_b32_e32 v0, 0
	v_lshrrev_b16 v24, 8, v4
	s_mov_b32 s8, exec_lo
	scratch_store_b32 off, v0, s32 offset:576 ; 4-byte Folded Spill
	s_wait_xcnt 0x0
	v_mov_b32_e32 v0, 0
	scratch_store_b32 off, v0, s32 offset:580 ; 4-byte Folded Spill
	s_wait_xcnt 0x0
	v_cmpx_ne_u16_e32 0, v24
	s_cbranch_execz .LBB287_930
; %bb.923:                              ;   in Loop: Header=BB287_15 Depth=1
	v_bfrev_b32_e32 v0, 1
	s_mov_b32 s11, exec_lo
	scratch_store_b32 off, v0, s32 offset:580 ; 4-byte Folded Spill
	s_wait_xcnt 0x0
	v_cmpx_ne_u16_e32 0x80, v24
	s_cbranch_execz .LBB287_929
; %bb.924:                              ;   in Loop: Header=BB287_15 Depth=1
	v_and_b32_e32 v0, 0xffff, v24
	v_mov_b32_e32 v6, 0x7c010000
	s_mov_b32 s14, exec_lo
	s_delay_alu instid0(VALU_DEP_2)
	v_and_b32_e32 v8, 0x7f, v0
	scratch_store_b32 off, v6, s32 offset:580 ; 4-byte Folded Spill
	s_wait_xcnt 0x0
	v_cmpx_ne_u32_e32 0x7f, v8
	s_cbranch_execz .LBB287_928
; %bb.925:                              ;   in Loop: Header=BB287_15 Depth=1
	v_and_b32_e32 v6, 7, v0
	v_lshrrev_b32_e32 v7, 3, v8
	s_mov_b32 s15, exec_lo
	v_cmpx_gt_u32_e32 8, v8
; %bb.926:                              ;   in Loop: Header=BB287_15 Depth=1
	s_delay_alu instid0(VALU_DEP_3) | instskip(NEXT) | instid1(VALU_DEP_1)
	v_clz_i32_u32_e32 v6, v6
	v_min_u32_e32 v8, 32, v6
	s_delay_alu instid0(VALU_DEP_1) | instskip(NEXT) | instid1(VALU_DEP_1)
	v_subrev_nc_u32_e32 v6, 28, v8
	v_lshlrev_b64_e32 v[6:7], v6, v[24:25]
	s_delay_alu instid0(VALU_DEP_1)
	v_dual_sub_nc_u32 v7, 29, v8 :: v_dual_bitop2_b32 v6, 7, v6 bitop3:0x40
; %bb.927:                              ;   in Loop: Header=BB287_15 Depth=1
	s_or_b32 exec_lo, exec_lo, s15
	s_delay_alu instid0(VALU_DEP_1) | instskip(NEXT) | instid1(VALU_DEP_2)
	v_dual_lshlrev_b32 v0, 8, v0 :: v_dual_lshlrev_b32 v6, 23, v6
	v_lshl_add_u32 v7, v7, 10, 0x2000
	s_delay_alu instid0(VALU_DEP_1) | instskip(NEXT) | instid1(VALU_DEP_1)
	v_and_or_b32 v0, 0x8000, v0, v7
	v_lshl_or_b32 v0, v0, 16, v6
	scratch_store_b32 off, v0, s32 offset:580 ; 4-byte Folded Spill
.LBB287_928:                            ;   in Loop: Header=BB287_15 Depth=1
	s_wait_xcnt 0x0
	s_or_b32 exec_lo, exec_lo, s14
.LBB287_929:                            ;   in Loop: Header=BB287_15 Depth=1
	s_delay_alu instid0(SALU_CYCLE_1)
	s_or_b32 exec_lo, exec_lo, s11
.LBB287_930:                            ;   in Loop: Header=BB287_15 Depth=1
	s_delay_alu instid0(SALU_CYCLE_1) | instskip(SKIP_2) | instid1(VALU_DEP_1)
	s_or_b32 exec_lo, exec_lo, s8
	v_lshrrev_b32_e32 v0, 16, v4
	s_mov_b32 s8, exec_lo
	v_and_b32_e32 v6, 0xff, v0
	s_delay_alu instid0(VALU_DEP_1)
	v_cmpx_ne_u16_e32 0, v6
	s_cbranch_execz .LBB287_938
; %bb.931:                              ;   in Loop: Header=BB287_15 Depth=1
	v_cmp_ne_u16_e64 s1, 0x80, v6
	v_mov_b32_e32 v6, 0x8000
	scratch_store_b32 off, v6, s32 offset:576 ; 4-byte Folded Spill
	s_wait_xcnt 0x0
	s_and_saveexec_b32 s11, s1
	s_cbranch_execz .LBB287_937
; %bb.932:                              ;   in Loop: Header=BB287_15 Depth=1
	v_bfe_u32 v8, v4, 16, 7
	v_mov_b32_e32 v6, 0x7c01
	s_mov_b32 s14, exec_lo
	scratch_store_b32 off, v6, s32 offset:576 ; 4-byte Folded Spill
	s_wait_xcnt 0x0
	v_cmpx_ne_u32_e32 0x7f, v8
	s_cbranch_execz .LBB287_936
; %bb.933:                              ;   in Loop: Header=BB287_15 Depth=1
	v_and_b32_e32 v6, 7, v0
	v_lshrrev_b32_e32 v7, 3, v8
	s_mov_b32 s15, exec_lo
	v_cmpx_gt_u32_e32 8, v8
; %bb.934:                              ;   in Loop: Header=BB287_15 Depth=1
	s_delay_alu instid0(VALU_DEP_3) | instskip(NEXT) | instid1(VALU_DEP_1)
	v_clz_i32_u32_e32 v6, v6
	v_min_u32_e32 v8, 32, v6
	s_delay_alu instid0(VALU_DEP_1) | instskip(NEXT) | instid1(VALU_DEP_1)
	v_subrev_nc_u32_e32 v6, 28, v8
	v_lshlrev_b64_e32 v[6:7], v6, v[0:1]
	s_delay_alu instid0(VALU_DEP_1)
	v_dual_sub_nc_u32 v7, 29, v8 :: v_dual_bitop2_b32 v6, 7, v6 bitop3:0x40
; %bb.935:                              ;   in Loop: Header=BB287_15 Depth=1
	s_or_b32 exec_lo, exec_lo, s15
	s_delay_alu instid0(VALU_DEP_1) | instskip(NEXT) | instid1(VALU_DEP_2)
	v_dual_lshlrev_b32 v0, 8, v0 :: v_dual_lshlrev_b32 v6, 7, v6
	v_lshl_add_u32 v7, v7, 10, 0x2000
	s_delay_alu instid0(VALU_DEP_2) | instskip(NEXT) | instid1(VALU_DEP_2)
	v_and_b32_e32 v0, 0x8000, v0
	v_and_b32_e32 v7, 0xfc00, v7
	s_delay_alu instid0(VALU_DEP_1)
	v_or3_b32 v0, v0, v7, v6
	scratch_store_b32 off, v0, s32 offset:576 ; 4-byte Folded Spill
.LBB287_936:                            ;   in Loop: Header=BB287_15 Depth=1
	s_wait_xcnt 0x0
	s_or_b32 exec_lo, exec_lo, s14
.LBB287_937:                            ;   in Loop: Header=BB287_15 Depth=1
	s_delay_alu instid0(SALU_CYCLE_1)
	s_or_b32 exec_lo, exec_lo, s11
.LBB287_938:                            ;   in Loop: Header=BB287_15 Depth=1
	s_delay_alu instid0(SALU_CYCLE_1)
	s_or_b32 exec_lo, exec_lo, s8
	v_mov_b32_e32 v0, 0
	s_mov_b32 s8, exec_lo
	scratch_store_b32 off, v0, s32 offset:584 ; 4-byte Folded Spill
	s_wait_xcnt 0x0
	v_mov_b32_e32 v0, 0
	scratch_store_b32 off, v0, s32 offset:588 ; 4-byte Folded Spill
	s_wait_xcnt 0x0
	v_cmpx_lt_u32_e32 0xffffff, v4
	s_cbranch_execz .LBB287_946
; %bb.939:                              ;   in Loop: Header=BB287_15 Depth=1
	v_lshrrev_b32_e32 v24, 24, v4
	v_bfrev_b32_e32 v0, 1
	s_mov_b32 s11, exec_lo
	scratch_store_b32 off, v0, s32 offset:588 ; 4-byte Folded Spill
	s_wait_xcnt 0x0
	v_cmpx_ne_u32_e32 0x80, v24
	s_cbranch_execz .LBB287_945
; %bb.940:                              ;   in Loop: Header=BB287_15 Depth=1
	v_and_b32_e32 v7, 0x7f, v24
	v_mov_b32_e32 v0, 0x7c010000
	s_mov_b32 s14, exec_lo
	scratch_store_b32 off, v0, s32 offset:588 ; 4-byte Folded Spill
	s_wait_xcnt 0x0
	v_cmpx_ne_u32_e32 0x7f, v7
	s_cbranch_execz .LBB287_944
; %bb.941:                              ;   in Loop: Header=BB287_15 Depth=1
	v_dual_lshrrev_b32 v6, 3, v7 :: v_dual_bitop2_b32 v0, 7, v24 bitop3:0x40
	s_mov_b32 s15, exec_lo
	v_cmpx_gt_u32_e32 8, v7
; %bb.942:                              ;   in Loop: Header=BB287_15 Depth=1
	s_delay_alu instid0(VALU_DEP_2) | instskip(NEXT) | instid1(VALU_DEP_1)
	v_clz_i32_u32_e32 v0, v0
	v_min_u32_e32 v0, 32, v0
	s_delay_alu instid0(VALU_DEP_1) | instskip(NEXT) | instid1(VALU_DEP_1)
	v_subrev_nc_u32_e32 v6, 28, v0
	v_lshlrev_b64_e32 v[8:9], v6, v[24:25]
	v_sub_nc_u32_e32 v6, 29, v0
	s_delay_alu instid0(VALU_DEP_2)
	v_and_b32_e32 v0, 7, v8
; %bb.943:                              ;   in Loop: Header=BB287_15 Depth=1
	s_or_b32 exec_lo, exec_lo, s15
	v_lshlrev_b32_e32 v7, 8, v24
	s_delay_alu instid0(VALU_DEP_3) | instskip(NEXT) | instid1(VALU_DEP_3)
	v_lshl_add_u32 v6, v6, 10, 0x2000
	v_lshlrev_b32_e32 v0, 23, v0
	s_delay_alu instid0(VALU_DEP_2) | instskip(NEXT) | instid1(VALU_DEP_1)
	v_and_or_b32 v6, 0x8000, v7, v6
	v_lshl_or_b32 v0, v6, 16, v0
	scratch_store_b32 off, v0, s32 offset:588 ; 4-byte Folded Spill
.LBB287_944:                            ;   in Loop: Header=BB287_15 Depth=1
	s_wait_xcnt 0x0
	s_or_b32 exec_lo, exec_lo, s14
.LBB287_945:                            ;   in Loop: Header=BB287_15 Depth=1
	s_delay_alu instid0(SALU_CYCLE_1)
	s_or_b32 exec_lo, exec_lo, s11
.LBB287_946:                            ;   in Loop: Header=BB287_15 Depth=1
	s_delay_alu instid0(SALU_CYCLE_1) | instskip(SKIP_3) | instid1(VALU_DEP_2)
	s_or_b32 exec_lo, exec_lo, s8
	v_and_b32_e32 v0, 0xff, v5
	v_mov_b32_e32 v24, v5
	s_mov_b32 s8, exec_lo
	v_cmpx_ne_u16_e32 0, v0
	s_cbranch_execz .LBB287_954
; %bb.947:                              ;   in Loop: Header=BB287_15 Depth=1
	v_cmp_ne_u16_e64 s1, 0x80, v0
	v_mov_b32_e32 v0, 0x8000
	scratch_store_b32 off, v0, s32 offset:584 ; 4-byte Folded Spill
	s_wait_xcnt 0x0
	s_and_saveexec_b32 s11, s1
	s_cbranch_execz .LBB287_953
; %bb.948:                              ;   in Loop: Header=BB287_15 Depth=1
	v_and_b32_e32 v7, 0x7f, v5
	v_mov_b32_e32 v0, 0x7c01
	s_mov_b32 s14, exec_lo
	scratch_store_b32 off, v0, s32 offset:584 ; 4-byte Folded Spill
	s_wait_xcnt 0x0
	v_cmpx_ne_u32_e32 0x7f, v7
	s_cbranch_execz .LBB287_952
; %bb.949:                              ;   in Loop: Header=BB287_15 Depth=1
	v_dual_lshrrev_b32 v6, 3, v7 :: v_dual_bitop2_b32 v0, 7, v5 bitop3:0x40
	s_mov_b32 s15, exec_lo
	v_cmpx_gt_u32_e32 8, v7
; %bb.950:                              ;   in Loop: Header=BB287_15 Depth=1
	s_delay_alu instid0(VALU_DEP_2) | instskip(NEXT) | instid1(VALU_DEP_1)
	v_clz_i32_u32_e32 v0, v0
	v_min_u32_e32 v0, 32, v0
	s_delay_alu instid0(VALU_DEP_1) | instskip(NEXT) | instid1(VALU_DEP_1)
	v_subrev_nc_u32_e32 v6, 28, v0
	v_lshlrev_b64_e32 v[8:9], v6, v[24:25]
	v_sub_nc_u32_e32 v6, 29, v0
	s_delay_alu instid0(VALU_DEP_2)
	v_and_b32_e32 v0, 7, v8
; %bb.951:                              ;   in Loop: Header=BB287_15 Depth=1
	s_or_b32 exec_lo, exec_lo, s15
	s_delay_alu instid0(VALU_DEP_1) | instskip(NEXT) | instid1(VALU_DEP_3)
	v_dual_lshlrev_b32 v7, 8, v5 :: v_dual_lshlrev_b32 v0, 7, v0
	v_lshl_add_u32 v6, v6, 10, 0x2000
	s_delay_alu instid0(VALU_DEP_2) | instskip(NEXT) | instid1(VALU_DEP_2)
	v_and_b32_e32 v7, 0x8000, v7
	v_and_b32_e32 v6, 0xfc00, v6
	s_delay_alu instid0(VALU_DEP_1)
	v_or3_b32 v0, v7, v6, v0
	scratch_store_b32 off, v0, s32 offset:584 ; 4-byte Folded Spill
.LBB287_952:                            ;   in Loop: Header=BB287_15 Depth=1
	s_wait_xcnt 0x0
	s_or_b32 exec_lo, exec_lo, s14
.LBB287_953:                            ;   in Loop: Header=BB287_15 Depth=1
	s_delay_alu instid0(SALU_CYCLE_1)
	s_or_b32 exec_lo, exec_lo, s11
.LBB287_954:                            ;   in Loop: Header=BB287_15 Depth=1
	s_delay_alu instid0(SALU_CYCLE_1)
	s_or_b32 exec_lo, exec_lo, s8
	v_mov_b32_e32 v0, 0
	v_lshrrev_b16 v24, 8, v24
	s_mov_b32 s8, exec_lo
	scratch_store_b32 off, v0, s32 offset:592 ; 4-byte Folded Spill
	s_wait_xcnt 0x0
	v_mov_b32_e32 v0, 0
	scratch_store_b32 off, v0, s32 offset:596 ; 4-byte Folded Spill
	s_wait_xcnt 0x0
	v_cmpx_ne_u16_e32 0, v24
	s_cbranch_execz .LBB287_962
; %bb.955:                              ;   in Loop: Header=BB287_15 Depth=1
	v_bfrev_b32_e32 v0, 1
	s_mov_b32 s11, exec_lo
	scratch_store_b32 off, v0, s32 offset:596 ; 4-byte Folded Spill
	s_wait_xcnt 0x0
	v_cmpx_ne_u16_e32 0x80, v24
	s_cbranch_execz .LBB287_961
; %bb.956:                              ;   in Loop: Header=BB287_15 Depth=1
	v_and_b32_e32 v0, 0xffff, v24
	v_mov_b32_e32 v6, 0x7c010000
	s_mov_b32 s14, exec_lo
	s_delay_alu instid0(VALU_DEP_2)
	v_and_b32_e32 v8, 0x7f, v0
	scratch_store_b32 off, v6, s32 offset:596 ; 4-byte Folded Spill
	s_wait_xcnt 0x0
	v_cmpx_ne_u32_e32 0x7f, v8
	s_cbranch_execz .LBB287_960
; %bb.957:                              ;   in Loop: Header=BB287_15 Depth=1
	v_and_b32_e32 v6, 7, v0
	v_lshrrev_b32_e32 v7, 3, v8
	s_mov_b32 s15, exec_lo
	v_cmpx_gt_u32_e32 8, v8
; %bb.958:                              ;   in Loop: Header=BB287_15 Depth=1
	s_delay_alu instid0(VALU_DEP_3) | instskip(NEXT) | instid1(VALU_DEP_1)
	v_clz_i32_u32_e32 v6, v6
	v_min_u32_e32 v8, 32, v6
	s_delay_alu instid0(VALU_DEP_1) | instskip(NEXT) | instid1(VALU_DEP_1)
	v_subrev_nc_u32_e32 v6, 28, v8
	v_lshlrev_b64_e32 v[6:7], v6, v[24:25]
	s_delay_alu instid0(VALU_DEP_1)
	v_dual_sub_nc_u32 v7, 29, v8 :: v_dual_bitop2_b32 v6, 7, v6 bitop3:0x40
; %bb.959:                              ;   in Loop: Header=BB287_15 Depth=1
	s_or_b32 exec_lo, exec_lo, s15
	s_delay_alu instid0(VALU_DEP_1) | instskip(NEXT) | instid1(VALU_DEP_2)
	v_dual_lshlrev_b32 v0, 8, v0 :: v_dual_lshlrev_b32 v6, 23, v6
	v_lshl_add_u32 v7, v7, 10, 0x2000
	s_delay_alu instid0(VALU_DEP_1) | instskip(NEXT) | instid1(VALU_DEP_1)
	v_and_or_b32 v0, 0x8000, v0, v7
	v_lshl_or_b32 v0, v0, 16, v6
	scratch_store_b32 off, v0, s32 offset:596 ; 4-byte Folded Spill
.LBB287_960:                            ;   in Loop: Header=BB287_15 Depth=1
	s_wait_xcnt 0x0
	s_or_b32 exec_lo, exec_lo, s14
.LBB287_961:                            ;   in Loop: Header=BB287_15 Depth=1
	s_delay_alu instid0(SALU_CYCLE_1)
	s_or_b32 exec_lo, exec_lo, s11
.LBB287_962:                            ;   in Loop: Header=BB287_15 Depth=1
	s_delay_alu instid0(SALU_CYCLE_1) | instskip(SKIP_2) | instid1(VALU_DEP_1)
	s_or_b32 exec_lo, exec_lo, s8
	v_lshrrev_b32_e32 v0, 16, v5
	s_mov_b32 s8, exec_lo
	v_and_b32_e32 v6, 0xff, v0
	s_delay_alu instid0(VALU_DEP_1)
	v_cmpx_ne_u16_e32 0, v6
	s_cbranch_execz .LBB287_970
; %bb.963:                              ;   in Loop: Header=BB287_15 Depth=1
	v_cmp_ne_u16_e64 s1, 0x80, v6
	v_mov_b32_e32 v6, 0x8000
	scratch_store_b32 off, v6, s32 offset:592 ; 4-byte Folded Spill
	s_wait_xcnt 0x0
	s_and_saveexec_b32 s11, s1
	s_cbranch_execz .LBB287_969
; %bb.964:                              ;   in Loop: Header=BB287_15 Depth=1
	v_bfe_u32 v8, v5, 16, 7
	v_mov_b32_e32 v6, 0x7c01
	s_mov_b32 s14, exec_lo
	scratch_store_b32 off, v6, s32 offset:592 ; 4-byte Folded Spill
	s_wait_xcnt 0x0
	v_cmpx_ne_u32_e32 0x7f, v8
	s_cbranch_execz .LBB287_968
; %bb.965:                              ;   in Loop: Header=BB287_15 Depth=1
	v_and_b32_e32 v6, 7, v0
	v_lshrrev_b32_e32 v7, 3, v8
	s_mov_b32 s15, exec_lo
	v_cmpx_gt_u32_e32 8, v8
; %bb.966:                              ;   in Loop: Header=BB287_15 Depth=1
	s_delay_alu instid0(VALU_DEP_3) | instskip(NEXT) | instid1(VALU_DEP_1)
	v_clz_i32_u32_e32 v6, v6
	v_min_u32_e32 v8, 32, v6
	s_delay_alu instid0(VALU_DEP_1) | instskip(NEXT) | instid1(VALU_DEP_1)
	v_subrev_nc_u32_e32 v6, 28, v8
	v_lshlrev_b64_e32 v[6:7], v6, v[0:1]
	s_delay_alu instid0(VALU_DEP_1)
	v_dual_sub_nc_u32 v7, 29, v8 :: v_dual_bitop2_b32 v6, 7, v6 bitop3:0x40
; %bb.967:                              ;   in Loop: Header=BB287_15 Depth=1
	s_or_b32 exec_lo, exec_lo, s15
	s_delay_alu instid0(VALU_DEP_1) | instskip(NEXT) | instid1(VALU_DEP_2)
	v_dual_lshlrev_b32 v0, 8, v0 :: v_dual_lshlrev_b32 v6, 7, v6
	v_lshl_add_u32 v7, v7, 10, 0x2000
	s_delay_alu instid0(VALU_DEP_2) | instskip(NEXT) | instid1(VALU_DEP_2)
	v_and_b32_e32 v0, 0x8000, v0
	v_and_b32_e32 v7, 0xfc00, v7
	s_delay_alu instid0(VALU_DEP_1)
	v_or3_b32 v0, v0, v7, v6
	scratch_store_b32 off, v0, s32 offset:592 ; 4-byte Folded Spill
.LBB287_968:                            ;   in Loop: Header=BB287_15 Depth=1
	s_wait_xcnt 0x0
	s_or_b32 exec_lo, exec_lo, s14
.LBB287_969:                            ;   in Loop: Header=BB287_15 Depth=1
	s_delay_alu instid0(SALU_CYCLE_1)
	s_or_b32 exec_lo, exec_lo, s11
.LBB287_970:                            ;   in Loop: Header=BB287_15 Depth=1
	s_delay_alu instid0(SALU_CYCLE_1)
	s_or_b32 exec_lo, exec_lo, s8
	v_mov_b32_e32 v0, 0
	s_mov_b32 s8, exec_lo
	scratch_store_b32 off, v0, s32 offset:600 ; 4-byte Folded Spill
	s_wait_xcnt 0x0
	v_mov_b32_e32 v0, 0
	scratch_store_b32 off, v0, s32 offset:604 ; 4-byte Folded Spill
	s_wait_xcnt 0x0
	v_cmpx_lt_u64_e64 s[4:5], v[4:5]
	s_cbranch_execz .LBB287_978
; %bb.971:                              ;   in Loop: Header=BB287_15 Depth=1
	v_lshrrev_b32_e32 v24, 24, v5
	v_bfrev_b32_e32 v0, 1
	s_mov_b32 s11, exec_lo
	scratch_store_b32 off, v0, s32 offset:604 ; 4-byte Folded Spill
	s_wait_xcnt 0x0
	v_cmpx_ne_u32_e32 0x80, v24
	s_cbranch_execz .LBB287_977
; %bb.972:                              ;   in Loop: Header=BB287_15 Depth=1
	v_and_b32_e32 v5, 0x7f, v24
	v_mov_b32_e32 v0, 0x7c010000
	s_mov_b32 s14, exec_lo
	scratch_store_b32 off, v0, s32 offset:604 ; 4-byte Folded Spill
	s_wait_xcnt 0x0
	v_cmpx_ne_u32_e32 0x7f, v5
	s_cbranch_execz .LBB287_976
; %bb.973:                              ;   in Loop: Header=BB287_15 Depth=1
	v_dual_lshrrev_b32 v4, 3, v5 :: v_dual_bitop2_b32 v0, 7, v24 bitop3:0x40
	s_mov_b32 s15, exec_lo
	v_cmpx_gt_u32_e32 8, v5
; %bb.974:                              ;   in Loop: Header=BB287_15 Depth=1
	s_delay_alu instid0(VALU_DEP_2) | instskip(NEXT) | instid1(VALU_DEP_1)
	v_clz_i32_u32_e32 v0, v0
	v_min_u32_e32 v0, 32, v0
	s_delay_alu instid0(VALU_DEP_1) | instskip(NEXT) | instid1(VALU_DEP_1)
	v_subrev_nc_u32_e32 v4, 28, v0
	v_lshlrev_b64_e32 v[6:7], v4, v[24:25]
	s_delay_alu instid0(VALU_DEP_1)
	v_dual_sub_nc_u32 v4, 29, v0 :: v_dual_bitop2_b32 v0, 7, v6 bitop3:0x40
; %bb.975:                              ;   in Loop: Header=BB287_15 Depth=1
	s_or_b32 exec_lo, exec_lo, s15
	v_lshlrev_b32_e32 v5, 8, v24
	s_delay_alu instid0(VALU_DEP_2) | instskip(NEXT) | instid1(VALU_DEP_3)
	v_lshl_add_u32 v4, v4, 10, 0x2000
	v_lshlrev_b32_e32 v0, 23, v0
	s_delay_alu instid0(VALU_DEP_2) | instskip(NEXT) | instid1(VALU_DEP_1)
	v_and_or_b32 v4, 0x8000, v5, v4
	v_lshl_or_b32 v0, v4, 16, v0
	scratch_store_b32 off, v0, s32 offset:604 ; 4-byte Folded Spill
.LBB287_976:                            ;   in Loop: Header=BB287_15 Depth=1
	s_wait_xcnt 0x0
	s_or_b32 exec_lo, exec_lo, s14
.LBB287_977:                            ;   in Loop: Header=BB287_15 Depth=1
	s_delay_alu instid0(SALU_CYCLE_1)
	s_or_b32 exec_lo, exec_lo, s11
.LBB287_978:                            ;   in Loop: Header=BB287_15 Depth=1
	s_delay_alu instid0(SALU_CYCLE_1)
	s_or_b32 exec_lo, exec_lo, s8
	flat_load_b64 v[4:5], v[2:3] offset:3592
	s_mov_b32 s8, exec_lo
	s_wait_loadcnt_dscnt 0x0
	v_and_b32_e32 v0, 0xff, v4
	s_wait_xcnt 0x0
	s_delay_alu instid0(VALU_DEP_1)
	v_cmpx_ne_u16_e32 0, v0
	s_cbranch_execz .LBB287_986
; %bb.979:                              ;   in Loop: Header=BB287_15 Depth=1
	v_cmp_ne_u16_e64 s1, 0x80, v0
	v_mov_b32_e32 v0, 0x8000
	scratch_store_b32 off, v0, s32 offset:600 ; 4-byte Folded Spill
	s_wait_xcnt 0x0
	s_and_saveexec_b32 s11, s1
	s_cbranch_execz .LBB287_985
; %bb.980:                              ;   in Loop: Header=BB287_15 Depth=1
	v_and_b32_e32 v7, 0x7f, v4
	v_mov_b32_e32 v0, 0x7c01
	s_mov_b32 s14, exec_lo
	scratch_store_b32 off, v0, s32 offset:600 ; 4-byte Folded Spill
	s_wait_xcnt 0x0
	v_cmpx_ne_u32_e32 0x7f, v7
	s_cbranch_execz .LBB287_984
; %bb.981:                              ;   in Loop: Header=BB287_15 Depth=1
	v_dual_lshrrev_b32 v6, 3, v7 :: v_dual_bitop2_b32 v0, 7, v4 bitop3:0x40
	s_mov_b32 s15, exec_lo
	v_cmpx_gt_u32_e32 8, v7
; %bb.982:                              ;   in Loop: Header=BB287_15 Depth=1
	s_delay_alu instid0(VALU_DEP_2) | instskip(NEXT) | instid1(VALU_DEP_1)
	v_clz_i32_u32_e32 v0, v0
	v_min_u32_e32 v0, 32, v0
	s_delay_alu instid0(VALU_DEP_1) | instskip(NEXT) | instid1(VALU_DEP_1)
	v_subrev_nc_u32_e32 v6, 28, v0
	v_lshlrev_b64_e32 v[8:9], v6, v[4:5]
	v_sub_nc_u32_e32 v6, 29, v0
	s_delay_alu instid0(VALU_DEP_2)
	v_and_b32_e32 v0, 7, v8
; %bb.983:                              ;   in Loop: Header=BB287_15 Depth=1
	s_or_b32 exec_lo, exec_lo, s15
	v_lshlrev_b32_e32 v7, 8, v4
	s_delay_alu instid0(VALU_DEP_3) | instskip(NEXT) | instid1(VALU_DEP_3)
	v_lshl_add_u32 v6, v6, 10, 0x2000
	v_lshlrev_b32_e32 v0, 7, v0
	s_delay_alu instid0(VALU_DEP_3) | instskip(NEXT) | instid1(VALU_DEP_3)
	v_and_b32_e32 v7, 0x8000, v7
	v_and_b32_e32 v6, 0xfc00, v6
	s_delay_alu instid0(VALU_DEP_1)
	v_or3_b32 v0, v7, v6, v0
	scratch_store_b32 off, v0, s32 offset:600 ; 4-byte Folded Spill
.LBB287_984:                            ;   in Loop: Header=BB287_15 Depth=1
	s_wait_xcnt 0x0
	s_or_b32 exec_lo, exec_lo, s14
.LBB287_985:                            ;   in Loop: Header=BB287_15 Depth=1
	s_delay_alu instid0(SALU_CYCLE_1)
	s_or_b32 exec_lo, exec_lo, s11
.LBB287_986:                            ;   in Loop: Header=BB287_15 Depth=1
	s_delay_alu instid0(SALU_CYCLE_1)
	s_or_b32 exec_lo, exec_lo, s8
	v_mov_b32_e32 v0, 0
	v_lshrrev_b16 v24, 8, v4
	s_mov_b32 s8, exec_lo
	scratch_store_b32 off, v0, s32 offset:608 ; 4-byte Folded Spill
	s_wait_xcnt 0x0
	v_mov_b32_e32 v0, 0
	scratch_store_b32 off, v0, s32 offset:612 ; 4-byte Folded Spill
	s_wait_xcnt 0x0
	v_cmpx_ne_u16_e32 0, v24
	s_cbranch_execz .LBB287_994
; %bb.987:                              ;   in Loop: Header=BB287_15 Depth=1
	v_bfrev_b32_e32 v0, 1
	s_mov_b32 s11, exec_lo
	scratch_store_b32 off, v0, s32 offset:612 ; 4-byte Folded Spill
	s_wait_xcnt 0x0
	v_cmpx_ne_u16_e32 0x80, v24
	s_cbranch_execz .LBB287_993
; %bb.988:                              ;   in Loop: Header=BB287_15 Depth=1
	v_and_b32_e32 v0, 0xffff, v24
	v_mov_b32_e32 v6, 0x7c010000
	s_mov_b32 s14, exec_lo
	s_delay_alu instid0(VALU_DEP_2)
	v_and_b32_e32 v8, 0x7f, v0
	scratch_store_b32 off, v6, s32 offset:612 ; 4-byte Folded Spill
	s_wait_xcnt 0x0
	v_cmpx_ne_u32_e32 0x7f, v8
	s_cbranch_execz .LBB287_992
; %bb.989:                              ;   in Loop: Header=BB287_15 Depth=1
	v_and_b32_e32 v6, 7, v0
	v_lshrrev_b32_e32 v7, 3, v8
	s_mov_b32 s15, exec_lo
	v_cmpx_gt_u32_e32 8, v8
; %bb.990:                              ;   in Loop: Header=BB287_15 Depth=1
	s_delay_alu instid0(VALU_DEP_3) | instskip(NEXT) | instid1(VALU_DEP_1)
	v_clz_i32_u32_e32 v6, v6
	v_min_u32_e32 v8, 32, v6
	s_delay_alu instid0(VALU_DEP_1) | instskip(NEXT) | instid1(VALU_DEP_1)
	v_subrev_nc_u32_e32 v6, 28, v8
	v_lshlrev_b64_e32 v[6:7], v6, v[24:25]
	s_delay_alu instid0(VALU_DEP_1)
	v_dual_sub_nc_u32 v7, 29, v8 :: v_dual_bitop2_b32 v6, 7, v6 bitop3:0x40
; %bb.991:                              ;   in Loop: Header=BB287_15 Depth=1
	s_or_b32 exec_lo, exec_lo, s15
	s_delay_alu instid0(VALU_DEP_1) | instskip(NEXT) | instid1(VALU_DEP_2)
	v_dual_lshlrev_b32 v0, 8, v0 :: v_dual_lshlrev_b32 v6, 23, v6
	v_lshl_add_u32 v7, v7, 10, 0x2000
	s_delay_alu instid0(VALU_DEP_1) | instskip(NEXT) | instid1(VALU_DEP_1)
	v_and_or_b32 v0, 0x8000, v0, v7
	v_lshl_or_b32 v0, v0, 16, v6
	scratch_store_b32 off, v0, s32 offset:612 ; 4-byte Folded Spill
.LBB287_992:                            ;   in Loop: Header=BB287_15 Depth=1
	s_wait_xcnt 0x0
	s_or_b32 exec_lo, exec_lo, s14
.LBB287_993:                            ;   in Loop: Header=BB287_15 Depth=1
	s_delay_alu instid0(SALU_CYCLE_1)
	s_or_b32 exec_lo, exec_lo, s11
.LBB287_994:                            ;   in Loop: Header=BB287_15 Depth=1
	s_delay_alu instid0(SALU_CYCLE_1) | instskip(SKIP_2) | instid1(VALU_DEP_1)
	s_or_b32 exec_lo, exec_lo, s8
	v_lshrrev_b32_e32 v0, 16, v4
	s_mov_b32 s8, exec_lo
	v_and_b32_e32 v6, 0xff, v0
	s_delay_alu instid0(VALU_DEP_1)
	v_cmpx_ne_u16_e32 0, v6
	s_cbranch_execz .LBB287_1002
; %bb.995:                              ;   in Loop: Header=BB287_15 Depth=1
	v_cmp_ne_u16_e64 s1, 0x80, v6
	v_mov_b32_e32 v6, 0x8000
	scratch_store_b32 off, v6, s32 offset:608 ; 4-byte Folded Spill
	s_wait_xcnt 0x0
	s_and_saveexec_b32 s11, s1
	s_cbranch_execz .LBB287_1001
; %bb.996:                              ;   in Loop: Header=BB287_15 Depth=1
	v_bfe_u32 v8, v4, 16, 7
	v_mov_b32_e32 v6, 0x7c01
	s_mov_b32 s14, exec_lo
	scratch_store_b32 off, v6, s32 offset:608 ; 4-byte Folded Spill
	s_wait_xcnt 0x0
	v_cmpx_ne_u32_e32 0x7f, v8
	s_cbranch_execz .LBB287_1000
; %bb.997:                              ;   in Loop: Header=BB287_15 Depth=1
	v_and_b32_e32 v6, 7, v0
	v_lshrrev_b32_e32 v7, 3, v8
	s_mov_b32 s15, exec_lo
	v_cmpx_gt_u32_e32 8, v8
; %bb.998:                              ;   in Loop: Header=BB287_15 Depth=1
	s_delay_alu instid0(VALU_DEP_3) | instskip(NEXT) | instid1(VALU_DEP_1)
	v_clz_i32_u32_e32 v6, v6
	v_min_u32_e32 v8, 32, v6
	s_delay_alu instid0(VALU_DEP_1) | instskip(NEXT) | instid1(VALU_DEP_1)
	v_subrev_nc_u32_e32 v6, 28, v8
	v_lshlrev_b64_e32 v[6:7], v6, v[0:1]
	s_delay_alu instid0(VALU_DEP_1)
	v_dual_sub_nc_u32 v7, 29, v8 :: v_dual_bitop2_b32 v6, 7, v6 bitop3:0x40
; %bb.999:                              ;   in Loop: Header=BB287_15 Depth=1
	s_or_b32 exec_lo, exec_lo, s15
	s_delay_alu instid0(VALU_DEP_1) | instskip(NEXT) | instid1(VALU_DEP_2)
	v_dual_lshlrev_b32 v0, 8, v0 :: v_dual_lshlrev_b32 v6, 7, v6
	v_lshl_add_u32 v7, v7, 10, 0x2000
	s_delay_alu instid0(VALU_DEP_2) | instskip(NEXT) | instid1(VALU_DEP_2)
	v_and_b32_e32 v0, 0x8000, v0
	v_and_b32_e32 v7, 0xfc00, v7
	s_delay_alu instid0(VALU_DEP_1)
	v_or3_b32 v0, v0, v7, v6
	scratch_store_b32 off, v0, s32 offset:608 ; 4-byte Folded Spill
.LBB287_1000:                           ;   in Loop: Header=BB287_15 Depth=1
	s_wait_xcnt 0x0
	s_or_b32 exec_lo, exec_lo, s14
.LBB287_1001:                           ;   in Loop: Header=BB287_15 Depth=1
	s_delay_alu instid0(SALU_CYCLE_1)
	s_or_b32 exec_lo, exec_lo, s11
.LBB287_1002:                           ;   in Loop: Header=BB287_15 Depth=1
	s_delay_alu instid0(SALU_CYCLE_1)
	s_or_b32 exec_lo, exec_lo, s8
	v_mov_b32_e32 v0, 0
	s_mov_b32 s8, exec_lo
	scratch_store_b32 off, v0, s32 offset:616 ; 4-byte Folded Spill
	s_wait_xcnt 0x0
	v_mov_b32_e32 v0, 0
	scratch_store_b32 off, v0, s32 offset:620 ; 4-byte Folded Spill
	s_wait_xcnt 0x0
	v_cmpx_lt_u32_e32 0xffffff, v4
	s_cbranch_execz .LBB287_1010
; %bb.1003:                             ;   in Loop: Header=BB287_15 Depth=1
	v_lshrrev_b32_e32 v24, 24, v4
	v_bfrev_b32_e32 v0, 1
	s_mov_b32 s11, exec_lo
	scratch_store_b32 off, v0, s32 offset:620 ; 4-byte Folded Spill
	s_wait_xcnt 0x0
	v_cmpx_ne_u32_e32 0x80, v24
	s_cbranch_execz .LBB287_1009
; %bb.1004:                             ;   in Loop: Header=BB287_15 Depth=1
	v_and_b32_e32 v7, 0x7f, v24
	v_mov_b32_e32 v0, 0x7c010000
	s_mov_b32 s14, exec_lo
	scratch_store_b32 off, v0, s32 offset:620 ; 4-byte Folded Spill
	s_wait_xcnt 0x0
	v_cmpx_ne_u32_e32 0x7f, v7
	s_cbranch_execz .LBB287_1008
; %bb.1005:                             ;   in Loop: Header=BB287_15 Depth=1
	v_dual_lshrrev_b32 v6, 3, v7 :: v_dual_bitop2_b32 v0, 7, v24 bitop3:0x40
	s_mov_b32 s15, exec_lo
	v_cmpx_gt_u32_e32 8, v7
; %bb.1006:                             ;   in Loop: Header=BB287_15 Depth=1
	s_delay_alu instid0(VALU_DEP_2) | instskip(NEXT) | instid1(VALU_DEP_1)
	v_clz_i32_u32_e32 v0, v0
	v_min_u32_e32 v0, 32, v0
	s_delay_alu instid0(VALU_DEP_1) | instskip(NEXT) | instid1(VALU_DEP_1)
	v_subrev_nc_u32_e32 v6, 28, v0
	v_lshlrev_b64_e32 v[8:9], v6, v[24:25]
	v_sub_nc_u32_e32 v6, 29, v0
	s_delay_alu instid0(VALU_DEP_2)
	v_and_b32_e32 v0, 7, v8
; %bb.1007:                             ;   in Loop: Header=BB287_15 Depth=1
	s_or_b32 exec_lo, exec_lo, s15
	v_lshlrev_b32_e32 v7, 8, v24
	s_delay_alu instid0(VALU_DEP_3) | instskip(NEXT) | instid1(VALU_DEP_3)
	v_lshl_add_u32 v6, v6, 10, 0x2000
	v_lshlrev_b32_e32 v0, 23, v0
	s_delay_alu instid0(VALU_DEP_2) | instskip(NEXT) | instid1(VALU_DEP_1)
	v_and_or_b32 v6, 0x8000, v7, v6
	v_lshl_or_b32 v0, v6, 16, v0
	scratch_store_b32 off, v0, s32 offset:620 ; 4-byte Folded Spill
.LBB287_1008:                           ;   in Loop: Header=BB287_15 Depth=1
	s_wait_xcnt 0x0
	s_or_b32 exec_lo, exec_lo, s14
.LBB287_1009:                           ;   in Loop: Header=BB287_15 Depth=1
	s_delay_alu instid0(SALU_CYCLE_1)
	s_or_b32 exec_lo, exec_lo, s11
.LBB287_1010:                           ;   in Loop: Header=BB287_15 Depth=1
	s_delay_alu instid0(SALU_CYCLE_1) | instskip(SKIP_3) | instid1(VALU_DEP_2)
	s_or_b32 exec_lo, exec_lo, s8
	v_and_b32_e32 v0, 0xff, v5
	v_mov_b32_e32 v24, v5
	s_mov_b32 s8, exec_lo
	v_cmpx_ne_u16_e32 0, v0
	s_cbranch_execz .LBB287_1018
; %bb.1011:                             ;   in Loop: Header=BB287_15 Depth=1
	v_cmp_ne_u16_e64 s1, 0x80, v0
	v_mov_b32_e32 v0, 0x8000
	scratch_store_b32 off, v0, s32 offset:616 ; 4-byte Folded Spill
	s_wait_xcnt 0x0
	s_and_saveexec_b32 s11, s1
	s_cbranch_execz .LBB287_1017
; %bb.1012:                             ;   in Loop: Header=BB287_15 Depth=1
	v_and_b32_e32 v7, 0x7f, v5
	v_mov_b32_e32 v0, 0x7c01
	s_mov_b32 s14, exec_lo
	scratch_store_b32 off, v0, s32 offset:616 ; 4-byte Folded Spill
	s_wait_xcnt 0x0
	v_cmpx_ne_u32_e32 0x7f, v7
	s_cbranch_execz .LBB287_1016
; %bb.1013:                             ;   in Loop: Header=BB287_15 Depth=1
	v_dual_lshrrev_b32 v6, 3, v7 :: v_dual_bitop2_b32 v0, 7, v5 bitop3:0x40
	s_mov_b32 s15, exec_lo
	v_cmpx_gt_u32_e32 8, v7
; %bb.1014:                             ;   in Loop: Header=BB287_15 Depth=1
	s_delay_alu instid0(VALU_DEP_2) | instskip(NEXT) | instid1(VALU_DEP_1)
	v_clz_i32_u32_e32 v0, v0
	v_min_u32_e32 v0, 32, v0
	s_delay_alu instid0(VALU_DEP_1) | instskip(NEXT) | instid1(VALU_DEP_1)
	v_subrev_nc_u32_e32 v6, 28, v0
	v_lshlrev_b64_e32 v[8:9], v6, v[24:25]
	v_sub_nc_u32_e32 v6, 29, v0
	s_delay_alu instid0(VALU_DEP_2)
	v_and_b32_e32 v0, 7, v8
; %bb.1015:                             ;   in Loop: Header=BB287_15 Depth=1
	s_or_b32 exec_lo, exec_lo, s15
	s_delay_alu instid0(VALU_DEP_1) | instskip(NEXT) | instid1(VALU_DEP_3)
	v_dual_lshlrev_b32 v7, 8, v5 :: v_dual_lshlrev_b32 v0, 7, v0
	v_lshl_add_u32 v6, v6, 10, 0x2000
	s_delay_alu instid0(VALU_DEP_2) | instskip(NEXT) | instid1(VALU_DEP_2)
	v_and_b32_e32 v7, 0x8000, v7
	v_and_b32_e32 v6, 0xfc00, v6
	s_delay_alu instid0(VALU_DEP_1)
	v_or3_b32 v0, v7, v6, v0
	scratch_store_b32 off, v0, s32 offset:616 ; 4-byte Folded Spill
.LBB287_1016:                           ;   in Loop: Header=BB287_15 Depth=1
	s_wait_xcnt 0x0
	s_or_b32 exec_lo, exec_lo, s14
.LBB287_1017:                           ;   in Loop: Header=BB287_15 Depth=1
	s_delay_alu instid0(SALU_CYCLE_1)
	s_or_b32 exec_lo, exec_lo, s11
.LBB287_1018:                           ;   in Loop: Header=BB287_15 Depth=1
	s_delay_alu instid0(SALU_CYCLE_1)
	s_or_b32 exec_lo, exec_lo, s8
	v_mov_b32_e32 v0, 0
	v_lshrrev_b16 v24, 8, v24
	s_mov_b32 s8, exec_lo
	scratch_store_b32 off, v0, s32 offset:624 ; 4-byte Folded Spill
	s_wait_xcnt 0x0
	v_mov_b32_e32 v0, 0
	scratch_store_b32 off, v0, s32 offset:628 ; 4-byte Folded Spill
	s_wait_xcnt 0x0
	v_cmpx_ne_u16_e32 0, v24
	s_cbranch_execz .LBB287_1026
; %bb.1019:                             ;   in Loop: Header=BB287_15 Depth=1
	v_bfrev_b32_e32 v0, 1
	s_mov_b32 s11, exec_lo
	scratch_store_b32 off, v0, s32 offset:628 ; 4-byte Folded Spill
	s_wait_xcnt 0x0
	v_cmpx_ne_u16_e32 0x80, v24
	s_cbranch_execz .LBB287_1025
; %bb.1020:                             ;   in Loop: Header=BB287_15 Depth=1
	v_and_b32_e32 v0, 0xffff, v24
	v_mov_b32_e32 v6, 0x7c010000
	s_mov_b32 s14, exec_lo
	s_delay_alu instid0(VALU_DEP_2)
	v_and_b32_e32 v8, 0x7f, v0
	scratch_store_b32 off, v6, s32 offset:628 ; 4-byte Folded Spill
	s_wait_xcnt 0x0
	v_cmpx_ne_u32_e32 0x7f, v8
	s_cbranch_execz .LBB287_1024
; %bb.1021:                             ;   in Loop: Header=BB287_15 Depth=1
	v_and_b32_e32 v6, 7, v0
	v_lshrrev_b32_e32 v7, 3, v8
	s_mov_b32 s15, exec_lo
	v_cmpx_gt_u32_e32 8, v8
; %bb.1022:                             ;   in Loop: Header=BB287_15 Depth=1
	s_delay_alu instid0(VALU_DEP_3) | instskip(NEXT) | instid1(VALU_DEP_1)
	v_clz_i32_u32_e32 v6, v6
	v_min_u32_e32 v8, 32, v6
	s_delay_alu instid0(VALU_DEP_1) | instskip(NEXT) | instid1(VALU_DEP_1)
	v_subrev_nc_u32_e32 v6, 28, v8
	v_lshlrev_b64_e32 v[6:7], v6, v[24:25]
	s_delay_alu instid0(VALU_DEP_1)
	v_dual_sub_nc_u32 v7, 29, v8 :: v_dual_bitop2_b32 v6, 7, v6 bitop3:0x40
; %bb.1023:                             ;   in Loop: Header=BB287_15 Depth=1
	s_or_b32 exec_lo, exec_lo, s15
	s_delay_alu instid0(VALU_DEP_1) | instskip(NEXT) | instid1(VALU_DEP_2)
	v_dual_lshlrev_b32 v0, 8, v0 :: v_dual_lshlrev_b32 v6, 23, v6
	v_lshl_add_u32 v7, v7, 10, 0x2000
	s_delay_alu instid0(VALU_DEP_1) | instskip(NEXT) | instid1(VALU_DEP_1)
	v_and_or_b32 v0, 0x8000, v0, v7
	v_lshl_or_b32 v0, v0, 16, v6
	scratch_store_b32 off, v0, s32 offset:628 ; 4-byte Folded Spill
.LBB287_1024:                           ;   in Loop: Header=BB287_15 Depth=1
	s_wait_xcnt 0x0
	s_or_b32 exec_lo, exec_lo, s14
.LBB287_1025:                           ;   in Loop: Header=BB287_15 Depth=1
	s_delay_alu instid0(SALU_CYCLE_1)
	s_or_b32 exec_lo, exec_lo, s11
.LBB287_1026:                           ;   in Loop: Header=BB287_15 Depth=1
	s_delay_alu instid0(SALU_CYCLE_1) | instskip(SKIP_2) | instid1(VALU_DEP_1)
	s_or_b32 exec_lo, exec_lo, s8
	v_lshrrev_b32_e32 v0, 16, v5
	s_mov_b32 s8, exec_lo
	v_and_b32_e32 v6, 0xff, v0
	s_delay_alu instid0(VALU_DEP_1)
	v_cmpx_ne_u16_e32 0, v6
	s_cbranch_execz .LBB287_1034
; %bb.1027:                             ;   in Loop: Header=BB287_15 Depth=1
	v_cmp_ne_u16_e64 s1, 0x80, v6
	v_mov_b32_e32 v6, 0x8000
	scratch_store_b32 off, v6, s32 offset:624 ; 4-byte Folded Spill
	s_wait_xcnt 0x0
	s_and_saveexec_b32 s11, s1
	s_cbranch_execz .LBB287_1033
; %bb.1028:                             ;   in Loop: Header=BB287_15 Depth=1
	v_bfe_u32 v8, v5, 16, 7
	v_mov_b32_e32 v6, 0x7c01
	s_mov_b32 s14, exec_lo
	scratch_store_b32 off, v6, s32 offset:624 ; 4-byte Folded Spill
	s_wait_xcnt 0x0
	v_cmpx_ne_u32_e32 0x7f, v8
	s_cbranch_execz .LBB287_1032
; %bb.1029:                             ;   in Loop: Header=BB287_15 Depth=1
	v_and_b32_e32 v6, 7, v0
	v_lshrrev_b32_e32 v7, 3, v8
	s_mov_b32 s15, exec_lo
	v_cmpx_gt_u32_e32 8, v8
; %bb.1030:                             ;   in Loop: Header=BB287_15 Depth=1
	s_delay_alu instid0(VALU_DEP_3) | instskip(NEXT) | instid1(VALU_DEP_1)
	v_clz_i32_u32_e32 v6, v6
	v_min_u32_e32 v8, 32, v6
	s_delay_alu instid0(VALU_DEP_1) | instskip(NEXT) | instid1(VALU_DEP_1)
	v_subrev_nc_u32_e32 v6, 28, v8
	v_lshlrev_b64_e32 v[6:7], v6, v[0:1]
	s_delay_alu instid0(VALU_DEP_1)
	v_dual_sub_nc_u32 v7, 29, v8 :: v_dual_bitop2_b32 v6, 7, v6 bitop3:0x40
; %bb.1031:                             ;   in Loop: Header=BB287_15 Depth=1
	s_or_b32 exec_lo, exec_lo, s15
	s_delay_alu instid0(VALU_DEP_1) | instskip(NEXT) | instid1(VALU_DEP_2)
	v_dual_lshlrev_b32 v0, 8, v0 :: v_dual_lshlrev_b32 v6, 7, v6
	v_lshl_add_u32 v7, v7, 10, 0x2000
	s_delay_alu instid0(VALU_DEP_2) | instskip(NEXT) | instid1(VALU_DEP_2)
	v_and_b32_e32 v0, 0x8000, v0
	v_and_b32_e32 v7, 0xfc00, v7
	s_delay_alu instid0(VALU_DEP_1)
	v_or3_b32 v0, v0, v7, v6
	scratch_store_b32 off, v0, s32 offset:624 ; 4-byte Folded Spill
.LBB287_1032:                           ;   in Loop: Header=BB287_15 Depth=1
	s_wait_xcnt 0x0
	s_or_b32 exec_lo, exec_lo, s14
.LBB287_1033:                           ;   in Loop: Header=BB287_15 Depth=1
	s_delay_alu instid0(SALU_CYCLE_1)
	s_or_b32 exec_lo, exec_lo, s11
.LBB287_1034:                           ;   in Loop: Header=BB287_15 Depth=1
	s_delay_alu instid0(SALU_CYCLE_1)
	s_or_b32 exec_lo, exec_lo, s8
	v_mov_b32_e32 v0, 0
	s_mov_b32 s8, exec_lo
	scratch_store_b32 off, v0, s32 offset:632 ; 4-byte Folded Spill
	s_wait_xcnt 0x0
	v_mov_b32_e32 v0, 0
	scratch_store_b32 off, v0, s32 offset:636 ; 4-byte Folded Spill
	s_wait_xcnt 0x0
	v_cmpx_lt_u64_e64 s[4:5], v[4:5]
	s_cbranch_execz .LBB287_1042
; %bb.1035:                             ;   in Loop: Header=BB287_15 Depth=1
	v_lshrrev_b32_e32 v24, 24, v5
	v_bfrev_b32_e32 v0, 1
	s_mov_b32 s11, exec_lo
	scratch_store_b32 off, v0, s32 offset:636 ; 4-byte Folded Spill
	s_wait_xcnt 0x0
	v_cmpx_ne_u32_e32 0x80, v24
	s_cbranch_execz .LBB287_1041
; %bb.1036:                             ;   in Loop: Header=BB287_15 Depth=1
	v_and_b32_e32 v5, 0x7f, v24
	v_mov_b32_e32 v0, 0x7c010000
	s_mov_b32 s14, exec_lo
	scratch_store_b32 off, v0, s32 offset:636 ; 4-byte Folded Spill
	s_wait_xcnt 0x0
	v_cmpx_ne_u32_e32 0x7f, v5
	s_cbranch_execz .LBB287_1040
; %bb.1037:                             ;   in Loop: Header=BB287_15 Depth=1
	v_dual_lshrrev_b32 v4, 3, v5 :: v_dual_bitop2_b32 v0, 7, v24 bitop3:0x40
	s_mov_b32 s15, exec_lo
	v_cmpx_gt_u32_e32 8, v5
; %bb.1038:                             ;   in Loop: Header=BB287_15 Depth=1
	s_delay_alu instid0(VALU_DEP_2) | instskip(NEXT) | instid1(VALU_DEP_1)
	v_clz_i32_u32_e32 v0, v0
	v_min_u32_e32 v0, 32, v0
	s_delay_alu instid0(VALU_DEP_1) | instskip(NEXT) | instid1(VALU_DEP_1)
	v_subrev_nc_u32_e32 v4, 28, v0
	v_lshlrev_b64_e32 v[6:7], v4, v[24:25]
	s_delay_alu instid0(VALU_DEP_1)
	v_dual_sub_nc_u32 v4, 29, v0 :: v_dual_bitop2_b32 v0, 7, v6 bitop3:0x40
; %bb.1039:                             ;   in Loop: Header=BB287_15 Depth=1
	s_or_b32 exec_lo, exec_lo, s15
	v_lshlrev_b32_e32 v5, 8, v24
	s_delay_alu instid0(VALU_DEP_2) | instskip(NEXT) | instid1(VALU_DEP_3)
	v_lshl_add_u32 v4, v4, 10, 0x2000
	v_lshlrev_b32_e32 v0, 23, v0
	s_delay_alu instid0(VALU_DEP_2) | instskip(NEXT) | instid1(VALU_DEP_1)
	v_and_or_b32 v4, 0x8000, v5, v4
	v_lshl_or_b32 v0, v4, 16, v0
	scratch_store_b32 off, v0, s32 offset:636 ; 4-byte Folded Spill
.LBB287_1040:                           ;   in Loop: Header=BB287_15 Depth=1
	s_wait_xcnt 0x0
	s_or_b32 exec_lo, exec_lo, s14
.LBB287_1041:                           ;   in Loop: Header=BB287_15 Depth=1
	s_delay_alu instid0(SALU_CYCLE_1)
	s_or_b32 exec_lo, exec_lo, s11
.LBB287_1042:                           ;   in Loop: Header=BB287_15 Depth=1
	s_delay_alu instid0(SALU_CYCLE_1)
	s_or_b32 exec_lo, exec_lo, s8
	flat_load_b64 v[4:5], v[2:3] offset:4096
	s_mov_b32 s8, exec_lo
	s_wait_loadcnt_dscnt 0x0
	v_and_b32_e32 v0, 0xff, v4
	s_wait_xcnt 0x0
	s_delay_alu instid0(VALU_DEP_1)
	v_cmpx_ne_u16_e32 0, v0
	s_cbranch_execz .LBB287_1050
; %bb.1043:                             ;   in Loop: Header=BB287_15 Depth=1
	v_cmp_ne_u16_e64 s1, 0x80, v0
	v_mov_b32_e32 v0, 0x8000
	scratch_store_b32 off, v0, s32 offset:632 ; 4-byte Folded Spill
	s_wait_xcnt 0x0
	s_and_saveexec_b32 s11, s1
	s_cbranch_execz .LBB287_1049
; %bb.1044:                             ;   in Loop: Header=BB287_15 Depth=1
	v_and_b32_e32 v7, 0x7f, v4
	v_mov_b32_e32 v0, 0x7c01
	s_mov_b32 s14, exec_lo
	scratch_store_b32 off, v0, s32 offset:632 ; 4-byte Folded Spill
	s_wait_xcnt 0x0
	v_cmpx_ne_u32_e32 0x7f, v7
	s_cbranch_execz .LBB287_1048
; %bb.1045:                             ;   in Loop: Header=BB287_15 Depth=1
	v_dual_lshrrev_b32 v6, 3, v7 :: v_dual_bitop2_b32 v0, 7, v4 bitop3:0x40
	s_mov_b32 s15, exec_lo
	v_cmpx_gt_u32_e32 8, v7
; %bb.1046:                             ;   in Loop: Header=BB287_15 Depth=1
	s_delay_alu instid0(VALU_DEP_2) | instskip(NEXT) | instid1(VALU_DEP_1)
	v_clz_i32_u32_e32 v0, v0
	v_min_u32_e32 v0, 32, v0
	s_delay_alu instid0(VALU_DEP_1) | instskip(NEXT) | instid1(VALU_DEP_1)
	v_subrev_nc_u32_e32 v6, 28, v0
	v_lshlrev_b64_e32 v[8:9], v6, v[4:5]
	v_sub_nc_u32_e32 v6, 29, v0
	s_delay_alu instid0(VALU_DEP_2)
	v_and_b32_e32 v0, 7, v8
; %bb.1047:                             ;   in Loop: Header=BB287_15 Depth=1
	s_or_b32 exec_lo, exec_lo, s15
	v_lshlrev_b32_e32 v7, 8, v4
	s_delay_alu instid0(VALU_DEP_3) | instskip(NEXT) | instid1(VALU_DEP_3)
	v_lshl_add_u32 v6, v6, 10, 0x2000
	v_lshlrev_b32_e32 v0, 7, v0
	s_delay_alu instid0(VALU_DEP_3) | instskip(NEXT) | instid1(VALU_DEP_3)
	v_and_b32_e32 v7, 0x8000, v7
	v_and_b32_e32 v6, 0xfc00, v6
	s_delay_alu instid0(VALU_DEP_1)
	v_or3_b32 v0, v7, v6, v0
	scratch_store_b32 off, v0, s32 offset:632 ; 4-byte Folded Spill
.LBB287_1048:                           ;   in Loop: Header=BB287_15 Depth=1
	s_wait_xcnt 0x0
	s_or_b32 exec_lo, exec_lo, s14
.LBB287_1049:                           ;   in Loop: Header=BB287_15 Depth=1
	s_delay_alu instid0(SALU_CYCLE_1)
	s_or_b32 exec_lo, exec_lo, s11
.LBB287_1050:                           ;   in Loop: Header=BB287_15 Depth=1
	s_delay_alu instid0(SALU_CYCLE_1)
	s_or_b32 exec_lo, exec_lo, s8
	v_mov_b32_e32 v0, 0
	v_lshrrev_b16 v24, 8, v4
	s_mov_b32 s8, exec_lo
	scratch_store_b32 off, v0, s32 offset:640 ; 4-byte Folded Spill
	s_wait_xcnt 0x0
	v_mov_b32_e32 v0, 0
	scratch_store_b32 off, v0, s32 offset:644 ; 4-byte Folded Spill
	s_wait_xcnt 0x0
	v_cmpx_ne_u16_e32 0, v24
	s_cbranch_execz .LBB287_1058
; %bb.1051:                             ;   in Loop: Header=BB287_15 Depth=1
	v_bfrev_b32_e32 v0, 1
	s_mov_b32 s11, exec_lo
	scratch_store_b32 off, v0, s32 offset:644 ; 4-byte Folded Spill
	s_wait_xcnt 0x0
	v_cmpx_ne_u16_e32 0x80, v24
	s_cbranch_execz .LBB287_1057
; %bb.1052:                             ;   in Loop: Header=BB287_15 Depth=1
	v_and_b32_e32 v0, 0xffff, v24
	v_mov_b32_e32 v6, 0x7c010000
	s_mov_b32 s14, exec_lo
	s_delay_alu instid0(VALU_DEP_2)
	v_and_b32_e32 v8, 0x7f, v0
	scratch_store_b32 off, v6, s32 offset:644 ; 4-byte Folded Spill
	s_wait_xcnt 0x0
	v_cmpx_ne_u32_e32 0x7f, v8
	s_cbranch_execz .LBB287_1056
; %bb.1053:                             ;   in Loop: Header=BB287_15 Depth=1
	v_and_b32_e32 v6, 7, v0
	v_lshrrev_b32_e32 v7, 3, v8
	s_mov_b32 s15, exec_lo
	v_cmpx_gt_u32_e32 8, v8
; %bb.1054:                             ;   in Loop: Header=BB287_15 Depth=1
	s_delay_alu instid0(VALU_DEP_3) | instskip(NEXT) | instid1(VALU_DEP_1)
	v_clz_i32_u32_e32 v6, v6
	v_min_u32_e32 v8, 32, v6
	s_delay_alu instid0(VALU_DEP_1) | instskip(NEXT) | instid1(VALU_DEP_1)
	v_subrev_nc_u32_e32 v6, 28, v8
	v_lshlrev_b64_e32 v[6:7], v6, v[24:25]
	s_delay_alu instid0(VALU_DEP_1)
	v_dual_sub_nc_u32 v7, 29, v8 :: v_dual_bitop2_b32 v6, 7, v6 bitop3:0x40
; %bb.1055:                             ;   in Loop: Header=BB287_15 Depth=1
	s_or_b32 exec_lo, exec_lo, s15
	s_delay_alu instid0(VALU_DEP_1) | instskip(NEXT) | instid1(VALU_DEP_2)
	v_dual_lshlrev_b32 v0, 8, v0 :: v_dual_lshlrev_b32 v6, 23, v6
	v_lshl_add_u32 v7, v7, 10, 0x2000
	s_delay_alu instid0(VALU_DEP_1) | instskip(NEXT) | instid1(VALU_DEP_1)
	v_and_or_b32 v0, 0x8000, v0, v7
	v_lshl_or_b32 v0, v0, 16, v6
	scratch_store_b32 off, v0, s32 offset:644 ; 4-byte Folded Spill
.LBB287_1056:                           ;   in Loop: Header=BB287_15 Depth=1
	s_wait_xcnt 0x0
	s_or_b32 exec_lo, exec_lo, s14
.LBB287_1057:                           ;   in Loop: Header=BB287_15 Depth=1
	s_delay_alu instid0(SALU_CYCLE_1)
	s_or_b32 exec_lo, exec_lo, s11
.LBB287_1058:                           ;   in Loop: Header=BB287_15 Depth=1
	s_delay_alu instid0(SALU_CYCLE_1) | instskip(SKIP_2) | instid1(VALU_DEP_1)
	s_or_b32 exec_lo, exec_lo, s8
	v_lshrrev_b32_e32 v0, 16, v4
	s_mov_b32 s8, exec_lo
	v_and_b32_e32 v6, 0xff, v0
	s_delay_alu instid0(VALU_DEP_1)
	v_cmpx_ne_u16_e32 0, v6
	s_cbranch_execz .LBB287_1066
; %bb.1059:                             ;   in Loop: Header=BB287_15 Depth=1
	v_cmp_ne_u16_e64 s1, 0x80, v6
	v_mov_b32_e32 v6, 0x8000
	scratch_store_b32 off, v6, s32 offset:640 ; 4-byte Folded Spill
	s_wait_xcnt 0x0
	s_and_saveexec_b32 s11, s1
	s_cbranch_execz .LBB287_1065
; %bb.1060:                             ;   in Loop: Header=BB287_15 Depth=1
	v_bfe_u32 v8, v4, 16, 7
	v_mov_b32_e32 v6, 0x7c01
	s_mov_b32 s14, exec_lo
	scratch_store_b32 off, v6, s32 offset:640 ; 4-byte Folded Spill
	s_wait_xcnt 0x0
	v_cmpx_ne_u32_e32 0x7f, v8
	s_cbranch_execz .LBB287_1064
; %bb.1061:                             ;   in Loop: Header=BB287_15 Depth=1
	v_and_b32_e32 v6, 7, v0
	v_lshrrev_b32_e32 v7, 3, v8
	s_mov_b32 s15, exec_lo
	v_cmpx_gt_u32_e32 8, v8
; %bb.1062:                             ;   in Loop: Header=BB287_15 Depth=1
	s_delay_alu instid0(VALU_DEP_3) | instskip(NEXT) | instid1(VALU_DEP_1)
	v_clz_i32_u32_e32 v6, v6
	v_min_u32_e32 v8, 32, v6
	s_delay_alu instid0(VALU_DEP_1) | instskip(NEXT) | instid1(VALU_DEP_1)
	v_subrev_nc_u32_e32 v6, 28, v8
	v_lshlrev_b64_e32 v[6:7], v6, v[0:1]
	s_delay_alu instid0(VALU_DEP_1)
	v_dual_sub_nc_u32 v7, 29, v8 :: v_dual_bitop2_b32 v6, 7, v6 bitop3:0x40
; %bb.1063:                             ;   in Loop: Header=BB287_15 Depth=1
	s_or_b32 exec_lo, exec_lo, s15
	s_delay_alu instid0(VALU_DEP_1) | instskip(NEXT) | instid1(VALU_DEP_2)
	v_dual_lshlrev_b32 v0, 8, v0 :: v_dual_lshlrev_b32 v6, 7, v6
	v_lshl_add_u32 v7, v7, 10, 0x2000
	s_delay_alu instid0(VALU_DEP_2) | instskip(NEXT) | instid1(VALU_DEP_2)
	v_and_b32_e32 v0, 0x8000, v0
	v_and_b32_e32 v7, 0xfc00, v7
	s_delay_alu instid0(VALU_DEP_1)
	v_or3_b32 v0, v0, v7, v6
	scratch_store_b32 off, v0, s32 offset:640 ; 4-byte Folded Spill
.LBB287_1064:                           ;   in Loop: Header=BB287_15 Depth=1
	s_wait_xcnt 0x0
	s_or_b32 exec_lo, exec_lo, s14
.LBB287_1065:                           ;   in Loop: Header=BB287_15 Depth=1
	s_delay_alu instid0(SALU_CYCLE_1)
	s_or_b32 exec_lo, exec_lo, s11
.LBB287_1066:                           ;   in Loop: Header=BB287_15 Depth=1
	s_delay_alu instid0(SALU_CYCLE_1)
	s_or_b32 exec_lo, exec_lo, s8
	v_mov_b32_e32 v0, 0
	s_mov_b32 s8, exec_lo
	scratch_store_b32 off, v0, s32 offset:648 ; 4-byte Folded Spill
	s_wait_xcnt 0x0
	v_mov_b32_e32 v0, 0
	scratch_store_b32 off, v0, s32 offset:652 ; 4-byte Folded Spill
	s_wait_xcnt 0x0
	v_cmpx_lt_u32_e32 0xffffff, v4
	s_cbranch_execz .LBB287_1074
; %bb.1067:                             ;   in Loop: Header=BB287_15 Depth=1
	v_lshrrev_b32_e32 v24, 24, v4
	v_bfrev_b32_e32 v0, 1
	s_mov_b32 s11, exec_lo
	scratch_store_b32 off, v0, s32 offset:652 ; 4-byte Folded Spill
	s_wait_xcnt 0x0
	v_cmpx_ne_u32_e32 0x80, v24
	s_cbranch_execz .LBB287_1073
; %bb.1068:                             ;   in Loop: Header=BB287_15 Depth=1
	v_and_b32_e32 v7, 0x7f, v24
	v_mov_b32_e32 v0, 0x7c010000
	s_mov_b32 s14, exec_lo
	scratch_store_b32 off, v0, s32 offset:652 ; 4-byte Folded Spill
	s_wait_xcnt 0x0
	v_cmpx_ne_u32_e32 0x7f, v7
	s_cbranch_execz .LBB287_1072
; %bb.1069:                             ;   in Loop: Header=BB287_15 Depth=1
	v_dual_lshrrev_b32 v6, 3, v7 :: v_dual_bitop2_b32 v0, 7, v24 bitop3:0x40
	s_mov_b32 s15, exec_lo
	v_cmpx_gt_u32_e32 8, v7
; %bb.1070:                             ;   in Loop: Header=BB287_15 Depth=1
	s_delay_alu instid0(VALU_DEP_2) | instskip(NEXT) | instid1(VALU_DEP_1)
	v_clz_i32_u32_e32 v0, v0
	v_min_u32_e32 v0, 32, v0
	s_delay_alu instid0(VALU_DEP_1) | instskip(NEXT) | instid1(VALU_DEP_1)
	v_subrev_nc_u32_e32 v6, 28, v0
	v_lshlrev_b64_e32 v[8:9], v6, v[24:25]
	v_sub_nc_u32_e32 v6, 29, v0
	s_delay_alu instid0(VALU_DEP_2)
	v_and_b32_e32 v0, 7, v8
; %bb.1071:                             ;   in Loop: Header=BB287_15 Depth=1
	s_or_b32 exec_lo, exec_lo, s15
	v_lshlrev_b32_e32 v7, 8, v24
	s_delay_alu instid0(VALU_DEP_3) | instskip(NEXT) | instid1(VALU_DEP_3)
	v_lshl_add_u32 v6, v6, 10, 0x2000
	v_lshlrev_b32_e32 v0, 23, v0
	s_delay_alu instid0(VALU_DEP_2) | instskip(NEXT) | instid1(VALU_DEP_1)
	v_and_or_b32 v6, 0x8000, v7, v6
	v_lshl_or_b32 v0, v6, 16, v0
	scratch_store_b32 off, v0, s32 offset:652 ; 4-byte Folded Spill
.LBB287_1072:                           ;   in Loop: Header=BB287_15 Depth=1
	s_wait_xcnt 0x0
	s_or_b32 exec_lo, exec_lo, s14
.LBB287_1073:                           ;   in Loop: Header=BB287_15 Depth=1
	s_delay_alu instid0(SALU_CYCLE_1)
	s_or_b32 exec_lo, exec_lo, s11
.LBB287_1074:                           ;   in Loop: Header=BB287_15 Depth=1
	s_delay_alu instid0(SALU_CYCLE_1) | instskip(SKIP_3) | instid1(VALU_DEP_2)
	s_or_b32 exec_lo, exec_lo, s8
	v_and_b32_e32 v0, 0xff, v5
	v_mov_b32_e32 v24, v5
	s_mov_b32 s8, exec_lo
	v_cmpx_ne_u16_e32 0, v0
	s_cbranch_execz .LBB287_1082
; %bb.1075:                             ;   in Loop: Header=BB287_15 Depth=1
	v_cmp_ne_u16_e64 s1, 0x80, v0
	v_mov_b32_e32 v0, 0x8000
	scratch_store_b32 off, v0, s32 offset:648 ; 4-byte Folded Spill
	s_wait_xcnt 0x0
	s_and_saveexec_b32 s11, s1
	s_cbranch_execz .LBB287_1081
; %bb.1076:                             ;   in Loop: Header=BB287_15 Depth=1
	v_and_b32_e32 v7, 0x7f, v5
	v_mov_b32_e32 v0, 0x7c01
	s_mov_b32 s14, exec_lo
	scratch_store_b32 off, v0, s32 offset:648 ; 4-byte Folded Spill
	s_wait_xcnt 0x0
	v_cmpx_ne_u32_e32 0x7f, v7
	s_cbranch_execz .LBB287_1080
; %bb.1077:                             ;   in Loop: Header=BB287_15 Depth=1
	v_dual_lshrrev_b32 v6, 3, v7 :: v_dual_bitop2_b32 v0, 7, v5 bitop3:0x40
	s_mov_b32 s15, exec_lo
	v_cmpx_gt_u32_e32 8, v7
; %bb.1078:                             ;   in Loop: Header=BB287_15 Depth=1
	s_delay_alu instid0(VALU_DEP_2) | instskip(NEXT) | instid1(VALU_DEP_1)
	v_clz_i32_u32_e32 v0, v0
	v_min_u32_e32 v0, 32, v0
	s_delay_alu instid0(VALU_DEP_1) | instskip(NEXT) | instid1(VALU_DEP_1)
	v_subrev_nc_u32_e32 v6, 28, v0
	v_lshlrev_b64_e32 v[8:9], v6, v[24:25]
	v_sub_nc_u32_e32 v6, 29, v0
	s_delay_alu instid0(VALU_DEP_2)
	v_and_b32_e32 v0, 7, v8
; %bb.1079:                             ;   in Loop: Header=BB287_15 Depth=1
	s_or_b32 exec_lo, exec_lo, s15
	s_delay_alu instid0(VALU_DEP_1) | instskip(NEXT) | instid1(VALU_DEP_3)
	v_dual_lshlrev_b32 v7, 8, v5 :: v_dual_lshlrev_b32 v0, 7, v0
	v_lshl_add_u32 v6, v6, 10, 0x2000
	s_delay_alu instid0(VALU_DEP_2) | instskip(NEXT) | instid1(VALU_DEP_2)
	v_and_b32_e32 v7, 0x8000, v7
	v_and_b32_e32 v6, 0xfc00, v6
	s_delay_alu instid0(VALU_DEP_1)
	v_or3_b32 v0, v7, v6, v0
	scratch_store_b32 off, v0, s32 offset:648 ; 4-byte Folded Spill
.LBB287_1080:                           ;   in Loop: Header=BB287_15 Depth=1
	s_wait_xcnt 0x0
	s_or_b32 exec_lo, exec_lo, s14
.LBB287_1081:                           ;   in Loop: Header=BB287_15 Depth=1
	s_delay_alu instid0(SALU_CYCLE_1)
	s_or_b32 exec_lo, exec_lo, s11
.LBB287_1082:                           ;   in Loop: Header=BB287_15 Depth=1
	s_delay_alu instid0(SALU_CYCLE_1)
	s_or_b32 exec_lo, exec_lo, s8
	v_mov_b32_e32 v0, 0
	v_lshrrev_b16 v24, 8, v24
	s_mov_b32 s8, exec_lo
	scratch_store_b32 off, v0, s32 offset:656 ; 4-byte Folded Spill
	s_wait_xcnt 0x0
	v_mov_b32_e32 v0, 0
	scratch_store_b32 off, v0, s32 offset:660 ; 4-byte Folded Spill
	s_wait_xcnt 0x0
	v_cmpx_ne_u16_e32 0, v24
	s_cbranch_execz .LBB287_1090
; %bb.1083:                             ;   in Loop: Header=BB287_15 Depth=1
	v_bfrev_b32_e32 v0, 1
	s_mov_b32 s11, exec_lo
	scratch_store_b32 off, v0, s32 offset:660 ; 4-byte Folded Spill
	s_wait_xcnt 0x0
	v_cmpx_ne_u16_e32 0x80, v24
	s_cbranch_execz .LBB287_1089
; %bb.1084:                             ;   in Loop: Header=BB287_15 Depth=1
	v_and_b32_e32 v0, 0xffff, v24
	v_mov_b32_e32 v6, 0x7c010000
	s_mov_b32 s14, exec_lo
	s_delay_alu instid0(VALU_DEP_2)
	v_and_b32_e32 v8, 0x7f, v0
	scratch_store_b32 off, v6, s32 offset:660 ; 4-byte Folded Spill
	s_wait_xcnt 0x0
	v_cmpx_ne_u32_e32 0x7f, v8
	s_cbranch_execz .LBB287_1088
; %bb.1085:                             ;   in Loop: Header=BB287_15 Depth=1
	v_and_b32_e32 v6, 7, v0
	v_lshrrev_b32_e32 v7, 3, v8
	s_mov_b32 s15, exec_lo
	v_cmpx_gt_u32_e32 8, v8
; %bb.1086:                             ;   in Loop: Header=BB287_15 Depth=1
	s_delay_alu instid0(VALU_DEP_3) | instskip(NEXT) | instid1(VALU_DEP_1)
	v_clz_i32_u32_e32 v6, v6
	v_min_u32_e32 v8, 32, v6
	s_delay_alu instid0(VALU_DEP_1) | instskip(NEXT) | instid1(VALU_DEP_1)
	v_subrev_nc_u32_e32 v6, 28, v8
	v_lshlrev_b64_e32 v[6:7], v6, v[24:25]
	s_delay_alu instid0(VALU_DEP_1)
	v_dual_sub_nc_u32 v7, 29, v8 :: v_dual_bitop2_b32 v6, 7, v6 bitop3:0x40
; %bb.1087:                             ;   in Loop: Header=BB287_15 Depth=1
	s_or_b32 exec_lo, exec_lo, s15
	s_delay_alu instid0(VALU_DEP_1) | instskip(NEXT) | instid1(VALU_DEP_2)
	v_dual_lshlrev_b32 v0, 8, v0 :: v_dual_lshlrev_b32 v6, 23, v6
	v_lshl_add_u32 v7, v7, 10, 0x2000
	s_delay_alu instid0(VALU_DEP_1) | instskip(NEXT) | instid1(VALU_DEP_1)
	v_and_or_b32 v0, 0x8000, v0, v7
	v_lshl_or_b32 v0, v0, 16, v6
	scratch_store_b32 off, v0, s32 offset:660 ; 4-byte Folded Spill
.LBB287_1088:                           ;   in Loop: Header=BB287_15 Depth=1
	s_wait_xcnt 0x0
	s_or_b32 exec_lo, exec_lo, s14
.LBB287_1089:                           ;   in Loop: Header=BB287_15 Depth=1
	s_delay_alu instid0(SALU_CYCLE_1)
	s_or_b32 exec_lo, exec_lo, s11
.LBB287_1090:                           ;   in Loop: Header=BB287_15 Depth=1
	s_delay_alu instid0(SALU_CYCLE_1) | instskip(SKIP_2) | instid1(VALU_DEP_1)
	s_or_b32 exec_lo, exec_lo, s8
	v_lshrrev_b32_e32 v0, 16, v5
	s_mov_b32 s8, exec_lo
	v_and_b32_e32 v6, 0xff, v0
	s_delay_alu instid0(VALU_DEP_1)
	v_cmpx_ne_u16_e32 0, v6
	s_cbranch_execz .LBB287_1098
; %bb.1091:                             ;   in Loop: Header=BB287_15 Depth=1
	v_cmp_ne_u16_e64 s1, 0x80, v6
	v_mov_b32_e32 v6, 0x8000
	scratch_store_b32 off, v6, s32 offset:656 ; 4-byte Folded Spill
	s_wait_xcnt 0x0
	s_and_saveexec_b32 s11, s1
	s_cbranch_execz .LBB287_1097
; %bb.1092:                             ;   in Loop: Header=BB287_15 Depth=1
	v_bfe_u32 v8, v5, 16, 7
	v_mov_b32_e32 v6, 0x7c01
	s_mov_b32 s14, exec_lo
	scratch_store_b32 off, v6, s32 offset:656 ; 4-byte Folded Spill
	s_wait_xcnt 0x0
	v_cmpx_ne_u32_e32 0x7f, v8
	s_cbranch_execz .LBB287_1096
; %bb.1093:                             ;   in Loop: Header=BB287_15 Depth=1
	v_and_b32_e32 v6, 7, v0
	v_lshrrev_b32_e32 v7, 3, v8
	s_mov_b32 s15, exec_lo
	v_cmpx_gt_u32_e32 8, v8
; %bb.1094:                             ;   in Loop: Header=BB287_15 Depth=1
	s_delay_alu instid0(VALU_DEP_3) | instskip(NEXT) | instid1(VALU_DEP_1)
	v_clz_i32_u32_e32 v6, v6
	v_min_u32_e32 v8, 32, v6
	s_delay_alu instid0(VALU_DEP_1) | instskip(NEXT) | instid1(VALU_DEP_1)
	v_subrev_nc_u32_e32 v6, 28, v8
	v_lshlrev_b64_e32 v[6:7], v6, v[0:1]
	s_delay_alu instid0(VALU_DEP_1)
	v_dual_sub_nc_u32 v7, 29, v8 :: v_dual_bitop2_b32 v6, 7, v6 bitop3:0x40
; %bb.1095:                             ;   in Loop: Header=BB287_15 Depth=1
	s_or_b32 exec_lo, exec_lo, s15
	s_delay_alu instid0(VALU_DEP_1) | instskip(NEXT) | instid1(VALU_DEP_2)
	v_dual_lshlrev_b32 v0, 8, v0 :: v_dual_lshlrev_b32 v6, 7, v6
	v_lshl_add_u32 v7, v7, 10, 0x2000
	s_delay_alu instid0(VALU_DEP_2) | instskip(NEXT) | instid1(VALU_DEP_2)
	v_and_b32_e32 v0, 0x8000, v0
	v_and_b32_e32 v7, 0xfc00, v7
	s_delay_alu instid0(VALU_DEP_1)
	v_or3_b32 v0, v0, v7, v6
	scratch_store_b32 off, v0, s32 offset:656 ; 4-byte Folded Spill
.LBB287_1096:                           ;   in Loop: Header=BB287_15 Depth=1
	s_wait_xcnt 0x0
	s_or_b32 exec_lo, exec_lo, s14
.LBB287_1097:                           ;   in Loop: Header=BB287_15 Depth=1
	s_delay_alu instid0(SALU_CYCLE_1)
	s_or_b32 exec_lo, exec_lo, s11
.LBB287_1098:                           ;   in Loop: Header=BB287_15 Depth=1
	s_delay_alu instid0(SALU_CYCLE_1)
	s_or_b32 exec_lo, exec_lo, s8
	v_mov_b32_e32 v0, 0
	s_mov_b32 s8, exec_lo
	scratch_store_b32 off, v0, s32 offset:664 ; 4-byte Folded Spill
	s_wait_xcnt 0x0
	v_mov_b32_e32 v0, 0
	scratch_store_b32 off, v0, s32 offset:668 ; 4-byte Folded Spill
	s_wait_xcnt 0x0
	v_cmpx_lt_u64_e64 s[4:5], v[4:5]
	s_cbranch_execz .LBB287_1106
; %bb.1099:                             ;   in Loop: Header=BB287_15 Depth=1
	v_lshrrev_b32_e32 v24, 24, v5
	v_bfrev_b32_e32 v0, 1
	s_mov_b32 s11, exec_lo
	scratch_store_b32 off, v0, s32 offset:668 ; 4-byte Folded Spill
	s_wait_xcnt 0x0
	v_cmpx_ne_u32_e32 0x80, v24
	s_cbranch_execz .LBB287_1105
; %bb.1100:                             ;   in Loop: Header=BB287_15 Depth=1
	v_and_b32_e32 v5, 0x7f, v24
	v_mov_b32_e32 v0, 0x7c010000
	s_mov_b32 s14, exec_lo
	scratch_store_b32 off, v0, s32 offset:668 ; 4-byte Folded Spill
	s_wait_xcnt 0x0
	v_cmpx_ne_u32_e32 0x7f, v5
	s_cbranch_execz .LBB287_1104
; %bb.1101:                             ;   in Loop: Header=BB287_15 Depth=1
	v_dual_lshrrev_b32 v4, 3, v5 :: v_dual_bitop2_b32 v0, 7, v24 bitop3:0x40
	s_mov_b32 s15, exec_lo
	v_cmpx_gt_u32_e32 8, v5
; %bb.1102:                             ;   in Loop: Header=BB287_15 Depth=1
	s_delay_alu instid0(VALU_DEP_2) | instskip(NEXT) | instid1(VALU_DEP_1)
	v_clz_i32_u32_e32 v0, v0
	v_min_u32_e32 v0, 32, v0
	s_delay_alu instid0(VALU_DEP_1) | instskip(NEXT) | instid1(VALU_DEP_1)
	v_subrev_nc_u32_e32 v4, 28, v0
	v_lshlrev_b64_e32 v[6:7], v4, v[24:25]
	s_delay_alu instid0(VALU_DEP_1)
	v_dual_sub_nc_u32 v4, 29, v0 :: v_dual_bitop2_b32 v0, 7, v6 bitop3:0x40
; %bb.1103:                             ;   in Loop: Header=BB287_15 Depth=1
	s_or_b32 exec_lo, exec_lo, s15
	v_lshlrev_b32_e32 v5, 8, v24
	s_delay_alu instid0(VALU_DEP_2) | instskip(NEXT) | instid1(VALU_DEP_3)
	v_lshl_add_u32 v4, v4, 10, 0x2000
	v_lshlrev_b32_e32 v0, 23, v0
	s_delay_alu instid0(VALU_DEP_2) | instskip(NEXT) | instid1(VALU_DEP_1)
	v_and_or_b32 v4, 0x8000, v5, v4
	v_lshl_or_b32 v0, v4, 16, v0
	scratch_store_b32 off, v0, s32 offset:668 ; 4-byte Folded Spill
.LBB287_1104:                           ;   in Loop: Header=BB287_15 Depth=1
	s_wait_xcnt 0x0
	s_or_b32 exec_lo, exec_lo, s14
.LBB287_1105:                           ;   in Loop: Header=BB287_15 Depth=1
	s_delay_alu instid0(SALU_CYCLE_1)
	s_or_b32 exec_lo, exec_lo, s11
.LBB287_1106:                           ;   in Loop: Header=BB287_15 Depth=1
	s_delay_alu instid0(SALU_CYCLE_1)
	s_or_b32 exec_lo, exec_lo, s8
	flat_load_b64 v[4:5], v[2:3] offset:4104
	s_mov_b32 s8, exec_lo
	s_wait_loadcnt_dscnt 0x0
	v_and_b32_e32 v0, 0xff, v4
	s_wait_xcnt 0x0
	s_delay_alu instid0(VALU_DEP_1)
	v_cmpx_ne_u16_e32 0, v0
	s_cbranch_execz .LBB287_1114
; %bb.1107:                             ;   in Loop: Header=BB287_15 Depth=1
	v_cmp_ne_u16_e64 s1, 0x80, v0
	v_mov_b32_e32 v0, 0x8000
	scratch_store_b32 off, v0, s32 offset:664 ; 4-byte Folded Spill
	s_wait_xcnt 0x0
	s_and_saveexec_b32 s11, s1
	s_cbranch_execz .LBB287_1113
; %bb.1108:                             ;   in Loop: Header=BB287_15 Depth=1
	v_and_b32_e32 v7, 0x7f, v4
	v_mov_b32_e32 v0, 0x7c01
	s_mov_b32 s14, exec_lo
	scratch_store_b32 off, v0, s32 offset:664 ; 4-byte Folded Spill
	s_wait_xcnt 0x0
	v_cmpx_ne_u32_e32 0x7f, v7
	s_cbranch_execz .LBB287_1112
; %bb.1109:                             ;   in Loop: Header=BB287_15 Depth=1
	v_dual_lshrrev_b32 v6, 3, v7 :: v_dual_bitop2_b32 v0, 7, v4 bitop3:0x40
	s_mov_b32 s15, exec_lo
	v_cmpx_gt_u32_e32 8, v7
; %bb.1110:                             ;   in Loop: Header=BB287_15 Depth=1
	s_delay_alu instid0(VALU_DEP_2) | instskip(NEXT) | instid1(VALU_DEP_1)
	v_clz_i32_u32_e32 v0, v0
	v_min_u32_e32 v0, 32, v0
	s_delay_alu instid0(VALU_DEP_1) | instskip(NEXT) | instid1(VALU_DEP_1)
	v_subrev_nc_u32_e32 v6, 28, v0
	v_lshlrev_b64_e32 v[8:9], v6, v[4:5]
	v_sub_nc_u32_e32 v6, 29, v0
	s_delay_alu instid0(VALU_DEP_2)
	v_and_b32_e32 v0, 7, v8
; %bb.1111:                             ;   in Loop: Header=BB287_15 Depth=1
	s_or_b32 exec_lo, exec_lo, s15
	v_lshlrev_b32_e32 v7, 8, v4
	s_delay_alu instid0(VALU_DEP_3) | instskip(NEXT) | instid1(VALU_DEP_3)
	v_lshl_add_u32 v6, v6, 10, 0x2000
	v_lshlrev_b32_e32 v0, 7, v0
	s_delay_alu instid0(VALU_DEP_3) | instskip(NEXT) | instid1(VALU_DEP_3)
	v_and_b32_e32 v7, 0x8000, v7
	v_and_b32_e32 v6, 0xfc00, v6
	s_delay_alu instid0(VALU_DEP_1)
	v_or3_b32 v0, v7, v6, v0
	scratch_store_b32 off, v0, s32 offset:664 ; 4-byte Folded Spill
.LBB287_1112:                           ;   in Loop: Header=BB287_15 Depth=1
	s_wait_xcnt 0x0
	s_or_b32 exec_lo, exec_lo, s14
.LBB287_1113:                           ;   in Loop: Header=BB287_15 Depth=1
	s_delay_alu instid0(SALU_CYCLE_1)
	s_or_b32 exec_lo, exec_lo, s11
.LBB287_1114:                           ;   in Loop: Header=BB287_15 Depth=1
	s_delay_alu instid0(SALU_CYCLE_1)
	s_or_b32 exec_lo, exec_lo, s8
	v_lshrrev_b16 v24, 8, v4
	v_dual_mov_b32 v0, 0 :: v_dual_mov_b32 v120, 0
	s_mov_b32 s8, exec_lo
	scratch_store_b32 off, v0, s32 offset:672 ; 4-byte Folded Spill
	s_wait_xcnt 0x0
	v_cmpx_ne_u16_e32 0, v24
	s_cbranch_execz .LBB287_1122
; %bb.1115:                             ;   in Loop: Header=BB287_15 Depth=1
	v_bfrev_b32_e32 v120, 1
	s_mov_b32 s11, exec_lo
	v_cmpx_ne_u16_e32 0x80, v24
	s_cbranch_execz .LBB287_1121
; %bb.1116:                             ;   in Loop: Header=BB287_15 Depth=1
	v_and_b32_e32 v0, 0xffff, v24
	v_mov_b32_e32 v120, 0x7c010000
	s_mov_b32 s14, exec_lo
	s_delay_alu instid0(VALU_DEP_2) | instskip(NEXT) | instid1(VALU_DEP_1)
	v_and_b32_e32 v8, 0x7f, v0
	v_cmpx_ne_u32_e32 0x7f, v8
	s_cbranch_execz .LBB287_1120
; %bb.1117:                             ;   in Loop: Header=BB287_15 Depth=1
	v_and_b32_e32 v6, 7, v0
	v_lshrrev_b32_e32 v7, 3, v8
	s_mov_b32 s15, exec_lo
	v_cmpx_gt_u32_e32 8, v8
; %bb.1118:                             ;   in Loop: Header=BB287_15 Depth=1
	s_delay_alu instid0(VALU_DEP_3) | instskip(NEXT) | instid1(VALU_DEP_1)
	v_clz_i32_u32_e32 v6, v6
	v_min_u32_e32 v8, 32, v6
	s_delay_alu instid0(VALU_DEP_1) | instskip(NEXT) | instid1(VALU_DEP_1)
	v_subrev_nc_u32_e32 v6, 28, v8
	v_lshlrev_b64_e32 v[6:7], v6, v[24:25]
	s_delay_alu instid0(VALU_DEP_1)
	v_dual_sub_nc_u32 v7, 29, v8 :: v_dual_bitop2_b32 v6, 7, v6 bitop3:0x40
; %bb.1119:                             ;   in Loop: Header=BB287_15 Depth=1
	s_or_b32 exec_lo, exec_lo, s15
	s_delay_alu instid0(VALU_DEP_1) | instskip(NEXT) | instid1(VALU_DEP_2)
	v_dual_lshlrev_b32 v0, 8, v0 :: v_dual_lshlrev_b32 v6, 23, v6
	v_lshl_add_u32 v7, v7, 10, 0x2000
	s_delay_alu instid0(VALU_DEP_1) | instskip(NEXT) | instid1(VALU_DEP_1)
	v_and_or_b32 v0, 0x8000, v0, v7
	v_lshl_or_b32 v120, v0, 16, v6
.LBB287_1120:                           ;   in Loop: Header=BB287_15 Depth=1
	s_or_b32 exec_lo, exec_lo, s14
.LBB287_1121:                           ;   in Loop: Header=BB287_15 Depth=1
	s_delay_alu instid0(SALU_CYCLE_1)
	s_or_b32 exec_lo, exec_lo, s11
.LBB287_1122:                           ;   in Loop: Header=BB287_15 Depth=1
	s_delay_alu instid0(SALU_CYCLE_1) | instskip(SKIP_2) | instid1(VALU_DEP_1)
	s_or_b32 exec_lo, exec_lo, s8
	v_lshrrev_b32_e32 v0, 16, v4
	s_mov_b32 s8, exec_lo
	v_and_b32_e32 v6, 0xff, v0
	s_delay_alu instid0(VALU_DEP_1)
	v_cmpx_ne_u16_e32 0, v6
	s_cbranch_execz .LBB287_1130
; %bb.1123:                             ;   in Loop: Header=BB287_15 Depth=1
	v_cmp_ne_u16_e64 s1, 0x80, v6
	v_mov_b32_e32 v6, 0x8000
	scratch_store_b32 off, v6, s32 offset:672 ; 4-byte Folded Spill
	s_wait_xcnt 0x0
	s_and_saveexec_b32 s11, s1
	s_cbranch_execz .LBB287_1129
; %bb.1124:                             ;   in Loop: Header=BB287_15 Depth=1
	v_bfe_u32 v8, v4, 16, 7
	v_mov_b32_e32 v6, 0x7c01
	s_mov_b32 s14, exec_lo
	scratch_store_b32 off, v6, s32 offset:672 ; 4-byte Folded Spill
	s_wait_xcnt 0x0
	v_cmpx_ne_u32_e32 0x7f, v8
	s_cbranch_execz .LBB287_1128
; %bb.1125:                             ;   in Loop: Header=BB287_15 Depth=1
	v_and_b32_e32 v6, 7, v0
	v_lshrrev_b32_e32 v7, 3, v8
	s_mov_b32 s15, exec_lo
	v_cmpx_gt_u32_e32 8, v8
; %bb.1126:                             ;   in Loop: Header=BB287_15 Depth=1
	s_delay_alu instid0(VALU_DEP_3) | instskip(NEXT) | instid1(VALU_DEP_1)
	v_clz_i32_u32_e32 v6, v6
	v_min_u32_e32 v8, 32, v6
	s_delay_alu instid0(VALU_DEP_1) | instskip(NEXT) | instid1(VALU_DEP_1)
	v_subrev_nc_u32_e32 v6, 28, v8
	v_lshlrev_b64_e32 v[6:7], v6, v[0:1]
	s_delay_alu instid0(VALU_DEP_1)
	v_dual_sub_nc_u32 v7, 29, v8 :: v_dual_bitop2_b32 v6, 7, v6 bitop3:0x40
; %bb.1127:                             ;   in Loop: Header=BB287_15 Depth=1
	s_or_b32 exec_lo, exec_lo, s15
	s_delay_alu instid0(VALU_DEP_1) | instskip(NEXT) | instid1(VALU_DEP_2)
	v_dual_lshlrev_b32 v0, 8, v0 :: v_dual_lshlrev_b32 v6, 7, v6
	v_lshl_add_u32 v7, v7, 10, 0x2000
	s_delay_alu instid0(VALU_DEP_2) | instskip(NEXT) | instid1(VALU_DEP_2)
	v_and_b32_e32 v0, 0x8000, v0
	v_and_b32_e32 v7, 0xfc00, v7
	s_delay_alu instid0(VALU_DEP_1)
	v_or3_b32 v0, v0, v7, v6
	scratch_store_b32 off, v0, s32 offset:672 ; 4-byte Folded Spill
.LBB287_1128:                           ;   in Loop: Header=BB287_15 Depth=1
	s_wait_xcnt 0x0
	s_or_b32 exec_lo, exec_lo, s14
.LBB287_1129:                           ;   in Loop: Header=BB287_15 Depth=1
	s_delay_alu instid0(SALU_CYCLE_1)
	s_or_b32 exec_lo, exec_lo, s11
.LBB287_1130:                           ;   in Loop: Header=BB287_15 Depth=1
	s_delay_alu instid0(SALU_CYCLE_1)
	s_or_b32 exec_lo, exec_lo, s8
	v_dual_mov_b32 v0, 0 :: v_dual_mov_b32 v108, 0
	s_mov_b32 s8, exec_lo
	scratch_store_b32 off, v0, s32 offset:676 ; 4-byte Folded Spill
	s_wait_xcnt 0x0
	v_cmpx_lt_u32_e32 0xffffff, v4
	s_cbranch_execz .LBB287_1138
; %bb.1131:                             ;   in Loop: Header=BB287_15 Depth=1
	v_lshrrev_b32_e32 v24, 24, v4
	v_bfrev_b32_e32 v108, 1
	s_mov_b32 s11, exec_lo
	s_delay_alu instid0(VALU_DEP_2)
	v_cmpx_ne_u32_e32 0x80, v24
	s_cbranch_execz .LBB287_1137
; %bb.1132:                             ;   in Loop: Header=BB287_15 Depth=1
	v_and_b32_e32 v7, 0x7f, v24
	v_mov_b32_e32 v108, 0x7c010000
	s_mov_b32 s14, exec_lo
	s_delay_alu instid0(VALU_DEP_2)
	v_cmpx_ne_u32_e32 0x7f, v7
	s_cbranch_execz .LBB287_1136
; %bb.1133:                             ;   in Loop: Header=BB287_15 Depth=1
	v_dual_lshrrev_b32 v6, 3, v7 :: v_dual_bitop2_b32 v0, 7, v24 bitop3:0x40
	s_mov_b32 s15, exec_lo
	v_cmpx_gt_u32_e32 8, v7
; %bb.1134:                             ;   in Loop: Header=BB287_15 Depth=1
	s_delay_alu instid0(VALU_DEP_2) | instskip(NEXT) | instid1(VALU_DEP_1)
	v_clz_i32_u32_e32 v0, v0
	v_min_u32_e32 v0, 32, v0
	s_delay_alu instid0(VALU_DEP_1) | instskip(NEXT) | instid1(VALU_DEP_1)
	v_subrev_nc_u32_e32 v6, 28, v0
	v_lshlrev_b64_e32 v[8:9], v6, v[24:25]
	v_sub_nc_u32_e32 v6, 29, v0
	s_delay_alu instid0(VALU_DEP_2)
	v_and_b32_e32 v0, 7, v8
; %bb.1135:                             ;   in Loop: Header=BB287_15 Depth=1
	s_or_b32 exec_lo, exec_lo, s15
	v_lshlrev_b32_e32 v7, 8, v24
	s_delay_alu instid0(VALU_DEP_3) | instskip(NEXT) | instid1(VALU_DEP_3)
	v_lshl_add_u32 v6, v6, 10, 0x2000
	v_lshlrev_b32_e32 v0, 23, v0
	s_delay_alu instid0(VALU_DEP_2) | instskip(NEXT) | instid1(VALU_DEP_1)
	v_and_or_b32 v6, 0x8000, v7, v6
	v_lshl_or_b32 v108, v6, 16, v0
.LBB287_1136:                           ;   in Loop: Header=BB287_15 Depth=1
	s_or_b32 exec_lo, exec_lo, s14
.LBB287_1137:                           ;   in Loop: Header=BB287_15 Depth=1
	s_delay_alu instid0(SALU_CYCLE_1)
	s_or_b32 exec_lo, exec_lo, s11
.LBB287_1138:                           ;   in Loop: Header=BB287_15 Depth=1
	s_delay_alu instid0(SALU_CYCLE_1) | instskip(SKIP_3) | instid1(VALU_DEP_2)
	s_or_b32 exec_lo, exec_lo, s8
	v_and_b32_e32 v0, 0xff, v5
	v_mov_b32_e32 v24, v5
	s_mov_b32 s8, exec_lo
	v_cmpx_ne_u16_e32 0, v0
	s_cbranch_execz .LBB287_1146
; %bb.1139:                             ;   in Loop: Header=BB287_15 Depth=1
	v_cmp_ne_u16_e64 s1, 0x80, v0
	v_mov_b32_e32 v0, 0x8000
	scratch_store_b32 off, v0, s32 offset:676 ; 4-byte Folded Spill
	s_wait_xcnt 0x0
	s_and_saveexec_b32 s11, s1
	s_cbranch_execz .LBB287_1145
; %bb.1140:                             ;   in Loop: Header=BB287_15 Depth=1
	v_and_b32_e32 v7, 0x7f, v5
	v_mov_b32_e32 v0, 0x7c01
	s_mov_b32 s14, exec_lo
	scratch_store_b32 off, v0, s32 offset:676 ; 4-byte Folded Spill
	s_wait_xcnt 0x0
	v_cmpx_ne_u32_e32 0x7f, v7
	s_cbranch_execz .LBB287_1144
; %bb.1141:                             ;   in Loop: Header=BB287_15 Depth=1
	v_dual_lshrrev_b32 v6, 3, v7 :: v_dual_bitop2_b32 v0, 7, v5 bitop3:0x40
	s_mov_b32 s15, exec_lo
	v_cmpx_gt_u32_e32 8, v7
; %bb.1142:                             ;   in Loop: Header=BB287_15 Depth=1
	s_delay_alu instid0(VALU_DEP_2) | instskip(NEXT) | instid1(VALU_DEP_1)
	v_clz_i32_u32_e32 v0, v0
	v_min_u32_e32 v0, 32, v0
	s_delay_alu instid0(VALU_DEP_1) | instskip(NEXT) | instid1(VALU_DEP_1)
	v_subrev_nc_u32_e32 v6, 28, v0
	v_lshlrev_b64_e32 v[8:9], v6, v[24:25]
	v_sub_nc_u32_e32 v6, 29, v0
	s_delay_alu instid0(VALU_DEP_2)
	v_and_b32_e32 v0, 7, v8
; %bb.1143:                             ;   in Loop: Header=BB287_15 Depth=1
	s_or_b32 exec_lo, exec_lo, s15
	s_delay_alu instid0(VALU_DEP_1) | instskip(NEXT) | instid1(VALU_DEP_3)
	v_dual_lshlrev_b32 v7, 8, v5 :: v_dual_lshlrev_b32 v0, 7, v0
	v_lshl_add_u32 v6, v6, 10, 0x2000
	s_delay_alu instid0(VALU_DEP_2) | instskip(NEXT) | instid1(VALU_DEP_2)
	v_and_b32_e32 v7, 0x8000, v7
	v_and_b32_e32 v6, 0xfc00, v6
	s_delay_alu instid0(VALU_DEP_1)
	v_or3_b32 v0, v7, v6, v0
	scratch_store_b32 off, v0, s32 offset:676 ; 4-byte Folded Spill
.LBB287_1144:                           ;   in Loop: Header=BB287_15 Depth=1
	s_wait_xcnt 0x0
	s_or_b32 exec_lo, exec_lo, s14
.LBB287_1145:                           ;   in Loop: Header=BB287_15 Depth=1
	s_delay_alu instid0(SALU_CYCLE_1)
	s_or_b32 exec_lo, exec_lo, s11
.LBB287_1146:                           ;   in Loop: Header=BB287_15 Depth=1
	s_delay_alu instid0(SALU_CYCLE_1)
	s_or_b32 exec_lo, exec_lo, s8
	v_lshrrev_b16 v24, 8, v24
	v_dual_mov_b32 v0, 0 :: v_dual_mov_b32 v112, 0
	s_mov_b32 s8, exec_lo
	scratch_store_b32 off, v0, s32 offset:680 ; 4-byte Folded Spill
	s_wait_xcnt 0x0
	v_cmpx_ne_u16_e32 0, v24
	s_cbranch_execz .LBB287_1154
; %bb.1147:                             ;   in Loop: Header=BB287_15 Depth=1
	v_bfrev_b32_e32 v112, 1
	s_mov_b32 s11, exec_lo
	v_cmpx_ne_u16_e32 0x80, v24
	s_cbranch_execz .LBB287_1153
; %bb.1148:                             ;   in Loop: Header=BB287_15 Depth=1
	v_and_b32_e32 v0, 0xffff, v24
	v_mov_b32_e32 v112, 0x7c010000
	s_mov_b32 s14, exec_lo
	s_delay_alu instid0(VALU_DEP_2) | instskip(NEXT) | instid1(VALU_DEP_1)
	v_and_b32_e32 v8, 0x7f, v0
	v_cmpx_ne_u32_e32 0x7f, v8
	s_cbranch_execz .LBB287_1152
; %bb.1149:                             ;   in Loop: Header=BB287_15 Depth=1
	v_and_b32_e32 v6, 7, v0
	v_lshrrev_b32_e32 v7, 3, v8
	s_mov_b32 s15, exec_lo
	v_cmpx_gt_u32_e32 8, v8
; %bb.1150:                             ;   in Loop: Header=BB287_15 Depth=1
	s_delay_alu instid0(VALU_DEP_3) | instskip(NEXT) | instid1(VALU_DEP_1)
	v_clz_i32_u32_e32 v6, v6
	v_min_u32_e32 v8, 32, v6
	s_delay_alu instid0(VALU_DEP_1) | instskip(NEXT) | instid1(VALU_DEP_1)
	v_subrev_nc_u32_e32 v6, 28, v8
	v_lshlrev_b64_e32 v[6:7], v6, v[24:25]
	s_delay_alu instid0(VALU_DEP_1)
	v_dual_sub_nc_u32 v7, 29, v8 :: v_dual_bitop2_b32 v6, 7, v6 bitop3:0x40
; %bb.1151:                             ;   in Loop: Header=BB287_15 Depth=1
	s_or_b32 exec_lo, exec_lo, s15
	s_delay_alu instid0(VALU_DEP_1) | instskip(NEXT) | instid1(VALU_DEP_2)
	v_dual_lshlrev_b32 v0, 8, v0 :: v_dual_lshlrev_b32 v6, 23, v6
	v_lshl_add_u32 v7, v7, 10, 0x2000
	s_delay_alu instid0(VALU_DEP_1) | instskip(NEXT) | instid1(VALU_DEP_1)
	v_and_or_b32 v0, 0x8000, v0, v7
	v_lshl_or_b32 v112, v0, 16, v6
.LBB287_1152:                           ;   in Loop: Header=BB287_15 Depth=1
	s_or_b32 exec_lo, exec_lo, s14
.LBB287_1153:                           ;   in Loop: Header=BB287_15 Depth=1
	s_delay_alu instid0(SALU_CYCLE_1)
	s_or_b32 exec_lo, exec_lo, s11
.LBB287_1154:                           ;   in Loop: Header=BB287_15 Depth=1
	s_delay_alu instid0(SALU_CYCLE_1) | instskip(SKIP_2) | instid1(VALU_DEP_1)
	s_or_b32 exec_lo, exec_lo, s8
	v_lshrrev_b32_e32 v0, 16, v5
	s_mov_b32 s8, exec_lo
	v_and_b32_e32 v6, 0xff, v0
	s_delay_alu instid0(VALU_DEP_1)
	v_cmpx_ne_u16_e32 0, v6
	s_cbranch_execz .LBB287_1162
; %bb.1155:                             ;   in Loop: Header=BB287_15 Depth=1
	v_cmp_ne_u16_e64 s1, 0x80, v6
	v_mov_b32_e32 v6, 0x8000
	scratch_store_b32 off, v6, s32 offset:680 ; 4-byte Folded Spill
	s_wait_xcnt 0x0
	s_and_saveexec_b32 s11, s1
	s_cbranch_execz .LBB287_1161
; %bb.1156:                             ;   in Loop: Header=BB287_15 Depth=1
	v_bfe_u32 v8, v5, 16, 7
	v_mov_b32_e32 v6, 0x7c01
	s_mov_b32 s14, exec_lo
	scratch_store_b32 off, v6, s32 offset:680 ; 4-byte Folded Spill
	s_wait_xcnt 0x0
	v_cmpx_ne_u32_e32 0x7f, v8
	s_cbranch_execz .LBB287_1160
; %bb.1157:                             ;   in Loop: Header=BB287_15 Depth=1
	v_and_b32_e32 v6, 7, v0
	v_lshrrev_b32_e32 v7, 3, v8
	s_mov_b32 s15, exec_lo
	v_cmpx_gt_u32_e32 8, v8
; %bb.1158:                             ;   in Loop: Header=BB287_15 Depth=1
	s_delay_alu instid0(VALU_DEP_3) | instskip(NEXT) | instid1(VALU_DEP_1)
	v_clz_i32_u32_e32 v6, v6
	v_min_u32_e32 v8, 32, v6
	s_delay_alu instid0(VALU_DEP_1) | instskip(NEXT) | instid1(VALU_DEP_1)
	v_subrev_nc_u32_e32 v6, 28, v8
	v_lshlrev_b64_e32 v[6:7], v6, v[0:1]
	s_delay_alu instid0(VALU_DEP_1)
	v_dual_sub_nc_u32 v7, 29, v8 :: v_dual_bitop2_b32 v6, 7, v6 bitop3:0x40
; %bb.1159:                             ;   in Loop: Header=BB287_15 Depth=1
	s_or_b32 exec_lo, exec_lo, s15
	s_delay_alu instid0(VALU_DEP_1) | instskip(NEXT) | instid1(VALU_DEP_2)
	v_dual_lshlrev_b32 v0, 8, v0 :: v_dual_lshlrev_b32 v6, 7, v6
	v_lshl_add_u32 v7, v7, 10, 0x2000
	s_delay_alu instid0(VALU_DEP_2) | instskip(NEXT) | instid1(VALU_DEP_2)
	v_and_b32_e32 v0, 0x8000, v0
	v_and_b32_e32 v7, 0xfc00, v7
	s_delay_alu instid0(VALU_DEP_1)
	v_or3_b32 v0, v0, v7, v6
	scratch_store_b32 off, v0, s32 offset:680 ; 4-byte Folded Spill
.LBB287_1160:                           ;   in Loop: Header=BB287_15 Depth=1
	s_wait_xcnt 0x0
	s_or_b32 exec_lo, exec_lo, s14
.LBB287_1161:                           ;   in Loop: Header=BB287_15 Depth=1
	s_delay_alu instid0(SALU_CYCLE_1)
	s_or_b32 exec_lo, exec_lo, s11
.LBB287_1162:                           ;   in Loop: Header=BB287_15 Depth=1
	s_delay_alu instid0(SALU_CYCLE_1)
	s_or_b32 exec_lo, exec_lo, s8
	v_dual_mov_b32 v0, 0 :: v_dual_mov_b32 v118, 0
	s_mov_b32 s8, exec_lo
	scratch_store_b32 off, v0, s32 offset:684 ; 4-byte Folded Spill
	s_wait_xcnt 0x0
	v_cmpx_lt_u64_e64 s[4:5], v[4:5]
	s_cbranch_execz .LBB287_1170
; %bb.1163:                             ;   in Loop: Header=BB287_15 Depth=1
	v_lshrrev_b32_e32 v24, 24, v5
	v_bfrev_b32_e32 v118, 1
	s_mov_b32 s11, exec_lo
	s_delay_alu instid0(VALU_DEP_2)
	v_cmpx_ne_u32_e32 0x80, v24
	s_cbranch_execz .LBB287_1169
; %bb.1164:                             ;   in Loop: Header=BB287_15 Depth=1
	v_and_b32_e32 v5, 0x7f, v24
	v_mov_b32_e32 v118, 0x7c010000
	s_mov_b32 s14, exec_lo
	s_delay_alu instid0(VALU_DEP_2)
	v_cmpx_ne_u32_e32 0x7f, v5
	s_cbranch_execz .LBB287_1168
; %bb.1165:                             ;   in Loop: Header=BB287_15 Depth=1
	v_dual_lshrrev_b32 v4, 3, v5 :: v_dual_bitop2_b32 v0, 7, v24 bitop3:0x40
	s_mov_b32 s15, exec_lo
	v_cmpx_gt_u32_e32 8, v5
; %bb.1166:                             ;   in Loop: Header=BB287_15 Depth=1
	s_delay_alu instid0(VALU_DEP_2) | instskip(NEXT) | instid1(VALU_DEP_1)
	v_clz_i32_u32_e32 v0, v0
	v_min_u32_e32 v0, 32, v0
	s_delay_alu instid0(VALU_DEP_1) | instskip(NEXT) | instid1(VALU_DEP_1)
	v_subrev_nc_u32_e32 v4, 28, v0
	v_lshlrev_b64_e32 v[6:7], v4, v[24:25]
	s_delay_alu instid0(VALU_DEP_1)
	v_dual_sub_nc_u32 v4, 29, v0 :: v_dual_bitop2_b32 v0, 7, v6 bitop3:0x40
; %bb.1167:                             ;   in Loop: Header=BB287_15 Depth=1
	s_or_b32 exec_lo, exec_lo, s15
	v_lshlrev_b32_e32 v5, 8, v24
	s_delay_alu instid0(VALU_DEP_2) | instskip(NEXT) | instid1(VALU_DEP_3)
	v_lshl_add_u32 v4, v4, 10, 0x2000
	v_lshlrev_b32_e32 v0, 23, v0
	s_delay_alu instid0(VALU_DEP_2) | instskip(NEXT) | instid1(VALU_DEP_1)
	v_and_or_b32 v4, 0x8000, v5, v4
	v_lshl_or_b32 v118, v4, 16, v0
.LBB287_1168:                           ;   in Loop: Header=BB287_15 Depth=1
	s_or_b32 exec_lo, exec_lo, s14
.LBB287_1169:                           ;   in Loop: Header=BB287_15 Depth=1
	s_delay_alu instid0(SALU_CYCLE_1)
	s_or_b32 exec_lo, exec_lo, s11
.LBB287_1170:                           ;   in Loop: Header=BB287_15 Depth=1
	s_delay_alu instid0(SALU_CYCLE_1)
	s_or_b32 exec_lo, exec_lo, s8
	flat_load_b64 v[4:5], v[2:3] offset:4608
	s_mov_b32 s8, exec_lo
	s_wait_loadcnt_dscnt 0x0
	v_and_b32_e32 v0, 0xff, v4
	s_wait_xcnt 0x0
	s_delay_alu instid0(VALU_DEP_1)
	v_cmpx_ne_u16_e32 0, v0
	s_cbranch_execz .LBB287_1178
; %bb.1171:                             ;   in Loop: Header=BB287_15 Depth=1
	v_cmp_ne_u16_e64 s1, 0x80, v0
	v_mov_b32_e32 v0, 0x8000
	scratch_store_b32 off, v0, s32 offset:684 ; 4-byte Folded Spill
	s_wait_xcnt 0x0
	s_and_saveexec_b32 s11, s1
	s_cbranch_execz .LBB287_1177
; %bb.1172:                             ;   in Loop: Header=BB287_15 Depth=1
	v_and_b32_e32 v7, 0x7f, v4
	v_mov_b32_e32 v0, 0x7c01
	s_mov_b32 s14, exec_lo
	scratch_store_b32 off, v0, s32 offset:684 ; 4-byte Folded Spill
	s_wait_xcnt 0x0
	v_cmpx_ne_u32_e32 0x7f, v7
	s_cbranch_execz .LBB287_1176
; %bb.1173:                             ;   in Loop: Header=BB287_15 Depth=1
	v_dual_lshrrev_b32 v6, 3, v7 :: v_dual_bitop2_b32 v0, 7, v4 bitop3:0x40
	s_mov_b32 s15, exec_lo
	v_cmpx_gt_u32_e32 8, v7
; %bb.1174:                             ;   in Loop: Header=BB287_15 Depth=1
	s_delay_alu instid0(VALU_DEP_2) | instskip(NEXT) | instid1(VALU_DEP_1)
	v_clz_i32_u32_e32 v0, v0
	v_min_u32_e32 v0, 32, v0
	s_delay_alu instid0(VALU_DEP_1) | instskip(NEXT) | instid1(VALU_DEP_1)
	v_subrev_nc_u32_e32 v6, 28, v0
	v_lshlrev_b64_e32 v[8:9], v6, v[4:5]
	v_sub_nc_u32_e32 v6, 29, v0
	s_delay_alu instid0(VALU_DEP_2)
	v_and_b32_e32 v0, 7, v8
; %bb.1175:                             ;   in Loop: Header=BB287_15 Depth=1
	s_or_b32 exec_lo, exec_lo, s15
	v_lshlrev_b32_e32 v7, 8, v4
	s_delay_alu instid0(VALU_DEP_3) | instskip(NEXT) | instid1(VALU_DEP_3)
	v_lshl_add_u32 v6, v6, 10, 0x2000
	v_lshlrev_b32_e32 v0, 7, v0
	s_delay_alu instid0(VALU_DEP_3) | instskip(NEXT) | instid1(VALU_DEP_3)
	v_and_b32_e32 v7, 0x8000, v7
	v_and_b32_e32 v6, 0xfc00, v6
	s_delay_alu instid0(VALU_DEP_1)
	v_or3_b32 v0, v7, v6, v0
	scratch_store_b32 off, v0, s32 offset:684 ; 4-byte Folded Spill
.LBB287_1176:                           ;   in Loop: Header=BB287_15 Depth=1
	s_wait_xcnt 0x0
	s_or_b32 exec_lo, exec_lo, s14
.LBB287_1177:                           ;   in Loop: Header=BB287_15 Depth=1
	s_delay_alu instid0(SALU_CYCLE_1)
	s_or_b32 exec_lo, exec_lo, s11
.LBB287_1178:                           ;   in Loop: Header=BB287_15 Depth=1
	s_delay_alu instid0(SALU_CYCLE_1)
	s_or_b32 exec_lo, exec_lo, s8
	v_lshrrev_b16 v24, 8, v4
	v_dual_mov_b32 v0, 0 :: v_dual_mov_b32 v45, 0
	s_mov_b32 s8, exec_lo
	scratch_store_b32 off, v0, s32 offset:688 ; 4-byte Folded Spill
	s_wait_xcnt 0x0
	v_cmpx_ne_u16_e32 0, v24
	s_cbranch_execz .LBB287_1186
; %bb.1179:                             ;   in Loop: Header=BB287_15 Depth=1
	v_bfrev_b32_e32 v45, 1
	s_mov_b32 s11, exec_lo
	v_cmpx_ne_u16_e32 0x80, v24
	s_cbranch_execz .LBB287_1185
; %bb.1180:                             ;   in Loop: Header=BB287_15 Depth=1
	v_and_b32_e32 v0, 0xffff, v24
	v_mov_b32_e32 v45, 0x7c010000
	s_mov_b32 s14, exec_lo
	s_delay_alu instid0(VALU_DEP_2) | instskip(NEXT) | instid1(VALU_DEP_1)
	v_and_b32_e32 v8, 0x7f, v0
	v_cmpx_ne_u32_e32 0x7f, v8
	s_cbranch_execz .LBB287_1184
; %bb.1181:                             ;   in Loop: Header=BB287_15 Depth=1
	v_and_b32_e32 v6, 7, v0
	v_lshrrev_b32_e32 v7, 3, v8
	s_mov_b32 s15, exec_lo
	v_cmpx_gt_u32_e32 8, v8
; %bb.1182:                             ;   in Loop: Header=BB287_15 Depth=1
	s_delay_alu instid0(VALU_DEP_3) | instskip(NEXT) | instid1(VALU_DEP_1)
	v_clz_i32_u32_e32 v6, v6
	v_min_u32_e32 v8, 32, v6
	s_delay_alu instid0(VALU_DEP_1) | instskip(NEXT) | instid1(VALU_DEP_1)
	v_subrev_nc_u32_e32 v6, 28, v8
	v_lshlrev_b64_e32 v[6:7], v6, v[24:25]
	s_delay_alu instid0(VALU_DEP_1)
	v_dual_sub_nc_u32 v7, 29, v8 :: v_dual_bitop2_b32 v6, 7, v6 bitop3:0x40
; %bb.1183:                             ;   in Loop: Header=BB287_15 Depth=1
	s_or_b32 exec_lo, exec_lo, s15
	s_delay_alu instid0(VALU_DEP_1) | instskip(NEXT) | instid1(VALU_DEP_2)
	v_dual_lshlrev_b32 v0, 8, v0 :: v_dual_lshlrev_b32 v6, 23, v6
	v_lshl_add_u32 v7, v7, 10, 0x2000
	s_delay_alu instid0(VALU_DEP_1) | instskip(NEXT) | instid1(VALU_DEP_1)
	v_and_or_b32 v0, 0x8000, v0, v7
	v_lshl_or_b32 v45, v0, 16, v6
.LBB287_1184:                           ;   in Loop: Header=BB287_15 Depth=1
	s_or_b32 exec_lo, exec_lo, s14
.LBB287_1185:                           ;   in Loop: Header=BB287_15 Depth=1
	s_delay_alu instid0(SALU_CYCLE_1)
	s_or_b32 exec_lo, exec_lo, s11
.LBB287_1186:                           ;   in Loop: Header=BB287_15 Depth=1
	s_delay_alu instid0(SALU_CYCLE_1) | instskip(SKIP_2) | instid1(VALU_DEP_1)
	s_or_b32 exec_lo, exec_lo, s8
	v_lshrrev_b32_e32 v0, 16, v4
	s_mov_b32 s8, exec_lo
	v_and_b32_e32 v6, 0xff, v0
	s_delay_alu instid0(VALU_DEP_1)
	v_cmpx_ne_u16_e32 0, v6
	s_cbranch_execz .LBB287_1194
; %bb.1187:                             ;   in Loop: Header=BB287_15 Depth=1
	v_cmp_ne_u16_e64 s1, 0x80, v6
	v_mov_b32_e32 v6, 0x8000
	scratch_store_b32 off, v6, s32 offset:688 ; 4-byte Folded Spill
	s_wait_xcnt 0x0
	s_and_saveexec_b32 s11, s1
	s_cbranch_execz .LBB287_1193
; %bb.1188:                             ;   in Loop: Header=BB287_15 Depth=1
	v_bfe_u32 v8, v4, 16, 7
	v_mov_b32_e32 v6, 0x7c01
	s_mov_b32 s14, exec_lo
	scratch_store_b32 off, v6, s32 offset:688 ; 4-byte Folded Spill
	s_wait_xcnt 0x0
	v_cmpx_ne_u32_e32 0x7f, v8
	s_cbranch_execz .LBB287_1192
; %bb.1189:                             ;   in Loop: Header=BB287_15 Depth=1
	v_and_b32_e32 v6, 7, v0
	v_lshrrev_b32_e32 v7, 3, v8
	s_mov_b32 s15, exec_lo
	v_cmpx_gt_u32_e32 8, v8
; %bb.1190:                             ;   in Loop: Header=BB287_15 Depth=1
	s_delay_alu instid0(VALU_DEP_3) | instskip(NEXT) | instid1(VALU_DEP_1)
	v_clz_i32_u32_e32 v6, v6
	v_min_u32_e32 v8, 32, v6
	s_delay_alu instid0(VALU_DEP_1) | instskip(NEXT) | instid1(VALU_DEP_1)
	v_subrev_nc_u32_e32 v6, 28, v8
	v_lshlrev_b64_e32 v[6:7], v6, v[0:1]
	s_delay_alu instid0(VALU_DEP_1)
	v_dual_sub_nc_u32 v7, 29, v8 :: v_dual_bitop2_b32 v6, 7, v6 bitop3:0x40
; %bb.1191:                             ;   in Loop: Header=BB287_15 Depth=1
	s_or_b32 exec_lo, exec_lo, s15
	s_delay_alu instid0(VALU_DEP_1) | instskip(NEXT) | instid1(VALU_DEP_2)
	v_dual_lshlrev_b32 v0, 8, v0 :: v_dual_lshlrev_b32 v6, 7, v6
	v_lshl_add_u32 v7, v7, 10, 0x2000
	s_delay_alu instid0(VALU_DEP_2) | instskip(NEXT) | instid1(VALU_DEP_2)
	v_and_b32_e32 v0, 0x8000, v0
	v_and_b32_e32 v7, 0xfc00, v7
	s_delay_alu instid0(VALU_DEP_1)
	v_or3_b32 v0, v0, v7, v6
	scratch_store_b32 off, v0, s32 offset:688 ; 4-byte Folded Spill
.LBB287_1192:                           ;   in Loop: Header=BB287_15 Depth=1
	s_wait_xcnt 0x0
	s_or_b32 exec_lo, exec_lo, s14
.LBB287_1193:                           ;   in Loop: Header=BB287_15 Depth=1
	s_delay_alu instid0(SALU_CYCLE_1)
	s_or_b32 exec_lo, exec_lo, s11
.LBB287_1194:                           ;   in Loop: Header=BB287_15 Depth=1
	s_delay_alu instid0(SALU_CYCLE_1)
	s_or_b32 exec_lo, exec_lo, s8
	v_dual_mov_b32 v0, 0 :: v_dual_mov_b32 v114, 0
	s_mov_b32 s8, exec_lo
	scratch_store_b32 off, v0, s32 offset:692 ; 4-byte Folded Spill
	s_wait_xcnt 0x0
	v_cmpx_lt_u32_e32 0xffffff, v4
	s_cbranch_execz .LBB287_1202
; %bb.1195:                             ;   in Loop: Header=BB287_15 Depth=1
	v_lshrrev_b32_e32 v24, 24, v4
	v_bfrev_b32_e32 v114, 1
	s_mov_b32 s11, exec_lo
	s_delay_alu instid0(VALU_DEP_2)
	v_cmpx_ne_u32_e32 0x80, v24
	s_cbranch_execz .LBB287_1201
; %bb.1196:                             ;   in Loop: Header=BB287_15 Depth=1
	v_and_b32_e32 v7, 0x7f, v24
	v_mov_b32_e32 v114, 0x7c010000
	s_mov_b32 s14, exec_lo
	s_delay_alu instid0(VALU_DEP_2)
	v_cmpx_ne_u32_e32 0x7f, v7
	s_cbranch_execz .LBB287_1200
; %bb.1197:                             ;   in Loop: Header=BB287_15 Depth=1
	v_dual_lshrrev_b32 v6, 3, v7 :: v_dual_bitop2_b32 v0, 7, v24 bitop3:0x40
	s_mov_b32 s15, exec_lo
	v_cmpx_gt_u32_e32 8, v7
; %bb.1198:                             ;   in Loop: Header=BB287_15 Depth=1
	s_delay_alu instid0(VALU_DEP_2) | instskip(NEXT) | instid1(VALU_DEP_1)
	v_clz_i32_u32_e32 v0, v0
	v_min_u32_e32 v0, 32, v0
	s_delay_alu instid0(VALU_DEP_1) | instskip(NEXT) | instid1(VALU_DEP_1)
	v_subrev_nc_u32_e32 v6, 28, v0
	v_lshlrev_b64_e32 v[8:9], v6, v[24:25]
	v_sub_nc_u32_e32 v6, 29, v0
	s_delay_alu instid0(VALU_DEP_2)
	v_and_b32_e32 v0, 7, v8
; %bb.1199:                             ;   in Loop: Header=BB287_15 Depth=1
	s_or_b32 exec_lo, exec_lo, s15
	v_lshlrev_b32_e32 v7, 8, v24
	s_delay_alu instid0(VALU_DEP_3) | instskip(NEXT) | instid1(VALU_DEP_3)
	v_lshl_add_u32 v6, v6, 10, 0x2000
	v_lshlrev_b32_e32 v0, 23, v0
	s_delay_alu instid0(VALU_DEP_2) | instskip(NEXT) | instid1(VALU_DEP_1)
	v_and_or_b32 v6, 0x8000, v7, v6
	v_lshl_or_b32 v114, v6, 16, v0
.LBB287_1200:                           ;   in Loop: Header=BB287_15 Depth=1
	s_or_b32 exec_lo, exec_lo, s14
.LBB287_1201:                           ;   in Loop: Header=BB287_15 Depth=1
	s_delay_alu instid0(SALU_CYCLE_1)
	s_or_b32 exec_lo, exec_lo, s11
.LBB287_1202:                           ;   in Loop: Header=BB287_15 Depth=1
	s_delay_alu instid0(SALU_CYCLE_1) | instskip(SKIP_3) | instid1(VALU_DEP_2)
	s_or_b32 exec_lo, exec_lo, s8
	v_and_b32_e32 v0, 0xff, v5
	v_mov_b32_e32 v24, v5
	s_mov_b32 s8, exec_lo
	v_cmpx_ne_u16_e32 0, v0
	s_cbranch_execz .LBB287_1210
; %bb.1203:                             ;   in Loop: Header=BB287_15 Depth=1
	v_cmp_ne_u16_e64 s1, 0x80, v0
	v_mov_b32_e32 v0, 0x8000
	scratch_store_b32 off, v0, s32 offset:692 ; 4-byte Folded Spill
	s_wait_xcnt 0x0
	s_and_saveexec_b32 s11, s1
	s_cbranch_execz .LBB287_1209
; %bb.1204:                             ;   in Loop: Header=BB287_15 Depth=1
	v_and_b32_e32 v7, 0x7f, v5
	v_mov_b32_e32 v0, 0x7c01
	s_mov_b32 s14, exec_lo
	scratch_store_b32 off, v0, s32 offset:692 ; 4-byte Folded Spill
	s_wait_xcnt 0x0
	v_cmpx_ne_u32_e32 0x7f, v7
	s_cbranch_execz .LBB287_1208
; %bb.1205:                             ;   in Loop: Header=BB287_15 Depth=1
	v_dual_lshrrev_b32 v6, 3, v7 :: v_dual_bitop2_b32 v0, 7, v5 bitop3:0x40
	s_mov_b32 s15, exec_lo
	v_cmpx_gt_u32_e32 8, v7
; %bb.1206:                             ;   in Loop: Header=BB287_15 Depth=1
	s_delay_alu instid0(VALU_DEP_2) | instskip(NEXT) | instid1(VALU_DEP_1)
	v_clz_i32_u32_e32 v0, v0
	v_min_u32_e32 v0, 32, v0
	s_delay_alu instid0(VALU_DEP_1) | instskip(NEXT) | instid1(VALU_DEP_1)
	v_subrev_nc_u32_e32 v6, 28, v0
	v_lshlrev_b64_e32 v[8:9], v6, v[24:25]
	v_sub_nc_u32_e32 v6, 29, v0
	s_delay_alu instid0(VALU_DEP_2)
	v_and_b32_e32 v0, 7, v8
; %bb.1207:                             ;   in Loop: Header=BB287_15 Depth=1
	s_or_b32 exec_lo, exec_lo, s15
	s_delay_alu instid0(VALU_DEP_1) | instskip(NEXT) | instid1(VALU_DEP_3)
	v_dual_lshlrev_b32 v7, 8, v5 :: v_dual_lshlrev_b32 v0, 7, v0
	v_lshl_add_u32 v6, v6, 10, 0x2000
	s_delay_alu instid0(VALU_DEP_2) | instskip(NEXT) | instid1(VALU_DEP_2)
	v_and_b32_e32 v7, 0x8000, v7
	v_and_b32_e32 v6, 0xfc00, v6
	s_delay_alu instid0(VALU_DEP_1)
	v_or3_b32 v0, v7, v6, v0
	scratch_store_b32 off, v0, s32 offset:692 ; 4-byte Folded Spill
.LBB287_1208:                           ;   in Loop: Header=BB287_15 Depth=1
	s_wait_xcnt 0x0
	s_or_b32 exec_lo, exec_lo, s14
.LBB287_1209:                           ;   in Loop: Header=BB287_15 Depth=1
	s_delay_alu instid0(SALU_CYCLE_1)
	s_or_b32 exec_lo, exec_lo, s11
.LBB287_1210:                           ;   in Loop: Header=BB287_15 Depth=1
	s_delay_alu instid0(SALU_CYCLE_1)
	s_or_b32 exec_lo, exec_lo, s8
	v_lshrrev_b16 v24, 8, v24
	v_dual_mov_b32 v0, 0 :: v_dual_mov_b32 v113, 0
	s_mov_b32 s8, exec_lo
	scratch_store_b32 off, v0, s32 offset:696 ; 4-byte Folded Spill
	s_wait_xcnt 0x0
	v_cmpx_ne_u16_e32 0, v24
	s_cbranch_execz .LBB287_1218
; %bb.1211:                             ;   in Loop: Header=BB287_15 Depth=1
	v_bfrev_b32_e32 v113, 1
	s_mov_b32 s11, exec_lo
	v_cmpx_ne_u16_e32 0x80, v24
	s_cbranch_execz .LBB287_1217
; %bb.1212:                             ;   in Loop: Header=BB287_15 Depth=1
	v_and_b32_e32 v0, 0xffff, v24
	v_mov_b32_e32 v113, 0x7c010000
	s_mov_b32 s14, exec_lo
	s_delay_alu instid0(VALU_DEP_2) | instskip(NEXT) | instid1(VALU_DEP_1)
	v_and_b32_e32 v8, 0x7f, v0
	v_cmpx_ne_u32_e32 0x7f, v8
	s_cbranch_execz .LBB287_1216
; %bb.1213:                             ;   in Loop: Header=BB287_15 Depth=1
	v_and_b32_e32 v6, 7, v0
	v_lshrrev_b32_e32 v7, 3, v8
	s_mov_b32 s15, exec_lo
	v_cmpx_gt_u32_e32 8, v8
; %bb.1214:                             ;   in Loop: Header=BB287_15 Depth=1
	s_delay_alu instid0(VALU_DEP_3) | instskip(NEXT) | instid1(VALU_DEP_1)
	v_clz_i32_u32_e32 v6, v6
	v_min_u32_e32 v8, 32, v6
	s_delay_alu instid0(VALU_DEP_1) | instskip(NEXT) | instid1(VALU_DEP_1)
	v_subrev_nc_u32_e32 v6, 28, v8
	v_lshlrev_b64_e32 v[6:7], v6, v[24:25]
	s_delay_alu instid0(VALU_DEP_1)
	v_dual_sub_nc_u32 v7, 29, v8 :: v_dual_bitop2_b32 v6, 7, v6 bitop3:0x40
; %bb.1215:                             ;   in Loop: Header=BB287_15 Depth=1
	s_or_b32 exec_lo, exec_lo, s15
	s_delay_alu instid0(VALU_DEP_1) | instskip(NEXT) | instid1(VALU_DEP_2)
	v_dual_lshlrev_b32 v0, 8, v0 :: v_dual_lshlrev_b32 v6, 23, v6
	v_lshl_add_u32 v7, v7, 10, 0x2000
	s_delay_alu instid0(VALU_DEP_1) | instskip(NEXT) | instid1(VALU_DEP_1)
	v_and_or_b32 v0, 0x8000, v0, v7
	v_lshl_or_b32 v113, v0, 16, v6
.LBB287_1216:                           ;   in Loop: Header=BB287_15 Depth=1
	s_or_b32 exec_lo, exec_lo, s14
.LBB287_1217:                           ;   in Loop: Header=BB287_15 Depth=1
	s_delay_alu instid0(SALU_CYCLE_1)
	s_or_b32 exec_lo, exec_lo, s11
.LBB287_1218:                           ;   in Loop: Header=BB287_15 Depth=1
	s_delay_alu instid0(SALU_CYCLE_1) | instskip(SKIP_2) | instid1(VALU_DEP_1)
	s_or_b32 exec_lo, exec_lo, s8
	v_lshrrev_b32_e32 v0, 16, v5
	s_mov_b32 s8, exec_lo
	v_and_b32_e32 v6, 0xff, v0
	s_delay_alu instid0(VALU_DEP_1)
	v_cmpx_ne_u16_e32 0, v6
	s_cbranch_execz .LBB287_1226
; %bb.1219:                             ;   in Loop: Header=BB287_15 Depth=1
	v_cmp_ne_u16_e64 s1, 0x80, v6
	v_mov_b32_e32 v6, 0x8000
	scratch_store_b32 off, v6, s32 offset:696 ; 4-byte Folded Spill
	s_wait_xcnt 0x0
	s_and_saveexec_b32 s11, s1
	s_cbranch_execz .LBB287_1225
; %bb.1220:                             ;   in Loop: Header=BB287_15 Depth=1
	v_bfe_u32 v8, v5, 16, 7
	v_mov_b32_e32 v6, 0x7c01
	s_mov_b32 s14, exec_lo
	scratch_store_b32 off, v6, s32 offset:696 ; 4-byte Folded Spill
	s_wait_xcnt 0x0
	v_cmpx_ne_u32_e32 0x7f, v8
	s_cbranch_execz .LBB287_1224
; %bb.1221:                             ;   in Loop: Header=BB287_15 Depth=1
	v_and_b32_e32 v6, 7, v0
	v_lshrrev_b32_e32 v7, 3, v8
	s_mov_b32 s15, exec_lo
	v_cmpx_gt_u32_e32 8, v8
; %bb.1222:                             ;   in Loop: Header=BB287_15 Depth=1
	s_delay_alu instid0(VALU_DEP_3) | instskip(NEXT) | instid1(VALU_DEP_1)
	v_clz_i32_u32_e32 v6, v6
	v_min_u32_e32 v8, 32, v6
	s_delay_alu instid0(VALU_DEP_1) | instskip(NEXT) | instid1(VALU_DEP_1)
	v_subrev_nc_u32_e32 v6, 28, v8
	v_lshlrev_b64_e32 v[6:7], v6, v[0:1]
	s_delay_alu instid0(VALU_DEP_1)
	v_dual_sub_nc_u32 v7, 29, v8 :: v_dual_bitop2_b32 v6, 7, v6 bitop3:0x40
; %bb.1223:                             ;   in Loop: Header=BB287_15 Depth=1
	s_or_b32 exec_lo, exec_lo, s15
	s_delay_alu instid0(VALU_DEP_1) | instskip(NEXT) | instid1(VALU_DEP_2)
	v_dual_lshlrev_b32 v0, 8, v0 :: v_dual_lshlrev_b32 v6, 7, v6
	v_lshl_add_u32 v7, v7, 10, 0x2000
	s_delay_alu instid0(VALU_DEP_2) | instskip(NEXT) | instid1(VALU_DEP_2)
	v_and_b32_e32 v0, 0x8000, v0
	v_and_b32_e32 v7, 0xfc00, v7
	s_delay_alu instid0(VALU_DEP_1)
	v_or3_b32 v0, v0, v7, v6
	scratch_store_b32 off, v0, s32 offset:696 ; 4-byte Folded Spill
.LBB287_1224:                           ;   in Loop: Header=BB287_15 Depth=1
	s_wait_xcnt 0x0
	s_or_b32 exec_lo, exec_lo, s14
.LBB287_1225:                           ;   in Loop: Header=BB287_15 Depth=1
	s_delay_alu instid0(SALU_CYCLE_1)
	s_or_b32 exec_lo, exec_lo, s11
.LBB287_1226:                           ;   in Loop: Header=BB287_15 Depth=1
	s_delay_alu instid0(SALU_CYCLE_1)
	s_or_b32 exec_lo, exec_lo, s8
	v_dual_mov_b32 v0, 0 :: v_dual_mov_b32 v44, 0
	s_mov_b32 s8, exec_lo
	scratch_store_b32 off, v0, s32 offset:700 ; 4-byte Folded Spill
	s_wait_xcnt 0x0
	v_cmpx_lt_u64_e64 s[4:5], v[4:5]
	s_cbranch_execz .LBB287_1234
; %bb.1227:                             ;   in Loop: Header=BB287_15 Depth=1
	v_lshrrev_b32_e32 v24, 24, v5
	v_bfrev_b32_e32 v44, 1
	s_mov_b32 s11, exec_lo
	s_delay_alu instid0(VALU_DEP_2)
	v_cmpx_ne_u32_e32 0x80, v24
	s_cbranch_execz .LBB287_1233
; %bb.1228:                             ;   in Loop: Header=BB287_15 Depth=1
	v_and_b32_e32 v5, 0x7f, v24
	v_mov_b32_e32 v44, 0x7c010000
	s_mov_b32 s14, exec_lo
	s_delay_alu instid0(VALU_DEP_2)
	v_cmpx_ne_u32_e32 0x7f, v5
	s_cbranch_execz .LBB287_1232
; %bb.1229:                             ;   in Loop: Header=BB287_15 Depth=1
	v_dual_lshrrev_b32 v4, 3, v5 :: v_dual_bitop2_b32 v0, 7, v24 bitop3:0x40
	s_mov_b32 s15, exec_lo
	v_cmpx_gt_u32_e32 8, v5
; %bb.1230:                             ;   in Loop: Header=BB287_15 Depth=1
	s_delay_alu instid0(VALU_DEP_2) | instskip(NEXT) | instid1(VALU_DEP_1)
	v_clz_i32_u32_e32 v0, v0
	v_min_u32_e32 v0, 32, v0
	s_delay_alu instid0(VALU_DEP_1) | instskip(NEXT) | instid1(VALU_DEP_1)
	v_subrev_nc_u32_e32 v4, 28, v0
	v_lshlrev_b64_e32 v[6:7], v4, v[24:25]
	s_delay_alu instid0(VALU_DEP_1)
	v_dual_sub_nc_u32 v4, 29, v0 :: v_dual_bitop2_b32 v0, 7, v6 bitop3:0x40
; %bb.1231:                             ;   in Loop: Header=BB287_15 Depth=1
	s_or_b32 exec_lo, exec_lo, s15
	v_lshlrev_b32_e32 v5, 8, v24
	s_delay_alu instid0(VALU_DEP_2) | instskip(NEXT) | instid1(VALU_DEP_3)
	v_lshl_add_u32 v4, v4, 10, 0x2000
	v_lshlrev_b32_e32 v0, 23, v0
	s_delay_alu instid0(VALU_DEP_2) | instskip(NEXT) | instid1(VALU_DEP_1)
	v_and_or_b32 v4, 0x8000, v5, v4
	v_lshl_or_b32 v44, v4, 16, v0
.LBB287_1232:                           ;   in Loop: Header=BB287_15 Depth=1
	s_or_b32 exec_lo, exec_lo, s14
.LBB287_1233:                           ;   in Loop: Header=BB287_15 Depth=1
	s_delay_alu instid0(SALU_CYCLE_1)
	s_or_b32 exec_lo, exec_lo, s11
.LBB287_1234:                           ;   in Loop: Header=BB287_15 Depth=1
	s_delay_alu instid0(SALU_CYCLE_1)
	s_or_b32 exec_lo, exec_lo, s8
	flat_load_b64 v[4:5], v[2:3] offset:4616
	s_mov_b32 s8, exec_lo
	s_wait_loadcnt_dscnt 0x0
	v_and_b32_e32 v0, 0xff, v4
	s_wait_xcnt 0x0
	s_delay_alu instid0(VALU_DEP_1)
	v_cmpx_ne_u16_e32 0, v0
	s_cbranch_execz .LBB287_1242
; %bb.1235:                             ;   in Loop: Header=BB287_15 Depth=1
	v_cmp_ne_u16_e64 s1, 0x80, v0
	v_mov_b32_e32 v0, 0x8000
	scratch_store_b32 off, v0, s32 offset:700 ; 4-byte Folded Spill
	s_wait_xcnt 0x0
	s_and_saveexec_b32 s11, s1
	s_cbranch_execz .LBB287_1241
; %bb.1236:                             ;   in Loop: Header=BB287_15 Depth=1
	v_and_b32_e32 v7, 0x7f, v4
	v_mov_b32_e32 v0, 0x7c01
	s_mov_b32 s14, exec_lo
	scratch_store_b32 off, v0, s32 offset:700 ; 4-byte Folded Spill
	s_wait_xcnt 0x0
	v_cmpx_ne_u32_e32 0x7f, v7
	s_cbranch_execz .LBB287_1240
; %bb.1237:                             ;   in Loop: Header=BB287_15 Depth=1
	v_dual_lshrrev_b32 v6, 3, v7 :: v_dual_bitop2_b32 v0, 7, v4 bitop3:0x40
	s_mov_b32 s15, exec_lo
	v_cmpx_gt_u32_e32 8, v7
; %bb.1238:                             ;   in Loop: Header=BB287_15 Depth=1
	s_delay_alu instid0(VALU_DEP_2) | instskip(NEXT) | instid1(VALU_DEP_1)
	v_clz_i32_u32_e32 v0, v0
	v_min_u32_e32 v0, 32, v0
	s_delay_alu instid0(VALU_DEP_1) | instskip(NEXT) | instid1(VALU_DEP_1)
	v_subrev_nc_u32_e32 v6, 28, v0
	v_lshlrev_b64_e32 v[8:9], v6, v[4:5]
	v_sub_nc_u32_e32 v6, 29, v0
	s_delay_alu instid0(VALU_DEP_2)
	v_and_b32_e32 v0, 7, v8
; %bb.1239:                             ;   in Loop: Header=BB287_15 Depth=1
	s_or_b32 exec_lo, exec_lo, s15
	v_lshlrev_b32_e32 v7, 8, v4
	s_delay_alu instid0(VALU_DEP_3) | instskip(NEXT) | instid1(VALU_DEP_3)
	v_lshl_add_u32 v6, v6, 10, 0x2000
	v_lshlrev_b32_e32 v0, 7, v0
	s_delay_alu instid0(VALU_DEP_3) | instskip(NEXT) | instid1(VALU_DEP_3)
	v_and_b32_e32 v7, 0x8000, v7
	v_and_b32_e32 v6, 0xfc00, v6
	s_delay_alu instid0(VALU_DEP_1)
	v_or3_b32 v0, v7, v6, v0
	scratch_store_b32 off, v0, s32 offset:700 ; 4-byte Folded Spill
.LBB287_1240:                           ;   in Loop: Header=BB287_15 Depth=1
	s_wait_xcnt 0x0
	s_or_b32 exec_lo, exec_lo, s14
.LBB287_1241:                           ;   in Loop: Header=BB287_15 Depth=1
	s_delay_alu instid0(SALU_CYCLE_1)
	s_or_b32 exec_lo, exec_lo, s11
.LBB287_1242:                           ;   in Loop: Header=BB287_15 Depth=1
	s_delay_alu instid0(SALU_CYCLE_1)
	s_or_b32 exec_lo, exec_lo, s8
	v_lshrrev_b16 v24, 8, v4
	v_dual_mov_b32 v0, 0 :: v_dual_mov_b32 v40, 0
	s_mov_b32 s8, exec_lo
	scratch_store_b32 off, v0, s32 offset:708 ; 4-byte Folded Spill
	s_wait_xcnt 0x0
	v_cmpx_ne_u16_e32 0, v24
	s_cbranch_execz .LBB287_1250
; %bb.1243:                             ;   in Loop: Header=BB287_15 Depth=1
	v_bfrev_b32_e32 v40, 1
	s_mov_b32 s11, exec_lo
	v_cmpx_ne_u16_e32 0x80, v24
	s_cbranch_execz .LBB287_1249
; %bb.1244:                             ;   in Loop: Header=BB287_15 Depth=1
	v_and_b32_e32 v0, 0xffff, v24
	v_mov_b32_e32 v40, 0x7c010000
	s_mov_b32 s14, exec_lo
	s_delay_alu instid0(VALU_DEP_2) | instskip(NEXT) | instid1(VALU_DEP_1)
	v_and_b32_e32 v8, 0x7f, v0
	v_cmpx_ne_u32_e32 0x7f, v8
	s_cbranch_execz .LBB287_1248
; %bb.1245:                             ;   in Loop: Header=BB287_15 Depth=1
	v_and_b32_e32 v6, 7, v0
	v_lshrrev_b32_e32 v7, 3, v8
	s_mov_b32 s15, exec_lo
	v_cmpx_gt_u32_e32 8, v8
; %bb.1246:                             ;   in Loop: Header=BB287_15 Depth=1
	s_delay_alu instid0(VALU_DEP_3) | instskip(NEXT) | instid1(VALU_DEP_1)
	v_clz_i32_u32_e32 v6, v6
	v_min_u32_e32 v8, 32, v6
	s_delay_alu instid0(VALU_DEP_1) | instskip(NEXT) | instid1(VALU_DEP_1)
	v_subrev_nc_u32_e32 v6, 28, v8
	v_lshlrev_b64_e32 v[6:7], v6, v[24:25]
	s_delay_alu instid0(VALU_DEP_1)
	v_dual_sub_nc_u32 v7, 29, v8 :: v_dual_bitop2_b32 v6, 7, v6 bitop3:0x40
; %bb.1247:                             ;   in Loop: Header=BB287_15 Depth=1
	s_or_b32 exec_lo, exec_lo, s15
	s_delay_alu instid0(VALU_DEP_1) | instskip(NEXT) | instid1(VALU_DEP_2)
	v_dual_lshlrev_b32 v0, 8, v0 :: v_dual_lshlrev_b32 v6, 23, v6
	v_lshl_add_u32 v7, v7, 10, 0x2000
	s_delay_alu instid0(VALU_DEP_1) | instskip(NEXT) | instid1(VALU_DEP_1)
	v_and_or_b32 v0, 0x8000, v0, v7
	v_lshl_or_b32 v40, v0, 16, v6
.LBB287_1248:                           ;   in Loop: Header=BB287_15 Depth=1
	s_or_b32 exec_lo, exec_lo, s14
.LBB287_1249:                           ;   in Loop: Header=BB287_15 Depth=1
	s_delay_alu instid0(SALU_CYCLE_1)
	s_or_b32 exec_lo, exec_lo, s11
.LBB287_1250:                           ;   in Loop: Header=BB287_15 Depth=1
	s_delay_alu instid0(SALU_CYCLE_1) | instskip(SKIP_2) | instid1(VALU_DEP_1)
	s_or_b32 exec_lo, exec_lo, s8
	v_lshrrev_b32_e32 v0, 16, v4
	s_mov_b32 s8, exec_lo
	v_and_b32_e32 v6, 0xff, v0
	s_delay_alu instid0(VALU_DEP_1)
	v_cmpx_ne_u16_e32 0, v6
	s_cbranch_execz .LBB287_1258
; %bb.1251:                             ;   in Loop: Header=BB287_15 Depth=1
	v_cmp_ne_u16_e64 s1, 0x80, v6
	v_mov_b32_e32 v6, 0x8000
	scratch_store_b32 off, v6, s32 offset:708 ; 4-byte Folded Spill
	s_wait_xcnt 0x0
	s_and_saveexec_b32 s11, s1
	s_cbranch_execz .LBB287_1257
; %bb.1252:                             ;   in Loop: Header=BB287_15 Depth=1
	v_bfe_u32 v8, v4, 16, 7
	v_mov_b32_e32 v6, 0x7c01
	s_mov_b32 s14, exec_lo
	scratch_store_b32 off, v6, s32 offset:708 ; 4-byte Folded Spill
	s_wait_xcnt 0x0
	v_cmpx_ne_u32_e32 0x7f, v8
	s_cbranch_execz .LBB287_1256
; %bb.1253:                             ;   in Loop: Header=BB287_15 Depth=1
	v_and_b32_e32 v6, 7, v0
	v_lshrrev_b32_e32 v7, 3, v8
	s_mov_b32 s15, exec_lo
	v_cmpx_gt_u32_e32 8, v8
; %bb.1254:                             ;   in Loop: Header=BB287_15 Depth=1
	s_delay_alu instid0(VALU_DEP_3) | instskip(NEXT) | instid1(VALU_DEP_1)
	v_clz_i32_u32_e32 v6, v6
	v_min_u32_e32 v8, 32, v6
	s_delay_alu instid0(VALU_DEP_1) | instskip(NEXT) | instid1(VALU_DEP_1)
	v_subrev_nc_u32_e32 v6, 28, v8
	v_lshlrev_b64_e32 v[6:7], v6, v[0:1]
	s_delay_alu instid0(VALU_DEP_1)
	v_dual_sub_nc_u32 v7, 29, v8 :: v_dual_bitop2_b32 v6, 7, v6 bitop3:0x40
; %bb.1255:                             ;   in Loop: Header=BB287_15 Depth=1
	s_or_b32 exec_lo, exec_lo, s15
	s_delay_alu instid0(VALU_DEP_1) | instskip(NEXT) | instid1(VALU_DEP_2)
	v_dual_lshlrev_b32 v0, 8, v0 :: v_dual_lshlrev_b32 v6, 7, v6
	v_lshl_add_u32 v7, v7, 10, 0x2000
	s_delay_alu instid0(VALU_DEP_2) | instskip(NEXT) | instid1(VALU_DEP_2)
	v_and_b32_e32 v0, 0x8000, v0
	v_and_b32_e32 v7, 0xfc00, v7
	s_delay_alu instid0(VALU_DEP_1)
	v_or3_b32 v0, v0, v7, v6
	scratch_store_b32 off, v0, s32 offset:708 ; 4-byte Folded Spill
.LBB287_1256:                           ;   in Loop: Header=BB287_15 Depth=1
	s_wait_xcnt 0x0
	s_or_b32 exec_lo, exec_lo, s14
.LBB287_1257:                           ;   in Loop: Header=BB287_15 Depth=1
	s_delay_alu instid0(SALU_CYCLE_1)
	s_or_b32 exec_lo, exec_lo, s11
.LBB287_1258:                           ;   in Loop: Header=BB287_15 Depth=1
	s_delay_alu instid0(SALU_CYCLE_1)
	s_or_b32 exec_lo, exec_lo, s8
	v_dual_mov_b32 v0, 0 :: v_dual_mov_b32 v79, 0
	s_mov_b32 s8, exec_lo
	scratch_store_b32 off, v0, s32 offset:716 ; 4-byte Folded Spill
	s_wait_xcnt 0x0
	v_cmpx_lt_u32_e32 0xffffff, v4
	s_cbranch_execz .LBB287_1266
; %bb.1259:                             ;   in Loop: Header=BB287_15 Depth=1
	v_lshrrev_b32_e32 v24, 24, v4
	v_bfrev_b32_e32 v79, 1
	s_mov_b32 s11, exec_lo
	s_delay_alu instid0(VALU_DEP_2)
	v_cmpx_ne_u32_e32 0x80, v24
	s_cbranch_execz .LBB287_1265
; %bb.1260:                             ;   in Loop: Header=BB287_15 Depth=1
	v_and_b32_e32 v7, 0x7f, v24
	v_mov_b32_e32 v79, 0x7c010000
	s_mov_b32 s14, exec_lo
	s_delay_alu instid0(VALU_DEP_2)
	v_cmpx_ne_u32_e32 0x7f, v7
	s_cbranch_execz .LBB287_1264
; %bb.1261:                             ;   in Loop: Header=BB287_15 Depth=1
	v_dual_lshrrev_b32 v6, 3, v7 :: v_dual_bitop2_b32 v0, 7, v24 bitop3:0x40
	s_mov_b32 s15, exec_lo
	v_cmpx_gt_u32_e32 8, v7
; %bb.1262:                             ;   in Loop: Header=BB287_15 Depth=1
	s_delay_alu instid0(VALU_DEP_2) | instskip(NEXT) | instid1(VALU_DEP_1)
	v_clz_i32_u32_e32 v0, v0
	v_min_u32_e32 v0, 32, v0
	s_delay_alu instid0(VALU_DEP_1) | instskip(NEXT) | instid1(VALU_DEP_1)
	v_subrev_nc_u32_e32 v6, 28, v0
	v_lshlrev_b64_e32 v[8:9], v6, v[24:25]
	v_sub_nc_u32_e32 v6, 29, v0
	s_delay_alu instid0(VALU_DEP_2)
	v_and_b32_e32 v0, 7, v8
; %bb.1263:                             ;   in Loop: Header=BB287_15 Depth=1
	s_or_b32 exec_lo, exec_lo, s15
	v_lshlrev_b32_e32 v7, 8, v24
	s_delay_alu instid0(VALU_DEP_3) | instskip(NEXT) | instid1(VALU_DEP_3)
	v_lshl_add_u32 v6, v6, 10, 0x2000
	v_lshlrev_b32_e32 v0, 23, v0
	s_delay_alu instid0(VALU_DEP_2) | instskip(NEXT) | instid1(VALU_DEP_1)
	v_and_or_b32 v6, 0x8000, v7, v6
	v_lshl_or_b32 v79, v6, 16, v0
.LBB287_1264:                           ;   in Loop: Header=BB287_15 Depth=1
	s_or_b32 exec_lo, exec_lo, s14
.LBB287_1265:                           ;   in Loop: Header=BB287_15 Depth=1
	s_delay_alu instid0(SALU_CYCLE_1)
	s_or_b32 exec_lo, exec_lo, s11
.LBB287_1266:                           ;   in Loop: Header=BB287_15 Depth=1
	s_delay_alu instid0(SALU_CYCLE_1) | instskip(SKIP_3) | instid1(VALU_DEP_2)
	s_or_b32 exec_lo, exec_lo, s8
	v_and_b32_e32 v0, 0xff, v5
	v_mov_b32_e32 v24, v5
	s_mov_b32 s8, exec_lo
	v_cmpx_ne_u16_e32 0, v0
	s_cbranch_execz .LBB287_1274
; %bb.1267:                             ;   in Loop: Header=BB287_15 Depth=1
	v_cmp_ne_u16_e64 s1, 0x80, v0
	v_mov_b32_e32 v0, 0x8000
	scratch_store_b32 off, v0, s32 offset:716 ; 4-byte Folded Spill
	s_wait_xcnt 0x0
	s_and_saveexec_b32 s11, s1
	s_cbranch_execz .LBB287_1273
; %bb.1268:                             ;   in Loop: Header=BB287_15 Depth=1
	v_and_b32_e32 v7, 0x7f, v5
	v_mov_b32_e32 v0, 0x7c01
	s_mov_b32 s14, exec_lo
	scratch_store_b32 off, v0, s32 offset:716 ; 4-byte Folded Spill
	s_wait_xcnt 0x0
	v_cmpx_ne_u32_e32 0x7f, v7
	s_cbranch_execz .LBB287_1272
; %bb.1269:                             ;   in Loop: Header=BB287_15 Depth=1
	v_dual_lshrrev_b32 v6, 3, v7 :: v_dual_bitop2_b32 v0, 7, v5 bitop3:0x40
	s_mov_b32 s15, exec_lo
	v_cmpx_gt_u32_e32 8, v7
; %bb.1270:                             ;   in Loop: Header=BB287_15 Depth=1
	s_delay_alu instid0(VALU_DEP_2) | instskip(NEXT) | instid1(VALU_DEP_1)
	v_clz_i32_u32_e32 v0, v0
	v_min_u32_e32 v0, 32, v0
	s_delay_alu instid0(VALU_DEP_1) | instskip(NEXT) | instid1(VALU_DEP_1)
	v_subrev_nc_u32_e32 v6, 28, v0
	v_lshlrev_b64_e32 v[8:9], v6, v[24:25]
	v_sub_nc_u32_e32 v6, 29, v0
	s_delay_alu instid0(VALU_DEP_2)
	v_and_b32_e32 v0, 7, v8
; %bb.1271:                             ;   in Loop: Header=BB287_15 Depth=1
	s_or_b32 exec_lo, exec_lo, s15
	s_delay_alu instid0(VALU_DEP_1) | instskip(NEXT) | instid1(VALU_DEP_3)
	v_dual_lshlrev_b32 v7, 8, v5 :: v_dual_lshlrev_b32 v0, 7, v0
	v_lshl_add_u32 v6, v6, 10, 0x2000
	s_delay_alu instid0(VALU_DEP_2) | instskip(NEXT) | instid1(VALU_DEP_2)
	v_and_b32_e32 v7, 0x8000, v7
	v_and_b32_e32 v6, 0xfc00, v6
	s_delay_alu instid0(VALU_DEP_1)
	v_or3_b32 v0, v7, v6, v0
	scratch_store_b32 off, v0, s32 offset:716 ; 4-byte Folded Spill
.LBB287_1272:                           ;   in Loop: Header=BB287_15 Depth=1
	s_wait_xcnt 0x0
	s_or_b32 exec_lo, exec_lo, s14
.LBB287_1273:                           ;   in Loop: Header=BB287_15 Depth=1
	s_delay_alu instid0(SALU_CYCLE_1)
	s_or_b32 exec_lo, exec_lo, s11
.LBB287_1274:                           ;   in Loop: Header=BB287_15 Depth=1
	s_delay_alu instid0(SALU_CYCLE_1)
	s_or_b32 exec_lo, exec_lo, s8
	v_lshrrev_b16 v24, 8, v24
	v_dual_mov_b32 v0, 0 :: v_dual_mov_b32 v116, 0
	s_mov_b32 s8, exec_lo
	scratch_store_b32 off, v0, s32 offset:724 ; 4-byte Folded Spill
	s_wait_xcnt 0x0
	v_cmpx_ne_u16_e32 0, v24
	s_cbranch_execz .LBB287_1282
; %bb.1275:                             ;   in Loop: Header=BB287_15 Depth=1
	v_bfrev_b32_e32 v116, 1
	s_mov_b32 s11, exec_lo
	v_cmpx_ne_u16_e32 0x80, v24
	s_cbranch_execz .LBB287_1281
; %bb.1276:                             ;   in Loop: Header=BB287_15 Depth=1
	v_and_b32_e32 v0, 0xffff, v24
	v_mov_b32_e32 v116, 0x7c010000
	s_mov_b32 s14, exec_lo
	s_delay_alu instid0(VALU_DEP_2) | instskip(NEXT) | instid1(VALU_DEP_1)
	v_and_b32_e32 v8, 0x7f, v0
	v_cmpx_ne_u32_e32 0x7f, v8
	s_cbranch_execz .LBB287_1280
; %bb.1277:                             ;   in Loop: Header=BB287_15 Depth=1
	v_and_b32_e32 v6, 7, v0
	v_lshrrev_b32_e32 v7, 3, v8
	s_mov_b32 s15, exec_lo
	v_cmpx_gt_u32_e32 8, v8
; %bb.1278:                             ;   in Loop: Header=BB287_15 Depth=1
	s_delay_alu instid0(VALU_DEP_3) | instskip(NEXT) | instid1(VALU_DEP_1)
	v_clz_i32_u32_e32 v6, v6
	v_min_u32_e32 v8, 32, v6
	s_delay_alu instid0(VALU_DEP_1) | instskip(NEXT) | instid1(VALU_DEP_1)
	v_subrev_nc_u32_e32 v6, 28, v8
	v_lshlrev_b64_e32 v[6:7], v6, v[24:25]
	s_delay_alu instid0(VALU_DEP_1)
	v_dual_sub_nc_u32 v7, 29, v8 :: v_dual_bitop2_b32 v6, 7, v6 bitop3:0x40
; %bb.1279:                             ;   in Loop: Header=BB287_15 Depth=1
	s_or_b32 exec_lo, exec_lo, s15
	s_delay_alu instid0(VALU_DEP_1) | instskip(NEXT) | instid1(VALU_DEP_2)
	v_dual_lshlrev_b32 v0, 8, v0 :: v_dual_lshlrev_b32 v6, 23, v6
	v_lshl_add_u32 v7, v7, 10, 0x2000
	s_delay_alu instid0(VALU_DEP_1) | instskip(NEXT) | instid1(VALU_DEP_1)
	v_and_or_b32 v0, 0x8000, v0, v7
	v_lshl_or_b32 v116, v0, 16, v6
.LBB287_1280:                           ;   in Loop: Header=BB287_15 Depth=1
	s_or_b32 exec_lo, exec_lo, s14
.LBB287_1281:                           ;   in Loop: Header=BB287_15 Depth=1
	s_delay_alu instid0(SALU_CYCLE_1)
	s_or_b32 exec_lo, exec_lo, s11
.LBB287_1282:                           ;   in Loop: Header=BB287_15 Depth=1
	s_delay_alu instid0(SALU_CYCLE_1) | instskip(SKIP_2) | instid1(VALU_DEP_1)
	s_or_b32 exec_lo, exec_lo, s8
	v_lshrrev_b32_e32 v0, 16, v5
	s_mov_b32 s8, exec_lo
	v_and_b32_e32 v6, 0xff, v0
	s_delay_alu instid0(VALU_DEP_1)
	v_cmpx_ne_u16_e32 0, v6
	s_cbranch_execz .LBB287_1290
; %bb.1283:                             ;   in Loop: Header=BB287_15 Depth=1
	v_cmp_ne_u16_e64 s1, 0x80, v6
	v_mov_b32_e32 v6, 0x8000
	scratch_store_b32 off, v6, s32 offset:724 ; 4-byte Folded Spill
	s_wait_xcnt 0x0
	s_and_saveexec_b32 s11, s1
	s_cbranch_execz .LBB287_1289
; %bb.1284:                             ;   in Loop: Header=BB287_15 Depth=1
	v_bfe_u32 v8, v5, 16, 7
	v_mov_b32_e32 v6, 0x7c01
	s_mov_b32 s14, exec_lo
	scratch_store_b32 off, v6, s32 offset:724 ; 4-byte Folded Spill
	s_wait_xcnt 0x0
	v_cmpx_ne_u32_e32 0x7f, v8
	s_cbranch_execz .LBB287_1288
; %bb.1285:                             ;   in Loop: Header=BB287_15 Depth=1
	v_and_b32_e32 v6, 7, v0
	v_lshrrev_b32_e32 v7, 3, v8
	s_mov_b32 s15, exec_lo
	v_cmpx_gt_u32_e32 8, v8
; %bb.1286:                             ;   in Loop: Header=BB287_15 Depth=1
	s_delay_alu instid0(VALU_DEP_3) | instskip(NEXT) | instid1(VALU_DEP_1)
	v_clz_i32_u32_e32 v6, v6
	v_min_u32_e32 v8, 32, v6
	s_delay_alu instid0(VALU_DEP_1) | instskip(NEXT) | instid1(VALU_DEP_1)
	v_subrev_nc_u32_e32 v6, 28, v8
	v_lshlrev_b64_e32 v[6:7], v6, v[0:1]
	s_delay_alu instid0(VALU_DEP_1)
	v_dual_sub_nc_u32 v7, 29, v8 :: v_dual_bitop2_b32 v6, 7, v6 bitop3:0x40
; %bb.1287:                             ;   in Loop: Header=BB287_15 Depth=1
	s_or_b32 exec_lo, exec_lo, s15
	s_delay_alu instid0(VALU_DEP_1) | instskip(NEXT) | instid1(VALU_DEP_2)
	v_dual_lshlrev_b32 v0, 8, v0 :: v_dual_lshlrev_b32 v6, 7, v6
	v_lshl_add_u32 v7, v7, 10, 0x2000
	s_delay_alu instid0(VALU_DEP_2) | instskip(NEXT) | instid1(VALU_DEP_2)
	v_and_b32_e32 v0, 0x8000, v0
	v_and_b32_e32 v7, 0xfc00, v7
	s_delay_alu instid0(VALU_DEP_1)
	v_or3_b32 v0, v0, v7, v6
	scratch_store_b32 off, v0, s32 offset:724 ; 4-byte Folded Spill
.LBB287_1288:                           ;   in Loop: Header=BB287_15 Depth=1
	s_wait_xcnt 0x0
	s_or_b32 exec_lo, exec_lo, s14
.LBB287_1289:                           ;   in Loop: Header=BB287_15 Depth=1
	s_delay_alu instid0(SALU_CYCLE_1)
	s_or_b32 exec_lo, exec_lo, s11
.LBB287_1290:                           ;   in Loop: Header=BB287_15 Depth=1
	s_delay_alu instid0(SALU_CYCLE_1)
	s_or_b32 exec_lo, exec_lo, s8
	v_dual_mov_b32 v0, 0 :: v_dual_mov_b32 v62, 0
	s_mov_b32 s8, exec_lo
	scratch_store_b32 off, v0, s32 offset:732 ; 4-byte Folded Spill
	s_wait_xcnt 0x0
	v_cmpx_lt_u64_e64 s[4:5], v[4:5]
	s_cbranch_execz .LBB287_1298
; %bb.1291:                             ;   in Loop: Header=BB287_15 Depth=1
	v_lshrrev_b32_e32 v24, 24, v5
	v_bfrev_b32_e32 v62, 1
	s_mov_b32 s11, exec_lo
	s_delay_alu instid0(VALU_DEP_2)
	v_cmpx_ne_u32_e32 0x80, v24
	s_cbranch_execz .LBB287_1297
; %bb.1292:                             ;   in Loop: Header=BB287_15 Depth=1
	v_and_b32_e32 v5, 0x7f, v24
	v_mov_b32_e32 v62, 0x7c010000
	s_mov_b32 s14, exec_lo
	s_delay_alu instid0(VALU_DEP_2)
	v_cmpx_ne_u32_e32 0x7f, v5
	s_cbranch_execz .LBB287_1296
; %bb.1293:                             ;   in Loop: Header=BB287_15 Depth=1
	v_dual_lshrrev_b32 v4, 3, v5 :: v_dual_bitop2_b32 v0, 7, v24 bitop3:0x40
	s_mov_b32 s15, exec_lo
	v_cmpx_gt_u32_e32 8, v5
; %bb.1294:                             ;   in Loop: Header=BB287_15 Depth=1
	s_delay_alu instid0(VALU_DEP_2) | instskip(NEXT) | instid1(VALU_DEP_1)
	v_clz_i32_u32_e32 v0, v0
	v_min_u32_e32 v0, 32, v0
	s_delay_alu instid0(VALU_DEP_1) | instskip(NEXT) | instid1(VALU_DEP_1)
	v_subrev_nc_u32_e32 v4, 28, v0
	v_lshlrev_b64_e32 v[6:7], v4, v[24:25]
	s_delay_alu instid0(VALU_DEP_1)
	v_dual_sub_nc_u32 v4, 29, v0 :: v_dual_bitop2_b32 v0, 7, v6 bitop3:0x40
; %bb.1295:                             ;   in Loop: Header=BB287_15 Depth=1
	s_or_b32 exec_lo, exec_lo, s15
	v_lshlrev_b32_e32 v5, 8, v24
	s_delay_alu instid0(VALU_DEP_2) | instskip(NEXT) | instid1(VALU_DEP_3)
	v_lshl_add_u32 v4, v4, 10, 0x2000
	v_lshlrev_b32_e32 v0, 23, v0
	s_delay_alu instid0(VALU_DEP_2) | instskip(NEXT) | instid1(VALU_DEP_1)
	v_and_or_b32 v4, 0x8000, v5, v4
	v_lshl_or_b32 v62, v4, 16, v0
.LBB287_1296:                           ;   in Loop: Header=BB287_15 Depth=1
	s_or_b32 exec_lo, exec_lo, s14
.LBB287_1297:                           ;   in Loop: Header=BB287_15 Depth=1
	s_delay_alu instid0(SALU_CYCLE_1)
	s_or_b32 exec_lo, exec_lo, s11
.LBB287_1298:                           ;   in Loop: Header=BB287_15 Depth=1
	s_delay_alu instid0(SALU_CYCLE_1)
	s_or_b32 exec_lo, exec_lo, s8
	flat_load_b64 v[4:5], v[2:3] offset:5120
	s_mov_b32 s8, exec_lo
	s_wait_loadcnt_dscnt 0x0
	v_and_b32_e32 v0, 0xff, v4
	s_wait_xcnt 0x0
	s_delay_alu instid0(VALU_DEP_1)
	v_cmpx_ne_u16_e32 0, v0
	s_cbranch_execz .LBB287_1306
; %bb.1299:                             ;   in Loop: Header=BB287_15 Depth=1
	v_cmp_ne_u16_e64 s1, 0x80, v0
	v_mov_b32_e32 v0, 0x8000
	scratch_store_b32 off, v0, s32 offset:732 ; 4-byte Folded Spill
	s_wait_xcnt 0x0
	s_and_saveexec_b32 s11, s1
	s_cbranch_execz .LBB287_1305
; %bb.1300:                             ;   in Loop: Header=BB287_15 Depth=1
	v_and_b32_e32 v7, 0x7f, v4
	v_mov_b32_e32 v0, 0x7c01
	s_mov_b32 s14, exec_lo
	scratch_store_b32 off, v0, s32 offset:732 ; 4-byte Folded Spill
	s_wait_xcnt 0x0
	v_cmpx_ne_u32_e32 0x7f, v7
	s_cbranch_execz .LBB287_1304
; %bb.1301:                             ;   in Loop: Header=BB287_15 Depth=1
	v_dual_lshrrev_b32 v6, 3, v7 :: v_dual_bitop2_b32 v0, 7, v4 bitop3:0x40
	s_mov_b32 s15, exec_lo
	v_cmpx_gt_u32_e32 8, v7
; %bb.1302:                             ;   in Loop: Header=BB287_15 Depth=1
	s_delay_alu instid0(VALU_DEP_2) | instskip(NEXT) | instid1(VALU_DEP_1)
	v_clz_i32_u32_e32 v0, v0
	v_min_u32_e32 v0, 32, v0
	s_delay_alu instid0(VALU_DEP_1) | instskip(NEXT) | instid1(VALU_DEP_1)
	v_subrev_nc_u32_e32 v6, 28, v0
	v_lshlrev_b64_e32 v[8:9], v6, v[4:5]
	v_sub_nc_u32_e32 v6, 29, v0
	s_delay_alu instid0(VALU_DEP_2)
	v_and_b32_e32 v0, 7, v8
; %bb.1303:                             ;   in Loop: Header=BB287_15 Depth=1
	s_or_b32 exec_lo, exec_lo, s15
	v_lshlrev_b32_e32 v7, 8, v4
	s_delay_alu instid0(VALU_DEP_3) | instskip(NEXT) | instid1(VALU_DEP_3)
	v_lshl_add_u32 v6, v6, 10, 0x2000
	v_lshlrev_b32_e32 v0, 7, v0
	s_delay_alu instid0(VALU_DEP_3) | instskip(NEXT) | instid1(VALU_DEP_3)
	v_and_b32_e32 v7, 0x8000, v7
	v_and_b32_e32 v6, 0xfc00, v6
	s_delay_alu instid0(VALU_DEP_1)
	v_or3_b32 v0, v7, v6, v0
	scratch_store_b32 off, v0, s32 offset:732 ; 4-byte Folded Spill
.LBB287_1304:                           ;   in Loop: Header=BB287_15 Depth=1
	s_wait_xcnt 0x0
	s_or_b32 exec_lo, exec_lo, s14
.LBB287_1305:                           ;   in Loop: Header=BB287_15 Depth=1
	s_delay_alu instid0(SALU_CYCLE_1)
	s_or_b32 exec_lo, exec_lo, s11
.LBB287_1306:                           ;   in Loop: Header=BB287_15 Depth=1
	s_delay_alu instid0(SALU_CYCLE_1)
	s_or_b32 exec_lo, exec_lo, s8
	v_lshrrev_b16 v24, 8, v4
	v_dual_mov_b32 v0, 0 :: v_dual_mov_b32 v74, 0
	s_mov_b32 s8, exec_lo
	scratch_store_b32 off, v0, s32 offset:704 ; 4-byte Folded Spill
	s_wait_xcnt 0x0
	v_cmpx_ne_u16_e32 0, v24
	s_cbranch_execz .LBB287_1314
; %bb.1307:                             ;   in Loop: Header=BB287_15 Depth=1
	v_bfrev_b32_e32 v74, 1
	s_mov_b32 s11, exec_lo
	v_cmpx_ne_u16_e32 0x80, v24
	s_cbranch_execz .LBB287_1313
; %bb.1308:                             ;   in Loop: Header=BB287_15 Depth=1
	v_and_b32_e32 v0, 0xffff, v24
	v_mov_b32_e32 v74, 0x7c010000
	s_mov_b32 s14, exec_lo
	s_delay_alu instid0(VALU_DEP_2) | instskip(NEXT) | instid1(VALU_DEP_1)
	v_and_b32_e32 v8, 0x7f, v0
	v_cmpx_ne_u32_e32 0x7f, v8
	s_cbranch_execz .LBB287_1312
; %bb.1309:                             ;   in Loop: Header=BB287_15 Depth=1
	v_and_b32_e32 v6, 7, v0
	v_lshrrev_b32_e32 v7, 3, v8
	s_mov_b32 s15, exec_lo
	v_cmpx_gt_u32_e32 8, v8
; %bb.1310:                             ;   in Loop: Header=BB287_15 Depth=1
	s_delay_alu instid0(VALU_DEP_3) | instskip(NEXT) | instid1(VALU_DEP_1)
	v_clz_i32_u32_e32 v6, v6
	v_min_u32_e32 v8, 32, v6
	s_delay_alu instid0(VALU_DEP_1) | instskip(NEXT) | instid1(VALU_DEP_1)
	v_subrev_nc_u32_e32 v6, 28, v8
	v_lshlrev_b64_e32 v[6:7], v6, v[24:25]
	s_delay_alu instid0(VALU_DEP_1)
	v_dual_sub_nc_u32 v7, 29, v8 :: v_dual_bitop2_b32 v6, 7, v6 bitop3:0x40
; %bb.1311:                             ;   in Loop: Header=BB287_15 Depth=1
	s_or_b32 exec_lo, exec_lo, s15
	s_delay_alu instid0(VALU_DEP_1) | instskip(NEXT) | instid1(VALU_DEP_2)
	v_dual_lshlrev_b32 v0, 8, v0 :: v_dual_lshlrev_b32 v6, 23, v6
	v_lshl_add_u32 v7, v7, 10, 0x2000
	s_delay_alu instid0(VALU_DEP_1) | instskip(NEXT) | instid1(VALU_DEP_1)
	v_and_or_b32 v0, 0x8000, v0, v7
	v_lshl_or_b32 v74, v0, 16, v6
.LBB287_1312:                           ;   in Loop: Header=BB287_15 Depth=1
	s_or_b32 exec_lo, exec_lo, s14
.LBB287_1313:                           ;   in Loop: Header=BB287_15 Depth=1
	s_delay_alu instid0(SALU_CYCLE_1)
	s_or_b32 exec_lo, exec_lo, s11
.LBB287_1314:                           ;   in Loop: Header=BB287_15 Depth=1
	s_delay_alu instid0(SALU_CYCLE_1) | instskip(SKIP_2) | instid1(VALU_DEP_1)
	s_or_b32 exec_lo, exec_lo, s8
	v_lshrrev_b32_e32 v0, 16, v4
	s_mov_b32 s8, exec_lo
	v_and_b32_e32 v6, 0xff, v0
	s_delay_alu instid0(VALU_DEP_1)
	v_cmpx_ne_u16_e32 0, v6
	s_cbranch_execz .LBB287_1322
; %bb.1315:                             ;   in Loop: Header=BB287_15 Depth=1
	v_cmp_ne_u16_e64 s1, 0x80, v6
	v_mov_b32_e32 v6, 0x8000
	scratch_store_b32 off, v6, s32 offset:704 ; 4-byte Folded Spill
	s_wait_xcnt 0x0
	s_and_saveexec_b32 s11, s1
	s_cbranch_execz .LBB287_1321
; %bb.1316:                             ;   in Loop: Header=BB287_15 Depth=1
	v_bfe_u32 v8, v4, 16, 7
	v_mov_b32_e32 v6, 0x7c01
	s_mov_b32 s14, exec_lo
	scratch_store_b32 off, v6, s32 offset:704 ; 4-byte Folded Spill
	s_wait_xcnt 0x0
	v_cmpx_ne_u32_e32 0x7f, v8
	s_cbranch_execz .LBB287_1320
; %bb.1317:                             ;   in Loop: Header=BB287_15 Depth=1
	v_and_b32_e32 v6, 7, v0
	v_lshrrev_b32_e32 v7, 3, v8
	s_mov_b32 s15, exec_lo
	v_cmpx_gt_u32_e32 8, v8
; %bb.1318:                             ;   in Loop: Header=BB287_15 Depth=1
	s_delay_alu instid0(VALU_DEP_3) | instskip(NEXT) | instid1(VALU_DEP_1)
	v_clz_i32_u32_e32 v6, v6
	v_min_u32_e32 v8, 32, v6
	s_delay_alu instid0(VALU_DEP_1) | instskip(NEXT) | instid1(VALU_DEP_1)
	v_subrev_nc_u32_e32 v6, 28, v8
	v_lshlrev_b64_e32 v[6:7], v6, v[0:1]
	s_delay_alu instid0(VALU_DEP_1)
	v_dual_sub_nc_u32 v7, 29, v8 :: v_dual_bitop2_b32 v6, 7, v6 bitop3:0x40
; %bb.1319:                             ;   in Loop: Header=BB287_15 Depth=1
	s_or_b32 exec_lo, exec_lo, s15
	s_delay_alu instid0(VALU_DEP_1) | instskip(NEXT) | instid1(VALU_DEP_2)
	v_dual_lshlrev_b32 v0, 8, v0 :: v_dual_lshlrev_b32 v6, 7, v6
	v_lshl_add_u32 v7, v7, 10, 0x2000
	s_delay_alu instid0(VALU_DEP_2) | instskip(NEXT) | instid1(VALU_DEP_2)
	v_and_b32_e32 v0, 0x8000, v0
	v_and_b32_e32 v7, 0xfc00, v7
	s_delay_alu instid0(VALU_DEP_1)
	v_or3_b32 v0, v0, v7, v6
	scratch_store_b32 off, v0, s32 offset:704 ; 4-byte Folded Spill
.LBB287_1320:                           ;   in Loop: Header=BB287_15 Depth=1
	s_wait_xcnt 0x0
	s_or_b32 exec_lo, exec_lo, s14
.LBB287_1321:                           ;   in Loop: Header=BB287_15 Depth=1
	s_delay_alu instid0(SALU_CYCLE_1)
	s_or_b32 exec_lo, exec_lo, s11
.LBB287_1322:                           ;   in Loop: Header=BB287_15 Depth=1
	s_delay_alu instid0(SALU_CYCLE_1)
	s_or_b32 exec_lo, exec_lo, s8
	v_dual_mov_b32 v0, 0 :: v_dual_mov_b32 v43, 0
	s_mov_b32 s8, exec_lo
	scratch_store_b32 off, v0, s32 offset:712 ; 4-byte Folded Spill
	s_wait_xcnt 0x0
	v_cmpx_lt_u32_e32 0xffffff, v4
	s_cbranch_execz .LBB287_1330
; %bb.1323:                             ;   in Loop: Header=BB287_15 Depth=1
	v_lshrrev_b32_e32 v24, 24, v4
	v_bfrev_b32_e32 v43, 1
	s_mov_b32 s11, exec_lo
	s_delay_alu instid0(VALU_DEP_2)
	v_cmpx_ne_u32_e32 0x80, v24
	s_cbranch_execz .LBB287_1329
; %bb.1324:                             ;   in Loop: Header=BB287_15 Depth=1
	v_and_b32_e32 v7, 0x7f, v24
	v_mov_b32_e32 v43, 0x7c010000
	s_mov_b32 s14, exec_lo
	s_delay_alu instid0(VALU_DEP_2)
	v_cmpx_ne_u32_e32 0x7f, v7
	s_cbranch_execz .LBB287_1328
; %bb.1325:                             ;   in Loop: Header=BB287_15 Depth=1
	v_dual_lshrrev_b32 v6, 3, v7 :: v_dual_bitop2_b32 v0, 7, v24 bitop3:0x40
	s_mov_b32 s15, exec_lo
	v_cmpx_gt_u32_e32 8, v7
; %bb.1326:                             ;   in Loop: Header=BB287_15 Depth=1
	s_delay_alu instid0(VALU_DEP_2) | instskip(NEXT) | instid1(VALU_DEP_1)
	v_clz_i32_u32_e32 v0, v0
	v_min_u32_e32 v0, 32, v0
	s_delay_alu instid0(VALU_DEP_1) | instskip(NEXT) | instid1(VALU_DEP_1)
	v_subrev_nc_u32_e32 v6, 28, v0
	v_lshlrev_b64_e32 v[8:9], v6, v[24:25]
	v_sub_nc_u32_e32 v6, 29, v0
	s_delay_alu instid0(VALU_DEP_2)
	v_and_b32_e32 v0, 7, v8
; %bb.1327:                             ;   in Loop: Header=BB287_15 Depth=1
	s_or_b32 exec_lo, exec_lo, s15
	v_lshlrev_b32_e32 v7, 8, v24
	s_delay_alu instid0(VALU_DEP_3) | instskip(NEXT) | instid1(VALU_DEP_3)
	v_lshl_add_u32 v6, v6, 10, 0x2000
	v_lshlrev_b32_e32 v0, 23, v0
	s_delay_alu instid0(VALU_DEP_2) | instskip(NEXT) | instid1(VALU_DEP_1)
	v_and_or_b32 v6, 0x8000, v7, v6
	v_lshl_or_b32 v43, v6, 16, v0
.LBB287_1328:                           ;   in Loop: Header=BB287_15 Depth=1
	s_or_b32 exec_lo, exec_lo, s14
.LBB287_1329:                           ;   in Loop: Header=BB287_15 Depth=1
	s_delay_alu instid0(SALU_CYCLE_1)
	s_or_b32 exec_lo, exec_lo, s11
.LBB287_1330:                           ;   in Loop: Header=BB287_15 Depth=1
	s_delay_alu instid0(SALU_CYCLE_1) | instskip(SKIP_3) | instid1(VALU_DEP_2)
	s_or_b32 exec_lo, exec_lo, s8
	v_and_b32_e32 v0, 0xff, v5
	v_mov_b32_e32 v24, v5
	s_mov_b32 s8, exec_lo
	v_cmpx_ne_u16_e32 0, v0
	s_cbranch_execz .LBB287_1338
; %bb.1331:                             ;   in Loop: Header=BB287_15 Depth=1
	v_cmp_ne_u16_e64 s1, 0x80, v0
	v_mov_b32_e32 v0, 0x8000
	scratch_store_b32 off, v0, s32 offset:712 ; 4-byte Folded Spill
	s_wait_xcnt 0x0
	s_and_saveexec_b32 s11, s1
	s_cbranch_execz .LBB287_1337
; %bb.1332:                             ;   in Loop: Header=BB287_15 Depth=1
	v_and_b32_e32 v7, 0x7f, v5
	v_mov_b32_e32 v0, 0x7c01
	s_mov_b32 s14, exec_lo
	scratch_store_b32 off, v0, s32 offset:712 ; 4-byte Folded Spill
	s_wait_xcnt 0x0
	v_cmpx_ne_u32_e32 0x7f, v7
	s_cbranch_execz .LBB287_1336
; %bb.1333:                             ;   in Loop: Header=BB287_15 Depth=1
	v_dual_lshrrev_b32 v6, 3, v7 :: v_dual_bitop2_b32 v0, 7, v5 bitop3:0x40
	s_mov_b32 s15, exec_lo
	v_cmpx_gt_u32_e32 8, v7
; %bb.1334:                             ;   in Loop: Header=BB287_15 Depth=1
	s_delay_alu instid0(VALU_DEP_2) | instskip(NEXT) | instid1(VALU_DEP_1)
	v_clz_i32_u32_e32 v0, v0
	v_min_u32_e32 v0, 32, v0
	s_delay_alu instid0(VALU_DEP_1) | instskip(NEXT) | instid1(VALU_DEP_1)
	v_subrev_nc_u32_e32 v6, 28, v0
	v_lshlrev_b64_e32 v[8:9], v6, v[24:25]
	v_sub_nc_u32_e32 v6, 29, v0
	s_delay_alu instid0(VALU_DEP_2)
	v_and_b32_e32 v0, 7, v8
; %bb.1335:                             ;   in Loop: Header=BB287_15 Depth=1
	s_or_b32 exec_lo, exec_lo, s15
	s_delay_alu instid0(VALU_DEP_1) | instskip(NEXT) | instid1(VALU_DEP_3)
	v_dual_lshlrev_b32 v7, 8, v5 :: v_dual_lshlrev_b32 v0, 7, v0
	v_lshl_add_u32 v6, v6, 10, 0x2000
	s_delay_alu instid0(VALU_DEP_2) | instskip(NEXT) | instid1(VALU_DEP_2)
	v_and_b32_e32 v7, 0x8000, v7
	v_and_b32_e32 v6, 0xfc00, v6
	s_delay_alu instid0(VALU_DEP_1)
	v_or3_b32 v0, v7, v6, v0
	scratch_store_b32 off, v0, s32 offset:712 ; 4-byte Folded Spill
.LBB287_1336:                           ;   in Loop: Header=BB287_15 Depth=1
	s_wait_xcnt 0x0
	s_or_b32 exec_lo, exec_lo, s14
.LBB287_1337:                           ;   in Loop: Header=BB287_15 Depth=1
	s_delay_alu instid0(SALU_CYCLE_1)
	s_or_b32 exec_lo, exec_lo, s11
.LBB287_1338:                           ;   in Loop: Header=BB287_15 Depth=1
	s_delay_alu instid0(SALU_CYCLE_1)
	s_or_b32 exec_lo, exec_lo, s8
	v_lshrrev_b16 v24, 8, v24
	v_dual_mov_b32 v0, 0 :: v_dual_mov_b32 v46, 0
	s_mov_b32 s8, exec_lo
	scratch_store_b32 off, v0, s32 offset:720 ; 4-byte Folded Spill
	s_wait_xcnt 0x0
	v_cmpx_ne_u16_e32 0, v24
	s_cbranch_execz .LBB287_1346
; %bb.1339:                             ;   in Loop: Header=BB287_15 Depth=1
	v_bfrev_b32_e32 v46, 1
	s_mov_b32 s11, exec_lo
	v_cmpx_ne_u16_e32 0x80, v24
	s_cbranch_execz .LBB287_1345
; %bb.1340:                             ;   in Loop: Header=BB287_15 Depth=1
	v_and_b32_e32 v0, 0xffff, v24
	v_mov_b32_e32 v46, 0x7c010000
	s_mov_b32 s14, exec_lo
	s_delay_alu instid0(VALU_DEP_2) | instskip(NEXT) | instid1(VALU_DEP_1)
	v_and_b32_e32 v8, 0x7f, v0
	v_cmpx_ne_u32_e32 0x7f, v8
	s_cbranch_execz .LBB287_1344
; %bb.1341:                             ;   in Loop: Header=BB287_15 Depth=1
	v_and_b32_e32 v6, 7, v0
	v_lshrrev_b32_e32 v7, 3, v8
	s_mov_b32 s15, exec_lo
	v_cmpx_gt_u32_e32 8, v8
; %bb.1342:                             ;   in Loop: Header=BB287_15 Depth=1
	s_delay_alu instid0(VALU_DEP_3) | instskip(NEXT) | instid1(VALU_DEP_1)
	v_clz_i32_u32_e32 v6, v6
	v_min_u32_e32 v8, 32, v6
	s_delay_alu instid0(VALU_DEP_1) | instskip(NEXT) | instid1(VALU_DEP_1)
	v_subrev_nc_u32_e32 v6, 28, v8
	v_lshlrev_b64_e32 v[6:7], v6, v[24:25]
	s_delay_alu instid0(VALU_DEP_1)
	v_dual_sub_nc_u32 v7, 29, v8 :: v_dual_bitop2_b32 v6, 7, v6 bitop3:0x40
; %bb.1343:                             ;   in Loop: Header=BB287_15 Depth=1
	s_or_b32 exec_lo, exec_lo, s15
	s_delay_alu instid0(VALU_DEP_1) | instskip(NEXT) | instid1(VALU_DEP_2)
	v_dual_lshlrev_b32 v0, 8, v0 :: v_dual_lshlrev_b32 v6, 23, v6
	v_lshl_add_u32 v7, v7, 10, 0x2000
	s_delay_alu instid0(VALU_DEP_1) | instskip(NEXT) | instid1(VALU_DEP_1)
	v_and_or_b32 v0, 0x8000, v0, v7
	v_lshl_or_b32 v46, v0, 16, v6
.LBB287_1344:                           ;   in Loop: Header=BB287_15 Depth=1
	s_or_b32 exec_lo, exec_lo, s14
.LBB287_1345:                           ;   in Loop: Header=BB287_15 Depth=1
	s_delay_alu instid0(SALU_CYCLE_1)
	s_or_b32 exec_lo, exec_lo, s11
.LBB287_1346:                           ;   in Loop: Header=BB287_15 Depth=1
	s_delay_alu instid0(SALU_CYCLE_1) | instskip(SKIP_2) | instid1(VALU_DEP_1)
	s_or_b32 exec_lo, exec_lo, s8
	v_lshrrev_b32_e32 v0, 16, v5
	s_mov_b32 s8, exec_lo
	v_and_b32_e32 v6, 0xff, v0
	s_delay_alu instid0(VALU_DEP_1)
	v_cmpx_ne_u16_e32 0, v6
	s_cbranch_execz .LBB287_1354
; %bb.1347:                             ;   in Loop: Header=BB287_15 Depth=1
	v_cmp_ne_u16_e64 s1, 0x80, v6
	v_mov_b32_e32 v6, 0x8000
	scratch_store_b32 off, v6, s32 offset:720 ; 4-byte Folded Spill
	s_wait_xcnt 0x0
	s_and_saveexec_b32 s11, s1
	s_cbranch_execz .LBB287_1353
; %bb.1348:                             ;   in Loop: Header=BB287_15 Depth=1
	v_bfe_u32 v8, v5, 16, 7
	v_mov_b32_e32 v6, 0x7c01
	s_mov_b32 s14, exec_lo
	scratch_store_b32 off, v6, s32 offset:720 ; 4-byte Folded Spill
	s_wait_xcnt 0x0
	v_cmpx_ne_u32_e32 0x7f, v8
	s_cbranch_execz .LBB287_1352
; %bb.1349:                             ;   in Loop: Header=BB287_15 Depth=1
	v_and_b32_e32 v6, 7, v0
	v_lshrrev_b32_e32 v7, 3, v8
	s_mov_b32 s15, exec_lo
	v_cmpx_gt_u32_e32 8, v8
; %bb.1350:                             ;   in Loop: Header=BB287_15 Depth=1
	s_delay_alu instid0(VALU_DEP_3) | instskip(NEXT) | instid1(VALU_DEP_1)
	v_clz_i32_u32_e32 v6, v6
	v_min_u32_e32 v8, 32, v6
	s_delay_alu instid0(VALU_DEP_1) | instskip(NEXT) | instid1(VALU_DEP_1)
	v_subrev_nc_u32_e32 v6, 28, v8
	v_lshlrev_b64_e32 v[6:7], v6, v[0:1]
	s_delay_alu instid0(VALU_DEP_1)
	v_dual_sub_nc_u32 v7, 29, v8 :: v_dual_bitop2_b32 v6, 7, v6 bitop3:0x40
; %bb.1351:                             ;   in Loop: Header=BB287_15 Depth=1
	s_or_b32 exec_lo, exec_lo, s15
	s_delay_alu instid0(VALU_DEP_1) | instskip(NEXT) | instid1(VALU_DEP_2)
	v_dual_lshlrev_b32 v0, 8, v0 :: v_dual_lshlrev_b32 v6, 7, v6
	v_lshl_add_u32 v7, v7, 10, 0x2000
	s_delay_alu instid0(VALU_DEP_2) | instskip(NEXT) | instid1(VALU_DEP_2)
	v_and_b32_e32 v0, 0x8000, v0
	v_and_b32_e32 v7, 0xfc00, v7
	s_delay_alu instid0(VALU_DEP_1)
	v_or3_b32 v0, v0, v7, v6
	scratch_store_b32 off, v0, s32 offset:720 ; 4-byte Folded Spill
.LBB287_1352:                           ;   in Loop: Header=BB287_15 Depth=1
	s_wait_xcnt 0x0
	s_or_b32 exec_lo, exec_lo, s14
.LBB287_1353:                           ;   in Loop: Header=BB287_15 Depth=1
	s_delay_alu instid0(SALU_CYCLE_1)
	s_or_b32 exec_lo, exec_lo, s11
.LBB287_1354:                           ;   in Loop: Header=BB287_15 Depth=1
	s_delay_alu instid0(SALU_CYCLE_1)
	s_or_b32 exec_lo, exec_lo, s8
	v_dual_mov_b32 v0, 0 :: v_dual_mov_b32 v60, 0
	s_mov_b32 s8, exec_lo
	scratch_store_b32 off, v0, s32 offset:728 ; 4-byte Folded Spill
	s_wait_xcnt 0x0
	v_cmpx_lt_u64_e64 s[4:5], v[4:5]
	s_cbranch_execz .LBB287_1362
; %bb.1355:                             ;   in Loop: Header=BB287_15 Depth=1
	v_lshrrev_b32_e32 v24, 24, v5
	v_bfrev_b32_e32 v60, 1
	s_mov_b32 s11, exec_lo
	s_delay_alu instid0(VALU_DEP_2)
	v_cmpx_ne_u32_e32 0x80, v24
	s_cbranch_execz .LBB287_1361
; %bb.1356:                             ;   in Loop: Header=BB287_15 Depth=1
	v_and_b32_e32 v5, 0x7f, v24
	v_mov_b32_e32 v60, 0x7c010000
	s_mov_b32 s14, exec_lo
	s_delay_alu instid0(VALU_DEP_2)
	v_cmpx_ne_u32_e32 0x7f, v5
	s_cbranch_execz .LBB287_1360
; %bb.1357:                             ;   in Loop: Header=BB287_15 Depth=1
	v_dual_lshrrev_b32 v4, 3, v5 :: v_dual_bitop2_b32 v0, 7, v24 bitop3:0x40
	s_mov_b32 s15, exec_lo
	v_cmpx_gt_u32_e32 8, v5
; %bb.1358:                             ;   in Loop: Header=BB287_15 Depth=1
	s_delay_alu instid0(VALU_DEP_2) | instskip(NEXT) | instid1(VALU_DEP_1)
	v_clz_i32_u32_e32 v0, v0
	v_min_u32_e32 v0, 32, v0
	s_delay_alu instid0(VALU_DEP_1) | instskip(NEXT) | instid1(VALU_DEP_1)
	v_subrev_nc_u32_e32 v4, 28, v0
	v_lshlrev_b64_e32 v[6:7], v4, v[24:25]
	s_delay_alu instid0(VALU_DEP_1)
	v_dual_sub_nc_u32 v4, 29, v0 :: v_dual_bitop2_b32 v0, 7, v6 bitop3:0x40
; %bb.1359:                             ;   in Loop: Header=BB287_15 Depth=1
	s_or_b32 exec_lo, exec_lo, s15
	v_lshlrev_b32_e32 v5, 8, v24
	s_delay_alu instid0(VALU_DEP_2) | instskip(NEXT) | instid1(VALU_DEP_3)
	v_lshl_add_u32 v4, v4, 10, 0x2000
	v_lshlrev_b32_e32 v0, 23, v0
	s_delay_alu instid0(VALU_DEP_2) | instskip(NEXT) | instid1(VALU_DEP_1)
	v_and_or_b32 v4, 0x8000, v5, v4
	v_lshl_or_b32 v60, v4, 16, v0
.LBB287_1360:                           ;   in Loop: Header=BB287_15 Depth=1
	s_or_b32 exec_lo, exec_lo, s14
.LBB287_1361:                           ;   in Loop: Header=BB287_15 Depth=1
	s_delay_alu instid0(SALU_CYCLE_1)
	s_or_b32 exec_lo, exec_lo, s11
.LBB287_1362:                           ;   in Loop: Header=BB287_15 Depth=1
	s_delay_alu instid0(SALU_CYCLE_1)
	s_or_b32 exec_lo, exec_lo, s8
	flat_load_b64 v[4:5], v[2:3] offset:5128
	s_mov_b32 s8, exec_lo
	s_wait_loadcnt_dscnt 0x0
	v_and_b32_e32 v0, 0xff, v4
	s_wait_xcnt 0x0
	s_delay_alu instid0(VALU_DEP_1)
	v_cmpx_ne_u16_e32 0, v0
	s_cbranch_execz .LBB287_1370
; %bb.1363:                             ;   in Loop: Header=BB287_15 Depth=1
	v_cmp_ne_u16_e64 s1, 0x80, v0
	v_mov_b32_e32 v0, 0x8000
	scratch_store_b32 off, v0, s32 offset:728 ; 4-byte Folded Spill
	s_wait_xcnt 0x0
	s_and_saveexec_b32 s11, s1
	s_cbranch_execz .LBB287_1369
; %bb.1364:                             ;   in Loop: Header=BB287_15 Depth=1
	v_and_b32_e32 v7, 0x7f, v4
	v_mov_b32_e32 v0, 0x7c01
	s_mov_b32 s14, exec_lo
	scratch_store_b32 off, v0, s32 offset:728 ; 4-byte Folded Spill
	s_wait_xcnt 0x0
	v_cmpx_ne_u32_e32 0x7f, v7
	s_cbranch_execz .LBB287_1368
; %bb.1365:                             ;   in Loop: Header=BB287_15 Depth=1
	v_dual_lshrrev_b32 v6, 3, v7 :: v_dual_bitop2_b32 v0, 7, v4 bitop3:0x40
	s_mov_b32 s15, exec_lo
	v_cmpx_gt_u32_e32 8, v7
; %bb.1366:                             ;   in Loop: Header=BB287_15 Depth=1
	s_delay_alu instid0(VALU_DEP_2) | instskip(NEXT) | instid1(VALU_DEP_1)
	v_clz_i32_u32_e32 v0, v0
	v_min_u32_e32 v0, 32, v0
	s_delay_alu instid0(VALU_DEP_1) | instskip(NEXT) | instid1(VALU_DEP_1)
	v_subrev_nc_u32_e32 v6, 28, v0
	v_lshlrev_b64_e32 v[8:9], v6, v[4:5]
	v_sub_nc_u32_e32 v6, 29, v0
	s_delay_alu instid0(VALU_DEP_2)
	v_and_b32_e32 v0, 7, v8
; %bb.1367:                             ;   in Loop: Header=BB287_15 Depth=1
	s_or_b32 exec_lo, exec_lo, s15
	v_lshlrev_b32_e32 v7, 8, v4
	s_delay_alu instid0(VALU_DEP_3) | instskip(NEXT) | instid1(VALU_DEP_3)
	v_lshl_add_u32 v6, v6, 10, 0x2000
	v_lshlrev_b32_e32 v0, 7, v0
	s_delay_alu instid0(VALU_DEP_3) | instskip(NEXT) | instid1(VALU_DEP_3)
	v_and_b32_e32 v7, 0x8000, v7
	v_and_b32_e32 v6, 0xfc00, v6
	s_delay_alu instid0(VALU_DEP_1)
	v_or3_b32 v0, v7, v6, v0
	scratch_store_b32 off, v0, s32 offset:728 ; 4-byte Folded Spill
.LBB287_1368:                           ;   in Loop: Header=BB287_15 Depth=1
	s_wait_xcnt 0x0
	s_or_b32 exec_lo, exec_lo, s14
.LBB287_1369:                           ;   in Loop: Header=BB287_15 Depth=1
	s_delay_alu instid0(SALU_CYCLE_1)
	s_or_b32 exec_lo, exec_lo, s11
.LBB287_1370:                           ;   in Loop: Header=BB287_15 Depth=1
	s_delay_alu instid0(SALU_CYCLE_1)
	s_or_b32 exec_lo, exec_lo, s8
	v_lshrrev_b16 v24, 8, v4
	v_dual_mov_b32 v0, 0 :: v_dual_mov_b32 v47, 0
	s_mov_b32 s8, exec_lo
	scratch_store_b32 off, v0, s32 offset:736 ; 4-byte Folded Spill
	s_wait_xcnt 0x0
	v_cmpx_ne_u16_e32 0, v24
	s_cbranch_execz .LBB287_1378
; %bb.1371:                             ;   in Loop: Header=BB287_15 Depth=1
	v_bfrev_b32_e32 v47, 1
	s_mov_b32 s11, exec_lo
	v_cmpx_ne_u16_e32 0x80, v24
	s_cbranch_execz .LBB287_1377
; %bb.1372:                             ;   in Loop: Header=BB287_15 Depth=1
	v_and_b32_e32 v0, 0xffff, v24
	v_mov_b32_e32 v47, 0x7c010000
	s_mov_b32 s14, exec_lo
	s_delay_alu instid0(VALU_DEP_2) | instskip(NEXT) | instid1(VALU_DEP_1)
	v_and_b32_e32 v8, 0x7f, v0
	v_cmpx_ne_u32_e32 0x7f, v8
	s_cbranch_execz .LBB287_1376
; %bb.1373:                             ;   in Loop: Header=BB287_15 Depth=1
	v_and_b32_e32 v6, 7, v0
	v_lshrrev_b32_e32 v7, 3, v8
	s_mov_b32 s15, exec_lo
	v_cmpx_gt_u32_e32 8, v8
; %bb.1374:                             ;   in Loop: Header=BB287_15 Depth=1
	s_delay_alu instid0(VALU_DEP_3) | instskip(NEXT) | instid1(VALU_DEP_1)
	v_clz_i32_u32_e32 v6, v6
	v_min_u32_e32 v8, 32, v6
	s_delay_alu instid0(VALU_DEP_1) | instskip(NEXT) | instid1(VALU_DEP_1)
	v_subrev_nc_u32_e32 v6, 28, v8
	v_lshlrev_b64_e32 v[6:7], v6, v[24:25]
	s_delay_alu instid0(VALU_DEP_1)
	v_dual_sub_nc_u32 v7, 29, v8 :: v_dual_bitop2_b32 v6, 7, v6 bitop3:0x40
; %bb.1375:                             ;   in Loop: Header=BB287_15 Depth=1
	s_or_b32 exec_lo, exec_lo, s15
	s_delay_alu instid0(VALU_DEP_1) | instskip(NEXT) | instid1(VALU_DEP_2)
	v_dual_lshlrev_b32 v0, 8, v0 :: v_dual_lshlrev_b32 v6, 23, v6
	v_lshl_add_u32 v7, v7, 10, 0x2000
	s_delay_alu instid0(VALU_DEP_1) | instskip(NEXT) | instid1(VALU_DEP_1)
	v_and_or_b32 v0, 0x8000, v0, v7
	v_lshl_or_b32 v47, v0, 16, v6
.LBB287_1376:                           ;   in Loop: Header=BB287_15 Depth=1
	s_or_b32 exec_lo, exec_lo, s14
.LBB287_1377:                           ;   in Loop: Header=BB287_15 Depth=1
	s_delay_alu instid0(SALU_CYCLE_1)
	s_or_b32 exec_lo, exec_lo, s11
.LBB287_1378:                           ;   in Loop: Header=BB287_15 Depth=1
	s_delay_alu instid0(SALU_CYCLE_1) | instskip(SKIP_2) | instid1(VALU_DEP_1)
	s_or_b32 exec_lo, exec_lo, s8
	v_lshrrev_b32_e32 v0, 16, v4
	s_mov_b32 s8, exec_lo
	v_and_b32_e32 v6, 0xff, v0
	s_delay_alu instid0(VALU_DEP_1)
	v_cmpx_ne_u16_e32 0, v6
	s_cbranch_execz .LBB287_1386
; %bb.1379:                             ;   in Loop: Header=BB287_15 Depth=1
	v_cmp_ne_u16_e64 s1, 0x80, v6
	v_mov_b32_e32 v6, 0x8000
	scratch_store_b32 off, v6, s32 offset:736 ; 4-byte Folded Spill
	s_wait_xcnt 0x0
	s_and_saveexec_b32 s11, s1
	s_cbranch_execz .LBB287_1385
; %bb.1380:                             ;   in Loop: Header=BB287_15 Depth=1
	v_bfe_u32 v8, v4, 16, 7
	v_mov_b32_e32 v6, 0x7c01
	s_mov_b32 s14, exec_lo
	scratch_store_b32 off, v6, s32 offset:736 ; 4-byte Folded Spill
	s_wait_xcnt 0x0
	v_cmpx_ne_u32_e32 0x7f, v8
	s_cbranch_execz .LBB287_1384
; %bb.1381:                             ;   in Loop: Header=BB287_15 Depth=1
	v_and_b32_e32 v6, 7, v0
	v_lshrrev_b32_e32 v7, 3, v8
	s_mov_b32 s15, exec_lo
	v_cmpx_gt_u32_e32 8, v8
; %bb.1382:                             ;   in Loop: Header=BB287_15 Depth=1
	s_delay_alu instid0(VALU_DEP_3) | instskip(NEXT) | instid1(VALU_DEP_1)
	v_clz_i32_u32_e32 v6, v6
	v_min_u32_e32 v8, 32, v6
	s_delay_alu instid0(VALU_DEP_1) | instskip(NEXT) | instid1(VALU_DEP_1)
	v_subrev_nc_u32_e32 v6, 28, v8
	v_lshlrev_b64_e32 v[6:7], v6, v[0:1]
	s_delay_alu instid0(VALU_DEP_1)
	v_dual_sub_nc_u32 v7, 29, v8 :: v_dual_bitop2_b32 v6, 7, v6 bitop3:0x40
; %bb.1383:                             ;   in Loop: Header=BB287_15 Depth=1
	s_or_b32 exec_lo, exec_lo, s15
	s_delay_alu instid0(VALU_DEP_1) | instskip(NEXT) | instid1(VALU_DEP_2)
	v_dual_lshlrev_b32 v0, 8, v0 :: v_dual_lshlrev_b32 v6, 7, v6
	v_lshl_add_u32 v7, v7, 10, 0x2000
	s_delay_alu instid0(VALU_DEP_2) | instskip(NEXT) | instid1(VALU_DEP_2)
	v_and_b32_e32 v0, 0x8000, v0
	v_and_b32_e32 v7, 0xfc00, v7
	s_delay_alu instid0(VALU_DEP_1)
	v_or3_b32 v0, v0, v7, v6
	scratch_store_b32 off, v0, s32 offset:736 ; 4-byte Folded Spill
.LBB287_1384:                           ;   in Loop: Header=BB287_15 Depth=1
	s_wait_xcnt 0x0
	s_or_b32 exec_lo, exec_lo, s14
.LBB287_1385:                           ;   in Loop: Header=BB287_15 Depth=1
	s_delay_alu instid0(SALU_CYCLE_1)
	s_or_b32 exec_lo, exec_lo, s11
.LBB287_1386:                           ;   in Loop: Header=BB287_15 Depth=1
	s_delay_alu instid0(SALU_CYCLE_1)
	s_or_b32 exec_lo, exec_lo, s8
	v_dual_mov_b32 v0, 0 :: v_dual_mov_b32 v76, 0
	s_mov_b32 s8, exec_lo
	scratch_store_b32 off, v0, s32 offset:740 ; 4-byte Folded Spill
	s_wait_xcnt 0x0
	v_cmpx_lt_u32_e32 0xffffff, v4
	s_cbranch_execz .LBB287_1394
; %bb.1387:                             ;   in Loop: Header=BB287_15 Depth=1
	v_lshrrev_b32_e32 v24, 24, v4
	v_bfrev_b32_e32 v76, 1
	s_mov_b32 s11, exec_lo
	s_delay_alu instid0(VALU_DEP_2)
	v_cmpx_ne_u32_e32 0x80, v24
	s_cbranch_execz .LBB287_1393
; %bb.1388:                             ;   in Loop: Header=BB287_15 Depth=1
	v_and_b32_e32 v7, 0x7f, v24
	v_mov_b32_e32 v76, 0x7c010000
	s_mov_b32 s14, exec_lo
	s_delay_alu instid0(VALU_DEP_2)
	v_cmpx_ne_u32_e32 0x7f, v7
	s_cbranch_execz .LBB287_1392
; %bb.1389:                             ;   in Loop: Header=BB287_15 Depth=1
	v_dual_lshrrev_b32 v6, 3, v7 :: v_dual_bitop2_b32 v0, 7, v24 bitop3:0x40
	s_mov_b32 s15, exec_lo
	v_cmpx_gt_u32_e32 8, v7
; %bb.1390:                             ;   in Loop: Header=BB287_15 Depth=1
	s_delay_alu instid0(VALU_DEP_2) | instskip(NEXT) | instid1(VALU_DEP_1)
	v_clz_i32_u32_e32 v0, v0
	v_min_u32_e32 v0, 32, v0
	s_delay_alu instid0(VALU_DEP_1) | instskip(NEXT) | instid1(VALU_DEP_1)
	v_subrev_nc_u32_e32 v6, 28, v0
	v_lshlrev_b64_e32 v[8:9], v6, v[24:25]
	v_sub_nc_u32_e32 v6, 29, v0
	s_delay_alu instid0(VALU_DEP_2)
	v_and_b32_e32 v0, 7, v8
; %bb.1391:                             ;   in Loop: Header=BB287_15 Depth=1
	s_or_b32 exec_lo, exec_lo, s15
	v_lshlrev_b32_e32 v7, 8, v24
	s_delay_alu instid0(VALU_DEP_3) | instskip(NEXT) | instid1(VALU_DEP_3)
	v_lshl_add_u32 v6, v6, 10, 0x2000
	v_lshlrev_b32_e32 v0, 23, v0
	s_delay_alu instid0(VALU_DEP_2) | instskip(NEXT) | instid1(VALU_DEP_1)
	v_and_or_b32 v6, 0x8000, v7, v6
	v_lshl_or_b32 v76, v6, 16, v0
.LBB287_1392:                           ;   in Loop: Header=BB287_15 Depth=1
	s_or_b32 exec_lo, exec_lo, s14
.LBB287_1393:                           ;   in Loop: Header=BB287_15 Depth=1
	s_delay_alu instid0(SALU_CYCLE_1)
	s_or_b32 exec_lo, exec_lo, s11
.LBB287_1394:                           ;   in Loop: Header=BB287_15 Depth=1
	s_delay_alu instid0(SALU_CYCLE_1) | instskip(SKIP_3) | instid1(VALU_DEP_2)
	s_or_b32 exec_lo, exec_lo, s8
	v_and_b32_e32 v0, 0xff, v5
	v_mov_b32_e32 v24, v5
	s_mov_b32 s8, exec_lo
	v_cmpx_ne_u16_e32 0, v0
	s_cbranch_execz .LBB287_1402
; %bb.1395:                             ;   in Loop: Header=BB287_15 Depth=1
	v_cmp_ne_u16_e64 s1, 0x80, v0
	v_mov_b32_e32 v0, 0x8000
	scratch_store_b32 off, v0, s32 offset:740 ; 4-byte Folded Spill
	s_wait_xcnt 0x0
	s_and_saveexec_b32 s11, s1
	s_cbranch_execz .LBB287_1401
; %bb.1396:                             ;   in Loop: Header=BB287_15 Depth=1
	v_and_b32_e32 v7, 0x7f, v5
	v_mov_b32_e32 v0, 0x7c01
	s_mov_b32 s14, exec_lo
	scratch_store_b32 off, v0, s32 offset:740 ; 4-byte Folded Spill
	s_wait_xcnt 0x0
	v_cmpx_ne_u32_e32 0x7f, v7
	s_cbranch_execz .LBB287_1400
; %bb.1397:                             ;   in Loop: Header=BB287_15 Depth=1
	v_dual_lshrrev_b32 v6, 3, v7 :: v_dual_bitop2_b32 v0, 7, v5 bitop3:0x40
	s_mov_b32 s15, exec_lo
	v_cmpx_gt_u32_e32 8, v7
; %bb.1398:                             ;   in Loop: Header=BB287_15 Depth=1
	s_delay_alu instid0(VALU_DEP_2) | instskip(NEXT) | instid1(VALU_DEP_1)
	v_clz_i32_u32_e32 v0, v0
	v_min_u32_e32 v0, 32, v0
	s_delay_alu instid0(VALU_DEP_1) | instskip(NEXT) | instid1(VALU_DEP_1)
	v_subrev_nc_u32_e32 v6, 28, v0
	v_lshlrev_b64_e32 v[8:9], v6, v[24:25]
	v_sub_nc_u32_e32 v6, 29, v0
	s_delay_alu instid0(VALU_DEP_2)
	v_and_b32_e32 v0, 7, v8
; %bb.1399:                             ;   in Loop: Header=BB287_15 Depth=1
	s_or_b32 exec_lo, exec_lo, s15
	s_delay_alu instid0(VALU_DEP_1) | instskip(NEXT) | instid1(VALU_DEP_3)
	v_dual_lshlrev_b32 v7, 8, v5 :: v_dual_lshlrev_b32 v0, 7, v0
	v_lshl_add_u32 v6, v6, 10, 0x2000
	s_delay_alu instid0(VALU_DEP_2) | instskip(NEXT) | instid1(VALU_DEP_2)
	v_and_b32_e32 v7, 0x8000, v7
	v_and_b32_e32 v6, 0xfc00, v6
	s_delay_alu instid0(VALU_DEP_1)
	v_or3_b32 v0, v7, v6, v0
	scratch_store_b32 off, v0, s32 offset:740 ; 4-byte Folded Spill
.LBB287_1400:                           ;   in Loop: Header=BB287_15 Depth=1
	s_wait_xcnt 0x0
	s_or_b32 exec_lo, exec_lo, s14
.LBB287_1401:                           ;   in Loop: Header=BB287_15 Depth=1
	s_delay_alu instid0(SALU_CYCLE_1)
	s_or_b32 exec_lo, exec_lo, s11
.LBB287_1402:                           ;   in Loop: Header=BB287_15 Depth=1
	s_delay_alu instid0(SALU_CYCLE_1)
	s_or_b32 exec_lo, exec_lo, s8
	v_lshrrev_b16 v24, 8, v24
	v_dual_mov_b32 v0, 0 :: v_dual_mov_b32 v93, 0
	s_mov_b32 s8, exec_lo
	scratch_store_b32 off, v0, s32 offset:744 ; 4-byte Folded Spill
	s_wait_xcnt 0x0
	v_cmpx_ne_u16_e32 0, v24
	s_cbranch_execz .LBB287_1410
; %bb.1403:                             ;   in Loop: Header=BB287_15 Depth=1
	v_bfrev_b32_e32 v93, 1
	s_mov_b32 s11, exec_lo
	v_cmpx_ne_u16_e32 0x80, v24
	s_cbranch_execz .LBB287_1409
; %bb.1404:                             ;   in Loop: Header=BB287_15 Depth=1
	v_and_b32_e32 v0, 0xffff, v24
	v_mov_b32_e32 v93, 0x7c010000
	s_mov_b32 s14, exec_lo
	s_delay_alu instid0(VALU_DEP_2) | instskip(NEXT) | instid1(VALU_DEP_1)
	v_and_b32_e32 v8, 0x7f, v0
	v_cmpx_ne_u32_e32 0x7f, v8
	s_cbranch_execz .LBB287_1408
; %bb.1405:                             ;   in Loop: Header=BB287_15 Depth=1
	v_and_b32_e32 v6, 7, v0
	v_lshrrev_b32_e32 v7, 3, v8
	s_mov_b32 s15, exec_lo
	v_cmpx_gt_u32_e32 8, v8
; %bb.1406:                             ;   in Loop: Header=BB287_15 Depth=1
	s_delay_alu instid0(VALU_DEP_3) | instskip(NEXT) | instid1(VALU_DEP_1)
	v_clz_i32_u32_e32 v6, v6
	v_min_u32_e32 v8, 32, v6
	s_delay_alu instid0(VALU_DEP_1) | instskip(NEXT) | instid1(VALU_DEP_1)
	v_subrev_nc_u32_e32 v6, 28, v8
	v_lshlrev_b64_e32 v[6:7], v6, v[24:25]
	s_delay_alu instid0(VALU_DEP_1)
	v_dual_sub_nc_u32 v7, 29, v8 :: v_dual_bitop2_b32 v6, 7, v6 bitop3:0x40
; %bb.1407:                             ;   in Loop: Header=BB287_15 Depth=1
	s_or_b32 exec_lo, exec_lo, s15
	s_delay_alu instid0(VALU_DEP_1) | instskip(NEXT) | instid1(VALU_DEP_2)
	v_dual_lshlrev_b32 v0, 8, v0 :: v_dual_lshlrev_b32 v6, 23, v6
	v_lshl_add_u32 v7, v7, 10, 0x2000
	s_delay_alu instid0(VALU_DEP_1) | instskip(NEXT) | instid1(VALU_DEP_1)
	v_and_or_b32 v0, 0x8000, v0, v7
	v_lshl_or_b32 v93, v0, 16, v6
.LBB287_1408:                           ;   in Loop: Header=BB287_15 Depth=1
	s_or_b32 exec_lo, exec_lo, s14
.LBB287_1409:                           ;   in Loop: Header=BB287_15 Depth=1
	s_delay_alu instid0(SALU_CYCLE_1)
	s_or_b32 exec_lo, exec_lo, s11
.LBB287_1410:                           ;   in Loop: Header=BB287_15 Depth=1
	s_delay_alu instid0(SALU_CYCLE_1) | instskip(SKIP_2) | instid1(VALU_DEP_1)
	s_or_b32 exec_lo, exec_lo, s8
	v_lshrrev_b32_e32 v0, 16, v5
	s_mov_b32 s8, exec_lo
	v_and_b32_e32 v6, 0xff, v0
	s_delay_alu instid0(VALU_DEP_1)
	v_cmpx_ne_u16_e32 0, v6
	s_cbranch_execz .LBB287_1418
; %bb.1411:                             ;   in Loop: Header=BB287_15 Depth=1
	v_cmp_ne_u16_e64 s1, 0x80, v6
	v_mov_b32_e32 v6, 0x8000
	scratch_store_b32 off, v6, s32 offset:744 ; 4-byte Folded Spill
	s_wait_xcnt 0x0
	s_and_saveexec_b32 s11, s1
	s_cbranch_execz .LBB287_1417
; %bb.1412:                             ;   in Loop: Header=BB287_15 Depth=1
	v_bfe_u32 v8, v5, 16, 7
	v_mov_b32_e32 v6, 0x7c01
	s_mov_b32 s14, exec_lo
	scratch_store_b32 off, v6, s32 offset:744 ; 4-byte Folded Spill
	s_wait_xcnt 0x0
	v_cmpx_ne_u32_e32 0x7f, v8
	s_cbranch_execz .LBB287_1416
; %bb.1413:                             ;   in Loop: Header=BB287_15 Depth=1
	v_and_b32_e32 v6, 7, v0
	v_lshrrev_b32_e32 v7, 3, v8
	s_mov_b32 s15, exec_lo
	v_cmpx_gt_u32_e32 8, v8
; %bb.1414:                             ;   in Loop: Header=BB287_15 Depth=1
	s_delay_alu instid0(VALU_DEP_3) | instskip(NEXT) | instid1(VALU_DEP_1)
	v_clz_i32_u32_e32 v6, v6
	v_min_u32_e32 v8, 32, v6
	s_delay_alu instid0(VALU_DEP_1) | instskip(NEXT) | instid1(VALU_DEP_1)
	v_subrev_nc_u32_e32 v6, 28, v8
	v_lshlrev_b64_e32 v[6:7], v6, v[0:1]
	s_delay_alu instid0(VALU_DEP_1)
	v_dual_sub_nc_u32 v7, 29, v8 :: v_dual_bitop2_b32 v6, 7, v6 bitop3:0x40
; %bb.1415:                             ;   in Loop: Header=BB287_15 Depth=1
	s_or_b32 exec_lo, exec_lo, s15
	s_delay_alu instid0(VALU_DEP_1) | instskip(NEXT) | instid1(VALU_DEP_2)
	v_dual_lshlrev_b32 v0, 8, v0 :: v_dual_lshlrev_b32 v6, 7, v6
	v_lshl_add_u32 v7, v7, 10, 0x2000
	s_delay_alu instid0(VALU_DEP_2) | instskip(NEXT) | instid1(VALU_DEP_2)
	v_and_b32_e32 v0, 0x8000, v0
	v_and_b32_e32 v7, 0xfc00, v7
	s_delay_alu instid0(VALU_DEP_1)
	v_or3_b32 v0, v0, v7, v6
	scratch_store_b32 off, v0, s32 offset:744 ; 4-byte Folded Spill
.LBB287_1416:                           ;   in Loop: Header=BB287_15 Depth=1
	s_wait_xcnt 0x0
	s_or_b32 exec_lo, exec_lo, s14
.LBB287_1417:                           ;   in Loop: Header=BB287_15 Depth=1
	s_delay_alu instid0(SALU_CYCLE_1)
	s_or_b32 exec_lo, exec_lo, s11
.LBB287_1418:                           ;   in Loop: Header=BB287_15 Depth=1
	s_delay_alu instid0(SALU_CYCLE_1)
	s_or_b32 exec_lo, exec_lo, s8
	v_dual_mov_b32 v0, 0 :: v_dual_mov_b32 v91, 0
	s_mov_b32 s8, exec_lo
	scratch_store_b32 off, v0, s32 offset:748 ; 4-byte Folded Spill
	s_wait_xcnt 0x0
	v_cmpx_lt_u64_e64 s[4:5], v[4:5]
	s_cbranch_execz .LBB287_1426
; %bb.1419:                             ;   in Loop: Header=BB287_15 Depth=1
	v_lshrrev_b32_e32 v24, 24, v5
	v_bfrev_b32_e32 v91, 1
	s_mov_b32 s11, exec_lo
	s_delay_alu instid0(VALU_DEP_2)
	v_cmpx_ne_u32_e32 0x80, v24
	s_cbranch_execz .LBB287_1425
; %bb.1420:                             ;   in Loop: Header=BB287_15 Depth=1
	v_and_b32_e32 v5, 0x7f, v24
	v_mov_b32_e32 v91, 0x7c010000
	s_mov_b32 s14, exec_lo
	s_delay_alu instid0(VALU_DEP_2)
	v_cmpx_ne_u32_e32 0x7f, v5
	s_cbranch_execz .LBB287_1424
; %bb.1421:                             ;   in Loop: Header=BB287_15 Depth=1
	v_dual_lshrrev_b32 v4, 3, v5 :: v_dual_bitop2_b32 v0, 7, v24 bitop3:0x40
	s_mov_b32 s15, exec_lo
	v_cmpx_gt_u32_e32 8, v5
; %bb.1422:                             ;   in Loop: Header=BB287_15 Depth=1
	s_delay_alu instid0(VALU_DEP_2) | instskip(NEXT) | instid1(VALU_DEP_1)
	v_clz_i32_u32_e32 v0, v0
	v_min_u32_e32 v0, 32, v0
	s_delay_alu instid0(VALU_DEP_1) | instskip(NEXT) | instid1(VALU_DEP_1)
	v_subrev_nc_u32_e32 v4, 28, v0
	v_lshlrev_b64_e32 v[6:7], v4, v[24:25]
	s_delay_alu instid0(VALU_DEP_1)
	v_dual_sub_nc_u32 v4, 29, v0 :: v_dual_bitop2_b32 v0, 7, v6 bitop3:0x40
; %bb.1423:                             ;   in Loop: Header=BB287_15 Depth=1
	s_or_b32 exec_lo, exec_lo, s15
	v_lshlrev_b32_e32 v5, 8, v24
	s_delay_alu instid0(VALU_DEP_2) | instskip(NEXT) | instid1(VALU_DEP_3)
	v_lshl_add_u32 v4, v4, 10, 0x2000
	v_lshlrev_b32_e32 v0, 23, v0
	s_delay_alu instid0(VALU_DEP_2) | instskip(NEXT) | instid1(VALU_DEP_1)
	v_and_or_b32 v4, 0x8000, v5, v4
	v_lshl_or_b32 v91, v4, 16, v0
.LBB287_1424:                           ;   in Loop: Header=BB287_15 Depth=1
	s_or_b32 exec_lo, exec_lo, s14
.LBB287_1425:                           ;   in Loop: Header=BB287_15 Depth=1
	s_delay_alu instid0(SALU_CYCLE_1)
	s_or_b32 exec_lo, exec_lo, s11
.LBB287_1426:                           ;   in Loop: Header=BB287_15 Depth=1
	s_delay_alu instid0(SALU_CYCLE_1)
	s_or_b32 exec_lo, exec_lo, s8
	flat_load_b64 v[4:5], v[2:3] offset:5632
	s_mov_b32 s8, exec_lo
	s_wait_loadcnt_dscnt 0x0
	v_and_b32_e32 v0, 0xff, v4
	s_wait_xcnt 0x0
	s_delay_alu instid0(VALU_DEP_1)
	v_cmpx_ne_u16_e32 0, v0
	s_cbranch_execz .LBB287_1434
; %bb.1427:                             ;   in Loop: Header=BB287_15 Depth=1
	v_cmp_ne_u16_e64 s1, 0x80, v0
	v_mov_b32_e32 v0, 0x8000
	scratch_store_b32 off, v0, s32 offset:748 ; 4-byte Folded Spill
	s_wait_xcnt 0x0
	s_and_saveexec_b32 s11, s1
	s_cbranch_execz .LBB287_1433
; %bb.1428:                             ;   in Loop: Header=BB287_15 Depth=1
	v_and_b32_e32 v7, 0x7f, v4
	v_mov_b32_e32 v0, 0x7c01
	s_mov_b32 s14, exec_lo
	scratch_store_b32 off, v0, s32 offset:748 ; 4-byte Folded Spill
	s_wait_xcnt 0x0
	v_cmpx_ne_u32_e32 0x7f, v7
	s_cbranch_execz .LBB287_1432
; %bb.1429:                             ;   in Loop: Header=BB287_15 Depth=1
	v_dual_lshrrev_b32 v6, 3, v7 :: v_dual_bitop2_b32 v0, 7, v4 bitop3:0x40
	s_mov_b32 s15, exec_lo
	v_cmpx_gt_u32_e32 8, v7
; %bb.1430:                             ;   in Loop: Header=BB287_15 Depth=1
	s_delay_alu instid0(VALU_DEP_2) | instskip(NEXT) | instid1(VALU_DEP_1)
	v_clz_i32_u32_e32 v0, v0
	v_min_u32_e32 v0, 32, v0
	s_delay_alu instid0(VALU_DEP_1) | instskip(NEXT) | instid1(VALU_DEP_1)
	v_subrev_nc_u32_e32 v6, 28, v0
	v_lshlrev_b64_e32 v[8:9], v6, v[4:5]
	v_sub_nc_u32_e32 v6, 29, v0
	s_delay_alu instid0(VALU_DEP_2)
	v_and_b32_e32 v0, 7, v8
; %bb.1431:                             ;   in Loop: Header=BB287_15 Depth=1
	s_or_b32 exec_lo, exec_lo, s15
	v_lshlrev_b32_e32 v7, 8, v4
	s_delay_alu instid0(VALU_DEP_3) | instskip(NEXT) | instid1(VALU_DEP_3)
	v_lshl_add_u32 v6, v6, 10, 0x2000
	v_lshlrev_b32_e32 v0, 7, v0
	s_delay_alu instid0(VALU_DEP_3) | instskip(NEXT) | instid1(VALU_DEP_3)
	v_and_b32_e32 v7, 0x8000, v7
	v_and_b32_e32 v6, 0xfc00, v6
	s_delay_alu instid0(VALU_DEP_1)
	v_or3_b32 v0, v7, v6, v0
	scratch_store_b32 off, v0, s32 offset:748 ; 4-byte Folded Spill
.LBB287_1432:                           ;   in Loop: Header=BB287_15 Depth=1
	s_wait_xcnt 0x0
	s_or_b32 exec_lo, exec_lo, s14
.LBB287_1433:                           ;   in Loop: Header=BB287_15 Depth=1
	s_delay_alu instid0(SALU_CYCLE_1)
	s_or_b32 exec_lo, exec_lo, s11
.LBB287_1434:                           ;   in Loop: Header=BB287_15 Depth=1
	s_delay_alu instid0(SALU_CYCLE_1)
	s_or_b32 exec_lo, exec_lo, s8
	v_lshrrev_b16 v24, 8, v4
	v_dual_mov_b32 v0, 0 :: v_dual_mov_b32 v90, 0
	s_mov_b32 s8, exec_lo
	scratch_store_b32 off, v0, s32 offset:752 ; 4-byte Folded Spill
	s_wait_xcnt 0x0
	v_cmpx_ne_u16_e32 0, v24
	s_cbranch_execz .LBB287_1442
; %bb.1435:                             ;   in Loop: Header=BB287_15 Depth=1
	v_bfrev_b32_e32 v90, 1
	s_mov_b32 s11, exec_lo
	v_cmpx_ne_u16_e32 0x80, v24
	s_cbranch_execz .LBB287_1441
; %bb.1436:                             ;   in Loop: Header=BB287_15 Depth=1
	v_and_b32_e32 v0, 0xffff, v24
	v_mov_b32_e32 v90, 0x7c010000
	s_mov_b32 s14, exec_lo
	s_delay_alu instid0(VALU_DEP_2) | instskip(NEXT) | instid1(VALU_DEP_1)
	v_and_b32_e32 v8, 0x7f, v0
	v_cmpx_ne_u32_e32 0x7f, v8
	s_cbranch_execz .LBB287_1440
; %bb.1437:                             ;   in Loop: Header=BB287_15 Depth=1
	v_and_b32_e32 v6, 7, v0
	v_lshrrev_b32_e32 v7, 3, v8
	s_mov_b32 s15, exec_lo
	v_cmpx_gt_u32_e32 8, v8
; %bb.1438:                             ;   in Loop: Header=BB287_15 Depth=1
	s_delay_alu instid0(VALU_DEP_3) | instskip(NEXT) | instid1(VALU_DEP_1)
	v_clz_i32_u32_e32 v6, v6
	v_min_u32_e32 v8, 32, v6
	s_delay_alu instid0(VALU_DEP_1) | instskip(NEXT) | instid1(VALU_DEP_1)
	v_subrev_nc_u32_e32 v6, 28, v8
	v_lshlrev_b64_e32 v[6:7], v6, v[24:25]
	s_delay_alu instid0(VALU_DEP_1)
	v_dual_sub_nc_u32 v7, 29, v8 :: v_dual_bitop2_b32 v6, 7, v6 bitop3:0x40
; %bb.1439:                             ;   in Loop: Header=BB287_15 Depth=1
	s_or_b32 exec_lo, exec_lo, s15
	s_delay_alu instid0(VALU_DEP_1) | instskip(NEXT) | instid1(VALU_DEP_2)
	v_dual_lshlrev_b32 v0, 8, v0 :: v_dual_lshlrev_b32 v6, 23, v6
	v_lshl_add_u32 v7, v7, 10, 0x2000
	s_delay_alu instid0(VALU_DEP_1) | instskip(NEXT) | instid1(VALU_DEP_1)
	v_and_or_b32 v0, 0x8000, v0, v7
	v_lshl_or_b32 v90, v0, 16, v6
.LBB287_1440:                           ;   in Loop: Header=BB287_15 Depth=1
	s_or_b32 exec_lo, exec_lo, s14
.LBB287_1441:                           ;   in Loop: Header=BB287_15 Depth=1
	s_delay_alu instid0(SALU_CYCLE_1)
	s_or_b32 exec_lo, exec_lo, s11
.LBB287_1442:                           ;   in Loop: Header=BB287_15 Depth=1
	s_delay_alu instid0(SALU_CYCLE_1) | instskip(SKIP_2) | instid1(VALU_DEP_1)
	s_or_b32 exec_lo, exec_lo, s8
	v_lshrrev_b32_e32 v0, 16, v4
	s_mov_b32 s8, exec_lo
	v_and_b32_e32 v6, 0xff, v0
	s_delay_alu instid0(VALU_DEP_1)
	v_cmpx_ne_u16_e32 0, v6
	s_cbranch_execz .LBB287_1450
; %bb.1443:                             ;   in Loop: Header=BB287_15 Depth=1
	v_cmp_ne_u16_e64 s1, 0x80, v6
	v_mov_b32_e32 v6, 0x8000
	scratch_store_b32 off, v6, s32 offset:752 ; 4-byte Folded Spill
	s_wait_xcnt 0x0
	s_and_saveexec_b32 s11, s1
	s_cbranch_execz .LBB287_1449
; %bb.1444:                             ;   in Loop: Header=BB287_15 Depth=1
	v_bfe_u32 v8, v4, 16, 7
	v_mov_b32_e32 v6, 0x7c01
	s_mov_b32 s14, exec_lo
	scratch_store_b32 off, v6, s32 offset:752 ; 4-byte Folded Spill
	s_wait_xcnt 0x0
	v_cmpx_ne_u32_e32 0x7f, v8
	s_cbranch_execz .LBB287_1448
; %bb.1445:                             ;   in Loop: Header=BB287_15 Depth=1
	v_and_b32_e32 v6, 7, v0
	v_lshrrev_b32_e32 v7, 3, v8
	s_mov_b32 s15, exec_lo
	v_cmpx_gt_u32_e32 8, v8
; %bb.1446:                             ;   in Loop: Header=BB287_15 Depth=1
	s_delay_alu instid0(VALU_DEP_3) | instskip(NEXT) | instid1(VALU_DEP_1)
	v_clz_i32_u32_e32 v6, v6
	v_min_u32_e32 v8, 32, v6
	s_delay_alu instid0(VALU_DEP_1) | instskip(NEXT) | instid1(VALU_DEP_1)
	v_subrev_nc_u32_e32 v6, 28, v8
	v_lshlrev_b64_e32 v[6:7], v6, v[0:1]
	s_delay_alu instid0(VALU_DEP_1)
	v_dual_sub_nc_u32 v7, 29, v8 :: v_dual_bitop2_b32 v6, 7, v6 bitop3:0x40
; %bb.1447:                             ;   in Loop: Header=BB287_15 Depth=1
	s_or_b32 exec_lo, exec_lo, s15
	s_delay_alu instid0(VALU_DEP_1) | instskip(NEXT) | instid1(VALU_DEP_2)
	v_dual_lshlrev_b32 v0, 8, v0 :: v_dual_lshlrev_b32 v6, 7, v6
	v_lshl_add_u32 v7, v7, 10, 0x2000
	s_delay_alu instid0(VALU_DEP_2) | instskip(NEXT) | instid1(VALU_DEP_2)
	v_and_b32_e32 v0, 0x8000, v0
	v_and_b32_e32 v7, 0xfc00, v7
	s_delay_alu instid0(VALU_DEP_1)
	v_or3_b32 v0, v0, v7, v6
	scratch_store_b32 off, v0, s32 offset:752 ; 4-byte Folded Spill
.LBB287_1448:                           ;   in Loop: Header=BB287_15 Depth=1
	s_wait_xcnt 0x0
	s_or_b32 exec_lo, exec_lo, s14
.LBB287_1449:                           ;   in Loop: Header=BB287_15 Depth=1
	s_delay_alu instid0(SALU_CYCLE_1)
	s_or_b32 exec_lo, exec_lo, s11
.LBB287_1450:                           ;   in Loop: Header=BB287_15 Depth=1
	s_delay_alu instid0(SALU_CYCLE_1)
	s_or_b32 exec_lo, exec_lo, s8
	v_dual_mov_b32 v0, 0 :: v_dual_mov_b32 v92, 0
	s_mov_b32 s8, exec_lo
	scratch_store_b32 off, v0, s32 offset:756 ; 4-byte Folded Spill
	s_wait_xcnt 0x0
	v_cmpx_lt_u32_e32 0xffffff, v4
	s_cbranch_execz .LBB287_1458
; %bb.1451:                             ;   in Loop: Header=BB287_15 Depth=1
	v_lshrrev_b32_e32 v24, 24, v4
	v_bfrev_b32_e32 v92, 1
	s_mov_b32 s11, exec_lo
	s_delay_alu instid0(VALU_DEP_2)
	v_cmpx_ne_u32_e32 0x80, v24
	s_cbranch_execz .LBB287_1457
; %bb.1452:                             ;   in Loop: Header=BB287_15 Depth=1
	v_and_b32_e32 v7, 0x7f, v24
	v_mov_b32_e32 v92, 0x7c010000
	s_mov_b32 s14, exec_lo
	s_delay_alu instid0(VALU_DEP_2)
	v_cmpx_ne_u32_e32 0x7f, v7
	s_cbranch_execz .LBB287_1456
; %bb.1453:                             ;   in Loop: Header=BB287_15 Depth=1
	v_dual_lshrrev_b32 v6, 3, v7 :: v_dual_bitop2_b32 v0, 7, v24 bitop3:0x40
	s_mov_b32 s15, exec_lo
	v_cmpx_gt_u32_e32 8, v7
; %bb.1454:                             ;   in Loop: Header=BB287_15 Depth=1
	s_delay_alu instid0(VALU_DEP_2) | instskip(NEXT) | instid1(VALU_DEP_1)
	v_clz_i32_u32_e32 v0, v0
	v_min_u32_e32 v0, 32, v0
	s_delay_alu instid0(VALU_DEP_1) | instskip(NEXT) | instid1(VALU_DEP_1)
	v_subrev_nc_u32_e32 v6, 28, v0
	v_lshlrev_b64_e32 v[8:9], v6, v[24:25]
	v_sub_nc_u32_e32 v6, 29, v0
	s_delay_alu instid0(VALU_DEP_2)
	v_and_b32_e32 v0, 7, v8
; %bb.1455:                             ;   in Loop: Header=BB287_15 Depth=1
	s_or_b32 exec_lo, exec_lo, s15
	v_lshlrev_b32_e32 v7, 8, v24
	s_delay_alu instid0(VALU_DEP_3) | instskip(NEXT) | instid1(VALU_DEP_3)
	v_lshl_add_u32 v6, v6, 10, 0x2000
	v_lshlrev_b32_e32 v0, 23, v0
	s_delay_alu instid0(VALU_DEP_2) | instskip(NEXT) | instid1(VALU_DEP_1)
	v_and_or_b32 v6, 0x8000, v7, v6
	v_lshl_or_b32 v92, v6, 16, v0
.LBB287_1456:                           ;   in Loop: Header=BB287_15 Depth=1
	s_or_b32 exec_lo, exec_lo, s14
.LBB287_1457:                           ;   in Loop: Header=BB287_15 Depth=1
	s_delay_alu instid0(SALU_CYCLE_1)
	s_or_b32 exec_lo, exec_lo, s11
.LBB287_1458:                           ;   in Loop: Header=BB287_15 Depth=1
	s_delay_alu instid0(SALU_CYCLE_1) | instskip(SKIP_3) | instid1(VALU_DEP_2)
	s_or_b32 exec_lo, exec_lo, s8
	v_and_b32_e32 v0, 0xff, v5
	v_mov_b32_e32 v24, v5
	s_mov_b32 s8, exec_lo
	v_cmpx_ne_u16_e32 0, v0
	s_cbranch_execz .LBB287_1466
; %bb.1459:                             ;   in Loop: Header=BB287_15 Depth=1
	v_cmp_ne_u16_e64 s1, 0x80, v0
	v_mov_b32_e32 v0, 0x8000
	scratch_store_b32 off, v0, s32 offset:756 ; 4-byte Folded Spill
	s_wait_xcnt 0x0
	s_and_saveexec_b32 s11, s1
	s_cbranch_execz .LBB287_1465
; %bb.1460:                             ;   in Loop: Header=BB287_15 Depth=1
	v_and_b32_e32 v7, 0x7f, v5
	v_mov_b32_e32 v0, 0x7c01
	s_mov_b32 s14, exec_lo
	scratch_store_b32 off, v0, s32 offset:756 ; 4-byte Folded Spill
	s_wait_xcnt 0x0
	v_cmpx_ne_u32_e32 0x7f, v7
	s_cbranch_execz .LBB287_1464
; %bb.1461:                             ;   in Loop: Header=BB287_15 Depth=1
	v_dual_lshrrev_b32 v6, 3, v7 :: v_dual_bitop2_b32 v0, 7, v5 bitop3:0x40
	s_mov_b32 s15, exec_lo
	v_cmpx_gt_u32_e32 8, v7
; %bb.1462:                             ;   in Loop: Header=BB287_15 Depth=1
	s_delay_alu instid0(VALU_DEP_2) | instskip(NEXT) | instid1(VALU_DEP_1)
	v_clz_i32_u32_e32 v0, v0
	v_min_u32_e32 v0, 32, v0
	s_delay_alu instid0(VALU_DEP_1) | instskip(NEXT) | instid1(VALU_DEP_1)
	v_subrev_nc_u32_e32 v6, 28, v0
	v_lshlrev_b64_e32 v[8:9], v6, v[24:25]
	v_sub_nc_u32_e32 v6, 29, v0
	s_delay_alu instid0(VALU_DEP_2)
	v_and_b32_e32 v0, 7, v8
; %bb.1463:                             ;   in Loop: Header=BB287_15 Depth=1
	s_or_b32 exec_lo, exec_lo, s15
	s_delay_alu instid0(VALU_DEP_1) | instskip(NEXT) | instid1(VALU_DEP_3)
	v_dual_lshlrev_b32 v7, 8, v5 :: v_dual_lshlrev_b32 v0, 7, v0
	v_lshl_add_u32 v6, v6, 10, 0x2000
	s_delay_alu instid0(VALU_DEP_2) | instskip(NEXT) | instid1(VALU_DEP_2)
	v_and_b32_e32 v7, 0x8000, v7
	v_and_b32_e32 v6, 0xfc00, v6
	s_delay_alu instid0(VALU_DEP_1)
	v_or3_b32 v0, v7, v6, v0
	scratch_store_b32 off, v0, s32 offset:756 ; 4-byte Folded Spill
.LBB287_1464:                           ;   in Loop: Header=BB287_15 Depth=1
	s_wait_xcnt 0x0
	s_or_b32 exec_lo, exec_lo, s14
.LBB287_1465:                           ;   in Loop: Header=BB287_15 Depth=1
	s_delay_alu instid0(SALU_CYCLE_1)
	s_or_b32 exec_lo, exec_lo, s11
.LBB287_1466:                           ;   in Loop: Header=BB287_15 Depth=1
	s_delay_alu instid0(SALU_CYCLE_1)
	s_or_b32 exec_lo, exec_lo, s8
	v_lshrrev_b16 v24, 8, v24
	v_dual_mov_b32 v0, 0 :: v_dual_mov_b32 v63, 0
	s_mov_b32 s8, exec_lo
	scratch_store_b32 off, v0, s32 offset:760 ; 4-byte Folded Spill
	s_wait_xcnt 0x0
	v_cmpx_ne_u16_e32 0, v24
	s_cbranch_execz .LBB287_1474
; %bb.1467:                             ;   in Loop: Header=BB287_15 Depth=1
	v_bfrev_b32_e32 v63, 1
	s_mov_b32 s11, exec_lo
	v_cmpx_ne_u16_e32 0x80, v24
	s_cbranch_execz .LBB287_1473
; %bb.1468:                             ;   in Loop: Header=BB287_15 Depth=1
	v_and_b32_e32 v0, 0xffff, v24
	v_mov_b32_e32 v63, 0x7c010000
	s_mov_b32 s14, exec_lo
	s_delay_alu instid0(VALU_DEP_2) | instskip(NEXT) | instid1(VALU_DEP_1)
	v_and_b32_e32 v8, 0x7f, v0
	v_cmpx_ne_u32_e32 0x7f, v8
	s_cbranch_execz .LBB287_1472
; %bb.1469:                             ;   in Loop: Header=BB287_15 Depth=1
	v_and_b32_e32 v6, 7, v0
	v_lshrrev_b32_e32 v7, 3, v8
	s_mov_b32 s15, exec_lo
	v_cmpx_gt_u32_e32 8, v8
; %bb.1470:                             ;   in Loop: Header=BB287_15 Depth=1
	s_delay_alu instid0(VALU_DEP_3) | instskip(NEXT) | instid1(VALU_DEP_1)
	v_clz_i32_u32_e32 v6, v6
	v_min_u32_e32 v8, 32, v6
	s_delay_alu instid0(VALU_DEP_1) | instskip(NEXT) | instid1(VALU_DEP_1)
	v_subrev_nc_u32_e32 v6, 28, v8
	v_lshlrev_b64_e32 v[6:7], v6, v[24:25]
	s_delay_alu instid0(VALU_DEP_1)
	v_dual_sub_nc_u32 v7, 29, v8 :: v_dual_bitop2_b32 v6, 7, v6 bitop3:0x40
; %bb.1471:                             ;   in Loop: Header=BB287_15 Depth=1
	s_or_b32 exec_lo, exec_lo, s15
	s_delay_alu instid0(VALU_DEP_1) | instskip(NEXT) | instid1(VALU_DEP_2)
	v_dual_lshlrev_b32 v0, 8, v0 :: v_dual_lshlrev_b32 v6, 23, v6
	v_lshl_add_u32 v7, v7, 10, 0x2000
	s_delay_alu instid0(VALU_DEP_1) | instskip(NEXT) | instid1(VALU_DEP_1)
	v_and_or_b32 v0, 0x8000, v0, v7
	v_lshl_or_b32 v63, v0, 16, v6
.LBB287_1472:                           ;   in Loop: Header=BB287_15 Depth=1
	s_or_b32 exec_lo, exec_lo, s14
.LBB287_1473:                           ;   in Loop: Header=BB287_15 Depth=1
	s_delay_alu instid0(SALU_CYCLE_1)
	s_or_b32 exec_lo, exec_lo, s11
.LBB287_1474:                           ;   in Loop: Header=BB287_15 Depth=1
	s_delay_alu instid0(SALU_CYCLE_1) | instskip(SKIP_2) | instid1(VALU_DEP_1)
	s_or_b32 exec_lo, exec_lo, s8
	v_lshrrev_b32_e32 v0, 16, v5
	s_mov_b32 s8, exec_lo
	v_and_b32_e32 v6, 0xff, v0
	s_delay_alu instid0(VALU_DEP_1)
	v_cmpx_ne_u16_e32 0, v6
	s_cbranch_execz .LBB287_1482
; %bb.1475:                             ;   in Loop: Header=BB287_15 Depth=1
	v_cmp_ne_u16_e64 s1, 0x80, v6
	v_mov_b32_e32 v6, 0x8000
	scratch_store_b32 off, v6, s32 offset:760 ; 4-byte Folded Spill
	s_wait_xcnt 0x0
	s_and_saveexec_b32 s11, s1
	s_cbranch_execz .LBB287_1481
; %bb.1476:                             ;   in Loop: Header=BB287_15 Depth=1
	v_bfe_u32 v8, v5, 16, 7
	v_mov_b32_e32 v6, 0x7c01
	s_mov_b32 s14, exec_lo
	scratch_store_b32 off, v6, s32 offset:760 ; 4-byte Folded Spill
	s_wait_xcnt 0x0
	v_cmpx_ne_u32_e32 0x7f, v8
	s_cbranch_execz .LBB287_1480
; %bb.1477:                             ;   in Loop: Header=BB287_15 Depth=1
	v_and_b32_e32 v6, 7, v0
	v_lshrrev_b32_e32 v7, 3, v8
	s_mov_b32 s15, exec_lo
	v_cmpx_gt_u32_e32 8, v8
; %bb.1478:                             ;   in Loop: Header=BB287_15 Depth=1
	s_delay_alu instid0(VALU_DEP_3) | instskip(NEXT) | instid1(VALU_DEP_1)
	v_clz_i32_u32_e32 v6, v6
	v_min_u32_e32 v8, 32, v6
	s_delay_alu instid0(VALU_DEP_1) | instskip(NEXT) | instid1(VALU_DEP_1)
	v_subrev_nc_u32_e32 v6, 28, v8
	v_lshlrev_b64_e32 v[6:7], v6, v[0:1]
	s_delay_alu instid0(VALU_DEP_1)
	v_dual_sub_nc_u32 v7, 29, v8 :: v_dual_bitop2_b32 v6, 7, v6 bitop3:0x40
; %bb.1479:                             ;   in Loop: Header=BB287_15 Depth=1
	s_or_b32 exec_lo, exec_lo, s15
	s_delay_alu instid0(VALU_DEP_1) | instskip(NEXT) | instid1(VALU_DEP_2)
	v_dual_lshlrev_b32 v0, 8, v0 :: v_dual_lshlrev_b32 v6, 7, v6
	v_lshl_add_u32 v7, v7, 10, 0x2000
	s_delay_alu instid0(VALU_DEP_2) | instskip(NEXT) | instid1(VALU_DEP_2)
	v_and_b32_e32 v0, 0x8000, v0
	v_and_b32_e32 v7, 0xfc00, v7
	s_delay_alu instid0(VALU_DEP_1)
	v_or3_b32 v0, v0, v7, v6
	scratch_store_b32 off, v0, s32 offset:760 ; 4-byte Folded Spill
.LBB287_1480:                           ;   in Loop: Header=BB287_15 Depth=1
	s_wait_xcnt 0x0
	s_or_b32 exec_lo, exec_lo, s14
.LBB287_1481:                           ;   in Loop: Header=BB287_15 Depth=1
	s_delay_alu instid0(SALU_CYCLE_1)
	s_or_b32 exec_lo, exec_lo, s11
.LBB287_1482:                           ;   in Loop: Header=BB287_15 Depth=1
	s_delay_alu instid0(SALU_CYCLE_1)
	s_or_b32 exec_lo, exec_lo, s8
	v_dual_mov_b32 v0, 0 :: v_dual_mov_b32 v107, 0
	s_mov_b32 s8, exec_lo
	scratch_store_b32 off, v0, s32 offset:764 ; 4-byte Folded Spill
	s_wait_xcnt 0x0
	v_cmpx_lt_u64_e64 s[4:5], v[4:5]
	s_cbranch_execz .LBB287_1490
; %bb.1483:                             ;   in Loop: Header=BB287_15 Depth=1
	v_lshrrev_b32_e32 v24, 24, v5
	v_bfrev_b32_e32 v107, 1
	s_mov_b32 s11, exec_lo
	s_delay_alu instid0(VALU_DEP_2)
	v_cmpx_ne_u32_e32 0x80, v24
	s_cbranch_execz .LBB287_1489
; %bb.1484:                             ;   in Loop: Header=BB287_15 Depth=1
	v_and_b32_e32 v5, 0x7f, v24
	v_mov_b32_e32 v107, 0x7c010000
	s_mov_b32 s14, exec_lo
	s_delay_alu instid0(VALU_DEP_2)
	v_cmpx_ne_u32_e32 0x7f, v5
	s_cbranch_execz .LBB287_1488
; %bb.1485:                             ;   in Loop: Header=BB287_15 Depth=1
	v_dual_lshrrev_b32 v4, 3, v5 :: v_dual_bitop2_b32 v0, 7, v24 bitop3:0x40
	s_mov_b32 s15, exec_lo
	v_cmpx_gt_u32_e32 8, v5
; %bb.1486:                             ;   in Loop: Header=BB287_15 Depth=1
	s_delay_alu instid0(VALU_DEP_2) | instskip(NEXT) | instid1(VALU_DEP_1)
	v_clz_i32_u32_e32 v0, v0
	v_min_u32_e32 v0, 32, v0
	s_delay_alu instid0(VALU_DEP_1) | instskip(NEXT) | instid1(VALU_DEP_1)
	v_subrev_nc_u32_e32 v4, 28, v0
	v_lshlrev_b64_e32 v[6:7], v4, v[24:25]
	s_delay_alu instid0(VALU_DEP_1)
	v_dual_sub_nc_u32 v4, 29, v0 :: v_dual_bitop2_b32 v0, 7, v6 bitop3:0x40
; %bb.1487:                             ;   in Loop: Header=BB287_15 Depth=1
	s_or_b32 exec_lo, exec_lo, s15
	v_lshlrev_b32_e32 v5, 8, v24
	s_delay_alu instid0(VALU_DEP_2) | instskip(NEXT) | instid1(VALU_DEP_3)
	v_lshl_add_u32 v4, v4, 10, 0x2000
	v_lshlrev_b32_e32 v0, 23, v0
	s_delay_alu instid0(VALU_DEP_2) | instskip(NEXT) | instid1(VALU_DEP_1)
	v_and_or_b32 v4, 0x8000, v5, v4
	v_lshl_or_b32 v107, v4, 16, v0
.LBB287_1488:                           ;   in Loop: Header=BB287_15 Depth=1
	s_or_b32 exec_lo, exec_lo, s14
.LBB287_1489:                           ;   in Loop: Header=BB287_15 Depth=1
	s_delay_alu instid0(SALU_CYCLE_1)
	s_or_b32 exec_lo, exec_lo, s11
.LBB287_1490:                           ;   in Loop: Header=BB287_15 Depth=1
	s_delay_alu instid0(SALU_CYCLE_1)
	s_or_b32 exec_lo, exec_lo, s8
	flat_load_b64 v[4:5], v[2:3] offset:5640
	s_mov_b32 s8, exec_lo
	s_wait_loadcnt_dscnt 0x0
	v_and_b32_e32 v0, 0xff, v4
	s_wait_xcnt 0x0
	s_delay_alu instid0(VALU_DEP_1)
	v_cmpx_ne_u16_e32 0, v0
	s_cbranch_execz .LBB287_1498
; %bb.1491:                             ;   in Loop: Header=BB287_15 Depth=1
	v_cmp_ne_u16_e64 s1, 0x80, v0
	v_mov_b32_e32 v0, 0x8000
	scratch_store_b32 off, v0, s32 offset:764 ; 4-byte Folded Spill
	s_wait_xcnt 0x0
	s_and_saveexec_b32 s11, s1
	s_cbranch_execz .LBB287_1497
; %bb.1492:                             ;   in Loop: Header=BB287_15 Depth=1
	v_and_b32_e32 v7, 0x7f, v4
	v_mov_b32_e32 v0, 0x7c01
	s_mov_b32 s14, exec_lo
	scratch_store_b32 off, v0, s32 offset:764 ; 4-byte Folded Spill
	s_wait_xcnt 0x0
	v_cmpx_ne_u32_e32 0x7f, v7
	s_cbranch_execz .LBB287_1496
; %bb.1493:                             ;   in Loop: Header=BB287_15 Depth=1
	v_dual_lshrrev_b32 v6, 3, v7 :: v_dual_bitop2_b32 v0, 7, v4 bitop3:0x40
	s_mov_b32 s15, exec_lo
	v_cmpx_gt_u32_e32 8, v7
; %bb.1494:                             ;   in Loop: Header=BB287_15 Depth=1
	s_delay_alu instid0(VALU_DEP_2) | instskip(NEXT) | instid1(VALU_DEP_1)
	v_clz_i32_u32_e32 v0, v0
	v_min_u32_e32 v0, 32, v0
	s_delay_alu instid0(VALU_DEP_1) | instskip(NEXT) | instid1(VALU_DEP_1)
	v_subrev_nc_u32_e32 v6, 28, v0
	v_lshlrev_b64_e32 v[8:9], v6, v[4:5]
	v_sub_nc_u32_e32 v6, 29, v0
	s_delay_alu instid0(VALU_DEP_2)
	v_and_b32_e32 v0, 7, v8
; %bb.1495:                             ;   in Loop: Header=BB287_15 Depth=1
	s_or_b32 exec_lo, exec_lo, s15
	v_lshlrev_b32_e32 v7, 8, v4
	s_delay_alu instid0(VALU_DEP_3) | instskip(NEXT) | instid1(VALU_DEP_3)
	v_lshl_add_u32 v6, v6, 10, 0x2000
	v_lshlrev_b32_e32 v0, 7, v0
	s_delay_alu instid0(VALU_DEP_3) | instskip(NEXT) | instid1(VALU_DEP_3)
	v_and_b32_e32 v7, 0x8000, v7
	v_and_b32_e32 v6, 0xfc00, v6
	s_delay_alu instid0(VALU_DEP_1)
	v_or3_b32 v0, v7, v6, v0
	scratch_store_b32 off, v0, s32 offset:764 ; 4-byte Folded Spill
.LBB287_1496:                           ;   in Loop: Header=BB287_15 Depth=1
	s_wait_xcnt 0x0
	s_or_b32 exec_lo, exec_lo, s14
.LBB287_1497:                           ;   in Loop: Header=BB287_15 Depth=1
	s_delay_alu instid0(SALU_CYCLE_1)
	s_or_b32 exec_lo, exec_lo, s11
.LBB287_1498:                           ;   in Loop: Header=BB287_15 Depth=1
	s_delay_alu instid0(SALU_CYCLE_1)
	s_or_b32 exec_lo, exec_lo, s8
	v_lshrrev_b16 v24, 8, v4
	v_dual_mov_b32 v0, 0 :: v_dual_mov_b32 v109, 0
	s_mov_b32 s8, exec_lo
	scratch_store_b32 off, v0, s32 offset:768 ; 4-byte Folded Spill
	s_wait_xcnt 0x0
	v_cmpx_ne_u16_e32 0, v24
	s_cbranch_execz .LBB287_1506
; %bb.1499:                             ;   in Loop: Header=BB287_15 Depth=1
	v_bfrev_b32_e32 v109, 1
	s_mov_b32 s11, exec_lo
	v_cmpx_ne_u16_e32 0x80, v24
	s_cbranch_execz .LBB287_1505
; %bb.1500:                             ;   in Loop: Header=BB287_15 Depth=1
	v_and_b32_e32 v0, 0xffff, v24
	v_mov_b32_e32 v109, 0x7c010000
	s_mov_b32 s14, exec_lo
	s_delay_alu instid0(VALU_DEP_2) | instskip(NEXT) | instid1(VALU_DEP_1)
	v_and_b32_e32 v8, 0x7f, v0
	v_cmpx_ne_u32_e32 0x7f, v8
	s_cbranch_execz .LBB287_1504
; %bb.1501:                             ;   in Loop: Header=BB287_15 Depth=1
	v_and_b32_e32 v6, 7, v0
	v_lshrrev_b32_e32 v7, 3, v8
	s_mov_b32 s15, exec_lo
	v_cmpx_gt_u32_e32 8, v8
; %bb.1502:                             ;   in Loop: Header=BB287_15 Depth=1
	s_delay_alu instid0(VALU_DEP_3) | instskip(NEXT) | instid1(VALU_DEP_1)
	v_clz_i32_u32_e32 v6, v6
	v_min_u32_e32 v8, 32, v6
	s_delay_alu instid0(VALU_DEP_1) | instskip(NEXT) | instid1(VALU_DEP_1)
	v_subrev_nc_u32_e32 v6, 28, v8
	v_lshlrev_b64_e32 v[6:7], v6, v[24:25]
	s_delay_alu instid0(VALU_DEP_1)
	v_dual_sub_nc_u32 v7, 29, v8 :: v_dual_bitop2_b32 v6, 7, v6 bitop3:0x40
; %bb.1503:                             ;   in Loop: Header=BB287_15 Depth=1
	s_or_b32 exec_lo, exec_lo, s15
	s_delay_alu instid0(VALU_DEP_1) | instskip(NEXT) | instid1(VALU_DEP_2)
	v_dual_lshlrev_b32 v0, 8, v0 :: v_dual_lshlrev_b32 v6, 23, v6
	v_lshl_add_u32 v7, v7, 10, 0x2000
	s_delay_alu instid0(VALU_DEP_1) | instskip(NEXT) | instid1(VALU_DEP_1)
	v_and_or_b32 v0, 0x8000, v0, v7
	v_lshl_or_b32 v109, v0, 16, v6
.LBB287_1504:                           ;   in Loop: Header=BB287_15 Depth=1
	s_or_b32 exec_lo, exec_lo, s14
.LBB287_1505:                           ;   in Loop: Header=BB287_15 Depth=1
	s_delay_alu instid0(SALU_CYCLE_1)
	s_or_b32 exec_lo, exec_lo, s11
.LBB287_1506:                           ;   in Loop: Header=BB287_15 Depth=1
	s_delay_alu instid0(SALU_CYCLE_1) | instskip(SKIP_2) | instid1(VALU_DEP_1)
	s_or_b32 exec_lo, exec_lo, s8
	v_lshrrev_b32_e32 v0, 16, v4
	s_mov_b32 s8, exec_lo
	v_and_b32_e32 v6, 0xff, v0
	s_delay_alu instid0(VALU_DEP_1)
	v_cmpx_ne_u16_e32 0, v6
	s_cbranch_execz .LBB287_1514
; %bb.1507:                             ;   in Loop: Header=BB287_15 Depth=1
	v_cmp_ne_u16_e64 s1, 0x80, v6
	v_mov_b32_e32 v6, 0x8000
	scratch_store_b32 off, v6, s32 offset:768 ; 4-byte Folded Spill
	s_wait_xcnt 0x0
	s_and_saveexec_b32 s11, s1
	s_cbranch_execz .LBB287_1513
; %bb.1508:                             ;   in Loop: Header=BB287_15 Depth=1
	v_bfe_u32 v8, v4, 16, 7
	v_mov_b32_e32 v6, 0x7c01
	s_mov_b32 s14, exec_lo
	scratch_store_b32 off, v6, s32 offset:768 ; 4-byte Folded Spill
	s_wait_xcnt 0x0
	v_cmpx_ne_u32_e32 0x7f, v8
	s_cbranch_execz .LBB287_1512
; %bb.1509:                             ;   in Loop: Header=BB287_15 Depth=1
	v_and_b32_e32 v6, 7, v0
	v_lshrrev_b32_e32 v7, 3, v8
	s_mov_b32 s15, exec_lo
	v_cmpx_gt_u32_e32 8, v8
; %bb.1510:                             ;   in Loop: Header=BB287_15 Depth=1
	s_delay_alu instid0(VALU_DEP_3) | instskip(NEXT) | instid1(VALU_DEP_1)
	v_clz_i32_u32_e32 v6, v6
	v_min_u32_e32 v8, 32, v6
	s_delay_alu instid0(VALU_DEP_1) | instskip(NEXT) | instid1(VALU_DEP_1)
	v_subrev_nc_u32_e32 v6, 28, v8
	v_lshlrev_b64_e32 v[6:7], v6, v[0:1]
	s_delay_alu instid0(VALU_DEP_1)
	v_dual_sub_nc_u32 v7, 29, v8 :: v_dual_bitop2_b32 v6, 7, v6 bitop3:0x40
; %bb.1511:                             ;   in Loop: Header=BB287_15 Depth=1
	s_or_b32 exec_lo, exec_lo, s15
	s_delay_alu instid0(VALU_DEP_1) | instskip(NEXT) | instid1(VALU_DEP_2)
	v_dual_lshlrev_b32 v0, 8, v0 :: v_dual_lshlrev_b32 v6, 7, v6
	v_lshl_add_u32 v7, v7, 10, 0x2000
	s_delay_alu instid0(VALU_DEP_2) | instskip(NEXT) | instid1(VALU_DEP_2)
	v_and_b32_e32 v0, 0x8000, v0
	v_and_b32_e32 v7, 0xfc00, v7
	s_delay_alu instid0(VALU_DEP_1)
	v_or3_b32 v0, v0, v7, v6
	scratch_store_b32 off, v0, s32 offset:768 ; 4-byte Folded Spill
.LBB287_1512:                           ;   in Loop: Header=BB287_15 Depth=1
	s_wait_xcnt 0x0
	s_or_b32 exec_lo, exec_lo, s14
.LBB287_1513:                           ;   in Loop: Header=BB287_15 Depth=1
	s_delay_alu instid0(SALU_CYCLE_1)
	s_or_b32 exec_lo, exec_lo, s11
.LBB287_1514:                           ;   in Loop: Header=BB287_15 Depth=1
	s_delay_alu instid0(SALU_CYCLE_1)
	s_or_b32 exec_lo, exec_lo, s8
	v_dual_mov_b32 v0, 0 :: v_dual_mov_b32 v121, 0
	s_mov_b32 s8, exec_lo
	scratch_store_b32 off, v0, s32 offset:772 ; 4-byte Folded Spill
	s_wait_xcnt 0x0
	v_cmpx_lt_u32_e32 0xffffff, v4
	s_cbranch_execz .LBB287_1522
; %bb.1515:                             ;   in Loop: Header=BB287_15 Depth=1
	v_lshrrev_b32_e32 v24, 24, v4
	v_bfrev_b32_e32 v121, 1
	s_mov_b32 s11, exec_lo
	s_delay_alu instid0(VALU_DEP_2)
	v_cmpx_ne_u32_e32 0x80, v24
	s_cbranch_execz .LBB287_1521
; %bb.1516:                             ;   in Loop: Header=BB287_15 Depth=1
	v_and_b32_e32 v7, 0x7f, v24
	v_mov_b32_e32 v121, 0x7c010000
	s_mov_b32 s14, exec_lo
	s_delay_alu instid0(VALU_DEP_2)
	v_cmpx_ne_u32_e32 0x7f, v7
	s_cbranch_execz .LBB287_1520
; %bb.1517:                             ;   in Loop: Header=BB287_15 Depth=1
	v_dual_lshrrev_b32 v6, 3, v7 :: v_dual_bitop2_b32 v0, 7, v24 bitop3:0x40
	s_mov_b32 s15, exec_lo
	v_cmpx_gt_u32_e32 8, v7
; %bb.1518:                             ;   in Loop: Header=BB287_15 Depth=1
	s_delay_alu instid0(VALU_DEP_2) | instskip(NEXT) | instid1(VALU_DEP_1)
	v_clz_i32_u32_e32 v0, v0
	v_min_u32_e32 v0, 32, v0
	s_delay_alu instid0(VALU_DEP_1) | instskip(NEXT) | instid1(VALU_DEP_1)
	v_subrev_nc_u32_e32 v6, 28, v0
	v_lshlrev_b64_e32 v[8:9], v6, v[24:25]
	v_sub_nc_u32_e32 v6, 29, v0
	s_delay_alu instid0(VALU_DEP_2)
	v_and_b32_e32 v0, 7, v8
; %bb.1519:                             ;   in Loop: Header=BB287_15 Depth=1
	s_or_b32 exec_lo, exec_lo, s15
	v_lshlrev_b32_e32 v7, 8, v24
	s_delay_alu instid0(VALU_DEP_3) | instskip(NEXT) | instid1(VALU_DEP_3)
	v_lshl_add_u32 v6, v6, 10, 0x2000
	v_lshlrev_b32_e32 v0, 23, v0
	s_delay_alu instid0(VALU_DEP_2) | instskip(NEXT) | instid1(VALU_DEP_1)
	v_and_or_b32 v6, 0x8000, v7, v6
	v_lshl_or_b32 v121, v6, 16, v0
.LBB287_1520:                           ;   in Loop: Header=BB287_15 Depth=1
	s_or_b32 exec_lo, exec_lo, s14
.LBB287_1521:                           ;   in Loop: Header=BB287_15 Depth=1
	s_delay_alu instid0(SALU_CYCLE_1)
	s_or_b32 exec_lo, exec_lo, s11
.LBB287_1522:                           ;   in Loop: Header=BB287_15 Depth=1
	s_delay_alu instid0(SALU_CYCLE_1) | instskip(SKIP_3) | instid1(VALU_DEP_2)
	s_or_b32 exec_lo, exec_lo, s8
	v_and_b32_e32 v0, 0xff, v5
	v_mov_b32_e32 v24, v5
	s_mov_b32 s8, exec_lo
	v_cmpx_ne_u16_e32 0, v0
	s_cbranch_execz .LBB287_1530
; %bb.1523:                             ;   in Loop: Header=BB287_15 Depth=1
	v_cmp_ne_u16_e64 s1, 0x80, v0
	v_mov_b32_e32 v0, 0x8000
	scratch_store_b32 off, v0, s32 offset:772 ; 4-byte Folded Spill
	s_wait_xcnt 0x0
	s_and_saveexec_b32 s11, s1
	s_cbranch_execz .LBB287_1529
; %bb.1524:                             ;   in Loop: Header=BB287_15 Depth=1
	v_and_b32_e32 v7, 0x7f, v5
	v_mov_b32_e32 v0, 0x7c01
	s_mov_b32 s14, exec_lo
	scratch_store_b32 off, v0, s32 offset:772 ; 4-byte Folded Spill
	s_wait_xcnt 0x0
	v_cmpx_ne_u32_e32 0x7f, v7
	s_cbranch_execz .LBB287_1528
; %bb.1525:                             ;   in Loop: Header=BB287_15 Depth=1
	v_dual_lshrrev_b32 v6, 3, v7 :: v_dual_bitop2_b32 v0, 7, v5 bitop3:0x40
	s_mov_b32 s15, exec_lo
	v_cmpx_gt_u32_e32 8, v7
; %bb.1526:                             ;   in Loop: Header=BB287_15 Depth=1
	s_delay_alu instid0(VALU_DEP_2) | instskip(NEXT) | instid1(VALU_DEP_1)
	v_clz_i32_u32_e32 v0, v0
	v_min_u32_e32 v0, 32, v0
	s_delay_alu instid0(VALU_DEP_1) | instskip(NEXT) | instid1(VALU_DEP_1)
	v_subrev_nc_u32_e32 v6, 28, v0
	v_lshlrev_b64_e32 v[8:9], v6, v[24:25]
	v_sub_nc_u32_e32 v6, 29, v0
	s_delay_alu instid0(VALU_DEP_2)
	v_and_b32_e32 v0, 7, v8
; %bb.1527:                             ;   in Loop: Header=BB287_15 Depth=1
	s_or_b32 exec_lo, exec_lo, s15
	s_delay_alu instid0(VALU_DEP_1) | instskip(NEXT) | instid1(VALU_DEP_3)
	v_dual_lshlrev_b32 v7, 8, v5 :: v_dual_lshlrev_b32 v0, 7, v0
	v_lshl_add_u32 v6, v6, 10, 0x2000
	s_delay_alu instid0(VALU_DEP_2) | instskip(NEXT) | instid1(VALU_DEP_2)
	v_and_b32_e32 v7, 0x8000, v7
	v_and_b32_e32 v6, 0xfc00, v6
	s_delay_alu instid0(VALU_DEP_1)
	v_or3_b32 v0, v7, v6, v0
	scratch_store_b32 off, v0, s32 offset:772 ; 4-byte Folded Spill
.LBB287_1528:                           ;   in Loop: Header=BB287_15 Depth=1
	s_wait_xcnt 0x0
	s_or_b32 exec_lo, exec_lo, s14
.LBB287_1529:                           ;   in Loop: Header=BB287_15 Depth=1
	s_delay_alu instid0(SALU_CYCLE_1)
	s_or_b32 exec_lo, exec_lo, s11
.LBB287_1530:                           ;   in Loop: Header=BB287_15 Depth=1
	s_delay_alu instid0(SALU_CYCLE_1) | instskip(SKIP_3) | instid1(VALU_DEP_2)
	s_or_b32 exec_lo, exec_lo, s8
	v_lshrrev_b16 v24, 8, v24
	v_dual_mov_b32 v82, 0 :: v_dual_mov_b32 v83, 0
	s_mov_b32 s8, exec_lo
	v_cmpx_ne_u16_e32 0, v24
	s_cbranch_execz .LBB287_1538
; %bb.1531:                             ;   in Loop: Header=BB287_15 Depth=1
	v_bfrev_b32_e32 v83, 1
	s_mov_b32 s11, exec_lo
	v_cmpx_ne_u16_e32 0x80, v24
	s_cbranch_execz .LBB287_1537
; %bb.1532:                             ;   in Loop: Header=BB287_15 Depth=1
	v_and_b32_e32 v0, 0xffff, v24
	v_mov_b32_e32 v83, 0x7c010000
	s_mov_b32 s14, exec_lo
	s_delay_alu instid0(VALU_DEP_2) | instskip(NEXT) | instid1(VALU_DEP_1)
	v_and_b32_e32 v8, 0x7f, v0
	v_cmpx_ne_u32_e32 0x7f, v8
	s_cbranch_execz .LBB287_1536
; %bb.1533:                             ;   in Loop: Header=BB287_15 Depth=1
	v_and_b32_e32 v6, 7, v0
	v_lshrrev_b32_e32 v7, 3, v8
	s_mov_b32 s15, exec_lo
	v_cmpx_gt_u32_e32 8, v8
; %bb.1534:                             ;   in Loop: Header=BB287_15 Depth=1
	s_delay_alu instid0(VALU_DEP_3) | instskip(NEXT) | instid1(VALU_DEP_1)
	v_clz_i32_u32_e32 v6, v6
	v_min_u32_e32 v8, 32, v6
	s_delay_alu instid0(VALU_DEP_1) | instskip(NEXT) | instid1(VALU_DEP_1)
	v_subrev_nc_u32_e32 v6, 28, v8
	v_lshlrev_b64_e32 v[6:7], v6, v[24:25]
	s_delay_alu instid0(VALU_DEP_1)
	v_dual_sub_nc_u32 v7, 29, v8 :: v_dual_bitop2_b32 v6, 7, v6 bitop3:0x40
; %bb.1535:                             ;   in Loop: Header=BB287_15 Depth=1
	s_or_b32 exec_lo, exec_lo, s15
	s_delay_alu instid0(VALU_DEP_1) | instskip(NEXT) | instid1(VALU_DEP_2)
	v_dual_lshlrev_b32 v0, 8, v0 :: v_dual_lshlrev_b32 v6, 23, v6
	v_lshl_add_u32 v7, v7, 10, 0x2000
	s_delay_alu instid0(VALU_DEP_1) | instskip(NEXT) | instid1(VALU_DEP_1)
	v_and_or_b32 v0, 0x8000, v0, v7
	v_lshl_or_b32 v83, v0, 16, v6
.LBB287_1536:                           ;   in Loop: Header=BB287_15 Depth=1
	s_or_b32 exec_lo, exec_lo, s14
.LBB287_1537:                           ;   in Loop: Header=BB287_15 Depth=1
	s_delay_alu instid0(SALU_CYCLE_1)
	s_or_b32 exec_lo, exec_lo, s11
.LBB287_1538:                           ;   in Loop: Header=BB287_15 Depth=1
	s_delay_alu instid0(SALU_CYCLE_1) | instskip(SKIP_2) | instid1(VALU_DEP_1)
	s_or_b32 exec_lo, exec_lo, s8
	v_lshrrev_b32_e32 v0, 16, v5
	s_mov_b32 s8, exec_lo
	v_and_b32_e32 v6, 0xff, v0
	s_delay_alu instid0(VALU_DEP_1)
	v_cmpx_ne_u16_e32 0, v6
	s_cbranch_execz .LBB287_1546
; %bb.1539:                             ;   in Loop: Header=BB287_15 Depth=1
	v_mov_b32_e32 v82, 0x8000
	s_mov_b32 s11, exec_lo
	v_cmpx_ne_u16_e32 0x80, v6
	s_cbranch_execz .LBB287_1545
; %bb.1540:                             ;   in Loop: Header=BB287_15 Depth=1
	v_bfe_u32 v8, v5, 16, 7
	v_mov_b32_e32 v82, 0x7c01
	s_mov_b32 s14, exec_lo
	s_delay_alu instid0(VALU_DEP_2)
	v_cmpx_ne_u32_e32 0x7f, v8
	s_cbranch_execz .LBB287_1544
; %bb.1541:                             ;   in Loop: Header=BB287_15 Depth=1
	v_and_b32_e32 v6, 7, v0
	v_lshrrev_b32_e32 v7, 3, v8
	s_mov_b32 s15, exec_lo
	v_cmpx_gt_u32_e32 8, v8
; %bb.1542:                             ;   in Loop: Header=BB287_15 Depth=1
	s_delay_alu instid0(VALU_DEP_3) | instskip(NEXT) | instid1(VALU_DEP_1)
	v_clz_i32_u32_e32 v6, v6
	v_min_u32_e32 v8, 32, v6
	s_delay_alu instid0(VALU_DEP_1) | instskip(NEXT) | instid1(VALU_DEP_1)
	v_subrev_nc_u32_e32 v6, 28, v8
	v_lshlrev_b64_e32 v[6:7], v6, v[0:1]
	s_delay_alu instid0(VALU_DEP_1)
	v_dual_sub_nc_u32 v7, 29, v8 :: v_dual_bitop2_b32 v6, 7, v6 bitop3:0x40
; %bb.1543:                             ;   in Loop: Header=BB287_15 Depth=1
	s_or_b32 exec_lo, exec_lo, s15
	s_delay_alu instid0(VALU_DEP_1) | instskip(NEXT) | instid1(VALU_DEP_2)
	v_dual_lshlrev_b32 v0, 8, v0 :: v_dual_lshlrev_b32 v6, 7, v6
	v_lshl_add_u32 v7, v7, 10, 0x2000
	s_delay_alu instid0(VALU_DEP_2) | instskip(NEXT) | instid1(VALU_DEP_2)
	v_and_b32_e32 v0, 0x8000, v0
	v_and_b32_e32 v7, 0xfc00, v7
	s_delay_alu instid0(VALU_DEP_1)
	v_or3_b32 v82, v0, v7, v6
.LBB287_1544:                           ;   in Loop: Header=BB287_15 Depth=1
	s_or_b32 exec_lo, exec_lo, s14
.LBB287_1545:                           ;   in Loop: Header=BB287_15 Depth=1
	s_delay_alu instid0(SALU_CYCLE_1)
	s_or_b32 exec_lo, exec_lo, s11
.LBB287_1546:                           ;   in Loop: Header=BB287_15 Depth=1
	s_delay_alu instid0(SALU_CYCLE_1)
	s_or_b32 exec_lo, exec_lo, s8
	v_dual_mov_b32 v96, 0 :: v_dual_mov_b32 v97, 0
	s_mov_b32 s8, exec_lo
	v_cmpx_lt_u64_e64 s[4:5], v[4:5]
	s_cbranch_execz .LBB287_1554
; %bb.1547:                             ;   in Loop: Header=BB287_15 Depth=1
	v_lshrrev_b32_e32 v24, 24, v5
	v_bfrev_b32_e32 v97, 1
	s_mov_b32 s11, exec_lo
	s_delay_alu instid0(VALU_DEP_2)
	v_cmpx_ne_u32_e32 0x80, v24
	s_cbranch_execz .LBB287_1553
; %bb.1548:                             ;   in Loop: Header=BB287_15 Depth=1
	v_and_b32_e32 v5, 0x7f, v24
	v_mov_b32_e32 v97, 0x7c010000
	s_mov_b32 s14, exec_lo
	s_delay_alu instid0(VALU_DEP_2)
	v_cmpx_ne_u32_e32 0x7f, v5
	s_cbranch_execz .LBB287_1552
; %bb.1549:                             ;   in Loop: Header=BB287_15 Depth=1
	v_dual_lshrrev_b32 v4, 3, v5 :: v_dual_bitop2_b32 v0, 7, v24 bitop3:0x40
	s_mov_b32 s15, exec_lo
	v_cmpx_gt_u32_e32 8, v5
; %bb.1550:                             ;   in Loop: Header=BB287_15 Depth=1
	s_delay_alu instid0(VALU_DEP_2) | instskip(NEXT) | instid1(VALU_DEP_1)
	v_clz_i32_u32_e32 v0, v0
	v_min_u32_e32 v0, 32, v0
	s_delay_alu instid0(VALU_DEP_1) | instskip(NEXT) | instid1(VALU_DEP_1)
	v_subrev_nc_u32_e32 v4, 28, v0
	v_lshlrev_b64_e32 v[6:7], v4, v[24:25]
	s_delay_alu instid0(VALU_DEP_1)
	v_dual_sub_nc_u32 v4, 29, v0 :: v_dual_bitop2_b32 v0, 7, v6 bitop3:0x40
; %bb.1551:                             ;   in Loop: Header=BB287_15 Depth=1
	s_or_b32 exec_lo, exec_lo, s15
	v_lshlrev_b32_e32 v5, 8, v24
	s_delay_alu instid0(VALU_DEP_2) | instskip(NEXT) | instid1(VALU_DEP_3)
	v_lshl_add_u32 v4, v4, 10, 0x2000
	v_lshlrev_b32_e32 v0, 23, v0
	s_delay_alu instid0(VALU_DEP_2) | instskip(NEXT) | instid1(VALU_DEP_1)
	v_and_or_b32 v4, 0x8000, v5, v4
	v_lshl_or_b32 v97, v4, 16, v0
.LBB287_1552:                           ;   in Loop: Header=BB287_15 Depth=1
	s_or_b32 exec_lo, exec_lo, s14
.LBB287_1553:                           ;   in Loop: Header=BB287_15 Depth=1
	s_delay_alu instid0(SALU_CYCLE_1)
	s_or_b32 exec_lo, exec_lo, s11
.LBB287_1554:                           ;   in Loop: Header=BB287_15 Depth=1
	s_delay_alu instid0(SALU_CYCLE_1)
	s_or_b32 exec_lo, exec_lo, s8
	flat_load_b64 v[4:5], v[2:3] offset:6144
	s_mov_b32 s8, exec_lo
	s_wait_loadcnt_dscnt 0x0
	v_and_b32_e32 v0, 0xff, v4
	s_wait_xcnt 0x0
	s_delay_alu instid0(VALU_DEP_1)
	v_cmpx_ne_u16_e32 0, v0
	s_cbranch_execz .LBB287_1562
; %bb.1555:                             ;   in Loop: Header=BB287_15 Depth=1
	v_mov_b32_e32 v96, 0x8000
	s_mov_b32 s11, exec_lo
	v_cmpx_ne_u16_e32 0x80, v0
	s_cbranch_execz .LBB287_1561
; %bb.1556:                             ;   in Loop: Header=BB287_15 Depth=1
	v_and_b32_e32 v7, 0x7f, v4
	v_mov_b32_e32 v96, 0x7c01
	s_mov_b32 s14, exec_lo
	s_delay_alu instid0(VALU_DEP_2)
	v_cmpx_ne_u32_e32 0x7f, v7
	s_cbranch_execz .LBB287_1560
; %bb.1557:                             ;   in Loop: Header=BB287_15 Depth=1
	v_dual_lshrrev_b32 v6, 3, v7 :: v_dual_bitop2_b32 v0, 7, v4 bitop3:0x40
	s_mov_b32 s15, exec_lo
	v_cmpx_gt_u32_e32 8, v7
; %bb.1558:                             ;   in Loop: Header=BB287_15 Depth=1
	s_delay_alu instid0(VALU_DEP_2) | instskip(NEXT) | instid1(VALU_DEP_1)
	v_clz_i32_u32_e32 v0, v0
	v_min_u32_e32 v0, 32, v0
	s_delay_alu instid0(VALU_DEP_1) | instskip(NEXT) | instid1(VALU_DEP_1)
	v_subrev_nc_u32_e32 v6, 28, v0
	v_lshlrev_b64_e32 v[8:9], v6, v[4:5]
	v_sub_nc_u32_e32 v6, 29, v0
	s_delay_alu instid0(VALU_DEP_2)
	v_and_b32_e32 v0, 7, v8
; %bb.1559:                             ;   in Loop: Header=BB287_15 Depth=1
	s_or_b32 exec_lo, exec_lo, s15
	v_lshlrev_b32_e32 v7, 8, v4
	s_delay_alu instid0(VALU_DEP_3) | instskip(NEXT) | instid1(VALU_DEP_3)
	v_lshl_add_u32 v6, v6, 10, 0x2000
	v_lshlrev_b32_e32 v0, 7, v0
	s_delay_alu instid0(VALU_DEP_3) | instskip(NEXT) | instid1(VALU_DEP_3)
	v_and_b32_e32 v7, 0x8000, v7
	v_and_b32_e32 v6, 0xfc00, v6
	s_delay_alu instid0(VALU_DEP_1)
	v_or3_b32 v96, v7, v6, v0
.LBB287_1560:                           ;   in Loop: Header=BB287_15 Depth=1
	s_or_b32 exec_lo, exec_lo, s14
.LBB287_1561:                           ;   in Loop: Header=BB287_15 Depth=1
	s_delay_alu instid0(SALU_CYCLE_1)
	s_or_b32 exec_lo, exec_lo, s11
.LBB287_1562:                           ;   in Loop: Header=BB287_15 Depth=1
	s_delay_alu instid0(SALU_CYCLE_1) | instskip(SKIP_3) | instid1(VALU_DEP_2)
	s_or_b32 exec_lo, exec_lo, s8
	v_lshrrev_b16 v24, 8, v4
	v_dual_mov_b32 v103, 0 :: v_dual_mov_b32 v101, 0
	s_mov_b32 s8, exec_lo
	v_cmpx_ne_u16_e32 0, v24
	s_cbranch_execz .LBB287_1570
; %bb.1563:                             ;   in Loop: Header=BB287_15 Depth=1
	v_bfrev_b32_e32 v101, 1
	s_mov_b32 s11, exec_lo
	v_cmpx_ne_u16_e32 0x80, v24
	s_cbranch_execz .LBB287_1569
; %bb.1564:                             ;   in Loop: Header=BB287_15 Depth=1
	v_and_b32_e32 v0, 0xffff, v24
	v_mov_b32_e32 v101, 0x7c010000
	s_mov_b32 s14, exec_lo
	s_delay_alu instid0(VALU_DEP_2) | instskip(NEXT) | instid1(VALU_DEP_1)
	v_and_b32_e32 v8, 0x7f, v0
	v_cmpx_ne_u32_e32 0x7f, v8
	s_cbranch_execz .LBB287_1568
; %bb.1565:                             ;   in Loop: Header=BB287_15 Depth=1
	v_and_b32_e32 v6, 7, v0
	v_lshrrev_b32_e32 v7, 3, v8
	s_mov_b32 s15, exec_lo
	v_cmpx_gt_u32_e32 8, v8
; %bb.1566:                             ;   in Loop: Header=BB287_15 Depth=1
	s_delay_alu instid0(VALU_DEP_3) | instskip(NEXT) | instid1(VALU_DEP_1)
	v_clz_i32_u32_e32 v6, v6
	v_min_u32_e32 v8, 32, v6
	s_delay_alu instid0(VALU_DEP_1) | instskip(NEXT) | instid1(VALU_DEP_1)
	v_subrev_nc_u32_e32 v6, 28, v8
	v_lshlrev_b64_e32 v[6:7], v6, v[24:25]
	s_delay_alu instid0(VALU_DEP_1)
	v_dual_sub_nc_u32 v7, 29, v8 :: v_dual_bitop2_b32 v6, 7, v6 bitop3:0x40
; %bb.1567:                             ;   in Loop: Header=BB287_15 Depth=1
	s_or_b32 exec_lo, exec_lo, s15
	s_delay_alu instid0(VALU_DEP_1) | instskip(NEXT) | instid1(VALU_DEP_2)
	v_dual_lshlrev_b32 v0, 8, v0 :: v_dual_lshlrev_b32 v6, 23, v6
	v_lshl_add_u32 v7, v7, 10, 0x2000
	s_delay_alu instid0(VALU_DEP_1) | instskip(NEXT) | instid1(VALU_DEP_1)
	v_and_or_b32 v0, 0x8000, v0, v7
	v_lshl_or_b32 v101, v0, 16, v6
.LBB287_1568:                           ;   in Loop: Header=BB287_15 Depth=1
	s_or_b32 exec_lo, exec_lo, s14
.LBB287_1569:                           ;   in Loop: Header=BB287_15 Depth=1
	s_delay_alu instid0(SALU_CYCLE_1)
	s_or_b32 exec_lo, exec_lo, s11
.LBB287_1570:                           ;   in Loop: Header=BB287_15 Depth=1
	s_delay_alu instid0(SALU_CYCLE_1) | instskip(SKIP_2) | instid1(VALU_DEP_1)
	s_or_b32 exec_lo, exec_lo, s8
	v_lshrrev_b32_e32 v0, 16, v4
	s_mov_b32 s8, exec_lo
	v_and_b32_e32 v6, 0xff, v0
	s_delay_alu instid0(VALU_DEP_1)
	v_cmpx_ne_u16_e32 0, v6
	s_cbranch_execz .LBB287_1578
; %bb.1571:                             ;   in Loop: Header=BB287_15 Depth=1
	v_mov_b32_e32 v103, 0x8000
	s_mov_b32 s11, exec_lo
	v_cmpx_ne_u16_e32 0x80, v6
	s_cbranch_execz .LBB287_1577
; %bb.1572:                             ;   in Loop: Header=BB287_15 Depth=1
	v_bfe_u32 v8, v4, 16, 7
	v_mov_b32_e32 v103, 0x7c01
	s_mov_b32 s14, exec_lo
	s_delay_alu instid0(VALU_DEP_2)
	v_cmpx_ne_u32_e32 0x7f, v8
	s_cbranch_execz .LBB287_1576
; %bb.1573:                             ;   in Loop: Header=BB287_15 Depth=1
	v_and_b32_e32 v6, 7, v0
	v_lshrrev_b32_e32 v7, 3, v8
	s_mov_b32 s15, exec_lo
	v_cmpx_gt_u32_e32 8, v8
; %bb.1574:                             ;   in Loop: Header=BB287_15 Depth=1
	s_delay_alu instid0(VALU_DEP_3) | instskip(NEXT) | instid1(VALU_DEP_1)
	v_clz_i32_u32_e32 v6, v6
	v_min_u32_e32 v8, 32, v6
	s_delay_alu instid0(VALU_DEP_1) | instskip(NEXT) | instid1(VALU_DEP_1)
	v_subrev_nc_u32_e32 v6, 28, v8
	v_lshlrev_b64_e32 v[6:7], v6, v[0:1]
	s_delay_alu instid0(VALU_DEP_1)
	v_dual_sub_nc_u32 v7, 29, v8 :: v_dual_bitop2_b32 v6, 7, v6 bitop3:0x40
; %bb.1575:                             ;   in Loop: Header=BB287_15 Depth=1
	s_or_b32 exec_lo, exec_lo, s15
	s_delay_alu instid0(VALU_DEP_1) | instskip(NEXT) | instid1(VALU_DEP_2)
	v_dual_lshlrev_b32 v0, 8, v0 :: v_dual_lshlrev_b32 v6, 7, v6
	v_lshl_add_u32 v7, v7, 10, 0x2000
	s_delay_alu instid0(VALU_DEP_2) | instskip(NEXT) | instid1(VALU_DEP_2)
	v_and_b32_e32 v0, 0x8000, v0
	v_and_b32_e32 v7, 0xfc00, v7
	s_delay_alu instid0(VALU_DEP_1)
	v_or3_b32 v103, v0, v7, v6
.LBB287_1576:                           ;   in Loop: Header=BB287_15 Depth=1
	s_or_b32 exec_lo, exec_lo, s14
.LBB287_1577:                           ;   in Loop: Header=BB287_15 Depth=1
	s_delay_alu instid0(SALU_CYCLE_1)
	s_or_b32 exec_lo, exec_lo, s11
.LBB287_1578:                           ;   in Loop: Header=BB287_15 Depth=1
	s_delay_alu instid0(SALU_CYCLE_1)
	s_or_b32 exec_lo, exec_lo, s8
	v_dual_mov_b32 v78, 0 :: v_dual_mov_b32 v100, 0
	s_mov_b32 s8, exec_lo
	v_cmpx_lt_u32_e32 0xffffff, v4
	s_cbranch_execz .LBB287_1586
; %bb.1579:                             ;   in Loop: Header=BB287_15 Depth=1
	v_lshrrev_b32_e32 v24, 24, v4
	v_bfrev_b32_e32 v100, 1
	s_mov_b32 s11, exec_lo
	s_delay_alu instid0(VALU_DEP_2)
	v_cmpx_ne_u32_e32 0x80, v24
	s_cbranch_execz .LBB287_1585
; %bb.1580:                             ;   in Loop: Header=BB287_15 Depth=1
	v_and_b32_e32 v7, 0x7f, v24
	v_mov_b32_e32 v100, 0x7c010000
	s_mov_b32 s14, exec_lo
	s_delay_alu instid0(VALU_DEP_2)
	v_cmpx_ne_u32_e32 0x7f, v7
	s_cbranch_execz .LBB287_1584
; %bb.1581:                             ;   in Loop: Header=BB287_15 Depth=1
	v_dual_lshrrev_b32 v6, 3, v7 :: v_dual_bitop2_b32 v0, 7, v24 bitop3:0x40
	s_mov_b32 s15, exec_lo
	v_cmpx_gt_u32_e32 8, v7
; %bb.1582:                             ;   in Loop: Header=BB287_15 Depth=1
	s_delay_alu instid0(VALU_DEP_2) | instskip(NEXT) | instid1(VALU_DEP_1)
	v_clz_i32_u32_e32 v0, v0
	v_min_u32_e32 v0, 32, v0
	s_delay_alu instid0(VALU_DEP_1) | instskip(NEXT) | instid1(VALU_DEP_1)
	v_subrev_nc_u32_e32 v6, 28, v0
	v_lshlrev_b64_e32 v[8:9], v6, v[24:25]
	v_sub_nc_u32_e32 v6, 29, v0
	s_delay_alu instid0(VALU_DEP_2)
	v_and_b32_e32 v0, 7, v8
; %bb.1583:                             ;   in Loop: Header=BB287_15 Depth=1
	s_or_b32 exec_lo, exec_lo, s15
	v_lshlrev_b32_e32 v7, 8, v24
	s_delay_alu instid0(VALU_DEP_3) | instskip(NEXT) | instid1(VALU_DEP_3)
	v_lshl_add_u32 v6, v6, 10, 0x2000
	v_lshlrev_b32_e32 v0, 23, v0
	s_delay_alu instid0(VALU_DEP_2) | instskip(NEXT) | instid1(VALU_DEP_1)
	v_and_or_b32 v6, 0x8000, v7, v6
	v_lshl_or_b32 v100, v6, 16, v0
.LBB287_1584:                           ;   in Loop: Header=BB287_15 Depth=1
	s_or_b32 exec_lo, exec_lo, s14
.LBB287_1585:                           ;   in Loop: Header=BB287_15 Depth=1
	s_delay_alu instid0(SALU_CYCLE_1)
	s_or_b32 exec_lo, exec_lo, s11
.LBB287_1586:                           ;   in Loop: Header=BB287_15 Depth=1
	s_delay_alu instid0(SALU_CYCLE_1) | instskip(SKIP_3) | instid1(VALU_DEP_2)
	s_or_b32 exec_lo, exec_lo, s8
	v_and_b32_e32 v0, 0xff, v5
	v_mov_b32_e32 v24, v5
	s_mov_b32 s8, exec_lo
	v_cmpx_ne_u16_e32 0, v0
	s_cbranch_execz .LBB287_1594
; %bb.1587:                             ;   in Loop: Header=BB287_15 Depth=1
	v_mov_b32_e32 v78, 0x8000
	s_mov_b32 s11, exec_lo
	v_cmpx_ne_u16_e32 0x80, v0
	s_cbranch_execz .LBB287_1593
; %bb.1588:                             ;   in Loop: Header=BB287_15 Depth=1
	v_and_b32_e32 v7, 0x7f, v5
	v_mov_b32_e32 v78, 0x7c01
	s_mov_b32 s14, exec_lo
	s_delay_alu instid0(VALU_DEP_2)
	v_cmpx_ne_u32_e32 0x7f, v7
	s_cbranch_execz .LBB287_1592
; %bb.1589:                             ;   in Loop: Header=BB287_15 Depth=1
	v_dual_lshrrev_b32 v6, 3, v7 :: v_dual_bitop2_b32 v0, 7, v5 bitop3:0x40
	s_mov_b32 s15, exec_lo
	v_cmpx_gt_u32_e32 8, v7
; %bb.1590:                             ;   in Loop: Header=BB287_15 Depth=1
	s_delay_alu instid0(VALU_DEP_2) | instskip(NEXT) | instid1(VALU_DEP_1)
	v_clz_i32_u32_e32 v0, v0
	v_min_u32_e32 v0, 32, v0
	s_delay_alu instid0(VALU_DEP_1) | instskip(NEXT) | instid1(VALU_DEP_1)
	v_subrev_nc_u32_e32 v6, 28, v0
	v_lshlrev_b64_e32 v[8:9], v6, v[24:25]
	v_sub_nc_u32_e32 v6, 29, v0
	s_delay_alu instid0(VALU_DEP_2)
	v_and_b32_e32 v0, 7, v8
; %bb.1591:                             ;   in Loop: Header=BB287_15 Depth=1
	s_or_b32 exec_lo, exec_lo, s15
	s_delay_alu instid0(VALU_DEP_1) | instskip(NEXT) | instid1(VALU_DEP_3)
	v_dual_lshlrev_b32 v7, 8, v5 :: v_dual_lshlrev_b32 v0, 7, v0
	v_lshl_add_u32 v6, v6, 10, 0x2000
	s_delay_alu instid0(VALU_DEP_2) | instskip(NEXT) | instid1(VALU_DEP_2)
	v_and_b32_e32 v7, 0x8000, v7
	v_and_b32_e32 v6, 0xfc00, v6
	s_delay_alu instid0(VALU_DEP_1)
	v_or3_b32 v78, v7, v6, v0
.LBB287_1592:                           ;   in Loop: Header=BB287_15 Depth=1
	s_or_b32 exec_lo, exec_lo, s14
.LBB287_1593:                           ;   in Loop: Header=BB287_15 Depth=1
	s_delay_alu instid0(SALU_CYCLE_1)
	s_or_b32 exec_lo, exec_lo, s11
.LBB287_1594:                           ;   in Loop: Header=BB287_15 Depth=1
	s_delay_alu instid0(SALU_CYCLE_1) | instskip(SKIP_3) | instid1(VALU_DEP_2)
	s_or_b32 exec_lo, exec_lo, s8
	v_lshrrev_b16 v24, 8, v24
	v_dual_mov_b32 v98, 0 :: v_dual_mov_b32 v102, 0
	s_mov_b32 s8, exec_lo
	v_cmpx_ne_u16_e32 0, v24
	s_cbranch_execz .LBB287_1602
; %bb.1595:                             ;   in Loop: Header=BB287_15 Depth=1
	v_bfrev_b32_e32 v102, 1
	s_mov_b32 s11, exec_lo
	v_cmpx_ne_u16_e32 0x80, v24
	s_cbranch_execz .LBB287_1601
; %bb.1596:                             ;   in Loop: Header=BB287_15 Depth=1
	v_and_b32_e32 v0, 0xffff, v24
	v_mov_b32_e32 v102, 0x7c010000
	s_mov_b32 s14, exec_lo
	s_delay_alu instid0(VALU_DEP_2) | instskip(NEXT) | instid1(VALU_DEP_1)
	v_and_b32_e32 v8, 0x7f, v0
	v_cmpx_ne_u32_e32 0x7f, v8
	s_cbranch_execz .LBB287_1600
; %bb.1597:                             ;   in Loop: Header=BB287_15 Depth=1
	v_and_b32_e32 v6, 7, v0
	v_lshrrev_b32_e32 v7, 3, v8
	s_mov_b32 s15, exec_lo
	v_cmpx_gt_u32_e32 8, v8
; %bb.1598:                             ;   in Loop: Header=BB287_15 Depth=1
	s_delay_alu instid0(VALU_DEP_3) | instskip(NEXT) | instid1(VALU_DEP_1)
	v_clz_i32_u32_e32 v6, v6
	v_min_u32_e32 v8, 32, v6
	s_delay_alu instid0(VALU_DEP_1) | instskip(NEXT) | instid1(VALU_DEP_1)
	v_subrev_nc_u32_e32 v6, 28, v8
	v_lshlrev_b64_e32 v[6:7], v6, v[24:25]
	s_delay_alu instid0(VALU_DEP_1)
	v_dual_sub_nc_u32 v7, 29, v8 :: v_dual_bitop2_b32 v6, 7, v6 bitop3:0x40
; %bb.1599:                             ;   in Loop: Header=BB287_15 Depth=1
	s_or_b32 exec_lo, exec_lo, s15
	s_delay_alu instid0(VALU_DEP_1) | instskip(NEXT) | instid1(VALU_DEP_2)
	v_dual_lshlrev_b32 v0, 8, v0 :: v_dual_lshlrev_b32 v6, 23, v6
	v_lshl_add_u32 v7, v7, 10, 0x2000
	s_delay_alu instid0(VALU_DEP_1) | instskip(NEXT) | instid1(VALU_DEP_1)
	v_and_or_b32 v0, 0x8000, v0, v7
	v_lshl_or_b32 v102, v0, 16, v6
.LBB287_1600:                           ;   in Loop: Header=BB287_15 Depth=1
	s_or_b32 exec_lo, exec_lo, s14
.LBB287_1601:                           ;   in Loop: Header=BB287_15 Depth=1
	s_delay_alu instid0(SALU_CYCLE_1)
	s_or_b32 exec_lo, exec_lo, s11
.LBB287_1602:                           ;   in Loop: Header=BB287_15 Depth=1
	s_delay_alu instid0(SALU_CYCLE_1) | instskip(SKIP_2) | instid1(VALU_DEP_1)
	s_or_b32 exec_lo, exec_lo, s8
	v_lshrrev_b32_e32 v0, 16, v5
	s_mov_b32 s8, exec_lo
	v_and_b32_e32 v6, 0xff, v0
	s_delay_alu instid0(VALU_DEP_1)
	v_cmpx_ne_u16_e32 0, v6
	s_cbranch_execz .LBB287_1610
; %bb.1603:                             ;   in Loop: Header=BB287_15 Depth=1
	v_mov_b32_e32 v98, 0x8000
	s_mov_b32 s11, exec_lo
	v_cmpx_ne_u16_e32 0x80, v6
	s_cbranch_execz .LBB287_1609
; %bb.1604:                             ;   in Loop: Header=BB287_15 Depth=1
	v_bfe_u32 v8, v5, 16, 7
	v_mov_b32_e32 v98, 0x7c01
	s_mov_b32 s14, exec_lo
	s_delay_alu instid0(VALU_DEP_2)
	v_cmpx_ne_u32_e32 0x7f, v8
	s_cbranch_execz .LBB287_1608
; %bb.1605:                             ;   in Loop: Header=BB287_15 Depth=1
	v_and_b32_e32 v6, 7, v0
	v_lshrrev_b32_e32 v7, 3, v8
	s_mov_b32 s15, exec_lo
	v_cmpx_gt_u32_e32 8, v8
; %bb.1606:                             ;   in Loop: Header=BB287_15 Depth=1
	s_delay_alu instid0(VALU_DEP_3) | instskip(NEXT) | instid1(VALU_DEP_1)
	v_clz_i32_u32_e32 v6, v6
	v_min_u32_e32 v8, 32, v6
	s_delay_alu instid0(VALU_DEP_1) | instskip(NEXT) | instid1(VALU_DEP_1)
	v_subrev_nc_u32_e32 v6, 28, v8
	v_lshlrev_b64_e32 v[6:7], v6, v[0:1]
	s_delay_alu instid0(VALU_DEP_1)
	v_dual_sub_nc_u32 v7, 29, v8 :: v_dual_bitop2_b32 v6, 7, v6 bitop3:0x40
; %bb.1607:                             ;   in Loop: Header=BB287_15 Depth=1
	s_or_b32 exec_lo, exec_lo, s15
	s_delay_alu instid0(VALU_DEP_1) | instskip(NEXT) | instid1(VALU_DEP_2)
	v_dual_lshlrev_b32 v0, 8, v0 :: v_dual_lshlrev_b32 v6, 7, v6
	v_lshl_add_u32 v7, v7, 10, 0x2000
	s_delay_alu instid0(VALU_DEP_2) | instskip(NEXT) | instid1(VALU_DEP_2)
	v_and_b32_e32 v0, 0x8000, v0
	v_and_b32_e32 v7, 0xfc00, v7
	s_delay_alu instid0(VALU_DEP_1)
	v_or3_b32 v98, v0, v7, v6
.LBB287_1608:                           ;   in Loop: Header=BB287_15 Depth=1
	s_or_b32 exec_lo, exec_lo, s14
.LBB287_1609:                           ;   in Loop: Header=BB287_15 Depth=1
	s_delay_alu instid0(SALU_CYCLE_1)
	s_or_b32 exec_lo, exec_lo, s11
.LBB287_1610:                           ;   in Loop: Header=BB287_15 Depth=1
	s_delay_alu instid0(SALU_CYCLE_1)
	s_or_b32 exec_lo, exec_lo, s8
	v_dual_mov_b32 v88, 0 :: v_dual_mov_b32 v99, 0
	s_mov_b32 s8, exec_lo
	v_cmpx_lt_u64_e64 s[4:5], v[4:5]
	s_cbranch_execz .LBB287_1618
; %bb.1611:                             ;   in Loop: Header=BB287_15 Depth=1
	v_lshrrev_b32_e32 v24, 24, v5
	v_bfrev_b32_e32 v99, 1
	s_mov_b32 s11, exec_lo
	s_delay_alu instid0(VALU_DEP_2)
	v_cmpx_ne_u32_e32 0x80, v24
	s_cbranch_execz .LBB287_1617
; %bb.1612:                             ;   in Loop: Header=BB287_15 Depth=1
	v_and_b32_e32 v5, 0x7f, v24
	v_mov_b32_e32 v99, 0x7c010000
	s_mov_b32 s14, exec_lo
	s_delay_alu instid0(VALU_DEP_2)
	v_cmpx_ne_u32_e32 0x7f, v5
	s_cbranch_execz .LBB287_1616
; %bb.1613:                             ;   in Loop: Header=BB287_15 Depth=1
	v_dual_lshrrev_b32 v4, 3, v5 :: v_dual_bitop2_b32 v0, 7, v24 bitop3:0x40
	s_mov_b32 s15, exec_lo
	v_cmpx_gt_u32_e32 8, v5
; %bb.1614:                             ;   in Loop: Header=BB287_15 Depth=1
	s_delay_alu instid0(VALU_DEP_2) | instskip(NEXT) | instid1(VALU_DEP_1)
	v_clz_i32_u32_e32 v0, v0
	v_min_u32_e32 v0, 32, v0
	s_delay_alu instid0(VALU_DEP_1) | instskip(NEXT) | instid1(VALU_DEP_1)
	v_subrev_nc_u32_e32 v4, 28, v0
	v_lshlrev_b64_e32 v[6:7], v4, v[24:25]
	s_delay_alu instid0(VALU_DEP_1)
	v_dual_sub_nc_u32 v4, 29, v0 :: v_dual_bitop2_b32 v0, 7, v6 bitop3:0x40
; %bb.1615:                             ;   in Loop: Header=BB287_15 Depth=1
	s_or_b32 exec_lo, exec_lo, s15
	v_lshlrev_b32_e32 v5, 8, v24
	s_delay_alu instid0(VALU_DEP_2) | instskip(NEXT) | instid1(VALU_DEP_3)
	v_lshl_add_u32 v4, v4, 10, 0x2000
	v_lshlrev_b32_e32 v0, 23, v0
	s_delay_alu instid0(VALU_DEP_2) | instskip(NEXT) | instid1(VALU_DEP_1)
	v_and_or_b32 v4, 0x8000, v5, v4
	v_lshl_or_b32 v99, v4, 16, v0
.LBB287_1616:                           ;   in Loop: Header=BB287_15 Depth=1
	s_or_b32 exec_lo, exec_lo, s14
.LBB287_1617:                           ;   in Loop: Header=BB287_15 Depth=1
	s_delay_alu instid0(SALU_CYCLE_1)
	s_or_b32 exec_lo, exec_lo, s11
.LBB287_1618:                           ;   in Loop: Header=BB287_15 Depth=1
	s_delay_alu instid0(SALU_CYCLE_1)
	s_or_b32 exec_lo, exec_lo, s8
	flat_load_b64 v[4:5], v[2:3] offset:6152
	s_mov_b32 s8, exec_lo
	s_wait_loadcnt_dscnt 0x0
	v_and_b32_e32 v0, 0xff, v4
	s_wait_xcnt 0x0
	s_delay_alu instid0(VALU_DEP_1)
	v_cmpx_ne_u16_e32 0, v0
	s_cbranch_execz .LBB287_1626
; %bb.1619:                             ;   in Loop: Header=BB287_15 Depth=1
	v_mov_b32_e32 v88, 0x8000
	s_mov_b32 s11, exec_lo
	v_cmpx_ne_u16_e32 0x80, v0
	s_cbranch_execz .LBB287_1625
; %bb.1620:                             ;   in Loop: Header=BB287_15 Depth=1
	v_and_b32_e32 v7, 0x7f, v4
	v_mov_b32_e32 v88, 0x7c01
	s_mov_b32 s14, exec_lo
	s_delay_alu instid0(VALU_DEP_2)
	v_cmpx_ne_u32_e32 0x7f, v7
	s_cbranch_execz .LBB287_1624
; %bb.1621:                             ;   in Loop: Header=BB287_15 Depth=1
	v_dual_lshrrev_b32 v6, 3, v7 :: v_dual_bitop2_b32 v0, 7, v4 bitop3:0x40
	s_mov_b32 s15, exec_lo
	v_cmpx_gt_u32_e32 8, v7
; %bb.1622:                             ;   in Loop: Header=BB287_15 Depth=1
	s_delay_alu instid0(VALU_DEP_2) | instskip(NEXT) | instid1(VALU_DEP_1)
	v_clz_i32_u32_e32 v0, v0
	v_min_u32_e32 v0, 32, v0
	s_delay_alu instid0(VALU_DEP_1) | instskip(NEXT) | instid1(VALU_DEP_1)
	v_subrev_nc_u32_e32 v6, 28, v0
	v_lshlrev_b64_e32 v[8:9], v6, v[4:5]
	v_sub_nc_u32_e32 v6, 29, v0
	s_delay_alu instid0(VALU_DEP_2)
	v_and_b32_e32 v0, 7, v8
; %bb.1623:                             ;   in Loop: Header=BB287_15 Depth=1
	s_or_b32 exec_lo, exec_lo, s15
	v_lshlrev_b32_e32 v7, 8, v4
	s_delay_alu instid0(VALU_DEP_3) | instskip(NEXT) | instid1(VALU_DEP_3)
	v_lshl_add_u32 v6, v6, 10, 0x2000
	v_lshlrev_b32_e32 v0, 7, v0
	s_delay_alu instid0(VALU_DEP_3) | instskip(NEXT) | instid1(VALU_DEP_3)
	v_and_b32_e32 v7, 0x8000, v7
	v_and_b32_e32 v6, 0xfc00, v6
	s_delay_alu instid0(VALU_DEP_1)
	v_or3_b32 v88, v7, v6, v0
.LBB287_1624:                           ;   in Loop: Header=BB287_15 Depth=1
	s_or_b32 exec_lo, exec_lo, s14
.LBB287_1625:                           ;   in Loop: Header=BB287_15 Depth=1
	s_delay_alu instid0(SALU_CYCLE_1)
	s_or_b32 exec_lo, exec_lo, s11
.LBB287_1626:                           ;   in Loop: Header=BB287_15 Depth=1
	s_delay_alu instid0(SALU_CYCLE_1) | instskip(SKIP_3) | instid1(VALU_DEP_2)
	s_or_b32 exec_lo, exec_lo, s8
	v_lshrrev_b16 v24, 8, v4
	v_dual_mov_b32 v89, 0 :: v_dual_mov_b32 v106, 0
	s_mov_b32 s8, exec_lo
	v_cmpx_ne_u16_e32 0, v24
	s_cbranch_execz .LBB287_1634
; %bb.1627:                             ;   in Loop: Header=BB287_15 Depth=1
	v_bfrev_b32_e32 v106, 1
	s_mov_b32 s11, exec_lo
	v_cmpx_ne_u16_e32 0x80, v24
	s_cbranch_execz .LBB287_1633
; %bb.1628:                             ;   in Loop: Header=BB287_15 Depth=1
	v_and_b32_e32 v0, 0xffff, v24
	v_mov_b32_e32 v106, 0x7c010000
	s_mov_b32 s14, exec_lo
	s_delay_alu instid0(VALU_DEP_2) | instskip(NEXT) | instid1(VALU_DEP_1)
	v_and_b32_e32 v8, 0x7f, v0
	v_cmpx_ne_u32_e32 0x7f, v8
	s_cbranch_execz .LBB287_1632
; %bb.1629:                             ;   in Loop: Header=BB287_15 Depth=1
	v_and_b32_e32 v6, 7, v0
	v_lshrrev_b32_e32 v7, 3, v8
	s_mov_b32 s15, exec_lo
	v_cmpx_gt_u32_e32 8, v8
; %bb.1630:                             ;   in Loop: Header=BB287_15 Depth=1
	s_delay_alu instid0(VALU_DEP_3) | instskip(NEXT) | instid1(VALU_DEP_1)
	v_clz_i32_u32_e32 v6, v6
	v_min_u32_e32 v8, 32, v6
	s_delay_alu instid0(VALU_DEP_1) | instskip(NEXT) | instid1(VALU_DEP_1)
	v_subrev_nc_u32_e32 v6, 28, v8
	v_lshlrev_b64_e32 v[6:7], v6, v[24:25]
	s_delay_alu instid0(VALU_DEP_1)
	v_dual_sub_nc_u32 v7, 29, v8 :: v_dual_bitop2_b32 v6, 7, v6 bitop3:0x40
; %bb.1631:                             ;   in Loop: Header=BB287_15 Depth=1
	s_or_b32 exec_lo, exec_lo, s15
	s_delay_alu instid0(VALU_DEP_1) | instskip(NEXT) | instid1(VALU_DEP_2)
	v_dual_lshlrev_b32 v0, 8, v0 :: v_dual_lshlrev_b32 v6, 23, v6
	v_lshl_add_u32 v7, v7, 10, 0x2000
	s_delay_alu instid0(VALU_DEP_1) | instskip(NEXT) | instid1(VALU_DEP_1)
	v_and_or_b32 v0, 0x8000, v0, v7
	v_lshl_or_b32 v106, v0, 16, v6
.LBB287_1632:                           ;   in Loop: Header=BB287_15 Depth=1
	s_or_b32 exec_lo, exec_lo, s14
.LBB287_1633:                           ;   in Loop: Header=BB287_15 Depth=1
	s_delay_alu instid0(SALU_CYCLE_1)
	s_or_b32 exec_lo, exec_lo, s11
.LBB287_1634:                           ;   in Loop: Header=BB287_15 Depth=1
	s_delay_alu instid0(SALU_CYCLE_1) | instskip(SKIP_2) | instid1(VALU_DEP_1)
	s_or_b32 exec_lo, exec_lo, s8
	v_lshrrev_b32_e32 v0, 16, v4
	s_mov_b32 s8, exec_lo
	v_and_b32_e32 v6, 0xff, v0
	s_delay_alu instid0(VALU_DEP_1)
	v_cmpx_ne_u16_e32 0, v6
	s_cbranch_execz .LBB287_1642
; %bb.1635:                             ;   in Loop: Header=BB287_15 Depth=1
	v_mov_b32_e32 v89, 0x8000
	s_mov_b32 s11, exec_lo
	v_cmpx_ne_u16_e32 0x80, v6
	s_cbranch_execz .LBB287_1641
; %bb.1636:                             ;   in Loop: Header=BB287_15 Depth=1
	v_bfe_u32 v8, v4, 16, 7
	v_mov_b32_e32 v89, 0x7c01
	s_mov_b32 s14, exec_lo
	s_delay_alu instid0(VALU_DEP_2)
	v_cmpx_ne_u32_e32 0x7f, v8
	s_cbranch_execz .LBB287_1640
; %bb.1637:                             ;   in Loop: Header=BB287_15 Depth=1
	v_and_b32_e32 v6, 7, v0
	v_lshrrev_b32_e32 v7, 3, v8
	s_mov_b32 s15, exec_lo
	v_cmpx_gt_u32_e32 8, v8
; %bb.1638:                             ;   in Loop: Header=BB287_15 Depth=1
	s_delay_alu instid0(VALU_DEP_3) | instskip(NEXT) | instid1(VALU_DEP_1)
	v_clz_i32_u32_e32 v6, v6
	v_min_u32_e32 v8, 32, v6
	s_delay_alu instid0(VALU_DEP_1) | instskip(NEXT) | instid1(VALU_DEP_1)
	v_subrev_nc_u32_e32 v6, 28, v8
	v_lshlrev_b64_e32 v[6:7], v6, v[0:1]
	s_delay_alu instid0(VALU_DEP_1)
	v_dual_sub_nc_u32 v7, 29, v8 :: v_dual_bitop2_b32 v6, 7, v6 bitop3:0x40
; %bb.1639:                             ;   in Loop: Header=BB287_15 Depth=1
	s_or_b32 exec_lo, exec_lo, s15
	s_delay_alu instid0(VALU_DEP_1) | instskip(NEXT) | instid1(VALU_DEP_2)
	v_dual_lshlrev_b32 v0, 8, v0 :: v_dual_lshlrev_b32 v6, 7, v6
	v_lshl_add_u32 v7, v7, 10, 0x2000
	s_delay_alu instid0(VALU_DEP_2) | instskip(NEXT) | instid1(VALU_DEP_2)
	v_and_b32_e32 v0, 0x8000, v0
	v_and_b32_e32 v7, 0xfc00, v7
	s_delay_alu instid0(VALU_DEP_1)
	v_or3_b32 v89, v0, v7, v6
.LBB287_1640:                           ;   in Loop: Header=BB287_15 Depth=1
	s_or_b32 exec_lo, exec_lo, s14
.LBB287_1641:                           ;   in Loop: Header=BB287_15 Depth=1
	s_delay_alu instid0(SALU_CYCLE_1)
	s_or_b32 exec_lo, exec_lo, s11
.LBB287_1642:                           ;   in Loop: Header=BB287_15 Depth=1
	s_delay_alu instid0(SALU_CYCLE_1)
	s_or_b32 exec_lo, exec_lo, s8
	v_dual_mov_b32 v41, 0 :: v_dual_mov_b32 v122, 0
	s_mov_b32 s8, exec_lo
	v_cmpx_lt_u32_e32 0xffffff, v4
	s_cbranch_execz .LBB287_1650
; %bb.1643:                             ;   in Loop: Header=BB287_15 Depth=1
	v_lshrrev_b32_e32 v24, 24, v4
	v_bfrev_b32_e32 v122, 1
	s_mov_b32 s11, exec_lo
	s_delay_alu instid0(VALU_DEP_2)
	v_cmpx_ne_u32_e32 0x80, v24
	s_cbranch_execz .LBB287_1649
; %bb.1644:                             ;   in Loop: Header=BB287_15 Depth=1
	v_and_b32_e32 v7, 0x7f, v24
	v_mov_b32_e32 v122, 0x7c010000
	s_mov_b32 s14, exec_lo
	s_delay_alu instid0(VALU_DEP_2)
	v_cmpx_ne_u32_e32 0x7f, v7
	s_cbranch_execz .LBB287_1648
; %bb.1645:                             ;   in Loop: Header=BB287_15 Depth=1
	v_dual_lshrrev_b32 v6, 3, v7 :: v_dual_bitop2_b32 v0, 7, v24 bitop3:0x40
	s_mov_b32 s15, exec_lo
	v_cmpx_gt_u32_e32 8, v7
; %bb.1646:                             ;   in Loop: Header=BB287_15 Depth=1
	s_delay_alu instid0(VALU_DEP_2) | instskip(NEXT) | instid1(VALU_DEP_1)
	v_clz_i32_u32_e32 v0, v0
	v_min_u32_e32 v0, 32, v0
	s_delay_alu instid0(VALU_DEP_1) | instskip(NEXT) | instid1(VALU_DEP_1)
	v_subrev_nc_u32_e32 v6, 28, v0
	v_lshlrev_b64_e32 v[8:9], v6, v[24:25]
	v_sub_nc_u32_e32 v6, 29, v0
	s_delay_alu instid0(VALU_DEP_2)
	v_and_b32_e32 v0, 7, v8
; %bb.1647:                             ;   in Loop: Header=BB287_15 Depth=1
	s_or_b32 exec_lo, exec_lo, s15
	v_lshlrev_b32_e32 v7, 8, v24
	s_delay_alu instid0(VALU_DEP_3) | instskip(NEXT) | instid1(VALU_DEP_3)
	v_lshl_add_u32 v6, v6, 10, 0x2000
	v_lshlrev_b32_e32 v0, 23, v0
	s_delay_alu instid0(VALU_DEP_2) | instskip(NEXT) | instid1(VALU_DEP_1)
	v_and_or_b32 v6, 0x8000, v7, v6
	v_lshl_or_b32 v122, v6, 16, v0
.LBB287_1648:                           ;   in Loop: Header=BB287_15 Depth=1
	s_or_b32 exec_lo, exec_lo, s14
.LBB287_1649:                           ;   in Loop: Header=BB287_15 Depth=1
	s_delay_alu instid0(SALU_CYCLE_1)
	s_or_b32 exec_lo, exec_lo, s11
.LBB287_1650:                           ;   in Loop: Header=BB287_15 Depth=1
	s_delay_alu instid0(SALU_CYCLE_1) | instskip(SKIP_3) | instid1(VALU_DEP_2)
	s_or_b32 exec_lo, exec_lo, s8
	v_and_b32_e32 v0, 0xff, v5
	v_mov_b32_e32 v24, v5
	s_mov_b32 s8, exec_lo
	v_cmpx_ne_u16_e32 0, v0
	s_cbranch_execz .LBB287_1658
; %bb.1651:                             ;   in Loop: Header=BB287_15 Depth=1
	v_mov_b32_e32 v41, 0x8000
	s_mov_b32 s11, exec_lo
	v_cmpx_ne_u16_e32 0x80, v0
	s_cbranch_execz .LBB287_1657
; %bb.1652:                             ;   in Loop: Header=BB287_15 Depth=1
	v_and_b32_e32 v7, 0x7f, v5
	v_mov_b32_e32 v41, 0x7c01
	s_mov_b32 s14, exec_lo
	s_delay_alu instid0(VALU_DEP_2)
	v_cmpx_ne_u32_e32 0x7f, v7
	s_cbranch_execz .LBB287_1656
; %bb.1653:                             ;   in Loop: Header=BB287_15 Depth=1
	v_dual_lshrrev_b32 v6, 3, v7 :: v_dual_bitop2_b32 v0, 7, v5 bitop3:0x40
	s_mov_b32 s15, exec_lo
	v_cmpx_gt_u32_e32 8, v7
; %bb.1654:                             ;   in Loop: Header=BB287_15 Depth=1
	s_delay_alu instid0(VALU_DEP_2) | instskip(NEXT) | instid1(VALU_DEP_1)
	v_clz_i32_u32_e32 v0, v0
	v_min_u32_e32 v0, 32, v0
	s_delay_alu instid0(VALU_DEP_1) | instskip(NEXT) | instid1(VALU_DEP_1)
	v_subrev_nc_u32_e32 v6, 28, v0
	v_lshlrev_b64_e32 v[8:9], v6, v[24:25]
	v_sub_nc_u32_e32 v6, 29, v0
	s_delay_alu instid0(VALU_DEP_2)
	v_and_b32_e32 v0, 7, v8
; %bb.1655:                             ;   in Loop: Header=BB287_15 Depth=1
	s_or_b32 exec_lo, exec_lo, s15
	s_delay_alu instid0(VALU_DEP_1) | instskip(NEXT) | instid1(VALU_DEP_3)
	v_dual_lshlrev_b32 v7, 8, v5 :: v_dual_lshlrev_b32 v0, 7, v0
	v_lshl_add_u32 v6, v6, 10, 0x2000
	s_delay_alu instid0(VALU_DEP_2) | instskip(NEXT) | instid1(VALU_DEP_2)
	v_and_b32_e32 v7, 0x8000, v7
	v_and_b32_e32 v6, 0xfc00, v6
	s_delay_alu instid0(VALU_DEP_1)
	v_or3_b32 v41, v7, v6, v0
.LBB287_1656:                           ;   in Loop: Header=BB287_15 Depth=1
	s_or_b32 exec_lo, exec_lo, s14
.LBB287_1657:                           ;   in Loop: Header=BB287_15 Depth=1
	s_delay_alu instid0(SALU_CYCLE_1)
	s_or_b32 exec_lo, exec_lo, s11
.LBB287_1658:                           ;   in Loop: Header=BB287_15 Depth=1
	s_delay_alu instid0(SALU_CYCLE_1)
	s_or_b32 exec_lo, exec_lo, s8
	v_lshrrev_b16 v24, 8, v24
	v_dual_mov_b32 v0, 0 :: v_dual_mov_b32 v105, 0
	s_mov_b32 s8, exec_lo
	scratch_store_b32 off, v0, s32 offset:776 ; 4-byte Folded Spill
	s_wait_xcnt 0x0
	v_cmpx_ne_u16_e32 0, v24
	s_cbranch_execz .LBB287_1666
; %bb.1659:                             ;   in Loop: Header=BB287_15 Depth=1
	v_bfrev_b32_e32 v105, 1
	s_mov_b32 s11, exec_lo
	v_cmpx_ne_u16_e32 0x80, v24
	s_cbranch_execz .LBB287_1665
; %bb.1660:                             ;   in Loop: Header=BB287_15 Depth=1
	v_and_b32_e32 v0, 0xffff, v24
	v_mov_b32_e32 v105, 0x7c010000
	s_mov_b32 s14, exec_lo
	s_delay_alu instid0(VALU_DEP_2) | instskip(NEXT) | instid1(VALU_DEP_1)
	v_and_b32_e32 v8, 0x7f, v0
	v_cmpx_ne_u32_e32 0x7f, v8
	s_cbranch_execz .LBB287_1664
; %bb.1661:                             ;   in Loop: Header=BB287_15 Depth=1
	v_and_b32_e32 v6, 7, v0
	v_lshrrev_b32_e32 v7, 3, v8
	s_mov_b32 s15, exec_lo
	v_cmpx_gt_u32_e32 8, v8
; %bb.1662:                             ;   in Loop: Header=BB287_15 Depth=1
	s_delay_alu instid0(VALU_DEP_3) | instskip(NEXT) | instid1(VALU_DEP_1)
	v_clz_i32_u32_e32 v6, v6
	v_min_u32_e32 v8, 32, v6
	s_delay_alu instid0(VALU_DEP_1) | instskip(NEXT) | instid1(VALU_DEP_1)
	v_subrev_nc_u32_e32 v6, 28, v8
	v_lshlrev_b64_e32 v[6:7], v6, v[24:25]
	s_delay_alu instid0(VALU_DEP_1)
	v_dual_sub_nc_u32 v7, 29, v8 :: v_dual_bitop2_b32 v6, 7, v6 bitop3:0x40
; %bb.1663:                             ;   in Loop: Header=BB287_15 Depth=1
	s_or_b32 exec_lo, exec_lo, s15
	s_delay_alu instid0(VALU_DEP_1) | instskip(NEXT) | instid1(VALU_DEP_2)
	v_dual_lshlrev_b32 v0, 8, v0 :: v_dual_lshlrev_b32 v6, 23, v6
	v_lshl_add_u32 v7, v7, 10, 0x2000
	s_delay_alu instid0(VALU_DEP_1) | instskip(NEXT) | instid1(VALU_DEP_1)
	v_and_or_b32 v0, 0x8000, v0, v7
	v_lshl_or_b32 v105, v0, 16, v6
.LBB287_1664:                           ;   in Loop: Header=BB287_15 Depth=1
	s_or_b32 exec_lo, exec_lo, s14
.LBB287_1665:                           ;   in Loop: Header=BB287_15 Depth=1
	s_delay_alu instid0(SALU_CYCLE_1)
	s_or_b32 exec_lo, exec_lo, s11
.LBB287_1666:                           ;   in Loop: Header=BB287_15 Depth=1
	s_delay_alu instid0(SALU_CYCLE_1) | instskip(SKIP_2) | instid1(VALU_DEP_1)
	s_or_b32 exec_lo, exec_lo, s8
	v_lshrrev_b32_e32 v0, 16, v5
	s_mov_b32 s8, exec_lo
	v_and_b32_e32 v6, 0xff, v0
	s_delay_alu instid0(VALU_DEP_1)
	v_cmpx_ne_u16_e32 0, v6
	s_cbranch_execz .LBB287_1674
; %bb.1667:                             ;   in Loop: Header=BB287_15 Depth=1
	v_cmp_ne_u16_e64 s1, 0x80, v6
	v_mov_b32_e32 v6, 0x8000
	scratch_store_b32 off, v6, s32 offset:776 ; 4-byte Folded Spill
	s_wait_xcnt 0x0
	s_and_saveexec_b32 s11, s1
	s_cbranch_execz .LBB287_1673
; %bb.1668:                             ;   in Loop: Header=BB287_15 Depth=1
	v_bfe_u32 v8, v5, 16, 7
	v_mov_b32_e32 v6, 0x7c01
	s_mov_b32 s14, exec_lo
	scratch_store_b32 off, v6, s32 offset:776 ; 4-byte Folded Spill
	s_wait_xcnt 0x0
	v_cmpx_ne_u32_e32 0x7f, v8
	s_cbranch_execz .LBB287_1672
; %bb.1669:                             ;   in Loop: Header=BB287_15 Depth=1
	v_and_b32_e32 v6, 7, v0
	v_lshrrev_b32_e32 v7, 3, v8
	s_mov_b32 s15, exec_lo
	v_cmpx_gt_u32_e32 8, v8
; %bb.1670:                             ;   in Loop: Header=BB287_15 Depth=1
	s_delay_alu instid0(VALU_DEP_3) | instskip(NEXT) | instid1(VALU_DEP_1)
	v_clz_i32_u32_e32 v6, v6
	v_min_u32_e32 v8, 32, v6
	s_delay_alu instid0(VALU_DEP_1) | instskip(NEXT) | instid1(VALU_DEP_1)
	v_subrev_nc_u32_e32 v6, 28, v8
	v_lshlrev_b64_e32 v[6:7], v6, v[0:1]
	s_delay_alu instid0(VALU_DEP_1)
	v_dual_sub_nc_u32 v7, 29, v8 :: v_dual_bitop2_b32 v6, 7, v6 bitop3:0x40
; %bb.1671:                             ;   in Loop: Header=BB287_15 Depth=1
	s_or_b32 exec_lo, exec_lo, s15
	s_delay_alu instid0(VALU_DEP_1) | instskip(NEXT) | instid1(VALU_DEP_2)
	v_dual_lshlrev_b32 v0, 8, v0 :: v_dual_lshlrev_b32 v6, 7, v6
	v_lshl_add_u32 v7, v7, 10, 0x2000
	s_delay_alu instid0(VALU_DEP_2) | instskip(NEXT) | instid1(VALU_DEP_2)
	v_and_b32_e32 v0, 0x8000, v0
	v_and_b32_e32 v7, 0xfc00, v7
	s_delay_alu instid0(VALU_DEP_1)
	v_or3_b32 v0, v0, v7, v6
	scratch_store_b32 off, v0, s32 offset:776 ; 4-byte Folded Spill
.LBB287_1672:                           ;   in Loop: Header=BB287_15 Depth=1
	s_wait_xcnt 0x0
	s_or_b32 exec_lo, exec_lo, s14
.LBB287_1673:                           ;   in Loop: Header=BB287_15 Depth=1
	s_delay_alu instid0(SALU_CYCLE_1)
	s_or_b32 exec_lo, exec_lo, s11
.LBB287_1674:                           ;   in Loop: Header=BB287_15 Depth=1
	s_delay_alu instid0(SALU_CYCLE_1)
	s_or_b32 exec_lo, exec_lo, s8
	v_dual_mov_b32 v75, 0 :: v_dual_mov_b32 v94, 0
	s_mov_b32 s8, exec_lo
	v_cmpx_lt_u64_e64 s[4:5], v[4:5]
	s_cbranch_execz .LBB287_1682
; %bb.1675:                             ;   in Loop: Header=BB287_15 Depth=1
	v_lshrrev_b32_e32 v24, 24, v5
	v_bfrev_b32_e32 v94, 1
	s_mov_b32 s11, exec_lo
	s_delay_alu instid0(VALU_DEP_2)
	v_cmpx_ne_u32_e32 0x80, v24
	s_cbranch_execz .LBB287_1681
; %bb.1676:                             ;   in Loop: Header=BB287_15 Depth=1
	v_and_b32_e32 v5, 0x7f, v24
	v_mov_b32_e32 v94, 0x7c010000
	s_mov_b32 s14, exec_lo
	s_delay_alu instid0(VALU_DEP_2)
	v_cmpx_ne_u32_e32 0x7f, v5
	s_cbranch_execz .LBB287_1680
; %bb.1677:                             ;   in Loop: Header=BB287_15 Depth=1
	v_dual_lshrrev_b32 v4, 3, v5 :: v_dual_bitop2_b32 v0, 7, v24 bitop3:0x40
	s_mov_b32 s15, exec_lo
	v_cmpx_gt_u32_e32 8, v5
; %bb.1678:                             ;   in Loop: Header=BB287_15 Depth=1
	s_delay_alu instid0(VALU_DEP_2) | instskip(NEXT) | instid1(VALU_DEP_1)
	v_clz_i32_u32_e32 v0, v0
	v_min_u32_e32 v0, 32, v0
	s_delay_alu instid0(VALU_DEP_1) | instskip(NEXT) | instid1(VALU_DEP_1)
	v_subrev_nc_u32_e32 v4, 28, v0
	v_lshlrev_b64_e32 v[6:7], v4, v[24:25]
	s_delay_alu instid0(VALU_DEP_1)
	v_dual_sub_nc_u32 v4, 29, v0 :: v_dual_bitop2_b32 v0, 7, v6 bitop3:0x40
; %bb.1679:                             ;   in Loop: Header=BB287_15 Depth=1
	s_or_b32 exec_lo, exec_lo, s15
	v_lshlrev_b32_e32 v5, 8, v24
	s_delay_alu instid0(VALU_DEP_2) | instskip(NEXT) | instid1(VALU_DEP_3)
	v_lshl_add_u32 v4, v4, 10, 0x2000
	v_lshlrev_b32_e32 v0, 23, v0
	s_delay_alu instid0(VALU_DEP_2) | instskip(NEXT) | instid1(VALU_DEP_1)
	v_and_or_b32 v4, 0x8000, v5, v4
	v_lshl_or_b32 v94, v4, 16, v0
.LBB287_1680:                           ;   in Loop: Header=BB287_15 Depth=1
	s_or_b32 exec_lo, exec_lo, s14
.LBB287_1681:                           ;   in Loop: Header=BB287_15 Depth=1
	s_delay_alu instid0(SALU_CYCLE_1)
	s_or_b32 exec_lo, exec_lo, s11
.LBB287_1682:                           ;   in Loop: Header=BB287_15 Depth=1
	s_delay_alu instid0(SALU_CYCLE_1)
	s_or_b32 exec_lo, exec_lo, s8
	flat_load_b64 v[4:5], v[2:3] offset:6656
	s_mov_b32 s8, exec_lo
	s_wait_loadcnt_dscnt 0x0
	v_and_b32_e32 v0, 0xff, v4
	s_wait_xcnt 0x0
	s_delay_alu instid0(VALU_DEP_1)
	v_cmpx_ne_u16_e32 0, v0
	s_cbranch_execz .LBB287_1690
; %bb.1683:                             ;   in Loop: Header=BB287_15 Depth=1
	v_mov_b32_e32 v75, 0x8000
	s_mov_b32 s11, exec_lo
	v_cmpx_ne_u16_e32 0x80, v0
	s_cbranch_execz .LBB287_1689
; %bb.1684:                             ;   in Loop: Header=BB287_15 Depth=1
	v_and_b32_e32 v7, 0x7f, v4
	v_mov_b32_e32 v75, 0x7c01
	s_mov_b32 s14, exec_lo
	s_delay_alu instid0(VALU_DEP_2)
	v_cmpx_ne_u32_e32 0x7f, v7
	s_cbranch_execz .LBB287_1688
; %bb.1685:                             ;   in Loop: Header=BB287_15 Depth=1
	v_dual_lshrrev_b32 v6, 3, v7 :: v_dual_bitop2_b32 v0, 7, v4 bitop3:0x40
	s_mov_b32 s15, exec_lo
	v_cmpx_gt_u32_e32 8, v7
; %bb.1686:                             ;   in Loop: Header=BB287_15 Depth=1
	s_delay_alu instid0(VALU_DEP_2) | instskip(NEXT) | instid1(VALU_DEP_1)
	v_clz_i32_u32_e32 v0, v0
	v_min_u32_e32 v0, 32, v0
	s_delay_alu instid0(VALU_DEP_1) | instskip(NEXT) | instid1(VALU_DEP_1)
	v_subrev_nc_u32_e32 v6, 28, v0
	v_lshlrev_b64_e32 v[8:9], v6, v[4:5]
	v_sub_nc_u32_e32 v6, 29, v0
	s_delay_alu instid0(VALU_DEP_2)
	v_and_b32_e32 v0, 7, v8
; %bb.1687:                             ;   in Loop: Header=BB287_15 Depth=1
	s_or_b32 exec_lo, exec_lo, s15
	v_lshlrev_b32_e32 v7, 8, v4
	s_delay_alu instid0(VALU_DEP_3) | instskip(NEXT) | instid1(VALU_DEP_3)
	v_lshl_add_u32 v6, v6, 10, 0x2000
	v_lshlrev_b32_e32 v0, 7, v0
	s_delay_alu instid0(VALU_DEP_3) | instskip(NEXT) | instid1(VALU_DEP_3)
	v_and_b32_e32 v7, 0x8000, v7
	v_and_b32_e32 v6, 0xfc00, v6
	s_delay_alu instid0(VALU_DEP_1)
	v_or3_b32 v75, v7, v6, v0
.LBB287_1688:                           ;   in Loop: Header=BB287_15 Depth=1
	s_or_b32 exec_lo, exec_lo, s14
.LBB287_1689:                           ;   in Loop: Header=BB287_15 Depth=1
	s_delay_alu instid0(SALU_CYCLE_1)
	s_or_b32 exec_lo, exec_lo, s11
.LBB287_1690:                           ;   in Loop: Header=BB287_15 Depth=1
	s_delay_alu instid0(SALU_CYCLE_1) | instskip(SKIP_3) | instid1(VALU_DEP_2)
	s_or_b32 exec_lo, exec_lo, s8
	v_lshrrev_b16 v24, 8, v4
	v_dual_mov_b32 v59, 0 :: v_dual_mov_b32 v77, 0
	s_mov_b32 s8, exec_lo
	v_cmpx_ne_u16_e32 0, v24
	s_cbranch_execz .LBB287_1698
; %bb.1691:                             ;   in Loop: Header=BB287_15 Depth=1
	v_bfrev_b32_e32 v77, 1
	s_mov_b32 s11, exec_lo
	v_cmpx_ne_u16_e32 0x80, v24
	s_cbranch_execz .LBB287_1697
; %bb.1692:                             ;   in Loop: Header=BB287_15 Depth=1
	v_and_b32_e32 v0, 0xffff, v24
	v_mov_b32_e32 v77, 0x7c010000
	s_mov_b32 s14, exec_lo
	s_delay_alu instid0(VALU_DEP_2) | instskip(NEXT) | instid1(VALU_DEP_1)
	v_and_b32_e32 v8, 0x7f, v0
	v_cmpx_ne_u32_e32 0x7f, v8
	s_cbranch_execz .LBB287_1696
; %bb.1693:                             ;   in Loop: Header=BB287_15 Depth=1
	v_and_b32_e32 v6, 7, v0
	v_lshrrev_b32_e32 v7, 3, v8
	s_mov_b32 s15, exec_lo
	v_cmpx_gt_u32_e32 8, v8
; %bb.1694:                             ;   in Loop: Header=BB287_15 Depth=1
	s_delay_alu instid0(VALU_DEP_3) | instskip(NEXT) | instid1(VALU_DEP_1)
	v_clz_i32_u32_e32 v6, v6
	v_min_u32_e32 v8, 32, v6
	s_delay_alu instid0(VALU_DEP_1) | instskip(NEXT) | instid1(VALU_DEP_1)
	v_subrev_nc_u32_e32 v6, 28, v8
	v_lshlrev_b64_e32 v[6:7], v6, v[24:25]
	s_delay_alu instid0(VALU_DEP_1)
	v_dual_sub_nc_u32 v7, 29, v8 :: v_dual_bitop2_b32 v6, 7, v6 bitop3:0x40
; %bb.1695:                             ;   in Loop: Header=BB287_15 Depth=1
	s_or_b32 exec_lo, exec_lo, s15
	s_delay_alu instid0(VALU_DEP_1) | instskip(NEXT) | instid1(VALU_DEP_2)
	v_dual_lshlrev_b32 v0, 8, v0 :: v_dual_lshlrev_b32 v6, 23, v6
	v_lshl_add_u32 v7, v7, 10, 0x2000
	s_delay_alu instid0(VALU_DEP_1) | instskip(NEXT) | instid1(VALU_DEP_1)
	v_and_or_b32 v0, 0x8000, v0, v7
	v_lshl_or_b32 v77, v0, 16, v6
.LBB287_1696:                           ;   in Loop: Header=BB287_15 Depth=1
	s_or_b32 exec_lo, exec_lo, s14
.LBB287_1697:                           ;   in Loop: Header=BB287_15 Depth=1
	s_delay_alu instid0(SALU_CYCLE_1)
	s_or_b32 exec_lo, exec_lo, s11
.LBB287_1698:                           ;   in Loop: Header=BB287_15 Depth=1
	s_delay_alu instid0(SALU_CYCLE_1) | instskip(SKIP_2) | instid1(VALU_DEP_1)
	s_or_b32 exec_lo, exec_lo, s8
	v_lshrrev_b32_e32 v0, 16, v4
	s_mov_b32 s8, exec_lo
	v_and_b32_e32 v6, 0xff, v0
	s_delay_alu instid0(VALU_DEP_1)
	v_cmpx_ne_u16_e32 0, v6
	s_cbranch_execz .LBB287_1706
; %bb.1699:                             ;   in Loop: Header=BB287_15 Depth=1
	v_mov_b32_e32 v59, 0x8000
	s_mov_b32 s11, exec_lo
	v_cmpx_ne_u16_e32 0x80, v6
	s_cbranch_execz .LBB287_1705
; %bb.1700:                             ;   in Loop: Header=BB287_15 Depth=1
	v_bfe_u32 v8, v4, 16, 7
	v_mov_b32_e32 v59, 0x7c01
	s_mov_b32 s14, exec_lo
	s_delay_alu instid0(VALU_DEP_2)
	v_cmpx_ne_u32_e32 0x7f, v8
	s_cbranch_execz .LBB287_1704
; %bb.1701:                             ;   in Loop: Header=BB287_15 Depth=1
	v_and_b32_e32 v6, 7, v0
	v_lshrrev_b32_e32 v7, 3, v8
	s_mov_b32 s15, exec_lo
	v_cmpx_gt_u32_e32 8, v8
; %bb.1702:                             ;   in Loop: Header=BB287_15 Depth=1
	s_delay_alu instid0(VALU_DEP_3) | instskip(NEXT) | instid1(VALU_DEP_1)
	v_clz_i32_u32_e32 v6, v6
	v_min_u32_e32 v8, 32, v6
	s_delay_alu instid0(VALU_DEP_1) | instskip(NEXT) | instid1(VALU_DEP_1)
	v_subrev_nc_u32_e32 v6, 28, v8
	v_lshlrev_b64_e32 v[6:7], v6, v[0:1]
	s_delay_alu instid0(VALU_DEP_1)
	v_dual_sub_nc_u32 v7, 29, v8 :: v_dual_bitop2_b32 v6, 7, v6 bitop3:0x40
; %bb.1703:                             ;   in Loop: Header=BB287_15 Depth=1
	s_or_b32 exec_lo, exec_lo, s15
	s_delay_alu instid0(VALU_DEP_1) | instskip(NEXT) | instid1(VALU_DEP_2)
	v_dual_lshlrev_b32 v0, 8, v0 :: v_dual_lshlrev_b32 v6, 7, v6
	v_lshl_add_u32 v7, v7, 10, 0x2000
	s_delay_alu instid0(VALU_DEP_2) | instskip(NEXT) | instid1(VALU_DEP_2)
	v_and_b32_e32 v0, 0x8000, v0
	v_and_b32_e32 v7, 0xfc00, v7
	s_delay_alu instid0(VALU_DEP_1)
	v_or3_b32 v59, v0, v7, v6
.LBB287_1704:                           ;   in Loop: Header=BB287_15 Depth=1
	s_or_b32 exec_lo, exec_lo, s14
.LBB287_1705:                           ;   in Loop: Header=BB287_15 Depth=1
	s_delay_alu instid0(SALU_CYCLE_1)
	s_or_b32 exec_lo, exec_lo, s11
.LBB287_1706:                           ;   in Loop: Header=BB287_15 Depth=1
	s_delay_alu instid0(SALU_CYCLE_1)
	s_or_b32 exec_lo, exec_lo, s8
	v_dual_mov_b32 v61, 0 :: v_dual_mov_b32 v58, 0
	s_mov_b32 s8, exec_lo
	v_cmpx_lt_u32_e32 0xffffff, v4
	s_cbranch_execz .LBB287_1714
; %bb.1707:                             ;   in Loop: Header=BB287_15 Depth=1
	v_lshrrev_b32_e32 v24, 24, v4
	v_bfrev_b32_e32 v58, 1
	s_mov_b32 s11, exec_lo
	s_delay_alu instid0(VALU_DEP_2)
	v_cmpx_ne_u32_e32 0x80, v24
	s_cbranch_execz .LBB287_1713
; %bb.1708:                             ;   in Loop: Header=BB287_15 Depth=1
	v_and_b32_e32 v7, 0x7f, v24
	v_mov_b32_e32 v58, 0x7c010000
	s_mov_b32 s14, exec_lo
	s_delay_alu instid0(VALU_DEP_2)
	v_cmpx_ne_u32_e32 0x7f, v7
	s_cbranch_execz .LBB287_1712
; %bb.1709:                             ;   in Loop: Header=BB287_15 Depth=1
	v_dual_lshrrev_b32 v6, 3, v7 :: v_dual_bitop2_b32 v0, 7, v24 bitop3:0x40
	s_mov_b32 s15, exec_lo
	v_cmpx_gt_u32_e32 8, v7
; %bb.1710:                             ;   in Loop: Header=BB287_15 Depth=1
	s_delay_alu instid0(VALU_DEP_2) | instskip(NEXT) | instid1(VALU_DEP_1)
	v_clz_i32_u32_e32 v0, v0
	v_min_u32_e32 v0, 32, v0
	s_delay_alu instid0(VALU_DEP_1) | instskip(NEXT) | instid1(VALU_DEP_1)
	v_subrev_nc_u32_e32 v6, 28, v0
	v_lshlrev_b64_e32 v[8:9], v6, v[24:25]
	v_sub_nc_u32_e32 v6, 29, v0
	s_delay_alu instid0(VALU_DEP_2)
	v_and_b32_e32 v0, 7, v8
; %bb.1711:                             ;   in Loop: Header=BB287_15 Depth=1
	s_or_b32 exec_lo, exec_lo, s15
	v_lshlrev_b32_e32 v7, 8, v24
	s_delay_alu instid0(VALU_DEP_3) | instskip(NEXT) | instid1(VALU_DEP_3)
	v_lshl_add_u32 v6, v6, 10, 0x2000
	v_lshlrev_b32_e32 v0, 23, v0
	s_delay_alu instid0(VALU_DEP_2) | instskip(NEXT) | instid1(VALU_DEP_1)
	v_and_or_b32 v6, 0x8000, v7, v6
	v_lshl_or_b32 v58, v6, 16, v0
.LBB287_1712:                           ;   in Loop: Header=BB287_15 Depth=1
	s_or_b32 exec_lo, exec_lo, s14
.LBB287_1713:                           ;   in Loop: Header=BB287_15 Depth=1
	s_delay_alu instid0(SALU_CYCLE_1)
	s_or_b32 exec_lo, exec_lo, s11
.LBB287_1714:                           ;   in Loop: Header=BB287_15 Depth=1
	s_delay_alu instid0(SALU_CYCLE_1) | instskip(SKIP_3) | instid1(VALU_DEP_2)
	s_or_b32 exec_lo, exec_lo, s8
	v_and_b32_e32 v0, 0xff, v5
	v_mov_b32_e32 v24, v5
	s_mov_b32 s8, exec_lo
	v_cmpx_ne_u16_e32 0, v0
	s_cbranch_execz .LBB287_1722
; %bb.1715:                             ;   in Loop: Header=BB287_15 Depth=1
	v_mov_b32_e32 v61, 0x8000
	s_mov_b32 s11, exec_lo
	v_cmpx_ne_u16_e32 0x80, v0
	s_cbranch_execz .LBB287_1721
; %bb.1716:                             ;   in Loop: Header=BB287_15 Depth=1
	v_and_b32_e32 v7, 0x7f, v5
	v_mov_b32_e32 v61, 0x7c01
	s_mov_b32 s14, exec_lo
	s_delay_alu instid0(VALU_DEP_2)
	v_cmpx_ne_u32_e32 0x7f, v7
	s_cbranch_execz .LBB287_1720
; %bb.1717:                             ;   in Loop: Header=BB287_15 Depth=1
	v_dual_lshrrev_b32 v6, 3, v7 :: v_dual_bitop2_b32 v0, 7, v5 bitop3:0x40
	s_mov_b32 s15, exec_lo
	v_cmpx_gt_u32_e32 8, v7
; %bb.1718:                             ;   in Loop: Header=BB287_15 Depth=1
	s_delay_alu instid0(VALU_DEP_2) | instskip(NEXT) | instid1(VALU_DEP_1)
	v_clz_i32_u32_e32 v0, v0
	v_min_u32_e32 v0, 32, v0
	s_delay_alu instid0(VALU_DEP_1) | instskip(NEXT) | instid1(VALU_DEP_1)
	v_subrev_nc_u32_e32 v6, 28, v0
	v_lshlrev_b64_e32 v[8:9], v6, v[24:25]
	v_sub_nc_u32_e32 v6, 29, v0
	s_delay_alu instid0(VALU_DEP_2)
	v_and_b32_e32 v0, 7, v8
; %bb.1719:                             ;   in Loop: Header=BB287_15 Depth=1
	s_or_b32 exec_lo, exec_lo, s15
	s_delay_alu instid0(VALU_DEP_1) | instskip(NEXT) | instid1(VALU_DEP_3)
	v_dual_lshlrev_b32 v7, 8, v5 :: v_dual_lshlrev_b32 v0, 7, v0
	v_lshl_add_u32 v6, v6, 10, 0x2000
	s_delay_alu instid0(VALU_DEP_2) | instskip(NEXT) | instid1(VALU_DEP_2)
	v_and_b32_e32 v7, 0x8000, v7
	v_and_b32_e32 v6, 0xfc00, v6
	s_delay_alu instid0(VALU_DEP_1)
	v_or3_b32 v61, v7, v6, v0
.LBB287_1720:                           ;   in Loop: Header=BB287_15 Depth=1
	s_or_b32 exec_lo, exec_lo, s14
.LBB287_1721:                           ;   in Loop: Header=BB287_15 Depth=1
	s_delay_alu instid0(SALU_CYCLE_1)
	s_or_b32 exec_lo, exec_lo, s11
.LBB287_1722:                           ;   in Loop: Header=BB287_15 Depth=1
	s_delay_alu instid0(SALU_CYCLE_1)
	s_or_b32 exec_lo, exec_lo, s8
	v_lshrrev_b16 v24, 8, v24
	v_dual_mov_b32 v0, 0 :: v_dual_mov_b32 v123, 0
	s_mov_b32 s8, exec_lo
	scratch_store_b32 off, v0, s32 offset:780 ; 4-byte Folded Spill
	s_wait_xcnt 0x0
	v_cmpx_ne_u16_e32 0, v24
	s_cbranch_execz .LBB287_1730
; %bb.1723:                             ;   in Loop: Header=BB287_15 Depth=1
	v_bfrev_b32_e32 v123, 1
	s_mov_b32 s11, exec_lo
	v_cmpx_ne_u16_e32 0x80, v24
	s_cbranch_execz .LBB287_1729
; %bb.1724:                             ;   in Loop: Header=BB287_15 Depth=1
	v_and_b32_e32 v0, 0xffff, v24
	v_mov_b32_e32 v123, 0x7c010000
	s_mov_b32 s14, exec_lo
	s_delay_alu instid0(VALU_DEP_2) | instskip(NEXT) | instid1(VALU_DEP_1)
	v_and_b32_e32 v8, 0x7f, v0
	v_cmpx_ne_u32_e32 0x7f, v8
	s_cbranch_execz .LBB287_1728
; %bb.1725:                             ;   in Loop: Header=BB287_15 Depth=1
	v_and_b32_e32 v6, 7, v0
	v_lshrrev_b32_e32 v7, 3, v8
	s_mov_b32 s15, exec_lo
	v_cmpx_gt_u32_e32 8, v8
; %bb.1726:                             ;   in Loop: Header=BB287_15 Depth=1
	s_delay_alu instid0(VALU_DEP_3) | instskip(NEXT) | instid1(VALU_DEP_1)
	v_clz_i32_u32_e32 v6, v6
	v_min_u32_e32 v8, 32, v6
	s_delay_alu instid0(VALU_DEP_1) | instskip(NEXT) | instid1(VALU_DEP_1)
	v_subrev_nc_u32_e32 v6, 28, v8
	v_lshlrev_b64_e32 v[6:7], v6, v[24:25]
	s_delay_alu instid0(VALU_DEP_1)
	v_dual_sub_nc_u32 v7, 29, v8 :: v_dual_bitop2_b32 v6, 7, v6 bitop3:0x40
; %bb.1727:                             ;   in Loop: Header=BB287_15 Depth=1
	s_or_b32 exec_lo, exec_lo, s15
	s_delay_alu instid0(VALU_DEP_1) | instskip(NEXT) | instid1(VALU_DEP_2)
	v_dual_lshlrev_b32 v0, 8, v0 :: v_dual_lshlrev_b32 v6, 23, v6
	v_lshl_add_u32 v7, v7, 10, 0x2000
	s_delay_alu instid0(VALU_DEP_1) | instskip(NEXT) | instid1(VALU_DEP_1)
	v_and_or_b32 v0, 0x8000, v0, v7
	v_lshl_or_b32 v123, v0, 16, v6
.LBB287_1728:                           ;   in Loop: Header=BB287_15 Depth=1
	s_or_b32 exec_lo, exec_lo, s14
.LBB287_1729:                           ;   in Loop: Header=BB287_15 Depth=1
	s_delay_alu instid0(SALU_CYCLE_1)
	s_or_b32 exec_lo, exec_lo, s11
.LBB287_1730:                           ;   in Loop: Header=BB287_15 Depth=1
	s_delay_alu instid0(SALU_CYCLE_1) | instskip(SKIP_2) | instid1(VALU_DEP_1)
	s_or_b32 exec_lo, exec_lo, s8
	v_lshrrev_b32_e32 v0, 16, v5
	s_mov_b32 s8, exec_lo
	v_and_b32_e32 v6, 0xff, v0
	s_delay_alu instid0(VALU_DEP_1)
	v_cmpx_ne_u16_e32 0, v6
	s_cbranch_execz .LBB287_1738
; %bb.1731:                             ;   in Loop: Header=BB287_15 Depth=1
	v_cmp_ne_u16_e64 s1, 0x80, v6
	v_mov_b32_e32 v6, 0x8000
	scratch_store_b32 off, v6, s32 offset:780 ; 4-byte Folded Spill
	s_wait_xcnt 0x0
	s_and_saveexec_b32 s11, s1
	s_cbranch_execz .LBB287_1737
; %bb.1732:                             ;   in Loop: Header=BB287_15 Depth=1
	v_bfe_u32 v8, v5, 16, 7
	v_mov_b32_e32 v6, 0x7c01
	s_mov_b32 s14, exec_lo
	scratch_store_b32 off, v6, s32 offset:780 ; 4-byte Folded Spill
	s_wait_xcnt 0x0
	v_cmpx_ne_u32_e32 0x7f, v8
	s_cbranch_execz .LBB287_1736
; %bb.1733:                             ;   in Loop: Header=BB287_15 Depth=1
	v_and_b32_e32 v6, 7, v0
	v_lshrrev_b32_e32 v7, 3, v8
	s_mov_b32 s15, exec_lo
	v_cmpx_gt_u32_e32 8, v8
; %bb.1734:                             ;   in Loop: Header=BB287_15 Depth=1
	s_delay_alu instid0(VALU_DEP_3) | instskip(NEXT) | instid1(VALU_DEP_1)
	v_clz_i32_u32_e32 v6, v6
	v_min_u32_e32 v8, 32, v6
	s_delay_alu instid0(VALU_DEP_1) | instskip(NEXT) | instid1(VALU_DEP_1)
	v_subrev_nc_u32_e32 v6, 28, v8
	v_lshlrev_b64_e32 v[6:7], v6, v[0:1]
	s_delay_alu instid0(VALU_DEP_1)
	v_dual_sub_nc_u32 v7, 29, v8 :: v_dual_bitop2_b32 v6, 7, v6 bitop3:0x40
; %bb.1735:                             ;   in Loop: Header=BB287_15 Depth=1
	s_or_b32 exec_lo, exec_lo, s15
	s_delay_alu instid0(VALU_DEP_1) | instskip(NEXT) | instid1(VALU_DEP_2)
	v_dual_lshlrev_b32 v0, 8, v0 :: v_dual_lshlrev_b32 v6, 7, v6
	v_lshl_add_u32 v7, v7, 10, 0x2000
	s_delay_alu instid0(VALU_DEP_2) | instskip(NEXT) | instid1(VALU_DEP_2)
	v_and_b32_e32 v0, 0x8000, v0
	v_and_b32_e32 v7, 0xfc00, v7
	s_delay_alu instid0(VALU_DEP_1)
	v_or3_b32 v0, v0, v7, v6
	scratch_store_b32 off, v0, s32 offset:780 ; 4-byte Folded Spill
.LBB287_1736:                           ;   in Loop: Header=BB287_15 Depth=1
	s_wait_xcnt 0x0
	s_or_b32 exec_lo, exec_lo, s14
.LBB287_1737:                           ;   in Loop: Header=BB287_15 Depth=1
	s_delay_alu instid0(SALU_CYCLE_1)
	s_or_b32 exec_lo, exec_lo, s11
.LBB287_1738:                           ;   in Loop: Header=BB287_15 Depth=1
	s_delay_alu instid0(SALU_CYCLE_1)
	s_or_b32 exec_lo, exec_lo, s8
	v_dual_mov_b32 v0, 0 :: v_dual_mov_b32 v111, 0
	s_mov_b32 s8, exec_lo
	scratch_store_b32 off, v0, s32 offset:784 ; 4-byte Folded Spill
	s_wait_xcnt 0x0
	v_cmpx_lt_u64_e64 s[4:5], v[4:5]
	s_cbranch_execz .LBB287_1746
; %bb.1739:                             ;   in Loop: Header=BB287_15 Depth=1
	v_lshrrev_b32_e32 v24, 24, v5
	v_bfrev_b32_e32 v111, 1
	s_mov_b32 s11, exec_lo
	s_delay_alu instid0(VALU_DEP_2)
	v_cmpx_ne_u32_e32 0x80, v24
	s_cbranch_execz .LBB287_1745
; %bb.1740:                             ;   in Loop: Header=BB287_15 Depth=1
	v_and_b32_e32 v5, 0x7f, v24
	v_mov_b32_e32 v111, 0x7c010000
	s_mov_b32 s14, exec_lo
	s_delay_alu instid0(VALU_DEP_2)
	v_cmpx_ne_u32_e32 0x7f, v5
	s_cbranch_execz .LBB287_1744
; %bb.1741:                             ;   in Loop: Header=BB287_15 Depth=1
	v_dual_lshrrev_b32 v4, 3, v5 :: v_dual_bitop2_b32 v0, 7, v24 bitop3:0x40
	s_mov_b32 s15, exec_lo
	v_cmpx_gt_u32_e32 8, v5
; %bb.1742:                             ;   in Loop: Header=BB287_15 Depth=1
	s_delay_alu instid0(VALU_DEP_2) | instskip(NEXT) | instid1(VALU_DEP_1)
	v_clz_i32_u32_e32 v0, v0
	v_min_u32_e32 v0, 32, v0
	s_delay_alu instid0(VALU_DEP_1) | instskip(NEXT) | instid1(VALU_DEP_1)
	v_subrev_nc_u32_e32 v4, 28, v0
	v_lshlrev_b64_e32 v[6:7], v4, v[24:25]
	s_delay_alu instid0(VALU_DEP_1)
	v_dual_sub_nc_u32 v4, 29, v0 :: v_dual_bitop2_b32 v0, 7, v6 bitop3:0x40
; %bb.1743:                             ;   in Loop: Header=BB287_15 Depth=1
	s_or_b32 exec_lo, exec_lo, s15
	v_lshlrev_b32_e32 v5, 8, v24
	s_delay_alu instid0(VALU_DEP_2) | instskip(NEXT) | instid1(VALU_DEP_3)
	v_lshl_add_u32 v4, v4, 10, 0x2000
	v_lshlrev_b32_e32 v0, 23, v0
	s_delay_alu instid0(VALU_DEP_2) | instskip(NEXT) | instid1(VALU_DEP_1)
	v_and_or_b32 v4, 0x8000, v5, v4
	v_lshl_or_b32 v111, v4, 16, v0
.LBB287_1744:                           ;   in Loop: Header=BB287_15 Depth=1
	s_or_b32 exec_lo, exec_lo, s14
.LBB287_1745:                           ;   in Loop: Header=BB287_15 Depth=1
	s_delay_alu instid0(SALU_CYCLE_1)
	s_or_b32 exec_lo, exec_lo, s11
.LBB287_1746:                           ;   in Loop: Header=BB287_15 Depth=1
	s_delay_alu instid0(SALU_CYCLE_1)
	s_or_b32 exec_lo, exec_lo, s8
	flat_load_b64 v[4:5], v[2:3] offset:6664
	s_mov_b32 s8, exec_lo
	s_wait_loadcnt_dscnt 0x0
	v_and_b32_e32 v0, 0xff, v4
	s_wait_xcnt 0x0
	s_delay_alu instid0(VALU_DEP_1)
	v_cmpx_ne_u16_e32 0, v0
	s_cbranch_execz .LBB287_1754
; %bb.1747:                             ;   in Loop: Header=BB287_15 Depth=1
	v_cmp_ne_u16_e64 s1, 0x80, v0
	v_mov_b32_e32 v0, 0x8000
	scratch_store_b32 off, v0, s32 offset:784 ; 4-byte Folded Spill
	s_wait_xcnt 0x0
	s_and_saveexec_b32 s11, s1
	s_cbranch_execz .LBB287_1753
; %bb.1748:                             ;   in Loop: Header=BB287_15 Depth=1
	v_and_b32_e32 v7, 0x7f, v4
	v_mov_b32_e32 v0, 0x7c01
	s_mov_b32 s14, exec_lo
	scratch_store_b32 off, v0, s32 offset:784 ; 4-byte Folded Spill
	s_wait_xcnt 0x0
	v_cmpx_ne_u32_e32 0x7f, v7
	s_cbranch_execz .LBB287_1752
; %bb.1749:                             ;   in Loop: Header=BB287_15 Depth=1
	v_dual_lshrrev_b32 v6, 3, v7 :: v_dual_bitop2_b32 v0, 7, v4 bitop3:0x40
	s_mov_b32 s15, exec_lo
	v_cmpx_gt_u32_e32 8, v7
; %bb.1750:                             ;   in Loop: Header=BB287_15 Depth=1
	s_delay_alu instid0(VALU_DEP_2) | instskip(NEXT) | instid1(VALU_DEP_1)
	v_clz_i32_u32_e32 v0, v0
	v_min_u32_e32 v0, 32, v0
	s_delay_alu instid0(VALU_DEP_1) | instskip(NEXT) | instid1(VALU_DEP_1)
	v_subrev_nc_u32_e32 v6, 28, v0
	v_lshlrev_b64_e32 v[8:9], v6, v[4:5]
	v_sub_nc_u32_e32 v6, 29, v0
	s_delay_alu instid0(VALU_DEP_2)
	v_and_b32_e32 v0, 7, v8
; %bb.1751:                             ;   in Loop: Header=BB287_15 Depth=1
	s_or_b32 exec_lo, exec_lo, s15
	v_lshlrev_b32_e32 v7, 8, v4
	s_delay_alu instid0(VALU_DEP_3) | instskip(NEXT) | instid1(VALU_DEP_3)
	v_lshl_add_u32 v6, v6, 10, 0x2000
	v_lshlrev_b32_e32 v0, 7, v0
	s_delay_alu instid0(VALU_DEP_3) | instskip(NEXT) | instid1(VALU_DEP_3)
	v_and_b32_e32 v7, 0x8000, v7
	v_and_b32_e32 v6, 0xfc00, v6
	s_delay_alu instid0(VALU_DEP_1)
	v_or3_b32 v0, v7, v6, v0
	scratch_store_b32 off, v0, s32 offset:784 ; 4-byte Folded Spill
.LBB287_1752:                           ;   in Loop: Header=BB287_15 Depth=1
	s_wait_xcnt 0x0
	s_or_b32 exec_lo, exec_lo, s14
.LBB287_1753:                           ;   in Loop: Header=BB287_15 Depth=1
	s_delay_alu instid0(SALU_CYCLE_1)
	s_or_b32 exec_lo, exec_lo, s11
.LBB287_1754:                           ;   in Loop: Header=BB287_15 Depth=1
	s_delay_alu instid0(SALU_CYCLE_1)
	s_or_b32 exec_lo, exec_lo, s8
	v_lshrrev_b16 v24, 8, v4
	v_dual_mov_b32 v0, 0 :: v_dual_mov_b32 v95, 0
	s_mov_b32 s8, exec_lo
	scratch_store_b32 off, v0, s32 offset:788 ; 4-byte Folded Spill
	s_wait_xcnt 0x0
	v_cmpx_ne_u16_e32 0, v24
	s_cbranch_execz .LBB287_1762
; %bb.1755:                             ;   in Loop: Header=BB287_15 Depth=1
	v_bfrev_b32_e32 v95, 1
	s_mov_b32 s11, exec_lo
	v_cmpx_ne_u16_e32 0x80, v24
	s_cbranch_execz .LBB287_1761
; %bb.1756:                             ;   in Loop: Header=BB287_15 Depth=1
	v_and_b32_e32 v0, 0xffff, v24
	v_mov_b32_e32 v95, 0x7c010000
	s_mov_b32 s14, exec_lo
	s_delay_alu instid0(VALU_DEP_2) | instskip(NEXT) | instid1(VALU_DEP_1)
	v_and_b32_e32 v8, 0x7f, v0
	v_cmpx_ne_u32_e32 0x7f, v8
	s_cbranch_execz .LBB287_1760
; %bb.1757:                             ;   in Loop: Header=BB287_15 Depth=1
	v_and_b32_e32 v6, 7, v0
	v_lshrrev_b32_e32 v7, 3, v8
	s_mov_b32 s15, exec_lo
	v_cmpx_gt_u32_e32 8, v8
; %bb.1758:                             ;   in Loop: Header=BB287_15 Depth=1
	s_delay_alu instid0(VALU_DEP_3) | instskip(NEXT) | instid1(VALU_DEP_1)
	v_clz_i32_u32_e32 v6, v6
	v_min_u32_e32 v8, 32, v6
	s_delay_alu instid0(VALU_DEP_1) | instskip(NEXT) | instid1(VALU_DEP_1)
	v_subrev_nc_u32_e32 v6, 28, v8
	v_lshlrev_b64_e32 v[6:7], v6, v[24:25]
	s_delay_alu instid0(VALU_DEP_1)
	v_dual_sub_nc_u32 v7, 29, v8 :: v_dual_bitop2_b32 v6, 7, v6 bitop3:0x40
; %bb.1759:                             ;   in Loop: Header=BB287_15 Depth=1
	s_or_b32 exec_lo, exec_lo, s15
	s_delay_alu instid0(VALU_DEP_1) | instskip(NEXT) | instid1(VALU_DEP_2)
	v_dual_lshlrev_b32 v0, 8, v0 :: v_dual_lshlrev_b32 v6, 23, v6
	v_lshl_add_u32 v7, v7, 10, 0x2000
	s_delay_alu instid0(VALU_DEP_1) | instskip(NEXT) | instid1(VALU_DEP_1)
	v_and_or_b32 v0, 0x8000, v0, v7
	v_lshl_or_b32 v95, v0, 16, v6
.LBB287_1760:                           ;   in Loop: Header=BB287_15 Depth=1
	s_or_b32 exec_lo, exec_lo, s14
.LBB287_1761:                           ;   in Loop: Header=BB287_15 Depth=1
	s_delay_alu instid0(SALU_CYCLE_1)
	s_or_b32 exec_lo, exec_lo, s11
.LBB287_1762:                           ;   in Loop: Header=BB287_15 Depth=1
	s_delay_alu instid0(SALU_CYCLE_1) | instskip(SKIP_2) | instid1(VALU_DEP_1)
	s_or_b32 exec_lo, exec_lo, s8
	v_lshrrev_b32_e32 v0, 16, v4
	s_mov_b32 s8, exec_lo
	v_and_b32_e32 v6, 0xff, v0
	s_delay_alu instid0(VALU_DEP_1)
	v_cmpx_ne_u16_e32 0, v6
	s_cbranch_execz .LBB287_1770
; %bb.1763:                             ;   in Loop: Header=BB287_15 Depth=1
	v_cmp_ne_u16_e64 s1, 0x80, v6
	v_mov_b32_e32 v6, 0x8000
	scratch_store_b32 off, v6, s32 offset:788 ; 4-byte Folded Spill
	s_wait_xcnt 0x0
	s_and_saveexec_b32 s11, s1
	s_cbranch_execz .LBB287_1769
; %bb.1764:                             ;   in Loop: Header=BB287_15 Depth=1
	v_bfe_u32 v8, v4, 16, 7
	v_mov_b32_e32 v6, 0x7c01
	s_mov_b32 s14, exec_lo
	scratch_store_b32 off, v6, s32 offset:788 ; 4-byte Folded Spill
	s_wait_xcnt 0x0
	v_cmpx_ne_u32_e32 0x7f, v8
	s_cbranch_execz .LBB287_1768
; %bb.1765:                             ;   in Loop: Header=BB287_15 Depth=1
	v_and_b32_e32 v6, 7, v0
	v_lshrrev_b32_e32 v7, 3, v8
	s_mov_b32 s15, exec_lo
	v_cmpx_gt_u32_e32 8, v8
; %bb.1766:                             ;   in Loop: Header=BB287_15 Depth=1
	s_delay_alu instid0(VALU_DEP_3) | instskip(NEXT) | instid1(VALU_DEP_1)
	v_clz_i32_u32_e32 v6, v6
	v_min_u32_e32 v8, 32, v6
	s_delay_alu instid0(VALU_DEP_1) | instskip(NEXT) | instid1(VALU_DEP_1)
	v_subrev_nc_u32_e32 v6, 28, v8
	v_lshlrev_b64_e32 v[6:7], v6, v[0:1]
	s_delay_alu instid0(VALU_DEP_1)
	v_dual_sub_nc_u32 v7, 29, v8 :: v_dual_bitop2_b32 v6, 7, v6 bitop3:0x40
; %bb.1767:                             ;   in Loop: Header=BB287_15 Depth=1
	s_or_b32 exec_lo, exec_lo, s15
	s_delay_alu instid0(VALU_DEP_1) | instskip(NEXT) | instid1(VALU_DEP_2)
	v_dual_lshlrev_b32 v0, 8, v0 :: v_dual_lshlrev_b32 v6, 7, v6
	v_lshl_add_u32 v7, v7, 10, 0x2000
	s_delay_alu instid0(VALU_DEP_2) | instskip(NEXT) | instid1(VALU_DEP_2)
	v_and_b32_e32 v0, 0x8000, v0
	v_and_b32_e32 v7, 0xfc00, v7
	s_delay_alu instid0(VALU_DEP_1)
	v_or3_b32 v0, v0, v7, v6
	scratch_store_b32 off, v0, s32 offset:788 ; 4-byte Folded Spill
.LBB287_1768:                           ;   in Loop: Header=BB287_15 Depth=1
	s_wait_xcnt 0x0
	s_or_b32 exec_lo, exec_lo, s14
.LBB287_1769:                           ;   in Loop: Header=BB287_15 Depth=1
	s_delay_alu instid0(SALU_CYCLE_1)
	s_or_b32 exec_lo, exec_lo, s11
.LBB287_1770:                           ;   in Loop: Header=BB287_15 Depth=1
	s_delay_alu instid0(SALU_CYCLE_1)
	s_or_b32 exec_lo, exec_lo, s8
	v_dual_mov_b32 v0, 0 :: v_dual_mov_b32 v110, 0
	s_mov_b32 s8, exec_lo
	scratch_store_b32 off, v0, s32 offset:792 ; 4-byte Folded Spill
	s_wait_xcnt 0x0
	v_cmpx_lt_u32_e32 0xffffff, v4
	s_cbranch_execz .LBB287_1778
; %bb.1771:                             ;   in Loop: Header=BB287_15 Depth=1
	v_lshrrev_b32_e32 v24, 24, v4
	v_bfrev_b32_e32 v110, 1
	s_mov_b32 s11, exec_lo
	s_delay_alu instid0(VALU_DEP_2)
	v_cmpx_ne_u32_e32 0x80, v24
	s_cbranch_execz .LBB287_1777
; %bb.1772:                             ;   in Loop: Header=BB287_15 Depth=1
	v_and_b32_e32 v7, 0x7f, v24
	v_mov_b32_e32 v110, 0x7c010000
	s_mov_b32 s14, exec_lo
	s_delay_alu instid0(VALU_DEP_2)
	v_cmpx_ne_u32_e32 0x7f, v7
	s_cbranch_execz .LBB287_1776
; %bb.1773:                             ;   in Loop: Header=BB287_15 Depth=1
	v_dual_lshrrev_b32 v6, 3, v7 :: v_dual_bitop2_b32 v0, 7, v24 bitop3:0x40
	s_mov_b32 s15, exec_lo
	v_cmpx_gt_u32_e32 8, v7
; %bb.1774:                             ;   in Loop: Header=BB287_15 Depth=1
	s_delay_alu instid0(VALU_DEP_2) | instskip(NEXT) | instid1(VALU_DEP_1)
	v_clz_i32_u32_e32 v0, v0
	v_min_u32_e32 v0, 32, v0
	s_delay_alu instid0(VALU_DEP_1) | instskip(NEXT) | instid1(VALU_DEP_1)
	v_subrev_nc_u32_e32 v6, 28, v0
	v_lshlrev_b64_e32 v[8:9], v6, v[24:25]
	v_sub_nc_u32_e32 v6, 29, v0
	s_delay_alu instid0(VALU_DEP_2)
	v_and_b32_e32 v0, 7, v8
; %bb.1775:                             ;   in Loop: Header=BB287_15 Depth=1
	s_or_b32 exec_lo, exec_lo, s15
	v_lshlrev_b32_e32 v7, 8, v24
	s_delay_alu instid0(VALU_DEP_3) | instskip(NEXT) | instid1(VALU_DEP_3)
	v_lshl_add_u32 v6, v6, 10, 0x2000
	v_lshlrev_b32_e32 v0, 23, v0
	s_delay_alu instid0(VALU_DEP_2) | instskip(NEXT) | instid1(VALU_DEP_1)
	v_and_or_b32 v6, 0x8000, v7, v6
	v_lshl_or_b32 v110, v6, 16, v0
.LBB287_1776:                           ;   in Loop: Header=BB287_15 Depth=1
	s_or_b32 exec_lo, exec_lo, s14
.LBB287_1777:                           ;   in Loop: Header=BB287_15 Depth=1
	s_delay_alu instid0(SALU_CYCLE_1)
	s_or_b32 exec_lo, exec_lo, s11
.LBB287_1778:                           ;   in Loop: Header=BB287_15 Depth=1
	s_delay_alu instid0(SALU_CYCLE_1) | instskip(SKIP_3) | instid1(VALU_DEP_2)
	s_or_b32 exec_lo, exec_lo, s8
	v_and_b32_e32 v0, 0xff, v5
	v_mov_b32_e32 v24, v5
	s_mov_b32 s8, exec_lo
	v_cmpx_ne_u16_e32 0, v0
	s_cbranch_execz .LBB287_1786
; %bb.1779:                             ;   in Loop: Header=BB287_15 Depth=1
	v_cmp_ne_u16_e64 s1, 0x80, v0
	v_mov_b32_e32 v0, 0x8000
	scratch_store_b32 off, v0, s32 offset:792 ; 4-byte Folded Spill
	s_wait_xcnt 0x0
	s_and_saveexec_b32 s11, s1
	s_cbranch_execz .LBB287_1785
; %bb.1780:                             ;   in Loop: Header=BB287_15 Depth=1
	v_and_b32_e32 v7, 0x7f, v5
	v_mov_b32_e32 v0, 0x7c01
	s_mov_b32 s14, exec_lo
	scratch_store_b32 off, v0, s32 offset:792 ; 4-byte Folded Spill
	s_wait_xcnt 0x0
	v_cmpx_ne_u32_e32 0x7f, v7
	s_cbranch_execz .LBB287_1784
; %bb.1781:                             ;   in Loop: Header=BB287_15 Depth=1
	v_dual_lshrrev_b32 v6, 3, v7 :: v_dual_bitop2_b32 v0, 7, v5 bitop3:0x40
	s_mov_b32 s15, exec_lo
	v_cmpx_gt_u32_e32 8, v7
; %bb.1782:                             ;   in Loop: Header=BB287_15 Depth=1
	s_delay_alu instid0(VALU_DEP_2) | instskip(NEXT) | instid1(VALU_DEP_1)
	v_clz_i32_u32_e32 v0, v0
	v_min_u32_e32 v0, 32, v0
	s_delay_alu instid0(VALU_DEP_1) | instskip(NEXT) | instid1(VALU_DEP_1)
	v_subrev_nc_u32_e32 v6, 28, v0
	v_lshlrev_b64_e32 v[8:9], v6, v[24:25]
	v_sub_nc_u32_e32 v6, 29, v0
	s_delay_alu instid0(VALU_DEP_2)
	v_and_b32_e32 v0, 7, v8
; %bb.1783:                             ;   in Loop: Header=BB287_15 Depth=1
	s_or_b32 exec_lo, exec_lo, s15
	s_delay_alu instid0(VALU_DEP_1) | instskip(NEXT) | instid1(VALU_DEP_3)
	v_dual_lshlrev_b32 v7, 8, v5 :: v_dual_lshlrev_b32 v0, 7, v0
	v_lshl_add_u32 v6, v6, 10, 0x2000
	s_delay_alu instid0(VALU_DEP_2) | instskip(NEXT) | instid1(VALU_DEP_2)
	v_and_b32_e32 v7, 0x8000, v7
	v_and_b32_e32 v6, 0xfc00, v6
	s_delay_alu instid0(VALU_DEP_1)
	v_or3_b32 v0, v7, v6, v0
	scratch_store_b32 off, v0, s32 offset:792 ; 4-byte Folded Spill
.LBB287_1784:                           ;   in Loop: Header=BB287_15 Depth=1
	s_wait_xcnt 0x0
	s_or_b32 exec_lo, exec_lo, s14
.LBB287_1785:                           ;   in Loop: Header=BB287_15 Depth=1
	s_delay_alu instid0(SALU_CYCLE_1)
	s_or_b32 exec_lo, exec_lo, s11
.LBB287_1786:                           ;   in Loop: Header=BB287_15 Depth=1
	s_delay_alu instid0(SALU_CYCLE_1)
	s_or_b32 exec_lo, exec_lo, s8
	v_lshrrev_b16 v24, 8, v24
	v_dual_mov_b32 v0, 0 :: v_dual_mov_b32 v104, 0
	s_mov_b32 s8, exec_lo
	scratch_store_b32 off, v0, s32 offset:796 ; 4-byte Folded Spill
	s_wait_xcnt 0x0
	v_cmpx_ne_u16_e32 0, v24
	s_cbranch_execz .LBB287_1794
; %bb.1787:                             ;   in Loop: Header=BB287_15 Depth=1
	v_bfrev_b32_e32 v104, 1
	s_mov_b32 s11, exec_lo
	v_cmpx_ne_u16_e32 0x80, v24
	s_cbranch_execz .LBB287_1793
; %bb.1788:                             ;   in Loop: Header=BB287_15 Depth=1
	v_and_b32_e32 v0, 0xffff, v24
	v_mov_b32_e32 v104, 0x7c010000
	s_mov_b32 s14, exec_lo
	s_delay_alu instid0(VALU_DEP_2) | instskip(NEXT) | instid1(VALU_DEP_1)
	v_and_b32_e32 v8, 0x7f, v0
	v_cmpx_ne_u32_e32 0x7f, v8
	s_cbranch_execz .LBB287_1792
; %bb.1789:                             ;   in Loop: Header=BB287_15 Depth=1
	v_and_b32_e32 v6, 7, v0
	v_lshrrev_b32_e32 v7, 3, v8
	s_mov_b32 s15, exec_lo
	v_cmpx_gt_u32_e32 8, v8
; %bb.1790:                             ;   in Loop: Header=BB287_15 Depth=1
	s_delay_alu instid0(VALU_DEP_3) | instskip(NEXT) | instid1(VALU_DEP_1)
	v_clz_i32_u32_e32 v6, v6
	v_min_u32_e32 v8, 32, v6
	s_delay_alu instid0(VALU_DEP_1) | instskip(NEXT) | instid1(VALU_DEP_1)
	v_subrev_nc_u32_e32 v6, 28, v8
	v_lshlrev_b64_e32 v[6:7], v6, v[24:25]
	s_delay_alu instid0(VALU_DEP_1)
	v_dual_sub_nc_u32 v7, 29, v8 :: v_dual_bitop2_b32 v6, 7, v6 bitop3:0x40
; %bb.1791:                             ;   in Loop: Header=BB287_15 Depth=1
	s_or_b32 exec_lo, exec_lo, s15
	s_delay_alu instid0(VALU_DEP_1) | instskip(NEXT) | instid1(VALU_DEP_2)
	v_dual_lshlrev_b32 v0, 8, v0 :: v_dual_lshlrev_b32 v6, 23, v6
	v_lshl_add_u32 v7, v7, 10, 0x2000
	s_delay_alu instid0(VALU_DEP_1) | instskip(NEXT) | instid1(VALU_DEP_1)
	v_and_or_b32 v0, 0x8000, v0, v7
	v_lshl_or_b32 v104, v0, 16, v6
.LBB287_1792:                           ;   in Loop: Header=BB287_15 Depth=1
	s_or_b32 exec_lo, exec_lo, s14
.LBB287_1793:                           ;   in Loop: Header=BB287_15 Depth=1
	s_delay_alu instid0(SALU_CYCLE_1)
	s_or_b32 exec_lo, exec_lo, s11
.LBB287_1794:                           ;   in Loop: Header=BB287_15 Depth=1
	s_delay_alu instid0(SALU_CYCLE_1) | instskip(SKIP_2) | instid1(VALU_DEP_1)
	s_or_b32 exec_lo, exec_lo, s8
	v_lshrrev_b32_e32 v0, 16, v5
	s_mov_b32 s8, exec_lo
	v_and_b32_e32 v6, 0xff, v0
	s_delay_alu instid0(VALU_DEP_1)
	v_cmpx_ne_u16_e32 0, v6
	s_cbranch_execz .LBB287_1802
; %bb.1795:                             ;   in Loop: Header=BB287_15 Depth=1
	v_cmp_ne_u16_e64 s1, 0x80, v6
	v_mov_b32_e32 v6, 0x8000
	scratch_store_b32 off, v6, s32 offset:796 ; 4-byte Folded Spill
	s_wait_xcnt 0x0
	s_and_saveexec_b32 s11, s1
	s_cbranch_execz .LBB287_1801
; %bb.1796:                             ;   in Loop: Header=BB287_15 Depth=1
	v_bfe_u32 v8, v5, 16, 7
	v_mov_b32_e32 v6, 0x7c01
	s_mov_b32 s14, exec_lo
	scratch_store_b32 off, v6, s32 offset:796 ; 4-byte Folded Spill
	s_wait_xcnt 0x0
	v_cmpx_ne_u32_e32 0x7f, v8
	s_cbranch_execz .LBB287_1800
; %bb.1797:                             ;   in Loop: Header=BB287_15 Depth=1
	v_and_b32_e32 v6, 7, v0
	v_lshrrev_b32_e32 v7, 3, v8
	s_mov_b32 s15, exec_lo
	v_cmpx_gt_u32_e32 8, v8
; %bb.1798:                             ;   in Loop: Header=BB287_15 Depth=1
	s_delay_alu instid0(VALU_DEP_3) | instskip(NEXT) | instid1(VALU_DEP_1)
	v_clz_i32_u32_e32 v6, v6
	v_min_u32_e32 v8, 32, v6
	s_delay_alu instid0(VALU_DEP_1) | instskip(NEXT) | instid1(VALU_DEP_1)
	v_subrev_nc_u32_e32 v6, 28, v8
	v_lshlrev_b64_e32 v[6:7], v6, v[0:1]
	s_delay_alu instid0(VALU_DEP_1)
	v_dual_sub_nc_u32 v7, 29, v8 :: v_dual_bitop2_b32 v6, 7, v6 bitop3:0x40
; %bb.1799:                             ;   in Loop: Header=BB287_15 Depth=1
	s_or_b32 exec_lo, exec_lo, s15
	s_delay_alu instid0(VALU_DEP_1) | instskip(NEXT) | instid1(VALU_DEP_2)
	v_dual_lshlrev_b32 v0, 8, v0 :: v_dual_lshlrev_b32 v6, 7, v6
	v_lshl_add_u32 v7, v7, 10, 0x2000
	s_delay_alu instid0(VALU_DEP_2) | instskip(NEXT) | instid1(VALU_DEP_2)
	v_and_b32_e32 v0, 0x8000, v0
	v_and_b32_e32 v7, 0xfc00, v7
	s_delay_alu instid0(VALU_DEP_1)
	v_or3_b32 v0, v0, v7, v6
	scratch_store_b32 off, v0, s32 offset:796 ; 4-byte Folded Spill
.LBB287_1800:                           ;   in Loop: Header=BB287_15 Depth=1
	s_wait_xcnt 0x0
	s_or_b32 exec_lo, exec_lo, s14
.LBB287_1801:                           ;   in Loop: Header=BB287_15 Depth=1
	s_delay_alu instid0(SALU_CYCLE_1)
	s_or_b32 exec_lo, exec_lo, s11
.LBB287_1802:                           ;   in Loop: Header=BB287_15 Depth=1
	s_delay_alu instid0(SALU_CYCLE_1)
	s_or_b32 exec_lo, exec_lo, s8
	v_dual_mov_b32 v0, 0 :: v_dual_mov_b32 v13, 0
	s_mov_b32 s8, exec_lo
	scratch_store_b32 off, v0, s32 offset:800 ; 4-byte Folded Spill
	s_wait_xcnt 0x0
	v_cmpx_lt_u64_e64 s[4:5], v[4:5]
	s_cbranch_execz .LBB287_1810
; %bb.1803:                             ;   in Loop: Header=BB287_15 Depth=1
	v_lshrrev_b32_e32 v24, 24, v5
	v_bfrev_b32_e32 v13, 1
	s_mov_b32 s11, exec_lo
	s_delay_alu instid0(VALU_DEP_2)
	v_cmpx_ne_u32_e32 0x80, v24
	s_cbranch_execz .LBB287_1809
; %bb.1804:                             ;   in Loop: Header=BB287_15 Depth=1
	v_and_b32_e32 v5, 0x7f, v24
	v_mov_b32_e32 v13, 0x7c010000
	s_mov_b32 s14, exec_lo
	s_delay_alu instid0(VALU_DEP_2)
	v_cmpx_ne_u32_e32 0x7f, v5
	s_cbranch_execz .LBB287_1808
; %bb.1805:                             ;   in Loop: Header=BB287_15 Depth=1
	v_dual_lshrrev_b32 v4, 3, v5 :: v_dual_bitop2_b32 v0, 7, v24 bitop3:0x40
	s_mov_b32 s15, exec_lo
	v_cmpx_gt_u32_e32 8, v5
; %bb.1806:                             ;   in Loop: Header=BB287_15 Depth=1
	s_delay_alu instid0(VALU_DEP_2) | instskip(NEXT) | instid1(VALU_DEP_1)
	v_clz_i32_u32_e32 v0, v0
	v_min_u32_e32 v0, 32, v0
	s_delay_alu instid0(VALU_DEP_1) | instskip(NEXT) | instid1(VALU_DEP_1)
	v_subrev_nc_u32_e32 v4, 28, v0
	v_lshlrev_b64_e32 v[6:7], v4, v[24:25]
	s_delay_alu instid0(VALU_DEP_1)
	v_dual_sub_nc_u32 v4, 29, v0 :: v_dual_bitop2_b32 v0, 7, v6 bitop3:0x40
; %bb.1807:                             ;   in Loop: Header=BB287_15 Depth=1
	s_or_b32 exec_lo, exec_lo, s15
	v_lshlrev_b32_e32 v5, 8, v24
	s_delay_alu instid0(VALU_DEP_2) | instskip(NEXT) | instid1(VALU_DEP_3)
	v_lshl_add_u32 v4, v4, 10, 0x2000
	v_lshlrev_b32_e32 v0, 23, v0
	s_delay_alu instid0(VALU_DEP_2) | instskip(NEXT) | instid1(VALU_DEP_1)
	v_and_or_b32 v4, 0x8000, v5, v4
	v_lshl_or_b32 v13, v4, 16, v0
.LBB287_1808:                           ;   in Loop: Header=BB287_15 Depth=1
	s_or_b32 exec_lo, exec_lo, s14
.LBB287_1809:                           ;   in Loop: Header=BB287_15 Depth=1
	s_delay_alu instid0(SALU_CYCLE_1)
	s_or_b32 exec_lo, exec_lo, s11
.LBB287_1810:                           ;   in Loop: Header=BB287_15 Depth=1
	s_delay_alu instid0(SALU_CYCLE_1)
	s_or_b32 exec_lo, exec_lo, s8
	flat_load_b64 v[4:5], v[2:3] offset:7168
	s_mov_b32 s8, exec_lo
	s_wait_loadcnt_dscnt 0x0
	v_and_b32_e32 v0, 0xff, v4
	s_wait_xcnt 0x0
	s_delay_alu instid0(VALU_DEP_1)
	v_cmpx_ne_u16_e32 0, v0
	s_cbranch_execz .LBB287_1818
; %bb.1811:                             ;   in Loop: Header=BB287_15 Depth=1
	v_cmp_ne_u16_e64 s1, 0x80, v0
	v_mov_b32_e32 v0, 0x8000
	scratch_store_b32 off, v0, s32 offset:800 ; 4-byte Folded Spill
	s_wait_xcnt 0x0
	s_and_saveexec_b32 s11, s1
	s_cbranch_execz .LBB287_1817
; %bb.1812:                             ;   in Loop: Header=BB287_15 Depth=1
	v_and_b32_e32 v7, 0x7f, v4
	v_mov_b32_e32 v0, 0x7c01
	s_mov_b32 s14, exec_lo
	scratch_store_b32 off, v0, s32 offset:800 ; 4-byte Folded Spill
	s_wait_xcnt 0x0
	v_cmpx_ne_u32_e32 0x7f, v7
	s_cbranch_execz .LBB287_1816
; %bb.1813:                             ;   in Loop: Header=BB287_15 Depth=1
	v_dual_lshrrev_b32 v6, 3, v7 :: v_dual_bitop2_b32 v0, 7, v4 bitop3:0x40
	s_mov_b32 s15, exec_lo
	v_cmpx_gt_u32_e32 8, v7
; %bb.1814:                             ;   in Loop: Header=BB287_15 Depth=1
	s_delay_alu instid0(VALU_DEP_2) | instskip(NEXT) | instid1(VALU_DEP_1)
	v_clz_i32_u32_e32 v0, v0
	v_min_u32_e32 v0, 32, v0
	s_delay_alu instid0(VALU_DEP_1) | instskip(NEXT) | instid1(VALU_DEP_1)
	v_subrev_nc_u32_e32 v6, 28, v0
	v_lshlrev_b64_e32 v[8:9], v6, v[4:5]
	v_sub_nc_u32_e32 v6, 29, v0
	s_delay_alu instid0(VALU_DEP_2)
	v_and_b32_e32 v0, 7, v8
; %bb.1815:                             ;   in Loop: Header=BB287_15 Depth=1
	s_or_b32 exec_lo, exec_lo, s15
	v_lshlrev_b32_e32 v7, 8, v4
	s_delay_alu instid0(VALU_DEP_3) | instskip(NEXT) | instid1(VALU_DEP_3)
	v_lshl_add_u32 v6, v6, 10, 0x2000
	v_lshlrev_b32_e32 v0, 7, v0
	s_delay_alu instid0(VALU_DEP_3) | instskip(NEXT) | instid1(VALU_DEP_3)
	v_and_b32_e32 v7, 0x8000, v7
	v_and_b32_e32 v6, 0xfc00, v6
	s_delay_alu instid0(VALU_DEP_1)
	v_or3_b32 v0, v7, v6, v0
	scratch_store_b32 off, v0, s32 offset:800 ; 4-byte Folded Spill
.LBB287_1816:                           ;   in Loop: Header=BB287_15 Depth=1
	s_wait_xcnt 0x0
	s_or_b32 exec_lo, exec_lo, s14
.LBB287_1817:                           ;   in Loop: Header=BB287_15 Depth=1
	s_delay_alu instid0(SALU_CYCLE_1)
	s_or_b32 exec_lo, exec_lo, s11
.LBB287_1818:                           ;   in Loop: Header=BB287_15 Depth=1
	s_delay_alu instid0(SALU_CYCLE_1)
	s_or_b32 exec_lo, exec_lo, s8
	v_lshrrev_b16 v24, 8, v4
	v_dual_mov_b32 v0, 0 :: v_dual_mov_b32 v20, 0
	s_mov_b32 s8, exec_lo
	scratch_store_b32 off, v0, s32 offset:804 ; 4-byte Folded Spill
	s_wait_xcnt 0x0
	v_cmpx_ne_u16_e32 0, v24
	s_cbranch_execz .LBB287_1826
; %bb.1819:                             ;   in Loop: Header=BB287_15 Depth=1
	v_bfrev_b32_e32 v20, 1
	s_mov_b32 s11, exec_lo
	v_cmpx_ne_u16_e32 0x80, v24
	s_cbranch_execz .LBB287_1825
; %bb.1820:                             ;   in Loop: Header=BB287_15 Depth=1
	v_and_b32_e32 v0, 0xffff, v24
	v_mov_b32_e32 v20, 0x7c010000
	s_mov_b32 s14, exec_lo
	s_delay_alu instid0(VALU_DEP_2) | instskip(NEXT) | instid1(VALU_DEP_1)
	v_and_b32_e32 v8, 0x7f, v0
	v_cmpx_ne_u32_e32 0x7f, v8
	s_cbranch_execz .LBB287_1824
; %bb.1821:                             ;   in Loop: Header=BB287_15 Depth=1
	v_and_b32_e32 v6, 7, v0
	v_lshrrev_b32_e32 v7, 3, v8
	s_mov_b32 s15, exec_lo
	v_cmpx_gt_u32_e32 8, v8
; %bb.1822:                             ;   in Loop: Header=BB287_15 Depth=1
	s_delay_alu instid0(VALU_DEP_3) | instskip(NEXT) | instid1(VALU_DEP_1)
	v_clz_i32_u32_e32 v6, v6
	v_min_u32_e32 v8, 32, v6
	s_delay_alu instid0(VALU_DEP_1) | instskip(NEXT) | instid1(VALU_DEP_1)
	v_subrev_nc_u32_e32 v6, 28, v8
	v_lshlrev_b64_e32 v[6:7], v6, v[24:25]
	s_delay_alu instid0(VALU_DEP_1)
	v_dual_sub_nc_u32 v7, 29, v8 :: v_dual_bitop2_b32 v6, 7, v6 bitop3:0x40
; %bb.1823:                             ;   in Loop: Header=BB287_15 Depth=1
	s_or_b32 exec_lo, exec_lo, s15
	s_delay_alu instid0(VALU_DEP_1) | instskip(NEXT) | instid1(VALU_DEP_2)
	v_dual_lshlrev_b32 v0, 8, v0 :: v_dual_lshlrev_b32 v6, 23, v6
	v_lshl_add_u32 v7, v7, 10, 0x2000
	s_delay_alu instid0(VALU_DEP_1) | instskip(NEXT) | instid1(VALU_DEP_1)
	v_and_or_b32 v0, 0x8000, v0, v7
	v_lshl_or_b32 v20, v0, 16, v6
.LBB287_1824:                           ;   in Loop: Header=BB287_15 Depth=1
	s_or_b32 exec_lo, exec_lo, s14
.LBB287_1825:                           ;   in Loop: Header=BB287_15 Depth=1
	s_delay_alu instid0(SALU_CYCLE_1)
	s_or_b32 exec_lo, exec_lo, s11
.LBB287_1826:                           ;   in Loop: Header=BB287_15 Depth=1
	s_delay_alu instid0(SALU_CYCLE_1) | instskip(SKIP_2) | instid1(VALU_DEP_1)
	s_or_b32 exec_lo, exec_lo, s8
	v_lshrrev_b32_e32 v0, 16, v4
	s_mov_b32 s8, exec_lo
	v_and_b32_e32 v6, 0xff, v0
	s_delay_alu instid0(VALU_DEP_1)
	v_cmpx_ne_u16_e32 0, v6
	s_cbranch_execz .LBB287_1834
; %bb.1827:                             ;   in Loop: Header=BB287_15 Depth=1
	v_cmp_ne_u16_e64 s1, 0x80, v6
	v_mov_b32_e32 v6, 0x8000
	scratch_store_b32 off, v6, s32 offset:804 ; 4-byte Folded Spill
	s_wait_xcnt 0x0
	s_and_saveexec_b32 s11, s1
	s_cbranch_execz .LBB287_1833
; %bb.1828:                             ;   in Loop: Header=BB287_15 Depth=1
	v_bfe_u32 v8, v4, 16, 7
	v_mov_b32_e32 v6, 0x7c01
	s_mov_b32 s14, exec_lo
	scratch_store_b32 off, v6, s32 offset:804 ; 4-byte Folded Spill
	s_wait_xcnt 0x0
	v_cmpx_ne_u32_e32 0x7f, v8
	s_cbranch_execz .LBB287_1832
; %bb.1829:                             ;   in Loop: Header=BB287_15 Depth=1
	v_and_b32_e32 v6, 7, v0
	v_lshrrev_b32_e32 v7, 3, v8
	s_mov_b32 s15, exec_lo
	v_cmpx_gt_u32_e32 8, v8
; %bb.1830:                             ;   in Loop: Header=BB287_15 Depth=1
	s_delay_alu instid0(VALU_DEP_3) | instskip(NEXT) | instid1(VALU_DEP_1)
	v_clz_i32_u32_e32 v6, v6
	v_min_u32_e32 v8, 32, v6
	s_delay_alu instid0(VALU_DEP_1) | instskip(NEXT) | instid1(VALU_DEP_1)
	v_subrev_nc_u32_e32 v6, 28, v8
	v_lshlrev_b64_e32 v[6:7], v6, v[0:1]
	s_delay_alu instid0(VALU_DEP_1)
	v_dual_sub_nc_u32 v7, 29, v8 :: v_dual_bitop2_b32 v6, 7, v6 bitop3:0x40
; %bb.1831:                             ;   in Loop: Header=BB287_15 Depth=1
	s_or_b32 exec_lo, exec_lo, s15
	s_delay_alu instid0(VALU_DEP_1) | instskip(NEXT) | instid1(VALU_DEP_2)
	v_dual_lshlrev_b32 v0, 8, v0 :: v_dual_lshlrev_b32 v6, 7, v6
	v_lshl_add_u32 v7, v7, 10, 0x2000
	s_delay_alu instid0(VALU_DEP_2) | instskip(NEXT) | instid1(VALU_DEP_2)
	v_and_b32_e32 v0, 0x8000, v0
	v_and_b32_e32 v7, 0xfc00, v7
	s_delay_alu instid0(VALU_DEP_1)
	v_or3_b32 v0, v0, v7, v6
	scratch_store_b32 off, v0, s32 offset:804 ; 4-byte Folded Spill
.LBB287_1832:                           ;   in Loop: Header=BB287_15 Depth=1
	s_wait_xcnt 0x0
	s_or_b32 exec_lo, exec_lo, s14
.LBB287_1833:                           ;   in Loop: Header=BB287_15 Depth=1
	s_delay_alu instid0(SALU_CYCLE_1)
	s_or_b32 exec_lo, exec_lo, s11
.LBB287_1834:                           ;   in Loop: Header=BB287_15 Depth=1
	s_delay_alu instid0(SALU_CYCLE_1)
	s_or_b32 exec_lo, exec_lo, s8
	v_dual_mov_b32 v0, 0 :: v_dual_mov_b32 v35, 0
	s_mov_b32 s8, exec_lo
	scratch_store_b32 off, v0, s32 offset:808 ; 4-byte Folded Spill
	s_wait_xcnt 0x0
	v_cmpx_lt_u32_e32 0xffffff, v4
	s_cbranch_execz .LBB287_1842
; %bb.1835:                             ;   in Loop: Header=BB287_15 Depth=1
	v_lshrrev_b32_e32 v24, 24, v4
	v_bfrev_b32_e32 v35, 1
	s_mov_b32 s11, exec_lo
	s_delay_alu instid0(VALU_DEP_2)
	v_cmpx_ne_u32_e32 0x80, v24
	s_cbranch_execz .LBB287_1841
; %bb.1836:                             ;   in Loop: Header=BB287_15 Depth=1
	v_and_b32_e32 v7, 0x7f, v24
	v_mov_b32_e32 v35, 0x7c010000
	s_mov_b32 s14, exec_lo
	s_delay_alu instid0(VALU_DEP_2)
	v_cmpx_ne_u32_e32 0x7f, v7
	s_cbranch_execz .LBB287_1840
; %bb.1837:                             ;   in Loop: Header=BB287_15 Depth=1
	v_dual_lshrrev_b32 v6, 3, v7 :: v_dual_bitop2_b32 v0, 7, v24 bitop3:0x40
	s_mov_b32 s15, exec_lo
	v_cmpx_gt_u32_e32 8, v7
; %bb.1838:                             ;   in Loop: Header=BB287_15 Depth=1
	s_delay_alu instid0(VALU_DEP_2) | instskip(NEXT) | instid1(VALU_DEP_1)
	v_clz_i32_u32_e32 v0, v0
	v_min_u32_e32 v0, 32, v0
	s_delay_alu instid0(VALU_DEP_1) | instskip(NEXT) | instid1(VALU_DEP_1)
	v_subrev_nc_u32_e32 v6, 28, v0
	v_lshlrev_b64_e32 v[8:9], v6, v[24:25]
	v_sub_nc_u32_e32 v6, 29, v0
	s_delay_alu instid0(VALU_DEP_2)
	v_and_b32_e32 v0, 7, v8
; %bb.1839:                             ;   in Loop: Header=BB287_15 Depth=1
	s_or_b32 exec_lo, exec_lo, s15
	v_lshlrev_b32_e32 v7, 8, v24
	s_delay_alu instid0(VALU_DEP_3) | instskip(NEXT) | instid1(VALU_DEP_3)
	v_lshl_add_u32 v6, v6, 10, 0x2000
	v_lshlrev_b32_e32 v0, 23, v0
	s_delay_alu instid0(VALU_DEP_2) | instskip(NEXT) | instid1(VALU_DEP_1)
	v_and_or_b32 v6, 0x8000, v7, v6
	v_lshl_or_b32 v35, v6, 16, v0
.LBB287_1840:                           ;   in Loop: Header=BB287_15 Depth=1
	s_or_b32 exec_lo, exec_lo, s14
.LBB287_1841:                           ;   in Loop: Header=BB287_15 Depth=1
	s_delay_alu instid0(SALU_CYCLE_1)
	s_or_b32 exec_lo, exec_lo, s11
.LBB287_1842:                           ;   in Loop: Header=BB287_15 Depth=1
	s_delay_alu instid0(SALU_CYCLE_1) | instskip(SKIP_3) | instid1(VALU_DEP_2)
	s_or_b32 exec_lo, exec_lo, s8
	v_and_b32_e32 v0, 0xff, v5
	v_mov_b32_e32 v24, v5
	s_mov_b32 s8, exec_lo
	v_cmpx_ne_u16_e32 0, v0
	s_cbranch_execz .LBB287_1850
; %bb.1843:                             ;   in Loop: Header=BB287_15 Depth=1
	v_cmp_ne_u16_e64 s1, 0x80, v0
	v_mov_b32_e32 v0, 0x8000
	scratch_store_b32 off, v0, s32 offset:808 ; 4-byte Folded Spill
	s_wait_xcnt 0x0
	s_and_saveexec_b32 s11, s1
	s_cbranch_execz .LBB287_1849
; %bb.1844:                             ;   in Loop: Header=BB287_15 Depth=1
	v_and_b32_e32 v7, 0x7f, v5
	v_mov_b32_e32 v0, 0x7c01
	s_mov_b32 s14, exec_lo
	scratch_store_b32 off, v0, s32 offset:808 ; 4-byte Folded Spill
	s_wait_xcnt 0x0
	v_cmpx_ne_u32_e32 0x7f, v7
	s_cbranch_execz .LBB287_1848
; %bb.1845:                             ;   in Loop: Header=BB287_15 Depth=1
	v_dual_lshrrev_b32 v6, 3, v7 :: v_dual_bitop2_b32 v0, 7, v5 bitop3:0x40
	s_mov_b32 s15, exec_lo
	v_cmpx_gt_u32_e32 8, v7
; %bb.1846:                             ;   in Loop: Header=BB287_15 Depth=1
	s_delay_alu instid0(VALU_DEP_2) | instskip(NEXT) | instid1(VALU_DEP_1)
	v_clz_i32_u32_e32 v0, v0
	v_min_u32_e32 v0, 32, v0
	s_delay_alu instid0(VALU_DEP_1) | instskip(NEXT) | instid1(VALU_DEP_1)
	v_subrev_nc_u32_e32 v6, 28, v0
	v_lshlrev_b64_e32 v[8:9], v6, v[24:25]
	v_sub_nc_u32_e32 v6, 29, v0
	s_delay_alu instid0(VALU_DEP_2)
	v_and_b32_e32 v0, 7, v8
; %bb.1847:                             ;   in Loop: Header=BB287_15 Depth=1
	s_or_b32 exec_lo, exec_lo, s15
	s_delay_alu instid0(VALU_DEP_1) | instskip(NEXT) | instid1(VALU_DEP_3)
	v_dual_lshlrev_b32 v7, 8, v5 :: v_dual_lshlrev_b32 v0, 7, v0
	v_lshl_add_u32 v6, v6, 10, 0x2000
	s_delay_alu instid0(VALU_DEP_2) | instskip(NEXT) | instid1(VALU_DEP_2)
	v_and_b32_e32 v7, 0x8000, v7
	v_and_b32_e32 v6, 0xfc00, v6
	s_delay_alu instid0(VALU_DEP_1)
	v_or3_b32 v0, v7, v6, v0
	scratch_store_b32 off, v0, s32 offset:808 ; 4-byte Folded Spill
.LBB287_1848:                           ;   in Loop: Header=BB287_15 Depth=1
	s_wait_xcnt 0x0
	s_or_b32 exec_lo, exec_lo, s14
.LBB287_1849:                           ;   in Loop: Header=BB287_15 Depth=1
	s_delay_alu instid0(SALU_CYCLE_1)
	s_or_b32 exec_lo, exec_lo, s11
.LBB287_1850:                           ;   in Loop: Header=BB287_15 Depth=1
	s_delay_alu instid0(SALU_CYCLE_1)
	s_or_b32 exec_lo, exec_lo, s8
	v_lshrrev_b16 v24, 8, v24
	v_dual_mov_b32 v0, 0 :: v_dual_mov_b32 v8, 0
	s_mov_b32 s8, exec_lo
	scratch_store_b32 off, v0, s32 offset:812 ; 4-byte Folded Spill
	s_wait_xcnt 0x0
	v_cmpx_ne_u16_e32 0, v24
	s_cbranch_execz .LBB287_1858
; %bb.1851:                             ;   in Loop: Header=BB287_15 Depth=1
	v_bfrev_b32_e32 v8, 1
	s_mov_b32 s11, exec_lo
	v_cmpx_ne_u16_e32 0x80, v24
	s_cbranch_execz .LBB287_1857
; %bb.1852:                             ;   in Loop: Header=BB287_15 Depth=1
	v_and_b32_e32 v0, 0xffff, v24
	v_mov_b32_e32 v8, 0x7c010000
	s_mov_b32 s14, exec_lo
	s_delay_alu instid0(VALU_DEP_2) | instskip(NEXT) | instid1(VALU_DEP_1)
	v_and_b32_e32 v9, 0x7f, v0
	v_cmpx_ne_u32_e32 0x7f, v9
	s_cbranch_execz .LBB287_1856
; %bb.1853:                             ;   in Loop: Header=BB287_15 Depth=1
	v_dual_lshrrev_b32 v7, 3, v9 :: v_dual_bitop2_b32 v6, 7, v0 bitop3:0x40
	s_mov_b32 s15, exec_lo
	v_cmpx_gt_u32_e32 8, v9
; %bb.1854:                             ;   in Loop: Header=BB287_15 Depth=1
	s_delay_alu instid0(VALU_DEP_2) | instskip(NEXT) | instid1(VALU_DEP_1)
	v_clz_i32_u32_e32 v6, v6
	v_min_u32_e32 v8, 32, v6
	s_delay_alu instid0(VALU_DEP_1) | instskip(NEXT) | instid1(VALU_DEP_1)
	v_subrev_nc_u32_e32 v6, 28, v8
	v_lshlrev_b64_e32 v[6:7], v6, v[24:25]
	s_delay_alu instid0(VALU_DEP_1)
	v_dual_sub_nc_u32 v7, 29, v8 :: v_dual_bitop2_b32 v6, 7, v6 bitop3:0x40
; %bb.1855:                             ;   in Loop: Header=BB287_15 Depth=1
	s_or_b32 exec_lo, exec_lo, s15
	s_delay_alu instid0(VALU_DEP_1) | instskip(NEXT) | instid1(VALU_DEP_2)
	v_dual_lshlrev_b32 v0, 8, v0 :: v_dual_lshlrev_b32 v6, 23, v6
	v_lshl_add_u32 v7, v7, 10, 0x2000
	s_delay_alu instid0(VALU_DEP_1) | instskip(NEXT) | instid1(VALU_DEP_1)
	v_and_or_b32 v0, 0x8000, v0, v7
	v_lshl_or_b32 v8, v0, 16, v6
.LBB287_1856:                           ;   in Loop: Header=BB287_15 Depth=1
	s_or_b32 exec_lo, exec_lo, s14
.LBB287_1857:                           ;   in Loop: Header=BB287_15 Depth=1
	s_delay_alu instid0(SALU_CYCLE_1)
	s_or_b32 exec_lo, exec_lo, s11
.LBB287_1858:                           ;   in Loop: Header=BB287_15 Depth=1
	s_delay_alu instid0(SALU_CYCLE_1) | instskip(SKIP_2) | instid1(VALU_DEP_1)
	s_or_b32 exec_lo, exec_lo, s8
	v_lshrrev_b32_e32 v0, 16, v5
	s_mov_b32 s8, exec_lo
	v_and_b32_e32 v6, 0xff, v0
	s_delay_alu instid0(VALU_DEP_1)
	v_cmpx_ne_u16_e32 0, v6
	s_cbranch_execz .LBB287_1866
; %bb.1859:                             ;   in Loop: Header=BB287_15 Depth=1
	v_cmp_ne_u16_e64 s1, 0x80, v6
	v_mov_b32_e32 v6, 0x8000
	scratch_store_b32 off, v6, s32 offset:812 ; 4-byte Folded Spill
	s_wait_xcnt 0x0
	s_and_saveexec_b32 s11, s1
	s_cbranch_execz .LBB287_1865
; %bb.1860:                             ;   in Loop: Header=BB287_15 Depth=1
	v_bfe_u32 v9, v5, 16, 7
	v_mov_b32_e32 v6, 0x7c01
	s_mov_b32 s14, exec_lo
	scratch_store_b32 off, v6, s32 offset:812 ; 4-byte Folded Spill
	s_wait_xcnt 0x0
	v_cmpx_ne_u32_e32 0x7f, v9
	s_cbranch_execz .LBB287_1864
; %bb.1861:                             ;   in Loop: Header=BB287_15 Depth=1
	v_dual_lshrrev_b32 v7, 3, v9 :: v_dual_bitop2_b32 v6, 7, v0 bitop3:0x40
	s_mov_b32 s15, exec_lo
	v_cmpx_gt_u32_e32 8, v9
; %bb.1862:                             ;   in Loop: Header=BB287_15 Depth=1
	s_delay_alu instid0(VALU_DEP_2) | instskip(NEXT) | instid1(VALU_DEP_1)
	v_clz_i32_u32_e32 v6, v6
	v_min_u32_e32 v9, 32, v6
	s_delay_alu instid0(VALU_DEP_1) | instskip(NEXT) | instid1(VALU_DEP_1)
	v_subrev_nc_u32_e32 v6, 28, v9
	v_lshlrev_b64_e32 v[6:7], v6, v[0:1]
	s_delay_alu instid0(VALU_DEP_1)
	v_dual_sub_nc_u32 v7, 29, v9 :: v_dual_bitop2_b32 v6, 7, v6 bitop3:0x40
; %bb.1863:                             ;   in Loop: Header=BB287_15 Depth=1
	s_or_b32 exec_lo, exec_lo, s15
	s_delay_alu instid0(VALU_DEP_1) | instskip(NEXT) | instid1(VALU_DEP_2)
	v_dual_lshlrev_b32 v0, 8, v0 :: v_dual_lshlrev_b32 v6, 7, v6
	v_lshl_add_u32 v7, v7, 10, 0x2000
	s_delay_alu instid0(VALU_DEP_2) | instskip(NEXT) | instid1(VALU_DEP_2)
	v_and_b32_e32 v0, 0x8000, v0
	v_and_b32_e32 v7, 0xfc00, v7
	s_delay_alu instid0(VALU_DEP_1)
	v_or3_b32 v0, v0, v7, v6
	scratch_store_b32 off, v0, s32 offset:812 ; 4-byte Folded Spill
.LBB287_1864:                           ;   in Loop: Header=BB287_15 Depth=1
	s_wait_xcnt 0x0
	s_or_b32 exec_lo, exec_lo, s14
.LBB287_1865:                           ;   in Loop: Header=BB287_15 Depth=1
	s_delay_alu instid0(SALU_CYCLE_1)
	s_or_b32 exec_lo, exec_lo, s11
.LBB287_1866:                           ;   in Loop: Header=BB287_15 Depth=1
	s_delay_alu instid0(SALU_CYCLE_1)
	s_or_b32 exec_lo, exec_lo, s8
	v_dual_mov_b32 v0, 0 :: v_dual_mov_b32 v124, 0
	s_mov_b32 s8, exec_lo
	scratch_store_b32 off, v0, s32 offset:816 ; 4-byte Folded Spill
	s_wait_xcnt 0x0
	v_cmpx_lt_u64_e64 s[4:5], v[4:5]
	s_cbranch_execz .LBB287_1874
; %bb.1867:                             ;   in Loop: Header=BB287_15 Depth=1
	v_lshrrev_b32_e32 v24, 24, v5
	v_bfrev_b32_e32 v124, 1
	s_mov_b32 s11, exec_lo
	s_delay_alu instid0(VALU_DEP_2)
	v_cmpx_ne_u32_e32 0x80, v24
	s_cbranch_execz .LBB287_1873
; %bb.1868:                             ;   in Loop: Header=BB287_15 Depth=1
	v_and_b32_e32 v5, 0x7f, v24
	v_mov_b32_e32 v124, 0x7c010000
	s_mov_b32 s14, exec_lo
	s_delay_alu instid0(VALU_DEP_2)
	v_cmpx_ne_u32_e32 0x7f, v5
	s_cbranch_execz .LBB287_1872
; %bb.1869:                             ;   in Loop: Header=BB287_15 Depth=1
	v_dual_lshrrev_b32 v4, 3, v5 :: v_dual_bitop2_b32 v0, 7, v24 bitop3:0x40
	s_mov_b32 s15, exec_lo
	v_cmpx_gt_u32_e32 8, v5
; %bb.1870:                             ;   in Loop: Header=BB287_15 Depth=1
	s_delay_alu instid0(VALU_DEP_2) | instskip(NEXT) | instid1(VALU_DEP_1)
	v_clz_i32_u32_e32 v0, v0
	v_min_u32_e32 v0, 32, v0
	s_delay_alu instid0(VALU_DEP_1) | instskip(NEXT) | instid1(VALU_DEP_1)
	v_subrev_nc_u32_e32 v4, 28, v0
	v_lshlrev_b64_e32 v[6:7], v4, v[24:25]
	s_delay_alu instid0(VALU_DEP_1)
	v_dual_sub_nc_u32 v4, 29, v0 :: v_dual_bitop2_b32 v0, 7, v6 bitop3:0x40
; %bb.1871:                             ;   in Loop: Header=BB287_15 Depth=1
	s_or_b32 exec_lo, exec_lo, s15
	v_lshlrev_b32_e32 v5, 8, v24
	s_delay_alu instid0(VALU_DEP_2) | instskip(NEXT) | instid1(VALU_DEP_3)
	v_lshl_add_u32 v4, v4, 10, 0x2000
	v_lshlrev_b32_e32 v0, 23, v0
	s_delay_alu instid0(VALU_DEP_2) | instskip(NEXT) | instid1(VALU_DEP_1)
	v_and_or_b32 v4, 0x8000, v5, v4
	v_lshl_or_b32 v124, v4, 16, v0
.LBB287_1872:                           ;   in Loop: Header=BB287_15 Depth=1
	s_or_b32 exec_lo, exec_lo, s14
.LBB287_1873:                           ;   in Loop: Header=BB287_15 Depth=1
	s_delay_alu instid0(SALU_CYCLE_1)
	s_or_b32 exec_lo, exec_lo, s11
.LBB287_1874:                           ;   in Loop: Header=BB287_15 Depth=1
	s_delay_alu instid0(SALU_CYCLE_1)
	s_or_b32 exec_lo, exec_lo, s8
	flat_load_b64 v[4:5], v[2:3] offset:7176
	s_mov_b32 s8, exec_lo
	s_wait_loadcnt_dscnt 0x0
	v_and_b32_e32 v0, 0xff, v4
	s_wait_xcnt 0x0
	s_delay_alu instid0(VALU_DEP_1)
	v_cmpx_ne_u16_e32 0, v0
	s_cbranch_execz .LBB287_1882
; %bb.1875:                             ;   in Loop: Header=BB287_15 Depth=1
	v_cmp_ne_u16_e64 s1, 0x80, v0
	v_mov_b32_e32 v0, 0x8000
	scratch_store_b32 off, v0, s32 offset:816 ; 4-byte Folded Spill
	s_wait_xcnt 0x0
	s_and_saveexec_b32 s11, s1
	s_cbranch_execz .LBB287_1881
; %bb.1876:                             ;   in Loop: Header=BB287_15 Depth=1
	v_and_b32_e32 v7, 0x7f, v4
	v_mov_b32_e32 v0, 0x7c01
	s_mov_b32 s14, exec_lo
	scratch_store_b32 off, v0, s32 offset:816 ; 4-byte Folded Spill
	s_wait_xcnt 0x0
	v_cmpx_ne_u32_e32 0x7f, v7
	s_cbranch_execz .LBB287_1880
; %bb.1877:                             ;   in Loop: Header=BB287_15 Depth=1
	v_dual_lshrrev_b32 v6, 3, v7 :: v_dual_bitop2_b32 v0, 7, v4 bitop3:0x40
	s_mov_b32 s15, exec_lo
	v_cmpx_gt_u32_e32 8, v7
	s_cbranch_execz .LBB287_1879
; %bb.1878:                             ;   in Loop: Header=BB287_15 Depth=1
	s_delay_alu instid0(VALU_DEP_2) | instskip(SKIP_1) | instid1(VALU_DEP_2)
	v_clz_i32_u32_e32 v0, v0
	v_dual_mov_b32 v7, v30 :: v_dual_mov_b32 v9, v31
	v_min_u32_e32 v0, 32, v0
	s_delay_alu instid0(VALU_DEP_1) | instskip(NEXT) | instid1(VALU_DEP_1)
	v_subrev_nc_u32_e32 v6, 28, v0
	v_lshlrev_b64_e32 v[30:31], v6, v[4:5]
	s_delay_alu instid0(VALU_DEP_4) | instskip(NEXT) | instid1(VALU_DEP_2)
	v_dual_mov_b32 v31, v9 :: v_dual_sub_nc_u32 v6, 29, v0
	v_dual_mov_b32 v30, v7 :: v_dual_bitop2_b32 v0, 7, v30 bitop3:0x40
.LBB287_1879:                           ;   in Loop: Header=BB287_15 Depth=1
	s_or_b32 exec_lo, exec_lo, s15
	v_lshlrev_b32_e32 v7, 8, v4
	s_delay_alu instid0(VALU_DEP_3) | instskip(NEXT) | instid1(VALU_DEP_3)
	v_lshl_add_u32 v6, v6, 10, 0x2000
	v_lshlrev_b32_e32 v0, 7, v0
	s_delay_alu instid0(VALU_DEP_3) | instskip(NEXT) | instid1(VALU_DEP_3)
	v_and_b32_e32 v7, 0x8000, v7
	v_and_b32_e32 v6, 0xfc00, v6
	s_delay_alu instid0(VALU_DEP_1)
	v_or3_b32 v0, v7, v6, v0
	scratch_store_b32 off, v0, s32 offset:816 ; 4-byte Folded Spill
.LBB287_1880:                           ;   in Loop: Header=BB287_15 Depth=1
	s_wait_xcnt 0x0
	s_or_b32 exec_lo, exec_lo, s14
.LBB287_1881:                           ;   in Loop: Header=BB287_15 Depth=1
	s_delay_alu instid0(SALU_CYCLE_1)
	s_or_b32 exec_lo, exec_lo, s11
.LBB287_1882:                           ;   in Loop: Header=BB287_15 Depth=1
	s_delay_alu instid0(SALU_CYCLE_1) | instskip(SKIP_3) | instid1(VALU_DEP_2)
	s_or_b32 exec_lo, exec_lo, s8
	v_lshrrev_b16 v24, 8, v4
	v_dual_mov_b32 v126, 0 :: v_dual_mov_b32 v125, 0
	s_mov_b32 s8, exec_lo
	v_cmpx_ne_u16_e32 0, v24
	s_cbranch_execz .LBB287_1890
; %bb.1883:                             ;   in Loop: Header=BB287_15 Depth=1
	v_bfrev_b32_e32 v125, 1
	s_mov_b32 s11, exec_lo
	v_cmpx_ne_u16_e32 0x80, v24
	s_cbranch_execz .LBB287_1889
; %bb.1884:                             ;   in Loop: Header=BB287_15 Depth=1
	v_and_b32_e32 v0, 0xffff, v24
	v_mov_b32_e32 v125, 0x7c010000
	s_mov_b32 s14, exec_lo
	s_delay_alu instid0(VALU_DEP_2) | instskip(NEXT) | instid1(VALU_DEP_1)
	v_and_b32_e32 v9, 0x7f, v0
	v_cmpx_ne_u32_e32 0x7f, v9
	s_cbranch_execz .LBB287_1888
; %bb.1885:                             ;   in Loop: Header=BB287_15 Depth=1
	v_dual_lshrrev_b32 v7, 3, v9 :: v_dual_bitop2_b32 v6, 7, v0 bitop3:0x40
	s_mov_b32 s15, exec_lo
	v_cmpx_gt_u32_e32 8, v9
; %bb.1886:                             ;   in Loop: Header=BB287_15 Depth=1
	s_delay_alu instid0(VALU_DEP_2) | instskip(NEXT) | instid1(VALU_DEP_1)
	v_clz_i32_u32_e32 v6, v6
	v_min_u32_e32 v9, 32, v6
	s_delay_alu instid0(VALU_DEP_1) | instskip(NEXT) | instid1(VALU_DEP_1)
	v_subrev_nc_u32_e32 v6, 28, v9
	v_lshlrev_b64_e32 v[6:7], v6, v[24:25]
	s_delay_alu instid0(VALU_DEP_1)
	v_dual_sub_nc_u32 v7, 29, v9 :: v_dual_bitop2_b32 v6, 7, v6 bitop3:0x40
; %bb.1887:                             ;   in Loop: Header=BB287_15 Depth=1
	s_or_b32 exec_lo, exec_lo, s15
	s_delay_alu instid0(VALU_DEP_1) | instskip(NEXT) | instid1(VALU_DEP_2)
	v_dual_lshlrev_b32 v0, 8, v0 :: v_dual_lshlrev_b32 v6, 23, v6
	v_lshl_add_u32 v7, v7, 10, 0x2000
	s_delay_alu instid0(VALU_DEP_1) | instskip(NEXT) | instid1(VALU_DEP_1)
	v_and_or_b32 v0, 0x8000, v0, v7
	v_lshl_or_b32 v125, v0, 16, v6
.LBB287_1888:                           ;   in Loop: Header=BB287_15 Depth=1
	s_or_b32 exec_lo, exec_lo, s14
.LBB287_1889:                           ;   in Loop: Header=BB287_15 Depth=1
	s_delay_alu instid0(SALU_CYCLE_1)
	s_or_b32 exec_lo, exec_lo, s11
.LBB287_1890:                           ;   in Loop: Header=BB287_15 Depth=1
	s_delay_alu instid0(SALU_CYCLE_1) | instskip(SKIP_2) | instid1(VALU_DEP_1)
	s_or_b32 exec_lo, exec_lo, s8
	v_lshrrev_b32_e32 v0, 16, v4
	s_mov_b32 s8, exec_lo
	v_and_b32_e32 v6, 0xff, v0
	s_delay_alu instid0(VALU_DEP_1)
	v_cmpx_ne_u16_e32 0, v6
	s_cbranch_execz .LBB287_1898
; %bb.1891:                             ;   in Loop: Header=BB287_15 Depth=1
	v_mov_b32_e32 v126, 0x8000
	s_mov_b32 s11, exec_lo
	v_cmpx_ne_u16_e32 0x80, v6
	s_cbranch_execz .LBB287_1897
; %bb.1892:                             ;   in Loop: Header=BB287_15 Depth=1
	v_bfe_u32 v9, v4, 16, 7
	v_mov_b32_e32 v126, 0x7c01
	s_mov_b32 s14, exec_lo
	s_delay_alu instid0(VALU_DEP_2)
	v_cmpx_ne_u32_e32 0x7f, v9
	s_cbranch_execz .LBB287_1896
; %bb.1893:                             ;   in Loop: Header=BB287_15 Depth=1
	v_dual_lshrrev_b32 v7, 3, v9 :: v_dual_bitop2_b32 v6, 7, v0 bitop3:0x40
	s_mov_b32 s15, exec_lo
	v_cmpx_gt_u32_e32 8, v9
; %bb.1894:                             ;   in Loop: Header=BB287_15 Depth=1
	s_delay_alu instid0(VALU_DEP_2) | instskip(NEXT) | instid1(VALU_DEP_1)
	v_clz_i32_u32_e32 v6, v6
	v_min_u32_e32 v9, 32, v6
	s_delay_alu instid0(VALU_DEP_1) | instskip(NEXT) | instid1(VALU_DEP_1)
	v_subrev_nc_u32_e32 v6, 28, v9
	v_lshlrev_b64_e32 v[6:7], v6, v[0:1]
	s_delay_alu instid0(VALU_DEP_1)
	v_dual_sub_nc_u32 v7, 29, v9 :: v_dual_bitop2_b32 v6, 7, v6 bitop3:0x40
; %bb.1895:                             ;   in Loop: Header=BB287_15 Depth=1
	s_or_b32 exec_lo, exec_lo, s15
	s_delay_alu instid0(VALU_DEP_1) | instskip(NEXT) | instid1(VALU_DEP_2)
	v_dual_lshlrev_b32 v0, 8, v0 :: v_dual_lshlrev_b32 v6, 7, v6
	v_lshl_add_u32 v7, v7, 10, 0x2000
	s_delay_alu instid0(VALU_DEP_2) | instskip(NEXT) | instid1(VALU_DEP_2)
	v_and_b32_e32 v0, 0x8000, v0
	v_and_b32_e32 v7, 0xfc00, v7
	s_delay_alu instid0(VALU_DEP_1)
	v_or3_b32 v126, v0, v7, v6
.LBB287_1896:                           ;   in Loop: Header=BB287_15 Depth=1
	s_or_b32 exec_lo, exec_lo, s14
.LBB287_1897:                           ;   in Loop: Header=BB287_15 Depth=1
	s_delay_alu instid0(SALU_CYCLE_1)
	s_or_b32 exec_lo, exec_lo, s11
.LBB287_1898:                           ;   in Loop: Header=BB287_15 Depth=1
	s_delay_alu instid0(SALU_CYCLE_1)
	s_or_b32 exec_lo, exec_lo, s8
	v_dual_mov_b32 v0, 0 :: v_dual_mov_b32 v127, 0
	s_mov_b32 s8, exec_lo
	scratch_store_b32 off, v0, s32 offset:820 ; 4-byte Folded Spill
	s_wait_xcnt 0x0
	v_cmpx_lt_u32_e32 0xffffff, v4
	s_cbranch_execz .LBB287_1906
; %bb.1899:                             ;   in Loop: Header=BB287_15 Depth=1
	v_lshrrev_b32_e32 v24, 24, v4
	v_bfrev_b32_e32 v127, 1
	s_mov_b32 s11, exec_lo
	s_delay_alu instid0(VALU_DEP_2)
	v_cmpx_ne_u32_e32 0x80, v24
	s_cbranch_execz .LBB287_1905
; %bb.1900:                             ;   in Loop: Header=BB287_15 Depth=1
	v_and_b32_e32 v7, 0x7f, v24
	v_mov_b32_e32 v127, 0x7c010000
	s_mov_b32 s14, exec_lo
	s_delay_alu instid0(VALU_DEP_2)
	v_cmpx_ne_u32_e32 0x7f, v7
	s_cbranch_execz .LBB287_1904
; %bb.1901:                             ;   in Loop: Header=BB287_15 Depth=1
	v_dual_lshrrev_b32 v6, 3, v7 :: v_dual_bitop2_b32 v0, 7, v24 bitop3:0x40
	s_mov_b32 s15, exec_lo
	v_cmpx_gt_u32_e32 8, v7
	s_cbranch_execz .LBB287_1903
; %bb.1902:                             ;   in Loop: Header=BB287_15 Depth=1
	s_delay_alu instid0(VALU_DEP_2) | instskip(SKIP_1) | instid1(VALU_DEP_2)
	v_clz_i32_u32_e32 v0, v0
	v_dual_mov_b32 v7, v30 :: v_dual_mov_b32 v9, v31
	v_min_u32_e32 v0, 32, v0
	s_delay_alu instid0(VALU_DEP_1) | instskip(NEXT) | instid1(VALU_DEP_1)
	v_subrev_nc_u32_e32 v6, 28, v0
	v_lshlrev_b64_e32 v[30:31], v6, v[24:25]
	s_delay_alu instid0(VALU_DEP_4) | instskip(NEXT) | instid1(VALU_DEP_2)
	v_dual_mov_b32 v31, v9 :: v_dual_sub_nc_u32 v6, 29, v0
	v_dual_mov_b32 v30, v7 :: v_dual_bitop2_b32 v0, 7, v30 bitop3:0x40
.LBB287_1903:                           ;   in Loop: Header=BB287_15 Depth=1
	s_or_b32 exec_lo, exec_lo, s15
	v_lshlrev_b32_e32 v7, 8, v24
	s_delay_alu instid0(VALU_DEP_3) | instskip(NEXT) | instid1(VALU_DEP_3)
	v_lshl_add_u32 v6, v6, 10, 0x2000
	v_lshlrev_b32_e32 v0, 23, v0
	s_delay_alu instid0(VALU_DEP_2) | instskip(NEXT) | instid1(VALU_DEP_1)
	v_and_or_b32 v6, 0x8000, v7, v6
	v_lshl_or_b32 v127, v6, 16, v0
.LBB287_1904:                           ;   in Loop: Header=BB287_15 Depth=1
	s_or_b32 exec_lo, exec_lo, s14
.LBB287_1905:                           ;   in Loop: Header=BB287_15 Depth=1
	s_delay_alu instid0(SALU_CYCLE_1)
	s_or_b32 exec_lo, exec_lo, s11
.LBB287_1906:                           ;   in Loop: Header=BB287_15 Depth=1
	s_delay_alu instid0(SALU_CYCLE_1) | instskip(SKIP_3) | instid1(VALU_DEP_2)
	s_or_b32 exec_lo, exec_lo, s8
	v_and_b32_e32 v0, 0xff, v5
	v_mov_b32_e32 v24, v5
	s_mov_b32 s8, exec_lo
	v_cmpx_ne_u16_e32 0, v0
	s_cbranch_execz .LBB287_1914
; %bb.1907:                             ;   in Loop: Header=BB287_15 Depth=1
	v_cmp_ne_u16_e64 s1, 0x80, v0
	v_mov_b32_e32 v0, 0x8000
	scratch_store_b32 off, v0, s32 offset:820 ; 4-byte Folded Spill
	s_wait_xcnt 0x0
	s_and_saveexec_b32 s11, s1
	s_cbranch_execz .LBB287_1913
; %bb.1908:                             ;   in Loop: Header=BB287_15 Depth=1
	v_and_b32_e32 v7, 0x7f, v5
	v_mov_b32_e32 v0, 0x7c01
	s_mov_b32 s14, exec_lo
	scratch_store_b32 off, v0, s32 offset:820 ; 4-byte Folded Spill
	s_wait_xcnt 0x0
	v_cmpx_ne_u32_e32 0x7f, v7
	s_cbranch_execz .LBB287_1912
; %bb.1909:                             ;   in Loop: Header=BB287_15 Depth=1
	v_dual_lshrrev_b32 v6, 3, v7 :: v_dual_bitop2_b32 v0, 7, v5 bitop3:0x40
	s_mov_b32 s15, exec_lo
	v_cmpx_gt_u32_e32 8, v7
	s_cbranch_execz .LBB287_1911
; %bb.1910:                             ;   in Loop: Header=BB287_15 Depth=1
	s_delay_alu instid0(VALU_DEP_2) | instskip(SKIP_1) | instid1(VALU_DEP_2)
	v_clz_i32_u32_e32 v0, v0
	v_dual_mov_b32 v7, v30 :: v_dual_mov_b32 v9, v31
	v_min_u32_e32 v0, 32, v0
	s_delay_alu instid0(VALU_DEP_1) | instskip(NEXT) | instid1(VALU_DEP_1)
	v_subrev_nc_u32_e32 v6, 28, v0
	v_lshlrev_b64_e32 v[30:31], v6, v[24:25]
	s_delay_alu instid0(VALU_DEP_4) | instskip(NEXT) | instid1(VALU_DEP_2)
	v_dual_mov_b32 v31, v9 :: v_dual_sub_nc_u32 v6, 29, v0
	v_dual_mov_b32 v30, v7 :: v_dual_bitop2_b32 v0, 7, v30 bitop3:0x40
.LBB287_1911:                           ;   in Loop: Header=BB287_15 Depth=1
	s_or_b32 exec_lo, exec_lo, s15
	s_delay_alu instid0(VALU_DEP_1) | instskip(NEXT) | instid1(VALU_DEP_3)
	v_dual_lshlrev_b32 v7, 8, v5 :: v_dual_lshlrev_b32 v0, 7, v0
	v_lshl_add_u32 v6, v6, 10, 0x2000
	s_delay_alu instid0(VALU_DEP_2) | instskip(NEXT) | instid1(VALU_DEP_2)
	v_and_b32_e32 v7, 0x8000, v7
	v_and_b32_e32 v6, 0xfc00, v6
	s_delay_alu instid0(VALU_DEP_1)
	v_or3_b32 v0, v7, v6, v0
	scratch_store_b32 off, v0, s32 offset:820 ; 4-byte Folded Spill
.LBB287_1912:                           ;   in Loop: Header=BB287_15 Depth=1
	s_wait_xcnt 0x0
	s_or_b32 exec_lo, exec_lo, s14
.LBB287_1913:                           ;   in Loop: Header=BB287_15 Depth=1
	s_delay_alu instid0(SALU_CYCLE_1)
	s_or_b32 exec_lo, exec_lo, s11
.LBB287_1914:                           ;   in Loop: Header=BB287_15 Depth=1
	s_delay_alu instid0(SALU_CYCLE_1)
	s_or_b32 exec_lo, exec_lo, s8
	v_lshrrev_b16 v24, 8, v24
	v_dual_mov_b32 v0, 0 :: v_dual_mov_b32 v12, 0
	s_mov_b32 s8, exec_lo
	scratch_store_b32 off, v0, s32 offset:824 ; 4-byte Folded Spill
	s_wait_xcnt 0x0
	v_cmpx_ne_u16_e32 0, v24
	s_cbranch_execz .LBB287_1922
; %bb.1915:                             ;   in Loop: Header=BB287_15 Depth=1
	v_bfrev_b32_e32 v12, 1
	s_mov_b32 s11, exec_lo
	v_cmpx_ne_u16_e32 0x80, v24
	s_cbranch_execz .LBB287_1921
; %bb.1916:                             ;   in Loop: Header=BB287_15 Depth=1
	v_and_b32_e32 v0, 0xffff, v24
	v_mov_b32_e32 v12, 0x7c010000
	s_mov_b32 s14, exec_lo
	s_delay_alu instid0(VALU_DEP_2) | instskip(NEXT) | instid1(VALU_DEP_1)
	v_and_b32_e32 v9, 0x7f, v0
	v_cmpx_ne_u32_e32 0x7f, v9
	s_cbranch_execz .LBB287_1920
; %bb.1917:                             ;   in Loop: Header=BB287_15 Depth=1
	v_dual_lshrrev_b32 v7, 3, v9 :: v_dual_bitop2_b32 v6, 7, v0 bitop3:0x40
	s_mov_b32 s15, exec_lo
	v_cmpx_gt_u32_e32 8, v9
; %bb.1918:                             ;   in Loop: Header=BB287_15 Depth=1
	s_delay_alu instid0(VALU_DEP_2) | instskip(NEXT) | instid1(VALU_DEP_1)
	v_clz_i32_u32_e32 v6, v6
	v_min_u32_e32 v9, 32, v6
	s_delay_alu instid0(VALU_DEP_1) | instskip(NEXT) | instid1(VALU_DEP_1)
	v_subrev_nc_u32_e32 v6, 28, v9
	v_lshlrev_b64_e32 v[6:7], v6, v[24:25]
	s_delay_alu instid0(VALU_DEP_1)
	v_dual_sub_nc_u32 v7, 29, v9 :: v_dual_bitop2_b32 v6, 7, v6 bitop3:0x40
; %bb.1919:                             ;   in Loop: Header=BB287_15 Depth=1
	s_or_b32 exec_lo, exec_lo, s15
	s_delay_alu instid0(VALU_DEP_1) | instskip(NEXT) | instid1(VALU_DEP_2)
	v_dual_lshlrev_b32 v0, 8, v0 :: v_dual_lshlrev_b32 v6, 23, v6
	v_lshl_add_u32 v7, v7, 10, 0x2000
	s_delay_alu instid0(VALU_DEP_1) | instskip(NEXT) | instid1(VALU_DEP_1)
	v_and_or_b32 v0, 0x8000, v0, v7
	v_lshl_or_b32 v12, v0, 16, v6
.LBB287_1920:                           ;   in Loop: Header=BB287_15 Depth=1
	s_or_b32 exec_lo, exec_lo, s14
.LBB287_1921:                           ;   in Loop: Header=BB287_15 Depth=1
	s_delay_alu instid0(SALU_CYCLE_1)
	s_or_b32 exec_lo, exec_lo, s11
.LBB287_1922:                           ;   in Loop: Header=BB287_15 Depth=1
	s_delay_alu instid0(SALU_CYCLE_1) | instskip(SKIP_2) | instid1(VALU_DEP_1)
	s_or_b32 exec_lo, exec_lo, s8
	v_lshrrev_b32_e32 v0, 16, v5
	s_mov_b32 s8, exec_lo
	v_and_b32_e32 v6, 0xff, v0
	s_delay_alu instid0(VALU_DEP_1)
	v_cmpx_ne_u16_e32 0, v6
	s_cbranch_execz .LBB287_1930
; %bb.1923:                             ;   in Loop: Header=BB287_15 Depth=1
	v_cmp_ne_u16_e64 s1, 0x80, v6
	v_mov_b32_e32 v6, 0x8000
	scratch_store_b32 off, v6, s32 offset:824 ; 4-byte Folded Spill
	s_wait_xcnt 0x0
	s_and_saveexec_b32 s11, s1
	s_cbranch_execz .LBB287_1929
; %bb.1924:                             ;   in Loop: Header=BB287_15 Depth=1
	v_bfe_u32 v9, v5, 16, 7
	v_mov_b32_e32 v6, 0x7c01
	s_mov_b32 s14, exec_lo
	scratch_store_b32 off, v6, s32 offset:824 ; 4-byte Folded Spill
	s_wait_xcnt 0x0
	v_cmpx_ne_u32_e32 0x7f, v9
	s_cbranch_execz .LBB287_1928
; %bb.1925:                             ;   in Loop: Header=BB287_15 Depth=1
	v_dual_lshrrev_b32 v7, 3, v9 :: v_dual_bitop2_b32 v6, 7, v0 bitop3:0x40
	s_mov_b32 s15, exec_lo
	v_cmpx_gt_u32_e32 8, v9
; %bb.1926:                             ;   in Loop: Header=BB287_15 Depth=1
	s_delay_alu instid0(VALU_DEP_2) | instskip(NEXT) | instid1(VALU_DEP_1)
	v_clz_i32_u32_e32 v6, v6
	v_min_u32_e32 v9, 32, v6
	s_delay_alu instid0(VALU_DEP_1) | instskip(NEXT) | instid1(VALU_DEP_1)
	v_subrev_nc_u32_e32 v6, 28, v9
	v_lshlrev_b64_e32 v[6:7], v6, v[0:1]
	s_delay_alu instid0(VALU_DEP_1)
	v_dual_sub_nc_u32 v7, 29, v9 :: v_dual_bitop2_b32 v6, 7, v6 bitop3:0x40
; %bb.1927:                             ;   in Loop: Header=BB287_15 Depth=1
	s_or_b32 exec_lo, exec_lo, s15
	s_delay_alu instid0(VALU_DEP_1) | instskip(NEXT) | instid1(VALU_DEP_2)
	v_dual_lshlrev_b32 v0, 8, v0 :: v_dual_lshlrev_b32 v6, 7, v6
	v_lshl_add_u32 v7, v7, 10, 0x2000
	s_delay_alu instid0(VALU_DEP_2) | instskip(NEXT) | instid1(VALU_DEP_2)
	v_and_b32_e32 v0, 0x8000, v0
	v_and_b32_e32 v7, 0xfc00, v7
	s_delay_alu instid0(VALU_DEP_1)
	v_or3_b32 v0, v0, v7, v6
	scratch_store_b32 off, v0, s32 offset:824 ; 4-byte Folded Spill
.LBB287_1928:                           ;   in Loop: Header=BB287_15 Depth=1
	s_wait_xcnt 0x0
	s_or_b32 exec_lo, exec_lo, s14
.LBB287_1929:                           ;   in Loop: Header=BB287_15 Depth=1
	s_delay_alu instid0(SALU_CYCLE_1)
	s_or_b32 exec_lo, exec_lo, s11
.LBB287_1930:                           ;   in Loop: Header=BB287_15 Depth=1
	s_delay_alu instid0(SALU_CYCLE_1)
	s_or_b32 exec_lo, exec_lo, s8
	v_dual_mov_b32 v0, 0 :: v_dual_mov_b32 v9, 0
	s_mov_b32 s8, exec_lo
	scratch_store_b32 off, v0, s32 offset:828 ; 4-byte Folded Spill
	s_wait_xcnt 0x0
	v_cmpx_lt_u64_e64 s[4:5], v[4:5]
	s_cbranch_execz .LBB287_1938
; %bb.1931:                             ;   in Loop: Header=BB287_15 Depth=1
	v_lshrrev_b32_e32 v24, 24, v5
	v_bfrev_b32_e32 v9, 1
	s_mov_b32 s11, exec_lo
	s_delay_alu instid0(VALU_DEP_2)
	v_cmpx_ne_u32_e32 0x80, v24
	s_cbranch_execz .LBB287_1937
; %bb.1932:                             ;   in Loop: Header=BB287_15 Depth=1
	v_and_b32_e32 v5, 0x7f, v24
	v_mov_b32_e32 v9, 0x7c010000
	s_mov_b32 s14, exec_lo
	s_delay_alu instid0(VALU_DEP_2)
	v_cmpx_ne_u32_e32 0x7f, v5
	s_cbranch_execz .LBB287_1936
; %bb.1933:                             ;   in Loop: Header=BB287_15 Depth=1
	v_dual_lshrrev_b32 v4, 3, v5 :: v_dual_bitop2_b32 v0, 7, v24 bitop3:0x40
	s_mov_b32 s15, exec_lo
	v_cmpx_gt_u32_e32 8, v5
; %bb.1934:                             ;   in Loop: Header=BB287_15 Depth=1
	s_delay_alu instid0(VALU_DEP_2) | instskip(NEXT) | instid1(VALU_DEP_1)
	v_clz_i32_u32_e32 v0, v0
	v_min_u32_e32 v0, 32, v0
	s_delay_alu instid0(VALU_DEP_1) | instskip(NEXT) | instid1(VALU_DEP_1)
	v_subrev_nc_u32_e32 v4, 28, v0
	v_lshlrev_b64_e32 v[6:7], v4, v[24:25]
	s_delay_alu instid0(VALU_DEP_1)
	v_dual_sub_nc_u32 v4, 29, v0 :: v_dual_bitop2_b32 v0, 7, v6 bitop3:0x40
; %bb.1935:                             ;   in Loop: Header=BB287_15 Depth=1
	s_or_b32 exec_lo, exec_lo, s15
	v_lshlrev_b32_e32 v5, 8, v24
	s_delay_alu instid0(VALU_DEP_2) | instskip(NEXT) | instid1(VALU_DEP_3)
	v_lshl_add_u32 v4, v4, 10, 0x2000
	v_lshlrev_b32_e32 v0, 23, v0
	s_delay_alu instid0(VALU_DEP_2) | instskip(NEXT) | instid1(VALU_DEP_1)
	v_and_or_b32 v4, 0x8000, v5, v4
	v_lshl_or_b32 v9, v4, 16, v0
.LBB287_1936:                           ;   in Loop: Header=BB287_15 Depth=1
	s_or_b32 exec_lo, exec_lo, s14
.LBB287_1937:                           ;   in Loop: Header=BB287_15 Depth=1
	s_delay_alu instid0(SALU_CYCLE_1)
	s_or_b32 exec_lo, exec_lo, s11
.LBB287_1938:                           ;   in Loop: Header=BB287_15 Depth=1
	s_delay_alu instid0(SALU_CYCLE_1)
	s_or_b32 exec_lo, exec_lo, s8
	flat_load_b64 v[4:5], v[2:3] offset:7680
	s_mov_b32 s8, exec_lo
	s_wait_loadcnt_dscnt 0x0
	v_and_b32_e32 v0, 0xff, v4
	s_wait_xcnt 0x0
	s_delay_alu instid0(VALU_DEP_1)
	v_cmpx_ne_u16_e32 0, v0
	s_cbranch_execz .LBB287_1946
; %bb.1939:                             ;   in Loop: Header=BB287_15 Depth=1
	v_cmp_ne_u16_e64 s1, 0x80, v0
	v_mov_b32_e32 v0, 0x8000
	scratch_store_b32 off, v0, s32 offset:828 ; 4-byte Folded Spill
	s_wait_xcnt 0x0
	s_and_saveexec_b32 s11, s1
	s_cbranch_execz .LBB287_1945
; %bb.1940:                             ;   in Loop: Header=BB287_15 Depth=1
	v_and_b32_e32 v7, 0x7f, v4
	v_mov_b32_e32 v0, 0x7c01
	s_mov_b32 s14, exec_lo
	scratch_store_b32 off, v0, s32 offset:828 ; 4-byte Folded Spill
	s_wait_xcnt 0x0
	v_cmpx_ne_u32_e32 0x7f, v7
	s_cbranch_execz .LBB287_1944
; %bb.1941:                             ;   in Loop: Header=BB287_15 Depth=1
	v_dual_lshrrev_b32 v6, 3, v7 :: v_dual_bitop2_b32 v0, 7, v4 bitop3:0x40
	s_mov_b32 s15, exec_lo
	v_cmpx_gt_u32_e32 8, v7
	s_cbranch_execz .LBB287_1943
; %bb.1942:                             ;   in Loop: Header=BB287_15 Depth=1
	s_delay_alu instid0(VALU_DEP_2) | instskip(SKIP_1) | instid1(VALU_DEP_2)
	v_clz_i32_u32_e32 v0, v0
	v_dual_mov_b32 v7, v30 :: v_dual_mov_b32 v10, v31
	v_min_u32_e32 v0, 32, v0
	s_delay_alu instid0(VALU_DEP_1) | instskip(NEXT) | instid1(VALU_DEP_1)
	v_subrev_nc_u32_e32 v6, 28, v0
	v_lshlrev_b64_e32 v[30:31], v6, v[4:5]
	s_delay_alu instid0(VALU_DEP_4) | instskip(NEXT) | instid1(VALU_DEP_2)
	v_dual_mov_b32 v31, v10 :: v_dual_sub_nc_u32 v6, 29, v0
	v_dual_mov_b32 v30, v7 :: v_dual_bitop2_b32 v0, 7, v30 bitop3:0x40
.LBB287_1943:                           ;   in Loop: Header=BB287_15 Depth=1
	s_or_b32 exec_lo, exec_lo, s15
	v_lshlrev_b32_e32 v7, 8, v4
	s_delay_alu instid0(VALU_DEP_3) | instskip(NEXT) | instid1(VALU_DEP_3)
	v_lshl_add_u32 v6, v6, 10, 0x2000
	v_lshlrev_b32_e32 v0, 7, v0
	s_delay_alu instid0(VALU_DEP_3) | instskip(NEXT) | instid1(VALU_DEP_3)
	v_and_b32_e32 v7, 0x8000, v7
	v_and_b32_e32 v6, 0xfc00, v6
	s_delay_alu instid0(VALU_DEP_1)
	v_or3_b32 v0, v7, v6, v0
	scratch_store_b32 off, v0, s32 offset:828 ; 4-byte Folded Spill
.LBB287_1944:                           ;   in Loop: Header=BB287_15 Depth=1
	s_wait_xcnt 0x0
	s_or_b32 exec_lo, exec_lo, s14
.LBB287_1945:                           ;   in Loop: Header=BB287_15 Depth=1
	s_delay_alu instid0(SALU_CYCLE_1)
	s_or_b32 exec_lo, exec_lo, s11
.LBB287_1946:                           ;   in Loop: Header=BB287_15 Depth=1
	s_delay_alu instid0(SALU_CYCLE_1)
	s_or_b32 exec_lo, exec_lo, s8
	v_lshrrev_b16 v24, 8, v4
	v_dual_mov_b32 v0, 0 :: v_dual_mov_b32 v7, 0
	s_mov_b32 s8, exec_lo
	scratch_store_b32 off, v0, s32 offset:832 ; 4-byte Folded Spill
	s_wait_xcnt 0x0
	v_cmpx_ne_u16_e32 0, v24
	s_cbranch_execz .LBB287_1954
; %bb.1947:                             ;   in Loop: Header=BB287_15 Depth=1
	v_bfrev_b32_e32 v7, 1
	s_mov_b32 s11, exec_lo
	v_cmpx_ne_u16_e32 0x80, v24
	s_cbranch_execz .LBB287_1953
; %bb.1948:                             ;   in Loop: Header=BB287_15 Depth=1
	v_and_b32_e32 v0, 0xffff, v24
	v_mov_b32_e32 v7, 0x7c010000
	s_mov_b32 s14, exec_lo
	s_delay_alu instid0(VALU_DEP_2) | instskip(NEXT) | instid1(VALU_DEP_1)
	v_and_b32_e32 v17, 0x7f, v0
	v_cmpx_ne_u32_e32 0x7f, v17
	s_cbranch_execz .LBB287_1952
; %bb.1949:                             ;   in Loop: Header=BB287_15 Depth=1
	v_dual_lshrrev_b32 v7, 3, v17 :: v_dual_bitop2_b32 v6, 7, v0 bitop3:0x40
	s_mov_b32 s15, exec_lo
	v_cmpx_gt_u32_e32 8, v17
; %bb.1950:                             ;   in Loop: Header=BB287_15 Depth=1
	s_delay_alu instid0(VALU_DEP_2) | instskip(NEXT) | instid1(VALU_DEP_1)
	v_clz_i32_u32_e32 v6, v6
	v_min_u32_e32 v10, 32, v6
	s_delay_alu instid0(VALU_DEP_1) | instskip(NEXT) | instid1(VALU_DEP_1)
	v_subrev_nc_u32_e32 v6, 28, v10
	v_lshlrev_b64_e32 v[6:7], v6, v[24:25]
	v_sub_nc_u32_e32 v7, 29, v10
	s_delay_alu instid0(VALU_DEP_2)
	v_and_b32_e32 v6, 7, v6
; %bb.1951:                             ;   in Loop: Header=BB287_15 Depth=1
	s_or_b32 exec_lo, exec_lo, s15
	s_delay_alu instid0(VALU_DEP_1) | instskip(NEXT) | instid1(VALU_DEP_3)
	v_dual_lshlrev_b32 v0, 8, v0 :: v_dual_lshlrev_b32 v6, 23, v6
	v_lshl_add_u32 v7, v7, 10, 0x2000
	s_delay_alu instid0(VALU_DEP_1) | instskip(NEXT) | instid1(VALU_DEP_1)
	v_and_or_b32 v0, 0x8000, v0, v7
	v_lshl_or_b32 v7, v0, 16, v6
.LBB287_1952:                           ;   in Loop: Header=BB287_15 Depth=1
	s_or_b32 exec_lo, exec_lo, s14
.LBB287_1953:                           ;   in Loop: Header=BB287_15 Depth=1
	s_delay_alu instid0(SALU_CYCLE_1)
	s_or_b32 exec_lo, exec_lo, s11
.LBB287_1954:                           ;   in Loop: Header=BB287_15 Depth=1
	s_delay_alu instid0(SALU_CYCLE_1) | instskip(SKIP_2) | instid1(VALU_DEP_1)
	s_or_b32 exec_lo, exec_lo, s8
	v_lshrrev_b32_e32 v0, 16, v4
	s_mov_b32 s8, exec_lo
	v_and_b32_e32 v6, 0xff, v0
	s_delay_alu instid0(VALU_DEP_1)
	v_cmpx_ne_u16_e32 0, v6
	s_cbranch_execz .LBB287_1962
; %bb.1955:                             ;   in Loop: Header=BB287_15 Depth=1
	v_cmp_ne_u16_e64 s1, 0x80, v6
	v_mov_b32_e32 v6, 0x8000
	scratch_store_b32 off, v6, s32 offset:832 ; 4-byte Folded Spill
	s_wait_xcnt 0x0
	s_and_saveexec_b32 s11, s1
	s_cbranch_execz .LBB287_1961
; %bb.1956:                             ;   in Loop: Header=BB287_15 Depth=1
	v_bfe_u32 v19, v4, 16, 7
	v_mov_b32_e32 v6, 0x7c01
	s_mov_b32 s14, exec_lo
	scratch_store_b32 off, v6, s32 offset:832 ; 4-byte Folded Spill
	s_wait_xcnt 0x0
	v_cmpx_ne_u32_e32 0x7f, v19
	s_cbranch_execz .LBB287_1960
; %bb.1957:                             ;   in Loop: Header=BB287_15 Depth=1
	v_dual_lshrrev_b32 v17, 3, v19 :: v_dual_bitop2_b32 v6, 7, v0 bitop3:0x40
	s_mov_b32 s15, exec_lo
	v_cmpx_gt_u32_e32 8, v19
	s_cbranch_execz .LBB287_1959
; %bb.1958:                             ;   in Loop: Header=BB287_15 Depth=1
	s_delay_alu instid0(VALU_DEP_2) | instskip(SKIP_1) | instid1(VALU_DEP_2)
	v_clz_i32_u32_e32 v6, v6
	v_dual_mov_b32 v16, v30 :: v_dual_mov_b32 v17, v31
	v_min_u32_e32 v6, 32, v6
	s_delay_alu instid0(VALU_DEP_1) | instskip(NEXT) | instid1(VALU_DEP_1)
	v_subrev_nc_u32_e32 v10, 28, v6
	v_lshlrev_b64_e32 v[30:31], v10, v[0:1]
	s_delay_alu instid0(VALU_DEP_4) | instskip(NEXT) | instid1(VALU_DEP_2)
	v_dual_mov_b32 v31, v17 :: v_dual_sub_nc_u32 v17, 29, v6
	v_dual_mov_b32 v30, v16 :: v_dual_bitop2_b32 v6, 7, v30 bitop3:0x40
.LBB287_1959:                           ;   in Loop: Header=BB287_15 Depth=1
	s_or_b32 exec_lo, exec_lo, s15
	s_delay_alu instid0(VALU_DEP_1) | instskip(NEXT) | instid1(VALU_DEP_3)
	v_dual_lshlrev_b32 v0, 8, v0 :: v_dual_lshlrev_b32 v6, 7, v6
	v_lshl_add_u32 v10, v17, 10, 0x2000
	s_delay_alu instid0(VALU_DEP_2) | instskip(NEXT) | instid1(VALU_DEP_2)
	v_and_b32_e32 v0, 0x8000, v0
	v_and_b32_e32 v10, 0xfc00, v10
	s_delay_alu instid0(VALU_DEP_1)
	v_or3_b32 v0, v0, v10, v6
	scratch_store_b32 off, v0, s32 offset:832 ; 4-byte Folded Spill
.LBB287_1960:                           ;   in Loop: Header=BB287_15 Depth=1
	s_wait_xcnt 0x0
	s_or_b32 exec_lo, exec_lo, s14
.LBB287_1961:                           ;   in Loop: Header=BB287_15 Depth=1
	s_delay_alu instid0(SALU_CYCLE_1)
	s_or_b32 exec_lo, exec_lo, s11
.LBB287_1962:                           ;   in Loop: Header=BB287_15 Depth=1
	s_delay_alu instid0(SALU_CYCLE_1)
	s_or_b32 exec_lo, exec_lo, s8
	v_dual_mov_b32 v0, 0 :: v_dual_mov_b32 v16, 0
	s_mov_b32 s8, exec_lo
	scratch_store_b32 off, v0, s32 offset:836 ; 4-byte Folded Spill
	s_wait_xcnt 0x0
	v_cmpx_lt_u32_e32 0xffffff, v4
	s_cbranch_execz .LBB287_1970
; %bb.1963:                             ;   in Loop: Header=BB287_15 Depth=1
	v_lshrrev_b32_e32 v24, 24, v4
	v_bfrev_b32_e32 v16, 1
	s_mov_b32 s11, exec_lo
	s_delay_alu instid0(VALU_DEP_2)
	v_cmpx_ne_u32_e32 0x80, v24
	s_cbranch_execz .LBB287_1969
; %bb.1964:                             ;   in Loop: Header=BB287_15 Depth=1
	v_and_b32_e32 v17, 0x7f, v24
	v_mov_b32_e32 v16, 0x7c010000
	s_mov_b32 s14, exec_lo
	s_delay_alu instid0(VALU_DEP_2)
	v_cmpx_ne_u32_e32 0x7f, v17
	s_cbranch_execz .LBB287_1968
; %bb.1965:                             ;   in Loop: Header=BB287_15 Depth=1
	v_dual_lshrrev_b32 v6, 3, v17 :: v_dual_bitop2_b32 v0, 7, v24 bitop3:0x40
	s_mov_b32 s15, exec_lo
	v_cmpx_gt_u32_e32 8, v17
	s_cbranch_execz .LBB287_1967
; %bb.1966:                             ;   in Loop: Header=BB287_15 Depth=1
	s_delay_alu instid0(VALU_DEP_2) | instskip(SKIP_1) | instid1(VALU_DEP_2)
	v_clz_i32_u32_e32 v0, v0
	v_dual_mov_b32 v10, v30 :: v_dual_mov_b32 v16, v31
	v_min_u32_e32 v0, 32, v0
	s_delay_alu instid0(VALU_DEP_1) | instskip(NEXT) | instid1(VALU_DEP_1)
	v_subrev_nc_u32_e32 v6, 28, v0
	v_lshlrev_b64_e32 v[30:31], v6, v[24:25]
	s_delay_alu instid0(VALU_DEP_4) | instskip(NEXT) | instid1(VALU_DEP_2)
	v_dual_mov_b32 v31, v16 :: v_dual_sub_nc_u32 v6, 29, v0
	v_dual_mov_b32 v30, v10 :: v_dual_bitop2_b32 v0, 7, v30 bitop3:0x40
.LBB287_1967:                           ;   in Loop: Header=BB287_15 Depth=1
	s_or_b32 exec_lo, exec_lo, s15
	v_lshlrev_b32_e32 v10, 8, v24
	s_delay_alu instid0(VALU_DEP_3) | instskip(NEXT) | instid1(VALU_DEP_3)
	v_lshl_add_u32 v6, v6, 10, 0x2000
	v_lshlrev_b32_e32 v0, 23, v0
	s_delay_alu instid0(VALU_DEP_2) | instskip(NEXT) | instid1(VALU_DEP_1)
	v_and_or_b32 v6, 0x8000, v10, v6
	v_lshl_or_b32 v16, v6, 16, v0
.LBB287_1968:                           ;   in Loop: Header=BB287_15 Depth=1
	s_or_b32 exec_lo, exec_lo, s14
.LBB287_1969:                           ;   in Loop: Header=BB287_15 Depth=1
	s_delay_alu instid0(SALU_CYCLE_1)
	s_or_b32 exec_lo, exec_lo, s11
.LBB287_1970:                           ;   in Loop: Header=BB287_15 Depth=1
	s_delay_alu instid0(SALU_CYCLE_1) | instskip(SKIP_3) | instid1(VALU_DEP_2)
	s_or_b32 exec_lo, exec_lo, s8
	v_and_b32_e32 v0, 0xff, v5
	v_mov_b32_e32 v24, v5
	s_mov_b32 s8, exec_lo
	v_cmpx_ne_u16_e32 0, v0
	s_cbranch_execz .LBB287_1978
; %bb.1971:                             ;   in Loop: Header=BB287_15 Depth=1
	v_cmp_ne_u16_e64 s1, 0x80, v0
	v_mov_b32_e32 v0, 0x8000
	scratch_store_b32 off, v0, s32 offset:836 ; 4-byte Folded Spill
	s_wait_xcnt 0x0
	s_and_saveexec_b32 s11, s1
	s_cbranch_execz .LBB287_1977
; %bb.1972:                             ;   in Loop: Header=BB287_15 Depth=1
	v_and_b32_e32 v17, 0x7f, v5
	v_mov_b32_e32 v0, 0x7c01
	s_mov_b32 s14, exec_lo
	scratch_store_b32 off, v0, s32 offset:836 ; 4-byte Folded Spill
	s_wait_xcnt 0x0
	v_cmpx_ne_u32_e32 0x7f, v17
	s_cbranch_execz .LBB287_1976
; %bb.1973:                             ;   in Loop: Header=BB287_15 Depth=1
	v_and_b32_e32 v0, 7, v5
	v_lshrrev_b32_e32 v6, 3, v17
	s_mov_b32 s15, exec_lo
	v_cmpx_gt_u32_e32 8, v17
	s_cbranch_execz .LBB287_1975
; %bb.1974:                             ;   in Loop: Header=BB287_15 Depth=1
	v_clz_i32_u32_e32 v0, v0
	v_dual_mov_b32 v10, v30 :: v_dual_mov_b32 v17, v31
	s_delay_alu instid0(VALU_DEP_2) | instskip(NEXT) | instid1(VALU_DEP_1)
	v_min_u32_e32 v0, 32, v0
	v_subrev_nc_u32_e32 v6, 28, v0
	s_delay_alu instid0(VALU_DEP_1) | instskip(NEXT) | instid1(VALU_DEP_4)
	v_lshlrev_b64_e32 v[30:31], v6, v[24:25]
	v_dual_mov_b32 v31, v17 :: v_dual_sub_nc_u32 v6, 29, v0
	s_delay_alu instid0(VALU_DEP_2)
	v_dual_mov_b32 v30, v10 :: v_dual_bitop2_b32 v0, 7, v30 bitop3:0x40
.LBB287_1975:                           ;   in Loop: Header=BB287_15 Depth=1
	s_or_b32 exec_lo, exec_lo, s15
	s_delay_alu instid0(VALU_DEP_1) | instskip(NEXT) | instid1(VALU_DEP_3)
	v_dual_lshlrev_b32 v10, 8, v5 :: v_dual_lshlrev_b32 v0, 7, v0
	v_lshl_add_u32 v6, v6, 10, 0x2000
	s_delay_alu instid0(VALU_DEP_2) | instskip(NEXT) | instid1(VALU_DEP_2)
	v_and_b32_e32 v10, 0x8000, v10
	v_and_b32_e32 v6, 0xfc00, v6
	s_delay_alu instid0(VALU_DEP_1)
	v_or3_b32 v0, v10, v6, v0
	scratch_store_b32 off, v0, s32 offset:836 ; 4-byte Folded Spill
.LBB287_1976:                           ;   in Loop: Header=BB287_15 Depth=1
	s_wait_xcnt 0x0
	s_or_b32 exec_lo, exec_lo, s14
.LBB287_1977:                           ;   in Loop: Header=BB287_15 Depth=1
	s_delay_alu instid0(SALU_CYCLE_1)
	s_or_b32 exec_lo, exec_lo, s11
.LBB287_1978:                           ;   in Loop: Header=BB287_15 Depth=1
	s_delay_alu instid0(SALU_CYCLE_1)
	s_or_b32 exec_lo, exec_lo, s8
	v_lshrrev_b16 v24, 8, v24
	v_dual_mov_b32 v0, 0 :: v_dual_mov_b32 v36, 0
	s_mov_b32 s8, exec_lo
	scratch_store_b32 off, v0, s32 offset:840 ; 4-byte Folded Spill
	s_wait_xcnt 0x0
	v_cmpx_ne_u16_e32 0, v24
	s_cbranch_execz .LBB287_1986
; %bb.1979:                             ;   in Loop: Header=BB287_15 Depth=1
	v_bfrev_b32_e32 v36, 1
	s_mov_b32 s11, exec_lo
	v_cmpx_ne_u16_e32 0x80, v24
	s_cbranch_execz .LBB287_1985
; %bb.1980:                             ;   in Loop: Header=BB287_15 Depth=1
	v_and_b32_e32 v0, 0xffff, v24
	v_mov_b32_e32 v36, 0x7c010000
	s_mov_b32 s14, exec_lo
	s_delay_alu instid0(VALU_DEP_2) | instskip(NEXT) | instid1(VALU_DEP_1)
	v_and_b32_e32 v19, 0x7f, v0
	v_cmpx_ne_u32_e32 0x7f, v19
	s_cbranch_execz .LBB287_1984
; %bb.1981:                             ;   in Loop: Header=BB287_15 Depth=1
	v_dual_lshrrev_b32 v17, 3, v19 :: v_dual_bitop2_b32 v6, 7, v0 bitop3:0x40
	s_mov_b32 s15, exec_lo
	v_cmpx_gt_u32_e32 8, v19
	s_cbranch_execz .LBB287_1983
; %bb.1982:                             ;   in Loop: Header=BB287_15 Depth=1
	s_delay_alu instid0(VALU_DEP_2) | instskip(SKIP_1) | instid1(VALU_DEP_2)
	v_clz_i32_u32_e32 v6, v6
	v_dual_mov_b32 v18, v30 :: v_dual_mov_b32 v17, v31
	v_min_u32_e32 v6, 32, v6
	s_delay_alu instid0(VALU_DEP_1) | instskip(NEXT) | instid1(VALU_DEP_1)
	v_subrev_nc_u32_e32 v10, 28, v6
	v_lshlrev_b64_e32 v[30:31], v10, v[24:25]
	s_delay_alu instid0(VALU_DEP_4) | instskip(NEXT) | instid1(VALU_DEP_2)
	v_dual_mov_b32 v31, v17 :: v_dual_sub_nc_u32 v17, 29, v6
	v_dual_mov_b32 v30, v18 :: v_dual_bitop2_b32 v6, 7, v30 bitop3:0x40
.LBB287_1983:                           ;   in Loop: Header=BB287_15 Depth=1
	s_or_b32 exec_lo, exec_lo, s15
	s_delay_alu instid0(VALU_DEP_1) | instskip(NEXT) | instid1(VALU_DEP_3)
	v_dual_lshlrev_b32 v0, 8, v0 :: v_dual_lshlrev_b32 v6, 23, v6
	v_lshl_add_u32 v10, v17, 10, 0x2000
	s_delay_alu instid0(VALU_DEP_1) | instskip(NEXT) | instid1(VALU_DEP_1)
	v_and_or_b32 v0, 0x8000, v0, v10
	v_lshl_or_b32 v36, v0, 16, v6
.LBB287_1984:                           ;   in Loop: Header=BB287_15 Depth=1
	s_or_b32 exec_lo, exec_lo, s14
.LBB287_1985:                           ;   in Loop: Header=BB287_15 Depth=1
	s_delay_alu instid0(SALU_CYCLE_1)
	s_or_b32 exec_lo, exec_lo, s11
.LBB287_1986:                           ;   in Loop: Header=BB287_15 Depth=1
	s_delay_alu instid0(SALU_CYCLE_1) | instskip(SKIP_2) | instid1(VALU_DEP_1)
	s_or_b32 exec_lo, exec_lo, s8
	v_lshrrev_b32_e32 v0, 16, v5
	s_mov_b32 s8, exec_lo
	v_and_b32_e32 v6, 0xff, v0
	s_delay_alu instid0(VALU_DEP_1)
	v_cmpx_ne_u16_e32 0, v6
	s_cbranch_execz .LBB287_1994
; %bb.1987:                             ;   in Loop: Header=BB287_15 Depth=1
	v_cmp_ne_u16_e64 s1, 0x80, v6
	v_mov_b32_e32 v6, 0x8000
	scratch_store_b32 off, v6, s32 offset:840 ; 4-byte Folded Spill
	s_wait_xcnt 0x0
	s_and_saveexec_b32 s11, s1
	s_cbranch_execz .LBB287_1993
; %bb.1988:                             ;   in Loop: Header=BB287_15 Depth=1
	v_bfe_u32 v19, v5, 16, 7
	v_mov_b32_e32 v6, 0x7c01
	s_mov_b32 s14, exec_lo
	scratch_store_b32 off, v6, s32 offset:840 ; 4-byte Folded Spill
	s_wait_xcnt 0x0
	v_cmpx_ne_u32_e32 0x7f, v19
	s_cbranch_execz .LBB287_1992
; %bb.1989:                             ;   in Loop: Header=BB287_15 Depth=1
	v_dual_lshrrev_b32 v17, 3, v19 :: v_dual_bitop2_b32 v6, 7, v0 bitop3:0x40
	s_mov_b32 s15, exec_lo
	v_cmpx_gt_u32_e32 8, v19
	s_cbranch_execz .LBB287_1991
; %bb.1990:                             ;   in Loop: Header=BB287_15 Depth=1
	s_delay_alu instid0(VALU_DEP_2) | instskip(SKIP_1) | instid1(VALU_DEP_2)
	v_clz_i32_u32_e32 v6, v6
	v_dual_mov_b32 v18, v30 :: v_dual_mov_b32 v17, v31
	v_min_u32_e32 v6, 32, v6
	s_delay_alu instid0(VALU_DEP_1) | instskip(NEXT) | instid1(VALU_DEP_1)
	v_subrev_nc_u32_e32 v10, 28, v6
	v_lshlrev_b64_e32 v[30:31], v10, v[0:1]
	s_delay_alu instid0(VALU_DEP_4) | instskip(NEXT) | instid1(VALU_DEP_2)
	v_dual_mov_b32 v31, v17 :: v_dual_sub_nc_u32 v17, 29, v6
	v_dual_mov_b32 v30, v18 :: v_dual_bitop2_b32 v6, 7, v30 bitop3:0x40
.LBB287_1991:                           ;   in Loop: Header=BB287_15 Depth=1
	s_or_b32 exec_lo, exec_lo, s15
	s_delay_alu instid0(VALU_DEP_1) | instskip(NEXT) | instid1(VALU_DEP_3)
	v_dual_lshlrev_b32 v0, 8, v0 :: v_dual_lshlrev_b32 v6, 7, v6
	v_lshl_add_u32 v10, v17, 10, 0x2000
	s_delay_alu instid0(VALU_DEP_2) | instskip(NEXT) | instid1(VALU_DEP_2)
	v_and_b32_e32 v0, 0x8000, v0
	v_and_b32_e32 v10, 0xfc00, v10
	s_delay_alu instid0(VALU_DEP_1)
	v_or3_b32 v0, v0, v10, v6
	scratch_store_b32 off, v0, s32 offset:840 ; 4-byte Folded Spill
.LBB287_1992:                           ;   in Loop: Header=BB287_15 Depth=1
	s_wait_xcnt 0x0
	s_or_b32 exec_lo, exec_lo, s14
.LBB287_1993:                           ;   in Loop: Header=BB287_15 Depth=1
	s_delay_alu instid0(SALU_CYCLE_1)
	s_or_b32 exec_lo, exec_lo, s11
.LBB287_1994:                           ;   in Loop: Header=BB287_15 Depth=1
	s_delay_alu instid0(SALU_CYCLE_1)
	s_or_b32 exec_lo, exec_lo, s8
	v_dual_mov_b32 v10, 0 :: v_dual_mov_b32 v34, 0
	s_mov_b32 s8, exec_lo
	v_cmpx_lt_u64_e64 s[4:5], v[4:5]
	s_cbranch_execz .LBB287_2002
; %bb.1995:                             ;   in Loop: Header=BB287_15 Depth=1
	v_lshrrev_b32_e32 v24, 24, v5
	v_bfrev_b32_e32 v34, 1
	s_mov_b32 s11, exec_lo
	s_delay_alu instid0(VALU_DEP_2)
	v_cmpx_ne_u32_e32 0x80, v24
	s_cbranch_execz .LBB287_2001
; %bb.1996:                             ;   in Loop: Header=BB287_15 Depth=1
	v_and_b32_e32 v5, 0x7f, v24
	v_mov_b32_e32 v34, 0x7c010000
	s_mov_b32 s14, exec_lo
	s_delay_alu instid0(VALU_DEP_2)
	v_cmpx_ne_u32_e32 0x7f, v5
	s_cbranch_execz .LBB287_2000
; %bb.1997:                             ;   in Loop: Header=BB287_15 Depth=1
	v_dual_lshrrev_b32 v4, 3, v5 :: v_dual_bitop2_b32 v0, 7, v24 bitop3:0x40
	s_mov_b32 s15, exec_lo
	v_cmpx_gt_u32_e32 8, v5
	s_cbranch_execz .LBB287_1999
; %bb.1998:                             ;   in Loop: Header=BB287_15 Depth=1
	s_delay_alu instid0(VALU_DEP_2) | instskip(SKIP_1) | instid1(VALU_DEP_2)
	v_clz_i32_u32_e32 v0, v0
	v_dual_mov_b32 v5, v30 :: v_dual_mov_b32 v6, v31
	v_min_u32_e32 v0, 32, v0
	s_delay_alu instid0(VALU_DEP_1) | instskip(NEXT) | instid1(VALU_DEP_1)
	v_subrev_nc_u32_e32 v4, 28, v0
	v_lshlrev_b64_e32 v[30:31], v4, v[24:25]
	s_delay_alu instid0(VALU_DEP_4) | instskip(NEXT) | instid1(VALU_DEP_2)
	v_dual_mov_b32 v31, v6 :: v_dual_sub_nc_u32 v4, 29, v0
	v_dual_mov_b32 v30, v5 :: v_dual_bitop2_b32 v0, 7, v30 bitop3:0x40
.LBB287_1999:                           ;   in Loop: Header=BB287_15 Depth=1
	s_or_b32 exec_lo, exec_lo, s15
	v_lshlrev_b32_e32 v5, 8, v24
	s_delay_alu instid0(VALU_DEP_3) | instskip(NEXT) | instid1(VALU_DEP_3)
	v_lshl_add_u32 v4, v4, 10, 0x2000
	v_lshlrev_b32_e32 v0, 23, v0
	s_delay_alu instid0(VALU_DEP_2) | instskip(NEXT) | instid1(VALU_DEP_1)
	v_and_or_b32 v4, 0x8000, v5, v4
	v_lshl_or_b32 v34, v4, 16, v0
.LBB287_2000:                           ;   in Loop: Header=BB287_15 Depth=1
	s_or_b32 exec_lo, exec_lo, s14
.LBB287_2001:                           ;   in Loop: Header=BB287_15 Depth=1
	s_delay_alu instid0(SALU_CYCLE_1)
	s_or_b32 exec_lo, exec_lo, s11
.LBB287_2002:                           ;   in Loop: Header=BB287_15 Depth=1
	s_delay_alu instid0(SALU_CYCLE_1)
	s_or_b32 exec_lo, exec_lo, s8
	flat_load_b64 v[2:3], v[2:3] offset:7688
	s_mov_b32 s8, exec_lo
	s_wait_loadcnt_dscnt 0x0
	v_and_b32_e32 v0, 0xff, v2
	s_wait_xcnt 0x0
	s_delay_alu instid0(VALU_DEP_1)
	v_cmpx_ne_u16_e32 0, v0
	s_cbranch_execz .LBB287_2010
; %bb.2003:                             ;   in Loop: Header=BB287_15 Depth=1
	v_mov_b32_e32 v10, 0x8000
	s_mov_b32 s11, exec_lo
	v_cmpx_ne_u16_e32 0x80, v0
	s_cbranch_execz .LBB287_2009
; %bb.2004:                             ;   in Loop: Header=BB287_15 Depth=1
	v_and_b32_e32 v5, 0x7f, v2
	v_mov_b32_e32 v10, 0x7c01
	s_mov_b32 s14, exec_lo
	s_delay_alu instid0(VALU_DEP_2)
	v_cmpx_ne_u32_e32 0x7f, v5
	s_cbranch_execz .LBB287_2008
; %bb.2005:                             ;   in Loop: Header=BB287_15 Depth=1
	v_dual_lshrrev_b32 v4, 3, v5 :: v_dual_bitop2_b32 v0, 7, v2 bitop3:0x40
	s_mov_b32 s15, exec_lo
	v_cmpx_gt_u32_e32 8, v5
	s_cbranch_execz .LBB287_2007
; %bb.2006:                             ;   in Loop: Header=BB287_15 Depth=1
	s_delay_alu instid0(VALU_DEP_2) | instskip(SKIP_1) | instid1(VALU_DEP_2)
	v_clz_i32_u32_e32 v0, v0
	v_dual_mov_b32 v5, v30 :: v_dual_mov_b32 v6, v31
	v_min_u32_e32 v0, 32, v0
	s_delay_alu instid0(VALU_DEP_1) | instskip(NEXT) | instid1(VALU_DEP_1)
	v_subrev_nc_u32_e32 v4, 28, v0
	v_lshlrev_b64_e32 v[30:31], v4, v[2:3]
	s_delay_alu instid0(VALU_DEP_4) | instskip(NEXT) | instid1(VALU_DEP_2)
	v_dual_mov_b32 v31, v6 :: v_dual_sub_nc_u32 v4, 29, v0
	v_dual_mov_b32 v30, v5 :: v_dual_bitop2_b32 v0, 7, v30 bitop3:0x40
.LBB287_2007:                           ;   in Loop: Header=BB287_15 Depth=1
	s_or_b32 exec_lo, exec_lo, s15
	s_delay_alu instid0(VALU_DEP_1) | instskip(NEXT) | instid1(VALU_DEP_3)
	v_dual_lshlrev_b32 v5, 8, v2 :: v_dual_lshlrev_b32 v0, 7, v0
	v_lshl_add_u32 v4, v4, 10, 0x2000
	s_delay_alu instid0(VALU_DEP_2) | instskip(NEXT) | instid1(VALU_DEP_2)
	v_and_b32_e32 v5, 0x8000, v5
	v_and_b32_e32 v4, 0xfc00, v4
	s_delay_alu instid0(VALU_DEP_1)
	v_or3_b32 v10, v5, v4, v0
.LBB287_2008:                           ;   in Loop: Header=BB287_15 Depth=1
	s_or_b32 exec_lo, exec_lo, s14
.LBB287_2009:                           ;   in Loop: Header=BB287_15 Depth=1
	s_delay_alu instid0(SALU_CYCLE_1)
	s_or_b32 exec_lo, exec_lo, s11
.LBB287_2010:                           ;   in Loop: Header=BB287_15 Depth=1
	s_delay_alu instid0(SALU_CYCLE_1)
	s_or_b32 exec_lo, exec_lo, s8
	v_lshrrev_b16 v24, 8, v2
	v_dual_mov_b32 v0, 0 :: v_dual_mov_b32 v19, 0
	s_mov_b32 s8, exec_lo
	scratch_store_b32 off, v0, s32 offset:844 ; 4-byte Folded Spill
	s_wait_xcnt 0x0
	v_cmpx_ne_u16_e32 0, v24
	s_cbranch_execz .LBB287_2018
; %bb.2011:                             ;   in Loop: Header=BB287_15 Depth=1
	v_bfrev_b32_e32 v19, 1
	s_mov_b32 s11, exec_lo
	v_cmpx_ne_u16_e32 0x80, v24
	s_cbranch_execz .LBB287_2017
; %bb.2012:                             ;   in Loop: Header=BB287_15 Depth=1
	v_and_b32_e32 v0, 0xffff, v24
	v_mov_b32_e32 v19, 0x7c010000
	s_mov_b32 s14, exec_lo
	s_delay_alu instid0(VALU_DEP_2) | instskip(NEXT) | instid1(VALU_DEP_1)
	v_and_b32_e32 v6, 0x7f, v0
	v_cmpx_ne_u32_e32 0x7f, v6
	s_cbranch_execz .LBB287_2016
; %bb.2013:                             ;   in Loop: Header=BB287_15 Depth=1
	v_dual_lshrrev_b32 v5, 3, v6 :: v_dual_bitop2_b32 v4, 7, v0 bitop3:0x40
	s_mov_b32 s15, exec_lo
	v_cmpx_gt_u32_e32 8, v6
; %bb.2014:                             ;   in Loop: Header=BB287_15 Depth=1
	s_delay_alu instid0(VALU_DEP_2) | instskip(NEXT) | instid1(VALU_DEP_1)
	v_clz_i32_u32_e32 v4, v4
	v_min_u32_e32 v6, 32, v4
	s_delay_alu instid0(VALU_DEP_1) | instskip(NEXT) | instid1(VALU_DEP_1)
	v_subrev_nc_u32_e32 v4, 28, v6
	v_lshlrev_b64_e32 v[4:5], v4, v[24:25]
	s_delay_alu instid0(VALU_DEP_1)
	v_dual_sub_nc_u32 v5, 29, v6 :: v_dual_bitop2_b32 v4, 7, v4 bitop3:0x40
; %bb.2015:                             ;   in Loop: Header=BB287_15 Depth=1
	s_or_b32 exec_lo, exec_lo, s15
	v_lshlrev_b32_e32 v0, 8, v0
	s_delay_alu instid0(VALU_DEP_2) | instskip(NEXT) | instid1(VALU_DEP_3)
	v_lshl_add_u32 v5, v5, 10, 0x2000
	v_lshlrev_b32_e32 v4, 23, v4
	s_delay_alu instid0(VALU_DEP_2) | instskip(NEXT) | instid1(VALU_DEP_1)
	v_and_or_b32 v0, 0x8000, v0, v5
	v_lshl_or_b32 v19, v0, 16, v4
.LBB287_2016:                           ;   in Loop: Header=BB287_15 Depth=1
	s_or_b32 exec_lo, exec_lo, s14
.LBB287_2017:                           ;   in Loop: Header=BB287_15 Depth=1
	s_delay_alu instid0(SALU_CYCLE_1)
	s_or_b32 exec_lo, exec_lo, s11
.LBB287_2018:                           ;   in Loop: Header=BB287_15 Depth=1
	s_delay_alu instid0(SALU_CYCLE_1) | instskip(SKIP_2) | instid1(VALU_DEP_1)
	s_or_b32 exec_lo, exec_lo, s8
	v_lshrrev_b32_e32 v0, 16, v2
	s_mov_b32 s8, exec_lo
	v_and_b32_e32 v4, 0xff, v0
	s_delay_alu instid0(VALU_DEP_1)
	v_cmpx_ne_u16_e32 0, v4
	s_cbranch_execz .LBB287_2026
; %bb.2019:                             ;   in Loop: Header=BB287_15 Depth=1
	v_cmp_ne_u16_e64 s1, 0x80, v4
	v_mov_b32_e32 v4, 0x8000
	scratch_store_b32 off, v4, s32 offset:844 ; 4-byte Folded Spill
	s_wait_xcnt 0x0
	s_and_saveexec_b32 s11, s1
	s_cbranch_execz .LBB287_2025
; %bb.2020:                             ;   in Loop: Header=BB287_15 Depth=1
	v_bfe_u32 v6, v2, 16, 7
	v_mov_b32_e32 v4, 0x7c01
	s_mov_b32 s14, exec_lo
	scratch_store_b32 off, v4, s32 offset:844 ; 4-byte Folded Spill
	s_wait_xcnt 0x0
	v_cmpx_ne_u32_e32 0x7f, v6
	s_cbranch_execz .LBB287_2024
; %bb.2021:                             ;   in Loop: Header=BB287_15 Depth=1
	v_dual_lshrrev_b32 v5, 3, v6 :: v_dual_bitop2_b32 v4, 7, v0 bitop3:0x40
	s_mov_b32 s15, exec_lo
	v_cmpx_gt_u32_e32 8, v6
; %bb.2022:                             ;   in Loop: Header=BB287_15 Depth=1
	s_delay_alu instid0(VALU_DEP_2) | instskip(NEXT) | instid1(VALU_DEP_1)
	v_clz_i32_u32_e32 v4, v4
	v_min_u32_e32 v6, 32, v4
	s_delay_alu instid0(VALU_DEP_1) | instskip(NEXT) | instid1(VALU_DEP_1)
	v_subrev_nc_u32_e32 v4, 28, v6
	v_lshlrev_b64_e32 v[4:5], v4, v[0:1]
	s_delay_alu instid0(VALU_DEP_1)
	v_dual_sub_nc_u32 v5, 29, v6 :: v_dual_bitop2_b32 v4, 7, v4 bitop3:0x40
; %bb.2023:                             ;   in Loop: Header=BB287_15 Depth=1
	s_or_b32 exec_lo, exec_lo, s15
	v_lshlrev_b32_e32 v0, 8, v0
	s_delay_alu instid0(VALU_DEP_2) | instskip(NEXT) | instid1(VALU_DEP_3)
	v_lshl_add_u32 v5, v5, 10, 0x2000
	v_lshlrev_b32_e32 v4, 7, v4
	s_delay_alu instid0(VALU_DEP_3) | instskip(NEXT) | instid1(VALU_DEP_3)
	v_and_b32_e32 v0, 0x8000, v0
	v_and_b32_e32 v5, 0xfc00, v5
	s_delay_alu instid0(VALU_DEP_1)
	v_or3_b32 v0, v0, v5, v4
	scratch_store_b32 off, v0, s32 offset:844 ; 4-byte Folded Spill
.LBB287_2024:                           ;   in Loop: Header=BB287_15 Depth=1
	s_wait_xcnt 0x0
	s_or_b32 exec_lo, exec_lo, s14
.LBB287_2025:                           ;   in Loop: Header=BB287_15 Depth=1
	s_delay_alu instid0(SALU_CYCLE_1)
	s_or_b32 exec_lo, exec_lo, s11
.LBB287_2026:                           ;   in Loop: Header=BB287_15 Depth=1
	s_delay_alu instid0(SALU_CYCLE_1)
	s_or_b32 exec_lo, exec_lo, s8
	v_dual_mov_b32 v0, 0 :: v_dual_mov_b32 v17, 0
	s_mov_b32 s8, exec_lo
	scratch_store_b32 off, v0, s32 offset:848 ; 4-byte Folded Spill
	s_wait_xcnt 0x0
	v_cmpx_lt_u32_e32 0xffffff, v2
	s_cbranch_execz .LBB287_2034
; %bb.2027:                             ;   in Loop: Header=BB287_15 Depth=1
	v_lshrrev_b32_e32 v24, 24, v2
	v_bfrev_b32_e32 v17, 1
	s_mov_b32 s11, exec_lo
	s_delay_alu instid0(VALU_DEP_2)
	v_cmpx_ne_u32_e32 0x80, v24
	s_cbranch_execz .LBB287_2033
; %bb.2028:                             ;   in Loop: Header=BB287_15 Depth=1
	v_and_b32_e32 v5, 0x7f, v24
	v_mov_b32_e32 v17, 0x7c010000
	s_mov_b32 s14, exec_lo
	s_delay_alu instid0(VALU_DEP_2)
	v_cmpx_ne_u32_e32 0x7f, v5
	s_cbranch_execz .LBB287_2032
; %bb.2029:                             ;   in Loop: Header=BB287_15 Depth=1
	v_dual_lshrrev_b32 v4, 3, v5 :: v_dual_bitop2_b32 v0, 7, v24 bitop3:0x40
	s_mov_b32 s15, exec_lo
	v_cmpx_gt_u32_e32 8, v5
; %bb.2030:                             ;   in Loop: Header=BB287_15 Depth=1
	s_delay_alu instid0(VALU_DEP_2) | instskip(NEXT) | instid1(VALU_DEP_1)
	v_clz_i32_u32_e32 v0, v0
	v_min_u32_e32 v0, 32, v0
	s_delay_alu instid0(VALU_DEP_1) | instskip(NEXT) | instid1(VALU_DEP_1)
	v_subrev_nc_u32_e32 v4, 28, v0
	v_lshlrev_b64_e32 v[54:55], v4, v[24:25]
	s_delay_alu instid0(VALU_DEP_1)
	v_dual_sub_nc_u32 v4, 29, v0 :: v_dual_bitop2_b32 v0, 7, v54 bitop3:0x40
; %bb.2031:                             ;   in Loop: Header=BB287_15 Depth=1
	s_or_b32 exec_lo, exec_lo, s15
	v_lshlrev_b32_e32 v5, 8, v24
	s_delay_alu instid0(VALU_DEP_2) | instskip(NEXT) | instid1(VALU_DEP_3)
	v_lshl_add_u32 v4, v4, 10, 0x2000
	v_lshlrev_b32_e32 v0, 23, v0
	s_delay_alu instid0(VALU_DEP_2) | instskip(NEXT) | instid1(VALU_DEP_1)
	v_and_or_b32 v4, 0x8000, v5, v4
	v_lshl_or_b32 v17, v4, 16, v0
.LBB287_2032:                           ;   in Loop: Header=BB287_15 Depth=1
	s_or_b32 exec_lo, exec_lo, s14
.LBB287_2033:                           ;   in Loop: Header=BB287_15 Depth=1
	s_delay_alu instid0(SALU_CYCLE_1)
	s_or_b32 exec_lo, exec_lo, s11
.LBB287_2034:                           ;   in Loop: Header=BB287_15 Depth=1
	s_delay_alu instid0(SALU_CYCLE_1) | instskip(SKIP_3) | instid1(VALU_DEP_2)
	s_or_b32 exec_lo, exec_lo, s8
	v_and_b32_e32 v0, 0xff, v3
	v_mov_b32_e32 v24, v3
	s_mov_b32 s8, exec_lo
	v_cmpx_ne_u16_e32 0, v0
	s_cbranch_execz .LBB287_2042
; %bb.2035:                             ;   in Loop: Header=BB287_15 Depth=1
	v_cmp_ne_u16_e64 s1, 0x80, v0
	v_mov_b32_e32 v0, 0x8000
	scratch_store_b32 off, v0, s32 offset:848 ; 4-byte Folded Spill
	s_wait_xcnt 0x0
	s_and_saveexec_b32 s11, s1
	s_cbranch_execz .LBB287_2041
; %bb.2036:                             ;   in Loop: Header=BB287_15 Depth=1
	v_and_b32_e32 v5, 0x7f, v3
	v_mov_b32_e32 v0, 0x7c01
	s_mov_b32 s14, exec_lo
	scratch_store_b32 off, v0, s32 offset:848 ; 4-byte Folded Spill
	s_wait_xcnt 0x0
	v_cmpx_ne_u32_e32 0x7f, v5
	s_cbranch_execz .LBB287_2040
; %bb.2037:                             ;   in Loop: Header=BB287_15 Depth=1
	v_dual_lshrrev_b32 v4, 3, v5 :: v_dual_bitop2_b32 v0, 7, v3 bitop3:0x40
	s_mov_b32 s15, exec_lo
	v_cmpx_gt_u32_e32 8, v5
	s_cbranch_execz .LBB287_2039
; %bb.2038:                             ;   in Loop: Header=BB287_15 Depth=1
	s_delay_alu instid0(VALU_DEP_2) | instskip(SKIP_1) | instid1(VALU_DEP_2)
	v_clz_i32_u32_e32 v0, v0
	v_dual_mov_b32 v5, v30 :: v_dual_mov_b32 v6, v31
	v_min_u32_e32 v0, 32, v0
	s_delay_alu instid0(VALU_DEP_1) | instskip(NEXT) | instid1(VALU_DEP_1)
	v_subrev_nc_u32_e32 v4, 28, v0
	v_lshlrev_b64_e32 v[30:31], v4, v[24:25]
	s_delay_alu instid0(VALU_DEP_4) | instskip(NEXT) | instid1(VALU_DEP_2)
	v_dual_mov_b32 v31, v6 :: v_dual_sub_nc_u32 v4, 29, v0
	v_dual_mov_b32 v30, v5 :: v_dual_bitop2_b32 v0, 7, v30 bitop3:0x40
.LBB287_2039:                           ;   in Loop: Header=BB287_15 Depth=1
	s_or_b32 exec_lo, exec_lo, s15
	s_delay_alu instid0(VALU_DEP_1) | instskip(NEXT) | instid1(VALU_DEP_3)
	v_dual_lshlrev_b32 v5, 8, v3 :: v_dual_lshlrev_b32 v0, 7, v0
	v_lshl_add_u32 v4, v4, 10, 0x2000
	s_delay_alu instid0(VALU_DEP_2) | instskip(NEXT) | instid1(VALU_DEP_2)
	v_and_b32_e32 v5, 0x8000, v5
	v_and_b32_e32 v4, 0xfc00, v4
	s_delay_alu instid0(VALU_DEP_1)
	v_or3_b32 v0, v5, v4, v0
	scratch_store_b32 off, v0, s32 offset:848 ; 4-byte Folded Spill
.LBB287_2040:                           ;   in Loop: Header=BB287_15 Depth=1
	s_wait_xcnt 0x0
	s_or_b32 exec_lo, exec_lo, s14
.LBB287_2041:                           ;   in Loop: Header=BB287_15 Depth=1
	s_delay_alu instid0(SALU_CYCLE_1)
	s_or_b32 exec_lo, exec_lo, s11
.LBB287_2042:                           ;   in Loop: Header=BB287_15 Depth=1
	s_delay_alu instid0(SALU_CYCLE_1) | instskip(SKIP_3) | instid1(VALU_DEP_2)
	s_or_b32 exec_lo, exec_lo, s8
	v_lshrrev_b16 v24, 8, v24
	v_dual_mov_b32 v18, 0 :: v_dual_mov_b32 v37, 0
	s_mov_b32 s8, exec_lo
	v_cmpx_ne_u16_e32 0, v24
	s_cbranch_execz .LBB287_2050
; %bb.2043:                             ;   in Loop: Header=BB287_15 Depth=1
	v_bfrev_b32_e32 v37, 1
	s_mov_b32 s11, exec_lo
	v_cmpx_ne_u16_e32 0x80, v24
	s_cbranch_execz .LBB287_2049
; %bb.2044:                             ;   in Loop: Header=BB287_15 Depth=1
	v_and_b32_e32 v0, 0xffff, v24
	v_mov_b32_e32 v37, 0x7c010000
	s_mov_b32 s14, exec_lo
	s_delay_alu instid0(VALU_DEP_2) | instskip(NEXT) | instid1(VALU_DEP_1)
	v_and_b32_e32 v6, 0x7f, v0
	v_cmpx_ne_u32_e32 0x7f, v6
	s_cbranch_execz .LBB287_2048
; %bb.2045:                             ;   in Loop: Header=BB287_15 Depth=1
	v_dual_lshrrev_b32 v5, 3, v6 :: v_dual_bitop2_b32 v4, 7, v0 bitop3:0x40
	s_mov_b32 s15, exec_lo
	v_cmpx_gt_u32_e32 8, v6
; %bb.2046:                             ;   in Loop: Header=BB287_15 Depth=1
	s_delay_alu instid0(VALU_DEP_2) | instskip(NEXT) | instid1(VALU_DEP_1)
	v_clz_i32_u32_e32 v4, v4
	v_min_u32_e32 v6, 32, v4
	s_delay_alu instid0(VALU_DEP_1) | instskip(NEXT) | instid1(VALU_DEP_1)
	v_subrev_nc_u32_e32 v4, 28, v6
	v_lshlrev_b64_e32 v[4:5], v4, v[24:25]
	s_delay_alu instid0(VALU_DEP_1)
	v_dual_sub_nc_u32 v5, 29, v6 :: v_dual_bitop2_b32 v4, 7, v4 bitop3:0x40
; %bb.2047:                             ;   in Loop: Header=BB287_15 Depth=1
	s_or_b32 exec_lo, exec_lo, s15
	v_lshlrev_b32_e32 v0, 8, v0
	s_delay_alu instid0(VALU_DEP_2) | instskip(NEXT) | instid1(VALU_DEP_3)
	v_lshl_add_u32 v5, v5, 10, 0x2000
	v_lshlrev_b32_e32 v4, 23, v4
	s_delay_alu instid0(VALU_DEP_2) | instskip(NEXT) | instid1(VALU_DEP_1)
	v_and_or_b32 v0, 0x8000, v0, v5
	v_lshl_or_b32 v37, v0, 16, v4
.LBB287_2048:                           ;   in Loop: Header=BB287_15 Depth=1
	s_or_b32 exec_lo, exec_lo, s14
.LBB287_2049:                           ;   in Loop: Header=BB287_15 Depth=1
	s_delay_alu instid0(SALU_CYCLE_1)
	s_or_b32 exec_lo, exec_lo, s11
.LBB287_2050:                           ;   in Loop: Header=BB287_15 Depth=1
	s_delay_alu instid0(SALU_CYCLE_1) | instskip(SKIP_2) | instid1(VALU_DEP_1)
	s_or_b32 exec_lo, exec_lo, s8
	v_lshrrev_b32_e32 v0, 16, v3
	s_mov_b32 s8, exec_lo
	v_and_b32_e32 v4, 0xff, v0
	s_delay_alu instid0(VALU_DEP_1)
	v_cmpx_ne_u16_e32 0, v4
	s_cbranch_execz .LBB287_2058
; %bb.2051:                             ;   in Loop: Header=BB287_15 Depth=1
	v_mov_b32_e32 v18, 0x8000
	s_mov_b32 s11, exec_lo
	v_cmpx_ne_u16_e32 0x80, v4
	s_cbranch_execz .LBB287_2057
; %bb.2052:                             ;   in Loop: Header=BB287_15 Depth=1
	v_bfe_u32 v6, v3, 16, 7
	v_mov_b32_e32 v18, 0x7c01
	s_mov_b32 s14, exec_lo
	s_delay_alu instid0(VALU_DEP_2)
	v_cmpx_ne_u32_e32 0x7f, v6
	s_cbranch_execz .LBB287_2056
; %bb.2053:                             ;   in Loop: Header=BB287_15 Depth=1
	v_dual_lshrrev_b32 v5, 3, v6 :: v_dual_bitop2_b32 v4, 7, v0 bitop3:0x40
	s_mov_b32 s15, exec_lo
	v_cmpx_gt_u32_e32 8, v6
; %bb.2054:                             ;   in Loop: Header=BB287_15 Depth=1
	s_delay_alu instid0(VALU_DEP_2) | instskip(NEXT) | instid1(VALU_DEP_1)
	v_clz_i32_u32_e32 v4, v4
	v_min_u32_e32 v6, 32, v4
	s_delay_alu instid0(VALU_DEP_1) | instskip(NEXT) | instid1(VALU_DEP_1)
	v_subrev_nc_u32_e32 v4, 28, v6
	v_lshlrev_b64_e32 v[4:5], v4, v[0:1]
	s_delay_alu instid0(VALU_DEP_1)
	v_dual_sub_nc_u32 v5, 29, v6 :: v_dual_bitop2_b32 v4, 7, v4 bitop3:0x40
; %bb.2055:                             ;   in Loop: Header=BB287_15 Depth=1
	s_or_b32 exec_lo, exec_lo, s15
	v_lshlrev_b32_e32 v0, 8, v0
	s_delay_alu instid0(VALU_DEP_2) | instskip(NEXT) | instid1(VALU_DEP_3)
	v_lshl_add_u32 v5, v5, 10, 0x2000
	v_lshlrev_b32_e32 v4, 7, v4
	s_delay_alu instid0(VALU_DEP_3) | instskip(NEXT) | instid1(VALU_DEP_3)
	v_and_b32_e32 v0, 0x8000, v0
	v_and_b32_e32 v5, 0xfc00, v5
	s_delay_alu instid0(VALU_DEP_1)
	v_or3_b32 v18, v0, v5, v4
.LBB287_2056:                           ;   in Loop: Header=BB287_15 Depth=1
	s_or_b32 exec_lo, exec_lo, s14
.LBB287_2057:                           ;   in Loop: Header=BB287_15 Depth=1
	s_delay_alu instid0(SALU_CYCLE_1)
	s_or_b32 exec_lo, exec_lo, s11
.LBB287_2058:                           ;   in Loop: Header=BB287_15 Depth=1
	s_delay_alu instid0(SALU_CYCLE_1)
	s_or_b32 exec_lo, exec_lo, s8
	v_mov_b32_e32 v6, 0
	s_mov_b32 s8, exec_lo
	s_clause 0x2
	scratch_store_b32 off, v10, s32 offset:888
	scratch_store_b32 off, v11, s32 offset:884
	;; [unrolled: 1-line block ×3, first 2 shown]
	s_wait_xcnt 0x0
	v_cmpx_lt_u64_e64 s[4:5], v[2:3]
	s_cbranch_execz .LBB287_13
; %bb.2059:                             ;   in Loop: Header=BB287_15 Depth=1
	v_lshrrev_b32_e32 v24, 24, v3
	v_bfrev_b32_e32 v6, 1
	s_mov_b32 s11, exec_lo
	s_delay_alu instid0(VALU_DEP_2)
	v_cmpx_ne_u32_e32 0x80, v24
	s_cbranch_execz .LBB287_12
; %bb.2060:                             ;   in Loop: Header=BB287_15 Depth=1
	v_and_b32_e32 v3, 0x7f, v24
	v_mov_b32_e32 v6, 0x7c010000
	s_mov_b32 s14, exec_lo
	s_delay_alu instid0(VALU_DEP_2)
	v_cmpx_ne_u32_e32 0x7f, v3
	s_cbranch_execz .LBB287_11
; %bb.2061:                             ;   in Loop: Header=BB287_15 Depth=1
	v_dual_lshrrev_b32 v2, 3, v3 :: v_dual_bitop2_b32 v0, 7, v24 bitop3:0x40
	s_mov_b32 s15, exec_lo
	v_cmpx_gt_u32_e32 8, v3
	s_cbranch_execz .LBB287_10
; %bb.2062:                             ;   in Loop: Header=BB287_15 Depth=1
	s_delay_alu instid0(VALU_DEP_2) | instskip(NEXT) | instid1(VALU_DEP_1)
	v_clz_i32_u32_e32 v0, v0
	v_min_u32_e32 v0, 32, v0
	s_delay_alu instid0(VALU_DEP_1) | instskip(NEXT) | instid1(VALU_DEP_1)
	v_subrev_nc_u32_e32 v2, 28, v0
	v_lshlrev_b64_e32 v[4:5], v2, v[24:25]
	v_sub_nc_u32_e32 v2, 29, v0
	s_delay_alu instid0(VALU_DEP_2)
	v_and_b32_e32 v0, 7, v4
	s_branch .LBB287_10
.LBB287_2063:
	s_or_b32 exec_lo, exec_lo, s7
	scratch_load_b32 v11, off, s32 offset:992 ; 4-byte Folded Reload
.LBB287_2064:
	s_wait_xcnt 0x0
	s_or_b32 exec_lo, exec_lo, s3
	v_mbcnt_lo_u32_b32 v0, -1, 0
	s_delay_alu instid0(VALU_DEP_1) | instskip(SKIP_1) | instid1(VALU_DEP_2)
	v_dual_max_num_f32 v4, v21, v21 :: v_dual_bitop2_b32 v1, 16, v0 bitop3:0x14
	v_xor_b32_e32 v3, 8, v0
	v_cmp_gt_i32_e32 vcc_lo, 32, v1
	v_cndmask_b32_e32 v1, v0, v1, vcc_lo
	s_delay_alu instid0(VALU_DEP_3) | instskip(NEXT) | instid1(VALU_DEP_2)
	v_cmp_gt_i32_e32 vcc_lo, 32, v3
	v_dual_lshlrev_b32 v1, 2, v1 :: v_dual_cndmask_b32 v3, v0, v3, vcc_lo
	ds_bpermute_b32 v2, v1, v21
	s_wait_dscnt 0x0
	v_dual_max_num_f32 v5, v2, v2 :: v_dual_lshlrev_b32 v2, 2, v3
	s_delay_alu instid0(VALU_DEP_1) | instskip(SKIP_4) | instid1(VALU_DEP_1)
	v_dual_max_num_f32 v4, v4, v5 :: v_dual_bitop2_b32 v5, 4, v0 bitop3:0x14
	ds_bpermute_b32 v3, v2, v4
	v_cmp_gt_i32_e32 vcc_lo, 32, v5
	s_wait_dscnt 0x0
	v_dual_cndmask_b32 v5, v0, v5 :: v_dual_max_num_f32 v6, v3, v3
	v_dual_max_num_f32 v4, v4, v6 :: v_dual_lshlrev_b32 v3, 2, v5
	ds_bpermute_b32 v5, v3, v4
	s_wait_dscnt 0x0
	v_dual_max_num_f32 v5, v5, v5 :: v_dual_bitop2_b32 v6, 2, v0 bitop3:0x14
	s_delay_alu instid0(VALU_DEP_1) | instskip(NEXT) | instid1(VALU_DEP_2)
	v_cmp_gt_i32_e32 vcc_lo, 32, v6
	v_max_num_f32_e32 v4, v4, v5
	v_cndmask_b32_e32 v6, v0, v6, vcc_lo
	s_delay_alu instid0(VALU_DEP_1) | instskip(SKIP_3) | instid1(VALU_DEP_1)
	v_lshlrev_b32_e32 v102, 2, v6
	ds_bpermute_b32 v5, v102, v4
	s_wait_dscnt 0x0
	v_dual_max_num_f32 v5, v5, v5 :: v_dual_bitop2_b32 v6, 1, v0 bitop3:0x14
	v_cmp_gt_i32_e32 vcc_lo, 32, v6
	v_cndmask_b32_e32 v6, v0, v6, vcc_lo
	s_delay_alu instid0(VALU_DEP_3)
	v_max_num_f32_e32 v0, v4, v5
	scratch_load_b32 v4, off, s32 offset:892 ; 4-byte Folded Reload
	s_wait_loadcnt 0x0
	v_cmp_eq_u32_e32 vcc_lo, 0, v4
	scratch_load_b32 v4, off, s32 offset:928 ; 4-byte Folded Reload
	s_wait_loadcnt 0x0
	v_dual_lshlrev_b32 v4, 2, v4 :: v_dual_lshlrev_b32 v99, 2, v6
	ds_bpermute_b32 v5, v99, v0
	s_wait_xcnt 0x0
	s_and_saveexec_b32 s1, vcc_lo
	s_cbranch_execz .LBB287_2066
; %bb.2065:
	s_wait_dscnt 0x0
	v_dual_max_num_f32 v5, v5, v5 :: v_dual_max_num_f32 v0, v0, v0
	s_delay_alu instid0(VALU_DEP_1)
	v_max_num_f32_e32 v0, v0, v5
	ds_store_b32 v4, v0 offset:512
.LBB287_2066:
	s_or_b32 exec_lo, exec_lo, s1
	scratch_load_b32 v0, off, s32 offset:892 ; 4-byte Folded Reload
	s_wait_storecnt 0x0
	s_wait_loadcnt_dscnt 0x0
	s_barrier_signal -1
	s_barrier_wait -1
	v_cmp_gt_u32_e64 s1, 4, v0
	v_mov_b32_e32 v0, 0xff7fffff
	s_and_saveexec_b32 s2, s1
; %bb.2067:
	ds_load_b32 v0, v11 offset:512
; %bb.2068:
	s_or_b32 exec_lo, exec_lo, s2
	s_wait_dscnt 0x0
	ds_bpermute_b32 v5, v102, v0
	v_max_num_f32_e32 v0, v0, v0
	s_clause 0x1
	scratch_load_b64 v[8:9], off, s32 offset:852
	scratch_load_b32 v7, off, s32 offset:924
	s_wait_dscnt 0x0
	v_max_num_f32_e32 v5, v5, v5
	s_delay_alu instid0(VALU_DEP_1) | instskip(SKIP_3) | instid1(VALU_DEP_1)
	v_max_num_f32_e32 v0, v0, v5
	ds_bpermute_b32 v5, v99, v0
	s_wait_dscnt 0x0
	v_max_num_f32_e32 v5, v5, v5
	v_dual_max_num_f32 v0, v0, v5 :: v_dual_mov_b32 v5, 0
	ds_bpermute_b32 v6, v5, v0
	scratch_load_b32 v0, off, s32 offset:192 ; 4-byte Folded Reload
	s_wait_loadcnt 0x0
	v_lshlrev_b32_e32 v0, 5, v0
	s_delay_alu instid0(VALU_DEP_1) | instskip(NEXT) | instid1(VALU_DEP_1)
	v_min_i32_e32 v0, v0, v8
	v_cmp_lt_i32_e64 s2, v7, v0
	s_and_saveexec_b32 s4, s2
	s_cbranch_execz .LBB287_2072
; %bb.2069:
	scratch_load_b32 v8, off, s32 offset:924 ; 4-byte Folded Reload
	s_load_b32 s3, s[12:13], 0x0
	v_mov_b32_e32 v5, 0
	s_mov_b32 s5, 0
	s_wait_loadcnt 0x0
	s_wait_kmcnt 0x0
	v_lshl_add_u32 v7, v8, 2, s3
.LBB287_2070:                           ; =>This Inner Loop Header: Depth=1
	ds_load_b32 v9, v7
	v_add_nc_u32_e32 v8, 0x80, v8
	s_delay_alu instid0(VALU_DEP_1) | instskip(SKIP_3) | instid1(VALU_DEP_1)
	v_cmp_ge_i32_e64 s3, v8, v0
	s_or_b32 s5, s3, s5
	s_wait_dscnt 0x0
	v_sub_f32_e32 v9, v9, v6
	v_mul_f32_e32 v9, 0x3fb8aa3b, v9
	s_delay_alu instid0(VALU_DEP_1)
	v_exp_f32_e32 v9, v9
	ds_store_b32 v7, v9
	v_nop
	v_add_f32_e32 v5, v5, v9
	v_add_nc_u32_e32 v7, 0x200, v7
	s_and_not1_b32 exec_lo, exec_lo, s5
	s_cbranch_execnz .LBB287_2070
; %bb.2071:
	s_or_b32 exec_lo, exec_lo, s5
.LBB287_2072:
	s_delay_alu instid0(SALU_CYCLE_1)
	s_or_b32 exec_lo, exec_lo, s4
	ds_bpermute_b32 v1, v1, v5
	s_wait_dscnt 0x0
	v_add_f32_e32 v1, v5, v1
	ds_bpermute_b32 v2, v2, v1
	s_wait_dscnt 0x0
	v_add_f32_e32 v1, v1, v2
	;; [unrolled: 3-line block ×5, first 2 shown]
	s_and_saveexec_b32 s3, vcc_lo
; %bb.2073:
	ds_store_b32 v4, v1 offset:528
; %bb.2074:
	s_or_b32 exec_lo, exec_lo, s3
	s_wait_dscnt 0x0
	s_barrier_signal -1
	s_barrier_wait -1
	s_and_saveexec_b32 s3, s1
; %bb.2075:
	ds_load_b32 v1, v11 offset:528
; %bb.2076:
	s_or_b32 exec_lo, exec_lo, s3
	s_wait_dscnt 0x0
	ds_bpermute_b32 v2, v102, v1
	s_wait_dscnt 0x0
	v_dual_mov_b32 v3, 0 :: v_dual_add_f32 v1, v1, v2
	ds_bpermute_b32 v2, v99, v1
	s_wait_dscnt 0x0
	v_add_f32_e32 v1, v1, v2
	ds_bpermute_b32 v1, v3, v1
	s_and_saveexec_b32 s1, s2
	s_cbranch_execz .LBB287_2089
; %bb.2077:
	s_wait_dscnt 0x0
	v_add_f32_e32 v1, 0x358637bd, v1
	s_mov_b32 s3, -1
	s_mov_b32 s2, exec_lo
	s_delay_alu instid0(VALU_DEP_1) | instskip(NEXT) | instid1(VALU_DEP_1)
	v_div_scale_f32 v2, null, v1, v1, 1.0
	v_rcp_f32_e32 v4, v2
	v_nop
	s_delay_alu instid0(TRANS32_DEP_1) | instskip(NEXT) | instid1(VALU_DEP_1)
	v_fma_f32 v5, -v2, v4, 1.0
	v_fmac_f32_e32 v4, v5, v4
	v_div_scale_f32 v6, vcc_lo, 1.0, v1, 1.0
	s_delay_alu instid0(VALU_DEP_1) | instskip(NEXT) | instid1(VALU_DEP_1)
	v_mul_f32_e32 v5, v6, v4
	v_fma_f32 v7, -v2, v5, v6
	s_delay_alu instid0(VALU_DEP_1) | instskip(SKIP_2) | instid1(VALU_DEP_1)
	v_fmac_f32_e32 v5, v7, v4
	scratch_load_b32 v7, off, s32 offset:924 ; 4-byte Folded Reload
	v_fma_f32 v6, -v2, v5, v6
	v_div_fmas_f32 v4, v6, v4, v5
	s_delay_alu instid0(VALU_DEP_1) | instskip(SKIP_3) | instid1(VALU_DEP_2)
	v_div_fixup_f32 v4, v4, v1, 1.0
	s_wait_loadcnt 0x0
	v_xad_u32 v2, v7, -1, v0
	v_mov_b32_e32 v1, v7
	v_cmpx_lt_u32_e32 0x7f, v2
	s_cbranch_execz .LBB287_2086
; %bb.2078:
	v_dual_lshrrev_b32 v1, 7, v2 :: v_dual_mov_b32 v5, v4
	s_delay_alu instid0(VALU_DEP_1) | instskip(NEXT) | instid1(VALU_DEP_1)
	v_dual_mov_b32 v8, 0 :: v_dual_add_nc_u32 v2, -1, v1
	v_lshrrev_b32_e32 v6, 1, v2
	v_cmp_lt_u32_e32 vcc_lo, 13, v2
	s_delay_alu instid0(VALU_DEP_2)
	v_add_nc_u32_e32 v2, 1, v6
	s_and_saveexec_b32 s3, vcc_lo
	s_cbranch_execz .LBB287_2082
; %bb.2079:
	scratch_load_b32 v7, off, s32 offset:924 ; 4-byte Folded Reload
	s_load_b32 s4, s[12:13], 0x0
	v_and_b32_e32 v6, -8, v2
	s_mov_b32 s5, 0
	s_wait_loadcnt 0x0
	s_wait_kmcnt 0x0
	v_lshl_add_u32 v7, v7, 2, s4
	s_mov_b32 s4, 0
.LBB287_2080:                           ; =>This Inner Loop Header: Depth=1
	ds_load_2addr_stride64_b32 v[8:9], v7 offset1:2
	ds_load_2addr_stride64_b32 v[10:11], v7 offset0:4 offset1:6
	ds_load_2addr_stride64_b32 v[12:13], v7 offset0:8 offset1:10
	;; [unrolled: 1-line block ×7, first 2 shown]
	s_add_co_i32 s5, s5, 16
	v_add_nc_u32_e32 v6, -8, v6
	s_wait_dscnt 0x7
	v_pk_mul_f32 v[8:9], v[4:5], v[8:9]
	s_wait_dscnt 0x6
	v_pk_mul_f32 v[10:11], v[4:5], v[10:11]
	;; [unrolled: 2-line block ×8, first 2 shown]
	ds_store_2addr_stride64_b32 v7, v8, v9 offset1:2
	ds_store_2addr_stride64_b32 v7, v10, v11 offset0:4 offset1:6
	ds_store_2addr_stride64_b32 v7, v12, v13 offset0:8 offset1:10
	;; [unrolled: 1-line block ×7, first 2 shown]
	v_mov_b32_e32 v8, s5
	v_cmp_eq_u32_e32 vcc_lo, 0, v6
	v_add_nc_u32_e32 v7, 0x2000, v7
	s_or_b32 s4, vcc_lo, s4
	s_delay_alu instid0(SALU_CYCLE_1)
	s_and_not1_b32 exec_lo, exec_lo, s4
	s_cbranch_execnz .LBB287_2080
; %bb.2081:
	s_or_b32 exec_lo, exec_lo, s4
.LBB287_2082:
	s_delay_alu instid0(SALU_CYCLE_1) | instskip(NEXT) | instid1(VALU_DEP_1)
	s_or_b32 exec_lo, exec_lo, s3
	v_and_b32_e32 v2, 7, v2
	s_mov_b32 s4, 0
	s_mov_b32 s3, exec_lo
	s_delay_alu instid0(VALU_DEP_1)
	v_cmpx_ne_u32_e32 0, v2
	s_cbranch_execz .LBB287_2085
; %bb.2083:
	scratch_load_b32 v7, off, s32 offset:924 ; 4-byte Folded Reload
	s_load_b32 s5, s[12:13], 0x0
	s_wait_loadcnt 0x0
	v_dual_lshlrev_b32 v6, 9, v8 :: v_dual_lshlrev_b32 v7, 2, v7
	s_wait_kmcnt 0x0
	s_delay_alu instid0(VALU_DEP_1)
	v_add3_u32 v6, v6, v7, s5
.LBB287_2084:                           ; =>This Inner Loop Header: Depth=1
	ds_load_2addr_stride64_b32 v[8:9], v6 offset1:2
	v_add_nc_u32_e32 v2, -1, v2
	s_delay_alu instid0(VALU_DEP_1)
	v_cmp_eq_u32_e32 vcc_lo, 0, v2
	s_or_b32 s4, vcc_lo, s4
	s_wait_dscnt 0x0
	v_pk_mul_f32 v[8:9], v[4:5], v[8:9]
	ds_store_2addr_stride64_b32 v6, v8, v9 offset1:2
	v_add_nc_u32_e32 v6, 0x400, v6
	s_and_not1_b32 exec_lo, exec_lo, s4
	s_cbranch_execnz .LBB287_2084
.LBB287_2085:
	s_or_b32 exec_lo, exec_lo, s3
	v_add_nc_u32_e32 v1, 1, v1
	s_delay_alu instid0(VALU_DEP_1) | instskip(NEXT) | instid1(VALU_DEP_1)
	v_and_b32_e32 v2, 0x3fffffe, v1
	v_cmp_ne_u32_e32 vcc_lo, v1, v2
	scratch_load_b32 v1, off, s32 offset:924 ; 4-byte Folded Reload
	s_or_not1_b32 s3, vcc_lo, exec_lo
	s_wait_loadcnt 0x0
	v_lshl_add_u32 v1, v2, 7, v1
.LBB287_2086:
	s_or_b32 exec_lo, exec_lo, s2
	s_delay_alu instid0(SALU_CYCLE_1)
	s_and_b32 exec_lo, exec_lo, s3
	s_cbranch_execz .LBB287_2089
; %bb.2087:
	s_load_b32 s2, s[12:13], 0x0
	s_wait_kmcnt 0x0
	v_lshl_add_u32 v2, v1, 2, s2
	s_mov_b32 s2, 0
.LBB287_2088:                           ; =>This Inner Loop Header: Depth=1
	ds_load_b32 v5, v2
	v_add_nc_u32_e32 v1, 0x80, v1
	s_delay_alu instid0(VALU_DEP_1)
	v_cmp_ge_i32_e32 vcc_lo, v1, v0
	s_or_b32 s2, vcc_lo, s2
	s_wait_dscnt 0x0
	v_mul_f32_e32 v5, v4, v5
	ds_store_b32 v2, v5
	v_add_nc_u32_e32 v2, 0x200, v2
	s_and_not1_b32 exec_lo, exec_lo, s2
	s_cbranch_execnz .LBB287_2088
.LBB287_2089:
	s_or_b32 exec_lo, exec_lo, s1
	v_dual_mov_b32 v2, 0 :: v_dual_mov_b32 v55, 0
	v_dual_mov_b32 v54, 0 :: v_dual_mov_b32 v65, 0
	;; [unrolled: 1-line block ×15, first 2 shown]
	v_mov_b32_e32 v4, 0
	s_wait_dscnt 0x0
	s_barrier_signal -1
	s_barrier_wait -1
	s_and_saveexec_b32 s11, s0
	s_cbranch_execz .LBB287_4207
; %bb.2090:
	s_clause 0x1
	scratch_load_b32 v0, off, s32 offset:932 th:TH_LOAD_LU
	scratch_load_b32 v1, off, s32 offset:964 th:TH_LOAD_LU
	v_dual_mov_b32 v20, 0 :: v_dual_mov_b32 v21, 0
	v_dual_mov_b32 v24, 0 :: v_dual_mov_b32 v25, 0
	v_dual_mov_b32 v32, 0 :: v_dual_mov_b32 v33, 0
	v_dual_mov_b32 v34, 0 :: v_dual_mov_b32 v35, 0
	v_dual_mov_b32 v36, 0 :: v_dual_mov_b32 v37, 0
	v_dual_mov_b32 v38, 0 :: v_dual_mov_b32 v39, 0
	v_dual_mov_b32 v48, 0 :: v_dual_mov_b32 v49, 0
	v_dual_mov_b32 v50, 0 :: v_dual_mov_b32 v51, 0
	v_dual_mov_b32 v52, 0 :: v_dual_mov_b32 v53, 0
	v_dual_mov_b32 v55, 0 :: v_dual_mov_b32 v64, 0
	v_dual_mov_b32 v65, 0 :: v_dual_mov_b32 v66, 0
	v_dual_mov_b32 v67, 0 :: v_dual_mov_b32 v68, 0
	v_mov_b32_e32 v69, 0
	s_mov_b64 s[14:15], 0xffffffffffffff
	s_mov_b32 s20, 0
	v_dual_mov_b32 v31, 0 :: v_dual_mov_b32 v54, 0
	s_wait_loadcnt 0x0
	v_max_i32_e32 v103, v0, v1
	s_clause 0x3
	scratch_load_b32 v1, off, s32 offset:924
	scratch_load_b64 v[4:5], off, s32 offset:984 th:TH_LOAD_LU
	scratch_load_b64 v[6:7], off, s32 offset:956 th:TH_LOAD_LU
	scratch_load_b32 v3, off, s32 offset:952 th:TH_LOAD_LU
	v_mov_b32_e32 v27, 0
	s_clause 0x1
	scratch_load_b32 v8, off, s32 offset:928
	scratch_load_b64 v[70:71], off, s32 offset:976
	s_wait_loadcnt 0x5
	v_lshlrev_b32_e32 v2, 3, v1
	v_cvt_f32_u32_e32 v0, v103
	s_wait_loadcnt 0x3
	v_add_nc_u64_e32 v[4:5], v[4:5], v[6:7]
	s_wait_loadcnt 0x2
	v_and_b32_e32 v26, 0x7c, v3
	v_dual_mov_b32 v30, 0 :: v_dual_sub_nc_u32 v3, 0, v103
	v_rcp_iflag_f32_e32 v0, v0
	v_dual_mov_b32 v11, v27 :: v_dual_bitop2_b32 v1, 3, v1 bitop3:0x40
	v_mov_b32_e32 v15, v27
	v_and_b32_e32 v10, 0xf8, v2
	s_delay_alu instid0(TRANS32_DEP_1) | instid1(VALU_DEP_3)
	v_dual_mul_f32 v0, 0x4f7ffffe, v0 :: v_dual_lshlrev_b32 v7, 5, v1
	scratch_store_b64 off, v[10:11], s32 offset:244 ; 8-byte Folded Spill
	s_wait_xcnt 0x0
	v_or_b32_e32 v10, 0x1f00, v2
	v_cvt_u32_f32_e32 v6, v0
	scratch_store_b64 off, v[10:11], s32 offset:252 ; 8-byte Folded Spill
	v_mul_lo_u32 v0, v3, v6
	s_delay_alu instid0(VALU_DEP_1)
	v_mul_hi_u32 v3, v6, v0
	v_dual_mov_b32 v2, 0 :: v_dual_bitop2_b32 v0, 24, v2 bitop3:0x40
	s_clause 0x1
	scratch_store_b32 off, v0, s32 offset:240
	scratch_load_b64 v[0:1], off, s32 offset:944 th:TH_LOAD_LU
	s_wait_loadcnt 0x2
	v_mov_b32_e32 v112, v8
	v_lshl_or_b32 v114, v8, 7, v7
	scratch_load_b64 v[8:9], off, s32 offset:936 th:TH_LOAD_LU ; 8-byte Folded Reload
	v_add_nc_u32_e32 v14, v6, v3
	s_clause 0x1
	scratch_store_b64 off, v[4:5], s32 offset:232
	scratch_load_b64 v[4:5], off, s32 offset:852
	s_wait_loadcnt 0x0
	v_dual_mov_b32 v5, 0 :: v_dual_mov_b32 v3, 0
	scratch_store_b64 off, v[14:15], s32 offset:196 ; 8-byte Folded Spill
	v_lshl_add_u64 v[0:1], v[0:1], 2, v[26:27]
	s_delay_alu instid0(VALU_DEP_1)
	v_add_nc_u64_e32 v[10:11], v[8:9], v[0:1]
	v_dual_mov_b32 v13, v4 :: v_dual_mov_b32 v4, 0
	s_branch .LBB287_2093
.LBB287_2091:                           ;   in Loop: Header=BB287_2093 Depth=1
	s_or_b32 exec_lo, exec_lo, s8
	v_dual_add_f32 v6, v87, v96 :: v_dual_add_f32 v7, v97, v98
	v_add_f32_e32 v8, v118, v40
	v_dual_add_f32 v12, v14, v15 :: v_dual_add_f32 v14, v127, v100
	s_delay_alu instid0(VALU_DEP_3) | instskip(SKIP_1) | instid1(VALU_DEP_4)
	v_dual_add_f32 v4, v4, v6 :: v_dual_add_f32 v21, v21, v7
	v_add_f32_e32 v6, v28, v29
	v_dual_add_f32 v7, v101, v113 :: v_dual_add_f32 v20, v20, v8
	s_delay_alu instid0(VALU_DEP_4) | instskip(SKIP_1) | instid1(VALU_DEP_3)
	v_add_f32_e32 v25, v25, v12
	v_dual_add_f32 v8, v121, v122 :: v_dual_add_f32 v12, v111, v120
	v_dual_add_f32 v24, v24, v6 :: v_dual_add_f32 v31, v31, v7
	v_add_f32_e32 v30, v30, v14
	v_dual_add_f32 v6, v125, v126 :: v_dual_add_f32 v7, v123, v124
	s_delay_alu instid0(VALU_DEP_4) | instskip(NEXT) | instid1(VALU_DEP_2)
	v_dual_add_f32 v14, v109, v110 :: v_dual_add_f32 v35, v35, v8
	v_dual_add_f32 v8, v95, v104 :: v_dual_add_f32 v33, v33, v6
	s_delay_alu instid0(VALU_DEP_3) | instskip(SKIP_1) | instid1(VALU_DEP_4)
	v_dual_add_f32 v32, v32, v7 :: v_dual_add_f32 v6, v107, v108
	v_dual_add_f32 v7, v105, v106 :: v_dual_add_f32 v34, v34, v12
	v_add_f32_e32 v37, v37, v14
	v_dual_add_f32 v12, v93, v94 :: v_dual_add_f32 v14, v91, v92
	s_delay_alu instid0(VALU_DEP_3) | instskip(SKIP_2) | instid1(VALU_DEP_4)
	v_dual_add_f32 v36, v36, v6 :: v_dual_add_f32 v39, v39, v7
	v_dual_add_f32 v38, v38, v8 :: v_dual_add_f32 v6, v89, v90
	v_dual_add_f32 v7, v79, v88 :: v_dual_add_f32 v8, v77, v78
	v_dual_add_f32 v49, v49, v12 :: v_dual_add_f32 v48, v48, v14
	v_dual_add_f32 v12, v75, v76 :: v_dual_add_f32 v14, v73, v74
	s_delay_alu instid0(VALU_DEP_3) | instskip(NEXT) | instid1(VALU_DEP_4)
	v_dual_add_f32 v50, v50, v7 :: v_dual_add_f32 v51, v51, v6
	v_add_f32_e32 v53, v53, v8
	v_dual_add_f32 v6, v63, v72 :: v_dual_add_f32 v7, v61, v62
	v_add_f32_e32 v8, v59, v60
	v_dual_add_f32 v52, v52, v12 :: v_dual_add_f32 v3, v3, v14
	s_delay_alu instid0(VALU_DEP_3) | instskip(NEXT) | instid1(VALU_DEP_3)
	v_dual_add_f32 v12, v57, v58 :: v_dual_add_f32 v55, v55, v7
	v_add_f32_e32 v54, v54, v8
	;;#ASMSTART
	v_pk_mul_f16 v7, v119, v9;

	;;#ASMEND
	;;#ASMSTART
	v_pk_mul_f16 v8, v117, v26;

	;;#ASMEND
	;; [unrolled: 4-line block ×4, first 2 shown]
	;;#ASMSTART
	v_pk_add_f16 v7, v7, v8;

	;;#ASMEND
	;;#ASMSTART
	v_pk_add_f16 v1, v7, v1;

	;;#ASMEND
	;; [unrolled: 4-line block ×3, first 2 shown]
	scratch_load_b32 v7, off, s32 offset:228 th:TH_LOAD_LU ; 4-byte Folded Reload
	v_and_b32_e32 v8, 0xffff, v0
	v_dual_add_f32 v14, v47, v56 :: v_dual_add_f32 v2, v2, v6
	v_dual_add_f32 v6, v45, v46 :: v_dual_lshrrev_b32 v9, 16, v0
	;;#ASMSTART
	v_cvt_f32_f16 v8, v8;
	;;#ASMEND
	v_dual_add_f32 v0, v43, v44 :: v_dual_add_f32 v1, v41, v42
	;;#ASMSTART
	v_cvt_f32_f16 v9, v9;
	;;#ASMEND
	v_dual_add_f32 v65, v65, v12 :: v_dual_add_f32 v64, v64, v14
	s_delay_alu instid0(VALU_DEP_2) | instskip(SKIP_2) | instid1(VALU_DEP_1)
	v_dual_add_f32 v67, v67, v6 :: v_dual_add_f32 v66, v66, v0
	v_add_f32_e32 v8, v8, v9
	s_wait_loadcnt 0x0
	v_dual_add_f32 v5, v5, v8 :: v_dual_add_f32 v7, v71, v7
	s_delay_alu instid0(VALU_DEP_1)
	v_dual_add_f32 v69, v69, v1 :: v_dual_add_f32 v68, v68, v7
.LBB287_2092:                           ;   in Loop: Header=BB287_2093 Depth=1
	s_wait_xcnt 0x0
	s_or_b32 exec_lo, exec_lo, s21
	scratch_load_b32 v0, off, s32 offset:192 ; 4-byte Folded Reload
	v_add_nc_u32_e32 v112, 4, v112
	v_add_nc_u64_e32 v[10:11], 16, v[10:11]
	v_add_nc_u32_e32 v70, 0x80, v70
	v_add_nc_u32_e32 v114, 0x200, v114
	s_wait_loadcnt 0x0
	v_cmp_ge_i32_e32 vcc_lo, v112, v0
	s_or_b32 s20, vcc_lo, s20
	s_wait_xcnt 0x0
	s_and_not1_b32 exec_lo, exec_lo, s20
	s_cbranch_execz .LBB287_4206
.LBB287_2093:                           ; =>This Inner Loop Header: Depth=1
	s_clause 0x1
	scratch_load_b64 v[0:1], off, s32 offset:208
	scratch_load_b32 v8, off, s32 offset:204
	v_mov_b32_e32 v71, v27
	s_delay_alu instid0(VALU_DEP_1) | instskip(SKIP_1) | instid1(VALU_DEP_1)
	v_mov_b64_e32 v[6:7], v[70:71]
	s_wait_loadcnt 0x1
	v_mul_u64_e32 v[0:1], v[6:7], v[0:1]
	s_wait_loadcnt 0x0
	s_delay_alu instid0(VALU_DEP_1) | instskip(NEXT) | instid1(VALU_DEP_1)
	v_mul_lo_u32 v0, v1, v8
	v_dual_sub_nc_u32 v0, v6, v0 :: v_dual_add_nc_u32 v6, 1, v1
	s_delay_alu instid0(VALU_DEP_1) | instskip(SKIP_1) | instid1(VALU_DEP_2)
	v_sub_nc_u32_e32 v7, v0, v8
	v_cmp_ge_u32_e32 vcc_lo, v0, v8
	v_dual_cndmask_b32 v1, v1, v6 :: v_dual_cndmask_b32 v0, v0, v7
	s_delay_alu instid0(VALU_DEP_1) | instskip(NEXT) | instid1(VALU_DEP_2)
	v_add_nc_u32_e32 v6, 1, v1
	v_cmp_ge_u32_e32 vcc_lo, v0, v8
	s_delay_alu instid0(VALU_DEP_2) | instskip(SKIP_3) | instid1(VALU_DEP_1)
	v_cndmask_b32_e32 v0, v1, v6, vcc_lo
	scratch_load_b32 v1, off, s32 offset:216 ; 4-byte Folded Reload
	s_wait_loadcnt 0x0
	v_xor_b32_e32 v0, v0, v1
	v_sub_nc_u32_e32 v6, v0, v1
	scratch_load_b32 v0, off, s32 offset:220 ; 4-byte Folded Reload
	s_wait_loadcnt 0x0
	v_add_nc_u32_e32 v7, v6, v0
	s_delay_alu instid0(VALU_DEP_1) | instskip(NEXT) | instid1(VALU_DEP_1)
	v_sub_nc_u32_e32 v0, 0, v7
	v_max_i32_e32 v26, v7, v0
	scratch_load_b64 v[0:1], off, s32 offset:196 ; 8-byte Folded Reload
	s_wait_loadcnt 0x0
	v_mul_u64_e32 v[0:1], v[26:27], v[0:1]
	s_delay_alu instid0(VALU_DEP_1) | instskip(NEXT) | instid1(VALU_DEP_1)
	v_mul_lo_u32 v0, v1, v103
	v_sub_nc_u32_e32 v0, v26, v0
	s_delay_alu instid0(VALU_DEP_1) | instskip(SKIP_1) | instid1(VALU_DEP_2)
	v_sub_nc_u32_e32 v1, v0, v103
	v_cmp_ge_u32_e32 vcc_lo, v0, v103
	v_dual_cndmask_b32 v0, v0, v1 :: v_dual_ashrrev_i32 v7, 31, v7
	s_delay_alu instid0(VALU_DEP_1) | instskip(SKIP_1) | instid1(VALU_DEP_2)
	v_sub_nc_u32_e32 v1, v0, v103
	v_cmp_ge_u32_e32 vcc_lo, v0, v103
	v_cndmask_b32_e32 v0, v0, v1, vcc_lo
	s_delay_alu instid0(VALU_DEP_1) | instskip(NEXT) | instid1(VALU_DEP_1)
	v_xor_b32_e32 v0, v0, v7
	v_sub_nc_u32_e32 v0, v0, v7
	s_delay_alu instid0(VALU_DEP_1)
	v_cmp_eq_u32_e32 vcc_lo, 0, v0
	scratch_load_b32 v0, off, s32 offset:224 ; 4-byte Folded Reload
	s_wait_loadcnt 0x0
	v_cmp_gt_i32_e64 s0, v6, v0
	s_or_b32 s0, vcc_lo, s0
	s_wait_xcnt 0x0
	s_and_saveexec_b32 s21, s0
	s_cbranch_execz .LBB287_2092
; %bb.2094:                             ;   in Loop: Header=BB287_2093 Depth=1
	s_load_b32 s0, s[12:13], 0x0
	flat_load_b32 v0, v[10:11]
	s_wait_kmcnt 0x0
	v_add_nc_u32_e32 v1, s0, v114
	s_mov_b32 s0, exec_lo
	ds_load_2addr_b64 v[6:9], v1 offset1:1
	ds_load_2addr_b64 v[16:19], v1 offset0:2 offset1:3
	s_clause 0x1
	scratch_load_b64 v[14:15], off, s32 offset:860
	scratch_load_b64 v[28:29], off, s32 offset:232
	s_wait_dscnt 0x1
	;;#ASMSTART
	v_cvt_f16_f32 v100, v6;

	;;#ASMEND
	v_mov_b32_e32 v6, 0
	s_wait_loadcnt 0x0
	v_mad_nc_i64_i32 v[80:81], v0, v14, v[28:29]
	;;#ASMSTART
	v_cvt_f16_f32 v14, v7;

	;;#ASMEND
	scratch_load_b64 v[0:1], off, s32 offset:244 ; 8-byte Folded Reload
	;;#ASMSTART
	v_cvt_f16_f32 v101, v8;

	;;#ASMEND
	;;#ASMSTART
	v_cvt_f16_f32 v15, v9;

	;;#ASMEND
	s_wait_dscnt 0x0
	;;#ASMSTART
	v_cvt_f16_f32 v113, v16;

	;;#ASMEND
	;;#ASMSTART
	v_cvt_f16_f32 v28, v17;

	;;#ASMEND
	;; [unrolled: 4-line block ×4, first 2 shown]
	s_wait_loadcnt 0x0
	v_add_nc_u64_e32 v[82:83], v[80:81], v[0:1]
	v_mov_b32_e32 v1, 0
	flat_load_b64 v[86:87], v[82:83]
	flat_load_b32 v84, v[22:23]
	s_wait_loadcnt_dscnt 0x101
	v_and_b32_e32 v0, 0xff, v86
	s_wait_xcnt 0x0
	s_delay_alu instid0(VALU_DEP_1)
	v_cmpx_ne_u16_e32 0, v0
	s_cbranch_execz .LBB287_2102
; %bb.2095:                             ;   in Loop: Header=BB287_2093 Depth=1
	v_mov_b32_e32 v6, 0x8000
	s_mov_b32 s1, exec_lo
	v_cmpx_ne_u16_e32 0x80, v0
	s_cbranch_execz .LBB287_2101
; %bb.2096:                             ;   in Loop: Header=BB287_2093 Depth=1
	v_and_b32_e32 v7, 0x7f, v86
	v_mov_b32_e32 v6, 0x7c01
	s_mov_b32 s2, exec_lo
	s_delay_alu instid0(VALU_DEP_2)
	v_cmpx_ne_u32_e32 0x7f, v7
	s_cbranch_execz .LBB287_2100
; %bb.2097:                             ;   in Loop: Header=BB287_2093 Depth=1
	v_dual_lshrrev_b32 v6, 3, v7 :: v_dual_bitop2_b32 v0, 7, v86 bitop3:0x40
	s_mov_b32 s3, exec_lo
	v_cmpx_gt_u32_e32 8, v7
; %bb.2098:                             ;   in Loop: Header=BB287_2093 Depth=1
	s_delay_alu instid0(VALU_DEP_2) | instskip(NEXT) | instid1(VALU_DEP_1)
	v_clz_i32_u32_e32 v0, v0
	v_min_u32_e32 v0, 32, v0
	s_delay_alu instid0(VALU_DEP_1) | instskip(NEXT) | instid1(VALU_DEP_1)
	v_subrev_nc_u32_e32 v6, 28, v0
	v_lshlrev_b64_e32 v[8:9], v6, v[86:87]
	v_sub_nc_u32_e32 v6, 29, v0
	s_delay_alu instid0(VALU_DEP_2)
	v_and_b32_e32 v0, 7, v8
; %bb.2099:                             ;   in Loop: Header=BB287_2093 Depth=1
	s_or_b32 exec_lo, exec_lo, s3
	s_delay_alu instid0(VALU_DEP_1) | instskip(NEXT) | instid1(VALU_DEP_3)
	v_dual_lshlrev_b32 v7, 8, v86 :: v_dual_lshlrev_b32 v0, 7, v0
	v_lshl_add_u32 v6, v6, 10, 0x2000
	s_delay_alu instid0(VALU_DEP_2) | instskip(NEXT) | instid1(VALU_DEP_2)
	v_and_b32_e32 v7, 0x8000, v7
	v_and_b32_e32 v6, 0xfc00, v6
	s_delay_alu instid0(VALU_DEP_1)
	v_or3_b32 v6, v7, v6, v0
.LBB287_2100:                           ;   in Loop: Header=BB287_2093 Depth=1
	s_or_b32 exec_lo, exec_lo, s2
.LBB287_2101:                           ;   in Loop: Header=BB287_2093 Depth=1
	s_delay_alu instid0(SALU_CYCLE_1)
	s_or_b32 exec_lo, exec_lo, s1
.LBB287_2102:                           ;   in Loop: Header=BB287_2093 Depth=1
	s_delay_alu instid0(SALU_CYCLE_1) | instskip(SKIP_2) | instid1(VALU_DEP_1)
	s_or_b32 exec_lo, exec_lo, s0
	v_lshrrev_b16 v26, 8, v86
	s_mov_b32 s0, exec_lo
	v_cmpx_ne_u16_e32 0, v26
	s_cbranch_execz .LBB287_2110
; %bb.2103:                             ;   in Loop: Header=BB287_2093 Depth=1
	v_bfrev_b32_e32 v1, 1
	s_mov_b32 s1, exec_lo
	v_cmpx_ne_u16_e32 0x80, v26
	s_cbranch_execz .LBB287_2109
; %bb.2104:                             ;   in Loop: Header=BB287_2093 Depth=1
	v_and_b32_e32 v0, 0xffff, v26
	v_mov_b32_e32 v1, 0x7c010000
	s_mov_b32 s2, exec_lo
	s_delay_alu instid0(VALU_DEP_2) | instskip(NEXT) | instid1(VALU_DEP_1)
	v_and_b32_e32 v8, 0x7f, v0
	v_cmpx_ne_u32_e32 0x7f, v8
	s_cbranch_execz .LBB287_2108
; %bb.2105:                             ;   in Loop: Header=BB287_2093 Depth=1
	v_and_b32_e32 v1, 7, v0
	v_lshrrev_b32_e32 v7, 3, v8
	s_mov_b32 s3, exec_lo
	v_cmpx_gt_u32_e32 8, v8
; %bb.2106:                             ;   in Loop: Header=BB287_2093 Depth=1
	s_delay_alu instid0(VALU_DEP_3) | instskip(NEXT) | instid1(VALU_DEP_1)
	v_clz_i32_u32_e32 v1, v1
	v_min_u32_e32 v1, 32, v1
	s_delay_alu instid0(VALU_DEP_1) | instskip(NEXT) | instid1(VALU_DEP_1)
	v_subrev_nc_u32_e32 v7, 28, v1
	v_lshlrev_b64_e32 v[8:9], v7, v[26:27]
	s_delay_alu instid0(VALU_DEP_1)
	v_dual_sub_nc_u32 v7, 29, v1 :: v_dual_bitop2_b32 v1, 7, v8 bitop3:0x40
; %bb.2107:                             ;   in Loop: Header=BB287_2093 Depth=1
	s_or_b32 exec_lo, exec_lo, s3
	s_delay_alu instid0(VALU_DEP_1) | instskip(NEXT) | instid1(VALU_DEP_2)
	v_dual_lshlrev_b32 v0, 8, v0 :: v_dual_lshlrev_b32 v1, 23, v1
	v_lshl_add_u32 v7, v7, 10, 0x2000
	s_delay_alu instid0(VALU_DEP_1) | instskip(NEXT) | instid1(VALU_DEP_1)
	v_and_or_b32 v0, 0x8000, v0, v7
	v_lshl_or_b32 v1, v0, 16, v1
.LBB287_2108:                           ;   in Loop: Header=BB287_2093 Depth=1
	s_or_b32 exec_lo, exec_lo, s2
.LBB287_2109:                           ;   in Loop: Header=BB287_2093 Depth=1
	s_delay_alu instid0(SALU_CYCLE_1)
	s_or_b32 exec_lo, exec_lo, s1
.LBB287_2110:                           ;   in Loop: Header=BB287_2093 Depth=1
	s_delay_alu instid0(SALU_CYCLE_1) | instskip(SKIP_3) | instid1(VALU_DEP_2)
	s_or_b32 exec_lo, exec_lo, s0
	v_dual_mov_b32 v7, 0 :: v_dual_lshrrev_b32 v0, 16, v86
	v_mov_b32_e32 v8, 0
	s_mov_b32 s0, exec_lo
	v_and_b32_e32 v9, 0xff, v0
	s_delay_alu instid0(VALU_DEP_1)
	v_cmpx_ne_u16_e32 0, v9
	s_cbranch_execz .LBB287_2118
; %bb.2111:                             ;   in Loop: Header=BB287_2093 Depth=1
	v_mov_b32_e32 v8, 0x8000
	s_mov_b32 s1, exec_lo
	v_cmpx_ne_u16_e32 0x80, v9
	s_cbranch_execz .LBB287_2117
; %bb.2112:                             ;   in Loop: Header=BB287_2093 Depth=1
	v_bfe_u32 v12, v86, 16, 7
	v_mov_b32_e32 v8, 0x7c01
	s_mov_b32 s2, exec_lo
	s_delay_alu instid0(VALU_DEP_2)
	v_cmpx_ne_u32_e32 0x7f, v12
	s_cbranch_execz .LBB287_2116
; %bb.2113:                             ;   in Loop: Header=BB287_2093 Depth=1
	v_and_b32_e32 v8, 7, v0
	v_lshrrev_b32_e32 v9, 3, v12
	s_mov_b32 s3, exec_lo
	v_cmpx_gt_u32_e32 8, v12
; %bb.2114:                             ;   in Loop: Header=BB287_2093 Depth=1
	s_delay_alu instid0(VALU_DEP_3) | instskip(NEXT) | instid1(VALU_DEP_1)
	v_clz_i32_u32_e32 v8, v8
	v_min_u32_e32 v12, 32, v8
	s_delay_alu instid0(VALU_DEP_1) | instskip(NEXT) | instid1(VALU_DEP_1)
	v_subrev_nc_u32_e32 v8, 28, v12
	v_lshlrev_b64_e32 v[8:9], v8, v[0:1]
	v_sub_nc_u32_e32 v9, 29, v12
	s_delay_alu instid0(VALU_DEP_2)
	v_and_b32_e32 v8, 7, v8
; %bb.2115:                             ;   in Loop: Header=BB287_2093 Depth=1
	s_or_b32 exec_lo, exec_lo, s3
	v_lshlrev_b32_e32 v0, 8, v0
	s_delay_alu instid0(VALU_DEP_3) | instskip(NEXT) | instid1(VALU_DEP_3)
	v_lshl_add_u32 v9, v9, 10, 0x2000
	v_lshlrev_b32_e32 v8, 7, v8
	s_delay_alu instid0(VALU_DEP_3) | instskip(NEXT) | instid1(VALU_DEP_3)
	v_and_b32_e32 v0, 0x8000, v0
	v_and_b32_e32 v9, 0xfc00, v9
	s_delay_alu instid0(VALU_DEP_1)
	v_or3_b32 v8, v0, v9, v8
.LBB287_2116:                           ;   in Loop: Header=BB287_2093 Depth=1
	s_or_b32 exec_lo, exec_lo, s2
.LBB287_2117:                           ;   in Loop: Header=BB287_2093 Depth=1
	s_delay_alu instid0(SALU_CYCLE_1)
	s_or_b32 exec_lo, exec_lo, s1
.LBB287_2118:                           ;   in Loop: Header=BB287_2093 Depth=1
	s_delay_alu instid0(SALU_CYCLE_1) | instskip(NEXT) | instid1(SALU_CYCLE_1)
	s_or_b32 exec_lo, exec_lo, s0
	s_mov_b32 s0, exec_lo
	v_cmpx_lt_u32_e32 0xffffff, v86
	s_cbranch_execz .LBB287_2126
; %bb.2119:                             ;   in Loop: Header=BB287_2093 Depth=1
	v_lshrrev_b32_e32 v26, 24, v86
	v_bfrev_b32_e32 v7, 1
	s_mov_b32 s1, exec_lo
	s_delay_alu instid0(VALU_DEP_2)
	v_cmpx_ne_u32_e32 0x80, v26
	s_cbranch_execz .LBB287_2125
; %bb.2120:                             ;   in Loop: Header=BB287_2093 Depth=1
	v_and_b32_e32 v9, 0x7f, v26
	v_mov_b32_e32 v7, 0x7c010000
	s_mov_b32 s2, exec_lo
	s_delay_alu instid0(VALU_DEP_2)
	v_cmpx_ne_u32_e32 0x7f, v9
	s_cbranch_execz .LBB287_2124
; %bb.2121:                             ;   in Loop: Header=BB287_2093 Depth=1
	v_dual_lshrrev_b32 v7, 3, v9 :: v_dual_bitop2_b32 v0, 7, v26 bitop3:0x40
	s_mov_b32 s3, exec_lo
	v_cmpx_gt_u32_e32 8, v9
; %bb.2122:                             ;   in Loop: Header=BB287_2093 Depth=1
	s_delay_alu instid0(VALU_DEP_2) | instskip(NEXT) | instid1(VALU_DEP_1)
	v_clz_i32_u32_e32 v0, v0
	v_min_u32_e32 v0, 32, v0
	s_delay_alu instid0(VALU_DEP_1) | instskip(NEXT) | instid1(VALU_DEP_1)
	v_subrev_nc_u32_e32 v7, 28, v0
	v_lshlrev_b64_e32 v[16:17], v7, v[26:27]
	v_sub_nc_u32_e32 v7, 29, v0
	s_delay_alu instid0(VALU_DEP_2)
	v_and_b32_e32 v0, 7, v16
; %bb.2123:                             ;   in Loop: Header=BB287_2093 Depth=1
	s_or_b32 exec_lo, exec_lo, s3
	s_delay_alu instid0(VALU_DEP_1) | instskip(NEXT) | instid1(VALU_DEP_3)
	v_dual_lshlrev_b32 v9, 8, v26 :: v_dual_lshlrev_b32 v0, 23, v0
	v_lshl_add_u32 v7, v7, 10, 0x2000
	s_delay_alu instid0(VALU_DEP_1) | instskip(NEXT) | instid1(VALU_DEP_1)
	v_and_or_b32 v7, 0x8000, v9, v7
	v_lshl_or_b32 v7, v7, 16, v0
.LBB287_2124:                           ;   in Loop: Header=BB287_2093 Depth=1
	s_or_b32 exec_lo, exec_lo, s2
.LBB287_2125:                           ;   in Loop: Header=BB287_2093 Depth=1
	s_delay_alu instid0(SALU_CYCLE_1)
	s_or_b32 exec_lo, exec_lo, s1
.LBB287_2126:                           ;   in Loop: Header=BB287_2093 Depth=1
	s_delay_alu instid0(SALU_CYCLE_1) | instskip(SKIP_4) | instid1(VALU_DEP_3)
	s_or_b32 exec_lo, exec_lo, s0
	v_and_b32_e32 v0, 0xff, v87
	v_dual_mov_b32 v26, v87 :: v_dual_mov_b32 v12, 0
	v_mov_b32_e32 v9, 0
	s_mov_b32 s0, exec_lo
	v_cmpx_ne_u16_e32 0, v0
	s_cbranch_execz .LBB287_2134
; %bb.2127:                             ;   in Loop: Header=BB287_2093 Depth=1
	v_mov_b32_e32 v9, 0x8000
	s_mov_b32 s1, exec_lo
	v_cmpx_ne_u16_e32 0x80, v0
	s_cbranch_execz .LBB287_2133
; %bb.2128:                             ;   in Loop: Header=BB287_2093 Depth=1
	v_and_b32_e32 v16, 0x7f, v87
	v_mov_b32_e32 v9, 0x7c01
	s_mov_b32 s2, exec_lo
	s_delay_alu instid0(VALU_DEP_2)
	v_cmpx_ne_u32_e32 0x7f, v16
	s_cbranch_execz .LBB287_2132
; %bb.2129:                             ;   in Loop: Header=BB287_2093 Depth=1
	v_dual_lshrrev_b32 v9, 3, v16 :: v_dual_bitop2_b32 v0, 7, v87 bitop3:0x40
	s_mov_b32 s3, exec_lo
	v_cmpx_gt_u32_e32 8, v16
; %bb.2130:                             ;   in Loop: Header=BB287_2093 Depth=1
	s_delay_alu instid0(VALU_DEP_2) | instskip(NEXT) | instid1(VALU_DEP_1)
	v_clz_i32_u32_e32 v0, v0
	v_min_u32_e32 v0, 32, v0
	s_delay_alu instid0(VALU_DEP_1) | instskip(NEXT) | instid1(VALU_DEP_1)
	v_subrev_nc_u32_e32 v9, 28, v0
	v_lshlrev_b64_e32 v[16:17], v9, v[26:27]
	v_sub_nc_u32_e32 v9, 29, v0
	s_delay_alu instid0(VALU_DEP_2)
	v_and_b32_e32 v0, 7, v16
; %bb.2131:                             ;   in Loop: Header=BB287_2093 Depth=1
	s_or_b32 exec_lo, exec_lo, s3
	s_delay_alu instid0(VALU_DEP_1) | instskip(NEXT) | instid1(VALU_DEP_3)
	v_dual_lshlrev_b32 v16, 8, v87 :: v_dual_lshlrev_b32 v0, 7, v0
	v_lshl_add_u32 v9, v9, 10, 0x2000
	s_delay_alu instid0(VALU_DEP_2) | instskip(NEXT) | instid1(VALU_DEP_2)
	v_and_b32_e32 v16, 0x8000, v16
	v_and_b32_e32 v9, 0xfc00, v9
	s_delay_alu instid0(VALU_DEP_1)
	v_or3_b32 v9, v16, v9, v0
.LBB287_2132:                           ;   in Loop: Header=BB287_2093 Depth=1
	s_or_b32 exec_lo, exec_lo, s2
.LBB287_2133:                           ;   in Loop: Header=BB287_2093 Depth=1
	s_delay_alu instid0(SALU_CYCLE_1)
	s_or_b32 exec_lo, exec_lo, s1
.LBB287_2134:                           ;   in Loop: Header=BB287_2093 Depth=1
	s_delay_alu instid0(SALU_CYCLE_1) | instskip(SKIP_3) | instid1(VALU_DEP_2)
	s_or_b32 exec_lo, exec_lo, s0
	v_lshrrev_b16 v26, 8, v26
	v_mov_b32_e32 v16, 0
	s_mov_b32 s0, exec_lo
	v_cmpx_ne_u16_e32 0, v26
	s_cbranch_execz .LBB287_2142
; %bb.2135:                             ;   in Loop: Header=BB287_2093 Depth=1
	v_bfrev_b32_e32 v16, 1
	s_mov_b32 s1, exec_lo
	v_cmpx_ne_u16_e32 0x80, v26
	s_cbranch_execz .LBB287_2141
; %bb.2136:                             ;   in Loop: Header=BB287_2093 Depth=1
	v_and_b32_e32 v0, 0xffff, v26
	v_mov_b32_e32 v16, 0x7c010000
	s_mov_b32 s2, exec_lo
	s_delay_alu instid0(VALU_DEP_2) | instskip(NEXT) | instid1(VALU_DEP_1)
	v_and_b32_e32 v18, 0x7f, v0
	v_cmpx_ne_u32_e32 0x7f, v18
	s_cbranch_execz .LBB287_2140
; %bb.2137:                             ;   in Loop: Header=BB287_2093 Depth=1
	v_dual_lshrrev_b32 v17, 3, v18 :: v_dual_bitop2_b32 v16, 7, v0 bitop3:0x40
	s_mov_b32 s3, exec_lo
	v_cmpx_gt_u32_e32 8, v18
; %bb.2138:                             ;   in Loop: Header=BB287_2093 Depth=1
	s_delay_alu instid0(VALU_DEP_2) | instskip(NEXT) | instid1(VALU_DEP_1)
	v_clz_i32_u32_e32 v16, v16
	v_min_u32_e32 v18, 32, v16
	s_delay_alu instid0(VALU_DEP_1) | instskip(NEXT) | instid1(VALU_DEP_1)
	v_subrev_nc_u32_e32 v16, 28, v18
	v_lshlrev_b64_e32 v[16:17], v16, v[26:27]
	s_delay_alu instid0(VALU_DEP_1)
	v_dual_sub_nc_u32 v17, 29, v18 :: v_dual_bitop2_b32 v16, 7, v16 bitop3:0x40
; %bb.2139:                             ;   in Loop: Header=BB287_2093 Depth=1
	s_or_b32 exec_lo, exec_lo, s3
	v_lshlrev_b32_e32 v0, 8, v0
	s_delay_alu instid0(VALU_DEP_2) | instskip(NEXT) | instid1(VALU_DEP_3)
	v_lshl_add_u32 v17, v17, 10, 0x2000
	v_lshlrev_b32_e32 v16, 23, v16
	s_delay_alu instid0(VALU_DEP_2) | instskip(NEXT) | instid1(VALU_DEP_1)
	v_and_or_b32 v0, 0x8000, v0, v17
	v_lshl_or_b32 v16, v0, 16, v16
.LBB287_2140:                           ;   in Loop: Header=BB287_2093 Depth=1
	s_or_b32 exec_lo, exec_lo, s2
.LBB287_2141:                           ;   in Loop: Header=BB287_2093 Depth=1
	s_delay_alu instid0(SALU_CYCLE_1)
	s_or_b32 exec_lo, exec_lo, s1
.LBB287_2142:                           ;   in Loop: Header=BB287_2093 Depth=1
	s_delay_alu instid0(SALU_CYCLE_1) | instskip(SKIP_2) | instid1(VALU_DEP_1)
	s_or_b32 exec_lo, exec_lo, s0
	v_lshrrev_b32_e32 v0, 16, v87
	s_mov_b32 s0, exec_lo
	v_and_b32_e32 v17, 0xff, v0
	s_delay_alu instid0(VALU_DEP_1)
	v_cmpx_ne_u16_e32 0, v17
	s_cbranch_execz .LBB287_2150
; %bb.2143:                             ;   in Loop: Header=BB287_2093 Depth=1
	v_mov_b32_e32 v12, 0x8000
	s_mov_b32 s1, exec_lo
	v_cmpx_ne_u16_e32 0x80, v17
	s_cbranch_execz .LBB287_2149
; %bb.2144:                             ;   in Loop: Header=BB287_2093 Depth=1
	v_bfe_u32 v18, v87, 16, 7
	v_mov_b32_e32 v12, 0x7c01
	s_mov_b32 s2, exec_lo
	s_delay_alu instid0(VALU_DEP_2)
	v_cmpx_ne_u32_e32 0x7f, v18
	s_cbranch_execz .LBB287_2148
; %bb.2145:                             ;   in Loop: Header=BB287_2093 Depth=1
	v_dual_lshrrev_b32 v17, 3, v18 :: v_dual_bitop2_b32 v12, 7, v0 bitop3:0x40
	s_mov_b32 s3, exec_lo
	v_cmpx_gt_u32_e32 8, v18
; %bb.2146:                             ;   in Loop: Header=BB287_2093 Depth=1
	s_delay_alu instid0(VALU_DEP_2) | instskip(NEXT) | instid1(VALU_DEP_1)
	v_clz_i32_u32_e32 v12, v12
	v_min_u32_e32 v12, 32, v12
	s_delay_alu instid0(VALU_DEP_1) | instskip(NEXT) | instid1(VALU_DEP_1)
	v_subrev_nc_u32_e32 v17, 28, v12
	v_lshlrev_b64_e32 v[18:19], v17, v[0:1]
	s_delay_alu instid0(VALU_DEP_1)
	v_dual_sub_nc_u32 v17, 29, v12 :: v_dual_bitop2_b32 v12, 7, v18 bitop3:0x40
; %bb.2147:                             ;   in Loop: Header=BB287_2093 Depth=1
	s_or_b32 exec_lo, exec_lo, s3
	v_lshlrev_b32_e32 v0, 8, v0
	s_delay_alu instid0(VALU_DEP_2) | instskip(NEXT) | instid1(VALU_DEP_3)
	v_lshl_add_u32 v17, v17, 10, 0x2000
	v_lshlrev_b32_e32 v12, 7, v12
	s_delay_alu instid0(VALU_DEP_3) | instskip(NEXT) | instid1(VALU_DEP_3)
	v_and_b32_e32 v0, 0x8000, v0
	v_and_b32_e32 v17, 0xfc00, v17
	s_delay_alu instid0(VALU_DEP_1)
	v_or3_b32 v12, v0, v17, v12
.LBB287_2148:                           ;   in Loop: Header=BB287_2093 Depth=1
	s_or_b32 exec_lo, exec_lo, s2
.LBB287_2149:                           ;   in Loop: Header=BB287_2093 Depth=1
	s_delay_alu instid0(SALU_CYCLE_1)
	s_or_b32 exec_lo, exec_lo, s1
.LBB287_2150:                           ;   in Loop: Header=BB287_2093 Depth=1
	s_delay_alu instid0(SALU_CYCLE_1)
	s_or_b32 exec_lo, exec_lo, s0
	v_mov_b32_e32 v0, 0
	s_mov_b32 s0, exec_lo
	v_cmpx_lt_u64_e64 s[14:15], v[86:87]
	s_cbranch_execz .LBB287_2158
; %bb.2151:                             ;   in Loop: Header=BB287_2093 Depth=1
	v_lshrrev_b32_e32 v26, 24, v87
	v_bfrev_b32_e32 v0, 1
	s_mov_b32 s1, exec_lo
	s_delay_alu instid0(VALU_DEP_2)
	v_cmpx_ne_u32_e32 0x80, v26
	s_cbranch_execz .LBB287_2157
; %bb.2152:                             ;   in Loop: Header=BB287_2093 Depth=1
	v_and_b32_e32 v18, 0x7f, v26
	v_mov_b32_e32 v0, 0x7c010000
	s_mov_b32 s2, exec_lo
	s_delay_alu instid0(VALU_DEP_2)
	v_cmpx_ne_u32_e32 0x7f, v18
	s_cbranch_execz .LBB287_2156
; %bb.2153:                             ;   in Loop: Header=BB287_2093 Depth=1
	v_and_b32_e32 v0, 7, v26
	v_lshrrev_b32_e32 v17, 3, v18
	s_mov_b32 s3, exec_lo
	v_cmpx_gt_u32_e32 8, v18
; %bb.2154:                             ;   in Loop: Header=BB287_2093 Depth=1
	s_delay_alu instid0(VALU_DEP_3) | instskip(NEXT) | instid1(VALU_DEP_1)
	v_clz_i32_u32_e32 v0, v0
	v_min_u32_e32 v0, 32, v0
	s_delay_alu instid0(VALU_DEP_1) | instskip(NEXT) | instid1(VALU_DEP_1)
	v_subrev_nc_u32_e32 v17, 28, v0
	v_lshlrev_b64_e32 v[18:19], v17, v[26:27]
	s_delay_alu instid0(VALU_DEP_1)
	v_dual_sub_nc_u32 v17, 29, v0 :: v_dual_bitop2_b32 v0, 7, v18 bitop3:0x40
; %bb.2155:                             ;   in Loop: Header=BB287_2093 Depth=1
	s_or_b32 exec_lo, exec_lo, s3
	s_delay_alu instid0(VALU_DEP_1) | instskip(NEXT) | instid1(VALU_DEP_2)
	v_dual_lshlrev_b32 v18, 8, v26 :: v_dual_lshlrev_b32 v0, 23, v0
	v_lshl_add_u32 v17, v17, 10, 0x2000
	s_delay_alu instid0(VALU_DEP_1) | instskip(NEXT) | instid1(VALU_DEP_1)
	v_and_or_b32 v17, 0x8000, v18, v17
	v_lshl_or_b32 v0, v17, 16, v0
.LBB287_2156:                           ;   in Loop: Header=BB287_2093 Depth=1
	s_or_b32 exec_lo, exec_lo, s2
.LBB287_2157:                           ;   in Loop: Header=BB287_2093 Depth=1
	s_delay_alu instid0(SALU_CYCLE_1)
	s_or_b32 exec_lo, exec_lo, s1
.LBB287_2158:                           ;   in Loop: Header=BB287_2093 Depth=1
	s_delay_alu instid0(SALU_CYCLE_1)
	s_or_b32 exec_lo, exec_lo, s0
	s_clause 0x2
	scratch_load_b32 v17, off, s32 offset:192
	scratch_load_b32 v18, off, s32 offset:240
	scratch_load_b64 v[96:97], off, s32 offset:852
	v_or_b32_e32 v8, v7, v8
	s_wait_loadcnt 0x2
	v_dual_add_nc_u32 v17, -1, v17 :: v_dual_bitop2_b32 v12, v0, v12 bitop3:0x54
	s_wait_loadcnt 0x1
	v_dual_add_nc_u32 v18, v18, v70 :: v_dual_lshrrev_b32 v19, 16, v1
	s_wait_loadcnt 0x0
	v_dual_mov_b32 v118, v96 :: v_dual_bitop2_b32 v1, v1, v6 bitop3:0x54
	v_cmp_eq_u32_e64 s0, v17, v112
	s_delay_alu instid0(VALU_DEP_3) | instskip(SKIP_3) | instid1(VALU_DEP_4)
	v_dual_add_nc_u32 v17, 2, v18 :: v_dual_bitop2_b32 v26, 1, v18 bitop3:0x54
	v_or_b32_e32 v85, 3, v18
	v_cmp_lt_i32_e32 vcc_lo, v18, v13
	v_or_b32_e32 v86, 4, v18
	v_cmp_lt_i32_e64 s1, v17, v118
	v_lshrrev_b32_e32 v17, 16, v7
	v_cmp_lt_i32_e64 s2, v26, v13
	v_cmp_lt_i32_e64 s3, v85, v118
	v_or_b32_e32 v26, 6, v18
	v_or_b32_e32 v85, 5, v18
	;; [unrolled: 1-line block ×3, first 2 shown]
	v_cvt_f32_f16_e32 v19, v19
	v_cvt_f32_f16_e32 v18, v17
	v_lshrrev_b32_e32 v17, 16, v16
	v_cmp_lt_i32_e64 s4, v86, v13
	s_wait_dscnt 0x0
	s_delay_alu instid0(VALU_DEP_3) | instskip(SKIP_4) | instid1(VALU_DEP_4)
	v_pk_mul_f32 v[6:7], v[84:85], v[18:19] op_sel_hi:[0,1]
	v_dual_lshrrev_b32 v18, 16, v0 :: v_dual_bitop2_b32 v19, v16, v9 bitop3:0x54
	v_cvt_f32_f16_e32 v9, v1
	v_cvt_f32_f16_e32 v1, v17
	;; [unrolled: 1-line block ×5, first 2 shown]
	v_cvt_pk_f16_f32 v12, v6, v7
	v_cmp_lt_i32_e64 s5, v26, v118
	s_delay_alu instid0(VALU_DEP_2) | instskip(SKIP_3) | instid1(VALU_DEP_3)
	v_lshlrev_b32_e32 v86, 16, v12
	v_pk_mul_f32 v[0:1], v[84:85], v[0:1] op_sel_hi:[0,1]
	v_pk_mul_f32 v[6:7], v[84:85], v[16:17] op_sel_hi:[0,1]
	v_cmp_lt_i32_e64 s6, v85, v13
	v_cvt_pk_f16_f32 v0, v0, v1
	s_delay_alu instid0(VALU_DEP_3) | instskip(NEXT) | instid1(VALU_DEP_2)
	v_cvt_pk_f16_f32 v1, v6, v7
	v_and_b32_e32 v19, 0xffff0000, v0
	s_delay_alu instid0(VALU_DEP_2) | instskip(SKIP_2) | instid1(VALU_DEP_3)
	v_lshrrev_b32_e32 v87, 16, v1
	v_cvt_f32_f16_e32 v8, v8
	v_and_b32_e32 v96, 0xffff, v1
	v_or_b32_e32 v1, v19, v87
	s_delay_alu instid0(VALU_DEP_3) | instskip(SKIP_2) | instid1(VALU_DEP_3)
	v_pk_mul_f32 v[8:9], v[84:85], v[8:9] op_sel_hi:[0,1]
	v_and_b32_e32 v85, 0xffff0000, v12
	v_lshlrev_b32_e32 v84, 16, v0
	v_cvt_pk_f16_f32 v8, v8, v9
	s_delay_alu instid0(VALU_DEP_2) | instskip(NEXT) | instid1(VALU_DEP_2)
	v_or_b32_e32 v0, v84, v96
	v_lshrrev_b32_e32 v97, 16, v8
	v_and_b32_e32 v98, 0xffff, v8
	v_cmp_lt_i32_e64 s7, v116, v118
	s_delay_alu instid0(VALU_DEP_3) | instskip(NEXT) | instid1(VALU_DEP_3)
	v_or_b32_e32 v9, v85, v97
	v_or_b32_e32 v26, v86, v98
	s_wait_xcnt 0x0
	s_and_saveexec_b32 s8, s0
	s_cbranch_execz .LBB287_2160
; %bb.2159:                             ;   in Loop: Header=BB287_2093 Depth=1
	v_dual_cndmask_b32 v0, 0, v97, vcc_lo :: v_dual_cndmask_b32 v1, 0, v98, s1
	v_dual_cndmask_b32 v6, 0, v85, s2 :: v_dual_cndmask_b32 v7, 0, v86, s3
	v_dual_cndmask_b32 v8, 0, v87, s4 :: v_dual_cndmask_b32 v12, 0, v96, s5
	;; [unrolled: 1-line block ×3, first 2 shown]
	s_delay_alu instid0(VALU_DEP_3) | instskip(NEXT) | instid1(VALU_DEP_4)
	v_or_b32_e32 v9, v0, v6
	v_or_b32_e32 v26, v1, v7
	s_delay_alu instid0(VALU_DEP_3) | instskip(NEXT) | instid1(VALU_DEP_4)
	v_or_b32_e32 v1, v8, v16
	v_or_b32_e32 v0, v12, v17
.LBB287_2160:                           ;   in Loop: Header=BB287_2093 Depth=1
	s_or_b32 exec_lo, exec_lo, s8
	v_and_b32_e32 v6, 0xffff, v100
	v_and_b32_e32 v7, 0xffff, v101
	;; [unrolled: 1-line block ×4, first 2 shown]
	s_mov_b32 s22, exec_lo
	v_lshl_or_b32 v119, v14, 16, v6
	v_lshl_or_b32 v117, v15, 16, v7
	;; [unrolled: 1-line block ×4, first 2 shown]
	;;#ASMSTART
	v_pk_mul_f16 v6, v119, v9;

	;;#ASMEND
	;;#ASMSTART
	v_pk_mul_f16 v7, v117, v26;

	;;#ASMEND
	;; [unrolled: 4-line block ×4, first 2 shown]
	;;#ASMSTART
	v_pk_add_f16 v6, v6, v7;

	;;#ASMEND
	;;#ASMSTART
	v_pk_add_f16 v1, v6, v1;

	;;#ASMEND
	;; [unrolled: 4-line block ×3, first 2 shown]
	v_and_b32_e32 v1, 0xffff, v0
	v_lshrrev_b32_e32 v0, 16, v0
	;;#ASMSTART
	v_cvt_f32_f16 v71, v1;
	;;#ASMEND
	v_mov_b32_e32 v1, 0
	;;#ASMSTART
	v_cvt_f32_f16 v0, v0;
	;;#ASMEND
	scratch_store_b32 off, v0, s32 offset:228 ; 4-byte Folded Spill
	flat_load_b64 v[86:87], v[82:83] offset:256
	flat_load_b32 v84, v[22:23]
	v_mov_b32_e32 v6, 0
	s_wait_loadcnt_dscnt 0x101
	s_wait_xcnt 0x2
	v_and_b32_e32 v0, 0xff, v86
	s_wait_xcnt 0x0
	s_delay_alu instid0(VALU_DEP_1)
	v_cmpx_ne_u16_e32 0, v0
	s_cbranch_execz .LBB287_2168
; %bb.2161:                             ;   in Loop: Header=BB287_2093 Depth=1
	v_mov_b32_e32 v6, 0x8000
	s_mov_b32 s23, exec_lo
	v_cmpx_ne_u16_e32 0x80, v0
	s_cbranch_execz .LBB287_2167
; %bb.2162:                             ;   in Loop: Header=BB287_2093 Depth=1
	v_and_b32_e32 v7, 0x7f, v86
	v_mov_b32_e32 v6, 0x7c01
	s_mov_b32 s24, exec_lo
	s_delay_alu instid0(VALU_DEP_2)
	v_cmpx_ne_u32_e32 0x7f, v7
	s_cbranch_execz .LBB287_2166
; %bb.2163:                             ;   in Loop: Header=BB287_2093 Depth=1
	v_dual_lshrrev_b32 v6, 3, v7 :: v_dual_bitop2_b32 v0, 7, v86 bitop3:0x40
	s_mov_b32 s25, exec_lo
	v_cmpx_gt_u32_e32 8, v7
; %bb.2164:                             ;   in Loop: Header=BB287_2093 Depth=1
	s_delay_alu instid0(VALU_DEP_2) | instskip(NEXT) | instid1(VALU_DEP_1)
	v_clz_i32_u32_e32 v0, v0
	v_min_u32_e32 v0, 32, v0
	s_delay_alu instid0(VALU_DEP_1) | instskip(NEXT) | instid1(VALU_DEP_1)
	v_subrev_nc_u32_e32 v6, 28, v0
	v_lshlrev_b64_e32 v[8:9], v6, v[86:87]
	v_sub_nc_u32_e32 v6, 29, v0
	s_delay_alu instid0(VALU_DEP_2)
	v_and_b32_e32 v0, 7, v8
; %bb.2165:                             ;   in Loop: Header=BB287_2093 Depth=1
	s_or_b32 exec_lo, exec_lo, s25
	s_delay_alu instid0(VALU_DEP_1) | instskip(NEXT) | instid1(VALU_DEP_3)
	v_dual_lshlrev_b32 v7, 8, v86 :: v_dual_lshlrev_b32 v0, 7, v0
	v_lshl_add_u32 v6, v6, 10, 0x2000
	s_delay_alu instid0(VALU_DEP_2) | instskip(NEXT) | instid1(VALU_DEP_2)
	v_and_b32_e32 v7, 0x8000, v7
	v_and_b32_e32 v6, 0xfc00, v6
	s_delay_alu instid0(VALU_DEP_1)
	v_or3_b32 v6, v7, v6, v0
.LBB287_2166:                           ;   in Loop: Header=BB287_2093 Depth=1
	s_or_b32 exec_lo, exec_lo, s24
.LBB287_2167:                           ;   in Loop: Header=BB287_2093 Depth=1
	s_delay_alu instid0(SALU_CYCLE_1)
	s_or_b32 exec_lo, exec_lo, s23
.LBB287_2168:                           ;   in Loop: Header=BB287_2093 Depth=1
	s_delay_alu instid0(SALU_CYCLE_1) | instskip(SKIP_2) | instid1(VALU_DEP_1)
	s_or_b32 exec_lo, exec_lo, s22
	v_lshrrev_b16 v26, 8, v86
	s_mov_b32 s22, exec_lo
	v_cmpx_ne_u16_e32 0, v26
	s_cbranch_execz .LBB287_2176
; %bb.2169:                             ;   in Loop: Header=BB287_2093 Depth=1
	v_bfrev_b32_e32 v1, 1
	s_mov_b32 s23, exec_lo
	v_cmpx_ne_u16_e32 0x80, v26
	s_cbranch_execz .LBB287_2175
; %bb.2170:                             ;   in Loop: Header=BB287_2093 Depth=1
	v_and_b32_e32 v0, 0xffff, v26
	v_mov_b32_e32 v1, 0x7c010000
	s_mov_b32 s24, exec_lo
	s_delay_alu instid0(VALU_DEP_2) | instskip(NEXT) | instid1(VALU_DEP_1)
	v_and_b32_e32 v8, 0x7f, v0
	v_cmpx_ne_u32_e32 0x7f, v8
	s_cbranch_execz .LBB287_2174
; %bb.2171:                             ;   in Loop: Header=BB287_2093 Depth=1
	v_and_b32_e32 v1, 7, v0
	v_lshrrev_b32_e32 v7, 3, v8
	s_mov_b32 s25, exec_lo
	v_cmpx_gt_u32_e32 8, v8
; %bb.2172:                             ;   in Loop: Header=BB287_2093 Depth=1
	s_delay_alu instid0(VALU_DEP_3) | instskip(NEXT) | instid1(VALU_DEP_1)
	v_clz_i32_u32_e32 v1, v1
	v_min_u32_e32 v1, 32, v1
	s_delay_alu instid0(VALU_DEP_1) | instskip(NEXT) | instid1(VALU_DEP_1)
	v_subrev_nc_u32_e32 v7, 28, v1
	v_lshlrev_b64_e32 v[8:9], v7, v[26:27]
	s_delay_alu instid0(VALU_DEP_1)
	v_dual_sub_nc_u32 v7, 29, v1 :: v_dual_bitop2_b32 v1, 7, v8 bitop3:0x40
; %bb.2173:                             ;   in Loop: Header=BB287_2093 Depth=1
	s_or_b32 exec_lo, exec_lo, s25
	s_delay_alu instid0(VALU_DEP_1) | instskip(NEXT) | instid1(VALU_DEP_2)
	v_dual_lshlrev_b32 v0, 8, v0 :: v_dual_lshlrev_b32 v1, 23, v1
	v_lshl_add_u32 v7, v7, 10, 0x2000
	s_delay_alu instid0(VALU_DEP_1) | instskip(NEXT) | instid1(VALU_DEP_1)
	v_and_or_b32 v0, 0x8000, v0, v7
	v_lshl_or_b32 v1, v0, 16, v1
.LBB287_2174:                           ;   in Loop: Header=BB287_2093 Depth=1
	s_or_b32 exec_lo, exec_lo, s24
.LBB287_2175:                           ;   in Loop: Header=BB287_2093 Depth=1
	s_delay_alu instid0(SALU_CYCLE_1)
	s_or_b32 exec_lo, exec_lo, s23
.LBB287_2176:                           ;   in Loop: Header=BB287_2093 Depth=1
	s_delay_alu instid0(SALU_CYCLE_1) | instskip(SKIP_3) | instid1(VALU_DEP_2)
	s_or_b32 exec_lo, exec_lo, s22
	v_dual_mov_b32 v7, 0 :: v_dual_lshrrev_b32 v0, 16, v86
	v_mov_b32_e32 v8, 0
	s_mov_b32 s22, exec_lo
	v_and_b32_e32 v9, 0xff, v0
	s_delay_alu instid0(VALU_DEP_1)
	v_cmpx_ne_u16_e32 0, v9
	s_cbranch_execz .LBB287_2184
; %bb.2177:                             ;   in Loop: Header=BB287_2093 Depth=1
	v_mov_b32_e32 v8, 0x8000
	s_mov_b32 s23, exec_lo
	v_cmpx_ne_u16_e32 0x80, v9
	s_cbranch_execz .LBB287_2183
; %bb.2178:                             ;   in Loop: Header=BB287_2093 Depth=1
	v_bfe_u32 v12, v86, 16, 7
	v_mov_b32_e32 v8, 0x7c01
	s_mov_b32 s24, exec_lo
	s_delay_alu instid0(VALU_DEP_2)
	v_cmpx_ne_u32_e32 0x7f, v12
	s_cbranch_execz .LBB287_2182
; %bb.2179:                             ;   in Loop: Header=BB287_2093 Depth=1
	v_and_b32_e32 v8, 7, v0
	v_lshrrev_b32_e32 v9, 3, v12
	s_mov_b32 s25, exec_lo
	v_cmpx_gt_u32_e32 8, v12
; %bb.2180:                             ;   in Loop: Header=BB287_2093 Depth=1
	s_delay_alu instid0(VALU_DEP_3) | instskip(NEXT) | instid1(VALU_DEP_1)
	v_clz_i32_u32_e32 v8, v8
	v_min_u32_e32 v12, 32, v8
	s_delay_alu instid0(VALU_DEP_1) | instskip(NEXT) | instid1(VALU_DEP_1)
	v_subrev_nc_u32_e32 v8, 28, v12
	v_lshlrev_b64_e32 v[8:9], v8, v[0:1]
	v_sub_nc_u32_e32 v9, 29, v12
	s_delay_alu instid0(VALU_DEP_2)
	v_and_b32_e32 v8, 7, v8
; %bb.2181:                             ;   in Loop: Header=BB287_2093 Depth=1
	s_or_b32 exec_lo, exec_lo, s25
	v_lshlrev_b32_e32 v0, 8, v0
	s_delay_alu instid0(VALU_DEP_3) | instskip(NEXT) | instid1(VALU_DEP_3)
	v_lshl_add_u32 v9, v9, 10, 0x2000
	v_lshlrev_b32_e32 v8, 7, v8
	s_delay_alu instid0(VALU_DEP_3) | instskip(NEXT) | instid1(VALU_DEP_3)
	v_and_b32_e32 v0, 0x8000, v0
	v_and_b32_e32 v9, 0xfc00, v9
	s_delay_alu instid0(VALU_DEP_1)
	v_or3_b32 v8, v0, v9, v8
.LBB287_2182:                           ;   in Loop: Header=BB287_2093 Depth=1
	s_or_b32 exec_lo, exec_lo, s24
.LBB287_2183:                           ;   in Loop: Header=BB287_2093 Depth=1
	s_delay_alu instid0(SALU_CYCLE_1)
	s_or_b32 exec_lo, exec_lo, s23
.LBB287_2184:                           ;   in Loop: Header=BB287_2093 Depth=1
	s_delay_alu instid0(SALU_CYCLE_1) | instskip(NEXT) | instid1(SALU_CYCLE_1)
	s_or_b32 exec_lo, exec_lo, s22
	s_mov_b32 s22, exec_lo
	v_cmpx_lt_u32_e32 0xffffff, v86
	s_cbranch_execz .LBB287_2192
; %bb.2185:                             ;   in Loop: Header=BB287_2093 Depth=1
	v_lshrrev_b32_e32 v26, 24, v86
	v_bfrev_b32_e32 v7, 1
	s_mov_b32 s23, exec_lo
	s_delay_alu instid0(VALU_DEP_2)
	v_cmpx_ne_u32_e32 0x80, v26
	s_cbranch_execz .LBB287_2191
; %bb.2186:                             ;   in Loop: Header=BB287_2093 Depth=1
	v_and_b32_e32 v9, 0x7f, v26
	v_mov_b32_e32 v7, 0x7c010000
	s_mov_b32 s24, exec_lo
	s_delay_alu instid0(VALU_DEP_2)
	v_cmpx_ne_u32_e32 0x7f, v9
	s_cbranch_execz .LBB287_2190
; %bb.2187:                             ;   in Loop: Header=BB287_2093 Depth=1
	v_dual_lshrrev_b32 v7, 3, v9 :: v_dual_bitop2_b32 v0, 7, v26 bitop3:0x40
	s_mov_b32 s25, exec_lo
	v_cmpx_gt_u32_e32 8, v9
; %bb.2188:                             ;   in Loop: Header=BB287_2093 Depth=1
	s_delay_alu instid0(VALU_DEP_2) | instskip(NEXT) | instid1(VALU_DEP_1)
	v_clz_i32_u32_e32 v0, v0
	v_min_u32_e32 v0, 32, v0
	s_delay_alu instid0(VALU_DEP_1) | instskip(NEXT) | instid1(VALU_DEP_1)
	v_subrev_nc_u32_e32 v7, 28, v0
	v_lshlrev_b64_e32 v[14:15], v7, v[26:27]
	s_delay_alu instid0(VALU_DEP_1)
	v_dual_sub_nc_u32 v7, 29, v0 :: v_dual_bitop2_b32 v0, 7, v14 bitop3:0x40
; %bb.2189:                             ;   in Loop: Header=BB287_2093 Depth=1
	s_or_b32 exec_lo, exec_lo, s25
	s_delay_alu instid0(VALU_DEP_1) | instskip(NEXT) | instid1(VALU_DEP_2)
	v_dual_lshlrev_b32 v9, 8, v26 :: v_dual_lshlrev_b32 v0, 23, v0
	v_lshl_add_u32 v7, v7, 10, 0x2000
	s_delay_alu instid0(VALU_DEP_1) | instskip(NEXT) | instid1(VALU_DEP_1)
	v_and_or_b32 v7, 0x8000, v9, v7
	v_lshl_or_b32 v7, v7, 16, v0
.LBB287_2190:                           ;   in Loop: Header=BB287_2093 Depth=1
	s_or_b32 exec_lo, exec_lo, s24
.LBB287_2191:                           ;   in Loop: Header=BB287_2093 Depth=1
	s_delay_alu instid0(SALU_CYCLE_1)
	s_or_b32 exec_lo, exec_lo, s23
.LBB287_2192:                           ;   in Loop: Header=BB287_2093 Depth=1
	s_delay_alu instid0(SALU_CYCLE_1) | instskip(SKIP_4) | instid1(VALU_DEP_3)
	s_or_b32 exec_lo, exec_lo, s22
	v_and_b32_e32 v0, 0xff, v87
	v_dual_mov_b32 v26, v87 :: v_dual_mov_b32 v12, 0
	v_mov_b32_e32 v9, 0
	s_mov_b32 s22, exec_lo
	v_cmpx_ne_u16_e32 0, v0
	s_cbranch_execz .LBB287_2200
; %bb.2193:                             ;   in Loop: Header=BB287_2093 Depth=1
	v_mov_b32_e32 v9, 0x8000
	s_mov_b32 s23, exec_lo
	v_cmpx_ne_u16_e32 0x80, v0
	s_cbranch_execz .LBB287_2199
; %bb.2194:                             ;   in Loop: Header=BB287_2093 Depth=1
	v_and_b32_e32 v16, 0x7f, v87
	v_mov_b32_e32 v9, 0x7c01
	s_mov_b32 s24, exec_lo
	s_delay_alu instid0(VALU_DEP_2)
	v_cmpx_ne_u32_e32 0x7f, v16
	s_cbranch_execz .LBB287_2198
; %bb.2195:                             ;   in Loop: Header=BB287_2093 Depth=1
	v_dual_lshrrev_b32 v9, 3, v16 :: v_dual_bitop2_b32 v0, 7, v87 bitop3:0x40
	s_mov_b32 s25, exec_lo
	v_cmpx_gt_u32_e32 8, v16
; %bb.2196:                             ;   in Loop: Header=BB287_2093 Depth=1
	s_delay_alu instid0(VALU_DEP_2) | instskip(NEXT) | instid1(VALU_DEP_1)
	v_clz_i32_u32_e32 v0, v0
	v_min_u32_e32 v0, 32, v0
	s_delay_alu instid0(VALU_DEP_1) | instskip(NEXT) | instid1(VALU_DEP_1)
	v_subrev_nc_u32_e32 v9, 28, v0
	v_lshlrev_b64_e32 v[14:15], v9, v[26:27]
	s_delay_alu instid0(VALU_DEP_1)
	v_dual_sub_nc_u32 v9, 29, v0 :: v_dual_bitop2_b32 v0, 7, v14 bitop3:0x40
; %bb.2197:                             ;   in Loop: Header=BB287_2093 Depth=1
	s_or_b32 exec_lo, exec_lo, s25
	s_delay_alu instid0(VALU_DEP_1) | instskip(NEXT) | instid1(VALU_DEP_2)
	v_dual_lshlrev_b32 v14, 8, v87 :: v_dual_lshlrev_b32 v0, 7, v0
	v_lshl_add_u32 v9, v9, 10, 0x2000
	s_delay_alu instid0(VALU_DEP_2) | instskip(NEXT) | instid1(VALU_DEP_2)
	v_and_b32_e32 v14, 0x8000, v14
	v_and_b32_e32 v9, 0xfc00, v9
	s_delay_alu instid0(VALU_DEP_1)
	v_or3_b32 v9, v14, v9, v0
.LBB287_2198:                           ;   in Loop: Header=BB287_2093 Depth=1
	s_or_b32 exec_lo, exec_lo, s24
.LBB287_2199:                           ;   in Loop: Header=BB287_2093 Depth=1
	s_delay_alu instid0(SALU_CYCLE_1)
	s_or_b32 exec_lo, exec_lo, s23
.LBB287_2200:                           ;   in Loop: Header=BB287_2093 Depth=1
	s_delay_alu instid0(SALU_CYCLE_1) | instskip(SKIP_3) | instid1(VALU_DEP_2)
	s_or_b32 exec_lo, exec_lo, s22
	v_lshrrev_b16 v26, 8, v26
	v_mov_b32_e32 v16, 0
	s_mov_b32 s22, exec_lo
	v_cmpx_ne_u16_e32 0, v26
	s_cbranch_execz .LBB287_2208
; %bb.2201:                             ;   in Loop: Header=BB287_2093 Depth=1
	v_bfrev_b32_e32 v16, 1
	s_mov_b32 s23, exec_lo
	v_cmpx_ne_u16_e32 0x80, v26
	s_cbranch_execz .LBB287_2207
; %bb.2202:                             ;   in Loop: Header=BB287_2093 Depth=1
	v_and_b32_e32 v0, 0xffff, v26
	v_mov_b32_e32 v16, 0x7c010000
	s_mov_b32 s24, exec_lo
	s_delay_alu instid0(VALU_DEP_2) | instskip(NEXT) | instid1(VALU_DEP_1)
	v_and_b32_e32 v18, 0x7f, v0
	v_cmpx_ne_u32_e32 0x7f, v18
	s_cbranch_execz .LBB287_2206
; %bb.2203:                             ;   in Loop: Header=BB287_2093 Depth=1
	v_dual_lshrrev_b32 v17, 3, v18 :: v_dual_bitop2_b32 v16, 7, v0 bitop3:0x40
	s_mov_b32 s25, exec_lo
	v_cmpx_gt_u32_e32 8, v18
; %bb.2204:                             ;   in Loop: Header=BB287_2093 Depth=1
	s_delay_alu instid0(VALU_DEP_2) | instskip(NEXT) | instid1(VALU_DEP_1)
	v_clz_i32_u32_e32 v14, v16
	v_min_u32_e32 v16, 32, v14
	s_delay_alu instid0(VALU_DEP_1) | instskip(NEXT) | instid1(VALU_DEP_1)
	v_subrev_nc_u32_e32 v14, 28, v16
	v_lshlrev_b64_e32 v[14:15], v14, v[26:27]
	s_delay_alu instid0(VALU_DEP_1)
	v_dual_sub_nc_u32 v17, 29, v16 :: v_dual_bitop2_b32 v16, 7, v14 bitop3:0x40
; %bb.2205:                             ;   in Loop: Header=BB287_2093 Depth=1
	s_or_b32 exec_lo, exec_lo, s25
	v_lshlrev_b32_e32 v0, 8, v0
	s_delay_alu instid0(VALU_DEP_2) | instskip(NEXT) | instid1(VALU_DEP_1)
	v_lshl_add_u32 v14, v17, 10, 0x2000
	v_and_or_b32 v0, 0x8000, v0, v14
	v_lshlrev_b32_e32 v14, 23, v16
	s_delay_alu instid0(VALU_DEP_1)
	v_lshl_or_b32 v16, v0, 16, v14
.LBB287_2206:                           ;   in Loop: Header=BB287_2093 Depth=1
	s_or_b32 exec_lo, exec_lo, s24
.LBB287_2207:                           ;   in Loop: Header=BB287_2093 Depth=1
	s_delay_alu instid0(SALU_CYCLE_1)
	s_or_b32 exec_lo, exec_lo, s23
.LBB287_2208:                           ;   in Loop: Header=BB287_2093 Depth=1
	s_delay_alu instid0(SALU_CYCLE_1) | instskip(SKIP_2) | instid1(VALU_DEP_1)
	s_or_b32 exec_lo, exec_lo, s22
	v_lshrrev_b32_e32 v0, 16, v87
	s_mov_b32 s22, exec_lo
	v_and_b32_e32 v17, 0xff, v0
	s_delay_alu instid0(VALU_DEP_1)
	v_cmpx_ne_u16_e32 0, v17
	s_cbranch_execz .LBB287_2216
; %bb.2209:                             ;   in Loop: Header=BB287_2093 Depth=1
	v_mov_b32_e32 v12, 0x8000
	s_mov_b32 s23, exec_lo
	v_cmpx_ne_u16_e32 0x80, v17
	s_cbranch_execz .LBB287_2215
; %bb.2210:                             ;   in Loop: Header=BB287_2093 Depth=1
	v_bfe_u32 v18, v87, 16, 7
	v_mov_b32_e32 v12, 0x7c01
	s_mov_b32 s24, exec_lo
	s_delay_alu instid0(VALU_DEP_2)
	v_cmpx_ne_u32_e32 0x7f, v18
	s_cbranch_execz .LBB287_2214
; %bb.2211:                             ;   in Loop: Header=BB287_2093 Depth=1
	v_dual_lshrrev_b32 v17, 3, v18 :: v_dual_bitop2_b32 v12, 7, v0 bitop3:0x40
	s_mov_b32 s25, exec_lo
	v_cmpx_gt_u32_e32 8, v18
; %bb.2212:                             ;   in Loop: Header=BB287_2093 Depth=1
	s_delay_alu instid0(VALU_DEP_2) | instskip(NEXT) | instid1(VALU_DEP_1)
	v_clz_i32_u32_e32 v12, v12
	v_min_u32_e32 v12, 32, v12
	s_delay_alu instid0(VALU_DEP_1) | instskip(NEXT) | instid1(VALU_DEP_1)
	v_subrev_nc_u32_e32 v14, 28, v12
	v_lshlrev_b64_e32 v[14:15], v14, v[0:1]
	s_delay_alu instid0(VALU_DEP_1)
	v_dual_sub_nc_u32 v17, 29, v12 :: v_dual_bitop2_b32 v12, 7, v14 bitop3:0x40
; %bb.2213:                             ;   in Loop: Header=BB287_2093 Depth=1
	s_or_b32 exec_lo, exec_lo, s25
	v_lshlrev_b32_e32 v0, 8, v0
	s_delay_alu instid0(VALU_DEP_2) | instskip(NEXT) | instid1(VALU_DEP_3)
	v_lshl_add_u32 v14, v17, 10, 0x2000
	v_lshlrev_b32_e32 v12, 7, v12
	s_delay_alu instid0(VALU_DEP_3) | instskip(NEXT) | instid1(VALU_DEP_3)
	v_and_b32_e32 v0, 0x8000, v0
	v_and_b32_e32 v14, 0xfc00, v14
	s_delay_alu instid0(VALU_DEP_1)
	v_or3_b32 v12, v0, v14, v12
.LBB287_2214:                           ;   in Loop: Header=BB287_2093 Depth=1
	s_or_b32 exec_lo, exec_lo, s24
.LBB287_2215:                           ;   in Loop: Header=BB287_2093 Depth=1
	s_delay_alu instid0(SALU_CYCLE_1)
	s_or_b32 exec_lo, exec_lo, s23
.LBB287_2216:                           ;   in Loop: Header=BB287_2093 Depth=1
	s_delay_alu instid0(SALU_CYCLE_1)
	s_or_b32 exec_lo, exec_lo, s22
	v_mov_b32_e32 v0, 0
	s_mov_b32 s22, exec_lo
	v_cmpx_lt_u64_e64 s[14:15], v[86:87]
	s_cbranch_execz .LBB287_2224
; %bb.2217:                             ;   in Loop: Header=BB287_2093 Depth=1
	v_lshrrev_b32_e32 v26, 24, v87
	v_bfrev_b32_e32 v0, 1
	s_mov_b32 s23, exec_lo
	s_delay_alu instid0(VALU_DEP_2)
	v_cmpx_ne_u32_e32 0x80, v26
	s_cbranch_execz .LBB287_2223
; %bb.2218:                             ;   in Loop: Header=BB287_2093 Depth=1
	v_and_b32_e32 v18, 0x7f, v26
	v_mov_b32_e32 v0, 0x7c010000
	s_mov_b32 s24, exec_lo
	s_delay_alu instid0(VALU_DEP_2)
	v_cmpx_ne_u32_e32 0x7f, v18
	s_cbranch_execz .LBB287_2222
; %bb.2219:                             ;   in Loop: Header=BB287_2093 Depth=1
	v_and_b32_e32 v0, 7, v26
	v_lshrrev_b32_e32 v17, 3, v18
	s_mov_b32 s25, exec_lo
	v_cmpx_gt_u32_e32 8, v18
; %bb.2220:                             ;   in Loop: Header=BB287_2093 Depth=1
	s_delay_alu instid0(VALU_DEP_3) | instskip(NEXT) | instid1(VALU_DEP_1)
	v_clz_i32_u32_e32 v0, v0
	v_min_u32_e32 v0, 32, v0
	s_delay_alu instid0(VALU_DEP_1) | instskip(NEXT) | instid1(VALU_DEP_1)
	v_subrev_nc_u32_e32 v14, 28, v0
	v_lshlrev_b64_e32 v[14:15], v14, v[26:27]
	s_delay_alu instid0(VALU_DEP_1)
	v_dual_sub_nc_u32 v17, 29, v0 :: v_dual_bitop2_b32 v0, 7, v14 bitop3:0x40
; %bb.2221:                             ;   in Loop: Header=BB287_2093 Depth=1
	s_or_b32 exec_lo, exec_lo, s25
	s_delay_alu instid0(VALU_DEP_1) | instskip(NEXT) | instid1(VALU_DEP_2)
	v_dual_lshlrev_b32 v14, 8, v26 :: v_dual_lshlrev_b32 v0, 23, v0
	v_lshl_add_u32 v15, v17, 10, 0x2000
	s_delay_alu instid0(VALU_DEP_1) | instskip(NEXT) | instid1(VALU_DEP_1)
	v_and_or_b32 v14, 0x8000, v14, v15
	v_lshl_or_b32 v0, v14, 16, v0
.LBB287_2222:                           ;   in Loop: Header=BB287_2093 Depth=1
	s_or_b32 exec_lo, exec_lo, s24
.LBB287_2223:                           ;   in Loop: Header=BB287_2093 Depth=1
	s_delay_alu instid0(SALU_CYCLE_1)
	s_or_b32 exec_lo, exec_lo, s23
.LBB287_2224:                           ;   in Loop: Header=BB287_2093 Depth=1
	s_delay_alu instid0(SALU_CYCLE_1) | instskip(SKIP_4) | instid1(VALU_DEP_4)
	s_or_b32 exec_lo, exec_lo, s22
	v_dual_lshrrev_b32 v14, 16, v1 :: v_dual_lshrrev_b32 v15, 16, v7
	v_or_b32_e32 v1, v1, v6
	v_or_b32_e32 v8, v7, v8
	;; [unrolled: 1-line block ×3, first 2 shown]
	v_cvt_f32_f16_e32 v7, v14
	v_cvt_f32_f16_e32 v6, v15
	v_lshrrev_b32_e32 v14, 16, v16
	v_dual_lshrrev_b32 v15, 16, v0 :: v_dual_bitop2_b32 v16, v16, v9 bitop3:0x54
	v_cvt_f32_f16_e32 v0, v8
	s_wait_loadcnt_dscnt 0x0
	v_pk_mul_f32 v[6:7], v[84:85], v[6:7] op_sel_hi:[0,1]
	v_cvt_f32_f16_e32 v1, v1
	v_cvt_f32_f16_e32 v9, v14
	;; [unrolled: 1-line block ×5, first 2 shown]
	v_pk_mul_f32 v[0:1], v[84:85], v[0:1] op_sel_hi:[0,1]
	v_cvt_pk_f16_f32 v12, v6, v7
	v_pk_mul_f32 v[6:7], v[84:85], v[8:9] op_sel_hi:[0,1]
	s_delay_alu instid0(VALU_DEP_4) | instskip(NEXT) | instid1(VALU_DEP_4)
	v_pk_mul_f32 v[14:15], v[84:85], v[14:15] op_sel_hi:[0,1]
	v_cvt_pk_f16_f32 v0, v0, v1
	s_delay_alu instid0(VALU_DEP_4) | instskip(NEXT) | instid1(VALU_DEP_4)
	v_and_b32_e32 v9, 0xffff0000, v12
	v_cvt_pk_f16_f32 v6, v6, v7
	s_delay_alu instid0(VALU_DEP_4) | instskip(NEXT) | instid1(VALU_DEP_4)
	v_cvt_pk_f16_f32 v7, v14, v15
	v_and_b32_e32 v98, 0xffff, v0
	v_lshrrev_b32_e32 v97, 16, v0
	v_lshlrev_b32_e32 v86, 16, v12
	v_and_b32_e32 v1, 0xffff0000, v6
	v_dual_lshlrev_b32 v0, 16, v6 :: v_dual_lshrrev_b32 v87, 16, v7
	v_and_b32_e32 v96, 0xffff, v7
	v_or_b32_e32 v85, v9, v97
	v_or_b32_e32 v84, v86, v98
	s_delay_alu instid0(VALU_DEP_4) | instskip(NEXT) | instid1(VALU_DEP_4)
	v_or_b32_e32 v19, v1, v87
	v_or_b32_e32 v26, v0, v96
	s_and_saveexec_b32 s8, s0
	s_cbranch_execz .LBB287_2226
; %bb.2225:                             ;   in Loop: Header=BB287_2093 Depth=1
	v_dual_cndmask_b32 v6, 0, v97, vcc_lo :: v_dual_cndmask_b32 v7, 0, v98, s1
	v_dual_cndmask_b32 v8, 0, v9, s2 :: v_dual_cndmask_b32 v9, 0, v86, s3
	v_dual_cndmask_b32 v12, 0, v87, s4 :: v_dual_cndmask_b32 v14, 0, v96, s5
	;; [unrolled: 1-line block ×3, first 2 shown]
	s_delay_alu instid0(VALU_DEP_3) | instskip(NEXT) | instid1(VALU_DEP_4)
	v_or_b32_e32 v85, v6, v8
	v_or_b32_e32 v84, v7, v9
	s_delay_alu instid0(VALU_DEP_3) | instskip(NEXT) | instid1(VALU_DEP_4)
	v_or_b32_e32 v19, v12, v1
	v_or_b32_e32 v26, v14, v0
.LBB287_2226:                           ;   in Loop: Header=BB287_2093 Depth=1
	s_or_b32 exec_lo, exec_lo, s8
	;;#ASMSTART
	v_pk_mul_f16 v0, v119, v85;

	;;#ASMEND
	;;#ASMSTART
	v_pk_mul_f16 v1, v117, v84;

	;;#ASMEND
	;; [unrolled: 4-line block ×4, first 2 shown]
	;;#ASMSTART
	v_pk_add_f16 v0, v0, v1;

	;;#ASMEND
	;;#ASMSTART
	v_pk_add_f16 v0, v0, v6;

	;;#ASMEND
	;; [unrolled: 4-line block ×3, first 2 shown]
	v_and_b32_e32 v1, 0xffff, v0
	v_lshrrev_b32_e32 v0, 16, v0
	;;#ASMSTART
	v_cvt_f32_f16 v41, v1;
	;;#ASMEND
	v_mov_b32_e32 v1, 0
	;;#ASMSTART
	v_cvt_f32_f16 v42, v0;
	;;#ASMEND
	flat_load_b64 v[86:87], v[82:83] offset:512
	flat_load_b32 v84, v[22:23]
	v_mov_b32_e32 v6, 0
	s_mov_b32 s22, exec_lo
	s_wait_loadcnt_dscnt 0x101
	v_and_b32_e32 v0, 0xff, v86
	s_wait_xcnt 0x0
	s_delay_alu instid0(VALU_DEP_1)
	v_cmpx_ne_u16_e32 0, v0
	s_cbranch_execz .LBB287_2234
; %bb.2227:                             ;   in Loop: Header=BB287_2093 Depth=1
	v_mov_b32_e32 v6, 0x8000
	s_mov_b32 s23, exec_lo
	v_cmpx_ne_u16_e32 0x80, v0
	s_cbranch_execz .LBB287_2233
; %bb.2228:                             ;   in Loop: Header=BB287_2093 Depth=1
	v_and_b32_e32 v7, 0x7f, v86
	v_mov_b32_e32 v6, 0x7c01
	s_mov_b32 s24, exec_lo
	s_delay_alu instid0(VALU_DEP_2)
	v_cmpx_ne_u32_e32 0x7f, v7
	s_cbranch_execz .LBB287_2232
; %bb.2229:                             ;   in Loop: Header=BB287_2093 Depth=1
	v_dual_lshrrev_b32 v6, 3, v7 :: v_dual_bitop2_b32 v0, 7, v86 bitop3:0x40
	s_mov_b32 s25, exec_lo
	v_cmpx_gt_u32_e32 8, v7
; %bb.2230:                             ;   in Loop: Header=BB287_2093 Depth=1
	s_delay_alu instid0(VALU_DEP_2) | instskip(NEXT) | instid1(VALU_DEP_1)
	v_clz_i32_u32_e32 v0, v0
	v_min_u32_e32 v0, 32, v0
	s_delay_alu instid0(VALU_DEP_1) | instskip(NEXT) | instid1(VALU_DEP_1)
	v_subrev_nc_u32_e32 v6, 28, v0
	v_lshlrev_b64_e32 v[8:9], v6, v[86:87]
	v_sub_nc_u32_e32 v6, 29, v0
	s_delay_alu instid0(VALU_DEP_2)
	v_and_b32_e32 v0, 7, v8
; %bb.2231:                             ;   in Loop: Header=BB287_2093 Depth=1
	s_or_b32 exec_lo, exec_lo, s25
	s_delay_alu instid0(VALU_DEP_1) | instskip(NEXT) | instid1(VALU_DEP_3)
	v_dual_lshlrev_b32 v7, 8, v86 :: v_dual_lshlrev_b32 v0, 7, v0
	v_lshl_add_u32 v6, v6, 10, 0x2000
	s_delay_alu instid0(VALU_DEP_2) | instskip(NEXT) | instid1(VALU_DEP_2)
	v_and_b32_e32 v7, 0x8000, v7
	v_and_b32_e32 v6, 0xfc00, v6
	s_delay_alu instid0(VALU_DEP_1)
	v_or3_b32 v6, v7, v6, v0
.LBB287_2232:                           ;   in Loop: Header=BB287_2093 Depth=1
	s_or_b32 exec_lo, exec_lo, s24
.LBB287_2233:                           ;   in Loop: Header=BB287_2093 Depth=1
	s_delay_alu instid0(SALU_CYCLE_1)
	s_or_b32 exec_lo, exec_lo, s23
.LBB287_2234:                           ;   in Loop: Header=BB287_2093 Depth=1
	s_delay_alu instid0(SALU_CYCLE_1) | instskip(SKIP_2) | instid1(VALU_DEP_1)
	s_or_b32 exec_lo, exec_lo, s22
	v_lshrrev_b16 v26, 8, v86
	s_mov_b32 s22, exec_lo
	v_cmpx_ne_u16_e32 0, v26
	s_cbranch_execz .LBB287_2242
; %bb.2235:                             ;   in Loop: Header=BB287_2093 Depth=1
	v_bfrev_b32_e32 v1, 1
	s_mov_b32 s23, exec_lo
	v_cmpx_ne_u16_e32 0x80, v26
	s_cbranch_execz .LBB287_2241
; %bb.2236:                             ;   in Loop: Header=BB287_2093 Depth=1
	v_and_b32_e32 v0, 0xffff, v26
	v_mov_b32_e32 v1, 0x7c010000
	s_mov_b32 s24, exec_lo
	s_delay_alu instid0(VALU_DEP_2) | instskip(NEXT) | instid1(VALU_DEP_1)
	v_and_b32_e32 v8, 0x7f, v0
	v_cmpx_ne_u32_e32 0x7f, v8
	s_cbranch_execz .LBB287_2240
; %bb.2237:                             ;   in Loop: Header=BB287_2093 Depth=1
	v_and_b32_e32 v1, 7, v0
	v_lshrrev_b32_e32 v7, 3, v8
	s_mov_b32 s25, exec_lo
	v_cmpx_gt_u32_e32 8, v8
; %bb.2238:                             ;   in Loop: Header=BB287_2093 Depth=1
	s_delay_alu instid0(VALU_DEP_3) | instskip(NEXT) | instid1(VALU_DEP_1)
	v_clz_i32_u32_e32 v1, v1
	v_min_u32_e32 v1, 32, v1
	s_delay_alu instid0(VALU_DEP_1) | instskip(NEXT) | instid1(VALU_DEP_1)
	v_subrev_nc_u32_e32 v7, 28, v1
	v_lshlrev_b64_e32 v[8:9], v7, v[26:27]
	s_delay_alu instid0(VALU_DEP_1)
	v_dual_sub_nc_u32 v7, 29, v1 :: v_dual_bitop2_b32 v1, 7, v8 bitop3:0x40
; %bb.2239:                             ;   in Loop: Header=BB287_2093 Depth=1
	s_or_b32 exec_lo, exec_lo, s25
	s_delay_alu instid0(VALU_DEP_1) | instskip(NEXT) | instid1(VALU_DEP_2)
	v_dual_lshlrev_b32 v0, 8, v0 :: v_dual_lshlrev_b32 v1, 23, v1
	v_lshl_add_u32 v7, v7, 10, 0x2000
	s_delay_alu instid0(VALU_DEP_1) | instskip(NEXT) | instid1(VALU_DEP_1)
	v_and_or_b32 v0, 0x8000, v0, v7
	v_lshl_or_b32 v1, v0, 16, v1
.LBB287_2240:                           ;   in Loop: Header=BB287_2093 Depth=1
	s_or_b32 exec_lo, exec_lo, s24
.LBB287_2241:                           ;   in Loop: Header=BB287_2093 Depth=1
	s_delay_alu instid0(SALU_CYCLE_1)
	s_or_b32 exec_lo, exec_lo, s23
.LBB287_2242:                           ;   in Loop: Header=BB287_2093 Depth=1
	s_delay_alu instid0(SALU_CYCLE_1) | instskip(SKIP_3) | instid1(VALU_DEP_2)
	s_or_b32 exec_lo, exec_lo, s22
	v_dual_mov_b32 v7, 0 :: v_dual_lshrrev_b32 v0, 16, v86
	v_mov_b32_e32 v8, 0
	s_mov_b32 s22, exec_lo
	v_and_b32_e32 v9, 0xff, v0
	s_delay_alu instid0(VALU_DEP_1)
	v_cmpx_ne_u16_e32 0, v9
	s_cbranch_execz .LBB287_2250
; %bb.2243:                             ;   in Loop: Header=BB287_2093 Depth=1
	v_mov_b32_e32 v8, 0x8000
	s_mov_b32 s23, exec_lo
	v_cmpx_ne_u16_e32 0x80, v9
	s_cbranch_execz .LBB287_2249
; %bb.2244:                             ;   in Loop: Header=BB287_2093 Depth=1
	v_bfe_u32 v12, v86, 16, 7
	v_mov_b32_e32 v8, 0x7c01
	s_mov_b32 s24, exec_lo
	s_delay_alu instid0(VALU_DEP_2)
	v_cmpx_ne_u32_e32 0x7f, v12
	s_cbranch_execz .LBB287_2248
; %bb.2245:                             ;   in Loop: Header=BB287_2093 Depth=1
	v_and_b32_e32 v8, 7, v0
	v_lshrrev_b32_e32 v9, 3, v12
	s_mov_b32 s25, exec_lo
	v_cmpx_gt_u32_e32 8, v12
; %bb.2246:                             ;   in Loop: Header=BB287_2093 Depth=1
	s_delay_alu instid0(VALU_DEP_3) | instskip(NEXT) | instid1(VALU_DEP_1)
	v_clz_i32_u32_e32 v8, v8
	v_min_u32_e32 v12, 32, v8
	s_delay_alu instid0(VALU_DEP_1) | instskip(NEXT) | instid1(VALU_DEP_1)
	v_subrev_nc_u32_e32 v8, 28, v12
	v_lshlrev_b64_e32 v[8:9], v8, v[0:1]
	v_sub_nc_u32_e32 v9, 29, v12
	s_delay_alu instid0(VALU_DEP_2)
	v_and_b32_e32 v8, 7, v8
; %bb.2247:                             ;   in Loop: Header=BB287_2093 Depth=1
	s_or_b32 exec_lo, exec_lo, s25
	v_lshlrev_b32_e32 v0, 8, v0
	s_delay_alu instid0(VALU_DEP_3) | instskip(NEXT) | instid1(VALU_DEP_3)
	v_lshl_add_u32 v9, v9, 10, 0x2000
	v_lshlrev_b32_e32 v8, 7, v8
	s_delay_alu instid0(VALU_DEP_3) | instskip(NEXT) | instid1(VALU_DEP_3)
	v_and_b32_e32 v0, 0x8000, v0
	v_and_b32_e32 v9, 0xfc00, v9
	s_delay_alu instid0(VALU_DEP_1)
	v_or3_b32 v8, v0, v9, v8
.LBB287_2248:                           ;   in Loop: Header=BB287_2093 Depth=1
	s_or_b32 exec_lo, exec_lo, s24
.LBB287_2249:                           ;   in Loop: Header=BB287_2093 Depth=1
	s_delay_alu instid0(SALU_CYCLE_1)
	s_or_b32 exec_lo, exec_lo, s23
.LBB287_2250:                           ;   in Loop: Header=BB287_2093 Depth=1
	s_delay_alu instid0(SALU_CYCLE_1) | instskip(NEXT) | instid1(SALU_CYCLE_1)
	s_or_b32 exec_lo, exec_lo, s22
	s_mov_b32 s22, exec_lo
	v_cmpx_lt_u32_e32 0xffffff, v86
	s_cbranch_execz .LBB287_2258
; %bb.2251:                             ;   in Loop: Header=BB287_2093 Depth=1
	v_lshrrev_b32_e32 v26, 24, v86
	v_bfrev_b32_e32 v7, 1
	s_mov_b32 s23, exec_lo
	s_delay_alu instid0(VALU_DEP_2)
	v_cmpx_ne_u32_e32 0x80, v26
	s_cbranch_execz .LBB287_2257
; %bb.2252:                             ;   in Loop: Header=BB287_2093 Depth=1
	v_and_b32_e32 v9, 0x7f, v26
	v_mov_b32_e32 v7, 0x7c010000
	s_mov_b32 s24, exec_lo
	s_delay_alu instid0(VALU_DEP_2)
	v_cmpx_ne_u32_e32 0x7f, v9
	s_cbranch_execz .LBB287_2256
; %bb.2253:                             ;   in Loop: Header=BB287_2093 Depth=1
	v_dual_lshrrev_b32 v7, 3, v9 :: v_dual_bitop2_b32 v0, 7, v26 bitop3:0x40
	s_mov_b32 s25, exec_lo
	v_cmpx_gt_u32_e32 8, v9
; %bb.2254:                             ;   in Loop: Header=BB287_2093 Depth=1
	s_delay_alu instid0(VALU_DEP_2) | instskip(NEXT) | instid1(VALU_DEP_1)
	v_clz_i32_u32_e32 v0, v0
	v_min_u32_e32 v0, 32, v0
	s_delay_alu instid0(VALU_DEP_1) | instskip(NEXT) | instid1(VALU_DEP_1)
	v_subrev_nc_u32_e32 v7, 28, v0
	v_lshlrev_b64_e32 v[14:15], v7, v[26:27]
	s_delay_alu instid0(VALU_DEP_1)
	v_dual_sub_nc_u32 v7, 29, v0 :: v_dual_bitop2_b32 v0, 7, v14 bitop3:0x40
; %bb.2255:                             ;   in Loop: Header=BB287_2093 Depth=1
	s_or_b32 exec_lo, exec_lo, s25
	s_delay_alu instid0(VALU_DEP_1) | instskip(NEXT) | instid1(VALU_DEP_2)
	v_dual_lshlrev_b32 v9, 8, v26 :: v_dual_lshlrev_b32 v0, 23, v0
	v_lshl_add_u32 v7, v7, 10, 0x2000
	s_delay_alu instid0(VALU_DEP_1) | instskip(NEXT) | instid1(VALU_DEP_1)
	v_and_or_b32 v7, 0x8000, v9, v7
	v_lshl_or_b32 v7, v7, 16, v0
.LBB287_2256:                           ;   in Loop: Header=BB287_2093 Depth=1
	s_or_b32 exec_lo, exec_lo, s24
.LBB287_2257:                           ;   in Loop: Header=BB287_2093 Depth=1
	s_delay_alu instid0(SALU_CYCLE_1)
	s_or_b32 exec_lo, exec_lo, s23
.LBB287_2258:                           ;   in Loop: Header=BB287_2093 Depth=1
	s_delay_alu instid0(SALU_CYCLE_1) | instskip(SKIP_4) | instid1(VALU_DEP_3)
	s_or_b32 exec_lo, exec_lo, s22
	v_and_b32_e32 v0, 0xff, v87
	v_dual_mov_b32 v26, v87 :: v_dual_mov_b32 v12, 0
	v_mov_b32_e32 v9, 0
	s_mov_b32 s22, exec_lo
	v_cmpx_ne_u16_e32 0, v0
	s_cbranch_execz .LBB287_2266
; %bb.2259:                             ;   in Loop: Header=BB287_2093 Depth=1
	v_mov_b32_e32 v9, 0x8000
	s_mov_b32 s23, exec_lo
	v_cmpx_ne_u16_e32 0x80, v0
	s_cbranch_execz .LBB287_2265
; %bb.2260:                             ;   in Loop: Header=BB287_2093 Depth=1
	v_and_b32_e32 v16, 0x7f, v87
	v_mov_b32_e32 v9, 0x7c01
	s_mov_b32 s24, exec_lo
	s_delay_alu instid0(VALU_DEP_2)
	v_cmpx_ne_u32_e32 0x7f, v16
	s_cbranch_execz .LBB287_2264
; %bb.2261:                             ;   in Loop: Header=BB287_2093 Depth=1
	v_dual_lshrrev_b32 v9, 3, v16 :: v_dual_bitop2_b32 v0, 7, v87 bitop3:0x40
	s_mov_b32 s25, exec_lo
	v_cmpx_gt_u32_e32 8, v16
; %bb.2262:                             ;   in Loop: Header=BB287_2093 Depth=1
	s_delay_alu instid0(VALU_DEP_2) | instskip(NEXT) | instid1(VALU_DEP_1)
	v_clz_i32_u32_e32 v0, v0
	v_min_u32_e32 v0, 32, v0
	s_delay_alu instid0(VALU_DEP_1) | instskip(NEXT) | instid1(VALU_DEP_1)
	v_subrev_nc_u32_e32 v9, 28, v0
	v_lshlrev_b64_e32 v[14:15], v9, v[26:27]
	s_delay_alu instid0(VALU_DEP_1)
	v_dual_sub_nc_u32 v9, 29, v0 :: v_dual_bitop2_b32 v0, 7, v14 bitop3:0x40
; %bb.2263:                             ;   in Loop: Header=BB287_2093 Depth=1
	s_or_b32 exec_lo, exec_lo, s25
	s_delay_alu instid0(VALU_DEP_1) | instskip(NEXT) | instid1(VALU_DEP_2)
	v_dual_lshlrev_b32 v14, 8, v87 :: v_dual_lshlrev_b32 v0, 7, v0
	v_lshl_add_u32 v9, v9, 10, 0x2000
	s_delay_alu instid0(VALU_DEP_2) | instskip(NEXT) | instid1(VALU_DEP_2)
	v_and_b32_e32 v14, 0x8000, v14
	v_and_b32_e32 v9, 0xfc00, v9
	s_delay_alu instid0(VALU_DEP_1)
	v_or3_b32 v9, v14, v9, v0
.LBB287_2264:                           ;   in Loop: Header=BB287_2093 Depth=1
	s_or_b32 exec_lo, exec_lo, s24
.LBB287_2265:                           ;   in Loop: Header=BB287_2093 Depth=1
	s_delay_alu instid0(SALU_CYCLE_1)
	s_or_b32 exec_lo, exec_lo, s23
.LBB287_2266:                           ;   in Loop: Header=BB287_2093 Depth=1
	s_delay_alu instid0(SALU_CYCLE_1) | instskip(SKIP_3) | instid1(VALU_DEP_2)
	s_or_b32 exec_lo, exec_lo, s22
	v_lshrrev_b16 v26, 8, v26
	v_mov_b32_e32 v16, 0
	s_mov_b32 s22, exec_lo
	v_cmpx_ne_u16_e32 0, v26
	s_cbranch_execz .LBB287_2274
; %bb.2267:                             ;   in Loop: Header=BB287_2093 Depth=1
	v_bfrev_b32_e32 v16, 1
	s_mov_b32 s23, exec_lo
	v_cmpx_ne_u16_e32 0x80, v26
	s_cbranch_execz .LBB287_2273
; %bb.2268:                             ;   in Loop: Header=BB287_2093 Depth=1
	v_and_b32_e32 v0, 0xffff, v26
	v_mov_b32_e32 v16, 0x7c010000
	s_mov_b32 s24, exec_lo
	s_delay_alu instid0(VALU_DEP_2) | instskip(NEXT) | instid1(VALU_DEP_1)
	v_and_b32_e32 v18, 0x7f, v0
	v_cmpx_ne_u32_e32 0x7f, v18
	s_cbranch_execz .LBB287_2272
; %bb.2269:                             ;   in Loop: Header=BB287_2093 Depth=1
	v_dual_lshrrev_b32 v17, 3, v18 :: v_dual_bitop2_b32 v16, 7, v0 bitop3:0x40
	s_mov_b32 s25, exec_lo
	v_cmpx_gt_u32_e32 8, v18
; %bb.2270:                             ;   in Loop: Header=BB287_2093 Depth=1
	s_delay_alu instid0(VALU_DEP_2) | instskip(NEXT) | instid1(VALU_DEP_1)
	v_clz_i32_u32_e32 v14, v16
	v_min_u32_e32 v16, 32, v14
	s_delay_alu instid0(VALU_DEP_1) | instskip(NEXT) | instid1(VALU_DEP_1)
	v_subrev_nc_u32_e32 v14, 28, v16
	v_lshlrev_b64_e32 v[14:15], v14, v[26:27]
	s_delay_alu instid0(VALU_DEP_1)
	v_dual_sub_nc_u32 v17, 29, v16 :: v_dual_bitop2_b32 v16, 7, v14 bitop3:0x40
; %bb.2271:                             ;   in Loop: Header=BB287_2093 Depth=1
	s_or_b32 exec_lo, exec_lo, s25
	v_lshlrev_b32_e32 v0, 8, v0
	s_delay_alu instid0(VALU_DEP_2) | instskip(NEXT) | instid1(VALU_DEP_1)
	v_lshl_add_u32 v14, v17, 10, 0x2000
	v_and_or_b32 v0, 0x8000, v0, v14
	v_lshlrev_b32_e32 v14, 23, v16
	s_delay_alu instid0(VALU_DEP_1)
	v_lshl_or_b32 v16, v0, 16, v14
.LBB287_2272:                           ;   in Loop: Header=BB287_2093 Depth=1
	s_or_b32 exec_lo, exec_lo, s24
.LBB287_2273:                           ;   in Loop: Header=BB287_2093 Depth=1
	s_delay_alu instid0(SALU_CYCLE_1)
	s_or_b32 exec_lo, exec_lo, s23
.LBB287_2274:                           ;   in Loop: Header=BB287_2093 Depth=1
	s_delay_alu instid0(SALU_CYCLE_1) | instskip(SKIP_2) | instid1(VALU_DEP_1)
	s_or_b32 exec_lo, exec_lo, s22
	v_lshrrev_b32_e32 v0, 16, v87
	s_mov_b32 s22, exec_lo
	v_and_b32_e32 v17, 0xff, v0
	s_delay_alu instid0(VALU_DEP_1)
	v_cmpx_ne_u16_e32 0, v17
	s_cbranch_execz .LBB287_2282
; %bb.2275:                             ;   in Loop: Header=BB287_2093 Depth=1
	v_mov_b32_e32 v12, 0x8000
	s_mov_b32 s23, exec_lo
	v_cmpx_ne_u16_e32 0x80, v17
	s_cbranch_execz .LBB287_2281
; %bb.2276:                             ;   in Loop: Header=BB287_2093 Depth=1
	v_bfe_u32 v18, v87, 16, 7
	v_mov_b32_e32 v12, 0x7c01
	s_mov_b32 s24, exec_lo
	s_delay_alu instid0(VALU_DEP_2)
	v_cmpx_ne_u32_e32 0x7f, v18
	s_cbranch_execz .LBB287_2280
; %bb.2277:                             ;   in Loop: Header=BB287_2093 Depth=1
	v_dual_lshrrev_b32 v17, 3, v18 :: v_dual_bitop2_b32 v12, 7, v0 bitop3:0x40
	s_mov_b32 s25, exec_lo
	v_cmpx_gt_u32_e32 8, v18
; %bb.2278:                             ;   in Loop: Header=BB287_2093 Depth=1
	s_delay_alu instid0(VALU_DEP_2) | instskip(NEXT) | instid1(VALU_DEP_1)
	v_clz_i32_u32_e32 v12, v12
	v_min_u32_e32 v12, 32, v12
	s_delay_alu instid0(VALU_DEP_1) | instskip(NEXT) | instid1(VALU_DEP_1)
	v_subrev_nc_u32_e32 v14, 28, v12
	v_lshlrev_b64_e32 v[14:15], v14, v[0:1]
	s_delay_alu instid0(VALU_DEP_1)
	v_dual_sub_nc_u32 v17, 29, v12 :: v_dual_bitop2_b32 v12, 7, v14 bitop3:0x40
; %bb.2279:                             ;   in Loop: Header=BB287_2093 Depth=1
	s_or_b32 exec_lo, exec_lo, s25
	v_lshlrev_b32_e32 v0, 8, v0
	s_delay_alu instid0(VALU_DEP_2) | instskip(NEXT) | instid1(VALU_DEP_3)
	v_lshl_add_u32 v14, v17, 10, 0x2000
	v_lshlrev_b32_e32 v12, 7, v12
	s_delay_alu instid0(VALU_DEP_3) | instskip(NEXT) | instid1(VALU_DEP_3)
	v_and_b32_e32 v0, 0x8000, v0
	v_and_b32_e32 v14, 0xfc00, v14
	s_delay_alu instid0(VALU_DEP_1)
	v_or3_b32 v12, v0, v14, v12
.LBB287_2280:                           ;   in Loop: Header=BB287_2093 Depth=1
	s_or_b32 exec_lo, exec_lo, s24
.LBB287_2281:                           ;   in Loop: Header=BB287_2093 Depth=1
	s_delay_alu instid0(SALU_CYCLE_1)
	s_or_b32 exec_lo, exec_lo, s23
.LBB287_2282:                           ;   in Loop: Header=BB287_2093 Depth=1
	s_delay_alu instid0(SALU_CYCLE_1)
	s_or_b32 exec_lo, exec_lo, s22
	v_mov_b32_e32 v0, 0
	s_mov_b32 s22, exec_lo
	v_cmpx_lt_u64_e64 s[14:15], v[86:87]
	s_cbranch_execz .LBB287_2290
; %bb.2283:                             ;   in Loop: Header=BB287_2093 Depth=1
	v_lshrrev_b32_e32 v26, 24, v87
	v_bfrev_b32_e32 v0, 1
	s_mov_b32 s23, exec_lo
	s_delay_alu instid0(VALU_DEP_2)
	v_cmpx_ne_u32_e32 0x80, v26
	s_cbranch_execz .LBB287_2289
; %bb.2284:                             ;   in Loop: Header=BB287_2093 Depth=1
	v_and_b32_e32 v18, 0x7f, v26
	v_mov_b32_e32 v0, 0x7c010000
	s_mov_b32 s24, exec_lo
	s_delay_alu instid0(VALU_DEP_2)
	v_cmpx_ne_u32_e32 0x7f, v18
	s_cbranch_execz .LBB287_2288
; %bb.2285:                             ;   in Loop: Header=BB287_2093 Depth=1
	v_and_b32_e32 v0, 7, v26
	v_lshrrev_b32_e32 v17, 3, v18
	s_mov_b32 s25, exec_lo
	v_cmpx_gt_u32_e32 8, v18
; %bb.2286:                             ;   in Loop: Header=BB287_2093 Depth=1
	s_delay_alu instid0(VALU_DEP_3) | instskip(NEXT) | instid1(VALU_DEP_1)
	v_clz_i32_u32_e32 v0, v0
	v_min_u32_e32 v0, 32, v0
	s_delay_alu instid0(VALU_DEP_1) | instskip(NEXT) | instid1(VALU_DEP_1)
	v_subrev_nc_u32_e32 v14, 28, v0
	v_lshlrev_b64_e32 v[14:15], v14, v[26:27]
	s_delay_alu instid0(VALU_DEP_1)
	v_dual_sub_nc_u32 v17, 29, v0 :: v_dual_bitop2_b32 v0, 7, v14 bitop3:0x40
; %bb.2287:                             ;   in Loop: Header=BB287_2093 Depth=1
	s_or_b32 exec_lo, exec_lo, s25
	s_delay_alu instid0(VALU_DEP_1) | instskip(NEXT) | instid1(VALU_DEP_2)
	v_dual_lshlrev_b32 v14, 8, v26 :: v_dual_lshlrev_b32 v0, 23, v0
	v_lshl_add_u32 v15, v17, 10, 0x2000
	s_delay_alu instid0(VALU_DEP_1) | instskip(NEXT) | instid1(VALU_DEP_1)
	v_and_or_b32 v14, 0x8000, v14, v15
	v_lshl_or_b32 v0, v14, 16, v0
.LBB287_2288:                           ;   in Loop: Header=BB287_2093 Depth=1
	s_or_b32 exec_lo, exec_lo, s24
.LBB287_2289:                           ;   in Loop: Header=BB287_2093 Depth=1
	s_delay_alu instid0(SALU_CYCLE_1)
	s_or_b32 exec_lo, exec_lo, s23
.LBB287_2290:                           ;   in Loop: Header=BB287_2093 Depth=1
	s_delay_alu instid0(SALU_CYCLE_1) | instskip(SKIP_4) | instid1(VALU_DEP_4)
	s_or_b32 exec_lo, exec_lo, s22
	v_dual_lshrrev_b32 v14, 16, v1 :: v_dual_lshrrev_b32 v15, 16, v7
	v_or_b32_e32 v1, v1, v6
	v_or_b32_e32 v8, v7, v8
	;; [unrolled: 1-line block ×3, first 2 shown]
	v_cvt_f32_f16_e32 v7, v14
	v_cvt_f32_f16_e32 v6, v15
	v_lshrrev_b32_e32 v14, 16, v16
	v_dual_lshrrev_b32 v15, 16, v0 :: v_dual_bitop2_b32 v16, v16, v9 bitop3:0x54
	v_cvt_f32_f16_e32 v0, v8
	s_wait_loadcnt_dscnt 0x0
	v_pk_mul_f32 v[6:7], v[84:85], v[6:7] op_sel_hi:[0,1]
	v_cvt_f32_f16_e32 v1, v1
	v_cvt_f32_f16_e32 v9, v14
	;; [unrolled: 1-line block ×5, first 2 shown]
	v_pk_mul_f32 v[0:1], v[84:85], v[0:1] op_sel_hi:[0,1]
	v_cvt_pk_f16_f32 v12, v6, v7
	v_pk_mul_f32 v[6:7], v[84:85], v[8:9] op_sel_hi:[0,1]
	s_delay_alu instid0(VALU_DEP_4) | instskip(NEXT) | instid1(VALU_DEP_4)
	v_pk_mul_f32 v[14:15], v[84:85], v[14:15] op_sel_hi:[0,1]
	v_cvt_pk_f16_f32 v0, v0, v1
	s_delay_alu instid0(VALU_DEP_4) | instskip(NEXT) | instid1(VALU_DEP_4)
	v_and_b32_e32 v9, 0xffff0000, v12
	v_cvt_pk_f16_f32 v6, v6, v7
	s_delay_alu instid0(VALU_DEP_4) | instskip(NEXT) | instid1(VALU_DEP_4)
	v_cvt_pk_f16_f32 v7, v14, v15
	v_and_b32_e32 v98, 0xffff, v0
	v_lshrrev_b32_e32 v97, 16, v0
	v_lshlrev_b32_e32 v86, 16, v12
	v_and_b32_e32 v1, 0xffff0000, v6
	v_dual_lshlrev_b32 v0, 16, v6 :: v_dual_lshrrev_b32 v87, 16, v7
	v_and_b32_e32 v96, 0xffff, v7
	v_or_b32_e32 v85, v9, v97
	v_or_b32_e32 v84, v86, v98
	s_delay_alu instid0(VALU_DEP_4) | instskip(NEXT) | instid1(VALU_DEP_4)
	v_or_b32_e32 v19, v1, v87
	v_or_b32_e32 v26, v0, v96
	s_and_saveexec_b32 s8, s0
	s_cbranch_execz .LBB287_2292
; %bb.2291:                             ;   in Loop: Header=BB287_2093 Depth=1
	v_dual_cndmask_b32 v6, 0, v97, vcc_lo :: v_dual_cndmask_b32 v7, 0, v98, s1
	v_dual_cndmask_b32 v8, 0, v9, s2 :: v_dual_cndmask_b32 v9, 0, v86, s3
	v_dual_cndmask_b32 v12, 0, v87, s4 :: v_dual_cndmask_b32 v14, 0, v96, s5
	;; [unrolled: 1-line block ×3, first 2 shown]
	s_delay_alu instid0(VALU_DEP_3) | instskip(NEXT) | instid1(VALU_DEP_4)
	v_or_b32_e32 v85, v6, v8
	v_or_b32_e32 v84, v7, v9
	s_delay_alu instid0(VALU_DEP_3) | instskip(NEXT) | instid1(VALU_DEP_4)
	v_or_b32_e32 v19, v12, v1
	v_or_b32_e32 v26, v14, v0
.LBB287_2292:                           ;   in Loop: Header=BB287_2093 Depth=1
	s_or_b32 exec_lo, exec_lo, s8
	;;#ASMSTART
	v_pk_mul_f16 v0, v119, v85;

	;;#ASMEND
	;;#ASMSTART
	v_pk_mul_f16 v1, v117, v84;

	;;#ASMEND
	;; [unrolled: 4-line block ×4, first 2 shown]
	;;#ASMSTART
	v_pk_add_f16 v0, v0, v1;

	;;#ASMEND
	;;#ASMSTART
	v_pk_add_f16 v0, v0, v6;

	;;#ASMEND
	;; [unrolled: 4-line block ×3, first 2 shown]
	v_and_b32_e32 v1, 0xffff, v0
	v_lshrrev_b32_e32 v0, 16, v0
	;;#ASMSTART
	v_cvt_f32_f16 v43, v1;
	;;#ASMEND
	v_mov_b32_e32 v1, 0
	;;#ASMSTART
	v_cvt_f32_f16 v44, v0;
	;;#ASMEND
	flat_load_b64 v[86:87], v[82:83] offset:768
	flat_load_b32 v84, v[22:23]
	v_mov_b32_e32 v6, 0
	s_mov_b32 s22, exec_lo
	s_wait_loadcnt_dscnt 0x101
	v_and_b32_e32 v0, 0xff, v86
	s_wait_xcnt 0x0
	s_delay_alu instid0(VALU_DEP_1)
	v_cmpx_ne_u16_e32 0, v0
	s_cbranch_execz .LBB287_2300
; %bb.2293:                             ;   in Loop: Header=BB287_2093 Depth=1
	v_mov_b32_e32 v6, 0x8000
	s_mov_b32 s23, exec_lo
	v_cmpx_ne_u16_e32 0x80, v0
	s_cbranch_execz .LBB287_2299
; %bb.2294:                             ;   in Loop: Header=BB287_2093 Depth=1
	v_and_b32_e32 v7, 0x7f, v86
	v_mov_b32_e32 v6, 0x7c01
	s_mov_b32 s24, exec_lo
	s_delay_alu instid0(VALU_DEP_2)
	v_cmpx_ne_u32_e32 0x7f, v7
	s_cbranch_execz .LBB287_2298
; %bb.2295:                             ;   in Loop: Header=BB287_2093 Depth=1
	v_dual_lshrrev_b32 v6, 3, v7 :: v_dual_bitop2_b32 v0, 7, v86 bitop3:0x40
	s_mov_b32 s25, exec_lo
	v_cmpx_gt_u32_e32 8, v7
; %bb.2296:                             ;   in Loop: Header=BB287_2093 Depth=1
	s_delay_alu instid0(VALU_DEP_2) | instskip(NEXT) | instid1(VALU_DEP_1)
	v_clz_i32_u32_e32 v0, v0
	v_min_u32_e32 v0, 32, v0
	s_delay_alu instid0(VALU_DEP_1) | instskip(NEXT) | instid1(VALU_DEP_1)
	v_subrev_nc_u32_e32 v6, 28, v0
	v_lshlrev_b64_e32 v[8:9], v6, v[86:87]
	v_sub_nc_u32_e32 v6, 29, v0
	s_delay_alu instid0(VALU_DEP_2)
	v_and_b32_e32 v0, 7, v8
; %bb.2297:                             ;   in Loop: Header=BB287_2093 Depth=1
	s_or_b32 exec_lo, exec_lo, s25
	s_delay_alu instid0(VALU_DEP_1) | instskip(NEXT) | instid1(VALU_DEP_3)
	v_dual_lshlrev_b32 v7, 8, v86 :: v_dual_lshlrev_b32 v0, 7, v0
	v_lshl_add_u32 v6, v6, 10, 0x2000
	s_delay_alu instid0(VALU_DEP_2) | instskip(NEXT) | instid1(VALU_DEP_2)
	v_and_b32_e32 v7, 0x8000, v7
	v_and_b32_e32 v6, 0xfc00, v6
	s_delay_alu instid0(VALU_DEP_1)
	v_or3_b32 v6, v7, v6, v0
.LBB287_2298:                           ;   in Loop: Header=BB287_2093 Depth=1
	s_or_b32 exec_lo, exec_lo, s24
.LBB287_2299:                           ;   in Loop: Header=BB287_2093 Depth=1
	s_delay_alu instid0(SALU_CYCLE_1)
	s_or_b32 exec_lo, exec_lo, s23
.LBB287_2300:                           ;   in Loop: Header=BB287_2093 Depth=1
	s_delay_alu instid0(SALU_CYCLE_1) | instskip(SKIP_2) | instid1(VALU_DEP_1)
	s_or_b32 exec_lo, exec_lo, s22
	v_lshrrev_b16 v26, 8, v86
	s_mov_b32 s22, exec_lo
	v_cmpx_ne_u16_e32 0, v26
	s_cbranch_execz .LBB287_2308
; %bb.2301:                             ;   in Loop: Header=BB287_2093 Depth=1
	v_bfrev_b32_e32 v1, 1
	s_mov_b32 s23, exec_lo
	v_cmpx_ne_u16_e32 0x80, v26
	s_cbranch_execz .LBB287_2307
; %bb.2302:                             ;   in Loop: Header=BB287_2093 Depth=1
	v_and_b32_e32 v0, 0xffff, v26
	v_mov_b32_e32 v1, 0x7c010000
	s_mov_b32 s24, exec_lo
	s_delay_alu instid0(VALU_DEP_2) | instskip(NEXT) | instid1(VALU_DEP_1)
	v_and_b32_e32 v8, 0x7f, v0
	v_cmpx_ne_u32_e32 0x7f, v8
	s_cbranch_execz .LBB287_2306
; %bb.2303:                             ;   in Loop: Header=BB287_2093 Depth=1
	v_and_b32_e32 v1, 7, v0
	v_lshrrev_b32_e32 v7, 3, v8
	s_mov_b32 s25, exec_lo
	v_cmpx_gt_u32_e32 8, v8
; %bb.2304:                             ;   in Loop: Header=BB287_2093 Depth=1
	s_delay_alu instid0(VALU_DEP_3) | instskip(NEXT) | instid1(VALU_DEP_1)
	v_clz_i32_u32_e32 v1, v1
	v_min_u32_e32 v1, 32, v1
	s_delay_alu instid0(VALU_DEP_1) | instskip(NEXT) | instid1(VALU_DEP_1)
	v_subrev_nc_u32_e32 v7, 28, v1
	v_lshlrev_b64_e32 v[8:9], v7, v[26:27]
	s_delay_alu instid0(VALU_DEP_1)
	v_dual_sub_nc_u32 v7, 29, v1 :: v_dual_bitop2_b32 v1, 7, v8 bitop3:0x40
; %bb.2305:                             ;   in Loop: Header=BB287_2093 Depth=1
	s_or_b32 exec_lo, exec_lo, s25
	s_delay_alu instid0(VALU_DEP_1) | instskip(NEXT) | instid1(VALU_DEP_2)
	v_dual_lshlrev_b32 v0, 8, v0 :: v_dual_lshlrev_b32 v1, 23, v1
	v_lshl_add_u32 v7, v7, 10, 0x2000
	s_delay_alu instid0(VALU_DEP_1) | instskip(NEXT) | instid1(VALU_DEP_1)
	v_and_or_b32 v0, 0x8000, v0, v7
	v_lshl_or_b32 v1, v0, 16, v1
.LBB287_2306:                           ;   in Loop: Header=BB287_2093 Depth=1
	s_or_b32 exec_lo, exec_lo, s24
.LBB287_2307:                           ;   in Loop: Header=BB287_2093 Depth=1
	s_delay_alu instid0(SALU_CYCLE_1)
	s_or_b32 exec_lo, exec_lo, s23
.LBB287_2308:                           ;   in Loop: Header=BB287_2093 Depth=1
	s_delay_alu instid0(SALU_CYCLE_1) | instskip(SKIP_3) | instid1(VALU_DEP_2)
	s_or_b32 exec_lo, exec_lo, s22
	v_dual_mov_b32 v7, 0 :: v_dual_lshrrev_b32 v0, 16, v86
	v_mov_b32_e32 v8, 0
	s_mov_b32 s22, exec_lo
	v_and_b32_e32 v9, 0xff, v0
	s_delay_alu instid0(VALU_DEP_1)
	v_cmpx_ne_u16_e32 0, v9
	s_cbranch_execz .LBB287_2316
; %bb.2309:                             ;   in Loop: Header=BB287_2093 Depth=1
	v_mov_b32_e32 v8, 0x8000
	s_mov_b32 s23, exec_lo
	v_cmpx_ne_u16_e32 0x80, v9
	s_cbranch_execz .LBB287_2315
; %bb.2310:                             ;   in Loop: Header=BB287_2093 Depth=1
	v_bfe_u32 v12, v86, 16, 7
	v_mov_b32_e32 v8, 0x7c01
	s_mov_b32 s24, exec_lo
	s_delay_alu instid0(VALU_DEP_2)
	v_cmpx_ne_u32_e32 0x7f, v12
	s_cbranch_execz .LBB287_2314
; %bb.2311:                             ;   in Loop: Header=BB287_2093 Depth=1
	v_and_b32_e32 v8, 7, v0
	v_lshrrev_b32_e32 v9, 3, v12
	s_mov_b32 s25, exec_lo
	v_cmpx_gt_u32_e32 8, v12
; %bb.2312:                             ;   in Loop: Header=BB287_2093 Depth=1
	s_delay_alu instid0(VALU_DEP_3) | instskip(NEXT) | instid1(VALU_DEP_1)
	v_clz_i32_u32_e32 v8, v8
	v_min_u32_e32 v12, 32, v8
	s_delay_alu instid0(VALU_DEP_1) | instskip(NEXT) | instid1(VALU_DEP_1)
	v_subrev_nc_u32_e32 v8, 28, v12
	v_lshlrev_b64_e32 v[8:9], v8, v[0:1]
	v_sub_nc_u32_e32 v9, 29, v12
	s_delay_alu instid0(VALU_DEP_2)
	v_and_b32_e32 v8, 7, v8
; %bb.2313:                             ;   in Loop: Header=BB287_2093 Depth=1
	s_or_b32 exec_lo, exec_lo, s25
	v_lshlrev_b32_e32 v0, 8, v0
	s_delay_alu instid0(VALU_DEP_3) | instskip(NEXT) | instid1(VALU_DEP_3)
	v_lshl_add_u32 v9, v9, 10, 0x2000
	v_lshlrev_b32_e32 v8, 7, v8
	s_delay_alu instid0(VALU_DEP_3) | instskip(NEXT) | instid1(VALU_DEP_3)
	v_and_b32_e32 v0, 0x8000, v0
	v_and_b32_e32 v9, 0xfc00, v9
	s_delay_alu instid0(VALU_DEP_1)
	v_or3_b32 v8, v0, v9, v8
.LBB287_2314:                           ;   in Loop: Header=BB287_2093 Depth=1
	s_or_b32 exec_lo, exec_lo, s24
.LBB287_2315:                           ;   in Loop: Header=BB287_2093 Depth=1
	s_delay_alu instid0(SALU_CYCLE_1)
	s_or_b32 exec_lo, exec_lo, s23
.LBB287_2316:                           ;   in Loop: Header=BB287_2093 Depth=1
	s_delay_alu instid0(SALU_CYCLE_1) | instskip(NEXT) | instid1(SALU_CYCLE_1)
	s_or_b32 exec_lo, exec_lo, s22
	s_mov_b32 s22, exec_lo
	v_cmpx_lt_u32_e32 0xffffff, v86
	s_cbranch_execz .LBB287_2324
; %bb.2317:                             ;   in Loop: Header=BB287_2093 Depth=1
	v_lshrrev_b32_e32 v26, 24, v86
	v_bfrev_b32_e32 v7, 1
	s_mov_b32 s23, exec_lo
	s_delay_alu instid0(VALU_DEP_2)
	v_cmpx_ne_u32_e32 0x80, v26
	s_cbranch_execz .LBB287_2323
; %bb.2318:                             ;   in Loop: Header=BB287_2093 Depth=1
	v_and_b32_e32 v9, 0x7f, v26
	v_mov_b32_e32 v7, 0x7c010000
	s_mov_b32 s24, exec_lo
	s_delay_alu instid0(VALU_DEP_2)
	v_cmpx_ne_u32_e32 0x7f, v9
	s_cbranch_execz .LBB287_2322
; %bb.2319:                             ;   in Loop: Header=BB287_2093 Depth=1
	v_dual_lshrrev_b32 v7, 3, v9 :: v_dual_bitop2_b32 v0, 7, v26 bitop3:0x40
	s_mov_b32 s25, exec_lo
	v_cmpx_gt_u32_e32 8, v9
; %bb.2320:                             ;   in Loop: Header=BB287_2093 Depth=1
	s_delay_alu instid0(VALU_DEP_2) | instskip(NEXT) | instid1(VALU_DEP_1)
	v_clz_i32_u32_e32 v0, v0
	v_min_u32_e32 v0, 32, v0
	s_delay_alu instid0(VALU_DEP_1) | instskip(NEXT) | instid1(VALU_DEP_1)
	v_subrev_nc_u32_e32 v7, 28, v0
	v_lshlrev_b64_e32 v[14:15], v7, v[26:27]
	s_delay_alu instid0(VALU_DEP_1)
	v_dual_sub_nc_u32 v7, 29, v0 :: v_dual_bitop2_b32 v0, 7, v14 bitop3:0x40
; %bb.2321:                             ;   in Loop: Header=BB287_2093 Depth=1
	s_or_b32 exec_lo, exec_lo, s25
	s_delay_alu instid0(VALU_DEP_1) | instskip(NEXT) | instid1(VALU_DEP_2)
	v_dual_lshlrev_b32 v9, 8, v26 :: v_dual_lshlrev_b32 v0, 23, v0
	v_lshl_add_u32 v7, v7, 10, 0x2000
	s_delay_alu instid0(VALU_DEP_1) | instskip(NEXT) | instid1(VALU_DEP_1)
	v_and_or_b32 v7, 0x8000, v9, v7
	v_lshl_or_b32 v7, v7, 16, v0
.LBB287_2322:                           ;   in Loop: Header=BB287_2093 Depth=1
	s_or_b32 exec_lo, exec_lo, s24
.LBB287_2323:                           ;   in Loop: Header=BB287_2093 Depth=1
	s_delay_alu instid0(SALU_CYCLE_1)
	s_or_b32 exec_lo, exec_lo, s23
.LBB287_2324:                           ;   in Loop: Header=BB287_2093 Depth=1
	s_delay_alu instid0(SALU_CYCLE_1) | instskip(SKIP_4) | instid1(VALU_DEP_3)
	s_or_b32 exec_lo, exec_lo, s22
	v_and_b32_e32 v0, 0xff, v87
	v_dual_mov_b32 v26, v87 :: v_dual_mov_b32 v12, 0
	v_mov_b32_e32 v9, 0
	s_mov_b32 s22, exec_lo
	v_cmpx_ne_u16_e32 0, v0
	s_cbranch_execz .LBB287_2332
; %bb.2325:                             ;   in Loop: Header=BB287_2093 Depth=1
	v_mov_b32_e32 v9, 0x8000
	s_mov_b32 s23, exec_lo
	v_cmpx_ne_u16_e32 0x80, v0
	s_cbranch_execz .LBB287_2331
; %bb.2326:                             ;   in Loop: Header=BB287_2093 Depth=1
	v_and_b32_e32 v16, 0x7f, v87
	v_mov_b32_e32 v9, 0x7c01
	s_mov_b32 s24, exec_lo
	s_delay_alu instid0(VALU_DEP_2)
	v_cmpx_ne_u32_e32 0x7f, v16
	s_cbranch_execz .LBB287_2330
; %bb.2327:                             ;   in Loop: Header=BB287_2093 Depth=1
	v_dual_lshrrev_b32 v9, 3, v16 :: v_dual_bitop2_b32 v0, 7, v87 bitop3:0x40
	s_mov_b32 s25, exec_lo
	v_cmpx_gt_u32_e32 8, v16
; %bb.2328:                             ;   in Loop: Header=BB287_2093 Depth=1
	s_delay_alu instid0(VALU_DEP_2) | instskip(NEXT) | instid1(VALU_DEP_1)
	v_clz_i32_u32_e32 v0, v0
	v_min_u32_e32 v0, 32, v0
	s_delay_alu instid0(VALU_DEP_1) | instskip(NEXT) | instid1(VALU_DEP_1)
	v_subrev_nc_u32_e32 v9, 28, v0
	v_lshlrev_b64_e32 v[14:15], v9, v[26:27]
	s_delay_alu instid0(VALU_DEP_1)
	v_dual_sub_nc_u32 v9, 29, v0 :: v_dual_bitop2_b32 v0, 7, v14 bitop3:0x40
; %bb.2329:                             ;   in Loop: Header=BB287_2093 Depth=1
	s_or_b32 exec_lo, exec_lo, s25
	s_delay_alu instid0(VALU_DEP_1) | instskip(NEXT) | instid1(VALU_DEP_2)
	v_dual_lshlrev_b32 v14, 8, v87 :: v_dual_lshlrev_b32 v0, 7, v0
	v_lshl_add_u32 v9, v9, 10, 0x2000
	s_delay_alu instid0(VALU_DEP_2) | instskip(NEXT) | instid1(VALU_DEP_2)
	v_and_b32_e32 v14, 0x8000, v14
	v_and_b32_e32 v9, 0xfc00, v9
	s_delay_alu instid0(VALU_DEP_1)
	v_or3_b32 v9, v14, v9, v0
.LBB287_2330:                           ;   in Loop: Header=BB287_2093 Depth=1
	s_or_b32 exec_lo, exec_lo, s24
.LBB287_2331:                           ;   in Loop: Header=BB287_2093 Depth=1
	s_delay_alu instid0(SALU_CYCLE_1)
	s_or_b32 exec_lo, exec_lo, s23
.LBB287_2332:                           ;   in Loop: Header=BB287_2093 Depth=1
	s_delay_alu instid0(SALU_CYCLE_1) | instskip(SKIP_3) | instid1(VALU_DEP_2)
	s_or_b32 exec_lo, exec_lo, s22
	v_lshrrev_b16 v26, 8, v26
	v_mov_b32_e32 v16, 0
	s_mov_b32 s22, exec_lo
	v_cmpx_ne_u16_e32 0, v26
	s_cbranch_execz .LBB287_2340
; %bb.2333:                             ;   in Loop: Header=BB287_2093 Depth=1
	v_bfrev_b32_e32 v16, 1
	s_mov_b32 s23, exec_lo
	v_cmpx_ne_u16_e32 0x80, v26
	s_cbranch_execz .LBB287_2339
; %bb.2334:                             ;   in Loop: Header=BB287_2093 Depth=1
	v_and_b32_e32 v0, 0xffff, v26
	v_mov_b32_e32 v16, 0x7c010000
	s_mov_b32 s24, exec_lo
	s_delay_alu instid0(VALU_DEP_2) | instskip(NEXT) | instid1(VALU_DEP_1)
	v_and_b32_e32 v18, 0x7f, v0
	v_cmpx_ne_u32_e32 0x7f, v18
	s_cbranch_execz .LBB287_2338
; %bb.2335:                             ;   in Loop: Header=BB287_2093 Depth=1
	v_dual_lshrrev_b32 v17, 3, v18 :: v_dual_bitop2_b32 v16, 7, v0 bitop3:0x40
	s_mov_b32 s25, exec_lo
	v_cmpx_gt_u32_e32 8, v18
; %bb.2336:                             ;   in Loop: Header=BB287_2093 Depth=1
	s_delay_alu instid0(VALU_DEP_2) | instskip(NEXT) | instid1(VALU_DEP_1)
	v_clz_i32_u32_e32 v14, v16
	v_min_u32_e32 v16, 32, v14
	s_delay_alu instid0(VALU_DEP_1) | instskip(NEXT) | instid1(VALU_DEP_1)
	v_subrev_nc_u32_e32 v14, 28, v16
	v_lshlrev_b64_e32 v[14:15], v14, v[26:27]
	s_delay_alu instid0(VALU_DEP_1)
	v_dual_sub_nc_u32 v17, 29, v16 :: v_dual_bitop2_b32 v16, 7, v14 bitop3:0x40
; %bb.2337:                             ;   in Loop: Header=BB287_2093 Depth=1
	s_or_b32 exec_lo, exec_lo, s25
	v_lshlrev_b32_e32 v0, 8, v0
	s_delay_alu instid0(VALU_DEP_2) | instskip(NEXT) | instid1(VALU_DEP_1)
	v_lshl_add_u32 v14, v17, 10, 0x2000
	v_and_or_b32 v0, 0x8000, v0, v14
	v_lshlrev_b32_e32 v14, 23, v16
	s_delay_alu instid0(VALU_DEP_1)
	v_lshl_or_b32 v16, v0, 16, v14
.LBB287_2338:                           ;   in Loop: Header=BB287_2093 Depth=1
	s_or_b32 exec_lo, exec_lo, s24
.LBB287_2339:                           ;   in Loop: Header=BB287_2093 Depth=1
	s_delay_alu instid0(SALU_CYCLE_1)
	s_or_b32 exec_lo, exec_lo, s23
.LBB287_2340:                           ;   in Loop: Header=BB287_2093 Depth=1
	s_delay_alu instid0(SALU_CYCLE_1) | instskip(SKIP_2) | instid1(VALU_DEP_1)
	s_or_b32 exec_lo, exec_lo, s22
	v_lshrrev_b32_e32 v0, 16, v87
	s_mov_b32 s22, exec_lo
	v_and_b32_e32 v17, 0xff, v0
	s_delay_alu instid0(VALU_DEP_1)
	v_cmpx_ne_u16_e32 0, v17
	s_cbranch_execz .LBB287_2348
; %bb.2341:                             ;   in Loop: Header=BB287_2093 Depth=1
	v_mov_b32_e32 v12, 0x8000
	s_mov_b32 s23, exec_lo
	v_cmpx_ne_u16_e32 0x80, v17
	s_cbranch_execz .LBB287_2347
; %bb.2342:                             ;   in Loop: Header=BB287_2093 Depth=1
	v_bfe_u32 v18, v87, 16, 7
	v_mov_b32_e32 v12, 0x7c01
	s_mov_b32 s24, exec_lo
	s_delay_alu instid0(VALU_DEP_2)
	v_cmpx_ne_u32_e32 0x7f, v18
	s_cbranch_execz .LBB287_2346
; %bb.2343:                             ;   in Loop: Header=BB287_2093 Depth=1
	v_dual_lshrrev_b32 v17, 3, v18 :: v_dual_bitop2_b32 v12, 7, v0 bitop3:0x40
	s_mov_b32 s25, exec_lo
	v_cmpx_gt_u32_e32 8, v18
; %bb.2344:                             ;   in Loop: Header=BB287_2093 Depth=1
	s_delay_alu instid0(VALU_DEP_2) | instskip(NEXT) | instid1(VALU_DEP_1)
	v_clz_i32_u32_e32 v12, v12
	v_min_u32_e32 v12, 32, v12
	s_delay_alu instid0(VALU_DEP_1) | instskip(NEXT) | instid1(VALU_DEP_1)
	v_subrev_nc_u32_e32 v14, 28, v12
	v_lshlrev_b64_e32 v[14:15], v14, v[0:1]
	s_delay_alu instid0(VALU_DEP_1)
	v_dual_sub_nc_u32 v17, 29, v12 :: v_dual_bitop2_b32 v12, 7, v14 bitop3:0x40
; %bb.2345:                             ;   in Loop: Header=BB287_2093 Depth=1
	s_or_b32 exec_lo, exec_lo, s25
	v_lshlrev_b32_e32 v0, 8, v0
	s_delay_alu instid0(VALU_DEP_2) | instskip(NEXT) | instid1(VALU_DEP_3)
	v_lshl_add_u32 v14, v17, 10, 0x2000
	v_lshlrev_b32_e32 v12, 7, v12
	s_delay_alu instid0(VALU_DEP_3) | instskip(NEXT) | instid1(VALU_DEP_3)
	v_and_b32_e32 v0, 0x8000, v0
	v_and_b32_e32 v14, 0xfc00, v14
	s_delay_alu instid0(VALU_DEP_1)
	v_or3_b32 v12, v0, v14, v12
.LBB287_2346:                           ;   in Loop: Header=BB287_2093 Depth=1
	s_or_b32 exec_lo, exec_lo, s24
.LBB287_2347:                           ;   in Loop: Header=BB287_2093 Depth=1
	s_delay_alu instid0(SALU_CYCLE_1)
	s_or_b32 exec_lo, exec_lo, s23
.LBB287_2348:                           ;   in Loop: Header=BB287_2093 Depth=1
	s_delay_alu instid0(SALU_CYCLE_1)
	s_or_b32 exec_lo, exec_lo, s22
	v_mov_b32_e32 v0, 0
	s_mov_b32 s22, exec_lo
	v_cmpx_lt_u64_e64 s[14:15], v[86:87]
	s_cbranch_execz .LBB287_2356
; %bb.2349:                             ;   in Loop: Header=BB287_2093 Depth=1
	v_lshrrev_b32_e32 v26, 24, v87
	v_bfrev_b32_e32 v0, 1
	s_mov_b32 s23, exec_lo
	s_delay_alu instid0(VALU_DEP_2)
	v_cmpx_ne_u32_e32 0x80, v26
	s_cbranch_execz .LBB287_2355
; %bb.2350:                             ;   in Loop: Header=BB287_2093 Depth=1
	v_and_b32_e32 v18, 0x7f, v26
	v_mov_b32_e32 v0, 0x7c010000
	s_mov_b32 s24, exec_lo
	s_delay_alu instid0(VALU_DEP_2)
	v_cmpx_ne_u32_e32 0x7f, v18
	s_cbranch_execz .LBB287_2354
; %bb.2351:                             ;   in Loop: Header=BB287_2093 Depth=1
	v_and_b32_e32 v0, 7, v26
	v_lshrrev_b32_e32 v17, 3, v18
	s_mov_b32 s25, exec_lo
	v_cmpx_gt_u32_e32 8, v18
; %bb.2352:                             ;   in Loop: Header=BB287_2093 Depth=1
	s_delay_alu instid0(VALU_DEP_3) | instskip(NEXT) | instid1(VALU_DEP_1)
	v_clz_i32_u32_e32 v0, v0
	v_min_u32_e32 v0, 32, v0
	s_delay_alu instid0(VALU_DEP_1) | instskip(NEXT) | instid1(VALU_DEP_1)
	v_subrev_nc_u32_e32 v14, 28, v0
	v_lshlrev_b64_e32 v[14:15], v14, v[26:27]
	s_delay_alu instid0(VALU_DEP_1)
	v_dual_sub_nc_u32 v17, 29, v0 :: v_dual_bitop2_b32 v0, 7, v14 bitop3:0x40
; %bb.2353:                             ;   in Loop: Header=BB287_2093 Depth=1
	s_or_b32 exec_lo, exec_lo, s25
	s_delay_alu instid0(VALU_DEP_1) | instskip(NEXT) | instid1(VALU_DEP_2)
	v_dual_lshlrev_b32 v14, 8, v26 :: v_dual_lshlrev_b32 v0, 23, v0
	v_lshl_add_u32 v15, v17, 10, 0x2000
	s_delay_alu instid0(VALU_DEP_1) | instskip(NEXT) | instid1(VALU_DEP_1)
	v_and_or_b32 v14, 0x8000, v14, v15
	v_lshl_or_b32 v0, v14, 16, v0
.LBB287_2354:                           ;   in Loop: Header=BB287_2093 Depth=1
	s_or_b32 exec_lo, exec_lo, s24
.LBB287_2355:                           ;   in Loop: Header=BB287_2093 Depth=1
	s_delay_alu instid0(SALU_CYCLE_1)
	s_or_b32 exec_lo, exec_lo, s23
.LBB287_2356:                           ;   in Loop: Header=BB287_2093 Depth=1
	s_delay_alu instid0(SALU_CYCLE_1) | instskip(SKIP_4) | instid1(VALU_DEP_4)
	s_or_b32 exec_lo, exec_lo, s22
	v_dual_lshrrev_b32 v14, 16, v1 :: v_dual_lshrrev_b32 v15, 16, v7
	v_or_b32_e32 v1, v1, v6
	v_or_b32_e32 v8, v7, v8
	;; [unrolled: 1-line block ×3, first 2 shown]
	v_cvt_f32_f16_e32 v7, v14
	v_cvt_f32_f16_e32 v6, v15
	v_lshrrev_b32_e32 v14, 16, v16
	v_dual_lshrrev_b32 v15, 16, v0 :: v_dual_bitop2_b32 v16, v16, v9 bitop3:0x54
	v_cvt_f32_f16_e32 v0, v8
	s_wait_loadcnt_dscnt 0x0
	v_pk_mul_f32 v[6:7], v[84:85], v[6:7] op_sel_hi:[0,1]
	v_cvt_f32_f16_e32 v1, v1
	v_cvt_f32_f16_e32 v9, v14
	;; [unrolled: 1-line block ×5, first 2 shown]
	v_pk_mul_f32 v[0:1], v[84:85], v[0:1] op_sel_hi:[0,1]
	v_cvt_pk_f16_f32 v12, v6, v7
	v_pk_mul_f32 v[6:7], v[84:85], v[8:9] op_sel_hi:[0,1]
	s_delay_alu instid0(VALU_DEP_4) | instskip(NEXT) | instid1(VALU_DEP_4)
	v_pk_mul_f32 v[14:15], v[84:85], v[14:15] op_sel_hi:[0,1]
	v_cvt_pk_f16_f32 v0, v0, v1
	s_delay_alu instid0(VALU_DEP_4) | instskip(NEXT) | instid1(VALU_DEP_4)
	v_and_b32_e32 v9, 0xffff0000, v12
	v_cvt_pk_f16_f32 v6, v6, v7
	s_delay_alu instid0(VALU_DEP_4) | instskip(NEXT) | instid1(VALU_DEP_4)
	v_cvt_pk_f16_f32 v7, v14, v15
	v_and_b32_e32 v98, 0xffff, v0
	v_lshrrev_b32_e32 v97, 16, v0
	v_lshlrev_b32_e32 v86, 16, v12
	v_and_b32_e32 v1, 0xffff0000, v6
	v_dual_lshlrev_b32 v0, 16, v6 :: v_dual_lshrrev_b32 v87, 16, v7
	v_and_b32_e32 v96, 0xffff, v7
	v_or_b32_e32 v85, v9, v97
	v_or_b32_e32 v84, v86, v98
	s_delay_alu instid0(VALU_DEP_4) | instskip(NEXT) | instid1(VALU_DEP_4)
	v_or_b32_e32 v19, v1, v87
	v_or_b32_e32 v26, v0, v96
	s_and_saveexec_b32 s8, s0
	s_cbranch_execz .LBB287_2358
; %bb.2357:                             ;   in Loop: Header=BB287_2093 Depth=1
	v_dual_cndmask_b32 v6, 0, v97, vcc_lo :: v_dual_cndmask_b32 v7, 0, v98, s1
	v_dual_cndmask_b32 v8, 0, v9, s2 :: v_dual_cndmask_b32 v9, 0, v86, s3
	v_dual_cndmask_b32 v12, 0, v87, s4 :: v_dual_cndmask_b32 v14, 0, v96, s5
	;; [unrolled: 1-line block ×3, first 2 shown]
	s_delay_alu instid0(VALU_DEP_3) | instskip(NEXT) | instid1(VALU_DEP_4)
	v_or_b32_e32 v85, v6, v8
	v_or_b32_e32 v84, v7, v9
	s_delay_alu instid0(VALU_DEP_3) | instskip(NEXT) | instid1(VALU_DEP_4)
	v_or_b32_e32 v19, v12, v1
	v_or_b32_e32 v26, v14, v0
.LBB287_2358:                           ;   in Loop: Header=BB287_2093 Depth=1
	s_or_b32 exec_lo, exec_lo, s8
	;;#ASMSTART
	v_pk_mul_f16 v0, v119, v85;

	;;#ASMEND
	;;#ASMSTART
	v_pk_mul_f16 v1, v117, v84;

	;;#ASMEND
	;; [unrolled: 4-line block ×4, first 2 shown]
	;;#ASMSTART
	v_pk_add_f16 v0, v0, v1;

	;;#ASMEND
	;;#ASMSTART
	v_pk_add_f16 v0, v0, v6;

	;;#ASMEND
	;; [unrolled: 4-line block ×3, first 2 shown]
	v_and_b32_e32 v1, 0xffff, v0
	v_lshrrev_b32_e32 v0, 16, v0
	;;#ASMSTART
	v_cvt_f32_f16 v45, v1;
	;;#ASMEND
	v_mov_b32_e32 v1, 0
	;;#ASMSTART
	v_cvt_f32_f16 v46, v0;
	;;#ASMEND
	flat_load_b64 v[86:87], v[82:83] offset:1024
	flat_load_b32 v84, v[22:23]
	v_mov_b32_e32 v6, 0
	s_mov_b32 s22, exec_lo
	s_wait_loadcnt_dscnt 0x101
	v_and_b32_e32 v0, 0xff, v86
	s_wait_xcnt 0x0
	s_delay_alu instid0(VALU_DEP_1)
	v_cmpx_ne_u16_e32 0, v0
	s_cbranch_execz .LBB287_2366
; %bb.2359:                             ;   in Loop: Header=BB287_2093 Depth=1
	v_mov_b32_e32 v6, 0x8000
	s_mov_b32 s23, exec_lo
	v_cmpx_ne_u16_e32 0x80, v0
	s_cbranch_execz .LBB287_2365
; %bb.2360:                             ;   in Loop: Header=BB287_2093 Depth=1
	v_and_b32_e32 v7, 0x7f, v86
	v_mov_b32_e32 v6, 0x7c01
	s_mov_b32 s24, exec_lo
	s_delay_alu instid0(VALU_DEP_2)
	v_cmpx_ne_u32_e32 0x7f, v7
	s_cbranch_execz .LBB287_2364
; %bb.2361:                             ;   in Loop: Header=BB287_2093 Depth=1
	v_dual_lshrrev_b32 v6, 3, v7 :: v_dual_bitop2_b32 v0, 7, v86 bitop3:0x40
	s_mov_b32 s25, exec_lo
	v_cmpx_gt_u32_e32 8, v7
; %bb.2362:                             ;   in Loop: Header=BB287_2093 Depth=1
	s_delay_alu instid0(VALU_DEP_2) | instskip(NEXT) | instid1(VALU_DEP_1)
	v_clz_i32_u32_e32 v0, v0
	v_min_u32_e32 v0, 32, v0
	s_delay_alu instid0(VALU_DEP_1) | instskip(NEXT) | instid1(VALU_DEP_1)
	v_subrev_nc_u32_e32 v6, 28, v0
	v_lshlrev_b64_e32 v[8:9], v6, v[86:87]
	v_sub_nc_u32_e32 v6, 29, v0
	s_delay_alu instid0(VALU_DEP_2)
	v_and_b32_e32 v0, 7, v8
; %bb.2363:                             ;   in Loop: Header=BB287_2093 Depth=1
	s_or_b32 exec_lo, exec_lo, s25
	s_delay_alu instid0(VALU_DEP_1) | instskip(NEXT) | instid1(VALU_DEP_3)
	v_dual_lshlrev_b32 v7, 8, v86 :: v_dual_lshlrev_b32 v0, 7, v0
	v_lshl_add_u32 v6, v6, 10, 0x2000
	s_delay_alu instid0(VALU_DEP_2) | instskip(NEXT) | instid1(VALU_DEP_2)
	v_and_b32_e32 v7, 0x8000, v7
	v_and_b32_e32 v6, 0xfc00, v6
	s_delay_alu instid0(VALU_DEP_1)
	v_or3_b32 v6, v7, v6, v0
.LBB287_2364:                           ;   in Loop: Header=BB287_2093 Depth=1
	s_or_b32 exec_lo, exec_lo, s24
.LBB287_2365:                           ;   in Loop: Header=BB287_2093 Depth=1
	s_delay_alu instid0(SALU_CYCLE_1)
	s_or_b32 exec_lo, exec_lo, s23
.LBB287_2366:                           ;   in Loop: Header=BB287_2093 Depth=1
	s_delay_alu instid0(SALU_CYCLE_1) | instskip(SKIP_2) | instid1(VALU_DEP_1)
	s_or_b32 exec_lo, exec_lo, s22
	v_lshrrev_b16 v26, 8, v86
	s_mov_b32 s22, exec_lo
	v_cmpx_ne_u16_e32 0, v26
	s_cbranch_execz .LBB287_2374
; %bb.2367:                             ;   in Loop: Header=BB287_2093 Depth=1
	v_bfrev_b32_e32 v1, 1
	s_mov_b32 s23, exec_lo
	v_cmpx_ne_u16_e32 0x80, v26
	s_cbranch_execz .LBB287_2373
; %bb.2368:                             ;   in Loop: Header=BB287_2093 Depth=1
	v_and_b32_e32 v0, 0xffff, v26
	v_mov_b32_e32 v1, 0x7c010000
	s_mov_b32 s24, exec_lo
	s_delay_alu instid0(VALU_DEP_2) | instskip(NEXT) | instid1(VALU_DEP_1)
	v_and_b32_e32 v8, 0x7f, v0
	v_cmpx_ne_u32_e32 0x7f, v8
	s_cbranch_execz .LBB287_2372
; %bb.2369:                             ;   in Loop: Header=BB287_2093 Depth=1
	v_and_b32_e32 v1, 7, v0
	v_lshrrev_b32_e32 v7, 3, v8
	s_mov_b32 s25, exec_lo
	v_cmpx_gt_u32_e32 8, v8
; %bb.2370:                             ;   in Loop: Header=BB287_2093 Depth=1
	s_delay_alu instid0(VALU_DEP_3) | instskip(NEXT) | instid1(VALU_DEP_1)
	v_clz_i32_u32_e32 v1, v1
	v_min_u32_e32 v1, 32, v1
	s_delay_alu instid0(VALU_DEP_1) | instskip(NEXT) | instid1(VALU_DEP_1)
	v_subrev_nc_u32_e32 v7, 28, v1
	v_lshlrev_b64_e32 v[8:9], v7, v[26:27]
	s_delay_alu instid0(VALU_DEP_1)
	v_dual_sub_nc_u32 v7, 29, v1 :: v_dual_bitop2_b32 v1, 7, v8 bitop3:0x40
; %bb.2371:                             ;   in Loop: Header=BB287_2093 Depth=1
	s_or_b32 exec_lo, exec_lo, s25
	s_delay_alu instid0(VALU_DEP_1) | instskip(NEXT) | instid1(VALU_DEP_2)
	v_dual_lshlrev_b32 v0, 8, v0 :: v_dual_lshlrev_b32 v1, 23, v1
	v_lshl_add_u32 v7, v7, 10, 0x2000
	s_delay_alu instid0(VALU_DEP_1) | instskip(NEXT) | instid1(VALU_DEP_1)
	v_and_or_b32 v0, 0x8000, v0, v7
	v_lshl_or_b32 v1, v0, 16, v1
.LBB287_2372:                           ;   in Loop: Header=BB287_2093 Depth=1
	s_or_b32 exec_lo, exec_lo, s24
.LBB287_2373:                           ;   in Loop: Header=BB287_2093 Depth=1
	s_delay_alu instid0(SALU_CYCLE_1)
	s_or_b32 exec_lo, exec_lo, s23
.LBB287_2374:                           ;   in Loop: Header=BB287_2093 Depth=1
	s_delay_alu instid0(SALU_CYCLE_1) | instskip(SKIP_3) | instid1(VALU_DEP_2)
	s_or_b32 exec_lo, exec_lo, s22
	v_dual_mov_b32 v7, 0 :: v_dual_lshrrev_b32 v0, 16, v86
	v_mov_b32_e32 v8, 0
	s_mov_b32 s22, exec_lo
	v_and_b32_e32 v9, 0xff, v0
	s_delay_alu instid0(VALU_DEP_1)
	v_cmpx_ne_u16_e32 0, v9
	s_cbranch_execz .LBB287_2382
; %bb.2375:                             ;   in Loop: Header=BB287_2093 Depth=1
	v_mov_b32_e32 v8, 0x8000
	s_mov_b32 s23, exec_lo
	v_cmpx_ne_u16_e32 0x80, v9
	s_cbranch_execz .LBB287_2381
; %bb.2376:                             ;   in Loop: Header=BB287_2093 Depth=1
	v_bfe_u32 v12, v86, 16, 7
	v_mov_b32_e32 v8, 0x7c01
	s_mov_b32 s24, exec_lo
	s_delay_alu instid0(VALU_DEP_2)
	v_cmpx_ne_u32_e32 0x7f, v12
	s_cbranch_execz .LBB287_2380
; %bb.2377:                             ;   in Loop: Header=BB287_2093 Depth=1
	v_and_b32_e32 v8, 7, v0
	v_lshrrev_b32_e32 v9, 3, v12
	s_mov_b32 s25, exec_lo
	v_cmpx_gt_u32_e32 8, v12
; %bb.2378:                             ;   in Loop: Header=BB287_2093 Depth=1
	s_delay_alu instid0(VALU_DEP_3) | instskip(NEXT) | instid1(VALU_DEP_1)
	v_clz_i32_u32_e32 v8, v8
	v_min_u32_e32 v12, 32, v8
	s_delay_alu instid0(VALU_DEP_1) | instskip(NEXT) | instid1(VALU_DEP_1)
	v_subrev_nc_u32_e32 v8, 28, v12
	v_lshlrev_b64_e32 v[8:9], v8, v[0:1]
	v_sub_nc_u32_e32 v9, 29, v12
	s_delay_alu instid0(VALU_DEP_2)
	v_and_b32_e32 v8, 7, v8
; %bb.2379:                             ;   in Loop: Header=BB287_2093 Depth=1
	s_or_b32 exec_lo, exec_lo, s25
	v_lshlrev_b32_e32 v0, 8, v0
	s_delay_alu instid0(VALU_DEP_3) | instskip(NEXT) | instid1(VALU_DEP_3)
	v_lshl_add_u32 v9, v9, 10, 0x2000
	v_lshlrev_b32_e32 v8, 7, v8
	s_delay_alu instid0(VALU_DEP_3) | instskip(NEXT) | instid1(VALU_DEP_3)
	v_and_b32_e32 v0, 0x8000, v0
	v_and_b32_e32 v9, 0xfc00, v9
	s_delay_alu instid0(VALU_DEP_1)
	v_or3_b32 v8, v0, v9, v8
.LBB287_2380:                           ;   in Loop: Header=BB287_2093 Depth=1
	s_or_b32 exec_lo, exec_lo, s24
.LBB287_2381:                           ;   in Loop: Header=BB287_2093 Depth=1
	s_delay_alu instid0(SALU_CYCLE_1)
	s_or_b32 exec_lo, exec_lo, s23
.LBB287_2382:                           ;   in Loop: Header=BB287_2093 Depth=1
	s_delay_alu instid0(SALU_CYCLE_1) | instskip(NEXT) | instid1(SALU_CYCLE_1)
	s_or_b32 exec_lo, exec_lo, s22
	s_mov_b32 s22, exec_lo
	v_cmpx_lt_u32_e32 0xffffff, v86
	s_cbranch_execz .LBB287_2390
; %bb.2383:                             ;   in Loop: Header=BB287_2093 Depth=1
	v_lshrrev_b32_e32 v26, 24, v86
	v_bfrev_b32_e32 v7, 1
	s_mov_b32 s23, exec_lo
	s_delay_alu instid0(VALU_DEP_2)
	v_cmpx_ne_u32_e32 0x80, v26
	s_cbranch_execz .LBB287_2389
; %bb.2384:                             ;   in Loop: Header=BB287_2093 Depth=1
	v_and_b32_e32 v9, 0x7f, v26
	v_mov_b32_e32 v7, 0x7c010000
	s_mov_b32 s24, exec_lo
	s_delay_alu instid0(VALU_DEP_2)
	v_cmpx_ne_u32_e32 0x7f, v9
	s_cbranch_execz .LBB287_2388
; %bb.2385:                             ;   in Loop: Header=BB287_2093 Depth=1
	v_dual_lshrrev_b32 v7, 3, v9 :: v_dual_bitop2_b32 v0, 7, v26 bitop3:0x40
	s_mov_b32 s25, exec_lo
	v_cmpx_gt_u32_e32 8, v9
; %bb.2386:                             ;   in Loop: Header=BB287_2093 Depth=1
	s_delay_alu instid0(VALU_DEP_2) | instskip(NEXT) | instid1(VALU_DEP_1)
	v_clz_i32_u32_e32 v0, v0
	v_min_u32_e32 v0, 32, v0
	s_delay_alu instid0(VALU_DEP_1) | instskip(NEXT) | instid1(VALU_DEP_1)
	v_subrev_nc_u32_e32 v7, 28, v0
	v_lshlrev_b64_e32 v[14:15], v7, v[26:27]
	s_delay_alu instid0(VALU_DEP_1)
	v_dual_sub_nc_u32 v7, 29, v0 :: v_dual_bitop2_b32 v0, 7, v14 bitop3:0x40
; %bb.2387:                             ;   in Loop: Header=BB287_2093 Depth=1
	s_or_b32 exec_lo, exec_lo, s25
	s_delay_alu instid0(VALU_DEP_1) | instskip(NEXT) | instid1(VALU_DEP_2)
	v_dual_lshlrev_b32 v9, 8, v26 :: v_dual_lshlrev_b32 v0, 23, v0
	v_lshl_add_u32 v7, v7, 10, 0x2000
	s_delay_alu instid0(VALU_DEP_1) | instskip(NEXT) | instid1(VALU_DEP_1)
	v_and_or_b32 v7, 0x8000, v9, v7
	v_lshl_or_b32 v7, v7, 16, v0
.LBB287_2388:                           ;   in Loop: Header=BB287_2093 Depth=1
	s_or_b32 exec_lo, exec_lo, s24
.LBB287_2389:                           ;   in Loop: Header=BB287_2093 Depth=1
	s_delay_alu instid0(SALU_CYCLE_1)
	s_or_b32 exec_lo, exec_lo, s23
.LBB287_2390:                           ;   in Loop: Header=BB287_2093 Depth=1
	s_delay_alu instid0(SALU_CYCLE_1) | instskip(SKIP_4) | instid1(VALU_DEP_3)
	s_or_b32 exec_lo, exec_lo, s22
	v_and_b32_e32 v0, 0xff, v87
	v_dual_mov_b32 v26, v87 :: v_dual_mov_b32 v12, 0
	v_mov_b32_e32 v9, 0
	s_mov_b32 s22, exec_lo
	v_cmpx_ne_u16_e32 0, v0
	s_cbranch_execz .LBB287_2398
; %bb.2391:                             ;   in Loop: Header=BB287_2093 Depth=1
	v_mov_b32_e32 v9, 0x8000
	s_mov_b32 s23, exec_lo
	v_cmpx_ne_u16_e32 0x80, v0
	s_cbranch_execz .LBB287_2397
; %bb.2392:                             ;   in Loop: Header=BB287_2093 Depth=1
	v_and_b32_e32 v16, 0x7f, v87
	v_mov_b32_e32 v9, 0x7c01
	s_mov_b32 s24, exec_lo
	s_delay_alu instid0(VALU_DEP_2)
	v_cmpx_ne_u32_e32 0x7f, v16
	s_cbranch_execz .LBB287_2396
; %bb.2393:                             ;   in Loop: Header=BB287_2093 Depth=1
	v_dual_lshrrev_b32 v9, 3, v16 :: v_dual_bitop2_b32 v0, 7, v87 bitop3:0x40
	s_mov_b32 s25, exec_lo
	v_cmpx_gt_u32_e32 8, v16
; %bb.2394:                             ;   in Loop: Header=BB287_2093 Depth=1
	s_delay_alu instid0(VALU_DEP_2) | instskip(NEXT) | instid1(VALU_DEP_1)
	v_clz_i32_u32_e32 v0, v0
	v_min_u32_e32 v0, 32, v0
	s_delay_alu instid0(VALU_DEP_1) | instskip(NEXT) | instid1(VALU_DEP_1)
	v_subrev_nc_u32_e32 v9, 28, v0
	v_lshlrev_b64_e32 v[14:15], v9, v[26:27]
	s_delay_alu instid0(VALU_DEP_1)
	v_dual_sub_nc_u32 v9, 29, v0 :: v_dual_bitop2_b32 v0, 7, v14 bitop3:0x40
; %bb.2395:                             ;   in Loop: Header=BB287_2093 Depth=1
	s_or_b32 exec_lo, exec_lo, s25
	s_delay_alu instid0(VALU_DEP_1) | instskip(NEXT) | instid1(VALU_DEP_2)
	v_dual_lshlrev_b32 v14, 8, v87 :: v_dual_lshlrev_b32 v0, 7, v0
	v_lshl_add_u32 v9, v9, 10, 0x2000
	s_delay_alu instid0(VALU_DEP_2) | instskip(NEXT) | instid1(VALU_DEP_2)
	v_and_b32_e32 v14, 0x8000, v14
	v_and_b32_e32 v9, 0xfc00, v9
	s_delay_alu instid0(VALU_DEP_1)
	v_or3_b32 v9, v14, v9, v0
.LBB287_2396:                           ;   in Loop: Header=BB287_2093 Depth=1
	s_or_b32 exec_lo, exec_lo, s24
.LBB287_2397:                           ;   in Loop: Header=BB287_2093 Depth=1
	s_delay_alu instid0(SALU_CYCLE_1)
	s_or_b32 exec_lo, exec_lo, s23
.LBB287_2398:                           ;   in Loop: Header=BB287_2093 Depth=1
	s_delay_alu instid0(SALU_CYCLE_1) | instskip(SKIP_3) | instid1(VALU_DEP_2)
	s_or_b32 exec_lo, exec_lo, s22
	v_lshrrev_b16 v26, 8, v26
	v_mov_b32_e32 v16, 0
	s_mov_b32 s22, exec_lo
	v_cmpx_ne_u16_e32 0, v26
	s_cbranch_execz .LBB287_2406
; %bb.2399:                             ;   in Loop: Header=BB287_2093 Depth=1
	v_bfrev_b32_e32 v16, 1
	s_mov_b32 s23, exec_lo
	v_cmpx_ne_u16_e32 0x80, v26
	s_cbranch_execz .LBB287_2405
; %bb.2400:                             ;   in Loop: Header=BB287_2093 Depth=1
	v_and_b32_e32 v0, 0xffff, v26
	v_mov_b32_e32 v16, 0x7c010000
	s_mov_b32 s24, exec_lo
	s_delay_alu instid0(VALU_DEP_2) | instskip(NEXT) | instid1(VALU_DEP_1)
	v_and_b32_e32 v18, 0x7f, v0
	v_cmpx_ne_u32_e32 0x7f, v18
	s_cbranch_execz .LBB287_2404
; %bb.2401:                             ;   in Loop: Header=BB287_2093 Depth=1
	v_dual_lshrrev_b32 v17, 3, v18 :: v_dual_bitop2_b32 v16, 7, v0 bitop3:0x40
	s_mov_b32 s25, exec_lo
	v_cmpx_gt_u32_e32 8, v18
; %bb.2402:                             ;   in Loop: Header=BB287_2093 Depth=1
	s_delay_alu instid0(VALU_DEP_2) | instskip(NEXT) | instid1(VALU_DEP_1)
	v_clz_i32_u32_e32 v14, v16
	v_min_u32_e32 v16, 32, v14
	s_delay_alu instid0(VALU_DEP_1) | instskip(NEXT) | instid1(VALU_DEP_1)
	v_subrev_nc_u32_e32 v14, 28, v16
	v_lshlrev_b64_e32 v[14:15], v14, v[26:27]
	s_delay_alu instid0(VALU_DEP_1)
	v_dual_sub_nc_u32 v17, 29, v16 :: v_dual_bitop2_b32 v16, 7, v14 bitop3:0x40
; %bb.2403:                             ;   in Loop: Header=BB287_2093 Depth=1
	s_or_b32 exec_lo, exec_lo, s25
	v_lshlrev_b32_e32 v0, 8, v0
	s_delay_alu instid0(VALU_DEP_2) | instskip(NEXT) | instid1(VALU_DEP_1)
	v_lshl_add_u32 v14, v17, 10, 0x2000
	v_and_or_b32 v0, 0x8000, v0, v14
	v_lshlrev_b32_e32 v14, 23, v16
	s_delay_alu instid0(VALU_DEP_1)
	v_lshl_or_b32 v16, v0, 16, v14
.LBB287_2404:                           ;   in Loop: Header=BB287_2093 Depth=1
	s_or_b32 exec_lo, exec_lo, s24
.LBB287_2405:                           ;   in Loop: Header=BB287_2093 Depth=1
	s_delay_alu instid0(SALU_CYCLE_1)
	s_or_b32 exec_lo, exec_lo, s23
.LBB287_2406:                           ;   in Loop: Header=BB287_2093 Depth=1
	s_delay_alu instid0(SALU_CYCLE_1) | instskip(SKIP_2) | instid1(VALU_DEP_1)
	s_or_b32 exec_lo, exec_lo, s22
	v_lshrrev_b32_e32 v0, 16, v87
	s_mov_b32 s22, exec_lo
	v_and_b32_e32 v17, 0xff, v0
	s_delay_alu instid0(VALU_DEP_1)
	v_cmpx_ne_u16_e32 0, v17
	s_cbranch_execz .LBB287_2414
; %bb.2407:                             ;   in Loop: Header=BB287_2093 Depth=1
	v_mov_b32_e32 v12, 0x8000
	s_mov_b32 s23, exec_lo
	v_cmpx_ne_u16_e32 0x80, v17
	s_cbranch_execz .LBB287_2413
; %bb.2408:                             ;   in Loop: Header=BB287_2093 Depth=1
	v_bfe_u32 v18, v87, 16, 7
	v_mov_b32_e32 v12, 0x7c01
	s_mov_b32 s24, exec_lo
	s_delay_alu instid0(VALU_DEP_2)
	v_cmpx_ne_u32_e32 0x7f, v18
	s_cbranch_execz .LBB287_2412
; %bb.2409:                             ;   in Loop: Header=BB287_2093 Depth=1
	v_dual_lshrrev_b32 v17, 3, v18 :: v_dual_bitop2_b32 v12, 7, v0 bitop3:0x40
	s_mov_b32 s25, exec_lo
	v_cmpx_gt_u32_e32 8, v18
; %bb.2410:                             ;   in Loop: Header=BB287_2093 Depth=1
	s_delay_alu instid0(VALU_DEP_2) | instskip(NEXT) | instid1(VALU_DEP_1)
	v_clz_i32_u32_e32 v12, v12
	v_min_u32_e32 v12, 32, v12
	s_delay_alu instid0(VALU_DEP_1) | instskip(NEXT) | instid1(VALU_DEP_1)
	v_subrev_nc_u32_e32 v14, 28, v12
	v_lshlrev_b64_e32 v[14:15], v14, v[0:1]
	s_delay_alu instid0(VALU_DEP_1)
	v_dual_sub_nc_u32 v17, 29, v12 :: v_dual_bitop2_b32 v12, 7, v14 bitop3:0x40
; %bb.2411:                             ;   in Loop: Header=BB287_2093 Depth=1
	s_or_b32 exec_lo, exec_lo, s25
	v_lshlrev_b32_e32 v0, 8, v0
	s_delay_alu instid0(VALU_DEP_2) | instskip(NEXT) | instid1(VALU_DEP_3)
	v_lshl_add_u32 v14, v17, 10, 0x2000
	v_lshlrev_b32_e32 v12, 7, v12
	s_delay_alu instid0(VALU_DEP_3) | instskip(NEXT) | instid1(VALU_DEP_3)
	v_and_b32_e32 v0, 0x8000, v0
	v_and_b32_e32 v14, 0xfc00, v14
	s_delay_alu instid0(VALU_DEP_1)
	v_or3_b32 v12, v0, v14, v12
.LBB287_2412:                           ;   in Loop: Header=BB287_2093 Depth=1
	s_or_b32 exec_lo, exec_lo, s24
.LBB287_2413:                           ;   in Loop: Header=BB287_2093 Depth=1
	s_delay_alu instid0(SALU_CYCLE_1)
	s_or_b32 exec_lo, exec_lo, s23
.LBB287_2414:                           ;   in Loop: Header=BB287_2093 Depth=1
	s_delay_alu instid0(SALU_CYCLE_1)
	s_or_b32 exec_lo, exec_lo, s22
	v_mov_b32_e32 v0, 0
	s_mov_b32 s22, exec_lo
	v_cmpx_lt_u64_e64 s[14:15], v[86:87]
	s_cbranch_execz .LBB287_2422
; %bb.2415:                             ;   in Loop: Header=BB287_2093 Depth=1
	v_lshrrev_b32_e32 v26, 24, v87
	v_bfrev_b32_e32 v0, 1
	s_mov_b32 s23, exec_lo
	s_delay_alu instid0(VALU_DEP_2)
	v_cmpx_ne_u32_e32 0x80, v26
	s_cbranch_execz .LBB287_2421
; %bb.2416:                             ;   in Loop: Header=BB287_2093 Depth=1
	v_and_b32_e32 v18, 0x7f, v26
	v_mov_b32_e32 v0, 0x7c010000
	s_mov_b32 s24, exec_lo
	s_delay_alu instid0(VALU_DEP_2)
	v_cmpx_ne_u32_e32 0x7f, v18
	s_cbranch_execz .LBB287_2420
; %bb.2417:                             ;   in Loop: Header=BB287_2093 Depth=1
	v_and_b32_e32 v0, 7, v26
	v_lshrrev_b32_e32 v17, 3, v18
	s_mov_b32 s25, exec_lo
	v_cmpx_gt_u32_e32 8, v18
; %bb.2418:                             ;   in Loop: Header=BB287_2093 Depth=1
	s_delay_alu instid0(VALU_DEP_3) | instskip(NEXT) | instid1(VALU_DEP_1)
	v_clz_i32_u32_e32 v0, v0
	v_min_u32_e32 v0, 32, v0
	s_delay_alu instid0(VALU_DEP_1) | instskip(NEXT) | instid1(VALU_DEP_1)
	v_subrev_nc_u32_e32 v14, 28, v0
	v_lshlrev_b64_e32 v[14:15], v14, v[26:27]
	s_delay_alu instid0(VALU_DEP_1)
	v_dual_sub_nc_u32 v17, 29, v0 :: v_dual_bitop2_b32 v0, 7, v14 bitop3:0x40
; %bb.2419:                             ;   in Loop: Header=BB287_2093 Depth=1
	s_or_b32 exec_lo, exec_lo, s25
	s_delay_alu instid0(VALU_DEP_1) | instskip(NEXT) | instid1(VALU_DEP_2)
	v_dual_lshlrev_b32 v14, 8, v26 :: v_dual_lshlrev_b32 v0, 23, v0
	v_lshl_add_u32 v15, v17, 10, 0x2000
	s_delay_alu instid0(VALU_DEP_1) | instskip(NEXT) | instid1(VALU_DEP_1)
	v_and_or_b32 v14, 0x8000, v14, v15
	v_lshl_or_b32 v0, v14, 16, v0
.LBB287_2420:                           ;   in Loop: Header=BB287_2093 Depth=1
	s_or_b32 exec_lo, exec_lo, s24
.LBB287_2421:                           ;   in Loop: Header=BB287_2093 Depth=1
	s_delay_alu instid0(SALU_CYCLE_1)
	s_or_b32 exec_lo, exec_lo, s23
.LBB287_2422:                           ;   in Loop: Header=BB287_2093 Depth=1
	s_delay_alu instid0(SALU_CYCLE_1) | instskip(SKIP_4) | instid1(VALU_DEP_4)
	s_or_b32 exec_lo, exec_lo, s22
	v_dual_lshrrev_b32 v14, 16, v1 :: v_dual_lshrrev_b32 v15, 16, v7
	v_or_b32_e32 v1, v1, v6
	v_or_b32_e32 v8, v7, v8
	;; [unrolled: 1-line block ×3, first 2 shown]
	v_cvt_f32_f16_e32 v7, v14
	v_cvt_f32_f16_e32 v6, v15
	v_lshrrev_b32_e32 v14, 16, v16
	v_dual_lshrrev_b32 v15, 16, v0 :: v_dual_bitop2_b32 v16, v16, v9 bitop3:0x54
	v_cvt_f32_f16_e32 v0, v8
	s_wait_loadcnt_dscnt 0x0
	v_pk_mul_f32 v[6:7], v[84:85], v[6:7] op_sel_hi:[0,1]
	v_cvt_f32_f16_e32 v1, v1
	v_cvt_f32_f16_e32 v9, v14
	;; [unrolled: 1-line block ×5, first 2 shown]
	v_pk_mul_f32 v[0:1], v[84:85], v[0:1] op_sel_hi:[0,1]
	v_cvt_pk_f16_f32 v12, v6, v7
	v_pk_mul_f32 v[6:7], v[84:85], v[8:9] op_sel_hi:[0,1]
	s_delay_alu instid0(VALU_DEP_4) | instskip(NEXT) | instid1(VALU_DEP_4)
	v_pk_mul_f32 v[14:15], v[84:85], v[14:15] op_sel_hi:[0,1]
	v_cvt_pk_f16_f32 v0, v0, v1
	s_delay_alu instid0(VALU_DEP_4) | instskip(NEXT) | instid1(VALU_DEP_4)
	v_and_b32_e32 v9, 0xffff0000, v12
	v_cvt_pk_f16_f32 v6, v6, v7
	s_delay_alu instid0(VALU_DEP_4) | instskip(NEXT) | instid1(VALU_DEP_4)
	v_cvt_pk_f16_f32 v7, v14, v15
	v_and_b32_e32 v98, 0xffff, v0
	v_lshrrev_b32_e32 v97, 16, v0
	v_lshlrev_b32_e32 v86, 16, v12
	v_and_b32_e32 v1, 0xffff0000, v6
	v_dual_lshlrev_b32 v0, 16, v6 :: v_dual_lshrrev_b32 v87, 16, v7
	v_and_b32_e32 v96, 0xffff, v7
	v_or_b32_e32 v85, v9, v97
	v_or_b32_e32 v84, v86, v98
	s_delay_alu instid0(VALU_DEP_4) | instskip(NEXT) | instid1(VALU_DEP_4)
	v_or_b32_e32 v19, v1, v87
	v_or_b32_e32 v26, v0, v96
	s_and_saveexec_b32 s8, s0
	s_cbranch_execz .LBB287_2424
; %bb.2423:                             ;   in Loop: Header=BB287_2093 Depth=1
	v_dual_cndmask_b32 v6, 0, v97, vcc_lo :: v_dual_cndmask_b32 v7, 0, v98, s1
	v_dual_cndmask_b32 v8, 0, v9, s2 :: v_dual_cndmask_b32 v9, 0, v86, s3
	v_dual_cndmask_b32 v12, 0, v87, s4 :: v_dual_cndmask_b32 v14, 0, v96, s5
	;; [unrolled: 1-line block ×3, first 2 shown]
	s_delay_alu instid0(VALU_DEP_3) | instskip(NEXT) | instid1(VALU_DEP_4)
	v_or_b32_e32 v85, v6, v8
	v_or_b32_e32 v84, v7, v9
	s_delay_alu instid0(VALU_DEP_3) | instskip(NEXT) | instid1(VALU_DEP_4)
	v_or_b32_e32 v19, v12, v1
	v_or_b32_e32 v26, v14, v0
.LBB287_2424:                           ;   in Loop: Header=BB287_2093 Depth=1
	s_or_b32 exec_lo, exec_lo, s8
	;;#ASMSTART
	v_pk_mul_f16 v0, v119, v85;

	;;#ASMEND
	;;#ASMSTART
	v_pk_mul_f16 v1, v117, v84;

	;;#ASMEND
	;; [unrolled: 4-line block ×4, first 2 shown]
	;;#ASMSTART
	v_pk_add_f16 v0, v0, v1;

	;;#ASMEND
	;;#ASMSTART
	v_pk_add_f16 v0, v0, v6;

	;;#ASMEND
	;; [unrolled: 4-line block ×3, first 2 shown]
	v_and_b32_e32 v1, 0xffff, v0
	v_lshrrev_b32_e32 v0, 16, v0
	;;#ASMSTART
	v_cvt_f32_f16 v47, v1;
	;;#ASMEND
	v_mov_b32_e32 v1, 0
	;;#ASMSTART
	v_cvt_f32_f16 v56, v0;
	;;#ASMEND
	flat_load_b64 v[86:87], v[82:83] offset:1280
	flat_load_b32 v84, v[22:23]
	v_mov_b32_e32 v6, 0
	s_mov_b32 s22, exec_lo
	s_wait_loadcnt_dscnt 0x101
	v_and_b32_e32 v0, 0xff, v86
	s_wait_xcnt 0x0
	s_delay_alu instid0(VALU_DEP_1)
	v_cmpx_ne_u16_e32 0, v0
	s_cbranch_execz .LBB287_2432
; %bb.2425:                             ;   in Loop: Header=BB287_2093 Depth=1
	v_mov_b32_e32 v6, 0x8000
	s_mov_b32 s23, exec_lo
	v_cmpx_ne_u16_e32 0x80, v0
	s_cbranch_execz .LBB287_2431
; %bb.2426:                             ;   in Loop: Header=BB287_2093 Depth=1
	v_and_b32_e32 v7, 0x7f, v86
	v_mov_b32_e32 v6, 0x7c01
	s_mov_b32 s24, exec_lo
	s_delay_alu instid0(VALU_DEP_2)
	v_cmpx_ne_u32_e32 0x7f, v7
	s_cbranch_execz .LBB287_2430
; %bb.2427:                             ;   in Loop: Header=BB287_2093 Depth=1
	v_dual_lshrrev_b32 v6, 3, v7 :: v_dual_bitop2_b32 v0, 7, v86 bitop3:0x40
	s_mov_b32 s25, exec_lo
	v_cmpx_gt_u32_e32 8, v7
; %bb.2428:                             ;   in Loop: Header=BB287_2093 Depth=1
	s_delay_alu instid0(VALU_DEP_2) | instskip(NEXT) | instid1(VALU_DEP_1)
	v_clz_i32_u32_e32 v0, v0
	v_min_u32_e32 v0, 32, v0
	s_delay_alu instid0(VALU_DEP_1) | instskip(NEXT) | instid1(VALU_DEP_1)
	v_subrev_nc_u32_e32 v6, 28, v0
	v_lshlrev_b64_e32 v[8:9], v6, v[86:87]
	v_sub_nc_u32_e32 v6, 29, v0
	s_delay_alu instid0(VALU_DEP_2)
	v_and_b32_e32 v0, 7, v8
; %bb.2429:                             ;   in Loop: Header=BB287_2093 Depth=1
	s_or_b32 exec_lo, exec_lo, s25
	s_delay_alu instid0(VALU_DEP_1) | instskip(NEXT) | instid1(VALU_DEP_3)
	v_dual_lshlrev_b32 v7, 8, v86 :: v_dual_lshlrev_b32 v0, 7, v0
	v_lshl_add_u32 v6, v6, 10, 0x2000
	s_delay_alu instid0(VALU_DEP_2) | instskip(NEXT) | instid1(VALU_DEP_2)
	v_and_b32_e32 v7, 0x8000, v7
	v_and_b32_e32 v6, 0xfc00, v6
	s_delay_alu instid0(VALU_DEP_1)
	v_or3_b32 v6, v7, v6, v0
.LBB287_2430:                           ;   in Loop: Header=BB287_2093 Depth=1
	s_or_b32 exec_lo, exec_lo, s24
.LBB287_2431:                           ;   in Loop: Header=BB287_2093 Depth=1
	s_delay_alu instid0(SALU_CYCLE_1)
	s_or_b32 exec_lo, exec_lo, s23
.LBB287_2432:                           ;   in Loop: Header=BB287_2093 Depth=1
	s_delay_alu instid0(SALU_CYCLE_1) | instskip(SKIP_2) | instid1(VALU_DEP_1)
	s_or_b32 exec_lo, exec_lo, s22
	v_lshrrev_b16 v26, 8, v86
	s_mov_b32 s22, exec_lo
	v_cmpx_ne_u16_e32 0, v26
	s_cbranch_execz .LBB287_2440
; %bb.2433:                             ;   in Loop: Header=BB287_2093 Depth=1
	v_bfrev_b32_e32 v1, 1
	s_mov_b32 s23, exec_lo
	v_cmpx_ne_u16_e32 0x80, v26
	s_cbranch_execz .LBB287_2439
; %bb.2434:                             ;   in Loop: Header=BB287_2093 Depth=1
	v_and_b32_e32 v0, 0xffff, v26
	v_mov_b32_e32 v1, 0x7c010000
	s_mov_b32 s24, exec_lo
	s_delay_alu instid0(VALU_DEP_2) | instskip(NEXT) | instid1(VALU_DEP_1)
	v_and_b32_e32 v8, 0x7f, v0
	v_cmpx_ne_u32_e32 0x7f, v8
	s_cbranch_execz .LBB287_2438
; %bb.2435:                             ;   in Loop: Header=BB287_2093 Depth=1
	v_and_b32_e32 v1, 7, v0
	v_lshrrev_b32_e32 v7, 3, v8
	s_mov_b32 s25, exec_lo
	v_cmpx_gt_u32_e32 8, v8
; %bb.2436:                             ;   in Loop: Header=BB287_2093 Depth=1
	s_delay_alu instid0(VALU_DEP_3) | instskip(NEXT) | instid1(VALU_DEP_1)
	v_clz_i32_u32_e32 v1, v1
	v_min_u32_e32 v1, 32, v1
	s_delay_alu instid0(VALU_DEP_1) | instskip(NEXT) | instid1(VALU_DEP_1)
	v_subrev_nc_u32_e32 v7, 28, v1
	v_lshlrev_b64_e32 v[8:9], v7, v[26:27]
	s_delay_alu instid0(VALU_DEP_1)
	v_dual_sub_nc_u32 v7, 29, v1 :: v_dual_bitop2_b32 v1, 7, v8 bitop3:0x40
; %bb.2437:                             ;   in Loop: Header=BB287_2093 Depth=1
	s_or_b32 exec_lo, exec_lo, s25
	s_delay_alu instid0(VALU_DEP_1) | instskip(NEXT) | instid1(VALU_DEP_2)
	v_dual_lshlrev_b32 v0, 8, v0 :: v_dual_lshlrev_b32 v1, 23, v1
	v_lshl_add_u32 v7, v7, 10, 0x2000
	s_delay_alu instid0(VALU_DEP_1) | instskip(NEXT) | instid1(VALU_DEP_1)
	v_and_or_b32 v0, 0x8000, v0, v7
	v_lshl_or_b32 v1, v0, 16, v1
.LBB287_2438:                           ;   in Loop: Header=BB287_2093 Depth=1
	s_or_b32 exec_lo, exec_lo, s24
.LBB287_2439:                           ;   in Loop: Header=BB287_2093 Depth=1
	s_delay_alu instid0(SALU_CYCLE_1)
	s_or_b32 exec_lo, exec_lo, s23
.LBB287_2440:                           ;   in Loop: Header=BB287_2093 Depth=1
	s_delay_alu instid0(SALU_CYCLE_1) | instskip(SKIP_3) | instid1(VALU_DEP_2)
	s_or_b32 exec_lo, exec_lo, s22
	v_dual_mov_b32 v7, 0 :: v_dual_lshrrev_b32 v0, 16, v86
	v_mov_b32_e32 v8, 0
	s_mov_b32 s22, exec_lo
	v_and_b32_e32 v9, 0xff, v0
	s_delay_alu instid0(VALU_DEP_1)
	v_cmpx_ne_u16_e32 0, v9
	s_cbranch_execz .LBB287_2448
; %bb.2441:                             ;   in Loop: Header=BB287_2093 Depth=1
	v_mov_b32_e32 v8, 0x8000
	s_mov_b32 s23, exec_lo
	v_cmpx_ne_u16_e32 0x80, v9
	s_cbranch_execz .LBB287_2447
; %bb.2442:                             ;   in Loop: Header=BB287_2093 Depth=1
	v_bfe_u32 v12, v86, 16, 7
	v_mov_b32_e32 v8, 0x7c01
	s_mov_b32 s24, exec_lo
	s_delay_alu instid0(VALU_DEP_2)
	v_cmpx_ne_u32_e32 0x7f, v12
	s_cbranch_execz .LBB287_2446
; %bb.2443:                             ;   in Loop: Header=BB287_2093 Depth=1
	v_and_b32_e32 v8, 7, v0
	v_lshrrev_b32_e32 v9, 3, v12
	s_mov_b32 s25, exec_lo
	v_cmpx_gt_u32_e32 8, v12
; %bb.2444:                             ;   in Loop: Header=BB287_2093 Depth=1
	s_delay_alu instid0(VALU_DEP_3) | instskip(NEXT) | instid1(VALU_DEP_1)
	v_clz_i32_u32_e32 v8, v8
	v_min_u32_e32 v12, 32, v8
	s_delay_alu instid0(VALU_DEP_1) | instskip(NEXT) | instid1(VALU_DEP_1)
	v_subrev_nc_u32_e32 v8, 28, v12
	v_lshlrev_b64_e32 v[8:9], v8, v[0:1]
	v_sub_nc_u32_e32 v9, 29, v12
	s_delay_alu instid0(VALU_DEP_2)
	v_and_b32_e32 v8, 7, v8
; %bb.2445:                             ;   in Loop: Header=BB287_2093 Depth=1
	s_or_b32 exec_lo, exec_lo, s25
	v_lshlrev_b32_e32 v0, 8, v0
	s_delay_alu instid0(VALU_DEP_3) | instskip(NEXT) | instid1(VALU_DEP_3)
	v_lshl_add_u32 v9, v9, 10, 0x2000
	v_lshlrev_b32_e32 v8, 7, v8
	s_delay_alu instid0(VALU_DEP_3) | instskip(NEXT) | instid1(VALU_DEP_3)
	v_and_b32_e32 v0, 0x8000, v0
	v_and_b32_e32 v9, 0xfc00, v9
	s_delay_alu instid0(VALU_DEP_1)
	v_or3_b32 v8, v0, v9, v8
.LBB287_2446:                           ;   in Loop: Header=BB287_2093 Depth=1
	s_or_b32 exec_lo, exec_lo, s24
.LBB287_2447:                           ;   in Loop: Header=BB287_2093 Depth=1
	s_delay_alu instid0(SALU_CYCLE_1)
	s_or_b32 exec_lo, exec_lo, s23
.LBB287_2448:                           ;   in Loop: Header=BB287_2093 Depth=1
	s_delay_alu instid0(SALU_CYCLE_1) | instskip(NEXT) | instid1(SALU_CYCLE_1)
	s_or_b32 exec_lo, exec_lo, s22
	s_mov_b32 s22, exec_lo
	v_cmpx_lt_u32_e32 0xffffff, v86
	s_cbranch_execz .LBB287_2456
; %bb.2449:                             ;   in Loop: Header=BB287_2093 Depth=1
	v_lshrrev_b32_e32 v26, 24, v86
	v_bfrev_b32_e32 v7, 1
	s_mov_b32 s23, exec_lo
	s_delay_alu instid0(VALU_DEP_2)
	v_cmpx_ne_u32_e32 0x80, v26
	s_cbranch_execz .LBB287_2455
; %bb.2450:                             ;   in Loop: Header=BB287_2093 Depth=1
	v_and_b32_e32 v9, 0x7f, v26
	v_mov_b32_e32 v7, 0x7c010000
	s_mov_b32 s24, exec_lo
	s_delay_alu instid0(VALU_DEP_2)
	v_cmpx_ne_u32_e32 0x7f, v9
	s_cbranch_execz .LBB287_2454
; %bb.2451:                             ;   in Loop: Header=BB287_2093 Depth=1
	v_dual_lshrrev_b32 v7, 3, v9 :: v_dual_bitop2_b32 v0, 7, v26 bitop3:0x40
	s_mov_b32 s25, exec_lo
	v_cmpx_gt_u32_e32 8, v9
; %bb.2452:                             ;   in Loop: Header=BB287_2093 Depth=1
	s_delay_alu instid0(VALU_DEP_2) | instskip(NEXT) | instid1(VALU_DEP_1)
	v_clz_i32_u32_e32 v0, v0
	v_min_u32_e32 v0, 32, v0
	s_delay_alu instid0(VALU_DEP_1) | instskip(NEXT) | instid1(VALU_DEP_1)
	v_subrev_nc_u32_e32 v7, 28, v0
	v_lshlrev_b64_e32 v[14:15], v7, v[26:27]
	s_delay_alu instid0(VALU_DEP_1)
	v_dual_sub_nc_u32 v7, 29, v0 :: v_dual_bitop2_b32 v0, 7, v14 bitop3:0x40
; %bb.2453:                             ;   in Loop: Header=BB287_2093 Depth=1
	s_or_b32 exec_lo, exec_lo, s25
	s_delay_alu instid0(VALU_DEP_1) | instskip(NEXT) | instid1(VALU_DEP_2)
	v_dual_lshlrev_b32 v9, 8, v26 :: v_dual_lshlrev_b32 v0, 23, v0
	v_lshl_add_u32 v7, v7, 10, 0x2000
	s_delay_alu instid0(VALU_DEP_1) | instskip(NEXT) | instid1(VALU_DEP_1)
	v_and_or_b32 v7, 0x8000, v9, v7
	v_lshl_or_b32 v7, v7, 16, v0
.LBB287_2454:                           ;   in Loop: Header=BB287_2093 Depth=1
	s_or_b32 exec_lo, exec_lo, s24
.LBB287_2455:                           ;   in Loop: Header=BB287_2093 Depth=1
	s_delay_alu instid0(SALU_CYCLE_1)
	s_or_b32 exec_lo, exec_lo, s23
.LBB287_2456:                           ;   in Loop: Header=BB287_2093 Depth=1
	s_delay_alu instid0(SALU_CYCLE_1) | instskip(SKIP_4) | instid1(VALU_DEP_3)
	s_or_b32 exec_lo, exec_lo, s22
	v_and_b32_e32 v0, 0xff, v87
	v_dual_mov_b32 v26, v87 :: v_dual_mov_b32 v12, 0
	v_mov_b32_e32 v9, 0
	s_mov_b32 s22, exec_lo
	v_cmpx_ne_u16_e32 0, v0
	s_cbranch_execz .LBB287_2464
; %bb.2457:                             ;   in Loop: Header=BB287_2093 Depth=1
	v_mov_b32_e32 v9, 0x8000
	s_mov_b32 s23, exec_lo
	v_cmpx_ne_u16_e32 0x80, v0
	s_cbranch_execz .LBB287_2463
; %bb.2458:                             ;   in Loop: Header=BB287_2093 Depth=1
	v_and_b32_e32 v16, 0x7f, v87
	v_mov_b32_e32 v9, 0x7c01
	s_mov_b32 s24, exec_lo
	s_delay_alu instid0(VALU_DEP_2)
	v_cmpx_ne_u32_e32 0x7f, v16
	s_cbranch_execz .LBB287_2462
; %bb.2459:                             ;   in Loop: Header=BB287_2093 Depth=1
	v_dual_lshrrev_b32 v9, 3, v16 :: v_dual_bitop2_b32 v0, 7, v87 bitop3:0x40
	s_mov_b32 s25, exec_lo
	v_cmpx_gt_u32_e32 8, v16
; %bb.2460:                             ;   in Loop: Header=BB287_2093 Depth=1
	s_delay_alu instid0(VALU_DEP_2) | instskip(NEXT) | instid1(VALU_DEP_1)
	v_clz_i32_u32_e32 v0, v0
	v_min_u32_e32 v0, 32, v0
	s_delay_alu instid0(VALU_DEP_1) | instskip(NEXT) | instid1(VALU_DEP_1)
	v_subrev_nc_u32_e32 v9, 28, v0
	v_lshlrev_b64_e32 v[14:15], v9, v[26:27]
	s_delay_alu instid0(VALU_DEP_1)
	v_dual_sub_nc_u32 v9, 29, v0 :: v_dual_bitop2_b32 v0, 7, v14 bitop3:0x40
; %bb.2461:                             ;   in Loop: Header=BB287_2093 Depth=1
	s_or_b32 exec_lo, exec_lo, s25
	s_delay_alu instid0(VALU_DEP_1) | instskip(NEXT) | instid1(VALU_DEP_2)
	v_dual_lshlrev_b32 v14, 8, v87 :: v_dual_lshlrev_b32 v0, 7, v0
	v_lshl_add_u32 v9, v9, 10, 0x2000
	s_delay_alu instid0(VALU_DEP_2) | instskip(NEXT) | instid1(VALU_DEP_2)
	v_and_b32_e32 v14, 0x8000, v14
	v_and_b32_e32 v9, 0xfc00, v9
	s_delay_alu instid0(VALU_DEP_1)
	v_or3_b32 v9, v14, v9, v0
.LBB287_2462:                           ;   in Loop: Header=BB287_2093 Depth=1
	s_or_b32 exec_lo, exec_lo, s24
.LBB287_2463:                           ;   in Loop: Header=BB287_2093 Depth=1
	s_delay_alu instid0(SALU_CYCLE_1)
	s_or_b32 exec_lo, exec_lo, s23
.LBB287_2464:                           ;   in Loop: Header=BB287_2093 Depth=1
	s_delay_alu instid0(SALU_CYCLE_1) | instskip(SKIP_3) | instid1(VALU_DEP_2)
	s_or_b32 exec_lo, exec_lo, s22
	v_lshrrev_b16 v26, 8, v26
	v_mov_b32_e32 v16, 0
	s_mov_b32 s22, exec_lo
	v_cmpx_ne_u16_e32 0, v26
	s_cbranch_execz .LBB287_2472
; %bb.2465:                             ;   in Loop: Header=BB287_2093 Depth=1
	v_bfrev_b32_e32 v16, 1
	s_mov_b32 s23, exec_lo
	v_cmpx_ne_u16_e32 0x80, v26
	s_cbranch_execz .LBB287_2471
; %bb.2466:                             ;   in Loop: Header=BB287_2093 Depth=1
	v_and_b32_e32 v0, 0xffff, v26
	v_mov_b32_e32 v16, 0x7c010000
	s_mov_b32 s24, exec_lo
	s_delay_alu instid0(VALU_DEP_2) | instskip(NEXT) | instid1(VALU_DEP_1)
	v_and_b32_e32 v18, 0x7f, v0
	v_cmpx_ne_u32_e32 0x7f, v18
	s_cbranch_execz .LBB287_2470
; %bb.2467:                             ;   in Loop: Header=BB287_2093 Depth=1
	v_dual_lshrrev_b32 v17, 3, v18 :: v_dual_bitop2_b32 v16, 7, v0 bitop3:0x40
	s_mov_b32 s25, exec_lo
	v_cmpx_gt_u32_e32 8, v18
; %bb.2468:                             ;   in Loop: Header=BB287_2093 Depth=1
	s_delay_alu instid0(VALU_DEP_2) | instskip(NEXT) | instid1(VALU_DEP_1)
	v_clz_i32_u32_e32 v14, v16
	v_min_u32_e32 v16, 32, v14
	s_delay_alu instid0(VALU_DEP_1) | instskip(NEXT) | instid1(VALU_DEP_1)
	v_subrev_nc_u32_e32 v14, 28, v16
	v_lshlrev_b64_e32 v[14:15], v14, v[26:27]
	s_delay_alu instid0(VALU_DEP_1)
	v_dual_sub_nc_u32 v17, 29, v16 :: v_dual_bitop2_b32 v16, 7, v14 bitop3:0x40
; %bb.2469:                             ;   in Loop: Header=BB287_2093 Depth=1
	s_or_b32 exec_lo, exec_lo, s25
	v_lshlrev_b32_e32 v0, 8, v0
	s_delay_alu instid0(VALU_DEP_2) | instskip(NEXT) | instid1(VALU_DEP_1)
	v_lshl_add_u32 v14, v17, 10, 0x2000
	v_and_or_b32 v0, 0x8000, v0, v14
	v_lshlrev_b32_e32 v14, 23, v16
	s_delay_alu instid0(VALU_DEP_1)
	v_lshl_or_b32 v16, v0, 16, v14
.LBB287_2470:                           ;   in Loop: Header=BB287_2093 Depth=1
	s_or_b32 exec_lo, exec_lo, s24
.LBB287_2471:                           ;   in Loop: Header=BB287_2093 Depth=1
	s_delay_alu instid0(SALU_CYCLE_1)
	s_or_b32 exec_lo, exec_lo, s23
.LBB287_2472:                           ;   in Loop: Header=BB287_2093 Depth=1
	s_delay_alu instid0(SALU_CYCLE_1) | instskip(SKIP_2) | instid1(VALU_DEP_1)
	s_or_b32 exec_lo, exec_lo, s22
	v_lshrrev_b32_e32 v0, 16, v87
	s_mov_b32 s22, exec_lo
	v_and_b32_e32 v17, 0xff, v0
	s_delay_alu instid0(VALU_DEP_1)
	v_cmpx_ne_u16_e32 0, v17
	s_cbranch_execz .LBB287_2480
; %bb.2473:                             ;   in Loop: Header=BB287_2093 Depth=1
	v_mov_b32_e32 v12, 0x8000
	s_mov_b32 s23, exec_lo
	v_cmpx_ne_u16_e32 0x80, v17
	s_cbranch_execz .LBB287_2479
; %bb.2474:                             ;   in Loop: Header=BB287_2093 Depth=1
	v_bfe_u32 v18, v87, 16, 7
	v_mov_b32_e32 v12, 0x7c01
	s_mov_b32 s24, exec_lo
	s_delay_alu instid0(VALU_DEP_2)
	v_cmpx_ne_u32_e32 0x7f, v18
	s_cbranch_execz .LBB287_2478
; %bb.2475:                             ;   in Loop: Header=BB287_2093 Depth=1
	v_dual_lshrrev_b32 v17, 3, v18 :: v_dual_bitop2_b32 v12, 7, v0 bitop3:0x40
	s_mov_b32 s25, exec_lo
	v_cmpx_gt_u32_e32 8, v18
; %bb.2476:                             ;   in Loop: Header=BB287_2093 Depth=1
	s_delay_alu instid0(VALU_DEP_2) | instskip(NEXT) | instid1(VALU_DEP_1)
	v_clz_i32_u32_e32 v12, v12
	v_min_u32_e32 v12, 32, v12
	s_delay_alu instid0(VALU_DEP_1) | instskip(NEXT) | instid1(VALU_DEP_1)
	v_subrev_nc_u32_e32 v14, 28, v12
	v_lshlrev_b64_e32 v[14:15], v14, v[0:1]
	s_delay_alu instid0(VALU_DEP_1)
	v_dual_sub_nc_u32 v17, 29, v12 :: v_dual_bitop2_b32 v12, 7, v14 bitop3:0x40
; %bb.2477:                             ;   in Loop: Header=BB287_2093 Depth=1
	s_or_b32 exec_lo, exec_lo, s25
	v_lshlrev_b32_e32 v0, 8, v0
	s_delay_alu instid0(VALU_DEP_2) | instskip(NEXT) | instid1(VALU_DEP_3)
	v_lshl_add_u32 v14, v17, 10, 0x2000
	v_lshlrev_b32_e32 v12, 7, v12
	s_delay_alu instid0(VALU_DEP_3) | instskip(NEXT) | instid1(VALU_DEP_3)
	v_and_b32_e32 v0, 0x8000, v0
	v_and_b32_e32 v14, 0xfc00, v14
	s_delay_alu instid0(VALU_DEP_1)
	v_or3_b32 v12, v0, v14, v12
.LBB287_2478:                           ;   in Loop: Header=BB287_2093 Depth=1
	s_or_b32 exec_lo, exec_lo, s24
.LBB287_2479:                           ;   in Loop: Header=BB287_2093 Depth=1
	s_delay_alu instid0(SALU_CYCLE_1)
	s_or_b32 exec_lo, exec_lo, s23
.LBB287_2480:                           ;   in Loop: Header=BB287_2093 Depth=1
	s_delay_alu instid0(SALU_CYCLE_1)
	s_or_b32 exec_lo, exec_lo, s22
	v_mov_b32_e32 v0, 0
	s_mov_b32 s22, exec_lo
	v_cmpx_lt_u64_e64 s[14:15], v[86:87]
	s_cbranch_execz .LBB287_2488
; %bb.2481:                             ;   in Loop: Header=BB287_2093 Depth=1
	v_lshrrev_b32_e32 v26, 24, v87
	v_bfrev_b32_e32 v0, 1
	s_mov_b32 s23, exec_lo
	s_delay_alu instid0(VALU_DEP_2)
	v_cmpx_ne_u32_e32 0x80, v26
	s_cbranch_execz .LBB287_2487
; %bb.2482:                             ;   in Loop: Header=BB287_2093 Depth=1
	v_and_b32_e32 v18, 0x7f, v26
	v_mov_b32_e32 v0, 0x7c010000
	s_mov_b32 s24, exec_lo
	s_delay_alu instid0(VALU_DEP_2)
	v_cmpx_ne_u32_e32 0x7f, v18
	s_cbranch_execz .LBB287_2486
; %bb.2483:                             ;   in Loop: Header=BB287_2093 Depth=1
	v_and_b32_e32 v0, 7, v26
	v_lshrrev_b32_e32 v17, 3, v18
	s_mov_b32 s25, exec_lo
	v_cmpx_gt_u32_e32 8, v18
; %bb.2484:                             ;   in Loop: Header=BB287_2093 Depth=1
	s_delay_alu instid0(VALU_DEP_3) | instskip(NEXT) | instid1(VALU_DEP_1)
	v_clz_i32_u32_e32 v0, v0
	v_min_u32_e32 v0, 32, v0
	s_delay_alu instid0(VALU_DEP_1) | instskip(NEXT) | instid1(VALU_DEP_1)
	v_subrev_nc_u32_e32 v14, 28, v0
	v_lshlrev_b64_e32 v[14:15], v14, v[26:27]
	s_delay_alu instid0(VALU_DEP_1)
	v_dual_sub_nc_u32 v17, 29, v0 :: v_dual_bitop2_b32 v0, 7, v14 bitop3:0x40
; %bb.2485:                             ;   in Loop: Header=BB287_2093 Depth=1
	s_or_b32 exec_lo, exec_lo, s25
	s_delay_alu instid0(VALU_DEP_1) | instskip(NEXT) | instid1(VALU_DEP_2)
	v_dual_lshlrev_b32 v14, 8, v26 :: v_dual_lshlrev_b32 v0, 23, v0
	v_lshl_add_u32 v15, v17, 10, 0x2000
	s_delay_alu instid0(VALU_DEP_1) | instskip(NEXT) | instid1(VALU_DEP_1)
	v_and_or_b32 v14, 0x8000, v14, v15
	v_lshl_or_b32 v0, v14, 16, v0
.LBB287_2486:                           ;   in Loop: Header=BB287_2093 Depth=1
	s_or_b32 exec_lo, exec_lo, s24
.LBB287_2487:                           ;   in Loop: Header=BB287_2093 Depth=1
	s_delay_alu instid0(SALU_CYCLE_1)
	s_or_b32 exec_lo, exec_lo, s23
.LBB287_2488:                           ;   in Loop: Header=BB287_2093 Depth=1
	s_delay_alu instid0(SALU_CYCLE_1) | instskip(SKIP_4) | instid1(VALU_DEP_4)
	s_or_b32 exec_lo, exec_lo, s22
	v_dual_lshrrev_b32 v14, 16, v1 :: v_dual_lshrrev_b32 v15, 16, v7
	v_or_b32_e32 v1, v1, v6
	v_or_b32_e32 v8, v7, v8
	;; [unrolled: 1-line block ×3, first 2 shown]
	v_cvt_f32_f16_e32 v7, v14
	v_cvt_f32_f16_e32 v6, v15
	v_lshrrev_b32_e32 v14, 16, v16
	v_dual_lshrrev_b32 v15, 16, v0 :: v_dual_bitop2_b32 v16, v16, v9 bitop3:0x54
	v_cvt_f32_f16_e32 v0, v8
	s_wait_loadcnt_dscnt 0x0
	v_pk_mul_f32 v[6:7], v[84:85], v[6:7] op_sel_hi:[0,1]
	v_cvt_f32_f16_e32 v1, v1
	v_cvt_f32_f16_e32 v9, v14
	;; [unrolled: 1-line block ×5, first 2 shown]
	v_pk_mul_f32 v[0:1], v[84:85], v[0:1] op_sel_hi:[0,1]
	v_cvt_pk_f16_f32 v12, v6, v7
	v_pk_mul_f32 v[6:7], v[84:85], v[8:9] op_sel_hi:[0,1]
	s_delay_alu instid0(VALU_DEP_4) | instskip(NEXT) | instid1(VALU_DEP_4)
	v_pk_mul_f32 v[14:15], v[84:85], v[14:15] op_sel_hi:[0,1]
	v_cvt_pk_f16_f32 v0, v0, v1
	s_delay_alu instid0(VALU_DEP_4) | instskip(NEXT) | instid1(VALU_DEP_4)
	v_and_b32_e32 v9, 0xffff0000, v12
	v_cvt_pk_f16_f32 v6, v6, v7
	s_delay_alu instid0(VALU_DEP_4) | instskip(NEXT) | instid1(VALU_DEP_4)
	v_cvt_pk_f16_f32 v7, v14, v15
	v_and_b32_e32 v98, 0xffff, v0
	v_lshrrev_b32_e32 v97, 16, v0
	v_lshlrev_b32_e32 v86, 16, v12
	v_and_b32_e32 v1, 0xffff0000, v6
	v_dual_lshlrev_b32 v0, 16, v6 :: v_dual_lshrrev_b32 v87, 16, v7
	v_and_b32_e32 v96, 0xffff, v7
	v_or_b32_e32 v85, v9, v97
	v_or_b32_e32 v84, v86, v98
	s_delay_alu instid0(VALU_DEP_4) | instskip(NEXT) | instid1(VALU_DEP_4)
	v_or_b32_e32 v19, v1, v87
	v_or_b32_e32 v26, v0, v96
	s_and_saveexec_b32 s8, s0
	s_cbranch_execz .LBB287_2490
; %bb.2489:                             ;   in Loop: Header=BB287_2093 Depth=1
	v_dual_cndmask_b32 v6, 0, v97, vcc_lo :: v_dual_cndmask_b32 v7, 0, v98, s1
	v_dual_cndmask_b32 v8, 0, v9, s2 :: v_dual_cndmask_b32 v9, 0, v86, s3
	v_dual_cndmask_b32 v12, 0, v87, s4 :: v_dual_cndmask_b32 v14, 0, v96, s5
	;; [unrolled: 1-line block ×3, first 2 shown]
	s_delay_alu instid0(VALU_DEP_3) | instskip(NEXT) | instid1(VALU_DEP_4)
	v_or_b32_e32 v85, v6, v8
	v_or_b32_e32 v84, v7, v9
	s_delay_alu instid0(VALU_DEP_3) | instskip(NEXT) | instid1(VALU_DEP_4)
	v_or_b32_e32 v19, v12, v1
	v_or_b32_e32 v26, v14, v0
.LBB287_2490:                           ;   in Loop: Header=BB287_2093 Depth=1
	s_or_b32 exec_lo, exec_lo, s8
	;;#ASMSTART
	v_pk_mul_f16 v0, v119, v85;

	;;#ASMEND
	;;#ASMSTART
	v_pk_mul_f16 v1, v117, v84;

	;;#ASMEND
	;; [unrolled: 4-line block ×4, first 2 shown]
	;;#ASMSTART
	v_pk_add_f16 v0, v0, v1;

	;;#ASMEND
	;;#ASMSTART
	v_pk_add_f16 v0, v0, v6;

	;;#ASMEND
	;; [unrolled: 4-line block ×3, first 2 shown]
	v_and_b32_e32 v1, 0xffff, v0
	v_lshrrev_b32_e32 v0, 16, v0
	;;#ASMSTART
	v_cvt_f32_f16 v57, v1;
	;;#ASMEND
	v_mov_b32_e32 v1, 0
	;;#ASMSTART
	v_cvt_f32_f16 v58, v0;
	;;#ASMEND
	flat_load_b64 v[86:87], v[82:83] offset:1536
	flat_load_b32 v84, v[22:23]
	v_mov_b32_e32 v6, 0
	s_mov_b32 s22, exec_lo
	s_wait_loadcnt_dscnt 0x101
	v_and_b32_e32 v0, 0xff, v86
	s_wait_xcnt 0x0
	s_delay_alu instid0(VALU_DEP_1)
	v_cmpx_ne_u16_e32 0, v0
	s_cbranch_execz .LBB287_2498
; %bb.2491:                             ;   in Loop: Header=BB287_2093 Depth=1
	v_mov_b32_e32 v6, 0x8000
	s_mov_b32 s23, exec_lo
	v_cmpx_ne_u16_e32 0x80, v0
	s_cbranch_execz .LBB287_2497
; %bb.2492:                             ;   in Loop: Header=BB287_2093 Depth=1
	v_and_b32_e32 v7, 0x7f, v86
	v_mov_b32_e32 v6, 0x7c01
	s_mov_b32 s24, exec_lo
	s_delay_alu instid0(VALU_DEP_2)
	v_cmpx_ne_u32_e32 0x7f, v7
	s_cbranch_execz .LBB287_2496
; %bb.2493:                             ;   in Loop: Header=BB287_2093 Depth=1
	v_dual_lshrrev_b32 v6, 3, v7 :: v_dual_bitop2_b32 v0, 7, v86 bitop3:0x40
	s_mov_b32 s25, exec_lo
	v_cmpx_gt_u32_e32 8, v7
; %bb.2494:                             ;   in Loop: Header=BB287_2093 Depth=1
	s_delay_alu instid0(VALU_DEP_2) | instskip(NEXT) | instid1(VALU_DEP_1)
	v_clz_i32_u32_e32 v0, v0
	v_min_u32_e32 v0, 32, v0
	s_delay_alu instid0(VALU_DEP_1) | instskip(NEXT) | instid1(VALU_DEP_1)
	v_subrev_nc_u32_e32 v6, 28, v0
	v_lshlrev_b64_e32 v[8:9], v6, v[86:87]
	v_sub_nc_u32_e32 v6, 29, v0
	s_delay_alu instid0(VALU_DEP_2)
	v_and_b32_e32 v0, 7, v8
; %bb.2495:                             ;   in Loop: Header=BB287_2093 Depth=1
	s_or_b32 exec_lo, exec_lo, s25
	s_delay_alu instid0(VALU_DEP_1) | instskip(NEXT) | instid1(VALU_DEP_3)
	v_dual_lshlrev_b32 v7, 8, v86 :: v_dual_lshlrev_b32 v0, 7, v0
	v_lshl_add_u32 v6, v6, 10, 0x2000
	s_delay_alu instid0(VALU_DEP_2) | instskip(NEXT) | instid1(VALU_DEP_2)
	v_and_b32_e32 v7, 0x8000, v7
	v_and_b32_e32 v6, 0xfc00, v6
	s_delay_alu instid0(VALU_DEP_1)
	v_or3_b32 v6, v7, v6, v0
.LBB287_2496:                           ;   in Loop: Header=BB287_2093 Depth=1
	s_or_b32 exec_lo, exec_lo, s24
.LBB287_2497:                           ;   in Loop: Header=BB287_2093 Depth=1
	s_delay_alu instid0(SALU_CYCLE_1)
	s_or_b32 exec_lo, exec_lo, s23
.LBB287_2498:                           ;   in Loop: Header=BB287_2093 Depth=1
	s_delay_alu instid0(SALU_CYCLE_1) | instskip(SKIP_2) | instid1(VALU_DEP_1)
	s_or_b32 exec_lo, exec_lo, s22
	v_lshrrev_b16 v26, 8, v86
	s_mov_b32 s22, exec_lo
	v_cmpx_ne_u16_e32 0, v26
	s_cbranch_execz .LBB287_2506
; %bb.2499:                             ;   in Loop: Header=BB287_2093 Depth=1
	v_bfrev_b32_e32 v1, 1
	s_mov_b32 s23, exec_lo
	v_cmpx_ne_u16_e32 0x80, v26
	s_cbranch_execz .LBB287_2505
; %bb.2500:                             ;   in Loop: Header=BB287_2093 Depth=1
	v_and_b32_e32 v0, 0xffff, v26
	v_mov_b32_e32 v1, 0x7c010000
	s_mov_b32 s24, exec_lo
	s_delay_alu instid0(VALU_DEP_2) | instskip(NEXT) | instid1(VALU_DEP_1)
	v_and_b32_e32 v8, 0x7f, v0
	v_cmpx_ne_u32_e32 0x7f, v8
	s_cbranch_execz .LBB287_2504
; %bb.2501:                             ;   in Loop: Header=BB287_2093 Depth=1
	v_and_b32_e32 v1, 7, v0
	v_lshrrev_b32_e32 v7, 3, v8
	s_mov_b32 s25, exec_lo
	v_cmpx_gt_u32_e32 8, v8
; %bb.2502:                             ;   in Loop: Header=BB287_2093 Depth=1
	s_delay_alu instid0(VALU_DEP_3) | instskip(NEXT) | instid1(VALU_DEP_1)
	v_clz_i32_u32_e32 v1, v1
	v_min_u32_e32 v1, 32, v1
	s_delay_alu instid0(VALU_DEP_1) | instskip(NEXT) | instid1(VALU_DEP_1)
	v_subrev_nc_u32_e32 v7, 28, v1
	v_lshlrev_b64_e32 v[8:9], v7, v[26:27]
	s_delay_alu instid0(VALU_DEP_1)
	v_dual_sub_nc_u32 v7, 29, v1 :: v_dual_bitop2_b32 v1, 7, v8 bitop3:0x40
; %bb.2503:                             ;   in Loop: Header=BB287_2093 Depth=1
	s_or_b32 exec_lo, exec_lo, s25
	s_delay_alu instid0(VALU_DEP_1) | instskip(NEXT) | instid1(VALU_DEP_2)
	v_dual_lshlrev_b32 v0, 8, v0 :: v_dual_lshlrev_b32 v1, 23, v1
	v_lshl_add_u32 v7, v7, 10, 0x2000
	s_delay_alu instid0(VALU_DEP_1) | instskip(NEXT) | instid1(VALU_DEP_1)
	v_and_or_b32 v0, 0x8000, v0, v7
	v_lshl_or_b32 v1, v0, 16, v1
.LBB287_2504:                           ;   in Loop: Header=BB287_2093 Depth=1
	s_or_b32 exec_lo, exec_lo, s24
.LBB287_2505:                           ;   in Loop: Header=BB287_2093 Depth=1
	s_delay_alu instid0(SALU_CYCLE_1)
	s_or_b32 exec_lo, exec_lo, s23
.LBB287_2506:                           ;   in Loop: Header=BB287_2093 Depth=1
	s_delay_alu instid0(SALU_CYCLE_1) | instskip(SKIP_3) | instid1(VALU_DEP_2)
	s_or_b32 exec_lo, exec_lo, s22
	v_dual_mov_b32 v7, 0 :: v_dual_lshrrev_b32 v0, 16, v86
	v_mov_b32_e32 v8, 0
	s_mov_b32 s22, exec_lo
	v_and_b32_e32 v9, 0xff, v0
	s_delay_alu instid0(VALU_DEP_1)
	v_cmpx_ne_u16_e32 0, v9
	s_cbranch_execz .LBB287_2514
; %bb.2507:                             ;   in Loop: Header=BB287_2093 Depth=1
	v_mov_b32_e32 v8, 0x8000
	s_mov_b32 s23, exec_lo
	v_cmpx_ne_u16_e32 0x80, v9
	s_cbranch_execz .LBB287_2513
; %bb.2508:                             ;   in Loop: Header=BB287_2093 Depth=1
	v_bfe_u32 v12, v86, 16, 7
	v_mov_b32_e32 v8, 0x7c01
	s_mov_b32 s24, exec_lo
	s_delay_alu instid0(VALU_DEP_2)
	v_cmpx_ne_u32_e32 0x7f, v12
	s_cbranch_execz .LBB287_2512
; %bb.2509:                             ;   in Loop: Header=BB287_2093 Depth=1
	v_and_b32_e32 v8, 7, v0
	v_lshrrev_b32_e32 v9, 3, v12
	s_mov_b32 s25, exec_lo
	v_cmpx_gt_u32_e32 8, v12
; %bb.2510:                             ;   in Loop: Header=BB287_2093 Depth=1
	s_delay_alu instid0(VALU_DEP_3) | instskip(NEXT) | instid1(VALU_DEP_1)
	v_clz_i32_u32_e32 v8, v8
	v_min_u32_e32 v12, 32, v8
	s_delay_alu instid0(VALU_DEP_1) | instskip(NEXT) | instid1(VALU_DEP_1)
	v_subrev_nc_u32_e32 v8, 28, v12
	v_lshlrev_b64_e32 v[8:9], v8, v[0:1]
	v_sub_nc_u32_e32 v9, 29, v12
	s_delay_alu instid0(VALU_DEP_2)
	v_and_b32_e32 v8, 7, v8
; %bb.2511:                             ;   in Loop: Header=BB287_2093 Depth=1
	s_or_b32 exec_lo, exec_lo, s25
	v_lshlrev_b32_e32 v0, 8, v0
	s_delay_alu instid0(VALU_DEP_3) | instskip(NEXT) | instid1(VALU_DEP_3)
	v_lshl_add_u32 v9, v9, 10, 0x2000
	v_lshlrev_b32_e32 v8, 7, v8
	s_delay_alu instid0(VALU_DEP_3) | instskip(NEXT) | instid1(VALU_DEP_3)
	v_and_b32_e32 v0, 0x8000, v0
	v_and_b32_e32 v9, 0xfc00, v9
	s_delay_alu instid0(VALU_DEP_1)
	v_or3_b32 v8, v0, v9, v8
.LBB287_2512:                           ;   in Loop: Header=BB287_2093 Depth=1
	s_or_b32 exec_lo, exec_lo, s24
.LBB287_2513:                           ;   in Loop: Header=BB287_2093 Depth=1
	s_delay_alu instid0(SALU_CYCLE_1)
	s_or_b32 exec_lo, exec_lo, s23
.LBB287_2514:                           ;   in Loop: Header=BB287_2093 Depth=1
	s_delay_alu instid0(SALU_CYCLE_1) | instskip(NEXT) | instid1(SALU_CYCLE_1)
	s_or_b32 exec_lo, exec_lo, s22
	s_mov_b32 s22, exec_lo
	v_cmpx_lt_u32_e32 0xffffff, v86
	s_cbranch_execz .LBB287_2522
; %bb.2515:                             ;   in Loop: Header=BB287_2093 Depth=1
	v_lshrrev_b32_e32 v26, 24, v86
	v_bfrev_b32_e32 v7, 1
	s_mov_b32 s23, exec_lo
	s_delay_alu instid0(VALU_DEP_2)
	v_cmpx_ne_u32_e32 0x80, v26
	s_cbranch_execz .LBB287_2521
; %bb.2516:                             ;   in Loop: Header=BB287_2093 Depth=1
	v_and_b32_e32 v9, 0x7f, v26
	v_mov_b32_e32 v7, 0x7c010000
	s_mov_b32 s24, exec_lo
	s_delay_alu instid0(VALU_DEP_2)
	v_cmpx_ne_u32_e32 0x7f, v9
	s_cbranch_execz .LBB287_2520
; %bb.2517:                             ;   in Loop: Header=BB287_2093 Depth=1
	v_dual_lshrrev_b32 v7, 3, v9 :: v_dual_bitop2_b32 v0, 7, v26 bitop3:0x40
	s_mov_b32 s25, exec_lo
	v_cmpx_gt_u32_e32 8, v9
; %bb.2518:                             ;   in Loop: Header=BB287_2093 Depth=1
	s_delay_alu instid0(VALU_DEP_2) | instskip(NEXT) | instid1(VALU_DEP_1)
	v_clz_i32_u32_e32 v0, v0
	v_min_u32_e32 v0, 32, v0
	s_delay_alu instid0(VALU_DEP_1) | instskip(NEXT) | instid1(VALU_DEP_1)
	v_subrev_nc_u32_e32 v7, 28, v0
	v_lshlrev_b64_e32 v[14:15], v7, v[26:27]
	s_delay_alu instid0(VALU_DEP_1)
	v_dual_sub_nc_u32 v7, 29, v0 :: v_dual_bitop2_b32 v0, 7, v14 bitop3:0x40
; %bb.2519:                             ;   in Loop: Header=BB287_2093 Depth=1
	s_or_b32 exec_lo, exec_lo, s25
	s_delay_alu instid0(VALU_DEP_1) | instskip(NEXT) | instid1(VALU_DEP_2)
	v_dual_lshlrev_b32 v9, 8, v26 :: v_dual_lshlrev_b32 v0, 23, v0
	v_lshl_add_u32 v7, v7, 10, 0x2000
	s_delay_alu instid0(VALU_DEP_1) | instskip(NEXT) | instid1(VALU_DEP_1)
	v_and_or_b32 v7, 0x8000, v9, v7
	v_lshl_or_b32 v7, v7, 16, v0
.LBB287_2520:                           ;   in Loop: Header=BB287_2093 Depth=1
	s_or_b32 exec_lo, exec_lo, s24
.LBB287_2521:                           ;   in Loop: Header=BB287_2093 Depth=1
	s_delay_alu instid0(SALU_CYCLE_1)
	s_or_b32 exec_lo, exec_lo, s23
.LBB287_2522:                           ;   in Loop: Header=BB287_2093 Depth=1
	s_delay_alu instid0(SALU_CYCLE_1) | instskip(SKIP_4) | instid1(VALU_DEP_3)
	s_or_b32 exec_lo, exec_lo, s22
	v_and_b32_e32 v0, 0xff, v87
	v_dual_mov_b32 v26, v87 :: v_dual_mov_b32 v12, 0
	v_mov_b32_e32 v9, 0
	s_mov_b32 s22, exec_lo
	v_cmpx_ne_u16_e32 0, v0
	s_cbranch_execz .LBB287_2530
; %bb.2523:                             ;   in Loop: Header=BB287_2093 Depth=1
	v_mov_b32_e32 v9, 0x8000
	s_mov_b32 s23, exec_lo
	v_cmpx_ne_u16_e32 0x80, v0
	s_cbranch_execz .LBB287_2529
; %bb.2524:                             ;   in Loop: Header=BB287_2093 Depth=1
	v_and_b32_e32 v16, 0x7f, v87
	v_mov_b32_e32 v9, 0x7c01
	s_mov_b32 s24, exec_lo
	s_delay_alu instid0(VALU_DEP_2)
	v_cmpx_ne_u32_e32 0x7f, v16
	s_cbranch_execz .LBB287_2528
; %bb.2525:                             ;   in Loop: Header=BB287_2093 Depth=1
	v_dual_lshrrev_b32 v9, 3, v16 :: v_dual_bitop2_b32 v0, 7, v87 bitop3:0x40
	s_mov_b32 s25, exec_lo
	v_cmpx_gt_u32_e32 8, v16
; %bb.2526:                             ;   in Loop: Header=BB287_2093 Depth=1
	s_delay_alu instid0(VALU_DEP_2) | instskip(NEXT) | instid1(VALU_DEP_1)
	v_clz_i32_u32_e32 v0, v0
	v_min_u32_e32 v0, 32, v0
	s_delay_alu instid0(VALU_DEP_1) | instskip(NEXT) | instid1(VALU_DEP_1)
	v_subrev_nc_u32_e32 v9, 28, v0
	v_lshlrev_b64_e32 v[14:15], v9, v[26:27]
	s_delay_alu instid0(VALU_DEP_1)
	v_dual_sub_nc_u32 v9, 29, v0 :: v_dual_bitop2_b32 v0, 7, v14 bitop3:0x40
; %bb.2527:                             ;   in Loop: Header=BB287_2093 Depth=1
	s_or_b32 exec_lo, exec_lo, s25
	s_delay_alu instid0(VALU_DEP_1) | instskip(NEXT) | instid1(VALU_DEP_2)
	v_dual_lshlrev_b32 v14, 8, v87 :: v_dual_lshlrev_b32 v0, 7, v0
	v_lshl_add_u32 v9, v9, 10, 0x2000
	s_delay_alu instid0(VALU_DEP_2) | instskip(NEXT) | instid1(VALU_DEP_2)
	v_and_b32_e32 v14, 0x8000, v14
	v_and_b32_e32 v9, 0xfc00, v9
	s_delay_alu instid0(VALU_DEP_1)
	v_or3_b32 v9, v14, v9, v0
.LBB287_2528:                           ;   in Loop: Header=BB287_2093 Depth=1
	s_or_b32 exec_lo, exec_lo, s24
.LBB287_2529:                           ;   in Loop: Header=BB287_2093 Depth=1
	s_delay_alu instid0(SALU_CYCLE_1)
	s_or_b32 exec_lo, exec_lo, s23
.LBB287_2530:                           ;   in Loop: Header=BB287_2093 Depth=1
	s_delay_alu instid0(SALU_CYCLE_1) | instskip(SKIP_3) | instid1(VALU_DEP_2)
	s_or_b32 exec_lo, exec_lo, s22
	v_lshrrev_b16 v26, 8, v26
	v_mov_b32_e32 v16, 0
	s_mov_b32 s22, exec_lo
	v_cmpx_ne_u16_e32 0, v26
	s_cbranch_execz .LBB287_2538
; %bb.2531:                             ;   in Loop: Header=BB287_2093 Depth=1
	v_bfrev_b32_e32 v16, 1
	s_mov_b32 s23, exec_lo
	v_cmpx_ne_u16_e32 0x80, v26
	s_cbranch_execz .LBB287_2537
; %bb.2532:                             ;   in Loop: Header=BB287_2093 Depth=1
	v_and_b32_e32 v0, 0xffff, v26
	v_mov_b32_e32 v16, 0x7c010000
	s_mov_b32 s24, exec_lo
	s_delay_alu instid0(VALU_DEP_2) | instskip(NEXT) | instid1(VALU_DEP_1)
	v_and_b32_e32 v18, 0x7f, v0
	v_cmpx_ne_u32_e32 0x7f, v18
	s_cbranch_execz .LBB287_2536
; %bb.2533:                             ;   in Loop: Header=BB287_2093 Depth=1
	v_dual_lshrrev_b32 v17, 3, v18 :: v_dual_bitop2_b32 v16, 7, v0 bitop3:0x40
	s_mov_b32 s25, exec_lo
	v_cmpx_gt_u32_e32 8, v18
; %bb.2534:                             ;   in Loop: Header=BB287_2093 Depth=1
	s_delay_alu instid0(VALU_DEP_2) | instskip(NEXT) | instid1(VALU_DEP_1)
	v_clz_i32_u32_e32 v14, v16
	v_min_u32_e32 v16, 32, v14
	s_delay_alu instid0(VALU_DEP_1) | instskip(NEXT) | instid1(VALU_DEP_1)
	v_subrev_nc_u32_e32 v14, 28, v16
	v_lshlrev_b64_e32 v[14:15], v14, v[26:27]
	s_delay_alu instid0(VALU_DEP_1)
	v_dual_sub_nc_u32 v17, 29, v16 :: v_dual_bitop2_b32 v16, 7, v14 bitop3:0x40
; %bb.2535:                             ;   in Loop: Header=BB287_2093 Depth=1
	s_or_b32 exec_lo, exec_lo, s25
	v_lshlrev_b32_e32 v0, 8, v0
	s_delay_alu instid0(VALU_DEP_2) | instskip(NEXT) | instid1(VALU_DEP_1)
	v_lshl_add_u32 v14, v17, 10, 0x2000
	v_and_or_b32 v0, 0x8000, v0, v14
	v_lshlrev_b32_e32 v14, 23, v16
	s_delay_alu instid0(VALU_DEP_1)
	v_lshl_or_b32 v16, v0, 16, v14
.LBB287_2536:                           ;   in Loop: Header=BB287_2093 Depth=1
	s_or_b32 exec_lo, exec_lo, s24
.LBB287_2537:                           ;   in Loop: Header=BB287_2093 Depth=1
	s_delay_alu instid0(SALU_CYCLE_1)
	s_or_b32 exec_lo, exec_lo, s23
.LBB287_2538:                           ;   in Loop: Header=BB287_2093 Depth=1
	s_delay_alu instid0(SALU_CYCLE_1) | instskip(SKIP_2) | instid1(VALU_DEP_1)
	s_or_b32 exec_lo, exec_lo, s22
	v_lshrrev_b32_e32 v0, 16, v87
	s_mov_b32 s22, exec_lo
	v_and_b32_e32 v17, 0xff, v0
	s_delay_alu instid0(VALU_DEP_1)
	v_cmpx_ne_u16_e32 0, v17
	s_cbranch_execz .LBB287_2546
; %bb.2539:                             ;   in Loop: Header=BB287_2093 Depth=1
	v_mov_b32_e32 v12, 0x8000
	s_mov_b32 s23, exec_lo
	v_cmpx_ne_u16_e32 0x80, v17
	s_cbranch_execz .LBB287_2545
; %bb.2540:                             ;   in Loop: Header=BB287_2093 Depth=1
	v_bfe_u32 v18, v87, 16, 7
	v_mov_b32_e32 v12, 0x7c01
	s_mov_b32 s24, exec_lo
	s_delay_alu instid0(VALU_DEP_2)
	v_cmpx_ne_u32_e32 0x7f, v18
	s_cbranch_execz .LBB287_2544
; %bb.2541:                             ;   in Loop: Header=BB287_2093 Depth=1
	v_dual_lshrrev_b32 v17, 3, v18 :: v_dual_bitop2_b32 v12, 7, v0 bitop3:0x40
	s_mov_b32 s25, exec_lo
	v_cmpx_gt_u32_e32 8, v18
; %bb.2542:                             ;   in Loop: Header=BB287_2093 Depth=1
	s_delay_alu instid0(VALU_DEP_2) | instskip(NEXT) | instid1(VALU_DEP_1)
	v_clz_i32_u32_e32 v12, v12
	v_min_u32_e32 v12, 32, v12
	s_delay_alu instid0(VALU_DEP_1) | instskip(NEXT) | instid1(VALU_DEP_1)
	v_subrev_nc_u32_e32 v14, 28, v12
	v_lshlrev_b64_e32 v[14:15], v14, v[0:1]
	s_delay_alu instid0(VALU_DEP_1)
	v_dual_sub_nc_u32 v17, 29, v12 :: v_dual_bitop2_b32 v12, 7, v14 bitop3:0x40
; %bb.2543:                             ;   in Loop: Header=BB287_2093 Depth=1
	s_or_b32 exec_lo, exec_lo, s25
	v_lshlrev_b32_e32 v0, 8, v0
	s_delay_alu instid0(VALU_DEP_2) | instskip(NEXT) | instid1(VALU_DEP_3)
	v_lshl_add_u32 v14, v17, 10, 0x2000
	v_lshlrev_b32_e32 v12, 7, v12
	s_delay_alu instid0(VALU_DEP_3) | instskip(NEXT) | instid1(VALU_DEP_3)
	v_and_b32_e32 v0, 0x8000, v0
	v_and_b32_e32 v14, 0xfc00, v14
	s_delay_alu instid0(VALU_DEP_1)
	v_or3_b32 v12, v0, v14, v12
.LBB287_2544:                           ;   in Loop: Header=BB287_2093 Depth=1
	s_or_b32 exec_lo, exec_lo, s24
.LBB287_2545:                           ;   in Loop: Header=BB287_2093 Depth=1
	s_delay_alu instid0(SALU_CYCLE_1)
	s_or_b32 exec_lo, exec_lo, s23
.LBB287_2546:                           ;   in Loop: Header=BB287_2093 Depth=1
	s_delay_alu instid0(SALU_CYCLE_1)
	s_or_b32 exec_lo, exec_lo, s22
	v_mov_b32_e32 v0, 0
	s_mov_b32 s22, exec_lo
	v_cmpx_lt_u64_e64 s[14:15], v[86:87]
	s_cbranch_execz .LBB287_2554
; %bb.2547:                             ;   in Loop: Header=BB287_2093 Depth=1
	v_lshrrev_b32_e32 v26, 24, v87
	v_bfrev_b32_e32 v0, 1
	s_mov_b32 s23, exec_lo
	s_delay_alu instid0(VALU_DEP_2)
	v_cmpx_ne_u32_e32 0x80, v26
	s_cbranch_execz .LBB287_2553
; %bb.2548:                             ;   in Loop: Header=BB287_2093 Depth=1
	v_and_b32_e32 v18, 0x7f, v26
	v_mov_b32_e32 v0, 0x7c010000
	s_mov_b32 s24, exec_lo
	s_delay_alu instid0(VALU_DEP_2)
	v_cmpx_ne_u32_e32 0x7f, v18
	s_cbranch_execz .LBB287_2552
; %bb.2549:                             ;   in Loop: Header=BB287_2093 Depth=1
	v_and_b32_e32 v0, 7, v26
	v_lshrrev_b32_e32 v17, 3, v18
	s_mov_b32 s25, exec_lo
	v_cmpx_gt_u32_e32 8, v18
; %bb.2550:                             ;   in Loop: Header=BB287_2093 Depth=1
	s_delay_alu instid0(VALU_DEP_3) | instskip(NEXT) | instid1(VALU_DEP_1)
	v_clz_i32_u32_e32 v0, v0
	v_min_u32_e32 v0, 32, v0
	s_delay_alu instid0(VALU_DEP_1) | instskip(NEXT) | instid1(VALU_DEP_1)
	v_subrev_nc_u32_e32 v14, 28, v0
	v_lshlrev_b64_e32 v[14:15], v14, v[26:27]
	s_delay_alu instid0(VALU_DEP_1)
	v_dual_sub_nc_u32 v17, 29, v0 :: v_dual_bitop2_b32 v0, 7, v14 bitop3:0x40
; %bb.2551:                             ;   in Loop: Header=BB287_2093 Depth=1
	s_or_b32 exec_lo, exec_lo, s25
	s_delay_alu instid0(VALU_DEP_1) | instskip(NEXT) | instid1(VALU_DEP_2)
	v_dual_lshlrev_b32 v14, 8, v26 :: v_dual_lshlrev_b32 v0, 23, v0
	v_lshl_add_u32 v15, v17, 10, 0x2000
	s_delay_alu instid0(VALU_DEP_1) | instskip(NEXT) | instid1(VALU_DEP_1)
	v_and_or_b32 v14, 0x8000, v14, v15
	v_lshl_or_b32 v0, v14, 16, v0
.LBB287_2552:                           ;   in Loop: Header=BB287_2093 Depth=1
	s_or_b32 exec_lo, exec_lo, s24
.LBB287_2553:                           ;   in Loop: Header=BB287_2093 Depth=1
	s_delay_alu instid0(SALU_CYCLE_1)
	s_or_b32 exec_lo, exec_lo, s23
.LBB287_2554:                           ;   in Loop: Header=BB287_2093 Depth=1
	s_delay_alu instid0(SALU_CYCLE_1) | instskip(SKIP_4) | instid1(VALU_DEP_4)
	s_or_b32 exec_lo, exec_lo, s22
	v_dual_lshrrev_b32 v14, 16, v1 :: v_dual_lshrrev_b32 v15, 16, v7
	v_or_b32_e32 v1, v1, v6
	v_or_b32_e32 v8, v7, v8
	;; [unrolled: 1-line block ×3, first 2 shown]
	v_cvt_f32_f16_e32 v7, v14
	v_cvt_f32_f16_e32 v6, v15
	v_lshrrev_b32_e32 v14, 16, v16
	v_dual_lshrrev_b32 v15, 16, v0 :: v_dual_bitop2_b32 v16, v16, v9 bitop3:0x54
	v_cvt_f32_f16_e32 v0, v8
	s_wait_loadcnt_dscnt 0x0
	v_pk_mul_f32 v[6:7], v[84:85], v[6:7] op_sel_hi:[0,1]
	v_cvt_f32_f16_e32 v1, v1
	v_cvt_f32_f16_e32 v9, v14
	;; [unrolled: 1-line block ×5, first 2 shown]
	v_pk_mul_f32 v[0:1], v[84:85], v[0:1] op_sel_hi:[0,1]
	v_cvt_pk_f16_f32 v12, v6, v7
	v_pk_mul_f32 v[6:7], v[84:85], v[8:9] op_sel_hi:[0,1]
	s_delay_alu instid0(VALU_DEP_4) | instskip(NEXT) | instid1(VALU_DEP_4)
	v_pk_mul_f32 v[14:15], v[84:85], v[14:15] op_sel_hi:[0,1]
	v_cvt_pk_f16_f32 v0, v0, v1
	s_delay_alu instid0(VALU_DEP_4) | instskip(NEXT) | instid1(VALU_DEP_4)
	v_and_b32_e32 v9, 0xffff0000, v12
	v_cvt_pk_f16_f32 v6, v6, v7
	s_delay_alu instid0(VALU_DEP_4) | instskip(NEXT) | instid1(VALU_DEP_4)
	v_cvt_pk_f16_f32 v7, v14, v15
	v_and_b32_e32 v98, 0xffff, v0
	v_lshrrev_b32_e32 v97, 16, v0
	v_lshlrev_b32_e32 v86, 16, v12
	v_and_b32_e32 v1, 0xffff0000, v6
	v_dual_lshlrev_b32 v0, 16, v6 :: v_dual_lshrrev_b32 v87, 16, v7
	v_and_b32_e32 v96, 0xffff, v7
	v_or_b32_e32 v85, v9, v97
	v_or_b32_e32 v84, v86, v98
	s_delay_alu instid0(VALU_DEP_4) | instskip(NEXT) | instid1(VALU_DEP_4)
	v_or_b32_e32 v19, v1, v87
	v_or_b32_e32 v26, v0, v96
	s_and_saveexec_b32 s8, s0
	s_cbranch_execz .LBB287_2556
; %bb.2555:                             ;   in Loop: Header=BB287_2093 Depth=1
	v_dual_cndmask_b32 v6, 0, v97, vcc_lo :: v_dual_cndmask_b32 v7, 0, v98, s1
	v_dual_cndmask_b32 v8, 0, v9, s2 :: v_dual_cndmask_b32 v9, 0, v86, s3
	v_dual_cndmask_b32 v12, 0, v87, s4 :: v_dual_cndmask_b32 v14, 0, v96, s5
	;; [unrolled: 1-line block ×3, first 2 shown]
	s_delay_alu instid0(VALU_DEP_3) | instskip(NEXT) | instid1(VALU_DEP_4)
	v_or_b32_e32 v85, v6, v8
	v_or_b32_e32 v84, v7, v9
	s_delay_alu instid0(VALU_DEP_3) | instskip(NEXT) | instid1(VALU_DEP_4)
	v_or_b32_e32 v19, v12, v1
	v_or_b32_e32 v26, v14, v0
.LBB287_2556:                           ;   in Loop: Header=BB287_2093 Depth=1
	s_or_b32 exec_lo, exec_lo, s8
	;;#ASMSTART
	v_pk_mul_f16 v0, v119, v85;

	;;#ASMEND
	;;#ASMSTART
	v_pk_mul_f16 v1, v117, v84;

	;;#ASMEND
	;; [unrolled: 4-line block ×4, first 2 shown]
	;;#ASMSTART
	v_pk_add_f16 v0, v0, v1;

	;;#ASMEND
	;;#ASMSTART
	v_pk_add_f16 v0, v0, v6;

	;;#ASMEND
	;; [unrolled: 4-line block ×3, first 2 shown]
	v_and_b32_e32 v1, 0xffff, v0
	v_lshrrev_b32_e32 v0, 16, v0
	;;#ASMSTART
	v_cvt_f32_f16 v59, v1;
	;;#ASMEND
	v_mov_b32_e32 v1, 0
	;;#ASMSTART
	v_cvt_f32_f16 v60, v0;
	;;#ASMEND
	flat_load_b64 v[86:87], v[82:83] offset:1792
	flat_load_b32 v84, v[22:23]
	v_mov_b32_e32 v6, 0
	s_mov_b32 s22, exec_lo
	s_wait_loadcnt_dscnt 0x101
	v_and_b32_e32 v0, 0xff, v86
	s_wait_xcnt 0x0
	s_delay_alu instid0(VALU_DEP_1)
	v_cmpx_ne_u16_e32 0, v0
	s_cbranch_execz .LBB287_2564
; %bb.2557:                             ;   in Loop: Header=BB287_2093 Depth=1
	v_mov_b32_e32 v6, 0x8000
	s_mov_b32 s23, exec_lo
	v_cmpx_ne_u16_e32 0x80, v0
	s_cbranch_execz .LBB287_2563
; %bb.2558:                             ;   in Loop: Header=BB287_2093 Depth=1
	v_and_b32_e32 v7, 0x7f, v86
	v_mov_b32_e32 v6, 0x7c01
	s_mov_b32 s24, exec_lo
	s_delay_alu instid0(VALU_DEP_2)
	v_cmpx_ne_u32_e32 0x7f, v7
	s_cbranch_execz .LBB287_2562
; %bb.2559:                             ;   in Loop: Header=BB287_2093 Depth=1
	v_dual_lshrrev_b32 v6, 3, v7 :: v_dual_bitop2_b32 v0, 7, v86 bitop3:0x40
	s_mov_b32 s25, exec_lo
	v_cmpx_gt_u32_e32 8, v7
; %bb.2560:                             ;   in Loop: Header=BB287_2093 Depth=1
	s_delay_alu instid0(VALU_DEP_2) | instskip(NEXT) | instid1(VALU_DEP_1)
	v_clz_i32_u32_e32 v0, v0
	v_min_u32_e32 v0, 32, v0
	s_delay_alu instid0(VALU_DEP_1) | instskip(NEXT) | instid1(VALU_DEP_1)
	v_subrev_nc_u32_e32 v6, 28, v0
	v_lshlrev_b64_e32 v[8:9], v6, v[86:87]
	v_sub_nc_u32_e32 v6, 29, v0
	s_delay_alu instid0(VALU_DEP_2)
	v_and_b32_e32 v0, 7, v8
; %bb.2561:                             ;   in Loop: Header=BB287_2093 Depth=1
	s_or_b32 exec_lo, exec_lo, s25
	s_delay_alu instid0(VALU_DEP_1) | instskip(NEXT) | instid1(VALU_DEP_3)
	v_dual_lshlrev_b32 v7, 8, v86 :: v_dual_lshlrev_b32 v0, 7, v0
	v_lshl_add_u32 v6, v6, 10, 0x2000
	s_delay_alu instid0(VALU_DEP_2) | instskip(NEXT) | instid1(VALU_DEP_2)
	v_and_b32_e32 v7, 0x8000, v7
	v_and_b32_e32 v6, 0xfc00, v6
	s_delay_alu instid0(VALU_DEP_1)
	v_or3_b32 v6, v7, v6, v0
.LBB287_2562:                           ;   in Loop: Header=BB287_2093 Depth=1
	s_or_b32 exec_lo, exec_lo, s24
.LBB287_2563:                           ;   in Loop: Header=BB287_2093 Depth=1
	s_delay_alu instid0(SALU_CYCLE_1)
	s_or_b32 exec_lo, exec_lo, s23
.LBB287_2564:                           ;   in Loop: Header=BB287_2093 Depth=1
	s_delay_alu instid0(SALU_CYCLE_1) | instskip(SKIP_2) | instid1(VALU_DEP_1)
	s_or_b32 exec_lo, exec_lo, s22
	v_lshrrev_b16 v26, 8, v86
	s_mov_b32 s22, exec_lo
	v_cmpx_ne_u16_e32 0, v26
	s_cbranch_execz .LBB287_2572
; %bb.2565:                             ;   in Loop: Header=BB287_2093 Depth=1
	v_bfrev_b32_e32 v1, 1
	s_mov_b32 s23, exec_lo
	v_cmpx_ne_u16_e32 0x80, v26
	s_cbranch_execz .LBB287_2571
; %bb.2566:                             ;   in Loop: Header=BB287_2093 Depth=1
	v_and_b32_e32 v0, 0xffff, v26
	v_mov_b32_e32 v1, 0x7c010000
	s_mov_b32 s24, exec_lo
	s_delay_alu instid0(VALU_DEP_2) | instskip(NEXT) | instid1(VALU_DEP_1)
	v_and_b32_e32 v8, 0x7f, v0
	v_cmpx_ne_u32_e32 0x7f, v8
	s_cbranch_execz .LBB287_2570
; %bb.2567:                             ;   in Loop: Header=BB287_2093 Depth=1
	v_and_b32_e32 v1, 7, v0
	v_lshrrev_b32_e32 v7, 3, v8
	s_mov_b32 s25, exec_lo
	v_cmpx_gt_u32_e32 8, v8
; %bb.2568:                             ;   in Loop: Header=BB287_2093 Depth=1
	s_delay_alu instid0(VALU_DEP_3) | instskip(NEXT) | instid1(VALU_DEP_1)
	v_clz_i32_u32_e32 v1, v1
	v_min_u32_e32 v1, 32, v1
	s_delay_alu instid0(VALU_DEP_1) | instskip(NEXT) | instid1(VALU_DEP_1)
	v_subrev_nc_u32_e32 v7, 28, v1
	v_lshlrev_b64_e32 v[8:9], v7, v[26:27]
	s_delay_alu instid0(VALU_DEP_1)
	v_dual_sub_nc_u32 v7, 29, v1 :: v_dual_bitop2_b32 v1, 7, v8 bitop3:0x40
; %bb.2569:                             ;   in Loop: Header=BB287_2093 Depth=1
	s_or_b32 exec_lo, exec_lo, s25
	s_delay_alu instid0(VALU_DEP_1) | instskip(NEXT) | instid1(VALU_DEP_2)
	v_dual_lshlrev_b32 v0, 8, v0 :: v_dual_lshlrev_b32 v1, 23, v1
	v_lshl_add_u32 v7, v7, 10, 0x2000
	s_delay_alu instid0(VALU_DEP_1) | instskip(NEXT) | instid1(VALU_DEP_1)
	v_and_or_b32 v0, 0x8000, v0, v7
	v_lshl_or_b32 v1, v0, 16, v1
.LBB287_2570:                           ;   in Loop: Header=BB287_2093 Depth=1
	s_or_b32 exec_lo, exec_lo, s24
.LBB287_2571:                           ;   in Loop: Header=BB287_2093 Depth=1
	s_delay_alu instid0(SALU_CYCLE_1)
	s_or_b32 exec_lo, exec_lo, s23
.LBB287_2572:                           ;   in Loop: Header=BB287_2093 Depth=1
	s_delay_alu instid0(SALU_CYCLE_1) | instskip(SKIP_3) | instid1(VALU_DEP_2)
	s_or_b32 exec_lo, exec_lo, s22
	v_dual_mov_b32 v7, 0 :: v_dual_lshrrev_b32 v0, 16, v86
	v_mov_b32_e32 v8, 0
	s_mov_b32 s22, exec_lo
	v_and_b32_e32 v9, 0xff, v0
	s_delay_alu instid0(VALU_DEP_1)
	v_cmpx_ne_u16_e32 0, v9
	s_cbranch_execz .LBB287_2580
; %bb.2573:                             ;   in Loop: Header=BB287_2093 Depth=1
	v_mov_b32_e32 v8, 0x8000
	s_mov_b32 s23, exec_lo
	v_cmpx_ne_u16_e32 0x80, v9
	s_cbranch_execz .LBB287_2579
; %bb.2574:                             ;   in Loop: Header=BB287_2093 Depth=1
	v_bfe_u32 v12, v86, 16, 7
	v_mov_b32_e32 v8, 0x7c01
	s_mov_b32 s24, exec_lo
	s_delay_alu instid0(VALU_DEP_2)
	v_cmpx_ne_u32_e32 0x7f, v12
	s_cbranch_execz .LBB287_2578
; %bb.2575:                             ;   in Loop: Header=BB287_2093 Depth=1
	v_and_b32_e32 v8, 7, v0
	v_lshrrev_b32_e32 v9, 3, v12
	s_mov_b32 s25, exec_lo
	v_cmpx_gt_u32_e32 8, v12
; %bb.2576:                             ;   in Loop: Header=BB287_2093 Depth=1
	s_delay_alu instid0(VALU_DEP_3) | instskip(NEXT) | instid1(VALU_DEP_1)
	v_clz_i32_u32_e32 v8, v8
	v_min_u32_e32 v12, 32, v8
	s_delay_alu instid0(VALU_DEP_1) | instskip(NEXT) | instid1(VALU_DEP_1)
	v_subrev_nc_u32_e32 v8, 28, v12
	v_lshlrev_b64_e32 v[8:9], v8, v[0:1]
	v_sub_nc_u32_e32 v9, 29, v12
	s_delay_alu instid0(VALU_DEP_2)
	v_and_b32_e32 v8, 7, v8
; %bb.2577:                             ;   in Loop: Header=BB287_2093 Depth=1
	s_or_b32 exec_lo, exec_lo, s25
	v_lshlrev_b32_e32 v0, 8, v0
	s_delay_alu instid0(VALU_DEP_3) | instskip(NEXT) | instid1(VALU_DEP_3)
	v_lshl_add_u32 v9, v9, 10, 0x2000
	v_lshlrev_b32_e32 v8, 7, v8
	s_delay_alu instid0(VALU_DEP_3) | instskip(NEXT) | instid1(VALU_DEP_3)
	v_and_b32_e32 v0, 0x8000, v0
	v_and_b32_e32 v9, 0xfc00, v9
	s_delay_alu instid0(VALU_DEP_1)
	v_or3_b32 v8, v0, v9, v8
.LBB287_2578:                           ;   in Loop: Header=BB287_2093 Depth=1
	s_or_b32 exec_lo, exec_lo, s24
.LBB287_2579:                           ;   in Loop: Header=BB287_2093 Depth=1
	s_delay_alu instid0(SALU_CYCLE_1)
	s_or_b32 exec_lo, exec_lo, s23
.LBB287_2580:                           ;   in Loop: Header=BB287_2093 Depth=1
	s_delay_alu instid0(SALU_CYCLE_1) | instskip(NEXT) | instid1(SALU_CYCLE_1)
	s_or_b32 exec_lo, exec_lo, s22
	s_mov_b32 s22, exec_lo
	v_cmpx_lt_u32_e32 0xffffff, v86
	s_cbranch_execz .LBB287_2588
; %bb.2581:                             ;   in Loop: Header=BB287_2093 Depth=1
	v_lshrrev_b32_e32 v26, 24, v86
	v_bfrev_b32_e32 v7, 1
	s_mov_b32 s23, exec_lo
	s_delay_alu instid0(VALU_DEP_2)
	v_cmpx_ne_u32_e32 0x80, v26
	s_cbranch_execz .LBB287_2587
; %bb.2582:                             ;   in Loop: Header=BB287_2093 Depth=1
	v_and_b32_e32 v9, 0x7f, v26
	v_mov_b32_e32 v7, 0x7c010000
	s_mov_b32 s24, exec_lo
	s_delay_alu instid0(VALU_DEP_2)
	v_cmpx_ne_u32_e32 0x7f, v9
	s_cbranch_execz .LBB287_2586
; %bb.2583:                             ;   in Loop: Header=BB287_2093 Depth=1
	v_dual_lshrrev_b32 v7, 3, v9 :: v_dual_bitop2_b32 v0, 7, v26 bitop3:0x40
	s_mov_b32 s25, exec_lo
	v_cmpx_gt_u32_e32 8, v9
; %bb.2584:                             ;   in Loop: Header=BB287_2093 Depth=1
	s_delay_alu instid0(VALU_DEP_2) | instskip(NEXT) | instid1(VALU_DEP_1)
	v_clz_i32_u32_e32 v0, v0
	v_min_u32_e32 v0, 32, v0
	s_delay_alu instid0(VALU_DEP_1) | instskip(NEXT) | instid1(VALU_DEP_1)
	v_subrev_nc_u32_e32 v7, 28, v0
	v_lshlrev_b64_e32 v[14:15], v7, v[26:27]
	s_delay_alu instid0(VALU_DEP_1)
	v_dual_sub_nc_u32 v7, 29, v0 :: v_dual_bitop2_b32 v0, 7, v14 bitop3:0x40
; %bb.2585:                             ;   in Loop: Header=BB287_2093 Depth=1
	s_or_b32 exec_lo, exec_lo, s25
	s_delay_alu instid0(VALU_DEP_1) | instskip(NEXT) | instid1(VALU_DEP_2)
	v_dual_lshlrev_b32 v9, 8, v26 :: v_dual_lshlrev_b32 v0, 23, v0
	v_lshl_add_u32 v7, v7, 10, 0x2000
	s_delay_alu instid0(VALU_DEP_1) | instskip(NEXT) | instid1(VALU_DEP_1)
	v_and_or_b32 v7, 0x8000, v9, v7
	v_lshl_or_b32 v7, v7, 16, v0
.LBB287_2586:                           ;   in Loop: Header=BB287_2093 Depth=1
	s_or_b32 exec_lo, exec_lo, s24
.LBB287_2587:                           ;   in Loop: Header=BB287_2093 Depth=1
	s_delay_alu instid0(SALU_CYCLE_1)
	s_or_b32 exec_lo, exec_lo, s23
.LBB287_2588:                           ;   in Loop: Header=BB287_2093 Depth=1
	s_delay_alu instid0(SALU_CYCLE_1) | instskip(SKIP_4) | instid1(VALU_DEP_3)
	s_or_b32 exec_lo, exec_lo, s22
	v_and_b32_e32 v0, 0xff, v87
	v_dual_mov_b32 v26, v87 :: v_dual_mov_b32 v12, 0
	v_mov_b32_e32 v9, 0
	s_mov_b32 s22, exec_lo
	v_cmpx_ne_u16_e32 0, v0
	s_cbranch_execz .LBB287_2596
; %bb.2589:                             ;   in Loop: Header=BB287_2093 Depth=1
	v_mov_b32_e32 v9, 0x8000
	s_mov_b32 s23, exec_lo
	v_cmpx_ne_u16_e32 0x80, v0
	s_cbranch_execz .LBB287_2595
; %bb.2590:                             ;   in Loop: Header=BB287_2093 Depth=1
	v_and_b32_e32 v16, 0x7f, v87
	v_mov_b32_e32 v9, 0x7c01
	s_mov_b32 s24, exec_lo
	s_delay_alu instid0(VALU_DEP_2)
	v_cmpx_ne_u32_e32 0x7f, v16
	s_cbranch_execz .LBB287_2594
; %bb.2591:                             ;   in Loop: Header=BB287_2093 Depth=1
	v_dual_lshrrev_b32 v9, 3, v16 :: v_dual_bitop2_b32 v0, 7, v87 bitop3:0x40
	s_mov_b32 s25, exec_lo
	v_cmpx_gt_u32_e32 8, v16
; %bb.2592:                             ;   in Loop: Header=BB287_2093 Depth=1
	s_delay_alu instid0(VALU_DEP_2) | instskip(NEXT) | instid1(VALU_DEP_1)
	v_clz_i32_u32_e32 v0, v0
	v_min_u32_e32 v0, 32, v0
	s_delay_alu instid0(VALU_DEP_1) | instskip(NEXT) | instid1(VALU_DEP_1)
	v_subrev_nc_u32_e32 v9, 28, v0
	v_lshlrev_b64_e32 v[14:15], v9, v[26:27]
	s_delay_alu instid0(VALU_DEP_1)
	v_dual_sub_nc_u32 v9, 29, v0 :: v_dual_bitop2_b32 v0, 7, v14 bitop3:0x40
; %bb.2593:                             ;   in Loop: Header=BB287_2093 Depth=1
	s_or_b32 exec_lo, exec_lo, s25
	s_delay_alu instid0(VALU_DEP_1) | instskip(NEXT) | instid1(VALU_DEP_2)
	v_dual_lshlrev_b32 v14, 8, v87 :: v_dual_lshlrev_b32 v0, 7, v0
	v_lshl_add_u32 v9, v9, 10, 0x2000
	s_delay_alu instid0(VALU_DEP_2) | instskip(NEXT) | instid1(VALU_DEP_2)
	v_and_b32_e32 v14, 0x8000, v14
	v_and_b32_e32 v9, 0xfc00, v9
	s_delay_alu instid0(VALU_DEP_1)
	v_or3_b32 v9, v14, v9, v0
.LBB287_2594:                           ;   in Loop: Header=BB287_2093 Depth=1
	s_or_b32 exec_lo, exec_lo, s24
.LBB287_2595:                           ;   in Loop: Header=BB287_2093 Depth=1
	s_delay_alu instid0(SALU_CYCLE_1)
	s_or_b32 exec_lo, exec_lo, s23
.LBB287_2596:                           ;   in Loop: Header=BB287_2093 Depth=1
	s_delay_alu instid0(SALU_CYCLE_1) | instskip(SKIP_3) | instid1(VALU_DEP_2)
	s_or_b32 exec_lo, exec_lo, s22
	v_lshrrev_b16 v26, 8, v26
	v_mov_b32_e32 v16, 0
	s_mov_b32 s22, exec_lo
	v_cmpx_ne_u16_e32 0, v26
	s_cbranch_execz .LBB287_2604
; %bb.2597:                             ;   in Loop: Header=BB287_2093 Depth=1
	v_bfrev_b32_e32 v16, 1
	s_mov_b32 s23, exec_lo
	v_cmpx_ne_u16_e32 0x80, v26
	s_cbranch_execz .LBB287_2603
; %bb.2598:                             ;   in Loop: Header=BB287_2093 Depth=1
	v_and_b32_e32 v0, 0xffff, v26
	v_mov_b32_e32 v16, 0x7c010000
	s_mov_b32 s24, exec_lo
	s_delay_alu instid0(VALU_DEP_2) | instskip(NEXT) | instid1(VALU_DEP_1)
	v_and_b32_e32 v18, 0x7f, v0
	v_cmpx_ne_u32_e32 0x7f, v18
	s_cbranch_execz .LBB287_2602
; %bb.2599:                             ;   in Loop: Header=BB287_2093 Depth=1
	v_dual_lshrrev_b32 v17, 3, v18 :: v_dual_bitop2_b32 v16, 7, v0 bitop3:0x40
	s_mov_b32 s25, exec_lo
	v_cmpx_gt_u32_e32 8, v18
; %bb.2600:                             ;   in Loop: Header=BB287_2093 Depth=1
	s_delay_alu instid0(VALU_DEP_2) | instskip(NEXT) | instid1(VALU_DEP_1)
	v_clz_i32_u32_e32 v14, v16
	v_min_u32_e32 v16, 32, v14
	s_delay_alu instid0(VALU_DEP_1) | instskip(NEXT) | instid1(VALU_DEP_1)
	v_subrev_nc_u32_e32 v14, 28, v16
	v_lshlrev_b64_e32 v[14:15], v14, v[26:27]
	s_delay_alu instid0(VALU_DEP_1)
	v_dual_sub_nc_u32 v17, 29, v16 :: v_dual_bitop2_b32 v16, 7, v14 bitop3:0x40
; %bb.2601:                             ;   in Loop: Header=BB287_2093 Depth=1
	s_or_b32 exec_lo, exec_lo, s25
	v_lshlrev_b32_e32 v0, 8, v0
	s_delay_alu instid0(VALU_DEP_2) | instskip(NEXT) | instid1(VALU_DEP_1)
	v_lshl_add_u32 v14, v17, 10, 0x2000
	v_and_or_b32 v0, 0x8000, v0, v14
	v_lshlrev_b32_e32 v14, 23, v16
	s_delay_alu instid0(VALU_DEP_1)
	v_lshl_or_b32 v16, v0, 16, v14
.LBB287_2602:                           ;   in Loop: Header=BB287_2093 Depth=1
	s_or_b32 exec_lo, exec_lo, s24
.LBB287_2603:                           ;   in Loop: Header=BB287_2093 Depth=1
	s_delay_alu instid0(SALU_CYCLE_1)
	s_or_b32 exec_lo, exec_lo, s23
.LBB287_2604:                           ;   in Loop: Header=BB287_2093 Depth=1
	s_delay_alu instid0(SALU_CYCLE_1) | instskip(SKIP_2) | instid1(VALU_DEP_1)
	s_or_b32 exec_lo, exec_lo, s22
	v_lshrrev_b32_e32 v0, 16, v87
	s_mov_b32 s22, exec_lo
	v_and_b32_e32 v17, 0xff, v0
	s_delay_alu instid0(VALU_DEP_1)
	v_cmpx_ne_u16_e32 0, v17
	s_cbranch_execz .LBB287_2612
; %bb.2605:                             ;   in Loop: Header=BB287_2093 Depth=1
	v_mov_b32_e32 v12, 0x8000
	s_mov_b32 s23, exec_lo
	v_cmpx_ne_u16_e32 0x80, v17
	s_cbranch_execz .LBB287_2611
; %bb.2606:                             ;   in Loop: Header=BB287_2093 Depth=1
	v_bfe_u32 v18, v87, 16, 7
	v_mov_b32_e32 v12, 0x7c01
	s_mov_b32 s24, exec_lo
	s_delay_alu instid0(VALU_DEP_2)
	v_cmpx_ne_u32_e32 0x7f, v18
	s_cbranch_execz .LBB287_2610
; %bb.2607:                             ;   in Loop: Header=BB287_2093 Depth=1
	v_dual_lshrrev_b32 v17, 3, v18 :: v_dual_bitop2_b32 v12, 7, v0 bitop3:0x40
	s_mov_b32 s25, exec_lo
	v_cmpx_gt_u32_e32 8, v18
; %bb.2608:                             ;   in Loop: Header=BB287_2093 Depth=1
	s_delay_alu instid0(VALU_DEP_2) | instskip(NEXT) | instid1(VALU_DEP_1)
	v_clz_i32_u32_e32 v12, v12
	v_min_u32_e32 v12, 32, v12
	s_delay_alu instid0(VALU_DEP_1) | instskip(NEXT) | instid1(VALU_DEP_1)
	v_subrev_nc_u32_e32 v14, 28, v12
	v_lshlrev_b64_e32 v[14:15], v14, v[0:1]
	s_delay_alu instid0(VALU_DEP_1)
	v_dual_sub_nc_u32 v17, 29, v12 :: v_dual_bitop2_b32 v12, 7, v14 bitop3:0x40
; %bb.2609:                             ;   in Loop: Header=BB287_2093 Depth=1
	s_or_b32 exec_lo, exec_lo, s25
	v_lshlrev_b32_e32 v0, 8, v0
	s_delay_alu instid0(VALU_DEP_2) | instskip(NEXT) | instid1(VALU_DEP_3)
	v_lshl_add_u32 v14, v17, 10, 0x2000
	v_lshlrev_b32_e32 v12, 7, v12
	s_delay_alu instid0(VALU_DEP_3) | instskip(NEXT) | instid1(VALU_DEP_3)
	v_and_b32_e32 v0, 0x8000, v0
	v_and_b32_e32 v14, 0xfc00, v14
	s_delay_alu instid0(VALU_DEP_1)
	v_or3_b32 v12, v0, v14, v12
.LBB287_2610:                           ;   in Loop: Header=BB287_2093 Depth=1
	s_or_b32 exec_lo, exec_lo, s24
.LBB287_2611:                           ;   in Loop: Header=BB287_2093 Depth=1
	s_delay_alu instid0(SALU_CYCLE_1)
	s_or_b32 exec_lo, exec_lo, s23
.LBB287_2612:                           ;   in Loop: Header=BB287_2093 Depth=1
	s_delay_alu instid0(SALU_CYCLE_1)
	s_or_b32 exec_lo, exec_lo, s22
	v_mov_b32_e32 v0, 0
	s_mov_b32 s22, exec_lo
	v_cmpx_lt_u64_e64 s[14:15], v[86:87]
	s_cbranch_execz .LBB287_2620
; %bb.2613:                             ;   in Loop: Header=BB287_2093 Depth=1
	v_lshrrev_b32_e32 v26, 24, v87
	v_bfrev_b32_e32 v0, 1
	s_mov_b32 s23, exec_lo
	s_delay_alu instid0(VALU_DEP_2)
	v_cmpx_ne_u32_e32 0x80, v26
	s_cbranch_execz .LBB287_2619
; %bb.2614:                             ;   in Loop: Header=BB287_2093 Depth=1
	v_and_b32_e32 v18, 0x7f, v26
	v_mov_b32_e32 v0, 0x7c010000
	s_mov_b32 s24, exec_lo
	s_delay_alu instid0(VALU_DEP_2)
	v_cmpx_ne_u32_e32 0x7f, v18
	s_cbranch_execz .LBB287_2618
; %bb.2615:                             ;   in Loop: Header=BB287_2093 Depth=1
	v_and_b32_e32 v0, 7, v26
	v_lshrrev_b32_e32 v17, 3, v18
	s_mov_b32 s25, exec_lo
	v_cmpx_gt_u32_e32 8, v18
; %bb.2616:                             ;   in Loop: Header=BB287_2093 Depth=1
	s_delay_alu instid0(VALU_DEP_3) | instskip(NEXT) | instid1(VALU_DEP_1)
	v_clz_i32_u32_e32 v0, v0
	v_min_u32_e32 v0, 32, v0
	s_delay_alu instid0(VALU_DEP_1) | instskip(NEXT) | instid1(VALU_DEP_1)
	v_subrev_nc_u32_e32 v14, 28, v0
	v_lshlrev_b64_e32 v[14:15], v14, v[26:27]
	s_delay_alu instid0(VALU_DEP_1)
	v_dual_sub_nc_u32 v17, 29, v0 :: v_dual_bitop2_b32 v0, 7, v14 bitop3:0x40
; %bb.2617:                             ;   in Loop: Header=BB287_2093 Depth=1
	s_or_b32 exec_lo, exec_lo, s25
	s_delay_alu instid0(VALU_DEP_1) | instskip(NEXT) | instid1(VALU_DEP_2)
	v_dual_lshlrev_b32 v14, 8, v26 :: v_dual_lshlrev_b32 v0, 23, v0
	v_lshl_add_u32 v15, v17, 10, 0x2000
	s_delay_alu instid0(VALU_DEP_1) | instskip(NEXT) | instid1(VALU_DEP_1)
	v_and_or_b32 v14, 0x8000, v14, v15
	v_lshl_or_b32 v0, v14, 16, v0
.LBB287_2618:                           ;   in Loop: Header=BB287_2093 Depth=1
	s_or_b32 exec_lo, exec_lo, s24
.LBB287_2619:                           ;   in Loop: Header=BB287_2093 Depth=1
	s_delay_alu instid0(SALU_CYCLE_1)
	s_or_b32 exec_lo, exec_lo, s23
.LBB287_2620:                           ;   in Loop: Header=BB287_2093 Depth=1
	s_delay_alu instid0(SALU_CYCLE_1) | instskip(SKIP_4) | instid1(VALU_DEP_4)
	s_or_b32 exec_lo, exec_lo, s22
	v_dual_lshrrev_b32 v14, 16, v1 :: v_dual_lshrrev_b32 v15, 16, v7
	v_or_b32_e32 v1, v1, v6
	v_or_b32_e32 v8, v7, v8
	;; [unrolled: 1-line block ×3, first 2 shown]
	v_cvt_f32_f16_e32 v7, v14
	v_cvt_f32_f16_e32 v6, v15
	v_lshrrev_b32_e32 v14, 16, v16
	v_dual_lshrrev_b32 v15, 16, v0 :: v_dual_bitop2_b32 v16, v16, v9 bitop3:0x54
	v_cvt_f32_f16_e32 v0, v8
	s_wait_loadcnt_dscnt 0x0
	v_pk_mul_f32 v[6:7], v[84:85], v[6:7] op_sel_hi:[0,1]
	v_cvt_f32_f16_e32 v1, v1
	v_cvt_f32_f16_e32 v9, v14
	;; [unrolled: 1-line block ×5, first 2 shown]
	v_pk_mul_f32 v[0:1], v[84:85], v[0:1] op_sel_hi:[0,1]
	v_cvt_pk_f16_f32 v12, v6, v7
	v_pk_mul_f32 v[6:7], v[84:85], v[8:9] op_sel_hi:[0,1]
	s_delay_alu instid0(VALU_DEP_4) | instskip(NEXT) | instid1(VALU_DEP_4)
	v_pk_mul_f32 v[14:15], v[84:85], v[14:15] op_sel_hi:[0,1]
	v_cvt_pk_f16_f32 v0, v0, v1
	s_delay_alu instid0(VALU_DEP_4) | instskip(NEXT) | instid1(VALU_DEP_4)
	v_and_b32_e32 v9, 0xffff0000, v12
	v_cvt_pk_f16_f32 v6, v6, v7
	s_delay_alu instid0(VALU_DEP_4) | instskip(NEXT) | instid1(VALU_DEP_4)
	v_cvt_pk_f16_f32 v7, v14, v15
	v_and_b32_e32 v98, 0xffff, v0
	v_lshrrev_b32_e32 v97, 16, v0
	v_lshlrev_b32_e32 v86, 16, v12
	v_and_b32_e32 v1, 0xffff0000, v6
	v_dual_lshlrev_b32 v0, 16, v6 :: v_dual_lshrrev_b32 v87, 16, v7
	v_and_b32_e32 v96, 0xffff, v7
	v_or_b32_e32 v85, v9, v97
	v_or_b32_e32 v84, v86, v98
	s_delay_alu instid0(VALU_DEP_4) | instskip(NEXT) | instid1(VALU_DEP_4)
	v_or_b32_e32 v19, v1, v87
	v_or_b32_e32 v26, v0, v96
	s_and_saveexec_b32 s8, s0
	s_cbranch_execz .LBB287_2622
; %bb.2621:                             ;   in Loop: Header=BB287_2093 Depth=1
	v_dual_cndmask_b32 v6, 0, v97, vcc_lo :: v_dual_cndmask_b32 v7, 0, v98, s1
	v_dual_cndmask_b32 v8, 0, v9, s2 :: v_dual_cndmask_b32 v9, 0, v86, s3
	v_dual_cndmask_b32 v12, 0, v87, s4 :: v_dual_cndmask_b32 v14, 0, v96, s5
	;; [unrolled: 1-line block ×3, first 2 shown]
	s_delay_alu instid0(VALU_DEP_3) | instskip(NEXT) | instid1(VALU_DEP_4)
	v_or_b32_e32 v85, v6, v8
	v_or_b32_e32 v84, v7, v9
	s_delay_alu instid0(VALU_DEP_3) | instskip(NEXT) | instid1(VALU_DEP_4)
	v_or_b32_e32 v19, v12, v1
	v_or_b32_e32 v26, v14, v0
.LBB287_2622:                           ;   in Loop: Header=BB287_2093 Depth=1
	s_or_b32 exec_lo, exec_lo, s8
	;;#ASMSTART
	v_pk_mul_f16 v0, v119, v85;

	;;#ASMEND
	;;#ASMSTART
	v_pk_mul_f16 v1, v117, v84;

	;;#ASMEND
	;; [unrolled: 4-line block ×4, first 2 shown]
	;;#ASMSTART
	v_pk_add_f16 v0, v0, v1;

	;;#ASMEND
	;;#ASMSTART
	v_pk_add_f16 v0, v0, v6;

	;;#ASMEND
	;; [unrolled: 4-line block ×3, first 2 shown]
	v_and_b32_e32 v1, 0xffff, v0
	v_lshrrev_b32_e32 v0, 16, v0
	;;#ASMSTART
	v_cvt_f32_f16 v61, v1;
	;;#ASMEND
	v_mov_b32_e32 v1, 0
	;;#ASMSTART
	v_cvt_f32_f16 v62, v0;
	;;#ASMEND
	flat_load_b64 v[86:87], v[82:83] offset:2048
	flat_load_b32 v84, v[22:23]
	v_mov_b32_e32 v6, 0
	s_mov_b32 s22, exec_lo
	s_wait_loadcnt_dscnt 0x101
	v_and_b32_e32 v0, 0xff, v86
	s_wait_xcnt 0x0
	s_delay_alu instid0(VALU_DEP_1)
	v_cmpx_ne_u16_e32 0, v0
	s_cbranch_execz .LBB287_2630
; %bb.2623:                             ;   in Loop: Header=BB287_2093 Depth=1
	v_mov_b32_e32 v6, 0x8000
	s_mov_b32 s23, exec_lo
	v_cmpx_ne_u16_e32 0x80, v0
	s_cbranch_execz .LBB287_2629
; %bb.2624:                             ;   in Loop: Header=BB287_2093 Depth=1
	v_and_b32_e32 v7, 0x7f, v86
	v_mov_b32_e32 v6, 0x7c01
	s_mov_b32 s24, exec_lo
	s_delay_alu instid0(VALU_DEP_2)
	v_cmpx_ne_u32_e32 0x7f, v7
	s_cbranch_execz .LBB287_2628
; %bb.2625:                             ;   in Loop: Header=BB287_2093 Depth=1
	v_dual_lshrrev_b32 v6, 3, v7 :: v_dual_bitop2_b32 v0, 7, v86 bitop3:0x40
	s_mov_b32 s25, exec_lo
	v_cmpx_gt_u32_e32 8, v7
; %bb.2626:                             ;   in Loop: Header=BB287_2093 Depth=1
	s_delay_alu instid0(VALU_DEP_2) | instskip(NEXT) | instid1(VALU_DEP_1)
	v_clz_i32_u32_e32 v0, v0
	v_min_u32_e32 v0, 32, v0
	s_delay_alu instid0(VALU_DEP_1) | instskip(NEXT) | instid1(VALU_DEP_1)
	v_subrev_nc_u32_e32 v6, 28, v0
	v_lshlrev_b64_e32 v[8:9], v6, v[86:87]
	v_sub_nc_u32_e32 v6, 29, v0
	s_delay_alu instid0(VALU_DEP_2)
	v_and_b32_e32 v0, 7, v8
; %bb.2627:                             ;   in Loop: Header=BB287_2093 Depth=1
	s_or_b32 exec_lo, exec_lo, s25
	s_delay_alu instid0(VALU_DEP_1) | instskip(NEXT) | instid1(VALU_DEP_3)
	v_dual_lshlrev_b32 v7, 8, v86 :: v_dual_lshlrev_b32 v0, 7, v0
	v_lshl_add_u32 v6, v6, 10, 0x2000
	s_delay_alu instid0(VALU_DEP_2) | instskip(NEXT) | instid1(VALU_DEP_2)
	v_and_b32_e32 v7, 0x8000, v7
	v_and_b32_e32 v6, 0xfc00, v6
	s_delay_alu instid0(VALU_DEP_1)
	v_or3_b32 v6, v7, v6, v0
.LBB287_2628:                           ;   in Loop: Header=BB287_2093 Depth=1
	s_or_b32 exec_lo, exec_lo, s24
.LBB287_2629:                           ;   in Loop: Header=BB287_2093 Depth=1
	s_delay_alu instid0(SALU_CYCLE_1)
	s_or_b32 exec_lo, exec_lo, s23
.LBB287_2630:                           ;   in Loop: Header=BB287_2093 Depth=1
	s_delay_alu instid0(SALU_CYCLE_1) | instskip(SKIP_2) | instid1(VALU_DEP_1)
	s_or_b32 exec_lo, exec_lo, s22
	v_lshrrev_b16 v26, 8, v86
	s_mov_b32 s22, exec_lo
	v_cmpx_ne_u16_e32 0, v26
	s_cbranch_execz .LBB287_2638
; %bb.2631:                             ;   in Loop: Header=BB287_2093 Depth=1
	v_bfrev_b32_e32 v1, 1
	s_mov_b32 s23, exec_lo
	v_cmpx_ne_u16_e32 0x80, v26
	s_cbranch_execz .LBB287_2637
; %bb.2632:                             ;   in Loop: Header=BB287_2093 Depth=1
	v_and_b32_e32 v0, 0xffff, v26
	v_mov_b32_e32 v1, 0x7c010000
	s_mov_b32 s24, exec_lo
	s_delay_alu instid0(VALU_DEP_2) | instskip(NEXT) | instid1(VALU_DEP_1)
	v_and_b32_e32 v8, 0x7f, v0
	v_cmpx_ne_u32_e32 0x7f, v8
	s_cbranch_execz .LBB287_2636
; %bb.2633:                             ;   in Loop: Header=BB287_2093 Depth=1
	v_and_b32_e32 v1, 7, v0
	v_lshrrev_b32_e32 v7, 3, v8
	s_mov_b32 s25, exec_lo
	v_cmpx_gt_u32_e32 8, v8
; %bb.2634:                             ;   in Loop: Header=BB287_2093 Depth=1
	s_delay_alu instid0(VALU_DEP_3) | instskip(NEXT) | instid1(VALU_DEP_1)
	v_clz_i32_u32_e32 v1, v1
	v_min_u32_e32 v1, 32, v1
	s_delay_alu instid0(VALU_DEP_1) | instskip(NEXT) | instid1(VALU_DEP_1)
	v_subrev_nc_u32_e32 v7, 28, v1
	v_lshlrev_b64_e32 v[8:9], v7, v[26:27]
	s_delay_alu instid0(VALU_DEP_1)
	v_dual_sub_nc_u32 v7, 29, v1 :: v_dual_bitop2_b32 v1, 7, v8 bitop3:0x40
; %bb.2635:                             ;   in Loop: Header=BB287_2093 Depth=1
	s_or_b32 exec_lo, exec_lo, s25
	s_delay_alu instid0(VALU_DEP_1) | instskip(NEXT) | instid1(VALU_DEP_2)
	v_dual_lshlrev_b32 v0, 8, v0 :: v_dual_lshlrev_b32 v1, 23, v1
	v_lshl_add_u32 v7, v7, 10, 0x2000
	s_delay_alu instid0(VALU_DEP_1) | instskip(NEXT) | instid1(VALU_DEP_1)
	v_and_or_b32 v0, 0x8000, v0, v7
	v_lshl_or_b32 v1, v0, 16, v1
.LBB287_2636:                           ;   in Loop: Header=BB287_2093 Depth=1
	s_or_b32 exec_lo, exec_lo, s24
.LBB287_2637:                           ;   in Loop: Header=BB287_2093 Depth=1
	s_delay_alu instid0(SALU_CYCLE_1)
	s_or_b32 exec_lo, exec_lo, s23
.LBB287_2638:                           ;   in Loop: Header=BB287_2093 Depth=1
	s_delay_alu instid0(SALU_CYCLE_1) | instskip(SKIP_3) | instid1(VALU_DEP_2)
	s_or_b32 exec_lo, exec_lo, s22
	v_dual_mov_b32 v7, 0 :: v_dual_lshrrev_b32 v0, 16, v86
	v_mov_b32_e32 v8, 0
	s_mov_b32 s22, exec_lo
	v_and_b32_e32 v9, 0xff, v0
	s_delay_alu instid0(VALU_DEP_1)
	v_cmpx_ne_u16_e32 0, v9
	s_cbranch_execz .LBB287_2646
; %bb.2639:                             ;   in Loop: Header=BB287_2093 Depth=1
	v_mov_b32_e32 v8, 0x8000
	s_mov_b32 s23, exec_lo
	v_cmpx_ne_u16_e32 0x80, v9
	s_cbranch_execz .LBB287_2645
; %bb.2640:                             ;   in Loop: Header=BB287_2093 Depth=1
	v_bfe_u32 v12, v86, 16, 7
	v_mov_b32_e32 v8, 0x7c01
	s_mov_b32 s24, exec_lo
	s_delay_alu instid0(VALU_DEP_2)
	v_cmpx_ne_u32_e32 0x7f, v12
	s_cbranch_execz .LBB287_2644
; %bb.2641:                             ;   in Loop: Header=BB287_2093 Depth=1
	v_and_b32_e32 v8, 7, v0
	v_lshrrev_b32_e32 v9, 3, v12
	s_mov_b32 s25, exec_lo
	v_cmpx_gt_u32_e32 8, v12
; %bb.2642:                             ;   in Loop: Header=BB287_2093 Depth=1
	s_delay_alu instid0(VALU_DEP_3) | instskip(NEXT) | instid1(VALU_DEP_1)
	v_clz_i32_u32_e32 v8, v8
	v_min_u32_e32 v12, 32, v8
	s_delay_alu instid0(VALU_DEP_1) | instskip(NEXT) | instid1(VALU_DEP_1)
	v_subrev_nc_u32_e32 v8, 28, v12
	v_lshlrev_b64_e32 v[8:9], v8, v[0:1]
	v_sub_nc_u32_e32 v9, 29, v12
	s_delay_alu instid0(VALU_DEP_2)
	v_and_b32_e32 v8, 7, v8
; %bb.2643:                             ;   in Loop: Header=BB287_2093 Depth=1
	s_or_b32 exec_lo, exec_lo, s25
	v_lshlrev_b32_e32 v0, 8, v0
	s_delay_alu instid0(VALU_DEP_3) | instskip(NEXT) | instid1(VALU_DEP_3)
	v_lshl_add_u32 v9, v9, 10, 0x2000
	v_lshlrev_b32_e32 v8, 7, v8
	s_delay_alu instid0(VALU_DEP_3) | instskip(NEXT) | instid1(VALU_DEP_3)
	v_and_b32_e32 v0, 0x8000, v0
	v_and_b32_e32 v9, 0xfc00, v9
	s_delay_alu instid0(VALU_DEP_1)
	v_or3_b32 v8, v0, v9, v8
.LBB287_2644:                           ;   in Loop: Header=BB287_2093 Depth=1
	s_or_b32 exec_lo, exec_lo, s24
.LBB287_2645:                           ;   in Loop: Header=BB287_2093 Depth=1
	s_delay_alu instid0(SALU_CYCLE_1)
	s_or_b32 exec_lo, exec_lo, s23
.LBB287_2646:                           ;   in Loop: Header=BB287_2093 Depth=1
	s_delay_alu instid0(SALU_CYCLE_1) | instskip(NEXT) | instid1(SALU_CYCLE_1)
	s_or_b32 exec_lo, exec_lo, s22
	s_mov_b32 s22, exec_lo
	v_cmpx_lt_u32_e32 0xffffff, v86
	s_cbranch_execz .LBB287_2654
; %bb.2647:                             ;   in Loop: Header=BB287_2093 Depth=1
	v_lshrrev_b32_e32 v26, 24, v86
	v_bfrev_b32_e32 v7, 1
	s_mov_b32 s23, exec_lo
	s_delay_alu instid0(VALU_DEP_2)
	v_cmpx_ne_u32_e32 0x80, v26
	s_cbranch_execz .LBB287_2653
; %bb.2648:                             ;   in Loop: Header=BB287_2093 Depth=1
	v_and_b32_e32 v9, 0x7f, v26
	v_mov_b32_e32 v7, 0x7c010000
	s_mov_b32 s24, exec_lo
	s_delay_alu instid0(VALU_DEP_2)
	v_cmpx_ne_u32_e32 0x7f, v9
	s_cbranch_execz .LBB287_2652
; %bb.2649:                             ;   in Loop: Header=BB287_2093 Depth=1
	v_dual_lshrrev_b32 v7, 3, v9 :: v_dual_bitop2_b32 v0, 7, v26 bitop3:0x40
	s_mov_b32 s25, exec_lo
	v_cmpx_gt_u32_e32 8, v9
; %bb.2650:                             ;   in Loop: Header=BB287_2093 Depth=1
	s_delay_alu instid0(VALU_DEP_2) | instskip(NEXT) | instid1(VALU_DEP_1)
	v_clz_i32_u32_e32 v0, v0
	v_min_u32_e32 v0, 32, v0
	s_delay_alu instid0(VALU_DEP_1) | instskip(NEXT) | instid1(VALU_DEP_1)
	v_subrev_nc_u32_e32 v7, 28, v0
	v_lshlrev_b64_e32 v[14:15], v7, v[26:27]
	s_delay_alu instid0(VALU_DEP_1)
	v_dual_sub_nc_u32 v7, 29, v0 :: v_dual_bitop2_b32 v0, 7, v14 bitop3:0x40
; %bb.2651:                             ;   in Loop: Header=BB287_2093 Depth=1
	s_or_b32 exec_lo, exec_lo, s25
	s_delay_alu instid0(VALU_DEP_1) | instskip(NEXT) | instid1(VALU_DEP_2)
	v_dual_lshlrev_b32 v9, 8, v26 :: v_dual_lshlrev_b32 v0, 23, v0
	v_lshl_add_u32 v7, v7, 10, 0x2000
	s_delay_alu instid0(VALU_DEP_1) | instskip(NEXT) | instid1(VALU_DEP_1)
	v_and_or_b32 v7, 0x8000, v9, v7
	v_lshl_or_b32 v7, v7, 16, v0
.LBB287_2652:                           ;   in Loop: Header=BB287_2093 Depth=1
	s_or_b32 exec_lo, exec_lo, s24
.LBB287_2653:                           ;   in Loop: Header=BB287_2093 Depth=1
	s_delay_alu instid0(SALU_CYCLE_1)
	s_or_b32 exec_lo, exec_lo, s23
.LBB287_2654:                           ;   in Loop: Header=BB287_2093 Depth=1
	s_delay_alu instid0(SALU_CYCLE_1) | instskip(SKIP_4) | instid1(VALU_DEP_3)
	s_or_b32 exec_lo, exec_lo, s22
	v_and_b32_e32 v0, 0xff, v87
	v_dual_mov_b32 v26, v87 :: v_dual_mov_b32 v12, 0
	v_mov_b32_e32 v9, 0
	s_mov_b32 s22, exec_lo
	v_cmpx_ne_u16_e32 0, v0
	s_cbranch_execz .LBB287_2662
; %bb.2655:                             ;   in Loop: Header=BB287_2093 Depth=1
	v_mov_b32_e32 v9, 0x8000
	s_mov_b32 s23, exec_lo
	v_cmpx_ne_u16_e32 0x80, v0
	s_cbranch_execz .LBB287_2661
; %bb.2656:                             ;   in Loop: Header=BB287_2093 Depth=1
	v_and_b32_e32 v16, 0x7f, v87
	v_mov_b32_e32 v9, 0x7c01
	s_mov_b32 s24, exec_lo
	s_delay_alu instid0(VALU_DEP_2)
	v_cmpx_ne_u32_e32 0x7f, v16
	s_cbranch_execz .LBB287_2660
; %bb.2657:                             ;   in Loop: Header=BB287_2093 Depth=1
	v_dual_lshrrev_b32 v9, 3, v16 :: v_dual_bitop2_b32 v0, 7, v87 bitop3:0x40
	s_mov_b32 s25, exec_lo
	v_cmpx_gt_u32_e32 8, v16
; %bb.2658:                             ;   in Loop: Header=BB287_2093 Depth=1
	s_delay_alu instid0(VALU_DEP_2) | instskip(NEXT) | instid1(VALU_DEP_1)
	v_clz_i32_u32_e32 v0, v0
	v_min_u32_e32 v0, 32, v0
	s_delay_alu instid0(VALU_DEP_1) | instskip(NEXT) | instid1(VALU_DEP_1)
	v_subrev_nc_u32_e32 v9, 28, v0
	v_lshlrev_b64_e32 v[14:15], v9, v[26:27]
	s_delay_alu instid0(VALU_DEP_1)
	v_dual_sub_nc_u32 v9, 29, v0 :: v_dual_bitop2_b32 v0, 7, v14 bitop3:0x40
; %bb.2659:                             ;   in Loop: Header=BB287_2093 Depth=1
	s_or_b32 exec_lo, exec_lo, s25
	s_delay_alu instid0(VALU_DEP_1) | instskip(NEXT) | instid1(VALU_DEP_2)
	v_dual_lshlrev_b32 v14, 8, v87 :: v_dual_lshlrev_b32 v0, 7, v0
	v_lshl_add_u32 v9, v9, 10, 0x2000
	s_delay_alu instid0(VALU_DEP_2) | instskip(NEXT) | instid1(VALU_DEP_2)
	v_and_b32_e32 v14, 0x8000, v14
	v_and_b32_e32 v9, 0xfc00, v9
	s_delay_alu instid0(VALU_DEP_1)
	v_or3_b32 v9, v14, v9, v0
.LBB287_2660:                           ;   in Loop: Header=BB287_2093 Depth=1
	s_or_b32 exec_lo, exec_lo, s24
.LBB287_2661:                           ;   in Loop: Header=BB287_2093 Depth=1
	s_delay_alu instid0(SALU_CYCLE_1)
	s_or_b32 exec_lo, exec_lo, s23
.LBB287_2662:                           ;   in Loop: Header=BB287_2093 Depth=1
	s_delay_alu instid0(SALU_CYCLE_1) | instskip(SKIP_3) | instid1(VALU_DEP_2)
	s_or_b32 exec_lo, exec_lo, s22
	v_lshrrev_b16 v26, 8, v26
	v_mov_b32_e32 v16, 0
	s_mov_b32 s22, exec_lo
	v_cmpx_ne_u16_e32 0, v26
	s_cbranch_execz .LBB287_2670
; %bb.2663:                             ;   in Loop: Header=BB287_2093 Depth=1
	v_bfrev_b32_e32 v16, 1
	s_mov_b32 s23, exec_lo
	v_cmpx_ne_u16_e32 0x80, v26
	s_cbranch_execz .LBB287_2669
; %bb.2664:                             ;   in Loop: Header=BB287_2093 Depth=1
	v_and_b32_e32 v0, 0xffff, v26
	v_mov_b32_e32 v16, 0x7c010000
	s_mov_b32 s24, exec_lo
	s_delay_alu instid0(VALU_DEP_2) | instskip(NEXT) | instid1(VALU_DEP_1)
	v_and_b32_e32 v18, 0x7f, v0
	v_cmpx_ne_u32_e32 0x7f, v18
	s_cbranch_execz .LBB287_2668
; %bb.2665:                             ;   in Loop: Header=BB287_2093 Depth=1
	v_dual_lshrrev_b32 v17, 3, v18 :: v_dual_bitop2_b32 v16, 7, v0 bitop3:0x40
	s_mov_b32 s25, exec_lo
	v_cmpx_gt_u32_e32 8, v18
; %bb.2666:                             ;   in Loop: Header=BB287_2093 Depth=1
	s_delay_alu instid0(VALU_DEP_2) | instskip(NEXT) | instid1(VALU_DEP_1)
	v_clz_i32_u32_e32 v14, v16
	v_min_u32_e32 v16, 32, v14
	s_delay_alu instid0(VALU_DEP_1) | instskip(NEXT) | instid1(VALU_DEP_1)
	v_subrev_nc_u32_e32 v14, 28, v16
	v_lshlrev_b64_e32 v[14:15], v14, v[26:27]
	s_delay_alu instid0(VALU_DEP_1)
	v_dual_sub_nc_u32 v17, 29, v16 :: v_dual_bitop2_b32 v16, 7, v14 bitop3:0x40
; %bb.2667:                             ;   in Loop: Header=BB287_2093 Depth=1
	s_or_b32 exec_lo, exec_lo, s25
	v_lshlrev_b32_e32 v0, 8, v0
	s_delay_alu instid0(VALU_DEP_2) | instskip(NEXT) | instid1(VALU_DEP_1)
	v_lshl_add_u32 v14, v17, 10, 0x2000
	v_and_or_b32 v0, 0x8000, v0, v14
	v_lshlrev_b32_e32 v14, 23, v16
	s_delay_alu instid0(VALU_DEP_1)
	v_lshl_or_b32 v16, v0, 16, v14
.LBB287_2668:                           ;   in Loop: Header=BB287_2093 Depth=1
	s_or_b32 exec_lo, exec_lo, s24
.LBB287_2669:                           ;   in Loop: Header=BB287_2093 Depth=1
	s_delay_alu instid0(SALU_CYCLE_1)
	s_or_b32 exec_lo, exec_lo, s23
.LBB287_2670:                           ;   in Loop: Header=BB287_2093 Depth=1
	s_delay_alu instid0(SALU_CYCLE_1) | instskip(SKIP_2) | instid1(VALU_DEP_1)
	s_or_b32 exec_lo, exec_lo, s22
	v_lshrrev_b32_e32 v0, 16, v87
	s_mov_b32 s22, exec_lo
	v_and_b32_e32 v17, 0xff, v0
	s_delay_alu instid0(VALU_DEP_1)
	v_cmpx_ne_u16_e32 0, v17
	s_cbranch_execz .LBB287_2678
; %bb.2671:                             ;   in Loop: Header=BB287_2093 Depth=1
	v_mov_b32_e32 v12, 0x8000
	s_mov_b32 s23, exec_lo
	v_cmpx_ne_u16_e32 0x80, v17
	s_cbranch_execz .LBB287_2677
; %bb.2672:                             ;   in Loop: Header=BB287_2093 Depth=1
	v_bfe_u32 v18, v87, 16, 7
	v_mov_b32_e32 v12, 0x7c01
	s_mov_b32 s24, exec_lo
	s_delay_alu instid0(VALU_DEP_2)
	v_cmpx_ne_u32_e32 0x7f, v18
	s_cbranch_execz .LBB287_2676
; %bb.2673:                             ;   in Loop: Header=BB287_2093 Depth=1
	v_dual_lshrrev_b32 v17, 3, v18 :: v_dual_bitop2_b32 v12, 7, v0 bitop3:0x40
	s_mov_b32 s25, exec_lo
	v_cmpx_gt_u32_e32 8, v18
; %bb.2674:                             ;   in Loop: Header=BB287_2093 Depth=1
	s_delay_alu instid0(VALU_DEP_2) | instskip(NEXT) | instid1(VALU_DEP_1)
	v_clz_i32_u32_e32 v12, v12
	v_min_u32_e32 v12, 32, v12
	s_delay_alu instid0(VALU_DEP_1) | instskip(NEXT) | instid1(VALU_DEP_1)
	v_subrev_nc_u32_e32 v14, 28, v12
	v_lshlrev_b64_e32 v[14:15], v14, v[0:1]
	s_delay_alu instid0(VALU_DEP_1)
	v_dual_sub_nc_u32 v17, 29, v12 :: v_dual_bitop2_b32 v12, 7, v14 bitop3:0x40
; %bb.2675:                             ;   in Loop: Header=BB287_2093 Depth=1
	s_or_b32 exec_lo, exec_lo, s25
	v_lshlrev_b32_e32 v0, 8, v0
	s_delay_alu instid0(VALU_DEP_2) | instskip(NEXT) | instid1(VALU_DEP_3)
	v_lshl_add_u32 v14, v17, 10, 0x2000
	v_lshlrev_b32_e32 v12, 7, v12
	s_delay_alu instid0(VALU_DEP_3) | instskip(NEXT) | instid1(VALU_DEP_3)
	v_and_b32_e32 v0, 0x8000, v0
	v_and_b32_e32 v14, 0xfc00, v14
	s_delay_alu instid0(VALU_DEP_1)
	v_or3_b32 v12, v0, v14, v12
.LBB287_2676:                           ;   in Loop: Header=BB287_2093 Depth=1
	s_or_b32 exec_lo, exec_lo, s24
.LBB287_2677:                           ;   in Loop: Header=BB287_2093 Depth=1
	s_delay_alu instid0(SALU_CYCLE_1)
	s_or_b32 exec_lo, exec_lo, s23
.LBB287_2678:                           ;   in Loop: Header=BB287_2093 Depth=1
	s_delay_alu instid0(SALU_CYCLE_1)
	s_or_b32 exec_lo, exec_lo, s22
	v_mov_b32_e32 v0, 0
	s_mov_b32 s22, exec_lo
	v_cmpx_lt_u64_e64 s[14:15], v[86:87]
	s_cbranch_execz .LBB287_2686
; %bb.2679:                             ;   in Loop: Header=BB287_2093 Depth=1
	v_lshrrev_b32_e32 v26, 24, v87
	v_bfrev_b32_e32 v0, 1
	s_mov_b32 s23, exec_lo
	s_delay_alu instid0(VALU_DEP_2)
	v_cmpx_ne_u32_e32 0x80, v26
	s_cbranch_execz .LBB287_2685
; %bb.2680:                             ;   in Loop: Header=BB287_2093 Depth=1
	v_and_b32_e32 v18, 0x7f, v26
	v_mov_b32_e32 v0, 0x7c010000
	s_mov_b32 s24, exec_lo
	s_delay_alu instid0(VALU_DEP_2)
	v_cmpx_ne_u32_e32 0x7f, v18
	s_cbranch_execz .LBB287_2684
; %bb.2681:                             ;   in Loop: Header=BB287_2093 Depth=1
	v_and_b32_e32 v0, 7, v26
	v_lshrrev_b32_e32 v17, 3, v18
	s_mov_b32 s25, exec_lo
	v_cmpx_gt_u32_e32 8, v18
; %bb.2682:                             ;   in Loop: Header=BB287_2093 Depth=1
	s_delay_alu instid0(VALU_DEP_3) | instskip(NEXT) | instid1(VALU_DEP_1)
	v_clz_i32_u32_e32 v0, v0
	v_min_u32_e32 v0, 32, v0
	s_delay_alu instid0(VALU_DEP_1) | instskip(NEXT) | instid1(VALU_DEP_1)
	v_subrev_nc_u32_e32 v14, 28, v0
	v_lshlrev_b64_e32 v[14:15], v14, v[26:27]
	s_delay_alu instid0(VALU_DEP_1)
	v_dual_sub_nc_u32 v17, 29, v0 :: v_dual_bitop2_b32 v0, 7, v14 bitop3:0x40
; %bb.2683:                             ;   in Loop: Header=BB287_2093 Depth=1
	s_or_b32 exec_lo, exec_lo, s25
	s_delay_alu instid0(VALU_DEP_1) | instskip(NEXT) | instid1(VALU_DEP_2)
	v_dual_lshlrev_b32 v14, 8, v26 :: v_dual_lshlrev_b32 v0, 23, v0
	v_lshl_add_u32 v15, v17, 10, 0x2000
	s_delay_alu instid0(VALU_DEP_1) | instskip(NEXT) | instid1(VALU_DEP_1)
	v_and_or_b32 v14, 0x8000, v14, v15
	v_lshl_or_b32 v0, v14, 16, v0
.LBB287_2684:                           ;   in Loop: Header=BB287_2093 Depth=1
	s_or_b32 exec_lo, exec_lo, s24
.LBB287_2685:                           ;   in Loop: Header=BB287_2093 Depth=1
	s_delay_alu instid0(SALU_CYCLE_1)
	s_or_b32 exec_lo, exec_lo, s23
.LBB287_2686:                           ;   in Loop: Header=BB287_2093 Depth=1
	s_delay_alu instid0(SALU_CYCLE_1) | instskip(SKIP_4) | instid1(VALU_DEP_4)
	s_or_b32 exec_lo, exec_lo, s22
	v_dual_lshrrev_b32 v14, 16, v1 :: v_dual_lshrrev_b32 v15, 16, v7
	v_or_b32_e32 v1, v1, v6
	v_or_b32_e32 v8, v7, v8
	;; [unrolled: 1-line block ×3, first 2 shown]
	v_cvt_f32_f16_e32 v7, v14
	v_cvt_f32_f16_e32 v6, v15
	v_lshrrev_b32_e32 v14, 16, v16
	v_dual_lshrrev_b32 v15, 16, v0 :: v_dual_bitop2_b32 v16, v16, v9 bitop3:0x54
	v_cvt_f32_f16_e32 v0, v8
	s_wait_loadcnt_dscnt 0x0
	v_pk_mul_f32 v[6:7], v[84:85], v[6:7] op_sel_hi:[0,1]
	v_cvt_f32_f16_e32 v1, v1
	v_cvt_f32_f16_e32 v9, v14
	;; [unrolled: 1-line block ×5, first 2 shown]
	v_pk_mul_f32 v[0:1], v[84:85], v[0:1] op_sel_hi:[0,1]
	v_cvt_pk_f16_f32 v12, v6, v7
	v_pk_mul_f32 v[6:7], v[84:85], v[8:9] op_sel_hi:[0,1]
	s_delay_alu instid0(VALU_DEP_4) | instskip(NEXT) | instid1(VALU_DEP_4)
	v_pk_mul_f32 v[14:15], v[84:85], v[14:15] op_sel_hi:[0,1]
	v_cvt_pk_f16_f32 v0, v0, v1
	s_delay_alu instid0(VALU_DEP_4) | instskip(NEXT) | instid1(VALU_DEP_4)
	v_and_b32_e32 v9, 0xffff0000, v12
	v_cvt_pk_f16_f32 v6, v6, v7
	s_delay_alu instid0(VALU_DEP_4) | instskip(NEXT) | instid1(VALU_DEP_4)
	v_cvt_pk_f16_f32 v7, v14, v15
	v_and_b32_e32 v98, 0xffff, v0
	v_lshrrev_b32_e32 v97, 16, v0
	v_lshlrev_b32_e32 v86, 16, v12
	v_and_b32_e32 v1, 0xffff0000, v6
	v_dual_lshlrev_b32 v0, 16, v6 :: v_dual_lshrrev_b32 v87, 16, v7
	v_and_b32_e32 v96, 0xffff, v7
	v_or_b32_e32 v85, v9, v97
	v_or_b32_e32 v84, v86, v98
	s_delay_alu instid0(VALU_DEP_4) | instskip(NEXT) | instid1(VALU_DEP_4)
	v_or_b32_e32 v19, v1, v87
	v_or_b32_e32 v26, v0, v96
	s_and_saveexec_b32 s8, s0
	s_cbranch_execz .LBB287_2688
; %bb.2687:                             ;   in Loop: Header=BB287_2093 Depth=1
	v_dual_cndmask_b32 v6, 0, v97, vcc_lo :: v_dual_cndmask_b32 v7, 0, v98, s1
	v_dual_cndmask_b32 v8, 0, v9, s2 :: v_dual_cndmask_b32 v9, 0, v86, s3
	v_dual_cndmask_b32 v12, 0, v87, s4 :: v_dual_cndmask_b32 v14, 0, v96, s5
	;; [unrolled: 1-line block ×3, first 2 shown]
	s_delay_alu instid0(VALU_DEP_3) | instskip(NEXT) | instid1(VALU_DEP_4)
	v_or_b32_e32 v85, v6, v8
	v_or_b32_e32 v84, v7, v9
	s_delay_alu instid0(VALU_DEP_3) | instskip(NEXT) | instid1(VALU_DEP_4)
	v_or_b32_e32 v19, v12, v1
	v_or_b32_e32 v26, v14, v0
.LBB287_2688:                           ;   in Loop: Header=BB287_2093 Depth=1
	s_or_b32 exec_lo, exec_lo, s8
	;;#ASMSTART
	v_pk_mul_f16 v0, v119, v85;

	;;#ASMEND
	;;#ASMSTART
	v_pk_mul_f16 v1, v117, v84;

	;;#ASMEND
	;; [unrolled: 4-line block ×4, first 2 shown]
	;;#ASMSTART
	v_pk_add_f16 v0, v0, v1;

	;;#ASMEND
	;;#ASMSTART
	v_pk_add_f16 v0, v0, v6;

	;;#ASMEND
	;; [unrolled: 4-line block ×3, first 2 shown]
	v_and_b32_e32 v1, 0xffff, v0
	v_lshrrev_b32_e32 v0, 16, v0
	;;#ASMSTART
	v_cvt_f32_f16 v63, v1;
	;;#ASMEND
	v_mov_b32_e32 v1, 0
	;;#ASMSTART
	v_cvt_f32_f16 v72, v0;
	;;#ASMEND
	flat_load_b64 v[86:87], v[82:83] offset:2304
	flat_load_b32 v84, v[22:23]
	v_mov_b32_e32 v6, 0
	s_mov_b32 s22, exec_lo
	s_wait_loadcnt_dscnt 0x101
	v_and_b32_e32 v0, 0xff, v86
	s_wait_xcnt 0x0
	s_delay_alu instid0(VALU_DEP_1)
	v_cmpx_ne_u16_e32 0, v0
	s_cbranch_execz .LBB287_2696
; %bb.2689:                             ;   in Loop: Header=BB287_2093 Depth=1
	v_mov_b32_e32 v6, 0x8000
	s_mov_b32 s23, exec_lo
	v_cmpx_ne_u16_e32 0x80, v0
	s_cbranch_execz .LBB287_2695
; %bb.2690:                             ;   in Loop: Header=BB287_2093 Depth=1
	v_and_b32_e32 v7, 0x7f, v86
	v_mov_b32_e32 v6, 0x7c01
	s_mov_b32 s24, exec_lo
	s_delay_alu instid0(VALU_DEP_2)
	v_cmpx_ne_u32_e32 0x7f, v7
	s_cbranch_execz .LBB287_2694
; %bb.2691:                             ;   in Loop: Header=BB287_2093 Depth=1
	v_dual_lshrrev_b32 v6, 3, v7 :: v_dual_bitop2_b32 v0, 7, v86 bitop3:0x40
	s_mov_b32 s25, exec_lo
	v_cmpx_gt_u32_e32 8, v7
; %bb.2692:                             ;   in Loop: Header=BB287_2093 Depth=1
	s_delay_alu instid0(VALU_DEP_2) | instskip(NEXT) | instid1(VALU_DEP_1)
	v_clz_i32_u32_e32 v0, v0
	v_min_u32_e32 v0, 32, v0
	s_delay_alu instid0(VALU_DEP_1) | instskip(NEXT) | instid1(VALU_DEP_1)
	v_subrev_nc_u32_e32 v6, 28, v0
	v_lshlrev_b64_e32 v[8:9], v6, v[86:87]
	v_sub_nc_u32_e32 v6, 29, v0
	s_delay_alu instid0(VALU_DEP_2)
	v_and_b32_e32 v0, 7, v8
; %bb.2693:                             ;   in Loop: Header=BB287_2093 Depth=1
	s_or_b32 exec_lo, exec_lo, s25
	s_delay_alu instid0(VALU_DEP_1) | instskip(NEXT) | instid1(VALU_DEP_3)
	v_dual_lshlrev_b32 v7, 8, v86 :: v_dual_lshlrev_b32 v0, 7, v0
	v_lshl_add_u32 v6, v6, 10, 0x2000
	s_delay_alu instid0(VALU_DEP_2) | instskip(NEXT) | instid1(VALU_DEP_2)
	v_and_b32_e32 v7, 0x8000, v7
	v_and_b32_e32 v6, 0xfc00, v6
	s_delay_alu instid0(VALU_DEP_1)
	v_or3_b32 v6, v7, v6, v0
.LBB287_2694:                           ;   in Loop: Header=BB287_2093 Depth=1
	s_or_b32 exec_lo, exec_lo, s24
.LBB287_2695:                           ;   in Loop: Header=BB287_2093 Depth=1
	s_delay_alu instid0(SALU_CYCLE_1)
	s_or_b32 exec_lo, exec_lo, s23
.LBB287_2696:                           ;   in Loop: Header=BB287_2093 Depth=1
	s_delay_alu instid0(SALU_CYCLE_1) | instskip(SKIP_2) | instid1(VALU_DEP_1)
	s_or_b32 exec_lo, exec_lo, s22
	v_lshrrev_b16 v26, 8, v86
	s_mov_b32 s22, exec_lo
	v_cmpx_ne_u16_e32 0, v26
	s_cbranch_execz .LBB287_2704
; %bb.2697:                             ;   in Loop: Header=BB287_2093 Depth=1
	v_bfrev_b32_e32 v1, 1
	s_mov_b32 s23, exec_lo
	v_cmpx_ne_u16_e32 0x80, v26
	s_cbranch_execz .LBB287_2703
; %bb.2698:                             ;   in Loop: Header=BB287_2093 Depth=1
	v_and_b32_e32 v0, 0xffff, v26
	v_mov_b32_e32 v1, 0x7c010000
	s_mov_b32 s24, exec_lo
	s_delay_alu instid0(VALU_DEP_2) | instskip(NEXT) | instid1(VALU_DEP_1)
	v_and_b32_e32 v8, 0x7f, v0
	v_cmpx_ne_u32_e32 0x7f, v8
	s_cbranch_execz .LBB287_2702
; %bb.2699:                             ;   in Loop: Header=BB287_2093 Depth=1
	v_and_b32_e32 v1, 7, v0
	v_lshrrev_b32_e32 v7, 3, v8
	s_mov_b32 s25, exec_lo
	v_cmpx_gt_u32_e32 8, v8
; %bb.2700:                             ;   in Loop: Header=BB287_2093 Depth=1
	s_delay_alu instid0(VALU_DEP_3) | instskip(NEXT) | instid1(VALU_DEP_1)
	v_clz_i32_u32_e32 v1, v1
	v_min_u32_e32 v1, 32, v1
	s_delay_alu instid0(VALU_DEP_1) | instskip(NEXT) | instid1(VALU_DEP_1)
	v_subrev_nc_u32_e32 v7, 28, v1
	v_lshlrev_b64_e32 v[8:9], v7, v[26:27]
	s_delay_alu instid0(VALU_DEP_1)
	v_dual_sub_nc_u32 v7, 29, v1 :: v_dual_bitop2_b32 v1, 7, v8 bitop3:0x40
; %bb.2701:                             ;   in Loop: Header=BB287_2093 Depth=1
	s_or_b32 exec_lo, exec_lo, s25
	s_delay_alu instid0(VALU_DEP_1) | instskip(NEXT) | instid1(VALU_DEP_2)
	v_dual_lshlrev_b32 v0, 8, v0 :: v_dual_lshlrev_b32 v1, 23, v1
	v_lshl_add_u32 v7, v7, 10, 0x2000
	s_delay_alu instid0(VALU_DEP_1) | instskip(NEXT) | instid1(VALU_DEP_1)
	v_and_or_b32 v0, 0x8000, v0, v7
	v_lshl_or_b32 v1, v0, 16, v1
.LBB287_2702:                           ;   in Loop: Header=BB287_2093 Depth=1
	s_or_b32 exec_lo, exec_lo, s24
.LBB287_2703:                           ;   in Loop: Header=BB287_2093 Depth=1
	s_delay_alu instid0(SALU_CYCLE_1)
	s_or_b32 exec_lo, exec_lo, s23
.LBB287_2704:                           ;   in Loop: Header=BB287_2093 Depth=1
	s_delay_alu instid0(SALU_CYCLE_1) | instskip(SKIP_3) | instid1(VALU_DEP_2)
	s_or_b32 exec_lo, exec_lo, s22
	v_dual_mov_b32 v7, 0 :: v_dual_lshrrev_b32 v0, 16, v86
	v_mov_b32_e32 v8, 0
	s_mov_b32 s22, exec_lo
	v_and_b32_e32 v9, 0xff, v0
	s_delay_alu instid0(VALU_DEP_1)
	v_cmpx_ne_u16_e32 0, v9
	s_cbranch_execz .LBB287_2712
; %bb.2705:                             ;   in Loop: Header=BB287_2093 Depth=1
	v_mov_b32_e32 v8, 0x8000
	s_mov_b32 s23, exec_lo
	v_cmpx_ne_u16_e32 0x80, v9
	s_cbranch_execz .LBB287_2711
; %bb.2706:                             ;   in Loop: Header=BB287_2093 Depth=1
	v_bfe_u32 v12, v86, 16, 7
	v_mov_b32_e32 v8, 0x7c01
	s_mov_b32 s24, exec_lo
	s_delay_alu instid0(VALU_DEP_2)
	v_cmpx_ne_u32_e32 0x7f, v12
	s_cbranch_execz .LBB287_2710
; %bb.2707:                             ;   in Loop: Header=BB287_2093 Depth=1
	v_and_b32_e32 v8, 7, v0
	v_lshrrev_b32_e32 v9, 3, v12
	s_mov_b32 s25, exec_lo
	v_cmpx_gt_u32_e32 8, v12
; %bb.2708:                             ;   in Loop: Header=BB287_2093 Depth=1
	s_delay_alu instid0(VALU_DEP_3) | instskip(NEXT) | instid1(VALU_DEP_1)
	v_clz_i32_u32_e32 v8, v8
	v_min_u32_e32 v12, 32, v8
	s_delay_alu instid0(VALU_DEP_1) | instskip(NEXT) | instid1(VALU_DEP_1)
	v_subrev_nc_u32_e32 v8, 28, v12
	v_lshlrev_b64_e32 v[8:9], v8, v[0:1]
	v_sub_nc_u32_e32 v9, 29, v12
	s_delay_alu instid0(VALU_DEP_2)
	v_and_b32_e32 v8, 7, v8
; %bb.2709:                             ;   in Loop: Header=BB287_2093 Depth=1
	s_or_b32 exec_lo, exec_lo, s25
	v_lshlrev_b32_e32 v0, 8, v0
	s_delay_alu instid0(VALU_DEP_3) | instskip(NEXT) | instid1(VALU_DEP_3)
	v_lshl_add_u32 v9, v9, 10, 0x2000
	v_lshlrev_b32_e32 v8, 7, v8
	s_delay_alu instid0(VALU_DEP_3) | instskip(NEXT) | instid1(VALU_DEP_3)
	v_and_b32_e32 v0, 0x8000, v0
	v_and_b32_e32 v9, 0xfc00, v9
	s_delay_alu instid0(VALU_DEP_1)
	v_or3_b32 v8, v0, v9, v8
.LBB287_2710:                           ;   in Loop: Header=BB287_2093 Depth=1
	s_or_b32 exec_lo, exec_lo, s24
.LBB287_2711:                           ;   in Loop: Header=BB287_2093 Depth=1
	s_delay_alu instid0(SALU_CYCLE_1)
	s_or_b32 exec_lo, exec_lo, s23
.LBB287_2712:                           ;   in Loop: Header=BB287_2093 Depth=1
	s_delay_alu instid0(SALU_CYCLE_1) | instskip(NEXT) | instid1(SALU_CYCLE_1)
	s_or_b32 exec_lo, exec_lo, s22
	s_mov_b32 s22, exec_lo
	v_cmpx_lt_u32_e32 0xffffff, v86
	s_cbranch_execz .LBB287_2720
; %bb.2713:                             ;   in Loop: Header=BB287_2093 Depth=1
	v_lshrrev_b32_e32 v26, 24, v86
	v_bfrev_b32_e32 v7, 1
	s_mov_b32 s23, exec_lo
	s_delay_alu instid0(VALU_DEP_2)
	v_cmpx_ne_u32_e32 0x80, v26
	s_cbranch_execz .LBB287_2719
; %bb.2714:                             ;   in Loop: Header=BB287_2093 Depth=1
	v_and_b32_e32 v9, 0x7f, v26
	v_mov_b32_e32 v7, 0x7c010000
	s_mov_b32 s24, exec_lo
	s_delay_alu instid0(VALU_DEP_2)
	v_cmpx_ne_u32_e32 0x7f, v9
	s_cbranch_execz .LBB287_2718
; %bb.2715:                             ;   in Loop: Header=BB287_2093 Depth=1
	v_dual_lshrrev_b32 v7, 3, v9 :: v_dual_bitop2_b32 v0, 7, v26 bitop3:0x40
	s_mov_b32 s25, exec_lo
	v_cmpx_gt_u32_e32 8, v9
; %bb.2716:                             ;   in Loop: Header=BB287_2093 Depth=1
	s_delay_alu instid0(VALU_DEP_2) | instskip(NEXT) | instid1(VALU_DEP_1)
	v_clz_i32_u32_e32 v0, v0
	v_min_u32_e32 v0, 32, v0
	s_delay_alu instid0(VALU_DEP_1) | instskip(NEXT) | instid1(VALU_DEP_1)
	v_subrev_nc_u32_e32 v7, 28, v0
	v_lshlrev_b64_e32 v[14:15], v7, v[26:27]
	s_delay_alu instid0(VALU_DEP_1)
	v_dual_sub_nc_u32 v7, 29, v0 :: v_dual_bitop2_b32 v0, 7, v14 bitop3:0x40
; %bb.2717:                             ;   in Loop: Header=BB287_2093 Depth=1
	s_or_b32 exec_lo, exec_lo, s25
	s_delay_alu instid0(VALU_DEP_1) | instskip(NEXT) | instid1(VALU_DEP_2)
	v_dual_lshlrev_b32 v9, 8, v26 :: v_dual_lshlrev_b32 v0, 23, v0
	v_lshl_add_u32 v7, v7, 10, 0x2000
	s_delay_alu instid0(VALU_DEP_1) | instskip(NEXT) | instid1(VALU_DEP_1)
	v_and_or_b32 v7, 0x8000, v9, v7
	v_lshl_or_b32 v7, v7, 16, v0
.LBB287_2718:                           ;   in Loop: Header=BB287_2093 Depth=1
	s_or_b32 exec_lo, exec_lo, s24
.LBB287_2719:                           ;   in Loop: Header=BB287_2093 Depth=1
	s_delay_alu instid0(SALU_CYCLE_1)
	s_or_b32 exec_lo, exec_lo, s23
.LBB287_2720:                           ;   in Loop: Header=BB287_2093 Depth=1
	s_delay_alu instid0(SALU_CYCLE_1) | instskip(SKIP_4) | instid1(VALU_DEP_3)
	s_or_b32 exec_lo, exec_lo, s22
	v_and_b32_e32 v0, 0xff, v87
	v_dual_mov_b32 v26, v87 :: v_dual_mov_b32 v12, 0
	v_mov_b32_e32 v9, 0
	s_mov_b32 s22, exec_lo
	v_cmpx_ne_u16_e32 0, v0
	s_cbranch_execz .LBB287_2728
; %bb.2721:                             ;   in Loop: Header=BB287_2093 Depth=1
	v_mov_b32_e32 v9, 0x8000
	s_mov_b32 s23, exec_lo
	v_cmpx_ne_u16_e32 0x80, v0
	s_cbranch_execz .LBB287_2727
; %bb.2722:                             ;   in Loop: Header=BB287_2093 Depth=1
	v_and_b32_e32 v16, 0x7f, v87
	v_mov_b32_e32 v9, 0x7c01
	s_mov_b32 s24, exec_lo
	s_delay_alu instid0(VALU_DEP_2)
	v_cmpx_ne_u32_e32 0x7f, v16
	s_cbranch_execz .LBB287_2726
; %bb.2723:                             ;   in Loop: Header=BB287_2093 Depth=1
	v_dual_lshrrev_b32 v9, 3, v16 :: v_dual_bitop2_b32 v0, 7, v87 bitop3:0x40
	s_mov_b32 s25, exec_lo
	v_cmpx_gt_u32_e32 8, v16
; %bb.2724:                             ;   in Loop: Header=BB287_2093 Depth=1
	s_delay_alu instid0(VALU_DEP_2) | instskip(NEXT) | instid1(VALU_DEP_1)
	v_clz_i32_u32_e32 v0, v0
	v_min_u32_e32 v0, 32, v0
	s_delay_alu instid0(VALU_DEP_1) | instskip(NEXT) | instid1(VALU_DEP_1)
	v_subrev_nc_u32_e32 v9, 28, v0
	v_lshlrev_b64_e32 v[14:15], v9, v[26:27]
	s_delay_alu instid0(VALU_DEP_1)
	v_dual_sub_nc_u32 v9, 29, v0 :: v_dual_bitop2_b32 v0, 7, v14 bitop3:0x40
; %bb.2725:                             ;   in Loop: Header=BB287_2093 Depth=1
	s_or_b32 exec_lo, exec_lo, s25
	s_delay_alu instid0(VALU_DEP_1) | instskip(NEXT) | instid1(VALU_DEP_2)
	v_dual_lshlrev_b32 v14, 8, v87 :: v_dual_lshlrev_b32 v0, 7, v0
	v_lshl_add_u32 v9, v9, 10, 0x2000
	s_delay_alu instid0(VALU_DEP_2) | instskip(NEXT) | instid1(VALU_DEP_2)
	v_and_b32_e32 v14, 0x8000, v14
	v_and_b32_e32 v9, 0xfc00, v9
	s_delay_alu instid0(VALU_DEP_1)
	v_or3_b32 v9, v14, v9, v0
.LBB287_2726:                           ;   in Loop: Header=BB287_2093 Depth=1
	s_or_b32 exec_lo, exec_lo, s24
.LBB287_2727:                           ;   in Loop: Header=BB287_2093 Depth=1
	s_delay_alu instid0(SALU_CYCLE_1)
	s_or_b32 exec_lo, exec_lo, s23
.LBB287_2728:                           ;   in Loop: Header=BB287_2093 Depth=1
	s_delay_alu instid0(SALU_CYCLE_1) | instskip(SKIP_3) | instid1(VALU_DEP_2)
	s_or_b32 exec_lo, exec_lo, s22
	v_lshrrev_b16 v26, 8, v26
	v_mov_b32_e32 v16, 0
	s_mov_b32 s22, exec_lo
	v_cmpx_ne_u16_e32 0, v26
	s_cbranch_execz .LBB287_2736
; %bb.2729:                             ;   in Loop: Header=BB287_2093 Depth=1
	v_bfrev_b32_e32 v16, 1
	s_mov_b32 s23, exec_lo
	v_cmpx_ne_u16_e32 0x80, v26
	s_cbranch_execz .LBB287_2735
; %bb.2730:                             ;   in Loop: Header=BB287_2093 Depth=1
	v_and_b32_e32 v0, 0xffff, v26
	v_mov_b32_e32 v16, 0x7c010000
	s_mov_b32 s24, exec_lo
	s_delay_alu instid0(VALU_DEP_2) | instskip(NEXT) | instid1(VALU_DEP_1)
	v_and_b32_e32 v18, 0x7f, v0
	v_cmpx_ne_u32_e32 0x7f, v18
	s_cbranch_execz .LBB287_2734
; %bb.2731:                             ;   in Loop: Header=BB287_2093 Depth=1
	v_dual_lshrrev_b32 v17, 3, v18 :: v_dual_bitop2_b32 v16, 7, v0 bitop3:0x40
	s_mov_b32 s25, exec_lo
	v_cmpx_gt_u32_e32 8, v18
; %bb.2732:                             ;   in Loop: Header=BB287_2093 Depth=1
	s_delay_alu instid0(VALU_DEP_2) | instskip(NEXT) | instid1(VALU_DEP_1)
	v_clz_i32_u32_e32 v14, v16
	v_min_u32_e32 v16, 32, v14
	s_delay_alu instid0(VALU_DEP_1) | instskip(NEXT) | instid1(VALU_DEP_1)
	v_subrev_nc_u32_e32 v14, 28, v16
	v_lshlrev_b64_e32 v[14:15], v14, v[26:27]
	s_delay_alu instid0(VALU_DEP_1)
	v_dual_sub_nc_u32 v17, 29, v16 :: v_dual_bitop2_b32 v16, 7, v14 bitop3:0x40
; %bb.2733:                             ;   in Loop: Header=BB287_2093 Depth=1
	s_or_b32 exec_lo, exec_lo, s25
	v_lshlrev_b32_e32 v0, 8, v0
	s_delay_alu instid0(VALU_DEP_2) | instskip(NEXT) | instid1(VALU_DEP_1)
	v_lshl_add_u32 v14, v17, 10, 0x2000
	v_and_or_b32 v0, 0x8000, v0, v14
	v_lshlrev_b32_e32 v14, 23, v16
	s_delay_alu instid0(VALU_DEP_1)
	v_lshl_or_b32 v16, v0, 16, v14
.LBB287_2734:                           ;   in Loop: Header=BB287_2093 Depth=1
	s_or_b32 exec_lo, exec_lo, s24
.LBB287_2735:                           ;   in Loop: Header=BB287_2093 Depth=1
	s_delay_alu instid0(SALU_CYCLE_1)
	s_or_b32 exec_lo, exec_lo, s23
.LBB287_2736:                           ;   in Loop: Header=BB287_2093 Depth=1
	s_delay_alu instid0(SALU_CYCLE_1) | instskip(SKIP_2) | instid1(VALU_DEP_1)
	s_or_b32 exec_lo, exec_lo, s22
	v_lshrrev_b32_e32 v0, 16, v87
	s_mov_b32 s22, exec_lo
	v_and_b32_e32 v17, 0xff, v0
	s_delay_alu instid0(VALU_DEP_1)
	v_cmpx_ne_u16_e32 0, v17
	s_cbranch_execz .LBB287_2744
; %bb.2737:                             ;   in Loop: Header=BB287_2093 Depth=1
	v_mov_b32_e32 v12, 0x8000
	s_mov_b32 s23, exec_lo
	v_cmpx_ne_u16_e32 0x80, v17
	s_cbranch_execz .LBB287_2743
; %bb.2738:                             ;   in Loop: Header=BB287_2093 Depth=1
	v_bfe_u32 v18, v87, 16, 7
	v_mov_b32_e32 v12, 0x7c01
	s_mov_b32 s24, exec_lo
	s_delay_alu instid0(VALU_DEP_2)
	v_cmpx_ne_u32_e32 0x7f, v18
	s_cbranch_execz .LBB287_2742
; %bb.2739:                             ;   in Loop: Header=BB287_2093 Depth=1
	v_dual_lshrrev_b32 v17, 3, v18 :: v_dual_bitop2_b32 v12, 7, v0 bitop3:0x40
	s_mov_b32 s25, exec_lo
	v_cmpx_gt_u32_e32 8, v18
; %bb.2740:                             ;   in Loop: Header=BB287_2093 Depth=1
	s_delay_alu instid0(VALU_DEP_2) | instskip(NEXT) | instid1(VALU_DEP_1)
	v_clz_i32_u32_e32 v12, v12
	v_min_u32_e32 v12, 32, v12
	s_delay_alu instid0(VALU_DEP_1) | instskip(NEXT) | instid1(VALU_DEP_1)
	v_subrev_nc_u32_e32 v14, 28, v12
	v_lshlrev_b64_e32 v[14:15], v14, v[0:1]
	s_delay_alu instid0(VALU_DEP_1)
	v_dual_sub_nc_u32 v17, 29, v12 :: v_dual_bitop2_b32 v12, 7, v14 bitop3:0x40
; %bb.2741:                             ;   in Loop: Header=BB287_2093 Depth=1
	s_or_b32 exec_lo, exec_lo, s25
	v_lshlrev_b32_e32 v0, 8, v0
	s_delay_alu instid0(VALU_DEP_2) | instskip(NEXT) | instid1(VALU_DEP_3)
	v_lshl_add_u32 v14, v17, 10, 0x2000
	v_lshlrev_b32_e32 v12, 7, v12
	s_delay_alu instid0(VALU_DEP_3) | instskip(NEXT) | instid1(VALU_DEP_3)
	v_and_b32_e32 v0, 0x8000, v0
	v_and_b32_e32 v14, 0xfc00, v14
	s_delay_alu instid0(VALU_DEP_1)
	v_or3_b32 v12, v0, v14, v12
.LBB287_2742:                           ;   in Loop: Header=BB287_2093 Depth=1
	s_or_b32 exec_lo, exec_lo, s24
.LBB287_2743:                           ;   in Loop: Header=BB287_2093 Depth=1
	s_delay_alu instid0(SALU_CYCLE_1)
	s_or_b32 exec_lo, exec_lo, s23
.LBB287_2744:                           ;   in Loop: Header=BB287_2093 Depth=1
	s_delay_alu instid0(SALU_CYCLE_1)
	s_or_b32 exec_lo, exec_lo, s22
	v_mov_b32_e32 v0, 0
	s_mov_b32 s22, exec_lo
	v_cmpx_lt_u64_e64 s[14:15], v[86:87]
	s_cbranch_execz .LBB287_2752
; %bb.2745:                             ;   in Loop: Header=BB287_2093 Depth=1
	v_lshrrev_b32_e32 v26, 24, v87
	v_bfrev_b32_e32 v0, 1
	s_mov_b32 s23, exec_lo
	s_delay_alu instid0(VALU_DEP_2)
	v_cmpx_ne_u32_e32 0x80, v26
	s_cbranch_execz .LBB287_2751
; %bb.2746:                             ;   in Loop: Header=BB287_2093 Depth=1
	v_and_b32_e32 v18, 0x7f, v26
	v_mov_b32_e32 v0, 0x7c010000
	s_mov_b32 s24, exec_lo
	s_delay_alu instid0(VALU_DEP_2)
	v_cmpx_ne_u32_e32 0x7f, v18
	s_cbranch_execz .LBB287_2750
; %bb.2747:                             ;   in Loop: Header=BB287_2093 Depth=1
	v_and_b32_e32 v0, 7, v26
	v_lshrrev_b32_e32 v17, 3, v18
	s_mov_b32 s25, exec_lo
	v_cmpx_gt_u32_e32 8, v18
; %bb.2748:                             ;   in Loop: Header=BB287_2093 Depth=1
	s_delay_alu instid0(VALU_DEP_3) | instskip(NEXT) | instid1(VALU_DEP_1)
	v_clz_i32_u32_e32 v0, v0
	v_min_u32_e32 v0, 32, v0
	s_delay_alu instid0(VALU_DEP_1) | instskip(NEXT) | instid1(VALU_DEP_1)
	v_subrev_nc_u32_e32 v14, 28, v0
	v_lshlrev_b64_e32 v[14:15], v14, v[26:27]
	s_delay_alu instid0(VALU_DEP_1)
	v_dual_sub_nc_u32 v17, 29, v0 :: v_dual_bitop2_b32 v0, 7, v14 bitop3:0x40
; %bb.2749:                             ;   in Loop: Header=BB287_2093 Depth=1
	s_or_b32 exec_lo, exec_lo, s25
	s_delay_alu instid0(VALU_DEP_1) | instskip(NEXT) | instid1(VALU_DEP_2)
	v_dual_lshlrev_b32 v14, 8, v26 :: v_dual_lshlrev_b32 v0, 23, v0
	v_lshl_add_u32 v15, v17, 10, 0x2000
	s_delay_alu instid0(VALU_DEP_1) | instskip(NEXT) | instid1(VALU_DEP_1)
	v_and_or_b32 v14, 0x8000, v14, v15
	v_lshl_or_b32 v0, v14, 16, v0
.LBB287_2750:                           ;   in Loop: Header=BB287_2093 Depth=1
	s_or_b32 exec_lo, exec_lo, s24
.LBB287_2751:                           ;   in Loop: Header=BB287_2093 Depth=1
	s_delay_alu instid0(SALU_CYCLE_1)
	s_or_b32 exec_lo, exec_lo, s23
.LBB287_2752:                           ;   in Loop: Header=BB287_2093 Depth=1
	s_delay_alu instid0(SALU_CYCLE_1) | instskip(SKIP_4) | instid1(VALU_DEP_4)
	s_or_b32 exec_lo, exec_lo, s22
	v_dual_lshrrev_b32 v14, 16, v1 :: v_dual_lshrrev_b32 v15, 16, v7
	v_or_b32_e32 v1, v1, v6
	v_or_b32_e32 v8, v7, v8
	;; [unrolled: 1-line block ×3, first 2 shown]
	v_cvt_f32_f16_e32 v7, v14
	v_cvt_f32_f16_e32 v6, v15
	v_lshrrev_b32_e32 v14, 16, v16
	v_dual_lshrrev_b32 v15, 16, v0 :: v_dual_bitop2_b32 v16, v16, v9 bitop3:0x54
	v_cvt_f32_f16_e32 v0, v8
	s_wait_loadcnt_dscnt 0x0
	v_pk_mul_f32 v[6:7], v[84:85], v[6:7] op_sel_hi:[0,1]
	v_cvt_f32_f16_e32 v1, v1
	v_cvt_f32_f16_e32 v9, v14
	;; [unrolled: 1-line block ×5, first 2 shown]
	v_pk_mul_f32 v[0:1], v[84:85], v[0:1] op_sel_hi:[0,1]
	v_cvt_pk_f16_f32 v12, v6, v7
	v_pk_mul_f32 v[6:7], v[84:85], v[8:9] op_sel_hi:[0,1]
	s_delay_alu instid0(VALU_DEP_4) | instskip(NEXT) | instid1(VALU_DEP_4)
	v_pk_mul_f32 v[14:15], v[84:85], v[14:15] op_sel_hi:[0,1]
	v_cvt_pk_f16_f32 v0, v0, v1
	s_delay_alu instid0(VALU_DEP_4) | instskip(NEXT) | instid1(VALU_DEP_4)
	v_and_b32_e32 v9, 0xffff0000, v12
	v_cvt_pk_f16_f32 v6, v6, v7
	s_delay_alu instid0(VALU_DEP_4) | instskip(NEXT) | instid1(VALU_DEP_4)
	v_cvt_pk_f16_f32 v7, v14, v15
	v_and_b32_e32 v98, 0xffff, v0
	v_lshrrev_b32_e32 v97, 16, v0
	v_lshlrev_b32_e32 v86, 16, v12
	v_and_b32_e32 v1, 0xffff0000, v6
	v_dual_lshlrev_b32 v0, 16, v6 :: v_dual_lshrrev_b32 v87, 16, v7
	v_and_b32_e32 v96, 0xffff, v7
	v_or_b32_e32 v85, v9, v97
	v_or_b32_e32 v84, v86, v98
	s_delay_alu instid0(VALU_DEP_4) | instskip(NEXT) | instid1(VALU_DEP_4)
	v_or_b32_e32 v19, v1, v87
	v_or_b32_e32 v26, v0, v96
	s_and_saveexec_b32 s8, s0
	s_cbranch_execz .LBB287_2754
; %bb.2753:                             ;   in Loop: Header=BB287_2093 Depth=1
	v_dual_cndmask_b32 v6, 0, v97, vcc_lo :: v_dual_cndmask_b32 v7, 0, v98, s1
	v_dual_cndmask_b32 v8, 0, v9, s2 :: v_dual_cndmask_b32 v9, 0, v86, s3
	v_dual_cndmask_b32 v12, 0, v87, s4 :: v_dual_cndmask_b32 v14, 0, v96, s5
	;; [unrolled: 1-line block ×3, first 2 shown]
	s_delay_alu instid0(VALU_DEP_3) | instskip(NEXT) | instid1(VALU_DEP_4)
	v_or_b32_e32 v85, v6, v8
	v_or_b32_e32 v84, v7, v9
	s_delay_alu instid0(VALU_DEP_3) | instskip(NEXT) | instid1(VALU_DEP_4)
	v_or_b32_e32 v19, v12, v1
	v_or_b32_e32 v26, v14, v0
.LBB287_2754:                           ;   in Loop: Header=BB287_2093 Depth=1
	s_or_b32 exec_lo, exec_lo, s8
	;;#ASMSTART
	v_pk_mul_f16 v0, v119, v85;

	;;#ASMEND
	;;#ASMSTART
	v_pk_mul_f16 v1, v117, v84;

	;;#ASMEND
	;; [unrolled: 4-line block ×4, first 2 shown]
	;;#ASMSTART
	v_pk_add_f16 v0, v0, v1;

	;;#ASMEND
	;;#ASMSTART
	v_pk_add_f16 v0, v0, v6;

	;;#ASMEND
	;; [unrolled: 4-line block ×3, first 2 shown]
	v_and_b32_e32 v1, 0xffff, v0
	v_lshrrev_b32_e32 v0, 16, v0
	;;#ASMSTART
	v_cvt_f32_f16 v73, v1;
	;;#ASMEND
	v_mov_b32_e32 v1, 0
	;;#ASMSTART
	v_cvt_f32_f16 v74, v0;
	;;#ASMEND
	flat_load_b64 v[86:87], v[82:83] offset:2560
	flat_load_b32 v84, v[22:23]
	v_mov_b32_e32 v6, 0
	s_mov_b32 s22, exec_lo
	s_wait_loadcnt_dscnt 0x101
	v_and_b32_e32 v0, 0xff, v86
	s_wait_xcnt 0x0
	s_delay_alu instid0(VALU_DEP_1)
	v_cmpx_ne_u16_e32 0, v0
	s_cbranch_execz .LBB287_2762
; %bb.2755:                             ;   in Loop: Header=BB287_2093 Depth=1
	v_mov_b32_e32 v6, 0x8000
	s_mov_b32 s23, exec_lo
	v_cmpx_ne_u16_e32 0x80, v0
	s_cbranch_execz .LBB287_2761
; %bb.2756:                             ;   in Loop: Header=BB287_2093 Depth=1
	v_and_b32_e32 v7, 0x7f, v86
	v_mov_b32_e32 v6, 0x7c01
	s_mov_b32 s24, exec_lo
	s_delay_alu instid0(VALU_DEP_2)
	v_cmpx_ne_u32_e32 0x7f, v7
	s_cbranch_execz .LBB287_2760
; %bb.2757:                             ;   in Loop: Header=BB287_2093 Depth=1
	v_dual_lshrrev_b32 v6, 3, v7 :: v_dual_bitop2_b32 v0, 7, v86 bitop3:0x40
	s_mov_b32 s25, exec_lo
	v_cmpx_gt_u32_e32 8, v7
; %bb.2758:                             ;   in Loop: Header=BB287_2093 Depth=1
	s_delay_alu instid0(VALU_DEP_2) | instskip(NEXT) | instid1(VALU_DEP_1)
	v_clz_i32_u32_e32 v0, v0
	v_min_u32_e32 v0, 32, v0
	s_delay_alu instid0(VALU_DEP_1) | instskip(NEXT) | instid1(VALU_DEP_1)
	v_subrev_nc_u32_e32 v6, 28, v0
	v_lshlrev_b64_e32 v[8:9], v6, v[86:87]
	v_sub_nc_u32_e32 v6, 29, v0
	s_delay_alu instid0(VALU_DEP_2)
	v_and_b32_e32 v0, 7, v8
; %bb.2759:                             ;   in Loop: Header=BB287_2093 Depth=1
	s_or_b32 exec_lo, exec_lo, s25
	s_delay_alu instid0(VALU_DEP_1) | instskip(NEXT) | instid1(VALU_DEP_3)
	v_dual_lshlrev_b32 v7, 8, v86 :: v_dual_lshlrev_b32 v0, 7, v0
	v_lshl_add_u32 v6, v6, 10, 0x2000
	s_delay_alu instid0(VALU_DEP_2) | instskip(NEXT) | instid1(VALU_DEP_2)
	v_and_b32_e32 v7, 0x8000, v7
	v_and_b32_e32 v6, 0xfc00, v6
	s_delay_alu instid0(VALU_DEP_1)
	v_or3_b32 v6, v7, v6, v0
.LBB287_2760:                           ;   in Loop: Header=BB287_2093 Depth=1
	s_or_b32 exec_lo, exec_lo, s24
.LBB287_2761:                           ;   in Loop: Header=BB287_2093 Depth=1
	s_delay_alu instid0(SALU_CYCLE_1)
	s_or_b32 exec_lo, exec_lo, s23
.LBB287_2762:                           ;   in Loop: Header=BB287_2093 Depth=1
	s_delay_alu instid0(SALU_CYCLE_1) | instskip(SKIP_2) | instid1(VALU_DEP_1)
	s_or_b32 exec_lo, exec_lo, s22
	v_lshrrev_b16 v26, 8, v86
	s_mov_b32 s22, exec_lo
	v_cmpx_ne_u16_e32 0, v26
	s_cbranch_execz .LBB287_2770
; %bb.2763:                             ;   in Loop: Header=BB287_2093 Depth=1
	v_bfrev_b32_e32 v1, 1
	s_mov_b32 s23, exec_lo
	v_cmpx_ne_u16_e32 0x80, v26
	s_cbranch_execz .LBB287_2769
; %bb.2764:                             ;   in Loop: Header=BB287_2093 Depth=1
	v_and_b32_e32 v0, 0xffff, v26
	v_mov_b32_e32 v1, 0x7c010000
	s_mov_b32 s24, exec_lo
	s_delay_alu instid0(VALU_DEP_2) | instskip(NEXT) | instid1(VALU_DEP_1)
	v_and_b32_e32 v8, 0x7f, v0
	v_cmpx_ne_u32_e32 0x7f, v8
	s_cbranch_execz .LBB287_2768
; %bb.2765:                             ;   in Loop: Header=BB287_2093 Depth=1
	v_and_b32_e32 v1, 7, v0
	v_lshrrev_b32_e32 v7, 3, v8
	s_mov_b32 s25, exec_lo
	v_cmpx_gt_u32_e32 8, v8
; %bb.2766:                             ;   in Loop: Header=BB287_2093 Depth=1
	s_delay_alu instid0(VALU_DEP_3) | instskip(NEXT) | instid1(VALU_DEP_1)
	v_clz_i32_u32_e32 v1, v1
	v_min_u32_e32 v1, 32, v1
	s_delay_alu instid0(VALU_DEP_1) | instskip(NEXT) | instid1(VALU_DEP_1)
	v_subrev_nc_u32_e32 v7, 28, v1
	v_lshlrev_b64_e32 v[8:9], v7, v[26:27]
	s_delay_alu instid0(VALU_DEP_1)
	v_dual_sub_nc_u32 v7, 29, v1 :: v_dual_bitop2_b32 v1, 7, v8 bitop3:0x40
; %bb.2767:                             ;   in Loop: Header=BB287_2093 Depth=1
	s_or_b32 exec_lo, exec_lo, s25
	s_delay_alu instid0(VALU_DEP_1) | instskip(NEXT) | instid1(VALU_DEP_2)
	v_dual_lshlrev_b32 v0, 8, v0 :: v_dual_lshlrev_b32 v1, 23, v1
	v_lshl_add_u32 v7, v7, 10, 0x2000
	s_delay_alu instid0(VALU_DEP_1) | instskip(NEXT) | instid1(VALU_DEP_1)
	v_and_or_b32 v0, 0x8000, v0, v7
	v_lshl_or_b32 v1, v0, 16, v1
.LBB287_2768:                           ;   in Loop: Header=BB287_2093 Depth=1
	s_or_b32 exec_lo, exec_lo, s24
.LBB287_2769:                           ;   in Loop: Header=BB287_2093 Depth=1
	s_delay_alu instid0(SALU_CYCLE_1)
	s_or_b32 exec_lo, exec_lo, s23
.LBB287_2770:                           ;   in Loop: Header=BB287_2093 Depth=1
	s_delay_alu instid0(SALU_CYCLE_1) | instskip(SKIP_3) | instid1(VALU_DEP_2)
	s_or_b32 exec_lo, exec_lo, s22
	v_dual_mov_b32 v7, 0 :: v_dual_lshrrev_b32 v0, 16, v86
	v_mov_b32_e32 v8, 0
	s_mov_b32 s22, exec_lo
	v_and_b32_e32 v9, 0xff, v0
	s_delay_alu instid0(VALU_DEP_1)
	v_cmpx_ne_u16_e32 0, v9
	s_cbranch_execz .LBB287_2778
; %bb.2771:                             ;   in Loop: Header=BB287_2093 Depth=1
	v_mov_b32_e32 v8, 0x8000
	s_mov_b32 s23, exec_lo
	v_cmpx_ne_u16_e32 0x80, v9
	s_cbranch_execz .LBB287_2777
; %bb.2772:                             ;   in Loop: Header=BB287_2093 Depth=1
	v_bfe_u32 v12, v86, 16, 7
	v_mov_b32_e32 v8, 0x7c01
	s_mov_b32 s24, exec_lo
	s_delay_alu instid0(VALU_DEP_2)
	v_cmpx_ne_u32_e32 0x7f, v12
	s_cbranch_execz .LBB287_2776
; %bb.2773:                             ;   in Loop: Header=BB287_2093 Depth=1
	v_and_b32_e32 v8, 7, v0
	v_lshrrev_b32_e32 v9, 3, v12
	s_mov_b32 s25, exec_lo
	v_cmpx_gt_u32_e32 8, v12
; %bb.2774:                             ;   in Loop: Header=BB287_2093 Depth=1
	s_delay_alu instid0(VALU_DEP_3) | instskip(NEXT) | instid1(VALU_DEP_1)
	v_clz_i32_u32_e32 v8, v8
	v_min_u32_e32 v12, 32, v8
	s_delay_alu instid0(VALU_DEP_1) | instskip(NEXT) | instid1(VALU_DEP_1)
	v_subrev_nc_u32_e32 v8, 28, v12
	v_lshlrev_b64_e32 v[8:9], v8, v[0:1]
	v_sub_nc_u32_e32 v9, 29, v12
	s_delay_alu instid0(VALU_DEP_2)
	v_and_b32_e32 v8, 7, v8
; %bb.2775:                             ;   in Loop: Header=BB287_2093 Depth=1
	s_or_b32 exec_lo, exec_lo, s25
	v_lshlrev_b32_e32 v0, 8, v0
	s_delay_alu instid0(VALU_DEP_3) | instskip(NEXT) | instid1(VALU_DEP_3)
	v_lshl_add_u32 v9, v9, 10, 0x2000
	v_lshlrev_b32_e32 v8, 7, v8
	s_delay_alu instid0(VALU_DEP_3) | instskip(NEXT) | instid1(VALU_DEP_3)
	v_and_b32_e32 v0, 0x8000, v0
	v_and_b32_e32 v9, 0xfc00, v9
	s_delay_alu instid0(VALU_DEP_1)
	v_or3_b32 v8, v0, v9, v8
.LBB287_2776:                           ;   in Loop: Header=BB287_2093 Depth=1
	s_or_b32 exec_lo, exec_lo, s24
.LBB287_2777:                           ;   in Loop: Header=BB287_2093 Depth=1
	s_delay_alu instid0(SALU_CYCLE_1)
	s_or_b32 exec_lo, exec_lo, s23
.LBB287_2778:                           ;   in Loop: Header=BB287_2093 Depth=1
	s_delay_alu instid0(SALU_CYCLE_1) | instskip(NEXT) | instid1(SALU_CYCLE_1)
	s_or_b32 exec_lo, exec_lo, s22
	s_mov_b32 s22, exec_lo
	v_cmpx_lt_u32_e32 0xffffff, v86
	s_cbranch_execz .LBB287_2786
; %bb.2779:                             ;   in Loop: Header=BB287_2093 Depth=1
	v_lshrrev_b32_e32 v26, 24, v86
	v_bfrev_b32_e32 v7, 1
	s_mov_b32 s23, exec_lo
	s_delay_alu instid0(VALU_DEP_2)
	v_cmpx_ne_u32_e32 0x80, v26
	s_cbranch_execz .LBB287_2785
; %bb.2780:                             ;   in Loop: Header=BB287_2093 Depth=1
	v_and_b32_e32 v9, 0x7f, v26
	v_mov_b32_e32 v7, 0x7c010000
	s_mov_b32 s24, exec_lo
	s_delay_alu instid0(VALU_DEP_2)
	v_cmpx_ne_u32_e32 0x7f, v9
	s_cbranch_execz .LBB287_2784
; %bb.2781:                             ;   in Loop: Header=BB287_2093 Depth=1
	v_dual_lshrrev_b32 v7, 3, v9 :: v_dual_bitop2_b32 v0, 7, v26 bitop3:0x40
	s_mov_b32 s25, exec_lo
	v_cmpx_gt_u32_e32 8, v9
; %bb.2782:                             ;   in Loop: Header=BB287_2093 Depth=1
	s_delay_alu instid0(VALU_DEP_2) | instskip(NEXT) | instid1(VALU_DEP_1)
	v_clz_i32_u32_e32 v0, v0
	v_min_u32_e32 v0, 32, v0
	s_delay_alu instid0(VALU_DEP_1) | instskip(NEXT) | instid1(VALU_DEP_1)
	v_subrev_nc_u32_e32 v7, 28, v0
	v_lshlrev_b64_e32 v[14:15], v7, v[26:27]
	s_delay_alu instid0(VALU_DEP_1)
	v_dual_sub_nc_u32 v7, 29, v0 :: v_dual_bitop2_b32 v0, 7, v14 bitop3:0x40
; %bb.2783:                             ;   in Loop: Header=BB287_2093 Depth=1
	s_or_b32 exec_lo, exec_lo, s25
	s_delay_alu instid0(VALU_DEP_1) | instskip(NEXT) | instid1(VALU_DEP_2)
	v_dual_lshlrev_b32 v9, 8, v26 :: v_dual_lshlrev_b32 v0, 23, v0
	v_lshl_add_u32 v7, v7, 10, 0x2000
	s_delay_alu instid0(VALU_DEP_1) | instskip(NEXT) | instid1(VALU_DEP_1)
	v_and_or_b32 v7, 0x8000, v9, v7
	v_lshl_or_b32 v7, v7, 16, v0
.LBB287_2784:                           ;   in Loop: Header=BB287_2093 Depth=1
	s_or_b32 exec_lo, exec_lo, s24
.LBB287_2785:                           ;   in Loop: Header=BB287_2093 Depth=1
	s_delay_alu instid0(SALU_CYCLE_1)
	s_or_b32 exec_lo, exec_lo, s23
.LBB287_2786:                           ;   in Loop: Header=BB287_2093 Depth=1
	s_delay_alu instid0(SALU_CYCLE_1) | instskip(SKIP_4) | instid1(VALU_DEP_3)
	s_or_b32 exec_lo, exec_lo, s22
	v_and_b32_e32 v0, 0xff, v87
	v_dual_mov_b32 v26, v87 :: v_dual_mov_b32 v12, 0
	v_mov_b32_e32 v9, 0
	s_mov_b32 s22, exec_lo
	v_cmpx_ne_u16_e32 0, v0
	s_cbranch_execz .LBB287_2794
; %bb.2787:                             ;   in Loop: Header=BB287_2093 Depth=1
	v_mov_b32_e32 v9, 0x8000
	s_mov_b32 s23, exec_lo
	v_cmpx_ne_u16_e32 0x80, v0
	s_cbranch_execz .LBB287_2793
; %bb.2788:                             ;   in Loop: Header=BB287_2093 Depth=1
	v_and_b32_e32 v16, 0x7f, v87
	v_mov_b32_e32 v9, 0x7c01
	s_mov_b32 s24, exec_lo
	s_delay_alu instid0(VALU_DEP_2)
	v_cmpx_ne_u32_e32 0x7f, v16
	s_cbranch_execz .LBB287_2792
; %bb.2789:                             ;   in Loop: Header=BB287_2093 Depth=1
	v_dual_lshrrev_b32 v9, 3, v16 :: v_dual_bitop2_b32 v0, 7, v87 bitop3:0x40
	s_mov_b32 s25, exec_lo
	v_cmpx_gt_u32_e32 8, v16
; %bb.2790:                             ;   in Loop: Header=BB287_2093 Depth=1
	s_delay_alu instid0(VALU_DEP_2) | instskip(NEXT) | instid1(VALU_DEP_1)
	v_clz_i32_u32_e32 v0, v0
	v_min_u32_e32 v0, 32, v0
	s_delay_alu instid0(VALU_DEP_1) | instskip(NEXT) | instid1(VALU_DEP_1)
	v_subrev_nc_u32_e32 v9, 28, v0
	v_lshlrev_b64_e32 v[14:15], v9, v[26:27]
	s_delay_alu instid0(VALU_DEP_1)
	v_dual_sub_nc_u32 v9, 29, v0 :: v_dual_bitop2_b32 v0, 7, v14 bitop3:0x40
; %bb.2791:                             ;   in Loop: Header=BB287_2093 Depth=1
	s_or_b32 exec_lo, exec_lo, s25
	s_delay_alu instid0(VALU_DEP_1) | instskip(NEXT) | instid1(VALU_DEP_2)
	v_dual_lshlrev_b32 v14, 8, v87 :: v_dual_lshlrev_b32 v0, 7, v0
	v_lshl_add_u32 v9, v9, 10, 0x2000
	s_delay_alu instid0(VALU_DEP_2) | instskip(NEXT) | instid1(VALU_DEP_2)
	v_and_b32_e32 v14, 0x8000, v14
	v_and_b32_e32 v9, 0xfc00, v9
	s_delay_alu instid0(VALU_DEP_1)
	v_or3_b32 v9, v14, v9, v0
.LBB287_2792:                           ;   in Loop: Header=BB287_2093 Depth=1
	s_or_b32 exec_lo, exec_lo, s24
.LBB287_2793:                           ;   in Loop: Header=BB287_2093 Depth=1
	s_delay_alu instid0(SALU_CYCLE_1)
	s_or_b32 exec_lo, exec_lo, s23
.LBB287_2794:                           ;   in Loop: Header=BB287_2093 Depth=1
	s_delay_alu instid0(SALU_CYCLE_1) | instskip(SKIP_3) | instid1(VALU_DEP_2)
	s_or_b32 exec_lo, exec_lo, s22
	v_lshrrev_b16 v26, 8, v26
	v_mov_b32_e32 v16, 0
	s_mov_b32 s22, exec_lo
	v_cmpx_ne_u16_e32 0, v26
	s_cbranch_execz .LBB287_2802
; %bb.2795:                             ;   in Loop: Header=BB287_2093 Depth=1
	v_bfrev_b32_e32 v16, 1
	s_mov_b32 s23, exec_lo
	v_cmpx_ne_u16_e32 0x80, v26
	s_cbranch_execz .LBB287_2801
; %bb.2796:                             ;   in Loop: Header=BB287_2093 Depth=1
	v_and_b32_e32 v0, 0xffff, v26
	v_mov_b32_e32 v16, 0x7c010000
	s_mov_b32 s24, exec_lo
	s_delay_alu instid0(VALU_DEP_2) | instskip(NEXT) | instid1(VALU_DEP_1)
	v_and_b32_e32 v18, 0x7f, v0
	v_cmpx_ne_u32_e32 0x7f, v18
	s_cbranch_execz .LBB287_2800
; %bb.2797:                             ;   in Loop: Header=BB287_2093 Depth=1
	v_dual_lshrrev_b32 v17, 3, v18 :: v_dual_bitop2_b32 v16, 7, v0 bitop3:0x40
	s_mov_b32 s25, exec_lo
	v_cmpx_gt_u32_e32 8, v18
; %bb.2798:                             ;   in Loop: Header=BB287_2093 Depth=1
	s_delay_alu instid0(VALU_DEP_2) | instskip(NEXT) | instid1(VALU_DEP_1)
	v_clz_i32_u32_e32 v14, v16
	v_min_u32_e32 v16, 32, v14
	s_delay_alu instid0(VALU_DEP_1) | instskip(NEXT) | instid1(VALU_DEP_1)
	v_subrev_nc_u32_e32 v14, 28, v16
	v_lshlrev_b64_e32 v[14:15], v14, v[26:27]
	s_delay_alu instid0(VALU_DEP_1)
	v_dual_sub_nc_u32 v17, 29, v16 :: v_dual_bitop2_b32 v16, 7, v14 bitop3:0x40
; %bb.2799:                             ;   in Loop: Header=BB287_2093 Depth=1
	s_or_b32 exec_lo, exec_lo, s25
	v_lshlrev_b32_e32 v0, 8, v0
	s_delay_alu instid0(VALU_DEP_2) | instskip(NEXT) | instid1(VALU_DEP_1)
	v_lshl_add_u32 v14, v17, 10, 0x2000
	v_and_or_b32 v0, 0x8000, v0, v14
	v_lshlrev_b32_e32 v14, 23, v16
	s_delay_alu instid0(VALU_DEP_1)
	v_lshl_or_b32 v16, v0, 16, v14
.LBB287_2800:                           ;   in Loop: Header=BB287_2093 Depth=1
	s_or_b32 exec_lo, exec_lo, s24
.LBB287_2801:                           ;   in Loop: Header=BB287_2093 Depth=1
	s_delay_alu instid0(SALU_CYCLE_1)
	s_or_b32 exec_lo, exec_lo, s23
.LBB287_2802:                           ;   in Loop: Header=BB287_2093 Depth=1
	s_delay_alu instid0(SALU_CYCLE_1) | instskip(SKIP_2) | instid1(VALU_DEP_1)
	s_or_b32 exec_lo, exec_lo, s22
	v_lshrrev_b32_e32 v0, 16, v87
	s_mov_b32 s22, exec_lo
	v_and_b32_e32 v17, 0xff, v0
	s_delay_alu instid0(VALU_DEP_1)
	v_cmpx_ne_u16_e32 0, v17
	s_cbranch_execz .LBB287_2810
; %bb.2803:                             ;   in Loop: Header=BB287_2093 Depth=1
	v_mov_b32_e32 v12, 0x8000
	s_mov_b32 s23, exec_lo
	v_cmpx_ne_u16_e32 0x80, v17
	s_cbranch_execz .LBB287_2809
; %bb.2804:                             ;   in Loop: Header=BB287_2093 Depth=1
	v_bfe_u32 v18, v87, 16, 7
	v_mov_b32_e32 v12, 0x7c01
	s_mov_b32 s24, exec_lo
	s_delay_alu instid0(VALU_DEP_2)
	v_cmpx_ne_u32_e32 0x7f, v18
	s_cbranch_execz .LBB287_2808
; %bb.2805:                             ;   in Loop: Header=BB287_2093 Depth=1
	v_dual_lshrrev_b32 v17, 3, v18 :: v_dual_bitop2_b32 v12, 7, v0 bitop3:0x40
	s_mov_b32 s25, exec_lo
	v_cmpx_gt_u32_e32 8, v18
; %bb.2806:                             ;   in Loop: Header=BB287_2093 Depth=1
	s_delay_alu instid0(VALU_DEP_2) | instskip(NEXT) | instid1(VALU_DEP_1)
	v_clz_i32_u32_e32 v12, v12
	v_min_u32_e32 v12, 32, v12
	s_delay_alu instid0(VALU_DEP_1) | instskip(NEXT) | instid1(VALU_DEP_1)
	v_subrev_nc_u32_e32 v14, 28, v12
	v_lshlrev_b64_e32 v[14:15], v14, v[0:1]
	s_delay_alu instid0(VALU_DEP_1)
	v_dual_sub_nc_u32 v17, 29, v12 :: v_dual_bitop2_b32 v12, 7, v14 bitop3:0x40
; %bb.2807:                             ;   in Loop: Header=BB287_2093 Depth=1
	s_or_b32 exec_lo, exec_lo, s25
	v_lshlrev_b32_e32 v0, 8, v0
	s_delay_alu instid0(VALU_DEP_2) | instskip(NEXT) | instid1(VALU_DEP_3)
	v_lshl_add_u32 v14, v17, 10, 0x2000
	v_lshlrev_b32_e32 v12, 7, v12
	s_delay_alu instid0(VALU_DEP_3) | instskip(NEXT) | instid1(VALU_DEP_3)
	v_and_b32_e32 v0, 0x8000, v0
	v_and_b32_e32 v14, 0xfc00, v14
	s_delay_alu instid0(VALU_DEP_1)
	v_or3_b32 v12, v0, v14, v12
.LBB287_2808:                           ;   in Loop: Header=BB287_2093 Depth=1
	s_or_b32 exec_lo, exec_lo, s24
.LBB287_2809:                           ;   in Loop: Header=BB287_2093 Depth=1
	s_delay_alu instid0(SALU_CYCLE_1)
	s_or_b32 exec_lo, exec_lo, s23
.LBB287_2810:                           ;   in Loop: Header=BB287_2093 Depth=1
	s_delay_alu instid0(SALU_CYCLE_1)
	s_or_b32 exec_lo, exec_lo, s22
	v_mov_b32_e32 v0, 0
	s_mov_b32 s22, exec_lo
	v_cmpx_lt_u64_e64 s[14:15], v[86:87]
	s_cbranch_execz .LBB287_2818
; %bb.2811:                             ;   in Loop: Header=BB287_2093 Depth=1
	v_lshrrev_b32_e32 v26, 24, v87
	v_bfrev_b32_e32 v0, 1
	s_mov_b32 s23, exec_lo
	s_delay_alu instid0(VALU_DEP_2)
	v_cmpx_ne_u32_e32 0x80, v26
	s_cbranch_execz .LBB287_2817
; %bb.2812:                             ;   in Loop: Header=BB287_2093 Depth=1
	v_and_b32_e32 v18, 0x7f, v26
	v_mov_b32_e32 v0, 0x7c010000
	s_mov_b32 s24, exec_lo
	s_delay_alu instid0(VALU_DEP_2)
	v_cmpx_ne_u32_e32 0x7f, v18
	s_cbranch_execz .LBB287_2816
; %bb.2813:                             ;   in Loop: Header=BB287_2093 Depth=1
	v_and_b32_e32 v0, 7, v26
	v_lshrrev_b32_e32 v17, 3, v18
	s_mov_b32 s25, exec_lo
	v_cmpx_gt_u32_e32 8, v18
; %bb.2814:                             ;   in Loop: Header=BB287_2093 Depth=1
	s_delay_alu instid0(VALU_DEP_3) | instskip(NEXT) | instid1(VALU_DEP_1)
	v_clz_i32_u32_e32 v0, v0
	v_min_u32_e32 v0, 32, v0
	s_delay_alu instid0(VALU_DEP_1) | instskip(NEXT) | instid1(VALU_DEP_1)
	v_subrev_nc_u32_e32 v14, 28, v0
	v_lshlrev_b64_e32 v[14:15], v14, v[26:27]
	s_delay_alu instid0(VALU_DEP_1)
	v_dual_sub_nc_u32 v17, 29, v0 :: v_dual_bitop2_b32 v0, 7, v14 bitop3:0x40
; %bb.2815:                             ;   in Loop: Header=BB287_2093 Depth=1
	s_or_b32 exec_lo, exec_lo, s25
	s_delay_alu instid0(VALU_DEP_1) | instskip(NEXT) | instid1(VALU_DEP_2)
	v_dual_lshlrev_b32 v14, 8, v26 :: v_dual_lshlrev_b32 v0, 23, v0
	v_lshl_add_u32 v15, v17, 10, 0x2000
	s_delay_alu instid0(VALU_DEP_1) | instskip(NEXT) | instid1(VALU_DEP_1)
	v_and_or_b32 v14, 0x8000, v14, v15
	v_lshl_or_b32 v0, v14, 16, v0
.LBB287_2816:                           ;   in Loop: Header=BB287_2093 Depth=1
	s_or_b32 exec_lo, exec_lo, s24
.LBB287_2817:                           ;   in Loop: Header=BB287_2093 Depth=1
	s_delay_alu instid0(SALU_CYCLE_1)
	s_or_b32 exec_lo, exec_lo, s23
.LBB287_2818:                           ;   in Loop: Header=BB287_2093 Depth=1
	s_delay_alu instid0(SALU_CYCLE_1) | instskip(SKIP_4) | instid1(VALU_DEP_4)
	s_or_b32 exec_lo, exec_lo, s22
	v_dual_lshrrev_b32 v14, 16, v1 :: v_dual_lshrrev_b32 v15, 16, v7
	v_or_b32_e32 v1, v1, v6
	v_or_b32_e32 v8, v7, v8
	;; [unrolled: 1-line block ×3, first 2 shown]
	v_cvt_f32_f16_e32 v7, v14
	v_cvt_f32_f16_e32 v6, v15
	v_lshrrev_b32_e32 v14, 16, v16
	v_dual_lshrrev_b32 v15, 16, v0 :: v_dual_bitop2_b32 v16, v16, v9 bitop3:0x54
	v_cvt_f32_f16_e32 v0, v8
	s_wait_loadcnt_dscnt 0x0
	v_pk_mul_f32 v[6:7], v[84:85], v[6:7] op_sel_hi:[0,1]
	v_cvt_f32_f16_e32 v1, v1
	v_cvt_f32_f16_e32 v9, v14
	;; [unrolled: 1-line block ×5, first 2 shown]
	v_pk_mul_f32 v[0:1], v[84:85], v[0:1] op_sel_hi:[0,1]
	v_cvt_pk_f16_f32 v12, v6, v7
	v_pk_mul_f32 v[6:7], v[84:85], v[8:9] op_sel_hi:[0,1]
	s_delay_alu instid0(VALU_DEP_4) | instskip(NEXT) | instid1(VALU_DEP_4)
	v_pk_mul_f32 v[14:15], v[84:85], v[14:15] op_sel_hi:[0,1]
	v_cvt_pk_f16_f32 v0, v0, v1
	s_delay_alu instid0(VALU_DEP_4) | instskip(NEXT) | instid1(VALU_DEP_4)
	v_and_b32_e32 v9, 0xffff0000, v12
	v_cvt_pk_f16_f32 v6, v6, v7
	s_delay_alu instid0(VALU_DEP_4) | instskip(NEXT) | instid1(VALU_DEP_4)
	v_cvt_pk_f16_f32 v7, v14, v15
	v_and_b32_e32 v98, 0xffff, v0
	v_lshrrev_b32_e32 v97, 16, v0
	v_lshlrev_b32_e32 v86, 16, v12
	v_and_b32_e32 v1, 0xffff0000, v6
	v_dual_lshlrev_b32 v0, 16, v6 :: v_dual_lshrrev_b32 v87, 16, v7
	v_and_b32_e32 v96, 0xffff, v7
	v_or_b32_e32 v85, v9, v97
	v_or_b32_e32 v84, v86, v98
	s_delay_alu instid0(VALU_DEP_4) | instskip(NEXT) | instid1(VALU_DEP_4)
	v_or_b32_e32 v19, v1, v87
	v_or_b32_e32 v26, v0, v96
	s_and_saveexec_b32 s8, s0
	s_cbranch_execz .LBB287_2820
; %bb.2819:                             ;   in Loop: Header=BB287_2093 Depth=1
	v_dual_cndmask_b32 v6, 0, v97, vcc_lo :: v_dual_cndmask_b32 v7, 0, v98, s1
	v_dual_cndmask_b32 v8, 0, v9, s2 :: v_dual_cndmask_b32 v9, 0, v86, s3
	v_dual_cndmask_b32 v12, 0, v87, s4 :: v_dual_cndmask_b32 v14, 0, v96, s5
	;; [unrolled: 1-line block ×3, first 2 shown]
	s_delay_alu instid0(VALU_DEP_3) | instskip(NEXT) | instid1(VALU_DEP_4)
	v_or_b32_e32 v85, v6, v8
	v_or_b32_e32 v84, v7, v9
	s_delay_alu instid0(VALU_DEP_3) | instskip(NEXT) | instid1(VALU_DEP_4)
	v_or_b32_e32 v19, v12, v1
	v_or_b32_e32 v26, v14, v0
.LBB287_2820:                           ;   in Loop: Header=BB287_2093 Depth=1
	s_or_b32 exec_lo, exec_lo, s8
	;;#ASMSTART
	v_pk_mul_f16 v0, v119, v85;

	;;#ASMEND
	;;#ASMSTART
	v_pk_mul_f16 v1, v117, v84;

	;;#ASMEND
	;; [unrolled: 4-line block ×4, first 2 shown]
	;;#ASMSTART
	v_pk_add_f16 v0, v0, v1;

	;;#ASMEND
	;;#ASMSTART
	v_pk_add_f16 v0, v0, v6;

	;;#ASMEND
	;; [unrolled: 4-line block ×3, first 2 shown]
	v_and_b32_e32 v1, 0xffff, v0
	v_lshrrev_b32_e32 v0, 16, v0
	;;#ASMSTART
	v_cvt_f32_f16 v75, v1;
	;;#ASMEND
	v_mov_b32_e32 v1, 0
	;;#ASMSTART
	v_cvt_f32_f16 v76, v0;
	;;#ASMEND
	flat_load_b64 v[86:87], v[82:83] offset:2816
	flat_load_b32 v84, v[22:23]
	v_mov_b32_e32 v6, 0
	s_mov_b32 s22, exec_lo
	s_wait_loadcnt_dscnt 0x101
	v_and_b32_e32 v0, 0xff, v86
	s_wait_xcnt 0x0
	s_delay_alu instid0(VALU_DEP_1)
	v_cmpx_ne_u16_e32 0, v0
	s_cbranch_execz .LBB287_2828
; %bb.2821:                             ;   in Loop: Header=BB287_2093 Depth=1
	v_mov_b32_e32 v6, 0x8000
	s_mov_b32 s23, exec_lo
	v_cmpx_ne_u16_e32 0x80, v0
	s_cbranch_execz .LBB287_2827
; %bb.2822:                             ;   in Loop: Header=BB287_2093 Depth=1
	v_and_b32_e32 v7, 0x7f, v86
	v_mov_b32_e32 v6, 0x7c01
	s_mov_b32 s24, exec_lo
	s_delay_alu instid0(VALU_DEP_2)
	v_cmpx_ne_u32_e32 0x7f, v7
	s_cbranch_execz .LBB287_2826
; %bb.2823:                             ;   in Loop: Header=BB287_2093 Depth=1
	v_dual_lshrrev_b32 v6, 3, v7 :: v_dual_bitop2_b32 v0, 7, v86 bitop3:0x40
	s_mov_b32 s25, exec_lo
	v_cmpx_gt_u32_e32 8, v7
; %bb.2824:                             ;   in Loop: Header=BB287_2093 Depth=1
	s_delay_alu instid0(VALU_DEP_2) | instskip(NEXT) | instid1(VALU_DEP_1)
	v_clz_i32_u32_e32 v0, v0
	v_min_u32_e32 v0, 32, v0
	s_delay_alu instid0(VALU_DEP_1) | instskip(NEXT) | instid1(VALU_DEP_1)
	v_subrev_nc_u32_e32 v6, 28, v0
	v_lshlrev_b64_e32 v[8:9], v6, v[86:87]
	v_sub_nc_u32_e32 v6, 29, v0
	s_delay_alu instid0(VALU_DEP_2)
	v_and_b32_e32 v0, 7, v8
; %bb.2825:                             ;   in Loop: Header=BB287_2093 Depth=1
	s_or_b32 exec_lo, exec_lo, s25
	s_delay_alu instid0(VALU_DEP_1) | instskip(NEXT) | instid1(VALU_DEP_3)
	v_dual_lshlrev_b32 v7, 8, v86 :: v_dual_lshlrev_b32 v0, 7, v0
	v_lshl_add_u32 v6, v6, 10, 0x2000
	s_delay_alu instid0(VALU_DEP_2) | instskip(NEXT) | instid1(VALU_DEP_2)
	v_and_b32_e32 v7, 0x8000, v7
	v_and_b32_e32 v6, 0xfc00, v6
	s_delay_alu instid0(VALU_DEP_1)
	v_or3_b32 v6, v7, v6, v0
.LBB287_2826:                           ;   in Loop: Header=BB287_2093 Depth=1
	s_or_b32 exec_lo, exec_lo, s24
.LBB287_2827:                           ;   in Loop: Header=BB287_2093 Depth=1
	s_delay_alu instid0(SALU_CYCLE_1)
	s_or_b32 exec_lo, exec_lo, s23
.LBB287_2828:                           ;   in Loop: Header=BB287_2093 Depth=1
	s_delay_alu instid0(SALU_CYCLE_1) | instskip(SKIP_2) | instid1(VALU_DEP_1)
	s_or_b32 exec_lo, exec_lo, s22
	v_lshrrev_b16 v26, 8, v86
	s_mov_b32 s22, exec_lo
	v_cmpx_ne_u16_e32 0, v26
	s_cbranch_execz .LBB287_2836
; %bb.2829:                             ;   in Loop: Header=BB287_2093 Depth=1
	v_bfrev_b32_e32 v1, 1
	s_mov_b32 s23, exec_lo
	v_cmpx_ne_u16_e32 0x80, v26
	s_cbranch_execz .LBB287_2835
; %bb.2830:                             ;   in Loop: Header=BB287_2093 Depth=1
	v_and_b32_e32 v0, 0xffff, v26
	v_mov_b32_e32 v1, 0x7c010000
	s_mov_b32 s24, exec_lo
	s_delay_alu instid0(VALU_DEP_2) | instskip(NEXT) | instid1(VALU_DEP_1)
	v_and_b32_e32 v8, 0x7f, v0
	v_cmpx_ne_u32_e32 0x7f, v8
	s_cbranch_execz .LBB287_2834
; %bb.2831:                             ;   in Loop: Header=BB287_2093 Depth=1
	v_and_b32_e32 v1, 7, v0
	v_lshrrev_b32_e32 v7, 3, v8
	s_mov_b32 s25, exec_lo
	v_cmpx_gt_u32_e32 8, v8
; %bb.2832:                             ;   in Loop: Header=BB287_2093 Depth=1
	s_delay_alu instid0(VALU_DEP_3) | instskip(NEXT) | instid1(VALU_DEP_1)
	v_clz_i32_u32_e32 v1, v1
	v_min_u32_e32 v1, 32, v1
	s_delay_alu instid0(VALU_DEP_1) | instskip(NEXT) | instid1(VALU_DEP_1)
	v_subrev_nc_u32_e32 v7, 28, v1
	v_lshlrev_b64_e32 v[8:9], v7, v[26:27]
	s_delay_alu instid0(VALU_DEP_1)
	v_dual_sub_nc_u32 v7, 29, v1 :: v_dual_bitop2_b32 v1, 7, v8 bitop3:0x40
; %bb.2833:                             ;   in Loop: Header=BB287_2093 Depth=1
	s_or_b32 exec_lo, exec_lo, s25
	s_delay_alu instid0(VALU_DEP_1) | instskip(NEXT) | instid1(VALU_DEP_2)
	v_dual_lshlrev_b32 v0, 8, v0 :: v_dual_lshlrev_b32 v1, 23, v1
	v_lshl_add_u32 v7, v7, 10, 0x2000
	s_delay_alu instid0(VALU_DEP_1) | instskip(NEXT) | instid1(VALU_DEP_1)
	v_and_or_b32 v0, 0x8000, v0, v7
	v_lshl_or_b32 v1, v0, 16, v1
.LBB287_2834:                           ;   in Loop: Header=BB287_2093 Depth=1
	s_or_b32 exec_lo, exec_lo, s24
.LBB287_2835:                           ;   in Loop: Header=BB287_2093 Depth=1
	s_delay_alu instid0(SALU_CYCLE_1)
	s_or_b32 exec_lo, exec_lo, s23
.LBB287_2836:                           ;   in Loop: Header=BB287_2093 Depth=1
	s_delay_alu instid0(SALU_CYCLE_1) | instskip(SKIP_3) | instid1(VALU_DEP_2)
	s_or_b32 exec_lo, exec_lo, s22
	v_dual_mov_b32 v7, 0 :: v_dual_lshrrev_b32 v0, 16, v86
	v_mov_b32_e32 v8, 0
	s_mov_b32 s22, exec_lo
	v_and_b32_e32 v9, 0xff, v0
	s_delay_alu instid0(VALU_DEP_1)
	v_cmpx_ne_u16_e32 0, v9
	s_cbranch_execz .LBB287_2844
; %bb.2837:                             ;   in Loop: Header=BB287_2093 Depth=1
	v_mov_b32_e32 v8, 0x8000
	s_mov_b32 s23, exec_lo
	v_cmpx_ne_u16_e32 0x80, v9
	s_cbranch_execz .LBB287_2843
; %bb.2838:                             ;   in Loop: Header=BB287_2093 Depth=1
	v_bfe_u32 v12, v86, 16, 7
	v_mov_b32_e32 v8, 0x7c01
	s_mov_b32 s24, exec_lo
	s_delay_alu instid0(VALU_DEP_2)
	v_cmpx_ne_u32_e32 0x7f, v12
	s_cbranch_execz .LBB287_2842
; %bb.2839:                             ;   in Loop: Header=BB287_2093 Depth=1
	v_and_b32_e32 v8, 7, v0
	v_lshrrev_b32_e32 v9, 3, v12
	s_mov_b32 s25, exec_lo
	v_cmpx_gt_u32_e32 8, v12
; %bb.2840:                             ;   in Loop: Header=BB287_2093 Depth=1
	s_delay_alu instid0(VALU_DEP_3) | instskip(NEXT) | instid1(VALU_DEP_1)
	v_clz_i32_u32_e32 v8, v8
	v_min_u32_e32 v12, 32, v8
	s_delay_alu instid0(VALU_DEP_1) | instskip(NEXT) | instid1(VALU_DEP_1)
	v_subrev_nc_u32_e32 v8, 28, v12
	v_lshlrev_b64_e32 v[8:9], v8, v[0:1]
	v_sub_nc_u32_e32 v9, 29, v12
	s_delay_alu instid0(VALU_DEP_2)
	v_and_b32_e32 v8, 7, v8
; %bb.2841:                             ;   in Loop: Header=BB287_2093 Depth=1
	s_or_b32 exec_lo, exec_lo, s25
	v_lshlrev_b32_e32 v0, 8, v0
	s_delay_alu instid0(VALU_DEP_3) | instskip(NEXT) | instid1(VALU_DEP_3)
	v_lshl_add_u32 v9, v9, 10, 0x2000
	v_lshlrev_b32_e32 v8, 7, v8
	s_delay_alu instid0(VALU_DEP_3) | instskip(NEXT) | instid1(VALU_DEP_3)
	v_and_b32_e32 v0, 0x8000, v0
	v_and_b32_e32 v9, 0xfc00, v9
	s_delay_alu instid0(VALU_DEP_1)
	v_or3_b32 v8, v0, v9, v8
.LBB287_2842:                           ;   in Loop: Header=BB287_2093 Depth=1
	s_or_b32 exec_lo, exec_lo, s24
.LBB287_2843:                           ;   in Loop: Header=BB287_2093 Depth=1
	s_delay_alu instid0(SALU_CYCLE_1)
	s_or_b32 exec_lo, exec_lo, s23
.LBB287_2844:                           ;   in Loop: Header=BB287_2093 Depth=1
	s_delay_alu instid0(SALU_CYCLE_1) | instskip(NEXT) | instid1(SALU_CYCLE_1)
	s_or_b32 exec_lo, exec_lo, s22
	s_mov_b32 s22, exec_lo
	v_cmpx_lt_u32_e32 0xffffff, v86
	s_cbranch_execz .LBB287_2852
; %bb.2845:                             ;   in Loop: Header=BB287_2093 Depth=1
	v_lshrrev_b32_e32 v26, 24, v86
	v_bfrev_b32_e32 v7, 1
	s_mov_b32 s23, exec_lo
	s_delay_alu instid0(VALU_DEP_2)
	v_cmpx_ne_u32_e32 0x80, v26
	s_cbranch_execz .LBB287_2851
; %bb.2846:                             ;   in Loop: Header=BB287_2093 Depth=1
	v_and_b32_e32 v9, 0x7f, v26
	v_mov_b32_e32 v7, 0x7c010000
	s_mov_b32 s24, exec_lo
	s_delay_alu instid0(VALU_DEP_2)
	v_cmpx_ne_u32_e32 0x7f, v9
	s_cbranch_execz .LBB287_2850
; %bb.2847:                             ;   in Loop: Header=BB287_2093 Depth=1
	v_dual_lshrrev_b32 v7, 3, v9 :: v_dual_bitop2_b32 v0, 7, v26 bitop3:0x40
	s_mov_b32 s25, exec_lo
	v_cmpx_gt_u32_e32 8, v9
; %bb.2848:                             ;   in Loop: Header=BB287_2093 Depth=1
	s_delay_alu instid0(VALU_DEP_2) | instskip(NEXT) | instid1(VALU_DEP_1)
	v_clz_i32_u32_e32 v0, v0
	v_min_u32_e32 v0, 32, v0
	s_delay_alu instid0(VALU_DEP_1) | instskip(NEXT) | instid1(VALU_DEP_1)
	v_subrev_nc_u32_e32 v7, 28, v0
	v_lshlrev_b64_e32 v[14:15], v7, v[26:27]
	s_delay_alu instid0(VALU_DEP_1)
	v_dual_sub_nc_u32 v7, 29, v0 :: v_dual_bitop2_b32 v0, 7, v14 bitop3:0x40
; %bb.2849:                             ;   in Loop: Header=BB287_2093 Depth=1
	s_or_b32 exec_lo, exec_lo, s25
	s_delay_alu instid0(VALU_DEP_1) | instskip(NEXT) | instid1(VALU_DEP_2)
	v_dual_lshlrev_b32 v9, 8, v26 :: v_dual_lshlrev_b32 v0, 23, v0
	v_lshl_add_u32 v7, v7, 10, 0x2000
	s_delay_alu instid0(VALU_DEP_1) | instskip(NEXT) | instid1(VALU_DEP_1)
	v_and_or_b32 v7, 0x8000, v9, v7
	v_lshl_or_b32 v7, v7, 16, v0
.LBB287_2850:                           ;   in Loop: Header=BB287_2093 Depth=1
	s_or_b32 exec_lo, exec_lo, s24
.LBB287_2851:                           ;   in Loop: Header=BB287_2093 Depth=1
	s_delay_alu instid0(SALU_CYCLE_1)
	s_or_b32 exec_lo, exec_lo, s23
.LBB287_2852:                           ;   in Loop: Header=BB287_2093 Depth=1
	s_delay_alu instid0(SALU_CYCLE_1) | instskip(SKIP_4) | instid1(VALU_DEP_3)
	s_or_b32 exec_lo, exec_lo, s22
	v_and_b32_e32 v0, 0xff, v87
	v_dual_mov_b32 v26, v87 :: v_dual_mov_b32 v12, 0
	v_mov_b32_e32 v9, 0
	s_mov_b32 s22, exec_lo
	v_cmpx_ne_u16_e32 0, v0
	s_cbranch_execz .LBB287_2860
; %bb.2853:                             ;   in Loop: Header=BB287_2093 Depth=1
	v_mov_b32_e32 v9, 0x8000
	s_mov_b32 s23, exec_lo
	v_cmpx_ne_u16_e32 0x80, v0
	s_cbranch_execz .LBB287_2859
; %bb.2854:                             ;   in Loop: Header=BB287_2093 Depth=1
	v_and_b32_e32 v16, 0x7f, v87
	v_mov_b32_e32 v9, 0x7c01
	s_mov_b32 s24, exec_lo
	s_delay_alu instid0(VALU_DEP_2)
	v_cmpx_ne_u32_e32 0x7f, v16
	s_cbranch_execz .LBB287_2858
; %bb.2855:                             ;   in Loop: Header=BB287_2093 Depth=1
	v_dual_lshrrev_b32 v9, 3, v16 :: v_dual_bitop2_b32 v0, 7, v87 bitop3:0x40
	s_mov_b32 s25, exec_lo
	v_cmpx_gt_u32_e32 8, v16
; %bb.2856:                             ;   in Loop: Header=BB287_2093 Depth=1
	s_delay_alu instid0(VALU_DEP_2) | instskip(NEXT) | instid1(VALU_DEP_1)
	v_clz_i32_u32_e32 v0, v0
	v_min_u32_e32 v0, 32, v0
	s_delay_alu instid0(VALU_DEP_1) | instskip(NEXT) | instid1(VALU_DEP_1)
	v_subrev_nc_u32_e32 v9, 28, v0
	v_lshlrev_b64_e32 v[14:15], v9, v[26:27]
	s_delay_alu instid0(VALU_DEP_1)
	v_dual_sub_nc_u32 v9, 29, v0 :: v_dual_bitop2_b32 v0, 7, v14 bitop3:0x40
; %bb.2857:                             ;   in Loop: Header=BB287_2093 Depth=1
	s_or_b32 exec_lo, exec_lo, s25
	s_delay_alu instid0(VALU_DEP_1) | instskip(NEXT) | instid1(VALU_DEP_2)
	v_dual_lshlrev_b32 v14, 8, v87 :: v_dual_lshlrev_b32 v0, 7, v0
	v_lshl_add_u32 v9, v9, 10, 0x2000
	s_delay_alu instid0(VALU_DEP_2) | instskip(NEXT) | instid1(VALU_DEP_2)
	v_and_b32_e32 v14, 0x8000, v14
	v_and_b32_e32 v9, 0xfc00, v9
	s_delay_alu instid0(VALU_DEP_1)
	v_or3_b32 v9, v14, v9, v0
.LBB287_2858:                           ;   in Loop: Header=BB287_2093 Depth=1
	s_or_b32 exec_lo, exec_lo, s24
.LBB287_2859:                           ;   in Loop: Header=BB287_2093 Depth=1
	s_delay_alu instid0(SALU_CYCLE_1)
	s_or_b32 exec_lo, exec_lo, s23
.LBB287_2860:                           ;   in Loop: Header=BB287_2093 Depth=1
	s_delay_alu instid0(SALU_CYCLE_1) | instskip(SKIP_3) | instid1(VALU_DEP_2)
	s_or_b32 exec_lo, exec_lo, s22
	v_lshrrev_b16 v26, 8, v26
	v_mov_b32_e32 v16, 0
	s_mov_b32 s22, exec_lo
	v_cmpx_ne_u16_e32 0, v26
	s_cbranch_execz .LBB287_2868
; %bb.2861:                             ;   in Loop: Header=BB287_2093 Depth=1
	v_bfrev_b32_e32 v16, 1
	s_mov_b32 s23, exec_lo
	v_cmpx_ne_u16_e32 0x80, v26
	s_cbranch_execz .LBB287_2867
; %bb.2862:                             ;   in Loop: Header=BB287_2093 Depth=1
	v_and_b32_e32 v0, 0xffff, v26
	v_mov_b32_e32 v16, 0x7c010000
	s_mov_b32 s24, exec_lo
	s_delay_alu instid0(VALU_DEP_2) | instskip(NEXT) | instid1(VALU_DEP_1)
	v_and_b32_e32 v18, 0x7f, v0
	v_cmpx_ne_u32_e32 0x7f, v18
	s_cbranch_execz .LBB287_2866
; %bb.2863:                             ;   in Loop: Header=BB287_2093 Depth=1
	v_dual_lshrrev_b32 v17, 3, v18 :: v_dual_bitop2_b32 v16, 7, v0 bitop3:0x40
	s_mov_b32 s25, exec_lo
	v_cmpx_gt_u32_e32 8, v18
; %bb.2864:                             ;   in Loop: Header=BB287_2093 Depth=1
	s_delay_alu instid0(VALU_DEP_2) | instskip(NEXT) | instid1(VALU_DEP_1)
	v_clz_i32_u32_e32 v14, v16
	v_min_u32_e32 v16, 32, v14
	s_delay_alu instid0(VALU_DEP_1) | instskip(NEXT) | instid1(VALU_DEP_1)
	v_subrev_nc_u32_e32 v14, 28, v16
	v_lshlrev_b64_e32 v[14:15], v14, v[26:27]
	s_delay_alu instid0(VALU_DEP_1)
	v_dual_sub_nc_u32 v17, 29, v16 :: v_dual_bitop2_b32 v16, 7, v14 bitop3:0x40
; %bb.2865:                             ;   in Loop: Header=BB287_2093 Depth=1
	s_or_b32 exec_lo, exec_lo, s25
	v_lshlrev_b32_e32 v0, 8, v0
	s_delay_alu instid0(VALU_DEP_2) | instskip(NEXT) | instid1(VALU_DEP_1)
	v_lshl_add_u32 v14, v17, 10, 0x2000
	v_and_or_b32 v0, 0x8000, v0, v14
	v_lshlrev_b32_e32 v14, 23, v16
	s_delay_alu instid0(VALU_DEP_1)
	v_lshl_or_b32 v16, v0, 16, v14
.LBB287_2866:                           ;   in Loop: Header=BB287_2093 Depth=1
	s_or_b32 exec_lo, exec_lo, s24
.LBB287_2867:                           ;   in Loop: Header=BB287_2093 Depth=1
	s_delay_alu instid0(SALU_CYCLE_1)
	s_or_b32 exec_lo, exec_lo, s23
.LBB287_2868:                           ;   in Loop: Header=BB287_2093 Depth=1
	s_delay_alu instid0(SALU_CYCLE_1) | instskip(SKIP_2) | instid1(VALU_DEP_1)
	s_or_b32 exec_lo, exec_lo, s22
	v_lshrrev_b32_e32 v0, 16, v87
	s_mov_b32 s22, exec_lo
	v_and_b32_e32 v17, 0xff, v0
	s_delay_alu instid0(VALU_DEP_1)
	v_cmpx_ne_u16_e32 0, v17
	s_cbranch_execz .LBB287_2876
; %bb.2869:                             ;   in Loop: Header=BB287_2093 Depth=1
	v_mov_b32_e32 v12, 0x8000
	s_mov_b32 s23, exec_lo
	v_cmpx_ne_u16_e32 0x80, v17
	s_cbranch_execz .LBB287_2875
; %bb.2870:                             ;   in Loop: Header=BB287_2093 Depth=1
	v_bfe_u32 v18, v87, 16, 7
	v_mov_b32_e32 v12, 0x7c01
	s_mov_b32 s24, exec_lo
	s_delay_alu instid0(VALU_DEP_2)
	v_cmpx_ne_u32_e32 0x7f, v18
	s_cbranch_execz .LBB287_2874
; %bb.2871:                             ;   in Loop: Header=BB287_2093 Depth=1
	v_dual_lshrrev_b32 v17, 3, v18 :: v_dual_bitop2_b32 v12, 7, v0 bitop3:0x40
	s_mov_b32 s25, exec_lo
	v_cmpx_gt_u32_e32 8, v18
; %bb.2872:                             ;   in Loop: Header=BB287_2093 Depth=1
	s_delay_alu instid0(VALU_DEP_2) | instskip(NEXT) | instid1(VALU_DEP_1)
	v_clz_i32_u32_e32 v12, v12
	v_min_u32_e32 v12, 32, v12
	s_delay_alu instid0(VALU_DEP_1) | instskip(NEXT) | instid1(VALU_DEP_1)
	v_subrev_nc_u32_e32 v14, 28, v12
	v_lshlrev_b64_e32 v[14:15], v14, v[0:1]
	s_delay_alu instid0(VALU_DEP_1)
	v_dual_sub_nc_u32 v17, 29, v12 :: v_dual_bitop2_b32 v12, 7, v14 bitop3:0x40
; %bb.2873:                             ;   in Loop: Header=BB287_2093 Depth=1
	s_or_b32 exec_lo, exec_lo, s25
	v_lshlrev_b32_e32 v0, 8, v0
	s_delay_alu instid0(VALU_DEP_2) | instskip(NEXT) | instid1(VALU_DEP_3)
	v_lshl_add_u32 v14, v17, 10, 0x2000
	v_lshlrev_b32_e32 v12, 7, v12
	s_delay_alu instid0(VALU_DEP_3) | instskip(NEXT) | instid1(VALU_DEP_3)
	v_and_b32_e32 v0, 0x8000, v0
	v_and_b32_e32 v14, 0xfc00, v14
	s_delay_alu instid0(VALU_DEP_1)
	v_or3_b32 v12, v0, v14, v12
.LBB287_2874:                           ;   in Loop: Header=BB287_2093 Depth=1
	s_or_b32 exec_lo, exec_lo, s24
.LBB287_2875:                           ;   in Loop: Header=BB287_2093 Depth=1
	s_delay_alu instid0(SALU_CYCLE_1)
	s_or_b32 exec_lo, exec_lo, s23
.LBB287_2876:                           ;   in Loop: Header=BB287_2093 Depth=1
	s_delay_alu instid0(SALU_CYCLE_1)
	s_or_b32 exec_lo, exec_lo, s22
	v_mov_b32_e32 v0, 0
	s_mov_b32 s22, exec_lo
	v_cmpx_lt_u64_e64 s[14:15], v[86:87]
	s_cbranch_execz .LBB287_2884
; %bb.2877:                             ;   in Loop: Header=BB287_2093 Depth=1
	v_lshrrev_b32_e32 v26, 24, v87
	v_bfrev_b32_e32 v0, 1
	s_mov_b32 s23, exec_lo
	s_delay_alu instid0(VALU_DEP_2)
	v_cmpx_ne_u32_e32 0x80, v26
	s_cbranch_execz .LBB287_2883
; %bb.2878:                             ;   in Loop: Header=BB287_2093 Depth=1
	v_and_b32_e32 v18, 0x7f, v26
	v_mov_b32_e32 v0, 0x7c010000
	s_mov_b32 s24, exec_lo
	s_delay_alu instid0(VALU_DEP_2)
	v_cmpx_ne_u32_e32 0x7f, v18
	s_cbranch_execz .LBB287_2882
; %bb.2879:                             ;   in Loop: Header=BB287_2093 Depth=1
	v_and_b32_e32 v0, 7, v26
	v_lshrrev_b32_e32 v17, 3, v18
	s_mov_b32 s25, exec_lo
	v_cmpx_gt_u32_e32 8, v18
; %bb.2880:                             ;   in Loop: Header=BB287_2093 Depth=1
	s_delay_alu instid0(VALU_DEP_3) | instskip(NEXT) | instid1(VALU_DEP_1)
	v_clz_i32_u32_e32 v0, v0
	v_min_u32_e32 v0, 32, v0
	s_delay_alu instid0(VALU_DEP_1) | instskip(NEXT) | instid1(VALU_DEP_1)
	v_subrev_nc_u32_e32 v14, 28, v0
	v_lshlrev_b64_e32 v[14:15], v14, v[26:27]
	s_delay_alu instid0(VALU_DEP_1)
	v_dual_sub_nc_u32 v17, 29, v0 :: v_dual_bitop2_b32 v0, 7, v14 bitop3:0x40
; %bb.2881:                             ;   in Loop: Header=BB287_2093 Depth=1
	s_or_b32 exec_lo, exec_lo, s25
	s_delay_alu instid0(VALU_DEP_1) | instskip(NEXT) | instid1(VALU_DEP_2)
	v_dual_lshlrev_b32 v14, 8, v26 :: v_dual_lshlrev_b32 v0, 23, v0
	v_lshl_add_u32 v15, v17, 10, 0x2000
	s_delay_alu instid0(VALU_DEP_1) | instskip(NEXT) | instid1(VALU_DEP_1)
	v_and_or_b32 v14, 0x8000, v14, v15
	v_lshl_or_b32 v0, v14, 16, v0
.LBB287_2882:                           ;   in Loop: Header=BB287_2093 Depth=1
	s_or_b32 exec_lo, exec_lo, s24
.LBB287_2883:                           ;   in Loop: Header=BB287_2093 Depth=1
	s_delay_alu instid0(SALU_CYCLE_1)
	s_or_b32 exec_lo, exec_lo, s23
.LBB287_2884:                           ;   in Loop: Header=BB287_2093 Depth=1
	s_delay_alu instid0(SALU_CYCLE_1) | instskip(SKIP_4) | instid1(VALU_DEP_4)
	s_or_b32 exec_lo, exec_lo, s22
	v_dual_lshrrev_b32 v14, 16, v1 :: v_dual_lshrrev_b32 v15, 16, v7
	v_or_b32_e32 v1, v1, v6
	v_or_b32_e32 v8, v7, v8
	;; [unrolled: 1-line block ×3, first 2 shown]
	v_cvt_f32_f16_e32 v7, v14
	v_cvt_f32_f16_e32 v6, v15
	v_lshrrev_b32_e32 v14, 16, v16
	v_dual_lshrrev_b32 v15, 16, v0 :: v_dual_bitop2_b32 v16, v16, v9 bitop3:0x54
	v_cvt_f32_f16_e32 v0, v8
	s_wait_loadcnt_dscnt 0x0
	v_pk_mul_f32 v[6:7], v[84:85], v[6:7] op_sel_hi:[0,1]
	v_cvt_f32_f16_e32 v1, v1
	v_cvt_f32_f16_e32 v9, v14
	;; [unrolled: 1-line block ×5, first 2 shown]
	v_pk_mul_f32 v[0:1], v[84:85], v[0:1] op_sel_hi:[0,1]
	v_cvt_pk_f16_f32 v12, v6, v7
	v_pk_mul_f32 v[6:7], v[84:85], v[8:9] op_sel_hi:[0,1]
	s_delay_alu instid0(VALU_DEP_4) | instskip(NEXT) | instid1(VALU_DEP_4)
	v_pk_mul_f32 v[14:15], v[84:85], v[14:15] op_sel_hi:[0,1]
	v_cvt_pk_f16_f32 v0, v0, v1
	s_delay_alu instid0(VALU_DEP_4) | instskip(NEXT) | instid1(VALU_DEP_4)
	v_and_b32_e32 v9, 0xffff0000, v12
	v_cvt_pk_f16_f32 v6, v6, v7
	s_delay_alu instid0(VALU_DEP_4) | instskip(NEXT) | instid1(VALU_DEP_4)
	v_cvt_pk_f16_f32 v7, v14, v15
	v_and_b32_e32 v98, 0xffff, v0
	v_lshrrev_b32_e32 v97, 16, v0
	v_lshlrev_b32_e32 v86, 16, v12
	v_and_b32_e32 v1, 0xffff0000, v6
	v_dual_lshlrev_b32 v0, 16, v6 :: v_dual_lshrrev_b32 v87, 16, v7
	v_and_b32_e32 v96, 0xffff, v7
	v_or_b32_e32 v85, v9, v97
	v_or_b32_e32 v84, v86, v98
	s_delay_alu instid0(VALU_DEP_4) | instskip(NEXT) | instid1(VALU_DEP_4)
	v_or_b32_e32 v19, v1, v87
	v_or_b32_e32 v26, v0, v96
	s_and_saveexec_b32 s8, s0
	s_cbranch_execz .LBB287_2886
; %bb.2885:                             ;   in Loop: Header=BB287_2093 Depth=1
	v_dual_cndmask_b32 v6, 0, v97, vcc_lo :: v_dual_cndmask_b32 v7, 0, v98, s1
	v_dual_cndmask_b32 v8, 0, v9, s2 :: v_dual_cndmask_b32 v9, 0, v86, s3
	v_dual_cndmask_b32 v12, 0, v87, s4 :: v_dual_cndmask_b32 v14, 0, v96, s5
	;; [unrolled: 1-line block ×3, first 2 shown]
	s_delay_alu instid0(VALU_DEP_3) | instskip(NEXT) | instid1(VALU_DEP_4)
	v_or_b32_e32 v85, v6, v8
	v_or_b32_e32 v84, v7, v9
	s_delay_alu instid0(VALU_DEP_3) | instskip(NEXT) | instid1(VALU_DEP_4)
	v_or_b32_e32 v19, v12, v1
	v_or_b32_e32 v26, v14, v0
.LBB287_2886:                           ;   in Loop: Header=BB287_2093 Depth=1
	s_or_b32 exec_lo, exec_lo, s8
	;;#ASMSTART
	v_pk_mul_f16 v0, v119, v85;

	;;#ASMEND
	;;#ASMSTART
	v_pk_mul_f16 v1, v117, v84;

	;;#ASMEND
	;; [unrolled: 4-line block ×4, first 2 shown]
	;;#ASMSTART
	v_pk_add_f16 v0, v0, v1;

	;;#ASMEND
	;;#ASMSTART
	v_pk_add_f16 v0, v0, v6;

	;;#ASMEND
	;; [unrolled: 4-line block ×3, first 2 shown]
	v_and_b32_e32 v1, 0xffff, v0
	v_lshrrev_b32_e32 v0, 16, v0
	;;#ASMSTART
	v_cvt_f32_f16 v77, v1;
	;;#ASMEND
	v_mov_b32_e32 v1, 0
	;;#ASMSTART
	v_cvt_f32_f16 v78, v0;
	;;#ASMEND
	flat_load_b64 v[86:87], v[82:83] offset:3072
	flat_load_b32 v84, v[22:23]
	v_mov_b32_e32 v6, 0
	s_mov_b32 s22, exec_lo
	s_wait_loadcnt_dscnt 0x101
	v_and_b32_e32 v0, 0xff, v86
	s_wait_xcnt 0x0
	s_delay_alu instid0(VALU_DEP_1)
	v_cmpx_ne_u16_e32 0, v0
	s_cbranch_execz .LBB287_2894
; %bb.2887:                             ;   in Loop: Header=BB287_2093 Depth=1
	v_mov_b32_e32 v6, 0x8000
	s_mov_b32 s23, exec_lo
	v_cmpx_ne_u16_e32 0x80, v0
	s_cbranch_execz .LBB287_2893
; %bb.2888:                             ;   in Loop: Header=BB287_2093 Depth=1
	v_and_b32_e32 v7, 0x7f, v86
	v_mov_b32_e32 v6, 0x7c01
	s_mov_b32 s24, exec_lo
	s_delay_alu instid0(VALU_DEP_2)
	v_cmpx_ne_u32_e32 0x7f, v7
	s_cbranch_execz .LBB287_2892
; %bb.2889:                             ;   in Loop: Header=BB287_2093 Depth=1
	v_dual_lshrrev_b32 v6, 3, v7 :: v_dual_bitop2_b32 v0, 7, v86 bitop3:0x40
	s_mov_b32 s25, exec_lo
	v_cmpx_gt_u32_e32 8, v7
; %bb.2890:                             ;   in Loop: Header=BB287_2093 Depth=1
	s_delay_alu instid0(VALU_DEP_2) | instskip(NEXT) | instid1(VALU_DEP_1)
	v_clz_i32_u32_e32 v0, v0
	v_min_u32_e32 v0, 32, v0
	s_delay_alu instid0(VALU_DEP_1) | instskip(NEXT) | instid1(VALU_DEP_1)
	v_subrev_nc_u32_e32 v6, 28, v0
	v_lshlrev_b64_e32 v[8:9], v6, v[86:87]
	v_sub_nc_u32_e32 v6, 29, v0
	s_delay_alu instid0(VALU_DEP_2)
	v_and_b32_e32 v0, 7, v8
; %bb.2891:                             ;   in Loop: Header=BB287_2093 Depth=1
	s_or_b32 exec_lo, exec_lo, s25
	s_delay_alu instid0(VALU_DEP_1) | instskip(NEXT) | instid1(VALU_DEP_3)
	v_dual_lshlrev_b32 v7, 8, v86 :: v_dual_lshlrev_b32 v0, 7, v0
	v_lshl_add_u32 v6, v6, 10, 0x2000
	s_delay_alu instid0(VALU_DEP_2) | instskip(NEXT) | instid1(VALU_DEP_2)
	v_and_b32_e32 v7, 0x8000, v7
	v_and_b32_e32 v6, 0xfc00, v6
	s_delay_alu instid0(VALU_DEP_1)
	v_or3_b32 v6, v7, v6, v0
.LBB287_2892:                           ;   in Loop: Header=BB287_2093 Depth=1
	s_or_b32 exec_lo, exec_lo, s24
.LBB287_2893:                           ;   in Loop: Header=BB287_2093 Depth=1
	s_delay_alu instid0(SALU_CYCLE_1)
	s_or_b32 exec_lo, exec_lo, s23
.LBB287_2894:                           ;   in Loop: Header=BB287_2093 Depth=1
	s_delay_alu instid0(SALU_CYCLE_1) | instskip(SKIP_2) | instid1(VALU_DEP_1)
	s_or_b32 exec_lo, exec_lo, s22
	v_lshrrev_b16 v26, 8, v86
	s_mov_b32 s22, exec_lo
	v_cmpx_ne_u16_e32 0, v26
	s_cbranch_execz .LBB287_2902
; %bb.2895:                             ;   in Loop: Header=BB287_2093 Depth=1
	v_bfrev_b32_e32 v1, 1
	s_mov_b32 s23, exec_lo
	v_cmpx_ne_u16_e32 0x80, v26
	s_cbranch_execz .LBB287_2901
; %bb.2896:                             ;   in Loop: Header=BB287_2093 Depth=1
	v_and_b32_e32 v0, 0xffff, v26
	v_mov_b32_e32 v1, 0x7c010000
	s_mov_b32 s24, exec_lo
	s_delay_alu instid0(VALU_DEP_2) | instskip(NEXT) | instid1(VALU_DEP_1)
	v_and_b32_e32 v8, 0x7f, v0
	v_cmpx_ne_u32_e32 0x7f, v8
	s_cbranch_execz .LBB287_2900
; %bb.2897:                             ;   in Loop: Header=BB287_2093 Depth=1
	v_and_b32_e32 v1, 7, v0
	v_lshrrev_b32_e32 v7, 3, v8
	s_mov_b32 s25, exec_lo
	v_cmpx_gt_u32_e32 8, v8
; %bb.2898:                             ;   in Loop: Header=BB287_2093 Depth=1
	s_delay_alu instid0(VALU_DEP_3) | instskip(NEXT) | instid1(VALU_DEP_1)
	v_clz_i32_u32_e32 v1, v1
	v_min_u32_e32 v1, 32, v1
	s_delay_alu instid0(VALU_DEP_1) | instskip(NEXT) | instid1(VALU_DEP_1)
	v_subrev_nc_u32_e32 v7, 28, v1
	v_lshlrev_b64_e32 v[8:9], v7, v[26:27]
	s_delay_alu instid0(VALU_DEP_1)
	v_dual_sub_nc_u32 v7, 29, v1 :: v_dual_bitop2_b32 v1, 7, v8 bitop3:0x40
; %bb.2899:                             ;   in Loop: Header=BB287_2093 Depth=1
	s_or_b32 exec_lo, exec_lo, s25
	s_delay_alu instid0(VALU_DEP_1) | instskip(NEXT) | instid1(VALU_DEP_2)
	v_dual_lshlrev_b32 v0, 8, v0 :: v_dual_lshlrev_b32 v1, 23, v1
	v_lshl_add_u32 v7, v7, 10, 0x2000
	s_delay_alu instid0(VALU_DEP_1) | instskip(NEXT) | instid1(VALU_DEP_1)
	v_and_or_b32 v0, 0x8000, v0, v7
	v_lshl_or_b32 v1, v0, 16, v1
.LBB287_2900:                           ;   in Loop: Header=BB287_2093 Depth=1
	s_or_b32 exec_lo, exec_lo, s24
.LBB287_2901:                           ;   in Loop: Header=BB287_2093 Depth=1
	s_delay_alu instid0(SALU_CYCLE_1)
	s_or_b32 exec_lo, exec_lo, s23
.LBB287_2902:                           ;   in Loop: Header=BB287_2093 Depth=1
	s_delay_alu instid0(SALU_CYCLE_1) | instskip(SKIP_3) | instid1(VALU_DEP_2)
	s_or_b32 exec_lo, exec_lo, s22
	v_dual_mov_b32 v7, 0 :: v_dual_lshrrev_b32 v0, 16, v86
	v_mov_b32_e32 v8, 0
	s_mov_b32 s22, exec_lo
	v_and_b32_e32 v9, 0xff, v0
	s_delay_alu instid0(VALU_DEP_1)
	v_cmpx_ne_u16_e32 0, v9
	s_cbranch_execz .LBB287_2910
; %bb.2903:                             ;   in Loop: Header=BB287_2093 Depth=1
	v_mov_b32_e32 v8, 0x8000
	s_mov_b32 s23, exec_lo
	v_cmpx_ne_u16_e32 0x80, v9
	s_cbranch_execz .LBB287_2909
; %bb.2904:                             ;   in Loop: Header=BB287_2093 Depth=1
	v_bfe_u32 v12, v86, 16, 7
	v_mov_b32_e32 v8, 0x7c01
	s_mov_b32 s24, exec_lo
	s_delay_alu instid0(VALU_DEP_2)
	v_cmpx_ne_u32_e32 0x7f, v12
	s_cbranch_execz .LBB287_2908
; %bb.2905:                             ;   in Loop: Header=BB287_2093 Depth=1
	v_and_b32_e32 v8, 7, v0
	v_lshrrev_b32_e32 v9, 3, v12
	s_mov_b32 s25, exec_lo
	v_cmpx_gt_u32_e32 8, v12
; %bb.2906:                             ;   in Loop: Header=BB287_2093 Depth=1
	s_delay_alu instid0(VALU_DEP_3) | instskip(NEXT) | instid1(VALU_DEP_1)
	v_clz_i32_u32_e32 v8, v8
	v_min_u32_e32 v12, 32, v8
	s_delay_alu instid0(VALU_DEP_1) | instskip(NEXT) | instid1(VALU_DEP_1)
	v_subrev_nc_u32_e32 v8, 28, v12
	v_lshlrev_b64_e32 v[8:9], v8, v[0:1]
	v_sub_nc_u32_e32 v9, 29, v12
	s_delay_alu instid0(VALU_DEP_2)
	v_and_b32_e32 v8, 7, v8
; %bb.2907:                             ;   in Loop: Header=BB287_2093 Depth=1
	s_or_b32 exec_lo, exec_lo, s25
	v_lshlrev_b32_e32 v0, 8, v0
	s_delay_alu instid0(VALU_DEP_3) | instskip(NEXT) | instid1(VALU_DEP_3)
	v_lshl_add_u32 v9, v9, 10, 0x2000
	v_lshlrev_b32_e32 v8, 7, v8
	s_delay_alu instid0(VALU_DEP_3) | instskip(NEXT) | instid1(VALU_DEP_3)
	v_and_b32_e32 v0, 0x8000, v0
	v_and_b32_e32 v9, 0xfc00, v9
	s_delay_alu instid0(VALU_DEP_1)
	v_or3_b32 v8, v0, v9, v8
.LBB287_2908:                           ;   in Loop: Header=BB287_2093 Depth=1
	s_or_b32 exec_lo, exec_lo, s24
.LBB287_2909:                           ;   in Loop: Header=BB287_2093 Depth=1
	s_delay_alu instid0(SALU_CYCLE_1)
	s_or_b32 exec_lo, exec_lo, s23
.LBB287_2910:                           ;   in Loop: Header=BB287_2093 Depth=1
	s_delay_alu instid0(SALU_CYCLE_1) | instskip(NEXT) | instid1(SALU_CYCLE_1)
	s_or_b32 exec_lo, exec_lo, s22
	s_mov_b32 s22, exec_lo
	v_cmpx_lt_u32_e32 0xffffff, v86
	s_cbranch_execz .LBB287_2918
; %bb.2911:                             ;   in Loop: Header=BB287_2093 Depth=1
	v_lshrrev_b32_e32 v26, 24, v86
	v_bfrev_b32_e32 v7, 1
	s_mov_b32 s23, exec_lo
	s_delay_alu instid0(VALU_DEP_2)
	v_cmpx_ne_u32_e32 0x80, v26
	s_cbranch_execz .LBB287_2917
; %bb.2912:                             ;   in Loop: Header=BB287_2093 Depth=1
	v_and_b32_e32 v9, 0x7f, v26
	v_mov_b32_e32 v7, 0x7c010000
	s_mov_b32 s24, exec_lo
	s_delay_alu instid0(VALU_DEP_2)
	v_cmpx_ne_u32_e32 0x7f, v9
	s_cbranch_execz .LBB287_2916
; %bb.2913:                             ;   in Loop: Header=BB287_2093 Depth=1
	v_dual_lshrrev_b32 v7, 3, v9 :: v_dual_bitop2_b32 v0, 7, v26 bitop3:0x40
	s_mov_b32 s25, exec_lo
	v_cmpx_gt_u32_e32 8, v9
; %bb.2914:                             ;   in Loop: Header=BB287_2093 Depth=1
	s_delay_alu instid0(VALU_DEP_2) | instskip(NEXT) | instid1(VALU_DEP_1)
	v_clz_i32_u32_e32 v0, v0
	v_min_u32_e32 v0, 32, v0
	s_delay_alu instid0(VALU_DEP_1) | instskip(NEXT) | instid1(VALU_DEP_1)
	v_subrev_nc_u32_e32 v7, 28, v0
	v_lshlrev_b64_e32 v[14:15], v7, v[26:27]
	s_delay_alu instid0(VALU_DEP_1)
	v_dual_sub_nc_u32 v7, 29, v0 :: v_dual_bitop2_b32 v0, 7, v14 bitop3:0x40
; %bb.2915:                             ;   in Loop: Header=BB287_2093 Depth=1
	s_or_b32 exec_lo, exec_lo, s25
	s_delay_alu instid0(VALU_DEP_1) | instskip(NEXT) | instid1(VALU_DEP_2)
	v_dual_lshlrev_b32 v9, 8, v26 :: v_dual_lshlrev_b32 v0, 23, v0
	v_lshl_add_u32 v7, v7, 10, 0x2000
	s_delay_alu instid0(VALU_DEP_1) | instskip(NEXT) | instid1(VALU_DEP_1)
	v_and_or_b32 v7, 0x8000, v9, v7
	v_lshl_or_b32 v7, v7, 16, v0
.LBB287_2916:                           ;   in Loop: Header=BB287_2093 Depth=1
	s_or_b32 exec_lo, exec_lo, s24
.LBB287_2917:                           ;   in Loop: Header=BB287_2093 Depth=1
	s_delay_alu instid0(SALU_CYCLE_1)
	s_or_b32 exec_lo, exec_lo, s23
.LBB287_2918:                           ;   in Loop: Header=BB287_2093 Depth=1
	s_delay_alu instid0(SALU_CYCLE_1) | instskip(SKIP_4) | instid1(VALU_DEP_3)
	s_or_b32 exec_lo, exec_lo, s22
	v_and_b32_e32 v0, 0xff, v87
	v_dual_mov_b32 v26, v87 :: v_dual_mov_b32 v12, 0
	v_mov_b32_e32 v9, 0
	s_mov_b32 s22, exec_lo
	v_cmpx_ne_u16_e32 0, v0
	s_cbranch_execz .LBB287_2926
; %bb.2919:                             ;   in Loop: Header=BB287_2093 Depth=1
	v_mov_b32_e32 v9, 0x8000
	s_mov_b32 s23, exec_lo
	v_cmpx_ne_u16_e32 0x80, v0
	s_cbranch_execz .LBB287_2925
; %bb.2920:                             ;   in Loop: Header=BB287_2093 Depth=1
	v_and_b32_e32 v16, 0x7f, v87
	v_mov_b32_e32 v9, 0x7c01
	s_mov_b32 s24, exec_lo
	s_delay_alu instid0(VALU_DEP_2)
	v_cmpx_ne_u32_e32 0x7f, v16
	s_cbranch_execz .LBB287_2924
; %bb.2921:                             ;   in Loop: Header=BB287_2093 Depth=1
	v_dual_lshrrev_b32 v9, 3, v16 :: v_dual_bitop2_b32 v0, 7, v87 bitop3:0x40
	s_mov_b32 s25, exec_lo
	v_cmpx_gt_u32_e32 8, v16
; %bb.2922:                             ;   in Loop: Header=BB287_2093 Depth=1
	s_delay_alu instid0(VALU_DEP_2) | instskip(NEXT) | instid1(VALU_DEP_1)
	v_clz_i32_u32_e32 v0, v0
	v_min_u32_e32 v0, 32, v0
	s_delay_alu instid0(VALU_DEP_1) | instskip(NEXT) | instid1(VALU_DEP_1)
	v_subrev_nc_u32_e32 v9, 28, v0
	v_lshlrev_b64_e32 v[14:15], v9, v[26:27]
	s_delay_alu instid0(VALU_DEP_1)
	v_dual_sub_nc_u32 v9, 29, v0 :: v_dual_bitop2_b32 v0, 7, v14 bitop3:0x40
; %bb.2923:                             ;   in Loop: Header=BB287_2093 Depth=1
	s_or_b32 exec_lo, exec_lo, s25
	s_delay_alu instid0(VALU_DEP_1) | instskip(NEXT) | instid1(VALU_DEP_2)
	v_dual_lshlrev_b32 v14, 8, v87 :: v_dual_lshlrev_b32 v0, 7, v0
	v_lshl_add_u32 v9, v9, 10, 0x2000
	s_delay_alu instid0(VALU_DEP_2) | instskip(NEXT) | instid1(VALU_DEP_2)
	v_and_b32_e32 v14, 0x8000, v14
	v_and_b32_e32 v9, 0xfc00, v9
	s_delay_alu instid0(VALU_DEP_1)
	v_or3_b32 v9, v14, v9, v0
.LBB287_2924:                           ;   in Loop: Header=BB287_2093 Depth=1
	s_or_b32 exec_lo, exec_lo, s24
.LBB287_2925:                           ;   in Loop: Header=BB287_2093 Depth=1
	s_delay_alu instid0(SALU_CYCLE_1)
	s_or_b32 exec_lo, exec_lo, s23
.LBB287_2926:                           ;   in Loop: Header=BB287_2093 Depth=1
	s_delay_alu instid0(SALU_CYCLE_1) | instskip(SKIP_3) | instid1(VALU_DEP_2)
	s_or_b32 exec_lo, exec_lo, s22
	v_lshrrev_b16 v26, 8, v26
	v_mov_b32_e32 v16, 0
	s_mov_b32 s22, exec_lo
	v_cmpx_ne_u16_e32 0, v26
	s_cbranch_execz .LBB287_2934
; %bb.2927:                             ;   in Loop: Header=BB287_2093 Depth=1
	v_bfrev_b32_e32 v16, 1
	s_mov_b32 s23, exec_lo
	v_cmpx_ne_u16_e32 0x80, v26
	s_cbranch_execz .LBB287_2933
; %bb.2928:                             ;   in Loop: Header=BB287_2093 Depth=1
	v_and_b32_e32 v0, 0xffff, v26
	v_mov_b32_e32 v16, 0x7c010000
	s_mov_b32 s24, exec_lo
	s_delay_alu instid0(VALU_DEP_2) | instskip(NEXT) | instid1(VALU_DEP_1)
	v_and_b32_e32 v18, 0x7f, v0
	v_cmpx_ne_u32_e32 0x7f, v18
	s_cbranch_execz .LBB287_2932
; %bb.2929:                             ;   in Loop: Header=BB287_2093 Depth=1
	v_dual_lshrrev_b32 v17, 3, v18 :: v_dual_bitop2_b32 v16, 7, v0 bitop3:0x40
	s_mov_b32 s25, exec_lo
	v_cmpx_gt_u32_e32 8, v18
; %bb.2930:                             ;   in Loop: Header=BB287_2093 Depth=1
	s_delay_alu instid0(VALU_DEP_2) | instskip(NEXT) | instid1(VALU_DEP_1)
	v_clz_i32_u32_e32 v14, v16
	v_min_u32_e32 v16, 32, v14
	s_delay_alu instid0(VALU_DEP_1) | instskip(NEXT) | instid1(VALU_DEP_1)
	v_subrev_nc_u32_e32 v14, 28, v16
	v_lshlrev_b64_e32 v[14:15], v14, v[26:27]
	s_delay_alu instid0(VALU_DEP_1)
	v_dual_sub_nc_u32 v17, 29, v16 :: v_dual_bitop2_b32 v16, 7, v14 bitop3:0x40
; %bb.2931:                             ;   in Loop: Header=BB287_2093 Depth=1
	s_or_b32 exec_lo, exec_lo, s25
	v_lshlrev_b32_e32 v0, 8, v0
	s_delay_alu instid0(VALU_DEP_2) | instskip(NEXT) | instid1(VALU_DEP_1)
	v_lshl_add_u32 v14, v17, 10, 0x2000
	v_and_or_b32 v0, 0x8000, v0, v14
	v_lshlrev_b32_e32 v14, 23, v16
	s_delay_alu instid0(VALU_DEP_1)
	v_lshl_or_b32 v16, v0, 16, v14
.LBB287_2932:                           ;   in Loop: Header=BB287_2093 Depth=1
	s_or_b32 exec_lo, exec_lo, s24
.LBB287_2933:                           ;   in Loop: Header=BB287_2093 Depth=1
	s_delay_alu instid0(SALU_CYCLE_1)
	s_or_b32 exec_lo, exec_lo, s23
.LBB287_2934:                           ;   in Loop: Header=BB287_2093 Depth=1
	s_delay_alu instid0(SALU_CYCLE_1) | instskip(SKIP_2) | instid1(VALU_DEP_1)
	s_or_b32 exec_lo, exec_lo, s22
	v_lshrrev_b32_e32 v0, 16, v87
	s_mov_b32 s22, exec_lo
	v_and_b32_e32 v17, 0xff, v0
	s_delay_alu instid0(VALU_DEP_1)
	v_cmpx_ne_u16_e32 0, v17
	s_cbranch_execz .LBB287_2942
; %bb.2935:                             ;   in Loop: Header=BB287_2093 Depth=1
	v_mov_b32_e32 v12, 0x8000
	s_mov_b32 s23, exec_lo
	v_cmpx_ne_u16_e32 0x80, v17
	s_cbranch_execz .LBB287_2941
; %bb.2936:                             ;   in Loop: Header=BB287_2093 Depth=1
	v_bfe_u32 v18, v87, 16, 7
	v_mov_b32_e32 v12, 0x7c01
	s_mov_b32 s24, exec_lo
	s_delay_alu instid0(VALU_DEP_2)
	v_cmpx_ne_u32_e32 0x7f, v18
	s_cbranch_execz .LBB287_2940
; %bb.2937:                             ;   in Loop: Header=BB287_2093 Depth=1
	v_dual_lshrrev_b32 v17, 3, v18 :: v_dual_bitop2_b32 v12, 7, v0 bitop3:0x40
	s_mov_b32 s25, exec_lo
	v_cmpx_gt_u32_e32 8, v18
; %bb.2938:                             ;   in Loop: Header=BB287_2093 Depth=1
	s_delay_alu instid0(VALU_DEP_2) | instskip(NEXT) | instid1(VALU_DEP_1)
	v_clz_i32_u32_e32 v12, v12
	v_min_u32_e32 v12, 32, v12
	s_delay_alu instid0(VALU_DEP_1) | instskip(NEXT) | instid1(VALU_DEP_1)
	v_subrev_nc_u32_e32 v14, 28, v12
	v_lshlrev_b64_e32 v[14:15], v14, v[0:1]
	s_delay_alu instid0(VALU_DEP_1)
	v_dual_sub_nc_u32 v17, 29, v12 :: v_dual_bitop2_b32 v12, 7, v14 bitop3:0x40
; %bb.2939:                             ;   in Loop: Header=BB287_2093 Depth=1
	s_or_b32 exec_lo, exec_lo, s25
	v_lshlrev_b32_e32 v0, 8, v0
	s_delay_alu instid0(VALU_DEP_2) | instskip(NEXT) | instid1(VALU_DEP_3)
	v_lshl_add_u32 v14, v17, 10, 0x2000
	v_lshlrev_b32_e32 v12, 7, v12
	s_delay_alu instid0(VALU_DEP_3) | instskip(NEXT) | instid1(VALU_DEP_3)
	v_and_b32_e32 v0, 0x8000, v0
	v_and_b32_e32 v14, 0xfc00, v14
	s_delay_alu instid0(VALU_DEP_1)
	v_or3_b32 v12, v0, v14, v12
.LBB287_2940:                           ;   in Loop: Header=BB287_2093 Depth=1
	s_or_b32 exec_lo, exec_lo, s24
.LBB287_2941:                           ;   in Loop: Header=BB287_2093 Depth=1
	s_delay_alu instid0(SALU_CYCLE_1)
	s_or_b32 exec_lo, exec_lo, s23
.LBB287_2942:                           ;   in Loop: Header=BB287_2093 Depth=1
	s_delay_alu instid0(SALU_CYCLE_1)
	s_or_b32 exec_lo, exec_lo, s22
	v_mov_b32_e32 v0, 0
	s_mov_b32 s22, exec_lo
	v_cmpx_lt_u64_e64 s[14:15], v[86:87]
	s_cbranch_execz .LBB287_2950
; %bb.2943:                             ;   in Loop: Header=BB287_2093 Depth=1
	v_lshrrev_b32_e32 v26, 24, v87
	v_bfrev_b32_e32 v0, 1
	s_mov_b32 s23, exec_lo
	s_delay_alu instid0(VALU_DEP_2)
	v_cmpx_ne_u32_e32 0x80, v26
	s_cbranch_execz .LBB287_2949
; %bb.2944:                             ;   in Loop: Header=BB287_2093 Depth=1
	v_and_b32_e32 v18, 0x7f, v26
	v_mov_b32_e32 v0, 0x7c010000
	s_mov_b32 s24, exec_lo
	s_delay_alu instid0(VALU_DEP_2)
	v_cmpx_ne_u32_e32 0x7f, v18
	s_cbranch_execz .LBB287_2948
; %bb.2945:                             ;   in Loop: Header=BB287_2093 Depth=1
	v_and_b32_e32 v0, 7, v26
	v_lshrrev_b32_e32 v17, 3, v18
	s_mov_b32 s25, exec_lo
	v_cmpx_gt_u32_e32 8, v18
; %bb.2946:                             ;   in Loop: Header=BB287_2093 Depth=1
	s_delay_alu instid0(VALU_DEP_3) | instskip(NEXT) | instid1(VALU_DEP_1)
	v_clz_i32_u32_e32 v0, v0
	v_min_u32_e32 v0, 32, v0
	s_delay_alu instid0(VALU_DEP_1) | instskip(NEXT) | instid1(VALU_DEP_1)
	v_subrev_nc_u32_e32 v14, 28, v0
	v_lshlrev_b64_e32 v[14:15], v14, v[26:27]
	s_delay_alu instid0(VALU_DEP_1)
	v_dual_sub_nc_u32 v17, 29, v0 :: v_dual_bitop2_b32 v0, 7, v14 bitop3:0x40
; %bb.2947:                             ;   in Loop: Header=BB287_2093 Depth=1
	s_or_b32 exec_lo, exec_lo, s25
	s_delay_alu instid0(VALU_DEP_1) | instskip(NEXT) | instid1(VALU_DEP_2)
	v_dual_lshlrev_b32 v14, 8, v26 :: v_dual_lshlrev_b32 v0, 23, v0
	v_lshl_add_u32 v15, v17, 10, 0x2000
	s_delay_alu instid0(VALU_DEP_1) | instskip(NEXT) | instid1(VALU_DEP_1)
	v_and_or_b32 v14, 0x8000, v14, v15
	v_lshl_or_b32 v0, v14, 16, v0
.LBB287_2948:                           ;   in Loop: Header=BB287_2093 Depth=1
	s_or_b32 exec_lo, exec_lo, s24
.LBB287_2949:                           ;   in Loop: Header=BB287_2093 Depth=1
	s_delay_alu instid0(SALU_CYCLE_1)
	s_or_b32 exec_lo, exec_lo, s23
.LBB287_2950:                           ;   in Loop: Header=BB287_2093 Depth=1
	s_delay_alu instid0(SALU_CYCLE_1) | instskip(SKIP_4) | instid1(VALU_DEP_4)
	s_or_b32 exec_lo, exec_lo, s22
	v_dual_lshrrev_b32 v14, 16, v1 :: v_dual_lshrrev_b32 v15, 16, v7
	v_or_b32_e32 v1, v1, v6
	v_or_b32_e32 v8, v7, v8
	;; [unrolled: 1-line block ×3, first 2 shown]
	v_cvt_f32_f16_e32 v7, v14
	v_cvt_f32_f16_e32 v6, v15
	v_lshrrev_b32_e32 v14, 16, v16
	v_dual_lshrrev_b32 v15, 16, v0 :: v_dual_bitop2_b32 v16, v16, v9 bitop3:0x54
	v_cvt_f32_f16_e32 v0, v8
	s_wait_loadcnt_dscnt 0x0
	v_pk_mul_f32 v[6:7], v[84:85], v[6:7] op_sel_hi:[0,1]
	v_cvt_f32_f16_e32 v1, v1
	v_cvt_f32_f16_e32 v9, v14
	;; [unrolled: 1-line block ×5, first 2 shown]
	v_pk_mul_f32 v[0:1], v[84:85], v[0:1] op_sel_hi:[0,1]
	v_cvt_pk_f16_f32 v12, v6, v7
	v_pk_mul_f32 v[6:7], v[84:85], v[8:9] op_sel_hi:[0,1]
	s_delay_alu instid0(VALU_DEP_4) | instskip(NEXT) | instid1(VALU_DEP_4)
	v_pk_mul_f32 v[14:15], v[84:85], v[14:15] op_sel_hi:[0,1]
	v_cvt_pk_f16_f32 v0, v0, v1
	s_delay_alu instid0(VALU_DEP_4) | instskip(NEXT) | instid1(VALU_DEP_4)
	v_and_b32_e32 v9, 0xffff0000, v12
	v_cvt_pk_f16_f32 v6, v6, v7
	s_delay_alu instid0(VALU_DEP_4) | instskip(NEXT) | instid1(VALU_DEP_4)
	v_cvt_pk_f16_f32 v7, v14, v15
	v_and_b32_e32 v98, 0xffff, v0
	v_lshrrev_b32_e32 v97, 16, v0
	v_lshlrev_b32_e32 v86, 16, v12
	v_and_b32_e32 v1, 0xffff0000, v6
	v_dual_lshlrev_b32 v0, 16, v6 :: v_dual_lshrrev_b32 v87, 16, v7
	v_and_b32_e32 v96, 0xffff, v7
	v_or_b32_e32 v85, v9, v97
	v_or_b32_e32 v84, v86, v98
	s_delay_alu instid0(VALU_DEP_4) | instskip(NEXT) | instid1(VALU_DEP_4)
	v_or_b32_e32 v19, v1, v87
	v_or_b32_e32 v26, v0, v96
	s_and_saveexec_b32 s8, s0
	s_cbranch_execz .LBB287_2952
; %bb.2951:                             ;   in Loop: Header=BB287_2093 Depth=1
	v_dual_cndmask_b32 v6, 0, v97, vcc_lo :: v_dual_cndmask_b32 v7, 0, v98, s1
	v_dual_cndmask_b32 v8, 0, v9, s2 :: v_dual_cndmask_b32 v9, 0, v86, s3
	v_dual_cndmask_b32 v12, 0, v87, s4 :: v_dual_cndmask_b32 v14, 0, v96, s5
	;; [unrolled: 1-line block ×3, first 2 shown]
	s_delay_alu instid0(VALU_DEP_3) | instskip(NEXT) | instid1(VALU_DEP_4)
	v_or_b32_e32 v85, v6, v8
	v_or_b32_e32 v84, v7, v9
	s_delay_alu instid0(VALU_DEP_3) | instskip(NEXT) | instid1(VALU_DEP_4)
	v_or_b32_e32 v19, v12, v1
	v_or_b32_e32 v26, v14, v0
.LBB287_2952:                           ;   in Loop: Header=BB287_2093 Depth=1
	s_or_b32 exec_lo, exec_lo, s8
	;;#ASMSTART
	v_pk_mul_f16 v0, v119, v85;

	;;#ASMEND
	;;#ASMSTART
	v_pk_mul_f16 v1, v117, v84;

	;;#ASMEND
	;; [unrolled: 4-line block ×4, first 2 shown]
	;;#ASMSTART
	v_pk_add_f16 v0, v0, v1;

	;;#ASMEND
	;;#ASMSTART
	v_pk_add_f16 v0, v0, v6;

	;;#ASMEND
	;;#ASMSTART
	v_pk_add_f16 v0, v0, v7;

	;;#ASMEND
	v_and_b32_e32 v1, 0xffff, v0
	v_lshrrev_b32_e32 v0, 16, v0
	;;#ASMSTART
	v_cvt_f32_f16 v79, v1;
	;;#ASMEND
	v_mov_b32_e32 v1, 0
	;;#ASMSTART
	v_cvt_f32_f16 v88, v0;
	;;#ASMEND
	flat_load_b64 v[86:87], v[82:83] offset:3328
	flat_load_b32 v84, v[22:23]
	v_mov_b32_e32 v6, 0
	s_mov_b32 s22, exec_lo
	s_wait_loadcnt_dscnt 0x101
	v_and_b32_e32 v0, 0xff, v86
	s_wait_xcnt 0x0
	s_delay_alu instid0(VALU_DEP_1)
	v_cmpx_ne_u16_e32 0, v0
	s_cbranch_execz .LBB287_2960
; %bb.2953:                             ;   in Loop: Header=BB287_2093 Depth=1
	v_mov_b32_e32 v6, 0x8000
	s_mov_b32 s23, exec_lo
	v_cmpx_ne_u16_e32 0x80, v0
	s_cbranch_execz .LBB287_2959
; %bb.2954:                             ;   in Loop: Header=BB287_2093 Depth=1
	v_and_b32_e32 v7, 0x7f, v86
	v_mov_b32_e32 v6, 0x7c01
	s_mov_b32 s24, exec_lo
	s_delay_alu instid0(VALU_DEP_2)
	v_cmpx_ne_u32_e32 0x7f, v7
	s_cbranch_execz .LBB287_2958
; %bb.2955:                             ;   in Loop: Header=BB287_2093 Depth=1
	v_dual_lshrrev_b32 v6, 3, v7 :: v_dual_bitop2_b32 v0, 7, v86 bitop3:0x40
	s_mov_b32 s25, exec_lo
	v_cmpx_gt_u32_e32 8, v7
; %bb.2956:                             ;   in Loop: Header=BB287_2093 Depth=1
	s_delay_alu instid0(VALU_DEP_2) | instskip(NEXT) | instid1(VALU_DEP_1)
	v_clz_i32_u32_e32 v0, v0
	v_min_u32_e32 v0, 32, v0
	s_delay_alu instid0(VALU_DEP_1) | instskip(NEXT) | instid1(VALU_DEP_1)
	v_subrev_nc_u32_e32 v6, 28, v0
	v_lshlrev_b64_e32 v[8:9], v6, v[86:87]
	v_sub_nc_u32_e32 v6, 29, v0
	s_delay_alu instid0(VALU_DEP_2)
	v_and_b32_e32 v0, 7, v8
; %bb.2957:                             ;   in Loop: Header=BB287_2093 Depth=1
	s_or_b32 exec_lo, exec_lo, s25
	s_delay_alu instid0(VALU_DEP_1) | instskip(NEXT) | instid1(VALU_DEP_3)
	v_dual_lshlrev_b32 v7, 8, v86 :: v_dual_lshlrev_b32 v0, 7, v0
	v_lshl_add_u32 v6, v6, 10, 0x2000
	s_delay_alu instid0(VALU_DEP_2) | instskip(NEXT) | instid1(VALU_DEP_2)
	v_and_b32_e32 v7, 0x8000, v7
	v_and_b32_e32 v6, 0xfc00, v6
	s_delay_alu instid0(VALU_DEP_1)
	v_or3_b32 v6, v7, v6, v0
.LBB287_2958:                           ;   in Loop: Header=BB287_2093 Depth=1
	s_or_b32 exec_lo, exec_lo, s24
.LBB287_2959:                           ;   in Loop: Header=BB287_2093 Depth=1
	s_delay_alu instid0(SALU_CYCLE_1)
	s_or_b32 exec_lo, exec_lo, s23
.LBB287_2960:                           ;   in Loop: Header=BB287_2093 Depth=1
	s_delay_alu instid0(SALU_CYCLE_1) | instskip(SKIP_2) | instid1(VALU_DEP_1)
	s_or_b32 exec_lo, exec_lo, s22
	v_lshrrev_b16 v26, 8, v86
	s_mov_b32 s22, exec_lo
	v_cmpx_ne_u16_e32 0, v26
	s_cbranch_execz .LBB287_2968
; %bb.2961:                             ;   in Loop: Header=BB287_2093 Depth=1
	v_bfrev_b32_e32 v1, 1
	s_mov_b32 s23, exec_lo
	v_cmpx_ne_u16_e32 0x80, v26
	s_cbranch_execz .LBB287_2967
; %bb.2962:                             ;   in Loop: Header=BB287_2093 Depth=1
	v_and_b32_e32 v0, 0xffff, v26
	v_mov_b32_e32 v1, 0x7c010000
	s_mov_b32 s24, exec_lo
	s_delay_alu instid0(VALU_DEP_2) | instskip(NEXT) | instid1(VALU_DEP_1)
	v_and_b32_e32 v8, 0x7f, v0
	v_cmpx_ne_u32_e32 0x7f, v8
	s_cbranch_execz .LBB287_2966
; %bb.2963:                             ;   in Loop: Header=BB287_2093 Depth=1
	v_and_b32_e32 v1, 7, v0
	v_lshrrev_b32_e32 v7, 3, v8
	s_mov_b32 s25, exec_lo
	v_cmpx_gt_u32_e32 8, v8
; %bb.2964:                             ;   in Loop: Header=BB287_2093 Depth=1
	s_delay_alu instid0(VALU_DEP_3) | instskip(NEXT) | instid1(VALU_DEP_1)
	v_clz_i32_u32_e32 v1, v1
	v_min_u32_e32 v1, 32, v1
	s_delay_alu instid0(VALU_DEP_1) | instskip(NEXT) | instid1(VALU_DEP_1)
	v_subrev_nc_u32_e32 v7, 28, v1
	v_lshlrev_b64_e32 v[8:9], v7, v[26:27]
	s_delay_alu instid0(VALU_DEP_1)
	v_dual_sub_nc_u32 v7, 29, v1 :: v_dual_bitop2_b32 v1, 7, v8 bitop3:0x40
; %bb.2965:                             ;   in Loop: Header=BB287_2093 Depth=1
	s_or_b32 exec_lo, exec_lo, s25
	s_delay_alu instid0(VALU_DEP_1) | instskip(NEXT) | instid1(VALU_DEP_2)
	v_dual_lshlrev_b32 v0, 8, v0 :: v_dual_lshlrev_b32 v1, 23, v1
	v_lshl_add_u32 v7, v7, 10, 0x2000
	s_delay_alu instid0(VALU_DEP_1) | instskip(NEXT) | instid1(VALU_DEP_1)
	v_and_or_b32 v0, 0x8000, v0, v7
	v_lshl_or_b32 v1, v0, 16, v1
.LBB287_2966:                           ;   in Loop: Header=BB287_2093 Depth=1
	s_or_b32 exec_lo, exec_lo, s24
.LBB287_2967:                           ;   in Loop: Header=BB287_2093 Depth=1
	s_delay_alu instid0(SALU_CYCLE_1)
	s_or_b32 exec_lo, exec_lo, s23
.LBB287_2968:                           ;   in Loop: Header=BB287_2093 Depth=1
	s_delay_alu instid0(SALU_CYCLE_1) | instskip(SKIP_3) | instid1(VALU_DEP_2)
	s_or_b32 exec_lo, exec_lo, s22
	v_dual_mov_b32 v7, 0 :: v_dual_lshrrev_b32 v0, 16, v86
	v_mov_b32_e32 v8, 0
	s_mov_b32 s22, exec_lo
	v_and_b32_e32 v9, 0xff, v0
	s_delay_alu instid0(VALU_DEP_1)
	v_cmpx_ne_u16_e32 0, v9
	s_cbranch_execz .LBB287_2976
; %bb.2969:                             ;   in Loop: Header=BB287_2093 Depth=1
	v_mov_b32_e32 v8, 0x8000
	s_mov_b32 s23, exec_lo
	v_cmpx_ne_u16_e32 0x80, v9
	s_cbranch_execz .LBB287_2975
; %bb.2970:                             ;   in Loop: Header=BB287_2093 Depth=1
	v_bfe_u32 v12, v86, 16, 7
	v_mov_b32_e32 v8, 0x7c01
	s_mov_b32 s24, exec_lo
	s_delay_alu instid0(VALU_DEP_2)
	v_cmpx_ne_u32_e32 0x7f, v12
	s_cbranch_execz .LBB287_2974
; %bb.2971:                             ;   in Loop: Header=BB287_2093 Depth=1
	v_and_b32_e32 v8, 7, v0
	v_lshrrev_b32_e32 v9, 3, v12
	s_mov_b32 s25, exec_lo
	v_cmpx_gt_u32_e32 8, v12
; %bb.2972:                             ;   in Loop: Header=BB287_2093 Depth=1
	s_delay_alu instid0(VALU_DEP_3) | instskip(NEXT) | instid1(VALU_DEP_1)
	v_clz_i32_u32_e32 v8, v8
	v_min_u32_e32 v12, 32, v8
	s_delay_alu instid0(VALU_DEP_1) | instskip(NEXT) | instid1(VALU_DEP_1)
	v_subrev_nc_u32_e32 v8, 28, v12
	v_lshlrev_b64_e32 v[8:9], v8, v[0:1]
	v_sub_nc_u32_e32 v9, 29, v12
	s_delay_alu instid0(VALU_DEP_2)
	v_and_b32_e32 v8, 7, v8
; %bb.2973:                             ;   in Loop: Header=BB287_2093 Depth=1
	s_or_b32 exec_lo, exec_lo, s25
	v_lshlrev_b32_e32 v0, 8, v0
	s_delay_alu instid0(VALU_DEP_3) | instskip(NEXT) | instid1(VALU_DEP_3)
	v_lshl_add_u32 v9, v9, 10, 0x2000
	v_lshlrev_b32_e32 v8, 7, v8
	s_delay_alu instid0(VALU_DEP_3) | instskip(NEXT) | instid1(VALU_DEP_3)
	v_and_b32_e32 v0, 0x8000, v0
	v_and_b32_e32 v9, 0xfc00, v9
	s_delay_alu instid0(VALU_DEP_1)
	v_or3_b32 v8, v0, v9, v8
.LBB287_2974:                           ;   in Loop: Header=BB287_2093 Depth=1
	s_or_b32 exec_lo, exec_lo, s24
.LBB287_2975:                           ;   in Loop: Header=BB287_2093 Depth=1
	s_delay_alu instid0(SALU_CYCLE_1)
	s_or_b32 exec_lo, exec_lo, s23
.LBB287_2976:                           ;   in Loop: Header=BB287_2093 Depth=1
	s_delay_alu instid0(SALU_CYCLE_1) | instskip(NEXT) | instid1(SALU_CYCLE_1)
	s_or_b32 exec_lo, exec_lo, s22
	s_mov_b32 s22, exec_lo
	v_cmpx_lt_u32_e32 0xffffff, v86
	s_cbranch_execz .LBB287_2984
; %bb.2977:                             ;   in Loop: Header=BB287_2093 Depth=1
	v_lshrrev_b32_e32 v26, 24, v86
	v_bfrev_b32_e32 v7, 1
	s_mov_b32 s23, exec_lo
	s_delay_alu instid0(VALU_DEP_2)
	v_cmpx_ne_u32_e32 0x80, v26
	s_cbranch_execz .LBB287_2983
; %bb.2978:                             ;   in Loop: Header=BB287_2093 Depth=1
	v_and_b32_e32 v9, 0x7f, v26
	v_mov_b32_e32 v7, 0x7c010000
	s_mov_b32 s24, exec_lo
	s_delay_alu instid0(VALU_DEP_2)
	v_cmpx_ne_u32_e32 0x7f, v9
	s_cbranch_execz .LBB287_2982
; %bb.2979:                             ;   in Loop: Header=BB287_2093 Depth=1
	v_dual_lshrrev_b32 v7, 3, v9 :: v_dual_bitop2_b32 v0, 7, v26 bitop3:0x40
	s_mov_b32 s25, exec_lo
	v_cmpx_gt_u32_e32 8, v9
; %bb.2980:                             ;   in Loop: Header=BB287_2093 Depth=1
	s_delay_alu instid0(VALU_DEP_2) | instskip(NEXT) | instid1(VALU_DEP_1)
	v_clz_i32_u32_e32 v0, v0
	v_min_u32_e32 v0, 32, v0
	s_delay_alu instid0(VALU_DEP_1) | instskip(NEXT) | instid1(VALU_DEP_1)
	v_subrev_nc_u32_e32 v7, 28, v0
	v_lshlrev_b64_e32 v[14:15], v7, v[26:27]
	s_delay_alu instid0(VALU_DEP_1)
	v_dual_sub_nc_u32 v7, 29, v0 :: v_dual_bitop2_b32 v0, 7, v14 bitop3:0x40
; %bb.2981:                             ;   in Loop: Header=BB287_2093 Depth=1
	s_or_b32 exec_lo, exec_lo, s25
	s_delay_alu instid0(VALU_DEP_1) | instskip(NEXT) | instid1(VALU_DEP_2)
	v_dual_lshlrev_b32 v9, 8, v26 :: v_dual_lshlrev_b32 v0, 23, v0
	v_lshl_add_u32 v7, v7, 10, 0x2000
	s_delay_alu instid0(VALU_DEP_1) | instskip(NEXT) | instid1(VALU_DEP_1)
	v_and_or_b32 v7, 0x8000, v9, v7
	v_lshl_or_b32 v7, v7, 16, v0
.LBB287_2982:                           ;   in Loop: Header=BB287_2093 Depth=1
	s_or_b32 exec_lo, exec_lo, s24
.LBB287_2983:                           ;   in Loop: Header=BB287_2093 Depth=1
	s_delay_alu instid0(SALU_CYCLE_1)
	s_or_b32 exec_lo, exec_lo, s23
.LBB287_2984:                           ;   in Loop: Header=BB287_2093 Depth=1
	s_delay_alu instid0(SALU_CYCLE_1) | instskip(SKIP_4) | instid1(VALU_DEP_3)
	s_or_b32 exec_lo, exec_lo, s22
	v_and_b32_e32 v0, 0xff, v87
	v_dual_mov_b32 v26, v87 :: v_dual_mov_b32 v12, 0
	v_mov_b32_e32 v9, 0
	s_mov_b32 s22, exec_lo
	v_cmpx_ne_u16_e32 0, v0
	s_cbranch_execz .LBB287_2992
; %bb.2985:                             ;   in Loop: Header=BB287_2093 Depth=1
	v_mov_b32_e32 v9, 0x8000
	s_mov_b32 s23, exec_lo
	v_cmpx_ne_u16_e32 0x80, v0
	s_cbranch_execz .LBB287_2991
; %bb.2986:                             ;   in Loop: Header=BB287_2093 Depth=1
	v_and_b32_e32 v16, 0x7f, v87
	v_mov_b32_e32 v9, 0x7c01
	s_mov_b32 s24, exec_lo
	s_delay_alu instid0(VALU_DEP_2)
	v_cmpx_ne_u32_e32 0x7f, v16
	s_cbranch_execz .LBB287_2990
; %bb.2987:                             ;   in Loop: Header=BB287_2093 Depth=1
	v_dual_lshrrev_b32 v9, 3, v16 :: v_dual_bitop2_b32 v0, 7, v87 bitop3:0x40
	s_mov_b32 s25, exec_lo
	v_cmpx_gt_u32_e32 8, v16
; %bb.2988:                             ;   in Loop: Header=BB287_2093 Depth=1
	s_delay_alu instid0(VALU_DEP_2) | instskip(NEXT) | instid1(VALU_DEP_1)
	v_clz_i32_u32_e32 v0, v0
	v_min_u32_e32 v0, 32, v0
	s_delay_alu instid0(VALU_DEP_1) | instskip(NEXT) | instid1(VALU_DEP_1)
	v_subrev_nc_u32_e32 v9, 28, v0
	v_lshlrev_b64_e32 v[14:15], v9, v[26:27]
	s_delay_alu instid0(VALU_DEP_1)
	v_dual_sub_nc_u32 v9, 29, v0 :: v_dual_bitop2_b32 v0, 7, v14 bitop3:0x40
; %bb.2989:                             ;   in Loop: Header=BB287_2093 Depth=1
	s_or_b32 exec_lo, exec_lo, s25
	s_delay_alu instid0(VALU_DEP_1) | instskip(NEXT) | instid1(VALU_DEP_2)
	v_dual_lshlrev_b32 v14, 8, v87 :: v_dual_lshlrev_b32 v0, 7, v0
	v_lshl_add_u32 v9, v9, 10, 0x2000
	s_delay_alu instid0(VALU_DEP_2) | instskip(NEXT) | instid1(VALU_DEP_2)
	v_and_b32_e32 v14, 0x8000, v14
	v_and_b32_e32 v9, 0xfc00, v9
	s_delay_alu instid0(VALU_DEP_1)
	v_or3_b32 v9, v14, v9, v0
.LBB287_2990:                           ;   in Loop: Header=BB287_2093 Depth=1
	s_or_b32 exec_lo, exec_lo, s24
.LBB287_2991:                           ;   in Loop: Header=BB287_2093 Depth=1
	s_delay_alu instid0(SALU_CYCLE_1)
	s_or_b32 exec_lo, exec_lo, s23
.LBB287_2992:                           ;   in Loop: Header=BB287_2093 Depth=1
	s_delay_alu instid0(SALU_CYCLE_1) | instskip(SKIP_3) | instid1(VALU_DEP_2)
	s_or_b32 exec_lo, exec_lo, s22
	v_lshrrev_b16 v26, 8, v26
	v_mov_b32_e32 v16, 0
	s_mov_b32 s22, exec_lo
	v_cmpx_ne_u16_e32 0, v26
	s_cbranch_execz .LBB287_3000
; %bb.2993:                             ;   in Loop: Header=BB287_2093 Depth=1
	v_bfrev_b32_e32 v16, 1
	s_mov_b32 s23, exec_lo
	v_cmpx_ne_u16_e32 0x80, v26
	s_cbranch_execz .LBB287_2999
; %bb.2994:                             ;   in Loop: Header=BB287_2093 Depth=1
	v_and_b32_e32 v0, 0xffff, v26
	v_mov_b32_e32 v16, 0x7c010000
	s_mov_b32 s24, exec_lo
	s_delay_alu instid0(VALU_DEP_2) | instskip(NEXT) | instid1(VALU_DEP_1)
	v_and_b32_e32 v18, 0x7f, v0
	v_cmpx_ne_u32_e32 0x7f, v18
	s_cbranch_execz .LBB287_2998
; %bb.2995:                             ;   in Loop: Header=BB287_2093 Depth=1
	v_dual_lshrrev_b32 v17, 3, v18 :: v_dual_bitop2_b32 v16, 7, v0 bitop3:0x40
	s_mov_b32 s25, exec_lo
	v_cmpx_gt_u32_e32 8, v18
; %bb.2996:                             ;   in Loop: Header=BB287_2093 Depth=1
	s_delay_alu instid0(VALU_DEP_2) | instskip(NEXT) | instid1(VALU_DEP_1)
	v_clz_i32_u32_e32 v14, v16
	v_min_u32_e32 v16, 32, v14
	s_delay_alu instid0(VALU_DEP_1) | instskip(NEXT) | instid1(VALU_DEP_1)
	v_subrev_nc_u32_e32 v14, 28, v16
	v_lshlrev_b64_e32 v[14:15], v14, v[26:27]
	s_delay_alu instid0(VALU_DEP_1)
	v_dual_sub_nc_u32 v17, 29, v16 :: v_dual_bitop2_b32 v16, 7, v14 bitop3:0x40
; %bb.2997:                             ;   in Loop: Header=BB287_2093 Depth=1
	s_or_b32 exec_lo, exec_lo, s25
	v_lshlrev_b32_e32 v0, 8, v0
	s_delay_alu instid0(VALU_DEP_2) | instskip(NEXT) | instid1(VALU_DEP_1)
	v_lshl_add_u32 v14, v17, 10, 0x2000
	v_and_or_b32 v0, 0x8000, v0, v14
	v_lshlrev_b32_e32 v14, 23, v16
	s_delay_alu instid0(VALU_DEP_1)
	v_lshl_or_b32 v16, v0, 16, v14
.LBB287_2998:                           ;   in Loop: Header=BB287_2093 Depth=1
	s_or_b32 exec_lo, exec_lo, s24
.LBB287_2999:                           ;   in Loop: Header=BB287_2093 Depth=1
	s_delay_alu instid0(SALU_CYCLE_1)
	s_or_b32 exec_lo, exec_lo, s23
.LBB287_3000:                           ;   in Loop: Header=BB287_2093 Depth=1
	s_delay_alu instid0(SALU_CYCLE_1) | instskip(SKIP_2) | instid1(VALU_DEP_1)
	s_or_b32 exec_lo, exec_lo, s22
	v_lshrrev_b32_e32 v0, 16, v87
	s_mov_b32 s22, exec_lo
	v_and_b32_e32 v17, 0xff, v0
	s_delay_alu instid0(VALU_DEP_1)
	v_cmpx_ne_u16_e32 0, v17
	s_cbranch_execz .LBB287_3008
; %bb.3001:                             ;   in Loop: Header=BB287_2093 Depth=1
	v_mov_b32_e32 v12, 0x8000
	s_mov_b32 s23, exec_lo
	v_cmpx_ne_u16_e32 0x80, v17
	s_cbranch_execz .LBB287_3007
; %bb.3002:                             ;   in Loop: Header=BB287_2093 Depth=1
	v_bfe_u32 v18, v87, 16, 7
	v_mov_b32_e32 v12, 0x7c01
	s_mov_b32 s24, exec_lo
	s_delay_alu instid0(VALU_DEP_2)
	v_cmpx_ne_u32_e32 0x7f, v18
	s_cbranch_execz .LBB287_3006
; %bb.3003:                             ;   in Loop: Header=BB287_2093 Depth=1
	v_dual_lshrrev_b32 v17, 3, v18 :: v_dual_bitop2_b32 v12, 7, v0 bitop3:0x40
	s_mov_b32 s25, exec_lo
	v_cmpx_gt_u32_e32 8, v18
; %bb.3004:                             ;   in Loop: Header=BB287_2093 Depth=1
	s_delay_alu instid0(VALU_DEP_2) | instskip(NEXT) | instid1(VALU_DEP_1)
	v_clz_i32_u32_e32 v12, v12
	v_min_u32_e32 v12, 32, v12
	s_delay_alu instid0(VALU_DEP_1) | instskip(NEXT) | instid1(VALU_DEP_1)
	v_subrev_nc_u32_e32 v14, 28, v12
	v_lshlrev_b64_e32 v[14:15], v14, v[0:1]
	s_delay_alu instid0(VALU_DEP_1)
	v_dual_sub_nc_u32 v17, 29, v12 :: v_dual_bitop2_b32 v12, 7, v14 bitop3:0x40
; %bb.3005:                             ;   in Loop: Header=BB287_2093 Depth=1
	s_or_b32 exec_lo, exec_lo, s25
	v_lshlrev_b32_e32 v0, 8, v0
	s_delay_alu instid0(VALU_DEP_2) | instskip(NEXT) | instid1(VALU_DEP_3)
	v_lshl_add_u32 v14, v17, 10, 0x2000
	v_lshlrev_b32_e32 v12, 7, v12
	s_delay_alu instid0(VALU_DEP_3) | instskip(NEXT) | instid1(VALU_DEP_3)
	v_and_b32_e32 v0, 0x8000, v0
	v_and_b32_e32 v14, 0xfc00, v14
	s_delay_alu instid0(VALU_DEP_1)
	v_or3_b32 v12, v0, v14, v12
.LBB287_3006:                           ;   in Loop: Header=BB287_2093 Depth=1
	s_or_b32 exec_lo, exec_lo, s24
.LBB287_3007:                           ;   in Loop: Header=BB287_2093 Depth=1
	s_delay_alu instid0(SALU_CYCLE_1)
	s_or_b32 exec_lo, exec_lo, s23
.LBB287_3008:                           ;   in Loop: Header=BB287_2093 Depth=1
	s_delay_alu instid0(SALU_CYCLE_1)
	s_or_b32 exec_lo, exec_lo, s22
	v_mov_b32_e32 v0, 0
	s_mov_b32 s22, exec_lo
	v_cmpx_lt_u64_e64 s[14:15], v[86:87]
	s_cbranch_execz .LBB287_3016
; %bb.3009:                             ;   in Loop: Header=BB287_2093 Depth=1
	v_lshrrev_b32_e32 v26, 24, v87
	v_bfrev_b32_e32 v0, 1
	s_mov_b32 s23, exec_lo
	s_delay_alu instid0(VALU_DEP_2)
	v_cmpx_ne_u32_e32 0x80, v26
	s_cbranch_execz .LBB287_3015
; %bb.3010:                             ;   in Loop: Header=BB287_2093 Depth=1
	v_and_b32_e32 v18, 0x7f, v26
	v_mov_b32_e32 v0, 0x7c010000
	s_mov_b32 s24, exec_lo
	s_delay_alu instid0(VALU_DEP_2)
	v_cmpx_ne_u32_e32 0x7f, v18
	s_cbranch_execz .LBB287_3014
; %bb.3011:                             ;   in Loop: Header=BB287_2093 Depth=1
	v_and_b32_e32 v0, 7, v26
	v_lshrrev_b32_e32 v17, 3, v18
	s_mov_b32 s25, exec_lo
	v_cmpx_gt_u32_e32 8, v18
; %bb.3012:                             ;   in Loop: Header=BB287_2093 Depth=1
	s_delay_alu instid0(VALU_DEP_3) | instskip(NEXT) | instid1(VALU_DEP_1)
	v_clz_i32_u32_e32 v0, v0
	v_min_u32_e32 v0, 32, v0
	s_delay_alu instid0(VALU_DEP_1) | instskip(NEXT) | instid1(VALU_DEP_1)
	v_subrev_nc_u32_e32 v14, 28, v0
	v_lshlrev_b64_e32 v[14:15], v14, v[26:27]
	s_delay_alu instid0(VALU_DEP_1)
	v_dual_sub_nc_u32 v17, 29, v0 :: v_dual_bitop2_b32 v0, 7, v14 bitop3:0x40
; %bb.3013:                             ;   in Loop: Header=BB287_2093 Depth=1
	s_or_b32 exec_lo, exec_lo, s25
	s_delay_alu instid0(VALU_DEP_1) | instskip(NEXT) | instid1(VALU_DEP_2)
	v_dual_lshlrev_b32 v14, 8, v26 :: v_dual_lshlrev_b32 v0, 23, v0
	v_lshl_add_u32 v15, v17, 10, 0x2000
	s_delay_alu instid0(VALU_DEP_1) | instskip(NEXT) | instid1(VALU_DEP_1)
	v_and_or_b32 v14, 0x8000, v14, v15
	v_lshl_or_b32 v0, v14, 16, v0
.LBB287_3014:                           ;   in Loop: Header=BB287_2093 Depth=1
	s_or_b32 exec_lo, exec_lo, s24
.LBB287_3015:                           ;   in Loop: Header=BB287_2093 Depth=1
	s_delay_alu instid0(SALU_CYCLE_1)
	s_or_b32 exec_lo, exec_lo, s23
.LBB287_3016:                           ;   in Loop: Header=BB287_2093 Depth=1
	s_delay_alu instid0(SALU_CYCLE_1) | instskip(SKIP_4) | instid1(VALU_DEP_4)
	s_or_b32 exec_lo, exec_lo, s22
	v_dual_lshrrev_b32 v14, 16, v1 :: v_dual_lshrrev_b32 v15, 16, v7
	v_or_b32_e32 v1, v1, v6
	v_or_b32_e32 v8, v7, v8
	;; [unrolled: 1-line block ×3, first 2 shown]
	v_cvt_f32_f16_e32 v7, v14
	v_cvt_f32_f16_e32 v6, v15
	v_lshrrev_b32_e32 v14, 16, v16
	v_dual_lshrrev_b32 v15, 16, v0 :: v_dual_bitop2_b32 v16, v16, v9 bitop3:0x54
	v_cvt_f32_f16_e32 v0, v8
	s_wait_loadcnt_dscnt 0x0
	v_pk_mul_f32 v[6:7], v[84:85], v[6:7] op_sel_hi:[0,1]
	v_cvt_f32_f16_e32 v1, v1
	v_cvt_f32_f16_e32 v9, v14
	;; [unrolled: 1-line block ×5, first 2 shown]
	v_pk_mul_f32 v[0:1], v[84:85], v[0:1] op_sel_hi:[0,1]
	v_cvt_pk_f16_f32 v12, v6, v7
	v_pk_mul_f32 v[6:7], v[84:85], v[8:9] op_sel_hi:[0,1]
	s_delay_alu instid0(VALU_DEP_4) | instskip(NEXT) | instid1(VALU_DEP_4)
	v_pk_mul_f32 v[14:15], v[84:85], v[14:15] op_sel_hi:[0,1]
	v_cvt_pk_f16_f32 v0, v0, v1
	s_delay_alu instid0(VALU_DEP_4) | instskip(NEXT) | instid1(VALU_DEP_4)
	v_and_b32_e32 v9, 0xffff0000, v12
	v_cvt_pk_f16_f32 v6, v6, v7
	s_delay_alu instid0(VALU_DEP_4) | instskip(NEXT) | instid1(VALU_DEP_4)
	v_cvt_pk_f16_f32 v7, v14, v15
	v_and_b32_e32 v98, 0xffff, v0
	v_lshrrev_b32_e32 v97, 16, v0
	v_lshlrev_b32_e32 v86, 16, v12
	v_and_b32_e32 v1, 0xffff0000, v6
	v_dual_lshlrev_b32 v0, 16, v6 :: v_dual_lshrrev_b32 v87, 16, v7
	v_and_b32_e32 v96, 0xffff, v7
	v_or_b32_e32 v85, v9, v97
	v_or_b32_e32 v84, v86, v98
	s_delay_alu instid0(VALU_DEP_4) | instskip(NEXT) | instid1(VALU_DEP_4)
	v_or_b32_e32 v19, v1, v87
	v_or_b32_e32 v26, v0, v96
	s_and_saveexec_b32 s8, s0
	s_cbranch_execz .LBB287_3018
; %bb.3017:                             ;   in Loop: Header=BB287_2093 Depth=1
	v_dual_cndmask_b32 v6, 0, v97, vcc_lo :: v_dual_cndmask_b32 v7, 0, v98, s1
	v_dual_cndmask_b32 v8, 0, v9, s2 :: v_dual_cndmask_b32 v9, 0, v86, s3
	v_dual_cndmask_b32 v12, 0, v87, s4 :: v_dual_cndmask_b32 v14, 0, v96, s5
	v_dual_cndmask_b32 v1, 0, v1, s6 :: v_dual_cndmask_b32 v0, 0, v0, s7
	s_delay_alu instid0(VALU_DEP_3) | instskip(NEXT) | instid1(VALU_DEP_4)
	v_or_b32_e32 v85, v6, v8
	v_or_b32_e32 v84, v7, v9
	s_delay_alu instid0(VALU_DEP_3) | instskip(NEXT) | instid1(VALU_DEP_4)
	v_or_b32_e32 v19, v12, v1
	v_or_b32_e32 v26, v14, v0
.LBB287_3018:                           ;   in Loop: Header=BB287_2093 Depth=1
	s_or_b32 exec_lo, exec_lo, s8
	;;#ASMSTART
	v_pk_mul_f16 v0, v119, v85;

	;;#ASMEND
	;;#ASMSTART
	v_pk_mul_f16 v1, v117, v84;

	;;#ASMEND
	;; [unrolled: 4-line block ×4, first 2 shown]
	;;#ASMSTART
	v_pk_add_f16 v0, v0, v1;

	;;#ASMEND
	;;#ASMSTART
	v_pk_add_f16 v0, v0, v6;

	;;#ASMEND
	;;#ASMSTART
	v_pk_add_f16 v0, v0, v7;

	;;#ASMEND
	v_and_b32_e32 v1, 0xffff, v0
	v_lshrrev_b32_e32 v0, 16, v0
	;;#ASMSTART
	v_cvt_f32_f16 v89, v1;
	;;#ASMEND
	v_mov_b32_e32 v1, 0
	;;#ASMSTART
	v_cvt_f32_f16 v90, v0;
	;;#ASMEND
	flat_load_b64 v[86:87], v[82:83] offset:3584
	flat_load_b32 v84, v[22:23]
	v_mov_b32_e32 v6, 0
	s_mov_b32 s22, exec_lo
	s_wait_loadcnt_dscnt 0x101
	v_and_b32_e32 v0, 0xff, v86
	s_wait_xcnt 0x0
	s_delay_alu instid0(VALU_DEP_1)
	v_cmpx_ne_u16_e32 0, v0
	s_cbranch_execz .LBB287_3026
; %bb.3019:                             ;   in Loop: Header=BB287_2093 Depth=1
	v_mov_b32_e32 v6, 0x8000
	s_mov_b32 s23, exec_lo
	v_cmpx_ne_u16_e32 0x80, v0
	s_cbranch_execz .LBB287_3025
; %bb.3020:                             ;   in Loop: Header=BB287_2093 Depth=1
	v_and_b32_e32 v7, 0x7f, v86
	v_mov_b32_e32 v6, 0x7c01
	s_mov_b32 s24, exec_lo
	s_delay_alu instid0(VALU_DEP_2)
	v_cmpx_ne_u32_e32 0x7f, v7
	s_cbranch_execz .LBB287_3024
; %bb.3021:                             ;   in Loop: Header=BB287_2093 Depth=1
	v_dual_lshrrev_b32 v6, 3, v7 :: v_dual_bitop2_b32 v0, 7, v86 bitop3:0x40
	s_mov_b32 s25, exec_lo
	v_cmpx_gt_u32_e32 8, v7
; %bb.3022:                             ;   in Loop: Header=BB287_2093 Depth=1
	s_delay_alu instid0(VALU_DEP_2) | instskip(NEXT) | instid1(VALU_DEP_1)
	v_clz_i32_u32_e32 v0, v0
	v_min_u32_e32 v0, 32, v0
	s_delay_alu instid0(VALU_DEP_1) | instskip(NEXT) | instid1(VALU_DEP_1)
	v_subrev_nc_u32_e32 v6, 28, v0
	v_lshlrev_b64_e32 v[8:9], v6, v[86:87]
	v_sub_nc_u32_e32 v6, 29, v0
	s_delay_alu instid0(VALU_DEP_2)
	v_and_b32_e32 v0, 7, v8
; %bb.3023:                             ;   in Loop: Header=BB287_2093 Depth=1
	s_or_b32 exec_lo, exec_lo, s25
	s_delay_alu instid0(VALU_DEP_1) | instskip(NEXT) | instid1(VALU_DEP_3)
	v_dual_lshlrev_b32 v7, 8, v86 :: v_dual_lshlrev_b32 v0, 7, v0
	v_lshl_add_u32 v6, v6, 10, 0x2000
	s_delay_alu instid0(VALU_DEP_2) | instskip(NEXT) | instid1(VALU_DEP_2)
	v_and_b32_e32 v7, 0x8000, v7
	v_and_b32_e32 v6, 0xfc00, v6
	s_delay_alu instid0(VALU_DEP_1)
	v_or3_b32 v6, v7, v6, v0
.LBB287_3024:                           ;   in Loop: Header=BB287_2093 Depth=1
	s_or_b32 exec_lo, exec_lo, s24
.LBB287_3025:                           ;   in Loop: Header=BB287_2093 Depth=1
	s_delay_alu instid0(SALU_CYCLE_1)
	s_or_b32 exec_lo, exec_lo, s23
.LBB287_3026:                           ;   in Loop: Header=BB287_2093 Depth=1
	s_delay_alu instid0(SALU_CYCLE_1) | instskip(SKIP_2) | instid1(VALU_DEP_1)
	s_or_b32 exec_lo, exec_lo, s22
	v_lshrrev_b16 v26, 8, v86
	s_mov_b32 s22, exec_lo
	v_cmpx_ne_u16_e32 0, v26
	s_cbranch_execz .LBB287_3034
; %bb.3027:                             ;   in Loop: Header=BB287_2093 Depth=1
	v_bfrev_b32_e32 v1, 1
	s_mov_b32 s23, exec_lo
	v_cmpx_ne_u16_e32 0x80, v26
	s_cbranch_execz .LBB287_3033
; %bb.3028:                             ;   in Loop: Header=BB287_2093 Depth=1
	v_and_b32_e32 v0, 0xffff, v26
	v_mov_b32_e32 v1, 0x7c010000
	s_mov_b32 s24, exec_lo
	s_delay_alu instid0(VALU_DEP_2) | instskip(NEXT) | instid1(VALU_DEP_1)
	v_and_b32_e32 v8, 0x7f, v0
	v_cmpx_ne_u32_e32 0x7f, v8
	s_cbranch_execz .LBB287_3032
; %bb.3029:                             ;   in Loop: Header=BB287_2093 Depth=1
	v_and_b32_e32 v1, 7, v0
	v_lshrrev_b32_e32 v7, 3, v8
	s_mov_b32 s25, exec_lo
	v_cmpx_gt_u32_e32 8, v8
; %bb.3030:                             ;   in Loop: Header=BB287_2093 Depth=1
	s_delay_alu instid0(VALU_DEP_3) | instskip(NEXT) | instid1(VALU_DEP_1)
	v_clz_i32_u32_e32 v1, v1
	v_min_u32_e32 v1, 32, v1
	s_delay_alu instid0(VALU_DEP_1) | instskip(NEXT) | instid1(VALU_DEP_1)
	v_subrev_nc_u32_e32 v7, 28, v1
	v_lshlrev_b64_e32 v[8:9], v7, v[26:27]
	s_delay_alu instid0(VALU_DEP_1)
	v_dual_sub_nc_u32 v7, 29, v1 :: v_dual_bitop2_b32 v1, 7, v8 bitop3:0x40
; %bb.3031:                             ;   in Loop: Header=BB287_2093 Depth=1
	s_or_b32 exec_lo, exec_lo, s25
	s_delay_alu instid0(VALU_DEP_1) | instskip(NEXT) | instid1(VALU_DEP_2)
	v_dual_lshlrev_b32 v0, 8, v0 :: v_dual_lshlrev_b32 v1, 23, v1
	v_lshl_add_u32 v7, v7, 10, 0x2000
	s_delay_alu instid0(VALU_DEP_1) | instskip(NEXT) | instid1(VALU_DEP_1)
	v_and_or_b32 v0, 0x8000, v0, v7
	v_lshl_or_b32 v1, v0, 16, v1
.LBB287_3032:                           ;   in Loop: Header=BB287_2093 Depth=1
	s_or_b32 exec_lo, exec_lo, s24
.LBB287_3033:                           ;   in Loop: Header=BB287_2093 Depth=1
	s_delay_alu instid0(SALU_CYCLE_1)
	s_or_b32 exec_lo, exec_lo, s23
.LBB287_3034:                           ;   in Loop: Header=BB287_2093 Depth=1
	s_delay_alu instid0(SALU_CYCLE_1) | instskip(SKIP_3) | instid1(VALU_DEP_2)
	s_or_b32 exec_lo, exec_lo, s22
	v_dual_mov_b32 v7, 0 :: v_dual_lshrrev_b32 v0, 16, v86
	v_mov_b32_e32 v8, 0
	s_mov_b32 s22, exec_lo
	v_and_b32_e32 v9, 0xff, v0
	s_delay_alu instid0(VALU_DEP_1)
	v_cmpx_ne_u16_e32 0, v9
	s_cbranch_execz .LBB287_3042
; %bb.3035:                             ;   in Loop: Header=BB287_2093 Depth=1
	v_mov_b32_e32 v8, 0x8000
	s_mov_b32 s23, exec_lo
	v_cmpx_ne_u16_e32 0x80, v9
	s_cbranch_execz .LBB287_3041
; %bb.3036:                             ;   in Loop: Header=BB287_2093 Depth=1
	v_bfe_u32 v12, v86, 16, 7
	v_mov_b32_e32 v8, 0x7c01
	s_mov_b32 s24, exec_lo
	s_delay_alu instid0(VALU_DEP_2)
	v_cmpx_ne_u32_e32 0x7f, v12
	s_cbranch_execz .LBB287_3040
; %bb.3037:                             ;   in Loop: Header=BB287_2093 Depth=1
	v_and_b32_e32 v8, 7, v0
	v_lshrrev_b32_e32 v9, 3, v12
	s_mov_b32 s25, exec_lo
	v_cmpx_gt_u32_e32 8, v12
; %bb.3038:                             ;   in Loop: Header=BB287_2093 Depth=1
	s_delay_alu instid0(VALU_DEP_3) | instskip(NEXT) | instid1(VALU_DEP_1)
	v_clz_i32_u32_e32 v8, v8
	v_min_u32_e32 v12, 32, v8
	s_delay_alu instid0(VALU_DEP_1) | instskip(NEXT) | instid1(VALU_DEP_1)
	v_subrev_nc_u32_e32 v8, 28, v12
	v_lshlrev_b64_e32 v[8:9], v8, v[0:1]
	v_sub_nc_u32_e32 v9, 29, v12
	s_delay_alu instid0(VALU_DEP_2)
	v_and_b32_e32 v8, 7, v8
; %bb.3039:                             ;   in Loop: Header=BB287_2093 Depth=1
	s_or_b32 exec_lo, exec_lo, s25
	v_lshlrev_b32_e32 v0, 8, v0
	s_delay_alu instid0(VALU_DEP_3) | instskip(NEXT) | instid1(VALU_DEP_3)
	v_lshl_add_u32 v9, v9, 10, 0x2000
	v_lshlrev_b32_e32 v8, 7, v8
	s_delay_alu instid0(VALU_DEP_3) | instskip(NEXT) | instid1(VALU_DEP_3)
	v_and_b32_e32 v0, 0x8000, v0
	v_and_b32_e32 v9, 0xfc00, v9
	s_delay_alu instid0(VALU_DEP_1)
	v_or3_b32 v8, v0, v9, v8
.LBB287_3040:                           ;   in Loop: Header=BB287_2093 Depth=1
	s_or_b32 exec_lo, exec_lo, s24
.LBB287_3041:                           ;   in Loop: Header=BB287_2093 Depth=1
	s_delay_alu instid0(SALU_CYCLE_1)
	s_or_b32 exec_lo, exec_lo, s23
.LBB287_3042:                           ;   in Loop: Header=BB287_2093 Depth=1
	s_delay_alu instid0(SALU_CYCLE_1) | instskip(NEXT) | instid1(SALU_CYCLE_1)
	s_or_b32 exec_lo, exec_lo, s22
	s_mov_b32 s22, exec_lo
	v_cmpx_lt_u32_e32 0xffffff, v86
	s_cbranch_execz .LBB287_3050
; %bb.3043:                             ;   in Loop: Header=BB287_2093 Depth=1
	v_lshrrev_b32_e32 v26, 24, v86
	v_bfrev_b32_e32 v7, 1
	s_mov_b32 s23, exec_lo
	s_delay_alu instid0(VALU_DEP_2)
	v_cmpx_ne_u32_e32 0x80, v26
	s_cbranch_execz .LBB287_3049
; %bb.3044:                             ;   in Loop: Header=BB287_2093 Depth=1
	v_and_b32_e32 v9, 0x7f, v26
	v_mov_b32_e32 v7, 0x7c010000
	s_mov_b32 s24, exec_lo
	s_delay_alu instid0(VALU_DEP_2)
	v_cmpx_ne_u32_e32 0x7f, v9
	s_cbranch_execz .LBB287_3048
; %bb.3045:                             ;   in Loop: Header=BB287_2093 Depth=1
	v_dual_lshrrev_b32 v7, 3, v9 :: v_dual_bitop2_b32 v0, 7, v26 bitop3:0x40
	s_mov_b32 s25, exec_lo
	v_cmpx_gt_u32_e32 8, v9
; %bb.3046:                             ;   in Loop: Header=BB287_2093 Depth=1
	s_delay_alu instid0(VALU_DEP_2) | instskip(NEXT) | instid1(VALU_DEP_1)
	v_clz_i32_u32_e32 v0, v0
	v_min_u32_e32 v0, 32, v0
	s_delay_alu instid0(VALU_DEP_1) | instskip(NEXT) | instid1(VALU_DEP_1)
	v_subrev_nc_u32_e32 v7, 28, v0
	v_lshlrev_b64_e32 v[14:15], v7, v[26:27]
	s_delay_alu instid0(VALU_DEP_1)
	v_dual_sub_nc_u32 v7, 29, v0 :: v_dual_bitop2_b32 v0, 7, v14 bitop3:0x40
; %bb.3047:                             ;   in Loop: Header=BB287_2093 Depth=1
	s_or_b32 exec_lo, exec_lo, s25
	s_delay_alu instid0(VALU_DEP_1) | instskip(NEXT) | instid1(VALU_DEP_2)
	v_dual_lshlrev_b32 v9, 8, v26 :: v_dual_lshlrev_b32 v0, 23, v0
	v_lshl_add_u32 v7, v7, 10, 0x2000
	s_delay_alu instid0(VALU_DEP_1) | instskip(NEXT) | instid1(VALU_DEP_1)
	v_and_or_b32 v7, 0x8000, v9, v7
	v_lshl_or_b32 v7, v7, 16, v0
.LBB287_3048:                           ;   in Loop: Header=BB287_2093 Depth=1
	s_or_b32 exec_lo, exec_lo, s24
.LBB287_3049:                           ;   in Loop: Header=BB287_2093 Depth=1
	s_delay_alu instid0(SALU_CYCLE_1)
	s_or_b32 exec_lo, exec_lo, s23
.LBB287_3050:                           ;   in Loop: Header=BB287_2093 Depth=1
	s_delay_alu instid0(SALU_CYCLE_1) | instskip(SKIP_4) | instid1(VALU_DEP_3)
	s_or_b32 exec_lo, exec_lo, s22
	v_and_b32_e32 v0, 0xff, v87
	v_dual_mov_b32 v26, v87 :: v_dual_mov_b32 v12, 0
	v_mov_b32_e32 v9, 0
	s_mov_b32 s22, exec_lo
	v_cmpx_ne_u16_e32 0, v0
	s_cbranch_execz .LBB287_3058
; %bb.3051:                             ;   in Loop: Header=BB287_2093 Depth=1
	v_mov_b32_e32 v9, 0x8000
	s_mov_b32 s23, exec_lo
	v_cmpx_ne_u16_e32 0x80, v0
	s_cbranch_execz .LBB287_3057
; %bb.3052:                             ;   in Loop: Header=BB287_2093 Depth=1
	v_and_b32_e32 v16, 0x7f, v87
	v_mov_b32_e32 v9, 0x7c01
	s_mov_b32 s24, exec_lo
	s_delay_alu instid0(VALU_DEP_2)
	v_cmpx_ne_u32_e32 0x7f, v16
	s_cbranch_execz .LBB287_3056
; %bb.3053:                             ;   in Loop: Header=BB287_2093 Depth=1
	v_dual_lshrrev_b32 v9, 3, v16 :: v_dual_bitop2_b32 v0, 7, v87 bitop3:0x40
	s_mov_b32 s25, exec_lo
	v_cmpx_gt_u32_e32 8, v16
; %bb.3054:                             ;   in Loop: Header=BB287_2093 Depth=1
	s_delay_alu instid0(VALU_DEP_2) | instskip(NEXT) | instid1(VALU_DEP_1)
	v_clz_i32_u32_e32 v0, v0
	v_min_u32_e32 v0, 32, v0
	s_delay_alu instid0(VALU_DEP_1) | instskip(NEXT) | instid1(VALU_DEP_1)
	v_subrev_nc_u32_e32 v9, 28, v0
	v_lshlrev_b64_e32 v[14:15], v9, v[26:27]
	s_delay_alu instid0(VALU_DEP_1)
	v_dual_sub_nc_u32 v9, 29, v0 :: v_dual_bitop2_b32 v0, 7, v14 bitop3:0x40
; %bb.3055:                             ;   in Loop: Header=BB287_2093 Depth=1
	s_or_b32 exec_lo, exec_lo, s25
	s_delay_alu instid0(VALU_DEP_1) | instskip(NEXT) | instid1(VALU_DEP_2)
	v_dual_lshlrev_b32 v14, 8, v87 :: v_dual_lshlrev_b32 v0, 7, v0
	v_lshl_add_u32 v9, v9, 10, 0x2000
	s_delay_alu instid0(VALU_DEP_2) | instskip(NEXT) | instid1(VALU_DEP_2)
	v_and_b32_e32 v14, 0x8000, v14
	v_and_b32_e32 v9, 0xfc00, v9
	s_delay_alu instid0(VALU_DEP_1)
	v_or3_b32 v9, v14, v9, v0
.LBB287_3056:                           ;   in Loop: Header=BB287_2093 Depth=1
	s_or_b32 exec_lo, exec_lo, s24
.LBB287_3057:                           ;   in Loop: Header=BB287_2093 Depth=1
	s_delay_alu instid0(SALU_CYCLE_1)
	s_or_b32 exec_lo, exec_lo, s23
.LBB287_3058:                           ;   in Loop: Header=BB287_2093 Depth=1
	s_delay_alu instid0(SALU_CYCLE_1) | instskip(SKIP_3) | instid1(VALU_DEP_2)
	s_or_b32 exec_lo, exec_lo, s22
	v_lshrrev_b16 v26, 8, v26
	v_mov_b32_e32 v16, 0
	s_mov_b32 s22, exec_lo
	v_cmpx_ne_u16_e32 0, v26
	s_cbranch_execz .LBB287_3066
; %bb.3059:                             ;   in Loop: Header=BB287_2093 Depth=1
	v_bfrev_b32_e32 v16, 1
	s_mov_b32 s23, exec_lo
	v_cmpx_ne_u16_e32 0x80, v26
	s_cbranch_execz .LBB287_3065
; %bb.3060:                             ;   in Loop: Header=BB287_2093 Depth=1
	v_and_b32_e32 v0, 0xffff, v26
	v_mov_b32_e32 v16, 0x7c010000
	s_mov_b32 s24, exec_lo
	s_delay_alu instid0(VALU_DEP_2) | instskip(NEXT) | instid1(VALU_DEP_1)
	v_and_b32_e32 v18, 0x7f, v0
	v_cmpx_ne_u32_e32 0x7f, v18
	s_cbranch_execz .LBB287_3064
; %bb.3061:                             ;   in Loop: Header=BB287_2093 Depth=1
	v_dual_lshrrev_b32 v17, 3, v18 :: v_dual_bitop2_b32 v16, 7, v0 bitop3:0x40
	s_mov_b32 s25, exec_lo
	v_cmpx_gt_u32_e32 8, v18
; %bb.3062:                             ;   in Loop: Header=BB287_2093 Depth=1
	s_delay_alu instid0(VALU_DEP_2) | instskip(NEXT) | instid1(VALU_DEP_1)
	v_clz_i32_u32_e32 v14, v16
	v_min_u32_e32 v16, 32, v14
	s_delay_alu instid0(VALU_DEP_1) | instskip(NEXT) | instid1(VALU_DEP_1)
	v_subrev_nc_u32_e32 v14, 28, v16
	v_lshlrev_b64_e32 v[14:15], v14, v[26:27]
	s_delay_alu instid0(VALU_DEP_1)
	v_dual_sub_nc_u32 v17, 29, v16 :: v_dual_bitop2_b32 v16, 7, v14 bitop3:0x40
; %bb.3063:                             ;   in Loop: Header=BB287_2093 Depth=1
	s_or_b32 exec_lo, exec_lo, s25
	v_lshlrev_b32_e32 v0, 8, v0
	s_delay_alu instid0(VALU_DEP_2) | instskip(NEXT) | instid1(VALU_DEP_1)
	v_lshl_add_u32 v14, v17, 10, 0x2000
	v_and_or_b32 v0, 0x8000, v0, v14
	v_lshlrev_b32_e32 v14, 23, v16
	s_delay_alu instid0(VALU_DEP_1)
	v_lshl_or_b32 v16, v0, 16, v14
.LBB287_3064:                           ;   in Loop: Header=BB287_2093 Depth=1
	s_or_b32 exec_lo, exec_lo, s24
.LBB287_3065:                           ;   in Loop: Header=BB287_2093 Depth=1
	s_delay_alu instid0(SALU_CYCLE_1)
	s_or_b32 exec_lo, exec_lo, s23
.LBB287_3066:                           ;   in Loop: Header=BB287_2093 Depth=1
	s_delay_alu instid0(SALU_CYCLE_1) | instskip(SKIP_2) | instid1(VALU_DEP_1)
	s_or_b32 exec_lo, exec_lo, s22
	v_lshrrev_b32_e32 v0, 16, v87
	s_mov_b32 s22, exec_lo
	v_and_b32_e32 v17, 0xff, v0
	s_delay_alu instid0(VALU_DEP_1)
	v_cmpx_ne_u16_e32 0, v17
	s_cbranch_execz .LBB287_3074
; %bb.3067:                             ;   in Loop: Header=BB287_2093 Depth=1
	v_mov_b32_e32 v12, 0x8000
	s_mov_b32 s23, exec_lo
	v_cmpx_ne_u16_e32 0x80, v17
	s_cbranch_execz .LBB287_3073
; %bb.3068:                             ;   in Loop: Header=BB287_2093 Depth=1
	v_bfe_u32 v18, v87, 16, 7
	v_mov_b32_e32 v12, 0x7c01
	s_mov_b32 s24, exec_lo
	s_delay_alu instid0(VALU_DEP_2)
	v_cmpx_ne_u32_e32 0x7f, v18
	s_cbranch_execz .LBB287_3072
; %bb.3069:                             ;   in Loop: Header=BB287_2093 Depth=1
	v_dual_lshrrev_b32 v17, 3, v18 :: v_dual_bitop2_b32 v12, 7, v0 bitop3:0x40
	s_mov_b32 s25, exec_lo
	v_cmpx_gt_u32_e32 8, v18
; %bb.3070:                             ;   in Loop: Header=BB287_2093 Depth=1
	s_delay_alu instid0(VALU_DEP_2) | instskip(NEXT) | instid1(VALU_DEP_1)
	v_clz_i32_u32_e32 v12, v12
	v_min_u32_e32 v12, 32, v12
	s_delay_alu instid0(VALU_DEP_1) | instskip(NEXT) | instid1(VALU_DEP_1)
	v_subrev_nc_u32_e32 v14, 28, v12
	v_lshlrev_b64_e32 v[14:15], v14, v[0:1]
	s_delay_alu instid0(VALU_DEP_1)
	v_dual_sub_nc_u32 v17, 29, v12 :: v_dual_bitop2_b32 v12, 7, v14 bitop3:0x40
; %bb.3071:                             ;   in Loop: Header=BB287_2093 Depth=1
	s_or_b32 exec_lo, exec_lo, s25
	v_lshlrev_b32_e32 v0, 8, v0
	s_delay_alu instid0(VALU_DEP_2) | instskip(NEXT) | instid1(VALU_DEP_3)
	v_lshl_add_u32 v14, v17, 10, 0x2000
	v_lshlrev_b32_e32 v12, 7, v12
	s_delay_alu instid0(VALU_DEP_3) | instskip(NEXT) | instid1(VALU_DEP_3)
	v_and_b32_e32 v0, 0x8000, v0
	v_and_b32_e32 v14, 0xfc00, v14
	s_delay_alu instid0(VALU_DEP_1)
	v_or3_b32 v12, v0, v14, v12
.LBB287_3072:                           ;   in Loop: Header=BB287_2093 Depth=1
	s_or_b32 exec_lo, exec_lo, s24
.LBB287_3073:                           ;   in Loop: Header=BB287_2093 Depth=1
	s_delay_alu instid0(SALU_CYCLE_1)
	s_or_b32 exec_lo, exec_lo, s23
.LBB287_3074:                           ;   in Loop: Header=BB287_2093 Depth=1
	s_delay_alu instid0(SALU_CYCLE_1)
	s_or_b32 exec_lo, exec_lo, s22
	v_mov_b32_e32 v0, 0
	s_mov_b32 s22, exec_lo
	v_cmpx_lt_u64_e64 s[14:15], v[86:87]
	s_cbranch_execz .LBB287_3082
; %bb.3075:                             ;   in Loop: Header=BB287_2093 Depth=1
	v_lshrrev_b32_e32 v26, 24, v87
	v_bfrev_b32_e32 v0, 1
	s_mov_b32 s23, exec_lo
	s_delay_alu instid0(VALU_DEP_2)
	v_cmpx_ne_u32_e32 0x80, v26
	s_cbranch_execz .LBB287_3081
; %bb.3076:                             ;   in Loop: Header=BB287_2093 Depth=1
	v_and_b32_e32 v18, 0x7f, v26
	v_mov_b32_e32 v0, 0x7c010000
	s_mov_b32 s24, exec_lo
	s_delay_alu instid0(VALU_DEP_2)
	v_cmpx_ne_u32_e32 0x7f, v18
	s_cbranch_execz .LBB287_3080
; %bb.3077:                             ;   in Loop: Header=BB287_2093 Depth=1
	v_and_b32_e32 v0, 7, v26
	v_lshrrev_b32_e32 v17, 3, v18
	s_mov_b32 s25, exec_lo
	v_cmpx_gt_u32_e32 8, v18
; %bb.3078:                             ;   in Loop: Header=BB287_2093 Depth=1
	s_delay_alu instid0(VALU_DEP_3) | instskip(NEXT) | instid1(VALU_DEP_1)
	v_clz_i32_u32_e32 v0, v0
	v_min_u32_e32 v0, 32, v0
	s_delay_alu instid0(VALU_DEP_1) | instskip(NEXT) | instid1(VALU_DEP_1)
	v_subrev_nc_u32_e32 v14, 28, v0
	v_lshlrev_b64_e32 v[14:15], v14, v[26:27]
	s_delay_alu instid0(VALU_DEP_1)
	v_dual_sub_nc_u32 v17, 29, v0 :: v_dual_bitop2_b32 v0, 7, v14 bitop3:0x40
; %bb.3079:                             ;   in Loop: Header=BB287_2093 Depth=1
	s_or_b32 exec_lo, exec_lo, s25
	s_delay_alu instid0(VALU_DEP_1) | instskip(NEXT) | instid1(VALU_DEP_2)
	v_dual_lshlrev_b32 v14, 8, v26 :: v_dual_lshlrev_b32 v0, 23, v0
	v_lshl_add_u32 v15, v17, 10, 0x2000
	s_delay_alu instid0(VALU_DEP_1) | instskip(NEXT) | instid1(VALU_DEP_1)
	v_and_or_b32 v14, 0x8000, v14, v15
	v_lshl_or_b32 v0, v14, 16, v0
.LBB287_3080:                           ;   in Loop: Header=BB287_2093 Depth=1
	s_or_b32 exec_lo, exec_lo, s24
.LBB287_3081:                           ;   in Loop: Header=BB287_2093 Depth=1
	s_delay_alu instid0(SALU_CYCLE_1)
	s_or_b32 exec_lo, exec_lo, s23
.LBB287_3082:                           ;   in Loop: Header=BB287_2093 Depth=1
	s_delay_alu instid0(SALU_CYCLE_1) | instskip(SKIP_4) | instid1(VALU_DEP_4)
	s_or_b32 exec_lo, exec_lo, s22
	v_dual_lshrrev_b32 v14, 16, v1 :: v_dual_lshrrev_b32 v15, 16, v7
	v_or_b32_e32 v1, v1, v6
	v_or_b32_e32 v8, v7, v8
	;; [unrolled: 1-line block ×3, first 2 shown]
	v_cvt_f32_f16_e32 v7, v14
	v_cvt_f32_f16_e32 v6, v15
	v_lshrrev_b32_e32 v14, 16, v16
	v_dual_lshrrev_b32 v15, 16, v0 :: v_dual_bitop2_b32 v16, v16, v9 bitop3:0x54
	v_cvt_f32_f16_e32 v0, v8
	s_wait_loadcnt_dscnt 0x0
	v_pk_mul_f32 v[6:7], v[84:85], v[6:7] op_sel_hi:[0,1]
	v_cvt_f32_f16_e32 v1, v1
	v_cvt_f32_f16_e32 v9, v14
	;; [unrolled: 1-line block ×5, first 2 shown]
	v_pk_mul_f32 v[0:1], v[84:85], v[0:1] op_sel_hi:[0,1]
	v_cvt_pk_f16_f32 v12, v6, v7
	v_pk_mul_f32 v[6:7], v[84:85], v[8:9] op_sel_hi:[0,1]
	s_delay_alu instid0(VALU_DEP_4) | instskip(NEXT) | instid1(VALU_DEP_4)
	v_pk_mul_f32 v[14:15], v[84:85], v[14:15] op_sel_hi:[0,1]
	v_cvt_pk_f16_f32 v0, v0, v1
	s_delay_alu instid0(VALU_DEP_4) | instskip(NEXT) | instid1(VALU_DEP_4)
	v_and_b32_e32 v9, 0xffff0000, v12
	v_cvt_pk_f16_f32 v6, v6, v7
	s_delay_alu instid0(VALU_DEP_4) | instskip(NEXT) | instid1(VALU_DEP_4)
	v_cvt_pk_f16_f32 v7, v14, v15
	v_and_b32_e32 v98, 0xffff, v0
	v_lshrrev_b32_e32 v97, 16, v0
	v_lshlrev_b32_e32 v86, 16, v12
	v_and_b32_e32 v1, 0xffff0000, v6
	v_dual_lshlrev_b32 v0, 16, v6 :: v_dual_lshrrev_b32 v87, 16, v7
	v_and_b32_e32 v96, 0xffff, v7
	v_or_b32_e32 v85, v9, v97
	v_or_b32_e32 v84, v86, v98
	s_delay_alu instid0(VALU_DEP_4) | instskip(NEXT) | instid1(VALU_DEP_4)
	v_or_b32_e32 v19, v1, v87
	v_or_b32_e32 v26, v0, v96
	s_and_saveexec_b32 s8, s0
	s_cbranch_execz .LBB287_3084
; %bb.3083:                             ;   in Loop: Header=BB287_2093 Depth=1
	v_dual_cndmask_b32 v6, 0, v97, vcc_lo :: v_dual_cndmask_b32 v7, 0, v98, s1
	v_dual_cndmask_b32 v8, 0, v9, s2 :: v_dual_cndmask_b32 v9, 0, v86, s3
	v_dual_cndmask_b32 v12, 0, v87, s4 :: v_dual_cndmask_b32 v14, 0, v96, s5
	;; [unrolled: 1-line block ×3, first 2 shown]
	s_delay_alu instid0(VALU_DEP_3) | instskip(NEXT) | instid1(VALU_DEP_4)
	v_or_b32_e32 v85, v6, v8
	v_or_b32_e32 v84, v7, v9
	s_delay_alu instid0(VALU_DEP_3) | instskip(NEXT) | instid1(VALU_DEP_4)
	v_or_b32_e32 v19, v12, v1
	v_or_b32_e32 v26, v14, v0
.LBB287_3084:                           ;   in Loop: Header=BB287_2093 Depth=1
	s_or_b32 exec_lo, exec_lo, s8
	;;#ASMSTART
	v_pk_mul_f16 v0, v119, v85;

	;;#ASMEND
	;;#ASMSTART
	v_pk_mul_f16 v1, v117, v84;

	;;#ASMEND
	;; [unrolled: 4-line block ×4, first 2 shown]
	;;#ASMSTART
	v_pk_add_f16 v0, v0, v1;

	;;#ASMEND
	;;#ASMSTART
	v_pk_add_f16 v0, v0, v6;

	;;#ASMEND
	;; [unrolled: 4-line block ×3, first 2 shown]
	v_and_b32_e32 v1, 0xffff, v0
	v_lshrrev_b32_e32 v0, 16, v0
	;;#ASMSTART
	v_cvt_f32_f16 v91, v1;
	;;#ASMEND
	v_mov_b32_e32 v1, 0
	;;#ASMSTART
	v_cvt_f32_f16 v92, v0;
	;;#ASMEND
	flat_load_b64 v[86:87], v[82:83] offset:3840
	flat_load_b32 v84, v[22:23]
	v_mov_b32_e32 v6, 0
	s_mov_b32 s22, exec_lo
	s_wait_loadcnt_dscnt 0x101
	v_and_b32_e32 v0, 0xff, v86
	s_wait_xcnt 0x0
	s_delay_alu instid0(VALU_DEP_1)
	v_cmpx_ne_u16_e32 0, v0
	s_cbranch_execz .LBB287_3092
; %bb.3085:                             ;   in Loop: Header=BB287_2093 Depth=1
	v_mov_b32_e32 v6, 0x8000
	s_mov_b32 s23, exec_lo
	v_cmpx_ne_u16_e32 0x80, v0
	s_cbranch_execz .LBB287_3091
; %bb.3086:                             ;   in Loop: Header=BB287_2093 Depth=1
	v_and_b32_e32 v7, 0x7f, v86
	v_mov_b32_e32 v6, 0x7c01
	s_mov_b32 s24, exec_lo
	s_delay_alu instid0(VALU_DEP_2)
	v_cmpx_ne_u32_e32 0x7f, v7
	s_cbranch_execz .LBB287_3090
; %bb.3087:                             ;   in Loop: Header=BB287_2093 Depth=1
	v_dual_lshrrev_b32 v6, 3, v7 :: v_dual_bitop2_b32 v0, 7, v86 bitop3:0x40
	s_mov_b32 s25, exec_lo
	v_cmpx_gt_u32_e32 8, v7
; %bb.3088:                             ;   in Loop: Header=BB287_2093 Depth=1
	s_delay_alu instid0(VALU_DEP_2) | instskip(NEXT) | instid1(VALU_DEP_1)
	v_clz_i32_u32_e32 v0, v0
	v_min_u32_e32 v0, 32, v0
	s_delay_alu instid0(VALU_DEP_1) | instskip(NEXT) | instid1(VALU_DEP_1)
	v_subrev_nc_u32_e32 v6, 28, v0
	v_lshlrev_b64_e32 v[8:9], v6, v[86:87]
	v_sub_nc_u32_e32 v6, 29, v0
	s_delay_alu instid0(VALU_DEP_2)
	v_and_b32_e32 v0, 7, v8
; %bb.3089:                             ;   in Loop: Header=BB287_2093 Depth=1
	s_or_b32 exec_lo, exec_lo, s25
	s_delay_alu instid0(VALU_DEP_1) | instskip(NEXT) | instid1(VALU_DEP_3)
	v_dual_lshlrev_b32 v7, 8, v86 :: v_dual_lshlrev_b32 v0, 7, v0
	v_lshl_add_u32 v6, v6, 10, 0x2000
	s_delay_alu instid0(VALU_DEP_2) | instskip(NEXT) | instid1(VALU_DEP_2)
	v_and_b32_e32 v7, 0x8000, v7
	v_and_b32_e32 v6, 0xfc00, v6
	s_delay_alu instid0(VALU_DEP_1)
	v_or3_b32 v6, v7, v6, v0
.LBB287_3090:                           ;   in Loop: Header=BB287_2093 Depth=1
	s_or_b32 exec_lo, exec_lo, s24
.LBB287_3091:                           ;   in Loop: Header=BB287_2093 Depth=1
	s_delay_alu instid0(SALU_CYCLE_1)
	s_or_b32 exec_lo, exec_lo, s23
.LBB287_3092:                           ;   in Loop: Header=BB287_2093 Depth=1
	s_delay_alu instid0(SALU_CYCLE_1) | instskip(SKIP_2) | instid1(VALU_DEP_1)
	s_or_b32 exec_lo, exec_lo, s22
	v_lshrrev_b16 v26, 8, v86
	s_mov_b32 s22, exec_lo
	v_cmpx_ne_u16_e32 0, v26
	s_cbranch_execz .LBB287_3100
; %bb.3093:                             ;   in Loop: Header=BB287_2093 Depth=1
	v_bfrev_b32_e32 v1, 1
	s_mov_b32 s23, exec_lo
	v_cmpx_ne_u16_e32 0x80, v26
	s_cbranch_execz .LBB287_3099
; %bb.3094:                             ;   in Loop: Header=BB287_2093 Depth=1
	v_and_b32_e32 v0, 0xffff, v26
	v_mov_b32_e32 v1, 0x7c010000
	s_mov_b32 s24, exec_lo
	s_delay_alu instid0(VALU_DEP_2) | instskip(NEXT) | instid1(VALU_DEP_1)
	v_and_b32_e32 v8, 0x7f, v0
	v_cmpx_ne_u32_e32 0x7f, v8
	s_cbranch_execz .LBB287_3098
; %bb.3095:                             ;   in Loop: Header=BB287_2093 Depth=1
	v_and_b32_e32 v1, 7, v0
	v_lshrrev_b32_e32 v7, 3, v8
	s_mov_b32 s25, exec_lo
	v_cmpx_gt_u32_e32 8, v8
; %bb.3096:                             ;   in Loop: Header=BB287_2093 Depth=1
	s_delay_alu instid0(VALU_DEP_3) | instskip(NEXT) | instid1(VALU_DEP_1)
	v_clz_i32_u32_e32 v1, v1
	v_min_u32_e32 v1, 32, v1
	s_delay_alu instid0(VALU_DEP_1) | instskip(NEXT) | instid1(VALU_DEP_1)
	v_subrev_nc_u32_e32 v7, 28, v1
	v_lshlrev_b64_e32 v[8:9], v7, v[26:27]
	s_delay_alu instid0(VALU_DEP_1)
	v_dual_sub_nc_u32 v7, 29, v1 :: v_dual_bitop2_b32 v1, 7, v8 bitop3:0x40
; %bb.3097:                             ;   in Loop: Header=BB287_2093 Depth=1
	s_or_b32 exec_lo, exec_lo, s25
	s_delay_alu instid0(VALU_DEP_1) | instskip(NEXT) | instid1(VALU_DEP_2)
	v_dual_lshlrev_b32 v0, 8, v0 :: v_dual_lshlrev_b32 v1, 23, v1
	v_lshl_add_u32 v7, v7, 10, 0x2000
	s_delay_alu instid0(VALU_DEP_1) | instskip(NEXT) | instid1(VALU_DEP_1)
	v_and_or_b32 v0, 0x8000, v0, v7
	v_lshl_or_b32 v1, v0, 16, v1
.LBB287_3098:                           ;   in Loop: Header=BB287_2093 Depth=1
	s_or_b32 exec_lo, exec_lo, s24
.LBB287_3099:                           ;   in Loop: Header=BB287_2093 Depth=1
	s_delay_alu instid0(SALU_CYCLE_1)
	s_or_b32 exec_lo, exec_lo, s23
.LBB287_3100:                           ;   in Loop: Header=BB287_2093 Depth=1
	s_delay_alu instid0(SALU_CYCLE_1) | instskip(SKIP_3) | instid1(VALU_DEP_2)
	s_or_b32 exec_lo, exec_lo, s22
	v_dual_mov_b32 v7, 0 :: v_dual_lshrrev_b32 v0, 16, v86
	v_mov_b32_e32 v8, 0
	s_mov_b32 s22, exec_lo
	v_and_b32_e32 v9, 0xff, v0
	s_delay_alu instid0(VALU_DEP_1)
	v_cmpx_ne_u16_e32 0, v9
	s_cbranch_execz .LBB287_3108
; %bb.3101:                             ;   in Loop: Header=BB287_2093 Depth=1
	v_mov_b32_e32 v8, 0x8000
	s_mov_b32 s23, exec_lo
	v_cmpx_ne_u16_e32 0x80, v9
	s_cbranch_execz .LBB287_3107
; %bb.3102:                             ;   in Loop: Header=BB287_2093 Depth=1
	v_bfe_u32 v12, v86, 16, 7
	v_mov_b32_e32 v8, 0x7c01
	s_mov_b32 s24, exec_lo
	s_delay_alu instid0(VALU_DEP_2)
	v_cmpx_ne_u32_e32 0x7f, v12
	s_cbranch_execz .LBB287_3106
; %bb.3103:                             ;   in Loop: Header=BB287_2093 Depth=1
	v_and_b32_e32 v8, 7, v0
	v_lshrrev_b32_e32 v9, 3, v12
	s_mov_b32 s25, exec_lo
	v_cmpx_gt_u32_e32 8, v12
; %bb.3104:                             ;   in Loop: Header=BB287_2093 Depth=1
	s_delay_alu instid0(VALU_DEP_3) | instskip(NEXT) | instid1(VALU_DEP_1)
	v_clz_i32_u32_e32 v8, v8
	v_min_u32_e32 v12, 32, v8
	s_delay_alu instid0(VALU_DEP_1) | instskip(NEXT) | instid1(VALU_DEP_1)
	v_subrev_nc_u32_e32 v8, 28, v12
	v_lshlrev_b64_e32 v[8:9], v8, v[0:1]
	v_sub_nc_u32_e32 v9, 29, v12
	s_delay_alu instid0(VALU_DEP_2)
	v_and_b32_e32 v8, 7, v8
; %bb.3105:                             ;   in Loop: Header=BB287_2093 Depth=1
	s_or_b32 exec_lo, exec_lo, s25
	v_lshlrev_b32_e32 v0, 8, v0
	s_delay_alu instid0(VALU_DEP_3) | instskip(NEXT) | instid1(VALU_DEP_3)
	v_lshl_add_u32 v9, v9, 10, 0x2000
	v_lshlrev_b32_e32 v8, 7, v8
	s_delay_alu instid0(VALU_DEP_3) | instskip(NEXT) | instid1(VALU_DEP_3)
	v_and_b32_e32 v0, 0x8000, v0
	v_and_b32_e32 v9, 0xfc00, v9
	s_delay_alu instid0(VALU_DEP_1)
	v_or3_b32 v8, v0, v9, v8
.LBB287_3106:                           ;   in Loop: Header=BB287_2093 Depth=1
	s_or_b32 exec_lo, exec_lo, s24
.LBB287_3107:                           ;   in Loop: Header=BB287_2093 Depth=1
	s_delay_alu instid0(SALU_CYCLE_1)
	s_or_b32 exec_lo, exec_lo, s23
.LBB287_3108:                           ;   in Loop: Header=BB287_2093 Depth=1
	s_delay_alu instid0(SALU_CYCLE_1) | instskip(NEXT) | instid1(SALU_CYCLE_1)
	s_or_b32 exec_lo, exec_lo, s22
	s_mov_b32 s22, exec_lo
	v_cmpx_lt_u32_e32 0xffffff, v86
	s_cbranch_execz .LBB287_3116
; %bb.3109:                             ;   in Loop: Header=BB287_2093 Depth=1
	v_lshrrev_b32_e32 v26, 24, v86
	v_bfrev_b32_e32 v7, 1
	s_mov_b32 s23, exec_lo
	s_delay_alu instid0(VALU_DEP_2)
	v_cmpx_ne_u32_e32 0x80, v26
	s_cbranch_execz .LBB287_3115
; %bb.3110:                             ;   in Loop: Header=BB287_2093 Depth=1
	v_and_b32_e32 v9, 0x7f, v26
	v_mov_b32_e32 v7, 0x7c010000
	s_mov_b32 s24, exec_lo
	s_delay_alu instid0(VALU_DEP_2)
	v_cmpx_ne_u32_e32 0x7f, v9
	s_cbranch_execz .LBB287_3114
; %bb.3111:                             ;   in Loop: Header=BB287_2093 Depth=1
	v_dual_lshrrev_b32 v7, 3, v9 :: v_dual_bitop2_b32 v0, 7, v26 bitop3:0x40
	s_mov_b32 s25, exec_lo
	v_cmpx_gt_u32_e32 8, v9
; %bb.3112:                             ;   in Loop: Header=BB287_2093 Depth=1
	s_delay_alu instid0(VALU_DEP_2) | instskip(NEXT) | instid1(VALU_DEP_1)
	v_clz_i32_u32_e32 v0, v0
	v_min_u32_e32 v0, 32, v0
	s_delay_alu instid0(VALU_DEP_1) | instskip(NEXT) | instid1(VALU_DEP_1)
	v_subrev_nc_u32_e32 v7, 28, v0
	v_lshlrev_b64_e32 v[14:15], v7, v[26:27]
	s_delay_alu instid0(VALU_DEP_1)
	v_dual_sub_nc_u32 v7, 29, v0 :: v_dual_bitop2_b32 v0, 7, v14 bitop3:0x40
; %bb.3113:                             ;   in Loop: Header=BB287_2093 Depth=1
	s_or_b32 exec_lo, exec_lo, s25
	s_delay_alu instid0(VALU_DEP_1) | instskip(NEXT) | instid1(VALU_DEP_2)
	v_dual_lshlrev_b32 v9, 8, v26 :: v_dual_lshlrev_b32 v0, 23, v0
	v_lshl_add_u32 v7, v7, 10, 0x2000
	s_delay_alu instid0(VALU_DEP_1) | instskip(NEXT) | instid1(VALU_DEP_1)
	v_and_or_b32 v7, 0x8000, v9, v7
	v_lshl_or_b32 v7, v7, 16, v0
.LBB287_3114:                           ;   in Loop: Header=BB287_2093 Depth=1
	s_or_b32 exec_lo, exec_lo, s24
.LBB287_3115:                           ;   in Loop: Header=BB287_2093 Depth=1
	s_delay_alu instid0(SALU_CYCLE_1)
	s_or_b32 exec_lo, exec_lo, s23
.LBB287_3116:                           ;   in Loop: Header=BB287_2093 Depth=1
	s_delay_alu instid0(SALU_CYCLE_1) | instskip(SKIP_4) | instid1(VALU_DEP_3)
	s_or_b32 exec_lo, exec_lo, s22
	v_and_b32_e32 v0, 0xff, v87
	v_dual_mov_b32 v26, v87 :: v_dual_mov_b32 v12, 0
	v_mov_b32_e32 v9, 0
	s_mov_b32 s22, exec_lo
	v_cmpx_ne_u16_e32 0, v0
	s_cbranch_execz .LBB287_3124
; %bb.3117:                             ;   in Loop: Header=BB287_2093 Depth=1
	v_mov_b32_e32 v9, 0x8000
	s_mov_b32 s23, exec_lo
	v_cmpx_ne_u16_e32 0x80, v0
	s_cbranch_execz .LBB287_3123
; %bb.3118:                             ;   in Loop: Header=BB287_2093 Depth=1
	v_and_b32_e32 v16, 0x7f, v87
	v_mov_b32_e32 v9, 0x7c01
	s_mov_b32 s24, exec_lo
	s_delay_alu instid0(VALU_DEP_2)
	v_cmpx_ne_u32_e32 0x7f, v16
	s_cbranch_execz .LBB287_3122
; %bb.3119:                             ;   in Loop: Header=BB287_2093 Depth=1
	v_dual_lshrrev_b32 v9, 3, v16 :: v_dual_bitop2_b32 v0, 7, v87 bitop3:0x40
	s_mov_b32 s25, exec_lo
	v_cmpx_gt_u32_e32 8, v16
; %bb.3120:                             ;   in Loop: Header=BB287_2093 Depth=1
	s_delay_alu instid0(VALU_DEP_2) | instskip(NEXT) | instid1(VALU_DEP_1)
	v_clz_i32_u32_e32 v0, v0
	v_min_u32_e32 v0, 32, v0
	s_delay_alu instid0(VALU_DEP_1) | instskip(NEXT) | instid1(VALU_DEP_1)
	v_subrev_nc_u32_e32 v9, 28, v0
	v_lshlrev_b64_e32 v[14:15], v9, v[26:27]
	s_delay_alu instid0(VALU_DEP_1)
	v_dual_sub_nc_u32 v9, 29, v0 :: v_dual_bitop2_b32 v0, 7, v14 bitop3:0x40
; %bb.3121:                             ;   in Loop: Header=BB287_2093 Depth=1
	s_or_b32 exec_lo, exec_lo, s25
	s_delay_alu instid0(VALU_DEP_1) | instskip(NEXT) | instid1(VALU_DEP_2)
	v_dual_lshlrev_b32 v14, 8, v87 :: v_dual_lshlrev_b32 v0, 7, v0
	v_lshl_add_u32 v9, v9, 10, 0x2000
	s_delay_alu instid0(VALU_DEP_2) | instskip(NEXT) | instid1(VALU_DEP_2)
	v_and_b32_e32 v14, 0x8000, v14
	v_and_b32_e32 v9, 0xfc00, v9
	s_delay_alu instid0(VALU_DEP_1)
	v_or3_b32 v9, v14, v9, v0
.LBB287_3122:                           ;   in Loop: Header=BB287_2093 Depth=1
	s_or_b32 exec_lo, exec_lo, s24
.LBB287_3123:                           ;   in Loop: Header=BB287_2093 Depth=1
	s_delay_alu instid0(SALU_CYCLE_1)
	s_or_b32 exec_lo, exec_lo, s23
.LBB287_3124:                           ;   in Loop: Header=BB287_2093 Depth=1
	s_delay_alu instid0(SALU_CYCLE_1) | instskip(SKIP_3) | instid1(VALU_DEP_2)
	s_or_b32 exec_lo, exec_lo, s22
	v_lshrrev_b16 v26, 8, v26
	v_mov_b32_e32 v16, 0
	s_mov_b32 s22, exec_lo
	v_cmpx_ne_u16_e32 0, v26
	s_cbranch_execz .LBB287_3132
; %bb.3125:                             ;   in Loop: Header=BB287_2093 Depth=1
	v_bfrev_b32_e32 v16, 1
	s_mov_b32 s23, exec_lo
	v_cmpx_ne_u16_e32 0x80, v26
	s_cbranch_execz .LBB287_3131
; %bb.3126:                             ;   in Loop: Header=BB287_2093 Depth=1
	v_and_b32_e32 v0, 0xffff, v26
	v_mov_b32_e32 v16, 0x7c010000
	s_mov_b32 s24, exec_lo
	s_delay_alu instid0(VALU_DEP_2) | instskip(NEXT) | instid1(VALU_DEP_1)
	v_and_b32_e32 v18, 0x7f, v0
	v_cmpx_ne_u32_e32 0x7f, v18
	s_cbranch_execz .LBB287_3130
; %bb.3127:                             ;   in Loop: Header=BB287_2093 Depth=1
	v_dual_lshrrev_b32 v17, 3, v18 :: v_dual_bitop2_b32 v16, 7, v0 bitop3:0x40
	s_mov_b32 s25, exec_lo
	v_cmpx_gt_u32_e32 8, v18
; %bb.3128:                             ;   in Loop: Header=BB287_2093 Depth=1
	s_delay_alu instid0(VALU_DEP_2) | instskip(NEXT) | instid1(VALU_DEP_1)
	v_clz_i32_u32_e32 v14, v16
	v_min_u32_e32 v16, 32, v14
	s_delay_alu instid0(VALU_DEP_1) | instskip(NEXT) | instid1(VALU_DEP_1)
	v_subrev_nc_u32_e32 v14, 28, v16
	v_lshlrev_b64_e32 v[14:15], v14, v[26:27]
	s_delay_alu instid0(VALU_DEP_1)
	v_dual_sub_nc_u32 v17, 29, v16 :: v_dual_bitop2_b32 v16, 7, v14 bitop3:0x40
; %bb.3129:                             ;   in Loop: Header=BB287_2093 Depth=1
	s_or_b32 exec_lo, exec_lo, s25
	v_lshlrev_b32_e32 v0, 8, v0
	s_delay_alu instid0(VALU_DEP_2) | instskip(NEXT) | instid1(VALU_DEP_1)
	v_lshl_add_u32 v14, v17, 10, 0x2000
	v_and_or_b32 v0, 0x8000, v0, v14
	v_lshlrev_b32_e32 v14, 23, v16
	s_delay_alu instid0(VALU_DEP_1)
	v_lshl_or_b32 v16, v0, 16, v14
.LBB287_3130:                           ;   in Loop: Header=BB287_2093 Depth=1
	s_or_b32 exec_lo, exec_lo, s24
.LBB287_3131:                           ;   in Loop: Header=BB287_2093 Depth=1
	s_delay_alu instid0(SALU_CYCLE_1)
	s_or_b32 exec_lo, exec_lo, s23
.LBB287_3132:                           ;   in Loop: Header=BB287_2093 Depth=1
	s_delay_alu instid0(SALU_CYCLE_1) | instskip(SKIP_2) | instid1(VALU_DEP_1)
	s_or_b32 exec_lo, exec_lo, s22
	v_lshrrev_b32_e32 v0, 16, v87
	s_mov_b32 s22, exec_lo
	v_and_b32_e32 v17, 0xff, v0
	s_delay_alu instid0(VALU_DEP_1)
	v_cmpx_ne_u16_e32 0, v17
	s_cbranch_execz .LBB287_3140
; %bb.3133:                             ;   in Loop: Header=BB287_2093 Depth=1
	v_mov_b32_e32 v12, 0x8000
	s_mov_b32 s23, exec_lo
	v_cmpx_ne_u16_e32 0x80, v17
	s_cbranch_execz .LBB287_3139
; %bb.3134:                             ;   in Loop: Header=BB287_2093 Depth=1
	v_bfe_u32 v18, v87, 16, 7
	v_mov_b32_e32 v12, 0x7c01
	s_mov_b32 s24, exec_lo
	s_delay_alu instid0(VALU_DEP_2)
	v_cmpx_ne_u32_e32 0x7f, v18
	s_cbranch_execz .LBB287_3138
; %bb.3135:                             ;   in Loop: Header=BB287_2093 Depth=1
	v_dual_lshrrev_b32 v17, 3, v18 :: v_dual_bitop2_b32 v12, 7, v0 bitop3:0x40
	s_mov_b32 s25, exec_lo
	v_cmpx_gt_u32_e32 8, v18
; %bb.3136:                             ;   in Loop: Header=BB287_2093 Depth=1
	s_delay_alu instid0(VALU_DEP_2) | instskip(NEXT) | instid1(VALU_DEP_1)
	v_clz_i32_u32_e32 v12, v12
	v_min_u32_e32 v12, 32, v12
	s_delay_alu instid0(VALU_DEP_1) | instskip(NEXT) | instid1(VALU_DEP_1)
	v_subrev_nc_u32_e32 v14, 28, v12
	v_lshlrev_b64_e32 v[14:15], v14, v[0:1]
	s_delay_alu instid0(VALU_DEP_1)
	v_dual_sub_nc_u32 v17, 29, v12 :: v_dual_bitop2_b32 v12, 7, v14 bitop3:0x40
; %bb.3137:                             ;   in Loop: Header=BB287_2093 Depth=1
	s_or_b32 exec_lo, exec_lo, s25
	v_lshlrev_b32_e32 v0, 8, v0
	s_delay_alu instid0(VALU_DEP_2) | instskip(NEXT) | instid1(VALU_DEP_3)
	v_lshl_add_u32 v14, v17, 10, 0x2000
	v_lshlrev_b32_e32 v12, 7, v12
	s_delay_alu instid0(VALU_DEP_3) | instskip(NEXT) | instid1(VALU_DEP_3)
	v_and_b32_e32 v0, 0x8000, v0
	v_and_b32_e32 v14, 0xfc00, v14
	s_delay_alu instid0(VALU_DEP_1)
	v_or3_b32 v12, v0, v14, v12
.LBB287_3138:                           ;   in Loop: Header=BB287_2093 Depth=1
	s_or_b32 exec_lo, exec_lo, s24
.LBB287_3139:                           ;   in Loop: Header=BB287_2093 Depth=1
	s_delay_alu instid0(SALU_CYCLE_1)
	s_or_b32 exec_lo, exec_lo, s23
.LBB287_3140:                           ;   in Loop: Header=BB287_2093 Depth=1
	s_delay_alu instid0(SALU_CYCLE_1)
	s_or_b32 exec_lo, exec_lo, s22
	v_mov_b32_e32 v0, 0
	s_mov_b32 s22, exec_lo
	v_cmpx_lt_u64_e64 s[14:15], v[86:87]
	s_cbranch_execz .LBB287_3148
; %bb.3141:                             ;   in Loop: Header=BB287_2093 Depth=1
	v_lshrrev_b32_e32 v26, 24, v87
	v_bfrev_b32_e32 v0, 1
	s_mov_b32 s23, exec_lo
	s_delay_alu instid0(VALU_DEP_2)
	v_cmpx_ne_u32_e32 0x80, v26
	s_cbranch_execz .LBB287_3147
; %bb.3142:                             ;   in Loop: Header=BB287_2093 Depth=1
	v_and_b32_e32 v18, 0x7f, v26
	v_mov_b32_e32 v0, 0x7c010000
	s_mov_b32 s24, exec_lo
	s_delay_alu instid0(VALU_DEP_2)
	v_cmpx_ne_u32_e32 0x7f, v18
	s_cbranch_execz .LBB287_3146
; %bb.3143:                             ;   in Loop: Header=BB287_2093 Depth=1
	v_and_b32_e32 v0, 7, v26
	v_lshrrev_b32_e32 v17, 3, v18
	s_mov_b32 s25, exec_lo
	v_cmpx_gt_u32_e32 8, v18
; %bb.3144:                             ;   in Loop: Header=BB287_2093 Depth=1
	s_delay_alu instid0(VALU_DEP_3) | instskip(NEXT) | instid1(VALU_DEP_1)
	v_clz_i32_u32_e32 v0, v0
	v_min_u32_e32 v0, 32, v0
	s_delay_alu instid0(VALU_DEP_1) | instskip(NEXT) | instid1(VALU_DEP_1)
	v_subrev_nc_u32_e32 v14, 28, v0
	v_lshlrev_b64_e32 v[14:15], v14, v[26:27]
	s_delay_alu instid0(VALU_DEP_1)
	v_dual_sub_nc_u32 v17, 29, v0 :: v_dual_bitop2_b32 v0, 7, v14 bitop3:0x40
; %bb.3145:                             ;   in Loop: Header=BB287_2093 Depth=1
	s_or_b32 exec_lo, exec_lo, s25
	s_delay_alu instid0(VALU_DEP_1) | instskip(NEXT) | instid1(VALU_DEP_2)
	v_dual_lshlrev_b32 v14, 8, v26 :: v_dual_lshlrev_b32 v0, 23, v0
	v_lshl_add_u32 v15, v17, 10, 0x2000
	s_delay_alu instid0(VALU_DEP_1) | instskip(NEXT) | instid1(VALU_DEP_1)
	v_and_or_b32 v14, 0x8000, v14, v15
	v_lshl_or_b32 v0, v14, 16, v0
.LBB287_3146:                           ;   in Loop: Header=BB287_2093 Depth=1
	s_or_b32 exec_lo, exec_lo, s24
.LBB287_3147:                           ;   in Loop: Header=BB287_2093 Depth=1
	s_delay_alu instid0(SALU_CYCLE_1)
	s_or_b32 exec_lo, exec_lo, s23
.LBB287_3148:                           ;   in Loop: Header=BB287_2093 Depth=1
	s_delay_alu instid0(SALU_CYCLE_1) | instskip(SKIP_4) | instid1(VALU_DEP_4)
	s_or_b32 exec_lo, exec_lo, s22
	v_dual_lshrrev_b32 v14, 16, v1 :: v_dual_lshrrev_b32 v15, 16, v7
	v_or_b32_e32 v1, v1, v6
	v_or_b32_e32 v8, v7, v8
	;; [unrolled: 1-line block ×3, first 2 shown]
	v_cvt_f32_f16_e32 v7, v14
	v_cvt_f32_f16_e32 v6, v15
	v_lshrrev_b32_e32 v14, 16, v16
	v_dual_lshrrev_b32 v15, 16, v0 :: v_dual_bitop2_b32 v16, v16, v9 bitop3:0x54
	v_cvt_f32_f16_e32 v0, v8
	s_wait_loadcnt_dscnt 0x0
	v_pk_mul_f32 v[6:7], v[84:85], v[6:7] op_sel_hi:[0,1]
	v_cvt_f32_f16_e32 v1, v1
	v_cvt_f32_f16_e32 v9, v14
	;; [unrolled: 1-line block ×5, first 2 shown]
	v_pk_mul_f32 v[0:1], v[84:85], v[0:1] op_sel_hi:[0,1]
	v_cvt_pk_f16_f32 v12, v6, v7
	v_pk_mul_f32 v[6:7], v[84:85], v[8:9] op_sel_hi:[0,1]
	s_delay_alu instid0(VALU_DEP_4) | instskip(NEXT) | instid1(VALU_DEP_4)
	v_pk_mul_f32 v[14:15], v[84:85], v[14:15] op_sel_hi:[0,1]
	v_cvt_pk_f16_f32 v0, v0, v1
	s_delay_alu instid0(VALU_DEP_4) | instskip(NEXT) | instid1(VALU_DEP_4)
	v_and_b32_e32 v9, 0xffff0000, v12
	v_cvt_pk_f16_f32 v6, v6, v7
	s_delay_alu instid0(VALU_DEP_4) | instskip(NEXT) | instid1(VALU_DEP_4)
	v_cvt_pk_f16_f32 v7, v14, v15
	v_and_b32_e32 v98, 0xffff, v0
	v_lshrrev_b32_e32 v97, 16, v0
	v_lshlrev_b32_e32 v86, 16, v12
	v_and_b32_e32 v1, 0xffff0000, v6
	v_dual_lshlrev_b32 v0, 16, v6 :: v_dual_lshrrev_b32 v87, 16, v7
	v_and_b32_e32 v96, 0xffff, v7
	v_or_b32_e32 v85, v9, v97
	v_or_b32_e32 v84, v86, v98
	s_delay_alu instid0(VALU_DEP_4) | instskip(NEXT) | instid1(VALU_DEP_4)
	v_or_b32_e32 v19, v1, v87
	v_or_b32_e32 v26, v0, v96
	s_and_saveexec_b32 s8, s0
	s_cbranch_execz .LBB287_3150
; %bb.3149:                             ;   in Loop: Header=BB287_2093 Depth=1
	v_dual_cndmask_b32 v6, 0, v97, vcc_lo :: v_dual_cndmask_b32 v7, 0, v98, s1
	v_dual_cndmask_b32 v8, 0, v9, s2 :: v_dual_cndmask_b32 v9, 0, v86, s3
	v_dual_cndmask_b32 v12, 0, v87, s4 :: v_dual_cndmask_b32 v14, 0, v96, s5
	;; [unrolled: 1-line block ×3, first 2 shown]
	s_delay_alu instid0(VALU_DEP_3) | instskip(NEXT) | instid1(VALU_DEP_4)
	v_or_b32_e32 v85, v6, v8
	v_or_b32_e32 v84, v7, v9
	s_delay_alu instid0(VALU_DEP_3) | instskip(NEXT) | instid1(VALU_DEP_4)
	v_or_b32_e32 v19, v12, v1
	v_or_b32_e32 v26, v14, v0
.LBB287_3150:                           ;   in Loop: Header=BB287_2093 Depth=1
	s_or_b32 exec_lo, exec_lo, s8
	;;#ASMSTART
	v_pk_mul_f16 v0, v119, v85;

	;;#ASMEND
	;;#ASMSTART
	v_pk_mul_f16 v1, v117, v84;

	;;#ASMEND
	;; [unrolled: 4-line block ×4, first 2 shown]
	;;#ASMSTART
	v_pk_add_f16 v0, v0, v1;

	;;#ASMEND
	;;#ASMSTART
	v_pk_add_f16 v0, v0, v6;

	;;#ASMEND
	;; [unrolled: 4-line block ×3, first 2 shown]
	v_and_b32_e32 v1, 0xffff, v0
	v_lshrrev_b32_e32 v0, 16, v0
	;;#ASMSTART
	v_cvt_f32_f16 v93, v1;
	;;#ASMEND
	v_mov_b32_e32 v1, 0
	;;#ASMSTART
	v_cvt_f32_f16 v94, v0;
	;;#ASMEND
	flat_load_b64 v[86:87], v[82:83] offset:4096
	flat_load_b32 v84, v[22:23]
	v_mov_b32_e32 v6, 0
	s_mov_b32 s22, exec_lo
	s_wait_loadcnt_dscnt 0x101
	v_and_b32_e32 v0, 0xff, v86
	s_wait_xcnt 0x0
	s_delay_alu instid0(VALU_DEP_1)
	v_cmpx_ne_u16_e32 0, v0
	s_cbranch_execz .LBB287_3158
; %bb.3151:                             ;   in Loop: Header=BB287_2093 Depth=1
	v_mov_b32_e32 v6, 0x8000
	s_mov_b32 s23, exec_lo
	v_cmpx_ne_u16_e32 0x80, v0
	s_cbranch_execz .LBB287_3157
; %bb.3152:                             ;   in Loop: Header=BB287_2093 Depth=1
	v_and_b32_e32 v7, 0x7f, v86
	v_mov_b32_e32 v6, 0x7c01
	s_mov_b32 s24, exec_lo
	s_delay_alu instid0(VALU_DEP_2)
	v_cmpx_ne_u32_e32 0x7f, v7
	s_cbranch_execz .LBB287_3156
; %bb.3153:                             ;   in Loop: Header=BB287_2093 Depth=1
	v_dual_lshrrev_b32 v6, 3, v7 :: v_dual_bitop2_b32 v0, 7, v86 bitop3:0x40
	s_mov_b32 s25, exec_lo
	v_cmpx_gt_u32_e32 8, v7
; %bb.3154:                             ;   in Loop: Header=BB287_2093 Depth=1
	s_delay_alu instid0(VALU_DEP_2) | instskip(NEXT) | instid1(VALU_DEP_1)
	v_clz_i32_u32_e32 v0, v0
	v_min_u32_e32 v0, 32, v0
	s_delay_alu instid0(VALU_DEP_1) | instskip(NEXT) | instid1(VALU_DEP_1)
	v_subrev_nc_u32_e32 v6, 28, v0
	v_lshlrev_b64_e32 v[8:9], v6, v[86:87]
	v_sub_nc_u32_e32 v6, 29, v0
	s_delay_alu instid0(VALU_DEP_2)
	v_and_b32_e32 v0, 7, v8
; %bb.3155:                             ;   in Loop: Header=BB287_2093 Depth=1
	s_or_b32 exec_lo, exec_lo, s25
	s_delay_alu instid0(VALU_DEP_1) | instskip(NEXT) | instid1(VALU_DEP_3)
	v_dual_lshlrev_b32 v7, 8, v86 :: v_dual_lshlrev_b32 v0, 7, v0
	v_lshl_add_u32 v6, v6, 10, 0x2000
	s_delay_alu instid0(VALU_DEP_2) | instskip(NEXT) | instid1(VALU_DEP_2)
	v_and_b32_e32 v7, 0x8000, v7
	v_and_b32_e32 v6, 0xfc00, v6
	s_delay_alu instid0(VALU_DEP_1)
	v_or3_b32 v6, v7, v6, v0
.LBB287_3156:                           ;   in Loop: Header=BB287_2093 Depth=1
	s_or_b32 exec_lo, exec_lo, s24
.LBB287_3157:                           ;   in Loop: Header=BB287_2093 Depth=1
	s_delay_alu instid0(SALU_CYCLE_1)
	s_or_b32 exec_lo, exec_lo, s23
.LBB287_3158:                           ;   in Loop: Header=BB287_2093 Depth=1
	s_delay_alu instid0(SALU_CYCLE_1) | instskip(SKIP_2) | instid1(VALU_DEP_1)
	s_or_b32 exec_lo, exec_lo, s22
	v_lshrrev_b16 v26, 8, v86
	s_mov_b32 s22, exec_lo
	v_cmpx_ne_u16_e32 0, v26
	s_cbranch_execz .LBB287_3166
; %bb.3159:                             ;   in Loop: Header=BB287_2093 Depth=1
	v_bfrev_b32_e32 v1, 1
	s_mov_b32 s23, exec_lo
	v_cmpx_ne_u16_e32 0x80, v26
	s_cbranch_execz .LBB287_3165
; %bb.3160:                             ;   in Loop: Header=BB287_2093 Depth=1
	v_and_b32_e32 v0, 0xffff, v26
	v_mov_b32_e32 v1, 0x7c010000
	s_mov_b32 s24, exec_lo
	s_delay_alu instid0(VALU_DEP_2) | instskip(NEXT) | instid1(VALU_DEP_1)
	v_and_b32_e32 v8, 0x7f, v0
	v_cmpx_ne_u32_e32 0x7f, v8
	s_cbranch_execz .LBB287_3164
; %bb.3161:                             ;   in Loop: Header=BB287_2093 Depth=1
	v_and_b32_e32 v1, 7, v0
	v_lshrrev_b32_e32 v7, 3, v8
	s_mov_b32 s25, exec_lo
	v_cmpx_gt_u32_e32 8, v8
; %bb.3162:                             ;   in Loop: Header=BB287_2093 Depth=1
	s_delay_alu instid0(VALU_DEP_3) | instskip(NEXT) | instid1(VALU_DEP_1)
	v_clz_i32_u32_e32 v1, v1
	v_min_u32_e32 v1, 32, v1
	s_delay_alu instid0(VALU_DEP_1) | instskip(NEXT) | instid1(VALU_DEP_1)
	v_subrev_nc_u32_e32 v7, 28, v1
	v_lshlrev_b64_e32 v[8:9], v7, v[26:27]
	s_delay_alu instid0(VALU_DEP_1)
	v_dual_sub_nc_u32 v7, 29, v1 :: v_dual_bitop2_b32 v1, 7, v8 bitop3:0x40
; %bb.3163:                             ;   in Loop: Header=BB287_2093 Depth=1
	s_or_b32 exec_lo, exec_lo, s25
	s_delay_alu instid0(VALU_DEP_1) | instskip(NEXT) | instid1(VALU_DEP_2)
	v_dual_lshlrev_b32 v0, 8, v0 :: v_dual_lshlrev_b32 v1, 23, v1
	v_lshl_add_u32 v7, v7, 10, 0x2000
	s_delay_alu instid0(VALU_DEP_1) | instskip(NEXT) | instid1(VALU_DEP_1)
	v_and_or_b32 v0, 0x8000, v0, v7
	v_lshl_or_b32 v1, v0, 16, v1
.LBB287_3164:                           ;   in Loop: Header=BB287_2093 Depth=1
	s_or_b32 exec_lo, exec_lo, s24
.LBB287_3165:                           ;   in Loop: Header=BB287_2093 Depth=1
	s_delay_alu instid0(SALU_CYCLE_1)
	s_or_b32 exec_lo, exec_lo, s23
.LBB287_3166:                           ;   in Loop: Header=BB287_2093 Depth=1
	s_delay_alu instid0(SALU_CYCLE_1) | instskip(SKIP_3) | instid1(VALU_DEP_2)
	s_or_b32 exec_lo, exec_lo, s22
	v_dual_mov_b32 v7, 0 :: v_dual_lshrrev_b32 v0, 16, v86
	v_mov_b32_e32 v8, 0
	s_mov_b32 s22, exec_lo
	v_and_b32_e32 v9, 0xff, v0
	s_delay_alu instid0(VALU_DEP_1)
	v_cmpx_ne_u16_e32 0, v9
	s_cbranch_execz .LBB287_3174
; %bb.3167:                             ;   in Loop: Header=BB287_2093 Depth=1
	v_mov_b32_e32 v8, 0x8000
	s_mov_b32 s23, exec_lo
	v_cmpx_ne_u16_e32 0x80, v9
	s_cbranch_execz .LBB287_3173
; %bb.3168:                             ;   in Loop: Header=BB287_2093 Depth=1
	v_bfe_u32 v12, v86, 16, 7
	v_mov_b32_e32 v8, 0x7c01
	s_mov_b32 s24, exec_lo
	s_delay_alu instid0(VALU_DEP_2)
	v_cmpx_ne_u32_e32 0x7f, v12
	s_cbranch_execz .LBB287_3172
; %bb.3169:                             ;   in Loop: Header=BB287_2093 Depth=1
	v_and_b32_e32 v8, 7, v0
	v_lshrrev_b32_e32 v9, 3, v12
	s_mov_b32 s25, exec_lo
	v_cmpx_gt_u32_e32 8, v12
; %bb.3170:                             ;   in Loop: Header=BB287_2093 Depth=1
	s_delay_alu instid0(VALU_DEP_3) | instskip(NEXT) | instid1(VALU_DEP_1)
	v_clz_i32_u32_e32 v8, v8
	v_min_u32_e32 v12, 32, v8
	s_delay_alu instid0(VALU_DEP_1) | instskip(NEXT) | instid1(VALU_DEP_1)
	v_subrev_nc_u32_e32 v8, 28, v12
	v_lshlrev_b64_e32 v[8:9], v8, v[0:1]
	v_sub_nc_u32_e32 v9, 29, v12
	s_delay_alu instid0(VALU_DEP_2)
	v_and_b32_e32 v8, 7, v8
; %bb.3171:                             ;   in Loop: Header=BB287_2093 Depth=1
	s_or_b32 exec_lo, exec_lo, s25
	v_lshlrev_b32_e32 v0, 8, v0
	s_delay_alu instid0(VALU_DEP_3) | instskip(NEXT) | instid1(VALU_DEP_3)
	v_lshl_add_u32 v9, v9, 10, 0x2000
	v_lshlrev_b32_e32 v8, 7, v8
	s_delay_alu instid0(VALU_DEP_3) | instskip(NEXT) | instid1(VALU_DEP_3)
	v_and_b32_e32 v0, 0x8000, v0
	v_and_b32_e32 v9, 0xfc00, v9
	s_delay_alu instid0(VALU_DEP_1)
	v_or3_b32 v8, v0, v9, v8
.LBB287_3172:                           ;   in Loop: Header=BB287_2093 Depth=1
	s_or_b32 exec_lo, exec_lo, s24
.LBB287_3173:                           ;   in Loop: Header=BB287_2093 Depth=1
	s_delay_alu instid0(SALU_CYCLE_1)
	s_or_b32 exec_lo, exec_lo, s23
.LBB287_3174:                           ;   in Loop: Header=BB287_2093 Depth=1
	s_delay_alu instid0(SALU_CYCLE_1) | instskip(NEXT) | instid1(SALU_CYCLE_1)
	s_or_b32 exec_lo, exec_lo, s22
	s_mov_b32 s22, exec_lo
	v_cmpx_lt_u32_e32 0xffffff, v86
	s_cbranch_execz .LBB287_3182
; %bb.3175:                             ;   in Loop: Header=BB287_2093 Depth=1
	v_lshrrev_b32_e32 v26, 24, v86
	v_bfrev_b32_e32 v7, 1
	s_mov_b32 s23, exec_lo
	s_delay_alu instid0(VALU_DEP_2)
	v_cmpx_ne_u32_e32 0x80, v26
	s_cbranch_execz .LBB287_3181
; %bb.3176:                             ;   in Loop: Header=BB287_2093 Depth=1
	v_and_b32_e32 v9, 0x7f, v26
	v_mov_b32_e32 v7, 0x7c010000
	s_mov_b32 s24, exec_lo
	s_delay_alu instid0(VALU_DEP_2)
	v_cmpx_ne_u32_e32 0x7f, v9
	s_cbranch_execz .LBB287_3180
; %bb.3177:                             ;   in Loop: Header=BB287_2093 Depth=1
	v_dual_lshrrev_b32 v7, 3, v9 :: v_dual_bitop2_b32 v0, 7, v26 bitop3:0x40
	s_mov_b32 s25, exec_lo
	v_cmpx_gt_u32_e32 8, v9
; %bb.3178:                             ;   in Loop: Header=BB287_2093 Depth=1
	s_delay_alu instid0(VALU_DEP_2) | instskip(NEXT) | instid1(VALU_DEP_1)
	v_clz_i32_u32_e32 v0, v0
	v_min_u32_e32 v0, 32, v0
	s_delay_alu instid0(VALU_DEP_1) | instskip(NEXT) | instid1(VALU_DEP_1)
	v_subrev_nc_u32_e32 v7, 28, v0
	v_lshlrev_b64_e32 v[14:15], v7, v[26:27]
	s_delay_alu instid0(VALU_DEP_1)
	v_dual_sub_nc_u32 v7, 29, v0 :: v_dual_bitop2_b32 v0, 7, v14 bitop3:0x40
; %bb.3179:                             ;   in Loop: Header=BB287_2093 Depth=1
	s_or_b32 exec_lo, exec_lo, s25
	s_delay_alu instid0(VALU_DEP_1) | instskip(NEXT) | instid1(VALU_DEP_2)
	v_dual_lshlrev_b32 v9, 8, v26 :: v_dual_lshlrev_b32 v0, 23, v0
	v_lshl_add_u32 v7, v7, 10, 0x2000
	s_delay_alu instid0(VALU_DEP_1) | instskip(NEXT) | instid1(VALU_DEP_1)
	v_and_or_b32 v7, 0x8000, v9, v7
	v_lshl_or_b32 v7, v7, 16, v0
.LBB287_3180:                           ;   in Loop: Header=BB287_2093 Depth=1
	s_or_b32 exec_lo, exec_lo, s24
.LBB287_3181:                           ;   in Loop: Header=BB287_2093 Depth=1
	s_delay_alu instid0(SALU_CYCLE_1)
	s_or_b32 exec_lo, exec_lo, s23
.LBB287_3182:                           ;   in Loop: Header=BB287_2093 Depth=1
	s_delay_alu instid0(SALU_CYCLE_1) | instskip(SKIP_4) | instid1(VALU_DEP_3)
	s_or_b32 exec_lo, exec_lo, s22
	v_and_b32_e32 v0, 0xff, v87
	v_dual_mov_b32 v26, v87 :: v_dual_mov_b32 v12, 0
	v_mov_b32_e32 v9, 0
	s_mov_b32 s22, exec_lo
	v_cmpx_ne_u16_e32 0, v0
	s_cbranch_execz .LBB287_3190
; %bb.3183:                             ;   in Loop: Header=BB287_2093 Depth=1
	v_mov_b32_e32 v9, 0x8000
	s_mov_b32 s23, exec_lo
	v_cmpx_ne_u16_e32 0x80, v0
	s_cbranch_execz .LBB287_3189
; %bb.3184:                             ;   in Loop: Header=BB287_2093 Depth=1
	v_and_b32_e32 v16, 0x7f, v87
	v_mov_b32_e32 v9, 0x7c01
	s_mov_b32 s24, exec_lo
	s_delay_alu instid0(VALU_DEP_2)
	v_cmpx_ne_u32_e32 0x7f, v16
	s_cbranch_execz .LBB287_3188
; %bb.3185:                             ;   in Loop: Header=BB287_2093 Depth=1
	v_dual_lshrrev_b32 v9, 3, v16 :: v_dual_bitop2_b32 v0, 7, v87 bitop3:0x40
	s_mov_b32 s25, exec_lo
	v_cmpx_gt_u32_e32 8, v16
; %bb.3186:                             ;   in Loop: Header=BB287_2093 Depth=1
	s_delay_alu instid0(VALU_DEP_2) | instskip(NEXT) | instid1(VALU_DEP_1)
	v_clz_i32_u32_e32 v0, v0
	v_min_u32_e32 v0, 32, v0
	s_delay_alu instid0(VALU_DEP_1) | instskip(NEXT) | instid1(VALU_DEP_1)
	v_subrev_nc_u32_e32 v9, 28, v0
	v_lshlrev_b64_e32 v[14:15], v9, v[26:27]
	s_delay_alu instid0(VALU_DEP_1)
	v_dual_sub_nc_u32 v9, 29, v0 :: v_dual_bitop2_b32 v0, 7, v14 bitop3:0x40
; %bb.3187:                             ;   in Loop: Header=BB287_2093 Depth=1
	s_or_b32 exec_lo, exec_lo, s25
	s_delay_alu instid0(VALU_DEP_1) | instskip(NEXT) | instid1(VALU_DEP_2)
	v_dual_lshlrev_b32 v14, 8, v87 :: v_dual_lshlrev_b32 v0, 7, v0
	v_lshl_add_u32 v9, v9, 10, 0x2000
	s_delay_alu instid0(VALU_DEP_2) | instskip(NEXT) | instid1(VALU_DEP_2)
	v_and_b32_e32 v14, 0x8000, v14
	v_and_b32_e32 v9, 0xfc00, v9
	s_delay_alu instid0(VALU_DEP_1)
	v_or3_b32 v9, v14, v9, v0
.LBB287_3188:                           ;   in Loop: Header=BB287_2093 Depth=1
	s_or_b32 exec_lo, exec_lo, s24
.LBB287_3189:                           ;   in Loop: Header=BB287_2093 Depth=1
	s_delay_alu instid0(SALU_CYCLE_1)
	s_or_b32 exec_lo, exec_lo, s23
.LBB287_3190:                           ;   in Loop: Header=BB287_2093 Depth=1
	s_delay_alu instid0(SALU_CYCLE_1) | instskip(SKIP_3) | instid1(VALU_DEP_2)
	s_or_b32 exec_lo, exec_lo, s22
	v_lshrrev_b16 v26, 8, v26
	v_mov_b32_e32 v16, 0
	s_mov_b32 s22, exec_lo
	v_cmpx_ne_u16_e32 0, v26
	s_cbranch_execz .LBB287_3198
; %bb.3191:                             ;   in Loop: Header=BB287_2093 Depth=1
	v_bfrev_b32_e32 v16, 1
	s_mov_b32 s23, exec_lo
	v_cmpx_ne_u16_e32 0x80, v26
	s_cbranch_execz .LBB287_3197
; %bb.3192:                             ;   in Loop: Header=BB287_2093 Depth=1
	v_and_b32_e32 v0, 0xffff, v26
	v_mov_b32_e32 v16, 0x7c010000
	s_mov_b32 s24, exec_lo
	s_delay_alu instid0(VALU_DEP_2) | instskip(NEXT) | instid1(VALU_DEP_1)
	v_and_b32_e32 v18, 0x7f, v0
	v_cmpx_ne_u32_e32 0x7f, v18
	s_cbranch_execz .LBB287_3196
; %bb.3193:                             ;   in Loop: Header=BB287_2093 Depth=1
	v_dual_lshrrev_b32 v17, 3, v18 :: v_dual_bitop2_b32 v16, 7, v0 bitop3:0x40
	s_mov_b32 s25, exec_lo
	v_cmpx_gt_u32_e32 8, v18
; %bb.3194:                             ;   in Loop: Header=BB287_2093 Depth=1
	s_delay_alu instid0(VALU_DEP_2) | instskip(NEXT) | instid1(VALU_DEP_1)
	v_clz_i32_u32_e32 v14, v16
	v_min_u32_e32 v16, 32, v14
	s_delay_alu instid0(VALU_DEP_1) | instskip(NEXT) | instid1(VALU_DEP_1)
	v_subrev_nc_u32_e32 v14, 28, v16
	v_lshlrev_b64_e32 v[14:15], v14, v[26:27]
	s_delay_alu instid0(VALU_DEP_1)
	v_dual_sub_nc_u32 v17, 29, v16 :: v_dual_bitop2_b32 v16, 7, v14 bitop3:0x40
; %bb.3195:                             ;   in Loop: Header=BB287_2093 Depth=1
	s_or_b32 exec_lo, exec_lo, s25
	v_lshlrev_b32_e32 v0, 8, v0
	s_delay_alu instid0(VALU_DEP_2) | instskip(NEXT) | instid1(VALU_DEP_1)
	v_lshl_add_u32 v14, v17, 10, 0x2000
	v_and_or_b32 v0, 0x8000, v0, v14
	v_lshlrev_b32_e32 v14, 23, v16
	s_delay_alu instid0(VALU_DEP_1)
	v_lshl_or_b32 v16, v0, 16, v14
.LBB287_3196:                           ;   in Loop: Header=BB287_2093 Depth=1
	s_or_b32 exec_lo, exec_lo, s24
.LBB287_3197:                           ;   in Loop: Header=BB287_2093 Depth=1
	s_delay_alu instid0(SALU_CYCLE_1)
	s_or_b32 exec_lo, exec_lo, s23
.LBB287_3198:                           ;   in Loop: Header=BB287_2093 Depth=1
	s_delay_alu instid0(SALU_CYCLE_1) | instskip(SKIP_2) | instid1(VALU_DEP_1)
	s_or_b32 exec_lo, exec_lo, s22
	v_lshrrev_b32_e32 v0, 16, v87
	s_mov_b32 s22, exec_lo
	v_and_b32_e32 v17, 0xff, v0
	s_delay_alu instid0(VALU_DEP_1)
	v_cmpx_ne_u16_e32 0, v17
	s_cbranch_execz .LBB287_3206
; %bb.3199:                             ;   in Loop: Header=BB287_2093 Depth=1
	v_mov_b32_e32 v12, 0x8000
	s_mov_b32 s23, exec_lo
	v_cmpx_ne_u16_e32 0x80, v17
	s_cbranch_execz .LBB287_3205
; %bb.3200:                             ;   in Loop: Header=BB287_2093 Depth=1
	v_bfe_u32 v18, v87, 16, 7
	v_mov_b32_e32 v12, 0x7c01
	s_mov_b32 s24, exec_lo
	s_delay_alu instid0(VALU_DEP_2)
	v_cmpx_ne_u32_e32 0x7f, v18
	s_cbranch_execz .LBB287_3204
; %bb.3201:                             ;   in Loop: Header=BB287_2093 Depth=1
	v_dual_lshrrev_b32 v17, 3, v18 :: v_dual_bitop2_b32 v12, 7, v0 bitop3:0x40
	s_mov_b32 s25, exec_lo
	v_cmpx_gt_u32_e32 8, v18
; %bb.3202:                             ;   in Loop: Header=BB287_2093 Depth=1
	s_delay_alu instid0(VALU_DEP_2) | instskip(NEXT) | instid1(VALU_DEP_1)
	v_clz_i32_u32_e32 v12, v12
	v_min_u32_e32 v12, 32, v12
	s_delay_alu instid0(VALU_DEP_1) | instskip(NEXT) | instid1(VALU_DEP_1)
	v_subrev_nc_u32_e32 v14, 28, v12
	v_lshlrev_b64_e32 v[14:15], v14, v[0:1]
	s_delay_alu instid0(VALU_DEP_1)
	v_dual_sub_nc_u32 v17, 29, v12 :: v_dual_bitop2_b32 v12, 7, v14 bitop3:0x40
; %bb.3203:                             ;   in Loop: Header=BB287_2093 Depth=1
	s_or_b32 exec_lo, exec_lo, s25
	v_lshlrev_b32_e32 v0, 8, v0
	s_delay_alu instid0(VALU_DEP_2) | instskip(NEXT) | instid1(VALU_DEP_3)
	v_lshl_add_u32 v14, v17, 10, 0x2000
	v_lshlrev_b32_e32 v12, 7, v12
	s_delay_alu instid0(VALU_DEP_3) | instskip(NEXT) | instid1(VALU_DEP_3)
	v_and_b32_e32 v0, 0x8000, v0
	v_and_b32_e32 v14, 0xfc00, v14
	s_delay_alu instid0(VALU_DEP_1)
	v_or3_b32 v12, v0, v14, v12
.LBB287_3204:                           ;   in Loop: Header=BB287_2093 Depth=1
	s_or_b32 exec_lo, exec_lo, s24
.LBB287_3205:                           ;   in Loop: Header=BB287_2093 Depth=1
	s_delay_alu instid0(SALU_CYCLE_1)
	s_or_b32 exec_lo, exec_lo, s23
.LBB287_3206:                           ;   in Loop: Header=BB287_2093 Depth=1
	s_delay_alu instid0(SALU_CYCLE_1)
	s_or_b32 exec_lo, exec_lo, s22
	v_mov_b32_e32 v0, 0
	s_mov_b32 s22, exec_lo
	v_cmpx_lt_u64_e64 s[14:15], v[86:87]
	s_cbranch_execz .LBB287_3214
; %bb.3207:                             ;   in Loop: Header=BB287_2093 Depth=1
	v_lshrrev_b32_e32 v26, 24, v87
	v_bfrev_b32_e32 v0, 1
	s_mov_b32 s23, exec_lo
	s_delay_alu instid0(VALU_DEP_2)
	v_cmpx_ne_u32_e32 0x80, v26
	s_cbranch_execz .LBB287_3213
; %bb.3208:                             ;   in Loop: Header=BB287_2093 Depth=1
	v_and_b32_e32 v18, 0x7f, v26
	v_mov_b32_e32 v0, 0x7c010000
	s_mov_b32 s24, exec_lo
	s_delay_alu instid0(VALU_DEP_2)
	v_cmpx_ne_u32_e32 0x7f, v18
	s_cbranch_execz .LBB287_3212
; %bb.3209:                             ;   in Loop: Header=BB287_2093 Depth=1
	v_and_b32_e32 v0, 7, v26
	v_lshrrev_b32_e32 v17, 3, v18
	s_mov_b32 s25, exec_lo
	v_cmpx_gt_u32_e32 8, v18
; %bb.3210:                             ;   in Loop: Header=BB287_2093 Depth=1
	s_delay_alu instid0(VALU_DEP_3) | instskip(NEXT) | instid1(VALU_DEP_1)
	v_clz_i32_u32_e32 v0, v0
	v_min_u32_e32 v0, 32, v0
	s_delay_alu instid0(VALU_DEP_1) | instskip(NEXT) | instid1(VALU_DEP_1)
	v_subrev_nc_u32_e32 v14, 28, v0
	v_lshlrev_b64_e32 v[14:15], v14, v[26:27]
	s_delay_alu instid0(VALU_DEP_1)
	v_dual_sub_nc_u32 v17, 29, v0 :: v_dual_bitop2_b32 v0, 7, v14 bitop3:0x40
; %bb.3211:                             ;   in Loop: Header=BB287_2093 Depth=1
	s_or_b32 exec_lo, exec_lo, s25
	s_delay_alu instid0(VALU_DEP_1) | instskip(NEXT) | instid1(VALU_DEP_2)
	v_dual_lshlrev_b32 v14, 8, v26 :: v_dual_lshlrev_b32 v0, 23, v0
	v_lshl_add_u32 v15, v17, 10, 0x2000
	s_delay_alu instid0(VALU_DEP_1) | instskip(NEXT) | instid1(VALU_DEP_1)
	v_and_or_b32 v14, 0x8000, v14, v15
	v_lshl_or_b32 v0, v14, 16, v0
.LBB287_3212:                           ;   in Loop: Header=BB287_2093 Depth=1
	s_or_b32 exec_lo, exec_lo, s24
.LBB287_3213:                           ;   in Loop: Header=BB287_2093 Depth=1
	s_delay_alu instid0(SALU_CYCLE_1)
	s_or_b32 exec_lo, exec_lo, s23
.LBB287_3214:                           ;   in Loop: Header=BB287_2093 Depth=1
	s_delay_alu instid0(SALU_CYCLE_1) | instskip(SKIP_4) | instid1(VALU_DEP_4)
	s_or_b32 exec_lo, exec_lo, s22
	v_dual_lshrrev_b32 v14, 16, v1 :: v_dual_lshrrev_b32 v15, 16, v7
	v_or_b32_e32 v1, v1, v6
	v_or_b32_e32 v8, v7, v8
	;; [unrolled: 1-line block ×3, first 2 shown]
	v_cvt_f32_f16_e32 v7, v14
	v_cvt_f32_f16_e32 v6, v15
	v_lshrrev_b32_e32 v14, 16, v16
	v_dual_lshrrev_b32 v15, 16, v0 :: v_dual_bitop2_b32 v16, v16, v9 bitop3:0x54
	v_cvt_f32_f16_e32 v0, v8
	s_wait_loadcnt_dscnt 0x0
	v_pk_mul_f32 v[6:7], v[84:85], v[6:7] op_sel_hi:[0,1]
	v_cvt_f32_f16_e32 v1, v1
	v_cvt_f32_f16_e32 v9, v14
	;; [unrolled: 1-line block ×5, first 2 shown]
	v_pk_mul_f32 v[0:1], v[84:85], v[0:1] op_sel_hi:[0,1]
	v_cvt_pk_f16_f32 v12, v6, v7
	v_pk_mul_f32 v[6:7], v[84:85], v[8:9] op_sel_hi:[0,1]
	s_delay_alu instid0(VALU_DEP_4) | instskip(NEXT) | instid1(VALU_DEP_4)
	v_pk_mul_f32 v[14:15], v[84:85], v[14:15] op_sel_hi:[0,1]
	v_cvt_pk_f16_f32 v0, v0, v1
	s_delay_alu instid0(VALU_DEP_4) | instskip(NEXT) | instid1(VALU_DEP_4)
	v_and_b32_e32 v9, 0xffff0000, v12
	v_cvt_pk_f16_f32 v6, v6, v7
	s_delay_alu instid0(VALU_DEP_4) | instskip(NEXT) | instid1(VALU_DEP_4)
	v_cvt_pk_f16_f32 v7, v14, v15
	v_and_b32_e32 v98, 0xffff, v0
	v_lshrrev_b32_e32 v97, 16, v0
	v_lshlrev_b32_e32 v86, 16, v12
	v_and_b32_e32 v1, 0xffff0000, v6
	v_dual_lshlrev_b32 v0, 16, v6 :: v_dual_lshrrev_b32 v87, 16, v7
	v_and_b32_e32 v96, 0xffff, v7
	v_or_b32_e32 v85, v9, v97
	v_or_b32_e32 v84, v86, v98
	s_delay_alu instid0(VALU_DEP_4) | instskip(NEXT) | instid1(VALU_DEP_4)
	v_or_b32_e32 v19, v1, v87
	v_or_b32_e32 v26, v0, v96
	s_and_saveexec_b32 s8, s0
	s_cbranch_execz .LBB287_3216
; %bb.3215:                             ;   in Loop: Header=BB287_2093 Depth=1
	v_dual_cndmask_b32 v6, 0, v97, vcc_lo :: v_dual_cndmask_b32 v7, 0, v98, s1
	v_dual_cndmask_b32 v8, 0, v9, s2 :: v_dual_cndmask_b32 v9, 0, v86, s3
	v_dual_cndmask_b32 v12, 0, v87, s4 :: v_dual_cndmask_b32 v14, 0, v96, s5
	v_dual_cndmask_b32 v1, 0, v1, s6 :: v_dual_cndmask_b32 v0, 0, v0, s7
	s_delay_alu instid0(VALU_DEP_3) | instskip(NEXT) | instid1(VALU_DEP_4)
	v_or_b32_e32 v85, v6, v8
	v_or_b32_e32 v84, v7, v9
	s_delay_alu instid0(VALU_DEP_3) | instskip(NEXT) | instid1(VALU_DEP_4)
	v_or_b32_e32 v19, v12, v1
	v_or_b32_e32 v26, v14, v0
.LBB287_3216:                           ;   in Loop: Header=BB287_2093 Depth=1
	s_or_b32 exec_lo, exec_lo, s8
	;;#ASMSTART
	v_pk_mul_f16 v0, v119, v85;

	;;#ASMEND
	;;#ASMSTART
	v_pk_mul_f16 v1, v117, v84;

	;;#ASMEND
	;; [unrolled: 4-line block ×4, first 2 shown]
	;;#ASMSTART
	v_pk_add_f16 v0, v0, v1;

	;;#ASMEND
	;;#ASMSTART
	v_pk_add_f16 v0, v0, v6;

	;;#ASMEND
	;; [unrolled: 4-line block ×3, first 2 shown]
	v_and_b32_e32 v1, 0xffff, v0
	v_lshrrev_b32_e32 v0, 16, v0
	;;#ASMSTART
	v_cvt_f32_f16 v95, v1;
	;;#ASMEND
	v_mov_b32_e32 v1, 0
	;;#ASMSTART
	v_cvt_f32_f16 v104, v0;
	;;#ASMEND
	flat_load_b64 v[86:87], v[82:83] offset:4352
	flat_load_b32 v84, v[22:23]
	v_mov_b32_e32 v6, 0
	s_mov_b32 s22, exec_lo
	s_wait_loadcnt_dscnt 0x101
	v_and_b32_e32 v0, 0xff, v86
	s_wait_xcnt 0x0
	s_delay_alu instid0(VALU_DEP_1)
	v_cmpx_ne_u16_e32 0, v0
	s_cbranch_execz .LBB287_3224
; %bb.3217:                             ;   in Loop: Header=BB287_2093 Depth=1
	v_mov_b32_e32 v6, 0x8000
	s_mov_b32 s23, exec_lo
	v_cmpx_ne_u16_e32 0x80, v0
	s_cbranch_execz .LBB287_3223
; %bb.3218:                             ;   in Loop: Header=BB287_2093 Depth=1
	v_and_b32_e32 v7, 0x7f, v86
	v_mov_b32_e32 v6, 0x7c01
	s_mov_b32 s24, exec_lo
	s_delay_alu instid0(VALU_DEP_2)
	v_cmpx_ne_u32_e32 0x7f, v7
	s_cbranch_execz .LBB287_3222
; %bb.3219:                             ;   in Loop: Header=BB287_2093 Depth=1
	v_dual_lshrrev_b32 v6, 3, v7 :: v_dual_bitop2_b32 v0, 7, v86 bitop3:0x40
	s_mov_b32 s25, exec_lo
	v_cmpx_gt_u32_e32 8, v7
; %bb.3220:                             ;   in Loop: Header=BB287_2093 Depth=1
	s_delay_alu instid0(VALU_DEP_2) | instskip(NEXT) | instid1(VALU_DEP_1)
	v_clz_i32_u32_e32 v0, v0
	v_min_u32_e32 v0, 32, v0
	s_delay_alu instid0(VALU_DEP_1) | instskip(NEXT) | instid1(VALU_DEP_1)
	v_subrev_nc_u32_e32 v6, 28, v0
	v_lshlrev_b64_e32 v[8:9], v6, v[86:87]
	v_sub_nc_u32_e32 v6, 29, v0
	s_delay_alu instid0(VALU_DEP_2)
	v_and_b32_e32 v0, 7, v8
; %bb.3221:                             ;   in Loop: Header=BB287_2093 Depth=1
	s_or_b32 exec_lo, exec_lo, s25
	s_delay_alu instid0(VALU_DEP_1) | instskip(NEXT) | instid1(VALU_DEP_3)
	v_dual_lshlrev_b32 v7, 8, v86 :: v_dual_lshlrev_b32 v0, 7, v0
	v_lshl_add_u32 v6, v6, 10, 0x2000
	s_delay_alu instid0(VALU_DEP_2) | instskip(NEXT) | instid1(VALU_DEP_2)
	v_and_b32_e32 v7, 0x8000, v7
	v_and_b32_e32 v6, 0xfc00, v6
	s_delay_alu instid0(VALU_DEP_1)
	v_or3_b32 v6, v7, v6, v0
.LBB287_3222:                           ;   in Loop: Header=BB287_2093 Depth=1
	s_or_b32 exec_lo, exec_lo, s24
.LBB287_3223:                           ;   in Loop: Header=BB287_2093 Depth=1
	s_delay_alu instid0(SALU_CYCLE_1)
	s_or_b32 exec_lo, exec_lo, s23
.LBB287_3224:                           ;   in Loop: Header=BB287_2093 Depth=1
	s_delay_alu instid0(SALU_CYCLE_1) | instskip(SKIP_2) | instid1(VALU_DEP_1)
	s_or_b32 exec_lo, exec_lo, s22
	v_lshrrev_b16 v26, 8, v86
	s_mov_b32 s22, exec_lo
	v_cmpx_ne_u16_e32 0, v26
	s_cbranch_execz .LBB287_3232
; %bb.3225:                             ;   in Loop: Header=BB287_2093 Depth=1
	v_bfrev_b32_e32 v1, 1
	s_mov_b32 s23, exec_lo
	v_cmpx_ne_u16_e32 0x80, v26
	s_cbranch_execz .LBB287_3231
; %bb.3226:                             ;   in Loop: Header=BB287_2093 Depth=1
	v_and_b32_e32 v0, 0xffff, v26
	v_mov_b32_e32 v1, 0x7c010000
	s_mov_b32 s24, exec_lo
	s_delay_alu instid0(VALU_DEP_2) | instskip(NEXT) | instid1(VALU_DEP_1)
	v_and_b32_e32 v8, 0x7f, v0
	v_cmpx_ne_u32_e32 0x7f, v8
	s_cbranch_execz .LBB287_3230
; %bb.3227:                             ;   in Loop: Header=BB287_2093 Depth=1
	v_and_b32_e32 v1, 7, v0
	v_lshrrev_b32_e32 v7, 3, v8
	s_mov_b32 s25, exec_lo
	v_cmpx_gt_u32_e32 8, v8
; %bb.3228:                             ;   in Loop: Header=BB287_2093 Depth=1
	s_delay_alu instid0(VALU_DEP_3) | instskip(NEXT) | instid1(VALU_DEP_1)
	v_clz_i32_u32_e32 v1, v1
	v_min_u32_e32 v1, 32, v1
	s_delay_alu instid0(VALU_DEP_1) | instskip(NEXT) | instid1(VALU_DEP_1)
	v_subrev_nc_u32_e32 v7, 28, v1
	v_lshlrev_b64_e32 v[8:9], v7, v[26:27]
	s_delay_alu instid0(VALU_DEP_1)
	v_dual_sub_nc_u32 v7, 29, v1 :: v_dual_bitop2_b32 v1, 7, v8 bitop3:0x40
; %bb.3229:                             ;   in Loop: Header=BB287_2093 Depth=1
	s_or_b32 exec_lo, exec_lo, s25
	s_delay_alu instid0(VALU_DEP_1) | instskip(NEXT) | instid1(VALU_DEP_2)
	v_dual_lshlrev_b32 v0, 8, v0 :: v_dual_lshlrev_b32 v1, 23, v1
	v_lshl_add_u32 v7, v7, 10, 0x2000
	s_delay_alu instid0(VALU_DEP_1) | instskip(NEXT) | instid1(VALU_DEP_1)
	v_and_or_b32 v0, 0x8000, v0, v7
	v_lshl_or_b32 v1, v0, 16, v1
.LBB287_3230:                           ;   in Loop: Header=BB287_2093 Depth=1
	s_or_b32 exec_lo, exec_lo, s24
.LBB287_3231:                           ;   in Loop: Header=BB287_2093 Depth=1
	s_delay_alu instid0(SALU_CYCLE_1)
	s_or_b32 exec_lo, exec_lo, s23
.LBB287_3232:                           ;   in Loop: Header=BB287_2093 Depth=1
	s_delay_alu instid0(SALU_CYCLE_1) | instskip(SKIP_3) | instid1(VALU_DEP_2)
	s_or_b32 exec_lo, exec_lo, s22
	v_dual_mov_b32 v7, 0 :: v_dual_lshrrev_b32 v0, 16, v86
	v_mov_b32_e32 v8, 0
	s_mov_b32 s22, exec_lo
	v_and_b32_e32 v9, 0xff, v0
	s_delay_alu instid0(VALU_DEP_1)
	v_cmpx_ne_u16_e32 0, v9
	s_cbranch_execz .LBB287_3240
; %bb.3233:                             ;   in Loop: Header=BB287_2093 Depth=1
	v_mov_b32_e32 v8, 0x8000
	s_mov_b32 s23, exec_lo
	v_cmpx_ne_u16_e32 0x80, v9
	s_cbranch_execz .LBB287_3239
; %bb.3234:                             ;   in Loop: Header=BB287_2093 Depth=1
	v_bfe_u32 v12, v86, 16, 7
	v_mov_b32_e32 v8, 0x7c01
	s_mov_b32 s24, exec_lo
	s_delay_alu instid0(VALU_DEP_2)
	v_cmpx_ne_u32_e32 0x7f, v12
	s_cbranch_execz .LBB287_3238
; %bb.3235:                             ;   in Loop: Header=BB287_2093 Depth=1
	v_and_b32_e32 v8, 7, v0
	v_lshrrev_b32_e32 v9, 3, v12
	s_mov_b32 s25, exec_lo
	v_cmpx_gt_u32_e32 8, v12
; %bb.3236:                             ;   in Loop: Header=BB287_2093 Depth=1
	s_delay_alu instid0(VALU_DEP_3) | instskip(NEXT) | instid1(VALU_DEP_1)
	v_clz_i32_u32_e32 v8, v8
	v_min_u32_e32 v12, 32, v8
	s_delay_alu instid0(VALU_DEP_1) | instskip(NEXT) | instid1(VALU_DEP_1)
	v_subrev_nc_u32_e32 v8, 28, v12
	v_lshlrev_b64_e32 v[8:9], v8, v[0:1]
	v_sub_nc_u32_e32 v9, 29, v12
	s_delay_alu instid0(VALU_DEP_2)
	v_and_b32_e32 v8, 7, v8
; %bb.3237:                             ;   in Loop: Header=BB287_2093 Depth=1
	s_or_b32 exec_lo, exec_lo, s25
	v_lshlrev_b32_e32 v0, 8, v0
	s_delay_alu instid0(VALU_DEP_3) | instskip(NEXT) | instid1(VALU_DEP_3)
	v_lshl_add_u32 v9, v9, 10, 0x2000
	v_lshlrev_b32_e32 v8, 7, v8
	s_delay_alu instid0(VALU_DEP_3) | instskip(NEXT) | instid1(VALU_DEP_3)
	v_and_b32_e32 v0, 0x8000, v0
	v_and_b32_e32 v9, 0xfc00, v9
	s_delay_alu instid0(VALU_DEP_1)
	v_or3_b32 v8, v0, v9, v8
.LBB287_3238:                           ;   in Loop: Header=BB287_2093 Depth=1
	s_or_b32 exec_lo, exec_lo, s24
.LBB287_3239:                           ;   in Loop: Header=BB287_2093 Depth=1
	s_delay_alu instid0(SALU_CYCLE_1)
	s_or_b32 exec_lo, exec_lo, s23
.LBB287_3240:                           ;   in Loop: Header=BB287_2093 Depth=1
	s_delay_alu instid0(SALU_CYCLE_1) | instskip(NEXT) | instid1(SALU_CYCLE_1)
	s_or_b32 exec_lo, exec_lo, s22
	s_mov_b32 s22, exec_lo
	v_cmpx_lt_u32_e32 0xffffff, v86
	s_cbranch_execz .LBB287_3248
; %bb.3241:                             ;   in Loop: Header=BB287_2093 Depth=1
	v_lshrrev_b32_e32 v26, 24, v86
	v_bfrev_b32_e32 v7, 1
	s_mov_b32 s23, exec_lo
	s_delay_alu instid0(VALU_DEP_2)
	v_cmpx_ne_u32_e32 0x80, v26
	s_cbranch_execz .LBB287_3247
; %bb.3242:                             ;   in Loop: Header=BB287_2093 Depth=1
	v_and_b32_e32 v9, 0x7f, v26
	v_mov_b32_e32 v7, 0x7c010000
	s_mov_b32 s24, exec_lo
	s_delay_alu instid0(VALU_DEP_2)
	v_cmpx_ne_u32_e32 0x7f, v9
	s_cbranch_execz .LBB287_3246
; %bb.3243:                             ;   in Loop: Header=BB287_2093 Depth=1
	v_dual_lshrrev_b32 v7, 3, v9 :: v_dual_bitop2_b32 v0, 7, v26 bitop3:0x40
	s_mov_b32 s25, exec_lo
	v_cmpx_gt_u32_e32 8, v9
; %bb.3244:                             ;   in Loop: Header=BB287_2093 Depth=1
	s_delay_alu instid0(VALU_DEP_2) | instskip(NEXT) | instid1(VALU_DEP_1)
	v_clz_i32_u32_e32 v0, v0
	v_min_u32_e32 v0, 32, v0
	s_delay_alu instid0(VALU_DEP_1) | instskip(NEXT) | instid1(VALU_DEP_1)
	v_subrev_nc_u32_e32 v7, 28, v0
	v_lshlrev_b64_e32 v[14:15], v7, v[26:27]
	s_delay_alu instid0(VALU_DEP_1)
	v_dual_sub_nc_u32 v7, 29, v0 :: v_dual_bitop2_b32 v0, 7, v14 bitop3:0x40
; %bb.3245:                             ;   in Loop: Header=BB287_2093 Depth=1
	s_or_b32 exec_lo, exec_lo, s25
	s_delay_alu instid0(VALU_DEP_1) | instskip(NEXT) | instid1(VALU_DEP_2)
	v_dual_lshlrev_b32 v9, 8, v26 :: v_dual_lshlrev_b32 v0, 23, v0
	v_lshl_add_u32 v7, v7, 10, 0x2000
	s_delay_alu instid0(VALU_DEP_1) | instskip(NEXT) | instid1(VALU_DEP_1)
	v_and_or_b32 v7, 0x8000, v9, v7
	v_lshl_or_b32 v7, v7, 16, v0
.LBB287_3246:                           ;   in Loop: Header=BB287_2093 Depth=1
	s_or_b32 exec_lo, exec_lo, s24
.LBB287_3247:                           ;   in Loop: Header=BB287_2093 Depth=1
	s_delay_alu instid0(SALU_CYCLE_1)
	s_or_b32 exec_lo, exec_lo, s23
.LBB287_3248:                           ;   in Loop: Header=BB287_2093 Depth=1
	s_delay_alu instid0(SALU_CYCLE_1) | instskip(SKIP_4) | instid1(VALU_DEP_3)
	s_or_b32 exec_lo, exec_lo, s22
	v_and_b32_e32 v0, 0xff, v87
	v_dual_mov_b32 v26, v87 :: v_dual_mov_b32 v12, 0
	v_mov_b32_e32 v9, 0
	s_mov_b32 s22, exec_lo
	v_cmpx_ne_u16_e32 0, v0
	s_cbranch_execz .LBB287_3256
; %bb.3249:                             ;   in Loop: Header=BB287_2093 Depth=1
	v_mov_b32_e32 v9, 0x8000
	s_mov_b32 s23, exec_lo
	v_cmpx_ne_u16_e32 0x80, v0
	s_cbranch_execz .LBB287_3255
; %bb.3250:                             ;   in Loop: Header=BB287_2093 Depth=1
	v_and_b32_e32 v16, 0x7f, v87
	v_mov_b32_e32 v9, 0x7c01
	s_mov_b32 s24, exec_lo
	s_delay_alu instid0(VALU_DEP_2)
	v_cmpx_ne_u32_e32 0x7f, v16
	s_cbranch_execz .LBB287_3254
; %bb.3251:                             ;   in Loop: Header=BB287_2093 Depth=1
	v_dual_lshrrev_b32 v9, 3, v16 :: v_dual_bitop2_b32 v0, 7, v87 bitop3:0x40
	s_mov_b32 s25, exec_lo
	v_cmpx_gt_u32_e32 8, v16
; %bb.3252:                             ;   in Loop: Header=BB287_2093 Depth=1
	s_delay_alu instid0(VALU_DEP_2) | instskip(NEXT) | instid1(VALU_DEP_1)
	v_clz_i32_u32_e32 v0, v0
	v_min_u32_e32 v0, 32, v0
	s_delay_alu instid0(VALU_DEP_1) | instskip(NEXT) | instid1(VALU_DEP_1)
	v_subrev_nc_u32_e32 v9, 28, v0
	v_lshlrev_b64_e32 v[14:15], v9, v[26:27]
	s_delay_alu instid0(VALU_DEP_1)
	v_dual_sub_nc_u32 v9, 29, v0 :: v_dual_bitop2_b32 v0, 7, v14 bitop3:0x40
; %bb.3253:                             ;   in Loop: Header=BB287_2093 Depth=1
	s_or_b32 exec_lo, exec_lo, s25
	s_delay_alu instid0(VALU_DEP_1) | instskip(NEXT) | instid1(VALU_DEP_2)
	v_dual_lshlrev_b32 v14, 8, v87 :: v_dual_lshlrev_b32 v0, 7, v0
	v_lshl_add_u32 v9, v9, 10, 0x2000
	s_delay_alu instid0(VALU_DEP_2) | instskip(NEXT) | instid1(VALU_DEP_2)
	v_and_b32_e32 v14, 0x8000, v14
	v_and_b32_e32 v9, 0xfc00, v9
	s_delay_alu instid0(VALU_DEP_1)
	v_or3_b32 v9, v14, v9, v0
.LBB287_3254:                           ;   in Loop: Header=BB287_2093 Depth=1
	s_or_b32 exec_lo, exec_lo, s24
.LBB287_3255:                           ;   in Loop: Header=BB287_2093 Depth=1
	s_delay_alu instid0(SALU_CYCLE_1)
	s_or_b32 exec_lo, exec_lo, s23
.LBB287_3256:                           ;   in Loop: Header=BB287_2093 Depth=1
	s_delay_alu instid0(SALU_CYCLE_1) | instskip(SKIP_3) | instid1(VALU_DEP_2)
	s_or_b32 exec_lo, exec_lo, s22
	v_lshrrev_b16 v26, 8, v26
	v_mov_b32_e32 v16, 0
	s_mov_b32 s22, exec_lo
	v_cmpx_ne_u16_e32 0, v26
	s_cbranch_execz .LBB287_3264
; %bb.3257:                             ;   in Loop: Header=BB287_2093 Depth=1
	v_bfrev_b32_e32 v16, 1
	s_mov_b32 s23, exec_lo
	v_cmpx_ne_u16_e32 0x80, v26
	s_cbranch_execz .LBB287_3263
; %bb.3258:                             ;   in Loop: Header=BB287_2093 Depth=1
	v_and_b32_e32 v0, 0xffff, v26
	v_mov_b32_e32 v16, 0x7c010000
	s_mov_b32 s24, exec_lo
	s_delay_alu instid0(VALU_DEP_2) | instskip(NEXT) | instid1(VALU_DEP_1)
	v_and_b32_e32 v18, 0x7f, v0
	v_cmpx_ne_u32_e32 0x7f, v18
	s_cbranch_execz .LBB287_3262
; %bb.3259:                             ;   in Loop: Header=BB287_2093 Depth=1
	v_dual_lshrrev_b32 v17, 3, v18 :: v_dual_bitop2_b32 v16, 7, v0 bitop3:0x40
	s_mov_b32 s25, exec_lo
	v_cmpx_gt_u32_e32 8, v18
; %bb.3260:                             ;   in Loop: Header=BB287_2093 Depth=1
	s_delay_alu instid0(VALU_DEP_2) | instskip(NEXT) | instid1(VALU_DEP_1)
	v_clz_i32_u32_e32 v14, v16
	v_min_u32_e32 v16, 32, v14
	s_delay_alu instid0(VALU_DEP_1) | instskip(NEXT) | instid1(VALU_DEP_1)
	v_subrev_nc_u32_e32 v14, 28, v16
	v_lshlrev_b64_e32 v[14:15], v14, v[26:27]
	s_delay_alu instid0(VALU_DEP_1)
	v_dual_sub_nc_u32 v17, 29, v16 :: v_dual_bitop2_b32 v16, 7, v14 bitop3:0x40
; %bb.3261:                             ;   in Loop: Header=BB287_2093 Depth=1
	s_or_b32 exec_lo, exec_lo, s25
	v_lshlrev_b32_e32 v0, 8, v0
	s_delay_alu instid0(VALU_DEP_2) | instskip(NEXT) | instid1(VALU_DEP_1)
	v_lshl_add_u32 v14, v17, 10, 0x2000
	v_and_or_b32 v0, 0x8000, v0, v14
	v_lshlrev_b32_e32 v14, 23, v16
	s_delay_alu instid0(VALU_DEP_1)
	v_lshl_or_b32 v16, v0, 16, v14
.LBB287_3262:                           ;   in Loop: Header=BB287_2093 Depth=1
	s_or_b32 exec_lo, exec_lo, s24
.LBB287_3263:                           ;   in Loop: Header=BB287_2093 Depth=1
	s_delay_alu instid0(SALU_CYCLE_1)
	s_or_b32 exec_lo, exec_lo, s23
.LBB287_3264:                           ;   in Loop: Header=BB287_2093 Depth=1
	s_delay_alu instid0(SALU_CYCLE_1) | instskip(SKIP_2) | instid1(VALU_DEP_1)
	s_or_b32 exec_lo, exec_lo, s22
	v_lshrrev_b32_e32 v0, 16, v87
	s_mov_b32 s22, exec_lo
	v_and_b32_e32 v17, 0xff, v0
	s_delay_alu instid0(VALU_DEP_1)
	v_cmpx_ne_u16_e32 0, v17
	s_cbranch_execz .LBB287_3272
; %bb.3265:                             ;   in Loop: Header=BB287_2093 Depth=1
	v_mov_b32_e32 v12, 0x8000
	s_mov_b32 s23, exec_lo
	v_cmpx_ne_u16_e32 0x80, v17
	s_cbranch_execz .LBB287_3271
; %bb.3266:                             ;   in Loop: Header=BB287_2093 Depth=1
	v_bfe_u32 v18, v87, 16, 7
	v_mov_b32_e32 v12, 0x7c01
	s_mov_b32 s24, exec_lo
	s_delay_alu instid0(VALU_DEP_2)
	v_cmpx_ne_u32_e32 0x7f, v18
	s_cbranch_execz .LBB287_3270
; %bb.3267:                             ;   in Loop: Header=BB287_2093 Depth=1
	v_dual_lshrrev_b32 v17, 3, v18 :: v_dual_bitop2_b32 v12, 7, v0 bitop3:0x40
	s_mov_b32 s25, exec_lo
	v_cmpx_gt_u32_e32 8, v18
; %bb.3268:                             ;   in Loop: Header=BB287_2093 Depth=1
	s_delay_alu instid0(VALU_DEP_2) | instskip(NEXT) | instid1(VALU_DEP_1)
	v_clz_i32_u32_e32 v12, v12
	v_min_u32_e32 v12, 32, v12
	s_delay_alu instid0(VALU_DEP_1) | instskip(NEXT) | instid1(VALU_DEP_1)
	v_subrev_nc_u32_e32 v14, 28, v12
	v_lshlrev_b64_e32 v[14:15], v14, v[0:1]
	s_delay_alu instid0(VALU_DEP_1)
	v_dual_sub_nc_u32 v17, 29, v12 :: v_dual_bitop2_b32 v12, 7, v14 bitop3:0x40
; %bb.3269:                             ;   in Loop: Header=BB287_2093 Depth=1
	s_or_b32 exec_lo, exec_lo, s25
	v_lshlrev_b32_e32 v0, 8, v0
	s_delay_alu instid0(VALU_DEP_2) | instskip(NEXT) | instid1(VALU_DEP_3)
	v_lshl_add_u32 v14, v17, 10, 0x2000
	v_lshlrev_b32_e32 v12, 7, v12
	s_delay_alu instid0(VALU_DEP_3) | instskip(NEXT) | instid1(VALU_DEP_3)
	v_and_b32_e32 v0, 0x8000, v0
	v_and_b32_e32 v14, 0xfc00, v14
	s_delay_alu instid0(VALU_DEP_1)
	v_or3_b32 v12, v0, v14, v12
.LBB287_3270:                           ;   in Loop: Header=BB287_2093 Depth=1
	s_or_b32 exec_lo, exec_lo, s24
.LBB287_3271:                           ;   in Loop: Header=BB287_2093 Depth=1
	s_delay_alu instid0(SALU_CYCLE_1)
	s_or_b32 exec_lo, exec_lo, s23
.LBB287_3272:                           ;   in Loop: Header=BB287_2093 Depth=1
	s_delay_alu instid0(SALU_CYCLE_1)
	s_or_b32 exec_lo, exec_lo, s22
	v_mov_b32_e32 v0, 0
	s_mov_b32 s22, exec_lo
	v_cmpx_lt_u64_e64 s[14:15], v[86:87]
	s_cbranch_execz .LBB287_3280
; %bb.3273:                             ;   in Loop: Header=BB287_2093 Depth=1
	v_lshrrev_b32_e32 v26, 24, v87
	v_bfrev_b32_e32 v0, 1
	s_mov_b32 s23, exec_lo
	s_delay_alu instid0(VALU_DEP_2)
	v_cmpx_ne_u32_e32 0x80, v26
	s_cbranch_execz .LBB287_3279
; %bb.3274:                             ;   in Loop: Header=BB287_2093 Depth=1
	v_and_b32_e32 v18, 0x7f, v26
	v_mov_b32_e32 v0, 0x7c010000
	s_mov_b32 s24, exec_lo
	s_delay_alu instid0(VALU_DEP_2)
	v_cmpx_ne_u32_e32 0x7f, v18
	s_cbranch_execz .LBB287_3278
; %bb.3275:                             ;   in Loop: Header=BB287_2093 Depth=1
	v_and_b32_e32 v0, 7, v26
	v_lshrrev_b32_e32 v17, 3, v18
	s_mov_b32 s25, exec_lo
	v_cmpx_gt_u32_e32 8, v18
; %bb.3276:                             ;   in Loop: Header=BB287_2093 Depth=1
	s_delay_alu instid0(VALU_DEP_3) | instskip(NEXT) | instid1(VALU_DEP_1)
	v_clz_i32_u32_e32 v0, v0
	v_min_u32_e32 v0, 32, v0
	s_delay_alu instid0(VALU_DEP_1) | instskip(NEXT) | instid1(VALU_DEP_1)
	v_subrev_nc_u32_e32 v14, 28, v0
	v_lshlrev_b64_e32 v[14:15], v14, v[26:27]
	s_delay_alu instid0(VALU_DEP_1)
	v_dual_sub_nc_u32 v17, 29, v0 :: v_dual_bitop2_b32 v0, 7, v14 bitop3:0x40
; %bb.3277:                             ;   in Loop: Header=BB287_2093 Depth=1
	s_or_b32 exec_lo, exec_lo, s25
	s_delay_alu instid0(VALU_DEP_1) | instskip(NEXT) | instid1(VALU_DEP_2)
	v_dual_lshlrev_b32 v14, 8, v26 :: v_dual_lshlrev_b32 v0, 23, v0
	v_lshl_add_u32 v15, v17, 10, 0x2000
	s_delay_alu instid0(VALU_DEP_1) | instskip(NEXT) | instid1(VALU_DEP_1)
	v_and_or_b32 v14, 0x8000, v14, v15
	v_lshl_or_b32 v0, v14, 16, v0
.LBB287_3278:                           ;   in Loop: Header=BB287_2093 Depth=1
	s_or_b32 exec_lo, exec_lo, s24
.LBB287_3279:                           ;   in Loop: Header=BB287_2093 Depth=1
	s_delay_alu instid0(SALU_CYCLE_1)
	s_or_b32 exec_lo, exec_lo, s23
.LBB287_3280:                           ;   in Loop: Header=BB287_2093 Depth=1
	s_delay_alu instid0(SALU_CYCLE_1) | instskip(SKIP_4) | instid1(VALU_DEP_4)
	s_or_b32 exec_lo, exec_lo, s22
	v_dual_lshrrev_b32 v14, 16, v1 :: v_dual_lshrrev_b32 v15, 16, v7
	v_or_b32_e32 v1, v1, v6
	v_or_b32_e32 v8, v7, v8
	;; [unrolled: 1-line block ×3, first 2 shown]
	v_cvt_f32_f16_e32 v7, v14
	v_cvt_f32_f16_e32 v6, v15
	v_lshrrev_b32_e32 v14, 16, v16
	v_dual_lshrrev_b32 v15, 16, v0 :: v_dual_bitop2_b32 v16, v16, v9 bitop3:0x54
	v_cvt_f32_f16_e32 v0, v8
	s_wait_loadcnt_dscnt 0x0
	v_pk_mul_f32 v[6:7], v[84:85], v[6:7] op_sel_hi:[0,1]
	v_cvt_f32_f16_e32 v1, v1
	v_cvt_f32_f16_e32 v9, v14
	;; [unrolled: 1-line block ×5, first 2 shown]
	v_pk_mul_f32 v[0:1], v[84:85], v[0:1] op_sel_hi:[0,1]
	v_cvt_pk_f16_f32 v12, v6, v7
	v_pk_mul_f32 v[6:7], v[84:85], v[8:9] op_sel_hi:[0,1]
	s_delay_alu instid0(VALU_DEP_4) | instskip(NEXT) | instid1(VALU_DEP_4)
	v_pk_mul_f32 v[14:15], v[84:85], v[14:15] op_sel_hi:[0,1]
	v_cvt_pk_f16_f32 v0, v0, v1
	s_delay_alu instid0(VALU_DEP_4) | instskip(NEXT) | instid1(VALU_DEP_4)
	v_and_b32_e32 v9, 0xffff0000, v12
	v_cvt_pk_f16_f32 v6, v6, v7
	s_delay_alu instid0(VALU_DEP_4) | instskip(NEXT) | instid1(VALU_DEP_4)
	v_cvt_pk_f16_f32 v7, v14, v15
	v_and_b32_e32 v98, 0xffff, v0
	v_lshrrev_b32_e32 v97, 16, v0
	v_lshlrev_b32_e32 v86, 16, v12
	v_and_b32_e32 v1, 0xffff0000, v6
	v_dual_lshlrev_b32 v0, 16, v6 :: v_dual_lshrrev_b32 v87, 16, v7
	v_and_b32_e32 v96, 0xffff, v7
	v_or_b32_e32 v85, v9, v97
	v_or_b32_e32 v84, v86, v98
	s_delay_alu instid0(VALU_DEP_4) | instskip(NEXT) | instid1(VALU_DEP_4)
	v_or_b32_e32 v19, v1, v87
	v_or_b32_e32 v26, v0, v96
	s_and_saveexec_b32 s8, s0
	s_cbranch_execz .LBB287_3282
; %bb.3281:                             ;   in Loop: Header=BB287_2093 Depth=1
	v_dual_cndmask_b32 v6, 0, v97, vcc_lo :: v_dual_cndmask_b32 v7, 0, v98, s1
	v_dual_cndmask_b32 v8, 0, v9, s2 :: v_dual_cndmask_b32 v9, 0, v86, s3
	v_dual_cndmask_b32 v12, 0, v87, s4 :: v_dual_cndmask_b32 v14, 0, v96, s5
	;; [unrolled: 1-line block ×3, first 2 shown]
	s_delay_alu instid0(VALU_DEP_3) | instskip(NEXT) | instid1(VALU_DEP_4)
	v_or_b32_e32 v85, v6, v8
	v_or_b32_e32 v84, v7, v9
	s_delay_alu instid0(VALU_DEP_3) | instskip(NEXT) | instid1(VALU_DEP_4)
	v_or_b32_e32 v19, v12, v1
	v_or_b32_e32 v26, v14, v0
.LBB287_3282:                           ;   in Loop: Header=BB287_2093 Depth=1
	s_or_b32 exec_lo, exec_lo, s8
	;;#ASMSTART
	v_pk_mul_f16 v0, v119, v85;

	;;#ASMEND
	;;#ASMSTART
	v_pk_mul_f16 v1, v117, v84;

	;;#ASMEND
	;; [unrolled: 4-line block ×4, first 2 shown]
	;;#ASMSTART
	v_pk_add_f16 v0, v0, v1;

	;;#ASMEND
	;;#ASMSTART
	v_pk_add_f16 v0, v0, v6;

	;;#ASMEND
	;; [unrolled: 4-line block ×3, first 2 shown]
	v_and_b32_e32 v1, 0xffff, v0
	v_lshrrev_b32_e32 v0, 16, v0
	;;#ASMSTART
	v_cvt_f32_f16 v105, v1;
	;;#ASMEND
	v_mov_b32_e32 v1, 0
	;;#ASMSTART
	v_cvt_f32_f16 v106, v0;
	;;#ASMEND
	flat_load_b64 v[86:87], v[82:83] offset:4608
	flat_load_b32 v84, v[22:23]
	v_mov_b32_e32 v6, 0
	s_mov_b32 s22, exec_lo
	s_wait_loadcnt_dscnt 0x101
	v_and_b32_e32 v0, 0xff, v86
	s_wait_xcnt 0x0
	s_delay_alu instid0(VALU_DEP_1)
	v_cmpx_ne_u16_e32 0, v0
	s_cbranch_execz .LBB287_3290
; %bb.3283:                             ;   in Loop: Header=BB287_2093 Depth=1
	v_mov_b32_e32 v6, 0x8000
	s_mov_b32 s23, exec_lo
	v_cmpx_ne_u16_e32 0x80, v0
	s_cbranch_execz .LBB287_3289
; %bb.3284:                             ;   in Loop: Header=BB287_2093 Depth=1
	v_and_b32_e32 v7, 0x7f, v86
	v_mov_b32_e32 v6, 0x7c01
	s_mov_b32 s24, exec_lo
	s_delay_alu instid0(VALU_DEP_2)
	v_cmpx_ne_u32_e32 0x7f, v7
	s_cbranch_execz .LBB287_3288
; %bb.3285:                             ;   in Loop: Header=BB287_2093 Depth=1
	v_dual_lshrrev_b32 v6, 3, v7 :: v_dual_bitop2_b32 v0, 7, v86 bitop3:0x40
	s_mov_b32 s25, exec_lo
	v_cmpx_gt_u32_e32 8, v7
; %bb.3286:                             ;   in Loop: Header=BB287_2093 Depth=1
	s_delay_alu instid0(VALU_DEP_2) | instskip(NEXT) | instid1(VALU_DEP_1)
	v_clz_i32_u32_e32 v0, v0
	v_min_u32_e32 v0, 32, v0
	s_delay_alu instid0(VALU_DEP_1) | instskip(NEXT) | instid1(VALU_DEP_1)
	v_subrev_nc_u32_e32 v6, 28, v0
	v_lshlrev_b64_e32 v[8:9], v6, v[86:87]
	v_sub_nc_u32_e32 v6, 29, v0
	s_delay_alu instid0(VALU_DEP_2)
	v_and_b32_e32 v0, 7, v8
; %bb.3287:                             ;   in Loop: Header=BB287_2093 Depth=1
	s_or_b32 exec_lo, exec_lo, s25
	s_delay_alu instid0(VALU_DEP_1) | instskip(NEXT) | instid1(VALU_DEP_3)
	v_dual_lshlrev_b32 v7, 8, v86 :: v_dual_lshlrev_b32 v0, 7, v0
	v_lshl_add_u32 v6, v6, 10, 0x2000
	s_delay_alu instid0(VALU_DEP_2) | instskip(NEXT) | instid1(VALU_DEP_2)
	v_and_b32_e32 v7, 0x8000, v7
	v_and_b32_e32 v6, 0xfc00, v6
	s_delay_alu instid0(VALU_DEP_1)
	v_or3_b32 v6, v7, v6, v0
.LBB287_3288:                           ;   in Loop: Header=BB287_2093 Depth=1
	s_or_b32 exec_lo, exec_lo, s24
.LBB287_3289:                           ;   in Loop: Header=BB287_2093 Depth=1
	s_delay_alu instid0(SALU_CYCLE_1)
	s_or_b32 exec_lo, exec_lo, s23
.LBB287_3290:                           ;   in Loop: Header=BB287_2093 Depth=1
	s_delay_alu instid0(SALU_CYCLE_1) | instskip(SKIP_2) | instid1(VALU_DEP_1)
	s_or_b32 exec_lo, exec_lo, s22
	v_lshrrev_b16 v26, 8, v86
	s_mov_b32 s22, exec_lo
	v_cmpx_ne_u16_e32 0, v26
	s_cbranch_execz .LBB287_3298
; %bb.3291:                             ;   in Loop: Header=BB287_2093 Depth=1
	v_bfrev_b32_e32 v1, 1
	s_mov_b32 s23, exec_lo
	v_cmpx_ne_u16_e32 0x80, v26
	s_cbranch_execz .LBB287_3297
; %bb.3292:                             ;   in Loop: Header=BB287_2093 Depth=1
	v_and_b32_e32 v0, 0xffff, v26
	v_mov_b32_e32 v1, 0x7c010000
	s_mov_b32 s24, exec_lo
	s_delay_alu instid0(VALU_DEP_2) | instskip(NEXT) | instid1(VALU_DEP_1)
	v_and_b32_e32 v8, 0x7f, v0
	v_cmpx_ne_u32_e32 0x7f, v8
	s_cbranch_execz .LBB287_3296
; %bb.3293:                             ;   in Loop: Header=BB287_2093 Depth=1
	v_and_b32_e32 v1, 7, v0
	v_lshrrev_b32_e32 v7, 3, v8
	s_mov_b32 s25, exec_lo
	v_cmpx_gt_u32_e32 8, v8
; %bb.3294:                             ;   in Loop: Header=BB287_2093 Depth=1
	s_delay_alu instid0(VALU_DEP_3) | instskip(NEXT) | instid1(VALU_DEP_1)
	v_clz_i32_u32_e32 v1, v1
	v_min_u32_e32 v1, 32, v1
	s_delay_alu instid0(VALU_DEP_1) | instskip(NEXT) | instid1(VALU_DEP_1)
	v_subrev_nc_u32_e32 v7, 28, v1
	v_lshlrev_b64_e32 v[8:9], v7, v[26:27]
	s_delay_alu instid0(VALU_DEP_1)
	v_dual_sub_nc_u32 v7, 29, v1 :: v_dual_bitop2_b32 v1, 7, v8 bitop3:0x40
; %bb.3295:                             ;   in Loop: Header=BB287_2093 Depth=1
	s_or_b32 exec_lo, exec_lo, s25
	s_delay_alu instid0(VALU_DEP_1) | instskip(NEXT) | instid1(VALU_DEP_2)
	v_dual_lshlrev_b32 v0, 8, v0 :: v_dual_lshlrev_b32 v1, 23, v1
	v_lshl_add_u32 v7, v7, 10, 0x2000
	s_delay_alu instid0(VALU_DEP_1) | instskip(NEXT) | instid1(VALU_DEP_1)
	v_and_or_b32 v0, 0x8000, v0, v7
	v_lshl_or_b32 v1, v0, 16, v1
.LBB287_3296:                           ;   in Loop: Header=BB287_2093 Depth=1
	s_or_b32 exec_lo, exec_lo, s24
.LBB287_3297:                           ;   in Loop: Header=BB287_2093 Depth=1
	s_delay_alu instid0(SALU_CYCLE_1)
	s_or_b32 exec_lo, exec_lo, s23
.LBB287_3298:                           ;   in Loop: Header=BB287_2093 Depth=1
	s_delay_alu instid0(SALU_CYCLE_1) | instskip(SKIP_3) | instid1(VALU_DEP_2)
	s_or_b32 exec_lo, exec_lo, s22
	v_dual_mov_b32 v7, 0 :: v_dual_lshrrev_b32 v0, 16, v86
	v_mov_b32_e32 v8, 0
	s_mov_b32 s22, exec_lo
	v_and_b32_e32 v9, 0xff, v0
	s_delay_alu instid0(VALU_DEP_1)
	v_cmpx_ne_u16_e32 0, v9
	s_cbranch_execz .LBB287_3306
; %bb.3299:                             ;   in Loop: Header=BB287_2093 Depth=1
	v_mov_b32_e32 v8, 0x8000
	s_mov_b32 s23, exec_lo
	v_cmpx_ne_u16_e32 0x80, v9
	s_cbranch_execz .LBB287_3305
; %bb.3300:                             ;   in Loop: Header=BB287_2093 Depth=1
	v_bfe_u32 v12, v86, 16, 7
	v_mov_b32_e32 v8, 0x7c01
	s_mov_b32 s24, exec_lo
	s_delay_alu instid0(VALU_DEP_2)
	v_cmpx_ne_u32_e32 0x7f, v12
	s_cbranch_execz .LBB287_3304
; %bb.3301:                             ;   in Loop: Header=BB287_2093 Depth=1
	v_and_b32_e32 v8, 7, v0
	v_lshrrev_b32_e32 v9, 3, v12
	s_mov_b32 s25, exec_lo
	v_cmpx_gt_u32_e32 8, v12
; %bb.3302:                             ;   in Loop: Header=BB287_2093 Depth=1
	s_delay_alu instid0(VALU_DEP_3) | instskip(NEXT) | instid1(VALU_DEP_1)
	v_clz_i32_u32_e32 v8, v8
	v_min_u32_e32 v12, 32, v8
	s_delay_alu instid0(VALU_DEP_1) | instskip(NEXT) | instid1(VALU_DEP_1)
	v_subrev_nc_u32_e32 v8, 28, v12
	v_lshlrev_b64_e32 v[8:9], v8, v[0:1]
	v_sub_nc_u32_e32 v9, 29, v12
	s_delay_alu instid0(VALU_DEP_2)
	v_and_b32_e32 v8, 7, v8
; %bb.3303:                             ;   in Loop: Header=BB287_2093 Depth=1
	s_or_b32 exec_lo, exec_lo, s25
	v_lshlrev_b32_e32 v0, 8, v0
	s_delay_alu instid0(VALU_DEP_3) | instskip(NEXT) | instid1(VALU_DEP_3)
	v_lshl_add_u32 v9, v9, 10, 0x2000
	v_lshlrev_b32_e32 v8, 7, v8
	s_delay_alu instid0(VALU_DEP_3) | instskip(NEXT) | instid1(VALU_DEP_3)
	v_and_b32_e32 v0, 0x8000, v0
	v_and_b32_e32 v9, 0xfc00, v9
	s_delay_alu instid0(VALU_DEP_1)
	v_or3_b32 v8, v0, v9, v8
.LBB287_3304:                           ;   in Loop: Header=BB287_2093 Depth=1
	s_or_b32 exec_lo, exec_lo, s24
.LBB287_3305:                           ;   in Loop: Header=BB287_2093 Depth=1
	s_delay_alu instid0(SALU_CYCLE_1)
	s_or_b32 exec_lo, exec_lo, s23
.LBB287_3306:                           ;   in Loop: Header=BB287_2093 Depth=1
	s_delay_alu instid0(SALU_CYCLE_1) | instskip(NEXT) | instid1(SALU_CYCLE_1)
	s_or_b32 exec_lo, exec_lo, s22
	s_mov_b32 s22, exec_lo
	v_cmpx_lt_u32_e32 0xffffff, v86
	s_cbranch_execz .LBB287_3314
; %bb.3307:                             ;   in Loop: Header=BB287_2093 Depth=1
	v_lshrrev_b32_e32 v26, 24, v86
	v_bfrev_b32_e32 v7, 1
	s_mov_b32 s23, exec_lo
	s_delay_alu instid0(VALU_DEP_2)
	v_cmpx_ne_u32_e32 0x80, v26
	s_cbranch_execz .LBB287_3313
; %bb.3308:                             ;   in Loop: Header=BB287_2093 Depth=1
	v_and_b32_e32 v9, 0x7f, v26
	v_mov_b32_e32 v7, 0x7c010000
	s_mov_b32 s24, exec_lo
	s_delay_alu instid0(VALU_DEP_2)
	v_cmpx_ne_u32_e32 0x7f, v9
	s_cbranch_execz .LBB287_3312
; %bb.3309:                             ;   in Loop: Header=BB287_2093 Depth=1
	v_dual_lshrrev_b32 v7, 3, v9 :: v_dual_bitop2_b32 v0, 7, v26 bitop3:0x40
	s_mov_b32 s25, exec_lo
	v_cmpx_gt_u32_e32 8, v9
; %bb.3310:                             ;   in Loop: Header=BB287_2093 Depth=1
	s_delay_alu instid0(VALU_DEP_2) | instskip(NEXT) | instid1(VALU_DEP_1)
	v_clz_i32_u32_e32 v0, v0
	v_min_u32_e32 v0, 32, v0
	s_delay_alu instid0(VALU_DEP_1) | instskip(NEXT) | instid1(VALU_DEP_1)
	v_subrev_nc_u32_e32 v7, 28, v0
	v_lshlrev_b64_e32 v[14:15], v7, v[26:27]
	s_delay_alu instid0(VALU_DEP_1)
	v_dual_sub_nc_u32 v7, 29, v0 :: v_dual_bitop2_b32 v0, 7, v14 bitop3:0x40
; %bb.3311:                             ;   in Loop: Header=BB287_2093 Depth=1
	s_or_b32 exec_lo, exec_lo, s25
	s_delay_alu instid0(VALU_DEP_1) | instskip(NEXT) | instid1(VALU_DEP_2)
	v_dual_lshlrev_b32 v9, 8, v26 :: v_dual_lshlrev_b32 v0, 23, v0
	v_lshl_add_u32 v7, v7, 10, 0x2000
	s_delay_alu instid0(VALU_DEP_1) | instskip(NEXT) | instid1(VALU_DEP_1)
	v_and_or_b32 v7, 0x8000, v9, v7
	v_lshl_or_b32 v7, v7, 16, v0
.LBB287_3312:                           ;   in Loop: Header=BB287_2093 Depth=1
	s_or_b32 exec_lo, exec_lo, s24
.LBB287_3313:                           ;   in Loop: Header=BB287_2093 Depth=1
	s_delay_alu instid0(SALU_CYCLE_1)
	s_or_b32 exec_lo, exec_lo, s23
.LBB287_3314:                           ;   in Loop: Header=BB287_2093 Depth=1
	s_delay_alu instid0(SALU_CYCLE_1) | instskip(SKIP_4) | instid1(VALU_DEP_3)
	s_or_b32 exec_lo, exec_lo, s22
	v_and_b32_e32 v0, 0xff, v87
	v_dual_mov_b32 v26, v87 :: v_dual_mov_b32 v12, 0
	v_mov_b32_e32 v9, 0
	s_mov_b32 s22, exec_lo
	v_cmpx_ne_u16_e32 0, v0
	s_cbranch_execz .LBB287_3322
; %bb.3315:                             ;   in Loop: Header=BB287_2093 Depth=1
	v_mov_b32_e32 v9, 0x8000
	s_mov_b32 s23, exec_lo
	v_cmpx_ne_u16_e32 0x80, v0
	s_cbranch_execz .LBB287_3321
; %bb.3316:                             ;   in Loop: Header=BB287_2093 Depth=1
	v_and_b32_e32 v16, 0x7f, v87
	v_mov_b32_e32 v9, 0x7c01
	s_mov_b32 s24, exec_lo
	s_delay_alu instid0(VALU_DEP_2)
	v_cmpx_ne_u32_e32 0x7f, v16
	s_cbranch_execz .LBB287_3320
; %bb.3317:                             ;   in Loop: Header=BB287_2093 Depth=1
	v_dual_lshrrev_b32 v9, 3, v16 :: v_dual_bitop2_b32 v0, 7, v87 bitop3:0x40
	s_mov_b32 s25, exec_lo
	v_cmpx_gt_u32_e32 8, v16
; %bb.3318:                             ;   in Loop: Header=BB287_2093 Depth=1
	s_delay_alu instid0(VALU_DEP_2) | instskip(NEXT) | instid1(VALU_DEP_1)
	v_clz_i32_u32_e32 v0, v0
	v_min_u32_e32 v0, 32, v0
	s_delay_alu instid0(VALU_DEP_1) | instskip(NEXT) | instid1(VALU_DEP_1)
	v_subrev_nc_u32_e32 v9, 28, v0
	v_lshlrev_b64_e32 v[14:15], v9, v[26:27]
	s_delay_alu instid0(VALU_DEP_1)
	v_dual_sub_nc_u32 v9, 29, v0 :: v_dual_bitop2_b32 v0, 7, v14 bitop3:0x40
; %bb.3319:                             ;   in Loop: Header=BB287_2093 Depth=1
	s_or_b32 exec_lo, exec_lo, s25
	s_delay_alu instid0(VALU_DEP_1) | instskip(NEXT) | instid1(VALU_DEP_2)
	v_dual_lshlrev_b32 v14, 8, v87 :: v_dual_lshlrev_b32 v0, 7, v0
	v_lshl_add_u32 v9, v9, 10, 0x2000
	s_delay_alu instid0(VALU_DEP_2) | instskip(NEXT) | instid1(VALU_DEP_2)
	v_and_b32_e32 v14, 0x8000, v14
	v_and_b32_e32 v9, 0xfc00, v9
	s_delay_alu instid0(VALU_DEP_1)
	v_or3_b32 v9, v14, v9, v0
.LBB287_3320:                           ;   in Loop: Header=BB287_2093 Depth=1
	s_or_b32 exec_lo, exec_lo, s24
.LBB287_3321:                           ;   in Loop: Header=BB287_2093 Depth=1
	s_delay_alu instid0(SALU_CYCLE_1)
	s_or_b32 exec_lo, exec_lo, s23
.LBB287_3322:                           ;   in Loop: Header=BB287_2093 Depth=1
	s_delay_alu instid0(SALU_CYCLE_1) | instskip(SKIP_3) | instid1(VALU_DEP_2)
	s_or_b32 exec_lo, exec_lo, s22
	v_lshrrev_b16 v26, 8, v26
	v_mov_b32_e32 v16, 0
	s_mov_b32 s22, exec_lo
	v_cmpx_ne_u16_e32 0, v26
	s_cbranch_execz .LBB287_3330
; %bb.3323:                             ;   in Loop: Header=BB287_2093 Depth=1
	v_bfrev_b32_e32 v16, 1
	s_mov_b32 s23, exec_lo
	v_cmpx_ne_u16_e32 0x80, v26
	s_cbranch_execz .LBB287_3329
; %bb.3324:                             ;   in Loop: Header=BB287_2093 Depth=1
	v_and_b32_e32 v0, 0xffff, v26
	v_mov_b32_e32 v16, 0x7c010000
	s_mov_b32 s24, exec_lo
	s_delay_alu instid0(VALU_DEP_2) | instskip(NEXT) | instid1(VALU_DEP_1)
	v_and_b32_e32 v18, 0x7f, v0
	v_cmpx_ne_u32_e32 0x7f, v18
	s_cbranch_execz .LBB287_3328
; %bb.3325:                             ;   in Loop: Header=BB287_2093 Depth=1
	v_dual_lshrrev_b32 v17, 3, v18 :: v_dual_bitop2_b32 v16, 7, v0 bitop3:0x40
	s_mov_b32 s25, exec_lo
	v_cmpx_gt_u32_e32 8, v18
; %bb.3326:                             ;   in Loop: Header=BB287_2093 Depth=1
	s_delay_alu instid0(VALU_DEP_2) | instskip(NEXT) | instid1(VALU_DEP_1)
	v_clz_i32_u32_e32 v14, v16
	v_min_u32_e32 v16, 32, v14
	s_delay_alu instid0(VALU_DEP_1) | instskip(NEXT) | instid1(VALU_DEP_1)
	v_subrev_nc_u32_e32 v14, 28, v16
	v_lshlrev_b64_e32 v[14:15], v14, v[26:27]
	s_delay_alu instid0(VALU_DEP_1)
	v_dual_sub_nc_u32 v17, 29, v16 :: v_dual_bitop2_b32 v16, 7, v14 bitop3:0x40
; %bb.3327:                             ;   in Loop: Header=BB287_2093 Depth=1
	s_or_b32 exec_lo, exec_lo, s25
	v_lshlrev_b32_e32 v0, 8, v0
	s_delay_alu instid0(VALU_DEP_2) | instskip(NEXT) | instid1(VALU_DEP_1)
	v_lshl_add_u32 v14, v17, 10, 0x2000
	v_and_or_b32 v0, 0x8000, v0, v14
	v_lshlrev_b32_e32 v14, 23, v16
	s_delay_alu instid0(VALU_DEP_1)
	v_lshl_or_b32 v16, v0, 16, v14
.LBB287_3328:                           ;   in Loop: Header=BB287_2093 Depth=1
	s_or_b32 exec_lo, exec_lo, s24
.LBB287_3329:                           ;   in Loop: Header=BB287_2093 Depth=1
	s_delay_alu instid0(SALU_CYCLE_1)
	s_or_b32 exec_lo, exec_lo, s23
.LBB287_3330:                           ;   in Loop: Header=BB287_2093 Depth=1
	s_delay_alu instid0(SALU_CYCLE_1) | instskip(SKIP_2) | instid1(VALU_DEP_1)
	s_or_b32 exec_lo, exec_lo, s22
	v_lshrrev_b32_e32 v0, 16, v87
	s_mov_b32 s22, exec_lo
	v_and_b32_e32 v17, 0xff, v0
	s_delay_alu instid0(VALU_DEP_1)
	v_cmpx_ne_u16_e32 0, v17
	s_cbranch_execz .LBB287_3338
; %bb.3331:                             ;   in Loop: Header=BB287_2093 Depth=1
	v_mov_b32_e32 v12, 0x8000
	s_mov_b32 s23, exec_lo
	v_cmpx_ne_u16_e32 0x80, v17
	s_cbranch_execz .LBB287_3337
; %bb.3332:                             ;   in Loop: Header=BB287_2093 Depth=1
	v_bfe_u32 v18, v87, 16, 7
	v_mov_b32_e32 v12, 0x7c01
	s_mov_b32 s24, exec_lo
	s_delay_alu instid0(VALU_DEP_2)
	v_cmpx_ne_u32_e32 0x7f, v18
	s_cbranch_execz .LBB287_3336
; %bb.3333:                             ;   in Loop: Header=BB287_2093 Depth=1
	v_dual_lshrrev_b32 v17, 3, v18 :: v_dual_bitop2_b32 v12, 7, v0 bitop3:0x40
	s_mov_b32 s25, exec_lo
	v_cmpx_gt_u32_e32 8, v18
; %bb.3334:                             ;   in Loop: Header=BB287_2093 Depth=1
	s_delay_alu instid0(VALU_DEP_2) | instskip(NEXT) | instid1(VALU_DEP_1)
	v_clz_i32_u32_e32 v12, v12
	v_min_u32_e32 v12, 32, v12
	s_delay_alu instid0(VALU_DEP_1) | instskip(NEXT) | instid1(VALU_DEP_1)
	v_subrev_nc_u32_e32 v14, 28, v12
	v_lshlrev_b64_e32 v[14:15], v14, v[0:1]
	s_delay_alu instid0(VALU_DEP_1)
	v_dual_sub_nc_u32 v17, 29, v12 :: v_dual_bitop2_b32 v12, 7, v14 bitop3:0x40
; %bb.3335:                             ;   in Loop: Header=BB287_2093 Depth=1
	s_or_b32 exec_lo, exec_lo, s25
	v_lshlrev_b32_e32 v0, 8, v0
	s_delay_alu instid0(VALU_DEP_2) | instskip(NEXT) | instid1(VALU_DEP_3)
	v_lshl_add_u32 v14, v17, 10, 0x2000
	v_lshlrev_b32_e32 v12, 7, v12
	s_delay_alu instid0(VALU_DEP_3) | instskip(NEXT) | instid1(VALU_DEP_3)
	v_and_b32_e32 v0, 0x8000, v0
	v_and_b32_e32 v14, 0xfc00, v14
	s_delay_alu instid0(VALU_DEP_1)
	v_or3_b32 v12, v0, v14, v12
.LBB287_3336:                           ;   in Loop: Header=BB287_2093 Depth=1
	s_or_b32 exec_lo, exec_lo, s24
.LBB287_3337:                           ;   in Loop: Header=BB287_2093 Depth=1
	s_delay_alu instid0(SALU_CYCLE_1)
	s_or_b32 exec_lo, exec_lo, s23
.LBB287_3338:                           ;   in Loop: Header=BB287_2093 Depth=1
	s_delay_alu instid0(SALU_CYCLE_1)
	s_or_b32 exec_lo, exec_lo, s22
	v_mov_b32_e32 v0, 0
	s_mov_b32 s22, exec_lo
	v_cmpx_lt_u64_e64 s[14:15], v[86:87]
	s_cbranch_execz .LBB287_3346
; %bb.3339:                             ;   in Loop: Header=BB287_2093 Depth=1
	v_lshrrev_b32_e32 v26, 24, v87
	v_bfrev_b32_e32 v0, 1
	s_mov_b32 s23, exec_lo
	s_delay_alu instid0(VALU_DEP_2)
	v_cmpx_ne_u32_e32 0x80, v26
	s_cbranch_execz .LBB287_3345
; %bb.3340:                             ;   in Loop: Header=BB287_2093 Depth=1
	v_and_b32_e32 v18, 0x7f, v26
	v_mov_b32_e32 v0, 0x7c010000
	s_mov_b32 s24, exec_lo
	s_delay_alu instid0(VALU_DEP_2)
	v_cmpx_ne_u32_e32 0x7f, v18
	s_cbranch_execz .LBB287_3344
; %bb.3341:                             ;   in Loop: Header=BB287_2093 Depth=1
	v_and_b32_e32 v0, 7, v26
	v_lshrrev_b32_e32 v17, 3, v18
	s_mov_b32 s25, exec_lo
	v_cmpx_gt_u32_e32 8, v18
; %bb.3342:                             ;   in Loop: Header=BB287_2093 Depth=1
	s_delay_alu instid0(VALU_DEP_3) | instskip(NEXT) | instid1(VALU_DEP_1)
	v_clz_i32_u32_e32 v0, v0
	v_min_u32_e32 v0, 32, v0
	s_delay_alu instid0(VALU_DEP_1) | instskip(NEXT) | instid1(VALU_DEP_1)
	v_subrev_nc_u32_e32 v14, 28, v0
	v_lshlrev_b64_e32 v[14:15], v14, v[26:27]
	s_delay_alu instid0(VALU_DEP_1)
	v_dual_sub_nc_u32 v17, 29, v0 :: v_dual_bitop2_b32 v0, 7, v14 bitop3:0x40
; %bb.3343:                             ;   in Loop: Header=BB287_2093 Depth=1
	s_or_b32 exec_lo, exec_lo, s25
	s_delay_alu instid0(VALU_DEP_1) | instskip(NEXT) | instid1(VALU_DEP_2)
	v_dual_lshlrev_b32 v14, 8, v26 :: v_dual_lshlrev_b32 v0, 23, v0
	v_lshl_add_u32 v15, v17, 10, 0x2000
	s_delay_alu instid0(VALU_DEP_1) | instskip(NEXT) | instid1(VALU_DEP_1)
	v_and_or_b32 v14, 0x8000, v14, v15
	v_lshl_or_b32 v0, v14, 16, v0
.LBB287_3344:                           ;   in Loop: Header=BB287_2093 Depth=1
	s_or_b32 exec_lo, exec_lo, s24
.LBB287_3345:                           ;   in Loop: Header=BB287_2093 Depth=1
	s_delay_alu instid0(SALU_CYCLE_1)
	s_or_b32 exec_lo, exec_lo, s23
.LBB287_3346:                           ;   in Loop: Header=BB287_2093 Depth=1
	s_delay_alu instid0(SALU_CYCLE_1) | instskip(SKIP_4) | instid1(VALU_DEP_4)
	s_or_b32 exec_lo, exec_lo, s22
	v_dual_lshrrev_b32 v14, 16, v1 :: v_dual_lshrrev_b32 v15, 16, v7
	v_or_b32_e32 v1, v1, v6
	v_or_b32_e32 v8, v7, v8
	v_or_b32_e32 v12, v0, v12
	v_cvt_f32_f16_e32 v7, v14
	v_cvt_f32_f16_e32 v6, v15
	v_lshrrev_b32_e32 v14, 16, v16
	v_dual_lshrrev_b32 v15, 16, v0 :: v_dual_bitop2_b32 v16, v16, v9 bitop3:0x54
	v_cvt_f32_f16_e32 v0, v8
	s_wait_loadcnt_dscnt 0x0
	v_pk_mul_f32 v[6:7], v[84:85], v[6:7] op_sel_hi:[0,1]
	v_cvt_f32_f16_e32 v1, v1
	v_cvt_f32_f16_e32 v9, v14
	;; [unrolled: 1-line block ×5, first 2 shown]
	v_pk_mul_f32 v[0:1], v[84:85], v[0:1] op_sel_hi:[0,1]
	v_cvt_pk_f16_f32 v12, v6, v7
	v_pk_mul_f32 v[6:7], v[84:85], v[8:9] op_sel_hi:[0,1]
	s_delay_alu instid0(VALU_DEP_4) | instskip(NEXT) | instid1(VALU_DEP_4)
	v_pk_mul_f32 v[14:15], v[84:85], v[14:15] op_sel_hi:[0,1]
	v_cvt_pk_f16_f32 v0, v0, v1
	s_delay_alu instid0(VALU_DEP_4) | instskip(NEXT) | instid1(VALU_DEP_4)
	v_and_b32_e32 v9, 0xffff0000, v12
	v_cvt_pk_f16_f32 v6, v6, v7
	s_delay_alu instid0(VALU_DEP_4) | instskip(NEXT) | instid1(VALU_DEP_4)
	v_cvt_pk_f16_f32 v7, v14, v15
	v_and_b32_e32 v98, 0xffff, v0
	v_lshrrev_b32_e32 v97, 16, v0
	v_lshlrev_b32_e32 v86, 16, v12
	v_and_b32_e32 v1, 0xffff0000, v6
	v_dual_lshlrev_b32 v0, 16, v6 :: v_dual_lshrrev_b32 v87, 16, v7
	v_and_b32_e32 v96, 0xffff, v7
	v_or_b32_e32 v85, v9, v97
	v_or_b32_e32 v84, v86, v98
	s_delay_alu instid0(VALU_DEP_4) | instskip(NEXT) | instid1(VALU_DEP_4)
	v_or_b32_e32 v19, v1, v87
	v_or_b32_e32 v26, v0, v96
	s_and_saveexec_b32 s8, s0
	s_cbranch_execz .LBB287_3348
; %bb.3347:                             ;   in Loop: Header=BB287_2093 Depth=1
	v_dual_cndmask_b32 v6, 0, v97, vcc_lo :: v_dual_cndmask_b32 v7, 0, v98, s1
	v_dual_cndmask_b32 v8, 0, v9, s2 :: v_dual_cndmask_b32 v9, 0, v86, s3
	v_dual_cndmask_b32 v12, 0, v87, s4 :: v_dual_cndmask_b32 v14, 0, v96, s5
	;; [unrolled: 1-line block ×3, first 2 shown]
	s_delay_alu instid0(VALU_DEP_3) | instskip(NEXT) | instid1(VALU_DEP_4)
	v_or_b32_e32 v85, v6, v8
	v_or_b32_e32 v84, v7, v9
	s_delay_alu instid0(VALU_DEP_3) | instskip(NEXT) | instid1(VALU_DEP_4)
	v_or_b32_e32 v19, v12, v1
	v_or_b32_e32 v26, v14, v0
.LBB287_3348:                           ;   in Loop: Header=BB287_2093 Depth=1
	s_or_b32 exec_lo, exec_lo, s8
	;;#ASMSTART
	v_pk_mul_f16 v0, v119, v85;

	;;#ASMEND
	;;#ASMSTART
	v_pk_mul_f16 v1, v117, v84;

	;;#ASMEND
	;; [unrolled: 4-line block ×4, first 2 shown]
	;;#ASMSTART
	v_pk_add_f16 v0, v0, v1;

	;;#ASMEND
	;;#ASMSTART
	v_pk_add_f16 v0, v0, v6;

	;;#ASMEND
	;; [unrolled: 4-line block ×3, first 2 shown]
	v_and_b32_e32 v1, 0xffff, v0
	v_lshrrev_b32_e32 v0, 16, v0
	;;#ASMSTART
	v_cvt_f32_f16 v107, v1;
	;;#ASMEND
	v_mov_b32_e32 v1, 0
	;;#ASMSTART
	v_cvt_f32_f16 v108, v0;
	;;#ASMEND
	flat_load_b64 v[86:87], v[82:83] offset:4864
	flat_load_b32 v84, v[22:23]
	v_mov_b32_e32 v6, 0
	s_mov_b32 s22, exec_lo
	s_wait_loadcnt_dscnt 0x101
	v_and_b32_e32 v0, 0xff, v86
	s_wait_xcnt 0x0
	s_delay_alu instid0(VALU_DEP_1)
	v_cmpx_ne_u16_e32 0, v0
	s_cbranch_execz .LBB287_3356
; %bb.3349:                             ;   in Loop: Header=BB287_2093 Depth=1
	v_mov_b32_e32 v6, 0x8000
	s_mov_b32 s23, exec_lo
	v_cmpx_ne_u16_e32 0x80, v0
	s_cbranch_execz .LBB287_3355
; %bb.3350:                             ;   in Loop: Header=BB287_2093 Depth=1
	v_and_b32_e32 v7, 0x7f, v86
	v_mov_b32_e32 v6, 0x7c01
	s_mov_b32 s24, exec_lo
	s_delay_alu instid0(VALU_DEP_2)
	v_cmpx_ne_u32_e32 0x7f, v7
	s_cbranch_execz .LBB287_3354
; %bb.3351:                             ;   in Loop: Header=BB287_2093 Depth=1
	v_dual_lshrrev_b32 v6, 3, v7 :: v_dual_bitop2_b32 v0, 7, v86 bitop3:0x40
	s_mov_b32 s25, exec_lo
	v_cmpx_gt_u32_e32 8, v7
; %bb.3352:                             ;   in Loop: Header=BB287_2093 Depth=1
	s_delay_alu instid0(VALU_DEP_2) | instskip(NEXT) | instid1(VALU_DEP_1)
	v_clz_i32_u32_e32 v0, v0
	v_min_u32_e32 v0, 32, v0
	s_delay_alu instid0(VALU_DEP_1) | instskip(NEXT) | instid1(VALU_DEP_1)
	v_subrev_nc_u32_e32 v6, 28, v0
	v_lshlrev_b64_e32 v[8:9], v6, v[86:87]
	v_sub_nc_u32_e32 v6, 29, v0
	s_delay_alu instid0(VALU_DEP_2)
	v_and_b32_e32 v0, 7, v8
; %bb.3353:                             ;   in Loop: Header=BB287_2093 Depth=1
	s_or_b32 exec_lo, exec_lo, s25
	s_delay_alu instid0(VALU_DEP_1) | instskip(NEXT) | instid1(VALU_DEP_3)
	v_dual_lshlrev_b32 v7, 8, v86 :: v_dual_lshlrev_b32 v0, 7, v0
	v_lshl_add_u32 v6, v6, 10, 0x2000
	s_delay_alu instid0(VALU_DEP_2) | instskip(NEXT) | instid1(VALU_DEP_2)
	v_and_b32_e32 v7, 0x8000, v7
	v_and_b32_e32 v6, 0xfc00, v6
	s_delay_alu instid0(VALU_DEP_1)
	v_or3_b32 v6, v7, v6, v0
.LBB287_3354:                           ;   in Loop: Header=BB287_2093 Depth=1
	s_or_b32 exec_lo, exec_lo, s24
.LBB287_3355:                           ;   in Loop: Header=BB287_2093 Depth=1
	s_delay_alu instid0(SALU_CYCLE_1)
	s_or_b32 exec_lo, exec_lo, s23
.LBB287_3356:                           ;   in Loop: Header=BB287_2093 Depth=1
	s_delay_alu instid0(SALU_CYCLE_1) | instskip(SKIP_2) | instid1(VALU_DEP_1)
	s_or_b32 exec_lo, exec_lo, s22
	v_lshrrev_b16 v26, 8, v86
	s_mov_b32 s22, exec_lo
	v_cmpx_ne_u16_e32 0, v26
	s_cbranch_execz .LBB287_3364
; %bb.3357:                             ;   in Loop: Header=BB287_2093 Depth=1
	v_bfrev_b32_e32 v1, 1
	s_mov_b32 s23, exec_lo
	v_cmpx_ne_u16_e32 0x80, v26
	s_cbranch_execz .LBB287_3363
; %bb.3358:                             ;   in Loop: Header=BB287_2093 Depth=1
	v_and_b32_e32 v0, 0xffff, v26
	v_mov_b32_e32 v1, 0x7c010000
	s_mov_b32 s24, exec_lo
	s_delay_alu instid0(VALU_DEP_2) | instskip(NEXT) | instid1(VALU_DEP_1)
	v_and_b32_e32 v8, 0x7f, v0
	v_cmpx_ne_u32_e32 0x7f, v8
	s_cbranch_execz .LBB287_3362
; %bb.3359:                             ;   in Loop: Header=BB287_2093 Depth=1
	v_and_b32_e32 v1, 7, v0
	v_lshrrev_b32_e32 v7, 3, v8
	s_mov_b32 s25, exec_lo
	v_cmpx_gt_u32_e32 8, v8
; %bb.3360:                             ;   in Loop: Header=BB287_2093 Depth=1
	s_delay_alu instid0(VALU_DEP_3) | instskip(NEXT) | instid1(VALU_DEP_1)
	v_clz_i32_u32_e32 v1, v1
	v_min_u32_e32 v1, 32, v1
	s_delay_alu instid0(VALU_DEP_1) | instskip(NEXT) | instid1(VALU_DEP_1)
	v_subrev_nc_u32_e32 v7, 28, v1
	v_lshlrev_b64_e32 v[8:9], v7, v[26:27]
	s_delay_alu instid0(VALU_DEP_1)
	v_dual_sub_nc_u32 v7, 29, v1 :: v_dual_bitop2_b32 v1, 7, v8 bitop3:0x40
; %bb.3361:                             ;   in Loop: Header=BB287_2093 Depth=1
	s_or_b32 exec_lo, exec_lo, s25
	s_delay_alu instid0(VALU_DEP_1) | instskip(NEXT) | instid1(VALU_DEP_2)
	v_dual_lshlrev_b32 v0, 8, v0 :: v_dual_lshlrev_b32 v1, 23, v1
	v_lshl_add_u32 v7, v7, 10, 0x2000
	s_delay_alu instid0(VALU_DEP_1) | instskip(NEXT) | instid1(VALU_DEP_1)
	v_and_or_b32 v0, 0x8000, v0, v7
	v_lshl_or_b32 v1, v0, 16, v1
.LBB287_3362:                           ;   in Loop: Header=BB287_2093 Depth=1
	s_or_b32 exec_lo, exec_lo, s24
.LBB287_3363:                           ;   in Loop: Header=BB287_2093 Depth=1
	s_delay_alu instid0(SALU_CYCLE_1)
	s_or_b32 exec_lo, exec_lo, s23
.LBB287_3364:                           ;   in Loop: Header=BB287_2093 Depth=1
	s_delay_alu instid0(SALU_CYCLE_1) | instskip(SKIP_3) | instid1(VALU_DEP_2)
	s_or_b32 exec_lo, exec_lo, s22
	v_dual_mov_b32 v7, 0 :: v_dual_lshrrev_b32 v0, 16, v86
	v_mov_b32_e32 v8, 0
	s_mov_b32 s22, exec_lo
	v_and_b32_e32 v9, 0xff, v0
	s_delay_alu instid0(VALU_DEP_1)
	v_cmpx_ne_u16_e32 0, v9
	s_cbranch_execz .LBB287_3372
; %bb.3365:                             ;   in Loop: Header=BB287_2093 Depth=1
	v_mov_b32_e32 v8, 0x8000
	s_mov_b32 s23, exec_lo
	v_cmpx_ne_u16_e32 0x80, v9
	s_cbranch_execz .LBB287_3371
; %bb.3366:                             ;   in Loop: Header=BB287_2093 Depth=1
	v_bfe_u32 v12, v86, 16, 7
	v_mov_b32_e32 v8, 0x7c01
	s_mov_b32 s24, exec_lo
	s_delay_alu instid0(VALU_DEP_2)
	v_cmpx_ne_u32_e32 0x7f, v12
	s_cbranch_execz .LBB287_3370
; %bb.3367:                             ;   in Loop: Header=BB287_2093 Depth=1
	v_and_b32_e32 v8, 7, v0
	v_lshrrev_b32_e32 v9, 3, v12
	s_mov_b32 s25, exec_lo
	v_cmpx_gt_u32_e32 8, v12
; %bb.3368:                             ;   in Loop: Header=BB287_2093 Depth=1
	s_delay_alu instid0(VALU_DEP_3) | instskip(NEXT) | instid1(VALU_DEP_1)
	v_clz_i32_u32_e32 v8, v8
	v_min_u32_e32 v12, 32, v8
	s_delay_alu instid0(VALU_DEP_1) | instskip(NEXT) | instid1(VALU_DEP_1)
	v_subrev_nc_u32_e32 v8, 28, v12
	v_lshlrev_b64_e32 v[8:9], v8, v[0:1]
	v_sub_nc_u32_e32 v9, 29, v12
	s_delay_alu instid0(VALU_DEP_2)
	v_and_b32_e32 v8, 7, v8
; %bb.3369:                             ;   in Loop: Header=BB287_2093 Depth=1
	s_or_b32 exec_lo, exec_lo, s25
	v_lshlrev_b32_e32 v0, 8, v0
	s_delay_alu instid0(VALU_DEP_3) | instskip(NEXT) | instid1(VALU_DEP_3)
	v_lshl_add_u32 v9, v9, 10, 0x2000
	v_lshlrev_b32_e32 v8, 7, v8
	s_delay_alu instid0(VALU_DEP_3) | instskip(NEXT) | instid1(VALU_DEP_3)
	v_and_b32_e32 v0, 0x8000, v0
	v_and_b32_e32 v9, 0xfc00, v9
	s_delay_alu instid0(VALU_DEP_1)
	v_or3_b32 v8, v0, v9, v8
.LBB287_3370:                           ;   in Loop: Header=BB287_2093 Depth=1
	s_or_b32 exec_lo, exec_lo, s24
.LBB287_3371:                           ;   in Loop: Header=BB287_2093 Depth=1
	s_delay_alu instid0(SALU_CYCLE_1)
	s_or_b32 exec_lo, exec_lo, s23
.LBB287_3372:                           ;   in Loop: Header=BB287_2093 Depth=1
	s_delay_alu instid0(SALU_CYCLE_1) | instskip(NEXT) | instid1(SALU_CYCLE_1)
	s_or_b32 exec_lo, exec_lo, s22
	s_mov_b32 s22, exec_lo
	v_cmpx_lt_u32_e32 0xffffff, v86
	s_cbranch_execz .LBB287_3380
; %bb.3373:                             ;   in Loop: Header=BB287_2093 Depth=1
	v_lshrrev_b32_e32 v26, 24, v86
	v_bfrev_b32_e32 v7, 1
	s_mov_b32 s23, exec_lo
	s_delay_alu instid0(VALU_DEP_2)
	v_cmpx_ne_u32_e32 0x80, v26
	s_cbranch_execz .LBB287_3379
; %bb.3374:                             ;   in Loop: Header=BB287_2093 Depth=1
	v_and_b32_e32 v9, 0x7f, v26
	v_mov_b32_e32 v7, 0x7c010000
	s_mov_b32 s24, exec_lo
	s_delay_alu instid0(VALU_DEP_2)
	v_cmpx_ne_u32_e32 0x7f, v9
	s_cbranch_execz .LBB287_3378
; %bb.3375:                             ;   in Loop: Header=BB287_2093 Depth=1
	v_dual_lshrrev_b32 v7, 3, v9 :: v_dual_bitop2_b32 v0, 7, v26 bitop3:0x40
	s_mov_b32 s25, exec_lo
	v_cmpx_gt_u32_e32 8, v9
; %bb.3376:                             ;   in Loop: Header=BB287_2093 Depth=1
	s_delay_alu instid0(VALU_DEP_2) | instskip(NEXT) | instid1(VALU_DEP_1)
	v_clz_i32_u32_e32 v0, v0
	v_min_u32_e32 v0, 32, v0
	s_delay_alu instid0(VALU_DEP_1) | instskip(NEXT) | instid1(VALU_DEP_1)
	v_subrev_nc_u32_e32 v7, 28, v0
	v_lshlrev_b64_e32 v[14:15], v7, v[26:27]
	s_delay_alu instid0(VALU_DEP_1)
	v_dual_sub_nc_u32 v7, 29, v0 :: v_dual_bitop2_b32 v0, 7, v14 bitop3:0x40
; %bb.3377:                             ;   in Loop: Header=BB287_2093 Depth=1
	s_or_b32 exec_lo, exec_lo, s25
	s_delay_alu instid0(VALU_DEP_1) | instskip(NEXT) | instid1(VALU_DEP_2)
	v_dual_lshlrev_b32 v9, 8, v26 :: v_dual_lshlrev_b32 v0, 23, v0
	v_lshl_add_u32 v7, v7, 10, 0x2000
	s_delay_alu instid0(VALU_DEP_1) | instskip(NEXT) | instid1(VALU_DEP_1)
	v_and_or_b32 v7, 0x8000, v9, v7
	v_lshl_or_b32 v7, v7, 16, v0
.LBB287_3378:                           ;   in Loop: Header=BB287_2093 Depth=1
	s_or_b32 exec_lo, exec_lo, s24
.LBB287_3379:                           ;   in Loop: Header=BB287_2093 Depth=1
	s_delay_alu instid0(SALU_CYCLE_1)
	s_or_b32 exec_lo, exec_lo, s23
.LBB287_3380:                           ;   in Loop: Header=BB287_2093 Depth=1
	s_delay_alu instid0(SALU_CYCLE_1) | instskip(SKIP_4) | instid1(VALU_DEP_3)
	s_or_b32 exec_lo, exec_lo, s22
	v_and_b32_e32 v0, 0xff, v87
	v_dual_mov_b32 v26, v87 :: v_dual_mov_b32 v12, 0
	v_mov_b32_e32 v9, 0
	s_mov_b32 s22, exec_lo
	v_cmpx_ne_u16_e32 0, v0
	s_cbranch_execz .LBB287_3388
; %bb.3381:                             ;   in Loop: Header=BB287_2093 Depth=1
	v_mov_b32_e32 v9, 0x8000
	s_mov_b32 s23, exec_lo
	v_cmpx_ne_u16_e32 0x80, v0
	s_cbranch_execz .LBB287_3387
; %bb.3382:                             ;   in Loop: Header=BB287_2093 Depth=1
	v_and_b32_e32 v16, 0x7f, v87
	v_mov_b32_e32 v9, 0x7c01
	s_mov_b32 s24, exec_lo
	s_delay_alu instid0(VALU_DEP_2)
	v_cmpx_ne_u32_e32 0x7f, v16
	s_cbranch_execz .LBB287_3386
; %bb.3383:                             ;   in Loop: Header=BB287_2093 Depth=1
	v_dual_lshrrev_b32 v9, 3, v16 :: v_dual_bitop2_b32 v0, 7, v87 bitop3:0x40
	s_mov_b32 s25, exec_lo
	v_cmpx_gt_u32_e32 8, v16
; %bb.3384:                             ;   in Loop: Header=BB287_2093 Depth=1
	s_delay_alu instid0(VALU_DEP_2) | instskip(NEXT) | instid1(VALU_DEP_1)
	v_clz_i32_u32_e32 v0, v0
	v_min_u32_e32 v0, 32, v0
	s_delay_alu instid0(VALU_DEP_1) | instskip(NEXT) | instid1(VALU_DEP_1)
	v_subrev_nc_u32_e32 v9, 28, v0
	v_lshlrev_b64_e32 v[14:15], v9, v[26:27]
	s_delay_alu instid0(VALU_DEP_1)
	v_dual_sub_nc_u32 v9, 29, v0 :: v_dual_bitop2_b32 v0, 7, v14 bitop3:0x40
; %bb.3385:                             ;   in Loop: Header=BB287_2093 Depth=1
	s_or_b32 exec_lo, exec_lo, s25
	s_delay_alu instid0(VALU_DEP_1) | instskip(NEXT) | instid1(VALU_DEP_2)
	v_dual_lshlrev_b32 v14, 8, v87 :: v_dual_lshlrev_b32 v0, 7, v0
	v_lshl_add_u32 v9, v9, 10, 0x2000
	s_delay_alu instid0(VALU_DEP_2) | instskip(NEXT) | instid1(VALU_DEP_2)
	v_and_b32_e32 v14, 0x8000, v14
	v_and_b32_e32 v9, 0xfc00, v9
	s_delay_alu instid0(VALU_DEP_1)
	v_or3_b32 v9, v14, v9, v0
.LBB287_3386:                           ;   in Loop: Header=BB287_2093 Depth=1
	s_or_b32 exec_lo, exec_lo, s24
.LBB287_3387:                           ;   in Loop: Header=BB287_2093 Depth=1
	s_delay_alu instid0(SALU_CYCLE_1)
	s_or_b32 exec_lo, exec_lo, s23
.LBB287_3388:                           ;   in Loop: Header=BB287_2093 Depth=1
	s_delay_alu instid0(SALU_CYCLE_1) | instskip(SKIP_3) | instid1(VALU_DEP_2)
	s_or_b32 exec_lo, exec_lo, s22
	v_lshrrev_b16 v26, 8, v26
	v_mov_b32_e32 v16, 0
	s_mov_b32 s22, exec_lo
	v_cmpx_ne_u16_e32 0, v26
	s_cbranch_execz .LBB287_3396
; %bb.3389:                             ;   in Loop: Header=BB287_2093 Depth=1
	v_bfrev_b32_e32 v16, 1
	s_mov_b32 s23, exec_lo
	v_cmpx_ne_u16_e32 0x80, v26
	s_cbranch_execz .LBB287_3395
; %bb.3390:                             ;   in Loop: Header=BB287_2093 Depth=1
	v_and_b32_e32 v0, 0xffff, v26
	v_mov_b32_e32 v16, 0x7c010000
	s_mov_b32 s24, exec_lo
	s_delay_alu instid0(VALU_DEP_2) | instskip(NEXT) | instid1(VALU_DEP_1)
	v_and_b32_e32 v18, 0x7f, v0
	v_cmpx_ne_u32_e32 0x7f, v18
	s_cbranch_execz .LBB287_3394
; %bb.3391:                             ;   in Loop: Header=BB287_2093 Depth=1
	v_dual_lshrrev_b32 v17, 3, v18 :: v_dual_bitop2_b32 v16, 7, v0 bitop3:0x40
	s_mov_b32 s25, exec_lo
	v_cmpx_gt_u32_e32 8, v18
; %bb.3392:                             ;   in Loop: Header=BB287_2093 Depth=1
	s_delay_alu instid0(VALU_DEP_2) | instskip(NEXT) | instid1(VALU_DEP_1)
	v_clz_i32_u32_e32 v14, v16
	v_min_u32_e32 v16, 32, v14
	s_delay_alu instid0(VALU_DEP_1) | instskip(NEXT) | instid1(VALU_DEP_1)
	v_subrev_nc_u32_e32 v14, 28, v16
	v_lshlrev_b64_e32 v[14:15], v14, v[26:27]
	s_delay_alu instid0(VALU_DEP_1)
	v_dual_sub_nc_u32 v17, 29, v16 :: v_dual_bitop2_b32 v16, 7, v14 bitop3:0x40
; %bb.3393:                             ;   in Loop: Header=BB287_2093 Depth=1
	s_or_b32 exec_lo, exec_lo, s25
	v_lshlrev_b32_e32 v0, 8, v0
	s_delay_alu instid0(VALU_DEP_2) | instskip(NEXT) | instid1(VALU_DEP_1)
	v_lshl_add_u32 v14, v17, 10, 0x2000
	v_and_or_b32 v0, 0x8000, v0, v14
	v_lshlrev_b32_e32 v14, 23, v16
	s_delay_alu instid0(VALU_DEP_1)
	v_lshl_or_b32 v16, v0, 16, v14
.LBB287_3394:                           ;   in Loop: Header=BB287_2093 Depth=1
	s_or_b32 exec_lo, exec_lo, s24
.LBB287_3395:                           ;   in Loop: Header=BB287_2093 Depth=1
	s_delay_alu instid0(SALU_CYCLE_1)
	s_or_b32 exec_lo, exec_lo, s23
.LBB287_3396:                           ;   in Loop: Header=BB287_2093 Depth=1
	s_delay_alu instid0(SALU_CYCLE_1) | instskip(SKIP_2) | instid1(VALU_DEP_1)
	s_or_b32 exec_lo, exec_lo, s22
	v_lshrrev_b32_e32 v0, 16, v87
	s_mov_b32 s22, exec_lo
	v_and_b32_e32 v17, 0xff, v0
	s_delay_alu instid0(VALU_DEP_1)
	v_cmpx_ne_u16_e32 0, v17
	s_cbranch_execz .LBB287_3404
; %bb.3397:                             ;   in Loop: Header=BB287_2093 Depth=1
	v_mov_b32_e32 v12, 0x8000
	s_mov_b32 s23, exec_lo
	v_cmpx_ne_u16_e32 0x80, v17
	s_cbranch_execz .LBB287_3403
; %bb.3398:                             ;   in Loop: Header=BB287_2093 Depth=1
	v_bfe_u32 v18, v87, 16, 7
	v_mov_b32_e32 v12, 0x7c01
	s_mov_b32 s24, exec_lo
	s_delay_alu instid0(VALU_DEP_2)
	v_cmpx_ne_u32_e32 0x7f, v18
	s_cbranch_execz .LBB287_3402
; %bb.3399:                             ;   in Loop: Header=BB287_2093 Depth=1
	v_dual_lshrrev_b32 v17, 3, v18 :: v_dual_bitop2_b32 v12, 7, v0 bitop3:0x40
	s_mov_b32 s25, exec_lo
	v_cmpx_gt_u32_e32 8, v18
; %bb.3400:                             ;   in Loop: Header=BB287_2093 Depth=1
	s_delay_alu instid0(VALU_DEP_2) | instskip(NEXT) | instid1(VALU_DEP_1)
	v_clz_i32_u32_e32 v12, v12
	v_min_u32_e32 v12, 32, v12
	s_delay_alu instid0(VALU_DEP_1) | instskip(NEXT) | instid1(VALU_DEP_1)
	v_subrev_nc_u32_e32 v14, 28, v12
	v_lshlrev_b64_e32 v[14:15], v14, v[0:1]
	s_delay_alu instid0(VALU_DEP_1)
	v_dual_sub_nc_u32 v17, 29, v12 :: v_dual_bitop2_b32 v12, 7, v14 bitop3:0x40
; %bb.3401:                             ;   in Loop: Header=BB287_2093 Depth=1
	s_or_b32 exec_lo, exec_lo, s25
	v_lshlrev_b32_e32 v0, 8, v0
	s_delay_alu instid0(VALU_DEP_2) | instskip(NEXT) | instid1(VALU_DEP_3)
	v_lshl_add_u32 v14, v17, 10, 0x2000
	v_lshlrev_b32_e32 v12, 7, v12
	s_delay_alu instid0(VALU_DEP_3) | instskip(NEXT) | instid1(VALU_DEP_3)
	v_and_b32_e32 v0, 0x8000, v0
	v_and_b32_e32 v14, 0xfc00, v14
	s_delay_alu instid0(VALU_DEP_1)
	v_or3_b32 v12, v0, v14, v12
.LBB287_3402:                           ;   in Loop: Header=BB287_2093 Depth=1
	s_or_b32 exec_lo, exec_lo, s24
.LBB287_3403:                           ;   in Loop: Header=BB287_2093 Depth=1
	s_delay_alu instid0(SALU_CYCLE_1)
	s_or_b32 exec_lo, exec_lo, s23
.LBB287_3404:                           ;   in Loop: Header=BB287_2093 Depth=1
	s_delay_alu instid0(SALU_CYCLE_1)
	s_or_b32 exec_lo, exec_lo, s22
	v_mov_b32_e32 v0, 0
	s_mov_b32 s22, exec_lo
	v_cmpx_lt_u64_e64 s[14:15], v[86:87]
	s_cbranch_execz .LBB287_3412
; %bb.3405:                             ;   in Loop: Header=BB287_2093 Depth=1
	v_lshrrev_b32_e32 v26, 24, v87
	v_bfrev_b32_e32 v0, 1
	s_mov_b32 s23, exec_lo
	s_delay_alu instid0(VALU_DEP_2)
	v_cmpx_ne_u32_e32 0x80, v26
	s_cbranch_execz .LBB287_3411
; %bb.3406:                             ;   in Loop: Header=BB287_2093 Depth=1
	v_and_b32_e32 v18, 0x7f, v26
	v_mov_b32_e32 v0, 0x7c010000
	s_mov_b32 s24, exec_lo
	s_delay_alu instid0(VALU_DEP_2)
	v_cmpx_ne_u32_e32 0x7f, v18
	s_cbranch_execz .LBB287_3410
; %bb.3407:                             ;   in Loop: Header=BB287_2093 Depth=1
	v_and_b32_e32 v0, 7, v26
	v_lshrrev_b32_e32 v17, 3, v18
	s_mov_b32 s25, exec_lo
	v_cmpx_gt_u32_e32 8, v18
; %bb.3408:                             ;   in Loop: Header=BB287_2093 Depth=1
	s_delay_alu instid0(VALU_DEP_3) | instskip(NEXT) | instid1(VALU_DEP_1)
	v_clz_i32_u32_e32 v0, v0
	v_min_u32_e32 v0, 32, v0
	s_delay_alu instid0(VALU_DEP_1) | instskip(NEXT) | instid1(VALU_DEP_1)
	v_subrev_nc_u32_e32 v14, 28, v0
	v_lshlrev_b64_e32 v[14:15], v14, v[26:27]
	s_delay_alu instid0(VALU_DEP_1)
	v_dual_sub_nc_u32 v17, 29, v0 :: v_dual_bitop2_b32 v0, 7, v14 bitop3:0x40
; %bb.3409:                             ;   in Loop: Header=BB287_2093 Depth=1
	s_or_b32 exec_lo, exec_lo, s25
	s_delay_alu instid0(VALU_DEP_1) | instskip(NEXT) | instid1(VALU_DEP_2)
	v_dual_lshlrev_b32 v14, 8, v26 :: v_dual_lshlrev_b32 v0, 23, v0
	v_lshl_add_u32 v15, v17, 10, 0x2000
	s_delay_alu instid0(VALU_DEP_1) | instskip(NEXT) | instid1(VALU_DEP_1)
	v_and_or_b32 v14, 0x8000, v14, v15
	v_lshl_or_b32 v0, v14, 16, v0
.LBB287_3410:                           ;   in Loop: Header=BB287_2093 Depth=1
	s_or_b32 exec_lo, exec_lo, s24
.LBB287_3411:                           ;   in Loop: Header=BB287_2093 Depth=1
	s_delay_alu instid0(SALU_CYCLE_1)
	s_or_b32 exec_lo, exec_lo, s23
.LBB287_3412:                           ;   in Loop: Header=BB287_2093 Depth=1
	s_delay_alu instid0(SALU_CYCLE_1) | instskip(SKIP_4) | instid1(VALU_DEP_4)
	s_or_b32 exec_lo, exec_lo, s22
	v_dual_lshrrev_b32 v14, 16, v1 :: v_dual_lshrrev_b32 v15, 16, v7
	v_or_b32_e32 v1, v1, v6
	v_or_b32_e32 v8, v7, v8
	;; [unrolled: 1-line block ×3, first 2 shown]
	v_cvt_f32_f16_e32 v7, v14
	v_cvt_f32_f16_e32 v6, v15
	v_lshrrev_b32_e32 v14, 16, v16
	v_dual_lshrrev_b32 v15, 16, v0 :: v_dual_bitop2_b32 v16, v16, v9 bitop3:0x54
	v_cvt_f32_f16_e32 v0, v8
	s_wait_loadcnt_dscnt 0x0
	v_pk_mul_f32 v[6:7], v[84:85], v[6:7] op_sel_hi:[0,1]
	v_cvt_f32_f16_e32 v1, v1
	v_cvt_f32_f16_e32 v9, v14
	;; [unrolled: 1-line block ×5, first 2 shown]
	v_pk_mul_f32 v[0:1], v[84:85], v[0:1] op_sel_hi:[0,1]
	v_cvt_pk_f16_f32 v12, v6, v7
	v_pk_mul_f32 v[6:7], v[84:85], v[8:9] op_sel_hi:[0,1]
	s_delay_alu instid0(VALU_DEP_4) | instskip(NEXT) | instid1(VALU_DEP_4)
	v_pk_mul_f32 v[14:15], v[84:85], v[14:15] op_sel_hi:[0,1]
	v_cvt_pk_f16_f32 v0, v0, v1
	s_delay_alu instid0(VALU_DEP_4) | instskip(NEXT) | instid1(VALU_DEP_4)
	v_and_b32_e32 v9, 0xffff0000, v12
	v_cvt_pk_f16_f32 v6, v6, v7
	s_delay_alu instid0(VALU_DEP_4) | instskip(NEXT) | instid1(VALU_DEP_4)
	v_cvt_pk_f16_f32 v7, v14, v15
	v_and_b32_e32 v98, 0xffff, v0
	v_lshrrev_b32_e32 v97, 16, v0
	v_lshlrev_b32_e32 v86, 16, v12
	v_and_b32_e32 v1, 0xffff0000, v6
	v_dual_lshlrev_b32 v0, 16, v6 :: v_dual_lshrrev_b32 v87, 16, v7
	v_and_b32_e32 v96, 0xffff, v7
	v_or_b32_e32 v85, v9, v97
	v_or_b32_e32 v84, v86, v98
	s_delay_alu instid0(VALU_DEP_4) | instskip(NEXT) | instid1(VALU_DEP_4)
	v_or_b32_e32 v19, v1, v87
	v_or_b32_e32 v26, v0, v96
	s_and_saveexec_b32 s8, s0
	s_cbranch_execz .LBB287_3414
; %bb.3413:                             ;   in Loop: Header=BB287_2093 Depth=1
	v_dual_cndmask_b32 v6, 0, v97, vcc_lo :: v_dual_cndmask_b32 v7, 0, v98, s1
	v_dual_cndmask_b32 v8, 0, v9, s2 :: v_dual_cndmask_b32 v9, 0, v86, s3
	v_dual_cndmask_b32 v12, 0, v87, s4 :: v_dual_cndmask_b32 v14, 0, v96, s5
	v_dual_cndmask_b32 v1, 0, v1, s6 :: v_dual_cndmask_b32 v0, 0, v0, s7
	s_delay_alu instid0(VALU_DEP_3) | instskip(NEXT) | instid1(VALU_DEP_4)
	v_or_b32_e32 v85, v6, v8
	v_or_b32_e32 v84, v7, v9
	s_delay_alu instid0(VALU_DEP_3) | instskip(NEXT) | instid1(VALU_DEP_4)
	v_or_b32_e32 v19, v12, v1
	v_or_b32_e32 v26, v14, v0
.LBB287_3414:                           ;   in Loop: Header=BB287_2093 Depth=1
	s_or_b32 exec_lo, exec_lo, s8
	;;#ASMSTART
	v_pk_mul_f16 v0, v119, v85;

	;;#ASMEND
	;;#ASMSTART
	v_pk_mul_f16 v1, v117, v84;

	;;#ASMEND
	;; [unrolled: 4-line block ×4, first 2 shown]
	;;#ASMSTART
	v_pk_add_f16 v0, v0, v1;

	;;#ASMEND
	;;#ASMSTART
	v_pk_add_f16 v0, v0, v6;

	;;#ASMEND
	;; [unrolled: 4-line block ×3, first 2 shown]
	v_and_b32_e32 v1, 0xffff, v0
	v_lshrrev_b32_e32 v0, 16, v0
	;;#ASMSTART
	v_cvt_f32_f16 v109, v1;
	;;#ASMEND
	v_mov_b32_e32 v1, 0
	;;#ASMSTART
	v_cvt_f32_f16 v110, v0;
	;;#ASMEND
	flat_load_b64 v[86:87], v[82:83] offset:5120
	flat_load_b32 v84, v[22:23]
	v_mov_b32_e32 v6, 0
	s_mov_b32 s22, exec_lo
	s_wait_loadcnt_dscnt 0x101
	v_and_b32_e32 v0, 0xff, v86
	s_wait_xcnt 0x0
	s_delay_alu instid0(VALU_DEP_1)
	v_cmpx_ne_u16_e32 0, v0
	s_cbranch_execz .LBB287_3422
; %bb.3415:                             ;   in Loop: Header=BB287_2093 Depth=1
	v_mov_b32_e32 v6, 0x8000
	s_mov_b32 s23, exec_lo
	v_cmpx_ne_u16_e32 0x80, v0
	s_cbranch_execz .LBB287_3421
; %bb.3416:                             ;   in Loop: Header=BB287_2093 Depth=1
	v_and_b32_e32 v7, 0x7f, v86
	v_mov_b32_e32 v6, 0x7c01
	s_mov_b32 s24, exec_lo
	s_delay_alu instid0(VALU_DEP_2)
	v_cmpx_ne_u32_e32 0x7f, v7
	s_cbranch_execz .LBB287_3420
; %bb.3417:                             ;   in Loop: Header=BB287_2093 Depth=1
	v_dual_lshrrev_b32 v6, 3, v7 :: v_dual_bitop2_b32 v0, 7, v86 bitop3:0x40
	s_mov_b32 s25, exec_lo
	v_cmpx_gt_u32_e32 8, v7
; %bb.3418:                             ;   in Loop: Header=BB287_2093 Depth=1
	s_delay_alu instid0(VALU_DEP_2) | instskip(NEXT) | instid1(VALU_DEP_1)
	v_clz_i32_u32_e32 v0, v0
	v_min_u32_e32 v0, 32, v0
	s_delay_alu instid0(VALU_DEP_1) | instskip(NEXT) | instid1(VALU_DEP_1)
	v_subrev_nc_u32_e32 v6, 28, v0
	v_lshlrev_b64_e32 v[8:9], v6, v[86:87]
	v_sub_nc_u32_e32 v6, 29, v0
	s_delay_alu instid0(VALU_DEP_2)
	v_and_b32_e32 v0, 7, v8
; %bb.3419:                             ;   in Loop: Header=BB287_2093 Depth=1
	s_or_b32 exec_lo, exec_lo, s25
	s_delay_alu instid0(VALU_DEP_1) | instskip(NEXT) | instid1(VALU_DEP_3)
	v_dual_lshlrev_b32 v7, 8, v86 :: v_dual_lshlrev_b32 v0, 7, v0
	v_lshl_add_u32 v6, v6, 10, 0x2000
	s_delay_alu instid0(VALU_DEP_2) | instskip(NEXT) | instid1(VALU_DEP_2)
	v_and_b32_e32 v7, 0x8000, v7
	v_and_b32_e32 v6, 0xfc00, v6
	s_delay_alu instid0(VALU_DEP_1)
	v_or3_b32 v6, v7, v6, v0
.LBB287_3420:                           ;   in Loop: Header=BB287_2093 Depth=1
	s_or_b32 exec_lo, exec_lo, s24
.LBB287_3421:                           ;   in Loop: Header=BB287_2093 Depth=1
	s_delay_alu instid0(SALU_CYCLE_1)
	s_or_b32 exec_lo, exec_lo, s23
.LBB287_3422:                           ;   in Loop: Header=BB287_2093 Depth=1
	s_delay_alu instid0(SALU_CYCLE_1) | instskip(SKIP_2) | instid1(VALU_DEP_1)
	s_or_b32 exec_lo, exec_lo, s22
	v_lshrrev_b16 v26, 8, v86
	s_mov_b32 s22, exec_lo
	v_cmpx_ne_u16_e32 0, v26
	s_cbranch_execz .LBB287_3430
; %bb.3423:                             ;   in Loop: Header=BB287_2093 Depth=1
	v_bfrev_b32_e32 v1, 1
	s_mov_b32 s23, exec_lo
	v_cmpx_ne_u16_e32 0x80, v26
	s_cbranch_execz .LBB287_3429
; %bb.3424:                             ;   in Loop: Header=BB287_2093 Depth=1
	v_and_b32_e32 v0, 0xffff, v26
	v_mov_b32_e32 v1, 0x7c010000
	s_mov_b32 s24, exec_lo
	s_delay_alu instid0(VALU_DEP_2) | instskip(NEXT) | instid1(VALU_DEP_1)
	v_and_b32_e32 v8, 0x7f, v0
	v_cmpx_ne_u32_e32 0x7f, v8
	s_cbranch_execz .LBB287_3428
; %bb.3425:                             ;   in Loop: Header=BB287_2093 Depth=1
	v_and_b32_e32 v1, 7, v0
	v_lshrrev_b32_e32 v7, 3, v8
	s_mov_b32 s25, exec_lo
	v_cmpx_gt_u32_e32 8, v8
; %bb.3426:                             ;   in Loop: Header=BB287_2093 Depth=1
	s_delay_alu instid0(VALU_DEP_3) | instskip(NEXT) | instid1(VALU_DEP_1)
	v_clz_i32_u32_e32 v1, v1
	v_min_u32_e32 v1, 32, v1
	s_delay_alu instid0(VALU_DEP_1) | instskip(NEXT) | instid1(VALU_DEP_1)
	v_subrev_nc_u32_e32 v7, 28, v1
	v_lshlrev_b64_e32 v[8:9], v7, v[26:27]
	s_delay_alu instid0(VALU_DEP_1)
	v_dual_sub_nc_u32 v7, 29, v1 :: v_dual_bitop2_b32 v1, 7, v8 bitop3:0x40
; %bb.3427:                             ;   in Loop: Header=BB287_2093 Depth=1
	s_or_b32 exec_lo, exec_lo, s25
	s_delay_alu instid0(VALU_DEP_1) | instskip(NEXT) | instid1(VALU_DEP_2)
	v_dual_lshlrev_b32 v0, 8, v0 :: v_dual_lshlrev_b32 v1, 23, v1
	v_lshl_add_u32 v7, v7, 10, 0x2000
	s_delay_alu instid0(VALU_DEP_1) | instskip(NEXT) | instid1(VALU_DEP_1)
	v_and_or_b32 v0, 0x8000, v0, v7
	v_lshl_or_b32 v1, v0, 16, v1
.LBB287_3428:                           ;   in Loop: Header=BB287_2093 Depth=1
	s_or_b32 exec_lo, exec_lo, s24
.LBB287_3429:                           ;   in Loop: Header=BB287_2093 Depth=1
	s_delay_alu instid0(SALU_CYCLE_1)
	s_or_b32 exec_lo, exec_lo, s23
.LBB287_3430:                           ;   in Loop: Header=BB287_2093 Depth=1
	s_delay_alu instid0(SALU_CYCLE_1) | instskip(SKIP_3) | instid1(VALU_DEP_2)
	s_or_b32 exec_lo, exec_lo, s22
	v_dual_mov_b32 v7, 0 :: v_dual_lshrrev_b32 v0, 16, v86
	v_mov_b32_e32 v8, 0
	s_mov_b32 s22, exec_lo
	v_and_b32_e32 v9, 0xff, v0
	s_delay_alu instid0(VALU_DEP_1)
	v_cmpx_ne_u16_e32 0, v9
	s_cbranch_execz .LBB287_3438
; %bb.3431:                             ;   in Loop: Header=BB287_2093 Depth=1
	v_mov_b32_e32 v8, 0x8000
	s_mov_b32 s23, exec_lo
	v_cmpx_ne_u16_e32 0x80, v9
	s_cbranch_execz .LBB287_3437
; %bb.3432:                             ;   in Loop: Header=BB287_2093 Depth=1
	v_bfe_u32 v12, v86, 16, 7
	v_mov_b32_e32 v8, 0x7c01
	s_mov_b32 s24, exec_lo
	s_delay_alu instid0(VALU_DEP_2)
	v_cmpx_ne_u32_e32 0x7f, v12
	s_cbranch_execz .LBB287_3436
; %bb.3433:                             ;   in Loop: Header=BB287_2093 Depth=1
	v_and_b32_e32 v8, 7, v0
	v_lshrrev_b32_e32 v9, 3, v12
	s_mov_b32 s25, exec_lo
	v_cmpx_gt_u32_e32 8, v12
; %bb.3434:                             ;   in Loop: Header=BB287_2093 Depth=1
	s_delay_alu instid0(VALU_DEP_3) | instskip(NEXT) | instid1(VALU_DEP_1)
	v_clz_i32_u32_e32 v8, v8
	v_min_u32_e32 v12, 32, v8
	s_delay_alu instid0(VALU_DEP_1) | instskip(NEXT) | instid1(VALU_DEP_1)
	v_subrev_nc_u32_e32 v8, 28, v12
	v_lshlrev_b64_e32 v[8:9], v8, v[0:1]
	v_sub_nc_u32_e32 v9, 29, v12
	s_delay_alu instid0(VALU_DEP_2)
	v_and_b32_e32 v8, 7, v8
; %bb.3435:                             ;   in Loop: Header=BB287_2093 Depth=1
	s_or_b32 exec_lo, exec_lo, s25
	v_lshlrev_b32_e32 v0, 8, v0
	s_delay_alu instid0(VALU_DEP_3) | instskip(NEXT) | instid1(VALU_DEP_3)
	v_lshl_add_u32 v9, v9, 10, 0x2000
	v_lshlrev_b32_e32 v8, 7, v8
	s_delay_alu instid0(VALU_DEP_3) | instskip(NEXT) | instid1(VALU_DEP_3)
	v_and_b32_e32 v0, 0x8000, v0
	v_and_b32_e32 v9, 0xfc00, v9
	s_delay_alu instid0(VALU_DEP_1)
	v_or3_b32 v8, v0, v9, v8
.LBB287_3436:                           ;   in Loop: Header=BB287_2093 Depth=1
	s_or_b32 exec_lo, exec_lo, s24
.LBB287_3437:                           ;   in Loop: Header=BB287_2093 Depth=1
	s_delay_alu instid0(SALU_CYCLE_1)
	s_or_b32 exec_lo, exec_lo, s23
.LBB287_3438:                           ;   in Loop: Header=BB287_2093 Depth=1
	s_delay_alu instid0(SALU_CYCLE_1) | instskip(NEXT) | instid1(SALU_CYCLE_1)
	s_or_b32 exec_lo, exec_lo, s22
	s_mov_b32 s22, exec_lo
	v_cmpx_lt_u32_e32 0xffffff, v86
	s_cbranch_execz .LBB287_3446
; %bb.3439:                             ;   in Loop: Header=BB287_2093 Depth=1
	v_lshrrev_b32_e32 v26, 24, v86
	v_bfrev_b32_e32 v7, 1
	s_mov_b32 s23, exec_lo
	s_delay_alu instid0(VALU_DEP_2)
	v_cmpx_ne_u32_e32 0x80, v26
	s_cbranch_execz .LBB287_3445
; %bb.3440:                             ;   in Loop: Header=BB287_2093 Depth=1
	v_and_b32_e32 v9, 0x7f, v26
	v_mov_b32_e32 v7, 0x7c010000
	s_mov_b32 s24, exec_lo
	s_delay_alu instid0(VALU_DEP_2)
	v_cmpx_ne_u32_e32 0x7f, v9
	s_cbranch_execz .LBB287_3444
; %bb.3441:                             ;   in Loop: Header=BB287_2093 Depth=1
	v_dual_lshrrev_b32 v7, 3, v9 :: v_dual_bitop2_b32 v0, 7, v26 bitop3:0x40
	s_mov_b32 s25, exec_lo
	v_cmpx_gt_u32_e32 8, v9
; %bb.3442:                             ;   in Loop: Header=BB287_2093 Depth=1
	s_delay_alu instid0(VALU_DEP_2) | instskip(NEXT) | instid1(VALU_DEP_1)
	v_clz_i32_u32_e32 v0, v0
	v_min_u32_e32 v0, 32, v0
	s_delay_alu instid0(VALU_DEP_1) | instskip(NEXT) | instid1(VALU_DEP_1)
	v_subrev_nc_u32_e32 v7, 28, v0
	v_lshlrev_b64_e32 v[14:15], v7, v[26:27]
	s_delay_alu instid0(VALU_DEP_1)
	v_dual_sub_nc_u32 v7, 29, v0 :: v_dual_bitop2_b32 v0, 7, v14 bitop3:0x40
; %bb.3443:                             ;   in Loop: Header=BB287_2093 Depth=1
	s_or_b32 exec_lo, exec_lo, s25
	s_delay_alu instid0(VALU_DEP_1) | instskip(NEXT) | instid1(VALU_DEP_2)
	v_dual_lshlrev_b32 v9, 8, v26 :: v_dual_lshlrev_b32 v0, 23, v0
	v_lshl_add_u32 v7, v7, 10, 0x2000
	s_delay_alu instid0(VALU_DEP_1) | instskip(NEXT) | instid1(VALU_DEP_1)
	v_and_or_b32 v7, 0x8000, v9, v7
	v_lshl_or_b32 v7, v7, 16, v0
.LBB287_3444:                           ;   in Loop: Header=BB287_2093 Depth=1
	s_or_b32 exec_lo, exec_lo, s24
.LBB287_3445:                           ;   in Loop: Header=BB287_2093 Depth=1
	s_delay_alu instid0(SALU_CYCLE_1)
	s_or_b32 exec_lo, exec_lo, s23
.LBB287_3446:                           ;   in Loop: Header=BB287_2093 Depth=1
	s_delay_alu instid0(SALU_CYCLE_1) | instskip(SKIP_4) | instid1(VALU_DEP_3)
	s_or_b32 exec_lo, exec_lo, s22
	v_and_b32_e32 v0, 0xff, v87
	v_dual_mov_b32 v26, v87 :: v_dual_mov_b32 v12, 0
	v_mov_b32_e32 v9, 0
	s_mov_b32 s22, exec_lo
	v_cmpx_ne_u16_e32 0, v0
	s_cbranch_execz .LBB287_3454
; %bb.3447:                             ;   in Loop: Header=BB287_2093 Depth=1
	v_mov_b32_e32 v9, 0x8000
	s_mov_b32 s23, exec_lo
	v_cmpx_ne_u16_e32 0x80, v0
	s_cbranch_execz .LBB287_3453
; %bb.3448:                             ;   in Loop: Header=BB287_2093 Depth=1
	v_and_b32_e32 v16, 0x7f, v87
	v_mov_b32_e32 v9, 0x7c01
	s_mov_b32 s24, exec_lo
	s_delay_alu instid0(VALU_DEP_2)
	v_cmpx_ne_u32_e32 0x7f, v16
	s_cbranch_execz .LBB287_3452
; %bb.3449:                             ;   in Loop: Header=BB287_2093 Depth=1
	v_dual_lshrrev_b32 v9, 3, v16 :: v_dual_bitop2_b32 v0, 7, v87 bitop3:0x40
	s_mov_b32 s25, exec_lo
	v_cmpx_gt_u32_e32 8, v16
; %bb.3450:                             ;   in Loop: Header=BB287_2093 Depth=1
	s_delay_alu instid0(VALU_DEP_2) | instskip(NEXT) | instid1(VALU_DEP_1)
	v_clz_i32_u32_e32 v0, v0
	v_min_u32_e32 v0, 32, v0
	s_delay_alu instid0(VALU_DEP_1) | instskip(NEXT) | instid1(VALU_DEP_1)
	v_subrev_nc_u32_e32 v9, 28, v0
	v_lshlrev_b64_e32 v[14:15], v9, v[26:27]
	s_delay_alu instid0(VALU_DEP_1)
	v_dual_sub_nc_u32 v9, 29, v0 :: v_dual_bitop2_b32 v0, 7, v14 bitop3:0x40
; %bb.3451:                             ;   in Loop: Header=BB287_2093 Depth=1
	s_or_b32 exec_lo, exec_lo, s25
	s_delay_alu instid0(VALU_DEP_1) | instskip(NEXT) | instid1(VALU_DEP_2)
	v_dual_lshlrev_b32 v14, 8, v87 :: v_dual_lshlrev_b32 v0, 7, v0
	v_lshl_add_u32 v9, v9, 10, 0x2000
	s_delay_alu instid0(VALU_DEP_2) | instskip(NEXT) | instid1(VALU_DEP_2)
	v_and_b32_e32 v14, 0x8000, v14
	v_and_b32_e32 v9, 0xfc00, v9
	s_delay_alu instid0(VALU_DEP_1)
	v_or3_b32 v9, v14, v9, v0
.LBB287_3452:                           ;   in Loop: Header=BB287_2093 Depth=1
	s_or_b32 exec_lo, exec_lo, s24
.LBB287_3453:                           ;   in Loop: Header=BB287_2093 Depth=1
	s_delay_alu instid0(SALU_CYCLE_1)
	s_or_b32 exec_lo, exec_lo, s23
.LBB287_3454:                           ;   in Loop: Header=BB287_2093 Depth=1
	s_delay_alu instid0(SALU_CYCLE_1) | instskip(SKIP_3) | instid1(VALU_DEP_2)
	s_or_b32 exec_lo, exec_lo, s22
	v_lshrrev_b16 v26, 8, v26
	v_mov_b32_e32 v16, 0
	s_mov_b32 s22, exec_lo
	v_cmpx_ne_u16_e32 0, v26
	s_cbranch_execz .LBB287_3462
; %bb.3455:                             ;   in Loop: Header=BB287_2093 Depth=1
	v_bfrev_b32_e32 v16, 1
	s_mov_b32 s23, exec_lo
	v_cmpx_ne_u16_e32 0x80, v26
	s_cbranch_execz .LBB287_3461
; %bb.3456:                             ;   in Loop: Header=BB287_2093 Depth=1
	v_and_b32_e32 v0, 0xffff, v26
	v_mov_b32_e32 v16, 0x7c010000
	s_mov_b32 s24, exec_lo
	s_delay_alu instid0(VALU_DEP_2) | instskip(NEXT) | instid1(VALU_DEP_1)
	v_and_b32_e32 v18, 0x7f, v0
	v_cmpx_ne_u32_e32 0x7f, v18
	s_cbranch_execz .LBB287_3460
; %bb.3457:                             ;   in Loop: Header=BB287_2093 Depth=1
	v_dual_lshrrev_b32 v17, 3, v18 :: v_dual_bitop2_b32 v16, 7, v0 bitop3:0x40
	s_mov_b32 s25, exec_lo
	v_cmpx_gt_u32_e32 8, v18
; %bb.3458:                             ;   in Loop: Header=BB287_2093 Depth=1
	s_delay_alu instid0(VALU_DEP_2) | instskip(NEXT) | instid1(VALU_DEP_1)
	v_clz_i32_u32_e32 v14, v16
	v_min_u32_e32 v16, 32, v14
	s_delay_alu instid0(VALU_DEP_1) | instskip(NEXT) | instid1(VALU_DEP_1)
	v_subrev_nc_u32_e32 v14, 28, v16
	v_lshlrev_b64_e32 v[14:15], v14, v[26:27]
	s_delay_alu instid0(VALU_DEP_1)
	v_dual_sub_nc_u32 v17, 29, v16 :: v_dual_bitop2_b32 v16, 7, v14 bitop3:0x40
; %bb.3459:                             ;   in Loop: Header=BB287_2093 Depth=1
	s_or_b32 exec_lo, exec_lo, s25
	v_lshlrev_b32_e32 v0, 8, v0
	s_delay_alu instid0(VALU_DEP_2) | instskip(NEXT) | instid1(VALU_DEP_1)
	v_lshl_add_u32 v14, v17, 10, 0x2000
	v_and_or_b32 v0, 0x8000, v0, v14
	v_lshlrev_b32_e32 v14, 23, v16
	s_delay_alu instid0(VALU_DEP_1)
	v_lshl_or_b32 v16, v0, 16, v14
.LBB287_3460:                           ;   in Loop: Header=BB287_2093 Depth=1
	s_or_b32 exec_lo, exec_lo, s24
.LBB287_3461:                           ;   in Loop: Header=BB287_2093 Depth=1
	s_delay_alu instid0(SALU_CYCLE_1)
	s_or_b32 exec_lo, exec_lo, s23
.LBB287_3462:                           ;   in Loop: Header=BB287_2093 Depth=1
	s_delay_alu instid0(SALU_CYCLE_1) | instskip(SKIP_2) | instid1(VALU_DEP_1)
	s_or_b32 exec_lo, exec_lo, s22
	v_lshrrev_b32_e32 v0, 16, v87
	s_mov_b32 s22, exec_lo
	v_and_b32_e32 v17, 0xff, v0
	s_delay_alu instid0(VALU_DEP_1)
	v_cmpx_ne_u16_e32 0, v17
	s_cbranch_execz .LBB287_3470
; %bb.3463:                             ;   in Loop: Header=BB287_2093 Depth=1
	v_mov_b32_e32 v12, 0x8000
	s_mov_b32 s23, exec_lo
	v_cmpx_ne_u16_e32 0x80, v17
	s_cbranch_execz .LBB287_3469
; %bb.3464:                             ;   in Loop: Header=BB287_2093 Depth=1
	v_bfe_u32 v18, v87, 16, 7
	v_mov_b32_e32 v12, 0x7c01
	s_mov_b32 s24, exec_lo
	s_delay_alu instid0(VALU_DEP_2)
	v_cmpx_ne_u32_e32 0x7f, v18
	s_cbranch_execz .LBB287_3468
; %bb.3465:                             ;   in Loop: Header=BB287_2093 Depth=1
	v_dual_lshrrev_b32 v17, 3, v18 :: v_dual_bitop2_b32 v12, 7, v0 bitop3:0x40
	s_mov_b32 s25, exec_lo
	v_cmpx_gt_u32_e32 8, v18
; %bb.3466:                             ;   in Loop: Header=BB287_2093 Depth=1
	s_delay_alu instid0(VALU_DEP_2) | instskip(NEXT) | instid1(VALU_DEP_1)
	v_clz_i32_u32_e32 v12, v12
	v_min_u32_e32 v12, 32, v12
	s_delay_alu instid0(VALU_DEP_1) | instskip(NEXT) | instid1(VALU_DEP_1)
	v_subrev_nc_u32_e32 v14, 28, v12
	v_lshlrev_b64_e32 v[14:15], v14, v[0:1]
	s_delay_alu instid0(VALU_DEP_1)
	v_dual_sub_nc_u32 v17, 29, v12 :: v_dual_bitop2_b32 v12, 7, v14 bitop3:0x40
; %bb.3467:                             ;   in Loop: Header=BB287_2093 Depth=1
	s_or_b32 exec_lo, exec_lo, s25
	v_lshlrev_b32_e32 v0, 8, v0
	s_delay_alu instid0(VALU_DEP_2) | instskip(NEXT) | instid1(VALU_DEP_3)
	v_lshl_add_u32 v14, v17, 10, 0x2000
	v_lshlrev_b32_e32 v12, 7, v12
	s_delay_alu instid0(VALU_DEP_3) | instskip(NEXT) | instid1(VALU_DEP_3)
	v_and_b32_e32 v0, 0x8000, v0
	v_and_b32_e32 v14, 0xfc00, v14
	s_delay_alu instid0(VALU_DEP_1)
	v_or3_b32 v12, v0, v14, v12
.LBB287_3468:                           ;   in Loop: Header=BB287_2093 Depth=1
	s_or_b32 exec_lo, exec_lo, s24
.LBB287_3469:                           ;   in Loop: Header=BB287_2093 Depth=1
	s_delay_alu instid0(SALU_CYCLE_1)
	s_or_b32 exec_lo, exec_lo, s23
.LBB287_3470:                           ;   in Loop: Header=BB287_2093 Depth=1
	s_delay_alu instid0(SALU_CYCLE_1)
	s_or_b32 exec_lo, exec_lo, s22
	v_mov_b32_e32 v0, 0
	s_mov_b32 s22, exec_lo
	v_cmpx_lt_u64_e64 s[14:15], v[86:87]
	s_cbranch_execz .LBB287_3478
; %bb.3471:                             ;   in Loop: Header=BB287_2093 Depth=1
	v_lshrrev_b32_e32 v26, 24, v87
	v_bfrev_b32_e32 v0, 1
	s_mov_b32 s23, exec_lo
	s_delay_alu instid0(VALU_DEP_2)
	v_cmpx_ne_u32_e32 0x80, v26
	s_cbranch_execz .LBB287_3477
; %bb.3472:                             ;   in Loop: Header=BB287_2093 Depth=1
	v_and_b32_e32 v18, 0x7f, v26
	v_mov_b32_e32 v0, 0x7c010000
	s_mov_b32 s24, exec_lo
	s_delay_alu instid0(VALU_DEP_2)
	v_cmpx_ne_u32_e32 0x7f, v18
	s_cbranch_execz .LBB287_3476
; %bb.3473:                             ;   in Loop: Header=BB287_2093 Depth=1
	v_and_b32_e32 v0, 7, v26
	v_lshrrev_b32_e32 v17, 3, v18
	s_mov_b32 s25, exec_lo
	v_cmpx_gt_u32_e32 8, v18
; %bb.3474:                             ;   in Loop: Header=BB287_2093 Depth=1
	s_delay_alu instid0(VALU_DEP_3) | instskip(NEXT) | instid1(VALU_DEP_1)
	v_clz_i32_u32_e32 v0, v0
	v_min_u32_e32 v0, 32, v0
	s_delay_alu instid0(VALU_DEP_1) | instskip(NEXT) | instid1(VALU_DEP_1)
	v_subrev_nc_u32_e32 v14, 28, v0
	v_lshlrev_b64_e32 v[14:15], v14, v[26:27]
	s_delay_alu instid0(VALU_DEP_1)
	v_dual_sub_nc_u32 v17, 29, v0 :: v_dual_bitop2_b32 v0, 7, v14 bitop3:0x40
; %bb.3475:                             ;   in Loop: Header=BB287_2093 Depth=1
	s_or_b32 exec_lo, exec_lo, s25
	s_delay_alu instid0(VALU_DEP_1) | instskip(NEXT) | instid1(VALU_DEP_2)
	v_dual_lshlrev_b32 v14, 8, v26 :: v_dual_lshlrev_b32 v0, 23, v0
	v_lshl_add_u32 v15, v17, 10, 0x2000
	s_delay_alu instid0(VALU_DEP_1) | instskip(NEXT) | instid1(VALU_DEP_1)
	v_and_or_b32 v14, 0x8000, v14, v15
	v_lshl_or_b32 v0, v14, 16, v0
.LBB287_3476:                           ;   in Loop: Header=BB287_2093 Depth=1
	s_or_b32 exec_lo, exec_lo, s24
.LBB287_3477:                           ;   in Loop: Header=BB287_2093 Depth=1
	s_delay_alu instid0(SALU_CYCLE_1)
	s_or_b32 exec_lo, exec_lo, s23
.LBB287_3478:                           ;   in Loop: Header=BB287_2093 Depth=1
	s_delay_alu instid0(SALU_CYCLE_1) | instskip(SKIP_4) | instid1(VALU_DEP_4)
	s_or_b32 exec_lo, exec_lo, s22
	v_dual_lshrrev_b32 v14, 16, v1 :: v_dual_lshrrev_b32 v15, 16, v7
	v_or_b32_e32 v1, v1, v6
	v_or_b32_e32 v8, v7, v8
	;; [unrolled: 1-line block ×3, first 2 shown]
	v_cvt_f32_f16_e32 v7, v14
	v_cvt_f32_f16_e32 v6, v15
	v_lshrrev_b32_e32 v14, 16, v16
	v_dual_lshrrev_b32 v15, 16, v0 :: v_dual_bitop2_b32 v16, v16, v9 bitop3:0x54
	v_cvt_f32_f16_e32 v0, v8
	s_wait_loadcnt_dscnt 0x0
	v_pk_mul_f32 v[6:7], v[84:85], v[6:7] op_sel_hi:[0,1]
	v_cvt_f32_f16_e32 v1, v1
	v_cvt_f32_f16_e32 v9, v14
	;; [unrolled: 1-line block ×5, first 2 shown]
	v_pk_mul_f32 v[0:1], v[84:85], v[0:1] op_sel_hi:[0,1]
	v_cvt_pk_f16_f32 v12, v6, v7
	v_pk_mul_f32 v[6:7], v[84:85], v[8:9] op_sel_hi:[0,1]
	s_delay_alu instid0(VALU_DEP_4) | instskip(NEXT) | instid1(VALU_DEP_4)
	v_pk_mul_f32 v[14:15], v[84:85], v[14:15] op_sel_hi:[0,1]
	v_cvt_pk_f16_f32 v0, v0, v1
	s_delay_alu instid0(VALU_DEP_4) | instskip(NEXT) | instid1(VALU_DEP_4)
	v_and_b32_e32 v9, 0xffff0000, v12
	v_cvt_pk_f16_f32 v6, v6, v7
	s_delay_alu instid0(VALU_DEP_4) | instskip(NEXT) | instid1(VALU_DEP_4)
	v_cvt_pk_f16_f32 v7, v14, v15
	v_and_b32_e32 v98, 0xffff, v0
	v_lshrrev_b32_e32 v97, 16, v0
	v_lshlrev_b32_e32 v86, 16, v12
	v_and_b32_e32 v1, 0xffff0000, v6
	v_dual_lshlrev_b32 v0, 16, v6 :: v_dual_lshrrev_b32 v87, 16, v7
	v_and_b32_e32 v96, 0xffff, v7
	v_or_b32_e32 v85, v9, v97
	v_or_b32_e32 v84, v86, v98
	s_delay_alu instid0(VALU_DEP_4) | instskip(NEXT) | instid1(VALU_DEP_4)
	v_or_b32_e32 v19, v1, v87
	v_or_b32_e32 v26, v0, v96
	s_and_saveexec_b32 s8, s0
	s_cbranch_execz .LBB287_3480
; %bb.3479:                             ;   in Loop: Header=BB287_2093 Depth=1
	v_dual_cndmask_b32 v6, 0, v97, vcc_lo :: v_dual_cndmask_b32 v7, 0, v98, s1
	v_dual_cndmask_b32 v8, 0, v9, s2 :: v_dual_cndmask_b32 v9, 0, v86, s3
	v_dual_cndmask_b32 v12, 0, v87, s4 :: v_dual_cndmask_b32 v14, 0, v96, s5
	;; [unrolled: 1-line block ×3, first 2 shown]
	s_delay_alu instid0(VALU_DEP_3) | instskip(NEXT) | instid1(VALU_DEP_4)
	v_or_b32_e32 v85, v6, v8
	v_or_b32_e32 v84, v7, v9
	s_delay_alu instid0(VALU_DEP_3) | instskip(NEXT) | instid1(VALU_DEP_4)
	v_or_b32_e32 v19, v12, v1
	v_or_b32_e32 v26, v14, v0
.LBB287_3480:                           ;   in Loop: Header=BB287_2093 Depth=1
	s_or_b32 exec_lo, exec_lo, s8
	;;#ASMSTART
	v_pk_mul_f16 v0, v119, v85;

	;;#ASMEND
	;;#ASMSTART
	v_pk_mul_f16 v1, v117, v84;

	;;#ASMEND
	;; [unrolled: 4-line block ×4, first 2 shown]
	;;#ASMSTART
	v_pk_add_f16 v0, v0, v1;

	;;#ASMEND
	;;#ASMSTART
	v_pk_add_f16 v0, v0, v6;

	;;#ASMEND
	;; [unrolled: 4-line block ×3, first 2 shown]
	v_and_b32_e32 v1, 0xffff, v0
	v_lshrrev_b32_e32 v0, 16, v0
	;;#ASMSTART
	v_cvt_f32_f16 v111, v1;
	;;#ASMEND
	v_mov_b32_e32 v1, 0
	;;#ASMSTART
	v_cvt_f32_f16 v120, v0;
	;;#ASMEND
	flat_load_b64 v[86:87], v[82:83] offset:5376
	flat_load_b32 v84, v[22:23]
	v_mov_b32_e32 v6, 0
	s_mov_b32 s22, exec_lo
	s_wait_loadcnt_dscnt 0x101
	v_and_b32_e32 v0, 0xff, v86
	s_wait_xcnt 0x0
	s_delay_alu instid0(VALU_DEP_1)
	v_cmpx_ne_u16_e32 0, v0
	s_cbranch_execz .LBB287_3488
; %bb.3481:                             ;   in Loop: Header=BB287_2093 Depth=1
	v_mov_b32_e32 v6, 0x8000
	s_mov_b32 s23, exec_lo
	v_cmpx_ne_u16_e32 0x80, v0
	s_cbranch_execz .LBB287_3487
; %bb.3482:                             ;   in Loop: Header=BB287_2093 Depth=1
	v_and_b32_e32 v7, 0x7f, v86
	v_mov_b32_e32 v6, 0x7c01
	s_mov_b32 s24, exec_lo
	s_delay_alu instid0(VALU_DEP_2)
	v_cmpx_ne_u32_e32 0x7f, v7
	s_cbranch_execz .LBB287_3486
; %bb.3483:                             ;   in Loop: Header=BB287_2093 Depth=1
	v_dual_lshrrev_b32 v6, 3, v7 :: v_dual_bitop2_b32 v0, 7, v86 bitop3:0x40
	s_mov_b32 s25, exec_lo
	v_cmpx_gt_u32_e32 8, v7
; %bb.3484:                             ;   in Loop: Header=BB287_2093 Depth=1
	s_delay_alu instid0(VALU_DEP_2) | instskip(NEXT) | instid1(VALU_DEP_1)
	v_clz_i32_u32_e32 v0, v0
	v_min_u32_e32 v0, 32, v0
	s_delay_alu instid0(VALU_DEP_1) | instskip(NEXT) | instid1(VALU_DEP_1)
	v_subrev_nc_u32_e32 v6, 28, v0
	v_lshlrev_b64_e32 v[8:9], v6, v[86:87]
	v_sub_nc_u32_e32 v6, 29, v0
	s_delay_alu instid0(VALU_DEP_2)
	v_and_b32_e32 v0, 7, v8
; %bb.3485:                             ;   in Loop: Header=BB287_2093 Depth=1
	s_or_b32 exec_lo, exec_lo, s25
	s_delay_alu instid0(VALU_DEP_1) | instskip(NEXT) | instid1(VALU_DEP_3)
	v_dual_lshlrev_b32 v7, 8, v86 :: v_dual_lshlrev_b32 v0, 7, v0
	v_lshl_add_u32 v6, v6, 10, 0x2000
	s_delay_alu instid0(VALU_DEP_2) | instskip(NEXT) | instid1(VALU_DEP_2)
	v_and_b32_e32 v7, 0x8000, v7
	v_and_b32_e32 v6, 0xfc00, v6
	s_delay_alu instid0(VALU_DEP_1)
	v_or3_b32 v6, v7, v6, v0
.LBB287_3486:                           ;   in Loop: Header=BB287_2093 Depth=1
	s_or_b32 exec_lo, exec_lo, s24
.LBB287_3487:                           ;   in Loop: Header=BB287_2093 Depth=1
	s_delay_alu instid0(SALU_CYCLE_1)
	s_or_b32 exec_lo, exec_lo, s23
.LBB287_3488:                           ;   in Loop: Header=BB287_2093 Depth=1
	s_delay_alu instid0(SALU_CYCLE_1) | instskip(SKIP_2) | instid1(VALU_DEP_1)
	s_or_b32 exec_lo, exec_lo, s22
	v_lshrrev_b16 v26, 8, v86
	s_mov_b32 s22, exec_lo
	v_cmpx_ne_u16_e32 0, v26
	s_cbranch_execz .LBB287_3496
; %bb.3489:                             ;   in Loop: Header=BB287_2093 Depth=1
	v_bfrev_b32_e32 v1, 1
	s_mov_b32 s23, exec_lo
	v_cmpx_ne_u16_e32 0x80, v26
	s_cbranch_execz .LBB287_3495
; %bb.3490:                             ;   in Loop: Header=BB287_2093 Depth=1
	v_and_b32_e32 v0, 0xffff, v26
	v_mov_b32_e32 v1, 0x7c010000
	s_mov_b32 s24, exec_lo
	s_delay_alu instid0(VALU_DEP_2) | instskip(NEXT) | instid1(VALU_DEP_1)
	v_and_b32_e32 v8, 0x7f, v0
	v_cmpx_ne_u32_e32 0x7f, v8
	s_cbranch_execz .LBB287_3494
; %bb.3491:                             ;   in Loop: Header=BB287_2093 Depth=1
	v_and_b32_e32 v1, 7, v0
	v_lshrrev_b32_e32 v7, 3, v8
	s_mov_b32 s25, exec_lo
	v_cmpx_gt_u32_e32 8, v8
; %bb.3492:                             ;   in Loop: Header=BB287_2093 Depth=1
	s_delay_alu instid0(VALU_DEP_3) | instskip(NEXT) | instid1(VALU_DEP_1)
	v_clz_i32_u32_e32 v1, v1
	v_min_u32_e32 v1, 32, v1
	s_delay_alu instid0(VALU_DEP_1) | instskip(NEXT) | instid1(VALU_DEP_1)
	v_subrev_nc_u32_e32 v7, 28, v1
	v_lshlrev_b64_e32 v[8:9], v7, v[26:27]
	s_delay_alu instid0(VALU_DEP_1)
	v_dual_sub_nc_u32 v7, 29, v1 :: v_dual_bitop2_b32 v1, 7, v8 bitop3:0x40
; %bb.3493:                             ;   in Loop: Header=BB287_2093 Depth=1
	s_or_b32 exec_lo, exec_lo, s25
	s_delay_alu instid0(VALU_DEP_1) | instskip(NEXT) | instid1(VALU_DEP_2)
	v_dual_lshlrev_b32 v0, 8, v0 :: v_dual_lshlrev_b32 v1, 23, v1
	v_lshl_add_u32 v7, v7, 10, 0x2000
	s_delay_alu instid0(VALU_DEP_1) | instskip(NEXT) | instid1(VALU_DEP_1)
	v_and_or_b32 v0, 0x8000, v0, v7
	v_lshl_or_b32 v1, v0, 16, v1
.LBB287_3494:                           ;   in Loop: Header=BB287_2093 Depth=1
	s_or_b32 exec_lo, exec_lo, s24
.LBB287_3495:                           ;   in Loop: Header=BB287_2093 Depth=1
	s_delay_alu instid0(SALU_CYCLE_1)
	s_or_b32 exec_lo, exec_lo, s23
.LBB287_3496:                           ;   in Loop: Header=BB287_2093 Depth=1
	s_delay_alu instid0(SALU_CYCLE_1) | instskip(SKIP_3) | instid1(VALU_DEP_2)
	s_or_b32 exec_lo, exec_lo, s22
	v_dual_mov_b32 v7, 0 :: v_dual_lshrrev_b32 v0, 16, v86
	v_mov_b32_e32 v8, 0
	s_mov_b32 s22, exec_lo
	v_and_b32_e32 v9, 0xff, v0
	s_delay_alu instid0(VALU_DEP_1)
	v_cmpx_ne_u16_e32 0, v9
	s_cbranch_execz .LBB287_3504
; %bb.3497:                             ;   in Loop: Header=BB287_2093 Depth=1
	v_mov_b32_e32 v8, 0x8000
	s_mov_b32 s23, exec_lo
	v_cmpx_ne_u16_e32 0x80, v9
	s_cbranch_execz .LBB287_3503
; %bb.3498:                             ;   in Loop: Header=BB287_2093 Depth=1
	v_bfe_u32 v12, v86, 16, 7
	v_mov_b32_e32 v8, 0x7c01
	s_mov_b32 s24, exec_lo
	s_delay_alu instid0(VALU_DEP_2)
	v_cmpx_ne_u32_e32 0x7f, v12
	s_cbranch_execz .LBB287_3502
; %bb.3499:                             ;   in Loop: Header=BB287_2093 Depth=1
	v_and_b32_e32 v8, 7, v0
	v_lshrrev_b32_e32 v9, 3, v12
	s_mov_b32 s25, exec_lo
	v_cmpx_gt_u32_e32 8, v12
; %bb.3500:                             ;   in Loop: Header=BB287_2093 Depth=1
	s_delay_alu instid0(VALU_DEP_3) | instskip(NEXT) | instid1(VALU_DEP_1)
	v_clz_i32_u32_e32 v8, v8
	v_min_u32_e32 v12, 32, v8
	s_delay_alu instid0(VALU_DEP_1) | instskip(NEXT) | instid1(VALU_DEP_1)
	v_subrev_nc_u32_e32 v8, 28, v12
	v_lshlrev_b64_e32 v[8:9], v8, v[0:1]
	v_sub_nc_u32_e32 v9, 29, v12
	s_delay_alu instid0(VALU_DEP_2)
	v_and_b32_e32 v8, 7, v8
; %bb.3501:                             ;   in Loop: Header=BB287_2093 Depth=1
	s_or_b32 exec_lo, exec_lo, s25
	v_lshlrev_b32_e32 v0, 8, v0
	s_delay_alu instid0(VALU_DEP_3) | instskip(NEXT) | instid1(VALU_DEP_3)
	v_lshl_add_u32 v9, v9, 10, 0x2000
	v_lshlrev_b32_e32 v8, 7, v8
	s_delay_alu instid0(VALU_DEP_3) | instskip(NEXT) | instid1(VALU_DEP_3)
	v_and_b32_e32 v0, 0x8000, v0
	v_and_b32_e32 v9, 0xfc00, v9
	s_delay_alu instid0(VALU_DEP_1)
	v_or3_b32 v8, v0, v9, v8
.LBB287_3502:                           ;   in Loop: Header=BB287_2093 Depth=1
	s_or_b32 exec_lo, exec_lo, s24
.LBB287_3503:                           ;   in Loop: Header=BB287_2093 Depth=1
	s_delay_alu instid0(SALU_CYCLE_1)
	s_or_b32 exec_lo, exec_lo, s23
.LBB287_3504:                           ;   in Loop: Header=BB287_2093 Depth=1
	s_delay_alu instid0(SALU_CYCLE_1) | instskip(NEXT) | instid1(SALU_CYCLE_1)
	s_or_b32 exec_lo, exec_lo, s22
	s_mov_b32 s22, exec_lo
	v_cmpx_lt_u32_e32 0xffffff, v86
	s_cbranch_execz .LBB287_3512
; %bb.3505:                             ;   in Loop: Header=BB287_2093 Depth=1
	v_lshrrev_b32_e32 v26, 24, v86
	v_bfrev_b32_e32 v7, 1
	s_mov_b32 s23, exec_lo
	s_delay_alu instid0(VALU_DEP_2)
	v_cmpx_ne_u32_e32 0x80, v26
	s_cbranch_execz .LBB287_3511
; %bb.3506:                             ;   in Loop: Header=BB287_2093 Depth=1
	v_and_b32_e32 v9, 0x7f, v26
	v_mov_b32_e32 v7, 0x7c010000
	s_mov_b32 s24, exec_lo
	s_delay_alu instid0(VALU_DEP_2)
	v_cmpx_ne_u32_e32 0x7f, v9
	s_cbranch_execz .LBB287_3510
; %bb.3507:                             ;   in Loop: Header=BB287_2093 Depth=1
	v_dual_lshrrev_b32 v7, 3, v9 :: v_dual_bitop2_b32 v0, 7, v26 bitop3:0x40
	s_mov_b32 s25, exec_lo
	v_cmpx_gt_u32_e32 8, v9
; %bb.3508:                             ;   in Loop: Header=BB287_2093 Depth=1
	s_delay_alu instid0(VALU_DEP_2) | instskip(NEXT) | instid1(VALU_DEP_1)
	v_clz_i32_u32_e32 v0, v0
	v_min_u32_e32 v0, 32, v0
	s_delay_alu instid0(VALU_DEP_1) | instskip(NEXT) | instid1(VALU_DEP_1)
	v_subrev_nc_u32_e32 v7, 28, v0
	v_lshlrev_b64_e32 v[14:15], v7, v[26:27]
	s_delay_alu instid0(VALU_DEP_1)
	v_dual_sub_nc_u32 v7, 29, v0 :: v_dual_bitop2_b32 v0, 7, v14 bitop3:0x40
; %bb.3509:                             ;   in Loop: Header=BB287_2093 Depth=1
	s_or_b32 exec_lo, exec_lo, s25
	s_delay_alu instid0(VALU_DEP_1) | instskip(NEXT) | instid1(VALU_DEP_2)
	v_dual_lshlrev_b32 v9, 8, v26 :: v_dual_lshlrev_b32 v0, 23, v0
	v_lshl_add_u32 v7, v7, 10, 0x2000
	s_delay_alu instid0(VALU_DEP_1) | instskip(NEXT) | instid1(VALU_DEP_1)
	v_and_or_b32 v7, 0x8000, v9, v7
	v_lshl_or_b32 v7, v7, 16, v0
.LBB287_3510:                           ;   in Loop: Header=BB287_2093 Depth=1
	s_or_b32 exec_lo, exec_lo, s24
.LBB287_3511:                           ;   in Loop: Header=BB287_2093 Depth=1
	s_delay_alu instid0(SALU_CYCLE_1)
	s_or_b32 exec_lo, exec_lo, s23
.LBB287_3512:                           ;   in Loop: Header=BB287_2093 Depth=1
	s_delay_alu instid0(SALU_CYCLE_1) | instskip(SKIP_4) | instid1(VALU_DEP_3)
	s_or_b32 exec_lo, exec_lo, s22
	v_and_b32_e32 v0, 0xff, v87
	v_dual_mov_b32 v26, v87 :: v_dual_mov_b32 v12, 0
	v_mov_b32_e32 v9, 0
	s_mov_b32 s22, exec_lo
	v_cmpx_ne_u16_e32 0, v0
	s_cbranch_execz .LBB287_3520
; %bb.3513:                             ;   in Loop: Header=BB287_2093 Depth=1
	v_mov_b32_e32 v9, 0x8000
	s_mov_b32 s23, exec_lo
	v_cmpx_ne_u16_e32 0x80, v0
	s_cbranch_execz .LBB287_3519
; %bb.3514:                             ;   in Loop: Header=BB287_2093 Depth=1
	v_and_b32_e32 v16, 0x7f, v87
	v_mov_b32_e32 v9, 0x7c01
	s_mov_b32 s24, exec_lo
	s_delay_alu instid0(VALU_DEP_2)
	v_cmpx_ne_u32_e32 0x7f, v16
	s_cbranch_execz .LBB287_3518
; %bb.3515:                             ;   in Loop: Header=BB287_2093 Depth=1
	v_dual_lshrrev_b32 v9, 3, v16 :: v_dual_bitop2_b32 v0, 7, v87 bitop3:0x40
	s_mov_b32 s25, exec_lo
	v_cmpx_gt_u32_e32 8, v16
; %bb.3516:                             ;   in Loop: Header=BB287_2093 Depth=1
	s_delay_alu instid0(VALU_DEP_2) | instskip(NEXT) | instid1(VALU_DEP_1)
	v_clz_i32_u32_e32 v0, v0
	v_min_u32_e32 v0, 32, v0
	s_delay_alu instid0(VALU_DEP_1) | instskip(NEXT) | instid1(VALU_DEP_1)
	v_subrev_nc_u32_e32 v9, 28, v0
	v_lshlrev_b64_e32 v[14:15], v9, v[26:27]
	s_delay_alu instid0(VALU_DEP_1)
	v_dual_sub_nc_u32 v9, 29, v0 :: v_dual_bitop2_b32 v0, 7, v14 bitop3:0x40
; %bb.3517:                             ;   in Loop: Header=BB287_2093 Depth=1
	s_or_b32 exec_lo, exec_lo, s25
	s_delay_alu instid0(VALU_DEP_1) | instskip(NEXT) | instid1(VALU_DEP_2)
	v_dual_lshlrev_b32 v14, 8, v87 :: v_dual_lshlrev_b32 v0, 7, v0
	v_lshl_add_u32 v9, v9, 10, 0x2000
	s_delay_alu instid0(VALU_DEP_2) | instskip(NEXT) | instid1(VALU_DEP_2)
	v_and_b32_e32 v14, 0x8000, v14
	v_and_b32_e32 v9, 0xfc00, v9
	s_delay_alu instid0(VALU_DEP_1)
	v_or3_b32 v9, v14, v9, v0
.LBB287_3518:                           ;   in Loop: Header=BB287_2093 Depth=1
	s_or_b32 exec_lo, exec_lo, s24
.LBB287_3519:                           ;   in Loop: Header=BB287_2093 Depth=1
	s_delay_alu instid0(SALU_CYCLE_1)
	s_or_b32 exec_lo, exec_lo, s23
.LBB287_3520:                           ;   in Loop: Header=BB287_2093 Depth=1
	s_delay_alu instid0(SALU_CYCLE_1) | instskip(SKIP_3) | instid1(VALU_DEP_2)
	s_or_b32 exec_lo, exec_lo, s22
	v_lshrrev_b16 v26, 8, v26
	v_mov_b32_e32 v16, 0
	s_mov_b32 s22, exec_lo
	v_cmpx_ne_u16_e32 0, v26
	s_cbranch_execz .LBB287_3528
; %bb.3521:                             ;   in Loop: Header=BB287_2093 Depth=1
	v_bfrev_b32_e32 v16, 1
	s_mov_b32 s23, exec_lo
	v_cmpx_ne_u16_e32 0x80, v26
	s_cbranch_execz .LBB287_3527
; %bb.3522:                             ;   in Loop: Header=BB287_2093 Depth=1
	v_and_b32_e32 v0, 0xffff, v26
	v_mov_b32_e32 v16, 0x7c010000
	s_mov_b32 s24, exec_lo
	s_delay_alu instid0(VALU_DEP_2) | instskip(NEXT) | instid1(VALU_DEP_1)
	v_and_b32_e32 v18, 0x7f, v0
	v_cmpx_ne_u32_e32 0x7f, v18
	s_cbranch_execz .LBB287_3526
; %bb.3523:                             ;   in Loop: Header=BB287_2093 Depth=1
	v_dual_lshrrev_b32 v17, 3, v18 :: v_dual_bitop2_b32 v16, 7, v0 bitop3:0x40
	s_mov_b32 s25, exec_lo
	v_cmpx_gt_u32_e32 8, v18
; %bb.3524:                             ;   in Loop: Header=BB287_2093 Depth=1
	s_delay_alu instid0(VALU_DEP_2) | instskip(NEXT) | instid1(VALU_DEP_1)
	v_clz_i32_u32_e32 v14, v16
	v_min_u32_e32 v16, 32, v14
	s_delay_alu instid0(VALU_DEP_1) | instskip(NEXT) | instid1(VALU_DEP_1)
	v_subrev_nc_u32_e32 v14, 28, v16
	v_lshlrev_b64_e32 v[14:15], v14, v[26:27]
	s_delay_alu instid0(VALU_DEP_1)
	v_dual_sub_nc_u32 v17, 29, v16 :: v_dual_bitop2_b32 v16, 7, v14 bitop3:0x40
; %bb.3525:                             ;   in Loop: Header=BB287_2093 Depth=1
	s_or_b32 exec_lo, exec_lo, s25
	v_lshlrev_b32_e32 v0, 8, v0
	s_delay_alu instid0(VALU_DEP_2) | instskip(NEXT) | instid1(VALU_DEP_1)
	v_lshl_add_u32 v14, v17, 10, 0x2000
	v_and_or_b32 v0, 0x8000, v0, v14
	v_lshlrev_b32_e32 v14, 23, v16
	s_delay_alu instid0(VALU_DEP_1)
	v_lshl_or_b32 v16, v0, 16, v14
.LBB287_3526:                           ;   in Loop: Header=BB287_2093 Depth=1
	s_or_b32 exec_lo, exec_lo, s24
.LBB287_3527:                           ;   in Loop: Header=BB287_2093 Depth=1
	s_delay_alu instid0(SALU_CYCLE_1)
	s_or_b32 exec_lo, exec_lo, s23
.LBB287_3528:                           ;   in Loop: Header=BB287_2093 Depth=1
	s_delay_alu instid0(SALU_CYCLE_1) | instskip(SKIP_2) | instid1(VALU_DEP_1)
	s_or_b32 exec_lo, exec_lo, s22
	v_lshrrev_b32_e32 v0, 16, v87
	s_mov_b32 s22, exec_lo
	v_and_b32_e32 v17, 0xff, v0
	s_delay_alu instid0(VALU_DEP_1)
	v_cmpx_ne_u16_e32 0, v17
	s_cbranch_execz .LBB287_3536
; %bb.3529:                             ;   in Loop: Header=BB287_2093 Depth=1
	v_mov_b32_e32 v12, 0x8000
	s_mov_b32 s23, exec_lo
	v_cmpx_ne_u16_e32 0x80, v17
	s_cbranch_execz .LBB287_3535
; %bb.3530:                             ;   in Loop: Header=BB287_2093 Depth=1
	v_bfe_u32 v18, v87, 16, 7
	v_mov_b32_e32 v12, 0x7c01
	s_mov_b32 s24, exec_lo
	s_delay_alu instid0(VALU_DEP_2)
	v_cmpx_ne_u32_e32 0x7f, v18
	s_cbranch_execz .LBB287_3534
; %bb.3531:                             ;   in Loop: Header=BB287_2093 Depth=1
	v_dual_lshrrev_b32 v17, 3, v18 :: v_dual_bitop2_b32 v12, 7, v0 bitop3:0x40
	s_mov_b32 s25, exec_lo
	v_cmpx_gt_u32_e32 8, v18
; %bb.3532:                             ;   in Loop: Header=BB287_2093 Depth=1
	s_delay_alu instid0(VALU_DEP_2) | instskip(NEXT) | instid1(VALU_DEP_1)
	v_clz_i32_u32_e32 v12, v12
	v_min_u32_e32 v12, 32, v12
	s_delay_alu instid0(VALU_DEP_1) | instskip(NEXT) | instid1(VALU_DEP_1)
	v_subrev_nc_u32_e32 v14, 28, v12
	v_lshlrev_b64_e32 v[14:15], v14, v[0:1]
	s_delay_alu instid0(VALU_DEP_1)
	v_dual_sub_nc_u32 v17, 29, v12 :: v_dual_bitop2_b32 v12, 7, v14 bitop3:0x40
; %bb.3533:                             ;   in Loop: Header=BB287_2093 Depth=1
	s_or_b32 exec_lo, exec_lo, s25
	v_lshlrev_b32_e32 v0, 8, v0
	s_delay_alu instid0(VALU_DEP_2) | instskip(NEXT) | instid1(VALU_DEP_3)
	v_lshl_add_u32 v14, v17, 10, 0x2000
	v_lshlrev_b32_e32 v12, 7, v12
	s_delay_alu instid0(VALU_DEP_3) | instskip(NEXT) | instid1(VALU_DEP_3)
	v_and_b32_e32 v0, 0x8000, v0
	v_and_b32_e32 v14, 0xfc00, v14
	s_delay_alu instid0(VALU_DEP_1)
	v_or3_b32 v12, v0, v14, v12
.LBB287_3534:                           ;   in Loop: Header=BB287_2093 Depth=1
	s_or_b32 exec_lo, exec_lo, s24
.LBB287_3535:                           ;   in Loop: Header=BB287_2093 Depth=1
	s_delay_alu instid0(SALU_CYCLE_1)
	s_or_b32 exec_lo, exec_lo, s23
.LBB287_3536:                           ;   in Loop: Header=BB287_2093 Depth=1
	s_delay_alu instid0(SALU_CYCLE_1)
	s_or_b32 exec_lo, exec_lo, s22
	v_mov_b32_e32 v0, 0
	s_mov_b32 s22, exec_lo
	v_cmpx_lt_u64_e64 s[14:15], v[86:87]
	s_cbranch_execz .LBB287_3544
; %bb.3537:                             ;   in Loop: Header=BB287_2093 Depth=1
	v_lshrrev_b32_e32 v26, 24, v87
	v_bfrev_b32_e32 v0, 1
	s_mov_b32 s23, exec_lo
	s_delay_alu instid0(VALU_DEP_2)
	v_cmpx_ne_u32_e32 0x80, v26
	s_cbranch_execz .LBB287_3543
; %bb.3538:                             ;   in Loop: Header=BB287_2093 Depth=1
	v_and_b32_e32 v18, 0x7f, v26
	v_mov_b32_e32 v0, 0x7c010000
	s_mov_b32 s24, exec_lo
	s_delay_alu instid0(VALU_DEP_2)
	v_cmpx_ne_u32_e32 0x7f, v18
	s_cbranch_execz .LBB287_3542
; %bb.3539:                             ;   in Loop: Header=BB287_2093 Depth=1
	v_and_b32_e32 v0, 7, v26
	v_lshrrev_b32_e32 v17, 3, v18
	s_mov_b32 s25, exec_lo
	v_cmpx_gt_u32_e32 8, v18
; %bb.3540:                             ;   in Loop: Header=BB287_2093 Depth=1
	s_delay_alu instid0(VALU_DEP_3) | instskip(NEXT) | instid1(VALU_DEP_1)
	v_clz_i32_u32_e32 v0, v0
	v_min_u32_e32 v0, 32, v0
	s_delay_alu instid0(VALU_DEP_1) | instskip(NEXT) | instid1(VALU_DEP_1)
	v_subrev_nc_u32_e32 v14, 28, v0
	v_lshlrev_b64_e32 v[14:15], v14, v[26:27]
	s_delay_alu instid0(VALU_DEP_1)
	v_dual_sub_nc_u32 v17, 29, v0 :: v_dual_bitop2_b32 v0, 7, v14 bitop3:0x40
; %bb.3541:                             ;   in Loop: Header=BB287_2093 Depth=1
	s_or_b32 exec_lo, exec_lo, s25
	s_delay_alu instid0(VALU_DEP_1) | instskip(NEXT) | instid1(VALU_DEP_2)
	v_dual_lshlrev_b32 v14, 8, v26 :: v_dual_lshlrev_b32 v0, 23, v0
	v_lshl_add_u32 v15, v17, 10, 0x2000
	s_delay_alu instid0(VALU_DEP_1) | instskip(NEXT) | instid1(VALU_DEP_1)
	v_and_or_b32 v14, 0x8000, v14, v15
	v_lshl_or_b32 v0, v14, 16, v0
.LBB287_3542:                           ;   in Loop: Header=BB287_2093 Depth=1
	s_or_b32 exec_lo, exec_lo, s24
.LBB287_3543:                           ;   in Loop: Header=BB287_2093 Depth=1
	s_delay_alu instid0(SALU_CYCLE_1)
	s_or_b32 exec_lo, exec_lo, s23
.LBB287_3544:                           ;   in Loop: Header=BB287_2093 Depth=1
	s_delay_alu instid0(SALU_CYCLE_1) | instskip(SKIP_4) | instid1(VALU_DEP_4)
	s_or_b32 exec_lo, exec_lo, s22
	v_dual_lshrrev_b32 v14, 16, v1 :: v_dual_lshrrev_b32 v15, 16, v7
	v_or_b32_e32 v1, v1, v6
	v_or_b32_e32 v8, v7, v8
	v_or_b32_e32 v12, v0, v12
	v_cvt_f32_f16_e32 v7, v14
	v_cvt_f32_f16_e32 v6, v15
	v_lshrrev_b32_e32 v14, 16, v16
	v_dual_lshrrev_b32 v15, 16, v0 :: v_dual_bitop2_b32 v16, v16, v9 bitop3:0x54
	v_cvt_f32_f16_e32 v0, v8
	s_wait_loadcnt_dscnt 0x0
	v_pk_mul_f32 v[6:7], v[84:85], v[6:7] op_sel_hi:[0,1]
	v_cvt_f32_f16_e32 v1, v1
	v_cvt_f32_f16_e32 v9, v14
	;; [unrolled: 1-line block ×5, first 2 shown]
	v_pk_mul_f32 v[0:1], v[84:85], v[0:1] op_sel_hi:[0,1]
	v_cvt_pk_f16_f32 v12, v6, v7
	v_pk_mul_f32 v[6:7], v[84:85], v[8:9] op_sel_hi:[0,1]
	s_delay_alu instid0(VALU_DEP_4) | instskip(NEXT) | instid1(VALU_DEP_4)
	v_pk_mul_f32 v[14:15], v[84:85], v[14:15] op_sel_hi:[0,1]
	v_cvt_pk_f16_f32 v0, v0, v1
	s_delay_alu instid0(VALU_DEP_4) | instskip(NEXT) | instid1(VALU_DEP_4)
	v_and_b32_e32 v9, 0xffff0000, v12
	v_cvt_pk_f16_f32 v6, v6, v7
	s_delay_alu instid0(VALU_DEP_4) | instskip(NEXT) | instid1(VALU_DEP_4)
	v_cvt_pk_f16_f32 v7, v14, v15
	v_and_b32_e32 v98, 0xffff, v0
	v_lshrrev_b32_e32 v97, 16, v0
	v_lshlrev_b32_e32 v86, 16, v12
	v_and_b32_e32 v1, 0xffff0000, v6
	v_dual_lshlrev_b32 v0, 16, v6 :: v_dual_lshrrev_b32 v87, 16, v7
	v_and_b32_e32 v96, 0xffff, v7
	v_or_b32_e32 v85, v9, v97
	v_or_b32_e32 v84, v86, v98
	s_delay_alu instid0(VALU_DEP_4) | instskip(NEXT) | instid1(VALU_DEP_4)
	v_or_b32_e32 v19, v1, v87
	v_or_b32_e32 v26, v0, v96
	s_and_saveexec_b32 s8, s0
	s_cbranch_execz .LBB287_3546
; %bb.3545:                             ;   in Loop: Header=BB287_2093 Depth=1
	v_dual_cndmask_b32 v6, 0, v97, vcc_lo :: v_dual_cndmask_b32 v7, 0, v98, s1
	v_dual_cndmask_b32 v8, 0, v9, s2 :: v_dual_cndmask_b32 v9, 0, v86, s3
	v_dual_cndmask_b32 v12, 0, v87, s4 :: v_dual_cndmask_b32 v14, 0, v96, s5
	;; [unrolled: 1-line block ×3, first 2 shown]
	s_delay_alu instid0(VALU_DEP_3) | instskip(NEXT) | instid1(VALU_DEP_4)
	v_or_b32_e32 v85, v6, v8
	v_or_b32_e32 v84, v7, v9
	s_delay_alu instid0(VALU_DEP_3) | instskip(NEXT) | instid1(VALU_DEP_4)
	v_or_b32_e32 v19, v12, v1
	v_or_b32_e32 v26, v14, v0
.LBB287_3546:                           ;   in Loop: Header=BB287_2093 Depth=1
	s_or_b32 exec_lo, exec_lo, s8
	;;#ASMSTART
	v_pk_mul_f16 v0, v119, v85;

	;;#ASMEND
	;;#ASMSTART
	v_pk_mul_f16 v1, v117, v84;

	;;#ASMEND
	;; [unrolled: 4-line block ×4, first 2 shown]
	;;#ASMSTART
	v_pk_add_f16 v0, v0, v1;

	;;#ASMEND
	;;#ASMSTART
	v_pk_add_f16 v0, v0, v6;

	;;#ASMEND
	;; [unrolled: 4-line block ×3, first 2 shown]
	v_and_b32_e32 v1, 0xffff, v0
	v_lshrrev_b32_e32 v0, 16, v0
	;;#ASMSTART
	v_cvt_f32_f16 v121, v1;
	;;#ASMEND
	v_mov_b32_e32 v1, 0
	;;#ASMSTART
	v_cvt_f32_f16 v122, v0;
	;;#ASMEND
	flat_load_b64 v[86:87], v[82:83] offset:5632
	flat_load_b32 v84, v[22:23]
	v_mov_b32_e32 v6, 0
	s_mov_b32 s22, exec_lo
	s_wait_loadcnt_dscnt 0x101
	v_and_b32_e32 v0, 0xff, v86
	s_wait_xcnt 0x0
	s_delay_alu instid0(VALU_DEP_1)
	v_cmpx_ne_u16_e32 0, v0
	s_cbranch_execz .LBB287_3554
; %bb.3547:                             ;   in Loop: Header=BB287_2093 Depth=1
	v_mov_b32_e32 v6, 0x8000
	s_mov_b32 s23, exec_lo
	v_cmpx_ne_u16_e32 0x80, v0
	s_cbranch_execz .LBB287_3553
; %bb.3548:                             ;   in Loop: Header=BB287_2093 Depth=1
	v_and_b32_e32 v7, 0x7f, v86
	v_mov_b32_e32 v6, 0x7c01
	s_mov_b32 s24, exec_lo
	s_delay_alu instid0(VALU_DEP_2)
	v_cmpx_ne_u32_e32 0x7f, v7
	s_cbranch_execz .LBB287_3552
; %bb.3549:                             ;   in Loop: Header=BB287_2093 Depth=1
	v_dual_lshrrev_b32 v6, 3, v7 :: v_dual_bitop2_b32 v0, 7, v86 bitop3:0x40
	s_mov_b32 s25, exec_lo
	v_cmpx_gt_u32_e32 8, v7
; %bb.3550:                             ;   in Loop: Header=BB287_2093 Depth=1
	s_delay_alu instid0(VALU_DEP_2) | instskip(NEXT) | instid1(VALU_DEP_1)
	v_clz_i32_u32_e32 v0, v0
	v_min_u32_e32 v0, 32, v0
	s_delay_alu instid0(VALU_DEP_1) | instskip(NEXT) | instid1(VALU_DEP_1)
	v_subrev_nc_u32_e32 v6, 28, v0
	v_lshlrev_b64_e32 v[8:9], v6, v[86:87]
	v_sub_nc_u32_e32 v6, 29, v0
	s_delay_alu instid0(VALU_DEP_2)
	v_and_b32_e32 v0, 7, v8
; %bb.3551:                             ;   in Loop: Header=BB287_2093 Depth=1
	s_or_b32 exec_lo, exec_lo, s25
	s_delay_alu instid0(VALU_DEP_1) | instskip(NEXT) | instid1(VALU_DEP_3)
	v_dual_lshlrev_b32 v7, 8, v86 :: v_dual_lshlrev_b32 v0, 7, v0
	v_lshl_add_u32 v6, v6, 10, 0x2000
	s_delay_alu instid0(VALU_DEP_2) | instskip(NEXT) | instid1(VALU_DEP_2)
	v_and_b32_e32 v7, 0x8000, v7
	v_and_b32_e32 v6, 0xfc00, v6
	s_delay_alu instid0(VALU_DEP_1)
	v_or3_b32 v6, v7, v6, v0
.LBB287_3552:                           ;   in Loop: Header=BB287_2093 Depth=1
	s_or_b32 exec_lo, exec_lo, s24
.LBB287_3553:                           ;   in Loop: Header=BB287_2093 Depth=1
	s_delay_alu instid0(SALU_CYCLE_1)
	s_or_b32 exec_lo, exec_lo, s23
.LBB287_3554:                           ;   in Loop: Header=BB287_2093 Depth=1
	s_delay_alu instid0(SALU_CYCLE_1) | instskip(SKIP_2) | instid1(VALU_DEP_1)
	s_or_b32 exec_lo, exec_lo, s22
	v_lshrrev_b16 v26, 8, v86
	s_mov_b32 s22, exec_lo
	v_cmpx_ne_u16_e32 0, v26
	s_cbranch_execz .LBB287_3562
; %bb.3555:                             ;   in Loop: Header=BB287_2093 Depth=1
	v_bfrev_b32_e32 v1, 1
	s_mov_b32 s23, exec_lo
	v_cmpx_ne_u16_e32 0x80, v26
	s_cbranch_execz .LBB287_3561
; %bb.3556:                             ;   in Loop: Header=BB287_2093 Depth=1
	v_and_b32_e32 v0, 0xffff, v26
	v_mov_b32_e32 v1, 0x7c010000
	s_mov_b32 s24, exec_lo
	s_delay_alu instid0(VALU_DEP_2) | instskip(NEXT) | instid1(VALU_DEP_1)
	v_and_b32_e32 v8, 0x7f, v0
	v_cmpx_ne_u32_e32 0x7f, v8
	s_cbranch_execz .LBB287_3560
; %bb.3557:                             ;   in Loop: Header=BB287_2093 Depth=1
	v_and_b32_e32 v1, 7, v0
	v_lshrrev_b32_e32 v7, 3, v8
	s_mov_b32 s25, exec_lo
	v_cmpx_gt_u32_e32 8, v8
; %bb.3558:                             ;   in Loop: Header=BB287_2093 Depth=1
	s_delay_alu instid0(VALU_DEP_3) | instskip(NEXT) | instid1(VALU_DEP_1)
	v_clz_i32_u32_e32 v1, v1
	v_min_u32_e32 v1, 32, v1
	s_delay_alu instid0(VALU_DEP_1) | instskip(NEXT) | instid1(VALU_DEP_1)
	v_subrev_nc_u32_e32 v7, 28, v1
	v_lshlrev_b64_e32 v[8:9], v7, v[26:27]
	s_delay_alu instid0(VALU_DEP_1)
	v_dual_sub_nc_u32 v7, 29, v1 :: v_dual_bitop2_b32 v1, 7, v8 bitop3:0x40
; %bb.3559:                             ;   in Loop: Header=BB287_2093 Depth=1
	s_or_b32 exec_lo, exec_lo, s25
	s_delay_alu instid0(VALU_DEP_1) | instskip(NEXT) | instid1(VALU_DEP_2)
	v_dual_lshlrev_b32 v0, 8, v0 :: v_dual_lshlrev_b32 v1, 23, v1
	v_lshl_add_u32 v7, v7, 10, 0x2000
	s_delay_alu instid0(VALU_DEP_1) | instskip(NEXT) | instid1(VALU_DEP_1)
	v_and_or_b32 v0, 0x8000, v0, v7
	v_lshl_or_b32 v1, v0, 16, v1
.LBB287_3560:                           ;   in Loop: Header=BB287_2093 Depth=1
	s_or_b32 exec_lo, exec_lo, s24
.LBB287_3561:                           ;   in Loop: Header=BB287_2093 Depth=1
	s_delay_alu instid0(SALU_CYCLE_1)
	s_or_b32 exec_lo, exec_lo, s23
.LBB287_3562:                           ;   in Loop: Header=BB287_2093 Depth=1
	s_delay_alu instid0(SALU_CYCLE_1) | instskip(SKIP_3) | instid1(VALU_DEP_2)
	s_or_b32 exec_lo, exec_lo, s22
	v_dual_mov_b32 v7, 0 :: v_dual_lshrrev_b32 v0, 16, v86
	v_mov_b32_e32 v8, 0
	s_mov_b32 s22, exec_lo
	v_and_b32_e32 v9, 0xff, v0
	s_delay_alu instid0(VALU_DEP_1)
	v_cmpx_ne_u16_e32 0, v9
	s_cbranch_execz .LBB287_3570
; %bb.3563:                             ;   in Loop: Header=BB287_2093 Depth=1
	v_mov_b32_e32 v8, 0x8000
	s_mov_b32 s23, exec_lo
	v_cmpx_ne_u16_e32 0x80, v9
	s_cbranch_execz .LBB287_3569
; %bb.3564:                             ;   in Loop: Header=BB287_2093 Depth=1
	v_bfe_u32 v12, v86, 16, 7
	v_mov_b32_e32 v8, 0x7c01
	s_mov_b32 s24, exec_lo
	s_delay_alu instid0(VALU_DEP_2)
	v_cmpx_ne_u32_e32 0x7f, v12
	s_cbranch_execz .LBB287_3568
; %bb.3565:                             ;   in Loop: Header=BB287_2093 Depth=1
	v_and_b32_e32 v8, 7, v0
	v_lshrrev_b32_e32 v9, 3, v12
	s_mov_b32 s25, exec_lo
	v_cmpx_gt_u32_e32 8, v12
; %bb.3566:                             ;   in Loop: Header=BB287_2093 Depth=1
	s_delay_alu instid0(VALU_DEP_3) | instskip(NEXT) | instid1(VALU_DEP_1)
	v_clz_i32_u32_e32 v8, v8
	v_min_u32_e32 v12, 32, v8
	s_delay_alu instid0(VALU_DEP_1) | instskip(NEXT) | instid1(VALU_DEP_1)
	v_subrev_nc_u32_e32 v8, 28, v12
	v_lshlrev_b64_e32 v[8:9], v8, v[0:1]
	v_sub_nc_u32_e32 v9, 29, v12
	s_delay_alu instid0(VALU_DEP_2)
	v_and_b32_e32 v8, 7, v8
; %bb.3567:                             ;   in Loop: Header=BB287_2093 Depth=1
	s_or_b32 exec_lo, exec_lo, s25
	v_lshlrev_b32_e32 v0, 8, v0
	s_delay_alu instid0(VALU_DEP_3) | instskip(NEXT) | instid1(VALU_DEP_3)
	v_lshl_add_u32 v9, v9, 10, 0x2000
	v_lshlrev_b32_e32 v8, 7, v8
	s_delay_alu instid0(VALU_DEP_3) | instskip(NEXT) | instid1(VALU_DEP_3)
	v_and_b32_e32 v0, 0x8000, v0
	v_and_b32_e32 v9, 0xfc00, v9
	s_delay_alu instid0(VALU_DEP_1)
	v_or3_b32 v8, v0, v9, v8
.LBB287_3568:                           ;   in Loop: Header=BB287_2093 Depth=1
	s_or_b32 exec_lo, exec_lo, s24
.LBB287_3569:                           ;   in Loop: Header=BB287_2093 Depth=1
	s_delay_alu instid0(SALU_CYCLE_1)
	s_or_b32 exec_lo, exec_lo, s23
.LBB287_3570:                           ;   in Loop: Header=BB287_2093 Depth=1
	s_delay_alu instid0(SALU_CYCLE_1) | instskip(NEXT) | instid1(SALU_CYCLE_1)
	s_or_b32 exec_lo, exec_lo, s22
	s_mov_b32 s22, exec_lo
	v_cmpx_lt_u32_e32 0xffffff, v86
	s_cbranch_execz .LBB287_3578
; %bb.3571:                             ;   in Loop: Header=BB287_2093 Depth=1
	v_lshrrev_b32_e32 v26, 24, v86
	v_bfrev_b32_e32 v7, 1
	s_mov_b32 s23, exec_lo
	s_delay_alu instid0(VALU_DEP_2)
	v_cmpx_ne_u32_e32 0x80, v26
	s_cbranch_execz .LBB287_3577
; %bb.3572:                             ;   in Loop: Header=BB287_2093 Depth=1
	v_and_b32_e32 v9, 0x7f, v26
	v_mov_b32_e32 v7, 0x7c010000
	s_mov_b32 s24, exec_lo
	s_delay_alu instid0(VALU_DEP_2)
	v_cmpx_ne_u32_e32 0x7f, v9
	s_cbranch_execz .LBB287_3576
; %bb.3573:                             ;   in Loop: Header=BB287_2093 Depth=1
	v_dual_lshrrev_b32 v7, 3, v9 :: v_dual_bitop2_b32 v0, 7, v26 bitop3:0x40
	s_mov_b32 s25, exec_lo
	v_cmpx_gt_u32_e32 8, v9
; %bb.3574:                             ;   in Loop: Header=BB287_2093 Depth=1
	s_delay_alu instid0(VALU_DEP_2) | instskip(NEXT) | instid1(VALU_DEP_1)
	v_clz_i32_u32_e32 v0, v0
	v_min_u32_e32 v0, 32, v0
	s_delay_alu instid0(VALU_DEP_1) | instskip(NEXT) | instid1(VALU_DEP_1)
	v_subrev_nc_u32_e32 v7, 28, v0
	v_lshlrev_b64_e32 v[14:15], v7, v[26:27]
	s_delay_alu instid0(VALU_DEP_1)
	v_dual_sub_nc_u32 v7, 29, v0 :: v_dual_bitop2_b32 v0, 7, v14 bitop3:0x40
; %bb.3575:                             ;   in Loop: Header=BB287_2093 Depth=1
	s_or_b32 exec_lo, exec_lo, s25
	s_delay_alu instid0(VALU_DEP_1) | instskip(NEXT) | instid1(VALU_DEP_2)
	v_dual_lshlrev_b32 v9, 8, v26 :: v_dual_lshlrev_b32 v0, 23, v0
	v_lshl_add_u32 v7, v7, 10, 0x2000
	s_delay_alu instid0(VALU_DEP_1) | instskip(NEXT) | instid1(VALU_DEP_1)
	v_and_or_b32 v7, 0x8000, v9, v7
	v_lshl_or_b32 v7, v7, 16, v0
.LBB287_3576:                           ;   in Loop: Header=BB287_2093 Depth=1
	s_or_b32 exec_lo, exec_lo, s24
.LBB287_3577:                           ;   in Loop: Header=BB287_2093 Depth=1
	s_delay_alu instid0(SALU_CYCLE_1)
	s_or_b32 exec_lo, exec_lo, s23
.LBB287_3578:                           ;   in Loop: Header=BB287_2093 Depth=1
	s_delay_alu instid0(SALU_CYCLE_1) | instskip(SKIP_4) | instid1(VALU_DEP_3)
	s_or_b32 exec_lo, exec_lo, s22
	v_and_b32_e32 v0, 0xff, v87
	v_dual_mov_b32 v26, v87 :: v_dual_mov_b32 v12, 0
	v_mov_b32_e32 v9, 0
	s_mov_b32 s22, exec_lo
	v_cmpx_ne_u16_e32 0, v0
	s_cbranch_execz .LBB287_3586
; %bb.3579:                             ;   in Loop: Header=BB287_2093 Depth=1
	v_mov_b32_e32 v9, 0x8000
	s_mov_b32 s23, exec_lo
	v_cmpx_ne_u16_e32 0x80, v0
	s_cbranch_execz .LBB287_3585
; %bb.3580:                             ;   in Loop: Header=BB287_2093 Depth=1
	v_and_b32_e32 v16, 0x7f, v87
	v_mov_b32_e32 v9, 0x7c01
	s_mov_b32 s24, exec_lo
	s_delay_alu instid0(VALU_DEP_2)
	v_cmpx_ne_u32_e32 0x7f, v16
	s_cbranch_execz .LBB287_3584
; %bb.3581:                             ;   in Loop: Header=BB287_2093 Depth=1
	v_dual_lshrrev_b32 v9, 3, v16 :: v_dual_bitop2_b32 v0, 7, v87 bitop3:0x40
	s_mov_b32 s25, exec_lo
	v_cmpx_gt_u32_e32 8, v16
; %bb.3582:                             ;   in Loop: Header=BB287_2093 Depth=1
	s_delay_alu instid0(VALU_DEP_2) | instskip(NEXT) | instid1(VALU_DEP_1)
	v_clz_i32_u32_e32 v0, v0
	v_min_u32_e32 v0, 32, v0
	s_delay_alu instid0(VALU_DEP_1) | instskip(NEXT) | instid1(VALU_DEP_1)
	v_subrev_nc_u32_e32 v9, 28, v0
	v_lshlrev_b64_e32 v[14:15], v9, v[26:27]
	s_delay_alu instid0(VALU_DEP_1)
	v_dual_sub_nc_u32 v9, 29, v0 :: v_dual_bitop2_b32 v0, 7, v14 bitop3:0x40
; %bb.3583:                             ;   in Loop: Header=BB287_2093 Depth=1
	s_or_b32 exec_lo, exec_lo, s25
	s_delay_alu instid0(VALU_DEP_1) | instskip(NEXT) | instid1(VALU_DEP_2)
	v_dual_lshlrev_b32 v14, 8, v87 :: v_dual_lshlrev_b32 v0, 7, v0
	v_lshl_add_u32 v9, v9, 10, 0x2000
	s_delay_alu instid0(VALU_DEP_2) | instskip(NEXT) | instid1(VALU_DEP_2)
	v_and_b32_e32 v14, 0x8000, v14
	v_and_b32_e32 v9, 0xfc00, v9
	s_delay_alu instid0(VALU_DEP_1)
	v_or3_b32 v9, v14, v9, v0
.LBB287_3584:                           ;   in Loop: Header=BB287_2093 Depth=1
	s_or_b32 exec_lo, exec_lo, s24
.LBB287_3585:                           ;   in Loop: Header=BB287_2093 Depth=1
	s_delay_alu instid0(SALU_CYCLE_1)
	s_or_b32 exec_lo, exec_lo, s23
.LBB287_3586:                           ;   in Loop: Header=BB287_2093 Depth=1
	s_delay_alu instid0(SALU_CYCLE_1) | instskip(SKIP_3) | instid1(VALU_DEP_2)
	s_or_b32 exec_lo, exec_lo, s22
	v_lshrrev_b16 v26, 8, v26
	v_mov_b32_e32 v16, 0
	s_mov_b32 s22, exec_lo
	v_cmpx_ne_u16_e32 0, v26
	s_cbranch_execz .LBB287_3594
; %bb.3587:                             ;   in Loop: Header=BB287_2093 Depth=1
	v_bfrev_b32_e32 v16, 1
	s_mov_b32 s23, exec_lo
	v_cmpx_ne_u16_e32 0x80, v26
	s_cbranch_execz .LBB287_3593
; %bb.3588:                             ;   in Loop: Header=BB287_2093 Depth=1
	v_and_b32_e32 v0, 0xffff, v26
	v_mov_b32_e32 v16, 0x7c010000
	s_mov_b32 s24, exec_lo
	s_delay_alu instid0(VALU_DEP_2) | instskip(NEXT) | instid1(VALU_DEP_1)
	v_and_b32_e32 v18, 0x7f, v0
	v_cmpx_ne_u32_e32 0x7f, v18
	s_cbranch_execz .LBB287_3592
; %bb.3589:                             ;   in Loop: Header=BB287_2093 Depth=1
	v_dual_lshrrev_b32 v17, 3, v18 :: v_dual_bitop2_b32 v16, 7, v0 bitop3:0x40
	s_mov_b32 s25, exec_lo
	v_cmpx_gt_u32_e32 8, v18
; %bb.3590:                             ;   in Loop: Header=BB287_2093 Depth=1
	s_delay_alu instid0(VALU_DEP_2) | instskip(NEXT) | instid1(VALU_DEP_1)
	v_clz_i32_u32_e32 v14, v16
	v_min_u32_e32 v16, 32, v14
	s_delay_alu instid0(VALU_DEP_1) | instskip(NEXT) | instid1(VALU_DEP_1)
	v_subrev_nc_u32_e32 v14, 28, v16
	v_lshlrev_b64_e32 v[14:15], v14, v[26:27]
	s_delay_alu instid0(VALU_DEP_1)
	v_dual_sub_nc_u32 v17, 29, v16 :: v_dual_bitop2_b32 v16, 7, v14 bitop3:0x40
; %bb.3591:                             ;   in Loop: Header=BB287_2093 Depth=1
	s_or_b32 exec_lo, exec_lo, s25
	v_lshlrev_b32_e32 v0, 8, v0
	s_delay_alu instid0(VALU_DEP_2) | instskip(NEXT) | instid1(VALU_DEP_1)
	v_lshl_add_u32 v14, v17, 10, 0x2000
	v_and_or_b32 v0, 0x8000, v0, v14
	v_lshlrev_b32_e32 v14, 23, v16
	s_delay_alu instid0(VALU_DEP_1)
	v_lshl_or_b32 v16, v0, 16, v14
.LBB287_3592:                           ;   in Loop: Header=BB287_2093 Depth=1
	s_or_b32 exec_lo, exec_lo, s24
.LBB287_3593:                           ;   in Loop: Header=BB287_2093 Depth=1
	s_delay_alu instid0(SALU_CYCLE_1)
	s_or_b32 exec_lo, exec_lo, s23
.LBB287_3594:                           ;   in Loop: Header=BB287_2093 Depth=1
	s_delay_alu instid0(SALU_CYCLE_1) | instskip(SKIP_2) | instid1(VALU_DEP_1)
	s_or_b32 exec_lo, exec_lo, s22
	v_lshrrev_b32_e32 v0, 16, v87
	s_mov_b32 s22, exec_lo
	v_and_b32_e32 v17, 0xff, v0
	s_delay_alu instid0(VALU_DEP_1)
	v_cmpx_ne_u16_e32 0, v17
	s_cbranch_execz .LBB287_3602
; %bb.3595:                             ;   in Loop: Header=BB287_2093 Depth=1
	v_mov_b32_e32 v12, 0x8000
	s_mov_b32 s23, exec_lo
	v_cmpx_ne_u16_e32 0x80, v17
	s_cbranch_execz .LBB287_3601
; %bb.3596:                             ;   in Loop: Header=BB287_2093 Depth=1
	v_bfe_u32 v18, v87, 16, 7
	v_mov_b32_e32 v12, 0x7c01
	s_mov_b32 s24, exec_lo
	s_delay_alu instid0(VALU_DEP_2)
	v_cmpx_ne_u32_e32 0x7f, v18
	s_cbranch_execz .LBB287_3600
; %bb.3597:                             ;   in Loop: Header=BB287_2093 Depth=1
	v_dual_lshrrev_b32 v17, 3, v18 :: v_dual_bitop2_b32 v12, 7, v0 bitop3:0x40
	s_mov_b32 s25, exec_lo
	v_cmpx_gt_u32_e32 8, v18
; %bb.3598:                             ;   in Loop: Header=BB287_2093 Depth=1
	s_delay_alu instid0(VALU_DEP_2) | instskip(NEXT) | instid1(VALU_DEP_1)
	v_clz_i32_u32_e32 v12, v12
	v_min_u32_e32 v12, 32, v12
	s_delay_alu instid0(VALU_DEP_1) | instskip(NEXT) | instid1(VALU_DEP_1)
	v_subrev_nc_u32_e32 v14, 28, v12
	v_lshlrev_b64_e32 v[14:15], v14, v[0:1]
	s_delay_alu instid0(VALU_DEP_1)
	v_dual_sub_nc_u32 v17, 29, v12 :: v_dual_bitop2_b32 v12, 7, v14 bitop3:0x40
; %bb.3599:                             ;   in Loop: Header=BB287_2093 Depth=1
	s_or_b32 exec_lo, exec_lo, s25
	v_lshlrev_b32_e32 v0, 8, v0
	s_delay_alu instid0(VALU_DEP_2) | instskip(NEXT) | instid1(VALU_DEP_3)
	v_lshl_add_u32 v14, v17, 10, 0x2000
	v_lshlrev_b32_e32 v12, 7, v12
	s_delay_alu instid0(VALU_DEP_3) | instskip(NEXT) | instid1(VALU_DEP_3)
	v_and_b32_e32 v0, 0x8000, v0
	v_and_b32_e32 v14, 0xfc00, v14
	s_delay_alu instid0(VALU_DEP_1)
	v_or3_b32 v12, v0, v14, v12
.LBB287_3600:                           ;   in Loop: Header=BB287_2093 Depth=1
	s_or_b32 exec_lo, exec_lo, s24
.LBB287_3601:                           ;   in Loop: Header=BB287_2093 Depth=1
	s_delay_alu instid0(SALU_CYCLE_1)
	s_or_b32 exec_lo, exec_lo, s23
.LBB287_3602:                           ;   in Loop: Header=BB287_2093 Depth=1
	s_delay_alu instid0(SALU_CYCLE_1)
	s_or_b32 exec_lo, exec_lo, s22
	v_mov_b32_e32 v0, 0
	s_mov_b32 s22, exec_lo
	v_cmpx_lt_u64_e64 s[14:15], v[86:87]
	s_cbranch_execz .LBB287_3610
; %bb.3603:                             ;   in Loop: Header=BB287_2093 Depth=1
	v_lshrrev_b32_e32 v26, 24, v87
	v_bfrev_b32_e32 v0, 1
	s_mov_b32 s23, exec_lo
	s_delay_alu instid0(VALU_DEP_2)
	v_cmpx_ne_u32_e32 0x80, v26
	s_cbranch_execz .LBB287_3609
; %bb.3604:                             ;   in Loop: Header=BB287_2093 Depth=1
	v_and_b32_e32 v18, 0x7f, v26
	v_mov_b32_e32 v0, 0x7c010000
	s_mov_b32 s24, exec_lo
	s_delay_alu instid0(VALU_DEP_2)
	v_cmpx_ne_u32_e32 0x7f, v18
	s_cbranch_execz .LBB287_3608
; %bb.3605:                             ;   in Loop: Header=BB287_2093 Depth=1
	v_and_b32_e32 v0, 7, v26
	v_lshrrev_b32_e32 v17, 3, v18
	s_mov_b32 s25, exec_lo
	v_cmpx_gt_u32_e32 8, v18
; %bb.3606:                             ;   in Loop: Header=BB287_2093 Depth=1
	s_delay_alu instid0(VALU_DEP_3) | instskip(NEXT) | instid1(VALU_DEP_1)
	v_clz_i32_u32_e32 v0, v0
	v_min_u32_e32 v0, 32, v0
	s_delay_alu instid0(VALU_DEP_1) | instskip(NEXT) | instid1(VALU_DEP_1)
	v_subrev_nc_u32_e32 v14, 28, v0
	v_lshlrev_b64_e32 v[14:15], v14, v[26:27]
	s_delay_alu instid0(VALU_DEP_1)
	v_dual_sub_nc_u32 v17, 29, v0 :: v_dual_bitop2_b32 v0, 7, v14 bitop3:0x40
; %bb.3607:                             ;   in Loop: Header=BB287_2093 Depth=1
	s_or_b32 exec_lo, exec_lo, s25
	s_delay_alu instid0(VALU_DEP_1) | instskip(NEXT) | instid1(VALU_DEP_2)
	v_dual_lshlrev_b32 v14, 8, v26 :: v_dual_lshlrev_b32 v0, 23, v0
	v_lshl_add_u32 v15, v17, 10, 0x2000
	s_delay_alu instid0(VALU_DEP_1) | instskip(NEXT) | instid1(VALU_DEP_1)
	v_and_or_b32 v14, 0x8000, v14, v15
	v_lshl_or_b32 v0, v14, 16, v0
.LBB287_3608:                           ;   in Loop: Header=BB287_2093 Depth=1
	s_or_b32 exec_lo, exec_lo, s24
.LBB287_3609:                           ;   in Loop: Header=BB287_2093 Depth=1
	s_delay_alu instid0(SALU_CYCLE_1)
	s_or_b32 exec_lo, exec_lo, s23
.LBB287_3610:                           ;   in Loop: Header=BB287_2093 Depth=1
	s_delay_alu instid0(SALU_CYCLE_1) | instskip(SKIP_4) | instid1(VALU_DEP_4)
	s_or_b32 exec_lo, exec_lo, s22
	v_dual_lshrrev_b32 v14, 16, v1 :: v_dual_lshrrev_b32 v15, 16, v7
	v_or_b32_e32 v1, v1, v6
	v_or_b32_e32 v8, v7, v8
	v_or_b32_e32 v12, v0, v12
	v_cvt_f32_f16_e32 v7, v14
	v_cvt_f32_f16_e32 v6, v15
	v_lshrrev_b32_e32 v14, 16, v16
	v_dual_lshrrev_b32 v15, 16, v0 :: v_dual_bitop2_b32 v16, v16, v9 bitop3:0x54
	v_cvt_f32_f16_e32 v0, v8
	s_wait_loadcnt_dscnt 0x0
	v_pk_mul_f32 v[6:7], v[84:85], v[6:7] op_sel_hi:[0,1]
	v_cvt_f32_f16_e32 v1, v1
	v_cvt_f32_f16_e32 v9, v14
	;; [unrolled: 1-line block ×5, first 2 shown]
	v_pk_mul_f32 v[0:1], v[84:85], v[0:1] op_sel_hi:[0,1]
	v_cvt_pk_f16_f32 v12, v6, v7
	v_pk_mul_f32 v[6:7], v[84:85], v[8:9] op_sel_hi:[0,1]
	s_delay_alu instid0(VALU_DEP_4) | instskip(NEXT) | instid1(VALU_DEP_4)
	v_pk_mul_f32 v[14:15], v[84:85], v[14:15] op_sel_hi:[0,1]
	v_cvt_pk_f16_f32 v0, v0, v1
	s_delay_alu instid0(VALU_DEP_4) | instskip(NEXT) | instid1(VALU_DEP_4)
	v_and_b32_e32 v9, 0xffff0000, v12
	v_cvt_pk_f16_f32 v6, v6, v7
	s_delay_alu instid0(VALU_DEP_4) | instskip(NEXT) | instid1(VALU_DEP_4)
	v_cvt_pk_f16_f32 v7, v14, v15
	v_and_b32_e32 v98, 0xffff, v0
	v_lshrrev_b32_e32 v97, 16, v0
	v_lshlrev_b32_e32 v86, 16, v12
	v_and_b32_e32 v1, 0xffff0000, v6
	v_dual_lshlrev_b32 v0, 16, v6 :: v_dual_lshrrev_b32 v87, 16, v7
	v_and_b32_e32 v96, 0xffff, v7
	v_or_b32_e32 v85, v9, v97
	v_or_b32_e32 v84, v86, v98
	s_delay_alu instid0(VALU_DEP_4) | instskip(NEXT) | instid1(VALU_DEP_4)
	v_or_b32_e32 v19, v1, v87
	v_or_b32_e32 v26, v0, v96
	s_and_saveexec_b32 s8, s0
	s_cbranch_execz .LBB287_3612
; %bb.3611:                             ;   in Loop: Header=BB287_2093 Depth=1
	v_dual_cndmask_b32 v6, 0, v97, vcc_lo :: v_dual_cndmask_b32 v7, 0, v98, s1
	v_dual_cndmask_b32 v8, 0, v9, s2 :: v_dual_cndmask_b32 v9, 0, v86, s3
	v_dual_cndmask_b32 v12, 0, v87, s4 :: v_dual_cndmask_b32 v14, 0, v96, s5
	;; [unrolled: 1-line block ×3, first 2 shown]
	s_delay_alu instid0(VALU_DEP_3) | instskip(NEXT) | instid1(VALU_DEP_4)
	v_or_b32_e32 v85, v6, v8
	v_or_b32_e32 v84, v7, v9
	s_delay_alu instid0(VALU_DEP_3) | instskip(NEXT) | instid1(VALU_DEP_4)
	v_or_b32_e32 v19, v12, v1
	v_or_b32_e32 v26, v14, v0
.LBB287_3612:                           ;   in Loop: Header=BB287_2093 Depth=1
	s_or_b32 exec_lo, exec_lo, s8
	;;#ASMSTART
	v_pk_mul_f16 v0, v119, v85;

	;;#ASMEND
	;;#ASMSTART
	v_pk_mul_f16 v1, v117, v84;

	;;#ASMEND
	;; [unrolled: 4-line block ×4, first 2 shown]
	;;#ASMSTART
	v_pk_add_f16 v0, v0, v1;

	;;#ASMEND
	;;#ASMSTART
	v_pk_add_f16 v0, v0, v6;

	;;#ASMEND
	;; [unrolled: 4-line block ×3, first 2 shown]
	v_and_b32_e32 v1, 0xffff, v0
	v_lshrrev_b32_e32 v0, 16, v0
	;;#ASMSTART
	v_cvt_f32_f16 v123, v1;
	;;#ASMEND
	v_mov_b32_e32 v1, 0
	;;#ASMSTART
	v_cvt_f32_f16 v124, v0;
	;;#ASMEND
	flat_load_b64 v[86:87], v[82:83] offset:5888
	flat_load_b32 v84, v[22:23]
	v_mov_b32_e32 v6, 0
	s_mov_b32 s22, exec_lo
	s_wait_loadcnt_dscnt 0x101
	v_and_b32_e32 v0, 0xff, v86
	s_wait_xcnt 0x0
	s_delay_alu instid0(VALU_DEP_1)
	v_cmpx_ne_u16_e32 0, v0
	s_cbranch_execz .LBB287_3620
; %bb.3613:                             ;   in Loop: Header=BB287_2093 Depth=1
	v_mov_b32_e32 v6, 0x8000
	s_mov_b32 s23, exec_lo
	v_cmpx_ne_u16_e32 0x80, v0
	s_cbranch_execz .LBB287_3619
; %bb.3614:                             ;   in Loop: Header=BB287_2093 Depth=1
	v_and_b32_e32 v7, 0x7f, v86
	v_mov_b32_e32 v6, 0x7c01
	s_mov_b32 s24, exec_lo
	s_delay_alu instid0(VALU_DEP_2)
	v_cmpx_ne_u32_e32 0x7f, v7
	s_cbranch_execz .LBB287_3618
; %bb.3615:                             ;   in Loop: Header=BB287_2093 Depth=1
	v_dual_lshrrev_b32 v6, 3, v7 :: v_dual_bitop2_b32 v0, 7, v86 bitop3:0x40
	s_mov_b32 s25, exec_lo
	v_cmpx_gt_u32_e32 8, v7
; %bb.3616:                             ;   in Loop: Header=BB287_2093 Depth=1
	s_delay_alu instid0(VALU_DEP_2) | instskip(NEXT) | instid1(VALU_DEP_1)
	v_clz_i32_u32_e32 v0, v0
	v_min_u32_e32 v0, 32, v0
	s_delay_alu instid0(VALU_DEP_1) | instskip(NEXT) | instid1(VALU_DEP_1)
	v_subrev_nc_u32_e32 v6, 28, v0
	v_lshlrev_b64_e32 v[8:9], v6, v[86:87]
	v_sub_nc_u32_e32 v6, 29, v0
	s_delay_alu instid0(VALU_DEP_2)
	v_and_b32_e32 v0, 7, v8
; %bb.3617:                             ;   in Loop: Header=BB287_2093 Depth=1
	s_or_b32 exec_lo, exec_lo, s25
	s_delay_alu instid0(VALU_DEP_1) | instskip(NEXT) | instid1(VALU_DEP_3)
	v_dual_lshlrev_b32 v7, 8, v86 :: v_dual_lshlrev_b32 v0, 7, v0
	v_lshl_add_u32 v6, v6, 10, 0x2000
	s_delay_alu instid0(VALU_DEP_2) | instskip(NEXT) | instid1(VALU_DEP_2)
	v_and_b32_e32 v7, 0x8000, v7
	v_and_b32_e32 v6, 0xfc00, v6
	s_delay_alu instid0(VALU_DEP_1)
	v_or3_b32 v6, v7, v6, v0
.LBB287_3618:                           ;   in Loop: Header=BB287_2093 Depth=1
	s_or_b32 exec_lo, exec_lo, s24
.LBB287_3619:                           ;   in Loop: Header=BB287_2093 Depth=1
	s_delay_alu instid0(SALU_CYCLE_1)
	s_or_b32 exec_lo, exec_lo, s23
.LBB287_3620:                           ;   in Loop: Header=BB287_2093 Depth=1
	s_delay_alu instid0(SALU_CYCLE_1) | instskip(SKIP_2) | instid1(VALU_DEP_1)
	s_or_b32 exec_lo, exec_lo, s22
	v_lshrrev_b16 v26, 8, v86
	s_mov_b32 s22, exec_lo
	v_cmpx_ne_u16_e32 0, v26
	s_cbranch_execz .LBB287_3628
; %bb.3621:                             ;   in Loop: Header=BB287_2093 Depth=1
	v_bfrev_b32_e32 v1, 1
	s_mov_b32 s23, exec_lo
	v_cmpx_ne_u16_e32 0x80, v26
	s_cbranch_execz .LBB287_3627
; %bb.3622:                             ;   in Loop: Header=BB287_2093 Depth=1
	v_and_b32_e32 v0, 0xffff, v26
	v_mov_b32_e32 v1, 0x7c010000
	s_mov_b32 s24, exec_lo
	s_delay_alu instid0(VALU_DEP_2) | instskip(NEXT) | instid1(VALU_DEP_1)
	v_and_b32_e32 v8, 0x7f, v0
	v_cmpx_ne_u32_e32 0x7f, v8
	s_cbranch_execz .LBB287_3626
; %bb.3623:                             ;   in Loop: Header=BB287_2093 Depth=1
	v_and_b32_e32 v1, 7, v0
	v_lshrrev_b32_e32 v7, 3, v8
	s_mov_b32 s25, exec_lo
	v_cmpx_gt_u32_e32 8, v8
; %bb.3624:                             ;   in Loop: Header=BB287_2093 Depth=1
	s_delay_alu instid0(VALU_DEP_3) | instskip(NEXT) | instid1(VALU_DEP_1)
	v_clz_i32_u32_e32 v1, v1
	v_min_u32_e32 v1, 32, v1
	s_delay_alu instid0(VALU_DEP_1) | instskip(NEXT) | instid1(VALU_DEP_1)
	v_subrev_nc_u32_e32 v7, 28, v1
	v_lshlrev_b64_e32 v[8:9], v7, v[26:27]
	s_delay_alu instid0(VALU_DEP_1)
	v_dual_sub_nc_u32 v7, 29, v1 :: v_dual_bitop2_b32 v1, 7, v8 bitop3:0x40
; %bb.3625:                             ;   in Loop: Header=BB287_2093 Depth=1
	s_or_b32 exec_lo, exec_lo, s25
	s_delay_alu instid0(VALU_DEP_1) | instskip(NEXT) | instid1(VALU_DEP_2)
	v_dual_lshlrev_b32 v0, 8, v0 :: v_dual_lshlrev_b32 v1, 23, v1
	v_lshl_add_u32 v7, v7, 10, 0x2000
	s_delay_alu instid0(VALU_DEP_1) | instskip(NEXT) | instid1(VALU_DEP_1)
	v_and_or_b32 v0, 0x8000, v0, v7
	v_lshl_or_b32 v1, v0, 16, v1
.LBB287_3626:                           ;   in Loop: Header=BB287_2093 Depth=1
	s_or_b32 exec_lo, exec_lo, s24
.LBB287_3627:                           ;   in Loop: Header=BB287_2093 Depth=1
	s_delay_alu instid0(SALU_CYCLE_1)
	s_or_b32 exec_lo, exec_lo, s23
.LBB287_3628:                           ;   in Loop: Header=BB287_2093 Depth=1
	s_delay_alu instid0(SALU_CYCLE_1) | instskip(SKIP_3) | instid1(VALU_DEP_2)
	s_or_b32 exec_lo, exec_lo, s22
	v_dual_mov_b32 v7, 0 :: v_dual_lshrrev_b32 v0, 16, v86
	v_mov_b32_e32 v8, 0
	s_mov_b32 s22, exec_lo
	v_and_b32_e32 v9, 0xff, v0
	s_delay_alu instid0(VALU_DEP_1)
	v_cmpx_ne_u16_e32 0, v9
	s_cbranch_execz .LBB287_3636
; %bb.3629:                             ;   in Loop: Header=BB287_2093 Depth=1
	v_mov_b32_e32 v8, 0x8000
	s_mov_b32 s23, exec_lo
	v_cmpx_ne_u16_e32 0x80, v9
	s_cbranch_execz .LBB287_3635
; %bb.3630:                             ;   in Loop: Header=BB287_2093 Depth=1
	v_bfe_u32 v12, v86, 16, 7
	v_mov_b32_e32 v8, 0x7c01
	s_mov_b32 s24, exec_lo
	s_delay_alu instid0(VALU_DEP_2)
	v_cmpx_ne_u32_e32 0x7f, v12
	s_cbranch_execz .LBB287_3634
; %bb.3631:                             ;   in Loop: Header=BB287_2093 Depth=1
	v_and_b32_e32 v8, 7, v0
	v_lshrrev_b32_e32 v9, 3, v12
	s_mov_b32 s25, exec_lo
	v_cmpx_gt_u32_e32 8, v12
; %bb.3632:                             ;   in Loop: Header=BB287_2093 Depth=1
	s_delay_alu instid0(VALU_DEP_3) | instskip(NEXT) | instid1(VALU_DEP_1)
	v_clz_i32_u32_e32 v8, v8
	v_min_u32_e32 v12, 32, v8
	s_delay_alu instid0(VALU_DEP_1) | instskip(NEXT) | instid1(VALU_DEP_1)
	v_subrev_nc_u32_e32 v8, 28, v12
	v_lshlrev_b64_e32 v[8:9], v8, v[0:1]
	v_sub_nc_u32_e32 v9, 29, v12
	s_delay_alu instid0(VALU_DEP_2)
	v_and_b32_e32 v8, 7, v8
; %bb.3633:                             ;   in Loop: Header=BB287_2093 Depth=1
	s_or_b32 exec_lo, exec_lo, s25
	v_lshlrev_b32_e32 v0, 8, v0
	s_delay_alu instid0(VALU_DEP_3) | instskip(NEXT) | instid1(VALU_DEP_3)
	v_lshl_add_u32 v9, v9, 10, 0x2000
	v_lshlrev_b32_e32 v8, 7, v8
	s_delay_alu instid0(VALU_DEP_3) | instskip(NEXT) | instid1(VALU_DEP_3)
	v_and_b32_e32 v0, 0x8000, v0
	v_and_b32_e32 v9, 0xfc00, v9
	s_delay_alu instid0(VALU_DEP_1)
	v_or3_b32 v8, v0, v9, v8
.LBB287_3634:                           ;   in Loop: Header=BB287_2093 Depth=1
	s_or_b32 exec_lo, exec_lo, s24
.LBB287_3635:                           ;   in Loop: Header=BB287_2093 Depth=1
	s_delay_alu instid0(SALU_CYCLE_1)
	s_or_b32 exec_lo, exec_lo, s23
.LBB287_3636:                           ;   in Loop: Header=BB287_2093 Depth=1
	s_delay_alu instid0(SALU_CYCLE_1) | instskip(NEXT) | instid1(SALU_CYCLE_1)
	s_or_b32 exec_lo, exec_lo, s22
	s_mov_b32 s22, exec_lo
	v_cmpx_lt_u32_e32 0xffffff, v86
	s_cbranch_execz .LBB287_3644
; %bb.3637:                             ;   in Loop: Header=BB287_2093 Depth=1
	v_lshrrev_b32_e32 v26, 24, v86
	v_bfrev_b32_e32 v7, 1
	s_mov_b32 s23, exec_lo
	s_delay_alu instid0(VALU_DEP_2)
	v_cmpx_ne_u32_e32 0x80, v26
	s_cbranch_execz .LBB287_3643
; %bb.3638:                             ;   in Loop: Header=BB287_2093 Depth=1
	v_and_b32_e32 v9, 0x7f, v26
	v_mov_b32_e32 v7, 0x7c010000
	s_mov_b32 s24, exec_lo
	s_delay_alu instid0(VALU_DEP_2)
	v_cmpx_ne_u32_e32 0x7f, v9
	s_cbranch_execz .LBB287_3642
; %bb.3639:                             ;   in Loop: Header=BB287_2093 Depth=1
	v_dual_lshrrev_b32 v7, 3, v9 :: v_dual_bitop2_b32 v0, 7, v26 bitop3:0x40
	s_mov_b32 s25, exec_lo
	v_cmpx_gt_u32_e32 8, v9
; %bb.3640:                             ;   in Loop: Header=BB287_2093 Depth=1
	s_delay_alu instid0(VALU_DEP_2) | instskip(NEXT) | instid1(VALU_DEP_1)
	v_clz_i32_u32_e32 v0, v0
	v_min_u32_e32 v0, 32, v0
	s_delay_alu instid0(VALU_DEP_1) | instskip(NEXT) | instid1(VALU_DEP_1)
	v_subrev_nc_u32_e32 v7, 28, v0
	v_lshlrev_b64_e32 v[14:15], v7, v[26:27]
	s_delay_alu instid0(VALU_DEP_1)
	v_dual_sub_nc_u32 v7, 29, v0 :: v_dual_bitop2_b32 v0, 7, v14 bitop3:0x40
; %bb.3641:                             ;   in Loop: Header=BB287_2093 Depth=1
	s_or_b32 exec_lo, exec_lo, s25
	s_delay_alu instid0(VALU_DEP_1) | instskip(NEXT) | instid1(VALU_DEP_2)
	v_dual_lshlrev_b32 v9, 8, v26 :: v_dual_lshlrev_b32 v0, 23, v0
	v_lshl_add_u32 v7, v7, 10, 0x2000
	s_delay_alu instid0(VALU_DEP_1) | instskip(NEXT) | instid1(VALU_DEP_1)
	v_and_or_b32 v7, 0x8000, v9, v7
	v_lshl_or_b32 v7, v7, 16, v0
.LBB287_3642:                           ;   in Loop: Header=BB287_2093 Depth=1
	s_or_b32 exec_lo, exec_lo, s24
.LBB287_3643:                           ;   in Loop: Header=BB287_2093 Depth=1
	s_delay_alu instid0(SALU_CYCLE_1)
	s_or_b32 exec_lo, exec_lo, s23
.LBB287_3644:                           ;   in Loop: Header=BB287_2093 Depth=1
	s_delay_alu instid0(SALU_CYCLE_1) | instskip(SKIP_4) | instid1(VALU_DEP_3)
	s_or_b32 exec_lo, exec_lo, s22
	v_and_b32_e32 v0, 0xff, v87
	v_dual_mov_b32 v26, v87 :: v_dual_mov_b32 v12, 0
	v_mov_b32_e32 v9, 0
	s_mov_b32 s22, exec_lo
	v_cmpx_ne_u16_e32 0, v0
	s_cbranch_execz .LBB287_3652
; %bb.3645:                             ;   in Loop: Header=BB287_2093 Depth=1
	v_mov_b32_e32 v9, 0x8000
	s_mov_b32 s23, exec_lo
	v_cmpx_ne_u16_e32 0x80, v0
	s_cbranch_execz .LBB287_3651
; %bb.3646:                             ;   in Loop: Header=BB287_2093 Depth=1
	v_and_b32_e32 v16, 0x7f, v87
	v_mov_b32_e32 v9, 0x7c01
	s_mov_b32 s24, exec_lo
	s_delay_alu instid0(VALU_DEP_2)
	v_cmpx_ne_u32_e32 0x7f, v16
	s_cbranch_execz .LBB287_3650
; %bb.3647:                             ;   in Loop: Header=BB287_2093 Depth=1
	v_dual_lshrrev_b32 v9, 3, v16 :: v_dual_bitop2_b32 v0, 7, v87 bitop3:0x40
	s_mov_b32 s25, exec_lo
	v_cmpx_gt_u32_e32 8, v16
; %bb.3648:                             ;   in Loop: Header=BB287_2093 Depth=1
	s_delay_alu instid0(VALU_DEP_2) | instskip(NEXT) | instid1(VALU_DEP_1)
	v_clz_i32_u32_e32 v0, v0
	v_min_u32_e32 v0, 32, v0
	s_delay_alu instid0(VALU_DEP_1) | instskip(NEXT) | instid1(VALU_DEP_1)
	v_subrev_nc_u32_e32 v9, 28, v0
	v_lshlrev_b64_e32 v[14:15], v9, v[26:27]
	s_delay_alu instid0(VALU_DEP_1)
	v_dual_sub_nc_u32 v9, 29, v0 :: v_dual_bitop2_b32 v0, 7, v14 bitop3:0x40
; %bb.3649:                             ;   in Loop: Header=BB287_2093 Depth=1
	s_or_b32 exec_lo, exec_lo, s25
	s_delay_alu instid0(VALU_DEP_1) | instskip(NEXT) | instid1(VALU_DEP_2)
	v_dual_lshlrev_b32 v14, 8, v87 :: v_dual_lshlrev_b32 v0, 7, v0
	v_lshl_add_u32 v9, v9, 10, 0x2000
	s_delay_alu instid0(VALU_DEP_2) | instskip(NEXT) | instid1(VALU_DEP_2)
	v_and_b32_e32 v14, 0x8000, v14
	v_and_b32_e32 v9, 0xfc00, v9
	s_delay_alu instid0(VALU_DEP_1)
	v_or3_b32 v9, v14, v9, v0
.LBB287_3650:                           ;   in Loop: Header=BB287_2093 Depth=1
	s_or_b32 exec_lo, exec_lo, s24
.LBB287_3651:                           ;   in Loop: Header=BB287_2093 Depth=1
	s_delay_alu instid0(SALU_CYCLE_1)
	s_or_b32 exec_lo, exec_lo, s23
.LBB287_3652:                           ;   in Loop: Header=BB287_2093 Depth=1
	s_delay_alu instid0(SALU_CYCLE_1) | instskip(SKIP_3) | instid1(VALU_DEP_2)
	s_or_b32 exec_lo, exec_lo, s22
	v_lshrrev_b16 v26, 8, v26
	v_mov_b32_e32 v16, 0
	s_mov_b32 s22, exec_lo
	v_cmpx_ne_u16_e32 0, v26
	s_cbranch_execz .LBB287_3660
; %bb.3653:                             ;   in Loop: Header=BB287_2093 Depth=1
	v_bfrev_b32_e32 v16, 1
	s_mov_b32 s23, exec_lo
	v_cmpx_ne_u16_e32 0x80, v26
	s_cbranch_execz .LBB287_3659
; %bb.3654:                             ;   in Loop: Header=BB287_2093 Depth=1
	v_and_b32_e32 v0, 0xffff, v26
	v_mov_b32_e32 v16, 0x7c010000
	s_mov_b32 s24, exec_lo
	s_delay_alu instid0(VALU_DEP_2) | instskip(NEXT) | instid1(VALU_DEP_1)
	v_and_b32_e32 v18, 0x7f, v0
	v_cmpx_ne_u32_e32 0x7f, v18
	s_cbranch_execz .LBB287_3658
; %bb.3655:                             ;   in Loop: Header=BB287_2093 Depth=1
	v_dual_lshrrev_b32 v17, 3, v18 :: v_dual_bitop2_b32 v16, 7, v0 bitop3:0x40
	s_mov_b32 s25, exec_lo
	v_cmpx_gt_u32_e32 8, v18
; %bb.3656:                             ;   in Loop: Header=BB287_2093 Depth=1
	s_delay_alu instid0(VALU_DEP_2) | instskip(NEXT) | instid1(VALU_DEP_1)
	v_clz_i32_u32_e32 v14, v16
	v_min_u32_e32 v16, 32, v14
	s_delay_alu instid0(VALU_DEP_1) | instskip(NEXT) | instid1(VALU_DEP_1)
	v_subrev_nc_u32_e32 v14, 28, v16
	v_lshlrev_b64_e32 v[14:15], v14, v[26:27]
	s_delay_alu instid0(VALU_DEP_1)
	v_dual_sub_nc_u32 v17, 29, v16 :: v_dual_bitop2_b32 v16, 7, v14 bitop3:0x40
; %bb.3657:                             ;   in Loop: Header=BB287_2093 Depth=1
	s_or_b32 exec_lo, exec_lo, s25
	v_lshlrev_b32_e32 v0, 8, v0
	s_delay_alu instid0(VALU_DEP_2) | instskip(NEXT) | instid1(VALU_DEP_1)
	v_lshl_add_u32 v14, v17, 10, 0x2000
	v_and_or_b32 v0, 0x8000, v0, v14
	v_lshlrev_b32_e32 v14, 23, v16
	s_delay_alu instid0(VALU_DEP_1)
	v_lshl_or_b32 v16, v0, 16, v14
.LBB287_3658:                           ;   in Loop: Header=BB287_2093 Depth=1
	s_or_b32 exec_lo, exec_lo, s24
.LBB287_3659:                           ;   in Loop: Header=BB287_2093 Depth=1
	s_delay_alu instid0(SALU_CYCLE_1)
	s_or_b32 exec_lo, exec_lo, s23
.LBB287_3660:                           ;   in Loop: Header=BB287_2093 Depth=1
	s_delay_alu instid0(SALU_CYCLE_1) | instskip(SKIP_2) | instid1(VALU_DEP_1)
	s_or_b32 exec_lo, exec_lo, s22
	v_lshrrev_b32_e32 v0, 16, v87
	s_mov_b32 s22, exec_lo
	v_and_b32_e32 v17, 0xff, v0
	s_delay_alu instid0(VALU_DEP_1)
	v_cmpx_ne_u16_e32 0, v17
	s_cbranch_execz .LBB287_3668
; %bb.3661:                             ;   in Loop: Header=BB287_2093 Depth=1
	v_mov_b32_e32 v12, 0x8000
	s_mov_b32 s23, exec_lo
	v_cmpx_ne_u16_e32 0x80, v17
	s_cbranch_execz .LBB287_3667
; %bb.3662:                             ;   in Loop: Header=BB287_2093 Depth=1
	v_bfe_u32 v18, v87, 16, 7
	v_mov_b32_e32 v12, 0x7c01
	s_mov_b32 s24, exec_lo
	s_delay_alu instid0(VALU_DEP_2)
	v_cmpx_ne_u32_e32 0x7f, v18
	s_cbranch_execz .LBB287_3666
; %bb.3663:                             ;   in Loop: Header=BB287_2093 Depth=1
	v_dual_lshrrev_b32 v17, 3, v18 :: v_dual_bitop2_b32 v12, 7, v0 bitop3:0x40
	s_mov_b32 s25, exec_lo
	v_cmpx_gt_u32_e32 8, v18
; %bb.3664:                             ;   in Loop: Header=BB287_2093 Depth=1
	s_delay_alu instid0(VALU_DEP_2) | instskip(NEXT) | instid1(VALU_DEP_1)
	v_clz_i32_u32_e32 v12, v12
	v_min_u32_e32 v12, 32, v12
	s_delay_alu instid0(VALU_DEP_1) | instskip(NEXT) | instid1(VALU_DEP_1)
	v_subrev_nc_u32_e32 v14, 28, v12
	v_lshlrev_b64_e32 v[14:15], v14, v[0:1]
	s_delay_alu instid0(VALU_DEP_1)
	v_dual_sub_nc_u32 v17, 29, v12 :: v_dual_bitop2_b32 v12, 7, v14 bitop3:0x40
; %bb.3665:                             ;   in Loop: Header=BB287_2093 Depth=1
	s_or_b32 exec_lo, exec_lo, s25
	v_lshlrev_b32_e32 v0, 8, v0
	s_delay_alu instid0(VALU_DEP_2) | instskip(NEXT) | instid1(VALU_DEP_3)
	v_lshl_add_u32 v14, v17, 10, 0x2000
	v_lshlrev_b32_e32 v12, 7, v12
	s_delay_alu instid0(VALU_DEP_3) | instskip(NEXT) | instid1(VALU_DEP_3)
	v_and_b32_e32 v0, 0x8000, v0
	v_and_b32_e32 v14, 0xfc00, v14
	s_delay_alu instid0(VALU_DEP_1)
	v_or3_b32 v12, v0, v14, v12
.LBB287_3666:                           ;   in Loop: Header=BB287_2093 Depth=1
	s_or_b32 exec_lo, exec_lo, s24
.LBB287_3667:                           ;   in Loop: Header=BB287_2093 Depth=1
	s_delay_alu instid0(SALU_CYCLE_1)
	s_or_b32 exec_lo, exec_lo, s23
.LBB287_3668:                           ;   in Loop: Header=BB287_2093 Depth=1
	s_delay_alu instid0(SALU_CYCLE_1)
	s_or_b32 exec_lo, exec_lo, s22
	v_mov_b32_e32 v0, 0
	s_mov_b32 s22, exec_lo
	v_cmpx_lt_u64_e64 s[14:15], v[86:87]
	s_cbranch_execz .LBB287_3676
; %bb.3669:                             ;   in Loop: Header=BB287_2093 Depth=1
	v_lshrrev_b32_e32 v26, 24, v87
	v_bfrev_b32_e32 v0, 1
	s_mov_b32 s23, exec_lo
	s_delay_alu instid0(VALU_DEP_2)
	v_cmpx_ne_u32_e32 0x80, v26
	s_cbranch_execz .LBB287_3675
; %bb.3670:                             ;   in Loop: Header=BB287_2093 Depth=1
	v_and_b32_e32 v18, 0x7f, v26
	v_mov_b32_e32 v0, 0x7c010000
	s_mov_b32 s24, exec_lo
	s_delay_alu instid0(VALU_DEP_2)
	v_cmpx_ne_u32_e32 0x7f, v18
	s_cbranch_execz .LBB287_3674
; %bb.3671:                             ;   in Loop: Header=BB287_2093 Depth=1
	v_and_b32_e32 v0, 7, v26
	v_lshrrev_b32_e32 v17, 3, v18
	s_mov_b32 s25, exec_lo
	v_cmpx_gt_u32_e32 8, v18
; %bb.3672:                             ;   in Loop: Header=BB287_2093 Depth=1
	s_delay_alu instid0(VALU_DEP_3) | instskip(NEXT) | instid1(VALU_DEP_1)
	v_clz_i32_u32_e32 v0, v0
	v_min_u32_e32 v0, 32, v0
	s_delay_alu instid0(VALU_DEP_1) | instskip(NEXT) | instid1(VALU_DEP_1)
	v_subrev_nc_u32_e32 v14, 28, v0
	v_lshlrev_b64_e32 v[14:15], v14, v[26:27]
	s_delay_alu instid0(VALU_DEP_1)
	v_dual_sub_nc_u32 v17, 29, v0 :: v_dual_bitop2_b32 v0, 7, v14 bitop3:0x40
; %bb.3673:                             ;   in Loop: Header=BB287_2093 Depth=1
	s_or_b32 exec_lo, exec_lo, s25
	s_delay_alu instid0(VALU_DEP_1) | instskip(NEXT) | instid1(VALU_DEP_2)
	v_dual_lshlrev_b32 v14, 8, v26 :: v_dual_lshlrev_b32 v0, 23, v0
	v_lshl_add_u32 v15, v17, 10, 0x2000
	s_delay_alu instid0(VALU_DEP_1) | instskip(NEXT) | instid1(VALU_DEP_1)
	v_and_or_b32 v14, 0x8000, v14, v15
	v_lshl_or_b32 v0, v14, 16, v0
.LBB287_3674:                           ;   in Loop: Header=BB287_2093 Depth=1
	s_or_b32 exec_lo, exec_lo, s24
.LBB287_3675:                           ;   in Loop: Header=BB287_2093 Depth=1
	s_delay_alu instid0(SALU_CYCLE_1)
	s_or_b32 exec_lo, exec_lo, s23
.LBB287_3676:                           ;   in Loop: Header=BB287_2093 Depth=1
	s_delay_alu instid0(SALU_CYCLE_1) | instskip(SKIP_4) | instid1(VALU_DEP_4)
	s_or_b32 exec_lo, exec_lo, s22
	v_dual_lshrrev_b32 v14, 16, v1 :: v_dual_lshrrev_b32 v15, 16, v7
	v_or_b32_e32 v1, v1, v6
	v_or_b32_e32 v8, v7, v8
	;; [unrolled: 1-line block ×3, first 2 shown]
	v_cvt_f32_f16_e32 v7, v14
	v_cvt_f32_f16_e32 v6, v15
	v_lshrrev_b32_e32 v14, 16, v16
	v_dual_lshrrev_b32 v15, 16, v0 :: v_dual_bitop2_b32 v16, v16, v9 bitop3:0x54
	v_cvt_f32_f16_e32 v0, v8
	s_wait_loadcnt_dscnt 0x0
	v_pk_mul_f32 v[6:7], v[84:85], v[6:7] op_sel_hi:[0,1]
	v_cvt_f32_f16_e32 v1, v1
	v_cvt_f32_f16_e32 v9, v14
	v_cvt_f32_f16_e32 v8, v15
	v_cvt_f32_f16_e32 v14, v12
	v_cvt_f32_f16_e32 v15, v16
	v_pk_mul_f32 v[0:1], v[84:85], v[0:1] op_sel_hi:[0,1]
	v_cvt_pk_f16_f32 v12, v6, v7
	v_pk_mul_f32 v[6:7], v[84:85], v[8:9] op_sel_hi:[0,1]
	s_delay_alu instid0(VALU_DEP_4) | instskip(NEXT) | instid1(VALU_DEP_4)
	v_pk_mul_f32 v[14:15], v[84:85], v[14:15] op_sel_hi:[0,1]
	v_cvt_pk_f16_f32 v0, v0, v1
	s_delay_alu instid0(VALU_DEP_4) | instskip(NEXT) | instid1(VALU_DEP_4)
	v_and_b32_e32 v9, 0xffff0000, v12
	v_cvt_pk_f16_f32 v6, v6, v7
	s_delay_alu instid0(VALU_DEP_4) | instskip(NEXT) | instid1(VALU_DEP_4)
	v_cvt_pk_f16_f32 v7, v14, v15
	v_and_b32_e32 v98, 0xffff, v0
	v_lshrrev_b32_e32 v97, 16, v0
	v_lshlrev_b32_e32 v86, 16, v12
	v_and_b32_e32 v1, 0xffff0000, v6
	v_dual_lshlrev_b32 v0, 16, v6 :: v_dual_lshrrev_b32 v87, 16, v7
	v_and_b32_e32 v96, 0xffff, v7
	v_or_b32_e32 v85, v9, v97
	v_or_b32_e32 v84, v86, v98
	s_delay_alu instid0(VALU_DEP_4) | instskip(NEXT) | instid1(VALU_DEP_4)
	v_or_b32_e32 v19, v1, v87
	v_or_b32_e32 v26, v0, v96
	s_and_saveexec_b32 s8, s0
	s_cbranch_execz .LBB287_3678
; %bb.3677:                             ;   in Loop: Header=BB287_2093 Depth=1
	v_dual_cndmask_b32 v6, 0, v97, vcc_lo :: v_dual_cndmask_b32 v7, 0, v98, s1
	v_dual_cndmask_b32 v8, 0, v9, s2 :: v_dual_cndmask_b32 v9, 0, v86, s3
	v_dual_cndmask_b32 v12, 0, v87, s4 :: v_dual_cndmask_b32 v14, 0, v96, s5
	;; [unrolled: 1-line block ×3, first 2 shown]
	s_delay_alu instid0(VALU_DEP_3) | instskip(NEXT) | instid1(VALU_DEP_4)
	v_or_b32_e32 v85, v6, v8
	v_or_b32_e32 v84, v7, v9
	s_delay_alu instid0(VALU_DEP_3) | instskip(NEXT) | instid1(VALU_DEP_4)
	v_or_b32_e32 v19, v12, v1
	v_or_b32_e32 v26, v14, v0
.LBB287_3678:                           ;   in Loop: Header=BB287_2093 Depth=1
	s_or_b32 exec_lo, exec_lo, s8
	;;#ASMSTART
	v_pk_mul_f16 v0, v119, v85;

	;;#ASMEND
	;;#ASMSTART
	v_pk_mul_f16 v1, v117, v84;

	;;#ASMEND
	;; [unrolled: 4-line block ×4, first 2 shown]
	;;#ASMSTART
	v_pk_add_f16 v0, v0, v1;

	;;#ASMEND
	;;#ASMSTART
	v_pk_add_f16 v0, v0, v6;

	;;#ASMEND
	;; [unrolled: 4-line block ×3, first 2 shown]
	v_and_b32_e32 v1, 0xffff, v0
	v_lshrrev_b32_e32 v0, 16, v0
	;;#ASMSTART
	v_cvt_f32_f16 v125, v1;
	;;#ASMEND
	v_mov_b32_e32 v1, 0
	;;#ASMSTART
	v_cvt_f32_f16 v126, v0;
	;;#ASMEND
	flat_load_b64 v[86:87], v[82:83] offset:6144
	flat_load_b32 v84, v[22:23]
	v_mov_b32_e32 v6, 0
	s_mov_b32 s22, exec_lo
	s_wait_loadcnt_dscnt 0x101
	v_and_b32_e32 v0, 0xff, v86
	s_wait_xcnt 0x0
	s_delay_alu instid0(VALU_DEP_1)
	v_cmpx_ne_u16_e32 0, v0
	s_cbranch_execz .LBB287_3686
; %bb.3679:                             ;   in Loop: Header=BB287_2093 Depth=1
	v_mov_b32_e32 v6, 0x8000
	s_mov_b32 s23, exec_lo
	v_cmpx_ne_u16_e32 0x80, v0
	s_cbranch_execz .LBB287_3685
; %bb.3680:                             ;   in Loop: Header=BB287_2093 Depth=1
	v_and_b32_e32 v7, 0x7f, v86
	v_mov_b32_e32 v6, 0x7c01
	s_mov_b32 s24, exec_lo
	s_delay_alu instid0(VALU_DEP_2)
	v_cmpx_ne_u32_e32 0x7f, v7
	s_cbranch_execz .LBB287_3684
; %bb.3681:                             ;   in Loop: Header=BB287_2093 Depth=1
	v_dual_lshrrev_b32 v6, 3, v7 :: v_dual_bitop2_b32 v0, 7, v86 bitop3:0x40
	s_mov_b32 s25, exec_lo
	v_cmpx_gt_u32_e32 8, v7
; %bb.3682:                             ;   in Loop: Header=BB287_2093 Depth=1
	s_delay_alu instid0(VALU_DEP_2) | instskip(NEXT) | instid1(VALU_DEP_1)
	v_clz_i32_u32_e32 v0, v0
	v_min_u32_e32 v0, 32, v0
	s_delay_alu instid0(VALU_DEP_1) | instskip(NEXT) | instid1(VALU_DEP_1)
	v_subrev_nc_u32_e32 v6, 28, v0
	v_lshlrev_b64_e32 v[8:9], v6, v[86:87]
	v_sub_nc_u32_e32 v6, 29, v0
	s_delay_alu instid0(VALU_DEP_2)
	v_and_b32_e32 v0, 7, v8
; %bb.3683:                             ;   in Loop: Header=BB287_2093 Depth=1
	s_or_b32 exec_lo, exec_lo, s25
	s_delay_alu instid0(VALU_DEP_1) | instskip(NEXT) | instid1(VALU_DEP_3)
	v_dual_lshlrev_b32 v7, 8, v86 :: v_dual_lshlrev_b32 v0, 7, v0
	v_lshl_add_u32 v6, v6, 10, 0x2000
	s_delay_alu instid0(VALU_DEP_2) | instskip(NEXT) | instid1(VALU_DEP_2)
	v_and_b32_e32 v7, 0x8000, v7
	v_and_b32_e32 v6, 0xfc00, v6
	s_delay_alu instid0(VALU_DEP_1)
	v_or3_b32 v6, v7, v6, v0
.LBB287_3684:                           ;   in Loop: Header=BB287_2093 Depth=1
	s_or_b32 exec_lo, exec_lo, s24
.LBB287_3685:                           ;   in Loop: Header=BB287_2093 Depth=1
	s_delay_alu instid0(SALU_CYCLE_1)
	s_or_b32 exec_lo, exec_lo, s23
.LBB287_3686:                           ;   in Loop: Header=BB287_2093 Depth=1
	s_delay_alu instid0(SALU_CYCLE_1) | instskip(SKIP_2) | instid1(VALU_DEP_1)
	s_or_b32 exec_lo, exec_lo, s22
	v_lshrrev_b16 v26, 8, v86
	s_mov_b32 s22, exec_lo
	v_cmpx_ne_u16_e32 0, v26
	s_cbranch_execz .LBB287_3694
; %bb.3687:                             ;   in Loop: Header=BB287_2093 Depth=1
	v_bfrev_b32_e32 v1, 1
	s_mov_b32 s23, exec_lo
	v_cmpx_ne_u16_e32 0x80, v26
	s_cbranch_execz .LBB287_3693
; %bb.3688:                             ;   in Loop: Header=BB287_2093 Depth=1
	v_and_b32_e32 v0, 0xffff, v26
	v_mov_b32_e32 v1, 0x7c010000
	s_mov_b32 s24, exec_lo
	s_delay_alu instid0(VALU_DEP_2) | instskip(NEXT) | instid1(VALU_DEP_1)
	v_and_b32_e32 v8, 0x7f, v0
	v_cmpx_ne_u32_e32 0x7f, v8
	s_cbranch_execz .LBB287_3692
; %bb.3689:                             ;   in Loop: Header=BB287_2093 Depth=1
	v_and_b32_e32 v1, 7, v0
	v_lshrrev_b32_e32 v7, 3, v8
	s_mov_b32 s25, exec_lo
	v_cmpx_gt_u32_e32 8, v8
; %bb.3690:                             ;   in Loop: Header=BB287_2093 Depth=1
	s_delay_alu instid0(VALU_DEP_3) | instskip(NEXT) | instid1(VALU_DEP_1)
	v_clz_i32_u32_e32 v1, v1
	v_min_u32_e32 v1, 32, v1
	s_delay_alu instid0(VALU_DEP_1) | instskip(NEXT) | instid1(VALU_DEP_1)
	v_subrev_nc_u32_e32 v7, 28, v1
	v_lshlrev_b64_e32 v[8:9], v7, v[26:27]
	s_delay_alu instid0(VALU_DEP_1)
	v_dual_sub_nc_u32 v7, 29, v1 :: v_dual_bitop2_b32 v1, 7, v8 bitop3:0x40
; %bb.3691:                             ;   in Loop: Header=BB287_2093 Depth=1
	s_or_b32 exec_lo, exec_lo, s25
	s_delay_alu instid0(VALU_DEP_1) | instskip(NEXT) | instid1(VALU_DEP_2)
	v_dual_lshlrev_b32 v0, 8, v0 :: v_dual_lshlrev_b32 v1, 23, v1
	v_lshl_add_u32 v7, v7, 10, 0x2000
	s_delay_alu instid0(VALU_DEP_1) | instskip(NEXT) | instid1(VALU_DEP_1)
	v_and_or_b32 v0, 0x8000, v0, v7
	v_lshl_or_b32 v1, v0, 16, v1
.LBB287_3692:                           ;   in Loop: Header=BB287_2093 Depth=1
	s_or_b32 exec_lo, exec_lo, s24
.LBB287_3693:                           ;   in Loop: Header=BB287_2093 Depth=1
	s_delay_alu instid0(SALU_CYCLE_1)
	s_or_b32 exec_lo, exec_lo, s23
.LBB287_3694:                           ;   in Loop: Header=BB287_2093 Depth=1
	s_delay_alu instid0(SALU_CYCLE_1) | instskip(SKIP_3) | instid1(VALU_DEP_2)
	s_or_b32 exec_lo, exec_lo, s22
	v_dual_mov_b32 v7, 0 :: v_dual_lshrrev_b32 v0, 16, v86
	v_mov_b32_e32 v8, 0
	s_mov_b32 s22, exec_lo
	v_and_b32_e32 v9, 0xff, v0
	s_delay_alu instid0(VALU_DEP_1)
	v_cmpx_ne_u16_e32 0, v9
	s_cbranch_execz .LBB287_3702
; %bb.3695:                             ;   in Loop: Header=BB287_2093 Depth=1
	v_mov_b32_e32 v8, 0x8000
	s_mov_b32 s23, exec_lo
	v_cmpx_ne_u16_e32 0x80, v9
	s_cbranch_execz .LBB287_3701
; %bb.3696:                             ;   in Loop: Header=BB287_2093 Depth=1
	v_bfe_u32 v12, v86, 16, 7
	v_mov_b32_e32 v8, 0x7c01
	s_mov_b32 s24, exec_lo
	s_delay_alu instid0(VALU_DEP_2)
	v_cmpx_ne_u32_e32 0x7f, v12
	s_cbranch_execz .LBB287_3700
; %bb.3697:                             ;   in Loop: Header=BB287_2093 Depth=1
	v_and_b32_e32 v8, 7, v0
	v_lshrrev_b32_e32 v9, 3, v12
	s_mov_b32 s25, exec_lo
	v_cmpx_gt_u32_e32 8, v12
; %bb.3698:                             ;   in Loop: Header=BB287_2093 Depth=1
	s_delay_alu instid0(VALU_DEP_3) | instskip(NEXT) | instid1(VALU_DEP_1)
	v_clz_i32_u32_e32 v8, v8
	v_min_u32_e32 v12, 32, v8
	s_delay_alu instid0(VALU_DEP_1) | instskip(NEXT) | instid1(VALU_DEP_1)
	v_subrev_nc_u32_e32 v8, 28, v12
	v_lshlrev_b64_e32 v[8:9], v8, v[0:1]
	v_sub_nc_u32_e32 v9, 29, v12
	s_delay_alu instid0(VALU_DEP_2)
	v_and_b32_e32 v8, 7, v8
; %bb.3699:                             ;   in Loop: Header=BB287_2093 Depth=1
	s_or_b32 exec_lo, exec_lo, s25
	v_lshlrev_b32_e32 v0, 8, v0
	s_delay_alu instid0(VALU_DEP_3) | instskip(NEXT) | instid1(VALU_DEP_3)
	v_lshl_add_u32 v9, v9, 10, 0x2000
	v_lshlrev_b32_e32 v8, 7, v8
	s_delay_alu instid0(VALU_DEP_3) | instskip(NEXT) | instid1(VALU_DEP_3)
	v_and_b32_e32 v0, 0x8000, v0
	v_and_b32_e32 v9, 0xfc00, v9
	s_delay_alu instid0(VALU_DEP_1)
	v_or3_b32 v8, v0, v9, v8
.LBB287_3700:                           ;   in Loop: Header=BB287_2093 Depth=1
	s_or_b32 exec_lo, exec_lo, s24
.LBB287_3701:                           ;   in Loop: Header=BB287_2093 Depth=1
	s_delay_alu instid0(SALU_CYCLE_1)
	s_or_b32 exec_lo, exec_lo, s23
.LBB287_3702:                           ;   in Loop: Header=BB287_2093 Depth=1
	s_delay_alu instid0(SALU_CYCLE_1) | instskip(NEXT) | instid1(SALU_CYCLE_1)
	s_or_b32 exec_lo, exec_lo, s22
	s_mov_b32 s22, exec_lo
	v_cmpx_lt_u32_e32 0xffffff, v86
	s_cbranch_execz .LBB287_3710
; %bb.3703:                             ;   in Loop: Header=BB287_2093 Depth=1
	v_lshrrev_b32_e32 v26, 24, v86
	v_bfrev_b32_e32 v7, 1
	s_mov_b32 s23, exec_lo
	s_delay_alu instid0(VALU_DEP_2)
	v_cmpx_ne_u32_e32 0x80, v26
	s_cbranch_execz .LBB287_3709
; %bb.3704:                             ;   in Loop: Header=BB287_2093 Depth=1
	v_and_b32_e32 v9, 0x7f, v26
	v_mov_b32_e32 v7, 0x7c010000
	s_mov_b32 s24, exec_lo
	s_delay_alu instid0(VALU_DEP_2)
	v_cmpx_ne_u32_e32 0x7f, v9
	s_cbranch_execz .LBB287_3708
; %bb.3705:                             ;   in Loop: Header=BB287_2093 Depth=1
	v_dual_lshrrev_b32 v7, 3, v9 :: v_dual_bitop2_b32 v0, 7, v26 bitop3:0x40
	s_mov_b32 s25, exec_lo
	v_cmpx_gt_u32_e32 8, v9
; %bb.3706:                             ;   in Loop: Header=BB287_2093 Depth=1
	s_delay_alu instid0(VALU_DEP_2) | instskip(NEXT) | instid1(VALU_DEP_1)
	v_clz_i32_u32_e32 v0, v0
	v_min_u32_e32 v0, 32, v0
	s_delay_alu instid0(VALU_DEP_1) | instskip(NEXT) | instid1(VALU_DEP_1)
	v_subrev_nc_u32_e32 v7, 28, v0
	v_lshlrev_b64_e32 v[14:15], v7, v[26:27]
	s_delay_alu instid0(VALU_DEP_1)
	v_dual_sub_nc_u32 v7, 29, v0 :: v_dual_bitop2_b32 v0, 7, v14 bitop3:0x40
; %bb.3707:                             ;   in Loop: Header=BB287_2093 Depth=1
	s_or_b32 exec_lo, exec_lo, s25
	s_delay_alu instid0(VALU_DEP_1) | instskip(NEXT) | instid1(VALU_DEP_2)
	v_dual_lshlrev_b32 v9, 8, v26 :: v_dual_lshlrev_b32 v0, 23, v0
	v_lshl_add_u32 v7, v7, 10, 0x2000
	s_delay_alu instid0(VALU_DEP_1) | instskip(NEXT) | instid1(VALU_DEP_1)
	v_and_or_b32 v7, 0x8000, v9, v7
	v_lshl_or_b32 v7, v7, 16, v0
.LBB287_3708:                           ;   in Loop: Header=BB287_2093 Depth=1
	s_or_b32 exec_lo, exec_lo, s24
.LBB287_3709:                           ;   in Loop: Header=BB287_2093 Depth=1
	s_delay_alu instid0(SALU_CYCLE_1)
	s_or_b32 exec_lo, exec_lo, s23
.LBB287_3710:                           ;   in Loop: Header=BB287_2093 Depth=1
	s_delay_alu instid0(SALU_CYCLE_1) | instskip(SKIP_4) | instid1(VALU_DEP_3)
	s_or_b32 exec_lo, exec_lo, s22
	v_and_b32_e32 v0, 0xff, v87
	v_dual_mov_b32 v26, v87 :: v_dual_mov_b32 v12, 0
	v_mov_b32_e32 v9, 0
	s_mov_b32 s22, exec_lo
	v_cmpx_ne_u16_e32 0, v0
	s_cbranch_execz .LBB287_3718
; %bb.3711:                             ;   in Loop: Header=BB287_2093 Depth=1
	v_mov_b32_e32 v9, 0x8000
	s_mov_b32 s23, exec_lo
	v_cmpx_ne_u16_e32 0x80, v0
	s_cbranch_execz .LBB287_3717
; %bb.3712:                             ;   in Loop: Header=BB287_2093 Depth=1
	v_and_b32_e32 v16, 0x7f, v87
	v_mov_b32_e32 v9, 0x7c01
	s_mov_b32 s24, exec_lo
	s_delay_alu instid0(VALU_DEP_2)
	v_cmpx_ne_u32_e32 0x7f, v16
	s_cbranch_execz .LBB287_3716
; %bb.3713:                             ;   in Loop: Header=BB287_2093 Depth=1
	v_dual_lshrrev_b32 v9, 3, v16 :: v_dual_bitop2_b32 v0, 7, v87 bitop3:0x40
	s_mov_b32 s25, exec_lo
	v_cmpx_gt_u32_e32 8, v16
; %bb.3714:                             ;   in Loop: Header=BB287_2093 Depth=1
	s_delay_alu instid0(VALU_DEP_2) | instskip(NEXT) | instid1(VALU_DEP_1)
	v_clz_i32_u32_e32 v0, v0
	v_min_u32_e32 v0, 32, v0
	s_delay_alu instid0(VALU_DEP_1) | instskip(NEXT) | instid1(VALU_DEP_1)
	v_subrev_nc_u32_e32 v9, 28, v0
	v_lshlrev_b64_e32 v[14:15], v9, v[26:27]
	s_delay_alu instid0(VALU_DEP_1)
	v_dual_sub_nc_u32 v9, 29, v0 :: v_dual_bitop2_b32 v0, 7, v14 bitop3:0x40
; %bb.3715:                             ;   in Loop: Header=BB287_2093 Depth=1
	s_or_b32 exec_lo, exec_lo, s25
	s_delay_alu instid0(VALU_DEP_1) | instskip(NEXT) | instid1(VALU_DEP_2)
	v_dual_lshlrev_b32 v14, 8, v87 :: v_dual_lshlrev_b32 v0, 7, v0
	v_lshl_add_u32 v9, v9, 10, 0x2000
	s_delay_alu instid0(VALU_DEP_2) | instskip(NEXT) | instid1(VALU_DEP_2)
	v_and_b32_e32 v14, 0x8000, v14
	v_and_b32_e32 v9, 0xfc00, v9
	s_delay_alu instid0(VALU_DEP_1)
	v_or3_b32 v9, v14, v9, v0
.LBB287_3716:                           ;   in Loop: Header=BB287_2093 Depth=1
	s_or_b32 exec_lo, exec_lo, s24
.LBB287_3717:                           ;   in Loop: Header=BB287_2093 Depth=1
	s_delay_alu instid0(SALU_CYCLE_1)
	s_or_b32 exec_lo, exec_lo, s23
.LBB287_3718:                           ;   in Loop: Header=BB287_2093 Depth=1
	s_delay_alu instid0(SALU_CYCLE_1) | instskip(SKIP_3) | instid1(VALU_DEP_2)
	s_or_b32 exec_lo, exec_lo, s22
	v_lshrrev_b16 v26, 8, v26
	v_mov_b32_e32 v16, 0
	s_mov_b32 s22, exec_lo
	v_cmpx_ne_u16_e32 0, v26
	s_cbranch_execz .LBB287_3726
; %bb.3719:                             ;   in Loop: Header=BB287_2093 Depth=1
	v_bfrev_b32_e32 v16, 1
	s_mov_b32 s23, exec_lo
	v_cmpx_ne_u16_e32 0x80, v26
	s_cbranch_execz .LBB287_3725
; %bb.3720:                             ;   in Loop: Header=BB287_2093 Depth=1
	v_and_b32_e32 v0, 0xffff, v26
	v_mov_b32_e32 v16, 0x7c010000
	s_mov_b32 s24, exec_lo
	s_delay_alu instid0(VALU_DEP_2) | instskip(NEXT) | instid1(VALU_DEP_1)
	v_and_b32_e32 v18, 0x7f, v0
	v_cmpx_ne_u32_e32 0x7f, v18
	s_cbranch_execz .LBB287_3724
; %bb.3721:                             ;   in Loop: Header=BB287_2093 Depth=1
	v_dual_lshrrev_b32 v17, 3, v18 :: v_dual_bitop2_b32 v16, 7, v0 bitop3:0x40
	s_mov_b32 s25, exec_lo
	v_cmpx_gt_u32_e32 8, v18
; %bb.3722:                             ;   in Loop: Header=BB287_2093 Depth=1
	s_delay_alu instid0(VALU_DEP_2) | instskip(NEXT) | instid1(VALU_DEP_1)
	v_clz_i32_u32_e32 v14, v16
	v_min_u32_e32 v16, 32, v14
	s_delay_alu instid0(VALU_DEP_1) | instskip(NEXT) | instid1(VALU_DEP_1)
	v_subrev_nc_u32_e32 v14, 28, v16
	v_lshlrev_b64_e32 v[14:15], v14, v[26:27]
	s_delay_alu instid0(VALU_DEP_1)
	v_dual_sub_nc_u32 v17, 29, v16 :: v_dual_bitop2_b32 v16, 7, v14 bitop3:0x40
; %bb.3723:                             ;   in Loop: Header=BB287_2093 Depth=1
	s_or_b32 exec_lo, exec_lo, s25
	v_lshlrev_b32_e32 v0, 8, v0
	s_delay_alu instid0(VALU_DEP_2) | instskip(NEXT) | instid1(VALU_DEP_1)
	v_lshl_add_u32 v14, v17, 10, 0x2000
	v_and_or_b32 v0, 0x8000, v0, v14
	v_lshlrev_b32_e32 v14, 23, v16
	s_delay_alu instid0(VALU_DEP_1)
	v_lshl_or_b32 v16, v0, 16, v14
.LBB287_3724:                           ;   in Loop: Header=BB287_2093 Depth=1
	s_or_b32 exec_lo, exec_lo, s24
.LBB287_3725:                           ;   in Loop: Header=BB287_2093 Depth=1
	s_delay_alu instid0(SALU_CYCLE_1)
	s_or_b32 exec_lo, exec_lo, s23
.LBB287_3726:                           ;   in Loop: Header=BB287_2093 Depth=1
	s_delay_alu instid0(SALU_CYCLE_1) | instskip(SKIP_2) | instid1(VALU_DEP_1)
	s_or_b32 exec_lo, exec_lo, s22
	v_lshrrev_b32_e32 v0, 16, v87
	s_mov_b32 s22, exec_lo
	v_and_b32_e32 v17, 0xff, v0
	s_delay_alu instid0(VALU_DEP_1)
	v_cmpx_ne_u16_e32 0, v17
	s_cbranch_execz .LBB287_3734
; %bb.3727:                             ;   in Loop: Header=BB287_2093 Depth=1
	v_mov_b32_e32 v12, 0x8000
	s_mov_b32 s23, exec_lo
	v_cmpx_ne_u16_e32 0x80, v17
	s_cbranch_execz .LBB287_3733
; %bb.3728:                             ;   in Loop: Header=BB287_2093 Depth=1
	v_bfe_u32 v18, v87, 16, 7
	v_mov_b32_e32 v12, 0x7c01
	s_mov_b32 s24, exec_lo
	s_delay_alu instid0(VALU_DEP_2)
	v_cmpx_ne_u32_e32 0x7f, v18
	s_cbranch_execz .LBB287_3732
; %bb.3729:                             ;   in Loop: Header=BB287_2093 Depth=1
	v_dual_lshrrev_b32 v17, 3, v18 :: v_dual_bitop2_b32 v12, 7, v0 bitop3:0x40
	s_mov_b32 s25, exec_lo
	v_cmpx_gt_u32_e32 8, v18
; %bb.3730:                             ;   in Loop: Header=BB287_2093 Depth=1
	s_delay_alu instid0(VALU_DEP_2) | instskip(NEXT) | instid1(VALU_DEP_1)
	v_clz_i32_u32_e32 v12, v12
	v_min_u32_e32 v12, 32, v12
	s_delay_alu instid0(VALU_DEP_1) | instskip(NEXT) | instid1(VALU_DEP_1)
	v_subrev_nc_u32_e32 v14, 28, v12
	v_lshlrev_b64_e32 v[14:15], v14, v[0:1]
	s_delay_alu instid0(VALU_DEP_1)
	v_dual_sub_nc_u32 v17, 29, v12 :: v_dual_bitop2_b32 v12, 7, v14 bitop3:0x40
; %bb.3731:                             ;   in Loop: Header=BB287_2093 Depth=1
	s_or_b32 exec_lo, exec_lo, s25
	v_lshlrev_b32_e32 v0, 8, v0
	s_delay_alu instid0(VALU_DEP_2) | instskip(NEXT) | instid1(VALU_DEP_3)
	v_lshl_add_u32 v14, v17, 10, 0x2000
	v_lshlrev_b32_e32 v12, 7, v12
	s_delay_alu instid0(VALU_DEP_3) | instskip(NEXT) | instid1(VALU_DEP_3)
	v_and_b32_e32 v0, 0x8000, v0
	v_and_b32_e32 v14, 0xfc00, v14
	s_delay_alu instid0(VALU_DEP_1)
	v_or3_b32 v12, v0, v14, v12
.LBB287_3732:                           ;   in Loop: Header=BB287_2093 Depth=1
	s_or_b32 exec_lo, exec_lo, s24
.LBB287_3733:                           ;   in Loop: Header=BB287_2093 Depth=1
	s_delay_alu instid0(SALU_CYCLE_1)
	s_or_b32 exec_lo, exec_lo, s23
.LBB287_3734:                           ;   in Loop: Header=BB287_2093 Depth=1
	s_delay_alu instid0(SALU_CYCLE_1)
	s_or_b32 exec_lo, exec_lo, s22
	v_mov_b32_e32 v0, 0
	s_mov_b32 s22, exec_lo
	v_cmpx_lt_u64_e64 s[14:15], v[86:87]
	s_cbranch_execz .LBB287_3742
; %bb.3735:                             ;   in Loop: Header=BB287_2093 Depth=1
	v_lshrrev_b32_e32 v26, 24, v87
	v_bfrev_b32_e32 v0, 1
	s_mov_b32 s23, exec_lo
	s_delay_alu instid0(VALU_DEP_2)
	v_cmpx_ne_u32_e32 0x80, v26
	s_cbranch_execz .LBB287_3741
; %bb.3736:                             ;   in Loop: Header=BB287_2093 Depth=1
	v_and_b32_e32 v18, 0x7f, v26
	v_mov_b32_e32 v0, 0x7c010000
	s_mov_b32 s24, exec_lo
	s_delay_alu instid0(VALU_DEP_2)
	v_cmpx_ne_u32_e32 0x7f, v18
	s_cbranch_execz .LBB287_3740
; %bb.3737:                             ;   in Loop: Header=BB287_2093 Depth=1
	v_and_b32_e32 v0, 7, v26
	v_lshrrev_b32_e32 v17, 3, v18
	s_mov_b32 s25, exec_lo
	v_cmpx_gt_u32_e32 8, v18
; %bb.3738:                             ;   in Loop: Header=BB287_2093 Depth=1
	s_delay_alu instid0(VALU_DEP_3) | instskip(NEXT) | instid1(VALU_DEP_1)
	v_clz_i32_u32_e32 v0, v0
	v_min_u32_e32 v0, 32, v0
	s_delay_alu instid0(VALU_DEP_1) | instskip(NEXT) | instid1(VALU_DEP_1)
	v_subrev_nc_u32_e32 v14, 28, v0
	v_lshlrev_b64_e32 v[14:15], v14, v[26:27]
	s_delay_alu instid0(VALU_DEP_1)
	v_dual_sub_nc_u32 v17, 29, v0 :: v_dual_bitop2_b32 v0, 7, v14 bitop3:0x40
; %bb.3739:                             ;   in Loop: Header=BB287_2093 Depth=1
	s_or_b32 exec_lo, exec_lo, s25
	s_delay_alu instid0(VALU_DEP_1) | instskip(NEXT) | instid1(VALU_DEP_2)
	v_dual_lshlrev_b32 v14, 8, v26 :: v_dual_lshlrev_b32 v0, 23, v0
	v_lshl_add_u32 v15, v17, 10, 0x2000
	s_delay_alu instid0(VALU_DEP_1) | instskip(NEXT) | instid1(VALU_DEP_1)
	v_and_or_b32 v14, 0x8000, v14, v15
	v_lshl_or_b32 v0, v14, 16, v0
.LBB287_3740:                           ;   in Loop: Header=BB287_2093 Depth=1
	s_or_b32 exec_lo, exec_lo, s24
.LBB287_3741:                           ;   in Loop: Header=BB287_2093 Depth=1
	s_delay_alu instid0(SALU_CYCLE_1)
	s_or_b32 exec_lo, exec_lo, s23
.LBB287_3742:                           ;   in Loop: Header=BB287_2093 Depth=1
	s_delay_alu instid0(SALU_CYCLE_1) | instskip(SKIP_4) | instid1(VALU_DEP_4)
	s_or_b32 exec_lo, exec_lo, s22
	v_dual_lshrrev_b32 v14, 16, v1 :: v_dual_lshrrev_b32 v15, 16, v7
	v_or_b32_e32 v1, v1, v6
	v_or_b32_e32 v8, v7, v8
	;; [unrolled: 1-line block ×3, first 2 shown]
	v_cvt_f32_f16_e32 v7, v14
	v_cvt_f32_f16_e32 v6, v15
	v_lshrrev_b32_e32 v14, 16, v16
	v_dual_lshrrev_b32 v15, 16, v0 :: v_dual_bitop2_b32 v16, v16, v9 bitop3:0x54
	v_cvt_f32_f16_e32 v0, v8
	s_wait_loadcnt_dscnt 0x0
	v_pk_mul_f32 v[6:7], v[84:85], v[6:7] op_sel_hi:[0,1]
	v_cvt_f32_f16_e32 v1, v1
	v_cvt_f32_f16_e32 v9, v14
	;; [unrolled: 1-line block ×5, first 2 shown]
	v_pk_mul_f32 v[0:1], v[84:85], v[0:1] op_sel_hi:[0,1]
	v_cvt_pk_f16_f32 v12, v6, v7
	v_pk_mul_f32 v[6:7], v[84:85], v[8:9] op_sel_hi:[0,1]
	s_delay_alu instid0(VALU_DEP_4) | instskip(NEXT) | instid1(VALU_DEP_4)
	v_pk_mul_f32 v[14:15], v[84:85], v[14:15] op_sel_hi:[0,1]
	v_cvt_pk_f16_f32 v0, v0, v1
	s_delay_alu instid0(VALU_DEP_4) | instskip(NEXT) | instid1(VALU_DEP_4)
	v_and_b32_e32 v9, 0xffff0000, v12
	v_cvt_pk_f16_f32 v6, v6, v7
	s_delay_alu instid0(VALU_DEP_4) | instskip(NEXT) | instid1(VALU_DEP_4)
	v_cvt_pk_f16_f32 v7, v14, v15
	v_and_b32_e32 v98, 0xffff, v0
	v_lshrrev_b32_e32 v97, 16, v0
	v_lshlrev_b32_e32 v86, 16, v12
	v_and_b32_e32 v1, 0xffff0000, v6
	v_dual_lshlrev_b32 v0, 16, v6 :: v_dual_lshrrev_b32 v87, 16, v7
	v_and_b32_e32 v96, 0xffff, v7
	v_or_b32_e32 v85, v9, v97
	v_or_b32_e32 v84, v86, v98
	s_delay_alu instid0(VALU_DEP_4) | instskip(NEXT) | instid1(VALU_DEP_4)
	v_or_b32_e32 v19, v1, v87
	v_or_b32_e32 v26, v0, v96
	s_and_saveexec_b32 s8, s0
	s_cbranch_execz .LBB287_3744
; %bb.3743:                             ;   in Loop: Header=BB287_2093 Depth=1
	v_dual_cndmask_b32 v6, 0, v97, vcc_lo :: v_dual_cndmask_b32 v7, 0, v98, s1
	v_dual_cndmask_b32 v8, 0, v9, s2 :: v_dual_cndmask_b32 v9, 0, v86, s3
	v_dual_cndmask_b32 v12, 0, v87, s4 :: v_dual_cndmask_b32 v14, 0, v96, s5
	;; [unrolled: 1-line block ×3, first 2 shown]
	s_delay_alu instid0(VALU_DEP_3) | instskip(NEXT) | instid1(VALU_DEP_4)
	v_or_b32_e32 v85, v6, v8
	v_or_b32_e32 v84, v7, v9
	s_delay_alu instid0(VALU_DEP_3) | instskip(NEXT) | instid1(VALU_DEP_4)
	v_or_b32_e32 v19, v12, v1
	v_or_b32_e32 v26, v14, v0
.LBB287_3744:                           ;   in Loop: Header=BB287_2093 Depth=1
	s_or_b32 exec_lo, exec_lo, s8
	;;#ASMSTART
	v_pk_mul_f16 v0, v119, v85;

	;;#ASMEND
	;;#ASMSTART
	v_pk_mul_f16 v1, v117, v84;

	;;#ASMEND
	;;#ASMSTART
	v_pk_mul_f16 v6, v116, v19;

	;;#ASMEND
	;;#ASMSTART
	v_pk_mul_f16 v7, v115, v26;

	;;#ASMEND
	;;#ASMSTART
	v_pk_add_f16 v0, v0, v1;

	;;#ASMEND
	;;#ASMSTART
	v_pk_add_f16 v0, v0, v6;

	;;#ASMEND
	;; [unrolled: 4-line block ×3, first 2 shown]
	v_and_b32_e32 v1, 0xffff, v0
	v_lshrrev_b32_e32 v0, 16, v0
	;;#ASMSTART
	v_cvt_f32_f16 v127, v1;
	;;#ASMEND
	v_mov_b32_e32 v1, 0
	;;#ASMSTART
	v_cvt_f32_f16 v100, v0;
	;;#ASMEND
	flat_load_b64 v[86:87], v[82:83] offset:6400
	flat_load_b32 v84, v[22:23]
	v_mov_b32_e32 v6, 0
	s_mov_b32 s22, exec_lo
	s_wait_loadcnt_dscnt 0x101
	v_and_b32_e32 v0, 0xff, v86
	s_wait_xcnt 0x0
	s_delay_alu instid0(VALU_DEP_1)
	v_cmpx_ne_u16_e32 0, v0
	s_cbranch_execz .LBB287_3752
; %bb.3745:                             ;   in Loop: Header=BB287_2093 Depth=1
	v_mov_b32_e32 v6, 0x8000
	s_mov_b32 s23, exec_lo
	v_cmpx_ne_u16_e32 0x80, v0
	s_cbranch_execz .LBB287_3751
; %bb.3746:                             ;   in Loop: Header=BB287_2093 Depth=1
	v_and_b32_e32 v7, 0x7f, v86
	v_mov_b32_e32 v6, 0x7c01
	s_mov_b32 s24, exec_lo
	s_delay_alu instid0(VALU_DEP_2)
	v_cmpx_ne_u32_e32 0x7f, v7
	s_cbranch_execz .LBB287_3750
; %bb.3747:                             ;   in Loop: Header=BB287_2093 Depth=1
	v_dual_lshrrev_b32 v6, 3, v7 :: v_dual_bitop2_b32 v0, 7, v86 bitop3:0x40
	s_mov_b32 s25, exec_lo
	v_cmpx_gt_u32_e32 8, v7
; %bb.3748:                             ;   in Loop: Header=BB287_2093 Depth=1
	s_delay_alu instid0(VALU_DEP_2) | instskip(NEXT) | instid1(VALU_DEP_1)
	v_clz_i32_u32_e32 v0, v0
	v_min_u32_e32 v0, 32, v0
	s_delay_alu instid0(VALU_DEP_1) | instskip(NEXT) | instid1(VALU_DEP_1)
	v_subrev_nc_u32_e32 v6, 28, v0
	v_lshlrev_b64_e32 v[8:9], v6, v[86:87]
	v_sub_nc_u32_e32 v6, 29, v0
	s_delay_alu instid0(VALU_DEP_2)
	v_and_b32_e32 v0, 7, v8
; %bb.3749:                             ;   in Loop: Header=BB287_2093 Depth=1
	s_or_b32 exec_lo, exec_lo, s25
	s_delay_alu instid0(VALU_DEP_1) | instskip(NEXT) | instid1(VALU_DEP_3)
	v_dual_lshlrev_b32 v7, 8, v86 :: v_dual_lshlrev_b32 v0, 7, v0
	v_lshl_add_u32 v6, v6, 10, 0x2000
	s_delay_alu instid0(VALU_DEP_2) | instskip(NEXT) | instid1(VALU_DEP_2)
	v_and_b32_e32 v7, 0x8000, v7
	v_and_b32_e32 v6, 0xfc00, v6
	s_delay_alu instid0(VALU_DEP_1)
	v_or3_b32 v6, v7, v6, v0
.LBB287_3750:                           ;   in Loop: Header=BB287_2093 Depth=1
	s_or_b32 exec_lo, exec_lo, s24
.LBB287_3751:                           ;   in Loop: Header=BB287_2093 Depth=1
	s_delay_alu instid0(SALU_CYCLE_1)
	s_or_b32 exec_lo, exec_lo, s23
.LBB287_3752:                           ;   in Loop: Header=BB287_2093 Depth=1
	s_delay_alu instid0(SALU_CYCLE_1) | instskip(SKIP_2) | instid1(VALU_DEP_1)
	s_or_b32 exec_lo, exec_lo, s22
	v_lshrrev_b16 v26, 8, v86
	s_mov_b32 s22, exec_lo
	v_cmpx_ne_u16_e32 0, v26
	s_cbranch_execz .LBB287_3760
; %bb.3753:                             ;   in Loop: Header=BB287_2093 Depth=1
	v_bfrev_b32_e32 v1, 1
	s_mov_b32 s23, exec_lo
	v_cmpx_ne_u16_e32 0x80, v26
	s_cbranch_execz .LBB287_3759
; %bb.3754:                             ;   in Loop: Header=BB287_2093 Depth=1
	v_and_b32_e32 v0, 0xffff, v26
	v_mov_b32_e32 v1, 0x7c010000
	s_mov_b32 s24, exec_lo
	s_delay_alu instid0(VALU_DEP_2) | instskip(NEXT) | instid1(VALU_DEP_1)
	v_and_b32_e32 v8, 0x7f, v0
	v_cmpx_ne_u32_e32 0x7f, v8
	s_cbranch_execz .LBB287_3758
; %bb.3755:                             ;   in Loop: Header=BB287_2093 Depth=1
	v_and_b32_e32 v1, 7, v0
	v_lshrrev_b32_e32 v7, 3, v8
	s_mov_b32 s25, exec_lo
	v_cmpx_gt_u32_e32 8, v8
; %bb.3756:                             ;   in Loop: Header=BB287_2093 Depth=1
	s_delay_alu instid0(VALU_DEP_3) | instskip(NEXT) | instid1(VALU_DEP_1)
	v_clz_i32_u32_e32 v1, v1
	v_min_u32_e32 v1, 32, v1
	s_delay_alu instid0(VALU_DEP_1) | instskip(NEXT) | instid1(VALU_DEP_1)
	v_subrev_nc_u32_e32 v7, 28, v1
	v_lshlrev_b64_e32 v[8:9], v7, v[26:27]
	s_delay_alu instid0(VALU_DEP_1)
	v_dual_sub_nc_u32 v7, 29, v1 :: v_dual_bitop2_b32 v1, 7, v8 bitop3:0x40
; %bb.3757:                             ;   in Loop: Header=BB287_2093 Depth=1
	s_or_b32 exec_lo, exec_lo, s25
	s_delay_alu instid0(VALU_DEP_1) | instskip(NEXT) | instid1(VALU_DEP_2)
	v_dual_lshlrev_b32 v0, 8, v0 :: v_dual_lshlrev_b32 v1, 23, v1
	v_lshl_add_u32 v7, v7, 10, 0x2000
	s_delay_alu instid0(VALU_DEP_1) | instskip(NEXT) | instid1(VALU_DEP_1)
	v_and_or_b32 v0, 0x8000, v0, v7
	v_lshl_or_b32 v1, v0, 16, v1
.LBB287_3758:                           ;   in Loop: Header=BB287_2093 Depth=1
	s_or_b32 exec_lo, exec_lo, s24
.LBB287_3759:                           ;   in Loop: Header=BB287_2093 Depth=1
	s_delay_alu instid0(SALU_CYCLE_1)
	s_or_b32 exec_lo, exec_lo, s23
.LBB287_3760:                           ;   in Loop: Header=BB287_2093 Depth=1
	s_delay_alu instid0(SALU_CYCLE_1) | instskip(SKIP_3) | instid1(VALU_DEP_2)
	s_or_b32 exec_lo, exec_lo, s22
	v_dual_mov_b32 v7, 0 :: v_dual_lshrrev_b32 v0, 16, v86
	v_mov_b32_e32 v8, 0
	s_mov_b32 s22, exec_lo
	v_and_b32_e32 v9, 0xff, v0
	s_delay_alu instid0(VALU_DEP_1)
	v_cmpx_ne_u16_e32 0, v9
	s_cbranch_execz .LBB287_3768
; %bb.3761:                             ;   in Loop: Header=BB287_2093 Depth=1
	v_mov_b32_e32 v8, 0x8000
	s_mov_b32 s23, exec_lo
	v_cmpx_ne_u16_e32 0x80, v9
	s_cbranch_execz .LBB287_3767
; %bb.3762:                             ;   in Loop: Header=BB287_2093 Depth=1
	v_bfe_u32 v12, v86, 16, 7
	v_mov_b32_e32 v8, 0x7c01
	s_mov_b32 s24, exec_lo
	s_delay_alu instid0(VALU_DEP_2)
	v_cmpx_ne_u32_e32 0x7f, v12
	s_cbranch_execz .LBB287_3766
; %bb.3763:                             ;   in Loop: Header=BB287_2093 Depth=1
	v_and_b32_e32 v8, 7, v0
	v_lshrrev_b32_e32 v9, 3, v12
	s_mov_b32 s25, exec_lo
	v_cmpx_gt_u32_e32 8, v12
; %bb.3764:                             ;   in Loop: Header=BB287_2093 Depth=1
	s_delay_alu instid0(VALU_DEP_3) | instskip(NEXT) | instid1(VALU_DEP_1)
	v_clz_i32_u32_e32 v8, v8
	v_min_u32_e32 v12, 32, v8
	s_delay_alu instid0(VALU_DEP_1) | instskip(NEXT) | instid1(VALU_DEP_1)
	v_subrev_nc_u32_e32 v8, 28, v12
	v_lshlrev_b64_e32 v[8:9], v8, v[0:1]
	v_sub_nc_u32_e32 v9, 29, v12
	s_delay_alu instid0(VALU_DEP_2)
	v_and_b32_e32 v8, 7, v8
; %bb.3765:                             ;   in Loop: Header=BB287_2093 Depth=1
	s_or_b32 exec_lo, exec_lo, s25
	v_lshlrev_b32_e32 v0, 8, v0
	s_delay_alu instid0(VALU_DEP_3) | instskip(NEXT) | instid1(VALU_DEP_3)
	v_lshl_add_u32 v9, v9, 10, 0x2000
	v_lshlrev_b32_e32 v8, 7, v8
	s_delay_alu instid0(VALU_DEP_3) | instskip(NEXT) | instid1(VALU_DEP_3)
	v_and_b32_e32 v0, 0x8000, v0
	v_and_b32_e32 v9, 0xfc00, v9
	s_delay_alu instid0(VALU_DEP_1)
	v_or3_b32 v8, v0, v9, v8
.LBB287_3766:                           ;   in Loop: Header=BB287_2093 Depth=1
	s_or_b32 exec_lo, exec_lo, s24
.LBB287_3767:                           ;   in Loop: Header=BB287_2093 Depth=1
	s_delay_alu instid0(SALU_CYCLE_1)
	s_or_b32 exec_lo, exec_lo, s23
.LBB287_3768:                           ;   in Loop: Header=BB287_2093 Depth=1
	s_delay_alu instid0(SALU_CYCLE_1) | instskip(NEXT) | instid1(SALU_CYCLE_1)
	s_or_b32 exec_lo, exec_lo, s22
	s_mov_b32 s22, exec_lo
	v_cmpx_lt_u32_e32 0xffffff, v86
	s_cbranch_execz .LBB287_3776
; %bb.3769:                             ;   in Loop: Header=BB287_2093 Depth=1
	v_lshrrev_b32_e32 v26, 24, v86
	v_bfrev_b32_e32 v7, 1
	s_mov_b32 s23, exec_lo
	s_delay_alu instid0(VALU_DEP_2)
	v_cmpx_ne_u32_e32 0x80, v26
	s_cbranch_execz .LBB287_3775
; %bb.3770:                             ;   in Loop: Header=BB287_2093 Depth=1
	v_and_b32_e32 v9, 0x7f, v26
	v_mov_b32_e32 v7, 0x7c010000
	s_mov_b32 s24, exec_lo
	s_delay_alu instid0(VALU_DEP_2)
	v_cmpx_ne_u32_e32 0x7f, v9
	s_cbranch_execz .LBB287_3774
; %bb.3771:                             ;   in Loop: Header=BB287_2093 Depth=1
	v_dual_lshrrev_b32 v7, 3, v9 :: v_dual_bitop2_b32 v0, 7, v26 bitop3:0x40
	s_mov_b32 s25, exec_lo
	v_cmpx_gt_u32_e32 8, v9
; %bb.3772:                             ;   in Loop: Header=BB287_2093 Depth=1
	s_delay_alu instid0(VALU_DEP_2) | instskip(NEXT) | instid1(VALU_DEP_1)
	v_clz_i32_u32_e32 v0, v0
	v_min_u32_e32 v0, 32, v0
	s_delay_alu instid0(VALU_DEP_1) | instskip(NEXT) | instid1(VALU_DEP_1)
	v_subrev_nc_u32_e32 v7, 28, v0
	v_lshlrev_b64_e32 v[14:15], v7, v[26:27]
	s_delay_alu instid0(VALU_DEP_1)
	v_dual_sub_nc_u32 v7, 29, v0 :: v_dual_bitop2_b32 v0, 7, v14 bitop3:0x40
; %bb.3773:                             ;   in Loop: Header=BB287_2093 Depth=1
	s_or_b32 exec_lo, exec_lo, s25
	s_delay_alu instid0(VALU_DEP_1) | instskip(NEXT) | instid1(VALU_DEP_2)
	v_dual_lshlrev_b32 v9, 8, v26 :: v_dual_lshlrev_b32 v0, 23, v0
	v_lshl_add_u32 v7, v7, 10, 0x2000
	s_delay_alu instid0(VALU_DEP_1) | instskip(NEXT) | instid1(VALU_DEP_1)
	v_and_or_b32 v7, 0x8000, v9, v7
	v_lshl_or_b32 v7, v7, 16, v0
.LBB287_3774:                           ;   in Loop: Header=BB287_2093 Depth=1
	s_or_b32 exec_lo, exec_lo, s24
.LBB287_3775:                           ;   in Loop: Header=BB287_2093 Depth=1
	s_delay_alu instid0(SALU_CYCLE_1)
	s_or_b32 exec_lo, exec_lo, s23
.LBB287_3776:                           ;   in Loop: Header=BB287_2093 Depth=1
	s_delay_alu instid0(SALU_CYCLE_1) | instskip(SKIP_4) | instid1(VALU_DEP_3)
	s_or_b32 exec_lo, exec_lo, s22
	v_and_b32_e32 v0, 0xff, v87
	v_dual_mov_b32 v26, v87 :: v_dual_mov_b32 v12, 0
	v_mov_b32_e32 v9, 0
	s_mov_b32 s22, exec_lo
	v_cmpx_ne_u16_e32 0, v0
	s_cbranch_execz .LBB287_3784
; %bb.3777:                             ;   in Loop: Header=BB287_2093 Depth=1
	v_mov_b32_e32 v9, 0x8000
	s_mov_b32 s23, exec_lo
	v_cmpx_ne_u16_e32 0x80, v0
	s_cbranch_execz .LBB287_3783
; %bb.3778:                             ;   in Loop: Header=BB287_2093 Depth=1
	v_and_b32_e32 v16, 0x7f, v87
	v_mov_b32_e32 v9, 0x7c01
	s_mov_b32 s24, exec_lo
	s_delay_alu instid0(VALU_DEP_2)
	v_cmpx_ne_u32_e32 0x7f, v16
	s_cbranch_execz .LBB287_3782
; %bb.3779:                             ;   in Loop: Header=BB287_2093 Depth=1
	v_dual_lshrrev_b32 v9, 3, v16 :: v_dual_bitop2_b32 v0, 7, v87 bitop3:0x40
	s_mov_b32 s25, exec_lo
	v_cmpx_gt_u32_e32 8, v16
; %bb.3780:                             ;   in Loop: Header=BB287_2093 Depth=1
	s_delay_alu instid0(VALU_DEP_2) | instskip(NEXT) | instid1(VALU_DEP_1)
	v_clz_i32_u32_e32 v0, v0
	v_min_u32_e32 v0, 32, v0
	s_delay_alu instid0(VALU_DEP_1) | instskip(NEXT) | instid1(VALU_DEP_1)
	v_subrev_nc_u32_e32 v9, 28, v0
	v_lshlrev_b64_e32 v[14:15], v9, v[26:27]
	s_delay_alu instid0(VALU_DEP_1)
	v_dual_sub_nc_u32 v9, 29, v0 :: v_dual_bitop2_b32 v0, 7, v14 bitop3:0x40
; %bb.3781:                             ;   in Loop: Header=BB287_2093 Depth=1
	s_or_b32 exec_lo, exec_lo, s25
	s_delay_alu instid0(VALU_DEP_1) | instskip(NEXT) | instid1(VALU_DEP_2)
	v_dual_lshlrev_b32 v14, 8, v87 :: v_dual_lshlrev_b32 v0, 7, v0
	v_lshl_add_u32 v9, v9, 10, 0x2000
	s_delay_alu instid0(VALU_DEP_2) | instskip(NEXT) | instid1(VALU_DEP_2)
	v_and_b32_e32 v14, 0x8000, v14
	v_and_b32_e32 v9, 0xfc00, v9
	s_delay_alu instid0(VALU_DEP_1)
	v_or3_b32 v9, v14, v9, v0
.LBB287_3782:                           ;   in Loop: Header=BB287_2093 Depth=1
	s_or_b32 exec_lo, exec_lo, s24
.LBB287_3783:                           ;   in Loop: Header=BB287_2093 Depth=1
	s_delay_alu instid0(SALU_CYCLE_1)
	s_or_b32 exec_lo, exec_lo, s23
.LBB287_3784:                           ;   in Loop: Header=BB287_2093 Depth=1
	s_delay_alu instid0(SALU_CYCLE_1) | instskip(SKIP_3) | instid1(VALU_DEP_2)
	s_or_b32 exec_lo, exec_lo, s22
	v_lshrrev_b16 v26, 8, v26
	v_mov_b32_e32 v16, 0
	s_mov_b32 s22, exec_lo
	v_cmpx_ne_u16_e32 0, v26
	s_cbranch_execz .LBB287_3792
; %bb.3785:                             ;   in Loop: Header=BB287_2093 Depth=1
	v_bfrev_b32_e32 v16, 1
	s_mov_b32 s23, exec_lo
	v_cmpx_ne_u16_e32 0x80, v26
	s_cbranch_execz .LBB287_3791
; %bb.3786:                             ;   in Loop: Header=BB287_2093 Depth=1
	v_and_b32_e32 v0, 0xffff, v26
	v_mov_b32_e32 v16, 0x7c010000
	s_mov_b32 s24, exec_lo
	s_delay_alu instid0(VALU_DEP_2) | instskip(NEXT) | instid1(VALU_DEP_1)
	v_and_b32_e32 v18, 0x7f, v0
	v_cmpx_ne_u32_e32 0x7f, v18
	s_cbranch_execz .LBB287_3790
; %bb.3787:                             ;   in Loop: Header=BB287_2093 Depth=1
	v_dual_lshrrev_b32 v17, 3, v18 :: v_dual_bitop2_b32 v16, 7, v0 bitop3:0x40
	s_mov_b32 s25, exec_lo
	v_cmpx_gt_u32_e32 8, v18
; %bb.3788:                             ;   in Loop: Header=BB287_2093 Depth=1
	s_delay_alu instid0(VALU_DEP_2) | instskip(NEXT) | instid1(VALU_DEP_1)
	v_clz_i32_u32_e32 v14, v16
	v_min_u32_e32 v16, 32, v14
	s_delay_alu instid0(VALU_DEP_1) | instskip(NEXT) | instid1(VALU_DEP_1)
	v_subrev_nc_u32_e32 v14, 28, v16
	v_lshlrev_b64_e32 v[14:15], v14, v[26:27]
	s_delay_alu instid0(VALU_DEP_1)
	v_dual_sub_nc_u32 v17, 29, v16 :: v_dual_bitop2_b32 v16, 7, v14 bitop3:0x40
; %bb.3789:                             ;   in Loop: Header=BB287_2093 Depth=1
	s_or_b32 exec_lo, exec_lo, s25
	v_lshlrev_b32_e32 v0, 8, v0
	s_delay_alu instid0(VALU_DEP_2) | instskip(NEXT) | instid1(VALU_DEP_1)
	v_lshl_add_u32 v14, v17, 10, 0x2000
	v_and_or_b32 v0, 0x8000, v0, v14
	v_lshlrev_b32_e32 v14, 23, v16
	s_delay_alu instid0(VALU_DEP_1)
	v_lshl_or_b32 v16, v0, 16, v14
.LBB287_3790:                           ;   in Loop: Header=BB287_2093 Depth=1
	s_or_b32 exec_lo, exec_lo, s24
.LBB287_3791:                           ;   in Loop: Header=BB287_2093 Depth=1
	s_delay_alu instid0(SALU_CYCLE_1)
	s_or_b32 exec_lo, exec_lo, s23
.LBB287_3792:                           ;   in Loop: Header=BB287_2093 Depth=1
	s_delay_alu instid0(SALU_CYCLE_1) | instskip(SKIP_2) | instid1(VALU_DEP_1)
	s_or_b32 exec_lo, exec_lo, s22
	v_lshrrev_b32_e32 v0, 16, v87
	s_mov_b32 s22, exec_lo
	v_and_b32_e32 v17, 0xff, v0
	s_delay_alu instid0(VALU_DEP_1)
	v_cmpx_ne_u16_e32 0, v17
	s_cbranch_execz .LBB287_3800
; %bb.3793:                             ;   in Loop: Header=BB287_2093 Depth=1
	v_mov_b32_e32 v12, 0x8000
	s_mov_b32 s23, exec_lo
	v_cmpx_ne_u16_e32 0x80, v17
	s_cbranch_execz .LBB287_3799
; %bb.3794:                             ;   in Loop: Header=BB287_2093 Depth=1
	v_bfe_u32 v18, v87, 16, 7
	v_mov_b32_e32 v12, 0x7c01
	s_mov_b32 s24, exec_lo
	s_delay_alu instid0(VALU_DEP_2)
	v_cmpx_ne_u32_e32 0x7f, v18
	s_cbranch_execz .LBB287_3798
; %bb.3795:                             ;   in Loop: Header=BB287_2093 Depth=1
	v_dual_lshrrev_b32 v17, 3, v18 :: v_dual_bitop2_b32 v12, 7, v0 bitop3:0x40
	s_mov_b32 s25, exec_lo
	v_cmpx_gt_u32_e32 8, v18
; %bb.3796:                             ;   in Loop: Header=BB287_2093 Depth=1
	s_delay_alu instid0(VALU_DEP_2) | instskip(NEXT) | instid1(VALU_DEP_1)
	v_clz_i32_u32_e32 v12, v12
	v_min_u32_e32 v12, 32, v12
	s_delay_alu instid0(VALU_DEP_1) | instskip(NEXT) | instid1(VALU_DEP_1)
	v_subrev_nc_u32_e32 v14, 28, v12
	v_lshlrev_b64_e32 v[14:15], v14, v[0:1]
	s_delay_alu instid0(VALU_DEP_1)
	v_dual_sub_nc_u32 v17, 29, v12 :: v_dual_bitop2_b32 v12, 7, v14 bitop3:0x40
; %bb.3797:                             ;   in Loop: Header=BB287_2093 Depth=1
	s_or_b32 exec_lo, exec_lo, s25
	v_lshlrev_b32_e32 v0, 8, v0
	s_delay_alu instid0(VALU_DEP_2) | instskip(NEXT) | instid1(VALU_DEP_3)
	v_lshl_add_u32 v14, v17, 10, 0x2000
	v_lshlrev_b32_e32 v12, 7, v12
	s_delay_alu instid0(VALU_DEP_3) | instskip(NEXT) | instid1(VALU_DEP_3)
	v_and_b32_e32 v0, 0x8000, v0
	v_and_b32_e32 v14, 0xfc00, v14
	s_delay_alu instid0(VALU_DEP_1)
	v_or3_b32 v12, v0, v14, v12
.LBB287_3798:                           ;   in Loop: Header=BB287_2093 Depth=1
	s_or_b32 exec_lo, exec_lo, s24
.LBB287_3799:                           ;   in Loop: Header=BB287_2093 Depth=1
	s_delay_alu instid0(SALU_CYCLE_1)
	s_or_b32 exec_lo, exec_lo, s23
.LBB287_3800:                           ;   in Loop: Header=BB287_2093 Depth=1
	s_delay_alu instid0(SALU_CYCLE_1)
	s_or_b32 exec_lo, exec_lo, s22
	v_mov_b32_e32 v0, 0
	s_mov_b32 s22, exec_lo
	v_cmpx_lt_u64_e64 s[14:15], v[86:87]
	s_cbranch_execz .LBB287_3808
; %bb.3801:                             ;   in Loop: Header=BB287_2093 Depth=1
	v_lshrrev_b32_e32 v26, 24, v87
	v_bfrev_b32_e32 v0, 1
	s_mov_b32 s23, exec_lo
	s_delay_alu instid0(VALU_DEP_2)
	v_cmpx_ne_u32_e32 0x80, v26
	s_cbranch_execz .LBB287_3807
; %bb.3802:                             ;   in Loop: Header=BB287_2093 Depth=1
	v_and_b32_e32 v18, 0x7f, v26
	v_mov_b32_e32 v0, 0x7c010000
	s_mov_b32 s24, exec_lo
	s_delay_alu instid0(VALU_DEP_2)
	v_cmpx_ne_u32_e32 0x7f, v18
	s_cbranch_execz .LBB287_3806
; %bb.3803:                             ;   in Loop: Header=BB287_2093 Depth=1
	v_and_b32_e32 v0, 7, v26
	v_lshrrev_b32_e32 v17, 3, v18
	s_mov_b32 s25, exec_lo
	v_cmpx_gt_u32_e32 8, v18
; %bb.3804:                             ;   in Loop: Header=BB287_2093 Depth=1
	s_delay_alu instid0(VALU_DEP_3) | instskip(NEXT) | instid1(VALU_DEP_1)
	v_clz_i32_u32_e32 v0, v0
	v_min_u32_e32 v0, 32, v0
	s_delay_alu instid0(VALU_DEP_1) | instskip(NEXT) | instid1(VALU_DEP_1)
	v_subrev_nc_u32_e32 v14, 28, v0
	v_lshlrev_b64_e32 v[14:15], v14, v[26:27]
	s_delay_alu instid0(VALU_DEP_1)
	v_dual_sub_nc_u32 v17, 29, v0 :: v_dual_bitop2_b32 v0, 7, v14 bitop3:0x40
; %bb.3805:                             ;   in Loop: Header=BB287_2093 Depth=1
	s_or_b32 exec_lo, exec_lo, s25
	s_delay_alu instid0(VALU_DEP_1) | instskip(NEXT) | instid1(VALU_DEP_2)
	v_dual_lshlrev_b32 v14, 8, v26 :: v_dual_lshlrev_b32 v0, 23, v0
	v_lshl_add_u32 v15, v17, 10, 0x2000
	s_delay_alu instid0(VALU_DEP_1) | instskip(NEXT) | instid1(VALU_DEP_1)
	v_and_or_b32 v14, 0x8000, v14, v15
	v_lshl_or_b32 v0, v14, 16, v0
.LBB287_3806:                           ;   in Loop: Header=BB287_2093 Depth=1
	s_or_b32 exec_lo, exec_lo, s24
.LBB287_3807:                           ;   in Loop: Header=BB287_2093 Depth=1
	s_delay_alu instid0(SALU_CYCLE_1)
	s_or_b32 exec_lo, exec_lo, s23
.LBB287_3808:                           ;   in Loop: Header=BB287_2093 Depth=1
	s_delay_alu instid0(SALU_CYCLE_1) | instskip(SKIP_4) | instid1(VALU_DEP_4)
	s_or_b32 exec_lo, exec_lo, s22
	v_dual_lshrrev_b32 v14, 16, v1 :: v_dual_lshrrev_b32 v15, 16, v7
	v_or_b32_e32 v1, v1, v6
	v_or_b32_e32 v8, v7, v8
	v_or_b32_e32 v12, v0, v12
	v_cvt_f32_f16_e32 v7, v14
	v_cvt_f32_f16_e32 v6, v15
	v_lshrrev_b32_e32 v14, 16, v16
	v_dual_lshrrev_b32 v15, 16, v0 :: v_dual_bitop2_b32 v16, v16, v9 bitop3:0x54
	v_cvt_f32_f16_e32 v0, v8
	s_wait_loadcnt_dscnt 0x0
	v_pk_mul_f32 v[6:7], v[84:85], v[6:7] op_sel_hi:[0,1]
	v_cvt_f32_f16_e32 v1, v1
	v_cvt_f32_f16_e32 v9, v14
	;; [unrolled: 1-line block ×5, first 2 shown]
	v_pk_mul_f32 v[0:1], v[84:85], v[0:1] op_sel_hi:[0,1]
	v_cvt_pk_f16_f32 v12, v6, v7
	v_pk_mul_f32 v[6:7], v[84:85], v[8:9] op_sel_hi:[0,1]
	s_delay_alu instid0(VALU_DEP_4) | instskip(NEXT) | instid1(VALU_DEP_4)
	v_pk_mul_f32 v[14:15], v[84:85], v[14:15] op_sel_hi:[0,1]
	v_cvt_pk_f16_f32 v0, v0, v1
	s_delay_alu instid0(VALU_DEP_4) | instskip(NEXT) | instid1(VALU_DEP_4)
	v_and_b32_e32 v9, 0xffff0000, v12
	v_cvt_pk_f16_f32 v6, v6, v7
	s_delay_alu instid0(VALU_DEP_4) | instskip(NEXT) | instid1(VALU_DEP_4)
	v_cvt_pk_f16_f32 v7, v14, v15
	v_and_b32_e32 v98, 0xffff, v0
	v_lshrrev_b32_e32 v97, 16, v0
	v_lshlrev_b32_e32 v86, 16, v12
	v_and_b32_e32 v1, 0xffff0000, v6
	v_dual_lshlrev_b32 v0, 16, v6 :: v_dual_lshrrev_b32 v87, 16, v7
	v_and_b32_e32 v96, 0xffff, v7
	v_or_b32_e32 v85, v9, v97
	v_or_b32_e32 v84, v86, v98
	s_delay_alu instid0(VALU_DEP_4) | instskip(NEXT) | instid1(VALU_DEP_4)
	v_or_b32_e32 v19, v1, v87
	v_or_b32_e32 v26, v0, v96
	s_and_saveexec_b32 s8, s0
	s_cbranch_execz .LBB287_3810
; %bb.3809:                             ;   in Loop: Header=BB287_2093 Depth=1
	v_dual_cndmask_b32 v6, 0, v97, vcc_lo :: v_dual_cndmask_b32 v7, 0, v98, s1
	v_dual_cndmask_b32 v8, 0, v9, s2 :: v_dual_cndmask_b32 v9, 0, v86, s3
	v_dual_cndmask_b32 v12, 0, v87, s4 :: v_dual_cndmask_b32 v14, 0, v96, s5
	;; [unrolled: 1-line block ×3, first 2 shown]
	s_delay_alu instid0(VALU_DEP_3) | instskip(NEXT) | instid1(VALU_DEP_4)
	v_or_b32_e32 v85, v6, v8
	v_or_b32_e32 v84, v7, v9
	s_delay_alu instid0(VALU_DEP_3) | instskip(NEXT) | instid1(VALU_DEP_4)
	v_or_b32_e32 v19, v12, v1
	v_or_b32_e32 v26, v14, v0
.LBB287_3810:                           ;   in Loop: Header=BB287_2093 Depth=1
	s_or_b32 exec_lo, exec_lo, s8
	;;#ASMSTART
	v_pk_mul_f16 v0, v119, v85;

	;;#ASMEND
	;;#ASMSTART
	v_pk_mul_f16 v1, v117, v84;

	;;#ASMEND
	;; [unrolled: 4-line block ×4, first 2 shown]
	;;#ASMSTART
	v_pk_add_f16 v0, v0, v1;

	;;#ASMEND
	;;#ASMSTART
	v_pk_add_f16 v0, v0, v6;

	;;#ASMEND
	;; [unrolled: 4-line block ×3, first 2 shown]
	v_and_b32_e32 v1, 0xffff, v0
	v_lshrrev_b32_e32 v0, 16, v0
	;;#ASMSTART
	v_cvt_f32_f16 v101, v1;
	;;#ASMEND
	v_mov_b32_e32 v1, 0
	;;#ASMSTART
	v_cvt_f32_f16 v113, v0;
	;;#ASMEND
	flat_load_b64 v[86:87], v[82:83] offset:6656
	flat_load_b32 v84, v[22:23]
	v_mov_b32_e32 v6, 0
	s_mov_b32 s22, exec_lo
	s_wait_loadcnt_dscnt 0x101
	v_and_b32_e32 v0, 0xff, v86
	s_wait_xcnt 0x0
	s_delay_alu instid0(VALU_DEP_1)
	v_cmpx_ne_u16_e32 0, v0
	s_cbranch_execz .LBB287_3818
; %bb.3811:                             ;   in Loop: Header=BB287_2093 Depth=1
	v_mov_b32_e32 v6, 0x8000
	s_mov_b32 s23, exec_lo
	v_cmpx_ne_u16_e32 0x80, v0
	s_cbranch_execz .LBB287_3817
; %bb.3812:                             ;   in Loop: Header=BB287_2093 Depth=1
	v_and_b32_e32 v7, 0x7f, v86
	v_mov_b32_e32 v6, 0x7c01
	s_mov_b32 s24, exec_lo
	s_delay_alu instid0(VALU_DEP_2)
	v_cmpx_ne_u32_e32 0x7f, v7
	s_cbranch_execz .LBB287_3816
; %bb.3813:                             ;   in Loop: Header=BB287_2093 Depth=1
	v_dual_lshrrev_b32 v6, 3, v7 :: v_dual_bitop2_b32 v0, 7, v86 bitop3:0x40
	s_mov_b32 s25, exec_lo
	v_cmpx_gt_u32_e32 8, v7
; %bb.3814:                             ;   in Loop: Header=BB287_2093 Depth=1
	s_delay_alu instid0(VALU_DEP_2) | instskip(NEXT) | instid1(VALU_DEP_1)
	v_clz_i32_u32_e32 v0, v0
	v_min_u32_e32 v0, 32, v0
	s_delay_alu instid0(VALU_DEP_1) | instskip(NEXT) | instid1(VALU_DEP_1)
	v_subrev_nc_u32_e32 v6, 28, v0
	v_lshlrev_b64_e32 v[8:9], v6, v[86:87]
	v_sub_nc_u32_e32 v6, 29, v0
	s_delay_alu instid0(VALU_DEP_2)
	v_and_b32_e32 v0, 7, v8
; %bb.3815:                             ;   in Loop: Header=BB287_2093 Depth=1
	s_or_b32 exec_lo, exec_lo, s25
	s_delay_alu instid0(VALU_DEP_1) | instskip(NEXT) | instid1(VALU_DEP_3)
	v_dual_lshlrev_b32 v7, 8, v86 :: v_dual_lshlrev_b32 v0, 7, v0
	v_lshl_add_u32 v6, v6, 10, 0x2000
	s_delay_alu instid0(VALU_DEP_2) | instskip(NEXT) | instid1(VALU_DEP_2)
	v_and_b32_e32 v7, 0x8000, v7
	v_and_b32_e32 v6, 0xfc00, v6
	s_delay_alu instid0(VALU_DEP_1)
	v_or3_b32 v6, v7, v6, v0
.LBB287_3816:                           ;   in Loop: Header=BB287_2093 Depth=1
	s_or_b32 exec_lo, exec_lo, s24
.LBB287_3817:                           ;   in Loop: Header=BB287_2093 Depth=1
	s_delay_alu instid0(SALU_CYCLE_1)
	s_or_b32 exec_lo, exec_lo, s23
.LBB287_3818:                           ;   in Loop: Header=BB287_2093 Depth=1
	s_delay_alu instid0(SALU_CYCLE_1) | instskip(SKIP_2) | instid1(VALU_DEP_1)
	s_or_b32 exec_lo, exec_lo, s22
	v_lshrrev_b16 v26, 8, v86
	s_mov_b32 s22, exec_lo
	v_cmpx_ne_u16_e32 0, v26
	s_cbranch_execz .LBB287_3826
; %bb.3819:                             ;   in Loop: Header=BB287_2093 Depth=1
	v_bfrev_b32_e32 v1, 1
	s_mov_b32 s23, exec_lo
	v_cmpx_ne_u16_e32 0x80, v26
	s_cbranch_execz .LBB287_3825
; %bb.3820:                             ;   in Loop: Header=BB287_2093 Depth=1
	v_and_b32_e32 v0, 0xffff, v26
	v_mov_b32_e32 v1, 0x7c010000
	s_mov_b32 s24, exec_lo
	s_delay_alu instid0(VALU_DEP_2) | instskip(NEXT) | instid1(VALU_DEP_1)
	v_and_b32_e32 v8, 0x7f, v0
	v_cmpx_ne_u32_e32 0x7f, v8
	s_cbranch_execz .LBB287_3824
; %bb.3821:                             ;   in Loop: Header=BB287_2093 Depth=1
	v_and_b32_e32 v1, 7, v0
	v_lshrrev_b32_e32 v7, 3, v8
	s_mov_b32 s25, exec_lo
	v_cmpx_gt_u32_e32 8, v8
; %bb.3822:                             ;   in Loop: Header=BB287_2093 Depth=1
	s_delay_alu instid0(VALU_DEP_3) | instskip(NEXT) | instid1(VALU_DEP_1)
	v_clz_i32_u32_e32 v1, v1
	v_min_u32_e32 v1, 32, v1
	s_delay_alu instid0(VALU_DEP_1) | instskip(NEXT) | instid1(VALU_DEP_1)
	v_subrev_nc_u32_e32 v7, 28, v1
	v_lshlrev_b64_e32 v[8:9], v7, v[26:27]
	s_delay_alu instid0(VALU_DEP_1)
	v_dual_sub_nc_u32 v7, 29, v1 :: v_dual_bitop2_b32 v1, 7, v8 bitop3:0x40
; %bb.3823:                             ;   in Loop: Header=BB287_2093 Depth=1
	s_or_b32 exec_lo, exec_lo, s25
	s_delay_alu instid0(VALU_DEP_1) | instskip(NEXT) | instid1(VALU_DEP_2)
	v_dual_lshlrev_b32 v0, 8, v0 :: v_dual_lshlrev_b32 v1, 23, v1
	v_lshl_add_u32 v7, v7, 10, 0x2000
	s_delay_alu instid0(VALU_DEP_1) | instskip(NEXT) | instid1(VALU_DEP_1)
	v_and_or_b32 v0, 0x8000, v0, v7
	v_lshl_or_b32 v1, v0, 16, v1
.LBB287_3824:                           ;   in Loop: Header=BB287_2093 Depth=1
	s_or_b32 exec_lo, exec_lo, s24
.LBB287_3825:                           ;   in Loop: Header=BB287_2093 Depth=1
	s_delay_alu instid0(SALU_CYCLE_1)
	s_or_b32 exec_lo, exec_lo, s23
.LBB287_3826:                           ;   in Loop: Header=BB287_2093 Depth=1
	s_delay_alu instid0(SALU_CYCLE_1) | instskip(SKIP_3) | instid1(VALU_DEP_2)
	s_or_b32 exec_lo, exec_lo, s22
	v_dual_mov_b32 v7, 0 :: v_dual_lshrrev_b32 v0, 16, v86
	v_mov_b32_e32 v8, 0
	s_mov_b32 s22, exec_lo
	v_and_b32_e32 v9, 0xff, v0
	s_delay_alu instid0(VALU_DEP_1)
	v_cmpx_ne_u16_e32 0, v9
	s_cbranch_execz .LBB287_3834
; %bb.3827:                             ;   in Loop: Header=BB287_2093 Depth=1
	v_mov_b32_e32 v8, 0x8000
	s_mov_b32 s23, exec_lo
	v_cmpx_ne_u16_e32 0x80, v9
	s_cbranch_execz .LBB287_3833
; %bb.3828:                             ;   in Loop: Header=BB287_2093 Depth=1
	v_bfe_u32 v12, v86, 16, 7
	v_mov_b32_e32 v8, 0x7c01
	s_mov_b32 s24, exec_lo
	s_delay_alu instid0(VALU_DEP_2)
	v_cmpx_ne_u32_e32 0x7f, v12
	s_cbranch_execz .LBB287_3832
; %bb.3829:                             ;   in Loop: Header=BB287_2093 Depth=1
	v_and_b32_e32 v8, 7, v0
	v_lshrrev_b32_e32 v9, 3, v12
	s_mov_b32 s25, exec_lo
	v_cmpx_gt_u32_e32 8, v12
; %bb.3830:                             ;   in Loop: Header=BB287_2093 Depth=1
	s_delay_alu instid0(VALU_DEP_3) | instskip(NEXT) | instid1(VALU_DEP_1)
	v_clz_i32_u32_e32 v8, v8
	v_min_u32_e32 v12, 32, v8
	s_delay_alu instid0(VALU_DEP_1) | instskip(NEXT) | instid1(VALU_DEP_1)
	v_subrev_nc_u32_e32 v8, 28, v12
	v_lshlrev_b64_e32 v[8:9], v8, v[0:1]
	v_sub_nc_u32_e32 v9, 29, v12
	s_delay_alu instid0(VALU_DEP_2)
	v_and_b32_e32 v8, 7, v8
; %bb.3831:                             ;   in Loop: Header=BB287_2093 Depth=1
	s_or_b32 exec_lo, exec_lo, s25
	v_lshlrev_b32_e32 v0, 8, v0
	s_delay_alu instid0(VALU_DEP_3) | instskip(NEXT) | instid1(VALU_DEP_3)
	v_lshl_add_u32 v9, v9, 10, 0x2000
	v_lshlrev_b32_e32 v8, 7, v8
	s_delay_alu instid0(VALU_DEP_3) | instskip(NEXT) | instid1(VALU_DEP_3)
	v_and_b32_e32 v0, 0x8000, v0
	v_and_b32_e32 v9, 0xfc00, v9
	s_delay_alu instid0(VALU_DEP_1)
	v_or3_b32 v8, v0, v9, v8
.LBB287_3832:                           ;   in Loop: Header=BB287_2093 Depth=1
	s_or_b32 exec_lo, exec_lo, s24
.LBB287_3833:                           ;   in Loop: Header=BB287_2093 Depth=1
	s_delay_alu instid0(SALU_CYCLE_1)
	s_or_b32 exec_lo, exec_lo, s23
.LBB287_3834:                           ;   in Loop: Header=BB287_2093 Depth=1
	s_delay_alu instid0(SALU_CYCLE_1) | instskip(NEXT) | instid1(SALU_CYCLE_1)
	s_or_b32 exec_lo, exec_lo, s22
	s_mov_b32 s22, exec_lo
	v_cmpx_lt_u32_e32 0xffffff, v86
	s_cbranch_execz .LBB287_3842
; %bb.3835:                             ;   in Loop: Header=BB287_2093 Depth=1
	v_lshrrev_b32_e32 v26, 24, v86
	v_bfrev_b32_e32 v7, 1
	s_mov_b32 s23, exec_lo
	s_delay_alu instid0(VALU_DEP_2)
	v_cmpx_ne_u32_e32 0x80, v26
	s_cbranch_execz .LBB287_3841
; %bb.3836:                             ;   in Loop: Header=BB287_2093 Depth=1
	v_and_b32_e32 v9, 0x7f, v26
	v_mov_b32_e32 v7, 0x7c010000
	s_mov_b32 s24, exec_lo
	s_delay_alu instid0(VALU_DEP_2)
	v_cmpx_ne_u32_e32 0x7f, v9
	s_cbranch_execz .LBB287_3840
; %bb.3837:                             ;   in Loop: Header=BB287_2093 Depth=1
	v_dual_lshrrev_b32 v7, 3, v9 :: v_dual_bitop2_b32 v0, 7, v26 bitop3:0x40
	s_mov_b32 s25, exec_lo
	v_cmpx_gt_u32_e32 8, v9
; %bb.3838:                             ;   in Loop: Header=BB287_2093 Depth=1
	s_delay_alu instid0(VALU_DEP_2) | instskip(NEXT) | instid1(VALU_DEP_1)
	v_clz_i32_u32_e32 v0, v0
	v_min_u32_e32 v0, 32, v0
	s_delay_alu instid0(VALU_DEP_1) | instskip(NEXT) | instid1(VALU_DEP_1)
	v_subrev_nc_u32_e32 v7, 28, v0
	v_lshlrev_b64_e32 v[14:15], v7, v[26:27]
	s_delay_alu instid0(VALU_DEP_1)
	v_dual_sub_nc_u32 v7, 29, v0 :: v_dual_bitop2_b32 v0, 7, v14 bitop3:0x40
; %bb.3839:                             ;   in Loop: Header=BB287_2093 Depth=1
	s_or_b32 exec_lo, exec_lo, s25
	s_delay_alu instid0(VALU_DEP_1) | instskip(NEXT) | instid1(VALU_DEP_2)
	v_dual_lshlrev_b32 v9, 8, v26 :: v_dual_lshlrev_b32 v0, 23, v0
	v_lshl_add_u32 v7, v7, 10, 0x2000
	s_delay_alu instid0(VALU_DEP_1) | instskip(NEXT) | instid1(VALU_DEP_1)
	v_and_or_b32 v7, 0x8000, v9, v7
	v_lshl_or_b32 v7, v7, 16, v0
.LBB287_3840:                           ;   in Loop: Header=BB287_2093 Depth=1
	s_or_b32 exec_lo, exec_lo, s24
.LBB287_3841:                           ;   in Loop: Header=BB287_2093 Depth=1
	s_delay_alu instid0(SALU_CYCLE_1)
	s_or_b32 exec_lo, exec_lo, s23
.LBB287_3842:                           ;   in Loop: Header=BB287_2093 Depth=1
	s_delay_alu instid0(SALU_CYCLE_1) | instskip(SKIP_4) | instid1(VALU_DEP_3)
	s_or_b32 exec_lo, exec_lo, s22
	v_and_b32_e32 v0, 0xff, v87
	v_dual_mov_b32 v26, v87 :: v_dual_mov_b32 v12, 0
	v_mov_b32_e32 v9, 0
	s_mov_b32 s22, exec_lo
	v_cmpx_ne_u16_e32 0, v0
	s_cbranch_execz .LBB287_3850
; %bb.3843:                             ;   in Loop: Header=BB287_2093 Depth=1
	v_mov_b32_e32 v9, 0x8000
	s_mov_b32 s23, exec_lo
	v_cmpx_ne_u16_e32 0x80, v0
	s_cbranch_execz .LBB287_3849
; %bb.3844:                             ;   in Loop: Header=BB287_2093 Depth=1
	v_and_b32_e32 v16, 0x7f, v87
	v_mov_b32_e32 v9, 0x7c01
	s_mov_b32 s24, exec_lo
	s_delay_alu instid0(VALU_DEP_2)
	v_cmpx_ne_u32_e32 0x7f, v16
	s_cbranch_execz .LBB287_3848
; %bb.3845:                             ;   in Loop: Header=BB287_2093 Depth=1
	v_dual_lshrrev_b32 v9, 3, v16 :: v_dual_bitop2_b32 v0, 7, v87 bitop3:0x40
	s_mov_b32 s25, exec_lo
	v_cmpx_gt_u32_e32 8, v16
; %bb.3846:                             ;   in Loop: Header=BB287_2093 Depth=1
	s_delay_alu instid0(VALU_DEP_2) | instskip(NEXT) | instid1(VALU_DEP_1)
	v_clz_i32_u32_e32 v0, v0
	v_min_u32_e32 v0, 32, v0
	s_delay_alu instid0(VALU_DEP_1) | instskip(NEXT) | instid1(VALU_DEP_1)
	v_subrev_nc_u32_e32 v9, 28, v0
	v_lshlrev_b64_e32 v[14:15], v9, v[26:27]
	s_delay_alu instid0(VALU_DEP_1)
	v_dual_sub_nc_u32 v9, 29, v0 :: v_dual_bitop2_b32 v0, 7, v14 bitop3:0x40
; %bb.3847:                             ;   in Loop: Header=BB287_2093 Depth=1
	s_or_b32 exec_lo, exec_lo, s25
	s_delay_alu instid0(VALU_DEP_1) | instskip(NEXT) | instid1(VALU_DEP_2)
	v_dual_lshlrev_b32 v14, 8, v87 :: v_dual_lshlrev_b32 v0, 7, v0
	v_lshl_add_u32 v9, v9, 10, 0x2000
	s_delay_alu instid0(VALU_DEP_2) | instskip(NEXT) | instid1(VALU_DEP_2)
	v_and_b32_e32 v14, 0x8000, v14
	v_and_b32_e32 v9, 0xfc00, v9
	s_delay_alu instid0(VALU_DEP_1)
	v_or3_b32 v9, v14, v9, v0
.LBB287_3848:                           ;   in Loop: Header=BB287_2093 Depth=1
	s_or_b32 exec_lo, exec_lo, s24
.LBB287_3849:                           ;   in Loop: Header=BB287_2093 Depth=1
	s_delay_alu instid0(SALU_CYCLE_1)
	s_or_b32 exec_lo, exec_lo, s23
.LBB287_3850:                           ;   in Loop: Header=BB287_2093 Depth=1
	s_delay_alu instid0(SALU_CYCLE_1) | instskip(SKIP_3) | instid1(VALU_DEP_2)
	s_or_b32 exec_lo, exec_lo, s22
	v_lshrrev_b16 v26, 8, v26
	v_mov_b32_e32 v16, 0
	s_mov_b32 s22, exec_lo
	v_cmpx_ne_u16_e32 0, v26
	s_cbranch_execz .LBB287_3858
; %bb.3851:                             ;   in Loop: Header=BB287_2093 Depth=1
	v_bfrev_b32_e32 v16, 1
	s_mov_b32 s23, exec_lo
	v_cmpx_ne_u16_e32 0x80, v26
	s_cbranch_execz .LBB287_3857
; %bb.3852:                             ;   in Loop: Header=BB287_2093 Depth=1
	v_and_b32_e32 v0, 0xffff, v26
	v_mov_b32_e32 v16, 0x7c010000
	s_mov_b32 s24, exec_lo
	s_delay_alu instid0(VALU_DEP_2) | instskip(NEXT) | instid1(VALU_DEP_1)
	v_and_b32_e32 v18, 0x7f, v0
	v_cmpx_ne_u32_e32 0x7f, v18
	s_cbranch_execz .LBB287_3856
; %bb.3853:                             ;   in Loop: Header=BB287_2093 Depth=1
	v_dual_lshrrev_b32 v17, 3, v18 :: v_dual_bitop2_b32 v16, 7, v0 bitop3:0x40
	s_mov_b32 s25, exec_lo
	v_cmpx_gt_u32_e32 8, v18
; %bb.3854:                             ;   in Loop: Header=BB287_2093 Depth=1
	s_delay_alu instid0(VALU_DEP_2) | instskip(NEXT) | instid1(VALU_DEP_1)
	v_clz_i32_u32_e32 v14, v16
	v_min_u32_e32 v16, 32, v14
	s_delay_alu instid0(VALU_DEP_1) | instskip(NEXT) | instid1(VALU_DEP_1)
	v_subrev_nc_u32_e32 v14, 28, v16
	v_lshlrev_b64_e32 v[14:15], v14, v[26:27]
	s_delay_alu instid0(VALU_DEP_1)
	v_dual_sub_nc_u32 v17, 29, v16 :: v_dual_bitop2_b32 v16, 7, v14 bitop3:0x40
; %bb.3855:                             ;   in Loop: Header=BB287_2093 Depth=1
	s_or_b32 exec_lo, exec_lo, s25
	v_lshlrev_b32_e32 v0, 8, v0
	s_delay_alu instid0(VALU_DEP_2) | instskip(NEXT) | instid1(VALU_DEP_1)
	v_lshl_add_u32 v14, v17, 10, 0x2000
	v_and_or_b32 v0, 0x8000, v0, v14
	v_lshlrev_b32_e32 v14, 23, v16
	s_delay_alu instid0(VALU_DEP_1)
	v_lshl_or_b32 v16, v0, 16, v14
.LBB287_3856:                           ;   in Loop: Header=BB287_2093 Depth=1
	s_or_b32 exec_lo, exec_lo, s24
.LBB287_3857:                           ;   in Loop: Header=BB287_2093 Depth=1
	s_delay_alu instid0(SALU_CYCLE_1)
	s_or_b32 exec_lo, exec_lo, s23
.LBB287_3858:                           ;   in Loop: Header=BB287_2093 Depth=1
	s_delay_alu instid0(SALU_CYCLE_1) | instskip(SKIP_2) | instid1(VALU_DEP_1)
	s_or_b32 exec_lo, exec_lo, s22
	v_lshrrev_b32_e32 v0, 16, v87
	s_mov_b32 s22, exec_lo
	v_and_b32_e32 v17, 0xff, v0
	s_delay_alu instid0(VALU_DEP_1)
	v_cmpx_ne_u16_e32 0, v17
	s_cbranch_execz .LBB287_3866
; %bb.3859:                             ;   in Loop: Header=BB287_2093 Depth=1
	v_mov_b32_e32 v12, 0x8000
	s_mov_b32 s23, exec_lo
	v_cmpx_ne_u16_e32 0x80, v17
	s_cbranch_execz .LBB287_3865
; %bb.3860:                             ;   in Loop: Header=BB287_2093 Depth=1
	v_bfe_u32 v18, v87, 16, 7
	v_mov_b32_e32 v12, 0x7c01
	s_mov_b32 s24, exec_lo
	s_delay_alu instid0(VALU_DEP_2)
	v_cmpx_ne_u32_e32 0x7f, v18
	s_cbranch_execz .LBB287_3864
; %bb.3861:                             ;   in Loop: Header=BB287_2093 Depth=1
	v_dual_lshrrev_b32 v17, 3, v18 :: v_dual_bitop2_b32 v12, 7, v0 bitop3:0x40
	s_mov_b32 s25, exec_lo
	v_cmpx_gt_u32_e32 8, v18
; %bb.3862:                             ;   in Loop: Header=BB287_2093 Depth=1
	s_delay_alu instid0(VALU_DEP_2) | instskip(NEXT) | instid1(VALU_DEP_1)
	v_clz_i32_u32_e32 v12, v12
	v_min_u32_e32 v12, 32, v12
	s_delay_alu instid0(VALU_DEP_1) | instskip(NEXT) | instid1(VALU_DEP_1)
	v_subrev_nc_u32_e32 v14, 28, v12
	v_lshlrev_b64_e32 v[14:15], v14, v[0:1]
	s_delay_alu instid0(VALU_DEP_1)
	v_dual_sub_nc_u32 v17, 29, v12 :: v_dual_bitop2_b32 v12, 7, v14 bitop3:0x40
; %bb.3863:                             ;   in Loop: Header=BB287_2093 Depth=1
	s_or_b32 exec_lo, exec_lo, s25
	v_lshlrev_b32_e32 v0, 8, v0
	s_delay_alu instid0(VALU_DEP_2) | instskip(NEXT) | instid1(VALU_DEP_3)
	v_lshl_add_u32 v14, v17, 10, 0x2000
	v_lshlrev_b32_e32 v12, 7, v12
	s_delay_alu instid0(VALU_DEP_3) | instskip(NEXT) | instid1(VALU_DEP_3)
	v_and_b32_e32 v0, 0x8000, v0
	v_and_b32_e32 v14, 0xfc00, v14
	s_delay_alu instid0(VALU_DEP_1)
	v_or3_b32 v12, v0, v14, v12
.LBB287_3864:                           ;   in Loop: Header=BB287_2093 Depth=1
	s_or_b32 exec_lo, exec_lo, s24
.LBB287_3865:                           ;   in Loop: Header=BB287_2093 Depth=1
	s_delay_alu instid0(SALU_CYCLE_1)
	s_or_b32 exec_lo, exec_lo, s23
.LBB287_3866:                           ;   in Loop: Header=BB287_2093 Depth=1
	s_delay_alu instid0(SALU_CYCLE_1)
	s_or_b32 exec_lo, exec_lo, s22
	v_mov_b32_e32 v0, 0
	s_mov_b32 s22, exec_lo
	v_cmpx_lt_u64_e64 s[14:15], v[86:87]
	s_cbranch_execz .LBB287_3874
; %bb.3867:                             ;   in Loop: Header=BB287_2093 Depth=1
	v_lshrrev_b32_e32 v26, 24, v87
	v_bfrev_b32_e32 v0, 1
	s_mov_b32 s23, exec_lo
	s_delay_alu instid0(VALU_DEP_2)
	v_cmpx_ne_u32_e32 0x80, v26
	s_cbranch_execz .LBB287_3873
; %bb.3868:                             ;   in Loop: Header=BB287_2093 Depth=1
	v_and_b32_e32 v18, 0x7f, v26
	v_mov_b32_e32 v0, 0x7c010000
	s_mov_b32 s24, exec_lo
	s_delay_alu instid0(VALU_DEP_2)
	v_cmpx_ne_u32_e32 0x7f, v18
	s_cbranch_execz .LBB287_3872
; %bb.3869:                             ;   in Loop: Header=BB287_2093 Depth=1
	v_and_b32_e32 v0, 7, v26
	v_lshrrev_b32_e32 v17, 3, v18
	s_mov_b32 s25, exec_lo
	v_cmpx_gt_u32_e32 8, v18
; %bb.3870:                             ;   in Loop: Header=BB287_2093 Depth=1
	s_delay_alu instid0(VALU_DEP_3) | instskip(NEXT) | instid1(VALU_DEP_1)
	v_clz_i32_u32_e32 v0, v0
	v_min_u32_e32 v0, 32, v0
	s_delay_alu instid0(VALU_DEP_1) | instskip(NEXT) | instid1(VALU_DEP_1)
	v_subrev_nc_u32_e32 v14, 28, v0
	v_lshlrev_b64_e32 v[14:15], v14, v[26:27]
	s_delay_alu instid0(VALU_DEP_1)
	v_dual_sub_nc_u32 v17, 29, v0 :: v_dual_bitop2_b32 v0, 7, v14 bitop3:0x40
; %bb.3871:                             ;   in Loop: Header=BB287_2093 Depth=1
	s_or_b32 exec_lo, exec_lo, s25
	s_delay_alu instid0(VALU_DEP_1) | instskip(NEXT) | instid1(VALU_DEP_2)
	v_dual_lshlrev_b32 v14, 8, v26 :: v_dual_lshlrev_b32 v0, 23, v0
	v_lshl_add_u32 v15, v17, 10, 0x2000
	s_delay_alu instid0(VALU_DEP_1) | instskip(NEXT) | instid1(VALU_DEP_1)
	v_and_or_b32 v14, 0x8000, v14, v15
	v_lshl_or_b32 v0, v14, 16, v0
.LBB287_3872:                           ;   in Loop: Header=BB287_2093 Depth=1
	s_or_b32 exec_lo, exec_lo, s24
.LBB287_3873:                           ;   in Loop: Header=BB287_2093 Depth=1
	s_delay_alu instid0(SALU_CYCLE_1)
	s_or_b32 exec_lo, exec_lo, s23
.LBB287_3874:                           ;   in Loop: Header=BB287_2093 Depth=1
	s_delay_alu instid0(SALU_CYCLE_1) | instskip(SKIP_4) | instid1(VALU_DEP_4)
	s_or_b32 exec_lo, exec_lo, s22
	v_dual_lshrrev_b32 v14, 16, v1 :: v_dual_lshrrev_b32 v15, 16, v7
	v_or_b32_e32 v1, v1, v6
	v_or_b32_e32 v8, v7, v8
	;; [unrolled: 1-line block ×3, first 2 shown]
	v_cvt_f32_f16_e32 v7, v14
	v_cvt_f32_f16_e32 v6, v15
	v_lshrrev_b32_e32 v14, 16, v16
	v_dual_lshrrev_b32 v15, 16, v0 :: v_dual_bitop2_b32 v16, v16, v9 bitop3:0x54
	v_cvt_f32_f16_e32 v0, v8
	s_wait_loadcnt_dscnt 0x0
	v_pk_mul_f32 v[6:7], v[84:85], v[6:7] op_sel_hi:[0,1]
	v_cvt_f32_f16_e32 v1, v1
	v_cvt_f32_f16_e32 v9, v14
	;; [unrolled: 1-line block ×5, first 2 shown]
	v_pk_mul_f32 v[0:1], v[84:85], v[0:1] op_sel_hi:[0,1]
	v_cvt_pk_f16_f32 v12, v6, v7
	v_pk_mul_f32 v[6:7], v[84:85], v[8:9] op_sel_hi:[0,1]
	s_delay_alu instid0(VALU_DEP_4) | instskip(NEXT) | instid1(VALU_DEP_4)
	v_pk_mul_f32 v[14:15], v[84:85], v[14:15] op_sel_hi:[0,1]
	v_cvt_pk_f16_f32 v0, v0, v1
	s_delay_alu instid0(VALU_DEP_4) | instskip(NEXT) | instid1(VALU_DEP_4)
	v_and_b32_e32 v9, 0xffff0000, v12
	v_cvt_pk_f16_f32 v6, v6, v7
	s_delay_alu instid0(VALU_DEP_4) | instskip(NEXT) | instid1(VALU_DEP_4)
	v_cvt_pk_f16_f32 v7, v14, v15
	v_and_b32_e32 v98, 0xffff, v0
	v_lshrrev_b32_e32 v97, 16, v0
	v_lshlrev_b32_e32 v86, 16, v12
	v_and_b32_e32 v1, 0xffff0000, v6
	v_dual_lshlrev_b32 v0, 16, v6 :: v_dual_lshrrev_b32 v87, 16, v7
	v_and_b32_e32 v96, 0xffff, v7
	v_or_b32_e32 v85, v9, v97
	v_or_b32_e32 v84, v86, v98
	s_delay_alu instid0(VALU_DEP_4) | instskip(NEXT) | instid1(VALU_DEP_4)
	v_or_b32_e32 v19, v1, v87
	v_or_b32_e32 v26, v0, v96
	s_and_saveexec_b32 s8, s0
	s_cbranch_execz .LBB287_3876
; %bb.3875:                             ;   in Loop: Header=BB287_2093 Depth=1
	v_dual_cndmask_b32 v6, 0, v97, vcc_lo :: v_dual_cndmask_b32 v7, 0, v98, s1
	v_dual_cndmask_b32 v8, 0, v9, s2 :: v_dual_cndmask_b32 v9, 0, v86, s3
	v_dual_cndmask_b32 v12, 0, v87, s4 :: v_dual_cndmask_b32 v14, 0, v96, s5
	;; [unrolled: 1-line block ×3, first 2 shown]
	s_delay_alu instid0(VALU_DEP_3) | instskip(NEXT) | instid1(VALU_DEP_4)
	v_or_b32_e32 v85, v6, v8
	v_or_b32_e32 v84, v7, v9
	s_delay_alu instid0(VALU_DEP_3) | instskip(NEXT) | instid1(VALU_DEP_4)
	v_or_b32_e32 v19, v12, v1
	v_or_b32_e32 v26, v14, v0
.LBB287_3876:                           ;   in Loop: Header=BB287_2093 Depth=1
	s_or_b32 exec_lo, exec_lo, s8
	;;#ASMSTART
	v_pk_mul_f16 v0, v119, v85;

	;;#ASMEND
	;;#ASMSTART
	v_pk_mul_f16 v1, v117, v84;

	;;#ASMEND
	;; [unrolled: 4-line block ×4, first 2 shown]
	;;#ASMSTART
	v_pk_add_f16 v0, v0, v1;

	;;#ASMEND
	;;#ASMSTART
	v_pk_add_f16 v0, v0, v6;

	;;#ASMEND
	;; [unrolled: 4-line block ×3, first 2 shown]
	v_and_b32_e32 v1, 0xffff, v0
	v_lshrrev_b32_e32 v0, 16, v0
	;;#ASMSTART
	v_cvt_f32_f16 v28, v1;
	;;#ASMEND
	v_mov_b32_e32 v1, 0
	;;#ASMSTART
	v_cvt_f32_f16 v29, v0;
	;;#ASMEND
	flat_load_b64 v[86:87], v[82:83] offset:6912
	flat_load_b32 v84, v[22:23]
	v_mov_b32_e32 v6, 0
	s_mov_b32 s22, exec_lo
	s_wait_loadcnt_dscnt 0x101
	v_and_b32_e32 v0, 0xff, v86
	s_wait_xcnt 0x0
	s_delay_alu instid0(VALU_DEP_1)
	v_cmpx_ne_u16_e32 0, v0
	s_cbranch_execz .LBB287_3884
; %bb.3877:                             ;   in Loop: Header=BB287_2093 Depth=1
	v_mov_b32_e32 v6, 0x8000
	s_mov_b32 s23, exec_lo
	v_cmpx_ne_u16_e32 0x80, v0
	s_cbranch_execz .LBB287_3883
; %bb.3878:                             ;   in Loop: Header=BB287_2093 Depth=1
	v_and_b32_e32 v7, 0x7f, v86
	v_mov_b32_e32 v6, 0x7c01
	s_mov_b32 s24, exec_lo
	s_delay_alu instid0(VALU_DEP_2)
	v_cmpx_ne_u32_e32 0x7f, v7
	s_cbranch_execz .LBB287_3882
; %bb.3879:                             ;   in Loop: Header=BB287_2093 Depth=1
	v_dual_lshrrev_b32 v6, 3, v7 :: v_dual_bitop2_b32 v0, 7, v86 bitop3:0x40
	s_mov_b32 s25, exec_lo
	v_cmpx_gt_u32_e32 8, v7
; %bb.3880:                             ;   in Loop: Header=BB287_2093 Depth=1
	s_delay_alu instid0(VALU_DEP_2) | instskip(NEXT) | instid1(VALU_DEP_1)
	v_clz_i32_u32_e32 v0, v0
	v_min_u32_e32 v0, 32, v0
	s_delay_alu instid0(VALU_DEP_1) | instskip(NEXT) | instid1(VALU_DEP_1)
	v_subrev_nc_u32_e32 v6, 28, v0
	v_lshlrev_b64_e32 v[8:9], v6, v[86:87]
	v_sub_nc_u32_e32 v6, 29, v0
	s_delay_alu instid0(VALU_DEP_2)
	v_and_b32_e32 v0, 7, v8
; %bb.3881:                             ;   in Loop: Header=BB287_2093 Depth=1
	s_or_b32 exec_lo, exec_lo, s25
	s_delay_alu instid0(VALU_DEP_1) | instskip(NEXT) | instid1(VALU_DEP_3)
	v_dual_lshlrev_b32 v7, 8, v86 :: v_dual_lshlrev_b32 v0, 7, v0
	v_lshl_add_u32 v6, v6, 10, 0x2000
	s_delay_alu instid0(VALU_DEP_2) | instskip(NEXT) | instid1(VALU_DEP_2)
	v_and_b32_e32 v7, 0x8000, v7
	v_and_b32_e32 v6, 0xfc00, v6
	s_delay_alu instid0(VALU_DEP_1)
	v_or3_b32 v6, v7, v6, v0
.LBB287_3882:                           ;   in Loop: Header=BB287_2093 Depth=1
	s_or_b32 exec_lo, exec_lo, s24
.LBB287_3883:                           ;   in Loop: Header=BB287_2093 Depth=1
	s_delay_alu instid0(SALU_CYCLE_1)
	s_or_b32 exec_lo, exec_lo, s23
.LBB287_3884:                           ;   in Loop: Header=BB287_2093 Depth=1
	s_delay_alu instid0(SALU_CYCLE_1) | instskip(SKIP_2) | instid1(VALU_DEP_1)
	s_or_b32 exec_lo, exec_lo, s22
	v_lshrrev_b16 v26, 8, v86
	s_mov_b32 s22, exec_lo
	v_cmpx_ne_u16_e32 0, v26
	s_cbranch_execz .LBB287_3892
; %bb.3885:                             ;   in Loop: Header=BB287_2093 Depth=1
	v_bfrev_b32_e32 v1, 1
	s_mov_b32 s23, exec_lo
	v_cmpx_ne_u16_e32 0x80, v26
	s_cbranch_execz .LBB287_3891
; %bb.3886:                             ;   in Loop: Header=BB287_2093 Depth=1
	v_and_b32_e32 v0, 0xffff, v26
	v_mov_b32_e32 v1, 0x7c010000
	s_mov_b32 s24, exec_lo
	s_delay_alu instid0(VALU_DEP_2) | instskip(NEXT) | instid1(VALU_DEP_1)
	v_and_b32_e32 v8, 0x7f, v0
	v_cmpx_ne_u32_e32 0x7f, v8
	s_cbranch_execz .LBB287_3890
; %bb.3887:                             ;   in Loop: Header=BB287_2093 Depth=1
	v_and_b32_e32 v1, 7, v0
	v_lshrrev_b32_e32 v7, 3, v8
	s_mov_b32 s25, exec_lo
	v_cmpx_gt_u32_e32 8, v8
; %bb.3888:                             ;   in Loop: Header=BB287_2093 Depth=1
	s_delay_alu instid0(VALU_DEP_3) | instskip(NEXT) | instid1(VALU_DEP_1)
	v_clz_i32_u32_e32 v1, v1
	v_min_u32_e32 v1, 32, v1
	s_delay_alu instid0(VALU_DEP_1) | instskip(NEXT) | instid1(VALU_DEP_1)
	v_subrev_nc_u32_e32 v7, 28, v1
	v_lshlrev_b64_e32 v[8:9], v7, v[26:27]
	s_delay_alu instid0(VALU_DEP_1)
	v_dual_sub_nc_u32 v7, 29, v1 :: v_dual_bitop2_b32 v1, 7, v8 bitop3:0x40
; %bb.3889:                             ;   in Loop: Header=BB287_2093 Depth=1
	s_or_b32 exec_lo, exec_lo, s25
	s_delay_alu instid0(VALU_DEP_1) | instskip(NEXT) | instid1(VALU_DEP_2)
	v_dual_lshlrev_b32 v0, 8, v0 :: v_dual_lshlrev_b32 v1, 23, v1
	v_lshl_add_u32 v7, v7, 10, 0x2000
	s_delay_alu instid0(VALU_DEP_1) | instskip(NEXT) | instid1(VALU_DEP_1)
	v_and_or_b32 v0, 0x8000, v0, v7
	v_lshl_or_b32 v1, v0, 16, v1
.LBB287_3890:                           ;   in Loop: Header=BB287_2093 Depth=1
	s_or_b32 exec_lo, exec_lo, s24
.LBB287_3891:                           ;   in Loop: Header=BB287_2093 Depth=1
	s_delay_alu instid0(SALU_CYCLE_1)
	s_or_b32 exec_lo, exec_lo, s23
.LBB287_3892:                           ;   in Loop: Header=BB287_2093 Depth=1
	s_delay_alu instid0(SALU_CYCLE_1) | instskip(SKIP_3) | instid1(VALU_DEP_2)
	s_or_b32 exec_lo, exec_lo, s22
	v_dual_mov_b32 v7, 0 :: v_dual_lshrrev_b32 v0, 16, v86
	v_mov_b32_e32 v8, 0
	s_mov_b32 s22, exec_lo
	v_and_b32_e32 v9, 0xff, v0
	s_delay_alu instid0(VALU_DEP_1)
	v_cmpx_ne_u16_e32 0, v9
	s_cbranch_execz .LBB287_3900
; %bb.3893:                             ;   in Loop: Header=BB287_2093 Depth=1
	v_mov_b32_e32 v8, 0x8000
	s_mov_b32 s23, exec_lo
	v_cmpx_ne_u16_e32 0x80, v9
	s_cbranch_execz .LBB287_3899
; %bb.3894:                             ;   in Loop: Header=BB287_2093 Depth=1
	v_bfe_u32 v12, v86, 16, 7
	v_mov_b32_e32 v8, 0x7c01
	s_mov_b32 s24, exec_lo
	s_delay_alu instid0(VALU_DEP_2)
	v_cmpx_ne_u32_e32 0x7f, v12
	s_cbranch_execz .LBB287_3898
; %bb.3895:                             ;   in Loop: Header=BB287_2093 Depth=1
	v_and_b32_e32 v8, 7, v0
	v_lshrrev_b32_e32 v9, 3, v12
	s_mov_b32 s25, exec_lo
	v_cmpx_gt_u32_e32 8, v12
; %bb.3896:                             ;   in Loop: Header=BB287_2093 Depth=1
	s_delay_alu instid0(VALU_DEP_3) | instskip(NEXT) | instid1(VALU_DEP_1)
	v_clz_i32_u32_e32 v8, v8
	v_min_u32_e32 v12, 32, v8
	s_delay_alu instid0(VALU_DEP_1) | instskip(NEXT) | instid1(VALU_DEP_1)
	v_subrev_nc_u32_e32 v8, 28, v12
	v_lshlrev_b64_e32 v[8:9], v8, v[0:1]
	v_sub_nc_u32_e32 v9, 29, v12
	s_delay_alu instid0(VALU_DEP_2)
	v_and_b32_e32 v8, 7, v8
; %bb.3897:                             ;   in Loop: Header=BB287_2093 Depth=1
	s_or_b32 exec_lo, exec_lo, s25
	v_lshlrev_b32_e32 v0, 8, v0
	s_delay_alu instid0(VALU_DEP_3) | instskip(NEXT) | instid1(VALU_DEP_3)
	v_lshl_add_u32 v9, v9, 10, 0x2000
	v_lshlrev_b32_e32 v8, 7, v8
	s_delay_alu instid0(VALU_DEP_3) | instskip(NEXT) | instid1(VALU_DEP_3)
	v_and_b32_e32 v0, 0x8000, v0
	v_and_b32_e32 v9, 0xfc00, v9
	s_delay_alu instid0(VALU_DEP_1)
	v_or3_b32 v8, v0, v9, v8
.LBB287_3898:                           ;   in Loop: Header=BB287_2093 Depth=1
	s_or_b32 exec_lo, exec_lo, s24
.LBB287_3899:                           ;   in Loop: Header=BB287_2093 Depth=1
	s_delay_alu instid0(SALU_CYCLE_1)
	s_or_b32 exec_lo, exec_lo, s23
.LBB287_3900:                           ;   in Loop: Header=BB287_2093 Depth=1
	s_delay_alu instid0(SALU_CYCLE_1) | instskip(NEXT) | instid1(SALU_CYCLE_1)
	s_or_b32 exec_lo, exec_lo, s22
	s_mov_b32 s22, exec_lo
	v_cmpx_lt_u32_e32 0xffffff, v86
	s_cbranch_execz .LBB287_3908
; %bb.3901:                             ;   in Loop: Header=BB287_2093 Depth=1
	v_lshrrev_b32_e32 v26, 24, v86
	v_bfrev_b32_e32 v7, 1
	s_mov_b32 s23, exec_lo
	s_delay_alu instid0(VALU_DEP_2)
	v_cmpx_ne_u32_e32 0x80, v26
	s_cbranch_execz .LBB287_3907
; %bb.3902:                             ;   in Loop: Header=BB287_2093 Depth=1
	v_and_b32_e32 v9, 0x7f, v26
	v_mov_b32_e32 v7, 0x7c010000
	s_mov_b32 s24, exec_lo
	s_delay_alu instid0(VALU_DEP_2)
	v_cmpx_ne_u32_e32 0x7f, v9
	s_cbranch_execz .LBB287_3906
; %bb.3903:                             ;   in Loop: Header=BB287_2093 Depth=1
	v_dual_lshrrev_b32 v7, 3, v9 :: v_dual_bitop2_b32 v0, 7, v26 bitop3:0x40
	s_mov_b32 s25, exec_lo
	v_cmpx_gt_u32_e32 8, v9
; %bb.3904:                             ;   in Loop: Header=BB287_2093 Depth=1
	s_delay_alu instid0(VALU_DEP_2) | instskip(NEXT) | instid1(VALU_DEP_1)
	v_clz_i32_u32_e32 v0, v0
	v_min_u32_e32 v0, 32, v0
	s_delay_alu instid0(VALU_DEP_1) | instskip(NEXT) | instid1(VALU_DEP_1)
	v_subrev_nc_u32_e32 v7, 28, v0
	v_lshlrev_b64_e32 v[14:15], v7, v[26:27]
	s_delay_alu instid0(VALU_DEP_1)
	v_dual_sub_nc_u32 v7, 29, v0 :: v_dual_bitop2_b32 v0, 7, v14 bitop3:0x40
; %bb.3905:                             ;   in Loop: Header=BB287_2093 Depth=1
	s_or_b32 exec_lo, exec_lo, s25
	s_delay_alu instid0(VALU_DEP_1) | instskip(NEXT) | instid1(VALU_DEP_2)
	v_dual_lshlrev_b32 v9, 8, v26 :: v_dual_lshlrev_b32 v0, 23, v0
	v_lshl_add_u32 v7, v7, 10, 0x2000
	s_delay_alu instid0(VALU_DEP_1) | instskip(NEXT) | instid1(VALU_DEP_1)
	v_and_or_b32 v7, 0x8000, v9, v7
	v_lshl_or_b32 v7, v7, 16, v0
.LBB287_3906:                           ;   in Loop: Header=BB287_2093 Depth=1
	s_or_b32 exec_lo, exec_lo, s24
.LBB287_3907:                           ;   in Loop: Header=BB287_2093 Depth=1
	s_delay_alu instid0(SALU_CYCLE_1)
	s_or_b32 exec_lo, exec_lo, s23
.LBB287_3908:                           ;   in Loop: Header=BB287_2093 Depth=1
	s_delay_alu instid0(SALU_CYCLE_1) | instskip(SKIP_4) | instid1(VALU_DEP_3)
	s_or_b32 exec_lo, exec_lo, s22
	v_and_b32_e32 v0, 0xff, v87
	v_dual_mov_b32 v26, v87 :: v_dual_mov_b32 v12, 0
	v_mov_b32_e32 v9, 0
	s_mov_b32 s22, exec_lo
	v_cmpx_ne_u16_e32 0, v0
	s_cbranch_execz .LBB287_3916
; %bb.3909:                             ;   in Loop: Header=BB287_2093 Depth=1
	v_mov_b32_e32 v9, 0x8000
	s_mov_b32 s23, exec_lo
	v_cmpx_ne_u16_e32 0x80, v0
	s_cbranch_execz .LBB287_3915
; %bb.3910:                             ;   in Loop: Header=BB287_2093 Depth=1
	v_and_b32_e32 v16, 0x7f, v87
	v_mov_b32_e32 v9, 0x7c01
	s_mov_b32 s24, exec_lo
	s_delay_alu instid0(VALU_DEP_2)
	v_cmpx_ne_u32_e32 0x7f, v16
	s_cbranch_execz .LBB287_3914
; %bb.3911:                             ;   in Loop: Header=BB287_2093 Depth=1
	v_dual_lshrrev_b32 v9, 3, v16 :: v_dual_bitop2_b32 v0, 7, v87 bitop3:0x40
	s_mov_b32 s25, exec_lo
	v_cmpx_gt_u32_e32 8, v16
; %bb.3912:                             ;   in Loop: Header=BB287_2093 Depth=1
	s_delay_alu instid0(VALU_DEP_2) | instskip(NEXT) | instid1(VALU_DEP_1)
	v_clz_i32_u32_e32 v0, v0
	v_min_u32_e32 v0, 32, v0
	s_delay_alu instid0(VALU_DEP_1) | instskip(NEXT) | instid1(VALU_DEP_1)
	v_subrev_nc_u32_e32 v9, 28, v0
	v_lshlrev_b64_e32 v[14:15], v9, v[26:27]
	s_delay_alu instid0(VALU_DEP_1)
	v_dual_sub_nc_u32 v9, 29, v0 :: v_dual_bitop2_b32 v0, 7, v14 bitop3:0x40
; %bb.3913:                             ;   in Loop: Header=BB287_2093 Depth=1
	s_or_b32 exec_lo, exec_lo, s25
	s_delay_alu instid0(VALU_DEP_1) | instskip(NEXT) | instid1(VALU_DEP_2)
	v_dual_lshlrev_b32 v14, 8, v87 :: v_dual_lshlrev_b32 v0, 7, v0
	v_lshl_add_u32 v9, v9, 10, 0x2000
	s_delay_alu instid0(VALU_DEP_2) | instskip(NEXT) | instid1(VALU_DEP_2)
	v_and_b32_e32 v14, 0x8000, v14
	v_and_b32_e32 v9, 0xfc00, v9
	s_delay_alu instid0(VALU_DEP_1)
	v_or3_b32 v9, v14, v9, v0
.LBB287_3914:                           ;   in Loop: Header=BB287_2093 Depth=1
	s_or_b32 exec_lo, exec_lo, s24
.LBB287_3915:                           ;   in Loop: Header=BB287_2093 Depth=1
	s_delay_alu instid0(SALU_CYCLE_1)
	s_or_b32 exec_lo, exec_lo, s23
.LBB287_3916:                           ;   in Loop: Header=BB287_2093 Depth=1
	s_delay_alu instid0(SALU_CYCLE_1) | instskip(SKIP_3) | instid1(VALU_DEP_2)
	s_or_b32 exec_lo, exec_lo, s22
	v_lshrrev_b16 v26, 8, v26
	v_mov_b32_e32 v16, 0
	s_mov_b32 s22, exec_lo
	v_cmpx_ne_u16_e32 0, v26
	s_cbranch_execz .LBB287_3924
; %bb.3917:                             ;   in Loop: Header=BB287_2093 Depth=1
	v_bfrev_b32_e32 v16, 1
	s_mov_b32 s23, exec_lo
	v_cmpx_ne_u16_e32 0x80, v26
	s_cbranch_execz .LBB287_3923
; %bb.3918:                             ;   in Loop: Header=BB287_2093 Depth=1
	v_and_b32_e32 v0, 0xffff, v26
	v_mov_b32_e32 v16, 0x7c010000
	s_mov_b32 s24, exec_lo
	s_delay_alu instid0(VALU_DEP_2) | instskip(NEXT) | instid1(VALU_DEP_1)
	v_and_b32_e32 v18, 0x7f, v0
	v_cmpx_ne_u32_e32 0x7f, v18
	s_cbranch_execz .LBB287_3922
; %bb.3919:                             ;   in Loop: Header=BB287_2093 Depth=1
	v_dual_lshrrev_b32 v17, 3, v18 :: v_dual_bitop2_b32 v16, 7, v0 bitop3:0x40
	s_mov_b32 s25, exec_lo
	v_cmpx_gt_u32_e32 8, v18
; %bb.3920:                             ;   in Loop: Header=BB287_2093 Depth=1
	s_delay_alu instid0(VALU_DEP_2) | instskip(NEXT) | instid1(VALU_DEP_1)
	v_clz_i32_u32_e32 v14, v16
	v_min_u32_e32 v16, 32, v14
	s_delay_alu instid0(VALU_DEP_1) | instskip(NEXT) | instid1(VALU_DEP_1)
	v_subrev_nc_u32_e32 v14, 28, v16
	v_lshlrev_b64_e32 v[14:15], v14, v[26:27]
	s_delay_alu instid0(VALU_DEP_1)
	v_dual_sub_nc_u32 v17, 29, v16 :: v_dual_bitop2_b32 v16, 7, v14 bitop3:0x40
; %bb.3921:                             ;   in Loop: Header=BB287_2093 Depth=1
	s_or_b32 exec_lo, exec_lo, s25
	v_lshlrev_b32_e32 v0, 8, v0
	s_delay_alu instid0(VALU_DEP_2) | instskip(NEXT) | instid1(VALU_DEP_1)
	v_lshl_add_u32 v14, v17, 10, 0x2000
	v_and_or_b32 v0, 0x8000, v0, v14
	v_lshlrev_b32_e32 v14, 23, v16
	s_delay_alu instid0(VALU_DEP_1)
	v_lshl_or_b32 v16, v0, 16, v14
.LBB287_3922:                           ;   in Loop: Header=BB287_2093 Depth=1
	s_or_b32 exec_lo, exec_lo, s24
.LBB287_3923:                           ;   in Loop: Header=BB287_2093 Depth=1
	s_delay_alu instid0(SALU_CYCLE_1)
	s_or_b32 exec_lo, exec_lo, s23
.LBB287_3924:                           ;   in Loop: Header=BB287_2093 Depth=1
	s_delay_alu instid0(SALU_CYCLE_1) | instskip(SKIP_2) | instid1(VALU_DEP_1)
	s_or_b32 exec_lo, exec_lo, s22
	v_lshrrev_b32_e32 v0, 16, v87
	s_mov_b32 s22, exec_lo
	v_and_b32_e32 v17, 0xff, v0
	s_delay_alu instid0(VALU_DEP_1)
	v_cmpx_ne_u16_e32 0, v17
	s_cbranch_execz .LBB287_3932
; %bb.3925:                             ;   in Loop: Header=BB287_2093 Depth=1
	v_mov_b32_e32 v12, 0x8000
	s_mov_b32 s23, exec_lo
	v_cmpx_ne_u16_e32 0x80, v17
	s_cbranch_execz .LBB287_3931
; %bb.3926:                             ;   in Loop: Header=BB287_2093 Depth=1
	v_bfe_u32 v18, v87, 16, 7
	v_mov_b32_e32 v12, 0x7c01
	s_mov_b32 s24, exec_lo
	s_delay_alu instid0(VALU_DEP_2)
	v_cmpx_ne_u32_e32 0x7f, v18
	s_cbranch_execz .LBB287_3930
; %bb.3927:                             ;   in Loop: Header=BB287_2093 Depth=1
	v_dual_lshrrev_b32 v17, 3, v18 :: v_dual_bitop2_b32 v12, 7, v0 bitop3:0x40
	s_mov_b32 s25, exec_lo
	v_cmpx_gt_u32_e32 8, v18
; %bb.3928:                             ;   in Loop: Header=BB287_2093 Depth=1
	s_delay_alu instid0(VALU_DEP_2) | instskip(NEXT) | instid1(VALU_DEP_1)
	v_clz_i32_u32_e32 v12, v12
	v_min_u32_e32 v12, 32, v12
	s_delay_alu instid0(VALU_DEP_1) | instskip(NEXT) | instid1(VALU_DEP_1)
	v_subrev_nc_u32_e32 v14, 28, v12
	v_lshlrev_b64_e32 v[14:15], v14, v[0:1]
	s_delay_alu instid0(VALU_DEP_1)
	v_dual_sub_nc_u32 v17, 29, v12 :: v_dual_bitop2_b32 v12, 7, v14 bitop3:0x40
; %bb.3929:                             ;   in Loop: Header=BB287_2093 Depth=1
	s_or_b32 exec_lo, exec_lo, s25
	v_lshlrev_b32_e32 v0, 8, v0
	s_delay_alu instid0(VALU_DEP_2) | instskip(NEXT) | instid1(VALU_DEP_3)
	v_lshl_add_u32 v14, v17, 10, 0x2000
	v_lshlrev_b32_e32 v12, 7, v12
	s_delay_alu instid0(VALU_DEP_3) | instskip(NEXT) | instid1(VALU_DEP_3)
	v_and_b32_e32 v0, 0x8000, v0
	v_and_b32_e32 v14, 0xfc00, v14
	s_delay_alu instid0(VALU_DEP_1)
	v_or3_b32 v12, v0, v14, v12
.LBB287_3930:                           ;   in Loop: Header=BB287_2093 Depth=1
	s_or_b32 exec_lo, exec_lo, s24
.LBB287_3931:                           ;   in Loop: Header=BB287_2093 Depth=1
	s_delay_alu instid0(SALU_CYCLE_1)
	s_or_b32 exec_lo, exec_lo, s23
.LBB287_3932:                           ;   in Loop: Header=BB287_2093 Depth=1
	s_delay_alu instid0(SALU_CYCLE_1)
	s_or_b32 exec_lo, exec_lo, s22
	v_mov_b32_e32 v0, 0
	s_mov_b32 s22, exec_lo
	v_cmpx_lt_u64_e64 s[14:15], v[86:87]
	s_cbranch_execz .LBB287_3940
; %bb.3933:                             ;   in Loop: Header=BB287_2093 Depth=1
	v_lshrrev_b32_e32 v26, 24, v87
	v_bfrev_b32_e32 v0, 1
	s_mov_b32 s23, exec_lo
	s_delay_alu instid0(VALU_DEP_2)
	v_cmpx_ne_u32_e32 0x80, v26
	s_cbranch_execz .LBB287_3939
; %bb.3934:                             ;   in Loop: Header=BB287_2093 Depth=1
	v_and_b32_e32 v18, 0x7f, v26
	v_mov_b32_e32 v0, 0x7c010000
	s_mov_b32 s24, exec_lo
	s_delay_alu instid0(VALU_DEP_2)
	v_cmpx_ne_u32_e32 0x7f, v18
	s_cbranch_execz .LBB287_3938
; %bb.3935:                             ;   in Loop: Header=BB287_2093 Depth=1
	v_and_b32_e32 v0, 7, v26
	v_lshrrev_b32_e32 v17, 3, v18
	s_mov_b32 s25, exec_lo
	v_cmpx_gt_u32_e32 8, v18
; %bb.3936:                             ;   in Loop: Header=BB287_2093 Depth=1
	s_delay_alu instid0(VALU_DEP_3) | instskip(NEXT) | instid1(VALU_DEP_1)
	v_clz_i32_u32_e32 v0, v0
	v_min_u32_e32 v0, 32, v0
	s_delay_alu instid0(VALU_DEP_1) | instskip(NEXT) | instid1(VALU_DEP_1)
	v_subrev_nc_u32_e32 v14, 28, v0
	v_lshlrev_b64_e32 v[14:15], v14, v[26:27]
	s_delay_alu instid0(VALU_DEP_1)
	v_dual_sub_nc_u32 v17, 29, v0 :: v_dual_bitop2_b32 v0, 7, v14 bitop3:0x40
; %bb.3937:                             ;   in Loop: Header=BB287_2093 Depth=1
	s_or_b32 exec_lo, exec_lo, s25
	s_delay_alu instid0(VALU_DEP_1) | instskip(NEXT) | instid1(VALU_DEP_2)
	v_dual_lshlrev_b32 v14, 8, v26 :: v_dual_lshlrev_b32 v0, 23, v0
	v_lshl_add_u32 v15, v17, 10, 0x2000
	s_delay_alu instid0(VALU_DEP_1) | instskip(NEXT) | instid1(VALU_DEP_1)
	v_and_or_b32 v14, 0x8000, v14, v15
	v_lshl_or_b32 v0, v14, 16, v0
.LBB287_3938:                           ;   in Loop: Header=BB287_2093 Depth=1
	s_or_b32 exec_lo, exec_lo, s24
.LBB287_3939:                           ;   in Loop: Header=BB287_2093 Depth=1
	s_delay_alu instid0(SALU_CYCLE_1)
	s_or_b32 exec_lo, exec_lo, s23
.LBB287_3940:                           ;   in Loop: Header=BB287_2093 Depth=1
	s_delay_alu instid0(SALU_CYCLE_1) | instskip(SKIP_4) | instid1(VALU_DEP_4)
	s_or_b32 exec_lo, exec_lo, s22
	v_dual_lshrrev_b32 v14, 16, v1 :: v_dual_lshrrev_b32 v15, 16, v7
	v_or_b32_e32 v1, v1, v6
	v_or_b32_e32 v8, v7, v8
	;; [unrolled: 1-line block ×3, first 2 shown]
	v_cvt_f32_f16_e32 v7, v14
	v_cvt_f32_f16_e32 v6, v15
	v_lshrrev_b32_e32 v14, 16, v16
	v_dual_lshrrev_b32 v15, 16, v0 :: v_dual_bitop2_b32 v16, v16, v9 bitop3:0x54
	v_cvt_f32_f16_e32 v0, v8
	s_wait_loadcnt_dscnt 0x0
	v_pk_mul_f32 v[6:7], v[84:85], v[6:7] op_sel_hi:[0,1]
	v_cvt_f32_f16_e32 v1, v1
	v_cvt_f32_f16_e32 v9, v14
	;; [unrolled: 1-line block ×5, first 2 shown]
	v_pk_mul_f32 v[0:1], v[84:85], v[0:1] op_sel_hi:[0,1]
	v_cvt_pk_f16_f32 v12, v6, v7
	v_pk_mul_f32 v[6:7], v[84:85], v[8:9] op_sel_hi:[0,1]
	s_delay_alu instid0(VALU_DEP_4) | instskip(NEXT) | instid1(VALU_DEP_4)
	v_pk_mul_f32 v[14:15], v[84:85], v[14:15] op_sel_hi:[0,1]
	v_cvt_pk_f16_f32 v0, v0, v1
	s_delay_alu instid0(VALU_DEP_4) | instskip(NEXT) | instid1(VALU_DEP_4)
	v_and_b32_e32 v9, 0xffff0000, v12
	v_cvt_pk_f16_f32 v6, v6, v7
	s_delay_alu instid0(VALU_DEP_4) | instskip(NEXT) | instid1(VALU_DEP_4)
	v_cvt_pk_f16_f32 v7, v14, v15
	v_and_b32_e32 v98, 0xffff, v0
	v_lshrrev_b32_e32 v97, 16, v0
	v_lshlrev_b32_e32 v86, 16, v12
	v_and_b32_e32 v1, 0xffff0000, v6
	v_dual_lshlrev_b32 v0, 16, v6 :: v_dual_lshrrev_b32 v87, 16, v7
	v_and_b32_e32 v96, 0xffff, v7
	v_or_b32_e32 v85, v9, v97
	v_or_b32_e32 v84, v86, v98
	s_delay_alu instid0(VALU_DEP_4) | instskip(NEXT) | instid1(VALU_DEP_4)
	v_or_b32_e32 v19, v1, v87
	v_or_b32_e32 v26, v0, v96
	s_and_saveexec_b32 s8, s0
	s_cbranch_execz .LBB287_3942
; %bb.3941:                             ;   in Loop: Header=BB287_2093 Depth=1
	v_dual_cndmask_b32 v6, 0, v97, vcc_lo :: v_dual_cndmask_b32 v7, 0, v98, s1
	v_dual_cndmask_b32 v8, 0, v9, s2 :: v_dual_cndmask_b32 v9, 0, v86, s3
	v_dual_cndmask_b32 v12, 0, v87, s4 :: v_dual_cndmask_b32 v14, 0, v96, s5
	;; [unrolled: 1-line block ×3, first 2 shown]
	s_delay_alu instid0(VALU_DEP_3) | instskip(NEXT) | instid1(VALU_DEP_4)
	v_or_b32_e32 v85, v6, v8
	v_or_b32_e32 v84, v7, v9
	s_delay_alu instid0(VALU_DEP_3) | instskip(NEXT) | instid1(VALU_DEP_4)
	v_or_b32_e32 v19, v12, v1
	v_or_b32_e32 v26, v14, v0
.LBB287_3942:                           ;   in Loop: Header=BB287_2093 Depth=1
	s_or_b32 exec_lo, exec_lo, s8
	;;#ASMSTART
	v_pk_mul_f16 v0, v119, v85;

	;;#ASMEND
	;;#ASMSTART
	v_pk_mul_f16 v1, v117, v84;

	;;#ASMEND
	;; [unrolled: 4-line block ×4, first 2 shown]
	;;#ASMSTART
	v_pk_add_f16 v0, v0, v1;

	;;#ASMEND
	;;#ASMSTART
	v_pk_add_f16 v0, v0, v6;

	;;#ASMEND
	;; [unrolled: 4-line block ×3, first 2 shown]
	v_and_b32_e32 v1, 0xffff, v0
	v_lshrrev_b32_e32 v0, 16, v0
	;;#ASMSTART
	v_cvt_f32_f16 v14, v1;
	;;#ASMEND
	v_mov_b32_e32 v1, 0
	;;#ASMSTART
	v_cvt_f32_f16 v15, v0;
	;;#ASMEND
	flat_load_b64 v[86:87], v[82:83] offset:7168
	flat_load_b32 v84, v[22:23]
	v_mov_b32_e32 v6, 0
	s_mov_b32 s22, exec_lo
	s_wait_loadcnt_dscnt 0x101
	v_and_b32_e32 v0, 0xff, v86
	s_wait_xcnt 0x0
	s_delay_alu instid0(VALU_DEP_1)
	v_cmpx_ne_u16_e32 0, v0
	s_cbranch_execz .LBB287_3950
; %bb.3943:                             ;   in Loop: Header=BB287_2093 Depth=1
	v_mov_b32_e32 v6, 0x8000
	s_mov_b32 s23, exec_lo
	v_cmpx_ne_u16_e32 0x80, v0
	s_cbranch_execz .LBB287_3949
; %bb.3944:                             ;   in Loop: Header=BB287_2093 Depth=1
	v_and_b32_e32 v7, 0x7f, v86
	v_mov_b32_e32 v6, 0x7c01
	s_mov_b32 s24, exec_lo
	s_delay_alu instid0(VALU_DEP_2)
	v_cmpx_ne_u32_e32 0x7f, v7
	s_cbranch_execz .LBB287_3948
; %bb.3945:                             ;   in Loop: Header=BB287_2093 Depth=1
	v_dual_lshrrev_b32 v6, 3, v7 :: v_dual_bitop2_b32 v0, 7, v86 bitop3:0x40
	s_mov_b32 s25, exec_lo
	v_cmpx_gt_u32_e32 8, v7
; %bb.3946:                             ;   in Loop: Header=BB287_2093 Depth=1
	s_delay_alu instid0(VALU_DEP_2) | instskip(NEXT) | instid1(VALU_DEP_1)
	v_clz_i32_u32_e32 v0, v0
	v_min_u32_e32 v0, 32, v0
	s_delay_alu instid0(VALU_DEP_1) | instskip(NEXT) | instid1(VALU_DEP_1)
	v_subrev_nc_u32_e32 v6, 28, v0
	v_lshlrev_b64_e32 v[8:9], v6, v[86:87]
	v_sub_nc_u32_e32 v6, 29, v0
	s_delay_alu instid0(VALU_DEP_2)
	v_and_b32_e32 v0, 7, v8
; %bb.3947:                             ;   in Loop: Header=BB287_2093 Depth=1
	s_or_b32 exec_lo, exec_lo, s25
	s_delay_alu instid0(VALU_DEP_1) | instskip(NEXT) | instid1(VALU_DEP_3)
	v_dual_lshlrev_b32 v7, 8, v86 :: v_dual_lshlrev_b32 v0, 7, v0
	v_lshl_add_u32 v6, v6, 10, 0x2000
	s_delay_alu instid0(VALU_DEP_2) | instskip(NEXT) | instid1(VALU_DEP_2)
	v_and_b32_e32 v7, 0x8000, v7
	v_and_b32_e32 v6, 0xfc00, v6
	s_delay_alu instid0(VALU_DEP_1)
	v_or3_b32 v6, v7, v6, v0
.LBB287_3948:                           ;   in Loop: Header=BB287_2093 Depth=1
	s_or_b32 exec_lo, exec_lo, s24
.LBB287_3949:                           ;   in Loop: Header=BB287_2093 Depth=1
	s_delay_alu instid0(SALU_CYCLE_1)
	s_or_b32 exec_lo, exec_lo, s23
.LBB287_3950:                           ;   in Loop: Header=BB287_2093 Depth=1
	s_delay_alu instid0(SALU_CYCLE_1) | instskip(SKIP_2) | instid1(VALU_DEP_1)
	s_or_b32 exec_lo, exec_lo, s22
	v_lshrrev_b16 v26, 8, v86
	s_mov_b32 s22, exec_lo
	v_cmpx_ne_u16_e32 0, v26
	s_cbranch_execz .LBB287_3958
; %bb.3951:                             ;   in Loop: Header=BB287_2093 Depth=1
	v_bfrev_b32_e32 v1, 1
	s_mov_b32 s23, exec_lo
	v_cmpx_ne_u16_e32 0x80, v26
	s_cbranch_execz .LBB287_3957
; %bb.3952:                             ;   in Loop: Header=BB287_2093 Depth=1
	v_and_b32_e32 v0, 0xffff, v26
	v_mov_b32_e32 v1, 0x7c010000
	s_mov_b32 s24, exec_lo
	s_delay_alu instid0(VALU_DEP_2) | instskip(NEXT) | instid1(VALU_DEP_1)
	v_and_b32_e32 v8, 0x7f, v0
	v_cmpx_ne_u32_e32 0x7f, v8
	s_cbranch_execz .LBB287_3956
; %bb.3953:                             ;   in Loop: Header=BB287_2093 Depth=1
	v_and_b32_e32 v1, 7, v0
	v_lshrrev_b32_e32 v7, 3, v8
	s_mov_b32 s25, exec_lo
	v_cmpx_gt_u32_e32 8, v8
; %bb.3954:                             ;   in Loop: Header=BB287_2093 Depth=1
	s_delay_alu instid0(VALU_DEP_3) | instskip(NEXT) | instid1(VALU_DEP_1)
	v_clz_i32_u32_e32 v1, v1
	v_min_u32_e32 v1, 32, v1
	s_delay_alu instid0(VALU_DEP_1) | instskip(NEXT) | instid1(VALU_DEP_1)
	v_subrev_nc_u32_e32 v7, 28, v1
	v_lshlrev_b64_e32 v[8:9], v7, v[26:27]
	s_delay_alu instid0(VALU_DEP_1)
	v_dual_sub_nc_u32 v7, 29, v1 :: v_dual_bitop2_b32 v1, 7, v8 bitop3:0x40
; %bb.3955:                             ;   in Loop: Header=BB287_2093 Depth=1
	s_or_b32 exec_lo, exec_lo, s25
	s_delay_alu instid0(VALU_DEP_1) | instskip(NEXT) | instid1(VALU_DEP_2)
	v_dual_lshlrev_b32 v0, 8, v0 :: v_dual_lshlrev_b32 v1, 23, v1
	v_lshl_add_u32 v7, v7, 10, 0x2000
	s_delay_alu instid0(VALU_DEP_1) | instskip(NEXT) | instid1(VALU_DEP_1)
	v_and_or_b32 v0, 0x8000, v0, v7
	v_lshl_or_b32 v1, v0, 16, v1
.LBB287_3956:                           ;   in Loop: Header=BB287_2093 Depth=1
	s_or_b32 exec_lo, exec_lo, s24
.LBB287_3957:                           ;   in Loop: Header=BB287_2093 Depth=1
	s_delay_alu instid0(SALU_CYCLE_1)
	s_or_b32 exec_lo, exec_lo, s23
.LBB287_3958:                           ;   in Loop: Header=BB287_2093 Depth=1
	s_delay_alu instid0(SALU_CYCLE_1) | instskip(SKIP_3) | instid1(VALU_DEP_2)
	s_or_b32 exec_lo, exec_lo, s22
	v_dual_mov_b32 v7, 0 :: v_dual_lshrrev_b32 v0, 16, v86
	v_mov_b32_e32 v8, 0
	s_mov_b32 s22, exec_lo
	v_and_b32_e32 v9, 0xff, v0
	s_delay_alu instid0(VALU_DEP_1)
	v_cmpx_ne_u16_e32 0, v9
	s_cbranch_execz .LBB287_3966
; %bb.3959:                             ;   in Loop: Header=BB287_2093 Depth=1
	v_mov_b32_e32 v8, 0x8000
	s_mov_b32 s23, exec_lo
	v_cmpx_ne_u16_e32 0x80, v9
	s_cbranch_execz .LBB287_3965
; %bb.3960:                             ;   in Loop: Header=BB287_2093 Depth=1
	v_bfe_u32 v12, v86, 16, 7
	v_mov_b32_e32 v8, 0x7c01
	s_mov_b32 s24, exec_lo
	s_delay_alu instid0(VALU_DEP_2)
	v_cmpx_ne_u32_e32 0x7f, v12
	s_cbranch_execz .LBB287_3964
; %bb.3961:                             ;   in Loop: Header=BB287_2093 Depth=1
	v_and_b32_e32 v8, 7, v0
	v_lshrrev_b32_e32 v9, 3, v12
	s_mov_b32 s25, exec_lo
	v_cmpx_gt_u32_e32 8, v12
; %bb.3962:                             ;   in Loop: Header=BB287_2093 Depth=1
	s_delay_alu instid0(VALU_DEP_3) | instskip(NEXT) | instid1(VALU_DEP_1)
	v_clz_i32_u32_e32 v8, v8
	v_min_u32_e32 v12, 32, v8
	s_delay_alu instid0(VALU_DEP_1) | instskip(NEXT) | instid1(VALU_DEP_1)
	v_subrev_nc_u32_e32 v8, 28, v12
	v_lshlrev_b64_e32 v[8:9], v8, v[0:1]
	v_sub_nc_u32_e32 v9, 29, v12
	s_delay_alu instid0(VALU_DEP_2)
	v_and_b32_e32 v8, 7, v8
; %bb.3963:                             ;   in Loop: Header=BB287_2093 Depth=1
	s_or_b32 exec_lo, exec_lo, s25
	v_lshlrev_b32_e32 v0, 8, v0
	s_delay_alu instid0(VALU_DEP_3) | instskip(NEXT) | instid1(VALU_DEP_3)
	v_lshl_add_u32 v9, v9, 10, 0x2000
	v_lshlrev_b32_e32 v8, 7, v8
	s_delay_alu instid0(VALU_DEP_3) | instskip(NEXT) | instid1(VALU_DEP_3)
	v_and_b32_e32 v0, 0x8000, v0
	v_and_b32_e32 v9, 0xfc00, v9
	s_delay_alu instid0(VALU_DEP_1)
	v_or3_b32 v8, v0, v9, v8
.LBB287_3964:                           ;   in Loop: Header=BB287_2093 Depth=1
	s_or_b32 exec_lo, exec_lo, s24
.LBB287_3965:                           ;   in Loop: Header=BB287_2093 Depth=1
	s_delay_alu instid0(SALU_CYCLE_1)
	s_or_b32 exec_lo, exec_lo, s23
.LBB287_3966:                           ;   in Loop: Header=BB287_2093 Depth=1
	s_delay_alu instid0(SALU_CYCLE_1) | instskip(NEXT) | instid1(SALU_CYCLE_1)
	s_or_b32 exec_lo, exec_lo, s22
	s_mov_b32 s22, exec_lo
	v_cmpx_lt_u32_e32 0xffffff, v86
	s_cbranch_execz .LBB287_3974
; %bb.3967:                             ;   in Loop: Header=BB287_2093 Depth=1
	v_lshrrev_b32_e32 v26, 24, v86
	v_bfrev_b32_e32 v7, 1
	s_mov_b32 s23, exec_lo
	s_delay_alu instid0(VALU_DEP_2)
	v_cmpx_ne_u32_e32 0x80, v26
	s_cbranch_execz .LBB287_3973
; %bb.3968:                             ;   in Loop: Header=BB287_2093 Depth=1
	v_and_b32_e32 v9, 0x7f, v26
	v_mov_b32_e32 v7, 0x7c010000
	s_mov_b32 s24, exec_lo
	s_delay_alu instid0(VALU_DEP_2)
	v_cmpx_ne_u32_e32 0x7f, v9
	s_cbranch_execz .LBB287_3972
; %bb.3969:                             ;   in Loop: Header=BB287_2093 Depth=1
	v_dual_lshrrev_b32 v7, 3, v9 :: v_dual_bitop2_b32 v0, 7, v26 bitop3:0x40
	s_mov_b32 s25, exec_lo
	v_cmpx_gt_u32_e32 8, v9
; %bb.3970:                             ;   in Loop: Header=BB287_2093 Depth=1
	s_delay_alu instid0(VALU_DEP_2) | instskip(NEXT) | instid1(VALU_DEP_1)
	v_clz_i32_u32_e32 v0, v0
	v_min_u32_e32 v0, 32, v0
	s_delay_alu instid0(VALU_DEP_1) | instskip(NEXT) | instid1(VALU_DEP_1)
	v_subrev_nc_u32_e32 v7, 28, v0
	v_lshlrev_b64_e32 v[16:17], v7, v[26:27]
	v_sub_nc_u32_e32 v7, 29, v0
	s_delay_alu instid0(VALU_DEP_2)
	v_and_b32_e32 v0, 7, v16
; %bb.3971:                             ;   in Loop: Header=BB287_2093 Depth=1
	s_or_b32 exec_lo, exec_lo, s25
	s_delay_alu instid0(VALU_DEP_1) | instskip(NEXT) | instid1(VALU_DEP_3)
	v_dual_lshlrev_b32 v9, 8, v26 :: v_dual_lshlrev_b32 v0, 23, v0
	v_lshl_add_u32 v7, v7, 10, 0x2000
	s_delay_alu instid0(VALU_DEP_1) | instskip(NEXT) | instid1(VALU_DEP_1)
	v_and_or_b32 v7, 0x8000, v9, v7
	v_lshl_or_b32 v7, v7, 16, v0
.LBB287_3972:                           ;   in Loop: Header=BB287_2093 Depth=1
	s_or_b32 exec_lo, exec_lo, s24
.LBB287_3973:                           ;   in Loop: Header=BB287_2093 Depth=1
	s_delay_alu instid0(SALU_CYCLE_1)
	s_or_b32 exec_lo, exec_lo, s23
.LBB287_3974:                           ;   in Loop: Header=BB287_2093 Depth=1
	s_delay_alu instid0(SALU_CYCLE_1) | instskip(SKIP_4) | instid1(VALU_DEP_3)
	s_or_b32 exec_lo, exec_lo, s22
	v_and_b32_e32 v0, 0xff, v87
	v_dual_mov_b32 v26, v87 :: v_dual_mov_b32 v12, 0
	v_mov_b32_e32 v9, 0
	s_mov_b32 s22, exec_lo
	v_cmpx_ne_u16_e32 0, v0
	s_cbranch_execz .LBB287_3982
; %bb.3975:                             ;   in Loop: Header=BB287_2093 Depth=1
	v_mov_b32_e32 v9, 0x8000
	s_mov_b32 s23, exec_lo
	v_cmpx_ne_u16_e32 0x80, v0
	s_cbranch_execz .LBB287_3981
; %bb.3976:                             ;   in Loop: Header=BB287_2093 Depth=1
	v_and_b32_e32 v16, 0x7f, v87
	v_mov_b32_e32 v9, 0x7c01
	s_mov_b32 s24, exec_lo
	s_delay_alu instid0(VALU_DEP_2)
	v_cmpx_ne_u32_e32 0x7f, v16
	s_cbranch_execz .LBB287_3980
; %bb.3977:                             ;   in Loop: Header=BB287_2093 Depth=1
	v_dual_lshrrev_b32 v9, 3, v16 :: v_dual_bitop2_b32 v0, 7, v87 bitop3:0x40
	s_mov_b32 s25, exec_lo
	v_cmpx_gt_u32_e32 8, v16
; %bb.3978:                             ;   in Loop: Header=BB287_2093 Depth=1
	s_delay_alu instid0(VALU_DEP_2) | instskip(NEXT) | instid1(VALU_DEP_1)
	v_clz_i32_u32_e32 v0, v0
	v_min_u32_e32 v0, 32, v0
	s_delay_alu instid0(VALU_DEP_1) | instskip(NEXT) | instid1(VALU_DEP_1)
	v_subrev_nc_u32_e32 v9, 28, v0
	v_lshlrev_b64_e32 v[16:17], v9, v[26:27]
	v_sub_nc_u32_e32 v9, 29, v0
	s_delay_alu instid0(VALU_DEP_2)
	v_and_b32_e32 v0, 7, v16
; %bb.3979:                             ;   in Loop: Header=BB287_2093 Depth=1
	s_or_b32 exec_lo, exec_lo, s25
	s_delay_alu instid0(VALU_DEP_1) | instskip(NEXT) | instid1(VALU_DEP_3)
	v_dual_lshlrev_b32 v16, 8, v87 :: v_dual_lshlrev_b32 v0, 7, v0
	v_lshl_add_u32 v9, v9, 10, 0x2000
	s_delay_alu instid0(VALU_DEP_2) | instskip(NEXT) | instid1(VALU_DEP_2)
	v_and_b32_e32 v16, 0x8000, v16
	v_and_b32_e32 v9, 0xfc00, v9
	s_delay_alu instid0(VALU_DEP_1)
	v_or3_b32 v9, v16, v9, v0
.LBB287_3980:                           ;   in Loop: Header=BB287_2093 Depth=1
	s_or_b32 exec_lo, exec_lo, s24
.LBB287_3981:                           ;   in Loop: Header=BB287_2093 Depth=1
	s_delay_alu instid0(SALU_CYCLE_1)
	s_or_b32 exec_lo, exec_lo, s23
.LBB287_3982:                           ;   in Loop: Header=BB287_2093 Depth=1
	s_delay_alu instid0(SALU_CYCLE_1) | instskip(SKIP_3) | instid1(VALU_DEP_2)
	s_or_b32 exec_lo, exec_lo, s22
	v_lshrrev_b16 v26, 8, v26
	v_mov_b32_e32 v16, 0
	s_mov_b32 s22, exec_lo
	v_cmpx_ne_u16_e32 0, v26
	s_cbranch_execz .LBB287_3990
; %bb.3983:                             ;   in Loop: Header=BB287_2093 Depth=1
	v_bfrev_b32_e32 v16, 1
	s_mov_b32 s23, exec_lo
	v_cmpx_ne_u16_e32 0x80, v26
	s_cbranch_execz .LBB287_3989
; %bb.3984:                             ;   in Loop: Header=BB287_2093 Depth=1
	v_and_b32_e32 v0, 0xffff, v26
	v_mov_b32_e32 v16, 0x7c010000
	s_mov_b32 s24, exec_lo
	s_delay_alu instid0(VALU_DEP_2) | instskip(NEXT) | instid1(VALU_DEP_1)
	v_and_b32_e32 v18, 0x7f, v0
	v_cmpx_ne_u32_e32 0x7f, v18
	s_cbranch_execz .LBB287_3988
; %bb.3985:                             ;   in Loop: Header=BB287_2093 Depth=1
	v_dual_lshrrev_b32 v17, 3, v18 :: v_dual_bitop2_b32 v16, 7, v0 bitop3:0x40
	s_mov_b32 s25, exec_lo
	v_cmpx_gt_u32_e32 8, v18
; %bb.3986:                             ;   in Loop: Header=BB287_2093 Depth=1
	s_delay_alu instid0(VALU_DEP_2) | instskip(NEXT) | instid1(VALU_DEP_1)
	v_clz_i32_u32_e32 v16, v16
	v_min_u32_e32 v18, 32, v16
	s_delay_alu instid0(VALU_DEP_1) | instskip(NEXT) | instid1(VALU_DEP_1)
	v_subrev_nc_u32_e32 v16, 28, v18
	v_lshlrev_b64_e32 v[16:17], v16, v[26:27]
	s_delay_alu instid0(VALU_DEP_1)
	v_dual_sub_nc_u32 v17, 29, v18 :: v_dual_bitop2_b32 v16, 7, v16 bitop3:0x40
; %bb.3987:                             ;   in Loop: Header=BB287_2093 Depth=1
	s_or_b32 exec_lo, exec_lo, s25
	v_lshlrev_b32_e32 v0, 8, v0
	s_delay_alu instid0(VALU_DEP_2) | instskip(NEXT) | instid1(VALU_DEP_3)
	v_lshl_add_u32 v17, v17, 10, 0x2000
	v_lshlrev_b32_e32 v16, 23, v16
	s_delay_alu instid0(VALU_DEP_2) | instskip(NEXT) | instid1(VALU_DEP_1)
	v_and_or_b32 v0, 0x8000, v0, v17
	v_lshl_or_b32 v16, v0, 16, v16
.LBB287_3988:                           ;   in Loop: Header=BB287_2093 Depth=1
	s_or_b32 exec_lo, exec_lo, s24
.LBB287_3989:                           ;   in Loop: Header=BB287_2093 Depth=1
	s_delay_alu instid0(SALU_CYCLE_1)
	s_or_b32 exec_lo, exec_lo, s23
.LBB287_3990:                           ;   in Loop: Header=BB287_2093 Depth=1
	s_delay_alu instid0(SALU_CYCLE_1) | instskip(SKIP_2) | instid1(VALU_DEP_1)
	s_or_b32 exec_lo, exec_lo, s22
	v_lshrrev_b32_e32 v0, 16, v87
	s_mov_b32 s22, exec_lo
	v_and_b32_e32 v17, 0xff, v0
	s_delay_alu instid0(VALU_DEP_1)
	v_cmpx_ne_u16_e32 0, v17
	s_cbranch_execz .LBB287_3998
; %bb.3991:                             ;   in Loop: Header=BB287_2093 Depth=1
	v_mov_b32_e32 v12, 0x8000
	s_mov_b32 s23, exec_lo
	v_cmpx_ne_u16_e32 0x80, v17
	s_cbranch_execz .LBB287_3997
; %bb.3992:                             ;   in Loop: Header=BB287_2093 Depth=1
	v_bfe_u32 v18, v87, 16, 7
	v_mov_b32_e32 v12, 0x7c01
	s_mov_b32 s24, exec_lo
	s_delay_alu instid0(VALU_DEP_2)
	v_cmpx_ne_u32_e32 0x7f, v18
	s_cbranch_execz .LBB287_3996
; %bb.3993:                             ;   in Loop: Header=BB287_2093 Depth=1
	v_dual_lshrrev_b32 v17, 3, v18 :: v_dual_bitop2_b32 v12, 7, v0 bitop3:0x40
	s_mov_b32 s25, exec_lo
	v_cmpx_gt_u32_e32 8, v18
; %bb.3994:                             ;   in Loop: Header=BB287_2093 Depth=1
	s_delay_alu instid0(VALU_DEP_2) | instskip(NEXT) | instid1(VALU_DEP_1)
	v_clz_i32_u32_e32 v12, v12
	v_min_u32_e32 v12, 32, v12
	s_delay_alu instid0(VALU_DEP_1) | instskip(NEXT) | instid1(VALU_DEP_1)
	v_subrev_nc_u32_e32 v17, 28, v12
	v_lshlrev_b64_e32 v[18:19], v17, v[0:1]
	s_delay_alu instid0(VALU_DEP_1)
	v_dual_sub_nc_u32 v17, 29, v12 :: v_dual_bitop2_b32 v12, 7, v18 bitop3:0x40
; %bb.3995:                             ;   in Loop: Header=BB287_2093 Depth=1
	s_or_b32 exec_lo, exec_lo, s25
	v_lshlrev_b32_e32 v0, 8, v0
	s_delay_alu instid0(VALU_DEP_2) | instskip(NEXT) | instid1(VALU_DEP_3)
	v_lshl_add_u32 v17, v17, 10, 0x2000
	v_lshlrev_b32_e32 v12, 7, v12
	s_delay_alu instid0(VALU_DEP_3) | instskip(NEXT) | instid1(VALU_DEP_3)
	v_and_b32_e32 v0, 0x8000, v0
	v_and_b32_e32 v17, 0xfc00, v17
	s_delay_alu instid0(VALU_DEP_1)
	v_or3_b32 v12, v0, v17, v12
.LBB287_3996:                           ;   in Loop: Header=BB287_2093 Depth=1
	s_or_b32 exec_lo, exec_lo, s24
.LBB287_3997:                           ;   in Loop: Header=BB287_2093 Depth=1
	s_delay_alu instid0(SALU_CYCLE_1)
	s_or_b32 exec_lo, exec_lo, s23
.LBB287_3998:                           ;   in Loop: Header=BB287_2093 Depth=1
	s_delay_alu instid0(SALU_CYCLE_1)
	s_or_b32 exec_lo, exec_lo, s22
	v_mov_b32_e32 v0, 0
	s_mov_b32 s22, exec_lo
	v_cmpx_lt_u64_e64 s[14:15], v[86:87]
	s_cbranch_execz .LBB287_4006
; %bb.3999:                             ;   in Loop: Header=BB287_2093 Depth=1
	v_lshrrev_b32_e32 v26, 24, v87
	v_bfrev_b32_e32 v0, 1
	s_mov_b32 s23, exec_lo
	s_delay_alu instid0(VALU_DEP_2)
	v_cmpx_ne_u32_e32 0x80, v26
	s_cbranch_execz .LBB287_4005
; %bb.4000:                             ;   in Loop: Header=BB287_2093 Depth=1
	v_and_b32_e32 v18, 0x7f, v26
	v_mov_b32_e32 v0, 0x7c010000
	s_mov_b32 s24, exec_lo
	s_delay_alu instid0(VALU_DEP_2)
	v_cmpx_ne_u32_e32 0x7f, v18
	s_cbranch_execz .LBB287_4004
; %bb.4001:                             ;   in Loop: Header=BB287_2093 Depth=1
	v_and_b32_e32 v0, 7, v26
	v_lshrrev_b32_e32 v17, 3, v18
	s_mov_b32 s25, exec_lo
	v_cmpx_gt_u32_e32 8, v18
; %bb.4002:                             ;   in Loop: Header=BB287_2093 Depth=1
	s_delay_alu instid0(VALU_DEP_3) | instskip(NEXT) | instid1(VALU_DEP_1)
	v_clz_i32_u32_e32 v0, v0
	v_min_u32_e32 v0, 32, v0
	s_delay_alu instid0(VALU_DEP_1) | instskip(NEXT) | instid1(VALU_DEP_1)
	v_subrev_nc_u32_e32 v17, 28, v0
	v_lshlrev_b64_e32 v[18:19], v17, v[26:27]
	s_delay_alu instid0(VALU_DEP_1)
	v_dual_sub_nc_u32 v17, 29, v0 :: v_dual_bitop2_b32 v0, 7, v18 bitop3:0x40
; %bb.4003:                             ;   in Loop: Header=BB287_2093 Depth=1
	s_or_b32 exec_lo, exec_lo, s25
	s_delay_alu instid0(VALU_DEP_1) | instskip(NEXT) | instid1(VALU_DEP_2)
	v_dual_lshlrev_b32 v18, 8, v26 :: v_dual_lshlrev_b32 v0, 23, v0
	v_lshl_add_u32 v17, v17, 10, 0x2000
	s_delay_alu instid0(VALU_DEP_1) | instskip(NEXT) | instid1(VALU_DEP_1)
	v_and_or_b32 v17, 0x8000, v18, v17
	v_lshl_or_b32 v0, v17, 16, v0
.LBB287_4004:                           ;   in Loop: Header=BB287_2093 Depth=1
	s_or_b32 exec_lo, exec_lo, s24
.LBB287_4005:                           ;   in Loop: Header=BB287_2093 Depth=1
	s_delay_alu instid0(SALU_CYCLE_1)
	s_or_b32 exec_lo, exec_lo, s23
.LBB287_4006:                           ;   in Loop: Header=BB287_2093 Depth=1
	s_delay_alu instid0(SALU_CYCLE_1) | instskip(SKIP_4) | instid1(VALU_DEP_4)
	s_or_b32 exec_lo, exec_lo, s22
	v_dual_lshrrev_b32 v17, 16, v1 :: v_dual_lshrrev_b32 v18, 16, v7
	v_or_b32_e32 v1, v1, v6
	v_or_b32_e32 v8, v7, v8
	;; [unrolled: 1-line block ×3, first 2 shown]
	v_cvt_f32_f16_e32 v7, v17
	v_cvt_f32_f16_e32 v6, v18
	v_lshrrev_b32_e32 v17, 16, v16
	v_dual_lshrrev_b32 v18, 16, v0 :: v_dual_bitop2_b32 v19, v16, v9 bitop3:0x54
	v_cvt_f32_f16_e32 v0, v8
	s_wait_loadcnt_dscnt 0x0
	v_pk_mul_f32 v[6:7], v[84:85], v[6:7] op_sel_hi:[0,1]
	v_cvt_f32_f16_e32 v1, v1
	v_cvt_f32_f16_e32 v9, v17
	;; [unrolled: 1-line block ×5, first 2 shown]
	v_pk_mul_f32 v[0:1], v[84:85], v[0:1] op_sel_hi:[0,1]
	v_cvt_pk_f16_f32 v12, v6, v7
	v_pk_mul_f32 v[6:7], v[84:85], v[8:9] op_sel_hi:[0,1]
	s_delay_alu instid0(VALU_DEP_4) | instskip(NEXT) | instid1(VALU_DEP_4)
	v_pk_mul_f32 v[16:17], v[84:85], v[16:17] op_sel_hi:[0,1]
	v_cvt_pk_f16_f32 v0, v0, v1
	s_delay_alu instid0(VALU_DEP_4) | instskip(NEXT) | instid1(VALU_DEP_4)
	v_and_b32_e32 v9, 0xffff0000, v12
	v_cvt_pk_f16_f32 v6, v6, v7
	s_delay_alu instid0(VALU_DEP_4) | instskip(NEXT) | instid1(VALU_DEP_4)
	v_cvt_pk_f16_f32 v7, v16, v17
	v_and_b32_e32 v98, 0xffff, v0
	v_lshrrev_b32_e32 v97, 16, v0
	v_lshlrev_b32_e32 v86, 16, v12
	v_and_b32_e32 v1, 0xffff0000, v6
	v_dual_lshlrev_b32 v0, 16, v6 :: v_dual_lshrrev_b32 v87, 16, v7
	v_and_b32_e32 v96, 0xffff, v7
	v_or_b32_e32 v85, v9, v97
	v_or_b32_e32 v84, v86, v98
	s_delay_alu instid0(VALU_DEP_4) | instskip(NEXT) | instid1(VALU_DEP_4)
	v_or_b32_e32 v19, v1, v87
	v_or_b32_e32 v26, v0, v96
	s_and_saveexec_b32 s8, s0
	s_cbranch_execz .LBB287_4008
; %bb.4007:                             ;   in Loop: Header=BB287_2093 Depth=1
	v_dual_cndmask_b32 v6, 0, v97, vcc_lo :: v_dual_cndmask_b32 v7, 0, v98, s1
	v_dual_cndmask_b32 v8, 0, v9, s2 :: v_dual_cndmask_b32 v9, 0, v86, s3
	v_dual_cndmask_b32 v12, 0, v87, s4 :: v_dual_cndmask_b32 v16, 0, v96, s5
	;; [unrolled: 1-line block ×3, first 2 shown]
	s_delay_alu instid0(VALU_DEP_3) | instskip(NEXT) | instid1(VALU_DEP_4)
	v_or_b32_e32 v85, v6, v8
	v_or_b32_e32 v84, v7, v9
	s_delay_alu instid0(VALU_DEP_3) | instskip(NEXT) | instid1(VALU_DEP_4)
	v_or_b32_e32 v19, v12, v1
	v_or_b32_e32 v26, v16, v0
.LBB287_4008:                           ;   in Loop: Header=BB287_2093 Depth=1
	s_or_b32 exec_lo, exec_lo, s8
	;;#ASMSTART
	v_pk_mul_f16 v0, v119, v85;

	;;#ASMEND
	;;#ASMSTART
	v_pk_mul_f16 v1, v117, v84;

	;;#ASMEND
	;; [unrolled: 4-line block ×4, first 2 shown]
	;;#ASMSTART
	v_pk_add_f16 v0, v0, v1;

	;;#ASMEND
	;;#ASMSTART
	v_pk_add_f16 v0, v0, v6;

	;;#ASMEND
	;; [unrolled: 4-line block ×3, first 2 shown]
	v_and_b32_e32 v1, 0xffff, v0
	v_lshrrev_b32_e32 v0, 16, v0
	;;#ASMSTART
	v_cvt_f32_f16 v118, v1;
	;;#ASMEND
	v_mov_b32_e32 v1, 0
	;;#ASMSTART
	v_cvt_f32_f16 v40, v0;
	;;#ASMEND
	flat_load_b64 v[86:87], v[82:83] offset:7424
	flat_load_b32 v84, v[22:23]
	v_mov_b32_e32 v6, 0
	s_mov_b32 s22, exec_lo
	s_wait_loadcnt_dscnt 0x101
	v_and_b32_e32 v0, 0xff, v86
	s_wait_xcnt 0x0
	s_delay_alu instid0(VALU_DEP_1)
	v_cmpx_ne_u16_e32 0, v0
	s_cbranch_execz .LBB287_4016
; %bb.4009:                             ;   in Loop: Header=BB287_2093 Depth=1
	v_mov_b32_e32 v6, 0x8000
	s_mov_b32 s23, exec_lo
	v_cmpx_ne_u16_e32 0x80, v0
	s_cbranch_execz .LBB287_4015
; %bb.4010:                             ;   in Loop: Header=BB287_2093 Depth=1
	v_and_b32_e32 v7, 0x7f, v86
	v_mov_b32_e32 v6, 0x7c01
	s_mov_b32 s24, exec_lo
	s_delay_alu instid0(VALU_DEP_2)
	v_cmpx_ne_u32_e32 0x7f, v7
	s_cbranch_execz .LBB287_4014
; %bb.4011:                             ;   in Loop: Header=BB287_2093 Depth=1
	v_dual_lshrrev_b32 v6, 3, v7 :: v_dual_bitop2_b32 v0, 7, v86 bitop3:0x40
	s_mov_b32 s25, exec_lo
	v_cmpx_gt_u32_e32 8, v7
; %bb.4012:                             ;   in Loop: Header=BB287_2093 Depth=1
	s_delay_alu instid0(VALU_DEP_2) | instskip(NEXT) | instid1(VALU_DEP_1)
	v_clz_i32_u32_e32 v0, v0
	v_min_u32_e32 v0, 32, v0
	s_delay_alu instid0(VALU_DEP_1) | instskip(NEXT) | instid1(VALU_DEP_1)
	v_subrev_nc_u32_e32 v6, 28, v0
	v_lshlrev_b64_e32 v[8:9], v6, v[86:87]
	v_sub_nc_u32_e32 v6, 29, v0
	s_delay_alu instid0(VALU_DEP_2)
	v_and_b32_e32 v0, 7, v8
; %bb.4013:                             ;   in Loop: Header=BB287_2093 Depth=1
	s_or_b32 exec_lo, exec_lo, s25
	s_delay_alu instid0(VALU_DEP_1) | instskip(NEXT) | instid1(VALU_DEP_3)
	v_dual_lshlrev_b32 v7, 8, v86 :: v_dual_lshlrev_b32 v0, 7, v0
	v_lshl_add_u32 v6, v6, 10, 0x2000
	s_delay_alu instid0(VALU_DEP_2) | instskip(NEXT) | instid1(VALU_DEP_2)
	v_and_b32_e32 v7, 0x8000, v7
	v_and_b32_e32 v6, 0xfc00, v6
	s_delay_alu instid0(VALU_DEP_1)
	v_or3_b32 v6, v7, v6, v0
.LBB287_4014:                           ;   in Loop: Header=BB287_2093 Depth=1
	s_or_b32 exec_lo, exec_lo, s24
.LBB287_4015:                           ;   in Loop: Header=BB287_2093 Depth=1
	s_delay_alu instid0(SALU_CYCLE_1)
	s_or_b32 exec_lo, exec_lo, s23
.LBB287_4016:                           ;   in Loop: Header=BB287_2093 Depth=1
	s_delay_alu instid0(SALU_CYCLE_1) | instskip(SKIP_2) | instid1(VALU_DEP_1)
	s_or_b32 exec_lo, exec_lo, s22
	v_lshrrev_b16 v26, 8, v86
	s_mov_b32 s22, exec_lo
	v_cmpx_ne_u16_e32 0, v26
	s_cbranch_execz .LBB287_4024
; %bb.4017:                             ;   in Loop: Header=BB287_2093 Depth=1
	v_bfrev_b32_e32 v1, 1
	s_mov_b32 s23, exec_lo
	v_cmpx_ne_u16_e32 0x80, v26
	s_cbranch_execz .LBB287_4023
; %bb.4018:                             ;   in Loop: Header=BB287_2093 Depth=1
	v_and_b32_e32 v0, 0xffff, v26
	v_mov_b32_e32 v1, 0x7c010000
	s_mov_b32 s24, exec_lo
	s_delay_alu instid0(VALU_DEP_2) | instskip(NEXT) | instid1(VALU_DEP_1)
	v_and_b32_e32 v8, 0x7f, v0
	v_cmpx_ne_u32_e32 0x7f, v8
	s_cbranch_execz .LBB287_4022
; %bb.4019:                             ;   in Loop: Header=BB287_2093 Depth=1
	v_and_b32_e32 v1, 7, v0
	v_lshrrev_b32_e32 v7, 3, v8
	s_mov_b32 s25, exec_lo
	v_cmpx_gt_u32_e32 8, v8
; %bb.4020:                             ;   in Loop: Header=BB287_2093 Depth=1
	s_delay_alu instid0(VALU_DEP_3) | instskip(NEXT) | instid1(VALU_DEP_1)
	v_clz_i32_u32_e32 v1, v1
	v_min_u32_e32 v1, 32, v1
	s_delay_alu instid0(VALU_DEP_1) | instskip(NEXT) | instid1(VALU_DEP_1)
	v_subrev_nc_u32_e32 v7, 28, v1
	v_lshlrev_b64_e32 v[8:9], v7, v[26:27]
	s_delay_alu instid0(VALU_DEP_1)
	v_dual_sub_nc_u32 v7, 29, v1 :: v_dual_bitop2_b32 v1, 7, v8 bitop3:0x40
; %bb.4021:                             ;   in Loop: Header=BB287_2093 Depth=1
	s_or_b32 exec_lo, exec_lo, s25
	s_delay_alu instid0(VALU_DEP_1) | instskip(NEXT) | instid1(VALU_DEP_2)
	v_dual_lshlrev_b32 v0, 8, v0 :: v_dual_lshlrev_b32 v1, 23, v1
	v_lshl_add_u32 v7, v7, 10, 0x2000
	s_delay_alu instid0(VALU_DEP_1) | instskip(NEXT) | instid1(VALU_DEP_1)
	v_and_or_b32 v0, 0x8000, v0, v7
	v_lshl_or_b32 v1, v0, 16, v1
.LBB287_4022:                           ;   in Loop: Header=BB287_2093 Depth=1
	s_or_b32 exec_lo, exec_lo, s24
.LBB287_4023:                           ;   in Loop: Header=BB287_2093 Depth=1
	s_delay_alu instid0(SALU_CYCLE_1)
	s_or_b32 exec_lo, exec_lo, s23
.LBB287_4024:                           ;   in Loop: Header=BB287_2093 Depth=1
	s_delay_alu instid0(SALU_CYCLE_1) | instskip(SKIP_3) | instid1(VALU_DEP_2)
	s_or_b32 exec_lo, exec_lo, s22
	v_dual_mov_b32 v7, 0 :: v_dual_lshrrev_b32 v0, 16, v86
	v_mov_b32_e32 v8, 0
	s_mov_b32 s22, exec_lo
	v_and_b32_e32 v9, 0xff, v0
	s_delay_alu instid0(VALU_DEP_1)
	v_cmpx_ne_u16_e32 0, v9
	s_cbranch_execz .LBB287_4032
; %bb.4025:                             ;   in Loop: Header=BB287_2093 Depth=1
	v_mov_b32_e32 v8, 0x8000
	s_mov_b32 s23, exec_lo
	v_cmpx_ne_u16_e32 0x80, v9
	s_cbranch_execz .LBB287_4031
; %bb.4026:                             ;   in Loop: Header=BB287_2093 Depth=1
	v_bfe_u32 v12, v86, 16, 7
	v_mov_b32_e32 v8, 0x7c01
	s_mov_b32 s24, exec_lo
	s_delay_alu instid0(VALU_DEP_2)
	v_cmpx_ne_u32_e32 0x7f, v12
	s_cbranch_execz .LBB287_4030
; %bb.4027:                             ;   in Loop: Header=BB287_2093 Depth=1
	v_and_b32_e32 v8, 7, v0
	v_lshrrev_b32_e32 v9, 3, v12
	s_mov_b32 s25, exec_lo
	v_cmpx_gt_u32_e32 8, v12
; %bb.4028:                             ;   in Loop: Header=BB287_2093 Depth=1
	s_delay_alu instid0(VALU_DEP_3) | instskip(NEXT) | instid1(VALU_DEP_1)
	v_clz_i32_u32_e32 v8, v8
	v_min_u32_e32 v12, 32, v8
	s_delay_alu instid0(VALU_DEP_1) | instskip(NEXT) | instid1(VALU_DEP_1)
	v_subrev_nc_u32_e32 v8, 28, v12
	v_lshlrev_b64_e32 v[8:9], v8, v[0:1]
	v_sub_nc_u32_e32 v9, 29, v12
	s_delay_alu instid0(VALU_DEP_2)
	v_and_b32_e32 v8, 7, v8
; %bb.4029:                             ;   in Loop: Header=BB287_2093 Depth=1
	s_or_b32 exec_lo, exec_lo, s25
	v_lshlrev_b32_e32 v0, 8, v0
	s_delay_alu instid0(VALU_DEP_3) | instskip(NEXT) | instid1(VALU_DEP_3)
	v_lshl_add_u32 v9, v9, 10, 0x2000
	v_lshlrev_b32_e32 v8, 7, v8
	s_delay_alu instid0(VALU_DEP_3) | instskip(NEXT) | instid1(VALU_DEP_3)
	v_and_b32_e32 v0, 0x8000, v0
	v_and_b32_e32 v9, 0xfc00, v9
	s_delay_alu instid0(VALU_DEP_1)
	v_or3_b32 v8, v0, v9, v8
.LBB287_4030:                           ;   in Loop: Header=BB287_2093 Depth=1
	s_or_b32 exec_lo, exec_lo, s24
.LBB287_4031:                           ;   in Loop: Header=BB287_2093 Depth=1
	s_delay_alu instid0(SALU_CYCLE_1)
	s_or_b32 exec_lo, exec_lo, s23
.LBB287_4032:                           ;   in Loop: Header=BB287_2093 Depth=1
	s_delay_alu instid0(SALU_CYCLE_1) | instskip(NEXT) | instid1(SALU_CYCLE_1)
	s_or_b32 exec_lo, exec_lo, s22
	s_mov_b32 s22, exec_lo
	v_cmpx_lt_u32_e32 0xffffff, v86
	s_cbranch_execz .LBB287_4040
; %bb.4033:                             ;   in Loop: Header=BB287_2093 Depth=1
	v_lshrrev_b32_e32 v26, 24, v86
	v_bfrev_b32_e32 v7, 1
	s_mov_b32 s23, exec_lo
	s_delay_alu instid0(VALU_DEP_2)
	v_cmpx_ne_u32_e32 0x80, v26
	s_cbranch_execz .LBB287_4039
; %bb.4034:                             ;   in Loop: Header=BB287_2093 Depth=1
	v_and_b32_e32 v9, 0x7f, v26
	v_mov_b32_e32 v7, 0x7c010000
	s_mov_b32 s24, exec_lo
	s_delay_alu instid0(VALU_DEP_2)
	v_cmpx_ne_u32_e32 0x7f, v9
	s_cbranch_execz .LBB287_4038
; %bb.4035:                             ;   in Loop: Header=BB287_2093 Depth=1
	v_dual_lshrrev_b32 v7, 3, v9 :: v_dual_bitop2_b32 v0, 7, v26 bitop3:0x40
	s_mov_b32 s25, exec_lo
	v_cmpx_gt_u32_e32 8, v9
; %bb.4036:                             ;   in Loop: Header=BB287_2093 Depth=1
	s_delay_alu instid0(VALU_DEP_2) | instskip(NEXT) | instid1(VALU_DEP_1)
	v_clz_i32_u32_e32 v0, v0
	v_min_u32_e32 v0, 32, v0
	s_delay_alu instid0(VALU_DEP_1) | instskip(NEXT) | instid1(VALU_DEP_1)
	v_subrev_nc_u32_e32 v7, 28, v0
	v_lshlrev_b64_e32 v[16:17], v7, v[26:27]
	v_sub_nc_u32_e32 v7, 29, v0
	s_delay_alu instid0(VALU_DEP_2)
	v_and_b32_e32 v0, 7, v16
; %bb.4037:                             ;   in Loop: Header=BB287_2093 Depth=1
	s_or_b32 exec_lo, exec_lo, s25
	s_delay_alu instid0(VALU_DEP_1) | instskip(NEXT) | instid1(VALU_DEP_3)
	v_dual_lshlrev_b32 v9, 8, v26 :: v_dual_lshlrev_b32 v0, 23, v0
	v_lshl_add_u32 v7, v7, 10, 0x2000
	s_delay_alu instid0(VALU_DEP_1) | instskip(NEXT) | instid1(VALU_DEP_1)
	v_and_or_b32 v7, 0x8000, v9, v7
	v_lshl_or_b32 v7, v7, 16, v0
.LBB287_4038:                           ;   in Loop: Header=BB287_2093 Depth=1
	s_or_b32 exec_lo, exec_lo, s24
.LBB287_4039:                           ;   in Loop: Header=BB287_2093 Depth=1
	s_delay_alu instid0(SALU_CYCLE_1)
	s_or_b32 exec_lo, exec_lo, s23
.LBB287_4040:                           ;   in Loop: Header=BB287_2093 Depth=1
	s_delay_alu instid0(SALU_CYCLE_1) | instskip(SKIP_4) | instid1(VALU_DEP_3)
	s_or_b32 exec_lo, exec_lo, s22
	v_and_b32_e32 v0, 0xff, v87
	v_dual_mov_b32 v26, v87 :: v_dual_mov_b32 v12, 0
	v_mov_b32_e32 v9, 0
	s_mov_b32 s22, exec_lo
	v_cmpx_ne_u16_e32 0, v0
	s_cbranch_execz .LBB287_4048
; %bb.4041:                             ;   in Loop: Header=BB287_2093 Depth=1
	v_mov_b32_e32 v9, 0x8000
	s_mov_b32 s23, exec_lo
	v_cmpx_ne_u16_e32 0x80, v0
	s_cbranch_execz .LBB287_4047
; %bb.4042:                             ;   in Loop: Header=BB287_2093 Depth=1
	v_and_b32_e32 v16, 0x7f, v87
	v_mov_b32_e32 v9, 0x7c01
	s_mov_b32 s24, exec_lo
	s_delay_alu instid0(VALU_DEP_2)
	v_cmpx_ne_u32_e32 0x7f, v16
	s_cbranch_execz .LBB287_4046
; %bb.4043:                             ;   in Loop: Header=BB287_2093 Depth=1
	v_dual_lshrrev_b32 v9, 3, v16 :: v_dual_bitop2_b32 v0, 7, v87 bitop3:0x40
	s_mov_b32 s25, exec_lo
	v_cmpx_gt_u32_e32 8, v16
; %bb.4044:                             ;   in Loop: Header=BB287_2093 Depth=1
	s_delay_alu instid0(VALU_DEP_2) | instskip(NEXT) | instid1(VALU_DEP_1)
	v_clz_i32_u32_e32 v0, v0
	v_min_u32_e32 v0, 32, v0
	s_delay_alu instid0(VALU_DEP_1) | instskip(NEXT) | instid1(VALU_DEP_1)
	v_subrev_nc_u32_e32 v9, 28, v0
	v_lshlrev_b64_e32 v[16:17], v9, v[26:27]
	v_sub_nc_u32_e32 v9, 29, v0
	s_delay_alu instid0(VALU_DEP_2)
	v_and_b32_e32 v0, 7, v16
; %bb.4045:                             ;   in Loop: Header=BB287_2093 Depth=1
	s_or_b32 exec_lo, exec_lo, s25
	s_delay_alu instid0(VALU_DEP_1) | instskip(NEXT) | instid1(VALU_DEP_3)
	v_dual_lshlrev_b32 v16, 8, v87 :: v_dual_lshlrev_b32 v0, 7, v0
	v_lshl_add_u32 v9, v9, 10, 0x2000
	s_delay_alu instid0(VALU_DEP_2) | instskip(NEXT) | instid1(VALU_DEP_2)
	v_and_b32_e32 v16, 0x8000, v16
	v_and_b32_e32 v9, 0xfc00, v9
	s_delay_alu instid0(VALU_DEP_1)
	v_or3_b32 v9, v16, v9, v0
.LBB287_4046:                           ;   in Loop: Header=BB287_2093 Depth=1
	s_or_b32 exec_lo, exec_lo, s24
.LBB287_4047:                           ;   in Loop: Header=BB287_2093 Depth=1
	s_delay_alu instid0(SALU_CYCLE_1)
	s_or_b32 exec_lo, exec_lo, s23
.LBB287_4048:                           ;   in Loop: Header=BB287_2093 Depth=1
	s_delay_alu instid0(SALU_CYCLE_1) | instskip(SKIP_3) | instid1(VALU_DEP_2)
	s_or_b32 exec_lo, exec_lo, s22
	v_lshrrev_b16 v26, 8, v26
	v_mov_b32_e32 v16, 0
	s_mov_b32 s22, exec_lo
	v_cmpx_ne_u16_e32 0, v26
	s_cbranch_execz .LBB287_4056
; %bb.4049:                             ;   in Loop: Header=BB287_2093 Depth=1
	v_bfrev_b32_e32 v16, 1
	s_mov_b32 s23, exec_lo
	v_cmpx_ne_u16_e32 0x80, v26
	s_cbranch_execz .LBB287_4055
; %bb.4050:                             ;   in Loop: Header=BB287_2093 Depth=1
	v_and_b32_e32 v0, 0xffff, v26
	v_mov_b32_e32 v16, 0x7c010000
	s_mov_b32 s24, exec_lo
	s_delay_alu instid0(VALU_DEP_2) | instskip(NEXT) | instid1(VALU_DEP_1)
	v_and_b32_e32 v18, 0x7f, v0
	v_cmpx_ne_u32_e32 0x7f, v18
	s_cbranch_execz .LBB287_4054
; %bb.4051:                             ;   in Loop: Header=BB287_2093 Depth=1
	v_dual_lshrrev_b32 v17, 3, v18 :: v_dual_bitop2_b32 v16, 7, v0 bitop3:0x40
	s_mov_b32 s25, exec_lo
	v_cmpx_gt_u32_e32 8, v18
; %bb.4052:                             ;   in Loop: Header=BB287_2093 Depth=1
	s_delay_alu instid0(VALU_DEP_2) | instskip(NEXT) | instid1(VALU_DEP_1)
	v_clz_i32_u32_e32 v16, v16
	v_min_u32_e32 v18, 32, v16
	s_delay_alu instid0(VALU_DEP_1) | instskip(NEXT) | instid1(VALU_DEP_1)
	v_subrev_nc_u32_e32 v16, 28, v18
	v_lshlrev_b64_e32 v[16:17], v16, v[26:27]
	s_delay_alu instid0(VALU_DEP_1)
	v_dual_sub_nc_u32 v17, 29, v18 :: v_dual_bitop2_b32 v16, 7, v16 bitop3:0x40
; %bb.4053:                             ;   in Loop: Header=BB287_2093 Depth=1
	s_or_b32 exec_lo, exec_lo, s25
	v_lshlrev_b32_e32 v0, 8, v0
	s_delay_alu instid0(VALU_DEP_2) | instskip(NEXT) | instid1(VALU_DEP_3)
	v_lshl_add_u32 v17, v17, 10, 0x2000
	v_lshlrev_b32_e32 v16, 23, v16
	s_delay_alu instid0(VALU_DEP_2) | instskip(NEXT) | instid1(VALU_DEP_1)
	v_and_or_b32 v0, 0x8000, v0, v17
	v_lshl_or_b32 v16, v0, 16, v16
.LBB287_4054:                           ;   in Loop: Header=BB287_2093 Depth=1
	s_or_b32 exec_lo, exec_lo, s24
.LBB287_4055:                           ;   in Loop: Header=BB287_2093 Depth=1
	s_delay_alu instid0(SALU_CYCLE_1)
	s_or_b32 exec_lo, exec_lo, s23
.LBB287_4056:                           ;   in Loop: Header=BB287_2093 Depth=1
	s_delay_alu instid0(SALU_CYCLE_1) | instskip(SKIP_2) | instid1(VALU_DEP_1)
	s_or_b32 exec_lo, exec_lo, s22
	v_lshrrev_b32_e32 v0, 16, v87
	s_mov_b32 s22, exec_lo
	v_and_b32_e32 v17, 0xff, v0
	s_delay_alu instid0(VALU_DEP_1)
	v_cmpx_ne_u16_e32 0, v17
	s_cbranch_execz .LBB287_4064
; %bb.4057:                             ;   in Loop: Header=BB287_2093 Depth=1
	v_mov_b32_e32 v12, 0x8000
	s_mov_b32 s23, exec_lo
	v_cmpx_ne_u16_e32 0x80, v17
	s_cbranch_execz .LBB287_4063
; %bb.4058:                             ;   in Loop: Header=BB287_2093 Depth=1
	v_bfe_u32 v18, v87, 16, 7
	v_mov_b32_e32 v12, 0x7c01
	s_mov_b32 s24, exec_lo
	s_delay_alu instid0(VALU_DEP_2)
	v_cmpx_ne_u32_e32 0x7f, v18
	s_cbranch_execz .LBB287_4062
; %bb.4059:                             ;   in Loop: Header=BB287_2093 Depth=1
	v_dual_lshrrev_b32 v17, 3, v18 :: v_dual_bitop2_b32 v12, 7, v0 bitop3:0x40
	s_mov_b32 s25, exec_lo
	v_cmpx_gt_u32_e32 8, v18
; %bb.4060:                             ;   in Loop: Header=BB287_2093 Depth=1
	s_delay_alu instid0(VALU_DEP_2) | instskip(NEXT) | instid1(VALU_DEP_1)
	v_clz_i32_u32_e32 v12, v12
	v_min_u32_e32 v12, 32, v12
	s_delay_alu instid0(VALU_DEP_1) | instskip(NEXT) | instid1(VALU_DEP_1)
	v_subrev_nc_u32_e32 v17, 28, v12
	v_lshlrev_b64_e32 v[18:19], v17, v[0:1]
	s_delay_alu instid0(VALU_DEP_1)
	v_dual_sub_nc_u32 v17, 29, v12 :: v_dual_bitop2_b32 v12, 7, v18 bitop3:0x40
; %bb.4061:                             ;   in Loop: Header=BB287_2093 Depth=1
	s_or_b32 exec_lo, exec_lo, s25
	v_lshlrev_b32_e32 v0, 8, v0
	s_delay_alu instid0(VALU_DEP_2) | instskip(NEXT) | instid1(VALU_DEP_3)
	v_lshl_add_u32 v17, v17, 10, 0x2000
	v_lshlrev_b32_e32 v12, 7, v12
	s_delay_alu instid0(VALU_DEP_3) | instskip(NEXT) | instid1(VALU_DEP_3)
	v_and_b32_e32 v0, 0x8000, v0
	v_and_b32_e32 v17, 0xfc00, v17
	s_delay_alu instid0(VALU_DEP_1)
	v_or3_b32 v12, v0, v17, v12
.LBB287_4062:                           ;   in Loop: Header=BB287_2093 Depth=1
	s_or_b32 exec_lo, exec_lo, s24
.LBB287_4063:                           ;   in Loop: Header=BB287_2093 Depth=1
	s_delay_alu instid0(SALU_CYCLE_1)
	s_or_b32 exec_lo, exec_lo, s23
.LBB287_4064:                           ;   in Loop: Header=BB287_2093 Depth=1
	s_delay_alu instid0(SALU_CYCLE_1)
	s_or_b32 exec_lo, exec_lo, s22
	v_mov_b32_e32 v0, 0
	s_mov_b32 s22, exec_lo
	v_cmpx_lt_u64_e64 s[14:15], v[86:87]
	s_cbranch_execz .LBB287_4072
; %bb.4065:                             ;   in Loop: Header=BB287_2093 Depth=1
	v_lshrrev_b32_e32 v26, 24, v87
	v_bfrev_b32_e32 v0, 1
	s_mov_b32 s23, exec_lo
	s_delay_alu instid0(VALU_DEP_2)
	v_cmpx_ne_u32_e32 0x80, v26
	s_cbranch_execz .LBB287_4071
; %bb.4066:                             ;   in Loop: Header=BB287_2093 Depth=1
	v_and_b32_e32 v18, 0x7f, v26
	v_mov_b32_e32 v0, 0x7c010000
	s_mov_b32 s24, exec_lo
	s_delay_alu instid0(VALU_DEP_2)
	v_cmpx_ne_u32_e32 0x7f, v18
	s_cbranch_execz .LBB287_4070
; %bb.4067:                             ;   in Loop: Header=BB287_2093 Depth=1
	v_and_b32_e32 v0, 7, v26
	v_lshrrev_b32_e32 v17, 3, v18
	s_mov_b32 s25, exec_lo
	v_cmpx_gt_u32_e32 8, v18
; %bb.4068:                             ;   in Loop: Header=BB287_2093 Depth=1
	s_delay_alu instid0(VALU_DEP_3) | instskip(NEXT) | instid1(VALU_DEP_1)
	v_clz_i32_u32_e32 v0, v0
	v_min_u32_e32 v0, 32, v0
	s_delay_alu instid0(VALU_DEP_1) | instskip(NEXT) | instid1(VALU_DEP_1)
	v_subrev_nc_u32_e32 v17, 28, v0
	v_lshlrev_b64_e32 v[18:19], v17, v[26:27]
	s_delay_alu instid0(VALU_DEP_1)
	v_dual_sub_nc_u32 v17, 29, v0 :: v_dual_bitop2_b32 v0, 7, v18 bitop3:0x40
; %bb.4069:                             ;   in Loop: Header=BB287_2093 Depth=1
	s_or_b32 exec_lo, exec_lo, s25
	s_delay_alu instid0(VALU_DEP_1) | instskip(NEXT) | instid1(VALU_DEP_2)
	v_dual_lshlrev_b32 v18, 8, v26 :: v_dual_lshlrev_b32 v0, 23, v0
	v_lshl_add_u32 v17, v17, 10, 0x2000
	s_delay_alu instid0(VALU_DEP_1) | instskip(NEXT) | instid1(VALU_DEP_1)
	v_and_or_b32 v17, 0x8000, v18, v17
	v_lshl_or_b32 v0, v17, 16, v0
.LBB287_4070:                           ;   in Loop: Header=BB287_2093 Depth=1
	s_or_b32 exec_lo, exec_lo, s24
.LBB287_4071:                           ;   in Loop: Header=BB287_2093 Depth=1
	s_delay_alu instid0(SALU_CYCLE_1)
	s_or_b32 exec_lo, exec_lo, s23
.LBB287_4072:                           ;   in Loop: Header=BB287_2093 Depth=1
	s_delay_alu instid0(SALU_CYCLE_1) | instskip(SKIP_4) | instid1(VALU_DEP_4)
	s_or_b32 exec_lo, exec_lo, s22
	v_dual_lshrrev_b32 v17, 16, v1 :: v_dual_lshrrev_b32 v18, 16, v7
	v_or_b32_e32 v1, v1, v6
	v_or_b32_e32 v8, v7, v8
	;; [unrolled: 1-line block ×3, first 2 shown]
	v_cvt_f32_f16_e32 v7, v17
	v_cvt_f32_f16_e32 v6, v18
	v_lshrrev_b32_e32 v17, 16, v16
	v_dual_lshrrev_b32 v18, 16, v0 :: v_dual_bitop2_b32 v19, v16, v9 bitop3:0x54
	v_cvt_f32_f16_e32 v0, v8
	s_wait_loadcnt_dscnt 0x0
	v_pk_mul_f32 v[6:7], v[84:85], v[6:7] op_sel_hi:[0,1]
	v_cvt_f32_f16_e32 v1, v1
	v_cvt_f32_f16_e32 v9, v17
	;; [unrolled: 1-line block ×5, first 2 shown]
	v_pk_mul_f32 v[0:1], v[84:85], v[0:1] op_sel_hi:[0,1]
	v_cvt_pk_f16_f32 v12, v6, v7
	v_pk_mul_f32 v[6:7], v[84:85], v[8:9] op_sel_hi:[0,1]
	s_delay_alu instid0(VALU_DEP_4) | instskip(NEXT) | instid1(VALU_DEP_4)
	v_pk_mul_f32 v[16:17], v[84:85], v[16:17] op_sel_hi:[0,1]
	v_cvt_pk_f16_f32 v0, v0, v1
	s_delay_alu instid0(VALU_DEP_4) | instskip(NEXT) | instid1(VALU_DEP_4)
	v_and_b32_e32 v9, 0xffff0000, v12
	v_cvt_pk_f16_f32 v6, v6, v7
	s_delay_alu instid0(VALU_DEP_4) | instskip(NEXT) | instid1(VALU_DEP_4)
	v_cvt_pk_f16_f32 v7, v16, v17
	v_and_b32_e32 v98, 0xffff, v0
	v_lshrrev_b32_e32 v97, 16, v0
	v_lshlrev_b32_e32 v86, 16, v12
	v_and_b32_e32 v1, 0xffff0000, v6
	v_dual_lshlrev_b32 v0, 16, v6 :: v_dual_lshrrev_b32 v87, 16, v7
	v_and_b32_e32 v96, 0xffff, v7
	v_or_b32_e32 v85, v9, v97
	v_or_b32_e32 v84, v86, v98
	s_delay_alu instid0(VALU_DEP_4) | instskip(NEXT) | instid1(VALU_DEP_4)
	v_or_b32_e32 v19, v1, v87
	v_or_b32_e32 v26, v0, v96
	s_and_saveexec_b32 s8, s0
	s_cbranch_execz .LBB287_4074
; %bb.4073:                             ;   in Loop: Header=BB287_2093 Depth=1
	v_dual_cndmask_b32 v6, 0, v97, vcc_lo :: v_dual_cndmask_b32 v7, 0, v98, s1
	v_dual_cndmask_b32 v8, 0, v9, s2 :: v_dual_cndmask_b32 v9, 0, v86, s3
	v_dual_cndmask_b32 v12, 0, v87, s4 :: v_dual_cndmask_b32 v16, 0, v96, s5
	;; [unrolled: 1-line block ×3, first 2 shown]
	s_delay_alu instid0(VALU_DEP_3) | instskip(NEXT) | instid1(VALU_DEP_4)
	v_or_b32_e32 v85, v6, v8
	v_or_b32_e32 v84, v7, v9
	s_delay_alu instid0(VALU_DEP_3) | instskip(NEXT) | instid1(VALU_DEP_4)
	v_or_b32_e32 v19, v12, v1
	v_or_b32_e32 v26, v16, v0
.LBB287_4074:                           ;   in Loop: Header=BB287_2093 Depth=1
	s_or_b32 exec_lo, exec_lo, s8
	;;#ASMSTART
	v_pk_mul_f16 v0, v119, v85;

	;;#ASMEND
	;;#ASMSTART
	v_pk_mul_f16 v1, v117, v84;

	;;#ASMEND
	;; [unrolled: 4-line block ×4, first 2 shown]
	;;#ASMSTART
	v_pk_add_f16 v0, v0, v1;

	;;#ASMEND
	;;#ASMSTART
	v_pk_add_f16 v0, v0, v6;

	;;#ASMEND
	;; [unrolled: 4-line block ×3, first 2 shown]
	v_and_b32_e32 v1, 0xffff, v0
	v_lshrrev_b32_e32 v0, 16, v0
	;;#ASMSTART
	v_cvt_f32_f16 v97, v1;
	;;#ASMEND
	v_mov_b32_e32 v1, 0
	;;#ASMSTART
	v_cvt_f32_f16 v98, v0;
	;;#ASMEND
	flat_load_b64 v[84:85], v[82:83] offset:7680
	flat_load_b32 v82, v[22:23]
	v_mov_b32_e32 v6, 0
	s_mov_b32 s22, exec_lo
	s_wait_loadcnt_dscnt 0x101
	v_and_b32_e32 v0, 0xff, v84
	s_wait_xcnt 0x0
	s_delay_alu instid0(VALU_DEP_1)
	v_cmpx_ne_u16_e32 0, v0
	s_cbranch_execz .LBB287_4082
; %bb.4075:                             ;   in Loop: Header=BB287_2093 Depth=1
	v_mov_b32_e32 v6, 0x8000
	s_mov_b32 s23, exec_lo
	v_cmpx_ne_u16_e32 0x80, v0
	s_cbranch_execz .LBB287_4081
; %bb.4076:                             ;   in Loop: Header=BB287_2093 Depth=1
	v_and_b32_e32 v7, 0x7f, v84
	v_mov_b32_e32 v6, 0x7c01
	s_mov_b32 s24, exec_lo
	s_delay_alu instid0(VALU_DEP_2)
	v_cmpx_ne_u32_e32 0x7f, v7
	s_cbranch_execz .LBB287_4080
; %bb.4077:                             ;   in Loop: Header=BB287_2093 Depth=1
	v_dual_lshrrev_b32 v6, 3, v7 :: v_dual_bitop2_b32 v0, 7, v84 bitop3:0x40
	s_mov_b32 s25, exec_lo
	v_cmpx_gt_u32_e32 8, v7
; %bb.4078:                             ;   in Loop: Header=BB287_2093 Depth=1
	s_delay_alu instid0(VALU_DEP_2) | instskip(NEXT) | instid1(VALU_DEP_1)
	v_clz_i32_u32_e32 v0, v0
	v_min_u32_e32 v0, 32, v0
	s_delay_alu instid0(VALU_DEP_1) | instskip(NEXT) | instid1(VALU_DEP_1)
	v_subrev_nc_u32_e32 v6, 28, v0
	v_lshlrev_b64_e32 v[8:9], v6, v[84:85]
	v_sub_nc_u32_e32 v6, 29, v0
	s_delay_alu instid0(VALU_DEP_2)
	v_and_b32_e32 v0, 7, v8
; %bb.4079:                             ;   in Loop: Header=BB287_2093 Depth=1
	s_or_b32 exec_lo, exec_lo, s25
	v_lshlrev_b32_e32 v7, 8, v84
	s_delay_alu instid0(VALU_DEP_3) | instskip(NEXT) | instid1(VALU_DEP_3)
	v_lshl_add_u32 v6, v6, 10, 0x2000
	v_lshlrev_b32_e32 v0, 7, v0
	s_delay_alu instid0(VALU_DEP_3) | instskip(NEXT) | instid1(VALU_DEP_3)
	v_and_b32_e32 v7, 0x8000, v7
	v_and_b32_e32 v6, 0xfc00, v6
	s_delay_alu instid0(VALU_DEP_1)
	v_or3_b32 v6, v7, v6, v0
.LBB287_4080:                           ;   in Loop: Header=BB287_2093 Depth=1
	s_or_b32 exec_lo, exec_lo, s24
.LBB287_4081:                           ;   in Loop: Header=BB287_2093 Depth=1
	s_delay_alu instid0(SALU_CYCLE_1)
	s_or_b32 exec_lo, exec_lo, s23
.LBB287_4082:                           ;   in Loop: Header=BB287_2093 Depth=1
	s_delay_alu instid0(SALU_CYCLE_1) | instskip(SKIP_2) | instid1(VALU_DEP_1)
	s_or_b32 exec_lo, exec_lo, s22
	v_lshrrev_b16 v26, 8, v84
	s_mov_b32 s22, exec_lo
	v_cmpx_ne_u16_e32 0, v26
	s_cbranch_execz .LBB287_4090
; %bb.4083:                             ;   in Loop: Header=BB287_2093 Depth=1
	v_bfrev_b32_e32 v1, 1
	s_mov_b32 s23, exec_lo
	v_cmpx_ne_u16_e32 0x80, v26
	s_cbranch_execz .LBB287_4089
; %bb.4084:                             ;   in Loop: Header=BB287_2093 Depth=1
	v_and_b32_e32 v0, 0xffff, v26
	v_mov_b32_e32 v1, 0x7c010000
	s_mov_b32 s24, exec_lo
	s_delay_alu instid0(VALU_DEP_2) | instskip(NEXT) | instid1(VALU_DEP_1)
	v_and_b32_e32 v8, 0x7f, v0
	v_cmpx_ne_u32_e32 0x7f, v8
	s_cbranch_execz .LBB287_4088
; %bb.4085:                             ;   in Loop: Header=BB287_2093 Depth=1
	v_and_b32_e32 v1, 7, v0
	v_lshrrev_b32_e32 v7, 3, v8
	s_mov_b32 s25, exec_lo
	v_cmpx_gt_u32_e32 8, v8
; %bb.4086:                             ;   in Loop: Header=BB287_2093 Depth=1
	s_delay_alu instid0(VALU_DEP_3) | instskip(NEXT) | instid1(VALU_DEP_1)
	v_clz_i32_u32_e32 v1, v1
	v_min_u32_e32 v1, 32, v1
	s_delay_alu instid0(VALU_DEP_1) | instskip(NEXT) | instid1(VALU_DEP_1)
	v_subrev_nc_u32_e32 v7, 28, v1
	v_lshlrev_b64_e32 v[8:9], v7, v[26:27]
	s_delay_alu instid0(VALU_DEP_1)
	v_dual_sub_nc_u32 v7, 29, v1 :: v_dual_bitop2_b32 v1, 7, v8 bitop3:0x40
; %bb.4087:                             ;   in Loop: Header=BB287_2093 Depth=1
	s_or_b32 exec_lo, exec_lo, s25
	s_delay_alu instid0(VALU_DEP_1) | instskip(NEXT) | instid1(VALU_DEP_2)
	v_dual_lshlrev_b32 v0, 8, v0 :: v_dual_lshlrev_b32 v1, 23, v1
	v_lshl_add_u32 v7, v7, 10, 0x2000
	s_delay_alu instid0(VALU_DEP_1) | instskip(NEXT) | instid1(VALU_DEP_1)
	v_and_or_b32 v0, 0x8000, v0, v7
	v_lshl_or_b32 v1, v0, 16, v1
.LBB287_4088:                           ;   in Loop: Header=BB287_2093 Depth=1
	s_or_b32 exec_lo, exec_lo, s24
.LBB287_4089:                           ;   in Loop: Header=BB287_2093 Depth=1
	s_delay_alu instid0(SALU_CYCLE_1)
	s_or_b32 exec_lo, exec_lo, s23
.LBB287_4090:                           ;   in Loop: Header=BB287_2093 Depth=1
	s_delay_alu instid0(SALU_CYCLE_1) | instskip(SKIP_3) | instid1(VALU_DEP_2)
	s_or_b32 exec_lo, exec_lo, s22
	v_dual_mov_b32 v7, 0 :: v_dual_lshrrev_b32 v0, 16, v84
	v_mov_b32_e32 v8, 0
	s_mov_b32 s22, exec_lo
	v_and_b32_e32 v9, 0xff, v0
	s_delay_alu instid0(VALU_DEP_1)
	v_cmpx_ne_u16_e32 0, v9
	s_cbranch_execz .LBB287_4098
; %bb.4091:                             ;   in Loop: Header=BB287_2093 Depth=1
	v_mov_b32_e32 v8, 0x8000
	s_mov_b32 s23, exec_lo
	v_cmpx_ne_u16_e32 0x80, v9
	s_cbranch_execz .LBB287_4097
; %bb.4092:                             ;   in Loop: Header=BB287_2093 Depth=1
	v_bfe_u32 v12, v84, 16, 7
	v_mov_b32_e32 v8, 0x7c01
	s_mov_b32 s24, exec_lo
	s_delay_alu instid0(VALU_DEP_2)
	v_cmpx_ne_u32_e32 0x7f, v12
	s_cbranch_execz .LBB287_4096
; %bb.4093:                             ;   in Loop: Header=BB287_2093 Depth=1
	v_and_b32_e32 v8, 7, v0
	v_lshrrev_b32_e32 v9, 3, v12
	s_mov_b32 s25, exec_lo
	v_cmpx_gt_u32_e32 8, v12
; %bb.4094:                             ;   in Loop: Header=BB287_2093 Depth=1
	s_delay_alu instid0(VALU_DEP_3) | instskip(NEXT) | instid1(VALU_DEP_1)
	v_clz_i32_u32_e32 v8, v8
	v_min_u32_e32 v12, 32, v8
	s_delay_alu instid0(VALU_DEP_1) | instskip(NEXT) | instid1(VALU_DEP_1)
	v_subrev_nc_u32_e32 v8, 28, v12
	v_lshlrev_b64_e32 v[8:9], v8, v[0:1]
	v_sub_nc_u32_e32 v9, 29, v12
	s_delay_alu instid0(VALU_DEP_2)
	v_and_b32_e32 v8, 7, v8
; %bb.4095:                             ;   in Loop: Header=BB287_2093 Depth=1
	s_or_b32 exec_lo, exec_lo, s25
	v_lshlrev_b32_e32 v0, 8, v0
	s_delay_alu instid0(VALU_DEP_3) | instskip(NEXT) | instid1(VALU_DEP_3)
	v_lshl_add_u32 v9, v9, 10, 0x2000
	v_lshlrev_b32_e32 v8, 7, v8
	s_delay_alu instid0(VALU_DEP_3) | instskip(NEXT) | instid1(VALU_DEP_3)
	v_and_b32_e32 v0, 0x8000, v0
	v_and_b32_e32 v9, 0xfc00, v9
	s_delay_alu instid0(VALU_DEP_1)
	v_or3_b32 v8, v0, v9, v8
.LBB287_4096:                           ;   in Loop: Header=BB287_2093 Depth=1
	s_or_b32 exec_lo, exec_lo, s24
.LBB287_4097:                           ;   in Loop: Header=BB287_2093 Depth=1
	s_delay_alu instid0(SALU_CYCLE_1)
	s_or_b32 exec_lo, exec_lo, s23
.LBB287_4098:                           ;   in Loop: Header=BB287_2093 Depth=1
	s_delay_alu instid0(SALU_CYCLE_1) | instskip(NEXT) | instid1(SALU_CYCLE_1)
	s_or_b32 exec_lo, exec_lo, s22
	s_mov_b32 s22, exec_lo
	v_cmpx_lt_u32_e32 0xffffff, v84
	s_cbranch_execz .LBB287_4106
; %bb.4099:                             ;   in Loop: Header=BB287_2093 Depth=1
	v_lshrrev_b32_e32 v26, 24, v84
	v_bfrev_b32_e32 v7, 1
	s_mov_b32 s23, exec_lo
	s_delay_alu instid0(VALU_DEP_2)
	v_cmpx_ne_u32_e32 0x80, v26
	s_cbranch_execz .LBB287_4105
; %bb.4100:                             ;   in Loop: Header=BB287_2093 Depth=1
	v_and_b32_e32 v9, 0x7f, v26
	v_mov_b32_e32 v7, 0x7c010000
	s_mov_b32 s24, exec_lo
	s_delay_alu instid0(VALU_DEP_2)
	v_cmpx_ne_u32_e32 0x7f, v9
	s_cbranch_execz .LBB287_4104
; %bb.4101:                             ;   in Loop: Header=BB287_2093 Depth=1
	v_dual_lshrrev_b32 v7, 3, v9 :: v_dual_bitop2_b32 v0, 7, v26 bitop3:0x40
	s_mov_b32 s25, exec_lo
	v_cmpx_gt_u32_e32 8, v9
; %bb.4102:                             ;   in Loop: Header=BB287_2093 Depth=1
	s_delay_alu instid0(VALU_DEP_2) | instskip(NEXT) | instid1(VALU_DEP_1)
	v_clz_i32_u32_e32 v0, v0
	v_min_u32_e32 v0, 32, v0
	s_delay_alu instid0(VALU_DEP_1) | instskip(NEXT) | instid1(VALU_DEP_1)
	v_subrev_nc_u32_e32 v7, 28, v0
	v_lshlrev_b64_e32 v[16:17], v7, v[26:27]
	v_sub_nc_u32_e32 v7, 29, v0
	s_delay_alu instid0(VALU_DEP_2)
	v_and_b32_e32 v0, 7, v16
; %bb.4103:                             ;   in Loop: Header=BB287_2093 Depth=1
	s_or_b32 exec_lo, exec_lo, s25
	s_delay_alu instid0(VALU_DEP_1) | instskip(NEXT) | instid1(VALU_DEP_3)
	v_dual_lshlrev_b32 v9, 8, v26 :: v_dual_lshlrev_b32 v0, 23, v0
	v_lshl_add_u32 v7, v7, 10, 0x2000
	s_delay_alu instid0(VALU_DEP_1) | instskip(NEXT) | instid1(VALU_DEP_1)
	v_and_or_b32 v7, 0x8000, v9, v7
	v_lshl_or_b32 v7, v7, 16, v0
.LBB287_4104:                           ;   in Loop: Header=BB287_2093 Depth=1
	s_or_b32 exec_lo, exec_lo, s24
.LBB287_4105:                           ;   in Loop: Header=BB287_2093 Depth=1
	s_delay_alu instid0(SALU_CYCLE_1)
	s_or_b32 exec_lo, exec_lo, s23
.LBB287_4106:                           ;   in Loop: Header=BB287_2093 Depth=1
	s_delay_alu instid0(SALU_CYCLE_1) | instskip(SKIP_4) | instid1(VALU_DEP_3)
	s_or_b32 exec_lo, exec_lo, s22
	v_and_b32_e32 v0, 0xff, v85
	v_dual_mov_b32 v26, v85 :: v_dual_mov_b32 v12, 0
	v_mov_b32_e32 v9, 0
	s_mov_b32 s22, exec_lo
	v_cmpx_ne_u16_e32 0, v0
	s_cbranch_execz .LBB287_4114
; %bb.4107:                             ;   in Loop: Header=BB287_2093 Depth=1
	v_mov_b32_e32 v9, 0x8000
	s_mov_b32 s23, exec_lo
	v_cmpx_ne_u16_e32 0x80, v0
	s_cbranch_execz .LBB287_4113
; %bb.4108:                             ;   in Loop: Header=BB287_2093 Depth=1
	v_and_b32_e32 v16, 0x7f, v85
	v_mov_b32_e32 v9, 0x7c01
	s_mov_b32 s24, exec_lo
	s_delay_alu instid0(VALU_DEP_2)
	v_cmpx_ne_u32_e32 0x7f, v16
	s_cbranch_execz .LBB287_4112
; %bb.4109:                             ;   in Loop: Header=BB287_2093 Depth=1
	v_dual_lshrrev_b32 v9, 3, v16 :: v_dual_bitop2_b32 v0, 7, v85 bitop3:0x40
	s_mov_b32 s25, exec_lo
	v_cmpx_gt_u32_e32 8, v16
; %bb.4110:                             ;   in Loop: Header=BB287_2093 Depth=1
	s_delay_alu instid0(VALU_DEP_2) | instskip(NEXT) | instid1(VALU_DEP_1)
	v_clz_i32_u32_e32 v0, v0
	v_min_u32_e32 v0, 32, v0
	s_delay_alu instid0(VALU_DEP_1) | instskip(NEXT) | instid1(VALU_DEP_1)
	v_subrev_nc_u32_e32 v9, 28, v0
	v_lshlrev_b64_e32 v[16:17], v9, v[26:27]
	v_sub_nc_u32_e32 v9, 29, v0
	s_delay_alu instid0(VALU_DEP_2)
	v_and_b32_e32 v0, 7, v16
; %bb.4111:                             ;   in Loop: Header=BB287_2093 Depth=1
	s_or_b32 exec_lo, exec_lo, s25
	s_delay_alu instid0(VALU_DEP_1) | instskip(NEXT) | instid1(VALU_DEP_3)
	v_dual_lshlrev_b32 v16, 8, v85 :: v_dual_lshlrev_b32 v0, 7, v0
	v_lshl_add_u32 v9, v9, 10, 0x2000
	s_delay_alu instid0(VALU_DEP_2) | instskip(NEXT) | instid1(VALU_DEP_2)
	v_and_b32_e32 v16, 0x8000, v16
	v_and_b32_e32 v9, 0xfc00, v9
	s_delay_alu instid0(VALU_DEP_1)
	v_or3_b32 v9, v16, v9, v0
.LBB287_4112:                           ;   in Loop: Header=BB287_2093 Depth=1
	s_or_b32 exec_lo, exec_lo, s24
.LBB287_4113:                           ;   in Loop: Header=BB287_2093 Depth=1
	s_delay_alu instid0(SALU_CYCLE_1)
	s_or_b32 exec_lo, exec_lo, s23
.LBB287_4114:                           ;   in Loop: Header=BB287_2093 Depth=1
	s_delay_alu instid0(SALU_CYCLE_1) | instskip(SKIP_3) | instid1(VALU_DEP_2)
	s_or_b32 exec_lo, exec_lo, s22
	v_lshrrev_b16 v26, 8, v26
	v_mov_b32_e32 v16, 0
	s_mov_b32 s22, exec_lo
	v_cmpx_ne_u16_e32 0, v26
	s_cbranch_execz .LBB287_4122
; %bb.4115:                             ;   in Loop: Header=BB287_2093 Depth=1
	v_bfrev_b32_e32 v16, 1
	s_mov_b32 s23, exec_lo
	v_cmpx_ne_u16_e32 0x80, v26
	s_cbranch_execz .LBB287_4121
; %bb.4116:                             ;   in Loop: Header=BB287_2093 Depth=1
	v_and_b32_e32 v0, 0xffff, v26
	v_mov_b32_e32 v16, 0x7c010000
	s_mov_b32 s24, exec_lo
	s_delay_alu instid0(VALU_DEP_2) | instskip(NEXT) | instid1(VALU_DEP_1)
	v_and_b32_e32 v18, 0x7f, v0
	v_cmpx_ne_u32_e32 0x7f, v18
	s_cbranch_execz .LBB287_4120
; %bb.4117:                             ;   in Loop: Header=BB287_2093 Depth=1
	v_dual_lshrrev_b32 v17, 3, v18 :: v_dual_bitop2_b32 v16, 7, v0 bitop3:0x40
	s_mov_b32 s25, exec_lo
	v_cmpx_gt_u32_e32 8, v18
; %bb.4118:                             ;   in Loop: Header=BB287_2093 Depth=1
	s_delay_alu instid0(VALU_DEP_2) | instskip(NEXT) | instid1(VALU_DEP_1)
	v_clz_i32_u32_e32 v16, v16
	v_min_u32_e32 v18, 32, v16
	s_delay_alu instid0(VALU_DEP_1) | instskip(NEXT) | instid1(VALU_DEP_1)
	v_subrev_nc_u32_e32 v16, 28, v18
	v_lshlrev_b64_e32 v[16:17], v16, v[26:27]
	s_delay_alu instid0(VALU_DEP_1)
	v_dual_sub_nc_u32 v17, 29, v18 :: v_dual_bitop2_b32 v16, 7, v16 bitop3:0x40
; %bb.4119:                             ;   in Loop: Header=BB287_2093 Depth=1
	s_or_b32 exec_lo, exec_lo, s25
	v_lshlrev_b32_e32 v0, 8, v0
	s_delay_alu instid0(VALU_DEP_2) | instskip(NEXT) | instid1(VALU_DEP_3)
	v_lshl_add_u32 v17, v17, 10, 0x2000
	v_lshlrev_b32_e32 v16, 23, v16
	s_delay_alu instid0(VALU_DEP_2) | instskip(NEXT) | instid1(VALU_DEP_1)
	v_and_or_b32 v0, 0x8000, v0, v17
	v_lshl_or_b32 v16, v0, 16, v16
.LBB287_4120:                           ;   in Loop: Header=BB287_2093 Depth=1
	s_or_b32 exec_lo, exec_lo, s24
.LBB287_4121:                           ;   in Loop: Header=BB287_2093 Depth=1
	s_delay_alu instid0(SALU_CYCLE_1)
	s_or_b32 exec_lo, exec_lo, s23
.LBB287_4122:                           ;   in Loop: Header=BB287_2093 Depth=1
	s_delay_alu instid0(SALU_CYCLE_1) | instskip(SKIP_2) | instid1(VALU_DEP_1)
	s_or_b32 exec_lo, exec_lo, s22
	v_lshrrev_b32_e32 v0, 16, v85
	s_mov_b32 s22, exec_lo
	v_and_b32_e32 v17, 0xff, v0
	s_delay_alu instid0(VALU_DEP_1)
	v_cmpx_ne_u16_e32 0, v17
	s_cbranch_execz .LBB287_4130
; %bb.4123:                             ;   in Loop: Header=BB287_2093 Depth=1
	v_mov_b32_e32 v12, 0x8000
	s_mov_b32 s23, exec_lo
	v_cmpx_ne_u16_e32 0x80, v17
	s_cbranch_execz .LBB287_4129
; %bb.4124:                             ;   in Loop: Header=BB287_2093 Depth=1
	v_bfe_u32 v18, v85, 16, 7
	v_mov_b32_e32 v12, 0x7c01
	s_mov_b32 s24, exec_lo
	s_delay_alu instid0(VALU_DEP_2)
	v_cmpx_ne_u32_e32 0x7f, v18
	s_cbranch_execz .LBB287_4128
; %bb.4125:                             ;   in Loop: Header=BB287_2093 Depth=1
	v_dual_lshrrev_b32 v17, 3, v18 :: v_dual_bitop2_b32 v12, 7, v0 bitop3:0x40
	s_mov_b32 s25, exec_lo
	v_cmpx_gt_u32_e32 8, v18
; %bb.4126:                             ;   in Loop: Header=BB287_2093 Depth=1
	s_delay_alu instid0(VALU_DEP_2) | instskip(NEXT) | instid1(VALU_DEP_1)
	v_clz_i32_u32_e32 v12, v12
	v_min_u32_e32 v12, 32, v12
	s_delay_alu instid0(VALU_DEP_1) | instskip(NEXT) | instid1(VALU_DEP_1)
	v_subrev_nc_u32_e32 v17, 28, v12
	v_lshlrev_b64_e32 v[18:19], v17, v[0:1]
	s_delay_alu instid0(VALU_DEP_1)
	v_dual_sub_nc_u32 v17, 29, v12 :: v_dual_bitop2_b32 v12, 7, v18 bitop3:0x40
; %bb.4127:                             ;   in Loop: Header=BB287_2093 Depth=1
	s_or_b32 exec_lo, exec_lo, s25
	v_lshlrev_b32_e32 v0, 8, v0
	s_delay_alu instid0(VALU_DEP_2) | instskip(NEXT) | instid1(VALU_DEP_3)
	v_lshl_add_u32 v17, v17, 10, 0x2000
	v_lshlrev_b32_e32 v12, 7, v12
	s_delay_alu instid0(VALU_DEP_3) | instskip(NEXT) | instid1(VALU_DEP_3)
	v_and_b32_e32 v0, 0x8000, v0
	v_and_b32_e32 v17, 0xfc00, v17
	s_delay_alu instid0(VALU_DEP_1)
	v_or3_b32 v12, v0, v17, v12
.LBB287_4128:                           ;   in Loop: Header=BB287_2093 Depth=1
	s_or_b32 exec_lo, exec_lo, s24
.LBB287_4129:                           ;   in Loop: Header=BB287_2093 Depth=1
	s_delay_alu instid0(SALU_CYCLE_1)
	s_or_b32 exec_lo, exec_lo, s23
.LBB287_4130:                           ;   in Loop: Header=BB287_2093 Depth=1
	s_delay_alu instid0(SALU_CYCLE_1)
	s_or_b32 exec_lo, exec_lo, s22
	v_mov_b32_e32 v0, 0
	s_mov_b32 s22, exec_lo
	v_cmpx_lt_u64_e64 s[14:15], v[84:85]
	s_cbranch_execz .LBB287_4138
; %bb.4131:                             ;   in Loop: Header=BB287_2093 Depth=1
	v_lshrrev_b32_e32 v26, 24, v85
	v_bfrev_b32_e32 v0, 1
	s_mov_b32 s23, exec_lo
	s_delay_alu instid0(VALU_DEP_2)
	v_cmpx_ne_u32_e32 0x80, v26
	s_cbranch_execz .LBB287_4137
; %bb.4132:                             ;   in Loop: Header=BB287_2093 Depth=1
	v_and_b32_e32 v18, 0x7f, v26
	v_mov_b32_e32 v0, 0x7c010000
	s_mov_b32 s24, exec_lo
	s_delay_alu instid0(VALU_DEP_2)
	v_cmpx_ne_u32_e32 0x7f, v18
	s_cbranch_execz .LBB287_4136
; %bb.4133:                             ;   in Loop: Header=BB287_2093 Depth=1
	v_and_b32_e32 v0, 7, v26
	v_lshrrev_b32_e32 v17, 3, v18
	s_mov_b32 s25, exec_lo
	v_cmpx_gt_u32_e32 8, v18
; %bb.4134:                             ;   in Loop: Header=BB287_2093 Depth=1
	s_delay_alu instid0(VALU_DEP_3) | instskip(NEXT) | instid1(VALU_DEP_1)
	v_clz_i32_u32_e32 v0, v0
	v_min_u32_e32 v0, 32, v0
	s_delay_alu instid0(VALU_DEP_1) | instskip(NEXT) | instid1(VALU_DEP_1)
	v_subrev_nc_u32_e32 v17, 28, v0
	v_lshlrev_b64_e32 v[18:19], v17, v[26:27]
	s_delay_alu instid0(VALU_DEP_1)
	v_dual_sub_nc_u32 v17, 29, v0 :: v_dual_bitop2_b32 v0, 7, v18 bitop3:0x40
; %bb.4135:                             ;   in Loop: Header=BB287_2093 Depth=1
	s_or_b32 exec_lo, exec_lo, s25
	s_delay_alu instid0(VALU_DEP_1) | instskip(NEXT) | instid1(VALU_DEP_2)
	v_dual_lshlrev_b32 v18, 8, v26 :: v_dual_lshlrev_b32 v0, 23, v0
	v_lshl_add_u32 v17, v17, 10, 0x2000
	s_delay_alu instid0(VALU_DEP_1) | instskip(NEXT) | instid1(VALU_DEP_1)
	v_and_or_b32 v17, 0x8000, v18, v17
	v_lshl_or_b32 v0, v17, 16, v0
.LBB287_4136:                           ;   in Loop: Header=BB287_2093 Depth=1
	s_or_b32 exec_lo, exec_lo, s24
.LBB287_4137:                           ;   in Loop: Header=BB287_2093 Depth=1
	s_delay_alu instid0(SALU_CYCLE_1)
	s_or_b32 exec_lo, exec_lo, s23
.LBB287_4138:                           ;   in Loop: Header=BB287_2093 Depth=1
	s_delay_alu instid0(SALU_CYCLE_1) | instskip(SKIP_4) | instid1(VALU_DEP_4)
	s_or_b32 exec_lo, exec_lo, s22
	v_dual_lshrrev_b32 v17, 16, v1 :: v_dual_lshrrev_b32 v18, 16, v7
	v_or_b32_e32 v1, v1, v6
	v_or_b32_e32 v8, v7, v8
	;; [unrolled: 1-line block ×3, first 2 shown]
	v_cvt_f32_f16_e32 v7, v17
	v_cvt_f32_f16_e32 v6, v18
	v_lshrrev_b32_e32 v17, 16, v16
	v_dual_lshrrev_b32 v18, 16, v0 :: v_dual_bitop2_b32 v19, v16, v9 bitop3:0x54
	v_cvt_f32_f16_e32 v0, v8
	s_wait_loadcnt_dscnt 0x0
	v_pk_mul_f32 v[6:7], v[82:83], v[6:7] op_sel_hi:[0,1]
	v_cvt_f32_f16_e32 v9, v17
	v_cvt_f32_f16_e32 v8, v18
	;; [unrolled: 1-line block ×5, first 2 shown]
	v_cvt_pk_f16_f32 v12, v6, v7
	v_pk_mul_f32 v[6:7], v[82:83], v[8:9] op_sel_hi:[0,1]
	s_delay_alu instid0(VALU_DEP_4) | instskip(NEXT) | instid1(VALU_DEP_4)
	v_pk_mul_f32 v[16:17], v[82:83], v[16:17] op_sel_hi:[0,1]
	v_pk_mul_f32 v[0:1], v[82:83], v[0:1] op_sel_hi:[0,1]
	s_delay_alu instid0(VALU_DEP_4) | instskip(NEXT) | instid1(VALU_DEP_4)
	v_and_b32_e32 v9, 0xffff0000, v12
	v_cvt_pk_f16_f32 v6, v6, v7
	s_delay_alu instid0(VALU_DEP_4) | instskip(NEXT) | instid1(VALU_DEP_4)
	v_cvt_pk_f16_f32 v7, v16, v17
	v_cvt_pk_f16_f32 v0, v0, v1
	s_delay_alu instid0(VALU_DEP_3) | instskip(NEXT) | instid1(VALU_DEP_2)
	v_and_b32_e32 v1, 0xffff0000, v6
	v_dual_lshrrev_b32 v85, 16, v7 :: v_dual_lshrrev_b32 v87, 16, v0
	v_and_b32_e32 v96, 0xffff, v0
	v_lshlrev_b32_e32 v0, 16, v6
	v_and_b32_e32 v86, 0xffff, v7
	s_delay_alu instid0(VALU_DEP_4) | instskip(SKIP_1) | instid1(VALU_DEP_3)
	v_dual_lshlrev_b32 v84, 16, v12 :: v_dual_bitop2_b32 v19, v1, v85 bitop3:0x54
	v_or_b32_e32 v83, v9, v87
	v_or_b32_e32 v26, v0, v86
	s_delay_alu instid0(VALU_DEP_3)
	v_or_b32_e32 v82, v84, v96
	s_and_saveexec_b32 s8, s0
	s_cbranch_execz .LBB287_4140
; %bb.4139:                             ;   in Loop: Header=BB287_2093 Depth=1
	v_dual_cndmask_b32 v6, 0, v87, vcc_lo :: v_dual_cndmask_b32 v7, 0, v96, s1
	v_dual_cndmask_b32 v8, 0, v9, s2 :: v_dual_cndmask_b32 v9, 0, v84, s3
	v_dual_cndmask_b32 v12, 0, v85, s4 :: v_dual_cndmask_b32 v16, 0, v86, s5
	;; [unrolled: 1-line block ×3, first 2 shown]
	s_delay_alu instid0(VALU_DEP_3) | instskip(NEXT) | instid1(VALU_DEP_4)
	v_or_b32_e32 v83, v6, v8
	v_or_b32_e32 v82, v7, v9
	s_delay_alu instid0(VALU_DEP_3) | instskip(NEXT) | instid1(VALU_DEP_4)
	v_or_b32_e32 v19, v12, v1
	v_or_b32_e32 v26, v16, v0
.LBB287_4140:                           ;   in Loop: Header=BB287_2093 Depth=1
	s_or_b32 exec_lo, exec_lo, s8
	;;#ASMSTART
	v_pk_mul_f16 v0, v119, v83;

	;;#ASMEND
	;;#ASMSTART
	v_pk_mul_f16 v1, v117, v82;

	;;#ASMEND
	;; [unrolled: 4-line block ×4, first 2 shown]
	;;#ASMSTART
	v_pk_add_f16 v0, v0, v1;

	;;#ASMEND
	;;#ASMSTART
	v_pk_add_f16 v0, v0, v6;

	;;#ASMEND
	;; [unrolled: 4-line block ×3, first 2 shown]
	scratch_load_b64 v[0:1], off, s32 offset:252 ; 8-byte Folded Reload
	v_and_b32_e32 v7, 0xffff, v6
	v_lshrrev_b32_e32 v6, 16, v6
	;;#ASMSTART
	v_cvt_f32_f16 v87, v7;
	;;#ASMEND
	;;#ASMSTART
	v_cvt_f32_f16 v96, v6;
	;;#ASMEND
	v_mov_b32_e32 v6, 0
	s_mov_b32 s22, exec_lo
	s_wait_loadcnt 0x0
	v_add_nc_u64_e32 v[0:1], v[80:81], v[0:1]
	flat_load_b64 v[82:83], v[0:1]
	flat_load_b32 v80, v[22:23]
	s_wait_xcnt 0x1
	v_mov_b32_e32 v1, 0
	s_wait_loadcnt_dscnt 0x101
	v_and_b32_e32 v0, 0xff, v82
	s_wait_xcnt 0x0
	s_delay_alu instid0(VALU_DEP_1)
	v_cmpx_ne_u16_e32 0, v0
	s_cbranch_execz .LBB287_4148
; %bb.4141:                             ;   in Loop: Header=BB287_2093 Depth=1
	v_mov_b32_e32 v6, 0x8000
	s_mov_b32 s23, exec_lo
	v_cmpx_ne_u16_e32 0x80, v0
	s_cbranch_execz .LBB287_4147
; %bb.4142:                             ;   in Loop: Header=BB287_2093 Depth=1
	v_and_b32_e32 v7, 0x7f, v82
	v_mov_b32_e32 v6, 0x7c01
	s_mov_b32 s24, exec_lo
	s_delay_alu instid0(VALU_DEP_2)
	v_cmpx_ne_u32_e32 0x7f, v7
	s_cbranch_execz .LBB287_4146
; %bb.4143:                             ;   in Loop: Header=BB287_2093 Depth=1
	v_dual_lshrrev_b32 v6, 3, v7 :: v_dual_bitop2_b32 v0, 7, v82 bitop3:0x40
	s_mov_b32 s25, exec_lo
	v_cmpx_gt_u32_e32 8, v7
; %bb.4144:                             ;   in Loop: Header=BB287_2093 Depth=1
	s_delay_alu instid0(VALU_DEP_2) | instskip(NEXT) | instid1(VALU_DEP_1)
	v_clz_i32_u32_e32 v0, v0
	v_min_u32_e32 v0, 32, v0
	s_delay_alu instid0(VALU_DEP_1) | instskip(NEXT) | instid1(VALU_DEP_1)
	v_subrev_nc_u32_e32 v6, 28, v0
	v_lshlrev_b64_e32 v[8:9], v6, v[82:83]
	v_sub_nc_u32_e32 v6, 29, v0
	s_delay_alu instid0(VALU_DEP_2)
	v_and_b32_e32 v0, 7, v8
; %bb.4145:                             ;   in Loop: Header=BB287_2093 Depth=1
	s_or_b32 exec_lo, exec_lo, s25
	s_delay_alu instid0(VALU_DEP_1) | instskip(NEXT) | instid1(VALU_DEP_3)
	v_dual_lshlrev_b32 v7, 8, v82 :: v_dual_lshlrev_b32 v0, 7, v0
	v_lshl_add_u32 v6, v6, 10, 0x2000
	s_delay_alu instid0(VALU_DEP_2) | instskip(NEXT) | instid1(VALU_DEP_2)
	v_and_b32_e32 v7, 0x8000, v7
	v_and_b32_e32 v6, 0xfc00, v6
	s_delay_alu instid0(VALU_DEP_1)
	v_or3_b32 v6, v7, v6, v0
.LBB287_4146:                           ;   in Loop: Header=BB287_2093 Depth=1
	s_or_b32 exec_lo, exec_lo, s24
.LBB287_4147:                           ;   in Loop: Header=BB287_2093 Depth=1
	s_delay_alu instid0(SALU_CYCLE_1)
	s_or_b32 exec_lo, exec_lo, s23
.LBB287_4148:                           ;   in Loop: Header=BB287_2093 Depth=1
	s_delay_alu instid0(SALU_CYCLE_1) | instskip(SKIP_2) | instid1(VALU_DEP_1)
	s_or_b32 exec_lo, exec_lo, s22
	v_lshrrev_b16 v26, 8, v82
	s_mov_b32 s22, exec_lo
	v_cmpx_ne_u16_e32 0, v26
	s_cbranch_execz .LBB287_4156
; %bb.4149:                             ;   in Loop: Header=BB287_2093 Depth=1
	v_bfrev_b32_e32 v1, 1
	s_mov_b32 s23, exec_lo
	v_cmpx_ne_u16_e32 0x80, v26
	s_cbranch_execz .LBB287_4155
; %bb.4150:                             ;   in Loop: Header=BB287_2093 Depth=1
	v_and_b32_e32 v0, 0xffff, v26
	v_mov_b32_e32 v1, 0x7c010000
	s_mov_b32 s24, exec_lo
	s_delay_alu instid0(VALU_DEP_2) | instskip(NEXT) | instid1(VALU_DEP_1)
	v_and_b32_e32 v8, 0x7f, v0
	v_cmpx_ne_u32_e32 0x7f, v8
	s_cbranch_execz .LBB287_4154
; %bb.4151:                             ;   in Loop: Header=BB287_2093 Depth=1
	v_and_b32_e32 v1, 7, v0
	v_lshrrev_b32_e32 v7, 3, v8
	s_mov_b32 s25, exec_lo
	v_cmpx_gt_u32_e32 8, v8
; %bb.4152:                             ;   in Loop: Header=BB287_2093 Depth=1
	s_delay_alu instid0(VALU_DEP_3) | instskip(NEXT) | instid1(VALU_DEP_1)
	v_clz_i32_u32_e32 v1, v1
	v_min_u32_e32 v1, 32, v1
	s_delay_alu instid0(VALU_DEP_1) | instskip(NEXT) | instid1(VALU_DEP_1)
	v_subrev_nc_u32_e32 v7, 28, v1
	v_lshlrev_b64_e32 v[8:9], v7, v[26:27]
	s_delay_alu instid0(VALU_DEP_1)
	v_dual_sub_nc_u32 v7, 29, v1 :: v_dual_bitop2_b32 v1, 7, v8 bitop3:0x40
; %bb.4153:                             ;   in Loop: Header=BB287_2093 Depth=1
	s_or_b32 exec_lo, exec_lo, s25
	s_delay_alu instid0(VALU_DEP_1) | instskip(NEXT) | instid1(VALU_DEP_2)
	v_dual_lshlrev_b32 v0, 8, v0 :: v_dual_lshlrev_b32 v1, 23, v1
	v_lshl_add_u32 v7, v7, 10, 0x2000
	s_delay_alu instid0(VALU_DEP_1) | instskip(NEXT) | instid1(VALU_DEP_1)
	v_and_or_b32 v0, 0x8000, v0, v7
	v_lshl_or_b32 v1, v0, 16, v1
.LBB287_4154:                           ;   in Loop: Header=BB287_2093 Depth=1
	s_or_b32 exec_lo, exec_lo, s24
.LBB287_4155:                           ;   in Loop: Header=BB287_2093 Depth=1
	s_delay_alu instid0(SALU_CYCLE_1)
	s_or_b32 exec_lo, exec_lo, s23
.LBB287_4156:                           ;   in Loop: Header=BB287_2093 Depth=1
	s_delay_alu instid0(SALU_CYCLE_1) | instskip(SKIP_3) | instid1(VALU_DEP_2)
	s_or_b32 exec_lo, exec_lo, s22
	v_dual_mov_b32 v7, 0 :: v_dual_lshrrev_b32 v0, 16, v82
	v_mov_b32_e32 v8, 0
	s_mov_b32 s22, exec_lo
	v_and_b32_e32 v9, 0xff, v0
	s_delay_alu instid0(VALU_DEP_1)
	v_cmpx_ne_u16_e32 0, v9
	s_cbranch_execz .LBB287_4164
; %bb.4157:                             ;   in Loop: Header=BB287_2093 Depth=1
	v_mov_b32_e32 v8, 0x8000
	s_mov_b32 s23, exec_lo
	v_cmpx_ne_u16_e32 0x80, v9
	s_cbranch_execz .LBB287_4163
; %bb.4158:                             ;   in Loop: Header=BB287_2093 Depth=1
	v_bfe_u32 v12, v82, 16, 7
	v_mov_b32_e32 v8, 0x7c01
	s_mov_b32 s24, exec_lo
	s_delay_alu instid0(VALU_DEP_2)
	v_cmpx_ne_u32_e32 0x7f, v12
	s_cbranch_execz .LBB287_4162
; %bb.4159:                             ;   in Loop: Header=BB287_2093 Depth=1
	v_and_b32_e32 v8, 7, v0
	v_lshrrev_b32_e32 v9, 3, v12
	s_mov_b32 s25, exec_lo
	v_cmpx_gt_u32_e32 8, v12
; %bb.4160:                             ;   in Loop: Header=BB287_2093 Depth=1
	s_delay_alu instid0(VALU_DEP_3) | instskip(NEXT) | instid1(VALU_DEP_1)
	v_clz_i32_u32_e32 v8, v8
	v_min_u32_e32 v12, 32, v8
	s_delay_alu instid0(VALU_DEP_1) | instskip(NEXT) | instid1(VALU_DEP_1)
	v_subrev_nc_u32_e32 v8, 28, v12
	v_lshlrev_b64_e32 v[8:9], v8, v[0:1]
	v_sub_nc_u32_e32 v9, 29, v12
	s_delay_alu instid0(VALU_DEP_2)
	v_and_b32_e32 v8, 7, v8
; %bb.4161:                             ;   in Loop: Header=BB287_2093 Depth=1
	s_or_b32 exec_lo, exec_lo, s25
	v_lshlrev_b32_e32 v0, 8, v0
	s_delay_alu instid0(VALU_DEP_3) | instskip(NEXT) | instid1(VALU_DEP_3)
	v_lshl_add_u32 v9, v9, 10, 0x2000
	v_lshlrev_b32_e32 v8, 7, v8
	s_delay_alu instid0(VALU_DEP_3) | instskip(NEXT) | instid1(VALU_DEP_3)
	v_and_b32_e32 v0, 0x8000, v0
	v_and_b32_e32 v9, 0xfc00, v9
	s_delay_alu instid0(VALU_DEP_1)
	v_or3_b32 v8, v0, v9, v8
.LBB287_4162:                           ;   in Loop: Header=BB287_2093 Depth=1
	s_or_b32 exec_lo, exec_lo, s24
.LBB287_4163:                           ;   in Loop: Header=BB287_2093 Depth=1
	s_delay_alu instid0(SALU_CYCLE_1)
	s_or_b32 exec_lo, exec_lo, s23
.LBB287_4164:                           ;   in Loop: Header=BB287_2093 Depth=1
	s_delay_alu instid0(SALU_CYCLE_1) | instskip(NEXT) | instid1(SALU_CYCLE_1)
	s_or_b32 exec_lo, exec_lo, s22
	s_mov_b32 s22, exec_lo
	v_cmpx_lt_u32_e32 0xffffff, v82
	s_cbranch_execz .LBB287_4172
; %bb.4165:                             ;   in Loop: Header=BB287_2093 Depth=1
	v_lshrrev_b32_e32 v26, 24, v82
	v_bfrev_b32_e32 v7, 1
	s_mov_b32 s23, exec_lo
	s_delay_alu instid0(VALU_DEP_2)
	v_cmpx_ne_u32_e32 0x80, v26
	s_cbranch_execz .LBB287_4171
; %bb.4166:                             ;   in Loop: Header=BB287_2093 Depth=1
	v_and_b32_e32 v9, 0x7f, v26
	v_mov_b32_e32 v7, 0x7c010000
	s_mov_b32 s24, exec_lo
	s_delay_alu instid0(VALU_DEP_2)
	v_cmpx_ne_u32_e32 0x7f, v9
	s_cbranch_execz .LBB287_4170
; %bb.4167:                             ;   in Loop: Header=BB287_2093 Depth=1
	v_dual_lshrrev_b32 v7, 3, v9 :: v_dual_bitop2_b32 v0, 7, v26 bitop3:0x40
	s_mov_b32 s25, exec_lo
	v_cmpx_gt_u32_e32 8, v9
; %bb.4168:                             ;   in Loop: Header=BB287_2093 Depth=1
	s_delay_alu instid0(VALU_DEP_2) | instskip(NEXT) | instid1(VALU_DEP_1)
	v_clz_i32_u32_e32 v0, v0
	v_min_u32_e32 v0, 32, v0
	s_delay_alu instid0(VALU_DEP_1) | instskip(NEXT) | instid1(VALU_DEP_1)
	v_subrev_nc_u32_e32 v7, 28, v0
	v_lshlrev_b64_e32 v[16:17], v7, v[26:27]
	v_sub_nc_u32_e32 v7, 29, v0
	s_delay_alu instid0(VALU_DEP_2)
	v_and_b32_e32 v0, 7, v16
; %bb.4169:                             ;   in Loop: Header=BB287_2093 Depth=1
	s_or_b32 exec_lo, exec_lo, s25
	s_delay_alu instid0(VALU_DEP_1) | instskip(NEXT) | instid1(VALU_DEP_3)
	v_dual_lshlrev_b32 v9, 8, v26 :: v_dual_lshlrev_b32 v0, 23, v0
	v_lshl_add_u32 v7, v7, 10, 0x2000
	s_delay_alu instid0(VALU_DEP_1) | instskip(NEXT) | instid1(VALU_DEP_1)
	v_and_or_b32 v7, 0x8000, v9, v7
	v_lshl_or_b32 v7, v7, 16, v0
.LBB287_4170:                           ;   in Loop: Header=BB287_2093 Depth=1
	s_or_b32 exec_lo, exec_lo, s24
.LBB287_4171:                           ;   in Loop: Header=BB287_2093 Depth=1
	s_delay_alu instid0(SALU_CYCLE_1)
	s_or_b32 exec_lo, exec_lo, s23
.LBB287_4172:                           ;   in Loop: Header=BB287_2093 Depth=1
	s_delay_alu instid0(SALU_CYCLE_1) | instskip(SKIP_4) | instid1(VALU_DEP_3)
	s_or_b32 exec_lo, exec_lo, s22
	v_and_b32_e32 v0, 0xff, v83
	v_dual_mov_b32 v26, v83 :: v_dual_mov_b32 v12, 0
	v_mov_b32_e32 v9, 0
	s_mov_b32 s22, exec_lo
	v_cmpx_ne_u16_e32 0, v0
	s_cbranch_execz .LBB287_4180
; %bb.4173:                             ;   in Loop: Header=BB287_2093 Depth=1
	v_mov_b32_e32 v9, 0x8000
	s_mov_b32 s23, exec_lo
	v_cmpx_ne_u16_e32 0x80, v0
	s_cbranch_execz .LBB287_4179
; %bb.4174:                             ;   in Loop: Header=BB287_2093 Depth=1
	v_and_b32_e32 v16, 0x7f, v83
	v_mov_b32_e32 v9, 0x7c01
	s_mov_b32 s24, exec_lo
	s_delay_alu instid0(VALU_DEP_2)
	v_cmpx_ne_u32_e32 0x7f, v16
	s_cbranch_execz .LBB287_4178
; %bb.4175:                             ;   in Loop: Header=BB287_2093 Depth=1
	v_dual_lshrrev_b32 v9, 3, v16 :: v_dual_bitop2_b32 v0, 7, v83 bitop3:0x40
	s_mov_b32 s25, exec_lo
	v_cmpx_gt_u32_e32 8, v16
; %bb.4176:                             ;   in Loop: Header=BB287_2093 Depth=1
	s_delay_alu instid0(VALU_DEP_2) | instskip(NEXT) | instid1(VALU_DEP_1)
	v_clz_i32_u32_e32 v0, v0
	v_min_u32_e32 v0, 32, v0
	s_delay_alu instid0(VALU_DEP_1) | instskip(NEXT) | instid1(VALU_DEP_1)
	v_subrev_nc_u32_e32 v9, 28, v0
	v_lshlrev_b64_e32 v[16:17], v9, v[26:27]
	v_sub_nc_u32_e32 v9, 29, v0
	s_delay_alu instid0(VALU_DEP_2)
	v_and_b32_e32 v0, 7, v16
; %bb.4177:                             ;   in Loop: Header=BB287_2093 Depth=1
	s_or_b32 exec_lo, exec_lo, s25
	s_delay_alu instid0(VALU_DEP_1) | instskip(NEXT) | instid1(VALU_DEP_3)
	v_dual_lshlrev_b32 v16, 8, v83 :: v_dual_lshlrev_b32 v0, 7, v0
	v_lshl_add_u32 v9, v9, 10, 0x2000
	s_delay_alu instid0(VALU_DEP_2) | instskip(NEXT) | instid1(VALU_DEP_2)
	v_and_b32_e32 v16, 0x8000, v16
	v_and_b32_e32 v9, 0xfc00, v9
	s_delay_alu instid0(VALU_DEP_1)
	v_or3_b32 v9, v16, v9, v0
.LBB287_4178:                           ;   in Loop: Header=BB287_2093 Depth=1
	s_or_b32 exec_lo, exec_lo, s24
.LBB287_4179:                           ;   in Loop: Header=BB287_2093 Depth=1
	s_delay_alu instid0(SALU_CYCLE_1)
	s_or_b32 exec_lo, exec_lo, s23
.LBB287_4180:                           ;   in Loop: Header=BB287_2093 Depth=1
	s_delay_alu instid0(SALU_CYCLE_1) | instskip(SKIP_3) | instid1(VALU_DEP_2)
	s_or_b32 exec_lo, exec_lo, s22
	v_lshrrev_b16 v26, 8, v26
	v_mov_b32_e32 v16, 0
	s_mov_b32 s22, exec_lo
	v_cmpx_ne_u16_e32 0, v26
	s_cbranch_execz .LBB287_4188
; %bb.4181:                             ;   in Loop: Header=BB287_2093 Depth=1
	v_bfrev_b32_e32 v16, 1
	s_mov_b32 s23, exec_lo
	v_cmpx_ne_u16_e32 0x80, v26
	s_cbranch_execz .LBB287_4187
; %bb.4182:                             ;   in Loop: Header=BB287_2093 Depth=1
	v_and_b32_e32 v0, 0xffff, v26
	v_mov_b32_e32 v16, 0x7c010000
	s_mov_b32 s24, exec_lo
	s_delay_alu instid0(VALU_DEP_2) | instskip(NEXT) | instid1(VALU_DEP_1)
	v_and_b32_e32 v18, 0x7f, v0
	v_cmpx_ne_u32_e32 0x7f, v18
	s_cbranch_execz .LBB287_4186
; %bb.4183:                             ;   in Loop: Header=BB287_2093 Depth=1
	v_dual_lshrrev_b32 v17, 3, v18 :: v_dual_bitop2_b32 v16, 7, v0 bitop3:0x40
	s_mov_b32 s25, exec_lo
	v_cmpx_gt_u32_e32 8, v18
; %bb.4184:                             ;   in Loop: Header=BB287_2093 Depth=1
	s_delay_alu instid0(VALU_DEP_2) | instskip(NEXT) | instid1(VALU_DEP_1)
	v_clz_i32_u32_e32 v16, v16
	v_min_u32_e32 v18, 32, v16
	s_delay_alu instid0(VALU_DEP_1) | instskip(NEXT) | instid1(VALU_DEP_1)
	v_subrev_nc_u32_e32 v16, 28, v18
	v_lshlrev_b64_e32 v[16:17], v16, v[26:27]
	s_delay_alu instid0(VALU_DEP_1)
	v_dual_sub_nc_u32 v17, 29, v18 :: v_dual_bitop2_b32 v16, 7, v16 bitop3:0x40
; %bb.4185:                             ;   in Loop: Header=BB287_2093 Depth=1
	s_or_b32 exec_lo, exec_lo, s25
	v_lshlrev_b32_e32 v0, 8, v0
	s_delay_alu instid0(VALU_DEP_2) | instskip(NEXT) | instid1(VALU_DEP_3)
	v_lshl_add_u32 v17, v17, 10, 0x2000
	v_lshlrev_b32_e32 v16, 23, v16
	s_delay_alu instid0(VALU_DEP_2) | instskip(NEXT) | instid1(VALU_DEP_1)
	v_and_or_b32 v0, 0x8000, v0, v17
	v_lshl_or_b32 v16, v0, 16, v16
.LBB287_4186:                           ;   in Loop: Header=BB287_2093 Depth=1
	s_or_b32 exec_lo, exec_lo, s24
.LBB287_4187:                           ;   in Loop: Header=BB287_2093 Depth=1
	s_delay_alu instid0(SALU_CYCLE_1)
	s_or_b32 exec_lo, exec_lo, s23
.LBB287_4188:                           ;   in Loop: Header=BB287_2093 Depth=1
	s_delay_alu instid0(SALU_CYCLE_1) | instskip(SKIP_2) | instid1(VALU_DEP_1)
	s_or_b32 exec_lo, exec_lo, s22
	v_lshrrev_b32_e32 v0, 16, v83
	s_mov_b32 s22, exec_lo
	v_and_b32_e32 v17, 0xff, v0
	s_delay_alu instid0(VALU_DEP_1)
	v_cmpx_ne_u16_e32 0, v17
	s_cbranch_execz .LBB287_4196
; %bb.4189:                             ;   in Loop: Header=BB287_2093 Depth=1
	v_mov_b32_e32 v12, 0x8000
	s_mov_b32 s23, exec_lo
	v_cmpx_ne_u16_e32 0x80, v17
	s_cbranch_execz .LBB287_4195
; %bb.4190:                             ;   in Loop: Header=BB287_2093 Depth=1
	v_bfe_u32 v18, v83, 16, 7
	v_mov_b32_e32 v12, 0x7c01
	s_mov_b32 s24, exec_lo
	s_delay_alu instid0(VALU_DEP_2)
	v_cmpx_ne_u32_e32 0x7f, v18
	s_cbranch_execz .LBB287_4194
; %bb.4191:                             ;   in Loop: Header=BB287_2093 Depth=1
	v_dual_lshrrev_b32 v17, 3, v18 :: v_dual_bitop2_b32 v12, 7, v0 bitop3:0x40
	s_mov_b32 s25, exec_lo
	v_cmpx_gt_u32_e32 8, v18
; %bb.4192:                             ;   in Loop: Header=BB287_2093 Depth=1
	s_delay_alu instid0(VALU_DEP_2) | instskip(NEXT) | instid1(VALU_DEP_1)
	v_clz_i32_u32_e32 v12, v12
	v_min_u32_e32 v12, 32, v12
	s_delay_alu instid0(VALU_DEP_1) | instskip(NEXT) | instid1(VALU_DEP_1)
	v_subrev_nc_u32_e32 v17, 28, v12
	v_lshlrev_b64_e32 v[18:19], v17, v[0:1]
	s_delay_alu instid0(VALU_DEP_1)
	v_dual_sub_nc_u32 v17, 29, v12 :: v_dual_bitop2_b32 v12, 7, v18 bitop3:0x40
; %bb.4193:                             ;   in Loop: Header=BB287_2093 Depth=1
	s_or_b32 exec_lo, exec_lo, s25
	v_lshlrev_b32_e32 v0, 8, v0
	s_delay_alu instid0(VALU_DEP_2) | instskip(NEXT) | instid1(VALU_DEP_3)
	v_lshl_add_u32 v17, v17, 10, 0x2000
	v_lshlrev_b32_e32 v12, 7, v12
	s_delay_alu instid0(VALU_DEP_3) | instskip(NEXT) | instid1(VALU_DEP_3)
	v_and_b32_e32 v0, 0x8000, v0
	v_and_b32_e32 v17, 0xfc00, v17
	s_delay_alu instid0(VALU_DEP_1)
	v_or3_b32 v12, v0, v17, v12
.LBB287_4194:                           ;   in Loop: Header=BB287_2093 Depth=1
	s_or_b32 exec_lo, exec_lo, s24
.LBB287_4195:                           ;   in Loop: Header=BB287_2093 Depth=1
	s_delay_alu instid0(SALU_CYCLE_1)
	s_or_b32 exec_lo, exec_lo, s23
.LBB287_4196:                           ;   in Loop: Header=BB287_2093 Depth=1
	s_delay_alu instid0(SALU_CYCLE_1)
	s_or_b32 exec_lo, exec_lo, s22
	v_mov_b32_e32 v0, 0
	s_mov_b32 s22, exec_lo
	v_cmpx_lt_u64_e64 s[14:15], v[82:83]
	s_cbranch_execz .LBB287_4204
; %bb.4197:                             ;   in Loop: Header=BB287_2093 Depth=1
	v_lshrrev_b32_e32 v26, 24, v83
	v_bfrev_b32_e32 v0, 1
	s_mov_b32 s23, exec_lo
	s_delay_alu instid0(VALU_DEP_2)
	v_cmpx_ne_u32_e32 0x80, v26
	s_cbranch_execz .LBB287_4203
; %bb.4198:                             ;   in Loop: Header=BB287_2093 Depth=1
	v_and_b32_e32 v18, 0x7f, v26
	v_mov_b32_e32 v0, 0x7c010000
	s_mov_b32 s24, exec_lo
	s_delay_alu instid0(VALU_DEP_2)
	v_cmpx_ne_u32_e32 0x7f, v18
	s_cbranch_execz .LBB287_4202
; %bb.4199:                             ;   in Loop: Header=BB287_2093 Depth=1
	v_and_b32_e32 v0, 7, v26
	v_lshrrev_b32_e32 v17, 3, v18
	s_mov_b32 s25, exec_lo
	v_cmpx_gt_u32_e32 8, v18
; %bb.4200:                             ;   in Loop: Header=BB287_2093 Depth=1
	s_delay_alu instid0(VALU_DEP_3) | instskip(NEXT) | instid1(VALU_DEP_1)
	v_clz_i32_u32_e32 v0, v0
	v_min_u32_e32 v0, 32, v0
	s_delay_alu instid0(VALU_DEP_1) | instskip(NEXT) | instid1(VALU_DEP_1)
	v_subrev_nc_u32_e32 v17, 28, v0
	v_lshlrev_b64_e32 v[18:19], v17, v[26:27]
	s_delay_alu instid0(VALU_DEP_1)
	v_dual_sub_nc_u32 v17, 29, v0 :: v_dual_bitop2_b32 v0, 7, v18 bitop3:0x40
; %bb.4201:                             ;   in Loop: Header=BB287_2093 Depth=1
	s_or_b32 exec_lo, exec_lo, s25
	s_delay_alu instid0(VALU_DEP_1) | instskip(NEXT) | instid1(VALU_DEP_2)
	v_dual_lshlrev_b32 v18, 8, v26 :: v_dual_lshlrev_b32 v0, 23, v0
	v_lshl_add_u32 v17, v17, 10, 0x2000
	s_delay_alu instid0(VALU_DEP_1) | instskip(NEXT) | instid1(VALU_DEP_1)
	v_and_or_b32 v17, 0x8000, v18, v17
	v_lshl_or_b32 v0, v17, 16, v0
.LBB287_4202:                           ;   in Loop: Header=BB287_2093 Depth=1
	s_or_b32 exec_lo, exec_lo, s24
.LBB287_4203:                           ;   in Loop: Header=BB287_2093 Depth=1
	s_delay_alu instid0(SALU_CYCLE_1)
	s_or_b32 exec_lo, exec_lo, s23
.LBB287_4204:                           ;   in Loop: Header=BB287_2093 Depth=1
	s_delay_alu instid0(SALU_CYCLE_1) | instskip(SKIP_4) | instid1(VALU_DEP_4)
	s_or_b32 exec_lo, exec_lo, s22
	v_dual_lshrrev_b32 v17, 16, v1 :: v_dual_lshrrev_b32 v18, 16, v7
	v_or_b32_e32 v1, v1, v6
	v_or_b32_e32 v8, v7, v8
	;; [unrolled: 1-line block ×3, first 2 shown]
	v_cvt_f32_f16_e32 v7, v17
	v_cvt_f32_f16_e32 v6, v18
	v_lshrrev_b32_e32 v17, 16, v16
	v_dual_lshrrev_b32 v18, 16, v0 :: v_dual_bitop2_b32 v19, v16, v9 bitop3:0x54
	v_cvt_f32_f16_e32 v0, v8
	s_wait_loadcnt_dscnt 0x0
	v_pk_mul_f32 v[6:7], v[80:81], v[6:7] op_sel_hi:[0,1]
	v_cvt_f32_f16_e32 v1, v1
	v_cvt_f32_f16_e32 v9, v17
	;; [unrolled: 1-line block ×5, first 2 shown]
	v_pk_mul_f32 v[0:1], v[80:81], v[0:1] op_sel_hi:[0,1]
	v_cvt_pk_f16_f32 v12, v6, v7
	v_pk_mul_f32 v[6:7], v[80:81], v[8:9] op_sel_hi:[0,1]
	s_delay_alu instid0(VALU_DEP_4) | instskip(NEXT) | instid1(VALU_DEP_4)
	v_pk_mul_f32 v[8:9], v[80:81], v[16:17] op_sel_hi:[0,1]
	v_cvt_pk_f16_f32 v0, v0, v1
	s_delay_alu instid0(VALU_DEP_4) | instskip(NEXT) | instid1(VALU_DEP_4)
	v_and_b32_e32 v81, 0xffff0000, v12
	v_cvt_pk_f16_f32 v1, v6, v7
	s_delay_alu instid0(VALU_DEP_4) | instskip(NEXT) | instid1(VALU_DEP_4)
	v_cvt_pk_f16_f32 v6, v8, v9
	v_and_b32_e32 v86, 0xffff, v0
	v_lshrrev_b32_e32 v85, 16, v0
	v_lshlrev_b32_e32 v82, 16, v12
	v_and_b32_e32 v19, 0xffff0000, v1
	v_dual_lshlrev_b32 v80, 16, v1 :: v_dual_lshrrev_b32 v83, 16, v6
	v_and_b32_e32 v84, 0xffff, v6
	v_or_b32_e32 v9, v81, v85
	v_or_b32_e32 v26, v82, v86
	s_delay_alu instid0(VALU_DEP_4) | instskip(NEXT) | instid1(VALU_DEP_4)
	v_or_b32_e32 v1, v19, v83
	v_or_b32_e32 v0, v80, v84
	s_and_saveexec_b32 s8, s0
	s_cbranch_execz .LBB287_2091
; %bb.4205:                             ;   in Loop: Header=BB287_2093 Depth=1
	v_dual_cndmask_b32 v0, 0, v85, vcc_lo :: v_dual_cndmask_b32 v1, 0, v86, s1
	v_dual_cndmask_b32 v6, 0, v81, s2 :: v_dual_cndmask_b32 v7, 0, v82, s3
	v_dual_cndmask_b32 v8, 0, v83, s4 :: v_dual_cndmask_b32 v12, 0, v84, s5
	;; [unrolled: 1-line block ×3, first 2 shown]
	s_delay_alu instid0(VALU_DEP_3) | instskip(NEXT) | instid1(VALU_DEP_4)
	v_or_b32_e32 v9, v0, v6
	v_or_b32_e32 v26, v1, v7
	s_delay_alu instid0(VALU_DEP_3) | instskip(NEXT) | instid1(VALU_DEP_4)
	v_or_b32_e32 v1, v8, v16
	v_or_b32_e32 v0, v12, v17
	s_branch .LBB287_2091
.LBB287_4206:
	s_or_b32 exec_lo, exec_lo, s20
.LBB287_4207:
	s_delay_alu instid0(SALU_CYCLE_1)
	s_or_b32 exec_lo, exec_lo, s11
	ds_bpermute_b32 v22, v102, v50
	ds_bpermute_b32 v23, v102, v51
	ds_bpermute_b32 v0, v102, v68
	ds_bpermute_b32 v1, v102, v69
	ds_bpermute_b32 v12, v102, v2
	ds_bpermute_b32 v13, v102, v3
	s_wait_storecnt_dscnt 0x0
	s_barrier_signal -1
	s_barrier_wait -1
	ds_bpermute_b32 v6, v102, v66
	ds_bpermute_b32 v7, v102, v67
	;; [unrolled: 1-line block ×11, first 2 shown]
	v_pk_add_f32 v[50:51], v[50:51], v[22:23]
	ds_bpermute_b32 v22, v102, v34
	ds_bpermute_b32 v23, v102, v35
	v_pk_add_f32 v[0:1], v[68:69], v[0:1]
	v_pk_add_f32 v[2:3], v[2:3], v[12:13]
	ds_bpermute_b32 v68, v102, v32
	ds_bpermute_b32 v69, v102, v33
	;; [unrolled: 1-line block ×5, first 2 shown]
	s_wait_dscnt 0x10
	v_pk_add_f32 v[6:7], v[66:67], v[6:7]
	ds_bpermute_b32 v66, v102, v36
	ds_bpermute_b32 v67, v102, v37
	;; [unrolled: 1-line block ×4, first 2 shown]
	s_wait_dscnt 0x12
	v_pk_add_f32 v[48:49], v[48:49], v[26:27]
	s_wait_dscnt 0x10
	v_pk_add_f32 v[38:39], v[38:39], v[28:29]
	ds_bpermute_b32 v26, v102, v24
	ds_bpermute_b32 v27, v102, v25
	;; [unrolled: 1-line block ×5, first 2 shown]
	s_wait_dscnt 0xe
	v_pk_add_f32 v[34:35], v[34:35], v[22:23]
	ds_bpermute_b32 v83, v102, v5
	v_pk_add_f32 v[8:9], v[64:65], v[8:9]
	v_pk_add_f32 v[10:11], v[54:55], v[10:11]
	s_wait_dscnt 0xd
	v_pk_add_f32 v[68:69], v[32:33], v[68:69]
	ds_bpermute_b32 v96, v99, v34
	ds_bpermute_b32 v97, v99, v35
	s_wait_dscnt 0xc
	v_pk_add_f32 v[32:33], v[0:1], v[12:13]
	v_pk_add_f32 v[18:19], v[52:53], v[18:19]
	ds_bpermute_b32 v14, v99, v6
	s_wait_dscnt 0xb
	v_pk_add_f32 v[36:37], v[36:37], v[66:67]
	ds_bpermute_b32 v15, v99, v7
	s_wait_dscnt 0xa
	v_pk_add_f32 v[80:81], v[30:31], v[80:81]
	ds_bpermute_b32 v16, v99, v8
	ds_bpermute_b32 v17, v99, v9
	;; [unrolled: 1-line block ×3, first 2 shown]
	s_wait_dscnt 0xb
	v_pk_add_f32 v[102:103], v[24:25], v[26:27]
	ds_bpermute_b32 v53, v99, v11
	s_wait_dscnt 0xa
	v_pk_add_f32 v[114:115], v[20:21], v[28:29]
	ds_bpermute_b32 v54, v99, v2
	ds_bpermute_b32 v55, v99, v3
	s_wait_dscnt 0xa
	v_pk_add_f32 v[82:83], v[4:5], v[82:83]
	scratch_load_b32 v0, off, s32 offset:924 ; 4-byte Folded Reload
	ds_bpermute_b32 v64, v99, v18
	ds_bpermute_b32 v65, v99, v19
	;; [unrolled: 1-line block ×3, first 2 shown]
	s_wait_dscnt 0xb
	v_pk_add_f32 v[12:13], v[34:35], v[96:97]
	scratch_load_b32 v35, off, s32 offset:892 th:TH_LOAD_LU ; 4-byte Folded Reload
	ds_bpermute_b32 v71, v99, v51
	ds_bpermute_b32 v84, v99, v48
	;; [unrolled: 1-line block ×17, first 2 shown]
	s_load_b32 s0, s[12:13], 0x0
	s_wait_dscnt 0x1a
	v_pk_add_f32 v[30:31], v[6:7], v[14:15]
	s_wait_dscnt 0x18
	v_pk_add_f32 v[28:29], v[8:9], v[16:17]
	;; [unrolled: 2-line block ×9, first 2 shown]
	s_mov_b32 s1, exec_lo
	s_wait_dscnt 0x8
	v_pk_add_f32 v[10:11], v[68:69], v[100:101]
	s_wait_dscnt 0x6
	v_pk_add_f32 v[8:9], v[80:81], v[112:113]
	;; [unrolled: 2-line block ×5, first 2 shown]
	s_wait_loadcnt 0x1
	v_and_b32_e32 v34, 0x3c3, v0
	s_wait_loadcnt 0x0
	v_dual_lshrrev_b32 v0, 2, v35 :: v_dual_bitop2_b32 v1, 28, v35 bitop3:0x40
	scratch_load_b32 v35, off, s32 offset:928 th:TH_LOAD_LU ; 4-byte Folded Reload
	s_wait_loadcnt 0x0
	s_wait_kmcnt 0x0
	v_dual_add_nc_u32 v1, s0, v1 :: v_dual_lshlrev_b32 v35, 10, v35
	v_cmpx_eq_u32_e32 64, v34
	s_cbranch_execz .LBB287_4209
; %bb.4208:
	s_delay_alu instid0(VALU_DEP_2) | instskip(NEXT) | instid1(VALU_DEP_1)
	v_add_nc_u32_e32 v36, v1, v35
	v_add_nc_u32_e32 v37, 0xfffff800, v36
	;; [unrolled: 1-line block ×9, first 2 shown]
	ds_store_b32 v37, v32
	ds_store_b32 v38, v33
	ds_store_b32 v39, v30
	ds_store_b32 v48, v31
	ds_store_b32 v49, v28
	ds_store_b32 v50, v29
	ds_store_b32 v51, v26
	ds_store_b32 v52, v27
	v_add_nc_u32_e32 v37, 0xfffff900, v36
	v_add_nc_u32_e32 v38, 0xfffff920, v36
	v_add_nc_u32_e32 v39, 0xfffff940, v36
	v_add_nc_u32_e32 v48, 0xfffff960, v36
	v_add_nc_u32_e32 v49, 0xfffff980, v36
	v_add_nc_u32_e32 v50, 0xfffff9a0, v36
	v_add_nc_u32_e32 v51, 0xfffff9c0, v36
	v_add_nc_u32_e32 v52, 0xfffff9e0, v36
	ds_store_b32 v37, v24
	ds_store_b32 v38, v25
	ds_store_b32 v39, v22
	ds_store_b32 v48, v23
	ds_store_b32 v49, v20
	ds_store_b32 v50, v21
	ds_store_b32 v51, v18
	ds_store_b32 v52, v19
	v_add_nc_u32_e32 v37, 0xfffffa00, v36
	v_add_nc_u32_e32 v38, 0xfffffa20, v36
	v_add_nc_u32_e32 v39, 0xfffffa40, v36
	v_add_nc_u32_e32 v48, 0xfffffa60, v36
	v_add_nc_u32_e32 v49, 0xfffffa80, v36
	v_add_nc_u32_e32 v50, 0xfffffaa0, v36
	v_add_nc_u32_e32 v51, 0xfffffac0, v36
	v_add_nc_u32_e32 v52, 0xfffffae0, v36
	;; [unrolled: 16-line block ×3, first 2 shown]
	ds_store_b32 v37, v8
	ds_store_b32 v38, v9
	;; [unrolled: 1-line block ×8, first 2 shown]
.LBB287_4209:
	s_or_b32 exec_lo, exec_lo, s1
	v_lshlrev_b32_e32 v0, 2, v0
	s_wait_dscnt 0x0
	s_barrier_signal -1
	s_barrier_wait -1
	s_delay_alu instid0(VALU_DEP_1)
	v_add3_u32 v0, s0, v35, v0
	s_mov_b32 s0, exec_lo
	v_cmpx_eq_u32_e32 0, v34
	s_cbranch_execz .LBB287_4211
; %bb.4210:
	ds_load_2addr_b32 v[34:35], v0 offset1:8
	ds_load_2addr_b32 v[36:37], v0 offset0:16 offset1:24
	ds_load_2addr_b32 v[38:39], v0 offset0:32 offset1:40
	;; [unrolled: 1-line block ×15, first 2 shown]
	s_wait_dscnt 0xf
	v_pk_add_f32 v[32:33], v[34:35], v[32:33]
	s_wait_dscnt 0xe
	v_pk_add_f32 v[30:31], v[36:37], v[30:31]
	;; [unrolled: 2-line block ×16, first 2 shown]
.LBB287_4211:
	s_or_b32 exec_lo, exec_lo, s0
	scratch_load_b32 v34, off, s32 offset:924 ; 4-byte Folded Reload
	s_mov_b32 s0, exec_lo
	s_wait_loadcnt 0x0
	s_barrier_signal -1
	s_barrier_wait -1
	v_and_b32_e32 v34, 0x3e3, v34
	s_wait_xcnt 0x0
	s_delay_alu instid0(VALU_DEP_1)
	v_cmpx_eq_u32_e32 32, v34
	s_cbranch_execz .LBB287_4213
; %bb.4212:
	ds_store_2addr_b32 v1, v32, v33 offset1:8
	ds_store_2addr_b32 v1, v30, v31 offset0:16 offset1:24
	ds_store_2addr_b32 v1, v28, v29 offset0:32 offset1:40
	;; [unrolled: 1-line block ×15, first 2 shown]
.LBB287_4213:
	s_or_b32 exec_lo, exec_lo, s0
	v_cmp_eq_u32_e32 vcc_lo, 0, v34
	s_wait_dscnt 0x0
	s_barrier_signal -1
	s_barrier_wait -1
	s_and_saveexec_b32 s0, vcc_lo
	s_cbranch_execz .LBB287_4215
; %bb.4214:
	ds_load_2addr_b32 v[34:35], v0 offset1:8
	ds_load_2addr_b32 v[36:37], v0 offset0:16 offset1:24
	ds_load_2addr_b32 v[38:39], v0 offset0:32 offset1:40
	;; [unrolled: 1-line block ×15, first 2 shown]
	s_wait_dscnt 0xf
	v_pk_add_f32 v[32:33], v[34:35], v[32:33]
	s_wait_dscnt 0xe
	v_pk_add_f32 v[30:31], v[36:37], v[30:31]
	s_wait_dscnt 0xd
	v_pk_add_f32 v[28:29], v[38:39], v[28:29]
	s_wait_dscnt 0xc
	v_pk_add_f32 v[26:27], v[48:49], v[26:27]
	s_wait_dscnt 0xb
	v_pk_add_f32 v[24:25], v[50:51], v[24:25]
	s_wait_dscnt 0xa
	v_pk_add_f32 v[22:23], v[52:53], v[22:23]
	s_wait_dscnt 0x9
	v_pk_add_f32 v[20:21], v[54:55], v[20:21]
	s_wait_dscnt 0x8
	v_pk_add_f32 v[18:19], v[64:65], v[18:19]
	s_wait_dscnt 0x7
	v_pk_add_f32 v[16:17], v[66:67], v[16:17]
	s_wait_dscnt 0x6
	v_pk_add_f32 v[14:15], v[68:69], v[14:15]
	s_wait_dscnt 0x5
	v_pk_add_f32 v[12:13], v[70:71], v[12:13]
	s_wait_dscnt 0x4
	v_pk_add_f32 v[10:11], v[80:81], v[10:11]
	s_wait_dscnt 0x3
	v_pk_add_f32 v[8:9], v[82:83], v[8:9]
	s_wait_dscnt 0x2
	v_pk_add_f32 v[6:7], v[84:85], v[6:7]
	s_wait_dscnt 0x1
	v_pk_add_f32 v[4:5], v[86:87], v[4:5]
	s_wait_dscnt 0x0
	v_pk_add_f32 v[2:3], v[0:1], v[2:3]
.LBB287_4215:
	s_or_b32 exec_lo, exec_lo, s0
	s_barrier_signal -1
	s_barrier_wait -1
	s_and_saveexec_b32 s0, vcc_lo
	s_cbranch_execz .LBB287_4217
; %bb.4216:
	s_clause 0x1
	scratch_load_b64 v[0:1], off, s32 offset:968 th:TH_LOAD_LU
	scratch_load_b32 v34, off, s32 offset:924 th:TH_LOAD_LU
	s_and_b32 s1, 0xffff, s19
	;;#ASMSTART
	v_cvt_f16_f32 v32, v32;

	;;#ASMEND
	s_cmp_lg_u32 s1, 0
	v_mov_b32_e32 v35, 0
	s_cselect_b32 s1, -1, 0
	s_delay_alu instid0(SALU_CYCLE_1)
	s_cmp_lg_u32 s1, 0
	s_add_co_ci_u32 s1, s9, 0
	s_bfe_u32 s5, ttmp6, 0x40014
	s_mul_i32 s2, s17, s1
	s_lshr_b32 s6, ttmp7, 16
	s_mul_i32 s2, s2, s18
	s_add_co_i32 s5, s5, 1
	s_lshl_b32 s2, s2, 8
	s_bfe_u32 s7, ttmp6, 0x40008
	s_ashr_i32 s3, s2, 31
	s_mul_i32 s4, s10, s1
	s_mul_i32 s1, s6, s5
	s_ashr_i32 s5, s4, 31
	s_add_co_i32 s7, s7, s1
	s_cmp_eq_u32 s16, 0
	s_cselect_b32 s1, s6, s7
	s_wait_loadcnt 0x1
	v_lshl_add_u64 v[0:1], s[2:3], 1, v[0:1]
	s_mov_b32 s3, 0
	s_lshl_b32 s2, s1, 9
	s_wait_loadcnt 0x0
	v_lshrrev_b32_e32 v34, 1, v34
	v_lshl_add_u64 v[0:1], s[4:5], 1, v[0:1]
	s_delay_alu instid0(VALU_DEP_1) | instskip(NEXT) | instid1(VALU_DEP_1)
	v_add_nc_u64_e32 v[0:1], s[2:3], v[0:1]
	v_add_nc_u64_e32 v[0:1], v[0:1], v[34:35]
	flat_store_b16 v[0:1], v32
	s_wait_xcnt 0x0
	;;#ASMSTART
	v_cvt_f16_f32 v32, v33;

	;;#ASMEND
	flat_store_b16 v[0:1], v32 offset:16
	;;#ASMSTART
	v_cvt_f16_f32 v30, v30;

	;;#ASMEND
	flat_store_b16 v[0:1], v30 offset:32
	s_wait_xcnt 0x0
	;;#ASMSTART
	v_cvt_f16_f32 v30, v31;

	;;#ASMEND
	flat_store_b16 v[0:1], v30 offset:48
	;;#ASMSTART
	v_cvt_f16_f32 v28, v28;

	;;#ASMEND
	flat_store_b16 v[0:1], v28 offset:64
	;; [unrolled: 11-line block ×15, first 2 shown]
	s_wait_xcnt 0x0
	;;#ASMSTART
	v_cvt_f16_f32 v2, v3;

	;;#ASMEND
	flat_store_b16 v[0:1], v2 offset:496
.LBB287_4217:
	s_wait_xcnt 0x0
	s_or_b32 exec_lo, exec_lo, s0
	s_clause 0x2f
	scratch_load_b32 v127, off, s32
	scratch_load_b32 v126, off, s32 offset:4
	scratch_load_b32 v125, off, s32 offset:8
	;; [unrolled: 1-line block ×47, first 2 shown]
	s_wait_loadcnt_dscnt 0x0
	s_set_pc_i64 s[30:31]
.Lfunc_end287:
	.size	_ZN4vllm22paged_attention_kernelIthLi256ELi32ELi128ELNS_18Fp8KVCacheDataTypeE1ELb1ELi0EEEvPfS2_PT_PKS3_PKT0_S9_ifPKiSB_iPKfiiiSD_SD_iiiii, .Lfunc_end287-_ZN4vllm22paged_attention_kernelIthLi256ELi32ELi128ELNS_18Fp8KVCacheDataTypeE1ELb1ELi0EEEvPfS2_PT_PKS3_PKT0_S9_ifPKiSB_iPKfiiiSD_SD_iiiii
                                        ; -- End function
	.set .L_ZN4vllm22paged_attention_kernelIthLi256ELi32ELi128ELNS_18Fp8KVCacheDataTypeE1ELb1ELi0EEEvPfS2_PT_PKS3_PKT0_S9_ifPKiSB_iPKfiiiSD_SD_iiiii.num_vgpr, 128
	.set .L_ZN4vllm22paged_attention_kernelIthLi256ELi32ELi128ELNS_18Fp8KVCacheDataTypeE1ELb1ELi0EEEvPfS2_PT_PKS3_PKT0_S9_ifPKiSB_iPKfiiiSD_SD_iiiii.num_agpr, 0
	.set .L_ZN4vllm22paged_attention_kernelIthLi256ELi32ELi128ELNS_18Fp8KVCacheDataTypeE1ELb1ELi0EEEvPfS2_PT_PKS3_PKT0_S9_ifPKiSB_iPKfiiiSD_SD_iiiii.numbered_sgpr, 33
	.set .L_ZN4vllm22paged_attention_kernelIthLi256ELi32ELi128ELNS_18Fp8KVCacheDataTypeE1ELb1ELi0EEEvPfS2_PT_PKS3_PKT0_S9_ifPKiSB_iPKfiiiSD_SD_iiiii.num_named_barrier, 0
	.set .L_ZN4vllm22paged_attention_kernelIthLi256ELi32ELi128ELNS_18Fp8KVCacheDataTypeE1ELb1ELi0EEEvPfS2_PT_PKS3_PKT0_S9_ifPKiSB_iPKfiiiSD_SD_iiiii.private_seg_size, 1000
	.set .L_ZN4vllm22paged_attention_kernelIthLi256ELi32ELi128ELNS_18Fp8KVCacheDataTypeE1ELb1ELi0EEEvPfS2_PT_PKS3_PKT0_S9_ifPKiSB_iPKfiiiSD_SD_iiiii.uses_vcc, 1
	.set .L_ZN4vllm22paged_attention_kernelIthLi256ELi32ELi128ELNS_18Fp8KVCacheDataTypeE1ELb1ELi0EEEvPfS2_PT_PKS3_PKT0_S9_ifPKiSB_iPKfiiiSD_SD_iiiii.uses_flat_scratch, 1
	.set .L_ZN4vllm22paged_attention_kernelIthLi256ELi32ELi128ELNS_18Fp8KVCacheDataTypeE1ELb1ELi0EEEvPfS2_PT_PKS3_PKT0_S9_ifPKiSB_iPKfiiiSD_SD_iiiii.has_dyn_sized_stack, 0
	.set .L_ZN4vllm22paged_attention_kernelIthLi256ELi32ELi128ELNS_18Fp8KVCacheDataTypeE1ELb1ELi0EEEvPfS2_PT_PKS3_PKT0_S9_ifPKiSB_iPKfiiiSD_SD_iiiii.has_recursion, 0
	.set .L_ZN4vllm22paged_attention_kernelIthLi256ELi32ELi128ELNS_18Fp8KVCacheDataTypeE1ELb1ELi0EEEvPfS2_PT_PKS3_PKT0_S9_ifPKiSB_iPKfiiiSD_SD_iiiii.has_indirect_call, 0
	.section	.AMDGPU.csdata,"",@progbits
; Function info:
; codeLenInByte = 171448
; TotalNumSgprs: 35
; NumVgprs: 128
; ScratchSize: 1000
; MemoryBound: 0
	.section	.text._ZN4vllm25paged_attention_v1_kernelIthLi256ELi32ELi128ELNS_18Fp8KVCacheDataTypeE1ELb1EEEvPT_PKS2_PKT0_S8_ifPKiSA_iPKfiiiSC_SC_iiiii,"axG",@progbits,_ZN4vllm25paged_attention_v1_kernelIthLi256ELi32ELi128ELNS_18Fp8KVCacheDataTypeE1ELb1EEEvPT_PKS2_PKT0_S8_ifPKiSA_iPKfiiiSC_SC_iiiii,comdat
	.protected	_ZN4vllm25paged_attention_v1_kernelIthLi256ELi32ELi128ELNS_18Fp8KVCacheDataTypeE1ELb1EEEvPT_PKS2_PKT0_S8_ifPKiSA_iPKfiiiSC_SC_iiiii ; -- Begin function _ZN4vllm25paged_attention_v1_kernelIthLi256ELi32ELi128ELNS_18Fp8KVCacheDataTypeE1ELb1EEEvPT_PKS2_PKT0_S8_ifPKiSA_iPKfiiiSC_SC_iiiii
	.globl	_ZN4vllm25paged_attention_v1_kernelIthLi256ELi32ELi128ELNS_18Fp8KVCacheDataTypeE1ELb1EEEvPT_PKS2_PKT0_S8_ifPKiSA_iPKfiiiSC_SC_iiiii
	.p2align	8
	.type	_ZN4vllm25paged_attention_v1_kernelIthLi256ELi32ELi128ELNS_18Fp8KVCacheDataTypeE1ELb1EEEvPT_PKS2_PKT0_S8_ifPKiSA_iPKfiiiSC_SC_iiiii,@function
_ZN4vllm25paged_attention_v1_kernelIthLi256ELi32ELi128ELNS_18Fp8KVCacheDataTypeE1ELb1EEEvPT_PKS2_PKT0_S8_ifPKiSA_iPKfiiiSC_SC_iiiii: ; @_ZN4vllm25paged_attention_v1_kernelIthLi256ELi32ELi128ELNS_18Fp8KVCacheDataTypeE1ELb1EEEvPT_PKS2_PKT0_S8_ifPKiSA_iPKfiiiSC_SC_iiiii
; %bb.0:
	s_clause 0x6
	s_load_b256 s[12:19], s[0:1], 0x0
	s_load_b128 s[4:7], s[0:1], 0x20
	s_load_b96 s[28:30], s[0:1], 0x30
	s_load_b64 s[10:11], s[0:1], 0x40
	s_load_b96 s[36:38], s[0:1], 0x48
	s_load_b256 s[20:27], s[0:1], 0x58
	s_load_b32 s31, s[0:1], 0x78
	v_mov_b32_e32 v31, v0
	s_get_pc_i64 s[2:3]
	s_add_nc_u64 s[2:3], s[2:3], _ZN4vllm22paged_attention_kernelIthLi256ELi32ELi128ELNS_18Fp8KVCacheDataTypeE1ELb1ELi0EEEvPfS2_PT_PKS3_PKT0_S9_ifPKiSB_iPKfiiiSD_SD_iiiii@rel64+4
	s_add_nc_u64 s[8:9], s[0:1], 0x80
	s_mov_b32 s32, 0
	s_wait_kmcnt 0x0
	v_dual_mov_b32 v15, s10 :: v_dual_mov_b32 v16, s11
	v_dual_mov_b32 v0, s12 :: v_dual_mov_b32 v1, s13
	v_dual_mov_b32 v2, s14 :: v_dual_mov_b32 v3, s15
	v_dual_mov_b32 v4, s16 :: v_dual_mov_b32 v5, s17
	v_dual_mov_b32 v6, s18 :: v_dual_mov_b32 v7, s19
	v_dual_mov_b32 v8, s4 :: v_dual_mov_b32 v9, s5
	v_dual_mov_b32 v10, s6 :: v_dual_mov_b32 v11, s7
	v_dual_mov_b32 v12, s28 :: v_dual_mov_b32 v13, s29
	v_dual_mov_b32 v14, s30 :: v_dual_mov_b32 v17, s36
	v_dual_mov_b32 v18, s37 :: v_dual_mov_b32 v19, s38
	v_dual_mov_b32 v20, s20 :: v_dual_mov_b32 v21, s21
	v_dual_mov_b32 v22, s22 :: v_dual_mov_b32 v23, s23
	v_dual_mov_b32 v24, s24 :: v_dual_mov_b32 v25, s25
	v_dual_mov_b32 v26, s26 :: v_dual_mov_b32 v27, s27
	v_mov_b32_e32 v28, s31
	s_mov_b32 s15, 47
	s_swap_pc_i64 s[30:31], s[2:3]
	s_endpgm
	.section	.rodata,"a",@progbits
	.p2align	6, 0x0
	.amdhsa_kernel _ZN4vllm25paged_attention_v1_kernelIthLi256ELi32ELi128ELNS_18Fp8KVCacheDataTypeE1ELb1EEEvPT_PKS2_PKT0_S8_ifPKiSA_iPKfiiiSC_SC_iiiii
		.amdhsa_group_segment_fixed_size 544
		.amdhsa_private_segment_fixed_size 1000
		.amdhsa_kernarg_size 384
		.amdhsa_user_sgpr_count 2
		.amdhsa_user_sgpr_dispatch_ptr 0
		.amdhsa_user_sgpr_queue_ptr 0
		.amdhsa_user_sgpr_kernarg_segment_ptr 1
		.amdhsa_user_sgpr_dispatch_id 0
		.amdhsa_user_sgpr_kernarg_preload_length 0
		.amdhsa_user_sgpr_kernarg_preload_offset 0
		.amdhsa_user_sgpr_private_segment_size 0
		.amdhsa_wavefront_size32 1
		.amdhsa_uses_dynamic_stack 0
		.amdhsa_enable_private_segment 1
		.amdhsa_system_sgpr_workgroup_id_x 1
		.amdhsa_system_sgpr_workgroup_id_y 1
		.amdhsa_system_sgpr_workgroup_id_z 1
		.amdhsa_system_sgpr_workgroup_info 0
		.amdhsa_system_vgpr_workitem_id 0
		.amdhsa_next_free_vgpr 128
		.amdhsa_next_free_sgpr 39
		.amdhsa_named_barrier_count 0
		.amdhsa_reserve_vcc 1
		.amdhsa_float_round_mode_32 0
		.amdhsa_float_round_mode_16_64 0
		.amdhsa_float_denorm_mode_32 3
		.amdhsa_float_denorm_mode_16_64 3
		.amdhsa_fp16_overflow 0
		.amdhsa_memory_ordered 1
		.amdhsa_forward_progress 1
		.amdhsa_inst_pref_size 2
		.amdhsa_round_robin_scheduling 0
		.amdhsa_exception_fp_ieee_invalid_op 0
		.amdhsa_exception_fp_denorm_src 0
		.amdhsa_exception_fp_ieee_div_zero 0
		.amdhsa_exception_fp_ieee_overflow 0
		.amdhsa_exception_fp_ieee_underflow 0
		.amdhsa_exception_fp_ieee_inexact 0
		.amdhsa_exception_int_div_zero 0
	.end_amdhsa_kernel
	.section	.text._ZN4vllm25paged_attention_v1_kernelIthLi256ELi32ELi128ELNS_18Fp8KVCacheDataTypeE1ELb1EEEvPT_PKS2_PKT0_S8_ifPKiSA_iPKfiiiSC_SC_iiiii,"axG",@progbits,_ZN4vllm25paged_attention_v1_kernelIthLi256ELi32ELi128ELNS_18Fp8KVCacheDataTypeE1ELb1EEEvPT_PKS2_PKT0_S8_ifPKiSA_iPKfiiiSC_SC_iiiii,comdat
.Lfunc_end288:
	.size	_ZN4vllm25paged_attention_v1_kernelIthLi256ELi32ELi128ELNS_18Fp8KVCacheDataTypeE1ELb1EEEvPT_PKS2_PKT0_S8_ifPKiSA_iPKfiiiSC_SC_iiiii, .Lfunc_end288-_ZN4vllm25paged_attention_v1_kernelIthLi256ELi32ELi128ELNS_18Fp8KVCacheDataTypeE1ELb1EEEvPT_PKS2_PKT0_S8_ifPKiSA_iPKfiiiSC_SC_iiiii
                                        ; -- End function
	.set _ZN4vllm25paged_attention_v1_kernelIthLi256ELi32ELi128ELNS_18Fp8KVCacheDataTypeE1ELb1EEEvPT_PKS2_PKT0_S8_ifPKiSA_iPKfiiiSC_SC_iiiii.num_vgpr, max(32, .L_ZN4vllm22paged_attention_kernelIthLi256ELi32ELi128ELNS_18Fp8KVCacheDataTypeE1ELb1ELi0EEEvPfS2_PT_PKS3_PKT0_S9_ifPKiSB_iPKfiiiSD_SD_iiiii.num_vgpr)
	.set _ZN4vllm25paged_attention_v1_kernelIthLi256ELi32ELi128ELNS_18Fp8KVCacheDataTypeE1ELb1EEEvPT_PKS2_PKT0_S8_ifPKiSA_iPKfiiiSC_SC_iiiii.num_agpr, max(0, .L_ZN4vllm22paged_attention_kernelIthLi256ELi32ELi128ELNS_18Fp8KVCacheDataTypeE1ELb1ELi0EEEvPfS2_PT_PKS3_PKT0_S9_ifPKiSB_iPKfiiiSD_SD_iiiii.num_agpr)
	.set _ZN4vllm25paged_attention_v1_kernelIthLi256ELi32ELi128ELNS_18Fp8KVCacheDataTypeE1ELb1EEEvPT_PKS2_PKT0_S8_ifPKiSA_iPKfiiiSC_SC_iiiii.numbered_sgpr, max(39, .L_ZN4vllm22paged_attention_kernelIthLi256ELi32ELi128ELNS_18Fp8KVCacheDataTypeE1ELb1ELi0EEEvPfS2_PT_PKS3_PKT0_S9_ifPKiSB_iPKfiiiSD_SD_iiiii.numbered_sgpr)
	.set _ZN4vllm25paged_attention_v1_kernelIthLi256ELi32ELi128ELNS_18Fp8KVCacheDataTypeE1ELb1EEEvPT_PKS2_PKT0_S8_ifPKiSA_iPKfiiiSC_SC_iiiii.num_named_barrier, max(0, .L_ZN4vllm22paged_attention_kernelIthLi256ELi32ELi128ELNS_18Fp8KVCacheDataTypeE1ELb1ELi0EEEvPfS2_PT_PKS3_PKT0_S9_ifPKiSB_iPKfiiiSD_SD_iiiii.num_named_barrier)
	.set _ZN4vllm25paged_attention_v1_kernelIthLi256ELi32ELi128ELNS_18Fp8KVCacheDataTypeE1ELb1EEEvPT_PKS2_PKT0_S8_ifPKiSA_iPKfiiiSC_SC_iiiii.private_seg_size, 0+max(.L_ZN4vllm22paged_attention_kernelIthLi256ELi32ELi128ELNS_18Fp8KVCacheDataTypeE1ELb1ELi0EEEvPfS2_PT_PKS3_PKT0_S9_ifPKiSB_iPKfiiiSD_SD_iiiii.private_seg_size)
	.set _ZN4vllm25paged_attention_v1_kernelIthLi256ELi32ELi128ELNS_18Fp8KVCacheDataTypeE1ELb1EEEvPT_PKS2_PKT0_S8_ifPKiSA_iPKfiiiSC_SC_iiiii.uses_vcc, or(1, .L_ZN4vllm22paged_attention_kernelIthLi256ELi32ELi128ELNS_18Fp8KVCacheDataTypeE1ELb1ELi0EEEvPfS2_PT_PKS3_PKT0_S9_ifPKiSB_iPKfiiiSD_SD_iiiii.uses_vcc)
	.set _ZN4vllm25paged_attention_v1_kernelIthLi256ELi32ELi128ELNS_18Fp8KVCacheDataTypeE1ELb1EEEvPT_PKS2_PKT0_S8_ifPKiSA_iPKfiiiSC_SC_iiiii.uses_flat_scratch, or(0, .L_ZN4vllm22paged_attention_kernelIthLi256ELi32ELi128ELNS_18Fp8KVCacheDataTypeE1ELb1ELi0EEEvPfS2_PT_PKS3_PKT0_S9_ifPKiSB_iPKfiiiSD_SD_iiiii.uses_flat_scratch)
	.set _ZN4vllm25paged_attention_v1_kernelIthLi256ELi32ELi128ELNS_18Fp8KVCacheDataTypeE1ELb1EEEvPT_PKS2_PKT0_S8_ifPKiSA_iPKfiiiSC_SC_iiiii.has_dyn_sized_stack, or(0, .L_ZN4vllm22paged_attention_kernelIthLi256ELi32ELi128ELNS_18Fp8KVCacheDataTypeE1ELb1ELi0EEEvPfS2_PT_PKS3_PKT0_S9_ifPKiSB_iPKfiiiSD_SD_iiiii.has_dyn_sized_stack)
	.set _ZN4vllm25paged_attention_v1_kernelIthLi256ELi32ELi128ELNS_18Fp8KVCacheDataTypeE1ELb1EEEvPT_PKS2_PKT0_S8_ifPKiSA_iPKfiiiSC_SC_iiiii.has_recursion, or(0, .L_ZN4vllm22paged_attention_kernelIthLi256ELi32ELi128ELNS_18Fp8KVCacheDataTypeE1ELb1ELi0EEEvPfS2_PT_PKS3_PKT0_S9_ifPKiSB_iPKfiiiSD_SD_iiiii.has_recursion)
	.set _ZN4vllm25paged_attention_v1_kernelIthLi256ELi32ELi128ELNS_18Fp8KVCacheDataTypeE1ELb1EEEvPT_PKS2_PKT0_S8_ifPKiSA_iPKfiiiSC_SC_iiiii.has_indirect_call, or(0, .L_ZN4vllm22paged_attention_kernelIthLi256ELi32ELi128ELNS_18Fp8KVCacheDataTypeE1ELb1ELi0EEEvPfS2_PT_PKS3_PKT0_S9_ifPKiSB_iPKfiiiSD_SD_iiiii.has_indirect_call)
	.section	.AMDGPU.csdata,"",@progbits
; Kernel info:
; codeLenInByte = 224
; TotalNumSgprs: 41
; NumVgprs: 128
; ScratchSize: 1000
; MemoryBound: 0
; FloatMode: 240
; IeeeMode: 1
; LDSByteSize: 544 bytes/workgroup (compile time only)
; SGPRBlocks: 0
; VGPRBlocks: 7
; NumSGPRsForWavesPerEU: 41
; NumVGPRsForWavesPerEU: 128
; NamedBarCnt: 0
; Occupancy: 8
; WaveLimiterHint : 1
; COMPUTE_PGM_RSRC2:SCRATCH_EN: 1
; COMPUTE_PGM_RSRC2:USER_SGPR: 2
; COMPUTE_PGM_RSRC2:TRAP_HANDLER: 0
; COMPUTE_PGM_RSRC2:TGID_X_EN: 1
; COMPUTE_PGM_RSRC2:TGID_Y_EN: 1
; COMPUTE_PGM_RSRC2:TGID_Z_EN: 1
; COMPUTE_PGM_RSRC2:TIDIG_COMP_CNT: 0
	.section	.text._ZN4vllm25paged_attention_v1_kernelIthLi32ELi32ELi128ELNS_18Fp8KVCacheDataTypeE1ELb0EEEvPT_PKS2_PKT0_S8_ifPKiSA_iPKfiiiSC_SC_iiiii,"axG",@progbits,_ZN4vllm25paged_attention_v1_kernelIthLi32ELi32ELi128ELNS_18Fp8KVCacheDataTypeE1ELb0EEEvPT_PKS2_PKT0_S8_ifPKiSA_iPKfiiiSC_SC_iiiii,comdat
	.protected	_ZN4vllm25paged_attention_v1_kernelIthLi32ELi32ELi128ELNS_18Fp8KVCacheDataTypeE1ELb0EEEvPT_PKS2_PKT0_S8_ifPKiSA_iPKfiiiSC_SC_iiiii ; -- Begin function _ZN4vllm25paged_attention_v1_kernelIthLi32ELi32ELi128ELNS_18Fp8KVCacheDataTypeE1ELb0EEEvPT_PKS2_PKT0_S8_ifPKiSA_iPKfiiiSC_SC_iiiii
	.globl	_ZN4vllm25paged_attention_v1_kernelIthLi32ELi32ELi128ELNS_18Fp8KVCacheDataTypeE1ELb0EEEvPT_PKS2_PKT0_S8_ifPKiSA_iPKfiiiSC_SC_iiiii
	.p2align	8
	.type	_ZN4vllm25paged_attention_v1_kernelIthLi32ELi32ELi128ELNS_18Fp8KVCacheDataTypeE1ELb0EEEvPT_PKS2_PKT0_S8_ifPKiSA_iPKfiiiSC_SC_iiiii,@function
_ZN4vllm25paged_attention_v1_kernelIthLi32ELi32ELi128ELNS_18Fp8KVCacheDataTypeE1ELb0EEEvPT_PKS2_PKT0_S8_ifPKiSA_iPKfiiiSC_SC_iiiii: ; @_ZN4vllm25paged_attention_v1_kernelIthLi32ELi32ELi128ELNS_18Fp8KVCacheDataTypeE1ELb0EEEvPT_PKS2_PKT0_S8_ifPKiSA_iPKfiiiSC_SC_iiiii
; %bb.0:
	s_load_b64 s[18:19], s[0:1], 0x20
	s_bfe_u32 s3, ttmp6, 0x4000c
	s_bfe_u32 s5, ttmp6, 0x40010
	s_and_b32 s4, ttmp7, 0xffff
	s_add_co_i32 s3, s3, 1
	s_add_co_i32 s5, s5, 1
	s_and_b32 s2, ttmp6, 15
	s_bfe_u32 s6, ttmp6, 0x40004
	s_mul_i32 s3, ttmp9, s3
	s_mul_i32 s5, s4, s5
	s_getreg_b32 s22, hwreg(HW_REG_IB_STS2, 6, 4)
	s_add_co_i32 s2, s2, s3
	s_add_co_i32 s3, s6, s5
	s_cmp_eq_u32 s22, 0
	s_clause 0x1
	s_load_b32 s23, s[0:1], 0x80
	s_load_b64 s[6:7], s[0:1], 0x30
	s_cselect_b32 s24, s4, s3
	s_cselect_b32 s4, ttmp9, s2
	s_wait_kmcnt 0x0
	s_abs_i32 s2, s18
	s_delay_alu instid0(SALU_CYCLE_1) | instskip(SKIP_1) | instid1(SALU_CYCLE_2)
	s_cvt_f32_u32 s3, s2
	s_sub_co_i32 s5, 0, s2
	v_rcp_iflag_f32_e32 v1, s3
	s_abs_i32 s8, s23
	v_nop
	s_delay_alu instid0(TRANS32_DEP_1) | instskip(SKIP_1) | instid1(SALU_CYCLE_3)
	v_readfirstlane_b32 s3, v1
	s_mul_f32 s3, s3, 0x4f7ffffe
	s_cvt_u32_f32 s3, s3
	s_delay_alu instid0(SALU_CYCLE_3) | instskip(NEXT) | instid1(SALU_CYCLE_1)
	s_mul_i32 s5, s5, s3
	s_mul_hi_u32 s5, s3, s5
	s_delay_alu instid0(SALU_CYCLE_1) | instskip(SKIP_4) | instid1(SALU_CYCLE_1)
	s_add_co_i32 s3, s3, s5
	s_xor_b32 s5, s23, s18
	s_mul_hi_u32 s3, s8, s3
	s_ashr_i32 s5, s5, 31
	s_mul_i32 s9, s3, s2
	s_sub_co_i32 s8, s8, s9
	s_add_co_i32 s9, s3, 1
	s_sub_co_i32 s10, s8, s2
	s_cmp_ge_u32 s8, s2
	s_cselect_b32 s3, s9, s3
	s_cselect_b32 s8, s10, s8
	s_add_co_i32 s9, s3, 1
	s_cmp_ge_u32 s8, s2
	s_cselect_b32 s2, s9, s3
	s_load_b64 s[8:9], s[0:1], 0x40
	s_xor_b32 s2, s2, s5
	s_mov_b32 s3, 0
	s_sub_co_i32 s14, s2, s5
	s_mov_b32 s13, s3
	s_abs_i32 s11, s14
	s_mov_b32 s18, s3
	s_cvt_f32_u32 s2, s11
	s_delay_alu instid0(SALU_CYCLE_3) | instskip(SKIP_1) | instid1(TRANS32_DEP_1)
	v_rcp_iflag_f32_e32 v1, s2
	v_nop
	v_readfirstlane_b32 s2, v1
	s_mul_f32 s2, s2, 0x4f7ffffe
	s_delay_alu instid0(SALU_CYCLE_3) | instskip(SKIP_1) | instid1(SALU_CYCLE_2)
	s_cvt_u32_f32 s5, s2
	s_sub_co_i32 s2, 0, s11
	s_mul_i32 s2, s2, s5
	s_delay_alu instid0(SALU_CYCLE_1)
	s_mul_hi_u32 s10, s5, s2
	s_abs_i32 s2, s4
	s_add_co_i32 s12, s5, s10
	s_wait_kmcnt 0x0
	s_cmp_eq_u64 s[8:9], 0
	s_cbranch_scc1 .LBB289_2
; %bb.1:
	s_ashr_i32 s5, s4, 31
	s_delay_alu instid0(SALU_CYCLE_1) | instskip(NEXT) | instid1(SALU_CYCLE_1)
	s_lshl_b64 s[16:17], s[4:5], 2
	s_add_nc_u64 s[8:9], s[8:9], s[16:17]
	s_load_b32 s18, s[8:9], 0x0
.LBB289_2:
	s_load_b32 s25, s[6:7], s24 offset:0x0 scale_offset
	s_wait_xcnt 0x0
	s_load_b96 s[8:10], s[0:1], 0x48
	s_ashr_i32 s5, s4, 31
	s_ashr_i32 s6, s14, 31
	s_mul_u64 s[16:17], s[2:3], s[12:13]
	s_lshl_b32 s12, s4, 5
	s_mov_b32 s3, exec_lo
	v_cmpx_gt_u32_e32 4, v0
	s_cbranch_execz .LBB289_4
; %bb.3:
	s_load_b64 s[14:15], s[0:1], 0x8
	s_wait_kmcnt 0x0
	s_mul_i32 s20, s8, s24
	s_ashr_i32 s13, s12, 31
	s_ashr_i32 s21, s20, 31
	v_lshlrev_b32_e32 v1, 4, v0
	s_lshl_b64 s[20:21], s[20:21], 1
	s_delay_alu instid0(SALU_CYCLE_1) | instskip(SKIP_1) | instid1(SALU_CYCLE_1)
	s_add_nc_u64 s[14:15], s[14:15], s[20:21]
	s_lshl_b64 s[20:21], s[12:13], 1
	s_add_nc_u64 s[14:15], s[14:15], s[20:21]
	global_load_b128 v[2:5], v0, s[14:15] scale_offset
	s_wait_loadcnt 0x0
	ds_store_b128 v1, v[2:5]
.LBB289_4:
	s_or_b32 exec_lo, exec_lo, s3
	s_wait_kmcnt 0x0
	s_add_co_i32 s3, s25, 31
	s_clause 0x1
	s_load_b64 s[14:15], s[0:1], 0x28
	s_load_b32 s16, s[0:1], 0x38
	s_ashr_i32 s4, s3, 31
	s_xor_b32 s20, s5, s6
	s_lshr_b32 s4, s4, 27
	v_dual_lshrrev_b32 v54, 5, v0 :: v_dual_bitop2_b32 v55, 31, v0 bitop3:0x40
	s_add_co_i32 s3, s3, s4
	s_mul_i32 s4, s17, s11
	s_ashr_i32 s13, s3, 5
	s_sub_co_i32 s2, s2, s4
	s_clause 0x1
	s_load_b32 s8, s[0:1], 0x88
	s_load_b128 s[4:7], s[0:1], 0x58
	s_add_co_i32 s3, s17, 1
	s_sub_co_i32 s21, s2, s11
	s_cmp_ge_u32 s2, s11
	v_dual_mov_b32 v57, 0xff7fffff :: v_dual_lshlrev_b32 v56, 2, v55
	s_cselect_b32 s3, s3, s17
	s_cselect_b32 s2, s21, s2
	s_add_co_i32 s17, s3, 1
	s_cmp_ge_u32 s2, s11
	v_lshrrev_b32_e32 v1, 3, v0
	s_cselect_b32 s2, s17, s3
	s_wait_kmcnt 0x0
	s_mul_i32 s16, s16, s24
	s_xor_b32 s2, s2, s20
	s_ashr_i32 s17, s16, 31
	s_sub_co_i32 s3, s2, s20
	v_cmp_gt_i32_e64 s2, s13, v54
	s_mul_i32 s10, s3, s10
	s_wait_dscnt 0x0
	s_barrier_signal -1
	s_barrier_wait -1
	s_and_saveexec_b32 s26, s2
	s_cbranch_execz .LBB289_264
; %bb.5:
	s_load_b64 s[20:21], s[0:1], 0x10
	v_dual_mov_b32 v7, 0 :: v_dual_lshlrev_b32 v6, 4, v55
	s_ashr_i32 s11, s10, 31
	s_cmp_neq_f32 s18, 0
	v_lshl_or_b32 v2, v54, 7, v56
	v_lshl_or_b32 v58, v54, 5, v55
	v_mov_b32_e32 v57, 0xff7fffff
	s_cselect_b32 vcc_lo, -1, 0
	s_delay_alu instid0(VALU_DEP_3)
	v_dual_mov_b32 v60, v54 :: v_dual_add_nc_u32 v59, 0x60, v2
	s_mov_b32 s27, s9
	s_sub_co_i32 s28, 1, s25
	s_wait_kmcnt 0x0
	s_add_nc_u64 s[20:21], s[20:21], s[10:11]
	s_mov_b32 s11, 0
	v_add_nc_u64_e32 v[8:9], s[20:21], v[6:7]
	v_and_b32_e32 v6, 0x7c, v1
	s_lshl_b64 s[20:21], s[16:17], 2
	s_delay_alu instid0(SALU_CYCLE_1)
	s_add_nc_u64 s[20:21], s[14:15], s[20:21]
	s_delay_alu instid0(VALU_DEP_1) | instid1(SALU_CYCLE_1)
	v_add_nc_u64_e32 v[10:11], s[20:21], v[6:7]
	s_mov_b64 s[20:21], 0xffffffffffffff
	s_branch .LBB289_10
.LBB289_6:                              ;   in Loop: Header=BB289_10 Depth=1
	s_or_b32 exec_lo, exec_lo, s33
	v_lshlrev_b32_e32 v4, 8, v6
	s_delay_alu instid0(VALU_DEP_2) | instskip(SKIP_1) | instid1(VALU_DEP_2)
	v_lshl_add_u32 v3, v3, 10, 0x2000
	v_lshlrev_b32_e32 v2, 23, v2
	v_and_or_b32 v3, 0x8000, v4, v3
	s_delay_alu instid0(VALU_DEP_1)
	v_lshl_or_b32 v69, v3, 16, v2
.LBB289_7:                              ;   in Loop: Header=BB289_10 Depth=1
	s_or_b32 exec_lo, exec_lo, s31
.LBB289_8:                              ;   in Loop: Header=BB289_10 Depth=1
	s_delay_alu instid0(SALU_CYCLE_1)
	s_or_b32 exec_lo, exec_lo, s30
.LBB289_9:                              ;   in Loop: Header=BB289_10 Depth=1
	s_delay_alu instid0(SALU_CYCLE_1)
	s_or_b32 exec_lo, exec_lo, s29
	ds_load_b128 v[2:5], v7
	v_or_b32_e32 v6, v16, v14
	v_fma_mixlo_f16 v14, v61, v16, 0 op_sel:[0,1,0] op_sel_hi:[0,1,0]
	v_or_b32_e32 v12, v13, v12
	v_or_b32_e32 v16, v19, v17
	v_fma_mixlo_f16 v13, v61, v13, 0 op_sel:[0,1,0] op_sel_hi:[0,1,0]
	v_or_b32_e32 v15, v18, v15
	v_fma_mixlo_f16 v18, v61, v18, 0 op_sel:[0,1,0] op_sel_hi:[0,1,0]
	v_fma_mixlo_f16 v36, v61, v19, 0 op_sel:[0,1,0] op_sel_hi:[0,1,0]
	v_fma_mixlo_f16 v37, v61, v16, 0 op_sel_hi:[0,1,0]
	v_and_b32_e32 v13, 0xffff, v13
	v_cmp_gt_i32_e64 s3, s25, v58
	v_add_nc_u64_e32 v[10:11], 16, v[10:11]
	s_wait_dscnt 0x0
	v_and_b32_e32 v16, 0xffff, v2
	v_lshrrev_b32_e32 v2, 16, v2
	v_fma_mixlo_f16 v12, v61, v12, 0 op_sel_hi:[0,1,0]
	v_lshrrev_b32_e32 v17, 16, v3
	v_and_b32_e32 v3, 0xffff, v3
	v_fma_mixlo_f16 v6, v61, v6, 0 op_sel_hi:[0,1,0]
	;;#ASMSTART
	v_cvt_f32_f16 v32, v16;
	;;#ASMEND
	v_and_b32_e32 v12, 0xffff, v12
	;;#ASMSTART
	v_cvt_f32_f16 v33, v2;
	;;#ASMEND
	;;#ASMSTART
	v_cvt_f32_f16 v34, v12;
	;;#ASMEND
	;; [unrolled: 3-line block ×4, first 2 shown]
	v_and_b32_e32 v3, 0xffff, v4
	v_lshrrev_b32_e32 v4, 16, v4
	v_fma_mixlo_f16 v15, v61, v15, 0 op_sel_hi:[0,1,0]
	v_and_b32_e32 v2, 0xffff, v14
	v_and_b32_e32 v6, 0xffff, v6
	;;#ASMSTART
	v_cvt_f32_f16 v20, v17;
	;;#ASMEND
	;;#ASMSTART
	v_cvt_f32_f16 v27, v6;
	;;#ASMEND
	v_and_b32_e32 v12, 0xffff, v15
	;;#ASMSTART
	v_cvt_f32_f16 v26, v2;
	;;#ASMEND
	v_and_b32_e32 v2, 0xffff, v18
	;;#ASMSTART
	v_cvt_f32_f16 v17, v3;
	;;#ASMEND
	;;#ASMSTART
	v_cvt_f32_f16 v16, v4;
	;;#ASMEND
	;;#ASMSTART
	v_cvt_f32_f16 v19, v12;
	;;#ASMEND
	v_and_b32_e32 v3, 0xffff, v5
	v_lshrrev_b32_e32 v4, 16, v5
	v_and_b32_e32 v5, 0xffff, v37
	v_and_b32_e32 v6, 0xffff, v36
	;;#ASMSTART
	v_cvt_f32_f16 v18, v2;
	;;#ASMEND
	;;#ASMSTART
	v_cvt_f32_f16 v13, v3;
	;;#ASMEND
	v_or_b32_e32 v2, v28, v24
	;;#ASMSTART
	v_cvt_f32_f16 v12, v4;
	;;#ASMEND
	;;#ASMSTART
	v_cvt_f32_f16 v15, v5;
	;;#ASMEND
	;; [unrolled: 3-line block ×3, first 2 shown]
	ds_load_b128 v[48:51], v7 offset:16
	v_or_b32_e32 v3, v23, v22
	v_fma_mixlo_f16 v22, v61, v2, 0 op_sel_hi:[0,1,0]
	v_or_b32_e32 v2, v29, v25
	v_or_b32_e32 v4, v31, v30
	v_fma_mixlo_f16 v6, v61, v28, 0 op_sel:[0,1,0] op_sel_hi:[0,1,0]
	v_fma_mixlo_f16 v3, v61, v3, 0 op_sel_hi:[0,1,0]
	v_fma_mixlo_f16 v5, v61, v23, 0 op_sel:[0,1,0] op_sel_hi:[0,1,0]
	v_fma_mixlo_f16 v23, v61, v29, 0 op_sel:[0,1,0] op_sel_hi:[0,1,0]
	v_fma_mixlo_f16 v24, v61, v2, 0 op_sel_hi:[0,1,0]
	v_fma_mixlo_f16 v30, v61, v31, 0 op_sel:[0,1,0] op_sel_hi:[0,1,0]
	v_fma_mixlo_f16 v25, v61, v4, 0 op_sel_hi:[0,1,0]
	v_and_b32_e32 v28, 0xffff, v3
	v_and_b32_e32 v5, 0xffff, v5
	;; [unrolled: 1-line block ×4, first 2 shown]
	s_wait_dscnt 0x0
	v_and_b32_e32 v2, 0xffff, v48
	v_lshrrev_b32_e32 v4, 16, v48
	;;#ASMSTART
	v_cvt_f32_f16 v2, v2;
	;;#ASMEND
	v_and_b32_e32 v29, 0xffff, v49
	;;#ASMSTART
	v_cvt_f32_f16 v3, v4;
	;;#ASMEND
	;;#ASMSTART
	v_cvt_f32_f16 v4, v28;
	;;#ASMEND
	v_lshrrev_b32_e32 v28, 16, v49
	;;#ASMSTART
	v_cvt_f32_f16 v5, v5;
	;;#ASMEND
	;;#ASMSTART
	v_cvt_f32_f16 v37, v29;
	;;#ASMEND
	v_and_b32_e32 v29, 0xffff, v50
	;;#ASMSTART
	v_cvt_f32_f16 v36, v28;
	;;#ASMEND
	v_lshrrev_b32_e32 v28, 16, v50
	;;#ASMSTART
	v_cvt_f32_f16 v39, v22;
	;;#ASMEND
	;;#ASMSTART
	v_cvt_f32_f16 v38, v6;
	;;#ASMEND
	v_and_b32_e32 v6, 0xffff, v24
	v_and_b32_e32 v22, 0xffff, v23
	v_lshrrev_b32_e32 v24, 16, v51
	v_and_b32_e32 v23, 0xffff, v51
	v_and_b32_e32 v48, 0xffff, v30
	;;#ASMSTART
	v_cvt_f32_f16 v29, v29;
	;;#ASMEND
	;;#ASMSTART
	v_cvt_f32_f16 v28, v28;
	;;#ASMEND
	;;#ASMSTART
	v_cvt_f32_f16 v31, v6;
	;;#ASMEND
	v_and_b32_e32 v6, 0xffff, v25
	;;#ASMSTART
	v_cvt_f32_f16 v30, v22;
	;;#ASMEND
	;;#ASMSTART
	v_cvt_f32_f16 v23, v23;
	;;#ASMEND
	;; [unrolled: 3-line block ×5, first 2 shown]
	ds_load_b128 v[48:51], v7 offset:32
	v_pk_mul_f32 v[52:53], v[2:3], v[4:5]
	v_or_b32_e32 v3, v41, v40
	v_or_b32_e32 v2, v44, v42
	;; [unrolled: 1-line block ×4, first 2 shown]
	v_fma_mixlo_f16 v4, v61, v44, 0 op_sel:[0,1,0] op_sel_hi:[0,1,0]
	v_fma_mixlo_f16 v3, v61, v3, 0 op_sel_hi:[0,1,0]
	v_fma_mixlo_f16 v2, v61, v2, 0 op_sel_hi:[0,1,0]
	v_fma_mixlo_f16 v40, v61, v41, 0 op_sel:[0,1,0] op_sel_hi:[0,1,0]
	v_fma_mixlo_f16 v5, v61, v5, 0 op_sel_hi:[0,1,0]
	v_fma_mixlo_f16 v41, v61, v45, 0 op_sel:[0,1,0] op_sel_hi:[0,1,0]
	v_fma_mixlo_f16 v6, v61, v6, 0 op_sel_hi:[0,1,0]
	v_and_b32_e32 v43, 0xffff, v3
	v_fma_mixlo_f16 v3, v61, v47, 0 op_sel:[0,1,0] op_sel_hi:[0,1,0]
	v_and_b32_e32 v2, 0xffff, v2
	v_and_b32_e32 v40, 0xffff, v40
	;; [unrolled: 1-line block ×3, first 2 shown]
	v_pk_fma_f32 v[32:33], v[32:33], v[34:35], v[52:53]
	v_and_b32_e32 v3, 0xffff, v3
	s_wait_dscnt 0x0
	v_dual_lshrrev_b32 v71, 16, v48 :: v_dual_lshrrev_b32 v74, 16, v49
	v_and_b32_e32 v48, 0xffff, v48
	v_and_b32_e32 v49, 0xffff, v49
	v_dual_lshrrev_b32 v75, 16, v50 :: v_dual_lshrrev_b32 v42, 16, v51
	v_and_b32_e32 v77, 0xffff, v51
	;;#ASMSTART
	v_cvt_f32_f16 v70, v48;
	;;#ASMEND
	;;#ASMSTART
	v_cvt_f32_f16 v71, v71;
	;;#ASMEND
	;; [unrolled: 3-line block ×7, first 2 shown]
	v_and_b32_e32 v2, 0xffff, v5
	v_and_b32_e32 v76, 0xffff, v50
	;;#ASMSTART
	v_cvt_f32_f16 v50, v4;
	;;#ASMEND
	;;#ASMSTART
	v_cvt_f32_f16 v45, v76;
	;;#ASMEND
	v_and_b32_e32 v4, 0xffff, v41
	;;#ASMSTART
	v_cvt_f32_f16 v44, v75;
	;;#ASMEND
	;;#ASMSTART
	v_cvt_f32_f16 v47, v2;
	;;#ASMEND
	;; [unrolled: 7-line block ×3, first 2 shown]
	;;#ASMSTART
	v_cvt_f32_f16 v40, v42;
	;;#ASMEND
	;;#ASMSTART
	v_cvt_f32_f16 v43, v2;
	;;#ASMEND
	;; [unrolled: 3-line block ×3, first 2 shown]
	ds_load_b128 v[2:5], v7 offset:48
	v_or_b32_e32 v34, v66, v64
	v_or_b32_e32 v35, v63, v62
	v_fma_mixlo_f16 v63, v61, v63, 0 op_sel:[0,1,0] op_sel_hi:[0,1,0]
	v_pk_fma_f32 v[32:33], v[70:71], v[72:73], v[32:33]
	v_fma_mixlo_f16 v52, v61, v66, 0 op_sel:[0,1,0] op_sel_hi:[0,1,0]
	v_fma_mixlo_f16 v53, v61, v34, 0 op_sel_hi:[0,1,0]
	v_or_b32_e32 v34, v67, v65
	v_fma_mixlo_f16 v64, v61, v35, 0 op_sel_hi:[0,1,0]
	v_pk_mul_f32 v[28:29], v[28:29], v[30:31]
	v_fma_mixlo_f16 v65, v61, v67, 0 op_sel:[0,1,0] op_sel_hi:[0,1,0]
	v_pk_mul_f32 v[22:23], v[22:23], v[24:25]
	v_fma_mixlo_f16 v66, v61, v34, 0 op_sel_hi:[0,1,0]
	v_pk_mul_f32 v[34:35], v[36:37], v[38:39]
	v_and_b32_e32 v38, 0xffff, v64
	v_and_b32_e32 v39, 0xffff, v63
	v_pk_fma_f32 v[16:17], v[16:17], v[18:19], v[28:29]
	v_and_b32_e32 v18, 0xffff, v65
	v_dual_add_nc_u32 v6, s28, v58 :: v_dual_bitop2_b32 v62, v69, v68 bitop3:0x54
	s_wait_dscnt 0x0
	v_and_b32_e32 v36, 0xffff, v2
	v_lshrrev_b32_e32 v2, 16, v2
	;;#ASMSTART
	v_cvt_f32_f16 v36, v36;
	;;#ASMEND
	;;#ASMSTART
	v_cvt_f32_f16 v37, v2;
	;;#ASMEND
	;; [unrolled: 3-line block ×4, first 2 shown]
	v_and_b32_e32 v63, 0xffff, v3
	v_pk_fma_f32 v[32:33], v[36:37], v[38:39], v[32:33]
	v_lshrrev_b32_e32 v36, 16, v3
	v_pk_fma_f32 v[2:3], v[20:21], v[26:27], v[34:35]
	v_and_b32_e32 v26, 0xffff, v53
	;;#ASMSTART
	v_cvt_f32_f16 v21, v63;
	;;#ASMEND
	;;#ASMSTART
	v_cvt_f32_f16 v20, v36;
	;;#ASMEND
	v_and_b32_e32 v35, 0xffff, v4
	v_pk_fma_f32 v[2:3], v[48:49], v[50:51], v[2:3]
	v_lshrrev_b32_e32 v4, 16, v4
	v_and_b32_e32 v34, 0xffff, v52
	;;#ASMSTART
	v_cvt_f32_f16 v27, v26;
	;;#ASMEND
	;;#ASMSTART
	v_cvt_f32_f16 v26, v34;
	;;#ASMEND
	v_pk_fma_f32 v[2:3], v[20:21], v[26:27], v[2:3]
	;;#ASMSTART
	v_cvt_f32_f16 v21, v35;
	;;#ASMEND
	;;#ASMSTART
	v_cvt_f32_f16 v20, v4;
	;;#ASMEND
	v_add_f32_e32 v4, v32, v33
	v_pk_fma_f32 v[16:17], v[44:45], v[46:47], v[16:17]
	v_and_b32_e32 v26, 0xffff, v66
	;;#ASMSTART
	v_cvt_f32_f16 v19, v26;
	;;#ASMEND
	;;#ASMSTART
	v_cvt_f32_f16 v18, v18;
	;;#ASMEND
	v_add_f32_e32 v3, v4, v3
	v_and_b32_e32 v24, 0xffff, v5
	v_pk_fma_f32 v[16:17], v[20:21], v[18:19], v[16:17]
	v_lshrrev_b32_e32 v18, 16, v5
	v_pk_fma_f32 v[4:5], v[12:13], v[14:15], v[22:23]
	v_add_f32_e32 v2, v2, v3
	v_fma_mixlo_f16 v62, v61, v62, 0 op_sel_hi:[0,1,0]
	v_cvt_f32_i32_e32 v6, v6
	v_fma_mixlo_f16 v61, v61, v69, 0 op_sel:[0,1,0] op_sel_hi:[0,1,0]
	v_pk_fma_f32 v[4:5], v[40:41], v[42:43], v[4:5]
	v_add_f32_e32 v14, v2, v17
	;;#ASMSTART
	v_cvt_f32_f16 v3, v24;
	;;#ASMEND
	v_and_b32_e32 v12, 0xffff, v62
	;;#ASMSTART
	v_cvt_f32_f16 v2, v18;
	;;#ASMEND
	v_and_b32_e32 v15, 0xffff, v61
	;;#ASMSTART
	v_cvt_f32_f16 v13, v12;
	;;#ASMEND
	;;#ASMSTART
	v_cvt_f32_f16 v12, v15;
	;;#ASMEND
	v_pk_fma_f32 v[2:3], v[2:3], v[12:13], v[4:5]
	v_mul_f32_e32 v5, s18, v6
	v_add_f32_e32 v4, v16, v14
	s_delay_alu instid0(VALU_DEP_1) | instskip(NEXT) | instid1(VALU_DEP_1)
	v_dual_add_f32 v3, v4, v3 :: v_dual_add_nc_u32 v58, 0x80, v58
	v_dual_cndmask_b32 v4, 0, v5, vcc_lo :: v_dual_add_f32 v2, v2, v3
	s_delay_alu instid0(VALU_DEP_1) | instskip(NEXT) | instid1(VALU_DEP_1)
	v_dual_fmac_f32 v4, s19, v2 :: v_dual_max_num_f32 v2, v57, v57
	v_dual_cndmask_b32 v3, 0, v4, s3 :: v_dual_max_num_f32 v2, v2, v4
	v_add_nc_u32_e32 v60, 4, v60
	ds_store_b32 v59, v3
	v_cndmask_b32_e64 v57, v57, v2, s3
	v_cmp_le_i32_e64 s3, s13, v60
	v_add_nc_u32_e32 v59, 0x200, v59
	s_or_b32 s11, s3, s11
	s_delay_alu instid0(SALU_CYCLE_1)
	s_and_not1_b32 exec_lo, exec_lo, s11
	s_cbranch_execz .LBB289_263
.LBB289_10:                             ; =>This Inner Loop Header: Depth=1
	global_load_b32 v2, v[10:11], off
	v_mov_b32_e32 v12, 0
	s_mov_b32 s29, exec_lo
	s_wait_loadcnt 0x0
	v_mad_nc_i64_i32 v[2:3], v2, s27, v[8:9]
	global_load_b64 v[4:5], v[2:3], off
	global_load_b32 v61, v7, s[4:5]
	s_wait_loadcnt 0x1
	v_and_b32_e32 v6, 0xff, v4
	s_wait_xcnt 0x0
	s_delay_alu instid0(VALU_DEP_1)
	v_cmpx_ne_u16_e32 0, v6
	s_cbranch_execz .LBB289_18
; %bb.11:                               ;   in Loop: Header=BB289_10 Depth=1
	v_mov_b32_e32 v12, 0x8000
	s_mov_b32 s30, exec_lo
	v_cmpx_ne_u16_e32 0x80, v6
	s_cbranch_execz .LBB289_17
; %bb.12:                               ;   in Loop: Header=BB289_10 Depth=1
	v_and_b32_e32 v13, 0x7f, v4
	v_mov_b32_e32 v12, 0x7c01
	s_mov_b32 s31, exec_lo
	s_delay_alu instid0(VALU_DEP_2)
	v_cmpx_ne_u32_e32 0x7f, v13
	s_cbranch_execz .LBB289_16
; %bb.13:                               ;   in Loop: Header=BB289_10 Depth=1
	v_dual_lshrrev_b32 v12, 3, v13 :: v_dual_bitop2_b32 v6, 7, v4 bitop3:0x40
	s_mov_b32 s33, exec_lo
	v_cmpx_gt_u32_e32 8, v13
; %bb.14:                               ;   in Loop: Header=BB289_10 Depth=1
	s_delay_alu instid0(VALU_DEP_2) | instskip(NEXT) | instid1(VALU_DEP_1)
	v_clz_i32_u32_e32 v6, v6
	v_min_u32_e32 v6, 32, v6
	s_delay_alu instid0(VALU_DEP_1) | instskip(NEXT) | instid1(VALU_DEP_1)
	v_subrev_nc_u32_e32 v12, 28, v6
	v_lshlrev_b64_e32 v[14:15], v12, v[4:5]
	v_sub_nc_u32_e32 v12, 29, v6
	s_delay_alu instid0(VALU_DEP_2)
	v_and_b32_e32 v6, 7, v14
; %bb.15:                               ;   in Loop: Header=BB289_10 Depth=1
	s_or_b32 exec_lo, exec_lo, s33
	s_delay_alu instid0(VALU_DEP_1) | instskip(NEXT) | instid1(VALU_DEP_3)
	v_dual_lshlrev_b32 v13, 8, v4 :: v_dual_lshlrev_b32 v6, 7, v6
	v_lshl_add_u32 v12, v12, 10, 0x2000
	s_delay_alu instid0(VALU_DEP_2) | instskip(NEXT) | instid1(VALU_DEP_2)
	v_and_b32_e32 v13, 0x8000, v13
	v_and_b32_e32 v12, 0xfc00, v12
	s_delay_alu instid0(VALU_DEP_1)
	v_or3_b32 v12, v13, v12, v6
.LBB289_16:                             ;   in Loop: Header=BB289_10 Depth=1
	s_or_b32 exec_lo, exec_lo, s31
.LBB289_17:                             ;   in Loop: Header=BB289_10 Depth=1
	s_delay_alu instid0(SALU_CYCLE_1)
	s_or_b32 exec_lo, exec_lo, s30
.LBB289_18:                             ;   in Loop: Header=BB289_10 Depth=1
	s_delay_alu instid0(SALU_CYCLE_1) | instskip(SKIP_3) | instid1(VALU_DEP_2)
	s_or_b32 exec_lo, exec_lo, s29
	v_lshrrev_b16 v6, 8, v4
	v_dual_mov_b32 v14, 0 :: v_dual_mov_b32 v13, 0
	s_mov_b32 s29, exec_lo
	v_cmpx_ne_u16_e32 0, v6
	s_cbranch_execz .LBB289_26
; %bb.19:                               ;   in Loop: Header=BB289_10 Depth=1
	v_bfrev_b32_e32 v13, 1
	s_mov_b32 s30, exec_lo
	v_cmpx_ne_u16_e32 0x80, v6
	s_cbranch_execz .LBB289_25
; %bb.20:                               ;   in Loop: Header=BB289_10 Depth=1
	v_and_b32_e32 v15, 0xffff, v6
	v_mov_b32_e32 v13, 0x7c010000
	s_mov_b32 s31, exec_lo
	s_delay_alu instid0(VALU_DEP_2) | instskip(NEXT) | instid1(VALU_DEP_1)
	v_and_b32_e32 v17, 0x7f, v15
	v_cmpx_ne_u32_e32 0x7f, v17
	s_cbranch_execz .LBB289_24
; %bb.21:                               ;   in Loop: Header=BB289_10 Depth=1
	v_dual_lshrrev_b32 v16, 3, v17 :: v_dual_bitop2_b32 v13, 7, v15 bitop3:0x40
	s_mov_b32 s33, exec_lo
	v_cmpx_gt_u32_e32 8, v17
; %bb.22:                               ;   in Loop: Header=BB289_10 Depth=1
	s_delay_alu instid0(VALU_DEP_2) | instskip(NEXT) | instid1(VALU_DEP_1)
	v_clz_i32_u32_e32 v13, v13
	v_min_u32_e32 v13, 32, v13
	s_delay_alu instid0(VALU_DEP_1) | instskip(NEXT) | instid1(VALU_DEP_1)
	v_subrev_nc_u32_e32 v16, 28, v13
	v_lshlrev_b64_e32 v[18:19], v16, v[6:7]
	s_delay_alu instid0(VALU_DEP_1)
	v_dual_sub_nc_u32 v16, 29, v13 :: v_dual_bitop2_b32 v13, 7, v18 bitop3:0x40
; %bb.23:                               ;   in Loop: Header=BB289_10 Depth=1
	s_or_b32 exec_lo, exec_lo, s33
	s_delay_alu instid0(VALU_DEP_1) | instskip(NEXT) | instid1(VALU_DEP_2)
	v_dual_lshlrev_b32 v6, 8, v15 :: v_dual_lshlrev_b32 v13, 23, v13
	v_lshl_add_u32 v15, v16, 10, 0x2000
	s_delay_alu instid0(VALU_DEP_1) | instskip(NEXT) | instid1(VALU_DEP_1)
	v_and_or_b32 v6, 0x8000, v6, v15
	v_lshl_or_b32 v13, v6, 16, v13
.LBB289_24:                             ;   in Loop: Header=BB289_10 Depth=1
	s_or_b32 exec_lo, exec_lo, s31
.LBB289_25:                             ;   in Loop: Header=BB289_10 Depth=1
	s_delay_alu instid0(SALU_CYCLE_1)
	s_or_b32 exec_lo, exec_lo, s30
.LBB289_26:                             ;   in Loop: Header=BB289_10 Depth=1
	s_delay_alu instid0(SALU_CYCLE_1) | instskip(SKIP_2) | instid1(VALU_DEP_1)
	s_or_b32 exec_lo, exec_lo, s29
	v_lshrrev_b32_e32 v6, 16, v4
	s_mov_b32 s29, exec_lo
	v_and_b32_e32 v15, 0xff, v6
	s_delay_alu instid0(VALU_DEP_1)
	v_cmpx_ne_u16_e32 0, v15
	s_cbranch_execz .LBB289_34
; %bb.27:                               ;   in Loop: Header=BB289_10 Depth=1
	v_mov_b32_e32 v14, 0x8000
	s_mov_b32 s30, exec_lo
	v_cmpx_ne_u16_e32 0x80, v15
	s_cbranch_execz .LBB289_33
; %bb.28:                               ;   in Loop: Header=BB289_10 Depth=1
	v_bfe_u32 v16, v4, 16, 7
	v_mov_b32_e32 v14, 0x7c01
	s_mov_b32 s31, exec_lo
	s_delay_alu instid0(VALU_DEP_2)
	v_cmpx_ne_u32_e32 0x7f, v16
	s_cbranch_execz .LBB289_32
; %bb.29:                               ;   in Loop: Header=BB289_10 Depth=1
	v_dual_lshrrev_b32 v15, 3, v16 :: v_dual_bitop2_b32 v14, 7, v6 bitop3:0x40
	s_mov_b32 s33, exec_lo
	v_cmpx_gt_u32_e32 8, v16
; %bb.30:                               ;   in Loop: Header=BB289_10 Depth=1
	s_delay_alu instid0(VALU_DEP_2) | instskip(NEXT) | instid1(VALU_DEP_1)
	v_clz_i32_u32_e32 v14, v14
	v_min_u32_e32 v16, 32, v14
	s_delay_alu instid0(VALU_DEP_1) | instskip(NEXT) | instid1(VALU_DEP_1)
	v_subrev_nc_u32_e32 v14, 28, v16
	v_lshlrev_b64_e32 v[14:15], v14, v[6:7]
	s_delay_alu instid0(VALU_DEP_1)
	v_dual_sub_nc_u32 v15, 29, v16 :: v_dual_bitop2_b32 v14, 7, v14 bitop3:0x40
; %bb.31:                               ;   in Loop: Header=BB289_10 Depth=1
	s_or_b32 exec_lo, exec_lo, s33
	v_lshlrev_b32_e32 v6, 8, v6
	s_delay_alu instid0(VALU_DEP_2) | instskip(NEXT) | instid1(VALU_DEP_3)
	v_lshl_add_u32 v15, v15, 10, 0x2000
	v_lshlrev_b32_e32 v14, 7, v14
	s_delay_alu instid0(VALU_DEP_3) | instskip(NEXT) | instid1(VALU_DEP_3)
	v_and_b32_e32 v6, 0x8000, v6
	v_and_b32_e32 v15, 0xfc00, v15
	s_delay_alu instid0(VALU_DEP_1)
	v_or3_b32 v14, v6, v15, v14
.LBB289_32:                             ;   in Loop: Header=BB289_10 Depth=1
	s_or_b32 exec_lo, exec_lo, s31
.LBB289_33:                             ;   in Loop: Header=BB289_10 Depth=1
	s_delay_alu instid0(SALU_CYCLE_1)
	s_or_b32 exec_lo, exec_lo, s30
.LBB289_34:                             ;   in Loop: Header=BB289_10 Depth=1
	s_delay_alu instid0(SALU_CYCLE_1)
	s_or_b32 exec_lo, exec_lo, s29
	v_dual_mov_b32 v15, 0 :: v_dual_mov_b32 v16, 0
	s_mov_b32 s29, exec_lo
	v_cmpx_lt_u32_e32 0xffffff, v4
	s_cbranch_execz .LBB289_42
; %bb.35:                               ;   in Loop: Header=BB289_10 Depth=1
	v_lshrrev_b32_e32 v6, 24, v4
	v_bfrev_b32_e32 v16, 1
	s_mov_b32 s30, exec_lo
	s_delay_alu instid0(VALU_DEP_2)
	v_cmpx_ne_u32_e32 0x80, v6
	s_cbranch_execz .LBB289_41
; %bb.36:                               ;   in Loop: Header=BB289_10 Depth=1
	v_and_b32_e32 v18, 0x7f, v6
	v_mov_b32_e32 v16, 0x7c010000
	s_mov_b32 s31, exec_lo
	s_delay_alu instid0(VALU_DEP_2)
	v_cmpx_ne_u32_e32 0x7f, v18
	s_cbranch_execz .LBB289_40
; %bb.37:                               ;   in Loop: Header=BB289_10 Depth=1
	v_and_b32_e32 v16, 7, v6
	v_lshrrev_b32_e32 v17, 3, v18
	s_mov_b32 s33, exec_lo
	v_cmpx_gt_u32_e32 8, v18
; %bb.38:                               ;   in Loop: Header=BB289_10 Depth=1
	s_delay_alu instid0(VALU_DEP_3) | instskip(NEXT) | instid1(VALU_DEP_1)
	v_clz_i32_u32_e32 v16, v16
	v_min_u32_e32 v18, 32, v16
	s_delay_alu instid0(VALU_DEP_1) | instskip(NEXT) | instid1(VALU_DEP_1)
	v_subrev_nc_u32_e32 v16, 28, v18
	v_lshlrev_b64_e32 v[16:17], v16, v[6:7]
	s_delay_alu instid0(VALU_DEP_1)
	v_dual_sub_nc_u32 v17, 29, v18 :: v_dual_bitop2_b32 v16, 7, v16 bitop3:0x40
; %bb.39:                               ;   in Loop: Header=BB289_10 Depth=1
	s_or_b32 exec_lo, exec_lo, s33
	s_delay_alu instid0(VALU_DEP_1) | instskip(NEXT) | instid1(VALU_DEP_2)
	v_dual_lshlrev_b32 v6, 8, v6 :: v_dual_lshlrev_b32 v16, 23, v16
	v_lshl_add_u32 v17, v17, 10, 0x2000
	s_delay_alu instid0(VALU_DEP_1) | instskip(NEXT) | instid1(VALU_DEP_1)
	v_and_or_b32 v6, 0x8000, v6, v17
	v_lshl_or_b32 v16, v6, 16, v16
.LBB289_40:                             ;   in Loop: Header=BB289_10 Depth=1
	s_or_b32 exec_lo, exec_lo, s31
.LBB289_41:                             ;   in Loop: Header=BB289_10 Depth=1
	s_delay_alu instid0(SALU_CYCLE_1)
	s_or_b32 exec_lo, exec_lo, s30
.LBB289_42:                             ;   in Loop: Header=BB289_10 Depth=1
	s_delay_alu instid0(SALU_CYCLE_1) | instskip(SKIP_3) | instid1(VALU_DEP_2)
	s_or_b32 exec_lo, exec_lo, s29
	v_and_b32_e32 v17, 0xff, v5
	v_mov_b32_e32 v6, v5
	s_mov_b32 s29, exec_lo
	v_cmpx_ne_u16_e32 0, v17
	s_cbranch_execz .LBB289_50
; %bb.43:                               ;   in Loop: Header=BB289_10 Depth=1
	v_mov_b32_e32 v15, 0x8000
	s_mov_b32 s30, exec_lo
	v_cmpx_ne_u16_e32 0x80, v17
	s_cbranch_execz .LBB289_49
; %bb.44:                               ;   in Loop: Header=BB289_10 Depth=1
	v_and_b32_e32 v18, 0x7f, v5
	v_mov_b32_e32 v15, 0x7c01
	s_mov_b32 s31, exec_lo
	s_delay_alu instid0(VALU_DEP_2)
	v_cmpx_ne_u32_e32 0x7f, v18
	s_cbranch_execz .LBB289_48
; %bb.45:                               ;   in Loop: Header=BB289_10 Depth=1
	v_dual_lshrrev_b32 v17, 3, v18 :: v_dual_bitop2_b32 v15, 7, v5 bitop3:0x40
	s_mov_b32 s33, exec_lo
	v_cmpx_gt_u32_e32 8, v18
; %bb.46:                               ;   in Loop: Header=BB289_10 Depth=1
	s_delay_alu instid0(VALU_DEP_2) | instskip(NEXT) | instid1(VALU_DEP_1)
	v_clz_i32_u32_e32 v15, v15
	v_min_u32_e32 v15, 32, v15
	s_delay_alu instid0(VALU_DEP_1) | instskip(NEXT) | instid1(VALU_DEP_1)
	v_subrev_nc_u32_e32 v17, 28, v15
	v_lshlrev_b64_e32 v[18:19], v17, v[6:7]
	s_delay_alu instid0(VALU_DEP_1)
	v_dual_sub_nc_u32 v17, 29, v15 :: v_dual_bitop2_b32 v15, 7, v18 bitop3:0x40
; %bb.47:                               ;   in Loop: Header=BB289_10 Depth=1
	s_or_b32 exec_lo, exec_lo, s33
	s_delay_alu instid0(VALU_DEP_1) | instskip(NEXT) | instid1(VALU_DEP_2)
	v_dual_lshlrev_b32 v18, 8, v5 :: v_dual_lshlrev_b32 v15, 7, v15
	v_lshl_add_u32 v17, v17, 10, 0x2000
	s_delay_alu instid0(VALU_DEP_2) | instskip(NEXT) | instid1(VALU_DEP_2)
	v_and_b32_e32 v18, 0x8000, v18
	v_and_b32_e32 v17, 0xfc00, v17
	s_delay_alu instid0(VALU_DEP_1)
	v_or3_b32 v15, v18, v17, v15
.LBB289_48:                             ;   in Loop: Header=BB289_10 Depth=1
	s_or_b32 exec_lo, exec_lo, s31
.LBB289_49:                             ;   in Loop: Header=BB289_10 Depth=1
	s_delay_alu instid0(SALU_CYCLE_1)
	s_or_b32 exec_lo, exec_lo, s30
.LBB289_50:                             ;   in Loop: Header=BB289_10 Depth=1
	s_delay_alu instid0(SALU_CYCLE_1) | instskip(SKIP_3) | instid1(VALU_DEP_2)
	s_or_b32 exec_lo, exec_lo, s29
	v_lshrrev_b16 v6, 8, v6
	v_dual_mov_b32 v17, 0 :: v_dual_mov_b32 v18, 0
	s_mov_b32 s29, exec_lo
	v_cmpx_ne_u16_e32 0, v6
	s_cbranch_execz .LBB289_58
; %bb.51:                               ;   in Loop: Header=BB289_10 Depth=1
	v_bfrev_b32_e32 v18, 1
	s_mov_b32 s30, exec_lo
	v_cmpx_ne_u16_e32 0x80, v6
	s_cbranch_execz .LBB289_57
; %bb.52:                               ;   in Loop: Header=BB289_10 Depth=1
	v_and_b32_e32 v19, 0xffff, v6
	v_mov_b32_e32 v18, 0x7c010000
	s_mov_b32 s31, exec_lo
	s_delay_alu instid0(VALU_DEP_2) | instskip(NEXT) | instid1(VALU_DEP_1)
	v_and_b32_e32 v21, 0x7f, v19
	v_cmpx_ne_u32_e32 0x7f, v21
	s_cbranch_execz .LBB289_56
; %bb.53:                               ;   in Loop: Header=BB289_10 Depth=1
	v_dual_lshrrev_b32 v20, 3, v21 :: v_dual_bitop2_b32 v18, 7, v19 bitop3:0x40
	s_mov_b32 s33, exec_lo
	v_cmpx_gt_u32_e32 8, v21
; %bb.54:                               ;   in Loop: Header=BB289_10 Depth=1
	s_delay_alu instid0(VALU_DEP_2) | instskip(NEXT) | instid1(VALU_DEP_1)
	v_clz_i32_u32_e32 v18, v18
	v_min_u32_e32 v18, 32, v18
	s_delay_alu instid0(VALU_DEP_1) | instskip(NEXT) | instid1(VALU_DEP_1)
	v_subrev_nc_u32_e32 v20, 28, v18
	v_lshlrev_b64_e32 v[22:23], v20, v[6:7]
	v_sub_nc_u32_e32 v20, 29, v18
	s_delay_alu instid0(VALU_DEP_2)
	v_and_b32_e32 v18, 7, v22
; %bb.55:                               ;   in Loop: Header=BB289_10 Depth=1
	s_or_b32 exec_lo, exec_lo, s33
	s_delay_alu instid0(VALU_DEP_1) | instskip(NEXT) | instid1(VALU_DEP_3)
	v_dual_lshlrev_b32 v6, 8, v19 :: v_dual_lshlrev_b32 v18, 23, v18
	v_lshl_add_u32 v19, v20, 10, 0x2000
	s_delay_alu instid0(VALU_DEP_1) | instskip(NEXT) | instid1(VALU_DEP_1)
	v_and_or_b32 v6, 0x8000, v6, v19
	v_lshl_or_b32 v18, v6, 16, v18
.LBB289_56:                             ;   in Loop: Header=BB289_10 Depth=1
	s_or_b32 exec_lo, exec_lo, s31
.LBB289_57:                             ;   in Loop: Header=BB289_10 Depth=1
	s_delay_alu instid0(SALU_CYCLE_1)
	s_or_b32 exec_lo, exec_lo, s30
.LBB289_58:                             ;   in Loop: Header=BB289_10 Depth=1
	s_delay_alu instid0(SALU_CYCLE_1) | instskip(SKIP_2) | instid1(VALU_DEP_1)
	s_or_b32 exec_lo, exec_lo, s29
	v_lshrrev_b32_e32 v6, 16, v5
	s_mov_b32 s29, exec_lo
	v_and_b32_e32 v19, 0xff, v6
	s_delay_alu instid0(VALU_DEP_1)
	v_cmpx_ne_u16_e32 0, v19
	s_cbranch_execz .LBB289_66
; %bb.59:                               ;   in Loop: Header=BB289_10 Depth=1
	v_mov_b32_e32 v17, 0x8000
	s_mov_b32 s30, exec_lo
	v_cmpx_ne_u16_e32 0x80, v19
	s_cbranch_execz .LBB289_65
; %bb.60:                               ;   in Loop: Header=BB289_10 Depth=1
	v_bfe_u32 v20, v5, 16, 7
	v_mov_b32_e32 v17, 0x7c01
	s_mov_b32 s31, exec_lo
	s_delay_alu instid0(VALU_DEP_2)
	v_cmpx_ne_u32_e32 0x7f, v20
	s_cbranch_execz .LBB289_64
; %bb.61:                               ;   in Loop: Header=BB289_10 Depth=1
	v_dual_lshrrev_b32 v19, 3, v20 :: v_dual_bitop2_b32 v17, 7, v6 bitop3:0x40
	s_mov_b32 s33, exec_lo
	v_cmpx_gt_u32_e32 8, v20
; %bb.62:                               ;   in Loop: Header=BB289_10 Depth=1
	s_delay_alu instid0(VALU_DEP_2) | instskip(NEXT) | instid1(VALU_DEP_1)
	v_clz_i32_u32_e32 v17, v17
	v_min_u32_e32 v17, 32, v17
	s_delay_alu instid0(VALU_DEP_1) | instskip(NEXT) | instid1(VALU_DEP_1)
	v_subrev_nc_u32_e32 v19, 28, v17
	v_lshlrev_b64_e32 v[20:21], v19, v[6:7]
	s_delay_alu instid0(VALU_DEP_1)
	v_dual_sub_nc_u32 v19, 29, v17 :: v_dual_bitop2_b32 v17, 7, v20 bitop3:0x40
; %bb.63:                               ;   in Loop: Header=BB289_10 Depth=1
	s_or_b32 exec_lo, exec_lo, s33
	s_delay_alu instid0(VALU_DEP_1) | instskip(NEXT) | instid1(VALU_DEP_2)
	v_dual_lshlrev_b32 v6, 8, v6 :: v_dual_lshlrev_b32 v17, 7, v17
	v_lshl_add_u32 v19, v19, 10, 0x2000
	s_delay_alu instid0(VALU_DEP_2) | instskip(NEXT) | instid1(VALU_DEP_2)
	v_and_b32_e32 v6, 0x8000, v6
	v_and_b32_e32 v19, 0xfc00, v19
	s_delay_alu instid0(VALU_DEP_1)
	v_or3_b32 v17, v6, v19, v17
.LBB289_64:                             ;   in Loop: Header=BB289_10 Depth=1
	s_or_b32 exec_lo, exec_lo, s31
.LBB289_65:                             ;   in Loop: Header=BB289_10 Depth=1
	s_delay_alu instid0(SALU_CYCLE_1)
	s_or_b32 exec_lo, exec_lo, s30
.LBB289_66:                             ;   in Loop: Header=BB289_10 Depth=1
	s_delay_alu instid0(SALU_CYCLE_1)
	s_or_b32 exec_lo, exec_lo, s29
	v_dual_mov_b32 v22, 0 :: v_dual_mov_b32 v19, 0
	s_mov_b32 s29, exec_lo
	v_cmpx_lt_u64_e64 s[20:21], v[4:5]
	s_cbranch_execz .LBB289_74
; %bb.67:                               ;   in Loop: Header=BB289_10 Depth=1
	v_lshrrev_b32_e32 v6, 24, v5
	v_bfrev_b32_e32 v19, 1
	s_mov_b32 s30, exec_lo
	s_delay_alu instid0(VALU_DEP_2)
	v_cmpx_ne_u32_e32 0x80, v6
	s_cbranch_execz .LBB289_73
; %bb.68:                               ;   in Loop: Header=BB289_10 Depth=1
	v_and_b32_e32 v20, 0x7f, v6
	v_mov_b32_e32 v19, 0x7c010000
	s_mov_b32 s31, exec_lo
	s_delay_alu instid0(VALU_DEP_2)
	v_cmpx_ne_u32_e32 0x7f, v20
	s_cbranch_execz .LBB289_72
; %bb.69:                               ;   in Loop: Header=BB289_10 Depth=1
	v_dual_lshrrev_b32 v5, 3, v20 :: v_dual_bitop2_b32 v4, 7, v6 bitop3:0x40
	s_mov_b32 s33, exec_lo
	v_cmpx_gt_u32_e32 8, v20
; %bb.70:                               ;   in Loop: Header=BB289_10 Depth=1
	s_delay_alu instid0(VALU_DEP_2) | instskip(NEXT) | instid1(VALU_DEP_1)
	v_clz_i32_u32_e32 v4, v4
	v_min_u32_e32 v19, 32, v4
	s_delay_alu instid0(VALU_DEP_1) | instskip(NEXT) | instid1(VALU_DEP_1)
	v_subrev_nc_u32_e32 v4, 28, v19
	v_lshlrev_b64_e32 v[4:5], v4, v[6:7]
	s_delay_alu instid0(VALU_DEP_1)
	v_dual_sub_nc_u32 v5, 29, v19 :: v_dual_bitop2_b32 v4, 7, v4 bitop3:0x40
; %bb.71:                               ;   in Loop: Header=BB289_10 Depth=1
	s_or_b32 exec_lo, exec_lo, s33
	s_delay_alu instid0(VALU_DEP_1) | instskip(NEXT) | instid1(VALU_DEP_2)
	v_dual_lshlrev_b32 v6, 8, v6 :: v_dual_lshlrev_b32 v4, 23, v4
	v_lshl_add_u32 v5, v5, 10, 0x2000
	s_delay_alu instid0(VALU_DEP_1) | instskip(NEXT) | instid1(VALU_DEP_1)
	v_and_or_b32 v5, 0x8000, v6, v5
	v_lshl_or_b32 v19, v5, 16, v4
.LBB289_72:                             ;   in Loop: Header=BB289_10 Depth=1
	s_or_b32 exec_lo, exec_lo, s31
.LBB289_73:                             ;   in Loop: Header=BB289_10 Depth=1
	s_delay_alu instid0(SALU_CYCLE_1)
	s_or_b32 exec_lo, exec_lo, s30
.LBB289_74:                             ;   in Loop: Header=BB289_10 Depth=1
	s_delay_alu instid0(SALU_CYCLE_1)
	s_or_b32 exec_lo, exec_lo, s29
	global_load_b64 v[4:5], v[2:3], off offset:8
	s_mov_b32 s29, exec_lo
	s_wait_loadcnt 0x0
	v_and_b32_e32 v6, 0xff, v4
	s_wait_xcnt 0x0
	s_delay_alu instid0(VALU_DEP_1)
	v_cmpx_ne_u16_e32 0, v6
	s_cbranch_execz .LBB289_82
; %bb.75:                               ;   in Loop: Header=BB289_10 Depth=1
	v_mov_b32_e32 v22, 0x8000
	s_mov_b32 s30, exec_lo
	v_cmpx_ne_u16_e32 0x80, v6
	s_cbranch_execz .LBB289_81
; %bb.76:                               ;   in Loop: Header=BB289_10 Depth=1
	v_and_b32_e32 v21, 0x7f, v4
	v_mov_b32_e32 v22, 0x7c01
	s_mov_b32 s31, exec_lo
	s_delay_alu instid0(VALU_DEP_2)
	v_cmpx_ne_u32_e32 0x7f, v21
	s_cbranch_execz .LBB289_80
; %bb.77:                               ;   in Loop: Header=BB289_10 Depth=1
	v_dual_lshrrev_b32 v20, 3, v21 :: v_dual_bitop2_b32 v6, 7, v4 bitop3:0x40
	s_mov_b32 s33, exec_lo
	v_cmpx_gt_u32_e32 8, v21
; %bb.78:                               ;   in Loop: Header=BB289_10 Depth=1
	s_delay_alu instid0(VALU_DEP_2) | instskip(NEXT) | instid1(VALU_DEP_1)
	v_clz_i32_u32_e32 v6, v6
	v_min_u32_e32 v6, 32, v6
	s_delay_alu instid0(VALU_DEP_1) | instskip(NEXT) | instid1(VALU_DEP_1)
	v_subrev_nc_u32_e32 v20, 28, v6
	v_lshlrev_b64_e32 v[22:23], v20, v[4:5]
	v_sub_nc_u32_e32 v20, 29, v6
	s_delay_alu instid0(VALU_DEP_2)
	v_and_b32_e32 v6, 7, v22
; %bb.79:                               ;   in Loop: Header=BB289_10 Depth=1
	s_or_b32 exec_lo, exec_lo, s33
	s_delay_alu instid0(VALU_DEP_1) | instskip(NEXT) | instid1(VALU_DEP_3)
	v_dual_lshlrev_b32 v21, 8, v4 :: v_dual_lshlrev_b32 v6, 7, v6
	v_lshl_add_u32 v20, v20, 10, 0x2000
	s_delay_alu instid0(VALU_DEP_2) | instskip(NEXT) | instid1(VALU_DEP_2)
	v_and_b32_e32 v21, 0x8000, v21
	v_and_b32_e32 v20, 0xfc00, v20
	s_delay_alu instid0(VALU_DEP_1)
	v_or3_b32 v22, v21, v20, v6
.LBB289_80:                             ;   in Loop: Header=BB289_10 Depth=1
	s_or_b32 exec_lo, exec_lo, s31
.LBB289_81:                             ;   in Loop: Header=BB289_10 Depth=1
	s_delay_alu instid0(SALU_CYCLE_1)
	s_or_b32 exec_lo, exec_lo, s30
.LBB289_82:                             ;   in Loop: Header=BB289_10 Depth=1
	s_delay_alu instid0(SALU_CYCLE_1) | instskip(SKIP_3) | instid1(VALU_DEP_2)
	s_or_b32 exec_lo, exec_lo, s29
	v_lshrrev_b16 v6, 8, v4
	v_dual_mov_b32 v24, 0 :: v_dual_mov_b32 v23, 0
	s_mov_b32 s29, exec_lo
	v_cmpx_ne_u16_e32 0, v6
	s_cbranch_execz .LBB289_90
; %bb.83:                               ;   in Loop: Header=BB289_10 Depth=1
	v_bfrev_b32_e32 v23, 1
	s_mov_b32 s30, exec_lo
	v_cmpx_ne_u16_e32 0x80, v6
	s_cbranch_execz .LBB289_89
; %bb.84:                               ;   in Loop: Header=BB289_10 Depth=1
	v_and_b32_e32 v20, 0xffff, v6
	v_mov_b32_e32 v23, 0x7c010000
	s_mov_b32 s31, exec_lo
	s_delay_alu instid0(VALU_DEP_2) | instskip(NEXT) | instid1(VALU_DEP_1)
	v_and_b32_e32 v25, 0x7f, v20
	v_cmpx_ne_u32_e32 0x7f, v25
	s_cbranch_execz .LBB289_88
; %bb.85:                               ;   in Loop: Header=BB289_10 Depth=1
	v_dual_lshrrev_b32 v23, 3, v25 :: v_dual_bitop2_b32 v21, 7, v20 bitop3:0x40
	s_mov_b32 s33, exec_lo
	v_cmpx_gt_u32_e32 8, v25
; %bb.86:                               ;   in Loop: Header=BB289_10 Depth=1
	s_delay_alu instid0(VALU_DEP_2) | instskip(NEXT) | instid1(VALU_DEP_1)
	v_clz_i32_u32_e32 v21, v21
	v_min_u32_e32 v21, 32, v21
	s_delay_alu instid0(VALU_DEP_1) | instskip(NEXT) | instid1(VALU_DEP_1)
	v_subrev_nc_u32_e32 v23, 28, v21
	v_lshlrev_b64_e32 v[26:27], v23, v[6:7]
	s_delay_alu instid0(VALU_DEP_1)
	v_dual_sub_nc_u32 v23, 29, v21 :: v_dual_bitop2_b32 v21, 7, v26 bitop3:0x40
; %bb.87:                               ;   in Loop: Header=BB289_10 Depth=1
	s_or_b32 exec_lo, exec_lo, s33
	v_lshlrev_b32_e32 v6, 8, v20
	s_delay_alu instid0(VALU_DEP_2) | instskip(NEXT) | instid1(VALU_DEP_1)
	v_lshl_add_u32 v20, v23, 10, 0x2000
	v_and_or_b32 v6, 0x8000, v6, v20
	v_lshlrev_b32_e32 v20, 23, v21
	s_delay_alu instid0(VALU_DEP_1)
	v_lshl_or_b32 v23, v6, 16, v20
.LBB289_88:                             ;   in Loop: Header=BB289_10 Depth=1
	s_or_b32 exec_lo, exec_lo, s31
.LBB289_89:                             ;   in Loop: Header=BB289_10 Depth=1
	s_delay_alu instid0(SALU_CYCLE_1)
	s_or_b32 exec_lo, exec_lo, s30
.LBB289_90:                             ;   in Loop: Header=BB289_10 Depth=1
	s_delay_alu instid0(SALU_CYCLE_1) | instskip(SKIP_2) | instid1(VALU_DEP_1)
	s_or_b32 exec_lo, exec_lo, s29
	v_lshrrev_b32_e32 v6, 16, v4
	s_mov_b32 s29, exec_lo
	v_and_b32_e32 v20, 0xff, v6
	s_delay_alu instid0(VALU_DEP_1)
	v_cmpx_ne_u16_e32 0, v20
	s_cbranch_execz .LBB289_98
; %bb.91:                               ;   in Loop: Header=BB289_10 Depth=1
	v_mov_b32_e32 v24, 0x8000
	s_mov_b32 s30, exec_lo
	v_cmpx_ne_u16_e32 0x80, v20
	s_cbranch_execz .LBB289_97
; %bb.92:                               ;   in Loop: Header=BB289_10 Depth=1
	v_bfe_u32 v25, v4, 16, 7
	v_mov_b32_e32 v24, 0x7c01
	s_mov_b32 s31, exec_lo
	s_delay_alu instid0(VALU_DEP_2)
	v_cmpx_ne_u32_e32 0x7f, v25
	s_cbranch_execz .LBB289_96
; %bb.93:                               ;   in Loop: Header=BB289_10 Depth=1
	v_dual_lshrrev_b32 v21, 3, v25 :: v_dual_bitop2_b32 v20, 7, v6 bitop3:0x40
	s_mov_b32 s33, exec_lo
	v_cmpx_gt_u32_e32 8, v25
; %bb.94:                               ;   in Loop: Header=BB289_10 Depth=1
	s_delay_alu instid0(VALU_DEP_2) | instskip(NEXT) | instid1(VALU_DEP_1)
	v_clz_i32_u32_e32 v20, v20
	v_min_u32_e32 v24, 32, v20
	s_delay_alu instid0(VALU_DEP_1) | instskip(NEXT) | instid1(VALU_DEP_1)
	v_subrev_nc_u32_e32 v20, 28, v24
	v_lshlrev_b64_e32 v[20:21], v20, v[6:7]
	v_sub_nc_u32_e32 v21, 29, v24
	s_delay_alu instid0(VALU_DEP_2)
	v_and_b32_e32 v20, 7, v20
; %bb.95:                               ;   in Loop: Header=BB289_10 Depth=1
	s_or_b32 exec_lo, exec_lo, s33
	s_delay_alu instid0(VALU_DEP_1) | instskip(NEXT) | instid1(VALU_DEP_3)
	v_dual_lshlrev_b32 v6, 8, v6 :: v_dual_lshlrev_b32 v20, 7, v20
	v_lshl_add_u32 v21, v21, 10, 0x2000
	s_delay_alu instid0(VALU_DEP_2) | instskip(NEXT) | instid1(VALU_DEP_2)
	v_and_b32_e32 v6, 0x8000, v6
	v_and_b32_e32 v21, 0xfc00, v21
	s_delay_alu instid0(VALU_DEP_1)
	v_or3_b32 v24, v6, v21, v20
.LBB289_96:                             ;   in Loop: Header=BB289_10 Depth=1
	s_or_b32 exec_lo, exec_lo, s31
.LBB289_97:                             ;   in Loop: Header=BB289_10 Depth=1
	s_delay_alu instid0(SALU_CYCLE_1)
	s_or_b32 exec_lo, exec_lo, s30
.LBB289_98:                             ;   in Loop: Header=BB289_10 Depth=1
	s_delay_alu instid0(SALU_CYCLE_1)
	s_or_b32 exec_lo, exec_lo, s29
	v_dual_mov_b32 v25, 0 :: v_dual_mov_b32 v28, 0
	s_mov_b32 s29, exec_lo
	v_cmpx_lt_u32_e32 0xffffff, v4
	s_cbranch_execz .LBB289_106
; %bb.99:                               ;   in Loop: Header=BB289_10 Depth=1
	v_lshrrev_b32_e32 v6, 24, v4
	v_bfrev_b32_e32 v28, 1
	s_mov_b32 s30, exec_lo
	s_delay_alu instid0(VALU_DEP_2)
	v_cmpx_ne_u32_e32 0x80, v6
	s_cbranch_execz .LBB289_105
; %bb.100:                              ;   in Loop: Header=BB289_10 Depth=1
	v_and_b32_e32 v26, 0x7f, v6
	v_mov_b32_e32 v28, 0x7c010000
	s_mov_b32 s31, exec_lo
	s_delay_alu instid0(VALU_DEP_2)
	v_cmpx_ne_u32_e32 0x7f, v26
	s_cbranch_execz .LBB289_104
; %bb.101:                              ;   in Loop: Header=BB289_10 Depth=1
	v_and_b32_e32 v20, 7, v6
	v_lshrrev_b32_e32 v21, 3, v26
	s_mov_b32 s33, exec_lo
	v_cmpx_gt_u32_e32 8, v26
; %bb.102:                              ;   in Loop: Header=BB289_10 Depth=1
	s_delay_alu instid0(VALU_DEP_3) | instskip(NEXT) | instid1(VALU_DEP_1)
	v_clz_i32_u32_e32 v20, v20
	v_min_u32_e32 v26, 32, v20
	s_delay_alu instid0(VALU_DEP_1) | instskip(NEXT) | instid1(VALU_DEP_1)
	v_subrev_nc_u32_e32 v20, 28, v26
	v_lshlrev_b64_e32 v[20:21], v20, v[6:7]
	s_delay_alu instid0(VALU_DEP_1)
	v_dual_sub_nc_u32 v21, 29, v26 :: v_dual_bitop2_b32 v20, 7, v20 bitop3:0x40
; %bb.103:                              ;   in Loop: Header=BB289_10 Depth=1
	s_or_b32 exec_lo, exec_lo, s33
	s_delay_alu instid0(VALU_DEP_1) | instskip(NEXT) | instid1(VALU_DEP_2)
	v_dual_lshlrev_b32 v6, 8, v6 :: v_dual_lshlrev_b32 v20, 23, v20
	v_lshl_add_u32 v21, v21, 10, 0x2000
	s_delay_alu instid0(VALU_DEP_1) | instskip(NEXT) | instid1(VALU_DEP_1)
	v_and_or_b32 v6, 0x8000, v6, v21
	v_lshl_or_b32 v28, v6, 16, v20
.LBB289_104:                            ;   in Loop: Header=BB289_10 Depth=1
	s_or_b32 exec_lo, exec_lo, s31
.LBB289_105:                            ;   in Loop: Header=BB289_10 Depth=1
	s_delay_alu instid0(SALU_CYCLE_1)
	s_or_b32 exec_lo, exec_lo, s30
.LBB289_106:                            ;   in Loop: Header=BB289_10 Depth=1
	s_delay_alu instid0(SALU_CYCLE_1) | instskip(SKIP_3) | instid1(VALU_DEP_2)
	s_or_b32 exec_lo, exec_lo, s29
	v_and_b32_e32 v20, 0xff, v5
	v_mov_b32_e32 v6, v5
	s_mov_b32 s29, exec_lo
	v_cmpx_ne_u16_e32 0, v20
	s_cbranch_execz .LBB289_114
; %bb.107:                              ;   in Loop: Header=BB289_10 Depth=1
	v_mov_b32_e32 v25, 0x8000
	s_mov_b32 s30, exec_lo
	v_cmpx_ne_u16_e32 0x80, v20
	s_cbranch_execz .LBB289_113
; %bb.108:                              ;   in Loop: Header=BB289_10 Depth=1
	v_and_b32_e32 v26, 0x7f, v5
	v_mov_b32_e32 v25, 0x7c01
	s_mov_b32 s31, exec_lo
	s_delay_alu instid0(VALU_DEP_2)
	v_cmpx_ne_u32_e32 0x7f, v26
	s_cbranch_execz .LBB289_112
; %bb.109:                              ;   in Loop: Header=BB289_10 Depth=1
	v_dual_lshrrev_b32 v21, 3, v26 :: v_dual_bitop2_b32 v20, 7, v5 bitop3:0x40
	s_mov_b32 s33, exec_lo
	v_cmpx_gt_u32_e32 8, v26
; %bb.110:                              ;   in Loop: Header=BB289_10 Depth=1
	s_delay_alu instid0(VALU_DEP_2) | instskip(NEXT) | instid1(VALU_DEP_1)
	v_clz_i32_u32_e32 v20, v20
	v_min_u32_e32 v25, 32, v20
	s_delay_alu instid0(VALU_DEP_1) | instskip(NEXT) | instid1(VALU_DEP_1)
	v_subrev_nc_u32_e32 v20, 28, v25
	v_lshlrev_b64_e32 v[20:21], v20, v[6:7]
	s_delay_alu instid0(VALU_DEP_1)
	v_dual_sub_nc_u32 v21, 29, v25 :: v_dual_bitop2_b32 v20, 7, v20 bitop3:0x40
; %bb.111:                              ;   in Loop: Header=BB289_10 Depth=1
	s_or_b32 exec_lo, exec_lo, s33
	s_delay_alu instid0(VALU_DEP_1) | instskip(NEXT) | instid1(VALU_DEP_2)
	v_dual_lshlrev_b32 v25, 8, v5 :: v_dual_lshlrev_b32 v20, 7, v20
	v_lshl_add_u32 v21, v21, 10, 0x2000
	s_delay_alu instid0(VALU_DEP_2) | instskip(NEXT) | instid1(VALU_DEP_2)
	v_and_b32_e32 v25, 0x8000, v25
	v_and_b32_e32 v21, 0xfc00, v21
	s_delay_alu instid0(VALU_DEP_1)
	v_or3_b32 v25, v25, v21, v20
.LBB289_112:                            ;   in Loop: Header=BB289_10 Depth=1
	s_or_b32 exec_lo, exec_lo, s31
.LBB289_113:                            ;   in Loop: Header=BB289_10 Depth=1
	s_delay_alu instid0(SALU_CYCLE_1)
	s_or_b32 exec_lo, exec_lo, s30
.LBB289_114:                            ;   in Loop: Header=BB289_10 Depth=1
	s_delay_alu instid0(SALU_CYCLE_1) | instskip(SKIP_3) | instid1(VALU_DEP_2)
	s_or_b32 exec_lo, exec_lo, s29
	v_lshrrev_b16 v6, 8, v6
	v_dual_mov_b32 v30, 0 :: v_dual_mov_b32 v29, 0
	s_mov_b32 s29, exec_lo
	v_cmpx_ne_u16_e32 0, v6
	s_cbranch_execz .LBB289_122
; %bb.115:                              ;   in Loop: Header=BB289_10 Depth=1
	v_bfrev_b32_e32 v29, 1
	s_mov_b32 s30, exec_lo
	v_cmpx_ne_u16_e32 0x80, v6
	s_cbranch_execz .LBB289_121
; %bb.116:                              ;   in Loop: Header=BB289_10 Depth=1
	v_and_b32_e32 v20, 0xffff, v6
	v_mov_b32_e32 v29, 0x7c010000
	s_mov_b32 s31, exec_lo
	s_delay_alu instid0(VALU_DEP_2) | instskip(NEXT) | instid1(VALU_DEP_1)
	v_and_b32_e32 v27, 0x7f, v20
	v_cmpx_ne_u32_e32 0x7f, v27
	s_cbranch_execz .LBB289_120
; %bb.117:                              ;   in Loop: Header=BB289_10 Depth=1
	v_dual_lshrrev_b32 v26, 3, v27 :: v_dual_bitop2_b32 v21, 7, v20 bitop3:0x40
	s_mov_b32 s33, exec_lo
	v_cmpx_gt_u32_e32 8, v27
; %bb.118:                              ;   in Loop: Header=BB289_10 Depth=1
	s_delay_alu instid0(VALU_DEP_2) | instskip(NEXT) | instid1(VALU_DEP_1)
	v_clz_i32_u32_e32 v21, v21
	v_min_u32_e32 v21, 32, v21
	s_delay_alu instid0(VALU_DEP_1) | instskip(NEXT) | instid1(VALU_DEP_1)
	v_subrev_nc_u32_e32 v26, 28, v21
	v_lshlrev_b64_e32 v[32:33], v26, v[6:7]
	s_delay_alu instid0(VALU_DEP_1)
	v_dual_sub_nc_u32 v26, 29, v21 :: v_dual_bitop2_b32 v21, 7, v32 bitop3:0x40
; %bb.119:                              ;   in Loop: Header=BB289_10 Depth=1
	s_or_b32 exec_lo, exec_lo, s33
	v_lshlrev_b32_e32 v6, 8, v20
	s_delay_alu instid0(VALU_DEP_2) | instskip(NEXT) | instid1(VALU_DEP_1)
	v_lshl_add_u32 v20, v26, 10, 0x2000
	v_and_or_b32 v6, 0x8000, v6, v20
	v_lshlrev_b32_e32 v20, 23, v21
	s_delay_alu instid0(VALU_DEP_1)
	v_lshl_or_b32 v29, v6, 16, v20
.LBB289_120:                            ;   in Loop: Header=BB289_10 Depth=1
	s_or_b32 exec_lo, exec_lo, s31
.LBB289_121:                            ;   in Loop: Header=BB289_10 Depth=1
	s_delay_alu instid0(SALU_CYCLE_1)
	s_or_b32 exec_lo, exec_lo, s30
.LBB289_122:                            ;   in Loop: Header=BB289_10 Depth=1
	s_delay_alu instid0(SALU_CYCLE_1) | instskip(SKIP_2) | instid1(VALU_DEP_1)
	s_or_b32 exec_lo, exec_lo, s29
	v_lshrrev_b32_e32 v6, 16, v5
	s_mov_b32 s29, exec_lo
	v_and_b32_e32 v20, 0xff, v6
	s_delay_alu instid0(VALU_DEP_1)
	v_cmpx_ne_u16_e32 0, v20
	s_cbranch_execz .LBB289_130
; %bb.123:                              ;   in Loop: Header=BB289_10 Depth=1
	v_mov_b32_e32 v30, 0x8000
	s_mov_b32 s30, exec_lo
	v_cmpx_ne_u16_e32 0x80, v20
	s_cbranch_execz .LBB289_129
; %bb.124:                              ;   in Loop: Header=BB289_10 Depth=1
	v_bfe_u32 v26, v5, 16, 7
	v_mov_b32_e32 v30, 0x7c01
	s_mov_b32 s31, exec_lo
	s_delay_alu instid0(VALU_DEP_2)
	v_cmpx_ne_u32_e32 0x7f, v26
	s_cbranch_execz .LBB289_128
; %bb.125:                              ;   in Loop: Header=BB289_10 Depth=1
	v_and_b32_e32 v20, 7, v6
	v_lshrrev_b32_e32 v21, 3, v26
	s_mov_b32 s33, exec_lo
	v_cmpx_gt_u32_e32 8, v26
; %bb.126:                              ;   in Loop: Header=BB289_10 Depth=1
	s_delay_alu instid0(VALU_DEP_3) | instskip(NEXT) | instid1(VALU_DEP_1)
	v_clz_i32_u32_e32 v20, v20
	v_min_u32_e32 v26, 32, v20
	s_delay_alu instid0(VALU_DEP_1) | instskip(NEXT) | instid1(VALU_DEP_1)
	v_subrev_nc_u32_e32 v20, 28, v26
	v_lshlrev_b64_e32 v[20:21], v20, v[6:7]
	s_delay_alu instid0(VALU_DEP_1)
	v_dual_sub_nc_u32 v21, 29, v26 :: v_dual_bitop2_b32 v20, 7, v20 bitop3:0x40
; %bb.127:                              ;   in Loop: Header=BB289_10 Depth=1
	s_or_b32 exec_lo, exec_lo, s33
	s_delay_alu instid0(VALU_DEP_1) | instskip(NEXT) | instid1(VALU_DEP_2)
	v_dual_lshlrev_b32 v6, 8, v6 :: v_dual_lshlrev_b32 v20, 7, v20
	v_lshl_add_u32 v21, v21, 10, 0x2000
	s_delay_alu instid0(VALU_DEP_2) | instskip(NEXT) | instid1(VALU_DEP_2)
	v_and_b32_e32 v6, 0x8000, v6
	v_and_b32_e32 v21, 0xfc00, v21
	s_delay_alu instid0(VALU_DEP_1)
	v_or3_b32 v30, v6, v21, v20
.LBB289_128:                            ;   in Loop: Header=BB289_10 Depth=1
	s_or_b32 exec_lo, exec_lo, s31
.LBB289_129:                            ;   in Loop: Header=BB289_10 Depth=1
	s_delay_alu instid0(SALU_CYCLE_1)
	s_or_b32 exec_lo, exec_lo, s30
.LBB289_130:                            ;   in Loop: Header=BB289_10 Depth=1
	s_delay_alu instid0(SALU_CYCLE_1)
	s_or_b32 exec_lo, exec_lo, s29
	v_dual_mov_b32 v40, 0 :: v_dual_mov_b32 v31, 0
	s_mov_b32 s29, exec_lo
	v_cmpx_lt_u64_e64 s[20:21], v[4:5]
	s_cbranch_execz .LBB289_138
; %bb.131:                              ;   in Loop: Header=BB289_10 Depth=1
	v_lshrrev_b32_e32 v6, 24, v5
	v_bfrev_b32_e32 v31, 1
	s_mov_b32 s30, exec_lo
	s_delay_alu instid0(VALU_DEP_2)
	v_cmpx_ne_u32_e32 0x80, v6
	s_cbranch_execz .LBB289_137
; %bb.132:                              ;   in Loop: Header=BB289_10 Depth=1
	v_and_b32_e32 v20, 0x7f, v6
	v_mov_b32_e32 v31, 0x7c010000
	s_mov_b32 s31, exec_lo
	s_delay_alu instid0(VALU_DEP_2)
	v_cmpx_ne_u32_e32 0x7f, v20
	s_cbranch_execz .LBB289_136
; %bb.133:                              ;   in Loop: Header=BB289_10 Depth=1
	v_dual_lshrrev_b32 v5, 3, v20 :: v_dual_bitop2_b32 v4, 7, v6 bitop3:0x40
	s_mov_b32 s33, exec_lo
	v_cmpx_gt_u32_e32 8, v20
; %bb.134:                              ;   in Loop: Header=BB289_10 Depth=1
	s_delay_alu instid0(VALU_DEP_2) | instskip(NEXT) | instid1(VALU_DEP_1)
	v_clz_i32_u32_e32 v4, v4
	v_min_u32_e32 v20, 32, v4
	s_delay_alu instid0(VALU_DEP_1) | instskip(NEXT) | instid1(VALU_DEP_1)
	v_subrev_nc_u32_e32 v4, 28, v20
	v_lshlrev_b64_e32 v[4:5], v4, v[6:7]
	v_sub_nc_u32_e32 v5, 29, v20
	s_delay_alu instid0(VALU_DEP_2)
	v_and_b32_e32 v4, 7, v4
; %bb.135:                              ;   in Loop: Header=BB289_10 Depth=1
	s_or_b32 exec_lo, exec_lo, s33
	s_delay_alu instid0(VALU_DEP_1) | instskip(NEXT) | instid1(VALU_DEP_3)
	v_dual_lshlrev_b32 v6, 8, v6 :: v_dual_lshlrev_b32 v4, 23, v4
	v_lshl_add_u32 v5, v5, 10, 0x2000
	s_delay_alu instid0(VALU_DEP_1) | instskip(NEXT) | instid1(VALU_DEP_1)
	v_and_or_b32 v5, 0x8000, v6, v5
	v_lshl_or_b32 v31, v5, 16, v4
.LBB289_136:                            ;   in Loop: Header=BB289_10 Depth=1
	s_or_b32 exec_lo, exec_lo, s31
.LBB289_137:                            ;   in Loop: Header=BB289_10 Depth=1
	s_delay_alu instid0(SALU_CYCLE_1)
	s_or_b32 exec_lo, exec_lo, s30
.LBB289_138:                            ;   in Loop: Header=BB289_10 Depth=1
	s_delay_alu instid0(SALU_CYCLE_1)
	s_or_b32 exec_lo, exec_lo, s29
	global_load_b64 v[4:5], v[2:3], off offset:512
	s_mov_b32 s29, exec_lo
	s_wait_loadcnt 0x0
	v_and_b32_e32 v6, 0xff, v4
	s_wait_xcnt 0x0
	s_delay_alu instid0(VALU_DEP_1)
	v_cmpx_ne_u16_e32 0, v6
	s_cbranch_execz .LBB289_146
; %bb.139:                              ;   in Loop: Header=BB289_10 Depth=1
	v_mov_b32_e32 v40, 0x8000
	s_mov_b32 s30, exec_lo
	v_cmpx_ne_u16_e32 0x80, v6
	s_cbranch_execz .LBB289_145
; %bb.140:                              ;   in Loop: Header=BB289_10 Depth=1
	v_and_b32_e32 v21, 0x7f, v4
	v_mov_b32_e32 v40, 0x7c01
	s_mov_b32 s31, exec_lo
	s_delay_alu instid0(VALU_DEP_2)
	v_cmpx_ne_u32_e32 0x7f, v21
	s_cbranch_execz .LBB289_144
; %bb.141:                              ;   in Loop: Header=BB289_10 Depth=1
	v_dual_lshrrev_b32 v20, 3, v21 :: v_dual_bitop2_b32 v6, 7, v4 bitop3:0x40
	s_mov_b32 s33, exec_lo
	v_cmpx_gt_u32_e32 8, v21
; %bb.142:                              ;   in Loop: Header=BB289_10 Depth=1
	s_delay_alu instid0(VALU_DEP_2) | instskip(NEXT) | instid1(VALU_DEP_1)
	v_clz_i32_u32_e32 v6, v6
	v_min_u32_e32 v6, 32, v6
	s_delay_alu instid0(VALU_DEP_1) | instskip(NEXT) | instid1(VALU_DEP_1)
	v_subrev_nc_u32_e32 v20, 28, v6
	v_lshlrev_b64_e32 v[26:27], v20, v[4:5]
	v_sub_nc_u32_e32 v20, 29, v6
	s_delay_alu instid0(VALU_DEP_2)
	v_and_b32_e32 v6, 7, v26
; %bb.143:                              ;   in Loop: Header=BB289_10 Depth=1
	s_or_b32 exec_lo, exec_lo, s33
	s_delay_alu instid0(VALU_DEP_1) | instskip(NEXT) | instid1(VALU_DEP_3)
	v_dual_lshlrev_b32 v21, 8, v4 :: v_dual_lshlrev_b32 v6, 7, v6
	v_lshl_add_u32 v20, v20, 10, 0x2000
	s_delay_alu instid0(VALU_DEP_2) | instskip(NEXT) | instid1(VALU_DEP_2)
	v_and_b32_e32 v21, 0x8000, v21
	v_and_b32_e32 v20, 0xfc00, v20
	s_delay_alu instid0(VALU_DEP_1)
	v_or3_b32 v40, v21, v20, v6
.LBB289_144:                            ;   in Loop: Header=BB289_10 Depth=1
	s_or_b32 exec_lo, exec_lo, s31
.LBB289_145:                            ;   in Loop: Header=BB289_10 Depth=1
	s_delay_alu instid0(SALU_CYCLE_1)
	s_or_b32 exec_lo, exec_lo, s30
.LBB289_146:                            ;   in Loop: Header=BB289_10 Depth=1
	s_delay_alu instid0(SALU_CYCLE_1) | instskip(SKIP_3) | instid1(VALU_DEP_2)
	s_or_b32 exec_lo, exec_lo, s29
	v_lshrrev_b16 v6, 8, v4
	v_dual_mov_b32 v42, 0 :: v_dual_mov_b32 v41, 0
	s_mov_b32 s29, exec_lo
	v_cmpx_ne_u16_e32 0, v6
	s_cbranch_execz .LBB289_154
; %bb.147:                              ;   in Loop: Header=BB289_10 Depth=1
	v_bfrev_b32_e32 v41, 1
	s_mov_b32 s30, exec_lo
	v_cmpx_ne_u16_e32 0x80, v6
	s_cbranch_execz .LBB289_153
; %bb.148:                              ;   in Loop: Header=BB289_10 Depth=1
	v_and_b32_e32 v20, 0xffff, v6
	v_mov_b32_e32 v41, 0x7c010000
	s_mov_b32 s31, exec_lo
	s_delay_alu instid0(VALU_DEP_2) | instskip(NEXT) | instid1(VALU_DEP_1)
	v_and_b32_e32 v27, 0x7f, v20
	v_cmpx_ne_u32_e32 0x7f, v27
	s_cbranch_execz .LBB289_152
; %bb.149:                              ;   in Loop: Header=BB289_10 Depth=1
	v_dual_lshrrev_b32 v26, 3, v27 :: v_dual_bitop2_b32 v21, 7, v20 bitop3:0x40
	s_mov_b32 s33, exec_lo
	v_cmpx_gt_u32_e32 8, v27
; %bb.150:                              ;   in Loop: Header=BB289_10 Depth=1
	s_delay_alu instid0(VALU_DEP_2) | instskip(NEXT) | instid1(VALU_DEP_1)
	v_clz_i32_u32_e32 v21, v21
	v_min_u32_e32 v21, 32, v21
	s_delay_alu instid0(VALU_DEP_1) | instskip(NEXT) | instid1(VALU_DEP_1)
	v_subrev_nc_u32_e32 v26, 28, v21
	v_lshlrev_b64_e32 v[32:33], v26, v[6:7]
	s_delay_alu instid0(VALU_DEP_1)
	v_dual_sub_nc_u32 v26, 29, v21 :: v_dual_bitop2_b32 v21, 7, v32 bitop3:0x40
; %bb.151:                              ;   in Loop: Header=BB289_10 Depth=1
	s_or_b32 exec_lo, exec_lo, s33
	v_lshlrev_b32_e32 v6, 8, v20
	s_delay_alu instid0(VALU_DEP_2) | instskip(NEXT) | instid1(VALU_DEP_1)
	v_lshl_add_u32 v20, v26, 10, 0x2000
	v_and_or_b32 v6, 0x8000, v6, v20
	v_lshlrev_b32_e32 v20, 23, v21
	s_delay_alu instid0(VALU_DEP_1)
	v_lshl_or_b32 v41, v6, 16, v20
.LBB289_152:                            ;   in Loop: Header=BB289_10 Depth=1
	s_or_b32 exec_lo, exec_lo, s31
.LBB289_153:                            ;   in Loop: Header=BB289_10 Depth=1
	s_delay_alu instid0(SALU_CYCLE_1)
	s_or_b32 exec_lo, exec_lo, s30
.LBB289_154:                            ;   in Loop: Header=BB289_10 Depth=1
	s_delay_alu instid0(SALU_CYCLE_1) | instskip(SKIP_2) | instid1(VALU_DEP_1)
	s_or_b32 exec_lo, exec_lo, s29
	v_lshrrev_b32_e32 v6, 16, v4
	s_mov_b32 s29, exec_lo
	v_and_b32_e32 v20, 0xff, v6
	s_delay_alu instid0(VALU_DEP_1)
	v_cmpx_ne_u16_e32 0, v20
	s_cbranch_execz .LBB289_162
; %bb.155:                              ;   in Loop: Header=BB289_10 Depth=1
	v_mov_b32_e32 v42, 0x8000
	s_mov_b32 s30, exec_lo
	v_cmpx_ne_u16_e32 0x80, v20
	s_cbranch_execz .LBB289_161
; %bb.156:                              ;   in Loop: Header=BB289_10 Depth=1
	v_bfe_u32 v26, v4, 16, 7
	v_mov_b32_e32 v42, 0x7c01
	s_mov_b32 s31, exec_lo
	s_delay_alu instid0(VALU_DEP_2)
	v_cmpx_ne_u32_e32 0x7f, v26
	s_cbranch_execz .LBB289_160
; %bb.157:                              ;   in Loop: Header=BB289_10 Depth=1
	v_and_b32_e32 v20, 7, v6
	v_lshrrev_b32_e32 v21, 3, v26
	s_mov_b32 s33, exec_lo
	v_cmpx_gt_u32_e32 8, v26
; %bb.158:                              ;   in Loop: Header=BB289_10 Depth=1
	s_delay_alu instid0(VALU_DEP_3) | instskip(NEXT) | instid1(VALU_DEP_1)
	v_clz_i32_u32_e32 v20, v20
	v_min_u32_e32 v26, 32, v20
	s_delay_alu instid0(VALU_DEP_1) | instskip(NEXT) | instid1(VALU_DEP_1)
	v_subrev_nc_u32_e32 v20, 28, v26
	v_lshlrev_b64_e32 v[20:21], v20, v[6:7]
	s_delay_alu instid0(VALU_DEP_1)
	v_dual_sub_nc_u32 v21, 29, v26 :: v_dual_bitop2_b32 v20, 7, v20 bitop3:0x40
; %bb.159:                              ;   in Loop: Header=BB289_10 Depth=1
	s_or_b32 exec_lo, exec_lo, s33
	s_delay_alu instid0(VALU_DEP_1) | instskip(NEXT) | instid1(VALU_DEP_2)
	v_dual_lshlrev_b32 v6, 8, v6 :: v_dual_lshlrev_b32 v20, 7, v20
	v_lshl_add_u32 v21, v21, 10, 0x2000
	s_delay_alu instid0(VALU_DEP_2) | instskip(NEXT) | instid1(VALU_DEP_2)
	v_and_b32_e32 v6, 0x8000, v6
	v_and_b32_e32 v21, 0xfc00, v21
	s_delay_alu instid0(VALU_DEP_1)
	v_or3_b32 v42, v6, v21, v20
.LBB289_160:                            ;   in Loop: Header=BB289_10 Depth=1
	s_or_b32 exec_lo, exec_lo, s31
.LBB289_161:                            ;   in Loop: Header=BB289_10 Depth=1
	s_delay_alu instid0(SALU_CYCLE_1)
	s_or_b32 exec_lo, exec_lo, s30
.LBB289_162:                            ;   in Loop: Header=BB289_10 Depth=1
	s_delay_alu instid0(SALU_CYCLE_1)
	s_or_b32 exec_lo, exec_lo, s29
	v_dual_mov_b32 v43, 0 :: v_dual_mov_b32 v44, 0
	s_mov_b32 s29, exec_lo
	v_cmpx_lt_u32_e32 0xffffff, v4
	s_cbranch_execz .LBB289_170
; %bb.163:                              ;   in Loop: Header=BB289_10 Depth=1
	v_lshrrev_b32_e32 v6, 24, v4
	v_bfrev_b32_e32 v44, 1
	s_mov_b32 s30, exec_lo
	s_delay_alu instid0(VALU_DEP_2)
	v_cmpx_ne_u32_e32 0x80, v6
	s_cbranch_execz .LBB289_169
; %bb.164:                              ;   in Loop: Header=BB289_10 Depth=1
	v_and_b32_e32 v26, 0x7f, v6
	v_mov_b32_e32 v44, 0x7c010000
	s_mov_b32 s31, exec_lo
	s_delay_alu instid0(VALU_DEP_2)
	v_cmpx_ne_u32_e32 0x7f, v26
	s_cbranch_execz .LBB289_168
; %bb.165:                              ;   in Loop: Header=BB289_10 Depth=1
	v_and_b32_e32 v20, 7, v6
	v_lshrrev_b32_e32 v21, 3, v26
	s_mov_b32 s33, exec_lo
	v_cmpx_gt_u32_e32 8, v26
; %bb.166:                              ;   in Loop: Header=BB289_10 Depth=1
	s_delay_alu instid0(VALU_DEP_3) | instskip(NEXT) | instid1(VALU_DEP_1)
	v_clz_i32_u32_e32 v20, v20
	v_min_u32_e32 v26, 32, v20
	s_delay_alu instid0(VALU_DEP_1) | instskip(NEXT) | instid1(VALU_DEP_1)
	v_subrev_nc_u32_e32 v20, 28, v26
	v_lshlrev_b64_e32 v[20:21], v20, v[6:7]
	s_delay_alu instid0(VALU_DEP_1)
	v_dual_sub_nc_u32 v21, 29, v26 :: v_dual_bitop2_b32 v20, 7, v20 bitop3:0x40
; %bb.167:                              ;   in Loop: Header=BB289_10 Depth=1
	s_or_b32 exec_lo, exec_lo, s33
	s_delay_alu instid0(VALU_DEP_1) | instskip(NEXT) | instid1(VALU_DEP_2)
	v_dual_lshlrev_b32 v6, 8, v6 :: v_dual_lshlrev_b32 v20, 23, v20
	v_lshl_add_u32 v21, v21, 10, 0x2000
	s_delay_alu instid0(VALU_DEP_1) | instskip(NEXT) | instid1(VALU_DEP_1)
	v_and_or_b32 v6, 0x8000, v6, v21
	v_lshl_or_b32 v44, v6, 16, v20
.LBB289_168:                            ;   in Loop: Header=BB289_10 Depth=1
	s_or_b32 exec_lo, exec_lo, s31
.LBB289_169:                            ;   in Loop: Header=BB289_10 Depth=1
	s_delay_alu instid0(SALU_CYCLE_1)
	s_or_b32 exec_lo, exec_lo, s30
.LBB289_170:                            ;   in Loop: Header=BB289_10 Depth=1
	s_delay_alu instid0(SALU_CYCLE_1) | instskip(SKIP_3) | instid1(VALU_DEP_2)
	s_or_b32 exec_lo, exec_lo, s29
	v_and_b32_e32 v20, 0xff, v5
	v_mov_b32_e32 v6, v5
	s_mov_b32 s29, exec_lo
	v_cmpx_ne_u16_e32 0, v20
	s_cbranch_execz .LBB289_178
; %bb.171:                              ;   in Loop: Header=BB289_10 Depth=1
	v_mov_b32_e32 v43, 0x8000
	s_mov_b32 s30, exec_lo
	v_cmpx_ne_u16_e32 0x80, v20
	s_cbranch_execz .LBB289_177
; %bb.172:                              ;   in Loop: Header=BB289_10 Depth=1
	v_and_b32_e32 v26, 0x7f, v5
	v_mov_b32_e32 v43, 0x7c01
	s_mov_b32 s31, exec_lo
	s_delay_alu instid0(VALU_DEP_2)
	v_cmpx_ne_u32_e32 0x7f, v26
	s_cbranch_execz .LBB289_176
; %bb.173:                              ;   in Loop: Header=BB289_10 Depth=1
	v_dual_lshrrev_b32 v21, 3, v26 :: v_dual_bitop2_b32 v20, 7, v5 bitop3:0x40
	s_mov_b32 s33, exec_lo
	v_cmpx_gt_u32_e32 8, v26
; %bb.174:                              ;   in Loop: Header=BB289_10 Depth=1
	s_delay_alu instid0(VALU_DEP_2) | instskip(NEXT) | instid1(VALU_DEP_1)
	v_clz_i32_u32_e32 v20, v20
	v_min_u32_e32 v26, 32, v20
	s_delay_alu instid0(VALU_DEP_1) | instskip(NEXT) | instid1(VALU_DEP_1)
	v_subrev_nc_u32_e32 v20, 28, v26
	v_lshlrev_b64_e32 v[20:21], v20, v[6:7]
	s_delay_alu instid0(VALU_DEP_1)
	v_dual_sub_nc_u32 v21, 29, v26 :: v_dual_bitop2_b32 v20, 7, v20 bitop3:0x40
; %bb.175:                              ;   in Loop: Header=BB289_10 Depth=1
	s_or_b32 exec_lo, exec_lo, s33
	s_delay_alu instid0(VALU_DEP_1) | instskip(NEXT) | instid1(VALU_DEP_2)
	v_dual_lshlrev_b32 v26, 8, v5 :: v_dual_lshlrev_b32 v20, 7, v20
	v_lshl_add_u32 v21, v21, 10, 0x2000
	s_delay_alu instid0(VALU_DEP_2) | instskip(NEXT) | instid1(VALU_DEP_2)
	v_and_b32_e32 v26, 0x8000, v26
	v_and_b32_e32 v21, 0xfc00, v21
	s_delay_alu instid0(VALU_DEP_1)
	v_or3_b32 v43, v26, v21, v20
.LBB289_176:                            ;   in Loop: Header=BB289_10 Depth=1
	s_or_b32 exec_lo, exec_lo, s31
.LBB289_177:                            ;   in Loop: Header=BB289_10 Depth=1
	s_delay_alu instid0(SALU_CYCLE_1)
	s_or_b32 exec_lo, exec_lo, s30
.LBB289_178:                            ;   in Loop: Header=BB289_10 Depth=1
	s_delay_alu instid0(SALU_CYCLE_1) | instskip(SKIP_3) | instid1(VALU_DEP_2)
	s_or_b32 exec_lo, exec_lo, s29
	v_lshrrev_b16 v6, 8, v6
	v_dual_mov_b32 v46, 0 :: v_dual_mov_b32 v45, 0
	s_mov_b32 s29, exec_lo
	v_cmpx_ne_u16_e32 0, v6
	s_cbranch_execz .LBB289_186
; %bb.179:                              ;   in Loop: Header=BB289_10 Depth=1
	v_bfrev_b32_e32 v45, 1
	s_mov_b32 s30, exec_lo
	v_cmpx_ne_u16_e32 0x80, v6
	s_cbranch_execz .LBB289_185
; %bb.180:                              ;   in Loop: Header=BB289_10 Depth=1
	v_and_b32_e32 v20, 0xffff, v6
	v_mov_b32_e32 v45, 0x7c010000
	s_mov_b32 s31, exec_lo
	s_delay_alu instid0(VALU_DEP_2) | instskip(NEXT) | instid1(VALU_DEP_1)
	v_and_b32_e32 v27, 0x7f, v20
	v_cmpx_ne_u32_e32 0x7f, v27
	s_cbranch_execz .LBB289_184
; %bb.181:                              ;   in Loop: Header=BB289_10 Depth=1
	v_dual_lshrrev_b32 v26, 3, v27 :: v_dual_bitop2_b32 v21, 7, v20 bitop3:0x40
	s_mov_b32 s33, exec_lo
	v_cmpx_gt_u32_e32 8, v27
; %bb.182:                              ;   in Loop: Header=BB289_10 Depth=1
	s_delay_alu instid0(VALU_DEP_2) | instskip(NEXT) | instid1(VALU_DEP_1)
	v_clz_i32_u32_e32 v21, v21
	v_min_u32_e32 v21, 32, v21
	s_delay_alu instid0(VALU_DEP_1) | instskip(NEXT) | instid1(VALU_DEP_1)
	v_subrev_nc_u32_e32 v26, 28, v21
	v_lshlrev_b64_e32 v[32:33], v26, v[6:7]
	s_delay_alu instid0(VALU_DEP_1)
	v_dual_sub_nc_u32 v26, 29, v21 :: v_dual_bitop2_b32 v21, 7, v32 bitop3:0x40
; %bb.183:                              ;   in Loop: Header=BB289_10 Depth=1
	s_or_b32 exec_lo, exec_lo, s33
	v_lshlrev_b32_e32 v6, 8, v20
	s_delay_alu instid0(VALU_DEP_2) | instskip(NEXT) | instid1(VALU_DEP_1)
	v_lshl_add_u32 v20, v26, 10, 0x2000
	v_and_or_b32 v6, 0x8000, v6, v20
	v_lshlrev_b32_e32 v20, 23, v21
	s_delay_alu instid0(VALU_DEP_1)
	v_lshl_or_b32 v45, v6, 16, v20
.LBB289_184:                            ;   in Loop: Header=BB289_10 Depth=1
	s_or_b32 exec_lo, exec_lo, s31
.LBB289_185:                            ;   in Loop: Header=BB289_10 Depth=1
	s_delay_alu instid0(SALU_CYCLE_1)
	s_or_b32 exec_lo, exec_lo, s30
.LBB289_186:                            ;   in Loop: Header=BB289_10 Depth=1
	s_delay_alu instid0(SALU_CYCLE_1) | instskip(SKIP_2) | instid1(VALU_DEP_1)
	s_or_b32 exec_lo, exec_lo, s29
	v_lshrrev_b32_e32 v6, 16, v5
	s_mov_b32 s29, exec_lo
	v_and_b32_e32 v20, 0xff, v6
	s_delay_alu instid0(VALU_DEP_1)
	v_cmpx_ne_u16_e32 0, v20
	s_cbranch_execz .LBB289_194
; %bb.187:                              ;   in Loop: Header=BB289_10 Depth=1
	v_mov_b32_e32 v46, 0x8000
	s_mov_b32 s30, exec_lo
	v_cmpx_ne_u16_e32 0x80, v20
	s_cbranch_execz .LBB289_193
; %bb.188:                              ;   in Loop: Header=BB289_10 Depth=1
	v_bfe_u32 v26, v5, 16, 7
	v_mov_b32_e32 v46, 0x7c01
	s_mov_b32 s31, exec_lo
	s_delay_alu instid0(VALU_DEP_2)
	v_cmpx_ne_u32_e32 0x7f, v26
	s_cbranch_execz .LBB289_192
; %bb.189:                              ;   in Loop: Header=BB289_10 Depth=1
	v_and_b32_e32 v20, 7, v6
	v_lshrrev_b32_e32 v21, 3, v26
	s_mov_b32 s33, exec_lo
	v_cmpx_gt_u32_e32 8, v26
; %bb.190:                              ;   in Loop: Header=BB289_10 Depth=1
	s_delay_alu instid0(VALU_DEP_3) | instskip(NEXT) | instid1(VALU_DEP_1)
	v_clz_i32_u32_e32 v20, v20
	v_min_u32_e32 v26, 32, v20
	s_delay_alu instid0(VALU_DEP_1) | instskip(NEXT) | instid1(VALU_DEP_1)
	v_subrev_nc_u32_e32 v20, 28, v26
	v_lshlrev_b64_e32 v[20:21], v20, v[6:7]
	s_delay_alu instid0(VALU_DEP_1)
	v_dual_sub_nc_u32 v21, 29, v26 :: v_dual_bitop2_b32 v20, 7, v20 bitop3:0x40
; %bb.191:                              ;   in Loop: Header=BB289_10 Depth=1
	s_or_b32 exec_lo, exec_lo, s33
	s_delay_alu instid0(VALU_DEP_1) | instskip(NEXT) | instid1(VALU_DEP_2)
	v_dual_lshlrev_b32 v6, 8, v6 :: v_dual_lshlrev_b32 v20, 7, v20
	v_lshl_add_u32 v21, v21, 10, 0x2000
	s_delay_alu instid0(VALU_DEP_2) | instskip(NEXT) | instid1(VALU_DEP_2)
	v_and_b32_e32 v6, 0x8000, v6
	v_and_b32_e32 v21, 0xfc00, v21
	s_delay_alu instid0(VALU_DEP_1)
	v_or3_b32 v46, v6, v21, v20
.LBB289_192:                            ;   in Loop: Header=BB289_10 Depth=1
	s_or_b32 exec_lo, exec_lo, s31
.LBB289_193:                            ;   in Loop: Header=BB289_10 Depth=1
	s_delay_alu instid0(SALU_CYCLE_1)
	s_or_b32 exec_lo, exec_lo, s30
.LBB289_194:                            ;   in Loop: Header=BB289_10 Depth=1
	s_delay_alu instid0(SALU_CYCLE_1)
	s_or_b32 exec_lo, exec_lo, s29
	v_dual_mov_b32 v62, 0 :: v_dual_mov_b32 v47, 0
	s_mov_b32 s29, exec_lo
	v_cmpx_lt_u64_e64 s[20:21], v[4:5]
	s_cbranch_execz .LBB289_202
; %bb.195:                              ;   in Loop: Header=BB289_10 Depth=1
	v_lshrrev_b32_e32 v6, 24, v5
	v_bfrev_b32_e32 v47, 1
	s_mov_b32 s30, exec_lo
	s_delay_alu instid0(VALU_DEP_2)
	v_cmpx_ne_u32_e32 0x80, v6
	s_cbranch_execz .LBB289_201
; %bb.196:                              ;   in Loop: Header=BB289_10 Depth=1
	v_and_b32_e32 v20, 0x7f, v6
	v_mov_b32_e32 v47, 0x7c010000
	s_mov_b32 s31, exec_lo
	s_delay_alu instid0(VALU_DEP_2)
	v_cmpx_ne_u32_e32 0x7f, v20
	s_cbranch_execz .LBB289_200
; %bb.197:                              ;   in Loop: Header=BB289_10 Depth=1
	v_dual_lshrrev_b32 v5, 3, v20 :: v_dual_bitop2_b32 v4, 7, v6 bitop3:0x40
	s_mov_b32 s33, exec_lo
	v_cmpx_gt_u32_e32 8, v20
; %bb.198:                              ;   in Loop: Header=BB289_10 Depth=1
	s_delay_alu instid0(VALU_DEP_2) | instskip(NEXT) | instid1(VALU_DEP_1)
	v_clz_i32_u32_e32 v4, v4
	v_min_u32_e32 v20, 32, v4
	s_delay_alu instid0(VALU_DEP_1) | instskip(NEXT) | instid1(VALU_DEP_1)
	v_subrev_nc_u32_e32 v4, 28, v20
	v_lshlrev_b64_e32 v[4:5], v4, v[6:7]
	v_sub_nc_u32_e32 v5, 29, v20
	s_delay_alu instid0(VALU_DEP_2)
	v_and_b32_e32 v4, 7, v4
; %bb.199:                              ;   in Loop: Header=BB289_10 Depth=1
	s_or_b32 exec_lo, exec_lo, s33
	s_delay_alu instid0(VALU_DEP_1) | instskip(NEXT) | instid1(VALU_DEP_3)
	v_dual_lshlrev_b32 v6, 8, v6 :: v_dual_lshlrev_b32 v4, 23, v4
	v_lshl_add_u32 v5, v5, 10, 0x2000
	s_delay_alu instid0(VALU_DEP_1) | instskip(NEXT) | instid1(VALU_DEP_1)
	v_and_or_b32 v5, 0x8000, v6, v5
	v_lshl_or_b32 v47, v5, 16, v4
.LBB289_200:                            ;   in Loop: Header=BB289_10 Depth=1
	s_or_b32 exec_lo, exec_lo, s31
.LBB289_201:                            ;   in Loop: Header=BB289_10 Depth=1
	s_delay_alu instid0(SALU_CYCLE_1)
	s_or_b32 exec_lo, exec_lo, s30
.LBB289_202:                            ;   in Loop: Header=BB289_10 Depth=1
	s_delay_alu instid0(SALU_CYCLE_1)
	s_or_b32 exec_lo, exec_lo, s29
	global_load_b64 v[2:3], v[2:3], off offset:520
	s_mov_b32 s29, exec_lo
	s_wait_loadcnt 0x0
	v_and_b32_e32 v4, 0xff, v2
	s_wait_xcnt 0x0
	s_delay_alu instid0(VALU_DEP_1)
	v_cmpx_ne_u16_e32 0, v4
	s_cbranch_execz .LBB289_210
; %bb.203:                              ;   in Loop: Header=BB289_10 Depth=1
	v_mov_b32_e32 v62, 0x8000
	s_mov_b32 s30, exec_lo
	v_cmpx_ne_u16_e32 0x80, v4
	s_cbranch_execz .LBB289_209
; %bb.204:                              ;   in Loop: Header=BB289_10 Depth=1
	v_and_b32_e32 v6, 0x7f, v2
	v_mov_b32_e32 v62, 0x7c01
	s_mov_b32 s31, exec_lo
	s_delay_alu instid0(VALU_DEP_2)
	v_cmpx_ne_u32_e32 0x7f, v6
	s_cbranch_execz .LBB289_208
; %bb.205:                              ;   in Loop: Header=BB289_10 Depth=1
	v_and_b32_e32 v4, 7, v2
	v_lshrrev_b32_e32 v5, 3, v6
	s_mov_b32 s33, exec_lo
	v_cmpx_gt_u32_e32 8, v6
; %bb.206:                              ;   in Loop: Header=BB289_10 Depth=1
	s_delay_alu instid0(VALU_DEP_3) | instskip(NEXT) | instid1(VALU_DEP_1)
	v_clz_i32_u32_e32 v4, v4
	v_min_u32_e32 v6, 32, v4
	s_delay_alu instid0(VALU_DEP_1) | instskip(NEXT) | instid1(VALU_DEP_1)
	v_subrev_nc_u32_e32 v4, 28, v6
	v_lshlrev_b64_e32 v[4:5], v4, v[2:3]
	s_delay_alu instid0(VALU_DEP_1)
	v_dual_sub_nc_u32 v5, 29, v6 :: v_dual_bitop2_b32 v4, 7, v4 bitop3:0x40
; %bb.207:                              ;   in Loop: Header=BB289_10 Depth=1
	s_or_b32 exec_lo, exec_lo, s33
	s_delay_alu instid0(VALU_DEP_1) | instskip(NEXT) | instid1(VALU_DEP_2)
	v_dual_lshlrev_b32 v6, 8, v2 :: v_dual_lshlrev_b32 v4, 7, v4
	v_lshl_add_u32 v5, v5, 10, 0x2000
	s_delay_alu instid0(VALU_DEP_2) | instskip(NEXT) | instid1(VALU_DEP_2)
	v_and_b32_e32 v6, 0x8000, v6
	v_and_b32_e32 v5, 0xfc00, v5
	s_delay_alu instid0(VALU_DEP_1)
	v_or3_b32 v62, v6, v5, v4
.LBB289_208:                            ;   in Loop: Header=BB289_10 Depth=1
	s_or_b32 exec_lo, exec_lo, s31
.LBB289_209:                            ;   in Loop: Header=BB289_10 Depth=1
	s_delay_alu instid0(SALU_CYCLE_1)
	s_or_b32 exec_lo, exec_lo, s30
.LBB289_210:                            ;   in Loop: Header=BB289_10 Depth=1
	s_delay_alu instid0(SALU_CYCLE_1) | instskip(SKIP_3) | instid1(VALU_DEP_2)
	s_or_b32 exec_lo, exec_lo, s29
	v_lshrrev_b16 v6, 8, v2
	v_dual_mov_b32 v64, 0 :: v_dual_mov_b32 v63, 0
	s_mov_b32 s29, exec_lo
	v_cmpx_ne_u16_e32 0, v6
	s_cbranch_execz .LBB289_218
; %bb.211:                              ;   in Loop: Header=BB289_10 Depth=1
	v_bfrev_b32_e32 v63, 1
	s_mov_b32 s30, exec_lo
	v_cmpx_ne_u16_e32 0x80, v6
	s_cbranch_execz .LBB289_217
; %bb.212:                              ;   in Loop: Header=BB289_10 Depth=1
	v_and_b32_e32 v4, 0xffff, v6
	v_mov_b32_e32 v63, 0x7c010000
	s_mov_b32 s31, exec_lo
	s_delay_alu instid0(VALU_DEP_2) | instskip(NEXT) | instid1(VALU_DEP_1)
	v_and_b32_e32 v21, 0x7f, v4
	v_cmpx_ne_u32_e32 0x7f, v21
	s_cbranch_execz .LBB289_216
; %bb.213:                              ;   in Loop: Header=BB289_10 Depth=1
	v_dual_lshrrev_b32 v20, 3, v21 :: v_dual_bitop2_b32 v5, 7, v4 bitop3:0x40
	s_mov_b32 s33, exec_lo
	v_cmpx_gt_u32_e32 8, v21
; %bb.214:                              ;   in Loop: Header=BB289_10 Depth=1
	s_delay_alu instid0(VALU_DEP_2) | instskip(NEXT) | instid1(VALU_DEP_1)
	v_clz_i32_u32_e32 v5, v5
	v_min_u32_e32 v5, 32, v5
	s_delay_alu instid0(VALU_DEP_1) | instskip(NEXT) | instid1(VALU_DEP_1)
	v_subrev_nc_u32_e32 v20, 28, v5
	v_lshlrev_b64_e32 v[26:27], v20, v[6:7]
	s_delay_alu instid0(VALU_DEP_1)
	v_dual_sub_nc_u32 v20, 29, v5 :: v_dual_bitop2_b32 v5, 7, v26 bitop3:0x40
; %bb.215:                              ;   in Loop: Header=BB289_10 Depth=1
	s_or_b32 exec_lo, exec_lo, s33
	s_delay_alu instid0(VALU_DEP_1) | instskip(NEXT) | instid1(VALU_DEP_2)
	v_dual_lshlrev_b32 v4, 8, v4 :: v_dual_lshlrev_b32 v5, 23, v5
	v_lshl_add_u32 v6, v20, 10, 0x2000
	s_delay_alu instid0(VALU_DEP_1) | instskip(NEXT) | instid1(VALU_DEP_1)
	v_and_or_b32 v4, 0x8000, v4, v6
	v_lshl_or_b32 v63, v4, 16, v5
.LBB289_216:                            ;   in Loop: Header=BB289_10 Depth=1
	s_or_b32 exec_lo, exec_lo, s31
.LBB289_217:                            ;   in Loop: Header=BB289_10 Depth=1
	s_delay_alu instid0(SALU_CYCLE_1)
	s_or_b32 exec_lo, exec_lo, s30
.LBB289_218:                            ;   in Loop: Header=BB289_10 Depth=1
	s_delay_alu instid0(SALU_CYCLE_1) | instskip(SKIP_2) | instid1(VALU_DEP_1)
	s_or_b32 exec_lo, exec_lo, s29
	v_lshrrev_b32_e32 v4, 16, v2
	s_mov_b32 s29, exec_lo
	v_and_b32_e32 v5, 0xff, v4
	s_delay_alu instid0(VALU_DEP_1)
	v_cmpx_ne_u16_e32 0, v5
	s_cbranch_execz .LBB289_226
; %bb.219:                              ;   in Loop: Header=BB289_10 Depth=1
	v_mov_b32_e32 v64, 0x8000
	s_mov_b32 s30, exec_lo
	v_cmpx_ne_u16_e32 0x80, v5
	s_cbranch_execz .LBB289_225
; %bb.220:                              ;   in Loop: Header=BB289_10 Depth=1
	v_bfe_u32 v20, v2, 16, 7
	v_mov_b32_e32 v64, 0x7c01
	s_mov_b32 s31, exec_lo
	s_delay_alu instid0(VALU_DEP_2)
	v_cmpx_ne_u32_e32 0x7f, v20
	s_cbranch_execz .LBB289_224
; %bb.221:                              ;   in Loop: Header=BB289_10 Depth=1
	v_and_b32_e32 v5, 7, v4
	v_lshrrev_b32_e32 v6, 3, v20
	s_mov_b32 s33, exec_lo
	v_cmpx_gt_u32_e32 8, v20
; %bb.222:                              ;   in Loop: Header=BB289_10 Depth=1
	s_delay_alu instid0(VALU_DEP_3) | instskip(NEXT) | instid1(VALU_DEP_1)
	v_clz_i32_u32_e32 v5, v5
	v_min_u32_e32 v5, 32, v5
	s_delay_alu instid0(VALU_DEP_1) | instskip(NEXT) | instid1(VALU_DEP_1)
	v_subrev_nc_u32_e32 v6, 28, v5
	v_lshlrev_b64_e32 v[20:21], v6, v[4:5]
	s_delay_alu instid0(VALU_DEP_1)
	v_dual_sub_nc_u32 v6, 29, v5 :: v_dual_bitop2_b32 v5, 7, v20 bitop3:0x40
; %bb.223:                              ;   in Loop: Header=BB289_10 Depth=1
	s_or_b32 exec_lo, exec_lo, s33
	s_delay_alu instid0(VALU_DEP_1) | instskip(NEXT) | instid1(VALU_DEP_2)
	v_dual_lshlrev_b32 v4, 8, v4 :: v_dual_lshlrev_b32 v5, 7, v5
	v_lshl_add_u32 v6, v6, 10, 0x2000
	s_delay_alu instid0(VALU_DEP_2) | instskip(NEXT) | instid1(VALU_DEP_2)
	v_and_b32_e32 v4, 0x8000, v4
	v_and_b32_e32 v6, 0xfc00, v6
	s_delay_alu instid0(VALU_DEP_1)
	v_or3_b32 v64, v4, v6, v5
.LBB289_224:                            ;   in Loop: Header=BB289_10 Depth=1
	s_or_b32 exec_lo, exec_lo, s31
.LBB289_225:                            ;   in Loop: Header=BB289_10 Depth=1
	s_delay_alu instid0(SALU_CYCLE_1)
	s_or_b32 exec_lo, exec_lo, s30
.LBB289_226:                            ;   in Loop: Header=BB289_10 Depth=1
	s_delay_alu instid0(SALU_CYCLE_1)
	s_or_b32 exec_lo, exec_lo, s29
	v_dual_mov_b32 v65, 0 :: v_dual_mov_b32 v66, 0
	s_mov_b32 s29, exec_lo
	v_cmpx_lt_u32_e32 0xffffff, v2
	s_cbranch_execz .LBB289_234
; %bb.227:                              ;   in Loop: Header=BB289_10 Depth=1
	v_lshrrev_b32_e32 v6, 24, v2
	v_bfrev_b32_e32 v66, 1
	s_mov_b32 s30, exec_lo
	s_delay_alu instid0(VALU_DEP_2)
	v_cmpx_ne_u32_e32 0x80, v6
	s_cbranch_execz .LBB289_233
; %bb.228:                              ;   in Loop: Header=BB289_10 Depth=1
	v_and_b32_e32 v20, 0x7f, v6
	v_mov_b32_e32 v66, 0x7c010000
	s_mov_b32 s31, exec_lo
	s_delay_alu instid0(VALU_DEP_2)
	v_cmpx_ne_u32_e32 0x7f, v20
	s_cbranch_execz .LBB289_232
; %bb.229:                              ;   in Loop: Header=BB289_10 Depth=1
	v_dual_lshrrev_b32 v5, 3, v20 :: v_dual_bitop2_b32 v4, 7, v6 bitop3:0x40
	s_mov_b32 s33, exec_lo
	v_cmpx_gt_u32_e32 8, v20
; %bb.230:                              ;   in Loop: Header=BB289_10 Depth=1
	s_delay_alu instid0(VALU_DEP_2) | instskip(NEXT) | instid1(VALU_DEP_1)
	v_clz_i32_u32_e32 v4, v4
	v_min_u32_e32 v20, 32, v4
	s_delay_alu instid0(VALU_DEP_1) | instskip(NEXT) | instid1(VALU_DEP_1)
	v_subrev_nc_u32_e32 v4, 28, v20
	v_lshlrev_b64_e32 v[4:5], v4, v[6:7]
	v_sub_nc_u32_e32 v5, 29, v20
	s_delay_alu instid0(VALU_DEP_2)
	v_and_b32_e32 v4, 7, v4
; %bb.231:                              ;   in Loop: Header=BB289_10 Depth=1
	s_or_b32 exec_lo, exec_lo, s33
	s_delay_alu instid0(VALU_DEP_1) | instskip(NEXT) | instid1(VALU_DEP_3)
	v_dual_lshlrev_b32 v6, 8, v6 :: v_dual_lshlrev_b32 v4, 23, v4
	v_lshl_add_u32 v5, v5, 10, 0x2000
	s_delay_alu instid0(VALU_DEP_1) | instskip(NEXT) | instid1(VALU_DEP_1)
	v_and_or_b32 v5, 0x8000, v6, v5
	v_lshl_or_b32 v66, v5, 16, v4
.LBB289_232:                            ;   in Loop: Header=BB289_10 Depth=1
	s_or_b32 exec_lo, exec_lo, s31
.LBB289_233:                            ;   in Loop: Header=BB289_10 Depth=1
	s_delay_alu instid0(SALU_CYCLE_1)
	s_or_b32 exec_lo, exec_lo, s30
.LBB289_234:                            ;   in Loop: Header=BB289_10 Depth=1
	s_delay_alu instid0(SALU_CYCLE_1) | instskip(SKIP_3) | instid1(VALU_DEP_2)
	s_or_b32 exec_lo, exec_lo, s29
	v_and_b32_e32 v4, 0xff, v3
	v_mov_b32_e32 v6, v3
	s_mov_b32 s29, exec_lo
	v_cmpx_ne_u16_e32 0, v4
	s_cbranch_execz .LBB289_242
; %bb.235:                              ;   in Loop: Header=BB289_10 Depth=1
	v_mov_b32_e32 v65, 0x8000
	s_mov_b32 s30, exec_lo
	v_cmpx_ne_u16_e32 0x80, v4
	s_cbranch_execz .LBB289_241
; %bb.236:                              ;   in Loop: Header=BB289_10 Depth=1
	v_and_b32_e32 v20, 0x7f, v3
	v_mov_b32_e32 v65, 0x7c01
	s_mov_b32 s31, exec_lo
	s_delay_alu instid0(VALU_DEP_2)
	v_cmpx_ne_u32_e32 0x7f, v20
	s_cbranch_execz .LBB289_240
; %bb.237:                              ;   in Loop: Header=BB289_10 Depth=1
	v_dual_lshrrev_b32 v5, 3, v20 :: v_dual_bitop2_b32 v4, 7, v3 bitop3:0x40
	s_mov_b32 s33, exec_lo
	v_cmpx_gt_u32_e32 8, v20
; %bb.238:                              ;   in Loop: Header=BB289_10 Depth=1
	s_delay_alu instid0(VALU_DEP_2) | instskip(NEXT) | instid1(VALU_DEP_1)
	v_clz_i32_u32_e32 v4, v4
	v_min_u32_e32 v20, 32, v4
	s_delay_alu instid0(VALU_DEP_1) | instskip(NEXT) | instid1(VALU_DEP_1)
	v_subrev_nc_u32_e32 v4, 28, v20
	v_lshlrev_b64_e32 v[4:5], v4, v[6:7]
	v_sub_nc_u32_e32 v5, 29, v20
	s_delay_alu instid0(VALU_DEP_2)
	v_and_b32_e32 v4, 7, v4
; %bb.239:                              ;   in Loop: Header=BB289_10 Depth=1
	s_or_b32 exec_lo, exec_lo, s33
	s_delay_alu instid0(VALU_DEP_1) | instskip(NEXT) | instid1(VALU_DEP_3)
	v_dual_lshlrev_b32 v20, 8, v3 :: v_dual_lshlrev_b32 v4, 7, v4
	v_lshl_add_u32 v5, v5, 10, 0x2000
	s_delay_alu instid0(VALU_DEP_2) | instskip(NEXT) | instid1(VALU_DEP_2)
	v_and_b32_e32 v20, 0x8000, v20
	v_and_b32_e32 v5, 0xfc00, v5
	s_delay_alu instid0(VALU_DEP_1)
	v_or3_b32 v65, v20, v5, v4
.LBB289_240:                            ;   in Loop: Header=BB289_10 Depth=1
	s_or_b32 exec_lo, exec_lo, s31
.LBB289_241:                            ;   in Loop: Header=BB289_10 Depth=1
	s_delay_alu instid0(SALU_CYCLE_1)
	s_or_b32 exec_lo, exec_lo, s30
.LBB289_242:                            ;   in Loop: Header=BB289_10 Depth=1
	s_delay_alu instid0(SALU_CYCLE_1) | instskip(SKIP_3) | instid1(VALU_DEP_2)
	s_or_b32 exec_lo, exec_lo, s29
	v_lshrrev_b16 v6, 8, v6
	v_dual_mov_b32 v68, 0 :: v_dual_mov_b32 v67, 0
	s_mov_b32 s29, exec_lo
	v_cmpx_ne_u16_e32 0, v6
	s_cbranch_execz .LBB289_250
; %bb.243:                              ;   in Loop: Header=BB289_10 Depth=1
	v_bfrev_b32_e32 v67, 1
	s_mov_b32 s30, exec_lo
	v_cmpx_ne_u16_e32 0x80, v6
	s_cbranch_execz .LBB289_249
; %bb.244:                              ;   in Loop: Header=BB289_10 Depth=1
	v_and_b32_e32 v4, 0xffff, v6
	v_mov_b32_e32 v67, 0x7c010000
	s_mov_b32 s31, exec_lo
	s_delay_alu instid0(VALU_DEP_2) | instskip(NEXT) | instid1(VALU_DEP_1)
	v_and_b32_e32 v21, 0x7f, v4
	v_cmpx_ne_u32_e32 0x7f, v21
	s_cbranch_execz .LBB289_248
; %bb.245:                              ;   in Loop: Header=BB289_10 Depth=1
	v_dual_lshrrev_b32 v20, 3, v21 :: v_dual_bitop2_b32 v5, 7, v4 bitop3:0x40
	s_mov_b32 s33, exec_lo
	v_cmpx_gt_u32_e32 8, v21
; %bb.246:                              ;   in Loop: Header=BB289_10 Depth=1
	s_delay_alu instid0(VALU_DEP_2) | instskip(NEXT) | instid1(VALU_DEP_1)
	v_clz_i32_u32_e32 v5, v5
	v_min_u32_e32 v5, 32, v5
	s_delay_alu instid0(VALU_DEP_1) | instskip(NEXT) | instid1(VALU_DEP_1)
	v_subrev_nc_u32_e32 v20, 28, v5
	v_lshlrev_b64_e32 v[26:27], v20, v[6:7]
	s_delay_alu instid0(VALU_DEP_1)
	v_dual_sub_nc_u32 v20, 29, v5 :: v_dual_bitop2_b32 v5, 7, v26 bitop3:0x40
; %bb.247:                              ;   in Loop: Header=BB289_10 Depth=1
	s_or_b32 exec_lo, exec_lo, s33
	s_delay_alu instid0(VALU_DEP_1) | instskip(NEXT) | instid1(VALU_DEP_2)
	v_dual_lshlrev_b32 v4, 8, v4 :: v_dual_lshlrev_b32 v5, 23, v5
	v_lshl_add_u32 v6, v20, 10, 0x2000
	s_delay_alu instid0(VALU_DEP_1) | instskip(NEXT) | instid1(VALU_DEP_1)
	v_and_or_b32 v4, 0x8000, v4, v6
	v_lshl_or_b32 v67, v4, 16, v5
.LBB289_248:                            ;   in Loop: Header=BB289_10 Depth=1
	s_or_b32 exec_lo, exec_lo, s31
.LBB289_249:                            ;   in Loop: Header=BB289_10 Depth=1
	s_delay_alu instid0(SALU_CYCLE_1)
	s_or_b32 exec_lo, exec_lo, s30
.LBB289_250:                            ;   in Loop: Header=BB289_10 Depth=1
	s_delay_alu instid0(SALU_CYCLE_1) | instskip(SKIP_2) | instid1(VALU_DEP_1)
	s_or_b32 exec_lo, exec_lo, s29
	v_lshrrev_b32_e32 v4, 16, v3
	s_mov_b32 s29, exec_lo
	v_and_b32_e32 v5, 0xff, v4
	s_delay_alu instid0(VALU_DEP_1)
	v_cmpx_ne_u16_e32 0, v5
	s_cbranch_execz .LBB289_258
; %bb.251:                              ;   in Loop: Header=BB289_10 Depth=1
	v_mov_b32_e32 v68, 0x8000
	s_mov_b32 s30, exec_lo
	v_cmpx_ne_u16_e32 0x80, v5
	s_cbranch_execz .LBB289_257
; %bb.252:                              ;   in Loop: Header=BB289_10 Depth=1
	v_bfe_u32 v20, v3, 16, 7
	v_mov_b32_e32 v68, 0x7c01
	s_mov_b32 s31, exec_lo
	s_delay_alu instid0(VALU_DEP_2)
	v_cmpx_ne_u32_e32 0x7f, v20
	s_cbranch_execz .LBB289_256
; %bb.253:                              ;   in Loop: Header=BB289_10 Depth=1
	v_and_b32_e32 v5, 7, v4
	v_lshrrev_b32_e32 v6, 3, v20
	s_mov_b32 s33, exec_lo
	v_cmpx_gt_u32_e32 8, v20
; %bb.254:                              ;   in Loop: Header=BB289_10 Depth=1
	s_delay_alu instid0(VALU_DEP_3) | instskip(NEXT) | instid1(VALU_DEP_1)
	v_clz_i32_u32_e32 v5, v5
	v_min_u32_e32 v5, 32, v5
	s_delay_alu instid0(VALU_DEP_1) | instskip(NEXT) | instid1(VALU_DEP_1)
	v_subrev_nc_u32_e32 v6, 28, v5
	v_lshlrev_b64_e32 v[20:21], v6, v[4:5]
	s_delay_alu instid0(VALU_DEP_1)
	v_dual_sub_nc_u32 v6, 29, v5 :: v_dual_bitop2_b32 v5, 7, v20 bitop3:0x40
; %bb.255:                              ;   in Loop: Header=BB289_10 Depth=1
	s_or_b32 exec_lo, exec_lo, s33
	s_delay_alu instid0(VALU_DEP_1) | instskip(NEXT) | instid1(VALU_DEP_2)
	v_dual_lshlrev_b32 v4, 8, v4 :: v_dual_lshlrev_b32 v5, 7, v5
	v_lshl_add_u32 v6, v6, 10, 0x2000
	s_delay_alu instid0(VALU_DEP_2) | instskip(NEXT) | instid1(VALU_DEP_2)
	v_and_b32_e32 v4, 0x8000, v4
	v_and_b32_e32 v6, 0xfc00, v6
	s_delay_alu instid0(VALU_DEP_1)
	v_or3_b32 v68, v4, v6, v5
.LBB289_256:                            ;   in Loop: Header=BB289_10 Depth=1
	s_or_b32 exec_lo, exec_lo, s31
.LBB289_257:                            ;   in Loop: Header=BB289_10 Depth=1
	s_delay_alu instid0(SALU_CYCLE_1)
	s_or_b32 exec_lo, exec_lo, s30
.LBB289_258:                            ;   in Loop: Header=BB289_10 Depth=1
	s_delay_alu instid0(SALU_CYCLE_1)
	s_or_b32 exec_lo, exec_lo, s29
	v_mov_b32_e32 v69, 0
	s_mov_b32 s29, exec_lo
	v_cmpx_lt_u64_e64 s[20:21], v[2:3]
	s_cbranch_execz .LBB289_9
; %bb.259:                              ;   in Loop: Header=BB289_10 Depth=1
	v_lshrrev_b32_e32 v6, 24, v3
	v_bfrev_b32_e32 v69, 1
	s_mov_b32 s30, exec_lo
	s_delay_alu instid0(VALU_DEP_2)
	v_cmpx_ne_u32_e32 0x80, v6
	s_cbranch_execz .LBB289_8
; %bb.260:                              ;   in Loop: Header=BB289_10 Depth=1
	v_and_b32_e32 v4, 0x7f, v6
	v_mov_b32_e32 v69, 0x7c010000
	s_mov_b32 s31, exec_lo
	s_delay_alu instid0(VALU_DEP_2)
	v_cmpx_ne_u32_e32 0x7f, v4
	s_cbranch_execz .LBB289_7
; %bb.261:                              ;   in Loop: Header=BB289_10 Depth=1
	v_dual_lshrrev_b32 v3, 3, v4 :: v_dual_bitop2_b32 v2, 7, v6 bitop3:0x40
	s_mov_b32 s33, exec_lo
	v_cmpx_gt_u32_e32 8, v4
	s_cbranch_execz .LBB289_6
; %bb.262:                              ;   in Loop: Header=BB289_10 Depth=1
	s_delay_alu instid0(VALU_DEP_2) | instskip(NEXT) | instid1(VALU_DEP_1)
	v_clz_i32_u32_e32 v2, v2
	v_min_u32_e32 v4, 32, v2
	s_delay_alu instid0(VALU_DEP_1) | instskip(NEXT) | instid1(VALU_DEP_1)
	v_subrev_nc_u32_e32 v2, 28, v4
	v_lshlrev_b64_e32 v[2:3], v2, v[6:7]
	s_delay_alu instid0(VALU_DEP_1)
	v_dual_sub_nc_u32 v3, 29, v4 :: v_dual_bitop2_b32 v2, 7, v2 bitop3:0x40
	s_branch .LBB289_6
.LBB289_263:
	s_or_b32 exec_lo, exec_lo, s11
.LBB289_264:
	s_delay_alu instid0(SALU_CYCLE_1)
	s_or_b32 exec_lo, exec_lo, s26
	v_mbcnt_lo_u32_b32 v5, -1, 0
	s_clause 0x1
	s_load_b64 s[4:5], s[0:1], 0x0
	s_load_b64 s[18:19], s[0:1], 0x18
	v_max_num_f32_e32 v6, v57, v57
	v_xor_b32_e32 v4, 8, v5
	v_xor_b32_e32 v2, 16, v5
	s_delay_alu instid0(VALU_DEP_1) | instskip(SKIP_1) | instid1(VALU_DEP_1)
	v_cmp_gt_i32_e32 vcc_lo, 32, v2
	v_cndmask_b32_e32 v2, v5, v2, vcc_lo
	v_lshlrev_b32_e32 v2, 2, v2
	ds_bpermute_b32 v3, v2, v57
	s_wait_dscnt 0x0
	v_max_num_f32_e32 v7, v3, v3
	s_delay_alu instid0(VALU_DEP_1) | instskip(SKIP_2) | instid1(VALU_DEP_1)
	v_max_num_f32_e32 v6, v6, v7
	v_cmp_gt_i32_e32 vcc_lo, 32, v4
	v_dual_cndmask_b32 v4, v5, v4, vcc_lo :: v_dual_bitop2_b32 v7, 4, v5 bitop3:0x14
	v_cmp_gt_i32_e32 vcc_lo, 32, v7
	s_delay_alu instid0(VALU_DEP_2) | instskip(SKIP_3) | instid1(VALU_DEP_1)
	v_lshlrev_b32_e32 v3, 2, v4
	ds_bpermute_b32 v4, v3, v6
	s_wait_dscnt 0x0
	v_dual_cndmask_b32 v7, v5, v7 :: v_dual_max_num_f32 v8, v4, v4
	v_dual_lshlrev_b32 v4, 2, v7 :: v_dual_max_num_f32 v6, v6, v8
	ds_bpermute_b32 v7, v4, v6
	s_wait_dscnt 0x0
	v_dual_max_num_f32 v7, v7, v7 :: v_dual_bitop2_b32 v8, 2, v5 bitop3:0x14
	s_delay_alu instid0(VALU_DEP_1) | instskip(NEXT) | instid1(VALU_DEP_2)
	v_cmp_gt_i32_e32 vcc_lo, 32, v8
	v_dual_max_num_f32 v6, v6, v7 :: v_dual_cndmask_b32 v8, v5, v8, vcc_lo
	s_delay_alu instid0(VALU_DEP_1) | instskip(SKIP_4) | instid1(VALU_DEP_2)
	v_dual_lshlrev_b32 v24, 2, v8 :: v_dual_bitop2_b32 v8, 1, v5 bitop3:0x14
	ds_bpermute_b32 v7, v24, v6
	v_cmp_gt_i32_e32 vcc_lo, 32, v8
	v_cndmask_b32_e32 v5, v5, v8, vcc_lo
	v_cmp_eq_u32_e32 vcc_lo, 0, v55
	v_dual_lshlrev_b32 v25, 2, v5 :: v_dual_lshlrev_b32 v5, 2, v54
	s_wait_dscnt 0x0
	v_max_num_f32_e32 v7, v7, v7
	s_delay_alu instid0(VALU_DEP_1)
	v_max_num_f32_e32 v6, v6, v7
	ds_bpermute_b32 v7, v25, v6
	s_wait_xcnt 0x0
	s_and_saveexec_b32 s0, vcc_lo
	s_cbranch_execz .LBB289_266
; %bb.265:
	s_wait_dscnt 0x0
	v_dual_max_num_f32 v7, v7, v7 :: v_dual_max_num_f32 v6, v6, v6
	s_delay_alu instid0(VALU_DEP_1)
	v_max_num_f32_e32 v6, v6, v7
	ds_store_b32 v5, v6 offset:64
.LBB289_266:
	s_or_b32 exec_lo, exec_lo, s0
	v_cmp_gt_u32_e64 s0, 4, v55
	v_mov_b32_e32 v6, 0xff7fffff
	s_wait_dscnt 0x0
	s_barrier_signal -1
	s_barrier_wait -1
	s_and_saveexec_b32 s1, s0
; %bb.267:
	ds_load_b32 v6, v56 offset:64
; %bb.268:
	s_or_b32 exec_lo, exec_lo, s1
	s_wait_dscnt 0x0
	ds_bpermute_b32 v7, v24, v6
	v_max_num_f32_e32 v6, v6, v6
	s_lshl_b32 s1, s13, 5
	s_delay_alu instid0(SALU_CYCLE_1) | instskip(NEXT) | instid1(SALU_CYCLE_1)
	s_min_i32 s11, s1, s25
	v_cmp_gt_i32_e64 s1, s11, v0
	s_wait_dscnt 0x0
	v_max_num_f32_e32 v7, v7, v7
	s_delay_alu instid0(VALU_DEP_1) | instskip(SKIP_3) | instid1(VALU_DEP_1)
	v_max_num_f32_e32 v6, v6, v7
	ds_bpermute_b32 v7, v25, v6
	s_wait_dscnt 0x0
	v_max_num_f32_e32 v7, v7, v7
	v_dual_max_num_f32 v7, v6, v7 :: v_dual_mov_b32 v6, 0
	ds_bpermute_b32 v7, v6, v7
	s_and_saveexec_b32 s20, s1
	s_cbranch_execz .LBB289_272
; %bb.269:
	v_lshl_add_u32 v8, v0, 2, 0x60
	v_dual_mov_b32 v6, 0 :: v_dual_mov_b32 v9, v0
	s_mov_b32 s21, 0
.LBB289_270:                            ; =>This Inner Loop Header: Depth=1
	ds_load_b32 v10, v8
	v_add_nc_u32_e32 v9, 0x80, v9
	s_delay_alu instid0(VALU_DEP_1) | instskip(SKIP_3) | instid1(VALU_DEP_1)
	v_cmp_le_i32_e64 s3, s11, v9
	s_or_b32 s21, s3, s21
	s_wait_dscnt 0x0
	v_sub_f32_e32 v10, v10, v7
	v_mul_f32_e32 v10, 0x3fb8aa3b, v10
	s_delay_alu instid0(VALU_DEP_1)
	v_exp_f32_e32 v10, v10
	ds_store_b32 v8, v10
	v_nop
	v_add_f32_e32 v6, v6, v10
	v_add_nc_u32_e32 v8, 0x200, v8
	s_and_not1_b32 exec_lo, exec_lo, s21
	s_cbranch_execnz .LBB289_270
; %bb.271:
	s_or_b32 exec_lo, exec_lo, s21
.LBB289_272:
	s_delay_alu instid0(SALU_CYCLE_1)
	s_or_b32 exec_lo, exec_lo, s20
	ds_bpermute_b32 v2, v2, v6
	s_wait_dscnt 0x0
	v_add_f32_e32 v2, v6, v2
	ds_bpermute_b32 v3, v3, v2
	s_wait_dscnt 0x0
	v_add_f32_e32 v2, v2, v3
	;; [unrolled: 3-line block ×5, first 2 shown]
	s_and_saveexec_b32 s3, vcc_lo
; %bb.273:
	ds_store_b32 v5, v2 offset:80
; %bb.274:
	s_or_b32 exec_lo, exec_lo, s3
	s_wait_dscnt 0x0
	s_barrier_signal -1
	s_barrier_wait -1
	s_and_saveexec_b32 s3, s0
; %bb.275:
	ds_load_b32 v2, v56 offset:80
; %bb.276:
	s_or_b32 exec_lo, exec_lo, s3
	s_wait_dscnt 0x0
	ds_bpermute_b32 v3, v24, v2
	s_wait_dscnt 0x0
	v_add_f32_e32 v2, v2, v3
	ds_bpermute_b32 v3, v25, v2
	s_wait_dscnt 0x0
	v_dual_add_f32 v2, v2, v3 :: v_dual_mov_b32 v3, 0
	ds_bpermute_b32 v2, v3, v2
	s_and_saveexec_b32 s0, s1
	s_cbranch_execz .LBB289_289
; %bb.277:
	s_wait_dscnt 0x0
	v_add_f32_e32 v2, 0x358637bd, v2
	s_mov_b32 s3, -1
	s_mov_b32 s1, exec_lo
	s_delay_alu instid0(VALU_DEP_1) | instskip(SKIP_1) | instid1(VALU_DEP_2)
	v_div_scale_f32 v4, null, v2, v2, 1.0
	v_div_scale_f32 v7, vcc_lo, 1.0, v2, 1.0
	v_rcp_f32_e32 v6, v4
	v_nop
	s_delay_alu instid0(TRANS32_DEP_1) | instskip(NEXT) | instid1(VALU_DEP_1)
	v_fma_f32 v5, -v4, v6, 1.0
	v_fmac_f32_e32 v6, v5, v6
	s_delay_alu instid0(VALU_DEP_1) | instskip(NEXT) | instid1(VALU_DEP_1)
	v_mul_f32_e32 v8, v7, v6
	v_fma_f32 v5, -v4, v8, v7
	s_delay_alu instid0(VALU_DEP_1) | instskip(SKIP_1) | instid1(VALU_DEP_2)
	v_fmac_f32_e32 v8, v5, v6
	v_xad_u32 v5, v0, -1, s11
	v_fma_f32 v4, -v4, v8, v7
	s_delay_alu instid0(VALU_DEP_1) | instskip(NEXT) | instid1(VALU_DEP_1)
	v_div_fmas_f32 v4, v4, v6, v8
	v_div_fixup_f32 v4, v4, v2, 1.0
	v_mov_b32_e32 v2, v0
	v_cmpx_lt_u32_e32 0x7f, v5
	s_cbranch_execz .LBB289_286
; %bb.278:
	s_delay_alu instid0(VALU_DEP_3) | instskip(NEXT) | instid1(VALU_DEP_1)
	v_dual_mov_b32 v5, v4 :: v_dual_lshrrev_b32 v2, 7, v5
	v_dual_mov_b32 v9, 0 :: v_dual_add_nc_u32 v6, -1, v2
	s_delay_alu instid0(VALU_DEP_1) | instskip(SKIP_1) | instid1(VALU_DEP_2)
	v_lshrrev_b32_e32 v7, 1, v6
	v_cmp_lt_u32_e32 vcc_lo, 13, v6
	v_add_nc_u32_e32 v6, 1, v7
	s_and_saveexec_b32 s3, vcc_lo
	s_cbranch_execz .LBB289_282
; %bb.279:
	s_delay_alu instid0(VALU_DEP_1)
	v_and_b32_e32 v7, -8, v6
	v_lshl_add_u32 v8, v0, 2, 0x60
	s_mov_b32 s20, 0
	s_mov_b32 s21, 0
.LBB289_280:                            ; =>This Inner Loop Header: Depth=1
	ds_load_2addr_stride64_b32 v[10:11], v8 offset1:2
	ds_load_2addr_stride64_b32 v[12:13], v8 offset0:4 offset1:6
	ds_load_2addr_stride64_b32 v[14:15], v8 offset0:8 offset1:10
	;; [unrolled: 1-line block ×7, first 2 shown]
	s_add_co_i32 s21, s21, 16
	s_delay_alu instid0(SALU_CYCLE_1) | instskip(NEXT) | instid1(VALU_DEP_1)
	v_dual_add_nc_u32 v7, -8, v7 :: v_dual_mov_b32 v9, s21
	v_cmp_eq_u32_e32 vcc_lo, 0, v7
	s_or_b32 s20, vcc_lo, s20
	s_wait_dscnt 0x7
	v_pk_mul_f32 v[10:11], v[4:5], v[10:11]
	s_wait_dscnt 0x6
	v_pk_mul_f32 v[12:13], v[4:5], v[12:13]
	;; [unrolled: 2-line block ×8, first 2 shown]
	ds_store_2addr_stride64_b32 v8, v10, v11 offset1:2
	ds_store_2addr_stride64_b32 v8, v12, v13 offset0:4 offset1:6
	ds_store_2addr_stride64_b32 v8, v14, v15 offset0:8 offset1:10
	;; [unrolled: 1-line block ×7, first 2 shown]
	v_add_nc_u32_e32 v8, 0x2000, v8
	s_and_not1_b32 exec_lo, exec_lo, s20
	s_cbranch_execnz .LBB289_280
; %bb.281:
	s_or_b32 exec_lo, exec_lo, s20
.LBB289_282:
	s_delay_alu instid0(SALU_CYCLE_1) | instskip(NEXT) | instid1(VALU_DEP_1)
	s_or_b32 exec_lo, exec_lo, s3
	v_and_b32_e32 v6, 7, v6
	s_mov_b32 s20, 0
	s_mov_b32 s3, exec_lo
	s_delay_alu instid0(VALU_DEP_1)
	v_cmpx_ne_u32_e32 0, v6
	s_cbranch_execz .LBB289_285
; %bb.283:
	v_dual_lshlrev_b32 v7, 9, v9 :: v_dual_lshlrev_b32 v8, 2, v0
	s_delay_alu instid0(VALU_DEP_1)
	v_add3_u32 v7, v7, v8, 0x60
.LBB289_284:                            ; =>This Inner Loop Header: Depth=1
	ds_load_2addr_stride64_b32 v[8:9], v7 offset1:2
	v_add_nc_u32_e32 v6, -1, v6
	s_delay_alu instid0(VALU_DEP_1)
	v_cmp_eq_u32_e32 vcc_lo, 0, v6
	s_or_b32 s20, vcc_lo, s20
	s_wait_dscnt 0x0
	v_pk_mul_f32 v[8:9], v[4:5], v[8:9]
	ds_store_2addr_stride64_b32 v7, v8, v9 offset1:2
	v_add_nc_u32_e32 v7, 0x400, v7
	s_and_not1_b32 exec_lo, exec_lo, s20
	s_cbranch_execnz .LBB289_284
.LBB289_285:
	s_or_b32 exec_lo, exec_lo, s3
	v_add_nc_u32_e32 v2, 1, v2
	s_delay_alu instid0(VALU_DEP_1) | instskip(NEXT) | instid1(VALU_DEP_1)
	v_and_b32_e32 v5, 0x3fffffe, v2
	v_cmp_ne_u32_e32 vcc_lo, v2, v5
	v_lshl_add_u32 v2, v5, 7, v0
	s_or_not1_b32 s3, vcc_lo, exec_lo
.LBB289_286:
	s_or_b32 exec_lo, exec_lo, s1
	s_delay_alu instid0(SALU_CYCLE_1)
	s_and_b32 exec_lo, exec_lo, s3
	s_cbranch_execz .LBB289_289
; %bb.287:
	v_lshl_add_u32 v5, v2, 2, 0x60
	s_mov_b32 s1, 0
.LBB289_288:                            ; =>This Inner Loop Header: Depth=1
	ds_load_b32 v6, v5
	v_add_nc_u32_e32 v2, 0x80, v2
	s_delay_alu instid0(VALU_DEP_1)
	v_cmp_le_i32_e32 vcc_lo, s11, v2
	s_or_b32 s1, vcc_lo, s1
	s_wait_dscnt 0x0
	v_mul_f32_e32 v6, v4, v6
	ds_store_b32 v5, v6
	v_add_nc_u32_e32 v5, 0x200, v5
	s_and_not1_b32 exec_lo, exec_lo, s1
	s_cbranch_execnz .LBB289_288
.LBB289_289:
	s_or_b32 exec_lo, exec_lo, s0
	s_wait_dscnt 0x0
	v_dual_mov_b32 v2, 0 :: v_dual_bitop2_b32 v26, 3, v0 bitop3:0x40
	v_dual_mov_b32 v5, 0 :: v_dual_mov_b32 v4, 0
	s_barrier_signal -1
	s_barrier_wait -1
	s_and_saveexec_b32 s1, s2
	s_cbranch_execz .LBB289_557
; %bb.290:
	v_dual_mov_b32 v7, 0 :: v_dual_lshlrev_b32 v2, 3, v0
	s_ashr_i32 s11, s10, 31
	v_lshlrev_b32_e32 v3, 5, v26
	s_wait_kmcnt 0x0
	s_add_nc_u64 s[10:11], s[18:19], s[10:11]
	v_and_b32_e32 v6, 0xf8, v2
	v_and_b32_e32 v2, 24, v2
	s_lshl_b64 s[2:3], s[16:17], 2
	v_dual_mov_b32 v4, 0 :: v_dual_mov_b32 v29, v54
	s_delay_alu instid0(VALU_DEP_3)
	v_add_nc_u64_e32 v[8:9], s[10:11], v[6:7]
	v_and_b32_e32 v6, 0x7c, v1
	v_lshl_or_b32 v27, v54, 5, v2
	v_mov_b32_e32 v2, 0
	v_lshl_or_b32 v3, v54, 7, v3
	s_add_nc_u64 s[2:3], s[14:15], s[2:3]
	v_mov_b32_e32 v5, 0
	v_add_nc_u64_e32 v[10:11], s[2:3], v[6:7]
	s_mov_b64 s[2:3], 0xffffffffffffff
	v_dual_mov_b32 v3, 0 :: v_dual_add_nc_u32 v28, 0x60, v3
	s_add_co_i32 s10, s13, -1
	s_mov_b32 s14, s25
	s_mov_b32 s11, 0
	s_branch .LBB289_292
.LBB289_291:                            ;   in Loop: Header=BB289_292 Depth=1
	s_or_b32 exec_lo, exec_lo, s0
	;;#ASMSTART
	v_pk_mul_f16 v1, v42, v15;

	;;#ASMEND
	;;#ASMSTART
	v_pk_mul_f16 v6, v41, v14;

	;;#ASMEND
	;; [unrolled: 4-line block ×4, first 2 shown]
	;;#ASMSTART
	v_pk_add_f16 v1, v1, v6;

	;;#ASMEND
	;;#ASMSTART
	v_pk_add_f16 v1, v1, v13;

	;;#ASMEND
	;; [unrolled: 4-line block ×3, first 2 shown]
	v_and_b32_e32 v13, 0xffff, v1
	v_dual_add_f32 v1, v37, v38 :: v_dual_lshrrev_b32 v14, 16, v1
	;;#ASMSTART
	v_cvt_f32_f16 v13, v13;
	;;#ASMEND
	;;#ASMSTART
	v_cvt_f32_f16 v14, v14;
	;;#ASMEND
	s_delay_alu instid0(VALU_DEP_1) | instskip(SKIP_3) | instid1(VALU_DEP_4)
	v_dual_add_f32 v13, v13, v14 :: v_dual_add_nc_u32 v29, 4, v29
	v_dual_add_f32 v6, v45, v46 :: v_dual_add_f32 v12, v43, v44
	v_add_nc_u64_e32 v[10:11], 16, v[10:11]
	v_add_f32_e32 v2, v2, v1
	v_cmp_le_i32_e32 vcc_lo, s13, v29
	s_delay_alu instid0(VALU_DEP_4) | instskip(SKIP_4) | instid1(SALU_CYCLE_1)
	v_dual_add_f32 v5, v5, v6 :: v_dual_add_f32 v4, v4, v12
	v_add_f32_e32 v3, v3, v13
	v_add_nc_u32_e32 v27, 0x80, v27
	v_add_nc_u32_e32 v28, 0x200, v28
	s_or_b32 s11, vcc_lo, s11
	s_and_not1_b32 exec_lo, exec_lo, s11
	s_cbranch_execz .LBB289_556
.LBB289_292:                            ; =>This Inner Loop Header: Depth=1
	global_load_b32 v1, v[10:11], off
	ds_load_2addr_b64 v[14:17], v28 offset1:1
	ds_load_2addr_b64 v[18:21], v28 offset0:2 offset1:3
	s_mov_b32 s0, exec_lo
	s_wait_dscnt 0x1
	;;#ASMSTART
	v_cvt_f16_f32 v40, v14;

	;;#ASMEND
	;;#ASMSTART
	v_cvt_f16_f32 v37, v15;

	;;#ASMEND
	;; [unrolled: 4-line block ×4, first 2 shown]
	s_wait_dscnt 0x0
	;;#ASMSTART
	v_cvt_f16_f32 v42, v18;

	;;#ASMEND
	;;#ASMSTART
	v_cvt_f16_f32 v39, v19;

	;;#ASMEND
	;; [unrolled: 4-line block ×4, first 2 shown]
	s_wait_loadcnt 0x0
	v_mad_nc_i64_i32 v[12:13], v1, s9, v[8:9]
	v_mov_b32_e32 v1, 0
	global_load_b64 v[16:17], v[12:13], off
	global_load_b32 v14, v7, s[6:7]
	s_wait_loadcnt 0x1
	v_and_b32_e32 v6, 0xff, v16
	s_wait_xcnt 0x0
	s_delay_alu instid0(VALU_DEP_1)
	v_cmpx_ne_u16_e32 0, v6
	s_cbranch_execz .LBB289_300
; %bb.293:                              ;   in Loop: Header=BB289_292 Depth=1
	v_mov_b32_e32 v1, 0x8000
	s_mov_b32 s15, exec_lo
	v_cmpx_ne_u16_e32 0x80, v6
	s_cbranch_execz .LBB289_299
; %bb.294:                              ;   in Loop: Header=BB289_292 Depth=1
	v_and_b32_e32 v15, 0x7f, v16
	v_mov_b32_e32 v1, 0x7c01
	s_mov_b32 s16, exec_lo
	s_delay_alu instid0(VALU_DEP_2)
	v_cmpx_ne_u32_e32 0x7f, v15
	s_cbranch_execz .LBB289_298
; %bb.295:                              ;   in Loop: Header=BB289_292 Depth=1
	v_dual_lshrrev_b32 v6, 3, v15 :: v_dual_bitop2_b32 v1, 7, v16 bitop3:0x40
	s_mov_b32 s17, exec_lo
	v_cmpx_gt_u32_e32 8, v15
; %bb.296:                              ;   in Loop: Header=BB289_292 Depth=1
	s_delay_alu instid0(VALU_DEP_2) | instskip(NEXT) | instid1(VALU_DEP_1)
	v_clz_i32_u32_e32 v1, v1
	v_min_u32_e32 v1, 32, v1
	s_delay_alu instid0(VALU_DEP_1) | instskip(NEXT) | instid1(VALU_DEP_1)
	v_subrev_nc_u32_e32 v6, 28, v1
	v_lshlrev_b64_e32 v[18:19], v6, v[16:17]
	s_delay_alu instid0(VALU_DEP_1)
	v_dual_sub_nc_u32 v6, 29, v1 :: v_dual_bitop2_b32 v1, 7, v18 bitop3:0x40
; %bb.297:                              ;   in Loop: Header=BB289_292 Depth=1
	s_or_b32 exec_lo, exec_lo, s17
	s_delay_alu instid0(VALU_DEP_1) | instskip(NEXT) | instid1(VALU_DEP_2)
	v_dual_lshlrev_b32 v15, 8, v16 :: v_dual_lshlrev_b32 v1, 7, v1
	v_lshl_add_u32 v6, v6, 10, 0x2000
	s_delay_alu instid0(VALU_DEP_2) | instskip(NEXT) | instid1(VALU_DEP_2)
	v_and_b32_e32 v15, 0x8000, v15
	v_and_b32_e32 v6, 0xfc00, v6
	s_delay_alu instid0(VALU_DEP_1)
	v_or3_b32 v1, v15, v6, v1
.LBB289_298:                            ;   in Loop: Header=BB289_292 Depth=1
	s_or_b32 exec_lo, exec_lo, s16
.LBB289_299:                            ;   in Loop: Header=BB289_292 Depth=1
	s_delay_alu instid0(SALU_CYCLE_1)
	s_or_b32 exec_lo, exec_lo, s15
.LBB289_300:                            ;   in Loop: Header=BB289_292 Depth=1
	s_delay_alu instid0(SALU_CYCLE_1) | instskip(SKIP_3) | instid1(VALU_DEP_2)
	s_or_b32 exec_lo, exec_lo, s0
	v_lshrrev_b16 v6, 8, v16
	v_dual_mov_b32 v15, 0 :: v_dual_mov_b32 v18, 0
	s_mov_b32 s0, exec_lo
	v_cmpx_ne_u16_e32 0, v6
	s_cbranch_execz .LBB289_308
; %bb.301:                              ;   in Loop: Header=BB289_292 Depth=1
	v_bfrev_b32_e32 v18, 1
	s_mov_b32 s15, exec_lo
	v_cmpx_ne_u16_e32 0x80, v6
	s_cbranch_execz .LBB289_307
; %bb.302:                              ;   in Loop: Header=BB289_292 Depth=1
	v_and_b32_e32 v19, 0xffff, v6
	v_mov_b32_e32 v18, 0x7c010000
	s_mov_b32 s16, exec_lo
	s_delay_alu instid0(VALU_DEP_2) | instskip(NEXT) | instid1(VALU_DEP_1)
	v_and_b32_e32 v21, 0x7f, v19
	v_cmpx_ne_u32_e32 0x7f, v21
	s_cbranch_execz .LBB289_306
; %bb.303:                              ;   in Loop: Header=BB289_292 Depth=1
	v_dual_lshrrev_b32 v20, 3, v21 :: v_dual_bitop2_b32 v18, 7, v19 bitop3:0x40
	s_mov_b32 s17, exec_lo
	v_cmpx_gt_u32_e32 8, v21
; %bb.304:                              ;   in Loop: Header=BB289_292 Depth=1
	s_delay_alu instid0(VALU_DEP_2) | instskip(NEXT) | instid1(VALU_DEP_1)
	v_clz_i32_u32_e32 v18, v18
	v_min_u32_e32 v18, 32, v18
	s_delay_alu instid0(VALU_DEP_1) | instskip(NEXT) | instid1(VALU_DEP_1)
	v_subrev_nc_u32_e32 v20, 28, v18
	v_lshlrev_b64_e32 v[22:23], v20, v[6:7]
	v_sub_nc_u32_e32 v20, 29, v18
	s_delay_alu instid0(VALU_DEP_2)
	v_and_b32_e32 v18, 7, v22
; %bb.305:                              ;   in Loop: Header=BB289_292 Depth=1
	s_or_b32 exec_lo, exec_lo, s17
	s_delay_alu instid0(VALU_DEP_1) | instskip(NEXT) | instid1(VALU_DEP_3)
	v_dual_lshlrev_b32 v6, 8, v19 :: v_dual_lshlrev_b32 v18, 23, v18
	v_lshl_add_u32 v19, v20, 10, 0x2000
	s_delay_alu instid0(VALU_DEP_1) | instskip(NEXT) | instid1(VALU_DEP_1)
	v_and_or_b32 v6, 0x8000, v6, v19
	v_lshl_or_b32 v18, v6, 16, v18
.LBB289_306:                            ;   in Loop: Header=BB289_292 Depth=1
	s_or_b32 exec_lo, exec_lo, s16
.LBB289_307:                            ;   in Loop: Header=BB289_292 Depth=1
	s_delay_alu instid0(SALU_CYCLE_1)
	s_or_b32 exec_lo, exec_lo, s15
.LBB289_308:                            ;   in Loop: Header=BB289_292 Depth=1
	s_delay_alu instid0(SALU_CYCLE_1) | instskip(SKIP_2) | instid1(VALU_DEP_1)
	s_or_b32 exec_lo, exec_lo, s0
	v_lshrrev_b32_e32 v6, 16, v16
	s_mov_b32 s0, exec_lo
	v_and_b32_e32 v19, 0xff, v6
	s_delay_alu instid0(VALU_DEP_1)
	v_cmpx_ne_u16_e32 0, v19
	s_cbranch_execz .LBB289_316
; %bb.309:                              ;   in Loop: Header=BB289_292 Depth=1
	v_mov_b32_e32 v15, 0x8000
	s_mov_b32 s15, exec_lo
	v_cmpx_ne_u16_e32 0x80, v19
	s_cbranch_execz .LBB289_315
; %bb.310:                              ;   in Loop: Header=BB289_292 Depth=1
	v_bfe_u32 v20, v16, 16, 7
	v_mov_b32_e32 v15, 0x7c01
	s_mov_b32 s16, exec_lo
	s_delay_alu instid0(VALU_DEP_2)
	v_cmpx_ne_u32_e32 0x7f, v20
	s_cbranch_execz .LBB289_314
; %bb.311:                              ;   in Loop: Header=BB289_292 Depth=1
	v_dual_lshrrev_b32 v19, 3, v20 :: v_dual_bitop2_b32 v15, 7, v6 bitop3:0x40
	s_mov_b32 s17, exec_lo
	v_cmpx_gt_u32_e32 8, v20
; %bb.312:                              ;   in Loop: Header=BB289_292 Depth=1
	s_delay_alu instid0(VALU_DEP_2) | instskip(NEXT) | instid1(VALU_DEP_1)
	v_clz_i32_u32_e32 v15, v15
	v_min_u32_e32 v15, 32, v15
	s_delay_alu instid0(VALU_DEP_1) | instskip(NEXT) | instid1(VALU_DEP_1)
	v_subrev_nc_u32_e32 v19, 28, v15
	v_lshlrev_b64_e32 v[20:21], v19, v[6:7]
	s_delay_alu instid0(VALU_DEP_1)
	v_dual_sub_nc_u32 v19, 29, v15 :: v_dual_bitop2_b32 v15, 7, v20 bitop3:0x40
; %bb.313:                              ;   in Loop: Header=BB289_292 Depth=1
	s_or_b32 exec_lo, exec_lo, s17
	s_delay_alu instid0(VALU_DEP_1) | instskip(NEXT) | instid1(VALU_DEP_2)
	v_dual_lshlrev_b32 v6, 8, v6 :: v_dual_lshlrev_b32 v15, 7, v15
	v_lshl_add_u32 v19, v19, 10, 0x2000
	s_delay_alu instid0(VALU_DEP_2) | instskip(NEXT) | instid1(VALU_DEP_2)
	v_and_b32_e32 v6, 0x8000, v6
	v_and_b32_e32 v19, 0xfc00, v19
	s_delay_alu instid0(VALU_DEP_1)
	v_or3_b32 v15, v6, v19, v15
.LBB289_314:                            ;   in Loop: Header=BB289_292 Depth=1
	s_or_b32 exec_lo, exec_lo, s16
.LBB289_315:                            ;   in Loop: Header=BB289_292 Depth=1
	s_delay_alu instid0(SALU_CYCLE_1)
	s_or_b32 exec_lo, exec_lo, s15
.LBB289_316:                            ;   in Loop: Header=BB289_292 Depth=1
	s_delay_alu instid0(SALU_CYCLE_1)
	s_or_b32 exec_lo, exec_lo, s0
	v_dual_mov_b32 v19, 0 :: v_dual_mov_b32 v20, 0
	s_mov_b32 s0, exec_lo
	v_cmpx_lt_u32_e32 0xffffff, v16
	s_cbranch_execz .LBB289_324
; %bb.317:                              ;   in Loop: Header=BB289_292 Depth=1
	v_lshrrev_b32_e32 v6, 24, v16
	v_bfrev_b32_e32 v20, 1
	s_mov_b32 s15, exec_lo
	s_delay_alu instid0(VALU_DEP_2)
	v_cmpx_ne_u32_e32 0x80, v6
	s_cbranch_execz .LBB289_323
; %bb.318:                              ;   in Loop: Header=BB289_292 Depth=1
	v_and_b32_e32 v22, 0x7f, v6
	v_mov_b32_e32 v20, 0x7c010000
	s_mov_b32 s16, exec_lo
	s_delay_alu instid0(VALU_DEP_2)
	v_cmpx_ne_u32_e32 0x7f, v22
	s_cbranch_execz .LBB289_322
; %bb.319:                              ;   in Loop: Header=BB289_292 Depth=1
	v_and_b32_e32 v20, 7, v6
	v_lshrrev_b32_e32 v21, 3, v22
	s_mov_b32 s17, exec_lo
	v_cmpx_gt_u32_e32 8, v22
; %bb.320:                              ;   in Loop: Header=BB289_292 Depth=1
	s_delay_alu instid0(VALU_DEP_3) | instskip(NEXT) | instid1(VALU_DEP_1)
	v_clz_i32_u32_e32 v20, v20
	v_min_u32_e32 v22, 32, v20
	s_delay_alu instid0(VALU_DEP_1) | instskip(NEXT) | instid1(VALU_DEP_1)
	v_subrev_nc_u32_e32 v20, 28, v22
	v_lshlrev_b64_e32 v[20:21], v20, v[6:7]
	s_delay_alu instid0(VALU_DEP_1)
	v_dual_sub_nc_u32 v21, 29, v22 :: v_dual_bitop2_b32 v20, 7, v20 bitop3:0x40
; %bb.321:                              ;   in Loop: Header=BB289_292 Depth=1
	s_or_b32 exec_lo, exec_lo, s17
	s_delay_alu instid0(VALU_DEP_1) | instskip(NEXT) | instid1(VALU_DEP_2)
	v_dual_lshlrev_b32 v6, 8, v6 :: v_dual_lshlrev_b32 v20, 23, v20
	v_lshl_add_u32 v21, v21, 10, 0x2000
	s_delay_alu instid0(VALU_DEP_1) | instskip(NEXT) | instid1(VALU_DEP_1)
	v_and_or_b32 v6, 0x8000, v6, v21
	v_lshl_or_b32 v20, v6, 16, v20
.LBB289_322:                            ;   in Loop: Header=BB289_292 Depth=1
	s_or_b32 exec_lo, exec_lo, s16
.LBB289_323:                            ;   in Loop: Header=BB289_292 Depth=1
	s_delay_alu instid0(SALU_CYCLE_1)
	s_or_b32 exec_lo, exec_lo, s15
.LBB289_324:                            ;   in Loop: Header=BB289_292 Depth=1
	s_delay_alu instid0(SALU_CYCLE_1) | instskip(SKIP_3) | instid1(VALU_DEP_2)
	s_or_b32 exec_lo, exec_lo, s0
	v_and_b32_e32 v21, 0xff, v17
	v_mov_b32_e32 v6, v17
	s_mov_b32 s0, exec_lo
	v_cmpx_ne_u16_e32 0, v21
	s_cbranch_execz .LBB289_332
; %bb.325:                              ;   in Loop: Header=BB289_292 Depth=1
	v_mov_b32_e32 v19, 0x8000
	s_mov_b32 s15, exec_lo
	v_cmpx_ne_u16_e32 0x80, v21
	s_cbranch_execz .LBB289_331
; %bb.326:                              ;   in Loop: Header=BB289_292 Depth=1
	v_and_b32_e32 v22, 0x7f, v17
	v_mov_b32_e32 v19, 0x7c01
	s_mov_b32 s16, exec_lo
	s_delay_alu instid0(VALU_DEP_2)
	v_cmpx_ne_u32_e32 0x7f, v22
	s_cbranch_execz .LBB289_330
; %bb.327:                              ;   in Loop: Header=BB289_292 Depth=1
	v_dual_lshrrev_b32 v21, 3, v22 :: v_dual_bitop2_b32 v19, 7, v17 bitop3:0x40
	s_mov_b32 s17, exec_lo
	v_cmpx_gt_u32_e32 8, v22
; %bb.328:                              ;   in Loop: Header=BB289_292 Depth=1
	s_delay_alu instid0(VALU_DEP_2) | instskip(NEXT) | instid1(VALU_DEP_1)
	v_clz_i32_u32_e32 v19, v19
	v_min_u32_e32 v19, 32, v19
	s_delay_alu instid0(VALU_DEP_1) | instskip(NEXT) | instid1(VALU_DEP_1)
	v_subrev_nc_u32_e32 v21, 28, v19
	v_lshlrev_b64_e32 v[22:23], v21, v[6:7]
	s_delay_alu instid0(VALU_DEP_1)
	v_dual_sub_nc_u32 v21, 29, v19 :: v_dual_bitop2_b32 v19, 7, v22 bitop3:0x40
; %bb.329:                              ;   in Loop: Header=BB289_292 Depth=1
	s_or_b32 exec_lo, exec_lo, s17
	s_delay_alu instid0(VALU_DEP_1) | instskip(NEXT) | instid1(VALU_DEP_2)
	v_dual_lshlrev_b32 v22, 8, v17 :: v_dual_lshlrev_b32 v19, 7, v19
	v_lshl_add_u32 v21, v21, 10, 0x2000
	s_delay_alu instid0(VALU_DEP_2) | instskip(NEXT) | instid1(VALU_DEP_2)
	v_and_b32_e32 v22, 0x8000, v22
	v_and_b32_e32 v21, 0xfc00, v21
	s_delay_alu instid0(VALU_DEP_1)
	v_or3_b32 v19, v22, v21, v19
.LBB289_330:                            ;   in Loop: Header=BB289_292 Depth=1
	s_or_b32 exec_lo, exec_lo, s16
.LBB289_331:                            ;   in Loop: Header=BB289_292 Depth=1
	s_delay_alu instid0(SALU_CYCLE_1)
	s_or_b32 exec_lo, exec_lo, s15
.LBB289_332:                            ;   in Loop: Header=BB289_292 Depth=1
	s_delay_alu instid0(SALU_CYCLE_1) | instskip(SKIP_3) | instid1(VALU_DEP_2)
	s_or_b32 exec_lo, exec_lo, s0
	v_lshrrev_b16 v6, 8, v6
	v_dual_mov_b32 v22, 0 :: v_dual_mov_b32 v21, 0
	s_mov_b32 s0, exec_lo
	v_cmpx_ne_u16_e32 0, v6
	s_cbranch_execz .LBB289_340
; %bb.333:                              ;   in Loop: Header=BB289_292 Depth=1
	v_bfrev_b32_e32 v21, 1
	s_mov_b32 s15, exec_lo
	v_cmpx_ne_u16_e32 0x80, v6
	s_cbranch_execz .LBB289_339
; %bb.334:                              ;   in Loop: Header=BB289_292 Depth=1
	v_and_b32_e32 v23, 0xffff, v6
	v_mov_b32_e32 v21, 0x7c010000
	s_mov_b32 s16, exec_lo
	s_delay_alu instid0(VALU_DEP_2) | instskip(NEXT) | instid1(VALU_DEP_1)
	v_and_b32_e32 v31, 0x7f, v23
	v_cmpx_ne_u32_e32 0x7f, v31
	s_cbranch_execz .LBB289_338
; %bb.335:                              ;   in Loop: Header=BB289_292 Depth=1
	v_and_b32_e32 v21, 7, v23
	v_lshrrev_b32_e32 v30, 3, v31
	s_mov_b32 s17, exec_lo
	v_cmpx_gt_u32_e32 8, v31
; %bb.336:                              ;   in Loop: Header=BB289_292 Depth=1
	s_delay_alu instid0(VALU_DEP_3) | instskip(NEXT) | instid1(VALU_DEP_1)
	v_clz_i32_u32_e32 v21, v21
	v_min_u32_e32 v21, 32, v21
	s_delay_alu instid0(VALU_DEP_1) | instskip(NEXT) | instid1(VALU_DEP_1)
	v_subrev_nc_u32_e32 v30, 28, v21
	v_lshlrev_b64_e32 v[32:33], v30, v[6:7]
	s_delay_alu instid0(VALU_DEP_1)
	v_dual_sub_nc_u32 v30, 29, v21 :: v_dual_bitop2_b32 v21, 7, v32 bitop3:0x40
; %bb.337:                              ;   in Loop: Header=BB289_292 Depth=1
	s_or_b32 exec_lo, exec_lo, s17
	s_delay_alu instid0(VALU_DEP_1) | instskip(NEXT) | instid1(VALU_DEP_2)
	v_dual_lshlrev_b32 v6, 8, v23 :: v_dual_lshlrev_b32 v21, 23, v21
	v_lshl_add_u32 v23, v30, 10, 0x2000
	s_delay_alu instid0(VALU_DEP_1) | instskip(NEXT) | instid1(VALU_DEP_1)
	v_and_or_b32 v6, 0x8000, v6, v23
	v_lshl_or_b32 v21, v6, 16, v21
.LBB289_338:                            ;   in Loop: Header=BB289_292 Depth=1
	s_or_b32 exec_lo, exec_lo, s16
.LBB289_339:                            ;   in Loop: Header=BB289_292 Depth=1
	s_delay_alu instid0(SALU_CYCLE_1)
	s_or_b32 exec_lo, exec_lo, s15
.LBB289_340:                            ;   in Loop: Header=BB289_292 Depth=1
	s_delay_alu instid0(SALU_CYCLE_1) | instskip(SKIP_2) | instid1(VALU_DEP_1)
	s_or_b32 exec_lo, exec_lo, s0
	v_lshrrev_b32_e32 v6, 16, v17
	s_mov_b32 s0, exec_lo
	v_and_b32_e32 v23, 0xff, v6
	s_delay_alu instid0(VALU_DEP_1)
	v_cmpx_ne_u16_e32 0, v23
	s_cbranch_execz .LBB289_348
; %bb.341:                              ;   in Loop: Header=BB289_292 Depth=1
	v_mov_b32_e32 v22, 0x8000
	s_mov_b32 s15, exec_lo
	v_cmpx_ne_u16_e32 0x80, v23
	s_cbranch_execz .LBB289_347
; %bb.342:                              ;   in Loop: Header=BB289_292 Depth=1
	v_bfe_u32 v30, v17, 16, 7
	v_mov_b32_e32 v22, 0x7c01
	s_mov_b32 s16, exec_lo
	s_delay_alu instid0(VALU_DEP_2)
	v_cmpx_ne_u32_e32 0x7f, v30
	s_cbranch_execz .LBB289_346
; %bb.343:                              ;   in Loop: Header=BB289_292 Depth=1
	v_and_b32_e32 v22, 7, v6
	v_lshrrev_b32_e32 v23, 3, v30
	s_mov_b32 s17, exec_lo
	v_cmpx_gt_u32_e32 8, v30
; %bb.344:                              ;   in Loop: Header=BB289_292 Depth=1
	s_delay_alu instid0(VALU_DEP_3) | instskip(NEXT) | instid1(VALU_DEP_1)
	v_clz_i32_u32_e32 v22, v22
	v_min_u32_e32 v30, 32, v22
	s_delay_alu instid0(VALU_DEP_1) | instskip(NEXT) | instid1(VALU_DEP_1)
	v_subrev_nc_u32_e32 v22, 28, v30
	v_lshlrev_b64_e32 v[22:23], v22, v[6:7]
	v_sub_nc_u32_e32 v23, 29, v30
	s_delay_alu instid0(VALU_DEP_2)
	v_and_b32_e32 v22, 7, v22
; %bb.345:                              ;   in Loop: Header=BB289_292 Depth=1
	s_or_b32 exec_lo, exec_lo, s17
	v_lshlrev_b32_e32 v6, 8, v6
	s_delay_alu instid0(VALU_DEP_3) | instskip(NEXT) | instid1(VALU_DEP_3)
	v_lshl_add_u32 v23, v23, 10, 0x2000
	v_lshlrev_b32_e32 v22, 7, v22
	s_delay_alu instid0(VALU_DEP_3) | instskip(NEXT) | instid1(VALU_DEP_3)
	v_and_b32_e32 v6, 0x8000, v6
	v_and_b32_e32 v23, 0xfc00, v23
	s_delay_alu instid0(VALU_DEP_1)
	v_or3_b32 v22, v6, v23, v22
.LBB289_346:                            ;   in Loop: Header=BB289_292 Depth=1
	s_or_b32 exec_lo, exec_lo, s16
.LBB289_347:                            ;   in Loop: Header=BB289_292 Depth=1
	s_delay_alu instid0(SALU_CYCLE_1)
	s_or_b32 exec_lo, exec_lo, s15
.LBB289_348:                            ;   in Loop: Header=BB289_292 Depth=1
	s_delay_alu instid0(SALU_CYCLE_1)
	s_or_b32 exec_lo, exec_lo, s0
	v_cmp_lt_u64_e32 vcc_lo, s[2:3], v[16:17]
	v_mov_b32_e32 v16, 0
	s_and_saveexec_b32 s0, vcc_lo
	s_cbranch_execz .LBB289_356
; %bb.349:                              ;   in Loop: Header=BB289_292 Depth=1
	v_lshrrev_b32_e32 v6, 24, v17
	v_bfrev_b32_e32 v16, 1
	s_mov_b32 s15, exec_lo
	s_delay_alu instid0(VALU_DEP_2)
	v_cmpx_ne_u32_e32 0x80, v6
	s_cbranch_execz .LBB289_355
; %bb.350:                              ;   in Loop: Header=BB289_292 Depth=1
	v_and_b32_e32 v23, 0x7f, v6
	v_mov_b32_e32 v16, 0x7c010000
	s_mov_b32 s16, exec_lo
	s_delay_alu instid0(VALU_DEP_2)
	v_cmpx_ne_u32_e32 0x7f, v23
	s_cbranch_execz .LBB289_354
; %bb.351:                              ;   in Loop: Header=BB289_292 Depth=1
	v_dual_lshrrev_b32 v17, 3, v23 :: v_dual_bitop2_b32 v16, 7, v6 bitop3:0x40
	s_mov_b32 s17, exec_lo
	v_cmpx_gt_u32_e32 8, v23
; %bb.352:                              ;   in Loop: Header=BB289_292 Depth=1
	s_delay_alu instid0(VALU_DEP_2) | instskip(NEXT) | instid1(VALU_DEP_1)
	v_clz_i32_u32_e32 v16, v16
	v_min_u32_e32 v23, 32, v16
	s_delay_alu instid0(VALU_DEP_1) | instskip(NEXT) | instid1(VALU_DEP_1)
	v_subrev_nc_u32_e32 v16, 28, v23
	v_lshlrev_b64_e32 v[16:17], v16, v[6:7]
	s_delay_alu instid0(VALU_DEP_1)
	v_dual_sub_nc_u32 v17, 29, v23 :: v_dual_bitop2_b32 v16, 7, v16 bitop3:0x40
; %bb.353:                              ;   in Loop: Header=BB289_292 Depth=1
	s_or_b32 exec_lo, exec_lo, s17
	s_delay_alu instid0(VALU_DEP_1) | instskip(NEXT) | instid1(VALU_DEP_2)
	v_dual_lshlrev_b32 v6, 8, v6 :: v_dual_lshlrev_b32 v16, 23, v16
	v_lshl_add_u32 v17, v17, 10, 0x2000
	s_delay_alu instid0(VALU_DEP_1) | instskip(NEXT) | instid1(VALU_DEP_1)
	v_and_or_b32 v6, 0x8000, v6, v17
	v_lshl_or_b32 v16, v6, 16, v16
.LBB289_354:                            ;   in Loop: Header=BB289_292 Depth=1
	s_or_b32 exec_lo, exec_lo, s16
.LBB289_355:                            ;   in Loop: Header=BB289_292 Depth=1
	s_delay_alu instid0(SALU_CYCLE_1)
	s_or_b32 exec_lo, exec_lo, s15
.LBB289_356:                            ;   in Loop: Header=BB289_292 Depth=1
	s_delay_alu instid0(SALU_CYCLE_1) | instskip(SKIP_3) | instid1(VALU_DEP_3)
	s_or_b32 exec_lo, exec_lo, s0
	v_dual_lshrrev_b32 v6, 16, v18 :: v_dual_lshrrev_b32 v17, 16, v20
	v_or_b32_e32 v1, v18, v1
	v_dual_lshrrev_b32 v18, 16, v21 :: v_dual_bitop2_b32 v15, v20, v15 bitop3:0x54
	v_cvt_f32_f16_e32 v31, v6
	s_delay_alu instid0(VALU_DEP_4) | instskip(SKIP_1) | instid1(VALU_DEP_4)
	v_cvt_f32_f16_e32 v30, v17
	v_dual_lshrrev_b32 v20, 16, v16 :: v_dual_bitop2_b32 v6, v16, v22 bitop3:0x54
	v_cvt_f32_f16_e32 v16, v15
	v_cvt_f32_f16_e32 v17, v1
	s_wait_loadcnt 0x0
	v_pk_mul_f32 v[22:23], v[14:15], v[30:31] op_sel_hi:[0,1]
	v_or_b32_e32 v15, v21, v19
	v_cvt_f32_f16_e32 v19, v18
	v_cvt_f32_f16_e32 v18, v20
	;; [unrolled: 1-line block ×3, first 2 shown]
	v_cvt_pk_f16_f32 v1, v22, v23
	v_pk_mul_f32 v[16:17], v[14:15], v[16:17] op_sel_hi:[0,1]
	v_cmp_eq_u32_e32 vcc_lo, s10, v29
	v_or_b32_e32 v35, 1, v27
	v_or_b32_e32 v34, 3, v27
	;; [unrolled: 1-line block ×3, first 2 shown]
	v_cvt_pk_f16_f32 v6, v16, v17
	v_or_b32_e32 v32, 6, v27
	v_or_b32_e32 v31, 5, v27
	v_dual_add_nc_u32 v36, 2, v27 :: v_dual_bitop2_b32 v30, 7, v27 bitop3:0x54
	s_delay_alu instid0(VALU_DEP_4) | instskip(SKIP_3) | instid1(VALU_DEP_3)
	v_lshrrev_b32_e32 v23, 16, v6
	v_cvt_f32_f16_e32 v21, v15
	v_pk_mul_f32 v[18:19], v[14:15], v[18:19] op_sel_hi:[0,1]
	v_and_b32_e32 v22, 0xffff, v6
	v_pk_mul_f32 v[14:15], v[14:15], v[20:21] op_sel_hi:[0,1]
	s_delay_alu instid0(VALU_DEP_3) | instskip(SKIP_2) | instid1(VALU_DEP_4)
	v_cvt_pk_f16_f32 v16, v18, v19
	v_and_b32_e32 v21, 0xffff0000, v1
	v_lshlrev_b32_e32 v20, 16, v1
	v_cvt_pk_f16_f32 v14, v14, v15
	s_delay_alu instid0(VALU_DEP_4) | instskip(NEXT) | instid1(VALU_DEP_4)
	v_and_b32_e32 v1, 0xffff0000, v16
	v_dual_lshlrev_b32 v6, 16, v16 :: v_dual_bitop2_b32 v17, v21, v23 bitop3:0x54
	s_delay_alu instid0(VALU_DEP_4) | instskip(NEXT) | instid1(VALU_DEP_4)
	v_or_b32_e32 v16, v20, v22
	v_lshrrev_b32_e32 v19, 16, v14
	v_and_b32_e32 v18, 0xffff, v14
	s_delay_alu instid0(VALU_DEP_2) | instskip(NEXT) | instid1(VALU_DEP_2)
	v_or_b32_e32 v15, v1, v19
	v_or_b32_e32 v14, v6, v18
	s_and_saveexec_b32 s15, vcc_lo
	s_cbranch_execz .LBB289_358
; %bb.357:                              ;   in Loop: Header=BB289_292 Depth=1
	v_cmp_gt_i32_e64 s0, s14, v27
	s_delay_alu instid0(VALU_DEP_1) | instskip(SKIP_1) | instid1(VALU_DEP_1)
	v_cndmask_b32_e64 v14, 0, v23, s0
	v_cmp_gt_i32_e64 s0, s25, v36
	v_cndmask_b32_e64 v15, 0, v22, s0
	v_cmp_gt_i32_e64 s0, s14, v35
	s_delay_alu instid0(VALU_DEP_1) | instskip(SKIP_1) | instid1(VALU_DEP_1)
	v_cndmask_b32_e64 v16, 0, v21, s0
	v_cmp_gt_i32_e64 s0, s25, v34
	v_cndmask_b32_e64 v20, 0, v20, s0
	v_cmp_gt_i32_e64 s0, s14, v33
	s_delay_alu instid0(VALU_DEP_4) | instskip(NEXT) | instid1(VALU_DEP_3)
	v_or_b32_e32 v17, v16, v14
	v_or_b32_e32 v16, v20, v15
	s_delay_alu instid0(VALU_DEP_3) | instskip(SKIP_1) | instid1(VALU_DEP_1)
	v_cndmask_b32_e64 v19, 0, v19, s0
	v_cmp_gt_i32_e64 s0, s25, v32
	v_cndmask_b32_e64 v18, 0, v18, s0
	v_cmp_gt_i32_e64 s0, s14, v31
	s_delay_alu instid0(VALU_DEP_1) | instskip(SKIP_1) | instid1(VALU_DEP_1)
	v_cndmask_b32_e64 v1, 0, v1, s0
	v_cmp_gt_i32_e64 s0, s25, v30
	v_dual_cndmask_b32 v6, 0, v6, s0 :: v_dual_bitop2_b32 v15, v1, v19 bitop3:0x54
	s_delay_alu instid0(VALU_DEP_1)
	v_or_b32_e32 v14, v6, v18
.LBB289_358:                            ;   in Loop: Header=BB289_292 Depth=1
	s_or_b32 exec_lo, exec_lo, s15
	v_and_b32_e32 v1, 0xffff, v40
	v_and_b32_e32 v6, 0xffff, v41
	;; [unrolled: 1-line block ×4, first 2 shown]
	s_mov_b32 s15, exec_lo
	v_lshl_or_b32 v42, v37, 16, v1
	;;#ASMSTART
	v_pk_mul_f16 v1, v42, v17;

	;;#ASMEND
	v_lshl_or_b32 v41, v38, 16, v6
	v_lshl_or_b32 v40, v39, 16, v18
	;; [unrolled: 1-line block ×3, first 2 shown]
	;;#ASMSTART
	v_pk_mul_f16 v6, v41, v16;

	;;#ASMEND
	;;#ASMSTART
	v_pk_mul_f16 v15, v40, v15;

	;;#ASMEND
	;;#ASMSTART
	v_pk_mul_f16 v14, v39, v14;

	;;#ASMEND
	;;#ASMSTART
	v_pk_add_f16 v1, v1, v6;

	;;#ASMEND
	;;#ASMSTART
	v_pk_add_f16 v1, v1, v15;

	;;#ASMEND
	;; [unrolled: 4-line block ×3, first 2 shown]
	v_and_b32_e32 v6, 0xffff, v1
	v_dual_lshrrev_b32 v1, 16, v1 :: v_dual_mov_b32 v15, 0
	;;#ASMSTART
	v_cvt_f32_f16 v43, v6;
	;;#ASMEND
	;;#ASMSTART
	v_cvt_f32_f16 v44, v1;
	;;#ASMEND
	global_load_b64 v[16:17], v[12:13], off offset:256
	v_mov_b32_e32 v1, 0
	global_load_b32 v14, v1, s[6:7]
	s_wait_loadcnt 0x1
	v_and_b32_e32 v6, 0xff, v16
	s_wait_xcnt 0x0
	s_delay_alu instid0(VALU_DEP_1)
	v_cmpx_ne_u16_e32 0, v6
	s_cbranch_execz .LBB289_366
; %bb.359:                              ;   in Loop: Header=BB289_292 Depth=1
	v_mov_b32_e32 v15, 0x8000
	s_mov_b32 s16, exec_lo
	v_cmpx_ne_u16_e32 0x80, v6
	s_cbranch_execz .LBB289_365
; %bb.360:                              ;   in Loop: Header=BB289_292 Depth=1
	v_and_b32_e32 v18, 0x7f, v16
	v_mov_b32_e32 v15, 0x7c01
	s_mov_b32 s17, exec_lo
	s_delay_alu instid0(VALU_DEP_2)
	v_cmpx_ne_u32_e32 0x7f, v18
	s_cbranch_execz .LBB289_364
; %bb.361:                              ;   in Loop: Header=BB289_292 Depth=1
	v_dual_lshrrev_b32 v15, 3, v18 :: v_dual_bitop2_b32 v6, 7, v16 bitop3:0x40
	s_mov_b32 s18, exec_lo
	v_cmpx_gt_u32_e32 8, v18
; %bb.362:                              ;   in Loop: Header=BB289_292 Depth=1
	s_delay_alu instid0(VALU_DEP_2) | instskip(NEXT) | instid1(VALU_DEP_1)
	v_clz_i32_u32_e32 v6, v6
	v_min_u32_e32 v6, 32, v6
	s_delay_alu instid0(VALU_DEP_1) | instskip(NEXT) | instid1(VALU_DEP_1)
	v_subrev_nc_u32_e32 v15, 28, v6
	v_lshlrev_b64_e32 v[18:19], v15, v[16:17]
	v_sub_nc_u32_e32 v15, 29, v6
	s_delay_alu instid0(VALU_DEP_2)
	v_and_b32_e32 v6, 7, v18
; %bb.363:                              ;   in Loop: Header=BB289_292 Depth=1
	s_or_b32 exec_lo, exec_lo, s18
	s_delay_alu instid0(VALU_DEP_1) | instskip(NEXT) | instid1(VALU_DEP_3)
	v_dual_lshlrev_b32 v18, 8, v16 :: v_dual_lshlrev_b32 v6, 7, v6
	v_lshl_add_u32 v15, v15, 10, 0x2000
	s_delay_alu instid0(VALU_DEP_2) | instskip(NEXT) | instid1(VALU_DEP_2)
	v_and_b32_e32 v18, 0x8000, v18
	v_and_b32_e32 v15, 0xfc00, v15
	s_delay_alu instid0(VALU_DEP_1)
	v_or3_b32 v15, v18, v15, v6
.LBB289_364:                            ;   in Loop: Header=BB289_292 Depth=1
	s_or_b32 exec_lo, exec_lo, s17
.LBB289_365:                            ;   in Loop: Header=BB289_292 Depth=1
	s_delay_alu instid0(SALU_CYCLE_1)
	s_or_b32 exec_lo, exec_lo, s16
.LBB289_366:                            ;   in Loop: Header=BB289_292 Depth=1
	s_delay_alu instid0(SALU_CYCLE_1) | instskip(SKIP_2) | instid1(VALU_DEP_1)
	s_or_b32 exec_lo, exec_lo, s15
	v_lshrrev_b16 v6, 8, v16
	s_mov_b32 s15, exec_lo
	v_cmpx_ne_u16_e32 0, v6
	s_cbranch_execz .LBB289_374
; %bb.367:                              ;   in Loop: Header=BB289_292 Depth=1
	v_bfrev_b32_e32 v1, 1
	s_mov_b32 s16, exec_lo
	v_cmpx_ne_u16_e32 0x80, v6
	s_cbranch_execz .LBB289_373
; %bb.368:                              ;   in Loop: Header=BB289_292 Depth=1
	v_and_b32_e32 v18, 0xffff, v6
	v_mov_b32_e32 v1, 0x7c010000
	s_mov_b32 s17, exec_lo
	s_delay_alu instid0(VALU_DEP_2) | instskip(NEXT) | instid1(VALU_DEP_1)
	v_and_b32_e32 v20, 0x7f, v18
	v_cmpx_ne_u32_e32 0x7f, v20
	s_cbranch_execz .LBB289_372
; %bb.369:                              ;   in Loop: Header=BB289_292 Depth=1
	v_dual_lshrrev_b32 v19, 3, v20 :: v_dual_bitop2_b32 v1, 7, v18 bitop3:0x40
	s_mov_b32 s18, exec_lo
	v_cmpx_gt_u32_e32 8, v20
; %bb.370:                              ;   in Loop: Header=BB289_292 Depth=1
	s_delay_alu instid0(VALU_DEP_2) | instskip(NEXT) | instid1(VALU_DEP_1)
	v_clz_i32_u32_e32 v1, v1
	v_min_u32_e32 v1, 32, v1
	s_delay_alu instid0(VALU_DEP_1) | instskip(NEXT) | instid1(VALU_DEP_1)
	v_subrev_nc_u32_e32 v19, 28, v1
	v_lshlrev_b64_e32 v[20:21], v19, v[6:7]
	s_delay_alu instid0(VALU_DEP_1)
	v_dual_sub_nc_u32 v19, 29, v1 :: v_dual_bitop2_b32 v1, 7, v20 bitop3:0x40
; %bb.371:                              ;   in Loop: Header=BB289_292 Depth=1
	s_or_b32 exec_lo, exec_lo, s18
	s_delay_alu instid0(VALU_DEP_1) | instskip(NEXT) | instid1(VALU_DEP_2)
	v_dual_lshlrev_b32 v6, 8, v18 :: v_dual_lshlrev_b32 v1, 23, v1
	v_lshl_add_u32 v18, v19, 10, 0x2000
	s_delay_alu instid0(VALU_DEP_1) | instskip(NEXT) | instid1(VALU_DEP_1)
	v_and_or_b32 v6, 0x8000, v6, v18
	v_lshl_or_b32 v1, v6, 16, v1
.LBB289_372:                            ;   in Loop: Header=BB289_292 Depth=1
	s_or_b32 exec_lo, exec_lo, s17
.LBB289_373:                            ;   in Loop: Header=BB289_292 Depth=1
	s_delay_alu instid0(SALU_CYCLE_1)
	s_or_b32 exec_lo, exec_lo, s16
.LBB289_374:                            ;   in Loop: Header=BB289_292 Depth=1
	s_delay_alu instid0(SALU_CYCLE_1) | instskip(SKIP_3) | instid1(VALU_DEP_2)
	s_or_b32 exec_lo, exec_lo, s15
	v_dual_lshrrev_b32 v6, 16, v16 :: v_dual_mov_b32 v18, 0
	v_mov_b32_e32 v19, 0
	s_mov_b32 s15, exec_lo
	v_and_b32_e32 v20, 0xff, v6
	s_delay_alu instid0(VALU_DEP_1)
	v_cmpx_ne_u16_e32 0, v20
	s_cbranch_execz .LBB289_382
; %bb.375:                              ;   in Loop: Header=BB289_292 Depth=1
	v_mov_b32_e32 v19, 0x8000
	s_mov_b32 s16, exec_lo
	v_cmpx_ne_u16_e32 0x80, v20
	s_cbranch_execz .LBB289_381
; %bb.376:                              ;   in Loop: Header=BB289_292 Depth=1
	v_bfe_u32 v21, v16, 16, 7
	v_mov_b32_e32 v19, 0x7c01
	s_mov_b32 s17, exec_lo
	s_delay_alu instid0(VALU_DEP_2)
	v_cmpx_ne_u32_e32 0x7f, v21
	s_cbranch_execz .LBB289_380
; %bb.377:                              ;   in Loop: Header=BB289_292 Depth=1
	v_dual_lshrrev_b32 v20, 3, v21 :: v_dual_bitop2_b32 v19, 7, v6 bitop3:0x40
	s_mov_b32 s18, exec_lo
	v_cmpx_gt_u32_e32 8, v21
; %bb.378:                              ;   in Loop: Header=BB289_292 Depth=1
	s_delay_alu instid0(VALU_DEP_2) | instskip(NEXT) | instid1(VALU_DEP_1)
	v_clz_i32_u32_e32 v19, v19
	v_min_u32_e32 v19, 32, v19
	s_delay_alu instid0(VALU_DEP_1) | instskip(NEXT) | instid1(VALU_DEP_1)
	v_subrev_nc_u32_e32 v20, 28, v19
	v_lshlrev_b64_e32 v[22:23], v20, v[6:7]
	s_delay_alu instid0(VALU_DEP_1)
	v_dual_sub_nc_u32 v20, 29, v19 :: v_dual_bitop2_b32 v19, 7, v22 bitop3:0x40
; %bb.379:                              ;   in Loop: Header=BB289_292 Depth=1
	s_or_b32 exec_lo, exec_lo, s18
	s_delay_alu instid0(VALU_DEP_1) | instskip(NEXT) | instid1(VALU_DEP_2)
	v_dual_lshlrev_b32 v6, 8, v6 :: v_dual_lshlrev_b32 v19, 7, v19
	v_lshl_add_u32 v20, v20, 10, 0x2000
	s_delay_alu instid0(VALU_DEP_2) | instskip(NEXT) | instid1(VALU_DEP_2)
	v_and_b32_e32 v6, 0x8000, v6
	v_and_b32_e32 v20, 0xfc00, v20
	s_delay_alu instid0(VALU_DEP_1)
	v_or3_b32 v19, v6, v20, v19
.LBB289_380:                            ;   in Loop: Header=BB289_292 Depth=1
	s_or_b32 exec_lo, exec_lo, s17
.LBB289_381:                            ;   in Loop: Header=BB289_292 Depth=1
	s_delay_alu instid0(SALU_CYCLE_1)
	s_or_b32 exec_lo, exec_lo, s16
.LBB289_382:                            ;   in Loop: Header=BB289_292 Depth=1
	s_delay_alu instid0(SALU_CYCLE_1) | instskip(NEXT) | instid1(SALU_CYCLE_1)
	s_or_b32 exec_lo, exec_lo, s15
	s_mov_b32 s15, exec_lo
	v_cmpx_lt_u32_e32 0xffffff, v16
	s_cbranch_execz .LBB289_390
; %bb.383:                              ;   in Loop: Header=BB289_292 Depth=1
	v_lshrrev_b32_e32 v6, 24, v16
	v_bfrev_b32_e32 v18, 1
	s_mov_b32 s16, exec_lo
	s_delay_alu instid0(VALU_DEP_2)
	v_cmpx_ne_u32_e32 0x80, v6
	s_cbranch_execz .LBB289_389
; %bb.384:                              ;   in Loop: Header=BB289_292 Depth=1
	v_and_b32_e32 v21, 0x7f, v6
	v_mov_b32_e32 v18, 0x7c010000
	s_mov_b32 s17, exec_lo
	s_delay_alu instid0(VALU_DEP_2)
	v_cmpx_ne_u32_e32 0x7f, v21
	s_cbranch_execz .LBB289_388
; %bb.385:                              ;   in Loop: Header=BB289_292 Depth=1
	v_dual_lshrrev_b32 v20, 3, v21 :: v_dual_bitop2_b32 v18, 7, v6 bitop3:0x40
	s_mov_b32 s18, exec_lo
	v_cmpx_gt_u32_e32 8, v21
; %bb.386:                              ;   in Loop: Header=BB289_292 Depth=1
	s_delay_alu instid0(VALU_DEP_2) | instskip(NEXT) | instid1(VALU_DEP_1)
	v_clz_i32_u32_e32 v18, v18
	v_min_u32_e32 v18, 32, v18
	s_delay_alu instid0(VALU_DEP_1) | instskip(NEXT) | instid1(VALU_DEP_1)
	v_subrev_nc_u32_e32 v20, 28, v18
	v_lshlrev_b64_e32 v[22:23], v20, v[6:7]
	v_sub_nc_u32_e32 v20, 29, v18
	s_delay_alu instid0(VALU_DEP_2)
	v_and_b32_e32 v18, 7, v22
; %bb.387:                              ;   in Loop: Header=BB289_292 Depth=1
	s_or_b32 exec_lo, exec_lo, s18
	v_lshlrev_b32_e32 v6, 8, v6
	s_delay_alu instid0(VALU_DEP_3) | instskip(NEXT) | instid1(VALU_DEP_3)
	v_lshl_add_u32 v20, v20, 10, 0x2000
	v_lshlrev_b32_e32 v18, 23, v18
	s_delay_alu instid0(VALU_DEP_2) | instskip(NEXT) | instid1(VALU_DEP_1)
	v_and_or_b32 v6, 0x8000, v6, v20
	v_lshl_or_b32 v18, v6, 16, v18
.LBB289_388:                            ;   in Loop: Header=BB289_292 Depth=1
	s_or_b32 exec_lo, exec_lo, s17
.LBB289_389:                            ;   in Loop: Header=BB289_292 Depth=1
	s_delay_alu instid0(SALU_CYCLE_1)
	s_or_b32 exec_lo, exec_lo, s16
.LBB289_390:                            ;   in Loop: Header=BB289_292 Depth=1
	s_delay_alu instid0(SALU_CYCLE_1) | instskip(SKIP_4) | instid1(VALU_DEP_3)
	s_or_b32 exec_lo, exec_lo, s15
	v_and_b32_e32 v22, 0xff, v17
	v_dual_mov_b32 v6, v17 :: v_dual_mov_b32 v21, 0
	v_mov_b32_e32 v20, 0
	s_mov_b32 s15, exec_lo
	v_cmpx_ne_u16_e32 0, v22
	s_cbranch_execz .LBB289_398
; %bb.391:                              ;   in Loop: Header=BB289_292 Depth=1
	v_mov_b32_e32 v20, 0x8000
	s_mov_b32 s16, exec_lo
	v_cmpx_ne_u16_e32 0x80, v22
	s_cbranch_execz .LBB289_397
; %bb.392:                              ;   in Loop: Header=BB289_292 Depth=1
	v_and_b32_e32 v23, 0x7f, v17
	v_mov_b32_e32 v20, 0x7c01
	s_mov_b32 s17, exec_lo
	s_delay_alu instid0(VALU_DEP_2)
	v_cmpx_ne_u32_e32 0x7f, v23
	s_cbranch_execz .LBB289_396
; %bb.393:                              ;   in Loop: Header=BB289_292 Depth=1
	v_dual_lshrrev_b32 v22, 3, v23 :: v_dual_bitop2_b32 v20, 7, v17 bitop3:0x40
	s_mov_b32 s18, exec_lo
	v_cmpx_gt_u32_e32 8, v23
; %bb.394:                              ;   in Loop: Header=BB289_292 Depth=1
	s_delay_alu instid0(VALU_DEP_2) | instskip(NEXT) | instid1(VALU_DEP_1)
	v_clz_i32_u32_e32 v20, v20
	v_min_u32_e32 v20, 32, v20
	s_delay_alu instid0(VALU_DEP_1) | instskip(NEXT) | instid1(VALU_DEP_1)
	v_subrev_nc_u32_e32 v22, 28, v20
	v_lshlrev_b64_e32 v[46:47], v22, v[6:7]
	s_delay_alu instid0(VALU_DEP_1)
	v_dual_sub_nc_u32 v22, 29, v20 :: v_dual_bitop2_b32 v20, 7, v46 bitop3:0x40
; %bb.395:                              ;   in Loop: Header=BB289_292 Depth=1
	s_or_b32 exec_lo, exec_lo, s18
	s_delay_alu instid0(VALU_DEP_1) | instskip(NEXT) | instid1(VALU_DEP_2)
	v_dual_lshlrev_b32 v23, 8, v17 :: v_dual_lshlrev_b32 v20, 7, v20
	v_lshl_add_u32 v22, v22, 10, 0x2000
	s_delay_alu instid0(VALU_DEP_2) | instskip(NEXT) | instid1(VALU_DEP_2)
	v_and_b32_e32 v23, 0x8000, v23
	v_and_b32_e32 v22, 0xfc00, v22
	s_delay_alu instid0(VALU_DEP_1)
	v_or3_b32 v20, v23, v22, v20
.LBB289_396:                            ;   in Loop: Header=BB289_292 Depth=1
	s_or_b32 exec_lo, exec_lo, s17
.LBB289_397:                            ;   in Loop: Header=BB289_292 Depth=1
	s_delay_alu instid0(SALU_CYCLE_1)
	s_or_b32 exec_lo, exec_lo, s16
.LBB289_398:                            ;   in Loop: Header=BB289_292 Depth=1
	s_delay_alu instid0(SALU_CYCLE_1) | instskip(SKIP_3) | instid1(VALU_DEP_2)
	s_or_b32 exec_lo, exec_lo, s15
	v_lshrrev_b16 v6, 8, v6
	v_mov_b32_e32 v22, 0
	s_mov_b32 s15, exec_lo
	v_cmpx_ne_u16_e32 0, v6
	s_cbranch_execz .LBB289_406
; %bb.399:                              ;   in Loop: Header=BB289_292 Depth=1
	v_bfrev_b32_e32 v22, 1
	s_mov_b32 s16, exec_lo
	v_cmpx_ne_u16_e32 0x80, v6
	s_cbranch_execz .LBB289_405
; %bb.400:                              ;   in Loop: Header=BB289_292 Depth=1
	v_and_b32_e32 v23, 0xffff, v6
	v_mov_b32_e32 v22, 0x7c010000
	s_mov_b32 s17, exec_lo
	s_delay_alu instid0(VALU_DEP_2) | instskip(NEXT) | instid1(VALU_DEP_1)
	v_and_b32_e32 v38, 0x7f, v23
	v_cmpx_ne_u32_e32 0x7f, v38
	s_cbranch_execz .LBB289_404
; %bb.401:                              ;   in Loop: Header=BB289_292 Depth=1
	v_dual_lshrrev_b32 v37, 3, v38 :: v_dual_bitop2_b32 v22, 7, v23 bitop3:0x40
	s_mov_b32 s18, exec_lo
	v_cmpx_gt_u32_e32 8, v38
; %bb.402:                              ;   in Loop: Header=BB289_292 Depth=1
	s_delay_alu instid0(VALU_DEP_2) | instskip(NEXT) | instid1(VALU_DEP_1)
	v_clz_i32_u32_e32 v22, v22
	v_min_u32_e32 v22, 32, v22
	s_delay_alu instid0(VALU_DEP_1) | instskip(NEXT) | instid1(VALU_DEP_1)
	v_subrev_nc_u32_e32 v37, 28, v22
	v_lshlrev_b64_e32 v[46:47], v37, v[6:7]
	v_sub_nc_u32_e32 v37, 29, v22
	s_delay_alu instid0(VALU_DEP_2)
	v_and_b32_e32 v22, 7, v46
; %bb.403:                              ;   in Loop: Header=BB289_292 Depth=1
	s_or_b32 exec_lo, exec_lo, s18
	s_delay_alu instid0(VALU_DEP_1) | instskip(NEXT) | instid1(VALU_DEP_3)
	v_dual_lshlrev_b32 v6, 8, v23 :: v_dual_lshlrev_b32 v22, 23, v22
	v_lshl_add_u32 v23, v37, 10, 0x2000
	s_delay_alu instid0(VALU_DEP_1) | instskip(NEXT) | instid1(VALU_DEP_1)
	v_and_or_b32 v6, 0x8000, v6, v23
	v_lshl_or_b32 v22, v6, 16, v22
.LBB289_404:                            ;   in Loop: Header=BB289_292 Depth=1
	s_or_b32 exec_lo, exec_lo, s17
.LBB289_405:                            ;   in Loop: Header=BB289_292 Depth=1
	s_delay_alu instid0(SALU_CYCLE_1)
	s_or_b32 exec_lo, exec_lo, s16
.LBB289_406:                            ;   in Loop: Header=BB289_292 Depth=1
	s_delay_alu instid0(SALU_CYCLE_1) | instskip(SKIP_2) | instid1(VALU_DEP_1)
	s_or_b32 exec_lo, exec_lo, s15
	v_lshrrev_b32_e32 v6, 16, v17
	s_mov_b32 s15, exec_lo
	v_and_b32_e32 v23, 0xff, v6
	s_delay_alu instid0(VALU_DEP_1)
	v_cmpx_ne_u16_e32 0, v23
	s_cbranch_execz .LBB289_414
; %bb.407:                              ;   in Loop: Header=BB289_292 Depth=1
	v_mov_b32_e32 v21, 0x8000
	s_mov_b32 s16, exec_lo
	v_cmpx_ne_u16_e32 0x80, v23
	s_cbranch_execz .LBB289_413
; %bb.408:                              ;   in Loop: Header=BB289_292 Depth=1
	v_bfe_u32 v37, v17, 16, 7
	v_mov_b32_e32 v21, 0x7c01
	s_mov_b32 s17, exec_lo
	s_delay_alu instid0(VALU_DEP_2)
	v_cmpx_ne_u32_e32 0x7f, v37
	s_cbranch_execz .LBB289_412
; %bb.409:                              ;   in Loop: Header=BB289_292 Depth=1
	v_dual_lshrrev_b32 v23, 3, v37 :: v_dual_bitop2_b32 v21, 7, v6 bitop3:0x40
	s_mov_b32 s18, exec_lo
	v_cmpx_gt_u32_e32 8, v37
; %bb.410:                              ;   in Loop: Header=BB289_292 Depth=1
	s_delay_alu instid0(VALU_DEP_2) | instskip(NEXT) | instid1(VALU_DEP_1)
	v_clz_i32_u32_e32 v21, v21
	v_min_u32_e32 v21, 32, v21
	s_delay_alu instid0(VALU_DEP_1) | instskip(NEXT) | instid1(VALU_DEP_1)
	v_subrev_nc_u32_e32 v23, 28, v21
	v_lshlrev_b64_e32 v[46:47], v23, v[6:7]
	s_delay_alu instid0(VALU_DEP_1)
	v_dual_sub_nc_u32 v23, 29, v21 :: v_dual_bitop2_b32 v21, 7, v46 bitop3:0x40
; %bb.411:                              ;   in Loop: Header=BB289_292 Depth=1
	s_or_b32 exec_lo, exec_lo, s18
	s_delay_alu instid0(VALU_DEP_1) | instskip(NEXT) | instid1(VALU_DEP_2)
	v_dual_lshlrev_b32 v6, 8, v6 :: v_dual_lshlrev_b32 v21, 7, v21
	v_lshl_add_u32 v23, v23, 10, 0x2000
	s_delay_alu instid0(VALU_DEP_2) | instskip(NEXT) | instid1(VALU_DEP_2)
	v_and_b32_e32 v6, 0x8000, v6
	v_and_b32_e32 v23, 0xfc00, v23
	s_delay_alu instid0(VALU_DEP_1)
	v_or3_b32 v21, v6, v23, v21
.LBB289_412:                            ;   in Loop: Header=BB289_292 Depth=1
	s_or_b32 exec_lo, exec_lo, s17
.LBB289_413:                            ;   in Loop: Header=BB289_292 Depth=1
	s_delay_alu instid0(SALU_CYCLE_1)
	s_or_b32 exec_lo, exec_lo, s16
.LBB289_414:                            ;   in Loop: Header=BB289_292 Depth=1
	s_delay_alu instid0(SALU_CYCLE_1)
	s_or_b32 exec_lo, exec_lo, s15
	v_cmp_lt_u64_e64 s0, s[2:3], v[16:17]
	v_mov_b32_e32 v16, 0
	s_and_saveexec_b32 s15, s0
	s_cbranch_execz .LBB289_422
; %bb.415:                              ;   in Loop: Header=BB289_292 Depth=1
	v_lshrrev_b32_e32 v6, 24, v17
	v_bfrev_b32_e32 v16, 1
	s_mov_b32 s16, exec_lo
	s_delay_alu instid0(VALU_DEP_2)
	v_cmpx_ne_u32_e32 0x80, v6
	s_cbranch_execz .LBB289_421
; %bb.416:                              ;   in Loop: Header=BB289_292 Depth=1
	v_and_b32_e32 v23, 0x7f, v6
	v_mov_b32_e32 v16, 0x7c010000
	s_mov_b32 s17, exec_lo
	s_delay_alu instid0(VALU_DEP_2)
	v_cmpx_ne_u32_e32 0x7f, v23
	s_cbranch_execz .LBB289_420
; %bb.417:                              ;   in Loop: Header=BB289_292 Depth=1
	v_dual_lshrrev_b32 v17, 3, v23 :: v_dual_bitop2_b32 v16, 7, v6 bitop3:0x40
	s_mov_b32 s18, exec_lo
	v_cmpx_gt_u32_e32 8, v23
; %bb.418:                              ;   in Loop: Header=BB289_292 Depth=1
	s_delay_alu instid0(VALU_DEP_2) | instskip(NEXT) | instid1(VALU_DEP_1)
	v_clz_i32_u32_e32 v16, v16
	v_min_u32_e32 v23, 32, v16
	s_delay_alu instid0(VALU_DEP_1) | instskip(NEXT) | instid1(VALU_DEP_1)
	v_subrev_nc_u32_e32 v16, 28, v23
	v_lshlrev_b64_e32 v[16:17], v16, v[6:7]
	s_delay_alu instid0(VALU_DEP_1)
	v_dual_sub_nc_u32 v17, 29, v23 :: v_dual_bitop2_b32 v16, 7, v16 bitop3:0x40
; %bb.419:                              ;   in Loop: Header=BB289_292 Depth=1
	s_or_b32 exec_lo, exec_lo, s18
	s_delay_alu instid0(VALU_DEP_1) | instskip(NEXT) | instid1(VALU_DEP_2)
	v_dual_lshlrev_b32 v6, 8, v6 :: v_dual_lshlrev_b32 v16, 23, v16
	v_lshl_add_u32 v17, v17, 10, 0x2000
	s_delay_alu instid0(VALU_DEP_1) | instskip(NEXT) | instid1(VALU_DEP_1)
	v_and_or_b32 v6, 0x8000, v6, v17
	v_lshl_or_b32 v16, v6, 16, v16
.LBB289_420:                            ;   in Loop: Header=BB289_292 Depth=1
	s_or_b32 exec_lo, exec_lo, s17
.LBB289_421:                            ;   in Loop: Header=BB289_292 Depth=1
	s_delay_alu instid0(SALU_CYCLE_1)
	s_or_b32 exec_lo, exec_lo, s16
.LBB289_422:                            ;   in Loop: Header=BB289_292 Depth=1
	s_delay_alu instid0(SALU_CYCLE_1) | instskip(SKIP_3) | instid1(VALU_DEP_3)
	s_or_b32 exec_lo, exec_lo, s15
	v_dual_lshrrev_b32 v6, 16, v1 :: v_dual_lshrrev_b32 v17, 16, v18
	v_or_b32_e32 v1, v1, v15
	v_dual_lshrrev_b32 v23, 16, v16 :: v_dual_bitop2_b32 v15, v18, v19 bitop3:0x54
	v_cvt_f32_f16_e32 v19, v6
	s_delay_alu instid0(VALU_DEP_4) | instskip(SKIP_1) | instid1(VALU_DEP_4)
	v_cvt_f32_f16_e32 v18, v17
	v_dual_lshrrev_b32 v21, 16, v22 :: v_dual_bitop2_b32 v6, v16, v21 bitop3:0x54
	v_cvt_f32_f16_e32 v16, v15
	v_cvt_f32_f16_e32 v17, v1
	s_wait_loadcnt 0x0
	v_pk_mul_f32 v[18:19], v[14:15], v[18:19] op_sel_hi:[0,1]
	v_cvt_f32_f16_e32 v21, v21
	s_delay_alu instid0(VALU_DEP_2) | instskip(SKIP_3) | instid1(VALU_DEP_3)
	v_cvt_pk_f16_f32 v1, v18, v19
	v_or_b32_e32 v15, v22, v20
	v_cvt_f32_f16_e32 v20, v23
	v_cvt_f32_f16_e32 v22, v6
	v_pk_mul_f32 v[16:17], v[14:15], v[16:17] op_sel_hi:[0,1]
	s_delay_alu instid0(VALU_DEP_1) | instskip(SKIP_4) | instid1(VALU_DEP_3)
	v_cvt_pk_f16_f32 v6, v16, v17
	v_lshlrev_b32_e32 v16, 16, v1
	v_cvt_f32_f16_e32 v23, v15
	v_pk_mul_f32 v[18:19], v[14:15], v[20:21] op_sel_hi:[0,1]
	v_and_b32_e32 v17, 0xffff0000, v1
	v_pk_mul_f32 v[14:15], v[14:15], v[22:23] op_sel_hi:[0,1]
	s_delay_alu instid0(VALU_DEP_3) | instskip(SKIP_1) | instid1(VALU_DEP_3)
	v_cvt_pk_f16_f32 v18, v18, v19
	v_and_b32_e32 v22, 0xffff, v6
	v_cvt_pk_f16_f32 v14, v14, v15
	s_delay_alu instid0(VALU_DEP_3) | instskip(NEXT) | instid1(VALU_DEP_3)
	v_and_b32_e32 v1, 0xffff0000, v18
	v_or_b32_e32 v20, v16, v22
	s_delay_alu instid0(VALU_DEP_3) | instskip(SKIP_2) | instid1(VALU_DEP_3)
	v_lshrrev_b32_e32 v15, 16, v14
	v_lshrrev_b32_e32 v23, 16, v6
	v_and_b32_e32 v14, 0xffff, v14
	v_dual_lshlrev_b32 v6, 16, v18 :: v_dual_bitop2_b32 v19, v1, v15 bitop3:0x54
	s_delay_alu instid0(VALU_DEP_3) | instskip(NEXT) | instid1(VALU_DEP_2)
	v_or_b32_e32 v21, v17, v23
	v_or_b32_e32 v18, v6, v14
	s_and_saveexec_b32 s15, vcc_lo
	s_cbranch_execz .LBB289_424
; %bb.423:                              ;   in Loop: Header=BB289_292 Depth=1
	v_cmp_gt_i32_e64 s0, s14, v27
	s_delay_alu instid0(VALU_DEP_1) | instskip(SKIP_1) | instid1(VALU_DEP_1)
	v_cndmask_b32_e64 v18, 0, v23, s0
	v_cmp_gt_i32_e64 s0, s25, v36
	v_cndmask_b32_e64 v19, 0, v22, s0
	v_cmp_gt_i32_e64 s0, s14, v35
	s_delay_alu instid0(VALU_DEP_1) | instskip(SKIP_1) | instid1(VALU_DEP_1)
	v_cndmask_b32_e64 v17, 0, v17, s0
	v_cmp_gt_i32_e64 s0, s25, v34
	v_cndmask_b32_e64 v16, 0, v16, s0
	v_cmp_gt_i32_e64 s0, s14, v33
	s_delay_alu instid0(VALU_DEP_4) | instskip(NEXT) | instid1(VALU_DEP_3)
	v_or_b32_e32 v21, v17, v18
	v_or_b32_e32 v20, v16, v19
	s_delay_alu instid0(VALU_DEP_3) | instskip(SKIP_1) | instid1(VALU_DEP_1)
	v_cndmask_b32_e64 v15, 0, v15, s0
	v_cmp_gt_i32_e64 s0, s25, v32
	v_cndmask_b32_e64 v14, 0, v14, s0
	v_cmp_gt_i32_e64 s0, s14, v31
	s_delay_alu instid0(VALU_DEP_1) | instskip(SKIP_1) | instid1(VALU_DEP_1)
	v_cndmask_b32_e64 v1, 0, v1, s0
	v_cmp_gt_i32_e64 s0, s25, v30
	v_dual_cndmask_b32 v6, 0, v6, s0 :: v_dual_bitop2_b32 v19, v1, v15 bitop3:0x54
	s_delay_alu instid0(VALU_DEP_1)
	v_or_b32_e32 v18, v6, v14
.LBB289_424:                            ;   in Loop: Header=BB289_292 Depth=1
	s_or_b32 exec_lo, exec_lo, s15
	;;#ASMSTART
	v_pk_mul_f16 v1, v42, v21;

	;;#ASMEND
	;;#ASMSTART
	v_pk_mul_f16 v6, v41, v20;

	;;#ASMEND
	;; [unrolled: 4-line block ×4, first 2 shown]
	;;#ASMSTART
	v_pk_add_f16 v1, v1, v6;

	;;#ASMEND
	;;#ASMSTART
	v_pk_add_f16 v1, v1, v14;

	;;#ASMEND
	;; [unrolled: 4-line block ×3, first 2 shown]
	v_and_b32_e32 v6, 0xffff, v1
	v_dual_lshrrev_b32 v1, 16, v1 :: v_dual_mov_b32 v15, 0
	;;#ASMSTART
	v_cvt_f32_f16 v45, v6;
	;;#ASMEND
	;;#ASMSTART
	v_cvt_f32_f16 v46, v1;
	;;#ASMEND
	global_load_b64 v[16:17], v[12:13], off offset:512
	v_mov_b32_e32 v1, 0
	s_mov_b32 s15, exec_lo
	global_load_b32 v14, v1, s[6:7]
	s_wait_loadcnt 0x1
	v_and_b32_e32 v6, 0xff, v16
	s_wait_xcnt 0x0
	s_delay_alu instid0(VALU_DEP_1)
	v_cmpx_ne_u16_e32 0, v6
	s_cbranch_execz .LBB289_432
; %bb.425:                              ;   in Loop: Header=BB289_292 Depth=1
	v_mov_b32_e32 v15, 0x8000
	s_mov_b32 s16, exec_lo
	v_cmpx_ne_u16_e32 0x80, v6
	s_cbranch_execz .LBB289_431
; %bb.426:                              ;   in Loop: Header=BB289_292 Depth=1
	v_and_b32_e32 v18, 0x7f, v16
	v_mov_b32_e32 v15, 0x7c01
	s_mov_b32 s17, exec_lo
	s_delay_alu instid0(VALU_DEP_2)
	v_cmpx_ne_u32_e32 0x7f, v18
	s_cbranch_execz .LBB289_430
; %bb.427:                              ;   in Loop: Header=BB289_292 Depth=1
	v_dual_lshrrev_b32 v15, 3, v18 :: v_dual_bitop2_b32 v6, 7, v16 bitop3:0x40
	s_mov_b32 s18, exec_lo
	v_cmpx_gt_u32_e32 8, v18
; %bb.428:                              ;   in Loop: Header=BB289_292 Depth=1
	s_delay_alu instid0(VALU_DEP_2) | instskip(NEXT) | instid1(VALU_DEP_1)
	v_clz_i32_u32_e32 v6, v6
	v_min_u32_e32 v6, 32, v6
	s_delay_alu instid0(VALU_DEP_1) | instskip(NEXT) | instid1(VALU_DEP_1)
	v_subrev_nc_u32_e32 v15, 28, v6
	v_lshlrev_b64_e32 v[18:19], v15, v[16:17]
	v_sub_nc_u32_e32 v15, 29, v6
	s_delay_alu instid0(VALU_DEP_2)
	v_and_b32_e32 v6, 7, v18
; %bb.429:                              ;   in Loop: Header=BB289_292 Depth=1
	s_or_b32 exec_lo, exec_lo, s18
	s_delay_alu instid0(VALU_DEP_1) | instskip(NEXT) | instid1(VALU_DEP_3)
	v_dual_lshlrev_b32 v18, 8, v16 :: v_dual_lshlrev_b32 v6, 7, v6
	v_lshl_add_u32 v15, v15, 10, 0x2000
	s_delay_alu instid0(VALU_DEP_2) | instskip(NEXT) | instid1(VALU_DEP_2)
	v_and_b32_e32 v18, 0x8000, v18
	v_and_b32_e32 v15, 0xfc00, v15
	s_delay_alu instid0(VALU_DEP_1)
	v_or3_b32 v15, v18, v15, v6
.LBB289_430:                            ;   in Loop: Header=BB289_292 Depth=1
	s_or_b32 exec_lo, exec_lo, s17
.LBB289_431:                            ;   in Loop: Header=BB289_292 Depth=1
	s_delay_alu instid0(SALU_CYCLE_1)
	s_or_b32 exec_lo, exec_lo, s16
.LBB289_432:                            ;   in Loop: Header=BB289_292 Depth=1
	s_delay_alu instid0(SALU_CYCLE_1) | instskip(SKIP_2) | instid1(VALU_DEP_1)
	s_or_b32 exec_lo, exec_lo, s15
	v_lshrrev_b16 v6, 8, v16
	s_mov_b32 s15, exec_lo
	v_cmpx_ne_u16_e32 0, v6
	s_cbranch_execz .LBB289_440
; %bb.433:                              ;   in Loop: Header=BB289_292 Depth=1
	v_bfrev_b32_e32 v1, 1
	s_mov_b32 s16, exec_lo
	v_cmpx_ne_u16_e32 0x80, v6
	s_cbranch_execz .LBB289_439
; %bb.434:                              ;   in Loop: Header=BB289_292 Depth=1
	v_and_b32_e32 v18, 0xffff, v6
	v_mov_b32_e32 v1, 0x7c010000
	s_mov_b32 s17, exec_lo
	s_delay_alu instid0(VALU_DEP_2) | instskip(NEXT) | instid1(VALU_DEP_1)
	v_and_b32_e32 v20, 0x7f, v18
	v_cmpx_ne_u32_e32 0x7f, v20
	s_cbranch_execz .LBB289_438
; %bb.435:                              ;   in Loop: Header=BB289_292 Depth=1
	v_dual_lshrrev_b32 v19, 3, v20 :: v_dual_bitop2_b32 v1, 7, v18 bitop3:0x40
	s_mov_b32 s18, exec_lo
	v_cmpx_gt_u32_e32 8, v20
; %bb.436:                              ;   in Loop: Header=BB289_292 Depth=1
	s_delay_alu instid0(VALU_DEP_2) | instskip(NEXT) | instid1(VALU_DEP_1)
	v_clz_i32_u32_e32 v1, v1
	v_min_u32_e32 v1, 32, v1
	s_delay_alu instid0(VALU_DEP_1) | instskip(NEXT) | instid1(VALU_DEP_1)
	v_subrev_nc_u32_e32 v19, 28, v1
	v_lshlrev_b64_e32 v[20:21], v19, v[6:7]
	s_delay_alu instid0(VALU_DEP_1)
	v_dual_sub_nc_u32 v19, 29, v1 :: v_dual_bitop2_b32 v1, 7, v20 bitop3:0x40
; %bb.437:                              ;   in Loop: Header=BB289_292 Depth=1
	s_or_b32 exec_lo, exec_lo, s18
	s_delay_alu instid0(VALU_DEP_1) | instskip(NEXT) | instid1(VALU_DEP_2)
	v_dual_lshlrev_b32 v6, 8, v18 :: v_dual_lshlrev_b32 v1, 23, v1
	v_lshl_add_u32 v18, v19, 10, 0x2000
	s_delay_alu instid0(VALU_DEP_1) | instskip(NEXT) | instid1(VALU_DEP_1)
	v_and_or_b32 v6, 0x8000, v6, v18
	v_lshl_or_b32 v1, v6, 16, v1
.LBB289_438:                            ;   in Loop: Header=BB289_292 Depth=1
	s_or_b32 exec_lo, exec_lo, s17
.LBB289_439:                            ;   in Loop: Header=BB289_292 Depth=1
	s_delay_alu instid0(SALU_CYCLE_1)
	s_or_b32 exec_lo, exec_lo, s16
.LBB289_440:                            ;   in Loop: Header=BB289_292 Depth=1
	s_delay_alu instid0(SALU_CYCLE_1) | instskip(SKIP_3) | instid1(VALU_DEP_2)
	s_or_b32 exec_lo, exec_lo, s15
	v_dual_lshrrev_b32 v6, 16, v16 :: v_dual_mov_b32 v18, 0
	v_mov_b32_e32 v19, 0
	s_mov_b32 s15, exec_lo
	v_and_b32_e32 v20, 0xff, v6
	s_delay_alu instid0(VALU_DEP_1)
	v_cmpx_ne_u16_e32 0, v20
	s_cbranch_execz .LBB289_448
; %bb.441:                              ;   in Loop: Header=BB289_292 Depth=1
	v_mov_b32_e32 v19, 0x8000
	s_mov_b32 s16, exec_lo
	v_cmpx_ne_u16_e32 0x80, v20
	s_cbranch_execz .LBB289_447
; %bb.442:                              ;   in Loop: Header=BB289_292 Depth=1
	v_bfe_u32 v21, v16, 16, 7
	v_mov_b32_e32 v19, 0x7c01
	s_mov_b32 s17, exec_lo
	s_delay_alu instid0(VALU_DEP_2)
	v_cmpx_ne_u32_e32 0x7f, v21
	s_cbranch_execz .LBB289_446
; %bb.443:                              ;   in Loop: Header=BB289_292 Depth=1
	v_dual_lshrrev_b32 v20, 3, v21 :: v_dual_bitop2_b32 v19, 7, v6 bitop3:0x40
	s_mov_b32 s18, exec_lo
	v_cmpx_gt_u32_e32 8, v21
; %bb.444:                              ;   in Loop: Header=BB289_292 Depth=1
	s_delay_alu instid0(VALU_DEP_2) | instskip(NEXT) | instid1(VALU_DEP_1)
	v_clz_i32_u32_e32 v19, v19
	v_min_u32_e32 v19, 32, v19
	s_delay_alu instid0(VALU_DEP_1) | instskip(NEXT) | instid1(VALU_DEP_1)
	v_subrev_nc_u32_e32 v20, 28, v19
	v_lshlrev_b64_e32 v[22:23], v20, v[6:7]
	s_delay_alu instid0(VALU_DEP_1)
	v_dual_sub_nc_u32 v20, 29, v19 :: v_dual_bitop2_b32 v19, 7, v22 bitop3:0x40
; %bb.445:                              ;   in Loop: Header=BB289_292 Depth=1
	s_or_b32 exec_lo, exec_lo, s18
	s_delay_alu instid0(VALU_DEP_1) | instskip(NEXT) | instid1(VALU_DEP_2)
	v_dual_lshlrev_b32 v6, 8, v6 :: v_dual_lshlrev_b32 v19, 7, v19
	v_lshl_add_u32 v20, v20, 10, 0x2000
	s_delay_alu instid0(VALU_DEP_2) | instskip(NEXT) | instid1(VALU_DEP_2)
	v_and_b32_e32 v6, 0x8000, v6
	v_and_b32_e32 v20, 0xfc00, v20
	s_delay_alu instid0(VALU_DEP_1)
	v_or3_b32 v19, v6, v20, v19
.LBB289_446:                            ;   in Loop: Header=BB289_292 Depth=1
	s_or_b32 exec_lo, exec_lo, s17
.LBB289_447:                            ;   in Loop: Header=BB289_292 Depth=1
	s_delay_alu instid0(SALU_CYCLE_1)
	s_or_b32 exec_lo, exec_lo, s16
.LBB289_448:                            ;   in Loop: Header=BB289_292 Depth=1
	s_delay_alu instid0(SALU_CYCLE_1) | instskip(NEXT) | instid1(SALU_CYCLE_1)
	s_or_b32 exec_lo, exec_lo, s15
	s_mov_b32 s15, exec_lo
	v_cmpx_lt_u32_e32 0xffffff, v16
	s_cbranch_execz .LBB289_456
; %bb.449:                              ;   in Loop: Header=BB289_292 Depth=1
	v_lshrrev_b32_e32 v6, 24, v16
	v_bfrev_b32_e32 v18, 1
	s_mov_b32 s16, exec_lo
	s_delay_alu instid0(VALU_DEP_2)
	v_cmpx_ne_u32_e32 0x80, v6
	s_cbranch_execz .LBB289_455
; %bb.450:                              ;   in Loop: Header=BB289_292 Depth=1
	v_and_b32_e32 v21, 0x7f, v6
	v_mov_b32_e32 v18, 0x7c010000
	s_mov_b32 s17, exec_lo
	s_delay_alu instid0(VALU_DEP_2)
	v_cmpx_ne_u32_e32 0x7f, v21
	s_cbranch_execz .LBB289_454
; %bb.451:                              ;   in Loop: Header=BB289_292 Depth=1
	v_dual_lshrrev_b32 v20, 3, v21 :: v_dual_bitop2_b32 v18, 7, v6 bitop3:0x40
	s_mov_b32 s18, exec_lo
	v_cmpx_gt_u32_e32 8, v21
; %bb.452:                              ;   in Loop: Header=BB289_292 Depth=1
	s_delay_alu instid0(VALU_DEP_2) | instskip(NEXT) | instid1(VALU_DEP_1)
	v_clz_i32_u32_e32 v18, v18
	v_min_u32_e32 v18, 32, v18
	s_delay_alu instid0(VALU_DEP_1) | instskip(NEXT) | instid1(VALU_DEP_1)
	v_subrev_nc_u32_e32 v20, 28, v18
	v_lshlrev_b64_e32 v[22:23], v20, v[6:7]
	v_sub_nc_u32_e32 v20, 29, v18
	s_delay_alu instid0(VALU_DEP_2)
	v_and_b32_e32 v18, 7, v22
; %bb.453:                              ;   in Loop: Header=BB289_292 Depth=1
	s_or_b32 exec_lo, exec_lo, s18
	v_lshlrev_b32_e32 v6, 8, v6
	s_delay_alu instid0(VALU_DEP_3) | instskip(NEXT) | instid1(VALU_DEP_3)
	v_lshl_add_u32 v20, v20, 10, 0x2000
	v_lshlrev_b32_e32 v18, 23, v18
	s_delay_alu instid0(VALU_DEP_2) | instskip(NEXT) | instid1(VALU_DEP_1)
	v_and_or_b32 v6, 0x8000, v6, v20
	v_lshl_or_b32 v18, v6, 16, v18
.LBB289_454:                            ;   in Loop: Header=BB289_292 Depth=1
	s_or_b32 exec_lo, exec_lo, s17
.LBB289_455:                            ;   in Loop: Header=BB289_292 Depth=1
	s_delay_alu instid0(SALU_CYCLE_1)
	s_or_b32 exec_lo, exec_lo, s16
.LBB289_456:                            ;   in Loop: Header=BB289_292 Depth=1
	s_delay_alu instid0(SALU_CYCLE_1) | instskip(SKIP_4) | instid1(VALU_DEP_3)
	s_or_b32 exec_lo, exec_lo, s15
	v_and_b32_e32 v22, 0xff, v17
	v_dual_mov_b32 v6, v17 :: v_dual_mov_b32 v21, 0
	v_mov_b32_e32 v20, 0
	s_mov_b32 s15, exec_lo
	v_cmpx_ne_u16_e32 0, v22
	s_cbranch_execz .LBB289_464
; %bb.457:                              ;   in Loop: Header=BB289_292 Depth=1
	v_mov_b32_e32 v20, 0x8000
	s_mov_b32 s16, exec_lo
	v_cmpx_ne_u16_e32 0x80, v22
	s_cbranch_execz .LBB289_463
; %bb.458:                              ;   in Loop: Header=BB289_292 Depth=1
	v_and_b32_e32 v23, 0x7f, v17
	v_mov_b32_e32 v20, 0x7c01
	s_mov_b32 s17, exec_lo
	s_delay_alu instid0(VALU_DEP_2)
	v_cmpx_ne_u32_e32 0x7f, v23
	s_cbranch_execz .LBB289_462
; %bb.459:                              ;   in Loop: Header=BB289_292 Depth=1
	v_dual_lshrrev_b32 v22, 3, v23 :: v_dual_bitop2_b32 v20, 7, v17 bitop3:0x40
	s_mov_b32 s18, exec_lo
	v_cmpx_gt_u32_e32 8, v23
; %bb.460:                              ;   in Loop: Header=BB289_292 Depth=1
	s_delay_alu instid0(VALU_DEP_2) | instskip(NEXT) | instid1(VALU_DEP_1)
	v_clz_i32_u32_e32 v20, v20
	v_min_u32_e32 v20, 32, v20
	s_delay_alu instid0(VALU_DEP_1) | instskip(NEXT) | instid1(VALU_DEP_1)
	v_subrev_nc_u32_e32 v22, 28, v20
	v_lshlrev_b64_e32 v[48:49], v22, v[6:7]
	v_sub_nc_u32_e32 v22, 29, v20
	s_delay_alu instid0(VALU_DEP_2)
	v_and_b32_e32 v20, 7, v48
; %bb.461:                              ;   in Loop: Header=BB289_292 Depth=1
	s_or_b32 exec_lo, exec_lo, s18
	s_delay_alu instid0(VALU_DEP_1) | instskip(NEXT) | instid1(VALU_DEP_3)
	v_dual_lshlrev_b32 v23, 8, v17 :: v_dual_lshlrev_b32 v20, 7, v20
	v_lshl_add_u32 v22, v22, 10, 0x2000
	s_delay_alu instid0(VALU_DEP_2) | instskip(NEXT) | instid1(VALU_DEP_2)
	v_and_b32_e32 v23, 0x8000, v23
	v_and_b32_e32 v22, 0xfc00, v22
	s_delay_alu instid0(VALU_DEP_1)
	v_or3_b32 v20, v23, v22, v20
.LBB289_462:                            ;   in Loop: Header=BB289_292 Depth=1
	s_or_b32 exec_lo, exec_lo, s17
.LBB289_463:                            ;   in Loop: Header=BB289_292 Depth=1
	s_delay_alu instid0(SALU_CYCLE_1)
	s_or_b32 exec_lo, exec_lo, s16
.LBB289_464:                            ;   in Loop: Header=BB289_292 Depth=1
	s_delay_alu instid0(SALU_CYCLE_1) | instskip(SKIP_3) | instid1(VALU_DEP_2)
	s_or_b32 exec_lo, exec_lo, s15
	v_lshrrev_b16 v6, 8, v6
	v_mov_b32_e32 v22, 0
	s_mov_b32 s15, exec_lo
	v_cmpx_ne_u16_e32 0, v6
	s_cbranch_execz .LBB289_472
; %bb.465:                              ;   in Loop: Header=BB289_292 Depth=1
	v_bfrev_b32_e32 v22, 1
	s_mov_b32 s16, exec_lo
	v_cmpx_ne_u16_e32 0x80, v6
	s_cbranch_execz .LBB289_471
; %bb.466:                              ;   in Loop: Header=BB289_292 Depth=1
	v_and_b32_e32 v23, 0xffff, v6
	v_mov_b32_e32 v22, 0x7c010000
	s_mov_b32 s17, exec_lo
	s_delay_alu instid0(VALU_DEP_2) | instskip(NEXT) | instid1(VALU_DEP_1)
	v_and_b32_e32 v38, 0x7f, v23
	v_cmpx_ne_u32_e32 0x7f, v38
	s_cbranch_execz .LBB289_470
; %bb.467:                              ;   in Loop: Header=BB289_292 Depth=1
	v_dual_lshrrev_b32 v37, 3, v38 :: v_dual_bitop2_b32 v22, 7, v23 bitop3:0x40
	s_mov_b32 s18, exec_lo
	v_cmpx_gt_u32_e32 8, v38
; %bb.468:                              ;   in Loop: Header=BB289_292 Depth=1
	s_delay_alu instid0(VALU_DEP_2) | instskip(NEXT) | instid1(VALU_DEP_1)
	v_clz_i32_u32_e32 v22, v22
	v_min_u32_e32 v22, 32, v22
	s_delay_alu instid0(VALU_DEP_1) | instskip(NEXT) | instid1(VALU_DEP_1)
	v_subrev_nc_u32_e32 v37, 28, v22
	v_lshlrev_b64_e32 v[48:49], v37, v[6:7]
	s_delay_alu instid0(VALU_DEP_1)
	v_dual_sub_nc_u32 v37, 29, v22 :: v_dual_bitop2_b32 v22, 7, v48 bitop3:0x40
; %bb.469:                              ;   in Loop: Header=BB289_292 Depth=1
	s_or_b32 exec_lo, exec_lo, s18
	s_delay_alu instid0(VALU_DEP_1) | instskip(NEXT) | instid1(VALU_DEP_2)
	v_dual_lshlrev_b32 v6, 8, v23 :: v_dual_lshlrev_b32 v22, 23, v22
	v_lshl_add_u32 v23, v37, 10, 0x2000
	s_delay_alu instid0(VALU_DEP_1) | instskip(NEXT) | instid1(VALU_DEP_1)
	v_and_or_b32 v6, 0x8000, v6, v23
	v_lshl_or_b32 v22, v6, 16, v22
.LBB289_470:                            ;   in Loop: Header=BB289_292 Depth=1
	s_or_b32 exec_lo, exec_lo, s17
.LBB289_471:                            ;   in Loop: Header=BB289_292 Depth=1
	s_delay_alu instid0(SALU_CYCLE_1)
	s_or_b32 exec_lo, exec_lo, s16
.LBB289_472:                            ;   in Loop: Header=BB289_292 Depth=1
	s_delay_alu instid0(SALU_CYCLE_1) | instskip(SKIP_2) | instid1(VALU_DEP_1)
	s_or_b32 exec_lo, exec_lo, s15
	v_lshrrev_b32_e32 v6, 16, v17
	s_mov_b32 s15, exec_lo
	v_and_b32_e32 v23, 0xff, v6
	s_delay_alu instid0(VALU_DEP_1)
	v_cmpx_ne_u16_e32 0, v23
	s_cbranch_execz .LBB289_480
; %bb.473:                              ;   in Loop: Header=BB289_292 Depth=1
	v_mov_b32_e32 v21, 0x8000
	s_mov_b32 s16, exec_lo
	v_cmpx_ne_u16_e32 0x80, v23
	s_cbranch_execz .LBB289_479
; %bb.474:                              ;   in Loop: Header=BB289_292 Depth=1
	v_bfe_u32 v37, v17, 16, 7
	v_mov_b32_e32 v21, 0x7c01
	s_mov_b32 s17, exec_lo
	s_delay_alu instid0(VALU_DEP_2)
	v_cmpx_ne_u32_e32 0x7f, v37
	s_cbranch_execz .LBB289_478
; %bb.475:                              ;   in Loop: Header=BB289_292 Depth=1
	v_dual_lshrrev_b32 v23, 3, v37 :: v_dual_bitop2_b32 v21, 7, v6 bitop3:0x40
	s_mov_b32 s18, exec_lo
	v_cmpx_gt_u32_e32 8, v37
; %bb.476:                              ;   in Loop: Header=BB289_292 Depth=1
	s_delay_alu instid0(VALU_DEP_2) | instskip(NEXT) | instid1(VALU_DEP_1)
	v_clz_i32_u32_e32 v21, v21
	v_min_u32_e32 v21, 32, v21
	s_delay_alu instid0(VALU_DEP_1) | instskip(NEXT) | instid1(VALU_DEP_1)
	v_subrev_nc_u32_e32 v23, 28, v21
	v_lshlrev_b64_e32 v[48:49], v23, v[6:7]
	s_delay_alu instid0(VALU_DEP_1)
	v_dual_sub_nc_u32 v23, 29, v21 :: v_dual_bitop2_b32 v21, 7, v48 bitop3:0x40
; %bb.477:                              ;   in Loop: Header=BB289_292 Depth=1
	s_or_b32 exec_lo, exec_lo, s18
	s_delay_alu instid0(VALU_DEP_1) | instskip(NEXT) | instid1(VALU_DEP_2)
	v_dual_lshlrev_b32 v6, 8, v6 :: v_dual_lshlrev_b32 v21, 7, v21
	v_lshl_add_u32 v23, v23, 10, 0x2000
	s_delay_alu instid0(VALU_DEP_2) | instskip(NEXT) | instid1(VALU_DEP_2)
	v_and_b32_e32 v6, 0x8000, v6
	v_and_b32_e32 v23, 0xfc00, v23
	s_delay_alu instid0(VALU_DEP_1)
	v_or3_b32 v21, v6, v23, v21
.LBB289_478:                            ;   in Loop: Header=BB289_292 Depth=1
	s_or_b32 exec_lo, exec_lo, s17
.LBB289_479:                            ;   in Loop: Header=BB289_292 Depth=1
	s_delay_alu instid0(SALU_CYCLE_1)
	s_or_b32 exec_lo, exec_lo, s16
.LBB289_480:                            ;   in Loop: Header=BB289_292 Depth=1
	s_delay_alu instid0(SALU_CYCLE_1)
	s_or_b32 exec_lo, exec_lo, s15
	v_cmp_lt_u64_e64 s0, s[2:3], v[16:17]
	v_mov_b32_e32 v16, 0
	s_and_saveexec_b32 s15, s0
	s_cbranch_execz .LBB289_488
; %bb.481:                              ;   in Loop: Header=BB289_292 Depth=1
	v_lshrrev_b32_e32 v6, 24, v17
	v_bfrev_b32_e32 v16, 1
	s_mov_b32 s16, exec_lo
	s_delay_alu instid0(VALU_DEP_2)
	v_cmpx_ne_u32_e32 0x80, v6
	s_cbranch_execz .LBB289_487
; %bb.482:                              ;   in Loop: Header=BB289_292 Depth=1
	v_and_b32_e32 v23, 0x7f, v6
	v_mov_b32_e32 v16, 0x7c010000
	s_mov_b32 s17, exec_lo
	s_delay_alu instid0(VALU_DEP_2)
	v_cmpx_ne_u32_e32 0x7f, v23
	s_cbranch_execz .LBB289_486
; %bb.483:                              ;   in Loop: Header=BB289_292 Depth=1
	v_dual_lshrrev_b32 v17, 3, v23 :: v_dual_bitop2_b32 v16, 7, v6 bitop3:0x40
	s_mov_b32 s18, exec_lo
	v_cmpx_gt_u32_e32 8, v23
; %bb.484:                              ;   in Loop: Header=BB289_292 Depth=1
	s_delay_alu instid0(VALU_DEP_2) | instskip(NEXT) | instid1(VALU_DEP_1)
	v_clz_i32_u32_e32 v16, v16
	v_min_u32_e32 v23, 32, v16
	s_delay_alu instid0(VALU_DEP_1) | instskip(NEXT) | instid1(VALU_DEP_1)
	v_subrev_nc_u32_e32 v16, 28, v23
	v_lshlrev_b64_e32 v[16:17], v16, v[6:7]
	s_delay_alu instid0(VALU_DEP_1)
	v_dual_sub_nc_u32 v17, 29, v23 :: v_dual_bitop2_b32 v16, 7, v16 bitop3:0x40
; %bb.485:                              ;   in Loop: Header=BB289_292 Depth=1
	s_or_b32 exec_lo, exec_lo, s18
	s_delay_alu instid0(VALU_DEP_1) | instskip(NEXT) | instid1(VALU_DEP_2)
	v_dual_lshlrev_b32 v6, 8, v6 :: v_dual_lshlrev_b32 v16, 23, v16
	v_lshl_add_u32 v17, v17, 10, 0x2000
	s_delay_alu instid0(VALU_DEP_1) | instskip(NEXT) | instid1(VALU_DEP_1)
	v_and_or_b32 v6, 0x8000, v6, v17
	v_lshl_or_b32 v16, v6, 16, v16
.LBB289_486:                            ;   in Loop: Header=BB289_292 Depth=1
	s_or_b32 exec_lo, exec_lo, s17
.LBB289_487:                            ;   in Loop: Header=BB289_292 Depth=1
	s_delay_alu instid0(SALU_CYCLE_1)
	s_or_b32 exec_lo, exec_lo, s16
.LBB289_488:                            ;   in Loop: Header=BB289_292 Depth=1
	s_delay_alu instid0(SALU_CYCLE_1) | instskip(SKIP_3) | instid1(VALU_DEP_3)
	s_or_b32 exec_lo, exec_lo, s15
	v_dual_lshrrev_b32 v6, 16, v1 :: v_dual_lshrrev_b32 v17, 16, v18
	v_or_b32_e32 v1, v1, v15
	v_dual_lshrrev_b32 v23, 16, v16 :: v_dual_bitop2_b32 v15, v18, v19 bitop3:0x54
	v_cvt_f32_f16_e32 v19, v6
	s_delay_alu instid0(VALU_DEP_4) | instskip(SKIP_1) | instid1(VALU_DEP_4)
	v_cvt_f32_f16_e32 v18, v17
	v_dual_lshrrev_b32 v21, 16, v22 :: v_dual_bitop2_b32 v6, v16, v21 bitop3:0x54
	v_cvt_f32_f16_e32 v16, v15
	v_cvt_f32_f16_e32 v17, v1
	s_wait_loadcnt 0x0
	v_pk_mul_f32 v[18:19], v[14:15], v[18:19] op_sel_hi:[0,1]
	v_cvt_f32_f16_e32 v21, v21
	s_delay_alu instid0(VALU_DEP_2) | instskip(SKIP_3) | instid1(VALU_DEP_3)
	v_cvt_pk_f16_f32 v1, v18, v19
	v_or_b32_e32 v15, v22, v20
	v_cvt_f32_f16_e32 v20, v23
	v_cvt_f32_f16_e32 v22, v6
	v_pk_mul_f32 v[16:17], v[14:15], v[16:17] op_sel_hi:[0,1]
	s_delay_alu instid0(VALU_DEP_1) | instskip(SKIP_4) | instid1(VALU_DEP_3)
	v_cvt_pk_f16_f32 v6, v16, v17
	v_lshlrev_b32_e32 v16, 16, v1
	v_cvt_f32_f16_e32 v23, v15
	v_pk_mul_f32 v[18:19], v[14:15], v[20:21] op_sel_hi:[0,1]
	v_and_b32_e32 v17, 0xffff0000, v1
	v_pk_mul_f32 v[14:15], v[14:15], v[22:23] op_sel_hi:[0,1]
	s_delay_alu instid0(VALU_DEP_3) | instskip(SKIP_1) | instid1(VALU_DEP_3)
	v_cvt_pk_f16_f32 v18, v18, v19
	v_and_b32_e32 v22, 0xffff, v6
	v_cvt_pk_f16_f32 v14, v14, v15
	s_delay_alu instid0(VALU_DEP_3) | instskip(NEXT) | instid1(VALU_DEP_3)
	v_and_b32_e32 v1, 0xffff0000, v18
	v_or_b32_e32 v20, v16, v22
	s_delay_alu instid0(VALU_DEP_3) | instskip(SKIP_2) | instid1(VALU_DEP_3)
	v_lshrrev_b32_e32 v15, 16, v14
	v_lshrrev_b32_e32 v23, 16, v6
	v_and_b32_e32 v14, 0xffff, v14
	v_dual_lshlrev_b32 v6, 16, v18 :: v_dual_bitop2_b32 v19, v1, v15 bitop3:0x54
	s_delay_alu instid0(VALU_DEP_3) | instskip(NEXT) | instid1(VALU_DEP_2)
	v_or_b32_e32 v21, v17, v23
	v_or_b32_e32 v18, v6, v14
	s_and_saveexec_b32 s15, vcc_lo
	s_cbranch_execz .LBB289_490
; %bb.489:                              ;   in Loop: Header=BB289_292 Depth=1
	v_cmp_gt_i32_e64 s0, s14, v27
	s_delay_alu instid0(VALU_DEP_1) | instskip(SKIP_1) | instid1(VALU_DEP_1)
	v_cndmask_b32_e64 v18, 0, v23, s0
	v_cmp_gt_i32_e64 s0, s25, v36
	v_cndmask_b32_e64 v19, 0, v22, s0
	v_cmp_gt_i32_e64 s0, s14, v35
	s_delay_alu instid0(VALU_DEP_1) | instskip(SKIP_1) | instid1(VALU_DEP_1)
	v_cndmask_b32_e64 v17, 0, v17, s0
	v_cmp_gt_i32_e64 s0, s25, v34
	v_cndmask_b32_e64 v16, 0, v16, s0
	v_cmp_gt_i32_e64 s0, s14, v33
	s_delay_alu instid0(VALU_DEP_4) | instskip(NEXT) | instid1(VALU_DEP_3)
	v_or_b32_e32 v21, v17, v18
	v_or_b32_e32 v20, v16, v19
	s_delay_alu instid0(VALU_DEP_3) | instskip(SKIP_1) | instid1(VALU_DEP_1)
	v_cndmask_b32_e64 v15, 0, v15, s0
	v_cmp_gt_i32_e64 s0, s25, v32
	v_cndmask_b32_e64 v14, 0, v14, s0
	v_cmp_gt_i32_e64 s0, s14, v31
	s_delay_alu instid0(VALU_DEP_1) | instskip(SKIP_1) | instid1(VALU_DEP_1)
	v_cndmask_b32_e64 v1, 0, v1, s0
	v_cmp_gt_i32_e64 s0, s25, v30
	v_dual_cndmask_b32 v6, 0, v6, s0 :: v_dual_bitop2_b32 v19, v1, v15 bitop3:0x54
	s_delay_alu instid0(VALU_DEP_1)
	v_or_b32_e32 v18, v6, v14
.LBB289_490:                            ;   in Loop: Header=BB289_292 Depth=1
	s_or_b32 exec_lo, exec_lo, s15
	;;#ASMSTART
	v_pk_mul_f16 v1, v42, v21;

	;;#ASMEND
	;;#ASMSTART
	v_pk_mul_f16 v6, v41, v20;

	;;#ASMEND
	;; [unrolled: 4-line block ×4, first 2 shown]
	;;#ASMSTART
	v_pk_add_f16 v1, v1, v6;

	;;#ASMEND
	;;#ASMSTART
	v_pk_add_f16 v1, v1, v14;

	;;#ASMEND
	;; [unrolled: 4-line block ×3, first 2 shown]
	v_and_b32_e32 v6, 0xffff, v1
	v_lshrrev_b32_e32 v1, 16, v1
	;;#ASMSTART
	v_cvt_f32_f16 v37, v6;
	;;#ASMEND
	;;#ASMSTART
	v_cvt_f32_f16 v38, v1;
	;;#ASMEND
	global_load_b64 v[14:15], v[12:13], off offset:768
	s_wait_xcnt 0x0
	v_dual_mov_b32 v1, 0 :: v_dual_mov_b32 v13, 0
	s_mov_b32 s15, exec_lo
	global_load_b32 v12, v1, s[6:7]
	s_wait_loadcnt 0x1
	v_and_b32_e32 v6, 0xff, v14
	s_wait_xcnt 0x0
	s_delay_alu instid0(VALU_DEP_1)
	v_cmpx_ne_u16_e32 0, v6
	s_cbranch_execz .LBB289_498
; %bb.491:                              ;   in Loop: Header=BB289_292 Depth=1
	v_mov_b32_e32 v13, 0x8000
	s_mov_b32 s16, exec_lo
	v_cmpx_ne_u16_e32 0x80, v6
	s_cbranch_execz .LBB289_497
; %bb.492:                              ;   in Loop: Header=BB289_292 Depth=1
	v_and_b32_e32 v16, 0x7f, v14
	v_mov_b32_e32 v13, 0x7c01
	s_mov_b32 s17, exec_lo
	s_delay_alu instid0(VALU_DEP_2)
	v_cmpx_ne_u32_e32 0x7f, v16
	s_cbranch_execz .LBB289_496
; %bb.493:                              ;   in Loop: Header=BB289_292 Depth=1
	v_dual_lshrrev_b32 v13, 3, v16 :: v_dual_bitop2_b32 v6, 7, v14 bitop3:0x40
	s_mov_b32 s18, exec_lo
	v_cmpx_gt_u32_e32 8, v16
; %bb.494:                              ;   in Loop: Header=BB289_292 Depth=1
	s_delay_alu instid0(VALU_DEP_2) | instskip(NEXT) | instid1(VALU_DEP_1)
	v_clz_i32_u32_e32 v6, v6
	v_min_u32_e32 v6, 32, v6
	s_delay_alu instid0(VALU_DEP_1) | instskip(NEXT) | instid1(VALU_DEP_1)
	v_subrev_nc_u32_e32 v13, 28, v6
	v_lshlrev_b64_e32 v[16:17], v13, v[14:15]
	s_delay_alu instid0(VALU_DEP_1)
	v_dual_sub_nc_u32 v13, 29, v6 :: v_dual_bitop2_b32 v6, 7, v16 bitop3:0x40
; %bb.495:                              ;   in Loop: Header=BB289_292 Depth=1
	s_or_b32 exec_lo, exec_lo, s18
	v_lshlrev_b32_e32 v16, 8, v14
	s_delay_alu instid0(VALU_DEP_2) | instskip(NEXT) | instid1(VALU_DEP_3)
	v_lshl_add_u32 v13, v13, 10, 0x2000
	v_lshlrev_b32_e32 v6, 7, v6
	s_delay_alu instid0(VALU_DEP_3) | instskip(NEXT) | instid1(VALU_DEP_3)
	v_and_b32_e32 v16, 0x8000, v16
	v_and_b32_e32 v13, 0xfc00, v13
	s_delay_alu instid0(VALU_DEP_1)
	v_or3_b32 v13, v16, v13, v6
.LBB289_496:                            ;   in Loop: Header=BB289_292 Depth=1
	s_or_b32 exec_lo, exec_lo, s17
.LBB289_497:                            ;   in Loop: Header=BB289_292 Depth=1
	s_delay_alu instid0(SALU_CYCLE_1)
	s_or_b32 exec_lo, exec_lo, s16
.LBB289_498:                            ;   in Loop: Header=BB289_292 Depth=1
	s_delay_alu instid0(SALU_CYCLE_1) | instskip(SKIP_2) | instid1(VALU_DEP_1)
	s_or_b32 exec_lo, exec_lo, s15
	v_lshrrev_b16 v6, 8, v14
	s_mov_b32 s15, exec_lo
	v_cmpx_ne_u16_e32 0, v6
	s_cbranch_execz .LBB289_506
; %bb.499:                              ;   in Loop: Header=BB289_292 Depth=1
	v_bfrev_b32_e32 v1, 1
	s_mov_b32 s16, exec_lo
	v_cmpx_ne_u16_e32 0x80, v6
	s_cbranch_execz .LBB289_505
; %bb.500:                              ;   in Loop: Header=BB289_292 Depth=1
	v_and_b32_e32 v16, 0xffff, v6
	v_mov_b32_e32 v1, 0x7c010000
	s_mov_b32 s17, exec_lo
	s_delay_alu instid0(VALU_DEP_2) | instskip(NEXT) | instid1(VALU_DEP_1)
	v_and_b32_e32 v18, 0x7f, v16
	v_cmpx_ne_u32_e32 0x7f, v18
	s_cbranch_execz .LBB289_504
; %bb.501:                              ;   in Loop: Header=BB289_292 Depth=1
	v_dual_lshrrev_b32 v17, 3, v18 :: v_dual_bitop2_b32 v1, 7, v16 bitop3:0x40
	s_mov_b32 s18, exec_lo
	v_cmpx_gt_u32_e32 8, v18
; %bb.502:                              ;   in Loop: Header=BB289_292 Depth=1
	s_delay_alu instid0(VALU_DEP_2) | instskip(NEXT) | instid1(VALU_DEP_1)
	v_clz_i32_u32_e32 v1, v1
	v_min_u32_e32 v1, 32, v1
	s_delay_alu instid0(VALU_DEP_1) | instskip(NEXT) | instid1(VALU_DEP_1)
	v_subrev_nc_u32_e32 v17, 28, v1
	v_lshlrev_b64_e32 v[18:19], v17, v[6:7]
	s_delay_alu instid0(VALU_DEP_1)
	v_dual_sub_nc_u32 v17, 29, v1 :: v_dual_bitop2_b32 v1, 7, v18 bitop3:0x40
; %bb.503:                              ;   in Loop: Header=BB289_292 Depth=1
	s_or_b32 exec_lo, exec_lo, s18
	s_delay_alu instid0(VALU_DEP_1) | instskip(NEXT) | instid1(VALU_DEP_2)
	v_dual_lshlrev_b32 v6, 8, v16 :: v_dual_lshlrev_b32 v1, 23, v1
	v_lshl_add_u32 v16, v17, 10, 0x2000
	s_delay_alu instid0(VALU_DEP_1) | instskip(NEXT) | instid1(VALU_DEP_1)
	v_and_or_b32 v6, 0x8000, v6, v16
	v_lshl_or_b32 v1, v6, 16, v1
.LBB289_504:                            ;   in Loop: Header=BB289_292 Depth=1
	s_or_b32 exec_lo, exec_lo, s17
.LBB289_505:                            ;   in Loop: Header=BB289_292 Depth=1
	s_delay_alu instid0(SALU_CYCLE_1)
	s_or_b32 exec_lo, exec_lo, s16
.LBB289_506:                            ;   in Loop: Header=BB289_292 Depth=1
	s_delay_alu instid0(SALU_CYCLE_1) | instskip(SKIP_3) | instid1(VALU_DEP_2)
	s_or_b32 exec_lo, exec_lo, s15
	v_dual_lshrrev_b32 v6, 16, v14 :: v_dual_mov_b32 v16, 0
	v_mov_b32_e32 v17, 0
	s_mov_b32 s15, exec_lo
	v_and_b32_e32 v18, 0xff, v6
	s_delay_alu instid0(VALU_DEP_1)
	v_cmpx_ne_u16_e32 0, v18
	s_cbranch_execz .LBB289_514
; %bb.507:                              ;   in Loop: Header=BB289_292 Depth=1
	v_mov_b32_e32 v17, 0x8000
	s_mov_b32 s16, exec_lo
	v_cmpx_ne_u16_e32 0x80, v18
	s_cbranch_execz .LBB289_513
; %bb.508:                              ;   in Loop: Header=BB289_292 Depth=1
	v_bfe_u32 v19, v14, 16, 7
	v_mov_b32_e32 v17, 0x7c01
	s_mov_b32 s17, exec_lo
	s_delay_alu instid0(VALU_DEP_2)
	v_cmpx_ne_u32_e32 0x7f, v19
	s_cbranch_execz .LBB289_512
; %bb.509:                              ;   in Loop: Header=BB289_292 Depth=1
	v_dual_lshrrev_b32 v18, 3, v19 :: v_dual_bitop2_b32 v17, 7, v6 bitop3:0x40
	s_mov_b32 s18, exec_lo
	v_cmpx_gt_u32_e32 8, v19
; %bb.510:                              ;   in Loop: Header=BB289_292 Depth=1
	s_delay_alu instid0(VALU_DEP_2) | instskip(NEXT) | instid1(VALU_DEP_1)
	v_clz_i32_u32_e32 v17, v17
	v_min_u32_e32 v17, 32, v17
	s_delay_alu instid0(VALU_DEP_1) | instskip(NEXT) | instid1(VALU_DEP_1)
	v_subrev_nc_u32_e32 v18, 28, v17
	v_lshlrev_b64_e32 v[20:21], v18, v[6:7]
	s_delay_alu instid0(VALU_DEP_1)
	v_dual_sub_nc_u32 v18, 29, v17 :: v_dual_bitop2_b32 v17, 7, v20 bitop3:0x40
; %bb.511:                              ;   in Loop: Header=BB289_292 Depth=1
	s_or_b32 exec_lo, exec_lo, s18
	s_delay_alu instid0(VALU_DEP_1) | instskip(NEXT) | instid1(VALU_DEP_2)
	v_dual_lshlrev_b32 v6, 8, v6 :: v_dual_lshlrev_b32 v17, 7, v17
	v_lshl_add_u32 v18, v18, 10, 0x2000
	s_delay_alu instid0(VALU_DEP_2) | instskip(NEXT) | instid1(VALU_DEP_2)
	v_and_b32_e32 v6, 0x8000, v6
	v_and_b32_e32 v18, 0xfc00, v18
	s_delay_alu instid0(VALU_DEP_1)
	v_or3_b32 v17, v6, v18, v17
.LBB289_512:                            ;   in Loop: Header=BB289_292 Depth=1
	s_or_b32 exec_lo, exec_lo, s17
.LBB289_513:                            ;   in Loop: Header=BB289_292 Depth=1
	s_delay_alu instid0(SALU_CYCLE_1)
	s_or_b32 exec_lo, exec_lo, s16
.LBB289_514:                            ;   in Loop: Header=BB289_292 Depth=1
	s_delay_alu instid0(SALU_CYCLE_1) | instskip(NEXT) | instid1(SALU_CYCLE_1)
	s_or_b32 exec_lo, exec_lo, s15
	s_mov_b32 s15, exec_lo
	v_cmpx_lt_u32_e32 0xffffff, v14
	s_cbranch_execz .LBB289_522
; %bb.515:                              ;   in Loop: Header=BB289_292 Depth=1
	v_lshrrev_b32_e32 v6, 24, v14
	v_bfrev_b32_e32 v16, 1
	s_mov_b32 s16, exec_lo
	s_delay_alu instid0(VALU_DEP_2)
	v_cmpx_ne_u32_e32 0x80, v6
	s_cbranch_execz .LBB289_521
; %bb.516:                              ;   in Loop: Header=BB289_292 Depth=1
	v_and_b32_e32 v19, 0x7f, v6
	v_mov_b32_e32 v16, 0x7c010000
	s_mov_b32 s17, exec_lo
	s_delay_alu instid0(VALU_DEP_2)
	v_cmpx_ne_u32_e32 0x7f, v19
	s_cbranch_execz .LBB289_520
; %bb.517:                              ;   in Loop: Header=BB289_292 Depth=1
	v_dual_lshrrev_b32 v18, 3, v19 :: v_dual_bitop2_b32 v16, 7, v6 bitop3:0x40
	s_mov_b32 s18, exec_lo
	v_cmpx_gt_u32_e32 8, v19
; %bb.518:                              ;   in Loop: Header=BB289_292 Depth=1
	s_delay_alu instid0(VALU_DEP_2) | instskip(NEXT) | instid1(VALU_DEP_1)
	v_clz_i32_u32_e32 v16, v16
	v_min_u32_e32 v16, 32, v16
	s_delay_alu instid0(VALU_DEP_1) | instskip(NEXT) | instid1(VALU_DEP_1)
	v_subrev_nc_u32_e32 v18, 28, v16
	v_lshlrev_b64_e32 v[20:21], v18, v[6:7]
	v_sub_nc_u32_e32 v18, 29, v16
	s_delay_alu instid0(VALU_DEP_2)
	v_and_b32_e32 v16, 7, v20
; %bb.519:                              ;   in Loop: Header=BB289_292 Depth=1
	s_or_b32 exec_lo, exec_lo, s18
	s_delay_alu instid0(VALU_DEP_1) | instskip(NEXT) | instid1(VALU_DEP_3)
	v_dual_lshlrev_b32 v6, 8, v6 :: v_dual_lshlrev_b32 v16, 23, v16
	v_lshl_add_u32 v18, v18, 10, 0x2000
	s_delay_alu instid0(VALU_DEP_1) | instskip(NEXT) | instid1(VALU_DEP_1)
	v_and_or_b32 v6, 0x8000, v6, v18
	v_lshl_or_b32 v16, v6, 16, v16
.LBB289_520:                            ;   in Loop: Header=BB289_292 Depth=1
	s_or_b32 exec_lo, exec_lo, s17
.LBB289_521:                            ;   in Loop: Header=BB289_292 Depth=1
	s_delay_alu instid0(SALU_CYCLE_1)
	s_or_b32 exec_lo, exec_lo, s16
.LBB289_522:                            ;   in Loop: Header=BB289_292 Depth=1
	s_delay_alu instid0(SALU_CYCLE_1) | instskip(SKIP_4) | instid1(VALU_DEP_3)
	s_or_b32 exec_lo, exec_lo, s15
	v_and_b32_e32 v20, 0xff, v15
	v_dual_mov_b32 v6, v15 :: v_dual_mov_b32 v19, 0
	v_mov_b32_e32 v18, 0
	s_mov_b32 s15, exec_lo
	v_cmpx_ne_u16_e32 0, v20
	s_cbranch_execz .LBB289_530
; %bb.523:                              ;   in Loop: Header=BB289_292 Depth=1
	v_mov_b32_e32 v18, 0x8000
	s_mov_b32 s16, exec_lo
	v_cmpx_ne_u16_e32 0x80, v20
	s_cbranch_execz .LBB289_529
; %bb.524:                              ;   in Loop: Header=BB289_292 Depth=1
	v_and_b32_e32 v21, 0x7f, v15
	v_mov_b32_e32 v18, 0x7c01
	s_mov_b32 s17, exec_lo
	s_delay_alu instid0(VALU_DEP_2)
	v_cmpx_ne_u32_e32 0x7f, v21
	s_cbranch_execz .LBB289_528
; %bb.525:                              ;   in Loop: Header=BB289_292 Depth=1
	v_dual_lshrrev_b32 v20, 3, v21 :: v_dual_bitop2_b32 v18, 7, v15 bitop3:0x40
	s_mov_b32 s18, exec_lo
	v_cmpx_gt_u32_e32 8, v21
; %bb.526:                              ;   in Loop: Header=BB289_292 Depth=1
	s_delay_alu instid0(VALU_DEP_2) | instskip(NEXT) | instid1(VALU_DEP_1)
	v_clz_i32_u32_e32 v18, v18
	v_min_u32_e32 v18, 32, v18
	s_delay_alu instid0(VALU_DEP_1) | instskip(NEXT) | instid1(VALU_DEP_1)
	v_subrev_nc_u32_e32 v20, 28, v18
	v_lshlrev_b64_e32 v[22:23], v20, v[6:7]
	v_sub_nc_u32_e32 v20, 29, v18
	s_delay_alu instid0(VALU_DEP_2)
	v_and_b32_e32 v18, 7, v22
; %bb.527:                              ;   in Loop: Header=BB289_292 Depth=1
	s_or_b32 exec_lo, exec_lo, s18
	s_delay_alu instid0(VALU_DEP_1) | instskip(NEXT) | instid1(VALU_DEP_3)
	v_dual_lshlrev_b32 v21, 8, v15 :: v_dual_lshlrev_b32 v18, 7, v18
	v_lshl_add_u32 v20, v20, 10, 0x2000
	s_delay_alu instid0(VALU_DEP_2) | instskip(NEXT) | instid1(VALU_DEP_2)
	v_and_b32_e32 v21, 0x8000, v21
	v_and_b32_e32 v20, 0xfc00, v20
	s_delay_alu instid0(VALU_DEP_1)
	v_or3_b32 v18, v21, v20, v18
.LBB289_528:                            ;   in Loop: Header=BB289_292 Depth=1
	s_or_b32 exec_lo, exec_lo, s17
.LBB289_529:                            ;   in Loop: Header=BB289_292 Depth=1
	s_delay_alu instid0(SALU_CYCLE_1)
	s_or_b32 exec_lo, exec_lo, s16
.LBB289_530:                            ;   in Loop: Header=BB289_292 Depth=1
	s_delay_alu instid0(SALU_CYCLE_1) | instskip(SKIP_3) | instid1(VALU_DEP_2)
	s_or_b32 exec_lo, exec_lo, s15
	v_lshrrev_b16 v6, 8, v6
	v_mov_b32_e32 v20, 0
	s_mov_b32 s15, exec_lo
	v_cmpx_ne_u16_e32 0, v6
	s_cbranch_execz .LBB289_538
; %bb.531:                              ;   in Loop: Header=BB289_292 Depth=1
	v_bfrev_b32_e32 v20, 1
	s_mov_b32 s16, exec_lo
	v_cmpx_ne_u16_e32 0x80, v6
	s_cbranch_execz .LBB289_537
; %bb.532:                              ;   in Loop: Header=BB289_292 Depth=1
	v_and_b32_e32 v21, 0xffff, v6
	v_mov_b32_e32 v20, 0x7c010000
	s_mov_b32 s17, exec_lo
	s_delay_alu instid0(VALU_DEP_2) | instskip(NEXT) | instid1(VALU_DEP_1)
	v_and_b32_e32 v23, 0x7f, v21
	v_cmpx_ne_u32_e32 0x7f, v23
	s_cbranch_execz .LBB289_536
; %bb.533:                              ;   in Loop: Header=BB289_292 Depth=1
	v_dual_lshrrev_b32 v22, 3, v23 :: v_dual_bitop2_b32 v20, 7, v21 bitop3:0x40
	s_mov_b32 s18, exec_lo
	v_cmpx_gt_u32_e32 8, v23
; %bb.534:                              ;   in Loop: Header=BB289_292 Depth=1
	s_delay_alu instid0(VALU_DEP_2) | instskip(NEXT) | instid1(VALU_DEP_1)
	v_clz_i32_u32_e32 v20, v20
	v_min_u32_e32 v20, 32, v20
	s_delay_alu instid0(VALU_DEP_1) | instskip(NEXT) | instid1(VALU_DEP_1)
	v_subrev_nc_u32_e32 v22, 28, v20
	v_lshlrev_b64_e32 v[48:49], v22, v[6:7]
	v_sub_nc_u32_e32 v22, 29, v20
	s_delay_alu instid0(VALU_DEP_2)
	v_and_b32_e32 v20, 7, v48
; %bb.535:                              ;   in Loop: Header=BB289_292 Depth=1
	s_or_b32 exec_lo, exec_lo, s18
	s_delay_alu instid0(VALU_DEP_1) | instskip(NEXT) | instid1(VALU_DEP_3)
	v_dual_lshlrev_b32 v6, 8, v21 :: v_dual_lshlrev_b32 v20, 23, v20
	v_lshl_add_u32 v21, v22, 10, 0x2000
	s_delay_alu instid0(VALU_DEP_1) | instskip(NEXT) | instid1(VALU_DEP_1)
	v_and_or_b32 v6, 0x8000, v6, v21
	v_lshl_or_b32 v20, v6, 16, v20
.LBB289_536:                            ;   in Loop: Header=BB289_292 Depth=1
	s_or_b32 exec_lo, exec_lo, s17
.LBB289_537:                            ;   in Loop: Header=BB289_292 Depth=1
	s_delay_alu instid0(SALU_CYCLE_1)
	s_or_b32 exec_lo, exec_lo, s16
.LBB289_538:                            ;   in Loop: Header=BB289_292 Depth=1
	s_delay_alu instid0(SALU_CYCLE_1) | instskip(SKIP_2) | instid1(VALU_DEP_1)
	s_or_b32 exec_lo, exec_lo, s15
	v_lshrrev_b32_e32 v6, 16, v15
	s_mov_b32 s15, exec_lo
	v_and_b32_e32 v21, 0xff, v6
	s_delay_alu instid0(VALU_DEP_1)
	v_cmpx_ne_u16_e32 0, v21
	s_cbranch_execz .LBB289_546
; %bb.539:                              ;   in Loop: Header=BB289_292 Depth=1
	v_mov_b32_e32 v19, 0x8000
	s_mov_b32 s16, exec_lo
	v_cmpx_ne_u16_e32 0x80, v21
	s_cbranch_execz .LBB289_545
; %bb.540:                              ;   in Loop: Header=BB289_292 Depth=1
	v_bfe_u32 v22, v15, 16, 7
	v_mov_b32_e32 v19, 0x7c01
	s_mov_b32 s17, exec_lo
	s_delay_alu instid0(VALU_DEP_2)
	v_cmpx_ne_u32_e32 0x7f, v22
	s_cbranch_execz .LBB289_544
; %bb.541:                              ;   in Loop: Header=BB289_292 Depth=1
	v_and_b32_e32 v19, 7, v6
	v_lshrrev_b32_e32 v21, 3, v22
	s_mov_b32 s18, exec_lo
	v_cmpx_gt_u32_e32 8, v22
; %bb.542:                              ;   in Loop: Header=BB289_292 Depth=1
	s_delay_alu instid0(VALU_DEP_3) | instskip(NEXT) | instid1(VALU_DEP_1)
	v_clz_i32_u32_e32 v19, v19
	v_min_u32_e32 v19, 32, v19
	s_delay_alu instid0(VALU_DEP_1) | instskip(NEXT) | instid1(VALU_DEP_1)
	v_subrev_nc_u32_e32 v21, 28, v19
	v_lshlrev_b64_e32 v[22:23], v21, v[6:7]
	s_delay_alu instid0(VALU_DEP_1)
	v_dual_sub_nc_u32 v21, 29, v19 :: v_dual_bitop2_b32 v19, 7, v22 bitop3:0x40
; %bb.543:                              ;   in Loop: Header=BB289_292 Depth=1
	s_or_b32 exec_lo, exec_lo, s18
	s_delay_alu instid0(VALU_DEP_1) | instskip(NEXT) | instid1(VALU_DEP_2)
	v_dual_lshlrev_b32 v6, 8, v6 :: v_dual_lshlrev_b32 v19, 7, v19
	v_lshl_add_u32 v21, v21, 10, 0x2000
	s_delay_alu instid0(VALU_DEP_2) | instskip(NEXT) | instid1(VALU_DEP_2)
	v_and_b32_e32 v6, 0x8000, v6
	v_and_b32_e32 v21, 0xfc00, v21
	s_delay_alu instid0(VALU_DEP_1)
	v_or3_b32 v19, v6, v21, v19
.LBB289_544:                            ;   in Loop: Header=BB289_292 Depth=1
	s_or_b32 exec_lo, exec_lo, s17
.LBB289_545:                            ;   in Loop: Header=BB289_292 Depth=1
	s_delay_alu instid0(SALU_CYCLE_1)
	s_or_b32 exec_lo, exec_lo, s16
.LBB289_546:                            ;   in Loop: Header=BB289_292 Depth=1
	s_delay_alu instid0(SALU_CYCLE_1)
	s_or_b32 exec_lo, exec_lo, s15
	v_cmp_lt_u64_e64 s0, s[2:3], v[14:15]
	v_mov_b32_e32 v14, 0
	s_and_saveexec_b32 s15, s0
	s_cbranch_execz .LBB289_554
; %bb.547:                              ;   in Loop: Header=BB289_292 Depth=1
	v_lshrrev_b32_e32 v6, 24, v15
	v_bfrev_b32_e32 v14, 1
	s_mov_b32 s16, exec_lo
	s_delay_alu instid0(VALU_DEP_2)
	v_cmpx_ne_u32_e32 0x80, v6
	s_cbranch_execz .LBB289_553
; %bb.548:                              ;   in Loop: Header=BB289_292 Depth=1
	v_and_b32_e32 v21, 0x7f, v6
	v_mov_b32_e32 v14, 0x7c010000
	s_mov_b32 s17, exec_lo
	s_delay_alu instid0(VALU_DEP_2)
	v_cmpx_ne_u32_e32 0x7f, v21
	s_cbranch_execz .LBB289_552
; %bb.549:                              ;   in Loop: Header=BB289_292 Depth=1
	v_dual_lshrrev_b32 v15, 3, v21 :: v_dual_bitop2_b32 v14, 7, v6 bitop3:0x40
	s_mov_b32 s18, exec_lo
	v_cmpx_gt_u32_e32 8, v21
; %bb.550:                              ;   in Loop: Header=BB289_292 Depth=1
	s_delay_alu instid0(VALU_DEP_2) | instskip(NEXT) | instid1(VALU_DEP_1)
	v_clz_i32_u32_e32 v14, v14
	v_min_u32_e32 v21, 32, v14
	s_delay_alu instid0(VALU_DEP_1) | instskip(NEXT) | instid1(VALU_DEP_1)
	v_subrev_nc_u32_e32 v14, 28, v21
	v_lshlrev_b64_e32 v[14:15], v14, v[6:7]
	s_delay_alu instid0(VALU_DEP_1)
	v_dual_sub_nc_u32 v15, 29, v21 :: v_dual_bitop2_b32 v14, 7, v14 bitop3:0x40
; %bb.551:                              ;   in Loop: Header=BB289_292 Depth=1
	s_or_b32 exec_lo, exec_lo, s18
	v_lshlrev_b32_e32 v6, 8, v6
	s_delay_alu instid0(VALU_DEP_2) | instskip(NEXT) | instid1(VALU_DEP_3)
	v_lshl_add_u32 v15, v15, 10, 0x2000
	v_lshlrev_b32_e32 v14, 23, v14
	s_delay_alu instid0(VALU_DEP_2) | instskip(NEXT) | instid1(VALU_DEP_1)
	v_and_or_b32 v6, 0x8000, v6, v15
	v_lshl_or_b32 v14, v6, 16, v14
.LBB289_552:                            ;   in Loop: Header=BB289_292 Depth=1
	s_or_b32 exec_lo, exec_lo, s17
.LBB289_553:                            ;   in Loop: Header=BB289_292 Depth=1
	s_delay_alu instid0(SALU_CYCLE_1)
	s_or_b32 exec_lo, exec_lo, s16
.LBB289_554:                            ;   in Loop: Header=BB289_292 Depth=1
	s_delay_alu instid0(SALU_CYCLE_1) | instskip(SKIP_3) | instid1(VALU_DEP_3)
	s_or_b32 exec_lo, exec_lo, s15
	v_dual_lshrrev_b32 v6, 16, v1 :: v_dual_lshrrev_b32 v15, 16, v16
	v_or_b32_e32 v1, v1, v13
	v_dual_lshrrev_b32 v21, 16, v14 :: v_dual_bitop2_b32 v13, v16, v17 bitop3:0x54
	v_cvt_f32_f16_e32 v17, v6
	s_delay_alu instid0(VALU_DEP_4) | instskip(SKIP_1) | instid1(VALU_DEP_4)
	v_cvt_f32_f16_e32 v16, v15
	v_dual_lshrrev_b32 v19, 16, v20 :: v_dual_bitop2_b32 v6, v14, v19 bitop3:0x54
	v_cvt_f32_f16_e32 v14, v13
	v_cvt_f32_f16_e32 v15, v1
	s_wait_loadcnt 0x0
	v_pk_mul_f32 v[16:17], v[12:13], v[16:17] op_sel_hi:[0,1]
	v_or_b32_e32 v13, v20, v18
	v_cvt_f32_f16_e32 v19, v19
	v_cvt_f32_f16_e32 v18, v21
	s_delay_alu instid0(VALU_DEP_4) | instskip(NEXT) | instid1(VALU_DEP_4)
	v_cvt_pk_f16_f32 v1, v16, v17
	v_cvt_f32_f16_e32 v21, v13
	v_pk_mul_f32 v[14:15], v[12:13], v[14:15] op_sel_hi:[0,1]
	s_delay_alu instid0(VALU_DEP_4) | instskip(NEXT) | instid1(VALU_DEP_4)
	v_pk_mul_f32 v[16:17], v[12:13], v[18:19] op_sel_hi:[0,1]
	v_lshlrev_b32_e32 v18, 16, v1
	v_cvt_f32_f16_e32 v20, v6
	s_delay_alu instid0(VALU_DEP_4) | instskip(NEXT) | instid1(VALU_DEP_4)
	v_cvt_pk_f16_f32 v6, v14, v15
	v_cvt_pk_f16_f32 v14, v16, v17
	v_and_b32_e32 v19, 0xffff0000, v1
	s_delay_alu instid0(VALU_DEP_4) | instskip(NEXT) | instid1(VALU_DEP_4)
	v_pk_mul_f32 v[12:13], v[12:13], v[20:21] op_sel_hi:[0,1]
	v_and_b32_e32 v20, 0xffff, v6
	v_lshrrev_b32_e32 v21, 16, v6
	v_and_b32_e32 v1, 0xffff0000, v14
	v_lshlrev_b32_e32 v6, 16, v14
	v_cvt_pk_f16_f32 v12, v12, v13
	v_or_b32_e32 v14, v18, v20
	s_delay_alu instid0(VALU_DEP_2) | instskip(SKIP_1) | instid1(VALU_DEP_2)
	v_dual_lshrrev_b32 v17, 16, v12 :: v_dual_bitop2_b32 v15, v19, v21 bitop3:0x54
	v_and_b32_e32 v16, 0xffff, v12
	v_or_b32_e32 v13, v1, v17
	s_delay_alu instid0(VALU_DEP_2)
	v_or_b32_e32 v12, v6, v16
	s_and_saveexec_b32 s0, vcc_lo
	s_cbranch_execz .LBB289_291
; %bb.555:                              ;   in Loop: Header=BB289_292 Depth=1
	v_cmp_gt_i32_e32 vcc_lo, s14, v27
	v_cndmask_b32_e32 v12, 0, v21, vcc_lo
	v_cmp_gt_i32_e32 vcc_lo, s25, v36
	v_cndmask_b32_e32 v13, 0, v20, vcc_lo
	;; [unrolled: 2-line block ×4, first 2 shown]
	v_cmp_gt_i32_e32 vcc_lo, s14, v33
	s_delay_alu instid0(VALU_DEP_4) | instskip(NEXT) | instid1(VALU_DEP_3)
	v_or_b32_e32 v15, v14, v12
	v_or_b32_e32 v14, v18, v13
	v_cndmask_b32_e32 v17, 0, v17, vcc_lo
	v_cmp_gt_i32_e32 vcc_lo, s25, v32
	v_cndmask_b32_e32 v16, 0, v16, vcc_lo
	v_cmp_gt_i32_e32 vcc_lo, s14, v31
	v_cndmask_b32_e32 v1, 0, v1, vcc_lo
	v_cmp_gt_i32_e32 vcc_lo, s25, v30
	s_delay_alu instid0(VALU_DEP_2) | instskip(NEXT) | instid1(VALU_DEP_1)
	v_dual_cndmask_b32 v6, 0, v6, vcc_lo :: v_dual_bitop2_b32 v13, v1, v17 bitop3:0x54
	v_or_b32_e32 v12, v6, v16
	s_branch .LBB289_291
.LBB289_556:
	s_or_b32 exec_lo, exec_lo, s11
.LBB289_557:
	s_delay_alu instid0(SALU_CYCLE_1)
	s_or_b32 exec_lo, exec_lo, s1
	ds_bpermute_b32 v6, v24, v4
	ds_bpermute_b32 v7, v24, v5
	;; [unrolled: 1-line block ×4, first 2 shown]
	v_and_b32_e32 v1, 28, v55
	s_mov_b32 s0, exec_lo
	s_wait_dscnt 0x0
	s_barrier_signal -1
	s_barrier_wait -1
	v_pk_add_f32 v[10:11], v[4:5], v[6:7]
	v_pk_add_f32 v[4:5], v[2:3], v[8:9]
	v_and_b32_e32 v8, 0x3c3, v0
	ds_bpermute_b32 v2, v25, v10
	ds_bpermute_b32 v3, v25, v11
	;; [unrolled: 1-line block ×4, first 2 shown]
	s_wait_dscnt 0x2
	v_pk_add_f32 v[2:3], v[10:11], v[2:3]
	v_cmpx_ne_u32_e32 64, v8
	s_xor_b32 s0, exec_lo, s0
; %bb.558:
                                        ; implicit-def: $vgpr54
; %bb.559:
	s_delay_alu instid0(SALU_CYCLE_1)
	s_or_saveexec_b32 s0, s0
	s_wait_dscnt 0x0
	v_pk_add_f32 v[4:5], v[4:5], v[6:7]
	v_lshrrev_b32_e32 v7, 2, v55
	v_add_nc_u32_e32 v6, 0x60, v1
	s_xor_b32 exec_lo, exec_lo, s0
	s_cbranch_execz .LBB289_561
; %bb.560:
	s_delay_alu instid0(VALU_DEP_1) | instskip(NEXT) | instid1(VALU_DEP_1)
	v_lshl_add_u32 v1, v54, 7, v6
	v_add_nc_u32_e32 v8, 0xffffff00, v1
	v_add_nc_u32_e32 v9, 0xffffff20, v1
	;; [unrolled: 1-line block ×4, first 2 shown]
	ds_store_b32 v8, v2
	ds_store_b32 v9, v3
	;; [unrolled: 1-line block ×4, first 2 shown]
.LBB289_561:
	s_or_b32 exec_lo, exec_lo, s0
	v_and_b32_e32 v1, 0x3e0, v0
	v_lshlrev_b32_e32 v7, 2, v7
	s_mov_b32 s1, exec_lo
	v_cmp_eq_u32_e32 vcc_lo, 0, v26
	s_wait_dscnt 0x0
	v_lshlrev_b32_e32 v1, 2, v1
	s_barrier_signal -1
	s_barrier_wait -1
	s_delay_alu instid0(VALU_DEP_1)
	v_add3_u32 v1, 0x60, v1, v7
	v_cmpx_gt_u32_e32 64, v0
	s_cbranch_execz .LBB289_568
; %bb.562:
	s_and_saveexec_b32 s0, vcc_lo
	s_cbranch_execnz .LBB289_580
; %bb.563:
	s_or_b32 exec_lo, exec_lo, s0
	s_and_saveexec_b32 s0, vcc_lo
	s_cbranch_execnz .LBB289_581
.LBB289_564:
	s_or_b32 exec_lo, exec_lo, s0
	s_and_saveexec_b32 s0, vcc_lo
	s_cbranch_execnz .LBB289_582
.LBB289_565:
	s_or_b32 exec_lo, exec_lo, s0
	s_and_saveexec_b32 s0, vcc_lo
	s_cbranch_execz .LBB289_567
.LBB289_566:
	ds_load_b32 v7, v1 offset:96
	s_wait_dscnt 0x0
	v_add_f32_e32 v5, v5, v7
.LBB289_567:
	s_or_b32 exec_lo, exec_lo, s0
.LBB289_568:
	s_delay_alu instid0(SALU_CYCLE_1) | instskip(SKIP_4) | instid1(VALU_DEP_1)
	s_or_b32 exec_lo, exec_lo, s1
	v_and_b32_e32 v7, 0x3e3, v0
	s_mov_b32 s1, exec_lo
	s_barrier_signal -1
	s_barrier_wait -1
	v_cmpx_eq_u32_e32 32, v7
	s_cbranch_execz .LBB289_570
; %bb.569:
	ds_store_2addr_b32 v6, v2, v3 offset1:8
	ds_store_2addr_b32 v6, v4, v5 offset0:16 offset1:24
.LBB289_570:
	s_or_b32 exec_lo, exec_lo, s1
	s_delay_alu instid0(SALU_CYCLE_1)
	s_mov_b32 s1, exec_lo
	s_wait_dscnt 0x0
	s_barrier_signal -1
	s_barrier_wait -1
	v_cmpx_gt_u32_e32 32, v0
	s_cbranch_execz .LBB289_577
; %bb.571:
	s_and_saveexec_b32 s0, vcc_lo
	s_cbranch_execnz .LBB289_583
; %bb.572:
	s_or_b32 exec_lo, exec_lo, s0
	s_and_saveexec_b32 s0, vcc_lo
	s_cbranch_execnz .LBB289_584
.LBB289_573:
	s_or_b32 exec_lo, exec_lo, s0
	s_and_saveexec_b32 s0, vcc_lo
	s_cbranch_execnz .LBB289_585
.LBB289_574:
	s_or_b32 exec_lo, exec_lo, s0
	s_and_saveexec_b32 s0, vcc_lo
	s_cbranch_execz .LBB289_576
.LBB289_575:
	ds_load_b32 v1, v1 offset:96
	s_wait_dscnt 0x0
	v_add_f32_e32 v5, v5, v1
.LBB289_576:
	s_or_b32 exec_lo, exec_lo, s0
.LBB289_577:
	s_delay_alu instid0(SALU_CYCLE_1)
	s_or_b32 exec_lo, exec_lo, s1
	s_mov_b32 s1, 0
	s_barrier_signal -1
	s_barrier_wait -1
	s_mov_b32 s0, exec_lo
	v_cmpx_eq_u32_e32 0, v7
	s_cbranch_execz .LBB289_579
; %bb.578:
	s_mul_i32 s0, s24, s8
	s_mul_i32 s2, s8, s12
	;; [unrolled: 1-line block ×3, first 2 shown]
	s_lshr_b32 s8, ttmp7, 16
	s_lshl_b32 s6, s0, 5
	s_bfe_u32 s0, ttmp6, 0x40014
	s_ashr_i32 s7, s6, 31
	s_add_co_i32 s0, s0, 1
	s_lshl_b64 s[6:7], s[6:7], 1
	s_ashr_i32 s3, s2, 31
	s_wait_kmcnt 0x0
	s_add_nc_u64 s[4:5], s[4:5], s[6:7]
	s_mul_i32 s0, s8, s0
	s_bfe_u32 s6, ttmp6, 0x40008
	s_lshl_b64 s[2:3], s[2:3], 1
	s_add_co_i32 s6, s6, s0
	s_cmp_eq_u32 s22, 0
	v_lshrrev_b32_e32 v0, 1, v0
	s_cselect_b32 s0, s8, s6
	s_add_nc_u64 s[2:3], s[4:5], s[2:3]
	s_lshl_b32 s0, s0, 6
	;;#ASMSTART
	v_cvt_f16_f32 v1, v2;

	;;#ASMEND
	s_add_nc_u64 s[0:1], s[2:3], s[0:1]
	global_store_b16 v0, v1, s[0:1]
	s_wait_xcnt 0x0
	;;#ASMSTART
	v_cvt_f16_f32 v1, v3;

	;;#ASMEND
	global_store_b16 v0, v1, s[0:1] offset:16
	s_wait_xcnt 0x0
	;;#ASMSTART
	v_cvt_f16_f32 v1, v4;

	;;#ASMEND
	global_store_b16 v0, v1, s[0:1] offset:32
	;; [unrolled: 6-line block ×3, first 2 shown]
.LBB289_579:
	s_sendmsg sendmsg(MSG_DEALLOC_VGPRS)
	s_endpgm
.LBB289_580:
	ds_load_b32 v7, v1
	s_wait_dscnt 0x0
	v_add_f32_e32 v2, v2, v7
	s_or_b32 exec_lo, exec_lo, s0
	s_and_saveexec_b32 s0, vcc_lo
	s_cbranch_execz .LBB289_564
.LBB289_581:
	ds_load_b32 v7, v1 offset:32
	s_wait_dscnt 0x0
	v_add_f32_e32 v3, v3, v7
	s_or_b32 exec_lo, exec_lo, s0
	s_and_saveexec_b32 s0, vcc_lo
	s_cbranch_execz .LBB289_565
.LBB289_582:
	ds_load_b32 v7, v1 offset:64
	s_wait_dscnt 0x0
	v_add_f32_e32 v4, v4, v7
	s_or_b32 exec_lo, exec_lo, s0
	s_and_saveexec_b32 s0, vcc_lo
	s_cbranch_execnz .LBB289_566
	s_branch .LBB289_567
.LBB289_583:
	ds_load_b32 v6, v1
	s_wait_dscnt 0x0
	v_add_f32_e32 v2, v2, v6
	s_or_b32 exec_lo, exec_lo, s0
	s_and_saveexec_b32 s0, vcc_lo
	s_cbranch_execz .LBB289_573
.LBB289_584:
	ds_load_b32 v6, v1 offset:32
	s_wait_dscnt 0x0
	v_add_f32_e32 v3, v3, v6
	s_or_b32 exec_lo, exec_lo, s0
	s_and_saveexec_b32 s0, vcc_lo
	s_cbranch_execz .LBB289_574
.LBB289_585:
	ds_load_b32 v6, v1 offset:64
	s_wait_dscnt 0x0
	v_add_f32_e32 v4, v4, v6
	s_or_b32 exec_lo, exec_lo, s0
	s_and_saveexec_b32 s0, vcc_lo
	s_cbranch_execnz .LBB289_575
	s_branch .LBB289_576
	.section	.rodata,"a",@progbits
	.p2align	6, 0x0
	.amdhsa_kernel _ZN4vllm25paged_attention_v1_kernelIthLi32ELi32ELi128ELNS_18Fp8KVCacheDataTypeE1ELb0EEEvPT_PKS2_PKT0_S8_ifPKiSA_iPKfiiiSC_SC_iiiii
		.amdhsa_group_segment_fixed_size 96
		.amdhsa_private_segment_fixed_size 0
		.amdhsa_kernarg_size 384
		.amdhsa_user_sgpr_count 2
		.amdhsa_user_sgpr_dispatch_ptr 0
		.amdhsa_user_sgpr_queue_ptr 0
		.amdhsa_user_sgpr_kernarg_segment_ptr 1
		.amdhsa_user_sgpr_dispatch_id 0
		.amdhsa_user_sgpr_kernarg_preload_length 0
		.amdhsa_user_sgpr_kernarg_preload_offset 0
		.amdhsa_user_sgpr_private_segment_size 0
		.amdhsa_wavefront_size32 1
		.amdhsa_uses_dynamic_stack 0
		.amdhsa_enable_private_segment 0
		.amdhsa_system_sgpr_workgroup_id_x 1
		.amdhsa_system_sgpr_workgroup_id_y 1
		.amdhsa_system_sgpr_workgroup_id_z 1
		.amdhsa_system_sgpr_workgroup_info 0
		.amdhsa_system_vgpr_workitem_id 0
		.amdhsa_next_free_vgpr 78
		.amdhsa_next_free_sgpr 34
		.amdhsa_named_barrier_count 0
		.amdhsa_reserve_vcc 1
		.amdhsa_float_round_mode_32 0
		.amdhsa_float_round_mode_16_64 0
		.amdhsa_float_denorm_mode_32 3
		.amdhsa_float_denorm_mode_16_64 3
		.amdhsa_fp16_overflow 0
		.amdhsa_memory_ordered 1
		.amdhsa_forward_progress 1
		.amdhsa_inst_pref_size 165
		.amdhsa_round_robin_scheduling 0
		.amdhsa_exception_fp_ieee_invalid_op 0
		.amdhsa_exception_fp_denorm_src 0
		.amdhsa_exception_fp_ieee_div_zero 0
		.amdhsa_exception_fp_ieee_overflow 0
		.amdhsa_exception_fp_ieee_underflow 0
		.amdhsa_exception_fp_ieee_inexact 0
		.amdhsa_exception_int_div_zero 0
	.end_amdhsa_kernel
	.section	.text._ZN4vllm25paged_attention_v1_kernelIthLi32ELi32ELi128ELNS_18Fp8KVCacheDataTypeE1ELb0EEEvPT_PKS2_PKT0_S8_ifPKiSA_iPKfiiiSC_SC_iiiii,"axG",@progbits,_ZN4vllm25paged_attention_v1_kernelIthLi32ELi32ELi128ELNS_18Fp8KVCacheDataTypeE1ELb0EEEvPT_PKS2_PKT0_S8_ifPKiSA_iPKfiiiSC_SC_iiiii,comdat
.Lfunc_end289:
	.size	_ZN4vllm25paged_attention_v1_kernelIthLi32ELi32ELi128ELNS_18Fp8KVCacheDataTypeE1ELb0EEEvPT_PKS2_PKT0_S8_ifPKiSA_iPKfiiiSC_SC_iiiii, .Lfunc_end289-_ZN4vllm25paged_attention_v1_kernelIthLi32ELi32ELi128ELNS_18Fp8KVCacheDataTypeE1ELb0EEEvPT_PKS2_PKT0_S8_ifPKiSA_iPKfiiiSC_SC_iiiii
                                        ; -- End function
	.set _ZN4vllm25paged_attention_v1_kernelIthLi32ELi32ELi128ELNS_18Fp8KVCacheDataTypeE1ELb0EEEvPT_PKS2_PKT0_S8_ifPKiSA_iPKfiiiSC_SC_iiiii.num_vgpr, 78
	.set _ZN4vllm25paged_attention_v1_kernelIthLi32ELi32ELi128ELNS_18Fp8KVCacheDataTypeE1ELb0EEEvPT_PKS2_PKT0_S8_ifPKiSA_iPKfiiiSC_SC_iiiii.num_agpr, 0
	.set _ZN4vllm25paged_attention_v1_kernelIthLi32ELi32ELi128ELNS_18Fp8KVCacheDataTypeE1ELb0EEEvPT_PKS2_PKT0_S8_ifPKiSA_iPKfiiiSC_SC_iiiii.numbered_sgpr, 34
	.set _ZN4vllm25paged_attention_v1_kernelIthLi32ELi32ELi128ELNS_18Fp8KVCacheDataTypeE1ELb0EEEvPT_PKS2_PKT0_S8_ifPKiSA_iPKfiiiSC_SC_iiiii.num_named_barrier, 0
	.set _ZN4vllm25paged_attention_v1_kernelIthLi32ELi32ELi128ELNS_18Fp8KVCacheDataTypeE1ELb0EEEvPT_PKS2_PKT0_S8_ifPKiSA_iPKfiiiSC_SC_iiiii.private_seg_size, 0
	.set _ZN4vllm25paged_attention_v1_kernelIthLi32ELi32ELi128ELNS_18Fp8KVCacheDataTypeE1ELb0EEEvPT_PKS2_PKT0_S8_ifPKiSA_iPKfiiiSC_SC_iiiii.uses_vcc, 1
	.set _ZN4vllm25paged_attention_v1_kernelIthLi32ELi32ELi128ELNS_18Fp8KVCacheDataTypeE1ELb0EEEvPT_PKS2_PKT0_S8_ifPKiSA_iPKfiiiSC_SC_iiiii.uses_flat_scratch, 0
	.set _ZN4vllm25paged_attention_v1_kernelIthLi32ELi32ELi128ELNS_18Fp8KVCacheDataTypeE1ELb0EEEvPT_PKS2_PKT0_S8_ifPKiSA_iPKfiiiSC_SC_iiiii.has_dyn_sized_stack, 0
	.set _ZN4vllm25paged_attention_v1_kernelIthLi32ELi32ELi128ELNS_18Fp8KVCacheDataTypeE1ELb0EEEvPT_PKS2_PKT0_S8_ifPKiSA_iPKfiiiSC_SC_iiiii.has_recursion, 0
	.set _ZN4vllm25paged_attention_v1_kernelIthLi32ELi32ELi128ELNS_18Fp8KVCacheDataTypeE1ELb0EEEvPT_PKS2_PKT0_S8_ifPKiSA_iPKfiiiSC_SC_iiiii.has_indirect_call, 0
	.section	.AMDGPU.csdata,"",@progbits
; Kernel info:
; codeLenInByte = 21060
; TotalNumSgprs: 36
; NumVgprs: 78
; ScratchSize: 0
; MemoryBound: 0
; FloatMode: 240
; IeeeMode: 1
; LDSByteSize: 96 bytes/workgroup (compile time only)
; SGPRBlocks: 0
; VGPRBlocks: 4
; NumSGPRsForWavesPerEU: 36
; NumVGPRsForWavesPerEU: 78
; NamedBarCnt: 0
; Occupancy: 12
; WaveLimiterHint : 1
; COMPUTE_PGM_RSRC2:SCRATCH_EN: 0
; COMPUTE_PGM_RSRC2:USER_SGPR: 2
; COMPUTE_PGM_RSRC2:TRAP_HANDLER: 0
; COMPUTE_PGM_RSRC2:TGID_X_EN: 1
; COMPUTE_PGM_RSRC2:TGID_Y_EN: 1
; COMPUTE_PGM_RSRC2:TGID_Z_EN: 1
; COMPUTE_PGM_RSRC2:TIDIG_COMP_CNT: 0
	.section	.text._ZN4vllm25paged_attention_v1_kernelIthLi64ELi32ELi128ELNS_18Fp8KVCacheDataTypeE1ELb0EEEvPT_PKS2_PKT0_S8_ifPKiSA_iPKfiiiSC_SC_iiiii,"axG",@progbits,_ZN4vllm25paged_attention_v1_kernelIthLi64ELi32ELi128ELNS_18Fp8KVCacheDataTypeE1ELb0EEEvPT_PKS2_PKT0_S8_ifPKiSA_iPKfiiiSC_SC_iiiii,comdat
	.protected	_ZN4vllm25paged_attention_v1_kernelIthLi64ELi32ELi128ELNS_18Fp8KVCacheDataTypeE1ELb0EEEvPT_PKS2_PKT0_S8_ifPKiSA_iPKfiiiSC_SC_iiiii ; -- Begin function _ZN4vllm25paged_attention_v1_kernelIthLi64ELi32ELi128ELNS_18Fp8KVCacheDataTypeE1ELb0EEEvPT_PKS2_PKT0_S8_ifPKiSA_iPKfiiiSC_SC_iiiii
	.globl	_ZN4vllm25paged_attention_v1_kernelIthLi64ELi32ELi128ELNS_18Fp8KVCacheDataTypeE1ELb0EEEvPT_PKS2_PKT0_S8_ifPKiSA_iPKfiiiSC_SC_iiiii
	.p2align	8
	.type	_ZN4vllm25paged_attention_v1_kernelIthLi64ELi32ELi128ELNS_18Fp8KVCacheDataTypeE1ELb0EEEvPT_PKS2_PKT0_S8_ifPKiSA_iPKfiiiSC_SC_iiiii,@function
_ZN4vllm25paged_attention_v1_kernelIthLi64ELi32ELi128ELNS_18Fp8KVCacheDataTypeE1ELb0EEEvPT_PKS2_PKT0_S8_ifPKiSA_iPKfiiiSC_SC_iiiii: ; @_ZN4vllm25paged_attention_v1_kernelIthLi64ELi32ELi128ELNS_18Fp8KVCacheDataTypeE1ELb0EEEvPT_PKS2_PKT0_S8_ifPKiSA_iPKfiiiSC_SC_iiiii
; %bb.0:
	s_load_b64 s[18:19], s[0:1], 0x20
	s_bfe_u32 s3, ttmp6, 0x4000c
	s_bfe_u32 s5, ttmp6, 0x40010
	s_and_b32 s4, ttmp7, 0xffff
	s_add_co_i32 s3, s3, 1
	s_add_co_i32 s5, s5, 1
	s_and_b32 s2, ttmp6, 15
	s_bfe_u32 s6, ttmp6, 0x40004
	s_mul_i32 s3, ttmp9, s3
	s_mul_i32 s5, s4, s5
	s_getreg_b32 s22, hwreg(HW_REG_IB_STS2, 6, 4)
	s_add_co_i32 s2, s2, s3
	s_add_co_i32 s3, s6, s5
	s_cmp_eq_u32 s22, 0
	s_clause 0x1
	s_load_b32 s23, s[0:1], 0x80
	s_load_b64 s[6:7], s[0:1], 0x30
	s_cselect_b32 s24, s4, s3
	s_cselect_b32 s4, ttmp9, s2
	s_wait_kmcnt 0x0
	s_abs_i32 s2, s18
	s_delay_alu instid0(SALU_CYCLE_1) | instskip(SKIP_1) | instid1(SALU_CYCLE_2)
	s_cvt_f32_u32 s3, s2
	s_sub_co_i32 s5, 0, s2
	v_rcp_iflag_f32_e32 v1, s3
	s_abs_i32 s8, s23
	v_nop
	s_delay_alu instid0(TRANS32_DEP_1) | instskip(SKIP_1) | instid1(SALU_CYCLE_3)
	v_readfirstlane_b32 s3, v1
	s_mul_f32 s3, s3, 0x4f7ffffe
	s_cvt_u32_f32 s3, s3
	s_delay_alu instid0(SALU_CYCLE_3) | instskip(NEXT) | instid1(SALU_CYCLE_1)
	s_mul_i32 s5, s5, s3
	s_mul_hi_u32 s5, s3, s5
	s_delay_alu instid0(SALU_CYCLE_1) | instskip(SKIP_4) | instid1(SALU_CYCLE_1)
	s_add_co_i32 s3, s3, s5
	s_xor_b32 s5, s23, s18
	s_mul_hi_u32 s3, s8, s3
	s_ashr_i32 s5, s5, 31
	s_mul_i32 s9, s3, s2
	s_sub_co_i32 s8, s8, s9
	s_add_co_i32 s9, s3, 1
	s_sub_co_i32 s10, s8, s2
	s_cmp_ge_u32 s8, s2
	s_cselect_b32 s3, s9, s3
	s_cselect_b32 s8, s10, s8
	s_add_co_i32 s9, s3, 1
	s_cmp_ge_u32 s8, s2
	s_cselect_b32 s2, s9, s3
	s_load_b64 s[8:9], s[0:1], 0x40
	s_xor_b32 s2, s2, s5
	s_mov_b32 s3, 0
	s_sub_co_i32 s14, s2, s5
	s_mov_b32 s13, s3
	s_abs_i32 s11, s14
	s_mov_b32 s18, s3
	s_cvt_f32_u32 s2, s11
	s_delay_alu instid0(SALU_CYCLE_3) | instskip(SKIP_1) | instid1(TRANS32_DEP_1)
	v_rcp_iflag_f32_e32 v1, s2
	v_nop
	v_readfirstlane_b32 s2, v1
	s_mul_f32 s2, s2, 0x4f7ffffe
	s_delay_alu instid0(SALU_CYCLE_3) | instskip(SKIP_1) | instid1(SALU_CYCLE_2)
	s_cvt_u32_f32 s5, s2
	s_sub_co_i32 s2, 0, s11
	s_mul_i32 s2, s2, s5
	s_delay_alu instid0(SALU_CYCLE_1)
	s_mul_hi_u32 s10, s5, s2
	s_abs_i32 s2, s4
	s_add_co_i32 s12, s5, s10
	s_wait_kmcnt 0x0
	s_cmp_eq_u64 s[8:9], 0
	s_cbranch_scc1 .LBB290_2
; %bb.1:
	s_ashr_i32 s5, s4, 31
	s_delay_alu instid0(SALU_CYCLE_1) | instskip(NEXT) | instid1(SALU_CYCLE_1)
	s_lshl_b64 s[16:17], s[4:5], 2
	s_add_nc_u64 s[8:9], s[8:9], s[16:17]
	s_load_b32 s18, s[8:9], 0x0
.LBB290_2:
	s_load_b32 s25, s[6:7], s24 offset:0x0 scale_offset
	s_wait_xcnt 0x0
	s_load_b96 s[8:10], s[0:1], 0x48
	s_ashr_i32 s5, s4, 31
	s_ashr_i32 s6, s14, 31
	s_mul_u64 s[16:17], s[2:3], s[12:13]
	s_lshl_b32 s12, s4, 6
	s_mov_b32 s3, exec_lo
	v_cmpx_gt_u32_e32 8, v0
	s_cbranch_execz .LBB290_4
; %bb.3:
	s_load_b64 s[14:15], s[0:1], 0x8
	s_wait_kmcnt 0x0
	s_mul_i32 s20, s8, s24
	s_ashr_i32 s13, s12, 31
	s_ashr_i32 s21, s20, 31
	v_lshlrev_b32_e32 v1, 4, v0
	s_lshl_b64 s[20:21], s[20:21], 1
	s_delay_alu instid0(SALU_CYCLE_1) | instskip(SKIP_1) | instid1(SALU_CYCLE_1)
	s_add_nc_u64 s[14:15], s[14:15], s[20:21]
	s_lshl_b64 s[20:21], s[12:13], 1
	s_add_nc_u64 s[14:15], s[14:15], s[20:21]
	global_load_b128 v[2:5], v0, s[14:15] scale_offset
	s_wait_loadcnt 0x0
	ds_store_b128 v1, v[2:5]
.LBB290_4:
	s_or_b32 exec_lo, exec_lo, s3
	s_wait_kmcnt 0x0
	s_add_co_i32 s3, s25, 31
	s_clause 0x1
	s_load_b64 s[14:15], s[0:1], 0x28
	s_load_b32 s16, s[0:1], 0x38
	s_ashr_i32 s4, s3, 31
	s_xor_b32 s20, s5, s6
	s_lshr_b32 s4, s4, 27
	v_dual_lshrrev_b32 v88, 5, v0 :: v_dual_bitop2_b32 v89, 31, v0 bitop3:0x40
	s_add_co_i32 s3, s3, s4
	s_mul_i32 s4, s17, s11
	s_ashr_i32 s13, s3, 5
	s_sub_co_i32 s2, s2, s4
	s_clause 0x1
	s_load_b32 s8, s[0:1], 0x88
	s_load_b128 s[4:7], s[0:1], 0x58
	s_add_co_i32 s3, s17, 1
	s_sub_co_i32 s21, s2, s11
	s_cmp_ge_u32 s2, s11
	v_dual_mov_b32 v91, 0xff7fffff :: v_dual_lshlrev_b32 v90, 2, v89
	s_cselect_b32 s3, s3, s17
	s_cselect_b32 s2, s21, s2
	s_add_co_i32 s17, s3, 1
	s_cmp_ge_u32 s2, s11
	v_lshrrev_b32_e32 v1, 3, v0
	s_cselect_b32 s2, s17, s3
	s_wait_kmcnt 0x0
	s_mul_i32 s16, s16, s24
	s_xor_b32 s2, s2, s20
	s_ashr_i32 s17, s16, 31
	s_sub_co_i32 s3, s2, s20
	v_cmp_gt_i32_e64 s2, s13, v88
	s_mul_i32 s10, s3, s10
	s_wait_dscnt 0x0
	s_barrier_signal -1
	s_barrier_wait -1
	s_and_saveexec_b32 s26, s2
	s_cbranch_execz .LBB290_520
; %bb.5:
	s_load_b64 s[20:21], s[0:1], 0x10
	v_dual_mov_b32 v7, 0 :: v_dual_lshlrev_b32 v6, 4, v89
	s_ashr_i32 s11, s10, 31
	s_cmp_neq_f32 s18, 0
	v_lshl_or_b32 v2, v88, 7, v90
	v_lshl_or_b32 v92, v88, 5, v89
	v_mov_b32_e32 v91, 0xff7fffff
	s_cselect_b32 vcc_lo, -1, 0
	s_delay_alu instid0(VALU_DEP_3)
	v_dual_mov_b32 v94, v88 :: v_dual_add_nc_u32 v93, 0xa0, v2
	s_mov_b32 s27, s9
	s_sub_co_i32 s28, 1, s25
	s_wait_kmcnt 0x0
	s_add_nc_u64 s[20:21], s[20:21], s[10:11]
	s_mov_b32 s11, 0
	v_add_nc_u64_e32 v[8:9], s[20:21], v[6:7]
	v_and_b32_e32 v6, 0x7c, v1
	s_lshl_b64 s[20:21], s[16:17], 2
	s_delay_alu instid0(SALU_CYCLE_1)
	s_add_nc_u64 s[20:21], s[14:15], s[20:21]
	s_delay_alu instid0(VALU_DEP_1) | instid1(SALU_CYCLE_1)
	v_add_nc_u64_e32 v[10:11], s[20:21], v[6:7]
	s_mov_b64 s[20:21], 0xffffffffffffff
	s_branch .LBB290_10
.LBB290_6:                              ;   in Loop: Header=BB290_10 Depth=1
	s_or_b32 exec_lo, exec_lo, s33
	v_lshlrev_b32_e32 v4, 8, v6
	s_delay_alu instid0(VALU_DEP_2) | instskip(SKIP_1) | instid1(VALU_DEP_2)
	v_lshl_add_u32 v3, v3, 10, 0x2000
	v_lshlrev_b32_e32 v2, 23, v2
	v_and_or_b32 v3, 0x8000, v4, v3
	s_delay_alu instid0(VALU_DEP_1)
	v_lshl_or_b32 v114, v3, 16, v2
.LBB290_7:                              ;   in Loop: Header=BB290_10 Depth=1
	s_or_b32 exec_lo, exec_lo, s31
.LBB290_8:                              ;   in Loop: Header=BB290_10 Depth=1
	s_delay_alu instid0(SALU_CYCLE_1)
	s_or_b32 exec_lo, exec_lo, s30
.LBB290_9:                              ;   in Loop: Header=BB290_10 Depth=1
	s_delay_alu instid0(SALU_CYCLE_1)
	s_or_b32 exec_lo, exec_lo, s29
	ds_load_b128 v[2:5], v7
	v_or_b32_e32 v6, v16, v14
	v_fma_mixlo_f16 v14, v95, v16, 0 op_sel:[0,1,0] op_sel_hi:[0,1,0]
	v_or_b32_e32 v12, v13, v12
	v_or_b32_e32 v16, v19, v17
	v_fma_mixlo_f16 v13, v95, v13, 0 op_sel:[0,1,0] op_sel_hi:[0,1,0]
	v_or_b32_e32 v15, v18, v15
	v_fma_mixlo_f16 v18, v95, v18, 0 op_sel:[0,1,0] op_sel_hi:[0,1,0]
	v_fma_mixlo_f16 v44, v95, v19, 0 op_sel:[0,1,0] op_sel_hi:[0,1,0]
	v_fma_mixlo_f16 v45, v95, v16, 0 op_sel_hi:[0,1,0]
	v_and_b32_e32 v13, 0xffff, v13
	v_cmp_gt_i32_e64 s3, s25, v92
	v_add_nc_u64_e32 v[10:11], 16, v[10:11]
	v_add_nc_u32_e32 v94, 4, v94
	s_wait_dscnt 0x0
	v_and_b32_e32 v16, 0xffff, v2
	v_lshrrev_b32_e32 v2, 16, v2
	v_fma_mixlo_f16 v12, v95, v12, 0 op_sel_hi:[0,1,0]
	v_lshrrev_b32_e32 v17, 16, v3
	v_and_b32_e32 v3, 0xffff, v3
	v_fma_mixlo_f16 v6, v95, v6, 0 op_sel_hi:[0,1,0]
	;;#ASMSTART
	v_cvt_f32_f16 v40, v16;
	;;#ASMEND
	v_and_b32_e32 v12, 0xffff, v12
	;;#ASMSTART
	v_cvt_f32_f16 v41, v2;
	;;#ASMEND
	;;#ASMSTART
	v_cvt_f32_f16 v42, v12;
	;;#ASMEND
	;; [unrolled: 3-line block ×4, first 2 shown]
	v_and_b32_e32 v3, 0xffff, v4
	v_lshrrev_b32_e32 v4, 16, v4
	v_fma_mixlo_f16 v15, v95, v15, 0 op_sel_hi:[0,1,0]
	v_and_b32_e32 v2, 0xffff, v14
	v_and_b32_e32 v6, 0xffff, v6
	;;#ASMSTART
	v_cvt_f32_f16 v20, v17;
	;;#ASMEND
	;;#ASMSTART
	v_cvt_f32_f16 v23, v6;
	;;#ASMEND
	v_and_b32_e32 v12, 0xffff, v15
	;;#ASMSTART
	v_cvt_f32_f16 v22, v2;
	;;#ASMEND
	;;#ASMSTART
	v_cvt_f32_f16 v17, v3;
	;;#ASMEND
	;; [unrolled: 3-line block ×3, first 2 shown]
	v_and_b32_e32 v2, 0xffff, v18
	v_and_b32_e32 v3, 0xffff, v5
	v_lshrrev_b32_e32 v4, 16, v5
	v_and_b32_e32 v5, 0xffff, v45
	;;#ASMSTART
	v_cvt_f32_f16 v19, v12;
	;;#ASMEND
	v_and_b32_e32 v6, 0xffff, v44
	;;#ASMSTART
	v_cvt_f32_f16 v18, v2;
	;;#ASMEND
	;;#ASMSTART
	v_cvt_f32_f16 v13, v3;
	;;#ASMEND
	;; [unrolled: 3-line block ×5, first 2 shown]
	ds_load_b128 v[2:5], v7 offset:16
	v_or_b32_e32 v6, v28, v25
	v_fma_mixlo_f16 v25, v95, v28, 0 op_sel:[0,1,0] op_sel_hi:[0,1,0]
	s_delay_alu instid0(VALU_DEP_1)
	v_and_b32_e32 v25, 0xffff, v25
	s_wait_dscnt 0x0
	v_lshrrev_b32_e32 v54, 16, v4
	v_fma_mixlo_f16 v6, v95, v6, 0 op_sel_hi:[0,1,0]
	v_and_b32_e32 v28, 0xffff, v2
	v_lshrrev_b32_e32 v2, 16, v2
	;;#ASMSTART
	v_cvt_f32_f16 v44, v28;
	;;#ASMEND
	;;#ASMSTART
	v_cvt_f32_f16 v45, v2;
	;;#ASMEND
	v_dual_lshrrev_b32 v55, 16, v5 :: v_dual_bitop2_b32 v2, v26, v24 bitop3:0x54
	v_and_b32_e32 v28, 0xffff, v3
	v_lshrrev_b32_e32 v52, 16, v3
	v_and_b32_e32 v53, 0xffff, v4
	v_or_b32_e32 v3, v29, v27
	v_or_b32_e32 v4, v31, v30
	v_and_b32_e32 v6, 0xffff, v6
	v_and_b32_e32 v57, 0xffff, v5
	v_fma_mixlo_f16 v2, v95, v2, 0 op_sel_hi:[0,1,0]
	v_fma_mixlo_f16 v5, v95, v26, 0 op_sel:[0,1,0] op_sel_hi:[0,1,0]
	;;#ASMSTART
	v_cvt_f32_f16 v46, v6;
	;;#ASMEND
	;;#ASMSTART
	v_cvt_f32_f16 v47, v25;
	;;#ASMEND
	v_fma_mixlo_f16 v24, v95, v3, 0 op_sel_hi:[0,1,0]
	v_fma_mixlo_f16 v25, v95, v4, 0 op_sel_hi:[0,1,0]
	v_fma_mixlo_f16 v26, v95, v31, 0 op_sel:[0,1,0] op_sel_hi:[0,1,0]
	v_fma_mixlo_f16 v6, v95, v29, 0 op_sel:[0,1,0] op_sel_hi:[0,1,0]
	v_and_b32_e32 v4, 0xffff, v2
	v_and_b32_e32 v27, 0xffff, v5
	;;#ASMSTART
	v_cvt_f32_f16 v3, v28;
	;;#ASMEND
	;;#ASMSTART
	v_cvt_f32_f16 v2, v52;
	;;#ASMEND
	;; [unrolled: 3-line block ×3, first 2 shown]
	v_and_b32_e32 v24, 0xffff, v24
	;;#ASMSTART
	v_cvt_f32_f16 v4, v27;
	;;#ASMEND
	v_and_b32_e32 v27, 0xffff, v25
	v_and_b32_e32 v26, 0xffff, v26
	;;#ASMSTART
	v_cvt_f32_f16 v29, v53;
	;;#ASMEND
	v_and_b32_e32 v6, 0xffff, v6
	;;#ASMSTART
	v_cvt_f32_f16 v28, v54;
	;;#ASMEND
	;;#ASMSTART
	v_cvt_f32_f16 v31, v24;
	;;#ASMEND
	;; [unrolled: 3-line block ×7, first 2 shown]
	ds_load_b128 v[52:55], v7 offset:32
	v_or_b32_e32 v6, v34, v32
	v_fma_mixlo_f16 v32, v95, v34, 0 op_sel:[0,1,0] op_sel_hi:[0,1,0]
	v_pk_mul_f32 v[120:121], v[44:45], v[46:47]
	v_pk_mul_f32 v[2:3], v[2:3], v[4:5]
	v_pk_mul_f32 v[28:29], v[28:29], v[30:31]
	v_pk_mul_f32 v[24:25], v[24:25], v[26:27]
	v_and_b32_e32 v32, 0xffff, v32
	v_pk_fma_f32 v[40:41], v[40:41], v[42:43], v[120:121]
	v_fma_mixlo_f16 v42, v95, v72, 0 op_sel:[0,1,0] op_sel_hi:[0,1,0]
	v_pk_fma_f32 v[16:17], v[16:17], v[18:19], v[28:29]
	v_fma_mixlo_f16 v18, v95, v111, 0 op_sel:[0,1,0] op_sel_hi:[0,1,0]
	v_pk_fma_f32 v[12:13], v[12:13], v[14:15], v[24:25]
	s_wait_dscnt 0x0
	v_lshrrev_b32_e32 v57, 16, v54
	v_fma_mixlo_f16 v6, v95, v6, 0 op_sel_hi:[0,1,0]
	v_and_b32_e32 v34, 0xffff, v52
	v_lshrrev_b32_e32 v52, 16, v52
	;;#ASMSTART
	v_cvt_f32_f16 v60, v34;
	;;#ASMEND
	;;#ASMSTART
	v_cvt_f32_f16 v61, v52;
	;;#ASMEND
	v_and_b32_e32 v6, 0xffff, v6
	;;#ASMSTART
	v_cvt_f32_f16 v62, v6;
	;;#ASMEND
	v_dual_lshrrev_b32 v68, 16, v55 :: v_dual_bitop2_b32 v6, v36, v33 bitop3:0x54
	;;#ASMSTART
	v_cvt_f32_f16 v63, v32;
	;;#ASMEND
	v_fma_mixlo_f16 v32, v95, v36, 0 op_sel:[0,1,0] op_sel_hi:[0,1,0]
	v_and_b32_e32 v34, 0xffff, v53
	s_delay_alu instid0(VALU_DEP_3)
	v_fma_mixlo_f16 v6, v95, v6, 0 op_sel_hi:[0,1,0]
	v_lshrrev_b32_e32 v33, 16, v53
	;;#ASMSTART
	v_cvt_f32_f16 v53, v34;
	;;#ASMEND
	v_and_b32_e32 v34, 0xffff, v32
	v_or_b32_e32 v32, v39, v38
	v_and_b32_e32 v36, 0xffff, v6
	v_or_b32_e32 v6, v37, v35
	v_and_b32_e32 v59, 0xffff, v54
	v_and_b32_e32 v69, 0xffff, v55
	;;#ASMSTART
	v_cvt_f32_f16 v52, v33;
	;;#ASMEND
	;;#ASMSTART
	v_cvt_f32_f16 v55, v36;
	;;#ASMEND
	v_fma_mixlo_f16 v6, v95, v6, 0 op_sel_hi:[0,1,0]
	;;#ASMSTART
	v_cvt_f32_f16 v54, v34;
	;;#ASMEND
	v_fma_mixlo_f16 v33, v95, v37, 0 op_sel:[0,1,0] op_sel_hi:[0,1,0]
	;;#ASMSTART
	v_cvt_f32_f16 v37, v59;
	;;#ASMEND
	;;#ASMSTART
	v_cvt_f32_f16 v36, v57;
	;;#ASMEND
	v_and_b32_e32 v34, 0xffff, v6
	v_fma_mixlo_f16 v6, v95, v32, 0 op_sel_hi:[0,1,0]
	v_fma_mixlo_f16 v32, v95, v39, 0 op_sel:[0,1,0] op_sel_hi:[0,1,0]
	v_and_b32_e32 v33, 0xffff, v33
	;;#ASMSTART
	v_cvt_f32_f16 v39, v34;
	;;#ASMEND
	;;#ASMSTART
	v_cvt_f32_f16 v38, v33;
	;;#ASMEND
	v_and_b32_e32 v6, 0xffff, v6
	v_and_b32_e32 v34, 0xffff, v32
	;;#ASMSTART
	v_cvt_f32_f16 v33, v69;
	;;#ASMEND
	;;#ASMSTART
	v_cvt_f32_f16 v32, v68;
	;;#ASMEND
	;; [unrolled: 3-line block ×4, first 2 shown]
	ds_load_b128 v[74:77], v7 offset:48
	v_or_b32_e32 v6, v50, v48
	v_fma_mixlo_f16 v48, v95, v50, 0 op_sel:[0,1,0] op_sel_hi:[0,1,0]
	v_pk_fma_f32 v[16:17], v[36:37], v[38:39], v[16:17]
	v_pk_fma_f32 v[12:13], v[32:33], v[34:35], v[12:13]
	s_delay_alu instid0(VALU_DEP_3)
	v_and_b32_e32 v44, 0xffff, v48
	s_wait_dscnt 0x0
	v_lshrrev_b32_e32 v73, 16, v77
	v_fma_mixlo_f16 v6, v95, v6, 0 op_sel_hi:[0,1,0]
	v_and_b32_e32 v50, 0xffff, v74
	v_lshrrev_b32_e32 v57, 16, v74
	;;#ASMSTART
	v_cvt_f32_f16 v68, v50;
	;;#ASMEND
	;;#ASMSTART
	v_cvt_f32_f16 v69, v57;
	;;#ASMEND
	v_and_b32_e32 v6, 0xffff, v6
	;;#ASMSTART
	v_cvt_f32_f16 v70, v6;
	;;#ASMEND
	v_dual_lshrrev_b32 v47, 16, v76 :: v_dual_bitop2_b32 v6, v56, v49 bitop3:0x54
	;;#ASMSTART
	v_cvt_f32_f16 v71, v44;
	;;#ASMEND
	v_fma_mixlo_f16 v44, v95, v56, 0 op_sel:[0,1,0] op_sel_hi:[0,1,0]
	v_and_b32_e32 v46, 0xffff, v75
	s_delay_alu instid0(VALU_DEP_3)
	v_fma_mixlo_f16 v6, v95, v6, 0 op_sel_hi:[0,1,0]
	v_lshrrev_b32_e32 v45, 16, v75
	;;#ASMSTART
	v_cvt_f32_f16 v57, v46;
	;;#ASMEND
	v_and_b32_e32 v46, 0xffff, v44
	v_or_b32_e32 v44, v66, v58
	v_and_b32_e32 v49, 0xffff, v6
	v_or_b32_e32 v6, v64, v51
	;;#ASMSTART
	v_cvt_f32_f16 v56, v45;
	;;#ASMEND
	;;#ASMSTART
	v_cvt_f32_f16 v59, v49;
	;;#ASMEND
	;; [unrolled: 3-line block ×3, first 2 shown]
	v_fma_mixlo_f16 v45, v95, v64, 0 op_sel:[0,1,0] op_sel_hi:[0,1,0]
	v_fma_mixlo_f16 v6, v95, v6, 0 op_sel_hi:[0,1,0]
	v_and_b32_e32 v48, 0xffff, v76
	;;#ASMSTART
	v_cvt_f32_f16 v49, v48;
	;;#ASMEND
	;;#ASMSTART
	v_cvt_f32_f16 v48, v47;
	;;#ASMEND
	v_and_b32_e32 v45, 0xffff, v45
	v_and_b32_e32 v46, 0xffff, v6
	v_fma_mixlo_f16 v6, v95, v44, 0 op_sel_hi:[0,1,0]
	v_fma_mixlo_f16 v44, v95, v66, 0 op_sel:[0,1,0] op_sel_hi:[0,1,0]
	;;#ASMSTART
	v_cvt_f32_f16 v51, v46;
	;;#ASMEND
	v_and_b32_e32 v74, 0xffff, v77
	;;#ASMSTART
	v_cvt_f32_f16 v50, v45;
	;;#ASMEND
	v_and_b32_e32 v6, 0xffff, v6
	v_and_b32_e32 v46, 0xffff, v44
	;;#ASMSTART
	v_cvt_f32_f16 v45, v74;
	;;#ASMEND
	;;#ASMSTART
	v_cvt_f32_f16 v44, v73;
	;;#ASMEND
	;; [unrolled: 3-line block ×4, first 2 shown]
	ds_load_b128 v[116:119], v7 offset:64
	v_or_b32_e32 v6, v72, v65
	v_pk_fma_f32 v[76:77], v[60:61], v[62:63], v[40:41]
	v_and_b32_e32 v40, 0xffff, v42
	v_pk_fma_f32 v[16:17], v[48:49], v[50:51], v[16:17]
	v_pk_fma_f32 v[12:13], v[44:45], v[46:47], v[12:13]
	s_delay_alu instid0(VALU_DEP_4)
	v_pk_fma_f32 v[68:69], v[68:69], v[70:71], v[76:77]
	v_fma_mixlo_f16 v70, v95, v85, 0 op_sel:[0,1,0] op_sel_hi:[0,1,0]
	s_wait_dscnt 0x0
	v_and_b32_e32 v43, 0xffff, v116
	;;#ASMSTART
	v_cvt_f32_f16 v72, v43;
	;;#ASMEND
	v_lshrrev_b32_e32 v43, 16, v118
	v_fma_mixlo_f16 v6, v95, v6, 0 op_sel_hi:[0,1,0]
	v_lshrrev_b32_e32 v64, 16, v116
	;;#ASMSTART
	v_cvt_f32_f16 v73, v64;
	;;#ASMEND
	v_lshrrev_b32_e32 v115, 16, v119
	v_and_b32_e32 v42, 0xffff, v117
	v_and_b32_e32 v6, 0xffff, v6
	;;#ASMSTART
	v_cvt_f32_f16 v74, v6;
	;;#ASMEND
	v_or_b32_e32 v6, v79, v67
	;;#ASMSTART
	v_cvt_f32_f16 v75, v40;
	;;#ASMEND
	v_fma_mixlo_f16 v40, v95, v79, 0 op_sel:[0,1,0] op_sel_hi:[0,1,0]
	v_lshrrev_b32_e32 v41, 16, v117
	;;#ASMSTART
	v_cvt_f32_f16 v65, v42;
	;;#ASMEND
	v_fma_mixlo_f16 v6, v95, v6, 0 op_sel_hi:[0,1,0]
	;;#ASMSTART
	v_cvt_f32_f16 v64, v41;
	;;#ASMEND
	v_and_b32_e32 v42, 0xffff, v40
	v_or_b32_e32 v40, v83, v81
	v_fma_mixlo_f16 v41, v95, v80, 0 op_sel:[0,1,0] op_sel_hi:[0,1,0]
	v_and_b32_e32 v61, 0xffff, v6
	v_or_b32_e32 v6, v80, v78
	;;#ASMSTART
	v_cvt_f32_f16 v67, v61;
	;;#ASMEND
	;;#ASMSTART
	v_cvt_f32_f16 v66, v42;
	;;#ASMEND
	v_and_b32_e32 v60, 0xffff, v118
	v_and_b32_e32 v79, 0xffff, v119
	v_fma_mixlo_f16 v6, v95, v6, 0 op_sel_hi:[0,1,0]
	;;#ASMSTART
	v_cvt_f32_f16 v61, v60;
	;;#ASMEND
	v_and_b32_e32 v41, 0xffff, v41
	;;#ASMSTART
	v_cvt_f32_f16 v60, v43;
	;;#ASMEND
	v_pk_fma_f32 v[116:117], v[72:73], v[74:75], v[68:69]
	v_and_b32_e32 v42, 0xffff, v6
	v_fma_mixlo_f16 v6, v95, v40, 0 op_sel_hi:[0,1,0]
	v_fma_mixlo_f16 v40, v95, v83, 0 op_sel:[0,1,0] op_sel_hi:[0,1,0]
	;;#ASMSTART
	v_cvt_f32_f16 v63, v42;
	;;#ASMEND
	;;#ASMSTART
	v_cvt_f32_f16 v62, v41;
	;;#ASMEND
	;; [unrolled: 3-line block ×3, first 2 shown]
	v_and_b32_e32 v6, 0xffff, v6
	v_and_b32_e32 v42, 0xffff, v40
	;;#ASMSTART
	v_cvt_f32_f16 v40, v115;
	;;#ASMEND
	;;#ASMSTART
	v_cvt_f32_f16 v43, v6;
	;;#ASMEND
	;; [unrolled: 3-line block ×3, first 2 shown]
	ds_load_b128 v[78:81], v7 offset:80
	v_or_b32_e32 v6, v85, v82
	v_and_b32_e32 v68, 0xffff, v70
	v_pk_fma_f32 v[14:15], v[60:61], v[62:63], v[16:17]
	v_pk_fma_f32 v[12:13], v[40:41], v[42:43], v[12:13]
	s_wait_dscnt 0x0
	v_and_b32_e32 v71, 0xffff, v78
	;;#ASMSTART
	v_cvt_f32_f16 v118, v71;
	;;#ASMEND
	v_lshrrev_b32_e32 v71, 16, v80
	v_fma_mixlo_f16 v6, v95, v6, 0 op_sel_hi:[0,1,0]
	v_lshrrev_b32_e32 v76, 16, v78
	;;#ASMSTART
	v_cvt_f32_f16 v119, v76;
	;;#ASMEND
	v_and_b32_e32 v72, 0xffff, v80
	v_lshrrev_b32_e32 v80, 16, v81
	v_and_b32_e32 v6, 0xffff, v6
	;;#ASMSTART
	v_cvt_f32_f16 v120, v6;
	;;#ASMEND
	v_or_b32_e32 v6, v87, v84
	;;#ASMSTART
	v_cvt_f32_f16 v121, v68;
	;;#ASMEND
	v_fma_mixlo_f16 v68, v95, v87, 0 op_sel:[0,1,0] op_sel_hi:[0,1,0]
	v_and_b32_e32 v70, 0xffff, v79
	v_lshrrev_b32_e32 v69, 16, v79
	v_fma_mixlo_f16 v6, v95, v6, 0 op_sel_hi:[0,1,0]
	;;#ASMSTART
	v_cvt_f32_f16 v77, v70;
	;;#ASMEND
	v_and_b32_e32 v70, 0xffff, v68
	v_or_b32_e32 v68, v99, v97
	;;#ASMSTART
	v_cvt_f32_f16 v76, v69;
	;;#ASMEND
	v_and_b32_e32 v73, 0xffff, v6
	v_or_b32_e32 v6, v96, v86
	;;#ASMSTART
	v_cvt_f32_f16 v79, v73;
	;;#ASMEND
	;;#ASMSTART
	v_cvt_f32_f16 v78, v70;
	;;#ASMEND
	v_fma_mixlo_f16 v69, v95, v96, 0 op_sel:[0,1,0] op_sel_hi:[0,1,0]
	v_and_b32_e32 v81, 0xffff, v81
	v_fma_mixlo_f16 v6, v95, v6, 0 op_sel_hi:[0,1,0]
	;;#ASMSTART
	v_cvt_f32_f16 v73, v72;
	;;#ASMEND
	;;#ASMSTART
	v_cvt_f32_f16 v72, v71;
	;;#ASMEND
	v_and_b32_e32 v69, 0xffff, v69
	v_pk_fma_f32 v[96:97], v[20:21], v[22:23], v[2:3]
	v_and_b32_e32 v70, 0xffff, v6
	v_fma_mixlo_f16 v6, v95, v68, 0 op_sel_hi:[0,1,0]
	v_fma_mixlo_f16 v68, v95, v99, 0 op_sel:[0,1,0] op_sel_hi:[0,1,0]
	;;#ASMSTART
	v_cvt_f32_f16 v75, v70;
	;;#ASMEND
	;;#ASMSTART
	v_cvt_f32_f16 v74, v69;
	;;#ASMEND
	;;#ASMSTART
	v_cvt_f32_f16 v69, v81;
	;;#ASMEND
	v_and_b32_e32 v6, 0xffff, v6
	v_and_b32_e32 v70, 0xffff, v68
	;;#ASMSTART
	v_cvt_f32_f16 v68, v80;
	;;#ASMEND
	;;#ASMSTART
	v_cvt_f32_f16 v71, v6;
	;;#ASMEND
	;; [unrolled: 3-line block ×3, first 2 shown]
	ds_load_b128 v[80:83], v7 offset:96
	v_or_b32_e32 v6, v101, v98
	v_fma_mixlo_f16 v2, v95, v101, 0 op_sel:[0,1,0] op_sel_hi:[0,1,0]
	v_pk_fma_f32 v[98:99], v[118:119], v[120:121], v[116:117]
	v_pk_fma_f32 v[52:53], v[52:53], v[54:55], v[96:97]
	v_fma_mixlo_f16 v96, v95, v109, 0 op_sel:[0,1,0] op_sel_hi:[0,1,0]
	v_fma_mixlo_f16 v4, v95, v6, 0 op_sel_hi:[0,1,0]
	v_and_b32_e32 v6, 0xffff, v2
	v_or_b32_e32 v2, v103, v100
	v_pk_fma_f32 v[52:53], v[56:57], v[58:59], v[52:53]
	v_and_b32_e32 v96, 0xffff, v96
	v_and_b32_e32 v4, 0xffff, v4
	v_pk_fma_f32 v[14:15], v[72:73], v[74:75], v[14:15]
	s_delay_alu instid0(VALU_DEP_4)
	v_pk_fma_f32 v[52:53], v[64:65], v[66:67], v[52:53]
	s_wait_dscnt 0x0
	v_and_b32_e32 v3, 0xffff, v80
	v_lshrrev_b32_e32 v22, 16, v83
	v_fma_mixlo_f16 v2, v95, v2, 0 op_sel_hi:[0,1,0]
	;;#ASMSTART
	v_cvt_f32_f16 v116, v3;
	;;#ASMEND
	v_lshrrev_b32_e32 v5, 16, v80
	v_fma_mixlo_f16 v3, v95, v103, 0 op_sel:[0,1,0] op_sel_hi:[0,1,0]
	;;#ASMSTART
	v_cvt_f32_f16 v117, v5;
	;;#ASMEND
	v_and_b32_e32 v23, 0xffff, v2
	v_or_b32_e32 v2, v104, v102
	v_and_b32_e32 v5, 0xffff, v81
	;;#ASMSTART
	v_cvt_f32_f16 v118, v4;
	;;#ASMEND
	;;#ASMSTART
	v_cvt_f32_f16 v119, v6;
	;;#ASMEND
	v_lshrrev_b32_e32 v4, 16, v81
	;;#ASMSTART
	v_cvt_f32_f16 v85, v5;
	;;#ASMEND
	v_and_b32_e32 v5, 0xffff, v3
	v_fma_mixlo_f16 v2, v95, v2, 0 op_sel_hi:[0,1,0]
	v_or_b32_e32 v3, v107, v105
	;;#ASMSTART
	v_cvt_f32_f16 v84, v4;
	;;#ASMEND
	;;#ASMSTART
	v_cvt_f32_f16 v87, v23;
	;;#ASMEND
	;; [unrolled: 3-line block ×3, first 2 shown]
	v_fma_mixlo_f16 v4, v95, v104, 0 op_sel:[0,1,0] op_sel_hi:[0,1,0]
	v_and_b32_e32 v5, 0xffff, v2
	v_fma_mixlo_f16 v2, v95, v3, 0 op_sel_hi:[0,1,0]
	v_fma_mixlo_f16 v3, v95, v107, 0 op_sel:[0,1,0] op_sel_hi:[0,1,0]
	v_and_b32_e32 v20, 0xffff, v82
	v_and_b32_e32 v21, 0xffff, v83
	;; [unrolled: 1-line block ×5, first 2 shown]
	v_lshrrev_b32_e32 v6, 16, v82
	;;#ASMSTART
	v_cvt_f32_f16 v81, v20;
	;;#ASMEND
	;;#ASMSTART
	v_cvt_f32_f16 v80, v6;
	;;#ASMEND
	;; [unrolled: 3-line block ×8, first 2 shown]
	ds_load_b128 v[2:5], v7 offset:112
	v_or_b32_e32 v6, v109, v106
	v_pk_fma_f32 v[54:55], v[116:117], v[118:119], v[98:99]
	v_pk_fma_f32 v[14:15], v[80:81], v[82:83], v[14:15]
	s_wait_dscnt 0x0
	v_and_b32_e32 v97, 0xffff, v2
	v_lshrrev_b32_e32 v2, 16, v2
	;;#ASMSTART
	v_cvt_f32_f16 v56, v97;
	;;#ASMEND
	;;#ASMSTART
	v_cvt_f32_f16 v57, v2;
	;;#ASMEND
	v_add_nc_u32_e32 v2, s28, v92
	v_fma_mixlo_f16 v6, v95, v6, 0 op_sel_hi:[0,1,0]
	v_and_b32_e32 v28, 0xffff, v3
	v_add_nc_u32_e32 v92, 0x80, v92
	s_delay_alu instid0(VALU_DEP_3)
	v_and_b32_e32 v6, 0xffff, v6
	;;#ASMSTART
	v_cvt_f32_f16 v58, v6;
	;;#ASMEND
	;;#ASMSTART
	v_cvt_f32_f16 v59, v96;
	;;#ASMEND
	v_pk_fma_f32 v[30:31], v[56:57], v[58:59], v[54:55]
	v_or_b32_e32 v6, v111, v108
	v_cvt_f32_i32_e32 v54, v2
	v_or_b32_e32 v2, v113, v110
	v_fma_mixlo_f16 v55, v95, v113, 0 op_sel:[0,1,0] op_sel_hi:[0,1,0]
	v_fma_mixlo_f16 v58, v95, v114, 0 op_sel:[0,1,0] op_sel_hi:[0,1,0]
	s_delay_alu instid0(VALU_DEP_3)
	v_fma_mixlo_f16 v56, v95, v2, 0 op_sel_hi:[0,1,0]
	v_lshrrev_b32_e32 v2, 16, v3
	v_fma_mixlo_f16 v6, v95, v6, 0 op_sel_hi:[0,1,0]
	;;#ASMSTART
	v_cvt_f32_f16 v3, v28;
	;;#ASMEND
	;;#ASMSTART
	v_cvt_f32_f16 v2, v2;
	;;#ASMEND
	v_and_b32_e32 v28, 0xffff, v18
	s_delay_alu instid0(VALU_DEP_2)
	v_and_b32_e32 v6, 0xffff, v6
	;;#ASMSTART
	v_cvt_f32_f16 v29, v6;
	;;#ASMEND
	v_and_b32_e32 v6, 0xffff, v4
	v_lshrrev_b32_e32 v4, 16, v4
	;;#ASMSTART
	v_cvt_f32_f16 v28, v28;
	;;#ASMEND
	;;#ASMSTART
	v_cvt_f32_f16 v17, v6;
	;;#ASMEND
	;;#ASMSTART
	v_cvt_f32_f16 v16, v4;
	;;#ASMEND
	v_add_f32_e32 v4, v30, v31
	v_or_b32_e32 v19, v114, v112
	v_and_b32_e32 v6, 0xffff, v56
	s_delay_alu instid0(VALU_DEP_2) | instskip(SKIP_1) | instid1(VALU_DEP_1)
	v_fma_mixlo_f16 v57, v95, v19, 0 op_sel_hi:[0,1,0]
	v_pk_fma_f32 v[18:19], v[76:77], v[78:79], v[52:53]
	v_pk_fma_f32 v[18:19], v[84:85], v[86:87], v[18:19]
	s_delay_alu instid0(VALU_DEP_1)
	v_pk_fma_f32 v[2:3], v[2:3], v[28:29], v[18:19]
	v_and_b32_e32 v18, 0xffff, v55
	;;#ASMSTART
	v_cvt_f32_f16 v19, v6;
	;;#ASMEND
	;;#ASMSTART
	v_cvt_f32_f16 v18, v18;
	;;#ASMEND
	v_and_b32_e32 v6, 0xffff, v5
	v_add_f32_e32 v3, v4, v3
	v_pk_fma_f32 v[14:15], v[16:17], v[18:19], v[14:15]
	v_lshrrev_b32_e32 v16, 16, v5
	v_pk_fma_f32 v[4:5], v[68:69], v[70:71], v[12:13]
	v_and_b32_e32 v12, 0xffff, v57
	v_add_f32_e32 v2, v2, v3
	;;#ASMSTART
	v_cvt_f32_f16 v3, v6;
	;;#ASMEND
	v_and_b32_e32 v17, 0xffff, v58
	v_pk_fma_f32 v[4:5], v[20:21], v[22:23], v[4:5]
	s_delay_alu instid0(VALU_DEP_3)
	v_add_f32_e32 v6, v2, v15
	;;#ASMSTART
	v_cvt_f32_f16 v2, v16;
	;;#ASMEND
	;;#ASMSTART
	v_cvt_f32_f16 v13, v12;
	;;#ASMEND
	;; [unrolled: 3-line block ×3, first 2 shown]
	v_pk_fma_f32 v[2:3], v[2:3], v[12:13], v[4:5]
	v_mul_f32_e32 v5, s18, v54
	v_add_f32_e32 v4, v14, v6
	s_delay_alu instid0(VALU_DEP_1) | instskip(NEXT) | instid1(VALU_DEP_1)
	v_dual_add_f32 v3, v4, v3 :: v_dual_cndmask_b32 v4, 0, v5
	v_add_f32_e32 v2, v2, v3
	s_delay_alu instid0(VALU_DEP_1) | instskip(NEXT) | instid1(VALU_DEP_1)
	v_dual_fmac_f32 v4, s19, v2 :: v_dual_max_num_f32 v2, v91, v91
	v_max_num_f32_e32 v2, v2, v4
	s_delay_alu instid0(VALU_DEP_1) | instskip(SKIP_4) | instid1(SALU_CYCLE_1)
	v_dual_cndmask_b32 v91, v91, v2, s3 :: v_dual_cndmask_b32 v3, 0, v4, s3
	v_cmp_le_i32_e64 s3, s13, v94
	ds_store_b32 v93, v3
	v_add_nc_u32_e32 v93, 0x200, v93
	s_or_b32 s11, s3, s11
	s_and_not1_b32 exec_lo, exec_lo, s11
	s_cbranch_execz .LBB290_519
.LBB290_10:                             ; =>This Inner Loop Header: Depth=1
	global_load_b32 v2, v[10:11], off
	v_mov_b32_e32 v12, 0
	s_mov_b32 s29, exec_lo
	s_wait_loadcnt 0x0
	v_mad_nc_i64_i32 v[2:3], v2, s27, v[8:9]
	global_load_b64 v[4:5], v[2:3], off
	global_load_b32 v95, v7, s[4:5]
	s_wait_loadcnt 0x1
	v_and_b32_e32 v6, 0xff, v4
	s_wait_xcnt 0x0
	s_delay_alu instid0(VALU_DEP_1)
	v_cmpx_ne_u16_e32 0, v6
	s_cbranch_execz .LBB290_18
; %bb.11:                               ;   in Loop: Header=BB290_10 Depth=1
	v_mov_b32_e32 v12, 0x8000
	s_mov_b32 s30, exec_lo
	v_cmpx_ne_u16_e32 0x80, v6
	s_cbranch_execz .LBB290_17
; %bb.12:                               ;   in Loop: Header=BB290_10 Depth=1
	v_and_b32_e32 v13, 0x7f, v4
	v_mov_b32_e32 v12, 0x7c01
	s_mov_b32 s31, exec_lo
	s_delay_alu instid0(VALU_DEP_2)
	v_cmpx_ne_u32_e32 0x7f, v13
	s_cbranch_execz .LBB290_16
; %bb.13:                               ;   in Loop: Header=BB290_10 Depth=1
	v_dual_lshrrev_b32 v12, 3, v13 :: v_dual_bitop2_b32 v6, 7, v4 bitop3:0x40
	s_mov_b32 s33, exec_lo
	v_cmpx_gt_u32_e32 8, v13
; %bb.14:                               ;   in Loop: Header=BB290_10 Depth=1
	s_delay_alu instid0(VALU_DEP_2) | instskip(NEXT) | instid1(VALU_DEP_1)
	v_clz_i32_u32_e32 v6, v6
	v_min_u32_e32 v6, 32, v6
	s_delay_alu instid0(VALU_DEP_1) | instskip(NEXT) | instid1(VALU_DEP_1)
	v_subrev_nc_u32_e32 v12, 28, v6
	v_lshlrev_b64_e32 v[14:15], v12, v[4:5]
	v_sub_nc_u32_e32 v12, 29, v6
	s_delay_alu instid0(VALU_DEP_2)
	v_and_b32_e32 v6, 7, v14
; %bb.15:                               ;   in Loop: Header=BB290_10 Depth=1
	s_or_b32 exec_lo, exec_lo, s33
	s_delay_alu instid0(VALU_DEP_1) | instskip(NEXT) | instid1(VALU_DEP_3)
	v_dual_lshlrev_b32 v13, 8, v4 :: v_dual_lshlrev_b32 v6, 7, v6
	v_lshl_add_u32 v12, v12, 10, 0x2000
	s_delay_alu instid0(VALU_DEP_2) | instskip(NEXT) | instid1(VALU_DEP_2)
	v_and_b32_e32 v13, 0x8000, v13
	v_and_b32_e32 v12, 0xfc00, v12
	s_delay_alu instid0(VALU_DEP_1)
	v_or3_b32 v12, v13, v12, v6
.LBB290_16:                             ;   in Loop: Header=BB290_10 Depth=1
	s_or_b32 exec_lo, exec_lo, s31
.LBB290_17:                             ;   in Loop: Header=BB290_10 Depth=1
	s_delay_alu instid0(SALU_CYCLE_1)
	s_or_b32 exec_lo, exec_lo, s30
.LBB290_18:                             ;   in Loop: Header=BB290_10 Depth=1
	s_delay_alu instid0(SALU_CYCLE_1) | instskip(SKIP_3) | instid1(VALU_DEP_2)
	s_or_b32 exec_lo, exec_lo, s29
	v_lshrrev_b16 v6, 8, v4
	v_dual_mov_b32 v14, 0 :: v_dual_mov_b32 v13, 0
	s_mov_b32 s29, exec_lo
	v_cmpx_ne_u16_e32 0, v6
	s_cbranch_execz .LBB290_26
; %bb.19:                               ;   in Loop: Header=BB290_10 Depth=1
	v_bfrev_b32_e32 v13, 1
	s_mov_b32 s30, exec_lo
	v_cmpx_ne_u16_e32 0x80, v6
	s_cbranch_execz .LBB290_25
; %bb.20:                               ;   in Loop: Header=BB290_10 Depth=1
	v_and_b32_e32 v15, 0xffff, v6
	v_mov_b32_e32 v13, 0x7c010000
	s_mov_b32 s31, exec_lo
	s_delay_alu instid0(VALU_DEP_2) | instskip(NEXT) | instid1(VALU_DEP_1)
	v_and_b32_e32 v17, 0x7f, v15
	v_cmpx_ne_u32_e32 0x7f, v17
	s_cbranch_execz .LBB290_24
; %bb.21:                               ;   in Loop: Header=BB290_10 Depth=1
	v_dual_lshrrev_b32 v16, 3, v17 :: v_dual_bitop2_b32 v13, 7, v15 bitop3:0x40
	s_mov_b32 s33, exec_lo
	v_cmpx_gt_u32_e32 8, v17
; %bb.22:                               ;   in Loop: Header=BB290_10 Depth=1
	s_delay_alu instid0(VALU_DEP_2) | instskip(NEXT) | instid1(VALU_DEP_1)
	v_clz_i32_u32_e32 v13, v13
	v_min_u32_e32 v13, 32, v13
	s_delay_alu instid0(VALU_DEP_1) | instskip(NEXT) | instid1(VALU_DEP_1)
	v_subrev_nc_u32_e32 v16, 28, v13
	v_lshlrev_b64_e32 v[18:19], v16, v[6:7]
	s_delay_alu instid0(VALU_DEP_1)
	v_dual_sub_nc_u32 v16, 29, v13 :: v_dual_bitop2_b32 v13, 7, v18 bitop3:0x40
; %bb.23:                               ;   in Loop: Header=BB290_10 Depth=1
	s_or_b32 exec_lo, exec_lo, s33
	s_delay_alu instid0(VALU_DEP_1) | instskip(NEXT) | instid1(VALU_DEP_2)
	v_dual_lshlrev_b32 v6, 8, v15 :: v_dual_lshlrev_b32 v13, 23, v13
	v_lshl_add_u32 v15, v16, 10, 0x2000
	s_delay_alu instid0(VALU_DEP_1) | instskip(NEXT) | instid1(VALU_DEP_1)
	v_and_or_b32 v6, 0x8000, v6, v15
	v_lshl_or_b32 v13, v6, 16, v13
.LBB290_24:                             ;   in Loop: Header=BB290_10 Depth=1
	s_or_b32 exec_lo, exec_lo, s31
.LBB290_25:                             ;   in Loop: Header=BB290_10 Depth=1
	s_delay_alu instid0(SALU_CYCLE_1)
	s_or_b32 exec_lo, exec_lo, s30
.LBB290_26:                             ;   in Loop: Header=BB290_10 Depth=1
	s_delay_alu instid0(SALU_CYCLE_1) | instskip(SKIP_2) | instid1(VALU_DEP_1)
	s_or_b32 exec_lo, exec_lo, s29
	v_lshrrev_b32_e32 v6, 16, v4
	s_mov_b32 s29, exec_lo
	v_and_b32_e32 v15, 0xff, v6
	s_delay_alu instid0(VALU_DEP_1)
	v_cmpx_ne_u16_e32 0, v15
	s_cbranch_execz .LBB290_34
; %bb.27:                               ;   in Loop: Header=BB290_10 Depth=1
	v_mov_b32_e32 v14, 0x8000
	s_mov_b32 s30, exec_lo
	v_cmpx_ne_u16_e32 0x80, v15
	s_cbranch_execz .LBB290_33
; %bb.28:                               ;   in Loop: Header=BB290_10 Depth=1
	v_bfe_u32 v16, v4, 16, 7
	v_mov_b32_e32 v14, 0x7c01
	s_mov_b32 s31, exec_lo
	s_delay_alu instid0(VALU_DEP_2)
	v_cmpx_ne_u32_e32 0x7f, v16
	s_cbranch_execz .LBB290_32
; %bb.29:                               ;   in Loop: Header=BB290_10 Depth=1
	v_dual_lshrrev_b32 v15, 3, v16 :: v_dual_bitop2_b32 v14, 7, v6 bitop3:0x40
	s_mov_b32 s33, exec_lo
	v_cmpx_gt_u32_e32 8, v16
; %bb.30:                               ;   in Loop: Header=BB290_10 Depth=1
	s_delay_alu instid0(VALU_DEP_2) | instskip(NEXT) | instid1(VALU_DEP_1)
	v_clz_i32_u32_e32 v14, v14
	v_min_u32_e32 v16, 32, v14
	s_delay_alu instid0(VALU_DEP_1) | instskip(NEXT) | instid1(VALU_DEP_1)
	v_subrev_nc_u32_e32 v14, 28, v16
	v_lshlrev_b64_e32 v[14:15], v14, v[6:7]
	s_delay_alu instid0(VALU_DEP_1)
	v_dual_sub_nc_u32 v15, 29, v16 :: v_dual_bitop2_b32 v14, 7, v14 bitop3:0x40
; %bb.31:                               ;   in Loop: Header=BB290_10 Depth=1
	s_or_b32 exec_lo, exec_lo, s33
	v_lshlrev_b32_e32 v6, 8, v6
	s_delay_alu instid0(VALU_DEP_2) | instskip(NEXT) | instid1(VALU_DEP_3)
	v_lshl_add_u32 v15, v15, 10, 0x2000
	v_lshlrev_b32_e32 v14, 7, v14
	s_delay_alu instid0(VALU_DEP_3) | instskip(NEXT) | instid1(VALU_DEP_3)
	v_and_b32_e32 v6, 0x8000, v6
	v_and_b32_e32 v15, 0xfc00, v15
	s_delay_alu instid0(VALU_DEP_1)
	v_or3_b32 v14, v6, v15, v14
.LBB290_32:                             ;   in Loop: Header=BB290_10 Depth=1
	s_or_b32 exec_lo, exec_lo, s31
.LBB290_33:                             ;   in Loop: Header=BB290_10 Depth=1
	s_delay_alu instid0(SALU_CYCLE_1)
	s_or_b32 exec_lo, exec_lo, s30
.LBB290_34:                             ;   in Loop: Header=BB290_10 Depth=1
	s_delay_alu instid0(SALU_CYCLE_1)
	s_or_b32 exec_lo, exec_lo, s29
	v_dual_mov_b32 v15, 0 :: v_dual_mov_b32 v16, 0
	s_mov_b32 s29, exec_lo
	v_cmpx_lt_u32_e32 0xffffff, v4
	s_cbranch_execz .LBB290_42
; %bb.35:                               ;   in Loop: Header=BB290_10 Depth=1
	v_lshrrev_b32_e32 v6, 24, v4
	v_bfrev_b32_e32 v16, 1
	s_mov_b32 s30, exec_lo
	s_delay_alu instid0(VALU_DEP_2)
	v_cmpx_ne_u32_e32 0x80, v6
	s_cbranch_execz .LBB290_41
; %bb.36:                               ;   in Loop: Header=BB290_10 Depth=1
	v_and_b32_e32 v18, 0x7f, v6
	v_mov_b32_e32 v16, 0x7c010000
	s_mov_b32 s31, exec_lo
	s_delay_alu instid0(VALU_DEP_2)
	v_cmpx_ne_u32_e32 0x7f, v18
	s_cbranch_execz .LBB290_40
; %bb.37:                               ;   in Loop: Header=BB290_10 Depth=1
	v_and_b32_e32 v16, 7, v6
	v_lshrrev_b32_e32 v17, 3, v18
	s_mov_b32 s33, exec_lo
	v_cmpx_gt_u32_e32 8, v18
; %bb.38:                               ;   in Loop: Header=BB290_10 Depth=1
	s_delay_alu instid0(VALU_DEP_3) | instskip(NEXT) | instid1(VALU_DEP_1)
	v_clz_i32_u32_e32 v16, v16
	v_min_u32_e32 v18, 32, v16
	s_delay_alu instid0(VALU_DEP_1) | instskip(NEXT) | instid1(VALU_DEP_1)
	v_subrev_nc_u32_e32 v16, 28, v18
	v_lshlrev_b64_e32 v[16:17], v16, v[6:7]
	s_delay_alu instid0(VALU_DEP_1)
	v_dual_sub_nc_u32 v17, 29, v18 :: v_dual_bitop2_b32 v16, 7, v16 bitop3:0x40
; %bb.39:                               ;   in Loop: Header=BB290_10 Depth=1
	s_or_b32 exec_lo, exec_lo, s33
	s_delay_alu instid0(VALU_DEP_1) | instskip(NEXT) | instid1(VALU_DEP_2)
	v_dual_lshlrev_b32 v6, 8, v6 :: v_dual_lshlrev_b32 v16, 23, v16
	v_lshl_add_u32 v17, v17, 10, 0x2000
	s_delay_alu instid0(VALU_DEP_1) | instskip(NEXT) | instid1(VALU_DEP_1)
	v_and_or_b32 v6, 0x8000, v6, v17
	v_lshl_or_b32 v16, v6, 16, v16
.LBB290_40:                             ;   in Loop: Header=BB290_10 Depth=1
	s_or_b32 exec_lo, exec_lo, s31
.LBB290_41:                             ;   in Loop: Header=BB290_10 Depth=1
	s_delay_alu instid0(SALU_CYCLE_1)
	s_or_b32 exec_lo, exec_lo, s30
.LBB290_42:                             ;   in Loop: Header=BB290_10 Depth=1
	s_delay_alu instid0(SALU_CYCLE_1) | instskip(SKIP_3) | instid1(VALU_DEP_2)
	s_or_b32 exec_lo, exec_lo, s29
	v_and_b32_e32 v17, 0xff, v5
	v_mov_b32_e32 v6, v5
	s_mov_b32 s29, exec_lo
	v_cmpx_ne_u16_e32 0, v17
	s_cbranch_execz .LBB290_50
; %bb.43:                               ;   in Loop: Header=BB290_10 Depth=1
	v_mov_b32_e32 v15, 0x8000
	s_mov_b32 s30, exec_lo
	v_cmpx_ne_u16_e32 0x80, v17
	s_cbranch_execz .LBB290_49
; %bb.44:                               ;   in Loop: Header=BB290_10 Depth=1
	v_and_b32_e32 v18, 0x7f, v5
	v_mov_b32_e32 v15, 0x7c01
	s_mov_b32 s31, exec_lo
	s_delay_alu instid0(VALU_DEP_2)
	v_cmpx_ne_u32_e32 0x7f, v18
	s_cbranch_execz .LBB290_48
; %bb.45:                               ;   in Loop: Header=BB290_10 Depth=1
	v_dual_lshrrev_b32 v17, 3, v18 :: v_dual_bitop2_b32 v15, 7, v5 bitop3:0x40
	s_mov_b32 s33, exec_lo
	v_cmpx_gt_u32_e32 8, v18
; %bb.46:                               ;   in Loop: Header=BB290_10 Depth=1
	s_delay_alu instid0(VALU_DEP_2) | instskip(NEXT) | instid1(VALU_DEP_1)
	v_clz_i32_u32_e32 v15, v15
	v_min_u32_e32 v15, 32, v15
	s_delay_alu instid0(VALU_DEP_1) | instskip(NEXT) | instid1(VALU_DEP_1)
	v_subrev_nc_u32_e32 v17, 28, v15
	v_lshlrev_b64_e32 v[18:19], v17, v[6:7]
	s_delay_alu instid0(VALU_DEP_1)
	v_dual_sub_nc_u32 v17, 29, v15 :: v_dual_bitop2_b32 v15, 7, v18 bitop3:0x40
; %bb.47:                               ;   in Loop: Header=BB290_10 Depth=1
	s_or_b32 exec_lo, exec_lo, s33
	s_delay_alu instid0(VALU_DEP_1) | instskip(NEXT) | instid1(VALU_DEP_2)
	v_dual_lshlrev_b32 v18, 8, v5 :: v_dual_lshlrev_b32 v15, 7, v15
	v_lshl_add_u32 v17, v17, 10, 0x2000
	s_delay_alu instid0(VALU_DEP_2) | instskip(NEXT) | instid1(VALU_DEP_2)
	v_and_b32_e32 v18, 0x8000, v18
	v_and_b32_e32 v17, 0xfc00, v17
	s_delay_alu instid0(VALU_DEP_1)
	v_or3_b32 v15, v18, v17, v15
.LBB290_48:                             ;   in Loop: Header=BB290_10 Depth=1
	s_or_b32 exec_lo, exec_lo, s31
.LBB290_49:                             ;   in Loop: Header=BB290_10 Depth=1
	s_delay_alu instid0(SALU_CYCLE_1)
	s_or_b32 exec_lo, exec_lo, s30
.LBB290_50:                             ;   in Loop: Header=BB290_10 Depth=1
	s_delay_alu instid0(SALU_CYCLE_1) | instskip(SKIP_3) | instid1(VALU_DEP_2)
	s_or_b32 exec_lo, exec_lo, s29
	v_lshrrev_b16 v6, 8, v6
	v_dual_mov_b32 v17, 0 :: v_dual_mov_b32 v18, 0
	s_mov_b32 s29, exec_lo
	v_cmpx_ne_u16_e32 0, v6
	s_cbranch_execz .LBB290_58
; %bb.51:                               ;   in Loop: Header=BB290_10 Depth=1
	v_bfrev_b32_e32 v18, 1
	s_mov_b32 s30, exec_lo
	v_cmpx_ne_u16_e32 0x80, v6
	s_cbranch_execz .LBB290_57
; %bb.52:                               ;   in Loop: Header=BB290_10 Depth=1
	v_and_b32_e32 v19, 0xffff, v6
	v_mov_b32_e32 v18, 0x7c010000
	s_mov_b32 s31, exec_lo
	s_delay_alu instid0(VALU_DEP_2) | instskip(NEXT) | instid1(VALU_DEP_1)
	v_and_b32_e32 v21, 0x7f, v19
	v_cmpx_ne_u32_e32 0x7f, v21
	s_cbranch_execz .LBB290_56
; %bb.53:                               ;   in Loop: Header=BB290_10 Depth=1
	v_dual_lshrrev_b32 v20, 3, v21 :: v_dual_bitop2_b32 v18, 7, v19 bitop3:0x40
	s_mov_b32 s33, exec_lo
	v_cmpx_gt_u32_e32 8, v21
; %bb.54:                               ;   in Loop: Header=BB290_10 Depth=1
	s_delay_alu instid0(VALU_DEP_2) | instskip(NEXT) | instid1(VALU_DEP_1)
	v_clz_i32_u32_e32 v18, v18
	v_min_u32_e32 v18, 32, v18
	s_delay_alu instid0(VALU_DEP_1) | instskip(NEXT) | instid1(VALU_DEP_1)
	v_subrev_nc_u32_e32 v20, 28, v18
	v_lshlrev_b64_e32 v[22:23], v20, v[6:7]
	v_sub_nc_u32_e32 v20, 29, v18
	s_delay_alu instid0(VALU_DEP_2)
	v_and_b32_e32 v18, 7, v22
; %bb.55:                               ;   in Loop: Header=BB290_10 Depth=1
	s_or_b32 exec_lo, exec_lo, s33
	s_delay_alu instid0(VALU_DEP_1) | instskip(NEXT) | instid1(VALU_DEP_3)
	v_dual_lshlrev_b32 v6, 8, v19 :: v_dual_lshlrev_b32 v18, 23, v18
	v_lshl_add_u32 v19, v20, 10, 0x2000
	s_delay_alu instid0(VALU_DEP_1) | instskip(NEXT) | instid1(VALU_DEP_1)
	v_and_or_b32 v6, 0x8000, v6, v19
	v_lshl_or_b32 v18, v6, 16, v18
.LBB290_56:                             ;   in Loop: Header=BB290_10 Depth=1
	s_or_b32 exec_lo, exec_lo, s31
.LBB290_57:                             ;   in Loop: Header=BB290_10 Depth=1
	s_delay_alu instid0(SALU_CYCLE_1)
	s_or_b32 exec_lo, exec_lo, s30
.LBB290_58:                             ;   in Loop: Header=BB290_10 Depth=1
	s_delay_alu instid0(SALU_CYCLE_1) | instskip(SKIP_2) | instid1(VALU_DEP_1)
	s_or_b32 exec_lo, exec_lo, s29
	v_lshrrev_b32_e32 v6, 16, v5
	s_mov_b32 s29, exec_lo
	v_and_b32_e32 v19, 0xff, v6
	s_delay_alu instid0(VALU_DEP_1)
	v_cmpx_ne_u16_e32 0, v19
	s_cbranch_execz .LBB290_66
; %bb.59:                               ;   in Loop: Header=BB290_10 Depth=1
	v_mov_b32_e32 v17, 0x8000
	s_mov_b32 s30, exec_lo
	v_cmpx_ne_u16_e32 0x80, v19
	s_cbranch_execz .LBB290_65
; %bb.60:                               ;   in Loop: Header=BB290_10 Depth=1
	v_bfe_u32 v20, v5, 16, 7
	v_mov_b32_e32 v17, 0x7c01
	s_mov_b32 s31, exec_lo
	s_delay_alu instid0(VALU_DEP_2)
	v_cmpx_ne_u32_e32 0x7f, v20
	s_cbranch_execz .LBB290_64
; %bb.61:                               ;   in Loop: Header=BB290_10 Depth=1
	v_dual_lshrrev_b32 v19, 3, v20 :: v_dual_bitop2_b32 v17, 7, v6 bitop3:0x40
	s_mov_b32 s33, exec_lo
	v_cmpx_gt_u32_e32 8, v20
; %bb.62:                               ;   in Loop: Header=BB290_10 Depth=1
	s_delay_alu instid0(VALU_DEP_2) | instskip(NEXT) | instid1(VALU_DEP_1)
	v_clz_i32_u32_e32 v17, v17
	v_min_u32_e32 v17, 32, v17
	s_delay_alu instid0(VALU_DEP_1) | instskip(NEXT) | instid1(VALU_DEP_1)
	v_subrev_nc_u32_e32 v19, 28, v17
	v_lshlrev_b64_e32 v[20:21], v19, v[6:7]
	s_delay_alu instid0(VALU_DEP_1)
	v_dual_sub_nc_u32 v19, 29, v17 :: v_dual_bitop2_b32 v17, 7, v20 bitop3:0x40
; %bb.63:                               ;   in Loop: Header=BB290_10 Depth=1
	s_or_b32 exec_lo, exec_lo, s33
	s_delay_alu instid0(VALU_DEP_1) | instskip(NEXT) | instid1(VALU_DEP_2)
	v_dual_lshlrev_b32 v6, 8, v6 :: v_dual_lshlrev_b32 v17, 7, v17
	v_lshl_add_u32 v19, v19, 10, 0x2000
	s_delay_alu instid0(VALU_DEP_2) | instskip(NEXT) | instid1(VALU_DEP_2)
	v_and_b32_e32 v6, 0x8000, v6
	v_and_b32_e32 v19, 0xfc00, v19
	s_delay_alu instid0(VALU_DEP_1)
	v_or3_b32 v17, v6, v19, v17
.LBB290_64:                             ;   in Loop: Header=BB290_10 Depth=1
	s_or_b32 exec_lo, exec_lo, s31
.LBB290_65:                             ;   in Loop: Header=BB290_10 Depth=1
	s_delay_alu instid0(SALU_CYCLE_1)
	s_or_b32 exec_lo, exec_lo, s30
.LBB290_66:                             ;   in Loop: Header=BB290_10 Depth=1
	s_delay_alu instid0(SALU_CYCLE_1)
	s_or_b32 exec_lo, exec_lo, s29
	v_dual_mov_b32 v25, 0 :: v_dual_mov_b32 v19, 0
	s_mov_b32 s29, exec_lo
	v_cmpx_lt_u64_e64 s[20:21], v[4:5]
	s_cbranch_execz .LBB290_74
; %bb.67:                               ;   in Loop: Header=BB290_10 Depth=1
	v_lshrrev_b32_e32 v6, 24, v5
	v_bfrev_b32_e32 v19, 1
	s_mov_b32 s30, exec_lo
	s_delay_alu instid0(VALU_DEP_2)
	v_cmpx_ne_u32_e32 0x80, v6
	s_cbranch_execz .LBB290_73
; %bb.68:                               ;   in Loop: Header=BB290_10 Depth=1
	v_and_b32_e32 v20, 0x7f, v6
	v_mov_b32_e32 v19, 0x7c010000
	s_mov_b32 s31, exec_lo
	s_delay_alu instid0(VALU_DEP_2)
	v_cmpx_ne_u32_e32 0x7f, v20
	s_cbranch_execz .LBB290_72
; %bb.69:                               ;   in Loop: Header=BB290_10 Depth=1
	v_dual_lshrrev_b32 v5, 3, v20 :: v_dual_bitop2_b32 v4, 7, v6 bitop3:0x40
	s_mov_b32 s33, exec_lo
	v_cmpx_gt_u32_e32 8, v20
; %bb.70:                               ;   in Loop: Header=BB290_10 Depth=1
	s_delay_alu instid0(VALU_DEP_2) | instskip(NEXT) | instid1(VALU_DEP_1)
	v_clz_i32_u32_e32 v4, v4
	v_min_u32_e32 v19, 32, v4
	s_delay_alu instid0(VALU_DEP_1) | instskip(NEXT) | instid1(VALU_DEP_1)
	v_subrev_nc_u32_e32 v4, 28, v19
	v_lshlrev_b64_e32 v[4:5], v4, v[6:7]
	s_delay_alu instid0(VALU_DEP_1)
	v_dual_sub_nc_u32 v5, 29, v19 :: v_dual_bitop2_b32 v4, 7, v4 bitop3:0x40
; %bb.71:                               ;   in Loop: Header=BB290_10 Depth=1
	s_or_b32 exec_lo, exec_lo, s33
	s_delay_alu instid0(VALU_DEP_1) | instskip(NEXT) | instid1(VALU_DEP_2)
	v_dual_lshlrev_b32 v6, 8, v6 :: v_dual_lshlrev_b32 v4, 23, v4
	v_lshl_add_u32 v5, v5, 10, 0x2000
	s_delay_alu instid0(VALU_DEP_1) | instskip(NEXT) | instid1(VALU_DEP_1)
	v_and_or_b32 v5, 0x8000, v6, v5
	v_lshl_or_b32 v19, v5, 16, v4
.LBB290_72:                             ;   in Loop: Header=BB290_10 Depth=1
	s_or_b32 exec_lo, exec_lo, s31
.LBB290_73:                             ;   in Loop: Header=BB290_10 Depth=1
	s_delay_alu instid0(SALU_CYCLE_1)
	s_or_b32 exec_lo, exec_lo, s30
.LBB290_74:                             ;   in Loop: Header=BB290_10 Depth=1
	s_delay_alu instid0(SALU_CYCLE_1)
	s_or_b32 exec_lo, exec_lo, s29
	global_load_b64 v[4:5], v[2:3], off offset:8
	s_mov_b32 s29, exec_lo
	s_wait_loadcnt 0x0
	v_and_b32_e32 v6, 0xff, v4
	s_wait_xcnt 0x0
	s_delay_alu instid0(VALU_DEP_1)
	v_cmpx_ne_u16_e32 0, v6
	s_cbranch_execz .LBB290_82
; %bb.75:                               ;   in Loop: Header=BB290_10 Depth=1
	v_mov_b32_e32 v25, 0x8000
	s_mov_b32 s30, exec_lo
	v_cmpx_ne_u16_e32 0x80, v6
	s_cbranch_execz .LBB290_81
; %bb.76:                               ;   in Loop: Header=BB290_10 Depth=1
	v_and_b32_e32 v21, 0x7f, v4
	v_mov_b32_e32 v25, 0x7c01
	s_mov_b32 s31, exec_lo
	s_delay_alu instid0(VALU_DEP_2)
	v_cmpx_ne_u32_e32 0x7f, v21
	s_cbranch_execz .LBB290_80
; %bb.77:                               ;   in Loop: Header=BB290_10 Depth=1
	v_dual_lshrrev_b32 v20, 3, v21 :: v_dual_bitop2_b32 v6, 7, v4 bitop3:0x40
	s_mov_b32 s33, exec_lo
	v_cmpx_gt_u32_e32 8, v21
; %bb.78:                               ;   in Loop: Header=BB290_10 Depth=1
	s_delay_alu instid0(VALU_DEP_2) | instskip(NEXT) | instid1(VALU_DEP_1)
	v_clz_i32_u32_e32 v6, v6
	v_min_u32_e32 v6, 32, v6
	s_delay_alu instid0(VALU_DEP_1) | instskip(NEXT) | instid1(VALU_DEP_1)
	v_subrev_nc_u32_e32 v20, 28, v6
	v_lshlrev_b64_e32 v[22:23], v20, v[4:5]
	v_sub_nc_u32_e32 v20, 29, v6
	s_delay_alu instid0(VALU_DEP_2)
	v_and_b32_e32 v6, 7, v22
; %bb.79:                               ;   in Loop: Header=BB290_10 Depth=1
	s_or_b32 exec_lo, exec_lo, s33
	s_delay_alu instid0(VALU_DEP_1) | instskip(NEXT) | instid1(VALU_DEP_3)
	v_dual_lshlrev_b32 v21, 8, v4 :: v_dual_lshlrev_b32 v6, 7, v6
	v_lshl_add_u32 v20, v20, 10, 0x2000
	s_delay_alu instid0(VALU_DEP_2) | instskip(NEXT) | instid1(VALU_DEP_2)
	v_and_b32_e32 v21, 0x8000, v21
	v_and_b32_e32 v20, 0xfc00, v20
	s_delay_alu instid0(VALU_DEP_1)
	v_or3_b32 v25, v21, v20, v6
.LBB290_80:                             ;   in Loop: Header=BB290_10 Depth=1
	s_or_b32 exec_lo, exec_lo, s31
.LBB290_81:                             ;   in Loop: Header=BB290_10 Depth=1
	s_delay_alu instid0(SALU_CYCLE_1)
	s_or_b32 exec_lo, exec_lo, s30
.LBB290_82:                             ;   in Loop: Header=BB290_10 Depth=1
	s_delay_alu instid0(SALU_CYCLE_1) | instskip(SKIP_3) | instid1(VALU_DEP_2)
	s_or_b32 exec_lo, exec_lo, s29
	v_lshrrev_b16 v6, 8, v4
	v_dual_mov_b32 v24, 0 :: v_dual_mov_b32 v28, 0
	s_mov_b32 s29, exec_lo
	v_cmpx_ne_u16_e32 0, v6
	s_cbranch_execz .LBB290_90
; %bb.83:                               ;   in Loop: Header=BB290_10 Depth=1
	v_bfrev_b32_e32 v28, 1
	s_mov_b32 s30, exec_lo
	v_cmpx_ne_u16_e32 0x80, v6
	s_cbranch_execz .LBB290_89
; %bb.84:                               ;   in Loop: Header=BB290_10 Depth=1
	v_and_b32_e32 v20, 0xffff, v6
	v_mov_b32_e32 v28, 0x7c010000
	s_mov_b32 s31, exec_lo
	s_delay_alu instid0(VALU_DEP_2) | instskip(NEXT) | instid1(VALU_DEP_1)
	v_and_b32_e32 v23, 0x7f, v20
	v_cmpx_ne_u32_e32 0x7f, v23
	s_cbranch_execz .LBB290_88
; %bb.85:                               ;   in Loop: Header=BB290_10 Depth=1
	v_dual_lshrrev_b32 v22, 3, v23 :: v_dual_bitop2_b32 v21, 7, v20 bitop3:0x40
	s_mov_b32 s33, exec_lo
	v_cmpx_gt_u32_e32 8, v23
; %bb.86:                               ;   in Loop: Header=BB290_10 Depth=1
	s_delay_alu instid0(VALU_DEP_2) | instskip(NEXT) | instid1(VALU_DEP_1)
	v_clz_i32_u32_e32 v21, v21
	v_min_u32_e32 v21, 32, v21
	s_delay_alu instid0(VALU_DEP_1) | instskip(NEXT) | instid1(VALU_DEP_1)
	v_subrev_nc_u32_e32 v22, 28, v21
	v_lshlrev_b64_e32 v[26:27], v22, v[6:7]
	s_delay_alu instid0(VALU_DEP_1)
	v_dual_sub_nc_u32 v22, 29, v21 :: v_dual_bitop2_b32 v21, 7, v26 bitop3:0x40
; %bb.87:                               ;   in Loop: Header=BB290_10 Depth=1
	s_or_b32 exec_lo, exec_lo, s33
	v_lshlrev_b32_e32 v6, 8, v20
	s_delay_alu instid0(VALU_DEP_2) | instskip(NEXT) | instid1(VALU_DEP_1)
	v_lshl_add_u32 v20, v22, 10, 0x2000
	v_and_or_b32 v6, 0x8000, v6, v20
	v_lshlrev_b32_e32 v20, 23, v21
	s_delay_alu instid0(VALU_DEP_1)
	v_lshl_or_b32 v28, v6, 16, v20
.LBB290_88:                             ;   in Loop: Header=BB290_10 Depth=1
	s_or_b32 exec_lo, exec_lo, s31
.LBB290_89:                             ;   in Loop: Header=BB290_10 Depth=1
	s_delay_alu instid0(SALU_CYCLE_1)
	s_or_b32 exec_lo, exec_lo, s30
.LBB290_90:                             ;   in Loop: Header=BB290_10 Depth=1
	s_delay_alu instid0(SALU_CYCLE_1) | instskip(SKIP_2) | instid1(VALU_DEP_1)
	s_or_b32 exec_lo, exec_lo, s29
	v_lshrrev_b32_e32 v6, 16, v4
	s_mov_b32 s29, exec_lo
	v_and_b32_e32 v20, 0xff, v6
	s_delay_alu instid0(VALU_DEP_1)
	v_cmpx_ne_u16_e32 0, v20
	s_cbranch_execz .LBB290_98
; %bb.91:                               ;   in Loop: Header=BB290_10 Depth=1
	v_mov_b32_e32 v24, 0x8000
	s_mov_b32 s30, exec_lo
	v_cmpx_ne_u16_e32 0x80, v20
	s_cbranch_execz .LBB290_97
; %bb.92:                               ;   in Loop: Header=BB290_10 Depth=1
	v_bfe_u32 v22, v4, 16, 7
	v_mov_b32_e32 v24, 0x7c01
	s_mov_b32 s31, exec_lo
	s_delay_alu instid0(VALU_DEP_2)
	v_cmpx_ne_u32_e32 0x7f, v22
	s_cbranch_execz .LBB290_96
; %bb.93:                               ;   in Loop: Header=BB290_10 Depth=1
	v_and_b32_e32 v20, 7, v6
	v_lshrrev_b32_e32 v21, 3, v22
	s_mov_b32 s33, exec_lo
	v_cmpx_gt_u32_e32 8, v22
; %bb.94:                               ;   in Loop: Header=BB290_10 Depth=1
	s_delay_alu instid0(VALU_DEP_3) | instskip(NEXT) | instid1(VALU_DEP_1)
	v_clz_i32_u32_e32 v20, v20
	v_min_u32_e32 v22, 32, v20
	s_delay_alu instid0(VALU_DEP_1) | instskip(NEXT) | instid1(VALU_DEP_1)
	v_subrev_nc_u32_e32 v20, 28, v22
	v_lshlrev_b64_e32 v[20:21], v20, v[6:7]
	s_delay_alu instid0(VALU_DEP_1)
	v_dual_sub_nc_u32 v21, 29, v22 :: v_dual_bitop2_b32 v20, 7, v20 bitop3:0x40
; %bb.95:                               ;   in Loop: Header=BB290_10 Depth=1
	s_or_b32 exec_lo, exec_lo, s33
	s_delay_alu instid0(VALU_DEP_1) | instskip(NEXT) | instid1(VALU_DEP_2)
	v_dual_lshlrev_b32 v6, 8, v6 :: v_dual_lshlrev_b32 v20, 7, v20
	v_lshl_add_u32 v21, v21, 10, 0x2000
	s_delay_alu instid0(VALU_DEP_2) | instskip(NEXT) | instid1(VALU_DEP_2)
	v_and_b32_e32 v6, 0x8000, v6
	v_and_b32_e32 v21, 0xfc00, v21
	s_delay_alu instid0(VALU_DEP_1)
	v_or3_b32 v24, v6, v21, v20
.LBB290_96:                             ;   in Loop: Header=BB290_10 Depth=1
	s_or_b32 exec_lo, exec_lo, s31
.LBB290_97:                             ;   in Loop: Header=BB290_10 Depth=1
	s_delay_alu instid0(SALU_CYCLE_1)
	s_or_b32 exec_lo, exec_lo, s30
.LBB290_98:                             ;   in Loop: Header=BB290_10 Depth=1
	s_delay_alu instid0(SALU_CYCLE_1)
	s_or_b32 exec_lo, exec_lo, s29
	v_dual_mov_b32 v27, 0 :: v_dual_mov_b32 v26, 0
	s_mov_b32 s29, exec_lo
	v_cmpx_lt_u32_e32 0xffffff, v4
	s_cbranch_execz .LBB290_106
; %bb.99:                               ;   in Loop: Header=BB290_10 Depth=1
	v_lshrrev_b32_e32 v6, 24, v4
	v_bfrev_b32_e32 v26, 1
	s_mov_b32 s30, exec_lo
	s_delay_alu instid0(VALU_DEP_2)
	v_cmpx_ne_u32_e32 0x80, v6
	s_cbranch_execz .LBB290_105
; %bb.100:                              ;   in Loop: Header=BB290_10 Depth=1
	v_and_b32_e32 v22, 0x7f, v6
	v_mov_b32_e32 v26, 0x7c010000
	s_mov_b32 s31, exec_lo
	s_delay_alu instid0(VALU_DEP_2)
	v_cmpx_ne_u32_e32 0x7f, v22
	s_cbranch_execz .LBB290_104
; %bb.101:                              ;   in Loop: Header=BB290_10 Depth=1
	v_and_b32_e32 v20, 7, v6
	v_lshrrev_b32_e32 v21, 3, v22
	s_mov_b32 s33, exec_lo
	v_cmpx_gt_u32_e32 8, v22
; %bb.102:                              ;   in Loop: Header=BB290_10 Depth=1
	s_delay_alu instid0(VALU_DEP_3) | instskip(NEXT) | instid1(VALU_DEP_1)
	v_clz_i32_u32_e32 v20, v20
	v_min_u32_e32 v22, 32, v20
	s_delay_alu instid0(VALU_DEP_1) | instskip(NEXT) | instid1(VALU_DEP_1)
	v_subrev_nc_u32_e32 v20, 28, v22
	v_lshlrev_b64_e32 v[20:21], v20, v[6:7]
	s_delay_alu instid0(VALU_DEP_1)
	v_dual_sub_nc_u32 v21, 29, v22 :: v_dual_bitop2_b32 v20, 7, v20 bitop3:0x40
; %bb.103:                              ;   in Loop: Header=BB290_10 Depth=1
	s_or_b32 exec_lo, exec_lo, s33
	s_delay_alu instid0(VALU_DEP_1) | instskip(NEXT) | instid1(VALU_DEP_2)
	v_dual_lshlrev_b32 v6, 8, v6 :: v_dual_lshlrev_b32 v20, 23, v20
	v_lshl_add_u32 v21, v21, 10, 0x2000
	s_delay_alu instid0(VALU_DEP_1) | instskip(NEXT) | instid1(VALU_DEP_1)
	v_and_or_b32 v6, 0x8000, v6, v21
	v_lshl_or_b32 v26, v6, 16, v20
.LBB290_104:                            ;   in Loop: Header=BB290_10 Depth=1
	s_or_b32 exec_lo, exec_lo, s31
.LBB290_105:                            ;   in Loop: Header=BB290_10 Depth=1
	s_delay_alu instid0(SALU_CYCLE_1)
	s_or_b32 exec_lo, exec_lo, s30
.LBB290_106:                            ;   in Loop: Header=BB290_10 Depth=1
	s_delay_alu instid0(SALU_CYCLE_1) | instskip(SKIP_3) | instid1(VALU_DEP_2)
	s_or_b32 exec_lo, exec_lo, s29
	v_and_b32_e32 v20, 0xff, v5
	v_mov_b32_e32 v6, v5
	s_mov_b32 s29, exec_lo
	v_cmpx_ne_u16_e32 0, v20
	s_cbranch_execz .LBB290_114
; %bb.107:                              ;   in Loop: Header=BB290_10 Depth=1
	v_mov_b32_e32 v27, 0x8000
	s_mov_b32 s30, exec_lo
	v_cmpx_ne_u16_e32 0x80, v20
	s_cbranch_execz .LBB290_113
; %bb.108:                              ;   in Loop: Header=BB290_10 Depth=1
	v_and_b32_e32 v22, 0x7f, v5
	v_mov_b32_e32 v27, 0x7c01
	s_mov_b32 s31, exec_lo
	s_delay_alu instid0(VALU_DEP_2)
	v_cmpx_ne_u32_e32 0x7f, v22
	s_cbranch_execz .LBB290_112
; %bb.109:                              ;   in Loop: Header=BB290_10 Depth=1
	v_dual_lshrrev_b32 v21, 3, v22 :: v_dual_bitop2_b32 v20, 7, v5 bitop3:0x40
	s_mov_b32 s33, exec_lo
	v_cmpx_gt_u32_e32 8, v22
; %bb.110:                              ;   in Loop: Header=BB290_10 Depth=1
	s_delay_alu instid0(VALU_DEP_2) | instskip(NEXT) | instid1(VALU_DEP_1)
	v_clz_i32_u32_e32 v20, v20
	v_min_u32_e32 v22, 32, v20
	s_delay_alu instid0(VALU_DEP_1) | instskip(NEXT) | instid1(VALU_DEP_1)
	v_subrev_nc_u32_e32 v20, 28, v22
	v_lshlrev_b64_e32 v[20:21], v20, v[6:7]
	s_delay_alu instid0(VALU_DEP_1)
	v_dual_sub_nc_u32 v21, 29, v22 :: v_dual_bitop2_b32 v20, 7, v20 bitop3:0x40
; %bb.111:                              ;   in Loop: Header=BB290_10 Depth=1
	s_or_b32 exec_lo, exec_lo, s33
	s_delay_alu instid0(VALU_DEP_1) | instskip(NEXT) | instid1(VALU_DEP_2)
	v_dual_lshlrev_b32 v22, 8, v5 :: v_dual_lshlrev_b32 v20, 7, v20
	v_lshl_add_u32 v21, v21, 10, 0x2000
	s_delay_alu instid0(VALU_DEP_2) | instskip(NEXT) | instid1(VALU_DEP_2)
	v_and_b32_e32 v22, 0x8000, v22
	v_and_b32_e32 v21, 0xfc00, v21
	s_delay_alu instid0(VALU_DEP_1)
	v_or3_b32 v27, v22, v21, v20
.LBB290_112:                            ;   in Loop: Header=BB290_10 Depth=1
	s_or_b32 exec_lo, exec_lo, s31
.LBB290_113:                            ;   in Loop: Header=BB290_10 Depth=1
	s_delay_alu instid0(SALU_CYCLE_1)
	s_or_b32 exec_lo, exec_lo, s30
.LBB290_114:                            ;   in Loop: Header=BB290_10 Depth=1
	s_delay_alu instid0(SALU_CYCLE_1) | instskip(SKIP_3) | instid1(VALU_DEP_2)
	s_or_b32 exec_lo, exec_lo, s29
	v_lshrrev_b16 v6, 8, v6
	v_dual_mov_b32 v30, 0 :: v_dual_mov_b32 v29, 0
	s_mov_b32 s29, exec_lo
	v_cmpx_ne_u16_e32 0, v6
	s_cbranch_execz .LBB290_122
; %bb.115:                              ;   in Loop: Header=BB290_10 Depth=1
	v_bfrev_b32_e32 v29, 1
	s_mov_b32 s30, exec_lo
	v_cmpx_ne_u16_e32 0x80, v6
	s_cbranch_execz .LBB290_121
; %bb.116:                              ;   in Loop: Header=BB290_10 Depth=1
	v_and_b32_e32 v20, 0xffff, v6
	v_mov_b32_e32 v29, 0x7c010000
	s_mov_b32 s31, exec_lo
	s_delay_alu instid0(VALU_DEP_2) | instskip(NEXT) | instid1(VALU_DEP_1)
	v_and_b32_e32 v23, 0x7f, v20
	v_cmpx_ne_u32_e32 0x7f, v23
	s_cbranch_execz .LBB290_120
; %bb.117:                              ;   in Loop: Header=BB290_10 Depth=1
	v_dual_lshrrev_b32 v22, 3, v23 :: v_dual_bitop2_b32 v21, 7, v20 bitop3:0x40
	s_mov_b32 s33, exec_lo
	v_cmpx_gt_u32_e32 8, v23
; %bb.118:                              ;   in Loop: Header=BB290_10 Depth=1
	s_delay_alu instid0(VALU_DEP_2) | instskip(NEXT) | instid1(VALU_DEP_1)
	v_clz_i32_u32_e32 v21, v21
	v_min_u32_e32 v21, 32, v21
	s_delay_alu instid0(VALU_DEP_1) | instskip(NEXT) | instid1(VALU_DEP_1)
	v_subrev_nc_u32_e32 v22, 28, v21
	v_lshlrev_b64_e32 v[32:33], v22, v[6:7]
	s_delay_alu instid0(VALU_DEP_1)
	v_dual_sub_nc_u32 v22, 29, v21 :: v_dual_bitop2_b32 v21, 7, v32 bitop3:0x40
; %bb.119:                              ;   in Loop: Header=BB290_10 Depth=1
	s_or_b32 exec_lo, exec_lo, s33
	v_lshlrev_b32_e32 v6, 8, v20
	s_delay_alu instid0(VALU_DEP_2) | instskip(NEXT) | instid1(VALU_DEP_1)
	v_lshl_add_u32 v20, v22, 10, 0x2000
	v_and_or_b32 v6, 0x8000, v6, v20
	v_lshlrev_b32_e32 v20, 23, v21
	s_delay_alu instid0(VALU_DEP_1)
	v_lshl_or_b32 v29, v6, 16, v20
.LBB290_120:                            ;   in Loop: Header=BB290_10 Depth=1
	s_or_b32 exec_lo, exec_lo, s31
.LBB290_121:                            ;   in Loop: Header=BB290_10 Depth=1
	s_delay_alu instid0(SALU_CYCLE_1)
	s_or_b32 exec_lo, exec_lo, s30
.LBB290_122:                            ;   in Loop: Header=BB290_10 Depth=1
	s_delay_alu instid0(SALU_CYCLE_1) | instskip(SKIP_2) | instid1(VALU_DEP_1)
	s_or_b32 exec_lo, exec_lo, s29
	v_lshrrev_b32_e32 v6, 16, v5
	s_mov_b32 s29, exec_lo
	v_and_b32_e32 v20, 0xff, v6
	s_delay_alu instid0(VALU_DEP_1)
	v_cmpx_ne_u16_e32 0, v20
	s_cbranch_execz .LBB290_130
; %bb.123:                              ;   in Loop: Header=BB290_10 Depth=1
	v_mov_b32_e32 v30, 0x8000
	s_mov_b32 s30, exec_lo
	v_cmpx_ne_u16_e32 0x80, v20
	s_cbranch_execz .LBB290_129
; %bb.124:                              ;   in Loop: Header=BB290_10 Depth=1
	v_bfe_u32 v22, v5, 16, 7
	v_mov_b32_e32 v30, 0x7c01
	s_mov_b32 s31, exec_lo
	s_delay_alu instid0(VALU_DEP_2)
	v_cmpx_ne_u32_e32 0x7f, v22
	s_cbranch_execz .LBB290_128
; %bb.125:                              ;   in Loop: Header=BB290_10 Depth=1
	v_and_b32_e32 v20, 7, v6
	v_lshrrev_b32_e32 v21, 3, v22
	s_mov_b32 s33, exec_lo
	v_cmpx_gt_u32_e32 8, v22
; %bb.126:                              ;   in Loop: Header=BB290_10 Depth=1
	s_delay_alu instid0(VALU_DEP_3) | instskip(NEXT) | instid1(VALU_DEP_1)
	v_clz_i32_u32_e32 v20, v20
	v_min_u32_e32 v22, 32, v20
	s_delay_alu instid0(VALU_DEP_1) | instskip(NEXT) | instid1(VALU_DEP_1)
	v_subrev_nc_u32_e32 v20, 28, v22
	v_lshlrev_b64_e32 v[20:21], v20, v[6:7]
	s_delay_alu instid0(VALU_DEP_1)
	v_dual_sub_nc_u32 v21, 29, v22 :: v_dual_bitop2_b32 v20, 7, v20 bitop3:0x40
; %bb.127:                              ;   in Loop: Header=BB290_10 Depth=1
	s_or_b32 exec_lo, exec_lo, s33
	s_delay_alu instid0(VALU_DEP_1) | instskip(NEXT) | instid1(VALU_DEP_2)
	v_dual_lshlrev_b32 v6, 8, v6 :: v_dual_lshlrev_b32 v20, 7, v20
	v_lshl_add_u32 v21, v21, 10, 0x2000
	s_delay_alu instid0(VALU_DEP_2) | instskip(NEXT) | instid1(VALU_DEP_2)
	v_and_b32_e32 v6, 0x8000, v6
	v_and_b32_e32 v21, 0xfc00, v21
	s_delay_alu instid0(VALU_DEP_1)
	v_or3_b32 v30, v6, v21, v20
.LBB290_128:                            ;   in Loop: Header=BB290_10 Depth=1
	s_or_b32 exec_lo, exec_lo, s31
.LBB290_129:                            ;   in Loop: Header=BB290_10 Depth=1
	s_delay_alu instid0(SALU_CYCLE_1)
	s_or_b32 exec_lo, exec_lo, s30
.LBB290_130:                            ;   in Loop: Header=BB290_10 Depth=1
	s_delay_alu instid0(SALU_CYCLE_1)
	s_or_b32 exec_lo, exec_lo, s29
	v_dual_mov_b32 v32, 0 :: v_dual_mov_b32 v31, 0
	s_mov_b32 s29, exec_lo
	v_cmpx_lt_u64_e64 s[20:21], v[4:5]
	s_cbranch_execz .LBB290_138
; %bb.131:                              ;   in Loop: Header=BB290_10 Depth=1
	v_lshrrev_b32_e32 v6, 24, v5
	v_bfrev_b32_e32 v31, 1
	s_mov_b32 s30, exec_lo
	s_delay_alu instid0(VALU_DEP_2)
	v_cmpx_ne_u32_e32 0x80, v6
	s_cbranch_execz .LBB290_137
; %bb.132:                              ;   in Loop: Header=BB290_10 Depth=1
	v_and_b32_e32 v20, 0x7f, v6
	v_mov_b32_e32 v31, 0x7c010000
	s_mov_b32 s31, exec_lo
	s_delay_alu instid0(VALU_DEP_2)
	v_cmpx_ne_u32_e32 0x7f, v20
	s_cbranch_execz .LBB290_136
; %bb.133:                              ;   in Loop: Header=BB290_10 Depth=1
	v_dual_lshrrev_b32 v5, 3, v20 :: v_dual_bitop2_b32 v4, 7, v6 bitop3:0x40
	s_mov_b32 s33, exec_lo
	v_cmpx_gt_u32_e32 8, v20
; %bb.134:                              ;   in Loop: Header=BB290_10 Depth=1
	s_delay_alu instid0(VALU_DEP_2) | instskip(NEXT) | instid1(VALU_DEP_1)
	v_clz_i32_u32_e32 v4, v4
	v_min_u32_e32 v20, 32, v4
	s_delay_alu instid0(VALU_DEP_1) | instskip(NEXT) | instid1(VALU_DEP_1)
	v_subrev_nc_u32_e32 v4, 28, v20
	v_lshlrev_b64_e32 v[4:5], v4, v[6:7]
	v_sub_nc_u32_e32 v5, 29, v20
	s_delay_alu instid0(VALU_DEP_2)
	v_and_b32_e32 v4, 7, v4
; %bb.135:                              ;   in Loop: Header=BB290_10 Depth=1
	s_or_b32 exec_lo, exec_lo, s33
	s_delay_alu instid0(VALU_DEP_1) | instskip(NEXT) | instid1(VALU_DEP_3)
	v_dual_lshlrev_b32 v6, 8, v6 :: v_dual_lshlrev_b32 v4, 23, v4
	v_lshl_add_u32 v5, v5, 10, 0x2000
	s_delay_alu instid0(VALU_DEP_1) | instskip(NEXT) | instid1(VALU_DEP_1)
	v_and_or_b32 v5, 0x8000, v6, v5
	v_lshl_or_b32 v31, v5, 16, v4
.LBB290_136:                            ;   in Loop: Header=BB290_10 Depth=1
	s_or_b32 exec_lo, exec_lo, s31
.LBB290_137:                            ;   in Loop: Header=BB290_10 Depth=1
	s_delay_alu instid0(SALU_CYCLE_1)
	s_or_b32 exec_lo, exec_lo, s30
.LBB290_138:                            ;   in Loop: Header=BB290_10 Depth=1
	s_delay_alu instid0(SALU_CYCLE_1)
	s_or_b32 exec_lo, exec_lo, s29
	global_load_b64 v[4:5], v[2:3], off offset:512
	s_mov_b32 s29, exec_lo
	s_wait_loadcnt 0x0
	v_and_b32_e32 v6, 0xff, v4
	s_wait_xcnt 0x0
	s_delay_alu instid0(VALU_DEP_1)
	v_cmpx_ne_u16_e32 0, v6
	s_cbranch_execz .LBB290_146
; %bb.139:                              ;   in Loop: Header=BB290_10 Depth=1
	v_mov_b32_e32 v32, 0x8000
	s_mov_b32 s30, exec_lo
	v_cmpx_ne_u16_e32 0x80, v6
	s_cbranch_execz .LBB290_145
; %bb.140:                              ;   in Loop: Header=BB290_10 Depth=1
	v_and_b32_e32 v21, 0x7f, v4
	v_mov_b32_e32 v32, 0x7c01
	s_mov_b32 s31, exec_lo
	s_delay_alu instid0(VALU_DEP_2)
	v_cmpx_ne_u32_e32 0x7f, v21
	s_cbranch_execz .LBB290_144
; %bb.141:                              ;   in Loop: Header=BB290_10 Depth=1
	v_dual_lshrrev_b32 v20, 3, v21 :: v_dual_bitop2_b32 v6, 7, v4 bitop3:0x40
	s_mov_b32 s33, exec_lo
	v_cmpx_gt_u32_e32 8, v21
; %bb.142:                              ;   in Loop: Header=BB290_10 Depth=1
	s_delay_alu instid0(VALU_DEP_2) | instskip(NEXT) | instid1(VALU_DEP_1)
	v_clz_i32_u32_e32 v6, v6
	v_min_u32_e32 v6, 32, v6
	s_delay_alu instid0(VALU_DEP_1) | instskip(NEXT) | instid1(VALU_DEP_1)
	v_subrev_nc_u32_e32 v20, 28, v6
	v_lshlrev_b64_e32 v[22:23], v20, v[4:5]
	v_sub_nc_u32_e32 v20, 29, v6
	s_delay_alu instid0(VALU_DEP_2)
	v_and_b32_e32 v6, 7, v22
; %bb.143:                              ;   in Loop: Header=BB290_10 Depth=1
	s_or_b32 exec_lo, exec_lo, s33
	s_delay_alu instid0(VALU_DEP_1) | instskip(NEXT) | instid1(VALU_DEP_3)
	v_dual_lshlrev_b32 v21, 8, v4 :: v_dual_lshlrev_b32 v6, 7, v6
	v_lshl_add_u32 v20, v20, 10, 0x2000
	s_delay_alu instid0(VALU_DEP_2) | instskip(NEXT) | instid1(VALU_DEP_2)
	v_and_b32_e32 v21, 0x8000, v21
	v_and_b32_e32 v20, 0xfc00, v20
	s_delay_alu instid0(VALU_DEP_1)
	v_or3_b32 v32, v21, v20, v6
.LBB290_144:                            ;   in Loop: Header=BB290_10 Depth=1
	s_or_b32 exec_lo, exec_lo, s31
.LBB290_145:                            ;   in Loop: Header=BB290_10 Depth=1
	s_delay_alu instid0(SALU_CYCLE_1)
	s_or_b32 exec_lo, exec_lo, s30
.LBB290_146:                            ;   in Loop: Header=BB290_10 Depth=1
	s_delay_alu instid0(SALU_CYCLE_1) | instskip(SKIP_3) | instid1(VALU_DEP_2)
	s_or_b32 exec_lo, exec_lo, s29
	v_lshrrev_b16 v6, 8, v4
	v_dual_mov_b32 v33, 0 :: v_dual_mov_b32 v34, 0
	s_mov_b32 s29, exec_lo
	v_cmpx_ne_u16_e32 0, v6
	s_cbranch_execz .LBB290_154
; %bb.147:                              ;   in Loop: Header=BB290_10 Depth=1
	v_bfrev_b32_e32 v34, 1
	s_mov_b32 s30, exec_lo
	v_cmpx_ne_u16_e32 0x80, v6
	s_cbranch_execz .LBB290_153
; %bb.148:                              ;   in Loop: Header=BB290_10 Depth=1
	v_and_b32_e32 v20, 0xffff, v6
	v_mov_b32_e32 v34, 0x7c010000
	s_mov_b32 s31, exec_lo
	s_delay_alu instid0(VALU_DEP_2) | instskip(NEXT) | instid1(VALU_DEP_1)
	v_and_b32_e32 v23, 0x7f, v20
	v_cmpx_ne_u32_e32 0x7f, v23
	s_cbranch_execz .LBB290_152
; %bb.149:                              ;   in Loop: Header=BB290_10 Depth=1
	v_dual_lshrrev_b32 v22, 3, v23 :: v_dual_bitop2_b32 v21, 7, v20 bitop3:0x40
	s_mov_b32 s33, exec_lo
	v_cmpx_gt_u32_e32 8, v23
; %bb.150:                              ;   in Loop: Header=BB290_10 Depth=1
	s_delay_alu instid0(VALU_DEP_2) | instskip(NEXT) | instid1(VALU_DEP_1)
	v_clz_i32_u32_e32 v21, v21
	v_min_u32_e32 v21, 32, v21
	s_delay_alu instid0(VALU_DEP_1) | instskip(NEXT) | instid1(VALU_DEP_1)
	v_subrev_nc_u32_e32 v22, 28, v21
	v_lshlrev_b64_e32 v[34:35], v22, v[6:7]
	s_delay_alu instid0(VALU_DEP_1)
	v_dual_sub_nc_u32 v22, 29, v21 :: v_dual_bitop2_b32 v21, 7, v34 bitop3:0x40
; %bb.151:                              ;   in Loop: Header=BB290_10 Depth=1
	s_or_b32 exec_lo, exec_lo, s33
	v_lshlrev_b32_e32 v6, 8, v20
	s_delay_alu instid0(VALU_DEP_2) | instskip(NEXT) | instid1(VALU_DEP_1)
	v_lshl_add_u32 v20, v22, 10, 0x2000
	v_and_or_b32 v6, 0x8000, v6, v20
	v_lshlrev_b32_e32 v20, 23, v21
	s_delay_alu instid0(VALU_DEP_1)
	v_lshl_or_b32 v34, v6, 16, v20
.LBB290_152:                            ;   in Loop: Header=BB290_10 Depth=1
	s_or_b32 exec_lo, exec_lo, s31
.LBB290_153:                            ;   in Loop: Header=BB290_10 Depth=1
	s_delay_alu instid0(SALU_CYCLE_1)
	s_or_b32 exec_lo, exec_lo, s30
.LBB290_154:                            ;   in Loop: Header=BB290_10 Depth=1
	s_delay_alu instid0(SALU_CYCLE_1) | instskip(SKIP_2) | instid1(VALU_DEP_1)
	s_or_b32 exec_lo, exec_lo, s29
	v_lshrrev_b32_e32 v6, 16, v4
	s_mov_b32 s29, exec_lo
	v_and_b32_e32 v20, 0xff, v6
	s_delay_alu instid0(VALU_DEP_1)
	v_cmpx_ne_u16_e32 0, v20
	s_cbranch_execz .LBB290_162
; %bb.155:                              ;   in Loop: Header=BB290_10 Depth=1
	v_mov_b32_e32 v33, 0x8000
	s_mov_b32 s30, exec_lo
	v_cmpx_ne_u16_e32 0x80, v20
	s_cbranch_execz .LBB290_161
; %bb.156:                              ;   in Loop: Header=BB290_10 Depth=1
	v_bfe_u32 v22, v4, 16, 7
	v_mov_b32_e32 v33, 0x7c01
	s_mov_b32 s31, exec_lo
	s_delay_alu instid0(VALU_DEP_2)
	v_cmpx_ne_u32_e32 0x7f, v22
	s_cbranch_execz .LBB290_160
; %bb.157:                              ;   in Loop: Header=BB290_10 Depth=1
	v_and_b32_e32 v20, 7, v6
	v_lshrrev_b32_e32 v21, 3, v22
	s_mov_b32 s33, exec_lo
	v_cmpx_gt_u32_e32 8, v22
; %bb.158:                              ;   in Loop: Header=BB290_10 Depth=1
	s_delay_alu instid0(VALU_DEP_3) | instskip(NEXT) | instid1(VALU_DEP_1)
	v_clz_i32_u32_e32 v20, v20
	v_min_u32_e32 v22, 32, v20
	s_delay_alu instid0(VALU_DEP_1) | instskip(NEXT) | instid1(VALU_DEP_1)
	v_subrev_nc_u32_e32 v20, 28, v22
	v_lshlrev_b64_e32 v[20:21], v20, v[6:7]
	s_delay_alu instid0(VALU_DEP_1)
	v_dual_sub_nc_u32 v21, 29, v22 :: v_dual_bitop2_b32 v20, 7, v20 bitop3:0x40
; %bb.159:                              ;   in Loop: Header=BB290_10 Depth=1
	s_or_b32 exec_lo, exec_lo, s33
	s_delay_alu instid0(VALU_DEP_1) | instskip(NEXT) | instid1(VALU_DEP_2)
	v_dual_lshlrev_b32 v6, 8, v6 :: v_dual_lshlrev_b32 v20, 7, v20
	v_lshl_add_u32 v21, v21, 10, 0x2000
	s_delay_alu instid0(VALU_DEP_2) | instskip(NEXT) | instid1(VALU_DEP_2)
	v_and_b32_e32 v6, 0x8000, v6
	v_and_b32_e32 v21, 0xfc00, v21
	s_delay_alu instid0(VALU_DEP_1)
	v_or3_b32 v33, v6, v21, v20
.LBB290_160:                            ;   in Loop: Header=BB290_10 Depth=1
	s_or_b32 exec_lo, exec_lo, s31
.LBB290_161:                            ;   in Loop: Header=BB290_10 Depth=1
	s_delay_alu instid0(SALU_CYCLE_1)
	s_or_b32 exec_lo, exec_lo, s30
.LBB290_162:                            ;   in Loop: Header=BB290_10 Depth=1
	s_delay_alu instid0(SALU_CYCLE_1)
	s_or_b32 exec_lo, exec_lo, s29
	v_dual_mov_b32 v35, 0 :: v_dual_mov_b32 v36, 0
	s_mov_b32 s29, exec_lo
	v_cmpx_lt_u32_e32 0xffffff, v4
	s_cbranch_execz .LBB290_170
; %bb.163:                              ;   in Loop: Header=BB290_10 Depth=1
	v_lshrrev_b32_e32 v6, 24, v4
	v_bfrev_b32_e32 v36, 1
	s_mov_b32 s30, exec_lo
	s_delay_alu instid0(VALU_DEP_2)
	v_cmpx_ne_u32_e32 0x80, v6
	s_cbranch_execz .LBB290_169
; %bb.164:                              ;   in Loop: Header=BB290_10 Depth=1
	v_and_b32_e32 v22, 0x7f, v6
	v_mov_b32_e32 v36, 0x7c010000
	s_mov_b32 s31, exec_lo
	s_delay_alu instid0(VALU_DEP_2)
	v_cmpx_ne_u32_e32 0x7f, v22
	s_cbranch_execz .LBB290_168
; %bb.165:                              ;   in Loop: Header=BB290_10 Depth=1
	v_and_b32_e32 v20, 7, v6
	v_lshrrev_b32_e32 v21, 3, v22
	s_mov_b32 s33, exec_lo
	v_cmpx_gt_u32_e32 8, v22
; %bb.166:                              ;   in Loop: Header=BB290_10 Depth=1
	s_delay_alu instid0(VALU_DEP_3) | instskip(NEXT) | instid1(VALU_DEP_1)
	v_clz_i32_u32_e32 v20, v20
	v_min_u32_e32 v22, 32, v20
	s_delay_alu instid0(VALU_DEP_1) | instskip(NEXT) | instid1(VALU_DEP_1)
	v_subrev_nc_u32_e32 v20, 28, v22
	v_lshlrev_b64_e32 v[20:21], v20, v[6:7]
	s_delay_alu instid0(VALU_DEP_1)
	v_dual_sub_nc_u32 v21, 29, v22 :: v_dual_bitop2_b32 v20, 7, v20 bitop3:0x40
; %bb.167:                              ;   in Loop: Header=BB290_10 Depth=1
	s_or_b32 exec_lo, exec_lo, s33
	s_delay_alu instid0(VALU_DEP_1) | instskip(NEXT) | instid1(VALU_DEP_2)
	v_dual_lshlrev_b32 v6, 8, v6 :: v_dual_lshlrev_b32 v20, 23, v20
	v_lshl_add_u32 v21, v21, 10, 0x2000
	s_delay_alu instid0(VALU_DEP_1) | instskip(NEXT) | instid1(VALU_DEP_1)
	v_and_or_b32 v6, 0x8000, v6, v21
	v_lshl_or_b32 v36, v6, 16, v20
.LBB290_168:                            ;   in Loop: Header=BB290_10 Depth=1
	s_or_b32 exec_lo, exec_lo, s31
.LBB290_169:                            ;   in Loop: Header=BB290_10 Depth=1
	s_delay_alu instid0(SALU_CYCLE_1)
	s_or_b32 exec_lo, exec_lo, s30
.LBB290_170:                            ;   in Loop: Header=BB290_10 Depth=1
	s_delay_alu instid0(SALU_CYCLE_1) | instskip(SKIP_3) | instid1(VALU_DEP_2)
	s_or_b32 exec_lo, exec_lo, s29
	v_and_b32_e32 v20, 0xff, v5
	v_mov_b32_e32 v6, v5
	s_mov_b32 s29, exec_lo
	v_cmpx_ne_u16_e32 0, v20
	s_cbranch_execz .LBB290_178
; %bb.171:                              ;   in Loop: Header=BB290_10 Depth=1
	v_mov_b32_e32 v35, 0x8000
	s_mov_b32 s30, exec_lo
	v_cmpx_ne_u16_e32 0x80, v20
	s_cbranch_execz .LBB290_177
; %bb.172:                              ;   in Loop: Header=BB290_10 Depth=1
	v_and_b32_e32 v22, 0x7f, v5
	v_mov_b32_e32 v35, 0x7c01
	s_mov_b32 s31, exec_lo
	s_delay_alu instid0(VALU_DEP_2)
	v_cmpx_ne_u32_e32 0x7f, v22
	s_cbranch_execz .LBB290_176
; %bb.173:                              ;   in Loop: Header=BB290_10 Depth=1
	v_dual_lshrrev_b32 v21, 3, v22 :: v_dual_bitop2_b32 v20, 7, v5 bitop3:0x40
	s_mov_b32 s33, exec_lo
	v_cmpx_gt_u32_e32 8, v22
; %bb.174:                              ;   in Loop: Header=BB290_10 Depth=1
	s_delay_alu instid0(VALU_DEP_2) | instskip(NEXT) | instid1(VALU_DEP_1)
	v_clz_i32_u32_e32 v20, v20
	v_min_u32_e32 v22, 32, v20
	s_delay_alu instid0(VALU_DEP_1) | instskip(NEXT) | instid1(VALU_DEP_1)
	v_subrev_nc_u32_e32 v20, 28, v22
	v_lshlrev_b64_e32 v[20:21], v20, v[6:7]
	s_delay_alu instid0(VALU_DEP_1)
	v_dual_sub_nc_u32 v21, 29, v22 :: v_dual_bitop2_b32 v20, 7, v20 bitop3:0x40
; %bb.175:                              ;   in Loop: Header=BB290_10 Depth=1
	s_or_b32 exec_lo, exec_lo, s33
	s_delay_alu instid0(VALU_DEP_1) | instskip(NEXT) | instid1(VALU_DEP_2)
	v_dual_lshlrev_b32 v22, 8, v5 :: v_dual_lshlrev_b32 v20, 7, v20
	v_lshl_add_u32 v21, v21, 10, 0x2000
	s_delay_alu instid0(VALU_DEP_2) | instskip(NEXT) | instid1(VALU_DEP_2)
	v_and_b32_e32 v22, 0x8000, v22
	v_and_b32_e32 v21, 0xfc00, v21
	s_delay_alu instid0(VALU_DEP_1)
	v_or3_b32 v35, v22, v21, v20
.LBB290_176:                            ;   in Loop: Header=BB290_10 Depth=1
	s_or_b32 exec_lo, exec_lo, s31
.LBB290_177:                            ;   in Loop: Header=BB290_10 Depth=1
	s_delay_alu instid0(SALU_CYCLE_1)
	s_or_b32 exec_lo, exec_lo, s30
.LBB290_178:                            ;   in Loop: Header=BB290_10 Depth=1
	s_delay_alu instid0(SALU_CYCLE_1) | instskip(SKIP_3) | instid1(VALU_DEP_2)
	s_or_b32 exec_lo, exec_lo, s29
	v_lshrrev_b16 v6, 8, v6
	v_dual_mov_b32 v38, 0 :: v_dual_mov_b32 v37, 0
	s_mov_b32 s29, exec_lo
	v_cmpx_ne_u16_e32 0, v6
	s_cbranch_execz .LBB290_186
; %bb.179:                              ;   in Loop: Header=BB290_10 Depth=1
	v_bfrev_b32_e32 v37, 1
	s_mov_b32 s30, exec_lo
	v_cmpx_ne_u16_e32 0x80, v6
	s_cbranch_execz .LBB290_185
; %bb.180:                              ;   in Loop: Header=BB290_10 Depth=1
	v_and_b32_e32 v20, 0xffff, v6
	v_mov_b32_e32 v37, 0x7c010000
	s_mov_b32 s31, exec_lo
	s_delay_alu instid0(VALU_DEP_2) | instskip(NEXT) | instid1(VALU_DEP_1)
	v_and_b32_e32 v23, 0x7f, v20
	v_cmpx_ne_u32_e32 0x7f, v23
	s_cbranch_execz .LBB290_184
; %bb.181:                              ;   in Loop: Header=BB290_10 Depth=1
	v_dual_lshrrev_b32 v22, 3, v23 :: v_dual_bitop2_b32 v21, 7, v20 bitop3:0x40
	s_mov_b32 s33, exec_lo
	v_cmpx_gt_u32_e32 8, v23
; %bb.182:                              ;   in Loop: Header=BB290_10 Depth=1
	s_delay_alu instid0(VALU_DEP_2) | instskip(NEXT) | instid1(VALU_DEP_1)
	v_clz_i32_u32_e32 v21, v21
	v_min_u32_e32 v21, 32, v21
	s_delay_alu instid0(VALU_DEP_1) | instskip(NEXT) | instid1(VALU_DEP_1)
	v_subrev_nc_u32_e32 v22, 28, v21
	v_lshlrev_b64_e32 v[40:41], v22, v[6:7]
	s_delay_alu instid0(VALU_DEP_1)
	v_dual_sub_nc_u32 v22, 29, v21 :: v_dual_bitop2_b32 v21, 7, v40 bitop3:0x40
; %bb.183:                              ;   in Loop: Header=BB290_10 Depth=1
	s_or_b32 exec_lo, exec_lo, s33
	v_lshlrev_b32_e32 v6, 8, v20
	s_delay_alu instid0(VALU_DEP_2) | instskip(NEXT) | instid1(VALU_DEP_1)
	v_lshl_add_u32 v20, v22, 10, 0x2000
	v_and_or_b32 v6, 0x8000, v6, v20
	v_lshlrev_b32_e32 v20, 23, v21
	s_delay_alu instid0(VALU_DEP_1)
	v_lshl_or_b32 v37, v6, 16, v20
.LBB290_184:                            ;   in Loop: Header=BB290_10 Depth=1
	s_or_b32 exec_lo, exec_lo, s31
.LBB290_185:                            ;   in Loop: Header=BB290_10 Depth=1
	s_delay_alu instid0(SALU_CYCLE_1)
	s_or_b32 exec_lo, exec_lo, s30
.LBB290_186:                            ;   in Loop: Header=BB290_10 Depth=1
	s_delay_alu instid0(SALU_CYCLE_1) | instskip(SKIP_2) | instid1(VALU_DEP_1)
	s_or_b32 exec_lo, exec_lo, s29
	v_lshrrev_b32_e32 v6, 16, v5
	s_mov_b32 s29, exec_lo
	v_and_b32_e32 v20, 0xff, v6
	s_delay_alu instid0(VALU_DEP_1)
	v_cmpx_ne_u16_e32 0, v20
	s_cbranch_execz .LBB290_194
; %bb.187:                              ;   in Loop: Header=BB290_10 Depth=1
	v_mov_b32_e32 v38, 0x8000
	s_mov_b32 s30, exec_lo
	v_cmpx_ne_u16_e32 0x80, v20
	s_cbranch_execz .LBB290_193
; %bb.188:                              ;   in Loop: Header=BB290_10 Depth=1
	v_bfe_u32 v22, v5, 16, 7
	v_mov_b32_e32 v38, 0x7c01
	s_mov_b32 s31, exec_lo
	s_delay_alu instid0(VALU_DEP_2)
	v_cmpx_ne_u32_e32 0x7f, v22
	s_cbranch_execz .LBB290_192
; %bb.189:                              ;   in Loop: Header=BB290_10 Depth=1
	v_and_b32_e32 v20, 7, v6
	v_lshrrev_b32_e32 v21, 3, v22
	s_mov_b32 s33, exec_lo
	v_cmpx_gt_u32_e32 8, v22
; %bb.190:                              ;   in Loop: Header=BB290_10 Depth=1
	s_delay_alu instid0(VALU_DEP_3) | instskip(NEXT) | instid1(VALU_DEP_1)
	v_clz_i32_u32_e32 v20, v20
	v_min_u32_e32 v22, 32, v20
	s_delay_alu instid0(VALU_DEP_1) | instskip(NEXT) | instid1(VALU_DEP_1)
	v_subrev_nc_u32_e32 v20, 28, v22
	v_lshlrev_b64_e32 v[20:21], v20, v[6:7]
	s_delay_alu instid0(VALU_DEP_1)
	v_dual_sub_nc_u32 v21, 29, v22 :: v_dual_bitop2_b32 v20, 7, v20 bitop3:0x40
; %bb.191:                              ;   in Loop: Header=BB290_10 Depth=1
	s_or_b32 exec_lo, exec_lo, s33
	s_delay_alu instid0(VALU_DEP_1) | instskip(NEXT) | instid1(VALU_DEP_2)
	v_dual_lshlrev_b32 v6, 8, v6 :: v_dual_lshlrev_b32 v20, 7, v20
	v_lshl_add_u32 v21, v21, 10, 0x2000
	s_delay_alu instid0(VALU_DEP_2) | instskip(NEXT) | instid1(VALU_DEP_2)
	v_and_b32_e32 v6, 0x8000, v6
	v_and_b32_e32 v21, 0xfc00, v21
	s_delay_alu instid0(VALU_DEP_1)
	v_or3_b32 v38, v6, v21, v20
.LBB290_192:                            ;   in Loop: Header=BB290_10 Depth=1
	s_or_b32 exec_lo, exec_lo, s31
.LBB290_193:                            ;   in Loop: Header=BB290_10 Depth=1
	s_delay_alu instid0(SALU_CYCLE_1)
	s_or_b32 exec_lo, exec_lo, s30
.LBB290_194:                            ;   in Loop: Header=BB290_10 Depth=1
	s_delay_alu instid0(SALU_CYCLE_1)
	s_or_b32 exec_lo, exec_lo, s29
	v_dual_mov_b32 v48, 0 :: v_dual_mov_b32 v39, 0
	s_mov_b32 s29, exec_lo
	v_cmpx_lt_u64_e64 s[20:21], v[4:5]
	s_cbranch_execz .LBB290_202
; %bb.195:                              ;   in Loop: Header=BB290_10 Depth=1
	v_lshrrev_b32_e32 v6, 24, v5
	v_bfrev_b32_e32 v39, 1
	s_mov_b32 s30, exec_lo
	s_delay_alu instid0(VALU_DEP_2)
	v_cmpx_ne_u32_e32 0x80, v6
	s_cbranch_execz .LBB290_201
; %bb.196:                              ;   in Loop: Header=BB290_10 Depth=1
	v_and_b32_e32 v20, 0x7f, v6
	v_mov_b32_e32 v39, 0x7c010000
	s_mov_b32 s31, exec_lo
	s_delay_alu instid0(VALU_DEP_2)
	v_cmpx_ne_u32_e32 0x7f, v20
	s_cbranch_execz .LBB290_200
; %bb.197:                              ;   in Loop: Header=BB290_10 Depth=1
	v_dual_lshrrev_b32 v5, 3, v20 :: v_dual_bitop2_b32 v4, 7, v6 bitop3:0x40
	s_mov_b32 s33, exec_lo
	v_cmpx_gt_u32_e32 8, v20
; %bb.198:                              ;   in Loop: Header=BB290_10 Depth=1
	s_delay_alu instid0(VALU_DEP_2) | instskip(NEXT) | instid1(VALU_DEP_1)
	v_clz_i32_u32_e32 v4, v4
	v_min_u32_e32 v20, 32, v4
	s_delay_alu instid0(VALU_DEP_1) | instskip(NEXT) | instid1(VALU_DEP_1)
	v_subrev_nc_u32_e32 v4, 28, v20
	v_lshlrev_b64_e32 v[4:5], v4, v[6:7]
	v_sub_nc_u32_e32 v5, 29, v20
	s_delay_alu instid0(VALU_DEP_2)
	v_and_b32_e32 v4, 7, v4
; %bb.199:                              ;   in Loop: Header=BB290_10 Depth=1
	s_or_b32 exec_lo, exec_lo, s33
	s_delay_alu instid0(VALU_DEP_1) | instskip(NEXT) | instid1(VALU_DEP_3)
	v_dual_lshlrev_b32 v6, 8, v6 :: v_dual_lshlrev_b32 v4, 23, v4
	v_lshl_add_u32 v5, v5, 10, 0x2000
	s_delay_alu instid0(VALU_DEP_1) | instskip(NEXT) | instid1(VALU_DEP_1)
	v_and_or_b32 v5, 0x8000, v6, v5
	v_lshl_or_b32 v39, v5, 16, v4
.LBB290_200:                            ;   in Loop: Header=BB290_10 Depth=1
	s_or_b32 exec_lo, exec_lo, s31
.LBB290_201:                            ;   in Loop: Header=BB290_10 Depth=1
	s_delay_alu instid0(SALU_CYCLE_1)
	s_or_b32 exec_lo, exec_lo, s30
.LBB290_202:                            ;   in Loop: Header=BB290_10 Depth=1
	s_delay_alu instid0(SALU_CYCLE_1)
	s_or_b32 exec_lo, exec_lo, s29
	global_load_b64 v[4:5], v[2:3], off offset:520
	s_mov_b32 s29, exec_lo
	s_wait_loadcnt 0x0
	v_and_b32_e32 v6, 0xff, v4
	s_wait_xcnt 0x0
	s_delay_alu instid0(VALU_DEP_1)
	v_cmpx_ne_u16_e32 0, v6
	s_cbranch_execz .LBB290_210
; %bb.203:                              ;   in Loop: Header=BB290_10 Depth=1
	v_mov_b32_e32 v48, 0x8000
	s_mov_b32 s30, exec_lo
	v_cmpx_ne_u16_e32 0x80, v6
	s_cbranch_execz .LBB290_209
; %bb.204:                              ;   in Loop: Header=BB290_10 Depth=1
	v_and_b32_e32 v21, 0x7f, v4
	v_mov_b32_e32 v48, 0x7c01
	s_mov_b32 s31, exec_lo
	s_delay_alu instid0(VALU_DEP_2)
	v_cmpx_ne_u32_e32 0x7f, v21
	s_cbranch_execz .LBB290_208
; %bb.205:                              ;   in Loop: Header=BB290_10 Depth=1
	v_dual_lshrrev_b32 v20, 3, v21 :: v_dual_bitop2_b32 v6, 7, v4 bitop3:0x40
	s_mov_b32 s33, exec_lo
	v_cmpx_gt_u32_e32 8, v21
; %bb.206:                              ;   in Loop: Header=BB290_10 Depth=1
	s_delay_alu instid0(VALU_DEP_2) | instskip(NEXT) | instid1(VALU_DEP_1)
	v_clz_i32_u32_e32 v6, v6
	v_min_u32_e32 v6, 32, v6
	s_delay_alu instid0(VALU_DEP_1) | instskip(NEXT) | instid1(VALU_DEP_1)
	v_subrev_nc_u32_e32 v20, 28, v6
	v_lshlrev_b64_e32 v[22:23], v20, v[4:5]
	v_sub_nc_u32_e32 v20, 29, v6
	s_delay_alu instid0(VALU_DEP_2)
	v_and_b32_e32 v6, 7, v22
; %bb.207:                              ;   in Loop: Header=BB290_10 Depth=1
	s_or_b32 exec_lo, exec_lo, s33
	s_delay_alu instid0(VALU_DEP_1) | instskip(NEXT) | instid1(VALU_DEP_3)
	v_dual_lshlrev_b32 v21, 8, v4 :: v_dual_lshlrev_b32 v6, 7, v6
	v_lshl_add_u32 v20, v20, 10, 0x2000
	s_delay_alu instid0(VALU_DEP_2) | instskip(NEXT) | instid1(VALU_DEP_2)
	v_and_b32_e32 v21, 0x8000, v21
	v_and_b32_e32 v20, 0xfc00, v20
	s_delay_alu instid0(VALU_DEP_1)
	v_or3_b32 v48, v21, v20, v6
.LBB290_208:                            ;   in Loop: Header=BB290_10 Depth=1
	s_or_b32 exec_lo, exec_lo, s31
.LBB290_209:                            ;   in Loop: Header=BB290_10 Depth=1
	s_delay_alu instid0(SALU_CYCLE_1)
	s_or_b32 exec_lo, exec_lo, s30
.LBB290_210:                            ;   in Loop: Header=BB290_10 Depth=1
	s_delay_alu instid0(SALU_CYCLE_1) | instskip(SKIP_3) | instid1(VALU_DEP_2)
	s_or_b32 exec_lo, exec_lo, s29
	v_lshrrev_b16 v6, 8, v4
	v_dual_mov_b32 v49, 0 :: v_dual_mov_b32 v50, 0
	s_mov_b32 s29, exec_lo
	v_cmpx_ne_u16_e32 0, v6
	s_cbranch_execz .LBB290_218
; %bb.211:                              ;   in Loop: Header=BB290_10 Depth=1
	v_bfrev_b32_e32 v50, 1
	s_mov_b32 s30, exec_lo
	v_cmpx_ne_u16_e32 0x80, v6
	s_cbranch_execz .LBB290_217
; %bb.212:                              ;   in Loop: Header=BB290_10 Depth=1
	v_and_b32_e32 v20, 0xffff, v6
	v_mov_b32_e32 v50, 0x7c010000
	s_mov_b32 s31, exec_lo
	s_delay_alu instid0(VALU_DEP_2) | instskip(NEXT) | instid1(VALU_DEP_1)
	v_and_b32_e32 v23, 0x7f, v20
	v_cmpx_ne_u32_e32 0x7f, v23
	s_cbranch_execz .LBB290_216
; %bb.213:                              ;   in Loop: Header=BB290_10 Depth=1
	v_dual_lshrrev_b32 v22, 3, v23 :: v_dual_bitop2_b32 v21, 7, v20 bitop3:0x40
	s_mov_b32 s33, exec_lo
	v_cmpx_gt_u32_e32 8, v23
; %bb.214:                              ;   in Loop: Header=BB290_10 Depth=1
	s_delay_alu instid0(VALU_DEP_2) | instskip(NEXT) | instid1(VALU_DEP_1)
	v_clz_i32_u32_e32 v21, v21
	v_min_u32_e32 v21, 32, v21
	s_delay_alu instid0(VALU_DEP_1) | instskip(NEXT) | instid1(VALU_DEP_1)
	v_subrev_nc_u32_e32 v22, 28, v21
	v_lshlrev_b64_e32 v[40:41], v22, v[6:7]
	s_delay_alu instid0(VALU_DEP_1)
	v_dual_sub_nc_u32 v22, 29, v21 :: v_dual_bitop2_b32 v21, 7, v40 bitop3:0x40
; %bb.215:                              ;   in Loop: Header=BB290_10 Depth=1
	s_or_b32 exec_lo, exec_lo, s33
	v_lshlrev_b32_e32 v6, 8, v20
	s_delay_alu instid0(VALU_DEP_2) | instskip(NEXT) | instid1(VALU_DEP_1)
	v_lshl_add_u32 v20, v22, 10, 0x2000
	v_and_or_b32 v6, 0x8000, v6, v20
	v_lshlrev_b32_e32 v20, 23, v21
	s_delay_alu instid0(VALU_DEP_1)
	v_lshl_or_b32 v50, v6, 16, v20
.LBB290_216:                            ;   in Loop: Header=BB290_10 Depth=1
	s_or_b32 exec_lo, exec_lo, s31
.LBB290_217:                            ;   in Loop: Header=BB290_10 Depth=1
	s_delay_alu instid0(SALU_CYCLE_1)
	s_or_b32 exec_lo, exec_lo, s30
.LBB290_218:                            ;   in Loop: Header=BB290_10 Depth=1
	s_delay_alu instid0(SALU_CYCLE_1) | instskip(SKIP_2) | instid1(VALU_DEP_1)
	s_or_b32 exec_lo, exec_lo, s29
	v_lshrrev_b32_e32 v6, 16, v4
	s_mov_b32 s29, exec_lo
	v_and_b32_e32 v20, 0xff, v6
	s_delay_alu instid0(VALU_DEP_1)
	v_cmpx_ne_u16_e32 0, v20
	s_cbranch_execz .LBB290_226
; %bb.219:                              ;   in Loop: Header=BB290_10 Depth=1
	v_mov_b32_e32 v49, 0x8000
	s_mov_b32 s30, exec_lo
	v_cmpx_ne_u16_e32 0x80, v20
	s_cbranch_execz .LBB290_225
; %bb.220:                              ;   in Loop: Header=BB290_10 Depth=1
	v_bfe_u32 v22, v4, 16, 7
	v_mov_b32_e32 v49, 0x7c01
	s_mov_b32 s31, exec_lo
	s_delay_alu instid0(VALU_DEP_2)
	v_cmpx_ne_u32_e32 0x7f, v22
	s_cbranch_execz .LBB290_224
; %bb.221:                              ;   in Loop: Header=BB290_10 Depth=1
	v_and_b32_e32 v20, 7, v6
	v_lshrrev_b32_e32 v21, 3, v22
	s_mov_b32 s33, exec_lo
	v_cmpx_gt_u32_e32 8, v22
; %bb.222:                              ;   in Loop: Header=BB290_10 Depth=1
	s_delay_alu instid0(VALU_DEP_3) | instskip(NEXT) | instid1(VALU_DEP_1)
	v_clz_i32_u32_e32 v20, v20
	v_min_u32_e32 v22, 32, v20
	s_delay_alu instid0(VALU_DEP_1) | instskip(NEXT) | instid1(VALU_DEP_1)
	v_subrev_nc_u32_e32 v20, 28, v22
	v_lshlrev_b64_e32 v[20:21], v20, v[6:7]
	s_delay_alu instid0(VALU_DEP_1)
	v_dual_sub_nc_u32 v21, 29, v22 :: v_dual_bitop2_b32 v20, 7, v20 bitop3:0x40
; %bb.223:                              ;   in Loop: Header=BB290_10 Depth=1
	s_or_b32 exec_lo, exec_lo, s33
	s_delay_alu instid0(VALU_DEP_1) | instskip(NEXT) | instid1(VALU_DEP_2)
	v_dual_lshlrev_b32 v6, 8, v6 :: v_dual_lshlrev_b32 v20, 7, v20
	v_lshl_add_u32 v21, v21, 10, 0x2000
	s_delay_alu instid0(VALU_DEP_2) | instskip(NEXT) | instid1(VALU_DEP_2)
	v_and_b32_e32 v6, 0x8000, v6
	v_and_b32_e32 v21, 0xfc00, v21
	s_delay_alu instid0(VALU_DEP_1)
	v_or3_b32 v49, v6, v21, v20
.LBB290_224:                            ;   in Loop: Header=BB290_10 Depth=1
	s_or_b32 exec_lo, exec_lo, s31
.LBB290_225:                            ;   in Loop: Header=BB290_10 Depth=1
	s_delay_alu instid0(SALU_CYCLE_1)
	s_or_b32 exec_lo, exec_lo, s30
.LBB290_226:                            ;   in Loop: Header=BB290_10 Depth=1
	s_delay_alu instid0(SALU_CYCLE_1)
	s_or_b32 exec_lo, exec_lo, s29
	v_dual_mov_b32 v51, 0 :: v_dual_mov_b32 v56, 0
	s_mov_b32 s29, exec_lo
	v_cmpx_lt_u32_e32 0xffffff, v4
	s_cbranch_execz .LBB290_234
; %bb.227:                              ;   in Loop: Header=BB290_10 Depth=1
	v_lshrrev_b32_e32 v6, 24, v4
	v_bfrev_b32_e32 v56, 1
	s_mov_b32 s30, exec_lo
	s_delay_alu instid0(VALU_DEP_2)
	v_cmpx_ne_u32_e32 0x80, v6
	s_cbranch_execz .LBB290_233
; %bb.228:                              ;   in Loop: Header=BB290_10 Depth=1
	v_and_b32_e32 v22, 0x7f, v6
	v_mov_b32_e32 v56, 0x7c010000
	s_mov_b32 s31, exec_lo
	s_delay_alu instid0(VALU_DEP_2)
	v_cmpx_ne_u32_e32 0x7f, v22
	s_cbranch_execz .LBB290_232
; %bb.229:                              ;   in Loop: Header=BB290_10 Depth=1
	v_and_b32_e32 v20, 7, v6
	v_lshrrev_b32_e32 v21, 3, v22
	s_mov_b32 s33, exec_lo
	v_cmpx_gt_u32_e32 8, v22
; %bb.230:                              ;   in Loop: Header=BB290_10 Depth=1
	s_delay_alu instid0(VALU_DEP_3) | instskip(NEXT) | instid1(VALU_DEP_1)
	v_clz_i32_u32_e32 v20, v20
	v_min_u32_e32 v22, 32, v20
	s_delay_alu instid0(VALU_DEP_1) | instskip(NEXT) | instid1(VALU_DEP_1)
	v_subrev_nc_u32_e32 v20, 28, v22
	v_lshlrev_b64_e32 v[20:21], v20, v[6:7]
	s_delay_alu instid0(VALU_DEP_1)
	v_dual_sub_nc_u32 v21, 29, v22 :: v_dual_bitop2_b32 v20, 7, v20 bitop3:0x40
; %bb.231:                              ;   in Loop: Header=BB290_10 Depth=1
	s_or_b32 exec_lo, exec_lo, s33
	s_delay_alu instid0(VALU_DEP_1) | instskip(NEXT) | instid1(VALU_DEP_2)
	v_dual_lshlrev_b32 v6, 8, v6 :: v_dual_lshlrev_b32 v20, 23, v20
	v_lshl_add_u32 v21, v21, 10, 0x2000
	s_delay_alu instid0(VALU_DEP_1) | instskip(NEXT) | instid1(VALU_DEP_1)
	v_and_or_b32 v6, 0x8000, v6, v21
	v_lshl_or_b32 v56, v6, 16, v20
.LBB290_232:                            ;   in Loop: Header=BB290_10 Depth=1
	s_or_b32 exec_lo, exec_lo, s31
.LBB290_233:                            ;   in Loop: Header=BB290_10 Depth=1
	s_delay_alu instid0(SALU_CYCLE_1)
	s_or_b32 exec_lo, exec_lo, s30
.LBB290_234:                            ;   in Loop: Header=BB290_10 Depth=1
	s_delay_alu instid0(SALU_CYCLE_1) | instskip(SKIP_3) | instid1(VALU_DEP_2)
	s_or_b32 exec_lo, exec_lo, s29
	v_and_b32_e32 v20, 0xff, v5
	v_mov_b32_e32 v6, v5
	s_mov_b32 s29, exec_lo
	v_cmpx_ne_u16_e32 0, v20
	s_cbranch_execz .LBB290_242
; %bb.235:                              ;   in Loop: Header=BB290_10 Depth=1
	v_mov_b32_e32 v51, 0x8000
	s_mov_b32 s30, exec_lo
	v_cmpx_ne_u16_e32 0x80, v20
	s_cbranch_execz .LBB290_241
; %bb.236:                              ;   in Loop: Header=BB290_10 Depth=1
	v_and_b32_e32 v22, 0x7f, v5
	v_mov_b32_e32 v51, 0x7c01
	s_mov_b32 s31, exec_lo
	s_delay_alu instid0(VALU_DEP_2)
	v_cmpx_ne_u32_e32 0x7f, v22
	s_cbranch_execz .LBB290_240
; %bb.237:                              ;   in Loop: Header=BB290_10 Depth=1
	v_dual_lshrrev_b32 v21, 3, v22 :: v_dual_bitop2_b32 v20, 7, v5 bitop3:0x40
	s_mov_b32 s33, exec_lo
	v_cmpx_gt_u32_e32 8, v22
; %bb.238:                              ;   in Loop: Header=BB290_10 Depth=1
	s_delay_alu instid0(VALU_DEP_2) | instskip(NEXT) | instid1(VALU_DEP_1)
	v_clz_i32_u32_e32 v20, v20
	v_min_u32_e32 v22, 32, v20
	s_delay_alu instid0(VALU_DEP_1) | instskip(NEXT) | instid1(VALU_DEP_1)
	v_subrev_nc_u32_e32 v20, 28, v22
	v_lshlrev_b64_e32 v[20:21], v20, v[6:7]
	s_delay_alu instid0(VALU_DEP_1)
	v_dual_sub_nc_u32 v21, 29, v22 :: v_dual_bitop2_b32 v20, 7, v20 bitop3:0x40
; %bb.239:                              ;   in Loop: Header=BB290_10 Depth=1
	s_or_b32 exec_lo, exec_lo, s33
	s_delay_alu instid0(VALU_DEP_1) | instskip(NEXT) | instid1(VALU_DEP_2)
	v_dual_lshlrev_b32 v22, 8, v5 :: v_dual_lshlrev_b32 v20, 7, v20
	v_lshl_add_u32 v21, v21, 10, 0x2000
	s_delay_alu instid0(VALU_DEP_2) | instskip(NEXT) | instid1(VALU_DEP_2)
	v_and_b32_e32 v22, 0x8000, v22
	v_and_b32_e32 v21, 0xfc00, v21
	s_delay_alu instid0(VALU_DEP_1)
	v_or3_b32 v51, v22, v21, v20
.LBB290_240:                            ;   in Loop: Header=BB290_10 Depth=1
	s_or_b32 exec_lo, exec_lo, s31
.LBB290_241:                            ;   in Loop: Header=BB290_10 Depth=1
	s_delay_alu instid0(SALU_CYCLE_1)
	s_or_b32 exec_lo, exec_lo, s30
.LBB290_242:                            ;   in Loop: Header=BB290_10 Depth=1
	s_delay_alu instid0(SALU_CYCLE_1) | instskip(SKIP_3) | instid1(VALU_DEP_2)
	s_or_b32 exec_lo, exec_lo, s29
	v_lshrrev_b16 v6, 8, v6
	v_dual_mov_b32 v58, 0 :: v_dual_mov_b32 v64, 0
	s_mov_b32 s29, exec_lo
	v_cmpx_ne_u16_e32 0, v6
	s_cbranch_execz .LBB290_250
; %bb.243:                              ;   in Loop: Header=BB290_10 Depth=1
	v_bfrev_b32_e32 v64, 1
	s_mov_b32 s30, exec_lo
	v_cmpx_ne_u16_e32 0x80, v6
	s_cbranch_execz .LBB290_249
; %bb.244:                              ;   in Loop: Header=BB290_10 Depth=1
	v_and_b32_e32 v20, 0xffff, v6
	v_mov_b32_e32 v64, 0x7c010000
	s_mov_b32 s31, exec_lo
	s_delay_alu instid0(VALU_DEP_2) | instskip(NEXT) | instid1(VALU_DEP_1)
	v_and_b32_e32 v23, 0x7f, v20
	v_cmpx_ne_u32_e32 0x7f, v23
	s_cbranch_execz .LBB290_248
; %bb.245:                              ;   in Loop: Header=BB290_10 Depth=1
	v_dual_lshrrev_b32 v22, 3, v23 :: v_dual_bitop2_b32 v21, 7, v20 bitop3:0x40
	s_mov_b32 s33, exec_lo
	v_cmpx_gt_u32_e32 8, v23
; %bb.246:                              ;   in Loop: Header=BB290_10 Depth=1
	s_delay_alu instid0(VALU_DEP_2) | instskip(NEXT) | instid1(VALU_DEP_1)
	v_clz_i32_u32_e32 v21, v21
	v_min_u32_e32 v21, 32, v21
	s_delay_alu instid0(VALU_DEP_1) | instskip(NEXT) | instid1(VALU_DEP_1)
	v_subrev_nc_u32_e32 v22, 28, v21
	v_lshlrev_b64_e32 v[40:41], v22, v[6:7]
	s_delay_alu instid0(VALU_DEP_1)
	v_dual_sub_nc_u32 v22, 29, v21 :: v_dual_bitop2_b32 v21, 7, v40 bitop3:0x40
; %bb.247:                              ;   in Loop: Header=BB290_10 Depth=1
	s_or_b32 exec_lo, exec_lo, s33
	v_lshlrev_b32_e32 v6, 8, v20
	s_delay_alu instid0(VALU_DEP_2) | instskip(NEXT) | instid1(VALU_DEP_1)
	v_lshl_add_u32 v20, v22, 10, 0x2000
	v_and_or_b32 v6, 0x8000, v6, v20
	v_lshlrev_b32_e32 v20, 23, v21
	s_delay_alu instid0(VALU_DEP_1)
	v_lshl_or_b32 v64, v6, 16, v20
.LBB290_248:                            ;   in Loop: Header=BB290_10 Depth=1
	s_or_b32 exec_lo, exec_lo, s31
.LBB290_249:                            ;   in Loop: Header=BB290_10 Depth=1
	s_delay_alu instid0(SALU_CYCLE_1)
	s_or_b32 exec_lo, exec_lo, s30
.LBB290_250:                            ;   in Loop: Header=BB290_10 Depth=1
	s_delay_alu instid0(SALU_CYCLE_1) | instskip(SKIP_2) | instid1(VALU_DEP_1)
	s_or_b32 exec_lo, exec_lo, s29
	v_lshrrev_b32_e32 v6, 16, v5
	s_mov_b32 s29, exec_lo
	v_and_b32_e32 v20, 0xff, v6
	s_delay_alu instid0(VALU_DEP_1)
	v_cmpx_ne_u16_e32 0, v20
	s_cbranch_execz .LBB290_258
; %bb.251:                              ;   in Loop: Header=BB290_10 Depth=1
	v_mov_b32_e32 v58, 0x8000
	s_mov_b32 s30, exec_lo
	v_cmpx_ne_u16_e32 0x80, v20
	s_cbranch_execz .LBB290_257
; %bb.252:                              ;   in Loop: Header=BB290_10 Depth=1
	v_bfe_u32 v22, v5, 16, 7
	v_mov_b32_e32 v58, 0x7c01
	s_mov_b32 s31, exec_lo
	s_delay_alu instid0(VALU_DEP_2)
	v_cmpx_ne_u32_e32 0x7f, v22
	s_cbranch_execz .LBB290_256
; %bb.253:                              ;   in Loop: Header=BB290_10 Depth=1
	v_and_b32_e32 v20, 7, v6
	v_lshrrev_b32_e32 v21, 3, v22
	s_mov_b32 s33, exec_lo
	v_cmpx_gt_u32_e32 8, v22
; %bb.254:                              ;   in Loop: Header=BB290_10 Depth=1
	s_delay_alu instid0(VALU_DEP_3) | instskip(NEXT) | instid1(VALU_DEP_1)
	v_clz_i32_u32_e32 v20, v20
	v_min_u32_e32 v22, 32, v20
	s_delay_alu instid0(VALU_DEP_1) | instskip(NEXT) | instid1(VALU_DEP_1)
	v_subrev_nc_u32_e32 v20, 28, v22
	v_lshlrev_b64_e32 v[20:21], v20, v[6:7]
	s_delay_alu instid0(VALU_DEP_1)
	v_dual_sub_nc_u32 v21, 29, v22 :: v_dual_bitop2_b32 v20, 7, v20 bitop3:0x40
; %bb.255:                              ;   in Loop: Header=BB290_10 Depth=1
	s_or_b32 exec_lo, exec_lo, s33
	s_delay_alu instid0(VALU_DEP_1) | instskip(NEXT) | instid1(VALU_DEP_2)
	v_dual_lshlrev_b32 v6, 8, v6 :: v_dual_lshlrev_b32 v20, 7, v20
	v_lshl_add_u32 v21, v21, 10, 0x2000
	s_delay_alu instid0(VALU_DEP_2) | instskip(NEXT) | instid1(VALU_DEP_2)
	v_and_b32_e32 v6, 0x8000, v6
	v_and_b32_e32 v21, 0xfc00, v21
	s_delay_alu instid0(VALU_DEP_1)
	v_or3_b32 v58, v6, v21, v20
.LBB290_256:                            ;   in Loop: Header=BB290_10 Depth=1
	s_or_b32 exec_lo, exec_lo, s31
.LBB290_257:                            ;   in Loop: Header=BB290_10 Depth=1
	s_delay_alu instid0(SALU_CYCLE_1)
	s_or_b32 exec_lo, exec_lo, s30
.LBB290_258:                            ;   in Loop: Header=BB290_10 Depth=1
	s_delay_alu instid0(SALU_CYCLE_1)
	s_or_b32 exec_lo, exec_lo, s29
	v_dual_mov_b32 v65, 0 :: v_dual_mov_b32 v66, 0
	s_mov_b32 s29, exec_lo
	v_cmpx_lt_u64_e64 s[20:21], v[4:5]
	s_cbranch_execz .LBB290_266
; %bb.259:                              ;   in Loop: Header=BB290_10 Depth=1
	v_lshrrev_b32_e32 v6, 24, v5
	v_bfrev_b32_e32 v66, 1
	s_mov_b32 s30, exec_lo
	s_delay_alu instid0(VALU_DEP_2)
	v_cmpx_ne_u32_e32 0x80, v6
	s_cbranch_execz .LBB290_265
; %bb.260:                              ;   in Loop: Header=BB290_10 Depth=1
	v_and_b32_e32 v20, 0x7f, v6
	v_mov_b32_e32 v66, 0x7c010000
	s_mov_b32 s31, exec_lo
	s_delay_alu instid0(VALU_DEP_2)
	v_cmpx_ne_u32_e32 0x7f, v20
	s_cbranch_execz .LBB290_264
; %bb.261:                              ;   in Loop: Header=BB290_10 Depth=1
	v_dual_lshrrev_b32 v5, 3, v20 :: v_dual_bitop2_b32 v4, 7, v6 bitop3:0x40
	s_mov_b32 s33, exec_lo
	v_cmpx_gt_u32_e32 8, v20
; %bb.262:                              ;   in Loop: Header=BB290_10 Depth=1
	s_delay_alu instid0(VALU_DEP_2) | instskip(NEXT) | instid1(VALU_DEP_1)
	v_clz_i32_u32_e32 v4, v4
	v_min_u32_e32 v20, 32, v4
	s_delay_alu instid0(VALU_DEP_1) | instskip(NEXT) | instid1(VALU_DEP_1)
	v_subrev_nc_u32_e32 v4, 28, v20
	v_lshlrev_b64_e32 v[4:5], v4, v[6:7]
	v_sub_nc_u32_e32 v5, 29, v20
	s_delay_alu instid0(VALU_DEP_2)
	v_and_b32_e32 v4, 7, v4
; %bb.263:                              ;   in Loop: Header=BB290_10 Depth=1
	s_or_b32 exec_lo, exec_lo, s33
	s_delay_alu instid0(VALU_DEP_1) | instskip(NEXT) | instid1(VALU_DEP_3)
	v_dual_lshlrev_b32 v6, 8, v6 :: v_dual_lshlrev_b32 v4, 23, v4
	v_lshl_add_u32 v5, v5, 10, 0x2000
	s_delay_alu instid0(VALU_DEP_1) | instskip(NEXT) | instid1(VALU_DEP_1)
	v_and_or_b32 v5, 0x8000, v6, v5
	v_lshl_or_b32 v66, v5, 16, v4
.LBB290_264:                            ;   in Loop: Header=BB290_10 Depth=1
	s_or_b32 exec_lo, exec_lo, s31
.LBB290_265:                            ;   in Loop: Header=BB290_10 Depth=1
	s_delay_alu instid0(SALU_CYCLE_1)
	s_or_b32 exec_lo, exec_lo, s30
.LBB290_266:                            ;   in Loop: Header=BB290_10 Depth=1
	s_delay_alu instid0(SALU_CYCLE_1)
	s_or_b32 exec_lo, exec_lo, s29
	global_load_b64 v[4:5], v[2:3], off offset:1024
	s_mov_b32 s29, exec_lo
	s_wait_loadcnt 0x0
	v_and_b32_e32 v6, 0xff, v4
	s_wait_xcnt 0x0
	s_delay_alu instid0(VALU_DEP_1)
	v_cmpx_ne_u16_e32 0, v6
	s_cbranch_execz .LBB290_274
; %bb.267:                              ;   in Loop: Header=BB290_10 Depth=1
	v_mov_b32_e32 v65, 0x8000
	s_mov_b32 s30, exec_lo
	v_cmpx_ne_u16_e32 0x80, v6
	s_cbranch_execz .LBB290_273
; %bb.268:                              ;   in Loop: Header=BB290_10 Depth=1
	v_and_b32_e32 v21, 0x7f, v4
	v_mov_b32_e32 v65, 0x7c01
	s_mov_b32 s31, exec_lo
	s_delay_alu instid0(VALU_DEP_2)
	v_cmpx_ne_u32_e32 0x7f, v21
	s_cbranch_execz .LBB290_272
; %bb.269:                              ;   in Loop: Header=BB290_10 Depth=1
	v_dual_lshrrev_b32 v20, 3, v21 :: v_dual_bitop2_b32 v6, 7, v4 bitop3:0x40
	s_mov_b32 s33, exec_lo
	v_cmpx_gt_u32_e32 8, v21
; %bb.270:                              ;   in Loop: Header=BB290_10 Depth=1
	s_delay_alu instid0(VALU_DEP_2) | instskip(NEXT) | instid1(VALU_DEP_1)
	v_clz_i32_u32_e32 v6, v6
	v_min_u32_e32 v6, 32, v6
	s_delay_alu instid0(VALU_DEP_1) | instskip(NEXT) | instid1(VALU_DEP_1)
	v_subrev_nc_u32_e32 v20, 28, v6
	v_lshlrev_b64_e32 v[22:23], v20, v[4:5]
	v_sub_nc_u32_e32 v20, 29, v6
	s_delay_alu instid0(VALU_DEP_2)
	v_and_b32_e32 v6, 7, v22
; %bb.271:                              ;   in Loop: Header=BB290_10 Depth=1
	s_or_b32 exec_lo, exec_lo, s33
	s_delay_alu instid0(VALU_DEP_1) | instskip(NEXT) | instid1(VALU_DEP_3)
	v_dual_lshlrev_b32 v21, 8, v4 :: v_dual_lshlrev_b32 v6, 7, v6
	v_lshl_add_u32 v20, v20, 10, 0x2000
	s_delay_alu instid0(VALU_DEP_2) | instskip(NEXT) | instid1(VALU_DEP_2)
	v_and_b32_e32 v21, 0x8000, v21
	v_and_b32_e32 v20, 0xfc00, v20
	s_delay_alu instid0(VALU_DEP_1)
	v_or3_b32 v65, v21, v20, v6
.LBB290_272:                            ;   in Loop: Header=BB290_10 Depth=1
	s_or_b32 exec_lo, exec_lo, s31
.LBB290_273:                            ;   in Loop: Header=BB290_10 Depth=1
	s_delay_alu instid0(SALU_CYCLE_1)
	s_or_b32 exec_lo, exec_lo, s30
.LBB290_274:                            ;   in Loop: Header=BB290_10 Depth=1
	s_delay_alu instid0(SALU_CYCLE_1) | instskip(SKIP_3) | instid1(VALU_DEP_2)
	s_or_b32 exec_lo, exec_lo, s29
	v_lshrrev_b16 v6, 8, v4
	v_dual_mov_b32 v67, 0 :: v_dual_mov_b32 v72, 0
	s_mov_b32 s29, exec_lo
	v_cmpx_ne_u16_e32 0, v6
	s_cbranch_execz .LBB290_282
; %bb.275:                              ;   in Loop: Header=BB290_10 Depth=1
	v_bfrev_b32_e32 v72, 1
	s_mov_b32 s30, exec_lo
	v_cmpx_ne_u16_e32 0x80, v6
	s_cbranch_execz .LBB290_281
; %bb.276:                              ;   in Loop: Header=BB290_10 Depth=1
	v_and_b32_e32 v20, 0xffff, v6
	v_mov_b32_e32 v72, 0x7c010000
	s_mov_b32 s31, exec_lo
	s_delay_alu instid0(VALU_DEP_2) | instskip(NEXT) | instid1(VALU_DEP_1)
	v_and_b32_e32 v23, 0x7f, v20
	v_cmpx_ne_u32_e32 0x7f, v23
	s_cbranch_execz .LBB290_280
; %bb.277:                              ;   in Loop: Header=BB290_10 Depth=1
	v_dual_lshrrev_b32 v22, 3, v23 :: v_dual_bitop2_b32 v21, 7, v20 bitop3:0x40
	s_mov_b32 s33, exec_lo
	v_cmpx_gt_u32_e32 8, v23
; %bb.278:                              ;   in Loop: Header=BB290_10 Depth=1
	s_delay_alu instid0(VALU_DEP_2) | instskip(NEXT) | instid1(VALU_DEP_1)
	v_clz_i32_u32_e32 v21, v21
	v_min_u32_e32 v21, 32, v21
	s_delay_alu instid0(VALU_DEP_1) | instskip(NEXT) | instid1(VALU_DEP_1)
	v_subrev_nc_u32_e32 v22, 28, v21
	v_lshlrev_b64_e32 v[40:41], v22, v[6:7]
	s_delay_alu instid0(VALU_DEP_1)
	v_dual_sub_nc_u32 v22, 29, v21 :: v_dual_bitop2_b32 v21, 7, v40 bitop3:0x40
; %bb.279:                              ;   in Loop: Header=BB290_10 Depth=1
	s_or_b32 exec_lo, exec_lo, s33
	v_lshlrev_b32_e32 v6, 8, v20
	s_delay_alu instid0(VALU_DEP_2) | instskip(NEXT) | instid1(VALU_DEP_1)
	v_lshl_add_u32 v20, v22, 10, 0x2000
	v_and_or_b32 v6, 0x8000, v6, v20
	v_lshlrev_b32_e32 v20, 23, v21
	s_delay_alu instid0(VALU_DEP_1)
	v_lshl_or_b32 v72, v6, 16, v20
.LBB290_280:                            ;   in Loop: Header=BB290_10 Depth=1
	s_or_b32 exec_lo, exec_lo, s31
.LBB290_281:                            ;   in Loop: Header=BB290_10 Depth=1
	s_delay_alu instid0(SALU_CYCLE_1)
	s_or_b32 exec_lo, exec_lo, s30
.LBB290_282:                            ;   in Loop: Header=BB290_10 Depth=1
	s_delay_alu instid0(SALU_CYCLE_1) | instskip(SKIP_2) | instid1(VALU_DEP_1)
	s_or_b32 exec_lo, exec_lo, s29
	v_lshrrev_b32_e32 v6, 16, v4
	s_mov_b32 s29, exec_lo
	v_and_b32_e32 v20, 0xff, v6
	s_delay_alu instid0(VALU_DEP_1)
	v_cmpx_ne_u16_e32 0, v20
	s_cbranch_execz .LBB290_290
; %bb.283:                              ;   in Loop: Header=BB290_10 Depth=1
	v_mov_b32_e32 v67, 0x8000
	s_mov_b32 s30, exec_lo
	v_cmpx_ne_u16_e32 0x80, v20
	s_cbranch_execz .LBB290_289
; %bb.284:                              ;   in Loop: Header=BB290_10 Depth=1
	v_bfe_u32 v22, v4, 16, 7
	v_mov_b32_e32 v67, 0x7c01
	s_mov_b32 s31, exec_lo
	s_delay_alu instid0(VALU_DEP_2)
	v_cmpx_ne_u32_e32 0x7f, v22
	s_cbranch_execz .LBB290_288
; %bb.285:                              ;   in Loop: Header=BB290_10 Depth=1
	v_and_b32_e32 v20, 7, v6
	v_lshrrev_b32_e32 v21, 3, v22
	s_mov_b32 s33, exec_lo
	v_cmpx_gt_u32_e32 8, v22
; %bb.286:                              ;   in Loop: Header=BB290_10 Depth=1
	s_delay_alu instid0(VALU_DEP_3) | instskip(NEXT) | instid1(VALU_DEP_1)
	v_clz_i32_u32_e32 v20, v20
	v_min_u32_e32 v22, 32, v20
	s_delay_alu instid0(VALU_DEP_1) | instskip(NEXT) | instid1(VALU_DEP_1)
	v_subrev_nc_u32_e32 v20, 28, v22
	v_lshlrev_b64_e32 v[20:21], v20, v[6:7]
	s_delay_alu instid0(VALU_DEP_1)
	v_dual_sub_nc_u32 v21, 29, v22 :: v_dual_bitop2_b32 v20, 7, v20 bitop3:0x40
; %bb.287:                              ;   in Loop: Header=BB290_10 Depth=1
	s_or_b32 exec_lo, exec_lo, s33
	s_delay_alu instid0(VALU_DEP_1) | instskip(NEXT) | instid1(VALU_DEP_2)
	v_dual_lshlrev_b32 v6, 8, v6 :: v_dual_lshlrev_b32 v20, 7, v20
	v_lshl_add_u32 v21, v21, 10, 0x2000
	s_delay_alu instid0(VALU_DEP_2) | instskip(NEXT) | instid1(VALU_DEP_2)
	v_and_b32_e32 v6, 0x8000, v6
	v_and_b32_e32 v21, 0xfc00, v21
	s_delay_alu instid0(VALU_DEP_1)
	v_or3_b32 v67, v6, v21, v20
.LBB290_288:                            ;   in Loop: Header=BB290_10 Depth=1
	s_or_b32 exec_lo, exec_lo, s31
.LBB290_289:                            ;   in Loop: Header=BB290_10 Depth=1
	s_delay_alu instid0(SALU_CYCLE_1)
	s_or_b32 exec_lo, exec_lo, s30
.LBB290_290:                            ;   in Loop: Header=BB290_10 Depth=1
	s_delay_alu instid0(SALU_CYCLE_1)
	s_or_b32 exec_lo, exec_lo, s29
	v_dual_mov_b32 v78, 0 :: v_dual_mov_b32 v79, 0
	s_mov_b32 s29, exec_lo
	v_cmpx_lt_u32_e32 0xffffff, v4
	s_cbranch_execz .LBB290_298
; %bb.291:                              ;   in Loop: Header=BB290_10 Depth=1
	v_lshrrev_b32_e32 v6, 24, v4
	v_bfrev_b32_e32 v79, 1
	s_mov_b32 s30, exec_lo
	s_delay_alu instid0(VALU_DEP_2)
	v_cmpx_ne_u32_e32 0x80, v6
	s_cbranch_execz .LBB290_297
; %bb.292:                              ;   in Loop: Header=BB290_10 Depth=1
	v_and_b32_e32 v22, 0x7f, v6
	v_mov_b32_e32 v79, 0x7c010000
	s_mov_b32 s31, exec_lo
	s_delay_alu instid0(VALU_DEP_2)
	v_cmpx_ne_u32_e32 0x7f, v22
	s_cbranch_execz .LBB290_296
; %bb.293:                              ;   in Loop: Header=BB290_10 Depth=1
	v_and_b32_e32 v20, 7, v6
	v_lshrrev_b32_e32 v21, 3, v22
	s_mov_b32 s33, exec_lo
	v_cmpx_gt_u32_e32 8, v22
; %bb.294:                              ;   in Loop: Header=BB290_10 Depth=1
	s_delay_alu instid0(VALU_DEP_3) | instskip(NEXT) | instid1(VALU_DEP_1)
	v_clz_i32_u32_e32 v20, v20
	v_min_u32_e32 v22, 32, v20
	s_delay_alu instid0(VALU_DEP_1) | instskip(NEXT) | instid1(VALU_DEP_1)
	v_subrev_nc_u32_e32 v20, 28, v22
	v_lshlrev_b64_e32 v[20:21], v20, v[6:7]
	s_delay_alu instid0(VALU_DEP_1)
	v_dual_sub_nc_u32 v21, 29, v22 :: v_dual_bitop2_b32 v20, 7, v20 bitop3:0x40
; %bb.295:                              ;   in Loop: Header=BB290_10 Depth=1
	s_or_b32 exec_lo, exec_lo, s33
	s_delay_alu instid0(VALU_DEP_1) | instskip(NEXT) | instid1(VALU_DEP_2)
	v_dual_lshlrev_b32 v6, 8, v6 :: v_dual_lshlrev_b32 v20, 23, v20
	v_lshl_add_u32 v21, v21, 10, 0x2000
	s_delay_alu instid0(VALU_DEP_1) | instskip(NEXT) | instid1(VALU_DEP_1)
	v_and_or_b32 v6, 0x8000, v6, v21
	v_lshl_or_b32 v79, v6, 16, v20
.LBB290_296:                            ;   in Loop: Header=BB290_10 Depth=1
	s_or_b32 exec_lo, exec_lo, s31
.LBB290_297:                            ;   in Loop: Header=BB290_10 Depth=1
	s_delay_alu instid0(SALU_CYCLE_1)
	s_or_b32 exec_lo, exec_lo, s30
.LBB290_298:                            ;   in Loop: Header=BB290_10 Depth=1
	s_delay_alu instid0(SALU_CYCLE_1) | instskip(SKIP_3) | instid1(VALU_DEP_2)
	s_or_b32 exec_lo, exec_lo, s29
	v_and_b32_e32 v20, 0xff, v5
	v_mov_b32_e32 v6, v5
	s_mov_b32 s29, exec_lo
	v_cmpx_ne_u16_e32 0, v20
	s_cbranch_execz .LBB290_306
; %bb.299:                              ;   in Loop: Header=BB290_10 Depth=1
	v_mov_b32_e32 v78, 0x8000
	s_mov_b32 s30, exec_lo
	v_cmpx_ne_u16_e32 0x80, v20
	s_cbranch_execz .LBB290_305
; %bb.300:                              ;   in Loop: Header=BB290_10 Depth=1
	v_and_b32_e32 v22, 0x7f, v5
	v_mov_b32_e32 v78, 0x7c01
	s_mov_b32 s31, exec_lo
	s_delay_alu instid0(VALU_DEP_2)
	v_cmpx_ne_u32_e32 0x7f, v22
	s_cbranch_execz .LBB290_304
; %bb.301:                              ;   in Loop: Header=BB290_10 Depth=1
	v_dual_lshrrev_b32 v21, 3, v22 :: v_dual_bitop2_b32 v20, 7, v5 bitop3:0x40
	s_mov_b32 s33, exec_lo
	v_cmpx_gt_u32_e32 8, v22
; %bb.302:                              ;   in Loop: Header=BB290_10 Depth=1
	s_delay_alu instid0(VALU_DEP_2) | instskip(NEXT) | instid1(VALU_DEP_1)
	v_clz_i32_u32_e32 v20, v20
	v_min_u32_e32 v22, 32, v20
	s_delay_alu instid0(VALU_DEP_1) | instskip(NEXT) | instid1(VALU_DEP_1)
	v_subrev_nc_u32_e32 v20, 28, v22
	v_lshlrev_b64_e32 v[20:21], v20, v[6:7]
	s_delay_alu instid0(VALU_DEP_1)
	v_dual_sub_nc_u32 v21, 29, v22 :: v_dual_bitop2_b32 v20, 7, v20 bitop3:0x40
; %bb.303:                              ;   in Loop: Header=BB290_10 Depth=1
	s_or_b32 exec_lo, exec_lo, s33
	s_delay_alu instid0(VALU_DEP_1) | instskip(NEXT) | instid1(VALU_DEP_2)
	v_dual_lshlrev_b32 v22, 8, v5 :: v_dual_lshlrev_b32 v20, 7, v20
	v_lshl_add_u32 v21, v21, 10, 0x2000
	s_delay_alu instid0(VALU_DEP_2) | instskip(NEXT) | instid1(VALU_DEP_2)
	v_and_b32_e32 v22, 0x8000, v22
	v_and_b32_e32 v21, 0xfc00, v21
	s_delay_alu instid0(VALU_DEP_1)
	v_or3_b32 v78, v22, v21, v20
.LBB290_304:                            ;   in Loop: Header=BB290_10 Depth=1
	s_or_b32 exec_lo, exec_lo, s31
.LBB290_305:                            ;   in Loop: Header=BB290_10 Depth=1
	s_delay_alu instid0(SALU_CYCLE_1)
	s_or_b32 exec_lo, exec_lo, s30
.LBB290_306:                            ;   in Loop: Header=BB290_10 Depth=1
	s_delay_alu instid0(SALU_CYCLE_1) | instskip(SKIP_3) | instid1(VALU_DEP_2)
	s_or_b32 exec_lo, exec_lo, s29
	v_lshrrev_b16 v6, 8, v6
	v_dual_mov_b32 v81, 0 :: v_dual_mov_b32 v80, 0
	s_mov_b32 s29, exec_lo
	v_cmpx_ne_u16_e32 0, v6
	s_cbranch_execz .LBB290_314
; %bb.307:                              ;   in Loop: Header=BB290_10 Depth=1
	v_bfrev_b32_e32 v80, 1
	s_mov_b32 s30, exec_lo
	v_cmpx_ne_u16_e32 0x80, v6
	s_cbranch_execz .LBB290_313
; %bb.308:                              ;   in Loop: Header=BB290_10 Depth=1
	v_and_b32_e32 v20, 0xffff, v6
	v_mov_b32_e32 v80, 0x7c010000
	s_mov_b32 s31, exec_lo
	s_delay_alu instid0(VALU_DEP_2) | instskip(NEXT) | instid1(VALU_DEP_1)
	v_and_b32_e32 v23, 0x7f, v20
	v_cmpx_ne_u32_e32 0x7f, v23
	s_cbranch_execz .LBB290_312
; %bb.309:                              ;   in Loop: Header=BB290_10 Depth=1
	v_dual_lshrrev_b32 v22, 3, v23 :: v_dual_bitop2_b32 v21, 7, v20 bitop3:0x40
	s_mov_b32 s33, exec_lo
	v_cmpx_gt_u32_e32 8, v23
; %bb.310:                              ;   in Loop: Header=BB290_10 Depth=1
	s_delay_alu instid0(VALU_DEP_2) | instskip(NEXT) | instid1(VALU_DEP_1)
	v_clz_i32_u32_e32 v21, v21
	v_min_u32_e32 v21, 32, v21
	s_delay_alu instid0(VALU_DEP_1) | instskip(NEXT) | instid1(VALU_DEP_1)
	v_subrev_nc_u32_e32 v22, 28, v21
	v_lshlrev_b64_e32 v[40:41], v22, v[6:7]
	s_delay_alu instid0(VALU_DEP_1)
	v_dual_sub_nc_u32 v22, 29, v21 :: v_dual_bitop2_b32 v21, 7, v40 bitop3:0x40
; %bb.311:                              ;   in Loop: Header=BB290_10 Depth=1
	s_or_b32 exec_lo, exec_lo, s33
	v_lshlrev_b32_e32 v6, 8, v20
	s_delay_alu instid0(VALU_DEP_2) | instskip(NEXT) | instid1(VALU_DEP_1)
	v_lshl_add_u32 v20, v22, 10, 0x2000
	v_and_or_b32 v6, 0x8000, v6, v20
	v_lshlrev_b32_e32 v20, 23, v21
	s_delay_alu instid0(VALU_DEP_1)
	v_lshl_or_b32 v80, v6, 16, v20
.LBB290_312:                            ;   in Loop: Header=BB290_10 Depth=1
	s_or_b32 exec_lo, exec_lo, s31
.LBB290_313:                            ;   in Loop: Header=BB290_10 Depth=1
	s_delay_alu instid0(SALU_CYCLE_1)
	s_or_b32 exec_lo, exec_lo, s30
.LBB290_314:                            ;   in Loop: Header=BB290_10 Depth=1
	s_delay_alu instid0(SALU_CYCLE_1) | instskip(SKIP_2) | instid1(VALU_DEP_1)
	s_or_b32 exec_lo, exec_lo, s29
	v_lshrrev_b32_e32 v6, 16, v5
	s_mov_b32 s29, exec_lo
	v_and_b32_e32 v20, 0xff, v6
	s_delay_alu instid0(VALU_DEP_1)
	v_cmpx_ne_u16_e32 0, v20
	s_cbranch_execz .LBB290_322
; %bb.315:                              ;   in Loop: Header=BB290_10 Depth=1
	v_mov_b32_e32 v81, 0x8000
	s_mov_b32 s30, exec_lo
	v_cmpx_ne_u16_e32 0x80, v20
	s_cbranch_execz .LBB290_321
; %bb.316:                              ;   in Loop: Header=BB290_10 Depth=1
	v_bfe_u32 v22, v5, 16, 7
	v_mov_b32_e32 v81, 0x7c01
	s_mov_b32 s31, exec_lo
	s_delay_alu instid0(VALU_DEP_2)
	v_cmpx_ne_u32_e32 0x7f, v22
	s_cbranch_execz .LBB290_320
; %bb.317:                              ;   in Loop: Header=BB290_10 Depth=1
	v_and_b32_e32 v20, 7, v6
	v_lshrrev_b32_e32 v21, 3, v22
	s_mov_b32 s33, exec_lo
	v_cmpx_gt_u32_e32 8, v22
; %bb.318:                              ;   in Loop: Header=BB290_10 Depth=1
	s_delay_alu instid0(VALU_DEP_3) | instskip(NEXT) | instid1(VALU_DEP_1)
	v_clz_i32_u32_e32 v20, v20
	v_min_u32_e32 v22, 32, v20
	s_delay_alu instid0(VALU_DEP_1) | instskip(NEXT) | instid1(VALU_DEP_1)
	v_subrev_nc_u32_e32 v20, 28, v22
	v_lshlrev_b64_e32 v[20:21], v20, v[6:7]
	s_delay_alu instid0(VALU_DEP_1)
	v_dual_sub_nc_u32 v21, 29, v22 :: v_dual_bitop2_b32 v20, 7, v20 bitop3:0x40
; %bb.319:                              ;   in Loop: Header=BB290_10 Depth=1
	s_or_b32 exec_lo, exec_lo, s33
	s_delay_alu instid0(VALU_DEP_1) | instskip(NEXT) | instid1(VALU_DEP_2)
	v_dual_lshlrev_b32 v6, 8, v6 :: v_dual_lshlrev_b32 v20, 7, v20
	v_lshl_add_u32 v21, v21, 10, 0x2000
	s_delay_alu instid0(VALU_DEP_2) | instskip(NEXT) | instid1(VALU_DEP_2)
	v_and_b32_e32 v6, 0x8000, v6
	v_and_b32_e32 v21, 0xfc00, v21
	s_delay_alu instid0(VALU_DEP_1)
	v_or3_b32 v81, v6, v21, v20
.LBB290_320:                            ;   in Loop: Header=BB290_10 Depth=1
	s_or_b32 exec_lo, exec_lo, s31
.LBB290_321:                            ;   in Loop: Header=BB290_10 Depth=1
	s_delay_alu instid0(SALU_CYCLE_1)
	s_or_b32 exec_lo, exec_lo, s30
.LBB290_322:                            ;   in Loop: Header=BB290_10 Depth=1
	s_delay_alu instid0(SALU_CYCLE_1)
	s_or_b32 exec_lo, exec_lo, s29
	v_dual_mov_b32 v82, 0 :: v_dual_mov_b32 v83, 0
	s_mov_b32 s29, exec_lo
	v_cmpx_lt_u64_e64 s[20:21], v[4:5]
	s_cbranch_execz .LBB290_330
; %bb.323:                              ;   in Loop: Header=BB290_10 Depth=1
	v_lshrrev_b32_e32 v6, 24, v5
	v_bfrev_b32_e32 v83, 1
	s_mov_b32 s30, exec_lo
	s_delay_alu instid0(VALU_DEP_2)
	v_cmpx_ne_u32_e32 0x80, v6
	s_cbranch_execz .LBB290_329
; %bb.324:                              ;   in Loop: Header=BB290_10 Depth=1
	v_and_b32_e32 v20, 0x7f, v6
	v_mov_b32_e32 v83, 0x7c010000
	s_mov_b32 s31, exec_lo
	s_delay_alu instid0(VALU_DEP_2)
	v_cmpx_ne_u32_e32 0x7f, v20
	s_cbranch_execz .LBB290_328
; %bb.325:                              ;   in Loop: Header=BB290_10 Depth=1
	v_dual_lshrrev_b32 v5, 3, v20 :: v_dual_bitop2_b32 v4, 7, v6 bitop3:0x40
	s_mov_b32 s33, exec_lo
	v_cmpx_gt_u32_e32 8, v20
; %bb.326:                              ;   in Loop: Header=BB290_10 Depth=1
	s_delay_alu instid0(VALU_DEP_2) | instskip(NEXT) | instid1(VALU_DEP_1)
	v_clz_i32_u32_e32 v4, v4
	v_min_u32_e32 v20, 32, v4
	s_delay_alu instid0(VALU_DEP_1) | instskip(NEXT) | instid1(VALU_DEP_1)
	v_subrev_nc_u32_e32 v4, 28, v20
	v_lshlrev_b64_e32 v[4:5], v4, v[6:7]
	v_sub_nc_u32_e32 v5, 29, v20
	s_delay_alu instid0(VALU_DEP_2)
	v_and_b32_e32 v4, 7, v4
; %bb.327:                              ;   in Loop: Header=BB290_10 Depth=1
	s_or_b32 exec_lo, exec_lo, s33
	s_delay_alu instid0(VALU_DEP_1) | instskip(NEXT) | instid1(VALU_DEP_3)
	v_dual_lshlrev_b32 v6, 8, v6 :: v_dual_lshlrev_b32 v4, 23, v4
	v_lshl_add_u32 v5, v5, 10, 0x2000
	s_delay_alu instid0(VALU_DEP_1) | instskip(NEXT) | instid1(VALU_DEP_1)
	v_and_or_b32 v5, 0x8000, v6, v5
	v_lshl_or_b32 v83, v5, 16, v4
.LBB290_328:                            ;   in Loop: Header=BB290_10 Depth=1
	s_or_b32 exec_lo, exec_lo, s31
.LBB290_329:                            ;   in Loop: Header=BB290_10 Depth=1
	s_delay_alu instid0(SALU_CYCLE_1)
	s_or_b32 exec_lo, exec_lo, s30
.LBB290_330:                            ;   in Loop: Header=BB290_10 Depth=1
	s_delay_alu instid0(SALU_CYCLE_1)
	s_or_b32 exec_lo, exec_lo, s29
	global_load_b64 v[4:5], v[2:3], off offset:1032
	s_mov_b32 s29, exec_lo
	s_wait_loadcnt 0x0
	v_and_b32_e32 v6, 0xff, v4
	s_wait_xcnt 0x0
	s_delay_alu instid0(VALU_DEP_1)
	v_cmpx_ne_u16_e32 0, v6
	s_cbranch_execz .LBB290_338
; %bb.331:                              ;   in Loop: Header=BB290_10 Depth=1
	v_mov_b32_e32 v82, 0x8000
	s_mov_b32 s30, exec_lo
	v_cmpx_ne_u16_e32 0x80, v6
	s_cbranch_execz .LBB290_337
; %bb.332:                              ;   in Loop: Header=BB290_10 Depth=1
	v_and_b32_e32 v21, 0x7f, v4
	v_mov_b32_e32 v82, 0x7c01
	s_mov_b32 s31, exec_lo
	s_delay_alu instid0(VALU_DEP_2)
	v_cmpx_ne_u32_e32 0x7f, v21
	s_cbranch_execz .LBB290_336
; %bb.333:                              ;   in Loop: Header=BB290_10 Depth=1
	v_dual_lshrrev_b32 v20, 3, v21 :: v_dual_bitop2_b32 v6, 7, v4 bitop3:0x40
	s_mov_b32 s33, exec_lo
	v_cmpx_gt_u32_e32 8, v21
; %bb.334:                              ;   in Loop: Header=BB290_10 Depth=1
	s_delay_alu instid0(VALU_DEP_2) | instskip(NEXT) | instid1(VALU_DEP_1)
	v_clz_i32_u32_e32 v6, v6
	v_min_u32_e32 v6, 32, v6
	s_delay_alu instid0(VALU_DEP_1) | instskip(NEXT) | instid1(VALU_DEP_1)
	v_subrev_nc_u32_e32 v20, 28, v6
	v_lshlrev_b64_e32 v[22:23], v20, v[4:5]
	v_sub_nc_u32_e32 v20, 29, v6
	s_delay_alu instid0(VALU_DEP_2)
	v_and_b32_e32 v6, 7, v22
; %bb.335:                              ;   in Loop: Header=BB290_10 Depth=1
	s_or_b32 exec_lo, exec_lo, s33
	s_delay_alu instid0(VALU_DEP_1) | instskip(NEXT) | instid1(VALU_DEP_3)
	v_dual_lshlrev_b32 v21, 8, v4 :: v_dual_lshlrev_b32 v6, 7, v6
	v_lshl_add_u32 v20, v20, 10, 0x2000
	s_delay_alu instid0(VALU_DEP_2) | instskip(NEXT) | instid1(VALU_DEP_2)
	v_and_b32_e32 v21, 0x8000, v21
	v_and_b32_e32 v20, 0xfc00, v20
	s_delay_alu instid0(VALU_DEP_1)
	v_or3_b32 v82, v21, v20, v6
.LBB290_336:                            ;   in Loop: Header=BB290_10 Depth=1
	s_or_b32 exec_lo, exec_lo, s31
.LBB290_337:                            ;   in Loop: Header=BB290_10 Depth=1
	s_delay_alu instid0(SALU_CYCLE_1)
	s_or_b32 exec_lo, exec_lo, s30
.LBB290_338:                            ;   in Loop: Header=BB290_10 Depth=1
	s_delay_alu instid0(SALU_CYCLE_1) | instskip(SKIP_3) | instid1(VALU_DEP_2)
	s_or_b32 exec_lo, exec_lo, s29
	v_lshrrev_b16 v6, 8, v4
	v_dual_mov_b32 v84, 0 :: v_dual_mov_b32 v85, 0
	s_mov_b32 s29, exec_lo
	v_cmpx_ne_u16_e32 0, v6
	s_cbranch_execz .LBB290_346
; %bb.339:                              ;   in Loop: Header=BB290_10 Depth=1
	v_bfrev_b32_e32 v85, 1
	s_mov_b32 s30, exec_lo
	v_cmpx_ne_u16_e32 0x80, v6
	s_cbranch_execz .LBB290_345
; %bb.340:                              ;   in Loop: Header=BB290_10 Depth=1
	v_and_b32_e32 v20, 0xffff, v6
	v_mov_b32_e32 v85, 0x7c010000
	s_mov_b32 s31, exec_lo
	s_delay_alu instid0(VALU_DEP_2) | instskip(NEXT) | instid1(VALU_DEP_1)
	v_and_b32_e32 v23, 0x7f, v20
	v_cmpx_ne_u32_e32 0x7f, v23
	s_cbranch_execz .LBB290_344
; %bb.341:                              ;   in Loop: Header=BB290_10 Depth=1
	v_dual_lshrrev_b32 v22, 3, v23 :: v_dual_bitop2_b32 v21, 7, v20 bitop3:0x40
	s_mov_b32 s33, exec_lo
	v_cmpx_gt_u32_e32 8, v23
; %bb.342:                              ;   in Loop: Header=BB290_10 Depth=1
	s_delay_alu instid0(VALU_DEP_2) | instskip(NEXT) | instid1(VALU_DEP_1)
	v_clz_i32_u32_e32 v21, v21
	v_min_u32_e32 v21, 32, v21
	s_delay_alu instid0(VALU_DEP_1) | instskip(NEXT) | instid1(VALU_DEP_1)
	v_subrev_nc_u32_e32 v22, 28, v21
	v_lshlrev_b64_e32 v[40:41], v22, v[6:7]
	s_delay_alu instid0(VALU_DEP_1)
	v_dual_sub_nc_u32 v22, 29, v21 :: v_dual_bitop2_b32 v21, 7, v40 bitop3:0x40
; %bb.343:                              ;   in Loop: Header=BB290_10 Depth=1
	s_or_b32 exec_lo, exec_lo, s33
	v_lshlrev_b32_e32 v6, 8, v20
	s_delay_alu instid0(VALU_DEP_2) | instskip(NEXT) | instid1(VALU_DEP_1)
	v_lshl_add_u32 v20, v22, 10, 0x2000
	v_and_or_b32 v6, 0x8000, v6, v20
	v_lshlrev_b32_e32 v20, 23, v21
	s_delay_alu instid0(VALU_DEP_1)
	v_lshl_or_b32 v85, v6, 16, v20
.LBB290_344:                            ;   in Loop: Header=BB290_10 Depth=1
	s_or_b32 exec_lo, exec_lo, s31
.LBB290_345:                            ;   in Loop: Header=BB290_10 Depth=1
	s_delay_alu instid0(SALU_CYCLE_1)
	s_or_b32 exec_lo, exec_lo, s30
.LBB290_346:                            ;   in Loop: Header=BB290_10 Depth=1
	s_delay_alu instid0(SALU_CYCLE_1) | instskip(SKIP_2) | instid1(VALU_DEP_1)
	s_or_b32 exec_lo, exec_lo, s29
	v_lshrrev_b32_e32 v6, 16, v4
	s_mov_b32 s29, exec_lo
	v_and_b32_e32 v20, 0xff, v6
	s_delay_alu instid0(VALU_DEP_1)
	v_cmpx_ne_u16_e32 0, v20
	s_cbranch_execz .LBB290_354
; %bb.347:                              ;   in Loop: Header=BB290_10 Depth=1
	v_mov_b32_e32 v84, 0x8000
	s_mov_b32 s30, exec_lo
	v_cmpx_ne_u16_e32 0x80, v20
	s_cbranch_execz .LBB290_353
; %bb.348:                              ;   in Loop: Header=BB290_10 Depth=1
	v_bfe_u32 v22, v4, 16, 7
	v_mov_b32_e32 v84, 0x7c01
	s_mov_b32 s31, exec_lo
	s_delay_alu instid0(VALU_DEP_2)
	v_cmpx_ne_u32_e32 0x7f, v22
	s_cbranch_execz .LBB290_352
; %bb.349:                              ;   in Loop: Header=BB290_10 Depth=1
	v_and_b32_e32 v20, 7, v6
	v_lshrrev_b32_e32 v21, 3, v22
	s_mov_b32 s33, exec_lo
	v_cmpx_gt_u32_e32 8, v22
; %bb.350:                              ;   in Loop: Header=BB290_10 Depth=1
	s_delay_alu instid0(VALU_DEP_3) | instskip(NEXT) | instid1(VALU_DEP_1)
	v_clz_i32_u32_e32 v20, v20
	v_min_u32_e32 v22, 32, v20
	s_delay_alu instid0(VALU_DEP_1) | instskip(NEXT) | instid1(VALU_DEP_1)
	v_subrev_nc_u32_e32 v20, 28, v22
	v_lshlrev_b64_e32 v[20:21], v20, v[6:7]
	s_delay_alu instid0(VALU_DEP_1)
	v_dual_sub_nc_u32 v21, 29, v22 :: v_dual_bitop2_b32 v20, 7, v20 bitop3:0x40
; %bb.351:                              ;   in Loop: Header=BB290_10 Depth=1
	s_or_b32 exec_lo, exec_lo, s33
	s_delay_alu instid0(VALU_DEP_1) | instskip(NEXT) | instid1(VALU_DEP_2)
	v_dual_lshlrev_b32 v6, 8, v6 :: v_dual_lshlrev_b32 v20, 7, v20
	v_lshl_add_u32 v21, v21, 10, 0x2000
	s_delay_alu instid0(VALU_DEP_2) | instskip(NEXT) | instid1(VALU_DEP_2)
	v_and_b32_e32 v6, 0x8000, v6
	v_and_b32_e32 v21, 0xfc00, v21
	s_delay_alu instid0(VALU_DEP_1)
	v_or3_b32 v84, v6, v21, v20
.LBB290_352:                            ;   in Loop: Header=BB290_10 Depth=1
	s_or_b32 exec_lo, exec_lo, s31
.LBB290_353:                            ;   in Loop: Header=BB290_10 Depth=1
	s_delay_alu instid0(SALU_CYCLE_1)
	s_or_b32 exec_lo, exec_lo, s30
.LBB290_354:                            ;   in Loop: Header=BB290_10 Depth=1
	s_delay_alu instid0(SALU_CYCLE_1)
	s_or_b32 exec_lo, exec_lo, s29
	v_dual_mov_b32 v86, 0 :: v_dual_mov_b32 v87, 0
	s_mov_b32 s29, exec_lo
	v_cmpx_lt_u32_e32 0xffffff, v4
	s_cbranch_execz .LBB290_362
; %bb.355:                              ;   in Loop: Header=BB290_10 Depth=1
	v_lshrrev_b32_e32 v6, 24, v4
	v_bfrev_b32_e32 v87, 1
	s_mov_b32 s30, exec_lo
	s_delay_alu instid0(VALU_DEP_2)
	v_cmpx_ne_u32_e32 0x80, v6
	s_cbranch_execz .LBB290_361
; %bb.356:                              ;   in Loop: Header=BB290_10 Depth=1
	v_and_b32_e32 v22, 0x7f, v6
	v_mov_b32_e32 v87, 0x7c010000
	s_mov_b32 s31, exec_lo
	s_delay_alu instid0(VALU_DEP_2)
	v_cmpx_ne_u32_e32 0x7f, v22
	s_cbranch_execz .LBB290_360
; %bb.357:                              ;   in Loop: Header=BB290_10 Depth=1
	v_and_b32_e32 v20, 7, v6
	v_lshrrev_b32_e32 v21, 3, v22
	s_mov_b32 s33, exec_lo
	v_cmpx_gt_u32_e32 8, v22
; %bb.358:                              ;   in Loop: Header=BB290_10 Depth=1
	s_delay_alu instid0(VALU_DEP_3) | instskip(NEXT) | instid1(VALU_DEP_1)
	v_clz_i32_u32_e32 v20, v20
	v_min_u32_e32 v22, 32, v20
	s_delay_alu instid0(VALU_DEP_1) | instskip(NEXT) | instid1(VALU_DEP_1)
	v_subrev_nc_u32_e32 v20, 28, v22
	v_lshlrev_b64_e32 v[20:21], v20, v[6:7]
	s_delay_alu instid0(VALU_DEP_1)
	v_dual_sub_nc_u32 v21, 29, v22 :: v_dual_bitop2_b32 v20, 7, v20 bitop3:0x40
; %bb.359:                              ;   in Loop: Header=BB290_10 Depth=1
	s_or_b32 exec_lo, exec_lo, s33
	s_delay_alu instid0(VALU_DEP_1) | instskip(NEXT) | instid1(VALU_DEP_2)
	v_dual_lshlrev_b32 v6, 8, v6 :: v_dual_lshlrev_b32 v20, 23, v20
	v_lshl_add_u32 v21, v21, 10, 0x2000
	s_delay_alu instid0(VALU_DEP_1) | instskip(NEXT) | instid1(VALU_DEP_1)
	v_and_or_b32 v6, 0x8000, v6, v21
	v_lshl_or_b32 v87, v6, 16, v20
.LBB290_360:                            ;   in Loop: Header=BB290_10 Depth=1
	s_or_b32 exec_lo, exec_lo, s31
.LBB290_361:                            ;   in Loop: Header=BB290_10 Depth=1
	s_delay_alu instid0(SALU_CYCLE_1)
	s_or_b32 exec_lo, exec_lo, s30
.LBB290_362:                            ;   in Loop: Header=BB290_10 Depth=1
	s_delay_alu instid0(SALU_CYCLE_1) | instskip(SKIP_3) | instid1(VALU_DEP_2)
	s_or_b32 exec_lo, exec_lo, s29
	v_and_b32_e32 v20, 0xff, v5
	v_mov_b32_e32 v6, v5
	s_mov_b32 s29, exec_lo
	v_cmpx_ne_u16_e32 0, v20
	s_cbranch_execz .LBB290_370
; %bb.363:                              ;   in Loop: Header=BB290_10 Depth=1
	v_mov_b32_e32 v86, 0x8000
	s_mov_b32 s30, exec_lo
	v_cmpx_ne_u16_e32 0x80, v20
	s_cbranch_execz .LBB290_369
; %bb.364:                              ;   in Loop: Header=BB290_10 Depth=1
	v_and_b32_e32 v22, 0x7f, v5
	v_mov_b32_e32 v86, 0x7c01
	s_mov_b32 s31, exec_lo
	s_delay_alu instid0(VALU_DEP_2)
	v_cmpx_ne_u32_e32 0x7f, v22
	s_cbranch_execz .LBB290_368
; %bb.365:                              ;   in Loop: Header=BB290_10 Depth=1
	v_dual_lshrrev_b32 v21, 3, v22 :: v_dual_bitop2_b32 v20, 7, v5 bitop3:0x40
	s_mov_b32 s33, exec_lo
	v_cmpx_gt_u32_e32 8, v22
; %bb.366:                              ;   in Loop: Header=BB290_10 Depth=1
	s_delay_alu instid0(VALU_DEP_2) | instskip(NEXT) | instid1(VALU_DEP_1)
	v_clz_i32_u32_e32 v20, v20
	v_min_u32_e32 v22, 32, v20
	s_delay_alu instid0(VALU_DEP_1) | instskip(NEXT) | instid1(VALU_DEP_1)
	v_subrev_nc_u32_e32 v20, 28, v22
	v_lshlrev_b64_e32 v[20:21], v20, v[6:7]
	s_delay_alu instid0(VALU_DEP_1)
	v_dual_sub_nc_u32 v21, 29, v22 :: v_dual_bitop2_b32 v20, 7, v20 bitop3:0x40
; %bb.367:                              ;   in Loop: Header=BB290_10 Depth=1
	s_or_b32 exec_lo, exec_lo, s33
	s_delay_alu instid0(VALU_DEP_1) | instskip(NEXT) | instid1(VALU_DEP_2)
	v_dual_lshlrev_b32 v22, 8, v5 :: v_dual_lshlrev_b32 v20, 7, v20
	v_lshl_add_u32 v21, v21, 10, 0x2000
	s_delay_alu instid0(VALU_DEP_2) | instskip(NEXT) | instid1(VALU_DEP_2)
	v_and_b32_e32 v22, 0x8000, v22
	v_and_b32_e32 v21, 0xfc00, v21
	s_delay_alu instid0(VALU_DEP_1)
	v_or3_b32 v86, v22, v21, v20
.LBB290_368:                            ;   in Loop: Header=BB290_10 Depth=1
	s_or_b32 exec_lo, exec_lo, s31
.LBB290_369:                            ;   in Loop: Header=BB290_10 Depth=1
	s_delay_alu instid0(SALU_CYCLE_1)
	s_or_b32 exec_lo, exec_lo, s30
.LBB290_370:                            ;   in Loop: Header=BB290_10 Depth=1
	s_delay_alu instid0(SALU_CYCLE_1) | instskip(SKIP_3) | instid1(VALU_DEP_2)
	s_or_b32 exec_lo, exec_lo, s29
	v_lshrrev_b16 v6, 8, v6
	v_dual_mov_b32 v97, 0 :: v_dual_mov_b32 v96, 0
	s_mov_b32 s29, exec_lo
	v_cmpx_ne_u16_e32 0, v6
	s_cbranch_execz .LBB290_378
; %bb.371:                              ;   in Loop: Header=BB290_10 Depth=1
	v_bfrev_b32_e32 v96, 1
	s_mov_b32 s30, exec_lo
	v_cmpx_ne_u16_e32 0x80, v6
	s_cbranch_execz .LBB290_377
; %bb.372:                              ;   in Loop: Header=BB290_10 Depth=1
	v_and_b32_e32 v20, 0xffff, v6
	v_mov_b32_e32 v96, 0x7c010000
	s_mov_b32 s31, exec_lo
	s_delay_alu instid0(VALU_DEP_2) | instskip(NEXT) | instid1(VALU_DEP_1)
	v_and_b32_e32 v23, 0x7f, v20
	v_cmpx_ne_u32_e32 0x7f, v23
	s_cbranch_execz .LBB290_376
; %bb.373:                              ;   in Loop: Header=BB290_10 Depth=1
	v_dual_lshrrev_b32 v22, 3, v23 :: v_dual_bitop2_b32 v21, 7, v20 bitop3:0x40
	s_mov_b32 s33, exec_lo
	v_cmpx_gt_u32_e32 8, v23
; %bb.374:                              ;   in Loop: Header=BB290_10 Depth=1
	s_delay_alu instid0(VALU_DEP_2) | instskip(NEXT) | instid1(VALU_DEP_1)
	v_clz_i32_u32_e32 v21, v21
	v_min_u32_e32 v21, 32, v21
	s_delay_alu instid0(VALU_DEP_1) | instskip(NEXT) | instid1(VALU_DEP_1)
	v_subrev_nc_u32_e32 v22, 28, v21
	v_lshlrev_b64_e32 v[40:41], v22, v[6:7]
	s_delay_alu instid0(VALU_DEP_1)
	v_dual_sub_nc_u32 v22, 29, v21 :: v_dual_bitop2_b32 v21, 7, v40 bitop3:0x40
; %bb.375:                              ;   in Loop: Header=BB290_10 Depth=1
	s_or_b32 exec_lo, exec_lo, s33
	v_lshlrev_b32_e32 v6, 8, v20
	s_delay_alu instid0(VALU_DEP_2) | instskip(NEXT) | instid1(VALU_DEP_1)
	v_lshl_add_u32 v20, v22, 10, 0x2000
	v_and_or_b32 v6, 0x8000, v6, v20
	v_lshlrev_b32_e32 v20, 23, v21
	s_delay_alu instid0(VALU_DEP_1)
	v_lshl_or_b32 v96, v6, 16, v20
.LBB290_376:                            ;   in Loop: Header=BB290_10 Depth=1
	s_or_b32 exec_lo, exec_lo, s31
.LBB290_377:                            ;   in Loop: Header=BB290_10 Depth=1
	s_delay_alu instid0(SALU_CYCLE_1)
	s_or_b32 exec_lo, exec_lo, s30
.LBB290_378:                            ;   in Loop: Header=BB290_10 Depth=1
	s_delay_alu instid0(SALU_CYCLE_1) | instskip(SKIP_2) | instid1(VALU_DEP_1)
	s_or_b32 exec_lo, exec_lo, s29
	v_lshrrev_b32_e32 v6, 16, v5
	s_mov_b32 s29, exec_lo
	v_and_b32_e32 v20, 0xff, v6
	s_delay_alu instid0(VALU_DEP_1)
	v_cmpx_ne_u16_e32 0, v20
	s_cbranch_execz .LBB290_386
; %bb.379:                              ;   in Loop: Header=BB290_10 Depth=1
	v_mov_b32_e32 v97, 0x8000
	s_mov_b32 s30, exec_lo
	v_cmpx_ne_u16_e32 0x80, v20
	s_cbranch_execz .LBB290_385
; %bb.380:                              ;   in Loop: Header=BB290_10 Depth=1
	v_bfe_u32 v22, v5, 16, 7
	v_mov_b32_e32 v97, 0x7c01
	s_mov_b32 s31, exec_lo
	s_delay_alu instid0(VALU_DEP_2)
	v_cmpx_ne_u32_e32 0x7f, v22
	s_cbranch_execz .LBB290_384
; %bb.381:                              ;   in Loop: Header=BB290_10 Depth=1
	v_and_b32_e32 v20, 7, v6
	v_lshrrev_b32_e32 v21, 3, v22
	s_mov_b32 s33, exec_lo
	v_cmpx_gt_u32_e32 8, v22
; %bb.382:                              ;   in Loop: Header=BB290_10 Depth=1
	s_delay_alu instid0(VALU_DEP_3) | instskip(NEXT) | instid1(VALU_DEP_1)
	v_clz_i32_u32_e32 v20, v20
	v_min_u32_e32 v22, 32, v20
	s_delay_alu instid0(VALU_DEP_1) | instskip(NEXT) | instid1(VALU_DEP_1)
	v_subrev_nc_u32_e32 v20, 28, v22
	v_lshlrev_b64_e32 v[20:21], v20, v[6:7]
	s_delay_alu instid0(VALU_DEP_1)
	v_dual_sub_nc_u32 v21, 29, v22 :: v_dual_bitop2_b32 v20, 7, v20 bitop3:0x40
; %bb.383:                              ;   in Loop: Header=BB290_10 Depth=1
	s_or_b32 exec_lo, exec_lo, s33
	s_delay_alu instid0(VALU_DEP_1) | instskip(NEXT) | instid1(VALU_DEP_2)
	v_dual_lshlrev_b32 v6, 8, v6 :: v_dual_lshlrev_b32 v20, 7, v20
	v_lshl_add_u32 v21, v21, 10, 0x2000
	s_delay_alu instid0(VALU_DEP_2) | instskip(NEXT) | instid1(VALU_DEP_2)
	v_and_b32_e32 v6, 0x8000, v6
	v_and_b32_e32 v21, 0xfc00, v21
	s_delay_alu instid0(VALU_DEP_1)
	v_or3_b32 v97, v6, v21, v20
.LBB290_384:                            ;   in Loop: Header=BB290_10 Depth=1
	s_or_b32 exec_lo, exec_lo, s31
.LBB290_385:                            ;   in Loop: Header=BB290_10 Depth=1
	s_delay_alu instid0(SALU_CYCLE_1)
	s_or_b32 exec_lo, exec_lo, s30
.LBB290_386:                            ;   in Loop: Header=BB290_10 Depth=1
	s_delay_alu instid0(SALU_CYCLE_1)
	s_or_b32 exec_lo, exec_lo, s29
	v_dual_mov_b32 v98, 0 :: v_dual_mov_b32 v99, 0
	s_mov_b32 s29, exec_lo
	v_cmpx_lt_u64_e64 s[20:21], v[4:5]
	s_cbranch_execz .LBB290_394
; %bb.387:                              ;   in Loop: Header=BB290_10 Depth=1
	v_lshrrev_b32_e32 v6, 24, v5
	v_bfrev_b32_e32 v99, 1
	s_mov_b32 s30, exec_lo
	s_delay_alu instid0(VALU_DEP_2)
	v_cmpx_ne_u32_e32 0x80, v6
	s_cbranch_execz .LBB290_393
; %bb.388:                              ;   in Loop: Header=BB290_10 Depth=1
	v_and_b32_e32 v20, 0x7f, v6
	v_mov_b32_e32 v99, 0x7c010000
	s_mov_b32 s31, exec_lo
	s_delay_alu instid0(VALU_DEP_2)
	v_cmpx_ne_u32_e32 0x7f, v20
	s_cbranch_execz .LBB290_392
; %bb.389:                              ;   in Loop: Header=BB290_10 Depth=1
	v_dual_lshrrev_b32 v5, 3, v20 :: v_dual_bitop2_b32 v4, 7, v6 bitop3:0x40
	s_mov_b32 s33, exec_lo
	v_cmpx_gt_u32_e32 8, v20
; %bb.390:                              ;   in Loop: Header=BB290_10 Depth=1
	s_delay_alu instid0(VALU_DEP_2) | instskip(NEXT) | instid1(VALU_DEP_1)
	v_clz_i32_u32_e32 v4, v4
	v_min_u32_e32 v20, 32, v4
	s_delay_alu instid0(VALU_DEP_1) | instskip(NEXT) | instid1(VALU_DEP_1)
	v_subrev_nc_u32_e32 v4, 28, v20
	v_lshlrev_b64_e32 v[4:5], v4, v[6:7]
	v_sub_nc_u32_e32 v5, 29, v20
	s_delay_alu instid0(VALU_DEP_2)
	v_and_b32_e32 v4, 7, v4
; %bb.391:                              ;   in Loop: Header=BB290_10 Depth=1
	s_or_b32 exec_lo, exec_lo, s33
	s_delay_alu instid0(VALU_DEP_1) | instskip(NEXT) | instid1(VALU_DEP_3)
	v_dual_lshlrev_b32 v6, 8, v6 :: v_dual_lshlrev_b32 v4, 23, v4
	v_lshl_add_u32 v5, v5, 10, 0x2000
	s_delay_alu instid0(VALU_DEP_1) | instskip(NEXT) | instid1(VALU_DEP_1)
	v_and_or_b32 v5, 0x8000, v6, v5
	v_lshl_or_b32 v99, v5, 16, v4
.LBB290_392:                            ;   in Loop: Header=BB290_10 Depth=1
	s_or_b32 exec_lo, exec_lo, s31
.LBB290_393:                            ;   in Loop: Header=BB290_10 Depth=1
	s_delay_alu instid0(SALU_CYCLE_1)
	s_or_b32 exec_lo, exec_lo, s30
.LBB290_394:                            ;   in Loop: Header=BB290_10 Depth=1
	s_delay_alu instid0(SALU_CYCLE_1)
	s_or_b32 exec_lo, exec_lo, s29
	global_load_b64 v[4:5], v[2:3], off offset:1536
	s_mov_b32 s29, exec_lo
	s_wait_loadcnt 0x0
	v_and_b32_e32 v6, 0xff, v4
	s_wait_xcnt 0x0
	s_delay_alu instid0(VALU_DEP_1)
	v_cmpx_ne_u16_e32 0, v6
	s_cbranch_execz .LBB290_402
; %bb.395:                              ;   in Loop: Header=BB290_10 Depth=1
	v_mov_b32_e32 v98, 0x8000
	s_mov_b32 s30, exec_lo
	v_cmpx_ne_u16_e32 0x80, v6
	s_cbranch_execz .LBB290_401
; %bb.396:                              ;   in Loop: Header=BB290_10 Depth=1
	v_and_b32_e32 v21, 0x7f, v4
	v_mov_b32_e32 v98, 0x7c01
	s_mov_b32 s31, exec_lo
	s_delay_alu instid0(VALU_DEP_2)
	v_cmpx_ne_u32_e32 0x7f, v21
	s_cbranch_execz .LBB290_400
; %bb.397:                              ;   in Loop: Header=BB290_10 Depth=1
	v_dual_lshrrev_b32 v20, 3, v21 :: v_dual_bitop2_b32 v6, 7, v4 bitop3:0x40
	s_mov_b32 s33, exec_lo
	v_cmpx_gt_u32_e32 8, v21
; %bb.398:                              ;   in Loop: Header=BB290_10 Depth=1
	s_delay_alu instid0(VALU_DEP_2) | instskip(NEXT) | instid1(VALU_DEP_1)
	v_clz_i32_u32_e32 v6, v6
	v_min_u32_e32 v6, 32, v6
	s_delay_alu instid0(VALU_DEP_1) | instskip(NEXT) | instid1(VALU_DEP_1)
	v_subrev_nc_u32_e32 v20, 28, v6
	v_lshlrev_b64_e32 v[22:23], v20, v[4:5]
	v_sub_nc_u32_e32 v20, 29, v6
	s_delay_alu instid0(VALU_DEP_2)
	v_and_b32_e32 v6, 7, v22
; %bb.399:                              ;   in Loop: Header=BB290_10 Depth=1
	s_or_b32 exec_lo, exec_lo, s33
	s_delay_alu instid0(VALU_DEP_1) | instskip(NEXT) | instid1(VALU_DEP_3)
	v_dual_lshlrev_b32 v21, 8, v4 :: v_dual_lshlrev_b32 v6, 7, v6
	v_lshl_add_u32 v20, v20, 10, 0x2000
	s_delay_alu instid0(VALU_DEP_2) | instskip(NEXT) | instid1(VALU_DEP_2)
	v_and_b32_e32 v21, 0x8000, v21
	v_and_b32_e32 v20, 0xfc00, v20
	s_delay_alu instid0(VALU_DEP_1)
	v_or3_b32 v98, v21, v20, v6
.LBB290_400:                            ;   in Loop: Header=BB290_10 Depth=1
	s_or_b32 exec_lo, exec_lo, s31
.LBB290_401:                            ;   in Loop: Header=BB290_10 Depth=1
	s_delay_alu instid0(SALU_CYCLE_1)
	s_or_b32 exec_lo, exec_lo, s30
.LBB290_402:                            ;   in Loop: Header=BB290_10 Depth=1
	s_delay_alu instid0(SALU_CYCLE_1) | instskip(SKIP_3) | instid1(VALU_DEP_2)
	s_or_b32 exec_lo, exec_lo, s29
	v_lshrrev_b16 v6, 8, v4
	v_dual_mov_b32 v100, 0 :: v_dual_mov_b32 v101, 0
	s_mov_b32 s29, exec_lo
	v_cmpx_ne_u16_e32 0, v6
	s_cbranch_execz .LBB290_410
; %bb.403:                              ;   in Loop: Header=BB290_10 Depth=1
	v_bfrev_b32_e32 v101, 1
	s_mov_b32 s30, exec_lo
	v_cmpx_ne_u16_e32 0x80, v6
	s_cbranch_execz .LBB290_409
; %bb.404:                              ;   in Loop: Header=BB290_10 Depth=1
	v_and_b32_e32 v20, 0xffff, v6
	v_mov_b32_e32 v101, 0x7c010000
	s_mov_b32 s31, exec_lo
	s_delay_alu instid0(VALU_DEP_2) | instskip(NEXT) | instid1(VALU_DEP_1)
	v_and_b32_e32 v23, 0x7f, v20
	v_cmpx_ne_u32_e32 0x7f, v23
	s_cbranch_execz .LBB290_408
; %bb.405:                              ;   in Loop: Header=BB290_10 Depth=1
	v_dual_lshrrev_b32 v22, 3, v23 :: v_dual_bitop2_b32 v21, 7, v20 bitop3:0x40
	s_mov_b32 s33, exec_lo
	v_cmpx_gt_u32_e32 8, v23
; %bb.406:                              ;   in Loop: Header=BB290_10 Depth=1
	s_delay_alu instid0(VALU_DEP_2) | instskip(NEXT) | instid1(VALU_DEP_1)
	v_clz_i32_u32_e32 v21, v21
	v_min_u32_e32 v21, 32, v21
	s_delay_alu instid0(VALU_DEP_1) | instskip(NEXT) | instid1(VALU_DEP_1)
	v_subrev_nc_u32_e32 v22, 28, v21
	v_lshlrev_b64_e32 v[40:41], v22, v[6:7]
	s_delay_alu instid0(VALU_DEP_1)
	v_dual_sub_nc_u32 v22, 29, v21 :: v_dual_bitop2_b32 v21, 7, v40 bitop3:0x40
; %bb.407:                              ;   in Loop: Header=BB290_10 Depth=1
	s_or_b32 exec_lo, exec_lo, s33
	v_lshlrev_b32_e32 v6, 8, v20
	s_delay_alu instid0(VALU_DEP_2) | instskip(NEXT) | instid1(VALU_DEP_1)
	v_lshl_add_u32 v20, v22, 10, 0x2000
	v_and_or_b32 v6, 0x8000, v6, v20
	v_lshlrev_b32_e32 v20, 23, v21
	s_delay_alu instid0(VALU_DEP_1)
	v_lshl_or_b32 v101, v6, 16, v20
.LBB290_408:                            ;   in Loop: Header=BB290_10 Depth=1
	s_or_b32 exec_lo, exec_lo, s31
.LBB290_409:                            ;   in Loop: Header=BB290_10 Depth=1
	s_delay_alu instid0(SALU_CYCLE_1)
	s_or_b32 exec_lo, exec_lo, s30
.LBB290_410:                            ;   in Loop: Header=BB290_10 Depth=1
	s_delay_alu instid0(SALU_CYCLE_1) | instskip(SKIP_2) | instid1(VALU_DEP_1)
	s_or_b32 exec_lo, exec_lo, s29
	v_lshrrev_b32_e32 v6, 16, v4
	s_mov_b32 s29, exec_lo
	v_and_b32_e32 v20, 0xff, v6
	s_delay_alu instid0(VALU_DEP_1)
	v_cmpx_ne_u16_e32 0, v20
	s_cbranch_execz .LBB290_418
; %bb.411:                              ;   in Loop: Header=BB290_10 Depth=1
	v_mov_b32_e32 v100, 0x8000
	s_mov_b32 s30, exec_lo
	v_cmpx_ne_u16_e32 0x80, v20
	s_cbranch_execz .LBB290_417
; %bb.412:                              ;   in Loop: Header=BB290_10 Depth=1
	v_bfe_u32 v22, v4, 16, 7
	v_mov_b32_e32 v100, 0x7c01
	s_mov_b32 s31, exec_lo
	s_delay_alu instid0(VALU_DEP_2)
	v_cmpx_ne_u32_e32 0x7f, v22
	s_cbranch_execz .LBB290_416
; %bb.413:                              ;   in Loop: Header=BB290_10 Depth=1
	v_and_b32_e32 v20, 7, v6
	v_lshrrev_b32_e32 v21, 3, v22
	s_mov_b32 s33, exec_lo
	v_cmpx_gt_u32_e32 8, v22
; %bb.414:                              ;   in Loop: Header=BB290_10 Depth=1
	s_delay_alu instid0(VALU_DEP_3) | instskip(NEXT) | instid1(VALU_DEP_1)
	v_clz_i32_u32_e32 v20, v20
	v_min_u32_e32 v22, 32, v20
	s_delay_alu instid0(VALU_DEP_1) | instskip(NEXT) | instid1(VALU_DEP_1)
	v_subrev_nc_u32_e32 v20, 28, v22
	v_lshlrev_b64_e32 v[20:21], v20, v[6:7]
	s_delay_alu instid0(VALU_DEP_1)
	v_dual_sub_nc_u32 v21, 29, v22 :: v_dual_bitop2_b32 v20, 7, v20 bitop3:0x40
; %bb.415:                              ;   in Loop: Header=BB290_10 Depth=1
	s_or_b32 exec_lo, exec_lo, s33
	s_delay_alu instid0(VALU_DEP_1) | instskip(NEXT) | instid1(VALU_DEP_2)
	v_dual_lshlrev_b32 v6, 8, v6 :: v_dual_lshlrev_b32 v20, 7, v20
	v_lshl_add_u32 v21, v21, 10, 0x2000
	s_delay_alu instid0(VALU_DEP_2) | instskip(NEXT) | instid1(VALU_DEP_2)
	v_and_b32_e32 v6, 0x8000, v6
	v_and_b32_e32 v21, 0xfc00, v21
	s_delay_alu instid0(VALU_DEP_1)
	v_or3_b32 v100, v6, v21, v20
.LBB290_416:                            ;   in Loop: Header=BB290_10 Depth=1
	s_or_b32 exec_lo, exec_lo, s31
.LBB290_417:                            ;   in Loop: Header=BB290_10 Depth=1
	s_delay_alu instid0(SALU_CYCLE_1)
	s_or_b32 exec_lo, exec_lo, s30
.LBB290_418:                            ;   in Loop: Header=BB290_10 Depth=1
	s_delay_alu instid0(SALU_CYCLE_1)
	s_or_b32 exec_lo, exec_lo, s29
	v_dual_mov_b32 v102, 0 :: v_dual_mov_b32 v103, 0
	s_mov_b32 s29, exec_lo
	v_cmpx_lt_u32_e32 0xffffff, v4
	s_cbranch_execz .LBB290_426
; %bb.419:                              ;   in Loop: Header=BB290_10 Depth=1
	v_lshrrev_b32_e32 v6, 24, v4
	v_bfrev_b32_e32 v103, 1
	s_mov_b32 s30, exec_lo
	s_delay_alu instid0(VALU_DEP_2)
	v_cmpx_ne_u32_e32 0x80, v6
	s_cbranch_execz .LBB290_425
; %bb.420:                              ;   in Loop: Header=BB290_10 Depth=1
	v_and_b32_e32 v22, 0x7f, v6
	v_mov_b32_e32 v103, 0x7c010000
	s_mov_b32 s31, exec_lo
	s_delay_alu instid0(VALU_DEP_2)
	v_cmpx_ne_u32_e32 0x7f, v22
	s_cbranch_execz .LBB290_424
; %bb.421:                              ;   in Loop: Header=BB290_10 Depth=1
	v_and_b32_e32 v20, 7, v6
	v_lshrrev_b32_e32 v21, 3, v22
	s_mov_b32 s33, exec_lo
	v_cmpx_gt_u32_e32 8, v22
; %bb.422:                              ;   in Loop: Header=BB290_10 Depth=1
	s_delay_alu instid0(VALU_DEP_3) | instskip(NEXT) | instid1(VALU_DEP_1)
	v_clz_i32_u32_e32 v20, v20
	v_min_u32_e32 v22, 32, v20
	s_delay_alu instid0(VALU_DEP_1) | instskip(NEXT) | instid1(VALU_DEP_1)
	v_subrev_nc_u32_e32 v20, 28, v22
	v_lshlrev_b64_e32 v[20:21], v20, v[6:7]
	s_delay_alu instid0(VALU_DEP_1)
	v_dual_sub_nc_u32 v21, 29, v22 :: v_dual_bitop2_b32 v20, 7, v20 bitop3:0x40
; %bb.423:                              ;   in Loop: Header=BB290_10 Depth=1
	s_or_b32 exec_lo, exec_lo, s33
	s_delay_alu instid0(VALU_DEP_1) | instskip(NEXT) | instid1(VALU_DEP_2)
	v_dual_lshlrev_b32 v6, 8, v6 :: v_dual_lshlrev_b32 v20, 23, v20
	v_lshl_add_u32 v21, v21, 10, 0x2000
	s_delay_alu instid0(VALU_DEP_1) | instskip(NEXT) | instid1(VALU_DEP_1)
	v_and_or_b32 v6, 0x8000, v6, v21
	v_lshl_or_b32 v103, v6, 16, v20
.LBB290_424:                            ;   in Loop: Header=BB290_10 Depth=1
	s_or_b32 exec_lo, exec_lo, s31
.LBB290_425:                            ;   in Loop: Header=BB290_10 Depth=1
	s_delay_alu instid0(SALU_CYCLE_1)
	s_or_b32 exec_lo, exec_lo, s30
.LBB290_426:                            ;   in Loop: Header=BB290_10 Depth=1
	s_delay_alu instid0(SALU_CYCLE_1) | instskip(SKIP_3) | instid1(VALU_DEP_2)
	s_or_b32 exec_lo, exec_lo, s29
	v_and_b32_e32 v20, 0xff, v5
	v_mov_b32_e32 v6, v5
	s_mov_b32 s29, exec_lo
	v_cmpx_ne_u16_e32 0, v20
	s_cbranch_execz .LBB290_434
; %bb.427:                              ;   in Loop: Header=BB290_10 Depth=1
	v_mov_b32_e32 v102, 0x8000
	s_mov_b32 s30, exec_lo
	v_cmpx_ne_u16_e32 0x80, v20
	s_cbranch_execz .LBB290_433
; %bb.428:                              ;   in Loop: Header=BB290_10 Depth=1
	v_and_b32_e32 v22, 0x7f, v5
	v_mov_b32_e32 v102, 0x7c01
	s_mov_b32 s31, exec_lo
	s_delay_alu instid0(VALU_DEP_2)
	v_cmpx_ne_u32_e32 0x7f, v22
	s_cbranch_execz .LBB290_432
; %bb.429:                              ;   in Loop: Header=BB290_10 Depth=1
	v_dual_lshrrev_b32 v21, 3, v22 :: v_dual_bitop2_b32 v20, 7, v5 bitop3:0x40
	s_mov_b32 s33, exec_lo
	v_cmpx_gt_u32_e32 8, v22
; %bb.430:                              ;   in Loop: Header=BB290_10 Depth=1
	s_delay_alu instid0(VALU_DEP_2) | instskip(NEXT) | instid1(VALU_DEP_1)
	v_clz_i32_u32_e32 v20, v20
	v_min_u32_e32 v22, 32, v20
	s_delay_alu instid0(VALU_DEP_1) | instskip(NEXT) | instid1(VALU_DEP_1)
	v_subrev_nc_u32_e32 v20, 28, v22
	v_lshlrev_b64_e32 v[20:21], v20, v[6:7]
	s_delay_alu instid0(VALU_DEP_1)
	v_dual_sub_nc_u32 v21, 29, v22 :: v_dual_bitop2_b32 v20, 7, v20 bitop3:0x40
; %bb.431:                              ;   in Loop: Header=BB290_10 Depth=1
	s_or_b32 exec_lo, exec_lo, s33
	s_delay_alu instid0(VALU_DEP_1) | instskip(NEXT) | instid1(VALU_DEP_2)
	v_dual_lshlrev_b32 v22, 8, v5 :: v_dual_lshlrev_b32 v20, 7, v20
	v_lshl_add_u32 v21, v21, 10, 0x2000
	s_delay_alu instid0(VALU_DEP_2) | instskip(NEXT) | instid1(VALU_DEP_2)
	v_and_b32_e32 v22, 0x8000, v22
	v_and_b32_e32 v21, 0xfc00, v21
	s_delay_alu instid0(VALU_DEP_1)
	v_or3_b32 v102, v22, v21, v20
.LBB290_432:                            ;   in Loop: Header=BB290_10 Depth=1
	s_or_b32 exec_lo, exec_lo, s31
.LBB290_433:                            ;   in Loop: Header=BB290_10 Depth=1
	s_delay_alu instid0(SALU_CYCLE_1)
	s_or_b32 exec_lo, exec_lo, s30
.LBB290_434:                            ;   in Loop: Header=BB290_10 Depth=1
	s_delay_alu instid0(SALU_CYCLE_1) | instskip(SKIP_3) | instid1(VALU_DEP_2)
	s_or_b32 exec_lo, exec_lo, s29
	v_lshrrev_b16 v6, 8, v6
	v_dual_mov_b32 v105, 0 :: v_dual_mov_b32 v104, 0
	s_mov_b32 s29, exec_lo
	v_cmpx_ne_u16_e32 0, v6
	s_cbranch_execz .LBB290_442
; %bb.435:                              ;   in Loop: Header=BB290_10 Depth=1
	v_bfrev_b32_e32 v104, 1
	s_mov_b32 s30, exec_lo
	v_cmpx_ne_u16_e32 0x80, v6
	s_cbranch_execz .LBB290_441
; %bb.436:                              ;   in Loop: Header=BB290_10 Depth=1
	v_and_b32_e32 v20, 0xffff, v6
	v_mov_b32_e32 v104, 0x7c010000
	s_mov_b32 s31, exec_lo
	s_delay_alu instid0(VALU_DEP_2) | instskip(NEXT) | instid1(VALU_DEP_1)
	v_and_b32_e32 v23, 0x7f, v20
	v_cmpx_ne_u32_e32 0x7f, v23
	s_cbranch_execz .LBB290_440
; %bb.437:                              ;   in Loop: Header=BB290_10 Depth=1
	v_dual_lshrrev_b32 v22, 3, v23 :: v_dual_bitop2_b32 v21, 7, v20 bitop3:0x40
	s_mov_b32 s33, exec_lo
	v_cmpx_gt_u32_e32 8, v23
; %bb.438:                              ;   in Loop: Header=BB290_10 Depth=1
	s_delay_alu instid0(VALU_DEP_2) | instskip(NEXT) | instid1(VALU_DEP_1)
	v_clz_i32_u32_e32 v21, v21
	v_min_u32_e32 v21, 32, v21
	s_delay_alu instid0(VALU_DEP_1) | instskip(NEXT) | instid1(VALU_DEP_1)
	v_subrev_nc_u32_e32 v22, 28, v21
	v_lshlrev_b64_e32 v[40:41], v22, v[6:7]
	s_delay_alu instid0(VALU_DEP_1)
	v_dual_sub_nc_u32 v22, 29, v21 :: v_dual_bitop2_b32 v21, 7, v40 bitop3:0x40
; %bb.439:                              ;   in Loop: Header=BB290_10 Depth=1
	s_or_b32 exec_lo, exec_lo, s33
	v_lshlrev_b32_e32 v6, 8, v20
	s_delay_alu instid0(VALU_DEP_2) | instskip(NEXT) | instid1(VALU_DEP_1)
	v_lshl_add_u32 v20, v22, 10, 0x2000
	v_and_or_b32 v6, 0x8000, v6, v20
	v_lshlrev_b32_e32 v20, 23, v21
	s_delay_alu instid0(VALU_DEP_1)
	v_lshl_or_b32 v104, v6, 16, v20
.LBB290_440:                            ;   in Loop: Header=BB290_10 Depth=1
	s_or_b32 exec_lo, exec_lo, s31
.LBB290_441:                            ;   in Loop: Header=BB290_10 Depth=1
	s_delay_alu instid0(SALU_CYCLE_1)
	s_or_b32 exec_lo, exec_lo, s30
.LBB290_442:                            ;   in Loop: Header=BB290_10 Depth=1
	s_delay_alu instid0(SALU_CYCLE_1) | instskip(SKIP_2) | instid1(VALU_DEP_1)
	s_or_b32 exec_lo, exec_lo, s29
	v_lshrrev_b32_e32 v6, 16, v5
	s_mov_b32 s29, exec_lo
	v_and_b32_e32 v20, 0xff, v6
	s_delay_alu instid0(VALU_DEP_1)
	v_cmpx_ne_u16_e32 0, v20
	s_cbranch_execz .LBB290_450
; %bb.443:                              ;   in Loop: Header=BB290_10 Depth=1
	v_mov_b32_e32 v105, 0x8000
	s_mov_b32 s30, exec_lo
	v_cmpx_ne_u16_e32 0x80, v20
	s_cbranch_execz .LBB290_449
; %bb.444:                              ;   in Loop: Header=BB290_10 Depth=1
	v_bfe_u32 v22, v5, 16, 7
	v_mov_b32_e32 v105, 0x7c01
	s_mov_b32 s31, exec_lo
	s_delay_alu instid0(VALU_DEP_2)
	v_cmpx_ne_u32_e32 0x7f, v22
	s_cbranch_execz .LBB290_448
; %bb.445:                              ;   in Loop: Header=BB290_10 Depth=1
	v_and_b32_e32 v20, 7, v6
	v_lshrrev_b32_e32 v21, 3, v22
	s_mov_b32 s33, exec_lo
	v_cmpx_gt_u32_e32 8, v22
; %bb.446:                              ;   in Loop: Header=BB290_10 Depth=1
	s_delay_alu instid0(VALU_DEP_3) | instskip(NEXT) | instid1(VALU_DEP_1)
	v_clz_i32_u32_e32 v20, v20
	v_min_u32_e32 v22, 32, v20
	s_delay_alu instid0(VALU_DEP_1) | instskip(NEXT) | instid1(VALU_DEP_1)
	v_subrev_nc_u32_e32 v20, 28, v22
	v_lshlrev_b64_e32 v[20:21], v20, v[6:7]
	s_delay_alu instid0(VALU_DEP_1)
	v_dual_sub_nc_u32 v21, 29, v22 :: v_dual_bitop2_b32 v20, 7, v20 bitop3:0x40
; %bb.447:                              ;   in Loop: Header=BB290_10 Depth=1
	s_or_b32 exec_lo, exec_lo, s33
	s_delay_alu instid0(VALU_DEP_1) | instskip(NEXT) | instid1(VALU_DEP_2)
	v_dual_lshlrev_b32 v6, 8, v6 :: v_dual_lshlrev_b32 v20, 7, v20
	v_lshl_add_u32 v21, v21, 10, 0x2000
	s_delay_alu instid0(VALU_DEP_2) | instskip(NEXT) | instid1(VALU_DEP_2)
	v_and_b32_e32 v6, 0x8000, v6
	v_and_b32_e32 v21, 0xfc00, v21
	s_delay_alu instid0(VALU_DEP_1)
	v_or3_b32 v105, v6, v21, v20
.LBB290_448:                            ;   in Loop: Header=BB290_10 Depth=1
	s_or_b32 exec_lo, exec_lo, s31
.LBB290_449:                            ;   in Loop: Header=BB290_10 Depth=1
	s_delay_alu instid0(SALU_CYCLE_1)
	s_or_b32 exec_lo, exec_lo, s30
.LBB290_450:                            ;   in Loop: Header=BB290_10 Depth=1
	s_delay_alu instid0(SALU_CYCLE_1)
	s_or_b32 exec_lo, exec_lo, s29
	v_dual_mov_b32 v106, 0 :: v_dual_mov_b32 v107, 0
	s_mov_b32 s29, exec_lo
	v_cmpx_lt_u64_e64 s[20:21], v[4:5]
	s_cbranch_execz .LBB290_458
; %bb.451:                              ;   in Loop: Header=BB290_10 Depth=1
	v_lshrrev_b32_e32 v6, 24, v5
	v_bfrev_b32_e32 v107, 1
	s_mov_b32 s30, exec_lo
	s_delay_alu instid0(VALU_DEP_2)
	v_cmpx_ne_u32_e32 0x80, v6
	s_cbranch_execz .LBB290_457
; %bb.452:                              ;   in Loop: Header=BB290_10 Depth=1
	v_and_b32_e32 v20, 0x7f, v6
	v_mov_b32_e32 v107, 0x7c010000
	s_mov_b32 s31, exec_lo
	s_delay_alu instid0(VALU_DEP_2)
	v_cmpx_ne_u32_e32 0x7f, v20
	s_cbranch_execz .LBB290_456
; %bb.453:                              ;   in Loop: Header=BB290_10 Depth=1
	v_dual_lshrrev_b32 v5, 3, v20 :: v_dual_bitop2_b32 v4, 7, v6 bitop3:0x40
	s_mov_b32 s33, exec_lo
	v_cmpx_gt_u32_e32 8, v20
; %bb.454:                              ;   in Loop: Header=BB290_10 Depth=1
	s_delay_alu instid0(VALU_DEP_2) | instskip(NEXT) | instid1(VALU_DEP_1)
	v_clz_i32_u32_e32 v4, v4
	v_min_u32_e32 v20, 32, v4
	s_delay_alu instid0(VALU_DEP_1) | instskip(NEXT) | instid1(VALU_DEP_1)
	v_subrev_nc_u32_e32 v4, 28, v20
	v_lshlrev_b64_e32 v[4:5], v4, v[6:7]
	v_sub_nc_u32_e32 v5, 29, v20
	s_delay_alu instid0(VALU_DEP_2)
	v_and_b32_e32 v4, 7, v4
; %bb.455:                              ;   in Loop: Header=BB290_10 Depth=1
	s_or_b32 exec_lo, exec_lo, s33
	s_delay_alu instid0(VALU_DEP_1) | instskip(NEXT) | instid1(VALU_DEP_3)
	v_dual_lshlrev_b32 v6, 8, v6 :: v_dual_lshlrev_b32 v4, 23, v4
	v_lshl_add_u32 v5, v5, 10, 0x2000
	s_delay_alu instid0(VALU_DEP_1) | instskip(NEXT) | instid1(VALU_DEP_1)
	v_and_or_b32 v5, 0x8000, v6, v5
	v_lshl_or_b32 v107, v5, 16, v4
.LBB290_456:                            ;   in Loop: Header=BB290_10 Depth=1
	s_or_b32 exec_lo, exec_lo, s31
.LBB290_457:                            ;   in Loop: Header=BB290_10 Depth=1
	s_delay_alu instid0(SALU_CYCLE_1)
	s_or_b32 exec_lo, exec_lo, s30
.LBB290_458:                            ;   in Loop: Header=BB290_10 Depth=1
	s_delay_alu instid0(SALU_CYCLE_1)
	s_or_b32 exec_lo, exec_lo, s29
	global_load_b64 v[2:3], v[2:3], off offset:1544
	s_mov_b32 s29, exec_lo
	s_wait_loadcnt 0x0
	v_and_b32_e32 v4, 0xff, v2
	s_wait_xcnt 0x0
	s_delay_alu instid0(VALU_DEP_1)
	v_cmpx_ne_u16_e32 0, v4
	s_cbranch_execz .LBB290_466
; %bb.459:                              ;   in Loop: Header=BB290_10 Depth=1
	v_mov_b32_e32 v106, 0x8000
	s_mov_b32 s30, exec_lo
	v_cmpx_ne_u16_e32 0x80, v4
	s_cbranch_execz .LBB290_465
; %bb.460:                              ;   in Loop: Header=BB290_10 Depth=1
	v_and_b32_e32 v6, 0x7f, v2
	v_mov_b32_e32 v106, 0x7c01
	s_mov_b32 s31, exec_lo
	s_delay_alu instid0(VALU_DEP_2)
	v_cmpx_ne_u32_e32 0x7f, v6
	s_cbranch_execz .LBB290_464
; %bb.461:                              ;   in Loop: Header=BB290_10 Depth=1
	v_and_b32_e32 v4, 7, v2
	v_lshrrev_b32_e32 v5, 3, v6
	s_mov_b32 s33, exec_lo
	v_cmpx_gt_u32_e32 8, v6
; %bb.462:                              ;   in Loop: Header=BB290_10 Depth=1
	s_delay_alu instid0(VALU_DEP_3) | instskip(NEXT) | instid1(VALU_DEP_1)
	v_clz_i32_u32_e32 v4, v4
	v_min_u32_e32 v6, 32, v4
	s_delay_alu instid0(VALU_DEP_1) | instskip(NEXT) | instid1(VALU_DEP_1)
	v_subrev_nc_u32_e32 v4, 28, v6
	v_lshlrev_b64_e32 v[4:5], v4, v[2:3]
	s_delay_alu instid0(VALU_DEP_1)
	v_dual_sub_nc_u32 v5, 29, v6 :: v_dual_bitop2_b32 v4, 7, v4 bitop3:0x40
; %bb.463:                              ;   in Loop: Header=BB290_10 Depth=1
	s_or_b32 exec_lo, exec_lo, s33
	s_delay_alu instid0(VALU_DEP_1) | instskip(NEXT) | instid1(VALU_DEP_2)
	v_dual_lshlrev_b32 v6, 8, v2 :: v_dual_lshlrev_b32 v4, 7, v4
	v_lshl_add_u32 v5, v5, 10, 0x2000
	s_delay_alu instid0(VALU_DEP_2) | instskip(NEXT) | instid1(VALU_DEP_2)
	v_and_b32_e32 v6, 0x8000, v6
	v_and_b32_e32 v5, 0xfc00, v5
	s_delay_alu instid0(VALU_DEP_1)
	v_or3_b32 v106, v6, v5, v4
.LBB290_464:                            ;   in Loop: Header=BB290_10 Depth=1
	s_or_b32 exec_lo, exec_lo, s31
.LBB290_465:                            ;   in Loop: Header=BB290_10 Depth=1
	s_delay_alu instid0(SALU_CYCLE_1)
	s_or_b32 exec_lo, exec_lo, s30
.LBB290_466:                            ;   in Loop: Header=BB290_10 Depth=1
	s_delay_alu instid0(SALU_CYCLE_1) | instskip(SKIP_3) | instid1(VALU_DEP_2)
	s_or_b32 exec_lo, exec_lo, s29
	v_lshrrev_b16 v6, 8, v2
	v_dual_mov_b32 v108, 0 :: v_dual_mov_b32 v109, 0
	s_mov_b32 s29, exec_lo
	v_cmpx_ne_u16_e32 0, v6
	s_cbranch_execz .LBB290_474
; %bb.467:                              ;   in Loop: Header=BB290_10 Depth=1
	v_bfrev_b32_e32 v109, 1
	s_mov_b32 s30, exec_lo
	v_cmpx_ne_u16_e32 0x80, v6
	s_cbranch_execz .LBB290_473
; %bb.468:                              ;   in Loop: Header=BB290_10 Depth=1
	v_and_b32_e32 v4, 0xffff, v6
	v_mov_b32_e32 v109, 0x7c010000
	s_mov_b32 s31, exec_lo
	s_delay_alu instid0(VALU_DEP_2) | instskip(NEXT) | instid1(VALU_DEP_1)
	v_and_b32_e32 v21, 0x7f, v4
	v_cmpx_ne_u32_e32 0x7f, v21
	s_cbranch_execz .LBB290_472
; %bb.469:                              ;   in Loop: Header=BB290_10 Depth=1
	v_dual_lshrrev_b32 v20, 3, v21 :: v_dual_bitop2_b32 v5, 7, v4 bitop3:0x40
	s_mov_b32 s33, exec_lo
	v_cmpx_gt_u32_e32 8, v21
; %bb.470:                              ;   in Loop: Header=BB290_10 Depth=1
	s_delay_alu instid0(VALU_DEP_2) | instskip(NEXT) | instid1(VALU_DEP_1)
	v_clz_i32_u32_e32 v5, v5
	v_min_u32_e32 v5, 32, v5
	s_delay_alu instid0(VALU_DEP_1) | instskip(NEXT) | instid1(VALU_DEP_1)
	v_subrev_nc_u32_e32 v20, 28, v5
	v_lshlrev_b64_e32 v[22:23], v20, v[6:7]
	s_delay_alu instid0(VALU_DEP_1)
	v_dual_sub_nc_u32 v20, 29, v5 :: v_dual_bitop2_b32 v5, 7, v22 bitop3:0x40
; %bb.471:                              ;   in Loop: Header=BB290_10 Depth=1
	s_or_b32 exec_lo, exec_lo, s33
	s_delay_alu instid0(VALU_DEP_1) | instskip(NEXT) | instid1(VALU_DEP_2)
	v_dual_lshlrev_b32 v4, 8, v4 :: v_dual_lshlrev_b32 v5, 23, v5
	v_lshl_add_u32 v6, v20, 10, 0x2000
	s_delay_alu instid0(VALU_DEP_1) | instskip(NEXT) | instid1(VALU_DEP_1)
	v_and_or_b32 v4, 0x8000, v4, v6
	v_lshl_or_b32 v109, v4, 16, v5
.LBB290_472:                            ;   in Loop: Header=BB290_10 Depth=1
	s_or_b32 exec_lo, exec_lo, s31
.LBB290_473:                            ;   in Loop: Header=BB290_10 Depth=1
	s_delay_alu instid0(SALU_CYCLE_1)
	s_or_b32 exec_lo, exec_lo, s30
.LBB290_474:                            ;   in Loop: Header=BB290_10 Depth=1
	s_delay_alu instid0(SALU_CYCLE_1) | instskip(SKIP_2) | instid1(VALU_DEP_1)
	s_or_b32 exec_lo, exec_lo, s29
	v_lshrrev_b32_e32 v4, 16, v2
	s_mov_b32 s29, exec_lo
	v_and_b32_e32 v5, 0xff, v4
	s_delay_alu instid0(VALU_DEP_1)
	v_cmpx_ne_u16_e32 0, v5
	s_cbranch_execz .LBB290_482
; %bb.475:                              ;   in Loop: Header=BB290_10 Depth=1
	v_mov_b32_e32 v108, 0x8000
	s_mov_b32 s30, exec_lo
	v_cmpx_ne_u16_e32 0x80, v5
	s_cbranch_execz .LBB290_481
; %bb.476:                              ;   in Loop: Header=BB290_10 Depth=1
	v_bfe_u32 v20, v2, 16, 7
	v_mov_b32_e32 v108, 0x7c01
	s_mov_b32 s31, exec_lo
	s_delay_alu instid0(VALU_DEP_2)
	v_cmpx_ne_u32_e32 0x7f, v20
	s_cbranch_execz .LBB290_480
; %bb.477:                              ;   in Loop: Header=BB290_10 Depth=1
	v_and_b32_e32 v5, 7, v4
	v_lshrrev_b32_e32 v6, 3, v20
	s_mov_b32 s33, exec_lo
	v_cmpx_gt_u32_e32 8, v20
; %bb.478:                              ;   in Loop: Header=BB290_10 Depth=1
	s_delay_alu instid0(VALU_DEP_3) | instskip(NEXT) | instid1(VALU_DEP_1)
	v_clz_i32_u32_e32 v5, v5
	v_min_u32_e32 v5, 32, v5
	s_delay_alu instid0(VALU_DEP_1) | instskip(NEXT) | instid1(VALU_DEP_1)
	v_subrev_nc_u32_e32 v6, 28, v5
	v_lshlrev_b64_e32 v[20:21], v6, v[4:5]
	s_delay_alu instid0(VALU_DEP_1)
	v_dual_sub_nc_u32 v6, 29, v5 :: v_dual_bitop2_b32 v5, 7, v20 bitop3:0x40
; %bb.479:                              ;   in Loop: Header=BB290_10 Depth=1
	s_or_b32 exec_lo, exec_lo, s33
	s_delay_alu instid0(VALU_DEP_1) | instskip(NEXT) | instid1(VALU_DEP_2)
	v_dual_lshlrev_b32 v4, 8, v4 :: v_dual_lshlrev_b32 v5, 7, v5
	v_lshl_add_u32 v6, v6, 10, 0x2000
	s_delay_alu instid0(VALU_DEP_2) | instskip(NEXT) | instid1(VALU_DEP_2)
	v_and_b32_e32 v4, 0x8000, v4
	v_and_b32_e32 v6, 0xfc00, v6
	s_delay_alu instid0(VALU_DEP_1)
	v_or3_b32 v108, v4, v6, v5
.LBB290_480:                            ;   in Loop: Header=BB290_10 Depth=1
	s_or_b32 exec_lo, exec_lo, s31
.LBB290_481:                            ;   in Loop: Header=BB290_10 Depth=1
	s_delay_alu instid0(SALU_CYCLE_1)
	s_or_b32 exec_lo, exec_lo, s30
.LBB290_482:                            ;   in Loop: Header=BB290_10 Depth=1
	s_delay_alu instid0(SALU_CYCLE_1)
	s_or_b32 exec_lo, exec_lo, s29
	v_dual_mov_b32 v110, 0 :: v_dual_mov_b32 v111, 0
	s_mov_b32 s29, exec_lo
	v_cmpx_lt_u32_e32 0xffffff, v2
	s_cbranch_execz .LBB290_490
; %bb.483:                              ;   in Loop: Header=BB290_10 Depth=1
	v_lshrrev_b32_e32 v6, 24, v2
	v_bfrev_b32_e32 v111, 1
	s_mov_b32 s30, exec_lo
	s_delay_alu instid0(VALU_DEP_2)
	v_cmpx_ne_u32_e32 0x80, v6
	s_cbranch_execz .LBB290_489
; %bb.484:                              ;   in Loop: Header=BB290_10 Depth=1
	v_and_b32_e32 v20, 0x7f, v6
	v_mov_b32_e32 v111, 0x7c010000
	s_mov_b32 s31, exec_lo
	s_delay_alu instid0(VALU_DEP_2)
	v_cmpx_ne_u32_e32 0x7f, v20
	s_cbranch_execz .LBB290_488
; %bb.485:                              ;   in Loop: Header=BB290_10 Depth=1
	v_dual_lshrrev_b32 v5, 3, v20 :: v_dual_bitop2_b32 v4, 7, v6 bitop3:0x40
	s_mov_b32 s33, exec_lo
	v_cmpx_gt_u32_e32 8, v20
; %bb.486:                              ;   in Loop: Header=BB290_10 Depth=1
	s_delay_alu instid0(VALU_DEP_2) | instskip(NEXT) | instid1(VALU_DEP_1)
	v_clz_i32_u32_e32 v4, v4
	v_min_u32_e32 v20, 32, v4
	s_delay_alu instid0(VALU_DEP_1) | instskip(NEXT) | instid1(VALU_DEP_1)
	v_subrev_nc_u32_e32 v4, 28, v20
	v_lshlrev_b64_e32 v[4:5], v4, v[6:7]
	v_sub_nc_u32_e32 v5, 29, v20
	s_delay_alu instid0(VALU_DEP_2)
	v_and_b32_e32 v4, 7, v4
; %bb.487:                              ;   in Loop: Header=BB290_10 Depth=1
	s_or_b32 exec_lo, exec_lo, s33
	s_delay_alu instid0(VALU_DEP_1) | instskip(NEXT) | instid1(VALU_DEP_3)
	v_dual_lshlrev_b32 v6, 8, v6 :: v_dual_lshlrev_b32 v4, 23, v4
	v_lshl_add_u32 v5, v5, 10, 0x2000
	s_delay_alu instid0(VALU_DEP_1) | instskip(NEXT) | instid1(VALU_DEP_1)
	v_and_or_b32 v5, 0x8000, v6, v5
	v_lshl_or_b32 v111, v5, 16, v4
.LBB290_488:                            ;   in Loop: Header=BB290_10 Depth=1
	s_or_b32 exec_lo, exec_lo, s31
.LBB290_489:                            ;   in Loop: Header=BB290_10 Depth=1
	s_delay_alu instid0(SALU_CYCLE_1)
	s_or_b32 exec_lo, exec_lo, s30
.LBB290_490:                            ;   in Loop: Header=BB290_10 Depth=1
	s_delay_alu instid0(SALU_CYCLE_1) | instskip(SKIP_3) | instid1(VALU_DEP_2)
	s_or_b32 exec_lo, exec_lo, s29
	v_and_b32_e32 v4, 0xff, v3
	v_mov_b32_e32 v6, v3
	s_mov_b32 s29, exec_lo
	v_cmpx_ne_u16_e32 0, v4
	s_cbranch_execz .LBB290_498
; %bb.491:                              ;   in Loop: Header=BB290_10 Depth=1
	v_mov_b32_e32 v110, 0x8000
	s_mov_b32 s30, exec_lo
	v_cmpx_ne_u16_e32 0x80, v4
	s_cbranch_execz .LBB290_497
; %bb.492:                              ;   in Loop: Header=BB290_10 Depth=1
	v_and_b32_e32 v20, 0x7f, v3
	v_mov_b32_e32 v110, 0x7c01
	s_mov_b32 s31, exec_lo
	s_delay_alu instid0(VALU_DEP_2)
	v_cmpx_ne_u32_e32 0x7f, v20
	s_cbranch_execz .LBB290_496
; %bb.493:                              ;   in Loop: Header=BB290_10 Depth=1
	v_dual_lshrrev_b32 v5, 3, v20 :: v_dual_bitop2_b32 v4, 7, v3 bitop3:0x40
	s_mov_b32 s33, exec_lo
	v_cmpx_gt_u32_e32 8, v20
; %bb.494:                              ;   in Loop: Header=BB290_10 Depth=1
	s_delay_alu instid0(VALU_DEP_2) | instskip(NEXT) | instid1(VALU_DEP_1)
	v_clz_i32_u32_e32 v4, v4
	v_min_u32_e32 v20, 32, v4
	s_delay_alu instid0(VALU_DEP_1) | instskip(NEXT) | instid1(VALU_DEP_1)
	v_subrev_nc_u32_e32 v4, 28, v20
	v_lshlrev_b64_e32 v[4:5], v4, v[6:7]
	v_sub_nc_u32_e32 v5, 29, v20
	s_delay_alu instid0(VALU_DEP_2)
	v_and_b32_e32 v4, 7, v4
; %bb.495:                              ;   in Loop: Header=BB290_10 Depth=1
	s_or_b32 exec_lo, exec_lo, s33
	s_delay_alu instid0(VALU_DEP_1) | instskip(NEXT) | instid1(VALU_DEP_3)
	v_dual_lshlrev_b32 v20, 8, v3 :: v_dual_lshlrev_b32 v4, 7, v4
	v_lshl_add_u32 v5, v5, 10, 0x2000
	s_delay_alu instid0(VALU_DEP_2) | instskip(NEXT) | instid1(VALU_DEP_2)
	v_and_b32_e32 v20, 0x8000, v20
	v_and_b32_e32 v5, 0xfc00, v5
	s_delay_alu instid0(VALU_DEP_1)
	v_or3_b32 v110, v20, v5, v4
.LBB290_496:                            ;   in Loop: Header=BB290_10 Depth=1
	s_or_b32 exec_lo, exec_lo, s31
.LBB290_497:                            ;   in Loop: Header=BB290_10 Depth=1
	s_delay_alu instid0(SALU_CYCLE_1)
	s_or_b32 exec_lo, exec_lo, s30
.LBB290_498:                            ;   in Loop: Header=BB290_10 Depth=1
	s_delay_alu instid0(SALU_CYCLE_1) | instskip(SKIP_3) | instid1(VALU_DEP_2)
	s_or_b32 exec_lo, exec_lo, s29
	v_lshrrev_b16 v6, 8, v6
	v_dual_mov_b32 v112, 0 :: v_dual_mov_b32 v113, 0
	s_mov_b32 s29, exec_lo
	v_cmpx_ne_u16_e32 0, v6
	s_cbranch_execz .LBB290_506
; %bb.499:                              ;   in Loop: Header=BB290_10 Depth=1
	v_bfrev_b32_e32 v113, 1
	s_mov_b32 s30, exec_lo
	v_cmpx_ne_u16_e32 0x80, v6
	s_cbranch_execz .LBB290_505
; %bb.500:                              ;   in Loop: Header=BB290_10 Depth=1
	v_and_b32_e32 v4, 0xffff, v6
	v_mov_b32_e32 v113, 0x7c010000
	s_mov_b32 s31, exec_lo
	s_delay_alu instid0(VALU_DEP_2) | instskip(NEXT) | instid1(VALU_DEP_1)
	v_and_b32_e32 v21, 0x7f, v4
	v_cmpx_ne_u32_e32 0x7f, v21
	s_cbranch_execz .LBB290_504
; %bb.501:                              ;   in Loop: Header=BB290_10 Depth=1
	v_dual_lshrrev_b32 v20, 3, v21 :: v_dual_bitop2_b32 v5, 7, v4 bitop3:0x40
	s_mov_b32 s33, exec_lo
	v_cmpx_gt_u32_e32 8, v21
; %bb.502:                              ;   in Loop: Header=BB290_10 Depth=1
	s_delay_alu instid0(VALU_DEP_2) | instskip(NEXT) | instid1(VALU_DEP_1)
	v_clz_i32_u32_e32 v5, v5
	v_min_u32_e32 v5, 32, v5
	s_delay_alu instid0(VALU_DEP_1) | instskip(NEXT) | instid1(VALU_DEP_1)
	v_subrev_nc_u32_e32 v20, 28, v5
	v_lshlrev_b64_e32 v[22:23], v20, v[6:7]
	s_delay_alu instid0(VALU_DEP_1)
	v_dual_sub_nc_u32 v20, 29, v5 :: v_dual_bitop2_b32 v5, 7, v22 bitop3:0x40
; %bb.503:                              ;   in Loop: Header=BB290_10 Depth=1
	s_or_b32 exec_lo, exec_lo, s33
	s_delay_alu instid0(VALU_DEP_1) | instskip(NEXT) | instid1(VALU_DEP_2)
	v_dual_lshlrev_b32 v4, 8, v4 :: v_dual_lshlrev_b32 v5, 23, v5
	v_lshl_add_u32 v6, v20, 10, 0x2000
	s_delay_alu instid0(VALU_DEP_1) | instskip(NEXT) | instid1(VALU_DEP_1)
	v_and_or_b32 v4, 0x8000, v4, v6
	v_lshl_or_b32 v113, v4, 16, v5
.LBB290_504:                            ;   in Loop: Header=BB290_10 Depth=1
	s_or_b32 exec_lo, exec_lo, s31
.LBB290_505:                            ;   in Loop: Header=BB290_10 Depth=1
	s_delay_alu instid0(SALU_CYCLE_1)
	s_or_b32 exec_lo, exec_lo, s30
.LBB290_506:                            ;   in Loop: Header=BB290_10 Depth=1
	s_delay_alu instid0(SALU_CYCLE_1) | instskip(SKIP_2) | instid1(VALU_DEP_1)
	s_or_b32 exec_lo, exec_lo, s29
	v_lshrrev_b32_e32 v4, 16, v3
	s_mov_b32 s29, exec_lo
	v_and_b32_e32 v5, 0xff, v4
	s_delay_alu instid0(VALU_DEP_1)
	v_cmpx_ne_u16_e32 0, v5
	s_cbranch_execz .LBB290_514
; %bb.507:                              ;   in Loop: Header=BB290_10 Depth=1
	v_mov_b32_e32 v112, 0x8000
	s_mov_b32 s30, exec_lo
	v_cmpx_ne_u16_e32 0x80, v5
	s_cbranch_execz .LBB290_513
; %bb.508:                              ;   in Loop: Header=BB290_10 Depth=1
	v_bfe_u32 v20, v3, 16, 7
	v_mov_b32_e32 v112, 0x7c01
	s_mov_b32 s31, exec_lo
	s_delay_alu instid0(VALU_DEP_2)
	v_cmpx_ne_u32_e32 0x7f, v20
	s_cbranch_execz .LBB290_512
; %bb.509:                              ;   in Loop: Header=BB290_10 Depth=1
	v_and_b32_e32 v5, 7, v4
	v_lshrrev_b32_e32 v6, 3, v20
	s_mov_b32 s33, exec_lo
	v_cmpx_gt_u32_e32 8, v20
; %bb.510:                              ;   in Loop: Header=BB290_10 Depth=1
	s_delay_alu instid0(VALU_DEP_3) | instskip(NEXT) | instid1(VALU_DEP_1)
	v_clz_i32_u32_e32 v5, v5
	v_min_u32_e32 v5, 32, v5
	s_delay_alu instid0(VALU_DEP_1) | instskip(NEXT) | instid1(VALU_DEP_1)
	v_subrev_nc_u32_e32 v6, 28, v5
	v_lshlrev_b64_e32 v[20:21], v6, v[4:5]
	s_delay_alu instid0(VALU_DEP_1)
	v_dual_sub_nc_u32 v6, 29, v5 :: v_dual_bitop2_b32 v5, 7, v20 bitop3:0x40
; %bb.511:                              ;   in Loop: Header=BB290_10 Depth=1
	s_or_b32 exec_lo, exec_lo, s33
	s_delay_alu instid0(VALU_DEP_1) | instskip(NEXT) | instid1(VALU_DEP_2)
	v_dual_lshlrev_b32 v4, 8, v4 :: v_dual_lshlrev_b32 v5, 7, v5
	v_lshl_add_u32 v6, v6, 10, 0x2000
	s_delay_alu instid0(VALU_DEP_2) | instskip(NEXT) | instid1(VALU_DEP_2)
	v_and_b32_e32 v4, 0x8000, v4
	v_and_b32_e32 v6, 0xfc00, v6
	s_delay_alu instid0(VALU_DEP_1)
	v_or3_b32 v112, v4, v6, v5
.LBB290_512:                            ;   in Loop: Header=BB290_10 Depth=1
	s_or_b32 exec_lo, exec_lo, s31
.LBB290_513:                            ;   in Loop: Header=BB290_10 Depth=1
	s_delay_alu instid0(SALU_CYCLE_1)
	s_or_b32 exec_lo, exec_lo, s30
.LBB290_514:                            ;   in Loop: Header=BB290_10 Depth=1
	s_delay_alu instid0(SALU_CYCLE_1)
	s_or_b32 exec_lo, exec_lo, s29
	v_mov_b32_e32 v114, 0
	s_mov_b32 s29, exec_lo
	v_cmpx_lt_u64_e64 s[20:21], v[2:3]
	s_cbranch_execz .LBB290_9
; %bb.515:                              ;   in Loop: Header=BB290_10 Depth=1
	v_lshrrev_b32_e32 v6, 24, v3
	v_bfrev_b32_e32 v114, 1
	s_mov_b32 s30, exec_lo
	s_delay_alu instid0(VALU_DEP_2)
	v_cmpx_ne_u32_e32 0x80, v6
	s_cbranch_execz .LBB290_8
; %bb.516:                              ;   in Loop: Header=BB290_10 Depth=1
	v_and_b32_e32 v4, 0x7f, v6
	v_mov_b32_e32 v114, 0x7c010000
	s_mov_b32 s31, exec_lo
	s_delay_alu instid0(VALU_DEP_2)
	v_cmpx_ne_u32_e32 0x7f, v4
	s_cbranch_execz .LBB290_7
; %bb.517:                              ;   in Loop: Header=BB290_10 Depth=1
	v_dual_lshrrev_b32 v3, 3, v4 :: v_dual_bitop2_b32 v2, 7, v6 bitop3:0x40
	s_mov_b32 s33, exec_lo
	v_cmpx_gt_u32_e32 8, v4
	s_cbranch_execz .LBB290_6
; %bb.518:                              ;   in Loop: Header=BB290_10 Depth=1
	s_delay_alu instid0(VALU_DEP_2) | instskip(NEXT) | instid1(VALU_DEP_1)
	v_clz_i32_u32_e32 v2, v2
	v_min_u32_e32 v4, 32, v2
	s_delay_alu instid0(VALU_DEP_1) | instskip(NEXT) | instid1(VALU_DEP_1)
	v_subrev_nc_u32_e32 v2, 28, v4
	v_lshlrev_b64_e32 v[2:3], v2, v[6:7]
	s_delay_alu instid0(VALU_DEP_1)
	v_dual_sub_nc_u32 v3, 29, v4 :: v_dual_bitop2_b32 v2, 7, v2 bitop3:0x40
	s_branch .LBB290_6
.LBB290_519:
	s_or_b32 exec_lo, exec_lo, s11
.LBB290_520:
	s_delay_alu instid0(SALU_CYCLE_1) | instskip(SKIP_4) | instid1(VALU_DEP_1)
	s_or_b32 exec_lo, exec_lo, s26
	v_mbcnt_lo_u32_b32 v5, -1, 0
	s_clause 0x1
	s_load_b64 s[4:5], s[0:1], 0x0
	s_load_b64 s[18:19], s[0:1], 0x18
	v_dual_max_num_f32 v6, v91, v91 :: v_dual_bitop2_b32 v2, 16, v5 bitop3:0x14
	v_xor_b32_e32 v4, 8, v5
	s_delay_alu instid0(VALU_DEP_2) | instskip(SKIP_1) | instid1(VALU_DEP_3)
	v_cmp_gt_i32_e32 vcc_lo, 32, v2
	v_cndmask_b32_e32 v2, v5, v2, vcc_lo
	v_cmp_gt_i32_e32 vcc_lo, 32, v4
	s_delay_alu instid0(VALU_DEP_2) | instskip(SKIP_3) | instid1(VALU_DEP_1)
	v_dual_lshlrev_b32 v2, 2, v2 :: v_dual_cndmask_b32 v4, v5, v4, vcc_lo
	ds_bpermute_b32 v3, v2, v91
	s_wait_dscnt 0x0
	v_dual_max_num_f32 v7, v3, v3 :: v_dual_lshlrev_b32 v3, 2, v4
	v_dual_max_num_f32 v6, v6, v7 :: v_dual_bitop2_b32 v7, 4, v5 bitop3:0x14
	ds_bpermute_b32 v4, v3, v6
	v_cmp_gt_i32_e32 vcc_lo, 32, v7
	s_wait_dscnt 0x0
	v_dual_cndmask_b32 v7, v5, v7 :: v_dual_max_num_f32 v8, v4, v4
	s_delay_alu instid0(VALU_DEP_1) | instskip(SKIP_3) | instid1(VALU_DEP_1)
	v_dual_lshlrev_b32 v4, 2, v7 :: v_dual_max_num_f32 v6, v6, v8
	ds_bpermute_b32 v7, v4, v6
	s_wait_dscnt 0x0
	v_dual_max_num_f32 v7, v7, v7 :: v_dual_bitop2_b32 v8, 2, v5 bitop3:0x14
	v_cmp_gt_i32_e32 vcc_lo, 32, v8
	s_delay_alu instid0(VALU_DEP_2) | instskip(NEXT) | instid1(VALU_DEP_1)
	v_dual_max_num_f32 v6, v6, v7 :: v_dual_cndmask_b32 v8, v5, v8, vcc_lo
	v_dual_lshlrev_b32 v29, 2, v8 :: v_dual_bitop2_b32 v8, 1, v5 bitop3:0x14
	ds_bpermute_b32 v7, v29, v6
	v_cmp_gt_i32_e32 vcc_lo, 32, v8
	v_cndmask_b32_e32 v5, v5, v8, vcc_lo
	v_cmp_eq_u32_e32 vcc_lo, 0, v89
	s_delay_alu instid0(VALU_DEP_2) | instskip(SKIP_2) | instid1(VALU_DEP_1)
	v_dual_lshlrev_b32 v28, 2, v5 :: v_dual_lshlrev_b32 v5, 2, v88
	s_wait_dscnt 0x0
	v_max_num_f32_e32 v7, v7, v7
	v_max_num_f32_e32 v6, v6, v7
	ds_bpermute_b32 v7, v28, v6
	s_wait_xcnt 0x0
	s_and_saveexec_b32 s0, vcc_lo
	s_cbranch_execz .LBB290_522
; %bb.521:
	s_wait_dscnt 0x0
	v_dual_max_num_f32 v7, v7, v7 :: v_dual_max_num_f32 v6, v6, v6
	s_delay_alu instid0(VALU_DEP_1)
	v_max_num_f32_e32 v6, v6, v7
	ds_store_b32 v5, v6 offset:128
.LBB290_522:
	s_or_b32 exec_lo, exec_lo, s0
	v_cmp_gt_u32_e64 s0, 4, v89
	v_mov_b32_e32 v6, 0xff7fffff
	s_wait_dscnt 0x0
	s_barrier_signal -1
	s_barrier_wait -1
	s_and_saveexec_b32 s1, s0
; %bb.523:
	ds_load_b32 v6, v90 offset:128
; %bb.524:
	s_or_b32 exec_lo, exec_lo, s1
	s_wait_dscnt 0x0
	ds_bpermute_b32 v7, v29, v6
	v_max_num_f32_e32 v6, v6, v6
	s_lshl_b32 s1, s13, 5
	s_delay_alu instid0(SALU_CYCLE_1) | instskip(NEXT) | instid1(SALU_CYCLE_1)
	s_min_i32 s11, s1, s25
	v_cmp_gt_i32_e64 s1, s11, v0
	s_wait_dscnt 0x0
	v_max_num_f32_e32 v7, v7, v7
	s_delay_alu instid0(VALU_DEP_1) | instskip(SKIP_3) | instid1(VALU_DEP_1)
	v_max_num_f32_e32 v6, v6, v7
	ds_bpermute_b32 v7, v28, v6
	s_wait_dscnt 0x0
	v_max_num_f32_e32 v7, v7, v7
	v_dual_max_num_f32 v7, v6, v7 :: v_dual_mov_b32 v6, 0
	ds_bpermute_b32 v7, v6, v7
	s_and_saveexec_b32 s20, s1
	s_cbranch_execz .LBB290_528
; %bb.525:
	v_lshl_add_u32 v8, v0, 2, 0xa0
	v_dual_mov_b32 v6, 0 :: v_dual_mov_b32 v9, v0
	s_mov_b32 s21, 0
.LBB290_526:                            ; =>This Inner Loop Header: Depth=1
	ds_load_b32 v10, v8
	v_add_nc_u32_e32 v9, 0x80, v9
	s_delay_alu instid0(VALU_DEP_1) | instskip(SKIP_3) | instid1(VALU_DEP_1)
	v_cmp_le_i32_e64 s3, s11, v9
	s_or_b32 s21, s3, s21
	s_wait_dscnt 0x0
	v_sub_f32_e32 v10, v10, v7
	v_mul_f32_e32 v10, 0x3fb8aa3b, v10
	s_delay_alu instid0(VALU_DEP_1)
	v_exp_f32_e32 v10, v10
	ds_store_b32 v8, v10
	v_nop
	v_add_f32_e32 v6, v6, v10
	v_add_nc_u32_e32 v8, 0x200, v8
	s_and_not1_b32 exec_lo, exec_lo, s21
	s_cbranch_execnz .LBB290_526
; %bb.527:
	s_or_b32 exec_lo, exec_lo, s21
.LBB290_528:
	s_delay_alu instid0(SALU_CYCLE_1)
	s_or_b32 exec_lo, exec_lo, s20
	ds_bpermute_b32 v2, v2, v6
	s_wait_dscnt 0x0
	v_add_f32_e32 v2, v6, v2
	ds_bpermute_b32 v3, v3, v2
	s_wait_dscnt 0x0
	v_add_f32_e32 v2, v2, v3
	;; [unrolled: 3-line block ×5, first 2 shown]
	s_and_saveexec_b32 s3, vcc_lo
; %bb.529:
	ds_store_b32 v5, v2 offset:144
; %bb.530:
	s_or_b32 exec_lo, exec_lo, s3
	s_wait_dscnt 0x0
	s_barrier_signal -1
	s_barrier_wait -1
	s_and_saveexec_b32 s3, s0
; %bb.531:
	ds_load_b32 v2, v90 offset:144
; %bb.532:
	s_or_b32 exec_lo, exec_lo, s3
	s_wait_dscnt 0x0
	ds_bpermute_b32 v3, v29, v2
	s_wait_dscnt 0x0
	v_add_f32_e32 v2, v2, v3
	ds_bpermute_b32 v3, v28, v2
	s_wait_dscnt 0x0
	v_dual_add_f32 v2, v2, v3 :: v_dual_mov_b32 v3, 0
	ds_bpermute_b32 v2, v3, v2
	s_and_saveexec_b32 s0, s1
	s_cbranch_execz .LBB290_545
; %bb.533:
	s_wait_dscnt 0x0
	v_add_f32_e32 v2, 0x358637bd, v2
	s_mov_b32 s3, -1
	s_mov_b32 s1, exec_lo
	s_delay_alu instid0(VALU_DEP_1) | instskip(SKIP_1) | instid1(VALU_DEP_2)
	v_div_scale_f32 v4, null, v2, v2, 1.0
	v_div_scale_f32 v7, vcc_lo, 1.0, v2, 1.0
	v_rcp_f32_e32 v6, v4
	v_nop
	s_delay_alu instid0(TRANS32_DEP_1) | instskip(NEXT) | instid1(VALU_DEP_1)
	v_fma_f32 v5, -v4, v6, 1.0
	v_fmac_f32_e32 v6, v5, v6
	s_delay_alu instid0(VALU_DEP_1) | instskip(NEXT) | instid1(VALU_DEP_1)
	v_mul_f32_e32 v8, v7, v6
	v_fma_f32 v5, -v4, v8, v7
	s_delay_alu instid0(VALU_DEP_1) | instskip(SKIP_1) | instid1(VALU_DEP_2)
	v_fmac_f32_e32 v8, v5, v6
	v_xad_u32 v5, v0, -1, s11
	v_fma_f32 v4, -v4, v8, v7
	s_delay_alu instid0(VALU_DEP_1) | instskip(NEXT) | instid1(VALU_DEP_1)
	v_div_fmas_f32 v4, v4, v6, v8
	v_div_fixup_f32 v4, v4, v2, 1.0
	v_mov_b32_e32 v2, v0
	v_cmpx_lt_u32_e32 0x7f, v5
	s_cbranch_execz .LBB290_542
; %bb.534:
	s_delay_alu instid0(VALU_DEP_3) | instskip(NEXT) | instid1(VALU_DEP_1)
	v_dual_mov_b32 v5, v4 :: v_dual_lshrrev_b32 v2, 7, v5
	v_dual_mov_b32 v9, 0 :: v_dual_add_nc_u32 v6, -1, v2
	s_delay_alu instid0(VALU_DEP_1) | instskip(SKIP_1) | instid1(VALU_DEP_2)
	v_lshrrev_b32_e32 v7, 1, v6
	v_cmp_lt_u32_e32 vcc_lo, 13, v6
	v_add_nc_u32_e32 v6, 1, v7
	s_and_saveexec_b32 s3, vcc_lo
	s_cbranch_execz .LBB290_538
; %bb.535:
	s_delay_alu instid0(VALU_DEP_1)
	v_and_b32_e32 v7, -8, v6
	v_lshl_add_u32 v8, v0, 2, 0xa0
	s_mov_b32 s20, 0
	s_mov_b32 s21, 0
.LBB290_536:                            ; =>This Inner Loop Header: Depth=1
	ds_load_2addr_stride64_b32 v[10:11], v8 offset1:2
	ds_load_2addr_stride64_b32 v[12:13], v8 offset0:4 offset1:6
	ds_load_2addr_stride64_b32 v[14:15], v8 offset0:8 offset1:10
	;; [unrolled: 1-line block ×7, first 2 shown]
	s_add_co_i32 s21, s21, 16
	s_delay_alu instid0(SALU_CYCLE_1) | instskip(NEXT) | instid1(VALU_DEP_1)
	v_dual_add_nc_u32 v7, -8, v7 :: v_dual_mov_b32 v9, s21
	v_cmp_eq_u32_e32 vcc_lo, 0, v7
	s_or_b32 s20, vcc_lo, s20
	s_wait_dscnt 0x7
	v_pk_mul_f32 v[10:11], v[4:5], v[10:11]
	s_wait_dscnt 0x6
	v_pk_mul_f32 v[12:13], v[4:5], v[12:13]
	;; [unrolled: 2-line block ×8, first 2 shown]
	ds_store_2addr_stride64_b32 v8, v10, v11 offset1:2
	ds_store_2addr_stride64_b32 v8, v12, v13 offset0:4 offset1:6
	ds_store_2addr_stride64_b32 v8, v14, v15 offset0:8 offset1:10
	;; [unrolled: 1-line block ×7, first 2 shown]
	v_add_nc_u32_e32 v8, 0x2000, v8
	s_and_not1_b32 exec_lo, exec_lo, s20
	s_cbranch_execnz .LBB290_536
; %bb.537:
	s_or_b32 exec_lo, exec_lo, s20
.LBB290_538:
	s_delay_alu instid0(SALU_CYCLE_1) | instskip(NEXT) | instid1(VALU_DEP_1)
	s_or_b32 exec_lo, exec_lo, s3
	v_and_b32_e32 v6, 7, v6
	s_mov_b32 s20, 0
	s_mov_b32 s3, exec_lo
	s_delay_alu instid0(VALU_DEP_1)
	v_cmpx_ne_u32_e32 0, v6
	s_cbranch_execz .LBB290_541
; %bb.539:
	v_dual_lshlrev_b32 v7, 9, v9 :: v_dual_lshlrev_b32 v8, 2, v0
	s_delay_alu instid0(VALU_DEP_1)
	v_add3_u32 v7, v7, v8, 0xa0
.LBB290_540:                            ; =>This Inner Loop Header: Depth=1
	ds_load_2addr_stride64_b32 v[8:9], v7 offset1:2
	v_add_nc_u32_e32 v6, -1, v6
	s_delay_alu instid0(VALU_DEP_1)
	v_cmp_eq_u32_e32 vcc_lo, 0, v6
	s_or_b32 s20, vcc_lo, s20
	s_wait_dscnt 0x0
	v_pk_mul_f32 v[8:9], v[4:5], v[8:9]
	ds_store_2addr_stride64_b32 v7, v8, v9 offset1:2
	v_add_nc_u32_e32 v7, 0x400, v7
	s_and_not1_b32 exec_lo, exec_lo, s20
	s_cbranch_execnz .LBB290_540
.LBB290_541:
	s_or_b32 exec_lo, exec_lo, s3
	v_add_nc_u32_e32 v2, 1, v2
	s_delay_alu instid0(VALU_DEP_1) | instskip(NEXT) | instid1(VALU_DEP_1)
	v_and_b32_e32 v5, 0x3fffffe, v2
	v_cmp_ne_u32_e32 vcc_lo, v2, v5
	v_lshl_add_u32 v2, v5, 7, v0
	s_or_not1_b32 s3, vcc_lo, exec_lo
.LBB290_542:
	s_or_b32 exec_lo, exec_lo, s1
	s_delay_alu instid0(SALU_CYCLE_1)
	s_and_b32 exec_lo, exec_lo, s3
	s_cbranch_execz .LBB290_545
; %bb.543:
	v_lshl_add_u32 v5, v2, 2, 0xa0
	s_mov_b32 s1, 0
.LBB290_544:                            ; =>This Inner Loop Header: Depth=1
	ds_load_b32 v6, v5
	v_add_nc_u32_e32 v2, 0x80, v2
	s_delay_alu instid0(VALU_DEP_1)
	v_cmp_le_i32_e32 vcc_lo, s11, v2
	s_or_b32 s1, vcc_lo, s1
	s_wait_dscnt 0x0
	v_mul_f32_e32 v6, v4, v6
	ds_store_b32 v5, v6
	v_add_nc_u32_e32 v5, 0x200, v5
	s_and_not1_b32 exec_lo, exec_lo, s1
	s_cbranch_execnz .LBB290_544
.LBB290_545:
	s_or_b32 exec_lo, exec_lo, s0
	s_wait_dscnt 0x0
	v_dual_mov_b32 v2, 0 :: v_dual_bitop2_b32 v30, 3, v0 bitop3:0x40
	v_dual_mov_b32 v5, 0 :: v_dual_mov_b32 v4, 0
	v_dual_mov_b32 v7, 0 :: v_dual_mov_b32 v6, 0
	;; [unrolled: 1-line block ×3, first 2 shown]
	s_barrier_signal -1
	s_barrier_wait -1
	s_and_saveexec_b32 s1, s2
	s_cbranch_execz .LBB290_1077
; %bb.546:
	v_dual_mov_b32 v11, 0 :: v_dual_lshlrev_b32 v2, 3, v0
	s_ashr_i32 s11, s10, 31
	v_lshlrev_b32_e32 v3, 5, v30
	s_wait_kmcnt 0x0
	s_add_nc_u64 s[10:11], s[18:19], s[10:11]
	v_and_b32_e32 v10, 0xf8, v2
	v_and_b32_e32 v2, 24, v2
	s_lshl_b64 s[2:3], s[16:17], 2
	v_dual_mov_b32 v4, 0 :: v_dual_mov_b32 v7, 0
	s_delay_alu instid0(VALU_DEP_3)
	v_add_nc_u64_e32 v[12:13], s[10:11], v[10:11]
	v_and_b32_e32 v10, 0x7c, v1
	v_lshl_or_b32 v31, v88, 5, v2
	v_mov_b32_e32 v2, 0
	v_lshl_or_b32 v3, v88, 7, v3
	s_add_nc_u64 s[2:3], s[14:15], s[2:3]
	v_mov_b32_e32 v5, 0
	v_add_nc_u64_e32 v[14:15], s[2:3], v[10:11]
	v_dual_mov_b32 v6, 0 :: v_dual_mov_b32 v9, 0
	v_dual_mov_b32 v3, 0 :: v_dual_add_nc_u32 v32, 0xa0, v3
	v_dual_mov_b32 v8, 0 :: v_dual_mov_b32 v33, v88
	s_mov_b64 s[2:3], 0xffffffffffffff
	s_add_co_i32 s10, s13, -1
	s_mov_b32 s14, s25
	s_mov_b32 s11, 0
	s_branch .LBB290_548
.LBB290_547:                            ;   in Loop: Header=BB290_548 Depth=1
	s_or_b32 exec_lo, exec_lo, s0
	;;#ASMSTART
	v_pk_mul_f16 v17, v46, v17;

	;;#ASMEND
	;;#ASMSTART
	v_pk_mul_f16 v16, v45, v16;

	;;#ASMEND
	;; [unrolled: 4-line block ×3, first 2 shown]
	v_dual_add_f32 v18, v41, v42 :: v_dual_add_f32 v20, v55, v56
	;;#ASMSTART
	v_pk_mul_f16 v10, v43, v10;

	;;#ASMEND
	;;#ASMSTART
	v_pk_add_f16 v16, v17, v16;

	;;#ASMEND
	;;#ASMSTART
	v_pk_add_f16 v1, v16, v1;
	;; [unrolled: 4-line block ×3, first 2 shown]

	;;#ASMEND
	v_add_f32_e32 v21, v53, v54
	v_and_b32_e32 v17, 0xffff, v1
	v_dual_add_f32 v16, v47, v48 :: v_dual_add_nc_u32 v33, 4, v33
	v_dual_add_f32 v19, v57, v58 :: v_dual_add_f32 v4, v4, v20
	v_dual_add_f32 v2, v2, v18 :: v_dual_lshrrev_b32 v18, 16, v1
	;;#ASMSTART
	v_cvt_f32_f16 v17, v17;
	;;#ASMEND
	v_dual_add_f32 v7, v7, v21 :: v_dual_add_f32 v10, v49, v50
	;;#ASMSTART
	v_cvt_f32_f16 v18, v18;
	;;#ASMEND
	s_delay_alu instid0(VALU_DEP_2) | instskip(SKIP_2) | instid1(VALU_DEP_3)
	v_dual_add_f32 v1, v51, v52 :: v_dual_add_f32 v17, v17, v18
	v_cmp_le_i32_e32 vcc_lo, s13, v33
	v_add_nc_u64_e32 v[14:15], 16, v[14:15]
	v_dual_add_f32 v5, v5, v19 :: v_dual_add_f32 v6, v6, v1
	v_dual_add_f32 v9, v9, v10 :: v_dual_add_f32 v8, v8, v16
	v_add_f32_e32 v3, v3, v17
	v_add_nc_u32_e32 v31, 0x80, v31
	v_add_nc_u32_e32 v32, 0x200, v32
	s_or_b32 s11, vcc_lo, s11
	s_delay_alu instid0(SALU_CYCLE_1)
	s_and_not1_b32 exec_lo, exec_lo, s11
	s_cbranch_execz .LBB290_1076
.LBB290_548:                            ; =>This Inner Loop Header: Depth=1
	global_load_b32 v1, v[14:15], off
	ds_load_2addr_b64 v[18:21], v32 offset1:1
	ds_load_2addr_b64 v[22:25], v32 offset0:2 offset1:3
	s_mov_b32 s0, exec_lo
	s_wait_dscnt 0x1
	;;#ASMSTART
	v_cvt_f16_f32 v44, v18;

	;;#ASMEND
	;;#ASMSTART
	v_cvt_f16_f32 v41, v19;

	;;#ASMEND
	;; [unrolled: 4-line block ×4, first 2 shown]
	s_wait_dscnt 0x0
	;;#ASMSTART
	v_cvt_f16_f32 v46, v22;

	;;#ASMEND
	;;#ASMSTART
	v_cvt_f16_f32 v43, v23;

	;;#ASMEND
	;; [unrolled: 4-line block ×4, first 2 shown]
	s_wait_loadcnt 0x0
	v_mad_nc_i64_i32 v[16:17], v1, s9, v[12:13]
	v_mov_b32_e32 v1, 0
	global_load_b64 v[20:21], v[16:17], off
	global_load_b32 v18, v11, s[6:7]
	s_wait_loadcnt 0x1
	v_and_b32_e32 v10, 0xff, v20
	s_wait_xcnt 0x0
	s_delay_alu instid0(VALU_DEP_1)
	v_cmpx_ne_u16_e32 0, v10
	s_cbranch_execz .LBB290_556
; %bb.549:                              ;   in Loop: Header=BB290_548 Depth=1
	v_mov_b32_e32 v1, 0x8000
	s_mov_b32 s15, exec_lo
	v_cmpx_ne_u16_e32 0x80, v10
	s_cbranch_execz .LBB290_555
; %bb.550:                              ;   in Loop: Header=BB290_548 Depth=1
	v_and_b32_e32 v19, 0x7f, v20
	v_mov_b32_e32 v1, 0x7c01
	s_mov_b32 s16, exec_lo
	s_delay_alu instid0(VALU_DEP_2)
	v_cmpx_ne_u32_e32 0x7f, v19
	s_cbranch_execz .LBB290_554
; %bb.551:                              ;   in Loop: Header=BB290_548 Depth=1
	v_dual_lshrrev_b32 v10, 3, v19 :: v_dual_bitop2_b32 v1, 7, v20 bitop3:0x40
	s_mov_b32 s17, exec_lo
	v_cmpx_gt_u32_e32 8, v19
; %bb.552:                              ;   in Loop: Header=BB290_548 Depth=1
	s_delay_alu instid0(VALU_DEP_2) | instskip(NEXT) | instid1(VALU_DEP_1)
	v_clz_i32_u32_e32 v1, v1
	v_min_u32_e32 v1, 32, v1
	s_delay_alu instid0(VALU_DEP_1) | instskip(NEXT) | instid1(VALU_DEP_1)
	v_subrev_nc_u32_e32 v10, 28, v1
	v_lshlrev_b64_e32 v[22:23], v10, v[20:21]
	s_delay_alu instid0(VALU_DEP_1)
	v_dual_sub_nc_u32 v10, 29, v1 :: v_dual_bitop2_b32 v1, 7, v22 bitop3:0x40
; %bb.553:                              ;   in Loop: Header=BB290_548 Depth=1
	s_or_b32 exec_lo, exec_lo, s17
	s_delay_alu instid0(VALU_DEP_1) | instskip(NEXT) | instid1(VALU_DEP_2)
	v_dual_lshlrev_b32 v19, 8, v20 :: v_dual_lshlrev_b32 v1, 7, v1
	v_lshl_add_u32 v10, v10, 10, 0x2000
	s_delay_alu instid0(VALU_DEP_2) | instskip(NEXT) | instid1(VALU_DEP_2)
	v_and_b32_e32 v19, 0x8000, v19
	v_and_b32_e32 v10, 0xfc00, v10
	s_delay_alu instid0(VALU_DEP_1)
	v_or3_b32 v1, v19, v10, v1
.LBB290_554:                            ;   in Loop: Header=BB290_548 Depth=1
	s_or_b32 exec_lo, exec_lo, s16
.LBB290_555:                            ;   in Loop: Header=BB290_548 Depth=1
	s_delay_alu instid0(SALU_CYCLE_1)
	s_or_b32 exec_lo, exec_lo, s15
.LBB290_556:                            ;   in Loop: Header=BB290_548 Depth=1
	s_delay_alu instid0(SALU_CYCLE_1) | instskip(SKIP_3) | instid1(VALU_DEP_2)
	s_or_b32 exec_lo, exec_lo, s0
	v_lshrrev_b16 v10, 8, v20
	v_dual_mov_b32 v19, 0 :: v_dual_mov_b32 v22, 0
	s_mov_b32 s0, exec_lo
	v_cmpx_ne_u16_e32 0, v10
	s_cbranch_execz .LBB290_564
; %bb.557:                              ;   in Loop: Header=BB290_548 Depth=1
	v_bfrev_b32_e32 v22, 1
	s_mov_b32 s15, exec_lo
	v_cmpx_ne_u16_e32 0x80, v10
	s_cbranch_execz .LBB290_563
; %bb.558:                              ;   in Loop: Header=BB290_548 Depth=1
	v_and_b32_e32 v23, 0xffff, v10
	v_mov_b32_e32 v22, 0x7c010000
	s_mov_b32 s16, exec_lo
	s_delay_alu instid0(VALU_DEP_2) | instskip(NEXT) | instid1(VALU_DEP_1)
	v_and_b32_e32 v25, 0x7f, v23
	v_cmpx_ne_u32_e32 0x7f, v25
	s_cbranch_execz .LBB290_562
; %bb.559:                              ;   in Loop: Header=BB290_548 Depth=1
	v_dual_lshrrev_b32 v24, 3, v25 :: v_dual_bitop2_b32 v22, 7, v23 bitop3:0x40
	s_mov_b32 s17, exec_lo
	v_cmpx_gt_u32_e32 8, v25
; %bb.560:                              ;   in Loop: Header=BB290_548 Depth=1
	s_delay_alu instid0(VALU_DEP_2) | instskip(NEXT) | instid1(VALU_DEP_1)
	v_clz_i32_u32_e32 v22, v22
	v_min_u32_e32 v22, 32, v22
	s_delay_alu instid0(VALU_DEP_1) | instskip(NEXT) | instid1(VALU_DEP_1)
	v_subrev_nc_u32_e32 v24, 28, v22
	v_lshlrev_b64_e32 v[26:27], v24, v[10:11]
	v_sub_nc_u32_e32 v24, 29, v22
	s_delay_alu instid0(VALU_DEP_2)
	v_and_b32_e32 v22, 7, v26
; %bb.561:                              ;   in Loop: Header=BB290_548 Depth=1
	s_or_b32 exec_lo, exec_lo, s17
	s_delay_alu instid0(VALU_DEP_1) | instskip(NEXT) | instid1(VALU_DEP_3)
	v_dual_lshlrev_b32 v10, 8, v23 :: v_dual_lshlrev_b32 v22, 23, v22
	v_lshl_add_u32 v23, v24, 10, 0x2000
	s_delay_alu instid0(VALU_DEP_1) | instskip(NEXT) | instid1(VALU_DEP_1)
	v_and_or_b32 v10, 0x8000, v10, v23
	v_lshl_or_b32 v22, v10, 16, v22
.LBB290_562:                            ;   in Loop: Header=BB290_548 Depth=1
	s_or_b32 exec_lo, exec_lo, s16
.LBB290_563:                            ;   in Loop: Header=BB290_548 Depth=1
	s_delay_alu instid0(SALU_CYCLE_1)
	s_or_b32 exec_lo, exec_lo, s15
.LBB290_564:                            ;   in Loop: Header=BB290_548 Depth=1
	s_delay_alu instid0(SALU_CYCLE_1) | instskip(SKIP_2) | instid1(VALU_DEP_1)
	s_or_b32 exec_lo, exec_lo, s0
	v_lshrrev_b32_e32 v10, 16, v20
	s_mov_b32 s0, exec_lo
	v_and_b32_e32 v23, 0xff, v10
	s_delay_alu instid0(VALU_DEP_1)
	v_cmpx_ne_u16_e32 0, v23
	s_cbranch_execz .LBB290_572
; %bb.565:                              ;   in Loop: Header=BB290_548 Depth=1
	v_mov_b32_e32 v19, 0x8000
	s_mov_b32 s15, exec_lo
	v_cmpx_ne_u16_e32 0x80, v23
	s_cbranch_execz .LBB290_571
; %bb.566:                              ;   in Loop: Header=BB290_548 Depth=1
	v_bfe_u32 v24, v20, 16, 7
	v_mov_b32_e32 v19, 0x7c01
	s_mov_b32 s16, exec_lo
	s_delay_alu instid0(VALU_DEP_2)
	v_cmpx_ne_u32_e32 0x7f, v24
	s_cbranch_execz .LBB290_570
; %bb.567:                              ;   in Loop: Header=BB290_548 Depth=1
	v_dual_lshrrev_b32 v23, 3, v24 :: v_dual_bitop2_b32 v19, 7, v10 bitop3:0x40
	s_mov_b32 s17, exec_lo
	v_cmpx_gt_u32_e32 8, v24
; %bb.568:                              ;   in Loop: Header=BB290_548 Depth=1
	s_delay_alu instid0(VALU_DEP_2) | instskip(NEXT) | instid1(VALU_DEP_1)
	v_clz_i32_u32_e32 v19, v19
	v_min_u32_e32 v19, 32, v19
	s_delay_alu instid0(VALU_DEP_1) | instskip(NEXT) | instid1(VALU_DEP_1)
	v_subrev_nc_u32_e32 v23, 28, v19
	v_lshlrev_b64_e32 v[24:25], v23, v[10:11]
	s_delay_alu instid0(VALU_DEP_1)
	v_dual_sub_nc_u32 v23, 29, v19 :: v_dual_bitop2_b32 v19, 7, v24 bitop3:0x40
; %bb.569:                              ;   in Loop: Header=BB290_548 Depth=1
	s_or_b32 exec_lo, exec_lo, s17
	s_delay_alu instid0(VALU_DEP_1) | instskip(NEXT) | instid1(VALU_DEP_2)
	v_dual_lshlrev_b32 v10, 8, v10 :: v_dual_lshlrev_b32 v19, 7, v19
	v_lshl_add_u32 v23, v23, 10, 0x2000
	s_delay_alu instid0(VALU_DEP_2) | instskip(NEXT) | instid1(VALU_DEP_2)
	v_and_b32_e32 v10, 0x8000, v10
	v_and_b32_e32 v23, 0xfc00, v23
	s_delay_alu instid0(VALU_DEP_1)
	v_or3_b32 v19, v10, v23, v19
.LBB290_570:                            ;   in Loop: Header=BB290_548 Depth=1
	s_or_b32 exec_lo, exec_lo, s16
.LBB290_571:                            ;   in Loop: Header=BB290_548 Depth=1
	s_delay_alu instid0(SALU_CYCLE_1)
	s_or_b32 exec_lo, exec_lo, s15
.LBB290_572:                            ;   in Loop: Header=BB290_548 Depth=1
	s_delay_alu instid0(SALU_CYCLE_1)
	s_or_b32 exec_lo, exec_lo, s0
	v_dual_mov_b32 v23, 0 :: v_dual_mov_b32 v24, 0
	s_mov_b32 s0, exec_lo
	v_cmpx_lt_u32_e32 0xffffff, v20
	s_cbranch_execz .LBB290_580
; %bb.573:                              ;   in Loop: Header=BB290_548 Depth=1
	v_lshrrev_b32_e32 v10, 24, v20
	v_bfrev_b32_e32 v24, 1
	s_mov_b32 s15, exec_lo
	s_delay_alu instid0(VALU_DEP_2)
	v_cmpx_ne_u32_e32 0x80, v10
	s_cbranch_execz .LBB290_579
; %bb.574:                              ;   in Loop: Header=BB290_548 Depth=1
	v_and_b32_e32 v26, 0x7f, v10
	v_mov_b32_e32 v24, 0x7c010000
	s_mov_b32 s16, exec_lo
	s_delay_alu instid0(VALU_DEP_2)
	v_cmpx_ne_u32_e32 0x7f, v26
	s_cbranch_execz .LBB290_578
; %bb.575:                              ;   in Loop: Header=BB290_548 Depth=1
	v_and_b32_e32 v24, 7, v10
	v_lshrrev_b32_e32 v25, 3, v26
	s_mov_b32 s17, exec_lo
	v_cmpx_gt_u32_e32 8, v26
; %bb.576:                              ;   in Loop: Header=BB290_548 Depth=1
	s_delay_alu instid0(VALU_DEP_3) | instskip(NEXT) | instid1(VALU_DEP_1)
	v_clz_i32_u32_e32 v24, v24
	v_min_u32_e32 v26, 32, v24
	s_delay_alu instid0(VALU_DEP_1) | instskip(NEXT) | instid1(VALU_DEP_1)
	v_subrev_nc_u32_e32 v24, 28, v26
	v_lshlrev_b64_e32 v[24:25], v24, v[10:11]
	s_delay_alu instid0(VALU_DEP_1)
	v_dual_sub_nc_u32 v25, 29, v26 :: v_dual_bitop2_b32 v24, 7, v24 bitop3:0x40
; %bb.577:                              ;   in Loop: Header=BB290_548 Depth=1
	s_or_b32 exec_lo, exec_lo, s17
	s_delay_alu instid0(VALU_DEP_1) | instskip(NEXT) | instid1(VALU_DEP_2)
	v_dual_lshlrev_b32 v10, 8, v10 :: v_dual_lshlrev_b32 v24, 23, v24
	v_lshl_add_u32 v25, v25, 10, 0x2000
	s_delay_alu instid0(VALU_DEP_1) | instskip(NEXT) | instid1(VALU_DEP_1)
	v_and_or_b32 v10, 0x8000, v10, v25
	v_lshl_or_b32 v24, v10, 16, v24
.LBB290_578:                            ;   in Loop: Header=BB290_548 Depth=1
	s_or_b32 exec_lo, exec_lo, s16
.LBB290_579:                            ;   in Loop: Header=BB290_548 Depth=1
	s_delay_alu instid0(SALU_CYCLE_1)
	s_or_b32 exec_lo, exec_lo, s15
.LBB290_580:                            ;   in Loop: Header=BB290_548 Depth=1
	s_delay_alu instid0(SALU_CYCLE_1) | instskip(SKIP_3) | instid1(VALU_DEP_2)
	s_or_b32 exec_lo, exec_lo, s0
	v_and_b32_e32 v25, 0xff, v21
	v_mov_b32_e32 v10, v21
	s_mov_b32 s0, exec_lo
	v_cmpx_ne_u16_e32 0, v25
	s_cbranch_execz .LBB290_588
; %bb.581:                              ;   in Loop: Header=BB290_548 Depth=1
	v_mov_b32_e32 v23, 0x8000
	s_mov_b32 s15, exec_lo
	v_cmpx_ne_u16_e32 0x80, v25
	s_cbranch_execz .LBB290_587
; %bb.582:                              ;   in Loop: Header=BB290_548 Depth=1
	v_and_b32_e32 v26, 0x7f, v21
	v_mov_b32_e32 v23, 0x7c01
	s_mov_b32 s16, exec_lo
	s_delay_alu instid0(VALU_DEP_2)
	v_cmpx_ne_u32_e32 0x7f, v26
	s_cbranch_execz .LBB290_586
; %bb.583:                              ;   in Loop: Header=BB290_548 Depth=1
	v_dual_lshrrev_b32 v25, 3, v26 :: v_dual_bitop2_b32 v23, 7, v21 bitop3:0x40
	s_mov_b32 s17, exec_lo
	v_cmpx_gt_u32_e32 8, v26
; %bb.584:                              ;   in Loop: Header=BB290_548 Depth=1
	s_delay_alu instid0(VALU_DEP_2) | instskip(NEXT) | instid1(VALU_DEP_1)
	v_clz_i32_u32_e32 v23, v23
	v_min_u32_e32 v23, 32, v23
	s_delay_alu instid0(VALU_DEP_1) | instskip(NEXT) | instid1(VALU_DEP_1)
	v_subrev_nc_u32_e32 v25, 28, v23
	v_lshlrev_b64_e32 v[26:27], v25, v[10:11]
	s_delay_alu instid0(VALU_DEP_1)
	v_dual_sub_nc_u32 v25, 29, v23 :: v_dual_bitop2_b32 v23, 7, v26 bitop3:0x40
; %bb.585:                              ;   in Loop: Header=BB290_548 Depth=1
	s_or_b32 exec_lo, exec_lo, s17
	s_delay_alu instid0(VALU_DEP_1) | instskip(NEXT) | instid1(VALU_DEP_2)
	v_dual_lshlrev_b32 v26, 8, v21 :: v_dual_lshlrev_b32 v23, 7, v23
	v_lshl_add_u32 v25, v25, 10, 0x2000
	s_delay_alu instid0(VALU_DEP_2) | instskip(NEXT) | instid1(VALU_DEP_2)
	v_and_b32_e32 v26, 0x8000, v26
	v_and_b32_e32 v25, 0xfc00, v25
	s_delay_alu instid0(VALU_DEP_1)
	v_or3_b32 v23, v26, v25, v23
.LBB290_586:                            ;   in Loop: Header=BB290_548 Depth=1
	s_or_b32 exec_lo, exec_lo, s16
.LBB290_587:                            ;   in Loop: Header=BB290_548 Depth=1
	s_delay_alu instid0(SALU_CYCLE_1)
	s_or_b32 exec_lo, exec_lo, s15
.LBB290_588:                            ;   in Loop: Header=BB290_548 Depth=1
	s_delay_alu instid0(SALU_CYCLE_1) | instskip(SKIP_3) | instid1(VALU_DEP_2)
	s_or_b32 exec_lo, exec_lo, s0
	v_lshrrev_b16 v10, 8, v10
	v_dual_mov_b32 v26, 0 :: v_dual_mov_b32 v25, 0
	s_mov_b32 s0, exec_lo
	v_cmpx_ne_u16_e32 0, v10
	s_cbranch_execz .LBB290_596
; %bb.589:                              ;   in Loop: Header=BB290_548 Depth=1
	v_bfrev_b32_e32 v25, 1
	s_mov_b32 s15, exec_lo
	v_cmpx_ne_u16_e32 0x80, v10
	s_cbranch_execz .LBB290_595
; %bb.590:                              ;   in Loop: Header=BB290_548 Depth=1
	v_and_b32_e32 v27, 0xffff, v10
	v_mov_b32_e32 v25, 0x7c010000
	s_mov_b32 s16, exec_lo
	s_delay_alu instid0(VALU_DEP_2) | instskip(NEXT) | instid1(VALU_DEP_1)
	v_and_b32_e32 v35, 0x7f, v27
	v_cmpx_ne_u32_e32 0x7f, v35
	s_cbranch_execz .LBB290_594
; %bb.591:                              ;   in Loop: Header=BB290_548 Depth=1
	v_and_b32_e32 v25, 7, v27
	v_lshrrev_b32_e32 v34, 3, v35
	s_mov_b32 s17, exec_lo
	v_cmpx_gt_u32_e32 8, v35
; %bb.592:                              ;   in Loop: Header=BB290_548 Depth=1
	s_delay_alu instid0(VALU_DEP_3) | instskip(NEXT) | instid1(VALU_DEP_1)
	v_clz_i32_u32_e32 v25, v25
	v_min_u32_e32 v25, 32, v25
	s_delay_alu instid0(VALU_DEP_1) | instskip(NEXT) | instid1(VALU_DEP_1)
	v_subrev_nc_u32_e32 v34, 28, v25
	v_lshlrev_b64_e32 v[36:37], v34, v[10:11]
	s_delay_alu instid0(VALU_DEP_1)
	v_dual_sub_nc_u32 v34, 29, v25 :: v_dual_bitop2_b32 v25, 7, v36 bitop3:0x40
; %bb.593:                              ;   in Loop: Header=BB290_548 Depth=1
	s_or_b32 exec_lo, exec_lo, s17
	s_delay_alu instid0(VALU_DEP_1) | instskip(NEXT) | instid1(VALU_DEP_2)
	v_dual_lshlrev_b32 v10, 8, v27 :: v_dual_lshlrev_b32 v25, 23, v25
	v_lshl_add_u32 v27, v34, 10, 0x2000
	s_delay_alu instid0(VALU_DEP_1) | instskip(NEXT) | instid1(VALU_DEP_1)
	v_and_or_b32 v10, 0x8000, v10, v27
	v_lshl_or_b32 v25, v10, 16, v25
.LBB290_594:                            ;   in Loop: Header=BB290_548 Depth=1
	s_or_b32 exec_lo, exec_lo, s16
.LBB290_595:                            ;   in Loop: Header=BB290_548 Depth=1
	s_delay_alu instid0(SALU_CYCLE_1)
	s_or_b32 exec_lo, exec_lo, s15
.LBB290_596:                            ;   in Loop: Header=BB290_548 Depth=1
	s_delay_alu instid0(SALU_CYCLE_1) | instskip(SKIP_2) | instid1(VALU_DEP_1)
	s_or_b32 exec_lo, exec_lo, s0
	v_lshrrev_b32_e32 v10, 16, v21
	s_mov_b32 s0, exec_lo
	v_and_b32_e32 v27, 0xff, v10
	s_delay_alu instid0(VALU_DEP_1)
	v_cmpx_ne_u16_e32 0, v27
	s_cbranch_execz .LBB290_604
; %bb.597:                              ;   in Loop: Header=BB290_548 Depth=1
	v_mov_b32_e32 v26, 0x8000
	s_mov_b32 s15, exec_lo
	v_cmpx_ne_u16_e32 0x80, v27
	s_cbranch_execz .LBB290_603
; %bb.598:                              ;   in Loop: Header=BB290_548 Depth=1
	v_bfe_u32 v34, v21, 16, 7
	v_mov_b32_e32 v26, 0x7c01
	s_mov_b32 s16, exec_lo
	s_delay_alu instid0(VALU_DEP_2)
	v_cmpx_ne_u32_e32 0x7f, v34
	s_cbranch_execz .LBB290_602
; %bb.599:                              ;   in Loop: Header=BB290_548 Depth=1
	v_and_b32_e32 v26, 7, v10
	v_lshrrev_b32_e32 v27, 3, v34
	s_mov_b32 s17, exec_lo
	v_cmpx_gt_u32_e32 8, v34
; %bb.600:                              ;   in Loop: Header=BB290_548 Depth=1
	s_delay_alu instid0(VALU_DEP_3) | instskip(NEXT) | instid1(VALU_DEP_1)
	v_clz_i32_u32_e32 v26, v26
	v_min_u32_e32 v34, 32, v26
	s_delay_alu instid0(VALU_DEP_1) | instskip(NEXT) | instid1(VALU_DEP_1)
	v_subrev_nc_u32_e32 v26, 28, v34
	v_lshlrev_b64_e32 v[26:27], v26, v[10:11]
	v_sub_nc_u32_e32 v27, 29, v34
	s_delay_alu instid0(VALU_DEP_2)
	v_and_b32_e32 v26, 7, v26
; %bb.601:                              ;   in Loop: Header=BB290_548 Depth=1
	s_or_b32 exec_lo, exec_lo, s17
	v_lshlrev_b32_e32 v10, 8, v10
	s_delay_alu instid0(VALU_DEP_3) | instskip(NEXT) | instid1(VALU_DEP_3)
	v_lshl_add_u32 v27, v27, 10, 0x2000
	v_lshlrev_b32_e32 v26, 7, v26
	s_delay_alu instid0(VALU_DEP_3) | instskip(NEXT) | instid1(VALU_DEP_3)
	v_and_b32_e32 v10, 0x8000, v10
	v_and_b32_e32 v27, 0xfc00, v27
	s_delay_alu instid0(VALU_DEP_1)
	v_or3_b32 v26, v10, v27, v26
.LBB290_602:                            ;   in Loop: Header=BB290_548 Depth=1
	s_or_b32 exec_lo, exec_lo, s16
.LBB290_603:                            ;   in Loop: Header=BB290_548 Depth=1
	s_delay_alu instid0(SALU_CYCLE_1)
	s_or_b32 exec_lo, exec_lo, s15
.LBB290_604:                            ;   in Loop: Header=BB290_548 Depth=1
	s_delay_alu instid0(SALU_CYCLE_1)
	s_or_b32 exec_lo, exec_lo, s0
	v_cmp_lt_u64_e32 vcc_lo, s[2:3], v[20:21]
	v_mov_b32_e32 v20, 0
	s_and_saveexec_b32 s0, vcc_lo
	s_cbranch_execz .LBB290_612
; %bb.605:                              ;   in Loop: Header=BB290_548 Depth=1
	v_lshrrev_b32_e32 v10, 24, v21
	v_bfrev_b32_e32 v20, 1
	s_mov_b32 s15, exec_lo
	s_delay_alu instid0(VALU_DEP_2)
	v_cmpx_ne_u32_e32 0x80, v10
	s_cbranch_execz .LBB290_611
; %bb.606:                              ;   in Loop: Header=BB290_548 Depth=1
	v_and_b32_e32 v27, 0x7f, v10
	v_mov_b32_e32 v20, 0x7c010000
	s_mov_b32 s16, exec_lo
	s_delay_alu instid0(VALU_DEP_2)
	v_cmpx_ne_u32_e32 0x7f, v27
	s_cbranch_execz .LBB290_610
; %bb.607:                              ;   in Loop: Header=BB290_548 Depth=1
	v_dual_lshrrev_b32 v21, 3, v27 :: v_dual_bitop2_b32 v20, 7, v10 bitop3:0x40
	s_mov_b32 s17, exec_lo
	v_cmpx_gt_u32_e32 8, v27
; %bb.608:                              ;   in Loop: Header=BB290_548 Depth=1
	s_delay_alu instid0(VALU_DEP_2) | instskip(NEXT) | instid1(VALU_DEP_1)
	v_clz_i32_u32_e32 v20, v20
	v_min_u32_e32 v27, 32, v20
	s_delay_alu instid0(VALU_DEP_1) | instskip(NEXT) | instid1(VALU_DEP_1)
	v_subrev_nc_u32_e32 v20, 28, v27
	v_lshlrev_b64_e32 v[20:21], v20, v[10:11]
	s_delay_alu instid0(VALU_DEP_1)
	v_dual_sub_nc_u32 v21, 29, v27 :: v_dual_bitop2_b32 v20, 7, v20 bitop3:0x40
; %bb.609:                              ;   in Loop: Header=BB290_548 Depth=1
	s_or_b32 exec_lo, exec_lo, s17
	s_delay_alu instid0(VALU_DEP_1) | instskip(NEXT) | instid1(VALU_DEP_2)
	v_dual_lshlrev_b32 v10, 8, v10 :: v_dual_lshlrev_b32 v20, 23, v20
	v_lshl_add_u32 v21, v21, 10, 0x2000
	s_delay_alu instid0(VALU_DEP_1) | instskip(NEXT) | instid1(VALU_DEP_1)
	v_and_or_b32 v10, 0x8000, v10, v21
	v_lshl_or_b32 v20, v10, 16, v20
.LBB290_610:                            ;   in Loop: Header=BB290_548 Depth=1
	s_or_b32 exec_lo, exec_lo, s16
.LBB290_611:                            ;   in Loop: Header=BB290_548 Depth=1
	s_delay_alu instid0(SALU_CYCLE_1)
	s_or_b32 exec_lo, exec_lo, s15
.LBB290_612:                            ;   in Loop: Header=BB290_548 Depth=1
	s_delay_alu instid0(SALU_CYCLE_1) | instskip(SKIP_3) | instid1(VALU_DEP_3)
	s_or_b32 exec_lo, exec_lo, s0
	v_dual_lshrrev_b32 v10, 16, v22 :: v_dual_lshrrev_b32 v21, 16, v24
	v_or_b32_e32 v1, v22, v1
	v_dual_lshrrev_b32 v22, 16, v25 :: v_dual_bitop2_b32 v19, v24, v19 bitop3:0x54
	v_cvt_f32_f16_e32 v35, v10
	s_delay_alu instid0(VALU_DEP_4) | instskip(SKIP_1) | instid1(VALU_DEP_4)
	v_cvt_f32_f16_e32 v34, v21
	v_dual_lshrrev_b32 v24, 16, v20 :: v_dual_bitop2_b32 v10, v20, v26 bitop3:0x54
	v_cvt_f32_f16_e32 v20, v19
	v_cvt_f32_f16_e32 v21, v1
	s_wait_loadcnt 0x0
	v_pk_mul_f32 v[26:27], v[18:19], v[34:35] op_sel_hi:[0,1]
	v_or_b32_e32 v19, v25, v23
	v_cvt_f32_f16_e32 v23, v22
	v_cvt_f32_f16_e32 v22, v24
	;; [unrolled: 1-line block ×3, first 2 shown]
	v_cvt_pk_f16_f32 v1, v26, v27
	v_pk_mul_f32 v[20:21], v[18:19], v[20:21] op_sel_hi:[0,1]
	v_cmp_eq_u32_e32 vcc_lo, s10, v33
	v_or_b32_e32 v39, 1, v31
	v_or_b32_e32 v38, 3, v31
	;; [unrolled: 1-line block ×3, first 2 shown]
	v_cvt_pk_f16_f32 v10, v20, v21
	v_or_b32_e32 v36, 6, v31
	v_or_b32_e32 v35, 5, v31
	v_dual_add_nc_u32 v40, 2, v31 :: v_dual_bitop2_b32 v34, 7, v31 bitop3:0x54
	s_delay_alu instid0(VALU_DEP_4) | instskip(SKIP_3) | instid1(VALU_DEP_3)
	v_lshrrev_b32_e32 v27, 16, v10
	v_cvt_f32_f16_e32 v25, v19
	v_pk_mul_f32 v[22:23], v[18:19], v[22:23] op_sel_hi:[0,1]
	v_and_b32_e32 v26, 0xffff, v10
	v_pk_mul_f32 v[18:19], v[18:19], v[24:25] op_sel_hi:[0,1]
	s_delay_alu instid0(VALU_DEP_3) | instskip(SKIP_2) | instid1(VALU_DEP_4)
	v_cvt_pk_f16_f32 v20, v22, v23
	v_and_b32_e32 v25, 0xffff0000, v1
	v_lshlrev_b32_e32 v24, 16, v1
	v_cvt_pk_f16_f32 v18, v18, v19
	s_delay_alu instid0(VALU_DEP_4) | instskip(NEXT) | instid1(VALU_DEP_4)
	v_and_b32_e32 v1, 0xffff0000, v20
	v_dual_lshlrev_b32 v10, 16, v20 :: v_dual_bitop2_b32 v21, v25, v27 bitop3:0x54
	s_delay_alu instid0(VALU_DEP_4) | instskip(NEXT) | instid1(VALU_DEP_4)
	v_or_b32_e32 v20, v24, v26
	v_lshrrev_b32_e32 v23, 16, v18
	v_and_b32_e32 v22, 0xffff, v18
	s_delay_alu instid0(VALU_DEP_2) | instskip(NEXT) | instid1(VALU_DEP_2)
	v_or_b32_e32 v19, v1, v23
	v_or_b32_e32 v18, v10, v22
	s_and_saveexec_b32 s15, vcc_lo
	s_cbranch_execz .LBB290_614
; %bb.613:                              ;   in Loop: Header=BB290_548 Depth=1
	v_cmp_gt_i32_e64 s0, s14, v31
	s_delay_alu instid0(VALU_DEP_1) | instskip(SKIP_1) | instid1(VALU_DEP_1)
	v_cndmask_b32_e64 v18, 0, v27, s0
	v_cmp_gt_i32_e64 s0, s25, v40
	v_cndmask_b32_e64 v19, 0, v26, s0
	v_cmp_gt_i32_e64 s0, s14, v39
	s_delay_alu instid0(VALU_DEP_1) | instskip(SKIP_1) | instid1(VALU_DEP_1)
	v_cndmask_b32_e64 v20, 0, v25, s0
	v_cmp_gt_i32_e64 s0, s25, v38
	v_cndmask_b32_e64 v24, 0, v24, s0
	v_cmp_gt_i32_e64 s0, s14, v37
	s_delay_alu instid0(VALU_DEP_4) | instskip(NEXT) | instid1(VALU_DEP_3)
	v_or_b32_e32 v21, v20, v18
	v_or_b32_e32 v20, v24, v19
	s_delay_alu instid0(VALU_DEP_3) | instskip(SKIP_1) | instid1(VALU_DEP_1)
	v_cndmask_b32_e64 v23, 0, v23, s0
	v_cmp_gt_i32_e64 s0, s25, v36
	v_cndmask_b32_e64 v22, 0, v22, s0
	v_cmp_gt_i32_e64 s0, s14, v35
	s_delay_alu instid0(VALU_DEP_1) | instskip(SKIP_1) | instid1(VALU_DEP_1)
	v_cndmask_b32_e64 v1, 0, v1, s0
	v_cmp_gt_i32_e64 s0, s25, v34
	v_dual_cndmask_b32 v10, 0, v10, s0 :: v_dual_bitop2_b32 v19, v1, v23 bitop3:0x54
	s_delay_alu instid0(VALU_DEP_1)
	v_or_b32_e32 v18, v10, v22
.LBB290_614:                            ;   in Loop: Header=BB290_548 Depth=1
	s_or_b32 exec_lo, exec_lo, s15
	v_and_b32_e32 v1, 0xffff, v44
	v_and_b32_e32 v10, 0xffff, v45
	;; [unrolled: 1-line block ×4, first 2 shown]
	s_mov_b32 s15, exec_lo
	v_lshl_or_b32 v46, v41, 16, v1
	;;#ASMSTART
	v_pk_mul_f16 v1, v46, v21;

	;;#ASMEND
	v_lshl_or_b32 v45, v42, 16, v10
	v_lshl_or_b32 v44, v43, 16, v22
	;; [unrolled: 1-line block ×3, first 2 shown]
	;;#ASMSTART
	v_pk_mul_f16 v10, v45, v20;

	;;#ASMEND
	;;#ASMSTART
	v_pk_mul_f16 v19, v44, v19;

	;;#ASMEND
	;; [unrolled: 4-line block ×3, first 2 shown]
	;;#ASMSTART
	v_pk_add_f16 v1, v1, v10;

	;;#ASMEND
	;;#ASMSTART
	v_pk_add_f16 v1, v1, v19;

	;;#ASMEND
	;; [unrolled: 4-line block ×3, first 2 shown]
	v_and_b32_e32 v10, 0xffff, v1
	v_dual_lshrrev_b32 v1, 16, v1 :: v_dual_mov_b32 v19, 0
	;;#ASMSTART
	v_cvt_f32_f16 v47, v10;
	;;#ASMEND
	;;#ASMSTART
	v_cvt_f32_f16 v48, v1;
	;;#ASMEND
	global_load_b64 v[20:21], v[16:17], off offset:256
	v_mov_b32_e32 v1, 0
	global_load_b32 v18, v1, s[6:7]
	s_wait_loadcnt 0x1
	v_and_b32_e32 v10, 0xff, v20
	s_wait_xcnt 0x0
	s_delay_alu instid0(VALU_DEP_1)
	v_cmpx_ne_u16_e32 0, v10
	s_cbranch_execz .LBB290_622
; %bb.615:                              ;   in Loop: Header=BB290_548 Depth=1
	v_mov_b32_e32 v19, 0x8000
	s_mov_b32 s16, exec_lo
	v_cmpx_ne_u16_e32 0x80, v10
	s_cbranch_execz .LBB290_621
; %bb.616:                              ;   in Loop: Header=BB290_548 Depth=1
	v_and_b32_e32 v22, 0x7f, v20
	v_mov_b32_e32 v19, 0x7c01
	s_mov_b32 s17, exec_lo
	s_delay_alu instid0(VALU_DEP_2)
	v_cmpx_ne_u32_e32 0x7f, v22
	s_cbranch_execz .LBB290_620
; %bb.617:                              ;   in Loop: Header=BB290_548 Depth=1
	v_dual_lshrrev_b32 v19, 3, v22 :: v_dual_bitop2_b32 v10, 7, v20 bitop3:0x40
	s_mov_b32 s18, exec_lo
	v_cmpx_gt_u32_e32 8, v22
; %bb.618:                              ;   in Loop: Header=BB290_548 Depth=1
	s_delay_alu instid0(VALU_DEP_2) | instskip(NEXT) | instid1(VALU_DEP_1)
	v_clz_i32_u32_e32 v10, v10
	v_min_u32_e32 v10, 32, v10
	s_delay_alu instid0(VALU_DEP_1) | instskip(NEXT) | instid1(VALU_DEP_1)
	v_subrev_nc_u32_e32 v19, 28, v10
	v_lshlrev_b64_e32 v[22:23], v19, v[20:21]
	v_sub_nc_u32_e32 v19, 29, v10
	s_delay_alu instid0(VALU_DEP_2)
	v_and_b32_e32 v10, 7, v22
; %bb.619:                              ;   in Loop: Header=BB290_548 Depth=1
	s_or_b32 exec_lo, exec_lo, s18
	s_delay_alu instid0(VALU_DEP_1) | instskip(NEXT) | instid1(VALU_DEP_3)
	v_dual_lshlrev_b32 v22, 8, v20 :: v_dual_lshlrev_b32 v10, 7, v10
	v_lshl_add_u32 v19, v19, 10, 0x2000
	s_delay_alu instid0(VALU_DEP_2) | instskip(NEXT) | instid1(VALU_DEP_2)
	v_and_b32_e32 v22, 0x8000, v22
	v_and_b32_e32 v19, 0xfc00, v19
	s_delay_alu instid0(VALU_DEP_1)
	v_or3_b32 v19, v22, v19, v10
.LBB290_620:                            ;   in Loop: Header=BB290_548 Depth=1
	s_or_b32 exec_lo, exec_lo, s17
.LBB290_621:                            ;   in Loop: Header=BB290_548 Depth=1
	s_delay_alu instid0(SALU_CYCLE_1)
	s_or_b32 exec_lo, exec_lo, s16
.LBB290_622:                            ;   in Loop: Header=BB290_548 Depth=1
	s_delay_alu instid0(SALU_CYCLE_1) | instskip(SKIP_2) | instid1(VALU_DEP_1)
	s_or_b32 exec_lo, exec_lo, s15
	v_lshrrev_b16 v10, 8, v20
	s_mov_b32 s15, exec_lo
	v_cmpx_ne_u16_e32 0, v10
	s_cbranch_execz .LBB290_630
; %bb.623:                              ;   in Loop: Header=BB290_548 Depth=1
	v_bfrev_b32_e32 v1, 1
	s_mov_b32 s16, exec_lo
	v_cmpx_ne_u16_e32 0x80, v10
	s_cbranch_execz .LBB290_629
; %bb.624:                              ;   in Loop: Header=BB290_548 Depth=1
	v_and_b32_e32 v22, 0xffff, v10
	v_mov_b32_e32 v1, 0x7c010000
	s_mov_b32 s17, exec_lo
	s_delay_alu instid0(VALU_DEP_2) | instskip(NEXT) | instid1(VALU_DEP_1)
	v_and_b32_e32 v24, 0x7f, v22
	v_cmpx_ne_u32_e32 0x7f, v24
	s_cbranch_execz .LBB290_628
; %bb.625:                              ;   in Loop: Header=BB290_548 Depth=1
	v_dual_lshrrev_b32 v23, 3, v24 :: v_dual_bitop2_b32 v1, 7, v22 bitop3:0x40
	s_mov_b32 s18, exec_lo
	v_cmpx_gt_u32_e32 8, v24
; %bb.626:                              ;   in Loop: Header=BB290_548 Depth=1
	s_delay_alu instid0(VALU_DEP_2) | instskip(NEXT) | instid1(VALU_DEP_1)
	v_clz_i32_u32_e32 v1, v1
	v_min_u32_e32 v1, 32, v1
	s_delay_alu instid0(VALU_DEP_1) | instskip(NEXT) | instid1(VALU_DEP_1)
	v_subrev_nc_u32_e32 v23, 28, v1
	v_lshlrev_b64_e32 v[24:25], v23, v[10:11]
	s_delay_alu instid0(VALU_DEP_1)
	v_dual_sub_nc_u32 v23, 29, v1 :: v_dual_bitop2_b32 v1, 7, v24 bitop3:0x40
; %bb.627:                              ;   in Loop: Header=BB290_548 Depth=1
	s_or_b32 exec_lo, exec_lo, s18
	s_delay_alu instid0(VALU_DEP_1) | instskip(NEXT) | instid1(VALU_DEP_2)
	v_dual_lshlrev_b32 v10, 8, v22 :: v_dual_lshlrev_b32 v1, 23, v1
	v_lshl_add_u32 v22, v23, 10, 0x2000
	s_delay_alu instid0(VALU_DEP_1) | instskip(NEXT) | instid1(VALU_DEP_1)
	v_and_or_b32 v10, 0x8000, v10, v22
	v_lshl_or_b32 v1, v10, 16, v1
.LBB290_628:                            ;   in Loop: Header=BB290_548 Depth=1
	s_or_b32 exec_lo, exec_lo, s17
.LBB290_629:                            ;   in Loop: Header=BB290_548 Depth=1
	s_delay_alu instid0(SALU_CYCLE_1)
	s_or_b32 exec_lo, exec_lo, s16
.LBB290_630:                            ;   in Loop: Header=BB290_548 Depth=1
	s_delay_alu instid0(SALU_CYCLE_1) | instskip(SKIP_3) | instid1(VALU_DEP_2)
	s_or_b32 exec_lo, exec_lo, s15
	v_dual_lshrrev_b32 v10, 16, v20 :: v_dual_mov_b32 v22, 0
	v_mov_b32_e32 v23, 0
	s_mov_b32 s15, exec_lo
	v_and_b32_e32 v24, 0xff, v10
	s_delay_alu instid0(VALU_DEP_1)
	v_cmpx_ne_u16_e32 0, v24
	s_cbranch_execz .LBB290_638
; %bb.631:                              ;   in Loop: Header=BB290_548 Depth=1
	v_mov_b32_e32 v23, 0x8000
	s_mov_b32 s16, exec_lo
	v_cmpx_ne_u16_e32 0x80, v24
	s_cbranch_execz .LBB290_637
; %bb.632:                              ;   in Loop: Header=BB290_548 Depth=1
	v_bfe_u32 v25, v20, 16, 7
	v_mov_b32_e32 v23, 0x7c01
	s_mov_b32 s17, exec_lo
	s_delay_alu instid0(VALU_DEP_2)
	v_cmpx_ne_u32_e32 0x7f, v25
	s_cbranch_execz .LBB290_636
; %bb.633:                              ;   in Loop: Header=BB290_548 Depth=1
	v_dual_lshrrev_b32 v24, 3, v25 :: v_dual_bitop2_b32 v23, 7, v10 bitop3:0x40
	s_mov_b32 s18, exec_lo
	v_cmpx_gt_u32_e32 8, v25
; %bb.634:                              ;   in Loop: Header=BB290_548 Depth=1
	s_delay_alu instid0(VALU_DEP_2) | instskip(NEXT) | instid1(VALU_DEP_1)
	v_clz_i32_u32_e32 v23, v23
	v_min_u32_e32 v23, 32, v23
	s_delay_alu instid0(VALU_DEP_1) | instskip(NEXT) | instid1(VALU_DEP_1)
	v_subrev_nc_u32_e32 v24, 28, v23
	v_lshlrev_b64_e32 v[26:27], v24, v[10:11]
	s_delay_alu instid0(VALU_DEP_1)
	v_dual_sub_nc_u32 v24, 29, v23 :: v_dual_bitop2_b32 v23, 7, v26 bitop3:0x40
; %bb.635:                              ;   in Loop: Header=BB290_548 Depth=1
	s_or_b32 exec_lo, exec_lo, s18
	s_delay_alu instid0(VALU_DEP_1) | instskip(NEXT) | instid1(VALU_DEP_2)
	v_dual_lshlrev_b32 v10, 8, v10 :: v_dual_lshlrev_b32 v23, 7, v23
	v_lshl_add_u32 v24, v24, 10, 0x2000
	s_delay_alu instid0(VALU_DEP_2) | instskip(NEXT) | instid1(VALU_DEP_2)
	v_and_b32_e32 v10, 0x8000, v10
	v_and_b32_e32 v24, 0xfc00, v24
	s_delay_alu instid0(VALU_DEP_1)
	v_or3_b32 v23, v10, v24, v23
.LBB290_636:                            ;   in Loop: Header=BB290_548 Depth=1
	s_or_b32 exec_lo, exec_lo, s17
.LBB290_637:                            ;   in Loop: Header=BB290_548 Depth=1
	s_delay_alu instid0(SALU_CYCLE_1)
	s_or_b32 exec_lo, exec_lo, s16
.LBB290_638:                            ;   in Loop: Header=BB290_548 Depth=1
	s_delay_alu instid0(SALU_CYCLE_1) | instskip(NEXT) | instid1(SALU_CYCLE_1)
	s_or_b32 exec_lo, exec_lo, s15
	s_mov_b32 s15, exec_lo
	v_cmpx_lt_u32_e32 0xffffff, v20
	s_cbranch_execz .LBB290_646
; %bb.639:                              ;   in Loop: Header=BB290_548 Depth=1
	v_lshrrev_b32_e32 v10, 24, v20
	v_bfrev_b32_e32 v22, 1
	s_mov_b32 s16, exec_lo
	s_delay_alu instid0(VALU_DEP_2)
	v_cmpx_ne_u32_e32 0x80, v10
	s_cbranch_execz .LBB290_645
; %bb.640:                              ;   in Loop: Header=BB290_548 Depth=1
	v_and_b32_e32 v25, 0x7f, v10
	v_mov_b32_e32 v22, 0x7c010000
	s_mov_b32 s17, exec_lo
	s_delay_alu instid0(VALU_DEP_2)
	v_cmpx_ne_u32_e32 0x7f, v25
	s_cbranch_execz .LBB290_644
; %bb.641:                              ;   in Loop: Header=BB290_548 Depth=1
	v_dual_lshrrev_b32 v24, 3, v25 :: v_dual_bitop2_b32 v22, 7, v10 bitop3:0x40
	s_mov_b32 s18, exec_lo
	v_cmpx_gt_u32_e32 8, v25
; %bb.642:                              ;   in Loop: Header=BB290_548 Depth=1
	s_delay_alu instid0(VALU_DEP_2) | instskip(NEXT) | instid1(VALU_DEP_1)
	v_clz_i32_u32_e32 v22, v22
	v_min_u32_e32 v22, 32, v22
	s_delay_alu instid0(VALU_DEP_1) | instskip(NEXT) | instid1(VALU_DEP_1)
	v_subrev_nc_u32_e32 v24, 28, v22
	v_lshlrev_b64_e32 v[26:27], v24, v[10:11]
	v_sub_nc_u32_e32 v24, 29, v22
	s_delay_alu instid0(VALU_DEP_2)
	v_and_b32_e32 v22, 7, v26
; %bb.643:                              ;   in Loop: Header=BB290_548 Depth=1
	s_or_b32 exec_lo, exec_lo, s18
	v_lshlrev_b32_e32 v10, 8, v10
	s_delay_alu instid0(VALU_DEP_3) | instskip(NEXT) | instid1(VALU_DEP_3)
	v_lshl_add_u32 v24, v24, 10, 0x2000
	v_lshlrev_b32_e32 v22, 23, v22
	s_delay_alu instid0(VALU_DEP_2) | instskip(NEXT) | instid1(VALU_DEP_1)
	v_and_or_b32 v10, 0x8000, v10, v24
	v_lshl_or_b32 v22, v10, 16, v22
.LBB290_644:                            ;   in Loop: Header=BB290_548 Depth=1
	s_or_b32 exec_lo, exec_lo, s17
.LBB290_645:                            ;   in Loop: Header=BB290_548 Depth=1
	s_delay_alu instid0(SALU_CYCLE_1)
	s_or_b32 exec_lo, exec_lo, s16
.LBB290_646:                            ;   in Loop: Header=BB290_548 Depth=1
	s_delay_alu instid0(SALU_CYCLE_1) | instskip(SKIP_4) | instid1(VALU_DEP_3)
	s_or_b32 exec_lo, exec_lo, s15
	v_and_b32_e32 v26, 0xff, v21
	v_dual_mov_b32 v10, v21 :: v_dual_mov_b32 v25, 0
	v_mov_b32_e32 v24, 0
	s_mov_b32 s15, exec_lo
	v_cmpx_ne_u16_e32 0, v26
	s_cbranch_execz .LBB290_654
; %bb.647:                              ;   in Loop: Header=BB290_548 Depth=1
	v_mov_b32_e32 v24, 0x8000
	s_mov_b32 s16, exec_lo
	v_cmpx_ne_u16_e32 0x80, v26
	s_cbranch_execz .LBB290_653
; %bb.648:                              ;   in Loop: Header=BB290_548 Depth=1
	v_and_b32_e32 v27, 0x7f, v21
	v_mov_b32_e32 v24, 0x7c01
	s_mov_b32 s17, exec_lo
	s_delay_alu instid0(VALU_DEP_2)
	v_cmpx_ne_u32_e32 0x7f, v27
	s_cbranch_execz .LBB290_652
; %bb.649:                              ;   in Loop: Header=BB290_548 Depth=1
	v_dual_lshrrev_b32 v26, 3, v27 :: v_dual_bitop2_b32 v24, 7, v21 bitop3:0x40
	s_mov_b32 s18, exec_lo
	v_cmpx_gt_u32_e32 8, v27
; %bb.650:                              ;   in Loop: Header=BB290_548 Depth=1
	s_delay_alu instid0(VALU_DEP_2) | instskip(NEXT) | instid1(VALU_DEP_1)
	v_clz_i32_u32_e32 v24, v24
	v_min_u32_e32 v24, 32, v24
	s_delay_alu instid0(VALU_DEP_1) | instskip(NEXT) | instid1(VALU_DEP_1)
	v_subrev_nc_u32_e32 v26, 28, v24
	v_lshlrev_b64_e32 v[50:51], v26, v[10:11]
	s_delay_alu instid0(VALU_DEP_1)
	v_dual_sub_nc_u32 v26, 29, v24 :: v_dual_bitop2_b32 v24, 7, v50 bitop3:0x40
; %bb.651:                              ;   in Loop: Header=BB290_548 Depth=1
	s_or_b32 exec_lo, exec_lo, s18
	s_delay_alu instid0(VALU_DEP_1) | instskip(NEXT) | instid1(VALU_DEP_2)
	v_dual_lshlrev_b32 v27, 8, v21 :: v_dual_lshlrev_b32 v24, 7, v24
	v_lshl_add_u32 v26, v26, 10, 0x2000
	s_delay_alu instid0(VALU_DEP_2) | instskip(NEXT) | instid1(VALU_DEP_2)
	v_and_b32_e32 v27, 0x8000, v27
	v_and_b32_e32 v26, 0xfc00, v26
	s_delay_alu instid0(VALU_DEP_1)
	v_or3_b32 v24, v27, v26, v24
.LBB290_652:                            ;   in Loop: Header=BB290_548 Depth=1
	s_or_b32 exec_lo, exec_lo, s17
.LBB290_653:                            ;   in Loop: Header=BB290_548 Depth=1
	s_delay_alu instid0(SALU_CYCLE_1)
	s_or_b32 exec_lo, exec_lo, s16
.LBB290_654:                            ;   in Loop: Header=BB290_548 Depth=1
	s_delay_alu instid0(SALU_CYCLE_1) | instskip(SKIP_3) | instid1(VALU_DEP_2)
	s_or_b32 exec_lo, exec_lo, s15
	v_lshrrev_b16 v10, 8, v10
	v_mov_b32_e32 v26, 0
	s_mov_b32 s15, exec_lo
	v_cmpx_ne_u16_e32 0, v10
	s_cbranch_execz .LBB290_662
; %bb.655:                              ;   in Loop: Header=BB290_548 Depth=1
	v_bfrev_b32_e32 v26, 1
	s_mov_b32 s16, exec_lo
	v_cmpx_ne_u16_e32 0x80, v10
	s_cbranch_execz .LBB290_661
; %bb.656:                              ;   in Loop: Header=BB290_548 Depth=1
	v_and_b32_e32 v27, 0xffff, v10
	v_mov_b32_e32 v26, 0x7c010000
	s_mov_b32 s17, exec_lo
	s_delay_alu instid0(VALU_DEP_2) | instskip(NEXT) | instid1(VALU_DEP_1)
	v_and_b32_e32 v42, 0x7f, v27
	v_cmpx_ne_u32_e32 0x7f, v42
	s_cbranch_execz .LBB290_660
; %bb.657:                              ;   in Loop: Header=BB290_548 Depth=1
	v_dual_lshrrev_b32 v41, 3, v42 :: v_dual_bitop2_b32 v26, 7, v27 bitop3:0x40
	s_mov_b32 s18, exec_lo
	v_cmpx_gt_u32_e32 8, v42
; %bb.658:                              ;   in Loop: Header=BB290_548 Depth=1
	s_delay_alu instid0(VALU_DEP_2) | instskip(NEXT) | instid1(VALU_DEP_1)
	v_clz_i32_u32_e32 v26, v26
	v_min_u32_e32 v26, 32, v26
	s_delay_alu instid0(VALU_DEP_1) | instskip(NEXT) | instid1(VALU_DEP_1)
	v_subrev_nc_u32_e32 v41, 28, v26
	v_lshlrev_b64_e32 v[50:51], v41, v[10:11]
	v_sub_nc_u32_e32 v41, 29, v26
	s_delay_alu instid0(VALU_DEP_2)
	v_and_b32_e32 v26, 7, v50
; %bb.659:                              ;   in Loop: Header=BB290_548 Depth=1
	s_or_b32 exec_lo, exec_lo, s18
	s_delay_alu instid0(VALU_DEP_1) | instskip(NEXT) | instid1(VALU_DEP_3)
	v_dual_lshlrev_b32 v10, 8, v27 :: v_dual_lshlrev_b32 v26, 23, v26
	v_lshl_add_u32 v27, v41, 10, 0x2000
	s_delay_alu instid0(VALU_DEP_1) | instskip(NEXT) | instid1(VALU_DEP_1)
	v_and_or_b32 v10, 0x8000, v10, v27
	v_lshl_or_b32 v26, v10, 16, v26
.LBB290_660:                            ;   in Loop: Header=BB290_548 Depth=1
	s_or_b32 exec_lo, exec_lo, s17
.LBB290_661:                            ;   in Loop: Header=BB290_548 Depth=1
	s_delay_alu instid0(SALU_CYCLE_1)
	s_or_b32 exec_lo, exec_lo, s16
.LBB290_662:                            ;   in Loop: Header=BB290_548 Depth=1
	s_delay_alu instid0(SALU_CYCLE_1) | instskip(SKIP_2) | instid1(VALU_DEP_1)
	s_or_b32 exec_lo, exec_lo, s15
	v_lshrrev_b32_e32 v10, 16, v21
	s_mov_b32 s15, exec_lo
	v_and_b32_e32 v27, 0xff, v10
	s_delay_alu instid0(VALU_DEP_1)
	v_cmpx_ne_u16_e32 0, v27
	s_cbranch_execz .LBB290_670
; %bb.663:                              ;   in Loop: Header=BB290_548 Depth=1
	v_mov_b32_e32 v25, 0x8000
	s_mov_b32 s16, exec_lo
	v_cmpx_ne_u16_e32 0x80, v27
	s_cbranch_execz .LBB290_669
; %bb.664:                              ;   in Loop: Header=BB290_548 Depth=1
	v_bfe_u32 v41, v21, 16, 7
	v_mov_b32_e32 v25, 0x7c01
	s_mov_b32 s17, exec_lo
	s_delay_alu instid0(VALU_DEP_2)
	v_cmpx_ne_u32_e32 0x7f, v41
	s_cbranch_execz .LBB290_668
; %bb.665:                              ;   in Loop: Header=BB290_548 Depth=1
	v_dual_lshrrev_b32 v27, 3, v41 :: v_dual_bitop2_b32 v25, 7, v10 bitop3:0x40
	s_mov_b32 s18, exec_lo
	v_cmpx_gt_u32_e32 8, v41
; %bb.666:                              ;   in Loop: Header=BB290_548 Depth=1
	s_delay_alu instid0(VALU_DEP_2) | instskip(NEXT) | instid1(VALU_DEP_1)
	v_clz_i32_u32_e32 v25, v25
	v_min_u32_e32 v25, 32, v25
	s_delay_alu instid0(VALU_DEP_1) | instskip(NEXT) | instid1(VALU_DEP_1)
	v_subrev_nc_u32_e32 v27, 28, v25
	v_lshlrev_b64_e32 v[50:51], v27, v[10:11]
	s_delay_alu instid0(VALU_DEP_1)
	v_dual_sub_nc_u32 v27, 29, v25 :: v_dual_bitop2_b32 v25, 7, v50 bitop3:0x40
; %bb.667:                              ;   in Loop: Header=BB290_548 Depth=1
	s_or_b32 exec_lo, exec_lo, s18
	s_delay_alu instid0(VALU_DEP_1) | instskip(NEXT) | instid1(VALU_DEP_2)
	v_dual_lshlrev_b32 v10, 8, v10 :: v_dual_lshlrev_b32 v25, 7, v25
	v_lshl_add_u32 v27, v27, 10, 0x2000
	s_delay_alu instid0(VALU_DEP_2) | instskip(NEXT) | instid1(VALU_DEP_2)
	v_and_b32_e32 v10, 0x8000, v10
	v_and_b32_e32 v27, 0xfc00, v27
	s_delay_alu instid0(VALU_DEP_1)
	v_or3_b32 v25, v10, v27, v25
.LBB290_668:                            ;   in Loop: Header=BB290_548 Depth=1
	s_or_b32 exec_lo, exec_lo, s17
.LBB290_669:                            ;   in Loop: Header=BB290_548 Depth=1
	s_delay_alu instid0(SALU_CYCLE_1)
	s_or_b32 exec_lo, exec_lo, s16
.LBB290_670:                            ;   in Loop: Header=BB290_548 Depth=1
	s_delay_alu instid0(SALU_CYCLE_1)
	s_or_b32 exec_lo, exec_lo, s15
	v_cmp_lt_u64_e64 s0, s[2:3], v[20:21]
	v_mov_b32_e32 v20, 0
	s_and_saveexec_b32 s15, s0
	s_cbranch_execz .LBB290_678
; %bb.671:                              ;   in Loop: Header=BB290_548 Depth=1
	v_lshrrev_b32_e32 v10, 24, v21
	v_bfrev_b32_e32 v20, 1
	s_mov_b32 s16, exec_lo
	s_delay_alu instid0(VALU_DEP_2)
	v_cmpx_ne_u32_e32 0x80, v10
	s_cbranch_execz .LBB290_677
; %bb.672:                              ;   in Loop: Header=BB290_548 Depth=1
	v_and_b32_e32 v27, 0x7f, v10
	v_mov_b32_e32 v20, 0x7c010000
	s_mov_b32 s17, exec_lo
	s_delay_alu instid0(VALU_DEP_2)
	v_cmpx_ne_u32_e32 0x7f, v27
	s_cbranch_execz .LBB290_676
; %bb.673:                              ;   in Loop: Header=BB290_548 Depth=1
	v_dual_lshrrev_b32 v21, 3, v27 :: v_dual_bitop2_b32 v20, 7, v10 bitop3:0x40
	s_mov_b32 s18, exec_lo
	v_cmpx_gt_u32_e32 8, v27
; %bb.674:                              ;   in Loop: Header=BB290_548 Depth=1
	s_delay_alu instid0(VALU_DEP_2) | instskip(NEXT) | instid1(VALU_DEP_1)
	v_clz_i32_u32_e32 v20, v20
	v_min_u32_e32 v27, 32, v20
	s_delay_alu instid0(VALU_DEP_1) | instskip(NEXT) | instid1(VALU_DEP_1)
	v_subrev_nc_u32_e32 v20, 28, v27
	v_lshlrev_b64_e32 v[20:21], v20, v[10:11]
	s_delay_alu instid0(VALU_DEP_1)
	v_dual_sub_nc_u32 v21, 29, v27 :: v_dual_bitop2_b32 v20, 7, v20 bitop3:0x40
; %bb.675:                              ;   in Loop: Header=BB290_548 Depth=1
	s_or_b32 exec_lo, exec_lo, s18
	s_delay_alu instid0(VALU_DEP_1) | instskip(NEXT) | instid1(VALU_DEP_2)
	v_dual_lshlrev_b32 v10, 8, v10 :: v_dual_lshlrev_b32 v20, 23, v20
	v_lshl_add_u32 v21, v21, 10, 0x2000
	s_delay_alu instid0(VALU_DEP_1) | instskip(NEXT) | instid1(VALU_DEP_1)
	v_and_or_b32 v10, 0x8000, v10, v21
	v_lshl_or_b32 v20, v10, 16, v20
.LBB290_676:                            ;   in Loop: Header=BB290_548 Depth=1
	s_or_b32 exec_lo, exec_lo, s17
.LBB290_677:                            ;   in Loop: Header=BB290_548 Depth=1
	s_delay_alu instid0(SALU_CYCLE_1)
	s_or_b32 exec_lo, exec_lo, s16
.LBB290_678:                            ;   in Loop: Header=BB290_548 Depth=1
	s_delay_alu instid0(SALU_CYCLE_1) | instskip(SKIP_3) | instid1(VALU_DEP_3)
	s_or_b32 exec_lo, exec_lo, s15
	v_dual_lshrrev_b32 v10, 16, v1 :: v_dual_lshrrev_b32 v21, 16, v22
	v_or_b32_e32 v1, v1, v19
	v_dual_lshrrev_b32 v27, 16, v20 :: v_dual_bitop2_b32 v19, v22, v23 bitop3:0x54
	v_cvt_f32_f16_e32 v23, v10
	s_delay_alu instid0(VALU_DEP_4) | instskip(SKIP_1) | instid1(VALU_DEP_4)
	v_cvt_f32_f16_e32 v22, v21
	v_dual_lshrrev_b32 v25, 16, v26 :: v_dual_bitop2_b32 v10, v20, v25 bitop3:0x54
	v_cvt_f32_f16_e32 v20, v19
	v_cvt_f32_f16_e32 v21, v1
	s_wait_loadcnt 0x0
	v_pk_mul_f32 v[22:23], v[18:19], v[22:23] op_sel_hi:[0,1]
	v_cvt_f32_f16_e32 v25, v25
	s_delay_alu instid0(VALU_DEP_2) | instskip(SKIP_3) | instid1(VALU_DEP_3)
	v_cvt_pk_f16_f32 v1, v22, v23
	v_or_b32_e32 v19, v26, v24
	v_cvt_f32_f16_e32 v24, v27
	v_cvt_f32_f16_e32 v26, v10
	v_pk_mul_f32 v[20:21], v[18:19], v[20:21] op_sel_hi:[0,1]
	s_delay_alu instid0(VALU_DEP_1) | instskip(SKIP_4) | instid1(VALU_DEP_3)
	v_cvt_pk_f16_f32 v10, v20, v21
	v_lshlrev_b32_e32 v20, 16, v1
	v_cvt_f32_f16_e32 v27, v19
	v_pk_mul_f32 v[22:23], v[18:19], v[24:25] op_sel_hi:[0,1]
	v_and_b32_e32 v21, 0xffff0000, v1
	v_pk_mul_f32 v[18:19], v[18:19], v[26:27] op_sel_hi:[0,1]
	s_delay_alu instid0(VALU_DEP_3) | instskip(SKIP_1) | instid1(VALU_DEP_3)
	v_cvt_pk_f16_f32 v22, v22, v23
	v_and_b32_e32 v26, 0xffff, v10
	v_cvt_pk_f16_f32 v18, v18, v19
	s_delay_alu instid0(VALU_DEP_3) | instskip(NEXT) | instid1(VALU_DEP_3)
	v_and_b32_e32 v1, 0xffff0000, v22
	v_or_b32_e32 v24, v20, v26
	s_delay_alu instid0(VALU_DEP_3) | instskip(SKIP_2) | instid1(VALU_DEP_3)
	v_lshrrev_b32_e32 v19, 16, v18
	v_lshrrev_b32_e32 v27, 16, v10
	v_and_b32_e32 v18, 0xffff, v18
	v_dual_lshlrev_b32 v10, 16, v22 :: v_dual_bitop2_b32 v23, v1, v19 bitop3:0x54
	s_delay_alu instid0(VALU_DEP_3) | instskip(NEXT) | instid1(VALU_DEP_2)
	v_or_b32_e32 v25, v21, v27
	v_or_b32_e32 v22, v10, v18
	s_and_saveexec_b32 s15, vcc_lo
	s_cbranch_execz .LBB290_680
; %bb.679:                              ;   in Loop: Header=BB290_548 Depth=1
	v_cmp_gt_i32_e64 s0, s14, v31
	s_delay_alu instid0(VALU_DEP_1) | instskip(SKIP_1) | instid1(VALU_DEP_1)
	v_cndmask_b32_e64 v22, 0, v27, s0
	v_cmp_gt_i32_e64 s0, s25, v40
	v_cndmask_b32_e64 v23, 0, v26, s0
	v_cmp_gt_i32_e64 s0, s14, v39
	s_delay_alu instid0(VALU_DEP_1) | instskip(SKIP_1) | instid1(VALU_DEP_1)
	v_cndmask_b32_e64 v21, 0, v21, s0
	v_cmp_gt_i32_e64 s0, s25, v38
	v_cndmask_b32_e64 v20, 0, v20, s0
	v_cmp_gt_i32_e64 s0, s14, v37
	s_delay_alu instid0(VALU_DEP_4) | instskip(NEXT) | instid1(VALU_DEP_3)
	v_or_b32_e32 v25, v21, v22
	v_or_b32_e32 v24, v20, v23
	s_delay_alu instid0(VALU_DEP_3) | instskip(SKIP_1) | instid1(VALU_DEP_1)
	v_cndmask_b32_e64 v19, 0, v19, s0
	v_cmp_gt_i32_e64 s0, s25, v36
	v_cndmask_b32_e64 v18, 0, v18, s0
	v_cmp_gt_i32_e64 s0, s14, v35
	s_delay_alu instid0(VALU_DEP_1) | instskip(SKIP_1) | instid1(VALU_DEP_1)
	v_cndmask_b32_e64 v1, 0, v1, s0
	v_cmp_gt_i32_e64 s0, s25, v34
	v_dual_cndmask_b32 v10, 0, v10, s0 :: v_dual_bitop2_b32 v23, v1, v19 bitop3:0x54
	s_delay_alu instid0(VALU_DEP_1)
	v_or_b32_e32 v22, v10, v18
.LBB290_680:                            ;   in Loop: Header=BB290_548 Depth=1
	s_or_b32 exec_lo, exec_lo, s15
	;;#ASMSTART
	v_pk_mul_f16 v1, v46, v25;

	;;#ASMEND
	;;#ASMSTART
	v_pk_mul_f16 v10, v45, v24;

	;;#ASMEND
	;; [unrolled: 4-line block ×4, first 2 shown]
	;;#ASMSTART
	v_pk_add_f16 v1, v1, v10;

	;;#ASMEND
	;;#ASMSTART
	v_pk_add_f16 v1, v1, v18;

	;;#ASMEND
	;; [unrolled: 4-line block ×3, first 2 shown]
	v_and_b32_e32 v10, 0xffff, v1
	v_dual_lshrrev_b32 v1, 16, v1 :: v_dual_mov_b32 v19, 0
	;;#ASMSTART
	v_cvt_f32_f16 v49, v10;
	;;#ASMEND
	;;#ASMSTART
	v_cvt_f32_f16 v50, v1;
	;;#ASMEND
	global_load_b64 v[20:21], v[16:17], off offset:512
	v_mov_b32_e32 v1, 0
	s_mov_b32 s15, exec_lo
	global_load_b32 v18, v1, s[6:7]
	s_wait_loadcnt 0x1
	v_and_b32_e32 v10, 0xff, v20
	s_wait_xcnt 0x0
	s_delay_alu instid0(VALU_DEP_1)
	v_cmpx_ne_u16_e32 0, v10
	s_cbranch_execz .LBB290_688
; %bb.681:                              ;   in Loop: Header=BB290_548 Depth=1
	v_mov_b32_e32 v19, 0x8000
	s_mov_b32 s16, exec_lo
	v_cmpx_ne_u16_e32 0x80, v10
	s_cbranch_execz .LBB290_687
; %bb.682:                              ;   in Loop: Header=BB290_548 Depth=1
	v_and_b32_e32 v22, 0x7f, v20
	v_mov_b32_e32 v19, 0x7c01
	s_mov_b32 s17, exec_lo
	s_delay_alu instid0(VALU_DEP_2)
	v_cmpx_ne_u32_e32 0x7f, v22
	s_cbranch_execz .LBB290_686
; %bb.683:                              ;   in Loop: Header=BB290_548 Depth=1
	v_dual_lshrrev_b32 v19, 3, v22 :: v_dual_bitop2_b32 v10, 7, v20 bitop3:0x40
	s_mov_b32 s18, exec_lo
	v_cmpx_gt_u32_e32 8, v22
; %bb.684:                              ;   in Loop: Header=BB290_548 Depth=1
	s_delay_alu instid0(VALU_DEP_2) | instskip(NEXT) | instid1(VALU_DEP_1)
	v_clz_i32_u32_e32 v10, v10
	v_min_u32_e32 v10, 32, v10
	s_delay_alu instid0(VALU_DEP_1) | instskip(NEXT) | instid1(VALU_DEP_1)
	v_subrev_nc_u32_e32 v19, 28, v10
	v_lshlrev_b64_e32 v[22:23], v19, v[20:21]
	v_sub_nc_u32_e32 v19, 29, v10
	s_delay_alu instid0(VALU_DEP_2)
	v_and_b32_e32 v10, 7, v22
; %bb.685:                              ;   in Loop: Header=BB290_548 Depth=1
	s_or_b32 exec_lo, exec_lo, s18
	s_delay_alu instid0(VALU_DEP_1) | instskip(NEXT) | instid1(VALU_DEP_3)
	v_dual_lshlrev_b32 v22, 8, v20 :: v_dual_lshlrev_b32 v10, 7, v10
	v_lshl_add_u32 v19, v19, 10, 0x2000
	s_delay_alu instid0(VALU_DEP_2) | instskip(NEXT) | instid1(VALU_DEP_2)
	v_and_b32_e32 v22, 0x8000, v22
	v_and_b32_e32 v19, 0xfc00, v19
	s_delay_alu instid0(VALU_DEP_1)
	v_or3_b32 v19, v22, v19, v10
.LBB290_686:                            ;   in Loop: Header=BB290_548 Depth=1
	s_or_b32 exec_lo, exec_lo, s17
.LBB290_687:                            ;   in Loop: Header=BB290_548 Depth=1
	s_delay_alu instid0(SALU_CYCLE_1)
	s_or_b32 exec_lo, exec_lo, s16
.LBB290_688:                            ;   in Loop: Header=BB290_548 Depth=1
	s_delay_alu instid0(SALU_CYCLE_1) | instskip(SKIP_2) | instid1(VALU_DEP_1)
	s_or_b32 exec_lo, exec_lo, s15
	v_lshrrev_b16 v10, 8, v20
	s_mov_b32 s15, exec_lo
	v_cmpx_ne_u16_e32 0, v10
	s_cbranch_execz .LBB290_696
; %bb.689:                              ;   in Loop: Header=BB290_548 Depth=1
	v_bfrev_b32_e32 v1, 1
	s_mov_b32 s16, exec_lo
	v_cmpx_ne_u16_e32 0x80, v10
	s_cbranch_execz .LBB290_695
; %bb.690:                              ;   in Loop: Header=BB290_548 Depth=1
	v_and_b32_e32 v22, 0xffff, v10
	v_mov_b32_e32 v1, 0x7c010000
	s_mov_b32 s17, exec_lo
	s_delay_alu instid0(VALU_DEP_2) | instskip(NEXT) | instid1(VALU_DEP_1)
	v_and_b32_e32 v24, 0x7f, v22
	v_cmpx_ne_u32_e32 0x7f, v24
	s_cbranch_execz .LBB290_694
; %bb.691:                              ;   in Loop: Header=BB290_548 Depth=1
	v_dual_lshrrev_b32 v23, 3, v24 :: v_dual_bitop2_b32 v1, 7, v22 bitop3:0x40
	s_mov_b32 s18, exec_lo
	v_cmpx_gt_u32_e32 8, v24
; %bb.692:                              ;   in Loop: Header=BB290_548 Depth=1
	s_delay_alu instid0(VALU_DEP_2) | instskip(NEXT) | instid1(VALU_DEP_1)
	v_clz_i32_u32_e32 v1, v1
	v_min_u32_e32 v1, 32, v1
	s_delay_alu instid0(VALU_DEP_1) | instskip(NEXT) | instid1(VALU_DEP_1)
	v_subrev_nc_u32_e32 v23, 28, v1
	v_lshlrev_b64_e32 v[24:25], v23, v[10:11]
	s_delay_alu instid0(VALU_DEP_1)
	v_dual_sub_nc_u32 v23, 29, v1 :: v_dual_bitop2_b32 v1, 7, v24 bitop3:0x40
; %bb.693:                              ;   in Loop: Header=BB290_548 Depth=1
	s_or_b32 exec_lo, exec_lo, s18
	s_delay_alu instid0(VALU_DEP_1) | instskip(NEXT) | instid1(VALU_DEP_2)
	v_dual_lshlrev_b32 v10, 8, v22 :: v_dual_lshlrev_b32 v1, 23, v1
	v_lshl_add_u32 v22, v23, 10, 0x2000
	s_delay_alu instid0(VALU_DEP_1) | instskip(NEXT) | instid1(VALU_DEP_1)
	v_and_or_b32 v10, 0x8000, v10, v22
	v_lshl_or_b32 v1, v10, 16, v1
.LBB290_694:                            ;   in Loop: Header=BB290_548 Depth=1
	s_or_b32 exec_lo, exec_lo, s17
.LBB290_695:                            ;   in Loop: Header=BB290_548 Depth=1
	s_delay_alu instid0(SALU_CYCLE_1)
	s_or_b32 exec_lo, exec_lo, s16
.LBB290_696:                            ;   in Loop: Header=BB290_548 Depth=1
	s_delay_alu instid0(SALU_CYCLE_1) | instskip(SKIP_3) | instid1(VALU_DEP_2)
	s_or_b32 exec_lo, exec_lo, s15
	v_dual_lshrrev_b32 v10, 16, v20 :: v_dual_mov_b32 v22, 0
	v_mov_b32_e32 v23, 0
	s_mov_b32 s15, exec_lo
	v_and_b32_e32 v24, 0xff, v10
	s_delay_alu instid0(VALU_DEP_1)
	v_cmpx_ne_u16_e32 0, v24
	s_cbranch_execz .LBB290_704
; %bb.697:                              ;   in Loop: Header=BB290_548 Depth=1
	v_mov_b32_e32 v23, 0x8000
	s_mov_b32 s16, exec_lo
	v_cmpx_ne_u16_e32 0x80, v24
	s_cbranch_execz .LBB290_703
; %bb.698:                              ;   in Loop: Header=BB290_548 Depth=1
	v_bfe_u32 v25, v20, 16, 7
	v_mov_b32_e32 v23, 0x7c01
	s_mov_b32 s17, exec_lo
	s_delay_alu instid0(VALU_DEP_2)
	v_cmpx_ne_u32_e32 0x7f, v25
	s_cbranch_execz .LBB290_702
; %bb.699:                              ;   in Loop: Header=BB290_548 Depth=1
	v_dual_lshrrev_b32 v24, 3, v25 :: v_dual_bitop2_b32 v23, 7, v10 bitop3:0x40
	s_mov_b32 s18, exec_lo
	v_cmpx_gt_u32_e32 8, v25
; %bb.700:                              ;   in Loop: Header=BB290_548 Depth=1
	s_delay_alu instid0(VALU_DEP_2) | instskip(NEXT) | instid1(VALU_DEP_1)
	v_clz_i32_u32_e32 v23, v23
	v_min_u32_e32 v23, 32, v23
	s_delay_alu instid0(VALU_DEP_1) | instskip(NEXT) | instid1(VALU_DEP_1)
	v_subrev_nc_u32_e32 v24, 28, v23
	v_lshlrev_b64_e32 v[26:27], v24, v[10:11]
	s_delay_alu instid0(VALU_DEP_1)
	v_dual_sub_nc_u32 v24, 29, v23 :: v_dual_bitop2_b32 v23, 7, v26 bitop3:0x40
; %bb.701:                              ;   in Loop: Header=BB290_548 Depth=1
	s_or_b32 exec_lo, exec_lo, s18
	s_delay_alu instid0(VALU_DEP_1) | instskip(NEXT) | instid1(VALU_DEP_2)
	v_dual_lshlrev_b32 v10, 8, v10 :: v_dual_lshlrev_b32 v23, 7, v23
	v_lshl_add_u32 v24, v24, 10, 0x2000
	s_delay_alu instid0(VALU_DEP_2) | instskip(NEXT) | instid1(VALU_DEP_2)
	v_and_b32_e32 v10, 0x8000, v10
	v_and_b32_e32 v24, 0xfc00, v24
	s_delay_alu instid0(VALU_DEP_1)
	v_or3_b32 v23, v10, v24, v23
.LBB290_702:                            ;   in Loop: Header=BB290_548 Depth=1
	s_or_b32 exec_lo, exec_lo, s17
.LBB290_703:                            ;   in Loop: Header=BB290_548 Depth=1
	s_delay_alu instid0(SALU_CYCLE_1)
	s_or_b32 exec_lo, exec_lo, s16
.LBB290_704:                            ;   in Loop: Header=BB290_548 Depth=1
	s_delay_alu instid0(SALU_CYCLE_1) | instskip(NEXT) | instid1(SALU_CYCLE_1)
	s_or_b32 exec_lo, exec_lo, s15
	s_mov_b32 s15, exec_lo
	v_cmpx_lt_u32_e32 0xffffff, v20
	s_cbranch_execz .LBB290_712
; %bb.705:                              ;   in Loop: Header=BB290_548 Depth=1
	v_lshrrev_b32_e32 v10, 24, v20
	v_bfrev_b32_e32 v22, 1
	s_mov_b32 s16, exec_lo
	s_delay_alu instid0(VALU_DEP_2)
	v_cmpx_ne_u32_e32 0x80, v10
	s_cbranch_execz .LBB290_711
; %bb.706:                              ;   in Loop: Header=BB290_548 Depth=1
	v_and_b32_e32 v25, 0x7f, v10
	v_mov_b32_e32 v22, 0x7c010000
	s_mov_b32 s17, exec_lo
	s_delay_alu instid0(VALU_DEP_2)
	v_cmpx_ne_u32_e32 0x7f, v25
	s_cbranch_execz .LBB290_710
; %bb.707:                              ;   in Loop: Header=BB290_548 Depth=1
	v_dual_lshrrev_b32 v24, 3, v25 :: v_dual_bitop2_b32 v22, 7, v10 bitop3:0x40
	s_mov_b32 s18, exec_lo
	v_cmpx_gt_u32_e32 8, v25
; %bb.708:                              ;   in Loop: Header=BB290_548 Depth=1
	s_delay_alu instid0(VALU_DEP_2) | instskip(NEXT) | instid1(VALU_DEP_1)
	v_clz_i32_u32_e32 v22, v22
	v_min_u32_e32 v22, 32, v22
	s_delay_alu instid0(VALU_DEP_1) | instskip(NEXT) | instid1(VALU_DEP_1)
	v_subrev_nc_u32_e32 v24, 28, v22
	v_lshlrev_b64_e32 v[26:27], v24, v[10:11]
	v_sub_nc_u32_e32 v24, 29, v22
	s_delay_alu instid0(VALU_DEP_2)
	v_and_b32_e32 v22, 7, v26
; %bb.709:                              ;   in Loop: Header=BB290_548 Depth=1
	s_or_b32 exec_lo, exec_lo, s18
	v_lshlrev_b32_e32 v10, 8, v10
	s_delay_alu instid0(VALU_DEP_3) | instskip(NEXT) | instid1(VALU_DEP_3)
	v_lshl_add_u32 v24, v24, 10, 0x2000
	v_lshlrev_b32_e32 v22, 23, v22
	s_delay_alu instid0(VALU_DEP_2) | instskip(NEXT) | instid1(VALU_DEP_1)
	v_and_or_b32 v10, 0x8000, v10, v24
	v_lshl_or_b32 v22, v10, 16, v22
.LBB290_710:                            ;   in Loop: Header=BB290_548 Depth=1
	s_or_b32 exec_lo, exec_lo, s17
.LBB290_711:                            ;   in Loop: Header=BB290_548 Depth=1
	s_delay_alu instid0(SALU_CYCLE_1)
	s_or_b32 exec_lo, exec_lo, s16
.LBB290_712:                            ;   in Loop: Header=BB290_548 Depth=1
	s_delay_alu instid0(SALU_CYCLE_1) | instskip(SKIP_4) | instid1(VALU_DEP_3)
	s_or_b32 exec_lo, exec_lo, s15
	v_and_b32_e32 v26, 0xff, v21
	v_dual_mov_b32 v10, v21 :: v_dual_mov_b32 v25, 0
	v_mov_b32_e32 v24, 0
	s_mov_b32 s15, exec_lo
	v_cmpx_ne_u16_e32 0, v26
	s_cbranch_execz .LBB290_720
; %bb.713:                              ;   in Loop: Header=BB290_548 Depth=1
	v_mov_b32_e32 v24, 0x8000
	s_mov_b32 s16, exec_lo
	v_cmpx_ne_u16_e32 0x80, v26
	s_cbranch_execz .LBB290_719
; %bb.714:                              ;   in Loop: Header=BB290_548 Depth=1
	v_and_b32_e32 v27, 0x7f, v21
	v_mov_b32_e32 v24, 0x7c01
	s_mov_b32 s17, exec_lo
	s_delay_alu instid0(VALU_DEP_2)
	v_cmpx_ne_u32_e32 0x7f, v27
	s_cbranch_execz .LBB290_718
; %bb.715:                              ;   in Loop: Header=BB290_548 Depth=1
	v_dual_lshrrev_b32 v26, 3, v27 :: v_dual_bitop2_b32 v24, 7, v21 bitop3:0x40
	s_mov_b32 s18, exec_lo
	v_cmpx_gt_u32_e32 8, v27
; %bb.716:                              ;   in Loop: Header=BB290_548 Depth=1
	s_delay_alu instid0(VALU_DEP_2) | instskip(NEXT) | instid1(VALU_DEP_1)
	v_clz_i32_u32_e32 v24, v24
	v_min_u32_e32 v24, 32, v24
	s_delay_alu instid0(VALU_DEP_1) | instskip(NEXT) | instid1(VALU_DEP_1)
	v_subrev_nc_u32_e32 v26, 28, v24
	v_lshlrev_b64_e32 v[52:53], v26, v[10:11]
	v_sub_nc_u32_e32 v26, 29, v24
	s_delay_alu instid0(VALU_DEP_2)
	v_and_b32_e32 v24, 7, v52
; %bb.717:                              ;   in Loop: Header=BB290_548 Depth=1
	s_or_b32 exec_lo, exec_lo, s18
	s_delay_alu instid0(VALU_DEP_1) | instskip(NEXT) | instid1(VALU_DEP_3)
	v_dual_lshlrev_b32 v27, 8, v21 :: v_dual_lshlrev_b32 v24, 7, v24
	v_lshl_add_u32 v26, v26, 10, 0x2000
	s_delay_alu instid0(VALU_DEP_2) | instskip(NEXT) | instid1(VALU_DEP_2)
	v_and_b32_e32 v27, 0x8000, v27
	v_and_b32_e32 v26, 0xfc00, v26
	s_delay_alu instid0(VALU_DEP_1)
	v_or3_b32 v24, v27, v26, v24
.LBB290_718:                            ;   in Loop: Header=BB290_548 Depth=1
	s_or_b32 exec_lo, exec_lo, s17
.LBB290_719:                            ;   in Loop: Header=BB290_548 Depth=1
	s_delay_alu instid0(SALU_CYCLE_1)
	s_or_b32 exec_lo, exec_lo, s16
.LBB290_720:                            ;   in Loop: Header=BB290_548 Depth=1
	s_delay_alu instid0(SALU_CYCLE_1) | instskip(SKIP_3) | instid1(VALU_DEP_2)
	s_or_b32 exec_lo, exec_lo, s15
	v_lshrrev_b16 v10, 8, v10
	v_mov_b32_e32 v26, 0
	s_mov_b32 s15, exec_lo
	v_cmpx_ne_u16_e32 0, v10
	s_cbranch_execz .LBB290_728
; %bb.721:                              ;   in Loop: Header=BB290_548 Depth=1
	v_bfrev_b32_e32 v26, 1
	s_mov_b32 s16, exec_lo
	v_cmpx_ne_u16_e32 0x80, v10
	s_cbranch_execz .LBB290_727
; %bb.722:                              ;   in Loop: Header=BB290_548 Depth=1
	v_and_b32_e32 v27, 0xffff, v10
	v_mov_b32_e32 v26, 0x7c010000
	s_mov_b32 s17, exec_lo
	s_delay_alu instid0(VALU_DEP_2) | instskip(NEXT) | instid1(VALU_DEP_1)
	v_and_b32_e32 v42, 0x7f, v27
	v_cmpx_ne_u32_e32 0x7f, v42
	s_cbranch_execz .LBB290_726
; %bb.723:                              ;   in Loop: Header=BB290_548 Depth=1
	v_dual_lshrrev_b32 v41, 3, v42 :: v_dual_bitop2_b32 v26, 7, v27 bitop3:0x40
	s_mov_b32 s18, exec_lo
	v_cmpx_gt_u32_e32 8, v42
; %bb.724:                              ;   in Loop: Header=BB290_548 Depth=1
	s_delay_alu instid0(VALU_DEP_2) | instskip(NEXT) | instid1(VALU_DEP_1)
	v_clz_i32_u32_e32 v26, v26
	v_min_u32_e32 v26, 32, v26
	s_delay_alu instid0(VALU_DEP_1) | instskip(NEXT) | instid1(VALU_DEP_1)
	v_subrev_nc_u32_e32 v41, 28, v26
	v_lshlrev_b64_e32 v[52:53], v41, v[10:11]
	s_delay_alu instid0(VALU_DEP_1)
	v_dual_sub_nc_u32 v41, 29, v26 :: v_dual_bitop2_b32 v26, 7, v52 bitop3:0x40
; %bb.725:                              ;   in Loop: Header=BB290_548 Depth=1
	s_or_b32 exec_lo, exec_lo, s18
	s_delay_alu instid0(VALU_DEP_1) | instskip(NEXT) | instid1(VALU_DEP_2)
	v_dual_lshlrev_b32 v10, 8, v27 :: v_dual_lshlrev_b32 v26, 23, v26
	v_lshl_add_u32 v27, v41, 10, 0x2000
	s_delay_alu instid0(VALU_DEP_1) | instskip(NEXT) | instid1(VALU_DEP_1)
	v_and_or_b32 v10, 0x8000, v10, v27
	v_lshl_or_b32 v26, v10, 16, v26
.LBB290_726:                            ;   in Loop: Header=BB290_548 Depth=1
	s_or_b32 exec_lo, exec_lo, s17
.LBB290_727:                            ;   in Loop: Header=BB290_548 Depth=1
	s_delay_alu instid0(SALU_CYCLE_1)
	s_or_b32 exec_lo, exec_lo, s16
.LBB290_728:                            ;   in Loop: Header=BB290_548 Depth=1
	s_delay_alu instid0(SALU_CYCLE_1) | instskip(SKIP_2) | instid1(VALU_DEP_1)
	s_or_b32 exec_lo, exec_lo, s15
	v_lshrrev_b32_e32 v10, 16, v21
	s_mov_b32 s15, exec_lo
	v_and_b32_e32 v27, 0xff, v10
	s_delay_alu instid0(VALU_DEP_1)
	v_cmpx_ne_u16_e32 0, v27
	s_cbranch_execz .LBB290_736
; %bb.729:                              ;   in Loop: Header=BB290_548 Depth=1
	v_mov_b32_e32 v25, 0x8000
	s_mov_b32 s16, exec_lo
	v_cmpx_ne_u16_e32 0x80, v27
	s_cbranch_execz .LBB290_735
; %bb.730:                              ;   in Loop: Header=BB290_548 Depth=1
	v_bfe_u32 v41, v21, 16, 7
	v_mov_b32_e32 v25, 0x7c01
	s_mov_b32 s17, exec_lo
	s_delay_alu instid0(VALU_DEP_2)
	v_cmpx_ne_u32_e32 0x7f, v41
	s_cbranch_execz .LBB290_734
; %bb.731:                              ;   in Loop: Header=BB290_548 Depth=1
	v_dual_lshrrev_b32 v27, 3, v41 :: v_dual_bitop2_b32 v25, 7, v10 bitop3:0x40
	s_mov_b32 s18, exec_lo
	v_cmpx_gt_u32_e32 8, v41
; %bb.732:                              ;   in Loop: Header=BB290_548 Depth=1
	s_delay_alu instid0(VALU_DEP_2) | instskip(NEXT) | instid1(VALU_DEP_1)
	v_clz_i32_u32_e32 v25, v25
	v_min_u32_e32 v25, 32, v25
	s_delay_alu instid0(VALU_DEP_1) | instskip(NEXT) | instid1(VALU_DEP_1)
	v_subrev_nc_u32_e32 v27, 28, v25
	v_lshlrev_b64_e32 v[52:53], v27, v[10:11]
	s_delay_alu instid0(VALU_DEP_1)
	v_dual_sub_nc_u32 v27, 29, v25 :: v_dual_bitop2_b32 v25, 7, v52 bitop3:0x40
; %bb.733:                              ;   in Loop: Header=BB290_548 Depth=1
	s_or_b32 exec_lo, exec_lo, s18
	s_delay_alu instid0(VALU_DEP_1) | instskip(NEXT) | instid1(VALU_DEP_2)
	v_dual_lshlrev_b32 v10, 8, v10 :: v_dual_lshlrev_b32 v25, 7, v25
	v_lshl_add_u32 v27, v27, 10, 0x2000
	s_delay_alu instid0(VALU_DEP_2) | instskip(NEXT) | instid1(VALU_DEP_2)
	v_and_b32_e32 v10, 0x8000, v10
	v_and_b32_e32 v27, 0xfc00, v27
	s_delay_alu instid0(VALU_DEP_1)
	v_or3_b32 v25, v10, v27, v25
.LBB290_734:                            ;   in Loop: Header=BB290_548 Depth=1
	s_or_b32 exec_lo, exec_lo, s17
.LBB290_735:                            ;   in Loop: Header=BB290_548 Depth=1
	s_delay_alu instid0(SALU_CYCLE_1)
	s_or_b32 exec_lo, exec_lo, s16
.LBB290_736:                            ;   in Loop: Header=BB290_548 Depth=1
	s_delay_alu instid0(SALU_CYCLE_1)
	s_or_b32 exec_lo, exec_lo, s15
	v_cmp_lt_u64_e64 s0, s[2:3], v[20:21]
	v_mov_b32_e32 v20, 0
	s_and_saveexec_b32 s15, s0
	s_cbranch_execz .LBB290_744
; %bb.737:                              ;   in Loop: Header=BB290_548 Depth=1
	v_lshrrev_b32_e32 v10, 24, v21
	v_bfrev_b32_e32 v20, 1
	s_mov_b32 s16, exec_lo
	s_delay_alu instid0(VALU_DEP_2)
	v_cmpx_ne_u32_e32 0x80, v10
	s_cbranch_execz .LBB290_743
; %bb.738:                              ;   in Loop: Header=BB290_548 Depth=1
	v_and_b32_e32 v27, 0x7f, v10
	v_mov_b32_e32 v20, 0x7c010000
	s_mov_b32 s17, exec_lo
	s_delay_alu instid0(VALU_DEP_2)
	v_cmpx_ne_u32_e32 0x7f, v27
	s_cbranch_execz .LBB290_742
; %bb.739:                              ;   in Loop: Header=BB290_548 Depth=1
	v_dual_lshrrev_b32 v21, 3, v27 :: v_dual_bitop2_b32 v20, 7, v10 bitop3:0x40
	s_mov_b32 s18, exec_lo
	v_cmpx_gt_u32_e32 8, v27
; %bb.740:                              ;   in Loop: Header=BB290_548 Depth=1
	s_delay_alu instid0(VALU_DEP_2) | instskip(NEXT) | instid1(VALU_DEP_1)
	v_clz_i32_u32_e32 v20, v20
	v_min_u32_e32 v27, 32, v20
	s_delay_alu instid0(VALU_DEP_1) | instskip(NEXT) | instid1(VALU_DEP_1)
	v_subrev_nc_u32_e32 v20, 28, v27
	v_lshlrev_b64_e32 v[20:21], v20, v[10:11]
	s_delay_alu instid0(VALU_DEP_1)
	v_dual_sub_nc_u32 v21, 29, v27 :: v_dual_bitop2_b32 v20, 7, v20 bitop3:0x40
; %bb.741:                              ;   in Loop: Header=BB290_548 Depth=1
	s_or_b32 exec_lo, exec_lo, s18
	s_delay_alu instid0(VALU_DEP_1) | instskip(NEXT) | instid1(VALU_DEP_2)
	v_dual_lshlrev_b32 v10, 8, v10 :: v_dual_lshlrev_b32 v20, 23, v20
	v_lshl_add_u32 v21, v21, 10, 0x2000
	s_delay_alu instid0(VALU_DEP_1) | instskip(NEXT) | instid1(VALU_DEP_1)
	v_and_or_b32 v10, 0x8000, v10, v21
	v_lshl_or_b32 v20, v10, 16, v20
.LBB290_742:                            ;   in Loop: Header=BB290_548 Depth=1
	s_or_b32 exec_lo, exec_lo, s17
.LBB290_743:                            ;   in Loop: Header=BB290_548 Depth=1
	s_delay_alu instid0(SALU_CYCLE_1)
	s_or_b32 exec_lo, exec_lo, s16
.LBB290_744:                            ;   in Loop: Header=BB290_548 Depth=1
	s_delay_alu instid0(SALU_CYCLE_1) | instskip(SKIP_3) | instid1(VALU_DEP_3)
	s_or_b32 exec_lo, exec_lo, s15
	v_dual_lshrrev_b32 v10, 16, v1 :: v_dual_lshrrev_b32 v21, 16, v22
	v_or_b32_e32 v1, v1, v19
	v_dual_lshrrev_b32 v27, 16, v20 :: v_dual_bitop2_b32 v19, v22, v23 bitop3:0x54
	v_cvt_f32_f16_e32 v23, v10
	s_delay_alu instid0(VALU_DEP_4) | instskip(SKIP_1) | instid1(VALU_DEP_4)
	v_cvt_f32_f16_e32 v22, v21
	v_dual_lshrrev_b32 v25, 16, v26 :: v_dual_bitop2_b32 v10, v20, v25 bitop3:0x54
	v_cvt_f32_f16_e32 v20, v19
	v_cvt_f32_f16_e32 v21, v1
	s_wait_loadcnt 0x0
	v_pk_mul_f32 v[22:23], v[18:19], v[22:23] op_sel_hi:[0,1]
	v_cvt_f32_f16_e32 v25, v25
	s_delay_alu instid0(VALU_DEP_2) | instskip(SKIP_3) | instid1(VALU_DEP_3)
	v_cvt_pk_f16_f32 v1, v22, v23
	v_or_b32_e32 v19, v26, v24
	v_cvt_f32_f16_e32 v24, v27
	v_cvt_f32_f16_e32 v26, v10
	v_pk_mul_f32 v[20:21], v[18:19], v[20:21] op_sel_hi:[0,1]
	s_delay_alu instid0(VALU_DEP_1) | instskip(SKIP_4) | instid1(VALU_DEP_3)
	v_cvt_pk_f16_f32 v10, v20, v21
	v_lshlrev_b32_e32 v20, 16, v1
	v_cvt_f32_f16_e32 v27, v19
	v_pk_mul_f32 v[22:23], v[18:19], v[24:25] op_sel_hi:[0,1]
	v_and_b32_e32 v21, 0xffff0000, v1
	v_pk_mul_f32 v[18:19], v[18:19], v[26:27] op_sel_hi:[0,1]
	s_delay_alu instid0(VALU_DEP_3) | instskip(SKIP_1) | instid1(VALU_DEP_3)
	v_cvt_pk_f16_f32 v22, v22, v23
	v_and_b32_e32 v26, 0xffff, v10
	v_cvt_pk_f16_f32 v18, v18, v19
	s_delay_alu instid0(VALU_DEP_3) | instskip(NEXT) | instid1(VALU_DEP_3)
	v_and_b32_e32 v1, 0xffff0000, v22
	v_or_b32_e32 v24, v20, v26
	s_delay_alu instid0(VALU_DEP_3) | instskip(SKIP_2) | instid1(VALU_DEP_3)
	v_lshrrev_b32_e32 v19, 16, v18
	v_lshrrev_b32_e32 v27, 16, v10
	v_and_b32_e32 v18, 0xffff, v18
	v_dual_lshlrev_b32 v10, 16, v22 :: v_dual_bitop2_b32 v23, v1, v19 bitop3:0x54
	s_delay_alu instid0(VALU_DEP_3) | instskip(NEXT) | instid1(VALU_DEP_2)
	v_or_b32_e32 v25, v21, v27
	v_or_b32_e32 v22, v10, v18
	s_and_saveexec_b32 s15, vcc_lo
	s_cbranch_execz .LBB290_746
; %bb.745:                              ;   in Loop: Header=BB290_548 Depth=1
	v_cmp_gt_i32_e64 s0, s14, v31
	s_delay_alu instid0(VALU_DEP_1) | instskip(SKIP_1) | instid1(VALU_DEP_1)
	v_cndmask_b32_e64 v22, 0, v27, s0
	v_cmp_gt_i32_e64 s0, s25, v40
	v_cndmask_b32_e64 v23, 0, v26, s0
	v_cmp_gt_i32_e64 s0, s14, v39
	s_delay_alu instid0(VALU_DEP_1) | instskip(SKIP_1) | instid1(VALU_DEP_1)
	v_cndmask_b32_e64 v21, 0, v21, s0
	v_cmp_gt_i32_e64 s0, s25, v38
	v_cndmask_b32_e64 v20, 0, v20, s0
	v_cmp_gt_i32_e64 s0, s14, v37
	s_delay_alu instid0(VALU_DEP_4) | instskip(NEXT) | instid1(VALU_DEP_3)
	v_or_b32_e32 v25, v21, v22
	v_or_b32_e32 v24, v20, v23
	s_delay_alu instid0(VALU_DEP_3) | instskip(SKIP_1) | instid1(VALU_DEP_1)
	v_cndmask_b32_e64 v19, 0, v19, s0
	v_cmp_gt_i32_e64 s0, s25, v36
	v_cndmask_b32_e64 v18, 0, v18, s0
	v_cmp_gt_i32_e64 s0, s14, v35
	s_delay_alu instid0(VALU_DEP_1) | instskip(SKIP_1) | instid1(VALU_DEP_1)
	v_cndmask_b32_e64 v1, 0, v1, s0
	v_cmp_gt_i32_e64 s0, s25, v34
	v_dual_cndmask_b32 v10, 0, v10, s0 :: v_dual_bitop2_b32 v23, v1, v19 bitop3:0x54
	s_delay_alu instid0(VALU_DEP_1)
	v_or_b32_e32 v22, v10, v18
.LBB290_746:                            ;   in Loop: Header=BB290_548 Depth=1
	s_or_b32 exec_lo, exec_lo, s15
	;;#ASMSTART
	v_pk_mul_f16 v1, v46, v25;

	;;#ASMEND
	;;#ASMSTART
	v_pk_mul_f16 v10, v45, v24;

	;;#ASMEND
	;; [unrolled: 4-line block ×4, first 2 shown]
	;;#ASMSTART
	v_pk_add_f16 v1, v1, v10;

	;;#ASMEND
	;;#ASMSTART
	v_pk_add_f16 v1, v1, v18;

	;;#ASMEND
	;; [unrolled: 4-line block ×3, first 2 shown]
	v_and_b32_e32 v10, 0xffff, v1
	v_dual_lshrrev_b32 v1, 16, v1 :: v_dual_mov_b32 v19, 0
	;;#ASMSTART
	v_cvt_f32_f16 v51, v10;
	;;#ASMEND
	;;#ASMSTART
	v_cvt_f32_f16 v52, v1;
	;;#ASMEND
	global_load_b64 v[20:21], v[16:17], off offset:768
	v_mov_b32_e32 v1, 0
	s_mov_b32 s15, exec_lo
	global_load_b32 v18, v1, s[6:7]
	s_wait_loadcnt 0x1
	v_and_b32_e32 v10, 0xff, v20
	s_wait_xcnt 0x0
	s_delay_alu instid0(VALU_DEP_1)
	v_cmpx_ne_u16_e32 0, v10
	s_cbranch_execz .LBB290_754
; %bb.747:                              ;   in Loop: Header=BB290_548 Depth=1
	v_mov_b32_e32 v19, 0x8000
	s_mov_b32 s16, exec_lo
	v_cmpx_ne_u16_e32 0x80, v10
	s_cbranch_execz .LBB290_753
; %bb.748:                              ;   in Loop: Header=BB290_548 Depth=1
	v_and_b32_e32 v22, 0x7f, v20
	v_mov_b32_e32 v19, 0x7c01
	s_mov_b32 s17, exec_lo
	s_delay_alu instid0(VALU_DEP_2)
	v_cmpx_ne_u32_e32 0x7f, v22
	s_cbranch_execz .LBB290_752
; %bb.749:                              ;   in Loop: Header=BB290_548 Depth=1
	v_dual_lshrrev_b32 v19, 3, v22 :: v_dual_bitop2_b32 v10, 7, v20 bitop3:0x40
	s_mov_b32 s18, exec_lo
	v_cmpx_gt_u32_e32 8, v22
; %bb.750:                              ;   in Loop: Header=BB290_548 Depth=1
	s_delay_alu instid0(VALU_DEP_2) | instskip(NEXT) | instid1(VALU_DEP_1)
	v_clz_i32_u32_e32 v10, v10
	v_min_u32_e32 v10, 32, v10
	s_delay_alu instid0(VALU_DEP_1) | instskip(NEXT) | instid1(VALU_DEP_1)
	v_subrev_nc_u32_e32 v19, 28, v10
	v_lshlrev_b64_e32 v[22:23], v19, v[20:21]
	v_sub_nc_u32_e32 v19, 29, v10
	s_delay_alu instid0(VALU_DEP_2)
	v_and_b32_e32 v10, 7, v22
; %bb.751:                              ;   in Loop: Header=BB290_548 Depth=1
	s_or_b32 exec_lo, exec_lo, s18
	s_delay_alu instid0(VALU_DEP_1) | instskip(NEXT) | instid1(VALU_DEP_3)
	v_dual_lshlrev_b32 v22, 8, v20 :: v_dual_lshlrev_b32 v10, 7, v10
	v_lshl_add_u32 v19, v19, 10, 0x2000
	s_delay_alu instid0(VALU_DEP_2) | instskip(NEXT) | instid1(VALU_DEP_2)
	v_and_b32_e32 v22, 0x8000, v22
	v_and_b32_e32 v19, 0xfc00, v19
	s_delay_alu instid0(VALU_DEP_1)
	v_or3_b32 v19, v22, v19, v10
.LBB290_752:                            ;   in Loop: Header=BB290_548 Depth=1
	s_or_b32 exec_lo, exec_lo, s17
.LBB290_753:                            ;   in Loop: Header=BB290_548 Depth=1
	s_delay_alu instid0(SALU_CYCLE_1)
	s_or_b32 exec_lo, exec_lo, s16
.LBB290_754:                            ;   in Loop: Header=BB290_548 Depth=1
	s_delay_alu instid0(SALU_CYCLE_1) | instskip(SKIP_2) | instid1(VALU_DEP_1)
	s_or_b32 exec_lo, exec_lo, s15
	v_lshrrev_b16 v10, 8, v20
	s_mov_b32 s15, exec_lo
	v_cmpx_ne_u16_e32 0, v10
	s_cbranch_execz .LBB290_762
; %bb.755:                              ;   in Loop: Header=BB290_548 Depth=1
	v_bfrev_b32_e32 v1, 1
	s_mov_b32 s16, exec_lo
	v_cmpx_ne_u16_e32 0x80, v10
	s_cbranch_execz .LBB290_761
; %bb.756:                              ;   in Loop: Header=BB290_548 Depth=1
	v_and_b32_e32 v22, 0xffff, v10
	v_mov_b32_e32 v1, 0x7c010000
	s_mov_b32 s17, exec_lo
	s_delay_alu instid0(VALU_DEP_2) | instskip(NEXT) | instid1(VALU_DEP_1)
	v_and_b32_e32 v24, 0x7f, v22
	v_cmpx_ne_u32_e32 0x7f, v24
	s_cbranch_execz .LBB290_760
; %bb.757:                              ;   in Loop: Header=BB290_548 Depth=1
	v_dual_lshrrev_b32 v23, 3, v24 :: v_dual_bitop2_b32 v1, 7, v22 bitop3:0x40
	s_mov_b32 s18, exec_lo
	v_cmpx_gt_u32_e32 8, v24
; %bb.758:                              ;   in Loop: Header=BB290_548 Depth=1
	s_delay_alu instid0(VALU_DEP_2) | instskip(NEXT) | instid1(VALU_DEP_1)
	v_clz_i32_u32_e32 v1, v1
	v_min_u32_e32 v1, 32, v1
	s_delay_alu instid0(VALU_DEP_1) | instskip(NEXT) | instid1(VALU_DEP_1)
	v_subrev_nc_u32_e32 v23, 28, v1
	v_lshlrev_b64_e32 v[24:25], v23, v[10:11]
	s_delay_alu instid0(VALU_DEP_1)
	v_dual_sub_nc_u32 v23, 29, v1 :: v_dual_bitop2_b32 v1, 7, v24 bitop3:0x40
; %bb.759:                              ;   in Loop: Header=BB290_548 Depth=1
	s_or_b32 exec_lo, exec_lo, s18
	s_delay_alu instid0(VALU_DEP_1) | instskip(NEXT) | instid1(VALU_DEP_2)
	v_dual_lshlrev_b32 v10, 8, v22 :: v_dual_lshlrev_b32 v1, 23, v1
	v_lshl_add_u32 v22, v23, 10, 0x2000
	s_delay_alu instid0(VALU_DEP_1) | instskip(NEXT) | instid1(VALU_DEP_1)
	v_and_or_b32 v10, 0x8000, v10, v22
	v_lshl_or_b32 v1, v10, 16, v1
.LBB290_760:                            ;   in Loop: Header=BB290_548 Depth=1
	s_or_b32 exec_lo, exec_lo, s17
.LBB290_761:                            ;   in Loop: Header=BB290_548 Depth=1
	s_delay_alu instid0(SALU_CYCLE_1)
	s_or_b32 exec_lo, exec_lo, s16
.LBB290_762:                            ;   in Loop: Header=BB290_548 Depth=1
	s_delay_alu instid0(SALU_CYCLE_1) | instskip(SKIP_3) | instid1(VALU_DEP_2)
	s_or_b32 exec_lo, exec_lo, s15
	v_dual_lshrrev_b32 v10, 16, v20 :: v_dual_mov_b32 v22, 0
	v_mov_b32_e32 v23, 0
	s_mov_b32 s15, exec_lo
	v_and_b32_e32 v24, 0xff, v10
	s_delay_alu instid0(VALU_DEP_1)
	v_cmpx_ne_u16_e32 0, v24
	s_cbranch_execz .LBB290_770
; %bb.763:                              ;   in Loop: Header=BB290_548 Depth=1
	v_mov_b32_e32 v23, 0x8000
	s_mov_b32 s16, exec_lo
	v_cmpx_ne_u16_e32 0x80, v24
	s_cbranch_execz .LBB290_769
; %bb.764:                              ;   in Loop: Header=BB290_548 Depth=1
	v_bfe_u32 v25, v20, 16, 7
	v_mov_b32_e32 v23, 0x7c01
	s_mov_b32 s17, exec_lo
	s_delay_alu instid0(VALU_DEP_2)
	v_cmpx_ne_u32_e32 0x7f, v25
	s_cbranch_execz .LBB290_768
; %bb.765:                              ;   in Loop: Header=BB290_548 Depth=1
	v_dual_lshrrev_b32 v24, 3, v25 :: v_dual_bitop2_b32 v23, 7, v10 bitop3:0x40
	s_mov_b32 s18, exec_lo
	v_cmpx_gt_u32_e32 8, v25
; %bb.766:                              ;   in Loop: Header=BB290_548 Depth=1
	s_delay_alu instid0(VALU_DEP_2) | instskip(NEXT) | instid1(VALU_DEP_1)
	v_clz_i32_u32_e32 v23, v23
	v_min_u32_e32 v23, 32, v23
	s_delay_alu instid0(VALU_DEP_1) | instskip(NEXT) | instid1(VALU_DEP_1)
	v_subrev_nc_u32_e32 v24, 28, v23
	v_lshlrev_b64_e32 v[26:27], v24, v[10:11]
	s_delay_alu instid0(VALU_DEP_1)
	v_dual_sub_nc_u32 v24, 29, v23 :: v_dual_bitop2_b32 v23, 7, v26 bitop3:0x40
; %bb.767:                              ;   in Loop: Header=BB290_548 Depth=1
	s_or_b32 exec_lo, exec_lo, s18
	s_delay_alu instid0(VALU_DEP_1) | instskip(NEXT) | instid1(VALU_DEP_2)
	v_dual_lshlrev_b32 v10, 8, v10 :: v_dual_lshlrev_b32 v23, 7, v23
	v_lshl_add_u32 v24, v24, 10, 0x2000
	s_delay_alu instid0(VALU_DEP_2) | instskip(NEXT) | instid1(VALU_DEP_2)
	v_and_b32_e32 v10, 0x8000, v10
	v_and_b32_e32 v24, 0xfc00, v24
	s_delay_alu instid0(VALU_DEP_1)
	v_or3_b32 v23, v10, v24, v23
.LBB290_768:                            ;   in Loop: Header=BB290_548 Depth=1
	s_or_b32 exec_lo, exec_lo, s17
.LBB290_769:                            ;   in Loop: Header=BB290_548 Depth=1
	s_delay_alu instid0(SALU_CYCLE_1)
	s_or_b32 exec_lo, exec_lo, s16
.LBB290_770:                            ;   in Loop: Header=BB290_548 Depth=1
	s_delay_alu instid0(SALU_CYCLE_1) | instskip(NEXT) | instid1(SALU_CYCLE_1)
	s_or_b32 exec_lo, exec_lo, s15
	s_mov_b32 s15, exec_lo
	v_cmpx_lt_u32_e32 0xffffff, v20
	s_cbranch_execz .LBB290_778
; %bb.771:                              ;   in Loop: Header=BB290_548 Depth=1
	v_lshrrev_b32_e32 v10, 24, v20
	v_bfrev_b32_e32 v22, 1
	s_mov_b32 s16, exec_lo
	s_delay_alu instid0(VALU_DEP_2)
	v_cmpx_ne_u32_e32 0x80, v10
	s_cbranch_execz .LBB290_777
; %bb.772:                              ;   in Loop: Header=BB290_548 Depth=1
	v_and_b32_e32 v25, 0x7f, v10
	v_mov_b32_e32 v22, 0x7c010000
	s_mov_b32 s17, exec_lo
	s_delay_alu instid0(VALU_DEP_2)
	v_cmpx_ne_u32_e32 0x7f, v25
	s_cbranch_execz .LBB290_776
; %bb.773:                              ;   in Loop: Header=BB290_548 Depth=1
	v_dual_lshrrev_b32 v24, 3, v25 :: v_dual_bitop2_b32 v22, 7, v10 bitop3:0x40
	s_mov_b32 s18, exec_lo
	v_cmpx_gt_u32_e32 8, v25
; %bb.774:                              ;   in Loop: Header=BB290_548 Depth=1
	s_delay_alu instid0(VALU_DEP_2) | instskip(NEXT) | instid1(VALU_DEP_1)
	v_clz_i32_u32_e32 v22, v22
	v_min_u32_e32 v22, 32, v22
	s_delay_alu instid0(VALU_DEP_1) | instskip(NEXT) | instid1(VALU_DEP_1)
	v_subrev_nc_u32_e32 v24, 28, v22
	v_lshlrev_b64_e32 v[26:27], v24, v[10:11]
	v_sub_nc_u32_e32 v24, 29, v22
	s_delay_alu instid0(VALU_DEP_2)
	v_and_b32_e32 v22, 7, v26
; %bb.775:                              ;   in Loop: Header=BB290_548 Depth=1
	s_or_b32 exec_lo, exec_lo, s18
	v_lshlrev_b32_e32 v10, 8, v10
	s_delay_alu instid0(VALU_DEP_3) | instskip(NEXT) | instid1(VALU_DEP_3)
	v_lshl_add_u32 v24, v24, 10, 0x2000
	v_lshlrev_b32_e32 v22, 23, v22
	s_delay_alu instid0(VALU_DEP_2) | instskip(NEXT) | instid1(VALU_DEP_1)
	v_and_or_b32 v10, 0x8000, v10, v24
	v_lshl_or_b32 v22, v10, 16, v22
.LBB290_776:                            ;   in Loop: Header=BB290_548 Depth=1
	s_or_b32 exec_lo, exec_lo, s17
.LBB290_777:                            ;   in Loop: Header=BB290_548 Depth=1
	s_delay_alu instid0(SALU_CYCLE_1)
	s_or_b32 exec_lo, exec_lo, s16
.LBB290_778:                            ;   in Loop: Header=BB290_548 Depth=1
	s_delay_alu instid0(SALU_CYCLE_1) | instskip(SKIP_4) | instid1(VALU_DEP_3)
	s_or_b32 exec_lo, exec_lo, s15
	v_and_b32_e32 v26, 0xff, v21
	v_dual_mov_b32 v10, v21 :: v_dual_mov_b32 v25, 0
	v_mov_b32_e32 v24, 0
	s_mov_b32 s15, exec_lo
	v_cmpx_ne_u16_e32 0, v26
	s_cbranch_execz .LBB290_786
; %bb.779:                              ;   in Loop: Header=BB290_548 Depth=1
	v_mov_b32_e32 v24, 0x8000
	s_mov_b32 s16, exec_lo
	v_cmpx_ne_u16_e32 0x80, v26
	s_cbranch_execz .LBB290_785
; %bb.780:                              ;   in Loop: Header=BB290_548 Depth=1
	v_and_b32_e32 v27, 0x7f, v21
	v_mov_b32_e32 v24, 0x7c01
	s_mov_b32 s17, exec_lo
	s_delay_alu instid0(VALU_DEP_2)
	v_cmpx_ne_u32_e32 0x7f, v27
	s_cbranch_execz .LBB290_784
; %bb.781:                              ;   in Loop: Header=BB290_548 Depth=1
	v_dual_lshrrev_b32 v26, 3, v27 :: v_dual_bitop2_b32 v24, 7, v21 bitop3:0x40
	s_mov_b32 s18, exec_lo
	v_cmpx_gt_u32_e32 8, v27
; %bb.782:                              ;   in Loop: Header=BB290_548 Depth=1
	s_delay_alu instid0(VALU_DEP_2) | instskip(NEXT) | instid1(VALU_DEP_1)
	v_clz_i32_u32_e32 v24, v24
	v_min_u32_e32 v24, 32, v24
	s_delay_alu instid0(VALU_DEP_1) | instskip(NEXT) | instid1(VALU_DEP_1)
	v_subrev_nc_u32_e32 v26, 28, v24
	v_lshlrev_b64_e32 v[54:55], v26, v[10:11]
	s_delay_alu instid0(VALU_DEP_1)
	v_dual_sub_nc_u32 v26, 29, v24 :: v_dual_bitop2_b32 v24, 7, v54 bitop3:0x40
; %bb.783:                              ;   in Loop: Header=BB290_548 Depth=1
	s_or_b32 exec_lo, exec_lo, s18
	s_delay_alu instid0(VALU_DEP_1) | instskip(NEXT) | instid1(VALU_DEP_2)
	v_dual_lshlrev_b32 v27, 8, v21 :: v_dual_lshlrev_b32 v24, 7, v24
	v_lshl_add_u32 v26, v26, 10, 0x2000
	s_delay_alu instid0(VALU_DEP_2) | instskip(NEXT) | instid1(VALU_DEP_2)
	v_and_b32_e32 v27, 0x8000, v27
	v_and_b32_e32 v26, 0xfc00, v26
	s_delay_alu instid0(VALU_DEP_1)
	v_or3_b32 v24, v27, v26, v24
.LBB290_784:                            ;   in Loop: Header=BB290_548 Depth=1
	s_or_b32 exec_lo, exec_lo, s17
.LBB290_785:                            ;   in Loop: Header=BB290_548 Depth=1
	s_delay_alu instid0(SALU_CYCLE_1)
	s_or_b32 exec_lo, exec_lo, s16
.LBB290_786:                            ;   in Loop: Header=BB290_548 Depth=1
	s_delay_alu instid0(SALU_CYCLE_1) | instskip(SKIP_3) | instid1(VALU_DEP_2)
	s_or_b32 exec_lo, exec_lo, s15
	v_lshrrev_b16 v10, 8, v10
	v_mov_b32_e32 v26, 0
	s_mov_b32 s15, exec_lo
	v_cmpx_ne_u16_e32 0, v10
	s_cbranch_execz .LBB290_794
; %bb.787:                              ;   in Loop: Header=BB290_548 Depth=1
	v_bfrev_b32_e32 v26, 1
	s_mov_b32 s16, exec_lo
	v_cmpx_ne_u16_e32 0x80, v10
	s_cbranch_execz .LBB290_793
; %bb.788:                              ;   in Loop: Header=BB290_548 Depth=1
	v_and_b32_e32 v27, 0xffff, v10
	v_mov_b32_e32 v26, 0x7c010000
	s_mov_b32 s17, exec_lo
	s_delay_alu instid0(VALU_DEP_2) | instskip(NEXT) | instid1(VALU_DEP_1)
	v_and_b32_e32 v42, 0x7f, v27
	v_cmpx_ne_u32_e32 0x7f, v42
	s_cbranch_execz .LBB290_792
; %bb.789:                              ;   in Loop: Header=BB290_548 Depth=1
	v_dual_lshrrev_b32 v41, 3, v42 :: v_dual_bitop2_b32 v26, 7, v27 bitop3:0x40
	s_mov_b32 s18, exec_lo
	v_cmpx_gt_u32_e32 8, v42
; %bb.790:                              ;   in Loop: Header=BB290_548 Depth=1
	s_delay_alu instid0(VALU_DEP_2) | instskip(NEXT) | instid1(VALU_DEP_1)
	v_clz_i32_u32_e32 v26, v26
	v_min_u32_e32 v26, 32, v26
	s_delay_alu instid0(VALU_DEP_1) | instskip(NEXT) | instid1(VALU_DEP_1)
	v_subrev_nc_u32_e32 v41, 28, v26
	v_lshlrev_b64_e32 v[54:55], v41, v[10:11]
	v_sub_nc_u32_e32 v41, 29, v26
	s_delay_alu instid0(VALU_DEP_2)
	v_and_b32_e32 v26, 7, v54
; %bb.791:                              ;   in Loop: Header=BB290_548 Depth=1
	s_or_b32 exec_lo, exec_lo, s18
	s_delay_alu instid0(VALU_DEP_1) | instskip(NEXT) | instid1(VALU_DEP_3)
	v_dual_lshlrev_b32 v10, 8, v27 :: v_dual_lshlrev_b32 v26, 23, v26
	v_lshl_add_u32 v27, v41, 10, 0x2000
	s_delay_alu instid0(VALU_DEP_1) | instskip(NEXT) | instid1(VALU_DEP_1)
	v_and_or_b32 v10, 0x8000, v10, v27
	v_lshl_or_b32 v26, v10, 16, v26
.LBB290_792:                            ;   in Loop: Header=BB290_548 Depth=1
	s_or_b32 exec_lo, exec_lo, s17
.LBB290_793:                            ;   in Loop: Header=BB290_548 Depth=1
	s_delay_alu instid0(SALU_CYCLE_1)
	s_or_b32 exec_lo, exec_lo, s16
.LBB290_794:                            ;   in Loop: Header=BB290_548 Depth=1
	s_delay_alu instid0(SALU_CYCLE_1) | instskip(SKIP_2) | instid1(VALU_DEP_1)
	s_or_b32 exec_lo, exec_lo, s15
	v_lshrrev_b32_e32 v10, 16, v21
	s_mov_b32 s15, exec_lo
	v_and_b32_e32 v27, 0xff, v10
	s_delay_alu instid0(VALU_DEP_1)
	v_cmpx_ne_u16_e32 0, v27
	s_cbranch_execz .LBB290_802
; %bb.795:                              ;   in Loop: Header=BB290_548 Depth=1
	v_mov_b32_e32 v25, 0x8000
	s_mov_b32 s16, exec_lo
	v_cmpx_ne_u16_e32 0x80, v27
	s_cbranch_execz .LBB290_801
; %bb.796:                              ;   in Loop: Header=BB290_548 Depth=1
	v_bfe_u32 v41, v21, 16, 7
	v_mov_b32_e32 v25, 0x7c01
	s_mov_b32 s17, exec_lo
	s_delay_alu instid0(VALU_DEP_2)
	v_cmpx_ne_u32_e32 0x7f, v41
	s_cbranch_execz .LBB290_800
; %bb.797:                              ;   in Loop: Header=BB290_548 Depth=1
	v_dual_lshrrev_b32 v27, 3, v41 :: v_dual_bitop2_b32 v25, 7, v10 bitop3:0x40
	s_mov_b32 s18, exec_lo
	v_cmpx_gt_u32_e32 8, v41
; %bb.798:                              ;   in Loop: Header=BB290_548 Depth=1
	s_delay_alu instid0(VALU_DEP_2) | instskip(NEXT) | instid1(VALU_DEP_1)
	v_clz_i32_u32_e32 v25, v25
	v_min_u32_e32 v25, 32, v25
	s_delay_alu instid0(VALU_DEP_1) | instskip(NEXT) | instid1(VALU_DEP_1)
	v_subrev_nc_u32_e32 v27, 28, v25
	v_lshlrev_b64_e32 v[54:55], v27, v[10:11]
	s_delay_alu instid0(VALU_DEP_1)
	v_dual_sub_nc_u32 v27, 29, v25 :: v_dual_bitop2_b32 v25, 7, v54 bitop3:0x40
; %bb.799:                              ;   in Loop: Header=BB290_548 Depth=1
	s_or_b32 exec_lo, exec_lo, s18
	s_delay_alu instid0(VALU_DEP_1) | instskip(NEXT) | instid1(VALU_DEP_2)
	v_dual_lshlrev_b32 v10, 8, v10 :: v_dual_lshlrev_b32 v25, 7, v25
	v_lshl_add_u32 v27, v27, 10, 0x2000
	s_delay_alu instid0(VALU_DEP_2) | instskip(NEXT) | instid1(VALU_DEP_2)
	v_and_b32_e32 v10, 0x8000, v10
	v_and_b32_e32 v27, 0xfc00, v27
	s_delay_alu instid0(VALU_DEP_1)
	v_or3_b32 v25, v10, v27, v25
.LBB290_800:                            ;   in Loop: Header=BB290_548 Depth=1
	s_or_b32 exec_lo, exec_lo, s17
.LBB290_801:                            ;   in Loop: Header=BB290_548 Depth=1
	s_delay_alu instid0(SALU_CYCLE_1)
	s_or_b32 exec_lo, exec_lo, s16
.LBB290_802:                            ;   in Loop: Header=BB290_548 Depth=1
	s_delay_alu instid0(SALU_CYCLE_1)
	s_or_b32 exec_lo, exec_lo, s15
	v_cmp_lt_u64_e64 s0, s[2:3], v[20:21]
	v_mov_b32_e32 v20, 0
	s_and_saveexec_b32 s15, s0
	s_cbranch_execz .LBB290_810
; %bb.803:                              ;   in Loop: Header=BB290_548 Depth=1
	v_lshrrev_b32_e32 v10, 24, v21
	v_bfrev_b32_e32 v20, 1
	s_mov_b32 s16, exec_lo
	s_delay_alu instid0(VALU_DEP_2)
	v_cmpx_ne_u32_e32 0x80, v10
	s_cbranch_execz .LBB290_809
; %bb.804:                              ;   in Loop: Header=BB290_548 Depth=1
	v_and_b32_e32 v27, 0x7f, v10
	v_mov_b32_e32 v20, 0x7c010000
	s_mov_b32 s17, exec_lo
	s_delay_alu instid0(VALU_DEP_2)
	v_cmpx_ne_u32_e32 0x7f, v27
	s_cbranch_execz .LBB290_808
; %bb.805:                              ;   in Loop: Header=BB290_548 Depth=1
	v_dual_lshrrev_b32 v21, 3, v27 :: v_dual_bitop2_b32 v20, 7, v10 bitop3:0x40
	s_mov_b32 s18, exec_lo
	v_cmpx_gt_u32_e32 8, v27
; %bb.806:                              ;   in Loop: Header=BB290_548 Depth=1
	s_delay_alu instid0(VALU_DEP_2) | instskip(NEXT) | instid1(VALU_DEP_1)
	v_clz_i32_u32_e32 v20, v20
	v_min_u32_e32 v27, 32, v20
	s_delay_alu instid0(VALU_DEP_1) | instskip(NEXT) | instid1(VALU_DEP_1)
	v_subrev_nc_u32_e32 v20, 28, v27
	v_lshlrev_b64_e32 v[20:21], v20, v[10:11]
	s_delay_alu instid0(VALU_DEP_1)
	v_dual_sub_nc_u32 v21, 29, v27 :: v_dual_bitop2_b32 v20, 7, v20 bitop3:0x40
; %bb.807:                              ;   in Loop: Header=BB290_548 Depth=1
	s_or_b32 exec_lo, exec_lo, s18
	s_delay_alu instid0(VALU_DEP_1) | instskip(NEXT) | instid1(VALU_DEP_2)
	v_dual_lshlrev_b32 v10, 8, v10 :: v_dual_lshlrev_b32 v20, 23, v20
	v_lshl_add_u32 v21, v21, 10, 0x2000
	s_delay_alu instid0(VALU_DEP_1) | instskip(NEXT) | instid1(VALU_DEP_1)
	v_and_or_b32 v10, 0x8000, v10, v21
	v_lshl_or_b32 v20, v10, 16, v20
.LBB290_808:                            ;   in Loop: Header=BB290_548 Depth=1
	s_or_b32 exec_lo, exec_lo, s17
.LBB290_809:                            ;   in Loop: Header=BB290_548 Depth=1
	s_delay_alu instid0(SALU_CYCLE_1)
	s_or_b32 exec_lo, exec_lo, s16
.LBB290_810:                            ;   in Loop: Header=BB290_548 Depth=1
	s_delay_alu instid0(SALU_CYCLE_1) | instskip(SKIP_3) | instid1(VALU_DEP_3)
	s_or_b32 exec_lo, exec_lo, s15
	v_dual_lshrrev_b32 v10, 16, v1 :: v_dual_lshrrev_b32 v21, 16, v22
	v_or_b32_e32 v1, v1, v19
	v_dual_lshrrev_b32 v27, 16, v20 :: v_dual_bitop2_b32 v19, v22, v23 bitop3:0x54
	v_cvt_f32_f16_e32 v23, v10
	s_delay_alu instid0(VALU_DEP_4) | instskip(SKIP_1) | instid1(VALU_DEP_4)
	v_cvt_f32_f16_e32 v22, v21
	v_dual_lshrrev_b32 v25, 16, v26 :: v_dual_bitop2_b32 v10, v20, v25 bitop3:0x54
	v_cvt_f32_f16_e32 v20, v19
	v_cvt_f32_f16_e32 v21, v1
	s_wait_loadcnt 0x0
	v_pk_mul_f32 v[22:23], v[18:19], v[22:23] op_sel_hi:[0,1]
	v_cvt_f32_f16_e32 v25, v25
	s_delay_alu instid0(VALU_DEP_2) | instskip(SKIP_3) | instid1(VALU_DEP_3)
	v_cvt_pk_f16_f32 v1, v22, v23
	v_or_b32_e32 v19, v26, v24
	v_cvt_f32_f16_e32 v24, v27
	v_cvt_f32_f16_e32 v26, v10
	v_pk_mul_f32 v[20:21], v[18:19], v[20:21] op_sel_hi:[0,1]
	s_delay_alu instid0(VALU_DEP_1) | instskip(SKIP_4) | instid1(VALU_DEP_3)
	v_cvt_pk_f16_f32 v10, v20, v21
	v_lshlrev_b32_e32 v20, 16, v1
	v_cvt_f32_f16_e32 v27, v19
	v_pk_mul_f32 v[22:23], v[18:19], v[24:25] op_sel_hi:[0,1]
	v_and_b32_e32 v21, 0xffff0000, v1
	v_pk_mul_f32 v[18:19], v[18:19], v[26:27] op_sel_hi:[0,1]
	s_delay_alu instid0(VALU_DEP_3) | instskip(SKIP_1) | instid1(VALU_DEP_3)
	v_cvt_pk_f16_f32 v22, v22, v23
	v_and_b32_e32 v26, 0xffff, v10
	v_cvt_pk_f16_f32 v18, v18, v19
	s_delay_alu instid0(VALU_DEP_3) | instskip(NEXT) | instid1(VALU_DEP_3)
	v_and_b32_e32 v1, 0xffff0000, v22
	v_or_b32_e32 v24, v20, v26
	s_delay_alu instid0(VALU_DEP_3) | instskip(SKIP_2) | instid1(VALU_DEP_3)
	v_lshrrev_b32_e32 v19, 16, v18
	v_lshrrev_b32_e32 v27, 16, v10
	v_and_b32_e32 v18, 0xffff, v18
	v_dual_lshlrev_b32 v10, 16, v22 :: v_dual_bitop2_b32 v23, v1, v19 bitop3:0x54
	s_delay_alu instid0(VALU_DEP_3) | instskip(NEXT) | instid1(VALU_DEP_2)
	v_or_b32_e32 v25, v21, v27
	v_or_b32_e32 v22, v10, v18
	s_and_saveexec_b32 s15, vcc_lo
	s_cbranch_execz .LBB290_812
; %bb.811:                              ;   in Loop: Header=BB290_548 Depth=1
	v_cmp_gt_i32_e64 s0, s14, v31
	s_delay_alu instid0(VALU_DEP_1) | instskip(SKIP_1) | instid1(VALU_DEP_1)
	v_cndmask_b32_e64 v22, 0, v27, s0
	v_cmp_gt_i32_e64 s0, s25, v40
	v_cndmask_b32_e64 v23, 0, v26, s0
	v_cmp_gt_i32_e64 s0, s14, v39
	s_delay_alu instid0(VALU_DEP_1) | instskip(SKIP_1) | instid1(VALU_DEP_1)
	v_cndmask_b32_e64 v21, 0, v21, s0
	v_cmp_gt_i32_e64 s0, s25, v38
	v_cndmask_b32_e64 v20, 0, v20, s0
	v_cmp_gt_i32_e64 s0, s14, v37
	s_delay_alu instid0(VALU_DEP_4) | instskip(NEXT) | instid1(VALU_DEP_3)
	v_or_b32_e32 v25, v21, v22
	v_or_b32_e32 v24, v20, v23
	s_delay_alu instid0(VALU_DEP_3) | instskip(SKIP_1) | instid1(VALU_DEP_1)
	v_cndmask_b32_e64 v19, 0, v19, s0
	v_cmp_gt_i32_e64 s0, s25, v36
	v_cndmask_b32_e64 v18, 0, v18, s0
	v_cmp_gt_i32_e64 s0, s14, v35
	s_delay_alu instid0(VALU_DEP_1) | instskip(SKIP_1) | instid1(VALU_DEP_1)
	v_cndmask_b32_e64 v1, 0, v1, s0
	v_cmp_gt_i32_e64 s0, s25, v34
	v_dual_cndmask_b32 v10, 0, v10, s0 :: v_dual_bitop2_b32 v23, v1, v19 bitop3:0x54
	s_delay_alu instid0(VALU_DEP_1)
	v_or_b32_e32 v22, v10, v18
.LBB290_812:                            ;   in Loop: Header=BB290_548 Depth=1
	s_or_b32 exec_lo, exec_lo, s15
	;;#ASMSTART
	v_pk_mul_f16 v1, v46, v25;

	;;#ASMEND
	;;#ASMSTART
	v_pk_mul_f16 v10, v45, v24;

	;;#ASMEND
	;; [unrolled: 4-line block ×4, first 2 shown]
	;;#ASMSTART
	v_pk_add_f16 v1, v1, v10;

	;;#ASMEND
	;;#ASMSTART
	v_pk_add_f16 v1, v1, v18;

	;;#ASMEND
	;; [unrolled: 4-line block ×3, first 2 shown]
	v_and_b32_e32 v10, 0xffff, v1
	v_dual_lshrrev_b32 v1, 16, v1 :: v_dual_mov_b32 v19, 0
	;;#ASMSTART
	v_cvt_f32_f16 v53, v10;
	;;#ASMEND
	;;#ASMSTART
	v_cvt_f32_f16 v54, v1;
	;;#ASMEND
	global_load_b64 v[20:21], v[16:17], off offset:1024
	v_mov_b32_e32 v1, 0
	s_mov_b32 s15, exec_lo
	global_load_b32 v18, v1, s[6:7]
	s_wait_loadcnt 0x1
	v_and_b32_e32 v10, 0xff, v20
	s_wait_xcnt 0x0
	s_delay_alu instid0(VALU_DEP_1)
	v_cmpx_ne_u16_e32 0, v10
	s_cbranch_execz .LBB290_820
; %bb.813:                              ;   in Loop: Header=BB290_548 Depth=1
	v_mov_b32_e32 v19, 0x8000
	s_mov_b32 s16, exec_lo
	v_cmpx_ne_u16_e32 0x80, v10
	s_cbranch_execz .LBB290_819
; %bb.814:                              ;   in Loop: Header=BB290_548 Depth=1
	v_and_b32_e32 v22, 0x7f, v20
	v_mov_b32_e32 v19, 0x7c01
	s_mov_b32 s17, exec_lo
	s_delay_alu instid0(VALU_DEP_2)
	v_cmpx_ne_u32_e32 0x7f, v22
	s_cbranch_execz .LBB290_818
; %bb.815:                              ;   in Loop: Header=BB290_548 Depth=1
	v_dual_lshrrev_b32 v19, 3, v22 :: v_dual_bitop2_b32 v10, 7, v20 bitop3:0x40
	s_mov_b32 s18, exec_lo
	v_cmpx_gt_u32_e32 8, v22
; %bb.816:                              ;   in Loop: Header=BB290_548 Depth=1
	s_delay_alu instid0(VALU_DEP_2) | instskip(NEXT) | instid1(VALU_DEP_1)
	v_clz_i32_u32_e32 v10, v10
	v_min_u32_e32 v10, 32, v10
	s_delay_alu instid0(VALU_DEP_1) | instskip(NEXT) | instid1(VALU_DEP_1)
	v_subrev_nc_u32_e32 v19, 28, v10
	v_lshlrev_b64_e32 v[22:23], v19, v[20:21]
	v_sub_nc_u32_e32 v19, 29, v10
	s_delay_alu instid0(VALU_DEP_2)
	v_and_b32_e32 v10, 7, v22
; %bb.817:                              ;   in Loop: Header=BB290_548 Depth=1
	s_or_b32 exec_lo, exec_lo, s18
	s_delay_alu instid0(VALU_DEP_1) | instskip(NEXT) | instid1(VALU_DEP_3)
	v_dual_lshlrev_b32 v22, 8, v20 :: v_dual_lshlrev_b32 v10, 7, v10
	v_lshl_add_u32 v19, v19, 10, 0x2000
	s_delay_alu instid0(VALU_DEP_2) | instskip(NEXT) | instid1(VALU_DEP_2)
	v_and_b32_e32 v22, 0x8000, v22
	v_and_b32_e32 v19, 0xfc00, v19
	s_delay_alu instid0(VALU_DEP_1)
	v_or3_b32 v19, v22, v19, v10
.LBB290_818:                            ;   in Loop: Header=BB290_548 Depth=1
	s_or_b32 exec_lo, exec_lo, s17
.LBB290_819:                            ;   in Loop: Header=BB290_548 Depth=1
	s_delay_alu instid0(SALU_CYCLE_1)
	s_or_b32 exec_lo, exec_lo, s16
.LBB290_820:                            ;   in Loop: Header=BB290_548 Depth=1
	s_delay_alu instid0(SALU_CYCLE_1) | instskip(SKIP_2) | instid1(VALU_DEP_1)
	s_or_b32 exec_lo, exec_lo, s15
	v_lshrrev_b16 v10, 8, v20
	s_mov_b32 s15, exec_lo
	v_cmpx_ne_u16_e32 0, v10
	s_cbranch_execz .LBB290_828
; %bb.821:                              ;   in Loop: Header=BB290_548 Depth=1
	v_bfrev_b32_e32 v1, 1
	s_mov_b32 s16, exec_lo
	v_cmpx_ne_u16_e32 0x80, v10
	s_cbranch_execz .LBB290_827
; %bb.822:                              ;   in Loop: Header=BB290_548 Depth=1
	v_and_b32_e32 v22, 0xffff, v10
	v_mov_b32_e32 v1, 0x7c010000
	s_mov_b32 s17, exec_lo
	s_delay_alu instid0(VALU_DEP_2) | instskip(NEXT) | instid1(VALU_DEP_1)
	v_and_b32_e32 v24, 0x7f, v22
	v_cmpx_ne_u32_e32 0x7f, v24
	s_cbranch_execz .LBB290_826
; %bb.823:                              ;   in Loop: Header=BB290_548 Depth=1
	v_dual_lshrrev_b32 v23, 3, v24 :: v_dual_bitop2_b32 v1, 7, v22 bitop3:0x40
	s_mov_b32 s18, exec_lo
	v_cmpx_gt_u32_e32 8, v24
; %bb.824:                              ;   in Loop: Header=BB290_548 Depth=1
	s_delay_alu instid0(VALU_DEP_2) | instskip(NEXT) | instid1(VALU_DEP_1)
	v_clz_i32_u32_e32 v1, v1
	v_min_u32_e32 v1, 32, v1
	s_delay_alu instid0(VALU_DEP_1) | instskip(NEXT) | instid1(VALU_DEP_1)
	v_subrev_nc_u32_e32 v23, 28, v1
	v_lshlrev_b64_e32 v[24:25], v23, v[10:11]
	s_delay_alu instid0(VALU_DEP_1)
	v_dual_sub_nc_u32 v23, 29, v1 :: v_dual_bitop2_b32 v1, 7, v24 bitop3:0x40
; %bb.825:                              ;   in Loop: Header=BB290_548 Depth=1
	s_or_b32 exec_lo, exec_lo, s18
	s_delay_alu instid0(VALU_DEP_1) | instskip(NEXT) | instid1(VALU_DEP_2)
	v_dual_lshlrev_b32 v10, 8, v22 :: v_dual_lshlrev_b32 v1, 23, v1
	v_lshl_add_u32 v22, v23, 10, 0x2000
	s_delay_alu instid0(VALU_DEP_1) | instskip(NEXT) | instid1(VALU_DEP_1)
	v_and_or_b32 v10, 0x8000, v10, v22
	v_lshl_or_b32 v1, v10, 16, v1
.LBB290_826:                            ;   in Loop: Header=BB290_548 Depth=1
	s_or_b32 exec_lo, exec_lo, s17
.LBB290_827:                            ;   in Loop: Header=BB290_548 Depth=1
	s_delay_alu instid0(SALU_CYCLE_1)
	s_or_b32 exec_lo, exec_lo, s16
.LBB290_828:                            ;   in Loop: Header=BB290_548 Depth=1
	s_delay_alu instid0(SALU_CYCLE_1) | instskip(SKIP_3) | instid1(VALU_DEP_2)
	s_or_b32 exec_lo, exec_lo, s15
	v_dual_lshrrev_b32 v10, 16, v20 :: v_dual_mov_b32 v22, 0
	v_mov_b32_e32 v23, 0
	s_mov_b32 s15, exec_lo
	v_and_b32_e32 v24, 0xff, v10
	s_delay_alu instid0(VALU_DEP_1)
	v_cmpx_ne_u16_e32 0, v24
	s_cbranch_execz .LBB290_836
; %bb.829:                              ;   in Loop: Header=BB290_548 Depth=1
	v_mov_b32_e32 v23, 0x8000
	s_mov_b32 s16, exec_lo
	v_cmpx_ne_u16_e32 0x80, v24
	s_cbranch_execz .LBB290_835
; %bb.830:                              ;   in Loop: Header=BB290_548 Depth=1
	v_bfe_u32 v25, v20, 16, 7
	v_mov_b32_e32 v23, 0x7c01
	s_mov_b32 s17, exec_lo
	s_delay_alu instid0(VALU_DEP_2)
	v_cmpx_ne_u32_e32 0x7f, v25
	s_cbranch_execz .LBB290_834
; %bb.831:                              ;   in Loop: Header=BB290_548 Depth=1
	v_dual_lshrrev_b32 v24, 3, v25 :: v_dual_bitop2_b32 v23, 7, v10 bitop3:0x40
	s_mov_b32 s18, exec_lo
	v_cmpx_gt_u32_e32 8, v25
; %bb.832:                              ;   in Loop: Header=BB290_548 Depth=1
	s_delay_alu instid0(VALU_DEP_2) | instskip(NEXT) | instid1(VALU_DEP_1)
	v_clz_i32_u32_e32 v23, v23
	v_min_u32_e32 v23, 32, v23
	s_delay_alu instid0(VALU_DEP_1) | instskip(NEXT) | instid1(VALU_DEP_1)
	v_subrev_nc_u32_e32 v24, 28, v23
	v_lshlrev_b64_e32 v[26:27], v24, v[10:11]
	s_delay_alu instid0(VALU_DEP_1)
	v_dual_sub_nc_u32 v24, 29, v23 :: v_dual_bitop2_b32 v23, 7, v26 bitop3:0x40
; %bb.833:                              ;   in Loop: Header=BB290_548 Depth=1
	s_or_b32 exec_lo, exec_lo, s18
	s_delay_alu instid0(VALU_DEP_1) | instskip(NEXT) | instid1(VALU_DEP_2)
	v_dual_lshlrev_b32 v10, 8, v10 :: v_dual_lshlrev_b32 v23, 7, v23
	v_lshl_add_u32 v24, v24, 10, 0x2000
	s_delay_alu instid0(VALU_DEP_2) | instskip(NEXT) | instid1(VALU_DEP_2)
	v_and_b32_e32 v10, 0x8000, v10
	v_and_b32_e32 v24, 0xfc00, v24
	s_delay_alu instid0(VALU_DEP_1)
	v_or3_b32 v23, v10, v24, v23
.LBB290_834:                            ;   in Loop: Header=BB290_548 Depth=1
	s_or_b32 exec_lo, exec_lo, s17
.LBB290_835:                            ;   in Loop: Header=BB290_548 Depth=1
	s_delay_alu instid0(SALU_CYCLE_1)
	s_or_b32 exec_lo, exec_lo, s16
.LBB290_836:                            ;   in Loop: Header=BB290_548 Depth=1
	s_delay_alu instid0(SALU_CYCLE_1) | instskip(NEXT) | instid1(SALU_CYCLE_1)
	s_or_b32 exec_lo, exec_lo, s15
	s_mov_b32 s15, exec_lo
	v_cmpx_lt_u32_e32 0xffffff, v20
	s_cbranch_execz .LBB290_844
; %bb.837:                              ;   in Loop: Header=BB290_548 Depth=1
	v_lshrrev_b32_e32 v10, 24, v20
	v_bfrev_b32_e32 v22, 1
	s_mov_b32 s16, exec_lo
	s_delay_alu instid0(VALU_DEP_2)
	v_cmpx_ne_u32_e32 0x80, v10
	s_cbranch_execz .LBB290_843
; %bb.838:                              ;   in Loop: Header=BB290_548 Depth=1
	v_and_b32_e32 v25, 0x7f, v10
	v_mov_b32_e32 v22, 0x7c010000
	s_mov_b32 s17, exec_lo
	s_delay_alu instid0(VALU_DEP_2)
	v_cmpx_ne_u32_e32 0x7f, v25
	s_cbranch_execz .LBB290_842
; %bb.839:                              ;   in Loop: Header=BB290_548 Depth=1
	v_dual_lshrrev_b32 v24, 3, v25 :: v_dual_bitop2_b32 v22, 7, v10 bitop3:0x40
	s_mov_b32 s18, exec_lo
	v_cmpx_gt_u32_e32 8, v25
; %bb.840:                              ;   in Loop: Header=BB290_548 Depth=1
	s_delay_alu instid0(VALU_DEP_2) | instskip(NEXT) | instid1(VALU_DEP_1)
	v_clz_i32_u32_e32 v22, v22
	v_min_u32_e32 v22, 32, v22
	s_delay_alu instid0(VALU_DEP_1) | instskip(NEXT) | instid1(VALU_DEP_1)
	v_subrev_nc_u32_e32 v24, 28, v22
	v_lshlrev_b64_e32 v[26:27], v24, v[10:11]
	v_sub_nc_u32_e32 v24, 29, v22
	s_delay_alu instid0(VALU_DEP_2)
	v_and_b32_e32 v22, 7, v26
; %bb.841:                              ;   in Loop: Header=BB290_548 Depth=1
	s_or_b32 exec_lo, exec_lo, s18
	v_lshlrev_b32_e32 v10, 8, v10
	s_delay_alu instid0(VALU_DEP_3) | instskip(NEXT) | instid1(VALU_DEP_3)
	v_lshl_add_u32 v24, v24, 10, 0x2000
	v_lshlrev_b32_e32 v22, 23, v22
	s_delay_alu instid0(VALU_DEP_2) | instskip(NEXT) | instid1(VALU_DEP_1)
	v_and_or_b32 v10, 0x8000, v10, v24
	v_lshl_or_b32 v22, v10, 16, v22
.LBB290_842:                            ;   in Loop: Header=BB290_548 Depth=1
	s_or_b32 exec_lo, exec_lo, s17
.LBB290_843:                            ;   in Loop: Header=BB290_548 Depth=1
	s_delay_alu instid0(SALU_CYCLE_1)
	s_or_b32 exec_lo, exec_lo, s16
.LBB290_844:                            ;   in Loop: Header=BB290_548 Depth=1
	s_delay_alu instid0(SALU_CYCLE_1) | instskip(SKIP_4) | instid1(VALU_DEP_3)
	s_or_b32 exec_lo, exec_lo, s15
	v_and_b32_e32 v26, 0xff, v21
	v_dual_mov_b32 v10, v21 :: v_dual_mov_b32 v25, 0
	v_mov_b32_e32 v24, 0
	s_mov_b32 s15, exec_lo
	v_cmpx_ne_u16_e32 0, v26
	s_cbranch_execz .LBB290_852
; %bb.845:                              ;   in Loop: Header=BB290_548 Depth=1
	v_mov_b32_e32 v24, 0x8000
	s_mov_b32 s16, exec_lo
	v_cmpx_ne_u16_e32 0x80, v26
	s_cbranch_execz .LBB290_851
; %bb.846:                              ;   in Loop: Header=BB290_548 Depth=1
	v_and_b32_e32 v27, 0x7f, v21
	v_mov_b32_e32 v24, 0x7c01
	s_mov_b32 s17, exec_lo
	s_delay_alu instid0(VALU_DEP_2)
	v_cmpx_ne_u32_e32 0x7f, v27
	s_cbranch_execz .LBB290_850
; %bb.847:                              ;   in Loop: Header=BB290_548 Depth=1
	v_dual_lshrrev_b32 v26, 3, v27 :: v_dual_bitop2_b32 v24, 7, v21 bitop3:0x40
	s_mov_b32 s18, exec_lo
	v_cmpx_gt_u32_e32 8, v27
; %bb.848:                              ;   in Loop: Header=BB290_548 Depth=1
	s_delay_alu instid0(VALU_DEP_2) | instskip(NEXT) | instid1(VALU_DEP_1)
	v_clz_i32_u32_e32 v24, v24
	v_min_u32_e32 v24, 32, v24
	s_delay_alu instid0(VALU_DEP_1) | instskip(NEXT) | instid1(VALU_DEP_1)
	v_subrev_nc_u32_e32 v26, 28, v24
	v_lshlrev_b64_e32 v[56:57], v26, v[10:11]
	v_sub_nc_u32_e32 v26, 29, v24
	s_delay_alu instid0(VALU_DEP_2)
	v_and_b32_e32 v24, 7, v56
; %bb.849:                              ;   in Loop: Header=BB290_548 Depth=1
	s_or_b32 exec_lo, exec_lo, s18
	s_delay_alu instid0(VALU_DEP_1) | instskip(NEXT) | instid1(VALU_DEP_3)
	v_dual_lshlrev_b32 v27, 8, v21 :: v_dual_lshlrev_b32 v24, 7, v24
	v_lshl_add_u32 v26, v26, 10, 0x2000
	s_delay_alu instid0(VALU_DEP_2) | instskip(NEXT) | instid1(VALU_DEP_2)
	v_and_b32_e32 v27, 0x8000, v27
	v_and_b32_e32 v26, 0xfc00, v26
	s_delay_alu instid0(VALU_DEP_1)
	v_or3_b32 v24, v27, v26, v24
.LBB290_850:                            ;   in Loop: Header=BB290_548 Depth=1
	s_or_b32 exec_lo, exec_lo, s17
.LBB290_851:                            ;   in Loop: Header=BB290_548 Depth=1
	s_delay_alu instid0(SALU_CYCLE_1)
	s_or_b32 exec_lo, exec_lo, s16
.LBB290_852:                            ;   in Loop: Header=BB290_548 Depth=1
	s_delay_alu instid0(SALU_CYCLE_1) | instskip(SKIP_3) | instid1(VALU_DEP_2)
	s_or_b32 exec_lo, exec_lo, s15
	v_lshrrev_b16 v10, 8, v10
	v_mov_b32_e32 v26, 0
	s_mov_b32 s15, exec_lo
	v_cmpx_ne_u16_e32 0, v10
	s_cbranch_execz .LBB290_860
; %bb.853:                              ;   in Loop: Header=BB290_548 Depth=1
	v_bfrev_b32_e32 v26, 1
	s_mov_b32 s16, exec_lo
	v_cmpx_ne_u16_e32 0x80, v10
	s_cbranch_execz .LBB290_859
; %bb.854:                              ;   in Loop: Header=BB290_548 Depth=1
	v_and_b32_e32 v27, 0xffff, v10
	v_mov_b32_e32 v26, 0x7c010000
	s_mov_b32 s17, exec_lo
	s_delay_alu instid0(VALU_DEP_2) | instskip(NEXT) | instid1(VALU_DEP_1)
	v_and_b32_e32 v42, 0x7f, v27
	v_cmpx_ne_u32_e32 0x7f, v42
	s_cbranch_execz .LBB290_858
; %bb.855:                              ;   in Loop: Header=BB290_548 Depth=1
	v_dual_lshrrev_b32 v41, 3, v42 :: v_dual_bitop2_b32 v26, 7, v27 bitop3:0x40
	s_mov_b32 s18, exec_lo
	v_cmpx_gt_u32_e32 8, v42
; %bb.856:                              ;   in Loop: Header=BB290_548 Depth=1
	s_delay_alu instid0(VALU_DEP_2) | instskip(NEXT) | instid1(VALU_DEP_1)
	v_clz_i32_u32_e32 v26, v26
	v_min_u32_e32 v26, 32, v26
	s_delay_alu instid0(VALU_DEP_1) | instskip(NEXT) | instid1(VALU_DEP_1)
	v_subrev_nc_u32_e32 v41, 28, v26
	v_lshlrev_b64_e32 v[56:57], v41, v[10:11]
	s_delay_alu instid0(VALU_DEP_1)
	v_dual_sub_nc_u32 v41, 29, v26 :: v_dual_bitop2_b32 v26, 7, v56 bitop3:0x40
; %bb.857:                              ;   in Loop: Header=BB290_548 Depth=1
	s_or_b32 exec_lo, exec_lo, s18
	s_delay_alu instid0(VALU_DEP_1) | instskip(NEXT) | instid1(VALU_DEP_2)
	v_dual_lshlrev_b32 v10, 8, v27 :: v_dual_lshlrev_b32 v26, 23, v26
	v_lshl_add_u32 v27, v41, 10, 0x2000
	s_delay_alu instid0(VALU_DEP_1) | instskip(NEXT) | instid1(VALU_DEP_1)
	v_and_or_b32 v10, 0x8000, v10, v27
	v_lshl_or_b32 v26, v10, 16, v26
.LBB290_858:                            ;   in Loop: Header=BB290_548 Depth=1
	s_or_b32 exec_lo, exec_lo, s17
.LBB290_859:                            ;   in Loop: Header=BB290_548 Depth=1
	s_delay_alu instid0(SALU_CYCLE_1)
	s_or_b32 exec_lo, exec_lo, s16
.LBB290_860:                            ;   in Loop: Header=BB290_548 Depth=1
	s_delay_alu instid0(SALU_CYCLE_1) | instskip(SKIP_2) | instid1(VALU_DEP_1)
	s_or_b32 exec_lo, exec_lo, s15
	v_lshrrev_b32_e32 v10, 16, v21
	s_mov_b32 s15, exec_lo
	v_and_b32_e32 v27, 0xff, v10
	s_delay_alu instid0(VALU_DEP_1)
	v_cmpx_ne_u16_e32 0, v27
	s_cbranch_execz .LBB290_868
; %bb.861:                              ;   in Loop: Header=BB290_548 Depth=1
	v_mov_b32_e32 v25, 0x8000
	s_mov_b32 s16, exec_lo
	v_cmpx_ne_u16_e32 0x80, v27
	s_cbranch_execz .LBB290_867
; %bb.862:                              ;   in Loop: Header=BB290_548 Depth=1
	v_bfe_u32 v41, v21, 16, 7
	v_mov_b32_e32 v25, 0x7c01
	s_mov_b32 s17, exec_lo
	s_delay_alu instid0(VALU_DEP_2)
	v_cmpx_ne_u32_e32 0x7f, v41
	s_cbranch_execz .LBB290_866
; %bb.863:                              ;   in Loop: Header=BB290_548 Depth=1
	v_dual_lshrrev_b32 v27, 3, v41 :: v_dual_bitop2_b32 v25, 7, v10 bitop3:0x40
	s_mov_b32 s18, exec_lo
	v_cmpx_gt_u32_e32 8, v41
; %bb.864:                              ;   in Loop: Header=BB290_548 Depth=1
	s_delay_alu instid0(VALU_DEP_2) | instskip(NEXT) | instid1(VALU_DEP_1)
	v_clz_i32_u32_e32 v25, v25
	v_min_u32_e32 v25, 32, v25
	s_delay_alu instid0(VALU_DEP_1) | instskip(NEXT) | instid1(VALU_DEP_1)
	v_subrev_nc_u32_e32 v27, 28, v25
	v_lshlrev_b64_e32 v[56:57], v27, v[10:11]
	s_delay_alu instid0(VALU_DEP_1)
	v_dual_sub_nc_u32 v27, 29, v25 :: v_dual_bitop2_b32 v25, 7, v56 bitop3:0x40
; %bb.865:                              ;   in Loop: Header=BB290_548 Depth=1
	s_or_b32 exec_lo, exec_lo, s18
	s_delay_alu instid0(VALU_DEP_1) | instskip(NEXT) | instid1(VALU_DEP_2)
	v_dual_lshlrev_b32 v10, 8, v10 :: v_dual_lshlrev_b32 v25, 7, v25
	v_lshl_add_u32 v27, v27, 10, 0x2000
	s_delay_alu instid0(VALU_DEP_2) | instskip(NEXT) | instid1(VALU_DEP_2)
	v_and_b32_e32 v10, 0x8000, v10
	v_and_b32_e32 v27, 0xfc00, v27
	s_delay_alu instid0(VALU_DEP_1)
	v_or3_b32 v25, v10, v27, v25
.LBB290_866:                            ;   in Loop: Header=BB290_548 Depth=1
	s_or_b32 exec_lo, exec_lo, s17
.LBB290_867:                            ;   in Loop: Header=BB290_548 Depth=1
	s_delay_alu instid0(SALU_CYCLE_1)
	s_or_b32 exec_lo, exec_lo, s16
.LBB290_868:                            ;   in Loop: Header=BB290_548 Depth=1
	s_delay_alu instid0(SALU_CYCLE_1)
	s_or_b32 exec_lo, exec_lo, s15
	v_cmp_lt_u64_e64 s0, s[2:3], v[20:21]
	v_mov_b32_e32 v20, 0
	s_and_saveexec_b32 s15, s0
	s_cbranch_execz .LBB290_876
; %bb.869:                              ;   in Loop: Header=BB290_548 Depth=1
	v_lshrrev_b32_e32 v10, 24, v21
	v_bfrev_b32_e32 v20, 1
	s_mov_b32 s16, exec_lo
	s_delay_alu instid0(VALU_DEP_2)
	v_cmpx_ne_u32_e32 0x80, v10
	s_cbranch_execz .LBB290_875
; %bb.870:                              ;   in Loop: Header=BB290_548 Depth=1
	v_and_b32_e32 v27, 0x7f, v10
	v_mov_b32_e32 v20, 0x7c010000
	s_mov_b32 s17, exec_lo
	s_delay_alu instid0(VALU_DEP_2)
	v_cmpx_ne_u32_e32 0x7f, v27
	s_cbranch_execz .LBB290_874
; %bb.871:                              ;   in Loop: Header=BB290_548 Depth=1
	v_dual_lshrrev_b32 v21, 3, v27 :: v_dual_bitop2_b32 v20, 7, v10 bitop3:0x40
	s_mov_b32 s18, exec_lo
	v_cmpx_gt_u32_e32 8, v27
; %bb.872:                              ;   in Loop: Header=BB290_548 Depth=1
	s_delay_alu instid0(VALU_DEP_2) | instskip(NEXT) | instid1(VALU_DEP_1)
	v_clz_i32_u32_e32 v20, v20
	v_min_u32_e32 v27, 32, v20
	s_delay_alu instid0(VALU_DEP_1) | instskip(NEXT) | instid1(VALU_DEP_1)
	v_subrev_nc_u32_e32 v20, 28, v27
	v_lshlrev_b64_e32 v[20:21], v20, v[10:11]
	s_delay_alu instid0(VALU_DEP_1)
	v_dual_sub_nc_u32 v21, 29, v27 :: v_dual_bitop2_b32 v20, 7, v20 bitop3:0x40
; %bb.873:                              ;   in Loop: Header=BB290_548 Depth=1
	s_or_b32 exec_lo, exec_lo, s18
	s_delay_alu instid0(VALU_DEP_1) | instskip(NEXT) | instid1(VALU_DEP_2)
	v_dual_lshlrev_b32 v10, 8, v10 :: v_dual_lshlrev_b32 v20, 23, v20
	v_lshl_add_u32 v21, v21, 10, 0x2000
	s_delay_alu instid0(VALU_DEP_1) | instskip(NEXT) | instid1(VALU_DEP_1)
	v_and_or_b32 v10, 0x8000, v10, v21
	v_lshl_or_b32 v20, v10, 16, v20
.LBB290_874:                            ;   in Loop: Header=BB290_548 Depth=1
	s_or_b32 exec_lo, exec_lo, s17
.LBB290_875:                            ;   in Loop: Header=BB290_548 Depth=1
	s_delay_alu instid0(SALU_CYCLE_1)
	s_or_b32 exec_lo, exec_lo, s16
.LBB290_876:                            ;   in Loop: Header=BB290_548 Depth=1
	s_delay_alu instid0(SALU_CYCLE_1) | instskip(SKIP_3) | instid1(VALU_DEP_3)
	s_or_b32 exec_lo, exec_lo, s15
	v_dual_lshrrev_b32 v10, 16, v1 :: v_dual_lshrrev_b32 v21, 16, v22
	v_or_b32_e32 v1, v1, v19
	v_dual_lshrrev_b32 v27, 16, v20 :: v_dual_bitop2_b32 v19, v22, v23 bitop3:0x54
	v_cvt_f32_f16_e32 v23, v10
	s_delay_alu instid0(VALU_DEP_4) | instskip(SKIP_1) | instid1(VALU_DEP_4)
	v_cvt_f32_f16_e32 v22, v21
	v_dual_lshrrev_b32 v25, 16, v26 :: v_dual_bitop2_b32 v10, v20, v25 bitop3:0x54
	v_cvt_f32_f16_e32 v20, v19
	v_cvt_f32_f16_e32 v21, v1
	s_wait_loadcnt 0x0
	v_pk_mul_f32 v[22:23], v[18:19], v[22:23] op_sel_hi:[0,1]
	v_cvt_f32_f16_e32 v25, v25
	s_delay_alu instid0(VALU_DEP_2) | instskip(SKIP_3) | instid1(VALU_DEP_3)
	v_cvt_pk_f16_f32 v1, v22, v23
	v_or_b32_e32 v19, v26, v24
	v_cvt_f32_f16_e32 v24, v27
	v_cvt_f32_f16_e32 v26, v10
	v_pk_mul_f32 v[20:21], v[18:19], v[20:21] op_sel_hi:[0,1]
	s_delay_alu instid0(VALU_DEP_1) | instskip(SKIP_4) | instid1(VALU_DEP_3)
	v_cvt_pk_f16_f32 v10, v20, v21
	v_lshlrev_b32_e32 v20, 16, v1
	v_cvt_f32_f16_e32 v27, v19
	v_pk_mul_f32 v[22:23], v[18:19], v[24:25] op_sel_hi:[0,1]
	v_and_b32_e32 v21, 0xffff0000, v1
	v_pk_mul_f32 v[18:19], v[18:19], v[26:27] op_sel_hi:[0,1]
	s_delay_alu instid0(VALU_DEP_3) | instskip(SKIP_1) | instid1(VALU_DEP_3)
	v_cvt_pk_f16_f32 v22, v22, v23
	v_and_b32_e32 v26, 0xffff, v10
	v_cvt_pk_f16_f32 v18, v18, v19
	s_delay_alu instid0(VALU_DEP_3) | instskip(NEXT) | instid1(VALU_DEP_3)
	v_and_b32_e32 v1, 0xffff0000, v22
	v_or_b32_e32 v24, v20, v26
	s_delay_alu instid0(VALU_DEP_3) | instskip(SKIP_2) | instid1(VALU_DEP_3)
	v_lshrrev_b32_e32 v19, 16, v18
	v_lshrrev_b32_e32 v27, 16, v10
	v_and_b32_e32 v18, 0xffff, v18
	v_dual_lshlrev_b32 v10, 16, v22 :: v_dual_bitop2_b32 v23, v1, v19 bitop3:0x54
	s_delay_alu instid0(VALU_DEP_3) | instskip(NEXT) | instid1(VALU_DEP_2)
	v_or_b32_e32 v25, v21, v27
	v_or_b32_e32 v22, v10, v18
	s_and_saveexec_b32 s15, vcc_lo
	s_cbranch_execz .LBB290_878
; %bb.877:                              ;   in Loop: Header=BB290_548 Depth=1
	v_cmp_gt_i32_e64 s0, s14, v31
	s_delay_alu instid0(VALU_DEP_1) | instskip(SKIP_1) | instid1(VALU_DEP_1)
	v_cndmask_b32_e64 v22, 0, v27, s0
	v_cmp_gt_i32_e64 s0, s25, v40
	v_cndmask_b32_e64 v23, 0, v26, s0
	v_cmp_gt_i32_e64 s0, s14, v39
	s_delay_alu instid0(VALU_DEP_1) | instskip(SKIP_1) | instid1(VALU_DEP_1)
	v_cndmask_b32_e64 v21, 0, v21, s0
	v_cmp_gt_i32_e64 s0, s25, v38
	v_cndmask_b32_e64 v20, 0, v20, s0
	v_cmp_gt_i32_e64 s0, s14, v37
	s_delay_alu instid0(VALU_DEP_4) | instskip(NEXT) | instid1(VALU_DEP_3)
	v_or_b32_e32 v25, v21, v22
	v_or_b32_e32 v24, v20, v23
	s_delay_alu instid0(VALU_DEP_3) | instskip(SKIP_1) | instid1(VALU_DEP_1)
	v_cndmask_b32_e64 v19, 0, v19, s0
	v_cmp_gt_i32_e64 s0, s25, v36
	v_cndmask_b32_e64 v18, 0, v18, s0
	v_cmp_gt_i32_e64 s0, s14, v35
	s_delay_alu instid0(VALU_DEP_1) | instskip(SKIP_1) | instid1(VALU_DEP_1)
	v_cndmask_b32_e64 v1, 0, v1, s0
	v_cmp_gt_i32_e64 s0, s25, v34
	v_dual_cndmask_b32 v10, 0, v10, s0 :: v_dual_bitop2_b32 v23, v1, v19 bitop3:0x54
	s_delay_alu instid0(VALU_DEP_1)
	v_or_b32_e32 v22, v10, v18
.LBB290_878:                            ;   in Loop: Header=BB290_548 Depth=1
	s_or_b32 exec_lo, exec_lo, s15
	;;#ASMSTART
	v_pk_mul_f16 v1, v46, v25;

	;;#ASMEND
	;;#ASMSTART
	v_pk_mul_f16 v10, v45, v24;

	;;#ASMEND
	;; [unrolled: 4-line block ×4, first 2 shown]
	;;#ASMSTART
	v_pk_add_f16 v1, v1, v10;

	;;#ASMEND
	;;#ASMSTART
	v_pk_add_f16 v1, v1, v18;

	;;#ASMEND
	;; [unrolled: 4-line block ×3, first 2 shown]
	v_and_b32_e32 v10, 0xffff, v1
	v_dual_lshrrev_b32 v1, 16, v1 :: v_dual_mov_b32 v19, 0
	;;#ASMSTART
	v_cvt_f32_f16 v55, v10;
	;;#ASMEND
	;;#ASMSTART
	v_cvt_f32_f16 v56, v1;
	;;#ASMEND
	global_load_b64 v[20:21], v[16:17], off offset:1280
	v_mov_b32_e32 v1, 0
	s_mov_b32 s15, exec_lo
	global_load_b32 v18, v1, s[6:7]
	s_wait_loadcnt 0x1
	v_and_b32_e32 v10, 0xff, v20
	s_wait_xcnt 0x0
	s_delay_alu instid0(VALU_DEP_1)
	v_cmpx_ne_u16_e32 0, v10
	s_cbranch_execz .LBB290_886
; %bb.879:                              ;   in Loop: Header=BB290_548 Depth=1
	v_mov_b32_e32 v19, 0x8000
	s_mov_b32 s16, exec_lo
	v_cmpx_ne_u16_e32 0x80, v10
	s_cbranch_execz .LBB290_885
; %bb.880:                              ;   in Loop: Header=BB290_548 Depth=1
	v_and_b32_e32 v22, 0x7f, v20
	v_mov_b32_e32 v19, 0x7c01
	s_mov_b32 s17, exec_lo
	s_delay_alu instid0(VALU_DEP_2)
	v_cmpx_ne_u32_e32 0x7f, v22
	s_cbranch_execz .LBB290_884
; %bb.881:                              ;   in Loop: Header=BB290_548 Depth=1
	v_dual_lshrrev_b32 v19, 3, v22 :: v_dual_bitop2_b32 v10, 7, v20 bitop3:0x40
	s_mov_b32 s18, exec_lo
	v_cmpx_gt_u32_e32 8, v22
; %bb.882:                              ;   in Loop: Header=BB290_548 Depth=1
	s_delay_alu instid0(VALU_DEP_2) | instskip(NEXT) | instid1(VALU_DEP_1)
	v_clz_i32_u32_e32 v10, v10
	v_min_u32_e32 v10, 32, v10
	s_delay_alu instid0(VALU_DEP_1) | instskip(NEXT) | instid1(VALU_DEP_1)
	v_subrev_nc_u32_e32 v19, 28, v10
	v_lshlrev_b64_e32 v[22:23], v19, v[20:21]
	v_sub_nc_u32_e32 v19, 29, v10
	s_delay_alu instid0(VALU_DEP_2)
	v_and_b32_e32 v10, 7, v22
; %bb.883:                              ;   in Loop: Header=BB290_548 Depth=1
	s_or_b32 exec_lo, exec_lo, s18
	s_delay_alu instid0(VALU_DEP_1) | instskip(NEXT) | instid1(VALU_DEP_3)
	v_dual_lshlrev_b32 v22, 8, v20 :: v_dual_lshlrev_b32 v10, 7, v10
	v_lshl_add_u32 v19, v19, 10, 0x2000
	s_delay_alu instid0(VALU_DEP_2) | instskip(NEXT) | instid1(VALU_DEP_2)
	v_and_b32_e32 v22, 0x8000, v22
	v_and_b32_e32 v19, 0xfc00, v19
	s_delay_alu instid0(VALU_DEP_1)
	v_or3_b32 v19, v22, v19, v10
.LBB290_884:                            ;   in Loop: Header=BB290_548 Depth=1
	s_or_b32 exec_lo, exec_lo, s17
.LBB290_885:                            ;   in Loop: Header=BB290_548 Depth=1
	s_delay_alu instid0(SALU_CYCLE_1)
	s_or_b32 exec_lo, exec_lo, s16
.LBB290_886:                            ;   in Loop: Header=BB290_548 Depth=1
	s_delay_alu instid0(SALU_CYCLE_1) | instskip(SKIP_2) | instid1(VALU_DEP_1)
	s_or_b32 exec_lo, exec_lo, s15
	v_lshrrev_b16 v10, 8, v20
	s_mov_b32 s15, exec_lo
	v_cmpx_ne_u16_e32 0, v10
	s_cbranch_execz .LBB290_894
; %bb.887:                              ;   in Loop: Header=BB290_548 Depth=1
	v_bfrev_b32_e32 v1, 1
	s_mov_b32 s16, exec_lo
	v_cmpx_ne_u16_e32 0x80, v10
	s_cbranch_execz .LBB290_893
; %bb.888:                              ;   in Loop: Header=BB290_548 Depth=1
	v_and_b32_e32 v22, 0xffff, v10
	v_mov_b32_e32 v1, 0x7c010000
	s_mov_b32 s17, exec_lo
	s_delay_alu instid0(VALU_DEP_2) | instskip(NEXT) | instid1(VALU_DEP_1)
	v_and_b32_e32 v24, 0x7f, v22
	v_cmpx_ne_u32_e32 0x7f, v24
	s_cbranch_execz .LBB290_892
; %bb.889:                              ;   in Loop: Header=BB290_548 Depth=1
	v_dual_lshrrev_b32 v23, 3, v24 :: v_dual_bitop2_b32 v1, 7, v22 bitop3:0x40
	s_mov_b32 s18, exec_lo
	v_cmpx_gt_u32_e32 8, v24
; %bb.890:                              ;   in Loop: Header=BB290_548 Depth=1
	s_delay_alu instid0(VALU_DEP_2) | instskip(NEXT) | instid1(VALU_DEP_1)
	v_clz_i32_u32_e32 v1, v1
	v_min_u32_e32 v1, 32, v1
	s_delay_alu instid0(VALU_DEP_1) | instskip(NEXT) | instid1(VALU_DEP_1)
	v_subrev_nc_u32_e32 v23, 28, v1
	v_lshlrev_b64_e32 v[24:25], v23, v[10:11]
	s_delay_alu instid0(VALU_DEP_1)
	v_dual_sub_nc_u32 v23, 29, v1 :: v_dual_bitop2_b32 v1, 7, v24 bitop3:0x40
; %bb.891:                              ;   in Loop: Header=BB290_548 Depth=1
	s_or_b32 exec_lo, exec_lo, s18
	s_delay_alu instid0(VALU_DEP_1) | instskip(NEXT) | instid1(VALU_DEP_2)
	v_dual_lshlrev_b32 v10, 8, v22 :: v_dual_lshlrev_b32 v1, 23, v1
	v_lshl_add_u32 v22, v23, 10, 0x2000
	s_delay_alu instid0(VALU_DEP_1) | instskip(NEXT) | instid1(VALU_DEP_1)
	v_and_or_b32 v10, 0x8000, v10, v22
	v_lshl_or_b32 v1, v10, 16, v1
.LBB290_892:                            ;   in Loop: Header=BB290_548 Depth=1
	s_or_b32 exec_lo, exec_lo, s17
.LBB290_893:                            ;   in Loop: Header=BB290_548 Depth=1
	s_delay_alu instid0(SALU_CYCLE_1)
	s_or_b32 exec_lo, exec_lo, s16
.LBB290_894:                            ;   in Loop: Header=BB290_548 Depth=1
	s_delay_alu instid0(SALU_CYCLE_1) | instskip(SKIP_3) | instid1(VALU_DEP_2)
	s_or_b32 exec_lo, exec_lo, s15
	v_dual_lshrrev_b32 v10, 16, v20 :: v_dual_mov_b32 v22, 0
	v_mov_b32_e32 v23, 0
	s_mov_b32 s15, exec_lo
	v_and_b32_e32 v24, 0xff, v10
	s_delay_alu instid0(VALU_DEP_1)
	v_cmpx_ne_u16_e32 0, v24
	s_cbranch_execz .LBB290_902
; %bb.895:                              ;   in Loop: Header=BB290_548 Depth=1
	v_mov_b32_e32 v23, 0x8000
	s_mov_b32 s16, exec_lo
	v_cmpx_ne_u16_e32 0x80, v24
	s_cbranch_execz .LBB290_901
; %bb.896:                              ;   in Loop: Header=BB290_548 Depth=1
	v_bfe_u32 v25, v20, 16, 7
	v_mov_b32_e32 v23, 0x7c01
	s_mov_b32 s17, exec_lo
	s_delay_alu instid0(VALU_DEP_2)
	v_cmpx_ne_u32_e32 0x7f, v25
	s_cbranch_execz .LBB290_900
; %bb.897:                              ;   in Loop: Header=BB290_548 Depth=1
	v_dual_lshrrev_b32 v24, 3, v25 :: v_dual_bitop2_b32 v23, 7, v10 bitop3:0x40
	s_mov_b32 s18, exec_lo
	v_cmpx_gt_u32_e32 8, v25
; %bb.898:                              ;   in Loop: Header=BB290_548 Depth=1
	s_delay_alu instid0(VALU_DEP_2) | instskip(NEXT) | instid1(VALU_DEP_1)
	v_clz_i32_u32_e32 v23, v23
	v_min_u32_e32 v23, 32, v23
	s_delay_alu instid0(VALU_DEP_1) | instskip(NEXT) | instid1(VALU_DEP_1)
	v_subrev_nc_u32_e32 v24, 28, v23
	v_lshlrev_b64_e32 v[26:27], v24, v[10:11]
	s_delay_alu instid0(VALU_DEP_1)
	v_dual_sub_nc_u32 v24, 29, v23 :: v_dual_bitop2_b32 v23, 7, v26 bitop3:0x40
; %bb.899:                              ;   in Loop: Header=BB290_548 Depth=1
	s_or_b32 exec_lo, exec_lo, s18
	s_delay_alu instid0(VALU_DEP_1) | instskip(NEXT) | instid1(VALU_DEP_2)
	v_dual_lshlrev_b32 v10, 8, v10 :: v_dual_lshlrev_b32 v23, 7, v23
	v_lshl_add_u32 v24, v24, 10, 0x2000
	s_delay_alu instid0(VALU_DEP_2) | instskip(NEXT) | instid1(VALU_DEP_2)
	v_and_b32_e32 v10, 0x8000, v10
	v_and_b32_e32 v24, 0xfc00, v24
	s_delay_alu instid0(VALU_DEP_1)
	v_or3_b32 v23, v10, v24, v23
.LBB290_900:                            ;   in Loop: Header=BB290_548 Depth=1
	s_or_b32 exec_lo, exec_lo, s17
.LBB290_901:                            ;   in Loop: Header=BB290_548 Depth=1
	s_delay_alu instid0(SALU_CYCLE_1)
	s_or_b32 exec_lo, exec_lo, s16
.LBB290_902:                            ;   in Loop: Header=BB290_548 Depth=1
	s_delay_alu instid0(SALU_CYCLE_1) | instskip(NEXT) | instid1(SALU_CYCLE_1)
	s_or_b32 exec_lo, exec_lo, s15
	s_mov_b32 s15, exec_lo
	v_cmpx_lt_u32_e32 0xffffff, v20
	s_cbranch_execz .LBB290_910
; %bb.903:                              ;   in Loop: Header=BB290_548 Depth=1
	v_lshrrev_b32_e32 v10, 24, v20
	v_bfrev_b32_e32 v22, 1
	s_mov_b32 s16, exec_lo
	s_delay_alu instid0(VALU_DEP_2)
	v_cmpx_ne_u32_e32 0x80, v10
	s_cbranch_execz .LBB290_909
; %bb.904:                              ;   in Loop: Header=BB290_548 Depth=1
	v_and_b32_e32 v25, 0x7f, v10
	v_mov_b32_e32 v22, 0x7c010000
	s_mov_b32 s17, exec_lo
	s_delay_alu instid0(VALU_DEP_2)
	v_cmpx_ne_u32_e32 0x7f, v25
	s_cbranch_execz .LBB290_908
; %bb.905:                              ;   in Loop: Header=BB290_548 Depth=1
	v_dual_lshrrev_b32 v24, 3, v25 :: v_dual_bitop2_b32 v22, 7, v10 bitop3:0x40
	s_mov_b32 s18, exec_lo
	v_cmpx_gt_u32_e32 8, v25
; %bb.906:                              ;   in Loop: Header=BB290_548 Depth=1
	s_delay_alu instid0(VALU_DEP_2) | instskip(NEXT) | instid1(VALU_DEP_1)
	v_clz_i32_u32_e32 v22, v22
	v_min_u32_e32 v22, 32, v22
	s_delay_alu instid0(VALU_DEP_1) | instskip(NEXT) | instid1(VALU_DEP_1)
	v_subrev_nc_u32_e32 v24, 28, v22
	v_lshlrev_b64_e32 v[26:27], v24, v[10:11]
	v_sub_nc_u32_e32 v24, 29, v22
	s_delay_alu instid0(VALU_DEP_2)
	v_and_b32_e32 v22, 7, v26
; %bb.907:                              ;   in Loop: Header=BB290_548 Depth=1
	s_or_b32 exec_lo, exec_lo, s18
	v_lshlrev_b32_e32 v10, 8, v10
	s_delay_alu instid0(VALU_DEP_3) | instskip(NEXT) | instid1(VALU_DEP_3)
	v_lshl_add_u32 v24, v24, 10, 0x2000
	v_lshlrev_b32_e32 v22, 23, v22
	s_delay_alu instid0(VALU_DEP_2) | instskip(NEXT) | instid1(VALU_DEP_1)
	v_and_or_b32 v10, 0x8000, v10, v24
	v_lshl_or_b32 v22, v10, 16, v22
.LBB290_908:                            ;   in Loop: Header=BB290_548 Depth=1
	s_or_b32 exec_lo, exec_lo, s17
.LBB290_909:                            ;   in Loop: Header=BB290_548 Depth=1
	s_delay_alu instid0(SALU_CYCLE_1)
	s_or_b32 exec_lo, exec_lo, s16
.LBB290_910:                            ;   in Loop: Header=BB290_548 Depth=1
	s_delay_alu instid0(SALU_CYCLE_1) | instskip(SKIP_4) | instid1(VALU_DEP_3)
	s_or_b32 exec_lo, exec_lo, s15
	v_and_b32_e32 v26, 0xff, v21
	v_dual_mov_b32 v10, v21 :: v_dual_mov_b32 v25, 0
	v_mov_b32_e32 v24, 0
	s_mov_b32 s15, exec_lo
	v_cmpx_ne_u16_e32 0, v26
	s_cbranch_execz .LBB290_918
; %bb.911:                              ;   in Loop: Header=BB290_548 Depth=1
	v_mov_b32_e32 v24, 0x8000
	s_mov_b32 s16, exec_lo
	v_cmpx_ne_u16_e32 0x80, v26
	s_cbranch_execz .LBB290_917
; %bb.912:                              ;   in Loop: Header=BB290_548 Depth=1
	v_and_b32_e32 v27, 0x7f, v21
	v_mov_b32_e32 v24, 0x7c01
	s_mov_b32 s17, exec_lo
	s_delay_alu instid0(VALU_DEP_2)
	v_cmpx_ne_u32_e32 0x7f, v27
	s_cbranch_execz .LBB290_916
; %bb.913:                              ;   in Loop: Header=BB290_548 Depth=1
	v_dual_lshrrev_b32 v26, 3, v27 :: v_dual_bitop2_b32 v24, 7, v21 bitop3:0x40
	s_mov_b32 s18, exec_lo
	v_cmpx_gt_u32_e32 8, v27
; %bb.914:                              ;   in Loop: Header=BB290_548 Depth=1
	s_delay_alu instid0(VALU_DEP_2) | instskip(NEXT) | instid1(VALU_DEP_1)
	v_clz_i32_u32_e32 v24, v24
	v_min_u32_e32 v24, 32, v24
	s_delay_alu instid0(VALU_DEP_1) | instskip(NEXT) | instid1(VALU_DEP_1)
	v_subrev_nc_u32_e32 v26, 28, v24
	v_lshlrev_b64_e32 v[58:59], v26, v[10:11]
	s_delay_alu instid0(VALU_DEP_1)
	v_dual_sub_nc_u32 v26, 29, v24 :: v_dual_bitop2_b32 v24, 7, v58 bitop3:0x40
; %bb.915:                              ;   in Loop: Header=BB290_548 Depth=1
	s_or_b32 exec_lo, exec_lo, s18
	s_delay_alu instid0(VALU_DEP_1) | instskip(NEXT) | instid1(VALU_DEP_2)
	v_dual_lshlrev_b32 v27, 8, v21 :: v_dual_lshlrev_b32 v24, 7, v24
	v_lshl_add_u32 v26, v26, 10, 0x2000
	s_delay_alu instid0(VALU_DEP_2) | instskip(NEXT) | instid1(VALU_DEP_2)
	v_and_b32_e32 v27, 0x8000, v27
	v_and_b32_e32 v26, 0xfc00, v26
	s_delay_alu instid0(VALU_DEP_1)
	v_or3_b32 v24, v27, v26, v24
.LBB290_916:                            ;   in Loop: Header=BB290_548 Depth=1
	s_or_b32 exec_lo, exec_lo, s17
.LBB290_917:                            ;   in Loop: Header=BB290_548 Depth=1
	s_delay_alu instid0(SALU_CYCLE_1)
	s_or_b32 exec_lo, exec_lo, s16
.LBB290_918:                            ;   in Loop: Header=BB290_548 Depth=1
	s_delay_alu instid0(SALU_CYCLE_1) | instskip(SKIP_3) | instid1(VALU_DEP_2)
	s_or_b32 exec_lo, exec_lo, s15
	v_lshrrev_b16 v10, 8, v10
	v_mov_b32_e32 v26, 0
	s_mov_b32 s15, exec_lo
	v_cmpx_ne_u16_e32 0, v10
	s_cbranch_execz .LBB290_926
; %bb.919:                              ;   in Loop: Header=BB290_548 Depth=1
	v_bfrev_b32_e32 v26, 1
	s_mov_b32 s16, exec_lo
	v_cmpx_ne_u16_e32 0x80, v10
	s_cbranch_execz .LBB290_925
; %bb.920:                              ;   in Loop: Header=BB290_548 Depth=1
	v_and_b32_e32 v27, 0xffff, v10
	v_mov_b32_e32 v26, 0x7c010000
	s_mov_b32 s17, exec_lo
	s_delay_alu instid0(VALU_DEP_2) | instskip(NEXT) | instid1(VALU_DEP_1)
	v_and_b32_e32 v42, 0x7f, v27
	v_cmpx_ne_u32_e32 0x7f, v42
	s_cbranch_execz .LBB290_924
; %bb.921:                              ;   in Loop: Header=BB290_548 Depth=1
	v_dual_lshrrev_b32 v41, 3, v42 :: v_dual_bitop2_b32 v26, 7, v27 bitop3:0x40
	s_mov_b32 s18, exec_lo
	v_cmpx_gt_u32_e32 8, v42
; %bb.922:                              ;   in Loop: Header=BB290_548 Depth=1
	s_delay_alu instid0(VALU_DEP_2) | instskip(NEXT) | instid1(VALU_DEP_1)
	v_clz_i32_u32_e32 v26, v26
	v_min_u32_e32 v26, 32, v26
	s_delay_alu instid0(VALU_DEP_1) | instskip(NEXT) | instid1(VALU_DEP_1)
	v_subrev_nc_u32_e32 v41, 28, v26
	v_lshlrev_b64_e32 v[58:59], v41, v[10:11]
	v_sub_nc_u32_e32 v41, 29, v26
	s_delay_alu instid0(VALU_DEP_2)
	v_and_b32_e32 v26, 7, v58
; %bb.923:                              ;   in Loop: Header=BB290_548 Depth=1
	s_or_b32 exec_lo, exec_lo, s18
	s_delay_alu instid0(VALU_DEP_1) | instskip(NEXT) | instid1(VALU_DEP_3)
	v_dual_lshlrev_b32 v10, 8, v27 :: v_dual_lshlrev_b32 v26, 23, v26
	v_lshl_add_u32 v27, v41, 10, 0x2000
	s_delay_alu instid0(VALU_DEP_1) | instskip(NEXT) | instid1(VALU_DEP_1)
	v_and_or_b32 v10, 0x8000, v10, v27
	v_lshl_or_b32 v26, v10, 16, v26
.LBB290_924:                            ;   in Loop: Header=BB290_548 Depth=1
	s_or_b32 exec_lo, exec_lo, s17
.LBB290_925:                            ;   in Loop: Header=BB290_548 Depth=1
	s_delay_alu instid0(SALU_CYCLE_1)
	s_or_b32 exec_lo, exec_lo, s16
.LBB290_926:                            ;   in Loop: Header=BB290_548 Depth=1
	s_delay_alu instid0(SALU_CYCLE_1) | instskip(SKIP_2) | instid1(VALU_DEP_1)
	s_or_b32 exec_lo, exec_lo, s15
	v_lshrrev_b32_e32 v10, 16, v21
	s_mov_b32 s15, exec_lo
	v_and_b32_e32 v27, 0xff, v10
	s_delay_alu instid0(VALU_DEP_1)
	v_cmpx_ne_u16_e32 0, v27
	s_cbranch_execz .LBB290_934
; %bb.927:                              ;   in Loop: Header=BB290_548 Depth=1
	v_mov_b32_e32 v25, 0x8000
	s_mov_b32 s16, exec_lo
	v_cmpx_ne_u16_e32 0x80, v27
	s_cbranch_execz .LBB290_933
; %bb.928:                              ;   in Loop: Header=BB290_548 Depth=1
	v_bfe_u32 v41, v21, 16, 7
	v_mov_b32_e32 v25, 0x7c01
	s_mov_b32 s17, exec_lo
	s_delay_alu instid0(VALU_DEP_2)
	v_cmpx_ne_u32_e32 0x7f, v41
	s_cbranch_execz .LBB290_932
; %bb.929:                              ;   in Loop: Header=BB290_548 Depth=1
	v_dual_lshrrev_b32 v27, 3, v41 :: v_dual_bitop2_b32 v25, 7, v10 bitop3:0x40
	s_mov_b32 s18, exec_lo
	v_cmpx_gt_u32_e32 8, v41
; %bb.930:                              ;   in Loop: Header=BB290_548 Depth=1
	s_delay_alu instid0(VALU_DEP_2) | instskip(NEXT) | instid1(VALU_DEP_1)
	v_clz_i32_u32_e32 v25, v25
	v_min_u32_e32 v25, 32, v25
	s_delay_alu instid0(VALU_DEP_1) | instskip(NEXT) | instid1(VALU_DEP_1)
	v_subrev_nc_u32_e32 v27, 28, v25
	v_lshlrev_b64_e32 v[58:59], v27, v[10:11]
	s_delay_alu instid0(VALU_DEP_1)
	v_dual_sub_nc_u32 v27, 29, v25 :: v_dual_bitop2_b32 v25, 7, v58 bitop3:0x40
; %bb.931:                              ;   in Loop: Header=BB290_548 Depth=1
	s_or_b32 exec_lo, exec_lo, s18
	s_delay_alu instid0(VALU_DEP_1) | instskip(NEXT) | instid1(VALU_DEP_2)
	v_dual_lshlrev_b32 v10, 8, v10 :: v_dual_lshlrev_b32 v25, 7, v25
	v_lshl_add_u32 v27, v27, 10, 0x2000
	s_delay_alu instid0(VALU_DEP_2) | instskip(NEXT) | instid1(VALU_DEP_2)
	v_and_b32_e32 v10, 0x8000, v10
	v_and_b32_e32 v27, 0xfc00, v27
	s_delay_alu instid0(VALU_DEP_1)
	v_or3_b32 v25, v10, v27, v25
.LBB290_932:                            ;   in Loop: Header=BB290_548 Depth=1
	s_or_b32 exec_lo, exec_lo, s17
.LBB290_933:                            ;   in Loop: Header=BB290_548 Depth=1
	s_delay_alu instid0(SALU_CYCLE_1)
	s_or_b32 exec_lo, exec_lo, s16
.LBB290_934:                            ;   in Loop: Header=BB290_548 Depth=1
	s_delay_alu instid0(SALU_CYCLE_1)
	s_or_b32 exec_lo, exec_lo, s15
	v_cmp_lt_u64_e64 s0, s[2:3], v[20:21]
	v_mov_b32_e32 v20, 0
	s_and_saveexec_b32 s15, s0
	s_cbranch_execz .LBB290_942
; %bb.935:                              ;   in Loop: Header=BB290_548 Depth=1
	v_lshrrev_b32_e32 v10, 24, v21
	v_bfrev_b32_e32 v20, 1
	s_mov_b32 s16, exec_lo
	s_delay_alu instid0(VALU_DEP_2)
	v_cmpx_ne_u32_e32 0x80, v10
	s_cbranch_execz .LBB290_941
; %bb.936:                              ;   in Loop: Header=BB290_548 Depth=1
	v_and_b32_e32 v27, 0x7f, v10
	v_mov_b32_e32 v20, 0x7c010000
	s_mov_b32 s17, exec_lo
	s_delay_alu instid0(VALU_DEP_2)
	v_cmpx_ne_u32_e32 0x7f, v27
	s_cbranch_execz .LBB290_940
; %bb.937:                              ;   in Loop: Header=BB290_548 Depth=1
	v_dual_lshrrev_b32 v21, 3, v27 :: v_dual_bitop2_b32 v20, 7, v10 bitop3:0x40
	s_mov_b32 s18, exec_lo
	v_cmpx_gt_u32_e32 8, v27
; %bb.938:                              ;   in Loop: Header=BB290_548 Depth=1
	s_delay_alu instid0(VALU_DEP_2) | instskip(NEXT) | instid1(VALU_DEP_1)
	v_clz_i32_u32_e32 v20, v20
	v_min_u32_e32 v27, 32, v20
	s_delay_alu instid0(VALU_DEP_1) | instskip(NEXT) | instid1(VALU_DEP_1)
	v_subrev_nc_u32_e32 v20, 28, v27
	v_lshlrev_b64_e32 v[20:21], v20, v[10:11]
	s_delay_alu instid0(VALU_DEP_1)
	v_dual_sub_nc_u32 v21, 29, v27 :: v_dual_bitop2_b32 v20, 7, v20 bitop3:0x40
; %bb.939:                              ;   in Loop: Header=BB290_548 Depth=1
	s_or_b32 exec_lo, exec_lo, s18
	s_delay_alu instid0(VALU_DEP_1) | instskip(NEXT) | instid1(VALU_DEP_2)
	v_dual_lshlrev_b32 v10, 8, v10 :: v_dual_lshlrev_b32 v20, 23, v20
	v_lshl_add_u32 v21, v21, 10, 0x2000
	s_delay_alu instid0(VALU_DEP_1) | instskip(NEXT) | instid1(VALU_DEP_1)
	v_and_or_b32 v10, 0x8000, v10, v21
	v_lshl_or_b32 v20, v10, 16, v20
.LBB290_940:                            ;   in Loop: Header=BB290_548 Depth=1
	s_or_b32 exec_lo, exec_lo, s17
.LBB290_941:                            ;   in Loop: Header=BB290_548 Depth=1
	s_delay_alu instid0(SALU_CYCLE_1)
	s_or_b32 exec_lo, exec_lo, s16
.LBB290_942:                            ;   in Loop: Header=BB290_548 Depth=1
	s_delay_alu instid0(SALU_CYCLE_1) | instskip(SKIP_3) | instid1(VALU_DEP_3)
	s_or_b32 exec_lo, exec_lo, s15
	v_dual_lshrrev_b32 v10, 16, v1 :: v_dual_lshrrev_b32 v21, 16, v22
	v_or_b32_e32 v1, v1, v19
	v_dual_lshrrev_b32 v27, 16, v20 :: v_dual_bitop2_b32 v19, v22, v23 bitop3:0x54
	v_cvt_f32_f16_e32 v23, v10
	s_delay_alu instid0(VALU_DEP_4) | instskip(SKIP_1) | instid1(VALU_DEP_4)
	v_cvt_f32_f16_e32 v22, v21
	v_dual_lshrrev_b32 v25, 16, v26 :: v_dual_bitop2_b32 v10, v20, v25 bitop3:0x54
	v_cvt_f32_f16_e32 v20, v19
	v_cvt_f32_f16_e32 v21, v1
	s_wait_loadcnt 0x0
	v_pk_mul_f32 v[22:23], v[18:19], v[22:23] op_sel_hi:[0,1]
	v_cvt_f32_f16_e32 v25, v25
	s_delay_alu instid0(VALU_DEP_2) | instskip(SKIP_3) | instid1(VALU_DEP_3)
	v_cvt_pk_f16_f32 v1, v22, v23
	v_or_b32_e32 v19, v26, v24
	v_cvt_f32_f16_e32 v24, v27
	v_cvt_f32_f16_e32 v26, v10
	v_pk_mul_f32 v[20:21], v[18:19], v[20:21] op_sel_hi:[0,1]
	s_delay_alu instid0(VALU_DEP_1) | instskip(SKIP_4) | instid1(VALU_DEP_3)
	v_cvt_pk_f16_f32 v10, v20, v21
	v_lshlrev_b32_e32 v20, 16, v1
	v_cvt_f32_f16_e32 v27, v19
	v_pk_mul_f32 v[22:23], v[18:19], v[24:25] op_sel_hi:[0,1]
	v_and_b32_e32 v21, 0xffff0000, v1
	v_pk_mul_f32 v[18:19], v[18:19], v[26:27] op_sel_hi:[0,1]
	s_delay_alu instid0(VALU_DEP_3) | instskip(SKIP_1) | instid1(VALU_DEP_3)
	v_cvt_pk_f16_f32 v22, v22, v23
	v_and_b32_e32 v26, 0xffff, v10
	v_cvt_pk_f16_f32 v18, v18, v19
	s_delay_alu instid0(VALU_DEP_3) | instskip(NEXT) | instid1(VALU_DEP_3)
	v_and_b32_e32 v1, 0xffff0000, v22
	v_or_b32_e32 v24, v20, v26
	s_delay_alu instid0(VALU_DEP_3) | instskip(SKIP_2) | instid1(VALU_DEP_3)
	v_lshrrev_b32_e32 v19, 16, v18
	v_lshrrev_b32_e32 v27, 16, v10
	v_and_b32_e32 v18, 0xffff, v18
	v_dual_lshlrev_b32 v10, 16, v22 :: v_dual_bitop2_b32 v23, v1, v19 bitop3:0x54
	s_delay_alu instid0(VALU_DEP_3) | instskip(NEXT) | instid1(VALU_DEP_2)
	v_or_b32_e32 v25, v21, v27
	v_or_b32_e32 v22, v10, v18
	s_and_saveexec_b32 s15, vcc_lo
	s_cbranch_execz .LBB290_944
; %bb.943:                              ;   in Loop: Header=BB290_548 Depth=1
	v_cmp_gt_i32_e64 s0, s14, v31
	s_delay_alu instid0(VALU_DEP_1) | instskip(SKIP_1) | instid1(VALU_DEP_1)
	v_cndmask_b32_e64 v22, 0, v27, s0
	v_cmp_gt_i32_e64 s0, s25, v40
	v_cndmask_b32_e64 v23, 0, v26, s0
	v_cmp_gt_i32_e64 s0, s14, v39
	s_delay_alu instid0(VALU_DEP_1) | instskip(SKIP_1) | instid1(VALU_DEP_1)
	v_cndmask_b32_e64 v21, 0, v21, s0
	v_cmp_gt_i32_e64 s0, s25, v38
	v_cndmask_b32_e64 v20, 0, v20, s0
	v_cmp_gt_i32_e64 s0, s14, v37
	s_delay_alu instid0(VALU_DEP_4) | instskip(NEXT) | instid1(VALU_DEP_3)
	v_or_b32_e32 v25, v21, v22
	v_or_b32_e32 v24, v20, v23
	s_delay_alu instid0(VALU_DEP_3) | instskip(SKIP_1) | instid1(VALU_DEP_1)
	v_cndmask_b32_e64 v19, 0, v19, s0
	v_cmp_gt_i32_e64 s0, s25, v36
	v_cndmask_b32_e64 v18, 0, v18, s0
	v_cmp_gt_i32_e64 s0, s14, v35
	s_delay_alu instid0(VALU_DEP_1) | instskip(SKIP_1) | instid1(VALU_DEP_1)
	v_cndmask_b32_e64 v1, 0, v1, s0
	v_cmp_gt_i32_e64 s0, s25, v34
	v_dual_cndmask_b32 v10, 0, v10, s0 :: v_dual_bitop2_b32 v23, v1, v19 bitop3:0x54
	s_delay_alu instid0(VALU_DEP_1)
	v_or_b32_e32 v22, v10, v18
.LBB290_944:                            ;   in Loop: Header=BB290_548 Depth=1
	s_or_b32 exec_lo, exec_lo, s15
	;;#ASMSTART
	v_pk_mul_f16 v1, v46, v25;

	;;#ASMEND
	;;#ASMSTART
	v_pk_mul_f16 v10, v45, v24;

	;;#ASMEND
	;;#ASMSTART
	v_pk_mul_f16 v18, v44, v23;

	;;#ASMEND
	;;#ASMSTART
	v_pk_mul_f16 v19, v43, v22;

	;;#ASMEND
	;;#ASMSTART
	v_pk_add_f16 v1, v1, v10;

	;;#ASMEND
	;;#ASMSTART
	v_pk_add_f16 v1, v1, v18;

	;;#ASMEND
	;; [unrolled: 4-line block ×3, first 2 shown]
	v_and_b32_e32 v10, 0xffff, v1
	v_dual_lshrrev_b32 v1, 16, v1 :: v_dual_mov_b32 v19, 0
	;;#ASMSTART
	v_cvt_f32_f16 v57, v10;
	;;#ASMEND
	;;#ASMSTART
	v_cvt_f32_f16 v58, v1;
	;;#ASMEND
	global_load_b64 v[20:21], v[16:17], off offset:1536
	v_mov_b32_e32 v1, 0
	s_mov_b32 s15, exec_lo
	global_load_b32 v18, v1, s[6:7]
	s_wait_loadcnt 0x1
	v_and_b32_e32 v10, 0xff, v20
	s_wait_xcnt 0x0
	s_delay_alu instid0(VALU_DEP_1)
	v_cmpx_ne_u16_e32 0, v10
	s_cbranch_execz .LBB290_952
; %bb.945:                              ;   in Loop: Header=BB290_548 Depth=1
	v_mov_b32_e32 v19, 0x8000
	s_mov_b32 s16, exec_lo
	v_cmpx_ne_u16_e32 0x80, v10
	s_cbranch_execz .LBB290_951
; %bb.946:                              ;   in Loop: Header=BB290_548 Depth=1
	v_and_b32_e32 v22, 0x7f, v20
	v_mov_b32_e32 v19, 0x7c01
	s_mov_b32 s17, exec_lo
	s_delay_alu instid0(VALU_DEP_2)
	v_cmpx_ne_u32_e32 0x7f, v22
	s_cbranch_execz .LBB290_950
; %bb.947:                              ;   in Loop: Header=BB290_548 Depth=1
	v_dual_lshrrev_b32 v19, 3, v22 :: v_dual_bitop2_b32 v10, 7, v20 bitop3:0x40
	s_mov_b32 s18, exec_lo
	v_cmpx_gt_u32_e32 8, v22
; %bb.948:                              ;   in Loop: Header=BB290_548 Depth=1
	s_delay_alu instid0(VALU_DEP_2) | instskip(NEXT) | instid1(VALU_DEP_1)
	v_clz_i32_u32_e32 v10, v10
	v_min_u32_e32 v10, 32, v10
	s_delay_alu instid0(VALU_DEP_1) | instskip(NEXT) | instid1(VALU_DEP_1)
	v_subrev_nc_u32_e32 v19, 28, v10
	v_lshlrev_b64_e32 v[22:23], v19, v[20:21]
	v_sub_nc_u32_e32 v19, 29, v10
	s_delay_alu instid0(VALU_DEP_2)
	v_and_b32_e32 v10, 7, v22
; %bb.949:                              ;   in Loop: Header=BB290_548 Depth=1
	s_or_b32 exec_lo, exec_lo, s18
	s_delay_alu instid0(VALU_DEP_1) | instskip(NEXT) | instid1(VALU_DEP_3)
	v_dual_lshlrev_b32 v22, 8, v20 :: v_dual_lshlrev_b32 v10, 7, v10
	v_lshl_add_u32 v19, v19, 10, 0x2000
	s_delay_alu instid0(VALU_DEP_2) | instskip(NEXT) | instid1(VALU_DEP_2)
	v_and_b32_e32 v22, 0x8000, v22
	v_and_b32_e32 v19, 0xfc00, v19
	s_delay_alu instid0(VALU_DEP_1)
	v_or3_b32 v19, v22, v19, v10
.LBB290_950:                            ;   in Loop: Header=BB290_548 Depth=1
	s_or_b32 exec_lo, exec_lo, s17
.LBB290_951:                            ;   in Loop: Header=BB290_548 Depth=1
	s_delay_alu instid0(SALU_CYCLE_1)
	s_or_b32 exec_lo, exec_lo, s16
.LBB290_952:                            ;   in Loop: Header=BB290_548 Depth=1
	s_delay_alu instid0(SALU_CYCLE_1) | instskip(SKIP_2) | instid1(VALU_DEP_1)
	s_or_b32 exec_lo, exec_lo, s15
	v_lshrrev_b16 v10, 8, v20
	s_mov_b32 s15, exec_lo
	v_cmpx_ne_u16_e32 0, v10
	s_cbranch_execz .LBB290_960
; %bb.953:                              ;   in Loop: Header=BB290_548 Depth=1
	v_bfrev_b32_e32 v1, 1
	s_mov_b32 s16, exec_lo
	v_cmpx_ne_u16_e32 0x80, v10
	s_cbranch_execz .LBB290_959
; %bb.954:                              ;   in Loop: Header=BB290_548 Depth=1
	v_and_b32_e32 v22, 0xffff, v10
	v_mov_b32_e32 v1, 0x7c010000
	s_mov_b32 s17, exec_lo
	s_delay_alu instid0(VALU_DEP_2) | instskip(NEXT) | instid1(VALU_DEP_1)
	v_and_b32_e32 v24, 0x7f, v22
	v_cmpx_ne_u32_e32 0x7f, v24
	s_cbranch_execz .LBB290_958
; %bb.955:                              ;   in Loop: Header=BB290_548 Depth=1
	v_dual_lshrrev_b32 v23, 3, v24 :: v_dual_bitop2_b32 v1, 7, v22 bitop3:0x40
	s_mov_b32 s18, exec_lo
	v_cmpx_gt_u32_e32 8, v24
; %bb.956:                              ;   in Loop: Header=BB290_548 Depth=1
	s_delay_alu instid0(VALU_DEP_2) | instskip(NEXT) | instid1(VALU_DEP_1)
	v_clz_i32_u32_e32 v1, v1
	v_min_u32_e32 v1, 32, v1
	s_delay_alu instid0(VALU_DEP_1) | instskip(NEXT) | instid1(VALU_DEP_1)
	v_subrev_nc_u32_e32 v23, 28, v1
	v_lshlrev_b64_e32 v[24:25], v23, v[10:11]
	s_delay_alu instid0(VALU_DEP_1)
	v_dual_sub_nc_u32 v23, 29, v1 :: v_dual_bitop2_b32 v1, 7, v24 bitop3:0x40
; %bb.957:                              ;   in Loop: Header=BB290_548 Depth=1
	s_or_b32 exec_lo, exec_lo, s18
	s_delay_alu instid0(VALU_DEP_1) | instskip(NEXT) | instid1(VALU_DEP_2)
	v_dual_lshlrev_b32 v10, 8, v22 :: v_dual_lshlrev_b32 v1, 23, v1
	v_lshl_add_u32 v22, v23, 10, 0x2000
	s_delay_alu instid0(VALU_DEP_1) | instskip(NEXT) | instid1(VALU_DEP_1)
	v_and_or_b32 v10, 0x8000, v10, v22
	v_lshl_or_b32 v1, v10, 16, v1
.LBB290_958:                            ;   in Loop: Header=BB290_548 Depth=1
	s_or_b32 exec_lo, exec_lo, s17
.LBB290_959:                            ;   in Loop: Header=BB290_548 Depth=1
	s_delay_alu instid0(SALU_CYCLE_1)
	s_or_b32 exec_lo, exec_lo, s16
.LBB290_960:                            ;   in Loop: Header=BB290_548 Depth=1
	s_delay_alu instid0(SALU_CYCLE_1) | instskip(SKIP_3) | instid1(VALU_DEP_2)
	s_or_b32 exec_lo, exec_lo, s15
	v_dual_lshrrev_b32 v10, 16, v20 :: v_dual_mov_b32 v22, 0
	v_mov_b32_e32 v23, 0
	s_mov_b32 s15, exec_lo
	v_and_b32_e32 v24, 0xff, v10
	s_delay_alu instid0(VALU_DEP_1)
	v_cmpx_ne_u16_e32 0, v24
	s_cbranch_execz .LBB290_968
; %bb.961:                              ;   in Loop: Header=BB290_548 Depth=1
	v_mov_b32_e32 v23, 0x8000
	s_mov_b32 s16, exec_lo
	v_cmpx_ne_u16_e32 0x80, v24
	s_cbranch_execz .LBB290_967
; %bb.962:                              ;   in Loop: Header=BB290_548 Depth=1
	v_bfe_u32 v25, v20, 16, 7
	v_mov_b32_e32 v23, 0x7c01
	s_mov_b32 s17, exec_lo
	s_delay_alu instid0(VALU_DEP_2)
	v_cmpx_ne_u32_e32 0x7f, v25
	s_cbranch_execz .LBB290_966
; %bb.963:                              ;   in Loop: Header=BB290_548 Depth=1
	v_dual_lshrrev_b32 v24, 3, v25 :: v_dual_bitop2_b32 v23, 7, v10 bitop3:0x40
	s_mov_b32 s18, exec_lo
	v_cmpx_gt_u32_e32 8, v25
; %bb.964:                              ;   in Loop: Header=BB290_548 Depth=1
	s_delay_alu instid0(VALU_DEP_2) | instskip(NEXT) | instid1(VALU_DEP_1)
	v_clz_i32_u32_e32 v23, v23
	v_min_u32_e32 v23, 32, v23
	s_delay_alu instid0(VALU_DEP_1) | instskip(NEXT) | instid1(VALU_DEP_1)
	v_subrev_nc_u32_e32 v24, 28, v23
	v_lshlrev_b64_e32 v[26:27], v24, v[10:11]
	s_delay_alu instid0(VALU_DEP_1)
	v_dual_sub_nc_u32 v24, 29, v23 :: v_dual_bitop2_b32 v23, 7, v26 bitop3:0x40
; %bb.965:                              ;   in Loop: Header=BB290_548 Depth=1
	s_or_b32 exec_lo, exec_lo, s18
	s_delay_alu instid0(VALU_DEP_1) | instskip(NEXT) | instid1(VALU_DEP_2)
	v_dual_lshlrev_b32 v10, 8, v10 :: v_dual_lshlrev_b32 v23, 7, v23
	v_lshl_add_u32 v24, v24, 10, 0x2000
	s_delay_alu instid0(VALU_DEP_2) | instskip(NEXT) | instid1(VALU_DEP_2)
	v_and_b32_e32 v10, 0x8000, v10
	v_and_b32_e32 v24, 0xfc00, v24
	s_delay_alu instid0(VALU_DEP_1)
	v_or3_b32 v23, v10, v24, v23
.LBB290_966:                            ;   in Loop: Header=BB290_548 Depth=1
	s_or_b32 exec_lo, exec_lo, s17
.LBB290_967:                            ;   in Loop: Header=BB290_548 Depth=1
	s_delay_alu instid0(SALU_CYCLE_1)
	s_or_b32 exec_lo, exec_lo, s16
.LBB290_968:                            ;   in Loop: Header=BB290_548 Depth=1
	s_delay_alu instid0(SALU_CYCLE_1) | instskip(NEXT) | instid1(SALU_CYCLE_1)
	s_or_b32 exec_lo, exec_lo, s15
	s_mov_b32 s15, exec_lo
	v_cmpx_lt_u32_e32 0xffffff, v20
	s_cbranch_execz .LBB290_976
; %bb.969:                              ;   in Loop: Header=BB290_548 Depth=1
	v_lshrrev_b32_e32 v10, 24, v20
	v_bfrev_b32_e32 v22, 1
	s_mov_b32 s16, exec_lo
	s_delay_alu instid0(VALU_DEP_2)
	v_cmpx_ne_u32_e32 0x80, v10
	s_cbranch_execz .LBB290_975
; %bb.970:                              ;   in Loop: Header=BB290_548 Depth=1
	v_and_b32_e32 v25, 0x7f, v10
	v_mov_b32_e32 v22, 0x7c010000
	s_mov_b32 s17, exec_lo
	s_delay_alu instid0(VALU_DEP_2)
	v_cmpx_ne_u32_e32 0x7f, v25
	s_cbranch_execz .LBB290_974
; %bb.971:                              ;   in Loop: Header=BB290_548 Depth=1
	v_dual_lshrrev_b32 v24, 3, v25 :: v_dual_bitop2_b32 v22, 7, v10 bitop3:0x40
	s_mov_b32 s18, exec_lo
	v_cmpx_gt_u32_e32 8, v25
; %bb.972:                              ;   in Loop: Header=BB290_548 Depth=1
	s_delay_alu instid0(VALU_DEP_2) | instskip(NEXT) | instid1(VALU_DEP_1)
	v_clz_i32_u32_e32 v22, v22
	v_min_u32_e32 v22, 32, v22
	s_delay_alu instid0(VALU_DEP_1) | instskip(NEXT) | instid1(VALU_DEP_1)
	v_subrev_nc_u32_e32 v24, 28, v22
	v_lshlrev_b64_e32 v[26:27], v24, v[10:11]
	v_sub_nc_u32_e32 v24, 29, v22
	s_delay_alu instid0(VALU_DEP_2)
	v_and_b32_e32 v22, 7, v26
; %bb.973:                              ;   in Loop: Header=BB290_548 Depth=1
	s_or_b32 exec_lo, exec_lo, s18
	v_lshlrev_b32_e32 v10, 8, v10
	s_delay_alu instid0(VALU_DEP_3) | instskip(NEXT) | instid1(VALU_DEP_3)
	v_lshl_add_u32 v24, v24, 10, 0x2000
	v_lshlrev_b32_e32 v22, 23, v22
	s_delay_alu instid0(VALU_DEP_2) | instskip(NEXT) | instid1(VALU_DEP_1)
	v_and_or_b32 v10, 0x8000, v10, v24
	v_lshl_or_b32 v22, v10, 16, v22
.LBB290_974:                            ;   in Loop: Header=BB290_548 Depth=1
	s_or_b32 exec_lo, exec_lo, s17
.LBB290_975:                            ;   in Loop: Header=BB290_548 Depth=1
	s_delay_alu instid0(SALU_CYCLE_1)
	s_or_b32 exec_lo, exec_lo, s16
.LBB290_976:                            ;   in Loop: Header=BB290_548 Depth=1
	s_delay_alu instid0(SALU_CYCLE_1) | instskip(SKIP_4) | instid1(VALU_DEP_3)
	s_or_b32 exec_lo, exec_lo, s15
	v_and_b32_e32 v26, 0xff, v21
	v_dual_mov_b32 v10, v21 :: v_dual_mov_b32 v25, 0
	v_mov_b32_e32 v24, 0
	s_mov_b32 s15, exec_lo
	v_cmpx_ne_u16_e32 0, v26
	s_cbranch_execz .LBB290_984
; %bb.977:                              ;   in Loop: Header=BB290_548 Depth=1
	v_mov_b32_e32 v24, 0x8000
	s_mov_b32 s16, exec_lo
	v_cmpx_ne_u16_e32 0x80, v26
	s_cbranch_execz .LBB290_983
; %bb.978:                              ;   in Loop: Header=BB290_548 Depth=1
	v_and_b32_e32 v27, 0x7f, v21
	v_mov_b32_e32 v24, 0x7c01
	s_mov_b32 s17, exec_lo
	s_delay_alu instid0(VALU_DEP_2)
	v_cmpx_ne_u32_e32 0x7f, v27
	s_cbranch_execz .LBB290_982
; %bb.979:                              ;   in Loop: Header=BB290_548 Depth=1
	v_dual_lshrrev_b32 v26, 3, v27 :: v_dual_bitop2_b32 v24, 7, v21 bitop3:0x40
	s_mov_b32 s18, exec_lo
	v_cmpx_gt_u32_e32 8, v27
; %bb.980:                              ;   in Loop: Header=BB290_548 Depth=1
	s_delay_alu instid0(VALU_DEP_2) | instskip(NEXT) | instid1(VALU_DEP_1)
	v_clz_i32_u32_e32 v24, v24
	v_min_u32_e32 v24, 32, v24
	s_delay_alu instid0(VALU_DEP_1) | instskip(NEXT) | instid1(VALU_DEP_1)
	v_subrev_nc_u32_e32 v26, 28, v24
	v_lshlrev_b64_e32 v[60:61], v26, v[10:11]
	v_sub_nc_u32_e32 v26, 29, v24
	s_delay_alu instid0(VALU_DEP_2)
	v_and_b32_e32 v24, 7, v60
; %bb.981:                              ;   in Loop: Header=BB290_548 Depth=1
	s_or_b32 exec_lo, exec_lo, s18
	s_delay_alu instid0(VALU_DEP_1) | instskip(NEXT) | instid1(VALU_DEP_3)
	v_dual_lshlrev_b32 v27, 8, v21 :: v_dual_lshlrev_b32 v24, 7, v24
	v_lshl_add_u32 v26, v26, 10, 0x2000
	s_delay_alu instid0(VALU_DEP_2) | instskip(NEXT) | instid1(VALU_DEP_2)
	v_and_b32_e32 v27, 0x8000, v27
	v_and_b32_e32 v26, 0xfc00, v26
	s_delay_alu instid0(VALU_DEP_1)
	v_or3_b32 v24, v27, v26, v24
.LBB290_982:                            ;   in Loop: Header=BB290_548 Depth=1
	s_or_b32 exec_lo, exec_lo, s17
.LBB290_983:                            ;   in Loop: Header=BB290_548 Depth=1
	s_delay_alu instid0(SALU_CYCLE_1)
	s_or_b32 exec_lo, exec_lo, s16
.LBB290_984:                            ;   in Loop: Header=BB290_548 Depth=1
	s_delay_alu instid0(SALU_CYCLE_1) | instskip(SKIP_3) | instid1(VALU_DEP_2)
	s_or_b32 exec_lo, exec_lo, s15
	v_lshrrev_b16 v10, 8, v10
	v_mov_b32_e32 v26, 0
	s_mov_b32 s15, exec_lo
	v_cmpx_ne_u16_e32 0, v10
	s_cbranch_execz .LBB290_992
; %bb.985:                              ;   in Loop: Header=BB290_548 Depth=1
	v_bfrev_b32_e32 v26, 1
	s_mov_b32 s16, exec_lo
	v_cmpx_ne_u16_e32 0x80, v10
	s_cbranch_execz .LBB290_991
; %bb.986:                              ;   in Loop: Header=BB290_548 Depth=1
	v_and_b32_e32 v27, 0xffff, v10
	v_mov_b32_e32 v26, 0x7c010000
	s_mov_b32 s17, exec_lo
	s_delay_alu instid0(VALU_DEP_2) | instskip(NEXT) | instid1(VALU_DEP_1)
	v_and_b32_e32 v42, 0x7f, v27
	v_cmpx_ne_u32_e32 0x7f, v42
	s_cbranch_execz .LBB290_990
; %bb.987:                              ;   in Loop: Header=BB290_548 Depth=1
	v_dual_lshrrev_b32 v41, 3, v42 :: v_dual_bitop2_b32 v26, 7, v27 bitop3:0x40
	s_mov_b32 s18, exec_lo
	v_cmpx_gt_u32_e32 8, v42
; %bb.988:                              ;   in Loop: Header=BB290_548 Depth=1
	s_delay_alu instid0(VALU_DEP_2) | instskip(NEXT) | instid1(VALU_DEP_1)
	v_clz_i32_u32_e32 v26, v26
	v_min_u32_e32 v26, 32, v26
	s_delay_alu instid0(VALU_DEP_1) | instskip(NEXT) | instid1(VALU_DEP_1)
	v_subrev_nc_u32_e32 v41, 28, v26
	v_lshlrev_b64_e32 v[60:61], v41, v[10:11]
	s_delay_alu instid0(VALU_DEP_1)
	v_dual_sub_nc_u32 v41, 29, v26 :: v_dual_bitop2_b32 v26, 7, v60 bitop3:0x40
; %bb.989:                              ;   in Loop: Header=BB290_548 Depth=1
	s_or_b32 exec_lo, exec_lo, s18
	s_delay_alu instid0(VALU_DEP_1) | instskip(NEXT) | instid1(VALU_DEP_2)
	v_dual_lshlrev_b32 v10, 8, v27 :: v_dual_lshlrev_b32 v26, 23, v26
	v_lshl_add_u32 v27, v41, 10, 0x2000
	s_delay_alu instid0(VALU_DEP_1) | instskip(NEXT) | instid1(VALU_DEP_1)
	v_and_or_b32 v10, 0x8000, v10, v27
	v_lshl_or_b32 v26, v10, 16, v26
.LBB290_990:                            ;   in Loop: Header=BB290_548 Depth=1
	s_or_b32 exec_lo, exec_lo, s17
.LBB290_991:                            ;   in Loop: Header=BB290_548 Depth=1
	s_delay_alu instid0(SALU_CYCLE_1)
	s_or_b32 exec_lo, exec_lo, s16
.LBB290_992:                            ;   in Loop: Header=BB290_548 Depth=1
	s_delay_alu instid0(SALU_CYCLE_1) | instskip(SKIP_2) | instid1(VALU_DEP_1)
	s_or_b32 exec_lo, exec_lo, s15
	v_lshrrev_b32_e32 v10, 16, v21
	s_mov_b32 s15, exec_lo
	v_and_b32_e32 v27, 0xff, v10
	s_delay_alu instid0(VALU_DEP_1)
	v_cmpx_ne_u16_e32 0, v27
	s_cbranch_execz .LBB290_1000
; %bb.993:                              ;   in Loop: Header=BB290_548 Depth=1
	v_mov_b32_e32 v25, 0x8000
	s_mov_b32 s16, exec_lo
	v_cmpx_ne_u16_e32 0x80, v27
	s_cbranch_execz .LBB290_999
; %bb.994:                              ;   in Loop: Header=BB290_548 Depth=1
	v_bfe_u32 v41, v21, 16, 7
	v_mov_b32_e32 v25, 0x7c01
	s_mov_b32 s17, exec_lo
	s_delay_alu instid0(VALU_DEP_2)
	v_cmpx_ne_u32_e32 0x7f, v41
	s_cbranch_execz .LBB290_998
; %bb.995:                              ;   in Loop: Header=BB290_548 Depth=1
	v_dual_lshrrev_b32 v27, 3, v41 :: v_dual_bitop2_b32 v25, 7, v10 bitop3:0x40
	s_mov_b32 s18, exec_lo
	v_cmpx_gt_u32_e32 8, v41
; %bb.996:                              ;   in Loop: Header=BB290_548 Depth=1
	s_delay_alu instid0(VALU_DEP_2) | instskip(NEXT) | instid1(VALU_DEP_1)
	v_clz_i32_u32_e32 v25, v25
	v_min_u32_e32 v25, 32, v25
	s_delay_alu instid0(VALU_DEP_1) | instskip(NEXT) | instid1(VALU_DEP_1)
	v_subrev_nc_u32_e32 v27, 28, v25
	v_lshlrev_b64_e32 v[60:61], v27, v[10:11]
	s_delay_alu instid0(VALU_DEP_1)
	v_dual_sub_nc_u32 v27, 29, v25 :: v_dual_bitop2_b32 v25, 7, v60 bitop3:0x40
; %bb.997:                              ;   in Loop: Header=BB290_548 Depth=1
	s_or_b32 exec_lo, exec_lo, s18
	s_delay_alu instid0(VALU_DEP_1) | instskip(NEXT) | instid1(VALU_DEP_2)
	v_dual_lshlrev_b32 v10, 8, v10 :: v_dual_lshlrev_b32 v25, 7, v25
	v_lshl_add_u32 v27, v27, 10, 0x2000
	s_delay_alu instid0(VALU_DEP_2) | instskip(NEXT) | instid1(VALU_DEP_2)
	v_and_b32_e32 v10, 0x8000, v10
	v_and_b32_e32 v27, 0xfc00, v27
	s_delay_alu instid0(VALU_DEP_1)
	v_or3_b32 v25, v10, v27, v25
.LBB290_998:                            ;   in Loop: Header=BB290_548 Depth=1
	s_or_b32 exec_lo, exec_lo, s17
.LBB290_999:                            ;   in Loop: Header=BB290_548 Depth=1
	s_delay_alu instid0(SALU_CYCLE_1)
	s_or_b32 exec_lo, exec_lo, s16
.LBB290_1000:                           ;   in Loop: Header=BB290_548 Depth=1
	s_delay_alu instid0(SALU_CYCLE_1)
	s_or_b32 exec_lo, exec_lo, s15
	v_cmp_lt_u64_e64 s0, s[2:3], v[20:21]
	v_mov_b32_e32 v20, 0
	s_and_saveexec_b32 s15, s0
	s_cbranch_execz .LBB290_1008
; %bb.1001:                             ;   in Loop: Header=BB290_548 Depth=1
	v_lshrrev_b32_e32 v10, 24, v21
	v_bfrev_b32_e32 v20, 1
	s_mov_b32 s16, exec_lo
	s_delay_alu instid0(VALU_DEP_2)
	v_cmpx_ne_u32_e32 0x80, v10
	s_cbranch_execz .LBB290_1007
; %bb.1002:                             ;   in Loop: Header=BB290_548 Depth=1
	v_and_b32_e32 v27, 0x7f, v10
	v_mov_b32_e32 v20, 0x7c010000
	s_mov_b32 s17, exec_lo
	s_delay_alu instid0(VALU_DEP_2)
	v_cmpx_ne_u32_e32 0x7f, v27
	s_cbranch_execz .LBB290_1006
; %bb.1003:                             ;   in Loop: Header=BB290_548 Depth=1
	v_dual_lshrrev_b32 v21, 3, v27 :: v_dual_bitop2_b32 v20, 7, v10 bitop3:0x40
	s_mov_b32 s18, exec_lo
	v_cmpx_gt_u32_e32 8, v27
; %bb.1004:                             ;   in Loop: Header=BB290_548 Depth=1
	s_delay_alu instid0(VALU_DEP_2) | instskip(NEXT) | instid1(VALU_DEP_1)
	v_clz_i32_u32_e32 v20, v20
	v_min_u32_e32 v27, 32, v20
	s_delay_alu instid0(VALU_DEP_1) | instskip(NEXT) | instid1(VALU_DEP_1)
	v_subrev_nc_u32_e32 v20, 28, v27
	v_lshlrev_b64_e32 v[20:21], v20, v[10:11]
	s_delay_alu instid0(VALU_DEP_1)
	v_dual_sub_nc_u32 v21, 29, v27 :: v_dual_bitop2_b32 v20, 7, v20 bitop3:0x40
; %bb.1005:                             ;   in Loop: Header=BB290_548 Depth=1
	s_or_b32 exec_lo, exec_lo, s18
	s_delay_alu instid0(VALU_DEP_1) | instskip(NEXT) | instid1(VALU_DEP_2)
	v_dual_lshlrev_b32 v10, 8, v10 :: v_dual_lshlrev_b32 v20, 23, v20
	v_lshl_add_u32 v21, v21, 10, 0x2000
	s_delay_alu instid0(VALU_DEP_1) | instskip(NEXT) | instid1(VALU_DEP_1)
	v_and_or_b32 v10, 0x8000, v10, v21
	v_lshl_or_b32 v20, v10, 16, v20
.LBB290_1006:                           ;   in Loop: Header=BB290_548 Depth=1
	s_or_b32 exec_lo, exec_lo, s17
.LBB290_1007:                           ;   in Loop: Header=BB290_548 Depth=1
	s_delay_alu instid0(SALU_CYCLE_1)
	s_or_b32 exec_lo, exec_lo, s16
.LBB290_1008:                           ;   in Loop: Header=BB290_548 Depth=1
	s_delay_alu instid0(SALU_CYCLE_1) | instskip(SKIP_3) | instid1(VALU_DEP_3)
	s_or_b32 exec_lo, exec_lo, s15
	v_dual_lshrrev_b32 v10, 16, v1 :: v_dual_lshrrev_b32 v21, 16, v22
	v_or_b32_e32 v1, v1, v19
	v_dual_lshrrev_b32 v27, 16, v20 :: v_dual_bitop2_b32 v19, v22, v23 bitop3:0x54
	v_cvt_f32_f16_e32 v23, v10
	s_delay_alu instid0(VALU_DEP_4) | instskip(SKIP_1) | instid1(VALU_DEP_4)
	v_cvt_f32_f16_e32 v22, v21
	v_dual_lshrrev_b32 v25, 16, v26 :: v_dual_bitop2_b32 v10, v20, v25 bitop3:0x54
	v_cvt_f32_f16_e32 v20, v19
	v_cvt_f32_f16_e32 v21, v1
	s_wait_loadcnt 0x0
	v_pk_mul_f32 v[22:23], v[18:19], v[22:23] op_sel_hi:[0,1]
	v_cvt_f32_f16_e32 v25, v25
	s_delay_alu instid0(VALU_DEP_2) | instskip(SKIP_3) | instid1(VALU_DEP_3)
	v_cvt_pk_f16_f32 v1, v22, v23
	v_or_b32_e32 v19, v26, v24
	v_cvt_f32_f16_e32 v24, v27
	v_cvt_f32_f16_e32 v26, v10
	v_pk_mul_f32 v[20:21], v[18:19], v[20:21] op_sel_hi:[0,1]
	s_delay_alu instid0(VALU_DEP_1) | instskip(SKIP_4) | instid1(VALU_DEP_3)
	v_cvt_pk_f16_f32 v10, v20, v21
	v_lshlrev_b32_e32 v20, 16, v1
	v_cvt_f32_f16_e32 v27, v19
	v_pk_mul_f32 v[22:23], v[18:19], v[24:25] op_sel_hi:[0,1]
	v_and_b32_e32 v21, 0xffff0000, v1
	v_pk_mul_f32 v[18:19], v[18:19], v[26:27] op_sel_hi:[0,1]
	s_delay_alu instid0(VALU_DEP_3) | instskip(SKIP_1) | instid1(VALU_DEP_3)
	v_cvt_pk_f16_f32 v22, v22, v23
	v_and_b32_e32 v26, 0xffff, v10
	v_cvt_pk_f16_f32 v18, v18, v19
	s_delay_alu instid0(VALU_DEP_3) | instskip(NEXT) | instid1(VALU_DEP_3)
	v_and_b32_e32 v1, 0xffff0000, v22
	v_or_b32_e32 v24, v20, v26
	s_delay_alu instid0(VALU_DEP_3) | instskip(SKIP_2) | instid1(VALU_DEP_3)
	v_lshrrev_b32_e32 v19, 16, v18
	v_lshrrev_b32_e32 v27, 16, v10
	v_and_b32_e32 v18, 0xffff, v18
	v_dual_lshlrev_b32 v10, 16, v22 :: v_dual_bitop2_b32 v23, v1, v19 bitop3:0x54
	s_delay_alu instid0(VALU_DEP_3) | instskip(NEXT) | instid1(VALU_DEP_2)
	v_or_b32_e32 v25, v21, v27
	v_or_b32_e32 v22, v10, v18
	s_and_saveexec_b32 s15, vcc_lo
	s_cbranch_execz .LBB290_1010
; %bb.1009:                             ;   in Loop: Header=BB290_548 Depth=1
	v_cmp_gt_i32_e64 s0, s14, v31
	s_delay_alu instid0(VALU_DEP_1) | instskip(SKIP_1) | instid1(VALU_DEP_1)
	v_cndmask_b32_e64 v22, 0, v27, s0
	v_cmp_gt_i32_e64 s0, s25, v40
	v_cndmask_b32_e64 v23, 0, v26, s0
	v_cmp_gt_i32_e64 s0, s14, v39
	s_delay_alu instid0(VALU_DEP_1) | instskip(SKIP_1) | instid1(VALU_DEP_1)
	v_cndmask_b32_e64 v21, 0, v21, s0
	v_cmp_gt_i32_e64 s0, s25, v38
	v_cndmask_b32_e64 v20, 0, v20, s0
	v_cmp_gt_i32_e64 s0, s14, v37
	s_delay_alu instid0(VALU_DEP_4) | instskip(NEXT) | instid1(VALU_DEP_3)
	v_or_b32_e32 v25, v21, v22
	v_or_b32_e32 v24, v20, v23
	s_delay_alu instid0(VALU_DEP_3) | instskip(SKIP_1) | instid1(VALU_DEP_1)
	v_cndmask_b32_e64 v19, 0, v19, s0
	v_cmp_gt_i32_e64 s0, s25, v36
	v_cndmask_b32_e64 v18, 0, v18, s0
	v_cmp_gt_i32_e64 s0, s14, v35
	s_delay_alu instid0(VALU_DEP_1) | instskip(SKIP_1) | instid1(VALU_DEP_1)
	v_cndmask_b32_e64 v1, 0, v1, s0
	v_cmp_gt_i32_e64 s0, s25, v34
	v_dual_cndmask_b32 v10, 0, v10, s0 :: v_dual_bitop2_b32 v23, v1, v19 bitop3:0x54
	s_delay_alu instid0(VALU_DEP_1)
	v_or_b32_e32 v22, v10, v18
.LBB290_1010:                           ;   in Loop: Header=BB290_548 Depth=1
	s_or_b32 exec_lo, exec_lo, s15
	;;#ASMSTART
	v_pk_mul_f16 v1, v46, v25;

	;;#ASMEND
	;;#ASMSTART
	v_pk_mul_f16 v10, v45, v24;

	;;#ASMEND
	;; [unrolled: 4-line block ×4, first 2 shown]
	;;#ASMSTART
	v_pk_add_f16 v1, v1, v10;

	;;#ASMEND
	;;#ASMSTART
	v_pk_add_f16 v1, v1, v18;

	;;#ASMEND
	;;#ASMSTART
	v_pk_add_f16 v1, v1, v19;

	;;#ASMEND
	v_and_b32_e32 v10, 0xffff, v1
	v_lshrrev_b32_e32 v1, 16, v1
	;;#ASMSTART
	v_cvt_f32_f16 v41, v10;
	;;#ASMEND
	;;#ASMSTART
	v_cvt_f32_f16 v42, v1;
	;;#ASMEND
	global_load_b64 v[18:19], v[16:17], off offset:1792
	s_wait_xcnt 0x0
	v_dual_mov_b32 v1, 0 :: v_dual_mov_b32 v17, 0
	s_mov_b32 s15, exec_lo
	global_load_b32 v16, v1, s[6:7]
	s_wait_loadcnt 0x1
	v_and_b32_e32 v10, 0xff, v18
	s_wait_xcnt 0x0
	s_delay_alu instid0(VALU_DEP_1)
	v_cmpx_ne_u16_e32 0, v10
	s_cbranch_execz .LBB290_1018
; %bb.1011:                             ;   in Loop: Header=BB290_548 Depth=1
	v_mov_b32_e32 v17, 0x8000
	s_mov_b32 s16, exec_lo
	v_cmpx_ne_u16_e32 0x80, v10
	s_cbranch_execz .LBB290_1017
; %bb.1012:                             ;   in Loop: Header=BB290_548 Depth=1
	v_and_b32_e32 v20, 0x7f, v18
	v_mov_b32_e32 v17, 0x7c01
	s_mov_b32 s17, exec_lo
	s_delay_alu instid0(VALU_DEP_2)
	v_cmpx_ne_u32_e32 0x7f, v20
	s_cbranch_execz .LBB290_1016
; %bb.1013:                             ;   in Loop: Header=BB290_548 Depth=1
	v_dual_lshrrev_b32 v17, 3, v20 :: v_dual_bitop2_b32 v10, 7, v18 bitop3:0x40
	s_mov_b32 s18, exec_lo
	v_cmpx_gt_u32_e32 8, v20
; %bb.1014:                             ;   in Loop: Header=BB290_548 Depth=1
	s_delay_alu instid0(VALU_DEP_2) | instskip(NEXT) | instid1(VALU_DEP_1)
	v_clz_i32_u32_e32 v10, v10
	v_min_u32_e32 v10, 32, v10
	s_delay_alu instid0(VALU_DEP_1) | instskip(NEXT) | instid1(VALU_DEP_1)
	v_subrev_nc_u32_e32 v17, 28, v10
	v_lshlrev_b64_e32 v[20:21], v17, v[18:19]
	s_delay_alu instid0(VALU_DEP_1)
	v_dual_sub_nc_u32 v17, 29, v10 :: v_dual_bitop2_b32 v10, 7, v20 bitop3:0x40
; %bb.1015:                             ;   in Loop: Header=BB290_548 Depth=1
	s_or_b32 exec_lo, exec_lo, s18
	v_lshlrev_b32_e32 v20, 8, v18
	s_delay_alu instid0(VALU_DEP_2) | instskip(NEXT) | instid1(VALU_DEP_3)
	v_lshl_add_u32 v17, v17, 10, 0x2000
	v_lshlrev_b32_e32 v10, 7, v10
	s_delay_alu instid0(VALU_DEP_3) | instskip(NEXT) | instid1(VALU_DEP_3)
	v_and_b32_e32 v20, 0x8000, v20
	v_and_b32_e32 v17, 0xfc00, v17
	s_delay_alu instid0(VALU_DEP_1)
	v_or3_b32 v17, v20, v17, v10
.LBB290_1016:                           ;   in Loop: Header=BB290_548 Depth=1
	s_or_b32 exec_lo, exec_lo, s17
.LBB290_1017:                           ;   in Loop: Header=BB290_548 Depth=1
	s_delay_alu instid0(SALU_CYCLE_1)
	s_or_b32 exec_lo, exec_lo, s16
.LBB290_1018:                           ;   in Loop: Header=BB290_548 Depth=1
	s_delay_alu instid0(SALU_CYCLE_1) | instskip(SKIP_2) | instid1(VALU_DEP_1)
	s_or_b32 exec_lo, exec_lo, s15
	v_lshrrev_b16 v10, 8, v18
	s_mov_b32 s15, exec_lo
	v_cmpx_ne_u16_e32 0, v10
	s_cbranch_execz .LBB290_1026
; %bb.1019:                             ;   in Loop: Header=BB290_548 Depth=1
	v_bfrev_b32_e32 v1, 1
	s_mov_b32 s16, exec_lo
	v_cmpx_ne_u16_e32 0x80, v10
	s_cbranch_execz .LBB290_1025
; %bb.1020:                             ;   in Loop: Header=BB290_548 Depth=1
	v_and_b32_e32 v20, 0xffff, v10
	v_mov_b32_e32 v1, 0x7c010000
	s_mov_b32 s17, exec_lo
	s_delay_alu instid0(VALU_DEP_2) | instskip(NEXT) | instid1(VALU_DEP_1)
	v_and_b32_e32 v22, 0x7f, v20
	v_cmpx_ne_u32_e32 0x7f, v22
	s_cbranch_execz .LBB290_1024
; %bb.1021:                             ;   in Loop: Header=BB290_548 Depth=1
	v_dual_lshrrev_b32 v21, 3, v22 :: v_dual_bitop2_b32 v1, 7, v20 bitop3:0x40
	s_mov_b32 s18, exec_lo
	v_cmpx_gt_u32_e32 8, v22
; %bb.1022:                             ;   in Loop: Header=BB290_548 Depth=1
	s_delay_alu instid0(VALU_DEP_2) | instskip(NEXT) | instid1(VALU_DEP_1)
	v_clz_i32_u32_e32 v1, v1
	v_min_u32_e32 v1, 32, v1
	s_delay_alu instid0(VALU_DEP_1) | instskip(NEXT) | instid1(VALU_DEP_1)
	v_subrev_nc_u32_e32 v21, 28, v1
	v_lshlrev_b64_e32 v[22:23], v21, v[10:11]
	s_delay_alu instid0(VALU_DEP_1)
	v_dual_sub_nc_u32 v21, 29, v1 :: v_dual_bitop2_b32 v1, 7, v22 bitop3:0x40
; %bb.1023:                             ;   in Loop: Header=BB290_548 Depth=1
	s_or_b32 exec_lo, exec_lo, s18
	s_delay_alu instid0(VALU_DEP_1) | instskip(NEXT) | instid1(VALU_DEP_2)
	v_dual_lshlrev_b32 v10, 8, v20 :: v_dual_lshlrev_b32 v1, 23, v1
	v_lshl_add_u32 v20, v21, 10, 0x2000
	s_delay_alu instid0(VALU_DEP_1) | instskip(NEXT) | instid1(VALU_DEP_1)
	v_and_or_b32 v10, 0x8000, v10, v20
	v_lshl_or_b32 v1, v10, 16, v1
.LBB290_1024:                           ;   in Loop: Header=BB290_548 Depth=1
	s_or_b32 exec_lo, exec_lo, s17
.LBB290_1025:                           ;   in Loop: Header=BB290_548 Depth=1
	s_delay_alu instid0(SALU_CYCLE_1)
	s_or_b32 exec_lo, exec_lo, s16
.LBB290_1026:                           ;   in Loop: Header=BB290_548 Depth=1
	s_delay_alu instid0(SALU_CYCLE_1) | instskip(SKIP_3) | instid1(VALU_DEP_2)
	s_or_b32 exec_lo, exec_lo, s15
	v_dual_lshrrev_b32 v10, 16, v18 :: v_dual_mov_b32 v20, 0
	v_mov_b32_e32 v21, 0
	s_mov_b32 s15, exec_lo
	v_and_b32_e32 v22, 0xff, v10
	s_delay_alu instid0(VALU_DEP_1)
	v_cmpx_ne_u16_e32 0, v22
	s_cbranch_execz .LBB290_1034
; %bb.1027:                             ;   in Loop: Header=BB290_548 Depth=1
	v_mov_b32_e32 v21, 0x8000
	s_mov_b32 s16, exec_lo
	v_cmpx_ne_u16_e32 0x80, v22
	s_cbranch_execz .LBB290_1033
; %bb.1028:                             ;   in Loop: Header=BB290_548 Depth=1
	v_bfe_u32 v23, v18, 16, 7
	v_mov_b32_e32 v21, 0x7c01
	s_mov_b32 s17, exec_lo
	s_delay_alu instid0(VALU_DEP_2)
	v_cmpx_ne_u32_e32 0x7f, v23
	s_cbranch_execz .LBB290_1032
; %bb.1029:                             ;   in Loop: Header=BB290_548 Depth=1
	v_dual_lshrrev_b32 v22, 3, v23 :: v_dual_bitop2_b32 v21, 7, v10 bitop3:0x40
	s_mov_b32 s18, exec_lo
	v_cmpx_gt_u32_e32 8, v23
; %bb.1030:                             ;   in Loop: Header=BB290_548 Depth=1
	s_delay_alu instid0(VALU_DEP_2) | instskip(NEXT) | instid1(VALU_DEP_1)
	v_clz_i32_u32_e32 v21, v21
	v_min_u32_e32 v21, 32, v21
	s_delay_alu instid0(VALU_DEP_1) | instskip(NEXT) | instid1(VALU_DEP_1)
	v_subrev_nc_u32_e32 v22, 28, v21
	v_lshlrev_b64_e32 v[24:25], v22, v[10:11]
	s_delay_alu instid0(VALU_DEP_1)
	v_dual_sub_nc_u32 v22, 29, v21 :: v_dual_bitop2_b32 v21, 7, v24 bitop3:0x40
; %bb.1031:                             ;   in Loop: Header=BB290_548 Depth=1
	s_or_b32 exec_lo, exec_lo, s18
	s_delay_alu instid0(VALU_DEP_1) | instskip(NEXT) | instid1(VALU_DEP_2)
	v_dual_lshlrev_b32 v10, 8, v10 :: v_dual_lshlrev_b32 v21, 7, v21
	v_lshl_add_u32 v22, v22, 10, 0x2000
	s_delay_alu instid0(VALU_DEP_2) | instskip(NEXT) | instid1(VALU_DEP_2)
	v_and_b32_e32 v10, 0x8000, v10
	v_and_b32_e32 v22, 0xfc00, v22
	s_delay_alu instid0(VALU_DEP_1)
	v_or3_b32 v21, v10, v22, v21
.LBB290_1032:                           ;   in Loop: Header=BB290_548 Depth=1
	s_or_b32 exec_lo, exec_lo, s17
.LBB290_1033:                           ;   in Loop: Header=BB290_548 Depth=1
	s_delay_alu instid0(SALU_CYCLE_1)
	s_or_b32 exec_lo, exec_lo, s16
.LBB290_1034:                           ;   in Loop: Header=BB290_548 Depth=1
	s_delay_alu instid0(SALU_CYCLE_1) | instskip(NEXT) | instid1(SALU_CYCLE_1)
	s_or_b32 exec_lo, exec_lo, s15
	s_mov_b32 s15, exec_lo
	v_cmpx_lt_u32_e32 0xffffff, v18
	s_cbranch_execz .LBB290_1042
; %bb.1035:                             ;   in Loop: Header=BB290_548 Depth=1
	v_lshrrev_b32_e32 v10, 24, v18
	v_bfrev_b32_e32 v20, 1
	s_mov_b32 s16, exec_lo
	s_delay_alu instid0(VALU_DEP_2)
	v_cmpx_ne_u32_e32 0x80, v10
	s_cbranch_execz .LBB290_1041
; %bb.1036:                             ;   in Loop: Header=BB290_548 Depth=1
	v_and_b32_e32 v23, 0x7f, v10
	v_mov_b32_e32 v20, 0x7c010000
	s_mov_b32 s17, exec_lo
	s_delay_alu instid0(VALU_DEP_2)
	v_cmpx_ne_u32_e32 0x7f, v23
	s_cbranch_execz .LBB290_1040
; %bb.1037:                             ;   in Loop: Header=BB290_548 Depth=1
	v_dual_lshrrev_b32 v22, 3, v23 :: v_dual_bitop2_b32 v20, 7, v10 bitop3:0x40
	s_mov_b32 s18, exec_lo
	v_cmpx_gt_u32_e32 8, v23
; %bb.1038:                             ;   in Loop: Header=BB290_548 Depth=1
	s_delay_alu instid0(VALU_DEP_2) | instskip(NEXT) | instid1(VALU_DEP_1)
	v_clz_i32_u32_e32 v20, v20
	v_min_u32_e32 v20, 32, v20
	s_delay_alu instid0(VALU_DEP_1) | instskip(NEXT) | instid1(VALU_DEP_1)
	v_subrev_nc_u32_e32 v22, 28, v20
	v_lshlrev_b64_e32 v[24:25], v22, v[10:11]
	v_sub_nc_u32_e32 v22, 29, v20
	s_delay_alu instid0(VALU_DEP_2)
	v_and_b32_e32 v20, 7, v24
; %bb.1039:                             ;   in Loop: Header=BB290_548 Depth=1
	s_or_b32 exec_lo, exec_lo, s18
	s_delay_alu instid0(VALU_DEP_1) | instskip(NEXT) | instid1(VALU_DEP_3)
	v_dual_lshlrev_b32 v10, 8, v10 :: v_dual_lshlrev_b32 v20, 23, v20
	v_lshl_add_u32 v22, v22, 10, 0x2000
	s_delay_alu instid0(VALU_DEP_1) | instskip(NEXT) | instid1(VALU_DEP_1)
	v_and_or_b32 v10, 0x8000, v10, v22
	v_lshl_or_b32 v20, v10, 16, v20
.LBB290_1040:                           ;   in Loop: Header=BB290_548 Depth=1
	s_or_b32 exec_lo, exec_lo, s17
.LBB290_1041:                           ;   in Loop: Header=BB290_548 Depth=1
	s_delay_alu instid0(SALU_CYCLE_1)
	s_or_b32 exec_lo, exec_lo, s16
.LBB290_1042:                           ;   in Loop: Header=BB290_548 Depth=1
	s_delay_alu instid0(SALU_CYCLE_1) | instskip(SKIP_4) | instid1(VALU_DEP_3)
	s_or_b32 exec_lo, exec_lo, s15
	v_and_b32_e32 v24, 0xff, v19
	v_dual_mov_b32 v10, v19 :: v_dual_mov_b32 v23, 0
	v_mov_b32_e32 v22, 0
	s_mov_b32 s15, exec_lo
	v_cmpx_ne_u16_e32 0, v24
	s_cbranch_execz .LBB290_1050
; %bb.1043:                             ;   in Loop: Header=BB290_548 Depth=1
	v_mov_b32_e32 v22, 0x8000
	s_mov_b32 s16, exec_lo
	v_cmpx_ne_u16_e32 0x80, v24
	s_cbranch_execz .LBB290_1049
; %bb.1044:                             ;   in Loop: Header=BB290_548 Depth=1
	v_and_b32_e32 v25, 0x7f, v19
	v_mov_b32_e32 v22, 0x7c01
	s_mov_b32 s17, exec_lo
	s_delay_alu instid0(VALU_DEP_2)
	v_cmpx_ne_u32_e32 0x7f, v25
	s_cbranch_execz .LBB290_1048
; %bb.1045:                             ;   in Loop: Header=BB290_548 Depth=1
	v_dual_lshrrev_b32 v24, 3, v25 :: v_dual_bitop2_b32 v22, 7, v19 bitop3:0x40
	s_mov_b32 s18, exec_lo
	v_cmpx_gt_u32_e32 8, v25
; %bb.1046:                             ;   in Loop: Header=BB290_548 Depth=1
	s_delay_alu instid0(VALU_DEP_2) | instskip(NEXT) | instid1(VALU_DEP_1)
	v_clz_i32_u32_e32 v22, v22
	v_min_u32_e32 v22, 32, v22
	s_delay_alu instid0(VALU_DEP_1) | instskip(NEXT) | instid1(VALU_DEP_1)
	v_subrev_nc_u32_e32 v24, 28, v22
	v_lshlrev_b64_e32 v[26:27], v24, v[10:11]
	v_sub_nc_u32_e32 v24, 29, v22
	s_delay_alu instid0(VALU_DEP_2)
	v_and_b32_e32 v22, 7, v26
; %bb.1047:                             ;   in Loop: Header=BB290_548 Depth=1
	s_or_b32 exec_lo, exec_lo, s18
	s_delay_alu instid0(VALU_DEP_1) | instskip(NEXT) | instid1(VALU_DEP_3)
	v_dual_lshlrev_b32 v25, 8, v19 :: v_dual_lshlrev_b32 v22, 7, v22
	v_lshl_add_u32 v24, v24, 10, 0x2000
	s_delay_alu instid0(VALU_DEP_2) | instskip(NEXT) | instid1(VALU_DEP_2)
	v_and_b32_e32 v25, 0x8000, v25
	v_and_b32_e32 v24, 0xfc00, v24
	s_delay_alu instid0(VALU_DEP_1)
	v_or3_b32 v22, v25, v24, v22
.LBB290_1048:                           ;   in Loop: Header=BB290_548 Depth=1
	s_or_b32 exec_lo, exec_lo, s17
.LBB290_1049:                           ;   in Loop: Header=BB290_548 Depth=1
	s_delay_alu instid0(SALU_CYCLE_1)
	s_or_b32 exec_lo, exec_lo, s16
.LBB290_1050:                           ;   in Loop: Header=BB290_548 Depth=1
	s_delay_alu instid0(SALU_CYCLE_1) | instskip(SKIP_3) | instid1(VALU_DEP_2)
	s_or_b32 exec_lo, exec_lo, s15
	v_lshrrev_b16 v10, 8, v10
	v_mov_b32_e32 v24, 0
	s_mov_b32 s15, exec_lo
	v_cmpx_ne_u16_e32 0, v10
	s_cbranch_execz .LBB290_1058
; %bb.1051:                             ;   in Loop: Header=BB290_548 Depth=1
	v_bfrev_b32_e32 v24, 1
	s_mov_b32 s16, exec_lo
	v_cmpx_ne_u16_e32 0x80, v10
	s_cbranch_execz .LBB290_1057
; %bb.1052:                             ;   in Loop: Header=BB290_548 Depth=1
	v_and_b32_e32 v25, 0xffff, v10
	v_mov_b32_e32 v24, 0x7c010000
	s_mov_b32 s17, exec_lo
	s_delay_alu instid0(VALU_DEP_2) | instskip(NEXT) | instid1(VALU_DEP_1)
	v_and_b32_e32 v27, 0x7f, v25
	v_cmpx_ne_u32_e32 0x7f, v27
	s_cbranch_execz .LBB290_1056
; %bb.1053:                             ;   in Loop: Header=BB290_548 Depth=1
	v_dual_lshrrev_b32 v26, 3, v27 :: v_dual_bitop2_b32 v24, 7, v25 bitop3:0x40
	s_mov_b32 s18, exec_lo
	v_cmpx_gt_u32_e32 8, v27
; %bb.1054:                             ;   in Loop: Header=BB290_548 Depth=1
	s_delay_alu instid0(VALU_DEP_2) | instskip(NEXT) | instid1(VALU_DEP_1)
	v_clz_i32_u32_e32 v24, v24
	v_min_u32_e32 v24, 32, v24
	s_delay_alu instid0(VALU_DEP_1) | instskip(NEXT) | instid1(VALU_DEP_1)
	v_subrev_nc_u32_e32 v26, 28, v24
	v_lshlrev_b64_e32 v[60:61], v26, v[10:11]
	v_sub_nc_u32_e32 v26, 29, v24
	s_delay_alu instid0(VALU_DEP_2)
	v_and_b32_e32 v24, 7, v60
; %bb.1055:                             ;   in Loop: Header=BB290_548 Depth=1
	s_or_b32 exec_lo, exec_lo, s18
	s_delay_alu instid0(VALU_DEP_1) | instskip(NEXT) | instid1(VALU_DEP_3)
	v_dual_lshlrev_b32 v10, 8, v25 :: v_dual_lshlrev_b32 v24, 23, v24
	v_lshl_add_u32 v25, v26, 10, 0x2000
	s_delay_alu instid0(VALU_DEP_1) | instskip(NEXT) | instid1(VALU_DEP_1)
	v_and_or_b32 v10, 0x8000, v10, v25
	v_lshl_or_b32 v24, v10, 16, v24
.LBB290_1056:                           ;   in Loop: Header=BB290_548 Depth=1
	s_or_b32 exec_lo, exec_lo, s17
.LBB290_1057:                           ;   in Loop: Header=BB290_548 Depth=1
	s_delay_alu instid0(SALU_CYCLE_1)
	s_or_b32 exec_lo, exec_lo, s16
.LBB290_1058:                           ;   in Loop: Header=BB290_548 Depth=1
	s_delay_alu instid0(SALU_CYCLE_1) | instskip(SKIP_2) | instid1(VALU_DEP_1)
	s_or_b32 exec_lo, exec_lo, s15
	v_lshrrev_b32_e32 v10, 16, v19
	s_mov_b32 s15, exec_lo
	v_and_b32_e32 v25, 0xff, v10
	s_delay_alu instid0(VALU_DEP_1)
	v_cmpx_ne_u16_e32 0, v25
	s_cbranch_execz .LBB290_1066
; %bb.1059:                             ;   in Loop: Header=BB290_548 Depth=1
	v_mov_b32_e32 v23, 0x8000
	s_mov_b32 s16, exec_lo
	v_cmpx_ne_u16_e32 0x80, v25
	s_cbranch_execz .LBB290_1065
; %bb.1060:                             ;   in Loop: Header=BB290_548 Depth=1
	v_bfe_u32 v26, v19, 16, 7
	v_mov_b32_e32 v23, 0x7c01
	s_mov_b32 s17, exec_lo
	s_delay_alu instid0(VALU_DEP_2)
	v_cmpx_ne_u32_e32 0x7f, v26
	s_cbranch_execz .LBB290_1064
; %bb.1061:                             ;   in Loop: Header=BB290_548 Depth=1
	v_and_b32_e32 v23, 7, v10
	v_lshrrev_b32_e32 v25, 3, v26
	s_mov_b32 s18, exec_lo
	v_cmpx_gt_u32_e32 8, v26
; %bb.1062:                             ;   in Loop: Header=BB290_548 Depth=1
	s_delay_alu instid0(VALU_DEP_3) | instskip(NEXT) | instid1(VALU_DEP_1)
	v_clz_i32_u32_e32 v23, v23
	v_min_u32_e32 v23, 32, v23
	s_delay_alu instid0(VALU_DEP_1) | instskip(NEXT) | instid1(VALU_DEP_1)
	v_subrev_nc_u32_e32 v25, 28, v23
	v_lshlrev_b64_e32 v[26:27], v25, v[10:11]
	s_delay_alu instid0(VALU_DEP_1)
	v_dual_sub_nc_u32 v25, 29, v23 :: v_dual_bitop2_b32 v23, 7, v26 bitop3:0x40
; %bb.1063:                             ;   in Loop: Header=BB290_548 Depth=1
	s_or_b32 exec_lo, exec_lo, s18
	s_delay_alu instid0(VALU_DEP_1) | instskip(NEXT) | instid1(VALU_DEP_2)
	v_dual_lshlrev_b32 v10, 8, v10 :: v_dual_lshlrev_b32 v23, 7, v23
	v_lshl_add_u32 v25, v25, 10, 0x2000
	s_delay_alu instid0(VALU_DEP_2) | instskip(NEXT) | instid1(VALU_DEP_2)
	v_and_b32_e32 v10, 0x8000, v10
	v_and_b32_e32 v25, 0xfc00, v25
	s_delay_alu instid0(VALU_DEP_1)
	v_or3_b32 v23, v10, v25, v23
.LBB290_1064:                           ;   in Loop: Header=BB290_548 Depth=1
	s_or_b32 exec_lo, exec_lo, s17
.LBB290_1065:                           ;   in Loop: Header=BB290_548 Depth=1
	s_delay_alu instid0(SALU_CYCLE_1)
	s_or_b32 exec_lo, exec_lo, s16
.LBB290_1066:                           ;   in Loop: Header=BB290_548 Depth=1
	s_delay_alu instid0(SALU_CYCLE_1)
	s_or_b32 exec_lo, exec_lo, s15
	v_cmp_lt_u64_e64 s0, s[2:3], v[18:19]
	v_mov_b32_e32 v18, 0
	s_and_saveexec_b32 s15, s0
	s_cbranch_execz .LBB290_1074
; %bb.1067:                             ;   in Loop: Header=BB290_548 Depth=1
	v_lshrrev_b32_e32 v10, 24, v19
	v_bfrev_b32_e32 v18, 1
	s_mov_b32 s16, exec_lo
	s_delay_alu instid0(VALU_DEP_2)
	v_cmpx_ne_u32_e32 0x80, v10
	s_cbranch_execz .LBB290_1073
; %bb.1068:                             ;   in Loop: Header=BB290_548 Depth=1
	v_and_b32_e32 v25, 0x7f, v10
	v_mov_b32_e32 v18, 0x7c010000
	s_mov_b32 s17, exec_lo
	s_delay_alu instid0(VALU_DEP_2)
	v_cmpx_ne_u32_e32 0x7f, v25
	s_cbranch_execz .LBB290_1072
; %bb.1069:                             ;   in Loop: Header=BB290_548 Depth=1
	v_dual_lshrrev_b32 v19, 3, v25 :: v_dual_bitop2_b32 v18, 7, v10 bitop3:0x40
	s_mov_b32 s18, exec_lo
	v_cmpx_gt_u32_e32 8, v25
; %bb.1070:                             ;   in Loop: Header=BB290_548 Depth=1
	s_delay_alu instid0(VALU_DEP_2) | instskip(NEXT) | instid1(VALU_DEP_1)
	v_clz_i32_u32_e32 v18, v18
	v_min_u32_e32 v25, 32, v18
	s_delay_alu instid0(VALU_DEP_1) | instskip(NEXT) | instid1(VALU_DEP_1)
	v_subrev_nc_u32_e32 v18, 28, v25
	v_lshlrev_b64_e32 v[18:19], v18, v[10:11]
	s_delay_alu instid0(VALU_DEP_1)
	v_dual_sub_nc_u32 v19, 29, v25 :: v_dual_bitop2_b32 v18, 7, v18 bitop3:0x40
; %bb.1071:                             ;   in Loop: Header=BB290_548 Depth=1
	s_or_b32 exec_lo, exec_lo, s18
	v_lshlrev_b32_e32 v10, 8, v10
	s_delay_alu instid0(VALU_DEP_2) | instskip(NEXT) | instid1(VALU_DEP_3)
	v_lshl_add_u32 v19, v19, 10, 0x2000
	v_lshlrev_b32_e32 v18, 23, v18
	s_delay_alu instid0(VALU_DEP_2) | instskip(NEXT) | instid1(VALU_DEP_1)
	v_and_or_b32 v10, 0x8000, v10, v19
	v_lshl_or_b32 v18, v10, 16, v18
.LBB290_1072:                           ;   in Loop: Header=BB290_548 Depth=1
	s_or_b32 exec_lo, exec_lo, s17
.LBB290_1073:                           ;   in Loop: Header=BB290_548 Depth=1
	s_delay_alu instid0(SALU_CYCLE_1)
	s_or_b32 exec_lo, exec_lo, s16
.LBB290_1074:                           ;   in Loop: Header=BB290_548 Depth=1
	s_delay_alu instid0(SALU_CYCLE_1) | instskip(SKIP_3) | instid1(VALU_DEP_3)
	s_or_b32 exec_lo, exec_lo, s15
	v_dual_lshrrev_b32 v10, 16, v1 :: v_dual_lshrrev_b32 v19, 16, v20
	v_or_b32_e32 v1, v1, v17
	v_dual_lshrrev_b32 v25, 16, v18 :: v_dual_bitop2_b32 v17, v20, v21 bitop3:0x54
	v_cvt_f32_f16_e32 v21, v10
	s_delay_alu instid0(VALU_DEP_4) | instskip(SKIP_1) | instid1(VALU_DEP_4)
	v_cvt_f32_f16_e32 v20, v19
	v_dual_lshrrev_b32 v23, 16, v24 :: v_dual_bitop2_b32 v10, v18, v23 bitop3:0x54
	v_cvt_f32_f16_e32 v18, v17
	v_cvt_f32_f16_e32 v19, v1
	s_wait_loadcnt 0x0
	v_pk_mul_f32 v[20:21], v[16:17], v[20:21] op_sel_hi:[0,1]
	v_or_b32_e32 v17, v24, v22
	v_cvt_f32_f16_e32 v23, v23
	v_cvt_f32_f16_e32 v22, v25
	s_delay_alu instid0(VALU_DEP_4) | instskip(NEXT) | instid1(VALU_DEP_4)
	v_cvt_pk_f16_f32 v1, v20, v21
	v_cvt_f32_f16_e32 v25, v17
	v_pk_mul_f32 v[18:19], v[16:17], v[18:19] op_sel_hi:[0,1]
	s_delay_alu instid0(VALU_DEP_4) | instskip(NEXT) | instid1(VALU_DEP_4)
	v_pk_mul_f32 v[20:21], v[16:17], v[22:23] op_sel_hi:[0,1]
	v_lshlrev_b32_e32 v22, 16, v1
	v_cvt_f32_f16_e32 v24, v10
	s_delay_alu instid0(VALU_DEP_4) | instskip(SKIP_2) | instid1(VALU_DEP_4)
	v_cvt_pk_f16_f32 v10, v18, v19
	v_and_b32_e32 v23, 0xffff0000, v1
	v_cvt_pk_f16_f32 v18, v20, v21
	v_pk_mul_f32 v[16:17], v[16:17], v[24:25] op_sel_hi:[0,1]
	s_delay_alu instid0(VALU_DEP_4) | instskip(SKIP_1) | instid1(VALU_DEP_4)
	v_and_b32_e32 v24, 0xffff, v10
	v_lshrrev_b32_e32 v25, 16, v10
	v_and_b32_e32 v19, 0xffff0000, v18
	s_delay_alu instid0(VALU_DEP_4) | instskip(NEXT) | instid1(VALU_DEP_4)
	v_cvt_pk_f16_f32 v1, v16, v17
	v_dual_lshlrev_b32 v18, 16, v18 :: v_dual_bitop2_b32 v16, v22, v24 bitop3:0x54
	s_delay_alu instid0(VALU_DEP_4) | instskip(NEXT) | instid1(VALU_DEP_3)
	v_or_b32_e32 v17, v23, v25
	v_lshrrev_b32_e32 v21, 16, v1
	v_and_b32_e32 v20, 0xffff, v1
	s_delay_alu instid0(VALU_DEP_2) | instskip(NEXT) | instid1(VALU_DEP_2)
	v_or_b32_e32 v1, v19, v21
	v_or_b32_e32 v10, v18, v20
	s_and_saveexec_b32 s0, vcc_lo
	s_cbranch_execz .LBB290_547
; %bb.1075:                             ;   in Loop: Header=BB290_548 Depth=1
	v_cmp_gt_i32_e32 vcc_lo, s14, v31
	v_cndmask_b32_e32 v1, 0, v25, vcc_lo
	v_cmp_gt_i32_e32 vcc_lo, s25, v40
	v_cndmask_b32_e32 v10, 0, v24, vcc_lo
	;; [unrolled: 2-line block ×4, first 2 shown]
	v_cmp_gt_i32_e32 vcc_lo, s14, v37
	s_delay_alu instid0(VALU_DEP_4) | instskip(NEXT) | instid1(VALU_DEP_3)
	v_or_b32_e32 v17, v16, v1
	v_dual_cndmask_b32 v21, 0, v21, vcc_lo :: v_dual_bitop2_b32 v16, v22, v10 bitop3:0x54
	v_cmp_gt_i32_e32 vcc_lo, s25, v36
	v_cndmask_b32_e32 v20, 0, v20, vcc_lo
	v_cmp_gt_i32_e32 vcc_lo, s14, v35
	v_cndmask_b32_e32 v19, 0, v19, vcc_lo
	v_cmp_gt_i32_e32 vcc_lo, s25, v34
	s_delay_alu instid0(VALU_DEP_2) | instskip(NEXT) | instid1(VALU_DEP_1)
	v_dual_cndmask_b32 v18, 0, v18, vcc_lo :: v_dual_bitop2_b32 v1, v19, v21 bitop3:0x54
	v_or_b32_e32 v10, v18, v20
	s_branch .LBB290_547
.LBB290_1076:
	s_or_b32 exec_lo, exec_lo, s11
.LBB290_1077:
	s_delay_alu instid0(SALU_CYCLE_1)
	s_or_b32 exec_lo, exec_lo, s1
	ds_bpermute_b32 v10, v29, v8
	ds_bpermute_b32 v11, v29, v9
	;; [unrolled: 1-line block ×8, first 2 shown]
	v_and_b32_e32 v20, 0x3c3, v0
	v_and_b32_e32 v1, 28, v89
	s_mov_b32 s0, exec_lo
	s_wait_dscnt 0x0
	s_barrier_signal -1
	s_barrier_wait -1
	v_pk_add_f32 v[18:19], v[8:9], v[10:11]
	v_pk_add_f32 v[12:13], v[6:7], v[12:13]
	;; [unrolled: 1-line block ×4, first 2 shown]
	ds_bpermute_b32 v2, v28, v18
	ds_bpermute_b32 v3, v28, v19
	;; [unrolled: 1-line block ×8, first 2 shown]
	s_wait_dscnt 0x6
	v_pk_add_f32 v[6:7], v[18:19], v[2:3]
	s_wait_dscnt 0x4
	v_pk_add_f32 v[4:5], v[12:13], v[4:5]
	;; [unrolled: 2-line block ×3, first 2 shown]
	v_cmpx_ne_u32_e32 64, v20
	s_xor_b32 s0, exec_lo, s0
	s_delay_alu instid0(SALU_CYCLE_1)
	s_or_saveexec_b32 s0, s0
	s_wait_dscnt 0x0
	v_pk_add_f32 v[8:9], v[8:9], v[10:11]
	v_lshrrev_b32_e32 v11, 2, v89
	v_add_nc_u32_e32 v10, 0xa0, v1
	v_lshlrev_b32_e32 v1, 8, v88
	s_xor_b32 exec_lo, exec_lo, s0
	s_cbranch_execz .LBB290_1079
; %bb.1078:
	s_delay_alu instid0(VALU_DEP_1) | instskip(NEXT) | instid1(VALU_DEP_1)
	v_add_nc_u32_e32 v12, v10, v1
	v_add_nc_u32_e32 v13, 0xfffffe00, v12
	;; [unrolled: 1-line block ×9, first 2 shown]
	ds_store_b32 v13, v6
	ds_store_b32 v14, v7
	;; [unrolled: 1-line block ×8, first 2 shown]
.LBB290_1079:
	s_or_b32 exec_lo, exec_lo, s0
	v_lshlrev_b32_e32 v11, 2, v11
	s_mov_b32 s1, exec_lo
	v_cmp_eq_u32_e32 vcc_lo, 0, v30
	s_wait_dscnt 0x0
	s_barrier_signal -1
	v_add3_u32 v1, 0xa0, v1, v11
	s_barrier_wait -1
	v_cmpx_gt_u32_e32 64, v0
	s_cbranch_execz .LBB290_1090
; %bb.1080:
	s_and_saveexec_b32 s0, vcc_lo
	s_cbranch_execnz .LBB290_1106
; %bb.1081:
	s_or_b32 exec_lo, exec_lo, s0
	s_and_saveexec_b32 s0, vcc_lo
	s_cbranch_execnz .LBB290_1107
.LBB290_1082:
	s_or_b32 exec_lo, exec_lo, s0
	s_and_saveexec_b32 s0, vcc_lo
	s_cbranch_execnz .LBB290_1108
.LBB290_1083:
	s_or_b32 exec_lo, exec_lo, s0
	s_and_saveexec_b32 s0, vcc_lo
	s_cbranch_execnz .LBB290_1109
.LBB290_1084:
	s_or_b32 exec_lo, exec_lo, s0
	s_and_saveexec_b32 s0, vcc_lo
	s_cbranch_execnz .LBB290_1110
.LBB290_1085:
	s_or_b32 exec_lo, exec_lo, s0
	s_and_saveexec_b32 s0, vcc_lo
	s_cbranch_execnz .LBB290_1111
.LBB290_1086:
	s_or_b32 exec_lo, exec_lo, s0
	s_and_saveexec_b32 s0, vcc_lo
	s_cbranch_execnz .LBB290_1112
.LBB290_1087:
	s_or_b32 exec_lo, exec_lo, s0
	s_and_saveexec_b32 s0, vcc_lo
	s_cbranch_execz .LBB290_1089
.LBB290_1088:
	ds_load_b32 v11, v1 offset:224
	s_wait_dscnt 0x0
	v_add_f32_e32 v9, v9, v11
.LBB290_1089:
	s_or_b32 exec_lo, exec_lo, s0
.LBB290_1090:
	s_delay_alu instid0(SALU_CYCLE_1) | instskip(SKIP_4) | instid1(VALU_DEP_1)
	s_or_b32 exec_lo, exec_lo, s1
	v_and_b32_e32 v11, 0x3e3, v0
	s_mov_b32 s1, exec_lo
	s_barrier_signal -1
	s_barrier_wait -1
	v_cmpx_eq_u32_e32 32, v11
	s_cbranch_execz .LBB290_1092
; %bb.1091:
	ds_store_2addr_b32 v10, v6, v7 offset1:8
	ds_store_2addr_b32 v10, v4, v5 offset0:16 offset1:24
	ds_store_2addr_b32 v10, v2, v3 offset0:32 offset1:40
	;; [unrolled: 1-line block ×3, first 2 shown]
.LBB290_1092:
	s_or_b32 exec_lo, exec_lo, s1
	s_delay_alu instid0(SALU_CYCLE_1)
	s_mov_b32 s1, exec_lo
	s_wait_dscnt 0x0
	s_barrier_signal -1
	s_barrier_wait -1
	v_cmpx_gt_u32_e32 32, v0
	s_cbranch_execz .LBB290_1103
; %bb.1093:
	s_and_saveexec_b32 s0, vcc_lo
	s_cbranch_execnz .LBB290_1113
; %bb.1094:
	s_or_b32 exec_lo, exec_lo, s0
	s_and_saveexec_b32 s0, vcc_lo
	s_cbranch_execnz .LBB290_1114
.LBB290_1095:
	s_or_b32 exec_lo, exec_lo, s0
	s_and_saveexec_b32 s0, vcc_lo
	s_cbranch_execnz .LBB290_1115
.LBB290_1096:
	s_or_b32 exec_lo, exec_lo, s0
	s_and_saveexec_b32 s0, vcc_lo
	s_cbranch_execnz .LBB290_1116
.LBB290_1097:
	s_or_b32 exec_lo, exec_lo, s0
	s_and_saveexec_b32 s0, vcc_lo
	s_cbranch_execnz .LBB290_1117
.LBB290_1098:
	s_or_b32 exec_lo, exec_lo, s0
	s_and_saveexec_b32 s0, vcc_lo
	s_cbranch_execnz .LBB290_1118
.LBB290_1099:
	s_or_b32 exec_lo, exec_lo, s0
	s_and_saveexec_b32 s0, vcc_lo
	s_cbranch_execnz .LBB290_1119
.LBB290_1100:
	s_or_b32 exec_lo, exec_lo, s0
	s_and_saveexec_b32 s0, vcc_lo
	s_cbranch_execz .LBB290_1102
.LBB290_1101:
	ds_load_b32 v1, v1 offset:224
	s_wait_dscnt 0x0
	v_add_f32_e32 v9, v9, v1
.LBB290_1102:
	s_or_b32 exec_lo, exec_lo, s0
.LBB290_1103:
	s_delay_alu instid0(SALU_CYCLE_1)
	s_or_b32 exec_lo, exec_lo, s1
	s_mov_b32 s1, 0
	s_barrier_signal -1
	s_barrier_wait -1
	s_mov_b32 s0, exec_lo
	v_cmpx_eq_u32_e32 0, v11
	s_cbranch_execz .LBB290_1105
; %bb.1104:
	s_mul_i32 s0, s24, s8
	s_mul_i32 s2, s8, s12
	;; [unrolled: 1-line block ×3, first 2 shown]
	s_lshr_b32 s8, ttmp7, 16
	s_lshl_b32 s6, s0, 6
	s_bfe_u32 s0, ttmp6, 0x40014
	s_ashr_i32 s7, s6, 31
	s_add_co_i32 s0, s0, 1
	s_lshl_b64 s[6:7], s[6:7], 1
	s_ashr_i32 s3, s2, 31
	s_wait_kmcnt 0x0
	s_add_nc_u64 s[4:5], s[4:5], s[6:7]
	s_mul_i32 s0, s8, s0
	s_bfe_u32 s6, ttmp6, 0x40008
	s_lshl_b64 s[2:3], s[2:3], 1
	s_add_co_i32 s6, s6, s0
	s_cmp_eq_u32 s22, 0
	v_lshrrev_b32_e32 v0, 1, v0
	s_cselect_b32 s0, s8, s6
	s_add_nc_u64 s[2:3], s[4:5], s[2:3]
	s_lshl_b32 s0, s0, 7
	;;#ASMSTART
	v_cvt_f16_f32 v1, v6;

	;;#ASMEND
	s_add_nc_u64 s[0:1], s[2:3], s[0:1]
	global_store_b16 v0, v1, s[0:1]
	s_wait_xcnt 0x0
	;;#ASMSTART
	v_cvt_f16_f32 v1, v7;

	;;#ASMEND
	global_store_b16 v0, v1, s[0:1] offset:16
	s_wait_xcnt 0x0
	;;#ASMSTART
	v_cvt_f16_f32 v1, v4;

	;;#ASMEND
	global_store_b16 v0, v1, s[0:1] offset:32
	s_wait_xcnt 0x0
	;;#ASMSTART
	v_cvt_f16_f32 v1, v5;

	;;#ASMEND
	global_store_b16 v0, v1, s[0:1] offset:48
	s_wait_xcnt 0x0
	;;#ASMSTART
	v_cvt_f16_f32 v1, v2;

	;;#ASMEND
	global_store_b16 v0, v1, s[0:1] offset:64
	s_wait_xcnt 0x0
	;;#ASMSTART
	v_cvt_f16_f32 v1, v3;

	;;#ASMEND
	global_store_b16 v0, v1, s[0:1] offset:80
	s_wait_xcnt 0x0
	;;#ASMSTART
	v_cvt_f16_f32 v1, v8;

	;;#ASMEND
	global_store_b16 v0, v1, s[0:1] offset:96
	s_wait_xcnt 0x0
	;;#ASMSTART
	v_cvt_f16_f32 v1, v9;

	;;#ASMEND
	global_store_b16 v0, v1, s[0:1] offset:112
.LBB290_1105:
	s_sendmsg sendmsg(MSG_DEALLOC_VGPRS)
	s_endpgm
.LBB290_1106:
	ds_load_b32 v11, v1
	s_wait_dscnt 0x0
	v_add_f32_e32 v6, v6, v11
	s_or_b32 exec_lo, exec_lo, s0
	s_and_saveexec_b32 s0, vcc_lo
	s_cbranch_execz .LBB290_1082
.LBB290_1107:
	ds_load_b32 v11, v1 offset:32
	s_wait_dscnt 0x0
	v_add_f32_e32 v7, v7, v11
	s_or_b32 exec_lo, exec_lo, s0
	s_and_saveexec_b32 s0, vcc_lo
	s_cbranch_execz .LBB290_1083
.LBB290_1108:
	ds_load_b32 v11, v1 offset:64
	s_wait_dscnt 0x0
	v_add_f32_e32 v4, v4, v11
	s_or_b32 exec_lo, exec_lo, s0
	s_and_saveexec_b32 s0, vcc_lo
	s_cbranch_execz .LBB290_1084
.LBB290_1109:
	ds_load_b32 v11, v1 offset:96
	s_wait_dscnt 0x0
	v_add_f32_e32 v5, v5, v11
	s_or_b32 exec_lo, exec_lo, s0
	s_and_saveexec_b32 s0, vcc_lo
	s_cbranch_execz .LBB290_1085
.LBB290_1110:
	ds_load_b32 v11, v1 offset:128
	s_wait_dscnt 0x0
	v_add_f32_e32 v2, v2, v11
	s_or_b32 exec_lo, exec_lo, s0
	s_and_saveexec_b32 s0, vcc_lo
	s_cbranch_execz .LBB290_1086
.LBB290_1111:
	ds_load_b32 v11, v1 offset:160
	s_wait_dscnt 0x0
	v_add_f32_e32 v3, v3, v11
	s_or_b32 exec_lo, exec_lo, s0
	s_and_saveexec_b32 s0, vcc_lo
	s_cbranch_execz .LBB290_1087
.LBB290_1112:
	ds_load_b32 v11, v1 offset:192
	s_wait_dscnt 0x0
	v_add_f32_e32 v8, v8, v11
	s_or_b32 exec_lo, exec_lo, s0
	s_and_saveexec_b32 s0, vcc_lo
	s_cbranch_execnz .LBB290_1088
	s_branch .LBB290_1089
.LBB290_1113:
	ds_load_b32 v10, v1
	s_wait_dscnt 0x0
	v_add_f32_e32 v6, v6, v10
	s_or_b32 exec_lo, exec_lo, s0
	s_and_saveexec_b32 s0, vcc_lo
	s_cbranch_execz .LBB290_1095
.LBB290_1114:
	ds_load_b32 v10, v1 offset:32
	s_wait_dscnt 0x0
	v_add_f32_e32 v7, v7, v10
	s_or_b32 exec_lo, exec_lo, s0
	s_and_saveexec_b32 s0, vcc_lo
	s_cbranch_execz .LBB290_1096
.LBB290_1115:
	ds_load_b32 v10, v1 offset:64
	s_wait_dscnt 0x0
	v_add_f32_e32 v4, v4, v10
	s_or_b32 exec_lo, exec_lo, s0
	s_and_saveexec_b32 s0, vcc_lo
	s_cbranch_execz .LBB290_1097
.LBB290_1116:
	ds_load_b32 v10, v1 offset:96
	s_wait_dscnt 0x0
	v_add_f32_e32 v5, v5, v10
	s_or_b32 exec_lo, exec_lo, s0
	s_and_saveexec_b32 s0, vcc_lo
	s_cbranch_execz .LBB290_1098
.LBB290_1117:
	ds_load_b32 v10, v1 offset:128
	s_wait_dscnt 0x0
	v_add_f32_e32 v2, v2, v10
	s_or_b32 exec_lo, exec_lo, s0
	s_and_saveexec_b32 s0, vcc_lo
	s_cbranch_execz .LBB290_1099
.LBB290_1118:
	ds_load_b32 v10, v1 offset:160
	s_wait_dscnt 0x0
	v_add_f32_e32 v3, v3, v10
	s_or_b32 exec_lo, exec_lo, s0
	s_and_saveexec_b32 s0, vcc_lo
	s_cbranch_execz .LBB290_1100
.LBB290_1119:
	ds_load_b32 v10, v1 offset:192
	s_wait_dscnt 0x0
	v_add_f32_e32 v8, v8, v10
	s_or_b32 exec_lo, exec_lo, s0
	s_and_saveexec_b32 s0, vcc_lo
	s_cbranch_execnz .LBB290_1101
	s_branch .LBB290_1102
	.section	.rodata,"a",@progbits
	.p2align	6, 0x0
	.amdhsa_kernel _ZN4vllm25paged_attention_v1_kernelIthLi64ELi32ELi128ELNS_18Fp8KVCacheDataTypeE1ELb0EEEvPT_PKS2_PKT0_S8_ifPKiSA_iPKfiiiSC_SC_iiiii
		.amdhsa_group_segment_fixed_size 160
		.amdhsa_private_segment_fixed_size 0
		.amdhsa_kernarg_size 384
		.amdhsa_user_sgpr_count 2
		.amdhsa_user_sgpr_dispatch_ptr 0
		.amdhsa_user_sgpr_queue_ptr 0
		.amdhsa_user_sgpr_kernarg_segment_ptr 1
		.amdhsa_user_sgpr_dispatch_id 0
		.amdhsa_user_sgpr_kernarg_preload_length 0
		.amdhsa_user_sgpr_kernarg_preload_offset 0
		.amdhsa_user_sgpr_private_segment_size 0
		.amdhsa_wavefront_size32 1
		.amdhsa_uses_dynamic_stack 0
		.amdhsa_enable_private_segment 0
		.amdhsa_system_sgpr_workgroup_id_x 1
		.amdhsa_system_sgpr_workgroup_id_y 1
		.amdhsa_system_sgpr_workgroup_id_z 1
		.amdhsa_system_sgpr_workgroup_info 0
		.amdhsa_system_vgpr_workitem_id 0
		.amdhsa_next_free_vgpr 122
		.amdhsa_next_free_sgpr 34
		.amdhsa_named_barrier_count 0
		.amdhsa_reserve_vcc 1
		.amdhsa_float_round_mode_32 0
		.amdhsa_float_round_mode_16_64 0
		.amdhsa_float_denorm_mode_32 3
		.amdhsa_float_denorm_mode_16_64 3
		.amdhsa_fp16_overflow 0
		.amdhsa_memory_ordered 1
		.amdhsa_forward_progress 1
		.amdhsa_inst_pref_size 255
		.amdhsa_round_robin_scheduling 0
		.amdhsa_exception_fp_ieee_invalid_op 0
		.amdhsa_exception_fp_denorm_src 0
		.amdhsa_exception_fp_ieee_div_zero 0
		.amdhsa_exception_fp_ieee_overflow 0
		.amdhsa_exception_fp_ieee_underflow 0
		.amdhsa_exception_fp_ieee_inexact 0
		.amdhsa_exception_int_div_zero 0
	.end_amdhsa_kernel
	.section	.text._ZN4vllm25paged_attention_v1_kernelIthLi64ELi32ELi128ELNS_18Fp8KVCacheDataTypeE1ELb0EEEvPT_PKS2_PKT0_S8_ifPKiSA_iPKfiiiSC_SC_iiiii,"axG",@progbits,_ZN4vllm25paged_attention_v1_kernelIthLi64ELi32ELi128ELNS_18Fp8KVCacheDataTypeE1ELb0EEEvPT_PKS2_PKT0_S8_ifPKiSA_iPKfiiiSC_SC_iiiii,comdat
.Lfunc_end290:
	.size	_ZN4vllm25paged_attention_v1_kernelIthLi64ELi32ELi128ELNS_18Fp8KVCacheDataTypeE1ELb0EEEvPT_PKS2_PKT0_S8_ifPKiSA_iPKfiiiSC_SC_iiiii, .Lfunc_end290-_ZN4vllm25paged_attention_v1_kernelIthLi64ELi32ELi128ELNS_18Fp8KVCacheDataTypeE1ELb0EEEvPT_PKS2_PKT0_S8_ifPKiSA_iPKfiiiSC_SC_iiiii
                                        ; -- End function
	.set _ZN4vllm25paged_attention_v1_kernelIthLi64ELi32ELi128ELNS_18Fp8KVCacheDataTypeE1ELb0EEEvPT_PKS2_PKT0_S8_ifPKiSA_iPKfiiiSC_SC_iiiii.num_vgpr, 122
	.set _ZN4vllm25paged_attention_v1_kernelIthLi64ELi32ELi128ELNS_18Fp8KVCacheDataTypeE1ELb0EEEvPT_PKS2_PKT0_S8_ifPKiSA_iPKfiiiSC_SC_iiiii.num_agpr, 0
	.set _ZN4vllm25paged_attention_v1_kernelIthLi64ELi32ELi128ELNS_18Fp8KVCacheDataTypeE1ELb0EEEvPT_PKS2_PKT0_S8_ifPKiSA_iPKfiiiSC_SC_iiiii.numbered_sgpr, 34
	.set _ZN4vllm25paged_attention_v1_kernelIthLi64ELi32ELi128ELNS_18Fp8KVCacheDataTypeE1ELb0EEEvPT_PKS2_PKT0_S8_ifPKiSA_iPKfiiiSC_SC_iiiii.num_named_barrier, 0
	.set _ZN4vllm25paged_attention_v1_kernelIthLi64ELi32ELi128ELNS_18Fp8KVCacheDataTypeE1ELb0EEEvPT_PKS2_PKT0_S8_ifPKiSA_iPKfiiiSC_SC_iiiii.private_seg_size, 0
	.set _ZN4vllm25paged_attention_v1_kernelIthLi64ELi32ELi128ELNS_18Fp8KVCacheDataTypeE1ELb0EEEvPT_PKS2_PKT0_S8_ifPKiSA_iPKfiiiSC_SC_iiiii.uses_vcc, 1
	.set _ZN4vllm25paged_attention_v1_kernelIthLi64ELi32ELi128ELNS_18Fp8KVCacheDataTypeE1ELb0EEEvPT_PKS2_PKT0_S8_ifPKiSA_iPKfiiiSC_SC_iiiii.uses_flat_scratch, 0
	.set _ZN4vllm25paged_attention_v1_kernelIthLi64ELi32ELi128ELNS_18Fp8KVCacheDataTypeE1ELb0EEEvPT_PKS2_PKT0_S8_ifPKiSA_iPKfiiiSC_SC_iiiii.has_dyn_sized_stack, 0
	.set _ZN4vllm25paged_attention_v1_kernelIthLi64ELi32ELi128ELNS_18Fp8KVCacheDataTypeE1ELb0EEEvPT_PKS2_PKT0_S8_ifPKiSA_iPKfiiiSC_SC_iiiii.has_recursion, 0
	.set _ZN4vllm25paged_attention_v1_kernelIthLi64ELi32ELi128ELNS_18Fp8KVCacheDataTypeE1ELb0EEEvPT_PKS2_PKT0_S8_ifPKiSA_iPKfiiiSC_SC_iiiii.has_indirect_call, 0
	.section	.AMDGPU.csdata,"",@progbits
; Kernel info:
; codeLenInByte = 39076
; TotalNumSgprs: 36
; NumVgprs: 122
; ScratchSize: 0
; MemoryBound: 0
; FloatMode: 240
; IeeeMode: 1
; LDSByteSize: 160 bytes/workgroup (compile time only)
; SGPRBlocks: 0
; VGPRBlocks: 7
; NumSGPRsForWavesPerEU: 36
; NumVGPRsForWavesPerEU: 122
; NamedBarCnt: 0
; Occupancy: 8
; WaveLimiterHint : 1
; COMPUTE_PGM_RSRC2:SCRATCH_EN: 0
; COMPUTE_PGM_RSRC2:USER_SGPR: 2
; COMPUTE_PGM_RSRC2:TRAP_HANDLER: 0
; COMPUTE_PGM_RSRC2:TGID_X_EN: 1
; COMPUTE_PGM_RSRC2:TGID_Y_EN: 1
; COMPUTE_PGM_RSRC2:TGID_Z_EN: 1
; COMPUTE_PGM_RSRC2:TIDIG_COMP_CNT: 0
	.section	.text._ZN4vllm25paged_attention_v1_kernelIthLi80ELi32ELi128ELNS_18Fp8KVCacheDataTypeE1ELb0EEEvPT_PKS2_PKT0_S8_ifPKiSA_iPKfiiiSC_SC_iiiii,"axG",@progbits,_ZN4vllm25paged_attention_v1_kernelIthLi80ELi32ELi128ELNS_18Fp8KVCacheDataTypeE1ELb0EEEvPT_PKS2_PKT0_S8_ifPKiSA_iPKfiiiSC_SC_iiiii,comdat
	.protected	_ZN4vllm25paged_attention_v1_kernelIthLi80ELi32ELi128ELNS_18Fp8KVCacheDataTypeE1ELb0EEEvPT_PKS2_PKT0_S8_ifPKiSA_iPKfiiiSC_SC_iiiii ; -- Begin function _ZN4vllm25paged_attention_v1_kernelIthLi80ELi32ELi128ELNS_18Fp8KVCacheDataTypeE1ELb0EEEvPT_PKS2_PKT0_S8_ifPKiSA_iPKfiiiSC_SC_iiiii
	.globl	_ZN4vllm25paged_attention_v1_kernelIthLi80ELi32ELi128ELNS_18Fp8KVCacheDataTypeE1ELb0EEEvPT_PKS2_PKT0_S8_ifPKiSA_iPKfiiiSC_SC_iiiii
	.p2align	8
	.type	_ZN4vllm25paged_attention_v1_kernelIthLi80ELi32ELi128ELNS_18Fp8KVCacheDataTypeE1ELb0EEEvPT_PKS2_PKT0_S8_ifPKiSA_iPKfiiiSC_SC_iiiii,@function
_ZN4vllm25paged_attention_v1_kernelIthLi80ELi32ELi128ELNS_18Fp8KVCacheDataTypeE1ELb0EEEvPT_PKS2_PKT0_S8_ifPKiSA_iPKfiiiSC_SC_iiiii: ; @_ZN4vllm25paged_attention_v1_kernelIthLi80ELi32ELi128ELNS_18Fp8KVCacheDataTypeE1ELb0EEEvPT_PKS2_PKT0_S8_ifPKiSA_iPKfiiiSC_SC_iiiii
; %bb.0:
	s_load_b64 s[18:19], s[0:1], 0x20
	s_bfe_u32 s3, ttmp6, 0x4000c
	s_bfe_u32 s5, ttmp6, 0x40010
	s_and_b32 s4, ttmp7, 0xffff
	s_add_co_i32 s3, s3, 1
	s_add_co_i32 s5, s5, 1
	s_and_b32 s2, ttmp6, 15
	s_bfe_u32 s6, ttmp6, 0x40004
	s_mul_i32 s3, ttmp9, s3
	s_mul_i32 s5, s4, s5
	s_getreg_b32 s22, hwreg(HW_REG_IB_STS2, 6, 4)
	s_add_co_i32 s2, s2, s3
	s_add_co_i32 s3, s6, s5
	s_cmp_eq_u32 s22, 0
	s_clause 0x1
	s_load_b32 s23, s[0:1], 0x80
	s_load_b64 s[6:7], s[0:1], 0x30
	s_cselect_b32 s24, s4, s3
	s_cselect_b32 s4, ttmp9, s2
	s_wait_kmcnt 0x0
	s_abs_i32 s2, s18
	s_delay_alu instid0(SALU_CYCLE_1) | instskip(SKIP_1) | instid1(SALU_CYCLE_2)
	s_cvt_f32_u32 s3, s2
	s_sub_co_i32 s5, 0, s2
	v_rcp_iflag_f32_e32 v1, s3
	s_abs_i32 s8, s23
	v_nop
	s_delay_alu instid0(TRANS32_DEP_1) | instskip(SKIP_1) | instid1(SALU_CYCLE_3)
	v_readfirstlane_b32 s3, v1
	s_mul_f32 s3, s3, 0x4f7ffffe
	s_cvt_u32_f32 s3, s3
	s_delay_alu instid0(SALU_CYCLE_3) | instskip(NEXT) | instid1(SALU_CYCLE_1)
	s_mul_i32 s5, s5, s3
	s_mul_hi_u32 s5, s3, s5
	s_delay_alu instid0(SALU_CYCLE_1) | instskip(SKIP_4) | instid1(SALU_CYCLE_1)
	s_add_co_i32 s3, s3, s5
	s_xor_b32 s5, s23, s18
	s_mul_hi_u32 s3, s8, s3
	s_ashr_i32 s5, s5, 31
	s_mul_i32 s9, s3, s2
	s_sub_co_i32 s8, s8, s9
	s_add_co_i32 s9, s3, 1
	s_sub_co_i32 s10, s8, s2
	s_cmp_ge_u32 s8, s2
	s_cselect_b32 s3, s9, s3
	s_cselect_b32 s8, s10, s8
	s_add_co_i32 s9, s3, 1
	s_cmp_ge_u32 s8, s2
	s_cselect_b32 s2, s9, s3
	s_load_b64 s[8:9], s[0:1], 0x40
	s_xor_b32 s2, s2, s5
	s_mov_b32 s3, 0
	s_sub_co_i32 s14, s2, s5
	s_mov_b32 s13, s3
	s_abs_i32 s11, s14
	s_mov_b32 s18, s3
	s_cvt_f32_u32 s2, s11
	s_delay_alu instid0(SALU_CYCLE_3) | instskip(SKIP_1) | instid1(TRANS32_DEP_1)
	v_rcp_iflag_f32_e32 v1, s2
	v_nop
	v_readfirstlane_b32 s2, v1
	s_mul_f32 s2, s2, 0x4f7ffffe
	s_delay_alu instid0(SALU_CYCLE_3) | instskip(SKIP_1) | instid1(SALU_CYCLE_2)
	s_cvt_u32_f32 s5, s2
	s_sub_co_i32 s2, 0, s11
	s_mul_i32 s2, s2, s5
	s_delay_alu instid0(SALU_CYCLE_1)
	s_mul_hi_u32 s10, s5, s2
	s_abs_i32 s2, s4
	s_add_co_i32 s12, s5, s10
	s_wait_kmcnt 0x0
	s_cmp_eq_u64 s[8:9], 0
	s_cbranch_scc1 .LBB291_2
; %bb.1:
	s_ashr_i32 s5, s4, 31
	s_delay_alu instid0(SALU_CYCLE_1) | instskip(NEXT) | instid1(SALU_CYCLE_1)
	s_lshl_b64 s[16:17], s[4:5], 2
	s_add_nc_u64 s[8:9], s[8:9], s[16:17]
	s_load_b32 s18, s[8:9], 0x0
.LBB291_2:
	s_load_b32 s25, s[6:7], s24 offset:0x0 scale_offset
	s_wait_xcnt 0x0
	s_load_b96 s[8:10], s[0:1], 0x48
	s_ashr_i32 s5, s4, 31
	s_ashr_i32 s6, s14, 31
	s_mul_u64 s[16:17], s[2:3], s[12:13]
	s_mul_i32 s12, s4, 0x50
	s_mov_b32 s3, exec_lo
	v_cmpx_gt_u32_e32 10, v0
	s_cbranch_execz .LBB291_4
; %bb.3:
	s_load_b64 s[14:15], s[0:1], 0x8
	s_wait_kmcnt 0x0
	s_mul_i32 s20, s8, s24
	s_ashr_i32 s13, s12, 31
	s_ashr_i32 s21, s20, 31
	v_lshlrev_b32_e32 v1, 4, v0
	s_lshl_b64 s[20:21], s[20:21], 1
	s_delay_alu instid0(SALU_CYCLE_1) | instskip(SKIP_1) | instid1(SALU_CYCLE_1)
	s_add_nc_u64 s[14:15], s[14:15], s[20:21]
	s_lshl_b64 s[20:21], s[12:13], 1
	s_add_nc_u64 s[14:15], s[14:15], s[20:21]
	global_load_b128 v[2:5], v0, s[14:15] scale_offset
	s_wait_loadcnt 0x0
	ds_store_b128 v1, v[2:5]
.LBB291_4:
	s_or_b32 exec_lo, exec_lo, s3
	s_wait_kmcnt 0x0
	s_add_co_i32 s3, s25, 31
	s_clause 0x1
	s_load_b64 s[14:15], s[0:1], 0x28
	s_load_b32 s16, s[0:1], 0x38
	s_ashr_i32 s4, s3, 31
	s_xor_b32 s20, s5, s6
	s_lshr_b32 s4, s4, 27
	v_dual_lshrrev_b32 v98, 5, v0 :: v_dual_bitop2_b32 v99, 31, v0 bitop3:0x40
	s_add_co_i32 s3, s3, s4
	s_mul_i32 s4, s17, s11
	s_ashr_i32 s13, s3, 5
	s_sub_co_i32 s2, s2, s4
	s_clause 0x1
	s_load_b32 s8, s[0:1], 0x88
	s_load_b128 s[4:7], s[0:1], 0x58
	s_add_co_i32 s3, s17, 1
	s_sub_co_i32 s21, s2, s11
	s_cmp_ge_u32 s2, s11
	v_dual_mov_b32 v101, 0xff7fffff :: v_dual_lshlrev_b32 v100, 2, v99
	s_cselect_b32 s3, s3, s17
	s_cselect_b32 s2, s21, s2
	s_add_co_i32 s17, s3, 1
	s_cmp_ge_u32 s2, s11
	v_lshrrev_b32_e32 v1, 3, v0
	s_cselect_b32 s2, s17, s3
	s_wait_kmcnt 0x0
	s_mul_i32 s16, s16, s24
	s_xor_b32 s2, s2, s20
	s_ashr_i32 s17, s16, 31
	s_sub_co_i32 s3, s2, s20
	v_cmp_gt_i32_e64 s2, s13, v98
	s_mul_i32 s10, s3, s10
	s_wait_dscnt 0x0
	s_barrier_signal -1
	s_barrier_wait -1
	s_and_saveexec_b32 s26, s2
	s_cbranch_execz .LBB291_648
; %bb.5:
	s_load_b64 s[20:21], s[0:1], 0x10
	v_dual_mov_b32 v7, 0 :: v_dual_lshlrev_b32 v6, 4, v99
	s_ashr_i32 s11, s10, 31
	s_cmp_neq_f32 s18, 0
	v_lshl_or_b32 v2, v98, 7, v100
	v_lshl_or_b32 v102, v98, 5, v99
	v_mov_b32_e32 v101, 0xff7fffff
	s_cselect_b32 vcc_lo, -1, 0
	s_delay_alu instid0(VALU_DEP_3)
	v_dual_mov_b32 v104, v98 :: v_dual_add_nc_u32 v103, 0xc0, v2
	s_mov_b32 s27, s9
	s_sub_co_i32 s28, 1, s25
	s_wait_kmcnt 0x0
	s_add_nc_u64 s[20:21], s[20:21], s[10:11]
	s_mov_b32 s11, 0
	v_add_nc_u64_e32 v[8:9], s[20:21], v[6:7]
	v_and_b32_e32 v6, 0x7c, v1
	s_lshl_b64 s[20:21], s[16:17], 2
	s_delay_alu instid0(SALU_CYCLE_1)
	s_add_nc_u64 s[20:21], s[14:15], s[20:21]
	s_delay_alu instid0(VALU_DEP_1) | instid1(SALU_CYCLE_1)
	v_add_nc_u64_e32 v[10:11], s[20:21], v[6:7]
	s_mov_b64 s[20:21], 0xffffffffffffff
	s_branch .LBB291_10
.LBB291_6:                              ;   in Loop: Header=BB291_10 Depth=1
	s_or_b32 exec_lo, exec_lo, s33
	v_lshlrev_b32_e32 v4, 8, v6
	s_delay_alu instid0(VALU_DEP_2) | instskip(SKIP_1) | instid1(VALU_DEP_2)
	v_lshl_add_u32 v3, v3, 10, 0x2000
	v_lshlrev_b32_e32 v2, 23, v2
	v_and_or_b32 v3, 0x8000, v4, v3
	s_delay_alu instid0(VALU_DEP_1)
	v_lshl_or_b32 v121, v3, 16, v2
.LBB291_7:                              ;   in Loop: Header=BB291_10 Depth=1
	s_or_b32 exec_lo, exec_lo, s31
.LBB291_8:                              ;   in Loop: Header=BB291_10 Depth=1
	s_delay_alu instid0(SALU_CYCLE_1)
	s_or_b32 exec_lo, exec_lo, s30
.LBB291_9:                              ;   in Loop: Header=BB291_10 Depth=1
	s_delay_alu instid0(SALU_CYCLE_1)
	s_or_b32 exec_lo, exec_lo, s29
	ds_load_b128 v[2:5], v7
	v_or_b32_e32 v6, v16, v14
	v_fma_mixlo_f16 v14, v105, v16, 0 op_sel:[0,1,0] op_sel_hi:[0,1,0]
	v_or_b32_e32 v12, v13, v12
	v_or_b32_e32 v16, v19, v17
	v_fma_mixlo_f16 v13, v105, v13, 0 op_sel:[0,1,0] op_sel_hi:[0,1,0]
	v_or_b32_e32 v15, v18, v15
	v_fma_mixlo_f16 v18, v105, v18, 0 op_sel:[0,1,0] op_sel_hi:[0,1,0]
	v_fma_mixlo_f16 v25, v105, v19, 0 op_sel:[0,1,0] op_sel_hi:[0,1,0]
	v_fma_mixlo_f16 v58, v105, v16, 0 op_sel_hi:[0,1,0]
	v_and_b32_e32 v13, 0xffff, v13
	v_cmp_gt_i32_e64 s3, s25, v102
	v_add_nc_u64_e32 v[10:11], 16, v[10:11]
	s_wait_dscnt 0x0
	v_and_b32_e32 v16, 0xffff, v2
	v_lshrrev_b32_e32 v2, 16, v2
	v_fma_mixlo_f16 v12, v105, v12, 0 op_sel_hi:[0,1,0]
	v_lshrrev_b32_e32 v17, 16, v3
	v_and_b32_e32 v3, 0xffff, v3
	v_fma_mixlo_f16 v6, v105, v6, 0 op_sel_hi:[0,1,0]
	;;#ASMSTART
	v_cvt_f32_f16 v52, v16;
	;;#ASMEND
	v_and_b32_e32 v12, 0xffff, v12
	;;#ASMSTART
	v_cvt_f32_f16 v53, v2;
	;;#ASMEND
	;;#ASMSTART
	v_cvt_f32_f16 v54, v12;
	;;#ASMEND
	;; [unrolled: 3-line block ×4, first 2 shown]
	v_and_b32_e32 v3, 0xffff, v4
	v_lshrrev_b32_e32 v4, 16, v4
	v_fma_mixlo_f16 v15, v105, v15, 0 op_sel_hi:[0,1,0]
	v_and_b32_e32 v2, 0xffff, v14
	v_and_b32_e32 v6, 0xffff, v6
	;;#ASMSTART
	v_cvt_f32_f16 v44, v17;
	;;#ASMEND
	;;#ASMSTART
	v_cvt_f32_f16 v51, v6;
	;;#ASMEND
	v_and_b32_e32 v12, 0xffff, v15
	;;#ASMSTART
	v_cvt_f32_f16 v50, v2;
	;;#ASMEND
	;;#ASMSTART
	v_cvt_f32_f16 v17, v3;
	;;#ASMEND
	;; [unrolled: 3-line block ×3, first 2 shown]
	v_and_b32_e32 v2, 0xffff, v18
	v_and_b32_e32 v3, 0xffff, v5
	v_lshrrev_b32_e32 v4, 16, v5
	v_and_b32_e32 v5, 0xffff, v58
	;;#ASMSTART
	v_cvt_f32_f16 v19, v12;
	;;#ASMEND
	v_and_b32_e32 v6, 0xffff, v25
	;;#ASMSTART
	v_cvt_f32_f16 v18, v2;
	;;#ASMEND
	;;#ASMSTART
	v_cvt_f32_f16 v13, v3;
	;;#ASMEND
	;; [unrolled: 3-line block ×5, first 2 shown]
	ds_load_b128 v[2:5], v7 offset:16
	s_wait_dscnt 0x0
	v_and_b32_e32 v6, 0xffff, v2
	v_lshrrev_b32_e32 v2, 16, v2
	;;#ASMSTART
	v_cvt_f32_f16 v58, v6;
	;;#ASMEND
	;;#ASMSTART
	v_cvt_f32_f16 v59, v2;
	;;#ASMEND
	v_or_b32_e32 v2, v24, v23
	v_fma_mixlo_f16 v6, v105, v24, 0 op_sel:[0,1,0] op_sel_hi:[0,1,0]
	v_and_b32_e32 v23, 0xffff, v3
	v_lshrrev_b32_e32 v60, 16, v5
	v_and_b32_e32 v61, 0xffff, v5
	v_fma_mixlo_f16 v2, v105, v2, 0 op_sel_hi:[0,1,0]
	v_and_b32_e32 v6, 0xffff, v6
	v_fma_mixlo_f16 v5, v105, v21, 0 op_sel:[0,1,0] op_sel_hi:[0,1,0]
	s_delay_alu instid0(VALU_DEP_3)
	v_and_b32_e32 v2, 0xffff, v2
	;;#ASMSTART
	v_cvt_f32_f16 v24, v2;
	;;#ASMEND
	;;#ASMSTART
	v_cvt_f32_f16 v25, v6;
	;;#ASMEND
	v_pk_mul_f32 v[24:25], v[58:59], v[24:25]
	v_and_b32_e32 v58, 0xffff, v4
	v_lshrrev_b32_e32 v59, 16, v4
	v_or_b32_e32 v2, v21, v20
	v_or_b32_e32 v4, v29, v27
	v_pk_fma_f32 v[24:25], v[52:53], v[54:55], v[24:25]
	v_dual_lshrrev_b32 v52, 16, v3 :: v_dual_bitop2_b32 v3, v26, v22 bitop3:0x54
	s_delay_alu instid0(VALU_DEP_4) | instskip(NEXT) | instid1(VALU_DEP_4)
	v_fma_mixlo_f16 v2, v105, v2, 0 op_sel_hi:[0,1,0]
	v_fma_mixlo_f16 v4, v105, v4, 0 op_sel_hi:[0,1,0]
	v_fma_mixlo_f16 v6, v105, v26, 0 op_sel:[0,1,0] op_sel_hi:[0,1,0]
	v_fma_mixlo_f16 v20, v105, v29, 0 op_sel:[0,1,0] op_sel_hi:[0,1,0]
	v_fma_mixlo_f16 v3, v105, v3, 0 op_sel_hi:[0,1,0]
	v_and_b32_e32 v2, 0xffff, v2
	v_and_b32_e32 v5, 0xffff, v5
	;; [unrolled: 1-line block ×3, first 2 shown]
	;;#ASMSTART
	v_cvt_f32_f16 v53, v23;
	;;#ASMEND
	v_and_b32_e32 v21, 0xffff, v3
	;;#ASMSTART
	v_cvt_f32_f16 v52, v52;
	;;#ASMEND
	;;#ASMSTART
	v_cvt_f32_f16 v55, v2;
	;;#ASMEND
	;; [unrolled: 3-line block ×4, first 2 shown]
	v_and_b32_e32 v6, 0xffff, v6
	;;#ASMSTART
	v_cvt_f32_f16 v2, v59;
	;;#ASMEND
	;;#ASMSTART
	v_cvt_f32_f16 v5, v21;
	;;#ASMEND
	v_and_b32_e32 v26, 0xffff, v20
	;;#ASMSTART
	v_cvt_f32_f16 v4, v6;
	;;#ASMEND
	;;#ASMSTART
	v_cvt_f32_f16 v21, v61;
	;;#ASMEND
	;; [unrolled: 3-line block ×5, first 2 shown]
	ds_load_b128 v[58:61], v7 offset:32
	v_pk_mul_f32 v[52:53], v[52:53], v[54:55]
	v_pk_mul_f32 v[2:3], v[2:3], v[4:5]
	v_pk_mul_f32 v[20:21], v[20:21], v[22:23]
	s_delay_alu instid0(VALU_DEP_1)
	v_pk_fma_f32 v[12:13], v[12:13], v[14:15], v[20:21]
	s_wait_dscnt 0x0
	v_and_b32_e32 v6, 0xffff, v58
	;;#ASMSTART
	v_cvt_f32_f16 v26, v6;
	;;#ASMEND
	v_or_b32_e32 v6, v31, v28
	v_fma_mixlo_f16 v28, v105, v31, 0 op_sel:[0,1,0] op_sel_hi:[0,1,0]
	v_lshrrev_b32_e32 v27, 16, v58
	;;#ASMSTART
	v_cvt_f32_f16 v27, v27;
	;;#ASMEND
	v_and_b32_e32 v58, 0xffff, v61
	v_fma_mixlo_f16 v6, v105, v6, 0 op_sel_hi:[0,1,0]
	v_and_b32_e32 v29, 0xffff, v28
	s_delay_alu instid0(VALU_DEP_2)
	v_and_b32_e32 v6, 0xffff, v6
	;;#ASMSTART
	v_cvt_f32_f16 v28, v6;
	;;#ASMEND
	v_lshrrev_b32_e32 v6, 16, v59
	;;#ASMSTART
	v_cvt_f32_f16 v29, v29;
	;;#ASMEND
	v_pk_fma_f32 v[64:65], v[26:27], v[28:29], v[24:25]
	v_and_b32_e32 v24, 0xffff, v59
	v_lshrrev_b32_e32 v25, 16, v60
	v_and_b32_e32 v26, 0xffff, v60
	v_lshrrev_b32_e32 v27, 16, v61
	;;#ASMSTART
	v_cvt_f32_f16 v61, v24;
	;;#ASMEND
	;;#ASMSTART
	v_cvt_f32_f16 v60, v6;
	;;#ASMEND
	v_or_b32_e32 v6, v33, v30
	v_fma_mixlo_f16 v24, v105, v33, 0 op_sel:[0,1,0] op_sel_hi:[0,1,0]
	s_delay_alu instid0(VALU_DEP_2) | instskip(NEXT) | instid1(VALU_DEP_2)
	v_fma_mixlo_f16 v6, v105, v6, 0 op_sel_hi:[0,1,0]
	v_and_b32_e32 v24, 0xffff, v24
	s_delay_alu instid0(VALU_DEP_2)
	v_and_b32_e32 v6, 0xffff, v6
	;;#ASMSTART
	v_cvt_f32_f16 v67, v6;
	;;#ASMEND
	v_or_b32_e32 v6, v35, v32
	;;#ASMSTART
	v_cvt_f32_f16 v66, v24;
	;;#ASMEND
	;;#ASMSTART
	v_cvt_f32_f16 v29, v26;
	;;#ASMEND
	;; [unrolled: 3-line block ×3, first 2 shown]
	v_fma_mixlo_f16 v24, v105, v35, 0 op_sel:[0,1,0] op_sel_hi:[0,1,0]
	v_fma_mixlo_f16 v6, v105, v6, 0 op_sel_hi:[0,1,0]
	v_fma_mixlo_f16 v26, v105, v37, 0 op_sel:[0,1,0] op_sel_hi:[0,1,0]
	s_delay_alu instid0(VALU_DEP_3) | instskip(NEXT) | instid1(VALU_DEP_3)
	v_and_b32_e32 v24, 0xffff, v24
	v_and_b32_e32 v6, 0xffff, v6
	;;#ASMSTART
	v_cvt_f32_f16 v31, v6;
	;;#ASMEND
	v_or_b32_e32 v6, v37, v34
	v_and_b32_e32 v26, 0xffff, v26
	;;#ASMSTART
	v_cvt_f32_f16 v30, v24;
	;;#ASMEND
	;;#ASMSTART
	v_cvt_f32_f16 v25, v58;
	;;#ASMEND
	;; [unrolled: 3-line block ×3, first 2 shown]
	v_fma_mixlo_f16 v6, v105, v6, 0 op_sel_hi:[0,1,0]
	s_delay_alu instid0(VALU_DEP_1)
	v_and_b32_e32 v6, 0xffff, v6
	;;#ASMSTART
	v_cvt_f32_f16 v27, v6;
	;;#ASMEND
	;;#ASMSTART
	v_cvt_f32_f16 v26, v26;
	;;#ASMEND
	ds_load_b128 v[32:35], v7 offset:48
	v_pk_fma_f32 v[12:13], v[24:25], v[26:27], v[12:13]
	s_wait_dscnt 0x0
	v_and_b32_e32 v6, 0xffff, v32
	v_lshrrev_b32_e32 v32, 16, v32
	;;#ASMSTART
	v_cvt_f32_f16 v58, v6;
	;;#ASMEND
	v_or_b32_e32 v6, v39, v36
	;;#ASMSTART
	v_cvt_f32_f16 v59, v32;
	;;#ASMEND
	s_delay_alu instid0(VALU_DEP_2) | instskip(SKIP_1) | instid1(VALU_DEP_3)
	v_fma_mixlo_f16 v32, v105, v39, 0 op_sel:[0,1,0] op_sel_hi:[0,1,0]
	v_lshrrev_b32_e32 v39, 16, v35
	v_fma_mixlo_f16 v6, v105, v6, 0 op_sel_hi:[0,1,0]
	s_delay_alu instid0(VALU_DEP_3) | instskip(NEXT) | instid1(VALU_DEP_2)
	v_and_b32_e32 v32, 0xffff, v32
	v_and_b32_e32 v6, 0xffff, v6
	;;#ASMSTART
	v_cvt_f32_f16 v36, v6;
	;;#ASMEND
	v_lshrrev_b32_e32 v6, 16, v33
	;;#ASMSTART
	v_cvt_f32_f16 v37, v32;
	;;#ASMEND
	v_and_b32_e32 v32, 0xffff, v33
	;;#ASMSTART
	v_cvt_f32_f16 v69, v32;
	;;#ASMEND
	;;#ASMSTART
	v_cvt_f32_f16 v68, v6;
	;;#ASMEND
	v_or_b32_e32 v6, v41, v38
	v_lshrrev_b32_e32 v33, 16, v34
	v_fma_mixlo_f16 v32, v105, v41, 0 op_sel:[0,1,0] op_sel_hi:[0,1,0]
	v_and_b32_e32 v34, 0xffff, v34
	v_pk_fma_f32 v[58:59], v[58:59], v[36:37], v[64:65]
	v_fma_mixlo_f16 v6, v105, v6, 0 op_sel_hi:[0,1,0]
	v_and_b32_e32 v64, 0xffff, v35
	v_and_b32_e32 v32, 0xffff, v32
	v_fma_mixlo_f16 v38, v105, v47, 0 op_sel:[0,1,0] op_sel_hi:[0,1,0]
	s_delay_alu instid0(VALU_DEP_4)
	v_and_b32_e32 v6, 0xffff, v6
	;;#ASMSTART
	v_cvt_f32_f16 v77, v6;
	;;#ASMEND
	v_or_b32_e32 v6, v43, v40
	;;#ASMSTART
	v_cvt_f32_f16 v76, v32;
	;;#ASMEND
	;;#ASMSTART
	v_cvt_f32_f16 v35, v34;
	;;#ASMEND
	;;#ASMSTART
	v_cvt_f32_f16 v34, v33;
	;;#ASMEND
	v_fma_mixlo_f16 v32, v105, v43, 0 op_sel:[0,1,0] op_sel_hi:[0,1,0]
	v_fma_mixlo_f16 v6, v105, v6, 0 op_sel_hi:[0,1,0]
	v_and_b32_e32 v38, 0xffff, v38
	s_delay_alu instid0(VALU_DEP_3) | instskip(NEXT) | instid1(VALU_DEP_3)
	v_and_b32_e32 v32, 0xffff, v32
	v_and_b32_e32 v6, 0xffff, v6
	;;#ASMSTART
	v_cvt_f32_f16 v37, v6;
	;;#ASMEND
	v_or_b32_e32 v6, v47, v42
	;;#ASMSTART
	v_cvt_f32_f16 v36, v32;
	;;#ASMEND
	;;#ASMSTART
	v_cvt_f32_f16 v33, v64;
	;;#ASMEND
	;; [unrolled: 3-line block ×3, first 2 shown]
	s_delay_alu instid0(VALU_DEP_1) | instskip(NEXT) | instid1(VALU_DEP_1)
	v_fma_mixlo_f16 v6, v105, v6, 0 op_sel_hi:[0,1,0]
	v_and_b32_e32 v6, 0xffff, v6
	;;#ASMSTART
	v_cvt_f32_f16 v39, v6;
	;;#ASMEND
	;;#ASMSTART
	v_cvt_f32_f16 v38, v38;
	;;#ASMEND
	ds_load_b128 v[40:43], v7 offset:64
	v_pk_fma_f32 v[12:13], v[32:33], v[38:39], v[12:13]
	s_wait_dscnt 0x0
	v_and_b32_e32 v6, 0xffff, v40
	;;#ASMSTART
	v_cvt_f32_f16 v64, v6;
	;;#ASMEND
	v_dual_lshrrev_b32 v40, 16, v40 :: v_dual_bitop2_b32 v6, v49, v46 bitop3:0x54
	;;#ASMSTART
	v_cvt_f32_f16 v65, v40;
	;;#ASMEND
	v_and_b32_e32 v73, 0xffff, v43
	s_delay_alu instid0(VALU_DEP_2) | instskip(NEXT) | instid1(VALU_DEP_3)
	v_fma_mixlo_f16 v6, v105, v6, 0 op_sel_hi:[0,1,0]
	v_fma_mixlo_f16 v40, v105, v49, 0 op_sel:[0,1,0] op_sel_hi:[0,1,0]
	v_lshrrev_b32_e32 v49, 16, v43
	s_delay_alu instid0(VALU_DEP_3) | instskip(NEXT) | instid1(VALU_DEP_3)
	v_and_b32_e32 v6, 0xffff, v6
	v_and_b32_e32 v40, 0xffff, v40
	;;#ASMSTART
	v_cvt_f32_f16 v46, v6;
	;;#ASMEND
	v_lshrrev_b32_e32 v6, 16, v41
	;;#ASMSTART
	v_cvt_f32_f16 v47, v40;
	;;#ASMEND
	v_pk_fma_f32 v[126:127], v[64:65], v[46:47], v[58:59]
	v_and_b32_e32 v40, 0xffff, v41
	;;#ASMSTART
	v_cvt_f32_f16 v59, v40;
	;;#ASMEND
	;;#ASMSTART
	v_cvt_f32_f16 v58, v6;
	;;#ASMEND
	v_dual_lshrrev_b32 v41, 16, v42 :: v_dual_bitop2_b32 v6, v57, v48 bitop3:0x54
	s_delay_alu instid0(VALU_DEP_2) | instskip(SKIP_2) | instid1(VALU_DEP_4)
	v_fma_mixlo_f16 v40, v105, v57, 0 op_sel:[0,1,0] op_sel_hi:[0,1,0]
	v_and_b32_e32 v42, 0xffff, v42
	v_fma_mixlo_f16 v48, v105, v71, 0 op_sel:[0,1,0] op_sel_hi:[0,1,0]
	v_fma_mixlo_f16 v6, v105, v6, 0 op_sel_hi:[0,1,0]
	s_delay_alu instid0(VALU_DEP_4) | instskip(NEXT) | instid1(VALU_DEP_3)
	v_and_b32_e32 v40, 0xffff, v40
	v_and_b32_e32 v48, 0xffff, v48
	s_delay_alu instid0(VALU_DEP_3)
	v_and_b32_e32 v6, 0xffff, v6
	;;#ASMSTART
	v_cvt_f32_f16 v65, v6;
	;;#ASMEND
	v_or_b32_e32 v6, v63, v56
	;;#ASMSTART
	v_cvt_f32_f16 v64, v40;
	;;#ASMEND
	;;#ASMSTART
	v_cvt_f32_f16 v43, v42;
	;;#ASMEND
	;; [unrolled: 3-line block ×3, first 2 shown]
	v_fma_mixlo_f16 v40, v105, v63, 0 op_sel:[0,1,0] op_sel_hi:[0,1,0]
	v_fma_mixlo_f16 v6, v105, v6, 0 op_sel_hi:[0,1,0]
	s_delay_alu instid0(VALU_DEP_2) | instskip(NEXT) | instid1(VALU_DEP_2)
	v_and_b32_e32 v40, 0xffff, v40
	v_and_b32_e32 v6, 0xffff, v6
	;;#ASMSTART
	v_cvt_f32_f16 v47, v6;
	;;#ASMEND
	v_or_b32_e32 v6, v71, v62
	;;#ASMSTART
	v_cvt_f32_f16 v46, v40;
	;;#ASMEND
	;;#ASMSTART
	v_cvt_f32_f16 v41, v73;
	;;#ASMEND
	;; [unrolled: 3-line block ×3, first 2 shown]
	v_fma_mixlo_f16 v62, v105, v72, 0 op_sel:[0,1,0] op_sel_hi:[0,1,0]
	v_fma_mixlo_f16 v6, v105, v6, 0 op_sel_hi:[0,1,0]
	s_delay_alu instid0(VALU_DEP_2) | instskip(NEXT) | instid1(VALU_DEP_2)
	v_and_b32_e32 v63, 0xffff, v62
	v_and_b32_e32 v6, 0xffff, v6
	;;#ASMSTART
	v_cvt_f32_f16 v49, v6;
	;;#ASMEND
	;;#ASMSTART
	v_cvt_f32_f16 v48, v48;
	;;#ASMEND
	ds_load_b128 v[122:125], v7 offset:80
	v_pk_fma_f32 v[12:13], v[40:41], v[48:49], v[12:13]
	s_wait_dscnt 0x0
	v_and_b32_e32 v6, 0xffff, v122
	;;#ASMSTART
	v_cvt_f32_f16 v56, v6;
	;;#ASMEND
	v_or_b32_e32 v6, v72, v70
	v_lshrrev_b32_e32 v57, 16, v122
	;;#ASMSTART
	v_cvt_f32_f16 v57, v57;
	;;#ASMEND
	v_pk_fma_f32 v[72:73], v[44:45], v[50:51], v[52:53]
	v_and_b32_e32 v44, 0xffff, v123
	v_fma_mixlo_f16 v6, v105, v6, 0 op_sel_hi:[0,1,0]
	v_and_b32_e32 v52, 0xffff, v124
	v_lshrrev_b32_e32 v45, 16, v124
	s_delay_alu instid0(VALU_DEP_3)
	v_and_b32_e32 v6, 0xffff, v6
	;;#ASMSTART
	v_cvt_f32_f16 v62, v6;
	;;#ASMEND
	v_lshrrev_b32_e32 v6, 16, v123
	;;#ASMSTART
	v_cvt_f32_f16 v63, v63;
	;;#ASMEND
	;;#ASMSTART
	v_cvt_f32_f16 v51, v44;
	;;#ASMEND
	;; [unrolled: 3-line block ×3, first 2 shown]
	v_or_b32_e32 v6, v78, v74
	v_fma_mixlo_f16 v44, v105, v78, 0 op_sel:[0,1,0] op_sel_hi:[0,1,0]
	v_pk_fma_f32 v[70:71], v[56:57], v[62:63], v[126:127]
	v_lshrrev_b32_e32 v56, 16, v125
	v_and_b32_e32 v57, 0xffff, v125
	v_fma_mixlo_f16 v6, v105, v6, 0 op_sel_hi:[0,1,0]
	v_and_b32_e32 v44, 0xffff, v44
	v_fma_mixlo_f16 v78, v105, v83, 0 op_sel:[0,1,0] op_sel_hi:[0,1,0]
	s_delay_alu instid0(VALU_DEP_3)
	v_and_b32_e32 v6, 0xffff, v6
	;;#ASMSTART
	v_cvt_f32_f16 v63, v6;
	;;#ASMEND
	v_or_b32_e32 v6, v80, v75
	;;#ASMSTART
	v_cvt_f32_f16 v62, v44;
	;;#ASMEND
	v_fma_mixlo_f16 v44, v105, v80, 0 op_sel:[0,1,0] op_sel_hi:[0,1,0]
	;;#ASMSTART
	v_cvt_f32_f16 v53, v52;
	;;#ASMEND
	;;#ASMSTART
	v_cvt_f32_f16 v52, v45;
	;;#ASMEND
	v_fma_mixlo_f16 v6, v105, v6, 0 op_sel_hi:[0,1,0]
	s_delay_alu instid0(VALU_DEP_2) | instskip(NEXT) | instid1(VALU_DEP_2)
	v_and_b32_e32 v44, 0xffff, v44
	v_and_b32_e32 v6, 0xffff, v6
	;;#ASMSTART
	v_cvt_f32_f16 v55, v6;
	;;#ASMEND
	v_or_b32_e32 v6, v82, v79
	;;#ASMSTART
	v_cvt_f32_f16 v54, v44;
	;;#ASMEND
	;;#ASMSTART
	v_cvt_f32_f16 v45, v57;
	;;#ASMEND
	;; [unrolled: 3-line block ×3, first 2 shown]
	v_fma_mixlo_f16 v56, v105, v82, 0 op_sel:[0,1,0] op_sel_hi:[0,1,0]
	v_fma_mixlo_f16 v6, v105, v6, 0 op_sel_hi:[0,1,0]
	v_and_b32_e32 v79, 0xffff, v78
	s_delay_alu instid0(VALU_DEP_3) | instskip(NEXT) | instid1(VALU_DEP_3)
	v_and_b32_e32 v56, 0xffff, v56
	v_and_b32_e32 v6, 0xffff, v6
	;;#ASMSTART
	v_cvt_f32_f16 v57, v6;
	;;#ASMEND
	;;#ASMSTART
	v_cvt_f32_f16 v56, v56;
	;;#ASMEND
	ds_load_b128 v[122:125], v7 offset:96
	v_pk_fma_f32 v[12:13], v[44:45], v[56:57], v[12:13]
	s_wait_dscnt 0x0
	v_and_b32_e32 v6, 0xffff, v122
	;;#ASMSTART
	v_cvt_f32_f16 v74, v6;
	;;#ASMEND
	v_dual_lshrrev_b32 v75, 16, v122 :: v_dual_bitop2_b32 v6, v83, v81 bitop3:0x54
	;;#ASMSTART
	v_cvt_f32_f16 v75, v75;
	;;#ASMEND
	v_pk_fma_f32 v[82:83], v[60:61], v[66:67], v[72:73]
	v_and_b32_e32 v60, 0xffff, v123
	s_delay_alu instid0(VALU_DEP_3) | instskip(SKIP_3) | instid1(VALU_DEP_4)
	v_fma_mixlo_f16 v6, v105, v6, 0 op_sel_hi:[0,1,0]
	v_fma_mixlo_f16 v66, v105, v86, 0 op_sel:[0,1,0] op_sel_hi:[0,1,0]
	v_dual_lshrrev_b32 v72, 16, v125 :: v_dual_lshrrev_b32 v67, 16, v124
	v_and_b32_e32 v73, 0xffff, v125
	v_and_b32_e32 v6, 0xffff, v6
	;;#ASMSTART
	v_cvt_f32_f16 v78, v6;
	;;#ASMEND
	v_lshrrev_b32_e32 v6, 16, v123
	;;#ASMSTART
	v_cvt_f32_f16 v79, v79;
	;;#ASMEND
	;;#ASMSTART
	v_cvt_f32_f16 v61, v60;
	;;#ASMEND
	;; [unrolled: 3-line block ×3, first 2 shown]
	v_or_b32_e32 v6, v86, v84
	v_pk_fma_f32 v[80:81], v[74:75], v[78:79], v[70:71]
	v_and_b32_e32 v66, 0xffff, v66
	v_and_b32_e32 v70, 0xffff, v124
	s_delay_alu instid0(VALU_DEP_4) | instskip(NEXT) | instid1(VALU_DEP_1)
	v_fma_mixlo_f16 v6, v105, v6, 0 op_sel_hi:[0,1,0]
	v_and_b32_e32 v6, 0xffff, v6
	;;#ASMSTART
	v_cvt_f32_f16 v79, v6;
	;;#ASMEND
	v_or_b32_e32 v6, v88, v85
	;;#ASMSTART
	v_cvt_f32_f16 v78, v66;
	;;#ASMEND
	v_fma_mixlo_f16 v66, v105, v88, 0 op_sel:[0,1,0] op_sel_hi:[0,1,0]
	;;#ASMSTART
	v_cvt_f32_f16 v71, v70;
	;;#ASMEND
	;;#ASMSTART
	v_cvt_f32_f16 v70, v67;
	;;#ASMEND
	v_fma_mixlo_f16 v6, v105, v6, 0 op_sel_hi:[0,1,0]
	s_delay_alu instid0(VALU_DEP_2) | instskip(NEXT) | instid1(VALU_DEP_2)
	v_and_b32_e32 v66, 0xffff, v66
	v_and_b32_e32 v6, 0xffff, v6
	;;#ASMSTART
	v_cvt_f32_f16 v75, v6;
	;;#ASMEND
	v_or_b32_e32 v6, v90, v87
	;;#ASMSTART
	v_cvt_f32_f16 v74, v66;
	;;#ASMEND
	;;#ASMSTART
	v_cvt_f32_f16 v67, v73;
	;;#ASMEND
	;; [unrolled: 3-line block ×3, first 2 shown]
	v_fma_mixlo_f16 v72, v105, v90, 0 op_sel:[0,1,0] op_sel_hi:[0,1,0]
	v_fma_mixlo_f16 v6, v105, v6, 0 op_sel_hi:[0,1,0]
	s_delay_alu instid0(VALU_DEP_2) | instskip(NEXT) | instid1(VALU_DEP_2)
	v_and_b32_e32 v72, 0xffff, v72
	v_and_b32_e32 v6, 0xffff, v6
	;;#ASMSTART
	v_cvt_f32_f16 v73, v6;
	;;#ASMEND
	;;#ASMSTART
	v_cvt_f32_f16 v72, v72;
	;;#ASMEND
	ds_load_b128 v[84:87], v7 offset:112
	v_pk_fma_f32 v[12:13], v[66:67], v[72:73], v[12:13]
	s_wait_dscnt 0x0
	v_and_b32_e32 v6, 0xffff, v84
	;;#ASMSTART
	v_cvt_f32_f16 v122, v6;
	;;#ASMEND
	v_dual_lshrrev_b32 v84, 16, v84 :: v_dual_bitop2_b32 v6, v91, v89 bitop3:0x54
	;;#ASMSTART
	v_cvt_f32_f16 v123, v84;
	;;#ASMEND
	s_delay_alu instid0(VALU_DEP_1) | instskip(NEXT) | instid1(VALU_DEP_2)
	v_fma_mixlo_f16 v6, v105, v6, 0 op_sel_hi:[0,1,0]
	v_fma_mixlo_f16 v84, v105, v91, 0 op_sel:[0,1,0] op_sel_hi:[0,1,0]
	v_pk_fma_f32 v[90:91], v[68:69], v[76:77], v[82:83]
	v_and_b32_e32 v68, 0xffff, v85
	v_fma_mixlo_f16 v76, v105, v94, 0 op_sel:[0,1,0] op_sel_hi:[0,1,0]
	v_and_b32_e32 v6, 0xffff, v6
	;;#ASMSTART
	v_cvt_f32_f16 v88, v6;
	;;#ASMEND
	v_lshrrev_b32_e32 v6, 16, v85
	v_and_b32_e32 v84, 0xffff, v84
	;;#ASMSTART
	v_cvt_f32_f16 v89, v84;
	;;#ASMEND
	;;#ASMSTART
	v_cvt_f32_f16 v69, v68;
	;;#ASMEND
	;; [unrolled: 3-line block ×3, first 2 shown]
	v_dual_lshrrev_b32 v82, 16, v87 :: v_dual_bitop2_b32 v6, v94, v92 bitop3:0x54
	v_and_b32_e32 v83, 0xffff, v87
	v_and_b32_e32 v76, 0xffff, v76
	v_pk_fma_f32 v[88:89], v[122:123], v[88:89], v[80:81]
	s_delay_alu instid0(VALU_DEP_4)
	v_fma_mixlo_f16 v6, v105, v6, 0 op_sel_hi:[0,1,0]
	v_lshrrev_b32_e32 v77, 16, v86
	v_and_b32_e32 v80, 0xffff, v86
	v_fma_mixlo_f16 v94, v105, v109, 0 op_sel:[0,1,0] op_sel_hi:[0,1,0]
	v_pk_fma_f32 v[90:91], v[58:59], v[64:65], v[90:91]
	v_and_b32_e32 v6, 0xffff, v6
	;;#ASMSTART
	v_cvt_f32_f16 v87, v6;
	;;#ASMEND
	v_or_b32_e32 v6, v96, v93
	;;#ASMSTART
	v_cvt_f32_f16 v86, v76;
	;;#ASMEND
	v_fma_mixlo_f16 v76, v105, v96, 0 op_sel:[0,1,0] op_sel_hi:[0,1,0]
	;;#ASMSTART
	v_cvt_f32_f16 v81, v80;
	;;#ASMEND
	;;#ASMSTART
	v_cvt_f32_f16 v80, v77;
	;;#ASMEND
	v_fma_mixlo_f16 v6, v105, v6, 0 op_sel_hi:[0,1,0]
	v_pk_fma_f32 v[50:51], v[50:51], v[62:63], v[90:91]
	v_and_b32_e32 v76, 0xffff, v76
	v_fma_mixlo_f16 v62, v105, v117, 0 op_sel:[0,1,0] op_sel_hi:[0,1,0]
	v_fma_mixlo_f16 v63, v105, v119, 0 op_sel:[0,1,0] op_sel_hi:[0,1,0]
	v_and_b32_e32 v6, 0xffff, v6
	;;#ASMSTART
	v_cvt_f32_f16 v85, v6;
	;;#ASMEND
	v_or_b32_e32 v6, v107, v95
	;;#ASMSTART
	v_cvt_f32_f16 v84, v76;
	;;#ASMEND
	;;#ASMSTART
	v_cvt_f32_f16 v77, v83;
	;;#ASMEND
	;; [unrolled: 3-line block ×3, first 2 shown]
	v_fma_mixlo_f16 v82, v105, v107, 0 op_sel:[0,1,0] op_sel_hi:[0,1,0]
	v_fma_mixlo_f16 v6, v105, v6, 0 op_sel_hi:[0,1,0]
	v_and_b32_e32 v95, 0xffff, v94
	v_pk_fma_f32 v[22:23], v[60:61], v[78:79], v[50:51]
	v_fma_mixlo_f16 v91, v105, v121, 0 op_sel:[0,1,0] op_sel_hi:[0,1,0]
	v_and_b32_e32 v82, 0xffff, v82
	v_and_b32_e32 v6, 0xffff, v6
	;;#ASMSTART
	v_cvt_f32_f16 v83, v6;
	;;#ASMEND
	;;#ASMSTART
	v_cvt_f32_f16 v82, v82;
	;;#ASMEND
	ds_load_b128 v[122:125], v7 offset:128
	v_pk_fma_f32 v[14:15], v[68:69], v[86:87], v[22:23]
	s_wait_dscnt 0x0
	v_and_b32_e32 v6, 0xffff, v122
	;;#ASMSTART
	v_cvt_f32_f16 v92, v6;
	;;#ASMEND
	v_dual_lshrrev_b32 v93, 16, v122 :: v_dual_bitop2_b32 v6, v109, v97 bitop3:0x54
	;;#ASMSTART
	v_cvt_f32_f16 v93, v93;
	;;#ASMEND
	v_lshrrev_b32_e32 v4, 16, v124
	v_and_b32_e32 v5, 0xffff, v124
	s_delay_alu instid0(VALU_DEP_3) | instskip(SKIP_1) | instid1(VALU_DEP_2)
	v_fma_mixlo_f16 v6, v105, v6, 0 op_sel_hi:[0,1,0]
	v_and_b32_e32 v58, 0xffff, v125
	v_and_b32_e32 v6, 0xffff, v6
	;;#ASMSTART
	v_cvt_f32_f16 v94, v6;
	;;#ASMEND
	;;#ASMSTART
	v_cvt_f32_f16 v95, v95;
	;;#ASMEND
	v_pk_fma_f32 v[88:89], v[92:93], v[94:95], v[88:89]
	v_pk_fma_f32 v[92:93], v[16:17], v[18:19], v[2:3]
	v_lshrrev_b32_e32 v2, 16, v123
	v_and_b32_e32 v3, 0xffff, v123
	;;#ASMSTART
	v_cvt_f32_f16 v17, v3;
	;;#ASMEND
	;;#ASMSTART
	v_cvt_f32_f16 v16, v2;
	;;#ASMEND
	v_dual_lshrrev_b32 v6, 16, v125 :: v_dual_bitop2_b32 v2, v110, v106 bitop3:0x54
	s_delay_alu instid0(VALU_DEP_2) | instskip(SKIP_1) | instid1(VALU_DEP_3)
	v_fma_mixlo_f16 v3, v105, v110, 0 op_sel:[0,1,0] op_sel_hi:[0,1,0]
	v_pk_fma_f32 v[28:29], v[28:29], v[30:31], v[92:93]
	v_fma_mixlo_f16 v2, v105, v2, 0 op_sel_hi:[0,1,0]
	s_delay_alu instid0(VALU_DEP_3) | instskip(NEXT) | instid1(VALU_DEP_3)
	v_and_b32_e32 v3, 0xffff, v3
	v_pk_fma_f32 v[28:29], v[34:35], v[36:37], v[28:29]
	v_and_b32_e32 v34, 0xffff, v62
	s_delay_alu instid0(VALU_DEP_4)
	v_and_b32_e32 v2, 0xffff, v2
	;;#ASMSTART
	v_cvt_f32_f16 v97, v2;
	;;#ASMEND
	v_or_b32_e32 v2, v112, v108
	;;#ASMSTART
	v_cvt_f32_f16 v96, v3;
	;;#ASMEND
	v_fma_mixlo_f16 v3, v105, v112, 0 op_sel:[0,1,0] op_sel_hi:[0,1,0]
	;;#ASMSTART
	v_cvt_f32_f16 v19, v5;
	;;#ASMEND
	;;#ASMSTART
	v_cvt_f32_f16 v18, v4;
	;;#ASMEND
	v_fma_mixlo_f16 v2, v105, v2, 0 op_sel_hi:[0,1,0]
	v_pk_fma_f32 v[20:21], v[42:43], v[46:47], v[28:29]
	v_and_b32_e32 v3, 0xffff, v3
	v_pk_fma_f32 v[14:15], v[16:17], v[96:97], v[14:15]
	s_delay_alu instid0(VALU_DEP_4)
	v_and_b32_e32 v2, 0xffff, v2
	;;#ASMSTART
	v_cvt_f32_f16 v65, v2;
	;;#ASMEND
	v_or_b32_e32 v2, v114, v111
	;;#ASMSTART
	v_cvt_f32_f16 v64, v3;
	;;#ASMEND
	v_fma_mixlo_f16 v3, v105, v114, 0 op_sel:[0,1,0] op_sel_hi:[0,1,0]
	;;#ASMSTART
	v_cvt_f32_f16 v59, v58;
	;;#ASMEND
	;;#ASMSTART
	v_cvt_f32_f16 v58, v6;
	;;#ASMEND
	v_fma_mixlo_f16 v2, v105, v2, 0 op_sel_hi:[0,1,0]
	v_pk_fma_f32 v[16:17], v[52:53], v[54:55], v[20:21]
	v_and_b32_e32 v3, 0xffff, v3
	v_and_b32_e32 v20, 0xffff, v63
	s_delay_alu instid0(VALU_DEP_4)
	v_and_b32_e32 v2, 0xffff, v2
	;;#ASMSTART
	v_cvt_f32_f16 v95, v2;
	;;#ASMEND
	;;#ASMSTART
	v_cvt_f32_f16 v94, v3;
	;;#ASMEND
	ds_load_b128 v[2:5], v7 offset:144
	s_wait_dscnt 0x0
	v_and_b32_e32 v6, 0xffff, v2
	v_lshrrev_b32_e32 v2, 16, v2
	;;#ASMSTART
	v_cvt_f32_f16 v106, v6;
	;;#ASMEND
	;;#ASMSTART
	v_cvt_f32_f16 v107, v2;
	;;#ASMEND
	v_or_b32_e32 v2, v116, v113
	v_fma_mixlo_f16 v6, v105, v116, 0 op_sel:[0,1,0] op_sel_hi:[0,1,0]
	v_and_b32_e32 v92, 0xffff, v3
	s_delay_alu instid0(VALU_DEP_3) | instskip(NEXT) | instid1(VALU_DEP_3)
	v_fma_mixlo_f16 v2, v105, v2, 0 op_sel_hi:[0,1,0]
	v_and_b32_e32 v6, 0xffff, v6
	s_delay_alu instid0(VALU_DEP_2)
	v_and_b32_e32 v2, 0xffff, v2
	;;#ASMSTART
	v_cvt_f32_f16 v108, v2;
	;;#ASMEND
	v_add_nc_u32_e32 v2, s28, v102
	;;#ASMSTART
	v_cvt_f32_f16 v109, v6;
	;;#ASMEND
	v_pk_fma_f32 v[88:89], v[106:107], v[108:109], v[88:89]
	v_add_nc_u32_e32 v102, 0x80, v102
	s_delay_alu instid0(VALU_DEP_3) | instskip(SKIP_2) | instid1(VALU_DEP_2)
	v_cvt_f32_i32_e32 v30, v2
	v_or_b32_e32 v6, v117, v115
	v_or_b32_e32 v2, v119, v118
	v_fma_mixlo_f16 v6, v105, v6, 0 op_sel_hi:[0,1,0]
	s_delay_alu instid0(VALU_DEP_2)
	v_fma_mixlo_f16 v90, v105, v2, 0 op_sel_hi:[0,1,0]
	v_lshrrev_b32_e32 v2, 16, v3
	;;#ASMSTART
	v_cvt_f32_f16 v3, v92;
	;;#ASMEND
	;;#ASMSTART
	v_cvt_f32_f16 v2, v2;
	;;#ASMEND
	v_and_b32_e32 v6, 0xffff, v6
	;;#ASMSTART
	v_cvt_f32_f16 v23, v6;
	;;#ASMEND
	;;#ASMSTART
	v_cvt_f32_f16 v22, v34;
	;;#ASMEND
	v_pk_fma_f32 v[2:3], v[2:3], v[22:23], v[14:15]
	v_pk_fma_f32 v[14:15], v[70:71], v[74:75], v[16:17]
	v_and_b32_e32 v6, 0xffff, v4
	v_lshrrev_b32_e32 v4, 16, v4
	;;#ASMSTART
	v_cvt_f32_f16 v17, v6;
	;;#ASMEND
	;;#ASMSTART
	v_cvt_f32_f16 v16, v4;
	;;#ASMEND
	v_pk_fma_f32 v[14:15], v[80:81], v[84:85], v[14:15]
	v_add_f32_e32 v4, v88, v89
	v_and_b32_e32 v6, 0xffff, v90
	;;#ASMSTART
	v_cvt_f32_f16 v21, v6;
	;;#ASMEND
	;;#ASMSTART
	v_cvt_f32_f16 v20, v20;
	;;#ASMEND
	v_pk_fma_f32 v[14:15], v[18:19], v[64:65], v[14:15]
	v_add_f32_e32 v3, v4, v3
	v_and_b32_e32 v6, 0xffff, v5
	s_delay_alu instid0(VALU_DEP_3) | instskip(NEXT) | instid1(VALU_DEP_3)
	v_pk_fma_f32 v[14:15], v[16:17], v[20:21], v[14:15]
	v_dual_add_f32 v2, v2, v3 :: v_dual_bitop2_b32 v31, v121, v120 bitop3:0x54
	v_lshrrev_b32_e32 v16, 16, v5
	v_pk_fma_f32 v[4:5], v[76:77], v[82:83], v[12:13]
	;;#ASMSTART
	v_cvt_f32_f16 v3, v6;
	;;#ASMEND
	s_delay_alu instid0(VALU_DEP_3) | instskip(SKIP_4) | instid1(VALU_DEP_3)
	v_add_f32_e32 v6, v2, v15
	v_fma_mixlo_f16 v31, v105, v31, 0 op_sel_hi:[0,1,0]
	;;#ASMSTART
	v_cvt_f32_f16 v2, v16;
	;;#ASMEND
	v_pk_fma_f32 v[4:5], v[58:59], v[94:95], v[4:5]
	v_and_b32_e32 v17, 0xffff, v91
	v_and_b32_e32 v12, 0xffff, v31
	;;#ASMSTART
	v_cvt_f32_f16 v13, v12;
	;;#ASMEND
	;;#ASMSTART
	v_cvt_f32_f16 v12, v17;
	;;#ASMEND
	s_delay_alu instid0(VALU_DEP_1) | instskip(SKIP_1) | instid1(VALU_DEP_1)
	v_pk_fma_f32 v[2:3], v[2:3], v[12:13], v[4:5]
	v_add_f32_e32 v4, v14, v6
	v_dual_mul_f32 v5, s18, v30 :: v_dual_add_f32 v3, v4, v3
	s_delay_alu instid0(VALU_DEP_1) | instskip(NEXT) | instid1(VALU_DEP_1)
	v_dual_cndmask_b32 v4, 0, v5, vcc_lo :: v_dual_add_f32 v2, v2, v3
	v_dual_fmac_f32 v4, s19, v2 :: v_dual_max_num_f32 v2, v101, v101
	s_delay_alu instid0(VALU_DEP_1)
	v_dual_cndmask_b32 v3, 0, v4, s3 :: v_dual_max_num_f32 v2, v2, v4
	v_add_nc_u32_e32 v104, 4, v104
	ds_store_b32 v103, v3
	v_cndmask_b32_e64 v101, v101, v2, s3
	v_cmp_le_i32_e64 s3, s13, v104
	v_add_nc_u32_e32 v103, 0x200, v103
	s_or_b32 s11, s3, s11
	s_delay_alu instid0(SALU_CYCLE_1)
	s_and_not1_b32 exec_lo, exec_lo, s11
	s_cbranch_execz .LBB291_647
.LBB291_10:                             ; =>This Inner Loop Header: Depth=1
	global_load_b32 v2, v[10:11], off
	v_mov_b32_e32 v12, 0
	s_mov_b32 s29, exec_lo
	s_wait_loadcnt 0x0
	v_mad_nc_i64_i32 v[2:3], v2, s27, v[8:9]
	global_load_b64 v[4:5], v[2:3], off
	global_load_b32 v105, v7, s[4:5]
	s_wait_loadcnt 0x1
	v_and_b32_e32 v6, 0xff, v4
	s_wait_xcnt 0x0
	s_delay_alu instid0(VALU_DEP_1)
	v_cmpx_ne_u16_e32 0, v6
	s_cbranch_execz .LBB291_18
; %bb.11:                               ;   in Loop: Header=BB291_10 Depth=1
	v_mov_b32_e32 v12, 0x8000
	s_mov_b32 s30, exec_lo
	v_cmpx_ne_u16_e32 0x80, v6
	s_cbranch_execz .LBB291_17
; %bb.12:                               ;   in Loop: Header=BB291_10 Depth=1
	v_and_b32_e32 v13, 0x7f, v4
	v_mov_b32_e32 v12, 0x7c01
	s_mov_b32 s31, exec_lo
	s_delay_alu instid0(VALU_DEP_2)
	v_cmpx_ne_u32_e32 0x7f, v13
	s_cbranch_execz .LBB291_16
; %bb.13:                               ;   in Loop: Header=BB291_10 Depth=1
	v_dual_lshrrev_b32 v12, 3, v13 :: v_dual_bitop2_b32 v6, 7, v4 bitop3:0x40
	s_mov_b32 s33, exec_lo
	v_cmpx_gt_u32_e32 8, v13
; %bb.14:                               ;   in Loop: Header=BB291_10 Depth=1
	s_delay_alu instid0(VALU_DEP_2) | instskip(NEXT) | instid1(VALU_DEP_1)
	v_clz_i32_u32_e32 v6, v6
	v_min_u32_e32 v6, 32, v6
	s_delay_alu instid0(VALU_DEP_1) | instskip(NEXT) | instid1(VALU_DEP_1)
	v_subrev_nc_u32_e32 v12, 28, v6
	v_lshlrev_b64_e32 v[14:15], v12, v[4:5]
	v_sub_nc_u32_e32 v12, 29, v6
	s_delay_alu instid0(VALU_DEP_2)
	v_and_b32_e32 v6, 7, v14
; %bb.15:                               ;   in Loop: Header=BB291_10 Depth=1
	s_or_b32 exec_lo, exec_lo, s33
	s_delay_alu instid0(VALU_DEP_1) | instskip(NEXT) | instid1(VALU_DEP_3)
	v_dual_lshlrev_b32 v13, 8, v4 :: v_dual_lshlrev_b32 v6, 7, v6
	v_lshl_add_u32 v12, v12, 10, 0x2000
	s_delay_alu instid0(VALU_DEP_2) | instskip(NEXT) | instid1(VALU_DEP_2)
	v_and_b32_e32 v13, 0x8000, v13
	v_and_b32_e32 v12, 0xfc00, v12
	s_delay_alu instid0(VALU_DEP_1)
	v_or3_b32 v12, v13, v12, v6
.LBB291_16:                             ;   in Loop: Header=BB291_10 Depth=1
	s_or_b32 exec_lo, exec_lo, s31
.LBB291_17:                             ;   in Loop: Header=BB291_10 Depth=1
	s_delay_alu instid0(SALU_CYCLE_1)
	s_or_b32 exec_lo, exec_lo, s30
.LBB291_18:                             ;   in Loop: Header=BB291_10 Depth=1
	s_delay_alu instid0(SALU_CYCLE_1) | instskip(SKIP_3) | instid1(VALU_DEP_2)
	s_or_b32 exec_lo, exec_lo, s29
	v_lshrrev_b16 v6, 8, v4
	v_dual_mov_b32 v14, 0 :: v_dual_mov_b32 v13, 0
	s_mov_b32 s29, exec_lo
	v_cmpx_ne_u16_e32 0, v6
	s_cbranch_execz .LBB291_26
; %bb.19:                               ;   in Loop: Header=BB291_10 Depth=1
	v_bfrev_b32_e32 v13, 1
	s_mov_b32 s30, exec_lo
	v_cmpx_ne_u16_e32 0x80, v6
	s_cbranch_execz .LBB291_25
; %bb.20:                               ;   in Loop: Header=BB291_10 Depth=1
	v_and_b32_e32 v15, 0xffff, v6
	v_mov_b32_e32 v13, 0x7c010000
	s_mov_b32 s31, exec_lo
	s_delay_alu instid0(VALU_DEP_2) | instskip(NEXT) | instid1(VALU_DEP_1)
	v_and_b32_e32 v17, 0x7f, v15
	v_cmpx_ne_u32_e32 0x7f, v17
	s_cbranch_execz .LBB291_24
; %bb.21:                               ;   in Loop: Header=BB291_10 Depth=1
	v_dual_lshrrev_b32 v16, 3, v17 :: v_dual_bitop2_b32 v13, 7, v15 bitop3:0x40
	s_mov_b32 s33, exec_lo
	v_cmpx_gt_u32_e32 8, v17
; %bb.22:                               ;   in Loop: Header=BB291_10 Depth=1
	s_delay_alu instid0(VALU_DEP_2) | instskip(NEXT) | instid1(VALU_DEP_1)
	v_clz_i32_u32_e32 v13, v13
	v_min_u32_e32 v13, 32, v13
	s_delay_alu instid0(VALU_DEP_1) | instskip(NEXT) | instid1(VALU_DEP_1)
	v_subrev_nc_u32_e32 v16, 28, v13
	v_lshlrev_b64_e32 v[18:19], v16, v[6:7]
	s_delay_alu instid0(VALU_DEP_1)
	v_dual_sub_nc_u32 v16, 29, v13 :: v_dual_bitop2_b32 v13, 7, v18 bitop3:0x40
; %bb.23:                               ;   in Loop: Header=BB291_10 Depth=1
	s_or_b32 exec_lo, exec_lo, s33
	s_delay_alu instid0(VALU_DEP_1) | instskip(NEXT) | instid1(VALU_DEP_2)
	v_dual_lshlrev_b32 v6, 8, v15 :: v_dual_lshlrev_b32 v13, 23, v13
	v_lshl_add_u32 v15, v16, 10, 0x2000
	s_delay_alu instid0(VALU_DEP_1) | instskip(NEXT) | instid1(VALU_DEP_1)
	v_and_or_b32 v6, 0x8000, v6, v15
	v_lshl_or_b32 v13, v6, 16, v13
.LBB291_24:                             ;   in Loop: Header=BB291_10 Depth=1
	s_or_b32 exec_lo, exec_lo, s31
.LBB291_25:                             ;   in Loop: Header=BB291_10 Depth=1
	s_delay_alu instid0(SALU_CYCLE_1)
	s_or_b32 exec_lo, exec_lo, s30
.LBB291_26:                             ;   in Loop: Header=BB291_10 Depth=1
	s_delay_alu instid0(SALU_CYCLE_1) | instskip(SKIP_2) | instid1(VALU_DEP_1)
	s_or_b32 exec_lo, exec_lo, s29
	v_lshrrev_b32_e32 v6, 16, v4
	s_mov_b32 s29, exec_lo
	v_and_b32_e32 v15, 0xff, v6
	s_delay_alu instid0(VALU_DEP_1)
	v_cmpx_ne_u16_e32 0, v15
	s_cbranch_execz .LBB291_34
; %bb.27:                               ;   in Loop: Header=BB291_10 Depth=1
	v_mov_b32_e32 v14, 0x8000
	s_mov_b32 s30, exec_lo
	v_cmpx_ne_u16_e32 0x80, v15
	s_cbranch_execz .LBB291_33
; %bb.28:                               ;   in Loop: Header=BB291_10 Depth=1
	v_bfe_u32 v16, v4, 16, 7
	v_mov_b32_e32 v14, 0x7c01
	s_mov_b32 s31, exec_lo
	s_delay_alu instid0(VALU_DEP_2)
	v_cmpx_ne_u32_e32 0x7f, v16
	s_cbranch_execz .LBB291_32
; %bb.29:                               ;   in Loop: Header=BB291_10 Depth=1
	v_dual_lshrrev_b32 v15, 3, v16 :: v_dual_bitop2_b32 v14, 7, v6 bitop3:0x40
	s_mov_b32 s33, exec_lo
	v_cmpx_gt_u32_e32 8, v16
; %bb.30:                               ;   in Loop: Header=BB291_10 Depth=1
	s_delay_alu instid0(VALU_DEP_2) | instskip(NEXT) | instid1(VALU_DEP_1)
	v_clz_i32_u32_e32 v14, v14
	v_min_u32_e32 v16, 32, v14
	s_delay_alu instid0(VALU_DEP_1) | instskip(NEXT) | instid1(VALU_DEP_1)
	v_subrev_nc_u32_e32 v14, 28, v16
	v_lshlrev_b64_e32 v[14:15], v14, v[6:7]
	s_delay_alu instid0(VALU_DEP_1)
	v_dual_sub_nc_u32 v15, 29, v16 :: v_dual_bitop2_b32 v14, 7, v14 bitop3:0x40
; %bb.31:                               ;   in Loop: Header=BB291_10 Depth=1
	s_or_b32 exec_lo, exec_lo, s33
	v_lshlrev_b32_e32 v6, 8, v6
	s_delay_alu instid0(VALU_DEP_2) | instskip(NEXT) | instid1(VALU_DEP_3)
	v_lshl_add_u32 v15, v15, 10, 0x2000
	v_lshlrev_b32_e32 v14, 7, v14
	s_delay_alu instid0(VALU_DEP_3) | instskip(NEXT) | instid1(VALU_DEP_3)
	v_and_b32_e32 v6, 0x8000, v6
	v_and_b32_e32 v15, 0xfc00, v15
	s_delay_alu instid0(VALU_DEP_1)
	v_or3_b32 v14, v6, v15, v14
.LBB291_32:                             ;   in Loop: Header=BB291_10 Depth=1
	s_or_b32 exec_lo, exec_lo, s31
.LBB291_33:                             ;   in Loop: Header=BB291_10 Depth=1
	s_delay_alu instid0(SALU_CYCLE_1)
	s_or_b32 exec_lo, exec_lo, s30
.LBB291_34:                             ;   in Loop: Header=BB291_10 Depth=1
	s_delay_alu instid0(SALU_CYCLE_1)
	s_or_b32 exec_lo, exec_lo, s29
	v_dual_mov_b32 v15, 0 :: v_dual_mov_b32 v16, 0
	s_mov_b32 s29, exec_lo
	v_cmpx_lt_u32_e32 0xffffff, v4
	s_cbranch_execz .LBB291_42
; %bb.35:                               ;   in Loop: Header=BB291_10 Depth=1
	v_lshrrev_b32_e32 v6, 24, v4
	v_bfrev_b32_e32 v16, 1
	s_mov_b32 s30, exec_lo
	s_delay_alu instid0(VALU_DEP_2)
	v_cmpx_ne_u32_e32 0x80, v6
	s_cbranch_execz .LBB291_41
; %bb.36:                               ;   in Loop: Header=BB291_10 Depth=1
	v_and_b32_e32 v18, 0x7f, v6
	v_mov_b32_e32 v16, 0x7c010000
	s_mov_b32 s31, exec_lo
	s_delay_alu instid0(VALU_DEP_2)
	v_cmpx_ne_u32_e32 0x7f, v18
	s_cbranch_execz .LBB291_40
; %bb.37:                               ;   in Loop: Header=BB291_10 Depth=1
	v_and_b32_e32 v16, 7, v6
	v_lshrrev_b32_e32 v17, 3, v18
	s_mov_b32 s33, exec_lo
	v_cmpx_gt_u32_e32 8, v18
; %bb.38:                               ;   in Loop: Header=BB291_10 Depth=1
	s_delay_alu instid0(VALU_DEP_3) | instskip(NEXT) | instid1(VALU_DEP_1)
	v_clz_i32_u32_e32 v16, v16
	v_min_u32_e32 v18, 32, v16
	s_delay_alu instid0(VALU_DEP_1) | instskip(NEXT) | instid1(VALU_DEP_1)
	v_subrev_nc_u32_e32 v16, 28, v18
	v_lshlrev_b64_e32 v[16:17], v16, v[6:7]
	s_delay_alu instid0(VALU_DEP_1)
	v_dual_sub_nc_u32 v17, 29, v18 :: v_dual_bitop2_b32 v16, 7, v16 bitop3:0x40
; %bb.39:                               ;   in Loop: Header=BB291_10 Depth=1
	s_or_b32 exec_lo, exec_lo, s33
	s_delay_alu instid0(VALU_DEP_1) | instskip(NEXT) | instid1(VALU_DEP_2)
	v_dual_lshlrev_b32 v6, 8, v6 :: v_dual_lshlrev_b32 v16, 23, v16
	v_lshl_add_u32 v17, v17, 10, 0x2000
	s_delay_alu instid0(VALU_DEP_1) | instskip(NEXT) | instid1(VALU_DEP_1)
	v_and_or_b32 v6, 0x8000, v6, v17
	v_lshl_or_b32 v16, v6, 16, v16
.LBB291_40:                             ;   in Loop: Header=BB291_10 Depth=1
	s_or_b32 exec_lo, exec_lo, s31
.LBB291_41:                             ;   in Loop: Header=BB291_10 Depth=1
	s_delay_alu instid0(SALU_CYCLE_1)
	s_or_b32 exec_lo, exec_lo, s30
.LBB291_42:                             ;   in Loop: Header=BB291_10 Depth=1
	s_delay_alu instid0(SALU_CYCLE_1) | instskip(SKIP_3) | instid1(VALU_DEP_2)
	s_or_b32 exec_lo, exec_lo, s29
	v_and_b32_e32 v17, 0xff, v5
	v_mov_b32_e32 v6, v5
	s_mov_b32 s29, exec_lo
	v_cmpx_ne_u16_e32 0, v17
	s_cbranch_execz .LBB291_50
; %bb.43:                               ;   in Loop: Header=BB291_10 Depth=1
	v_mov_b32_e32 v15, 0x8000
	s_mov_b32 s30, exec_lo
	v_cmpx_ne_u16_e32 0x80, v17
	s_cbranch_execz .LBB291_49
; %bb.44:                               ;   in Loop: Header=BB291_10 Depth=1
	v_and_b32_e32 v18, 0x7f, v5
	v_mov_b32_e32 v15, 0x7c01
	s_mov_b32 s31, exec_lo
	s_delay_alu instid0(VALU_DEP_2)
	v_cmpx_ne_u32_e32 0x7f, v18
	s_cbranch_execz .LBB291_48
; %bb.45:                               ;   in Loop: Header=BB291_10 Depth=1
	v_dual_lshrrev_b32 v17, 3, v18 :: v_dual_bitop2_b32 v15, 7, v5 bitop3:0x40
	s_mov_b32 s33, exec_lo
	v_cmpx_gt_u32_e32 8, v18
; %bb.46:                               ;   in Loop: Header=BB291_10 Depth=1
	s_delay_alu instid0(VALU_DEP_2) | instskip(NEXT) | instid1(VALU_DEP_1)
	v_clz_i32_u32_e32 v15, v15
	v_min_u32_e32 v15, 32, v15
	s_delay_alu instid0(VALU_DEP_1) | instskip(NEXT) | instid1(VALU_DEP_1)
	v_subrev_nc_u32_e32 v17, 28, v15
	v_lshlrev_b64_e32 v[18:19], v17, v[6:7]
	s_delay_alu instid0(VALU_DEP_1)
	v_dual_sub_nc_u32 v17, 29, v15 :: v_dual_bitop2_b32 v15, 7, v18 bitop3:0x40
; %bb.47:                               ;   in Loop: Header=BB291_10 Depth=1
	s_or_b32 exec_lo, exec_lo, s33
	s_delay_alu instid0(VALU_DEP_1) | instskip(NEXT) | instid1(VALU_DEP_2)
	v_dual_lshlrev_b32 v18, 8, v5 :: v_dual_lshlrev_b32 v15, 7, v15
	v_lshl_add_u32 v17, v17, 10, 0x2000
	s_delay_alu instid0(VALU_DEP_2) | instskip(NEXT) | instid1(VALU_DEP_2)
	v_and_b32_e32 v18, 0x8000, v18
	v_and_b32_e32 v17, 0xfc00, v17
	s_delay_alu instid0(VALU_DEP_1)
	v_or3_b32 v15, v18, v17, v15
.LBB291_48:                             ;   in Loop: Header=BB291_10 Depth=1
	s_or_b32 exec_lo, exec_lo, s31
.LBB291_49:                             ;   in Loop: Header=BB291_10 Depth=1
	s_delay_alu instid0(SALU_CYCLE_1)
	s_or_b32 exec_lo, exec_lo, s30
.LBB291_50:                             ;   in Loop: Header=BB291_10 Depth=1
	s_delay_alu instid0(SALU_CYCLE_1) | instskip(SKIP_3) | instid1(VALU_DEP_2)
	s_or_b32 exec_lo, exec_lo, s29
	v_lshrrev_b16 v6, 8, v6
	v_dual_mov_b32 v17, 0 :: v_dual_mov_b32 v18, 0
	s_mov_b32 s29, exec_lo
	v_cmpx_ne_u16_e32 0, v6
	s_cbranch_execz .LBB291_58
; %bb.51:                               ;   in Loop: Header=BB291_10 Depth=1
	v_bfrev_b32_e32 v18, 1
	s_mov_b32 s30, exec_lo
	v_cmpx_ne_u16_e32 0x80, v6
	s_cbranch_execz .LBB291_57
; %bb.52:                               ;   in Loop: Header=BB291_10 Depth=1
	v_and_b32_e32 v19, 0xffff, v6
	v_mov_b32_e32 v18, 0x7c010000
	s_mov_b32 s31, exec_lo
	s_delay_alu instid0(VALU_DEP_2) | instskip(NEXT) | instid1(VALU_DEP_1)
	v_and_b32_e32 v21, 0x7f, v19
	v_cmpx_ne_u32_e32 0x7f, v21
	s_cbranch_execz .LBB291_56
; %bb.53:                               ;   in Loop: Header=BB291_10 Depth=1
	v_dual_lshrrev_b32 v20, 3, v21 :: v_dual_bitop2_b32 v18, 7, v19 bitop3:0x40
	s_mov_b32 s33, exec_lo
	v_cmpx_gt_u32_e32 8, v21
; %bb.54:                               ;   in Loop: Header=BB291_10 Depth=1
	s_delay_alu instid0(VALU_DEP_2) | instskip(NEXT) | instid1(VALU_DEP_1)
	v_clz_i32_u32_e32 v18, v18
	v_min_u32_e32 v18, 32, v18
	s_delay_alu instid0(VALU_DEP_1) | instskip(NEXT) | instid1(VALU_DEP_1)
	v_subrev_nc_u32_e32 v20, 28, v18
	v_lshlrev_b64_e32 v[22:23], v20, v[6:7]
	v_sub_nc_u32_e32 v20, 29, v18
	s_delay_alu instid0(VALU_DEP_2)
	v_and_b32_e32 v18, 7, v22
; %bb.55:                               ;   in Loop: Header=BB291_10 Depth=1
	s_or_b32 exec_lo, exec_lo, s33
	s_delay_alu instid0(VALU_DEP_1) | instskip(NEXT) | instid1(VALU_DEP_3)
	v_dual_lshlrev_b32 v6, 8, v19 :: v_dual_lshlrev_b32 v18, 23, v18
	v_lshl_add_u32 v19, v20, 10, 0x2000
	s_delay_alu instid0(VALU_DEP_1) | instskip(NEXT) | instid1(VALU_DEP_1)
	v_and_or_b32 v6, 0x8000, v6, v19
	v_lshl_or_b32 v18, v6, 16, v18
.LBB291_56:                             ;   in Loop: Header=BB291_10 Depth=1
	s_or_b32 exec_lo, exec_lo, s31
.LBB291_57:                             ;   in Loop: Header=BB291_10 Depth=1
	s_delay_alu instid0(SALU_CYCLE_1)
	s_or_b32 exec_lo, exec_lo, s30
.LBB291_58:                             ;   in Loop: Header=BB291_10 Depth=1
	s_delay_alu instid0(SALU_CYCLE_1) | instskip(SKIP_2) | instid1(VALU_DEP_1)
	s_or_b32 exec_lo, exec_lo, s29
	v_lshrrev_b32_e32 v6, 16, v5
	s_mov_b32 s29, exec_lo
	v_and_b32_e32 v19, 0xff, v6
	s_delay_alu instid0(VALU_DEP_1)
	v_cmpx_ne_u16_e32 0, v19
	s_cbranch_execz .LBB291_66
; %bb.59:                               ;   in Loop: Header=BB291_10 Depth=1
	v_mov_b32_e32 v17, 0x8000
	s_mov_b32 s30, exec_lo
	v_cmpx_ne_u16_e32 0x80, v19
	s_cbranch_execz .LBB291_65
; %bb.60:                               ;   in Loop: Header=BB291_10 Depth=1
	v_bfe_u32 v20, v5, 16, 7
	v_mov_b32_e32 v17, 0x7c01
	s_mov_b32 s31, exec_lo
	s_delay_alu instid0(VALU_DEP_2)
	v_cmpx_ne_u32_e32 0x7f, v20
	s_cbranch_execz .LBB291_64
; %bb.61:                               ;   in Loop: Header=BB291_10 Depth=1
	v_dual_lshrrev_b32 v19, 3, v20 :: v_dual_bitop2_b32 v17, 7, v6 bitop3:0x40
	s_mov_b32 s33, exec_lo
	v_cmpx_gt_u32_e32 8, v20
; %bb.62:                               ;   in Loop: Header=BB291_10 Depth=1
	s_delay_alu instid0(VALU_DEP_2) | instskip(NEXT) | instid1(VALU_DEP_1)
	v_clz_i32_u32_e32 v17, v17
	v_min_u32_e32 v17, 32, v17
	s_delay_alu instid0(VALU_DEP_1) | instskip(NEXT) | instid1(VALU_DEP_1)
	v_subrev_nc_u32_e32 v19, 28, v17
	v_lshlrev_b64_e32 v[20:21], v19, v[6:7]
	s_delay_alu instid0(VALU_DEP_1)
	v_dual_sub_nc_u32 v19, 29, v17 :: v_dual_bitop2_b32 v17, 7, v20 bitop3:0x40
; %bb.63:                               ;   in Loop: Header=BB291_10 Depth=1
	s_or_b32 exec_lo, exec_lo, s33
	s_delay_alu instid0(VALU_DEP_1) | instskip(NEXT) | instid1(VALU_DEP_2)
	v_dual_lshlrev_b32 v6, 8, v6 :: v_dual_lshlrev_b32 v17, 7, v17
	v_lshl_add_u32 v19, v19, 10, 0x2000
	s_delay_alu instid0(VALU_DEP_2) | instskip(NEXT) | instid1(VALU_DEP_2)
	v_and_b32_e32 v6, 0x8000, v6
	v_and_b32_e32 v19, 0xfc00, v19
	s_delay_alu instid0(VALU_DEP_1)
	v_or3_b32 v17, v6, v19, v17
.LBB291_64:                             ;   in Loop: Header=BB291_10 Depth=1
	s_or_b32 exec_lo, exec_lo, s31
.LBB291_65:                             ;   in Loop: Header=BB291_10 Depth=1
	s_delay_alu instid0(SALU_CYCLE_1)
	s_or_b32 exec_lo, exec_lo, s30
.LBB291_66:                             ;   in Loop: Header=BB291_10 Depth=1
	s_delay_alu instid0(SALU_CYCLE_1)
	s_or_b32 exec_lo, exec_lo, s29
	v_dual_mov_b32 v23, 0 :: v_dual_mov_b32 v19, 0
	s_mov_b32 s29, exec_lo
	v_cmpx_lt_u64_e64 s[20:21], v[4:5]
	s_cbranch_execz .LBB291_74
; %bb.67:                               ;   in Loop: Header=BB291_10 Depth=1
	v_lshrrev_b32_e32 v6, 24, v5
	v_bfrev_b32_e32 v19, 1
	s_mov_b32 s30, exec_lo
	s_delay_alu instid0(VALU_DEP_2)
	v_cmpx_ne_u32_e32 0x80, v6
	s_cbranch_execz .LBB291_73
; %bb.68:                               ;   in Loop: Header=BB291_10 Depth=1
	v_and_b32_e32 v20, 0x7f, v6
	v_mov_b32_e32 v19, 0x7c010000
	s_mov_b32 s31, exec_lo
	s_delay_alu instid0(VALU_DEP_2)
	v_cmpx_ne_u32_e32 0x7f, v20
	s_cbranch_execz .LBB291_72
; %bb.69:                               ;   in Loop: Header=BB291_10 Depth=1
	v_dual_lshrrev_b32 v5, 3, v20 :: v_dual_bitop2_b32 v4, 7, v6 bitop3:0x40
	s_mov_b32 s33, exec_lo
	v_cmpx_gt_u32_e32 8, v20
; %bb.70:                               ;   in Loop: Header=BB291_10 Depth=1
	s_delay_alu instid0(VALU_DEP_2) | instskip(NEXT) | instid1(VALU_DEP_1)
	v_clz_i32_u32_e32 v4, v4
	v_min_u32_e32 v19, 32, v4
	s_delay_alu instid0(VALU_DEP_1) | instskip(NEXT) | instid1(VALU_DEP_1)
	v_subrev_nc_u32_e32 v4, 28, v19
	v_lshlrev_b64_e32 v[4:5], v4, v[6:7]
	s_delay_alu instid0(VALU_DEP_1)
	v_dual_sub_nc_u32 v5, 29, v19 :: v_dual_bitop2_b32 v4, 7, v4 bitop3:0x40
; %bb.71:                               ;   in Loop: Header=BB291_10 Depth=1
	s_or_b32 exec_lo, exec_lo, s33
	s_delay_alu instid0(VALU_DEP_1) | instskip(NEXT) | instid1(VALU_DEP_2)
	v_dual_lshlrev_b32 v6, 8, v6 :: v_dual_lshlrev_b32 v4, 23, v4
	v_lshl_add_u32 v5, v5, 10, 0x2000
	s_delay_alu instid0(VALU_DEP_1) | instskip(NEXT) | instid1(VALU_DEP_1)
	v_and_or_b32 v5, 0x8000, v6, v5
	v_lshl_or_b32 v19, v5, 16, v4
.LBB291_72:                             ;   in Loop: Header=BB291_10 Depth=1
	s_or_b32 exec_lo, exec_lo, s31
.LBB291_73:                             ;   in Loop: Header=BB291_10 Depth=1
	s_delay_alu instid0(SALU_CYCLE_1)
	s_or_b32 exec_lo, exec_lo, s30
.LBB291_74:                             ;   in Loop: Header=BB291_10 Depth=1
	s_delay_alu instid0(SALU_CYCLE_1)
	s_or_b32 exec_lo, exec_lo, s29
	global_load_b64 v[4:5], v[2:3], off offset:8
	s_mov_b32 s29, exec_lo
	s_wait_loadcnt 0x0
	v_and_b32_e32 v6, 0xff, v4
	s_wait_xcnt 0x0
	s_delay_alu instid0(VALU_DEP_1)
	v_cmpx_ne_u16_e32 0, v6
	s_cbranch_execz .LBB291_82
; %bb.75:                               ;   in Loop: Header=BB291_10 Depth=1
	v_mov_b32_e32 v23, 0x8000
	s_mov_b32 s30, exec_lo
	v_cmpx_ne_u16_e32 0x80, v6
	s_cbranch_execz .LBB291_81
; %bb.76:                               ;   in Loop: Header=BB291_10 Depth=1
	v_and_b32_e32 v21, 0x7f, v4
	v_mov_b32_e32 v23, 0x7c01
	s_mov_b32 s31, exec_lo
	s_delay_alu instid0(VALU_DEP_2)
	v_cmpx_ne_u32_e32 0x7f, v21
	s_cbranch_execz .LBB291_80
; %bb.77:                               ;   in Loop: Header=BB291_10 Depth=1
	v_dual_lshrrev_b32 v20, 3, v21 :: v_dual_bitop2_b32 v6, 7, v4 bitop3:0x40
	s_mov_b32 s33, exec_lo
	v_cmpx_gt_u32_e32 8, v21
; %bb.78:                               ;   in Loop: Header=BB291_10 Depth=1
	s_delay_alu instid0(VALU_DEP_2) | instskip(NEXT) | instid1(VALU_DEP_1)
	v_clz_i32_u32_e32 v6, v6
	v_min_u32_e32 v6, 32, v6
	s_delay_alu instid0(VALU_DEP_1) | instskip(NEXT) | instid1(VALU_DEP_1)
	v_subrev_nc_u32_e32 v20, 28, v6
	v_lshlrev_b64_e32 v[22:23], v20, v[4:5]
	v_sub_nc_u32_e32 v20, 29, v6
	s_delay_alu instid0(VALU_DEP_2)
	v_and_b32_e32 v6, 7, v22
; %bb.79:                               ;   in Loop: Header=BB291_10 Depth=1
	s_or_b32 exec_lo, exec_lo, s33
	s_delay_alu instid0(VALU_DEP_1) | instskip(NEXT) | instid1(VALU_DEP_3)
	v_dual_lshlrev_b32 v21, 8, v4 :: v_dual_lshlrev_b32 v6, 7, v6
	v_lshl_add_u32 v20, v20, 10, 0x2000
	s_delay_alu instid0(VALU_DEP_2) | instskip(NEXT) | instid1(VALU_DEP_2)
	v_and_b32_e32 v21, 0x8000, v21
	v_and_b32_e32 v20, 0xfc00, v20
	s_delay_alu instid0(VALU_DEP_1)
	v_or3_b32 v23, v21, v20, v6
.LBB291_80:                             ;   in Loop: Header=BB291_10 Depth=1
	s_or_b32 exec_lo, exec_lo, s31
.LBB291_81:                             ;   in Loop: Header=BB291_10 Depth=1
	s_delay_alu instid0(SALU_CYCLE_1)
	s_or_b32 exec_lo, exec_lo, s30
.LBB291_82:                             ;   in Loop: Header=BB291_10 Depth=1
	s_delay_alu instid0(SALU_CYCLE_1) | instskip(SKIP_3) | instid1(VALU_DEP_2)
	s_or_b32 exec_lo, exec_lo, s29
	v_lshrrev_b16 v6, 8, v4
	v_dual_mov_b32 v20, 0 :: v_dual_mov_b32 v24, 0
	s_mov_b32 s29, exec_lo
	v_cmpx_ne_u16_e32 0, v6
	s_cbranch_execz .LBB291_90
; %bb.83:                               ;   in Loop: Header=BB291_10 Depth=1
	v_bfrev_b32_e32 v24, 1
	s_mov_b32 s30, exec_lo
	v_cmpx_ne_u16_e32 0x80, v6
	s_cbranch_execz .LBB291_89
; %bb.84:                               ;   in Loop: Header=BB291_10 Depth=1
	v_and_b32_e32 v21, 0xffff, v6
	v_mov_b32_e32 v24, 0x7c010000
	s_mov_b32 s31, exec_lo
	s_delay_alu instid0(VALU_DEP_2) | instskip(NEXT) | instid1(VALU_DEP_1)
	v_and_b32_e32 v25, 0x7f, v21
	v_cmpx_ne_u32_e32 0x7f, v25
	s_cbranch_execz .LBB291_88
; %bb.85:                               ;   in Loop: Header=BB291_10 Depth=1
	v_and_b32_e32 v22, 7, v21
	v_lshrrev_b32_e32 v24, 3, v25
	s_mov_b32 s33, exec_lo
	v_cmpx_gt_u32_e32 8, v25
; %bb.86:                               ;   in Loop: Header=BB291_10 Depth=1
	s_delay_alu instid0(VALU_DEP_3) | instskip(NEXT) | instid1(VALU_DEP_1)
	v_clz_i32_u32_e32 v22, v22
	v_min_u32_e32 v22, 32, v22
	s_delay_alu instid0(VALU_DEP_1) | instskip(NEXT) | instid1(VALU_DEP_1)
	v_subrev_nc_u32_e32 v24, 28, v22
	v_lshlrev_b64_e32 v[26:27], v24, v[6:7]
	v_sub_nc_u32_e32 v24, 29, v22
	s_delay_alu instid0(VALU_DEP_2)
	v_and_b32_e32 v22, 7, v26
; %bb.87:                               ;   in Loop: Header=BB291_10 Depth=1
	s_or_b32 exec_lo, exec_lo, s33
	v_lshlrev_b32_e32 v6, 8, v21
	s_delay_alu instid0(VALU_DEP_3) | instskip(NEXT) | instid1(VALU_DEP_1)
	v_lshl_add_u32 v21, v24, 10, 0x2000
	v_and_or_b32 v6, 0x8000, v6, v21
	v_lshlrev_b32_e32 v21, 23, v22
	s_delay_alu instid0(VALU_DEP_1)
	v_lshl_or_b32 v24, v6, 16, v21
.LBB291_88:                             ;   in Loop: Header=BB291_10 Depth=1
	s_or_b32 exec_lo, exec_lo, s31
.LBB291_89:                             ;   in Loop: Header=BB291_10 Depth=1
	s_delay_alu instid0(SALU_CYCLE_1)
	s_or_b32 exec_lo, exec_lo, s30
.LBB291_90:                             ;   in Loop: Header=BB291_10 Depth=1
	s_delay_alu instid0(SALU_CYCLE_1) | instskip(SKIP_2) | instid1(VALU_DEP_1)
	s_or_b32 exec_lo, exec_lo, s29
	v_lshrrev_b32_e32 v6, 16, v4
	s_mov_b32 s29, exec_lo
	v_and_b32_e32 v21, 0xff, v6
	s_delay_alu instid0(VALU_DEP_1)
	v_cmpx_ne_u16_e32 0, v21
	s_cbranch_execz .LBB291_98
; %bb.91:                               ;   in Loop: Header=BB291_10 Depth=1
	v_mov_b32_e32 v20, 0x8000
	s_mov_b32 s30, exec_lo
	v_cmpx_ne_u16_e32 0x80, v21
	s_cbranch_execz .LBB291_97
; %bb.92:                               ;   in Loop: Header=BB291_10 Depth=1
	v_bfe_u32 v22, v4, 16, 7
	v_mov_b32_e32 v20, 0x7c01
	s_mov_b32 s31, exec_lo
	s_delay_alu instid0(VALU_DEP_2)
	v_cmpx_ne_u32_e32 0x7f, v22
	s_cbranch_execz .LBB291_96
; %bb.93:                               ;   in Loop: Header=BB291_10 Depth=1
	v_and_b32_e32 v20, 7, v6
	v_lshrrev_b32_e32 v21, 3, v22
	s_mov_b32 s33, exec_lo
	v_cmpx_gt_u32_e32 8, v22
; %bb.94:                               ;   in Loop: Header=BB291_10 Depth=1
	s_delay_alu instid0(VALU_DEP_3) | instskip(NEXT) | instid1(VALU_DEP_1)
	v_clz_i32_u32_e32 v20, v20
	v_min_u32_e32 v22, 32, v20
	s_delay_alu instid0(VALU_DEP_1) | instskip(NEXT) | instid1(VALU_DEP_1)
	v_subrev_nc_u32_e32 v20, 28, v22
	v_lshlrev_b64_e32 v[20:21], v20, v[6:7]
	s_delay_alu instid0(VALU_DEP_1)
	v_dual_sub_nc_u32 v21, 29, v22 :: v_dual_bitop2_b32 v20, 7, v20 bitop3:0x40
; %bb.95:                               ;   in Loop: Header=BB291_10 Depth=1
	s_or_b32 exec_lo, exec_lo, s33
	s_delay_alu instid0(VALU_DEP_1) | instskip(NEXT) | instid1(VALU_DEP_2)
	v_dual_lshlrev_b32 v6, 8, v6 :: v_dual_lshlrev_b32 v20, 7, v20
	v_lshl_add_u32 v21, v21, 10, 0x2000
	s_delay_alu instid0(VALU_DEP_2) | instskip(NEXT) | instid1(VALU_DEP_2)
	v_and_b32_e32 v6, 0x8000, v6
	v_and_b32_e32 v21, 0xfc00, v21
	s_delay_alu instid0(VALU_DEP_1)
	v_or3_b32 v20, v6, v21, v20
.LBB291_96:                             ;   in Loop: Header=BB291_10 Depth=1
	s_or_b32 exec_lo, exec_lo, s31
.LBB291_97:                             ;   in Loop: Header=BB291_10 Depth=1
	s_delay_alu instid0(SALU_CYCLE_1)
	s_or_b32 exec_lo, exec_lo, s30
.LBB291_98:                             ;   in Loop: Header=BB291_10 Depth=1
	s_delay_alu instid0(SALU_CYCLE_1)
	s_or_b32 exec_lo, exec_lo, s29
	v_dual_mov_b32 v22, 0 :: v_dual_mov_b32 v21, 0
	s_mov_b32 s29, exec_lo
	v_cmpx_lt_u32_e32 0xffffff, v4
	s_cbranch_execz .LBB291_106
; %bb.99:                               ;   in Loop: Header=BB291_10 Depth=1
	v_lshrrev_b32_e32 v6, 24, v4
	v_bfrev_b32_e32 v21, 1
	s_mov_b32 s30, exec_lo
	s_delay_alu instid0(VALU_DEP_2)
	v_cmpx_ne_u32_e32 0x80, v6
	s_cbranch_execz .LBB291_105
; %bb.100:                              ;   in Loop: Header=BB291_10 Depth=1
	v_and_b32_e32 v26, 0x7f, v6
	v_mov_b32_e32 v21, 0x7c010000
	s_mov_b32 s31, exec_lo
	s_delay_alu instid0(VALU_DEP_2)
	v_cmpx_ne_u32_e32 0x7f, v26
	s_cbranch_execz .LBB291_104
; %bb.101:                              ;   in Loop: Header=BB291_10 Depth=1
	v_and_b32_e32 v21, 7, v6
	v_lshrrev_b32_e32 v25, 3, v26
	s_mov_b32 s33, exec_lo
	v_cmpx_gt_u32_e32 8, v26
; %bb.102:                              ;   in Loop: Header=BB291_10 Depth=1
	s_delay_alu instid0(VALU_DEP_3) | instskip(NEXT) | instid1(VALU_DEP_1)
	v_clz_i32_u32_e32 v21, v21
	v_min_u32_e32 v21, 32, v21
	s_delay_alu instid0(VALU_DEP_1) | instskip(NEXT) | instid1(VALU_DEP_1)
	v_subrev_nc_u32_e32 v25, 28, v21
	v_lshlrev_b64_e32 v[26:27], v25, v[6:7]
	s_delay_alu instid0(VALU_DEP_1)
	v_dual_sub_nc_u32 v25, 29, v21 :: v_dual_bitop2_b32 v21, 7, v26 bitop3:0x40
; %bb.103:                              ;   in Loop: Header=BB291_10 Depth=1
	s_or_b32 exec_lo, exec_lo, s33
	s_delay_alu instid0(VALU_DEP_1) | instskip(NEXT) | instid1(VALU_DEP_2)
	v_dual_lshlrev_b32 v6, 8, v6 :: v_dual_lshlrev_b32 v21, 23, v21
	v_lshl_add_u32 v25, v25, 10, 0x2000
	s_delay_alu instid0(VALU_DEP_1) | instskip(NEXT) | instid1(VALU_DEP_1)
	v_and_or_b32 v6, 0x8000, v6, v25
	v_lshl_or_b32 v21, v6, 16, v21
.LBB291_104:                            ;   in Loop: Header=BB291_10 Depth=1
	s_or_b32 exec_lo, exec_lo, s31
.LBB291_105:                            ;   in Loop: Header=BB291_10 Depth=1
	s_delay_alu instid0(SALU_CYCLE_1)
	s_or_b32 exec_lo, exec_lo, s30
.LBB291_106:                            ;   in Loop: Header=BB291_10 Depth=1
	s_delay_alu instid0(SALU_CYCLE_1) | instskip(SKIP_3) | instid1(VALU_DEP_2)
	s_or_b32 exec_lo, exec_lo, s29
	v_and_b32_e32 v25, 0xff, v5
	v_mov_b32_e32 v6, v5
	s_mov_b32 s29, exec_lo
	v_cmpx_ne_u16_e32 0, v25
	s_cbranch_execz .LBB291_114
; %bb.107:                              ;   in Loop: Header=BB291_10 Depth=1
	v_mov_b32_e32 v22, 0x8000
	s_mov_b32 s30, exec_lo
	v_cmpx_ne_u16_e32 0x80, v25
	s_cbranch_execz .LBB291_113
; %bb.108:                              ;   in Loop: Header=BB291_10 Depth=1
	v_and_b32_e32 v26, 0x7f, v5
	v_mov_b32_e32 v22, 0x7c01
	s_mov_b32 s31, exec_lo
	s_delay_alu instid0(VALU_DEP_2)
	v_cmpx_ne_u32_e32 0x7f, v26
	s_cbranch_execz .LBB291_112
; %bb.109:                              ;   in Loop: Header=BB291_10 Depth=1
	v_dual_lshrrev_b32 v25, 3, v26 :: v_dual_bitop2_b32 v22, 7, v5 bitop3:0x40
	s_mov_b32 s33, exec_lo
	v_cmpx_gt_u32_e32 8, v26
; %bb.110:                              ;   in Loop: Header=BB291_10 Depth=1
	s_delay_alu instid0(VALU_DEP_2) | instskip(NEXT) | instid1(VALU_DEP_1)
	v_clz_i32_u32_e32 v22, v22
	v_min_u32_e32 v22, 32, v22
	s_delay_alu instid0(VALU_DEP_1) | instskip(NEXT) | instid1(VALU_DEP_1)
	v_subrev_nc_u32_e32 v25, 28, v22
	v_lshlrev_b64_e32 v[26:27], v25, v[6:7]
	v_sub_nc_u32_e32 v25, 29, v22
	s_delay_alu instid0(VALU_DEP_2)
	v_and_b32_e32 v22, 7, v26
; %bb.111:                              ;   in Loop: Header=BB291_10 Depth=1
	s_or_b32 exec_lo, exec_lo, s33
	s_delay_alu instid0(VALU_DEP_1) | instskip(NEXT) | instid1(VALU_DEP_3)
	v_dual_lshlrev_b32 v26, 8, v5 :: v_dual_lshlrev_b32 v22, 7, v22
	v_lshl_add_u32 v25, v25, 10, 0x2000
	s_delay_alu instid0(VALU_DEP_2) | instskip(NEXT) | instid1(VALU_DEP_2)
	v_and_b32_e32 v26, 0x8000, v26
	v_and_b32_e32 v25, 0xfc00, v25
	s_delay_alu instid0(VALU_DEP_1)
	v_or3_b32 v22, v26, v25, v22
.LBB291_112:                            ;   in Loop: Header=BB291_10 Depth=1
	s_or_b32 exec_lo, exec_lo, s31
.LBB291_113:                            ;   in Loop: Header=BB291_10 Depth=1
	s_delay_alu instid0(SALU_CYCLE_1)
	s_or_b32 exec_lo, exec_lo, s30
.LBB291_114:                            ;   in Loop: Header=BB291_10 Depth=1
	s_delay_alu instid0(SALU_CYCLE_1) | instskip(SKIP_3) | instid1(VALU_DEP_2)
	s_or_b32 exec_lo, exec_lo, s29
	v_lshrrev_b16 v6, 8, v6
	v_dual_mov_b32 v27, 0 :: v_dual_mov_b32 v26, 0
	s_mov_b32 s29, exec_lo
	v_cmpx_ne_u16_e32 0, v6
	s_cbranch_execz .LBB291_122
; %bb.115:                              ;   in Loop: Header=BB291_10 Depth=1
	v_bfrev_b32_e32 v26, 1
	s_mov_b32 s30, exec_lo
	v_cmpx_ne_u16_e32 0x80, v6
	s_cbranch_execz .LBB291_121
; %bb.116:                              ;   in Loop: Header=BB291_10 Depth=1
	v_and_b32_e32 v25, 0xffff, v6
	v_mov_b32_e32 v26, 0x7c010000
	s_mov_b32 s31, exec_lo
	s_delay_alu instid0(VALU_DEP_2) | instskip(NEXT) | instid1(VALU_DEP_1)
	v_and_b32_e32 v29, 0x7f, v25
	v_cmpx_ne_u32_e32 0x7f, v29
	s_cbranch_execz .LBB291_120
; %bb.117:                              ;   in Loop: Header=BB291_10 Depth=1
	v_and_b32_e32 v26, 7, v25
	v_lshrrev_b32_e32 v28, 3, v29
	s_mov_b32 s33, exec_lo
	v_cmpx_gt_u32_e32 8, v29
; %bb.118:                              ;   in Loop: Header=BB291_10 Depth=1
	s_delay_alu instid0(VALU_DEP_3) | instskip(NEXT) | instid1(VALU_DEP_1)
	v_clz_i32_u32_e32 v26, v26
	v_min_u32_e32 v26, 32, v26
	s_delay_alu instid0(VALU_DEP_1) | instskip(NEXT) | instid1(VALU_DEP_1)
	v_subrev_nc_u32_e32 v28, 28, v26
	v_lshlrev_b64_e32 v[30:31], v28, v[6:7]
	v_sub_nc_u32_e32 v28, 29, v26
	s_delay_alu instid0(VALU_DEP_2)
	v_and_b32_e32 v26, 7, v30
; %bb.119:                              ;   in Loop: Header=BB291_10 Depth=1
	s_or_b32 exec_lo, exec_lo, s33
	v_lshlrev_b32_e32 v6, 8, v25
	s_delay_alu instid0(VALU_DEP_3) | instskip(NEXT) | instid1(VALU_DEP_1)
	v_lshl_add_u32 v25, v28, 10, 0x2000
	v_and_or_b32 v6, 0x8000, v6, v25
	v_lshlrev_b32_e32 v25, 23, v26
	s_delay_alu instid0(VALU_DEP_1)
	v_lshl_or_b32 v26, v6, 16, v25
.LBB291_120:                            ;   in Loop: Header=BB291_10 Depth=1
	s_or_b32 exec_lo, exec_lo, s31
.LBB291_121:                            ;   in Loop: Header=BB291_10 Depth=1
	s_delay_alu instid0(SALU_CYCLE_1)
	s_or_b32 exec_lo, exec_lo, s30
.LBB291_122:                            ;   in Loop: Header=BB291_10 Depth=1
	s_delay_alu instid0(SALU_CYCLE_1) | instskip(SKIP_2) | instid1(VALU_DEP_1)
	s_or_b32 exec_lo, exec_lo, s29
	v_lshrrev_b32_e32 v6, 16, v5
	s_mov_b32 s29, exec_lo
	v_and_b32_e32 v25, 0xff, v6
	s_delay_alu instid0(VALU_DEP_1)
	v_cmpx_ne_u16_e32 0, v25
	s_cbranch_execz .LBB291_130
; %bb.123:                              ;   in Loop: Header=BB291_10 Depth=1
	v_mov_b32_e32 v27, 0x8000
	s_mov_b32 s30, exec_lo
	v_cmpx_ne_u16_e32 0x80, v25
	s_cbranch_execz .LBB291_129
; %bb.124:                              ;   in Loop: Header=BB291_10 Depth=1
	v_bfe_u32 v28, v5, 16, 7
	v_mov_b32_e32 v27, 0x7c01
	s_mov_b32 s31, exec_lo
	s_delay_alu instid0(VALU_DEP_2)
	v_cmpx_ne_u32_e32 0x7f, v28
	s_cbranch_execz .LBB291_128
; %bb.125:                              ;   in Loop: Header=BB291_10 Depth=1
	v_dual_lshrrev_b32 v27, 3, v28 :: v_dual_bitop2_b32 v25, 7, v6 bitop3:0x40
	s_mov_b32 s33, exec_lo
	v_cmpx_gt_u32_e32 8, v28
; %bb.126:                              ;   in Loop: Header=BB291_10 Depth=1
	s_delay_alu instid0(VALU_DEP_2) | instskip(NEXT) | instid1(VALU_DEP_1)
	v_clz_i32_u32_e32 v25, v25
	v_min_u32_e32 v25, 32, v25
	s_delay_alu instid0(VALU_DEP_1) | instskip(NEXT) | instid1(VALU_DEP_1)
	v_subrev_nc_u32_e32 v27, 28, v25
	v_lshlrev_b64_e32 v[28:29], v27, v[6:7]
	s_delay_alu instid0(VALU_DEP_1)
	v_dual_sub_nc_u32 v27, 29, v25 :: v_dual_bitop2_b32 v25, 7, v28 bitop3:0x40
; %bb.127:                              ;   in Loop: Header=BB291_10 Depth=1
	s_or_b32 exec_lo, exec_lo, s33
	s_delay_alu instid0(VALU_DEP_1) | instskip(NEXT) | instid1(VALU_DEP_2)
	v_dual_lshlrev_b32 v6, 8, v6 :: v_dual_lshlrev_b32 v25, 7, v25
	v_lshl_add_u32 v27, v27, 10, 0x2000
	s_delay_alu instid0(VALU_DEP_2) | instskip(NEXT) | instid1(VALU_DEP_2)
	v_and_b32_e32 v6, 0x8000, v6
	v_and_b32_e32 v27, 0xfc00, v27
	s_delay_alu instid0(VALU_DEP_1)
	v_or3_b32 v27, v6, v27, v25
.LBB291_128:                            ;   in Loop: Header=BB291_10 Depth=1
	s_or_b32 exec_lo, exec_lo, s31
.LBB291_129:                            ;   in Loop: Header=BB291_10 Depth=1
	s_delay_alu instid0(SALU_CYCLE_1)
	s_or_b32 exec_lo, exec_lo, s30
.LBB291_130:                            ;   in Loop: Header=BB291_10 Depth=1
	s_delay_alu instid0(SALU_CYCLE_1)
	s_or_b32 exec_lo, exec_lo, s29
	v_dual_mov_b32 v28, 0 :: v_dual_mov_b32 v29, 0
	s_mov_b32 s29, exec_lo
	v_cmpx_lt_u64_e64 s[20:21], v[4:5]
	s_cbranch_execz .LBB291_138
; %bb.131:                              ;   in Loop: Header=BB291_10 Depth=1
	v_lshrrev_b32_e32 v6, 24, v5
	v_bfrev_b32_e32 v29, 1
	s_mov_b32 s30, exec_lo
	s_delay_alu instid0(VALU_DEP_2)
	v_cmpx_ne_u32_e32 0x80, v6
	s_cbranch_execz .LBB291_137
; %bb.132:                              ;   in Loop: Header=BB291_10 Depth=1
	v_and_b32_e32 v25, 0x7f, v6
	v_mov_b32_e32 v29, 0x7c010000
	s_mov_b32 s31, exec_lo
	s_delay_alu instid0(VALU_DEP_2)
	v_cmpx_ne_u32_e32 0x7f, v25
	s_cbranch_execz .LBB291_136
; %bb.133:                              ;   in Loop: Header=BB291_10 Depth=1
	v_dual_lshrrev_b32 v5, 3, v25 :: v_dual_bitop2_b32 v4, 7, v6 bitop3:0x40
	s_mov_b32 s33, exec_lo
	v_cmpx_gt_u32_e32 8, v25
; %bb.134:                              ;   in Loop: Header=BB291_10 Depth=1
	s_delay_alu instid0(VALU_DEP_2) | instskip(NEXT) | instid1(VALU_DEP_1)
	v_clz_i32_u32_e32 v4, v4
	v_min_u32_e32 v25, 32, v4
	s_delay_alu instid0(VALU_DEP_1) | instskip(NEXT) | instid1(VALU_DEP_1)
	v_subrev_nc_u32_e32 v4, 28, v25
	v_lshlrev_b64_e32 v[4:5], v4, v[6:7]
	s_delay_alu instid0(VALU_DEP_1)
	v_dual_sub_nc_u32 v5, 29, v25 :: v_dual_bitop2_b32 v4, 7, v4 bitop3:0x40
; %bb.135:                              ;   in Loop: Header=BB291_10 Depth=1
	s_or_b32 exec_lo, exec_lo, s33
	s_delay_alu instid0(VALU_DEP_1) | instskip(NEXT) | instid1(VALU_DEP_2)
	v_dual_lshlrev_b32 v6, 8, v6 :: v_dual_lshlrev_b32 v4, 23, v4
	v_lshl_add_u32 v5, v5, 10, 0x2000
	s_delay_alu instid0(VALU_DEP_1) | instskip(NEXT) | instid1(VALU_DEP_1)
	v_and_or_b32 v5, 0x8000, v6, v5
	v_lshl_or_b32 v29, v5, 16, v4
.LBB291_136:                            ;   in Loop: Header=BB291_10 Depth=1
	s_or_b32 exec_lo, exec_lo, s31
.LBB291_137:                            ;   in Loop: Header=BB291_10 Depth=1
	s_delay_alu instid0(SALU_CYCLE_1)
	s_or_b32 exec_lo, exec_lo, s30
.LBB291_138:                            ;   in Loop: Header=BB291_10 Depth=1
	s_delay_alu instid0(SALU_CYCLE_1)
	s_or_b32 exec_lo, exec_lo, s29
	global_load_b64 v[4:5], v[2:3], off offset:512
	s_mov_b32 s29, exec_lo
	s_wait_loadcnt 0x0
	v_and_b32_e32 v6, 0xff, v4
	s_wait_xcnt 0x0
	s_delay_alu instid0(VALU_DEP_1)
	v_cmpx_ne_u16_e32 0, v6
	s_cbranch_execz .LBB291_146
; %bb.139:                              ;   in Loop: Header=BB291_10 Depth=1
	v_mov_b32_e32 v28, 0x8000
	s_mov_b32 s30, exec_lo
	v_cmpx_ne_u16_e32 0x80, v6
	s_cbranch_execz .LBB291_145
; %bb.140:                              ;   in Loop: Header=BB291_10 Depth=1
	v_and_b32_e32 v30, 0x7f, v4
	v_mov_b32_e32 v28, 0x7c01
	s_mov_b32 s31, exec_lo
	s_delay_alu instid0(VALU_DEP_2)
	v_cmpx_ne_u32_e32 0x7f, v30
	s_cbranch_execz .LBB291_144
; %bb.141:                              ;   in Loop: Header=BB291_10 Depth=1
	v_dual_lshrrev_b32 v25, 3, v30 :: v_dual_bitop2_b32 v6, 7, v4 bitop3:0x40
	s_mov_b32 s33, exec_lo
	v_cmpx_gt_u32_e32 8, v30
; %bb.142:                              ;   in Loop: Header=BB291_10 Depth=1
	s_delay_alu instid0(VALU_DEP_2) | instskip(NEXT) | instid1(VALU_DEP_1)
	v_clz_i32_u32_e32 v6, v6
	v_min_u32_e32 v6, 32, v6
	s_delay_alu instid0(VALU_DEP_1) | instskip(NEXT) | instid1(VALU_DEP_1)
	v_subrev_nc_u32_e32 v25, 28, v6
	v_lshlrev_b64_e32 v[30:31], v25, v[4:5]
	v_sub_nc_u32_e32 v25, 29, v6
	s_delay_alu instid0(VALU_DEP_2)
	v_and_b32_e32 v6, 7, v30
; %bb.143:                              ;   in Loop: Header=BB291_10 Depth=1
	s_or_b32 exec_lo, exec_lo, s33
	s_delay_alu instid0(VALU_DEP_1) | instskip(NEXT) | instid1(VALU_DEP_3)
	v_dual_lshlrev_b32 v28, 8, v4 :: v_dual_lshlrev_b32 v6, 7, v6
	v_lshl_add_u32 v25, v25, 10, 0x2000
	s_delay_alu instid0(VALU_DEP_2) | instskip(NEXT) | instid1(VALU_DEP_2)
	v_and_b32_e32 v28, 0x8000, v28
	v_and_b32_e32 v25, 0xfc00, v25
	s_delay_alu instid0(VALU_DEP_1)
	v_or3_b32 v28, v28, v25, v6
.LBB291_144:                            ;   in Loop: Header=BB291_10 Depth=1
	s_or_b32 exec_lo, exec_lo, s31
.LBB291_145:                            ;   in Loop: Header=BB291_10 Depth=1
	s_delay_alu instid0(SALU_CYCLE_1)
	s_or_b32 exec_lo, exec_lo, s30
.LBB291_146:                            ;   in Loop: Header=BB291_10 Depth=1
	s_delay_alu instid0(SALU_CYCLE_1) | instskip(SKIP_3) | instid1(VALU_DEP_2)
	s_or_b32 exec_lo, exec_lo, s29
	v_lshrrev_b16 v6, 8, v4
	v_dual_mov_b32 v30, 0 :: v_dual_mov_b32 v31, 0
	s_mov_b32 s29, exec_lo
	v_cmpx_ne_u16_e32 0, v6
	s_cbranch_execz .LBB291_154
; %bb.147:                              ;   in Loop: Header=BB291_10 Depth=1
	v_bfrev_b32_e32 v31, 1
	s_mov_b32 s30, exec_lo
	v_cmpx_ne_u16_e32 0x80, v6
	s_cbranch_execz .LBB291_153
; %bb.148:                              ;   in Loop: Header=BB291_10 Depth=1
	v_and_b32_e32 v25, 0xffff, v6
	v_mov_b32_e32 v31, 0x7c010000
	s_mov_b32 s31, exec_lo
	s_delay_alu instid0(VALU_DEP_2) | instskip(NEXT) | instid1(VALU_DEP_1)
	v_and_b32_e32 v33, 0x7f, v25
	v_cmpx_ne_u32_e32 0x7f, v33
	s_cbranch_execz .LBB291_152
; %bb.149:                              ;   in Loop: Header=BB291_10 Depth=1
	v_and_b32_e32 v31, 7, v25
	v_lshrrev_b32_e32 v32, 3, v33
	s_mov_b32 s33, exec_lo
	v_cmpx_gt_u32_e32 8, v33
; %bb.150:                              ;   in Loop: Header=BB291_10 Depth=1
	s_delay_alu instid0(VALU_DEP_3) | instskip(NEXT) | instid1(VALU_DEP_1)
	v_clz_i32_u32_e32 v31, v31
	v_min_u32_e32 v31, 32, v31
	s_delay_alu instid0(VALU_DEP_1) | instskip(NEXT) | instid1(VALU_DEP_1)
	v_subrev_nc_u32_e32 v32, 28, v31
	v_lshlrev_b64_e32 v[34:35], v32, v[6:7]
	s_delay_alu instid0(VALU_DEP_1)
	v_dual_sub_nc_u32 v32, 29, v31 :: v_dual_bitop2_b32 v31, 7, v34 bitop3:0x40
; %bb.151:                              ;   in Loop: Header=BB291_10 Depth=1
	s_or_b32 exec_lo, exec_lo, s33
	v_lshlrev_b32_e32 v6, 8, v25
	s_delay_alu instid0(VALU_DEP_2) | instskip(NEXT) | instid1(VALU_DEP_1)
	v_lshl_add_u32 v25, v32, 10, 0x2000
	v_and_or_b32 v6, 0x8000, v6, v25
	v_lshlrev_b32_e32 v25, 23, v31
	s_delay_alu instid0(VALU_DEP_1)
	v_lshl_or_b32 v31, v6, 16, v25
.LBB291_152:                            ;   in Loop: Header=BB291_10 Depth=1
	s_or_b32 exec_lo, exec_lo, s31
.LBB291_153:                            ;   in Loop: Header=BB291_10 Depth=1
	s_delay_alu instid0(SALU_CYCLE_1)
	s_or_b32 exec_lo, exec_lo, s30
.LBB291_154:                            ;   in Loop: Header=BB291_10 Depth=1
	s_delay_alu instid0(SALU_CYCLE_1) | instskip(SKIP_2) | instid1(VALU_DEP_1)
	s_or_b32 exec_lo, exec_lo, s29
	v_lshrrev_b32_e32 v6, 16, v4
	s_mov_b32 s29, exec_lo
	v_and_b32_e32 v25, 0xff, v6
	s_delay_alu instid0(VALU_DEP_1)
	v_cmpx_ne_u16_e32 0, v25
	s_cbranch_execz .LBB291_162
; %bb.155:                              ;   in Loop: Header=BB291_10 Depth=1
	v_mov_b32_e32 v30, 0x8000
	s_mov_b32 s30, exec_lo
	v_cmpx_ne_u16_e32 0x80, v25
	s_cbranch_execz .LBB291_161
; %bb.156:                              ;   in Loop: Header=BB291_10 Depth=1
	v_bfe_u32 v32, v4, 16, 7
	v_mov_b32_e32 v30, 0x7c01
	s_mov_b32 s31, exec_lo
	s_delay_alu instid0(VALU_DEP_2)
	v_cmpx_ne_u32_e32 0x7f, v32
	s_cbranch_execz .LBB291_160
; %bb.157:                              ;   in Loop: Header=BB291_10 Depth=1
	v_dual_lshrrev_b32 v30, 3, v32 :: v_dual_bitop2_b32 v25, 7, v6 bitop3:0x40
	s_mov_b32 s33, exec_lo
	v_cmpx_gt_u32_e32 8, v32
; %bb.158:                              ;   in Loop: Header=BB291_10 Depth=1
	s_delay_alu instid0(VALU_DEP_2) | instskip(NEXT) | instid1(VALU_DEP_1)
	v_clz_i32_u32_e32 v25, v25
	v_min_u32_e32 v25, 32, v25
	s_delay_alu instid0(VALU_DEP_1) | instskip(NEXT) | instid1(VALU_DEP_1)
	v_subrev_nc_u32_e32 v30, 28, v25
	v_lshlrev_b64_e32 v[32:33], v30, v[6:7]
	s_delay_alu instid0(VALU_DEP_1)
	v_dual_sub_nc_u32 v30, 29, v25 :: v_dual_bitop2_b32 v25, 7, v32 bitop3:0x40
; %bb.159:                              ;   in Loop: Header=BB291_10 Depth=1
	s_or_b32 exec_lo, exec_lo, s33
	s_delay_alu instid0(VALU_DEP_1) | instskip(NEXT) | instid1(VALU_DEP_2)
	v_dual_lshlrev_b32 v6, 8, v6 :: v_dual_lshlrev_b32 v25, 7, v25
	v_lshl_add_u32 v30, v30, 10, 0x2000
	s_delay_alu instid0(VALU_DEP_2) | instskip(NEXT) | instid1(VALU_DEP_2)
	v_and_b32_e32 v6, 0x8000, v6
	v_and_b32_e32 v30, 0xfc00, v30
	s_delay_alu instid0(VALU_DEP_1)
	v_or3_b32 v30, v6, v30, v25
.LBB291_160:                            ;   in Loop: Header=BB291_10 Depth=1
	s_or_b32 exec_lo, exec_lo, s31
.LBB291_161:                            ;   in Loop: Header=BB291_10 Depth=1
	s_delay_alu instid0(SALU_CYCLE_1)
	s_or_b32 exec_lo, exec_lo, s30
.LBB291_162:                            ;   in Loop: Header=BB291_10 Depth=1
	s_delay_alu instid0(SALU_CYCLE_1)
	s_or_b32 exec_lo, exec_lo, s29
	v_dual_mov_b32 v32, 0 :: v_dual_mov_b32 v33, 0
	s_mov_b32 s29, exec_lo
	v_cmpx_lt_u32_e32 0xffffff, v4
	s_cbranch_execz .LBB291_170
; %bb.163:                              ;   in Loop: Header=BB291_10 Depth=1
	v_lshrrev_b32_e32 v6, 24, v4
	v_bfrev_b32_e32 v33, 1
	s_mov_b32 s30, exec_lo
	s_delay_alu instid0(VALU_DEP_2)
	v_cmpx_ne_u32_e32 0x80, v6
	s_cbranch_execz .LBB291_169
; %bb.164:                              ;   in Loop: Header=BB291_10 Depth=1
	v_and_b32_e32 v34, 0x7f, v6
	v_mov_b32_e32 v33, 0x7c010000
	s_mov_b32 s31, exec_lo
	s_delay_alu instid0(VALU_DEP_2)
	v_cmpx_ne_u32_e32 0x7f, v34
	s_cbranch_execz .LBB291_168
; %bb.165:                              ;   in Loop: Header=BB291_10 Depth=1
	v_and_b32_e32 v25, 7, v6
	v_lshrrev_b32_e32 v33, 3, v34
	s_mov_b32 s33, exec_lo
	v_cmpx_gt_u32_e32 8, v34
; %bb.166:                              ;   in Loop: Header=BB291_10 Depth=1
	s_delay_alu instid0(VALU_DEP_3) | instskip(NEXT) | instid1(VALU_DEP_1)
	v_clz_i32_u32_e32 v25, v25
	v_min_u32_e32 v25, 32, v25
	s_delay_alu instid0(VALU_DEP_1) | instskip(NEXT) | instid1(VALU_DEP_1)
	v_subrev_nc_u32_e32 v33, 28, v25
	v_lshlrev_b64_e32 v[34:35], v33, v[6:7]
	s_delay_alu instid0(VALU_DEP_1)
	v_dual_sub_nc_u32 v33, 29, v25 :: v_dual_bitop2_b32 v25, 7, v34 bitop3:0x40
; %bb.167:                              ;   in Loop: Header=BB291_10 Depth=1
	s_or_b32 exec_lo, exec_lo, s33
	s_delay_alu instid0(VALU_DEP_1) | instskip(NEXT) | instid1(VALU_DEP_2)
	v_dual_lshlrev_b32 v6, 8, v6 :: v_dual_lshlrev_b32 v25, 23, v25
	v_lshl_add_u32 v33, v33, 10, 0x2000
	s_delay_alu instid0(VALU_DEP_1) | instskip(NEXT) | instid1(VALU_DEP_1)
	v_and_or_b32 v6, 0x8000, v6, v33
	v_lshl_or_b32 v33, v6, 16, v25
.LBB291_168:                            ;   in Loop: Header=BB291_10 Depth=1
	s_or_b32 exec_lo, exec_lo, s31
.LBB291_169:                            ;   in Loop: Header=BB291_10 Depth=1
	s_delay_alu instid0(SALU_CYCLE_1)
	s_or_b32 exec_lo, exec_lo, s30
.LBB291_170:                            ;   in Loop: Header=BB291_10 Depth=1
	s_delay_alu instid0(SALU_CYCLE_1) | instskip(SKIP_3) | instid1(VALU_DEP_2)
	s_or_b32 exec_lo, exec_lo, s29
	v_and_b32_e32 v25, 0xff, v5
	v_mov_b32_e32 v6, v5
	s_mov_b32 s29, exec_lo
	v_cmpx_ne_u16_e32 0, v25
	s_cbranch_execz .LBB291_178
; %bb.171:                              ;   in Loop: Header=BB291_10 Depth=1
	v_mov_b32_e32 v32, 0x8000
	s_mov_b32 s30, exec_lo
	v_cmpx_ne_u16_e32 0x80, v25
	s_cbranch_execz .LBB291_177
; %bb.172:                              ;   in Loop: Header=BB291_10 Depth=1
	v_and_b32_e32 v34, 0x7f, v5
	v_mov_b32_e32 v32, 0x7c01
	s_mov_b32 s31, exec_lo
	s_delay_alu instid0(VALU_DEP_2)
	v_cmpx_ne_u32_e32 0x7f, v34
	s_cbranch_execz .LBB291_176
; %bb.173:                              ;   in Loop: Header=BB291_10 Depth=1
	v_dual_lshrrev_b32 v32, 3, v34 :: v_dual_bitop2_b32 v25, 7, v5 bitop3:0x40
	s_mov_b32 s33, exec_lo
	v_cmpx_gt_u32_e32 8, v34
; %bb.174:                              ;   in Loop: Header=BB291_10 Depth=1
	s_delay_alu instid0(VALU_DEP_2) | instskip(NEXT) | instid1(VALU_DEP_1)
	v_clz_i32_u32_e32 v25, v25
	v_min_u32_e32 v25, 32, v25
	s_delay_alu instid0(VALU_DEP_1) | instskip(NEXT) | instid1(VALU_DEP_1)
	v_subrev_nc_u32_e32 v32, 28, v25
	v_lshlrev_b64_e32 v[34:35], v32, v[6:7]
	s_delay_alu instid0(VALU_DEP_1)
	v_dual_sub_nc_u32 v32, 29, v25 :: v_dual_bitop2_b32 v25, 7, v34 bitop3:0x40
; %bb.175:                              ;   in Loop: Header=BB291_10 Depth=1
	s_or_b32 exec_lo, exec_lo, s33
	v_lshlrev_b32_e32 v34, 8, v5
	s_delay_alu instid0(VALU_DEP_2) | instskip(NEXT) | instid1(VALU_DEP_3)
	v_lshl_add_u32 v32, v32, 10, 0x2000
	v_lshlrev_b32_e32 v25, 7, v25
	s_delay_alu instid0(VALU_DEP_3) | instskip(NEXT) | instid1(VALU_DEP_3)
	v_and_b32_e32 v34, 0x8000, v34
	v_and_b32_e32 v32, 0xfc00, v32
	s_delay_alu instid0(VALU_DEP_1)
	v_or3_b32 v32, v34, v32, v25
.LBB291_176:                            ;   in Loop: Header=BB291_10 Depth=1
	s_or_b32 exec_lo, exec_lo, s31
.LBB291_177:                            ;   in Loop: Header=BB291_10 Depth=1
	s_delay_alu instid0(SALU_CYCLE_1)
	s_or_b32 exec_lo, exec_lo, s30
.LBB291_178:                            ;   in Loop: Header=BB291_10 Depth=1
	s_delay_alu instid0(SALU_CYCLE_1) | instskip(SKIP_3) | instid1(VALU_DEP_2)
	s_or_b32 exec_lo, exec_lo, s29
	v_lshrrev_b16 v6, 8, v6
	v_dual_mov_b32 v34, 0 :: v_dual_mov_b32 v35, 0
	s_mov_b32 s29, exec_lo
	v_cmpx_ne_u16_e32 0, v6
	s_cbranch_execz .LBB291_186
; %bb.179:                              ;   in Loop: Header=BB291_10 Depth=1
	v_bfrev_b32_e32 v35, 1
	s_mov_b32 s30, exec_lo
	v_cmpx_ne_u16_e32 0x80, v6
	s_cbranch_execz .LBB291_185
; %bb.180:                              ;   in Loop: Header=BB291_10 Depth=1
	v_and_b32_e32 v25, 0xffff, v6
	v_mov_b32_e32 v35, 0x7c010000
	s_mov_b32 s31, exec_lo
	s_delay_alu instid0(VALU_DEP_2) | instskip(NEXT) | instid1(VALU_DEP_1)
	v_and_b32_e32 v37, 0x7f, v25
	v_cmpx_ne_u32_e32 0x7f, v37
	s_cbranch_execz .LBB291_184
; %bb.181:                              ;   in Loop: Header=BB291_10 Depth=1
	v_and_b32_e32 v35, 7, v25
	v_lshrrev_b32_e32 v36, 3, v37
	s_mov_b32 s33, exec_lo
	v_cmpx_gt_u32_e32 8, v37
; %bb.182:                              ;   in Loop: Header=BB291_10 Depth=1
	s_delay_alu instid0(VALU_DEP_3) | instskip(NEXT) | instid1(VALU_DEP_1)
	v_clz_i32_u32_e32 v35, v35
	v_min_u32_e32 v35, 32, v35
	s_delay_alu instid0(VALU_DEP_1) | instskip(NEXT) | instid1(VALU_DEP_1)
	v_subrev_nc_u32_e32 v36, 28, v35
	v_lshlrev_b64_e32 v[38:39], v36, v[6:7]
	s_delay_alu instid0(VALU_DEP_1)
	v_dual_sub_nc_u32 v36, 29, v35 :: v_dual_bitop2_b32 v35, 7, v38 bitop3:0x40
; %bb.183:                              ;   in Loop: Header=BB291_10 Depth=1
	s_or_b32 exec_lo, exec_lo, s33
	v_lshlrev_b32_e32 v6, 8, v25
	s_delay_alu instid0(VALU_DEP_2) | instskip(NEXT) | instid1(VALU_DEP_1)
	v_lshl_add_u32 v25, v36, 10, 0x2000
	v_and_or_b32 v6, 0x8000, v6, v25
	v_lshlrev_b32_e32 v25, 23, v35
	s_delay_alu instid0(VALU_DEP_1)
	v_lshl_or_b32 v35, v6, 16, v25
.LBB291_184:                            ;   in Loop: Header=BB291_10 Depth=1
	s_or_b32 exec_lo, exec_lo, s31
.LBB291_185:                            ;   in Loop: Header=BB291_10 Depth=1
	s_delay_alu instid0(SALU_CYCLE_1)
	s_or_b32 exec_lo, exec_lo, s30
.LBB291_186:                            ;   in Loop: Header=BB291_10 Depth=1
	s_delay_alu instid0(SALU_CYCLE_1) | instskip(SKIP_2) | instid1(VALU_DEP_1)
	s_or_b32 exec_lo, exec_lo, s29
	v_lshrrev_b32_e32 v6, 16, v5
	s_mov_b32 s29, exec_lo
	v_and_b32_e32 v25, 0xff, v6
	s_delay_alu instid0(VALU_DEP_1)
	v_cmpx_ne_u16_e32 0, v25
	s_cbranch_execz .LBB291_194
; %bb.187:                              ;   in Loop: Header=BB291_10 Depth=1
	v_mov_b32_e32 v34, 0x8000
	s_mov_b32 s30, exec_lo
	v_cmpx_ne_u16_e32 0x80, v25
	s_cbranch_execz .LBB291_193
; %bb.188:                              ;   in Loop: Header=BB291_10 Depth=1
	v_bfe_u32 v36, v5, 16, 7
	v_mov_b32_e32 v34, 0x7c01
	s_mov_b32 s31, exec_lo
	s_delay_alu instid0(VALU_DEP_2)
	v_cmpx_ne_u32_e32 0x7f, v36
	s_cbranch_execz .LBB291_192
; %bb.189:                              ;   in Loop: Header=BB291_10 Depth=1
	v_dual_lshrrev_b32 v34, 3, v36 :: v_dual_bitop2_b32 v25, 7, v6 bitop3:0x40
	s_mov_b32 s33, exec_lo
	v_cmpx_gt_u32_e32 8, v36
; %bb.190:                              ;   in Loop: Header=BB291_10 Depth=1
	s_delay_alu instid0(VALU_DEP_2) | instskip(NEXT) | instid1(VALU_DEP_1)
	v_clz_i32_u32_e32 v25, v25
	v_min_u32_e32 v25, 32, v25
	s_delay_alu instid0(VALU_DEP_1) | instskip(NEXT) | instid1(VALU_DEP_1)
	v_subrev_nc_u32_e32 v34, 28, v25
	v_lshlrev_b64_e32 v[36:37], v34, v[6:7]
	s_delay_alu instid0(VALU_DEP_1)
	v_dual_sub_nc_u32 v34, 29, v25 :: v_dual_bitop2_b32 v25, 7, v36 bitop3:0x40
; %bb.191:                              ;   in Loop: Header=BB291_10 Depth=1
	s_or_b32 exec_lo, exec_lo, s33
	s_delay_alu instid0(VALU_DEP_1) | instskip(NEXT) | instid1(VALU_DEP_2)
	v_dual_lshlrev_b32 v6, 8, v6 :: v_dual_lshlrev_b32 v25, 7, v25
	v_lshl_add_u32 v34, v34, 10, 0x2000
	s_delay_alu instid0(VALU_DEP_2) | instskip(NEXT) | instid1(VALU_DEP_2)
	v_and_b32_e32 v6, 0x8000, v6
	v_and_b32_e32 v34, 0xfc00, v34
	s_delay_alu instid0(VALU_DEP_1)
	v_or3_b32 v34, v6, v34, v25
.LBB291_192:                            ;   in Loop: Header=BB291_10 Depth=1
	s_or_b32 exec_lo, exec_lo, s31
.LBB291_193:                            ;   in Loop: Header=BB291_10 Depth=1
	s_delay_alu instid0(SALU_CYCLE_1)
	s_or_b32 exec_lo, exec_lo, s30
.LBB291_194:                            ;   in Loop: Header=BB291_10 Depth=1
	s_delay_alu instid0(SALU_CYCLE_1)
	s_or_b32 exec_lo, exec_lo, s29
	v_dual_mov_b32 v36, 0 :: v_dual_mov_b32 v37, 0
	s_mov_b32 s29, exec_lo
	v_cmpx_lt_u64_e64 s[20:21], v[4:5]
	s_cbranch_execz .LBB291_202
; %bb.195:                              ;   in Loop: Header=BB291_10 Depth=1
	v_lshrrev_b32_e32 v6, 24, v5
	v_bfrev_b32_e32 v37, 1
	s_mov_b32 s30, exec_lo
	s_delay_alu instid0(VALU_DEP_2)
	v_cmpx_ne_u32_e32 0x80, v6
	s_cbranch_execz .LBB291_201
; %bb.196:                              ;   in Loop: Header=BB291_10 Depth=1
	v_and_b32_e32 v25, 0x7f, v6
	v_mov_b32_e32 v37, 0x7c010000
	s_mov_b32 s31, exec_lo
	s_delay_alu instid0(VALU_DEP_2)
	v_cmpx_ne_u32_e32 0x7f, v25
	s_cbranch_execz .LBB291_200
; %bb.197:                              ;   in Loop: Header=BB291_10 Depth=1
	v_dual_lshrrev_b32 v5, 3, v25 :: v_dual_bitop2_b32 v4, 7, v6 bitop3:0x40
	s_mov_b32 s33, exec_lo
	v_cmpx_gt_u32_e32 8, v25
; %bb.198:                              ;   in Loop: Header=BB291_10 Depth=1
	s_delay_alu instid0(VALU_DEP_2) | instskip(NEXT) | instid1(VALU_DEP_1)
	v_clz_i32_u32_e32 v4, v4
	v_min_u32_e32 v25, 32, v4
	s_delay_alu instid0(VALU_DEP_1) | instskip(NEXT) | instid1(VALU_DEP_1)
	v_subrev_nc_u32_e32 v4, 28, v25
	v_lshlrev_b64_e32 v[4:5], v4, v[6:7]
	s_delay_alu instid0(VALU_DEP_1)
	v_dual_sub_nc_u32 v5, 29, v25 :: v_dual_bitop2_b32 v4, 7, v4 bitop3:0x40
; %bb.199:                              ;   in Loop: Header=BB291_10 Depth=1
	s_or_b32 exec_lo, exec_lo, s33
	s_delay_alu instid0(VALU_DEP_1) | instskip(NEXT) | instid1(VALU_DEP_2)
	v_dual_lshlrev_b32 v6, 8, v6 :: v_dual_lshlrev_b32 v4, 23, v4
	v_lshl_add_u32 v5, v5, 10, 0x2000
	s_delay_alu instid0(VALU_DEP_1) | instskip(NEXT) | instid1(VALU_DEP_1)
	v_and_or_b32 v5, 0x8000, v6, v5
	v_lshl_or_b32 v37, v5, 16, v4
.LBB291_200:                            ;   in Loop: Header=BB291_10 Depth=1
	s_or_b32 exec_lo, exec_lo, s31
.LBB291_201:                            ;   in Loop: Header=BB291_10 Depth=1
	s_delay_alu instid0(SALU_CYCLE_1)
	s_or_b32 exec_lo, exec_lo, s30
.LBB291_202:                            ;   in Loop: Header=BB291_10 Depth=1
	s_delay_alu instid0(SALU_CYCLE_1)
	s_or_b32 exec_lo, exec_lo, s29
	global_load_b64 v[4:5], v[2:3], off offset:520
	s_mov_b32 s29, exec_lo
	s_wait_loadcnt 0x0
	v_and_b32_e32 v6, 0xff, v4
	s_wait_xcnt 0x0
	s_delay_alu instid0(VALU_DEP_1)
	v_cmpx_ne_u16_e32 0, v6
	s_cbranch_execz .LBB291_210
; %bb.203:                              ;   in Loop: Header=BB291_10 Depth=1
	v_mov_b32_e32 v36, 0x8000
	s_mov_b32 s30, exec_lo
	v_cmpx_ne_u16_e32 0x80, v6
	s_cbranch_execz .LBB291_209
; %bb.204:                              ;   in Loop: Header=BB291_10 Depth=1
	v_and_b32_e32 v38, 0x7f, v4
	v_mov_b32_e32 v36, 0x7c01
	s_mov_b32 s31, exec_lo
	s_delay_alu instid0(VALU_DEP_2)
	v_cmpx_ne_u32_e32 0x7f, v38
	s_cbranch_execz .LBB291_208
; %bb.205:                              ;   in Loop: Header=BB291_10 Depth=1
	v_dual_lshrrev_b32 v25, 3, v38 :: v_dual_bitop2_b32 v6, 7, v4 bitop3:0x40
	s_mov_b32 s33, exec_lo
	v_cmpx_gt_u32_e32 8, v38
; %bb.206:                              ;   in Loop: Header=BB291_10 Depth=1
	s_delay_alu instid0(VALU_DEP_2) | instskip(NEXT) | instid1(VALU_DEP_1)
	v_clz_i32_u32_e32 v6, v6
	v_min_u32_e32 v6, 32, v6
	s_delay_alu instid0(VALU_DEP_1) | instskip(NEXT) | instid1(VALU_DEP_1)
	v_subrev_nc_u32_e32 v25, 28, v6
	v_lshlrev_b64_e32 v[38:39], v25, v[4:5]
	v_sub_nc_u32_e32 v25, 29, v6
	s_delay_alu instid0(VALU_DEP_2)
	v_and_b32_e32 v6, 7, v38
; %bb.207:                              ;   in Loop: Header=BB291_10 Depth=1
	s_or_b32 exec_lo, exec_lo, s33
	s_delay_alu instid0(VALU_DEP_1) | instskip(NEXT) | instid1(VALU_DEP_3)
	v_dual_lshlrev_b32 v36, 8, v4 :: v_dual_lshlrev_b32 v6, 7, v6
	v_lshl_add_u32 v25, v25, 10, 0x2000
	s_delay_alu instid0(VALU_DEP_2) | instskip(NEXT) | instid1(VALU_DEP_2)
	v_and_b32_e32 v36, 0x8000, v36
	v_and_b32_e32 v25, 0xfc00, v25
	s_delay_alu instid0(VALU_DEP_1)
	v_or3_b32 v36, v36, v25, v6
.LBB291_208:                            ;   in Loop: Header=BB291_10 Depth=1
	s_or_b32 exec_lo, exec_lo, s31
.LBB291_209:                            ;   in Loop: Header=BB291_10 Depth=1
	s_delay_alu instid0(SALU_CYCLE_1)
	s_or_b32 exec_lo, exec_lo, s30
.LBB291_210:                            ;   in Loop: Header=BB291_10 Depth=1
	s_delay_alu instid0(SALU_CYCLE_1) | instskip(SKIP_3) | instid1(VALU_DEP_2)
	s_or_b32 exec_lo, exec_lo, s29
	v_lshrrev_b16 v6, 8, v4
	v_dual_mov_b32 v38, 0 :: v_dual_mov_b32 v39, 0
	s_mov_b32 s29, exec_lo
	v_cmpx_ne_u16_e32 0, v6
	s_cbranch_execz .LBB291_218
; %bb.211:                              ;   in Loop: Header=BB291_10 Depth=1
	v_bfrev_b32_e32 v39, 1
	s_mov_b32 s30, exec_lo
	v_cmpx_ne_u16_e32 0x80, v6
	s_cbranch_execz .LBB291_217
; %bb.212:                              ;   in Loop: Header=BB291_10 Depth=1
	v_and_b32_e32 v25, 0xffff, v6
	v_mov_b32_e32 v39, 0x7c010000
	s_mov_b32 s31, exec_lo
	s_delay_alu instid0(VALU_DEP_2) | instskip(NEXT) | instid1(VALU_DEP_1)
	v_and_b32_e32 v41, 0x7f, v25
	v_cmpx_ne_u32_e32 0x7f, v41
	s_cbranch_execz .LBB291_216
; %bb.213:                              ;   in Loop: Header=BB291_10 Depth=1
	v_and_b32_e32 v39, 7, v25
	v_lshrrev_b32_e32 v40, 3, v41
	s_mov_b32 s33, exec_lo
	v_cmpx_gt_u32_e32 8, v41
; %bb.214:                              ;   in Loop: Header=BB291_10 Depth=1
	s_delay_alu instid0(VALU_DEP_3) | instskip(NEXT) | instid1(VALU_DEP_1)
	v_clz_i32_u32_e32 v39, v39
	v_min_u32_e32 v39, 32, v39
	s_delay_alu instid0(VALU_DEP_1) | instskip(NEXT) | instid1(VALU_DEP_1)
	v_subrev_nc_u32_e32 v40, 28, v39
	v_lshlrev_b64_e32 v[42:43], v40, v[6:7]
	s_delay_alu instid0(VALU_DEP_1)
	v_dual_sub_nc_u32 v40, 29, v39 :: v_dual_bitop2_b32 v39, 7, v42 bitop3:0x40
; %bb.215:                              ;   in Loop: Header=BB291_10 Depth=1
	s_or_b32 exec_lo, exec_lo, s33
	v_lshlrev_b32_e32 v6, 8, v25
	s_delay_alu instid0(VALU_DEP_2) | instskip(NEXT) | instid1(VALU_DEP_1)
	v_lshl_add_u32 v25, v40, 10, 0x2000
	v_and_or_b32 v6, 0x8000, v6, v25
	v_lshlrev_b32_e32 v25, 23, v39
	s_delay_alu instid0(VALU_DEP_1)
	v_lshl_or_b32 v39, v6, 16, v25
.LBB291_216:                            ;   in Loop: Header=BB291_10 Depth=1
	s_or_b32 exec_lo, exec_lo, s31
.LBB291_217:                            ;   in Loop: Header=BB291_10 Depth=1
	s_delay_alu instid0(SALU_CYCLE_1)
	s_or_b32 exec_lo, exec_lo, s30
.LBB291_218:                            ;   in Loop: Header=BB291_10 Depth=1
	s_delay_alu instid0(SALU_CYCLE_1) | instskip(SKIP_2) | instid1(VALU_DEP_1)
	s_or_b32 exec_lo, exec_lo, s29
	v_lshrrev_b32_e32 v6, 16, v4
	s_mov_b32 s29, exec_lo
	v_and_b32_e32 v25, 0xff, v6
	s_delay_alu instid0(VALU_DEP_1)
	v_cmpx_ne_u16_e32 0, v25
	s_cbranch_execz .LBB291_226
; %bb.219:                              ;   in Loop: Header=BB291_10 Depth=1
	v_mov_b32_e32 v38, 0x8000
	s_mov_b32 s30, exec_lo
	v_cmpx_ne_u16_e32 0x80, v25
	s_cbranch_execz .LBB291_225
; %bb.220:                              ;   in Loop: Header=BB291_10 Depth=1
	v_bfe_u32 v40, v4, 16, 7
	v_mov_b32_e32 v38, 0x7c01
	s_mov_b32 s31, exec_lo
	s_delay_alu instid0(VALU_DEP_2)
	v_cmpx_ne_u32_e32 0x7f, v40
	s_cbranch_execz .LBB291_224
; %bb.221:                              ;   in Loop: Header=BB291_10 Depth=1
	v_dual_lshrrev_b32 v38, 3, v40 :: v_dual_bitop2_b32 v25, 7, v6 bitop3:0x40
	s_mov_b32 s33, exec_lo
	v_cmpx_gt_u32_e32 8, v40
; %bb.222:                              ;   in Loop: Header=BB291_10 Depth=1
	s_delay_alu instid0(VALU_DEP_2) | instskip(NEXT) | instid1(VALU_DEP_1)
	v_clz_i32_u32_e32 v25, v25
	v_min_u32_e32 v25, 32, v25
	s_delay_alu instid0(VALU_DEP_1) | instskip(NEXT) | instid1(VALU_DEP_1)
	v_subrev_nc_u32_e32 v38, 28, v25
	v_lshlrev_b64_e32 v[40:41], v38, v[6:7]
	s_delay_alu instid0(VALU_DEP_1)
	v_dual_sub_nc_u32 v38, 29, v25 :: v_dual_bitop2_b32 v25, 7, v40 bitop3:0x40
; %bb.223:                              ;   in Loop: Header=BB291_10 Depth=1
	s_or_b32 exec_lo, exec_lo, s33
	s_delay_alu instid0(VALU_DEP_1) | instskip(NEXT) | instid1(VALU_DEP_2)
	v_dual_lshlrev_b32 v6, 8, v6 :: v_dual_lshlrev_b32 v25, 7, v25
	v_lshl_add_u32 v38, v38, 10, 0x2000
	s_delay_alu instid0(VALU_DEP_2) | instskip(NEXT) | instid1(VALU_DEP_2)
	v_and_b32_e32 v6, 0x8000, v6
	v_and_b32_e32 v38, 0xfc00, v38
	s_delay_alu instid0(VALU_DEP_1)
	v_or3_b32 v38, v6, v38, v25
.LBB291_224:                            ;   in Loop: Header=BB291_10 Depth=1
	s_or_b32 exec_lo, exec_lo, s31
.LBB291_225:                            ;   in Loop: Header=BB291_10 Depth=1
	s_delay_alu instid0(SALU_CYCLE_1)
	s_or_b32 exec_lo, exec_lo, s30
.LBB291_226:                            ;   in Loop: Header=BB291_10 Depth=1
	s_delay_alu instid0(SALU_CYCLE_1)
	s_or_b32 exec_lo, exec_lo, s29
	v_dual_mov_b32 v40, 0 :: v_dual_mov_b32 v41, 0
	s_mov_b32 s29, exec_lo
	v_cmpx_lt_u32_e32 0xffffff, v4
	s_cbranch_execz .LBB291_234
; %bb.227:                              ;   in Loop: Header=BB291_10 Depth=1
	v_lshrrev_b32_e32 v6, 24, v4
	v_bfrev_b32_e32 v41, 1
	s_mov_b32 s30, exec_lo
	s_delay_alu instid0(VALU_DEP_2)
	v_cmpx_ne_u32_e32 0x80, v6
	s_cbranch_execz .LBB291_233
; %bb.228:                              ;   in Loop: Header=BB291_10 Depth=1
	v_and_b32_e32 v42, 0x7f, v6
	v_mov_b32_e32 v41, 0x7c010000
	s_mov_b32 s31, exec_lo
	s_delay_alu instid0(VALU_DEP_2)
	v_cmpx_ne_u32_e32 0x7f, v42
	s_cbranch_execz .LBB291_232
; %bb.229:                              ;   in Loop: Header=BB291_10 Depth=1
	v_and_b32_e32 v25, 7, v6
	v_lshrrev_b32_e32 v41, 3, v42
	s_mov_b32 s33, exec_lo
	v_cmpx_gt_u32_e32 8, v42
; %bb.230:                              ;   in Loop: Header=BB291_10 Depth=1
	s_delay_alu instid0(VALU_DEP_3) | instskip(NEXT) | instid1(VALU_DEP_1)
	v_clz_i32_u32_e32 v25, v25
	v_min_u32_e32 v25, 32, v25
	s_delay_alu instid0(VALU_DEP_1) | instskip(NEXT) | instid1(VALU_DEP_1)
	v_subrev_nc_u32_e32 v41, 28, v25
	v_lshlrev_b64_e32 v[42:43], v41, v[6:7]
	s_delay_alu instid0(VALU_DEP_1)
	v_dual_sub_nc_u32 v41, 29, v25 :: v_dual_bitop2_b32 v25, 7, v42 bitop3:0x40
; %bb.231:                              ;   in Loop: Header=BB291_10 Depth=1
	s_or_b32 exec_lo, exec_lo, s33
	s_delay_alu instid0(VALU_DEP_1) | instskip(NEXT) | instid1(VALU_DEP_2)
	v_dual_lshlrev_b32 v6, 8, v6 :: v_dual_lshlrev_b32 v25, 23, v25
	v_lshl_add_u32 v41, v41, 10, 0x2000
	s_delay_alu instid0(VALU_DEP_1) | instskip(NEXT) | instid1(VALU_DEP_1)
	v_and_or_b32 v6, 0x8000, v6, v41
	v_lshl_or_b32 v41, v6, 16, v25
.LBB291_232:                            ;   in Loop: Header=BB291_10 Depth=1
	s_or_b32 exec_lo, exec_lo, s31
.LBB291_233:                            ;   in Loop: Header=BB291_10 Depth=1
	s_delay_alu instid0(SALU_CYCLE_1)
	s_or_b32 exec_lo, exec_lo, s30
.LBB291_234:                            ;   in Loop: Header=BB291_10 Depth=1
	s_delay_alu instid0(SALU_CYCLE_1) | instskip(SKIP_3) | instid1(VALU_DEP_2)
	s_or_b32 exec_lo, exec_lo, s29
	v_and_b32_e32 v25, 0xff, v5
	v_mov_b32_e32 v6, v5
	s_mov_b32 s29, exec_lo
	v_cmpx_ne_u16_e32 0, v25
	s_cbranch_execz .LBB291_242
; %bb.235:                              ;   in Loop: Header=BB291_10 Depth=1
	v_mov_b32_e32 v40, 0x8000
	s_mov_b32 s30, exec_lo
	v_cmpx_ne_u16_e32 0x80, v25
	s_cbranch_execz .LBB291_241
; %bb.236:                              ;   in Loop: Header=BB291_10 Depth=1
	v_and_b32_e32 v42, 0x7f, v5
	v_mov_b32_e32 v40, 0x7c01
	s_mov_b32 s31, exec_lo
	s_delay_alu instid0(VALU_DEP_2)
	v_cmpx_ne_u32_e32 0x7f, v42
	s_cbranch_execz .LBB291_240
; %bb.237:                              ;   in Loop: Header=BB291_10 Depth=1
	v_dual_lshrrev_b32 v40, 3, v42 :: v_dual_bitop2_b32 v25, 7, v5 bitop3:0x40
	s_mov_b32 s33, exec_lo
	v_cmpx_gt_u32_e32 8, v42
; %bb.238:                              ;   in Loop: Header=BB291_10 Depth=1
	s_delay_alu instid0(VALU_DEP_2) | instskip(NEXT) | instid1(VALU_DEP_1)
	v_clz_i32_u32_e32 v25, v25
	v_min_u32_e32 v25, 32, v25
	s_delay_alu instid0(VALU_DEP_1) | instskip(NEXT) | instid1(VALU_DEP_1)
	v_subrev_nc_u32_e32 v40, 28, v25
	v_lshlrev_b64_e32 v[42:43], v40, v[6:7]
	s_delay_alu instid0(VALU_DEP_1)
	v_dual_sub_nc_u32 v40, 29, v25 :: v_dual_bitop2_b32 v25, 7, v42 bitop3:0x40
; %bb.239:                              ;   in Loop: Header=BB291_10 Depth=1
	s_or_b32 exec_lo, exec_lo, s33
	v_lshlrev_b32_e32 v42, 8, v5
	s_delay_alu instid0(VALU_DEP_2) | instskip(NEXT) | instid1(VALU_DEP_3)
	v_lshl_add_u32 v40, v40, 10, 0x2000
	v_lshlrev_b32_e32 v25, 7, v25
	s_delay_alu instid0(VALU_DEP_3) | instskip(NEXT) | instid1(VALU_DEP_3)
	v_and_b32_e32 v42, 0x8000, v42
	v_and_b32_e32 v40, 0xfc00, v40
	s_delay_alu instid0(VALU_DEP_1)
	v_or3_b32 v40, v42, v40, v25
.LBB291_240:                            ;   in Loop: Header=BB291_10 Depth=1
	s_or_b32 exec_lo, exec_lo, s31
.LBB291_241:                            ;   in Loop: Header=BB291_10 Depth=1
	s_delay_alu instid0(SALU_CYCLE_1)
	s_or_b32 exec_lo, exec_lo, s30
.LBB291_242:                            ;   in Loop: Header=BB291_10 Depth=1
	s_delay_alu instid0(SALU_CYCLE_1) | instskip(SKIP_3) | instid1(VALU_DEP_2)
	s_or_b32 exec_lo, exec_lo, s29
	v_lshrrev_b16 v6, 8, v6
	v_dual_mov_b32 v42, 0 :: v_dual_mov_b32 v43, 0
	s_mov_b32 s29, exec_lo
	v_cmpx_ne_u16_e32 0, v6
	s_cbranch_execz .LBB291_250
; %bb.243:                              ;   in Loop: Header=BB291_10 Depth=1
	v_bfrev_b32_e32 v43, 1
	s_mov_b32 s30, exec_lo
	v_cmpx_ne_u16_e32 0x80, v6
	s_cbranch_execz .LBB291_249
; %bb.244:                              ;   in Loop: Header=BB291_10 Depth=1
	v_and_b32_e32 v25, 0xffff, v6
	v_mov_b32_e32 v43, 0x7c010000
	s_mov_b32 s31, exec_lo
	s_delay_alu instid0(VALU_DEP_2) | instskip(NEXT) | instid1(VALU_DEP_1)
	v_and_b32_e32 v45, 0x7f, v25
	v_cmpx_ne_u32_e32 0x7f, v45
	s_cbranch_execz .LBB291_248
; %bb.245:                              ;   in Loop: Header=BB291_10 Depth=1
	v_and_b32_e32 v43, 7, v25
	v_lshrrev_b32_e32 v44, 3, v45
	s_mov_b32 s33, exec_lo
	v_cmpx_gt_u32_e32 8, v45
; %bb.246:                              ;   in Loop: Header=BB291_10 Depth=1
	s_delay_alu instid0(VALU_DEP_3) | instskip(NEXT) | instid1(VALU_DEP_1)
	v_clz_i32_u32_e32 v43, v43
	v_min_u32_e32 v43, 32, v43
	s_delay_alu instid0(VALU_DEP_1) | instskip(NEXT) | instid1(VALU_DEP_1)
	v_subrev_nc_u32_e32 v44, 28, v43
	v_lshlrev_b64_e32 v[46:47], v44, v[6:7]
	s_delay_alu instid0(VALU_DEP_1)
	v_dual_sub_nc_u32 v44, 29, v43 :: v_dual_bitop2_b32 v43, 7, v46 bitop3:0x40
; %bb.247:                              ;   in Loop: Header=BB291_10 Depth=1
	s_or_b32 exec_lo, exec_lo, s33
	v_lshlrev_b32_e32 v6, 8, v25
	s_delay_alu instid0(VALU_DEP_2) | instskip(NEXT) | instid1(VALU_DEP_1)
	v_lshl_add_u32 v25, v44, 10, 0x2000
	v_and_or_b32 v6, 0x8000, v6, v25
	v_lshlrev_b32_e32 v25, 23, v43
	s_delay_alu instid0(VALU_DEP_1)
	v_lshl_or_b32 v43, v6, 16, v25
.LBB291_248:                            ;   in Loop: Header=BB291_10 Depth=1
	s_or_b32 exec_lo, exec_lo, s31
.LBB291_249:                            ;   in Loop: Header=BB291_10 Depth=1
	s_delay_alu instid0(SALU_CYCLE_1)
	s_or_b32 exec_lo, exec_lo, s30
.LBB291_250:                            ;   in Loop: Header=BB291_10 Depth=1
	s_delay_alu instid0(SALU_CYCLE_1) | instskip(SKIP_2) | instid1(VALU_DEP_1)
	s_or_b32 exec_lo, exec_lo, s29
	v_lshrrev_b32_e32 v6, 16, v5
	s_mov_b32 s29, exec_lo
	v_and_b32_e32 v25, 0xff, v6
	s_delay_alu instid0(VALU_DEP_1)
	v_cmpx_ne_u16_e32 0, v25
	s_cbranch_execz .LBB291_258
; %bb.251:                              ;   in Loop: Header=BB291_10 Depth=1
	v_mov_b32_e32 v42, 0x8000
	s_mov_b32 s30, exec_lo
	v_cmpx_ne_u16_e32 0x80, v25
	s_cbranch_execz .LBB291_257
; %bb.252:                              ;   in Loop: Header=BB291_10 Depth=1
	v_bfe_u32 v44, v5, 16, 7
	v_mov_b32_e32 v42, 0x7c01
	s_mov_b32 s31, exec_lo
	s_delay_alu instid0(VALU_DEP_2)
	v_cmpx_ne_u32_e32 0x7f, v44
	s_cbranch_execz .LBB291_256
; %bb.253:                              ;   in Loop: Header=BB291_10 Depth=1
	v_dual_lshrrev_b32 v42, 3, v44 :: v_dual_bitop2_b32 v25, 7, v6 bitop3:0x40
	s_mov_b32 s33, exec_lo
	v_cmpx_gt_u32_e32 8, v44
; %bb.254:                              ;   in Loop: Header=BB291_10 Depth=1
	s_delay_alu instid0(VALU_DEP_2) | instskip(NEXT) | instid1(VALU_DEP_1)
	v_clz_i32_u32_e32 v25, v25
	v_min_u32_e32 v25, 32, v25
	s_delay_alu instid0(VALU_DEP_1) | instskip(NEXT) | instid1(VALU_DEP_1)
	v_subrev_nc_u32_e32 v42, 28, v25
	v_lshlrev_b64_e32 v[44:45], v42, v[6:7]
	s_delay_alu instid0(VALU_DEP_1)
	v_dual_sub_nc_u32 v42, 29, v25 :: v_dual_bitop2_b32 v25, 7, v44 bitop3:0x40
; %bb.255:                              ;   in Loop: Header=BB291_10 Depth=1
	s_or_b32 exec_lo, exec_lo, s33
	s_delay_alu instid0(VALU_DEP_1) | instskip(NEXT) | instid1(VALU_DEP_2)
	v_dual_lshlrev_b32 v6, 8, v6 :: v_dual_lshlrev_b32 v25, 7, v25
	v_lshl_add_u32 v42, v42, 10, 0x2000
	s_delay_alu instid0(VALU_DEP_2) | instskip(NEXT) | instid1(VALU_DEP_2)
	v_and_b32_e32 v6, 0x8000, v6
	v_and_b32_e32 v42, 0xfc00, v42
	s_delay_alu instid0(VALU_DEP_1)
	v_or3_b32 v42, v6, v42, v25
.LBB291_256:                            ;   in Loop: Header=BB291_10 Depth=1
	s_or_b32 exec_lo, exec_lo, s31
.LBB291_257:                            ;   in Loop: Header=BB291_10 Depth=1
	s_delay_alu instid0(SALU_CYCLE_1)
	s_or_b32 exec_lo, exec_lo, s30
.LBB291_258:                            ;   in Loop: Header=BB291_10 Depth=1
	s_delay_alu instid0(SALU_CYCLE_1)
	s_or_b32 exec_lo, exec_lo, s29
	v_dual_mov_b32 v46, 0 :: v_dual_mov_b32 v47, 0
	s_mov_b32 s29, exec_lo
	v_cmpx_lt_u64_e64 s[20:21], v[4:5]
	s_cbranch_execz .LBB291_266
; %bb.259:                              ;   in Loop: Header=BB291_10 Depth=1
	v_lshrrev_b32_e32 v6, 24, v5
	v_bfrev_b32_e32 v47, 1
	s_mov_b32 s30, exec_lo
	s_delay_alu instid0(VALU_DEP_2)
	v_cmpx_ne_u32_e32 0x80, v6
	s_cbranch_execz .LBB291_265
; %bb.260:                              ;   in Loop: Header=BB291_10 Depth=1
	v_and_b32_e32 v25, 0x7f, v6
	v_mov_b32_e32 v47, 0x7c010000
	s_mov_b32 s31, exec_lo
	s_delay_alu instid0(VALU_DEP_2)
	v_cmpx_ne_u32_e32 0x7f, v25
	s_cbranch_execz .LBB291_264
; %bb.261:                              ;   in Loop: Header=BB291_10 Depth=1
	v_dual_lshrrev_b32 v5, 3, v25 :: v_dual_bitop2_b32 v4, 7, v6 bitop3:0x40
	s_mov_b32 s33, exec_lo
	v_cmpx_gt_u32_e32 8, v25
; %bb.262:                              ;   in Loop: Header=BB291_10 Depth=1
	s_delay_alu instid0(VALU_DEP_2) | instskip(NEXT) | instid1(VALU_DEP_1)
	v_clz_i32_u32_e32 v4, v4
	v_min_u32_e32 v25, 32, v4
	s_delay_alu instid0(VALU_DEP_1) | instskip(NEXT) | instid1(VALU_DEP_1)
	v_subrev_nc_u32_e32 v4, 28, v25
	v_lshlrev_b64_e32 v[4:5], v4, v[6:7]
	s_delay_alu instid0(VALU_DEP_1)
	v_dual_sub_nc_u32 v5, 29, v25 :: v_dual_bitop2_b32 v4, 7, v4 bitop3:0x40
; %bb.263:                              ;   in Loop: Header=BB291_10 Depth=1
	s_or_b32 exec_lo, exec_lo, s33
	s_delay_alu instid0(VALU_DEP_1) | instskip(NEXT) | instid1(VALU_DEP_2)
	v_dual_lshlrev_b32 v6, 8, v6 :: v_dual_lshlrev_b32 v4, 23, v4
	v_lshl_add_u32 v5, v5, 10, 0x2000
	s_delay_alu instid0(VALU_DEP_1) | instskip(NEXT) | instid1(VALU_DEP_1)
	v_and_or_b32 v5, 0x8000, v6, v5
	v_lshl_or_b32 v47, v5, 16, v4
.LBB291_264:                            ;   in Loop: Header=BB291_10 Depth=1
	s_or_b32 exec_lo, exec_lo, s31
.LBB291_265:                            ;   in Loop: Header=BB291_10 Depth=1
	s_delay_alu instid0(SALU_CYCLE_1)
	s_or_b32 exec_lo, exec_lo, s30
.LBB291_266:                            ;   in Loop: Header=BB291_10 Depth=1
	s_delay_alu instid0(SALU_CYCLE_1)
	s_or_b32 exec_lo, exec_lo, s29
	global_load_b64 v[4:5], v[2:3], off offset:1024
	s_mov_b32 s29, exec_lo
	s_wait_loadcnt 0x0
	v_and_b32_e32 v6, 0xff, v4
	s_wait_xcnt 0x0
	s_delay_alu instid0(VALU_DEP_1)
	v_cmpx_ne_u16_e32 0, v6
	s_cbranch_execz .LBB291_274
; %bb.267:                              ;   in Loop: Header=BB291_10 Depth=1
	v_mov_b32_e32 v46, 0x8000
	s_mov_b32 s30, exec_lo
	v_cmpx_ne_u16_e32 0x80, v6
	s_cbranch_execz .LBB291_273
; %bb.268:                              ;   in Loop: Header=BB291_10 Depth=1
	v_and_b32_e32 v44, 0x7f, v4
	v_mov_b32_e32 v46, 0x7c01
	s_mov_b32 s31, exec_lo
	s_delay_alu instid0(VALU_DEP_2)
	v_cmpx_ne_u32_e32 0x7f, v44
	s_cbranch_execz .LBB291_272
; %bb.269:                              ;   in Loop: Header=BB291_10 Depth=1
	v_and_b32_e32 v6, 7, v4
	v_lshrrev_b32_e32 v25, 3, v44
	s_mov_b32 s33, exec_lo
	v_cmpx_gt_u32_e32 8, v44
; %bb.270:                              ;   in Loop: Header=BB291_10 Depth=1
	s_delay_alu instid0(VALU_DEP_3) | instskip(NEXT) | instid1(VALU_DEP_1)
	v_clz_i32_u32_e32 v6, v6
	v_min_u32_e32 v6, 32, v6
	s_delay_alu instid0(VALU_DEP_1) | instskip(NEXT) | instid1(VALU_DEP_1)
	v_subrev_nc_u32_e32 v25, 28, v6
	v_lshlrev_b64_e32 v[44:45], v25, v[4:5]
	s_delay_alu instid0(VALU_DEP_1)
	v_dual_sub_nc_u32 v25, 29, v6 :: v_dual_bitop2_b32 v6, 7, v44 bitop3:0x40
; %bb.271:                              ;   in Loop: Header=BB291_10 Depth=1
	s_or_b32 exec_lo, exec_lo, s33
	s_delay_alu instid0(VALU_DEP_1) | instskip(NEXT) | instid1(VALU_DEP_2)
	v_dual_lshlrev_b32 v44, 8, v4 :: v_dual_lshlrev_b32 v6, 7, v6
	v_lshl_add_u32 v25, v25, 10, 0x2000
	s_delay_alu instid0(VALU_DEP_2) | instskip(NEXT) | instid1(VALU_DEP_2)
	v_and_b32_e32 v44, 0x8000, v44
	v_and_b32_e32 v25, 0xfc00, v25
	s_delay_alu instid0(VALU_DEP_1)
	v_or3_b32 v46, v44, v25, v6
.LBB291_272:                            ;   in Loop: Header=BB291_10 Depth=1
	s_or_b32 exec_lo, exec_lo, s31
.LBB291_273:                            ;   in Loop: Header=BB291_10 Depth=1
	s_delay_alu instid0(SALU_CYCLE_1)
	s_or_b32 exec_lo, exec_lo, s30
.LBB291_274:                            ;   in Loop: Header=BB291_10 Depth=1
	s_delay_alu instid0(SALU_CYCLE_1) | instskip(SKIP_3) | instid1(VALU_DEP_2)
	s_or_b32 exec_lo, exec_lo, s29
	v_lshrrev_b16 v6, 8, v4
	v_dual_mov_b32 v48, 0 :: v_dual_mov_b32 v49, 0
	s_mov_b32 s29, exec_lo
	v_cmpx_ne_u16_e32 0, v6
	s_cbranch_execz .LBB291_282
; %bb.275:                              ;   in Loop: Header=BB291_10 Depth=1
	v_bfrev_b32_e32 v49, 1
	s_mov_b32 s30, exec_lo
	v_cmpx_ne_u16_e32 0x80, v6
	s_cbranch_execz .LBB291_281
; %bb.276:                              ;   in Loop: Header=BB291_10 Depth=1
	v_and_b32_e32 v25, 0xffff, v6
	v_mov_b32_e32 v49, 0x7c010000
	s_mov_b32 s31, exec_lo
	s_delay_alu instid0(VALU_DEP_2) | instskip(NEXT) | instid1(VALU_DEP_1)
	v_and_b32_e32 v50, 0x7f, v25
	v_cmpx_ne_u32_e32 0x7f, v50
	s_cbranch_execz .LBB291_280
; %bb.277:                              ;   in Loop: Header=BB291_10 Depth=1
	v_dual_lshrrev_b32 v45, 3, v50 :: v_dual_bitop2_b32 v44, 7, v25 bitop3:0x40
	s_mov_b32 s33, exec_lo
	v_cmpx_gt_u32_e32 8, v50
; %bb.278:                              ;   in Loop: Header=BB291_10 Depth=1
	s_delay_alu instid0(VALU_DEP_2) | instskip(NEXT) | instid1(VALU_DEP_1)
	v_clz_i32_u32_e32 v44, v44
	v_min_u32_e32 v49, 32, v44
	s_delay_alu instid0(VALU_DEP_1) | instskip(NEXT) | instid1(VALU_DEP_1)
	v_subrev_nc_u32_e32 v44, 28, v49
	v_lshlrev_b64_e32 v[44:45], v44, v[6:7]
	s_delay_alu instid0(VALU_DEP_1)
	v_dual_sub_nc_u32 v45, 29, v49 :: v_dual_bitop2_b32 v44, 7, v44 bitop3:0x40
; %bb.279:                              ;   in Loop: Header=BB291_10 Depth=1
	s_or_b32 exec_lo, exec_lo, s33
	v_lshlrev_b32_e32 v6, 8, v25
	s_delay_alu instid0(VALU_DEP_2) | instskip(NEXT) | instid1(VALU_DEP_1)
	v_lshl_add_u32 v25, v45, 10, 0x2000
	v_and_or_b32 v6, 0x8000, v6, v25
	v_lshlrev_b32_e32 v25, 23, v44
	s_delay_alu instid0(VALU_DEP_1)
	v_lshl_or_b32 v49, v6, 16, v25
.LBB291_280:                            ;   in Loop: Header=BB291_10 Depth=1
	s_or_b32 exec_lo, exec_lo, s31
.LBB291_281:                            ;   in Loop: Header=BB291_10 Depth=1
	s_delay_alu instid0(SALU_CYCLE_1)
	s_or_b32 exec_lo, exec_lo, s30
.LBB291_282:                            ;   in Loop: Header=BB291_10 Depth=1
	s_delay_alu instid0(SALU_CYCLE_1) | instskip(SKIP_2) | instid1(VALU_DEP_1)
	s_or_b32 exec_lo, exec_lo, s29
	v_lshrrev_b32_e32 v6, 16, v4
	s_mov_b32 s29, exec_lo
	v_and_b32_e32 v25, 0xff, v6
	s_delay_alu instid0(VALU_DEP_1)
	v_cmpx_ne_u16_e32 0, v25
	s_cbranch_execz .LBB291_290
; %bb.283:                              ;   in Loop: Header=BB291_10 Depth=1
	v_mov_b32_e32 v48, 0x8000
	s_mov_b32 s30, exec_lo
	v_cmpx_ne_u16_e32 0x80, v25
	s_cbranch_execz .LBB291_289
; %bb.284:                              ;   in Loop: Header=BB291_10 Depth=1
	v_bfe_u32 v45, v4, 16, 7
	v_mov_b32_e32 v48, 0x7c01
	s_mov_b32 s31, exec_lo
	s_delay_alu instid0(VALU_DEP_2)
	v_cmpx_ne_u32_e32 0x7f, v45
	s_cbranch_execz .LBB291_288
; %bb.285:                              ;   in Loop: Header=BB291_10 Depth=1
	v_dual_lshrrev_b32 v44, 3, v45 :: v_dual_bitop2_b32 v25, 7, v6 bitop3:0x40
	s_mov_b32 s33, exec_lo
	v_cmpx_gt_u32_e32 8, v45
; %bb.286:                              ;   in Loop: Header=BB291_10 Depth=1
	s_delay_alu instid0(VALU_DEP_2) | instskip(NEXT) | instid1(VALU_DEP_1)
	v_clz_i32_u32_e32 v25, v25
	v_min_u32_e32 v25, 32, v25
	s_delay_alu instid0(VALU_DEP_1) | instskip(NEXT) | instid1(VALU_DEP_1)
	v_subrev_nc_u32_e32 v44, 28, v25
	v_lshlrev_b64_e32 v[50:51], v44, v[6:7]
	s_delay_alu instid0(VALU_DEP_1)
	v_dual_sub_nc_u32 v44, 29, v25 :: v_dual_bitop2_b32 v25, 7, v50 bitop3:0x40
; %bb.287:                              ;   in Loop: Header=BB291_10 Depth=1
	s_or_b32 exec_lo, exec_lo, s33
	s_delay_alu instid0(VALU_DEP_1) | instskip(NEXT) | instid1(VALU_DEP_2)
	v_dual_lshlrev_b32 v6, 8, v6 :: v_dual_lshlrev_b32 v25, 7, v25
	v_lshl_add_u32 v44, v44, 10, 0x2000
	s_delay_alu instid0(VALU_DEP_2) | instskip(NEXT) | instid1(VALU_DEP_2)
	v_and_b32_e32 v6, 0x8000, v6
	v_and_b32_e32 v44, 0xfc00, v44
	s_delay_alu instid0(VALU_DEP_1)
	v_or3_b32 v48, v6, v44, v25
.LBB291_288:                            ;   in Loop: Header=BB291_10 Depth=1
	s_or_b32 exec_lo, exec_lo, s31
.LBB291_289:                            ;   in Loop: Header=BB291_10 Depth=1
	s_delay_alu instid0(SALU_CYCLE_1)
	s_or_b32 exec_lo, exec_lo, s30
.LBB291_290:                            ;   in Loop: Header=BB291_10 Depth=1
	s_delay_alu instid0(SALU_CYCLE_1)
	s_or_b32 exec_lo, exec_lo, s29
	v_dual_mov_b32 v56, 0 :: v_dual_mov_b32 v57, 0
	s_mov_b32 s29, exec_lo
	v_cmpx_lt_u32_e32 0xffffff, v4
	s_cbranch_execz .LBB291_298
; %bb.291:                              ;   in Loop: Header=BB291_10 Depth=1
	v_lshrrev_b32_e32 v6, 24, v4
	v_bfrev_b32_e32 v57, 1
	s_mov_b32 s30, exec_lo
	s_delay_alu instid0(VALU_DEP_2)
	v_cmpx_ne_u32_e32 0x80, v6
	s_cbranch_execz .LBB291_297
; %bb.292:                              ;   in Loop: Header=BB291_10 Depth=1
	v_and_b32_e32 v45, 0x7f, v6
	v_mov_b32_e32 v57, 0x7c010000
	s_mov_b32 s31, exec_lo
	s_delay_alu instid0(VALU_DEP_2)
	v_cmpx_ne_u32_e32 0x7f, v45
	s_cbranch_execz .LBB291_296
; %bb.293:                              ;   in Loop: Header=BB291_10 Depth=1
	v_dual_lshrrev_b32 v44, 3, v45 :: v_dual_bitop2_b32 v25, 7, v6 bitop3:0x40
	s_mov_b32 s33, exec_lo
	v_cmpx_gt_u32_e32 8, v45
; %bb.294:                              ;   in Loop: Header=BB291_10 Depth=1
	s_delay_alu instid0(VALU_DEP_2) | instskip(NEXT) | instid1(VALU_DEP_1)
	v_clz_i32_u32_e32 v25, v25
	v_min_u32_e32 v25, 32, v25
	s_delay_alu instid0(VALU_DEP_1) | instskip(NEXT) | instid1(VALU_DEP_1)
	v_subrev_nc_u32_e32 v44, 28, v25
	v_lshlrev_b64_e32 v[50:51], v44, v[6:7]
	s_delay_alu instid0(VALU_DEP_1)
	v_dual_sub_nc_u32 v44, 29, v25 :: v_dual_bitop2_b32 v25, 7, v50 bitop3:0x40
; %bb.295:                              ;   in Loop: Header=BB291_10 Depth=1
	s_or_b32 exec_lo, exec_lo, s33
	s_delay_alu instid0(VALU_DEP_1) | instskip(NEXT) | instid1(VALU_DEP_2)
	v_dual_lshlrev_b32 v6, 8, v6 :: v_dual_lshlrev_b32 v25, 23, v25
	v_lshl_add_u32 v44, v44, 10, 0x2000
	s_delay_alu instid0(VALU_DEP_1) | instskip(NEXT) | instid1(VALU_DEP_1)
	v_and_or_b32 v6, 0x8000, v6, v44
	v_lshl_or_b32 v57, v6, 16, v25
.LBB291_296:                            ;   in Loop: Header=BB291_10 Depth=1
	s_or_b32 exec_lo, exec_lo, s31
.LBB291_297:                            ;   in Loop: Header=BB291_10 Depth=1
	s_delay_alu instid0(SALU_CYCLE_1)
	s_or_b32 exec_lo, exec_lo, s30
.LBB291_298:                            ;   in Loop: Header=BB291_10 Depth=1
	s_delay_alu instid0(SALU_CYCLE_1) | instskip(SKIP_3) | instid1(VALU_DEP_2)
	s_or_b32 exec_lo, exec_lo, s29
	v_and_b32_e32 v25, 0xff, v5
	v_mov_b32_e32 v6, v5
	s_mov_b32 s29, exec_lo
	v_cmpx_ne_u16_e32 0, v25
	s_cbranch_execz .LBB291_306
; %bb.299:                              ;   in Loop: Header=BB291_10 Depth=1
	v_mov_b32_e32 v56, 0x8000
	s_mov_b32 s30, exec_lo
	v_cmpx_ne_u16_e32 0x80, v25
	s_cbranch_execz .LBB291_305
; %bb.300:                              ;   in Loop: Header=BB291_10 Depth=1
	v_and_b32_e32 v45, 0x7f, v5
	v_mov_b32_e32 v56, 0x7c01
	s_mov_b32 s31, exec_lo
	s_delay_alu instid0(VALU_DEP_2)
	v_cmpx_ne_u32_e32 0x7f, v45
	s_cbranch_execz .LBB291_304
; %bb.301:                              ;   in Loop: Header=BB291_10 Depth=1
	v_and_b32_e32 v25, 7, v5
	v_lshrrev_b32_e32 v44, 3, v45
	s_mov_b32 s33, exec_lo
	v_cmpx_gt_u32_e32 8, v45
; %bb.302:                              ;   in Loop: Header=BB291_10 Depth=1
	s_delay_alu instid0(VALU_DEP_3) | instskip(NEXT) | instid1(VALU_DEP_1)
	v_clz_i32_u32_e32 v25, v25
	v_min_u32_e32 v25, 32, v25
	s_delay_alu instid0(VALU_DEP_1) | instskip(NEXT) | instid1(VALU_DEP_1)
	v_subrev_nc_u32_e32 v44, 28, v25
	v_lshlrev_b64_e32 v[50:51], v44, v[6:7]
	s_delay_alu instid0(VALU_DEP_1)
	v_dual_sub_nc_u32 v44, 29, v25 :: v_dual_bitop2_b32 v25, 7, v50 bitop3:0x40
; %bb.303:                              ;   in Loop: Header=BB291_10 Depth=1
	s_or_b32 exec_lo, exec_lo, s33
	v_lshlrev_b32_e32 v45, 8, v5
	s_delay_alu instid0(VALU_DEP_2) | instskip(NEXT) | instid1(VALU_DEP_3)
	v_lshl_add_u32 v44, v44, 10, 0x2000
	v_lshlrev_b32_e32 v25, 7, v25
	s_delay_alu instid0(VALU_DEP_3) | instskip(NEXT) | instid1(VALU_DEP_3)
	v_and_b32_e32 v45, 0x8000, v45
	v_and_b32_e32 v44, 0xfc00, v44
	s_delay_alu instid0(VALU_DEP_1)
	v_or3_b32 v56, v45, v44, v25
.LBB291_304:                            ;   in Loop: Header=BB291_10 Depth=1
	s_or_b32 exec_lo, exec_lo, s31
.LBB291_305:                            ;   in Loop: Header=BB291_10 Depth=1
	s_delay_alu instid0(SALU_CYCLE_1)
	s_or_b32 exec_lo, exec_lo, s30
.LBB291_306:                            ;   in Loop: Header=BB291_10 Depth=1
	s_delay_alu instid0(SALU_CYCLE_1) | instskip(SKIP_3) | instid1(VALU_DEP_2)
	s_or_b32 exec_lo, exec_lo, s29
	v_lshrrev_b16 v6, 8, v6
	v_dual_mov_b32 v62, 0 :: v_dual_mov_b32 v63, 0
	s_mov_b32 s29, exec_lo
	v_cmpx_ne_u16_e32 0, v6
	s_cbranch_execz .LBB291_314
; %bb.307:                              ;   in Loop: Header=BB291_10 Depth=1
	v_bfrev_b32_e32 v63, 1
	s_mov_b32 s30, exec_lo
	v_cmpx_ne_u16_e32 0x80, v6
	s_cbranch_execz .LBB291_313
; %bb.308:                              ;   in Loop: Header=BB291_10 Depth=1
	v_and_b32_e32 v25, 0xffff, v6
	v_mov_b32_e32 v63, 0x7c010000
	s_mov_b32 s31, exec_lo
	s_delay_alu instid0(VALU_DEP_2) | instskip(NEXT) | instid1(VALU_DEP_1)
	v_and_b32_e32 v50, 0x7f, v25
	v_cmpx_ne_u32_e32 0x7f, v50
	s_cbranch_execz .LBB291_312
; %bb.309:                              ;   in Loop: Header=BB291_10 Depth=1
	v_dual_lshrrev_b32 v45, 3, v50 :: v_dual_bitop2_b32 v44, 7, v25 bitop3:0x40
	s_mov_b32 s33, exec_lo
	v_cmpx_gt_u32_e32 8, v50
; %bb.310:                              ;   in Loop: Header=BB291_10 Depth=1
	s_delay_alu instid0(VALU_DEP_2) | instskip(NEXT) | instid1(VALU_DEP_1)
	v_clz_i32_u32_e32 v44, v44
	v_min_u32_e32 v50, 32, v44
	s_delay_alu instid0(VALU_DEP_1) | instskip(NEXT) | instid1(VALU_DEP_1)
	v_subrev_nc_u32_e32 v44, 28, v50
	v_lshlrev_b64_e32 v[44:45], v44, v[6:7]
	s_delay_alu instid0(VALU_DEP_1)
	v_dual_sub_nc_u32 v45, 29, v50 :: v_dual_bitop2_b32 v44, 7, v44 bitop3:0x40
; %bb.311:                              ;   in Loop: Header=BB291_10 Depth=1
	s_or_b32 exec_lo, exec_lo, s33
	v_lshlrev_b32_e32 v6, 8, v25
	s_delay_alu instid0(VALU_DEP_2) | instskip(NEXT) | instid1(VALU_DEP_1)
	v_lshl_add_u32 v25, v45, 10, 0x2000
	v_and_or_b32 v6, 0x8000, v6, v25
	v_lshlrev_b32_e32 v25, 23, v44
	s_delay_alu instid0(VALU_DEP_1)
	v_lshl_or_b32 v63, v6, 16, v25
.LBB291_312:                            ;   in Loop: Header=BB291_10 Depth=1
	s_or_b32 exec_lo, exec_lo, s31
.LBB291_313:                            ;   in Loop: Header=BB291_10 Depth=1
	s_delay_alu instid0(SALU_CYCLE_1)
	s_or_b32 exec_lo, exec_lo, s30
.LBB291_314:                            ;   in Loop: Header=BB291_10 Depth=1
	s_delay_alu instid0(SALU_CYCLE_1) | instskip(SKIP_2) | instid1(VALU_DEP_1)
	s_or_b32 exec_lo, exec_lo, s29
	v_lshrrev_b32_e32 v6, 16, v5
	s_mov_b32 s29, exec_lo
	v_and_b32_e32 v25, 0xff, v6
	s_delay_alu instid0(VALU_DEP_1)
	v_cmpx_ne_u16_e32 0, v25
	s_cbranch_execz .LBB291_322
; %bb.315:                              ;   in Loop: Header=BB291_10 Depth=1
	v_mov_b32_e32 v62, 0x8000
	s_mov_b32 s30, exec_lo
	v_cmpx_ne_u16_e32 0x80, v25
	s_cbranch_execz .LBB291_321
; %bb.316:                              ;   in Loop: Header=BB291_10 Depth=1
	v_bfe_u32 v45, v5, 16, 7
	v_mov_b32_e32 v62, 0x7c01
	s_mov_b32 s31, exec_lo
	s_delay_alu instid0(VALU_DEP_2)
	v_cmpx_ne_u32_e32 0x7f, v45
	s_cbranch_execz .LBB291_320
; %bb.317:                              ;   in Loop: Header=BB291_10 Depth=1
	v_dual_lshrrev_b32 v44, 3, v45 :: v_dual_bitop2_b32 v25, 7, v6 bitop3:0x40
	s_mov_b32 s33, exec_lo
	v_cmpx_gt_u32_e32 8, v45
; %bb.318:                              ;   in Loop: Header=BB291_10 Depth=1
	s_delay_alu instid0(VALU_DEP_2) | instskip(NEXT) | instid1(VALU_DEP_1)
	v_clz_i32_u32_e32 v25, v25
	v_min_u32_e32 v25, 32, v25
	s_delay_alu instid0(VALU_DEP_1) | instskip(NEXT) | instid1(VALU_DEP_1)
	v_subrev_nc_u32_e32 v44, 28, v25
	v_lshlrev_b64_e32 v[50:51], v44, v[6:7]
	s_delay_alu instid0(VALU_DEP_1)
	v_dual_sub_nc_u32 v44, 29, v25 :: v_dual_bitop2_b32 v25, 7, v50 bitop3:0x40
; %bb.319:                              ;   in Loop: Header=BB291_10 Depth=1
	s_or_b32 exec_lo, exec_lo, s33
	s_delay_alu instid0(VALU_DEP_1) | instskip(NEXT) | instid1(VALU_DEP_2)
	v_dual_lshlrev_b32 v6, 8, v6 :: v_dual_lshlrev_b32 v25, 7, v25
	v_lshl_add_u32 v44, v44, 10, 0x2000
	s_delay_alu instid0(VALU_DEP_2) | instskip(NEXT) | instid1(VALU_DEP_2)
	v_and_b32_e32 v6, 0x8000, v6
	v_and_b32_e32 v44, 0xfc00, v44
	s_delay_alu instid0(VALU_DEP_1)
	v_or3_b32 v62, v6, v44, v25
.LBB291_320:                            ;   in Loop: Header=BB291_10 Depth=1
	s_or_b32 exec_lo, exec_lo, s31
.LBB291_321:                            ;   in Loop: Header=BB291_10 Depth=1
	s_delay_alu instid0(SALU_CYCLE_1)
	s_or_b32 exec_lo, exec_lo, s30
.LBB291_322:                            ;   in Loop: Header=BB291_10 Depth=1
	s_delay_alu instid0(SALU_CYCLE_1)
	s_or_b32 exec_lo, exec_lo, s29
	v_dual_mov_b32 v70, 0 :: v_dual_mov_b32 v71, 0
	s_mov_b32 s29, exec_lo
	v_cmpx_lt_u64_e64 s[20:21], v[4:5]
	s_cbranch_execz .LBB291_330
; %bb.323:                              ;   in Loop: Header=BB291_10 Depth=1
	v_lshrrev_b32_e32 v6, 24, v5
	v_bfrev_b32_e32 v71, 1
	s_mov_b32 s30, exec_lo
	s_delay_alu instid0(VALU_DEP_2)
	v_cmpx_ne_u32_e32 0x80, v6
	s_cbranch_execz .LBB291_329
; %bb.324:                              ;   in Loop: Header=BB291_10 Depth=1
	v_and_b32_e32 v25, 0x7f, v6
	v_mov_b32_e32 v71, 0x7c010000
	s_mov_b32 s31, exec_lo
	s_delay_alu instid0(VALU_DEP_2)
	v_cmpx_ne_u32_e32 0x7f, v25
	s_cbranch_execz .LBB291_328
; %bb.325:                              ;   in Loop: Header=BB291_10 Depth=1
	v_dual_lshrrev_b32 v5, 3, v25 :: v_dual_bitop2_b32 v4, 7, v6 bitop3:0x40
	s_mov_b32 s33, exec_lo
	v_cmpx_gt_u32_e32 8, v25
; %bb.326:                              ;   in Loop: Header=BB291_10 Depth=1
	s_delay_alu instid0(VALU_DEP_2) | instskip(NEXT) | instid1(VALU_DEP_1)
	v_clz_i32_u32_e32 v4, v4
	v_min_u32_e32 v25, 32, v4
	s_delay_alu instid0(VALU_DEP_1) | instskip(NEXT) | instid1(VALU_DEP_1)
	v_subrev_nc_u32_e32 v4, 28, v25
	v_lshlrev_b64_e32 v[4:5], v4, v[6:7]
	s_delay_alu instid0(VALU_DEP_1)
	v_dual_sub_nc_u32 v5, 29, v25 :: v_dual_bitop2_b32 v4, 7, v4 bitop3:0x40
; %bb.327:                              ;   in Loop: Header=BB291_10 Depth=1
	s_or_b32 exec_lo, exec_lo, s33
	s_delay_alu instid0(VALU_DEP_1) | instskip(NEXT) | instid1(VALU_DEP_2)
	v_dual_lshlrev_b32 v6, 8, v6 :: v_dual_lshlrev_b32 v4, 23, v4
	v_lshl_add_u32 v5, v5, 10, 0x2000
	s_delay_alu instid0(VALU_DEP_1) | instskip(NEXT) | instid1(VALU_DEP_1)
	v_and_or_b32 v5, 0x8000, v6, v5
	v_lshl_or_b32 v71, v5, 16, v4
.LBB291_328:                            ;   in Loop: Header=BB291_10 Depth=1
	s_or_b32 exec_lo, exec_lo, s31
.LBB291_329:                            ;   in Loop: Header=BB291_10 Depth=1
	s_delay_alu instid0(SALU_CYCLE_1)
	s_or_b32 exec_lo, exec_lo, s30
.LBB291_330:                            ;   in Loop: Header=BB291_10 Depth=1
	s_delay_alu instid0(SALU_CYCLE_1)
	s_or_b32 exec_lo, exec_lo, s29
	global_load_b64 v[4:5], v[2:3], off offset:1032
	s_mov_b32 s29, exec_lo
	s_wait_loadcnt 0x0
	v_and_b32_e32 v6, 0xff, v4
	s_wait_xcnt 0x0
	s_delay_alu instid0(VALU_DEP_1)
	v_cmpx_ne_u16_e32 0, v6
	s_cbranch_execz .LBB291_338
; %bb.331:                              ;   in Loop: Header=BB291_10 Depth=1
	v_mov_b32_e32 v70, 0x8000
	s_mov_b32 s30, exec_lo
	v_cmpx_ne_u16_e32 0x80, v6
	s_cbranch_execz .LBB291_337
; %bb.332:                              ;   in Loop: Header=BB291_10 Depth=1
	v_and_b32_e32 v44, 0x7f, v4
	v_mov_b32_e32 v70, 0x7c01
	s_mov_b32 s31, exec_lo
	s_delay_alu instid0(VALU_DEP_2)
	v_cmpx_ne_u32_e32 0x7f, v44
	s_cbranch_execz .LBB291_336
; %bb.333:                              ;   in Loop: Header=BB291_10 Depth=1
	v_and_b32_e32 v6, 7, v4
	v_lshrrev_b32_e32 v25, 3, v44
	s_mov_b32 s33, exec_lo
	v_cmpx_gt_u32_e32 8, v44
; %bb.334:                              ;   in Loop: Header=BB291_10 Depth=1
	s_delay_alu instid0(VALU_DEP_3) | instskip(NEXT) | instid1(VALU_DEP_1)
	v_clz_i32_u32_e32 v6, v6
	v_min_u32_e32 v6, 32, v6
	s_delay_alu instid0(VALU_DEP_1) | instskip(NEXT) | instid1(VALU_DEP_1)
	v_subrev_nc_u32_e32 v25, 28, v6
	v_lshlrev_b64_e32 v[44:45], v25, v[4:5]
	s_delay_alu instid0(VALU_DEP_1)
	v_dual_sub_nc_u32 v25, 29, v6 :: v_dual_bitop2_b32 v6, 7, v44 bitop3:0x40
; %bb.335:                              ;   in Loop: Header=BB291_10 Depth=1
	s_or_b32 exec_lo, exec_lo, s33
	s_delay_alu instid0(VALU_DEP_1) | instskip(NEXT) | instid1(VALU_DEP_2)
	v_dual_lshlrev_b32 v44, 8, v4 :: v_dual_lshlrev_b32 v6, 7, v6
	v_lshl_add_u32 v25, v25, 10, 0x2000
	s_delay_alu instid0(VALU_DEP_2) | instskip(NEXT) | instid1(VALU_DEP_2)
	v_and_b32_e32 v44, 0x8000, v44
	v_and_b32_e32 v25, 0xfc00, v25
	s_delay_alu instid0(VALU_DEP_1)
	v_or3_b32 v70, v44, v25, v6
.LBB291_336:                            ;   in Loop: Header=BB291_10 Depth=1
	s_or_b32 exec_lo, exec_lo, s31
.LBB291_337:                            ;   in Loop: Header=BB291_10 Depth=1
	s_delay_alu instid0(SALU_CYCLE_1)
	s_or_b32 exec_lo, exec_lo, s30
.LBB291_338:                            ;   in Loop: Header=BB291_10 Depth=1
	s_delay_alu instid0(SALU_CYCLE_1) | instskip(SKIP_3) | instid1(VALU_DEP_2)
	s_or_b32 exec_lo, exec_lo, s29
	v_lshrrev_b16 v6, 8, v4
	v_dual_mov_b32 v74, 0 :: v_dual_mov_b32 v72, 0
	s_mov_b32 s29, exec_lo
	v_cmpx_ne_u16_e32 0, v6
	s_cbranch_execz .LBB291_346
; %bb.339:                              ;   in Loop: Header=BB291_10 Depth=1
	v_bfrev_b32_e32 v72, 1
	s_mov_b32 s30, exec_lo
	v_cmpx_ne_u16_e32 0x80, v6
	s_cbranch_execz .LBB291_345
; %bb.340:                              ;   in Loop: Header=BB291_10 Depth=1
	v_and_b32_e32 v25, 0xffff, v6
	v_mov_b32_e32 v72, 0x7c010000
	s_mov_b32 s31, exec_lo
	s_delay_alu instid0(VALU_DEP_2) | instskip(NEXT) | instid1(VALU_DEP_1)
	v_and_b32_e32 v50, 0x7f, v25
	v_cmpx_ne_u32_e32 0x7f, v50
	s_cbranch_execz .LBB291_344
; %bb.341:                              ;   in Loop: Header=BB291_10 Depth=1
	v_dual_lshrrev_b32 v45, 3, v50 :: v_dual_bitop2_b32 v44, 7, v25 bitop3:0x40
	s_mov_b32 s33, exec_lo
	v_cmpx_gt_u32_e32 8, v50
; %bb.342:                              ;   in Loop: Header=BB291_10 Depth=1
	s_delay_alu instid0(VALU_DEP_2) | instskip(NEXT) | instid1(VALU_DEP_1)
	v_clz_i32_u32_e32 v44, v44
	v_min_u32_e32 v50, 32, v44
	s_delay_alu instid0(VALU_DEP_1) | instskip(NEXT) | instid1(VALU_DEP_1)
	v_subrev_nc_u32_e32 v44, 28, v50
	v_lshlrev_b64_e32 v[44:45], v44, v[6:7]
	s_delay_alu instid0(VALU_DEP_1)
	v_dual_sub_nc_u32 v45, 29, v50 :: v_dual_bitop2_b32 v44, 7, v44 bitop3:0x40
; %bb.343:                              ;   in Loop: Header=BB291_10 Depth=1
	s_or_b32 exec_lo, exec_lo, s33
	v_lshlrev_b32_e32 v6, 8, v25
	s_delay_alu instid0(VALU_DEP_2) | instskip(NEXT) | instid1(VALU_DEP_1)
	v_lshl_add_u32 v25, v45, 10, 0x2000
	v_and_or_b32 v6, 0x8000, v6, v25
	v_lshlrev_b32_e32 v25, 23, v44
	s_delay_alu instid0(VALU_DEP_1)
	v_lshl_or_b32 v72, v6, 16, v25
.LBB291_344:                            ;   in Loop: Header=BB291_10 Depth=1
	s_or_b32 exec_lo, exec_lo, s31
.LBB291_345:                            ;   in Loop: Header=BB291_10 Depth=1
	s_delay_alu instid0(SALU_CYCLE_1)
	s_or_b32 exec_lo, exec_lo, s30
.LBB291_346:                            ;   in Loop: Header=BB291_10 Depth=1
	s_delay_alu instid0(SALU_CYCLE_1) | instskip(SKIP_2) | instid1(VALU_DEP_1)
	s_or_b32 exec_lo, exec_lo, s29
	v_lshrrev_b32_e32 v6, 16, v4
	s_mov_b32 s29, exec_lo
	v_and_b32_e32 v25, 0xff, v6
	s_delay_alu instid0(VALU_DEP_1)
	v_cmpx_ne_u16_e32 0, v25
	s_cbranch_execz .LBB291_354
; %bb.347:                              ;   in Loop: Header=BB291_10 Depth=1
	v_mov_b32_e32 v74, 0x8000
	s_mov_b32 s30, exec_lo
	v_cmpx_ne_u16_e32 0x80, v25
	s_cbranch_execz .LBB291_353
; %bb.348:                              ;   in Loop: Header=BB291_10 Depth=1
	v_bfe_u32 v45, v4, 16, 7
	v_mov_b32_e32 v74, 0x7c01
	s_mov_b32 s31, exec_lo
	s_delay_alu instid0(VALU_DEP_2)
	v_cmpx_ne_u32_e32 0x7f, v45
	s_cbranch_execz .LBB291_352
; %bb.349:                              ;   in Loop: Header=BB291_10 Depth=1
	v_dual_lshrrev_b32 v44, 3, v45 :: v_dual_bitop2_b32 v25, 7, v6 bitop3:0x40
	s_mov_b32 s33, exec_lo
	v_cmpx_gt_u32_e32 8, v45
; %bb.350:                              ;   in Loop: Header=BB291_10 Depth=1
	s_delay_alu instid0(VALU_DEP_2) | instskip(NEXT) | instid1(VALU_DEP_1)
	v_clz_i32_u32_e32 v25, v25
	v_min_u32_e32 v25, 32, v25
	s_delay_alu instid0(VALU_DEP_1) | instskip(NEXT) | instid1(VALU_DEP_1)
	v_subrev_nc_u32_e32 v44, 28, v25
	v_lshlrev_b64_e32 v[50:51], v44, v[6:7]
	s_delay_alu instid0(VALU_DEP_1)
	v_dual_sub_nc_u32 v44, 29, v25 :: v_dual_bitop2_b32 v25, 7, v50 bitop3:0x40
; %bb.351:                              ;   in Loop: Header=BB291_10 Depth=1
	s_or_b32 exec_lo, exec_lo, s33
	s_delay_alu instid0(VALU_DEP_1) | instskip(NEXT) | instid1(VALU_DEP_2)
	v_dual_lshlrev_b32 v6, 8, v6 :: v_dual_lshlrev_b32 v25, 7, v25
	v_lshl_add_u32 v44, v44, 10, 0x2000
	s_delay_alu instid0(VALU_DEP_2) | instskip(NEXT) | instid1(VALU_DEP_2)
	v_and_b32_e32 v6, 0x8000, v6
	v_and_b32_e32 v44, 0xfc00, v44
	s_delay_alu instid0(VALU_DEP_1)
	v_or3_b32 v74, v6, v44, v25
.LBB291_352:                            ;   in Loop: Header=BB291_10 Depth=1
	s_or_b32 exec_lo, exec_lo, s31
.LBB291_353:                            ;   in Loop: Header=BB291_10 Depth=1
	s_delay_alu instid0(SALU_CYCLE_1)
	s_or_b32 exec_lo, exec_lo, s30
.LBB291_354:                            ;   in Loop: Header=BB291_10 Depth=1
	s_delay_alu instid0(SALU_CYCLE_1)
	s_or_b32 exec_lo, exec_lo, s29
	v_dual_mov_b32 v75, 0 :: v_dual_mov_b32 v78, 0
	s_mov_b32 s29, exec_lo
	v_cmpx_lt_u32_e32 0xffffff, v4
	s_cbranch_execz .LBB291_362
; %bb.355:                              ;   in Loop: Header=BB291_10 Depth=1
	v_lshrrev_b32_e32 v6, 24, v4
	v_bfrev_b32_e32 v78, 1
	s_mov_b32 s30, exec_lo
	s_delay_alu instid0(VALU_DEP_2)
	v_cmpx_ne_u32_e32 0x80, v6
	s_cbranch_execz .LBB291_361
; %bb.356:                              ;   in Loop: Header=BB291_10 Depth=1
	v_and_b32_e32 v45, 0x7f, v6
	v_mov_b32_e32 v78, 0x7c010000
	s_mov_b32 s31, exec_lo
	s_delay_alu instid0(VALU_DEP_2)
	v_cmpx_ne_u32_e32 0x7f, v45
	s_cbranch_execz .LBB291_360
; %bb.357:                              ;   in Loop: Header=BB291_10 Depth=1
	v_dual_lshrrev_b32 v44, 3, v45 :: v_dual_bitop2_b32 v25, 7, v6 bitop3:0x40
	s_mov_b32 s33, exec_lo
	v_cmpx_gt_u32_e32 8, v45
; %bb.358:                              ;   in Loop: Header=BB291_10 Depth=1
	s_delay_alu instid0(VALU_DEP_2) | instskip(NEXT) | instid1(VALU_DEP_1)
	v_clz_i32_u32_e32 v25, v25
	v_min_u32_e32 v25, 32, v25
	s_delay_alu instid0(VALU_DEP_1) | instskip(NEXT) | instid1(VALU_DEP_1)
	v_subrev_nc_u32_e32 v44, 28, v25
	v_lshlrev_b64_e32 v[50:51], v44, v[6:7]
	s_delay_alu instid0(VALU_DEP_1)
	v_dual_sub_nc_u32 v44, 29, v25 :: v_dual_bitop2_b32 v25, 7, v50 bitop3:0x40
; %bb.359:                              ;   in Loop: Header=BB291_10 Depth=1
	s_or_b32 exec_lo, exec_lo, s33
	s_delay_alu instid0(VALU_DEP_1) | instskip(NEXT) | instid1(VALU_DEP_2)
	v_dual_lshlrev_b32 v6, 8, v6 :: v_dual_lshlrev_b32 v25, 23, v25
	v_lshl_add_u32 v44, v44, 10, 0x2000
	s_delay_alu instid0(VALU_DEP_1) | instskip(NEXT) | instid1(VALU_DEP_1)
	v_and_or_b32 v6, 0x8000, v6, v44
	v_lshl_or_b32 v78, v6, 16, v25
.LBB291_360:                            ;   in Loop: Header=BB291_10 Depth=1
	s_or_b32 exec_lo, exec_lo, s31
.LBB291_361:                            ;   in Loop: Header=BB291_10 Depth=1
	s_delay_alu instid0(SALU_CYCLE_1)
	s_or_b32 exec_lo, exec_lo, s30
.LBB291_362:                            ;   in Loop: Header=BB291_10 Depth=1
	s_delay_alu instid0(SALU_CYCLE_1) | instskip(SKIP_3) | instid1(VALU_DEP_2)
	s_or_b32 exec_lo, exec_lo, s29
	v_and_b32_e32 v25, 0xff, v5
	v_mov_b32_e32 v6, v5
	s_mov_b32 s29, exec_lo
	v_cmpx_ne_u16_e32 0, v25
	s_cbranch_execz .LBB291_370
; %bb.363:                              ;   in Loop: Header=BB291_10 Depth=1
	v_mov_b32_e32 v75, 0x8000
	s_mov_b32 s30, exec_lo
	v_cmpx_ne_u16_e32 0x80, v25
	s_cbranch_execz .LBB291_369
; %bb.364:                              ;   in Loop: Header=BB291_10 Depth=1
	v_and_b32_e32 v45, 0x7f, v5
	v_mov_b32_e32 v75, 0x7c01
	s_mov_b32 s31, exec_lo
	s_delay_alu instid0(VALU_DEP_2)
	v_cmpx_ne_u32_e32 0x7f, v45
	s_cbranch_execz .LBB291_368
; %bb.365:                              ;   in Loop: Header=BB291_10 Depth=1
	v_and_b32_e32 v25, 7, v5
	v_lshrrev_b32_e32 v44, 3, v45
	s_mov_b32 s33, exec_lo
	v_cmpx_gt_u32_e32 8, v45
; %bb.366:                              ;   in Loop: Header=BB291_10 Depth=1
	s_delay_alu instid0(VALU_DEP_3) | instskip(NEXT) | instid1(VALU_DEP_1)
	v_clz_i32_u32_e32 v25, v25
	v_min_u32_e32 v25, 32, v25
	s_delay_alu instid0(VALU_DEP_1) | instskip(NEXT) | instid1(VALU_DEP_1)
	v_subrev_nc_u32_e32 v44, 28, v25
	v_lshlrev_b64_e32 v[50:51], v44, v[6:7]
	s_delay_alu instid0(VALU_DEP_1)
	v_dual_sub_nc_u32 v44, 29, v25 :: v_dual_bitop2_b32 v25, 7, v50 bitop3:0x40
; %bb.367:                              ;   in Loop: Header=BB291_10 Depth=1
	s_or_b32 exec_lo, exec_lo, s33
	v_lshlrev_b32_e32 v45, 8, v5
	s_delay_alu instid0(VALU_DEP_2) | instskip(NEXT) | instid1(VALU_DEP_3)
	v_lshl_add_u32 v44, v44, 10, 0x2000
	v_lshlrev_b32_e32 v25, 7, v25
	s_delay_alu instid0(VALU_DEP_3) | instskip(NEXT) | instid1(VALU_DEP_3)
	v_and_b32_e32 v45, 0x8000, v45
	v_and_b32_e32 v44, 0xfc00, v44
	s_delay_alu instid0(VALU_DEP_1)
	v_or3_b32 v75, v45, v44, v25
.LBB291_368:                            ;   in Loop: Header=BB291_10 Depth=1
	s_or_b32 exec_lo, exec_lo, s31
.LBB291_369:                            ;   in Loop: Header=BB291_10 Depth=1
	s_delay_alu instid0(SALU_CYCLE_1)
	s_or_b32 exec_lo, exec_lo, s30
.LBB291_370:                            ;   in Loop: Header=BB291_10 Depth=1
	s_delay_alu instid0(SALU_CYCLE_1) | instskip(SKIP_3) | instid1(VALU_DEP_2)
	s_or_b32 exec_lo, exec_lo, s29
	v_lshrrev_b16 v6, 8, v6
	v_dual_mov_b32 v79, 0 :: v_dual_mov_b32 v80, 0
	s_mov_b32 s29, exec_lo
	v_cmpx_ne_u16_e32 0, v6
	s_cbranch_execz .LBB291_378
; %bb.371:                              ;   in Loop: Header=BB291_10 Depth=1
	v_bfrev_b32_e32 v80, 1
	s_mov_b32 s30, exec_lo
	v_cmpx_ne_u16_e32 0x80, v6
	s_cbranch_execz .LBB291_377
; %bb.372:                              ;   in Loop: Header=BB291_10 Depth=1
	v_and_b32_e32 v25, 0xffff, v6
	v_mov_b32_e32 v80, 0x7c010000
	s_mov_b32 s31, exec_lo
	s_delay_alu instid0(VALU_DEP_2) | instskip(NEXT) | instid1(VALU_DEP_1)
	v_and_b32_e32 v50, 0x7f, v25
	v_cmpx_ne_u32_e32 0x7f, v50
	s_cbranch_execz .LBB291_376
; %bb.373:                              ;   in Loop: Header=BB291_10 Depth=1
	v_dual_lshrrev_b32 v45, 3, v50 :: v_dual_bitop2_b32 v44, 7, v25 bitop3:0x40
	s_mov_b32 s33, exec_lo
	v_cmpx_gt_u32_e32 8, v50
; %bb.374:                              ;   in Loop: Header=BB291_10 Depth=1
	s_delay_alu instid0(VALU_DEP_2) | instskip(NEXT) | instid1(VALU_DEP_1)
	v_clz_i32_u32_e32 v44, v44
	v_min_u32_e32 v50, 32, v44
	s_delay_alu instid0(VALU_DEP_1) | instskip(NEXT) | instid1(VALU_DEP_1)
	v_subrev_nc_u32_e32 v44, 28, v50
	v_lshlrev_b64_e32 v[44:45], v44, v[6:7]
	s_delay_alu instid0(VALU_DEP_1)
	v_dual_sub_nc_u32 v45, 29, v50 :: v_dual_bitop2_b32 v44, 7, v44 bitop3:0x40
; %bb.375:                              ;   in Loop: Header=BB291_10 Depth=1
	s_or_b32 exec_lo, exec_lo, s33
	v_lshlrev_b32_e32 v6, 8, v25
	s_delay_alu instid0(VALU_DEP_2) | instskip(NEXT) | instid1(VALU_DEP_1)
	v_lshl_add_u32 v25, v45, 10, 0x2000
	v_and_or_b32 v6, 0x8000, v6, v25
	v_lshlrev_b32_e32 v25, 23, v44
	s_delay_alu instid0(VALU_DEP_1)
	v_lshl_or_b32 v80, v6, 16, v25
.LBB291_376:                            ;   in Loop: Header=BB291_10 Depth=1
	s_or_b32 exec_lo, exec_lo, s31
.LBB291_377:                            ;   in Loop: Header=BB291_10 Depth=1
	s_delay_alu instid0(SALU_CYCLE_1)
	s_or_b32 exec_lo, exec_lo, s30
.LBB291_378:                            ;   in Loop: Header=BB291_10 Depth=1
	s_delay_alu instid0(SALU_CYCLE_1) | instskip(SKIP_2) | instid1(VALU_DEP_1)
	s_or_b32 exec_lo, exec_lo, s29
	v_lshrrev_b32_e32 v6, 16, v5
	s_mov_b32 s29, exec_lo
	v_and_b32_e32 v25, 0xff, v6
	s_delay_alu instid0(VALU_DEP_1)
	v_cmpx_ne_u16_e32 0, v25
	s_cbranch_execz .LBB291_386
; %bb.379:                              ;   in Loop: Header=BB291_10 Depth=1
	v_mov_b32_e32 v79, 0x8000
	s_mov_b32 s30, exec_lo
	v_cmpx_ne_u16_e32 0x80, v25
	s_cbranch_execz .LBB291_385
; %bb.380:                              ;   in Loop: Header=BB291_10 Depth=1
	v_bfe_u32 v45, v5, 16, 7
	v_mov_b32_e32 v79, 0x7c01
	s_mov_b32 s31, exec_lo
	s_delay_alu instid0(VALU_DEP_2)
	v_cmpx_ne_u32_e32 0x7f, v45
	s_cbranch_execz .LBB291_384
; %bb.381:                              ;   in Loop: Header=BB291_10 Depth=1
	v_dual_lshrrev_b32 v44, 3, v45 :: v_dual_bitop2_b32 v25, 7, v6 bitop3:0x40
	s_mov_b32 s33, exec_lo
	v_cmpx_gt_u32_e32 8, v45
; %bb.382:                              ;   in Loop: Header=BB291_10 Depth=1
	s_delay_alu instid0(VALU_DEP_2) | instskip(NEXT) | instid1(VALU_DEP_1)
	v_clz_i32_u32_e32 v25, v25
	v_min_u32_e32 v25, 32, v25
	s_delay_alu instid0(VALU_DEP_1) | instskip(NEXT) | instid1(VALU_DEP_1)
	v_subrev_nc_u32_e32 v44, 28, v25
	v_lshlrev_b64_e32 v[50:51], v44, v[6:7]
	s_delay_alu instid0(VALU_DEP_1)
	v_dual_sub_nc_u32 v44, 29, v25 :: v_dual_bitop2_b32 v25, 7, v50 bitop3:0x40
; %bb.383:                              ;   in Loop: Header=BB291_10 Depth=1
	s_or_b32 exec_lo, exec_lo, s33
	s_delay_alu instid0(VALU_DEP_1) | instskip(NEXT) | instid1(VALU_DEP_2)
	v_dual_lshlrev_b32 v6, 8, v6 :: v_dual_lshlrev_b32 v25, 7, v25
	v_lshl_add_u32 v44, v44, 10, 0x2000
	s_delay_alu instid0(VALU_DEP_2) | instskip(NEXT) | instid1(VALU_DEP_2)
	v_and_b32_e32 v6, 0x8000, v6
	v_and_b32_e32 v44, 0xfc00, v44
	s_delay_alu instid0(VALU_DEP_1)
	v_or3_b32 v79, v6, v44, v25
.LBB291_384:                            ;   in Loop: Header=BB291_10 Depth=1
	s_or_b32 exec_lo, exec_lo, s31
.LBB291_385:                            ;   in Loop: Header=BB291_10 Depth=1
	s_delay_alu instid0(SALU_CYCLE_1)
	s_or_b32 exec_lo, exec_lo, s30
.LBB291_386:                            ;   in Loop: Header=BB291_10 Depth=1
	s_delay_alu instid0(SALU_CYCLE_1)
	s_or_b32 exec_lo, exec_lo, s29
	v_dual_mov_b32 v81, 0 :: v_dual_mov_b32 v82, 0
	s_mov_b32 s29, exec_lo
	v_cmpx_lt_u64_e64 s[20:21], v[4:5]
	s_cbranch_execz .LBB291_394
; %bb.387:                              ;   in Loop: Header=BB291_10 Depth=1
	v_lshrrev_b32_e32 v6, 24, v5
	v_bfrev_b32_e32 v82, 1
	s_mov_b32 s30, exec_lo
	s_delay_alu instid0(VALU_DEP_2)
	v_cmpx_ne_u32_e32 0x80, v6
	s_cbranch_execz .LBB291_393
; %bb.388:                              ;   in Loop: Header=BB291_10 Depth=1
	v_and_b32_e32 v25, 0x7f, v6
	v_mov_b32_e32 v82, 0x7c010000
	s_mov_b32 s31, exec_lo
	s_delay_alu instid0(VALU_DEP_2)
	v_cmpx_ne_u32_e32 0x7f, v25
	s_cbranch_execz .LBB291_392
; %bb.389:                              ;   in Loop: Header=BB291_10 Depth=1
	v_dual_lshrrev_b32 v5, 3, v25 :: v_dual_bitop2_b32 v4, 7, v6 bitop3:0x40
	s_mov_b32 s33, exec_lo
	v_cmpx_gt_u32_e32 8, v25
; %bb.390:                              ;   in Loop: Header=BB291_10 Depth=1
	s_delay_alu instid0(VALU_DEP_2) | instskip(NEXT) | instid1(VALU_DEP_1)
	v_clz_i32_u32_e32 v4, v4
	v_min_u32_e32 v25, 32, v4
	s_delay_alu instid0(VALU_DEP_1) | instskip(NEXT) | instid1(VALU_DEP_1)
	v_subrev_nc_u32_e32 v4, 28, v25
	v_lshlrev_b64_e32 v[4:5], v4, v[6:7]
	s_delay_alu instid0(VALU_DEP_1)
	v_dual_sub_nc_u32 v5, 29, v25 :: v_dual_bitop2_b32 v4, 7, v4 bitop3:0x40
; %bb.391:                              ;   in Loop: Header=BB291_10 Depth=1
	s_or_b32 exec_lo, exec_lo, s33
	s_delay_alu instid0(VALU_DEP_1) | instskip(NEXT) | instid1(VALU_DEP_2)
	v_dual_lshlrev_b32 v6, 8, v6 :: v_dual_lshlrev_b32 v4, 23, v4
	v_lshl_add_u32 v5, v5, 10, 0x2000
	s_delay_alu instid0(VALU_DEP_1) | instskip(NEXT) | instid1(VALU_DEP_1)
	v_and_or_b32 v5, 0x8000, v6, v5
	v_lshl_or_b32 v82, v5, 16, v4
.LBB291_392:                            ;   in Loop: Header=BB291_10 Depth=1
	s_or_b32 exec_lo, exec_lo, s31
.LBB291_393:                            ;   in Loop: Header=BB291_10 Depth=1
	s_delay_alu instid0(SALU_CYCLE_1)
	s_or_b32 exec_lo, exec_lo, s30
.LBB291_394:                            ;   in Loop: Header=BB291_10 Depth=1
	s_delay_alu instid0(SALU_CYCLE_1)
	s_or_b32 exec_lo, exec_lo, s29
	global_load_b64 v[4:5], v[2:3], off offset:1536
	s_mov_b32 s29, exec_lo
	s_wait_loadcnt 0x0
	v_and_b32_e32 v6, 0xff, v4
	s_wait_xcnt 0x0
	s_delay_alu instid0(VALU_DEP_1)
	v_cmpx_ne_u16_e32 0, v6
	s_cbranch_execz .LBB291_402
; %bb.395:                              ;   in Loop: Header=BB291_10 Depth=1
	v_mov_b32_e32 v81, 0x8000
	s_mov_b32 s30, exec_lo
	v_cmpx_ne_u16_e32 0x80, v6
	s_cbranch_execz .LBB291_401
; %bb.396:                              ;   in Loop: Header=BB291_10 Depth=1
	v_and_b32_e32 v44, 0x7f, v4
	v_mov_b32_e32 v81, 0x7c01
	s_mov_b32 s31, exec_lo
	s_delay_alu instid0(VALU_DEP_2)
	v_cmpx_ne_u32_e32 0x7f, v44
	s_cbranch_execz .LBB291_400
; %bb.397:                              ;   in Loop: Header=BB291_10 Depth=1
	v_and_b32_e32 v6, 7, v4
	v_lshrrev_b32_e32 v25, 3, v44
	s_mov_b32 s33, exec_lo
	v_cmpx_gt_u32_e32 8, v44
; %bb.398:                              ;   in Loop: Header=BB291_10 Depth=1
	s_delay_alu instid0(VALU_DEP_3) | instskip(NEXT) | instid1(VALU_DEP_1)
	v_clz_i32_u32_e32 v6, v6
	v_min_u32_e32 v6, 32, v6
	s_delay_alu instid0(VALU_DEP_1) | instskip(NEXT) | instid1(VALU_DEP_1)
	v_subrev_nc_u32_e32 v25, 28, v6
	v_lshlrev_b64_e32 v[44:45], v25, v[4:5]
	s_delay_alu instid0(VALU_DEP_1)
	v_dual_sub_nc_u32 v25, 29, v6 :: v_dual_bitop2_b32 v6, 7, v44 bitop3:0x40
; %bb.399:                              ;   in Loop: Header=BB291_10 Depth=1
	s_or_b32 exec_lo, exec_lo, s33
	s_delay_alu instid0(VALU_DEP_1) | instskip(NEXT) | instid1(VALU_DEP_2)
	v_dual_lshlrev_b32 v44, 8, v4 :: v_dual_lshlrev_b32 v6, 7, v6
	v_lshl_add_u32 v25, v25, 10, 0x2000
	s_delay_alu instid0(VALU_DEP_2) | instskip(NEXT) | instid1(VALU_DEP_2)
	v_and_b32_e32 v44, 0x8000, v44
	v_and_b32_e32 v25, 0xfc00, v25
	s_delay_alu instid0(VALU_DEP_1)
	v_or3_b32 v81, v44, v25, v6
.LBB291_400:                            ;   in Loop: Header=BB291_10 Depth=1
	s_or_b32 exec_lo, exec_lo, s31
.LBB291_401:                            ;   in Loop: Header=BB291_10 Depth=1
	s_delay_alu instid0(SALU_CYCLE_1)
	s_or_b32 exec_lo, exec_lo, s30
.LBB291_402:                            ;   in Loop: Header=BB291_10 Depth=1
	s_delay_alu instid0(SALU_CYCLE_1) | instskip(SKIP_3) | instid1(VALU_DEP_2)
	s_or_b32 exec_lo, exec_lo, s29
	v_lshrrev_b16 v6, 8, v4
	v_dual_mov_b32 v84, 0 :: v_dual_mov_b32 v83, 0
	s_mov_b32 s29, exec_lo
	v_cmpx_ne_u16_e32 0, v6
	s_cbranch_execz .LBB291_410
; %bb.403:                              ;   in Loop: Header=BB291_10 Depth=1
	v_bfrev_b32_e32 v83, 1
	s_mov_b32 s30, exec_lo
	v_cmpx_ne_u16_e32 0x80, v6
	s_cbranch_execz .LBB291_409
; %bb.404:                              ;   in Loop: Header=BB291_10 Depth=1
	v_and_b32_e32 v25, 0xffff, v6
	v_mov_b32_e32 v83, 0x7c010000
	s_mov_b32 s31, exec_lo
	s_delay_alu instid0(VALU_DEP_2) | instskip(NEXT) | instid1(VALU_DEP_1)
	v_and_b32_e32 v50, 0x7f, v25
	v_cmpx_ne_u32_e32 0x7f, v50
	s_cbranch_execz .LBB291_408
; %bb.405:                              ;   in Loop: Header=BB291_10 Depth=1
	v_dual_lshrrev_b32 v45, 3, v50 :: v_dual_bitop2_b32 v44, 7, v25 bitop3:0x40
	s_mov_b32 s33, exec_lo
	v_cmpx_gt_u32_e32 8, v50
; %bb.406:                              ;   in Loop: Header=BB291_10 Depth=1
	s_delay_alu instid0(VALU_DEP_2) | instskip(NEXT) | instid1(VALU_DEP_1)
	v_clz_i32_u32_e32 v44, v44
	v_min_u32_e32 v50, 32, v44
	s_delay_alu instid0(VALU_DEP_1) | instskip(NEXT) | instid1(VALU_DEP_1)
	v_subrev_nc_u32_e32 v44, 28, v50
	v_lshlrev_b64_e32 v[44:45], v44, v[6:7]
	s_delay_alu instid0(VALU_DEP_1)
	v_dual_sub_nc_u32 v45, 29, v50 :: v_dual_bitop2_b32 v44, 7, v44 bitop3:0x40
; %bb.407:                              ;   in Loop: Header=BB291_10 Depth=1
	s_or_b32 exec_lo, exec_lo, s33
	v_lshlrev_b32_e32 v6, 8, v25
	s_delay_alu instid0(VALU_DEP_2) | instskip(NEXT) | instid1(VALU_DEP_1)
	v_lshl_add_u32 v25, v45, 10, 0x2000
	v_and_or_b32 v6, 0x8000, v6, v25
	v_lshlrev_b32_e32 v25, 23, v44
	s_delay_alu instid0(VALU_DEP_1)
	v_lshl_or_b32 v83, v6, 16, v25
.LBB291_408:                            ;   in Loop: Header=BB291_10 Depth=1
	s_or_b32 exec_lo, exec_lo, s31
.LBB291_409:                            ;   in Loop: Header=BB291_10 Depth=1
	s_delay_alu instid0(SALU_CYCLE_1)
	s_or_b32 exec_lo, exec_lo, s30
.LBB291_410:                            ;   in Loop: Header=BB291_10 Depth=1
	s_delay_alu instid0(SALU_CYCLE_1) | instskip(SKIP_2) | instid1(VALU_DEP_1)
	s_or_b32 exec_lo, exec_lo, s29
	v_lshrrev_b32_e32 v6, 16, v4
	s_mov_b32 s29, exec_lo
	v_and_b32_e32 v25, 0xff, v6
	s_delay_alu instid0(VALU_DEP_1)
	v_cmpx_ne_u16_e32 0, v25
	s_cbranch_execz .LBB291_418
; %bb.411:                              ;   in Loop: Header=BB291_10 Depth=1
	v_mov_b32_e32 v84, 0x8000
	s_mov_b32 s30, exec_lo
	v_cmpx_ne_u16_e32 0x80, v25
	s_cbranch_execz .LBB291_417
; %bb.412:                              ;   in Loop: Header=BB291_10 Depth=1
	v_bfe_u32 v45, v4, 16, 7
	v_mov_b32_e32 v84, 0x7c01
	s_mov_b32 s31, exec_lo
	s_delay_alu instid0(VALU_DEP_2)
	v_cmpx_ne_u32_e32 0x7f, v45
	s_cbranch_execz .LBB291_416
; %bb.413:                              ;   in Loop: Header=BB291_10 Depth=1
	v_dual_lshrrev_b32 v44, 3, v45 :: v_dual_bitop2_b32 v25, 7, v6 bitop3:0x40
	s_mov_b32 s33, exec_lo
	v_cmpx_gt_u32_e32 8, v45
; %bb.414:                              ;   in Loop: Header=BB291_10 Depth=1
	s_delay_alu instid0(VALU_DEP_2) | instskip(NEXT) | instid1(VALU_DEP_1)
	v_clz_i32_u32_e32 v25, v25
	v_min_u32_e32 v25, 32, v25
	s_delay_alu instid0(VALU_DEP_1) | instskip(NEXT) | instid1(VALU_DEP_1)
	v_subrev_nc_u32_e32 v44, 28, v25
	v_lshlrev_b64_e32 v[50:51], v44, v[6:7]
	s_delay_alu instid0(VALU_DEP_1)
	v_dual_sub_nc_u32 v44, 29, v25 :: v_dual_bitop2_b32 v25, 7, v50 bitop3:0x40
; %bb.415:                              ;   in Loop: Header=BB291_10 Depth=1
	s_or_b32 exec_lo, exec_lo, s33
	s_delay_alu instid0(VALU_DEP_1) | instskip(NEXT) | instid1(VALU_DEP_2)
	v_dual_lshlrev_b32 v6, 8, v6 :: v_dual_lshlrev_b32 v25, 7, v25
	v_lshl_add_u32 v44, v44, 10, 0x2000
	s_delay_alu instid0(VALU_DEP_2) | instskip(NEXT) | instid1(VALU_DEP_2)
	v_and_b32_e32 v6, 0x8000, v6
	v_and_b32_e32 v44, 0xfc00, v44
	s_delay_alu instid0(VALU_DEP_1)
	v_or3_b32 v84, v6, v44, v25
.LBB291_416:                            ;   in Loop: Header=BB291_10 Depth=1
	s_or_b32 exec_lo, exec_lo, s31
.LBB291_417:                            ;   in Loop: Header=BB291_10 Depth=1
	s_delay_alu instid0(SALU_CYCLE_1)
	s_or_b32 exec_lo, exec_lo, s30
.LBB291_418:                            ;   in Loop: Header=BB291_10 Depth=1
	s_delay_alu instid0(SALU_CYCLE_1)
	s_or_b32 exec_lo, exec_lo, s29
	v_dual_mov_b32 v85, 0 :: v_dual_mov_b32 v86, 0
	s_mov_b32 s29, exec_lo
	v_cmpx_lt_u32_e32 0xffffff, v4
	s_cbranch_execz .LBB291_426
; %bb.419:                              ;   in Loop: Header=BB291_10 Depth=1
	v_lshrrev_b32_e32 v6, 24, v4
	v_bfrev_b32_e32 v86, 1
	s_mov_b32 s30, exec_lo
	s_delay_alu instid0(VALU_DEP_2)
	v_cmpx_ne_u32_e32 0x80, v6
	s_cbranch_execz .LBB291_425
; %bb.420:                              ;   in Loop: Header=BB291_10 Depth=1
	v_and_b32_e32 v45, 0x7f, v6
	v_mov_b32_e32 v86, 0x7c010000
	s_mov_b32 s31, exec_lo
	s_delay_alu instid0(VALU_DEP_2)
	v_cmpx_ne_u32_e32 0x7f, v45
	s_cbranch_execz .LBB291_424
; %bb.421:                              ;   in Loop: Header=BB291_10 Depth=1
	v_dual_lshrrev_b32 v44, 3, v45 :: v_dual_bitop2_b32 v25, 7, v6 bitop3:0x40
	s_mov_b32 s33, exec_lo
	v_cmpx_gt_u32_e32 8, v45
; %bb.422:                              ;   in Loop: Header=BB291_10 Depth=1
	s_delay_alu instid0(VALU_DEP_2) | instskip(NEXT) | instid1(VALU_DEP_1)
	v_clz_i32_u32_e32 v25, v25
	v_min_u32_e32 v25, 32, v25
	s_delay_alu instid0(VALU_DEP_1) | instskip(NEXT) | instid1(VALU_DEP_1)
	v_subrev_nc_u32_e32 v44, 28, v25
	v_lshlrev_b64_e32 v[50:51], v44, v[6:7]
	s_delay_alu instid0(VALU_DEP_1)
	v_dual_sub_nc_u32 v44, 29, v25 :: v_dual_bitop2_b32 v25, 7, v50 bitop3:0x40
; %bb.423:                              ;   in Loop: Header=BB291_10 Depth=1
	s_or_b32 exec_lo, exec_lo, s33
	s_delay_alu instid0(VALU_DEP_1) | instskip(NEXT) | instid1(VALU_DEP_2)
	v_dual_lshlrev_b32 v6, 8, v6 :: v_dual_lshlrev_b32 v25, 23, v25
	v_lshl_add_u32 v44, v44, 10, 0x2000
	s_delay_alu instid0(VALU_DEP_1) | instskip(NEXT) | instid1(VALU_DEP_1)
	v_and_or_b32 v6, 0x8000, v6, v44
	v_lshl_or_b32 v86, v6, 16, v25
.LBB291_424:                            ;   in Loop: Header=BB291_10 Depth=1
	s_or_b32 exec_lo, exec_lo, s31
.LBB291_425:                            ;   in Loop: Header=BB291_10 Depth=1
	s_delay_alu instid0(SALU_CYCLE_1)
	s_or_b32 exec_lo, exec_lo, s30
.LBB291_426:                            ;   in Loop: Header=BB291_10 Depth=1
	s_delay_alu instid0(SALU_CYCLE_1) | instskip(SKIP_3) | instid1(VALU_DEP_2)
	s_or_b32 exec_lo, exec_lo, s29
	v_and_b32_e32 v25, 0xff, v5
	v_mov_b32_e32 v6, v5
	s_mov_b32 s29, exec_lo
	v_cmpx_ne_u16_e32 0, v25
	s_cbranch_execz .LBB291_434
; %bb.427:                              ;   in Loop: Header=BB291_10 Depth=1
	v_mov_b32_e32 v85, 0x8000
	s_mov_b32 s30, exec_lo
	v_cmpx_ne_u16_e32 0x80, v25
	s_cbranch_execz .LBB291_433
; %bb.428:                              ;   in Loop: Header=BB291_10 Depth=1
	v_and_b32_e32 v45, 0x7f, v5
	v_mov_b32_e32 v85, 0x7c01
	s_mov_b32 s31, exec_lo
	s_delay_alu instid0(VALU_DEP_2)
	v_cmpx_ne_u32_e32 0x7f, v45
	s_cbranch_execz .LBB291_432
; %bb.429:                              ;   in Loop: Header=BB291_10 Depth=1
	v_and_b32_e32 v25, 7, v5
	v_lshrrev_b32_e32 v44, 3, v45
	s_mov_b32 s33, exec_lo
	v_cmpx_gt_u32_e32 8, v45
; %bb.430:                              ;   in Loop: Header=BB291_10 Depth=1
	s_delay_alu instid0(VALU_DEP_3) | instskip(NEXT) | instid1(VALU_DEP_1)
	v_clz_i32_u32_e32 v25, v25
	v_min_u32_e32 v25, 32, v25
	s_delay_alu instid0(VALU_DEP_1) | instskip(NEXT) | instid1(VALU_DEP_1)
	v_subrev_nc_u32_e32 v44, 28, v25
	v_lshlrev_b64_e32 v[50:51], v44, v[6:7]
	s_delay_alu instid0(VALU_DEP_1)
	v_dual_sub_nc_u32 v44, 29, v25 :: v_dual_bitop2_b32 v25, 7, v50 bitop3:0x40
; %bb.431:                              ;   in Loop: Header=BB291_10 Depth=1
	s_or_b32 exec_lo, exec_lo, s33
	v_lshlrev_b32_e32 v45, 8, v5
	s_delay_alu instid0(VALU_DEP_2) | instskip(NEXT) | instid1(VALU_DEP_3)
	v_lshl_add_u32 v44, v44, 10, 0x2000
	v_lshlrev_b32_e32 v25, 7, v25
	s_delay_alu instid0(VALU_DEP_3) | instskip(NEXT) | instid1(VALU_DEP_3)
	v_and_b32_e32 v45, 0x8000, v45
	v_and_b32_e32 v44, 0xfc00, v44
	s_delay_alu instid0(VALU_DEP_1)
	v_or3_b32 v85, v45, v44, v25
.LBB291_432:                            ;   in Loop: Header=BB291_10 Depth=1
	s_or_b32 exec_lo, exec_lo, s31
.LBB291_433:                            ;   in Loop: Header=BB291_10 Depth=1
	s_delay_alu instid0(SALU_CYCLE_1)
	s_or_b32 exec_lo, exec_lo, s30
.LBB291_434:                            ;   in Loop: Header=BB291_10 Depth=1
	s_delay_alu instid0(SALU_CYCLE_1) | instskip(SKIP_3) | instid1(VALU_DEP_2)
	s_or_b32 exec_lo, exec_lo, s29
	v_lshrrev_b16 v6, 8, v6
	v_dual_mov_b32 v87, 0 :: v_dual_mov_b32 v88, 0
	s_mov_b32 s29, exec_lo
	v_cmpx_ne_u16_e32 0, v6
	s_cbranch_execz .LBB291_442
; %bb.435:                              ;   in Loop: Header=BB291_10 Depth=1
	v_bfrev_b32_e32 v88, 1
	s_mov_b32 s30, exec_lo
	v_cmpx_ne_u16_e32 0x80, v6
	s_cbranch_execz .LBB291_441
; %bb.436:                              ;   in Loop: Header=BB291_10 Depth=1
	v_and_b32_e32 v25, 0xffff, v6
	v_mov_b32_e32 v88, 0x7c010000
	s_mov_b32 s31, exec_lo
	s_delay_alu instid0(VALU_DEP_2) | instskip(NEXT) | instid1(VALU_DEP_1)
	v_and_b32_e32 v50, 0x7f, v25
	v_cmpx_ne_u32_e32 0x7f, v50
	s_cbranch_execz .LBB291_440
; %bb.437:                              ;   in Loop: Header=BB291_10 Depth=1
	v_dual_lshrrev_b32 v45, 3, v50 :: v_dual_bitop2_b32 v44, 7, v25 bitop3:0x40
	s_mov_b32 s33, exec_lo
	v_cmpx_gt_u32_e32 8, v50
; %bb.438:                              ;   in Loop: Header=BB291_10 Depth=1
	s_delay_alu instid0(VALU_DEP_2) | instskip(NEXT) | instid1(VALU_DEP_1)
	v_clz_i32_u32_e32 v44, v44
	v_min_u32_e32 v50, 32, v44
	s_delay_alu instid0(VALU_DEP_1) | instskip(NEXT) | instid1(VALU_DEP_1)
	v_subrev_nc_u32_e32 v44, 28, v50
	v_lshlrev_b64_e32 v[44:45], v44, v[6:7]
	s_delay_alu instid0(VALU_DEP_1)
	v_dual_sub_nc_u32 v45, 29, v50 :: v_dual_bitop2_b32 v44, 7, v44 bitop3:0x40
; %bb.439:                              ;   in Loop: Header=BB291_10 Depth=1
	s_or_b32 exec_lo, exec_lo, s33
	v_lshlrev_b32_e32 v6, 8, v25
	s_delay_alu instid0(VALU_DEP_2) | instskip(NEXT) | instid1(VALU_DEP_1)
	v_lshl_add_u32 v25, v45, 10, 0x2000
	v_and_or_b32 v6, 0x8000, v6, v25
	v_lshlrev_b32_e32 v25, 23, v44
	s_delay_alu instid0(VALU_DEP_1)
	v_lshl_or_b32 v88, v6, 16, v25
.LBB291_440:                            ;   in Loop: Header=BB291_10 Depth=1
	s_or_b32 exec_lo, exec_lo, s31
.LBB291_441:                            ;   in Loop: Header=BB291_10 Depth=1
	s_delay_alu instid0(SALU_CYCLE_1)
	s_or_b32 exec_lo, exec_lo, s30
.LBB291_442:                            ;   in Loop: Header=BB291_10 Depth=1
	s_delay_alu instid0(SALU_CYCLE_1) | instskip(SKIP_2) | instid1(VALU_DEP_1)
	s_or_b32 exec_lo, exec_lo, s29
	v_lshrrev_b32_e32 v6, 16, v5
	s_mov_b32 s29, exec_lo
	v_and_b32_e32 v25, 0xff, v6
	s_delay_alu instid0(VALU_DEP_1)
	v_cmpx_ne_u16_e32 0, v25
	s_cbranch_execz .LBB291_450
; %bb.443:                              ;   in Loop: Header=BB291_10 Depth=1
	v_mov_b32_e32 v87, 0x8000
	s_mov_b32 s30, exec_lo
	v_cmpx_ne_u16_e32 0x80, v25
	s_cbranch_execz .LBB291_449
; %bb.444:                              ;   in Loop: Header=BB291_10 Depth=1
	v_bfe_u32 v45, v5, 16, 7
	v_mov_b32_e32 v87, 0x7c01
	s_mov_b32 s31, exec_lo
	s_delay_alu instid0(VALU_DEP_2)
	v_cmpx_ne_u32_e32 0x7f, v45
	s_cbranch_execz .LBB291_448
; %bb.445:                              ;   in Loop: Header=BB291_10 Depth=1
	v_dual_lshrrev_b32 v44, 3, v45 :: v_dual_bitop2_b32 v25, 7, v6 bitop3:0x40
	s_mov_b32 s33, exec_lo
	v_cmpx_gt_u32_e32 8, v45
; %bb.446:                              ;   in Loop: Header=BB291_10 Depth=1
	s_delay_alu instid0(VALU_DEP_2) | instskip(NEXT) | instid1(VALU_DEP_1)
	v_clz_i32_u32_e32 v25, v25
	v_min_u32_e32 v25, 32, v25
	s_delay_alu instid0(VALU_DEP_1) | instskip(NEXT) | instid1(VALU_DEP_1)
	v_subrev_nc_u32_e32 v44, 28, v25
	v_lshlrev_b64_e32 v[50:51], v44, v[6:7]
	s_delay_alu instid0(VALU_DEP_1)
	v_dual_sub_nc_u32 v44, 29, v25 :: v_dual_bitop2_b32 v25, 7, v50 bitop3:0x40
; %bb.447:                              ;   in Loop: Header=BB291_10 Depth=1
	s_or_b32 exec_lo, exec_lo, s33
	s_delay_alu instid0(VALU_DEP_1) | instskip(NEXT) | instid1(VALU_DEP_2)
	v_dual_lshlrev_b32 v6, 8, v6 :: v_dual_lshlrev_b32 v25, 7, v25
	v_lshl_add_u32 v44, v44, 10, 0x2000
	s_delay_alu instid0(VALU_DEP_2) | instskip(NEXT) | instid1(VALU_DEP_2)
	v_and_b32_e32 v6, 0x8000, v6
	v_and_b32_e32 v44, 0xfc00, v44
	s_delay_alu instid0(VALU_DEP_1)
	v_or3_b32 v87, v6, v44, v25
.LBB291_448:                            ;   in Loop: Header=BB291_10 Depth=1
	s_or_b32 exec_lo, exec_lo, s31
.LBB291_449:                            ;   in Loop: Header=BB291_10 Depth=1
	s_delay_alu instid0(SALU_CYCLE_1)
	s_or_b32 exec_lo, exec_lo, s30
.LBB291_450:                            ;   in Loop: Header=BB291_10 Depth=1
	s_delay_alu instid0(SALU_CYCLE_1)
	s_or_b32 exec_lo, exec_lo, s29
	v_dual_mov_b32 v89, 0 :: v_dual_mov_b32 v90, 0
	s_mov_b32 s29, exec_lo
	v_cmpx_lt_u64_e64 s[20:21], v[4:5]
	s_cbranch_execz .LBB291_458
; %bb.451:                              ;   in Loop: Header=BB291_10 Depth=1
	v_lshrrev_b32_e32 v6, 24, v5
	v_bfrev_b32_e32 v90, 1
	s_mov_b32 s30, exec_lo
	s_delay_alu instid0(VALU_DEP_2)
	v_cmpx_ne_u32_e32 0x80, v6
	s_cbranch_execz .LBB291_457
; %bb.452:                              ;   in Loop: Header=BB291_10 Depth=1
	v_and_b32_e32 v25, 0x7f, v6
	v_mov_b32_e32 v90, 0x7c010000
	s_mov_b32 s31, exec_lo
	s_delay_alu instid0(VALU_DEP_2)
	v_cmpx_ne_u32_e32 0x7f, v25
	s_cbranch_execz .LBB291_456
; %bb.453:                              ;   in Loop: Header=BB291_10 Depth=1
	v_dual_lshrrev_b32 v5, 3, v25 :: v_dual_bitop2_b32 v4, 7, v6 bitop3:0x40
	s_mov_b32 s33, exec_lo
	v_cmpx_gt_u32_e32 8, v25
; %bb.454:                              ;   in Loop: Header=BB291_10 Depth=1
	s_delay_alu instid0(VALU_DEP_2) | instskip(NEXT) | instid1(VALU_DEP_1)
	v_clz_i32_u32_e32 v4, v4
	v_min_u32_e32 v25, 32, v4
	s_delay_alu instid0(VALU_DEP_1) | instskip(NEXT) | instid1(VALU_DEP_1)
	v_subrev_nc_u32_e32 v4, 28, v25
	v_lshlrev_b64_e32 v[4:5], v4, v[6:7]
	s_delay_alu instid0(VALU_DEP_1)
	v_dual_sub_nc_u32 v5, 29, v25 :: v_dual_bitop2_b32 v4, 7, v4 bitop3:0x40
; %bb.455:                              ;   in Loop: Header=BB291_10 Depth=1
	s_or_b32 exec_lo, exec_lo, s33
	s_delay_alu instid0(VALU_DEP_1) | instskip(NEXT) | instid1(VALU_DEP_2)
	v_dual_lshlrev_b32 v6, 8, v6 :: v_dual_lshlrev_b32 v4, 23, v4
	v_lshl_add_u32 v5, v5, 10, 0x2000
	s_delay_alu instid0(VALU_DEP_1) | instskip(NEXT) | instid1(VALU_DEP_1)
	v_and_or_b32 v5, 0x8000, v6, v5
	v_lshl_or_b32 v90, v5, 16, v4
.LBB291_456:                            ;   in Loop: Header=BB291_10 Depth=1
	s_or_b32 exec_lo, exec_lo, s31
.LBB291_457:                            ;   in Loop: Header=BB291_10 Depth=1
	s_delay_alu instid0(SALU_CYCLE_1)
	s_or_b32 exec_lo, exec_lo, s30
.LBB291_458:                            ;   in Loop: Header=BB291_10 Depth=1
	s_delay_alu instid0(SALU_CYCLE_1)
	s_or_b32 exec_lo, exec_lo, s29
	global_load_b64 v[4:5], v[2:3], off offset:1544
	s_mov_b32 s29, exec_lo
	s_wait_loadcnt 0x0
	v_and_b32_e32 v6, 0xff, v4
	s_wait_xcnt 0x0
	s_delay_alu instid0(VALU_DEP_1)
	v_cmpx_ne_u16_e32 0, v6
	s_cbranch_execz .LBB291_466
; %bb.459:                              ;   in Loop: Header=BB291_10 Depth=1
	v_mov_b32_e32 v89, 0x8000
	s_mov_b32 s30, exec_lo
	v_cmpx_ne_u16_e32 0x80, v6
	s_cbranch_execz .LBB291_465
; %bb.460:                              ;   in Loop: Header=BB291_10 Depth=1
	v_and_b32_e32 v44, 0x7f, v4
	v_mov_b32_e32 v89, 0x7c01
	s_mov_b32 s31, exec_lo
	s_delay_alu instid0(VALU_DEP_2)
	v_cmpx_ne_u32_e32 0x7f, v44
	s_cbranch_execz .LBB291_464
; %bb.461:                              ;   in Loop: Header=BB291_10 Depth=1
	v_and_b32_e32 v6, 7, v4
	v_lshrrev_b32_e32 v25, 3, v44
	s_mov_b32 s33, exec_lo
	v_cmpx_gt_u32_e32 8, v44
; %bb.462:                              ;   in Loop: Header=BB291_10 Depth=1
	s_delay_alu instid0(VALU_DEP_3) | instskip(NEXT) | instid1(VALU_DEP_1)
	v_clz_i32_u32_e32 v6, v6
	v_min_u32_e32 v6, 32, v6
	s_delay_alu instid0(VALU_DEP_1) | instskip(NEXT) | instid1(VALU_DEP_1)
	v_subrev_nc_u32_e32 v25, 28, v6
	v_lshlrev_b64_e32 v[44:45], v25, v[4:5]
	s_delay_alu instid0(VALU_DEP_1)
	v_dual_sub_nc_u32 v25, 29, v6 :: v_dual_bitop2_b32 v6, 7, v44 bitop3:0x40
; %bb.463:                              ;   in Loop: Header=BB291_10 Depth=1
	s_or_b32 exec_lo, exec_lo, s33
	s_delay_alu instid0(VALU_DEP_1) | instskip(NEXT) | instid1(VALU_DEP_2)
	v_dual_lshlrev_b32 v44, 8, v4 :: v_dual_lshlrev_b32 v6, 7, v6
	v_lshl_add_u32 v25, v25, 10, 0x2000
	s_delay_alu instid0(VALU_DEP_2) | instskip(NEXT) | instid1(VALU_DEP_2)
	v_and_b32_e32 v44, 0x8000, v44
	v_and_b32_e32 v25, 0xfc00, v25
	s_delay_alu instid0(VALU_DEP_1)
	v_or3_b32 v89, v44, v25, v6
.LBB291_464:                            ;   in Loop: Header=BB291_10 Depth=1
	s_or_b32 exec_lo, exec_lo, s31
.LBB291_465:                            ;   in Loop: Header=BB291_10 Depth=1
	s_delay_alu instid0(SALU_CYCLE_1)
	s_or_b32 exec_lo, exec_lo, s30
.LBB291_466:                            ;   in Loop: Header=BB291_10 Depth=1
	s_delay_alu instid0(SALU_CYCLE_1) | instskip(SKIP_3) | instid1(VALU_DEP_2)
	s_or_b32 exec_lo, exec_lo, s29
	v_lshrrev_b16 v6, 8, v4
	v_dual_mov_b32 v92, 0 :: v_dual_mov_b32 v91, 0
	s_mov_b32 s29, exec_lo
	v_cmpx_ne_u16_e32 0, v6
	s_cbranch_execz .LBB291_474
; %bb.467:                              ;   in Loop: Header=BB291_10 Depth=1
	v_bfrev_b32_e32 v91, 1
	s_mov_b32 s30, exec_lo
	v_cmpx_ne_u16_e32 0x80, v6
	s_cbranch_execz .LBB291_473
; %bb.468:                              ;   in Loop: Header=BB291_10 Depth=1
	v_and_b32_e32 v25, 0xffff, v6
	v_mov_b32_e32 v91, 0x7c010000
	s_mov_b32 s31, exec_lo
	s_delay_alu instid0(VALU_DEP_2) | instskip(NEXT) | instid1(VALU_DEP_1)
	v_and_b32_e32 v50, 0x7f, v25
	v_cmpx_ne_u32_e32 0x7f, v50
	s_cbranch_execz .LBB291_472
; %bb.469:                              ;   in Loop: Header=BB291_10 Depth=1
	v_dual_lshrrev_b32 v45, 3, v50 :: v_dual_bitop2_b32 v44, 7, v25 bitop3:0x40
	s_mov_b32 s33, exec_lo
	v_cmpx_gt_u32_e32 8, v50
; %bb.470:                              ;   in Loop: Header=BB291_10 Depth=1
	s_delay_alu instid0(VALU_DEP_2) | instskip(NEXT) | instid1(VALU_DEP_1)
	v_clz_i32_u32_e32 v44, v44
	v_min_u32_e32 v50, 32, v44
	s_delay_alu instid0(VALU_DEP_1) | instskip(NEXT) | instid1(VALU_DEP_1)
	v_subrev_nc_u32_e32 v44, 28, v50
	v_lshlrev_b64_e32 v[44:45], v44, v[6:7]
	s_delay_alu instid0(VALU_DEP_1)
	v_dual_sub_nc_u32 v45, 29, v50 :: v_dual_bitop2_b32 v44, 7, v44 bitop3:0x40
; %bb.471:                              ;   in Loop: Header=BB291_10 Depth=1
	s_or_b32 exec_lo, exec_lo, s33
	v_lshlrev_b32_e32 v6, 8, v25
	s_delay_alu instid0(VALU_DEP_2) | instskip(NEXT) | instid1(VALU_DEP_1)
	v_lshl_add_u32 v25, v45, 10, 0x2000
	v_and_or_b32 v6, 0x8000, v6, v25
	v_lshlrev_b32_e32 v25, 23, v44
	s_delay_alu instid0(VALU_DEP_1)
	v_lshl_or_b32 v91, v6, 16, v25
.LBB291_472:                            ;   in Loop: Header=BB291_10 Depth=1
	s_or_b32 exec_lo, exec_lo, s31
.LBB291_473:                            ;   in Loop: Header=BB291_10 Depth=1
	s_delay_alu instid0(SALU_CYCLE_1)
	s_or_b32 exec_lo, exec_lo, s30
.LBB291_474:                            ;   in Loop: Header=BB291_10 Depth=1
	s_delay_alu instid0(SALU_CYCLE_1) | instskip(SKIP_2) | instid1(VALU_DEP_1)
	s_or_b32 exec_lo, exec_lo, s29
	v_lshrrev_b32_e32 v6, 16, v4
	s_mov_b32 s29, exec_lo
	v_and_b32_e32 v25, 0xff, v6
	s_delay_alu instid0(VALU_DEP_1)
	v_cmpx_ne_u16_e32 0, v25
	s_cbranch_execz .LBB291_482
; %bb.475:                              ;   in Loop: Header=BB291_10 Depth=1
	v_mov_b32_e32 v92, 0x8000
	s_mov_b32 s30, exec_lo
	v_cmpx_ne_u16_e32 0x80, v25
	s_cbranch_execz .LBB291_481
; %bb.476:                              ;   in Loop: Header=BB291_10 Depth=1
	v_bfe_u32 v45, v4, 16, 7
	v_mov_b32_e32 v92, 0x7c01
	s_mov_b32 s31, exec_lo
	s_delay_alu instid0(VALU_DEP_2)
	v_cmpx_ne_u32_e32 0x7f, v45
	s_cbranch_execz .LBB291_480
; %bb.477:                              ;   in Loop: Header=BB291_10 Depth=1
	v_dual_lshrrev_b32 v44, 3, v45 :: v_dual_bitop2_b32 v25, 7, v6 bitop3:0x40
	s_mov_b32 s33, exec_lo
	v_cmpx_gt_u32_e32 8, v45
; %bb.478:                              ;   in Loop: Header=BB291_10 Depth=1
	s_delay_alu instid0(VALU_DEP_2) | instskip(NEXT) | instid1(VALU_DEP_1)
	v_clz_i32_u32_e32 v25, v25
	v_min_u32_e32 v25, 32, v25
	s_delay_alu instid0(VALU_DEP_1) | instskip(NEXT) | instid1(VALU_DEP_1)
	v_subrev_nc_u32_e32 v44, 28, v25
	v_lshlrev_b64_e32 v[50:51], v44, v[6:7]
	s_delay_alu instid0(VALU_DEP_1)
	v_dual_sub_nc_u32 v44, 29, v25 :: v_dual_bitop2_b32 v25, 7, v50 bitop3:0x40
; %bb.479:                              ;   in Loop: Header=BB291_10 Depth=1
	s_or_b32 exec_lo, exec_lo, s33
	s_delay_alu instid0(VALU_DEP_1) | instskip(NEXT) | instid1(VALU_DEP_2)
	v_dual_lshlrev_b32 v6, 8, v6 :: v_dual_lshlrev_b32 v25, 7, v25
	v_lshl_add_u32 v44, v44, 10, 0x2000
	s_delay_alu instid0(VALU_DEP_2) | instskip(NEXT) | instid1(VALU_DEP_2)
	v_and_b32_e32 v6, 0x8000, v6
	v_and_b32_e32 v44, 0xfc00, v44
	s_delay_alu instid0(VALU_DEP_1)
	v_or3_b32 v92, v6, v44, v25
.LBB291_480:                            ;   in Loop: Header=BB291_10 Depth=1
	s_or_b32 exec_lo, exec_lo, s31
.LBB291_481:                            ;   in Loop: Header=BB291_10 Depth=1
	s_delay_alu instid0(SALU_CYCLE_1)
	s_or_b32 exec_lo, exec_lo, s30
.LBB291_482:                            ;   in Loop: Header=BB291_10 Depth=1
	s_delay_alu instid0(SALU_CYCLE_1)
	s_or_b32 exec_lo, exec_lo, s29
	v_dual_mov_b32 v93, 0 :: v_dual_mov_b32 v94, 0
	s_mov_b32 s29, exec_lo
	v_cmpx_lt_u32_e32 0xffffff, v4
	s_cbranch_execz .LBB291_490
; %bb.483:                              ;   in Loop: Header=BB291_10 Depth=1
	v_lshrrev_b32_e32 v6, 24, v4
	v_bfrev_b32_e32 v94, 1
	s_mov_b32 s30, exec_lo
	s_delay_alu instid0(VALU_DEP_2)
	v_cmpx_ne_u32_e32 0x80, v6
	s_cbranch_execz .LBB291_489
; %bb.484:                              ;   in Loop: Header=BB291_10 Depth=1
	v_and_b32_e32 v45, 0x7f, v6
	v_mov_b32_e32 v94, 0x7c010000
	s_mov_b32 s31, exec_lo
	s_delay_alu instid0(VALU_DEP_2)
	v_cmpx_ne_u32_e32 0x7f, v45
	s_cbranch_execz .LBB291_488
; %bb.485:                              ;   in Loop: Header=BB291_10 Depth=1
	v_dual_lshrrev_b32 v44, 3, v45 :: v_dual_bitop2_b32 v25, 7, v6 bitop3:0x40
	s_mov_b32 s33, exec_lo
	v_cmpx_gt_u32_e32 8, v45
; %bb.486:                              ;   in Loop: Header=BB291_10 Depth=1
	s_delay_alu instid0(VALU_DEP_2) | instskip(NEXT) | instid1(VALU_DEP_1)
	v_clz_i32_u32_e32 v25, v25
	v_min_u32_e32 v25, 32, v25
	s_delay_alu instid0(VALU_DEP_1) | instskip(NEXT) | instid1(VALU_DEP_1)
	v_subrev_nc_u32_e32 v44, 28, v25
	v_lshlrev_b64_e32 v[50:51], v44, v[6:7]
	s_delay_alu instid0(VALU_DEP_1)
	v_dual_sub_nc_u32 v44, 29, v25 :: v_dual_bitop2_b32 v25, 7, v50 bitop3:0x40
; %bb.487:                              ;   in Loop: Header=BB291_10 Depth=1
	s_or_b32 exec_lo, exec_lo, s33
	s_delay_alu instid0(VALU_DEP_1) | instskip(NEXT) | instid1(VALU_DEP_2)
	v_dual_lshlrev_b32 v6, 8, v6 :: v_dual_lshlrev_b32 v25, 23, v25
	v_lshl_add_u32 v44, v44, 10, 0x2000
	s_delay_alu instid0(VALU_DEP_1) | instskip(NEXT) | instid1(VALU_DEP_1)
	v_and_or_b32 v6, 0x8000, v6, v44
	v_lshl_or_b32 v94, v6, 16, v25
.LBB291_488:                            ;   in Loop: Header=BB291_10 Depth=1
	s_or_b32 exec_lo, exec_lo, s31
.LBB291_489:                            ;   in Loop: Header=BB291_10 Depth=1
	s_delay_alu instid0(SALU_CYCLE_1)
	s_or_b32 exec_lo, exec_lo, s30
.LBB291_490:                            ;   in Loop: Header=BB291_10 Depth=1
	s_delay_alu instid0(SALU_CYCLE_1) | instskip(SKIP_3) | instid1(VALU_DEP_2)
	s_or_b32 exec_lo, exec_lo, s29
	v_and_b32_e32 v25, 0xff, v5
	v_mov_b32_e32 v6, v5
	s_mov_b32 s29, exec_lo
	v_cmpx_ne_u16_e32 0, v25
	s_cbranch_execz .LBB291_498
; %bb.491:                              ;   in Loop: Header=BB291_10 Depth=1
	v_mov_b32_e32 v93, 0x8000
	s_mov_b32 s30, exec_lo
	v_cmpx_ne_u16_e32 0x80, v25
	s_cbranch_execz .LBB291_497
; %bb.492:                              ;   in Loop: Header=BB291_10 Depth=1
	v_and_b32_e32 v45, 0x7f, v5
	v_mov_b32_e32 v93, 0x7c01
	s_mov_b32 s31, exec_lo
	s_delay_alu instid0(VALU_DEP_2)
	v_cmpx_ne_u32_e32 0x7f, v45
	s_cbranch_execz .LBB291_496
; %bb.493:                              ;   in Loop: Header=BB291_10 Depth=1
	v_and_b32_e32 v25, 7, v5
	v_lshrrev_b32_e32 v44, 3, v45
	s_mov_b32 s33, exec_lo
	v_cmpx_gt_u32_e32 8, v45
; %bb.494:                              ;   in Loop: Header=BB291_10 Depth=1
	s_delay_alu instid0(VALU_DEP_3) | instskip(NEXT) | instid1(VALU_DEP_1)
	v_clz_i32_u32_e32 v25, v25
	v_min_u32_e32 v25, 32, v25
	s_delay_alu instid0(VALU_DEP_1) | instskip(NEXT) | instid1(VALU_DEP_1)
	v_subrev_nc_u32_e32 v44, 28, v25
	v_lshlrev_b64_e32 v[50:51], v44, v[6:7]
	s_delay_alu instid0(VALU_DEP_1)
	v_dual_sub_nc_u32 v44, 29, v25 :: v_dual_bitop2_b32 v25, 7, v50 bitop3:0x40
; %bb.495:                              ;   in Loop: Header=BB291_10 Depth=1
	s_or_b32 exec_lo, exec_lo, s33
	v_lshlrev_b32_e32 v45, 8, v5
	s_delay_alu instid0(VALU_DEP_2) | instskip(NEXT) | instid1(VALU_DEP_3)
	v_lshl_add_u32 v44, v44, 10, 0x2000
	v_lshlrev_b32_e32 v25, 7, v25
	s_delay_alu instid0(VALU_DEP_3) | instskip(NEXT) | instid1(VALU_DEP_3)
	v_and_b32_e32 v45, 0x8000, v45
	v_and_b32_e32 v44, 0xfc00, v44
	s_delay_alu instid0(VALU_DEP_1)
	v_or3_b32 v93, v45, v44, v25
.LBB291_496:                            ;   in Loop: Header=BB291_10 Depth=1
	s_or_b32 exec_lo, exec_lo, s31
.LBB291_497:                            ;   in Loop: Header=BB291_10 Depth=1
	s_delay_alu instid0(SALU_CYCLE_1)
	s_or_b32 exec_lo, exec_lo, s30
.LBB291_498:                            ;   in Loop: Header=BB291_10 Depth=1
	s_delay_alu instid0(SALU_CYCLE_1) | instskip(SKIP_3) | instid1(VALU_DEP_2)
	s_or_b32 exec_lo, exec_lo, s29
	v_lshrrev_b16 v6, 8, v6
	v_dual_mov_b32 v95, 0 :: v_dual_mov_b32 v96, 0
	s_mov_b32 s29, exec_lo
	v_cmpx_ne_u16_e32 0, v6
	s_cbranch_execz .LBB291_506
; %bb.499:                              ;   in Loop: Header=BB291_10 Depth=1
	v_bfrev_b32_e32 v96, 1
	s_mov_b32 s30, exec_lo
	v_cmpx_ne_u16_e32 0x80, v6
	s_cbranch_execz .LBB291_505
; %bb.500:                              ;   in Loop: Header=BB291_10 Depth=1
	v_and_b32_e32 v25, 0xffff, v6
	v_mov_b32_e32 v96, 0x7c010000
	s_mov_b32 s31, exec_lo
	s_delay_alu instid0(VALU_DEP_2) | instskip(NEXT) | instid1(VALU_DEP_1)
	v_and_b32_e32 v50, 0x7f, v25
	v_cmpx_ne_u32_e32 0x7f, v50
	s_cbranch_execz .LBB291_504
; %bb.501:                              ;   in Loop: Header=BB291_10 Depth=1
	v_dual_lshrrev_b32 v45, 3, v50 :: v_dual_bitop2_b32 v44, 7, v25 bitop3:0x40
	s_mov_b32 s33, exec_lo
	v_cmpx_gt_u32_e32 8, v50
; %bb.502:                              ;   in Loop: Header=BB291_10 Depth=1
	s_delay_alu instid0(VALU_DEP_2) | instskip(NEXT) | instid1(VALU_DEP_1)
	v_clz_i32_u32_e32 v44, v44
	v_min_u32_e32 v50, 32, v44
	s_delay_alu instid0(VALU_DEP_1) | instskip(NEXT) | instid1(VALU_DEP_1)
	v_subrev_nc_u32_e32 v44, 28, v50
	v_lshlrev_b64_e32 v[44:45], v44, v[6:7]
	s_delay_alu instid0(VALU_DEP_1)
	v_dual_sub_nc_u32 v45, 29, v50 :: v_dual_bitop2_b32 v44, 7, v44 bitop3:0x40
; %bb.503:                              ;   in Loop: Header=BB291_10 Depth=1
	s_or_b32 exec_lo, exec_lo, s33
	v_lshlrev_b32_e32 v6, 8, v25
	s_delay_alu instid0(VALU_DEP_2) | instskip(NEXT) | instid1(VALU_DEP_1)
	v_lshl_add_u32 v25, v45, 10, 0x2000
	v_and_or_b32 v6, 0x8000, v6, v25
	v_lshlrev_b32_e32 v25, 23, v44
	s_delay_alu instid0(VALU_DEP_1)
	v_lshl_or_b32 v96, v6, 16, v25
.LBB291_504:                            ;   in Loop: Header=BB291_10 Depth=1
	s_or_b32 exec_lo, exec_lo, s31
.LBB291_505:                            ;   in Loop: Header=BB291_10 Depth=1
	s_delay_alu instid0(SALU_CYCLE_1)
	s_or_b32 exec_lo, exec_lo, s30
.LBB291_506:                            ;   in Loop: Header=BB291_10 Depth=1
	s_delay_alu instid0(SALU_CYCLE_1) | instskip(SKIP_2) | instid1(VALU_DEP_1)
	s_or_b32 exec_lo, exec_lo, s29
	v_lshrrev_b32_e32 v6, 16, v5
	s_mov_b32 s29, exec_lo
	v_and_b32_e32 v25, 0xff, v6
	s_delay_alu instid0(VALU_DEP_1)
	v_cmpx_ne_u16_e32 0, v25
	s_cbranch_execz .LBB291_514
; %bb.507:                              ;   in Loop: Header=BB291_10 Depth=1
	v_mov_b32_e32 v95, 0x8000
	s_mov_b32 s30, exec_lo
	v_cmpx_ne_u16_e32 0x80, v25
	s_cbranch_execz .LBB291_513
; %bb.508:                              ;   in Loop: Header=BB291_10 Depth=1
	v_bfe_u32 v45, v5, 16, 7
	v_mov_b32_e32 v95, 0x7c01
	s_mov_b32 s31, exec_lo
	s_delay_alu instid0(VALU_DEP_2)
	v_cmpx_ne_u32_e32 0x7f, v45
	s_cbranch_execz .LBB291_512
; %bb.509:                              ;   in Loop: Header=BB291_10 Depth=1
	v_dual_lshrrev_b32 v44, 3, v45 :: v_dual_bitop2_b32 v25, 7, v6 bitop3:0x40
	s_mov_b32 s33, exec_lo
	v_cmpx_gt_u32_e32 8, v45
; %bb.510:                              ;   in Loop: Header=BB291_10 Depth=1
	s_delay_alu instid0(VALU_DEP_2) | instskip(NEXT) | instid1(VALU_DEP_1)
	v_clz_i32_u32_e32 v25, v25
	v_min_u32_e32 v25, 32, v25
	s_delay_alu instid0(VALU_DEP_1) | instskip(NEXT) | instid1(VALU_DEP_1)
	v_subrev_nc_u32_e32 v44, 28, v25
	v_lshlrev_b64_e32 v[50:51], v44, v[6:7]
	s_delay_alu instid0(VALU_DEP_1)
	v_dual_sub_nc_u32 v44, 29, v25 :: v_dual_bitop2_b32 v25, 7, v50 bitop3:0x40
; %bb.511:                              ;   in Loop: Header=BB291_10 Depth=1
	s_or_b32 exec_lo, exec_lo, s33
	s_delay_alu instid0(VALU_DEP_1) | instskip(NEXT) | instid1(VALU_DEP_2)
	v_dual_lshlrev_b32 v6, 8, v6 :: v_dual_lshlrev_b32 v25, 7, v25
	v_lshl_add_u32 v44, v44, 10, 0x2000
	s_delay_alu instid0(VALU_DEP_2) | instskip(NEXT) | instid1(VALU_DEP_2)
	v_and_b32_e32 v6, 0x8000, v6
	v_and_b32_e32 v44, 0xfc00, v44
	s_delay_alu instid0(VALU_DEP_1)
	v_or3_b32 v95, v6, v44, v25
.LBB291_512:                            ;   in Loop: Header=BB291_10 Depth=1
	s_or_b32 exec_lo, exec_lo, s31
.LBB291_513:                            ;   in Loop: Header=BB291_10 Depth=1
	s_delay_alu instid0(SALU_CYCLE_1)
	s_or_b32 exec_lo, exec_lo, s30
.LBB291_514:                            ;   in Loop: Header=BB291_10 Depth=1
	s_delay_alu instid0(SALU_CYCLE_1)
	s_or_b32 exec_lo, exec_lo, s29
	v_dual_mov_b32 v97, 0 :: v_dual_mov_b32 v107, 0
	s_mov_b32 s29, exec_lo
	v_cmpx_lt_u64_e64 s[20:21], v[4:5]
	s_cbranch_execz .LBB291_522
; %bb.515:                              ;   in Loop: Header=BB291_10 Depth=1
	v_lshrrev_b32_e32 v6, 24, v5
	v_bfrev_b32_e32 v107, 1
	s_mov_b32 s30, exec_lo
	s_delay_alu instid0(VALU_DEP_2)
	v_cmpx_ne_u32_e32 0x80, v6
	s_cbranch_execz .LBB291_521
; %bb.516:                              ;   in Loop: Header=BB291_10 Depth=1
	v_and_b32_e32 v25, 0x7f, v6
	v_mov_b32_e32 v107, 0x7c010000
	s_mov_b32 s31, exec_lo
	s_delay_alu instid0(VALU_DEP_2)
	v_cmpx_ne_u32_e32 0x7f, v25
	s_cbranch_execz .LBB291_520
; %bb.517:                              ;   in Loop: Header=BB291_10 Depth=1
	v_dual_lshrrev_b32 v5, 3, v25 :: v_dual_bitop2_b32 v4, 7, v6 bitop3:0x40
	s_mov_b32 s33, exec_lo
	v_cmpx_gt_u32_e32 8, v25
; %bb.518:                              ;   in Loop: Header=BB291_10 Depth=1
	s_delay_alu instid0(VALU_DEP_2) | instskip(NEXT) | instid1(VALU_DEP_1)
	v_clz_i32_u32_e32 v4, v4
	v_min_u32_e32 v25, 32, v4
	s_delay_alu instid0(VALU_DEP_1) | instskip(NEXT) | instid1(VALU_DEP_1)
	v_subrev_nc_u32_e32 v4, 28, v25
	v_lshlrev_b64_e32 v[4:5], v4, v[6:7]
	s_delay_alu instid0(VALU_DEP_1)
	v_dual_sub_nc_u32 v5, 29, v25 :: v_dual_bitop2_b32 v4, 7, v4 bitop3:0x40
; %bb.519:                              ;   in Loop: Header=BB291_10 Depth=1
	s_or_b32 exec_lo, exec_lo, s33
	s_delay_alu instid0(VALU_DEP_1) | instskip(NEXT) | instid1(VALU_DEP_2)
	v_dual_lshlrev_b32 v6, 8, v6 :: v_dual_lshlrev_b32 v4, 23, v4
	v_lshl_add_u32 v5, v5, 10, 0x2000
	s_delay_alu instid0(VALU_DEP_1) | instskip(NEXT) | instid1(VALU_DEP_1)
	v_and_or_b32 v5, 0x8000, v6, v5
	v_lshl_or_b32 v107, v5, 16, v4
.LBB291_520:                            ;   in Loop: Header=BB291_10 Depth=1
	s_or_b32 exec_lo, exec_lo, s31
.LBB291_521:                            ;   in Loop: Header=BB291_10 Depth=1
	s_delay_alu instid0(SALU_CYCLE_1)
	s_or_b32 exec_lo, exec_lo, s30
.LBB291_522:                            ;   in Loop: Header=BB291_10 Depth=1
	s_delay_alu instid0(SALU_CYCLE_1)
	s_or_b32 exec_lo, exec_lo, s29
	global_load_b64 v[4:5], v[2:3], off offset:2048
	s_mov_b32 s29, exec_lo
	s_wait_loadcnt 0x0
	v_and_b32_e32 v6, 0xff, v4
	s_wait_xcnt 0x0
	s_delay_alu instid0(VALU_DEP_1)
	v_cmpx_ne_u16_e32 0, v6
	s_cbranch_execz .LBB291_530
; %bb.523:                              ;   in Loop: Header=BB291_10 Depth=1
	v_mov_b32_e32 v97, 0x8000
	s_mov_b32 s30, exec_lo
	v_cmpx_ne_u16_e32 0x80, v6
	s_cbranch_execz .LBB291_529
; %bb.524:                              ;   in Loop: Header=BB291_10 Depth=1
	v_and_b32_e32 v44, 0x7f, v4
	v_mov_b32_e32 v97, 0x7c01
	s_mov_b32 s31, exec_lo
	s_delay_alu instid0(VALU_DEP_2)
	v_cmpx_ne_u32_e32 0x7f, v44
	s_cbranch_execz .LBB291_528
; %bb.525:                              ;   in Loop: Header=BB291_10 Depth=1
	v_and_b32_e32 v6, 7, v4
	v_lshrrev_b32_e32 v25, 3, v44
	s_mov_b32 s33, exec_lo
	v_cmpx_gt_u32_e32 8, v44
; %bb.526:                              ;   in Loop: Header=BB291_10 Depth=1
	s_delay_alu instid0(VALU_DEP_3) | instskip(NEXT) | instid1(VALU_DEP_1)
	v_clz_i32_u32_e32 v6, v6
	v_min_u32_e32 v6, 32, v6
	s_delay_alu instid0(VALU_DEP_1) | instskip(NEXT) | instid1(VALU_DEP_1)
	v_subrev_nc_u32_e32 v25, 28, v6
	v_lshlrev_b64_e32 v[44:45], v25, v[4:5]
	s_delay_alu instid0(VALU_DEP_1)
	v_dual_sub_nc_u32 v25, 29, v6 :: v_dual_bitop2_b32 v6, 7, v44 bitop3:0x40
; %bb.527:                              ;   in Loop: Header=BB291_10 Depth=1
	s_or_b32 exec_lo, exec_lo, s33
	s_delay_alu instid0(VALU_DEP_1) | instskip(NEXT) | instid1(VALU_DEP_2)
	v_dual_lshlrev_b32 v44, 8, v4 :: v_dual_lshlrev_b32 v6, 7, v6
	v_lshl_add_u32 v25, v25, 10, 0x2000
	s_delay_alu instid0(VALU_DEP_2) | instskip(NEXT) | instid1(VALU_DEP_2)
	v_and_b32_e32 v44, 0x8000, v44
	v_and_b32_e32 v25, 0xfc00, v25
	s_delay_alu instid0(VALU_DEP_1)
	v_or3_b32 v97, v44, v25, v6
.LBB291_528:                            ;   in Loop: Header=BB291_10 Depth=1
	s_or_b32 exec_lo, exec_lo, s31
.LBB291_529:                            ;   in Loop: Header=BB291_10 Depth=1
	s_delay_alu instid0(SALU_CYCLE_1)
	s_or_b32 exec_lo, exec_lo, s30
.LBB291_530:                            ;   in Loop: Header=BB291_10 Depth=1
	s_delay_alu instid0(SALU_CYCLE_1) | instskip(SKIP_3) | instid1(VALU_DEP_2)
	s_or_b32 exec_lo, exec_lo, s29
	v_lshrrev_b16 v6, 8, v4
	v_dual_mov_b32 v106, 0 :: v_dual_mov_b32 v109, 0
	s_mov_b32 s29, exec_lo
	v_cmpx_ne_u16_e32 0, v6
	s_cbranch_execz .LBB291_538
; %bb.531:                              ;   in Loop: Header=BB291_10 Depth=1
	v_bfrev_b32_e32 v109, 1
	s_mov_b32 s30, exec_lo
	v_cmpx_ne_u16_e32 0x80, v6
	s_cbranch_execz .LBB291_537
; %bb.532:                              ;   in Loop: Header=BB291_10 Depth=1
	v_and_b32_e32 v25, 0xffff, v6
	v_mov_b32_e32 v109, 0x7c010000
	s_mov_b32 s31, exec_lo
	s_delay_alu instid0(VALU_DEP_2) | instskip(NEXT) | instid1(VALU_DEP_1)
	v_and_b32_e32 v50, 0x7f, v25
	v_cmpx_ne_u32_e32 0x7f, v50
	s_cbranch_execz .LBB291_536
; %bb.533:                              ;   in Loop: Header=BB291_10 Depth=1
	v_dual_lshrrev_b32 v45, 3, v50 :: v_dual_bitop2_b32 v44, 7, v25 bitop3:0x40
	s_mov_b32 s33, exec_lo
	v_cmpx_gt_u32_e32 8, v50
; %bb.534:                              ;   in Loop: Header=BB291_10 Depth=1
	s_delay_alu instid0(VALU_DEP_2) | instskip(NEXT) | instid1(VALU_DEP_1)
	v_clz_i32_u32_e32 v44, v44
	v_min_u32_e32 v50, 32, v44
	s_delay_alu instid0(VALU_DEP_1) | instskip(NEXT) | instid1(VALU_DEP_1)
	v_subrev_nc_u32_e32 v44, 28, v50
	v_lshlrev_b64_e32 v[44:45], v44, v[6:7]
	s_delay_alu instid0(VALU_DEP_1)
	v_dual_sub_nc_u32 v45, 29, v50 :: v_dual_bitop2_b32 v44, 7, v44 bitop3:0x40
; %bb.535:                              ;   in Loop: Header=BB291_10 Depth=1
	s_or_b32 exec_lo, exec_lo, s33
	v_lshlrev_b32_e32 v6, 8, v25
	s_delay_alu instid0(VALU_DEP_2) | instskip(NEXT) | instid1(VALU_DEP_1)
	v_lshl_add_u32 v25, v45, 10, 0x2000
	v_and_or_b32 v6, 0x8000, v6, v25
	v_lshlrev_b32_e32 v25, 23, v44
	s_delay_alu instid0(VALU_DEP_1)
	v_lshl_or_b32 v109, v6, 16, v25
.LBB291_536:                            ;   in Loop: Header=BB291_10 Depth=1
	s_or_b32 exec_lo, exec_lo, s31
.LBB291_537:                            ;   in Loop: Header=BB291_10 Depth=1
	s_delay_alu instid0(SALU_CYCLE_1)
	s_or_b32 exec_lo, exec_lo, s30
.LBB291_538:                            ;   in Loop: Header=BB291_10 Depth=1
	s_delay_alu instid0(SALU_CYCLE_1) | instskip(SKIP_2) | instid1(VALU_DEP_1)
	s_or_b32 exec_lo, exec_lo, s29
	v_lshrrev_b32_e32 v6, 16, v4
	s_mov_b32 s29, exec_lo
	v_and_b32_e32 v25, 0xff, v6
	s_delay_alu instid0(VALU_DEP_1)
	v_cmpx_ne_u16_e32 0, v25
	s_cbranch_execz .LBB291_546
; %bb.539:                              ;   in Loop: Header=BB291_10 Depth=1
	v_mov_b32_e32 v106, 0x8000
	s_mov_b32 s30, exec_lo
	v_cmpx_ne_u16_e32 0x80, v25
	s_cbranch_execz .LBB291_545
; %bb.540:                              ;   in Loop: Header=BB291_10 Depth=1
	v_bfe_u32 v45, v4, 16, 7
	v_mov_b32_e32 v106, 0x7c01
	s_mov_b32 s31, exec_lo
	s_delay_alu instid0(VALU_DEP_2)
	v_cmpx_ne_u32_e32 0x7f, v45
	s_cbranch_execz .LBB291_544
; %bb.541:                              ;   in Loop: Header=BB291_10 Depth=1
	v_dual_lshrrev_b32 v44, 3, v45 :: v_dual_bitop2_b32 v25, 7, v6 bitop3:0x40
	s_mov_b32 s33, exec_lo
	v_cmpx_gt_u32_e32 8, v45
; %bb.542:                              ;   in Loop: Header=BB291_10 Depth=1
	s_delay_alu instid0(VALU_DEP_2) | instskip(NEXT) | instid1(VALU_DEP_1)
	v_clz_i32_u32_e32 v25, v25
	v_min_u32_e32 v25, 32, v25
	s_delay_alu instid0(VALU_DEP_1) | instskip(NEXT) | instid1(VALU_DEP_1)
	v_subrev_nc_u32_e32 v44, 28, v25
	v_lshlrev_b64_e32 v[50:51], v44, v[6:7]
	s_delay_alu instid0(VALU_DEP_1)
	v_dual_sub_nc_u32 v44, 29, v25 :: v_dual_bitop2_b32 v25, 7, v50 bitop3:0x40
; %bb.543:                              ;   in Loop: Header=BB291_10 Depth=1
	s_or_b32 exec_lo, exec_lo, s33
	s_delay_alu instid0(VALU_DEP_1) | instskip(NEXT) | instid1(VALU_DEP_2)
	v_dual_lshlrev_b32 v6, 8, v6 :: v_dual_lshlrev_b32 v25, 7, v25
	v_lshl_add_u32 v44, v44, 10, 0x2000
	s_delay_alu instid0(VALU_DEP_2) | instskip(NEXT) | instid1(VALU_DEP_2)
	v_and_b32_e32 v6, 0x8000, v6
	v_and_b32_e32 v44, 0xfc00, v44
	s_delay_alu instid0(VALU_DEP_1)
	v_or3_b32 v106, v6, v44, v25
.LBB291_544:                            ;   in Loop: Header=BB291_10 Depth=1
	s_or_b32 exec_lo, exec_lo, s31
.LBB291_545:                            ;   in Loop: Header=BB291_10 Depth=1
	s_delay_alu instid0(SALU_CYCLE_1)
	s_or_b32 exec_lo, exec_lo, s30
.LBB291_546:                            ;   in Loop: Header=BB291_10 Depth=1
	s_delay_alu instid0(SALU_CYCLE_1)
	s_or_b32 exec_lo, exec_lo, s29
	v_dual_mov_b32 v108, 0 :: v_dual_mov_b32 v110, 0
	s_mov_b32 s29, exec_lo
	v_cmpx_lt_u32_e32 0xffffff, v4
	s_cbranch_execz .LBB291_554
; %bb.547:                              ;   in Loop: Header=BB291_10 Depth=1
	v_lshrrev_b32_e32 v6, 24, v4
	v_bfrev_b32_e32 v110, 1
	s_mov_b32 s30, exec_lo
	s_delay_alu instid0(VALU_DEP_2)
	v_cmpx_ne_u32_e32 0x80, v6
	s_cbranch_execz .LBB291_553
; %bb.548:                              ;   in Loop: Header=BB291_10 Depth=1
	v_and_b32_e32 v45, 0x7f, v6
	v_mov_b32_e32 v110, 0x7c010000
	s_mov_b32 s31, exec_lo
	s_delay_alu instid0(VALU_DEP_2)
	v_cmpx_ne_u32_e32 0x7f, v45
	s_cbranch_execz .LBB291_552
; %bb.549:                              ;   in Loop: Header=BB291_10 Depth=1
	v_dual_lshrrev_b32 v44, 3, v45 :: v_dual_bitop2_b32 v25, 7, v6 bitop3:0x40
	s_mov_b32 s33, exec_lo
	v_cmpx_gt_u32_e32 8, v45
; %bb.550:                              ;   in Loop: Header=BB291_10 Depth=1
	s_delay_alu instid0(VALU_DEP_2) | instskip(NEXT) | instid1(VALU_DEP_1)
	v_clz_i32_u32_e32 v25, v25
	v_min_u32_e32 v25, 32, v25
	s_delay_alu instid0(VALU_DEP_1) | instskip(NEXT) | instid1(VALU_DEP_1)
	v_subrev_nc_u32_e32 v44, 28, v25
	v_lshlrev_b64_e32 v[50:51], v44, v[6:7]
	s_delay_alu instid0(VALU_DEP_1)
	v_dual_sub_nc_u32 v44, 29, v25 :: v_dual_bitop2_b32 v25, 7, v50 bitop3:0x40
; %bb.551:                              ;   in Loop: Header=BB291_10 Depth=1
	s_or_b32 exec_lo, exec_lo, s33
	s_delay_alu instid0(VALU_DEP_1) | instskip(NEXT) | instid1(VALU_DEP_2)
	v_dual_lshlrev_b32 v6, 8, v6 :: v_dual_lshlrev_b32 v25, 23, v25
	v_lshl_add_u32 v44, v44, 10, 0x2000
	s_delay_alu instid0(VALU_DEP_1) | instskip(NEXT) | instid1(VALU_DEP_1)
	v_and_or_b32 v6, 0x8000, v6, v44
	v_lshl_or_b32 v110, v6, 16, v25
.LBB291_552:                            ;   in Loop: Header=BB291_10 Depth=1
	s_or_b32 exec_lo, exec_lo, s31
.LBB291_553:                            ;   in Loop: Header=BB291_10 Depth=1
	s_delay_alu instid0(SALU_CYCLE_1)
	s_or_b32 exec_lo, exec_lo, s30
.LBB291_554:                            ;   in Loop: Header=BB291_10 Depth=1
	s_delay_alu instid0(SALU_CYCLE_1) | instskip(SKIP_3) | instid1(VALU_DEP_2)
	s_or_b32 exec_lo, exec_lo, s29
	v_and_b32_e32 v25, 0xff, v5
	v_mov_b32_e32 v6, v5
	s_mov_b32 s29, exec_lo
	v_cmpx_ne_u16_e32 0, v25
	s_cbranch_execz .LBB291_562
; %bb.555:                              ;   in Loop: Header=BB291_10 Depth=1
	v_mov_b32_e32 v108, 0x8000
	s_mov_b32 s30, exec_lo
	v_cmpx_ne_u16_e32 0x80, v25
	s_cbranch_execz .LBB291_561
; %bb.556:                              ;   in Loop: Header=BB291_10 Depth=1
	v_and_b32_e32 v45, 0x7f, v5
	v_mov_b32_e32 v108, 0x7c01
	s_mov_b32 s31, exec_lo
	s_delay_alu instid0(VALU_DEP_2)
	v_cmpx_ne_u32_e32 0x7f, v45
	s_cbranch_execz .LBB291_560
; %bb.557:                              ;   in Loop: Header=BB291_10 Depth=1
	v_and_b32_e32 v25, 7, v5
	v_lshrrev_b32_e32 v44, 3, v45
	s_mov_b32 s33, exec_lo
	v_cmpx_gt_u32_e32 8, v45
; %bb.558:                              ;   in Loop: Header=BB291_10 Depth=1
	s_delay_alu instid0(VALU_DEP_3) | instskip(NEXT) | instid1(VALU_DEP_1)
	v_clz_i32_u32_e32 v25, v25
	v_min_u32_e32 v25, 32, v25
	s_delay_alu instid0(VALU_DEP_1) | instskip(NEXT) | instid1(VALU_DEP_1)
	v_subrev_nc_u32_e32 v44, 28, v25
	v_lshlrev_b64_e32 v[50:51], v44, v[6:7]
	s_delay_alu instid0(VALU_DEP_1)
	v_dual_sub_nc_u32 v44, 29, v25 :: v_dual_bitop2_b32 v25, 7, v50 bitop3:0x40
; %bb.559:                              ;   in Loop: Header=BB291_10 Depth=1
	s_or_b32 exec_lo, exec_lo, s33
	v_lshlrev_b32_e32 v45, 8, v5
	s_delay_alu instid0(VALU_DEP_2) | instskip(NEXT) | instid1(VALU_DEP_3)
	v_lshl_add_u32 v44, v44, 10, 0x2000
	v_lshlrev_b32_e32 v25, 7, v25
	s_delay_alu instid0(VALU_DEP_3) | instskip(NEXT) | instid1(VALU_DEP_3)
	v_and_b32_e32 v45, 0x8000, v45
	v_and_b32_e32 v44, 0xfc00, v44
	s_delay_alu instid0(VALU_DEP_1)
	v_or3_b32 v108, v45, v44, v25
.LBB291_560:                            ;   in Loop: Header=BB291_10 Depth=1
	s_or_b32 exec_lo, exec_lo, s31
.LBB291_561:                            ;   in Loop: Header=BB291_10 Depth=1
	s_delay_alu instid0(SALU_CYCLE_1)
	s_or_b32 exec_lo, exec_lo, s30
.LBB291_562:                            ;   in Loop: Header=BB291_10 Depth=1
	s_delay_alu instid0(SALU_CYCLE_1) | instskip(SKIP_3) | instid1(VALU_DEP_2)
	s_or_b32 exec_lo, exec_lo, s29
	v_lshrrev_b16 v6, 8, v6
	v_dual_mov_b32 v111, 0 :: v_dual_mov_b32 v112, 0
	s_mov_b32 s29, exec_lo
	v_cmpx_ne_u16_e32 0, v6
	s_cbranch_execz .LBB291_570
; %bb.563:                              ;   in Loop: Header=BB291_10 Depth=1
	v_bfrev_b32_e32 v112, 1
	s_mov_b32 s30, exec_lo
	v_cmpx_ne_u16_e32 0x80, v6
	s_cbranch_execz .LBB291_569
; %bb.564:                              ;   in Loop: Header=BB291_10 Depth=1
	v_and_b32_e32 v25, 0xffff, v6
	v_mov_b32_e32 v112, 0x7c010000
	s_mov_b32 s31, exec_lo
	s_delay_alu instid0(VALU_DEP_2) | instskip(NEXT) | instid1(VALU_DEP_1)
	v_and_b32_e32 v50, 0x7f, v25
	v_cmpx_ne_u32_e32 0x7f, v50
	s_cbranch_execz .LBB291_568
; %bb.565:                              ;   in Loop: Header=BB291_10 Depth=1
	v_dual_lshrrev_b32 v45, 3, v50 :: v_dual_bitop2_b32 v44, 7, v25 bitop3:0x40
	s_mov_b32 s33, exec_lo
	v_cmpx_gt_u32_e32 8, v50
; %bb.566:                              ;   in Loop: Header=BB291_10 Depth=1
	s_delay_alu instid0(VALU_DEP_2) | instskip(NEXT) | instid1(VALU_DEP_1)
	v_clz_i32_u32_e32 v44, v44
	v_min_u32_e32 v50, 32, v44
	s_delay_alu instid0(VALU_DEP_1) | instskip(NEXT) | instid1(VALU_DEP_1)
	v_subrev_nc_u32_e32 v44, 28, v50
	v_lshlrev_b64_e32 v[44:45], v44, v[6:7]
	s_delay_alu instid0(VALU_DEP_1)
	v_dual_sub_nc_u32 v45, 29, v50 :: v_dual_bitop2_b32 v44, 7, v44 bitop3:0x40
; %bb.567:                              ;   in Loop: Header=BB291_10 Depth=1
	s_or_b32 exec_lo, exec_lo, s33
	v_lshlrev_b32_e32 v6, 8, v25
	s_delay_alu instid0(VALU_DEP_2) | instskip(NEXT) | instid1(VALU_DEP_1)
	v_lshl_add_u32 v25, v45, 10, 0x2000
	v_and_or_b32 v6, 0x8000, v6, v25
	v_lshlrev_b32_e32 v25, 23, v44
	s_delay_alu instid0(VALU_DEP_1)
	v_lshl_or_b32 v112, v6, 16, v25
.LBB291_568:                            ;   in Loop: Header=BB291_10 Depth=1
	s_or_b32 exec_lo, exec_lo, s31
.LBB291_569:                            ;   in Loop: Header=BB291_10 Depth=1
	s_delay_alu instid0(SALU_CYCLE_1)
	s_or_b32 exec_lo, exec_lo, s30
.LBB291_570:                            ;   in Loop: Header=BB291_10 Depth=1
	s_delay_alu instid0(SALU_CYCLE_1) | instskip(SKIP_2) | instid1(VALU_DEP_1)
	s_or_b32 exec_lo, exec_lo, s29
	v_lshrrev_b32_e32 v6, 16, v5
	s_mov_b32 s29, exec_lo
	v_and_b32_e32 v25, 0xff, v6
	s_delay_alu instid0(VALU_DEP_1)
	v_cmpx_ne_u16_e32 0, v25
	s_cbranch_execz .LBB291_578
; %bb.571:                              ;   in Loop: Header=BB291_10 Depth=1
	v_mov_b32_e32 v111, 0x8000
	s_mov_b32 s30, exec_lo
	v_cmpx_ne_u16_e32 0x80, v25
	s_cbranch_execz .LBB291_577
; %bb.572:                              ;   in Loop: Header=BB291_10 Depth=1
	v_bfe_u32 v45, v5, 16, 7
	v_mov_b32_e32 v111, 0x7c01
	s_mov_b32 s31, exec_lo
	s_delay_alu instid0(VALU_DEP_2)
	v_cmpx_ne_u32_e32 0x7f, v45
	s_cbranch_execz .LBB291_576
; %bb.573:                              ;   in Loop: Header=BB291_10 Depth=1
	v_dual_lshrrev_b32 v44, 3, v45 :: v_dual_bitop2_b32 v25, 7, v6 bitop3:0x40
	s_mov_b32 s33, exec_lo
	v_cmpx_gt_u32_e32 8, v45
; %bb.574:                              ;   in Loop: Header=BB291_10 Depth=1
	s_delay_alu instid0(VALU_DEP_2) | instskip(NEXT) | instid1(VALU_DEP_1)
	v_clz_i32_u32_e32 v25, v25
	v_min_u32_e32 v25, 32, v25
	s_delay_alu instid0(VALU_DEP_1) | instskip(NEXT) | instid1(VALU_DEP_1)
	v_subrev_nc_u32_e32 v44, 28, v25
	v_lshlrev_b64_e32 v[50:51], v44, v[6:7]
	s_delay_alu instid0(VALU_DEP_1)
	v_dual_sub_nc_u32 v44, 29, v25 :: v_dual_bitop2_b32 v25, 7, v50 bitop3:0x40
; %bb.575:                              ;   in Loop: Header=BB291_10 Depth=1
	s_or_b32 exec_lo, exec_lo, s33
	s_delay_alu instid0(VALU_DEP_1) | instskip(NEXT) | instid1(VALU_DEP_2)
	v_dual_lshlrev_b32 v6, 8, v6 :: v_dual_lshlrev_b32 v25, 7, v25
	v_lshl_add_u32 v44, v44, 10, 0x2000
	s_delay_alu instid0(VALU_DEP_2) | instskip(NEXT) | instid1(VALU_DEP_2)
	v_and_b32_e32 v6, 0x8000, v6
	v_and_b32_e32 v44, 0xfc00, v44
	s_delay_alu instid0(VALU_DEP_1)
	v_or3_b32 v111, v6, v44, v25
.LBB291_576:                            ;   in Loop: Header=BB291_10 Depth=1
	s_or_b32 exec_lo, exec_lo, s31
.LBB291_577:                            ;   in Loop: Header=BB291_10 Depth=1
	s_delay_alu instid0(SALU_CYCLE_1)
	s_or_b32 exec_lo, exec_lo, s30
.LBB291_578:                            ;   in Loop: Header=BB291_10 Depth=1
	s_delay_alu instid0(SALU_CYCLE_1)
	s_or_b32 exec_lo, exec_lo, s29
	v_dual_mov_b32 v113, 0 :: v_dual_mov_b32 v114, 0
	s_mov_b32 s29, exec_lo
	v_cmpx_lt_u64_e64 s[20:21], v[4:5]
	s_cbranch_execz .LBB291_586
; %bb.579:                              ;   in Loop: Header=BB291_10 Depth=1
	v_lshrrev_b32_e32 v6, 24, v5
	v_bfrev_b32_e32 v114, 1
	s_mov_b32 s30, exec_lo
	s_delay_alu instid0(VALU_DEP_2)
	v_cmpx_ne_u32_e32 0x80, v6
	s_cbranch_execz .LBB291_585
; %bb.580:                              ;   in Loop: Header=BB291_10 Depth=1
	v_and_b32_e32 v25, 0x7f, v6
	v_mov_b32_e32 v114, 0x7c010000
	s_mov_b32 s31, exec_lo
	s_delay_alu instid0(VALU_DEP_2)
	v_cmpx_ne_u32_e32 0x7f, v25
	s_cbranch_execz .LBB291_584
; %bb.581:                              ;   in Loop: Header=BB291_10 Depth=1
	v_dual_lshrrev_b32 v5, 3, v25 :: v_dual_bitop2_b32 v4, 7, v6 bitop3:0x40
	s_mov_b32 s33, exec_lo
	v_cmpx_gt_u32_e32 8, v25
; %bb.582:                              ;   in Loop: Header=BB291_10 Depth=1
	s_delay_alu instid0(VALU_DEP_2) | instskip(NEXT) | instid1(VALU_DEP_1)
	v_clz_i32_u32_e32 v4, v4
	v_min_u32_e32 v25, 32, v4
	s_delay_alu instid0(VALU_DEP_1) | instskip(NEXT) | instid1(VALU_DEP_1)
	v_subrev_nc_u32_e32 v4, 28, v25
	v_lshlrev_b64_e32 v[4:5], v4, v[6:7]
	s_delay_alu instid0(VALU_DEP_1)
	v_dual_sub_nc_u32 v5, 29, v25 :: v_dual_bitop2_b32 v4, 7, v4 bitop3:0x40
; %bb.583:                              ;   in Loop: Header=BB291_10 Depth=1
	s_or_b32 exec_lo, exec_lo, s33
	s_delay_alu instid0(VALU_DEP_1) | instskip(NEXT) | instid1(VALU_DEP_2)
	v_dual_lshlrev_b32 v6, 8, v6 :: v_dual_lshlrev_b32 v4, 23, v4
	v_lshl_add_u32 v5, v5, 10, 0x2000
	s_delay_alu instid0(VALU_DEP_1) | instskip(NEXT) | instid1(VALU_DEP_1)
	v_and_or_b32 v5, 0x8000, v6, v5
	v_lshl_or_b32 v114, v5, 16, v4
.LBB291_584:                            ;   in Loop: Header=BB291_10 Depth=1
	s_or_b32 exec_lo, exec_lo, s31
.LBB291_585:                            ;   in Loop: Header=BB291_10 Depth=1
	s_delay_alu instid0(SALU_CYCLE_1)
	s_or_b32 exec_lo, exec_lo, s30
.LBB291_586:                            ;   in Loop: Header=BB291_10 Depth=1
	s_delay_alu instid0(SALU_CYCLE_1)
	s_or_b32 exec_lo, exec_lo, s29
	global_load_b64 v[2:3], v[2:3], off offset:2056
	s_mov_b32 s29, exec_lo
	s_wait_loadcnt 0x0
	v_and_b32_e32 v4, 0xff, v2
	s_wait_xcnt 0x0
	s_delay_alu instid0(VALU_DEP_1)
	v_cmpx_ne_u16_e32 0, v4
	s_cbranch_execz .LBB291_594
; %bb.587:                              ;   in Loop: Header=BB291_10 Depth=1
	v_mov_b32_e32 v113, 0x8000
	s_mov_b32 s30, exec_lo
	v_cmpx_ne_u16_e32 0x80, v4
	s_cbranch_execz .LBB291_593
; %bb.588:                              ;   in Loop: Header=BB291_10 Depth=1
	v_and_b32_e32 v6, 0x7f, v2
	v_mov_b32_e32 v113, 0x7c01
	s_mov_b32 s31, exec_lo
	s_delay_alu instid0(VALU_DEP_2)
	v_cmpx_ne_u32_e32 0x7f, v6
	s_cbranch_execz .LBB291_592
; %bb.589:                              ;   in Loop: Header=BB291_10 Depth=1
	v_and_b32_e32 v4, 7, v2
	v_lshrrev_b32_e32 v5, 3, v6
	s_mov_b32 s33, exec_lo
	v_cmpx_gt_u32_e32 8, v6
; %bb.590:                              ;   in Loop: Header=BB291_10 Depth=1
	s_delay_alu instid0(VALU_DEP_3) | instskip(NEXT) | instid1(VALU_DEP_1)
	v_clz_i32_u32_e32 v4, v4
	v_min_u32_e32 v6, 32, v4
	s_delay_alu instid0(VALU_DEP_1) | instskip(NEXT) | instid1(VALU_DEP_1)
	v_subrev_nc_u32_e32 v4, 28, v6
	v_lshlrev_b64_e32 v[4:5], v4, v[2:3]
	s_delay_alu instid0(VALU_DEP_1)
	v_dual_sub_nc_u32 v5, 29, v6 :: v_dual_bitop2_b32 v4, 7, v4 bitop3:0x40
; %bb.591:                              ;   in Loop: Header=BB291_10 Depth=1
	s_or_b32 exec_lo, exec_lo, s33
	s_delay_alu instid0(VALU_DEP_1) | instskip(NEXT) | instid1(VALU_DEP_2)
	v_dual_lshlrev_b32 v6, 8, v2 :: v_dual_lshlrev_b32 v4, 7, v4
	v_lshl_add_u32 v5, v5, 10, 0x2000
	s_delay_alu instid0(VALU_DEP_2) | instskip(NEXT) | instid1(VALU_DEP_2)
	v_and_b32_e32 v6, 0x8000, v6
	v_and_b32_e32 v5, 0xfc00, v5
	s_delay_alu instid0(VALU_DEP_1)
	v_or3_b32 v113, v6, v5, v4
.LBB291_592:                            ;   in Loop: Header=BB291_10 Depth=1
	s_or_b32 exec_lo, exec_lo, s31
.LBB291_593:                            ;   in Loop: Header=BB291_10 Depth=1
	s_delay_alu instid0(SALU_CYCLE_1)
	s_or_b32 exec_lo, exec_lo, s30
.LBB291_594:                            ;   in Loop: Header=BB291_10 Depth=1
	s_delay_alu instid0(SALU_CYCLE_1) | instskip(SKIP_3) | instid1(VALU_DEP_2)
	s_or_b32 exec_lo, exec_lo, s29
	v_lshrrev_b16 v6, 8, v2
	v_dual_mov_b32 v115, 0 :: v_dual_mov_b32 v116, 0
	s_mov_b32 s29, exec_lo
	v_cmpx_ne_u16_e32 0, v6
	s_cbranch_execz .LBB291_602
; %bb.595:                              ;   in Loop: Header=BB291_10 Depth=1
	v_bfrev_b32_e32 v116, 1
	s_mov_b32 s30, exec_lo
	v_cmpx_ne_u16_e32 0x80, v6
	s_cbranch_execz .LBB291_601
; %bb.596:                              ;   in Loop: Header=BB291_10 Depth=1
	v_and_b32_e32 v4, 0xffff, v6
	v_mov_b32_e32 v116, 0x7c010000
	s_mov_b32 s31, exec_lo
	s_delay_alu instid0(VALU_DEP_2) | instskip(NEXT) | instid1(VALU_DEP_1)
	v_and_b32_e32 v44, 0x7f, v4
	v_cmpx_ne_u32_e32 0x7f, v44
	s_cbranch_execz .LBB291_600
; %bb.597:                              ;   in Loop: Header=BB291_10 Depth=1
	v_and_b32_e32 v5, 7, v4
	v_lshrrev_b32_e32 v25, 3, v44
	s_mov_b32 s33, exec_lo
	v_cmpx_gt_u32_e32 8, v44
; %bb.598:                              ;   in Loop: Header=BB291_10 Depth=1
	s_delay_alu instid0(VALU_DEP_3) | instskip(NEXT) | instid1(VALU_DEP_1)
	v_clz_i32_u32_e32 v5, v5
	v_min_u32_e32 v5, 32, v5
	s_delay_alu instid0(VALU_DEP_1) | instskip(NEXT) | instid1(VALU_DEP_1)
	v_subrev_nc_u32_e32 v25, 28, v5
	v_lshlrev_b64_e32 v[44:45], v25, v[6:7]
	s_delay_alu instid0(VALU_DEP_1)
	v_dual_sub_nc_u32 v25, 29, v5 :: v_dual_bitop2_b32 v5, 7, v44 bitop3:0x40
; %bb.599:                              ;   in Loop: Header=BB291_10 Depth=1
	s_or_b32 exec_lo, exec_lo, s33
	s_delay_alu instid0(VALU_DEP_1) | instskip(NEXT) | instid1(VALU_DEP_2)
	v_dual_lshlrev_b32 v4, 8, v4 :: v_dual_lshlrev_b32 v5, 23, v5
	v_lshl_add_u32 v6, v25, 10, 0x2000
	s_delay_alu instid0(VALU_DEP_1) | instskip(NEXT) | instid1(VALU_DEP_1)
	v_and_or_b32 v4, 0x8000, v4, v6
	v_lshl_or_b32 v116, v4, 16, v5
.LBB291_600:                            ;   in Loop: Header=BB291_10 Depth=1
	s_or_b32 exec_lo, exec_lo, s31
.LBB291_601:                            ;   in Loop: Header=BB291_10 Depth=1
	s_delay_alu instid0(SALU_CYCLE_1)
	s_or_b32 exec_lo, exec_lo, s30
.LBB291_602:                            ;   in Loop: Header=BB291_10 Depth=1
	s_delay_alu instid0(SALU_CYCLE_1) | instskip(SKIP_2) | instid1(VALU_DEP_1)
	s_or_b32 exec_lo, exec_lo, s29
	v_lshrrev_b32_e32 v4, 16, v2
	s_mov_b32 s29, exec_lo
	v_and_b32_e32 v5, 0xff, v4
	s_delay_alu instid0(VALU_DEP_1)
	v_cmpx_ne_u16_e32 0, v5
	s_cbranch_execz .LBB291_610
; %bb.603:                              ;   in Loop: Header=BB291_10 Depth=1
	v_mov_b32_e32 v115, 0x8000
	s_mov_b32 s30, exec_lo
	v_cmpx_ne_u16_e32 0x80, v5
	s_cbranch_execz .LBB291_609
; %bb.604:                              ;   in Loop: Header=BB291_10 Depth=1
	v_bfe_u32 v25, v2, 16, 7
	v_mov_b32_e32 v115, 0x7c01
	s_mov_b32 s31, exec_lo
	s_delay_alu instid0(VALU_DEP_2)
	v_cmpx_ne_u32_e32 0x7f, v25
	s_cbranch_execz .LBB291_608
; %bb.605:                              ;   in Loop: Header=BB291_10 Depth=1
	v_dual_lshrrev_b32 v6, 3, v25 :: v_dual_bitop2_b32 v5, 7, v4 bitop3:0x40
	s_mov_b32 s33, exec_lo
	v_cmpx_gt_u32_e32 8, v25
; %bb.606:                              ;   in Loop: Header=BB291_10 Depth=1
	s_delay_alu instid0(VALU_DEP_2) | instskip(NEXT) | instid1(VALU_DEP_1)
	v_clz_i32_u32_e32 v5, v5
	v_min_u32_e32 v5, 32, v5
	s_delay_alu instid0(VALU_DEP_1) | instskip(NEXT) | instid1(VALU_DEP_1)
	v_subrev_nc_u32_e32 v6, 28, v5
	v_lshlrev_b64_e32 v[44:45], v6, v[4:5]
	s_delay_alu instid0(VALU_DEP_1)
	v_dual_sub_nc_u32 v6, 29, v5 :: v_dual_bitop2_b32 v5, 7, v44 bitop3:0x40
; %bb.607:                              ;   in Loop: Header=BB291_10 Depth=1
	s_or_b32 exec_lo, exec_lo, s33
	s_delay_alu instid0(VALU_DEP_1) | instskip(NEXT) | instid1(VALU_DEP_2)
	v_dual_lshlrev_b32 v4, 8, v4 :: v_dual_lshlrev_b32 v5, 7, v5
	v_lshl_add_u32 v6, v6, 10, 0x2000
	s_delay_alu instid0(VALU_DEP_2) | instskip(NEXT) | instid1(VALU_DEP_2)
	v_and_b32_e32 v4, 0x8000, v4
	v_and_b32_e32 v6, 0xfc00, v6
	s_delay_alu instid0(VALU_DEP_1)
	v_or3_b32 v115, v4, v6, v5
.LBB291_608:                            ;   in Loop: Header=BB291_10 Depth=1
	s_or_b32 exec_lo, exec_lo, s31
.LBB291_609:                            ;   in Loop: Header=BB291_10 Depth=1
	s_delay_alu instid0(SALU_CYCLE_1)
	s_or_b32 exec_lo, exec_lo, s30
.LBB291_610:                            ;   in Loop: Header=BB291_10 Depth=1
	s_delay_alu instid0(SALU_CYCLE_1)
	s_or_b32 exec_lo, exec_lo, s29
	v_dual_mov_b32 v118, 0 :: v_dual_mov_b32 v117, 0
	s_mov_b32 s29, exec_lo
	v_cmpx_lt_u32_e32 0xffffff, v2
	s_cbranch_execz .LBB291_618
; %bb.611:                              ;   in Loop: Header=BB291_10 Depth=1
	v_lshrrev_b32_e32 v6, 24, v2
	v_bfrev_b32_e32 v117, 1
	s_mov_b32 s30, exec_lo
	s_delay_alu instid0(VALU_DEP_2)
	v_cmpx_ne_u32_e32 0x80, v6
	s_cbranch_execz .LBB291_617
; %bb.612:                              ;   in Loop: Header=BB291_10 Depth=1
	v_and_b32_e32 v25, 0x7f, v6
	v_mov_b32_e32 v117, 0x7c010000
	s_mov_b32 s31, exec_lo
	s_delay_alu instid0(VALU_DEP_2)
	v_cmpx_ne_u32_e32 0x7f, v25
	s_cbranch_execz .LBB291_616
; %bb.613:                              ;   in Loop: Header=BB291_10 Depth=1
	v_dual_lshrrev_b32 v5, 3, v25 :: v_dual_bitop2_b32 v4, 7, v6 bitop3:0x40
	s_mov_b32 s33, exec_lo
	v_cmpx_gt_u32_e32 8, v25
; %bb.614:                              ;   in Loop: Header=BB291_10 Depth=1
	s_delay_alu instid0(VALU_DEP_2) | instskip(NEXT) | instid1(VALU_DEP_1)
	v_clz_i32_u32_e32 v4, v4
	v_min_u32_e32 v25, 32, v4
	s_delay_alu instid0(VALU_DEP_1) | instskip(NEXT) | instid1(VALU_DEP_1)
	v_subrev_nc_u32_e32 v4, 28, v25
	v_lshlrev_b64_e32 v[4:5], v4, v[6:7]
	s_delay_alu instid0(VALU_DEP_1)
	v_dual_sub_nc_u32 v5, 29, v25 :: v_dual_bitop2_b32 v4, 7, v4 bitop3:0x40
; %bb.615:                              ;   in Loop: Header=BB291_10 Depth=1
	s_or_b32 exec_lo, exec_lo, s33
	s_delay_alu instid0(VALU_DEP_1) | instskip(NEXT) | instid1(VALU_DEP_2)
	v_dual_lshlrev_b32 v6, 8, v6 :: v_dual_lshlrev_b32 v4, 23, v4
	v_lshl_add_u32 v5, v5, 10, 0x2000
	s_delay_alu instid0(VALU_DEP_1) | instskip(NEXT) | instid1(VALU_DEP_1)
	v_and_or_b32 v5, 0x8000, v6, v5
	v_lshl_or_b32 v117, v5, 16, v4
.LBB291_616:                            ;   in Loop: Header=BB291_10 Depth=1
	s_or_b32 exec_lo, exec_lo, s31
.LBB291_617:                            ;   in Loop: Header=BB291_10 Depth=1
	s_delay_alu instid0(SALU_CYCLE_1)
	s_or_b32 exec_lo, exec_lo, s30
.LBB291_618:                            ;   in Loop: Header=BB291_10 Depth=1
	s_delay_alu instid0(SALU_CYCLE_1) | instskip(SKIP_3) | instid1(VALU_DEP_2)
	s_or_b32 exec_lo, exec_lo, s29
	v_and_b32_e32 v4, 0xff, v3
	v_mov_b32_e32 v6, v3
	s_mov_b32 s29, exec_lo
	v_cmpx_ne_u16_e32 0, v4
	s_cbranch_execz .LBB291_626
; %bb.619:                              ;   in Loop: Header=BB291_10 Depth=1
	v_mov_b32_e32 v118, 0x8000
	s_mov_b32 s30, exec_lo
	v_cmpx_ne_u16_e32 0x80, v4
	s_cbranch_execz .LBB291_625
; %bb.620:                              ;   in Loop: Header=BB291_10 Depth=1
	v_and_b32_e32 v25, 0x7f, v3
	v_mov_b32_e32 v118, 0x7c01
	s_mov_b32 s31, exec_lo
	s_delay_alu instid0(VALU_DEP_2)
	v_cmpx_ne_u32_e32 0x7f, v25
	s_cbranch_execz .LBB291_624
; %bb.621:                              ;   in Loop: Header=BB291_10 Depth=1
	v_dual_lshrrev_b32 v5, 3, v25 :: v_dual_bitop2_b32 v4, 7, v3 bitop3:0x40
	s_mov_b32 s33, exec_lo
	v_cmpx_gt_u32_e32 8, v25
; %bb.622:                              ;   in Loop: Header=BB291_10 Depth=1
	s_delay_alu instid0(VALU_DEP_2) | instskip(NEXT) | instid1(VALU_DEP_1)
	v_clz_i32_u32_e32 v4, v4
	v_min_u32_e32 v25, 32, v4
	s_delay_alu instid0(VALU_DEP_1) | instskip(NEXT) | instid1(VALU_DEP_1)
	v_subrev_nc_u32_e32 v4, 28, v25
	v_lshlrev_b64_e32 v[4:5], v4, v[6:7]
	s_delay_alu instid0(VALU_DEP_1)
	v_dual_sub_nc_u32 v5, 29, v25 :: v_dual_bitop2_b32 v4, 7, v4 bitop3:0x40
; %bb.623:                              ;   in Loop: Header=BB291_10 Depth=1
	s_or_b32 exec_lo, exec_lo, s33
	s_delay_alu instid0(VALU_DEP_1) | instskip(NEXT) | instid1(VALU_DEP_2)
	v_dual_lshlrev_b32 v25, 8, v3 :: v_dual_lshlrev_b32 v4, 7, v4
	v_lshl_add_u32 v5, v5, 10, 0x2000
	s_delay_alu instid0(VALU_DEP_2) | instskip(NEXT) | instid1(VALU_DEP_2)
	v_and_b32_e32 v25, 0x8000, v25
	v_and_b32_e32 v5, 0xfc00, v5
	s_delay_alu instid0(VALU_DEP_1)
	v_or3_b32 v118, v25, v5, v4
.LBB291_624:                            ;   in Loop: Header=BB291_10 Depth=1
	s_or_b32 exec_lo, exec_lo, s31
.LBB291_625:                            ;   in Loop: Header=BB291_10 Depth=1
	s_delay_alu instid0(SALU_CYCLE_1)
	s_or_b32 exec_lo, exec_lo, s30
.LBB291_626:                            ;   in Loop: Header=BB291_10 Depth=1
	s_delay_alu instid0(SALU_CYCLE_1) | instskip(SKIP_3) | instid1(VALU_DEP_2)
	s_or_b32 exec_lo, exec_lo, s29
	v_lshrrev_b16 v6, 8, v6
	v_dual_mov_b32 v120, 0 :: v_dual_mov_b32 v119, 0
	s_mov_b32 s29, exec_lo
	v_cmpx_ne_u16_e32 0, v6
	s_cbranch_execz .LBB291_634
; %bb.627:                              ;   in Loop: Header=BB291_10 Depth=1
	v_bfrev_b32_e32 v119, 1
	s_mov_b32 s30, exec_lo
	v_cmpx_ne_u16_e32 0x80, v6
	s_cbranch_execz .LBB291_633
; %bb.628:                              ;   in Loop: Header=BB291_10 Depth=1
	v_and_b32_e32 v4, 0xffff, v6
	v_mov_b32_e32 v119, 0x7c010000
	s_mov_b32 s31, exec_lo
	s_delay_alu instid0(VALU_DEP_2) | instskip(NEXT) | instid1(VALU_DEP_1)
	v_and_b32_e32 v44, 0x7f, v4
	v_cmpx_ne_u32_e32 0x7f, v44
	s_cbranch_execz .LBB291_632
; %bb.629:                              ;   in Loop: Header=BB291_10 Depth=1
	v_and_b32_e32 v5, 7, v4
	v_lshrrev_b32_e32 v25, 3, v44
	s_mov_b32 s33, exec_lo
	v_cmpx_gt_u32_e32 8, v44
; %bb.630:                              ;   in Loop: Header=BB291_10 Depth=1
	s_delay_alu instid0(VALU_DEP_3) | instskip(NEXT) | instid1(VALU_DEP_1)
	v_clz_i32_u32_e32 v5, v5
	v_min_u32_e32 v5, 32, v5
	s_delay_alu instid0(VALU_DEP_1) | instskip(NEXT) | instid1(VALU_DEP_1)
	v_subrev_nc_u32_e32 v25, 28, v5
	v_lshlrev_b64_e32 v[44:45], v25, v[6:7]
	s_delay_alu instid0(VALU_DEP_1)
	v_dual_sub_nc_u32 v25, 29, v5 :: v_dual_bitop2_b32 v5, 7, v44 bitop3:0x40
; %bb.631:                              ;   in Loop: Header=BB291_10 Depth=1
	s_or_b32 exec_lo, exec_lo, s33
	s_delay_alu instid0(VALU_DEP_1) | instskip(NEXT) | instid1(VALU_DEP_2)
	v_dual_lshlrev_b32 v4, 8, v4 :: v_dual_lshlrev_b32 v5, 23, v5
	v_lshl_add_u32 v6, v25, 10, 0x2000
	s_delay_alu instid0(VALU_DEP_1) | instskip(NEXT) | instid1(VALU_DEP_1)
	v_and_or_b32 v4, 0x8000, v4, v6
	v_lshl_or_b32 v119, v4, 16, v5
.LBB291_632:                            ;   in Loop: Header=BB291_10 Depth=1
	s_or_b32 exec_lo, exec_lo, s31
.LBB291_633:                            ;   in Loop: Header=BB291_10 Depth=1
	s_delay_alu instid0(SALU_CYCLE_1)
	s_or_b32 exec_lo, exec_lo, s30
.LBB291_634:                            ;   in Loop: Header=BB291_10 Depth=1
	s_delay_alu instid0(SALU_CYCLE_1) | instskip(SKIP_2) | instid1(VALU_DEP_1)
	s_or_b32 exec_lo, exec_lo, s29
	v_lshrrev_b32_e32 v4, 16, v3
	s_mov_b32 s29, exec_lo
	v_and_b32_e32 v5, 0xff, v4
	s_delay_alu instid0(VALU_DEP_1)
	v_cmpx_ne_u16_e32 0, v5
	s_cbranch_execz .LBB291_642
; %bb.635:                              ;   in Loop: Header=BB291_10 Depth=1
	v_mov_b32_e32 v120, 0x8000
	s_mov_b32 s30, exec_lo
	v_cmpx_ne_u16_e32 0x80, v5
	s_cbranch_execz .LBB291_641
; %bb.636:                              ;   in Loop: Header=BB291_10 Depth=1
	v_bfe_u32 v25, v3, 16, 7
	v_mov_b32_e32 v120, 0x7c01
	s_mov_b32 s31, exec_lo
	s_delay_alu instid0(VALU_DEP_2)
	v_cmpx_ne_u32_e32 0x7f, v25
	s_cbranch_execz .LBB291_640
; %bb.637:                              ;   in Loop: Header=BB291_10 Depth=1
	v_dual_lshrrev_b32 v6, 3, v25 :: v_dual_bitop2_b32 v5, 7, v4 bitop3:0x40
	s_mov_b32 s33, exec_lo
	v_cmpx_gt_u32_e32 8, v25
; %bb.638:                              ;   in Loop: Header=BB291_10 Depth=1
	s_delay_alu instid0(VALU_DEP_2) | instskip(NEXT) | instid1(VALU_DEP_1)
	v_clz_i32_u32_e32 v5, v5
	v_min_u32_e32 v5, 32, v5
	s_delay_alu instid0(VALU_DEP_1) | instskip(NEXT) | instid1(VALU_DEP_1)
	v_subrev_nc_u32_e32 v6, 28, v5
	v_lshlrev_b64_e32 v[44:45], v6, v[4:5]
	s_delay_alu instid0(VALU_DEP_1)
	v_dual_sub_nc_u32 v6, 29, v5 :: v_dual_bitop2_b32 v5, 7, v44 bitop3:0x40
; %bb.639:                              ;   in Loop: Header=BB291_10 Depth=1
	s_or_b32 exec_lo, exec_lo, s33
	s_delay_alu instid0(VALU_DEP_1) | instskip(NEXT) | instid1(VALU_DEP_2)
	v_dual_lshlrev_b32 v4, 8, v4 :: v_dual_lshlrev_b32 v5, 7, v5
	v_lshl_add_u32 v6, v6, 10, 0x2000
	s_delay_alu instid0(VALU_DEP_2) | instskip(NEXT) | instid1(VALU_DEP_2)
	v_and_b32_e32 v4, 0x8000, v4
	v_and_b32_e32 v6, 0xfc00, v6
	s_delay_alu instid0(VALU_DEP_1)
	v_or3_b32 v120, v4, v6, v5
.LBB291_640:                            ;   in Loop: Header=BB291_10 Depth=1
	s_or_b32 exec_lo, exec_lo, s31
.LBB291_641:                            ;   in Loop: Header=BB291_10 Depth=1
	s_delay_alu instid0(SALU_CYCLE_1)
	s_or_b32 exec_lo, exec_lo, s30
.LBB291_642:                            ;   in Loop: Header=BB291_10 Depth=1
	s_delay_alu instid0(SALU_CYCLE_1)
	s_or_b32 exec_lo, exec_lo, s29
	v_mov_b32_e32 v121, 0
	s_mov_b32 s29, exec_lo
	v_cmpx_lt_u64_e64 s[20:21], v[2:3]
	s_cbranch_execz .LBB291_9
; %bb.643:                              ;   in Loop: Header=BB291_10 Depth=1
	v_lshrrev_b32_e32 v6, 24, v3
	v_bfrev_b32_e32 v121, 1
	s_mov_b32 s30, exec_lo
	s_delay_alu instid0(VALU_DEP_2)
	v_cmpx_ne_u32_e32 0x80, v6
	s_cbranch_execz .LBB291_8
; %bb.644:                              ;   in Loop: Header=BB291_10 Depth=1
	v_and_b32_e32 v4, 0x7f, v6
	v_mov_b32_e32 v121, 0x7c010000
	s_mov_b32 s31, exec_lo
	s_delay_alu instid0(VALU_DEP_2)
	v_cmpx_ne_u32_e32 0x7f, v4
	s_cbranch_execz .LBB291_7
; %bb.645:                              ;   in Loop: Header=BB291_10 Depth=1
	v_dual_lshrrev_b32 v3, 3, v4 :: v_dual_bitop2_b32 v2, 7, v6 bitop3:0x40
	s_mov_b32 s33, exec_lo
	v_cmpx_gt_u32_e32 8, v4
	s_cbranch_execz .LBB291_6
; %bb.646:                              ;   in Loop: Header=BB291_10 Depth=1
	s_delay_alu instid0(VALU_DEP_2) | instskip(NEXT) | instid1(VALU_DEP_1)
	v_clz_i32_u32_e32 v2, v2
	v_min_u32_e32 v4, 32, v2
	s_delay_alu instid0(VALU_DEP_1) | instskip(NEXT) | instid1(VALU_DEP_1)
	v_subrev_nc_u32_e32 v2, 28, v4
	v_lshlrev_b64_e32 v[2:3], v2, v[6:7]
	s_delay_alu instid0(VALU_DEP_1)
	v_dual_sub_nc_u32 v3, 29, v4 :: v_dual_bitop2_b32 v2, 7, v2 bitop3:0x40
	s_branch .LBB291_6
.LBB291_647:
	s_or_b32 exec_lo, exec_lo, s11
.LBB291_648:
	s_delay_alu instid0(SALU_CYCLE_1)
	s_or_b32 exec_lo, exec_lo, s26
	v_mbcnt_lo_u32_b32 v5, -1, 0
	s_clause 0x1
	s_load_b64 s[4:5], s[0:1], 0x0
	s_load_b64 s[18:19], s[0:1], 0x18
	v_max_num_f32_e32 v6, v101, v101
	v_xor_b32_e32 v4, 8, v5
	v_xor_b32_e32 v2, 16, v5
	s_delay_alu instid0(VALU_DEP_1) | instskip(SKIP_1) | instid1(VALU_DEP_1)
	v_cmp_gt_i32_e32 vcc_lo, 32, v2
	v_cndmask_b32_e32 v2, v5, v2, vcc_lo
	v_lshlrev_b32_e32 v2, 2, v2
	ds_bpermute_b32 v3, v2, v101
	s_wait_dscnt 0x0
	v_max_num_f32_e32 v7, v3, v3
	s_delay_alu instid0(VALU_DEP_1) | instskip(SKIP_2) | instid1(VALU_DEP_1)
	v_max_num_f32_e32 v6, v6, v7
	v_cmp_gt_i32_e32 vcc_lo, 32, v4
	v_dual_cndmask_b32 v4, v5, v4, vcc_lo :: v_dual_bitop2_b32 v7, 4, v5 bitop3:0x14
	v_cmp_gt_i32_e32 vcc_lo, 32, v7
	s_delay_alu instid0(VALU_DEP_2) | instskip(SKIP_3) | instid1(VALU_DEP_1)
	v_lshlrev_b32_e32 v3, 2, v4
	ds_bpermute_b32 v4, v3, v6
	s_wait_dscnt 0x0
	v_dual_cndmask_b32 v7, v5, v7 :: v_dual_max_num_f32 v8, v4, v4
	v_dual_lshlrev_b32 v4, 2, v7 :: v_dual_max_num_f32 v6, v6, v8
	ds_bpermute_b32 v7, v4, v6
	s_wait_dscnt 0x0
	v_dual_max_num_f32 v7, v7, v7 :: v_dual_bitop2_b32 v8, 2, v5 bitop3:0x14
	s_delay_alu instid0(VALU_DEP_1) | instskip(NEXT) | instid1(VALU_DEP_2)
	v_cmp_gt_i32_e32 vcc_lo, 32, v8
	v_dual_max_num_f32 v6, v6, v7 :: v_dual_cndmask_b32 v8, v5, v8, vcc_lo
	s_delay_alu instid0(VALU_DEP_1) | instskip(SKIP_4) | instid1(VALU_DEP_2)
	v_dual_lshlrev_b32 v31, 2, v8 :: v_dual_bitop2_b32 v8, 1, v5 bitop3:0x14
	ds_bpermute_b32 v7, v31, v6
	v_cmp_gt_i32_e32 vcc_lo, 32, v8
	v_cndmask_b32_e32 v5, v5, v8, vcc_lo
	v_cmp_eq_u32_e32 vcc_lo, 0, v99
	v_dual_lshlrev_b32 v30, 2, v5 :: v_dual_lshlrev_b32 v5, 2, v98
	s_wait_dscnt 0x0
	v_max_num_f32_e32 v7, v7, v7
	s_delay_alu instid0(VALU_DEP_1)
	v_max_num_f32_e32 v6, v6, v7
	ds_bpermute_b32 v7, v30, v6
	s_wait_xcnt 0x0
	s_and_saveexec_b32 s0, vcc_lo
	s_cbranch_execz .LBB291_650
; %bb.649:
	s_wait_dscnt 0x0
	v_dual_max_num_f32 v7, v7, v7 :: v_dual_max_num_f32 v6, v6, v6
	s_delay_alu instid0(VALU_DEP_1)
	v_max_num_f32_e32 v6, v6, v7
	ds_store_b32 v5, v6 offset:160
.LBB291_650:
	s_or_b32 exec_lo, exec_lo, s0
	v_cmp_gt_u32_e64 s0, 4, v99
	v_mov_b32_e32 v6, 0xff7fffff
	s_wait_dscnt 0x0
	s_barrier_signal -1
	s_barrier_wait -1
	s_and_saveexec_b32 s1, s0
; %bb.651:
	ds_load_b32 v6, v100 offset:160
; %bb.652:
	s_or_b32 exec_lo, exec_lo, s1
	s_wait_dscnt 0x0
	ds_bpermute_b32 v7, v31, v6
	v_max_num_f32_e32 v6, v6, v6
	s_lshl_b32 s1, s13, 5
	s_delay_alu instid0(SALU_CYCLE_1) | instskip(NEXT) | instid1(SALU_CYCLE_1)
	s_min_i32 s11, s1, s25
	v_cmp_gt_i32_e64 s1, s11, v0
	s_wait_dscnt 0x0
	v_max_num_f32_e32 v7, v7, v7
	s_delay_alu instid0(VALU_DEP_1) | instskip(SKIP_3) | instid1(VALU_DEP_1)
	v_max_num_f32_e32 v6, v6, v7
	ds_bpermute_b32 v7, v30, v6
	s_wait_dscnt 0x0
	v_max_num_f32_e32 v7, v7, v7
	v_dual_max_num_f32 v7, v6, v7 :: v_dual_mov_b32 v6, 0
	ds_bpermute_b32 v7, v6, v7
	s_and_saveexec_b32 s20, s1
	s_cbranch_execz .LBB291_656
; %bb.653:
	v_lshl_add_u32 v8, v0, 2, 0xc0
	v_dual_mov_b32 v6, 0 :: v_dual_mov_b32 v9, v0
	s_mov_b32 s21, 0
.LBB291_654:                            ; =>This Inner Loop Header: Depth=1
	ds_load_b32 v10, v8
	v_add_nc_u32_e32 v9, 0x80, v9
	s_delay_alu instid0(VALU_DEP_1) | instskip(SKIP_3) | instid1(VALU_DEP_1)
	v_cmp_le_i32_e64 s3, s11, v9
	s_or_b32 s21, s3, s21
	s_wait_dscnt 0x0
	v_sub_f32_e32 v10, v10, v7
	v_mul_f32_e32 v10, 0x3fb8aa3b, v10
	s_delay_alu instid0(VALU_DEP_1)
	v_exp_f32_e32 v10, v10
	ds_store_b32 v8, v10
	v_nop
	v_add_f32_e32 v6, v6, v10
	v_add_nc_u32_e32 v8, 0x200, v8
	s_and_not1_b32 exec_lo, exec_lo, s21
	s_cbranch_execnz .LBB291_654
; %bb.655:
	s_or_b32 exec_lo, exec_lo, s21
.LBB291_656:
	s_delay_alu instid0(SALU_CYCLE_1)
	s_or_b32 exec_lo, exec_lo, s20
	ds_bpermute_b32 v2, v2, v6
	s_wait_dscnt 0x0
	v_add_f32_e32 v2, v6, v2
	ds_bpermute_b32 v3, v3, v2
	s_wait_dscnt 0x0
	v_add_f32_e32 v2, v2, v3
	;; [unrolled: 3-line block ×5, first 2 shown]
	s_and_saveexec_b32 s3, vcc_lo
; %bb.657:
	ds_store_b32 v5, v2 offset:176
; %bb.658:
	s_or_b32 exec_lo, exec_lo, s3
	s_wait_dscnt 0x0
	s_barrier_signal -1
	s_barrier_wait -1
	s_and_saveexec_b32 s3, s0
; %bb.659:
	ds_load_b32 v2, v100 offset:176
; %bb.660:
	s_or_b32 exec_lo, exec_lo, s3
	s_wait_dscnt 0x0
	ds_bpermute_b32 v3, v31, v2
	s_wait_dscnt 0x0
	v_add_f32_e32 v2, v2, v3
	ds_bpermute_b32 v3, v30, v2
	s_wait_dscnt 0x0
	v_dual_add_f32 v2, v2, v3 :: v_dual_mov_b32 v3, 0
	ds_bpermute_b32 v2, v3, v2
	s_and_saveexec_b32 s0, s1
	s_cbranch_execz .LBB291_673
; %bb.661:
	s_wait_dscnt 0x0
	v_add_f32_e32 v2, 0x358637bd, v2
	s_mov_b32 s3, -1
	s_mov_b32 s1, exec_lo
	s_delay_alu instid0(VALU_DEP_1) | instskip(SKIP_1) | instid1(VALU_DEP_2)
	v_div_scale_f32 v4, null, v2, v2, 1.0
	v_div_scale_f32 v7, vcc_lo, 1.0, v2, 1.0
	v_rcp_f32_e32 v6, v4
	v_nop
	s_delay_alu instid0(TRANS32_DEP_1) | instskip(NEXT) | instid1(VALU_DEP_1)
	v_fma_f32 v5, -v4, v6, 1.0
	v_fmac_f32_e32 v6, v5, v6
	s_delay_alu instid0(VALU_DEP_1) | instskip(NEXT) | instid1(VALU_DEP_1)
	v_mul_f32_e32 v8, v7, v6
	v_fma_f32 v5, -v4, v8, v7
	s_delay_alu instid0(VALU_DEP_1) | instskip(SKIP_1) | instid1(VALU_DEP_2)
	v_fmac_f32_e32 v8, v5, v6
	v_xad_u32 v5, v0, -1, s11
	v_fma_f32 v4, -v4, v8, v7
	s_delay_alu instid0(VALU_DEP_1) | instskip(NEXT) | instid1(VALU_DEP_1)
	v_div_fmas_f32 v4, v4, v6, v8
	v_div_fixup_f32 v4, v4, v2, 1.0
	v_mov_b32_e32 v2, v0
	v_cmpx_lt_u32_e32 0x7f, v5
	s_cbranch_execz .LBB291_670
; %bb.662:
	s_delay_alu instid0(VALU_DEP_3) | instskip(NEXT) | instid1(VALU_DEP_1)
	v_dual_mov_b32 v5, v4 :: v_dual_lshrrev_b32 v2, 7, v5
	v_dual_mov_b32 v9, 0 :: v_dual_add_nc_u32 v6, -1, v2
	s_delay_alu instid0(VALU_DEP_1) | instskip(SKIP_1) | instid1(VALU_DEP_2)
	v_lshrrev_b32_e32 v7, 1, v6
	v_cmp_lt_u32_e32 vcc_lo, 13, v6
	v_add_nc_u32_e32 v6, 1, v7
	s_and_saveexec_b32 s3, vcc_lo
	s_cbranch_execz .LBB291_666
; %bb.663:
	s_delay_alu instid0(VALU_DEP_1)
	v_and_b32_e32 v7, -8, v6
	v_lshl_add_u32 v8, v0, 2, 0xc0
	s_mov_b32 s20, 0
	s_mov_b32 s21, 0
.LBB291_664:                            ; =>This Inner Loop Header: Depth=1
	ds_load_2addr_stride64_b32 v[10:11], v8 offset1:2
	ds_load_2addr_stride64_b32 v[12:13], v8 offset0:4 offset1:6
	ds_load_2addr_stride64_b32 v[14:15], v8 offset0:8 offset1:10
	;; [unrolled: 1-line block ×7, first 2 shown]
	s_add_co_i32 s21, s21, 16
	s_delay_alu instid0(SALU_CYCLE_1) | instskip(NEXT) | instid1(VALU_DEP_1)
	v_dual_add_nc_u32 v7, -8, v7 :: v_dual_mov_b32 v9, s21
	v_cmp_eq_u32_e32 vcc_lo, 0, v7
	s_or_b32 s20, vcc_lo, s20
	s_wait_dscnt 0x7
	v_pk_mul_f32 v[10:11], v[4:5], v[10:11]
	s_wait_dscnt 0x6
	v_pk_mul_f32 v[12:13], v[4:5], v[12:13]
	;; [unrolled: 2-line block ×8, first 2 shown]
	ds_store_2addr_stride64_b32 v8, v10, v11 offset1:2
	ds_store_2addr_stride64_b32 v8, v12, v13 offset0:4 offset1:6
	ds_store_2addr_stride64_b32 v8, v14, v15 offset0:8 offset1:10
	;; [unrolled: 1-line block ×7, first 2 shown]
	v_add_nc_u32_e32 v8, 0x2000, v8
	s_and_not1_b32 exec_lo, exec_lo, s20
	s_cbranch_execnz .LBB291_664
; %bb.665:
	s_or_b32 exec_lo, exec_lo, s20
.LBB291_666:
	s_delay_alu instid0(SALU_CYCLE_1) | instskip(NEXT) | instid1(VALU_DEP_1)
	s_or_b32 exec_lo, exec_lo, s3
	v_and_b32_e32 v6, 7, v6
	s_mov_b32 s20, 0
	s_mov_b32 s3, exec_lo
	s_delay_alu instid0(VALU_DEP_1)
	v_cmpx_ne_u32_e32 0, v6
	s_cbranch_execz .LBB291_669
; %bb.667:
	v_dual_lshlrev_b32 v7, 9, v9 :: v_dual_lshlrev_b32 v8, 2, v0
	s_delay_alu instid0(VALU_DEP_1)
	v_add3_u32 v7, v7, v8, 0xc0
.LBB291_668:                            ; =>This Inner Loop Header: Depth=1
	ds_load_2addr_stride64_b32 v[8:9], v7 offset1:2
	v_add_nc_u32_e32 v6, -1, v6
	s_delay_alu instid0(VALU_DEP_1)
	v_cmp_eq_u32_e32 vcc_lo, 0, v6
	s_or_b32 s20, vcc_lo, s20
	s_wait_dscnt 0x0
	v_pk_mul_f32 v[8:9], v[4:5], v[8:9]
	ds_store_2addr_stride64_b32 v7, v8, v9 offset1:2
	v_add_nc_u32_e32 v7, 0x400, v7
	s_and_not1_b32 exec_lo, exec_lo, s20
	s_cbranch_execnz .LBB291_668
.LBB291_669:
	s_or_b32 exec_lo, exec_lo, s3
	v_add_nc_u32_e32 v2, 1, v2
	s_delay_alu instid0(VALU_DEP_1) | instskip(NEXT) | instid1(VALU_DEP_1)
	v_and_b32_e32 v5, 0x3fffffe, v2
	v_cmp_ne_u32_e32 vcc_lo, v2, v5
	v_lshl_add_u32 v2, v5, 7, v0
	s_or_not1_b32 s3, vcc_lo, exec_lo
.LBB291_670:
	s_or_b32 exec_lo, exec_lo, s1
	s_delay_alu instid0(SALU_CYCLE_1)
	s_and_b32 exec_lo, exec_lo, s3
	s_cbranch_execz .LBB291_673
; %bb.671:
	v_lshl_add_u32 v5, v2, 2, 0xc0
	s_mov_b32 s1, 0
.LBB291_672:                            ; =>This Inner Loop Header: Depth=1
	ds_load_b32 v6, v5
	v_add_nc_u32_e32 v2, 0x80, v2
	s_delay_alu instid0(VALU_DEP_1)
	v_cmp_le_i32_e32 vcc_lo, s11, v2
	s_or_b32 s1, vcc_lo, s1
	s_wait_dscnt 0x0
	v_mul_f32_e32 v6, v4, v6
	ds_store_b32 v5, v6
	v_add_nc_u32_e32 v5, 0x200, v5
	s_and_not1_b32 exec_lo, exec_lo, s1
	s_cbranch_execnz .LBB291_672
.LBB291_673:
	s_or_b32 exec_lo, exec_lo, s0
	s_wait_dscnt 0x0
	v_dual_mov_b32 v2, 0 :: v_dual_bitop2_b32 v32, 3, v0 bitop3:0x40
	v_dual_mov_b32 v5, 0 :: v_dual_mov_b32 v4, 0
	v_dual_mov_b32 v7, 0 :: v_dual_mov_b32 v6, 0
	;; [unrolled: 1-line block ×4, first 2 shown]
	s_barrier_signal -1
	s_barrier_wait -1
	s_and_saveexec_b32 s1, s2
	s_cbranch_execz .LBB291_1337
; %bb.674:
	v_dual_mov_b32 v13, 0 :: v_dual_lshlrev_b32 v2, 3, v0
	s_ashr_i32 s11, s10, 31
	v_lshlrev_b32_e32 v3, 5, v32
	s_wait_kmcnt 0x0
	s_add_nc_u64 s[10:11], s[18:19], s[10:11]
	v_and_b32_e32 v12, 0xf8, v2
	s_lshl_b64 s[2:3], s[16:17], 2
	v_and_b32_e32 v2, 24, v2
	v_lshl_or_b32 v3, v98, 7, v3
	s_add_nc_u64 s[2:3], s[14:15], s[2:3]
	v_add_nc_u64_e32 v[14:15], s[10:11], v[12:13]
	v_and_b32_e32 v12, 0x7c, v1
	v_lshl_or_b32 v33, v98, 5, v2
	v_dual_mov_b32 v3, 0 :: v_dual_add_nc_u32 v34, 0xc0, v3
	v_dual_mov_b32 v2, 0 :: v_dual_mov_b32 v5, 0
	s_delay_alu instid0(VALU_DEP_4)
	v_add_nc_u64_e32 v[16:17], s[2:3], v[12:13]
	v_dual_mov_b32 v4, 0 :: v_dual_mov_b32 v7, 0
	v_dual_mov_b32 v6, 0 :: v_dual_mov_b32 v9, 0
	;; [unrolled: 1-line block ×4, first 2 shown]
	s_mov_b64 s[2:3], 0xffffffffffffff
	s_add_co_i32 s10, s13, -1
	s_mov_b32 s14, s25
	s_mov_b32 s11, 0
	s_branch .LBB291_676
.LBB291_675:                            ;   in Loop: Header=BB291_676 Depth=1
	s_or_b32 exec_lo, exec_lo, s0
	v_dual_add_f32 v20, v43, v44 :: v_dual_add_f32 v22, v61, v62
	;;#ASMSTART
	v_pk_mul_f16 v19, v48, v19;

	;;#ASMEND
	;;#ASMSTART
	v_pk_mul_f16 v18, v47, v18;

	;;#ASMEND
	;; [unrolled: 4-line block ×3, first 2 shown]
	s_delay_alu instid0(VALU_DEP_1)
	v_dual_add_f32 v2, v2, v20 :: v_dual_add_f32 v4, v4, v22
	v_add_f32_e32 v20, v55, v56
	;;#ASMSTART
	v_pk_mul_f16 v12, v45, v12;

	;;#ASMEND
	;;#ASMSTART
	v_pk_add_f16 v18, v19, v18;

	;;#ASMEND
	;;#ASMSTART
	v_pk_add_f16 v1, v18, v1;
	;; [unrolled: 4-line block ×3, first 2 shown]

	;;#ASMEND
	v_and_b32_e32 v19, 0xffff, v1
	v_dual_add_f32 v9, v9, v20 :: v_dual_lshrrev_b32 v20, 16, v1
	;;#ASMSTART
	v_cvt_f32_f16 v19, v19;
	;;#ASMEND
	;;#ASMSTART
	v_cvt_f32_f16 v20, v20;
	;;#ASMEND
	s_delay_alu instid0(VALU_DEP_1) | instskip(SKIP_3) | instid1(VALU_DEP_4)
	v_dual_add_f32 v19, v19, v20 :: v_dual_add_nc_u32 v35, 4, v35
	v_dual_add_f32 v21, v63, v64 :: v_dual_add_f32 v24, v57, v58
	v_dual_add_f32 v23, v59, v60 :: v_dual_add_f32 v1, v53, v54
	;; [unrolled: 1-line block ×3, first 2 shown]
	v_cmp_le_i32_e32 vcc_lo, s13, v35
	v_add_nc_u64_e32 v[16:17], 16, v[16:17]
	s_delay_alu instid0(VALU_DEP_4)
	v_dual_add_f32 v5, v5, v21 :: v_dual_add_f32 v7, v7, v23
	v_dual_add_f32 v6, v6, v24 :: v_dual_add_f32 v8, v8, v1
	;; [unrolled: 1-line block ×3, first 2 shown]
	v_add_f32_e32 v3, v3, v19
	v_add_nc_u32_e32 v33, 0x80, v33
	v_add_nc_u32_e32 v34, 0x200, v34
	s_or_b32 s11, vcc_lo, s11
	s_delay_alu instid0(SALU_CYCLE_1)
	s_and_not1_b32 exec_lo, exec_lo, s11
	s_cbranch_execz .LBB291_1336
.LBB291_676:                            ; =>This Inner Loop Header: Depth=1
	global_load_b32 v1, v[16:17], off
	ds_load_2addr_b64 v[20:23], v34 offset1:1
	ds_load_2addr_b64 v[24:27], v34 offset0:2 offset1:3
	s_mov_b32 s0, exec_lo
	s_wait_dscnt 0x1
	;;#ASMSTART
	v_cvt_f16_f32 v46, v20;

	;;#ASMEND
	;;#ASMSTART
	v_cvt_f16_f32 v43, v21;

	;;#ASMEND
	;; [unrolled: 4-line block ×4, first 2 shown]
	s_wait_dscnt 0x0
	;;#ASMSTART
	v_cvt_f16_f32 v48, v24;

	;;#ASMEND
	;;#ASMSTART
	v_cvt_f16_f32 v45, v25;

	;;#ASMEND
	;; [unrolled: 4-line block ×4, first 2 shown]
	s_wait_loadcnt 0x0
	v_mad_nc_i64_i32 v[18:19], v1, s9, v[14:15]
	v_mov_b32_e32 v1, 0
	global_load_b64 v[22:23], v[18:19], off
	global_load_b32 v20, v13, s[6:7]
	s_wait_loadcnt 0x1
	v_and_b32_e32 v12, 0xff, v22
	s_wait_xcnt 0x0
	s_delay_alu instid0(VALU_DEP_1)
	v_cmpx_ne_u16_e32 0, v12
	s_cbranch_execz .LBB291_684
; %bb.677:                              ;   in Loop: Header=BB291_676 Depth=1
	v_mov_b32_e32 v1, 0x8000
	s_mov_b32 s15, exec_lo
	v_cmpx_ne_u16_e32 0x80, v12
	s_cbranch_execz .LBB291_683
; %bb.678:                              ;   in Loop: Header=BB291_676 Depth=1
	v_and_b32_e32 v21, 0x7f, v22
	v_mov_b32_e32 v1, 0x7c01
	s_mov_b32 s16, exec_lo
	s_delay_alu instid0(VALU_DEP_2)
	v_cmpx_ne_u32_e32 0x7f, v21
	s_cbranch_execz .LBB291_682
; %bb.679:                              ;   in Loop: Header=BB291_676 Depth=1
	v_dual_lshrrev_b32 v12, 3, v21 :: v_dual_bitop2_b32 v1, 7, v22 bitop3:0x40
	s_mov_b32 s17, exec_lo
	v_cmpx_gt_u32_e32 8, v21
; %bb.680:                              ;   in Loop: Header=BB291_676 Depth=1
	s_delay_alu instid0(VALU_DEP_2) | instskip(NEXT) | instid1(VALU_DEP_1)
	v_clz_i32_u32_e32 v1, v1
	v_min_u32_e32 v1, 32, v1
	s_delay_alu instid0(VALU_DEP_1) | instskip(NEXT) | instid1(VALU_DEP_1)
	v_subrev_nc_u32_e32 v12, 28, v1
	v_lshlrev_b64_e32 v[24:25], v12, v[22:23]
	s_delay_alu instid0(VALU_DEP_1)
	v_dual_sub_nc_u32 v12, 29, v1 :: v_dual_bitop2_b32 v1, 7, v24 bitop3:0x40
; %bb.681:                              ;   in Loop: Header=BB291_676 Depth=1
	s_or_b32 exec_lo, exec_lo, s17
	s_delay_alu instid0(VALU_DEP_1) | instskip(NEXT) | instid1(VALU_DEP_2)
	v_dual_lshlrev_b32 v21, 8, v22 :: v_dual_lshlrev_b32 v1, 7, v1
	v_lshl_add_u32 v12, v12, 10, 0x2000
	s_delay_alu instid0(VALU_DEP_2) | instskip(NEXT) | instid1(VALU_DEP_2)
	v_and_b32_e32 v21, 0x8000, v21
	v_and_b32_e32 v12, 0xfc00, v12
	s_delay_alu instid0(VALU_DEP_1)
	v_or3_b32 v1, v21, v12, v1
.LBB291_682:                            ;   in Loop: Header=BB291_676 Depth=1
	s_or_b32 exec_lo, exec_lo, s16
.LBB291_683:                            ;   in Loop: Header=BB291_676 Depth=1
	s_delay_alu instid0(SALU_CYCLE_1)
	s_or_b32 exec_lo, exec_lo, s15
.LBB291_684:                            ;   in Loop: Header=BB291_676 Depth=1
	s_delay_alu instid0(SALU_CYCLE_1) | instskip(SKIP_3) | instid1(VALU_DEP_2)
	s_or_b32 exec_lo, exec_lo, s0
	v_lshrrev_b16 v12, 8, v22
	v_dual_mov_b32 v21, 0 :: v_dual_mov_b32 v24, 0
	s_mov_b32 s0, exec_lo
	v_cmpx_ne_u16_e32 0, v12
	s_cbranch_execz .LBB291_692
; %bb.685:                              ;   in Loop: Header=BB291_676 Depth=1
	v_bfrev_b32_e32 v24, 1
	s_mov_b32 s15, exec_lo
	v_cmpx_ne_u16_e32 0x80, v12
	s_cbranch_execz .LBB291_691
; %bb.686:                              ;   in Loop: Header=BB291_676 Depth=1
	v_and_b32_e32 v25, 0xffff, v12
	v_mov_b32_e32 v24, 0x7c010000
	s_mov_b32 s16, exec_lo
	s_delay_alu instid0(VALU_DEP_2) | instskip(NEXT) | instid1(VALU_DEP_1)
	v_and_b32_e32 v27, 0x7f, v25
	v_cmpx_ne_u32_e32 0x7f, v27
	s_cbranch_execz .LBB291_690
; %bb.687:                              ;   in Loop: Header=BB291_676 Depth=1
	v_dual_lshrrev_b32 v26, 3, v27 :: v_dual_bitop2_b32 v24, 7, v25 bitop3:0x40
	s_mov_b32 s17, exec_lo
	v_cmpx_gt_u32_e32 8, v27
; %bb.688:                              ;   in Loop: Header=BB291_676 Depth=1
	s_delay_alu instid0(VALU_DEP_2) | instskip(NEXT) | instid1(VALU_DEP_1)
	v_clz_i32_u32_e32 v24, v24
	v_min_u32_e32 v24, 32, v24
	s_delay_alu instid0(VALU_DEP_1) | instskip(NEXT) | instid1(VALU_DEP_1)
	v_subrev_nc_u32_e32 v26, 28, v24
	v_lshlrev_b64_e32 v[28:29], v26, v[12:13]
	v_sub_nc_u32_e32 v26, 29, v24
	s_delay_alu instid0(VALU_DEP_2)
	v_and_b32_e32 v24, 7, v28
; %bb.689:                              ;   in Loop: Header=BB291_676 Depth=1
	s_or_b32 exec_lo, exec_lo, s17
	s_delay_alu instid0(VALU_DEP_1) | instskip(NEXT) | instid1(VALU_DEP_3)
	v_dual_lshlrev_b32 v12, 8, v25 :: v_dual_lshlrev_b32 v24, 23, v24
	v_lshl_add_u32 v25, v26, 10, 0x2000
	s_delay_alu instid0(VALU_DEP_1) | instskip(NEXT) | instid1(VALU_DEP_1)
	v_and_or_b32 v12, 0x8000, v12, v25
	v_lshl_or_b32 v24, v12, 16, v24
.LBB291_690:                            ;   in Loop: Header=BB291_676 Depth=1
	s_or_b32 exec_lo, exec_lo, s16
.LBB291_691:                            ;   in Loop: Header=BB291_676 Depth=1
	s_delay_alu instid0(SALU_CYCLE_1)
	s_or_b32 exec_lo, exec_lo, s15
.LBB291_692:                            ;   in Loop: Header=BB291_676 Depth=1
	s_delay_alu instid0(SALU_CYCLE_1) | instskip(SKIP_2) | instid1(VALU_DEP_1)
	s_or_b32 exec_lo, exec_lo, s0
	v_lshrrev_b32_e32 v12, 16, v22
	s_mov_b32 s0, exec_lo
	v_and_b32_e32 v25, 0xff, v12
	s_delay_alu instid0(VALU_DEP_1)
	v_cmpx_ne_u16_e32 0, v25
	s_cbranch_execz .LBB291_700
; %bb.693:                              ;   in Loop: Header=BB291_676 Depth=1
	v_mov_b32_e32 v21, 0x8000
	s_mov_b32 s15, exec_lo
	v_cmpx_ne_u16_e32 0x80, v25
	s_cbranch_execz .LBB291_699
; %bb.694:                              ;   in Loop: Header=BB291_676 Depth=1
	v_bfe_u32 v26, v22, 16, 7
	v_mov_b32_e32 v21, 0x7c01
	s_mov_b32 s16, exec_lo
	s_delay_alu instid0(VALU_DEP_2)
	v_cmpx_ne_u32_e32 0x7f, v26
	s_cbranch_execz .LBB291_698
; %bb.695:                              ;   in Loop: Header=BB291_676 Depth=1
	v_dual_lshrrev_b32 v25, 3, v26 :: v_dual_bitop2_b32 v21, 7, v12 bitop3:0x40
	s_mov_b32 s17, exec_lo
	v_cmpx_gt_u32_e32 8, v26
; %bb.696:                              ;   in Loop: Header=BB291_676 Depth=1
	s_delay_alu instid0(VALU_DEP_2) | instskip(NEXT) | instid1(VALU_DEP_1)
	v_clz_i32_u32_e32 v21, v21
	v_min_u32_e32 v21, 32, v21
	s_delay_alu instid0(VALU_DEP_1) | instskip(NEXT) | instid1(VALU_DEP_1)
	v_subrev_nc_u32_e32 v25, 28, v21
	v_lshlrev_b64_e32 v[26:27], v25, v[12:13]
	s_delay_alu instid0(VALU_DEP_1)
	v_dual_sub_nc_u32 v25, 29, v21 :: v_dual_bitop2_b32 v21, 7, v26 bitop3:0x40
; %bb.697:                              ;   in Loop: Header=BB291_676 Depth=1
	s_or_b32 exec_lo, exec_lo, s17
	s_delay_alu instid0(VALU_DEP_1) | instskip(NEXT) | instid1(VALU_DEP_2)
	v_dual_lshlrev_b32 v12, 8, v12 :: v_dual_lshlrev_b32 v21, 7, v21
	v_lshl_add_u32 v25, v25, 10, 0x2000
	s_delay_alu instid0(VALU_DEP_2) | instskip(NEXT) | instid1(VALU_DEP_2)
	v_and_b32_e32 v12, 0x8000, v12
	v_and_b32_e32 v25, 0xfc00, v25
	s_delay_alu instid0(VALU_DEP_1)
	v_or3_b32 v21, v12, v25, v21
.LBB291_698:                            ;   in Loop: Header=BB291_676 Depth=1
	s_or_b32 exec_lo, exec_lo, s16
.LBB291_699:                            ;   in Loop: Header=BB291_676 Depth=1
	s_delay_alu instid0(SALU_CYCLE_1)
	s_or_b32 exec_lo, exec_lo, s15
.LBB291_700:                            ;   in Loop: Header=BB291_676 Depth=1
	s_delay_alu instid0(SALU_CYCLE_1)
	s_or_b32 exec_lo, exec_lo, s0
	v_dual_mov_b32 v25, 0 :: v_dual_mov_b32 v26, 0
	s_mov_b32 s0, exec_lo
	v_cmpx_lt_u32_e32 0xffffff, v22
	s_cbranch_execz .LBB291_708
; %bb.701:                              ;   in Loop: Header=BB291_676 Depth=1
	v_lshrrev_b32_e32 v12, 24, v22
	v_bfrev_b32_e32 v26, 1
	s_mov_b32 s15, exec_lo
	s_delay_alu instid0(VALU_DEP_2)
	v_cmpx_ne_u32_e32 0x80, v12
	s_cbranch_execz .LBB291_707
; %bb.702:                              ;   in Loop: Header=BB291_676 Depth=1
	v_and_b32_e32 v28, 0x7f, v12
	v_mov_b32_e32 v26, 0x7c010000
	s_mov_b32 s16, exec_lo
	s_delay_alu instid0(VALU_DEP_2)
	v_cmpx_ne_u32_e32 0x7f, v28
	s_cbranch_execz .LBB291_706
; %bb.703:                              ;   in Loop: Header=BB291_676 Depth=1
	v_and_b32_e32 v26, 7, v12
	v_lshrrev_b32_e32 v27, 3, v28
	s_mov_b32 s17, exec_lo
	v_cmpx_gt_u32_e32 8, v28
; %bb.704:                              ;   in Loop: Header=BB291_676 Depth=1
	s_delay_alu instid0(VALU_DEP_3) | instskip(NEXT) | instid1(VALU_DEP_1)
	v_clz_i32_u32_e32 v26, v26
	v_min_u32_e32 v28, 32, v26
	s_delay_alu instid0(VALU_DEP_1) | instskip(NEXT) | instid1(VALU_DEP_1)
	v_subrev_nc_u32_e32 v26, 28, v28
	v_lshlrev_b64_e32 v[26:27], v26, v[12:13]
	s_delay_alu instid0(VALU_DEP_1)
	v_dual_sub_nc_u32 v27, 29, v28 :: v_dual_bitop2_b32 v26, 7, v26 bitop3:0x40
; %bb.705:                              ;   in Loop: Header=BB291_676 Depth=1
	s_or_b32 exec_lo, exec_lo, s17
	s_delay_alu instid0(VALU_DEP_1) | instskip(NEXT) | instid1(VALU_DEP_2)
	v_dual_lshlrev_b32 v12, 8, v12 :: v_dual_lshlrev_b32 v26, 23, v26
	v_lshl_add_u32 v27, v27, 10, 0x2000
	s_delay_alu instid0(VALU_DEP_1) | instskip(NEXT) | instid1(VALU_DEP_1)
	v_and_or_b32 v12, 0x8000, v12, v27
	v_lshl_or_b32 v26, v12, 16, v26
.LBB291_706:                            ;   in Loop: Header=BB291_676 Depth=1
	s_or_b32 exec_lo, exec_lo, s16
.LBB291_707:                            ;   in Loop: Header=BB291_676 Depth=1
	s_delay_alu instid0(SALU_CYCLE_1)
	s_or_b32 exec_lo, exec_lo, s15
.LBB291_708:                            ;   in Loop: Header=BB291_676 Depth=1
	s_delay_alu instid0(SALU_CYCLE_1) | instskip(SKIP_3) | instid1(VALU_DEP_2)
	s_or_b32 exec_lo, exec_lo, s0
	v_and_b32_e32 v27, 0xff, v23
	v_mov_b32_e32 v12, v23
	s_mov_b32 s0, exec_lo
	v_cmpx_ne_u16_e32 0, v27
	s_cbranch_execz .LBB291_716
; %bb.709:                              ;   in Loop: Header=BB291_676 Depth=1
	v_mov_b32_e32 v25, 0x8000
	s_mov_b32 s15, exec_lo
	v_cmpx_ne_u16_e32 0x80, v27
	s_cbranch_execz .LBB291_715
; %bb.710:                              ;   in Loop: Header=BB291_676 Depth=1
	v_and_b32_e32 v28, 0x7f, v23
	v_mov_b32_e32 v25, 0x7c01
	s_mov_b32 s16, exec_lo
	s_delay_alu instid0(VALU_DEP_2)
	v_cmpx_ne_u32_e32 0x7f, v28
	s_cbranch_execz .LBB291_714
; %bb.711:                              ;   in Loop: Header=BB291_676 Depth=1
	v_dual_lshrrev_b32 v27, 3, v28 :: v_dual_bitop2_b32 v25, 7, v23 bitop3:0x40
	s_mov_b32 s17, exec_lo
	v_cmpx_gt_u32_e32 8, v28
; %bb.712:                              ;   in Loop: Header=BB291_676 Depth=1
	s_delay_alu instid0(VALU_DEP_2) | instskip(NEXT) | instid1(VALU_DEP_1)
	v_clz_i32_u32_e32 v25, v25
	v_min_u32_e32 v25, 32, v25
	s_delay_alu instid0(VALU_DEP_1) | instskip(NEXT) | instid1(VALU_DEP_1)
	v_subrev_nc_u32_e32 v27, 28, v25
	v_lshlrev_b64_e32 v[28:29], v27, v[12:13]
	s_delay_alu instid0(VALU_DEP_1)
	v_dual_sub_nc_u32 v27, 29, v25 :: v_dual_bitop2_b32 v25, 7, v28 bitop3:0x40
; %bb.713:                              ;   in Loop: Header=BB291_676 Depth=1
	s_or_b32 exec_lo, exec_lo, s17
	s_delay_alu instid0(VALU_DEP_1) | instskip(NEXT) | instid1(VALU_DEP_2)
	v_dual_lshlrev_b32 v28, 8, v23 :: v_dual_lshlrev_b32 v25, 7, v25
	v_lshl_add_u32 v27, v27, 10, 0x2000
	s_delay_alu instid0(VALU_DEP_2) | instskip(NEXT) | instid1(VALU_DEP_2)
	v_and_b32_e32 v28, 0x8000, v28
	v_and_b32_e32 v27, 0xfc00, v27
	s_delay_alu instid0(VALU_DEP_1)
	v_or3_b32 v25, v28, v27, v25
.LBB291_714:                            ;   in Loop: Header=BB291_676 Depth=1
	s_or_b32 exec_lo, exec_lo, s16
.LBB291_715:                            ;   in Loop: Header=BB291_676 Depth=1
	s_delay_alu instid0(SALU_CYCLE_1)
	s_or_b32 exec_lo, exec_lo, s15
.LBB291_716:                            ;   in Loop: Header=BB291_676 Depth=1
	s_delay_alu instid0(SALU_CYCLE_1) | instskip(SKIP_3) | instid1(VALU_DEP_2)
	s_or_b32 exec_lo, exec_lo, s0
	v_lshrrev_b16 v12, 8, v12
	v_dual_mov_b32 v28, 0 :: v_dual_mov_b32 v27, 0
	s_mov_b32 s0, exec_lo
	v_cmpx_ne_u16_e32 0, v12
	s_cbranch_execz .LBB291_724
; %bb.717:                              ;   in Loop: Header=BB291_676 Depth=1
	v_bfrev_b32_e32 v27, 1
	s_mov_b32 s15, exec_lo
	v_cmpx_ne_u16_e32 0x80, v12
	s_cbranch_execz .LBB291_723
; %bb.718:                              ;   in Loop: Header=BB291_676 Depth=1
	v_and_b32_e32 v29, 0xffff, v12
	v_mov_b32_e32 v27, 0x7c010000
	s_mov_b32 s16, exec_lo
	s_delay_alu instid0(VALU_DEP_2) | instskip(NEXT) | instid1(VALU_DEP_1)
	v_and_b32_e32 v37, 0x7f, v29
	v_cmpx_ne_u32_e32 0x7f, v37
	s_cbranch_execz .LBB291_722
; %bb.719:                              ;   in Loop: Header=BB291_676 Depth=1
	v_and_b32_e32 v27, 7, v29
	v_lshrrev_b32_e32 v36, 3, v37
	s_mov_b32 s17, exec_lo
	v_cmpx_gt_u32_e32 8, v37
; %bb.720:                              ;   in Loop: Header=BB291_676 Depth=1
	s_delay_alu instid0(VALU_DEP_3) | instskip(NEXT) | instid1(VALU_DEP_1)
	v_clz_i32_u32_e32 v27, v27
	v_min_u32_e32 v27, 32, v27
	s_delay_alu instid0(VALU_DEP_1) | instskip(NEXT) | instid1(VALU_DEP_1)
	v_subrev_nc_u32_e32 v36, 28, v27
	v_lshlrev_b64_e32 v[38:39], v36, v[12:13]
	s_delay_alu instid0(VALU_DEP_1)
	v_dual_sub_nc_u32 v36, 29, v27 :: v_dual_bitop2_b32 v27, 7, v38 bitop3:0x40
; %bb.721:                              ;   in Loop: Header=BB291_676 Depth=1
	s_or_b32 exec_lo, exec_lo, s17
	s_delay_alu instid0(VALU_DEP_1) | instskip(NEXT) | instid1(VALU_DEP_2)
	v_dual_lshlrev_b32 v12, 8, v29 :: v_dual_lshlrev_b32 v27, 23, v27
	v_lshl_add_u32 v29, v36, 10, 0x2000
	s_delay_alu instid0(VALU_DEP_1) | instskip(NEXT) | instid1(VALU_DEP_1)
	v_and_or_b32 v12, 0x8000, v12, v29
	v_lshl_or_b32 v27, v12, 16, v27
.LBB291_722:                            ;   in Loop: Header=BB291_676 Depth=1
	s_or_b32 exec_lo, exec_lo, s16
.LBB291_723:                            ;   in Loop: Header=BB291_676 Depth=1
	s_delay_alu instid0(SALU_CYCLE_1)
	s_or_b32 exec_lo, exec_lo, s15
.LBB291_724:                            ;   in Loop: Header=BB291_676 Depth=1
	s_delay_alu instid0(SALU_CYCLE_1) | instskip(SKIP_2) | instid1(VALU_DEP_1)
	s_or_b32 exec_lo, exec_lo, s0
	v_lshrrev_b32_e32 v12, 16, v23
	s_mov_b32 s0, exec_lo
	v_and_b32_e32 v29, 0xff, v12
	s_delay_alu instid0(VALU_DEP_1)
	v_cmpx_ne_u16_e32 0, v29
	s_cbranch_execz .LBB291_732
; %bb.725:                              ;   in Loop: Header=BB291_676 Depth=1
	v_mov_b32_e32 v28, 0x8000
	s_mov_b32 s15, exec_lo
	v_cmpx_ne_u16_e32 0x80, v29
	s_cbranch_execz .LBB291_731
; %bb.726:                              ;   in Loop: Header=BB291_676 Depth=1
	v_bfe_u32 v36, v23, 16, 7
	v_mov_b32_e32 v28, 0x7c01
	s_mov_b32 s16, exec_lo
	s_delay_alu instid0(VALU_DEP_2)
	v_cmpx_ne_u32_e32 0x7f, v36
	s_cbranch_execz .LBB291_730
; %bb.727:                              ;   in Loop: Header=BB291_676 Depth=1
	v_and_b32_e32 v28, 7, v12
	v_lshrrev_b32_e32 v29, 3, v36
	s_mov_b32 s17, exec_lo
	v_cmpx_gt_u32_e32 8, v36
; %bb.728:                              ;   in Loop: Header=BB291_676 Depth=1
	s_delay_alu instid0(VALU_DEP_3) | instskip(NEXT) | instid1(VALU_DEP_1)
	v_clz_i32_u32_e32 v28, v28
	v_min_u32_e32 v36, 32, v28
	s_delay_alu instid0(VALU_DEP_1) | instskip(NEXT) | instid1(VALU_DEP_1)
	v_subrev_nc_u32_e32 v28, 28, v36
	v_lshlrev_b64_e32 v[28:29], v28, v[12:13]
	v_sub_nc_u32_e32 v29, 29, v36
	s_delay_alu instid0(VALU_DEP_2)
	v_and_b32_e32 v28, 7, v28
; %bb.729:                              ;   in Loop: Header=BB291_676 Depth=1
	s_or_b32 exec_lo, exec_lo, s17
	v_lshlrev_b32_e32 v12, 8, v12
	s_delay_alu instid0(VALU_DEP_3) | instskip(NEXT) | instid1(VALU_DEP_3)
	v_lshl_add_u32 v29, v29, 10, 0x2000
	v_lshlrev_b32_e32 v28, 7, v28
	s_delay_alu instid0(VALU_DEP_3) | instskip(NEXT) | instid1(VALU_DEP_3)
	v_and_b32_e32 v12, 0x8000, v12
	v_and_b32_e32 v29, 0xfc00, v29
	s_delay_alu instid0(VALU_DEP_1)
	v_or3_b32 v28, v12, v29, v28
.LBB291_730:                            ;   in Loop: Header=BB291_676 Depth=1
	s_or_b32 exec_lo, exec_lo, s16
.LBB291_731:                            ;   in Loop: Header=BB291_676 Depth=1
	s_delay_alu instid0(SALU_CYCLE_1)
	s_or_b32 exec_lo, exec_lo, s15
.LBB291_732:                            ;   in Loop: Header=BB291_676 Depth=1
	s_delay_alu instid0(SALU_CYCLE_1)
	s_or_b32 exec_lo, exec_lo, s0
	v_cmp_lt_u64_e32 vcc_lo, s[2:3], v[22:23]
	v_mov_b32_e32 v22, 0
	s_and_saveexec_b32 s0, vcc_lo
	s_cbranch_execz .LBB291_740
; %bb.733:                              ;   in Loop: Header=BB291_676 Depth=1
	v_lshrrev_b32_e32 v12, 24, v23
	v_bfrev_b32_e32 v22, 1
	s_mov_b32 s15, exec_lo
	s_delay_alu instid0(VALU_DEP_2)
	v_cmpx_ne_u32_e32 0x80, v12
	s_cbranch_execz .LBB291_739
; %bb.734:                              ;   in Loop: Header=BB291_676 Depth=1
	v_and_b32_e32 v29, 0x7f, v12
	v_mov_b32_e32 v22, 0x7c010000
	s_mov_b32 s16, exec_lo
	s_delay_alu instid0(VALU_DEP_2)
	v_cmpx_ne_u32_e32 0x7f, v29
	s_cbranch_execz .LBB291_738
; %bb.735:                              ;   in Loop: Header=BB291_676 Depth=1
	v_dual_lshrrev_b32 v23, 3, v29 :: v_dual_bitop2_b32 v22, 7, v12 bitop3:0x40
	s_mov_b32 s17, exec_lo
	v_cmpx_gt_u32_e32 8, v29
; %bb.736:                              ;   in Loop: Header=BB291_676 Depth=1
	s_delay_alu instid0(VALU_DEP_2) | instskip(NEXT) | instid1(VALU_DEP_1)
	v_clz_i32_u32_e32 v22, v22
	v_min_u32_e32 v29, 32, v22
	s_delay_alu instid0(VALU_DEP_1) | instskip(NEXT) | instid1(VALU_DEP_1)
	v_subrev_nc_u32_e32 v22, 28, v29
	v_lshlrev_b64_e32 v[22:23], v22, v[12:13]
	s_delay_alu instid0(VALU_DEP_1)
	v_dual_sub_nc_u32 v23, 29, v29 :: v_dual_bitop2_b32 v22, 7, v22 bitop3:0x40
; %bb.737:                              ;   in Loop: Header=BB291_676 Depth=1
	s_or_b32 exec_lo, exec_lo, s17
	s_delay_alu instid0(VALU_DEP_1) | instskip(NEXT) | instid1(VALU_DEP_2)
	v_dual_lshlrev_b32 v12, 8, v12 :: v_dual_lshlrev_b32 v22, 23, v22
	v_lshl_add_u32 v23, v23, 10, 0x2000
	s_delay_alu instid0(VALU_DEP_1) | instskip(NEXT) | instid1(VALU_DEP_1)
	v_and_or_b32 v12, 0x8000, v12, v23
	v_lshl_or_b32 v22, v12, 16, v22
.LBB291_738:                            ;   in Loop: Header=BB291_676 Depth=1
	s_or_b32 exec_lo, exec_lo, s16
.LBB291_739:                            ;   in Loop: Header=BB291_676 Depth=1
	s_delay_alu instid0(SALU_CYCLE_1)
	s_or_b32 exec_lo, exec_lo, s15
.LBB291_740:                            ;   in Loop: Header=BB291_676 Depth=1
	s_delay_alu instid0(SALU_CYCLE_1) | instskip(SKIP_3) | instid1(VALU_DEP_3)
	s_or_b32 exec_lo, exec_lo, s0
	v_dual_lshrrev_b32 v12, 16, v24 :: v_dual_lshrrev_b32 v23, 16, v26
	v_dual_lshrrev_b32 v24, 16, v27 :: v_dual_bitop2_b32 v1, v24, v1 bitop3:0x54
	v_dual_lshrrev_b32 v26, 16, v22 :: v_dual_bitop2_b32 v21, v26, v21 bitop3:0x54
	v_cvt_f32_f16_e32 v37, v12
	s_delay_alu instid0(VALU_DEP_4) | instskip(SKIP_1) | instid1(VALU_DEP_4)
	v_cvt_f32_f16_e32 v36, v23
	v_or_b32_e32 v12, v22, v28
	v_cvt_f32_f16_e32 v22, v21
	v_cvt_f32_f16_e32 v23, v1
	v_cmp_eq_u32_e32 vcc_lo, s10, v35
	s_wait_loadcnt 0x0
	v_pk_mul_f32 v[28:29], v[20:21], v[36:37] op_sel_hi:[0,1]
	v_or_b32_e32 v21, v27, v25
	v_cvt_f32_f16_e32 v25, v24
	v_cvt_f32_f16_e32 v24, v26
	;; [unrolled: 1-line block ×3, first 2 shown]
	v_cvt_pk_f16_f32 v1, v28, v29
	v_pk_mul_f32 v[22:23], v[20:21], v[22:23] op_sel_hi:[0,1]
	v_or_b32_e32 v41, 1, v33
	v_or_b32_e32 v40, 3, v33
	;; [unrolled: 1-line block ×4, first 2 shown]
	v_cvt_pk_f16_f32 v12, v22, v23
	v_or_b32_e32 v37, 5, v33
	v_dual_add_nc_u32 v42, 2, v33 :: v_dual_bitop2_b32 v36, 7, v33 bitop3:0x54
	s_delay_alu instid0(VALU_DEP_3) | instskip(SKIP_3) | instid1(VALU_DEP_3)
	v_lshrrev_b32_e32 v29, 16, v12
	v_cvt_f32_f16_e32 v27, v21
	v_pk_mul_f32 v[24:25], v[20:21], v[24:25] op_sel_hi:[0,1]
	v_and_b32_e32 v28, 0xffff, v12
	v_pk_mul_f32 v[20:21], v[20:21], v[26:27] op_sel_hi:[0,1]
	s_delay_alu instid0(VALU_DEP_3) | instskip(SKIP_2) | instid1(VALU_DEP_4)
	v_cvt_pk_f16_f32 v22, v24, v25
	v_and_b32_e32 v27, 0xffff0000, v1
	v_lshlrev_b32_e32 v26, 16, v1
	v_cvt_pk_f16_f32 v20, v20, v21
	s_delay_alu instid0(VALU_DEP_4) | instskip(NEXT) | instid1(VALU_DEP_4)
	v_and_b32_e32 v1, 0xffff0000, v22
	v_dual_lshlrev_b32 v12, 16, v22 :: v_dual_bitop2_b32 v23, v27, v29 bitop3:0x54
	s_delay_alu instid0(VALU_DEP_4) | instskip(NEXT) | instid1(VALU_DEP_4)
	v_or_b32_e32 v22, v26, v28
	v_lshrrev_b32_e32 v25, 16, v20
	v_and_b32_e32 v24, 0xffff, v20
	s_delay_alu instid0(VALU_DEP_2) | instskip(NEXT) | instid1(VALU_DEP_2)
	v_or_b32_e32 v21, v1, v25
	v_or_b32_e32 v20, v12, v24
	s_and_saveexec_b32 s15, vcc_lo
	s_cbranch_execz .LBB291_742
; %bb.741:                              ;   in Loop: Header=BB291_676 Depth=1
	v_cmp_gt_i32_e64 s0, s14, v33
	s_delay_alu instid0(VALU_DEP_1) | instskip(SKIP_1) | instid1(VALU_DEP_1)
	v_cndmask_b32_e64 v20, 0, v29, s0
	v_cmp_gt_i32_e64 s0, s25, v42
	v_cndmask_b32_e64 v21, 0, v28, s0
	v_cmp_gt_i32_e64 s0, s14, v41
	s_delay_alu instid0(VALU_DEP_1) | instskip(SKIP_1) | instid1(VALU_DEP_1)
	v_cndmask_b32_e64 v22, 0, v27, s0
	v_cmp_gt_i32_e64 s0, s25, v40
	v_cndmask_b32_e64 v26, 0, v26, s0
	v_cmp_gt_i32_e64 s0, s14, v39
	s_delay_alu instid0(VALU_DEP_4) | instskip(NEXT) | instid1(VALU_DEP_3)
	v_or_b32_e32 v23, v22, v20
	v_or_b32_e32 v22, v26, v21
	s_delay_alu instid0(VALU_DEP_3) | instskip(SKIP_1) | instid1(VALU_DEP_1)
	v_cndmask_b32_e64 v25, 0, v25, s0
	v_cmp_gt_i32_e64 s0, s25, v38
	v_cndmask_b32_e64 v24, 0, v24, s0
	v_cmp_gt_i32_e64 s0, s14, v37
	s_delay_alu instid0(VALU_DEP_1) | instskip(SKIP_1) | instid1(VALU_DEP_1)
	v_cndmask_b32_e64 v1, 0, v1, s0
	v_cmp_gt_i32_e64 s0, s25, v36
	v_dual_cndmask_b32 v12, 0, v12, s0 :: v_dual_bitop2_b32 v21, v1, v25 bitop3:0x54
	s_delay_alu instid0(VALU_DEP_1)
	v_or_b32_e32 v20, v12, v24
.LBB291_742:                            ;   in Loop: Header=BB291_676 Depth=1
	s_or_b32 exec_lo, exec_lo, s15
	v_and_b32_e32 v1, 0xffff, v46
	v_and_b32_e32 v12, 0xffff, v47
	;; [unrolled: 1-line block ×4, first 2 shown]
	s_mov_b32 s15, exec_lo
	v_lshl_or_b32 v48, v43, 16, v1
	;;#ASMSTART
	v_pk_mul_f16 v1, v48, v23;

	;;#ASMEND
	v_lshl_or_b32 v47, v44, 16, v12
	v_lshl_or_b32 v46, v45, 16, v24
	;; [unrolled: 1-line block ×3, first 2 shown]
	;;#ASMSTART
	v_pk_mul_f16 v12, v47, v22;

	;;#ASMEND
	;;#ASMSTART
	v_pk_mul_f16 v21, v46, v21;

	;;#ASMEND
	;; [unrolled: 4-line block ×3, first 2 shown]
	;;#ASMSTART
	v_pk_add_f16 v1, v1, v12;

	;;#ASMEND
	;;#ASMSTART
	v_pk_add_f16 v1, v1, v21;

	;;#ASMEND
	;; [unrolled: 4-line block ×3, first 2 shown]
	v_and_b32_e32 v12, 0xffff, v1
	v_dual_lshrrev_b32 v1, 16, v1 :: v_dual_mov_b32 v21, 0
	;;#ASMSTART
	v_cvt_f32_f16 v49, v12;
	;;#ASMEND
	;;#ASMSTART
	v_cvt_f32_f16 v50, v1;
	;;#ASMEND
	global_load_b64 v[22:23], v[18:19], off offset:256
	v_mov_b32_e32 v1, 0
	global_load_b32 v20, v1, s[6:7]
	s_wait_loadcnt 0x1
	v_and_b32_e32 v12, 0xff, v22
	s_wait_xcnt 0x0
	s_delay_alu instid0(VALU_DEP_1)
	v_cmpx_ne_u16_e32 0, v12
	s_cbranch_execz .LBB291_750
; %bb.743:                              ;   in Loop: Header=BB291_676 Depth=1
	v_mov_b32_e32 v21, 0x8000
	s_mov_b32 s16, exec_lo
	v_cmpx_ne_u16_e32 0x80, v12
	s_cbranch_execz .LBB291_749
; %bb.744:                              ;   in Loop: Header=BB291_676 Depth=1
	v_and_b32_e32 v24, 0x7f, v22
	v_mov_b32_e32 v21, 0x7c01
	s_mov_b32 s17, exec_lo
	s_delay_alu instid0(VALU_DEP_2)
	v_cmpx_ne_u32_e32 0x7f, v24
	s_cbranch_execz .LBB291_748
; %bb.745:                              ;   in Loop: Header=BB291_676 Depth=1
	v_dual_lshrrev_b32 v21, 3, v24 :: v_dual_bitop2_b32 v12, 7, v22 bitop3:0x40
	s_mov_b32 s18, exec_lo
	v_cmpx_gt_u32_e32 8, v24
; %bb.746:                              ;   in Loop: Header=BB291_676 Depth=1
	s_delay_alu instid0(VALU_DEP_2) | instskip(NEXT) | instid1(VALU_DEP_1)
	v_clz_i32_u32_e32 v12, v12
	v_min_u32_e32 v12, 32, v12
	s_delay_alu instid0(VALU_DEP_1) | instskip(NEXT) | instid1(VALU_DEP_1)
	v_subrev_nc_u32_e32 v21, 28, v12
	v_lshlrev_b64_e32 v[24:25], v21, v[22:23]
	v_sub_nc_u32_e32 v21, 29, v12
	s_delay_alu instid0(VALU_DEP_2)
	v_and_b32_e32 v12, 7, v24
; %bb.747:                              ;   in Loop: Header=BB291_676 Depth=1
	s_or_b32 exec_lo, exec_lo, s18
	s_delay_alu instid0(VALU_DEP_1) | instskip(NEXT) | instid1(VALU_DEP_3)
	v_dual_lshlrev_b32 v24, 8, v22 :: v_dual_lshlrev_b32 v12, 7, v12
	v_lshl_add_u32 v21, v21, 10, 0x2000
	s_delay_alu instid0(VALU_DEP_2) | instskip(NEXT) | instid1(VALU_DEP_2)
	v_and_b32_e32 v24, 0x8000, v24
	v_and_b32_e32 v21, 0xfc00, v21
	s_delay_alu instid0(VALU_DEP_1)
	v_or3_b32 v21, v24, v21, v12
.LBB291_748:                            ;   in Loop: Header=BB291_676 Depth=1
	s_or_b32 exec_lo, exec_lo, s17
.LBB291_749:                            ;   in Loop: Header=BB291_676 Depth=1
	s_delay_alu instid0(SALU_CYCLE_1)
	s_or_b32 exec_lo, exec_lo, s16
.LBB291_750:                            ;   in Loop: Header=BB291_676 Depth=1
	s_delay_alu instid0(SALU_CYCLE_1) | instskip(SKIP_2) | instid1(VALU_DEP_1)
	s_or_b32 exec_lo, exec_lo, s15
	v_lshrrev_b16 v12, 8, v22
	s_mov_b32 s15, exec_lo
	v_cmpx_ne_u16_e32 0, v12
	s_cbranch_execz .LBB291_758
; %bb.751:                              ;   in Loop: Header=BB291_676 Depth=1
	v_bfrev_b32_e32 v1, 1
	s_mov_b32 s16, exec_lo
	v_cmpx_ne_u16_e32 0x80, v12
	s_cbranch_execz .LBB291_757
; %bb.752:                              ;   in Loop: Header=BB291_676 Depth=1
	v_and_b32_e32 v24, 0xffff, v12
	v_mov_b32_e32 v1, 0x7c010000
	s_mov_b32 s17, exec_lo
	s_delay_alu instid0(VALU_DEP_2) | instskip(NEXT) | instid1(VALU_DEP_1)
	v_and_b32_e32 v26, 0x7f, v24
	v_cmpx_ne_u32_e32 0x7f, v26
	s_cbranch_execz .LBB291_756
; %bb.753:                              ;   in Loop: Header=BB291_676 Depth=1
	v_dual_lshrrev_b32 v25, 3, v26 :: v_dual_bitop2_b32 v1, 7, v24 bitop3:0x40
	s_mov_b32 s18, exec_lo
	v_cmpx_gt_u32_e32 8, v26
; %bb.754:                              ;   in Loop: Header=BB291_676 Depth=1
	s_delay_alu instid0(VALU_DEP_2) | instskip(NEXT) | instid1(VALU_DEP_1)
	v_clz_i32_u32_e32 v1, v1
	v_min_u32_e32 v1, 32, v1
	s_delay_alu instid0(VALU_DEP_1) | instskip(NEXT) | instid1(VALU_DEP_1)
	v_subrev_nc_u32_e32 v25, 28, v1
	v_lshlrev_b64_e32 v[26:27], v25, v[12:13]
	s_delay_alu instid0(VALU_DEP_1)
	v_dual_sub_nc_u32 v25, 29, v1 :: v_dual_bitop2_b32 v1, 7, v26 bitop3:0x40
; %bb.755:                              ;   in Loop: Header=BB291_676 Depth=1
	s_or_b32 exec_lo, exec_lo, s18
	s_delay_alu instid0(VALU_DEP_1) | instskip(NEXT) | instid1(VALU_DEP_2)
	v_dual_lshlrev_b32 v12, 8, v24 :: v_dual_lshlrev_b32 v1, 23, v1
	v_lshl_add_u32 v24, v25, 10, 0x2000
	s_delay_alu instid0(VALU_DEP_1) | instskip(NEXT) | instid1(VALU_DEP_1)
	v_and_or_b32 v12, 0x8000, v12, v24
	v_lshl_or_b32 v1, v12, 16, v1
.LBB291_756:                            ;   in Loop: Header=BB291_676 Depth=1
	s_or_b32 exec_lo, exec_lo, s17
.LBB291_757:                            ;   in Loop: Header=BB291_676 Depth=1
	s_delay_alu instid0(SALU_CYCLE_1)
	s_or_b32 exec_lo, exec_lo, s16
.LBB291_758:                            ;   in Loop: Header=BB291_676 Depth=1
	s_delay_alu instid0(SALU_CYCLE_1) | instskip(SKIP_3) | instid1(VALU_DEP_2)
	s_or_b32 exec_lo, exec_lo, s15
	v_dual_lshrrev_b32 v12, 16, v22 :: v_dual_mov_b32 v24, 0
	v_mov_b32_e32 v25, 0
	s_mov_b32 s15, exec_lo
	v_and_b32_e32 v26, 0xff, v12
	s_delay_alu instid0(VALU_DEP_1)
	v_cmpx_ne_u16_e32 0, v26
	s_cbranch_execz .LBB291_766
; %bb.759:                              ;   in Loop: Header=BB291_676 Depth=1
	v_mov_b32_e32 v25, 0x8000
	s_mov_b32 s16, exec_lo
	v_cmpx_ne_u16_e32 0x80, v26
	s_cbranch_execz .LBB291_765
; %bb.760:                              ;   in Loop: Header=BB291_676 Depth=1
	v_bfe_u32 v27, v22, 16, 7
	v_mov_b32_e32 v25, 0x7c01
	s_mov_b32 s17, exec_lo
	s_delay_alu instid0(VALU_DEP_2)
	v_cmpx_ne_u32_e32 0x7f, v27
	s_cbranch_execz .LBB291_764
; %bb.761:                              ;   in Loop: Header=BB291_676 Depth=1
	v_dual_lshrrev_b32 v26, 3, v27 :: v_dual_bitop2_b32 v25, 7, v12 bitop3:0x40
	s_mov_b32 s18, exec_lo
	v_cmpx_gt_u32_e32 8, v27
; %bb.762:                              ;   in Loop: Header=BB291_676 Depth=1
	s_delay_alu instid0(VALU_DEP_2) | instskip(NEXT) | instid1(VALU_DEP_1)
	v_clz_i32_u32_e32 v25, v25
	v_min_u32_e32 v25, 32, v25
	s_delay_alu instid0(VALU_DEP_1) | instskip(NEXT) | instid1(VALU_DEP_1)
	v_subrev_nc_u32_e32 v26, 28, v25
	v_lshlrev_b64_e32 v[28:29], v26, v[12:13]
	s_delay_alu instid0(VALU_DEP_1)
	v_dual_sub_nc_u32 v26, 29, v25 :: v_dual_bitop2_b32 v25, 7, v28 bitop3:0x40
; %bb.763:                              ;   in Loop: Header=BB291_676 Depth=1
	s_or_b32 exec_lo, exec_lo, s18
	s_delay_alu instid0(VALU_DEP_1) | instskip(NEXT) | instid1(VALU_DEP_2)
	v_dual_lshlrev_b32 v12, 8, v12 :: v_dual_lshlrev_b32 v25, 7, v25
	v_lshl_add_u32 v26, v26, 10, 0x2000
	s_delay_alu instid0(VALU_DEP_2) | instskip(NEXT) | instid1(VALU_DEP_2)
	v_and_b32_e32 v12, 0x8000, v12
	v_and_b32_e32 v26, 0xfc00, v26
	s_delay_alu instid0(VALU_DEP_1)
	v_or3_b32 v25, v12, v26, v25
.LBB291_764:                            ;   in Loop: Header=BB291_676 Depth=1
	s_or_b32 exec_lo, exec_lo, s17
.LBB291_765:                            ;   in Loop: Header=BB291_676 Depth=1
	s_delay_alu instid0(SALU_CYCLE_1)
	s_or_b32 exec_lo, exec_lo, s16
.LBB291_766:                            ;   in Loop: Header=BB291_676 Depth=1
	s_delay_alu instid0(SALU_CYCLE_1) | instskip(NEXT) | instid1(SALU_CYCLE_1)
	s_or_b32 exec_lo, exec_lo, s15
	s_mov_b32 s15, exec_lo
	v_cmpx_lt_u32_e32 0xffffff, v22
	s_cbranch_execz .LBB291_774
; %bb.767:                              ;   in Loop: Header=BB291_676 Depth=1
	v_lshrrev_b32_e32 v12, 24, v22
	v_bfrev_b32_e32 v24, 1
	s_mov_b32 s16, exec_lo
	s_delay_alu instid0(VALU_DEP_2)
	v_cmpx_ne_u32_e32 0x80, v12
	s_cbranch_execz .LBB291_773
; %bb.768:                              ;   in Loop: Header=BB291_676 Depth=1
	v_and_b32_e32 v27, 0x7f, v12
	v_mov_b32_e32 v24, 0x7c010000
	s_mov_b32 s17, exec_lo
	s_delay_alu instid0(VALU_DEP_2)
	v_cmpx_ne_u32_e32 0x7f, v27
	s_cbranch_execz .LBB291_772
; %bb.769:                              ;   in Loop: Header=BB291_676 Depth=1
	v_dual_lshrrev_b32 v26, 3, v27 :: v_dual_bitop2_b32 v24, 7, v12 bitop3:0x40
	s_mov_b32 s18, exec_lo
	v_cmpx_gt_u32_e32 8, v27
; %bb.770:                              ;   in Loop: Header=BB291_676 Depth=1
	s_delay_alu instid0(VALU_DEP_2) | instskip(NEXT) | instid1(VALU_DEP_1)
	v_clz_i32_u32_e32 v24, v24
	v_min_u32_e32 v24, 32, v24
	s_delay_alu instid0(VALU_DEP_1) | instskip(NEXT) | instid1(VALU_DEP_1)
	v_subrev_nc_u32_e32 v26, 28, v24
	v_lshlrev_b64_e32 v[28:29], v26, v[12:13]
	v_sub_nc_u32_e32 v26, 29, v24
	s_delay_alu instid0(VALU_DEP_2)
	v_and_b32_e32 v24, 7, v28
; %bb.771:                              ;   in Loop: Header=BB291_676 Depth=1
	s_or_b32 exec_lo, exec_lo, s18
	v_lshlrev_b32_e32 v12, 8, v12
	s_delay_alu instid0(VALU_DEP_3) | instskip(NEXT) | instid1(VALU_DEP_3)
	v_lshl_add_u32 v26, v26, 10, 0x2000
	v_lshlrev_b32_e32 v24, 23, v24
	s_delay_alu instid0(VALU_DEP_2) | instskip(NEXT) | instid1(VALU_DEP_1)
	v_and_or_b32 v12, 0x8000, v12, v26
	v_lshl_or_b32 v24, v12, 16, v24
.LBB291_772:                            ;   in Loop: Header=BB291_676 Depth=1
	s_or_b32 exec_lo, exec_lo, s17
.LBB291_773:                            ;   in Loop: Header=BB291_676 Depth=1
	s_delay_alu instid0(SALU_CYCLE_1)
	s_or_b32 exec_lo, exec_lo, s16
.LBB291_774:                            ;   in Loop: Header=BB291_676 Depth=1
	s_delay_alu instid0(SALU_CYCLE_1) | instskip(SKIP_4) | instid1(VALU_DEP_3)
	s_or_b32 exec_lo, exec_lo, s15
	v_and_b32_e32 v28, 0xff, v23
	v_dual_mov_b32 v12, v23 :: v_dual_mov_b32 v27, 0
	v_mov_b32_e32 v26, 0
	s_mov_b32 s15, exec_lo
	v_cmpx_ne_u16_e32 0, v28
	s_cbranch_execz .LBB291_782
; %bb.775:                              ;   in Loop: Header=BB291_676 Depth=1
	v_mov_b32_e32 v26, 0x8000
	s_mov_b32 s16, exec_lo
	v_cmpx_ne_u16_e32 0x80, v28
	s_cbranch_execz .LBB291_781
; %bb.776:                              ;   in Loop: Header=BB291_676 Depth=1
	v_and_b32_e32 v29, 0x7f, v23
	v_mov_b32_e32 v26, 0x7c01
	s_mov_b32 s17, exec_lo
	s_delay_alu instid0(VALU_DEP_2)
	v_cmpx_ne_u32_e32 0x7f, v29
	s_cbranch_execz .LBB291_780
; %bb.777:                              ;   in Loop: Header=BB291_676 Depth=1
	v_dual_lshrrev_b32 v28, 3, v29 :: v_dual_bitop2_b32 v26, 7, v23 bitop3:0x40
	s_mov_b32 s18, exec_lo
	v_cmpx_gt_u32_e32 8, v29
; %bb.778:                              ;   in Loop: Header=BB291_676 Depth=1
	s_delay_alu instid0(VALU_DEP_2) | instskip(NEXT) | instid1(VALU_DEP_1)
	v_clz_i32_u32_e32 v26, v26
	v_min_u32_e32 v26, 32, v26
	s_delay_alu instid0(VALU_DEP_1) | instskip(NEXT) | instid1(VALU_DEP_1)
	v_subrev_nc_u32_e32 v28, 28, v26
	v_lshlrev_b64_e32 v[52:53], v28, v[12:13]
	s_delay_alu instid0(VALU_DEP_1)
	v_dual_sub_nc_u32 v28, 29, v26 :: v_dual_bitop2_b32 v26, 7, v52 bitop3:0x40
; %bb.779:                              ;   in Loop: Header=BB291_676 Depth=1
	s_or_b32 exec_lo, exec_lo, s18
	s_delay_alu instid0(VALU_DEP_1) | instskip(NEXT) | instid1(VALU_DEP_2)
	v_dual_lshlrev_b32 v29, 8, v23 :: v_dual_lshlrev_b32 v26, 7, v26
	v_lshl_add_u32 v28, v28, 10, 0x2000
	s_delay_alu instid0(VALU_DEP_2) | instskip(NEXT) | instid1(VALU_DEP_2)
	v_and_b32_e32 v29, 0x8000, v29
	v_and_b32_e32 v28, 0xfc00, v28
	s_delay_alu instid0(VALU_DEP_1)
	v_or3_b32 v26, v29, v28, v26
.LBB291_780:                            ;   in Loop: Header=BB291_676 Depth=1
	s_or_b32 exec_lo, exec_lo, s17
.LBB291_781:                            ;   in Loop: Header=BB291_676 Depth=1
	s_delay_alu instid0(SALU_CYCLE_1)
	s_or_b32 exec_lo, exec_lo, s16
.LBB291_782:                            ;   in Loop: Header=BB291_676 Depth=1
	s_delay_alu instid0(SALU_CYCLE_1) | instskip(SKIP_3) | instid1(VALU_DEP_2)
	s_or_b32 exec_lo, exec_lo, s15
	v_lshrrev_b16 v12, 8, v12
	v_mov_b32_e32 v28, 0
	s_mov_b32 s15, exec_lo
	v_cmpx_ne_u16_e32 0, v12
	s_cbranch_execz .LBB291_790
; %bb.783:                              ;   in Loop: Header=BB291_676 Depth=1
	v_bfrev_b32_e32 v28, 1
	s_mov_b32 s16, exec_lo
	v_cmpx_ne_u16_e32 0x80, v12
	s_cbranch_execz .LBB291_789
; %bb.784:                              ;   in Loop: Header=BB291_676 Depth=1
	v_and_b32_e32 v29, 0xffff, v12
	v_mov_b32_e32 v28, 0x7c010000
	s_mov_b32 s17, exec_lo
	s_delay_alu instid0(VALU_DEP_2) | instskip(NEXT) | instid1(VALU_DEP_1)
	v_and_b32_e32 v44, 0x7f, v29
	v_cmpx_ne_u32_e32 0x7f, v44
	s_cbranch_execz .LBB291_788
; %bb.785:                              ;   in Loop: Header=BB291_676 Depth=1
	v_dual_lshrrev_b32 v43, 3, v44 :: v_dual_bitop2_b32 v28, 7, v29 bitop3:0x40
	s_mov_b32 s18, exec_lo
	v_cmpx_gt_u32_e32 8, v44
; %bb.786:                              ;   in Loop: Header=BB291_676 Depth=1
	s_delay_alu instid0(VALU_DEP_2) | instskip(NEXT) | instid1(VALU_DEP_1)
	v_clz_i32_u32_e32 v28, v28
	v_min_u32_e32 v28, 32, v28
	s_delay_alu instid0(VALU_DEP_1) | instskip(NEXT) | instid1(VALU_DEP_1)
	v_subrev_nc_u32_e32 v43, 28, v28
	v_lshlrev_b64_e32 v[52:53], v43, v[12:13]
	v_sub_nc_u32_e32 v43, 29, v28
	s_delay_alu instid0(VALU_DEP_2)
	v_and_b32_e32 v28, 7, v52
; %bb.787:                              ;   in Loop: Header=BB291_676 Depth=1
	s_or_b32 exec_lo, exec_lo, s18
	s_delay_alu instid0(VALU_DEP_1) | instskip(NEXT) | instid1(VALU_DEP_3)
	v_dual_lshlrev_b32 v12, 8, v29 :: v_dual_lshlrev_b32 v28, 23, v28
	v_lshl_add_u32 v29, v43, 10, 0x2000
	s_delay_alu instid0(VALU_DEP_1) | instskip(NEXT) | instid1(VALU_DEP_1)
	v_and_or_b32 v12, 0x8000, v12, v29
	v_lshl_or_b32 v28, v12, 16, v28
.LBB291_788:                            ;   in Loop: Header=BB291_676 Depth=1
	s_or_b32 exec_lo, exec_lo, s17
.LBB291_789:                            ;   in Loop: Header=BB291_676 Depth=1
	s_delay_alu instid0(SALU_CYCLE_1)
	s_or_b32 exec_lo, exec_lo, s16
.LBB291_790:                            ;   in Loop: Header=BB291_676 Depth=1
	s_delay_alu instid0(SALU_CYCLE_1) | instskip(SKIP_2) | instid1(VALU_DEP_1)
	s_or_b32 exec_lo, exec_lo, s15
	v_lshrrev_b32_e32 v12, 16, v23
	s_mov_b32 s15, exec_lo
	v_and_b32_e32 v29, 0xff, v12
	s_delay_alu instid0(VALU_DEP_1)
	v_cmpx_ne_u16_e32 0, v29
	s_cbranch_execz .LBB291_798
; %bb.791:                              ;   in Loop: Header=BB291_676 Depth=1
	v_mov_b32_e32 v27, 0x8000
	s_mov_b32 s16, exec_lo
	v_cmpx_ne_u16_e32 0x80, v29
	s_cbranch_execz .LBB291_797
; %bb.792:                              ;   in Loop: Header=BB291_676 Depth=1
	v_bfe_u32 v43, v23, 16, 7
	v_mov_b32_e32 v27, 0x7c01
	s_mov_b32 s17, exec_lo
	s_delay_alu instid0(VALU_DEP_2)
	v_cmpx_ne_u32_e32 0x7f, v43
	s_cbranch_execz .LBB291_796
; %bb.793:                              ;   in Loop: Header=BB291_676 Depth=1
	v_dual_lshrrev_b32 v29, 3, v43 :: v_dual_bitop2_b32 v27, 7, v12 bitop3:0x40
	s_mov_b32 s18, exec_lo
	v_cmpx_gt_u32_e32 8, v43
; %bb.794:                              ;   in Loop: Header=BB291_676 Depth=1
	s_delay_alu instid0(VALU_DEP_2) | instskip(NEXT) | instid1(VALU_DEP_1)
	v_clz_i32_u32_e32 v27, v27
	v_min_u32_e32 v27, 32, v27
	s_delay_alu instid0(VALU_DEP_1) | instskip(NEXT) | instid1(VALU_DEP_1)
	v_subrev_nc_u32_e32 v29, 28, v27
	v_lshlrev_b64_e32 v[52:53], v29, v[12:13]
	s_delay_alu instid0(VALU_DEP_1)
	v_dual_sub_nc_u32 v29, 29, v27 :: v_dual_bitop2_b32 v27, 7, v52 bitop3:0x40
; %bb.795:                              ;   in Loop: Header=BB291_676 Depth=1
	s_or_b32 exec_lo, exec_lo, s18
	s_delay_alu instid0(VALU_DEP_1) | instskip(NEXT) | instid1(VALU_DEP_2)
	v_dual_lshlrev_b32 v12, 8, v12 :: v_dual_lshlrev_b32 v27, 7, v27
	v_lshl_add_u32 v29, v29, 10, 0x2000
	s_delay_alu instid0(VALU_DEP_2) | instskip(NEXT) | instid1(VALU_DEP_2)
	v_and_b32_e32 v12, 0x8000, v12
	v_and_b32_e32 v29, 0xfc00, v29
	s_delay_alu instid0(VALU_DEP_1)
	v_or3_b32 v27, v12, v29, v27
.LBB291_796:                            ;   in Loop: Header=BB291_676 Depth=1
	s_or_b32 exec_lo, exec_lo, s17
.LBB291_797:                            ;   in Loop: Header=BB291_676 Depth=1
	s_delay_alu instid0(SALU_CYCLE_1)
	s_or_b32 exec_lo, exec_lo, s16
.LBB291_798:                            ;   in Loop: Header=BB291_676 Depth=1
	s_delay_alu instid0(SALU_CYCLE_1)
	s_or_b32 exec_lo, exec_lo, s15
	v_cmp_lt_u64_e64 s0, s[2:3], v[22:23]
	v_mov_b32_e32 v22, 0
	s_and_saveexec_b32 s15, s0
	s_cbranch_execz .LBB291_806
; %bb.799:                              ;   in Loop: Header=BB291_676 Depth=1
	v_lshrrev_b32_e32 v12, 24, v23
	v_bfrev_b32_e32 v22, 1
	s_mov_b32 s16, exec_lo
	s_delay_alu instid0(VALU_DEP_2)
	v_cmpx_ne_u32_e32 0x80, v12
	s_cbranch_execz .LBB291_805
; %bb.800:                              ;   in Loop: Header=BB291_676 Depth=1
	v_and_b32_e32 v29, 0x7f, v12
	v_mov_b32_e32 v22, 0x7c010000
	s_mov_b32 s17, exec_lo
	s_delay_alu instid0(VALU_DEP_2)
	v_cmpx_ne_u32_e32 0x7f, v29
	s_cbranch_execz .LBB291_804
; %bb.801:                              ;   in Loop: Header=BB291_676 Depth=1
	v_dual_lshrrev_b32 v23, 3, v29 :: v_dual_bitop2_b32 v22, 7, v12 bitop3:0x40
	s_mov_b32 s18, exec_lo
	v_cmpx_gt_u32_e32 8, v29
; %bb.802:                              ;   in Loop: Header=BB291_676 Depth=1
	s_delay_alu instid0(VALU_DEP_2) | instskip(NEXT) | instid1(VALU_DEP_1)
	v_clz_i32_u32_e32 v22, v22
	v_min_u32_e32 v29, 32, v22
	s_delay_alu instid0(VALU_DEP_1) | instskip(NEXT) | instid1(VALU_DEP_1)
	v_subrev_nc_u32_e32 v22, 28, v29
	v_lshlrev_b64_e32 v[22:23], v22, v[12:13]
	s_delay_alu instid0(VALU_DEP_1)
	v_dual_sub_nc_u32 v23, 29, v29 :: v_dual_bitop2_b32 v22, 7, v22 bitop3:0x40
; %bb.803:                              ;   in Loop: Header=BB291_676 Depth=1
	s_or_b32 exec_lo, exec_lo, s18
	s_delay_alu instid0(VALU_DEP_1) | instskip(NEXT) | instid1(VALU_DEP_2)
	v_dual_lshlrev_b32 v12, 8, v12 :: v_dual_lshlrev_b32 v22, 23, v22
	v_lshl_add_u32 v23, v23, 10, 0x2000
	s_delay_alu instid0(VALU_DEP_1) | instskip(NEXT) | instid1(VALU_DEP_1)
	v_and_or_b32 v12, 0x8000, v12, v23
	v_lshl_or_b32 v22, v12, 16, v22
.LBB291_804:                            ;   in Loop: Header=BB291_676 Depth=1
	s_or_b32 exec_lo, exec_lo, s17
.LBB291_805:                            ;   in Loop: Header=BB291_676 Depth=1
	s_delay_alu instid0(SALU_CYCLE_1)
	s_or_b32 exec_lo, exec_lo, s16
.LBB291_806:                            ;   in Loop: Header=BB291_676 Depth=1
	s_delay_alu instid0(SALU_CYCLE_1) | instskip(SKIP_3) | instid1(VALU_DEP_3)
	s_or_b32 exec_lo, exec_lo, s15
	v_dual_lshrrev_b32 v12, 16, v1 :: v_dual_lshrrev_b32 v23, 16, v24
	v_or_b32_e32 v1, v1, v21
	v_dual_lshrrev_b32 v29, 16, v22 :: v_dual_bitop2_b32 v21, v24, v25 bitop3:0x54
	v_cvt_f32_f16_e32 v25, v12
	s_delay_alu instid0(VALU_DEP_4) | instskip(SKIP_1) | instid1(VALU_DEP_4)
	v_cvt_f32_f16_e32 v24, v23
	v_dual_lshrrev_b32 v27, 16, v28 :: v_dual_bitop2_b32 v12, v22, v27 bitop3:0x54
	v_cvt_f32_f16_e32 v22, v21
	v_cvt_f32_f16_e32 v23, v1
	s_wait_loadcnt 0x0
	v_pk_mul_f32 v[24:25], v[20:21], v[24:25] op_sel_hi:[0,1]
	v_or_b32_e32 v21, v28, v26
	v_cvt_f32_f16_e32 v27, v27
	v_cvt_f32_f16_e32 v26, v29
	;; [unrolled: 1-line block ×3, first 2 shown]
	v_cvt_pk_f16_f32 v1, v24, v25
	v_cvt_f32_f16_e32 v29, v21
	v_pk_mul_f32 v[22:23], v[20:21], v[22:23] op_sel_hi:[0,1]
	v_pk_mul_f32 v[24:25], v[20:21], v[26:27] op_sel_hi:[0,1]
	s_delay_alu instid0(VALU_DEP_3) | instskip(NEXT) | instid1(VALU_DEP_3)
	v_pk_mul_f32 v[20:21], v[20:21], v[28:29] op_sel_hi:[0,1]
	v_cvt_pk_f16_f32 v12, v22, v23
	v_and_b32_e32 v23, 0xffff0000, v1
	s_delay_alu instid0(VALU_DEP_4)
	v_cvt_pk_f16_f32 v24, v24, v25
	v_lshlrev_b32_e32 v22, 16, v1
	v_cvt_pk_f16_f32 v20, v20, v21
	v_lshrrev_b32_e32 v29, 16, v12
	v_and_b32_e32 v28, 0xffff, v12
	v_and_b32_e32 v1, 0xffff0000, v24
	s_delay_alu instid0(VALU_DEP_3) | instskip(SKIP_3) | instid1(VALU_DEP_2)
	v_dual_lshlrev_b32 v12, 16, v24 :: v_dual_bitop2_b32 v27, v23, v29 bitop3:0x54
	v_lshrrev_b32_e32 v21, 16, v20
	v_and_b32_e32 v20, 0xffff, v20
	v_or_b32_e32 v26, v22, v28
	v_or_b32_e32 v24, v12, v20
	s_delay_alu instid0(VALU_DEP_4)
	v_or_b32_e32 v25, v1, v21
	s_and_saveexec_b32 s15, vcc_lo
	s_cbranch_execz .LBB291_808
; %bb.807:                              ;   in Loop: Header=BB291_676 Depth=1
	v_cmp_gt_i32_e64 s0, s14, v33
	s_delay_alu instid0(VALU_DEP_1) | instskip(SKIP_1) | instid1(VALU_DEP_1)
	v_cndmask_b32_e64 v24, 0, v29, s0
	v_cmp_gt_i32_e64 s0, s25, v42
	v_cndmask_b32_e64 v25, 0, v28, s0
	v_cmp_gt_i32_e64 s0, s14, v41
	s_delay_alu instid0(VALU_DEP_1) | instskip(SKIP_1) | instid1(VALU_DEP_1)
	v_cndmask_b32_e64 v23, 0, v23, s0
	v_cmp_gt_i32_e64 s0, s25, v40
	v_cndmask_b32_e64 v22, 0, v22, s0
	v_cmp_gt_i32_e64 s0, s14, v39
	s_delay_alu instid0(VALU_DEP_4) | instskip(NEXT) | instid1(VALU_DEP_3)
	v_or_b32_e32 v27, v23, v24
	v_or_b32_e32 v26, v22, v25
	s_delay_alu instid0(VALU_DEP_3) | instskip(SKIP_1) | instid1(VALU_DEP_1)
	v_cndmask_b32_e64 v21, 0, v21, s0
	v_cmp_gt_i32_e64 s0, s25, v38
	v_cndmask_b32_e64 v20, 0, v20, s0
	v_cmp_gt_i32_e64 s0, s14, v37
	s_delay_alu instid0(VALU_DEP_1) | instskip(SKIP_1) | instid1(VALU_DEP_1)
	v_cndmask_b32_e64 v1, 0, v1, s0
	v_cmp_gt_i32_e64 s0, s25, v36
	v_dual_cndmask_b32 v12, 0, v12, s0 :: v_dual_bitop2_b32 v25, v1, v21 bitop3:0x54
	s_delay_alu instid0(VALU_DEP_1)
	v_or_b32_e32 v24, v12, v20
.LBB291_808:                            ;   in Loop: Header=BB291_676 Depth=1
	s_or_b32 exec_lo, exec_lo, s15
	;;#ASMSTART
	v_pk_mul_f16 v1, v48, v27;

	;;#ASMEND
	;;#ASMSTART
	v_pk_mul_f16 v12, v47, v26;

	;;#ASMEND
	;; [unrolled: 4-line block ×4, first 2 shown]
	;;#ASMSTART
	v_pk_add_f16 v1, v1, v12;

	;;#ASMEND
	;;#ASMSTART
	v_pk_add_f16 v1, v1, v20;

	;;#ASMEND
	;; [unrolled: 4-line block ×3, first 2 shown]
	v_and_b32_e32 v12, 0xffff, v1
	v_dual_lshrrev_b32 v1, 16, v1 :: v_dual_mov_b32 v21, 0
	;;#ASMSTART
	v_cvt_f32_f16 v51, v12;
	;;#ASMEND
	;;#ASMSTART
	v_cvt_f32_f16 v52, v1;
	;;#ASMEND
	global_load_b64 v[22:23], v[18:19], off offset:512
	v_mov_b32_e32 v1, 0
	s_mov_b32 s15, exec_lo
	global_load_b32 v20, v1, s[6:7]
	s_wait_loadcnt 0x1
	v_and_b32_e32 v12, 0xff, v22
	s_wait_xcnt 0x0
	s_delay_alu instid0(VALU_DEP_1)
	v_cmpx_ne_u16_e32 0, v12
	s_cbranch_execz .LBB291_816
; %bb.809:                              ;   in Loop: Header=BB291_676 Depth=1
	v_mov_b32_e32 v21, 0x8000
	s_mov_b32 s16, exec_lo
	v_cmpx_ne_u16_e32 0x80, v12
	s_cbranch_execz .LBB291_815
; %bb.810:                              ;   in Loop: Header=BB291_676 Depth=1
	v_and_b32_e32 v24, 0x7f, v22
	v_mov_b32_e32 v21, 0x7c01
	s_mov_b32 s17, exec_lo
	s_delay_alu instid0(VALU_DEP_2)
	v_cmpx_ne_u32_e32 0x7f, v24
	s_cbranch_execz .LBB291_814
; %bb.811:                              ;   in Loop: Header=BB291_676 Depth=1
	v_dual_lshrrev_b32 v21, 3, v24 :: v_dual_bitop2_b32 v12, 7, v22 bitop3:0x40
	s_mov_b32 s18, exec_lo
	v_cmpx_gt_u32_e32 8, v24
; %bb.812:                              ;   in Loop: Header=BB291_676 Depth=1
	s_delay_alu instid0(VALU_DEP_2) | instskip(NEXT) | instid1(VALU_DEP_1)
	v_clz_i32_u32_e32 v12, v12
	v_min_u32_e32 v12, 32, v12
	s_delay_alu instid0(VALU_DEP_1) | instskip(NEXT) | instid1(VALU_DEP_1)
	v_subrev_nc_u32_e32 v21, 28, v12
	v_lshlrev_b64_e32 v[24:25], v21, v[22:23]
	v_sub_nc_u32_e32 v21, 29, v12
	s_delay_alu instid0(VALU_DEP_2)
	v_and_b32_e32 v12, 7, v24
; %bb.813:                              ;   in Loop: Header=BB291_676 Depth=1
	s_or_b32 exec_lo, exec_lo, s18
	s_delay_alu instid0(VALU_DEP_1) | instskip(NEXT) | instid1(VALU_DEP_3)
	v_dual_lshlrev_b32 v24, 8, v22 :: v_dual_lshlrev_b32 v12, 7, v12
	v_lshl_add_u32 v21, v21, 10, 0x2000
	s_delay_alu instid0(VALU_DEP_2) | instskip(NEXT) | instid1(VALU_DEP_2)
	v_and_b32_e32 v24, 0x8000, v24
	v_and_b32_e32 v21, 0xfc00, v21
	s_delay_alu instid0(VALU_DEP_1)
	v_or3_b32 v21, v24, v21, v12
.LBB291_814:                            ;   in Loop: Header=BB291_676 Depth=1
	s_or_b32 exec_lo, exec_lo, s17
.LBB291_815:                            ;   in Loop: Header=BB291_676 Depth=1
	s_delay_alu instid0(SALU_CYCLE_1)
	s_or_b32 exec_lo, exec_lo, s16
.LBB291_816:                            ;   in Loop: Header=BB291_676 Depth=1
	s_delay_alu instid0(SALU_CYCLE_1) | instskip(SKIP_2) | instid1(VALU_DEP_1)
	s_or_b32 exec_lo, exec_lo, s15
	v_lshrrev_b16 v12, 8, v22
	s_mov_b32 s15, exec_lo
	v_cmpx_ne_u16_e32 0, v12
	s_cbranch_execz .LBB291_824
; %bb.817:                              ;   in Loop: Header=BB291_676 Depth=1
	v_bfrev_b32_e32 v1, 1
	s_mov_b32 s16, exec_lo
	v_cmpx_ne_u16_e32 0x80, v12
	s_cbranch_execz .LBB291_823
; %bb.818:                              ;   in Loop: Header=BB291_676 Depth=1
	v_and_b32_e32 v24, 0xffff, v12
	v_mov_b32_e32 v1, 0x7c010000
	s_mov_b32 s17, exec_lo
	s_delay_alu instid0(VALU_DEP_2) | instskip(NEXT) | instid1(VALU_DEP_1)
	v_and_b32_e32 v26, 0x7f, v24
	v_cmpx_ne_u32_e32 0x7f, v26
	s_cbranch_execz .LBB291_822
; %bb.819:                              ;   in Loop: Header=BB291_676 Depth=1
	v_dual_lshrrev_b32 v25, 3, v26 :: v_dual_bitop2_b32 v1, 7, v24 bitop3:0x40
	s_mov_b32 s18, exec_lo
	v_cmpx_gt_u32_e32 8, v26
; %bb.820:                              ;   in Loop: Header=BB291_676 Depth=1
	s_delay_alu instid0(VALU_DEP_2) | instskip(NEXT) | instid1(VALU_DEP_1)
	v_clz_i32_u32_e32 v1, v1
	v_min_u32_e32 v1, 32, v1
	s_delay_alu instid0(VALU_DEP_1) | instskip(NEXT) | instid1(VALU_DEP_1)
	v_subrev_nc_u32_e32 v25, 28, v1
	v_lshlrev_b64_e32 v[26:27], v25, v[12:13]
	s_delay_alu instid0(VALU_DEP_1)
	v_dual_sub_nc_u32 v25, 29, v1 :: v_dual_bitop2_b32 v1, 7, v26 bitop3:0x40
; %bb.821:                              ;   in Loop: Header=BB291_676 Depth=1
	s_or_b32 exec_lo, exec_lo, s18
	s_delay_alu instid0(VALU_DEP_1) | instskip(NEXT) | instid1(VALU_DEP_2)
	v_dual_lshlrev_b32 v12, 8, v24 :: v_dual_lshlrev_b32 v1, 23, v1
	v_lshl_add_u32 v24, v25, 10, 0x2000
	s_delay_alu instid0(VALU_DEP_1) | instskip(NEXT) | instid1(VALU_DEP_1)
	v_and_or_b32 v12, 0x8000, v12, v24
	v_lshl_or_b32 v1, v12, 16, v1
.LBB291_822:                            ;   in Loop: Header=BB291_676 Depth=1
	s_or_b32 exec_lo, exec_lo, s17
.LBB291_823:                            ;   in Loop: Header=BB291_676 Depth=1
	s_delay_alu instid0(SALU_CYCLE_1)
	s_or_b32 exec_lo, exec_lo, s16
.LBB291_824:                            ;   in Loop: Header=BB291_676 Depth=1
	s_delay_alu instid0(SALU_CYCLE_1) | instskip(SKIP_3) | instid1(VALU_DEP_2)
	s_or_b32 exec_lo, exec_lo, s15
	v_dual_lshrrev_b32 v12, 16, v22 :: v_dual_mov_b32 v24, 0
	v_mov_b32_e32 v25, 0
	s_mov_b32 s15, exec_lo
	v_and_b32_e32 v26, 0xff, v12
	s_delay_alu instid0(VALU_DEP_1)
	v_cmpx_ne_u16_e32 0, v26
	s_cbranch_execz .LBB291_832
; %bb.825:                              ;   in Loop: Header=BB291_676 Depth=1
	v_mov_b32_e32 v25, 0x8000
	s_mov_b32 s16, exec_lo
	v_cmpx_ne_u16_e32 0x80, v26
	s_cbranch_execz .LBB291_831
; %bb.826:                              ;   in Loop: Header=BB291_676 Depth=1
	v_bfe_u32 v27, v22, 16, 7
	v_mov_b32_e32 v25, 0x7c01
	s_mov_b32 s17, exec_lo
	s_delay_alu instid0(VALU_DEP_2)
	v_cmpx_ne_u32_e32 0x7f, v27
	s_cbranch_execz .LBB291_830
; %bb.827:                              ;   in Loop: Header=BB291_676 Depth=1
	v_dual_lshrrev_b32 v26, 3, v27 :: v_dual_bitop2_b32 v25, 7, v12 bitop3:0x40
	s_mov_b32 s18, exec_lo
	v_cmpx_gt_u32_e32 8, v27
; %bb.828:                              ;   in Loop: Header=BB291_676 Depth=1
	s_delay_alu instid0(VALU_DEP_2) | instskip(NEXT) | instid1(VALU_DEP_1)
	v_clz_i32_u32_e32 v25, v25
	v_min_u32_e32 v25, 32, v25
	s_delay_alu instid0(VALU_DEP_1) | instskip(NEXT) | instid1(VALU_DEP_1)
	v_subrev_nc_u32_e32 v26, 28, v25
	v_lshlrev_b64_e32 v[28:29], v26, v[12:13]
	s_delay_alu instid0(VALU_DEP_1)
	v_dual_sub_nc_u32 v26, 29, v25 :: v_dual_bitop2_b32 v25, 7, v28 bitop3:0x40
; %bb.829:                              ;   in Loop: Header=BB291_676 Depth=1
	s_or_b32 exec_lo, exec_lo, s18
	s_delay_alu instid0(VALU_DEP_1) | instskip(NEXT) | instid1(VALU_DEP_2)
	v_dual_lshlrev_b32 v12, 8, v12 :: v_dual_lshlrev_b32 v25, 7, v25
	v_lshl_add_u32 v26, v26, 10, 0x2000
	s_delay_alu instid0(VALU_DEP_2) | instskip(NEXT) | instid1(VALU_DEP_2)
	v_and_b32_e32 v12, 0x8000, v12
	v_and_b32_e32 v26, 0xfc00, v26
	s_delay_alu instid0(VALU_DEP_1)
	v_or3_b32 v25, v12, v26, v25
.LBB291_830:                            ;   in Loop: Header=BB291_676 Depth=1
	s_or_b32 exec_lo, exec_lo, s17
.LBB291_831:                            ;   in Loop: Header=BB291_676 Depth=1
	s_delay_alu instid0(SALU_CYCLE_1)
	s_or_b32 exec_lo, exec_lo, s16
.LBB291_832:                            ;   in Loop: Header=BB291_676 Depth=1
	s_delay_alu instid0(SALU_CYCLE_1) | instskip(NEXT) | instid1(SALU_CYCLE_1)
	s_or_b32 exec_lo, exec_lo, s15
	s_mov_b32 s15, exec_lo
	v_cmpx_lt_u32_e32 0xffffff, v22
	s_cbranch_execz .LBB291_840
; %bb.833:                              ;   in Loop: Header=BB291_676 Depth=1
	v_lshrrev_b32_e32 v12, 24, v22
	v_bfrev_b32_e32 v24, 1
	s_mov_b32 s16, exec_lo
	s_delay_alu instid0(VALU_DEP_2)
	v_cmpx_ne_u32_e32 0x80, v12
	s_cbranch_execz .LBB291_839
; %bb.834:                              ;   in Loop: Header=BB291_676 Depth=1
	v_and_b32_e32 v27, 0x7f, v12
	v_mov_b32_e32 v24, 0x7c010000
	s_mov_b32 s17, exec_lo
	s_delay_alu instid0(VALU_DEP_2)
	v_cmpx_ne_u32_e32 0x7f, v27
	s_cbranch_execz .LBB291_838
; %bb.835:                              ;   in Loop: Header=BB291_676 Depth=1
	v_dual_lshrrev_b32 v26, 3, v27 :: v_dual_bitop2_b32 v24, 7, v12 bitop3:0x40
	s_mov_b32 s18, exec_lo
	v_cmpx_gt_u32_e32 8, v27
; %bb.836:                              ;   in Loop: Header=BB291_676 Depth=1
	s_delay_alu instid0(VALU_DEP_2) | instskip(NEXT) | instid1(VALU_DEP_1)
	v_clz_i32_u32_e32 v24, v24
	v_min_u32_e32 v24, 32, v24
	s_delay_alu instid0(VALU_DEP_1) | instskip(NEXT) | instid1(VALU_DEP_1)
	v_subrev_nc_u32_e32 v26, 28, v24
	v_lshlrev_b64_e32 v[28:29], v26, v[12:13]
	v_sub_nc_u32_e32 v26, 29, v24
	s_delay_alu instid0(VALU_DEP_2)
	v_and_b32_e32 v24, 7, v28
; %bb.837:                              ;   in Loop: Header=BB291_676 Depth=1
	s_or_b32 exec_lo, exec_lo, s18
	v_lshlrev_b32_e32 v12, 8, v12
	s_delay_alu instid0(VALU_DEP_3) | instskip(NEXT) | instid1(VALU_DEP_3)
	v_lshl_add_u32 v26, v26, 10, 0x2000
	v_lshlrev_b32_e32 v24, 23, v24
	s_delay_alu instid0(VALU_DEP_2) | instskip(NEXT) | instid1(VALU_DEP_1)
	v_and_or_b32 v12, 0x8000, v12, v26
	v_lshl_or_b32 v24, v12, 16, v24
.LBB291_838:                            ;   in Loop: Header=BB291_676 Depth=1
	s_or_b32 exec_lo, exec_lo, s17
.LBB291_839:                            ;   in Loop: Header=BB291_676 Depth=1
	s_delay_alu instid0(SALU_CYCLE_1)
	s_or_b32 exec_lo, exec_lo, s16
.LBB291_840:                            ;   in Loop: Header=BB291_676 Depth=1
	s_delay_alu instid0(SALU_CYCLE_1) | instskip(SKIP_4) | instid1(VALU_DEP_3)
	s_or_b32 exec_lo, exec_lo, s15
	v_and_b32_e32 v28, 0xff, v23
	v_dual_mov_b32 v12, v23 :: v_dual_mov_b32 v27, 0
	v_mov_b32_e32 v26, 0
	s_mov_b32 s15, exec_lo
	v_cmpx_ne_u16_e32 0, v28
	s_cbranch_execz .LBB291_848
; %bb.841:                              ;   in Loop: Header=BB291_676 Depth=1
	v_mov_b32_e32 v26, 0x8000
	s_mov_b32 s16, exec_lo
	v_cmpx_ne_u16_e32 0x80, v28
	s_cbranch_execz .LBB291_847
; %bb.842:                              ;   in Loop: Header=BB291_676 Depth=1
	v_and_b32_e32 v29, 0x7f, v23
	v_mov_b32_e32 v26, 0x7c01
	s_mov_b32 s17, exec_lo
	s_delay_alu instid0(VALU_DEP_2)
	v_cmpx_ne_u32_e32 0x7f, v29
	s_cbranch_execz .LBB291_846
; %bb.843:                              ;   in Loop: Header=BB291_676 Depth=1
	v_dual_lshrrev_b32 v28, 3, v29 :: v_dual_bitop2_b32 v26, 7, v23 bitop3:0x40
	s_mov_b32 s18, exec_lo
	v_cmpx_gt_u32_e32 8, v29
; %bb.844:                              ;   in Loop: Header=BB291_676 Depth=1
	s_delay_alu instid0(VALU_DEP_2) | instskip(NEXT) | instid1(VALU_DEP_1)
	v_clz_i32_u32_e32 v26, v26
	v_min_u32_e32 v26, 32, v26
	s_delay_alu instid0(VALU_DEP_1) | instskip(NEXT) | instid1(VALU_DEP_1)
	v_subrev_nc_u32_e32 v28, 28, v26
	v_lshlrev_b64_e32 v[54:55], v28, v[12:13]
	v_sub_nc_u32_e32 v28, 29, v26
	s_delay_alu instid0(VALU_DEP_2)
	v_and_b32_e32 v26, 7, v54
; %bb.845:                              ;   in Loop: Header=BB291_676 Depth=1
	s_or_b32 exec_lo, exec_lo, s18
	s_delay_alu instid0(VALU_DEP_1) | instskip(NEXT) | instid1(VALU_DEP_3)
	v_dual_lshlrev_b32 v29, 8, v23 :: v_dual_lshlrev_b32 v26, 7, v26
	v_lshl_add_u32 v28, v28, 10, 0x2000
	s_delay_alu instid0(VALU_DEP_2) | instskip(NEXT) | instid1(VALU_DEP_2)
	v_and_b32_e32 v29, 0x8000, v29
	v_and_b32_e32 v28, 0xfc00, v28
	s_delay_alu instid0(VALU_DEP_1)
	v_or3_b32 v26, v29, v28, v26
.LBB291_846:                            ;   in Loop: Header=BB291_676 Depth=1
	s_or_b32 exec_lo, exec_lo, s17
.LBB291_847:                            ;   in Loop: Header=BB291_676 Depth=1
	s_delay_alu instid0(SALU_CYCLE_1)
	s_or_b32 exec_lo, exec_lo, s16
.LBB291_848:                            ;   in Loop: Header=BB291_676 Depth=1
	s_delay_alu instid0(SALU_CYCLE_1) | instskip(SKIP_3) | instid1(VALU_DEP_2)
	s_or_b32 exec_lo, exec_lo, s15
	v_lshrrev_b16 v12, 8, v12
	v_mov_b32_e32 v28, 0
	s_mov_b32 s15, exec_lo
	v_cmpx_ne_u16_e32 0, v12
	s_cbranch_execz .LBB291_856
; %bb.849:                              ;   in Loop: Header=BB291_676 Depth=1
	v_bfrev_b32_e32 v28, 1
	s_mov_b32 s16, exec_lo
	v_cmpx_ne_u16_e32 0x80, v12
	s_cbranch_execz .LBB291_855
; %bb.850:                              ;   in Loop: Header=BB291_676 Depth=1
	v_and_b32_e32 v29, 0xffff, v12
	v_mov_b32_e32 v28, 0x7c010000
	s_mov_b32 s17, exec_lo
	s_delay_alu instid0(VALU_DEP_2) | instskip(NEXT) | instid1(VALU_DEP_1)
	v_and_b32_e32 v44, 0x7f, v29
	v_cmpx_ne_u32_e32 0x7f, v44
	s_cbranch_execz .LBB291_854
; %bb.851:                              ;   in Loop: Header=BB291_676 Depth=1
	v_dual_lshrrev_b32 v43, 3, v44 :: v_dual_bitop2_b32 v28, 7, v29 bitop3:0x40
	s_mov_b32 s18, exec_lo
	v_cmpx_gt_u32_e32 8, v44
; %bb.852:                              ;   in Loop: Header=BB291_676 Depth=1
	s_delay_alu instid0(VALU_DEP_2) | instskip(NEXT) | instid1(VALU_DEP_1)
	v_clz_i32_u32_e32 v28, v28
	v_min_u32_e32 v28, 32, v28
	s_delay_alu instid0(VALU_DEP_1) | instskip(NEXT) | instid1(VALU_DEP_1)
	v_subrev_nc_u32_e32 v43, 28, v28
	v_lshlrev_b64_e32 v[54:55], v43, v[12:13]
	s_delay_alu instid0(VALU_DEP_1)
	v_dual_sub_nc_u32 v43, 29, v28 :: v_dual_bitop2_b32 v28, 7, v54 bitop3:0x40
; %bb.853:                              ;   in Loop: Header=BB291_676 Depth=1
	s_or_b32 exec_lo, exec_lo, s18
	s_delay_alu instid0(VALU_DEP_1) | instskip(NEXT) | instid1(VALU_DEP_2)
	v_dual_lshlrev_b32 v12, 8, v29 :: v_dual_lshlrev_b32 v28, 23, v28
	v_lshl_add_u32 v29, v43, 10, 0x2000
	s_delay_alu instid0(VALU_DEP_1) | instskip(NEXT) | instid1(VALU_DEP_1)
	v_and_or_b32 v12, 0x8000, v12, v29
	v_lshl_or_b32 v28, v12, 16, v28
.LBB291_854:                            ;   in Loop: Header=BB291_676 Depth=1
	s_or_b32 exec_lo, exec_lo, s17
.LBB291_855:                            ;   in Loop: Header=BB291_676 Depth=1
	s_delay_alu instid0(SALU_CYCLE_1)
	s_or_b32 exec_lo, exec_lo, s16
.LBB291_856:                            ;   in Loop: Header=BB291_676 Depth=1
	s_delay_alu instid0(SALU_CYCLE_1) | instskip(SKIP_2) | instid1(VALU_DEP_1)
	s_or_b32 exec_lo, exec_lo, s15
	v_lshrrev_b32_e32 v12, 16, v23
	s_mov_b32 s15, exec_lo
	v_and_b32_e32 v29, 0xff, v12
	s_delay_alu instid0(VALU_DEP_1)
	v_cmpx_ne_u16_e32 0, v29
	s_cbranch_execz .LBB291_864
; %bb.857:                              ;   in Loop: Header=BB291_676 Depth=1
	v_mov_b32_e32 v27, 0x8000
	s_mov_b32 s16, exec_lo
	v_cmpx_ne_u16_e32 0x80, v29
	s_cbranch_execz .LBB291_863
; %bb.858:                              ;   in Loop: Header=BB291_676 Depth=1
	v_bfe_u32 v43, v23, 16, 7
	v_mov_b32_e32 v27, 0x7c01
	s_mov_b32 s17, exec_lo
	s_delay_alu instid0(VALU_DEP_2)
	v_cmpx_ne_u32_e32 0x7f, v43
	s_cbranch_execz .LBB291_862
; %bb.859:                              ;   in Loop: Header=BB291_676 Depth=1
	v_dual_lshrrev_b32 v29, 3, v43 :: v_dual_bitop2_b32 v27, 7, v12 bitop3:0x40
	s_mov_b32 s18, exec_lo
	v_cmpx_gt_u32_e32 8, v43
; %bb.860:                              ;   in Loop: Header=BB291_676 Depth=1
	s_delay_alu instid0(VALU_DEP_2) | instskip(NEXT) | instid1(VALU_DEP_1)
	v_clz_i32_u32_e32 v27, v27
	v_min_u32_e32 v27, 32, v27
	s_delay_alu instid0(VALU_DEP_1) | instskip(NEXT) | instid1(VALU_DEP_1)
	v_subrev_nc_u32_e32 v29, 28, v27
	v_lshlrev_b64_e32 v[54:55], v29, v[12:13]
	s_delay_alu instid0(VALU_DEP_1)
	v_dual_sub_nc_u32 v29, 29, v27 :: v_dual_bitop2_b32 v27, 7, v54 bitop3:0x40
; %bb.861:                              ;   in Loop: Header=BB291_676 Depth=1
	s_or_b32 exec_lo, exec_lo, s18
	s_delay_alu instid0(VALU_DEP_1) | instskip(NEXT) | instid1(VALU_DEP_2)
	v_dual_lshlrev_b32 v12, 8, v12 :: v_dual_lshlrev_b32 v27, 7, v27
	v_lshl_add_u32 v29, v29, 10, 0x2000
	s_delay_alu instid0(VALU_DEP_2) | instskip(NEXT) | instid1(VALU_DEP_2)
	v_and_b32_e32 v12, 0x8000, v12
	v_and_b32_e32 v29, 0xfc00, v29
	s_delay_alu instid0(VALU_DEP_1)
	v_or3_b32 v27, v12, v29, v27
.LBB291_862:                            ;   in Loop: Header=BB291_676 Depth=1
	s_or_b32 exec_lo, exec_lo, s17
.LBB291_863:                            ;   in Loop: Header=BB291_676 Depth=1
	s_delay_alu instid0(SALU_CYCLE_1)
	s_or_b32 exec_lo, exec_lo, s16
.LBB291_864:                            ;   in Loop: Header=BB291_676 Depth=1
	s_delay_alu instid0(SALU_CYCLE_1)
	s_or_b32 exec_lo, exec_lo, s15
	v_cmp_lt_u64_e64 s0, s[2:3], v[22:23]
	v_mov_b32_e32 v22, 0
	s_and_saveexec_b32 s15, s0
	s_cbranch_execz .LBB291_872
; %bb.865:                              ;   in Loop: Header=BB291_676 Depth=1
	v_lshrrev_b32_e32 v12, 24, v23
	v_bfrev_b32_e32 v22, 1
	s_mov_b32 s16, exec_lo
	s_delay_alu instid0(VALU_DEP_2)
	v_cmpx_ne_u32_e32 0x80, v12
	s_cbranch_execz .LBB291_871
; %bb.866:                              ;   in Loop: Header=BB291_676 Depth=1
	v_and_b32_e32 v29, 0x7f, v12
	v_mov_b32_e32 v22, 0x7c010000
	s_mov_b32 s17, exec_lo
	s_delay_alu instid0(VALU_DEP_2)
	v_cmpx_ne_u32_e32 0x7f, v29
	s_cbranch_execz .LBB291_870
; %bb.867:                              ;   in Loop: Header=BB291_676 Depth=1
	v_dual_lshrrev_b32 v23, 3, v29 :: v_dual_bitop2_b32 v22, 7, v12 bitop3:0x40
	s_mov_b32 s18, exec_lo
	v_cmpx_gt_u32_e32 8, v29
; %bb.868:                              ;   in Loop: Header=BB291_676 Depth=1
	s_delay_alu instid0(VALU_DEP_2) | instskip(NEXT) | instid1(VALU_DEP_1)
	v_clz_i32_u32_e32 v22, v22
	v_min_u32_e32 v29, 32, v22
	s_delay_alu instid0(VALU_DEP_1) | instskip(NEXT) | instid1(VALU_DEP_1)
	v_subrev_nc_u32_e32 v22, 28, v29
	v_lshlrev_b64_e32 v[22:23], v22, v[12:13]
	s_delay_alu instid0(VALU_DEP_1)
	v_dual_sub_nc_u32 v23, 29, v29 :: v_dual_bitop2_b32 v22, 7, v22 bitop3:0x40
; %bb.869:                              ;   in Loop: Header=BB291_676 Depth=1
	s_or_b32 exec_lo, exec_lo, s18
	s_delay_alu instid0(VALU_DEP_1) | instskip(NEXT) | instid1(VALU_DEP_2)
	v_dual_lshlrev_b32 v12, 8, v12 :: v_dual_lshlrev_b32 v22, 23, v22
	v_lshl_add_u32 v23, v23, 10, 0x2000
	s_delay_alu instid0(VALU_DEP_1) | instskip(NEXT) | instid1(VALU_DEP_1)
	v_and_or_b32 v12, 0x8000, v12, v23
	v_lshl_or_b32 v22, v12, 16, v22
.LBB291_870:                            ;   in Loop: Header=BB291_676 Depth=1
	s_or_b32 exec_lo, exec_lo, s17
.LBB291_871:                            ;   in Loop: Header=BB291_676 Depth=1
	s_delay_alu instid0(SALU_CYCLE_1)
	s_or_b32 exec_lo, exec_lo, s16
.LBB291_872:                            ;   in Loop: Header=BB291_676 Depth=1
	s_delay_alu instid0(SALU_CYCLE_1) | instskip(SKIP_3) | instid1(VALU_DEP_3)
	s_or_b32 exec_lo, exec_lo, s15
	v_dual_lshrrev_b32 v12, 16, v1 :: v_dual_lshrrev_b32 v23, 16, v24
	v_or_b32_e32 v1, v1, v21
	v_dual_lshrrev_b32 v29, 16, v22 :: v_dual_bitop2_b32 v21, v24, v25 bitop3:0x54
	v_cvt_f32_f16_e32 v25, v12
	s_delay_alu instid0(VALU_DEP_4) | instskip(SKIP_1) | instid1(VALU_DEP_4)
	v_cvt_f32_f16_e32 v24, v23
	v_dual_lshrrev_b32 v27, 16, v28 :: v_dual_bitop2_b32 v12, v22, v27 bitop3:0x54
	v_cvt_f32_f16_e32 v22, v21
	v_cvt_f32_f16_e32 v23, v1
	s_wait_loadcnt 0x0
	v_pk_mul_f32 v[24:25], v[20:21], v[24:25] op_sel_hi:[0,1]
	v_or_b32_e32 v21, v28, v26
	v_cvt_f32_f16_e32 v27, v27
	v_cvt_f32_f16_e32 v26, v29
	;; [unrolled: 1-line block ×3, first 2 shown]
	v_cvt_pk_f16_f32 v1, v24, v25
	v_cvt_f32_f16_e32 v29, v21
	v_pk_mul_f32 v[22:23], v[20:21], v[22:23] op_sel_hi:[0,1]
	v_pk_mul_f32 v[24:25], v[20:21], v[26:27] op_sel_hi:[0,1]
	s_delay_alu instid0(VALU_DEP_3) | instskip(NEXT) | instid1(VALU_DEP_3)
	v_pk_mul_f32 v[20:21], v[20:21], v[28:29] op_sel_hi:[0,1]
	v_cvt_pk_f16_f32 v12, v22, v23
	v_and_b32_e32 v23, 0xffff0000, v1
	s_delay_alu instid0(VALU_DEP_4)
	v_cvt_pk_f16_f32 v24, v24, v25
	v_lshlrev_b32_e32 v22, 16, v1
	v_cvt_pk_f16_f32 v20, v20, v21
	v_lshrrev_b32_e32 v29, 16, v12
	v_and_b32_e32 v28, 0xffff, v12
	v_and_b32_e32 v1, 0xffff0000, v24
	s_delay_alu instid0(VALU_DEP_3) | instskip(SKIP_3) | instid1(VALU_DEP_2)
	v_dual_lshlrev_b32 v12, 16, v24 :: v_dual_bitop2_b32 v27, v23, v29 bitop3:0x54
	v_lshrrev_b32_e32 v21, 16, v20
	v_and_b32_e32 v20, 0xffff, v20
	v_or_b32_e32 v26, v22, v28
	v_or_b32_e32 v24, v12, v20
	s_delay_alu instid0(VALU_DEP_4)
	v_or_b32_e32 v25, v1, v21
	s_and_saveexec_b32 s15, vcc_lo
	s_cbranch_execz .LBB291_874
; %bb.873:                              ;   in Loop: Header=BB291_676 Depth=1
	v_cmp_gt_i32_e64 s0, s14, v33
	s_delay_alu instid0(VALU_DEP_1) | instskip(SKIP_1) | instid1(VALU_DEP_1)
	v_cndmask_b32_e64 v24, 0, v29, s0
	v_cmp_gt_i32_e64 s0, s25, v42
	v_cndmask_b32_e64 v25, 0, v28, s0
	v_cmp_gt_i32_e64 s0, s14, v41
	s_delay_alu instid0(VALU_DEP_1) | instskip(SKIP_1) | instid1(VALU_DEP_1)
	v_cndmask_b32_e64 v23, 0, v23, s0
	v_cmp_gt_i32_e64 s0, s25, v40
	v_cndmask_b32_e64 v22, 0, v22, s0
	v_cmp_gt_i32_e64 s0, s14, v39
	s_delay_alu instid0(VALU_DEP_4) | instskip(NEXT) | instid1(VALU_DEP_3)
	v_or_b32_e32 v27, v23, v24
	v_or_b32_e32 v26, v22, v25
	s_delay_alu instid0(VALU_DEP_3) | instskip(SKIP_1) | instid1(VALU_DEP_1)
	v_cndmask_b32_e64 v21, 0, v21, s0
	v_cmp_gt_i32_e64 s0, s25, v38
	v_cndmask_b32_e64 v20, 0, v20, s0
	v_cmp_gt_i32_e64 s0, s14, v37
	s_delay_alu instid0(VALU_DEP_1) | instskip(SKIP_1) | instid1(VALU_DEP_1)
	v_cndmask_b32_e64 v1, 0, v1, s0
	v_cmp_gt_i32_e64 s0, s25, v36
	v_dual_cndmask_b32 v12, 0, v12, s0 :: v_dual_bitop2_b32 v25, v1, v21 bitop3:0x54
	s_delay_alu instid0(VALU_DEP_1)
	v_or_b32_e32 v24, v12, v20
.LBB291_874:                            ;   in Loop: Header=BB291_676 Depth=1
	s_or_b32 exec_lo, exec_lo, s15
	;;#ASMSTART
	v_pk_mul_f16 v1, v48, v27;

	;;#ASMEND
	;;#ASMSTART
	v_pk_mul_f16 v12, v47, v26;

	;;#ASMEND
	;; [unrolled: 4-line block ×4, first 2 shown]
	;;#ASMSTART
	v_pk_add_f16 v1, v1, v12;

	;;#ASMEND
	;;#ASMSTART
	v_pk_add_f16 v1, v1, v20;

	;;#ASMEND
	;; [unrolled: 4-line block ×3, first 2 shown]
	v_and_b32_e32 v12, 0xffff, v1
	v_dual_lshrrev_b32 v1, 16, v1 :: v_dual_mov_b32 v21, 0
	;;#ASMSTART
	v_cvt_f32_f16 v53, v12;
	;;#ASMEND
	;;#ASMSTART
	v_cvt_f32_f16 v54, v1;
	;;#ASMEND
	global_load_b64 v[22:23], v[18:19], off offset:768
	v_mov_b32_e32 v1, 0
	s_mov_b32 s15, exec_lo
	global_load_b32 v20, v1, s[6:7]
	s_wait_loadcnt 0x1
	v_and_b32_e32 v12, 0xff, v22
	s_wait_xcnt 0x0
	s_delay_alu instid0(VALU_DEP_1)
	v_cmpx_ne_u16_e32 0, v12
	s_cbranch_execz .LBB291_882
; %bb.875:                              ;   in Loop: Header=BB291_676 Depth=1
	v_mov_b32_e32 v21, 0x8000
	s_mov_b32 s16, exec_lo
	v_cmpx_ne_u16_e32 0x80, v12
	s_cbranch_execz .LBB291_881
; %bb.876:                              ;   in Loop: Header=BB291_676 Depth=1
	v_and_b32_e32 v24, 0x7f, v22
	v_mov_b32_e32 v21, 0x7c01
	s_mov_b32 s17, exec_lo
	s_delay_alu instid0(VALU_DEP_2)
	v_cmpx_ne_u32_e32 0x7f, v24
	s_cbranch_execz .LBB291_880
; %bb.877:                              ;   in Loop: Header=BB291_676 Depth=1
	v_dual_lshrrev_b32 v21, 3, v24 :: v_dual_bitop2_b32 v12, 7, v22 bitop3:0x40
	s_mov_b32 s18, exec_lo
	v_cmpx_gt_u32_e32 8, v24
; %bb.878:                              ;   in Loop: Header=BB291_676 Depth=1
	s_delay_alu instid0(VALU_DEP_2) | instskip(NEXT) | instid1(VALU_DEP_1)
	v_clz_i32_u32_e32 v12, v12
	v_min_u32_e32 v12, 32, v12
	s_delay_alu instid0(VALU_DEP_1) | instskip(NEXT) | instid1(VALU_DEP_1)
	v_subrev_nc_u32_e32 v21, 28, v12
	v_lshlrev_b64_e32 v[24:25], v21, v[22:23]
	v_sub_nc_u32_e32 v21, 29, v12
	s_delay_alu instid0(VALU_DEP_2)
	v_and_b32_e32 v12, 7, v24
; %bb.879:                              ;   in Loop: Header=BB291_676 Depth=1
	s_or_b32 exec_lo, exec_lo, s18
	s_delay_alu instid0(VALU_DEP_1) | instskip(NEXT) | instid1(VALU_DEP_3)
	v_dual_lshlrev_b32 v24, 8, v22 :: v_dual_lshlrev_b32 v12, 7, v12
	v_lshl_add_u32 v21, v21, 10, 0x2000
	s_delay_alu instid0(VALU_DEP_2) | instskip(NEXT) | instid1(VALU_DEP_2)
	v_and_b32_e32 v24, 0x8000, v24
	v_and_b32_e32 v21, 0xfc00, v21
	s_delay_alu instid0(VALU_DEP_1)
	v_or3_b32 v21, v24, v21, v12
.LBB291_880:                            ;   in Loop: Header=BB291_676 Depth=1
	s_or_b32 exec_lo, exec_lo, s17
.LBB291_881:                            ;   in Loop: Header=BB291_676 Depth=1
	s_delay_alu instid0(SALU_CYCLE_1)
	s_or_b32 exec_lo, exec_lo, s16
.LBB291_882:                            ;   in Loop: Header=BB291_676 Depth=1
	s_delay_alu instid0(SALU_CYCLE_1) | instskip(SKIP_2) | instid1(VALU_DEP_1)
	s_or_b32 exec_lo, exec_lo, s15
	v_lshrrev_b16 v12, 8, v22
	s_mov_b32 s15, exec_lo
	v_cmpx_ne_u16_e32 0, v12
	s_cbranch_execz .LBB291_890
; %bb.883:                              ;   in Loop: Header=BB291_676 Depth=1
	v_bfrev_b32_e32 v1, 1
	s_mov_b32 s16, exec_lo
	v_cmpx_ne_u16_e32 0x80, v12
	s_cbranch_execz .LBB291_889
; %bb.884:                              ;   in Loop: Header=BB291_676 Depth=1
	v_and_b32_e32 v24, 0xffff, v12
	v_mov_b32_e32 v1, 0x7c010000
	s_mov_b32 s17, exec_lo
	s_delay_alu instid0(VALU_DEP_2) | instskip(NEXT) | instid1(VALU_DEP_1)
	v_and_b32_e32 v26, 0x7f, v24
	v_cmpx_ne_u32_e32 0x7f, v26
	s_cbranch_execz .LBB291_888
; %bb.885:                              ;   in Loop: Header=BB291_676 Depth=1
	v_dual_lshrrev_b32 v25, 3, v26 :: v_dual_bitop2_b32 v1, 7, v24 bitop3:0x40
	s_mov_b32 s18, exec_lo
	v_cmpx_gt_u32_e32 8, v26
; %bb.886:                              ;   in Loop: Header=BB291_676 Depth=1
	s_delay_alu instid0(VALU_DEP_2) | instskip(NEXT) | instid1(VALU_DEP_1)
	v_clz_i32_u32_e32 v1, v1
	v_min_u32_e32 v1, 32, v1
	s_delay_alu instid0(VALU_DEP_1) | instskip(NEXT) | instid1(VALU_DEP_1)
	v_subrev_nc_u32_e32 v25, 28, v1
	v_lshlrev_b64_e32 v[26:27], v25, v[12:13]
	s_delay_alu instid0(VALU_DEP_1)
	v_dual_sub_nc_u32 v25, 29, v1 :: v_dual_bitop2_b32 v1, 7, v26 bitop3:0x40
; %bb.887:                              ;   in Loop: Header=BB291_676 Depth=1
	s_or_b32 exec_lo, exec_lo, s18
	s_delay_alu instid0(VALU_DEP_1) | instskip(NEXT) | instid1(VALU_DEP_2)
	v_dual_lshlrev_b32 v12, 8, v24 :: v_dual_lshlrev_b32 v1, 23, v1
	v_lshl_add_u32 v24, v25, 10, 0x2000
	s_delay_alu instid0(VALU_DEP_1) | instskip(NEXT) | instid1(VALU_DEP_1)
	v_and_or_b32 v12, 0x8000, v12, v24
	v_lshl_or_b32 v1, v12, 16, v1
.LBB291_888:                            ;   in Loop: Header=BB291_676 Depth=1
	s_or_b32 exec_lo, exec_lo, s17
.LBB291_889:                            ;   in Loop: Header=BB291_676 Depth=1
	s_delay_alu instid0(SALU_CYCLE_1)
	s_or_b32 exec_lo, exec_lo, s16
.LBB291_890:                            ;   in Loop: Header=BB291_676 Depth=1
	s_delay_alu instid0(SALU_CYCLE_1) | instskip(SKIP_3) | instid1(VALU_DEP_2)
	s_or_b32 exec_lo, exec_lo, s15
	v_dual_lshrrev_b32 v12, 16, v22 :: v_dual_mov_b32 v24, 0
	v_mov_b32_e32 v25, 0
	s_mov_b32 s15, exec_lo
	v_and_b32_e32 v26, 0xff, v12
	s_delay_alu instid0(VALU_DEP_1)
	v_cmpx_ne_u16_e32 0, v26
	s_cbranch_execz .LBB291_898
; %bb.891:                              ;   in Loop: Header=BB291_676 Depth=1
	v_mov_b32_e32 v25, 0x8000
	s_mov_b32 s16, exec_lo
	v_cmpx_ne_u16_e32 0x80, v26
	s_cbranch_execz .LBB291_897
; %bb.892:                              ;   in Loop: Header=BB291_676 Depth=1
	v_bfe_u32 v27, v22, 16, 7
	v_mov_b32_e32 v25, 0x7c01
	s_mov_b32 s17, exec_lo
	s_delay_alu instid0(VALU_DEP_2)
	v_cmpx_ne_u32_e32 0x7f, v27
	s_cbranch_execz .LBB291_896
; %bb.893:                              ;   in Loop: Header=BB291_676 Depth=1
	v_dual_lshrrev_b32 v26, 3, v27 :: v_dual_bitop2_b32 v25, 7, v12 bitop3:0x40
	s_mov_b32 s18, exec_lo
	v_cmpx_gt_u32_e32 8, v27
; %bb.894:                              ;   in Loop: Header=BB291_676 Depth=1
	s_delay_alu instid0(VALU_DEP_2) | instskip(NEXT) | instid1(VALU_DEP_1)
	v_clz_i32_u32_e32 v25, v25
	v_min_u32_e32 v25, 32, v25
	s_delay_alu instid0(VALU_DEP_1) | instskip(NEXT) | instid1(VALU_DEP_1)
	v_subrev_nc_u32_e32 v26, 28, v25
	v_lshlrev_b64_e32 v[28:29], v26, v[12:13]
	s_delay_alu instid0(VALU_DEP_1)
	v_dual_sub_nc_u32 v26, 29, v25 :: v_dual_bitop2_b32 v25, 7, v28 bitop3:0x40
; %bb.895:                              ;   in Loop: Header=BB291_676 Depth=1
	s_or_b32 exec_lo, exec_lo, s18
	s_delay_alu instid0(VALU_DEP_1) | instskip(NEXT) | instid1(VALU_DEP_2)
	v_dual_lshlrev_b32 v12, 8, v12 :: v_dual_lshlrev_b32 v25, 7, v25
	v_lshl_add_u32 v26, v26, 10, 0x2000
	s_delay_alu instid0(VALU_DEP_2) | instskip(NEXT) | instid1(VALU_DEP_2)
	v_and_b32_e32 v12, 0x8000, v12
	v_and_b32_e32 v26, 0xfc00, v26
	s_delay_alu instid0(VALU_DEP_1)
	v_or3_b32 v25, v12, v26, v25
.LBB291_896:                            ;   in Loop: Header=BB291_676 Depth=1
	s_or_b32 exec_lo, exec_lo, s17
.LBB291_897:                            ;   in Loop: Header=BB291_676 Depth=1
	s_delay_alu instid0(SALU_CYCLE_1)
	s_or_b32 exec_lo, exec_lo, s16
.LBB291_898:                            ;   in Loop: Header=BB291_676 Depth=1
	s_delay_alu instid0(SALU_CYCLE_1) | instskip(NEXT) | instid1(SALU_CYCLE_1)
	s_or_b32 exec_lo, exec_lo, s15
	s_mov_b32 s15, exec_lo
	v_cmpx_lt_u32_e32 0xffffff, v22
	s_cbranch_execz .LBB291_906
; %bb.899:                              ;   in Loop: Header=BB291_676 Depth=1
	v_lshrrev_b32_e32 v12, 24, v22
	v_bfrev_b32_e32 v24, 1
	s_mov_b32 s16, exec_lo
	s_delay_alu instid0(VALU_DEP_2)
	v_cmpx_ne_u32_e32 0x80, v12
	s_cbranch_execz .LBB291_905
; %bb.900:                              ;   in Loop: Header=BB291_676 Depth=1
	v_and_b32_e32 v27, 0x7f, v12
	v_mov_b32_e32 v24, 0x7c010000
	s_mov_b32 s17, exec_lo
	s_delay_alu instid0(VALU_DEP_2)
	v_cmpx_ne_u32_e32 0x7f, v27
	s_cbranch_execz .LBB291_904
; %bb.901:                              ;   in Loop: Header=BB291_676 Depth=1
	v_dual_lshrrev_b32 v26, 3, v27 :: v_dual_bitop2_b32 v24, 7, v12 bitop3:0x40
	s_mov_b32 s18, exec_lo
	v_cmpx_gt_u32_e32 8, v27
; %bb.902:                              ;   in Loop: Header=BB291_676 Depth=1
	s_delay_alu instid0(VALU_DEP_2) | instskip(NEXT) | instid1(VALU_DEP_1)
	v_clz_i32_u32_e32 v24, v24
	v_min_u32_e32 v24, 32, v24
	s_delay_alu instid0(VALU_DEP_1) | instskip(NEXT) | instid1(VALU_DEP_1)
	v_subrev_nc_u32_e32 v26, 28, v24
	v_lshlrev_b64_e32 v[28:29], v26, v[12:13]
	v_sub_nc_u32_e32 v26, 29, v24
	s_delay_alu instid0(VALU_DEP_2)
	v_and_b32_e32 v24, 7, v28
; %bb.903:                              ;   in Loop: Header=BB291_676 Depth=1
	s_or_b32 exec_lo, exec_lo, s18
	v_lshlrev_b32_e32 v12, 8, v12
	s_delay_alu instid0(VALU_DEP_3) | instskip(NEXT) | instid1(VALU_DEP_3)
	v_lshl_add_u32 v26, v26, 10, 0x2000
	v_lshlrev_b32_e32 v24, 23, v24
	s_delay_alu instid0(VALU_DEP_2) | instskip(NEXT) | instid1(VALU_DEP_1)
	v_and_or_b32 v12, 0x8000, v12, v26
	v_lshl_or_b32 v24, v12, 16, v24
.LBB291_904:                            ;   in Loop: Header=BB291_676 Depth=1
	s_or_b32 exec_lo, exec_lo, s17
.LBB291_905:                            ;   in Loop: Header=BB291_676 Depth=1
	s_delay_alu instid0(SALU_CYCLE_1)
	s_or_b32 exec_lo, exec_lo, s16
.LBB291_906:                            ;   in Loop: Header=BB291_676 Depth=1
	s_delay_alu instid0(SALU_CYCLE_1) | instskip(SKIP_4) | instid1(VALU_DEP_3)
	s_or_b32 exec_lo, exec_lo, s15
	v_and_b32_e32 v28, 0xff, v23
	v_dual_mov_b32 v12, v23 :: v_dual_mov_b32 v27, 0
	v_mov_b32_e32 v26, 0
	s_mov_b32 s15, exec_lo
	v_cmpx_ne_u16_e32 0, v28
	s_cbranch_execz .LBB291_914
; %bb.907:                              ;   in Loop: Header=BB291_676 Depth=1
	v_mov_b32_e32 v26, 0x8000
	s_mov_b32 s16, exec_lo
	v_cmpx_ne_u16_e32 0x80, v28
	s_cbranch_execz .LBB291_913
; %bb.908:                              ;   in Loop: Header=BB291_676 Depth=1
	v_and_b32_e32 v29, 0x7f, v23
	v_mov_b32_e32 v26, 0x7c01
	s_mov_b32 s17, exec_lo
	s_delay_alu instid0(VALU_DEP_2)
	v_cmpx_ne_u32_e32 0x7f, v29
	s_cbranch_execz .LBB291_912
; %bb.909:                              ;   in Loop: Header=BB291_676 Depth=1
	v_dual_lshrrev_b32 v28, 3, v29 :: v_dual_bitop2_b32 v26, 7, v23 bitop3:0x40
	s_mov_b32 s18, exec_lo
	v_cmpx_gt_u32_e32 8, v29
; %bb.910:                              ;   in Loop: Header=BB291_676 Depth=1
	s_delay_alu instid0(VALU_DEP_2) | instskip(NEXT) | instid1(VALU_DEP_1)
	v_clz_i32_u32_e32 v26, v26
	v_min_u32_e32 v26, 32, v26
	s_delay_alu instid0(VALU_DEP_1) | instskip(NEXT) | instid1(VALU_DEP_1)
	v_subrev_nc_u32_e32 v28, 28, v26
	v_lshlrev_b64_e32 v[56:57], v28, v[12:13]
	s_delay_alu instid0(VALU_DEP_1)
	v_dual_sub_nc_u32 v28, 29, v26 :: v_dual_bitop2_b32 v26, 7, v56 bitop3:0x40
; %bb.911:                              ;   in Loop: Header=BB291_676 Depth=1
	s_or_b32 exec_lo, exec_lo, s18
	s_delay_alu instid0(VALU_DEP_1) | instskip(NEXT) | instid1(VALU_DEP_2)
	v_dual_lshlrev_b32 v29, 8, v23 :: v_dual_lshlrev_b32 v26, 7, v26
	v_lshl_add_u32 v28, v28, 10, 0x2000
	s_delay_alu instid0(VALU_DEP_2) | instskip(NEXT) | instid1(VALU_DEP_2)
	v_and_b32_e32 v29, 0x8000, v29
	v_and_b32_e32 v28, 0xfc00, v28
	s_delay_alu instid0(VALU_DEP_1)
	v_or3_b32 v26, v29, v28, v26
.LBB291_912:                            ;   in Loop: Header=BB291_676 Depth=1
	s_or_b32 exec_lo, exec_lo, s17
.LBB291_913:                            ;   in Loop: Header=BB291_676 Depth=1
	s_delay_alu instid0(SALU_CYCLE_1)
	s_or_b32 exec_lo, exec_lo, s16
.LBB291_914:                            ;   in Loop: Header=BB291_676 Depth=1
	s_delay_alu instid0(SALU_CYCLE_1) | instskip(SKIP_3) | instid1(VALU_DEP_2)
	s_or_b32 exec_lo, exec_lo, s15
	v_lshrrev_b16 v12, 8, v12
	v_mov_b32_e32 v28, 0
	s_mov_b32 s15, exec_lo
	v_cmpx_ne_u16_e32 0, v12
	s_cbranch_execz .LBB291_922
; %bb.915:                              ;   in Loop: Header=BB291_676 Depth=1
	v_bfrev_b32_e32 v28, 1
	s_mov_b32 s16, exec_lo
	v_cmpx_ne_u16_e32 0x80, v12
	s_cbranch_execz .LBB291_921
; %bb.916:                              ;   in Loop: Header=BB291_676 Depth=1
	v_and_b32_e32 v29, 0xffff, v12
	v_mov_b32_e32 v28, 0x7c010000
	s_mov_b32 s17, exec_lo
	s_delay_alu instid0(VALU_DEP_2) | instskip(NEXT) | instid1(VALU_DEP_1)
	v_and_b32_e32 v44, 0x7f, v29
	v_cmpx_ne_u32_e32 0x7f, v44
	s_cbranch_execz .LBB291_920
; %bb.917:                              ;   in Loop: Header=BB291_676 Depth=1
	v_dual_lshrrev_b32 v43, 3, v44 :: v_dual_bitop2_b32 v28, 7, v29 bitop3:0x40
	s_mov_b32 s18, exec_lo
	v_cmpx_gt_u32_e32 8, v44
; %bb.918:                              ;   in Loop: Header=BB291_676 Depth=1
	s_delay_alu instid0(VALU_DEP_2) | instskip(NEXT) | instid1(VALU_DEP_1)
	v_clz_i32_u32_e32 v28, v28
	v_min_u32_e32 v28, 32, v28
	s_delay_alu instid0(VALU_DEP_1) | instskip(NEXT) | instid1(VALU_DEP_1)
	v_subrev_nc_u32_e32 v43, 28, v28
	v_lshlrev_b64_e32 v[56:57], v43, v[12:13]
	v_sub_nc_u32_e32 v43, 29, v28
	s_delay_alu instid0(VALU_DEP_2)
	v_and_b32_e32 v28, 7, v56
; %bb.919:                              ;   in Loop: Header=BB291_676 Depth=1
	s_or_b32 exec_lo, exec_lo, s18
	s_delay_alu instid0(VALU_DEP_1) | instskip(NEXT) | instid1(VALU_DEP_3)
	v_dual_lshlrev_b32 v12, 8, v29 :: v_dual_lshlrev_b32 v28, 23, v28
	v_lshl_add_u32 v29, v43, 10, 0x2000
	s_delay_alu instid0(VALU_DEP_1) | instskip(NEXT) | instid1(VALU_DEP_1)
	v_and_or_b32 v12, 0x8000, v12, v29
	v_lshl_or_b32 v28, v12, 16, v28
.LBB291_920:                            ;   in Loop: Header=BB291_676 Depth=1
	s_or_b32 exec_lo, exec_lo, s17
.LBB291_921:                            ;   in Loop: Header=BB291_676 Depth=1
	s_delay_alu instid0(SALU_CYCLE_1)
	s_or_b32 exec_lo, exec_lo, s16
.LBB291_922:                            ;   in Loop: Header=BB291_676 Depth=1
	s_delay_alu instid0(SALU_CYCLE_1) | instskip(SKIP_2) | instid1(VALU_DEP_1)
	s_or_b32 exec_lo, exec_lo, s15
	v_lshrrev_b32_e32 v12, 16, v23
	s_mov_b32 s15, exec_lo
	v_and_b32_e32 v29, 0xff, v12
	s_delay_alu instid0(VALU_DEP_1)
	v_cmpx_ne_u16_e32 0, v29
	s_cbranch_execz .LBB291_930
; %bb.923:                              ;   in Loop: Header=BB291_676 Depth=1
	v_mov_b32_e32 v27, 0x8000
	s_mov_b32 s16, exec_lo
	v_cmpx_ne_u16_e32 0x80, v29
	s_cbranch_execz .LBB291_929
; %bb.924:                              ;   in Loop: Header=BB291_676 Depth=1
	v_bfe_u32 v43, v23, 16, 7
	v_mov_b32_e32 v27, 0x7c01
	s_mov_b32 s17, exec_lo
	s_delay_alu instid0(VALU_DEP_2)
	v_cmpx_ne_u32_e32 0x7f, v43
	s_cbranch_execz .LBB291_928
; %bb.925:                              ;   in Loop: Header=BB291_676 Depth=1
	v_dual_lshrrev_b32 v29, 3, v43 :: v_dual_bitop2_b32 v27, 7, v12 bitop3:0x40
	s_mov_b32 s18, exec_lo
	v_cmpx_gt_u32_e32 8, v43
; %bb.926:                              ;   in Loop: Header=BB291_676 Depth=1
	s_delay_alu instid0(VALU_DEP_2) | instskip(NEXT) | instid1(VALU_DEP_1)
	v_clz_i32_u32_e32 v27, v27
	v_min_u32_e32 v27, 32, v27
	s_delay_alu instid0(VALU_DEP_1) | instskip(NEXT) | instid1(VALU_DEP_1)
	v_subrev_nc_u32_e32 v29, 28, v27
	v_lshlrev_b64_e32 v[56:57], v29, v[12:13]
	s_delay_alu instid0(VALU_DEP_1)
	v_dual_sub_nc_u32 v29, 29, v27 :: v_dual_bitop2_b32 v27, 7, v56 bitop3:0x40
; %bb.927:                              ;   in Loop: Header=BB291_676 Depth=1
	s_or_b32 exec_lo, exec_lo, s18
	s_delay_alu instid0(VALU_DEP_1) | instskip(NEXT) | instid1(VALU_DEP_2)
	v_dual_lshlrev_b32 v12, 8, v12 :: v_dual_lshlrev_b32 v27, 7, v27
	v_lshl_add_u32 v29, v29, 10, 0x2000
	s_delay_alu instid0(VALU_DEP_2) | instskip(NEXT) | instid1(VALU_DEP_2)
	v_and_b32_e32 v12, 0x8000, v12
	v_and_b32_e32 v29, 0xfc00, v29
	s_delay_alu instid0(VALU_DEP_1)
	v_or3_b32 v27, v12, v29, v27
.LBB291_928:                            ;   in Loop: Header=BB291_676 Depth=1
	s_or_b32 exec_lo, exec_lo, s17
.LBB291_929:                            ;   in Loop: Header=BB291_676 Depth=1
	s_delay_alu instid0(SALU_CYCLE_1)
	s_or_b32 exec_lo, exec_lo, s16
.LBB291_930:                            ;   in Loop: Header=BB291_676 Depth=1
	s_delay_alu instid0(SALU_CYCLE_1)
	s_or_b32 exec_lo, exec_lo, s15
	v_cmp_lt_u64_e64 s0, s[2:3], v[22:23]
	v_mov_b32_e32 v22, 0
	s_and_saveexec_b32 s15, s0
	s_cbranch_execz .LBB291_938
; %bb.931:                              ;   in Loop: Header=BB291_676 Depth=1
	v_lshrrev_b32_e32 v12, 24, v23
	v_bfrev_b32_e32 v22, 1
	s_mov_b32 s16, exec_lo
	s_delay_alu instid0(VALU_DEP_2)
	v_cmpx_ne_u32_e32 0x80, v12
	s_cbranch_execz .LBB291_937
; %bb.932:                              ;   in Loop: Header=BB291_676 Depth=1
	v_and_b32_e32 v29, 0x7f, v12
	v_mov_b32_e32 v22, 0x7c010000
	s_mov_b32 s17, exec_lo
	s_delay_alu instid0(VALU_DEP_2)
	v_cmpx_ne_u32_e32 0x7f, v29
	s_cbranch_execz .LBB291_936
; %bb.933:                              ;   in Loop: Header=BB291_676 Depth=1
	v_dual_lshrrev_b32 v23, 3, v29 :: v_dual_bitop2_b32 v22, 7, v12 bitop3:0x40
	s_mov_b32 s18, exec_lo
	v_cmpx_gt_u32_e32 8, v29
; %bb.934:                              ;   in Loop: Header=BB291_676 Depth=1
	s_delay_alu instid0(VALU_DEP_2) | instskip(NEXT) | instid1(VALU_DEP_1)
	v_clz_i32_u32_e32 v22, v22
	v_min_u32_e32 v29, 32, v22
	s_delay_alu instid0(VALU_DEP_1) | instskip(NEXT) | instid1(VALU_DEP_1)
	v_subrev_nc_u32_e32 v22, 28, v29
	v_lshlrev_b64_e32 v[22:23], v22, v[12:13]
	s_delay_alu instid0(VALU_DEP_1)
	v_dual_sub_nc_u32 v23, 29, v29 :: v_dual_bitop2_b32 v22, 7, v22 bitop3:0x40
; %bb.935:                              ;   in Loop: Header=BB291_676 Depth=1
	s_or_b32 exec_lo, exec_lo, s18
	s_delay_alu instid0(VALU_DEP_1) | instskip(NEXT) | instid1(VALU_DEP_2)
	v_dual_lshlrev_b32 v12, 8, v12 :: v_dual_lshlrev_b32 v22, 23, v22
	v_lshl_add_u32 v23, v23, 10, 0x2000
	s_delay_alu instid0(VALU_DEP_1) | instskip(NEXT) | instid1(VALU_DEP_1)
	v_and_or_b32 v12, 0x8000, v12, v23
	v_lshl_or_b32 v22, v12, 16, v22
.LBB291_936:                            ;   in Loop: Header=BB291_676 Depth=1
	s_or_b32 exec_lo, exec_lo, s17
.LBB291_937:                            ;   in Loop: Header=BB291_676 Depth=1
	s_delay_alu instid0(SALU_CYCLE_1)
	s_or_b32 exec_lo, exec_lo, s16
.LBB291_938:                            ;   in Loop: Header=BB291_676 Depth=1
	s_delay_alu instid0(SALU_CYCLE_1) | instskip(SKIP_3) | instid1(VALU_DEP_3)
	s_or_b32 exec_lo, exec_lo, s15
	v_dual_lshrrev_b32 v12, 16, v1 :: v_dual_lshrrev_b32 v23, 16, v24
	v_or_b32_e32 v1, v1, v21
	v_dual_lshrrev_b32 v29, 16, v22 :: v_dual_bitop2_b32 v21, v24, v25 bitop3:0x54
	v_cvt_f32_f16_e32 v25, v12
	s_delay_alu instid0(VALU_DEP_4) | instskip(SKIP_1) | instid1(VALU_DEP_4)
	v_cvt_f32_f16_e32 v24, v23
	v_dual_lshrrev_b32 v27, 16, v28 :: v_dual_bitop2_b32 v12, v22, v27 bitop3:0x54
	v_cvt_f32_f16_e32 v22, v21
	v_cvt_f32_f16_e32 v23, v1
	s_wait_loadcnt 0x0
	v_pk_mul_f32 v[24:25], v[20:21], v[24:25] op_sel_hi:[0,1]
	v_or_b32_e32 v21, v28, v26
	v_cvt_f32_f16_e32 v27, v27
	v_cvt_f32_f16_e32 v26, v29
	;; [unrolled: 1-line block ×3, first 2 shown]
	v_cvt_pk_f16_f32 v1, v24, v25
	v_cvt_f32_f16_e32 v29, v21
	v_pk_mul_f32 v[22:23], v[20:21], v[22:23] op_sel_hi:[0,1]
	v_pk_mul_f32 v[24:25], v[20:21], v[26:27] op_sel_hi:[0,1]
	s_delay_alu instid0(VALU_DEP_3) | instskip(NEXT) | instid1(VALU_DEP_3)
	v_pk_mul_f32 v[20:21], v[20:21], v[28:29] op_sel_hi:[0,1]
	v_cvt_pk_f16_f32 v12, v22, v23
	v_and_b32_e32 v23, 0xffff0000, v1
	s_delay_alu instid0(VALU_DEP_4)
	v_cvt_pk_f16_f32 v24, v24, v25
	v_lshlrev_b32_e32 v22, 16, v1
	v_cvt_pk_f16_f32 v20, v20, v21
	v_lshrrev_b32_e32 v29, 16, v12
	v_and_b32_e32 v28, 0xffff, v12
	v_and_b32_e32 v1, 0xffff0000, v24
	s_delay_alu instid0(VALU_DEP_3) | instskip(SKIP_3) | instid1(VALU_DEP_2)
	v_dual_lshlrev_b32 v12, 16, v24 :: v_dual_bitop2_b32 v27, v23, v29 bitop3:0x54
	v_lshrrev_b32_e32 v21, 16, v20
	v_and_b32_e32 v20, 0xffff, v20
	v_or_b32_e32 v26, v22, v28
	v_or_b32_e32 v24, v12, v20
	s_delay_alu instid0(VALU_DEP_4)
	v_or_b32_e32 v25, v1, v21
	s_and_saveexec_b32 s15, vcc_lo
	s_cbranch_execz .LBB291_940
; %bb.939:                              ;   in Loop: Header=BB291_676 Depth=1
	v_cmp_gt_i32_e64 s0, s14, v33
	s_delay_alu instid0(VALU_DEP_1) | instskip(SKIP_1) | instid1(VALU_DEP_1)
	v_cndmask_b32_e64 v24, 0, v29, s0
	v_cmp_gt_i32_e64 s0, s25, v42
	v_cndmask_b32_e64 v25, 0, v28, s0
	v_cmp_gt_i32_e64 s0, s14, v41
	s_delay_alu instid0(VALU_DEP_1) | instskip(SKIP_1) | instid1(VALU_DEP_1)
	v_cndmask_b32_e64 v23, 0, v23, s0
	v_cmp_gt_i32_e64 s0, s25, v40
	v_cndmask_b32_e64 v22, 0, v22, s0
	v_cmp_gt_i32_e64 s0, s14, v39
	s_delay_alu instid0(VALU_DEP_4) | instskip(NEXT) | instid1(VALU_DEP_3)
	v_or_b32_e32 v27, v23, v24
	v_or_b32_e32 v26, v22, v25
	s_delay_alu instid0(VALU_DEP_3) | instskip(SKIP_1) | instid1(VALU_DEP_1)
	v_cndmask_b32_e64 v21, 0, v21, s0
	v_cmp_gt_i32_e64 s0, s25, v38
	v_cndmask_b32_e64 v20, 0, v20, s0
	v_cmp_gt_i32_e64 s0, s14, v37
	s_delay_alu instid0(VALU_DEP_1) | instskip(SKIP_1) | instid1(VALU_DEP_1)
	v_cndmask_b32_e64 v1, 0, v1, s0
	v_cmp_gt_i32_e64 s0, s25, v36
	v_dual_cndmask_b32 v12, 0, v12, s0 :: v_dual_bitop2_b32 v25, v1, v21 bitop3:0x54
	s_delay_alu instid0(VALU_DEP_1)
	v_or_b32_e32 v24, v12, v20
.LBB291_940:                            ;   in Loop: Header=BB291_676 Depth=1
	s_or_b32 exec_lo, exec_lo, s15
	;;#ASMSTART
	v_pk_mul_f16 v1, v48, v27;

	;;#ASMEND
	;;#ASMSTART
	v_pk_mul_f16 v12, v47, v26;

	;;#ASMEND
	;; [unrolled: 4-line block ×4, first 2 shown]
	;;#ASMSTART
	v_pk_add_f16 v1, v1, v12;

	;;#ASMEND
	;;#ASMSTART
	v_pk_add_f16 v1, v1, v20;

	;;#ASMEND
	;; [unrolled: 4-line block ×3, first 2 shown]
	v_and_b32_e32 v12, 0xffff, v1
	v_dual_lshrrev_b32 v1, 16, v1 :: v_dual_mov_b32 v21, 0
	;;#ASMSTART
	v_cvt_f32_f16 v55, v12;
	;;#ASMEND
	;;#ASMSTART
	v_cvt_f32_f16 v56, v1;
	;;#ASMEND
	global_load_b64 v[22:23], v[18:19], off offset:1024
	v_mov_b32_e32 v1, 0
	s_mov_b32 s15, exec_lo
	global_load_b32 v20, v1, s[6:7]
	s_wait_loadcnt 0x1
	v_and_b32_e32 v12, 0xff, v22
	s_wait_xcnt 0x0
	s_delay_alu instid0(VALU_DEP_1)
	v_cmpx_ne_u16_e32 0, v12
	s_cbranch_execz .LBB291_948
; %bb.941:                              ;   in Loop: Header=BB291_676 Depth=1
	v_mov_b32_e32 v21, 0x8000
	s_mov_b32 s16, exec_lo
	v_cmpx_ne_u16_e32 0x80, v12
	s_cbranch_execz .LBB291_947
; %bb.942:                              ;   in Loop: Header=BB291_676 Depth=1
	v_and_b32_e32 v24, 0x7f, v22
	v_mov_b32_e32 v21, 0x7c01
	s_mov_b32 s17, exec_lo
	s_delay_alu instid0(VALU_DEP_2)
	v_cmpx_ne_u32_e32 0x7f, v24
	s_cbranch_execz .LBB291_946
; %bb.943:                              ;   in Loop: Header=BB291_676 Depth=1
	v_dual_lshrrev_b32 v21, 3, v24 :: v_dual_bitop2_b32 v12, 7, v22 bitop3:0x40
	s_mov_b32 s18, exec_lo
	v_cmpx_gt_u32_e32 8, v24
; %bb.944:                              ;   in Loop: Header=BB291_676 Depth=1
	s_delay_alu instid0(VALU_DEP_2) | instskip(NEXT) | instid1(VALU_DEP_1)
	v_clz_i32_u32_e32 v12, v12
	v_min_u32_e32 v12, 32, v12
	s_delay_alu instid0(VALU_DEP_1) | instskip(NEXT) | instid1(VALU_DEP_1)
	v_subrev_nc_u32_e32 v21, 28, v12
	v_lshlrev_b64_e32 v[24:25], v21, v[22:23]
	v_sub_nc_u32_e32 v21, 29, v12
	s_delay_alu instid0(VALU_DEP_2)
	v_and_b32_e32 v12, 7, v24
; %bb.945:                              ;   in Loop: Header=BB291_676 Depth=1
	s_or_b32 exec_lo, exec_lo, s18
	s_delay_alu instid0(VALU_DEP_1) | instskip(NEXT) | instid1(VALU_DEP_3)
	v_dual_lshlrev_b32 v24, 8, v22 :: v_dual_lshlrev_b32 v12, 7, v12
	v_lshl_add_u32 v21, v21, 10, 0x2000
	s_delay_alu instid0(VALU_DEP_2) | instskip(NEXT) | instid1(VALU_DEP_2)
	v_and_b32_e32 v24, 0x8000, v24
	v_and_b32_e32 v21, 0xfc00, v21
	s_delay_alu instid0(VALU_DEP_1)
	v_or3_b32 v21, v24, v21, v12
.LBB291_946:                            ;   in Loop: Header=BB291_676 Depth=1
	s_or_b32 exec_lo, exec_lo, s17
.LBB291_947:                            ;   in Loop: Header=BB291_676 Depth=1
	s_delay_alu instid0(SALU_CYCLE_1)
	s_or_b32 exec_lo, exec_lo, s16
.LBB291_948:                            ;   in Loop: Header=BB291_676 Depth=1
	s_delay_alu instid0(SALU_CYCLE_1) | instskip(SKIP_2) | instid1(VALU_DEP_1)
	s_or_b32 exec_lo, exec_lo, s15
	v_lshrrev_b16 v12, 8, v22
	s_mov_b32 s15, exec_lo
	v_cmpx_ne_u16_e32 0, v12
	s_cbranch_execz .LBB291_956
; %bb.949:                              ;   in Loop: Header=BB291_676 Depth=1
	v_bfrev_b32_e32 v1, 1
	s_mov_b32 s16, exec_lo
	v_cmpx_ne_u16_e32 0x80, v12
	s_cbranch_execz .LBB291_955
; %bb.950:                              ;   in Loop: Header=BB291_676 Depth=1
	v_and_b32_e32 v24, 0xffff, v12
	v_mov_b32_e32 v1, 0x7c010000
	s_mov_b32 s17, exec_lo
	s_delay_alu instid0(VALU_DEP_2) | instskip(NEXT) | instid1(VALU_DEP_1)
	v_and_b32_e32 v26, 0x7f, v24
	v_cmpx_ne_u32_e32 0x7f, v26
	s_cbranch_execz .LBB291_954
; %bb.951:                              ;   in Loop: Header=BB291_676 Depth=1
	v_dual_lshrrev_b32 v25, 3, v26 :: v_dual_bitop2_b32 v1, 7, v24 bitop3:0x40
	s_mov_b32 s18, exec_lo
	v_cmpx_gt_u32_e32 8, v26
; %bb.952:                              ;   in Loop: Header=BB291_676 Depth=1
	s_delay_alu instid0(VALU_DEP_2) | instskip(NEXT) | instid1(VALU_DEP_1)
	v_clz_i32_u32_e32 v1, v1
	v_min_u32_e32 v1, 32, v1
	s_delay_alu instid0(VALU_DEP_1) | instskip(NEXT) | instid1(VALU_DEP_1)
	v_subrev_nc_u32_e32 v25, 28, v1
	v_lshlrev_b64_e32 v[26:27], v25, v[12:13]
	s_delay_alu instid0(VALU_DEP_1)
	v_dual_sub_nc_u32 v25, 29, v1 :: v_dual_bitop2_b32 v1, 7, v26 bitop3:0x40
; %bb.953:                              ;   in Loop: Header=BB291_676 Depth=1
	s_or_b32 exec_lo, exec_lo, s18
	s_delay_alu instid0(VALU_DEP_1) | instskip(NEXT) | instid1(VALU_DEP_2)
	v_dual_lshlrev_b32 v12, 8, v24 :: v_dual_lshlrev_b32 v1, 23, v1
	v_lshl_add_u32 v24, v25, 10, 0x2000
	s_delay_alu instid0(VALU_DEP_1) | instskip(NEXT) | instid1(VALU_DEP_1)
	v_and_or_b32 v12, 0x8000, v12, v24
	v_lshl_or_b32 v1, v12, 16, v1
.LBB291_954:                            ;   in Loop: Header=BB291_676 Depth=1
	s_or_b32 exec_lo, exec_lo, s17
.LBB291_955:                            ;   in Loop: Header=BB291_676 Depth=1
	s_delay_alu instid0(SALU_CYCLE_1)
	s_or_b32 exec_lo, exec_lo, s16
.LBB291_956:                            ;   in Loop: Header=BB291_676 Depth=1
	s_delay_alu instid0(SALU_CYCLE_1) | instskip(SKIP_3) | instid1(VALU_DEP_2)
	s_or_b32 exec_lo, exec_lo, s15
	v_dual_lshrrev_b32 v12, 16, v22 :: v_dual_mov_b32 v24, 0
	v_mov_b32_e32 v25, 0
	s_mov_b32 s15, exec_lo
	v_and_b32_e32 v26, 0xff, v12
	s_delay_alu instid0(VALU_DEP_1)
	v_cmpx_ne_u16_e32 0, v26
	s_cbranch_execz .LBB291_964
; %bb.957:                              ;   in Loop: Header=BB291_676 Depth=1
	v_mov_b32_e32 v25, 0x8000
	s_mov_b32 s16, exec_lo
	v_cmpx_ne_u16_e32 0x80, v26
	s_cbranch_execz .LBB291_963
; %bb.958:                              ;   in Loop: Header=BB291_676 Depth=1
	v_bfe_u32 v27, v22, 16, 7
	v_mov_b32_e32 v25, 0x7c01
	s_mov_b32 s17, exec_lo
	s_delay_alu instid0(VALU_DEP_2)
	v_cmpx_ne_u32_e32 0x7f, v27
	s_cbranch_execz .LBB291_962
; %bb.959:                              ;   in Loop: Header=BB291_676 Depth=1
	v_dual_lshrrev_b32 v26, 3, v27 :: v_dual_bitop2_b32 v25, 7, v12 bitop3:0x40
	s_mov_b32 s18, exec_lo
	v_cmpx_gt_u32_e32 8, v27
; %bb.960:                              ;   in Loop: Header=BB291_676 Depth=1
	s_delay_alu instid0(VALU_DEP_2) | instskip(NEXT) | instid1(VALU_DEP_1)
	v_clz_i32_u32_e32 v25, v25
	v_min_u32_e32 v25, 32, v25
	s_delay_alu instid0(VALU_DEP_1) | instskip(NEXT) | instid1(VALU_DEP_1)
	v_subrev_nc_u32_e32 v26, 28, v25
	v_lshlrev_b64_e32 v[28:29], v26, v[12:13]
	s_delay_alu instid0(VALU_DEP_1)
	v_dual_sub_nc_u32 v26, 29, v25 :: v_dual_bitop2_b32 v25, 7, v28 bitop3:0x40
; %bb.961:                              ;   in Loop: Header=BB291_676 Depth=1
	s_or_b32 exec_lo, exec_lo, s18
	s_delay_alu instid0(VALU_DEP_1) | instskip(NEXT) | instid1(VALU_DEP_2)
	v_dual_lshlrev_b32 v12, 8, v12 :: v_dual_lshlrev_b32 v25, 7, v25
	v_lshl_add_u32 v26, v26, 10, 0x2000
	s_delay_alu instid0(VALU_DEP_2) | instskip(NEXT) | instid1(VALU_DEP_2)
	v_and_b32_e32 v12, 0x8000, v12
	v_and_b32_e32 v26, 0xfc00, v26
	s_delay_alu instid0(VALU_DEP_1)
	v_or3_b32 v25, v12, v26, v25
.LBB291_962:                            ;   in Loop: Header=BB291_676 Depth=1
	s_or_b32 exec_lo, exec_lo, s17
.LBB291_963:                            ;   in Loop: Header=BB291_676 Depth=1
	s_delay_alu instid0(SALU_CYCLE_1)
	s_or_b32 exec_lo, exec_lo, s16
.LBB291_964:                            ;   in Loop: Header=BB291_676 Depth=1
	s_delay_alu instid0(SALU_CYCLE_1) | instskip(NEXT) | instid1(SALU_CYCLE_1)
	s_or_b32 exec_lo, exec_lo, s15
	s_mov_b32 s15, exec_lo
	v_cmpx_lt_u32_e32 0xffffff, v22
	s_cbranch_execz .LBB291_972
; %bb.965:                              ;   in Loop: Header=BB291_676 Depth=1
	v_lshrrev_b32_e32 v12, 24, v22
	v_bfrev_b32_e32 v24, 1
	s_mov_b32 s16, exec_lo
	s_delay_alu instid0(VALU_DEP_2)
	v_cmpx_ne_u32_e32 0x80, v12
	s_cbranch_execz .LBB291_971
; %bb.966:                              ;   in Loop: Header=BB291_676 Depth=1
	v_and_b32_e32 v27, 0x7f, v12
	v_mov_b32_e32 v24, 0x7c010000
	s_mov_b32 s17, exec_lo
	s_delay_alu instid0(VALU_DEP_2)
	v_cmpx_ne_u32_e32 0x7f, v27
	s_cbranch_execz .LBB291_970
; %bb.967:                              ;   in Loop: Header=BB291_676 Depth=1
	v_dual_lshrrev_b32 v26, 3, v27 :: v_dual_bitop2_b32 v24, 7, v12 bitop3:0x40
	s_mov_b32 s18, exec_lo
	v_cmpx_gt_u32_e32 8, v27
; %bb.968:                              ;   in Loop: Header=BB291_676 Depth=1
	s_delay_alu instid0(VALU_DEP_2) | instskip(NEXT) | instid1(VALU_DEP_1)
	v_clz_i32_u32_e32 v24, v24
	v_min_u32_e32 v24, 32, v24
	s_delay_alu instid0(VALU_DEP_1) | instskip(NEXT) | instid1(VALU_DEP_1)
	v_subrev_nc_u32_e32 v26, 28, v24
	v_lshlrev_b64_e32 v[28:29], v26, v[12:13]
	v_sub_nc_u32_e32 v26, 29, v24
	s_delay_alu instid0(VALU_DEP_2)
	v_and_b32_e32 v24, 7, v28
; %bb.969:                              ;   in Loop: Header=BB291_676 Depth=1
	s_or_b32 exec_lo, exec_lo, s18
	v_lshlrev_b32_e32 v12, 8, v12
	s_delay_alu instid0(VALU_DEP_3) | instskip(NEXT) | instid1(VALU_DEP_3)
	v_lshl_add_u32 v26, v26, 10, 0x2000
	v_lshlrev_b32_e32 v24, 23, v24
	s_delay_alu instid0(VALU_DEP_2) | instskip(NEXT) | instid1(VALU_DEP_1)
	v_and_or_b32 v12, 0x8000, v12, v26
	v_lshl_or_b32 v24, v12, 16, v24
.LBB291_970:                            ;   in Loop: Header=BB291_676 Depth=1
	s_or_b32 exec_lo, exec_lo, s17
.LBB291_971:                            ;   in Loop: Header=BB291_676 Depth=1
	s_delay_alu instid0(SALU_CYCLE_1)
	s_or_b32 exec_lo, exec_lo, s16
.LBB291_972:                            ;   in Loop: Header=BB291_676 Depth=1
	s_delay_alu instid0(SALU_CYCLE_1) | instskip(SKIP_4) | instid1(VALU_DEP_3)
	s_or_b32 exec_lo, exec_lo, s15
	v_and_b32_e32 v28, 0xff, v23
	v_dual_mov_b32 v12, v23 :: v_dual_mov_b32 v27, 0
	v_mov_b32_e32 v26, 0
	s_mov_b32 s15, exec_lo
	v_cmpx_ne_u16_e32 0, v28
	s_cbranch_execz .LBB291_980
; %bb.973:                              ;   in Loop: Header=BB291_676 Depth=1
	v_mov_b32_e32 v26, 0x8000
	s_mov_b32 s16, exec_lo
	v_cmpx_ne_u16_e32 0x80, v28
	s_cbranch_execz .LBB291_979
; %bb.974:                              ;   in Loop: Header=BB291_676 Depth=1
	v_and_b32_e32 v29, 0x7f, v23
	v_mov_b32_e32 v26, 0x7c01
	s_mov_b32 s17, exec_lo
	s_delay_alu instid0(VALU_DEP_2)
	v_cmpx_ne_u32_e32 0x7f, v29
	s_cbranch_execz .LBB291_978
; %bb.975:                              ;   in Loop: Header=BB291_676 Depth=1
	v_dual_lshrrev_b32 v28, 3, v29 :: v_dual_bitop2_b32 v26, 7, v23 bitop3:0x40
	s_mov_b32 s18, exec_lo
	v_cmpx_gt_u32_e32 8, v29
; %bb.976:                              ;   in Loop: Header=BB291_676 Depth=1
	s_delay_alu instid0(VALU_DEP_2) | instskip(NEXT) | instid1(VALU_DEP_1)
	v_clz_i32_u32_e32 v26, v26
	v_min_u32_e32 v26, 32, v26
	s_delay_alu instid0(VALU_DEP_1) | instskip(NEXT) | instid1(VALU_DEP_1)
	v_subrev_nc_u32_e32 v28, 28, v26
	v_lshlrev_b64_e32 v[58:59], v28, v[12:13]
	v_sub_nc_u32_e32 v28, 29, v26
	s_delay_alu instid0(VALU_DEP_2)
	v_and_b32_e32 v26, 7, v58
; %bb.977:                              ;   in Loop: Header=BB291_676 Depth=1
	s_or_b32 exec_lo, exec_lo, s18
	s_delay_alu instid0(VALU_DEP_1) | instskip(NEXT) | instid1(VALU_DEP_3)
	v_dual_lshlrev_b32 v29, 8, v23 :: v_dual_lshlrev_b32 v26, 7, v26
	v_lshl_add_u32 v28, v28, 10, 0x2000
	s_delay_alu instid0(VALU_DEP_2) | instskip(NEXT) | instid1(VALU_DEP_2)
	v_and_b32_e32 v29, 0x8000, v29
	v_and_b32_e32 v28, 0xfc00, v28
	s_delay_alu instid0(VALU_DEP_1)
	v_or3_b32 v26, v29, v28, v26
.LBB291_978:                            ;   in Loop: Header=BB291_676 Depth=1
	s_or_b32 exec_lo, exec_lo, s17
.LBB291_979:                            ;   in Loop: Header=BB291_676 Depth=1
	s_delay_alu instid0(SALU_CYCLE_1)
	s_or_b32 exec_lo, exec_lo, s16
.LBB291_980:                            ;   in Loop: Header=BB291_676 Depth=1
	s_delay_alu instid0(SALU_CYCLE_1) | instskip(SKIP_3) | instid1(VALU_DEP_2)
	s_or_b32 exec_lo, exec_lo, s15
	v_lshrrev_b16 v12, 8, v12
	v_mov_b32_e32 v28, 0
	s_mov_b32 s15, exec_lo
	v_cmpx_ne_u16_e32 0, v12
	s_cbranch_execz .LBB291_988
; %bb.981:                              ;   in Loop: Header=BB291_676 Depth=1
	v_bfrev_b32_e32 v28, 1
	s_mov_b32 s16, exec_lo
	v_cmpx_ne_u16_e32 0x80, v12
	s_cbranch_execz .LBB291_987
; %bb.982:                              ;   in Loop: Header=BB291_676 Depth=1
	v_and_b32_e32 v29, 0xffff, v12
	v_mov_b32_e32 v28, 0x7c010000
	s_mov_b32 s17, exec_lo
	s_delay_alu instid0(VALU_DEP_2) | instskip(NEXT) | instid1(VALU_DEP_1)
	v_and_b32_e32 v44, 0x7f, v29
	v_cmpx_ne_u32_e32 0x7f, v44
	s_cbranch_execz .LBB291_986
; %bb.983:                              ;   in Loop: Header=BB291_676 Depth=1
	v_dual_lshrrev_b32 v43, 3, v44 :: v_dual_bitop2_b32 v28, 7, v29 bitop3:0x40
	s_mov_b32 s18, exec_lo
	v_cmpx_gt_u32_e32 8, v44
; %bb.984:                              ;   in Loop: Header=BB291_676 Depth=1
	s_delay_alu instid0(VALU_DEP_2) | instskip(NEXT) | instid1(VALU_DEP_1)
	v_clz_i32_u32_e32 v28, v28
	v_min_u32_e32 v28, 32, v28
	s_delay_alu instid0(VALU_DEP_1) | instskip(NEXT) | instid1(VALU_DEP_1)
	v_subrev_nc_u32_e32 v43, 28, v28
	v_lshlrev_b64_e32 v[58:59], v43, v[12:13]
	s_delay_alu instid0(VALU_DEP_1)
	v_dual_sub_nc_u32 v43, 29, v28 :: v_dual_bitop2_b32 v28, 7, v58 bitop3:0x40
; %bb.985:                              ;   in Loop: Header=BB291_676 Depth=1
	s_or_b32 exec_lo, exec_lo, s18
	s_delay_alu instid0(VALU_DEP_1) | instskip(NEXT) | instid1(VALU_DEP_2)
	v_dual_lshlrev_b32 v12, 8, v29 :: v_dual_lshlrev_b32 v28, 23, v28
	v_lshl_add_u32 v29, v43, 10, 0x2000
	s_delay_alu instid0(VALU_DEP_1) | instskip(NEXT) | instid1(VALU_DEP_1)
	v_and_or_b32 v12, 0x8000, v12, v29
	v_lshl_or_b32 v28, v12, 16, v28
.LBB291_986:                            ;   in Loop: Header=BB291_676 Depth=1
	s_or_b32 exec_lo, exec_lo, s17
.LBB291_987:                            ;   in Loop: Header=BB291_676 Depth=1
	s_delay_alu instid0(SALU_CYCLE_1)
	s_or_b32 exec_lo, exec_lo, s16
.LBB291_988:                            ;   in Loop: Header=BB291_676 Depth=1
	s_delay_alu instid0(SALU_CYCLE_1) | instskip(SKIP_2) | instid1(VALU_DEP_1)
	s_or_b32 exec_lo, exec_lo, s15
	v_lshrrev_b32_e32 v12, 16, v23
	s_mov_b32 s15, exec_lo
	v_and_b32_e32 v29, 0xff, v12
	s_delay_alu instid0(VALU_DEP_1)
	v_cmpx_ne_u16_e32 0, v29
	s_cbranch_execz .LBB291_996
; %bb.989:                              ;   in Loop: Header=BB291_676 Depth=1
	v_mov_b32_e32 v27, 0x8000
	s_mov_b32 s16, exec_lo
	v_cmpx_ne_u16_e32 0x80, v29
	s_cbranch_execz .LBB291_995
; %bb.990:                              ;   in Loop: Header=BB291_676 Depth=1
	v_bfe_u32 v43, v23, 16, 7
	v_mov_b32_e32 v27, 0x7c01
	s_mov_b32 s17, exec_lo
	s_delay_alu instid0(VALU_DEP_2)
	v_cmpx_ne_u32_e32 0x7f, v43
	s_cbranch_execz .LBB291_994
; %bb.991:                              ;   in Loop: Header=BB291_676 Depth=1
	v_dual_lshrrev_b32 v29, 3, v43 :: v_dual_bitop2_b32 v27, 7, v12 bitop3:0x40
	s_mov_b32 s18, exec_lo
	v_cmpx_gt_u32_e32 8, v43
; %bb.992:                              ;   in Loop: Header=BB291_676 Depth=1
	s_delay_alu instid0(VALU_DEP_2) | instskip(NEXT) | instid1(VALU_DEP_1)
	v_clz_i32_u32_e32 v27, v27
	v_min_u32_e32 v27, 32, v27
	s_delay_alu instid0(VALU_DEP_1) | instskip(NEXT) | instid1(VALU_DEP_1)
	v_subrev_nc_u32_e32 v29, 28, v27
	v_lshlrev_b64_e32 v[58:59], v29, v[12:13]
	s_delay_alu instid0(VALU_DEP_1)
	v_dual_sub_nc_u32 v29, 29, v27 :: v_dual_bitop2_b32 v27, 7, v58 bitop3:0x40
; %bb.993:                              ;   in Loop: Header=BB291_676 Depth=1
	s_or_b32 exec_lo, exec_lo, s18
	s_delay_alu instid0(VALU_DEP_1) | instskip(NEXT) | instid1(VALU_DEP_2)
	v_dual_lshlrev_b32 v12, 8, v12 :: v_dual_lshlrev_b32 v27, 7, v27
	v_lshl_add_u32 v29, v29, 10, 0x2000
	s_delay_alu instid0(VALU_DEP_2) | instskip(NEXT) | instid1(VALU_DEP_2)
	v_and_b32_e32 v12, 0x8000, v12
	v_and_b32_e32 v29, 0xfc00, v29
	s_delay_alu instid0(VALU_DEP_1)
	v_or3_b32 v27, v12, v29, v27
.LBB291_994:                            ;   in Loop: Header=BB291_676 Depth=1
	s_or_b32 exec_lo, exec_lo, s17
.LBB291_995:                            ;   in Loop: Header=BB291_676 Depth=1
	s_delay_alu instid0(SALU_CYCLE_1)
	s_or_b32 exec_lo, exec_lo, s16
.LBB291_996:                            ;   in Loop: Header=BB291_676 Depth=1
	s_delay_alu instid0(SALU_CYCLE_1)
	s_or_b32 exec_lo, exec_lo, s15
	v_cmp_lt_u64_e64 s0, s[2:3], v[22:23]
	v_mov_b32_e32 v22, 0
	s_and_saveexec_b32 s15, s0
	s_cbranch_execz .LBB291_1004
; %bb.997:                              ;   in Loop: Header=BB291_676 Depth=1
	v_lshrrev_b32_e32 v12, 24, v23
	v_bfrev_b32_e32 v22, 1
	s_mov_b32 s16, exec_lo
	s_delay_alu instid0(VALU_DEP_2)
	v_cmpx_ne_u32_e32 0x80, v12
	s_cbranch_execz .LBB291_1003
; %bb.998:                              ;   in Loop: Header=BB291_676 Depth=1
	v_and_b32_e32 v29, 0x7f, v12
	v_mov_b32_e32 v22, 0x7c010000
	s_mov_b32 s17, exec_lo
	s_delay_alu instid0(VALU_DEP_2)
	v_cmpx_ne_u32_e32 0x7f, v29
	s_cbranch_execz .LBB291_1002
; %bb.999:                              ;   in Loop: Header=BB291_676 Depth=1
	v_dual_lshrrev_b32 v23, 3, v29 :: v_dual_bitop2_b32 v22, 7, v12 bitop3:0x40
	s_mov_b32 s18, exec_lo
	v_cmpx_gt_u32_e32 8, v29
; %bb.1000:                             ;   in Loop: Header=BB291_676 Depth=1
	s_delay_alu instid0(VALU_DEP_2) | instskip(NEXT) | instid1(VALU_DEP_1)
	v_clz_i32_u32_e32 v22, v22
	v_min_u32_e32 v29, 32, v22
	s_delay_alu instid0(VALU_DEP_1) | instskip(NEXT) | instid1(VALU_DEP_1)
	v_subrev_nc_u32_e32 v22, 28, v29
	v_lshlrev_b64_e32 v[22:23], v22, v[12:13]
	s_delay_alu instid0(VALU_DEP_1)
	v_dual_sub_nc_u32 v23, 29, v29 :: v_dual_bitop2_b32 v22, 7, v22 bitop3:0x40
; %bb.1001:                             ;   in Loop: Header=BB291_676 Depth=1
	s_or_b32 exec_lo, exec_lo, s18
	s_delay_alu instid0(VALU_DEP_1) | instskip(NEXT) | instid1(VALU_DEP_2)
	v_dual_lshlrev_b32 v12, 8, v12 :: v_dual_lshlrev_b32 v22, 23, v22
	v_lshl_add_u32 v23, v23, 10, 0x2000
	s_delay_alu instid0(VALU_DEP_1) | instskip(NEXT) | instid1(VALU_DEP_1)
	v_and_or_b32 v12, 0x8000, v12, v23
	v_lshl_or_b32 v22, v12, 16, v22
.LBB291_1002:                           ;   in Loop: Header=BB291_676 Depth=1
	s_or_b32 exec_lo, exec_lo, s17
.LBB291_1003:                           ;   in Loop: Header=BB291_676 Depth=1
	s_delay_alu instid0(SALU_CYCLE_1)
	s_or_b32 exec_lo, exec_lo, s16
.LBB291_1004:                           ;   in Loop: Header=BB291_676 Depth=1
	s_delay_alu instid0(SALU_CYCLE_1) | instskip(SKIP_3) | instid1(VALU_DEP_3)
	s_or_b32 exec_lo, exec_lo, s15
	v_dual_lshrrev_b32 v12, 16, v1 :: v_dual_lshrrev_b32 v23, 16, v24
	v_or_b32_e32 v1, v1, v21
	v_dual_lshrrev_b32 v29, 16, v22 :: v_dual_bitop2_b32 v21, v24, v25 bitop3:0x54
	v_cvt_f32_f16_e32 v25, v12
	s_delay_alu instid0(VALU_DEP_4) | instskip(SKIP_1) | instid1(VALU_DEP_4)
	v_cvt_f32_f16_e32 v24, v23
	v_dual_lshrrev_b32 v27, 16, v28 :: v_dual_bitop2_b32 v12, v22, v27 bitop3:0x54
	v_cvt_f32_f16_e32 v22, v21
	v_cvt_f32_f16_e32 v23, v1
	s_wait_loadcnt 0x0
	v_pk_mul_f32 v[24:25], v[20:21], v[24:25] op_sel_hi:[0,1]
	v_or_b32_e32 v21, v28, v26
	v_cvt_f32_f16_e32 v27, v27
	v_cvt_f32_f16_e32 v26, v29
	v_cvt_f32_f16_e32 v28, v12
	v_cvt_pk_f16_f32 v1, v24, v25
	v_cvt_f32_f16_e32 v29, v21
	v_pk_mul_f32 v[22:23], v[20:21], v[22:23] op_sel_hi:[0,1]
	v_pk_mul_f32 v[24:25], v[20:21], v[26:27] op_sel_hi:[0,1]
	s_delay_alu instid0(VALU_DEP_3) | instskip(NEXT) | instid1(VALU_DEP_3)
	v_pk_mul_f32 v[20:21], v[20:21], v[28:29] op_sel_hi:[0,1]
	v_cvt_pk_f16_f32 v12, v22, v23
	v_and_b32_e32 v23, 0xffff0000, v1
	s_delay_alu instid0(VALU_DEP_4)
	v_cvt_pk_f16_f32 v24, v24, v25
	v_lshlrev_b32_e32 v22, 16, v1
	v_cvt_pk_f16_f32 v20, v20, v21
	v_lshrrev_b32_e32 v29, 16, v12
	v_and_b32_e32 v28, 0xffff, v12
	v_and_b32_e32 v1, 0xffff0000, v24
	s_delay_alu instid0(VALU_DEP_3) | instskip(SKIP_3) | instid1(VALU_DEP_2)
	v_dual_lshlrev_b32 v12, 16, v24 :: v_dual_bitop2_b32 v27, v23, v29 bitop3:0x54
	v_lshrrev_b32_e32 v21, 16, v20
	v_and_b32_e32 v20, 0xffff, v20
	v_or_b32_e32 v26, v22, v28
	v_or_b32_e32 v24, v12, v20
	s_delay_alu instid0(VALU_DEP_4)
	v_or_b32_e32 v25, v1, v21
	s_and_saveexec_b32 s15, vcc_lo
	s_cbranch_execz .LBB291_1006
; %bb.1005:                             ;   in Loop: Header=BB291_676 Depth=1
	v_cmp_gt_i32_e64 s0, s14, v33
	s_delay_alu instid0(VALU_DEP_1) | instskip(SKIP_1) | instid1(VALU_DEP_1)
	v_cndmask_b32_e64 v24, 0, v29, s0
	v_cmp_gt_i32_e64 s0, s25, v42
	v_cndmask_b32_e64 v25, 0, v28, s0
	v_cmp_gt_i32_e64 s0, s14, v41
	s_delay_alu instid0(VALU_DEP_1) | instskip(SKIP_1) | instid1(VALU_DEP_1)
	v_cndmask_b32_e64 v23, 0, v23, s0
	v_cmp_gt_i32_e64 s0, s25, v40
	v_cndmask_b32_e64 v22, 0, v22, s0
	v_cmp_gt_i32_e64 s0, s14, v39
	s_delay_alu instid0(VALU_DEP_4) | instskip(NEXT) | instid1(VALU_DEP_3)
	v_or_b32_e32 v27, v23, v24
	v_or_b32_e32 v26, v22, v25
	s_delay_alu instid0(VALU_DEP_3) | instskip(SKIP_1) | instid1(VALU_DEP_1)
	v_cndmask_b32_e64 v21, 0, v21, s0
	v_cmp_gt_i32_e64 s0, s25, v38
	v_cndmask_b32_e64 v20, 0, v20, s0
	v_cmp_gt_i32_e64 s0, s14, v37
	s_delay_alu instid0(VALU_DEP_1) | instskip(SKIP_1) | instid1(VALU_DEP_1)
	v_cndmask_b32_e64 v1, 0, v1, s0
	v_cmp_gt_i32_e64 s0, s25, v36
	v_dual_cndmask_b32 v12, 0, v12, s0 :: v_dual_bitop2_b32 v25, v1, v21 bitop3:0x54
	s_delay_alu instid0(VALU_DEP_1)
	v_or_b32_e32 v24, v12, v20
.LBB291_1006:                           ;   in Loop: Header=BB291_676 Depth=1
	s_or_b32 exec_lo, exec_lo, s15
	;;#ASMSTART
	v_pk_mul_f16 v1, v48, v27;

	;;#ASMEND
	;;#ASMSTART
	v_pk_mul_f16 v12, v47, v26;

	;;#ASMEND
	;; [unrolled: 4-line block ×4, first 2 shown]
	;;#ASMSTART
	v_pk_add_f16 v1, v1, v12;

	;;#ASMEND
	;;#ASMSTART
	v_pk_add_f16 v1, v1, v20;

	;;#ASMEND
	;; [unrolled: 4-line block ×3, first 2 shown]
	v_and_b32_e32 v12, 0xffff, v1
	v_dual_lshrrev_b32 v1, 16, v1 :: v_dual_mov_b32 v21, 0
	;;#ASMSTART
	v_cvt_f32_f16 v57, v12;
	;;#ASMEND
	;;#ASMSTART
	v_cvt_f32_f16 v58, v1;
	;;#ASMEND
	global_load_b64 v[22:23], v[18:19], off offset:1280
	v_mov_b32_e32 v1, 0
	s_mov_b32 s15, exec_lo
	global_load_b32 v20, v1, s[6:7]
	s_wait_loadcnt 0x1
	v_and_b32_e32 v12, 0xff, v22
	s_wait_xcnt 0x0
	s_delay_alu instid0(VALU_DEP_1)
	v_cmpx_ne_u16_e32 0, v12
	s_cbranch_execz .LBB291_1014
; %bb.1007:                             ;   in Loop: Header=BB291_676 Depth=1
	v_mov_b32_e32 v21, 0x8000
	s_mov_b32 s16, exec_lo
	v_cmpx_ne_u16_e32 0x80, v12
	s_cbranch_execz .LBB291_1013
; %bb.1008:                             ;   in Loop: Header=BB291_676 Depth=1
	v_and_b32_e32 v24, 0x7f, v22
	v_mov_b32_e32 v21, 0x7c01
	s_mov_b32 s17, exec_lo
	s_delay_alu instid0(VALU_DEP_2)
	v_cmpx_ne_u32_e32 0x7f, v24
	s_cbranch_execz .LBB291_1012
; %bb.1009:                             ;   in Loop: Header=BB291_676 Depth=1
	v_dual_lshrrev_b32 v21, 3, v24 :: v_dual_bitop2_b32 v12, 7, v22 bitop3:0x40
	s_mov_b32 s18, exec_lo
	v_cmpx_gt_u32_e32 8, v24
; %bb.1010:                             ;   in Loop: Header=BB291_676 Depth=1
	s_delay_alu instid0(VALU_DEP_2) | instskip(NEXT) | instid1(VALU_DEP_1)
	v_clz_i32_u32_e32 v12, v12
	v_min_u32_e32 v12, 32, v12
	s_delay_alu instid0(VALU_DEP_1) | instskip(NEXT) | instid1(VALU_DEP_1)
	v_subrev_nc_u32_e32 v21, 28, v12
	v_lshlrev_b64_e32 v[24:25], v21, v[22:23]
	v_sub_nc_u32_e32 v21, 29, v12
	s_delay_alu instid0(VALU_DEP_2)
	v_and_b32_e32 v12, 7, v24
; %bb.1011:                             ;   in Loop: Header=BB291_676 Depth=1
	s_or_b32 exec_lo, exec_lo, s18
	s_delay_alu instid0(VALU_DEP_1) | instskip(NEXT) | instid1(VALU_DEP_3)
	v_dual_lshlrev_b32 v24, 8, v22 :: v_dual_lshlrev_b32 v12, 7, v12
	v_lshl_add_u32 v21, v21, 10, 0x2000
	s_delay_alu instid0(VALU_DEP_2) | instskip(NEXT) | instid1(VALU_DEP_2)
	v_and_b32_e32 v24, 0x8000, v24
	v_and_b32_e32 v21, 0xfc00, v21
	s_delay_alu instid0(VALU_DEP_1)
	v_or3_b32 v21, v24, v21, v12
.LBB291_1012:                           ;   in Loop: Header=BB291_676 Depth=1
	s_or_b32 exec_lo, exec_lo, s17
.LBB291_1013:                           ;   in Loop: Header=BB291_676 Depth=1
	s_delay_alu instid0(SALU_CYCLE_1)
	s_or_b32 exec_lo, exec_lo, s16
.LBB291_1014:                           ;   in Loop: Header=BB291_676 Depth=1
	s_delay_alu instid0(SALU_CYCLE_1) | instskip(SKIP_2) | instid1(VALU_DEP_1)
	s_or_b32 exec_lo, exec_lo, s15
	v_lshrrev_b16 v12, 8, v22
	s_mov_b32 s15, exec_lo
	v_cmpx_ne_u16_e32 0, v12
	s_cbranch_execz .LBB291_1022
; %bb.1015:                             ;   in Loop: Header=BB291_676 Depth=1
	v_bfrev_b32_e32 v1, 1
	s_mov_b32 s16, exec_lo
	v_cmpx_ne_u16_e32 0x80, v12
	s_cbranch_execz .LBB291_1021
; %bb.1016:                             ;   in Loop: Header=BB291_676 Depth=1
	v_and_b32_e32 v24, 0xffff, v12
	v_mov_b32_e32 v1, 0x7c010000
	s_mov_b32 s17, exec_lo
	s_delay_alu instid0(VALU_DEP_2) | instskip(NEXT) | instid1(VALU_DEP_1)
	v_and_b32_e32 v26, 0x7f, v24
	v_cmpx_ne_u32_e32 0x7f, v26
	s_cbranch_execz .LBB291_1020
; %bb.1017:                             ;   in Loop: Header=BB291_676 Depth=1
	v_dual_lshrrev_b32 v25, 3, v26 :: v_dual_bitop2_b32 v1, 7, v24 bitop3:0x40
	s_mov_b32 s18, exec_lo
	v_cmpx_gt_u32_e32 8, v26
; %bb.1018:                             ;   in Loop: Header=BB291_676 Depth=1
	s_delay_alu instid0(VALU_DEP_2) | instskip(NEXT) | instid1(VALU_DEP_1)
	v_clz_i32_u32_e32 v1, v1
	v_min_u32_e32 v1, 32, v1
	s_delay_alu instid0(VALU_DEP_1) | instskip(NEXT) | instid1(VALU_DEP_1)
	v_subrev_nc_u32_e32 v25, 28, v1
	v_lshlrev_b64_e32 v[26:27], v25, v[12:13]
	s_delay_alu instid0(VALU_DEP_1)
	v_dual_sub_nc_u32 v25, 29, v1 :: v_dual_bitop2_b32 v1, 7, v26 bitop3:0x40
; %bb.1019:                             ;   in Loop: Header=BB291_676 Depth=1
	s_or_b32 exec_lo, exec_lo, s18
	s_delay_alu instid0(VALU_DEP_1) | instskip(NEXT) | instid1(VALU_DEP_2)
	v_dual_lshlrev_b32 v12, 8, v24 :: v_dual_lshlrev_b32 v1, 23, v1
	v_lshl_add_u32 v24, v25, 10, 0x2000
	s_delay_alu instid0(VALU_DEP_1) | instskip(NEXT) | instid1(VALU_DEP_1)
	v_and_or_b32 v12, 0x8000, v12, v24
	v_lshl_or_b32 v1, v12, 16, v1
.LBB291_1020:                           ;   in Loop: Header=BB291_676 Depth=1
	s_or_b32 exec_lo, exec_lo, s17
.LBB291_1021:                           ;   in Loop: Header=BB291_676 Depth=1
	s_delay_alu instid0(SALU_CYCLE_1)
	s_or_b32 exec_lo, exec_lo, s16
.LBB291_1022:                           ;   in Loop: Header=BB291_676 Depth=1
	s_delay_alu instid0(SALU_CYCLE_1) | instskip(SKIP_3) | instid1(VALU_DEP_2)
	s_or_b32 exec_lo, exec_lo, s15
	v_dual_lshrrev_b32 v12, 16, v22 :: v_dual_mov_b32 v24, 0
	v_mov_b32_e32 v25, 0
	s_mov_b32 s15, exec_lo
	v_and_b32_e32 v26, 0xff, v12
	s_delay_alu instid0(VALU_DEP_1)
	v_cmpx_ne_u16_e32 0, v26
	s_cbranch_execz .LBB291_1030
; %bb.1023:                             ;   in Loop: Header=BB291_676 Depth=1
	v_mov_b32_e32 v25, 0x8000
	s_mov_b32 s16, exec_lo
	v_cmpx_ne_u16_e32 0x80, v26
	s_cbranch_execz .LBB291_1029
; %bb.1024:                             ;   in Loop: Header=BB291_676 Depth=1
	v_bfe_u32 v27, v22, 16, 7
	v_mov_b32_e32 v25, 0x7c01
	s_mov_b32 s17, exec_lo
	s_delay_alu instid0(VALU_DEP_2)
	v_cmpx_ne_u32_e32 0x7f, v27
	s_cbranch_execz .LBB291_1028
; %bb.1025:                             ;   in Loop: Header=BB291_676 Depth=1
	v_dual_lshrrev_b32 v26, 3, v27 :: v_dual_bitop2_b32 v25, 7, v12 bitop3:0x40
	s_mov_b32 s18, exec_lo
	v_cmpx_gt_u32_e32 8, v27
; %bb.1026:                             ;   in Loop: Header=BB291_676 Depth=1
	s_delay_alu instid0(VALU_DEP_2) | instskip(NEXT) | instid1(VALU_DEP_1)
	v_clz_i32_u32_e32 v25, v25
	v_min_u32_e32 v25, 32, v25
	s_delay_alu instid0(VALU_DEP_1) | instskip(NEXT) | instid1(VALU_DEP_1)
	v_subrev_nc_u32_e32 v26, 28, v25
	v_lshlrev_b64_e32 v[28:29], v26, v[12:13]
	s_delay_alu instid0(VALU_DEP_1)
	v_dual_sub_nc_u32 v26, 29, v25 :: v_dual_bitop2_b32 v25, 7, v28 bitop3:0x40
; %bb.1027:                             ;   in Loop: Header=BB291_676 Depth=1
	s_or_b32 exec_lo, exec_lo, s18
	s_delay_alu instid0(VALU_DEP_1) | instskip(NEXT) | instid1(VALU_DEP_2)
	v_dual_lshlrev_b32 v12, 8, v12 :: v_dual_lshlrev_b32 v25, 7, v25
	v_lshl_add_u32 v26, v26, 10, 0x2000
	s_delay_alu instid0(VALU_DEP_2) | instskip(NEXT) | instid1(VALU_DEP_2)
	v_and_b32_e32 v12, 0x8000, v12
	v_and_b32_e32 v26, 0xfc00, v26
	s_delay_alu instid0(VALU_DEP_1)
	v_or3_b32 v25, v12, v26, v25
.LBB291_1028:                           ;   in Loop: Header=BB291_676 Depth=1
	s_or_b32 exec_lo, exec_lo, s17
.LBB291_1029:                           ;   in Loop: Header=BB291_676 Depth=1
	s_delay_alu instid0(SALU_CYCLE_1)
	s_or_b32 exec_lo, exec_lo, s16
.LBB291_1030:                           ;   in Loop: Header=BB291_676 Depth=1
	s_delay_alu instid0(SALU_CYCLE_1) | instskip(NEXT) | instid1(SALU_CYCLE_1)
	s_or_b32 exec_lo, exec_lo, s15
	s_mov_b32 s15, exec_lo
	v_cmpx_lt_u32_e32 0xffffff, v22
	s_cbranch_execz .LBB291_1038
; %bb.1031:                             ;   in Loop: Header=BB291_676 Depth=1
	v_lshrrev_b32_e32 v12, 24, v22
	v_bfrev_b32_e32 v24, 1
	s_mov_b32 s16, exec_lo
	s_delay_alu instid0(VALU_DEP_2)
	v_cmpx_ne_u32_e32 0x80, v12
	s_cbranch_execz .LBB291_1037
; %bb.1032:                             ;   in Loop: Header=BB291_676 Depth=1
	v_and_b32_e32 v27, 0x7f, v12
	v_mov_b32_e32 v24, 0x7c010000
	s_mov_b32 s17, exec_lo
	s_delay_alu instid0(VALU_DEP_2)
	v_cmpx_ne_u32_e32 0x7f, v27
	s_cbranch_execz .LBB291_1036
; %bb.1033:                             ;   in Loop: Header=BB291_676 Depth=1
	v_dual_lshrrev_b32 v26, 3, v27 :: v_dual_bitop2_b32 v24, 7, v12 bitop3:0x40
	s_mov_b32 s18, exec_lo
	v_cmpx_gt_u32_e32 8, v27
; %bb.1034:                             ;   in Loop: Header=BB291_676 Depth=1
	s_delay_alu instid0(VALU_DEP_2) | instskip(NEXT) | instid1(VALU_DEP_1)
	v_clz_i32_u32_e32 v24, v24
	v_min_u32_e32 v24, 32, v24
	s_delay_alu instid0(VALU_DEP_1) | instskip(NEXT) | instid1(VALU_DEP_1)
	v_subrev_nc_u32_e32 v26, 28, v24
	v_lshlrev_b64_e32 v[28:29], v26, v[12:13]
	v_sub_nc_u32_e32 v26, 29, v24
	s_delay_alu instid0(VALU_DEP_2)
	v_and_b32_e32 v24, 7, v28
; %bb.1035:                             ;   in Loop: Header=BB291_676 Depth=1
	s_or_b32 exec_lo, exec_lo, s18
	v_lshlrev_b32_e32 v12, 8, v12
	s_delay_alu instid0(VALU_DEP_3) | instskip(NEXT) | instid1(VALU_DEP_3)
	v_lshl_add_u32 v26, v26, 10, 0x2000
	v_lshlrev_b32_e32 v24, 23, v24
	s_delay_alu instid0(VALU_DEP_2) | instskip(NEXT) | instid1(VALU_DEP_1)
	v_and_or_b32 v12, 0x8000, v12, v26
	v_lshl_or_b32 v24, v12, 16, v24
.LBB291_1036:                           ;   in Loop: Header=BB291_676 Depth=1
	s_or_b32 exec_lo, exec_lo, s17
.LBB291_1037:                           ;   in Loop: Header=BB291_676 Depth=1
	s_delay_alu instid0(SALU_CYCLE_1)
	s_or_b32 exec_lo, exec_lo, s16
.LBB291_1038:                           ;   in Loop: Header=BB291_676 Depth=1
	s_delay_alu instid0(SALU_CYCLE_1) | instskip(SKIP_4) | instid1(VALU_DEP_3)
	s_or_b32 exec_lo, exec_lo, s15
	v_and_b32_e32 v28, 0xff, v23
	v_dual_mov_b32 v12, v23 :: v_dual_mov_b32 v27, 0
	v_mov_b32_e32 v26, 0
	s_mov_b32 s15, exec_lo
	v_cmpx_ne_u16_e32 0, v28
	s_cbranch_execz .LBB291_1046
; %bb.1039:                             ;   in Loop: Header=BB291_676 Depth=1
	v_mov_b32_e32 v26, 0x8000
	s_mov_b32 s16, exec_lo
	v_cmpx_ne_u16_e32 0x80, v28
	s_cbranch_execz .LBB291_1045
; %bb.1040:                             ;   in Loop: Header=BB291_676 Depth=1
	v_and_b32_e32 v29, 0x7f, v23
	v_mov_b32_e32 v26, 0x7c01
	s_mov_b32 s17, exec_lo
	s_delay_alu instid0(VALU_DEP_2)
	v_cmpx_ne_u32_e32 0x7f, v29
	s_cbranch_execz .LBB291_1044
; %bb.1041:                             ;   in Loop: Header=BB291_676 Depth=1
	v_dual_lshrrev_b32 v28, 3, v29 :: v_dual_bitop2_b32 v26, 7, v23 bitop3:0x40
	s_mov_b32 s18, exec_lo
	v_cmpx_gt_u32_e32 8, v29
; %bb.1042:                             ;   in Loop: Header=BB291_676 Depth=1
	s_delay_alu instid0(VALU_DEP_2) | instskip(NEXT) | instid1(VALU_DEP_1)
	v_clz_i32_u32_e32 v26, v26
	v_min_u32_e32 v26, 32, v26
	s_delay_alu instid0(VALU_DEP_1) | instskip(NEXT) | instid1(VALU_DEP_1)
	v_subrev_nc_u32_e32 v28, 28, v26
	v_lshlrev_b64_e32 v[60:61], v28, v[12:13]
	s_delay_alu instid0(VALU_DEP_1)
	v_dual_sub_nc_u32 v28, 29, v26 :: v_dual_bitop2_b32 v26, 7, v60 bitop3:0x40
; %bb.1043:                             ;   in Loop: Header=BB291_676 Depth=1
	s_or_b32 exec_lo, exec_lo, s18
	s_delay_alu instid0(VALU_DEP_1) | instskip(NEXT) | instid1(VALU_DEP_2)
	v_dual_lshlrev_b32 v29, 8, v23 :: v_dual_lshlrev_b32 v26, 7, v26
	v_lshl_add_u32 v28, v28, 10, 0x2000
	s_delay_alu instid0(VALU_DEP_2) | instskip(NEXT) | instid1(VALU_DEP_2)
	v_and_b32_e32 v29, 0x8000, v29
	v_and_b32_e32 v28, 0xfc00, v28
	s_delay_alu instid0(VALU_DEP_1)
	v_or3_b32 v26, v29, v28, v26
.LBB291_1044:                           ;   in Loop: Header=BB291_676 Depth=1
	s_or_b32 exec_lo, exec_lo, s17
.LBB291_1045:                           ;   in Loop: Header=BB291_676 Depth=1
	s_delay_alu instid0(SALU_CYCLE_1)
	s_or_b32 exec_lo, exec_lo, s16
.LBB291_1046:                           ;   in Loop: Header=BB291_676 Depth=1
	s_delay_alu instid0(SALU_CYCLE_1) | instskip(SKIP_3) | instid1(VALU_DEP_2)
	s_or_b32 exec_lo, exec_lo, s15
	v_lshrrev_b16 v12, 8, v12
	v_mov_b32_e32 v28, 0
	s_mov_b32 s15, exec_lo
	v_cmpx_ne_u16_e32 0, v12
	s_cbranch_execz .LBB291_1054
; %bb.1047:                             ;   in Loop: Header=BB291_676 Depth=1
	v_bfrev_b32_e32 v28, 1
	s_mov_b32 s16, exec_lo
	v_cmpx_ne_u16_e32 0x80, v12
	s_cbranch_execz .LBB291_1053
; %bb.1048:                             ;   in Loop: Header=BB291_676 Depth=1
	v_and_b32_e32 v29, 0xffff, v12
	v_mov_b32_e32 v28, 0x7c010000
	s_mov_b32 s17, exec_lo
	s_delay_alu instid0(VALU_DEP_2) | instskip(NEXT) | instid1(VALU_DEP_1)
	v_and_b32_e32 v44, 0x7f, v29
	v_cmpx_ne_u32_e32 0x7f, v44
	s_cbranch_execz .LBB291_1052
; %bb.1049:                             ;   in Loop: Header=BB291_676 Depth=1
	v_dual_lshrrev_b32 v43, 3, v44 :: v_dual_bitop2_b32 v28, 7, v29 bitop3:0x40
	s_mov_b32 s18, exec_lo
	v_cmpx_gt_u32_e32 8, v44
; %bb.1050:                             ;   in Loop: Header=BB291_676 Depth=1
	s_delay_alu instid0(VALU_DEP_2) | instskip(NEXT) | instid1(VALU_DEP_1)
	v_clz_i32_u32_e32 v28, v28
	v_min_u32_e32 v28, 32, v28
	s_delay_alu instid0(VALU_DEP_1) | instskip(NEXT) | instid1(VALU_DEP_1)
	v_subrev_nc_u32_e32 v43, 28, v28
	v_lshlrev_b64_e32 v[60:61], v43, v[12:13]
	v_sub_nc_u32_e32 v43, 29, v28
	s_delay_alu instid0(VALU_DEP_2)
	v_and_b32_e32 v28, 7, v60
; %bb.1051:                             ;   in Loop: Header=BB291_676 Depth=1
	s_or_b32 exec_lo, exec_lo, s18
	s_delay_alu instid0(VALU_DEP_1) | instskip(NEXT) | instid1(VALU_DEP_3)
	v_dual_lshlrev_b32 v12, 8, v29 :: v_dual_lshlrev_b32 v28, 23, v28
	v_lshl_add_u32 v29, v43, 10, 0x2000
	s_delay_alu instid0(VALU_DEP_1) | instskip(NEXT) | instid1(VALU_DEP_1)
	v_and_or_b32 v12, 0x8000, v12, v29
	v_lshl_or_b32 v28, v12, 16, v28
.LBB291_1052:                           ;   in Loop: Header=BB291_676 Depth=1
	s_or_b32 exec_lo, exec_lo, s17
.LBB291_1053:                           ;   in Loop: Header=BB291_676 Depth=1
	s_delay_alu instid0(SALU_CYCLE_1)
	s_or_b32 exec_lo, exec_lo, s16
.LBB291_1054:                           ;   in Loop: Header=BB291_676 Depth=1
	s_delay_alu instid0(SALU_CYCLE_1) | instskip(SKIP_2) | instid1(VALU_DEP_1)
	s_or_b32 exec_lo, exec_lo, s15
	v_lshrrev_b32_e32 v12, 16, v23
	s_mov_b32 s15, exec_lo
	v_and_b32_e32 v29, 0xff, v12
	s_delay_alu instid0(VALU_DEP_1)
	v_cmpx_ne_u16_e32 0, v29
	s_cbranch_execz .LBB291_1062
; %bb.1055:                             ;   in Loop: Header=BB291_676 Depth=1
	v_mov_b32_e32 v27, 0x8000
	s_mov_b32 s16, exec_lo
	v_cmpx_ne_u16_e32 0x80, v29
	s_cbranch_execz .LBB291_1061
; %bb.1056:                             ;   in Loop: Header=BB291_676 Depth=1
	v_bfe_u32 v43, v23, 16, 7
	v_mov_b32_e32 v27, 0x7c01
	s_mov_b32 s17, exec_lo
	s_delay_alu instid0(VALU_DEP_2)
	v_cmpx_ne_u32_e32 0x7f, v43
	s_cbranch_execz .LBB291_1060
; %bb.1057:                             ;   in Loop: Header=BB291_676 Depth=1
	v_dual_lshrrev_b32 v29, 3, v43 :: v_dual_bitop2_b32 v27, 7, v12 bitop3:0x40
	s_mov_b32 s18, exec_lo
	v_cmpx_gt_u32_e32 8, v43
; %bb.1058:                             ;   in Loop: Header=BB291_676 Depth=1
	s_delay_alu instid0(VALU_DEP_2) | instskip(NEXT) | instid1(VALU_DEP_1)
	v_clz_i32_u32_e32 v27, v27
	v_min_u32_e32 v27, 32, v27
	s_delay_alu instid0(VALU_DEP_1) | instskip(NEXT) | instid1(VALU_DEP_1)
	v_subrev_nc_u32_e32 v29, 28, v27
	v_lshlrev_b64_e32 v[60:61], v29, v[12:13]
	s_delay_alu instid0(VALU_DEP_1)
	v_dual_sub_nc_u32 v29, 29, v27 :: v_dual_bitop2_b32 v27, 7, v60 bitop3:0x40
; %bb.1059:                             ;   in Loop: Header=BB291_676 Depth=1
	s_or_b32 exec_lo, exec_lo, s18
	s_delay_alu instid0(VALU_DEP_1) | instskip(NEXT) | instid1(VALU_DEP_2)
	v_dual_lshlrev_b32 v12, 8, v12 :: v_dual_lshlrev_b32 v27, 7, v27
	v_lshl_add_u32 v29, v29, 10, 0x2000
	s_delay_alu instid0(VALU_DEP_2) | instskip(NEXT) | instid1(VALU_DEP_2)
	v_and_b32_e32 v12, 0x8000, v12
	v_and_b32_e32 v29, 0xfc00, v29
	s_delay_alu instid0(VALU_DEP_1)
	v_or3_b32 v27, v12, v29, v27
.LBB291_1060:                           ;   in Loop: Header=BB291_676 Depth=1
	s_or_b32 exec_lo, exec_lo, s17
.LBB291_1061:                           ;   in Loop: Header=BB291_676 Depth=1
	s_delay_alu instid0(SALU_CYCLE_1)
	s_or_b32 exec_lo, exec_lo, s16
.LBB291_1062:                           ;   in Loop: Header=BB291_676 Depth=1
	s_delay_alu instid0(SALU_CYCLE_1)
	s_or_b32 exec_lo, exec_lo, s15
	v_cmp_lt_u64_e64 s0, s[2:3], v[22:23]
	v_mov_b32_e32 v22, 0
	s_and_saveexec_b32 s15, s0
	s_cbranch_execz .LBB291_1070
; %bb.1063:                             ;   in Loop: Header=BB291_676 Depth=1
	v_lshrrev_b32_e32 v12, 24, v23
	v_bfrev_b32_e32 v22, 1
	s_mov_b32 s16, exec_lo
	s_delay_alu instid0(VALU_DEP_2)
	v_cmpx_ne_u32_e32 0x80, v12
	s_cbranch_execz .LBB291_1069
; %bb.1064:                             ;   in Loop: Header=BB291_676 Depth=1
	v_and_b32_e32 v29, 0x7f, v12
	v_mov_b32_e32 v22, 0x7c010000
	s_mov_b32 s17, exec_lo
	s_delay_alu instid0(VALU_DEP_2)
	v_cmpx_ne_u32_e32 0x7f, v29
	s_cbranch_execz .LBB291_1068
; %bb.1065:                             ;   in Loop: Header=BB291_676 Depth=1
	v_dual_lshrrev_b32 v23, 3, v29 :: v_dual_bitop2_b32 v22, 7, v12 bitop3:0x40
	s_mov_b32 s18, exec_lo
	v_cmpx_gt_u32_e32 8, v29
; %bb.1066:                             ;   in Loop: Header=BB291_676 Depth=1
	s_delay_alu instid0(VALU_DEP_2) | instskip(NEXT) | instid1(VALU_DEP_1)
	v_clz_i32_u32_e32 v22, v22
	v_min_u32_e32 v29, 32, v22
	s_delay_alu instid0(VALU_DEP_1) | instskip(NEXT) | instid1(VALU_DEP_1)
	v_subrev_nc_u32_e32 v22, 28, v29
	v_lshlrev_b64_e32 v[22:23], v22, v[12:13]
	s_delay_alu instid0(VALU_DEP_1)
	v_dual_sub_nc_u32 v23, 29, v29 :: v_dual_bitop2_b32 v22, 7, v22 bitop3:0x40
; %bb.1067:                             ;   in Loop: Header=BB291_676 Depth=1
	s_or_b32 exec_lo, exec_lo, s18
	s_delay_alu instid0(VALU_DEP_1) | instskip(NEXT) | instid1(VALU_DEP_2)
	v_dual_lshlrev_b32 v12, 8, v12 :: v_dual_lshlrev_b32 v22, 23, v22
	v_lshl_add_u32 v23, v23, 10, 0x2000
	s_delay_alu instid0(VALU_DEP_1) | instskip(NEXT) | instid1(VALU_DEP_1)
	v_and_or_b32 v12, 0x8000, v12, v23
	v_lshl_or_b32 v22, v12, 16, v22
.LBB291_1068:                           ;   in Loop: Header=BB291_676 Depth=1
	s_or_b32 exec_lo, exec_lo, s17
.LBB291_1069:                           ;   in Loop: Header=BB291_676 Depth=1
	s_delay_alu instid0(SALU_CYCLE_1)
	s_or_b32 exec_lo, exec_lo, s16
.LBB291_1070:                           ;   in Loop: Header=BB291_676 Depth=1
	s_delay_alu instid0(SALU_CYCLE_1) | instskip(SKIP_3) | instid1(VALU_DEP_3)
	s_or_b32 exec_lo, exec_lo, s15
	v_dual_lshrrev_b32 v12, 16, v1 :: v_dual_lshrrev_b32 v23, 16, v24
	v_or_b32_e32 v1, v1, v21
	v_dual_lshrrev_b32 v29, 16, v22 :: v_dual_bitop2_b32 v21, v24, v25 bitop3:0x54
	v_cvt_f32_f16_e32 v25, v12
	s_delay_alu instid0(VALU_DEP_4) | instskip(SKIP_1) | instid1(VALU_DEP_4)
	v_cvt_f32_f16_e32 v24, v23
	v_dual_lshrrev_b32 v27, 16, v28 :: v_dual_bitop2_b32 v12, v22, v27 bitop3:0x54
	v_cvt_f32_f16_e32 v22, v21
	v_cvt_f32_f16_e32 v23, v1
	s_wait_loadcnt 0x0
	v_pk_mul_f32 v[24:25], v[20:21], v[24:25] op_sel_hi:[0,1]
	v_or_b32_e32 v21, v28, v26
	v_cvt_f32_f16_e32 v27, v27
	v_cvt_f32_f16_e32 v26, v29
	v_cvt_f32_f16_e32 v28, v12
	v_cvt_pk_f16_f32 v1, v24, v25
	v_cvt_f32_f16_e32 v29, v21
	v_pk_mul_f32 v[22:23], v[20:21], v[22:23] op_sel_hi:[0,1]
	v_pk_mul_f32 v[24:25], v[20:21], v[26:27] op_sel_hi:[0,1]
	s_delay_alu instid0(VALU_DEP_3) | instskip(NEXT) | instid1(VALU_DEP_3)
	v_pk_mul_f32 v[20:21], v[20:21], v[28:29] op_sel_hi:[0,1]
	v_cvt_pk_f16_f32 v12, v22, v23
	v_and_b32_e32 v23, 0xffff0000, v1
	s_delay_alu instid0(VALU_DEP_4)
	v_cvt_pk_f16_f32 v24, v24, v25
	v_lshlrev_b32_e32 v22, 16, v1
	v_cvt_pk_f16_f32 v20, v20, v21
	v_lshrrev_b32_e32 v29, 16, v12
	v_and_b32_e32 v28, 0xffff, v12
	v_and_b32_e32 v1, 0xffff0000, v24
	s_delay_alu instid0(VALU_DEP_3) | instskip(SKIP_3) | instid1(VALU_DEP_2)
	v_dual_lshlrev_b32 v12, 16, v24 :: v_dual_bitop2_b32 v27, v23, v29 bitop3:0x54
	v_lshrrev_b32_e32 v21, 16, v20
	v_and_b32_e32 v20, 0xffff, v20
	v_or_b32_e32 v26, v22, v28
	v_or_b32_e32 v24, v12, v20
	s_delay_alu instid0(VALU_DEP_4)
	v_or_b32_e32 v25, v1, v21
	s_and_saveexec_b32 s15, vcc_lo
	s_cbranch_execz .LBB291_1072
; %bb.1071:                             ;   in Loop: Header=BB291_676 Depth=1
	v_cmp_gt_i32_e64 s0, s14, v33
	s_delay_alu instid0(VALU_DEP_1) | instskip(SKIP_1) | instid1(VALU_DEP_1)
	v_cndmask_b32_e64 v24, 0, v29, s0
	v_cmp_gt_i32_e64 s0, s25, v42
	v_cndmask_b32_e64 v25, 0, v28, s0
	v_cmp_gt_i32_e64 s0, s14, v41
	s_delay_alu instid0(VALU_DEP_1) | instskip(SKIP_1) | instid1(VALU_DEP_1)
	v_cndmask_b32_e64 v23, 0, v23, s0
	v_cmp_gt_i32_e64 s0, s25, v40
	v_cndmask_b32_e64 v22, 0, v22, s0
	v_cmp_gt_i32_e64 s0, s14, v39
	s_delay_alu instid0(VALU_DEP_4) | instskip(NEXT) | instid1(VALU_DEP_3)
	v_or_b32_e32 v27, v23, v24
	v_or_b32_e32 v26, v22, v25
	s_delay_alu instid0(VALU_DEP_3) | instskip(SKIP_1) | instid1(VALU_DEP_1)
	v_cndmask_b32_e64 v21, 0, v21, s0
	v_cmp_gt_i32_e64 s0, s25, v38
	v_cndmask_b32_e64 v20, 0, v20, s0
	v_cmp_gt_i32_e64 s0, s14, v37
	s_delay_alu instid0(VALU_DEP_1) | instskip(SKIP_1) | instid1(VALU_DEP_1)
	v_cndmask_b32_e64 v1, 0, v1, s0
	v_cmp_gt_i32_e64 s0, s25, v36
	v_dual_cndmask_b32 v12, 0, v12, s0 :: v_dual_bitop2_b32 v25, v1, v21 bitop3:0x54
	s_delay_alu instid0(VALU_DEP_1)
	v_or_b32_e32 v24, v12, v20
.LBB291_1072:                           ;   in Loop: Header=BB291_676 Depth=1
	s_or_b32 exec_lo, exec_lo, s15
	;;#ASMSTART
	v_pk_mul_f16 v1, v48, v27;

	;;#ASMEND
	;;#ASMSTART
	v_pk_mul_f16 v12, v47, v26;

	;;#ASMEND
	;; [unrolled: 4-line block ×4, first 2 shown]
	;;#ASMSTART
	v_pk_add_f16 v1, v1, v12;

	;;#ASMEND
	;;#ASMSTART
	v_pk_add_f16 v1, v1, v20;

	;;#ASMEND
	;; [unrolled: 4-line block ×3, first 2 shown]
	v_and_b32_e32 v12, 0xffff, v1
	v_dual_lshrrev_b32 v1, 16, v1 :: v_dual_mov_b32 v21, 0
	;;#ASMSTART
	v_cvt_f32_f16 v59, v12;
	;;#ASMEND
	;;#ASMSTART
	v_cvt_f32_f16 v60, v1;
	;;#ASMEND
	global_load_b64 v[22:23], v[18:19], off offset:1536
	v_mov_b32_e32 v1, 0
	s_mov_b32 s15, exec_lo
	global_load_b32 v20, v1, s[6:7]
	s_wait_loadcnt 0x1
	v_and_b32_e32 v12, 0xff, v22
	s_wait_xcnt 0x0
	s_delay_alu instid0(VALU_DEP_1)
	v_cmpx_ne_u16_e32 0, v12
	s_cbranch_execz .LBB291_1080
; %bb.1073:                             ;   in Loop: Header=BB291_676 Depth=1
	v_mov_b32_e32 v21, 0x8000
	s_mov_b32 s16, exec_lo
	v_cmpx_ne_u16_e32 0x80, v12
	s_cbranch_execz .LBB291_1079
; %bb.1074:                             ;   in Loop: Header=BB291_676 Depth=1
	v_and_b32_e32 v24, 0x7f, v22
	v_mov_b32_e32 v21, 0x7c01
	s_mov_b32 s17, exec_lo
	s_delay_alu instid0(VALU_DEP_2)
	v_cmpx_ne_u32_e32 0x7f, v24
	s_cbranch_execz .LBB291_1078
; %bb.1075:                             ;   in Loop: Header=BB291_676 Depth=1
	v_dual_lshrrev_b32 v21, 3, v24 :: v_dual_bitop2_b32 v12, 7, v22 bitop3:0x40
	s_mov_b32 s18, exec_lo
	v_cmpx_gt_u32_e32 8, v24
; %bb.1076:                             ;   in Loop: Header=BB291_676 Depth=1
	s_delay_alu instid0(VALU_DEP_2) | instskip(NEXT) | instid1(VALU_DEP_1)
	v_clz_i32_u32_e32 v12, v12
	v_min_u32_e32 v12, 32, v12
	s_delay_alu instid0(VALU_DEP_1) | instskip(NEXT) | instid1(VALU_DEP_1)
	v_subrev_nc_u32_e32 v21, 28, v12
	v_lshlrev_b64_e32 v[24:25], v21, v[22:23]
	v_sub_nc_u32_e32 v21, 29, v12
	s_delay_alu instid0(VALU_DEP_2)
	v_and_b32_e32 v12, 7, v24
; %bb.1077:                             ;   in Loop: Header=BB291_676 Depth=1
	s_or_b32 exec_lo, exec_lo, s18
	s_delay_alu instid0(VALU_DEP_1) | instskip(NEXT) | instid1(VALU_DEP_3)
	v_dual_lshlrev_b32 v24, 8, v22 :: v_dual_lshlrev_b32 v12, 7, v12
	v_lshl_add_u32 v21, v21, 10, 0x2000
	s_delay_alu instid0(VALU_DEP_2) | instskip(NEXT) | instid1(VALU_DEP_2)
	v_and_b32_e32 v24, 0x8000, v24
	v_and_b32_e32 v21, 0xfc00, v21
	s_delay_alu instid0(VALU_DEP_1)
	v_or3_b32 v21, v24, v21, v12
.LBB291_1078:                           ;   in Loop: Header=BB291_676 Depth=1
	s_or_b32 exec_lo, exec_lo, s17
.LBB291_1079:                           ;   in Loop: Header=BB291_676 Depth=1
	s_delay_alu instid0(SALU_CYCLE_1)
	s_or_b32 exec_lo, exec_lo, s16
.LBB291_1080:                           ;   in Loop: Header=BB291_676 Depth=1
	s_delay_alu instid0(SALU_CYCLE_1) | instskip(SKIP_2) | instid1(VALU_DEP_1)
	s_or_b32 exec_lo, exec_lo, s15
	v_lshrrev_b16 v12, 8, v22
	s_mov_b32 s15, exec_lo
	v_cmpx_ne_u16_e32 0, v12
	s_cbranch_execz .LBB291_1088
; %bb.1081:                             ;   in Loop: Header=BB291_676 Depth=1
	v_bfrev_b32_e32 v1, 1
	s_mov_b32 s16, exec_lo
	v_cmpx_ne_u16_e32 0x80, v12
	s_cbranch_execz .LBB291_1087
; %bb.1082:                             ;   in Loop: Header=BB291_676 Depth=1
	v_and_b32_e32 v24, 0xffff, v12
	v_mov_b32_e32 v1, 0x7c010000
	s_mov_b32 s17, exec_lo
	s_delay_alu instid0(VALU_DEP_2) | instskip(NEXT) | instid1(VALU_DEP_1)
	v_and_b32_e32 v26, 0x7f, v24
	v_cmpx_ne_u32_e32 0x7f, v26
	s_cbranch_execz .LBB291_1086
; %bb.1083:                             ;   in Loop: Header=BB291_676 Depth=1
	v_dual_lshrrev_b32 v25, 3, v26 :: v_dual_bitop2_b32 v1, 7, v24 bitop3:0x40
	s_mov_b32 s18, exec_lo
	v_cmpx_gt_u32_e32 8, v26
; %bb.1084:                             ;   in Loop: Header=BB291_676 Depth=1
	s_delay_alu instid0(VALU_DEP_2) | instskip(NEXT) | instid1(VALU_DEP_1)
	v_clz_i32_u32_e32 v1, v1
	v_min_u32_e32 v1, 32, v1
	s_delay_alu instid0(VALU_DEP_1) | instskip(NEXT) | instid1(VALU_DEP_1)
	v_subrev_nc_u32_e32 v25, 28, v1
	v_lshlrev_b64_e32 v[26:27], v25, v[12:13]
	s_delay_alu instid0(VALU_DEP_1)
	v_dual_sub_nc_u32 v25, 29, v1 :: v_dual_bitop2_b32 v1, 7, v26 bitop3:0x40
; %bb.1085:                             ;   in Loop: Header=BB291_676 Depth=1
	s_or_b32 exec_lo, exec_lo, s18
	s_delay_alu instid0(VALU_DEP_1) | instskip(NEXT) | instid1(VALU_DEP_2)
	v_dual_lshlrev_b32 v12, 8, v24 :: v_dual_lshlrev_b32 v1, 23, v1
	v_lshl_add_u32 v24, v25, 10, 0x2000
	s_delay_alu instid0(VALU_DEP_1) | instskip(NEXT) | instid1(VALU_DEP_1)
	v_and_or_b32 v12, 0x8000, v12, v24
	v_lshl_or_b32 v1, v12, 16, v1
.LBB291_1086:                           ;   in Loop: Header=BB291_676 Depth=1
	s_or_b32 exec_lo, exec_lo, s17
.LBB291_1087:                           ;   in Loop: Header=BB291_676 Depth=1
	s_delay_alu instid0(SALU_CYCLE_1)
	s_or_b32 exec_lo, exec_lo, s16
.LBB291_1088:                           ;   in Loop: Header=BB291_676 Depth=1
	s_delay_alu instid0(SALU_CYCLE_1) | instskip(SKIP_3) | instid1(VALU_DEP_2)
	s_or_b32 exec_lo, exec_lo, s15
	v_dual_lshrrev_b32 v12, 16, v22 :: v_dual_mov_b32 v24, 0
	v_mov_b32_e32 v25, 0
	s_mov_b32 s15, exec_lo
	v_and_b32_e32 v26, 0xff, v12
	s_delay_alu instid0(VALU_DEP_1)
	v_cmpx_ne_u16_e32 0, v26
	s_cbranch_execz .LBB291_1096
; %bb.1089:                             ;   in Loop: Header=BB291_676 Depth=1
	v_mov_b32_e32 v25, 0x8000
	s_mov_b32 s16, exec_lo
	v_cmpx_ne_u16_e32 0x80, v26
	s_cbranch_execz .LBB291_1095
; %bb.1090:                             ;   in Loop: Header=BB291_676 Depth=1
	v_bfe_u32 v27, v22, 16, 7
	v_mov_b32_e32 v25, 0x7c01
	s_mov_b32 s17, exec_lo
	s_delay_alu instid0(VALU_DEP_2)
	v_cmpx_ne_u32_e32 0x7f, v27
	s_cbranch_execz .LBB291_1094
; %bb.1091:                             ;   in Loop: Header=BB291_676 Depth=1
	v_dual_lshrrev_b32 v26, 3, v27 :: v_dual_bitop2_b32 v25, 7, v12 bitop3:0x40
	s_mov_b32 s18, exec_lo
	v_cmpx_gt_u32_e32 8, v27
; %bb.1092:                             ;   in Loop: Header=BB291_676 Depth=1
	s_delay_alu instid0(VALU_DEP_2) | instskip(NEXT) | instid1(VALU_DEP_1)
	v_clz_i32_u32_e32 v25, v25
	v_min_u32_e32 v25, 32, v25
	s_delay_alu instid0(VALU_DEP_1) | instskip(NEXT) | instid1(VALU_DEP_1)
	v_subrev_nc_u32_e32 v26, 28, v25
	v_lshlrev_b64_e32 v[28:29], v26, v[12:13]
	s_delay_alu instid0(VALU_DEP_1)
	v_dual_sub_nc_u32 v26, 29, v25 :: v_dual_bitop2_b32 v25, 7, v28 bitop3:0x40
; %bb.1093:                             ;   in Loop: Header=BB291_676 Depth=1
	s_or_b32 exec_lo, exec_lo, s18
	s_delay_alu instid0(VALU_DEP_1) | instskip(NEXT) | instid1(VALU_DEP_2)
	v_dual_lshlrev_b32 v12, 8, v12 :: v_dual_lshlrev_b32 v25, 7, v25
	v_lshl_add_u32 v26, v26, 10, 0x2000
	s_delay_alu instid0(VALU_DEP_2) | instskip(NEXT) | instid1(VALU_DEP_2)
	v_and_b32_e32 v12, 0x8000, v12
	v_and_b32_e32 v26, 0xfc00, v26
	s_delay_alu instid0(VALU_DEP_1)
	v_or3_b32 v25, v12, v26, v25
.LBB291_1094:                           ;   in Loop: Header=BB291_676 Depth=1
	s_or_b32 exec_lo, exec_lo, s17
.LBB291_1095:                           ;   in Loop: Header=BB291_676 Depth=1
	s_delay_alu instid0(SALU_CYCLE_1)
	s_or_b32 exec_lo, exec_lo, s16
.LBB291_1096:                           ;   in Loop: Header=BB291_676 Depth=1
	s_delay_alu instid0(SALU_CYCLE_1) | instskip(NEXT) | instid1(SALU_CYCLE_1)
	s_or_b32 exec_lo, exec_lo, s15
	s_mov_b32 s15, exec_lo
	v_cmpx_lt_u32_e32 0xffffff, v22
	s_cbranch_execz .LBB291_1104
; %bb.1097:                             ;   in Loop: Header=BB291_676 Depth=1
	v_lshrrev_b32_e32 v12, 24, v22
	v_bfrev_b32_e32 v24, 1
	s_mov_b32 s16, exec_lo
	s_delay_alu instid0(VALU_DEP_2)
	v_cmpx_ne_u32_e32 0x80, v12
	s_cbranch_execz .LBB291_1103
; %bb.1098:                             ;   in Loop: Header=BB291_676 Depth=1
	v_and_b32_e32 v27, 0x7f, v12
	v_mov_b32_e32 v24, 0x7c010000
	s_mov_b32 s17, exec_lo
	s_delay_alu instid0(VALU_DEP_2)
	v_cmpx_ne_u32_e32 0x7f, v27
	s_cbranch_execz .LBB291_1102
; %bb.1099:                             ;   in Loop: Header=BB291_676 Depth=1
	v_dual_lshrrev_b32 v26, 3, v27 :: v_dual_bitop2_b32 v24, 7, v12 bitop3:0x40
	s_mov_b32 s18, exec_lo
	v_cmpx_gt_u32_e32 8, v27
; %bb.1100:                             ;   in Loop: Header=BB291_676 Depth=1
	s_delay_alu instid0(VALU_DEP_2) | instskip(NEXT) | instid1(VALU_DEP_1)
	v_clz_i32_u32_e32 v24, v24
	v_min_u32_e32 v24, 32, v24
	s_delay_alu instid0(VALU_DEP_1) | instskip(NEXT) | instid1(VALU_DEP_1)
	v_subrev_nc_u32_e32 v26, 28, v24
	v_lshlrev_b64_e32 v[28:29], v26, v[12:13]
	v_sub_nc_u32_e32 v26, 29, v24
	s_delay_alu instid0(VALU_DEP_2)
	v_and_b32_e32 v24, 7, v28
; %bb.1101:                             ;   in Loop: Header=BB291_676 Depth=1
	s_or_b32 exec_lo, exec_lo, s18
	v_lshlrev_b32_e32 v12, 8, v12
	s_delay_alu instid0(VALU_DEP_3) | instskip(NEXT) | instid1(VALU_DEP_3)
	v_lshl_add_u32 v26, v26, 10, 0x2000
	v_lshlrev_b32_e32 v24, 23, v24
	s_delay_alu instid0(VALU_DEP_2) | instskip(NEXT) | instid1(VALU_DEP_1)
	v_and_or_b32 v12, 0x8000, v12, v26
	v_lshl_or_b32 v24, v12, 16, v24
.LBB291_1102:                           ;   in Loop: Header=BB291_676 Depth=1
	s_or_b32 exec_lo, exec_lo, s17
.LBB291_1103:                           ;   in Loop: Header=BB291_676 Depth=1
	s_delay_alu instid0(SALU_CYCLE_1)
	s_or_b32 exec_lo, exec_lo, s16
.LBB291_1104:                           ;   in Loop: Header=BB291_676 Depth=1
	s_delay_alu instid0(SALU_CYCLE_1) | instskip(SKIP_4) | instid1(VALU_DEP_3)
	s_or_b32 exec_lo, exec_lo, s15
	v_and_b32_e32 v28, 0xff, v23
	v_dual_mov_b32 v12, v23 :: v_dual_mov_b32 v27, 0
	v_mov_b32_e32 v26, 0
	s_mov_b32 s15, exec_lo
	v_cmpx_ne_u16_e32 0, v28
	s_cbranch_execz .LBB291_1112
; %bb.1105:                             ;   in Loop: Header=BB291_676 Depth=1
	v_mov_b32_e32 v26, 0x8000
	s_mov_b32 s16, exec_lo
	v_cmpx_ne_u16_e32 0x80, v28
	s_cbranch_execz .LBB291_1111
; %bb.1106:                             ;   in Loop: Header=BB291_676 Depth=1
	v_and_b32_e32 v29, 0x7f, v23
	v_mov_b32_e32 v26, 0x7c01
	s_mov_b32 s17, exec_lo
	s_delay_alu instid0(VALU_DEP_2)
	v_cmpx_ne_u32_e32 0x7f, v29
	s_cbranch_execz .LBB291_1110
; %bb.1107:                             ;   in Loop: Header=BB291_676 Depth=1
	v_dual_lshrrev_b32 v28, 3, v29 :: v_dual_bitop2_b32 v26, 7, v23 bitop3:0x40
	s_mov_b32 s18, exec_lo
	v_cmpx_gt_u32_e32 8, v29
; %bb.1108:                             ;   in Loop: Header=BB291_676 Depth=1
	s_delay_alu instid0(VALU_DEP_2) | instskip(NEXT) | instid1(VALU_DEP_1)
	v_clz_i32_u32_e32 v26, v26
	v_min_u32_e32 v26, 32, v26
	s_delay_alu instid0(VALU_DEP_1) | instskip(NEXT) | instid1(VALU_DEP_1)
	v_subrev_nc_u32_e32 v28, 28, v26
	v_lshlrev_b64_e32 v[62:63], v28, v[12:13]
	v_sub_nc_u32_e32 v28, 29, v26
	s_delay_alu instid0(VALU_DEP_2)
	v_and_b32_e32 v26, 7, v62
; %bb.1109:                             ;   in Loop: Header=BB291_676 Depth=1
	s_or_b32 exec_lo, exec_lo, s18
	s_delay_alu instid0(VALU_DEP_1) | instskip(NEXT) | instid1(VALU_DEP_3)
	v_dual_lshlrev_b32 v29, 8, v23 :: v_dual_lshlrev_b32 v26, 7, v26
	v_lshl_add_u32 v28, v28, 10, 0x2000
	s_delay_alu instid0(VALU_DEP_2) | instskip(NEXT) | instid1(VALU_DEP_2)
	v_and_b32_e32 v29, 0x8000, v29
	v_and_b32_e32 v28, 0xfc00, v28
	s_delay_alu instid0(VALU_DEP_1)
	v_or3_b32 v26, v29, v28, v26
.LBB291_1110:                           ;   in Loop: Header=BB291_676 Depth=1
	s_or_b32 exec_lo, exec_lo, s17
.LBB291_1111:                           ;   in Loop: Header=BB291_676 Depth=1
	s_delay_alu instid0(SALU_CYCLE_1)
	s_or_b32 exec_lo, exec_lo, s16
.LBB291_1112:                           ;   in Loop: Header=BB291_676 Depth=1
	s_delay_alu instid0(SALU_CYCLE_1) | instskip(SKIP_3) | instid1(VALU_DEP_2)
	s_or_b32 exec_lo, exec_lo, s15
	v_lshrrev_b16 v12, 8, v12
	v_mov_b32_e32 v28, 0
	s_mov_b32 s15, exec_lo
	v_cmpx_ne_u16_e32 0, v12
	s_cbranch_execz .LBB291_1120
; %bb.1113:                             ;   in Loop: Header=BB291_676 Depth=1
	v_bfrev_b32_e32 v28, 1
	s_mov_b32 s16, exec_lo
	v_cmpx_ne_u16_e32 0x80, v12
	s_cbranch_execz .LBB291_1119
; %bb.1114:                             ;   in Loop: Header=BB291_676 Depth=1
	v_and_b32_e32 v29, 0xffff, v12
	v_mov_b32_e32 v28, 0x7c010000
	s_mov_b32 s17, exec_lo
	s_delay_alu instid0(VALU_DEP_2) | instskip(NEXT) | instid1(VALU_DEP_1)
	v_and_b32_e32 v44, 0x7f, v29
	v_cmpx_ne_u32_e32 0x7f, v44
	s_cbranch_execz .LBB291_1118
; %bb.1115:                             ;   in Loop: Header=BB291_676 Depth=1
	v_dual_lshrrev_b32 v43, 3, v44 :: v_dual_bitop2_b32 v28, 7, v29 bitop3:0x40
	s_mov_b32 s18, exec_lo
	v_cmpx_gt_u32_e32 8, v44
; %bb.1116:                             ;   in Loop: Header=BB291_676 Depth=1
	s_delay_alu instid0(VALU_DEP_2) | instskip(NEXT) | instid1(VALU_DEP_1)
	v_clz_i32_u32_e32 v28, v28
	v_min_u32_e32 v28, 32, v28
	s_delay_alu instid0(VALU_DEP_1) | instskip(NEXT) | instid1(VALU_DEP_1)
	v_subrev_nc_u32_e32 v43, 28, v28
	v_lshlrev_b64_e32 v[62:63], v43, v[12:13]
	s_delay_alu instid0(VALU_DEP_1)
	v_dual_sub_nc_u32 v43, 29, v28 :: v_dual_bitop2_b32 v28, 7, v62 bitop3:0x40
; %bb.1117:                             ;   in Loop: Header=BB291_676 Depth=1
	s_or_b32 exec_lo, exec_lo, s18
	s_delay_alu instid0(VALU_DEP_1) | instskip(NEXT) | instid1(VALU_DEP_2)
	v_dual_lshlrev_b32 v12, 8, v29 :: v_dual_lshlrev_b32 v28, 23, v28
	v_lshl_add_u32 v29, v43, 10, 0x2000
	s_delay_alu instid0(VALU_DEP_1) | instskip(NEXT) | instid1(VALU_DEP_1)
	v_and_or_b32 v12, 0x8000, v12, v29
	v_lshl_or_b32 v28, v12, 16, v28
.LBB291_1118:                           ;   in Loop: Header=BB291_676 Depth=1
	s_or_b32 exec_lo, exec_lo, s17
.LBB291_1119:                           ;   in Loop: Header=BB291_676 Depth=1
	s_delay_alu instid0(SALU_CYCLE_1)
	s_or_b32 exec_lo, exec_lo, s16
.LBB291_1120:                           ;   in Loop: Header=BB291_676 Depth=1
	s_delay_alu instid0(SALU_CYCLE_1) | instskip(SKIP_2) | instid1(VALU_DEP_1)
	s_or_b32 exec_lo, exec_lo, s15
	v_lshrrev_b32_e32 v12, 16, v23
	s_mov_b32 s15, exec_lo
	v_and_b32_e32 v29, 0xff, v12
	s_delay_alu instid0(VALU_DEP_1)
	v_cmpx_ne_u16_e32 0, v29
	s_cbranch_execz .LBB291_1128
; %bb.1121:                             ;   in Loop: Header=BB291_676 Depth=1
	v_mov_b32_e32 v27, 0x8000
	s_mov_b32 s16, exec_lo
	v_cmpx_ne_u16_e32 0x80, v29
	s_cbranch_execz .LBB291_1127
; %bb.1122:                             ;   in Loop: Header=BB291_676 Depth=1
	v_bfe_u32 v43, v23, 16, 7
	v_mov_b32_e32 v27, 0x7c01
	s_mov_b32 s17, exec_lo
	s_delay_alu instid0(VALU_DEP_2)
	v_cmpx_ne_u32_e32 0x7f, v43
	s_cbranch_execz .LBB291_1126
; %bb.1123:                             ;   in Loop: Header=BB291_676 Depth=1
	v_dual_lshrrev_b32 v29, 3, v43 :: v_dual_bitop2_b32 v27, 7, v12 bitop3:0x40
	s_mov_b32 s18, exec_lo
	v_cmpx_gt_u32_e32 8, v43
; %bb.1124:                             ;   in Loop: Header=BB291_676 Depth=1
	s_delay_alu instid0(VALU_DEP_2) | instskip(NEXT) | instid1(VALU_DEP_1)
	v_clz_i32_u32_e32 v27, v27
	v_min_u32_e32 v27, 32, v27
	s_delay_alu instid0(VALU_DEP_1) | instskip(NEXT) | instid1(VALU_DEP_1)
	v_subrev_nc_u32_e32 v29, 28, v27
	v_lshlrev_b64_e32 v[62:63], v29, v[12:13]
	s_delay_alu instid0(VALU_DEP_1)
	v_dual_sub_nc_u32 v29, 29, v27 :: v_dual_bitop2_b32 v27, 7, v62 bitop3:0x40
; %bb.1125:                             ;   in Loop: Header=BB291_676 Depth=1
	s_or_b32 exec_lo, exec_lo, s18
	s_delay_alu instid0(VALU_DEP_1) | instskip(NEXT) | instid1(VALU_DEP_2)
	v_dual_lshlrev_b32 v12, 8, v12 :: v_dual_lshlrev_b32 v27, 7, v27
	v_lshl_add_u32 v29, v29, 10, 0x2000
	s_delay_alu instid0(VALU_DEP_2) | instskip(NEXT) | instid1(VALU_DEP_2)
	v_and_b32_e32 v12, 0x8000, v12
	v_and_b32_e32 v29, 0xfc00, v29
	s_delay_alu instid0(VALU_DEP_1)
	v_or3_b32 v27, v12, v29, v27
.LBB291_1126:                           ;   in Loop: Header=BB291_676 Depth=1
	s_or_b32 exec_lo, exec_lo, s17
.LBB291_1127:                           ;   in Loop: Header=BB291_676 Depth=1
	s_delay_alu instid0(SALU_CYCLE_1)
	s_or_b32 exec_lo, exec_lo, s16
.LBB291_1128:                           ;   in Loop: Header=BB291_676 Depth=1
	s_delay_alu instid0(SALU_CYCLE_1)
	s_or_b32 exec_lo, exec_lo, s15
	v_cmp_lt_u64_e64 s0, s[2:3], v[22:23]
	v_mov_b32_e32 v22, 0
	s_and_saveexec_b32 s15, s0
	s_cbranch_execz .LBB291_1136
; %bb.1129:                             ;   in Loop: Header=BB291_676 Depth=1
	v_lshrrev_b32_e32 v12, 24, v23
	v_bfrev_b32_e32 v22, 1
	s_mov_b32 s16, exec_lo
	s_delay_alu instid0(VALU_DEP_2)
	v_cmpx_ne_u32_e32 0x80, v12
	s_cbranch_execz .LBB291_1135
; %bb.1130:                             ;   in Loop: Header=BB291_676 Depth=1
	v_and_b32_e32 v29, 0x7f, v12
	v_mov_b32_e32 v22, 0x7c010000
	s_mov_b32 s17, exec_lo
	s_delay_alu instid0(VALU_DEP_2)
	v_cmpx_ne_u32_e32 0x7f, v29
	s_cbranch_execz .LBB291_1134
; %bb.1131:                             ;   in Loop: Header=BB291_676 Depth=1
	v_dual_lshrrev_b32 v23, 3, v29 :: v_dual_bitop2_b32 v22, 7, v12 bitop3:0x40
	s_mov_b32 s18, exec_lo
	v_cmpx_gt_u32_e32 8, v29
; %bb.1132:                             ;   in Loop: Header=BB291_676 Depth=1
	s_delay_alu instid0(VALU_DEP_2) | instskip(NEXT) | instid1(VALU_DEP_1)
	v_clz_i32_u32_e32 v22, v22
	v_min_u32_e32 v29, 32, v22
	s_delay_alu instid0(VALU_DEP_1) | instskip(NEXT) | instid1(VALU_DEP_1)
	v_subrev_nc_u32_e32 v22, 28, v29
	v_lshlrev_b64_e32 v[22:23], v22, v[12:13]
	s_delay_alu instid0(VALU_DEP_1)
	v_dual_sub_nc_u32 v23, 29, v29 :: v_dual_bitop2_b32 v22, 7, v22 bitop3:0x40
; %bb.1133:                             ;   in Loop: Header=BB291_676 Depth=1
	s_or_b32 exec_lo, exec_lo, s18
	s_delay_alu instid0(VALU_DEP_1) | instskip(NEXT) | instid1(VALU_DEP_2)
	v_dual_lshlrev_b32 v12, 8, v12 :: v_dual_lshlrev_b32 v22, 23, v22
	v_lshl_add_u32 v23, v23, 10, 0x2000
	s_delay_alu instid0(VALU_DEP_1) | instskip(NEXT) | instid1(VALU_DEP_1)
	v_and_or_b32 v12, 0x8000, v12, v23
	v_lshl_or_b32 v22, v12, 16, v22
.LBB291_1134:                           ;   in Loop: Header=BB291_676 Depth=1
	s_or_b32 exec_lo, exec_lo, s17
.LBB291_1135:                           ;   in Loop: Header=BB291_676 Depth=1
	s_delay_alu instid0(SALU_CYCLE_1)
	s_or_b32 exec_lo, exec_lo, s16
.LBB291_1136:                           ;   in Loop: Header=BB291_676 Depth=1
	s_delay_alu instid0(SALU_CYCLE_1) | instskip(SKIP_3) | instid1(VALU_DEP_3)
	s_or_b32 exec_lo, exec_lo, s15
	v_dual_lshrrev_b32 v12, 16, v1 :: v_dual_lshrrev_b32 v23, 16, v24
	v_or_b32_e32 v1, v1, v21
	v_dual_lshrrev_b32 v29, 16, v22 :: v_dual_bitop2_b32 v21, v24, v25 bitop3:0x54
	v_cvt_f32_f16_e32 v25, v12
	s_delay_alu instid0(VALU_DEP_4) | instskip(SKIP_1) | instid1(VALU_DEP_4)
	v_cvt_f32_f16_e32 v24, v23
	v_dual_lshrrev_b32 v27, 16, v28 :: v_dual_bitop2_b32 v12, v22, v27 bitop3:0x54
	v_cvt_f32_f16_e32 v22, v21
	v_cvt_f32_f16_e32 v23, v1
	s_wait_loadcnt 0x0
	v_pk_mul_f32 v[24:25], v[20:21], v[24:25] op_sel_hi:[0,1]
	v_or_b32_e32 v21, v28, v26
	v_cvt_f32_f16_e32 v27, v27
	v_cvt_f32_f16_e32 v26, v29
	;; [unrolled: 1-line block ×3, first 2 shown]
	v_cvt_pk_f16_f32 v1, v24, v25
	v_cvt_f32_f16_e32 v29, v21
	v_pk_mul_f32 v[22:23], v[20:21], v[22:23] op_sel_hi:[0,1]
	v_pk_mul_f32 v[24:25], v[20:21], v[26:27] op_sel_hi:[0,1]
	s_delay_alu instid0(VALU_DEP_3) | instskip(NEXT) | instid1(VALU_DEP_3)
	v_pk_mul_f32 v[20:21], v[20:21], v[28:29] op_sel_hi:[0,1]
	v_cvt_pk_f16_f32 v12, v22, v23
	v_and_b32_e32 v23, 0xffff0000, v1
	s_delay_alu instid0(VALU_DEP_4)
	v_cvt_pk_f16_f32 v24, v24, v25
	v_lshlrev_b32_e32 v22, 16, v1
	v_cvt_pk_f16_f32 v20, v20, v21
	v_lshrrev_b32_e32 v29, 16, v12
	v_and_b32_e32 v28, 0xffff, v12
	v_and_b32_e32 v1, 0xffff0000, v24
	s_delay_alu instid0(VALU_DEP_3) | instskip(SKIP_3) | instid1(VALU_DEP_2)
	v_dual_lshlrev_b32 v12, 16, v24 :: v_dual_bitop2_b32 v27, v23, v29 bitop3:0x54
	v_lshrrev_b32_e32 v21, 16, v20
	v_and_b32_e32 v20, 0xffff, v20
	v_or_b32_e32 v26, v22, v28
	v_or_b32_e32 v24, v12, v20
	s_delay_alu instid0(VALU_DEP_4)
	v_or_b32_e32 v25, v1, v21
	s_and_saveexec_b32 s15, vcc_lo
	s_cbranch_execz .LBB291_1138
; %bb.1137:                             ;   in Loop: Header=BB291_676 Depth=1
	v_cmp_gt_i32_e64 s0, s14, v33
	s_delay_alu instid0(VALU_DEP_1) | instskip(SKIP_1) | instid1(VALU_DEP_1)
	v_cndmask_b32_e64 v24, 0, v29, s0
	v_cmp_gt_i32_e64 s0, s25, v42
	v_cndmask_b32_e64 v25, 0, v28, s0
	v_cmp_gt_i32_e64 s0, s14, v41
	s_delay_alu instid0(VALU_DEP_1) | instskip(SKIP_1) | instid1(VALU_DEP_1)
	v_cndmask_b32_e64 v23, 0, v23, s0
	v_cmp_gt_i32_e64 s0, s25, v40
	v_cndmask_b32_e64 v22, 0, v22, s0
	v_cmp_gt_i32_e64 s0, s14, v39
	s_delay_alu instid0(VALU_DEP_4) | instskip(NEXT) | instid1(VALU_DEP_3)
	v_or_b32_e32 v27, v23, v24
	v_or_b32_e32 v26, v22, v25
	s_delay_alu instid0(VALU_DEP_3) | instskip(SKIP_1) | instid1(VALU_DEP_1)
	v_cndmask_b32_e64 v21, 0, v21, s0
	v_cmp_gt_i32_e64 s0, s25, v38
	v_cndmask_b32_e64 v20, 0, v20, s0
	v_cmp_gt_i32_e64 s0, s14, v37
	s_delay_alu instid0(VALU_DEP_1) | instskip(SKIP_1) | instid1(VALU_DEP_1)
	v_cndmask_b32_e64 v1, 0, v1, s0
	v_cmp_gt_i32_e64 s0, s25, v36
	v_dual_cndmask_b32 v12, 0, v12, s0 :: v_dual_bitop2_b32 v25, v1, v21 bitop3:0x54
	s_delay_alu instid0(VALU_DEP_1)
	v_or_b32_e32 v24, v12, v20
.LBB291_1138:                           ;   in Loop: Header=BB291_676 Depth=1
	s_or_b32 exec_lo, exec_lo, s15
	;;#ASMSTART
	v_pk_mul_f16 v1, v48, v27;

	;;#ASMEND
	;;#ASMSTART
	v_pk_mul_f16 v12, v47, v26;

	;;#ASMEND
	;; [unrolled: 4-line block ×4, first 2 shown]
	;;#ASMSTART
	v_pk_add_f16 v1, v1, v12;

	;;#ASMEND
	;;#ASMSTART
	v_pk_add_f16 v1, v1, v20;

	;;#ASMEND
	;; [unrolled: 4-line block ×3, first 2 shown]
	v_and_b32_e32 v12, 0xffff, v1
	v_dual_lshrrev_b32 v1, 16, v1 :: v_dual_mov_b32 v21, 0
	;;#ASMSTART
	v_cvt_f32_f16 v61, v12;
	;;#ASMEND
	;;#ASMSTART
	v_cvt_f32_f16 v62, v1;
	;;#ASMEND
	global_load_b64 v[22:23], v[18:19], off offset:1792
	v_mov_b32_e32 v1, 0
	s_mov_b32 s15, exec_lo
	global_load_b32 v20, v1, s[6:7]
	s_wait_loadcnt 0x1
	v_and_b32_e32 v12, 0xff, v22
	s_wait_xcnt 0x0
	s_delay_alu instid0(VALU_DEP_1)
	v_cmpx_ne_u16_e32 0, v12
	s_cbranch_execz .LBB291_1146
; %bb.1139:                             ;   in Loop: Header=BB291_676 Depth=1
	v_mov_b32_e32 v21, 0x8000
	s_mov_b32 s16, exec_lo
	v_cmpx_ne_u16_e32 0x80, v12
	s_cbranch_execz .LBB291_1145
; %bb.1140:                             ;   in Loop: Header=BB291_676 Depth=1
	v_and_b32_e32 v24, 0x7f, v22
	v_mov_b32_e32 v21, 0x7c01
	s_mov_b32 s17, exec_lo
	s_delay_alu instid0(VALU_DEP_2)
	v_cmpx_ne_u32_e32 0x7f, v24
	s_cbranch_execz .LBB291_1144
; %bb.1141:                             ;   in Loop: Header=BB291_676 Depth=1
	v_dual_lshrrev_b32 v21, 3, v24 :: v_dual_bitop2_b32 v12, 7, v22 bitop3:0x40
	s_mov_b32 s18, exec_lo
	v_cmpx_gt_u32_e32 8, v24
; %bb.1142:                             ;   in Loop: Header=BB291_676 Depth=1
	s_delay_alu instid0(VALU_DEP_2) | instskip(NEXT) | instid1(VALU_DEP_1)
	v_clz_i32_u32_e32 v12, v12
	v_min_u32_e32 v12, 32, v12
	s_delay_alu instid0(VALU_DEP_1) | instskip(NEXT) | instid1(VALU_DEP_1)
	v_subrev_nc_u32_e32 v21, 28, v12
	v_lshlrev_b64_e32 v[24:25], v21, v[22:23]
	v_sub_nc_u32_e32 v21, 29, v12
	s_delay_alu instid0(VALU_DEP_2)
	v_and_b32_e32 v12, 7, v24
; %bb.1143:                             ;   in Loop: Header=BB291_676 Depth=1
	s_or_b32 exec_lo, exec_lo, s18
	s_delay_alu instid0(VALU_DEP_1) | instskip(NEXT) | instid1(VALU_DEP_3)
	v_dual_lshlrev_b32 v24, 8, v22 :: v_dual_lshlrev_b32 v12, 7, v12
	v_lshl_add_u32 v21, v21, 10, 0x2000
	s_delay_alu instid0(VALU_DEP_2) | instskip(NEXT) | instid1(VALU_DEP_2)
	v_and_b32_e32 v24, 0x8000, v24
	v_and_b32_e32 v21, 0xfc00, v21
	s_delay_alu instid0(VALU_DEP_1)
	v_or3_b32 v21, v24, v21, v12
.LBB291_1144:                           ;   in Loop: Header=BB291_676 Depth=1
	s_or_b32 exec_lo, exec_lo, s17
.LBB291_1145:                           ;   in Loop: Header=BB291_676 Depth=1
	s_delay_alu instid0(SALU_CYCLE_1)
	s_or_b32 exec_lo, exec_lo, s16
.LBB291_1146:                           ;   in Loop: Header=BB291_676 Depth=1
	s_delay_alu instid0(SALU_CYCLE_1) | instskip(SKIP_2) | instid1(VALU_DEP_1)
	s_or_b32 exec_lo, exec_lo, s15
	v_lshrrev_b16 v12, 8, v22
	s_mov_b32 s15, exec_lo
	v_cmpx_ne_u16_e32 0, v12
	s_cbranch_execz .LBB291_1154
; %bb.1147:                             ;   in Loop: Header=BB291_676 Depth=1
	v_bfrev_b32_e32 v1, 1
	s_mov_b32 s16, exec_lo
	v_cmpx_ne_u16_e32 0x80, v12
	s_cbranch_execz .LBB291_1153
; %bb.1148:                             ;   in Loop: Header=BB291_676 Depth=1
	v_and_b32_e32 v24, 0xffff, v12
	v_mov_b32_e32 v1, 0x7c010000
	s_mov_b32 s17, exec_lo
	s_delay_alu instid0(VALU_DEP_2) | instskip(NEXT) | instid1(VALU_DEP_1)
	v_and_b32_e32 v26, 0x7f, v24
	v_cmpx_ne_u32_e32 0x7f, v26
	s_cbranch_execz .LBB291_1152
; %bb.1149:                             ;   in Loop: Header=BB291_676 Depth=1
	v_dual_lshrrev_b32 v25, 3, v26 :: v_dual_bitop2_b32 v1, 7, v24 bitop3:0x40
	s_mov_b32 s18, exec_lo
	v_cmpx_gt_u32_e32 8, v26
; %bb.1150:                             ;   in Loop: Header=BB291_676 Depth=1
	s_delay_alu instid0(VALU_DEP_2) | instskip(NEXT) | instid1(VALU_DEP_1)
	v_clz_i32_u32_e32 v1, v1
	v_min_u32_e32 v1, 32, v1
	s_delay_alu instid0(VALU_DEP_1) | instskip(NEXT) | instid1(VALU_DEP_1)
	v_subrev_nc_u32_e32 v25, 28, v1
	v_lshlrev_b64_e32 v[26:27], v25, v[12:13]
	s_delay_alu instid0(VALU_DEP_1)
	v_dual_sub_nc_u32 v25, 29, v1 :: v_dual_bitop2_b32 v1, 7, v26 bitop3:0x40
; %bb.1151:                             ;   in Loop: Header=BB291_676 Depth=1
	s_or_b32 exec_lo, exec_lo, s18
	s_delay_alu instid0(VALU_DEP_1) | instskip(NEXT) | instid1(VALU_DEP_2)
	v_dual_lshlrev_b32 v12, 8, v24 :: v_dual_lshlrev_b32 v1, 23, v1
	v_lshl_add_u32 v24, v25, 10, 0x2000
	s_delay_alu instid0(VALU_DEP_1) | instskip(NEXT) | instid1(VALU_DEP_1)
	v_and_or_b32 v12, 0x8000, v12, v24
	v_lshl_or_b32 v1, v12, 16, v1
.LBB291_1152:                           ;   in Loop: Header=BB291_676 Depth=1
	s_or_b32 exec_lo, exec_lo, s17
.LBB291_1153:                           ;   in Loop: Header=BB291_676 Depth=1
	s_delay_alu instid0(SALU_CYCLE_1)
	s_or_b32 exec_lo, exec_lo, s16
.LBB291_1154:                           ;   in Loop: Header=BB291_676 Depth=1
	s_delay_alu instid0(SALU_CYCLE_1) | instskip(SKIP_3) | instid1(VALU_DEP_2)
	s_or_b32 exec_lo, exec_lo, s15
	v_dual_lshrrev_b32 v12, 16, v22 :: v_dual_mov_b32 v24, 0
	v_mov_b32_e32 v25, 0
	s_mov_b32 s15, exec_lo
	v_and_b32_e32 v26, 0xff, v12
	s_delay_alu instid0(VALU_DEP_1)
	v_cmpx_ne_u16_e32 0, v26
	s_cbranch_execz .LBB291_1162
; %bb.1155:                             ;   in Loop: Header=BB291_676 Depth=1
	v_mov_b32_e32 v25, 0x8000
	s_mov_b32 s16, exec_lo
	v_cmpx_ne_u16_e32 0x80, v26
	s_cbranch_execz .LBB291_1161
; %bb.1156:                             ;   in Loop: Header=BB291_676 Depth=1
	v_bfe_u32 v27, v22, 16, 7
	v_mov_b32_e32 v25, 0x7c01
	s_mov_b32 s17, exec_lo
	s_delay_alu instid0(VALU_DEP_2)
	v_cmpx_ne_u32_e32 0x7f, v27
	s_cbranch_execz .LBB291_1160
; %bb.1157:                             ;   in Loop: Header=BB291_676 Depth=1
	v_dual_lshrrev_b32 v26, 3, v27 :: v_dual_bitop2_b32 v25, 7, v12 bitop3:0x40
	s_mov_b32 s18, exec_lo
	v_cmpx_gt_u32_e32 8, v27
; %bb.1158:                             ;   in Loop: Header=BB291_676 Depth=1
	s_delay_alu instid0(VALU_DEP_2) | instskip(NEXT) | instid1(VALU_DEP_1)
	v_clz_i32_u32_e32 v25, v25
	v_min_u32_e32 v25, 32, v25
	s_delay_alu instid0(VALU_DEP_1) | instskip(NEXT) | instid1(VALU_DEP_1)
	v_subrev_nc_u32_e32 v26, 28, v25
	v_lshlrev_b64_e32 v[28:29], v26, v[12:13]
	s_delay_alu instid0(VALU_DEP_1)
	v_dual_sub_nc_u32 v26, 29, v25 :: v_dual_bitop2_b32 v25, 7, v28 bitop3:0x40
; %bb.1159:                             ;   in Loop: Header=BB291_676 Depth=1
	s_or_b32 exec_lo, exec_lo, s18
	s_delay_alu instid0(VALU_DEP_1) | instskip(NEXT) | instid1(VALU_DEP_2)
	v_dual_lshlrev_b32 v12, 8, v12 :: v_dual_lshlrev_b32 v25, 7, v25
	v_lshl_add_u32 v26, v26, 10, 0x2000
	s_delay_alu instid0(VALU_DEP_2) | instskip(NEXT) | instid1(VALU_DEP_2)
	v_and_b32_e32 v12, 0x8000, v12
	v_and_b32_e32 v26, 0xfc00, v26
	s_delay_alu instid0(VALU_DEP_1)
	v_or3_b32 v25, v12, v26, v25
.LBB291_1160:                           ;   in Loop: Header=BB291_676 Depth=1
	s_or_b32 exec_lo, exec_lo, s17
.LBB291_1161:                           ;   in Loop: Header=BB291_676 Depth=1
	s_delay_alu instid0(SALU_CYCLE_1)
	s_or_b32 exec_lo, exec_lo, s16
.LBB291_1162:                           ;   in Loop: Header=BB291_676 Depth=1
	s_delay_alu instid0(SALU_CYCLE_1) | instskip(NEXT) | instid1(SALU_CYCLE_1)
	s_or_b32 exec_lo, exec_lo, s15
	s_mov_b32 s15, exec_lo
	v_cmpx_lt_u32_e32 0xffffff, v22
	s_cbranch_execz .LBB291_1170
; %bb.1163:                             ;   in Loop: Header=BB291_676 Depth=1
	v_lshrrev_b32_e32 v12, 24, v22
	v_bfrev_b32_e32 v24, 1
	s_mov_b32 s16, exec_lo
	s_delay_alu instid0(VALU_DEP_2)
	v_cmpx_ne_u32_e32 0x80, v12
	s_cbranch_execz .LBB291_1169
; %bb.1164:                             ;   in Loop: Header=BB291_676 Depth=1
	v_and_b32_e32 v27, 0x7f, v12
	v_mov_b32_e32 v24, 0x7c010000
	s_mov_b32 s17, exec_lo
	s_delay_alu instid0(VALU_DEP_2)
	v_cmpx_ne_u32_e32 0x7f, v27
	s_cbranch_execz .LBB291_1168
; %bb.1165:                             ;   in Loop: Header=BB291_676 Depth=1
	v_dual_lshrrev_b32 v26, 3, v27 :: v_dual_bitop2_b32 v24, 7, v12 bitop3:0x40
	s_mov_b32 s18, exec_lo
	v_cmpx_gt_u32_e32 8, v27
; %bb.1166:                             ;   in Loop: Header=BB291_676 Depth=1
	s_delay_alu instid0(VALU_DEP_2) | instskip(NEXT) | instid1(VALU_DEP_1)
	v_clz_i32_u32_e32 v24, v24
	v_min_u32_e32 v24, 32, v24
	s_delay_alu instid0(VALU_DEP_1) | instskip(NEXT) | instid1(VALU_DEP_1)
	v_subrev_nc_u32_e32 v26, 28, v24
	v_lshlrev_b64_e32 v[28:29], v26, v[12:13]
	v_sub_nc_u32_e32 v26, 29, v24
	s_delay_alu instid0(VALU_DEP_2)
	v_and_b32_e32 v24, 7, v28
; %bb.1167:                             ;   in Loop: Header=BB291_676 Depth=1
	s_or_b32 exec_lo, exec_lo, s18
	v_lshlrev_b32_e32 v12, 8, v12
	s_delay_alu instid0(VALU_DEP_3) | instskip(NEXT) | instid1(VALU_DEP_3)
	v_lshl_add_u32 v26, v26, 10, 0x2000
	v_lshlrev_b32_e32 v24, 23, v24
	s_delay_alu instid0(VALU_DEP_2) | instskip(NEXT) | instid1(VALU_DEP_1)
	v_and_or_b32 v12, 0x8000, v12, v26
	v_lshl_or_b32 v24, v12, 16, v24
.LBB291_1168:                           ;   in Loop: Header=BB291_676 Depth=1
	s_or_b32 exec_lo, exec_lo, s17
.LBB291_1169:                           ;   in Loop: Header=BB291_676 Depth=1
	s_delay_alu instid0(SALU_CYCLE_1)
	s_or_b32 exec_lo, exec_lo, s16
.LBB291_1170:                           ;   in Loop: Header=BB291_676 Depth=1
	s_delay_alu instid0(SALU_CYCLE_1) | instskip(SKIP_4) | instid1(VALU_DEP_3)
	s_or_b32 exec_lo, exec_lo, s15
	v_and_b32_e32 v28, 0xff, v23
	v_dual_mov_b32 v12, v23 :: v_dual_mov_b32 v27, 0
	v_mov_b32_e32 v26, 0
	s_mov_b32 s15, exec_lo
	v_cmpx_ne_u16_e32 0, v28
	s_cbranch_execz .LBB291_1178
; %bb.1171:                             ;   in Loop: Header=BB291_676 Depth=1
	v_mov_b32_e32 v26, 0x8000
	s_mov_b32 s16, exec_lo
	v_cmpx_ne_u16_e32 0x80, v28
	s_cbranch_execz .LBB291_1177
; %bb.1172:                             ;   in Loop: Header=BB291_676 Depth=1
	v_and_b32_e32 v29, 0x7f, v23
	v_mov_b32_e32 v26, 0x7c01
	s_mov_b32 s17, exec_lo
	s_delay_alu instid0(VALU_DEP_2)
	v_cmpx_ne_u32_e32 0x7f, v29
	s_cbranch_execz .LBB291_1176
; %bb.1173:                             ;   in Loop: Header=BB291_676 Depth=1
	v_dual_lshrrev_b32 v28, 3, v29 :: v_dual_bitop2_b32 v26, 7, v23 bitop3:0x40
	s_mov_b32 s18, exec_lo
	v_cmpx_gt_u32_e32 8, v29
; %bb.1174:                             ;   in Loop: Header=BB291_676 Depth=1
	s_delay_alu instid0(VALU_DEP_2) | instskip(NEXT) | instid1(VALU_DEP_1)
	v_clz_i32_u32_e32 v26, v26
	v_min_u32_e32 v26, 32, v26
	s_delay_alu instid0(VALU_DEP_1) | instskip(NEXT) | instid1(VALU_DEP_1)
	v_subrev_nc_u32_e32 v28, 28, v26
	v_lshlrev_b64_e32 v[64:65], v28, v[12:13]
	s_delay_alu instid0(VALU_DEP_1)
	v_dual_sub_nc_u32 v28, 29, v26 :: v_dual_bitop2_b32 v26, 7, v64 bitop3:0x40
; %bb.1175:                             ;   in Loop: Header=BB291_676 Depth=1
	s_or_b32 exec_lo, exec_lo, s18
	s_delay_alu instid0(VALU_DEP_1) | instskip(NEXT) | instid1(VALU_DEP_2)
	v_dual_lshlrev_b32 v29, 8, v23 :: v_dual_lshlrev_b32 v26, 7, v26
	v_lshl_add_u32 v28, v28, 10, 0x2000
	s_delay_alu instid0(VALU_DEP_2) | instskip(NEXT) | instid1(VALU_DEP_2)
	v_and_b32_e32 v29, 0x8000, v29
	v_and_b32_e32 v28, 0xfc00, v28
	s_delay_alu instid0(VALU_DEP_1)
	v_or3_b32 v26, v29, v28, v26
.LBB291_1176:                           ;   in Loop: Header=BB291_676 Depth=1
	s_or_b32 exec_lo, exec_lo, s17
.LBB291_1177:                           ;   in Loop: Header=BB291_676 Depth=1
	s_delay_alu instid0(SALU_CYCLE_1)
	s_or_b32 exec_lo, exec_lo, s16
.LBB291_1178:                           ;   in Loop: Header=BB291_676 Depth=1
	s_delay_alu instid0(SALU_CYCLE_1) | instskip(SKIP_3) | instid1(VALU_DEP_2)
	s_or_b32 exec_lo, exec_lo, s15
	v_lshrrev_b16 v12, 8, v12
	v_mov_b32_e32 v28, 0
	s_mov_b32 s15, exec_lo
	v_cmpx_ne_u16_e32 0, v12
	s_cbranch_execz .LBB291_1186
; %bb.1179:                             ;   in Loop: Header=BB291_676 Depth=1
	v_bfrev_b32_e32 v28, 1
	s_mov_b32 s16, exec_lo
	v_cmpx_ne_u16_e32 0x80, v12
	s_cbranch_execz .LBB291_1185
; %bb.1180:                             ;   in Loop: Header=BB291_676 Depth=1
	v_and_b32_e32 v29, 0xffff, v12
	v_mov_b32_e32 v28, 0x7c010000
	s_mov_b32 s17, exec_lo
	s_delay_alu instid0(VALU_DEP_2) | instskip(NEXT) | instid1(VALU_DEP_1)
	v_and_b32_e32 v44, 0x7f, v29
	v_cmpx_ne_u32_e32 0x7f, v44
	s_cbranch_execz .LBB291_1184
; %bb.1181:                             ;   in Loop: Header=BB291_676 Depth=1
	v_dual_lshrrev_b32 v43, 3, v44 :: v_dual_bitop2_b32 v28, 7, v29 bitop3:0x40
	s_mov_b32 s18, exec_lo
	v_cmpx_gt_u32_e32 8, v44
; %bb.1182:                             ;   in Loop: Header=BB291_676 Depth=1
	s_delay_alu instid0(VALU_DEP_2) | instskip(NEXT) | instid1(VALU_DEP_1)
	v_clz_i32_u32_e32 v28, v28
	v_min_u32_e32 v28, 32, v28
	s_delay_alu instid0(VALU_DEP_1) | instskip(NEXT) | instid1(VALU_DEP_1)
	v_subrev_nc_u32_e32 v43, 28, v28
	v_lshlrev_b64_e32 v[64:65], v43, v[12:13]
	v_sub_nc_u32_e32 v43, 29, v28
	s_delay_alu instid0(VALU_DEP_2)
	v_and_b32_e32 v28, 7, v64
; %bb.1183:                             ;   in Loop: Header=BB291_676 Depth=1
	s_or_b32 exec_lo, exec_lo, s18
	s_delay_alu instid0(VALU_DEP_1) | instskip(NEXT) | instid1(VALU_DEP_3)
	v_dual_lshlrev_b32 v12, 8, v29 :: v_dual_lshlrev_b32 v28, 23, v28
	v_lshl_add_u32 v29, v43, 10, 0x2000
	s_delay_alu instid0(VALU_DEP_1) | instskip(NEXT) | instid1(VALU_DEP_1)
	v_and_or_b32 v12, 0x8000, v12, v29
	v_lshl_or_b32 v28, v12, 16, v28
.LBB291_1184:                           ;   in Loop: Header=BB291_676 Depth=1
	s_or_b32 exec_lo, exec_lo, s17
.LBB291_1185:                           ;   in Loop: Header=BB291_676 Depth=1
	s_delay_alu instid0(SALU_CYCLE_1)
	s_or_b32 exec_lo, exec_lo, s16
.LBB291_1186:                           ;   in Loop: Header=BB291_676 Depth=1
	s_delay_alu instid0(SALU_CYCLE_1) | instskip(SKIP_2) | instid1(VALU_DEP_1)
	s_or_b32 exec_lo, exec_lo, s15
	v_lshrrev_b32_e32 v12, 16, v23
	s_mov_b32 s15, exec_lo
	v_and_b32_e32 v29, 0xff, v12
	s_delay_alu instid0(VALU_DEP_1)
	v_cmpx_ne_u16_e32 0, v29
	s_cbranch_execz .LBB291_1194
; %bb.1187:                             ;   in Loop: Header=BB291_676 Depth=1
	v_mov_b32_e32 v27, 0x8000
	s_mov_b32 s16, exec_lo
	v_cmpx_ne_u16_e32 0x80, v29
	s_cbranch_execz .LBB291_1193
; %bb.1188:                             ;   in Loop: Header=BB291_676 Depth=1
	v_bfe_u32 v43, v23, 16, 7
	v_mov_b32_e32 v27, 0x7c01
	s_mov_b32 s17, exec_lo
	s_delay_alu instid0(VALU_DEP_2)
	v_cmpx_ne_u32_e32 0x7f, v43
	s_cbranch_execz .LBB291_1192
; %bb.1189:                             ;   in Loop: Header=BB291_676 Depth=1
	v_dual_lshrrev_b32 v29, 3, v43 :: v_dual_bitop2_b32 v27, 7, v12 bitop3:0x40
	s_mov_b32 s18, exec_lo
	v_cmpx_gt_u32_e32 8, v43
; %bb.1190:                             ;   in Loop: Header=BB291_676 Depth=1
	s_delay_alu instid0(VALU_DEP_2) | instskip(NEXT) | instid1(VALU_DEP_1)
	v_clz_i32_u32_e32 v27, v27
	v_min_u32_e32 v27, 32, v27
	s_delay_alu instid0(VALU_DEP_1) | instskip(NEXT) | instid1(VALU_DEP_1)
	v_subrev_nc_u32_e32 v29, 28, v27
	v_lshlrev_b64_e32 v[64:65], v29, v[12:13]
	s_delay_alu instid0(VALU_DEP_1)
	v_dual_sub_nc_u32 v29, 29, v27 :: v_dual_bitop2_b32 v27, 7, v64 bitop3:0x40
; %bb.1191:                             ;   in Loop: Header=BB291_676 Depth=1
	s_or_b32 exec_lo, exec_lo, s18
	s_delay_alu instid0(VALU_DEP_1) | instskip(NEXT) | instid1(VALU_DEP_2)
	v_dual_lshlrev_b32 v12, 8, v12 :: v_dual_lshlrev_b32 v27, 7, v27
	v_lshl_add_u32 v29, v29, 10, 0x2000
	s_delay_alu instid0(VALU_DEP_2) | instskip(NEXT) | instid1(VALU_DEP_2)
	v_and_b32_e32 v12, 0x8000, v12
	v_and_b32_e32 v29, 0xfc00, v29
	s_delay_alu instid0(VALU_DEP_1)
	v_or3_b32 v27, v12, v29, v27
.LBB291_1192:                           ;   in Loop: Header=BB291_676 Depth=1
	s_or_b32 exec_lo, exec_lo, s17
.LBB291_1193:                           ;   in Loop: Header=BB291_676 Depth=1
	s_delay_alu instid0(SALU_CYCLE_1)
	s_or_b32 exec_lo, exec_lo, s16
.LBB291_1194:                           ;   in Loop: Header=BB291_676 Depth=1
	s_delay_alu instid0(SALU_CYCLE_1)
	s_or_b32 exec_lo, exec_lo, s15
	v_cmp_lt_u64_e64 s0, s[2:3], v[22:23]
	v_mov_b32_e32 v22, 0
	s_and_saveexec_b32 s15, s0
	s_cbranch_execz .LBB291_1202
; %bb.1195:                             ;   in Loop: Header=BB291_676 Depth=1
	v_lshrrev_b32_e32 v12, 24, v23
	v_bfrev_b32_e32 v22, 1
	s_mov_b32 s16, exec_lo
	s_delay_alu instid0(VALU_DEP_2)
	v_cmpx_ne_u32_e32 0x80, v12
	s_cbranch_execz .LBB291_1201
; %bb.1196:                             ;   in Loop: Header=BB291_676 Depth=1
	v_and_b32_e32 v29, 0x7f, v12
	v_mov_b32_e32 v22, 0x7c010000
	s_mov_b32 s17, exec_lo
	s_delay_alu instid0(VALU_DEP_2)
	v_cmpx_ne_u32_e32 0x7f, v29
	s_cbranch_execz .LBB291_1200
; %bb.1197:                             ;   in Loop: Header=BB291_676 Depth=1
	v_dual_lshrrev_b32 v23, 3, v29 :: v_dual_bitop2_b32 v22, 7, v12 bitop3:0x40
	s_mov_b32 s18, exec_lo
	v_cmpx_gt_u32_e32 8, v29
; %bb.1198:                             ;   in Loop: Header=BB291_676 Depth=1
	s_delay_alu instid0(VALU_DEP_2) | instskip(NEXT) | instid1(VALU_DEP_1)
	v_clz_i32_u32_e32 v22, v22
	v_min_u32_e32 v29, 32, v22
	s_delay_alu instid0(VALU_DEP_1) | instskip(NEXT) | instid1(VALU_DEP_1)
	v_subrev_nc_u32_e32 v22, 28, v29
	v_lshlrev_b64_e32 v[22:23], v22, v[12:13]
	s_delay_alu instid0(VALU_DEP_1)
	v_dual_sub_nc_u32 v23, 29, v29 :: v_dual_bitop2_b32 v22, 7, v22 bitop3:0x40
; %bb.1199:                             ;   in Loop: Header=BB291_676 Depth=1
	s_or_b32 exec_lo, exec_lo, s18
	s_delay_alu instid0(VALU_DEP_1) | instskip(NEXT) | instid1(VALU_DEP_2)
	v_dual_lshlrev_b32 v12, 8, v12 :: v_dual_lshlrev_b32 v22, 23, v22
	v_lshl_add_u32 v23, v23, 10, 0x2000
	s_delay_alu instid0(VALU_DEP_1) | instskip(NEXT) | instid1(VALU_DEP_1)
	v_and_or_b32 v12, 0x8000, v12, v23
	v_lshl_or_b32 v22, v12, 16, v22
.LBB291_1200:                           ;   in Loop: Header=BB291_676 Depth=1
	s_or_b32 exec_lo, exec_lo, s17
.LBB291_1201:                           ;   in Loop: Header=BB291_676 Depth=1
	s_delay_alu instid0(SALU_CYCLE_1)
	s_or_b32 exec_lo, exec_lo, s16
.LBB291_1202:                           ;   in Loop: Header=BB291_676 Depth=1
	s_delay_alu instid0(SALU_CYCLE_1) | instskip(SKIP_3) | instid1(VALU_DEP_3)
	s_or_b32 exec_lo, exec_lo, s15
	v_dual_lshrrev_b32 v12, 16, v1 :: v_dual_lshrrev_b32 v23, 16, v24
	v_or_b32_e32 v1, v1, v21
	v_dual_lshrrev_b32 v29, 16, v22 :: v_dual_bitop2_b32 v21, v24, v25 bitop3:0x54
	v_cvt_f32_f16_e32 v25, v12
	s_delay_alu instid0(VALU_DEP_4) | instskip(SKIP_1) | instid1(VALU_DEP_4)
	v_cvt_f32_f16_e32 v24, v23
	v_dual_lshrrev_b32 v27, 16, v28 :: v_dual_bitop2_b32 v12, v22, v27 bitop3:0x54
	v_cvt_f32_f16_e32 v22, v21
	v_cvt_f32_f16_e32 v23, v1
	s_wait_loadcnt 0x0
	v_pk_mul_f32 v[24:25], v[20:21], v[24:25] op_sel_hi:[0,1]
	v_or_b32_e32 v21, v28, v26
	v_cvt_f32_f16_e32 v27, v27
	v_cvt_f32_f16_e32 v26, v29
	;; [unrolled: 1-line block ×3, first 2 shown]
	v_cvt_pk_f16_f32 v1, v24, v25
	v_cvt_f32_f16_e32 v29, v21
	v_pk_mul_f32 v[22:23], v[20:21], v[22:23] op_sel_hi:[0,1]
	v_pk_mul_f32 v[24:25], v[20:21], v[26:27] op_sel_hi:[0,1]
	s_delay_alu instid0(VALU_DEP_3) | instskip(NEXT) | instid1(VALU_DEP_3)
	v_pk_mul_f32 v[20:21], v[20:21], v[28:29] op_sel_hi:[0,1]
	v_cvt_pk_f16_f32 v12, v22, v23
	v_and_b32_e32 v23, 0xffff0000, v1
	s_delay_alu instid0(VALU_DEP_4)
	v_cvt_pk_f16_f32 v24, v24, v25
	v_lshlrev_b32_e32 v22, 16, v1
	v_cvt_pk_f16_f32 v20, v20, v21
	v_lshrrev_b32_e32 v29, 16, v12
	v_and_b32_e32 v28, 0xffff, v12
	v_and_b32_e32 v1, 0xffff0000, v24
	s_delay_alu instid0(VALU_DEP_3) | instskip(SKIP_3) | instid1(VALU_DEP_2)
	v_dual_lshlrev_b32 v12, 16, v24 :: v_dual_bitop2_b32 v27, v23, v29 bitop3:0x54
	v_lshrrev_b32_e32 v21, 16, v20
	v_and_b32_e32 v20, 0xffff, v20
	v_or_b32_e32 v26, v22, v28
	v_or_b32_e32 v24, v12, v20
	s_delay_alu instid0(VALU_DEP_4)
	v_or_b32_e32 v25, v1, v21
	s_and_saveexec_b32 s15, vcc_lo
	s_cbranch_execz .LBB291_1204
; %bb.1203:                             ;   in Loop: Header=BB291_676 Depth=1
	v_cmp_gt_i32_e64 s0, s14, v33
	s_delay_alu instid0(VALU_DEP_1) | instskip(SKIP_1) | instid1(VALU_DEP_1)
	v_cndmask_b32_e64 v24, 0, v29, s0
	v_cmp_gt_i32_e64 s0, s25, v42
	v_cndmask_b32_e64 v25, 0, v28, s0
	v_cmp_gt_i32_e64 s0, s14, v41
	s_delay_alu instid0(VALU_DEP_1) | instskip(SKIP_1) | instid1(VALU_DEP_1)
	v_cndmask_b32_e64 v23, 0, v23, s0
	v_cmp_gt_i32_e64 s0, s25, v40
	v_cndmask_b32_e64 v22, 0, v22, s0
	v_cmp_gt_i32_e64 s0, s14, v39
	s_delay_alu instid0(VALU_DEP_4) | instskip(NEXT) | instid1(VALU_DEP_3)
	v_or_b32_e32 v27, v23, v24
	v_or_b32_e32 v26, v22, v25
	s_delay_alu instid0(VALU_DEP_3) | instskip(SKIP_1) | instid1(VALU_DEP_1)
	v_cndmask_b32_e64 v21, 0, v21, s0
	v_cmp_gt_i32_e64 s0, s25, v38
	v_cndmask_b32_e64 v20, 0, v20, s0
	v_cmp_gt_i32_e64 s0, s14, v37
	s_delay_alu instid0(VALU_DEP_1) | instskip(SKIP_1) | instid1(VALU_DEP_1)
	v_cndmask_b32_e64 v1, 0, v1, s0
	v_cmp_gt_i32_e64 s0, s25, v36
	v_dual_cndmask_b32 v12, 0, v12, s0 :: v_dual_bitop2_b32 v25, v1, v21 bitop3:0x54
	s_delay_alu instid0(VALU_DEP_1)
	v_or_b32_e32 v24, v12, v20
.LBB291_1204:                           ;   in Loop: Header=BB291_676 Depth=1
	s_or_b32 exec_lo, exec_lo, s15
	;;#ASMSTART
	v_pk_mul_f16 v1, v48, v27;

	;;#ASMEND
	;;#ASMSTART
	v_pk_mul_f16 v12, v47, v26;

	;;#ASMEND
	;; [unrolled: 4-line block ×4, first 2 shown]
	;;#ASMSTART
	v_pk_add_f16 v1, v1, v12;

	;;#ASMEND
	;;#ASMSTART
	v_pk_add_f16 v1, v1, v20;

	;;#ASMEND
	;; [unrolled: 4-line block ×3, first 2 shown]
	v_and_b32_e32 v12, 0xffff, v1
	v_dual_lshrrev_b32 v1, 16, v1 :: v_dual_mov_b32 v21, 0
	;;#ASMSTART
	v_cvt_f32_f16 v63, v12;
	;;#ASMEND
	;;#ASMSTART
	v_cvt_f32_f16 v64, v1;
	;;#ASMEND
	global_load_b64 v[22:23], v[18:19], off offset:2048
	v_mov_b32_e32 v1, 0
	s_mov_b32 s15, exec_lo
	global_load_b32 v20, v1, s[6:7]
	s_wait_loadcnt 0x1
	v_and_b32_e32 v12, 0xff, v22
	s_wait_xcnt 0x0
	s_delay_alu instid0(VALU_DEP_1)
	v_cmpx_ne_u16_e32 0, v12
	s_cbranch_execz .LBB291_1212
; %bb.1205:                             ;   in Loop: Header=BB291_676 Depth=1
	v_mov_b32_e32 v21, 0x8000
	s_mov_b32 s16, exec_lo
	v_cmpx_ne_u16_e32 0x80, v12
	s_cbranch_execz .LBB291_1211
; %bb.1206:                             ;   in Loop: Header=BB291_676 Depth=1
	v_and_b32_e32 v24, 0x7f, v22
	v_mov_b32_e32 v21, 0x7c01
	s_mov_b32 s17, exec_lo
	s_delay_alu instid0(VALU_DEP_2)
	v_cmpx_ne_u32_e32 0x7f, v24
	s_cbranch_execz .LBB291_1210
; %bb.1207:                             ;   in Loop: Header=BB291_676 Depth=1
	v_dual_lshrrev_b32 v21, 3, v24 :: v_dual_bitop2_b32 v12, 7, v22 bitop3:0x40
	s_mov_b32 s18, exec_lo
	v_cmpx_gt_u32_e32 8, v24
; %bb.1208:                             ;   in Loop: Header=BB291_676 Depth=1
	s_delay_alu instid0(VALU_DEP_2) | instskip(NEXT) | instid1(VALU_DEP_1)
	v_clz_i32_u32_e32 v12, v12
	v_min_u32_e32 v12, 32, v12
	s_delay_alu instid0(VALU_DEP_1) | instskip(NEXT) | instid1(VALU_DEP_1)
	v_subrev_nc_u32_e32 v21, 28, v12
	v_lshlrev_b64_e32 v[24:25], v21, v[22:23]
	v_sub_nc_u32_e32 v21, 29, v12
	s_delay_alu instid0(VALU_DEP_2)
	v_and_b32_e32 v12, 7, v24
; %bb.1209:                             ;   in Loop: Header=BB291_676 Depth=1
	s_or_b32 exec_lo, exec_lo, s18
	s_delay_alu instid0(VALU_DEP_1) | instskip(NEXT) | instid1(VALU_DEP_3)
	v_dual_lshlrev_b32 v24, 8, v22 :: v_dual_lshlrev_b32 v12, 7, v12
	v_lshl_add_u32 v21, v21, 10, 0x2000
	s_delay_alu instid0(VALU_DEP_2) | instskip(NEXT) | instid1(VALU_DEP_2)
	v_and_b32_e32 v24, 0x8000, v24
	v_and_b32_e32 v21, 0xfc00, v21
	s_delay_alu instid0(VALU_DEP_1)
	v_or3_b32 v21, v24, v21, v12
.LBB291_1210:                           ;   in Loop: Header=BB291_676 Depth=1
	s_or_b32 exec_lo, exec_lo, s17
.LBB291_1211:                           ;   in Loop: Header=BB291_676 Depth=1
	s_delay_alu instid0(SALU_CYCLE_1)
	s_or_b32 exec_lo, exec_lo, s16
.LBB291_1212:                           ;   in Loop: Header=BB291_676 Depth=1
	s_delay_alu instid0(SALU_CYCLE_1) | instskip(SKIP_2) | instid1(VALU_DEP_1)
	s_or_b32 exec_lo, exec_lo, s15
	v_lshrrev_b16 v12, 8, v22
	s_mov_b32 s15, exec_lo
	v_cmpx_ne_u16_e32 0, v12
	s_cbranch_execz .LBB291_1220
; %bb.1213:                             ;   in Loop: Header=BB291_676 Depth=1
	v_bfrev_b32_e32 v1, 1
	s_mov_b32 s16, exec_lo
	v_cmpx_ne_u16_e32 0x80, v12
	s_cbranch_execz .LBB291_1219
; %bb.1214:                             ;   in Loop: Header=BB291_676 Depth=1
	v_and_b32_e32 v24, 0xffff, v12
	v_mov_b32_e32 v1, 0x7c010000
	s_mov_b32 s17, exec_lo
	s_delay_alu instid0(VALU_DEP_2) | instskip(NEXT) | instid1(VALU_DEP_1)
	v_and_b32_e32 v26, 0x7f, v24
	v_cmpx_ne_u32_e32 0x7f, v26
	s_cbranch_execz .LBB291_1218
; %bb.1215:                             ;   in Loop: Header=BB291_676 Depth=1
	v_dual_lshrrev_b32 v25, 3, v26 :: v_dual_bitop2_b32 v1, 7, v24 bitop3:0x40
	s_mov_b32 s18, exec_lo
	v_cmpx_gt_u32_e32 8, v26
; %bb.1216:                             ;   in Loop: Header=BB291_676 Depth=1
	s_delay_alu instid0(VALU_DEP_2) | instskip(NEXT) | instid1(VALU_DEP_1)
	v_clz_i32_u32_e32 v1, v1
	v_min_u32_e32 v1, 32, v1
	s_delay_alu instid0(VALU_DEP_1) | instskip(NEXT) | instid1(VALU_DEP_1)
	v_subrev_nc_u32_e32 v25, 28, v1
	v_lshlrev_b64_e32 v[26:27], v25, v[12:13]
	s_delay_alu instid0(VALU_DEP_1)
	v_dual_sub_nc_u32 v25, 29, v1 :: v_dual_bitop2_b32 v1, 7, v26 bitop3:0x40
; %bb.1217:                             ;   in Loop: Header=BB291_676 Depth=1
	s_or_b32 exec_lo, exec_lo, s18
	s_delay_alu instid0(VALU_DEP_1) | instskip(NEXT) | instid1(VALU_DEP_2)
	v_dual_lshlrev_b32 v12, 8, v24 :: v_dual_lshlrev_b32 v1, 23, v1
	v_lshl_add_u32 v24, v25, 10, 0x2000
	s_delay_alu instid0(VALU_DEP_1) | instskip(NEXT) | instid1(VALU_DEP_1)
	v_and_or_b32 v12, 0x8000, v12, v24
	v_lshl_or_b32 v1, v12, 16, v1
.LBB291_1218:                           ;   in Loop: Header=BB291_676 Depth=1
	s_or_b32 exec_lo, exec_lo, s17
.LBB291_1219:                           ;   in Loop: Header=BB291_676 Depth=1
	s_delay_alu instid0(SALU_CYCLE_1)
	s_or_b32 exec_lo, exec_lo, s16
.LBB291_1220:                           ;   in Loop: Header=BB291_676 Depth=1
	s_delay_alu instid0(SALU_CYCLE_1) | instskip(SKIP_3) | instid1(VALU_DEP_2)
	s_or_b32 exec_lo, exec_lo, s15
	v_dual_lshrrev_b32 v12, 16, v22 :: v_dual_mov_b32 v24, 0
	v_mov_b32_e32 v25, 0
	s_mov_b32 s15, exec_lo
	v_and_b32_e32 v26, 0xff, v12
	s_delay_alu instid0(VALU_DEP_1)
	v_cmpx_ne_u16_e32 0, v26
	s_cbranch_execz .LBB291_1228
; %bb.1221:                             ;   in Loop: Header=BB291_676 Depth=1
	v_mov_b32_e32 v25, 0x8000
	s_mov_b32 s16, exec_lo
	v_cmpx_ne_u16_e32 0x80, v26
	s_cbranch_execz .LBB291_1227
; %bb.1222:                             ;   in Loop: Header=BB291_676 Depth=1
	v_bfe_u32 v27, v22, 16, 7
	v_mov_b32_e32 v25, 0x7c01
	s_mov_b32 s17, exec_lo
	s_delay_alu instid0(VALU_DEP_2)
	v_cmpx_ne_u32_e32 0x7f, v27
	s_cbranch_execz .LBB291_1226
; %bb.1223:                             ;   in Loop: Header=BB291_676 Depth=1
	v_dual_lshrrev_b32 v26, 3, v27 :: v_dual_bitop2_b32 v25, 7, v12 bitop3:0x40
	s_mov_b32 s18, exec_lo
	v_cmpx_gt_u32_e32 8, v27
; %bb.1224:                             ;   in Loop: Header=BB291_676 Depth=1
	s_delay_alu instid0(VALU_DEP_2) | instskip(NEXT) | instid1(VALU_DEP_1)
	v_clz_i32_u32_e32 v25, v25
	v_min_u32_e32 v25, 32, v25
	s_delay_alu instid0(VALU_DEP_1) | instskip(NEXT) | instid1(VALU_DEP_1)
	v_subrev_nc_u32_e32 v26, 28, v25
	v_lshlrev_b64_e32 v[28:29], v26, v[12:13]
	s_delay_alu instid0(VALU_DEP_1)
	v_dual_sub_nc_u32 v26, 29, v25 :: v_dual_bitop2_b32 v25, 7, v28 bitop3:0x40
; %bb.1225:                             ;   in Loop: Header=BB291_676 Depth=1
	s_or_b32 exec_lo, exec_lo, s18
	s_delay_alu instid0(VALU_DEP_1) | instskip(NEXT) | instid1(VALU_DEP_2)
	v_dual_lshlrev_b32 v12, 8, v12 :: v_dual_lshlrev_b32 v25, 7, v25
	v_lshl_add_u32 v26, v26, 10, 0x2000
	s_delay_alu instid0(VALU_DEP_2) | instskip(NEXT) | instid1(VALU_DEP_2)
	v_and_b32_e32 v12, 0x8000, v12
	v_and_b32_e32 v26, 0xfc00, v26
	s_delay_alu instid0(VALU_DEP_1)
	v_or3_b32 v25, v12, v26, v25
.LBB291_1226:                           ;   in Loop: Header=BB291_676 Depth=1
	s_or_b32 exec_lo, exec_lo, s17
.LBB291_1227:                           ;   in Loop: Header=BB291_676 Depth=1
	s_delay_alu instid0(SALU_CYCLE_1)
	s_or_b32 exec_lo, exec_lo, s16
.LBB291_1228:                           ;   in Loop: Header=BB291_676 Depth=1
	s_delay_alu instid0(SALU_CYCLE_1) | instskip(NEXT) | instid1(SALU_CYCLE_1)
	s_or_b32 exec_lo, exec_lo, s15
	s_mov_b32 s15, exec_lo
	v_cmpx_lt_u32_e32 0xffffff, v22
	s_cbranch_execz .LBB291_1236
; %bb.1229:                             ;   in Loop: Header=BB291_676 Depth=1
	v_lshrrev_b32_e32 v12, 24, v22
	v_bfrev_b32_e32 v24, 1
	s_mov_b32 s16, exec_lo
	s_delay_alu instid0(VALU_DEP_2)
	v_cmpx_ne_u32_e32 0x80, v12
	s_cbranch_execz .LBB291_1235
; %bb.1230:                             ;   in Loop: Header=BB291_676 Depth=1
	v_and_b32_e32 v27, 0x7f, v12
	v_mov_b32_e32 v24, 0x7c010000
	s_mov_b32 s17, exec_lo
	s_delay_alu instid0(VALU_DEP_2)
	v_cmpx_ne_u32_e32 0x7f, v27
	s_cbranch_execz .LBB291_1234
; %bb.1231:                             ;   in Loop: Header=BB291_676 Depth=1
	v_dual_lshrrev_b32 v26, 3, v27 :: v_dual_bitop2_b32 v24, 7, v12 bitop3:0x40
	s_mov_b32 s18, exec_lo
	v_cmpx_gt_u32_e32 8, v27
; %bb.1232:                             ;   in Loop: Header=BB291_676 Depth=1
	s_delay_alu instid0(VALU_DEP_2) | instskip(NEXT) | instid1(VALU_DEP_1)
	v_clz_i32_u32_e32 v24, v24
	v_min_u32_e32 v24, 32, v24
	s_delay_alu instid0(VALU_DEP_1) | instskip(NEXT) | instid1(VALU_DEP_1)
	v_subrev_nc_u32_e32 v26, 28, v24
	v_lshlrev_b64_e32 v[28:29], v26, v[12:13]
	v_sub_nc_u32_e32 v26, 29, v24
	s_delay_alu instid0(VALU_DEP_2)
	v_and_b32_e32 v24, 7, v28
; %bb.1233:                             ;   in Loop: Header=BB291_676 Depth=1
	s_or_b32 exec_lo, exec_lo, s18
	v_lshlrev_b32_e32 v12, 8, v12
	s_delay_alu instid0(VALU_DEP_3) | instskip(NEXT) | instid1(VALU_DEP_3)
	v_lshl_add_u32 v26, v26, 10, 0x2000
	v_lshlrev_b32_e32 v24, 23, v24
	s_delay_alu instid0(VALU_DEP_2) | instskip(NEXT) | instid1(VALU_DEP_1)
	v_and_or_b32 v12, 0x8000, v12, v26
	v_lshl_or_b32 v24, v12, 16, v24
.LBB291_1234:                           ;   in Loop: Header=BB291_676 Depth=1
	s_or_b32 exec_lo, exec_lo, s17
.LBB291_1235:                           ;   in Loop: Header=BB291_676 Depth=1
	s_delay_alu instid0(SALU_CYCLE_1)
	s_or_b32 exec_lo, exec_lo, s16
.LBB291_1236:                           ;   in Loop: Header=BB291_676 Depth=1
	s_delay_alu instid0(SALU_CYCLE_1) | instskip(SKIP_4) | instid1(VALU_DEP_3)
	s_or_b32 exec_lo, exec_lo, s15
	v_and_b32_e32 v28, 0xff, v23
	v_dual_mov_b32 v12, v23 :: v_dual_mov_b32 v27, 0
	v_mov_b32_e32 v26, 0
	s_mov_b32 s15, exec_lo
	v_cmpx_ne_u16_e32 0, v28
	s_cbranch_execz .LBB291_1244
; %bb.1237:                             ;   in Loop: Header=BB291_676 Depth=1
	v_mov_b32_e32 v26, 0x8000
	s_mov_b32 s16, exec_lo
	v_cmpx_ne_u16_e32 0x80, v28
	s_cbranch_execz .LBB291_1243
; %bb.1238:                             ;   in Loop: Header=BB291_676 Depth=1
	v_and_b32_e32 v29, 0x7f, v23
	v_mov_b32_e32 v26, 0x7c01
	s_mov_b32 s17, exec_lo
	s_delay_alu instid0(VALU_DEP_2)
	v_cmpx_ne_u32_e32 0x7f, v29
	s_cbranch_execz .LBB291_1242
; %bb.1239:                             ;   in Loop: Header=BB291_676 Depth=1
	v_dual_lshrrev_b32 v28, 3, v29 :: v_dual_bitop2_b32 v26, 7, v23 bitop3:0x40
	s_mov_b32 s18, exec_lo
	v_cmpx_gt_u32_e32 8, v29
; %bb.1240:                             ;   in Loop: Header=BB291_676 Depth=1
	s_delay_alu instid0(VALU_DEP_2) | instskip(NEXT) | instid1(VALU_DEP_1)
	v_clz_i32_u32_e32 v26, v26
	v_min_u32_e32 v26, 32, v26
	s_delay_alu instid0(VALU_DEP_1) | instskip(NEXT) | instid1(VALU_DEP_1)
	v_subrev_nc_u32_e32 v28, 28, v26
	v_lshlrev_b64_e32 v[66:67], v28, v[12:13]
	v_sub_nc_u32_e32 v28, 29, v26
	s_delay_alu instid0(VALU_DEP_2)
	v_and_b32_e32 v26, 7, v66
; %bb.1241:                             ;   in Loop: Header=BB291_676 Depth=1
	s_or_b32 exec_lo, exec_lo, s18
	s_delay_alu instid0(VALU_DEP_1) | instskip(NEXT) | instid1(VALU_DEP_3)
	v_dual_lshlrev_b32 v29, 8, v23 :: v_dual_lshlrev_b32 v26, 7, v26
	v_lshl_add_u32 v28, v28, 10, 0x2000
	s_delay_alu instid0(VALU_DEP_2) | instskip(NEXT) | instid1(VALU_DEP_2)
	v_and_b32_e32 v29, 0x8000, v29
	v_and_b32_e32 v28, 0xfc00, v28
	s_delay_alu instid0(VALU_DEP_1)
	v_or3_b32 v26, v29, v28, v26
.LBB291_1242:                           ;   in Loop: Header=BB291_676 Depth=1
	s_or_b32 exec_lo, exec_lo, s17
.LBB291_1243:                           ;   in Loop: Header=BB291_676 Depth=1
	s_delay_alu instid0(SALU_CYCLE_1)
	s_or_b32 exec_lo, exec_lo, s16
.LBB291_1244:                           ;   in Loop: Header=BB291_676 Depth=1
	s_delay_alu instid0(SALU_CYCLE_1) | instskip(SKIP_3) | instid1(VALU_DEP_2)
	s_or_b32 exec_lo, exec_lo, s15
	v_lshrrev_b16 v12, 8, v12
	v_mov_b32_e32 v28, 0
	s_mov_b32 s15, exec_lo
	v_cmpx_ne_u16_e32 0, v12
	s_cbranch_execz .LBB291_1252
; %bb.1245:                             ;   in Loop: Header=BB291_676 Depth=1
	v_bfrev_b32_e32 v28, 1
	s_mov_b32 s16, exec_lo
	v_cmpx_ne_u16_e32 0x80, v12
	s_cbranch_execz .LBB291_1251
; %bb.1246:                             ;   in Loop: Header=BB291_676 Depth=1
	v_and_b32_e32 v29, 0xffff, v12
	v_mov_b32_e32 v28, 0x7c010000
	s_mov_b32 s17, exec_lo
	s_delay_alu instid0(VALU_DEP_2) | instskip(NEXT) | instid1(VALU_DEP_1)
	v_and_b32_e32 v44, 0x7f, v29
	v_cmpx_ne_u32_e32 0x7f, v44
	s_cbranch_execz .LBB291_1250
; %bb.1247:                             ;   in Loop: Header=BB291_676 Depth=1
	v_dual_lshrrev_b32 v43, 3, v44 :: v_dual_bitop2_b32 v28, 7, v29 bitop3:0x40
	s_mov_b32 s18, exec_lo
	v_cmpx_gt_u32_e32 8, v44
; %bb.1248:                             ;   in Loop: Header=BB291_676 Depth=1
	s_delay_alu instid0(VALU_DEP_2) | instskip(NEXT) | instid1(VALU_DEP_1)
	v_clz_i32_u32_e32 v28, v28
	v_min_u32_e32 v28, 32, v28
	s_delay_alu instid0(VALU_DEP_1) | instskip(NEXT) | instid1(VALU_DEP_1)
	v_subrev_nc_u32_e32 v43, 28, v28
	v_lshlrev_b64_e32 v[66:67], v43, v[12:13]
	s_delay_alu instid0(VALU_DEP_1)
	v_dual_sub_nc_u32 v43, 29, v28 :: v_dual_bitop2_b32 v28, 7, v66 bitop3:0x40
; %bb.1249:                             ;   in Loop: Header=BB291_676 Depth=1
	s_or_b32 exec_lo, exec_lo, s18
	s_delay_alu instid0(VALU_DEP_1) | instskip(NEXT) | instid1(VALU_DEP_2)
	v_dual_lshlrev_b32 v12, 8, v29 :: v_dual_lshlrev_b32 v28, 23, v28
	v_lshl_add_u32 v29, v43, 10, 0x2000
	s_delay_alu instid0(VALU_DEP_1) | instskip(NEXT) | instid1(VALU_DEP_1)
	v_and_or_b32 v12, 0x8000, v12, v29
	v_lshl_or_b32 v28, v12, 16, v28
.LBB291_1250:                           ;   in Loop: Header=BB291_676 Depth=1
	s_or_b32 exec_lo, exec_lo, s17
.LBB291_1251:                           ;   in Loop: Header=BB291_676 Depth=1
	s_delay_alu instid0(SALU_CYCLE_1)
	s_or_b32 exec_lo, exec_lo, s16
.LBB291_1252:                           ;   in Loop: Header=BB291_676 Depth=1
	s_delay_alu instid0(SALU_CYCLE_1) | instskip(SKIP_2) | instid1(VALU_DEP_1)
	s_or_b32 exec_lo, exec_lo, s15
	v_lshrrev_b32_e32 v12, 16, v23
	s_mov_b32 s15, exec_lo
	v_and_b32_e32 v29, 0xff, v12
	s_delay_alu instid0(VALU_DEP_1)
	v_cmpx_ne_u16_e32 0, v29
	s_cbranch_execz .LBB291_1260
; %bb.1253:                             ;   in Loop: Header=BB291_676 Depth=1
	v_mov_b32_e32 v27, 0x8000
	s_mov_b32 s16, exec_lo
	v_cmpx_ne_u16_e32 0x80, v29
	s_cbranch_execz .LBB291_1259
; %bb.1254:                             ;   in Loop: Header=BB291_676 Depth=1
	v_bfe_u32 v43, v23, 16, 7
	v_mov_b32_e32 v27, 0x7c01
	s_mov_b32 s17, exec_lo
	s_delay_alu instid0(VALU_DEP_2)
	v_cmpx_ne_u32_e32 0x7f, v43
	s_cbranch_execz .LBB291_1258
; %bb.1255:                             ;   in Loop: Header=BB291_676 Depth=1
	v_dual_lshrrev_b32 v29, 3, v43 :: v_dual_bitop2_b32 v27, 7, v12 bitop3:0x40
	s_mov_b32 s18, exec_lo
	v_cmpx_gt_u32_e32 8, v43
; %bb.1256:                             ;   in Loop: Header=BB291_676 Depth=1
	s_delay_alu instid0(VALU_DEP_2) | instskip(NEXT) | instid1(VALU_DEP_1)
	v_clz_i32_u32_e32 v27, v27
	v_min_u32_e32 v27, 32, v27
	s_delay_alu instid0(VALU_DEP_1) | instskip(NEXT) | instid1(VALU_DEP_1)
	v_subrev_nc_u32_e32 v29, 28, v27
	v_lshlrev_b64_e32 v[66:67], v29, v[12:13]
	s_delay_alu instid0(VALU_DEP_1)
	v_dual_sub_nc_u32 v29, 29, v27 :: v_dual_bitop2_b32 v27, 7, v66 bitop3:0x40
; %bb.1257:                             ;   in Loop: Header=BB291_676 Depth=1
	s_or_b32 exec_lo, exec_lo, s18
	s_delay_alu instid0(VALU_DEP_1) | instskip(NEXT) | instid1(VALU_DEP_2)
	v_dual_lshlrev_b32 v12, 8, v12 :: v_dual_lshlrev_b32 v27, 7, v27
	v_lshl_add_u32 v29, v29, 10, 0x2000
	s_delay_alu instid0(VALU_DEP_2) | instskip(NEXT) | instid1(VALU_DEP_2)
	v_and_b32_e32 v12, 0x8000, v12
	v_and_b32_e32 v29, 0xfc00, v29
	s_delay_alu instid0(VALU_DEP_1)
	v_or3_b32 v27, v12, v29, v27
.LBB291_1258:                           ;   in Loop: Header=BB291_676 Depth=1
	s_or_b32 exec_lo, exec_lo, s17
.LBB291_1259:                           ;   in Loop: Header=BB291_676 Depth=1
	s_delay_alu instid0(SALU_CYCLE_1)
	s_or_b32 exec_lo, exec_lo, s16
.LBB291_1260:                           ;   in Loop: Header=BB291_676 Depth=1
	s_delay_alu instid0(SALU_CYCLE_1)
	s_or_b32 exec_lo, exec_lo, s15
	v_cmp_lt_u64_e64 s0, s[2:3], v[22:23]
	v_mov_b32_e32 v22, 0
	s_and_saveexec_b32 s15, s0
	s_cbranch_execz .LBB291_1268
; %bb.1261:                             ;   in Loop: Header=BB291_676 Depth=1
	v_lshrrev_b32_e32 v12, 24, v23
	v_bfrev_b32_e32 v22, 1
	s_mov_b32 s16, exec_lo
	s_delay_alu instid0(VALU_DEP_2)
	v_cmpx_ne_u32_e32 0x80, v12
	s_cbranch_execz .LBB291_1267
; %bb.1262:                             ;   in Loop: Header=BB291_676 Depth=1
	v_and_b32_e32 v29, 0x7f, v12
	v_mov_b32_e32 v22, 0x7c010000
	s_mov_b32 s17, exec_lo
	s_delay_alu instid0(VALU_DEP_2)
	v_cmpx_ne_u32_e32 0x7f, v29
	s_cbranch_execz .LBB291_1266
; %bb.1263:                             ;   in Loop: Header=BB291_676 Depth=1
	v_dual_lshrrev_b32 v23, 3, v29 :: v_dual_bitop2_b32 v22, 7, v12 bitop3:0x40
	s_mov_b32 s18, exec_lo
	v_cmpx_gt_u32_e32 8, v29
; %bb.1264:                             ;   in Loop: Header=BB291_676 Depth=1
	s_delay_alu instid0(VALU_DEP_2) | instskip(NEXT) | instid1(VALU_DEP_1)
	v_clz_i32_u32_e32 v22, v22
	v_min_u32_e32 v29, 32, v22
	s_delay_alu instid0(VALU_DEP_1) | instskip(NEXT) | instid1(VALU_DEP_1)
	v_subrev_nc_u32_e32 v22, 28, v29
	v_lshlrev_b64_e32 v[22:23], v22, v[12:13]
	s_delay_alu instid0(VALU_DEP_1)
	v_dual_sub_nc_u32 v23, 29, v29 :: v_dual_bitop2_b32 v22, 7, v22 bitop3:0x40
; %bb.1265:                             ;   in Loop: Header=BB291_676 Depth=1
	s_or_b32 exec_lo, exec_lo, s18
	s_delay_alu instid0(VALU_DEP_1) | instskip(NEXT) | instid1(VALU_DEP_2)
	v_dual_lshlrev_b32 v12, 8, v12 :: v_dual_lshlrev_b32 v22, 23, v22
	v_lshl_add_u32 v23, v23, 10, 0x2000
	s_delay_alu instid0(VALU_DEP_1) | instskip(NEXT) | instid1(VALU_DEP_1)
	v_and_or_b32 v12, 0x8000, v12, v23
	v_lshl_or_b32 v22, v12, 16, v22
.LBB291_1266:                           ;   in Loop: Header=BB291_676 Depth=1
	s_or_b32 exec_lo, exec_lo, s17
.LBB291_1267:                           ;   in Loop: Header=BB291_676 Depth=1
	s_delay_alu instid0(SALU_CYCLE_1)
	s_or_b32 exec_lo, exec_lo, s16
.LBB291_1268:                           ;   in Loop: Header=BB291_676 Depth=1
	s_delay_alu instid0(SALU_CYCLE_1) | instskip(SKIP_3) | instid1(VALU_DEP_3)
	s_or_b32 exec_lo, exec_lo, s15
	v_dual_lshrrev_b32 v12, 16, v1 :: v_dual_lshrrev_b32 v23, 16, v24
	v_or_b32_e32 v1, v1, v21
	v_dual_lshrrev_b32 v29, 16, v22 :: v_dual_bitop2_b32 v21, v24, v25 bitop3:0x54
	v_cvt_f32_f16_e32 v25, v12
	s_delay_alu instid0(VALU_DEP_4) | instskip(SKIP_1) | instid1(VALU_DEP_4)
	v_cvt_f32_f16_e32 v24, v23
	v_dual_lshrrev_b32 v27, 16, v28 :: v_dual_bitop2_b32 v12, v22, v27 bitop3:0x54
	v_cvt_f32_f16_e32 v22, v21
	v_cvt_f32_f16_e32 v23, v1
	s_wait_loadcnt 0x0
	v_pk_mul_f32 v[24:25], v[20:21], v[24:25] op_sel_hi:[0,1]
	v_or_b32_e32 v21, v28, v26
	v_cvt_f32_f16_e32 v27, v27
	v_cvt_f32_f16_e32 v26, v29
	;; [unrolled: 1-line block ×3, first 2 shown]
	v_cvt_pk_f16_f32 v1, v24, v25
	v_cvt_f32_f16_e32 v29, v21
	v_pk_mul_f32 v[22:23], v[20:21], v[22:23] op_sel_hi:[0,1]
	v_pk_mul_f32 v[24:25], v[20:21], v[26:27] op_sel_hi:[0,1]
	s_delay_alu instid0(VALU_DEP_3) | instskip(NEXT) | instid1(VALU_DEP_3)
	v_pk_mul_f32 v[20:21], v[20:21], v[28:29] op_sel_hi:[0,1]
	v_cvt_pk_f16_f32 v12, v22, v23
	v_and_b32_e32 v23, 0xffff0000, v1
	s_delay_alu instid0(VALU_DEP_4)
	v_cvt_pk_f16_f32 v24, v24, v25
	v_lshlrev_b32_e32 v22, 16, v1
	v_cvt_pk_f16_f32 v20, v20, v21
	v_lshrrev_b32_e32 v29, 16, v12
	v_and_b32_e32 v28, 0xffff, v12
	v_and_b32_e32 v1, 0xffff0000, v24
	s_delay_alu instid0(VALU_DEP_3) | instskip(SKIP_3) | instid1(VALU_DEP_2)
	v_dual_lshlrev_b32 v12, 16, v24 :: v_dual_bitop2_b32 v27, v23, v29 bitop3:0x54
	v_lshrrev_b32_e32 v21, 16, v20
	v_and_b32_e32 v20, 0xffff, v20
	v_or_b32_e32 v26, v22, v28
	v_or_b32_e32 v24, v12, v20
	s_delay_alu instid0(VALU_DEP_4)
	v_or_b32_e32 v25, v1, v21
	s_and_saveexec_b32 s15, vcc_lo
	s_cbranch_execz .LBB291_1270
; %bb.1269:                             ;   in Loop: Header=BB291_676 Depth=1
	v_cmp_gt_i32_e64 s0, s14, v33
	s_delay_alu instid0(VALU_DEP_1) | instskip(SKIP_1) | instid1(VALU_DEP_1)
	v_cndmask_b32_e64 v24, 0, v29, s0
	v_cmp_gt_i32_e64 s0, s25, v42
	v_cndmask_b32_e64 v25, 0, v28, s0
	v_cmp_gt_i32_e64 s0, s14, v41
	s_delay_alu instid0(VALU_DEP_1) | instskip(SKIP_1) | instid1(VALU_DEP_1)
	v_cndmask_b32_e64 v23, 0, v23, s0
	v_cmp_gt_i32_e64 s0, s25, v40
	v_cndmask_b32_e64 v22, 0, v22, s0
	v_cmp_gt_i32_e64 s0, s14, v39
	s_delay_alu instid0(VALU_DEP_4) | instskip(NEXT) | instid1(VALU_DEP_3)
	v_or_b32_e32 v27, v23, v24
	v_or_b32_e32 v26, v22, v25
	s_delay_alu instid0(VALU_DEP_3) | instskip(SKIP_1) | instid1(VALU_DEP_1)
	v_cndmask_b32_e64 v21, 0, v21, s0
	v_cmp_gt_i32_e64 s0, s25, v38
	v_cndmask_b32_e64 v20, 0, v20, s0
	v_cmp_gt_i32_e64 s0, s14, v37
	s_delay_alu instid0(VALU_DEP_1) | instskip(SKIP_1) | instid1(VALU_DEP_1)
	v_cndmask_b32_e64 v1, 0, v1, s0
	v_cmp_gt_i32_e64 s0, s25, v36
	v_dual_cndmask_b32 v12, 0, v12, s0 :: v_dual_bitop2_b32 v25, v1, v21 bitop3:0x54
	s_delay_alu instid0(VALU_DEP_1)
	v_or_b32_e32 v24, v12, v20
.LBB291_1270:                           ;   in Loop: Header=BB291_676 Depth=1
	s_or_b32 exec_lo, exec_lo, s15
	;;#ASMSTART
	v_pk_mul_f16 v1, v48, v27;

	;;#ASMEND
	;;#ASMSTART
	v_pk_mul_f16 v12, v47, v26;

	;;#ASMEND
	;; [unrolled: 4-line block ×4, first 2 shown]
	;;#ASMSTART
	v_pk_add_f16 v1, v1, v12;

	;;#ASMEND
	;;#ASMSTART
	v_pk_add_f16 v1, v1, v20;

	;;#ASMEND
	;; [unrolled: 4-line block ×3, first 2 shown]
	v_and_b32_e32 v12, 0xffff, v1
	v_lshrrev_b32_e32 v1, 16, v1
	;;#ASMSTART
	v_cvt_f32_f16 v43, v12;
	;;#ASMEND
	;;#ASMSTART
	v_cvt_f32_f16 v44, v1;
	;;#ASMEND
	global_load_b64 v[20:21], v[18:19], off offset:2304
	s_wait_xcnt 0x0
	v_dual_mov_b32 v1, 0 :: v_dual_mov_b32 v19, 0
	s_mov_b32 s15, exec_lo
	global_load_b32 v18, v1, s[6:7]
	s_wait_loadcnt 0x1
	v_and_b32_e32 v12, 0xff, v20
	s_wait_xcnt 0x0
	s_delay_alu instid0(VALU_DEP_1)
	v_cmpx_ne_u16_e32 0, v12
	s_cbranch_execz .LBB291_1278
; %bb.1271:                             ;   in Loop: Header=BB291_676 Depth=1
	v_mov_b32_e32 v19, 0x8000
	s_mov_b32 s16, exec_lo
	v_cmpx_ne_u16_e32 0x80, v12
	s_cbranch_execz .LBB291_1277
; %bb.1272:                             ;   in Loop: Header=BB291_676 Depth=1
	v_and_b32_e32 v22, 0x7f, v20
	v_mov_b32_e32 v19, 0x7c01
	s_mov_b32 s17, exec_lo
	s_delay_alu instid0(VALU_DEP_2)
	v_cmpx_ne_u32_e32 0x7f, v22
	s_cbranch_execz .LBB291_1276
; %bb.1273:                             ;   in Loop: Header=BB291_676 Depth=1
	v_dual_lshrrev_b32 v19, 3, v22 :: v_dual_bitop2_b32 v12, 7, v20 bitop3:0x40
	s_mov_b32 s18, exec_lo
	v_cmpx_gt_u32_e32 8, v22
; %bb.1274:                             ;   in Loop: Header=BB291_676 Depth=1
	s_delay_alu instid0(VALU_DEP_2) | instskip(NEXT) | instid1(VALU_DEP_1)
	v_clz_i32_u32_e32 v12, v12
	v_min_u32_e32 v12, 32, v12
	s_delay_alu instid0(VALU_DEP_1) | instskip(NEXT) | instid1(VALU_DEP_1)
	v_subrev_nc_u32_e32 v19, 28, v12
	v_lshlrev_b64_e32 v[22:23], v19, v[20:21]
	s_delay_alu instid0(VALU_DEP_1)
	v_dual_sub_nc_u32 v19, 29, v12 :: v_dual_bitop2_b32 v12, 7, v22 bitop3:0x40
; %bb.1275:                             ;   in Loop: Header=BB291_676 Depth=1
	s_or_b32 exec_lo, exec_lo, s18
	v_lshlrev_b32_e32 v22, 8, v20
	s_delay_alu instid0(VALU_DEP_2) | instskip(NEXT) | instid1(VALU_DEP_3)
	v_lshl_add_u32 v19, v19, 10, 0x2000
	v_lshlrev_b32_e32 v12, 7, v12
	s_delay_alu instid0(VALU_DEP_3) | instskip(NEXT) | instid1(VALU_DEP_3)
	v_and_b32_e32 v22, 0x8000, v22
	v_and_b32_e32 v19, 0xfc00, v19
	s_delay_alu instid0(VALU_DEP_1)
	v_or3_b32 v19, v22, v19, v12
.LBB291_1276:                           ;   in Loop: Header=BB291_676 Depth=1
	s_or_b32 exec_lo, exec_lo, s17
.LBB291_1277:                           ;   in Loop: Header=BB291_676 Depth=1
	s_delay_alu instid0(SALU_CYCLE_1)
	s_or_b32 exec_lo, exec_lo, s16
.LBB291_1278:                           ;   in Loop: Header=BB291_676 Depth=1
	s_delay_alu instid0(SALU_CYCLE_1) | instskip(SKIP_2) | instid1(VALU_DEP_1)
	s_or_b32 exec_lo, exec_lo, s15
	v_lshrrev_b16 v12, 8, v20
	s_mov_b32 s15, exec_lo
	v_cmpx_ne_u16_e32 0, v12
	s_cbranch_execz .LBB291_1286
; %bb.1279:                             ;   in Loop: Header=BB291_676 Depth=1
	v_bfrev_b32_e32 v1, 1
	s_mov_b32 s16, exec_lo
	v_cmpx_ne_u16_e32 0x80, v12
	s_cbranch_execz .LBB291_1285
; %bb.1280:                             ;   in Loop: Header=BB291_676 Depth=1
	v_and_b32_e32 v22, 0xffff, v12
	v_mov_b32_e32 v1, 0x7c010000
	s_mov_b32 s17, exec_lo
	s_delay_alu instid0(VALU_DEP_2) | instskip(NEXT) | instid1(VALU_DEP_1)
	v_and_b32_e32 v24, 0x7f, v22
	v_cmpx_ne_u32_e32 0x7f, v24
	s_cbranch_execz .LBB291_1284
; %bb.1281:                             ;   in Loop: Header=BB291_676 Depth=1
	v_dual_lshrrev_b32 v23, 3, v24 :: v_dual_bitop2_b32 v1, 7, v22 bitop3:0x40
	s_mov_b32 s18, exec_lo
	v_cmpx_gt_u32_e32 8, v24
; %bb.1282:                             ;   in Loop: Header=BB291_676 Depth=1
	s_delay_alu instid0(VALU_DEP_2) | instskip(NEXT) | instid1(VALU_DEP_1)
	v_clz_i32_u32_e32 v1, v1
	v_min_u32_e32 v1, 32, v1
	s_delay_alu instid0(VALU_DEP_1) | instskip(NEXT) | instid1(VALU_DEP_1)
	v_subrev_nc_u32_e32 v23, 28, v1
	v_lshlrev_b64_e32 v[24:25], v23, v[12:13]
	s_delay_alu instid0(VALU_DEP_1)
	v_dual_sub_nc_u32 v23, 29, v1 :: v_dual_bitop2_b32 v1, 7, v24 bitop3:0x40
; %bb.1283:                             ;   in Loop: Header=BB291_676 Depth=1
	s_or_b32 exec_lo, exec_lo, s18
	s_delay_alu instid0(VALU_DEP_1) | instskip(NEXT) | instid1(VALU_DEP_2)
	v_dual_lshlrev_b32 v12, 8, v22 :: v_dual_lshlrev_b32 v1, 23, v1
	v_lshl_add_u32 v22, v23, 10, 0x2000
	s_delay_alu instid0(VALU_DEP_1) | instskip(NEXT) | instid1(VALU_DEP_1)
	v_and_or_b32 v12, 0x8000, v12, v22
	v_lshl_or_b32 v1, v12, 16, v1
.LBB291_1284:                           ;   in Loop: Header=BB291_676 Depth=1
	s_or_b32 exec_lo, exec_lo, s17
.LBB291_1285:                           ;   in Loop: Header=BB291_676 Depth=1
	s_delay_alu instid0(SALU_CYCLE_1)
	s_or_b32 exec_lo, exec_lo, s16
.LBB291_1286:                           ;   in Loop: Header=BB291_676 Depth=1
	s_delay_alu instid0(SALU_CYCLE_1) | instskip(SKIP_3) | instid1(VALU_DEP_2)
	s_or_b32 exec_lo, exec_lo, s15
	v_dual_lshrrev_b32 v12, 16, v20 :: v_dual_mov_b32 v22, 0
	v_mov_b32_e32 v23, 0
	s_mov_b32 s15, exec_lo
	v_and_b32_e32 v24, 0xff, v12
	s_delay_alu instid0(VALU_DEP_1)
	v_cmpx_ne_u16_e32 0, v24
	s_cbranch_execz .LBB291_1294
; %bb.1287:                             ;   in Loop: Header=BB291_676 Depth=1
	v_mov_b32_e32 v23, 0x8000
	s_mov_b32 s16, exec_lo
	v_cmpx_ne_u16_e32 0x80, v24
	s_cbranch_execz .LBB291_1293
; %bb.1288:                             ;   in Loop: Header=BB291_676 Depth=1
	v_bfe_u32 v25, v20, 16, 7
	v_mov_b32_e32 v23, 0x7c01
	s_mov_b32 s17, exec_lo
	s_delay_alu instid0(VALU_DEP_2)
	v_cmpx_ne_u32_e32 0x7f, v25
	s_cbranch_execz .LBB291_1292
; %bb.1289:                             ;   in Loop: Header=BB291_676 Depth=1
	v_dual_lshrrev_b32 v24, 3, v25 :: v_dual_bitop2_b32 v23, 7, v12 bitop3:0x40
	s_mov_b32 s18, exec_lo
	v_cmpx_gt_u32_e32 8, v25
; %bb.1290:                             ;   in Loop: Header=BB291_676 Depth=1
	s_delay_alu instid0(VALU_DEP_2) | instskip(NEXT) | instid1(VALU_DEP_1)
	v_clz_i32_u32_e32 v23, v23
	v_min_u32_e32 v23, 32, v23
	s_delay_alu instid0(VALU_DEP_1) | instskip(NEXT) | instid1(VALU_DEP_1)
	v_subrev_nc_u32_e32 v24, 28, v23
	v_lshlrev_b64_e32 v[26:27], v24, v[12:13]
	s_delay_alu instid0(VALU_DEP_1)
	v_dual_sub_nc_u32 v24, 29, v23 :: v_dual_bitop2_b32 v23, 7, v26 bitop3:0x40
; %bb.1291:                             ;   in Loop: Header=BB291_676 Depth=1
	s_or_b32 exec_lo, exec_lo, s18
	s_delay_alu instid0(VALU_DEP_1) | instskip(NEXT) | instid1(VALU_DEP_2)
	v_dual_lshlrev_b32 v12, 8, v12 :: v_dual_lshlrev_b32 v23, 7, v23
	v_lshl_add_u32 v24, v24, 10, 0x2000
	s_delay_alu instid0(VALU_DEP_2) | instskip(NEXT) | instid1(VALU_DEP_2)
	v_and_b32_e32 v12, 0x8000, v12
	v_and_b32_e32 v24, 0xfc00, v24
	s_delay_alu instid0(VALU_DEP_1)
	v_or3_b32 v23, v12, v24, v23
.LBB291_1292:                           ;   in Loop: Header=BB291_676 Depth=1
	s_or_b32 exec_lo, exec_lo, s17
.LBB291_1293:                           ;   in Loop: Header=BB291_676 Depth=1
	s_delay_alu instid0(SALU_CYCLE_1)
	s_or_b32 exec_lo, exec_lo, s16
.LBB291_1294:                           ;   in Loop: Header=BB291_676 Depth=1
	s_delay_alu instid0(SALU_CYCLE_1) | instskip(NEXT) | instid1(SALU_CYCLE_1)
	s_or_b32 exec_lo, exec_lo, s15
	s_mov_b32 s15, exec_lo
	v_cmpx_lt_u32_e32 0xffffff, v20
	s_cbranch_execz .LBB291_1302
; %bb.1295:                             ;   in Loop: Header=BB291_676 Depth=1
	v_lshrrev_b32_e32 v12, 24, v20
	v_bfrev_b32_e32 v22, 1
	s_mov_b32 s16, exec_lo
	s_delay_alu instid0(VALU_DEP_2)
	v_cmpx_ne_u32_e32 0x80, v12
	s_cbranch_execz .LBB291_1301
; %bb.1296:                             ;   in Loop: Header=BB291_676 Depth=1
	v_and_b32_e32 v25, 0x7f, v12
	v_mov_b32_e32 v22, 0x7c010000
	s_mov_b32 s17, exec_lo
	s_delay_alu instid0(VALU_DEP_2)
	v_cmpx_ne_u32_e32 0x7f, v25
	s_cbranch_execz .LBB291_1300
; %bb.1297:                             ;   in Loop: Header=BB291_676 Depth=1
	v_dual_lshrrev_b32 v24, 3, v25 :: v_dual_bitop2_b32 v22, 7, v12 bitop3:0x40
	s_mov_b32 s18, exec_lo
	v_cmpx_gt_u32_e32 8, v25
; %bb.1298:                             ;   in Loop: Header=BB291_676 Depth=1
	s_delay_alu instid0(VALU_DEP_2) | instskip(NEXT) | instid1(VALU_DEP_1)
	v_clz_i32_u32_e32 v22, v22
	v_min_u32_e32 v22, 32, v22
	s_delay_alu instid0(VALU_DEP_1) | instskip(NEXT) | instid1(VALU_DEP_1)
	v_subrev_nc_u32_e32 v24, 28, v22
	v_lshlrev_b64_e32 v[26:27], v24, v[12:13]
	v_sub_nc_u32_e32 v24, 29, v22
	s_delay_alu instid0(VALU_DEP_2)
	v_and_b32_e32 v22, 7, v26
; %bb.1299:                             ;   in Loop: Header=BB291_676 Depth=1
	s_or_b32 exec_lo, exec_lo, s18
	s_delay_alu instid0(VALU_DEP_1) | instskip(NEXT) | instid1(VALU_DEP_3)
	v_dual_lshlrev_b32 v12, 8, v12 :: v_dual_lshlrev_b32 v22, 23, v22
	v_lshl_add_u32 v24, v24, 10, 0x2000
	s_delay_alu instid0(VALU_DEP_1) | instskip(NEXT) | instid1(VALU_DEP_1)
	v_and_or_b32 v12, 0x8000, v12, v24
	v_lshl_or_b32 v22, v12, 16, v22
.LBB291_1300:                           ;   in Loop: Header=BB291_676 Depth=1
	s_or_b32 exec_lo, exec_lo, s17
.LBB291_1301:                           ;   in Loop: Header=BB291_676 Depth=1
	s_delay_alu instid0(SALU_CYCLE_1)
	s_or_b32 exec_lo, exec_lo, s16
.LBB291_1302:                           ;   in Loop: Header=BB291_676 Depth=1
	s_delay_alu instid0(SALU_CYCLE_1) | instskip(SKIP_4) | instid1(VALU_DEP_3)
	s_or_b32 exec_lo, exec_lo, s15
	v_and_b32_e32 v26, 0xff, v21
	v_dual_mov_b32 v12, v21 :: v_dual_mov_b32 v25, 0
	v_mov_b32_e32 v24, 0
	s_mov_b32 s15, exec_lo
	v_cmpx_ne_u16_e32 0, v26
	s_cbranch_execz .LBB291_1310
; %bb.1303:                             ;   in Loop: Header=BB291_676 Depth=1
	v_mov_b32_e32 v24, 0x8000
	s_mov_b32 s16, exec_lo
	v_cmpx_ne_u16_e32 0x80, v26
	s_cbranch_execz .LBB291_1309
; %bb.1304:                             ;   in Loop: Header=BB291_676 Depth=1
	v_and_b32_e32 v27, 0x7f, v21
	v_mov_b32_e32 v24, 0x7c01
	s_mov_b32 s17, exec_lo
	s_delay_alu instid0(VALU_DEP_2)
	v_cmpx_ne_u32_e32 0x7f, v27
	s_cbranch_execz .LBB291_1308
; %bb.1305:                             ;   in Loop: Header=BB291_676 Depth=1
	v_dual_lshrrev_b32 v26, 3, v27 :: v_dual_bitop2_b32 v24, 7, v21 bitop3:0x40
	s_mov_b32 s18, exec_lo
	v_cmpx_gt_u32_e32 8, v27
; %bb.1306:                             ;   in Loop: Header=BB291_676 Depth=1
	s_delay_alu instid0(VALU_DEP_2) | instskip(NEXT) | instid1(VALU_DEP_1)
	v_clz_i32_u32_e32 v24, v24
	v_min_u32_e32 v24, 32, v24
	s_delay_alu instid0(VALU_DEP_1) | instskip(NEXT) | instid1(VALU_DEP_1)
	v_subrev_nc_u32_e32 v26, 28, v24
	v_lshlrev_b64_e32 v[28:29], v26, v[12:13]
	v_sub_nc_u32_e32 v26, 29, v24
	s_delay_alu instid0(VALU_DEP_2)
	v_and_b32_e32 v24, 7, v28
; %bb.1307:                             ;   in Loop: Header=BB291_676 Depth=1
	s_or_b32 exec_lo, exec_lo, s18
	s_delay_alu instid0(VALU_DEP_1) | instskip(NEXT) | instid1(VALU_DEP_3)
	v_dual_lshlrev_b32 v27, 8, v21 :: v_dual_lshlrev_b32 v24, 7, v24
	v_lshl_add_u32 v26, v26, 10, 0x2000
	s_delay_alu instid0(VALU_DEP_2) | instskip(NEXT) | instid1(VALU_DEP_2)
	v_and_b32_e32 v27, 0x8000, v27
	v_and_b32_e32 v26, 0xfc00, v26
	s_delay_alu instid0(VALU_DEP_1)
	v_or3_b32 v24, v27, v26, v24
.LBB291_1308:                           ;   in Loop: Header=BB291_676 Depth=1
	s_or_b32 exec_lo, exec_lo, s17
.LBB291_1309:                           ;   in Loop: Header=BB291_676 Depth=1
	s_delay_alu instid0(SALU_CYCLE_1)
	s_or_b32 exec_lo, exec_lo, s16
.LBB291_1310:                           ;   in Loop: Header=BB291_676 Depth=1
	s_delay_alu instid0(SALU_CYCLE_1) | instskip(SKIP_3) | instid1(VALU_DEP_2)
	s_or_b32 exec_lo, exec_lo, s15
	v_lshrrev_b16 v12, 8, v12
	v_mov_b32_e32 v26, 0
	s_mov_b32 s15, exec_lo
	v_cmpx_ne_u16_e32 0, v12
	s_cbranch_execz .LBB291_1318
; %bb.1311:                             ;   in Loop: Header=BB291_676 Depth=1
	v_bfrev_b32_e32 v26, 1
	s_mov_b32 s16, exec_lo
	v_cmpx_ne_u16_e32 0x80, v12
	s_cbranch_execz .LBB291_1317
; %bb.1312:                             ;   in Loop: Header=BB291_676 Depth=1
	v_and_b32_e32 v27, 0xffff, v12
	v_mov_b32_e32 v26, 0x7c010000
	s_mov_b32 s17, exec_lo
	s_delay_alu instid0(VALU_DEP_2) | instskip(NEXT) | instid1(VALU_DEP_1)
	v_and_b32_e32 v29, 0x7f, v27
	v_cmpx_ne_u32_e32 0x7f, v29
	s_cbranch_execz .LBB291_1316
; %bb.1313:                             ;   in Loop: Header=BB291_676 Depth=1
	v_dual_lshrrev_b32 v28, 3, v29 :: v_dual_bitop2_b32 v26, 7, v27 bitop3:0x40
	s_mov_b32 s18, exec_lo
	v_cmpx_gt_u32_e32 8, v29
; %bb.1314:                             ;   in Loop: Header=BB291_676 Depth=1
	s_delay_alu instid0(VALU_DEP_2) | instskip(NEXT) | instid1(VALU_DEP_1)
	v_clz_i32_u32_e32 v26, v26
	v_min_u32_e32 v26, 32, v26
	s_delay_alu instid0(VALU_DEP_1) | instskip(NEXT) | instid1(VALU_DEP_1)
	v_subrev_nc_u32_e32 v28, 28, v26
	v_lshlrev_b64_e32 v[66:67], v28, v[12:13]
	v_sub_nc_u32_e32 v28, 29, v26
	s_delay_alu instid0(VALU_DEP_2)
	v_and_b32_e32 v26, 7, v66
; %bb.1315:                             ;   in Loop: Header=BB291_676 Depth=1
	s_or_b32 exec_lo, exec_lo, s18
	s_delay_alu instid0(VALU_DEP_1) | instskip(NEXT) | instid1(VALU_DEP_3)
	v_dual_lshlrev_b32 v12, 8, v27 :: v_dual_lshlrev_b32 v26, 23, v26
	v_lshl_add_u32 v27, v28, 10, 0x2000
	s_delay_alu instid0(VALU_DEP_1) | instskip(NEXT) | instid1(VALU_DEP_1)
	v_and_or_b32 v12, 0x8000, v12, v27
	v_lshl_or_b32 v26, v12, 16, v26
.LBB291_1316:                           ;   in Loop: Header=BB291_676 Depth=1
	s_or_b32 exec_lo, exec_lo, s17
.LBB291_1317:                           ;   in Loop: Header=BB291_676 Depth=1
	s_delay_alu instid0(SALU_CYCLE_1)
	s_or_b32 exec_lo, exec_lo, s16
.LBB291_1318:                           ;   in Loop: Header=BB291_676 Depth=1
	s_delay_alu instid0(SALU_CYCLE_1) | instskip(SKIP_2) | instid1(VALU_DEP_1)
	s_or_b32 exec_lo, exec_lo, s15
	v_lshrrev_b32_e32 v12, 16, v21
	s_mov_b32 s15, exec_lo
	v_and_b32_e32 v27, 0xff, v12
	s_delay_alu instid0(VALU_DEP_1)
	v_cmpx_ne_u16_e32 0, v27
	s_cbranch_execz .LBB291_1326
; %bb.1319:                             ;   in Loop: Header=BB291_676 Depth=1
	v_mov_b32_e32 v25, 0x8000
	s_mov_b32 s16, exec_lo
	v_cmpx_ne_u16_e32 0x80, v27
	s_cbranch_execz .LBB291_1325
; %bb.1320:                             ;   in Loop: Header=BB291_676 Depth=1
	v_bfe_u32 v28, v21, 16, 7
	v_mov_b32_e32 v25, 0x7c01
	s_mov_b32 s17, exec_lo
	s_delay_alu instid0(VALU_DEP_2)
	v_cmpx_ne_u32_e32 0x7f, v28
	s_cbranch_execz .LBB291_1324
; %bb.1321:                             ;   in Loop: Header=BB291_676 Depth=1
	v_and_b32_e32 v25, 7, v12
	v_lshrrev_b32_e32 v27, 3, v28
	s_mov_b32 s18, exec_lo
	v_cmpx_gt_u32_e32 8, v28
; %bb.1322:                             ;   in Loop: Header=BB291_676 Depth=1
	s_delay_alu instid0(VALU_DEP_3) | instskip(NEXT) | instid1(VALU_DEP_1)
	v_clz_i32_u32_e32 v25, v25
	v_min_u32_e32 v25, 32, v25
	s_delay_alu instid0(VALU_DEP_1) | instskip(NEXT) | instid1(VALU_DEP_1)
	v_subrev_nc_u32_e32 v27, 28, v25
	v_lshlrev_b64_e32 v[28:29], v27, v[12:13]
	s_delay_alu instid0(VALU_DEP_1)
	v_dual_sub_nc_u32 v27, 29, v25 :: v_dual_bitop2_b32 v25, 7, v28 bitop3:0x40
; %bb.1323:                             ;   in Loop: Header=BB291_676 Depth=1
	s_or_b32 exec_lo, exec_lo, s18
	s_delay_alu instid0(VALU_DEP_1) | instskip(NEXT) | instid1(VALU_DEP_2)
	v_dual_lshlrev_b32 v12, 8, v12 :: v_dual_lshlrev_b32 v25, 7, v25
	v_lshl_add_u32 v27, v27, 10, 0x2000
	s_delay_alu instid0(VALU_DEP_2) | instskip(NEXT) | instid1(VALU_DEP_2)
	v_and_b32_e32 v12, 0x8000, v12
	v_and_b32_e32 v27, 0xfc00, v27
	s_delay_alu instid0(VALU_DEP_1)
	v_or3_b32 v25, v12, v27, v25
.LBB291_1324:                           ;   in Loop: Header=BB291_676 Depth=1
	s_or_b32 exec_lo, exec_lo, s17
.LBB291_1325:                           ;   in Loop: Header=BB291_676 Depth=1
	s_delay_alu instid0(SALU_CYCLE_1)
	s_or_b32 exec_lo, exec_lo, s16
.LBB291_1326:                           ;   in Loop: Header=BB291_676 Depth=1
	s_delay_alu instid0(SALU_CYCLE_1)
	s_or_b32 exec_lo, exec_lo, s15
	v_cmp_lt_u64_e64 s0, s[2:3], v[20:21]
	v_mov_b32_e32 v20, 0
	s_and_saveexec_b32 s15, s0
	s_cbranch_execz .LBB291_1334
; %bb.1327:                             ;   in Loop: Header=BB291_676 Depth=1
	v_lshrrev_b32_e32 v12, 24, v21
	v_bfrev_b32_e32 v20, 1
	s_mov_b32 s16, exec_lo
	s_delay_alu instid0(VALU_DEP_2)
	v_cmpx_ne_u32_e32 0x80, v12
	s_cbranch_execz .LBB291_1333
; %bb.1328:                             ;   in Loop: Header=BB291_676 Depth=1
	v_and_b32_e32 v27, 0x7f, v12
	v_mov_b32_e32 v20, 0x7c010000
	s_mov_b32 s17, exec_lo
	s_delay_alu instid0(VALU_DEP_2)
	v_cmpx_ne_u32_e32 0x7f, v27
	s_cbranch_execz .LBB291_1332
; %bb.1329:                             ;   in Loop: Header=BB291_676 Depth=1
	v_dual_lshrrev_b32 v21, 3, v27 :: v_dual_bitop2_b32 v20, 7, v12 bitop3:0x40
	s_mov_b32 s18, exec_lo
	v_cmpx_gt_u32_e32 8, v27
; %bb.1330:                             ;   in Loop: Header=BB291_676 Depth=1
	s_delay_alu instid0(VALU_DEP_2) | instskip(NEXT) | instid1(VALU_DEP_1)
	v_clz_i32_u32_e32 v20, v20
	v_min_u32_e32 v27, 32, v20
	s_delay_alu instid0(VALU_DEP_1) | instskip(NEXT) | instid1(VALU_DEP_1)
	v_subrev_nc_u32_e32 v20, 28, v27
	v_lshlrev_b64_e32 v[20:21], v20, v[12:13]
	s_delay_alu instid0(VALU_DEP_1)
	v_dual_sub_nc_u32 v21, 29, v27 :: v_dual_bitop2_b32 v20, 7, v20 bitop3:0x40
; %bb.1331:                             ;   in Loop: Header=BB291_676 Depth=1
	s_or_b32 exec_lo, exec_lo, s18
	v_lshlrev_b32_e32 v12, 8, v12
	s_delay_alu instid0(VALU_DEP_2) | instskip(NEXT) | instid1(VALU_DEP_3)
	v_lshl_add_u32 v21, v21, 10, 0x2000
	v_lshlrev_b32_e32 v20, 23, v20
	s_delay_alu instid0(VALU_DEP_2) | instskip(NEXT) | instid1(VALU_DEP_1)
	v_and_or_b32 v12, 0x8000, v12, v21
	v_lshl_or_b32 v20, v12, 16, v20
.LBB291_1332:                           ;   in Loop: Header=BB291_676 Depth=1
	s_or_b32 exec_lo, exec_lo, s17
.LBB291_1333:                           ;   in Loop: Header=BB291_676 Depth=1
	s_delay_alu instid0(SALU_CYCLE_1)
	s_or_b32 exec_lo, exec_lo, s16
.LBB291_1334:                           ;   in Loop: Header=BB291_676 Depth=1
	s_delay_alu instid0(SALU_CYCLE_1) | instskip(SKIP_3) | instid1(VALU_DEP_3)
	s_or_b32 exec_lo, exec_lo, s15
	v_dual_lshrrev_b32 v12, 16, v1 :: v_dual_lshrrev_b32 v21, 16, v22
	v_or_b32_e32 v1, v1, v19
	v_dual_lshrrev_b32 v27, 16, v20 :: v_dual_bitop2_b32 v19, v22, v23 bitop3:0x54
	v_cvt_f32_f16_e32 v23, v12
	s_delay_alu instid0(VALU_DEP_4) | instskip(SKIP_1) | instid1(VALU_DEP_4)
	v_cvt_f32_f16_e32 v22, v21
	v_dual_lshrrev_b32 v25, 16, v26 :: v_dual_bitop2_b32 v12, v20, v25 bitop3:0x54
	v_cvt_f32_f16_e32 v20, v19
	v_cvt_f32_f16_e32 v21, v1
	s_wait_loadcnt 0x0
	v_pk_mul_f32 v[22:23], v[18:19], v[22:23] op_sel_hi:[0,1]
	v_cvt_f32_f16_e32 v25, v25
	s_delay_alu instid0(VALU_DEP_2) | instskip(SKIP_3) | instid1(VALU_DEP_2)
	v_cvt_pk_f16_f32 v1, v22, v23
	v_or_b32_e32 v19, v26, v24
	v_cvt_f32_f16_e32 v24, v27
	v_cvt_f32_f16_e32 v26, v12
	v_pk_mul_f32 v[22:23], v[18:19], v[24:25] op_sel_hi:[0,1]
	v_lshlrev_b32_e32 v24, 16, v1
	v_cvt_f32_f16_e32 v27, v19
	v_pk_mul_f32 v[20:21], v[18:19], v[20:21] op_sel_hi:[0,1]
	v_and_b32_e32 v25, 0xffff0000, v1
	s_delay_alu instid0(VALU_DEP_3) | instskip(NEXT) | instid1(VALU_DEP_3)
	v_pk_mul_f32 v[18:19], v[18:19], v[26:27] op_sel_hi:[0,1]
	v_cvt_pk_f16_f32 v12, v20, v21
	v_cvt_pk_f16_f32 v20, v22, v23
	s_delay_alu instid0(VALU_DEP_3) | instskip(NEXT) | instid1(VALU_DEP_3)
	v_cvt_pk_f16_f32 v1, v18, v19
	v_lshrrev_b32_e32 v27, 16, v12
	v_and_b32_e32 v26, 0xffff, v12
	s_delay_alu instid0(VALU_DEP_4) | instskip(NEXT) | instid1(VALU_DEP_4)
	v_and_b32_e32 v21, 0xffff0000, v20
	v_dual_lshlrev_b32 v20, 16, v20 :: v_dual_lshrrev_b32 v23, 16, v1
	v_and_b32_e32 v22, 0xffff, v1
	v_or_b32_e32 v19, v25, v27
	v_or_b32_e32 v18, v24, v26
	s_delay_alu instid0(VALU_DEP_4) | instskip(NEXT) | instid1(VALU_DEP_4)
	v_or_b32_e32 v1, v21, v23
	v_or_b32_e32 v12, v20, v22
	s_and_saveexec_b32 s0, vcc_lo
	s_cbranch_execz .LBB291_675
; %bb.1335:                             ;   in Loop: Header=BB291_676 Depth=1
	v_cmp_gt_i32_e32 vcc_lo, s14, v33
	v_cndmask_b32_e32 v1, 0, v27, vcc_lo
	v_cmp_gt_i32_e32 vcc_lo, s25, v42
	v_cndmask_b32_e32 v12, 0, v26, vcc_lo
	;; [unrolled: 2-line block ×4, first 2 shown]
	v_cmp_gt_i32_e32 vcc_lo, s14, v39
	s_delay_alu instid0(VALU_DEP_4) | instskip(NEXT) | instid1(VALU_DEP_3)
	v_or_b32_e32 v19, v18, v1
	v_dual_cndmask_b32 v23, 0, v23, vcc_lo :: v_dual_bitop2_b32 v18, v24, v12 bitop3:0x54
	v_cmp_gt_i32_e32 vcc_lo, s25, v38
	v_cndmask_b32_e32 v22, 0, v22, vcc_lo
	v_cmp_gt_i32_e32 vcc_lo, s14, v37
	v_cndmask_b32_e32 v21, 0, v21, vcc_lo
	v_cmp_gt_i32_e32 vcc_lo, s25, v36
	s_delay_alu instid0(VALU_DEP_2) | instskip(NEXT) | instid1(VALU_DEP_1)
	v_dual_cndmask_b32 v20, 0, v20, vcc_lo :: v_dual_bitop2_b32 v1, v21, v23 bitop3:0x54
	v_or_b32_e32 v12, v20, v22
	s_branch .LBB291_675
.LBB291_1336:
	s_or_b32 exec_lo, exec_lo, s11
.LBB291_1337:
	s_delay_alu instid0(SALU_CYCLE_1)
	s_or_b32 exec_lo, exec_lo, s1
	ds_bpermute_b32 v12, v31, v10
	ds_bpermute_b32 v13, v31, v11
	;; [unrolled: 1-line block ×10, first 2 shown]
	v_and_b32_e32 v1, 28, v99
	v_and_b32_e32 v26, 0x3c3, v0
	s_mov_b32 s0, exec_lo
	s_wait_dscnt 0x0
	s_barrier_signal -1
	s_barrier_wait -1
	v_pk_add_f32 v[22:23], v[10:11], v[12:13]
	v_pk_add_f32 v[14:15], v[8:9], v[14:15]
	;; [unrolled: 1-line block ×4, first 2 shown]
	ds_bpermute_b32 v4, v30, v14
	v_pk_add_f32 v[10:11], v[2:3], v[20:21]
	ds_bpermute_b32 v2, v30, v22
	ds_bpermute_b32 v3, v30, v23
	ds_bpermute_b32 v5, v30, v15
	ds_bpermute_b32 v20, v30, v16
	ds_bpermute_b32 v21, v30, v17
	ds_bpermute_b32 v24, v30, v18
	ds_bpermute_b32 v25, v30, v19
	ds_bpermute_b32 v12, v30, v10
	ds_bpermute_b32 v13, v30, v11
	s_wait_dscnt 0x7
	v_pk_add_f32 v[8:9], v[22:23], v[2:3]
	s_wait_dscnt 0x6
	v_pk_add_f32 v[6:7], v[14:15], v[4:5]
	;; [unrolled: 2-line block ×4, first 2 shown]
	v_cmpx_ne_u32_e32 64, v26
	s_xor_b32 s0, exec_lo, s0
	s_delay_alu instid0(SALU_CYCLE_1)
	s_or_saveexec_b32 s0, s0
	s_wait_dscnt 0x0
	v_pk_add_f32 v[10:11], v[10:11], v[12:13]
	v_lshrrev_b32_e32 v13, 2, v99
	v_add_nc_u32_e32 v12, 0xc0, v1
	v_mul_u32_u24_e32 v1, 0x140, v98
	s_xor_b32 exec_lo, exec_lo, s0
	s_cbranch_execz .LBB291_1339
; %bb.1338:
	s_delay_alu instid0(VALU_DEP_1) | instskip(NEXT) | instid1(VALU_DEP_1)
	v_add_nc_u32_e32 v14, v12, v1
	v_add_nc_u32_e32 v15, 0xfffffd80, v14
	;; [unrolled: 1-line block ×11, first 2 shown]
	ds_store_b32 v15, v8
	ds_store_b32 v16, v9
	;; [unrolled: 1-line block ×10, first 2 shown]
.LBB291_1339:
	s_or_b32 exec_lo, exec_lo, s0
	v_lshlrev_b32_e32 v13, 2, v13
	s_mov_b32 s1, exec_lo
	v_cmp_eq_u32_e32 vcc_lo, 0, v32
	s_wait_dscnt 0x0
	s_barrier_signal -1
	v_add3_u32 v1, 0xc0, v1, v13
	s_barrier_wait -1
	v_cmpx_gt_u32_e32 64, v0
	s_cbranch_execz .LBB291_1352
; %bb.1340:
	s_and_saveexec_b32 s0, vcc_lo
	s_cbranch_execnz .LBB291_1370
; %bb.1341:
	s_or_b32 exec_lo, exec_lo, s0
	s_and_saveexec_b32 s0, vcc_lo
	s_cbranch_execnz .LBB291_1371
.LBB291_1342:
	s_or_b32 exec_lo, exec_lo, s0
	s_and_saveexec_b32 s0, vcc_lo
	s_cbranch_execnz .LBB291_1372
.LBB291_1343:
	s_or_b32 exec_lo, exec_lo, s0
	s_and_saveexec_b32 s0, vcc_lo
	s_cbranch_execnz .LBB291_1373
.LBB291_1344:
	s_or_b32 exec_lo, exec_lo, s0
	s_and_saveexec_b32 s0, vcc_lo
	s_cbranch_execnz .LBB291_1374
.LBB291_1345:
	s_or_b32 exec_lo, exec_lo, s0
	s_and_saveexec_b32 s0, vcc_lo
	s_cbranch_execnz .LBB291_1375
.LBB291_1346:
	s_or_b32 exec_lo, exec_lo, s0
	s_and_saveexec_b32 s0, vcc_lo
	s_cbranch_execnz .LBB291_1376
.LBB291_1347:
	s_or_b32 exec_lo, exec_lo, s0
	s_and_saveexec_b32 s0, vcc_lo
	s_cbranch_execnz .LBB291_1377
.LBB291_1348:
	s_or_b32 exec_lo, exec_lo, s0
	s_and_saveexec_b32 s0, vcc_lo
	s_cbranch_execnz .LBB291_1378
.LBB291_1349:
	s_or_b32 exec_lo, exec_lo, s0
	s_and_saveexec_b32 s0, vcc_lo
	s_cbranch_execz .LBB291_1351
.LBB291_1350:
	ds_load_b32 v13, v1 offset:288
	s_wait_dscnt 0x0
	v_add_f32_e32 v11, v11, v13
.LBB291_1351:
	s_or_b32 exec_lo, exec_lo, s0
.LBB291_1352:
	s_delay_alu instid0(SALU_CYCLE_1) | instskip(SKIP_4) | instid1(VALU_DEP_1)
	s_or_b32 exec_lo, exec_lo, s1
	v_and_b32_e32 v13, 0x3e3, v0
	s_mov_b32 s1, exec_lo
	s_barrier_signal -1
	s_barrier_wait -1
	v_cmpx_eq_u32_e32 32, v13
	s_cbranch_execz .LBB291_1354
; %bb.1353:
	ds_store_2addr_b32 v12, v8, v9 offset1:8
	ds_store_2addr_b32 v12, v6, v7 offset0:16 offset1:24
	ds_store_2addr_b32 v12, v4, v5 offset0:32 offset1:40
	;; [unrolled: 1-line block ×4, first 2 shown]
.LBB291_1354:
	s_or_b32 exec_lo, exec_lo, s1
	s_delay_alu instid0(SALU_CYCLE_1)
	s_mov_b32 s1, exec_lo
	s_wait_dscnt 0x0
	s_barrier_signal -1
	s_barrier_wait -1
	v_cmpx_gt_u32_e32 32, v0
	s_cbranch_execz .LBB291_1367
; %bb.1355:
	s_and_saveexec_b32 s0, vcc_lo
	s_cbranch_execnz .LBB291_1379
; %bb.1356:
	s_or_b32 exec_lo, exec_lo, s0
	s_and_saveexec_b32 s0, vcc_lo
	s_cbranch_execnz .LBB291_1380
.LBB291_1357:
	s_or_b32 exec_lo, exec_lo, s0
	s_and_saveexec_b32 s0, vcc_lo
	s_cbranch_execnz .LBB291_1381
.LBB291_1358:
	s_or_b32 exec_lo, exec_lo, s0
	s_and_saveexec_b32 s0, vcc_lo
	s_cbranch_execnz .LBB291_1382
.LBB291_1359:
	s_or_b32 exec_lo, exec_lo, s0
	s_and_saveexec_b32 s0, vcc_lo
	s_cbranch_execnz .LBB291_1383
.LBB291_1360:
	s_or_b32 exec_lo, exec_lo, s0
	s_and_saveexec_b32 s0, vcc_lo
	s_cbranch_execnz .LBB291_1384
.LBB291_1361:
	s_or_b32 exec_lo, exec_lo, s0
	s_and_saveexec_b32 s0, vcc_lo
	s_cbranch_execnz .LBB291_1385
.LBB291_1362:
	s_or_b32 exec_lo, exec_lo, s0
	s_and_saveexec_b32 s0, vcc_lo
	s_cbranch_execnz .LBB291_1386
.LBB291_1363:
	s_or_b32 exec_lo, exec_lo, s0
	s_and_saveexec_b32 s0, vcc_lo
	s_cbranch_execnz .LBB291_1387
.LBB291_1364:
	s_or_b32 exec_lo, exec_lo, s0
	s_and_saveexec_b32 s0, vcc_lo
	s_cbranch_execz .LBB291_1366
.LBB291_1365:
	ds_load_b32 v1, v1 offset:288
	s_wait_dscnt 0x0
	v_add_f32_e32 v11, v11, v1
.LBB291_1366:
	s_or_b32 exec_lo, exec_lo, s0
.LBB291_1367:
	s_delay_alu instid0(SALU_CYCLE_1)
	s_or_b32 exec_lo, exec_lo, s1
	s_mov_b32 s1, 0
	s_barrier_signal -1
	s_barrier_wait -1
	s_mov_b32 s0, exec_lo
	v_cmpx_eq_u32_e32 0, v13
	s_cbranch_execz .LBB291_1369
; %bb.1368:
	s_mul_i32 s0, s24, s8
	s_mul_i32 s2, s8, s12
	;; [unrolled: 1-line block ×3, first 2 shown]
	s_lshr_b32 s8, ttmp7, 16
	s_mul_i32 s6, s0, 0x50
	s_bfe_u32 s0, ttmp6, 0x40014
	s_ashr_i32 s7, s6, 31
	s_add_co_i32 s0, s0, 1
	s_lshl_b64 s[6:7], s[6:7], 1
	s_ashr_i32 s3, s2, 31
	s_wait_kmcnt 0x0
	s_add_nc_u64 s[4:5], s[4:5], s[6:7]
	s_mul_i32 s0, s8, s0
	s_bfe_u32 s6, ttmp6, 0x40008
	s_lshl_b64 s[2:3], s[2:3], 1
	s_add_co_i32 s6, s6, s0
	s_cmp_eq_u32 s22, 0
	v_lshrrev_b32_e32 v0, 1, v0
	s_cselect_b32 s0, s8, s6
	s_add_nc_u64 s[2:3], s[4:5], s[2:3]
	s_mulk_i32 s0, 0xa0
	;;#ASMSTART
	v_cvt_f16_f32 v1, v8;

	;;#ASMEND
	s_add_nc_u64 s[0:1], s[2:3], s[0:1]
	global_store_b16 v0, v1, s[0:1]
	s_wait_xcnt 0x0
	;;#ASMSTART
	v_cvt_f16_f32 v1, v9;

	;;#ASMEND
	global_store_b16 v0, v1, s[0:1] offset:16
	s_wait_xcnt 0x0
	;;#ASMSTART
	v_cvt_f16_f32 v1, v6;

	;;#ASMEND
	global_store_b16 v0, v1, s[0:1] offset:32
	;; [unrolled: 6-line block ×9, first 2 shown]
.LBB291_1369:
	s_sendmsg sendmsg(MSG_DEALLOC_VGPRS)
	s_endpgm
.LBB291_1370:
	ds_load_b32 v13, v1
	s_wait_dscnt 0x0
	v_add_f32_e32 v8, v8, v13
	s_or_b32 exec_lo, exec_lo, s0
	s_and_saveexec_b32 s0, vcc_lo
	s_cbranch_execz .LBB291_1342
.LBB291_1371:
	ds_load_b32 v13, v1 offset:32
	s_wait_dscnt 0x0
	v_add_f32_e32 v9, v9, v13
	s_or_b32 exec_lo, exec_lo, s0
	s_and_saveexec_b32 s0, vcc_lo
	s_cbranch_execz .LBB291_1343
.LBB291_1372:
	ds_load_b32 v13, v1 offset:64
	s_wait_dscnt 0x0
	v_add_f32_e32 v6, v6, v13
	s_or_b32 exec_lo, exec_lo, s0
	s_and_saveexec_b32 s0, vcc_lo
	s_cbranch_execz .LBB291_1344
.LBB291_1373:
	ds_load_b32 v13, v1 offset:96
	s_wait_dscnt 0x0
	v_add_f32_e32 v7, v7, v13
	s_or_b32 exec_lo, exec_lo, s0
	s_and_saveexec_b32 s0, vcc_lo
	s_cbranch_execz .LBB291_1345
.LBB291_1374:
	ds_load_b32 v13, v1 offset:128
	s_wait_dscnt 0x0
	v_add_f32_e32 v4, v4, v13
	s_or_b32 exec_lo, exec_lo, s0
	s_and_saveexec_b32 s0, vcc_lo
	s_cbranch_execz .LBB291_1346
.LBB291_1375:
	ds_load_b32 v13, v1 offset:160
	s_wait_dscnt 0x0
	v_add_f32_e32 v5, v5, v13
	s_or_b32 exec_lo, exec_lo, s0
	s_and_saveexec_b32 s0, vcc_lo
	s_cbranch_execz .LBB291_1347
.LBB291_1376:
	ds_load_b32 v13, v1 offset:192
	s_wait_dscnt 0x0
	v_add_f32_e32 v2, v2, v13
	s_or_b32 exec_lo, exec_lo, s0
	s_and_saveexec_b32 s0, vcc_lo
	s_cbranch_execz .LBB291_1348
.LBB291_1377:
	ds_load_b32 v13, v1 offset:224
	s_wait_dscnt 0x0
	v_add_f32_e32 v3, v3, v13
	s_or_b32 exec_lo, exec_lo, s0
	s_and_saveexec_b32 s0, vcc_lo
	s_cbranch_execz .LBB291_1349
.LBB291_1378:
	ds_load_b32 v13, v1 offset:256
	s_wait_dscnt 0x0
	v_add_f32_e32 v10, v10, v13
	s_or_b32 exec_lo, exec_lo, s0
	s_and_saveexec_b32 s0, vcc_lo
	s_cbranch_execnz .LBB291_1350
	s_branch .LBB291_1351
.LBB291_1379:
	ds_load_b32 v12, v1
	s_wait_dscnt 0x0
	v_add_f32_e32 v8, v8, v12
	s_or_b32 exec_lo, exec_lo, s0
	s_and_saveexec_b32 s0, vcc_lo
	s_cbranch_execz .LBB291_1357
.LBB291_1380:
	ds_load_b32 v12, v1 offset:32
	s_wait_dscnt 0x0
	v_add_f32_e32 v9, v9, v12
	s_or_b32 exec_lo, exec_lo, s0
	s_and_saveexec_b32 s0, vcc_lo
	s_cbranch_execz .LBB291_1358
.LBB291_1381:
	ds_load_b32 v12, v1 offset:64
	s_wait_dscnt 0x0
	v_add_f32_e32 v6, v6, v12
	s_or_b32 exec_lo, exec_lo, s0
	s_and_saveexec_b32 s0, vcc_lo
	s_cbranch_execz .LBB291_1359
.LBB291_1382:
	ds_load_b32 v12, v1 offset:96
	s_wait_dscnt 0x0
	v_add_f32_e32 v7, v7, v12
	s_or_b32 exec_lo, exec_lo, s0
	s_and_saveexec_b32 s0, vcc_lo
	s_cbranch_execz .LBB291_1360
.LBB291_1383:
	ds_load_b32 v12, v1 offset:128
	s_wait_dscnt 0x0
	v_add_f32_e32 v4, v4, v12
	s_or_b32 exec_lo, exec_lo, s0
	s_and_saveexec_b32 s0, vcc_lo
	s_cbranch_execz .LBB291_1361
.LBB291_1384:
	ds_load_b32 v12, v1 offset:160
	s_wait_dscnt 0x0
	v_add_f32_e32 v5, v5, v12
	s_or_b32 exec_lo, exec_lo, s0
	s_and_saveexec_b32 s0, vcc_lo
	s_cbranch_execz .LBB291_1362
.LBB291_1385:
	ds_load_b32 v12, v1 offset:192
	s_wait_dscnt 0x0
	v_add_f32_e32 v2, v2, v12
	s_or_b32 exec_lo, exec_lo, s0
	s_and_saveexec_b32 s0, vcc_lo
	s_cbranch_execz .LBB291_1363
.LBB291_1386:
	ds_load_b32 v12, v1 offset:224
	s_wait_dscnt 0x0
	v_add_f32_e32 v3, v3, v12
	s_or_b32 exec_lo, exec_lo, s0
	s_and_saveexec_b32 s0, vcc_lo
	s_cbranch_execz .LBB291_1364
.LBB291_1387:
	ds_load_b32 v12, v1 offset:256
	s_wait_dscnt 0x0
	v_add_f32_e32 v10, v10, v12
	s_or_b32 exec_lo, exec_lo, s0
	s_and_saveexec_b32 s0, vcc_lo
	s_cbranch_execnz .LBB291_1365
	s_branch .LBB291_1366
	.section	.rodata,"a",@progbits
	.p2align	6, 0x0
	.amdhsa_kernel _ZN4vllm25paged_attention_v1_kernelIthLi80ELi32ELi128ELNS_18Fp8KVCacheDataTypeE1ELb0EEEvPT_PKS2_PKT0_S8_ifPKiSA_iPKfiiiSC_SC_iiiii
		.amdhsa_group_segment_fixed_size 192
		.amdhsa_private_segment_fixed_size 0
		.amdhsa_kernarg_size 384
		.amdhsa_user_sgpr_count 2
		.amdhsa_user_sgpr_dispatch_ptr 0
		.amdhsa_user_sgpr_queue_ptr 0
		.amdhsa_user_sgpr_kernarg_segment_ptr 1
		.amdhsa_user_sgpr_dispatch_id 0
		.amdhsa_user_sgpr_kernarg_preload_length 0
		.amdhsa_user_sgpr_kernarg_preload_offset 0
		.amdhsa_user_sgpr_private_segment_size 0
		.amdhsa_wavefront_size32 1
		.amdhsa_uses_dynamic_stack 0
		.amdhsa_enable_private_segment 0
		.amdhsa_system_sgpr_workgroup_id_x 1
		.amdhsa_system_sgpr_workgroup_id_y 1
		.amdhsa_system_sgpr_workgroup_id_z 1
		.amdhsa_system_sgpr_workgroup_info 0
		.amdhsa_system_vgpr_workitem_id 0
		.amdhsa_next_free_vgpr 128
		.amdhsa_next_free_sgpr 34
		.amdhsa_named_barrier_count 0
		.amdhsa_reserve_vcc 1
		.amdhsa_float_round_mode_32 0
		.amdhsa_float_round_mode_16_64 0
		.amdhsa_float_denorm_mode_32 3
		.amdhsa_float_denorm_mode_16_64 3
		.amdhsa_fp16_overflow 0
		.amdhsa_memory_ordered 1
		.amdhsa_forward_progress 1
		.amdhsa_inst_pref_size 255
		.amdhsa_round_robin_scheduling 0
		.amdhsa_exception_fp_ieee_invalid_op 0
		.amdhsa_exception_fp_denorm_src 0
		.amdhsa_exception_fp_ieee_div_zero 0
		.amdhsa_exception_fp_ieee_overflow 0
		.amdhsa_exception_fp_ieee_underflow 0
		.amdhsa_exception_fp_ieee_inexact 0
		.amdhsa_exception_int_div_zero 0
	.end_amdhsa_kernel
	.section	.text._ZN4vllm25paged_attention_v1_kernelIthLi80ELi32ELi128ELNS_18Fp8KVCacheDataTypeE1ELb0EEEvPT_PKS2_PKT0_S8_ifPKiSA_iPKfiiiSC_SC_iiiii,"axG",@progbits,_ZN4vllm25paged_attention_v1_kernelIthLi80ELi32ELi128ELNS_18Fp8KVCacheDataTypeE1ELb0EEEvPT_PKS2_PKT0_S8_ifPKiSA_iPKfiiiSC_SC_iiiii,comdat
.Lfunc_end291:
	.size	_ZN4vllm25paged_attention_v1_kernelIthLi80ELi32ELi128ELNS_18Fp8KVCacheDataTypeE1ELb0EEEvPT_PKS2_PKT0_S8_ifPKiSA_iPKfiiiSC_SC_iiiii, .Lfunc_end291-_ZN4vllm25paged_attention_v1_kernelIthLi80ELi32ELi128ELNS_18Fp8KVCacheDataTypeE1ELb0EEEvPT_PKS2_PKT0_S8_ifPKiSA_iPKfiiiSC_SC_iiiii
                                        ; -- End function
	.set _ZN4vllm25paged_attention_v1_kernelIthLi80ELi32ELi128ELNS_18Fp8KVCacheDataTypeE1ELb0EEEvPT_PKS2_PKT0_S8_ifPKiSA_iPKfiiiSC_SC_iiiii.num_vgpr, 128
	.set _ZN4vllm25paged_attention_v1_kernelIthLi80ELi32ELi128ELNS_18Fp8KVCacheDataTypeE1ELb0EEEvPT_PKS2_PKT0_S8_ifPKiSA_iPKfiiiSC_SC_iiiii.num_agpr, 0
	.set _ZN4vllm25paged_attention_v1_kernelIthLi80ELi32ELi128ELNS_18Fp8KVCacheDataTypeE1ELb0EEEvPT_PKS2_PKT0_S8_ifPKiSA_iPKfiiiSC_SC_iiiii.numbered_sgpr, 34
	.set _ZN4vllm25paged_attention_v1_kernelIthLi80ELi32ELi128ELNS_18Fp8KVCacheDataTypeE1ELb0EEEvPT_PKS2_PKT0_S8_ifPKiSA_iPKfiiiSC_SC_iiiii.num_named_barrier, 0
	.set _ZN4vllm25paged_attention_v1_kernelIthLi80ELi32ELi128ELNS_18Fp8KVCacheDataTypeE1ELb0EEEvPT_PKS2_PKT0_S8_ifPKiSA_iPKfiiiSC_SC_iiiii.private_seg_size, 0
	.set _ZN4vllm25paged_attention_v1_kernelIthLi80ELi32ELi128ELNS_18Fp8KVCacheDataTypeE1ELb0EEEvPT_PKS2_PKT0_S8_ifPKiSA_iPKfiiiSC_SC_iiiii.uses_vcc, 1
	.set _ZN4vllm25paged_attention_v1_kernelIthLi80ELi32ELi128ELNS_18Fp8KVCacheDataTypeE1ELb0EEEvPT_PKS2_PKT0_S8_ifPKiSA_iPKfiiiSC_SC_iiiii.uses_flat_scratch, 0
	.set _ZN4vllm25paged_attention_v1_kernelIthLi80ELi32ELi128ELNS_18Fp8KVCacheDataTypeE1ELb0EEEvPT_PKS2_PKT0_S8_ifPKiSA_iPKfiiiSC_SC_iiiii.has_dyn_sized_stack, 0
	.set _ZN4vllm25paged_attention_v1_kernelIthLi80ELi32ELi128ELNS_18Fp8KVCacheDataTypeE1ELb0EEEvPT_PKS2_PKT0_S8_ifPKiSA_iPKfiiiSC_SC_iiiii.has_recursion, 0
	.set _ZN4vllm25paged_attention_v1_kernelIthLi80ELi32ELi128ELNS_18Fp8KVCacheDataTypeE1ELb0EEEvPT_PKS2_PKT0_S8_ifPKiSA_iPKfiiiSC_SC_iiiii.has_indirect_call, 0
	.section	.AMDGPU.csdata,"",@progbits
; Kernel info:
; codeLenInByte = 48220
; TotalNumSgprs: 36
; NumVgprs: 128
; ScratchSize: 0
; MemoryBound: 0
; FloatMode: 240
; IeeeMode: 1
; LDSByteSize: 192 bytes/workgroup (compile time only)
; SGPRBlocks: 0
; VGPRBlocks: 7
; NumSGPRsForWavesPerEU: 36
; NumVGPRsForWavesPerEU: 128
; NamedBarCnt: 0
; Occupancy: 8
; WaveLimiterHint : 1
; COMPUTE_PGM_RSRC2:SCRATCH_EN: 0
; COMPUTE_PGM_RSRC2:USER_SGPR: 2
; COMPUTE_PGM_RSRC2:TRAP_HANDLER: 0
; COMPUTE_PGM_RSRC2:TGID_X_EN: 1
; COMPUTE_PGM_RSRC2:TGID_Y_EN: 1
; COMPUTE_PGM_RSRC2:TGID_Z_EN: 1
; COMPUTE_PGM_RSRC2:TIDIG_COMP_CNT: 0
	.text
	.p2align	2                               ; -- Begin function _ZN4vllm22paged_attention_kernelIthLi96ELi32ELi128ELNS_18Fp8KVCacheDataTypeE1ELb0ELi0EEEvPfS2_PT_PKS3_PKT0_S9_ifPKiSB_iPKfiiiSD_SD_iiiii
	.type	_ZN4vllm22paged_attention_kernelIthLi96ELi32ELi128ELNS_18Fp8KVCacheDataTypeE1ELb0ELi0EEEvPfS2_PT_PKS3_PKT0_S9_ifPKiSB_iPKfiiiSD_SD_iiiii,@function
_ZN4vllm22paged_attention_kernelIthLi96ELi32ELi128ELNS_18Fp8KVCacheDataTypeE1ELb0ELi0EEEvPfS2_PT_PKS3_PKT0_S9_ifPKiSB_iPKfiiiSD_SD_iiiii: ; @_ZN4vllm22paged_attention_kernelIthLi96ELi32ELi128ELNS_18Fp8KVCacheDataTypeE1ELb0ELi0EEEvPfS2_PT_PKS3_PKT0_S9_ifPKiSB_iPKfiiiSD_SD_iiiii
; %bb.0:
	s_wait_loadcnt_dscnt 0x0
	s_wait_kmcnt 0x0
	s_clause 0x2f
	scratch_store_b32 off, v40, s32 offset:188
	; meta instruction
	scratch_store_b32 off, v41, s32 offset:184
	; meta instruction
	;; [unrolled: 2-line block ×47, first 2 shown]
	scratch_store_b32 off, v127, s32
	s_bfe_u32 s0, ttmp6, 0x4000c
	s_bfe_u32 s2, ttmp6, 0x40010
	s_add_co_i32 s0, s0, 1
	s_and_b32 s1, ttmp6, 15
	s_mul_i32 s0, ttmp9, s0
	s_and_b32 s3, ttmp7, 0xffff
	s_add_co_i32 s2, s2, 1
	s_add_co_i32 s0, s1, s0
	s_mul_i32 s1, s3, s2
	s_bfe_u32 s2, ttmp6, 0x40004
	s_getreg_b32 s10, hwreg(HW_REG_IB_STS2, 6, 4)
	s_add_co_i32 s2, s2, s1
	s_cmp_eq_u32 s10, 0
	s_mov_b32 s1, 0
	s_cselect_b32 s11, s3, s2
	s_cselect_b32 s2, ttmp9, s0
	s_lshl_b32 s0, s11, 2
	s_clause 0x6
	scratch_store_b64 off, v[22:23], s32 offset:192
	scratch_store_b64 off, v[20:21], s32 offset:264
	;; [unrolled: 1-line block ×4, first 2 shown]
	scratch_store_b32 off, v9, s32 offset:272
	scratch_store_b64 off, v[6:7], s32 offset:344
	scratch_store_b64 off, v[0:1], s32 offset:336
	s_wait_xcnt 0x1
	v_add_nc_u64_e32 v[6:7], s[0:1], v[12:13]
	s_wait_xcnt 0x0
	v_mov_b32_e32 v1, 0
	s_clause 0x1
	s_load_u16 s0, s[8:9], 0x12
	s_load_b32 s3, s[8:9], 0x0
	v_dual_mov_b32 v25, v16 :: v_dual_mov_b32 v24, v15
	s_mov_b32 s6, s15
	flat_load_b32 v116, v[6:7]
	s_wait_xcnt 0x0
	v_sub_nc_u32_e32 v6, 0, v8
	global_load_u16 v0, v1, s[8:9] offset:22
	s_mov_b32 s4, exec_lo
	v_max_i32_e32 v6, v8, v6
	s_delay_alu instid0(VALU_DEP_1) | instskip(SKIP_2) | instid1(VALU_DEP_1)
	v_cvt_f32_u32_e32 v7, v6
	s_wait_kmcnt 0x0
	s_cmp_lg_u32 s0, 0
	v_rcp_iflag_f32_e32 v7, v7
	s_cselect_b32 s0, -1, 0
	s_delay_alu instid0(SALU_CYCLE_1) | instskip(SKIP_2) | instid1(TRANS32_DEP_1)
	s_cmp_lg_u32 s0, 0
	s_add_co_ci_u32 s12, s3, 0
	v_nop
	v_mul_f32_e32 v7, 0x4f7ffffe, v7
	v_sub_nc_u32_e32 v9, 0, v6
	s_abs_i32 s0, s12
	v_xor_b32_e32 v8, s12, v8
	s_delay_alu instid0(VALU_DEP_3) | instskip(NEXT) | instid1(VALU_DEP_2)
	v_cvt_u32_f32_e32 v7, v7
	v_ashrrev_i32_e32 v8, 31, v8
	s_delay_alu instid0(VALU_DEP_2) | instskip(NEXT) | instid1(VALU_DEP_1)
	v_mul_lo_u32 v9, v9, v7
	v_mul_hi_u32 v9, v7, v9
	s_delay_alu instid0(VALU_DEP_1) | instskip(NEXT) | instid1(VALU_DEP_1)
	v_add_nc_u32_e32 v7, v7, v9
	v_mul_hi_u32 v7, s0, v7
	s_delay_alu instid0(VALU_DEP_1) | instskip(NEXT) | instid1(VALU_DEP_1)
	v_mul_lo_u32 v9, v7, v6
	v_dual_add_nc_u32 v10, 1, v7 :: v_dual_sub_nc_u32 v9, s0, v9
	s_abs_i32 s0, s2
	s_delay_alu instid0(VALU_DEP_1) | instskip(SKIP_1) | instid1(VALU_DEP_2)
	v_sub_nc_u32_e32 v11, v9, v6
	v_cmp_ge_u32_e32 vcc_lo, v9, v6
	v_dual_cndmask_b32 v7, v7, v10, vcc_lo :: v_dual_cndmask_b32 v9, v9, v11, vcc_lo
	s_delay_alu instid0(VALU_DEP_1) | instskip(NEXT) | instid1(VALU_DEP_2)
	v_add_nc_u32_e32 v10, 1, v7
	v_cmp_ge_u32_e32 vcc_lo, v9, v6
	s_delay_alu instid0(VALU_DEP_2) | instskip(NEXT) | instid1(VALU_DEP_1)
	v_cndmask_b32_e32 v6, v7, v10, vcc_lo
	v_xor_b32_e32 v6, v6, v8
	s_delay_alu instid0(VALU_DEP_1) | instskip(NEXT) | instid1(VALU_DEP_1)
	v_sub_nc_u32_e32 v7, v6, v8
	v_sub_nc_u32_e32 v6, 0, v7
	s_delay_alu instid0(VALU_DEP_1) | instskip(NEXT) | instid1(VALU_DEP_1)
	v_max_i32_e32 v6, v7, v6
	v_cvt_f32_u32_e32 v8, v6
	v_sub_nc_u32_e32 v9, 0, v6
	s_delay_alu instid0(VALU_DEP_2) | instskip(SKIP_1) | instid1(TRANS32_DEP_1)
	v_rcp_iflag_f32_e32 v8, v8
	v_nop
	v_mul_f32_e32 v8, 0x4f7ffffe, v8
	s_delay_alu instid0(VALU_DEP_1) | instskip(NEXT) | instid1(VALU_DEP_1)
	v_cvt_u32_f32_e32 v8, v8
	v_mul_lo_u32 v9, v9, v8
	s_delay_alu instid0(VALU_DEP_1) | instskip(SKIP_2) | instid1(VALU_DEP_2)
	v_mul_hi_u32 v9, v8, v9
	s_wait_loadcnt 0x0
	v_readfirstlane_b32 s13, v0
	v_dual_add_nc_u32 v0, v8, v9 :: v_dual_mov_b32 v8, v1
	scratch_store_b32 off, v8, s32 offset:260 ; 4-byte Folded Spill
	s_wait_xcnt 0x0
	v_cmpx_ne_u64_e32 0, v[24:25]
	s_cbranch_execz .LBB292_2
; %bb.1:
	s_ashr_i32 s3, s2, 31
	s_delay_alu instid0(SALU_CYCLE_1)
	v_lshl_add_u64 v[8:9], s[2:3], 2, v[24:25]
	flat_load_b32 v8, v[8:9]
	s_wait_loadcnt_dscnt 0x0
	scratch_store_b32 off, v8, s32 offset:260 ; 4-byte Folded Spill
.LBB292_2:
	s_wait_xcnt 0x0
	s_or_b32 exec_lo, exec_lo, s4
	v_mul_u64_e32 v[0:1], s[0:1], v[0:1]
	v_and_b32_e32 v13, 0x3ff, v31
	v_ashrrev_i32_e32 v0, 31, v7
	s_ashr_i32 s1, s2, 31
	s_mul_i32 s4, s2, 0x60
	s_mov_b32 s2, exec_lo
	v_cmpx_gt_u32_e32 12, v13
	s_cbranch_execz .LBB292_4
; %bb.3:
	v_mul_lo_u32 v8, v17, s11
	s_ashr_i32 s5, s4, 31
	v_dual_mov_b32 v17, 0 :: v_dual_lshlrev_b32 v16, 4, v13
	s_delay_alu instid0(VALU_DEP_2) | instskip(NEXT) | instid1(VALU_DEP_1)
	v_ashrrev_i32_e32 v9, 31, v8
	v_lshl_add_u64 v[2:3], v[8:9], 1, v[2:3]
	s_delay_alu instid0(VALU_DEP_1) | instskip(NEXT) | instid1(VALU_DEP_1)
	v_lshl_add_u64 v[2:3], s[4:5], 1, v[2:3]
	v_add_nc_u64_e32 v[2:3], v[2:3], v[16:17]
	flat_load_b128 v[8:11], v[2:3]
	s_wait_loadcnt_dscnt 0x0
	ds_store_b128 v16, v[8:11]
.LBB292_4:
	s_wait_xcnt 0x0
	s_or_b32 exec_lo, exec_lo, s2
	s_delay_alu instid0(VALU_DEP_4) | instskip(SKIP_4) | instid1(VALU_DEP_1)
	v_mul_lo_u32 v2, v1, v6
	s_load_b32 s5, s[8:9], 0x8
	s_wait_xcnt 0x0
	s_get_pc_i64 s[8:9]
	s_add_nc_u64 s[8:9], s[8:9], llvm.amdgcn.dynlds.offset.table@rel64+4
	v_dual_add_nc_u32 v3, 1, v1 :: v_dual_sub_nc_u32 v2, s0, v2
	s_delay_alu instid0(VALU_DEP_1) | instskip(NEXT) | instid1(VALU_DEP_2)
	v_cmp_ge_u32_e32 vcc_lo, v2, v6
	v_dual_sub_nc_u32 v7, v2, v6 :: v_dual_cndmask_b32 v1, v1, v3, vcc_lo
	s_delay_alu instid0(VALU_DEP_1) | instskip(NEXT) | instid1(VALU_DEP_1)
	v_dual_cndmask_b32 v2, v2, v7 :: v_dual_add_nc_u32 v3, 1, v1
	v_cmp_ge_u32_e32 vcc_lo, v2, v6
	s_wait_dscnt 0x0
	v_add_nc_u32_e32 v7, 31, v116
	v_mul_lo_u32 v6, v14, s11
	v_dual_cndmask_b32 v1, v1, v3, vcc_lo :: v_dual_bitop2_b32 v0, s1, v0 bitop3:0x14
	s_delay_alu instid0(VALU_DEP_1) | instskip(NEXT) | instid1(VALU_DEP_1)
	v_dual_ashrrev_i32 v2, 31, v7 :: v_dual_bitop2_b32 v1, v1, v0 bitop3:0x14
	v_dual_lshrrev_b32 v2, 27, v2 :: v_dual_sub_nc_u32 v0, v1, v0
	s_delay_alu instid0(VALU_DEP_1) | instskip(SKIP_2) | instid1(VALU_DEP_4)
	v_dual_add_nc_u32 v1, v7, v2 :: v_dual_bitop2_b32 v2, 31, v13 bitop3:0x40
	v_mov_b32_e32 v23, 0xff7fffff
	v_ashrrev_i32_e32 v7, 31, v6
	v_mul_lo_u32 v8, v0, v19
	v_lshrrev_b32_e32 v0, 5, v13
	v_ashrrev_i32_e32 v115, 5, v1
	v_dual_lshrrev_b32 v1, 3, v13 :: v_dual_lshlrev_b32 v10, 2, v2
	s_clause 0x1
	scratch_store_b64 off, v[6:7], s32 offset:324
	scratch_store_b32 off, v0, s32 offset:300
	v_cmp_ge_i32_e64 s0, v0, v115
	v_cmp_lt_i32_e32 vcc_lo, v0, v115
	v_ashrrev_i32_e32 v9, 31, v8
	s_clause 0x2
	scratch_store_b32 off, v1, s32 offset:332
	scratch_store_b64 off, v[8:9], s32 offset:308
	scratch_store_b32 off, v2, s32 offset:296
	s_wait_storecnt 0x0
	s_barrier_signal -1
	s_barrier_wait -1
	s_wait_xcnt 0x0
	s_mov_b32 s14, exec_lo
	s_delay_alu instid0(SALU_CYCLE_1)
	s_and_b32 s1, s14, vcc_lo
	scratch_store_b32 off, v13, s32 offset:304 ; 4-byte Folded Spill
	s_wait_xcnt 0x0
	s_mov_b32 exec_lo, s1
	s_cbranch_execz .LBB292_776
; %bb.5:
	s_clause 0x1
	scratch_load_b64 v[0:1], off, s32 offset:308
	scratch_load_b32 v2, off, s32 offset:296
	s_ashr_i32 s7, s6, 31
	v_mov_b32_e32 v25, 0
	s_lshl_b64 s[2:3], s[6:7], 2
	s_mov_b32 s7, 0
	s_add_nc_u64 s[2:3], s[8:9], s[2:3]
	scratch_store_b32 off, v10, s32 offset:352 ; 4-byte Folded Spill
	s_load_b32 s1, s[2:3], 0x0
	s_wait_xcnt 0x0
	s_mov_b64 s[2:3], 0xffffffffffffff
	scratch_load_b32 v26, off, s32 offset:300 ; 4-byte Folded Reload
	s_wait_loadcnt 0x2
	v_add_nc_u64_e32 v[0:1], v[4:5], v[0:1]
	s_wait_loadcnt 0x1
	v_lshlrev_b32_e32 v24, 4, v2
	scratch_load_b64 v[4:5], off, s32 offset:316 ; 8-byte Folded Reload
	v_add_nc_u64_e32 v[0:1], v[0:1], v[24:25]
	s_wait_loadcnt 0x1
	v_lshl_or_b32 v27, v26, 5, v2
	v_lshl_or_b32 v2, v26, 7, v10
	v_mov_b32_e32 v23, 0xff7fffff
	s_clause 0x1
	scratch_store_b64 off, v[0:1], s32 offset:280
	scratch_load_b32 v0, off, s32 offset:332
	s_wait_kmcnt 0x0
	v_add_nc_u32_e32 v12, s1, v2
	s_wait_loadcnt 0x0
	v_and_b32_e32 v24, 0x7c, v0
	scratch_load_b32 v0, off, s32 offset:260 ; 4-byte Folded Reload
	s_wait_loadcnt 0x0
	v_cmp_neq_f32_e32 vcc_lo, 0, v0
	s_clause 0x2
	scratch_load_b64 v[0:1], off, s32 offset:324
	scratch_store_b32 off, v115, s32 offset:276
	scratch_store_b64 off, v[116:117], s32 offset:288
	s_wait_loadcnt 0x0
	v_lshl_add_u64 v[0:1], v[0:1], 2, v[24:25]
	s_delay_alu instid0(VALU_DEP_1)
	v_add_nc_u64_e32 v[0:1], v[4:5], v[0:1]
	s_branch .LBB292_10
.LBB292_6:                              ;   in Loop: Header=BB292_10 Depth=1
	s_or_b32 exec_lo, exec_lo, s18
	s_delay_alu instid0(VALU_DEP_1) | instskip(NEXT) | instid1(VALU_DEP_2)
	v_dual_lshlrev_b32 v4, 8, v24 :: v_dual_lshlrev_b32 v2, 23, v2
	v_lshl_add_u32 v3, v3, 10, 0x2000
	s_delay_alu instid0(VALU_DEP_1) | instskip(NEXT) | instid1(VALU_DEP_1)
	v_and_or_b32 v3, 0x8000, v4, v3
	v_lshl_or_b32 v29, v3, 16, v2
.LBB292_7:                              ;   in Loop: Header=BB292_10 Depth=1
	s_or_b32 exec_lo, exec_lo, s17
.LBB292_8:                              ;   in Loop: Header=BB292_10 Depth=1
	s_delay_alu instid0(SALU_CYCLE_1)
	s_or_b32 exec_lo, exec_lo, s16
	v_dual_mov_b32 v27, v48 :: v_dual_mov_b32 v12, v49
	v_mov_b32_e32 v26, v50
.LBB292_9:                              ;   in Loop: Header=BB292_10 Depth=1
	s_or_b32 exec_lo, exec_lo, s15
	ds_load_b128 v[2:5], v25
	v_or_b32_e32 v23, v37, v35
	v_or_b32_e32 v24, v31, v36
	v_fma_mixlo_f16 v35, v0, v37, 0 op_sel:[0,1,0] op_sel_hi:[0,1,0]
	v_or_b32_e32 v30, v32, v30
	v_fma_mixlo_f16 v31, v0, v31, 0 op_sel:[0,1,0] op_sel_hi:[0,1,0]
	v_or_b32_e32 v7, v29, v7
	s_delay_alu instid0(VALU_DEP_4) | instskip(NEXT) | instid1(VALU_DEP_3)
	v_and_b32_e32 v35, 0xffff, v35
	v_and_b32_e32 v31, 0xffff, v31
	s_wait_dscnt 0x0
	v_and_b32_e32 v36, 0xffff, v2
	v_lshrrev_b32_e32 v2, 16, v2
	v_fma_mixlo_f16 v23, v0, v23, 0 op_sel_hi:[0,1,0]
	v_lshrrev_b32_e32 v37, 16, v3
	v_and_b32_e32 v3, 0xffff, v3
	v_lshrrev_b32_e32 v55, 16, v4
	;;#ASMSTART
	v_cvt_f32_f16 v50, v36;
	;;#ASMEND
	v_and_b32_e32 v23, 0xffff, v23
	;;#ASMSTART
	v_cvt_f32_f16 v51, v2;
	;;#ASMEND
	;;#ASMSTART
	v_cvt_f32_f16 v52, v23;
	;;#ASMEND
	;; [unrolled: 3-line block ×4, first 2 shown]
	v_fma_mixlo_f16 v2, v0, v30, 0 op_sel_hi:[0,1,0]
	v_or_b32_e32 v3, v34, v33
	v_and_b32_e32 v54, 0xffff, v4
	v_fma_mixlo_f16 v4, v0, v32, 0 op_sel:[0,1,0] op_sel_hi:[0,1,0]
	v_fma_mixlo_f16 v24, v0, v24, 0 op_sel_hi:[0,1,0]
	v_and_b32_e32 v23, 0xffff, v2
	v_fma_mixlo_f16 v2, v0, v3, 0 op_sel_hi:[0,1,0]
	v_fma_mixlo_f16 v3, v0, v34, 0 op_sel:[0,1,0] op_sel_hi:[0,1,0]
	v_and_b32_e32 v99, 0xffff, v5
	v_lshrrev_b32_e32 v5, 16, v5
	v_and_b32_e32 v4, 0xffff, v4
	v_and_b32_e32 v2, 0xffff, v2
	;; [unrolled: 1-line block ×4, first 2 shown]
	;;#ASMSTART
	v_cvt_f32_f16 v38, v37;
	;;#ASMEND
	;;#ASMSTART
	v_cvt_f32_f16 v49, v24;
	;;#ASMEND
	;; [unrolled: 3-line block ×11, first 2 shown]
	ds_load_b128 v[2:5], v25 offset:16
	s_wait_dscnt 0x0
	v_and_b32_e32 v23, 0xffff, v2
	v_lshrrev_b32_e32 v2, 16, v2
	;;#ASMSTART
	v_cvt_f32_f16 v54, v23;
	;;#ASMEND
	;;#ASMSTART
	v_cvt_f32_f16 v55, v2;
	;;#ASMEND
	v_dual_lshrrev_b32 v24, 16, v3 :: v_dual_bitop2_b32 v2, v65, v64 bitop3:0x54
	v_fma_mixlo_f16 v23, v0, v65, 0 op_sel:[0,1,0] op_sel_hi:[0,1,0]
	s_delay_alu instid0(VALU_DEP_2) | instskip(NEXT) | instid1(VALU_DEP_2)
	v_fma_mixlo_f16 v2, v0, v2, 0 op_sel_hi:[0,1,0]
	v_and_b32_e32 v23, 0xffff, v23
	s_delay_alu instid0(VALU_DEP_2)
	v_and_b32_e32 v2, 0xffff, v2
	;;#ASMSTART
	v_cvt_f32_f16 v64, v2;
	;;#ASMEND
	;;#ASMSTART
	v_cvt_f32_f16 v65, v23;
	;;#ASMEND
	v_pk_mul_f32 v[54:55], v[54:55], v[64:65]
	v_or_b32_e32 v2, v68, v66
	v_and_b32_e32 v23, 0xffff, v3
	v_fma_mixlo_f16 v3, v0, v68, 0 op_sel:[0,1,0] op_sel_hi:[0,1,0]
	;;#ASMSTART
	v_cvt_f32_f16 v119, v23;
	;;#ASMEND
	v_pk_fma_f32 v[50:51], v[50:51], v[52:53], v[54:55]
	v_lshrrev_b32_e32 v54, 16, v5
	v_fma_mixlo_f16 v2, v0, v2, 0 op_sel_hi:[0,1,0]
	v_and_b32_e32 v52, 0xffff, v4
	v_lshrrev_b32_e32 v53, 16, v4
	v_and_b32_e32 v23, 0xffff, v3
	v_or_b32_e32 v3, v80, v70
	v_and_b32_e32 v4, 0xffff, v2
	v_or_b32_e32 v2, v69, v67
	;;#ASMSTART
	v_cvt_f32_f16 v118, v24;
	;;#ASMEND
	;;#ASMSTART
	v_cvt_f32_f16 v41, v4;
	;;#ASMEND
	;; [unrolled: 3-line block ×3, first 2 shown]
	v_fma_mixlo_f16 v4, v0, v69, 0 op_sel:[0,1,0] op_sel_hi:[0,1,0]
	v_fma_mixlo_f16 v2, v0, v2, 0 op_sel_hi:[0,1,0]
	v_and_b32_e32 v5, 0xffff, v5
	;;#ASMSTART
	v_cvt_f32_f16 v115, v52;
	;;#ASMEND
	;;#ASMSTART
	v_cvt_f32_f16 v114, v53;
	;;#ASMEND
	v_and_b32_e32 v4, 0xffff, v4
	v_and_b32_e32 v23, 0xffff, v2
	v_fma_mixlo_f16 v2, v0, v3, 0 op_sel_hi:[0,1,0]
	v_fma_mixlo_f16 v3, v0, v80, 0 op_sel:[0,1,0] op_sel_hi:[0,1,0]
	;;#ASMSTART
	v_cvt_f32_f16 v117, v23;
	;;#ASMEND
	;;#ASMSTART
	v_cvt_f32_f16 v116, v4;
	;;#ASMEND
	;;#ASMSTART
	v_cvt_f32_f16 v67, v5;
	;;#ASMEND
	v_and_b32_e32 v2, 0xffff, v2
	v_and_b32_e32 v3, 0xffff, v3
	;;#ASMSTART
	v_cvt_f32_f16 v66, v54;
	;;#ASMEND
	;;#ASMSTART
	v_cvt_f32_f16 v69, v2;
	;;#ASMEND
	;; [unrolled: 3-line block ×3, first 2 shown]
	ds_load_b128 v[2:5], v25 offset:32
	v_pk_mul_f32 v[118:119], v[118:119], v[40:41]
	s_wait_dscnt 0x0
	v_and_b32_e32 v23, 0xffff, v2
	v_lshrrev_b32_e32 v2, 16, v2
	;;#ASMSTART
	v_cvt_f32_f16 v52, v23;
	;;#ASMEND
	;;#ASMSTART
	v_cvt_f32_f16 v53, v2;
	;;#ASMEND
	v_or_b32_e32 v2, v82, v71
	v_fma_mixlo_f16 v23, v0, v82, 0 op_sel:[0,1,0] op_sel_hi:[0,1,0]
	v_lshrrev_b32_e32 v24, 16, v5
	s_delay_alu instid0(VALU_DEP_3) | instskip(NEXT) | instid1(VALU_DEP_3)
	v_fma_mixlo_f16 v2, v0, v2, 0 op_sel_hi:[0,1,0]
	v_and_b32_e32 v23, 0xffff, v23
	s_delay_alu instid0(VALU_DEP_2)
	v_and_b32_e32 v2, 0xffff, v2
	;;#ASMSTART
	v_cvt_f32_f16 v54, v2;
	;;#ASMEND
	v_lshrrev_b32_e32 v2, 16, v3
	v_and_b32_e32 v3, 0xffff, v3
	;;#ASMSTART
	v_cvt_f32_f16 v55, v23;
	;;#ASMEND
	;;#ASMSTART
	v_cvt_f32_f16 v43, v3;
	;;#ASMEND
	;; [unrolled: 3-line block ×3, first 2 shown]
	v_or_b32_e32 v2, v84, v81
	v_fma_mixlo_f16 v3, v0, v84, 0 op_sel:[0,1,0] op_sel_hi:[0,1,0]
	v_lshrrev_b32_e32 v23, 16, v4
	v_and_b32_e32 v4, 0xffff, v4
	v_pk_fma_f32 v[54:55], v[52:53], v[54:55], v[50:51]
	v_fma_mixlo_f16 v2, v0, v2, 0 op_sel_hi:[0,1,0]
	v_and_b32_e32 v3, 0xffff, v3
	v_and_b32_e32 v50, 0xffff, v5
	v_fma_mixlo_f16 v5, v0, v86, 0 op_sel:[0,1,0] op_sel_hi:[0,1,0]
	s_delay_alu instid0(VALU_DEP_4)
	v_and_b32_e32 v2, 0xffff, v2
	;;#ASMSTART
	v_cvt_f32_f16 v45, v2;
	;;#ASMEND
	;;#ASMSTART
	v_cvt_f32_f16 v44, v3;
	;;#ASMEND
	;; [unrolled: 3-line block ×3, first 2 shown]
	v_or_b32_e32 v4, v86, v83
	;;#ASMSTART
	v_cvt_f32_f16 v2, v23;
	;;#ASMEND
	v_and_b32_e32 v23, 0xffff, v5
	s_delay_alu instid0(VALU_DEP_2) | instskip(NEXT) | instid1(VALU_DEP_1)
	v_fma_mixlo_f16 v4, v0, v4, 0 op_sel_hi:[0,1,0]
	v_and_b32_e32 v4, 0xffff, v4
	;;#ASMSTART
	v_cvt_f32_f16 v5, v4;
	;;#ASMEND
	;;#ASMSTART
	v_cvt_f32_f16 v4, v23;
	;;#ASMEND
	v_or_b32_e32 v23, v96, v85
	;;#ASMSTART
	v_cvt_f32_f16 v51, v50;
	;;#ASMEND
	;;#ASMSTART
	v_cvt_f32_f16 v50, v24;
	;;#ASMEND
	v_fma_mixlo_f16 v24, v0, v96, 0 op_sel:[0,1,0] op_sel_hi:[0,1,0]
	s_delay_alu instid0(VALU_DEP_2) | instskip(NEXT) | instid1(VALU_DEP_2)
	v_fma_mixlo_f16 v23, v0, v23, 0 op_sel_hi:[0,1,0]
	v_and_b32_e32 v24, 0xffff, v24
	s_delay_alu instid0(VALU_DEP_2)
	v_and_b32_e32 v23, 0xffff, v23
	;;#ASMSTART
	v_cvt_f32_f16 v53, v23;
	;;#ASMEND
	;;#ASMSTART
	v_cvt_f32_f16 v52, v24;
	;;#ASMEND
	ds_load_b128 v[80:83], v25 offset:48
	s_wait_dscnt 0x0
	v_and_b32_e32 v23, 0xffff, v80
	;;#ASMSTART
	v_cvt_f32_f16 v64, v23;
	;;#ASMEND
	v_dual_lshrrev_b32 v24, 16, v80 :: v_dual_bitop2_b32 v23, v98, v87 bitop3:0x54
	;;#ASMSTART
	v_cvt_f32_f16 v65, v24;
	;;#ASMEND
	s_delay_alu instid0(VALU_DEP_1) | instskip(NEXT) | instid1(VALU_DEP_2)
	v_fma_mixlo_f16 v23, v0, v23, 0 op_sel_hi:[0,1,0]
	v_fma_mixlo_f16 v24, v0, v98, 0 op_sel:[0,1,0] op_sel_hi:[0,1,0]
	s_delay_alu instid0(VALU_DEP_2) | instskip(NEXT) | instid1(VALU_DEP_2)
	v_and_b32_e32 v23, 0xffff, v23
	v_and_b32_e32 v24, 0xffff, v24
	;;#ASMSTART
	v_cvt_f32_f16 v70, v23;
	;;#ASMEND
	v_lshrrev_b32_e32 v23, 16, v81
	;;#ASMSTART
	v_cvt_f32_f16 v71, v24;
	;;#ASMEND
	v_pk_fma_f32 v[86:87], v[64:65], v[70:71], v[54:55]
	v_and_b32_e32 v24, 0xffff, v81
	v_lshrrev_b32_e32 v64, 16, v83
	;;#ASMSTART
	v_cvt_f32_f16 v59, v24;
	;;#ASMEND
	;;#ASMSTART
	v_cvt_f32_f16 v58, v23;
	;;#ASMEND
	v_or_b32_e32 v23, v100, v97
	v_fma_mixlo_f16 v24, v0, v100, 0 op_sel:[0,1,0] op_sel_hi:[0,1,0]
	v_lshrrev_b32_e32 v54, 16, v82
	v_and_b32_e32 v55, 0xffff, v82
	v_and_b32_e32 v65, 0xffff, v83
	v_fma_mixlo_f16 v23, v0, v23, 0 op_sel_hi:[0,1,0]
	v_and_b32_e32 v24, 0xffff, v24
	s_delay_alu instid0(VALU_DEP_2)
	v_and_b32_e32 v23, 0xffff, v23
	;;#ASMSTART
	v_cvt_f32_f16 v61, v23;
	;;#ASMEND
	v_or_b32_e32 v23, v102, v106
	;;#ASMSTART
	v_cvt_f32_f16 v60, v24;
	;;#ASMEND
	v_fma_mixlo_f16 v24, v0, v102, 0 op_sel:[0,1,0] op_sel_hi:[0,1,0]
	;;#ASMSTART
	v_cvt_f32_f16 v71, v55;
	;;#ASMEND
	;;#ASMSTART
	v_cvt_f32_f16 v70, v54;
	;;#ASMEND
	v_fma_mixlo_f16 v23, v0, v23, 0 op_sel_hi:[0,1,0]
	s_delay_alu instid0(VALU_DEP_2) | instskip(NEXT) | instid1(VALU_DEP_2)
	v_and_b32_e32 v24, 0xffff, v24
	v_and_b32_e32 v23, 0xffff, v23
	;;#ASMSTART
	v_cvt_f32_f16 v81, v23;
	;;#ASMEND
	v_or_b32_e32 v23, v112, v104
	;;#ASMSTART
	v_cvt_f32_f16 v80, v24;
	;;#ASMEND
	v_fma_mixlo_f16 v24, v0, v112, 0 op_sel:[0,1,0] op_sel_hi:[0,1,0]
	;;#ASMSTART
	v_cvt_f32_f16 v55, v65;
	;;#ASMEND
	;;#ASMSTART
	v_cvt_f32_f16 v54, v64;
	;;#ASMEND
	v_fma_mixlo_f16 v23, v0, v23, 0 op_sel_hi:[0,1,0]
	s_delay_alu instid0(VALU_DEP_2) | instskip(NEXT) | instid1(VALU_DEP_2)
	v_and_b32_e32 v24, 0xffff, v24
	v_and_b32_e32 v23, 0xffff, v23
	;;#ASMSTART
	v_cvt_f32_f16 v65, v23;
	;;#ASMEND
	;;#ASMSTART
	v_cvt_f32_f16 v64, v24;
	;;#ASMEND
	ds_load_b128 v[82:85], v25 offset:64
	s_wait_dscnt 0x0
	v_and_b32_e32 v23, 0xffff, v82
	;;#ASMSTART
	v_cvt_f32_f16 v96, v23;
	;;#ASMEND
	v_dual_lshrrev_b32 v24, 16, v82 :: v_dual_bitop2_b32 v23, v46, v103 bitop3:0x54
	;;#ASMSTART
	v_cvt_f32_f16 v97, v24;
	;;#ASMEND
	v_lshrrev_b32_e32 v82, 16, v84
	s_delay_alu instid0(VALU_DEP_2) | instskip(NEXT) | instid1(VALU_DEP_3)
	v_fma_mixlo_f16 v23, v0, v23, 0 op_sel_hi:[0,1,0]
	v_fma_mixlo_f16 v24, v0, v46, 0 op_sel:[0,1,0] op_sel_hi:[0,1,0]
	s_delay_alu instid0(VALU_DEP_2) | instskip(NEXT) | instid1(VALU_DEP_2)
	v_and_b32_e32 v23, 0xffff, v23
	v_and_b32_e32 v24, 0xffff, v24
	;;#ASMSTART
	v_cvt_f32_f16 v102, v23;
	;;#ASMEND
	v_lshrrev_b32_e32 v23, 16, v83
	;;#ASMSTART
	v_cvt_f32_f16 v103, v24;
	;;#ASMEND
	v_and_b32_e32 v24, 0xffff, v83
	;;#ASMSTART
	v_cvt_f32_f16 v107, v24;
	;;#ASMEND
	;;#ASMSTART
	v_cvt_f32_f16 v106, v23;
	;;#ASMEND
	v_or_b32_e32 v23, v109, v108
	v_pk_fma_f32 v[76:77], v[96:97], v[102:103], v[86:87]
	v_fma_mixlo_f16 v24, v0, v109, 0 op_sel:[0,1,0] op_sel_hi:[0,1,0]
	v_and_b32_e32 v83, 0xffff, v84
	v_lshrrev_b32_e32 v84, 16, v85
	v_fma_mixlo_f16 v23, v0, v23, 0 op_sel_hi:[0,1,0]
	v_and_b32_e32 v85, 0xffff, v85
	v_and_b32_e32 v24, 0xffff, v24
	s_delay_alu instid0(VALU_DEP_3)
	v_and_b32_e32 v23, 0xffff, v23
	;;#ASMSTART
	v_cvt_f32_f16 v109, v23;
	;;#ASMEND
	v_or_b32_e32 v23, v73, v105
	;;#ASMSTART
	v_cvt_f32_f16 v108, v24;
	;;#ASMEND
	v_fma_mixlo_f16 v24, v0, v73, 0 op_sel:[0,1,0] op_sel_hi:[0,1,0]
	;;#ASMSTART
	v_cvt_f32_f16 v87, v83;
	;;#ASMEND
	;;#ASMSTART
	v_cvt_f32_f16 v86, v82;
	;;#ASMEND
	v_fma_mixlo_f16 v23, v0, v23, 0 op_sel_hi:[0,1,0]
	s_delay_alu instid0(VALU_DEP_2) | instskip(NEXT) | instid1(VALU_DEP_2)
	v_and_b32_e32 v24, 0xffff, v24
	v_and_b32_e32 v23, 0xffff, v23
	;;#ASMSTART
	v_cvt_f32_f16 v97, v23;
	;;#ASMEND
	v_or_b32_e32 v23, v72, v93
	;;#ASMSTART
	v_cvt_f32_f16 v96, v24;
	;;#ASMEND
	v_fma_mixlo_f16 v24, v0, v72, 0 op_sel:[0,1,0] op_sel_hi:[0,1,0]
	;;#ASMSTART
	v_cvt_f32_f16 v83, v85;
	;;#ASMEND
	;;#ASMSTART
	v_cvt_f32_f16 v82, v84;
	;;#ASMEND
	v_fma_mixlo_f16 v23, v0, v23, 0 op_sel_hi:[0,1,0]
	s_delay_alu instid0(VALU_DEP_2) | instskip(NEXT) | instid1(VALU_DEP_2)
	v_and_b32_e32 v24, 0xffff, v24
	v_and_b32_e32 v23, 0xffff, v23
	;;#ASMSTART
	v_cvt_f32_f16 v85, v23;
	;;#ASMEND
	;;#ASMSTART
	v_cvt_f32_f16 v84, v24;
	;;#ASMEND
	ds_load_b128 v[102:105], v25 offset:80
	s_wait_dscnt 0x0
	v_and_b32_e32 v23, 0xffff, v102
	;;#ASMSTART
	v_cvt_f32_f16 v92, v23;
	;;#ASMEND
	v_dual_lshrrev_b32 v24, 16, v102 :: v_dual_bitop2_b32 v23, v89, v79 bitop3:0x54
	;;#ASMSTART
	v_cvt_f32_f16 v93, v24;
	;;#ASMEND
	v_lshrrev_b32_e32 v100, 16, v105
	v_and_b32_e32 v46, 0xffff, v105
	s_delay_alu instid0(VALU_DEP_3) | instskip(SKIP_1) | instid1(VALU_DEP_2)
	v_fma_mixlo_f16 v23, v0, v23, 0 op_sel_hi:[0,1,0]
	v_fma_mixlo_f16 v24, v0, v89, 0 op_sel:[0,1,0] op_sel_hi:[0,1,0]
	v_and_b32_e32 v23, 0xffff, v23
	s_delay_alu instid0(VALU_DEP_2)
	v_and_b32_e32 v24, 0xffff, v24
	;;#ASMSTART
	v_cvt_f32_f16 v98, v23;
	;;#ASMEND
	v_lshrrev_b32_e32 v23, 16, v103
	;;#ASMSTART
	v_cvt_f32_f16 v99, v24;
	;;#ASMEND
	v_pk_fma_f32 v[76:77], v[92:93], v[98:99], v[76:77]
	v_and_b32_e32 v24, 0xffff, v103
	;;#ASMSTART
	v_cvt_f32_f16 v93, v24;
	;;#ASMEND
	;;#ASMSTART
	v_cvt_f32_f16 v92, v23;
	;;#ASMEND
	v_dual_lshrrev_b32 v98, 16, v104 :: v_dual_bitop2_b32 v23, v90, v91 bitop3:0x54
	s_delay_alu instid0(VALU_DEP_2) | instskip(SKIP_1) | instid1(VALU_DEP_3)
	v_fma_mixlo_f16 v24, v0, v90, 0 op_sel:[0,1,0] op_sel_hi:[0,1,0]
	v_and_b32_e32 v99, 0xffff, v104
	v_fma_mixlo_f16 v23, v0, v23, 0 op_sel_hi:[0,1,0]
	s_delay_alu instid0(VALU_DEP_3) | instskip(NEXT) | instid1(VALU_DEP_2)
	v_and_b32_e32 v24, 0xffff, v24
	v_and_b32_e32 v23, 0xffff, v23
	;;#ASMSTART
	v_cvt_f32_f16 v105, v23;
	;;#ASMEND
	v_or_b32_e32 v23, v78, v113
	;;#ASMSTART
	v_cvt_f32_f16 v104, v24;
	;;#ASMEND
	v_fma_mixlo_f16 v24, v0, v78, 0 op_sel:[0,1,0] op_sel_hi:[0,1,0]
	;;#ASMSTART
	v_cvt_f32_f16 v103, v99;
	;;#ASMEND
	;;#ASMSTART
	v_cvt_f32_f16 v102, v98;
	;;#ASMEND
	v_fma_mixlo_f16 v23, v0, v23, 0 op_sel_hi:[0,1,0]
	s_delay_alu instid0(VALU_DEP_2) | instskip(NEXT) | instid1(VALU_DEP_2)
	v_and_b32_e32 v24, 0xffff, v24
	v_and_b32_e32 v23, 0xffff, v23
	;;#ASMSTART
	v_cvt_f32_f16 v113, v23;
	;;#ASMEND
	v_or_b32_e32 v23, v88, v101
	;;#ASMSTART
	v_cvt_f32_f16 v112, v24;
	;;#ASMEND
	v_fma_mixlo_f16 v24, v0, v88, 0 op_sel:[0,1,0] op_sel_hi:[0,1,0]
	;;#ASMSTART
	v_cvt_f32_f16 v99, v46;
	;;#ASMEND
	;;#ASMSTART
	v_cvt_f32_f16 v98, v100;
	;;#ASMEND
	v_fma_mixlo_f16 v23, v0, v23, 0 op_sel_hi:[0,1,0]
	s_delay_alu instid0(VALU_DEP_2) | instskip(NEXT) | instid1(VALU_DEP_2)
	v_and_b32_e32 v24, 0xffff, v24
	v_and_b32_e32 v23, 0xffff, v23
	;;#ASMSTART
	v_cvt_f32_f16 v101, v23;
	;;#ASMEND
	;;#ASMSTART
	v_cvt_f32_f16 v100, v24;
	;;#ASMEND
	ds_load_b128 v[88:91], v25 offset:96
	s_wait_dscnt 0x0
	v_and_b32_e32 v23, 0xffff, v88
	;;#ASMSTART
	v_cvt_f32_f16 v78, v23;
	;;#ASMEND
	v_dual_lshrrev_b32 v24, 16, v88 :: v_dual_bitop2_b32 v23, v95, v47 bitop3:0x54
	;;#ASMSTART
	v_cvt_f32_f16 v79, v24;
	;;#ASMEND
	v_pk_fma_f32 v[46:47], v[38:39], v[48:49], v[118:119]
	v_lshrrev_b32_e32 v38, 16, v90
	s_delay_alu instid0(VALU_DEP_3)
	v_fma_mixlo_f16 v23, v0, v23, 0 op_sel_hi:[0,1,0]
	v_fma_mixlo_f16 v24, v0, v95, 0 op_sel:[0,1,0] op_sel_hi:[0,1,0]
	v_and_b32_e32 v39, 0xffff, v90
	v_lshrrev_b32_e32 v48, 16, v91
	v_and_b32_e32 v49, 0xffff, v91
	v_and_b32_e32 v23, 0xffff, v23
	;; [unrolled: 1-line block ×3, first 2 shown]
	;;#ASMSTART
	v_cvt_f32_f16 v72, v23;
	;;#ASMEND
	v_lshrrev_b32_e32 v23, 16, v89
	;;#ASMSTART
	v_cvt_f32_f16 v73, v24;
	;;#ASMEND
	v_and_b32_e32 v24, 0xffff, v89
	;;#ASMSTART
	v_cvt_f32_f16 v89, v24;
	;;#ASMEND
	;;#ASMSTART
	v_cvt_f32_f16 v88, v23;
	;;#ASMEND
	v_or_b32_e32 v23, v94, v111
	v_pk_fma_f32 v[72:73], v[78:79], v[72:73], v[76:77]
	v_fma_mixlo_f16 v24, v0, v94, 0 op_sel:[0,1,0] op_sel_hi:[0,1,0]
	s_delay_alu instid0(VALU_DEP_3) | instskip(NEXT) | instid1(VALU_DEP_2)
	v_fma_mixlo_f16 v23, v0, v23, 0 op_sel_hi:[0,1,0]
	v_and_b32_e32 v24, 0xffff, v24
	s_delay_alu instid0(VALU_DEP_2)
	v_and_b32_e32 v23, 0xffff, v23
	;;#ASMSTART
	v_cvt_f32_f16 v95, v23;
	;;#ASMEND
	v_or_b32_e32 v23, v120, v14
	v_or_b32_e32 v14, v121, v63
	;;#ASMSTART
	v_cvt_f32_f16 v94, v24;
	;;#ASMEND
	;;#ASMSTART
	v_cvt_f32_f16 v119, v39;
	;;#ASMEND
	;; [unrolled: 3-line block ×3, first 2 shown]
	v_fma_mixlo_f16 v23, v0, v23, 0 op_sel_hi:[0,1,0]
	v_fma_mixlo_f16 v24, v0, v120, 0 op_sel:[0,1,0] op_sel_hi:[0,1,0]
	v_fma_mixlo_f16 v14, v0, v14, 0 op_sel_hi:[0,1,0]
	s_delay_alu instid0(VALU_DEP_3) | instskip(SKIP_1) | instid1(VALU_DEP_3)
	v_and_b32_e32 v23, 0xffff, v23
	;;#ASMSTART
	v_cvt_f32_f16 v41, v23;
	;;#ASMEND
	v_and_b32_e32 v24, 0xffff, v24
	;;#ASMSTART
	v_cvt_f32_f16 v40, v24;
	;;#ASMEND
	;;#ASMSTART
	v_cvt_f32_f16 v39, v49;
	;;#ASMEND
	v_fma_mixlo_f16 v23, v0, v121, 0 op_sel:[0,1,0] op_sel_hi:[0,1,0]
	;;#ASMSTART
	v_cvt_f32_f16 v38, v48;
	;;#ASMEND
	v_and_b32_e32 v14, 0xffff, v14
	;;#ASMSTART
	v_cvt_f32_f16 v49, v14;
	;;#ASMEND
	v_pk_fma_f32 v[120:121], v[42:43], v[44:45], v[46:47]
	v_and_b32_e32 v23, 0xffff, v23
	;;#ASMSTART
	v_cvt_f32_f16 v48, v23;
	;;#ASMEND
	ds_load_b128 v[76:79], v25 offset:112
	v_pk_fma_f32 v[120:121], v[58:59], v[60:61], v[120:121]
	s_delay_alu instid0(VALU_DEP_1)
	v_pk_fma_f32 v[120:121], v[106:107], v[108:109], v[120:121]
	s_wait_dscnt 0x0
	v_and_b32_e32 v14, 0xffff, v76
	;;#ASMSTART
	v_cvt_f32_f16 v90, v14;
	;;#ASMEND
	v_dual_lshrrev_b32 v23, 16, v76 :: v_dual_bitop2_b32 v14, v62, v57 bitop3:0x54
	;;#ASMSTART
	v_cvt_f32_f16 v91, v23;
	;;#ASMEND
	v_lshrrev_b32_e32 v24, 16, v78
	v_and_b32_e32 v42, 0xffff, v78
	s_delay_alu instid0(VALU_DEP_3) | instskip(SKIP_3) | instid1(VALU_DEP_4)
	v_fma_mixlo_f16 v14, v0, v14, 0 op_sel_hi:[0,1,0]
	v_fma_mixlo_f16 v23, v0, v62, 0 op_sel:[0,1,0] op_sel_hi:[0,1,0]
	v_lshrrev_b32_e32 v44, 16, v79
	v_and_b32_e32 v43, 0xffff, v79
	v_and_b32_e32 v14, 0xffff, v14
	s_delay_alu instid0(VALU_DEP_4)
	v_and_b32_e32 v23, 0xffff, v23
	;;#ASMSTART
	v_cvt_f32_f16 v62, v14;
	;;#ASMEND
	;;#ASMSTART
	v_cvt_f32_f16 v63, v23;
	;;#ASMEND
	v_lshrrev_b32_e32 v14, 16, v77
	v_pk_fma_f32 v[90:91], v[90:91], v[62:63], v[72:73]
	v_and_b32_e32 v23, 0xffff, v77
	;;#ASMSTART
	v_cvt_f32_f16 v63, v23;
	;;#ASMEND
	;;#ASMSTART
	v_cvt_f32_f16 v62, v14;
	;;#ASMEND
	v_or_b32_e32 v14, v123, v56
	s_delay_alu instid0(VALU_DEP_2) | instskip(NEXT) | instid1(VALU_DEP_2)
	v_fma_mixlo_f16 v23, v0, v123, 0 op_sel:[0,1,0] op_sel_hi:[0,1,0]
	v_fma_mixlo_f16 v14, v0, v14, 0 op_sel_hi:[0,1,0]
	s_delay_alu instid0(VALU_DEP_2) | instskip(NEXT) | instid1(VALU_DEP_2)
	v_and_b32_e32 v23, 0xffff, v23
	v_and_b32_e32 v14, 0xffff, v14
	;;#ASMSTART
	v_cvt_f32_f16 v73, v14;
	;;#ASMEND
	v_or_b32_e32 v14, v122, v127
	;;#ASMSTART
	v_cvt_f32_f16 v72, v23;
	;;#ASMEND
	v_fma_mixlo_f16 v23, v0, v122, 0 op_sel:[0,1,0] op_sel_hi:[0,1,0]
	;;#ASMSTART
	v_cvt_f32_f16 v47, v42;
	;;#ASMEND
	;;#ASMSTART
	v_cvt_f32_f16 v46, v24;
	;;#ASMEND
	v_fma_mixlo_f16 v14, v0, v14, 0 op_sel_hi:[0,1,0]
	s_delay_alu instid0(VALU_DEP_2) | instskip(NEXT) | instid1(VALU_DEP_2)
	v_and_b32_e32 v23, 0xffff, v23
	v_and_b32_e32 v14, 0xffff, v14
	;;#ASMSTART
	v_cvt_f32_f16 v57, v14;
	;;#ASMEND
	v_or_b32_e32 v14, v75, v74
	;;#ASMSTART
	v_cvt_f32_f16 v56, v23;
	;;#ASMEND
	v_fma_mixlo_f16 v23, v0, v75, 0 op_sel:[0,1,0] op_sel_hi:[0,1,0]
	;;#ASMSTART
	v_cvt_f32_f16 v43, v43;
	;;#ASMEND
	;;#ASMSTART
	v_cvt_f32_f16 v42, v44;
	;;#ASMEND
	v_fma_mixlo_f16 v14, v0, v14, 0 op_sel_hi:[0,1,0]
	s_delay_alu instid0(VALU_DEP_2) | instskip(NEXT) | instid1(VALU_DEP_2)
	v_and_b32_e32 v23, 0xffff, v23
	v_and_b32_e32 v14, 0xffff, v14
	;;#ASMSTART
	v_cvt_f32_f16 v45, v14;
	;;#ASMEND
	;;#ASMSTART
	v_cvt_f32_f16 v44, v23;
	;;#ASMEND
	ds_load_b128 v[76:79], v25 offset:128
	s_wait_dscnt 0x0
	v_and_b32_e32 v14, 0xffff, v76
	;;#ASMSTART
	v_cvt_f32_f16 v122, v14;
	;;#ASMEND
	v_or_b32_e32 v14, v15, v125
	v_fma_mixlo_f16 v15, v0, v15, 0 op_sel:[0,1,0] op_sel_hi:[0,1,0]
	v_lshrrev_b32_e32 v23, 16, v76
	;;#ASMSTART
	v_cvt_f32_f16 v123, v23;
	;;#ASMEND
	v_lshrrev_b32_e32 v23, 16, v77
	v_fma_mixlo_f16 v14, v0, v14, 0 op_sel_hi:[0,1,0]
	v_and_b32_e32 v15, 0xffff, v15
	v_and_b32_e32 v24, 0xffff, v77
	v_lshrrev_b32_e32 v58, 16, v78
	v_and_b32_e32 v59, 0xffff, v78
	v_and_b32_e32 v14, 0xffff, v14
	;;#ASMSTART
	v_cvt_f32_f16 v74, v14;
	;;#ASMEND
	;;#ASMSTART
	v_cvt_f32_f16 v75, v15;
	;;#ASMEND
	v_lshrrev_b32_e32 v60, 16, v79
	v_and_b32_e32 v61, 0xffff, v79
	;;#ASMSTART
	v_cvt_f32_f16 v79, v24;
	;;#ASMEND
	;;#ASMSTART
	v_cvt_f32_f16 v78, v23;
	;;#ASMEND
	v_or_b32_e32 v23, v21, v110
	v_fma_mixlo_f16 v21, v0, v21, 0 op_sel:[0,1,0] op_sel_hi:[0,1,0]
	v_pk_fma_f32 v[14:15], v[122:123], v[74:75], v[90:91]
	s_delay_alu instid0(VALU_DEP_3) | instskip(NEXT) | instid1(VALU_DEP_3)
	v_fma_mixlo_f16 v23, v0, v23, 0 op_sel_hi:[0,1,0]
	v_and_b32_e32 v21, 0xffff, v21
	s_delay_alu instid0(VALU_DEP_2)
	v_and_b32_e32 v23, 0xffff, v23
	;;#ASMSTART
	v_cvt_f32_f16 v91, v23;
	;;#ASMEND
	;;#ASMSTART
	v_cvt_f32_f16 v90, v21;
	;;#ASMEND
	v_or_b32_e32 v21, v11, v9
	v_fma_mixlo_f16 v9, v0, v11, 0 op_sel:[0,1,0] op_sel_hi:[0,1,0]
	;;#ASMSTART
	v_cvt_f32_f16 v75, v59;
	;;#ASMEND
	;;#ASMSTART
	v_cvt_f32_f16 v74, v58;
	;;#ASMEND
	s_delay_alu instid0(VALU_DEP_2) | instskip(NEXT) | instid1(VALU_DEP_2)
	v_fma_mixlo_f16 v21, v0, v21, 0 op_sel_hi:[0,1,0]
	v_and_b32_e32 v9, 0xffff, v9
	s_delay_alu instid0(VALU_DEP_2)
	v_and_b32_e32 v21, 0xffff, v21
	;;#ASMSTART
	v_cvt_f32_f16 v77, v21;
	;;#ASMEND
	;;#ASMSTART
	v_cvt_f32_f16 v76, v9;
	;;#ASMEND
	v_or_b32_e32 v9, v8, v124
	;;#ASMSTART
	v_cvt_f32_f16 v59, v61;
	;;#ASMEND
	v_fma_mixlo_f16 v21, v0, v8, 0 op_sel:[0,1,0] op_sel_hi:[0,1,0]
	;;#ASMSTART
	v_cvt_f32_f16 v58, v60;
	;;#ASMEND
	s_delay_alu instid0(VALU_DEP_2) | instskip(NEXT) | instid1(VALU_DEP_2)
	v_fma_mixlo_f16 v9, v0, v9, 0 op_sel_hi:[0,1,0]
	v_and_b32_e32 v21, 0xffff, v21
	s_delay_alu instid0(VALU_DEP_2)
	v_and_b32_e32 v9, 0xffff, v9
	;;#ASMSTART
	v_cvt_f32_f16 v61, v9;
	;;#ASMEND
	;;#ASMSTART
	v_cvt_f32_f16 v60, v21;
	;;#ASMEND
	ds_load_b128 v[122:125], v25 offset:144
	s_wait_dscnt 0x0
	v_and_b32_e32 v9, 0xffff, v122
	v_lshrrev_b32_e32 v21, 16, v122
	;;#ASMSTART
	v_cvt_f32_f16 v110, v9;
	;;#ASMEND
	v_or_b32_e32 v9, v18, v126
	;;#ASMSTART
	v_cvt_f32_f16 v111, v21;
	;;#ASMEND
	v_lshrrev_b32_e32 v23, 16, v124
	v_fma_mixlo_f16 v21, v0, v18, 0 op_sel:[0,1,0] op_sel_hi:[0,1,0]
	v_and_b32_e32 v24, 0xffff, v124
	v_fma_mixlo_f16 v9, v0, v9, 0 op_sel_hi:[0,1,0]
	v_fma_mixlo_f16 v18, v0, v1, 0 op_sel:[0,1,0] op_sel_hi:[0,1,0]
	s_delay_alu instid0(VALU_DEP_4) | instskip(NEXT) | instid1(VALU_DEP_3)
	v_and_b32_e32 v21, 0xffff, v21
	v_and_b32_e32 v9, 0xffff, v9
	;;#ASMSTART
	v_cvt_f32_f16 v126, v9;
	;;#ASMEND
	;;#ASMSTART
	v_cvt_f32_f16 v127, v21;
	;;#ASMEND
	v_lshrrev_b32_e32 v9, 16, v123
	v_and_b32_e32 v21, 0xffff, v123
	;;#ASMSTART
	v_cvt_f32_f16 v107, v21;
	;;#ASMEND
	;;#ASMSTART
	v_cvt_f32_f16 v106, v9;
	;;#ASMEND
	scratch_load_b32 v8, off, s32 offset:224 th:TH_LOAD_LU ; 4-byte Folded Reload
	v_pk_fma_f32 v[110:111], v[110:111], v[126:127], v[14:15]
	v_pk_mul_f32 v[14:15], v[114:115], v[116:117]
	s_delay_alu instid0(VALU_DEP_1) | instskip(SKIP_2) | instid1(VALU_DEP_3)
	v_pk_fma_f32 v[14:15], v[34:35], v[36:37], v[14:15]
	v_lshrrev_b32_e32 v34, 16, v125
	v_and_b32_e32 v35, 0xffff, v125
	v_pk_fma_f32 v[14:15], v[2:3], v[4:5], v[14:15]
	s_delay_alu instid0(VALU_DEP_1) | instskip(SKIP_3) | instid1(VALU_DEP_2)
	v_pk_fma_f32 v[14:15], v[70:71], v[80:81], v[14:15]
	s_wait_loadcnt 0x0
	v_or_b32_e32 v9, v8, v28
	v_fma_mixlo_f16 v21, v0, v8, 0 op_sel:[0,1,0] op_sel_hi:[0,1,0]
	v_fma_mixlo_f16 v9, v0, v9, 0 op_sel_hi:[0,1,0]
	s_delay_alu instid0(VALU_DEP_2) | instskip(NEXT) | instid1(VALU_DEP_2)
	v_and_b32_e32 v21, 0xffff, v21
	v_and_b32_e32 v9, 0xffff, v9
	;;#ASMSTART
	v_cvt_f32_f16 v109, v9;
	;;#ASMEND
	;;#ASMSTART
	v_cvt_f32_f16 v108, v21;
	;;#ASMEND
	;; [unrolled: 3-line block ×4, first 2 shown]
	s_clause 0x1
	scratch_load_b32 v8, off, s32 offset:220 th:TH_LOAD_LU
	scratch_load_b32 v11, off, s32 offset:232 th:TH_LOAD_LU
	s_wait_loadcnt 0x0
	v_or_b32_e32 v9, v11, v8
	v_fma_mixlo_f16 v21, v0, v11, 0 op_sel:[0,1,0] op_sel_hi:[0,1,0]
	s_delay_alu instid0(VALU_DEP_2) | instskip(NEXT) | instid1(VALU_DEP_2)
	v_fma_mixlo_f16 v9, v0, v9, 0 op_sel_hi:[0,1,0]
	v_and_b32_e32 v21, 0xffff, v21
	s_delay_alu instid0(VALU_DEP_2)
	v_and_b32_e32 v9, 0xffff, v9
	;;#ASMSTART
	v_cvt_f32_f16 v117, v9;
	;;#ASMEND
	;;#ASMSTART
	v_cvt_f32_f16 v116, v21;
	;;#ASMEND
	;; [unrolled: 3-line block ×4, first 2 shown]
	scratch_load_b32 v8, off, s32 offset:228 th:TH_LOAD_LU ; 4-byte Folded Reload
	s_wait_loadcnt 0x0
	v_or_b32_e32 v9, v20, v8
	v_fma_mixlo_f16 v20, v0, v20, 0 op_sel:[0,1,0] op_sel_hi:[0,1,0]
	s_delay_alu instid0(VALU_DEP_2) | instskip(NEXT) | instid1(VALU_DEP_2)
	v_fma_mixlo_f16 v9, v0, v9, 0 op_sel_hi:[0,1,0]
	v_and_b32_e32 v20, 0xffff, v20
	s_delay_alu instid0(VALU_DEP_2)
	v_and_b32_e32 v9, 0xffff, v9
	;;#ASMSTART
	v_cvt_f32_f16 v37, v9;
	;;#ASMEND
	;;#ASMSTART
	v_cvt_f32_f16 v36, v20;
	;;#ASMEND
	ds_load_b128 v[122:125], v25 offset:160
	s_wait_dscnt 0x0
	v_and_b32_e32 v9, 0xffff, v122
	v_lshrrev_b32_e32 v20, 16, v122
	;;#ASMSTART
	v_cvt_f32_f16 v126, v9;
	;;#ASMEND
	;;#ASMSTART
	v_cvt_f32_f16 v127, v20;
	;;#ASMEND
	scratch_load_b32 v8, off, s32 offset:236 th:TH_LOAD_LU ; 4-byte Folded Reload
	v_lshrrev_b32_e32 v2, 16, v123
	v_fma_mixlo_f16 v20, v0, v22, 0 op_sel:[0,1,0] op_sel_hi:[0,1,0]
	v_and_b32_e32 v3, 0xffff, v123
	v_lshrrev_b32_e32 v4, 16, v124
	v_and_b32_e32 v5, 0xffff, v124
	v_and_b32_e32 v24, 0xffff, v125
	;; [unrolled: 1-line block ×3, first 2 shown]
	s_wait_loadcnt 0x0
	v_or_b32_e32 v9, v22, v8
	v_pk_fma_f32 v[22:23], v[92:93], v[104:105], v[120:121]
	s_delay_alu instid0(VALU_DEP_2) | instskip(NEXT) | instid1(VALU_DEP_1)
	v_fma_mixlo_f16 v9, v0, v9, 0 op_sel_hi:[0,1,0]
	v_and_b32_e32 v9, 0xffff, v9
	;;#ASMSTART
	v_cvt_f32_f16 v20, v9;
	;;#ASMEND
	;;#ASMSTART
	v_cvt_f32_f16 v21, v21;
	;;#ASMEND
	v_lshrrev_b32_e32 v9, 16, v125
	;;#ASMSTART
	v_cvt_f32_f16 v125, v3;
	;;#ASMEND
	;;#ASMSTART
	v_cvt_f32_f16 v124, v2;
	;;#ASMEND
	scratch_load_b32 v2, off, s32 offset:240 th:TH_LOAD_LU ; 4-byte Folded Reload
	v_fma_mixlo_f16 v3, v0, v10, 0 op_sel:[0,1,0] op_sel_hi:[0,1,0]
	v_pk_fma_f32 v[20:21], v[126:127], v[20:21], v[110:111]
	s_delay_alu instid0(VALU_DEP_2) | instskip(SKIP_2) | instid1(VALU_DEP_1)
	v_and_b32_e32 v3, 0xffff, v3
	s_wait_loadcnt 0x0
	v_or_b32_e32 v2, v10, v2
	v_fma_mixlo_f16 v2, v0, v2, 0 op_sel_hi:[0,1,0]
	s_delay_alu instid0(VALU_DEP_1)
	v_and_b32_e32 v2, 0xffff, v2
	;;#ASMSTART
	v_cvt_f32_f16 v127, v2;
	;;#ASMEND
	;;#ASMSTART
	v_cvt_f32_f16 v126, v3;
	;;#ASMEND
	;; [unrolled: 3-line block ×4, first 2 shown]
	scratch_load_b32 v2, off, s32 offset:244 th:TH_LOAD_LU ; 4-byte Folded Reload
	v_fma_mixlo_f16 v3, v0, v6, 0 op_sel:[0,1,0] op_sel_hi:[0,1,0]
	s_delay_alu instid0(VALU_DEP_1) | instskip(SKIP_2) | instid1(VALU_DEP_1)
	v_and_b32_e32 v3, 0xffff, v3
	s_wait_loadcnt 0x0
	v_or_b32_e32 v2, v6, v2
	v_fma_mixlo_f16 v2, v0, v2, 0 op_sel_hi:[0,1,0]
	s_delay_alu instid0(VALU_DEP_1)
	v_and_b32_e32 v2, 0xffff, v2
	;;#ASMSTART
	v_cvt_f32_f16 v121, v2;
	;;#ASMEND
	;;#ASMSTART
	v_cvt_f32_f16 v120, v3;
	;;#ASMEND
	;; [unrolled: 3-line block ×4, first 2 shown]
	scratch_load_b32 v2, off, s32 offset:248 th:TH_LOAD_LU ; 4-byte Folded Reload
	v_fma_mixlo_f16 v3, v0, v17, 0 op_sel:[0,1,0] op_sel_hi:[0,1,0]
	s_delay_alu instid0(VALU_DEP_1) | instskip(SKIP_2) | instid1(VALU_DEP_1)
	v_and_b32_e32 v3, 0xffff, v3
	s_wait_loadcnt 0x0
	v_or_b32_e32 v2, v17, v2
	v_fma_mixlo_f16 v2, v0, v2, 0 op_sel_hi:[0,1,0]
	s_delay_alu instid0(VALU_DEP_1)
	v_and_b32_e32 v2, 0xffff, v2
	;;#ASMSTART
	v_cvt_f32_f16 v111, v2;
	;;#ASMEND
	;;#ASMSTART
	v_cvt_f32_f16 v110, v3;
	;;#ASMEND
	ds_load_b128 v[2:5], v25 offset:176
	s_wait_dscnt 0x0
	v_and_b32_e32 v6, 0xffff, v2
	v_lshrrev_b32_e32 v2, 16, v2
	;;#ASMSTART
	v_cvt_f32_f16 v10, v6;
	;;#ASMEND
	;;#ASMSTART
	v_cvt_f32_f16 v11, v2;
	;;#ASMEND
	scratch_load_b32 v2, off, s32 offset:252 th:TH_LOAD_LU ; 4-byte Folded Reload
	v_fma_mixlo_f16 v6, v0, v16, 0 op_sel:[0,1,0] op_sel_hi:[0,1,0]
	s_delay_alu instid0(VALU_DEP_1) | instskip(SKIP_2) | instid1(VALU_DEP_1)
	v_and_b32_e32 v6, 0xffff, v6
	s_wait_loadcnt 0x0
	v_or_b32_e32 v2, v16, v2
	v_fma_mixlo_f16 v2, v0, v2, 0 op_sel_hi:[0,1,0]
	s_delay_alu instid0(VALU_DEP_1)
	v_and_b32_e32 v2, 0xffff, v2
	;;#ASMSTART
	v_cvt_f32_f16 v8, v2;
	;;#ASMEND
	;;#ASMSTART
	v_cvt_f32_f16 v9, v6;
	;;#ASMEND
	s_clause 0x1
	scratch_load_b64 v[16:17], off, s32 offset:288
	scratch_load_b32 v6, off, s32 offset:256 th:TH_LOAD_LU
	v_pk_fma_f32 v[122:123], v[10:11], v[8:9], v[20:21]
	v_pk_mul_f32 v[10:11], v[66:67], v[68:69]
	v_pk_fma_f32 v[8:9], v[88:89], v[94:95], v[22:23]
	v_lshrrev_b32_e32 v22, 16, v3
	v_fma_mixlo_f16 v20, v0, v7, 0 op_sel_hi:[0,1,0]
	v_fma_mixlo_f16 v21, v0, v29, 0 op_sel:[0,1,0] op_sel_hi:[0,1,0]
	v_pk_fma_f32 v[10:11], v[30:31], v[32:33], v[10:11]
	s_wait_loadcnt 0x0
	v_dual_mov_b32 v24, v16 :: v_dual_bitop2_b32 v6, v19, v6 bitop3:0x54
	s_delay_alu instid0(VALU_DEP_1) | instskip(NEXT) | instid1(VALU_DEP_2)
	v_sub_nc_u32_e32 v2, 1, v24
	v_fma_mixlo_f16 v17, v0, v6, 0 op_sel_hi:[0,1,0]
	v_and_b32_e32 v6, 0xffff, v3
	;;#ASMSTART
	v_cvt_f32_f16 v7, v6;
	;;#ASMEND
	;;#ASMSTART
	v_cvt_f32_f16 v6, v22;
	;;#ASMEND
	v_add_nc_u32_e32 v2, v2, v27
	s_delay_alu instid0(VALU_DEP_1) | instskip(SKIP_2) | instid1(VALU_DEP_2)
	v_cvt_f32_i32_e32 v16, v2
	v_or_b32_e32 v2, v1, v13
	v_fma_mixlo_f16 v13, v0, v19, 0 op_sel:[0,1,0] op_sel_hi:[0,1,0]
	v_fma_mixlo_f16 v19, v0, v2, 0 op_sel_hi:[0,1,0]
	v_pk_fma_f32 v[2:3], v[86:87], v[96:97], v[14:15]
	v_pk_fma_f32 v[0:1], v[62:63], v[72:73], v[8:9]
	;; [unrolled: 1-line block ×3, first 2 shown]
	v_and_b32_e32 v10, 0xffff, v17
	v_and_b32_e32 v13, 0xffff, v13
	v_pk_fma_f32 v[2:3], v[102:103], v[112:113], v[2:3]
	v_pk_fma_f32 v[0:1], v[78:79], v[90:91], v[0:1]
	;; [unrolled: 1-line block ×3, first 2 shown]
	;;#ASMSTART
	v_cvt_f32_f16 v11, v10;
	;;#ASMEND
	;;#ASMSTART
	v_cvt_f32_f16 v10, v13;
	;;#ASMEND
	v_pk_fma_f32 v[2:3], v[118:119], v[40:41], v[2:3]
	v_pk_fma_f32 v[0:1], v[106:107], v[108:109], v[0:1]
	;; [unrolled: 1-line block ×3, first 2 shown]
	v_and_b32_e32 v13, 0xffff, v4
	v_lshrrev_b32_e32 v4, 16, v4
	v_pk_fma_f32 v[2:3], v[46:47], v[56:57], v[2:3]
	v_pk_fma_f32 v[0:1], v[124:125], v[126:127], v[0:1]
	;; [unrolled: 1-line block ×3, first 2 shown]
	s_delay_alu instid0(VALU_DEP_3) | instskip(NEXT) | instid1(VALU_DEP_3)
	v_pk_fma_f32 v[2:3], v[74:75], v[76:77], v[2:3]
	v_pk_fma_f32 v[0:1], v[6:7], v[10:11], v[0:1]
	;;#ASMSTART
	v_cvt_f32_f16 v7, v13;
	;;#ASMEND
	s_delay_alu instid0(VALU_DEP_3)
	v_pk_fma_f32 v[8:9], v[38:39], v[48:49], v[8:9]
	;;#ASMSTART
	v_cvt_f32_f16 v6, v4;
	;;#ASMEND
	v_pk_fma_f32 v[2:3], v[114:115], v[116:117], v[2:3]
	v_add_f32_e32 v4, v122, v123
	v_and_b32_e32 v10, 0xffff, v19
	v_pk_fma_f32 v[8:9], v[42:43], v[44:45], v[8:9]
	v_and_b32_e32 v13, 0xffff, v18
	v_pk_fma_f32 v[2:3], v[104:105], v[120:121], v[2:3]
	v_add_f32_e32 v1, v4, v1
	;;#ASMSTART
	v_cvt_f32_f16 v11, v10;
	;;#ASMEND
	;;#ASMSTART
	v_cvt_f32_f16 v10, v13;
	;;#ASMEND
	v_pk_fma_f32 v[8:9], v[58:59], v[60:61], v[8:9]
	v_pk_fma_f32 v[2:3], v[6:7], v[10:11], v[2:3]
	v_add_f32_e32 v0, v0, v1
	v_and_b32_e32 v13, 0xffff, v5
	;;#ASMSTART
	v_cvt_f32_f16 v1, v13;
	;;#ASMEND
	v_and_b32_e32 v7, 0xffff, v20
	v_mov_b32_e32 v116, v24
	v_dual_add_f32 v3, v0, v3 :: v_dual_lshrrev_b32 v6, 16, v5
	v_pk_fma_f32 v[4:5], v[34:35], v[36:37], v[8:9]
	v_and_b32_e32 v8, 0xffff, v21
	s_delay_alu instid0(VALU_DEP_4) | instskip(NEXT) | instid1(VALU_DEP_4)
	v_cmp_lt_i32_e64 s1, v27, v116
	v_add_f32_e32 v2, v2, v3
	;;#ASMSTART
	v_cvt_f32_f16 v0, v6;
	;;#ASMEND
	v_pk_fma_f32 v[4:5], v[92:93], v[110:111], v[4:5]
	;;#ASMSTART
	v_cvt_f32_f16 v7, v7;
	;;#ASMEND
	;;#ASMSTART
	v_cvt_f32_f16 v6, v8;
	;;#ASMEND
	s_clause 0x1
	scratch_load_b32 v3, off, s32 offset:260
	scratch_load_b32 v115, off, s32 offset:276
	v_pk_fma_f32 v[0:1], v[0:1], v[6:7], v[4:5]
	v_add_nc_u32_e32 v27, 0x80, v27
	s_delay_alu instid0(VALU_DEP_2) | instskip(NEXT) | instid1(VALU_DEP_1)
	v_add_f32_e32 v1, v2, v1
	v_add_f32_e32 v0, v0, v1
	s_clause 0x1
	scratch_load_b32 v1, off, s32 offset:272
	scratch_load_b32 v23, off, s32 offset:208 th:TH_LOAD_LU
	s_wait_loadcnt 0x3
	v_mul_f32_e32 v3, v3, v16
	s_delay_alu instid0(VALU_DEP_1) | instskip(SKIP_1) | instid1(VALU_DEP_1)
	v_cndmask_b32_e32 v2, 0, v3, vcc_lo
	s_wait_loadcnt 0x0
	v_dual_fmac_f32 v2, v1, v0 :: v_dual_max_num_f32 v0, v23, v23
	s_delay_alu instid0(VALU_DEP_1)
	v_dual_cndmask_b32 v1, 0, v2, s1 :: v_dual_max_num_f32 v0, v0, v2
	v_add_nc_u32_e32 v26, 4, v26
	ds_store_b32 v12, v1
	v_cndmask_b32_e64 v23, v23, v0, s1
	scratch_load_b64 v[0:1], off, s32 offset:212 th:TH_LOAD_LU ; 8-byte Folded Reload
	v_cmp_ge_i32_e64 s1, v26, v115
	v_add_nc_u32_e32 v12, 0x200, v12
	s_or_b32 s7, s1, s7
	s_wait_loadcnt 0x0
	v_add_nc_u64_e32 v[0:1], 16, v[0:1]
	s_wait_xcnt 0x0
	s_and_not1_b32 exec_lo, exec_lo, s7
	s_cbranch_execz .LBB292_775
.LBB292_10:                             ; =>This Inner Loop Header: Depth=1
	scratch_store_b64 off, v[0:1], s32 offset:212 ; 8-byte Folded Spill
	flat_load_b32 v0, v[0:1]
	s_clause 0x1
	scratch_load_b64 v[2:3], off, s32 offset:200
	scratch_load_b64 v[4:5], off, s32 offset:280
	v_dual_mov_b32 v50, v26 :: v_dual_mov_b32 v49, v12
	v_dual_mov_b32 v48, v27 :: v_dual_mov_b32 v35, 0
	s_mov_b32 s15, exec_lo
	s_wait_loadcnt_dscnt 0x0
	v_mad_nc_i64_i32 v[2:3], v0, v2, v[4:5]
	flat_load_b64 v[4:5], v[2:3]
	scratch_load_b64 v[0:1], off, s32 offset:264 ; 8-byte Folded Reload
	s_wait_loadcnt 0x0
	flat_load_b32 v0, v[0:1]
	s_wait_dscnt 0x1
	s_wait_xcnt 0x0
	v_and_b32_e32 v1, 0xff, v4
	s_delay_alu instid0(VALU_DEP_1)
	v_cmpx_ne_u16_e32 0, v1
	s_cbranch_execz .LBB292_18
; %bb.11:                               ;   in Loop: Header=BB292_10 Depth=1
	v_mov_b32_e32 v35, 0x8000
	s_mov_b32 s16, exec_lo
	v_cmpx_ne_u16_e32 0x80, v1
	s_cbranch_execz .LBB292_17
; %bb.12:                               ;   in Loop: Header=BB292_10 Depth=1
	v_and_b32_e32 v7, 0x7f, v4
	v_mov_b32_e32 v35, 0x7c01
	s_mov_b32 s17, exec_lo
	s_delay_alu instid0(VALU_DEP_2)
	v_cmpx_ne_u32_e32 0x7f, v7
	s_cbranch_execz .LBB292_16
; %bb.13:                               ;   in Loop: Header=BB292_10 Depth=1
	v_dual_lshrrev_b32 v6, 3, v7 :: v_dual_bitop2_b32 v1, 7, v4 bitop3:0x40
	s_mov_b32 s18, exec_lo
	v_cmpx_gt_u32_e32 8, v7
; %bb.14:                               ;   in Loop: Header=BB292_10 Depth=1
	s_delay_alu instid0(VALU_DEP_2) | instskip(NEXT) | instid1(VALU_DEP_1)
	v_clz_i32_u32_e32 v1, v1
	v_min_u32_e32 v1, 32, v1
	s_delay_alu instid0(VALU_DEP_1) | instskip(NEXT) | instid1(VALU_DEP_1)
	v_subrev_nc_u32_e32 v6, 28, v1
	v_lshlrev_b64_e32 v[8:9], v6, v[4:5]
	s_delay_alu instid0(VALU_DEP_1)
	v_dual_sub_nc_u32 v6, 29, v1 :: v_dual_bitop2_b32 v1, 7, v8 bitop3:0x40
; %bb.15:                               ;   in Loop: Header=BB292_10 Depth=1
	s_or_b32 exec_lo, exec_lo, s18
	s_delay_alu instid0(VALU_DEP_1) | instskip(NEXT) | instid1(VALU_DEP_2)
	v_dual_lshlrev_b32 v7, 8, v4 :: v_dual_lshlrev_b32 v1, 7, v1
	v_lshl_add_u32 v6, v6, 10, 0x2000
	s_delay_alu instid0(VALU_DEP_2) | instskip(NEXT) | instid1(VALU_DEP_2)
	v_and_b32_e32 v7, 0x8000, v7
	v_and_b32_e32 v6, 0xfc00, v6
	s_delay_alu instid0(VALU_DEP_1)
	v_or3_b32 v35, v7, v6, v1
.LBB292_16:                             ;   in Loop: Header=BB292_10 Depth=1
	s_or_b32 exec_lo, exec_lo, s17
.LBB292_17:                             ;   in Loop: Header=BB292_10 Depth=1
	s_delay_alu instid0(SALU_CYCLE_1)
	s_or_b32 exec_lo, exec_lo, s16
.LBB292_18:                             ;   in Loop: Header=BB292_10 Depth=1
	s_delay_alu instid0(SALU_CYCLE_1) | instskip(SKIP_3) | instid1(VALU_DEP_2)
	s_or_b32 exec_lo, exec_lo, s15
	v_lshrrev_b16 v24, 8, v4
	v_dual_mov_b32 v36, 0 :: v_dual_mov_b32 v37, 0
	s_mov_b32 s15, exec_lo
	v_cmpx_ne_u16_e32 0, v24
	s_cbranch_execz .LBB292_26
; %bb.19:                               ;   in Loop: Header=BB292_10 Depth=1
	v_bfrev_b32_e32 v37, 1
	s_mov_b32 s16, exec_lo
	v_cmpx_ne_u16_e32 0x80, v24
	s_cbranch_execz .LBB292_25
; %bb.20:                               ;   in Loop: Header=BB292_10 Depth=1
	v_and_b32_e32 v1, 0xffff, v24
	v_mov_b32_e32 v37, 0x7c010000
	s_mov_b32 s17, exec_lo
	s_delay_alu instid0(VALU_DEP_2) | instskip(NEXT) | instid1(VALU_DEP_1)
	v_and_b32_e32 v8, 0x7f, v1
	v_cmpx_ne_u32_e32 0x7f, v8
	s_cbranch_execz .LBB292_24
; %bb.21:                               ;   in Loop: Header=BB292_10 Depth=1
	v_dual_lshrrev_b32 v7, 3, v8 :: v_dual_bitop2_b32 v6, 7, v1 bitop3:0x40
	s_mov_b32 s18, exec_lo
	v_cmpx_gt_u32_e32 8, v8
; %bb.22:                               ;   in Loop: Header=BB292_10 Depth=1
	s_delay_alu instid0(VALU_DEP_2) | instskip(NEXT) | instid1(VALU_DEP_1)
	v_clz_i32_u32_e32 v6, v6
	v_min_u32_e32 v8, 32, v6
	s_delay_alu instid0(VALU_DEP_1) | instskip(NEXT) | instid1(VALU_DEP_1)
	v_subrev_nc_u32_e32 v6, 28, v8
	v_lshlrev_b64_e32 v[6:7], v6, v[24:25]
	s_delay_alu instid0(VALU_DEP_1)
	v_dual_sub_nc_u32 v7, 29, v8 :: v_dual_bitop2_b32 v6, 7, v6 bitop3:0x40
; %bb.23:                               ;   in Loop: Header=BB292_10 Depth=1
	s_or_b32 exec_lo, exec_lo, s18
	s_delay_alu instid0(VALU_DEP_1) | instskip(NEXT) | instid1(VALU_DEP_2)
	v_dual_lshlrev_b32 v1, 8, v1 :: v_dual_lshlrev_b32 v6, 23, v6
	v_lshl_add_u32 v7, v7, 10, 0x2000
	s_delay_alu instid0(VALU_DEP_1) | instskip(NEXT) | instid1(VALU_DEP_1)
	v_and_or_b32 v1, 0x8000, v1, v7
	v_lshl_or_b32 v37, v1, 16, v6
.LBB292_24:                             ;   in Loop: Header=BB292_10 Depth=1
	s_or_b32 exec_lo, exec_lo, s17
.LBB292_25:                             ;   in Loop: Header=BB292_10 Depth=1
	s_delay_alu instid0(SALU_CYCLE_1)
	s_or_b32 exec_lo, exec_lo, s16
.LBB292_26:                             ;   in Loop: Header=BB292_10 Depth=1
	s_delay_alu instid0(SALU_CYCLE_1) | instskip(SKIP_2) | instid1(VALU_DEP_1)
	s_or_b32 exec_lo, exec_lo, s15
	v_lshrrev_b32_e32 v8, 16, v4
	s_mov_b32 s15, exec_lo
	v_and_b32_e32 v1, 0xff, v8
	s_delay_alu instid0(VALU_DEP_1)
	v_cmpx_ne_u16_e32 0, v1
	s_cbranch_execz .LBB292_34
; %bb.27:                               ;   in Loop: Header=BB292_10 Depth=1
	v_mov_b32_e32 v36, 0x8000
	s_mov_b32 s16, exec_lo
	v_cmpx_ne_u16_e32 0x80, v1
	s_cbranch_execz .LBB292_33
; %bb.28:                               ;   in Loop: Header=BB292_10 Depth=1
	v_bfe_u32 v7, v4, 16, 7
	v_mov_b32_e32 v36, 0x7c01
	s_mov_b32 s17, exec_lo
	s_delay_alu instid0(VALU_DEP_2)
	v_cmpx_ne_u32_e32 0x7f, v7
	s_cbranch_execz .LBB292_32
; %bb.29:                               ;   in Loop: Header=BB292_10 Depth=1
	v_dual_lshrrev_b32 v6, 3, v7 :: v_dual_bitop2_b32 v1, 7, v8 bitop3:0x40
	s_mov_b32 s18, exec_lo
	v_cmpx_gt_u32_e32 8, v7
; %bb.30:                               ;   in Loop: Header=BB292_10 Depth=1
	s_delay_alu instid0(VALU_DEP_2) | instskip(NEXT) | instid1(VALU_DEP_1)
	v_clz_i32_u32_e32 v1, v1
	v_min_u32_e32 v1, 32, v1
	s_delay_alu instid0(VALU_DEP_1) | instskip(NEXT) | instid1(VALU_DEP_1)
	v_subrev_nc_u32_e32 v6, 28, v1
	v_lshlrev_b64_e32 v[10:11], v6, v[8:9]
	s_delay_alu instid0(VALU_DEP_1)
	v_dual_sub_nc_u32 v6, 29, v1 :: v_dual_bitop2_b32 v1, 7, v10 bitop3:0x40
; %bb.31:                               ;   in Loop: Header=BB292_10 Depth=1
	s_or_b32 exec_lo, exec_lo, s18
	s_delay_alu instid0(VALU_DEP_1) | instskip(NEXT) | instid1(VALU_DEP_2)
	v_dual_lshlrev_b32 v7, 8, v8 :: v_dual_lshlrev_b32 v1, 7, v1
	v_lshl_add_u32 v6, v6, 10, 0x2000
	s_delay_alu instid0(VALU_DEP_2) | instskip(NEXT) | instid1(VALU_DEP_2)
	v_and_b32_e32 v7, 0x8000, v7
	v_and_b32_e32 v6, 0xfc00, v6
	s_delay_alu instid0(VALU_DEP_1)
	v_or3_b32 v36, v7, v6, v1
.LBB292_32:                             ;   in Loop: Header=BB292_10 Depth=1
	s_or_b32 exec_lo, exec_lo, s17
.LBB292_33:                             ;   in Loop: Header=BB292_10 Depth=1
	s_delay_alu instid0(SALU_CYCLE_1)
	s_or_b32 exec_lo, exec_lo, s16
.LBB292_34:                             ;   in Loop: Header=BB292_10 Depth=1
	s_delay_alu instid0(SALU_CYCLE_1)
	s_or_b32 exec_lo, exec_lo, s15
	v_dual_mov_b32 v30, 0 :: v_dual_mov_b32 v31, 0
	s_mov_b32 s15, exec_lo
	v_cmpx_lt_u32_e32 0xffffff, v4
	s_cbranch_execz .LBB292_42
; %bb.35:                               ;   in Loop: Header=BB292_10 Depth=1
	v_lshrrev_b32_e32 v24, 24, v4
	v_bfrev_b32_e32 v31, 1
	s_mov_b32 s16, exec_lo
	s_delay_alu instid0(VALU_DEP_2)
	v_cmpx_ne_u32_e32 0x80, v24
	s_cbranch_execz .LBB292_41
; %bb.36:                               ;   in Loop: Header=BB292_10 Depth=1
	v_and_b32_e32 v7, 0x7f, v24
	v_mov_b32_e32 v31, 0x7c010000
	s_mov_b32 s17, exec_lo
	s_delay_alu instid0(VALU_DEP_2)
	v_cmpx_ne_u32_e32 0x7f, v7
	s_cbranch_execz .LBB292_40
; %bb.37:                               ;   in Loop: Header=BB292_10 Depth=1
	v_dual_lshrrev_b32 v6, 3, v7 :: v_dual_bitop2_b32 v1, 7, v24 bitop3:0x40
	s_mov_b32 s18, exec_lo
	v_cmpx_gt_u32_e32 8, v7
; %bb.38:                               ;   in Loop: Header=BB292_10 Depth=1
	s_delay_alu instid0(VALU_DEP_2) | instskip(NEXT) | instid1(VALU_DEP_1)
	v_clz_i32_u32_e32 v1, v1
	v_min_u32_e32 v1, 32, v1
	s_delay_alu instid0(VALU_DEP_1) | instskip(NEXT) | instid1(VALU_DEP_1)
	v_subrev_nc_u32_e32 v6, 28, v1
	v_lshlrev_b64_e32 v[8:9], v6, v[24:25]
	s_delay_alu instid0(VALU_DEP_1)
	v_dual_sub_nc_u32 v6, 29, v1 :: v_dual_bitop2_b32 v1, 7, v8 bitop3:0x40
; %bb.39:                               ;   in Loop: Header=BB292_10 Depth=1
	s_or_b32 exec_lo, exec_lo, s18
	s_delay_alu instid0(VALU_DEP_1) | instskip(NEXT) | instid1(VALU_DEP_2)
	v_dual_lshlrev_b32 v7, 8, v24 :: v_dual_lshlrev_b32 v1, 23, v1
	v_lshl_add_u32 v6, v6, 10, 0x2000
	s_delay_alu instid0(VALU_DEP_1) | instskip(NEXT) | instid1(VALU_DEP_1)
	v_and_or_b32 v6, 0x8000, v7, v6
	v_lshl_or_b32 v31, v6, 16, v1
.LBB292_40:                             ;   in Loop: Header=BB292_10 Depth=1
	s_or_b32 exec_lo, exec_lo, s17
.LBB292_41:                             ;   in Loop: Header=BB292_10 Depth=1
	s_delay_alu instid0(SALU_CYCLE_1)
	s_or_b32 exec_lo, exec_lo, s16
.LBB292_42:                             ;   in Loop: Header=BB292_10 Depth=1
	s_delay_alu instid0(SALU_CYCLE_1) | instskip(SKIP_3) | instid1(VALU_DEP_2)
	s_or_b32 exec_lo, exec_lo, s15
	v_and_b32_e32 v1, 0xff, v5
	v_mov_b32_e32 v24, v5
	s_mov_b32 s15, exec_lo
	v_cmpx_ne_u16_e32 0, v1
	s_cbranch_execz .LBB292_50
; %bb.43:                               ;   in Loop: Header=BB292_10 Depth=1
	v_mov_b32_e32 v30, 0x8000
	s_mov_b32 s16, exec_lo
	v_cmpx_ne_u16_e32 0x80, v1
	s_cbranch_execz .LBB292_49
; %bb.44:                               ;   in Loop: Header=BB292_10 Depth=1
	v_and_b32_e32 v7, 0x7f, v5
	v_mov_b32_e32 v30, 0x7c01
	s_mov_b32 s17, exec_lo
	s_delay_alu instid0(VALU_DEP_2)
	v_cmpx_ne_u32_e32 0x7f, v7
	s_cbranch_execz .LBB292_48
; %bb.45:                               ;   in Loop: Header=BB292_10 Depth=1
	v_dual_lshrrev_b32 v6, 3, v7 :: v_dual_bitop2_b32 v1, 7, v5 bitop3:0x40
	s_mov_b32 s18, exec_lo
	v_cmpx_gt_u32_e32 8, v7
; %bb.46:                               ;   in Loop: Header=BB292_10 Depth=1
	s_delay_alu instid0(VALU_DEP_2) | instskip(NEXT) | instid1(VALU_DEP_1)
	v_clz_i32_u32_e32 v1, v1
	v_min_u32_e32 v1, 32, v1
	s_delay_alu instid0(VALU_DEP_1) | instskip(NEXT) | instid1(VALU_DEP_1)
	v_subrev_nc_u32_e32 v6, 28, v1
	v_lshlrev_b64_e32 v[8:9], v6, v[24:25]
	s_delay_alu instid0(VALU_DEP_1)
	v_dual_sub_nc_u32 v6, 29, v1 :: v_dual_bitop2_b32 v1, 7, v8 bitop3:0x40
; %bb.47:                               ;   in Loop: Header=BB292_10 Depth=1
	s_or_b32 exec_lo, exec_lo, s18
	v_lshlrev_b32_e32 v7, 8, v5
	s_delay_alu instid0(VALU_DEP_2) | instskip(NEXT) | instid1(VALU_DEP_3)
	v_lshl_add_u32 v6, v6, 10, 0x2000
	v_lshlrev_b32_e32 v1, 7, v1
	s_delay_alu instid0(VALU_DEP_3) | instskip(NEXT) | instid1(VALU_DEP_3)
	v_and_b32_e32 v7, 0x8000, v7
	v_and_b32_e32 v6, 0xfc00, v6
	s_delay_alu instid0(VALU_DEP_1)
	v_or3_b32 v30, v7, v6, v1
.LBB292_48:                             ;   in Loop: Header=BB292_10 Depth=1
	s_or_b32 exec_lo, exec_lo, s17
.LBB292_49:                             ;   in Loop: Header=BB292_10 Depth=1
	s_delay_alu instid0(SALU_CYCLE_1)
	s_or_b32 exec_lo, exec_lo, s16
.LBB292_50:                             ;   in Loop: Header=BB292_10 Depth=1
	s_delay_alu instid0(SALU_CYCLE_1) | instskip(SKIP_3) | instid1(VALU_DEP_2)
	s_or_b32 exec_lo, exec_lo, s15
	v_lshrrev_b16 v24, 8, v24
	v_dual_mov_b32 v33, 0 :: v_dual_mov_b32 v32, 0
	s_mov_b32 s15, exec_lo
	v_cmpx_ne_u16_e32 0, v24
	s_cbranch_execz .LBB292_58
; %bb.51:                               ;   in Loop: Header=BB292_10 Depth=1
	v_bfrev_b32_e32 v32, 1
	s_mov_b32 s16, exec_lo
	v_cmpx_ne_u16_e32 0x80, v24
	s_cbranch_execz .LBB292_57
; %bb.52:                               ;   in Loop: Header=BB292_10 Depth=1
	v_and_b32_e32 v1, 0xffff, v24
	v_mov_b32_e32 v32, 0x7c010000
	s_mov_b32 s17, exec_lo
	s_delay_alu instid0(VALU_DEP_2) | instskip(NEXT) | instid1(VALU_DEP_1)
	v_and_b32_e32 v8, 0x7f, v1
	v_cmpx_ne_u32_e32 0x7f, v8
	s_cbranch_execz .LBB292_56
; %bb.53:                               ;   in Loop: Header=BB292_10 Depth=1
	v_dual_lshrrev_b32 v7, 3, v8 :: v_dual_bitop2_b32 v6, 7, v1 bitop3:0x40
	s_mov_b32 s18, exec_lo
	v_cmpx_gt_u32_e32 8, v8
; %bb.54:                               ;   in Loop: Header=BB292_10 Depth=1
	s_delay_alu instid0(VALU_DEP_2) | instskip(NEXT) | instid1(VALU_DEP_1)
	v_clz_i32_u32_e32 v6, v6
	v_min_u32_e32 v8, 32, v6
	s_delay_alu instid0(VALU_DEP_1) | instskip(NEXT) | instid1(VALU_DEP_1)
	v_subrev_nc_u32_e32 v6, 28, v8
	v_lshlrev_b64_e32 v[6:7], v6, v[24:25]
	s_delay_alu instid0(VALU_DEP_1)
	v_dual_sub_nc_u32 v7, 29, v8 :: v_dual_bitop2_b32 v6, 7, v6 bitop3:0x40
; %bb.55:                               ;   in Loop: Header=BB292_10 Depth=1
	s_or_b32 exec_lo, exec_lo, s18
	s_delay_alu instid0(VALU_DEP_1) | instskip(NEXT) | instid1(VALU_DEP_2)
	v_dual_lshlrev_b32 v1, 8, v1 :: v_dual_lshlrev_b32 v6, 23, v6
	v_lshl_add_u32 v7, v7, 10, 0x2000
	s_delay_alu instid0(VALU_DEP_1) | instskip(NEXT) | instid1(VALU_DEP_1)
	v_and_or_b32 v1, 0x8000, v1, v7
	v_lshl_or_b32 v32, v1, 16, v6
.LBB292_56:                             ;   in Loop: Header=BB292_10 Depth=1
	s_or_b32 exec_lo, exec_lo, s17
.LBB292_57:                             ;   in Loop: Header=BB292_10 Depth=1
	s_delay_alu instid0(SALU_CYCLE_1)
	s_or_b32 exec_lo, exec_lo, s16
.LBB292_58:                             ;   in Loop: Header=BB292_10 Depth=1
	s_delay_alu instid0(SALU_CYCLE_1) | instskip(SKIP_2) | instid1(VALU_DEP_1)
	s_or_b32 exec_lo, exec_lo, s15
	v_lshrrev_b32_e32 v8, 16, v5
	s_mov_b32 s15, exec_lo
	v_and_b32_e32 v1, 0xff, v8
	s_delay_alu instid0(VALU_DEP_1)
	v_cmpx_ne_u16_e32 0, v1
	s_cbranch_execz .LBB292_66
; %bb.59:                               ;   in Loop: Header=BB292_10 Depth=1
	v_mov_b32_e32 v33, 0x8000
	s_mov_b32 s16, exec_lo
	v_cmpx_ne_u16_e32 0x80, v1
	s_cbranch_execz .LBB292_65
; %bb.60:                               ;   in Loop: Header=BB292_10 Depth=1
	v_bfe_u32 v7, v5, 16, 7
	v_mov_b32_e32 v33, 0x7c01
	s_mov_b32 s17, exec_lo
	s_delay_alu instid0(VALU_DEP_2)
	v_cmpx_ne_u32_e32 0x7f, v7
	s_cbranch_execz .LBB292_64
; %bb.61:                               ;   in Loop: Header=BB292_10 Depth=1
	v_dual_lshrrev_b32 v6, 3, v7 :: v_dual_bitop2_b32 v1, 7, v8 bitop3:0x40
	s_mov_b32 s18, exec_lo
	v_cmpx_gt_u32_e32 8, v7
; %bb.62:                               ;   in Loop: Header=BB292_10 Depth=1
	s_delay_alu instid0(VALU_DEP_2) | instskip(NEXT) | instid1(VALU_DEP_1)
	v_clz_i32_u32_e32 v1, v1
	v_min_u32_e32 v1, 32, v1
	s_delay_alu instid0(VALU_DEP_1) | instskip(NEXT) | instid1(VALU_DEP_1)
	v_subrev_nc_u32_e32 v6, 28, v1
	v_lshlrev_b64_e32 v[10:11], v6, v[8:9]
	s_delay_alu instid0(VALU_DEP_1)
	v_dual_sub_nc_u32 v6, 29, v1 :: v_dual_bitop2_b32 v1, 7, v10 bitop3:0x40
; %bb.63:                               ;   in Loop: Header=BB292_10 Depth=1
	s_or_b32 exec_lo, exec_lo, s18
	s_delay_alu instid0(VALU_DEP_1) | instskip(NEXT) | instid1(VALU_DEP_2)
	v_dual_lshlrev_b32 v7, 8, v8 :: v_dual_lshlrev_b32 v1, 7, v1
	v_lshl_add_u32 v6, v6, 10, 0x2000
	s_delay_alu instid0(VALU_DEP_2) | instskip(NEXT) | instid1(VALU_DEP_2)
	v_and_b32_e32 v7, 0x8000, v7
	v_and_b32_e32 v6, 0xfc00, v6
	s_delay_alu instid0(VALU_DEP_1)
	v_or3_b32 v33, v7, v6, v1
.LBB292_64:                             ;   in Loop: Header=BB292_10 Depth=1
	s_or_b32 exec_lo, exec_lo, s17
.LBB292_65:                             ;   in Loop: Header=BB292_10 Depth=1
	s_delay_alu instid0(SALU_CYCLE_1)
	s_or_b32 exec_lo, exec_lo, s16
.LBB292_66:                             ;   in Loop: Header=BB292_10 Depth=1
	s_delay_alu instid0(SALU_CYCLE_1)
	s_or_b32 exec_lo, exec_lo, s15
	v_dual_mov_b32 v64, 0 :: v_dual_mov_b32 v34, 0
	s_mov_b32 s15, exec_lo
	v_cmpx_lt_u64_e64 s[2:3], v[4:5]
	s_cbranch_execz .LBB292_74
; %bb.67:                               ;   in Loop: Header=BB292_10 Depth=1
	v_lshrrev_b32_e32 v24, 24, v5
	v_bfrev_b32_e32 v34, 1
	s_mov_b32 s16, exec_lo
	s_delay_alu instid0(VALU_DEP_2)
	v_cmpx_ne_u32_e32 0x80, v24
	s_cbranch_execz .LBB292_73
; %bb.68:                               ;   in Loop: Header=BB292_10 Depth=1
	v_and_b32_e32 v5, 0x7f, v24
	v_mov_b32_e32 v34, 0x7c010000
	s_mov_b32 s17, exec_lo
	s_delay_alu instid0(VALU_DEP_2)
	v_cmpx_ne_u32_e32 0x7f, v5
	s_cbranch_execz .LBB292_72
; %bb.69:                               ;   in Loop: Header=BB292_10 Depth=1
	v_dual_lshrrev_b32 v4, 3, v5 :: v_dual_bitop2_b32 v1, 7, v24 bitop3:0x40
	s_mov_b32 s18, exec_lo
	v_cmpx_gt_u32_e32 8, v5
; %bb.70:                               ;   in Loop: Header=BB292_10 Depth=1
	s_delay_alu instid0(VALU_DEP_2) | instskip(NEXT) | instid1(VALU_DEP_1)
	v_clz_i32_u32_e32 v1, v1
	v_min_u32_e32 v1, 32, v1
	s_delay_alu instid0(VALU_DEP_1) | instskip(NEXT) | instid1(VALU_DEP_1)
	v_subrev_nc_u32_e32 v4, 28, v1
	v_lshlrev_b64_e32 v[6:7], v4, v[24:25]
	s_delay_alu instid0(VALU_DEP_1)
	v_dual_sub_nc_u32 v4, 29, v1 :: v_dual_bitop2_b32 v1, 7, v6 bitop3:0x40
; %bb.71:                               ;   in Loop: Header=BB292_10 Depth=1
	s_or_b32 exec_lo, exec_lo, s18
	s_delay_alu instid0(VALU_DEP_1) | instskip(NEXT) | instid1(VALU_DEP_2)
	v_dual_lshlrev_b32 v5, 8, v24 :: v_dual_lshlrev_b32 v1, 23, v1
	v_lshl_add_u32 v4, v4, 10, 0x2000
	s_delay_alu instid0(VALU_DEP_1) | instskip(NEXT) | instid1(VALU_DEP_1)
	v_and_or_b32 v4, 0x8000, v5, v4
	v_lshl_or_b32 v34, v4, 16, v1
.LBB292_72:                             ;   in Loop: Header=BB292_10 Depth=1
	s_or_b32 exec_lo, exec_lo, s17
.LBB292_73:                             ;   in Loop: Header=BB292_10 Depth=1
	s_delay_alu instid0(SALU_CYCLE_1)
	s_or_b32 exec_lo, exec_lo, s16
.LBB292_74:                             ;   in Loop: Header=BB292_10 Depth=1
	s_delay_alu instid0(SALU_CYCLE_1)
	s_or_b32 exec_lo, exec_lo, s15
	flat_load_b64 v[4:5], v[2:3] offset:8
	s_mov_b32 s15, exec_lo
	s_wait_loadcnt_dscnt 0x0
	v_and_b32_e32 v1, 0xff, v4
	s_wait_xcnt 0x0
	s_delay_alu instid0(VALU_DEP_1)
	v_cmpx_ne_u16_e32 0, v1
	s_cbranch_execz .LBB292_82
; %bb.75:                               ;   in Loop: Header=BB292_10 Depth=1
	v_mov_b32_e32 v64, 0x8000
	s_mov_b32 s16, exec_lo
	v_cmpx_ne_u16_e32 0x80, v1
	s_cbranch_execz .LBB292_81
; %bb.76:                               ;   in Loop: Header=BB292_10 Depth=1
	v_and_b32_e32 v7, 0x7f, v4
	v_mov_b32_e32 v64, 0x7c01
	s_mov_b32 s17, exec_lo
	s_delay_alu instid0(VALU_DEP_2)
	v_cmpx_ne_u32_e32 0x7f, v7
	s_cbranch_execz .LBB292_80
; %bb.77:                               ;   in Loop: Header=BB292_10 Depth=1
	v_dual_lshrrev_b32 v6, 3, v7 :: v_dual_bitop2_b32 v1, 7, v4 bitop3:0x40
	s_mov_b32 s18, exec_lo
	v_cmpx_gt_u32_e32 8, v7
; %bb.78:                               ;   in Loop: Header=BB292_10 Depth=1
	s_delay_alu instid0(VALU_DEP_2) | instskip(NEXT) | instid1(VALU_DEP_1)
	v_clz_i32_u32_e32 v1, v1
	v_min_u32_e32 v1, 32, v1
	s_delay_alu instid0(VALU_DEP_1) | instskip(NEXT) | instid1(VALU_DEP_1)
	v_subrev_nc_u32_e32 v6, 28, v1
	v_lshlrev_b64_e32 v[8:9], v6, v[4:5]
	s_delay_alu instid0(VALU_DEP_1)
	v_dual_sub_nc_u32 v6, 29, v1 :: v_dual_bitop2_b32 v1, 7, v8 bitop3:0x40
; %bb.79:                               ;   in Loop: Header=BB292_10 Depth=1
	s_or_b32 exec_lo, exec_lo, s18
	s_delay_alu instid0(VALU_DEP_1) | instskip(NEXT) | instid1(VALU_DEP_2)
	v_dual_lshlrev_b32 v7, 8, v4 :: v_dual_lshlrev_b32 v1, 7, v1
	v_lshl_add_u32 v6, v6, 10, 0x2000
	s_delay_alu instid0(VALU_DEP_2) | instskip(NEXT) | instid1(VALU_DEP_2)
	v_and_b32_e32 v7, 0x8000, v7
	v_and_b32_e32 v6, 0xfc00, v6
	s_delay_alu instid0(VALU_DEP_1)
	v_or3_b32 v64, v7, v6, v1
.LBB292_80:                             ;   in Loop: Header=BB292_10 Depth=1
	s_or_b32 exec_lo, exec_lo, s17
.LBB292_81:                             ;   in Loop: Header=BB292_10 Depth=1
	s_delay_alu instid0(SALU_CYCLE_1)
	s_or_b32 exec_lo, exec_lo, s16
.LBB292_82:                             ;   in Loop: Header=BB292_10 Depth=1
	s_delay_alu instid0(SALU_CYCLE_1) | instskip(SKIP_3) | instid1(VALU_DEP_2)
	s_or_b32 exec_lo, exec_lo, s15
	v_lshrrev_b16 v24, 8, v4
	v_dual_mov_b32 v66, 0 :: v_dual_mov_b32 v65, 0
	s_mov_b32 s15, exec_lo
	v_cmpx_ne_u16_e32 0, v24
	s_cbranch_execz .LBB292_90
; %bb.83:                               ;   in Loop: Header=BB292_10 Depth=1
	v_bfrev_b32_e32 v65, 1
	s_mov_b32 s16, exec_lo
	v_cmpx_ne_u16_e32 0x80, v24
	s_cbranch_execz .LBB292_89
; %bb.84:                               ;   in Loop: Header=BB292_10 Depth=1
	v_and_b32_e32 v1, 0xffff, v24
	v_mov_b32_e32 v65, 0x7c010000
	s_mov_b32 s17, exec_lo
	s_delay_alu instid0(VALU_DEP_2) | instskip(NEXT) | instid1(VALU_DEP_1)
	v_and_b32_e32 v8, 0x7f, v1
	v_cmpx_ne_u32_e32 0x7f, v8
	s_cbranch_execz .LBB292_88
; %bb.85:                               ;   in Loop: Header=BB292_10 Depth=1
	v_dual_lshrrev_b32 v7, 3, v8 :: v_dual_bitop2_b32 v6, 7, v1 bitop3:0x40
	s_mov_b32 s18, exec_lo
	v_cmpx_gt_u32_e32 8, v8
; %bb.86:                               ;   in Loop: Header=BB292_10 Depth=1
	s_delay_alu instid0(VALU_DEP_2) | instskip(NEXT) | instid1(VALU_DEP_1)
	v_clz_i32_u32_e32 v6, v6
	v_min_u32_e32 v8, 32, v6
	s_delay_alu instid0(VALU_DEP_1) | instskip(NEXT) | instid1(VALU_DEP_1)
	v_subrev_nc_u32_e32 v6, 28, v8
	v_lshlrev_b64_e32 v[6:7], v6, v[24:25]
	s_delay_alu instid0(VALU_DEP_1)
	v_dual_sub_nc_u32 v7, 29, v8 :: v_dual_bitop2_b32 v6, 7, v6 bitop3:0x40
; %bb.87:                               ;   in Loop: Header=BB292_10 Depth=1
	s_or_b32 exec_lo, exec_lo, s18
	s_delay_alu instid0(VALU_DEP_1) | instskip(NEXT) | instid1(VALU_DEP_2)
	v_dual_lshlrev_b32 v1, 8, v1 :: v_dual_lshlrev_b32 v6, 23, v6
	v_lshl_add_u32 v7, v7, 10, 0x2000
	s_delay_alu instid0(VALU_DEP_1) | instskip(NEXT) | instid1(VALU_DEP_1)
	v_and_or_b32 v1, 0x8000, v1, v7
	v_lshl_or_b32 v65, v1, 16, v6
.LBB292_88:                             ;   in Loop: Header=BB292_10 Depth=1
	s_or_b32 exec_lo, exec_lo, s17
.LBB292_89:                             ;   in Loop: Header=BB292_10 Depth=1
	s_delay_alu instid0(SALU_CYCLE_1)
	s_or_b32 exec_lo, exec_lo, s16
.LBB292_90:                             ;   in Loop: Header=BB292_10 Depth=1
	s_delay_alu instid0(SALU_CYCLE_1) | instskip(SKIP_2) | instid1(VALU_DEP_1)
	s_or_b32 exec_lo, exec_lo, s15
	v_lshrrev_b32_e32 v8, 16, v4
	s_mov_b32 s15, exec_lo
	v_and_b32_e32 v1, 0xff, v8
	s_delay_alu instid0(VALU_DEP_1)
	v_cmpx_ne_u16_e32 0, v1
	s_cbranch_execz .LBB292_98
; %bb.91:                               ;   in Loop: Header=BB292_10 Depth=1
	v_mov_b32_e32 v66, 0x8000
	s_mov_b32 s16, exec_lo
	v_cmpx_ne_u16_e32 0x80, v1
	s_cbranch_execz .LBB292_97
; %bb.92:                               ;   in Loop: Header=BB292_10 Depth=1
	v_bfe_u32 v7, v4, 16, 7
	v_mov_b32_e32 v66, 0x7c01
	s_mov_b32 s17, exec_lo
	s_delay_alu instid0(VALU_DEP_2)
	v_cmpx_ne_u32_e32 0x7f, v7
	s_cbranch_execz .LBB292_96
; %bb.93:                               ;   in Loop: Header=BB292_10 Depth=1
	v_dual_lshrrev_b32 v6, 3, v7 :: v_dual_bitop2_b32 v1, 7, v8 bitop3:0x40
	s_mov_b32 s18, exec_lo
	v_cmpx_gt_u32_e32 8, v7
; %bb.94:                               ;   in Loop: Header=BB292_10 Depth=1
	s_delay_alu instid0(VALU_DEP_2) | instskip(NEXT) | instid1(VALU_DEP_1)
	v_clz_i32_u32_e32 v1, v1
	v_min_u32_e32 v1, 32, v1
	s_delay_alu instid0(VALU_DEP_1) | instskip(NEXT) | instid1(VALU_DEP_1)
	v_subrev_nc_u32_e32 v6, 28, v1
	v_lshlrev_b64_e32 v[10:11], v6, v[8:9]
	s_delay_alu instid0(VALU_DEP_1)
	v_dual_sub_nc_u32 v6, 29, v1 :: v_dual_bitop2_b32 v1, 7, v10 bitop3:0x40
; %bb.95:                               ;   in Loop: Header=BB292_10 Depth=1
	s_or_b32 exec_lo, exec_lo, s18
	s_delay_alu instid0(VALU_DEP_1) | instskip(NEXT) | instid1(VALU_DEP_2)
	v_dual_lshlrev_b32 v7, 8, v8 :: v_dual_lshlrev_b32 v1, 7, v1
	v_lshl_add_u32 v6, v6, 10, 0x2000
	s_delay_alu instid0(VALU_DEP_2) | instskip(NEXT) | instid1(VALU_DEP_2)
	v_and_b32_e32 v7, 0x8000, v7
	v_and_b32_e32 v6, 0xfc00, v6
	s_delay_alu instid0(VALU_DEP_1)
	v_or3_b32 v66, v7, v6, v1
.LBB292_96:                             ;   in Loop: Header=BB292_10 Depth=1
	s_or_b32 exec_lo, exec_lo, s17
.LBB292_97:                             ;   in Loop: Header=BB292_10 Depth=1
	s_delay_alu instid0(SALU_CYCLE_1)
	s_or_b32 exec_lo, exec_lo, s16
.LBB292_98:                             ;   in Loop: Header=BB292_10 Depth=1
	s_delay_alu instid0(SALU_CYCLE_1)
	s_or_b32 exec_lo, exec_lo, s15
	v_dual_mov_b32 v67, 0 :: v_dual_mov_b32 v68, 0
	s_mov_b32 s15, exec_lo
	v_cmpx_lt_u32_e32 0xffffff, v4
	s_cbranch_execz .LBB292_106
; %bb.99:                               ;   in Loop: Header=BB292_10 Depth=1
	v_lshrrev_b32_e32 v24, 24, v4
	v_bfrev_b32_e32 v68, 1
	s_mov_b32 s16, exec_lo
	s_delay_alu instid0(VALU_DEP_2)
	v_cmpx_ne_u32_e32 0x80, v24
	s_cbranch_execz .LBB292_105
; %bb.100:                              ;   in Loop: Header=BB292_10 Depth=1
	v_and_b32_e32 v7, 0x7f, v24
	v_mov_b32_e32 v68, 0x7c010000
	s_mov_b32 s17, exec_lo
	s_delay_alu instid0(VALU_DEP_2)
	v_cmpx_ne_u32_e32 0x7f, v7
	s_cbranch_execz .LBB292_104
; %bb.101:                              ;   in Loop: Header=BB292_10 Depth=1
	v_dual_lshrrev_b32 v6, 3, v7 :: v_dual_bitop2_b32 v1, 7, v24 bitop3:0x40
	s_mov_b32 s18, exec_lo
	v_cmpx_gt_u32_e32 8, v7
; %bb.102:                              ;   in Loop: Header=BB292_10 Depth=1
	s_delay_alu instid0(VALU_DEP_2) | instskip(NEXT) | instid1(VALU_DEP_1)
	v_clz_i32_u32_e32 v1, v1
	v_min_u32_e32 v1, 32, v1
	s_delay_alu instid0(VALU_DEP_1) | instskip(NEXT) | instid1(VALU_DEP_1)
	v_subrev_nc_u32_e32 v6, 28, v1
	v_lshlrev_b64_e32 v[8:9], v6, v[24:25]
	s_delay_alu instid0(VALU_DEP_1)
	v_dual_sub_nc_u32 v6, 29, v1 :: v_dual_bitop2_b32 v1, 7, v8 bitop3:0x40
; %bb.103:                              ;   in Loop: Header=BB292_10 Depth=1
	s_or_b32 exec_lo, exec_lo, s18
	s_delay_alu instid0(VALU_DEP_1) | instskip(NEXT) | instid1(VALU_DEP_2)
	v_dual_lshlrev_b32 v7, 8, v24 :: v_dual_lshlrev_b32 v1, 23, v1
	v_lshl_add_u32 v6, v6, 10, 0x2000
	s_delay_alu instid0(VALU_DEP_1) | instskip(NEXT) | instid1(VALU_DEP_1)
	v_and_or_b32 v6, 0x8000, v7, v6
	v_lshl_or_b32 v68, v6, 16, v1
.LBB292_104:                            ;   in Loop: Header=BB292_10 Depth=1
	s_or_b32 exec_lo, exec_lo, s17
.LBB292_105:                            ;   in Loop: Header=BB292_10 Depth=1
	s_delay_alu instid0(SALU_CYCLE_1)
	s_or_b32 exec_lo, exec_lo, s16
.LBB292_106:                            ;   in Loop: Header=BB292_10 Depth=1
	s_delay_alu instid0(SALU_CYCLE_1) | instskip(SKIP_3) | instid1(VALU_DEP_2)
	s_or_b32 exec_lo, exec_lo, s15
	v_and_b32_e32 v1, 0xff, v5
	v_mov_b32_e32 v24, v5
	s_mov_b32 s15, exec_lo
	v_cmpx_ne_u16_e32 0, v1
	s_cbranch_execz .LBB292_114
; %bb.107:                              ;   in Loop: Header=BB292_10 Depth=1
	v_mov_b32_e32 v67, 0x8000
	s_mov_b32 s16, exec_lo
	v_cmpx_ne_u16_e32 0x80, v1
	s_cbranch_execz .LBB292_113
; %bb.108:                              ;   in Loop: Header=BB292_10 Depth=1
	v_and_b32_e32 v7, 0x7f, v5
	v_mov_b32_e32 v67, 0x7c01
	s_mov_b32 s17, exec_lo
	s_delay_alu instid0(VALU_DEP_2)
	v_cmpx_ne_u32_e32 0x7f, v7
	s_cbranch_execz .LBB292_112
; %bb.109:                              ;   in Loop: Header=BB292_10 Depth=1
	v_dual_lshrrev_b32 v6, 3, v7 :: v_dual_bitop2_b32 v1, 7, v5 bitop3:0x40
	s_mov_b32 s18, exec_lo
	v_cmpx_gt_u32_e32 8, v7
; %bb.110:                              ;   in Loop: Header=BB292_10 Depth=1
	s_delay_alu instid0(VALU_DEP_2) | instskip(NEXT) | instid1(VALU_DEP_1)
	v_clz_i32_u32_e32 v1, v1
	v_min_u32_e32 v1, 32, v1
	s_delay_alu instid0(VALU_DEP_1) | instskip(NEXT) | instid1(VALU_DEP_1)
	v_subrev_nc_u32_e32 v6, 28, v1
	v_lshlrev_b64_e32 v[8:9], v6, v[24:25]
	s_delay_alu instid0(VALU_DEP_1)
	v_dual_sub_nc_u32 v6, 29, v1 :: v_dual_bitop2_b32 v1, 7, v8 bitop3:0x40
; %bb.111:                              ;   in Loop: Header=BB292_10 Depth=1
	s_or_b32 exec_lo, exec_lo, s18
	v_lshlrev_b32_e32 v7, 8, v5
	s_delay_alu instid0(VALU_DEP_2) | instskip(NEXT) | instid1(VALU_DEP_3)
	v_lshl_add_u32 v6, v6, 10, 0x2000
	v_lshlrev_b32_e32 v1, 7, v1
	s_delay_alu instid0(VALU_DEP_3) | instskip(NEXT) | instid1(VALU_DEP_3)
	v_and_b32_e32 v7, 0x8000, v7
	v_and_b32_e32 v6, 0xfc00, v6
	s_delay_alu instid0(VALU_DEP_1)
	v_or3_b32 v67, v7, v6, v1
.LBB292_112:                            ;   in Loop: Header=BB292_10 Depth=1
	s_or_b32 exec_lo, exec_lo, s17
.LBB292_113:                            ;   in Loop: Header=BB292_10 Depth=1
	s_delay_alu instid0(SALU_CYCLE_1)
	s_or_b32 exec_lo, exec_lo, s16
.LBB292_114:                            ;   in Loop: Header=BB292_10 Depth=1
	s_delay_alu instid0(SALU_CYCLE_1) | instskip(SKIP_3) | instid1(VALU_DEP_2)
	s_or_b32 exec_lo, exec_lo, s15
	v_lshrrev_b16 v24, 8, v24
	v_dual_mov_b32 v70, 0 :: v_dual_mov_b32 v69, 0
	s_mov_b32 s15, exec_lo
	v_cmpx_ne_u16_e32 0, v24
	s_cbranch_execz .LBB292_122
; %bb.115:                              ;   in Loop: Header=BB292_10 Depth=1
	v_bfrev_b32_e32 v69, 1
	s_mov_b32 s16, exec_lo
	v_cmpx_ne_u16_e32 0x80, v24
	s_cbranch_execz .LBB292_121
; %bb.116:                              ;   in Loop: Header=BB292_10 Depth=1
	v_and_b32_e32 v1, 0xffff, v24
	v_mov_b32_e32 v69, 0x7c010000
	s_mov_b32 s17, exec_lo
	s_delay_alu instid0(VALU_DEP_2) | instskip(NEXT) | instid1(VALU_DEP_1)
	v_and_b32_e32 v8, 0x7f, v1
	v_cmpx_ne_u32_e32 0x7f, v8
	s_cbranch_execz .LBB292_120
; %bb.117:                              ;   in Loop: Header=BB292_10 Depth=1
	v_dual_lshrrev_b32 v7, 3, v8 :: v_dual_bitop2_b32 v6, 7, v1 bitop3:0x40
	s_mov_b32 s18, exec_lo
	v_cmpx_gt_u32_e32 8, v8
; %bb.118:                              ;   in Loop: Header=BB292_10 Depth=1
	s_delay_alu instid0(VALU_DEP_2) | instskip(NEXT) | instid1(VALU_DEP_1)
	v_clz_i32_u32_e32 v6, v6
	v_min_u32_e32 v8, 32, v6
	s_delay_alu instid0(VALU_DEP_1) | instskip(NEXT) | instid1(VALU_DEP_1)
	v_subrev_nc_u32_e32 v6, 28, v8
	v_lshlrev_b64_e32 v[6:7], v6, v[24:25]
	s_delay_alu instid0(VALU_DEP_1)
	v_dual_sub_nc_u32 v7, 29, v8 :: v_dual_bitop2_b32 v6, 7, v6 bitop3:0x40
; %bb.119:                              ;   in Loop: Header=BB292_10 Depth=1
	s_or_b32 exec_lo, exec_lo, s18
	s_delay_alu instid0(VALU_DEP_1) | instskip(NEXT) | instid1(VALU_DEP_2)
	v_dual_lshlrev_b32 v1, 8, v1 :: v_dual_lshlrev_b32 v6, 23, v6
	v_lshl_add_u32 v7, v7, 10, 0x2000
	s_delay_alu instid0(VALU_DEP_1) | instskip(NEXT) | instid1(VALU_DEP_1)
	v_and_or_b32 v1, 0x8000, v1, v7
	v_lshl_or_b32 v69, v1, 16, v6
.LBB292_120:                            ;   in Loop: Header=BB292_10 Depth=1
	s_or_b32 exec_lo, exec_lo, s17
.LBB292_121:                            ;   in Loop: Header=BB292_10 Depth=1
	s_delay_alu instid0(SALU_CYCLE_1)
	s_or_b32 exec_lo, exec_lo, s16
.LBB292_122:                            ;   in Loop: Header=BB292_10 Depth=1
	s_delay_alu instid0(SALU_CYCLE_1) | instskip(SKIP_2) | instid1(VALU_DEP_1)
	s_or_b32 exec_lo, exec_lo, s15
	v_lshrrev_b32_e32 v8, 16, v5
	s_mov_b32 s15, exec_lo
	v_and_b32_e32 v1, 0xff, v8
	s_delay_alu instid0(VALU_DEP_1)
	v_cmpx_ne_u16_e32 0, v1
	s_cbranch_execz .LBB292_130
; %bb.123:                              ;   in Loop: Header=BB292_10 Depth=1
	v_mov_b32_e32 v70, 0x8000
	s_mov_b32 s16, exec_lo
	v_cmpx_ne_u16_e32 0x80, v1
	s_cbranch_execz .LBB292_129
; %bb.124:                              ;   in Loop: Header=BB292_10 Depth=1
	v_bfe_u32 v7, v5, 16, 7
	v_mov_b32_e32 v70, 0x7c01
	s_mov_b32 s17, exec_lo
	s_delay_alu instid0(VALU_DEP_2)
	v_cmpx_ne_u32_e32 0x7f, v7
	s_cbranch_execz .LBB292_128
; %bb.125:                              ;   in Loop: Header=BB292_10 Depth=1
	v_dual_lshrrev_b32 v6, 3, v7 :: v_dual_bitop2_b32 v1, 7, v8 bitop3:0x40
	s_mov_b32 s18, exec_lo
	v_cmpx_gt_u32_e32 8, v7
; %bb.126:                              ;   in Loop: Header=BB292_10 Depth=1
	s_delay_alu instid0(VALU_DEP_2) | instskip(NEXT) | instid1(VALU_DEP_1)
	v_clz_i32_u32_e32 v1, v1
	v_min_u32_e32 v1, 32, v1
	s_delay_alu instid0(VALU_DEP_1) | instskip(NEXT) | instid1(VALU_DEP_1)
	v_subrev_nc_u32_e32 v6, 28, v1
	v_lshlrev_b64_e32 v[10:11], v6, v[8:9]
	s_delay_alu instid0(VALU_DEP_1)
	v_dual_sub_nc_u32 v6, 29, v1 :: v_dual_bitop2_b32 v1, 7, v10 bitop3:0x40
; %bb.127:                              ;   in Loop: Header=BB292_10 Depth=1
	s_or_b32 exec_lo, exec_lo, s18
	s_delay_alu instid0(VALU_DEP_1) | instskip(NEXT) | instid1(VALU_DEP_2)
	v_dual_lshlrev_b32 v7, 8, v8 :: v_dual_lshlrev_b32 v1, 7, v1
	v_lshl_add_u32 v6, v6, 10, 0x2000
	s_delay_alu instid0(VALU_DEP_2) | instskip(NEXT) | instid1(VALU_DEP_2)
	v_and_b32_e32 v7, 0x8000, v7
	v_and_b32_e32 v6, 0xfc00, v6
	s_delay_alu instid0(VALU_DEP_1)
	v_or3_b32 v70, v7, v6, v1
.LBB292_128:                            ;   in Loop: Header=BB292_10 Depth=1
	s_or_b32 exec_lo, exec_lo, s17
.LBB292_129:                            ;   in Loop: Header=BB292_10 Depth=1
	s_delay_alu instid0(SALU_CYCLE_1)
	s_or_b32 exec_lo, exec_lo, s16
.LBB292_130:                            ;   in Loop: Header=BB292_10 Depth=1
	s_delay_alu instid0(SALU_CYCLE_1)
	s_or_b32 exec_lo, exec_lo, s15
	v_dual_mov_b32 v71, 0 :: v_dual_mov_b32 v80, 0
	s_mov_b32 s15, exec_lo
	v_cmpx_lt_u64_e64 s[2:3], v[4:5]
	s_cbranch_execz .LBB292_138
; %bb.131:                              ;   in Loop: Header=BB292_10 Depth=1
	v_lshrrev_b32_e32 v24, 24, v5
	v_bfrev_b32_e32 v80, 1
	s_mov_b32 s16, exec_lo
	s_delay_alu instid0(VALU_DEP_2)
	v_cmpx_ne_u32_e32 0x80, v24
	s_cbranch_execz .LBB292_137
; %bb.132:                              ;   in Loop: Header=BB292_10 Depth=1
	v_and_b32_e32 v5, 0x7f, v24
	v_mov_b32_e32 v80, 0x7c010000
	s_mov_b32 s17, exec_lo
	s_delay_alu instid0(VALU_DEP_2)
	v_cmpx_ne_u32_e32 0x7f, v5
	s_cbranch_execz .LBB292_136
; %bb.133:                              ;   in Loop: Header=BB292_10 Depth=1
	v_dual_lshrrev_b32 v4, 3, v5 :: v_dual_bitop2_b32 v1, 7, v24 bitop3:0x40
	s_mov_b32 s18, exec_lo
	v_cmpx_gt_u32_e32 8, v5
; %bb.134:                              ;   in Loop: Header=BB292_10 Depth=1
	s_delay_alu instid0(VALU_DEP_2) | instskip(NEXT) | instid1(VALU_DEP_1)
	v_clz_i32_u32_e32 v1, v1
	v_min_u32_e32 v1, 32, v1
	s_delay_alu instid0(VALU_DEP_1) | instskip(NEXT) | instid1(VALU_DEP_1)
	v_subrev_nc_u32_e32 v4, 28, v1
	v_lshlrev_b64_e32 v[6:7], v4, v[24:25]
	s_delay_alu instid0(VALU_DEP_1)
	v_dual_sub_nc_u32 v4, 29, v1 :: v_dual_bitop2_b32 v1, 7, v6 bitop3:0x40
; %bb.135:                              ;   in Loop: Header=BB292_10 Depth=1
	s_or_b32 exec_lo, exec_lo, s18
	s_delay_alu instid0(VALU_DEP_1) | instskip(NEXT) | instid1(VALU_DEP_2)
	v_dual_lshlrev_b32 v5, 8, v24 :: v_dual_lshlrev_b32 v1, 23, v1
	v_lshl_add_u32 v4, v4, 10, 0x2000
	s_delay_alu instid0(VALU_DEP_1) | instskip(NEXT) | instid1(VALU_DEP_1)
	v_and_or_b32 v4, 0x8000, v5, v4
	v_lshl_or_b32 v80, v4, 16, v1
.LBB292_136:                            ;   in Loop: Header=BB292_10 Depth=1
	s_or_b32 exec_lo, exec_lo, s17
.LBB292_137:                            ;   in Loop: Header=BB292_10 Depth=1
	s_delay_alu instid0(SALU_CYCLE_1)
	s_or_b32 exec_lo, exec_lo, s16
.LBB292_138:                            ;   in Loop: Header=BB292_10 Depth=1
	s_delay_alu instid0(SALU_CYCLE_1)
	s_or_b32 exec_lo, exec_lo, s15
	flat_load_b64 v[4:5], v[2:3] offset:512
	s_mov_b32 s15, exec_lo
	s_wait_loadcnt_dscnt 0x0
	v_and_b32_e32 v1, 0xff, v4
	s_wait_xcnt 0x0
	s_delay_alu instid0(VALU_DEP_1)
	v_cmpx_ne_u16_e32 0, v1
	s_cbranch_execz .LBB292_146
; %bb.139:                              ;   in Loop: Header=BB292_10 Depth=1
	v_mov_b32_e32 v71, 0x8000
	s_mov_b32 s16, exec_lo
	v_cmpx_ne_u16_e32 0x80, v1
	s_cbranch_execz .LBB292_145
; %bb.140:                              ;   in Loop: Header=BB292_10 Depth=1
	v_and_b32_e32 v7, 0x7f, v4
	v_mov_b32_e32 v71, 0x7c01
	s_mov_b32 s17, exec_lo
	s_delay_alu instid0(VALU_DEP_2)
	v_cmpx_ne_u32_e32 0x7f, v7
	s_cbranch_execz .LBB292_144
; %bb.141:                              ;   in Loop: Header=BB292_10 Depth=1
	v_dual_lshrrev_b32 v6, 3, v7 :: v_dual_bitop2_b32 v1, 7, v4 bitop3:0x40
	s_mov_b32 s18, exec_lo
	v_cmpx_gt_u32_e32 8, v7
; %bb.142:                              ;   in Loop: Header=BB292_10 Depth=1
	s_delay_alu instid0(VALU_DEP_2) | instskip(NEXT) | instid1(VALU_DEP_1)
	v_clz_i32_u32_e32 v1, v1
	v_min_u32_e32 v1, 32, v1
	s_delay_alu instid0(VALU_DEP_1) | instskip(NEXT) | instid1(VALU_DEP_1)
	v_subrev_nc_u32_e32 v6, 28, v1
	v_lshlrev_b64_e32 v[8:9], v6, v[4:5]
	s_delay_alu instid0(VALU_DEP_1)
	v_dual_sub_nc_u32 v6, 29, v1 :: v_dual_bitop2_b32 v1, 7, v8 bitop3:0x40
; %bb.143:                              ;   in Loop: Header=BB292_10 Depth=1
	s_or_b32 exec_lo, exec_lo, s18
	s_delay_alu instid0(VALU_DEP_1) | instskip(NEXT) | instid1(VALU_DEP_2)
	v_dual_lshlrev_b32 v7, 8, v4 :: v_dual_lshlrev_b32 v1, 7, v1
	v_lshl_add_u32 v6, v6, 10, 0x2000
	s_delay_alu instid0(VALU_DEP_2) | instskip(NEXT) | instid1(VALU_DEP_2)
	v_and_b32_e32 v7, 0x8000, v7
	v_and_b32_e32 v6, 0xfc00, v6
	s_delay_alu instid0(VALU_DEP_1)
	v_or3_b32 v71, v7, v6, v1
.LBB292_144:                            ;   in Loop: Header=BB292_10 Depth=1
	s_or_b32 exec_lo, exec_lo, s17
.LBB292_145:                            ;   in Loop: Header=BB292_10 Depth=1
	s_delay_alu instid0(SALU_CYCLE_1)
	s_or_b32 exec_lo, exec_lo, s16
.LBB292_146:                            ;   in Loop: Header=BB292_10 Depth=1
	s_delay_alu instid0(SALU_CYCLE_1) | instskip(SKIP_3) | instid1(VALU_DEP_2)
	s_or_b32 exec_lo, exec_lo, s15
	v_lshrrev_b16 v24, 8, v4
	v_dual_mov_b32 v81, 0 :: v_dual_mov_b32 v82, 0
	s_mov_b32 s15, exec_lo
	v_cmpx_ne_u16_e32 0, v24
	s_cbranch_execz .LBB292_154
; %bb.147:                              ;   in Loop: Header=BB292_10 Depth=1
	v_bfrev_b32_e32 v82, 1
	s_mov_b32 s16, exec_lo
	v_cmpx_ne_u16_e32 0x80, v24
	s_cbranch_execz .LBB292_153
; %bb.148:                              ;   in Loop: Header=BB292_10 Depth=1
	v_and_b32_e32 v1, 0xffff, v24
	v_mov_b32_e32 v82, 0x7c010000
	s_mov_b32 s17, exec_lo
	s_delay_alu instid0(VALU_DEP_2) | instskip(NEXT) | instid1(VALU_DEP_1)
	v_and_b32_e32 v8, 0x7f, v1
	v_cmpx_ne_u32_e32 0x7f, v8
	s_cbranch_execz .LBB292_152
; %bb.149:                              ;   in Loop: Header=BB292_10 Depth=1
	v_dual_lshrrev_b32 v7, 3, v8 :: v_dual_bitop2_b32 v6, 7, v1 bitop3:0x40
	s_mov_b32 s18, exec_lo
	v_cmpx_gt_u32_e32 8, v8
; %bb.150:                              ;   in Loop: Header=BB292_10 Depth=1
	s_delay_alu instid0(VALU_DEP_2) | instskip(NEXT) | instid1(VALU_DEP_1)
	v_clz_i32_u32_e32 v6, v6
	v_min_u32_e32 v8, 32, v6
	s_delay_alu instid0(VALU_DEP_1) | instskip(NEXT) | instid1(VALU_DEP_1)
	v_subrev_nc_u32_e32 v6, 28, v8
	v_lshlrev_b64_e32 v[6:7], v6, v[24:25]
	s_delay_alu instid0(VALU_DEP_1)
	v_dual_sub_nc_u32 v7, 29, v8 :: v_dual_bitop2_b32 v6, 7, v6 bitop3:0x40
; %bb.151:                              ;   in Loop: Header=BB292_10 Depth=1
	s_or_b32 exec_lo, exec_lo, s18
	s_delay_alu instid0(VALU_DEP_1) | instskip(NEXT) | instid1(VALU_DEP_2)
	v_dual_lshlrev_b32 v1, 8, v1 :: v_dual_lshlrev_b32 v6, 23, v6
	v_lshl_add_u32 v7, v7, 10, 0x2000
	s_delay_alu instid0(VALU_DEP_1) | instskip(NEXT) | instid1(VALU_DEP_1)
	v_and_or_b32 v1, 0x8000, v1, v7
	v_lshl_or_b32 v82, v1, 16, v6
.LBB292_152:                            ;   in Loop: Header=BB292_10 Depth=1
	s_or_b32 exec_lo, exec_lo, s17
.LBB292_153:                            ;   in Loop: Header=BB292_10 Depth=1
	s_delay_alu instid0(SALU_CYCLE_1)
	s_or_b32 exec_lo, exec_lo, s16
.LBB292_154:                            ;   in Loop: Header=BB292_10 Depth=1
	s_delay_alu instid0(SALU_CYCLE_1) | instskip(SKIP_2) | instid1(VALU_DEP_1)
	s_or_b32 exec_lo, exec_lo, s15
	v_lshrrev_b32_e32 v8, 16, v4
	s_mov_b32 s15, exec_lo
	v_and_b32_e32 v1, 0xff, v8
	s_delay_alu instid0(VALU_DEP_1)
	v_cmpx_ne_u16_e32 0, v1
	s_cbranch_execz .LBB292_162
; %bb.155:                              ;   in Loop: Header=BB292_10 Depth=1
	v_mov_b32_e32 v81, 0x8000
	s_mov_b32 s16, exec_lo
	v_cmpx_ne_u16_e32 0x80, v1
	s_cbranch_execz .LBB292_161
; %bb.156:                              ;   in Loop: Header=BB292_10 Depth=1
	v_bfe_u32 v7, v4, 16, 7
	v_mov_b32_e32 v81, 0x7c01
	s_mov_b32 s17, exec_lo
	s_delay_alu instid0(VALU_DEP_2)
	v_cmpx_ne_u32_e32 0x7f, v7
	s_cbranch_execz .LBB292_160
; %bb.157:                              ;   in Loop: Header=BB292_10 Depth=1
	v_dual_lshrrev_b32 v6, 3, v7 :: v_dual_bitop2_b32 v1, 7, v8 bitop3:0x40
	s_mov_b32 s18, exec_lo
	v_cmpx_gt_u32_e32 8, v7
; %bb.158:                              ;   in Loop: Header=BB292_10 Depth=1
	s_delay_alu instid0(VALU_DEP_2) | instskip(NEXT) | instid1(VALU_DEP_1)
	v_clz_i32_u32_e32 v1, v1
	v_min_u32_e32 v1, 32, v1
	s_delay_alu instid0(VALU_DEP_1) | instskip(NEXT) | instid1(VALU_DEP_1)
	v_subrev_nc_u32_e32 v6, 28, v1
	v_lshlrev_b64_e32 v[10:11], v6, v[8:9]
	s_delay_alu instid0(VALU_DEP_1)
	v_dual_sub_nc_u32 v6, 29, v1 :: v_dual_bitop2_b32 v1, 7, v10 bitop3:0x40
; %bb.159:                              ;   in Loop: Header=BB292_10 Depth=1
	s_or_b32 exec_lo, exec_lo, s18
	s_delay_alu instid0(VALU_DEP_1) | instskip(NEXT) | instid1(VALU_DEP_2)
	v_dual_lshlrev_b32 v7, 8, v8 :: v_dual_lshlrev_b32 v1, 7, v1
	v_lshl_add_u32 v6, v6, 10, 0x2000
	s_delay_alu instid0(VALU_DEP_2) | instskip(NEXT) | instid1(VALU_DEP_2)
	v_and_b32_e32 v7, 0x8000, v7
	v_and_b32_e32 v6, 0xfc00, v6
	s_delay_alu instid0(VALU_DEP_1)
	v_or3_b32 v81, v7, v6, v1
.LBB292_160:                            ;   in Loop: Header=BB292_10 Depth=1
	s_or_b32 exec_lo, exec_lo, s17
.LBB292_161:                            ;   in Loop: Header=BB292_10 Depth=1
	s_delay_alu instid0(SALU_CYCLE_1)
	s_or_b32 exec_lo, exec_lo, s16
.LBB292_162:                            ;   in Loop: Header=BB292_10 Depth=1
	s_delay_alu instid0(SALU_CYCLE_1)
	s_or_b32 exec_lo, exec_lo, s15
	v_dual_mov_b32 v83, 0 :: v_dual_mov_b32 v84, 0
	s_mov_b32 s15, exec_lo
	v_cmpx_lt_u32_e32 0xffffff, v4
	s_cbranch_execz .LBB292_170
; %bb.163:                              ;   in Loop: Header=BB292_10 Depth=1
	v_lshrrev_b32_e32 v24, 24, v4
	v_bfrev_b32_e32 v84, 1
	s_mov_b32 s16, exec_lo
	s_delay_alu instid0(VALU_DEP_2)
	v_cmpx_ne_u32_e32 0x80, v24
	s_cbranch_execz .LBB292_169
; %bb.164:                              ;   in Loop: Header=BB292_10 Depth=1
	v_and_b32_e32 v7, 0x7f, v24
	v_mov_b32_e32 v84, 0x7c010000
	s_mov_b32 s17, exec_lo
	s_delay_alu instid0(VALU_DEP_2)
	v_cmpx_ne_u32_e32 0x7f, v7
	s_cbranch_execz .LBB292_168
; %bb.165:                              ;   in Loop: Header=BB292_10 Depth=1
	v_dual_lshrrev_b32 v6, 3, v7 :: v_dual_bitop2_b32 v1, 7, v24 bitop3:0x40
	s_mov_b32 s18, exec_lo
	v_cmpx_gt_u32_e32 8, v7
; %bb.166:                              ;   in Loop: Header=BB292_10 Depth=1
	s_delay_alu instid0(VALU_DEP_2) | instskip(NEXT) | instid1(VALU_DEP_1)
	v_clz_i32_u32_e32 v1, v1
	v_min_u32_e32 v1, 32, v1
	s_delay_alu instid0(VALU_DEP_1) | instskip(NEXT) | instid1(VALU_DEP_1)
	v_subrev_nc_u32_e32 v6, 28, v1
	v_lshlrev_b64_e32 v[8:9], v6, v[24:25]
	s_delay_alu instid0(VALU_DEP_1)
	v_dual_sub_nc_u32 v6, 29, v1 :: v_dual_bitop2_b32 v1, 7, v8 bitop3:0x40
; %bb.167:                              ;   in Loop: Header=BB292_10 Depth=1
	s_or_b32 exec_lo, exec_lo, s18
	s_delay_alu instid0(VALU_DEP_1) | instskip(NEXT) | instid1(VALU_DEP_2)
	v_dual_lshlrev_b32 v7, 8, v24 :: v_dual_lshlrev_b32 v1, 23, v1
	v_lshl_add_u32 v6, v6, 10, 0x2000
	s_delay_alu instid0(VALU_DEP_1) | instskip(NEXT) | instid1(VALU_DEP_1)
	v_and_or_b32 v6, 0x8000, v7, v6
	v_lshl_or_b32 v84, v6, 16, v1
.LBB292_168:                            ;   in Loop: Header=BB292_10 Depth=1
	s_or_b32 exec_lo, exec_lo, s17
.LBB292_169:                            ;   in Loop: Header=BB292_10 Depth=1
	s_delay_alu instid0(SALU_CYCLE_1)
	s_or_b32 exec_lo, exec_lo, s16
.LBB292_170:                            ;   in Loop: Header=BB292_10 Depth=1
	s_delay_alu instid0(SALU_CYCLE_1) | instskip(SKIP_3) | instid1(VALU_DEP_2)
	s_or_b32 exec_lo, exec_lo, s15
	v_and_b32_e32 v1, 0xff, v5
	v_mov_b32_e32 v24, v5
	s_mov_b32 s15, exec_lo
	v_cmpx_ne_u16_e32 0, v1
	s_cbranch_execz .LBB292_178
; %bb.171:                              ;   in Loop: Header=BB292_10 Depth=1
	v_mov_b32_e32 v83, 0x8000
	s_mov_b32 s16, exec_lo
	v_cmpx_ne_u16_e32 0x80, v1
	s_cbranch_execz .LBB292_177
; %bb.172:                              ;   in Loop: Header=BB292_10 Depth=1
	v_and_b32_e32 v7, 0x7f, v5
	v_mov_b32_e32 v83, 0x7c01
	s_mov_b32 s17, exec_lo
	s_delay_alu instid0(VALU_DEP_2)
	v_cmpx_ne_u32_e32 0x7f, v7
	s_cbranch_execz .LBB292_176
; %bb.173:                              ;   in Loop: Header=BB292_10 Depth=1
	v_dual_lshrrev_b32 v6, 3, v7 :: v_dual_bitop2_b32 v1, 7, v5 bitop3:0x40
	s_mov_b32 s18, exec_lo
	v_cmpx_gt_u32_e32 8, v7
; %bb.174:                              ;   in Loop: Header=BB292_10 Depth=1
	s_delay_alu instid0(VALU_DEP_2) | instskip(NEXT) | instid1(VALU_DEP_1)
	v_clz_i32_u32_e32 v1, v1
	v_min_u32_e32 v1, 32, v1
	s_delay_alu instid0(VALU_DEP_1) | instskip(NEXT) | instid1(VALU_DEP_1)
	v_subrev_nc_u32_e32 v6, 28, v1
	v_lshlrev_b64_e32 v[8:9], v6, v[24:25]
	s_delay_alu instid0(VALU_DEP_1)
	v_dual_sub_nc_u32 v6, 29, v1 :: v_dual_bitop2_b32 v1, 7, v8 bitop3:0x40
; %bb.175:                              ;   in Loop: Header=BB292_10 Depth=1
	s_or_b32 exec_lo, exec_lo, s18
	v_lshlrev_b32_e32 v7, 8, v5
	s_delay_alu instid0(VALU_DEP_2) | instskip(NEXT) | instid1(VALU_DEP_3)
	v_lshl_add_u32 v6, v6, 10, 0x2000
	v_lshlrev_b32_e32 v1, 7, v1
	s_delay_alu instid0(VALU_DEP_3) | instskip(NEXT) | instid1(VALU_DEP_3)
	v_and_b32_e32 v7, 0x8000, v7
	v_and_b32_e32 v6, 0xfc00, v6
	s_delay_alu instid0(VALU_DEP_1)
	v_or3_b32 v83, v7, v6, v1
.LBB292_176:                            ;   in Loop: Header=BB292_10 Depth=1
	s_or_b32 exec_lo, exec_lo, s17
.LBB292_177:                            ;   in Loop: Header=BB292_10 Depth=1
	s_delay_alu instid0(SALU_CYCLE_1)
	s_or_b32 exec_lo, exec_lo, s16
.LBB292_178:                            ;   in Loop: Header=BB292_10 Depth=1
	s_delay_alu instid0(SALU_CYCLE_1) | instskip(SKIP_3) | instid1(VALU_DEP_2)
	s_or_b32 exec_lo, exec_lo, s15
	v_lshrrev_b16 v24, 8, v24
	v_dual_mov_b32 v85, 0 :: v_dual_mov_b32 v86, 0
	s_mov_b32 s15, exec_lo
	v_cmpx_ne_u16_e32 0, v24
	s_cbranch_execz .LBB292_186
; %bb.179:                              ;   in Loop: Header=BB292_10 Depth=1
	v_bfrev_b32_e32 v86, 1
	s_mov_b32 s16, exec_lo
	v_cmpx_ne_u16_e32 0x80, v24
	s_cbranch_execz .LBB292_185
; %bb.180:                              ;   in Loop: Header=BB292_10 Depth=1
	v_and_b32_e32 v1, 0xffff, v24
	v_mov_b32_e32 v86, 0x7c010000
	s_mov_b32 s17, exec_lo
	s_delay_alu instid0(VALU_DEP_2) | instskip(NEXT) | instid1(VALU_DEP_1)
	v_and_b32_e32 v8, 0x7f, v1
	v_cmpx_ne_u32_e32 0x7f, v8
	s_cbranch_execz .LBB292_184
; %bb.181:                              ;   in Loop: Header=BB292_10 Depth=1
	v_dual_lshrrev_b32 v7, 3, v8 :: v_dual_bitop2_b32 v6, 7, v1 bitop3:0x40
	s_mov_b32 s18, exec_lo
	v_cmpx_gt_u32_e32 8, v8
; %bb.182:                              ;   in Loop: Header=BB292_10 Depth=1
	s_delay_alu instid0(VALU_DEP_2) | instskip(NEXT) | instid1(VALU_DEP_1)
	v_clz_i32_u32_e32 v6, v6
	v_min_u32_e32 v8, 32, v6
	s_delay_alu instid0(VALU_DEP_1) | instskip(NEXT) | instid1(VALU_DEP_1)
	v_subrev_nc_u32_e32 v6, 28, v8
	v_lshlrev_b64_e32 v[6:7], v6, v[24:25]
	s_delay_alu instid0(VALU_DEP_1)
	v_dual_sub_nc_u32 v7, 29, v8 :: v_dual_bitop2_b32 v6, 7, v6 bitop3:0x40
; %bb.183:                              ;   in Loop: Header=BB292_10 Depth=1
	s_or_b32 exec_lo, exec_lo, s18
	s_delay_alu instid0(VALU_DEP_1) | instskip(NEXT) | instid1(VALU_DEP_2)
	v_dual_lshlrev_b32 v1, 8, v1 :: v_dual_lshlrev_b32 v6, 23, v6
	v_lshl_add_u32 v7, v7, 10, 0x2000
	s_delay_alu instid0(VALU_DEP_1) | instskip(NEXT) | instid1(VALU_DEP_1)
	v_and_or_b32 v1, 0x8000, v1, v7
	v_lshl_or_b32 v86, v1, 16, v6
.LBB292_184:                            ;   in Loop: Header=BB292_10 Depth=1
	s_or_b32 exec_lo, exec_lo, s17
.LBB292_185:                            ;   in Loop: Header=BB292_10 Depth=1
	s_delay_alu instid0(SALU_CYCLE_1)
	s_or_b32 exec_lo, exec_lo, s16
.LBB292_186:                            ;   in Loop: Header=BB292_10 Depth=1
	s_delay_alu instid0(SALU_CYCLE_1) | instskip(SKIP_2) | instid1(VALU_DEP_1)
	s_or_b32 exec_lo, exec_lo, s15
	v_lshrrev_b32_e32 v8, 16, v5
	s_mov_b32 s15, exec_lo
	v_and_b32_e32 v1, 0xff, v8
	s_delay_alu instid0(VALU_DEP_1)
	v_cmpx_ne_u16_e32 0, v1
	s_cbranch_execz .LBB292_194
; %bb.187:                              ;   in Loop: Header=BB292_10 Depth=1
	v_mov_b32_e32 v85, 0x8000
	s_mov_b32 s16, exec_lo
	v_cmpx_ne_u16_e32 0x80, v1
	s_cbranch_execz .LBB292_193
; %bb.188:                              ;   in Loop: Header=BB292_10 Depth=1
	v_bfe_u32 v7, v5, 16, 7
	v_mov_b32_e32 v85, 0x7c01
	s_mov_b32 s17, exec_lo
	s_delay_alu instid0(VALU_DEP_2)
	v_cmpx_ne_u32_e32 0x7f, v7
	s_cbranch_execz .LBB292_192
; %bb.189:                              ;   in Loop: Header=BB292_10 Depth=1
	v_dual_lshrrev_b32 v6, 3, v7 :: v_dual_bitop2_b32 v1, 7, v8 bitop3:0x40
	s_mov_b32 s18, exec_lo
	v_cmpx_gt_u32_e32 8, v7
; %bb.190:                              ;   in Loop: Header=BB292_10 Depth=1
	s_delay_alu instid0(VALU_DEP_2) | instskip(NEXT) | instid1(VALU_DEP_1)
	v_clz_i32_u32_e32 v1, v1
	v_min_u32_e32 v1, 32, v1
	s_delay_alu instid0(VALU_DEP_1) | instskip(NEXT) | instid1(VALU_DEP_1)
	v_subrev_nc_u32_e32 v6, 28, v1
	v_lshlrev_b64_e32 v[10:11], v6, v[8:9]
	s_delay_alu instid0(VALU_DEP_1)
	v_dual_sub_nc_u32 v6, 29, v1 :: v_dual_bitop2_b32 v1, 7, v10 bitop3:0x40
; %bb.191:                              ;   in Loop: Header=BB292_10 Depth=1
	s_or_b32 exec_lo, exec_lo, s18
	s_delay_alu instid0(VALU_DEP_1) | instskip(NEXT) | instid1(VALU_DEP_2)
	v_dual_lshlrev_b32 v7, 8, v8 :: v_dual_lshlrev_b32 v1, 7, v1
	v_lshl_add_u32 v6, v6, 10, 0x2000
	s_delay_alu instid0(VALU_DEP_2) | instskip(NEXT) | instid1(VALU_DEP_2)
	v_and_b32_e32 v7, 0x8000, v7
	v_and_b32_e32 v6, 0xfc00, v6
	s_delay_alu instid0(VALU_DEP_1)
	v_or3_b32 v85, v7, v6, v1
.LBB292_192:                            ;   in Loop: Header=BB292_10 Depth=1
	s_or_b32 exec_lo, exec_lo, s17
.LBB292_193:                            ;   in Loop: Header=BB292_10 Depth=1
	s_delay_alu instid0(SALU_CYCLE_1)
	s_or_b32 exec_lo, exec_lo, s16
.LBB292_194:                            ;   in Loop: Header=BB292_10 Depth=1
	s_delay_alu instid0(SALU_CYCLE_1)
	s_or_b32 exec_lo, exec_lo, s15
	v_dual_mov_b32 v87, 0 :: v_dual_mov_b32 v96, 0
	s_mov_b32 s15, exec_lo
	v_cmpx_lt_u64_e64 s[2:3], v[4:5]
	s_cbranch_execz .LBB292_202
; %bb.195:                              ;   in Loop: Header=BB292_10 Depth=1
	v_lshrrev_b32_e32 v24, 24, v5
	v_bfrev_b32_e32 v96, 1
	s_mov_b32 s16, exec_lo
	s_delay_alu instid0(VALU_DEP_2)
	v_cmpx_ne_u32_e32 0x80, v24
	s_cbranch_execz .LBB292_201
; %bb.196:                              ;   in Loop: Header=BB292_10 Depth=1
	v_and_b32_e32 v5, 0x7f, v24
	v_mov_b32_e32 v96, 0x7c010000
	s_mov_b32 s17, exec_lo
	s_delay_alu instid0(VALU_DEP_2)
	v_cmpx_ne_u32_e32 0x7f, v5
	s_cbranch_execz .LBB292_200
; %bb.197:                              ;   in Loop: Header=BB292_10 Depth=1
	v_dual_lshrrev_b32 v4, 3, v5 :: v_dual_bitop2_b32 v1, 7, v24 bitop3:0x40
	s_mov_b32 s18, exec_lo
	v_cmpx_gt_u32_e32 8, v5
; %bb.198:                              ;   in Loop: Header=BB292_10 Depth=1
	s_delay_alu instid0(VALU_DEP_2) | instskip(NEXT) | instid1(VALU_DEP_1)
	v_clz_i32_u32_e32 v1, v1
	v_min_u32_e32 v1, 32, v1
	s_delay_alu instid0(VALU_DEP_1) | instskip(NEXT) | instid1(VALU_DEP_1)
	v_subrev_nc_u32_e32 v4, 28, v1
	v_lshlrev_b64_e32 v[6:7], v4, v[24:25]
	s_delay_alu instid0(VALU_DEP_1)
	v_dual_sub_nc_u32 v4, 29, v1 :: v_dual_bitop2_b32 v1, 7, v6 bitop3:0x40
; %bb.199:                              ;   in Loop: Header=BB292_10 Depth=1
	s_or_b32 exec_lo, exec_lo, s18
	s_delay_alu instid0(VALU_DEP_1) | instskip(NEXT) | instid1(VALU_DEP_2)
	v_dual_lshlrev_b32 v5, 8, v24 :: v_dual_lshlrev_b32 v1, 23, v1
	v_lshl_add_u32 v4, v4, 10, 0x2000
	s_delay_alu instid0(VALU_DEP_1) | instskip(NEXT) | instid1(VALU_DEP_1)
	v_and_or_b32 v4, 0x8000, v5, v4
	v_lshl_or_b32 v96, v4, 16, v1
.LBB292_200:                            ;   in Loop: Header=BB292_10 Depth=1
	s_or_b32 exec_lo, exec_lo, s17
.LBB292_201:                            ;   in Loop: Header=BB292_10 Depth=1
	s_delay_alu instid0(SALU_CYCLE_1)
	s_or_b32 exec_lo, exec_lo, s16
.LBB292_202:                            ;   in Loop: Header=BB292_10 Depth=1
	s_delay_alu instid0(SALU_CYCLE_1)
	s_or_b32 exec_lo, exec_lo, s15
	flat_load_b64 v[4:5], v[2:3] offset:520
	s_mov_b32 s15, exec_lo
	s_wait_loadcnt_dscnt 0x0
	v_and_b32_e32 v1, 0xff, v4
	s_wait_xcnt 0x0
	s_delay_alu instid0(VALU_DEP_1)
	v_cmpx_ne_u16_e32 0, v1
	s_cbranch_execz .LBB292_210
; %bb.203:                              ;   in Loop: Header=BB292_10 Depth=1
	v_mov_b32_e32 v87, 0x8000
	s_mov_b32 s16, exec_lo
	v_cmpx_ne_u16_e32 0x80, v1
	s_cbranch_execz .LBB292_209
; %bb.204:                              ;   in Loop: Header=BB292_10 Depth=1
	v_and_b32_e32 v7, 0x7f, v4
	v_mov_b32_e32 v87, 0x7c01
	s_mov_b32 s17, exec_lo
	s_delay_alu instid0(VALU_DEP_2)
	v_cmpx_ne_u32_e32 0x7f, v7
	s_cbranch_execz .LBB292_208
; %bb.205:                              ;   in Loop: Header=BB292_10 Depth=1
	v_dual_lshrrev_b32 v6, 3, v7 :: v_dual_bitop2_b32 v1, 7, v4 bitop3:0x40
	s_mov_b32 s18, exec_lo
	v_cmpx_gt_u32_e32 8, v7
; %bb.206:                              ;   in Loop: Header=BB292_10 Depth=1
	s_delay_alu instid0(VALU_DEP_2) | instskip(NEXT) | instid1(VALU_DEP_1)
	v_clz_i32_u32_e32 v1, v1
	v_min_u32_e32 v1, 32, v1
	s_delay_alu instid0(VALU_DEP_1) | instskip(NEXT) | instid1(VALU_DEP_1)
	v_subrev_nc_u32_e32 v6, 28, v1
	v_lshlrev_b64_e32 v[8:9], v6, v[4:5]
	s_delay_alu instid0(VALU_DEP_1)
	v_dual_sub_nc_u32 v6, 29, v1 :: v_dual_bitop2_b32 v1, 7, v8 bitop3:0x40
; %bb.207:                              ;   in Loop: Header=BB292_10 Depth=1
	s_or_b32 exec_lo, exec_lo, s18
	s_delay_alu instid0(VALU_DEP_1) | instskip(NEXT) | instid1(VALU_DEP_2)
	v_dual_lshlrev_b32 v7, 8, v4 :: v_dual_lshlrev_b32 v1, 7, v1
	v_lshl_add_u32 v6, v6, 10, 0x2000
	s_delay_alu instid0(VALU_DEP_2) | instskip(NEXT) | instid1(VALU_DEP_2)
	v_and_b32_e32 v7, 0x8000, v7
	v_and_b32_e32 v6, 0xfc00, v6
	s_delay_alu instid0(VALU_DEP_1)
	v_or3_b32 v87, v7, v6, v1
.LBB292_208:                            ;   in Loop: Header=BB292_10 Depth=1
	s_or_b32 exec_lo, exec_lo, s17
.LBB292_209:                            ;   in Loop: Header=BB292_10 Depth=1
	s_delay_alu instid0(SALU_CYCLE_1)
	s_or_b32 exec_lo, exec_lo, s16
.LBB292_210:                            ;   in Loop: Header=BB292_10 Depth=1
	s_delay_alu instid0(SALU_CYCLE_1) | instskip(SKIP_3) | instid1(VALU_DEP_2)
	s_or_b32 exec_lo, exec_lo, s15
	v_lshrrev_b16 v24, 8, v4
	v_dual_mov_b32 v97, 0 :: v_dual_mov_b32 v98, 0
	s_mov_b32 s15, exec_lo
	v_cmpx_ne_u16_e32 0, v24
	s_cbranch_execz .LBB292_218
; %bb.211:                              ;   in Loop: Header=BB292_10 Depth=1
	v_bfrev_b32_e32 v98, 1
	s_mov_b32 s16, exec_lo
	v_cmpx_ne_u16_e32 0x80, v24
	s_cbranch_execz .LBB292_217
; %bb.212:                              ;   in Loop: Header=BB292_10 Depth=1
	v_and_b32_e32 v1, 0xffff, v24
	v_mov_b32_e32 v98, 0x7c010000
	s_mov_b32 s17, exec_lo
	s_delay_alu instid0(VALU_DEP_2) | instskip(NEXT) | instid1(VALU_DEP_1)
	v_and_b32_e32 v8, 0x7f, v1
	v_cmpx_ne_u32_e32 0x7f, v8
	s_cbranch_execz .LBB292_216
; %bb.213:                              ;   in Loop: Header=BB292_10 Depth=1
	v_dual_lshrrev_b32 v7, 3, v8 :: v_dual_bitop2_b32 v6, 7, v1 bitop3:0x40
	s_mov_b32 s18, exec_lo
	v_cmpx_gt_u32_e32 8, v8
; %bb.214:                              ;   in Loop: Header=BB292_10 Depth=1
	s_delay_alu instid0(VALU_DEP_2) | instskip(NEXT) | instid1(VALU_DEP_1)
	v_clz_i32_u32_e32 v6, v6
	v_min_u32_e32 v8, 32, v6
	s_delay_alu instid0(VALU_DEP_1) | instskip(NEXT) | instid1(VALU_DEP_1)
	v_subrev_nc_u32_e32 v6, 28, v8
	v_lshlrev_b64_e32 v[6:7], v6, v[24:25]
	s_delay_alu instid0(VALU_DEP_1)
	v_dual_sub_nc_u32 v7, 29, v8 :: v_dual_bitop2_b32 v6, 7, v6 bitop3:0x40
; %bb.215:                              ;   in Loop: Header=BB292_10 Depth=1
	s_or_b32 exec_lo, exec_lo, s18
	s_delay_alu instid0(VALU_DEP_1) | instskip(NEXT) | instid1(VALU_DEP_2)
	v_dual_lshlrev_b32 v1, 8, v1 :: v_dual_lshlrev_b32 v6, 23, v6
	v_lshl_add_u32 v7, v7, 10, 0x2000
	s_delay_alu instid0(VALU_DEP_1) | instskip(NEXT) | instid1(VALU_DEP_1)
	v_and_or_b32 v1, 0x8000, v1, v7
	v_lshl_or_b32 v98, v1, 16, v6
.LBB292_216:                            ;   in Loop: Header=BB292_10 Depth=1
	s_or_b32 exec_lo, exec_lo, s17
.LBB292_217:                            ;   in Loop: Header=BB292_10 Depth=1
	s_delay_alu instid0(SALU_CYCLE_1)
	s_or_b32 exec_lo, exec_lo, s16
.LBB292_218:                            ;   in Loop: Header=BB292_10 Depth=1
	s_delay_alu instid0(SALU_CYCLE_1) | instskip(SKIP_2) | instid1(VALU_DEP_1)
	s_or_b32 exec_lo, exec_lo, s15
	v_lshrrev_b32_e32 v8, 16, v4
	s_mov_b32 s15, exec_lo
	v_and_b32_e32 v1, 0xff, v8
	s_delay_alu instid0(VALU_DEP_1)
	v_cmpx_ne_u16_e32 0, v1
	s_cbranch_execz .LBB292_226
; %bb.219:                              ;   in Loop: Header=BB292_10 Depth=1
	v_mov_b32_e32 v97, 0x8000
	s_mov_b32 s16, exec_lo
	v_cmpx_ne_u16_e32 0x80, v1
	s_cbranch_execz .LBB292_225
; %bb.220:                              ;   in Loop: Header=BB292_10 Depth=1
	v_bfe_u32 v7, v4, 16, 7
	v_mov_b32_e32 v97, 0x7c01
	s_mov_b32 s17, exec_lo
	s_delay_alu instid0(VALU_DEP_2)
	v_cmpx_ne_u32_e32 0x7f, v7
	s_cbranch_execz .LBB292_224
; %bb.221:                              ;   in Loop: Header=BB292_10 Depth=1
	v_dual_lshrrev_b32 v6, 3, v7 :: v_dual_bitop2_b32 v1, 7, v8 bitop3:0x40
	s_mov_b32 s18, exec_lo
	v_cmpx_gt_u32_e32 8, v7
; %bb.222:                              ;   in Loop: Header=BB292_10 Depth=1
	s_delay_alu instid0(VALU_DEP_2) | instskip(NEXT) | instid1(VALU_DEP_1)
	v_clz_i32_u32_e32 v1, v1
	v_min_u32_e32 v1, 32, v1
	s_delay_alu instid0(VALU_DEP_1) | instskip(NEXT) | instid1(VALU_DEP_1)
	v_subrev_nc_u32_e32 v6, 28, v1
	v_lshlrev_b64_e32 v[10:11], v6, v[8:9]
	s_delay_alu instid0(VALU_DEP_1)
	v_dual_sub_nc_u32 v6, 29, v1 :: v_dual_bitop2_b32 v1, 7, v10 bitop3:0x40
; %bb.223:                              ;   in Loop: Header=BB292_10 Depth=1
	s_or_b32 exec_lo, exec_lo, s18
	s_delay_alu instid0(VALU_DEP_1) | instskip(NEXT) | instid1(VALU_DEP_2)
	v_dual_lshlrev_b32 v7, 8, v8 :: v_dual_lshlrev_b32 v1, 7, v1
	v_lshl_add_u32 v6, v6, 10, 0x2000
	s_delay_alu instid0(VALU_DEP_2) | instskip(NEXT) | instid1(VALU_DEP_2)
	v_and_b32_e32 v7, 0x8000, v7
	v_and_b32_e32 v6, 0xfc00, v6
	s_delay_alu instid0(VALU_DEP_1)
	v_or3_b32 v97, v7, v6, v1
.LBB292_224:                            ;   in Loop: Header=BB292_10 Depth=1
	s_or_b32 exec_lo, exec_lo, s17
.LBB292_225:                            ;   in Loop: Header=BB292_10 Depth=1
	s_delay_alu instid0(SALU_CYCLE_1)
	s_or_b32 exec_lo, exec_lo, s16
.LBB292_226:                            ;   in Loop: Header=BB292_10 Depth=1
	s_delay_alu instid0(SALU_CYCLE_1)
	s_or_b32 exec_lo, exec_lo, s15
	v_dual_mov_b32 v106, 0 :: v_dual_mov_b32 v100, 0
	s_mov_b32 s15, exec_lo
	v_cmpx_lt_u32_e32 0xffffff, v4
	s_cbranch_execz .LBB292_234
; %bb.227:                              ;   in Loop: Header=BB292_10 Depth=1
	v_lshrrev_b32_e32 v24, 24, v4
	v_bfrev_b32_e32 v100, 1
	s_mov_b32 s16, exec_lo
	s_delay_alu instid0(VALU_DEP_2)
	v_cmpx_ne_u32_e32 0x80, v24
	s_cbranch_execz .LBB292_233
; %bb.228:                              ;   in Loop: Header=BB292_10 Depth=1
	v_and_b32_e32 v7, 0x7f, v24
	v_mov_b32_e32 v100, 0x7c010000
	s_mov_b32 s17, exec_lo
	s_delay_alu instid0(VALU_DEP_2)
	v_cmpx_ne_u32_e32 0x7f, v7
	s_cbranch_execz .LBB292_232
; %bb.229:                              ;   in Loop: Header=BB292_10 Depth=1
	v_dual_lshrrev_b32 v6, 3, v7 :: v_dual_bitop2_b32 v1, 7, v24 bitop3:0x40
	s_mov_b32 s18, exec_lo
	v_cmpx_gt_u32_e32 8, v7
; %bb.230:                              ;   in Loop: Header=BB292_10 Depth=1
	s_delay_alu instid0(VALU_DEP_2) | instskip(NEXT) | instid1(VALU_DEP_1)
	v_clz_i32_u32_e32 v1, v1
	v_min_u32_e32 v1, 32, v1
	s_delay_alu instid0(VALU_DEP_1) | instskip(NEXT) | instid1(VALU_DEP_1)
	v_subrev_nc_u32_e32 v6, 28, v1
	v_lshlrev_b64_e32 v[8:9], v6, v[24:25]
	s_delay_alu instid0(VALU_DEP_1)
	v_dual_sub_nc_u32 v6, 29, v1 :: v_dual_bitop2_b32 v1, 7, v8 bitop3:0x40
; %bb.231:                              ;   in Loop: Header=BB292_10 Depth=1
	s_or_b32 exec_lo, exec_lo, s18
	s_delay_alu instid0(VALU_DEP_1) | instskip(NEXT) | instid1(VALU_DEP_2)
	v_dual_lshlrev_b32 v7, 8, v24 :: v_dual_lshlrev_b32 v1, 23, v1
	v_lshl_add_u32 v6, v6, 10, 0x2000
	s_delay_alu instid0(VALU_DEP_1) | instskip(NEXT) | instid1(VALU_DEP_1)
	v_and_or_b32 v6, 0x8000, v7, v6
	v_lshl_or_b32 v100, v6, 16, v1
.LBB292_232:                            ;   in Loop: Header=BB292_10 Depth=1
	s_or_b32 exec_lo, exec_lo, s17
.LBB292_233:                            ;   in Loop: Header=BB292_10 Depth=1
	s_delay_alu instid0(SALU_CYCLE_1)
	s_or_b32 exec_lo, exec_lo, s16
.LBB292_234:                            ;   in Loop: Header=BB292_10 Depth=1
	s_delay_alu instid0(SALU_CYCLE_1) | instskip(SKIP_3) | instid1(VALU_DEP_2)
	s_or_b32 exec_lo, exec_lo, s15
	v_and_b32_e32 v1, 0xff, v5
	v_mov_b32_e32 v24, v5
	s_mov_b32 s15, exec_lo
	v_cmpx_ne_u16_e32 0, v1
	s_cbranch_execz .LBB292_242
; %bb.235:                              ;   in Loop: Header=BB292_10 Depth=1
	v_mov_b32_e32 v106, 0x8000
	s_mov_b32 s16, exec_lo
	v_cmpx_ne_u16_e32 0x80, v1
	s_cbranch_execz .LBB292_241
; %bb.236:                              ;   in Loop: Header=BB292_10 Depth=1
	v_and_b32_e32 v7, 0x7f, v5
	v_mov_b32_e32 v106, 0x7c01
	s_mov_b32 s17, exec_lo
	s_delay_alu instid0(VALU_DEP_2)
	v_cmpx_ne_u32_e32 0x7f, v7
	s_cbranch_execz .LBB292_240
; %bb.237:                              ;   in Loop: Header=BB292_10 Depth=1
	v_dual_lshrrev_b32 v6, 3, v7 :: v_dual_bitop2_b32 v1, 7, v5 bitop3:0x40
	s_mov_b32 s18, exec_lo
	v_cmpx_gt_u32_e32 8, v7
; %bb.238:                              ;   in Loop: Header=BB292_10 Depth=1
	s_delay_alu instid0(VALU_DEP_2) | instskip(NEXT) | instid1(VALU_DEP_1)
	v_clz_i32_u32_e32 v1, v1
	v_min_u32_e32 v1, 32, v1
	s_delay_alu instid0(VALU_DEP_1) | instskip(NEXT) | instid1(VALU_DEP_1)
	v_subrev_nc_u32_e32 v6, 28, v1
	v_lshlrev_b64_e32 v[8:9], v6, v[24:25]
	s_delay_alu instid0(VALU_DEP_1)
	v_dual_sub_nc_u32 v6, 29, v1 :: v_dual_bitop2_b32 v1, 7, v8 bitop3:0x40
; %bb.239:                              ;   in Loop: Header=BB292_10 Depth=1
	s_or_b32 exec_lo, exec_lo, s18
	v_lshlrev_b32_e32 v7, 8, v5
	s_delay_alu instid0(VALU_DEP_2) | instskip(NEXT) | instid1(VALU_DEP_3)
	v_lshl_add_u32 v6, v6, 10, 0x2000
	v_lshlrev_b32_e32 v1, 7, v1
	s_delay_alu instid0(VALU_DEP_3) | instskip(NEXT) | instid1(VALU_DEP_3)
	v_and_b32_e32 v7, 0x8000, v7
	v_and_b32_e32 v6, 0xfc00, v6
	s_delay_alu instid0(VALU_DEP_1)
	v_or3_b32 v106, v7, v6, v1
.LBB292_240:                            ;   in Loop: Header=BB292_10 Depth=1
	s_or_b32 exec_lo, exec_lo, s17
.LBB292_241:                            ;   in Loop: Header=BB292_10 Depth=1
	s_delay_alu instid0(SALU_CYCLE_1)
	s_or_b32 exec_lo, exec_lo, s16
.LBB292_242:                            ;   in Loop: Header=BB292_10 Depth=1
	s_delay_alu instid0(SALU_CYCLE_1) | instskip(SKIP_3) | instid1(VALU_DEP_2)
	s_or_b32 exec_lo, exec_lo, s15
	v_lshrrev_b16 v24, 8, v24
	v_dual_mov_b32 v104, 0 :: v_dual_mov_b32 v102, 0
	s_mov_b32 s15, exec_lo
	v_cmpx_ne_u16_e32 0, v24
	s_cbranch_execz .LBB292_250
; %bb.243:                              ;   in Loop: Header=BB292_10 Depth=1
	v_bfrev_b32_e32 v102, 1
	s_mov_b32 s16, exec_lo
	v_cmpx_ne_u16_e32 0x80, v24
	s_cbranch_execz .LBB292_249
; %bb.244:                              ;   in Loop: Header=BB292_10 Depth=1
	v_and_b32_e32 v1, 0xffff, v24
	v_mov_b32_e32 v102, 0x7c010000
	s_mov_b32 s17, exec_lo
	s_delay_alu instid0(VALU_DEP_2) | instskip(NEXT) | instid1(VALU_DEP_1)
	v_and_b32_e32 v8, 0x7f, v1
	v_cmpx_ne_u32_e32 0x7f, v8
	s_cbranch_execz .LBB292_248
; %bb.245:                              ;   in Loop: Header=BB292_10 Depth=1
	v_dual_lshrrev_b32 v7, 3, v8 :: v_dual_bitop2_b32 v6, 7, v1 bitop3:0x40
	s_mov_b32 s18, exec_lo
	v_cmpx_gt_u32_e32 8, v8
; %bb.246:                              ;   in Loop: Header=BB292_10 Depth=1
	s_delay_alu instid0(VALU_DEP_2) | instskip(NEXT) | instid1(VALU_DEP_1)
	v_clz_i32_u32_e32 v6, v6
	v_min_u32_e32 v8, 32, v6
	s_delay_alu instid0(VALU_DEP_1) | instskip(NEXT) | instid1(VALU_DEP_1)
	v_subrev_nc_u32_e32 v6, 28, v8
	v_lshlrev_b64_e32 v[6:7], v6, v[24:25]
	s_delay_alu instid0(VALU_DEP_1)
	v_dual_sub_nc_u32 v7, 29, v8 :: v_dual_bitop2_b32 v6, 7, v6 bitop3:0x40
; %bb.247:                              ;   in Loop: Header=BB292_10 Depth=1
	s_or_b32 exec_lo, exec_lo, s18
	s_delay_alu instid0(VALU_DEP_1) | instskip(NEXT) | instid1(VALU_DEP_2)
	v_dual_lshlrev_b32 v1, 8, v1 :: v_dual_lshlrev_b32 v6, 23, v6
	v_lshl_add_u32 v7, v7, 10, 0x2000
	s_delay_alu instid0(VALU_DEP_1) | instskip(NEXT) | instid1(VALU_DEP_1)
	v_and_or_b32 v1, 0x8000, v1, v7
	v_lshl_or_b32 v102, v1, 16, v6
.LBB292_248:                            ;   in Loop: Header=BB292_10 Depth=1
	s_or_b32 exec_lo, exec_lo, s17
.LBB292_249:                            ;   in Loop: Header=BB292_10 Depth=1
	s_delay_alu instid0(SALU_CYCLE_1)
	s_or_b32 exec_lo, exec_lo, s16
.LBB292_250:                            ;   in Loop: Header=BB292_10 Depth=1
	s_delay_alu instid0(SALU_CYCLE_1) | instskip(SKIP_2) | instid1(VALU_DEP_1)
	s_or_b32 exec_lo, exec_lo, s15
	v_lshrrev_b32_e32 v8, 16, v5
	s_mov_b32 s15, exec_lo
	v_and_b32_e32 v1, 0xff, v8
	s_delay_alu instid0(VALU_DEP_1)
	v_cmpx_ne_u16_e32 0, v1
	s_cbranch_execz .LBB292_258
; %bb.251:                              ;   in Loop: Header=BB292_10 Depth=1
	v_mov_b32_e32 v104, 0x8000
	s_mov_b32 s16, exec_lo
	v_cmpx_ne_u16_e32 0x80, v1
	s_cbranch_execz .LBB292_257
; %bb.252:                              ;   in Loop: Header=BB292_10 Depth=1
	v_bfe_u32 v7, v5, 16, 7
	v_mov_b32_e32 v104, 0x7c01
	s_mov_b32 s17, exec_lo
	s_delay_alu instid0(VALU_DEP_2)
	v_cmpx_ne_u32_e32 0x7f, v7
	s_cbranch_execz .LBB292_256
; %bb.253:                              ;   in Loop: Header=BB292_10 Depth=1
	v_dual_lshrrev_b32 v6, 3, v7 :: v_dual_bitop2_b32 v1, 7, v8 bitop3:0x40
	s_mov_b32 s18, exec_lo
	v_cmpx_gt_u32_e32 8, v7
; %bb.254:                              ;   in Loop: Header=BB292_10 Depth=1
	s_delay_alu instid0(VALU_DEP_2) | instskip(NEXT) | instid1(VALU_DEP_1)
	v_clz_i32_u32_e32 v1, v1
	v_min_u32_e32 v1, 32, v1
	s_delay_alu instid0(VALU_DEP_1) | instskip(NEXT) | instid1(VALU_DEP_1)
	v_subrev_nc_u32_e32 v6, 28, v1
	v_lshlrev_b64_e32 v[10:11], v6, v[8:9]
	s_delay_alu instid0(VALU_DEP_1)
	v_dual_sub_nc_u32 v6, 29, v1 :: v_dual_bitop2_b32 v1, 7, v10 bitop3:0x40
; %bb.255:                              ;   in Loop: Header=BB292_10 Depth=1
	s_or_b32 exec_lo, exec_lo, s18
	s_delay_alu instid0(VALU_DEP_1) | instskip(NEXT) | instid1(VALU_DEP_2)
	v_dual_lshlrev_b32 v7, 8, v8 :: v_dual_lshlrev_b32 v1, 7, v1
	v_lshl_add_u32 v6, v6, 10, 0x2000
	s_delay_alu instid0(VALU_DEP_2) | instskip(NEXT) | instid1(VALU_DEP_2)
	v_and_b32_e32 v7, 0x8000, v7
	v_and_b32_e32 v6, 0xfc00, v6
	s_delay_alu instid0(VALU_DEP_1)
	v_or3_b32 v104, v7, v6, v1
.LBB292_256:                            ;   in Loop: Header=BB292_10 Depth=1
	s_or_b32 exec_lo, exec_lo, s17
.LBB292_257:                            ;   in Loop: Header=BB292_10 Depth=1
	s_delay_alu instid0(SALU_CYCLE_1)
	s_or_b32 exec_lo, exec_lo, s16
.LBB292_258:                            ;   in Loop: Header=BB292_10 Depth=1
	s_delay_alu instid0(SALU_CYCLE_1)
	s_or_b32 exec_lo, exec_lo, s15
	v_dual_mov_b32 v103, 0 :: v_dual_mov_b32 v112, 0
	s_mov_b32 s15, exec_lo
	v_cmpx_lt_u64_e64 s[2:3], v[4:5]
	s_cbranch_execz .LBB292_266
; %bb.259:                              ;   in Loop: Header=BB292_10 Depth=1
	v_lshrrev_b32_e32 v24, 24, v5
	v_bfrev_b32_e32 v112, 1
	s_mov_b32 s16, exec_lo
	s_delay_alu instid0(VALU_DEP_2)
	v_cmpx_ne_u32_e32 0x80, v24
	s_cbranch_execz .LBB292_265
; %bb.260:                              ;   in Loop: Header=BB292_10 Depth=1
	v_and_b32_e32 v5, 0x7f, v24
	v_mov_b32_e32 v112, 0x7c010000
	s_mov_b32 s17, exec_lo
	s_delay_alu instid0(VALU_DEP_2)
	v_cmpx_ne_u32_e32 0x7f, v5
	s_cbranch_execz .LBB292_264
; %bb.261:                              ;   in Loop: Header=BB292_10 Depth=1
	v_dual_lshrrev_b32 v4, 3, v5 :: v_dual_bitop2_b32 v1, 7, v24 bitop3:0x40
	s_mov_b32 s18, exec_lo
	v_cmpx_gt_u32_e32 8, v5
; %bb.262:                              ;   in Loop: Header=BB292_10 Depth=1
	s_delay_alu instid0(VALU_DEP_2) | instskip(NEXT) | instid1(VALU_DEP_1)
	v_clz_i32_u32_e32 v1, v1
	v_min_u32_e32 v1, 32, v1
	s_delay_alu instid0(VALU_DEP_1) | instskip(NEXT) | instid1(VALU_DEP_1)
	v_subrev_nc_u32_e32 v4, 28, v1
	v_lshlrev_b64_e32 v[6:7], v4, v[24:25]
	s_delay_alu instid0(VALU_DEP_1)
	v_dual_sub_nc_u32 v4, 29, v1 :: v_dual_bitop2_b32 v1, 7, v6 bitop3:0x40
; %bb.263:                              ;   in Loop: Header=BB292_10 Depth=1
	s_or_b32 exec_lo, exec_lo, s18
	s_delay_alu instid0(VALU_DEP_1) | instskip(NEXT) | instid1(VALU_DEP_2)
	v_dual_lshlrev_b32 v5, 8, v24 :: v_dual_lshlrev_b32 v1, 23, v1
	v_lshl_add_u32 v4, v4, 10, 0x2000
	s_delay_alu instid0(VALU_DEP_1) | instskip(NEXT) | instid1(VALU_DEP_1)
	v_and_or_b32 v4, 0x8000, v5, v4
	v_lshl_or_b32 v112, v4, 16, v1
.LBB292_264:                            ;   in Loop: Header=BB292_10 Depth=1
	s_or_b32 exec_lo, exec_lo, s17
.LBB292_265:                            ;   in Loop: Header=BB292_10 Depth=1
	s_delay_alu instid0(SALU_CYCLE_1)
	s_or_b32 exec_lo, exec_lo, s16
.LBB292_266:                            ;   in Loop: Header=BB292_10 Depth=1
	s_delay_alu instid0(SALU_CYCLE_1)
	s_or_b32 exec_lo, exec_lo, s15
	flat_load_b64 v[4:5], v[2:3] offset:1024
	s_mov_b32 s15, exec_lo
	s_wait_loadcnt_dscnt 0x0
	v_and_b32_e32 v1, 0xff, v4
	s_wait_xcnt 0x0
	s_delay_alu instid0(VALU_DEP_1)
	v_cmpx_ne_u16_e32 0, v1
	s_cbranch_execz .LBB292_274
; %bb.267:                              ;   in Loop: Header=BB292_10 Depth=1
	v_mov_b32_e32 v103, 0x8000
	s_mov_b32 s16, exec_lo
	v_cmpx_ne_u16_e32 0x80, v1
	s_cbranch_execz .LBB292_273
; %bb.268:                              ;   in Loop: Header=BB292_10 Depth=1
	v_and_b32_e32 v7, 0x7f, v4
	v_mov_b32_e32 v103, 0x7c01
	s_mov_b32 s17, exec_lo
	s_delay_alu instid0(VALU_DEP_2)
	v_cmpx_ne_u32_e32 0x7f, v7
	s_cbranch_execz .LBB292_272
; %bb.269:                              ;   in Loop: Header=BB292_10 Depth=1
	v_dual_lshrrev_b32 v6, 3, v7 :: v_dual_bitop2_b32 v1, 7, v4 bitop3:0x40
	s_mov_b32 s18, exec_lo
	v_cmpx_gt_u32_e32 8, v7
; %bb.270:                              ;   in Loop: Header=BB292_10 Depth=1
	s_delay_alu instid0(VALU_DEP_2) | instskip(NEXT) | instid1(VALU_DEP_1)
	v_clz_i32_u32_e32 v1, v1
	v_min_u32_e32 v1, 32, v1
	s_delay_alu instid0(VALU_DEP_1) | instskip(NEXT) | instid1(VALU_DEP_1)
	v_subrev_nc_u32_e32 v6, 28, v1
	v_lshlrev_b64_e32 v[8:9], v6, v[4:5]
	s_delay_alu instid0(VALU_DEP_1)
	v_dual_sub_nc_u32 v6, 29, v1 :: v_dual_bitop2_b32 v1, 7, v8 bitop3:0x40
; %bb.271:                              ;   in Loop: Header=BB292_10 Depth=1
	s_or_b32 exec_lo, exec_lo, s18
	s_delay_alu instid0(VALU_DEP_1) | instskip(NEXT) | instid1(VALU_DEP_2)
	v_dual_lshlrev_b32 v7, 8, v4 :: v_dual_lshlrev_b32 v1, 7, v1
	v_lshl_add_u32 v6, v6, 10, 0x2000
	s_delay_alu instid0(VALU_DEP_2) | instskip(NEXT) | instid1(VALU_DEP_2)
	v_and_b32_e32 v7, 0x8000, v7
	v_and_b32_e32 v6, 0xfc00, v6
	s_delay_alu instid0(VALU_DEP_1)
	v_or3_b32 v103, v7, v6, v1
.LBB292_272:                            ;   in Loop: Header=BB292_10 Depth=1
	s_or_b32 exec_lo, exec_lo, s17
.LBB292_273:                            ;   in Loop: Header=BB292_10 Depth=1
	s_delay_alu instid0(SALU_CYCLE_1)
	s_or_b32 exec_lo, exec_lo, s16
.LBB292_274:                            ;   in Loop: Header=BB292_10 Depth=1
	s_delay_alu instid0(SALU_CYCLE_1) | instskip(SKIP_3) | instid1(VALU_DEP_2)
	s_or_b32 exec_lo, exec_lo, s15
	v_lshrrev_b16 v24, 8, v4
	v_dual_mov_b32 v108, 0 :: v_dual_mov_b32 v46, 0
	s_mov_b32 s15, exec_lo
	v_cmpx_ne_u16_e32 0, v24
	s_cbranch_execz .LBB292_282
; %bb.275:                              ;   in Loop: Header=BB292_10 Depth=1
	v_bfrev_b32_e32 v46, 1
	s_mov_b32 s16, exec_lo
	v_cmpx_ne_u16_e32 0x80, v24
	s_cbranch_execz .LBB292_281
; %bb.276:                              ;   in Loop: Header=BB292_10 Depth=1
	v_and_b32_e32 v1, 0xffff, v24
	v_mov_b32_e32 v46, 0x7c010000
	s_mov_b32 s17, exec_lo
	s_delay_alu instid0(VALU_DEP_2) | instskip(NEXT) | instid1(VALU_DEP_1)
	v_and_b32_e32 v8, 0x7f, v1
	v_cmpx_ne_u32_e32 0x7f, v8
	s_cbranch_execz .LBB292_280
; %bb.277:                              ;   in Loop: Header=BB292_10 Depth=1
	v_dual_lshrrev_b32 v7, 3, v8 :: v_dual_bitop2_b32 v6, 7, v1 bitop3:0x40
	s_mov_b32 s18, exec_lo
	v_cmpx_gt_u32_e32 8, v8
; %bb.278:                              ;   in Loop: Header=BB292_10 Depth=1
	s_delay_alu instid0(VALU_DEP_2) | instskip(NEXT) | instid1(VALU_DEP_1)
	v_clz_i32_u32_e32 v6, v6
	v_min_u32_e32 v8, 32, v6
	s_delay_alu instid0(VALU_DEP_1) | instskip(NEXT) | instid1(VALU_DEP_1)
	v_subrev_nc_u32_e32 v6, 28, v8
	v_lshlrev_b64_e32 v[6:7], v6, v[24:25]
	s_delay_alu instid0(VALU_DEP_1)
	v_dual_sub_nc_u32 v7, 29, v8 :: v_dual_bitop2_b32 v6, 7, v6 bitop3:0x40
; %bb.279:                              ;   in Loop: Header=BB292_10 Depth=1
	s_or_b32 exec_lo, exec_lo, s18
	s_delay_alu instid0(VALU_DEP_1) | instskip(NEXT) | instid1(VALU_DEP_2)
	v_dual_lshlrev_b32 v1, 8, v1 :: v_dual_lshlrev_b32 v6, 23, v6
	v_lshl_add_u32 v7, v7, 10, 0x2000
	s_delay_alu instid0(VALU_DEP_1) | instskip(NEXT) | instid1(VALU_DEP_1)
	v_and_or_b32 v1, 0x8000, v1, v7
	v_lshl_or_b32 v46, v1, 16, v6
.LBB292_280:                            ;   in Loop: Header=BB292_10 Depth=1
	s_or_b32 exec_lo, exec_lo, s17
.LBB292_281:                            ;   in Loop: Header=BB292_10 Depth=1
	s_delay_alu instid0(SALU_CYCLE_1)
	s_or_b32 exec_lo, exec_lo, s16
.LBB292_282:                            ;   in Loop: Header=BB292_10 Depth=1
	s_delay_alu instid0(SALU_CYCLE_1) | instskip(SKIP_2) | instid1(VALU_DEP_1)
	s_or_b32 exec_lo, exec_lo, s15
	v_lshrrev_b32_e32 v8, 16, v4
	s_mov_b32 s15, exec_lo
	v_and_b32_e32 v1, 0xff, v8
	s_delay_alu instid0(VALU_DEP_1)
	v_cmpx_ne_u16_e32 0, v1
	s_cbranch_execz .LBB292_290
; %bb.283:                              ;   in Loop: Header=BB292_10 Depth=1
	v_mov_b32_e32 v108, 0x8000
	s_mov_b32 s16, exec_lo
	v_cmpx_ne_u16_e32 0x80, v1
	s_cbranch_execz .LBB292_289
; %bb.284:                              ;   in Loop: Header=BB292_10 Depth=1
	v_bfe_u32 v7, v4, 16, 7
	v_mov_b32_e32 v108, 0x7c01
	s_mov_b32 s17, exec_lo
	s_delay_alu instid0(VALU_DEP_2)
	v_cmpx_ne_u32_e32 0x7f, v7
	s_cbranch_execz .LBB292_288
; %bb.285:                              ;   in Loop: Header=BB292_10 Depth=1
	v_dual_lshrrev_b32 v6, 3, v7 :: v_dual_bitop2_b32 v1, 7, v8 bitop3:0x40
	s_mov_b32 s18, exec_lo
	v_cmpx_gt_u32_e32 8, v7
; %bb.286:                              ;   in Loop: Header=BB292_10 Depth=1
	s_delay_alu instid0(VALU_DEP_2) | instskip(NEXT) | instid1(VALU_DEP_1)
	v_clz_i32_u32_e32 v1, v1
	v_min_u32_e32 v1, 32, v1
	s_delay_alu instid0(VALU_DEP_1) | instskip(NEXT) | instid1(VALU_DEP_1)
	v_subrev_nc_u32_e32 v6, 28, v1
	v_lshlrev_b64_e32 v[10:11], v6, v[8:9]
	s_delay_alu instid0(VALU_DEP_1)
	v_dual_sub_nc_u32 v6, 29, v1 :: v_dual_bitop2_b32 v1, 7, v10 bitop3:0x40
; %bb.287:                              ;   in Loop: Header=BB292_10 Depth=1
	s_or_b32 exec_lo, exec_lo, s18
	s_delay_alu instid0(VALU_DEP_1) | instskip(NEXT) | instid1(VALU_DEP_2)
	v_dual_lshlrev_b32 v7, 8, v8 :: v_dual_lshlrev_b32 v1, 7, v1
	v_lshl_add_u32 v6, v6, 10, 0x2000
	s_delay_alu instid0(VALU_DEP_2) | instskip(NEXT) | instid1(VALU_DEP_2)
	v_and_b32_e32 v7, 0x8000, v7
	v_and_b32_e32 v6, 0xfc00, v6
	s_delay_alu instid0(VALU_DEP_1)
	v_or3_b32 v108, v7, v6, v1
.LBB292_288:                            ;   in Loop: Header=BB292_10 Depth=1
	s_or_b32 exec_lo, exec_lo, s17
.LBB292_289:                            ;   in Loop: Header=BB292_10 Depth=1
	s_delay_alu instid0(SALU_CYCLE_1)
	s_or_b32 exec_lo, exec_lo, s16
.LBB292_290:                            ;   in Loop: Header=BB292_10 Depth=1
	s_delay_alu instid0(SALU_CYCLE_1)
	s_or_b32 exec_lo, exec_lo, s15
	v_dual_mov_b32 v105, 0 :: v_dual_mov_b32 v109, 0
	s_mov_b32 s15, exec_lo
	v_cmpx_lt_u32_e32 0xffffff, v4
	s_cbranch_execz .LBB292_298
; %bb.291:                              ;   in Loop: Header=BB292_10 Depth=1
	v_lshrrev_b32_e32 v24, 24, v4
	v_bfrev_b32_e32 v109, 1
	s_mov_b32 s16, exec_lo
	s_delay_alu instid0(VALU_DEP_2)
	v_cmpx_ne_u32_e32 0x80, v24
	s_cbranch_execz .LBB292_297
; %bb.292:                              ;   in Loop: Header=BB292_10 Depth=1
	v_and_b32_e32 v7, 0x7f, v24
	v_mov_b32_e32 v109, 0x7c010000
	s_mov_b32 s17, exec_lo
	s_delay_alu instid0(VALU_DEP_2)
	v_cmpx_ne_u32_e32 0x7f, v7
	s_cbranch_execz .LBB292_296
; %bb.293:                              ;   in Loop: Header=BB292_10 Depth=1
	v_dual_lshrrev_b32 v6, 3, v7 :: v_dual_bitop2_b32 v1, 7, v24 bitop3:0x40
	s_mov_b32 s18, exec_lo
	v_cmpx_gt_u32_e32 8, v7
; %bb.294:                              ;   in Loop: Header=BB292_10 Depth=1
	s_delay_alu instid0(VALU_DEP_2) | instskip(NEXT) | instid1(VALU_DEP_1)
	v_clz_i32_u32_e32 v1, v1
	v_min_u32_e32 v1, 32, v1
	s_delay_alu instid0(VALU_DEP_1) | instskip(NEXT) | instid1(VALU_DEP_1)
	v_subrev_nc_u32_e32 v6, 28, v1
	v_lshlrev_b64_e32 v[8:9], v6, v[24:25]
	s_delay_alu instid0(VALU_DEP_1)
	v_dual_sub_nc_u32 v6, 29, v1 :: v_dual_bitop2_b32 v1, 7, v8 bitop3:0x40
; %bb.295:                              ;   in Loop: Header=BB292_10 Depth=1
	s_or_b32 exec_lo, exec_lo, s18
	s_delay_alu instid0(VALU_DEP_1) | instskip(NEXT) | instid1(VALU_DEP_2)
	v_dual_lshlrev_b32 v7, 8, v24 :: v_dual_lshlrev_b32 v1, 23, v1
	v_lshl_add_u32 v6, v6, 10, 0x2000
	s_delay_alu instid0(VALU_DEP_1) | instskip(NEXT) | instid1(VALU_DEP_1)
	v_and_or_b32 v6, 0x8000, v7, v6
	v_lshl_or_b32 v109, v6, 16, v1
.LBB292_296:                            ;   in Loop: Header=BB292_10 Depth=1
	s_or_b32 exec_lo, exec_lo, s17
.LBB292_297:                            ;   in Loop: Header=BB292_10 Depth=1
	s_delay_alu instid0(SALU_CYCLE_1)
	s_or_b32 exec_lo, exec_lo, s16
.LBB292_298:                            ;   in Loop: Header=BB292_10 Depth=1
	s_delay_alu instid0(SALU_CYCLE_1) | instskip(SKIP_3) | instid1(VALU_DEP_2)
	s_or_b32 exec_lo, exec_lo, s15
	v_and_b32_e32 v1, 0xff, v5
	v_mov_b32_e32 v24, v5
	s_mov_b32 s15, exec_lo
	v_cmpx_ne_u16_e32 0, v1
	s_cbranch_execz .LBB292_306
; %bb.299:                              ;   in Loop: Header=BB292_10 Depth=1
	v_mov_b32_e32 v105, 0x8000
	s_mov_b32 s16, exec_lo
	v_cmpx_ne_u16_e32 0x80, v1
	s_cbranch_execz .LBB292_305
; %bb.300:                              ;   in Loop: Header=BB292_10 Depth=1
	v_and_b32_e32 v7, 0x7f, v5
	v_mov_b32_e32 v105, 0x7c01
	s_mov_b32 s17, exec_lo
	s_delay_alu instid0(VALU_DEP_2)
	v_cmpx_ne_u32_e32 0x7f, v7
	s_cbranch_execz .LBB292_304
; %bb.301:                              ;   in Loop: Header=BB292_10 Depth=1
	v_dual_lshrrev_b32 v6, 3, v7 :: v_dual_bitop2_b32 v1, 7, v5 bitop3:0x40
	s_mov_b32 s18, exec_lo
	v_cmpx_gt_u32_e32 8, v7
; %bb.302:                              ;   in Loop: Header=BB292_10 Depth=1
	s_delay_alu instid0(VALU_DEP_2) | instskip(NEXT) | instid1(VALU_DEP_1)
	v_clz_i32_u32_e32 v1, v1
	v_min_u32_e32 v1, 32, v1
	s_delay_alu instid0(VALU_DEP_1) | instskip(NEXT) | instid1(VALU_DEP_1)
	v_subrev_nc_u32_e32 v6, 28, v1
	v_lshlrev_b64_e32 v[8:9], v6, v[24:25]
	s_delay_alu instid0(VALU_DEP_1)
	v_dual_sub_nc_u32 v6, 29, v1 :: v_dual_bitop2_b32 v1, 7, v8 bitop3:0x40
; %bb.303:                              ;   in Loop: Header=BB292_10 Depth=1
	s_or_b32 exec_lo, exec_lo, s18
	v_lshlrev_b32_e32 v7, 8, v5
	s_delay_alu instid0(VALU_DEP_2) | instskip(NEXT) | instid1(VALU_DEP_3)
	v_lshl_add_u32 v6, v6, 10, 0x2000
	v_lshlrev_b32_e32 v1, 7, v1
	s_delay_alu instid0(VALU_DEP_3) | instskip(NEXT) | instid1(VALU_DEP_3)
	v_and_b32_e32 v7, 0x8000, v7
	v_and_b32_e32 v6, 0xfc00, v6
	s_delay_alu instid0(VALU_DEP_1)
	v_or3_b32 v105, v7, v6, v1
.LBB292_304:                            ;   in Loop: Header=BB292_10 Depth=1
	s_or_b32 exec_lo, exec_lo, s17
.LBB292_305:                            ;   in Loop: Header=BB292_10 Depth=1
	s_delay_alu instid0(SALU_CYCLE_1)
	s_or_b32 exec_lo, exec_lo, s16
.LBB292_306:                            ;   in Loop: Header=BB292_10 Depth=1
	s_delay_alu instid0(SALU_CYCLE_1) | instskip(SKIP_3) | instid1(VALU_DEP_2)
	s_or_b32 exec_lo, exec_lo, s15
	v_lshrrev_b16 v24, 8, v24
	v_dual_mov_b32 v93, 0 :: v_dual_mov_b32 v73, 0
	s_mov_b32 s15, exec_lo
	v_cmpx_ne_u16_e32 0, v24
	s_cbranch_execz .LBB292_314
; %bb.307:                              ;   in Loop: Header=BB292_10 Depth=1
	v_bfrev_b32_e32 v73, 1
	s_mov_b32 s16, exec_lo
	v_cmpx_ne_u16_e32 0x80, v24
	s_cbranch_execz .LBB292_313
; %bb.308:                              ;   in Loop: Header=BB292_10 Depth=1
	v_and_b32_e32 v1, 0xffff, v24
	v_mov_b32_e32 v73, 0x7c010000
	s_mov_b32 s17, exec_lo
	s_delay_alu instid0(VALU_DEP_2) | instskip(NEXT) | instid1(VALU_DEP_1)
	v_and_b32_e32 v8, 0x7f, v1
	v_cmpx_ne_u32_e32 0x7f, v8
	s_cbranch_execz .LBB292_312
; %bb.309:                              ;   in Loop: Header=BB292_10 Depth=1
	v_dual_lshrrev_b32 v7, 3, v8 :: v_dual_bitop2_b32 v6, 7, v1 bitop3:0x40
	s_mov_b32 s18, exec_lo
	v_cmpx_gt_u32_e32 8, v8
; %bb.310:                              ;   in Loop: Header=BB292_10 Depth=1
	s_delay_alu instid0(VALU_DEP_2) | instskip(NEXT) | instid1(VALU_DEP_1)
	v_clz_i32_u32_e32 v6, v6
	v_min_u32_e32 v8, 32, v6
	s_delay_alu instid0(VALU_DEP_1) | instskip(NEXT) | instid1(VALU_DEP_1)
	v_subrev_nc_u32_e32 v6, 28, v8
	v_lshlrev_b64_e32 v[6:7], v6, v[24:25]
	s_delay_alu instid0(VALU_DEP_1)
	v_dual_sub_nc_u32 v7, 29, v8 :: v_dual_bitop2_b32 v6, 7, v6 bitop3:0x40
; %bb.311:                              ;   in Loop: Header=BB292_10 Depth=1
	s_or_b32 exec_lo, exec_lo, s18
	s_delay_alu instid0(VALU_DEP_1) | instskip(NEXT) | instid1(VALU_DEP_2)
	v_dual_lshlrev_b32 v1, 8, v1 :: v_dual_lshlrev_b32 v6, 23, v6
	v_lshl_add_u32 v7, v7, 10, 0x2000
	s_delay_alu instid0(VALU_DEP_1) | instskip(NEXT) | instid1(VALU_DEP_1)
	v_and_or_b32 v1, 0x8000, v1, v7
	v_lshl_or_b32 v73, v1, 16, v6
.LBB292_312:                            ;   in Loop: Header=BB292_10 Depth=1
	s_or_b32 exec_lo, exec_lo, s17
.LBB292_313:                            ;   in Loop: Header=BB292_10 Depth=1
	s_delay_alu instid0(SALU_CYCLE_1)
	s_or_b32 exec_lo, exec_lo, s16
.LBB292_314:                            ;   in Loop: Header=BB292_10 Depth=1
	s_delay_alu instid0(SALU_CYCLE_1) | instskip(SKIP_2) | instid1(VALU_DEP_1)
	s_or_b32 exec_lo, exec_lo, s15
	v_lshrrev_b32_e32 v8, 16, v5
	s_mov_b32 s15, exec_lo
	v_and_b32_e32 v1, 0xff, v8
	s_delay_alu instid0(VALU_DEP_1)
	v_cmpx_ne_u16_e32 0, v1
	s_cbranch_execz .LBB292_322
; %bb.315:                              ;   in Loop: Header=BB292_10 Depth=1
	v_mov_b32_e32 v93, 0x8000
	s_mov_b32 s16, exec_lo
	v_cmpx_ne_u16_e32 0x80, v1
	s_cbranch_execz .LBB292_321
; %bb.316:                              ;   in Loop: Header=BB292_10 Depth=1
	v_bfe_u32 v7, v5, 16, 7
	v_mov_b32_e32 v93, 0x7c01
	s_mov_b32 s17, exec_lo
	s_delay_alu instid0(VALU_DEP_2)
	v_cmpx_ne_u32_e32 0x7f, v7
	s_cbranch_execz .LBB292_320
; %bb.317:                              ;   in Loop: Header=BB292_10 Depth=1
	v_dual_lshrrev_b32 v6, 3, v7 :: v_dual_bitop2_b32 v1, 7, v8 bitop3:0x40
	s_mov_b32 s18, exec_lo
	v_cmpx_gt_u32_e32 8, v7
; %bb.318:                              ;   in Loop: Header=BB292_10 Depth=1
	s_delay_alu instid0(VALU_DEP_2) | instskip(NEXT) | instid1(VALU_DEP_1)
	v_clz_i32_u32_e32 v1, v1
	v_min_u32_e32 v1, 32, v1
	s_delay_alu instid0(VALU_DEP_1) | instskip(NEXT) | instid1(VALU_DEP_1)
	v_subrev_nc_u32_e32 v6, 28, v1
	v_lshlrev_b64_e32 v[10:11], v6, v[8:9]
	s_delay_alu instid0(VALU_DEP_1)
	v_dual_sub_nc_u32 v6, 29, v1 :: v_dual_bitop2_b32 v1, 7, v10 bitop3:0x40
; %bb.319:                              ;   in Loop: Header=BB292_10 Depth=1
	s_or_b32 exec_lo, exec_lo, s18
	s_delay_alu instid0(VALU_DEP_1) | instskip(NEXT) | instid1(VALU_DEP_2)
	v_dual_lshlrev_b32 v7, 8, v8 :: v_dual_lshlrev_b32 v1, 7, v1
	v_lshl_add_u32 v6, v6, 10, 0x2000
	s_delay_alu instid0(VALU_DEP_2) | instskip(NEXT) | instid1(VALU_DEP_2)
	v_and_b32_e32 v7, 0x8000, v7
	v_and_b32_e32 v6, 0xfc00, v6
	s_delay_alu instid0(VALU_DEP_1)
	v_or3_b32 v93, v7, v6, v1
.LBB292_320:                            ;   in Loop: Header=BB292_10 Depth=1
	s_or_b32 exec_lo, exec_lo, s17
.LBB292_321:                            ;   in Loop: Header=BB292_10 Depth=1
	s_delay_alu instid0(SALU_CYCLE_1)
	s_or_b32 exec_lo, exec_lo, s16
.LBB292_322:                            ;   in Loop: Header=BB292_10 Depth=1
	s_delay_alu instid0(SALU_CYCLE_1)
	s_or_b32 exec_lo, exec_lo, s15
	v_dual_mov_b32 v79, 0 :: v_dual_mov_b32 v72, 0
	s_mov_b32 s15, exec_lo
	v_cmpx_lt_u64_e64 s[2:3], v[4:5]
	s_cbranch_execz .LBB292_330
; %bb.323:                              ;   in Loop: Header=BB292_10 Depth=1
	v_lshrrev_b32_e32 v24, 24, v5
	v_bfrev_b32_e32 v72, 1
	s_mov_b32 s16, exec_lo
	s_delay_alu instid0(VALU_DEP_2)
	v_cmpx_ne_u32_e32 0x80, v24
	s_cbranch_execz .LBB292_329
; %bb.324:                              ;   in Loop: Header=BB292_10 Depth=1
	v_and_b32_e32 v5, 0x7f, v24
	v_mov_b32_e32 v72, 0x7c010000
	s_mov_b32 s17, exec_lo
	s_delay_alu instid0(VALU_DEP_2)
	v_cmpx_ne_u32_e32 0x7f, v5
	s_cbranch_execz .LBB292_328
; %bb.325:                              ;   in Loop: Header=BB292_10 Depth=1
	v_dual_lshrrev_b32 v4, 3, v5 :: v_dual_bitop2_b32 v1, 7, v24 bitop3:0x40
	s_mov_b32 s18, exec_lo
	v_cmpx_gt_u32_e32 8, v5
; %bb.326:                              ;   in Loop: Header=BB292_10 Depth=1
	s_delay_alu instid0(VALU_DEP_2) | instskip(NEXT) | instid1(VALU_DEP_1)
	v_clz_i32_u32_e32 v1, v1
	v_min_u32_e32 v1, 32, v1
	s_delay_alu instid0(VALU_DEP_1) | instskip(NEXT) | instid1(VALU_DEP_1)
	v_subrev_nc_u32_e32 v4, 28, v1
	v_lshlrev_b64_e32 v[6:7], v4, v[24:25]
	s_delay_alu instid0(VALU_DEP_1)
	v_dual_sub_nc_u32 v4, 29, v1 :: v_dual_bitop2_b32 v1, 7, v6 bitop3:0x40
; %bb.327:                              ;   in Loop: Header=BB292_10 Depth=1
	s_or_b32 exec_lo, exec_lo, s18
	s_delay_alu instid0(VALU_DEP_1) | instskip(NEXT) | instid1(VALU_DEP_2)
	v_dual_lshlrev_b32 v5, 8, v24 :: v_dual_lshlrev_b32 v1, 23, v1
	v_lshl_add_u32 v4, v4, 10, 0x2000
	s_delay_alu instid0(VALU_DEP_1) | instskip(NEXT) | instid1(VALU_DEP_1)
	v_and_or_b32 v4, 0x8000, v5, v4
	v_lshl_or_b32 v72, v4, 16, v1
.LBB292_328:                            ;   in Loop: Header=BB292_10 Depth=1
	s_or_b32 exec_lo, exec_lo, s17
.LBB292_329:                            ;   in Loop: Header=BB292_10 Depth=1
	s_delay_alu instid0(SALU_CYCLE_1)
	s_or_b32 exec_lo, exec_lo, s16
.LBB292_330:                            ;   in Loop: Header=BB292_10 Depth=1
	s_delay_alu instid0(SALU_CYCLE_1)
	s_or_b32 exec_lo, exec_lo, s15
	flat_load_b64 v[4:5], v[2:3] offset:1032
	s_mov_b32 s15, exec_lo
	s_wait_loadcnt_dscnt 0x0
	v_and_b32_e32 v1, 0xff, v4
	s_wait_xcnt 0x0
	s_delay_alu instid0(VALU_DEP_1)
	v_cmpx_ne_u16_e32 0, v1
	s_cbranch_execz .LBB292_338
; %bb.331:                              ;   in Loop: Header=BB292_10 Depth=1
	v_mov_b32_e32 v79, 0x8000
	s_mov_b32 s16, exec_lo
	v_cmpx_ne_u16_e32 0x80, v1
	s_cbranch_execz .LBB292_337
; %bb.332:                              ;   in Loop: Header=BB292_10 Depth=1
	v_and_b32_e32 v7, 0x7f, v4
	v_mov_b32_e32 v79, 0x7c01
	s_mov_b32 s17, exec_lo
	s_delay_alu instid0(VALU_DEP_2)
	v_cmpx_ne_u32_e32 0x7f, v7
	s_cbranch_execz .LBB292_336
; %bb.333:                              ;   in Loop: Header=BB292_10 Depth=1
	v_dual_lshrrev_b32 v6, 3, v7 :: v_dual_bitop2_b32 v1, 7, v4 bitop3:0x40
	s_mov_b32 s18, exec_lo
	v_cmpx_gt_u32_e32 8, v7
; %bb.334:                              ;   in Loop: Header=BB292_10 Depth=1
	s_delay_alu instid0(VALU_DEP_2) | instskip(NEXT) | instid1(VALU_DEP_1)
	v_clz_i32_u32_e32 v1, v1
	v_min_u32_e32 v1, 32, v1
	s_delay_alu instid0(VALU_DEP_1) | instskip(NEXT) | instid1(VALU_DEP_1)
	v_subrev_nc_u32_e32 v6, 28, v1
	v_lshlrev_b64_e32 v[8:9], v6, v[4:5]
	s_delay_alu instid0(VALU_DEP_1)
	v_dual_sub_nc_u32 v6, 29, v1 :: v_dual_bitop2_b32 v1, 7, v8 bitop3:0x40
; %bb.335:                              ;   in Loop: Header=BB292_10 Depth=1
	s_or_b32 exec_lo, exec_lo, s18
	s_delay_alu instid0(VALU_DEP_1) | instskip(NEXT) | instid1(VALU_DEP_2)
	v_dual_lshlrev_b32 v7, 8, v4 :: v_dual_lshlrev_b32 v1, 7, v1
	v_lshl_add_u32 v6, v6, 10, 0x2000
	s_delay_alu instid0(VALU_DEP_2) | instskip(NEXT) | instid1(VALU_DEP_2)
	v_and_b32_e32 v7, 0x8000, v7
	v_and_b32_e32 v6, 0xfc00, v6
	s_delay_alu instid0(VALU_DEP_1)
	v_or3_b32 v79, v7, v6, v1
.LBB292_336:                            ;   in Loop: Header=BB292_10 Depth=1
	s_or_b32 exec_lo, exec_lo, s17
.LBB292_337:                            ;   in Loop: Header=BB292_10 Depth=1
	s_delay_alu instid0(SALU_CYCLE_1)
	s_or_b32 exec_lo, exec_lo, s16
.LBB292_338:                            ;   in Loop: Header=BB292_10 Depth=1
	s_delay_alu instid0(SALU_CYCLE_1) | instskip(SKIP_3) | instid1(VALU_DEP_2)
	s_or_b32 exec_lo, exec_lo, s15
	v_lshrrev_b16 v24, 8, v4
	v_dual_mov_b32 v91, 0 :: v_dual_mov_b32 v89, 0
	s_mov_b32 s15, exec_lo
	v_cmpx_ne_u16_e32 0, v24
	s_cbranch_execz .LBB292_346
; %bb.339:                              ;   in Loop: Header=BB292_10 Depth=1
	v_bfrev_b32_e32 v89, 1
	s_mov_b32 s16, exec_lo
	v_cmpx_ne_u16_e32 0x80, v24
	s_cbranch_execz .LBB292_345
; %bb.340:                              ;   in Loop: Header=BB292_10 Depth=1
	v_and_b32_e32 v1, 0xffff, v24
	v_mov_b32_e32 v89, 0x7c010000
	s_mov_b32 s17, exec_lo
	s_delay_alu instid0(VALU_DEP_2) | instskip(NEXT) | instid1(VALU_DEP_1)
	v_and_b32_e32 v8, 0x7f, v1
	v_cmpx_ne_u32_e32 0x7f, v8
	s_cbranch_execz .LBB292_344
; %bb.341:                              ;   in Loop: Header=BB292_10 Depth=1
	v_dual_lshrrev_b32 v7, 3, v8 :: v_dual_bitop2_b32 v6, 7, v1 bitop3:0x40
	s_mov_b32 s18, exec_lo
	v_cmpx_gt_u32_e32 8, v8
; %bb.342:                              ;   in Loop: Header=BB292_10 Depth=1
	s_delay_alu instid0(VALU_DEP_2) | instskip(NEXT) | instid1(VALU_DEP_1)
	v_clz_i32_u32_e32 v6, v6
	v_min_u32_e32 v8, 32, v6
	s_delay_alu instid0(VALU_DEP_1) | instskip(NEXT) | instid1(VALU_DEP_1)
	v_subrev_nc_u32_e32 v6, 28, v8
	v_lshlrev_b64_e32 v[6:7], v6, v[24:25]
	s_delay_alu instid0(VALU_DEP_1)
	v_dual_sub_nc_u32 v7, 29, v8 :: v_dual_bitop2_b32 v6, 7, v6 bitop3:0x40
; %bb.343:                              ;   in Loop: Header=BB292_10 Depth=1
	s_or_b32 exec_lo, exec_lo, s18
	s_delay_alu instid0(VALU_DEP_1) | instskip(NEXT) | instid1(VALU_DEP_2)
	v_dual_lshlrev_b32 v1, 8, v1 :: v_dual_lshlrev_b32 v6, 23, v6
	v_lshl_add_u32 v7, v7, 10, 0x2000
	s_delay_alu instid0(VALU_DEP_1) | instskip(NEXT) | instid1(VALU_DEP_1)
	v_and_or_b32 v1, 0x8000, v1, v7
	v_lshl_or_b32 v89, v1, 16, v6
.LBB292_344:                            ;   in Loop: Header=BB292_10 Depth=1
	s_or_b32 exec_lo, exec_lo, s17
.LBB292_345:                            ;   in Loop: Header=BB292_10 Depth=1
	s_delay_alu instid0(SALU_CYCLE_1)
	s_or_b32 exec_lo, exec_lo, s16
.LBB292_346:                            ;   in Loop: Header=BB292_10 Depth=1
	s_delay_alu instid0(SALU_CYCLE_1) | instskip(SKIP_2) | instid1(VALU_DEP_1)
	s_or_b32 exec_lo, exec_lo, s15
	v_lshrrev_b32_e32 v8, 16, v4
	s_mov_b32 s15, exec_lo
	v_and_b32_e32 v1, 0xff, v8
	s_delay_alu instid0(VALU_DEP_1)
	v_cmpx_ne_u16_e32 0, v1
	s_cbranch_execz .LBB292_354
; %bb.347:                              ;   in Loop: Header=BB292_10 Depth=1
	v_mov_b32_e32 v91, 0x8000
	s_mov_b32 s16, exec_lo
	v_cmpx_ne_u16_e32 0x80, v1
	s_cbranch_execz .LBB292_353
; %bb.348:                              ;   in Loop: Header=BB292_10 Depth=1
	v_bfe_u32 v7, v4, 16, 7
	v_mov_b32_e32 v91, 0x7c01
	s_mov_b32 s17, exec_lo
	s_delay_alu instid0(VALU_DEP_2)
	v_cmpx_ne_u32_e32 0x7f, v7
	s_cbranch_execz .LBB292_352
; %bb.349:                              ;   in Loop: Header=BB292_10 Depth=1
	v_dual_lshrrev_b32 v6, 3, v7 :: v_dual_bitop2_b32 v1, 7, v8 bitop3:0x40
	s_mov_b32 s18, exec_lo
	v_cmpx_gt_u32_e32 8, v7
; %bb.350:                              ;   in Loop: Header=BB292_10 Depth=1
	s_delay_alu instid0(VALU_DEP_2) | instskip(NEXT) | instid1(VALU_DEP_1)
	v_clz_i32_u32_e32 v1, v1
	v_min_u32_e32 v1, 32, v1
	s_delay_alu instid0(VALU_DEP_1) | instskip(NEXT) | instid1(VALU_DEP_1)
	v_subrev_nc_u32_e32 v6, 28, v1
	v_lshlrev_b64_e32 v[10:11], v6, v[8:9]
	s_delay_alu instid0(VALU_DEP_1)
	v_dual_sub_nc_u32 v6, 29, v1 :: v_dual_bitop2_b32 v1, 7, v10 bitop3:0x40
; %bb.351:                              ;   in Loop: Header=BB292_10 Depth=1
	s_or_b32 exec_lo, exec_lo, s18
	s_delay_alu instid0(VALU_DEP_1) | instskip(NEXT) | instid1(VALU_DEP_2)
	v_dual_lshlrev_b32 v7, 8, v8 :: v_dual_lshlrev_b32 v1, 7, v1
	v_lshl_add_u32 v6, v6, 10, 0x2000
	s_delay_alu instid0(VALU_DEP_2) | instskip(NEXT) | instid1(VALU_DEP_2)
	v_and_b32_e32 v7, 0x8000, v7
	v_and_b32_e32 v6, 0xfc00, v6
	s_delay_alu instid0(VALU_DEP_1)
	v_or3_b32 v91, v7, v6, v1
.LBB292_352:                            ;   in Loop: Header=BB292_10 Depth=1
	s_or_b32 exec_lo, exec_lo, s17
.LBB292_353:                            ;   in Loop: Header=BB292_10 Depth=1
	s_delay_alu instid0(SALU_CYCLE_1)
	s_or_b32 exec_lo, exec_lo, s16
.LBB292_354:                            ;   in Loop: Header=BB292_10 Depth=1
	s_delay_alu instid0(SALU_CYCLE_1)
	s_or_b32 exec_lo, exec_lo, s15
	v_dual_mov_b32 v113, 0 :: v_dual_mov_b32 v90, 0
	s_mov_b32 s15, exec_lo
	v_cmpx_lt_u32_e32 0xffffff, v4
	s_cbranch_execz .LBB292_362
; %bb.355:                              ;   in Loop: Header=BB292_10 Depth=1
	v_lshrrev_b32_e32 v24, 24, v4
	v_bfrev_b32_e32 v90, 1
	s_mov_b32 s16, exec_lo
	s_delay_alu instid0(VALU_DEP_2)
	v_cmpx_ne_u32_e32 0x80, v24
	s_cbranch_execz .LBB292_361
; %bb.356:                              ;   in Loop: Header=BB292_10 Depth=1
	v_and_b32_e32 v7, 0x7f, v24
	v_mov_b32_e32 v90, 0x7c010000
	s_mov_b32 s17, exec_lo
	s_delay_alu instid0(VALU_DEP_2)
	v_cmpx_ne_u32_e32 0x7f, v7
	s_cbranch_execz .LBB292_360
; %bb.357:                              ;   in Loop: Header=BB292_10 Depth=1
	v_dual_lshrrev_b32 v6, 3, v7 :: v_dual_bitop2_b32 v1, 7, v24 bitop3:0x40
	s_mov_b32 s18, exec_lo
	v_cmpx_gt_u32_e32 8, v7
; %bb.358:                              ;   in Loop: Header=BB292_10 Depth=1
	s_delay_alu instid0(VALU_DEP_2) | instskip(NEXT) | instid1(VALU_DEP_1)
	v_clz_i32_u32_e32 v1, v1
	v_min_u32_e32 v1, 32, v1
	s_delay_alu instid0(VALU_DEP_1) | instskip(NEXT) | instid1(VALU_DEP_1)
	v_subrev_nc_u32_e32 v6, 28, v1
	v_lshlrev_b64_e32 v[8:9], v6, v[24:25]
	s_delay_alu instid0(VALU_DEP_1)
	v_dual_sub_nc_u32 v6, 29, v1 :: v_dual_bitop2_b32 v1, 7, v8 bitop3:0x40
; %bb.359:                              ;   in Loop: Header=BB292_10 Depth=1
	s_or_b32 exec_lo, exec_lo, s18
	s_delay_alu instid0(VALU_DEP_1) | instskip(NEXT) | instid1(VALU_DEP_2)
	v_dual_lshlrev_b32 v7, 8, v24 :: v_dual_lshlrev_b32 v1, 23, v1
	v_lshl_add_u32 v6, v6, 10, 0x2000
	s_delay_alu instid0(VALU_DEP_1) | instskip(NEXT) | instid1(VALU_DEP_1)
	v_and_or_b32 v6, 0x8000, v7, v6
	v_lshl_or_b32 v90, v6, 16, v1
.LBB292_360:                            ;   in Loop: Header=BB292_10 Depth=1
	s_or_b32 exec_lo, exec_lo, s17
.LBB292_361:                            ;   in Loop: Header=BB292_10 Depth=1
	s_delay_alu instid0(SALU_CYCLE_1)
	s_or_b32 exec_lo, exec_lo, s16
.LBB292_362:                            ;   in Loop: Header=BB292_10 Depth=1
	s_delay_alu instid0(SALU_CYCLE_1) | instskip(SKIP_3) | instid1(VALU_DEP_2)
	s_or_b32 exec_lo, exec_lo, s15
	v_and_b32_e32 v1, 0xff, v5
	v_mov_b32_e32 v24, v5
	s_mov_b32 s15, exec_lo
	v_cmpx_ne_u16_e32 0, v1
	s_cbranch_execz .LBB292_370
; %bb.363:                              ;   in Loop: Header=BB292_10 Depth=1
	v_mov_b32_e32 v113, 0x8000
	s_mov_b32 s16, exec_lo
	v_cmpx_ne_u16_e32 0x80, v1
	s_cbranch_execz .LBB292_369
; %bb.364:                              ;   in Loop: Header=BB292_10 Depth=1
	v_and_b32_e32 v7, 0x7f, v5
	v_mov_b32_e32 v113, 0x7c01
	s_mov_b32 s17, exec_lo
	s_delay_alu instid0(VALU_DEP_2)
	v_cmpx_ne_u32_e32 0x7f, v7
	s_cbranch_execz .LBB292_368
; %bb.365:                              ;   in Loop: Header=BB292_10 Depth=1
	v_dual_lshrrev_b32 v6, 3, v7 :: v_dual_bitop2_b32 v1, 7, v5 bitop3:0x40
	s_mov_b32 s18, exec_lo
	v_cmpx_gt_u32_e32 8, v7
; %bb.366:                              ;   in Loop: Header=BB292_10 Depth=1
	s_delay_alu instid0(VALU_DEP_2) | instskip(NEXT) | instid1(VALU_DEP_1)
	v_clz_i32_u32_e32 v1, v1
	v_min_u32_e32 v1, 32, v1
	s_delay_alu instid0(VALU_DEP_1) | instskip(NEXT) | instid1(VALU_DEP_1)
	v_subrev_nc_u32_e32 v6, 28, v1
	v_lshlrev_b64_e32 v[8:9], v6, v[24:25]
	s_delay_alu instid0(VALU_DEP_1)
	v_dual_sub_nc_u32 v6, 29, v1 :: v_dual_bitop2_b32 v1, 7, v8 bitop3:0x40
; %bb.367:                              ;   in Loop: Header=BB292_10 Depth=1
	s_or_b32 exec_lo, exec_lo, s18
	v_lshlrev_b32_e32 v7, 8, v5
	s_delay_alu instid0(VALU_DEP_2) | instskip(NEXT) | instid1(VALU_DEP_3)
	v_lshl_add_u32 v6, v6, 10, 0x2000
	v_lshlrev_b32_e32 v1, 7, v1
	s_delay_alu instid0(VALU_DEP_3) | instskip(NEXT) | instid1(VALU_DEP_3)
	v_and_b32_e32 v7, 0x8000, v7
	v_and_b32_e32 v6, 0xfc00, v6
	s_delay_alu instid0(VALU_DEP_1)
	v_or3_b32 v113, v7, v6, v1
.LBB292_368:                            ;   in Loop: Header=BB292_10 Depth=1
	s_or_b32 exec_lo, exec_lo, s17
.LBB292_369:                            ;   in Loop: Header=BB292_10 Depth=1
	s_delay_alu instid0(SALU_CYCLE_1)
	s_or_b32 exec_lo, exec_lo, s16
.LBB292_370:                            ;   in Loop: Header=BB292_10 Depth=1
	s_delay_alu instid0(SALU_CYCLE_1) | instskip(SKIP_3) | instid1(VALU_DEP_2)
	s_or_b32 exec_lo, exec_lo, s15
	v_lshrrev_b16 v24, 8, v24
	v_dual_mov_b32 v101, 0 :: v_dual_mov_b32 v78, 0
	s_mov_b32 s15, exec_lo
	v_cmpx_ne_u16_e32 0, v24
	s_cbranch_execz .LBB292_378
; %bb.371:                              ;   in Loop: Header=BB292_10 Depth=1
	v_bfrev_b32_e32 v78, 1
	s_mov_b32 s16, exec_lo
	v_cmpx_ne_u16_e32 0x80, v24
	s_cbranch_execz .LBB292_377
; %bb.372:                              ;   in Loop: Header=BB292_10 Depth=1
	v_and_b32_e32 v1, 0xffff, v24
	v_mov_b32_e32 v78, 0x7c010000
	s_mov_b32 s17, exec_lo
	s_delay_alu instid0(VALU_DEP_2) | instskip(NEXT) | instid1(VALU_DEP_1)
	v_and_b32_e32 v8, 0x7f, v1
	v_cmpx_ne_u32_e32 0x7f, v8
	s_cbranch_execz .LBB292_376
; %bb.373:                              ;   in Loop: Header=BB292_10 Depth=1
	v_dual_lshrrev_b32 v7, 3, v8 :: v_dual_bitop2_b32 v6, 7, v1 bitop3:0x40
	s_mov_b32 s18, exec_lo
	v_cmpx_gt_u32_e32 8, v8
; %bb.374:                              ;   in Loop: Header=BB292_10 Depth=1
	s_delay_alu instid0(VALU_DEP_2) | instskip(NEXT) | instid1(VALU_DEP_1)
	v_clz_i32_u32_e32 v6, v6
	v_min_u32_e32 v8, 32, v6
	s_delay_alu instid0(VALU_DEP_1) | instskip(NEXT) | instid1(VALU_DEP_1)
	v_subrev_nc_u32_e32 v6, 28, v8
	v_lshlrev_b64_e32 v[6:7], v6, v[24:25]
	s_delay_alu instid0(VALU_DEP_1)
	v_dual_sub_nc_u32 v7, 29, v8 :: v_dual_bitop2_b32 v6, 7, v6 bitop3:0x40
; %bb.375:                              ;   in Loop: Header=BB292_10 Depth=1
	s_or_b32 exec_lo, exec_lo, s18
	s_delay_alu instid0(VALU_DEP_1) | instskip(NEXT) | instid1(VALU_DEP_2)
	v_dual_lshlrev_b32 v1, 8, v1 :: v_dual_lshlrev_b32 v6, 23, v6
	v_lshl_add_u32 v7, v7, 10, 0x2000
	s_delay_alu instid0(VALU_DEP_1) | instskip(NEXT) | instid1(VALU_DEP_1)
	v_and_or_b32 v1, 0x8000, v1, v7
	v_lshl_or_b32 v78, v1, 16, v6
.LBB292_376:                            ;   in Loop: Header=BB292_10 Depth=1
	s_or_b32 exec_lo, exec_lo, s17
.LBB292_377:                            ;   in Loop: Header=BB292_10 Depth=1
	s_delay_alu instid0(SALU_CYCLE_1)
	s_or_b32 exec_lo, exec_lo, s16
.LBB292_378:                            ;   in Loop: Header=BB292_10 Depth=1
	s_delay_alu instid0(SALU_CYCLE_1) | instskip(SKIP_2) | instid1(VALU_DEP_1)
	s_or_b32 exec_lo, exec_lo, s15
	v_lshrrev_b32_e32 v8, 16, v5
	s_mov_b32 s15, exec_lo
	v_and_b32_e32 v1, 0xff, v8
	s_delay_alu instid0(VALU_DEP_1)
	v_cmpx_ne_u16_e32 0, v1
	s_cbranch_execz .LBB292_386
; %bb.379:                              ;   in Loop: Header=BB292_10 Depth=1
	v_mov_b32_e32 v101, 0x8000
	s_mov_b32 s16, exec_lo
	v_cmpx_ne_u16_e32 0x80, v1
	s_cbranch_execz .LBB292_385
; %bb.380:                              ;   in Loop: Header=BB292_10 Depth=1
	v_bfe_u32 v7, v5, 16, 7
	v_mov_b32_e32 v101, 0x7c01
	s_mov_b32 s17, exec_lo
	s_delay_alu instid0(VALU_DEP_2)
	v_cmpx_ne_u32_e32 0x7f, v7
	s_cbranch_execz .LBB292_384
; %bb.381:                              ;   in Loop: Header=BB292_10 Depth=1
	v_dual_lshrrev_b32 v6, 3, v7 :: v_dual_bitop2_b32 v1, 7, v8 bitop3:0x40
	s_mov_b32 s18, exec_lo
	v_cmpx_gt_u32_e32 8, v7
; %bb.382:                              ;   in Loop: Header=BB292_10 Depth=1
	s_delay_alu instid0(VALU_DEP_2) | instskip(NEXT) | instid1(VALU_DEP_1)
	v_clz_i32_u32_e32 v1, v1
	v_min_u32_e32 v1, 32, v1
	s_delay_alu instid0(VALU_DEP_1) | instskip(NEXT) | instid1(VALU_DEP_1)
	v_subrev_nc_u32_e32 v6, 28, v1
	v_lshlrev_b64_e32 v[10:11], v6, v[8:9]
	s_delay_alu instid0(VALU_DEP_1)
	v_dual_sub_nc_u32 v6, 29, v1 :: v_dual_bitop2_b32 v1, 7, v10 bitop3:0x40
; %bb.383:                              ;   in Loop: Header=BB292_10 Depth=1
	s_or_b32 exec_lo, exec_lo, s18
	s_delay_alu instid0(VALU_DEP_1) | instskip(NEXT) | instid1(VALU_DEP_2)
	v_dual_lshlrev_b32 v7, 8, v8 :: v_dual_lshlrev_b32 v1, 7, v1
	v_lshl_add_u32 v6, v6, 10, 0x2000
	s_delay_alu instid0(VALU_DEP_2) | instskip(NEXT) | instid1(VALU_DEP_2)
	v_and_b32_e32 v7, 0x8000, v7
	v_and_b32_e32 v6, 0xfc00, v6
	s_delay_alu instid0(VALU_DEP_1)
	v_or3_b32 v101, v7, v6, v1
.LBB292_384:                            ;   in Loop: Header=BB292_10 Depth=1
	s_or_b32 exec_lo, exec_lo, s17
.LBB292_385:                            ;   in Loop: Header=BB292_10 Depth=1
	s_delay_alu instid0(SALU_CYCLE_1)
	s_or_b32 exec_lo, exec_lo, s16
.LBB292_386:                            ;   in Loop: Header=BB292_10 Depth=1
	s_delay_alu instid0(SALU_CYCLE_1)
	s_or_b32 exec_lo, exec_lo, s15
	v_dual_mov_b32 v47, 0 :: v_dual_mov_b32 v88, 0
	s_mov_b32 s15, exec_lo
	v_cmpx_lt_u64_e64 s[2:3], v[4:5]
	s_cbranch_execz .LBB292_394
; %bb.387:                              ;   in Loop: Header=BB292_10 Depth=1
	v_lshrrev_b32_e32 v24, 24, v5
	v_bfrev_b32_e32 v88, 1
	s_mov_b32 s16, exec_lo
	s_delay_alu instid0(VALU_DEP_2)
	v_cmpx_ne_u32_e32 0x80, v24
	s_cbranch_execz .LBB292_393
; %bb.388:                              ;   in Loop: Header=BB292_10 Depth=1
	v_and_b32_e32 v5, 0x7f, v24
	v_mov_b32_e32 v88, 0x7c010000
	s_mov_b32 s17, exec_lo
	s_delay_alu instid0(VALU_DEP_2)
	v_cmpx_ne_u32_e32 0x7f, v5
	s_cbranch_execz .LBB292_392
; %bb.389:                              ;   in Loop: Header=BB292_10 Depth=1
	v_dual_lshrrev_b32 v4, 3, v5 :: v_dual_bitop2_b32 v1, 7, v24 bitop3:0x40
	s_mov_b32 s18, exec_lo
	v_cmpx_gt_u32_e32 8, v5
; %bb.390:                              ;   in Loop: Header=BB292_10 Depth=1
	s_delay_alu instid0(VALU_DEP_2) | instskip(NEXT) | instid1(VALU_DEP_1)
	v_clz_i32_u32_e32 v1, v1
	v_min_u32_e32 v1, 32, v1
	s_delay_alu instid0(VALU_DEP_1) | instskip(NEXT) | instid1(VALU_DEP_1)
	v_subrev_nc_u32_e32 v4, 28, v1
	v_lshlrev_b64_e32 v[6:7], v4, v[24:25]
	s_delay_alu instid0(VALU_DEP_1)
	v_dual_sub_nc_u32 v4, 29, v1 :: v_dual_bitop2_b32 v1, 7, v6 bitop3:0x40
; %bb.391:                              ;   in Loop: Header=BB292_10 Depth=1
	s_or_b32 exec_lo, exec_lo, s18
	s_delay_alu instid0(VALU_DEP_1) | instskip(NEXT) | instid1(VALU_DEP_2)
	v_dual_lshlrev_b32 v5, 8, v24 :: v_dual_lshlrev_b32 v1, 23, v1
	v_lshl_add_u32 v4, v4, 10, 0x2000
	s_delay_alu instid0(VALU_DEP_1) | instskip(NEXT) | instid1(VALU_DEP_1)
	v_and_or_b32 v4, 0x8000, v5, v4
	v_lshl_or_b32 v88, v4, 16, v1
.LBB292_392:                            ;   in Loop: Header=BB292_10 Depth=1
	s_or_b32 exec_lo, exec_lo, s17
.LBB292_393:                            ;   in Loop: Header=BB292_10 Depth=1
	s_delay_alu instid0(SALU_CYCLE_1)
	s_or_b32 exec_lo, exec_lo, s16
.LBB292_394:                            ;   in Loop: Header=BB292_10 Depth=1
	s_delay_alu instid0(SALU_CYCLE_1)
	s_or_b32 exec_lo, exec_lo, s15
	flat_load_b64 v[4:5], v[2:3] offset:1536
	s_mov_b32 s15, exec_lo
	s_wait_loadcnt_dscnt 0x0
	v_and_b32_e32 v1, 0xff, v4
	s_wait_xcnt 0x0
	s_delay_alu instid0(VALU_DEP_1)
	v_cmpx_ne_u16_e32 0, v1
	s_cbranch_execz .LBB292_402
; %bb.395:                              ;   in Loop: Header=BB292_10 Depth=1
	v_mov_b32_e32 v47, 0x8000
	s_mov_b32 s16, exec_lo
	v_cmpx_ne_u16_e32 0x80, v1
	s_cbranch_execz .LBB292_401
; %bb.396:                              ;   in Loop: Header=BB292_10 Depth=1
	v_and_b32_e32 v7, 0x7f, v4
	v_mov_b32_e32 v47, 0x7c01
	s_mov_b32 s17, exec_lo
	s_delay_alu instid0(VALU_DEP_2)
	v_cmpx_ne_u32_e32 0x7f, v7
	s_cbranch_execz .LBB292_400
; %bb.397:                              ;   in Loop: Header=BB292_10 Depth=1
	v_dual_lshrrev_b32 v6, 3, v7 :: v_dual_bitop2_b32 v1, 7, v4 bitop3:0x40
	s_mov_b32 s18, exec_lo
	v_cmpx_gt_u32_e32 8, v7
; %bb.398:                              ;   in Loop: Header=BB292_10 Depth=1
	s_delay_alu instid0(VALU_DEP_2) | instskip(NEXT) | instid1(VALU_DEP_1)
	v_clz_i32_u32_e32 v1, v1
	v_min_u32_e32 v1, 32, v1
	s_delay_alu instid0(VALU_DEP_1) | instskip(NEXT) | instid1(VALU_DEP_1)
	v_subrev_nc_u32_e32 v6, 28, v1
	v_lshlrev_b64_e32 v[8:9], v6, v[4:5]
	s_delay_alu instid0(VALU_DEP_1)
	v_dual_sub_nc_u32 v6, 29, v1 :: v_dual_bitop2_b32 v1, 7, v8 bitop3:0x40
; %bb.399:                              ;   in Loop: Header=BB292_10 Depth=1
	s_or_b32 exec_lo, exec_lo, s18
	s_delay_alu instid0(VALU_DEP_1) | instskip(NEXT) | instid1(VALU_DEP_2)
	v_dual_lshlrev_b32 v7, 8, v4 :: v_dual_lshlrev_b32 v1, 7, v1
	v_lshl_add_u32 v6, v6, 10, 0x2000
	s_delay_alu instid0(VALU_DEP_2) | instskip(NEXT) | instid1(VALU_DEP_2)
	v_and_b32_e32 v7, 0x8000, v7
	v_and_b32_e32 v6, 0xfc00, v6
	s_delay_alu instid0(VALU_DEP_1)
	v_or3_b32 v47, v7, v6, v1
.LBB292_400:                            ;   in Loop: Header=BB292_10 Depth=1
	s_or_b32 exec_lo, exec_lo, s17
.LBB292_401:                            ;   in Loop: Header=BB292_10 Depth=1
	s_delay_alu instid0(SALU_CYCLE_1)
	s_or_b32 exec_lo, exec_lo, s16
.LBB292_402:                            ;   in Loop: Header=BB292_10 Depth=1
	s_delay_alu instid0(SALU_CYCLE_1) | instskip(SKIP_3) | instid1(VALU_DEP_2)
	s_or_b32 exec_lo, exec_lo, s15
	v_lshrrev_b16 v24, 8, v4
	v_dual_mov_b32 v111, 0 :: v_dual_mov_b32 v95, 0
	s_mov_b32 s15, exec_lo
	v_cmpx_ne_u16_e32 0, v24
	s_cbranch_execz .LBB292_410
; %bb.403:                              ;   in Loop: Header=BB292_10 Depth=1
	v_bfrev_b32_e32 v95, 1
	s_mov_b32 s16, exec_lo
	v_cmpx_ne_u16_e32 0x80, v24
	s_cbranch_execz .LBB292_409
; %bb.404:                              ;   in Loop: Header=BB292_10 Depth=1
	v_and_b32_e32 v1, 0xffff, v24
	v_mov_b32_e32 v95, 0x7c010000
	s_mov_b32 s17, exec_lo
	s_delay_alu instid0(VALU_DEP_2) | instskip(NEXT) | instid1(VALU_DEP_1)
	v_and_b32_e32 v8, 0x7f, v1
	v_cmpx_ne_u32_e32 0x7f, v8
	s_cbranch_execz .LBB292_408
; %bb.405:                              ;   in Loop: Header=BB292_10 Depth=1
	v_dual_lshrrev_b32 v7, 3, v8 :: v_dual_bitop2_b32 v6, 7, v1 bitop3:0x40
	s_mov_b32 s18, exec_lo
	v_cmpx_gt_u32_e32 8, v8
; %bb.406:                              ;   in Loop: Header=BB292_10 Depth=1
	s_delay_alu instid0(VALU_DEP_2) | instskip(NEXT) | instid1(VALU_DEP_1)
	v_clz_i32_u32_e32 v6, v6
	v_min_u32_e32 v8, 32, v6
	s_delay_alu instid0(VALU_DEP_1) | instskip(NEXT) | instid1(VALU_DEP_1)
	v_subrev_nc_u32_e32 v6, 28, v8
	v_lshlrev_b64_e32 v[6:7], v6, v[24:25]
	s_delay_alu instid0(VALU_DEP_1)
	v_dual_sub_nc_u32 v7, 29, v8 :: v_dual_bitop2_b32 v6, 7, v6 bitop3:0x40
; %bb.407:                              ;   in Loop: Header=BB292_10 Depth=1
	s_or_b32 exec_lo, exec_lo, s18
	s_delay_alu instid0(VALU_DEP_1) | instskip(NEXT) | instid1(VALU_DEP_2)
	v_dual_lshlrev_b32 v1, 8, v1 :: v_dual_lshlrev_b32 v6, 23, v6
	v_lshl_add_u32 v7, v7, 10, 0x2000
	s_delay_alu instid0(VALU_DEP_1) | instskip(NEXT) | instid1(VALU_DEP_1)
	v_and_or_b32 v1, 0x8000, v1, v7
	v_lshl_or_b32 v95, v1, 16, v6
.LBB292_408:                            ;   in Loop: Header=BB292_10 Depth=1
	s_or_b32 exec_lo, exec_lo, s17
.LBB292_409:                            ;   in Loop: Header=BB292_10 Depth=1
	s_delay_alu instid0(SALU_CYCLE_1)
	s_or_b32 exec_lo, exec_lo, s16
.LBB292_410:                            ;   in Loop: Header=BB292_10 Depth=1
	s_delay_alu instid0(SALU_CYCLE_1) | instskip(SKIP_2) | instid1(VALU_DEP_1)
	s_or_b32 exec_lo, exec_lo, s15
	v_lshrrev_b32_e32 v8, 16, v4
	s_mov_b32 s15, exec_lo
	v_and_b32_e32 v1, 0xff, v8
	s_delay_alu instid0(VALU_DEP_1)
	v_cmpx_ne_u16_e32 0, v1
	s_cbranch_execz .LBB292_418
; %bb.411:                              ;   in Loop: Header=BB292_10 Depth=1
	v_mov_b32_e32 v111, 0x8000
	s_mov_b32 s16, exec_lo
	v_cmpx_ne_u16_e32 0x80, v1
	s_cbranch_execz .LBB292_417
; %bb.412:                              ;   in Loop: Header=BB292_10 Depth=1
	v_bfe_u32 v7, v4, 16, 7
	v_mov_b32_e32 v111, 0x7c01
	s_mov_b32 s17, exec_lo
	s_delay_alu instid0(VALU_DEP_2)
	v_cmpx_ne_u32_e32 0x7f, v7
	s_cbranch_execz .LBB292_416
; %bb.413:                              ;   in Loop: Header=BB292_10 Depth=1
	v_dual_lshrrev_b32 v6, 3, v7 :: v_dual_bitop2_b32 v1, 7, v8 bitop3:0x40
	s_mov_b32 s18, exec_lo
	v_cmpx_gt_u32_e32 8, v7
; %bb.414:                              ;   in Loop: Header=BB292_10 Depth=1
	s_delay_alu instid0(VALU_DEP_2) | instskip(NEXT) | instid1(VALU_DEP_1)
	v_clz_i32_u32_e32 v1, v1
	v_min_u32_e32 v1, 32, v1
	s_delay_alu instid0(VALU_DEP_1) | instskip(NEXT) | instid1(VALU_DEP_1)
	v_subrev_nc_u32_e32 v6, 28, v1
	v_lshlrev_b64_e32 v[10:11], v6, v[8:9]
	s_delay_alu instid0(VALU_DEP_1)
	v_dual_sub_nc_u32 v6, 29, v1 :: v_dual_bitop2_b32 v1, 7, v10 bitop3:0x40
; %bb.415:                              ;   in Loop: Header=BB292_10 Depth=1
	s_or_b32 exec_lo, exec_lo, s18
	s_delay_alu instid0(VALU_DEP_1) | instskip(NEXT) | instid1(VALU_DEP_2)
	v_dual_lshlrev_b32 v7, 8, v8 :: v_dual_lshlrev_b32 v1, 7, v1
	v_lshl_add_u32 v6, v6, 10, 0x2000
	s_delay_alu instid0(VALU_DEP_2) | instskip(NEXT) | instid1(VALU_DEP_2)
	v_and_b32_e32 v7, 0x8000, v7
	v_and_b32_e32 v6, 0xfc00, v6
	s_delay_alu instid0(VALU_DEP_1)
	v_or3_b32 v111, v7, v6, v1
.LBB292_416:                            ;   in Loop: Header=BB292_10 Depth=1
	s_or_b32 exec_lo, exec_lo, s17
.LBB292_417:                            ;   in Loop: Header=BB292_10 Depth=1
	s_delay_alu instid0(SALU_CYCLE_1)
	s_or_b32 exec_lo, exec_lo, s16
.LBB292_418:                            ;   in Loop: Header=BB292_10 Depth=1
	s_delay_alu instid0(SALU_CYCLE_1)
	s_or_b32 exec_lo, exec_lo, s15
	v_dual_mov_b32 v27, 0 :: v_dual_mov_b32 v94, 0
	s_mov_b32 s15, exec_lo
	v_cmpx_lt_u32_e32 0xffffff, v4
	s_cbranch_execz .LBB292_426
; %bb.419:                              ;   in Loop: Header=BB292_10 Depth=1
	v_lshrrev_b32_e32 v24, 24, v4
	v_bfrev_b32_e32 v94, 1
	s_mov_b32 s16, exec_lo
	s_delay_alu instid0(VALU_DEP_2)
	v_cmpx_ne_u32_e32 0x80, v24
	s_cbranch_execz .LBB292_425
; %bb.420:                              ;   in Loop: Header=BB292_10 Depth=1
	v_and_b32_e32 v7, 0x7f, v24
	v_mov_b32_e32 v94, 0x7c010000
	s_mov_b32 s17, exec_lo
	s_delay_alu instid0(VALU_DEP_2)
	v_cmpx_ne_u32_e32 0x7f, v7
	s_cbranch_execz .LBB292_424
; %bb.421:                              ;   in Loop: Header=BB292_10 Depth=1
	v_dual_lshrrev_b32 v6, 3, v7 :: v_dual_bitop2_b32 v1, 7, v24 bitop3:0x40
	s_mov_b32 s18, exec_lo
	v_cmpx_gt_u32_e32 8, v7
; %bb.422:                              ;   in Loop: Header=BB292_10 Depth=1
	s_delay_alu instid0(VALU_DEP_2) | instskip(NEXT) | instid1(VALU_DEP_1)
	v_clz_i32_u32_e32 v1, v1
	v_min_u32_e32 v1, 32, v1
	s_delay_alu instid0(VALU_DEP_1) | instskip(NEXT) | instid1(VALU_DEP_1)
	v_subrev_nc_u32_e32 v6, 28, v1
	v_lshlrev_b64_e32 v[8:9], v6, v[24:25]
	s_delay_alu instid0(VALU_DEP_1)
	v_dual_sub_nc_u32 v6, 29, v1 :: v_dual_bitop2_b32 v1, 7, v8 bitop3:0x40
; %bb.423:                              ;   in Loop: Header=BB292_10 Depth=1
	s_or_b32 exec_lo, exec_lo, s18
	s_delay_alu instid0(VALU_DEP_1) | instskip(NEXT) | instid1(VALU_DEP_2)
	v_dual_lshlrev_b32 v7, 8, v24 :: v_dual_lshlrev_b32 v1, 23, v1
	v_lshl_add_u32 v6, v6, 10, 0x2000
	s_delay_alu instid0(VALU_DEP_1) | instskip(NEXT) | instid1(VALU_DEP_1)
	v_and_or_b32 v6, 0x8000, v7, v6
	v_lshl_or_b32 v94, v6, 16, v1
.LBB292_424:                            ;   in Loop: Header=BB292_10 Depth=1
	s_or_b32 exec_lo, exec_lo, s17
.LBB292_425:                            ;   in Loop: Header=BB292_10 Depth=1
	s_delay_alu instid0(SALU_CYCLE_1)
	s_or_b32 exec_lo, exec_lo, s16
.LBB292_426:                            ;   in Loop: Header=BB292_10 Depth=1
	s_delay_alu instid0(SALU_CYCLE_1) | instskip(SKIP_3) | instid1(VALU_DEP_2)
	s_or_b32 exec_lo, exec_lo, s15
	v_and_b32_e32 v1, 0xff, v5
	v_mov_b32_e32 v24, v5
	s_mov_b32 s15, exec_lo
	v_cmpx_ne_u16_e32 0, v1
	s_cbranch_execz .LBB292_434
; %bb.427:                              ;   in Loop: Header=BB292_10 Depth=1
	v_mov_b32_e32 v27, 0x8000
	s_mov_b32 s16, exec_lo
	v_cmpx_ne_u16_e32 0x80, v1
	s_cbranch_execz .LBB292_433
; %bb.428:                              ;   in Loop: Header=BB292_10 Depth=1
	v_and_b32_e32 v7, 0x7f, v5
	v_mov_b32_e32 v27, 0x7c01
	s_mov_b32 s17, exec_lo
	s_delay_alu instid0(VALU_DEP_2)
	v_cmpx_ne_u32_e32 0x7f, v7
	s_cbranch_execz .LBB292_432
; %bb.429:                              ;   in Loop: Header=BB292_10 Depth=1
	v_dual_lshrrev_b32 v6, 3, v7 :: v_dual_bitop2_b32 v1, 7, v5 bitop3:0x40
	s_mov_b32 s18, exec_lo
	v_cmpx_gt_u32_e32 8, v7
; %bb.430:                              ;   in Loop: Header=BB292_10 Depth=1
	s_delay_alu instid0(VALU_DEP_2) | instskip(NEXT) | instid1(VALU_DEP_1)
	v_clz_i32_u32_e32 v1, v1
	v_min_u32_e32 v1, 32, v1
	s_delay_alu instid0(VALU_DEP_1) | instskip(NEXT) | instid1(VALU_DEP_1)
	v_subrev_nc_u32_e32 v6, 28, v1
	v_lshlrev_b64_e32 v[8:9], v6, v[24:25]
	s_delay_alu instid0(VALU_DEP_1)
	v_dual_sub_nc_u32 v6, 29, v1 :: v_dual_bitop2_b32 v1, 7, v8 bitop3:0x40
; %bb.431:                              ;   in Loop: Header=BB292_10 Depth=1
	s_or_b32 exec_lo, exec_lo, s18
	v_lshlrev_b32_e32 v7, 8, v5
	s_delay_alu instid0(VALU_DEP_2) | instskip(NEXT) | instid1(VALU_DEP_3)
	v_lshl_add_u32 v6, v6, 10, 0x2000
	v_lshlrev_b32_e32 v1, 7, v1
	s_delay_alu instid0(VALU_DEP_3) | instskip(NEXT) | instid1(VALU_DEP_3)
	v_and_b32_e32 v7, 0x8000, v7
	v_and_b32_e32 v6, 0xfc00, v6
	s_delay_alu instid0(VALU_DEP_1)
	v_or3_b32 v27, v7, v6, v1
.LBB292_432:                            ;   in Loop: Header=BB292_10 Depth=1
	s_or_b32 exec_lo, exec_lo, s17
.LBB292_433:                            ;   in Loop: Header=BB292_10 Depth=1
	s_delay_alu instid0(SALU_CYCLE_1)
	s_or_b32 exec_lo, exec_lo, s16
.LBB292_434:                            ;   in Loop: Header=BB292_10 Depth=1
	s_delay_alu instid0(SALU_CYCLE_1) | instskip(SKIP_3) | instid1(VALU_DEP_2)
	s_or_b32 exec_lo, exec_lo, s15
	v_lshrrev_b16 v24, 8, v24
	v_dual_mov_b32 v63, 0 :: v_dual_mov_b32 v120, 0
	s_mov_b32 s15, exec_lo
	v_cmpx_ne_u16_e32 0, v24
	s_cbranch_execz .LBB292_442
; %bb.435:                              ;   in Loop: Header=BB292_10 Depth=1
	v_bfrev_b32_e32 v120, 1
	s_mov_b32 s16, exec_lo
	v_cmpx_ne_u16_e32 0x80, v24
	s_cbranch_execz .LBB292_441
; %bb.436:                              ;   in Loop: Header=BB292_10 Depth=1
	v_and_b32_e32 v1, 0xffff, v24
	v_mov_b32_e32 v120, 0x7c010000
	s_mov_b32 s17, exec_lo
	s_delay_alu instid0(VALU_DEP_2) | instskip(NEXT) | instid1(VALU_DEP_1)
	v_and_b32_e32 v8, 0x7f, v1
	v_cmpx_ne_u32_e32 0x7f, v8
	s_cbranch_execz .LBB292_440
; %bb.437:                              ;   in Loop: Header=BB292_10 Depth=1
	v_dual_lshrrev_b32 v7, 3, v8 :: v_dual_bitop2_b32 v6, 7, v1 bitop3:0x40
	s_mov_b32 s18, exec_lo
	v_cmpx_gt_u32_e32 8, v8
; %bb.438:                              ;   in Loop: Header=BB292_10 Depth=1
	s_delay_alu instid0(VALU_DEP_2) | instskip(NEXT) | instid1(VALU_DEP_1)
	v_clz_i32_u32_e32 v6, v6
	v_min_u32_e32 v8, 32, v6
	s_delay_alu instid0(VALU_DEP_1) | instskip(NEXT) | instid1(VALU_DEP_1)
	v_subrev_nc_u32_e32 v6, 28, v8
	v_lshlrev_b64_e32 v[6:7], v6, v[24:25]
	s_delay_alu instid0(VALU_DEP_1)
	v_dual_sub_nc_u32 v7, 29, v8 :: v_dual_bitop2_b32 v6, 7, v6 bitop3:0x40
; %bb.439:                              ;   in Loop: Header=BB292_10 Depth=1
	s_or_b32 exec_lo, exec_lo, s18
	s_delay_alu instid0(VALU_DEP_1) | instskip(NEXT) | instid1(VALU_DEP_2)
	v_dual_lshlrev_b32 v1, 8, v1 :: v_dual_lshlrev_b32 v6, 23, v6
	v_lshl_add_u32 v7, v7, 10, 0x2000
	s_delay_alu instid0(VALU_DEP_1) | instskip(NEXT) | instid1(VALU_DEP_1)
	v_and_or_b32 v1, 0x8000, v1, v7
	v_lshl_or_b32 v120, v1, 16, v6
.LBB292_440:                            ;   in Loop: Header=BB292_10 Depth=1
	s_or_b32 exec_lo, exec_lo, s17
.LBB292_441:                            ;   in Loop: Header=BB292_10 Depth=1
	s_delay_alu instid0(SALU_CYCLE_1)
	s_or_b32 exec_lo, exec_lo, s16
.LBB292_442:                            ;   in Loop: Header=BB292_10 Depth=1
	s_delay_alu instid0(SALU_CYCLE_1) | instskip(SKIP_2) | instid1(VALU_DEP_1)
	s_or_b32 exec_lo, exec_lo, s15
	v_lshrrev_b32_e32 v8, 16, v5
	s_mov_b32 s15, exec_lo
	v_and_b32_e32 v1, 0xff, v8
	s_delay_alu instid0(VALU_DEP_1)
	v_cmpx_ne_u16_e32 0, v1
	s_cbranch_execz .LBB292_450
; %bb.443:                              ;   in Loop: Header=BB292_10 Depth=1
	v_mov_b32_e32 v63, 0x8000
	s_mov_b32 s16, exec_lo
	v_cmpx_ne_u16_e32 0x80, v1
	s_cbranch_execz .LBB292_449
; %bb.444:                              ;   in Loop: Header=BB292_10 Depth=1
	v_bfe_u32 v7, v5, 16, 7
	v_mov_b32_e32 v63, 0x7c01
	s_mov_b32 s17, exec_lo
	s_delay_alu instid0(VALU_DEP_2)
	v_cmpx_ne_u32_e32 0x7f, v7
	s_cbranch_execz .LBB292_448
; %bb.445:                              ;   in Loop: Header=BB292_10 Depth=1
	v_dual_lshrrev_b32 v6, 3, v7 :: v_dual_bitop2_b32 v1, 7, v8 bitop3:0x40
	s_mov_b32 s18, exec_lo
	v_cmpx_gt_u32_e32 8, v7
; %bb.446:                              ;   in Loop: Header=BB292_10 Depth=1
	s_delay_alu instid0(VALU_DEP_2) | instskip(NEXT) | instid1(VALU_DEP_1)
	v_clz_i32_u32_e32 v1, v1
	v_min_u32_e32 v1, 32, v1
	s_delay_alu instid0(VALU_DEP_1) | instskip(NEXT) | instid1(VALU_DEP_1)
	v_subrev_nc_u32_e32 v6, 28, v1
	v_lshlrev_b64_e32 v[10:11], v6, v[8:9]
	s_delay_alu instid0(VALU_DEP_1)
	v_dual_sub_nc_u32 v6, 29, v1 :: v_dual_bitop2_b32 v1, 7, v10 bitop3:0x40
; %bb.447:                              ;   in Loop: Header=BB292_10 Depth=1
	s_or_b32 exec_lo, exec_lo, s18
	s_delay_alu instid0(VALU_DEP_1) | instskip(NEXT) | instid1(VALU_DEP_2)
	v_dual_lshlrev_b32 v7, 8, v8 :: v_dual_lshlrev_b32 v1, 7, v1
	v_lshl_add_u32 v6, v6, 10, 0x2000
	s_delay_alu instid0(VALU_DEP_2) | instskip(NEXT) | instid1(VALU_DEP_2)
	v_and_b32_e32 v7, 0x8000, v7
	v_and_b32_e32 v6, 0xfc00, v6
	s_delay_alu instid0(VALU_DEP_1)
	v_or3_b32 v63, v7, v6, v1
.LBB292_448:                            ;   in Loop: Header=BB292_10 Depth=1
	s_or_b32 exec_lo, exec_lo, s17
.LBB292_449:                            ;   in Loop: Header=BB292_10 Depth=1
	s_delay_alu instid0(SALU_CYCLE_1)
	s_or_b32 exec_lo, exec_lo, s16
.LBB292_450:                            ;   in Loop: Header=BB292_10 Depth=1
	s_delay_alu instid0(SALU_CYCLE_1)
	s_or_b32 exec_lo, exec_lo, s15
	v_dual_mov_b32 v57, 0 :: v_dual_mov_b32 v121, 0
	s_mov_b32 s15, exec_lo
	v_cmpx_lt_u64_e64 s[2:3], v[4:5]
	s_cbranch_execz .LBB292_458
; %bb.451:                              ;   in Loop: Header=BB292_10 Depth=1
	v_lshrrev_b32_e32 v24, 24, v5
	v_bfrev_b32_e32 v121, 1
	s_mov_b32 s16, exec_lo
	s_delay_alu instid0(VALU_DEP_2)
	v_cmpx_ne_u32_e32 0x80, v24
	s_cbranch_execz .LBB292_457
; %bb.452:                              ;   in Loop: Header=BB292_10 Depth=1
	v_and_b32_e32 v5, 0x7f, v24
	v_mov_b32_e32 v121, 0x7c010000
	s_mov_b32 s17, exec_lo
	s_delay_alu instid0(VALU_DEP_2)
	v_cmpx_ne_u32_e32 0x7f, v5
	s_cbranch_execz .LBB292_456
; %bb.453:                              ;   in Loop: Header=BB292_10 Depth=1
	v_dual_lshrrev_b32 v4, 3, v5 :: v_dual_bitop2_b32 v1, 7, v24 bitop3:0x40
	s_mov_b32 s18, exec_lo
	v_cmpx_gt_u32_e32 8, v5
; %bb.454:                              ;   in Loop: Header=BB292_10 Depth=1
	s_delay_alu instid0(VALU_DEP_2) | instskip(NEXT) | instid1(VALU_DEP_1)
	v_clz_i32_u32_e32 v1, v1
	v_min_u32_e32 v1, 32, v1
	s_delay_alu instid0(VALU_DEP_1) | instskip(NEXT) | instid1(VALU_DEP_1)
	v_subrev_nc_u32_e32 v4, 28, v1
	v_lshlrev_b64_e32 v[6:7], v4, v[24:25]
	s_delay_alu instid0(VALU_DEP_1)
	v_dual_sub_nc_u32 v4, 29, v1 :: v_dual_bitop2_b32 v1, 7, v6 bitop3:0x40
; %bb.455:                              ;   in Loop: Header=BB292_10 Depth=1
	s_or_b32 exec_lo, exec_lo, s18
	s_delay_alu instid0(VALU_DEP_1) | instskip(NEXT) | instid1(VALU_DEP_2)
	v_dual_lshlrev_b32 v5, 8, v24 :: v_dual_lshlrev_b32 v1, 23, v1
	v_lshl_add_u32 v4, v4, 10, 0x2000
	s_delay_alu instid0(VALU_DEP_1) | instskip(NEXT) | instid1(VALU_DEP_1)
	v_and_or_b32 v4, 0x8000, v5, v4
	v_lshl_or_b32 v121, v4, 16, v1
.LBB292_456:                            ;   in Loop: Header=BB292_10 Depth=1
	s_or_b32 exec_lo, exec_lo, s17
.LBB292_457:                            ;   in Loop: Header=BB292_10 Depth=1
	s_delay_alu instid0(SALU_CYCLE_1)
	s_or_b32 exec_lo, exec_lo, s16
.LBB292_458:                            ;   in Loop: Header=BB292_10 Depth=1
	s_delay_alu instid0(SALU_CYCLE_1)
	s_or_b32 exec_lo, exec_lo, s15
	flat_load_b64 v[4:5], v[2:3] offset:1544
	s_mov_b32 s15, exec_lo
	s_wait_loadcnt_dscnt 0x0
	v_and_b32_e32 v1, 0xff, v4
	s_wait_xcnt 0x0
	s_delay_alu instid0(VALU_DEP_1)
	v_cmpx_ne_u16_e32 0, v1
	s_cbranch_execz .LBB292_466
; %bb.459:                              ;   in Loop: Header=BB292_10 Depth=1
	v_mov_b32_e32 v57, 0x8000
	s_mov_b32 s16, exec_lo
	v_cmpx_ne_u16_e32 0x80, v1
	s_cbranch_execz .LBB292_465
; %bb.460:                              ;   in Loop: Header=BB292_10 Depth=1
	v_and_b32_e32 v7, 0x7f, v4
	v_mov_b32_e32 v57, 0x7c01
	s_mov_b32 s17, exec_lo
	s_delay_alu instid0(VALU_DEP_2)
	v_cmpx_ne_u32_e32 0x7f, v7
	s_cbranch_execz .LBB292_464
; %bb.461:                              ;   in Loop: Header=BB292_10 Depth=1
	v_dual_lshrrev_b32 v6, 3, v7 :: v_dual_bitop2_b32 v1, 7, v4 bitop3:0x40
	s_mov_b32 s18, exec_lo
	v_cmpx_gt_u32_e32 8, v7
; %bb.462:                              ;   in Loop: Header=BB292_10 Depth=1
	s_delay_alu instid0(VALU_DEP_2) | instskip(NEXT) | instid1(VALU_DEP_1)
	v_clz_i32_u32_e32 v1, v1
	v_min_u32_e32 v1, 32, v1
	s_delay_alu instid0(VALU_DEP_1) | instskip(NEXT) | instid1(VALU_DEP_1)
	v_subrev_nc_u32_e32 v6, 28, v1
	v_lshlrev_b64_e32 v[8:9], v6, v[4:5]
	s_delay_alu instid0(VALU_DEP_1)
	v_dual_sub_nc_u32 v6, 29, v1 :: v_dual_bitop2_b32 v1, 7, v8 bitop3:0x40
; %bb.463:                              ;   in Loop: Header=BB292_10 Depth=1
	s_or_b32 exec_lo, exec_lo, s18
	s_delay_alu instid0(VALU_DEP_1) | instskip(NEXT) | instid1(VALU_DEP_2)
	v_dual_lshlrev_b32 v7, 8, v4 :: v_dual_lshlrev_b32 v1, 7, v1
	v_lshl_add_u32 v6, v6, 10, 0x2000
	s_delay_alu instid0(VALU_DEP_2) | instskip(NEXT) | instid1(VALU_DEP_2)
	v_and_b32_e32 v7, 0x8000, v7
	v_and_b32_e32 v6, 0xfc00, v6
	s_delay_alu instid0(VALU_DEP_1)
	v_or3_b32 v57, v7, v6, v1
.LBB292_464:                            ;   in Loop: Header=BB292_10 Depth=1
	s_or_b32 exec_lo, exec_lo, s17
.LBB292_465:                            ;   in Loop: Header=BB292_10 Depth=1
	s_delay_alu instid0(SALU_CYCLE_1)
	s_or_b32 exec_lo, exec_lo, s16
.LBB292_466:                            ;   in Loop: Header=BB292_10 Depth=1
	s_delay_alu instid0(SALU_CYCLE_1) | instskip(SKIP_3) | instid1(VALU_DEP_2)
	s_or_b32 exec_lo, exec_lo, s15
	v_lshrrev_b16 v24, 8, v4
	v_dual_mov_b32 v52, 0 :: v_dual_mov_b32 v62, 0
	s_mov_b32 s15, exec_lo
	v_cmpx_ne_u16_e32 0, v24
	s_cbranch_execz .LBB292_474
; %bb.467:                              ;   in Loop: Header=BB292_10 Depth=1
	v_bfrev_b32_e32 v62, 1
	s_mov_b32 s16, exec_lo
	v_cmpx_ne_u16_e32 0x80, v24
	s_cbranch_execz .LBB292_473
; %bb.468:                              ;   in Loop: Header=BB292_10 Depth=1
	v_and_b32_e32 v1, 0xffff, v24
	v_mov_b32_e32 v62, 0x7c010000
	s_mov_b32 s17, exec_lo
	s_delay_alu instid0(VALU_DEP_2) | instskip(NEXT) | instid1(VALU_DEP_1)
	v_and_b32_e32 v8, 0x7f, v1
	v_cmpx_ne_u32_e32 0x7f, v8
	s_cbranch_execz .LBB292_472
; %bb.469:                              ;   in Loop: Header=BB292_10 Depth=1
	v_dual_lshrrev_b32 v7, 3, v8 :: v_dual_bitop2_b32 v6, 7, v1 bitop3:0x40
	s_mov_b32 s18, exec_lo
	v_cmpx_gt_u32_e32 8, v8
; %bb.470:                              ;   in Loop: Header=BB292_10 Depth=1
	s_delay_alu instid0(VALU_DEP_2) | instskip(NEXT) | instid1(VALU_DEP_1)
	v_clz_i32_u32_e32 v6, v6
	v_min_u32_e32 v8, 32, v6
	s_delay_alu instid0(VALU_DEP_1) | instskip(NEXT) | instid1(VALU_DEP_1)
	v_subrev_nc_u32_e32 v6, 28, v8
	v_lshlrev_b64_e32 v[6:7], v6, v[24:25]
	s_delay_alu instid0(VALU_DEP_1)
	v_dual_sub_nc_u32 v7, 29, v8 :: v_dual_bitop2_b32 v6, 7, v6 bitop3:0x40
; %bb.471:                              ;   in Loop: Header=BB292_10 Depth=1
	s_or_b32 exec_lo, exec_lo, s18
	s_delay_alu instid0(VALU_DEP_1) | instskip(NEXT) | instid1(VALU_DEP_2)
	v_dual_lshlrev_b32 v1, 8, v1 :: v_dual_lshlrev_b32 v6, 23, v6
	v_lshl_add_u32 v7, v7, 10, 0x2000
	s_delay_alu instid0(VALU_DEP_1) | instskip(NEXT) | instid1(VALU_DEP_1)
	v_and_or_b32 v1, 0x8000, v1, v7
	v_lshl_or_b32 v62, v1, 16, v6
.LBB292_472:                            ;   in Loop: Header=BB292_10 Depth=1
	s_or_b32 exec_lo, exec_lo, s17
.LBB292_473:                            ;   in Loop: Header=BB292_10 Depth=1
	s_delay_alu instid0(SALU_CYCLE_1)
	s_or_b32 exec_lo, exec_lo, s16
.LBB292_474:                            ;   in Loop: Header=BB292_10 Depth=1
	s_delay_alu instid0(SALU_CYCLE_1) | instskip(SKIP_2) | instid1(VALU_DEP_1)
	s_or_b32 exec_lo, exec_lo, s15
	v_lshrrev_b32_e32 v8, 16, v4
	s_mov_b32 s15, exec_lo
	v_and_b32_e32 v1, 0xff, v8
	s_delay_alu instid0(VALU_DEP_1)
	v_cmpx_ne_u16_e32 0, v1
	s_cbranch_execz .LBB292_482
; %bb.475:                              ;   in Loop: Header=BB292_10 Depth=1
	v_mov_b32_e32 v52, 0x8000
	s_mov_b32 s16, exec_lo
	v_cmpx_ne_u16_e32 0x80, v1
	s_cbranch_execz .LBB292_481
; %bb.476:                              ;   in Loop: Header=BB292_10 Depth=1
	v_bfe_u32 v7, v4, 16, 7
	v_mov_b32_e32 v52, 0x7c01
	s_mov_b32 s17, exec_lo
	s_delay_alu instid0(VALU_DEP_2)
	v_cmpx_ne_u32_e32 0x7f, v7
	s_cbranch_execz .LBB292_480
; %bb.477:                              ;   in Loop: Header=BB292_10 Depth=1
	v_dual_lshrrev_b32 v6, 3, v7 :: v_dual_bitop2_b32 v1, 7, v8 bitop3:0x40
	s_mov_b32 s18, exec_lo
	v_cmpx_gt_u32_e32 8, v7
; %bb.478:                              ;   in Loop: Header=BB292_10 Depth=1
	s_delay_alu instid0(VALU_DEP_2) | instskip(NEXT) | instid1(VALU_DEP_1)
	v_clz_i32_u32_e32 v1, v1
	v_min_u32_e32 v1, 32, v1
	s_delay_alu instid0(VALU_DEP_1) | instskip(NEXT) | instid1(VALU_DEP_1)
	v_subrev_nc_u32_e32 v6, 28, v1
	v_lshlrev_b64_e32 v[10:11], v6, v[8:9]
	s_delay_alu instid0(VALU_DEP_1)
	v_dual_sub_nc_u32 v6, 29, v1 :: v_dual_bitop2_b32 v1, 7, v10 bitop3:0x40
; %bb.479:                              ;   in Loop: Header=BB292_10 Depth=1
	s_or_b32 exec_lo, exec_lo, s18
	s_delay_alu instid0(VALU_DEP_1) | instskip(NEXT) | instid1(VALU_DEP_2)
	v_dual_lshlrev_b32 v7, 8, v8 :: v_dual_lshlrev_b32 v1, 7, v1
	v_lshl_add_u32 v6, v6, 10, 0x2000
	s_delay_alu instid0(VALU_DEP_2) | instskip(NEXT) | instid1(VALU_DEP_2)
	v_and_b32_e32 v7, 0x8000, v7
	v_and_b32_e32 v6, 0xfc00, v6
	s_delay_alu instid0(VALU_DEP_1)
	v_or3_b32 v52, v7, v6, v1
.LBB292_480:                            ;   in Loop: Header=BB292_10 Depth=1
	s_or_b32 exec_lo, exec_lo, s17
.LBB292_481:                            ;   in Loop: Header=BB292_10 Depth=1
	s_delay_alu instid0(SALU_CYCLE_1)
	s_or_b32 exec_lo, exec_lo, s16
.LBB292_482:                            ;   in Loop: Header=BB292_10 Depth=1
	s_delay_alu instid0(SALU_CYCLE_1)
	s_or_b32 exec_lo, exec_lo, s15
	v_dual_mov_b32 v127, 0 :: v_dual_mov_b32 v123, 0
	s_mov_b32 s15, exec_lo
	v_cmpx_lt_u32_e32 0xffffff, v4
	s_cbranch_execz .LBB292_490
; %bb.483:                              ;   in Loop: Header=BB292_10 Depth=1
	v_lshrrev_b32_e32 v24, 24, v4
	v_bfrev_b32_e32 v123, 1
	s_mov_b32 s16, exec_lo
	s_delay_alu instid0(VALU_DEP_2)
	v_cmpx_ne_u32_e32 0x80, v24
	s_cbranch_execz .LBB292_489
; %bb.484:                              ;   in Loop: Header=BB292_10 Depth=1
	v_and_b32_e32 v7, 0x7f, v24
	v_mov_b32_e32 v123, 0x7c010000
	s_mov_b32 s17, exec_lo
	s_delay_alu instid0(VALU_DEP_2)
	v_cmpx_ne_u32_e32 0x7f, v7
	s_cbranch_execz .LBB292_488
; %bb.485:                              ;   in Loop: Header=BB292_10 Depth=1
	v_dual_lshrrev_b32 v6, 3, v7 :: v_dual_bitop2_b32 v1, 7, v24 bitop3:0x40
	s_mov_b32 s18, exec_lo
	v_cmpx_gt_u32_e32 8, v7
; %bb.486:                              ;   in Loop: Header=BB292_10 Depth=1
	s_delay_alu instid0(VALU_DEP_2) | instskip(NEXT) | instid1(VALU_DEP_1)
	v_clz_i32_u32_e32 v1, v1
	v_min_u32_e32 v1, 32, v1
	s_delay_alu instid0(VALU_DEP_1) | instskip(NEXT) | instid1(VALU_DEP_1)
	v_subrev_nc_u32_e32 v6, 28, v1
	v_lshlrev_b64_e32 v[8:9], v6, v[24:25]
	s_delay_alu instid0(VALU_DEP_1)
	v_dual_sub_nc_u32 v6, 29, v1 :: v_dual_bitop2_b32 v1, 7, v8 bitop3:0x40
; %bb.487:                              ;   in Loop: Header=BB292_10 Depth=1
	s_or_b32 exec_lo, exec_lo, s18
	s_delay_alu instid0(VALU_DEP_1) | instskip(NEXT) | instid1(VALU_DEP_2)
	v_dual_lshlrev_b32 v7, 8, v24 :: v_dual_lshlrev_b32 v1, 23, v1
	v_lshl_add_u32 v6, v6, 10, 0x2000
	s_delay_alu instid0(VALU_DEP_1) | instskip(NEXT) | instid1(VALU_DEP_1)
	v_and_or_b32 v6, 0x8000, v7, v6
	v_lshl_or_b32 v123, v6, 16, v1
.LBB292_488:                            ;   in Loop: Header=BB292_10 Depth=1
	s_or_b32 exec_lo, exec_lo, s17
.LBB292_489:                            ;   in Loop: Header=BB292_10 Depth=1
	s_delay_alu instid0(SALU_CYCLE_1)
	s_or_b32 exec_lo, exec_lo, s16
.LBB292_490:                            ;   in Loop: Header=BB292_10 Depth=1
	s_delay_alu instid0(SALU_CYCLE_1) | instskip(SKIP_3) | instid1(VALU_DEP_2)
	s_or_b32 exec_lo, exec_lo, s15
	v_and_b32_e32 v1, 0xff, v5
	v_mov_b32_e32 v24, v5
	s_mov_b32 s15, exec_lo
	v_cmpx_ne_u16_e32 0, v1
	s_cbranch_execz .LBB292_498
; %bb.491:                              ;   in Loop: Header=BB292_10 Depth=1
	v_mov_b32_e32 v127, 0x8000
	s_mov_b32 s16, exec_lo
	v_cmpx_ne_u16_e32 0x80, v1
	s_cbranch_execz .LBB292_497
; %bb.492:                              ;   in Loop: Header=BB292_10 Depth=1
	v_and_b32_e32 v7, 0x7f, v5
	v_mov_b32_e32 v127, 0x7c01
	s_mov_b32 s17, exec_lo
	s_delay_alu instid0(VALU_DEP_2)
	v_cmpx_ne_u32_e32 0x7f, v7
	s_cbranch_execz .LBB292_496
; %bb.493:                              ;   in Loop: Header=BB292_10 Depth=1
	v_dual_lshrrev_b32 v6, 3, v7 :: v_dual_bitop2_b32 v1, 7, v5 bitop3:0x40
	s_mov_b32 s18, exec_lo
	v_cmpx_gt_u32_e32 8, v7
; %bb.494:                              ;   in Loop: Header=BB292_10 Depth=1
	s_delay_alu instid0(VALU_DEP_2) | instskip(NEXT) | instid1(VALU_DEP_1)
	v_clz_i32_u32_e32 v1, v1
	v_min_u32_e32 v1, 32, v1
	s_delay_alu instid0(VALU_DEP_1) | instskip(NEXT) | instid1(VALU_DEP_1)
	v_subrev_nc_u32_e32 v6, 28, v1
	v_lshlrev_b64_e32 v[8:9], v6, v[24:25]
	s_delay_alu instid0(VALU_DEP_1)
	v_dual_sub_nc_u32 v6, 29, v1 :: v_dual_bitop2_b32 v1, 7, v8 bitop3:0x40
; %bb.495:                              ;   in Loop: Header=BB292_10 Depth=1
	s_or_b32 exec_lo, exec_lo, s18
	v_lshlrev_b32_e32 v7, 8, v5
	s_delay_alu instid0(VALU_DEP_2) | instskip(NEXT) | instid1(VALU_DEP_3)
	v_lshl_add_u32 v6, v6, 10, 0x2000
	v_lshlrev_b32_e32 v1, 7, v1
	s_delay_alu instid0(VALU_DEP_3) | instskip(NEXT) | instid1(VALU_DEP_3)
	v_and_b32_e32 v7, 0x8000, v7
	v_and_b32_e32 v6, 0xfc00, v6
	s_delay_alu instid0(VALU_DEP_1)
	v_or3_b32 v127, v7, v6, v1
.LBB292_496:                            ;   in Loop: Header=BB292_10 Depth=1
	s_or_b32 exec_lo, exec_lo, s17
.LBB292_497:                            ;   in Loop: Header=BB292_10 Depth=1
	s_delay_alu instid0(SALU_CYCLE_1)
	s_or_b32 exec_lo, exec_lo, s16
.LBB292_498:                            ;   in Loop: Header=BB292_10 Depth=1
	s_delay_alu instid0(SALU_CYCLE_1) | instskip(SKIP_3) | instid1(VALU_DEP_2)
	s_or_b32 exec_lo, exec_lo, s15
	v_lshrrev_b16 v24, 8, v24
	v_dual_mov_b32 v74, 0 :: v_dual_mov_b32 v122, 0
	s_mov_b32 s15, exec_lo
	v_cmpx_ne_u16_e32 0, v24
	s_cbranch_execz .LBB292_506
; %bb.499:                              ;   in Loop: Header=BB292_10 Depth=1
	v_bfrev_b32_e32 v122, 1
	s_mov_b32 s16, exec_lo
	v_cmpx_ne_u16_e32 0x80, v24
	s_cbranch_execz .LBB292_505
; %bb.500:                              ;   in Loop: Header=BB292_10 Depth=1
	v_and_b32_e32 v1, 0xffff, v24
	v_mov_b32_e32 v122, 0x7c010000
	s_mov_b32 s17, exec_lo
	s_delay_alu instid0(VALU_DEP_2) | instskip(NEXT) | instid1(VALU_DEP_1)
	v_and_b32_e32 v8, 0x7f, v1
	v_cmpx_ne_u32_e32 0x7f, v8
	s_cbranch_execz .LBB292_504
; %bb.501:                              ;   in Loop: Header=BB292_10 Depth=1
	v_dual_lshrrev_b32 v7, 3, v8 :: v_dual_bitop2_b32 v6, 7, v1 bitop3:0x40
	s_mov_b32 s18, exec_lo
	v_cmpx_gt_u32_e32 8, v8
; %bb.502:                              ;   in Loop: Header=BB292_10 Depth=1
	s_delay_alu instid0(VALU_DEP_2) | instskip(NEXT) | instid1(VALU_DEP_1)
	v_clz_i32_u32_e32 v6, v6
	v_min_u32_e32 v8, 32, v6
	s_delay_alu instid0(VALU_DEP_1) | instskip(NEXT) | instid1(VALU_DEP_1)
	v_subrev_nc_u32_e32 v6, 28, v8
	v_lshlrev_b64_e32 v[6:7], v6, v[24:25]
	s_delay_alu instid0(VALU_DEP_1)
	v_dual_sub_nc_u32 v7, 29, v8 :: v_dual_bitop2_b32 v6, 7, v6 bitop3:0x40
; %bb.503:                              ;   in Loop: Header=BB292_10 Depth=1
	s_or_b32 exec_lo, exec_lo, s18
	s_delay_alu instid0(VALU_DEP_1) | instskip(NEXT) | instid1(VALU_DEP_2)
	v_dual_lshlrev_b32 v1, 8, v1 :: v_dual_lshlrev_b32 v6, 23, v6
	v_lshl_add_u32 v7, v7, 10, 0x2000
	s_delay_alu instid0(VALU_DEP_1) | instskip(NEXT) | instid1(VALU_DEP_1)
	v_and_or_b32 v1, 0x8000, v1, v7
	v_lshl_or_b32 v122, v1, 16, v6
.LBB292_504:                            ;   in Loop: Header=BB292_10 Depth=1
	s_or_b32 exec_lo, exec_lo, s17
.LBB292_505:                            ;   in Loop: Header=BB292_10 Depth=1
	s_delay_alu instid0(SALU_CYCLE_1)
	s_or_b32 exec_lo, exec_lo, s16
.LBB292_506:                            ;   in Loop: Header=BB292_10 Depth=1
	s_delay_alu instid0(SALU_CYCLE_1) | instskip(SKIP_2) | instid1(VALU_DEP_1)
	s_or_b32 exec_lo, exec_lo, s15
	v_lshrrev_b32_e32 v8, 16, v5
	s_mov_b32 s15, exec_lo
	v_and_b32_e32 v1, 0xff, v8
	s_delay_alu instid0(VALU_DEP_1)
	v_cmpx_ne_u16_e32 0, v1
	s_cbranch_execz .LBB292_514
; %bb.507:                              ;   in Loop: Header=BB292_10 Depth=1
	v_mov_b32_e32 v74, 0x8000
	s_mov_b32 s16, exec_lo
	v_cmpx_ne_u16_e32 0x80, v1
	s_cbranch_execz .LBB292_513
; %bb.508:                              ;   in Loop: Header=BB292_10 Depth=1
	v_bfe_u32 v7, v5, 16, 7
	v_mov_b32_e32 v74, 0x7c01
	s_mov_b32 s17, exec_lo
	s_delay_alu instid0(VALU_DEP_2)
	v_cmpx_ne_u32_e32 0x7f, v7
	s_cbranch_execz .LBB292_512
; %bb.509:                              ;   in Loop: Header=BB292_10 Depth=1
	v_dual_lshrrev_b32 v6, 3, v7 :: v_dual_bitop2_b32 v1, 7, v8 bitop3:0x40
	s_mov_b32 s18, exec_lo
	v_cmpx_gt_u32_e32 8, v7
; %bb.510:                              ;   in Loop: Header=BB292_10 Depth=1
	s_delay_alu instid0(VALU_DEP_2) | instskip(NEXT) | instid1(VALU_DEP_1)
	v_clz_i32_u32_e32 v1, v1
	v_min_u32_e32 v1, 32, v1
	s_delay_alu instid0(VALU_DEP_1) | instskip(NEXT) | instid1(VALU_DEP_1)
	v_subrev_nc_u32_e32 v6, 28, v1
	v_lshlrev_b64_e32 v[10:11], v6, v[8:9]
	s_delay_alu instid0(VALU_DEP_1)
	v_dual_sub_nc_u32 v6, 29, v1 :: v_dual_bitop2_b32 v1, 7, v10 bitop3:0x40
; %bb.511:                              ;   in Loop: Header=BB292_10 Depth=1
	s_or_b32 exec_lo, exec_lo, s18
	s_delay_alu instid0(VALU_DEP_1) | instskip(NEXT) | instid1(VALU_DEP_2)
	v_dual_lshlrev_b32 v7, 8, v8 :: v_dual_lshlrev_b32 v1, 7, v1
	v_lshl_add_u32 v6, v6, 10, 0x2000
	s_delay_alu instid0(VALU_DEP_2) | instskip(NEXT) | instid1(VALU_DEP_2)
	v_and_b32_e32 v7, 0x8000, v7
	v_and_b32_e32 v6, 0xfc00, v6
	s_delay_alu instid0(VALU_DEP_1)
	v_or3_b32 v74, v7, v6, v1
.LBB292_512:                            ;   in Loop: Header=BB292_10 Depth=1
	s_or_b32 exec_lo, exec_lo, s17
.LBB292_513:                            ;   in Loop: Header=BB292_10 Depth=1
	s_delay_alu instid0(SALU_CYCLE_1)
	s_or_b32 exec_lo, exec_lo, s16
.LBB292_514:                            ;   in Loop: Header=BB292_10 Depth=1
	s_delay_alu instid0(SALU_CYCLE_1)
	s_or_b32 exec_lo, exec_lo, s15
	v_dual_mov_b32 v125, 0 :: v_dual_mov_b32 v75, 0
	s_mov_b32 s15, exec_lo
	v_cmpx_lt_u64_e64 s[2:3], v[4:5]
	s_cbranch_execz .LBB292_522
; %bb.515:                              ;   in Loop: Header=BB292_10 Depth=1
	v_lshrrev_b32_e32 v24, 24, v5
	v_bfrev_b32_e32 v75, 1
	s_mov_b32 s16, exec_lo
	s_delay_alu instid0(VALU_DEP_2)
	v_cmpx_ne_u32_e32 0x80, v24
	s_cbranch_execz .LBB292_521
; %bb.516:                              ;   in Loop: Header=BB292_10 Depth=1
	v_and_b32_e32 v5, 0x7f, v24
	v_mov_b32_e32 v75, 0x7c010000
	s_mov_b32 s17, exec_lo
	s_delay_alu instid0(VALU_DEP_2)
	v_cmpx_ne_u32_e32 0x7f, v5
	s_cbranch_execz .LBB292_520
; %bb.517:                              ;   in Loop: Header=BB292_10 Depth=1
	v_dual_lshrrev_b32 v4, 3, v5 :: v_dual_bitop2_b32 v1, 7, v24 bitop3:0x40
	s_mov_b32 s18, exec_lo
	v_cmpx_gt_u32_e32 8, v5
; %bb.518:                              ;   in Loop: Header=BB292_10 Depth=1
	s_delay_alu instid0(VALU_DEP_2) | instskip(NEXT) | instid1(VALU_DEP_1)
	v_clz_i32_u32_e32 v1, v1
	v_min_u32_e32 v1, 32, v1
	s_delay_alu instid0(VALU_DEP_1) | instskip(NEXT) | instid1(VALU_DEP_1)
	v_subrev_nc_u32_e32 v4, 28, v1
	v_lshlrev_b64_e32 v[6:7], v4, v[24:25]
	s_delay_alu instid0(VALU_DEP_1)
	v_dual_sub_nc_u32 v4, 29, v1 :: v_dual_bitop2_b32 v1, 7, v6 bitop3:0x40
; %bb.519:                              ;   in Loop: Header=BB292_10 Depth=1
	s_or_b32 exec_lo, exec_lo, s18
	s_delay_alu instid0(VALU_DEP_1) | instskip(NEXT) | instid1(VALU_DEP_2)
	v_dual_lshlrev_b32 v5, 8, v24 :: v_dual_lshlrev_b32 v1, 23, v1
	v_lshl_add_u32 v4, v4, 10, 0x2000
	s_delay_alu instid0(VALU_DEP_1) | instskip(NEXT) | instid1(VALU_DEP_1)
	v_and_or_b32 v4, 0x8000, v5, v4
	v_lshl_or_b32 v75, v4, 16, v1
.LBB292_520:                            ;   in Loop: Header=BB292_10 Depth=1
	s_or_b32 exec_lo, exec_lo, s17
.LBB292_521:                            ;   in Loop: Header=BB292_10 Depth=1
	s_delay_alu instid0(SALU_CYCLE_1)
	s_or_b32 exec_lo, exec_lo, s16
.LBB292_522:                            ;   in Loop: Header=BB292_10 Depth=1
	s_delay_alu instid0(SALU_CYCLE_1)
	s_or_b32 exec_lo, exec_lo, s15
	flat_load_b64 v[4:5], v[2:3] offset:2048
	s_mov_b32 s15, exec_lo
	s_wait_loadcnt_dscnt 0x0
	v_and_b32_e32 v1, 0xff, v4
	s_wait_xcnt 0x0
	s_delay_alu instid0(VALU_DEP_1)
	v_cmpx_ne_u16_e32 0, v1
	s_cbranch_execz .LBB292_530
; %bb.523:                              ;   in Loop: Header=BB292_10 Depth=1
	v_mov_b32_e32 v125, 0x8000
	s_mov_b32 s16, exec_lo
	v_cmpx_ne_u16_e32 0x80, v1
	s_cbranch_execz .LBB292_529
; %bb.524:                              ;   in Loop: Header=BB292_10 Depth=1
	v_and_b32_e32 v7, 0x7f, v4
	v_mov_b32_e32 v125, 0x7c01
	s_mov_b32 s17, exec_lo
	s_delay_alu instid0(VALU_DEP_2)
	v_cmpx_ne_u32_e32 0x7f, v7
	s_cbranch_execz .LBB292_528
; %bb.525:                              ;   in Loop: Header=BB292_10 Depth=1
	v_dual_lshrrev_b32 v6, 3, v7 :: v_dual_bitop2_b32 v1, 7, v4 bitop3:0x40
	s_mov_b32 s18, exec_lo
	v_cmpx_gt_u32_e32 8, v7
; %bb.526:                              ;   in Loop: Header=BB292_10 Depth=1
	s_delay_alu instid0(VALU_DEP_2) | instskip(NEXT) | instid1(VALU_DEP_1)
	v_clz_i32_u32_e32 v1, v1
	v_min_u32_e32 v1, 32, v1
	s_delay_alu instid0(VALU_DEP_1) | instskip(NEXT) | instid1(VALU_DEP_1)
	v_subrev_nc_u32_e32 v6, 28, v1
	v_lshlrev_b64_e32 v[8:9], v6, v[4:5]
	s_delay_alu instid0(VALU_DEP_1)
	v_dual_sub_nc_u32 v6, 29, v1 :: v_dual_bitop2_b32 v1, 7, v8 bitop3:0x40
; %bb.527:                              ;   in Loop: Header=BB292_10 Depth=1
	s_or_b32 exec_lo, exec_lo, s18
	s_delay_alu instid0(VALU_DEP_1) | instskip(NEXT) | instid1(VALU_DEP_2)
	v_dual_lshlrev_b32 v7, 8, v4 :: v_dual_lshlrev_b32 v1, 7, v1
	v_lshl_add_u32 v6, v6, 10, 0x2000
	s_delay_alu instid0(VALU_DEP_2) | instskip(NEXT) | instid1(VALU_DEP_2)
	v_and_b32_e32 v7, 0x8000, v7
	v_and_b32_e32 v6, 0xfc00, v6
	s_delay_alu instid0(VALU_DEP_1)
	v_or3_b32 v125, v7, v6, v1
.LBB292_528:                            ;   in Loop: Header=BB292_10 Depth=1
	s_or_b32 exec_lo, exec_lo, s17
.LBB292_529:                            ;   in Loop: Header=BB292_10 Depth=1
	s_delay_alu instid0(SALU_CYCLE_1)
	s_or_b32 exec_lo, exec_lo, s16
.LBB292_530:                            ;   in Loop: Header=BB292_10 Depth=1
	s_delay_alu instid0(SALU_CYCLE_1) | instskip(SKIP_3) | instid1(VALU_DEP_2)
	s_or_b32 exec_lo, exec_lo, s15
	v_lshrrev_b16 v24, 8, v4
	v_dual_mov_b32 v110, 0 :: v_dual_mov_b32 v15, 0
	s_mov_b32 s15, exec_lo
	v_cmpx_ne_u16_e32 0, v24
	s_cbranch_execz .LBB292_538
; %bb.531:                              ;   in Loop: Header=BB292_10 Depth=1
	v_bfrev_b32_e32 v15, 1
	s_mov_b32 s16, exec_lo
	v_cmpx_ne_u16_e32 0x80, v24
	s_cbranch_execz .LBB292_537
; %bb.532:                              ;   in Loop: Header=BB292_10 Depth=1
	v_and_b32_e32 v1, 0xffff, v24
	v_mov_b32_e32 v15, 0x7c010000
	s_mov_b32 s17, exec_lo
	s_delay_alu instid0(VALU_DEP_2) | instskip(NEXT) | instid1(VALU_DEP_1)
	v_and_b32_e32 v8, 0x7f, v1
	v_cmpx_ne_u32_e32 0x7f, v8
	s_cbranch_execz .LBB292_536
; %bb.533:                              ;   in Loop: Header=BB292_10 Depth=1
	v_dual_lshrrev_b32 v7, 3, v8 :: v_dual_bitop2_b32 v6, 7, v1 bitop3:0x40
	s_mov_b32 s18, exec_lo
	v_cmpx_gt_u32_e32 8, v8
; %bb.534:                              ;   in Loop: Header=BB292_10 Depth=1
	s_delay_alu instid0(VALU_DEP_2) | instskip(NEXT) | instid1(VALU_DEP_1)
	v_clz_i32_u32_e32 v6, v6
	v_min_u32_e32 v8, 32, v6
	s_delay_alu instid0(VALU_DEP_1) | instskip(NEXT) | instid1(VALU_DEP_1)
	v_subrev_nc_u32_e32 v6, 28, v8
	v_lshlrev_b64_e32 v[6:7], v6, v[24:25]
	s_delay_alu instid0(VALU_DEP_1)
	v_dual_sub_nc_u32 v7, 29, v8 :: v_dual_bitop2_b32 v6, 7, v6 bitop3:0x40
; %bb.535:                              ;   in Loop: Header=BB292_10 Depth=1
	s_or_b32 exec_lo, exec_lo, s18
	s_delay_alu instid0(VALU_DEP_1) | instskip(NEXT) | instid1(VALU_DEP_2)
	v_dual_lshlrev_b32 v1, 8, v1 :: v_dual_lshlrev_b32 v6, 23, v6
	v_lshl_add_u32 v7, v7, 10, 0x2000
	s_delay_alu instid0(VALU_DEP_1) | instskip(NEXT) | instid1(VALU_DEP_1)
	v_and_or_b32 v1, 0x8000, v1, v7
	v_lshl_or_b32 v15, v1, 16, v6
.LBB292_536:                            ;   in Loop: Header=BB292_10 Depth=1
	s_or_b32 exec_lo, exec_lo, s17
.LBB292_537:                            ;   in Loop: Header=BB292_10 Depth=1
	s_delay_alu instid0(SALU_CYCLE_1)
	s_or_b32 exec_lo, exec_lo, s16
.LBB292_538:                            ;   in Loop: Header=BB292_10 Depth=1
	s_delay_alu instid0(SALU_CYCLE_1) | instskip(SKIP_2) | instid1(VALU_DEP_1)
	s_or_b32 exec_lo, exec_lo, s15
	v_lshrrev_b32_e32 v8, 16, v4
	s_mov_b32 s15, exec_lo
	v_and_b32_e32 v1, 0xff, v8
	s_delay_alu instid0(VALU_DEP_1)
	v_cmpx_ne_u16_e32 0, v1
	s_cbranch_execz .LBB292_546
; %bb.539:                              ;   in Loop: Header=BB292_10 Depth=1
	v_mov_b32_e32 v110, 0x8000
	s_mov_b32 s16, exec_lo
	v_cmpx_ne_u16_e32 0x80, v1
	s_cbranch_execz .LBB292_545
; %bb.540:                              ;   in Loop: Header=BB292_10 Depth=1
	v_bfe_u32 v7, v4, 16, 7
	v_mov_b32_e32 v110, 0x7c01
	s_mov_b32 s17, exec_lo
	s_delay_alu instid0(VALU_DEP_2)
	v_cmpx_ne_u32_e32 0x7f, v7
	s_cbranch_execz .LBB292_544
; %bb.541:                              ;   in Loop: Header=BB292_10 Depth=1
	v_dual_lshrrev_b32 v6, 3, v7 :: v_dual_bitop2_b32 v1, 7, v8 bitop3:0x40
	s_mov_b32 s18, exec_lo
	v_cmpx_gt_u32_e32 8, v7
; %bb.542:                              ;   in Loop: Header=BB292_10 Depth=1
	s_delay_alu instid0(VALU_DEP_2) | instskip(NEXT) | instid1(VALU_DEP_1)
	v_clz_i32_u32_e32 v1, v1
	v_min_u32_e32 v1, 32, v1
	s_delay_alu instid0(VALU_DEP_1) | instskip(NEXT) | instid1(VALU_DEP_1)
	v_subrev_nc_u32_e32 v6, 28, v1
	v_lshlrev_b64_e32 v[10:11], v6, v[8:9]
	s_delay_alu instid0(VALU_DEP_1)
	v_dual_sub_nc_u32 v6, 29, v1 :: v_dual_bitop2_b32 v1, 7, v10 bitop3:0x40
; %bb.543:                              ;   in Loop: Header=BB292_10 Depth=1
	s_or_b32 exec_lo, exec_lo, s18
	s_delay_alu instid0(VALU_DEP_1) | instskip(NEXT) | instid1(VALU_DEP_2)
	v_dual_lshlrev_b32 v7, 8, v8 :: v_dual_lshlrev_b32 v1, 7, v1
	v_lshl_add_u32 v6, v6, 10, 0x2000
	s_delay_alu instid0(VALU_DEP_2) | instskip(NEXT) | instid1(VALU_DEP_2)
	v_and_b32_e32 v7, 0x8000, v7
	v_and_b32_e32 v6, 0xfc00, v6
	s_delay_alu instid0(VALU_DEP_1)
	v_or3_b32 v110, v7, v6, v1
.LBB292_544:                            ;   in Loop: Header=BB292_10 Depth=1
	s_or_b32 exec_lo, exec_lo, s17
.LBB292_545:                            ;   in Loop: Header=BB292_10 Depth=1
	s_delay_alu instid0(SALU_CYCLE_1)
	s_or_b32 exec_lo, exec_lo, s16
.LBB292_546:                            ;   in Loop: Header=BB292_10 Depth=1
	s_delay_alu instid0(SALU_CYCLE_1)
	s_or_b32 exec_lo, exec_lo, s15
	v_dual_mov_b32 v99, 0 :: v_dual_mov_b32 v21, 0
	s_mov_b32 s15, exec_lo
	v_cmpx_lt_u32_e32 0xffffff, v4
	s_cbranch_execz .LBB292_554
; %bb.547:                              ;   in Loop: Header=BB292_10 Depth=1
	v_lshrrev_b32_e32 v24, 24, v4
	v_bfrev_b32_e32 v21, 1
	s_mov_b32 s16, exec_lo
	s_delay_alu instid0(VALU_DEP_2)
	v_cmpx_ne_u32_e32 0x80, v24
	s_cbranch_execz .LBB292_553
; %bb.548:                              ;   in Loop: Header=BB292_10 Depth=1
	v_and_b32_e32 v7, 0x7f, v24
	v_mov_b32_e32 v21, 0x7c010000
	s_mov_b32 s17, exec_lo
	s_delay_alu instid0(VALU_DEP_2)
	v_cmpx_ne_u32_e32 0x7f, v7
	s_cbranch_execz .LBB292_552
; %bb.549:                              ;   in Loop: Header=BB292_10 Depth=1
	v_dual_lshrrev_b32 v6, 3, v7 :: v_dual_bitop2_b32 v1, 7, v24 bitop3:0x40
	s_mov_b32 s18, exec_lo
	v_cmpx_gt_u32_e32 8, v7
; %bb.550:                              ;   in Loop: Header=BB292_10 Depth=1
	s_delay_alu instid0(VALU_DEP_2) | instskip(NEXT) | instid1(VALU_DEP_1)
	v_clz_i32_u32_e32 v1, v1
	v_min_u32_e32 v1, 32, v1
	s_delay_alu instid0(VALU_DEP_1) | instskip(NEXT) | instid1(VALU_DEP_1)
	v_subrev_nc_u32_e32 v6, 28, v1
	v_lshlrev_b64_e32 v[8:9], v6, v[24:25]
	s_delay_alu instid0(VALU_DEP_1)
	v_dual_sub_nc_u32 v6, 29, v1 :: v_dual_bitop2_b32 v1, 7, v8 bitop3:0x40
; %bb.551:                              ;   in Loop: Header=BB292_10 Depth=1
	s_or_b32 exec_lo, exec_lo, s18
	s_delay_alu instid0(VALU_DEP_1) | instskip(NEXT) | instid1(VALU_DEP_2)
	v_dual_lshlrev_b32 v7, 8, v24 :: v_dual_lshlrev_b32 v1, 23, v1
	v_lshl_add_u32 v6, v6, 10, 0x2000
	s_delay_alu instid0(VALU_DEP_1) | instskip(NEXT) | instid1(VALU_DEP_1)
	v_and_or_b32 v6, 0x8000, v7, v6
	v_lshl_or_b32 v21, v6, 16, v1
.LBB292_552:                            ;   in Loop: Header=BB292_10 Depth=1
	s_or_b32 exec_lo, exec_lo, s17
.LBB292_553:                            ;   in Loop: Header=BB292_10 Depth=1
	s_delay_alu instid0(SALU_CYCLE_1)
	s_or_b32 exec_lo, exec_lo, s16
.LBB292_554:                            ;   in Loop: Header=BB292_10 Depth=1
	s_delay_alu instid0(SALU_CYCLE_1) | instskip(SKIP_3) | instid1(VALU_DEP_2)
	s_or_b32 exec_lo, exec_lo, s15
	v_and_b32_e32 v1, 0xff, v5
	v_mov_b32_e32 v24, v5
	s_mov_b32 s15, exec_lo
	v_cmpx_ne_u16_e32 0, v1
	s_cbranch_execz .LBB292_562
; %bb.555:                              ;   in Loop: Header=BB292_10 Depth=1
	v_mov_b32_e32 v99, 0x8000
	s_mov_b32 s16, exec_lo
	v_cmpx_ne_u16_e32 0x80, v1
	s_cbranch_execz .LBB292_561
; %bb.556:                              ;   in Loop: Header=BB292_10 Depth=1
	v_and_b32_e32 v7, 0x7f, v5
	v_mov_b32_e32 v99, 0x7c01
	s_mov_b32 s17, exec_lo
	s_delay_alu instid0(VALU_DEP_2)
	v_cmpx_ne_u32_e32 0x7f, v7
	s_cbranch_execz .LBB292_560
; %bb.557:                              ;   in Loop: Header=BB292_10 Depth=1
	v_dual_lshrrev_b32 v6, 3, v7 :: v_dual_bitop2_b32 v1, 7, v5 bitop3:0x40
	s_mov_b32 s18, exec_lo
	v_cmpx_gt_u32_e32 8, v7
; %bb.558:                              ;   in Loop: Header=BB292_10 Depth=1
	s_delay_alu instid0(VALU_DEP_2) | instskip(NEXT) | instid1(VALU_DEP_1)
	v_clz_i32_u32_e32 v1, v1
	v_min_u32_e32 v1, 32, v1
	s_delay_alu instid0(VALU_DEP_1) | instskip(NEXT) | instid1(VALU_DEP_1)
	v_subrev_nc_u32_e32 v6, 28, v1
	v_lshlrev_b64_e32 v[8:9], v6, v[24:25]
	s_delay_alu instid0(VALU_DEP_1)
	v_dual_sub_nc_u32 v6, 29, v1 :: v_dual_bitop2_b32 v1, 7, v8 bitop3:0x40
; %bb.559:                              ;   in Loop: Header=BB292_10 Depth=1
	s_or_b32 exec_lo, exec_lo, s18
	v_lshlrev_b32_e32 v7, 8, v5
	s_delay_alu instid0(VALU_DEP_2) | instskip(NEXT) | instid1(VALU_DEP_3)
	v_lshl_add_u32 v6, v6, 10, 0x2000
	v_lshlrev_b32_e32 v1, 7, v1
	s_delay_alu instid0(VALU_DEP_3) | instskip(NEXT) | instid1(VALU_DEP_3)
	v_and_b32_e32 v7, 0x8000, v7
	v_and_b32_e32 v6, 0xfc00, v6
	s_delay_alu instid0(VALU_DEP_1)
	v_or3_b32 v99, v7, v6, v1
.LBB292_560:                            ;   in Loop: Header=BB292_10 Depth=1
	s_or_b32 exec_lo, exec_lo, s17
.LBB292_561:                            ;   in Loop: Header=BB292_10 Depth=1
	s_delay_alu instid0(SALU_CYCLE_1)
	s_or_b32 exec_lo, exec_lo, s16
.LBB292_562:                            ;   in Loop: Header=BB292_10 Depth=1
	s_delay_alu instid0(SALU_CYCLE_1) | instskip(SKIP_3) | instid1(VALU_DEP_2)
	s_or_b32 exec_lo, exec_lo, s15
	v_lshrrev_b16 v24, 8, v24
	v_dual_mov_b32 v124, 0 :: v_dual_mov_b32 v114, 0
	s_mov_b32 s15, exec_lo
	v_cmpx_ne_u16_e32 0, v24
	s_cbranch_execz .LBB292_570
; %bb.563:                              ;   in Loop: Header=BB292_10 Depth=1
	v_bfrev_b32_e32 v114, 1
	s_mov_b32 s16, exec_lo
	v_cmpx_ne_u16_e32 0x80, v24
	s_cbranch_execz .LBB292_569
; %bb.564:                              ;   in Loop: Header=BB292_10 Depth=1
	v_and_b32_e32 v1, 0xffff, v24
	v_mov_b32_e32 v114, 0x7c010000
	s_mov_b32 s17, exec_lo
	s_delay_alu instid0(VALU_DEP_2) | instskip(NEXT) | instid1(VALU_DEP_1)
	v_and_b32_e32 v8, 0x7f, v1
	v_cmpx_ne_u32_e32 0x7f, v8
	s_cbranch_execz .LBB292_568
; %bb.565:                              ;   in Loop: Header=BB292_10 Depth=1
	v_dual_lshrrev_b32 v7, 3, v8 :: v_dual_bitop2_b32 v6, 7, v1 bitop3:0x40
	s_mov_b32 s18, exec_lo
	v_cmpx_gt_u32_e32 8, v8
; %bb.566:                              ;   in Loop: Header=BB292_10 Depth=1
	s_delay_alu instid0(VALU_DEP_2) | instskip(NEXT) | instid1(VALU_DEP_1)
	v_clz_i32_u32_e32 v6, v6
	v_min_u32_e32 v8, 32, v6
	s_delay_alu instid0(VALU_DEP_1) | instskip(NEXT) | instid1(VALU_DEP_1)
	v_subrev_nc_u32_e32 v6, 28, v8
	v_lshlrev_b64_e32 v[6:7], v6, v[24:25]
	s_delay_alu instid0(VALU_DEP_1)
	v_dual_sub_nc_u32 v7, 29, v8 :: v_dual_bitop2_b32 v6, 7, v6 bitop3:0x40
; %bb.567:                              ;   in Loop: Header=BB292_10 Depth=1
	s_or_b32 exec_lo, exec_lo, s18
	s_delay_alu instid0(VALU_DEP_1) | instskip(NEXT) | instid1(VALU_DEP_2)
	v_dual_lshlrev_b32 v1, 8, v1 :: v_dual_lshlrev_b32 v6, 23, v6
	v_lshl_add_u32 v7, v7, 10, 0x2000
	s_delay_alu instid0(VALU_DEP_1) | instskip(NEXT) | instid1(VALU_DEP_1)
	v_and_or_b32 v1, 0x8000, v1, v7
	v_lshl_or_b32 v114, v1, 16, v6
.LBB292_568:                            ;   in Loop: Header=BB292_10 Depth=1
	s_or_b32 exec_lo, exec_lo, s17
.LBB292_569:                            ;   in Loop: Header=BB292_10 Depth=1
	s_delay_alu instid0(SALU_CYCLE_1)
	s_or_b32 exec_lo, exec_lo, s16
.LBB292_570:                            ;   in Loop: Header=BB292_10 Depth=1
	s_delay_alu instid0(SALU_CYCLE_1) | instskip(SKIP_2) | instid1(VALU_DEP_1)
	s_or_b32 exec_lo, exec_lo, s15
	v_lshrrev_b32_e32 v8, 16, v5
	s_mov_b32 s15, exec_lo
	v_and_b32_e32 v1, 0xff, v8
	s_delay_alu instid0(VALU_DEP_1)
	v_cmpx_ne_u16_e32 0, v1
	s_cbranch_execz .LBB292_578
; %bb.571:                              ;   in Loop: Header=BB292_10 Depth=1
	v_mov_b32_e32 v124, 0x8000
	s_mov_b32 s16, exec_lo
	v_cmpx_ne_u16_e32 0x80, v1
	s_cbranch_execz .LBB292_577
; %bb.572:                              ;   in Loop: Header=BB292_10 Depth=1
	v_bfe_u32 v7, v5, 16, 7
	v_mov_b32_e32 v124, 0x7c01
	s_mov_b32 s17, exec_lo
	s_delay_alu instid0(VALU_DEP_2)
	v_cmpx_ne_u32_e32 0x7f, v7
	s_cbranch_execz .LBB292_576
; %bb.573:                              ;   in Loop: Header=BB292_10 Depth=1
	v_dual_lshrrev_b32 v6, 3, v7 :: v_dual_bitop2_b32 v1, 7, v8 bitop3:0x40
	s_mov_b32 s18, exec_lo
	v_cmpx_gt_u32_e32 8, v7
; %bb.574:                              ;   in Loop: Header=BB292_10 Depth=1
	s_delay_alu instid0(VALU_DEP_2) | instskip(NEXT) | instid1(VALU_DEP_1)
	v_clz_i32_u32_e32 v1, v1
	v_min_u32_e32 v1, 32, v1
	s_delay_alu instid0(VALU_DEP_1) | instskip(NEXT) | instid1(VALU_DEP_1)
	v_subrev_nc_u32_e32 v6, 28, v1
	v_lshlrev_b64_e32 v[10:11], v6, v[8:9]
	s_delay_alu instid0(VALU_DEP_1)
	v_dual_sub_nc_u32 v6, 29, v1 :: v_dual_bitop2_b32 v1, 7, v10 bitop3:0x40
; %bb.575:                              ;   in Loop: Header=BB292_10 Depth=1
	s_or_b32 exec_lo, exec_lo, s18
	s_delay_alu instid0(VALU_DEP_1) | instskip(NEXT) | instid1(VALU_DEP_2)
	v_dual_lshlrev_b32 v7, 8, v8 :: v_dual_lshlrev_b32 v1, 7, v1
	v_lshl_add_u32 v6, v6, 10, 0x2000
	s_delay_alu instid0(VALU_DEP_2) | instskip(NEXT) | instid1(VALU_DEP_2)
	v_and_b32_e32 v7, 0x8000, v7
	v_and_b32_e32 v6, 0xfc00, v6
	s_delay_alu instid0(VALU_DEP_1)
	v_or3_b32 v124, v7, v6, v1
.LBB292_576:                            ;   in Loop: Header=BB292_10 Depth=1
	s_or_b32 exec_lo, exec_lo, s17
.LBB292_577:                            ;   in Loop: Header=BB292_10 Depth=1
	s_delay_alu instid0(SALU_CYCLE_1)
	s_or_b32 exec_lo, exec_lo, s16
.LBB292_578:                            ;   in Loop: Header=BB292_10 Depth=1
	s_delay_alu instid0(SALU_CYCLE_1)
	s_or_b32 exec_lo, exec_lo, s15
	v_dual_mov_b32 v126, 0 :: v_dual_mov_b32 v118, 0
	s_mov_b32 s15, exec_lo
	v_cmpx_lt_u64_e64 s[2:3], v[4:5]
	s_cbranch_execz .LBB292_586
; %bb.579:                              ;   in Loop: Header=BB292_10 Depth=1
	v_lshrrev_b32_e32 v24, 24, v5
	v_bfrev_b32_e32 v118, 1
	s_mov_b32 s16, exec_lo
	s_delay_alu instid0(VALU_DEP_2)
	v_cmpx_ne_u32_e32 0x80, v24
	s_cbranch_execz .LBB292_585
; %bb.580:                              ;   in Loop: Header=BB292_10 Depth=1
	v_and_b32_e32 v5, 0x7f, v24
	v_mov_b32_e32 v118, 0x7c010000
	s_mov_b32 s17, exec_lo
	s_delay_alu instid0(VALU_DEP_2)
	v_cmpx_ne_u32_e32 0x7f, v5
	s_cbranch_execz .LBB292_584
; %bb.581:                              ;   in Loop: Header=BB292_10 Depth=1
	v_dual_lshrrev_b32 v4, 3, v5 :: v_dual_bitop2_b32 v1, 7, v24 bitop3:0x40
	s_mov_b32 s18, exec_lo
	v_cmpx_gt_u32_e32 8, v5
; %bb.582:                              ;   in Loop: Header=BB292_10 Depth=1
	s_delay_alu instid0(VALU_DEP_2) | instskip(NEXT) | instid1(VALU_DEP_1)
	v_clz_i32_u32_e32 v1, v1
	v_min_u32_e32 v1, 32, v1
	s_delay_alu instid0(VALU_DEP_1) | instskip(NEXT) | instid1(VALU_DEP_1)
	v_subrev_nc_u32_e32 v4, 28, v1
	v_lshlrev_b64_e32 v[6:7], v4, v[24:25]
	s_delay_alu instid0(VALU_DEP_1)
	v_dual_sub_nc_u32 v4, 29, v1 :: v_dual_bitop2_b32 v1, 7, v6 bitop3:0x40
; %bb.583:                              ;   in Loop: Header=BB292_10 Depth=1
	s_or_b32 exec_lo, exec_lo, s18
	s_delay_alu instid0(VALU_DEP_1) | instskip(NEXT) | instid1(VALU_DEP_2)
	v_dual_lshlrev_b32 v5, 8, v24 :: v_dual_lshlrev_b32 v1, 23, v1
	v_lshl_add_u32 v4, v4, 10, 0x2000
	s_delay_alu instid0(VALU_DEP_1) | instskip(NEXT) | instid1(VALU_DEP_1)
	v_and_or_b32 v4, 0x8000, v5, v4
	v_lshl_or_b32 v118, v4, 16, v1
.LBB292_584:                            ;   in Loop: Header=BB292_10 Depth=1
	s_or_b32 exec_lo, exec_lo, s17
.LBB292_585:                            ;   in Loop: Header=BB292_10 Depth=1
	s_delay_alu instid0(SALU_CYCLE_1)
	s_or_b32 exec_lo, exec_lo, s16
.LBB292_586:                            ;   in Loop: Header=BB292_10 Depth=1
	s_delay_alu instid0(SALU_CYCLE_1)
	s_or_b32 exec_lo, exec_lo, s15
	flat_load_b64 v[4:5], v[2:3] offset:2056
	s_mov_b32 s15, exec_lo
	s_wait_loadcnt_dscnt 0x0
	v_and_b32_e32 v1, 0xff, v4
	s_wait_xcnt 0x0
	s_delay_alu instid0(VALU_DEP_1)
	v_cmpx_ne_u16_e32 0, v1
	s_cbranch_execz .LBB292_594
; %bb.587:                              ;   in Loop: Header=BB292_10 Depth=1
	v_mov_b32_e32 v126, 0x8000
	s_mov_b32 s16, exec_lo
	v_cmpx_ne_u16_e32 0x80, v1
	s_cbranch_execz .LBB292_593
; %bb.588:                              ;   in Loop: Header=BB292_10 Depth=1
	v_and_b32_e32 v7, 0x7f, v4
	v_mov_b32_e32 v126, 0x7c01
	s_mov_b32 s17, exec_lo
	s_delay_alu instid0(VALU_DEP_2)
	v_cmpx_ne_u32_e32 0x7f, v7
	s_cbranch_execz .LBB292_592
; %bb.589:                              ;   in Loop: Header=BB292_10 Depth=1
	v_dual_lshrrev_b32 v6, 3, v7 :: v_dual_bitop2_b32 v1, 7, v4 bitop3:0x40
	s_mov_b32 s18, exec_lo
	v_cmpx_gt_u32_e32 8, v7
; %bb.590:                              ;   in Loop: Header=BB292_10 Depth=1
	s_delay_alu instid0(VALU_DEP_2) | instskip(NEXT) | instid1(VALU_DEP_1)
	v_clz_i32_u32_e32 v1, v1
	v_min_u32_e32 v1, 32, v1
	s_delay_alu instid0(VALU_DEP_1) | instskip(NEXT) | instid1(VALU_DEP_1)
	v_subrev_nc_u32_e32 v6, 28, v1
	v_lshlrev_b64_e32 v[10:11], v6, v[4:5]
	s_delay_alu instid0(VALU_DEP_1)
	v_dual_sub_nc_u32 v6, 29, v1 :: v_dual_bitop2_b32 v1, 7, v10 bitop3:0x40
; %bb.591:                              ;   in Loop: Header=BB292_10 Depth=1
	s_or_b32 exec_lo, exec_lo, s18
	s_delay_alu instid0(VALU_DEP_1) | instskip(NEXT) | instid1(VALU_DEP_2)
	v_dual_lshlrev_b32 v7, 8, v4 :: v_dual_lshlrev_b32 v1, 7, v1
	v_lshl_add_u32 v6, v6, 10, 0x2000
	s_delay_alu instid0(VALU_DEP_2) | instskip(NEXT) | instid1(VALU_DEP_2)
	v_and_b32_e32 v7, 0x8000, v7
	v_and_b32_e32 v6, 0xfc00, v6
	s_delay_alu instid0(VALU_DEP_1)
	v_or3_b32 v126, v7, v6, v1
.LBB292_592:                            ;   in Loop: Header=BB292_10 Depth=1
	s_or_b32 exec_lo, exec_lo, s17
.LBB292_593:                            ;   in Loop: Header=BB292_10 Depth=1
	s_delay_alu instid0(SALU_CYCLE_1)
	s_or_b32 exec_lo, exec_lo, s16
.LBB292_594:                            ;   in Loop: Header=BB292_10 Depth=1
	s_delay_alu instid0(SALU_CYCLE_1) | instskip(SKIP_3) | instid1(VALU_DEP_2)
	s_or_b32 exec_lo, exec_lo, s15
	v_lshrrev_b16 v24, 8, v4
	v_dual_mov_b32 v119, 0 :: v_dual_mov_b32 v18, 0
	s_mov_b32 s15, exec_lo
	v_cmpx_ne_u16_e32 0, v24
	s_cbranch_execz .LBB292_602
; %bb.595:                              ;   in Loop: Header=BB292_10 Depth=1
	v_bfrev_b32_e32 v18, 1
	s_mov_b32 s16, exec_lo
	v_cmpx_ne_u16_e32 0x80, v24
	s_cbranch_execz .LBB292_601
; %bb.596:                              ;   in Loop: Header=BB292_10 Depth=1
	v_and_b32_e32 v1, 0xffff, v24
	v_mov_b32_e32 v18, 0x7c010000
	s_mov_b32 s17, exec_lo
	s_delay_alu instid0(VALU_DEP_2) | instskip(NEXT) | instid1(VALU_DEP_1)
	v_and_b32_e32 v8, 0x7f, v1
	v_cmpx_ne_u32_e32 0x7f, v8
	s_cbranch_execz .LBB292_600
; %bb.597:                              ;   in Loop: Header=BB292_10 Depth=1
	v_dual_lshrrev_b32 v7, 3, v8 :: v_dual_bitop2_b32 v6, 7, v1 bitop3:0x40
	s_mov_b32 s18, exec_lo
	v_cmpx_gt_u32_e32 8, v8
; %bb.598:                              ;   in Loop: Header=BB292_10 Depth=1
	s_delay_alu instid0(VALU_DEP_2) | instskip(NEXT) | instid1(VALU_DEP_1)
	v_clz_i32_u32_e32 v6, v6
	v_min_u32_e32 v8, 32, v6
	s_delay_alu instid0(VALU_DEP_1) | instskip(NEXT) | instid1(VALU_DEP_1)
	v_subrev_nc_u32_e32 v6, 28, v8
	v_lshlrev_b64_e32 v[6:7], v6, v[24:25]
	s_delay_alu instid0(VALU_DEP_1)
	v_dual_sub_nc_u32 v7, 29, v8 :: v_dual_bitop2_b32 v6, 7, v6 bitop3:0x40
; %bb.599:                              ;   in Loop: Header=BB292_10 Depth=1
	s_or_b32 exec_lo, exec_lo, s18
	s_delay_alu instid0(VALU_DEP_1) | instskip(NEXT) | instid1(VALU_DEP_2)
	v_dual_lshlrev_b32 v1, 8, v1 :: v_dual_lshlrev_b32 v6, 23, v6
	v_lshl_add_u32 v7, v7, 10, 0x2000
	s_delay_alu instid0(VALU_DEP_1) | instskip(NEXT) | instid1(VALU_DEP_1)
	v_and_or_b32 v1, 0x8000, v1, v7
	v_lshl_or_b32 v18, v1, 16, v6
.LBB292_600:                            ;   in Loop: Header=BB292_10 Depth=1
	s_or_b32 exec_lo, exec_lo, s17
.LBB292_601:                            ;   in Loop: Header=BB292_10 Depth=1
	s_delay_alu instid0(SALU_CYCLE_1)
	s_or_b32 exec_lo, exec_lo, s16
.LBB292_602:                            ;   in Loop: Header=BB292_10 Depth=1
	s_delay_alu instid0(SALU_CYCLE_1) | instskip(SKIP_2) | instid1(VALU_DEP_1)
	s_or_b32 exec_lo, exec_lo, s15
	v_lshrrev_b32_e32 v8, 16, v4
	s_mov_b32 s15, exec_lo
	v_and_b32_e32 v1, 0xff, v8
	s_delay_alu instid0(VALU_DEP_1)
	v_cmpx_ne_u16_e32 0, v1
	s_cbranch_execz .LBB292_610
; %bb.603:                              ;   in Loop: Header=BB292_10 Depth=1
	v_mov_b32_e32 v119, 0x8000
	s_mov_b32 s16, exec_lo
	v_cmpx_ne_u16_e32 0x80, v1
	s_cbranch_execz .LBB292_609
; %bb.604:                              ;   in Loop: Header=BB292_10 Depth=1
	v_bfe_u32 v7, v4, 16, 7
	v_mov_b32_e32 v119, 0x7c01
	s_mov_b32 s17, exec_lo
	s_delay_alu instid0(VALU_DEP_2)
	v_cmpx_ne_u32_e32 0x7f, v7
	s_cbranch_execz .LBB292_608
; %bb.605:                              ;   in Loop: Header=BB292_10 Depth=1
	v_dual_lshrrev_b32 v6, 3, v7 :: v_dual_bitop2_b32 v1, 7, v8 bitop3:0x40
	s_mov_b32 s18, exec_lo
	v_cmpx_gt_u32_e32 8, v7
; %bb.606:                              ;   in Loop: Header=BB292_10 Depth=1
	s_delay_alu instid0(VALU_DEP_2) | instskip(NEXT) | instid1(VALU_DEP_1)
	v_clz_i32_u32_e32 v1, v1
	v_min_u32_e32 v1, 32, v1
	s_delay_alu instid0(VALU_DEP_1) | instskip(NEXT) | instid1(VALU_DEP_1)
	v_subrev_nc_u32_e32 v6, 28, v1
	v_lshlrev_b64_e32 v[10:11], v6, v[8:9]
	s_delay_alu instid0(VALU_DEP_1)
	v_dual_sub_nc_u32 v6, 29, v1 :: v_dual_bitop2_b32 v1, 7, v10 bitop3:0x40
; %bb.607:                              ;   in Loop: Header=BB292_10 Depth=1
	s_or_b32 exec_lo, exec_lo, s18
	s_delay_alu instid0(VALU_DEP_1) | instskip(NEXT) | instid1(VALU_DEP_2)
	v_dual_lshlrev_b32 v7, 8, v8 :: v_dual_lshlrev_b32 v1, 7, v1
	v_lshl_add_u32 v6, v6, 10, 0x2000
	s_delay_alu instid0(VALU_DEP_2) | instskip(NEXT) | instid1(VALU_DEP_2)
	v_and_b32_e32 v7, 0x8000, v7
	v_and_b32_e32 v6, 0xfc00, v6
	s_delay_alu instid0(VALU_DEP_1)
	v_or3_b32 v119, v7, v6, v1
.LBB292_608:                            ;   in Loop: Header=BB292_10 Depth=1
	s_or_b32 exec_lo, exec_lo, s17
.LBB292_609:                            ;   in Loop: Header=BB292_10 Depth=1
	s_delay_alu instid0(SALU_CYCLE_1)
	s_or_b32 exec_lo, exec_lo, s16
.LBB292_610:                            ;   in Loop: Header=BB292_10 Depth=1
	s_delay_alu instid0(SALU_CYCLE_1)
	s_or_b32 exec_lo, exec_lo, s15
	v_dual_mov_b32 v28, 0 :: v_dual_mov_b32 v40, 0
	s_mov_b32 s15, exec_lo
	v_cmpx_lt_u32_e32 0xffffff, v4
	s_cbranch_execz .LBB292_618
; %bb.611:                              ;   in Loop: Header=BB292_10 Depth=1
	v_lshrrev_b32_e32 v24, 24, v4
	v_bfrev_b32_e32 v40, 1
	s_mov_b32 s16, exec_lo
	s_delay_alu instid0(VALU_DEP_2)
	v_cmpx_ne_u32_e32 0x80, v24
	s_cbranch_execz .LBB292_617
; %bb.612:                              ;   in Loop: Header=BB292_10 Depth=1
	v_and_b32_e32 v7, 0x7f, v24
	v_mov_b32_e32 v40, 0x7c010000
	s_mov_b32 s17, exec_lo
	s_delay_alu instid0(VALU_DEP_2)
	v_cmpx_ne_u32_e32 0x7f, v7
	s_cbranch_execz .LBB292_616
; %bb.613:                              ;   in Loop: Header=BB292_10 Depth=1
	v_dual_lshrrev_b32 v6, 3, v7 :: v_dual_bitop2_b32 v1, 7, v24 bitop3:0x40
	s_mov_b32 s18, exec_lo
	v_cmpx_gt_u32_e32 8, v7
; %bb.614:                              ;   in Loop: Header=BB292_10 Depth=1
	s_delay_alu instid0(VALU_DEP_2) | instskip(NEXT) | instid1(VALU_DEP_1)
	v_clz_i32_u32_e32 v1, v1
	v_min_u32_e32 v1, 32, v1
	s_delay_alu instid0(VALU_DEP_1) | instskip(NEXT) | instid1(VALU_DEP_1)
	v_subrev_nc_u32_e32 v6, 28, v1
	v_lshlrev_b64_e32 v[10:11], v6, v[24:25]
	s_delay_alu instid0(VALU_DEP_1)
	v_dual_sub_nc_u32 v6, 29, v1 :: v_dual_bitop2_b32 v1, 7, v10 bitop3:0x40
; %bb.615:                              ;   in Loop: Header=BB292_10 Depth=1
	s_or_b32 exec_lo, exec_lo, s18
	s_delay_alu instid0(VALU_DEP_1) | instskip(NEXT) | instid1(VALU_DEP_2)
	v_dual_lshlrev_b32 v7, 8, v24 :: v_dual_lshlrev_b32 v1, 23, v1
	v_lshl_add_u32 v6, v6, 10, 0x2000
	s_delay_alu instid0(VALU_DEP_1) | instskip(NEXT) | instid1(VALU_DEP_1)
	v_and_or_b32 v6, 0x8000, v7, v6
	v_lshl_or_b32 v40, v6, 16, v1
.LBB292_616:                            ;   in Loop: Header=BB292_10 Depth=1
	s_or_b32 exec_lo, exec_lo, s17
.LBB292_617:                            ;   in Loop: Header=BB292_10 Depth=1
	s_delay_alu instid0(SALU_CYCLE_1)
	s_or_b32 exec_lo, exec_lo, s16
.LBB292_618:                            ;   in Loop: Header=BB292_10 Depth=1
	s_delay_alu instid0(SALU_CYCLE_1) | instskip(SKIP_3) | instid1(VALU_DEP_2)
	s_or_b32 exec_lo, exec_lo, s15
	v_and_b32_e32 v1, 0xff, v5
	v_mov_b32_e32 v24, v5
	s_mov_b32 s15, exec_lo
	v_cmpx_ne_u16_e32 0, v1
	s_cbranch_execz .LBB292_626
; %bb.619:                              ;   in Loop: Header=BB292_10 Depth=1
	v_mov_b32_e32 v28, 0x8000
	s_mov_b32 s16, exec_lo
	v_cmpx_ne_u16_e32 0x80, v1
	s_cbranch_execz .LBB292_625
; %bb.620:                              ;   in Loop: Header=BB292_10 Depth=1
	v_and_b32_e32 v7, 0x7f, v5
	v_mov_b32_e32 v28, 0x7c01
	s_mov_b32 s17, exec_lo
	s_delay_alu instid0(VALU_DEP_2)
	v_cmpx_ne_u32_e32 0x7f, v7
	s_cbranch_execz .LBB292_624
; %bb.621:                              ;   in Loop: Header=BB292_10 Depth=1
	v_dual_lshrrev_b32 v6, 3, v7 :: v_dual_bitop2_b32 v1, 7, v5 bitop3:0x40
	s_mov_b32 s18, exec_lo
	v_cmpx_gt_u32_e32 8, v7
; %bb.622:                              ;   in Loop: Header=BB292_10 Depth=1
	s_delay_alu instid0(VALU_DEP_2) | instskip(NEXT) | instid1(VALU_DEP_1)
	v_clz_i32_u32_e32 v1, v1
	v_min_u32_e32 v1, 32, v1
	s_delay_alu instid0(VALU_DEP_1) | instskip(NEXT) | instid1(VALU_DEP_1)
	v_subrev_nc_u32_e32 v6, 28, v1
	v_lshlrev_b64_e32 v[10:11], v6, v[24:25]
	s_delay_alu instid0(VALU_DEP_1)
	v_dual_sub_nc_u32 v6, 29, v1 :: v_dual_bitop2_b32 v1, 7, v10 bitop3:0x40
; %bb.623:                              ;   in Loop: Header=BB292_10 Depth=1
	s_or_b32 exec_lo, exec_lo, s18
	v_lshlrev_b32_e32 v7, 8, v5
	s_delay_alu instid0(VALU_DEP_2) | instskip(NEXT) | instid1(VALU_DEP_3)
	v_lshl_add_u32 v6, v6, 10, 0x2000
	v_lshlrev_b32_e32 v1, 7, v1
	s_delay_alu instid0(VALU_DEP_3) | instskip(NEXT) | instid1(VALU_DEP_3)
	v_and_b32_e32 v7, 0x8000, v7
	v_and_b32_e32 v6, 0xfc00, v6
	s_delay_alu instid0(VALU_DEP_1)
	v_or3_b32 v28, v7, v6, v1
.LBB292_624:                            ;   in Loop: Header=BB292_10 Depth=1
	s_or_b32 exec_lo, exec_lo, s17
.LBB292_625:                            ;   in Loop: Header=BB292_10 Depth=1
	s_delay_alu instid0(SALU_CYCLE_1)
	s_or_b32 exec_lo, exec_lo, s16
.LBB292_626:                            ;   in Loop: Header=BB292_10 Depth=1
	s_delay_alu instid0(SALU_CYCLE_1) | instskip(SKIP_3) | instid1(VALU_DEP_2)
	s_or_b32 exec_lo, exec_lo, s15
	v_lshrrev_b16 v24, 8, v24
	v_dual_mov_b32 v41, 0 :: v_dual_mov_b32 v42, 0
	s_mov_b32 s15, exec_lo
	v_cmpx_ne_u16_e32 0, v24
	s_cbranch_execz .LBB292_634
; %bb.627:                              ;   in Loop: Header=BB292_10 Depth=1
	v_bfrev_b32_e32 v42, 1
	s_mov_b32 s16, exec_lo
	v_cmpx_ne_u16_e32 0x80, v24
	s_cbranch_execz .LBB292_633
; %bb.628:                              ;   in Loop: Header=BB292_10 Depth=1
	v_and_b32_e32 v1, 0xffff, v24
	v_mov_b32_e32 v42, 0x7c010000
	s_mov_b32 s17, exec_lo
	s_delay_alu instid0(VALU_DEP_2) | instskip(NEXT) | instid1(VALU_DEP_1)
	v_and_b32_e32 v8, 0x7f, v1
	v_cmpx_ne_u32_e32 0x7f, v8
	s_cbranch_execz .LBB292_632
; %bb.629:                              ;   in Loop: Header=BB292_10 Depth=1
	v_dual_lshrrev_b32 v7, 3, v8 :: v_dual_bitop2_b32 v6, 7, v1 bitop3:0x40
	s_mov_b32 s18, exec_lo
	v_cmpx_gt_u32_e32 8, v8
; %bb.630:                              ;   in Loop: Header=BB292_10 Depth=1
	s_delay_alu instid0(VALU_DEP_2) | instskip(NEXT) | instid1(VALU_DEP_1)
	v_clz_i32_u32_e32 v6, v6
	v_min_u32_e32 v8, 32, v6
	s_delay_alu instid0(VALU_DEP_1) | instskip(NEXT) | instid1(VALU_DEP_1)
	v_subrev_nc_u32_e32 v6, 28, v8
	v_lshlrev_b64_e32 v[6:7], v6, v[24:25]
	s_delay_alu instid0(VALU_DEP_1)
	v_dual_sub_nc_u32 v7, 29, v8 :: v_dual_bitop2_b32 v6, 7, v6 bitop3:0x40
; %bb.631:                              ;   in Loop: Header=BB292_10 Depth=1
	s_or_b32 exec_lo, exec_lo, s18
	s_delay_alu instid0(VALU_DEP_1) | instskip(NEXT) | instid1(VALU_DEP_2)
	v_dual_lshlrev_b32 v1, 8, v1 :: v_dual_lshlrev_b32 v6, 23, v6
	v_lshl_add_u32 v7, v7, 10, 0x2000
	s_delay_alu instid0(VALU_DEP_1) | instskip(NEXT) | instid1(VALU_DEP_1)
	v_and_or_b32 v1, 0x8000, v1, v7
	v_lshl_or_b32 v42, v1, 16, v6
.LBB292_632:                            ;   in Loop: Header=BB292_10 Depth=1
	s_or_b32 exec_lo, exec_lo, s17
.LBB292_633:                            ;   in Loop: Header=BB292_10 Depth=1
	s_delay_alu instid0(SALU_CYCLE_1)
	s_or_b32 exec_lo, exec_lo, s16
.LBB292_634:                            ;   in Loop: Header=BB292_10 Depth=1
	s_delay_alu instid0(SALU_CYCLE_1) | instskip(SKIP_2) | instid1(VALU_DEP_1)
	s_or_b32 exec_lo, exec_lo, s15
	v_lshrrev_b32_e32 v8, 16, v5
	s_mov_b32 s15, exec_lo
	v_and_b32_e32 v1, 0xff, v8
	s_delay_alu instid0(VALU_DEP_1)
	v_cmpx_ne_u16_e32 0, v1
	s_cbranch_execz .LBB292_642
; %bb.635:                              ;   in Loop: Header=BB292_10 Depth=1
	v_mov_b32_e32 v41, 0x8000
	s_mov_b32 s16, exec_lo
	v_cmpx_ne_u16_e32 0x80, v1
	s_cbranch_execz .LBB292_641
; %bb.636:                              ;   in Loop: Header=BB292_10 Depth=1
	v_bfe_u32 v7, v5, 16, 7
	v_mov_b32_e32 v41, 0x7c01
	s_mov_b32 s17, exec_lo
	s_delay_alu instid0(VALU_DEP_2)
	v_cmpx_ne_u32_e32 0x7f, v7
	s_cbranch_execz .LBB292_640
; %bb.637:                              ;   in Loop: Header=BB292_10 Depth=1
	v_dual_lshrrev_b32 v6, 3, v7 :: v_dual_bitop2_b32 v1, 7, v8 bitop3:0x40
	s_mov_b32 s18, exec_lo
	v_cmpx_gt_u32_e32 8, v7
; %bb.638:                              ;   in Loop: Header=BB292_10 Depth=1
	s_delay_alu instid0(VALU_DEP_2) | instskip(NEXT) | instid1(VALU_DEP_1)
	v_clz_i32_u32_e32 v1, v1
	v_min_u32_e32 v1, 32, v1
	s_delay_alu instid0(VALU_DEP_1) | instskip(NEXT) | instid1(VALU_DEP_1)
	v_subrev_nc_u32_e32 v6, 28, v1
	v_lshlrev_b64_e32 v[10:11], v6, v[8:9]
	s_delay_alu instid0(VALU_DEP_1)
	v_dual_sub_nc_u32 v6, 29, v1 :: v_dual_bitop2_b32 v1, 7, v10 bitop3:0x40
; %bb.639:                              ;   in Loop: Header=BB292_10 Depth=1
	s_or_b32 exec_lo, exec_lo, s18
	s_delay_alu instid0(VALU_DEP_1) | instskip(NEXT) | instid1(VALU_DEP_2)
	v_dual_lshlrev_b32 v7, 8, v8 :: v_dual_lshlrev_b32 v1, 7, v1
	v_lshl_add_u32 v6, v6, 10, 0x2000
	s_delay_alu instid0(VALU_DEP_2) | instskip(NEXT) | instid1(VALU_DEP_2)
	v_and_b32_e32 v7, 0x8000, v7
	v_and_b32_e32 v6, 0xfc00, v6
	s_delay_alu instid0(VALU_DEP_1)
	v_or3_b32 v41, v7, v6, v1
.LBB292_640:                            ;   in Loop: Header=BB292_10 Depth=1
	s_or_b32 exec_lo, exec_lo, s17
.LBB292_641:                            ;   in Loop: Header=BB292_10 Depth=1
	s_delay_alu instid0(SALU_CYCLE_1)
	s_or_b32 exec_lo, exec_lo, s16
.LBB292_642:                            ;   in Loop: Header=BB292_10 Depth=1
	s_delay_alu instid0(SALU_CYCLE_1)
	s_or_b32 exec_lo, exec_lo, s15
	v_dual_mov_b32 v43, 0 :: v_dual_mov_b32 v20, 0
	s_mov_b32 s15, exec_lo
	v_cmpx_lt_u64_e64 s[2:3], v[4:5]
	s_cbranch_execz .LBB292_650
; %bb.643:                              ;   in Loop: Header=BB292_10 Depth=1
	v_lshrrev_b32_e32 v24, 24, v5
	v_bfrev_b32_e32 v20, 1
	s_mov_b32 s16, exec_lo
	s_delay_alu instid0(VALU_DEP_2)
	v_cmpx_ne_u32_e32 0x80, v24
	s_cbranch_execz .LBB292_649
; %bb.644:                              ;   in Loop: Header=BB292_10 Depth=1
	v_and_b32_e32 v5, 0x7f, v24
	v_mov_b32_e32 v20, 0x7c010000
	s_mov_b32 s17, exec_lo
	s_delay_alu instid0(VALU_DEP_2)
	v_cmpx_ne_u32_e32 0x7f, v5
	s_cbranch_execz .LBB292_648
; %bb.645:                              ;   in Loop: Header=BB292_10 Depth=1
	v_dual_lshrrev_b32 v4, 3, v5 :: v_dual_bitop2_b32 v1, 7, v24 bitop3:0x40
	s_mov_b32 s18, exec_lo
	v_cmpx_gt_u32_e32 8, v5
; %bb.646:                              ;   in Loop: Header=BB292_10 Depth=1
	s_delay_alu instid0(VALU_DEP_2) | instskip(NEXT) | instid1(VALU_DEP_1)
	v_clz_i32_u32_e32 v1, v1
	v_min_u32_e32 v1, 32, v1
	s_delay_alu instid0(VALU_DEP_1) | instskip(NEXT) | instid1(VALU_DEP_1)
	v_subrev_nc_u32_e32 v4, 28, v1
	v_lshlrev_b64_e32 v[6:7], v4, v[24:25]
	s_delay_alu instid0(VALU_DEP_1)
	v_dual_sub_nc_u32 v4, 29, v1 :: v_dual_bitop2_b32 v1, 7, v6 bitop3:0x40
; %bb.647:                              ;   in Loop: Header=BB292_10 Depth=1
	s_or_b32 exec_lo, exec_lo, s18
	s_delay_alu instid0(VALU_DEP_1) | instskip(NEXT) | instid1(VALU_DEP_2)
	v_dual_lshlrev_b32 v5, 8, v24 :: v_dual_lshlrev_b32 v1, 23, v1
	v_lshl_add_u32 v4, v4, 10, 0x2000
	s_delay_alu instid0(VALU_DEP_1) | instskip(NEXT) | instid1(VALU_DEP_1)
	v_and_or_b32 v4, 0x8000, v5, v4
	v_lshl_or_b32 v20, v4, 16, v1
.LBB292_648:                            ;   in Loop: Header=BB292_10 Depth=1
	s_or_b32 exec_lo, exec_lo, s17
.LBB292_649:                            ;   in Loop: Header=BB292_10 Depth=1
	s_delay_alu instid0(SALU_CYCLE_1)
	s_or_b32 exec_lo, exec_lo, s16
.LBB292_650:                            ;   in Loop: Header=BB292_10 Depth=1
	s_delay_alu instid0(SALU_CYCLE_1)
	s_or_b32 exec_lo, exec_lo, s15
	flat_load_b64 v[4:5], v[2:3] offset:2560
	s_mov_b32 s15, exec_lo
	s_wait_loadcnt_dscnt 0x0
	v_and_b32_e32 v1, 0xff, v4
	s_wait_xcnt 0x0
	s_delay_alu instid0(VALU_DEP_1)
	v_cmpx_ne_u16_e32 0, v1
	s_cbranch_execz .LBB292_658
; %bb.651:                              ;   in Loop: Header=BB292_10 Depth=1
	v_mov_b32_e32 v43, 0x8000
	s_mov_b32 s16, exec_lo
	v_cmpx_ne_u16_e32 0x80, v1
	s_cbranch_execz .LBB292_657
; %bb.652:                              ;   in Loop: Header=BB292_10 Depth=1
	v_and_b32_e32 v7, 0x7f, v4
	v_mov_b32_e32 v43, 0x7c01
	s_mov_b32 s17, exec_lo
	s_delay_alu instid0(VALU_DEP_2)
	v_cmpx_ne_u32_e32 0x7f, v7
	s_cbranch_execz .LBB292_656
; %bb.653:                              ;   in Loop: Header=BB292_10 Depth=1
	v_dual_lshrrev_b32 v6, 3, v7 :: v_dual_bitop2_b32 v1, 7, v4 bitop3:0x40
	s_mov_b32 s18, exec_lo
	v_cmpx_gt_u32_e32 8, v7
; %bb.654:                              ;   in Loop: Header=BB292_10 Depth=1
	s_delay_alu instid0(VALU_DEP_2) | instskip(NEXT) | instid1(VALU_DEP_1)
	v_clz_i32_u32_e32 v1, v1
	v_min_u32_e32 v1, 32, v1
	s_delay_alu instid0(VALU_DEP_1) | instskip(NEXT) | instid1(VALU_DEP_1)
	v_subrev_nc_u32_e32 v6, 28, v1
	v_lshlrev_b64_e32 v[10:11], v6, v[4:5]
	s_delay_alu instid0(VALU_DEP_1)
	v_dual_sub_nc_u32 v6, 29, v1 :: v_dual_bitop2_b32 v1, 7, v10 bitop3:0x40
; %bb.655:                              ;   in Loop: Header=BB292_10 Depth=1
	s_or_b32 exec_lo, exec_lo, s18
	s_delay_alu instid0(VALU_DEP_1) | instskip(NEXT) | instid1(VALU_DEP_2)
	v_dual_lshlrev_b32 v7, 8, v4 :: v_dual_lshlrev_b32 v1, 7, v1
	v_lshl_add_u32 v6, v6, 10, 0x2000
	s_delay_alu instid0(VALU_DEP_2) | instskip(NEXT) | instid1(VALU_DEP_2)
	v_and_b32_e32 v7, 0x8000, v7
	v_and_b32_e32 v6, 0xfc00, v6
	s_delay_alu instid0(VALU_DEP_1)
	v_or3_b32 v43, v7, v6, v1
.LBB292_656:                            ;   in Loop: Header=BB292_10 Depth=1
	s_or_b32 exec_lo, exec_lo, s17
.LBB292_657:                            ;   in Loop: Header=BB292_10 Depth=1
	s_delay_alu instid0(SALU_CYCLE_1)
	s_or_b32 exec_lo, exec_lo, s16
.LBB292_658:                            ;   in Loop: Header=BB292_10 Depth=1
	s_delay_alu instid0(SALU_CYCLE_1) | instskip(SKIP_3) | instid1(VALU_DEP_2)
	s_or_b32 exec_lo, exec_lo, s15
	v_lshrrev_b16 v24, 8, v4
	v_dual_mov_b32 v44, 0 :: v_dual_mov_b32 v22, 0
	s_mov_b32 s15, exec_lo
	v_cmpx_ne_u16_e32 0, v24
	s_cbranch_execz .LBB292_666
; %bb.659:                              ;   in Loop: Header=BB292_10 Depth=1
	v_bfrev_b32_e32 v22, 1
	s_mov_b32 s16, exec_lo
	v_cmpx_ne_u16_e32 0x80, v24
	s_cbranch_execz .LBB292_665
; %bb.660:                              ;   in Loop: Header=BB292_10 Depth=1
	v_and_b32_e32 v1, 0xffff, v24
	v_mov_b32_e32 v22, 0x7c010000
	s_mov_b32 s17, exec_lo
	s_delay_alu instid0(VALU_DEP_2) | instskip(NEXT) | instid1(VALU_DEP_1)
	v_and_b32_e32 v8, 0x7f, v1
	v_cmpx_ne_u32_e32 0x7f, v8
	s_cbranch_execz .LBB292_664
; %bb.661:                              ;   in Loop: Header=BB292_10 Depth=1
	v_dual_lshrrev_b32 v7, 3, v8 :: v_dual_bitop2_b32 v6, 7, v1 bitop3:0x40
	s_mov_b32 s18, exec_lo
	v_cmpx_gt_u32_e32 8, v8
; %bb.662:                              ;   in Loop: Header=BB292_10 Depth=1
	s_delay_alu instid0(VALU_DEP_2) | instskip(NEXT) | instid1(VALU_DEP_1)
	v_clz_i32_u32_e32 v6, v6
	v_min_u32_e32 v8, 32, v6
	s_delay_alu instid0(VALU_DEP_1) | instskip(NEXT) | instid1(VALU_DEP_1)
	v_subrev_nc_u32_e32 v6, 28, v8
	v_lshlrev_b64_e32 v[6:7], v6, v[24:25]
	s_delay_alu instid0(VALU_DEP_1)
	v_dual_sub_nc_u32 v7, 29, v8 :: v_dual_bitop2_b32 v6, 7, v6 bitop3:0x40
; %bb.663:                              ;   in Loop: Header=BB292_10 Depth=1
	s_or_b32 exec_lo, exec_lo, s18
	s_delay_alu instid0(VALU_DEP_1) | instskip(NEXT) | instid1(VALU_DEP_2)
	v_dual_lshlrev_b32 v1, 8, v1 :: v_dual_lshlrev_b32 v6, 23, v6
	v_lshl_add_u32 v7, v7, 10, 0x2000
	s_delay_alu instid0(VALU_DEP_1) | instskip(NEXT) | instid1(VALU_DEP_1)
	v_and_or_b32 v1, 0x8000, v1, v7
	v_lshl_or_b32 v22, v1, 16, v6
.LBB292_664:                            ;   in Loop: Header=BB292_10 Depth=1
	s_or_b32 exec_lo, exec_lo, s17
.LBB292_665:                            ;   in Loop: Header=BB292_10 Depth=1
	s_delay_alu instid0(SALU_CYCLE_1)
	s_or_b32 exec_lo, exec_lo, s16
.LBB292_666:                            ;   in Loop: Header=BB292_10 Depth=1
	s_delay_alu instid0(SALU_CYCLE_1) | instskip(SKIP_2) | instid1(VALU_DEP_1)
	s_or_b32 exec_lo, exec_lo, s15
	v_lshrrev_b32_e32 v8, 16, v4
	s_mov_b32 s15, exec_lo
	v_and_b32_e32 v1, 0xff, v8
	s_delay_alu instid0(VALU_DEP_1)
	v_cmpx_ne_u16_e32 0, v1
	s_cbranch_execz .LBB292_674
; %bb.667:                              ;   in Loop: Header=BB292_10 Depth=1
	v_mov_b32_e32 v44, 0x8000
	s_mov_b32 s16, exec_lo
	v_cmpx_ne_u16_e32 0x80, v1
	s_cbranch_execz .LBB292_673
; %bb.668:                              ;   in Loop: Header=BB292_10 Depth=1
	v_bfe_u32 v7, v4, 16, 7
	v_mov_b32_e32 v44, 0x7c01
	s_mov_b32 s17, exec_lo
	s_delay_alu instid0(VALU_DEP_2)
	v_cmpx_ne_u32_e32 0x7f, v7
	s_cbranch_execz .LBB292_672
; %bb.669:                              ;   in Loop: Header=BB292_10 Depth=1
	v_dual_lshrrev_b32 v6, 3, v7 :: v_dual_bitop2_b32 v1, 7, v8 bitop3:0x40
	s_mov_b32 s18, exec_lo
	v_cmpx_gt_u32_e32 8, v7
; %bb.670:                              ;   in Loop: Header=BB292_10 Depth=1
	s_delay_alu instid0(VALU_DEP_2) | instskip(NEXT) | instid1(VALU_DEP_1)
	v_clz_i32_u32_e32 v1, v1
	v_min_u32_e32 v1, 32, v1
	s_delay_alu instid0(VALU_DEP_1) | instskip(NEXT) | instid1(VALU_DEP_1)
	v_subrev_nc_u32_e32 v6, 28, v1
	v_lshlrev_b64_e32 v[10:11], v6, v[8:9]
	s_delay_alu instid0(VALU_DEP_1)
	v_dual_sub_nc_u32 v6, 29, v1 :: v_dual_bitop2_b32 v1, 7, v10 bitop3:0x40
; %bb.671:                              ;   in Loop: Header=BB292_10 Depth=1
	s_or_b32 exec_lo, exec_lo, s18
	s_delay_alu instid0(VALU_DEP_1) | instskip(NEXT) | instid1(VALU_DEP_2)
	v_dual_lshlrev_b32 v7, 8, v8 :: v_dual_lshlrev_b32 v1, 7, v1
	v_lshl_add_u32 v6, v6, 10, 0x2000
	s_delay_alu instid0(VALU_DEP_2) | instskip(NEXT) | instid1(VALU_DEP_2)
	v_and_b32_e32 v7, 0x8000, v7
	v_and_b32_e32 v6, 0xfc00, v6
	s_delay_alu instid0(VALU_DEP_1)
	v_or3_b32 v44, v7, v6, v1
.LBB292_672:                            ;   in Loop: Header=BB292_10 Depth=1
	s_or_b32 exec_lo, exec_lo, s17
.LBB292_673:                            ;   in Loop: Header=BB292_10 Depth=1
	s_delay_alu instid0(SALU_CYCLE_1)
	s_or_b32 exec_lo, exec_lo, s16
.LBB292_674:                            ;   in Loop: Header=BB292_10 Depth=1
	s_delay_alu instid0(SALU_CYCLE_1)
	s_or_b32 exec_lo, exec_lo, s15
	v_dual_mov_b32 v45, 0 :: v_dual_mov_b32 v10, 0
	s_mov_b32 s15, exec_lo
	v_cmpx_lt_u32_e32 0xffffff, v4
	s_cbranch_execz .LBB292_682
; %bb.675:                              ;   in Loop: Header=BB292_10 Depth=1
	v_lshrrev_b32_e32 v24, 24, v4
	v_bfrev_b32_e32 v10, 1
	s_mov_b32 s16, exec_lo
	s_delay_alu instid0(VALU_DEP_2)
	v_cmpx_ne_u32_e32 0x80, v24
	s_cbranch_execz .LBB292_681
; %bb.676:                              ;   in Loop: Header=BB292_10 Depth=1
	v_and_b32_e32 v7, 0x7f, v24
	v_mov_b32_e32 v10, 0x7c010000
	s_mov_b32 s17, exec_lo
	s_delay_alu instid0(VALU_DEP_2)
	v_cmpx_ne_u32_e32 0x7f, v7
	s_cbranch_execz .LBB292_680
; %bb.677:                              ;   in Loop: Header=BB292_10 Depth=1
	v_dual_lshrrev_b32 v6, 3, v7 :: v_dual_bitop2_b32 v1, 7, v24 bitop3:0x40
	s_mov_b32 s18, exec_lo
	v_cmpx_gt_u32_e32 8, v7
; %bb.678:                              ;   in Loop: Header=BB292_10 Depth=1
	s_delay_alu instid0(VALU_DEP_2) | instskip(NEXT) | instid1(VALU_DEP_1)
	v_clz_i32_u32_e32 v1, v1
	v_min_u32_e32 v1, 32, v1
	s_delay_alu instid0(VALU_DEP_1) | instskip(NEXT) | instid1(VALU_DEP_1)
	v_subrev_nc_u32_e32 v6, 28, v1
	v_lshlrev_b64_e32 v[10:11], v6, v[24:25]
	s_delay_alu instid0(VALU_DEP_1)
	v_dual_sub_nc_u32 v6, 29, v1 :: v_dual_bitop2_b32 v1, 7, v10 bitop3:0x40
; %bb.679:                              ;   in Loop: Header=BB292_10 Depth=1
	s_or_b32 exec_lo, exec_lo, s18
	s_delay_alu instid0(VALU_DEP_1) | instskip(NEXT) | instid1(VALU_DEP_2)
	v_dual_lshlrev_b32 v7, 8, v24 :: v_dual_lshlrev_b32 v1, 23, v1
	v_lshl_add_u32 v6, v6, 10, 0x2000
	s_delay_alu instid0(VALU_DEP_1) | instskip(NEXT) | instid1(VALU_DEP_1)
	v_and_or_b32 v6, 0x8000, v7, v6
	v_lshl_or_b32 v10, v6, 16, v1
.LBB292_680:                            ;   in Loop: Header=BB292_10 Depth=1
	s_or_b32 exec_lo, exec_lo, s17
.LBB292_681:                            ;   in Loop: Header=BB292_10 Depth=1
	s_delay_alu instid0(SALU_CYCLE_1)
	s_or_b32 exec_lo, exec_lo, s16
.LBB292_682:                            ;   in Loop: Header=BB292_10 Depth=1
	s_delay_alu instid0(SALU_CYCLE_1) | instskip(SKIP_3) | instid1(VALU_DEP_2)
	s_or_b32 exec_lo, exec_lo, s15
	v_and_b32_e32 v1, 0xff, v5
	v_mov_b32_e32 v24, v5
	s_mov_b32 s15, exec_lo
	v_cmpx_ne_u16_e32 0, v1
	s_cbranch_execz .LBB292_690
; %bb.683:                              ;   in Loop: Header=BB292_10 Depth=1
	v_mov_b32_e32 v45, 0x8000
	s_mov_b32 s16, exec_lo
	v_cmpx_ne_u16_e32 0x80, v1
	s_cbranch_execz .LBB292_689
; %bb.684:                              ;   in Loop: Header=BB292_10 Depth=1
	v_and_b32_e32 v7, 0x7f, v5
	v_mov_b32_e32 v45, 0x7c01
	s_mov_b32 s17, exec_lo
	s_delay_alu instid0(VALU_DEP_2)
	v_cmpx_ne_u32_e32 0x7f, v7
	s_cbranch_execz .LBB292_688
; %bb.685:                              ;   in Loop: Header=BB292_10 Depth=1
	v_dual_lshrrev_b32 v6, 3, v7 :: v_dual_bitop2_b32 v1, 7, v5 bitop3:0x40
	s_mov_b32 s18, exec_lo
	v_cmpx_gt_u32_e32 8, v7
; %bb.686:                              ;   in Loop: Header=BB292_10 Depth=1
	s_delay_alu instid0(VALU_DEP_2) | instskip(NEXT) | instid1(VALU_DEP_1)
	v_clz_i32_u32_e32 v1, v1
	v_min_u32_e32 v1, 32, v1
	s_delay_alu instid0(VALU_DEP_1) | instskip(NEXT) | instid1(VALU_DEP_1)
	v_subrev_nc_u32_e32 v6, 28, v1
	v_lshlrev_b64_e32 v[16:17], v6, v[24:25]
	s_delay_alu instid0(VALU_DEP_1)
	v_dual_sub_nc_u32 v6, 29, v1 :: v_dual_bitop2_b32 v1, 7, v16 bitop3:0x40
; %bb.687:                              ;   in Loop: Header=BB292_10 Depth=1
	s_or_b32 exec_lo, exec_lo, s18
	v_lshlrev_b32_e32 v7, 8, v5
	s_delay_alu instid0(VALU_DEP_2) | instskip(NEXT) | instid1(VALU_DEP_3)
	v_lshl_add_u32 v6, v6, 10, 0x2000
	v_lshlrev_b32_e32 v1, 7, v1
	s_delay_alu instid0(VALU_DEP_3) | instskip(NEXT) | instid1(VALU_DEP_3)
	v_and_b32_e32 v7, 0x8000, v7
	v_and_b32_e32 v6, 0xfc00, v6
	s_delay_alu instid0(VALU_DEP_1)
	v_or3_b32 v45, v7, v6, v1
.LBB292_688:                            ;   in Loop: Header=BB292_10 Depth=1
	s_or_b32 exec_lo, exec_lo, s17
.LBB292_689:                            ;   in Loop: Header=BB292_10 Depth=1
	s_delay_alu instid0(SALU_CYCLE_1)
	s_or_b32 exec_lo, exec_lo, s16
.LBB292_690:                            ;   in Loop: Header=BB292_10 Depth=1
	s_delay_alu instid0(SALU_CYCLE_1) | instskip(SKIP_3) | instid1(VALU_DEP_2)
	s_or_b32 exec_lo, exec_lo, s15
	v_lshrrev_b16 v24, 8, v24
	v_dual_mov_b32 v11, 0 :: v_dual_mov_b32 v6, 0
	s_mov_b32 s15, exec_lo
	v_cmpx_ne_u16_e32 0, v24
	s_cbranch_execz .LBB292_698
; %bb.691:                              ;   in Loop: Header=BB292_10 Depth=1
	v_bfrev_b32_e32 v6, 1
	s_mov_b32 s16, exec_lo
	v_cmpx_ne_u16_e32 0x80, v24
	s_cbranch_execz .LBB292_697
; %bb.692:                              ;   in Loop: Header=BB292_10 Depth=1
	v_and_b32_e32 v1, 0xffff, v24
	v_mov_b32_e32 v6, 0x7c010000
	s_mov_b32 s17, exec_lo
	s_delay_alu instid0(VALU_DEP_2) | instskip(NEXT) | instid1(VALU_DEP_1)
	v_and_b32_e32 v8, 0x7f, v1
	v_cmpx_ne_u32_e32 0x7f, v8
	s_cbranch_execz .LBB292_696
; %bb.693:                              ;   in Loop: Header=BB292_10 Depth=1
	v_dual_lshrrev_b32 v7, 3, v8 :: v_dual_bitop2_b32 v6, 7, v1 bitop3:0x40
	s_mov_b32 s18, exec_lo
	v_cmpx_gt_u32_e32 8, v8
; %bb.694:                              ;   in Loop: Header=BB292_10 Depth=1
	s_delay_alu instid0(VALU_DEP_2) | instskip(NEXT) | instid1(VALU_DEP_1)
	v_clz_i32_u32_e32 v6, v6
	v_min_u32_e32 v8, 32, v6
	s_delay_alu instid0(VALU_DEP_1) | instskip(NEXT) | instid1(VALU_DEP_1)
	v_subrev_nc_u32_e32 v6, 28, v8
	v_lshlrev_b64_e32 v[6:7], v6, v[24:25]
	s_delay_alu instid0(VALU_DEP_1)
	v_dual_sub_nc_u32 v7, 29, v8 :: v_dual_bitop2_b32 v6, 7, v6 bitop3:0x40
; %bb.695:                              ;   in Loop: Header=BB292_10 Depth=1
	s_or_b32 exec_lo, exec_lo, s18
	s_delay_alu instid0(VALU_DEP_1) | instskip(NEXT) | instid1(VALU_DEP_2)
	v_dual_lshlrev_b32 v1, 8, v1 :: v_dual_lshlrev_b32 v6, 23, v6
	v_lshl_add_u32 v7, v7, 10, 0x2000
	s_delay_alu instid0(VALU_DEP_1) | instskip(NEXT) | instid1(VALU_DEP_1)
	v_and_or_b32 v1, 0x8000, v1, v7
	v_lshl_or_b32 v6, v1, 16, v6
.LBB292_696:                            ;   in Loop: Header=BB292_10 Depth=1
	s_or_b32 exec_lo, exec_lo, s17
.LBB292_697:                            ;   in Loop: Header=BB292_10 Depth=1
	s_delay_alu instid0(SALU_CYCLE_1)
	s_or_b32 exec_lo, exec_lo, s16
.LBB292_698:                            ;   in Loop: Header=BB292_10 Depth=1
	s_delay_alu instid0(SALU_CYCLE_1) | instskip(SKIP_2) | instid1(VALU_DEP_1)
	s_or_b32 exec_lo, exec_lo, s15
	v_lshrrev_b32_e32 v8, 16, v5
	s_mov_b32 s15, exec_lo
	v_and_b32_e32 v1, 0xff, v8
	s_delay_alu instid0(VALU_DEP_1)
	v_cmpx_ne_u16_e32 0, v1
	s_cbranch_execz .LBB292_706
; %bb.699:                              ;   in Loop: Header=BB292_10 Depth=1
	v_mov_b32_e32 v11, 0x8000
	s_mov_b32 s16, exec_lo
	v_cmpx_ne_u16_e32 0x80, v1
	s_cbranch_execz .LBB292_705
; %bb.700:                              ;   in Loop: Header=BB292_10 Depth=1
	v_bfe_u32 v13, v5, 16, 7
	v_mov_b32_e32 v11, 0x7c01
	s_mov_b32 s17, exec_lo
	s_delay_alu instid0(VALU_DEP_2)
	v_cmpx_ne_u32_e32 0x7f, v13
	s_cbranch_execz .LBB292_704
; %bb.701:                              ;   in Loop: Header=BB292_10 Depth=1
	v_dual_lshrrev_b32 v7, 3, v13 :: v_dual_bitop2_b32 v1, 7, v8 bitop3:0x40
	s_mov_b32 s18, exec_lo
	v_cmpx_gt_u32_e32 8, v13
; %bb.702:                              ;   in Loop: Header=BB292_10 Depth=1
	s_delay_alu instid0(VALU_DEP_2) | instskip(NEXT) | instid1(VALU_DEP_1)
	v_clz_i32_u32_e32 v1, v1
	v_min_u32_e32 v1, 32, v1
	s_delay_alu instid0(VALU_DEP_1) | instskip(NEXT) | instid1(VALU_DEP_1)
	v_subrev_nc_u32_e32 v7, 28, v1
	v_lshlrev_b64_e32 v[16:17], v7, v[8:9]
	s_delay_alu instid0(VALU_DEP_1)
	v_dual_sub_nc_u32 v7, 29, v1 :: v_dual_bitop2_b32 v1, 7, v16 bitop3:0x40
; %bb.703:                              ;   in Loop: Header=BB292_10 Depth=1
	s_or_b32 exec_lo, exec_lo, s18
	s_delay_alu instid0(VALU_DEP_1) | instskip(NEXT) | instid1(VALU_DEP_2)
	v_dual_lshlrev_b32 v8, 8, v8 :: v_dual_lshlrev_b32 v1, 7, v1
	v_lshl_add_u32 v7, v7, 10, 0x2000
	s_delay_alu instid0(VALU_DEP_2) | instskip(NEXT) | instid1(VALU_DEP_2)
	v_and_b32_e32 v8, 0x8000, v8
	v_and_b32_e32 v7, 0xfc00, v7
	s_delay_alu instid0(VALU_DEP_1)
	v_or3_b32 v11, v8, v7, v1
.LBB292_704:                            ;   in Loop: Header=BB292_10 Depth=1
	s_or_b32 exec_lo, exec_lo, s17
.LBB292_705:                            ;   in Loop: Header=BB292_10 Depth=1
	s_delay_alu instid0(SALU_CYCLE_1)
	s_or_b32 exec_lo, exec_lo, s16
.LBB292_706:                            ;   in Loop: Header=BB292_10 Depth=1
	s_delay_alu instid0(SALU_CYCLE_1)
	s_or_b32 exec_lo, exec_lo, s15
	v_dual_mov_b32 v8, 0 :: v_dual_mov_b32 v17, 0
	s_mov_b32 s15, exec_lo
	v_cmpx_lt_u64_e64 s[2:3], v[4:5]
	s_cbranch_execz .LBB292_714
; %bb.707:                              ;   in Loop: Header=BB292_10 Depth=1
	v_lshrrev_b32_e32 v24, 24, v5
	v_bfrev_b32_e32 v17, 1
	s_mov_b32 s16, exec_lo
	s_delay_alu instid0(VALU_DEP_2)
	v_cmpx_ne_u32_e32 0x80, v24
	s_cbranch_execz .LBB292_713
; %bb.708:                              ;   in Loop: Header=BB292_10 Depth=1
	v_and_b32_e32 v5, 0x7f, v24
	v_mov_b32_e32 v17, 0x7c010000
	s_mov_b32 s17, exec_lo
	s_delay_alu instid0(VALU_DEP_2)
	v_cmpx_ne_u32_e32 0x7f, v5
	s_cbranch_execz .LBB292_712
; %bb.709:                              ;   in Loop: Header=BB292_10 Depth=1
	v_dual_lshrrev_b32 v4, 3, v5 :: v_dual_bitop2_b32 v1, 7, v24 bitop3:0x40
	s_mov_b32 s18, exec_lo
	v_cmpx_gt_u32_e32 8, v5
; %bb.710:                              ;   in Loop: Header=BB292_10 Depth=1
	s_delay_alu instid0(VALU_DEP_2) | instskip(NEXT) | instid1(VALU_DEP_1)
	v_clz_i32_u32_e32 v1, v1
	v_min_u32_e32 v1, 32, v1
	s_delay_alu instid0(VALU_DEP_1) | instskip(NEXT) | instid1(VALU_DEP_1)
	v_subrev_nc_u32_e32 v4, 28, v1
	v_lshlrev_b64_e32 v[16:17], v4, v[24:25]
	s_delay_alu instid0(VALU_DEP_1)
	v_dual_sub_nc_u32 v4, 29, v1 :: v_dual_bitop2_b32 v1, 7, v16 bitop3:0x40
; %bb.711:                              ;   in Loop: Header=BB292_10 Depth=1
	s_or_b32 exec_lo, exec_lo, s18
	s_delay_alu instid0(VALU_DEP_1) | instskip(NEXT) | instid1(VALU_DEP_2)
	v_dual_lshlrev_b32 v5, 8, v24 :: v_dual_lshlrev_b32 v1, 23, v1
	v_lshl_add_u32 v4, v4, 10, 0x2000
	s_delay_alu instid0(VALU_DEP_1) | instskip(NEXT) | instid1(VALU_DEP_1)
	v_and_or_b32 v4, 0x8000, v5, v4
	v_lshl_or_b32 v17, v4, 16, v1
.LBB292_712:                            ;   in Loop: Header=BB292_10 Depth=1
	s_or_b32 exec_lo, exec_lo, s17
.LBB292_713:                            ;   in Loop: Header=BB292_10 Depth=1
	s_delay_alu instid0(SALU_CYCLE_1)
	s_or_b32 exec_lo, exec_lo, s16
.LBB292_714:                            ;   in Loop: Header=BB292_10 Depth=1
	s_delay_alu instid0(SALU_CYCLE_1)
	s_or_b32 exec_lo, exec_lo, s15
	flat_load_b64 v[2:3], v[2:3] offset:2568
	s_mov_b32 s15, exec_lo
	s_wait_loadcnt_dscnt 0x0
	v_and_b32_e32 v1, 0xff, v2
	s_wait_xcnt 0x0
	s_delay_alu instid0(VALU_DEP_1)
	v_cmpx_ne_u16_e32 0, v1
	s_cbranch_execz .LBB292_722
; %bb.715:                              ;   in Loop: Header=BB292_10 Depth=1
	v_mov_b32_e32 v8, 0x8000
	s_mov_b32 s16, exec_lo
	v_cmpx_ne_u16_e32 0x80, v1
	s_cbranch_execz .LBB292_721
; %bb.716:                              ;   in Loop: Header=BB292_10 Depth=1
	v_and_b32_e32 v5, 0x7f, v2
	v_mov_b32_e32 v8, 0x7c01
	s_mov_b32 s17, exec_lo
	s_delay_alu instid0(VALU_DEP_2)
	v_cmpx_ne_u32_e32 0x7f, v5
	s_cbranch_execz .LBB292_720
; %bb.717:                              ;   in Loop: Header=BB292_10 Depth=1
	v_dual_lshrrev_b32 v4, 3, v5 :: v_dual_bitop2_b32 v1, 7, v2 bitop3:0x40
	s_mov_b32 s18, exec_lo
	v_cmpx_gt_u32_e32 8, v5
; %bb.718:                              ;   in Loop: Header=BB292_10 Depth=1
	s_delay_alu instid0(VALU_DEP_2) | instskip(NEXT) | instid1(VALU_DEP_1)
	v_clz_i32_u32_e32 v1, v1
	v_min_u32_e32 v1, 32, v1
	s_delay_alu instid0(VALU_DEP_1) | instskip(NEXT) | instid1(VALU_DEP_1)
	v_subrev_nc_u32_e32 v4, 28, v1
	v_lshlrev_b64_e32 v[38:39], v4, v[2:3]
	s_delay_alu instid0(VALU_DEP_1)
	v_dual_sub_nc_u32 v4, 29, v1 :: v_dual_bitop2_b32 v1, 7, v38 bitop3:0x40
; %bb.719:                              ;   in Loop: Header=BB292_10 Depth=1
	s_or_b32 exec_lo, exec_lo, s18
	s_delay_alu instid0(VALU_DEP_1) | instskip(NEXT) | instid1(VALU_DEP_2)
	v_dual_lshlrev_b32 v5, 8, v2 :: v_dual_lshlrev_b32 v1, 7, v1
	v_lshl_add_u32 v4, v4, 10, 0x2000
	s_delay_alu instid0(VALU_DEP_2) | instskip(NEXT) | instid1(VALU_DEP_2)
	v_and_b32_e32 v5, 0x8000, v5
	v_and_b32_e32 v4, 0xfc00, v4
	s_delay_alu instid0(VALU_DEP_1)
	v_or3_b32 v8, v5, v4, v1
.LBB292_720:                            ;   in Loop: Header=BB292_10 Depth=1
	s_or_b32 exec_lo, exec_lo, s17
.LBB292_721:                            ;   in Loop: Header=BB292_10 Depth=1
	s_delay_alu instid0(SALU_CYCLE_1)
	s_or_b32 exec_lo, exec_lo, s16
.LBB292_722:                            ;   in Loop: Header=BB292_10 Depth=1
	s_delay_alu instid0(SALU_CYCLE_1) | instskip(SKIP_3) | instid1(VALU_DEP_2)
	s_or_b32 exec_lo, exec_lo, s15
	v_lshrrev_b16 v24, 8, v2
	v_dual_mov_b32 v56, 0 :: v_dual_mov_b32 v16, 0
	s_mov_b32 s15, exec_lo
	v_cmpx_ne_u16_e32 0, v24
	s_cbranch_execz .LBB292_730
; %bb.723:                              ;   in Loop: Header=BB292_10 Depth=1
	v_bfrev_b32_e32 v16, 1
	s_mov_b32 s16, exec_lo
	v_cmpx_ne_u16_e32 0x80, v24
	s_cbranch_execz .LBB292_729
; %bb.724:                              ;   in Loop: Header=BB292_10 Depth=1
	v_and_b32_e32 v1, 0xffff, v24
	v_mov_b32_e32 v16, 0x7c010000
	s_mov_b32 s17, exec_lo
	s_delay_alu instid0(VALU_DEP_2) | instskip(NEXT) | instid1(VALU_DEP_1)
	v_and_b32_e32 v7, 0x7f, v1
	v_cmpx_ne_u32_e32 0x7f, v7
	s_cbranch_execz .LBB292_728
; %bb.725:                              ;   in Loop: Header=BB292_10 Depth=1
	v_dual_lshrrev_b32 v5, 3, v7 :: v_dual_bitop2_b32 v4, 7, v1 bitop3:0x40
	s_mov_b32 s18, exec_lo
	v_cmpx_gt_u32_e32 8, v7
; %bb.726:                              ;   in Loop: Header=BB292_10 Depth=1
	s_delay_alu instid0(VALU_DEP_2) | instskip(NEXT) | instid1(VALU_DEP_1)
	v_clz_i32_u32_e32 v4, v4
	v_min_u32_e32 v7, 32, v4
	s_delay_alu instid0(VALU_DEP_1) | instskip(NEXT) | instid1(VALU_DEP_1)
	v_subrev_nc_u32_e32 v4, 28, v7
	v_lshlrev_b64_e32 v[4:5], v4, v[24:25]
	s_delay_alu instid0(VALU_DEP_1)
	v_dual_sub_nc_u32 v5, 29, v7 :: v_dual_bitop2_b32 v4, 7, v4 bitop3:0x40
; %bb.727:                              ;   in Loop: Header=BB292_10 Depth=1
	s_or_b32 exec_lo, exec_lo, s18
	s_delay_alu instid0(VALU_DEP_1) | instskip(NEXT) | instid1(VALU_DEP_2)
	v_dual_lshlrev_b32 v1, 8, v1 :: v_dual_lshlrev_b32 v4, 23, v4
	v_lshl_add_u32 v5, v5, 10, 0x2000
	s_delay_alu instid0(VALU_DEP_1) | instskip(NEXT) | instid1(VALU_DEP_1)
	v_and_or_b32 v1, 0x8000, v1, v5
	v_lshl_or_b32 v16, v1, 16, v4
.LBB292_728:                            ;   in Loop: Header=BB292_10 Depth=1
	s_or_b32 exec_lo, exec_lo, s17
.LBB292_729:                            ;   in Loop: Header=BB292_10 Depth=1
	s_delay_alu instid0(SALU_CYCLE_1)
	s_or_b32 exec_lo, exec_lo, s16
.LBB292_730:                            ;   in Loop: Header=BB292_10 Depth=1
	s_delay_alu instid0(SALU_CYCLE_1) | instskip(SKIP_2) | instid1(VALU_DEP_1)
	s_or_b32 exec_lo, exec_lo, s15
	v_lshrrev_b32_e32 v4, 16, v2
	s_mov_b32 s15, exec_lo
	v_and_b32_e32 v1, 0xff, v4
	s_delay_alu instid0(VALU_DEP_1)
	v_cmpx_ne_u16_e32 0, v1
	s_cbranch_execz .LBB292_738
; %bb.731:                              ;   in Loop: Header=BB292_10 Depth=1
	v_mov_b32_e32 v56, 0x8000
	s_mov_b32 s16, exec_lo
	v_cmpx_ne_u16_e32 0x80, v1
	s_cbranch_execz .LBB292_737
; %bb.732:                              ;   in Loop: Header=BB292_10 Depth=1
	v_bfe_u32 v7, v2, 16, 7
	v_mov_b32_e32 v56, 0x7c01
	s_mov_b32 s17, exec_lo
	s_delay_alu instid0(VALU_DEP_2)
	v_cmpx_ne_u32_e32 0x7f, v7
	s_cbranch_execz .LBB292_736
; %bb.733:                              ;   in Loop: Header=BB292_10 Depth=1
	v_dual_lshrrev_b32 v5, 3, v7 :: v_dual_bitop2_b32 v1, 7, v4 bitop3:0x40
	s_mov_b32 s18, exec_lo
	v_cmpx_gt_u32_e32 8, v7
; %bb.734:                              ;   in Loop: Header=BB292_10 Depth=1
	s_delay_alu instid0(VALU_DEP_2) | instskip(NEXT) | instid1(VALU_DEP_1)
	v_clz_i32_u32_e32 v1, v1
	v_min_u32_e32 v1, 32, v1
	s_delay_alu instid0(VALU_DEP_1) | instskip(NEXT) | instid1(VALU_DEP_1)
	v_subrev_nc_u32_e32 v5, 28, v1
	v_lshlrev_b64_e32 v[38:39], v5, v[4:5]
	s_delay_alu instid0(VALU_DEP_1)
	v_dual_sub_nc_u32 v5, 29, v1 :: v_dual_bitop2_b32 v1, 7, v38 bitop3:0x40
; %bb.735:                              ;   in Loop: Header=BB292_10 Depth=1
	s_or_b32 exec_lo, exec_lo, s18
	s_delay_alu instid0(VALU_DEP_1) | instskip(NEXT) | instid1(VALU_DEP_2)
	v_dual_lshlrev_b32 v4, 8, v4 :: v_dual_lshlrev_b32 v1, 7, v1
	v_lshl_add_u32 v5, v5, 10, 0x2000
	s_delay_alu instid0(VALU_DEP_2) | instskip(NEXT) | instid1(VALU_DEP_2)
	v_and_b32_e32 v4, 0x8000, v4
	v_and_b32_e32 v5, 0xfc00, v5
	s_delay_alu instid0(VALU_DEP_1)
	v_or3_b32 v56, v4, v5, v1
.LBB292_736:                            ;   in Loop: Header=BB292_10 Depth=1
	s_or_b32 exec_lo, exec_lo, s17
.LBB292_737:                            ;   in Loop: Header=BB292_10 Depth=1
	s_delay_alu instid0(SALU_CYCLE_1)
	s_or_b32 exec_lo, exec_lo, s16
.LBB292_738:                            ;   in Loop: Header=BB292_10 Depth=1
	s_delay_alu instid0(SALU_CYCLE_1)
	s_or_b32 exec_lo, exec_lo, s15
	v_dual_mov_b32 v13, 0 :: v_dual_mov_b32 v19, 0
	s_mov_b32 s15, exec_lo
	v_cmpx_lt_u32_e32 0xffffff, v2
	s_cbranch_execz .LBB292_746
; %bb.739:                              ;   in Loop: Header=BB292_10 Depth=1
	v_lshrrev_b32_e32 v24, 24, v2
	v_bfrev_b32_e32 v19, 1
	s_mov_b32 s16, exec_lo
	s_delay_alu instid0(VALU_DEP_2)
	v_cmpx_ne_u32_e32 0x80, v24
	s_cbranch_execz .LBB292_745
; %bb.740:                              ;   in Loop: Header=BB292_10 Depth=1
	v_and_b32_e32 v5, 0x7f, v24
	v_mov_b32_e32 v19, 0x7c010000
	s_mov_b32 s17, exec_lo
	s_delay_alu instid0(VALU_DEP_2)
	v_cmpx_ne_u32_e32 0x7f, v5
	s_cbranch_execz .LBB292_744
; %bb.741:                              ;   in Loop: Header=BB292_10 Depth=1
	v_dual_lshrrev_b32 v4, 3, v5 :: v_dual_bitop2_b32 v1, 7, v24 bitop3:0x40
	s_mov_b32 s18, exec_lo
	v_cmpx_gt_u32_e32 8, v5
; %bb.742:                              ;   in Loop: Header=BB292_10 Depth=1
	s_delay_alu instid0(VALU_DEP_2) | instskip(NEXT) | instid1(VALU_DEP_1)
	v_clz_i32_u32_e32 v1, v1
	v_min_u32_e32 v1, 32, v1
	s_delay_alu instid0(VALU_DEP_1) | instskip(NEXT) | instid1(VALU_DEP_1)
	v_subrev_nc_u32_e32 v4, 28, v1
	v_lshlrev_b64_e32 v[38:39], v4, v[24:25]
	s_delay_alu instid0(VALU_DEP_1)
	v_dual_sub_nc_u32 v4, 29, v1 :: v_dual_bitop2_b32 v1, 7, v38 bitop3:0x40
; %bb.743:                              ;   in Loop: Header=BB292_10 Depth=1
	s_or_b32 exec_lo, exec_lo, s18
	s_delay_alu instid0(VALU_DEP_1) | instskip(NEXT) | instid1(VALU_DEP_2)
	v_dual_lshlrev_b32 v5, 8, v24 :: v_dual_lshlrev_b32 v1, 23, v1
	v_lshl_add_u32 v4, v4, 10, 0x2000
	s_delay_alu instid0(VALU_DEP_1) | instskip(NEXT) | instid1(VALU_DEP_1)
	v_and_or_b32 v4, 0x8000, v5, v4
	v_lshl_or_b32 v19, v4, 16, v1
.LBB292_744:                            ;   in Loop: Header=BB292_10 Depth=1
	s_or_b32 exec_lo, exec_lo, s17
.LBB292_745:                            ;   in Loop: Header=BB292_10 Depth=1
	s_delay_alu instid0(SALU_CYCLE_1)
	s_or_b32 exec_lo, exec_lo, s16
.LBB292_746:                            ;   in Loop: Header=BB292_10 Depth=1
	s_delay_alu instid0(SALU_CYCLE_1) | instskip(SKIP_3) | instid1(VALU_DEP_2)
	s_or_b32 exec_lo, exec_lo, s15
	v_and_b32_e32 v1, 0xff, v3
	v_mov_b32_e32 v24, v3
	s_mov_b32 s15, exec_lo
	v_cmpx_ne_u16_e32 0, v1
	s_cbranch_execz .LBB292_754
; %bb.747:                              ;   in Loop: Header=BB292_10 Depth=1
	v_mov_b32_e32 v13, 0x8000
	s_mov_b32 s16, exec_lo
	v_cmpx_ne_u16_e32 0x80, v1
	s_cbranch_execz .LBB292_753
; %bb.748:                              ;   in Loop: Header=BB292_10 Depth=1
	v_and_b32_e32 v5, 0x7f, v3
	v_mov_b32_e32 v13, 0x7c01
	s_mov_b32 s17, exec_lo
	s_delay_alu instid0(VALU_DEP_2)
	v_cmpx_ne_u32_e32 0x7f, v5
	s_cbranch_execz .LBB292_752
; %bb.749:                              ;   in Loop: Header=BB292_10 Depth=1
	v_dual_lshrrev_b32 v4, 3, v5 :: v_dual_bitop2_b32 v1, 7, v3 bitop3:0x40
	s_mov_b32 s18, exec_lo
	v_cmpx_gt_u32_e32 8, v5
; %bb.750:                              ;   in Loop: Header=BB292_10 Depth=1
	s_delay_alu instid0(VALU_DEP_2) | instskip(NEXT) | instid1(VALU_DEP_1)
	v_clz_i32_u32_e32 v1, v1
	v_min_u32_e32 v1, 32, v1
	s_delay_alu instid0(VALU_DEP_1) | instskip(NEXT) | instid1(VALU_DEP_1)
	v_subrev_nc_u32_e32 v4, 28, v1
	v_lshlrev_b64_e32 v[38:39], v4, v[24:25]
	s_delay_alu instid0(VALU_DEP_1)
	v_dual_sub_nc_u32 v4, 29, v1 :: v_dual_bitop2_b32 v1, 7, v38 bitop3:0x40
; %bb.751:                              ;   in Loop: Header=BB292_10 Depth=1
	s_or_b32 exec_lo, exec_lo, s18
	s_delay_alu instid0(VALU_DEP_1) | instskip(NEXT) | instid1(VALU_DEP_2)
	v_dual_lshlrev_b32 v5, 8, v3 :: v_dual_lshlrev_b32 v1, 7, v1
	v_lshl_add_u32 v4, v4, 10, 0x2000
	s_delay_alu instid0(VALU_DEP_2) | instskip(NEXT) | instid1(VALU_DEP_2)
	v_and_b32_e32 v5, 0x8000, v5
	v_and_b32_e32 v4, 0xfc00, v4
	s_delay_alu instid0(VALU_DEP_1)
	v_or3_b32 v13, v5, v4, v1
.LBB292_752:                            ;   in Loop: Header=BB292_10 Depth=1
	s_or_b32 exec_lo, exec_lo, s17
.LBB292_753:                            ;   in Loop: Header=BB292_10 Depth=1
	s_delay_alu instid0(SALU_CYCLE_1)
	s_or_b32 exec_lo, exec_lo, s16
.LBB292_754:                            ;   in Loop: Header=BB292_10 Depth=1
	s_delay_alu instid0(SALU_CYCLE_1) | instskip(SKIP_3) | instid1(VALU_DEP_2)
	s_or_b32 exec_lo, exec_lo, s15
	v_lshrrev_b16 v24, 8, v24
	v_dual_mov_b32 v7, 0 :: v_dual_mov_b32 v1, 0
	s_mov_b32 s15, exec_lo
	v_cmpx_ne_u16_e32 0, v24
	s_cbranch_execz .LBB292_762
; %bb.755:                              ;   in Loop: Header=BB292_10 Depth=1
	v_bfrev_b32_e32 v1, 1
	s_mov_b32 s16, exec_lo
	v_cmpx_ne_u16_e32 0x80, v24
	s_cbranch_execz .LBB292_761
; %bb.756:                              ;   in Loop: Header=BB292_10 Depth=1
	v_and_b32_e32 v4, 0xffff, v24
	v_mov_b32_e32 v1, 0x7c010000
	s_mov_b32 s17, exec_lo
	s_delay_alu instid0(VALU_DEP_2) | instskip(NEXT) | instid1(VALU_DEP_1)
	v_and_b32_e32 v29, 0x7f, v4
	v_cmpx_ne_u32_e32 0x7f, v29
	s_cbranch_execz .LBB292_760
; %bb.757:                              ;   in Loop: Header=BB292_10 Depth=1
	v_dual_lshrrev_b32 v5, 3, v29 :: v_dual_bitop2_b32 v1, 7, v4 bitop3:0x40
	s_mov_b32 s18, exec_lo
	v_cmpx_gt_u32_e32 8, v29
; %bb.758:                              ;   in Loop: Header=BB292_10 Depth=1
	s_delay_alu instid0(VALU_DEP_2) | instskip(NEXT) | instid1(VALU_DEP_1)
	v_clz_i32_u32_e32 v1, v1
	v_min_u32_e32 v1, 32, v1
	s_delay_alu instid0(VALU_DEP_1) | instskip(NEXT) | instid1(VALU_DEP_1)
	v_subrev_nc_u32_e32 v5, 28, v1
	v_lshlrev_b64_e32 v[38:39], v5, v[24:25]
	s_delay_alu instid0(VALU_DEP_1)
	v_dual_sub_nc_u32 v5, 29, v1 :: v_dual_bitop2_b32 v1, 7, v38 bitop3:0x40
; %bb.759:                              ;   in Loop: Header=BB292_10 Depth=1
	s_or_b32 exec_lo, exec_lo, s18
	s_delay_alu instid0(VALU_DEP_1) | instskip(NEXT) | instid1(VALU_DEP_2)
	v_dual_lshlrev_b32 v4, 8, v4 :: v_dual_lshlrev_b32 v1, 23, v1
	v_lshl_add_u32 v5, v5, 10, 0x2000
	s_delay_alu instid0(VALU_DEP_1) | instskip(NEXT) | instid1(VALU_DEP_1)
	v_and_or_b32 v4, 0x8000, v4, v5
	v_lshl_or_b32 v1, v4, 16, v1
.LBB292_760:                            ;   in Loop: Header=BB292_10 Depth=1
	s_or_b32 exec_lo, exec_lo, s17
.LBB292_761:                            ;   in Loop: Header=BB292_10 Depth=1
	s_delay_alu instid0(SALU_CYCLE_1)
	s_or_b32 exec_lo, exec_lo, s16
.LBB292_762:                            ;   in Loop: Header=BB292_10 Depth=1
	s_delay_alu instid0(SALU_CYCLE_1) | instskip(SKIP_2) | instid1(VALU_DEP_1)
	s_or_b32 exec_lo, exec_lo, s15
	v_lshrrev_b32_e32 v4, 16, v3
	s_mov_b32 s15, exec_lo
	v_and_b32_e32 v5, 0xff, v4
	s_delay_alu instid0(VALU_DEP_1)
	v_cmpx_ne_u16_e32 0, v5
	s_cbranch_execz .LBB292_770
; %bb.763:                              ;   in Loop: Header=BB292_10 Depth=1
	v_mov_b32_e32 v7, 0x8000
	s_mov_b32 s16, exec_lo
	v_cmpx_ne_u16_e32 0x80, v5
	s_cbranch_execz .LBB292_769
; %bb.764:                              ;   in Loop: Header=BB292_10 Depth=1
	v_bfe_u32 v24, v3, 16, 7
	v_mov_b32_e32 v7, 0x7c01
	s_mov_b32 s17, exec_lo
	s_delay_alu instid0(VALU_DEP_2)
	v_cmpx_ne_u32_e32 0x7f, v24
	s_cbranch_execz .LBB292_768
; %bb.765:                              ;   in Loop: Header=BB292_10 Depth=1
	v_and_b32_e32 v5, 7, v4
	v_lshrrev_b32_e32 v7, 3, v24
	s_mov_b32 s18, exec_lo
	v_cmpx_gt_u32_e32 8, v24
; %bb.766:                              ;   in Loop: Header=BB292_10 Depth=1
	s_delay_alu instid0(VALU_DEP_3) | instskip(NEXT) | instid1(VALU_DEP_1)
	v_clz_i32_u32_e32 v5, v5
	v_min_u32_e32 v5, 32, v5
	s_delay_alu instid0(VALU_DEP_1) | instskip(NEXT) | instid1(VALU_DEP_1)
	v_subrev_nc_u32_e32 v7, 28, v5
	v_lshlrev_b64_e32 v[38:39], v7, v[4:5]
	s_delay_alu instid0(VALU_DEP_1)
	v_dual_sub_nc_u32 v7, 29, v5 :: v_dual_bitop2_b32 v5, 7, v38 bitop3:0x40
; %bb.767:                              ;   in Loop: Header=BB292_10 Depth=1
	s_or_b32 exec_lo, exec_lo, s18
	s_delay_alu instid0(VALU_DEP_1) | instskip(NEXT) | instid1(VALU_DEP_2)
	v_dual_lshlrev_b32 v4, 8, v4 :: v_dual_lshlrev_b32 v5, 7, v5
	v_lshl_add_u32 v7, v7, 10, 0x2000
	s_delay_alu instid0(VALU_DEP_2) | instskip(NEXT) | instid1(VALU_DEP_2)
	v_and_b32_e32 v4, 0x8000, v4
	v_and_b32_e32 v7, 0xfc00, v7
	s_delay_alu instid0(VALU_DEP_1)
	v_or3_b32 v7, v4, v7, v5
.LBB292_768:                            ;   in Loop: Header=BB292_10 Depth=1
	s_or_b32 exec_lo, exec_lo, s17
.LBB292_769:                            ;   in Loop: Header=BB292_10 Depth=1
	s_delay_alu instid0(SALU_CYCLE_1)
	s_or_b32 exec_lo, exec_lo, s16
.LBB292_770:                            ;   in Loop: Header=BB292_10 Depth=1
	s_delay_alu instid0(SALU_CYCLE_1)
	s_or_b32 exec_lo, exec_lo, s15
	s_clause 0x9
	scratch_store_b32 off, v56, s32 offset:256
	scratch_store_b32 off, v8, s32 offset:252
	;; [unrolled: 1-line block ×10, first 2 shown]
	s_wait_xcnt 0x0
	v_dual_mov_b32 v28, v119 :: v_dual_mov_b32 v8, v118
	v_dual_mov_b32 v11, v114 :: v_dual_mov_b32 v9, v99
	;; [unrolled: 1-line block ×3, first 2 shown]
	v_mov_b32_e32 v29, 0
	scratch_store_b32 off, v23, s32 offset:208 ; 4-byte Folded Spill
	v_cmp_lt_u64_e64 s1, s[2:3], v[2:3]
	s_wait_xcnt 0x0
	s_mov_b32 s15, exec_lo
	v_dual_mov_b32 v27, v48 :: v_dual_mov_b32 v12, v49
	v_mov_b32_e32 v26, v50
	s_and_b32 s1, s15, s1
	s_delay_alu instid0(SALU_CYCLE_1)
	s_mov_b32 exec_lo, s1
	s_cbranch_execz .LBB292_9
; %bb.771:                              ;   in Loop: Header=BB292_10 Depth=1
	v_lshrrev_b32_e32 v24, 24, v3
	v_bfrev_b32_e32 v29, 1
	s_mov_b32 s16, exec_lo
	s_delay_alu instid0(VALU_DEP_2)
	v_cmpx_ne_u32_e32 0x80, v24
	s_cbranch_execz .LBB292_8
; %bb.772:                              ;   in Loop: Header=BB292_10 Depth=1
	v_and_b32_e32 v4, 0x7f, v24
	v_mov_b32_e32 v29, 0x7c010000
	s_mov_b32 s17, exec_lo
	s_delay_alu instid0(VALU_DEP_2)
	v_cmpx_ne_u32_e32 0x7f, v4
	s_cbranch_execz .LBB292_7
; %bb.773:                              ;   in Loop: Header=BB292_10 Depth=1
	v_and_b32_e32 v2, 7, v24
	v_lshrrev_b32_e32 v3, 3, v4
	s_mov_b32 s18, exec_lo
	v_cmpx_gt_u32_e32 8, v4
	s_cbranch_execz .LBB292_6
; %bb.774:                              ;   in Loop: Header=BB292_10 Depth=1
	v_clz_i32_u32_e32 v2, v2
	s_delay_alu instid0(VALU_DEP_1) | instskip(NEXT) | instid1(VALU_DEP_1)
	v_min_u32_e32 v4, 32, v2
	v_subrev_nc_u32_e32 v2, 28, v4
	s_delay_alu instid0(VALU_DEP_1) | instskip(NEXT) | instid1(VALU_DEP_1)
	v_lshlrev_b64_e32 v[2:3], v2, v[24:25]
	v_dual_sub_nc_u32 v3, 29, v4 :: v_dual_bitop2_b32 v2, 7, v2 bitop3:0x40
	s_branch .LBB292_6
.LBB292_775:
	s_or_b32 exec_lo, exec_lo, s7
	s_clause 0x1
	scratch_load_b32 v13, off, s32 offset:304
	scratch_load_b32 v10, off, s32 offset:352
.LBB292_776:
	s_wait_xcnt 0x0
	s_or_b32 exec_lo, exec_lo, s14
	v_mbcnt_lo_u32_b32 v0, -1, 0
	s_delay_alu instid0(VALU_DEP_1) | instskip(SKIP_1) | instid1(VALU_DEP_2)
	v_dual_max_num_f32 v4, v23, v23 :: v_dual_bitop2_b32 v1, 16, v0 bitop3:0x14
	v_xor_b32_e32 v3, 8, v0
	v_cmp_gt_i32_e32 vcc_lo, 32, v1
	v_cndmask_b32_e32 v1, v0, v1, vcc_lo
	s_delay_alu instid0(VALU_DEP_3) | instskip(NEXT) | instid1(VALU_DEP_2)
	v_cmp_gt_i32_e32 vcc_lo, 32, v3
	v_dual_lshlrev_b32 v1, 2, v1 :: v_dual_cndmask_b32 v3, v0, v3, vcc_lo
	ds_bpermute_b32 v2, v1, v23
	s_wait_dscnt 0x0
	v_dual_max_num_f32 v5, v2, v2 :: v_dual_lshlrev_b32 v2, 2, v3
	s_delay_alu instid0(VALU_DEP_1) | instskip(SKIP_4) | instid1(VALU_DEP_1)
	v_dual_max_num_f32 v4, v4, v5 :: v_dual_bitop2_b32 v5, 4, v0 bitop3:0x14
	ds_bpermute_b32 v3, v2, v4
	v_cmp_gt_i32_e32 vcc_lo, 32, v5
	s_wait_dscnt 0x0
	v_dual_cndmask_b32 v5, v0, v5 :: v_dual_max_num_f32 v6, v3, v3
	v_dual_max_num_f32 v4, v4, v6 :: v_dual_lshlrev_b32 v3, 2, v5
	ds_bpermute_b32 v5, v3, v4
	s_wait_dscnt 0x0
	v_dual_max_num_f32 v5, v5, v5 :: v_dual_bitop2_b32 v6, 2, v0 bitop3:0x14
	s_delay_alu instid0(VALU_DEP_1) | instskip(NEXT) | instid1(VALU_DEP_2)
	v_cmp_gt_i32_e32 vcc_lo, 32, v6
	v_max_num_f32_e32 v4, v4, v5
	v_cndmask_b32_e32 v6, v0, v6, vcc_lo
	s_delay_alu instid0(VALU_DEP_1) | instskip(SKIP_3) | instid1(VALU_DEP_1)
	v_lshlrev_b32_e32 v38, 2, v6
	ds_bpermute_b32 v5, v38, v4
	s_wait_dscnt 0x0
	v_dual_max_num_f32 v5, v5, v5 :: v_dual_bitop2_b32 v6, 1, v0 bitop3:0x14
	v_cmp_gt_i32_e32 vcc_lo, 32, v6
	v_cndmask_b32_e32 v6, v0, v6, vcc_lo
	s_delay_alu instid0(VALU_DEP_3)
	v_max_num_f32_e32 v0, v4, v5
	scratch_load_b32 v4, off, s32 offset:296 ; 4-byte Folded Reload
	s_wait_loadcnt 0x0
	v_cmp_eq_u32_e32 vcc_lo, 0, v4
	scratch_load_b32 v4, off, s32 offset:300 ; 4-byte Folded Reload
	s_wait_loadcnt 0x0
	v_dual_lshlrev_b32 v4, 2, v4 :: v_dual_lshlrev_b32 v17, 2, v6
	ds_bpermute_b32 v5, v17, v0
	s_wait_xcnt 0x0
	s_and_saveexec_b32 s1, vcc_lo
	s_cbranch_execz .LBB292_778
; %bb.777:
	s_wait_dscnt 0x0
	v_dual_max_num_f32 v5, v5, v5 :: v_dual_max_num_f32 v0, v0, v0
	s_delay_alu instid0(VALU_DEP_1)
	v_max_num_f32_e32 v0, v0, v5
	ds_store_b32 v4, v0 offset:192
.LBB292_778:
	s_or_b32 exec_lo, exec_lo, s1
	scratch_load_b32 v0, off, s32 offset:296 ; 4-byte Folded Reload
	s_wait_storecnt 0x0
	s_wait_loadcnt_dscnt 0x0
	s_barrier_signal -1
	s_barrier_wait -1
	v_cmp_gt_u32_e64 s1, 4, v0
	v_mov_b32_e32 v0, 0xff7fffff
	s_and_saveexec_b32 s2, s1
; %bb.779:
	ds_load_b32 v0, v10 offset:192
; %bb.780:
	s_or_b32 exec_lo, exec_lo, s2
	s_wait_dscnt 0x0
	ds_bpermute_b32 v5, v38, v0
	s_wait_dscnt 0x0
	v_dual_max_num_f32 v0, v0, v0 :: v_dual_max_num_f32 v5, v5, v5
	s_delay_alu instid0(VALU_DEP_1) | instskip(SKIP_3) | instid1(VALU_DEP_1)
	v_max_num_f32_e32 v0, v0, v5
	ds_bpermute_b32 v5, v17, v0
	s_wait_dscnt 0x0
	v_max_num_f32_e32 v5, v5, v5
	v_dual_max_num_f32 v0, v0, v5 :: v_dual_mov_b32 v5, 0
	ds_bpermute_b32 v6, v5, v0
	v_lshlrev_b32_e32 v0, 5, v115
	s_delay_alu instid0(VALU_DEP_1) | instskip(NEXT) | instid1(VALU_DEP_1)
	v_min_i32_e32 v0, v0, v116
	v_cmp_lt_i32_e64 s2, v13, v0
	s_and_saveexec_b32 s14, s2
	s_cbranch_execz .LBB292_784
; %bb.781:
	s_ashr_i32 s7, s6, 31
	v_dual_mov_b32 v5, 0 :: v_dual_mov_b32 v8, v13
	s_lshl_b64 s[16:17], s[6:7], 2
	s_mov_b32 s7, 0
	s_add_nc_u64 s[16:17], s[8:9], s[16:17]
	s_load_b32 s3, s[16:17], 0x0
	s_wait_kmcnt 0x0
	v_lshl_add_u32 v7, v13, 2, s3
.LBB292_782:                            ; =>This Inner Loop Header: Depth=1
	ds_load_b32 v9, v7
	v_add_nc_u32_e32 v8, 0x80, v8
	s_delay_alu instid0(VALU_DEP_1) | instskip(SKIP_3) | instid1(VALU_DEP_1)
	v_cmp_ge_i32_e64 s3, v8, v0
	s_or_b32 s7, s3, s7
	s_wait_dscnt 0x0
	v_sub_f32_e32 v9, v9, v6
	v_mul_f32_e32 v9, 0x3fb8aa3b, v9
	s_delay_alu instid0(VALU_DEP_1)
	v_exp_f32_e32 v9, v9
	ds_store_b32 v7, v9
	v_nop
	v_add_f32_e32 v5, v5, v9
	v_add_nc_u32_e32 v7, 0x200, v7
	s_and_not1_b32 exec_lo, exec_lo, s7
	s_cbranch_execnz .LBB292_782
; %bb.783:
	s_or_b32 exec_lo, exec_lo, s7
.LBB292_784:
	s_delay_alu instid0(SALU_CYCLE_1)
	s_or_b32 exec_lo, exec_lo, s14
	ds_bpermute_b32 v1, v1, v5
	s_wait_dscnt 0x0
	v_add_f32_e32 v1, v5, v1
	ds_bpermute_b32 v2, v2, v1
	s_wait_dscnt 0x0
	v_add_f32_e32 v1, v1, v2
	;; [unrolled: 3-line block ×5, first 2 shown]
	s_and_saveexec_b32 s3, vcc_lo
; %bb.785:
	ds_store_b32 v4, v1 offset:208
; %bb.786:
	s_or_b32 exec_lo, exec_lo, s3
	s_wait_dscnt 0x0
	s_barrier_signal -1
	s_barrier_wait -1
	s_and_saveexec_b32 s3, s1
; %bb.787:
	ds_load_b32 v1, v10 offset:208
; %bb.788:
	s_or_b32 exec_lo, exec_lo, s3
	s_wait_dscnt 0x0
	ds_bpermute_b32 v2, v38, v1
	s_wait_dscnt 0x0
	v_add_f32_e32 v1, v1, v2
	ds_bpermute_b32 v2, v17, v1
	s_wait_dscnt 0x0
	v_dual_add_f32 v1, v1, v2 :: v_dual_mov_b32 v2, 0
	ds_bpermute_b32 v1, v2, v1
	s_and_saveexec_b32 s1, s2
	s_cbranch_execz .LBB292_801
; %bb.789:
	s_wait_dscnt 0x0
	v_add_f32_e32 v1, 0x358637bd, v1
	s_mov_b32 s3, -1
	s_mov_b32 s2, exec_lo
	s_delay_alu instid0(VALU_DEP_1) | instskip(NEXT) | instid1(VALU_DEP_1)
	v_div_scale_f32 v2, null, v1, v1, 1.0
	v_rcp_f32_e32 v4, v2
	v_nop
	s_delay_alu instid0(TRANS32_DEP_1) | instskip(NEXT) | instid1(VALU_DEP_1)
	v_fma_f32 v3, -v2, v4, 1.0
	v_fmac_f32_e32 v4, v3, v4
	v_div_scale_f32 v5, vcc_lo, 1.0, v1, 1.0
	s_delay_alu instid0(VALU_DEP_1) | instskip(NEXT) | instid1(VALU_DEP_1)
	v_mul_f32_e32 v6, v5, v4
	v_fma_f32 v3, -v2, v6, v5
	s_delay_alu instid0(VALU_DEP_1) | instskip(SKIP_1) | instid1(VALU_DEP_2)
	v_fmac_f32_e32 v6, v3, v4
	v_xad_u32 v3, v13, -1, v0
	v_fma_f32 v2, -v2, v6, v5
	s_delay_alu instid0(VALU_DEP_1) | instskip(NEXT) | instid1(VALU_DEP_1)
	v_div_fmas_f32 v2, v2, v4, v6
	v_div_fixup_f32 v2, v2, v1, 1.0
	v_mov_b32_e32 v1, v13
	v_cmpx_lt_u32_e32 0x7f, v3
	s_cbranch_execz .LBB292_798
; %bb.790:
	s_delay_alu instid0(VALU_DEP_3) | instskip(NEXT) | instid1(VALU_DEP_1)
	v_dual_lshrrev_b32 v1, 7, v3 :: v_dual_mov_b32 v3, v2
	v_dual_mov_b32 v7, 0 :: v_dual_add_nc_u32 v4, -1, v1
	s_delay_alu instid0(VALU_DEP_1) | instskip(SKIP_1) | instid1(VALU_DEP_2)
	v_lshrrev_b32_e32 v5, 1, v4
	v_cmp_lt_u32_e32 vcc_lo, 13, v4
	v_add_nc_u32_e32 v4, 1, v5
	s_and_saveexec_b32 s3, vcc_lo
	s_cbranch_execz .LBB292_794
; %bb.791:
	s_ashr_i32 s7, s6, 31
	s_delay_alu instid0(VALU_DEP_1) | instskip(SKIP_1) | instid1(SALU_CYCLE_1)
	v_and_b32_e32 v5, -8, v4
	s_lshl_b64 s[14:15], s[6:7], 2
	s_add_nc_u64 s[14:15], s[8:9], s[14:15]
	s_load_b32 s7, s[14:15], 0x0
	s_wait_xcnt 0x0
	s_mov_b32 s14, 0
	s_wait_kmcnt 0x0
	v_lshl_add_u32 v6, v13, 2, s7
	s_mov_b32 s7, 0
.LBB292_792:                            ; =>This Inner Loop Header: Depth=1
	ds_load_2addr_stride64_b32 v[8:9], v6 offset1:2
	ds_load_2addr_stride64_b32 v[10:11], v6 offset0:4 offset1:6
	ds_load_2addr_stride64_b32 v[14:15], v6 offset0:8 offset1:10
	;; [unrolled: 1-line block ×7, first 2 shown]
	s_add_co_i32 s14, s14, 16
	s_delay_alu instid0(SALU_CYCLE_1) | instskip(NEXT) | instid1(VALU_DEP_1)
	v_dual_add_nc_u32 v5, -8, v5 :: v_dual_mov_b32 v7, s14
	v_cmp_eq_u32_e32 vcc_lo, 0, v5
	s_or_b32 s7, vcc_lo, s7
	s_wait_dscnt 0x7
	v_pk_mul_f32 v[8:9], v[2:3], v[8:9]
	s_wait_dscnt 0x6
	v_pk_mul_f32 v[10:11], v[2:3], v[10:11]
	;; [unrolled: 2-line block ×8, first 2 shown]
	ds_store_2addr_stride64_b32 v6, v8, v9 offset1:2
	ds_store_2addr_stride64_b32 v6, v10, v11 offset0:4 offset1:6
	ds_store_2addr_stride64_b32 v6, v14, v15 offset0:8 offset1:10
	;; [unrolled: 1-line block ×7, first 2 shown]
	v_add_nc_u32_e32 v6, 0x2000, v6
	s_and_not1_b32 exec_lo, exec_lo, s7
	s_cbranch_execnz .LBB292_792
; %bb.793:
	s_or_b32 exec_lo, exec_lo, s7
	scratch_load_b32 v13, off, s32 offset:304 ; 4-byte Folded Reload
.LBB292_794:
	s_wait_xcnt 0x0
	s_or_b32 exec_lo, exec_lo, s3
	v_and_b32_e32 v4, 7, v4
	s_mov_b32 s14, 0
	s_mov_b32 s3, exec_lo
	s_delay_alu instid0(VALU_DEP_1)
	v_cmpx_ne_u32_e32 0, v4
	s_cbranch_execz .LBB292_797
; %bb.795:
	s_ashr_i32 s7, s6, 31
	s_wait_loadcnt 0x0
	v_dual_lshlrev_b32 v5, 9, v7 :: v_dual_lshlrev_b32 v6, 2, v13
	s_lshl_b64 s[16:17], s[6:7], 2
	s_delay_alu instid0(SALU_CYCLE_1)
	s_add_nc_u64 s[16:17], s[8:9], s[16:17]
	s_load_b32 s7, s[16:17], 0x0
	s_wait_kmcnt 0x0
	v_add3_u32 v5, v5, v6, s7
.LBB292_796:                            ; =>This Inner Loop Header: Depth=1
	ds_load_2addr_stride64_b32 v[6:7], v5 offset1:2
	v_add_nc_u32_e32 v4, -1, v4
	s_delay_alu instid0(VALU_DEP_1)
	v_cmp_eq_u32_e32 vcc_lo, 0, v4
	s_or_b32 s14, vcc_lo, s14
	s_wait_dscnt 0x0
	v_pk_mul_f32 v[6:7], v[2:3], v[6:7]
	ds_store_2addr_stride64_b32 v5, v6, v7 offset1:2
	v_add_nc_u32_e32 v5, 0x400, v5
	s_and_not1_b32 exec_lo, exec_lo, s14
	s_cbranch_execnz .LBB292_796
.LBB292_797:
	s_or_b32 exec_lo, exec_lo, s3
	v_add_nc_u32_e32 v1, 1, v1
	s_delay_alu instid0(VALU_DEP_1) | instskip(NEXT) | instid1(VALU_DEP_1)
	v_and_b32_e32 v3, 0x3fffffe, v1
	v_cmp_ne_u32_e32 vcc_lo, v1, v3
	s_wait_loadcnt 0x0
	v_lshl_add_u32 v1, v3, 7, v13
	s_or_not1_b32 s3, vcc_lo, exec_lo
.LBB292_798:
	s_or_b32 exec_lo, exec_lo, s2
	s_delay_alu instid0(SALU_CYCLE_1)
	s_and_b32 exec_lo, exec_lo, s3
	s_cbranch_execz .LBB292_801
; %bb.799:
	s_ashr_i32 s7, s6, 31
	s_delay_alu instid0(SALU_CYCLE_1) | instskip(NEXT) | instid1(SALU_CYCLE_1)
	s_lshl_b64 s[2:3], s[6:7], 2
	s_add_nc_u64 s[2:3], s[8:9], s[2:3]
	s_load_b32 s2, s[2:3], 0x0
	s_wait_kmcnt 0x0
	v_lshl_add_u32 v3, v1, 2, s2
	s_mov_b32 s2, 0
.LBB292_800:                            ; =>This Inner Loop Header: Depth=1
	ds_load_b32 v4, v3
	s_wait_dscnt 0x0
	v_dual_mul_f32 v4, v2, v4 :: v_dual_add_nc_u32 v1, 0x80, v1
	s_delay_alu instid0(VALU_DEP_1) | instskip(SKIP_3) | instid1(SALU_CYCLE_1)
	v_cmp_ge_i32_e32 vcc_lo, v1, v0
	ds_store_b32 v3, v4
	v_add_nc_u32_e32 v3, 0x200, v3
	s_or_b32 s2, vcc_lo, s2
	s_and_not1_b32 exec_lo, exec_lo, s2
	s_cbranch_execnz .LBB292_800
.LBB292_801:
	s_or_b32 exec_lo, exec_lo, s1
	s_wait_dscnt 0x0
	s_barrier_signal -1
	s_barrier_wait -1
	s_and_saveexec_b32 s1, s0
	s_delay_alu instid0(SALU_CYCLE_1)
	s_xor_b32 s0, exec_lo, s1
	s_cbranch_execz .LBB292_803
; %bb.802:
	s_ashr_i32 s7, s6, 31
                                        ; implicit-def: $vgpr0
	s_clause 0x1
	scratch_store_b64 off, v[0:1], s32 offset:200
	; meta instruction
	; meta instruction
	;; [unrolled: 1-line block ×9, first 2 shown]
	scratch_store_b64 off, v[0:1], s32 offset:308
                                        ; implicit-def: $vgpr116
                                        ; implicit-def: $vgpr115
                                        ; implicit-def: $vgpr0
                                        ; kill: killed $vgpr0
.LBB292_803:
	s_wait_xcnt 0x0
	s_or_saveexec_b32 s1, s0
	v_mov_b64_e32 v[14:15], s[6:7]
	v_dual_mov_b32 v3, 0 :: v_dual_bitop2_b32 v39, 3, v13 bitop3:0x40
	v_dual_mov_b32 v2, 0 :: v_dual_mov_b32 v5, 0
	v_dual_mov_b32 v4, 0 :: v_dual_mov_b32 v9, 0
	v_dual_mov_b32 v8, 0 :: v_dual_mov_b32 v21, 0
	v_dual_mov_b32 v20, 0 :: v_dual_mov_b32 v25, 0
	v_dual_mov_b32 v24, 0 :: v_dual_mov_b32 v27, 0
	v_mov_b32_e32 v26, 0
	s_xor_b32 exec_lo, exec_lo, s1
	s_cbranch_execz .LBB292_1599
; %bb.804:
	scratch_load_b32 v0, off, s32 offset:304 ; 4-byte Folded Reload
	v_dual_mov_b32 v7, 0 :: v_dual_mov_b32 v13, v116
	s_ashr_i32 s7, s6, 31
	v_lshlrev_b32_e32 v9, 5, v39
	s_lshl_b64 s[2:3], s[6:7], 2
	v_dual_mov_b32 v20, 0 :: v_dual_mov_b32 v25, 0
	s_add_nc_u64 s[2:3], s[8:9], s[2:3]
	v_dual_mov_b32 v24, 0 :: v_dual_mov_b32 v27, 0
	v_mov_b32_e32 v26, 0
	s_mov_b32 s14, 0
	v_dual_mov_b32 v5, 0 :: v_dual_add_nc_u32 v48, -1, v115
	s_wait_loadcnt 0x0
	v_dual_mov_b32 v21, 0 :: v_dual_lshlrev_b32 v8, 3, v0
	s_clause 0x2
	scratch_load_b64 v[0:1], off, s32 offset:344 th:TH_LOAD_LU
	scratch_load_b64 v[2:3], off, s32 offset:308 th:TH_LOAD_LU
	scratch_load_b32 v51, off, s32 offset:300
	v_mov_b32_e32 v4, 0
	s_load_b32 s0, s[2:3], 0x0
	v_and_b32_e32 v6, 0xf8, v8
	v_dual_mov_b32 v8, 0 :: v_dual_bitop2_b32 v10, 24, v8 bitop3:0x40
	s_wait_xcnt 0x0
	s_mov_b64 s[2:3], 0xffffffffffffff
	s_wait_loadcnt 0x1
	v_add_nc_u64_e32 v[0:1], v[0:1], v[2:3]
	s_wait_loadcnt 0x0
	v_lshl_or_b32 v49, v51, 5, v10
	scratch_load_b64 v[10:11], off, s32 offset:316 th:TH_LOAD_LU ; 8-byte Folded Reload
	v_dual_mov_b32 v3, 0 :: v_dual_mov_b32 v2, 0
	v_add_nc_u64_e32 v[36:37], v[0:1], v[6:7]
	scratch_load_b32 v0, off, s32 offset:332 th:TH_LOAD_LU ; 4-byte Folded Reload
	s_wait_loadcnt 0x0
	v_and_b32_e32 v6, 0x7c, v0
	scratch_load_b64 v[0:1], off, s32 offset:324 th:TH_LOAD_LU ; 8-byte Folded Reload
	s_wait_loadcnt 0x0
	v_lshl_add_u64 v[0:1], v[0:1], 2, v[6:7]
	v_lshl_or_b32 v6, v51, 7, v9
	v_mov_b32_e32 v9, 0
	s_delay_alu instid0(VALU_DEP_3) | instskip(SKIP_1) | instid1(VALU_DEP_3)
	v_add_nc_u64_e32 v[10:11], v[10:11], v[0:1]
	s_wait_kmcnt 0x0
	v_add_nc_u32_e32 v50, s0, v6
	s_branch .LBB292_806
.LBB292_805:                            ;   in Loop: Header=BB292_806 Depth=1
	s_or_b32 exec_lo, exec_lo, s0
	v_dual_add_f32 v14, v34, v35 :: v_dual_add_f32 v16, v113, v114
	v_add_f32_e32 v18, v103, v112
	v_add_nc_u64_e32 v[10:11], 16, v[10:11]
	v_add_nc_u32_e32 v50, 0x200, v50
	s_delay_alu instid0(VALU_DEP_4) | instskip(SKIP_4) | instid1(VALU_DEP_4)
	v_add_f32_e32 v2, v2, v14
	v_add_f32_e32 v14, v101, v102
	v_dual_add_f32 v5, v5, v16 :: v_dual_add_f32 v4, v4, v18
	v_dual_add_f32 v18, v97, v98 :: v_dual_add_f32 v19, v87, v96
	v_dual_add_f32 v16, v99, v100 :: v_dual_add_f32 v22, v85, v86
	v_add_f32_e32 v9, v9, v14
	;;#ASMSTART
	v_pk_mul_f16 v14, v70, v15;

	;;#ASMEND
	;;#ASMSTART
	v_pk_mul_f16 v6, v69, v6;

	;;#ASMEND
	;; [unrolled: 4-line block ×4, first 2 shown]
	;;#ASMSTART
	v_pk_add_f16 v6, v14, v6;

	;;#ASMEND
	;;#ASMSTART
	v_pk_add_f16 v1, v6, v1;

	;;#ASMEND
	;; [unrolled: 4-line block ×3, first 2 shown]
	v_and_b32_e32 v14, 0xffff, v0
	v_dual_add_f32 v1, v81, v82 :: v_dual_add_f32 v6, v71, v80
	v_dual_add_nc_u32 v51, 4, v51 :: v_dual_add_f32 v21, v21, v18
	v_lshrrev_b32_e32 v15, 16, v0
	;;#ASMSTART
	v_cvt_f32_f16 v14, v14;
	;;#ASMEND
	v_dual_add_f32 v8, v8, v16 :: v_dual_add_f32 v25, v25, v22
	v_add_f32_e32 v0, v83, v84
	;;#ASMSTART
	v_cvt_f32_f16 v15, v15;
	;;#ASMEND
	v_dual_add_f32 v14, v14, v15 :: v_dual_add_f32 v27, v27, v1
	v_cmp_ge_i32_e32 vcc_lo, v51, v115
	v_add_f32_e32 v20, v20, v19
	v_dual_add_f32 v24, v24, v0 :: v_dual_add_f32 v26, v26, v6
	v_add_nc_u32_e32 v49, 0x80, v49
	v_add_f32_e32 v3, v3, v14
	s_or_b32 s14, vcc_lo, s14
	s_delay_alu instid0(SALU_CYCLE_1)
	s_and_not1_b32 exec_lo, exec_lo, s14
	s_cbranch_execz .LBB292_1598
.LBB292_806:                            ; =>This Inner Loop Header: Depth=1
	flat_load_b32 v0, v[10:11]
	ds_load_2addr_b64 v[28:31], v50 offset1:1
	ds_load_2addr_b64 v[32:35], v50 offset0:2 offset1:3
	scratch_load_b64 v[14:15], off, s32 offset:200 ; 8-byte Folded Reload
	s_mov_b32 s0, exec_lo
	s_wait_dscnt 0x1
	;;#ASMSTART
	v_cvt_f16_f32 v69, v28;

	;;#ASMEND
	;;#ASMSTART
	v_cvt_f16_f32 v67, v29;

	;;#ASMEND
	;; [unrolled: 4-line block ×4, first 2 shown]
	s_wait_dscnt 0x0
	;;#ASMSTART
	v_cvt_f16_f32 v81, v32;

	;;#ASMEND
	;;#ASMSTART
	v_cvt_f16_f32 v71, v33;

	;;#ASMEND
	;; [unrolled: 4-line block ×4, first 2 shown]
	s_wait_loadcnt 0x0
	v_mad_nc_i64_i32 v[14:15], v0, v14, v[36:37]
	flat_load_b64 v[30:31], v[14:15]
	scratch_load_b64 v[0:1], off, s32 offset:192 ; 8-byte Folded Reload
	s_wait_loadcnt 0x0
	flat_load_b32 v28, v[0:1]
	s_wait_dscnt 0x1
	s_wait_xcnt 0x0
	v_and_b32_e32 v0, 0xff, v30
	v_mov_b32_e32 v1, 0
	s_delay_alu instid0(VALU_DEP_2)
	v_cmpx_ne_u16_e32 0, v0
	s_cbranch_execz .LBB292_814
; %bb.807:                              ;   in Loop: Header=BB292_806 Depth=1
	v_mov_b32_e32 v1, 0x8000
	s_mov_b32 s15, exec_lo
	v_cmpx_ne_u16_e32 0x80, v0
	s_cbranch_execz .LBB292_813
; %bb.808:                              ;   in Loop: Header=BB292_806 Depth=1
	v_and_b32_e32 v6, 0x7f, v30
	v_mov_b32_e32 v1, 0x7c01
	s_mov_b32 s16, exec_lo
	s_delay_alu instid0(VALU_DEP_2)
	v_cmpx_ne_u32_e32 0x7f, v6
	s_cbranch_execz .LBB292_812
; %bb.809:                              ;   in Loop: Header=BB292_806 Depth=1
	v_and_b32_e32 v0, 7, v30
	v_lshrrev_b32_e32 v1, 3, v6
	s_mov_b32 s17, exec_lo
	v_cmpx_gt_u32_e32 8, v6
; %bb.810:                              ;   in Loop: Header=BB292_806 Depth=1
	s_delay_alu instid0(VALU_DEP_3) | instskip(NEXT) | instid1(VALU_DEP_1)
	v_clz_i32_u32_e32 v0, v0
	v_min_u32_e32 v6, 32, v0
	s_delay_alu instid0(VALU_DEP_1) | instskip(NEXT) | instid1(VALU_DEP_1)
	v_subrev_nc_u32_e32 v0, 28, v6
	v_lshlrev_b64_e32 v[0:1], v0, v[30:31]
	s_delay_alu instid0(VALU_DEP_1)
	v_dual_sub_nc_u32 v1, 29, v6 :: v_dual_bitop2_b32 v0, 7, v0 bitop3:0x40
; %bb.811:                              ;   in Loop: Header=BB292_806 Depth=1
	s_or_b32 exec_lo, exec_lo, s17
	s_delay_alu instid0(VALU_DEP_1) | instskip(NEXT) | instid1(VALU_DEP_2)
	v_dual_lshlrev_b32 v6, 8, v30 :: v_dual_lshlrev_b32 v0, 7, v0
	v_lshl_add_u32 v1, v1, 10, 0x2000
	s_delay_alu instid0(VALU_DEP_2) | instskip(NEXT) | instid1(VALU_DEP_2)
	v_and_b32_e32 v6, 0x8000, v6
	v_and_b32_e32 v1, 0xfc00, v1
	s_delay_alu instid0(VALU_DEP_1)
	v_or3_b32 v1, v6, v1, v0
.LBB292_812:                            ;   in Loop: Header=BB292_806 Depth=1
	s_or_b32 exec_lo, exec_lo, s16
.LBB292_813:                            ;   in Loop: Header=BB292_806 Depth=1
	s_delay_alu instid0(SALU_CYCLE_1)
	s_or_b32 exec_lo, exec_lo, s15
.LBB292_814:                            ;   in Loop: Header=BB292_806 Depth=1
	s_delay_alu instid0(SALU_CYCLE_1) | instskip(SKIP_3) | instid1(VALU_DEP_2)
	s_or_b32 exec_lo, exec_lo, s0
	v_lshrrev_b16 v6, 8, v30
	v_dual_mov_b32 v16, 0 :: v_dual_mov_b32 v18, 0
	s_mov_b32 s0, exec_lo
	v_cmpx_ne_u16_e32 0, v6
	s_cbranch_execz .LBB292_822
; %bb.815:                              ;   in Loop: Header=BB292_806 Depth=1
	v_bfrev_b32_e32 v18, 1
	s_mov_b32 s15, exec_lo
	v_cmpx_ne_u16_e32 0x80, v6
	s_cbranch_execz .LBB292_821
; %bb.816:                              ;   in Loop: Header=BB292_806 Depth=1
	v_and_b32_e32 v0, 0xffff, v6
	v_mov_b32_e32 v18, 0x7c010000
	s_mov_b32 s16, exec_lo
	s_delay_alu instid0(VALU_DEP_2) | instskip(NEXT) | instid1(VALU_DEP_1)
	v_and_b32_e32 v22, 0x7f, v0
	v_cmpx_ne_u32_e32 0x7f, v22
	s_cbranch_execz .LBB292_820
; %bb.817:                              ;   in Loop: Header=BB292_806 Depth=1
	v_dual_lshrrev_b32 v19, 3, v22 :: v_dual_bitop2_b32 v18, 7, v0 bitop3:0x40
	s_mov_b32 s17, exec_lo
	v_cmpx_gt_u32_e32 8, v22
; %bb.818:                              ;   in Loop: Header=BB292_806 Depth=1
	s_delay_alu instid0(VALU_DEP_2) | instskip(NEXT) | instid1(VALU_DEP_1)
	v_clz_i32_u32_e32 v18, v18
	v_min_u32_e32 v22, 32, v18
	s_delay_alu instid0(VALU_DEP_1) | instskip(NEXT) | instid1(VALU_DEP_1)
	v_subrev_nc_u32_e32 v18, 28, v22
	v_lshlrev_b64_e32 v[18:19], v18, v[6:7]
	v_sub_nc_u32_e32 v19, 29, v22
	s_delay_alu instid0(VALU_DEP_2)
	v_and_b32_e32 v18, 7, v18
; %bb.819:                              ;   in Loop: Header=BB292_806 Depth=1
	s_or_b32 exec_lo, exec_lo, s17
	v_lshlrev_b32_e32 v0, 8, v0
	s_delay_alu instid0(VALU_DEP_3) | instskip(NEXT) | instid1(VALU_DEP_1)
	v_lshl_add_u32 v6, v19, 10, 0x2000
	v_and_or_b32 v0, 0x8000, v0, v6
	v_lshlrev_b32_e32 v6, 23, v18
	s_delay_alu instid0(VALU_DEP_1)
	v_lshl_or_b32 v18, v0, 16, v6
.LBB292_820:                            ;   in Loop: Header=BB292_806 Depth=1
	s_or_b32 exec_lo, exec_lo, s16
.LBB292_821:                            ;   in Loop: Header=BB292_806 Depth=1
	s_delay_alu instid0(SALU_CYCLE_1)
	s_or_b32 exec_lo, exec_lo, s15
.LBB292_822:                            ;   in Loop: Header=BB292_806 Depth=1
	s_delay_alu instid0(SALU_CYCLE_1) | instskip(SKIP_2) | instid1(VALU_DEP_1)
	s_or_b32 exec_lo, exec_lo, s0
	v_lshrrev_b32_e32 v0, 16, v30
	s_mov_b32 s0, exec_lo
	v_and_b32_e32 v6, 0xff, v0
	s_delay_alu instid0(VALU_DEP_1)
	v_cmpx_ne_u16_e32 0, v6
	s_cbranch_execz .LBB292_830
; %bb.823:                              ;   in Loop: Header=BB292_806 Depth=1
	v_mov_b32_e32 v16, 0x8000
	s_mov_b32 s15, exec_lo
	v_cmpx_ne_u16_e32 0x80, v6
	s_cbranch_execz .LBB292_829
; %bb.824:                              ;   in Loop: Header=BB292_806 Depth=1
	v_bfe_u32 v19, v30, 16, 7
	v_mov_b32_e32 v16, 0x7c01
	s_mov_b32 s16, exec_lo
	s_delay_alu instid0(VALU_DEP_2)
	v_cmpx_ne_u32_e32 0x7f, v19
	s_cbranch_execz .LBB292_828
; %bb.825:                              ;   in Loop: Header=BB292_806 Depth=1
	v_dual_lshrrev_b32 v16, 3, v19 :: v_dual_bitop2_b32 v6, 7, v0 bitop3:0x40
	s_mov_b32 s17, exec_lo
	v_cmpx_gt_u32_e32 8, v19
; %bb.826:                              ;   in Loop: Header=BB292_806 Depth=1
	s_delay_alu instid0(VALU_DEP_2) | instskip(NEXT) | instid1(VALU_DEP_1)
	v_clz_i32_u32_e32 v6, v6
	v_min_u32_e32 v6, 32, v6
	s_delay_alu instid0(VALU_DEP_1) | instskip(NEXT) | instid1(VALU_DEP_1)
	v_subrev_nc_u32_e32 v16, 28, v6
	v_lshlrev_b64_e32 v[22:23], v16, v[0:1]
	v_sub_nc_u32_e32 v16, 29, v6
	s_delay_alu instid0(VALU_DEP_2)
	v_and_b32_e32 v6, 7, v22
; %bb.827:                              ;   in Loop: Header=BB292_806 Depth=1
	s_or_b32 exec_lo, exec_lo, s17
	s_delay_alu instid0(VALU_DEP_1) | instskip(NEXT) | instid1(VALU_DEP_3)
	v_dual_lshlrev_b32 v0, 8, v0 :: v_dual_lshlrev_b32 v6, 7, v6
	v_lshl_add_u32 v16, v16, 10, 0x2000
	s_delay_alu instid0(VALU_DEP_2) | instskip(NEXT) | instid1(VALU_DEP_2)
	v_and_b32_e32 v0, 0x8000, v0
	v_and_b32_e32 v16, 0xfc00, v16
	s_delay_alu instid0(VALU_DEP_1)
	v_or3_b32 v16, v0, v16, v6
.LBB292_828:                            ;   in Loop: Header=BB292_806 Depth=1
	s_or_b32 exec_lo, exec_lo, s16
.LBB292_829:                            ;   in Loop: Header=BB292_806 Depth=1
	s_delay_alu instid0(SALU_CYCLE_1)
	s_or_b32 exec_lo, exec_lo, s15
.LBB292_830:                            ;   in Loop: Header=BB292_806 Depth=1
	s_delay_alu instid0(SALU_CYCLE_1)
	s_or_b32 exec_lo, exec_lo, s0
	v_dual_mov_b32 v19, 0 :: v_dual_mov_b32 v22, 0
	s_mov_b32 s0, exec_lo
	v_cmpx_lt_u32_e32 0xffffff, v30
	s_cbranch_execz .LBB292_838
; %bb.831:                              ;   in Loop: Header=BB292_806 Depth=1
	v_lshrrev_b32_e32 v6, 24, v30
	v_bfrev_b32_e32 v22, 1
	s_mov_b32 s15, exec_lo
	s_delay_alu instid0(VALU_DEP_2)
	v_cmpx_ne_u32_e32 0x80, v6
	s_cbranch_execz .LBB292_837
; %bb.832:                              ;   in Loop: Header=BB292_806 Depth=1
	v_and_b32_e32 v23, 0x7f, v6
	v_mov_b32_e32 v22, 0x7c010000
	s_mov_b32 s16, exec_lo
	s_delay_alu instid0(VALU_DEP_2)
	v_cmpx_ne_u32_e32 0x7f, v23
	s_cbranch_execz .LBB292_836
; %bb.833:                              ;   in Loop: Header=BB292_806 Depth=1
	v_dual_lshrrev_b32 v22, 3, v23 :: v_dual_bitop2_b32 v0, 7, v6 bitop3:0x40
	s_mov_b32 s17, exec_lo
	v_cmpx_gt_u32_e32 8, v23
; %bb.834:                              ;   in Loop: Header=BB292_806 Depth=1
	s_delay_alu instid0(VALU_DEP_2) | instskip(NEXT) | instid1(VALU_DEP_1)
	v_clz_i32_u32_e32 v0, v0
	v_min_u32_e32 v0, 32, v0
	s_delay_alu instid0(VALU_DEP_1) | instskip(NEXT) | instid1(VALU_DEP_1)
	v_subrev_nc_u32_e32 v22, 28, v0
	v_lshlrev_b64_e32 v[32:33], v22, v[6:7]
	v_sub_nc_u32_e32 v22, 29, v0
	s_delay_alu instid0(VALU_DEP_2)
	v_and_b32_e32 v0, 7, v32
; %bb.835:                              ;   in Loop: Header=BB292_806 Depth=1
	s_or_b32 exec_lo, exec_lo, s17
	s_delay_alu instid0(VALU_DEP_1) | instskip(NEXT) | instid1(VALU_DEP_3)
	v_dual_lshlrev_b32 v6, 8, v6 :: v_dual_lshlrev_b32 v0, 23, v0
	v_lshl_add_u32 v22, v22, 10, 0x2000
	s_delay_alu instid0(VALU_DEP_1) | instskip(NEXT) | instid1(VALU_DEP_1)
	v_and_or_b32 v6, 0x8000, v6, v22
	v_lshl_or_b32 v22, v6, 16, v0
.LBB292_836:                            ;   in Loop: Header=BB292_806 Depth=1
	s_or_b32 exec_lo, exec_lo, s16
.LBB292_837:                            ;   in Loop: Header=BB292_806 Depth=1
	s_delay_alu instid0(SALU_CYCLE_1)
	s_or_b32 exec_lo, exec_lo, s15
.LBB292_838:                            ;   in Loop: Header=BB292_806 Depth=1
	s_delay_alu instid0(SALU_CYCLE_1) | instskip(SKIP_3) | instid1(VALU_DEP_2)
	s_or_b32 exec_lo, exec_lo, s0
	v_and_b32_e32 v0, 0xff, v31
	v_mov_b32_e32 v6, v31
	s_mov_b32 s0, exec_lo
	v_cmpx_ne_u16_e32 0, v0
	s_cbranch_execz .LBB292_846
; %bb.839:                              ;   in Loop: Header=BB292_806 Depth=1
	v_mov_b32_e32 v19, 0x8000
	s_mov_b32 s15, exec_lo
	v_cmpx_ne_u16_e32 0x80, v0
	s_cbranch_execz .LBB292_845
; %bb.840:                              ;   in Loop: Header=BB292_806 Depth=1
	v_and_b32_e32 v23, 0x7f, v31
	v_mov_b32_e32 v19, 0x7c01
	s_mov_b32 s16, exec_lo
	s_delay_alu instid0(VALU_DEP_2)
	v_cmpx_ne_u32_e32 0x7f, v23
	s_cbranch_execz .LBB292_844
; %bb.841:                              ;   in Loop: Header=BB292_806 Depth=1
	v_and_b32_e32 v0, 7, v31
	v_lshrrev_b32_e32 v19, 3, v23
	s_mov_b32 s17, exec_lo
	v_cmpx_gt_u32_e32 8, v23
; %bb.842:                              ;   in Loop: Header=BB292_806 Depth=1
	s_delay_alu instid0(VALU_DEP_3) | instskip(NEXT) | instid1(VALU_DEP_1)
	v_clz_i32_u32_e32 v0, v0
	v_min_u32_e32 v0, 32, v0
	s_delay_alu instid0(VALU_DEP_1) | instskip(NEXT) | instid1(VALU_DEP_1)
	v_subrev_nc_u32_e32 v19, 28, v0
	v_lshlrev_b64_e32 v[32:33], v19, v[6:7]
	v_sub_nc_u32_e32 v19, 29, v0
	s_delay_alu instid0(VALU_DEP_2)
	v_and_b32_e32 v0, 7, v32
; %bb.843:                              ;   in Loop: Header=BB292_806 Depth=1
	s_or_b32 exec_lo, exec_lo, s17
	s_delay_alu instid0(VALU_DEP_1) | instskip(NEXT) | instid1(VALU_DEP_3)
	v_dual_lshlrev_b32 v23, 8, v31 :: v_dual_lshlrev_b32 v0, 7, v0
	v_lshl_add_u32 v19, v19, 10, 0x2000
	s_delay_alu instid0(VALU_DEP_2) | instskip(NEXT) | instid1(VALU_DEP_2)
	v_and_b32_e32 v23, 0x8000, v23
	v_and_b32_e32 v19, 0xfc00, v19
	s_delay_alu instid0(VALU_DEP_1)
	v_or3_b32 v19, v23, v19, v0
.LBB292_844:                            ;   in Loop: Header=BB292_806 Depth=1
	s_or_b32 exec_lo, exec_lo, s16
.LBB292_845:                            ;   in Loop: Header=BB292_806 Depth=1
	s_delay_alu instid0(SALU_CYCLE_1)
	s_or_b32 exec_lo, exec_lo, s15
.LBB292_846:                            ;   in Loop: Header=BB292_806 Depth=1
	s_delay_alu instid0(SALU_CYCLE_1) | instskip(SKIP_3) | instid1(VALU_DEP_2)
	s_or_b32 exec_lo, exec_lo, s0
	v_lshrrev_b16 v6, 8, v6
	v_dual_mov_b32 v29, 0 :: v_dual_mov_b32 v23, 0
	s_mov_b32 s0, exec_lo
	v_cmpx_ne_u16_e32 0, v6
	s_cbranch_execz .LBB292_854
; %bb.847:                              ;   in Loop: Header=BB292_806 Depth=1
	v_bfrev_b32_e32 v23, 1
	s_mov_b32 s15, exec_lo
	v_cmpx_ne_u16_e32 0x80, v6
	s_cbranch_execz .LBB292_853
; %bb.848:                              ;   in Loop: Header=BB292_806 Depth=1
	v_and_b32_e32 v0, 0xffff, v6
	v_mov_b32_e32 v23, 0x7c010000
	s_mov_b32 s16, exec_lo
	s_delay_alu instid0(VALU_DEP_2) | instskip(NEXT) | instid1(VALU_DEP_1)
	v_and_b32_e32 v33, 0x7f, v0
	v_cmpx_ne_u32_e32 0x7f, v33
	s_cbranch_execz .LBB292_852
; %bb.849:                              ;   in Loop: Header=BB292_806 Depth=1
	v_dual_lshrrev_b32 v32, 3, v33 :: v_dual_bitop2_b32 v23, 7, v0 bitop3:0x40
	s_mov_b32 s17, exec_lo
	v_cmpx_gt_u32_e32 8, v33
; %bb.850:                              ;   in Loop: Header=BB292_806 Depth=1
	s_delay_alu instid0(VALU_DEP_2) | instskip(NEXT) | instid1(VALU_DEP_1)
	v_clz_i32_u32_e32 v23, v23
	v_min_u32_e32 v23, 32, v23
	s_delay_alu instid0(VALU_DEP_1) | instskip(NEXT) | instid1(VALU_DEP_1)
	v_subrev_nc_u32_e32 v32, 28, v23
	v_lshlrev_b64_e32 v[34:35], v32, v[6:7]
	s_delay_alu instid0(VALU_DEP_1)
	v_dual_sub_nc_u32 v32, 29, v23 :: v_dual_bitop2_b32 v23, 7, v34 bitop3:0x40
; %bb.851:                              ;   in Loop: Header=BB292_806 Depth=1
	s_or_b32 exec_lo, exec_lo, s17
	v_lshlrev_b32_e32 v0, 8, v0
	s_delay_alu instid0(VALU_DEP_2) | instskip(NEXT) | instid1(VALU_DEP_1)
	v_lshl_add_u32 v6, v32, 10, 0x2000
	v_and_or_b32 v0, 0x8000, v0, v6
	v_lshlrev_b32_e32 v6, 23, v23
	s_delay_alu instid0(VALU_DEP_1)
	v_lshl_or_b32 v23, v0, 16, v6
.LBB292_852:                            ;   in Loop: Header=BB292_806 Depth=1
	s_or_b32 exec_lo, exec_lo, s16
.LBB292_853:                            ;   in Loop: Header=BB292_806 Depth=1
	s_delay_alu instid0(SALU_CYCLE_1)
	s_or_b32 exec_lo, exec_lo, s15
.LBB292_854:                            ;   in Loop: Header=BB292_806 Depth=1
	s_delay_alu instid0(SALU_CYCLE_1) | instskip(SKIP_2) | instid1(VALU_DEP_1)
	s_or_b32 exec_lo, exec_lo, s0
	v_lshrrev_b32_e32 v0, 16, v31
	s_mov_b32 s0, exec_lo
	v_and_b32_e32 v6, 0xff, v0
	s_delay_alu instid0(VALU_DEP_1)
	v_cmpx_ne_u16_e32 0, v6
	s_cbranch_execz .LBB292_862
; %bb.855:                              ;   in Loop: Header=BB292_806 Depth=1
	v_mov_b32_e32 v29, 0x8000
	s_mov_b32 s15, exec_lo
	v_cmpx_ne_u16_e32 0x80, v6
	s_cbranch_execz .LBB292_861
; %bb.856:                              ;   in Loop: Header=BB292_806 Depth=1
	v_bfe_u32 v32, v31, 16, 7
	v_mov_b32_e32 v29, 0x7c01
	s_mov_b32 s16, exec_lo
	s_delay_alu instid0(VALU_DEP_2)
	v_cmpx_ne_u32_e32 0x7f, v32
	s_cbranch_execz .LBB292_860
; %bb.857:                              ;   in Loop: Header=BB292_806 Depth=1
	v_and_b32_e32 v6, 7, v0
	v_lshrrev_b32_e32 v29, 3, v32
	s_mov_b32 s17, exec_lo
	v_cmpx_gt_u32_e32 8, v32
; %bb.858:                              ;   in Loop: Header=BB292_806 Depth=1
	s_delay_alu instid0(VALU_DEP_3) | instskip(NEXT) | instid1(VALU_DEP_1)
	v_clz_i32_u32_e32 v6, v6
	v_min_u32_e32 v6, 32, v6
	s_delay_alu instid0(VALU_DEP_1) | instskip(NEXT) | instid1(VALU_DEP_1)
	v_subrev_nc_u32_e32 v29, 28, v6
	v_lshlrev_b64_e32 v[32:33], v29, v[0:1]
	s_delay_alu instid0(VALU_DEP_1)
	v_dual_sub_nc_u32 v29, 29, v6 :: v_dual_bitop2_b32 v6, 7, v32 bitop3:0x40
; %bb.859:                              ;   in Loop: Header=BB292_806 Depth=1
	s_or_b32 exec_lo, exec_lo, s17
	s_delay_alu instid0(VALU_DEP_1) | instskip(NEXT) | instid1(VALU_DEP_2)
	v_dual_lshlrev_b32 v0, 8, v0 :: v_dual_lshlrev_b32 v6, 7, v6
	v_lshl_add_u32 v29, v29, 10, 0x2000
	s_delay_alu instid0(VALU_DEP_2) | instskip(NEXT) | instid1(VALU_DEP_2)
	v_and_b32_e32 v0, 0x8000, v0
	v_and_b32_e32 v29, 0xfc00, v29
	s_delay_alu instid0(VALU_DEP_1)
	v_or3_b32 v29, v0, v29, v6
.LBB292_860:                            ;   in Loop: Header=BB292_806 Depth=1
	s_or_b32 exec_lo, exec_lo, s16
.LBB292_861:                            ;   in Loop: Header=BB292_806 Depth=1
	s_delay_alu instid0(SALU_CYCLE_1)
	s_or_b32 exec_lo, exec_lo, s15
.LBB292_862:                            ;   in Loop: Header=BB292_806 Depth=1
	s_delay_alu instid0(SALU_CYCLE_1)
	s_or_b32 exec_lo, exec_lo, s0
	v_mov_b32_e32 v0, 0
	s_mov_b32 s0, exec_lo
	v_cmpx_lt_u64_e64 s[2:3], v[30:31]
	s_cbranch_execz .LBB292_870
; %bb.863:                              ;   in Loop: Header=BB292_806 Depth=1
	v_lshrrev_b32_e32 v6, 24, v31
	v_bfrev_b32_e32 v0, 1
	s_mov_b32 s15, exec_lo
	s_delay_alu instid0(VALU_DEP_2)
	v_cmpx_ne_u32_e32 0x80, v6
	s_cbranch_execz .LBB292_869
; %bb.864:                              ;   in Loop: Header=BB292_806 Depth=1
	v_and_b32_e32 v31, 0x7f, v6
	v_mov_b32_e32 v0, 0x7c010000
	s_mov_b32 s16, exec_lo
	s_delay_alu instid0(VALU_DEP_2)
	v_cmpx_ne_u32_e32 0x7f, v31
	s_cbranch_execz .LBB292_868
; %bb.865:                              ;   in Loop: Header=BB292_806 Depth=1
	v_dual_lshrrev_b32 v30, 3, v31 :: v_dual_bitop2_b32 v0, 7, v6 bitop3:0x40
	s_mov_b32 s17, exec_lo
	v_cmpx_gt_u32_e32 8, v31
; %bb.866:                              ;   in Loop: Header=BB292_806 Depth=1
	s_delay_alu instid0(VALU_DEP_2) | instskip(NEXT) | instid1(VALU_DEP_1)
	v_clz_i32_u32_e32 v0, v0
	v_min_u32_e32 v0, 32, v0
	s_delay_alu instid0(VALU_DEP_1) | instskip(NEXT) | instid1(VALU_DEP_1)
	v_subrev_nc_u32_e32 v30, 28, v0
	v_lshlrev_b64_e32 v[32:33], v30, v[6:7]
	v_sub_nc_u32_e32 v30, 29, v0
	s_delay_alu instid0(VALU_DEP_2)
	v_and_b32_e32 v0, 7, v32
; %bb.867:                              ;   in Loop: Header=BB292_806 Depth=1
	s_or_b32 exec_lo, exec_lo, s17
	s_delay_alu instid0(VALU_DEP_1) | instskip(NEXT) | instid1(VALU_DEP_3)
	v_dual_lshlrev_b32 v6, 8, v6 :: v_dual_lshlrev_b32 v0, 23, v0
	v_lshl_add_u32 v30, v30, 10, 0x2000
	s_delay_alu instid0(VALU_DEP_1) | instskip(NEXT) | instid1(VALU_DEP_1)
	v_and_or_b32 v6, 0x8000, v6, v30
	v_lshl_or_b32 v0, v6, 16, v0
.LBB292_868:                            ;   in Loop: Header=BB292_806 Depth=1
	s_or_b32 exec_lo, exec_lo, s16
.LBB292_869:                            ;   in Loop: Header=BB292_806 Depth=1
	s_delay_alu instid0(SALU_CYCLE_1)
	s_or_b32 exec_lo, exec_lo, s15
.LBB292_870:                            ;   in Loop: Header=BB292_806 Depth=1
	s_delay_alu instid0(SALU_CYCLE_1) | instskip(SKIP_3) | instid1(VALU_DEP_3)
	s_or_b32 exec_lo, exec_lo, s0
	v_dual_lshrrev_b32 v6, 16, v18 :: v_dual_bitop2_b32 v1, v18, v1 bitop3:0x54
	v_dual_lshrrev_b32 v30, 16, v22 :: v_dual_bitop2_b32 v16, v22, v16 bitop3:0x54
	v_lshrrev_b32_e32 v22, 16, v0
	v_cvt_f32_f16_e32 v31, v6
	v_dual_lshrrev_b32 v18, 16, v23 :: v_dual_bitop2_b32 v6, v0, v29 bitop3:0x54
	s_delay_alu instid0(VALU_DEP_4)
	v_cvt_f32_f16_e32 v30, v30
	v_cvt_f32_f16_e32 v0, v16
	v_or_b32_e32 v16, v23, v19
	v_cvt_f32_f16_e32 v1, v1
	v_cvt_f32_f16_e32 v19, v18
	s_wait_loadcnt_dscnt 0x0
	v_pk_mul_f32 v[30:31], v[28:29], v[30:31] op_sel_hi:[0,1]
	v_cvt_f32_f16_e32 v18, v22
	v_cvt_f32_f16_e32 v22, v6
	v_cvt_f32_f16_e32 v23, v16
	v_pk_mul_f32 v[0:1], v[28:29], v[0:1] op_sel_hi:[0,1]
	v_cvt_pk_f16_f32 v6, v30, v31
	v_pk_mul_f32 v[18:19], v[28:29], v[18:19] op_sel_hi:[0,1]
	v_cmp_eq_u32_e32 vcc_lo, v48, v51
	v_pk_mul_f32 v[22:23], v[28:29], v[22:23] op_sel_hi:[0,1]
	v_cvt_pk_f16_f32 v0, v0, v1
	v_and_b32_e32 v33, 0xffff0000, v6
	v_cvt_pk_f16_f32 v16, v18, v19
	v_lshlrev_b32_e32 v32, 16, v6
	v_cvt_pk_f16_f32 v6, v22, v23
	v_lshrrev_b32_e32 v35, 16, v0
	v_and_b32_e32 v34, 0xffff, v0
	v_and_b32_e32 v1, 0xffff0000, v16
	s_delay_alu instid0(VALU_DEP_4) | instskip(SKIP_3) | instid1(VALU_DEP_4)
	v_dual_lshlrev_b32 v0, 16, v16 :: v_dual_lshrrev_b32 v31, 16, v6
	v_and_b32_e32 v30, 0xffff, v6
	v_dual_add_nc_u32 v66, 2, v49 :: v_dual_bitop2_b32 v29, v33, v35 bitop3:0x54
	v_or_b32_e32 v28, v32, v34
	v_or_b32_e32 v19, v1, v31
	s_delay_alu instid0(VALU_DEP_4)
	v_or_b32_e32 v6, v0, v30
	v_or_b32_e32 v65, 1, v49
	;; [unrolled: 1-line block ×7, first 2 shown]
	s_and_saveexec_b32 s15, vcc_lo
	s_cbranch_execz .LBB292_872
; %bb.871:                              ;   in Loop: Header=BB292_806 Depth=1
	v_cmp_lt_i32_e64 s0, v49, v13
	s_delay_alu instid0(VALU_DEP_1) | instskip(SKIP_1) | instid1(VALU_DEP_1)
	v_cndmask_b32_e64 v6, 0, v35, s0
	v_cmp_lt_i32_e64 s0, v66, v116
	v_cndmask_b32_e64 v16, 0, v34, s0
	v_cmp_lt_i32_e64 s0, v65, v13
	s_delay_alu instid0(VALU_DEP_1) | instskip(SKIP_1) | instid1(VALU_DEP_1)
	v_cndmask_b32_e64 v18, 0, v33, s0
	v_cmp_lt_i32_e64 s0, v64, v116
	v_cndmask_b32_e64 v19, 0, v32, s0
	v_cmp_lt_i32_e64 s0, v55, v13
	s_delay_alu instid0(VALU_DEP_4) | instskip(NEXT) | instid1(VALU_DEP_3)
	v_or_b32_e32 v29, v6, v18
	v_or_b32_e32 v28, v16, v19
	s_delay_alu instid0(VALU_DEP_3) | instskip(SKIP_1) | instid1(VALU_DEP_1)
	v_cndmask_b32_e64 v22, 0, v31, s0
	v_cmp_lt_i32_e64 s0, v54, v116
	v_cndmask_b32_e64 v23, 0, v30, s0
	v_cmp_lt_i32_e64 s0, v53, v13
	s_delay_alu instid0(VALU_DEP_1) | instskip(SKIP_1) | instid1(VALU_DEP_1)
	v_cndmask_b32_e64 v1, 0, v1, s0
	v_cmp_lt_i32_e64 s0, v52, v116
	v_dual_cndmask_b32 v0, 0, v0, s0 :: v_dual_bitop2_b32 v19, v22, v1 bitop3:0x54
	s_delay_alu instid0(VALU_DEP_1)
	v_or_b32_e32 v6, v23, v0
.LBB292_872:                            ;   in Loop: Header=BB292_806 Depth=1
	s_or_b32 exec_lo, exec_lo, s15
	v_and_b32_e32 v0, 0xffff, v69
	v_and_b32_e32 v1, 0xffff, v70
	;; [unrolled: 1-line block ×4, first 2 shown]
	s_mov_b32 s15, exec_lo
	v_lshl_or_b32 v70, v67, 16, v0
	;;#ASMSTART
	v_pk_mul_f16 v0, v70, v29;

	;;#ASMEND
	v_lshl_or_b32 v69, v68, 16, v1
	v_lshl_or_b32 v68, v71, 16, v16
	;; [unrolled: 1-line block ×3, first 2 shown]
	;;#ASMSTART
	v_pk_mul_f16 v1, v69, v28;

	;;#ASMEND
	;;#ASMSTART
	v_pk_mul_f16 v16, v68, v19;

	;;#ASMEND
	;; [unrolled: 4-line block ×3, first 2 shown]
	;;#ASMSTART
	v_pk_add_f16 v0, v0, v1;

	;;#ASMEND
	;;#ASMSTART
	v_pk_add_f16 v0, v0, v16;

	;;#ASMEND
	;; [unrolled: 4-line block ×3, first 2 shown]
	v_and_b32_e32 v1, 0xffff, v0
	v_lshrrev_b32_e32 v0, 16, v0
	;;#ASMSTART
	v_cvt_f32_f16 v71, v1;
	;;#ASMEND
	;;#ASMSTART
	v_cvt_f32_f16 v80, v0;
	;;#ASMEND
	flat_load_b64 v[30:31], v[14:15] offset:256
	scratch_load_b64 v[0:1], off, s32 offset:192 ; 8-byte Folded Reload
	v_mov_b32_e32 v16, 0
	s_wait_loadcnt 0x0
	flat_load_b32 v28, v[0:1]
	s_wait_dscnt 0x1
	s_wait_xcnt 0x0
	v_and_b32_e32 v0, 0xff, v30
	v_mov_b32_e32 v1, 0
	s_delay_alu instid0(VALU_DEP_2)
	v_cmpx_ne_u16_e32 0, v0
	s_cbranch_execz .LBB292_880
; %bb.873:                              ;   in Loop: Header=BB292_806 Depth=1
	v_mov_b32_e32 v16, 0x8000
	s_mov_b32 s16, exec_lo
	v_cmpx_ne_u16_e32 0x80, v0
	s_cbranch_execz .LBB292_879
; %bb.874:                              ;   in Loop: Header=BB292_806 Depth=1
	v_and_b32_e32 v18, 0x7f, v30
	v_mov_b32_e32 v16, 0x7c01
	s_mov_b32 s17, exec_lo
	s_delay_alu instid0(VALU_DEP_2)
	v_cmpx_ne_u32_e32 0x7f, v18
	s_cbranch_execz .LBB292_878
; %bb.875:                              ;   in Loop: Header=BB292_806 Depth=1
	v_and_b32_e32 v0, 7, v30
	v_lshrrev_b32_e32 v6, 3, v18
	s_mov_b32 s18, exec_lo
	v_cmpx_gt_u32_e32 8, v18
; %bb.876:                              ;   in Loop: Header=BB292_806 Depth=1
	s_delay_alu instid0(VALU_DEP_3) | instskip(NEXT) | instid1(VALU_DEP_1)
	v_clz_i32_u32_e32 v0, v0
	v_min_u32_e32 v0, 32, v0
	s_delay_alu instid0(VALU_DEP_1) | instskip(NEXT) | instid1(VALU_DEP_1)
	v_subrev_nc_u32_e32 v6, 28, v0
	v_lshlrev_b64_e32 v[18:19], v6, v[30:31]
	s_delay_alu instid0(VALU_DEP_1)
	v_dual_sub_nc_u32 v6, 29, v0 :: v_dual_bitop2_b32 v0, 7, v18 bitop3:0x40
; %bb.877:                              ;   in Loop: Header=BB292_806 Depth=1
	s_or_b32 exec_lo, exec_lo, s18
	s_delay_alu instid0(VALU_DEP_1) | instskip(NEXT) | instid1(VALU_DEP_2)
	v_dual_lshlrev_b32 v16, 8, v30 :: v_dual_lshlrev_b32 v0, 7, v0
	v_lshl_add_u32 v6, v6, 10, 0x2000
	s_delay_alu instid0(VALU_DEP_2) | instskip(NEXT) | instid1(VALU_DEP_2)
	v_and_b32_e32 v16, 0x8000, v16
	v_and_b32_e32 v6, 0xfc00, v6
	s_delay_alu instid0(VALU_DEP_1)
	v_or3_b32 v16, v16, v6, v0
.LBB292_878:                            ;   in Loop: Header=BB292_806 Depth=1
	s_or_b32 exec_lo, exec_lo, s17
.LBB292_879:                            ;   in Loop: Header=BB292_806 Depth=1
	s_delay_alu instid0(SALU_CYCLE_1)
	s_or_b32 exec_lo, exec_lo, s16
.LBB292_880:                            ;   in Loop: Header=BB292_806 Depth=1
	s_delay_alu instid0(SALU_CYCLE_1) | instskip(SKIP_2) | instid1(VALU_DEP_1)
	s_or_b32 exec_lo, exec_lo, s15
	v_lshrrev_b16 v6, 8, v30
	s_mov_b32 s15, exec_lo
	v_cmpx_ne_u16_e32 0, v6
	s_cbranch_execz .LBB292_888
; %bb.881:                              ;   in Loop: Header=BB292_806 Depth=1
	v_bfrev_b32_e32 v1, 1
	s_mov_b32 s16, exec_lo
	v_cmpx_ne_u16_e32 0x80, v6
	s_cbranch_execz .LBB292_887
; %bb.882:                              ;   in Loop: Header=BB292_806 Depth=1
	v_and_b32_e32 v0, 0xffff, v6
	v_mov_b32_e32 v1, 0x7c010000
	s_mov_b32 s17, exec_lo
	s_delay_alu instid0(VALU_DEP_2) | instskip(NEXT) | instid1(VALU_DEP_1)
	v_and_b32_e32 v19, 0x7f, v0
	v_cmpx_ne_u32_e32 0x7f, v19
	s_cbranch_execz .LBB292_886
; %bb.883:                              ;   in Loop: Header=BB292_806 Depth=1
	v_dual_lshrrev_b32 v18, 3, v19 :: v_dual_bitop2_b32 v1, 7, v0 bitop3:0x40
	s_mov_b32 s18, exec_lo
	v_cmpx_gt_u32_e32 8, v19
; %bb.884:                              ;   in Loop: Header=BB292_806 Depth=1
	s_delay_alu instid0(VALU_DEP_2) | instskip(NEXT) | instid1(VALU_DEP_1)
	v_clz_i32_u32_e32 v1, v1
	v_min_u32_e32 v1, 32, v1
	s_delay_alu instid0(VALU_DEP_1) | instskip(NEXT) | instid1(VALU_DEP_1)
	v_subrev_nc_u32_e32 v18, 28, v1
	v_lshlrev_b64_e32 v[22:23], v18, v[6:7]
	s_delay_alu instid0(VALU_DEP_1)
	v_dual_sub_nc_u32 v18, 29, v1 :: v_dual_bitop2_b32 v1, 7, v22 bitop3:0x40
; %bb.885:                              ;   in Loop: Header=BB292_806 Depth=1
	s_or_b32 exec_lo, exec_lo, s18
	s_delay_alu instid0(VALU_DEP_1) | instskip(NEXT) | instid1(VALU_DEP_2)
	v_dual_lshlrev_b32 v0, 8, v0 :: v_dual_lshlrev_b32 v1, 23, v1
	v_lshl_add_u32 v6, v18, 10, 0x2000
	s_delay_alu instid0(VALU_DEP_1) | instskip(NEXT) | instid1(VALU_DEP_1)
	v_and_or_b32 v0, 0x8000, v0, v6
	v_lshl_or_b32 v1, v0, 16, v1
.LBB292_886:                            ;   in Loop: Header=BB292_806 Depth=1
	s_or_b32 exec_lo, exec_lo, s17
.LBB292_887:                            ;   in Loop: Header=BB292_806 Depth=1
	s_delay_alu instid0(SALU_CYCLE_1)
	s_or_b32 exec_lo, exec_lo, s16
.LBB292_888:                            ;   in Loop: Header=BB292_806 Depth=1
	s_delay_alu instid0(SALU_CYCLE_1) | instskip(SKIP_3) | instid1(VALU_DEP_2)
	s_or_b32 exec_lo, exec_lo, s15
	v_dual_lshrrev_b32 v0, 16, v30 :: v_dual_mov_b32 v18, 0
	v_mov_b32_e32 v19, 0
	s_mov_b32 s15, exec_lo
	v_and_b32_e32 v6, 0xff, v0
	s_delay_alu instid0(VALU_DEP_1)
	v_cmpx_ne_u16_e32 0, v6
	s_cbranch_execz .LBB292_896
; %bb.889:                              ;   in Loop: Header=BB292_806 Depth=1
	v_mov_b32_e32 v19, 0x8000
	s_mov_b32 s16, exec_lo
	v_cmpx_ne_u16_e32 0x80, v6
	s_cbranch_execz .LBB292_895
; %bb.890:                              ;   in Loop: Header=BB292_806 Depth=1
	v_bfe_u32 v22, v30, 16, 7
	v_mov_b32_e32 v19, 0x7c01
	s_mov_b32 s17, exec_lo
	s_delay_alu instid0(VALU_DEP_2)
	v_cmpx_ne_u32_e32 0x7f, v22
	s_cbranch_execz .LBB292_894
; %bb.891:                              ;   in Loop: Header=BB292_806 Depth=1
	v_dual_lshrrev_b32 v19, 3, v22 :: v_dual_bitop2_b32 v6, 7, v0 bitop3:0x40
	s_mov_b32 s18, exec_lo
	v_cmpx_gt_u32_e32 8, v22
; %bb.892:                              ;   in Loop: Header=BB292_806 Depth=1
	s_delay_alu instid0(VALU_DEP_2) | instskip(NEXT) | instid1(VALU_DEP_1)
	v_clz_i32_u32_e32 v6, v6
	v_min_u32_e32 v6, 32, v6
	s_delay_alu instid0(VALU_DEP_1) | instskip(NEXT) | instid1(VALU_DEP_1)
	v_subrev_nc_u32_e32 v19, 28, v6
	v_lshlrev_b64_e32 v[22:23], v19, v[0:1]
	v_sub_nc_u32_e32 v19, 29, v6
	s_delay_alu instid0(VALU_DEP_2)
	v_and_b32_e32 v6, 7, v22
; %bb.893:                              ;   in Loop: Header=BB292_806 Depth=1
	s_or_b32 exec_lo, exec_lo, s18
	s_delay_alu instid0(VALU_DEP_1) | instskip(NEXT) | instid1(VALU_DEP_3)
	v_dual_lshlrev_b32 v0, 8, v0 :: v_dual_lshlrev_b32 v6, 7, v6
	v_lshl_add_u32 v19, v19, 10, 0x2000
	s_delay_alu instid0(VALU_DEP_2) | instskip(NEXT) | instid1(VALU_DEP_2)
	v_and_b32_e32 v0, 0x8000, v0
	v_and_b32_e32 v19, 0xfc00, v19
	s_delay_alu instid0(VALU_DEP_1)
	v_or3_b32 v19, v0, v19, v6
.LBB292_894:                            ;   in Loop: Header=BB292_806 Depth=1
	s_or_b32 exec_lo, exec_lo, s17
.LBB292_895:                            ;   in Loop: Header=BB292_806 Depth=1
	s_delay_alu instid0(SALU_CYCLE_1)
	s_or_b32 exec_lo, exec_lo, s16
.LBB292_896:                            ;   in Loop: Header=BB292_806 Depth=1
	s_delay_alu instid0(SALU_CYCLE_1) | instskip(NEXT) | instid1(SALU_CYCLE_1)
	s_or_b32 exec_lo, exec_lo, s15
	s_mov_b32 s15, exec_lo
	v_cmpx_lt_u32_e32 0xffffff, v30
	s_cbranch_execz .LBB292_904
; %bb.897:                              ;   in Loop: Header=BB292_806 Depth=1
	v_lshrrev_b32_e32 v6, 24, v30
	v_bfrev_b32_e32 v18, 1
	s_mov_b32 s16, exec_lo
	s_delay_alu instid0(VALU_DEP_2)
	v_cmpx_ne_u32_e32 0x80, v6
	s_cbranch_execz .LBB292_903
; %bb.898:                              ;   in Loop: Header=BB292_806 Depth=1
	v_and_b32_e32 v22, 0x7f, v6
	v_mov_b32_e32 v18, 0x7c010000
	s_mov_b32 s17, exec_lo
	s_delay_alu instid0(VALU_DEP_2)
	v_cmpx_ne_u32_e32 0x7f, v22
	s_cbranch_execz .LBB292_902
; %bb.899:                              ;   in Loop: Header=BB292_806 Depth=1
	v_and_b32_e32 v0, 7, v6
	v_lshrrev_b32_e32 v18, 3, v22
	s_mov_b32 s18, exec_lo
	v_cmpx_gt_u32_e32 8, v22
; %bb.900:                              ;   in Loop: Header=BB292_806 Depth=1
	s_delay_alu instid0(VALU_DEP_3) | instskip(NEXT) | instid1(VALU_DEP_1)
	v_clz_i32_u32_e32 v0, v0
	v_min_u32_e32 v0, 32, v0
	s_delay_alu instid0(VALU_DEP_1) | instskip(NEXT) | instid1(VALU_DEP_1)
	v_subrev_nc_u32_e32 v18, 28, v0
	v_lshlrev_b64_e32 v[22:23], v18, v[6:7]
	s_delay_alu instid0(VALU_DEP_1)
	v_dual_sub_nc_u32 v18, 29, v0 :: v_dual_bitop2_b32 v0, 7, v22 bitop3:0x40
; %bb.901:                              ;   in Loop: Header=BB292_806 Depth=1
	s_or_b32 exec_lo, exec_lo, s18
	s_delay_alu instid0(VALU_DEP_1) | instskip(NEXT) | instid1(VALU_DEP_2)
	v_dual_lshlrev_b32 v6, 8, v6 :: v_dual_lshlrev_b32 v0, 23, v0
	v_lshl_add_u32 v18, v18, 10, 0x2000
	s_delay_alu instid0(VALU_DEP_1) | instskip(NEXT) | instid1(VALU_DEP_1)
	v_and_or_b32 v6, 0x8000, v6, v18
	v_lshl_or_b32 v18, v6, 16, v0
.LBB292_902:                            ;   in Loop: Header=BB292_806 Depth=1
	s_or_b32 exec_lo, exec_lo, s17
.LBB292_903:                            ;   in Loop: Header=BB292_806 Depth=1
	s_delay_alu instid0(SALU_CYCLE_1)
	s_or_b32 exec_lo, exec_lo, s16
.LBB292_904:                            ;   in Loop: Header=BB292_806 Depth=1
	s_delay_alu instid0(SALU_CYCLE_1) | instskip(SKIP_4) | instid1(VALU_DEP_3)
	s_or_b32 exec_lo, exec_lo, s15
	v_and_b32_e32 v0, 0xff, v31
	v_dual_mov_b32 v6, v31 :: v_dual_mov_b32 v23, 0
	v_mov_b32_e32 v22, 0
	s_mov_b32 s15, exec_lo
	v_cmpx_ne_u16_e32 0, v0
	s_cbranch_execz .LBB292_912
; %bb.905:                              ;   in Loop: Header=BB292_806 Depth=1
	v_mov_b32_e32 v22, 0x8000
	s_mov_b32 s16, exec_lo
	v_cmpx_ne_u16_e32 0x80, v0
	s_cbranch_execz .LBB292_911
; %bb.906:                              ;   in Loop: Header=BB292_806 Depth=1
	v_and_b32_e32 v29, 0x7f, v31
	v_mov_b32_e32 v22, 0x7c01
	s_mov_b32 s17, exec_lo
	s_delay_alu instid0(VALU_DEP_2)
	v_cmpx_ne_u32_e32 0x7f, v29
	s_cbranch_execz .LBB292_910
; %bb.907:                              ;   in Loop: Header=BB292_806 Depth=1
	v_dual_lshrrev_b32 v22, 3, v29 :: v_dual_bitop2_b32 v0, 7, v31 bitop3:0x40
	s_mov_b32 s18, exec_lo
	v_cmpx_gt_u32_e32 8, v29
; %bb.908:                              ;   in Loop: Header=BB292_806 Depth=1
	s_delay_alu instid0(VALU_DEP_2) | instskip(NEXT) | instid1(VALU_DEP_1)
	v_clz_i32_u32_e32 v0, v0
	v_min_u32_e32 v0, 32, v0
	s_delay_alu instid0(VALU_DEP_1) | instskip(NEXT) | instid1(VALU_DEP_1)
	v_subrev_nc_u32_e32 v22, 28, v0
	v_lshlrev_b64_e32 v[32:33], v22, v[6:7]
	v_sub_nc_u32_e32 v22, 29, v0
	s_delay_alu instid0(VALU_DEP_2)
	v_and_b32_e32 v0, 7, v32
; %bb.909:                              ;   in Loop: Header=BB292_806 Depth=1
	s_or_b32 exec_lo, exec_lo, s18
	s_delay_alu instid0(VALU_DEP_1) | instskip(NEXT) | instid1(VALU_DEP_3)
	v_dual_lshlrev_b32 v29, 8, v31 :: v_dual_lshlrev_b32 v0, 7, v0
	v_lshl_add_u32 v22, v22, 10, 0x2000
	s_delay_alu instid0(VALU_DEP_2) | instskip(NEXT) | instid1(VALU_DEP_2)
	v_and_b32_e32 v29, 0x8000, v29
	v_and_b32_e32 v22, 0xfc00, v22
	s_delay_alu instid0(VALU_DEP_1)
	v_or3_b32 v22, v29, v22, v0
.LBB292_910:                            ;   in Loop: Header=BB292_806 Depth=1
	s_or_b32 exec_lo, exec_lo, s17
.LBB292_911:                            ;   in Loop: Header=BB292_806 Depth=1
	s_delay_alu instid0(SALU_CYCLE_1)
	s_or_b32 exec_lo, exec_lo, s16
.LBB292_912:                            ;   in Loop: Header=BB292_806 Depth=1
	s_delay_alu instid0(SALU_CYCLE_1) | instskip(SKIP_3) | instid1(VALU_DEP_2)
	s_or_b32 exec_lo, exec_lo, s15
	v_lshrrev_b16 v6, 8, v6
	v_mov_b32_e32 v29, 0
	s_mov_b32 s15, exec_lo
	v_cmpx_ne_u16_e32 0, v6
	s_cbranch_execz .LBB292_920
; %bb.913:                              ;   in Loop: Header=BB292_806 Depth=1
	v_bfrev_b32_e32 v29, 1
	s_mov_b32 s16, exec_lo
	v_cmpx_ne_u16_e32 0x80, v6
	s_cbranch_execz .LBB292_919
; %bb.914:                              ;   in Loop: Header=BB292_806 Depth=1
	v_and_b32_e32 v0, 0xffff, v6
	v_mov_b32_e32 v29, 0x7c010000
	s_mov_b32 s17, exec_lo
	s_delay_alu instid0(VALU_DEP_2) | instskip(NEXT) | instid1(VALU_DEP_1)
	v_and_b32_e32 v33, 0x7f, v0
	v_cmpx_ne_u32_e32 0x7f, v33
	s_cbranch_execz .LBB292_918
; %bb.915:                              ;   in Loop: Header=BB292_806 Depth=1
	v_dual_lshrrev_b32 v32, 3, v33 :: v_dual_bitop2_b32 v29, 7, v0 bitop3:0x40
	s_mov_b32 s18, exec_lo
	v_cmpx_gt_u32_e32 8, v33
; %bb.916:                              ;   in Loop: Header=BB292_806 Depth=1
	s_delay_alu instid0(VALU_DEP_2) | instskip(NEXT) | instid1(VALU_DEP_1)
	v_clz_i32_u32_e32 v29, v29
	v_min_u32_e32 v29, 32, v29
	s_delay_alu instid0(VALU_DEP_1) | instskip(NEXT) | instid1(VALU_DEP_1)
	v_subrev_nc_u32_e32 v32, 28, v29
	v_lshlrev_b64_e32 v[34:35], v32, v[6:7]
	s_delay_alu instid0(VALU_DEP_1)
	v_dual_sub_nc_u32 v32, 29, v29 :: v_dual_bitop2_b32 v29, 7, v34 bitop3:0x40
; %bb.917:                              ;   in Loop: Header=BB292_806 Depth=1
	s_or_b32 exec_lo, exec_lo, s18
	v_lshlrev_b32_e32 v0, 8, v0
	s_delay_alu instid0(VALU_DEP_2) | instskip(NEXT) | instid1(VALU_DEP_1)
	v_lshl_add_u32 v6, v32, 10, 0x2000
	v_and_or_b32 v0, 0x8000, v0, v6
	v_lshlrev_b32_e32 v6, 23, v29
	s_delay_alu instid0(VALU_DEP_1)
	v_lshl_or_b32 v29, v0, 16, v6
.LBB292_918:                            ;   in Loop: Header=BB292_806 Depth=1
	s_or_b32 exec_lo, exec_lo, s17
.LBB292_919:                            ;   in Loop: Header=BB292_806 Depth=1
	s_delay_alu instid0(SALU_CYCLE_1)
	s_or_b32 exec_lo, exec_lo, s16
.LBB292_920:                            ;   in Loop: Header=BB292_806 Depth=1
	s_delay_alu instid0(SALU_CYCLE_1) | instskip(SKIP_2) | instid1(VALU_DEP_1)
	s_or_b32 exec_lo, exec_lo, s15
	v_lshrrev_b32_e32 v0, 16, v31
	s_mov_b32 s15, exec_lo
	v_and_b32_e32 v6, 0xff, v0
	s_delay_alu instid0(VALU_DEP_1)
	v_cmpx_ne_u16_e32 0, v6
	s_cbranch_execz .LBB292_928
; %bb.921:                              ;   in Loop: Header=BB292_806 Depth=1
	v_mov_b32_e32 v23, 0x8000
	s_mov_b32 s16, exec_lo
	v_cmpx_ne_u16_e32 0x80, v6
	s_cbranch_execz .LBB292_927
; %bb.922:                              ;   in Loop: Header=BB292_806 Depth=1
	v_bfe_u32 v32, v31, 16, 7
	v_mov_b32_e32 v23, 0x7c01
	s_mov_b32 s17, exec_lo
	s_delay_alu instid0(VALU_DEP_2)
	v_cmpx_ne_u32_e32 0x7f, v32
	s_cbranch_execz .LBB292_926
; %bb.923:                              ;   in Loop: Header=BB292_806 Depth=1
	v_and_b32_e32 v6, 7, v0
	v_lshrrev_b32_e32 v23, 3, v32
	s_mov_b32 s18, exec_lo
	v_cmpx_gt_u32_e32 8, v32
; %bb.924:                              ;   in Loop: Header=BB292_806 Depth=1
	s_delay_alu instid0(VALU_DEP_3) | instskip(NEXT) | instid1(VALU_DEP_1)
	v_clz_i32_u32_e32 v6, v6
	v_min_u32_e32 v6, 32, v6
	s_delay_alu instid0(VALU_DEP_1) | instskip(NEXT) | instid1(VALU_DEP_1)
	v_subrev_nc_u32_e32 v23, 28, v6
	v_lshlrev_b64_e32 v[32:33], v23, v[0:1]
	s_delay_alu instid0(VALU_DEP_1)
	v_dual_sub_nc_u32 v23, 29, v6 :: v_dual_bitop2_b32 v6, 7, v32 bitop3:0x40
; %bb.925:                              ;   in Loop: Header=BB292_806 Depth=1
	s_or_b32 exec_lo, exec_lo, s18
	s_delay_alu instid0(VALU_DEP_1) | instskip(NEXT) | instid1(VALU_DEP_2)
	v_dual_lshlrev_b32 v0, 8, v0 :: v_dual_lshlrev_b32 v6, 7, v6
	v_lshl_add_u32 v23, v23, 10, 0x2000
	s_delay_alu instid0(VALU_DEP_2) | instskip(NEXT) | instid1(VALU_DEP_2)
	v_and_b32_e32 v0, 0x8000, v0
	v_and_b32_e32 v23, 0xfc00, v23
	s_delay_alu instid0(VALU_DEP_1)
	v_or3_b32 v23, v0, v23, v6
.LBB292_926:                            ;   in Loop: Header=BB292_806 Depth=1
	s_or_b32 exec_lo, exec_lo, s17
.LBB292_927:                            ;   in Loop: Header=BB292_806 Depth=1
	s_delay_alu instid0(SALU_CYCLE_1)
	s_or_b32 exec_lo, exec_lo, s16
.LBB292_928:                            ;   in Loop: Header=BB292_806 Depth=1
	s_delay_alu instid0(SALU_CYCLE_1)
	s_or_b32 exec_lo, exec_lo, s15
	v_mov_b32_e32 v0, 0
	s_mov_b32 s15, exec_lo
	v_cmpx_lt_u64_e64 s[2:3], v[30:31]
	s_cbranch_execz .LBB292_936
; %bb.929:                              ;   in Loop: Header=BB292_806 Depth=1
	v_lshrrev_b32_e32 v6, 24, v31
	v_bfrev_b32_e32 v0, 1
	s_mov_b32 s16, exec_lo
	s_delay_alu instid0(VALU_DEP_2)
	v_cmpx_ne_u32_e32 0x80, v6
	s_cbranch_execz .LBB292_935
; %bb.930:                              ;   in Loop: Header=BB292_806 Depth=1
	v_and_b32_e32 v31, 0x7f, v6
	v_mov_b32_e32 v0, 0x7c010000
	s_mov_b32 s17, exec_lo
	s_delay_alu instid0(VALU_DEP_2)
	v_cmpx_ne_u32_e32 0x7f, v31
	s_cbranch_execz .LBB292_934
; %bb.931:                              ;   in Loop: Header=BB292_806 Depth=1
	v_dual_lshrrev_b32 v30, 3, v31 :: v_dual_bitop2_b32 v0, 7, v6 bitop3:0x40
	s_mov_b32 s18, exec_lo
	v_cmpx_gt_u32_e32 8, v31
; %bb.932:                              ;   in Loop: Header=BB292_806 Depth=1
	s_delay_alu instid0(VALU_DEP_2) | instskip(NEXT) | instid1(VALU_DEP_1)
	v_clz_i32_u32_e32 v0, v0
	v_min_u32_e32 v0, 32, v0
	s_delay_alu instid0(VALU_DEP_1) | instskip(NEXT) | instid1(VALU_DEP_1)
	v_subrev_nc_u32_e32 v30, 28, v0
	v_lshlrev_b64_e32 v[32:33], v30, v[6:7]
	v_sub_nc_u32_e32 v30, 29, v0
	s_delay_alu instid0(VALU_DEP_2)
	v_and_b32_e32 v0, 7, v32
; %bb.933:                              ;   in Loop: Header=BB292_806 Depth=1
	s_or_b32 exec_lo, exec_lo, s18
	s_delay_alu instid0(VALU_DEP_1) | instskip(NEXT) | instid1(VALU_DEP_3)
	v_dual_lshlrev_b32 v6, 8, v6 :: v_dual_lshlrev_b32 v0, 23, v0
	v_lshl_add_u32 v30, v30, 10, 0x2000
	s_delay_alu instid0(VALU_DEP_1) | instskip(NEXT) | instid1(VALU_DEP_1)
	v_and_or_b32 v6, 0x8000, v6, v30
	v_lshl_or_b32 v0, v6, 16, v0
.LBB292_934:                            ;   in Loop: Header=BB292_806 Depth=1
	s_or_b32 exec_lo, exec_lo, s17
.LBB292_935:                            ;   in Loop: Header=BB292_806 Depth=1
	s_delay_alu instid0(SALU_CYCLE_1)
	s_or_b32 exec_lo, exec_lo, s16
.LBB292_936:                            ;   in Loop: Header=BB292_806 Depth=1
	s_delay_alu instid0(SALU_CYCLE_1) | instskip(SKIP_3) | instid1(VALU_DEP_3)
	s_or_b32 exec_lo, exec_lo, s15
	v_dual_lshrrev_b32 v6, 16, v1 :: v_dual_lshrrev_b32 v30, 16, v18
	v_or_b32_e32 v1, v1, v16
	v_or_b32_e32 v16, v18, v19
	v_cvt_f32_f16_e32 v19, v6
	s_delay_alu instid0(VALU_DEP_4)
	v_cvt_f32_f16_e32 v18, v30
	v_dual_lshrrev_b32 v23, 16, v29 :: v_dual_bitop2_b32 v6, v0, v23 bitop3:0x54
	v_lshrrev_b32_e32 v30, 16, v0
	v_cvt_f32_f16_e32 v0, v16
	v_cvt_f32_f16_e32 v1, v1
	v_or_b32_e32 v16, v29, v22
	s_wait_loadcnt_dscnt 0x0
	v_pk_mul_f32 v[18:19], v[28:29], v[18:19] op_sel_hi:[0,1]
	v_cvt_f32_f16_e32 v23, v23
	v_cvt_f32_f16_e32 v22, v30
	v_pk_mul_f32 v[0:1], v[28:29], v[0:1] op_sel_hi:[0,1]
	v_cvt_f32_f16_e32 v31, v16
	s_delay_alu instid0(VALU_DEP_2) | instskip(NEXT) | instid1(VALU_DEP_1)
	v_cvt_pk_f16_f32 v0, v0, v1
	v_lshrrev_b32_e32 v35, 16, v0
	v_cvt_f32_f16_e32 v30, v6
	v_cvt_pk_f16_f32 v6, v18, v19
	v_pk_mul_f32 v[18:19], v[28:29], v[22:23] op_sel_hi:[0,1]
	v_and_b32_e32 v34, 0xffff, v0
	s_delay_alu instid0(VALU_DEP_4) | instskip(NEXT) | instid1(VALU_DEP_4)
	v_pk_mul_f32 v[22:23], v[28:29], v[30:31] op_sel_hi:[0,1]
	v_and_b32_e32 v29, 0xffff0000, v6
	s_delay_alu instid0(VALU_DEP_4) | instskip(SKIP_1) | instid1(VALU_DEP_4)
	v_cvt_pk_f16_f32 v16, v18, v19
	v_lshlrev_b32_e32 v28, 16, v6
	v_cvt_pk_f16_f32 v6, v22, v23
	s_delay_alu instid0(VALU_DEP_4) | instskip(NEXT) | instid1(VALU_DEP_4)
	v_or_b32_e32 v33, v29, v35
	v_and_b32_e32 v1, 0xffff0000, v16
	s_delay_alu instid0(VALU_DEP_4) | instskip(NEXT) | instid1(VALU_DEP_4)
	v_dual_lshlrev_b32 v0, 16, v16 :: v_dual_bitop2_b32 v32, v28, v34 bitop3:0x54
	v_lshrrev_b32_e32 v19, 16, v6
	v_and_b32_e32 v6, 0xffff, v6
	s_delay_alu instid0(VALU_DEP_2) | instskip(NEXT) | instid1(VALU_DEP_2)
	v_or_b32_e32 v31, v1, v19
	v_or_b32_e32 v30, v0, v6
	s_and_saveexec_b32 s15, vcc_lo
	s_cbranch_execz .LBB292_938
; %bb.937:                              ;   in Loop: Header=BB292_806 Depth=1
	v_cmp_lt_i32_e64 s0, v49, v13
	s_delay_alu instid0(VALU_DEP_1) | instskip(SKIP_1) | instid1(VALU_DEP_1)
	v_cndmask_b32_e64 v16, 0, v35, s0
	v_cmp_lt_i32_e64 s0, v66, v116
	v_cndmask_b32_e64 v18, 0, v34, s0
	v_cmp_lt_i32_e64 s0, v65, v13
	s_delay_alu instid0(VALU_DEP_1) | instskip(SKIP_1) | instid1(VALU_DEP_1)
	v_cndmask_b32_e64 v22, 0, v29, s0
	v_cmp_lt_i32_e64 s0, v64, v116
	v_cndmask_b32_e64 v23, 0, v28, s0
	v_cmp_lt_i32_e64 s0, v55, v13
	s_delay_alu instid0(VALU_DEP_4) | instskip(NEXT) | instid1(VALU_DEP_3)
	v_or_b32_e32 v33, v16, v22
	v_or_b32_e32 v32, v18, v23
	s_delay_alu instid0(VALU_DEP_3) | instskip(SKIP_1) | instid1(VALU_DEP_1)
	v_cndmask_b32_e64 v19, 0, v19, s0
	v_cmp_lt_i32_e64 s0, v54, v116
	v_cndmask_b32_e64 v6, 0, v6, s0
	v_cmp_lt_i32_e64 s0, v53, v13
	s_delay_alu instid0(VALU_DEP_1) | instskip(SKIP_1) | instid1(VALU_DEP_1)
	v_cndmask_b32_e64 v1, 0, v1, s0
	v_cmp_lt_i32_e64 s0, v52, v116
	v_dual_cndmask_b32 v0, 0, v0, s0 :: v_dual_bitop2_b32 v31, v19, v1 bitop3:0x54
	s_delay_alu instid0(VALU_DEP_1)
	v_or_b32_e32 v30, v6, v0
.LBB292_938:                            ;   in Loop: Header=BB292_806 Depth=1
	s_or_b32 exec_lo, exec_lo, s15
	;;#ASMSTART
	v_pk_mul_f16 v0, v70, v33;

	;;#ASMEND
	;;#ASMSTART
	v_pk_mul_f16 v1, v69, v32;

	;;#ASMEND
	;;#ASMSTART
	v_pk_mul_f16 v6, v68, v31;

	;;#ASMEND
	;;#ASMSTART
	v_pk_mul_f16 v16, v67, v30;

	;;#ASMEND
	;;#ASMSTART
	v_pk_add_f16 v0, v0, v1;

	;;#ASMEND
	;;#ASMSTART
	v_pk_add_f16 v0, v0, v6;

	;;#ASMEND
	;; [unrolled: 4-line block ×3, first 2 shown]
	v_and_b32_e32 v1, 0xffff, v0
	v_lshrrev_b32_e32 v0, 16, v0
	;;#ASMSTART
	v_cvt_f32_f16 v81, v1;
	;;#ASMEND
	;;#ASMSTART
	v_cvt_f32_f16 v82, v0;
	;;#ASMEND
	flat_load_b64 v[30:31], v[14:15] offset:512
	scratch_load_b64 v[0:1], off, s32 offset:192 ; 8-byte Folded Reload
	v_mov_b32_e32 v16, 0
	s_mov_b32 s15, exec_lo
	s_wait_loadcnt 0x0
	flat_load_b32 v28, v[0:1]
	s_wait_dscnt 0x1
	s_wait_xcnt 0x0
	v_and_b32_e32 v0, 0xff, v30
	v_mov_b32_e32 v1, 0
	s_delay_alu instid0(VALU_DEP_2)
	v_cmpx_ne_u16_e32 0, v0
	s_cbranch_execz .LBB292_946
; %bb.939:                              ;   in Loop: Header=BB292_806 Depth=1
	v_mov_b32_e32 v16, 0x8000
	s_mov_b32 s16, exec_lo
	v_cmpx_ne_u16_e32 0x80, v0
	s_cbranch_execz .LBB292_945
; %bb.940:                              ;   in Loop: Header=BB292_806 Depth=1
	v_and_b32_e32 v18, 0x7f, v30
	v_mov_b32_e32 v16, 0x7c01
	s_mov_b32 s17, exec_lo
	s_delay_alu instid0(VALU_DEP_2)
	v_cmpx_ne_u32_e32 0x7f, v18
	s_cbranch_execz .LBB292_944
; %bb.941:                              ;   in Loop: Header=BB292_806 Depth=1
	v_and_b32_e32 v0, 7, v30
	v_lshrrev_b32_e32 v6, 3, v18
	s_mov_b32 s18, exec_lo
	v_cmpx_gt_u32_e32 8, v18
; %bb.942:                              ;   in Loop: Header=BB292_806 Depth=1
	s_delay_alu instid0(VALU_DEP_3) | instskip(NEXT) | instid1(VALU_DEP_1)
	v_clz_i32_u32_e32 v0, v0
	v_min_u32_e32 v0, 32, v0
	s_delay_alu instid0(VALU_DEP_1) | instskip(NEXT) | instid1(VALU_DEP_1)
	v_subrev_nc_u32_e32 v6, 28, v0
	v_lshlrev_b64_e32 v[18:19], v6, v[30:31]
	s_delay_alu instid0(VALU_DEP_1)
	v_dual_sub_nc_u32 v6, 29, v0 :: v_dual_bitop2_b32 v0, 7, v18 bitop3:0x40
; %bb.943:                              ;   in Loop: Header=BB292_806 Depth=1
	s_or_b32 exec_lo, exec_lo, s18
	s_delay_alu instid0(VALU_DEP_1) | instskip(NEXT) | instid1(VALU_DEP_2)
	v_dual_lshlrev_b32 v16, 8, v30 :: v_dual_lshlrev_b32 v0, 7, v0
	v_lshl_add_u32 v6, v6, 10, 0x2000
	s_delay_alu instid0(VALU_DEP_2) | instskip(NEXT) | instid1(VALU_DEP_2)
	v_and_b32_e32 v16, 0x8000, v16
	v_and_b32_e32 v6, 0xfc00, v6
	s_delay_alu instid0(VALU_DEP_1)
	v_or3_b32 v16, v16, v6, v0
.LBB292_944:                            ;   in Loop: Header=BB292_806 Depth=1
	s_or_b32 exec_lo, exec_lo, s17
.LBB292_945:                            ;   in Loop: Header=BB292_806 Depth=1
	s_delay_alu instid0(SALU_CYCLE_1)
	s_or_b32 exec_lo, exec_lo, s16
.LBB292_946:                            ;   in Loop: Header=BB292_806 Depth=1
	s_delay_alu instid0(SALU_CYCLE_1) | instskip(SKIP_2) | instid1(VALU_DEP_1)
	s_or_b32 exec_lo, exec_lo, s15
	v_lshrrev_b16 v6, 8, v30
	s_mov_b32 s15, exec_lo
	v_cmpx_ne_u16_e32 0, v6
	s_cbranch_execz .LBB292_954
; %bb.947:                              ;   in Loop: Header=BB292_806 Depth=1
	v_bfrev_b32_e32 v1, 1
	s_mov_b32 s16, exec_lo
	v_cmpx_ne_u16_e32 0x80, v6
	s_cbranch_execz .LBB292_953
; %bb.948:                              ;   in Loop: Header=BB292_806 Depth=1
	v_and_b32_e32 v0, 0xffff, v6
	v_mov_b32_e32 v1, 0x7c010000
	s_mov_b32 s17, exec_lo
	s_delay_alu instid0(VALU_DEP_2) | instskip(NEXT) | instid1(VALU_DEP_1)
	v_and_b32_e32 v19, 0x7f, v0
	v_cmpx_ne_u32_e32 0x7f, v19
	s_cbranch_execz .LBB292_952
; %bb.949:                              ;   in Loop: Header=BB292_806 Depth=1
	v_dual_lshrrev_b32 v18, 3, v19 :: v_dual_bitop2_b32 v1, 7, v0 bitop3:0x40
	s_mov_b32 s18, exec_lo
	v_cmpx_gt_u32_e32 8, v19
; %bb.950:                              ;   in Loop: Header=BB292_806 Depth=1
	s_delay_alu instid0(VALU_DEP_2) | instskip(NEXT) | instid1(VALU_DEP_1)
	v_clz_i32_u32_e32 v1, v1
	v_min_u32_e32 v1, 32, v1
	s_delay_alu instid0(VALU_DEP_1) | instskip(NEXT) | instid1(VALU_DEP_1)
	v_subrev_nc_u32_e32 v18, 28, v1
	v_lshlrev_b64_e32 v[22:23], v18, v[6:7]
	s_delay_alu instid0(VALU_DEP_1)
	v_dual_sub_nc_u32 v18, 29, v1 :: v_dual_bitop2_b32 v1, 7, v22 bitop3:0x40
; %bb.951:                              ;   in Loop: Header=BB292_806 Depth=1
	s_or_b32 exec_lo, exec_lo, s18
	s_delay_alu instid0(VALU_DEP_1) | instskip(NEXT) | instid1(VALU_DEP_2)
	v_dual_lshlrev_b32 v0, 8, v0 :: v_dual_lshlrev_b32 v1, 23, v1
	v_lshl_add_u32 v6, v18, 10, 0x2000
	s_delay_alu instid0(VALU_DEP_1) | instskip(NEXT) | instid1(VALU_DEP_1)
	v_and_or_b32 v0, 0x8000, v0, v6
	v_lshl_or_b32 v1, v0, 16, v1
.LBB292_952:                            ;   in Loop: Header=BB292_806 Depth=1
	s_or_b32 exec_lo, exec_lo, s17
.LBB292_953:                            ;   in Loop: Header=BB292_806 Depth=1
	s_delay_alu instid0(SALU_CYCLE_1)
	s_or_b32 exec_lo, exec_lo, s16
.LBB292_954:                            ;   in Loop: Header=BB292_806 Depth=1
	s_delay_alu instid0(SALU_CYCLE_1) | instskip(SKIP_3) | instid1(VALU_DEP_2)
	s_or_b32 exec_lo, exec_lo, s15
	v_dual_lshrrev_b32 v0, 16, v30 :: v_dual_mov_b32 v18, 0
	v_mov_b32_e32 v19, 0
	s_mov_b32 s15, exec_lo
	v_and_b32_e32 v6, 0xff, v0
	s_delay_alu instid0(VALU_DEP_1)
	v_cmpx_ne_u16_e32 0, v6
	s_cbranch_execz .LBB292_962
; %bb.955:                              ;   in Loop: Header=BB292_806 Depth=1
	v_mov_b32_e32 v19, 0x8000
	s_mov_b32 s16, exec_lo
	v_cmpx_ne_u16_e32 0x80, v6
	s_cbranch_execz .LBB292_961
; %bb.956:                              ;   in Loop: Header=BB292_806 Depth=1
	v_bfe_u32 v22, v30, 16, 7
	v_mov_b32_e32 v19, 0x7c01
	s_mov_b32 s17, exec_lo
	s_delay_alu instid0(VALU_DEP_2)
	v_cmpx_ne_u32_e32 0x7f, v22
	s_cbranch_execz .LBB292_960
; %bb.957:                              ;   in Loop: Header=BB292_806 Depth=1
	v_dual_lshrrev_b32 v19, 3, v22 :: v_dual_bitop2_b32 v6, 7, v0 bitop3:0x40
	s_mov_b32 s18, exec_lo
	v_cmpx_gt_u32_e32 8, v22
; %bb.958:                              ;   in Loop: Header=BB292_806 Depth=1
	s_delay_alu instid0(VALU_DEP_2) | instskip(NEXT) | instid1(VALU_DEP_1)
	v_clz_i32_u32_e32 v6, v6
	v_min_u32_e32 v6, 32, v6
	s_delay_alu instid0(VALU_DEP_1) | instskip(NEXT) | instid1(VALU_DEP_1)
	v_subrev_nc_u32_e32 v19, 28, v6
	v_lshlrev_b64_e32 v[22:23], v19, v[0:1]
	v_sub_nc_u32_e32 v19, 29, v6
	s_delay_alu instid0(VALU_DEP_2)
	v_and_b32_e32 v6, 7, v22
; %bb.959:                              ;   in Loop: Header=BB292_806 Depth=1
	s_or_b32 exec_lo, exec_lo, s18
	s_delay_alu instid0(VALU_DEP_1) | instskip(NEXT) | instid1(VALU_DEP_3)
	v_dual_lshlrev_b32 v0, 8, v0 :: v_dual_lshlrev_b32 v6, 7, v6
	v_lshl_add_u32 v19, v19, 10, 0x2000
	s_delay_alu instid0(VALU_DEP_2) | instskip(NEXT) | instid1(VALU_DEP_2)
	v_and_b32_e32 v0, 0x8000, v0
	v_and_b32_e32 v19, 0xfc00, v19
	s_delay_alu instid0(VALU_DEP_1)
	v_or3_b32 v19, v0, v19, v6
.LBB292_960:                            ;   in Loop: Header=BB292_806 Depth=1
	s_or_b32 exec_lo, exec_lo, s17
.LBB292_961:                            ;   in Loop: Header=BB292_806 Depth=1
	s_delay_alu instid0(SALU_CYCLE_1)
	s_or_b32 exec_lo, exec_lo, s16
.LBB292_962:                            ;   in Loop: Header=BB292_806 Depth=1
	s_delay_alu instid0(SALU_CYCLE_1) | instskip(NEXT) | instid1(SALU_CYCLE_1)
	s_or_b32 exec_lo, exec_lo, s15
	s_mov_b32 s15, exec_lo
	v_cmpx_lt_u32_e32 0xffffff, v30
	s_cbranch_execz .LBB292_970
; %bb.963:                              ;   in Loop: Header=BB292_806 Depth=1
	v_lshrrev_b32_e32 v6, 24, v30
	v_bfrev_b32_e32 v18, 1
	s_mov_b32 s16, exec_lo
	s_delay_alu instid0(VALU_DEP_2)
	v_cmpx_ne_u32_e32 0x80, v6
	s_cbranch_execz .LBB292_969
; %bb.964:                              ;   in Loop: Header=BB292_806 Depth=1
	v_and_b32_e32 v22, 0x7f, v6
	v_mov_b32_e32 v18, 0x7c010000
	s_mov_b32 s17, exec_lo
	s_delay_alu instid0(VALU_DEP_2)
	v_cmpx_ne_u32_e32 0x7f, v22
	s_cbranch_execz .LBB292_968
; %bb.965:                              ;   in Loop: Header=BB292_806 Depth=1
	v_and_b32_e32 v0, 7, v6
	v_lshrrev_b32_e32 v18, 3, v22
	s_mov_b32 s18, exec_lo
	v_cmpx_gt_u32_e32 8, v22
; %bb.966:                              ;   in Loop: Header=BB292_806 Depth=1
	s_delay_alu instid0(VALU_DEP_3) | instskip(NEXT) | instid1(VALU_DEP_1)
	v_clz_i32_u32_e32 v0, v0
	v_min_u32_e32 v0, 32, v0
	s_delay_alu instid0(VALU_DEP_1) | instskip(NEXT) | instid1(VALU_DEP_1)
	v_subrev_nc_u32_e32 v18, 28, v0
	v_lshlrev_b64_e32 v[22:23], v18, v[6:7]
	s_delay_alu instid0(VALU_DEP_1)
	v_dual_sub_nc_u32 v18, 29, v0 :: v_dual_bitop2_b32 v0, 7, v22 bitop3:0x40
; %bb.967:                              ;   in Loop: Header=BB292_806 Depth=1
	s_or_b32 exec_lo, exec_lo, s18
	s_delay_alu instid0(VALU_DEP_1) | instskip(NEXT) | instid1(VALU_DEP_2)
	v_dual_lshlrev_b32 v6, 8, v6 :: v_dual_lshlrev_b32 v0, 23, v0
	v_lshl_add_u32 v18, v18, 10, 0x2000
	s_delay_alu instid0(VALU_DEP_1) | instskip(NEXT) | instid1(VALU_DEP_1)
	v_and_or_b32 v6, 0x8000, v6, v18
	v_lshl_or_b32 v18, v6, 16, v0
.LBB292_968:                            ;   in Loop: Header=BB292_806 Depth=1
	s_or_b32 exec_lo, exec_lo, s17
.LBB292_969:                            ;   in Loop: Header=BB292_806 Depth=1
	s_delay_alu instid0(SALU_CYCLE_1)
	s_or_b32 exec_lo, exec_lo, s16
.LBB292_970:                            ;   in Loop: Header=BB292_806 Depth=1
	s_delay_alu instid0(SALU_CYCLE_1) | instskip(SKIP_4) | instid1(VALU_DEP_3)
	s_or_b32 exec_lo, exec_lo, s15
	v_and_b32_e32 v0, 0xff, v31
	v_dual_mov_b32 v6, v31 :: v_dual_mov_b32 v23, 0
	v_mov_b32_e32 v22, 0
	s_mov_b32 s15, exec_lo
	v_cmpx_ne_u16_e32 0, v0
	s_cbranch_execz .LBB292_978
; %bb.971:                              ;   in Loop: Header=BB292_806 Depth=1
	v_mov_b32_e32 v22, 0x8000
	s_mov_b32 s16, exec_lo
	v_cmpx_ne_u16_e32 0x80, v0
	s_cbranch_execz .LBB292_977
; %bb.972:                              ;   in Loop: Header=BB292_806 Depth=1
	v_and_b32_e32 v29, 0x7f, v31
	v_mov_b32_e32 v22, 0x7c01
	s_mov_b32 s17, exec_lo
	s_delay_alu instid0(VALU_DEP_2)
	v_cmpx_ne_u32_e32 0x7f, v29
	s_cbranch_execz .LBB292_976
; %bb.973:                              ;   in Loop: Header=BB292_806 Depth=1
	v_dual_lshrrev_b32 v22, 3, v29 :: v_dual_bitop2_b32 v0, 7, v31 bitop3:0x40
	s_mov_b32 s18, exec_lo
	v_cmpx_gt_u32_e32 8, v29
; %bb.974:                              ;   in Loop: Header=BB292_806 Depth=1
	s_delay_alu instid0(VALU_DEP_2) | instskip(NEXT) | instid1(VALU_DEP_1)
	v_clz_i32_u32_e32 v0, v0
	v_min_u32_e32 v0, 32, v0
	s_delay_alu instid0(VALU_DEP_1) | instskip(NEXT) | instid1(VALU_DEP_1)
	v_subrev_nc_u32_e32 v22, 28, v0
	v_lshlrev_b64_e32 v[32:33], v22, v[6:7]
	v_sub_nc_u32_e32 v22, 29, v0
	s_delay_alu instid0(VALU_DEP_2)
	v_and_b32_e32 v0, 7, v32
; %bb.975:                              ;   in Loop: Header=BB292_806 Depth=1
	s_or_b32 exec_lo, exec_lo, s18
	s_delay_alu instid0(VALU_DEP_1) | instskip(NEXT) | instid1(VALU_DEP_3)
	v_dual_lshlrev_b32 v29, 8, v31 :: v_dual_lshlrev_b32 v0, 7, v0
	v_lshl_add_u32 v22, v22, 10, 0x2000
	s_delay_alu instid0(VALU_DEP_2) | instskip(NEXT) | instid1(VALU_DEP_2)
	v_and_b32_e32 v29, 0x8000, v29
	v_and_b32_e32 v22, 0xfc00, v22
	s_delay_alu instid0(VALU_DEP_1)
	v_or3_b32 v22, v29, v22, v0
.LBB292_976:                            ;   in Loop: Header=BB292_806 Depth=1
	s_or_b32 exec_lo, exec_lo, s17
.LBB292_977:                            ;   in Loop: Header=BB292_806 Depth=1
	s_delay_alu instid0(SALU_CYCLE_1)
	s_or_b32 exec_lo, exec_lo, s16
.LBB292_978:                            ;   in Loop: Header=BB292_806 Depth=1
	s_delay_alu instid0(SALU_CYCLE_1) | instskip(SKIP_3) | instid1(VALU_DEP_2)
	s_or_b32 exec_lo, exec_lo, s15
	v_lshrrev_b16 v6, 8, v6
	v_mov_b32_e32 v29, 0
	s_mov_b32 s15, exec_lo
	v_cmpx_ne_u16_e32 0, v6
	s_cbranch_execz .LBB292_986
; %bb.979:                              ;   in Loop: Header=BB292_806 Depth=1
	v_bfrev_b32_e32 v29, 1
	s_mov_b32 s16, exec_lo
	v_cmpx_ne_u16_e32 0x80, v6
	s_cbranch_execz .LBB292_985
; %bb.980:                              ;   in Loop: Header=BB292_806 Depth=1
	v_and_b32_e32 v0, 0xffff, v6
	v_mov_b32_e32 v29, 0x7c010000
	s_mov_b32 s17, exec_lo
	s_delay_alu instid0(VALU_DEP_2) | instskip(NEXT) | instid1(VALU_DEP_1)
	v_and_b32_e32 v33, 0x7f, v0
	v_cmpx_ne_u32_e32 0x7f, v33
	s_cbranch_execz .LBB292_984
; %bb.981:                              ;   in Loop: Header=BB292_806 Depth=1
	v_dual_lshrrev_b32 v32, 3, v33 :: v_dual_bitop2_b32 v29, 7, v0 bitop3:0x40
	s_mov_b32 s18, exec_lo
	v_cmpx_gt_u32_e32 8, v33
; %bb.982:                              ;   in Loop: Header=BB292_806 Depth=1
	s_delay_alu instid0(VALU_DEP_2) | instskip(NEXT) | instid1(VALU_DEP_1)
	v_clz_i32_u32_e32 v29, v29
	v_min_u32_e32 v29, 32, v29
	s_delay_alu instid0(VALU_DEP_1) | instskip(NEXT) | instid1(VALU_DEP_1)
	v_subrev_nc_u32_e32 v32, 28, v29
	v_lshlrev_b64_e32 v[34:35], v32, v[6:7]
	s_delay_alu instid0(VALU_DEP_1)
	v_dual_sub_nc_u32 v32, 29, v29 :: v_dual_bitop2_b32 v29, 7, v34 bitop3:0x40
; %bb.983:                              ;   in Loop: Header=BB292_806 Depth=1
	s_or_b32 exec_lo, exec_lo, s18
	v_lshlrev_b32_e32 v0, 8, v0
	s_delay_alu instid0(VALU_DEP_2) | instskip(NEXT) | instid1(VALU_DEP_1)
	v_lshl_add_u32 v6, v32, 10, 0x2000
	v_and_or_b32 v0, 0x8000, v0, v6
	v_lshlrev_b32_e32 v6, 23, v29
	s_delay_alu instid0(VALU_DEP_1)
	v_lshl_or_b32 v29, v0, 16, v6
.LBB292_984:                            ;   in Loop: Header=BB292_806 Depth=1
	s_or_b32 exec_lo, exec_lo, s17
.LBB292_985:                            ;   in Loop: Header=BB292_806 Depth=1
	s_delay_alu instid0(SALU_CYCLE_1)
	s_or_b32 exec_lo, exec_lo, s16
.LBB292_986:                            ;   in Loop: Header=BB292_806 Depth=1
	s_delay_alu instid0(SALU_CYCLE_1) | instskip(SKIP_2) | instid1(VALU_DEP_1)
	s_or_b32 exec_lo, exec_lo, s15
	v_lshrrev_b32_e32 v0, 16, v31
	s_mov_b32 s15, exec_lo
	v_and_b32_e32 v6, 0xff, v0
	s_delay_alu instid0(VALU_DEP_1)
	v_cmpx_ne_u16_e32 0, v6
	s_cbranch_execz .LBB292_994
; %bb.987:                              ;   in Loop: Header=BB292_806 Depth=1
	v_mov_b32_e32 v23, 0x8000
	s_mov_b32 s16, exec_lo
	v_cmpx_ne_u16_e32 0x80, v6
	s_cbranch_execz .LBB292_993
; %bb.988:                              ;   in Loop: Header=BB292_806 Depth=1
	v_bfe_u32 v32, v31, 16, 7
	v_mov_b32_e32 v23, 0x7c01
	s_mov_b32 s17, exec_lo
	s_delay_alu instid0(VALU_DEP_2)
	v_cmpx_ne_u32_e32 0x7f, v32
	s_cbranch_execz .LBB292_992
; %bb.989:                              ;   in Loop: Header=BB292_806 Depth=1
	v_and_b32_e32 v6, 7, v0
	v_lshrrev_b32_e32 v23, 3, v32
	s_mov_b32 s18, exec_lo
	v_cmpx_gt_u32_e32 8, v32
; %bb.990:                              ;   in Loop: Header=BB292_806 Depth=1
	s_delay_alu instid0(VALU_DEP_3) | instskip(NEXT) | instid1(VALU_DEP_1)
	v_clz_i32_u32_e32 v6, v6
	v_min_u32_e32 v6, 32, v6
	s_delay_alu instid0(VALU_DEP_1) | instskip(NEXT) | instid1(VALU_DEP_1)
	v_subrev_nc_u32_e32 v23, 28, v6
	v_lshlrev_b64_e32 v[32:33], v23, v[0:1]
	s_delay_alu instid0(VALU_DEP_1)
	v_dual_sub_nc_u32 v23, 29, v6 :: v_dual_bitop2_b32 v6, 7, v32 bitop3:0x40
; %bb.991:                              ;   in Loop: Header=BB292_806 Depth=1
	s_or_b32 exec_lo, exec_lo, s18
	s_delay_alu instid0(VALU_DEP_1) | instskip(NEXT) | instid1(VALU_DEP_2)
	v_dual_lshlrev_b32 v0, 8, v0 :: v_dual_lshlrev_b32 v6, 7, v6
	v_lshl_add_u32 v23, v23, 10, 0x2000
	s_delay_alu instid0(VALU_DEP_2) | instskip(NEXT) | instid1(VALU_DEP_2)
	v_and_b32_e32 v0, 0x8000, v0
	v_and_b32_e32 v23, 0xfc00, v23
	s_delay_alu instid0(VALU_DEP_1)
	v_or3_b32 v23, v0, v23, v6
.LBB292_992:                            ;   in Loop: Header=BB292_806 Depth=1
	s_or_b32 exec_lo, exec_lo, s17
.LBB292_993:                            ;   in Loop: Header=BB292_806 Depth=1
	s_delay_alu instid0(SALU_CYCLE_1)
	s_or_b32 exec_lo, exec_lo, s16
.LBB292_994:                            ;   in Loop: Header=BB292_806 Depth=1
	s_delay_alu instid0(SALU_CYCLE_1)
	s_or_b32 exec_lo, exec_lo, s15
	v_mov_b32_e32 v0, 0
	s_mov_b32 s15, exec_lo
	v_cmpx_lt_u64_e64 s[2:3], v[30:31]
	s_cbranch_execz .LBB292_1002
; %bb.995:                              ;   in Loop: Header=BB292_806 Depth=1
	v_lshrrev_b32_e32 v6, 24, v31
	v_bfrev_b32_e32 v0, 1
	s_mov_b32 s16, exec_lo
	s_delay_alu instid0(VALU_DEP_2)
	v_cmpx_ne_u32_e32 0x80, v6
	s_cbranch_execz .LBB292_1001
; %bb.996:                              ;   in Loop: Header=BB292_806 Depth=1
	v_and_b32_e32 v31, 0x7f, v6
	v_mov_b32_e32 v0, 0x7c010000
	s_mov_b32 s17, exec_lo
	s_delay_alu instid0(VALU_DEP_2)
	v_cmpx_ne_u32_e32 0x7f, v31
	s_cbranch_execz .LBB292_1000
; %bb.997:                              ;   in Loop: Header=BB292_806 Depth=1
	v_dual_lshrrev_b32 v30, 3, v31 :: v_dual_bitop2_b32 v0, 7, v6 bitop3:0x40
	s_mov_b32 s18, exec_lo
	v_cmpx_gt_u32_e32 8, v31
; %bb.998:                              ;   in Loop: Header=BB292_806 Depth=1
	s_delay_alu instid0(VALU_DEP_2) | instskip(NEXT) | instid1(VALU_DEP_1)
	v_clz_i32_u32_e32 v0, v0
	v_min_u32_e32 v0, 32, v0
	s_delay_alu instid0(VALU_DEP_1) | instskip(NEXT) | instid1(VALU_DEP_1)
	v_subrev_nc_u32_e32 v30, 28, v0
	v_lshlrev_b64_e32 v[32:33], v30, v[6:7]
	v_sub_nc_u32_e32 v30, 29, v0
	s_delay_alu instid0(VALU_DEP_2)
	v_and_b32_e32 v0, 7, v32
; %bb.999:                              ;   in Loop: Header=BB292_806 Depth=1
	s_or_b32 exec_lo, exec_lo, s18
	s_delay_alu instid0(VALU_DEP_1) | instskip(NEXT) | instid1(VALU_DEP_3)
	v_dual_lshlrev_b32 v6, 8, v6 :: v_dual_lshlrev_b32 v0, 23, v0
	v_lshl_add_u32 v30, v30, 10, 0x2000
	s_delay_alu instid0(VALU_DEP_1) | instskip(NEXT) | instid1(VALU_DEP_1)
	v_and_or_b32 v6, 0x8000, v6, v30
	v_lshl_or_b32 v0, v6, 16, v0
.LBB292_1000:                           ;   in Loop: Header=BB292_806 Depth=1
	s_or_b32 exec_lo, exec_lo, s17
.LBB292_1001:                           ;   in Loop: Header=BB292_806 Depth=1
	s_delay_alu instid0(SALU_CYCLE_1)
	s_or_b32 exec_lo, exec_lo, s16
.LBB292_1002:                           ;   in Loop: Header=BB292_806 Depth=1
	s_delay_alu instid0(SALU_CYCLE_1) | instskip(SKIP_3) | instid1(VALU_DEP_3)
	s_or_b32 exec_lo, exec_lo, s15
	v_dual_lshrrev_b32 v6, 16, v1 :: v_dual_lshrrev_b32 v30, 16, v18
	v_or_b32_e32 v1, v1, v16
	v_or_b32_e32 v16, v18, v19
	v_cvt_f32_f16_e32 v19, v6
	s_delay_alu instid0(VALU_DEP_4)
	v_cvt_f32_f16_e32 v18, v30
	v_dual_lshrrev_b32 v23, 16, v29 :: v_dual_bitop2_b32 v6, v0, v23 bitop3:0x54
	v_lshrrev_b32_e32 v30, 16, v0
	v_cvt_f32_f16_e32 v0, v16
	v_cvt_f32_f16_e32 v1, v1
	v_or_b32_e32 v16, v29, v22
	s_wait_loadcnt_dscnt 0x0
	v_pk_mul_f32 v[18:19], v[28:29], v[18:19] op_sel_hi:[0,1]
	v_cvt_f32_f16_e32 v23, v23
	v_cvt_f32_f16_e32 v22, v30
	v_pk_mul_f32 v[0:1], v[28:29], v[0:1] op_sel_hi:[0,1]
	v_cvt_f32_f16_e32 v31, v16
	s_delay_alu instid0(VALU_DEP_2) | instskip(NEXT) | instid1(VALU_DEP_1)
	v_cvt_pk_f16_f32 v0, v0, v1
	v_lshrrev_b32_e32 v35, 16, v0
	v_cvt_f32_f16_e32 v30, v6
	v_cvt_pk_f16_f32 v6, v18, v19
	v_pk_mul_f32 v[18:19], v[28:29], v[22:23] op_sel_hi:[0,1]
	v_and_b32_e32 v34, 0xffff, v0
	s_delay_alu instid0(VALU_DEP_4) | instskip(NEXT) | instid1(VALU_DEP_4)
	v_pk_mul_f32 v[22:23], v[28:29], v[30:31] op_sel_hi:[0,1]
	v_and_b32_e32 v29, 0xffff0000, v6
	s_delay_alu instid0(VALU_DEP_4) | instskip(SKIP_1) | instid1(VALU_DEP_4)
	v_cvt_pk_f16_f32 v16, v18, v19
	v_lshlrev_b32_e32 v28, 16, v6
	v_cvt_pk_f16_f32 v6, v22, v23
	s_delay_alu instid0(VALU_DEP_4) | instskip(NEXT) | instid1(VALU_DEP_4)
	v_or_b32_e32 v33, v29, v35
	v_and_b32_e32 v1, 0xffff0000, v16
	s_delay_alu instid0(VALU_DEP_4) | instskip(NEXT) | instid1(VALU_DEP_4)
	v_dual_lshlrev_b32 v0, 16, v16 :: v_dual_bitop2_b32 v32, v28, v34 bitop3:0x54
	v_lshrrev_b32_e32 v19, 16, v6
	v_and_b32_e32 v6, 0xffff, v6
	s_delay_alu instid0(VALU_DEP_2) | instskip(NEXT) | instid1(VALU_DEP_2)
	v_or_b32_e32 v31, v1, v19
	v_or_b32_e32 v30, v0, v6
	s_and_saveexec_b32 s15, vcc_lo
	s_cbranch_execz .LBB292_1004
; %bb.1003:                             ;   in Loop: Header=BB292_806 Depth=1
	v_cmp_lt_i32_e64 s0, v49, v13
	s_delay_alu instid0(VALU_DEP_1) | instskip(SKIP_1) | instid1(VALU_DEP_1)
	v_cndmask_b32_e64 v16, 0, v35, s0
	v_cmp_lt_i32_e64 s0, v66, v116
	v_cndmask_b32_e64 v18, 0, v34, s0
	v_cmp_lt_i32_e64 s0, v65, v13
	s_delay_alu instid0(VALU_DEP_1) | instskip(SKIP_1) | instid1(VALU_DEP_1)
	v_cndmask_b32_e64 v22, 0, v29, s0
	v_cmp_lt_i32_e64 s0, v64, v116
	v_cndmask_b32_e64 v23, 0, v28, s0
	v_cmp_lt_i32_e64 s0, v55, v13
	s_delay_alu instid0(VALU_DEP_4) | instskip(NEXT) | instid1(VALU_DEP_3)
	v_or_b32_e32 v33, v16, v22
	v_or_b32_e32 v32, v18, v23
	s_delay_alu instid0(VALU_DEP_3) | instskip(SKIP_1) | instid1(VALU_DEP_1)
	v_cndmask_b32_e64 v19, 0, v19, s0
	v_cmp_lt_i32_e64 s0, v54, v116
	v_cndmask_b32_e64 v6, 0, v6, s0
	v_cmp_lt_i32_e64 s0, v53, v13
	s_delay_alu instid0(VALU_DEP_1) | instskip(SKIP_1) | instid1(VALU_DEP_1)
	v_cndmask_b32_e64 v1, 0, v1, s0
	v_cmp_lt_i32_e64 s0, v52, v116
	v_dual_cndmask_b32 v0, 0, v0, s0 :: v_dual_bitop2_b32 v31, v19, v1 bitop3:0x54
	s_delay_alu instid0(VALU_DEP_1)
	v_or_b32_e32 v30, v6, v0
.LBB292_1004:                           ;   in Loop: Header=BB292_806 Depth=1
	s_or_b32 exec_lo, exec_lo, s15
	;;#ASMSTART
	v_pk_mul_f16 v0, v70, v33;

	;;#ASMEND
	;;#ASMSTART
	v_pk_mul_f16 v1, v69, v32;

	;;#ASMEND
	;; [unrolled: 4-line block ×4, first 2 shown]
	;;#ASMSTART
	v_pk_add_f16 v0, v0, v1;

	;;#ASMEND
	;;#ASMSTART
	v_pk_add_f16 v0, v0, v6;

	;;#ASMEND
	;; [unrolled: 4-line block ×3, first 2 shown]
	v_and_b32_e32 v1, 0xffff, v0
	v_lshrrev_b32_e32 v0, 16, v0
	;;#ASMSTART
	v_cvt_f32_f16 v83, v1;
	;;#ASMEND
	;;#ASMSTART
	v_cvt_f32_f16 v84, v0;
	;;#ASMEND
	flat_load_b64 v[30:31], v[14:15] offset:768
	scratch_load_b64 v[0:1], off, s32 offset:192 ; 8-byte Folded Reload
	v_mov_b32_e32 v16, 0
	s_mov_b32 s15, exec_lo
	s_wait_loadcnt 0x0
	flat_load_b32 v28, v[0:1]
	s_wait_dscnt 0x1
	s_wait_xcnt 0x0
	v_and_b32_e32 v0, 0xff, v30
	v_mov_b32_e32 v1, 0
	s_delay_alu instid0(VALU_DEP_2)
	v_cmpx_ne_u16_e32 0, v0
	s_cbranch_execz .LBB292_1012
; %bb.1005:                             ;   in Loop: Header=BB292_806 Depth=1
	v_mov_b32_e32 v16, 0x8000
	s_mov_b32 s16, exec_lo
	v_cmpx_ne_u16_e32 0x80, v0
	s_cbranch_execz .LBB292_1011
; %bb.1006:                             ;   in Loop: Header=BB292_806 Depth=1
	v_and_b32_e32 v18, 0x7f, v30
	v_mov_b32_e32 v16, 0x7c01
	s_mov_b32 s17, exec_lo
	s_delay_alu instid0(VALU_DEP_2)
	v_cmpx_ne_u32_e32 0x7f, v18
	s_cbranch_execz .LBB292_1010
; %bb.1007:                             ;   in Loop: Header=BB292_806 Depth=1
	v_and_b32_e32 v0, 7, v30
	v_lshrrev_b32_e32 v6, 3, v18
	s_mov_b32 s18, exec_lo
	v_cmpx_gt_u32_e32 8, v18
; %bb.1008:                             ;   in Loop: Header=BB292_806 Depth=1
	s_delay_alu instid0(VALU_DEP_3) | instskip(NEXT) | instid1(VALU_DEP_1)
	v_clz_i32_u32_e32 v0, v0
	v_min_u32_e32 v0, 32, v0
	s_delay_alu instid0(VALU_DEP_1) | instskip(NEXT) | instid1(VALU_DEP_1)
	v_subrev_nc_u32_e32 v6, 28, v0
	v_lshlrev_b64_e32 v[18:19], v6, v[30:31]
	s_delay_alu instid0(VALU_DEP_1)
	v_dual_sub_nc_u32 v6, 29, v0 :: v_dual_bitop2_b32 v0, 7, v18 bitop3:0x40
; %bb.1009:                             ;   in Loop: Header=BB292_806 Depth=1
	s_or_b32 exec_lo, exec_lo, s18
	s_delay_alu instid0(VALU_DEP_1) | instskip(NEXT) | instid1(VALU_DEP_2)
	v_dual_lshlrev_b32 v16, 8, v30 :: v_dual_lshlrev_b32 v0, 7, v0
	v_lshl_add_u32 v6, v6, 10, 0x2000
	s_delay_alu instid0(VALU_DEP_2) | instskip(NEXT) | instid1(VALU_DEP_2)
	v_and_b32_e32 v16, 0x8000, v16
	v_and_b32_e32 v6, 0xfc00, v6
	s_delay_alu instid0(VALU_DEP_1)
	v_or3_b32 v16, v16, v6, v0
.LBB292_1010:                           ;   in Loop: Header=BB292_806 Depth=1
	s_or_b32 exec_lo, exec_lo, s17
.LBB292_1011:                           ;   in Loop: Header=BB292_806 Depth=1
	s_delay_alu instid0(SALU_CYCLE_1)
	s_or_b32 exec_lo, exec_lo, s16
.LBB292_1012:                           ;   in Loop: Header=BB292_806 Depth=1
	s_delay_alu instid0(SALU_CYCLE_1) | instskip(SKIP_2) | instid1(VALU_DEP_1)
	s_or_b32 exec_lo, exec_lo, s15
	v_lshrrev_b16 v6, 8, v30
	s_mov_b32 s15, exec_lo
	v_cmpx_ne_u16_e32 0, v6
	s_cbranch_execz .LBB292_1020
; %bb.1013:                             ;   in Loop: Header=BB292_806 Depth=1
	v_bfrev_b32_e32 v1, 1
	s_mov_b32 s16, exec_lo
	v_cmpx_ne_u16_e32 0x80, v6
	s_cbranch_execz .LBB292_1019
; %bb.1014:                             ;   in Loop: Header=BB292_806 Depth=1
	v_and_b32_e32 v0, 0xffff, v6
	v_mov_b32_e32 v1, 0x7c010000
	s_mov_b32 s17, exec_lo
	s_delay_alu instid0(VALU_DEP_2) | instskip(NEXT) | instid1(VALU_DEP_1)
	v_and_b32_e32 v19, 0x7f, v0
	v_cmpx_ne_u32_e32 0x7f, v19
	s_cbranch_execz .LBB292_1018
; %bb.1015:                             ;   in Loop: Header=BB292_806 Depth=1
	v_dual_lshrrev_b32 v18, 3, v19 :: v_dual_bitop2_b32 v1, 7, v0 bitop3:0x40
	s_mov_b32 s18, exec_lo
	v_cmpx_gt_u32_e32 8, v19
; %bb.1016:                             ;   in Loop: Header=BB292_806 Depth=1
	s_delay_alu instid0(VALU_DEP_2) | instskip(NEXT) | instid1(VALU_DEP_1)
	v_clz_i32_u32_e32 v1, v1
	v_min_u32_e32 v1, 32, v1
	s_delay_alu instid0(VALU_DEP_1) | instskip(NEXT) | instid1(VALU_DEP_1)
	v_subrev_nc_u32_e32 v18, 28, v1
	v_lshlrev_b64_e32 v[22:23], v18, v[6:7]
	s_delay_alu instid0(VALU_DEP_1)
	v_dual_sub_nc_u32 v18, 29, v1 :: v_dual_bitop2_b32 v1, 7, v22 bitop3:0x40
; %bb.1017:                             ;   in Loop: Header=BB292_806 Depth=1
	s_or_b32 exec_lo, exec_lo, s18
	s_delay_alu instid0(VALU_DEP_1) | instskip(NEXT) | instid1(VALU_DEP_2)
	v_dual_lshlrev_b32 v0, 8, v0 :: v_dual_lshlrev_b32 v1, 23, v1
	v_lshl_add_u32 v6, v18, 10, 0x2000
	s_delay_alu instid0(VALU_DEP_1) | instskip(NEXT) | instid1(VALU_DEP_1)
	v_and_or_b32 v0, 0x8000, v0, v6
	v_lshl_or_b32 v1, v0, 16, v1
.LBB292_1018:                           ;   in Loop: Header=BB292_806 Depth=1
	s_or_b32 exec_lo, exec_lo, s17
.LBB292_1019:                           ;   in Loop: Header=BB292_806 Depth=1
	s_delay_alu instid0(SALU_CYCLE_1)
	s_or_b32 exec_lo, exec_lo, s16
.LBB292_1020:                           ;   in Loop: Header=BB292_806 Depth=1
	s_delay_alu instid0(SALU_CYCLE_1) | instskip(SKIP_3) | instid1(VALU_DEP_2)
	s_or_b32 exec_lo, exec_lo, s15
	v_dual_lshrrev_b32 v0, 16, v30 :: v_dual_mov_b32 v18, 0
	v_mov_b32_e32 v19, 0
	s_mov_b32 s15, exec_lo
	v_and_b32_e32 v6, 0xff, v0
	s_delay_alu instid0(VALU_DEP_1)
	v_cmpx_ne_u16_e32 0, v6
	s_cbranch_execz .LBB292_1028
; %bb.1021:                             ;   in Loop: Header=BB292_806 Depth=1
	v_mov_b32_e32 v19, 0x8000
	s_mov_b32 s16, exec_lo
	v_cmpx_ne_u16_e32 0x80, v6
	s_cbranch_execz .LBB292_1027
; %bb.1022:                             ;   in Loop: Header=BB292_806 Depth=1
	v_bfe_u32 v22, v30, 16, 7
	v_mov_b32_e32 v19, 0x7c01
	s_mov_b32 s17, exec_lo
	s_delay_alu instid0(VALU_DEP_2)
	v_cmpx_ne_u32_e32 0x7f, v22
	s_cbranch_execz .LBB292_1026
; %bb.1023:                             ;   in Loop: Header=BB292_806 Depth=1
	v_dual_lshrrev_b32 v19, 3, v22 :: v_dual_bitop2_b32 v6, 7, v0 bitop3:0x40
	s_mov_b32 s18, exec_lo
	v_cmpx_gt_u32_e32 8, v22
; %bb.1024:                             ;   in Loop: Header=BB292_806 Depth=1
	s_delay_alu instid0(VALU_DEP_2) | instskip(NEXT) | instid1(VALU_DEP_1)
	v_clz_i32_u32_e32 v6, v6
	v_min_u32_e32 v6, 32, v6
	s_delay_alu instid0(VALU_DEP_1) | instskip(NEXT) | instid1(VALU_DEP_1)
	v_subrev_nc_u32_e32 v19, 28, v6
	v_lshlrev_b64_e32 v[22:23], v19, v[0:1]
	v_sub_nc_u32_e32 v19, 29, v6
	s_delay_alu instid0(VALU_DEP_2)
	v_and_b32_e32 v6, 7, v22
; %bb.1025:                             ;   in Loop: Header=BB292_806 Depth=1
	s_or_b32 exec_lo, exec_lo, s18
	s_delay_alu instid0(VALU_DEP_1) | instskip(NEXT) | instid1(VALU_DEP_3)
	v_dual_lshlrev_b32 v0, 8, v0 :: v_dual_lshlrev_b32 v6, 7, v6
	v_lshl_add_u32 v19, v19, 10, 0x2000
	s_delay_alu instid0(VALU_DEP_2) | instskip(NEXT) | instid1(VALU_DEP_2)
	v_and_b32_e32 v0, 0x8000, v0
	v_and_b32_e32 v19, 0xfc00, v19
	s_delay_alu instid0(VALU_DEP_1)
	v_or3_b32 v19, v0, v19, v6
.LBB292_1026:                           ;   in Loop: Header=BB292_806 Depth=1
	s_or_b32 exec_lo, exec_lo, s17
.LBB292_1027:                           ;   in Loop: Header=BB292_806 Depth=1
	s_delay_alu instid0(SALU_CYCLE_1)
	s_or_b32 exec_lo, exec_lo, s16
.LBB292_1028:                           ;   in Loop: Header=BB292_806 Depth=1
	s_delay_alu instid0(SALU_CYCLE_1) | instskip(NEXT) | instid1(SALU_CYCLE_1)
	s_or_b32 exec_lo, exec_lo, s15
	s_mov_b32 s15, exec_lo
	v_cmpx_lt_u32_e32 0xffffff, v30
	s_cbranch_execz .LBB292_1036
; %bb.1029:                             ;   in Loop: Header=BB292_806 Depth=1
	v_lshrrev_b32_e32 v6, 24, v30
	v_bfrev_b32_e32 v18, 1
	s_mov_b32 s16, exec_lo
	s_delay_alu instid0(VALU_DEP_2)
	v_cmpx_ne_u32_e32 0x80, v6
	s_cbranch_execz .LBB292_1035
; %bb.1030:                             ;   in Loop: Header=BB292_806 Depth=1
	v_and_b32_e32 v22, 0x7f, v6
	v_mov_b32_e32 v18, 0x7c010000
	s_mov_b32 s17, exec_lo
	s_delay_alu instid0(VALU_DEP_2)
	v_cmpx_ne_u32_e32 0x7f, v22
	s_cbranch_execz .LBB292_1034
; %bb.1031:                             ;   in Loop: Header=BB292_806 Depth=1
	v_and_b32_e32 v0, 7, v6
	v_lshrrev_b32_e32 v18, 3, v22
	s_mov_b32 s18, exec_lo
	v_cmpx_gt_u32_e32 8, v22
; %bb.1032:                             ;   in Loop: Header=BB292_806 Depth=1
	s_delay_alu instid0(VALU_DEP_3) | instskip(NEXT) | instid1(VALU_DEP_1)
	v_clz_i32_u32_e32 v0, v0
	v_min_u32_e32 v0, 32, v0
	s_delay_alu instid0(VALU_DEP_1) | instskip(NEXT) | instid1(VALU_DEP_1)
	v_subrev_nc_u32_e32 v18, 28, v0
	v_lshlrev_b64_e32 v[22:23], v18, v[6:7]
	s_delay_alu instid0(VALU_DEP_1)
	v_dual_sub_nc_u32 v18, 29, v0 :: v_dual_bitop2_b32 v0, 7, v22 bitop3:0x40
; %bb.1033:                             ;   in Loop: Header=BB292_806 Depth=1
	s_or_b32 exec_lo, exec_lo, s18
	s_delay_alu instid0(VALU_DEP_1) | instskip(NEXT) | instid1(VALU_DEP_2)
	v_dual_lshlrev_b32 v6, 8, v6 :: v_dual_lshlrev_b32 v0, 23, v0
	v_lshl_add_u32 v18, v18, 10, 0x2000
	s_delay_alu instid0(VALU_DEP_1) | instskip(NEXT) | instid1(VALU_DEP_1)
	v_and_or_b32 v6, 0x8000, v6, v18
	v_lshl_or_b32 v18, v6, 16, v0
.LBB292_1034:                           ;   in Loop: Header=BB292_806 Depth=1
	s_or_b32 exec_lo, exec_lo, s17
.LBB292_1035:                           ;   in Loop: Header=BB292_806 Depth=1
	s_delay_alu instid0(SALU_CYCLE_1)
	s_or_b32 exec_lo, exec_lo, s16
.LBB292_1036:                           ;   in Loop: Header=BB292_806 Depth=1
	s_delay_alu instid0(SALU_CYCLE_1) | instskip(SKIP_4) | instid1(VALU_DEP_3)
	s_or_b32 exec_lo, exec_lo, s15
	v_and_b32_e32 v0, 0xff, v31
	v_dual_mov_b32 v6, v31 :: v_dual_mov_b32 v23, 0
	v_mov_b32_e32 v22, 0
	s_mov_b32 s15, exec_lo
	v_cmpx_ne_u16_e32 0, v0
	s_cbranch_execz .LBB292_1044
; %bb.1037:                             ;   in Loop: Header=BB292_806 Depth=1
	v_mov_b32_e32 v22, 0x8000
	s_mov_b32 s16, exec_lo
	v_cmpx_ne_u16_e32 0x80, v0
	s_cbranch_execz .LBB292_1043
; %bb.1038:                             ;   in Loop: Header=BB292_806 Depth=1
	v_and_b32_e32 v29, 0x7f, v31
	v_mov_b32_e32 v22, 0x7c01
	s_mov_b32 s17, exec_lo
	s_delay_alu instid0(VALU_DEP_2)
	v_cmpx_ne_u32_e32 0x7f, v29
	s_cbranch_execz .LBB292_1042
; %bb.1039:                             ;   in Loop: Header=BB292_806 Depth=1
	v_dual_lshrrev_b32 v22, 3, v29 :: v_dual_bitop2_b32 v0, 7, v31 bitop3:0x40
	s_mov_b32 s18, exec_lo
	v_cmpx_gt_u32_e32 8, v29
; %bb.1040:                             ;   in Loop: Header=BB292_806 Depth=1
	s_delay_alu instid0(VALU_DEP_2) | instskip(NEXT) | instid1(VALU_DEP_1)
	v_clz_i32_u32_e32 v0, v0
	v_min_u32_e32 v0, 32, v0
	s_delay_alu instid0(VALU_DEP_1) | instskip(NEXT) | instid1(VALU_DEP_1)
	v_subrev_nc_u32_e32 v22, 28, v0
	v_lshlrev_b64_e32 v[32:33], v22, v[6:7]
	v_sub_nc_u32_e32 v22, 29, v0
	s_delay_alu instid0(VALU_DEP_2)
	v_and_b32_e32 v0, 7, v32
; %bb.1041:                             ;   in Loop: Header=BB292_806 Depth=1
	s_or_b32 exec_lo, exec_lo, s18
	s_delay_alu instid0(VALU_DEP_1) | instskip(NEXT) | instid1(VALU_DEP_3)
	v_dual_lshlrev_b32 v29, 8, v31 :: v_dual_lshlrev_b32 v0, 7, v0
	v_lshl_add_u32 v22, v22, 10, 0x2000
	s_delay_alu instid0(VALU_DEP_2) | instskip(NEXT) | instid1(VALU_DEP_2)
	v_and_b32_e32 v29, 0x8000, v29
	v_and_b32_e32 v22, 0xfc00, v22
	s_delay_alu instid0(VALU_DEP_1)
	v_or3_b32 v22, v29, v22, v0
.LBB292_1042:                           ;   in Loop: Header=BB292_806 Depth=1
	s_or_b32 exec_lo, exec_lo, s17
.LBB292_1043:                           ;   in Loop: Header=BB292_806 Depth=1
	s_delay_alu instid0(SALU_CYCLE_1)
	s_or_b32 exec_lo, exec_lo, s16
.LBB292_1044:                           ;   in Loop: Header=BB292_806 Depth=1
	s_delay_alu instid0(SALU_CYCLE_1) | instskip(SKIP_3) | instid1(VALU_DEP_2)
	s_or_b32 exec_lo, exec_lo, s15
	v_lshrrev_b16 v6, 8, v6
	v_mov_b32_e32 v29, 0
	s_mov_b32 s15, exec_lo
	v_cmpx_ne_u16_e32 0, v6
	s_cbranch_execz .LBB292_1052
; %bb.1045:                             ;   in Loop: Header=BB292_806 Depth=1
	v_bfrev_b32_e32 v29, 1
	s_mov_b32 s16, exec_lo
	v_cmpx_ne_u16_e32 0x80, v6
	s_cbranch_execz .LBB292_1051
; %bb.1046:                             ;   in Loop: Header=BB292_806 Depth=1
	v_and_b32_e32 v0, 0xffff, v6
	v_mov_b32_e32 v29, 0x7c010000
	s_mov_b32 s17, exec_lo
	s_delay_alu instid0(VALU_DEP_2) | instskip(NEXT) | instid1(VALU_DEP_1)
	v_and_b32_e32 v33, 0x7f, v0
	v_cmpx_ne_u32_e32 0x7f, v33
	s_cbranch_execz .LBB292_1050
; %bb.1047:                             ;   in Loop: Header=BB292_806 Depth=1
	v_dual_lshrrev_b32 v32, 3, v33 :: v_dual_bitop2_b32 v29, 7, v0 bitop3:0x40
	s_mov_b32 s18, exec_lo
	v_cmpx_gt_u32_e32 8, v33
; %bb.1048:                             ;   in Loop: Header=BB292_806 Depth=1
	s_delay_alu instid0(VALU_DEP_2) | instskip(NEXT) | instid1(VALU_DEP_1)
	v_clz_i32_u32_e32 v29, v29
	v_min_u32_e32 v29, 32, v29
	s_delay_alu instid0(VALU_DEP_1) | instskip(NEXT) | instid1(VALU_DEP_1)
	v_subrev_nc_u32_e32 v32, 28, v29
	v_lshlrev_b64_e32 v[34:35], v32, v[6:7]
	s_delay_alu instid0(VALU_DEP_1)
	v_dual_sub_nc_u32 v32, 29, v29 :: v_dual_bitop2_b32 v29, 7, v34 bitop3:0x40
; %bb.1049:                             ;   in Loop: Header=BB292_806 Depth=1
	s_or_b32 exec_lo, exec_lo, s18
	v_lshlrev_b32_e32 v0, 8, v0
	s_delay_alu instid0(VALU_DEP_2) | instskip(NEXT) | instid1(VALU_DEP_1)
	v_lshl_add_u32 v6, v32, 10, 0x2000
	v_and_or_b32 v0, 0x8000, v0, v6
	v_lshlrev_b32_e32 v6, 23, v29
	s_delay_alu instid0(VALU_DEP_1)
	v_lshl_or_b32 v29, v0, 16, v6
.LBB292_1050:                           ;   in Loop: Header=BB292_806 Depth=1
	s_or_b32 exec_lo, exec_lo, s17
.LBB292_1051:                           ;   in Loop: Header=BB292_806 Depth=1
	s_delay_alu instid0(SALU_CYCLE_1)
	s_or_b32 exec_lo, exec_lo, s16
.LBB292_1052:                           ;   in Loop: Header=BB292_806 Depth=1
	s_delay_alu instid0(SALU_CYCLE_1) | instskip(SKIP_2) | instid1(VALU_DEP_1)
	s_or_b32 exec_lo, exec_lo, s15
	v_lshrrev_b32_e32 v0, 16, v31
	s_mov_b32 s15, exec_lo
	v_and_b32_e32 v6, 0xff, v0
	s_delay_alu instid0(VALU_DEP_1)
	v_cmpx_ne_u16_e32 0, v6
	s_cbranch_execz .LBB292_1060
; %bb.1053:                             ;   in Loop: Header=BB292_806 Depth=1
	v_mov_b32_e32 v23, 0x8000
	s_mov_b32 s16, exec_lo
	v_cmpx_ne_u16_e32 0x80, v6
	s_cbranch_execz .LBB292_1059
; %bb.1054:                             ;   in Loop: Header=BB292_806 Depth=1
	v_bfe_u32 v32, v31, 16, 7
	v_mov_b32_e32 v23, 0x7c01
	s_mov_b32 s17, exec_lo
	s_delay_alu instid0(VALU_DEP_2)
	v_cmpx_ne_u32_e32 0x7f, v32
	s_cbranch_execz .LBB292_1058
; %bb.1055:                             ;   in Loop: Header=BB292_806 Depth=1
	v_and_b32_e32 v6, 7, v0
	v_lshrrev_b32_e32 v23, 3, v32
	s_mov_b32 s18, exec_lo
	v_cmpx_gt_u32_e32 8, v32
; %bb.1056:                             ;   in Loop: Header=BB292_806 Depth=1
	s_delay_alu instid0(VALU_DEP_3) | instskip(NEXT) | instid1(VALU_DEP_1)
	v_clz_i32_u32_e32 v6, v6
	v_min_u32_e32 v6, 32, v6
	s_delay_alu instid0(VALU_DEP_1) | instskip(NEXT) | instid1(VALU_DEP_1)
	v_subrev_nc_u32_e32 v23, 28, v6
	v_lshlrev_b64_e32 v[32:33], v23, v[0:1]
	s_delay_alu instid0(VALU_DEP_1)
	v_dual_sub_nc_u32 v23, 29, v6 :: v_dual_bitop2_b32 v6, 7, v32 bitop3:0x40
; %bb.1057:                             ;   in Loop: Header=BB292_806 Depth=1
	s_or_b32 exec_lo, exec_lo, s18
	s_delay_alu instid0(VALU_DEP_1) | instskip(NEXT) | instid1(VALU_DEP_2)
	v_dual_lshlrev_b32 v0, 8, v0 :: v_dual_lshlrev_b32 v6, 7, v6
	v_lshl_add_u32 v23, v23, 10, 0x2000
	s_delay_alu instid0(VALU_DEP_2) | instskip(NEXT) | instid1(VALU_DEP_2)
	v_and_b32_e32 v0, 0x8000, v0
	v_and_b32_e32 v23, 0xfc00, v23
	s_delay_alu instid0(VALU_DEP_1)
	v_or3_b32 v23, v0, v23, v6
.LBB292_1058:                           ;   in Loop: Header=BB292_806 Depth=1
	s_or_b32 exec_lo, exec_lo, s17
.LBB292_1059:                           ;   in Loop: Header=BB292_806 Depth=1
	s_delay_alu instid0(SALU_CYCLE_1)
	s_or_b32 exec_lo, exec_lo, s16
.LBB292_1060:                           ;   in Loop: Header=BB292_806 Depth=1
	s_delay_alu instid0(SALU_CYCLE_1)
	s_or_b32 exec_lo, exec_lo, s15
	v_mov_b32_e32 v0, 0
	s_mov_b32 s15, exec_lo
	v_cmpx_lt_u64_e64 s[2:3], v[30:31]
	s_cbranch_execz .LBB292_1068
; %bb.1061:                             ;   in Loop: Header=BB292_806 Depth=1
	v_lshrrev_b32_e32 v6, 24, v31
	v_bfrev_b32_e32 v0, 1
	s_mov_b32 s16, exec_lo
	s_delay_alu instid0(VALU_DEP_2)
	v_cmpx_ne_u32_e32 0x80, v6
	s_cbranch_execz .LBB292_1067
; %bb.1062:                             ;   in Loop: Header=BB292_806 Depth=1
	v_and_b32_e32 v31, 0x7f, v6
	v_mov_b32_e32 v0, 0x7c010000
	s_mov_b32 s17, exec_lo
	s_delay_alu instid0(VALU_DEP_2)
	v_cmpx_ne_u32_e32 0x7f, v31
	s_cbranch_execz .LBB292_1066
; %bb.1063:                             ;   in Loop: Header=BB292_806 Depth=1
	v_dual_lshrrev_b32 v30, 3, v31 :: v_dual_bitop2_b32 v0, 7, v6 bitop3:0x40
	s_mov_b32 s18, exec_lo
	v_cmpx_gt_u32_e32 8, v31
; %bb.1064:                             ;   in Loop: Header=BB292_806 Depth=1
	s_delay_alu instid0(VALU_DEP_2) | instskip(NEXT) | instid1(VALU_DEP_1)
	v_clz_i32_u32_e32 v0, v0
	v_min_u32_e32 v0, 32, v0
	s_delay_alu instid0(VALU_DEP_1) | instskip(NEXT) | instid1(VALU_DEP_1)
	v_subrev_nc_u32_e32 v30, 28, v0
	v_lshlrev_b64_e32 v[32:33], v30, v[6:7]
	v_sub_nc_u32_e32 v30, 29, v0
	s_delay_alu instid0(VALU_DEP_2)
	v_and_b32_e32 v0, 7, v32
; %bb.1065:                             ;   in Loop: Header=BB292_806 Depth=1
	s_or_b32 exec_lo, exec_lo, s18
	s_delay_alu instid0(VALU_DEP_1) | instskip(NEXT) | instid1(VALU_DEP_3)
	v_dual_lshlrev_b32 v6, 8, v6 :: v_dual_lshlrev_b32 v0, 23, v0
	v_lshl_add_u32 v30, v30, 10, 0x2000
	s_delay_alu instid0(VALU_DEP_1) | instskip(NEXT) | instid1(VALU_DEP_1)
	v_and_or_b32 v6, 0x8000, v6, v30
	v_lshl_or_b32 v0, v6, 16, v0
.LBB292_1066:                           ;   in Loop: Header=BB292_806 Depth=1
	s_or_b32 exec_lo, exec_lo, s17
.LBB292_1067:                           ;   in Loop: Header=BB292_806 Depth=1
	s_delay_alu instid0(SALU_CYCLE_1)
	s_or_b32 exec_lo, exec_lo, s16
.LBB292_1068:                           ;   in Loop: Header=BB292_806 Depth=1
	s_delay_alu instid0(SALU_CYCLE_1) | instskip(SKIP_3) | instid1(VALU_DEP_3)
	s_or_b32 exec_lo, exec_lo, s15
	v_dual_lshrrev_b32 v6, 16, v1 :: v_dual_lshrrev_b32 v30, 16, v18
	v_or_b32_e32 v1, v1, v16
	v_or_b32_e32 v16, v18, v19
	v_cvt_f32_f16_e32 v19, v6
	s_delay_alu instid0(VALU_DEP_4)
	v_cvt_f32_f16_e32 v18, v30
	v_dual_lshrrev_b32 v23, 16, v29 :: v_dual_bitop2_b32 v6, v0, v23 bitop3:0x54
	v_lshrrev_b32_e32 v30, 16, v0
	v_cvt_f32_f16_e32 v0, v16
	v_cvt_f32_f16_e32 v1, v1
	v_or_b32_e32 v16, v29, v22
	s_wait_loadcnt_dscnt 0x0
	v_pk_mul_f32 v[18:19], v[28:29], v[18:19] op_sel_hi:[0,1]
	v_cvt_f32_f16_e32 v23, v23
	v_cvt_f32_f16_e32 v22, v30
	v_pk_mul_f32 v[0:1], v[28:29], v[0:1] op_sel_hi:[0,1]
	v_cvt_f32_f16_e32 v31, v16
	s_delay_alu instid0(VALU_DEP_2) | instskip(NEXT) | instid1(VALU_DEP_1)
	v_cvt_pk_f16_f32 v0, v0, v1
	v_lshrrev_b32_e32 v35, 16, v0
	v_cvt_f32_f16_e32 v30, v6
	v_cvt_pk_f16_f32 v6, v18, v19
	v_pk_mul_f32 v[18:19], v[28:29], v[22:23] op_sel_hi:[0,1]
	v_and_b32_e32 v34, 0xffff, v0
	s_delay_alu instid0(VALU_DEP_4) | instskip(NEXT) | instid1(VALU_DEP_4)
	v_pk_mul_f32 v[22:23], v[28:29], v[30:31] op_sel_hi:[0,1]
	v_and_b32_e32 v29, 0xffff0000, v6
	s_delay_alu instid0(VALU_DEP_4) | instskip(SKIP_1) | instid1(VALU_DEP_4)
	v_cvt_pk_f16_f32 v16, v18, v19
	v_lshlrev_b32_e32 v28, 16, v6
	v_cvt_pk_f16_f32 v6, v22, v23
	s_delay_alu instid0(VALU_DEP_4) | instskip(NEXT) | instid1(VALU_DEP_4)
	v_or_b32_e32 v33, v29, v35
	v_and_b32_e32 v1, 0xffff0000, v16
	s_delay_alu instid0(VALU_DEP_4) | instskip(NEXT) | instid1(VALU_DEP_4)
	v_dual_lshlrev_b32 v0, 16, v16 :: v_dual_bitop2_b32 v32, v28, v34 bitop3:0x54
	v_lshrrev_b32_e32 v19, 16, v6
	v_and_b32_e32 v6, 0xffff, v6
	s_delay_alu instid0(VALU_DEP_2) | instskip(NEXT) | instid1(VALU_DEP_2)
	v_or_b32_e32 v31, v1, v19
	v_or_b32_e32 v30, v0, v6
	s_and_saveexec_b32 s15, vcc_lo
	s_cbranch_execz .LBB292_1070
; %bb.1069:                             ;   in Loop: Header=BB292_806 Depth=1
	v_cmp_lt_i32_e64 s0, v49, v13
	s_delay_alu instid0(VALU_DEP_1) | instskip(SKIP_1) | instid1(VALU_DEP_1)
	v_cndmask_b32_e64 v16, 0, v35, s0
	v_cmp_lt_i32_e64 s0, v66, v116
	v_cndmask_b32_e64 v18, 0, v34, s0
	v_cmp_lt_i32_e64 s0, v65, v13
	s_delay_alu instid0(VALU_DEP_1) | instskip(SKIP_1) | instid1(VALU_DEP_1)
	v_cndmask_b32_e64 v22, 0, v29, s0
	v_cmp_lt_i32_e64 s0, v64, v116
	v_cndmask_b32_e64 v23, 0, v28, s0
	v_cmp_lt_i32_e64 s0, v55, v13
	s_delay_alu instid0(VALU_DEP_4) | instskip(NEXT) | instid1(VALU_DEP_3)
	v_or_b32_e32 v33, v16, v22
	v_or_b32_e32 v32, v18, v23
	s_delay_alu instid0(VALU_DEP_3) | instskip(SKIP_1) | instid1(VALU_DEP_1)
	v_cndmask_b32_e64 v19, 0, v19, s0
	v_cmp_lt_i32_e64 s0, v54, v116
	v_cndmask_b32_e64 v6, 0, v6, s0
	v_cmp_lt_i32_e64 s0, v53, v13
	s_delay_alu instid0(VALU_DEP_1) | instskip(SKIP_1) | instid1(VALU_DEP_1)
	v_cndmask_b32_e64 v1, 0, v1, s0
	v_cmp_lt_i32_e64 s0, v52, v116
	v_dual_cndmask_b32 v0, 0, v0, s0 :: v_dual_bitop2_b32 v31, v19, v1 bitop3:0x54
	s_delay_alu instid0(VALU_DEP_1)
	v_or_b32_e32 v30, v6, v0
.LBB292_1070:                           ;   in Loop: Header=BB292_806 Depth=1
	s_or_b32 exec_lo, exec_lo, s15
	;;#ASMSTART
	v_pk_mul_f16 v0, v70, v33;

	;;#ASMEND
	;;#ASMSTART
	v_pk_mul_f16 v1, v69, v32;

	;;#ASMEND
	;; [unrolled: 4-line block ×4, first 2 shown]
	;;#ASMSTART
	v_pk_add_f16 v0, v0, v1;

	;;#ASMEND
	;;#ASMSTART
	v_pk_add_f16 v0, v0, v6;

	;;#ASMEND
	;; [unrolled: 4-line block ×3, first 2 shown]
	v_and_b32_e32 v1, 0xffff, v0
	v_lshrrev_b32_e32 v0, 16, v0
	;;#ASMSTART
	v_cvt_f32_f16 v85, v1;
	;;#ASMEND
	;;#ASMSTART
	v_cvt_f32_f16 v86, v0;
	;;#ASMEND
	flat_load_b64 v[30:31], v[14:15] offset:1024
	scratch_load_b64 v[0:1], off, s32 offset:192 ; 8-byte Folded Reload
	v_mov_b32_e32 v16, 0
	s_mov_b32 s15, exec_lo
	s_wait_loadcnt 0x0
	flat_load_b32 v28, v[0:1]
	s_wait_dscnt 0x1
	s_wait_xcnt 0x0
	v_and_b32_e32 v0, 0xff, v30
	v_mov_b32_e32 v1, 0
	s_delay_alu instid0(VALU_DEP_2)
	v_cmpx_ne_u16_e32 0, v0
	s_cbranch_execz .LBB292_1078
; %bb.1071:                             ;   in Loop: Header=BB292_806 Depth=1
	v_mov_b32_e32 v16, 0x8000
	s_mov_b32 s16, exec_lo
	v_cmpx_ne_u16_e32 0x80, v0
	s_cbranch_execz .LBB292_1077
; %bb.1072:                             ;   in Loop: Header=BB292_806 Depth=1
	v_and_b32_e32 v18, 0x7f, v30
	v_mov_b32_e32 v16, 0x7c01
	s_mov_b32 s17, exec_lo
	s_delay_alu instid0(VALU_DEP_2)
	v_cmpx_ne_u32_e32 0x7f, v18
	s_cbranch_execz .LBB292_1076
; %bb.1073:                             ;   in Loop: Header=BB292_806 Depth=1
	v_and_b32_e32 v0, 7, v30
	v_lshrrev_b32_e32 v6, 3, v18
	s_mov_b32 s18, exec_lo
	v_cmpx_gt_u32_e32 8, v18
; %bb.1074:                             ;   in Loop: Header=BB292_806 Depth=1
	s_delay_alu instid0(VALU_DEP_3) | instskip(NEXT) | instid1(VALU_DEP_1)
	v_clz_i32_u32_e32 v0, v0
	v_min_u32_e32 v0, 32, v0
	s_delay_alu instid0(VALU_DEP_1) | instskip(NEXT) | instid1(VALU_DEP_1)
	v_subrev_nc_u32_e32 v6, 28, v0
	v_lshlrev_b64_e32 v[18:19], v6, v[30:31]
	s_delay_alu instid0(VALU_DEP_1)
	v_dual_sub_nc_u32 v6, 29, v0 :: v_dual_bitop2_b32 v0, 7, v18 bitop3:0x40
; %bb.1075:                             ;   in Loop: Header=BB292_806 Depth=1
	s_or_b32 exec_lo, exec_lo, s18
	s_delay_alu instid0(VALU_DEP_1) | instskip(NEXT) | instid1(VALU_DEP_2)
	v_dual_lshlrev_b32 v16, 8, v30 :: v_dual_lshlrev_b32 v0, 7, v0
	v_lshl_add_u32 v6, v6, 10, 0x2000
	s_delay_alu instid0(VALU_DEP_2) | instskip(NEXT) | instid1(VALU_DEP_2)
	v_and_b32_e32 v16, 0x8000, v16
	v_and_b32_e32 v6, 0xfc00, v6
	s_delay_alu instid0(VALU_DEP_1)
	v_or3_b32 v16, v16, v6, v0
.LBB292_1076:                           ;   in Loop: Header=BB292_806 Depth=1
	s_or_b32 exec_lo, exec_lo, s17
.LBB292_1077:                           ;   in Loop: Header=BB292_806 Depth=1
	s_delay_alu instid0(SALU_CYCLE_1)
	s_or_b32 exec_lo, exec_lo, s16
.LBB292_1078:                           ;   in Loop: Header=BB292_806 Depth=1
	s_delay_alu instid0(SALU_CYCLE_1) | instskip(SKIP_2) | instid1(VALU_DEP_1)
	s_or_b32 exec_lo, exec_lo, s15
	v_lshrrev_b16 v6, 8, v30
	s_mov_b32 s15, exec_lo
	v_cmpx_ne_u16_e32 0, v6
	s_cbranch_execz .LBB292_1086
; %bb.1079:                             ;   in Loop: Header=BB292_806 Depth=1
	v_bfrev_b32_e32 v1, 1
	s_mov_b32 s16, exec_lo
	v_cmpx_ne_u16_e32 0x80, v6
	s_cbranch_execz .LBB292_1085
; %bb.1080:                             ;   in Loop: Header=BB292_806 Depth=1
	v_and_b32_e32 v0, 0xffff, v6
	v_mov_b32_e32 v1, 0x7c010000
	s_mov_b32 s17, exec_lo
	s_delay_alu instid0(VALU_DEP_2) | instskip(NEXT) | instid1(VALU_DEP_1)
	v_and_b32_e32 v19, 0x7f, v0
	v_cmpx_ne_u32_e32 0x7f, v19
	s_cbranch_execz .LBB292_1084
; %bb.1081:                             ;   in Loop: Header=BB292_806 Depth=1
	v_dual_lshrrev_b32 v18, 3, v19 :: v_dual_bitop2_b32 v1, 7, v0 bitop3:0x40
	s_mov_b32 s18, exec_lo
	v_cmpx_gt_u32_e32 8, v19
; %bb.1082:                             ;   in Loop: Header=BB292_806 Depth=1
	s_delay_alu instid0(VALU_DEP_2) | instskip(NEXT) | instid1(VALU_DEP_1)
	v_clz_i32_u32_e32 v1, v1
	v_min_u32_e32 v1, 32, v1
	s_delay_alu instid0(VALU_DEP_1) | instskip(NEXT) | instid1(VALU_DEP_1)
	v_subrev_nc_u32_e32 v18, 28, v1
	v_lshlrev_b64_e32 v[22:23], v18, v[6:7]
	s_delay_alu instid0(VALU_DEP_1)
	v_dual_sub_nc_u32 v18, 29, v1 :: v_dual_bitop2_b32 v1, 7, v22 bitop3:0x40
; %bb.1083:                             ;   in Loop: Header=BB292_806 Depth=1
	s_or_b32 exec_lo, exec_lo, s18
	s_delay_alu instid0(VALU_DEP_1) | instskip(NEXT) | instid1(VALU_DEP_2)
	v_dual_lshlrev_b32 v0, 8, v0 :: v_dual_lshlrev_b32 v1, 23, v1
	v_lshl_add_u32 v6, v18, 10, 0x2000
	s_delay_alu instid0(VALU_DEP_1) | instskip(NEXT) | instid1(VALU_DEP_1)
	v_and_or_b32 v0, 0x8000, v0, v6
	v_lshl_or_b32 v1, v0, 16, v1
.LBB292_1084:                           ;   in Loop: Header=BB292_806 Depth=1
	s_or_b32 exec_lo, exec_lo, s17
.LBB292_1085:                           ;   in Loop: Header=BB292_806 Depth=1
	s_delay_alu instid0(SALU_CYCLE_1)
	s_or_b32 exec_lo, exec_lo, s16
.LBB292_1086:                           ;   in Loop: Header=BB292_806 Depth=1
	s_delay_alu instid0(SALU_CYCLE_1) | instskip(SKIP_3) | instid1(VALU_DEP_2)
	s_or_b32 exec_lo, exec_lo, s15
	v_dual_lshrrev_b32 v0, 16, v30 :: v_dual_mov_b32 v18, 0
	v_mov_b32_e32 v19, 0
	s_mov_b32 s15, exec_lo
	v_and_b32_e32 v6, 0xff, v0
	s_delay_alu instid0(VALU_DEP_1)
	v_cmpx_ne_u16_e32 0, v6
	s_cbranch_execz .LBB292_1094
; %bb.1087:                             ;   in Loop: Header=BB292_806 Depth=1
	v_mov_b32_e32 v19, 0x8000
	s_mov_b32 s16, exec_lo
	v_cmpx_ne_u16_e32 0x80, v6
	s_cbranch_execz .LBB292_1093
; %bb.1088:                             ;   in Loop: Header=BB292_806 Depth=1
	v_bfe_u32 v22, v30, 16, 7
	v_mov_b32_e32 v19, 0x7c01
	s_mov_b32 s17, exec_lo
	s_delay_alu instid0(VALU_DEP_2)
	v_cmpx_ne_u32_e32 0x7f, v22
	s_cbranch_execz .LBB292_1092
; %bb.1089:                             ;   in Loop: Header=BB292_806 Depth=1
	v_dual_lshrrev_b32 v19, 3, v22 :: v_dual_bitop2_b32 v6, 7, v0 bitop3:0x40
	s_mov_b32 s18, exec_lo
	v_cmpx_gt_u32_e32 8, v22
; %bb.1090:                             ;   in Loop: Header=BB292_806 Depth=1
	s_delay_alu instid0(VALU_DEP_2) | instskip(NEXT) | instid1(VALU_DEP_1)
	v_clz_i32_u32_e32 v6, v6
	v_min_u32_e32 v6, 32, v6
	s_delay_alu instid0(VALU_DEP_1) | instskip(NEXT) | instid1(VALU_DEP_1)
	v_subrev_nc_u32_e32 v19, 28, v6
	v_lshlrev_b64_e32 v[22:23], v19, v[0:1]
	v_sub_nc_u32_e32 v19, 29, v6
	s_delay_alu instid0(VALU_DEP_2)
	v_and_b32_e32 v6, 7, v22
; %bb.1091:                             ;   in Loop: Header=BB292_806 Depth=1
	s_or_b32 exec_lo, exec_lo, s18
	s_delay_alu instid0(VALU_DEP_1) | instskip(NEXT) | instid1(VALU_DEP_3)
	v_dual_lshlrev_b32 v0, 8, v0 :: v_dual_lshlrev_b32 v6, 7, v6
	v_lshl_add_u32 v19, v19, 10, 0x2000
	s_delay_alu instid0(VALU_DEP_2) | instskip(NEXT) | instid1(VALU_DEP_2)
	v_and_b32_e32 v0, 0x8000, v0
	v_and_b32_e32 v19, 0xfc00, v19
	s_delay_alu instid0(VALU_DEP_1)
	v_or3_b32 v19, v0, v19, v6
.LBB292_1092:                           ;   in Loop: Header=BB292_806 Depth=1
	s_or_b32 exec_lo, exec_lo, s17
.LBB292_1093:                           ;   in Loop: Header=BB292_806 Depth=1
	s_delay_alu instid0(SALU_CYCLE_1)
	s_or_b32 exec_lo, exec_lo, s16
.LBB292_1094:                           ;   in Loop: Header=BB292_806 Depth=1
	s_delay_alu instid0(SALU_CYCLE_1) | instskip(NEXT) | instid1(SALU_CYCLE_1)
	s_or_b32 exec_lo, exec_lo, s15
	s_mov_b32 s15, exec_lo
	v_cmpx_lt_u32_e32 0xffffff, v30
	s_cbranch_execz .LBB292_1102
; %bb.1095:                             ;   in Loop: Header=BB292_806 Depth=1
	v_lshrrev_b32_e32 v6, 24, v30
	v_bfrev_b32_e32 v18, 1
	s_mov_b32 s16, exec_lo
	s_delay_alu instid0(VALU_DEP_2)
	v_cmpx_ne_u32_e32 0x80, v6
	s_cbranch_execz .LBB292_1101
; %bb.1096:                             ;   in Loop: Header=BB292_806 Depth=1
	v_and_b32_e32 v22, 0x7f, v6
	v_mov_b32_e32 v18, 0x7c010000
	s_mov_b32 s17, exec_lo
	s_delay_alu instid0(VALU_DEP_2)
	v_cmpx_ne_u32_e32 0x7f, v22
	s_cbranch_execz .LBB292_1100
; %bb.1097:                             ;   in Loop: Header=BB292_806 Depth=1
	v_and_b32_e32 v0, 7, v6
	v_lshrrev_b32_e32 v18, 3, v22
	s_mov_b32 s18, exec_lo
	v_cmpx_gt_u32_e32 8, v22
; %bb.1098:                             ;   in Loop: Header=BB292_806 Depth=1
	s_delay_alu instid0(VALU_DEP_3) | instskip(NEXT) | instid1(VALU_DEP_1)
	v_clz_i32_u32_e32 v0, v0
	v_min_u32_e32 v0, 32, v0
	s_delay_alu instid0(VALU_DEP_1) | instskip(NEXT) | instid1(VALU_DEP_1)
	v_subrev_nc_u32_e32 v18, 28, v0
	v_lshlrev_b64_e32 v[22:23], v18, v[6:7]
	s_delay_alu instid0(VALU_DEP_1)
	v_dual_sub_nc_u32 v18, 29, v0 :: v_dual_bitop2_b32 v0, 7, v22 bitop3:0x40
; %bb.1099:                             ;   in Loop: Header=BB292_806 Depth=1
	s_or_b32 exec_lo, exec_lo, s18
	s_delay_alu instid0(VALU_DEP_1) | instskip(NEXT) | instid1(VALU_DEP_2)
	v_dual_lshlrev_b32 v6, 8, v6 :: v_dual_lshlrev_b32 v0, 23, v0
	v_lshl_add_u32 v18, v18, 10, 0x2000
	s_delay_alu instid0(VALU_DEP_1) | instskip(NEXT) | instid1(VALU_DEP_1)
	v_and_or_b32 v6, 0x8000, v6, v18
	v_lshl_or_b32 v18, v6, 16, v0
.LBB292_1100:                           ;   in Loop: Header=BB292_806 Depth=1
	s_or_b32 exec_lo, exec_lo, s17
.LBB292_1101:                           ;   in Loop: Header=BB292_806 Depth=1
	s_delay_alu instid0(SALU_CYCLE_1)
	s_or_b32 exec_lo, exec_lo, s16
.LBB292_1102:                           ;   in Loop: Header=BB292_806 Depth=1
	s_delay_alu instid0(SALU_CYCLE_1) | instskip(SKIP_4) | instid1(VALU_DEP_3)
	s_or_b32 exec_lo, exec_lo, s15
	v_and_b32_e32 v0, 0xff, v31
	v_dual_mov_b32 v6, v31 :: v_dual_mov_b32 v23, 0
	v_mov_b32_e32 v22, 0
	s_mov_b32 s15, exec_lo
	v_cmpx_ne_u16_e32 0, v0
	s_cbranch_execz .LBB292_1110
; %bb.1103:                             ;   in Loop: Header=BB292_806 Depth=1
	v_mov_b32_e32 v22, 0x8000
	s_mov_b32 s16, exec_lo
	v_cmpx_ne_u16_e32 0x80, v0
	s_cbranch_execz .LBB292_1109
; %bb.1104:                             ;   in Loop: Header=BB292_806 Depth=1
	v_and_b32_e32 v29, 0x7f, v31
	v_mov_b32_e32 v22, 0x7c01
	s_mov_b32 s17, exec_lo
	s_delay_alu instid0(VALU_DEP_2)
	v_cmpx_ne_u32_e32 0x7f, v29
	s_cbranch_execz .LBB292_1108
; %bb.1105:                             ;   in Loop: Header=BB292_806 Depth=1
	v_dual_lshrrev_b32 v22, 3, v29 :: v_dual_bitop2_b32 v0, 7, v31 bitop3:0x40
	s_mov_b32 s18, exec_lo
	v_cmpx_gt_u32_e32 8, v29
; %bb.1106:                             ;   in Loop: Header=BB292_806 Depth=1
	s_delay_alu instid0(VALU_DEP_2) | instskip(NEXT) | instid1(VALU_DEP_1)
	v_clz_i32_u32_e32 v0, v0
	v_min_u32_e32 v0, 32, v0
	s_delay_alu instid0(VALU_DEP_1) | instskip(NEXT) | instid1(VALU_DEP_1)
	v_subrev_nc_u32_e32 v22, 28, v0
	v_lshlrev_b64_e32 v[32:33], v22, v[6:7]
	v_sub_nc_u32_e32 v22, 29, v0
	s_delay_alu instid0(VALU_DEP_2)
	v_and_b32_e32 v0, 7, v32
; %bb.1107:                             ;   in Loop: Header=BB292_806 Depth=1
	s_or_b32 exec_lo, exec_lo, s18
	s_delay_alu instid0(VALU_DEP_1) | instskip(NEXT) | instid1(VALU_DEP_3)
	v_dual_lshlrev_b32 v29, 8, v31 :: v_dual_lshlrev_b32 v0, 7, v0
	v_lshl_add_u32 v22, v22, 10, 0x2000
	s_delay_alu instid0(VALU_DEP_2) | instskip(NEXT) | instid1(VALU_DEP_2)
	v_and_b32_e32 v29, 0x8000, v29
	v_and_b32_e32 v22, 0xfc00, v22
	s_delay_alu instid0(VALU_DEP_1)
	v_or3_b32 v22, v29, v22, v0
.LBB292_1108:                           ;   in Loop: Header=BB292_806 Depth=1
	s_or_b32 exec_lo, exec_lo, s17
.LBB292_1109:                           ;   in Loop: Header=BB292_806 Depth=1
	s_delay_alu instid0(SALU_CYCLE_1)
	s_or_b32 exec_lo, exec_lo, s16
.LBB292_1110:                           ;   in Loop: Header=BB292_806 Depth=1
	s_delay_alu instid0(SALU_CYCLE_1) | instskip(SKIP_3) | instid1(VALU_DEP_2)
	s_or_b32 exec_lo, exec_lo, s15
	v_lshrrev_b16 v6, 8, v6
	v_mov_b32_e32 v29, 0
	s_mov_b32 s15, exec_lo
	v_cmpx_ne_u16_e32 0, v6
	s_cbranch_execz .LBB292_1118
; %bb.1111:                             ;   in Loop: Header=BB292_806 Depth=1
	v_bfrev_b32_e32 v29, 1
	s_mov_b32 s16, exec_lo
	v_cmpx_ne_u16_e32 0x80, v6
	s_cbranch_execz .LBB292_1117
; %bb.1112:                             ;   in Loop: Header=BB292_806 Depth=1
	v_and_b32_e32 v0, 0xffff, v6
	v_mov_b32_e32 v29, 0x7c010000
	s_mov_b32 s17, exec_lo
	s_delay_alu instid0(VALU_DEP_2) | instskip(NEXT) | instid1(VALU_DEP_1)
	v_and_b32_e32 v33, 0x7f, v0
	v_cmpx_ne_u32_e32 0x7f, v33
	s_cbranch_execz .LBB292_1116
; %bb.1113:                             ;   in Loop: Header=BB292_806 Depth=1
	v_dual_lshrrev_b32 v32, 3, v33 :: v_dual_bitop2_b32 v29, 7, v0 bitop3:0x40
	s_mov_b32 s18, exec_lo
	v_cmpx_gt_u32_e32 8, v33
; %bb.1114:                             ;   in Loop: Header=BB292_806 Depth=1
	s_delay_alu instid0(VALU_DEP_2) | instskip(NEXT) | instid1(VALU_DEP_1)
	v_clz_i32_u32_e32 v29, v29
	v_min_u32_e32 v29, 32, v29
	s_delay_alu instid0(VALU_DEP_1) | instskip(NEXT) | instid1(VALU_DEP_1)
	v_subrev_nc_u32_e32 v32, 28, v29
	v_lshlrev_b64_e32 v[34:35], v32, v[6:7]
	s_delay_alu instid0(VALU_DEP_1)
	v_dual_sub_nc_u32 v32, 29, v29 :: v_dual_bitop2_b32 v29, 7, v34 bitop3:0x40
; %bb.1115:                             ;   in Loop: Header=BB292_806 Depth=1
	s_or_b32 exec_lo, exec_lo, s18
	v_lshlrev_b32_e32 v0, 8, v0
	s_delay_alu instid0(VALU_DEP_2) | instskip(NEXT) | instid1(VALU_DEP_1)
	v_lshl_add_u32 v6, v32, 10, 0x2000
	v_and_or_b32 v0, 0x8000, v0, v6
	v_lshlrev_b32_e32 v6, 23, v29
	s_delay_alu instid0(VALU_DEP_1)
	v_lshl_or_b32 v29, v0, 16, v6
.LBB292_1116:                           ;   in Loop: Header=BB292_806 Depth=1
	s_or_b32 exec_lo, exec_lo, s17
.LBB292_1117:                           ;   in Loop: Header=BB292_806 Depth=1
	s_delay_alu instid0(SALU_CYCLE_1)
	s_or_b32 exec_lo, exec_lo, s16
.LBB292_1118:                           ;   in Loop: Header=BB292_806 Depth=1
	s_delay_alu instid0(SALU_CYCLE_1) | instskip(SKIP_2) | instid1(VALU_DEP_1)
	s_or_b32 exec_lo, exec_lo, s15
	v_lshrrev_b32_e32 v0, 16, v31
	s_mov_b32 s15, exec_lo
	v_and_b32_e32 v6, 0xff, v0
	s_delay_alu instid0(VALU_DEP_1)
	v_cmpx_ne_u16_e32 0, v6
	s_cbranch_execz .LBB292_1126
; %bb.1119:                             ;   in Loop: Header=BB292_806 Depth=1
	v_mov_b32_e32 v23, 0x8000
	s_mov_b32 s16, exec_lo
	v_cmpx_ne_u16_e32 0x80, v6
	s_cbranch_execz .LBB292_1125
; %bb.1120:                             ;   in Loop: Header=BB292_806 Depth=1
	v_bfe_u32 v32, v31, 16, 7
	v_mov_b32_e32 v23, 0x7c01
	s_mov_b32 s17, exec_lo
	s_delay_alu instid0(VALU_DEP_2)
	v_cmpx_ne_u32_e32 0x7f, v32
	s_cbranch_execz .LBB292_1124
; %bb.1121:                             ;   in Loop: Header=BB292_806 Depth=1
	v_and_b32_e32 v6, 7, v0
	v_lshrrev_b32_e32 v23, 3, v32
	s_mov_b32 s18, exec_lo
	v_cmpx_gt_u32_e32 8, v32
; %bb.1122:                             ;   in Loop: Header=BB292_806 Depth=1
	s_delay_alu instid0(VALU_DEP_3) | instskip(NEXT) | instid1(VALU_DEP_1)
	v_clz_i32_u32_e32 v6, v6
	v_min_u32_e32 v6, 32, v6
	s_delay_alu instid0(VALU_DEP_1) | instskip(NEXT) | instid1(VALU_DEP_1)
	v_subrev_nc_u32_e32 v23, 28, v6
	v_lshlrev_b64_e32 v[32:33], v23, v[0:1]
	s_delay_alu instid0(VALU_DEP_1)
	v_dual_sub_nc_u32 v23, 29, v6 :: v_dual_bitop2_b32 v6, 7, v32 bitop3:0x40
; %bb.1123:                             ;   in Loop: Header=BB292_806 Depth=1
	s_or_b32 exec_lo, exec_lo, s18
	s_delay_alu instid0(VALU_DEP_1) | instskip(NEXT) | instid1(VALU_DEP_2)
	v_dual_lshlrev_b32 v0, 8, v0 :: v_dual_lshlrev_b32 v6, 7, v6
	v_lshl_add_u32 v23, v23, 10, 0x2000
	s_delay_alu instid0(VALU_DEP_2) | instskip(NEXT) | instid1(VALU_DEP_2)
	v_and_b32_e32 v0, 0x8000, v0
	v_and_b32_e32 v23, 0xfc00, v23
	s_delay_alu instid0(VALU_DEP_1)
	v_or3_b32 v23, v0, v23, v6
.LBB292_1124:                           ;   in Loop: Header=BB292_806 Depth=1
	s_or_b32 exec_lo, exec_lo, s17
.LBB292_1125:                           ;   in Loop: Header=BB292_806 Depth=1
	s_delay_alu instid0(SALU_CYCLE_1)
	s_or_b32 exec_lo, exec_lo, s16
.LBB292_1126:                           ;   in Loop: Header=BB292_806 Depth=1
	s_delay_alu instid0(SALU_CYCLE_1)
	s_or_b32 exec_lo, exec_lo, s15
	v_mov_b32_e32 v0, 0
	s_mov_b32 s15, exec_lo
	v_cmpx_lt_u64_e64 s[2:3], v[30:31]
	s_cbranch_execz .LBB292_1134
; %bb.1127:                             ;   in Loop: Header=BB292_806 Depth=1
	v_lshrrev_b32_e32 v6, 24, v31
	v_bfrev_b32_e32 v0, 1
	s_mov_b32 s16, exec_lo
	s_delay_alu instid0(VALU_DEP_2)
	v_cmpx_ne_u32_e32 0x80, v6
	s_cbranch_execz .LBB292_1133
; %bb.1128:                             ;   in Loop: Header=BB292_806 Depth=1
	v_and_b32_e32 v31, 0x7f, v6
	v_mov_b32_e32 v0, 0x7c010000
	s_mov_b32 s17, exec_lo
	s_delay_alu instid0(VALU_DEP_2)
	v_cmpx_ne_u32_e32 0x7f, v31
	s_cbranch_execz .LBB292_1132
; %bb.1129:                             ;   in Loop: Header=BB292_806 Depth=1
	v_dual_lshrrev_b32 v30, 3, v31 :: v_dual_bitop2_b32 v0, 7, v6 bitop3:0x40
	s_mov_b32 s18, exec_lo
	v_cmpx_gt_u32_e32 8, v31
; %bb.1130:                             ;   in Loop: Header=BB292_806 Depth=1
	s_delay_alu instid0(VALU_DEP_2) | instskip(NEXT) | instid1(VALU_DEP_1)
	v_clz_i32_u32_e32 v0, v0
	v_min_u32_e32 v0, 32, v0
	s_delay_alu instid0(VALU_DEP_1) | instskip(NEXT) | instid1(VALU_DEP_1)
	v_subrev_nc_u32_e32 v30, 28, v0
	v_lshlrev_b64_e32 v[32:33], v30, v[6:7]
	v_sub_nc_u32_e32 v30, 29, v0
	s_delay_alu instid0(VALU_DEP_2)
	v_and_b32_e32 v0, 7, v32
; %bb.1131:                             ;   in Loop: Header=BB292_806 Depth=1
	s_or_b32 exec_lo, exec_lo, s18
	s_delay_alu instid0(VALU_DEP_1) | instskip(NEXT) | instid1(VALU_DEP_3)
	v_dual_lshlrev_b32 v6, 8, v6 :: v_dual_lshlrev_b32 v0, 23, v0
	v_lshl_add_u32 v30, v30, 10, 0x2000
	s_delay_alu instid0(VALU_DEP_1) | instskip(NEXT) | instid1(VALU_DEP_1)
	v_and_or_b32 v6, 0x8000, v6, v30
	v_lshl_or_b32 v0, v6, 16, v0
.LBB292_1132:                           ;   in Loop: Header=BB292_806 Depth=1
	s_or_b32 exec_lo, exec_lo, s17
.LBB292_1133:                           ;   in Loop: Header=BB292_806 Depth=1
	s_delay_alu instid0(SALU_CYCLE_1)
	s_or_b32 exec_lo, exec_lo, s16
.LBB292_1134:                           ;   in Loop: Header=BB292_806 Depth=1
	s_delay_alu instid0(SALU_CYCLE_1) | instskip(SKIP_3) | instid1(VALU_DEP_3)
	s_or_b32 exec_lo, exec_lo, s15
	v_dual_lshrrev_b32 v6, 16, v1 :: v_dual_lshrrev_b32 v30, 16, v18
	v_or_b32_e32 v1, v1, v16
	v_or_b32_e32 v16, v18, v19
	v_cvt_f32_f16_e32 v19, v6
	s_delay_alu instid0(VALU_DEP_4)
	v_cvt_f32_f16_e32 v18, v30
	v_dual_lshrrev_b32 v23, 16, v29 :: v_dual_bitop2_b32 v6, v0, v23 bitop3:0x54
	v_lshrrev_b32_e32 v30, 16, v0
	v_cvt_f32_f16_e32 v0, v16
	v_cvt_f32_f16_e32 v1, v1
	v_or_b32_e32 v16, v29, v22
	s_wait_loadcnt_dscnt 0x0
	v_pk_mul_f32 v[18:19], v[28:29], v[18:19] op_sel_hi:[0,1]
	v_cvt_f32_f16_e32 v23, v23
	v_cvt_f32_f16_e32 v22, v30
	v_pk_mul_f32 v[0:1], v[28:29], v[0:1] op_sel_hi:[0,1]
	v_cvt_f32_f16_e32 v31, v16
	s_delay_alu instid0(VALU_DEP_2) | instskip(NEXT) | instid1(VALU_DEP_1)
	v_cvt_pk_f16_f32 v0, v0, v1
	v_lshrrev_b32_e32 v35, 16, v0
	v_cvt_f32_f16_e32 v30, v6
	v_cvt_pk_f16_f32 v6, v18, v19
	v_pk_mul_f32 v[18:19], v[28:29], v[22:23] op_sel_hi:[0,1]
	v_and_b32_e32 v34, 0xffff, v0
	s_delay_alu instid0(VALU_DEP_4) | instskip(NEXT) | instid1(VALU_DEP_4)
	v_pk_mul_f32 v[22:23], v[28:29], v[30:31] op_sel_hi:[0,1]
	v_and_b32_e32 v29, 0xffff0000, v6
	s_delay_alu instid0(VALU_DEP_4) | instskip(SKIP_1) | instid1(VALU_DEP_4)
	v_cvt_pk_f16_f32 v16, v18, v19
	v_lshlrev_b32_e32 v28, 16, v6
	v_cvt_pk_f16_f32 v6, v22, v23
	s_delay_alu instid0(VALU_DEP_4) | instskip(NEXT) | instid1(VALU_DEP_4)
	v_or_b32_e32 v33, v29, v35
	v_and_b32_e32 v1, 0xffff0000, v16
	s_delay_alu instid0(VALU_DEP_4) | instskip(NEXT) | instid1(VALU_DEP_4)
	v_dual_lshlrev_b32 v0, 16, v16 :: v_dual_bitop2_b32 v32, v28, v34 bitop3:0x54
	v_lshrrev_b32_e32 v19, 16, v6
	v_and_b32_e32 v6, 0xffff, v6
	s_delay_alu instid0(VALU_DEP_2) | instskip(NEXT) | instid1(VALU_DEP_2)
	v_or_b32_e32 v31, v1, v19
	v_or_b32_e32 v30, v0, v6
	s_and_saveexec_b32 s15, vcc_lo
	s_cbranch_execz .LBB292_1136
; %bb.1135:                             ;   in Loop: Header=BB292_806 Depth=1
	v_cmp_lt_i32_e64 s0, v49, v13
	s_delay_alu instid0(VALU_DEP_1) | instskip(SKIP_1) | instid1(VALU_DEP_1)
	v_cndmask_b32_e64 v16, 0, v35, s0
	v_cmp_lt_i32_e64 s0, v66, v116
	v_cndmask_b32_e64 v18, 0, v34, s0
	v_cmp_lt_i32_e64 s0, v65, v13
	s_delay_alu instid0(VALU_DEP_1) | instskip(SKIP_1) | instid1(VALU_DEP_1)
	v_cndmask_b32_e64 v22, 0, v29, s0
	v_cmp_lt_i32_e64 s0, v64, v116
	v_cndmask_b32_e64 v23, 0, v28, s0
	v_cmp_lt_i32_e64 s0, v55, v13
	s_delay_alu instid0(VALU_DEP_4) | instskip(NEXT) | instid1(VALU_DEP_3)
	v_or_b32_e32 v33, v16, v22
	v_or_b32_e32 v32, v18, v23
	s_delay_alu instid0(VALU_DEP_3) | instskip(SKIP_1) | instid1(VALU_DEP_1)
	v_cndmask_b32_e64 v19, 0, v19, s0
	v_cmp_lt_i32_e64 s0, v54, v116
	v_cndmask_b32_e64 v6, 0, v6, s0
	v_cmp_lt_i32_e64 s0, v53, v13
	s_delay_alu instid0(VALU_DEP_1) | instskip(SKIP_1) | instid1(VALU_DEP_1)
	v_cndmask_b32_e64 v1, 0, v1, s0
	v_cmp_lt_i32_e64 s0, v52, v116
	v_dual_cndmask_b32 v0, 0, v0, s0 :: v_dual_bitop2_b32 v31, v19, v1 bitop3:0x54
	s_delay_alu instid0(VALU_DEP_1)
	v_or_b32_e32 v30, v6, v0
.LBB292_1136:                           ;   in Loop: Header=BB292_806 Depth=1
	s_or_b32 exec_lo, exec_lo, s15
	;;#ASMSTART
	v_pk_mul_f16 v0, v70, v33;

	;;#ASMEND
	;;#ASMSTART
	v_pk_mul_f16 v1, v69, v32;

	;;#ASMEND
	;;#ASMSTART
	v_pk_mul_f16 v6, v68, v31;

	;;#ASMEND
	;;#ASMSTART
	v_pk_mul_f16 v16, v67, v30;

	;;#ASMEND
	;;#ASMSTART
	v_pk_add_f16 v0, v0, v1;

	;;#ASMEND
	;;#ASMSTART
	v_pk_add_f16 v0, v0, v6;

	;;#ASMEND
	;; [unrolled: 4-line block ×3, first 2 shown]
	v_and_b32_e32 v1, 0xffff, v0
	v_lshrrev_b32_e32 v0, 16, v0
	;;#ASMSTART
	v_cvt_f32_f16 v87, v1;
	;;#ASMEND
	;;#ASMSTART
	v_cvt_f32_f16 v96, v0;
	;;#ASMEND
	flat_load_b64 v[30:31], v[14:15] offset:1280
	scratch_load_b64 v[0:1], off, s32 offset:192 ; 8-byte Folded Reload
	v_mov_b32_e32 v16, 0
	s_mov_b32 s15, exec_lo
	s_wait_loadcnt 0x0
	flat_load_b32 v28, v[0:1]
	s_wait_dscnt 0x1
	s_wait_xcnt 0x0
	v_and_b32_e32 v0, 0xff, v30
	v_mov_b32_e32 v1, 0
	s_delay_alu instid0(VALU_DEP_2)
	v_cmpx_ne_u16_e32 0, v0
	s_cbranch_execz .LBB292_1144
; %bb.1137:                             ;   in Loop: Header=BB292_806 Depth=1
	v_mov_b32_e32 v16, 0x8000
	s_mov_b32 s16, exec_lo
	v_cmpx_ne_u16_e32 0x80, v0
	s_cbranch_execz .LBB292_1143
; %bb.1138:                             ;   in Loop: Header=BB292_806 Depth=1
	v_and_b32_e32 v18, 0x7f, v30
	v_mov_b32_e32 v16, 0x7c01
	s_mov_b32 s17, exec_lo
	s_delay_alu instid0(VALU_DEP_2)
	v_cmpx_ne_u32_e32 0x7f, v18
	s_cbranch_execz .LBB292_1142
; %bb.1139:                             ;   in Loop: Header=BB292_806 Depth=1
	v_and_b32_e32 v0, 7, v30
	v_lshrrev_b32_e32 v6, 3, v18
	s_mov_b32 s18, exec_lo
	v_cmpx_gt_u32_e32 8, v18
; %bb.1140:                             ;   in Loop: Header=BB292_806 Depth=1
	s_delay_alu instid0(VALU_DEP_3) | instskip(NEXT) | instid1(VALU_DEP_1)
	v_clz_i32_u32_e32 v0, v0
	v_min_u32_e32 v0, 32, v0
	s_delay_alu instid0(VALU_DEP_1) | instskip(NEXT) | instid1(VALU_DEP_1)
	v_subrev_nc_u32_e32 v6, 28, v0
	v_lshlrev_b64_e32 v[18:19], v6, v[30:31]
	s_delay_alu instid0(VALU_DEP_1)
	v_dual_sub_nc_u32 v6, 29, v0 :: v_dual_bitop2_b32 v0, 7, v18 bitop3:0x40
; %bb.1141:                             ;   in Loop: Header=BB292_806 Depth=1
	s_or_b32 exec_lo, exec_lo, s18
	s_delay_alu instid0(VALU_DEP_1) | instskip(NEXT) | instid1(VALU_DEP_2)
	v_dual_lshlrev_b32 v16, 8, v30 :: v_dual_lshlrev_b32 v0, 7, v0
	v_lshl_add_u32 v6, v6, 10, 0x2000
	s_delay_alu instid0(VALU_DEP_2) | instskip(NEXT) | instid1(VALU_DEP_2)
	v_and_b32_e32 v16, 0x8000, v16
	v_and_b32_e32 v6, 0xfc00, v6
	s_delay_alu instid0(VALU_DEP_1)
	v_or3_b32 v16, v16, v6, v0
.LBB292_1142:                           ;   in Loop: Header=BB292_806 Depth=1
	s_or_b32 exec_lo, exec_lo, s17
.LBB292_1143:                           ;   in Loop: Header=BB292_806 Depth=1
	s_delay_alu instid0(SALU_CYCLE_1)
	s_or_b32 exec_lo, exec_lo, s16
.LBB292_1144:                           ;   in Loop: Header=BB292_806 Depth=1
	s_delay_alu instid0(SALU_CYCLE_1) | instskip(SKIP_2) | instid1(VALU_DEP_1)
	s_or_b32 exec_lo, exec_lo, s15
	v_lshrrev_b16 v6, 8, v30
	s_mov_b32 s15, exec_lo
	v_cmpx_ne_u16_e32 0, v6
	s_cbranch_execz .LBB292_1152
; %bb.1145:                             ;   in Loop: Header=BB292_806 Depth=1
	v_bfrev_b32_e32 v1, 1
	s_mov_b32 s16, exec_lo
	v_cmpx_ne_u16_e32 0x80, v6
	s_cbranch_execz .LBB292_1151
; %bb.1146:                             ;   in Loop: Header=BB292_806 Depth=1
	v_and_b32_e32 v0, 0xffff, v6
	v_mov_b32_e32 v1, 0x7c010000
	s_mov_b32 s17, exec_lo
	s_delay_alu instid0(VALU_DEP_2) | instskip(NEXT) | instid1(VALU_DEP_1)
	v_and_b32_e32 v19, 0x7f, v0
	v_cmpx_ne_u32_e32 0x7f, v19
	s_cbranch_execz .LBB292_1150
; %bb.1147:                             ;   in Loop: Header=BB292_806 Depth=1
	v_dual_lshrrev_b32 v18, 3, v19 :: v_dual_bitop2_b32 v1, 7, v0 bitop3:0x40
	s_mov_b32 s18, exec_lo
	v_cmpx_gt_u32_e32 8, v19
; %bb.1148:                             ;   in Loop: Header=BB292_806 Depth=1
	s_delay_alu instid0(VALU_DEP_2) | instskip(NEXT) | instid1(VALU_DEP_1)
	v_clz_i32_u32_e32 v1, v1
	v_min_u32_e32 v1, 32, v1
	s_delay_alu instid0(VALU_DEP_1) | instskip(NEXT) | instid1(VALU_DEP_1)
	v_subrev_nc_u32_e32 v18, 28, v1
	v_lshlrev_b64_e32 v[22:23], v18, v[6:7]
	s_delay_alu instid0(VALU_DEP_1)
	v_dual_sub_nc_u32 v18, 29, v1 :: v_dual_bitop2_b32 v1, 7, v22 bitop3:0x40
; %bb.1149:                             ;   in Loop: Header=BB292_806 Depth=1
	s_or_b32 exec_lo, exec_lo, s18
	s_delay_alu instid0(VALU_DEP_1) | instskip(NEXT) | instid1(VALU_DEP_2)
	v_dual_lshlrev_b32 v0, 8, v0 :: v_dual_lshlrev_b32 v1, 23, v1
	v_lshl_add_u32 v6, v18, 10, 0x2000
	s_delay_alu instid0(VALU_DEP_1) | instskip(NEXT) | instid1(VALU_DEP_1)
	v_and_or_b32 v0, 0x8000, v0, v6
	v_lshl_or_b32 v1, v0, 16, v1
.LBB292_1150:                           ;   in Loop: Header=BB292_806 Depth=1
	s_or_b32 exec_lo, exec_lo, s17
.LBB292_1151:                           ;   in Loop: Header=BB292_806 Depth=1
	s_delay_alu instid0(SALU_CYCLE_1)
	s_or_b32 exec_lo, exec_lo, s16
.LBB292_1152:                           ;   in Loop: Header=BB292_806 Depth=1
	s_delay_alu instid0(SALU_CYCLE_1) | instskip(SKIP_3) | instid1(VALU_DEP_2)
	s_or_b32 exec_lo, exec_lo, s15
	v_dual_lshrrev_b32 v0, 16, v30 :: v_dual_mov_b32 v18, 0
	v_mov_b32_e32 v19, 0
	s_mov_b32 s15, exec_lo
	v_and_b32_e32 v6, 0xff, v0
	s_delay_alu instid0(VALU_DEP_1)
	v_cmpx_ne_u16_e32 0, v6
	s_cbranch_execz .LBB292_1160
; %bb.1153:                             ;   in Loop: Header=BB292_806 Depth=1
	v_mov_b32_e32 v19, 0x8000
	s_mov_b32 s16, exec_lo
	v_cmpx_ne_u16_e32 0x80, v6
	s_cbranch_execz .LBB292_1159
; %bb.1154:                             ;   in Loop: Header=BB292_806 Depth=1
	v_bfe_u32 v22, v30, 16, 7
	v_mov_b32_e32 v19, 0x7c01
	s_mov_b32 s17, exec_lo
	s_delay_alu instid0(VALU_DEP_2)
	v_cmpx_ne_u32_e32 0x7f, v22
	s_cbranch_execz .LBB292_1158
; %bb.1155:                             ;   in Loop: Header=BB292_806 Depth=1
	v_dual_lshrrev_b32 v19, 3, v22 :: v_dual_bitop2_b32 v6, 7, v0 bitop3:0x40
	s_mov_b32 s18, exec_lo
	v_cmpx_gt_u32_e32 8, v22
; %bb.1156:                             ;   in Loop: Header=BB292_806 Depth=1
	s_delay_alu instid0(VALU_DEP_2) | instskip(NEXT) | instid1(VALU_DEP_1)
	v_clz_i32_u32_e32 v6, v6
	v_min_u32_e32 v6, 32, v6
	s_delay_alu instid0(VALU_DEP_1) | instskip(NEXT) | instid1(VALU_DEP_1)
	v_subrev_nc_u32_e32 v19, 28, v6
	v_lshlrev_b64_e32 v[22:23], v19, v[0:1]
	v_sub_nc_u32_e32 v19, 29, v6
	s_delay_alu instid0(VALU_DEP_2)
	v_and_b32_e32 v6, 7, v22
; %bb.1157:                             ;   in Loop: Header=BB292_806 Depth=1
	s_or_b32 exec_lo, exec_lo, s18
	s_delay_alu instid0(VALU_DEP_1) | instskip(NEXT) | instid1(VALU_DEP_3)
	v_dual_lshlrev_b32 v0, 8, v0 :: v_dual_lshlrev_b32 v6, 7, v6
	v_lshl_add_u32 v19, v19, 10, 0x2000
	s_delay_alu instid0(VALU_DEP_2) | instskip(NEXT) | instid1(VALU_DEP_2)
	v_and_b32_e32 v0, 0x8000, v0
	v_and_b32_e32 v19, 0xfc00, v19
	s_delay_alu instid0(VALU_DEP_1)
	v_or3_b32 v19, v0, v19, v6
.LBB292_1158:                           ;   in Loop: Header=BB292_806 Depth=1
	s_or_b32 exec_lo, exec_lo, s17
.LBB292_1159:                           ;   in Loop: Header=BB292_806 Depth=1
	s_delay_alu instid0(SALU_CYCLE_1)
	s_or_b32 exec_lo, exec_lo, s16
.LBB292_1160:                           ;   in Loop: Header=BB292_806 Depth=1
	s_delay_alu instid0(SALU_CYCLE_1) | instskip(NEXT) | instid1(SALU_CYCLE_1)
	s_or_b32 exec_lo, exec_lo, s15
	s_mov_b32 s15, exec_lo
	v_cmpx_lt_u32_e32 0xffffff, v30
	s_cbranch_execz .LBB292_1168
; %bb.1161:                             ;   in Loop: Header=BB292_806 Depth=1
	v_lshrrev_b32_e32 v6, 24, v30
	v_bfrev_b32_e32 v18, 1
	s_mov_b32 s16, exec_lo
	s_delay_alu instid0(VALU_DEP_2)
	v_cmpx_ne_u32_e32 0x80, v6
	s_cbranch_execz .LBB292_1167
; %bb.1162:                             ;   in Loop: Header=BB292_806 Depth=1
	v_and_b32_e32 v22, 0x7f, v6
	v_mov_b32_e32 v18, 0x7c010000
	s_mov_b32 s17, exec_lo
	s_delay_alu instid0(VALU_DEP_2)
	v_cmpx_ne_u32_e32 0x7f, v22
	s_cbranch_execz .LBB292_1166
; %bb.1163:                             ;   in Loop: Header=BB292_806 Depth=1
	v_and_b32_e32 v0, 7, v6
	v_lshrrev_b32_e32 v18, 3, v22
	s_mov_b32 s18, exec_lo
	v_cmpx_gt_u32_e32 8, v22
; %bb.1164:                             ;   in Loop: Header=BB292_806 Depth=1
	s_delay_alu instid0(VALU_DEP_3) | instskip(NEXT) | instid1(VALU_DEP_1)
	v_clz_i32_u32_e32 v0, v0
	v_min_u32_e32 v0, 32, v0
	s_delay_alu instid0(VALU_DEP_1) | instskip(NEXT) | instid1(VALU_DEP_1)
	v_subrev_nc_u32_e32 v18, 28, v0
	v_lshlrev_b64_e32 v[22:23], v18, v[6:7]
	s_delay_alu instid0(VALU_DEP_1)
	v_dual_sub_nc_u32 v18, 29, v0 :: v_dual_bitop2_b32 v0, 7, v22 bitop3:0x40
; %bb.1165:                             ;   in Loop: Header=BB292_806 Depth=1
	s_or_b32 exec_lo, exec_lo, s18
	s_delay_alu instid0(VALU_DEP_1) | instskip(NEXT) | instid1(VALU_DEP_2)
	v_dual_lshlrev_b32 v6, 8, v6 :: v_dual_lshlrev_b32 v0, 23, v0
	v_lshl_add_u32 v18, v18, 10, 0x2000
	s_delay_alu instid0(VALU_DEP_1) | instskip(NEXT) | instid1(VALU_DEP_1)
	v_and_or_b32 v6, 0x8000, v6, v18
	v_lshl_or_b32 v18, v6, 16, v0
.LBB292_1166:                           ;   in Loop: Header=BB292_806 Depth=1
	s_or_b32 exec_lo, exec_lo, s17
.LBB292_1167:                           ;   in Loop: Header=BB292_806 Depth=1
	s_delay_alu instid0(SALU_CYCLE_1)
	s_or_b32 exec_lo, exec_lo, s16
.LBB292_1168:                           ;   in Loop: Header=BB292_806 Depth=1
	s_delay_alu instid0(SALU_CYCLE_1) | instskip(SKIP_4) | instid1(VALU_DEP_3)
	s_or_b32 exec_lo, exec_lo, s15
	v_and_b32_e32 v0, 0xff, v31
	v_dual_mov_b32 v6, v31 :: v_dual_mov_b32 v23, 0
	v_mov_b32_e32 v22, 0
	s_mov_b32 s15, exec_lo
	v_cmpx_ne_u16_e32 0, v0
	s_cbranch_execz .LBB292_1176
; %bb.1169:                             ;   in Loop: Header=BB292_806 Depth=1
	v_mov_b32_e32 v22, 0x8000
	s_mov_b32 s16, exec_lo
	v_cmpx_ne_u16_e32 0x80, v0
	s_cbranch_execz .LBB292_1175
; %bb.1170:                             ;   in Loop: Header=BB292_806 Depth=1
	v_and_b32_e32 v29, 0x7f, v31
	v_mov_b32_e32 v22, 0x7c01
	s_mov_b32 s17, exec_lo
	s_delay_alu instid0(VALU_DEP_2)
	v_cmpx_ne_u32_e32 0x7f, v29
	s_cbranch_execz .LBB292_1174
; %bb.1171:                             ;   in Loop: Header=BB292_806 Depth=1
	v_dual_lshrrev_b32 v22, 3, v29 :: v_dual_bitop2_b32 v0, 7, v31 bitop3:0x40
	s_mov_b32 s18, exec_lo
	v_cmpx_gt_u32_e32 8, v29
; %bb.1172:                             ;   in Loop: Header=BB292_806 Depth=1
	s_delay_alu instid0(VALU_DEP_2) | instskip(NEXT) | instid1(VALU_DEP_1)
	v_clz_i32_u32_e32 v0, v0
	v_min_u32_e32 v0, 32, v0
	s_delay_alu instid0(VALU_DEP_1) | instskip(NEXT) | instid1(VALU_DEP_1)
	v_subrev_nc_u32_e32 v22, 28, v0
	v_lshlrev_b64_e32 v[32:33], v22, v[6:7]
	v_sub_nc_u32_e32 v22, 29, v0
	s_delay_alu instid0(VALU_DEP_2)
	v_and_b32_e32 v0, 7, v32
; %bb.1173:                             ;   in Loop: Header=BB292_806 Depth=1
	s_or_b32 exec_lo, exec_lo, s18
	s_delay_alu instid0(VALU_DEP_1) | instskip(NEXT) | instid1(VALU_DEP_3)
	v_dual_lshlrev_b32 v29, 8, v31 :: v_dual_lshlrev_b32 v0, 7, v0
	v_lshl_add_u32 v22, v22, 10, 0x2000
	s_delay_alu instid0(VALU_DEP_2) | instskip(NEXT) | instid1(VALU_DEP_2)
	v_and_b32_e32 v29, 0x8000, v29
	v_and_b32_e32 v22, 0xfc00, v22
	s_delay_alu instid0(VALU_DEP_1)
	v_or3_b32 v22, v29, v22, v0
.LBB292_1174:                           ;   in Loop: Header=BB292_806 Depth=1
	s_or_b32 exec_lo, exec_lo, s17
.LBB292_1175:                           ;   in Loop: Header=BB292_806 Depth=1
	s_delay_alu instid0(SALU_CYCLE_1)
	s_or_b32 exec_lo, exec_lo, s16
.LBB292_1176:                           ;   in Loop: Header=BB292_806 Depth=1
	s_delay_alu instid0(SALU_CYCLE_1) | instskip(SKIP_3) | instid1(VALU_DEP_2)
	s_or_b32 exec_lo, exec_lo, s15
	v_lshrrev_b16 v6, 8, v6
	v_mov_b32_e32 v29, 0
	s_mov_b32 s15, exec_lo
	v_cmpx_ne_u16_e32 0, v6
	s_cbranch_execz .LBB292_1184
; %bb.1177:                             ;   in Loop: Header=BB292_806 Depth=1
	v_bfrev_b32_e32 v29, 1
	s_mov_b32 s16, exec_lo
	v_cmpx_ne_u16_e32 0x80, v6
	s_cbranch_execz .LBB292_1183
; %bb.1178:                             ;   in Loop: Header=BB292_806 Depth=1
	v_and_b32_e32 v0, 0xffff, v6
	v_mov_b32_e32 v29, 0x7c010000
	s_mov_b32 s17, exec_lo
	s_delay_alu instid0(VALU_DEP_2) | instskip(NEXT) | instid1(VALU_DEP_1)
	v_and_b32_e32 v33, 0x7f, v0
	v_cmpx_ne_u32_e32 0x7f, v33
	s_cbranch_execz .LBB292_1182
; %bb.1179:                             ;   in Loop: Header=BB292_806 Depth=1
	v_dual_lshrrev_b32 v32, 3, v33 :: v_dual_bitop2_b32 v29, 7, v0 bitop3:0x40
	s_mov_b32 s18, exec_lo
	v_cmpx_gt_u32_e32 8, v33
; %bb.1180:                             ;   in Loop: Header=BB292_806 Depth=1
	s_delay_alu instid0(VALU_DEP_2) | instskip(NEXT) | instid1(VALU_DEP_1)
	v_clz_i32_u32_e32 v29, v29
	v_min_u32_e32 v29, 32, v29
	s_delay_alu instid0(VALU_DEP_1) | instskip(NEXT) | instid1(VALU_DEP_1)
	v_subrev_nc_u32_e32 v32, 28, v29
	v_lshlrev_b64_e32 v[34:35], v32, v[6:7]
	s_delay_alu instid0(VALU_DEP_1)
	v_dual_sub_nc_u32 v32, 29, v29 :: v_dual_bitop2_b32 v29, 7, v34 bitop3:0x40
; %bb.1181:                             ;   in Loop: Header=BB292_806 Depth=1
	s_or_b32 exec_lo, exec_lo, s18
	v_lshlrev_b32_e32 v0, 8, v0
	s_delay_alu instid0(VALU_DEP_2) | instskip(NEXT) | instid1(VALU_DEP_1)
	v_lshl_add_u32 v6, v32, 10, 0x2000
	v_and_or_b32 v0, 0x8000, v0, v6
	v_lshlrev_b32_e32 v6, 23, v29
	s_delay_alu instid0(VALU_DEP_1)
	v_lshl_or_b32 v29, v0, 16, v6
.LBB292_1182:                           ;   in Loop: Header=BB292_806 Depth=1
	s_or_b32 exec_lo, exec_lo, s17
.LBB292_1183:                           ;   in Loop: Header=BB292_806 Depth=1
	s_delay_alu instid0(SALU_CYCLE_1)
	s_or_b32 exec_lo, exec_lo, s16
.LBB292_1184:                           ;   in Loop: Header=BB292_806 Depth=1
	s_delay_alu instid0(SALU_CYCLE_1) | instskip(SKIP_2) | instid1(VALU_DEP_1)
	s_or_b32 exec_lo, exec_lo, s15
	v_lshrrev_b32_e32 v0, 16, v31
	s_mov_b32 s15, exec_lo
	v_and_b32_e32 v6, 0xff, v0
	s_delay_alu instid0(VALU_DEP_1)
	v_cmpx_ne_u16_e32 0, v6
	s_cbranch_execz .LBB292_1192
; %bb.1185:                             ;   in Loop: Header=BB292_806 Depth=1
	v_mov_b32_e32 v23, 0x8000
	s_mov_b32 s16, exec_lo
	v_cmpx_ne_u16_e32 0x80, v6
	s_cbranch_execz .LBB292_1191
; %bb.1186:                             ;   in Loop: Header=BB292_806 Depth=1
	v_bfe_u32 v32, v31, 16, 7
	v_mov_b32_e32 v23, 0x7c01
	s_mov_b32 s17, exec_lo
	s_delay_alu instid0(VALU_DEP_2)
	v_cmpx_ne_u32_e32 0x7f, v32
	s_cbranch_execz .LBB292_1190
; %bb.1187:                             ;   in Loop: Header=BB292_806 Depth=1
	v_and_b32_e32 v6, 7, v0
	v_lshrrev_b32_e32 v23, 3, v32
	s_mov_b32 s18, exec_lo
	v_cmpx_gt_u32_e32 8, v32
; %bb.1188:                             ;   in Loop: Header=BB292_806 Depth=1
	s_delay_alu instid0(VALU_DEP_3) | instskip(NEXT) | instid1(VALU_DEP_1)
	v_clz_i32_u32_e32 v6, v6
	v_min_u32_e32 v6, 32, v6
	s_delay_alu instid0(VALU_DEP_1) | instskip(NEXT) | instid1(VALU_DEP_1)
	v_subrev_nc_u32_e32 v23, 28, v6
	v_lshlrev_b64_e32 v[32:33], v23, v[0:1]
	s_delay_alu instid0(VALU_DEP_1)
	v_dual_sub_nc_u32 v23, 29, v6 :: v_dual_bitop2_b32 v6, 7, v32 bitop3:0x40
; %bb.1189:                             ;   in Loop: Header=BB292_806 Depth=1
	s_or_b32 exec_lo, exec_lo, s18
	s_delay_alu instid0(VALU_DEP_1) | instskip(NEXT) | instid1(VALU_DEP_2)
	v_dual_lshlrev_b32 v0, 8, v0 :: v_dual_lshlrev_b32 v6, 7, v6
	v_lshl_add_u32 v23, v23, 10, 0x2000
	s_delay_alu instid0(VALU_DEP_2) | instskip(NEXT) | instid1(VALU_DEP_2)
	v_and_b32_e32 v0, 0x8000, v0
	v_and_b32_e32 v23, 0xfc00, v23
	s_delay_alu instid0(VALU_DEP_1)
	v_or3_b32 v23, v0, v23, v6
.LBB292_1190:                           ;   in Loop: Header=BB292_806 Depth=1
	s_or_b32 exec_lo, exec_lo, s17
.LBB292_1191:                           ;   in Loop: Header=BB292_806 Depth=1
	s_delay_alu instid0(SALU_CYCLE_1)
	s_or_b32 exec_lo, exec_lo, s16
.LBB292_1192:                           ;   in Loop: Header=BB292_806 Depth=1
	s_delay_alu instid0(SALU_CYCLE_1)
	s_or_b32 exec_lo, exec_lo, s15
	v_mov_b32_e32 v0, 0
	s_mov_b32 s15, exec_lo
	v_cmpx_lt_u64_e64 s[2:3], v[30:31]
	s_cbranch_execz .LBB292_1200
; %bb.1193:                             ;   in Loop: Header=BB292_806 Depth=1
	v_lshrrev_b32_e32 v6, 24, v31
	v_bfrev_b32_e32 v0, 1
	s_mov_b32 s16, exec_lo
	s_delay_alu instid0(VALU_DEP_2)
	v_cmpx_ne_u32_e32 0x80, v6
	s_cbranch_execz .LBB292_1199
; %bb.1194:                             ;   in Loop: Header=BB292_806 Depth=1
	v_and_b32_e32 v31, 0x7f, v6
	v_mov_b32_e32 v0, 0x7c010000
	s_mov_b32 s17, exec_lo
	s_delay_alu instid0(VALU_DEP_2)
	v_cmpx_ne_u32_e32 0x7f, v31
	s_cbranch_execz .LBB292_1198
; %bb.1195:                             ;   in Loop: Header=BB292_806 Depth=1
	v_dual_lshrrev_b32 v30, 3, v31 :: v_dual_bitop2_b32 v0, 7, v6 bitop3:0x40
	s_mov_b32 s18, exec_lo
	v_cmpx_gt_u32_e32 8, v31
; %bb.1196:                             ;   in Loop: Header=BB292_806 Depth=1
	s_delay_alu instid0(VALU_DEP_2) | instskip(NEXT) | instid1(VALU_DEP_1)
	v_clz_i32_u32_e32 v0, v0
	v_min_u32_e32 v0, 32, v0
	s_delay_alu instid0(VALU_DEP_1) | instskip(NEXT) | instid1(VALU_DEP_1)
	v_subrev_nc_u32_e32 v30, 28, v0
	v_lshlrev_b64_e32 v[32:33], v30, v[6:7]
	v_sub_nc_u32_e32 v30, 29, v0
	s_delay_alu instid0(VALU_DEP_2)
	v_and_b32_e32 v0, 7, v32
; %bb.1197:                             ;   in Loop: Header=BB292_806 Depth=1
	s_or_b32 exec_lo, exec_lo, s18
	s_delay_alu instid0(VALU_DEP_1) | instskip(NEXT) | instid1(VALU_DEP_3)
	v_dual_lshlrev_b32 v6, 8, v6 :: v_dual_lshlrev_b32 v0, 23, v0
	v_lshl_add_u32 v30, v30, 10, 0x2000
	s_delay_alu instid0(VALU_DEP_1) | instskip(NEXT) | instid1(VALU_DEP_1)
	v_and_or_b32 v6, 0x8000, v6, v30
	v_lshl_or_b32 v0, v6, 16, v0
.LBB292_1198:                           ;   in Loop: Header=BB292_806 Depth=1
	s_or_b32 exec_lo, exec_lo, s17
.LBB292_1199:                           ;   in Loop: Header=BB292_806 Depth=1
	s_delay_alu instid0(SALU_CYCLE_1)
	s_or_b32 exec_lo, exec_lo, s16
.LBB292_1200:                           ;   in Loop: Header=BB292_806 Depth=1
	s_delay_alu instid0(SALU_CYCLE_1) | instskip(SKIP_3) | instid1(VALU_DEP_3)
	s_or_b32 exec_lo, exec_lo, s15
	v_dual_lshrrev_b32 v6, 16, v1 :: v_dual_lshrrev_b32 v30, 16, v18
	v_or_b32_e32 v1, v1, v16
	v_or_b32_e32 v16, v18, v19
	v_cvt_f32_f16_e32 v19, v6
	s_delay_alu instid0(VALU_DEP_4)
	v_cvt_f32_f16_e32 v18, v30
	v_dual_lshrrev_b32 v23, 16, v29 :: v_dual_bitop2_b32 v6, v0, v23 bitop3:0x54
	v_lshrrev_b32_e32 v30, 16, v0
	v_cvt_f32_f16_e32 v0, v16
	v_cvt_f32_f16_e32 v1, v1
	v_or_b32_e32 v16, v29, v22
	s_wait_loadcnt_dscnt 0x0
	v_pk_mul_f32 v[18:19], v[28:29], v[18:19] op_sel_hi:[0,1]
	v_cvt_f32_f16_e32 v23, v23
	v_cvt_f32_f16_e32 v22, v30
	v_pk_mul_f32 v[0:1], v[28:29], v[0:1] op_sel_hi:[0,1]
	v_cvt_f32_f16_e32 v31, v16
	s_delay_alu instid0(VALU_DEP_2) | instskip(NEXT) | instid1(VALU_DEP_1)
	v_cvt_pk_f16_f32 v0, v0, v1
	v_lshrrev_b32_e32 v35, 16, v0
	v_cvt_f32_f16_e32 v30, v6
	v_cvt_pk_f16_f32 v6, v18, v19
	v_pk_mul_f32 v[18:19], v[28:29], v[22:23] op_sel_hi:[0,1]
	v_and_b32_e32 v34, 0xffff, v0
	s_delay_alu instid0(VALU_DEP_4) | instskip(NEXT) | instid1(VALU_DEP_4)
	v_pk_mul_f32 v[22:23], v[28:29], v[30:31] op_sel_hi:[0,1]
	v_and_b32_e32 v29, 0xffff0000, v6
	s_delay_alu instid0(VALU_DEP_4) | instskip(SKIP_1) | instid1(VALU_DEP_4)
	v_cvt_pk_f16_f32 v16, v18, v19
	v_lshlrev_b32_e32 v28, 16, v6
	v_cvt_pk_f16_f32 v6, v22, v23
	s_delay_alu instid0(VALU_DEP_4) | instskip(NEXT) | instid1(VALU_DEP_4)
	v_or_b32_e32 v33, v29, v35
	v_and_b32_e32 v1, 0xffff0000, v16
	s_delay_alu instid0(VALU_DEP_4) | instskip(NEXT) | instid1(VALU_DEP_4)
	v_dual_lshlrev_b32 v0, 16, v16 :: v_dual_bitop2_b32 v32, v28, v34 bitop3:0x54
	v_lshrrev_b32_e32 v19, 16, v6
	v_and_b32_e32 v6, 0xffff, v6
	s_delay_alu instid0(VALU_DEP_2) | instskip(NEXT) | instid1(VALU_DEP_2)
	v_or_b32_e32 v31, v1, v19
	v_or_b32_e32 v30, v0, v6
	s_and_saveexec_b32 s15, vcc_lo
	s_cbranch_execz .LBB292_1202
; %bb.1201:                             ;   in Loop: Header=BB292_806 Depth=1
	v_cmp_lt_i32_e64 s0, v49, v13
	s_delay_alu instid0(VALU_DEP_1) | instskip(SKIP_1) | instid1(VALU_DEP_1)
	v_cndmask_b32_e64 v16, 0, v35, s0
	v_cmp_lt_i32_e64 s0, v66, v116
	v_cndmask_b32_e64 v18, 0, v34, s0
	v_cmp_lt_i32_e64 s0, v65, v13
	s_delay_alu instid0(VALU_DEP_1) | instskip(SKIP_1) | instid1(VALU_DEP_1)
	v_cndmask_b32_e64 v22, 0, v29, s0
	v_cmp_lt_i32_e64 s0, v64, v116
	v_cndmask_b32_e64 v23, 0, v28, s0
	v_cmp_lt_i32_e64 s0, v55, v13
	s_delay_alu instid0(VALU_DEP_4) | instskip(NEXT) | instid1(VALU_DEP_3)
	v_or_b32_e32 v33, v16, v22
	v_or_b32_e32 v32, v18, v23
	s_delay_alu instid0(VALU_DEP_3) | instskip(SKIP_1) | instid1(VALU_DEP_1)
	v_cndmask_b32_e64 v19, 0, v19, s0
	v_cmp_lt_i32_e64 s0, v54, v116
	v_cndmask_b32_e64 v6, 0, v6, s0
	v_cmp_lt_i32_e64 s0, v53, v13
	s_delay_alu instid0(VALU_DEP_1) | instskip(SKIP_1) | instid1(VALU_DEP_1)
	v_cndmask_b32_e64 v1, 0, v1, s0
	v_cmp_lt_i32_e64 s0, v52, v116
	v_dual_cndmask_b32 v0, 0, v0, s0 :: v_dual_bitop2_b32 v31, v19, v1 bitop3:0x54
	s_delay_alu instid0(VALU_DEP_1)
	v_or_b32_e32 v30, v6, v0
.LBB292_1202:                           ;   in Loop: Header=BB292_806 Depth=1
	s_or_b32 exec_lo, exec_lo, s15
	;;#ASMSTART
	v_pk_mul_f16 v0, v70, v33;

	;;#ASMEND
	;;#ASMSTART
	v_pk_mul_f16 v1, v69, v32;

	;;#ASMEND
	;; [unrolled: 4-line block ×4, first 2 shown]
	;;#ASMSTART
	v_pk_add_f16 v0, v0, v1;

	;;#ASMEND
	;;#ASMSTART
	v_pk_add_f16 v0, v0, v6;

	;;#ASMEND
	;; [unrolled: 4-line block ×3, first 2 shown]
	v_and_b32_e32 v1, 0xffff, v0
	v_lshrrev_b32_e32 v0, 16, v0
	;;#ASMSTART
	v_cvt_f32_f16 v97, v1;
	;;#ASMEND
	;;#ASMSTART
	v_cvt_f32_f16 v98, v0;
	;;#ASMEND
	flat_load_b64 v[30:31], v[14:15] offset:1536
	scratch_load_b64 v[0:1], off, s32 offset:192 ; 8-byte Folded Reload
	v_mov_b32_e32 v16, 0
	s_mov_b32 s15, exec_lo
	s_wait_loadcnt 0x0
	flat_load_b32 v28, v[0:1]
	s_wait_dscnt 0x1
	s_wait_xcnt 0x0
	v_and_b32_e32 v0, 0xff, v30
	v_mov_b32_e32 v1, 0
	s_delay_alu instid0(VALU_DEP_2)
	v_cmpx_ne_u16_e32 0, v0
	s_cbranch_execz .LBB292_1210
; %bb.1203:                             ;   in Loop: Header=BB292_806 Depth=1
	v_mov_b32_e32 v16, 0x8000
	s_mov_b32 s16, exec_lo
	v_cmpx_ne_u16_e32 0x80, v0
	s_cbranch_execz .LBB292_1209
; %bb.1204:                             ;   in Loop: Header=BB292_806 Depth=1
	v_and_b32_e32 v18, 0x7f, v30
	v_mov_b32_e32 v16, 0x7c01
	s_mov_b32 s17, exec_lo
	s_delay_alu instid0(VALU_DEP_2)
	v_cmpx_ne_u32_e32 0x7f, v18
	s_cbranch_execz .LBB292_1208
; %bb.1205:                             ;   in Loop: Header=BB292_806 Depth=1
	v_and_b32_e32 v0, 7, v30
	v_lshrrev_b32_e32 v6, 3, v18
	s_mov_b32 s18, exec_lo
	v_cmpx_gt_u32_e32 8, v18
; %bb.1206:                             ;   in Loop: Header=BB292_806 Depth=1
	s_delay_alu instid0(VALU_DEP_3) | instskip(NEXT) | instid1(VALU_DEP_1)
	v_clz_i32_u32_e32 v0, v0
	v_min_u32_e32 v0, 32, v0
	s_delay_alu instid0(VALU_DEP_1) | instskip(NEXT) | instid1(VALU_DEP_1)
	v_subrev_nc_u32_e32 v6, 28, v0
	v_lshlrev_b64_e32 v[18:19], v6, v[30:31]
	s_delay_alu instid0(VALU_DEP_1)
	v_dual_sub_nc_u32 v6, 29, v0 :: v_dual_bitop2_b32 v0, 7, v18 bitop3:0x40
; %bb.1207:                             ;   in Loop: Header=BB292_806 Depth=1
	s_or_b32 exec_lo, exec_lo, s18
	s_delay_alu instid0(VALU_DEP_1) | instskip(NEXT) | instid1(VALU_DEP_2)
	v_dual_lshlrev_b32 v16, 8, v30 :: v_dual_lshlrev_b32 v0, 7, v0
	v_lshl_add_u32 v6, v6, 10, 0x2000
	s_delay_alu instid0(VALU_DEP_2) | instskip(NEXT) | instid1(VALU_DEP_2)
	v_and_b32_e32 v16, 0x8000, v16
	v_and_b32_e32 v6, 0xfc00, v6
	s_delay_alu instid0(VALU_DEP_1)
	v_or3_b32 v16, v16, v6, v0
.LBB292_1208:                           ;   in Loop: Header=BB292_806 Depth=1
	s_or_b32 exec_lo, exec_lo, s17
.LBB292_1209:                           ;   in Loop: Header=BB292_806 Depth=1
	s_delay_alu instid0(SALU_CYCLE_1)
	s_or_b32 exec_lo, exec_lo, s16
.LBB292_1210:                           ;   in Loop: Header=BB292_806 Depth=1
	s_delay_alu instid0(SALU_CYCLE_1) | instskip(SKIP_2) | instid1(VALU_DEP_1)
	s_or_b32 exec_lo, exec_lo, s15
	v_lshrrev_b16 v6, 8, v30
	s_mov_b32 s15, exec_lo
	v_cmpx_ne_u16_e32 0, v6
	s_cbranch_execz .LBB292_1218
; %bb.1211:                             ;   in Loop: Header=BB292_806 Depth=1
	v_bfrev_b32_e32 v1, 1
	s_mov_b32 s16, exec_lo
	v_cmpx_ne_u16_e32 0x80, v6
	s_cbranch_execz .LBB292_1217
; %bb.1212:                             ;   in Loop: Header=BB292_806 Depth=1
	v_and_b32_e32 v0, 0xffff, v6
	v_mov_b32_e32 v1, 0x7c010000
	s_mov_b32 s17, exec_lo
	s_delay_alu instid0(VALU_DEP_2) | instskip(NEXT) | instid1(VALU_DEP_1)
	v_and_b32_e32 v19, 0x7f, v0
	v_cmpx_ne_u32_e32 0x7f, v19
	s_cbranch_execz .LBB292_1216
; %bb.1213:                             ;   in Loop: Header=BB292_806 Depth=1
	v_dual_lshrrev_b32 v18, 3, v19 :: v_dual_bitop2_b32 v1, 7, v0 bitop3:0x40
	s_mov_b32 s18, exec_lo
	v_cmpx_gt_u32_e32 8, v19
; %bb.1214:                             ;   in Loop: Header=BB292_806 Depth=1
	s_delay_alu instid0(VALU_DEP_2) | instskip(NEXT) | instid1(VALU_DEP_1)
	v_clz_i32_u32_e32 v1, v1
	v_min_u32_e32 v1, 32, v1
	s_delay_alu instid0(VALU_DEP_1) | instskip(NEXT) | instid1(VALU_DEP_1)
	v_subrev_nc_u32_e32 v18, 28, v1
	v_lshlrev_b64_e32 v[22:23], v18, v[6:7]
	s_delay_alu instid0(VALU_DEP_1)
	v_dual_sub_nc_u32 v18, 29, v1 :: v_dual_bitop2_b32 v1, 7, v22 bitop3:0x40
; %bb.1215:                             ;   in Loop: Header=BB292_806 Depth=1
	s_or_b32 exec_lo, exec_lo, s18
	s_delay_alu instid0(VALU_DEP_1) | instskip(NEXT) | instid1(VALU_DEP_2)
	v_dual_lshlrev_b32 v0, 8, v0 :: v_dual_lshlrev_b32 v1, 23, v1
	v_lshl_add_u32 v6, v18, 10, 0x2000
	s_delay_alu instid0(VALU_DEP_1) | instskip(NEXT) | instid1(VALU_DEP_1)
	v_and_or_b32 v0, 0x8000, v0, v6
	v_lshl_or_b32 v1, v0, 16, v1
.LBB292_1216:                           ;   in Loop: Header=BB292_806 Depth=1
	s_or_b32 exec_lo, exec_lo, s17
.LBB292_1217:                           ;   in Loop: Header=BB292_806 Depth=1
	s_delay_alu instid0(SALU_CYCLE_1)
	s_or_b32 exec_lo, exec_lo, s16
.LBB292_1218:                           ;   in Loop: Header=BB292_806 Depth=1
	s_delay_alu instid0(SALU_CYCLE_1) | instskip(SKIP_3) | instid1(VALU_DEP_2)
	s_or_b32 exec_lo, exec_lo, s15
	v_dual_lshrrev_b32 v0, 16, v30 :: v_dual_mov_b32 v18, 0
	v_mov_b32_e32 v19, 0
	s_mov_b32 s15, exec_lo
	v_and_b32_e32 v6, 0xff, v0
	s_delay_alu instid0(VALU_DEP_1)
	v_cmpx_ne_u16_e32 0, v6
	s_cbranch_execz .LBB292_1226
; %bb.1219:                             ;   in Loop: Header=BB292_806 Depth=1
	v_mov_b32_e32 v19, 0x8000
	s_mov_b32 s16, exec_lo
	v_cmpx_ne_u16_e32 0x80, v6
	s_cbranch_execz .LBB292_1225
; %bb.1220:                             ;   in Loop: Header=BB292_806 Depth=1
	v_bfe_u32 v22, v30, 16, 7
	v_mov_b32_e32 v19, 0x7c01
	s_mov_b32 s17, exec_lo
	s_delay_alu instid0(VALU_DEP_2)
	v_cmpx_ne_u32_e32 0x7f, v22
	s_cbranch_execz .LBB292_1224
; %bb.1221:                             ;   in Loop: Header=BB292_806 Depth=1
	v_dual_lshrrev_b32 v19, 3, v22 :: v_dual_bitop2_b32 v6, 7, v0 bitop3:0x40
	s_mov_b32 s18, exec_lo
	v_cmpx_gt_u32_e32 8, v22
; %bb.1222:                             ;   in Loop: Header=BB292_806 Depth=1
	s_delay_alu instid0(VALU_DEP_2) | instskip(NEXT) | instid1(VALU_DEP_1)
	v_clz_i32_u32_e32 v6, v6
	v_min_u32_e32 v6, 32, v6
	s_delay_alu instid0(VALU_DEP_1) | instskip(NEXT) | instid1(VALU_DEP_1)
	v_subrev_nc_u32_e32 v19, 28, v6
	v_lshlrev_b64_e32 v[22:23], v19, v[0:1]
	v_sub_nc_u32_e32 v19, 29, v6
	s_delay_alu instid0(VALU_DEP_2)
	v_and_b32_e32 v6, 7, v22
; %bb.1223:                             ;   in Loop: Header=BB292_806 Depth=1
	s_or_b32 exec_lo, exec_lo, s18
	s_delay_alu instid0(VALU_DEP_1) | instskip(NEXT) | instid1(VALU_DEP_3)
	v_dual_lshlrev_b32 v0, 8, v0 :: v_dual_lshlrev_b32 v6, 7, v6
	v_lshl_add_u32 v19, v19, 10, 0x2000
	s_delay_alu instid0(VALU_DEP_2) | instskip(NEXT) | instid1(VALU_DEP_2)
	v_and_b32_e32 v0, 0x8000, v0
	v_and_b32_e32 v19, 0xfc00, v19
	s_delay_alu instid0(VALU_DEP_1)
	v_or3_b32 v19, v0, v19, v6
.LBB292_1224:                           ;   in Loop: Header=BB292_806 Depth=1
	s_or_b32 exec_lo, exec_lo, s17
.LBB292_1225:                           ;   in Loop: Header=BB292_806 Depth=1
	s_delay_alu instid0(SALU_CYCLE_1)
	s_or_b32 exec_lo, exec_lo, s16
.LBB292_1226:                           ;   in Loop: Header=BB292_806 Depth=1
	s_delay_alu instid0(SALU_CYCLE_1) | instskip(NEXT) | instid1(SALU_CYCLE_1)
	s_or_b32 exec_lo, exec_lo, s15
	s_mov_b32 s15, exec_lo
	v_cmpx_lt_u32_e32 0xffffff, v30
	s_cbranch_execz .LBB292_1234
; %bb.1227:                             ;   in Loop: Header=BB292_806 Depth=1
	v_lshrrev_b32_e32 v6, 24, v30
	v_bfrev_b32_e32 v18, 1
	s_mov_b32 s16, exec_lo
	s_delay_alu instid0(VALU_DEP_2)
	v_cmpx_ne_u32_e32 0x80, v6
	s_cbranch_execz .LBB292_1233
; %bb.1228:                             ;   in Loop: Header=BB292_806 Depth=1
	v_and_b32_e32 v22, 0x7f, v6
	v_mov_b32_e32 v18, 0x7c010000
	s_mov_b32 s17, exec_lo
	s_delay_alu instid0(VALU_DEP_2)
	v_cmpx_ne_u32_e32 0x7f, v22
	s_cbranch_execz .LBB292_1232
; %bb.1229:                             ;   in Loop: Header=BB292_806 Depth=1
	v_and_b32_e32 v0, 7, v6
	v_lshrrev_b32_e32 v18, 3, v22
	s_mov_b32 s18, exec_lo
	v_cmpx_gt_u32_e32 8, v22
; %bb.1230:                             ;   in Loop: Header=BB292_806 Depth=1
	s_delay_alu instid0(VALU_DEP_3) | instskip(NEXT) | instid1(VALU_DEP_1)
	v_clz_i32_u32_e32 v0, v0
	v_min_u32_e32 v0, 32, v0
	s_delay_alu instid0(VALU_DEP_1) | instskip(NEXT) | instid1(VALU_DEP_1)
	v_subrev_nc_u32_e32 v18, 28, v0
	v_lshlrev_b64_e32 v[22:23], v18, v[6:7]
	s_delay_alu instid0(VALU_DEP_1)
	v_dual_sub_nc_u32 v18, 29, v0 :: v_dual_bitop2_b32 v0, 7, v22 bitop3:0x40
; %bb.1231:                             ;   in Loop: Header=BB292_806 Depth=1
	s_or_b32 exec_lo, exec_lo, s18
	s_delay_alu instid0(VALU_DEP_1) | instskip(NEXT) | instid1(VALU_DEP_2)
	v_dual_lshlrev_b32 v6, 8, v6 :: v_dual_lshlrev_b32 v0, 23, v0
	v_lshl_add_u32 v18, v18, 10, 0x2000
	s_delay_alu instid0(VALU_DEP_1) | instskip(NEXT) | instid1(VALU_DEP_1)
	v_and_or_b32 v6, 0x8000, v6, v18
	v_lshl_or_b32 v18, v6, 16, v0
.LBB292_1232:                           ;   in Loop: Header=BB292_806 Depth=1
	s_or_b32 exec_lo, exec_lo, s17
.LBB292_1233:                           ;   in Loop: Header=BB292_806 Depth=1
	s_delay_alu instid0(SALU_CYCLE_1)
	s_or_b32 exec_lo, exec_lo, s16
.LBB292_1234:                           ;   in Loop: Header=BB292_806 Depth=1
	s_delay_alu instid0(SALU_CYCLE_1) | instskip(SKIP_4) | instid1(VALU_DEP_3)
	s_or_b32 exec_lo, exec_lo, s15
	v_and_b32_e32 v0, 0xff, v31
	v_dual_mov_b32 v6, v31 :: v_dual_mov_b32 v23, 0
	v_mov_b32_e32 v22, 0
	s_mov_b32 s15, exec_lo
	v_cmpx_ne_u16_e32 0, v0
	s_cbranch_execz .LBB292_1242
; %bb.1235:                             ;   in Loop: Header=BB292_806 Depth=1
	v_mov_b32_e32 v22, 0x8000
	s_mov_b32 s16, exec_lo
	v_cmpx_ne_u16_e32 0x80, v0
	s_cbranch_execz .LBB292_1241
; %bb.1236:                             ;   in Loop: Header=BB292_806 Depth=1
	v_and_b32_e32 v29, 0x7f, v31
	v_mov_b32_e32 v22, 0x7c01
	s_mov_b32 s17, exec_lo
	s_delay_alu instid0(VALU_DEP_2)
	v_cmpx_ne_u32_e32 0x7f, v29
	s_cbranch_execz .LBB292_1240
; %bb.1237:                             ;   in Loop: Header=BB292_806 Depth=1
	v_dual_lshrrev_b32 v22, 3, v29 :: v_dual_bitop2_b32 v0, 7, v31 bitop3:0x40
	s_mov_b32 s18, exec_lo
	v_cmpx_gt_u32_e32 8, v29
; %bb.1238:                             ;   in Loop: Header=BB292_806 Depth=1
	s_delay_alu instid0(VALU_DEP_2) | instskip(NEXT) | instid1(VALU_DEP_1)
	v_clz_i32_u32_e32 v0, v0
	v_min_u32_e32 v0, 32, v0
	s_delay_alu instid0(VALU_DEP_1) | instskip(NEXT) | instid1(VALU_DEP_1)
	v_subrev_nc_u32_e32 v22, 28, v0
	v_lshlrev_b64_e32 v[32:33], v22, v[6:7]
	v_sub_nc_u32_e32 v22, 29, v0
	s_delay_alu instid0(VALU_DEP_2)
	v_and_b32_e32 v0, 7, v32
; %bb.1239:                             ;   in Loop: Header=BB292_806 Depth=1
	s_or_b32 exec_lo, exec_lo, s18
	s_delay_alu instid0(VALU_DEP_1) | instskip(NEXT) | instid1(VALU_DEP_3)
	v_dual_lshlrev_b32 v29, 8, v31 :: v_dual_lshlrev_b32 v0, 7, v0
	v_lshl_add_u32 v22, v22, 10, 0x2000
	s_delay_alu instid0(VALU_DEP_2) | instskip(NEXT) | instid1(VALU_DEP_2)
	v_and_b32_e32 v29, 0x8000, v29
	v_and_b32_e32 v22, 0xfc00, v22
	s_delay_alu instid0(VALU_DEP_1)
	v_or3_b32 v22, v29, v22, v0
.LBB292_1240:                           ;   in Loop: Header=BB292_806 Depth=1
	s_or_b32 exec_lo, exec_lo, s17
.LBB292_1241:                           ;   in Loop: Header=BB292_806 Depth=1
	s_delay_alu instid0(SALU_CYCLE_1)
	s_or_b32 exec_lo, exec_lo, s16
.LBB292_1242:                           ;   in Loop: Header=BB292_806 Depth=1
	s_delay_alu instid0(SALU_CYCLE_1) | instskip(SKIP_3) | instid1(VALU_DEP_2)
	s_or_b32 exec_lo, exec_lo, s15
	v_lshrrev_b16 v6, 8, v6
	v_mov_b32_e32 v29, 0
	s_mov_b32 s15, exec_lo
	v_cmpx_ne_u16_e32 0, v6
	s_cbranch_execz .LBB292_1250
; %bb.1243:                             ;   in Loop: Header=BB292_806 Depth=1
	v_bfrev_b32_e32 v29, 1
	s_mov_b32 s16, exec_lo
	v_cmpx_ne_u16_e32 0x80, v6
	s_cbranch_execz .LBB292_1249
; %bb.1244:                             ;   in Loop: Header=BB292_806 Depth=1
	v_and_b32_e32 v0, 0xffff, v6
	v_mov_b32_e32 v29, 0x7c010000
	s_mov_b32 s17, exec_lo
	s_delay_alu instid0(VALU_DEP_2) | instskip(NEXT) | instid1(VALU_DEP_1)
	v_and_b32_e32 v33, 0x7f, v0
	v_cmpx_ne_u32_e32 0x7f, v33
	s_cbranch_execz .LBB292_1248
; %bb.1245:                             ;   in Loop: Header=BB292_806 Depth=1
	v_dual_lshrrev_b32 v32, 3, v33 :: v_dual_bitop2_b32 v29, 7, v0 bitop3:0x40
	s_mov_b32 s18, exec_lo
	v_cmpx_gt_u32_e32 8, v33
; %bb.1246:                             ;   in Loop: Header=BB292_806 Depth=1
	s_delay_alu instid0(VALU_DEP_2) | instskip(NEXT) | instid1(VALU_DEP_1)
	v_clz_i32_u32_e32 v29, v29
	v_min_u32_e32 v29, 32, v29
	s_delay_alu instid0(VALU_DEP_1) | instskip(NEXT) | instid1(VALU_DEP_1)
	v_subrev_nc_u32_e32 v32, 28, v29
	v_lshlrev_b64_e32 v[34:35], v32, v[6:7]
	s_delay_alu instid0(VALU_DEP_1)
	v_dual_sub_nc_u32 v32, 29, v29 :: v_dual_bitop2_b32 v29, 7, v34 bitop3:0x40
; %bb.1247:                             ;   in Loop: Header=BB292_806 Depth=1
	s_or_b32 exec_lo, exec_lo, s18
	v_lshlrev_b32_e32 v0, 8, v0
	s_delay_alu instid0(VALU_DEP_2) | instskip(NEXT) | instid1(VALU_DEP_1)
	v_lshl_add_u32 v6, v32, 10, 0x2000
	v_and_or_b32 v0, 0x8000, v0, v6
	v_lshlrev_b32_e32 v6, 23, v29
	s_delay_alu instid0(VALU_DEP_1)
	v_lshl_or_b32 v29, v0, 16, v6
.LBB292_1248:                           ;   in Loop: Header=BB292_806 Depth=1
	s_or_b32 exec_lo, exec_lo, s17
.LBB292_1249:                           ;   in Loop: Header=BB292_806 Depth=1
	s_delay_alu instid0(SALU_CYCLE_1)
	s_or_b32 exec_lo, exec_lo, s16
.LBB292_1250:                           ;   in Loop: Header=BB292_806 Depth=1
	s_delay_alu instid0(SALU_CYCLE_1) | instskip(SKIP_2) | instid1(VALU_DEP_1)
	s_or_b32 exec_lo, exec_lo, s15
	v_lshrrev_b32_e32 v0, 16, v31
	s_mov_b32 s15, exec_lo
	v_and_b32_e32 v6, 0xff, v0
	s_delay_alu instid0(VALU_DEP_1)
	v_cmpx_ne_u16_e32 0, v6
	s_cbranch_execz .LBB292_1258
; %bb.1251:                             ;   in Loop: Header=BB292_806 Depth=1
	v_mov_b32_e32 v23, 0x8000
	s_mov_b32 s16, exec_lo
	v_cmpx_ne_u16_e32 0x80, v6
	s_cbranch_execz .LBB292_1257
; %bb.1252:                             ;   in Loop: Header=BB292_806 Depth=1
	v_bfe_u32 v32, v31, 16, 7
	v_mov_b32_e32 v23, 0x7c01
	s_mov_b32 s17, exec_lo
	s_delay_alu instid0(VALU_DEP_2)
	v_cmpx_ne_u32_e32 0x7f, v32
	s_cbranch_execz .LBB292_1256
; %bb.1253:                             ;   in Loop: Header=BB292_806 Depth=1
	v_and_b32_e32 v6, 7, v0
	v_lshrrev_b32_e32 v23, 3, v32
	s_mov_b32 s18, exec_lo
	v_cmpx_gt_u32_e32 8, v32
; %bb.1254:                             ;   in Loop: Header=BB292_806 Depth=1
	s_delay_alu instid0(VALU_DEP_3) | instskip(NEXT) | instid1(VALU_DEP_1)
	v_clz_i32_u32_e32 v6, v6
	v_min_u32_e32 v6, 32, v6
	s_delay_alu instid0(VALU_DEP_1) | instskip(NEXT) | instid1(VALU_DEP_1)
	v_subrev_nc_u32_e32 v23, 28, v6
	v_lshlrev_b64_e32 v[32:33], v23, v[0:1]
	s_delay_alu instid0(VALU_DEP_1)
	v_dual_sub_nc_u32 v23, 29, v6 :: v_dual_bitop2_b32 v6, 7, v32 bitop3:0x40
; %bb.1255:                             ;   in Loop: Header=BB292_806 Depth=1
	s_or_b32 exec_lo, exec_lo, s18
	s_delay_alu instid0(VALU_DEP_1) | instskip(NEXT) | instid1(VALU_DEP_2)
	v_dual_lshlrev_b32 v0, 8, v0 :: v_dual_lshlrev_b32 v6, 7, v6
	v_lshl_add_u32 v23, v23, 10, 0x2000
	s_delay_alu instid0(VALU_DEP_2) | instskip(NEXT) | instid1(VALU_DEP_2)
	v_and_b32_e32 v0, 0x8000, v0
	v_and_b32_e32 v23, 0xfc00, v23
	s_delay_alu instid0(VALU_DEP_1)
	v_or3_b32 v23, v0, v23, v6
.LBB292_1256:                           ;   in Loop: Header=BB292_806 Depth=1
	s_or_b32 exec_lo, exec_lo, s17
.LBB292_1257:                           ;   in Loop: Header=BB292_806 Depth=1
	s_delay_alu instid0(SALU_CYCLE_1)
	s_or_b32 exec_lo, exec_lo, s16
.LBB292_1258:                           ;   in Loop: Header=BB292_806 Depth=1
	s_delay_alu instid0(SALU_CYCLE_1)
	s_or_b32 exec_lo, exec_lo, s15
	v_mov_b32_e32 v0, 0
	s_mov_b32 s15, exec_lo
	v_cmpx_lt_u64_e64 s[2:3], v[30:31]
	s_cbranch_execz .LBB292_1266
; %bb.1259:                             ;   in Loop: Header=BB292_806 Depth=1
	v_lshrrev_b32_e32 v6, 24, v31
	v_bfrev_b32_e32 v0, 1
	s_mov_b32 s16, exec_lo
	s_delay_alu instid0(VALU_DEP_2)
	v_cmpx_ne_u32_e32 0x80, v6
	s_cbranch_execz .LBB292_1265
; %bb.1260:                             ;   in Loop: Header=BB292_806 Depth=1
	v_and_b32_e32 v31, 0x7f, v6
	v_mov_b32_e32 v0, 0x7c010000
	s_mov_b32 s17, exec_lo
	s_delay_alu instid0(VALU_DEP_2)
	v_cmpx_ne_u32_e32 0x7f, v31
	s_cbranch_execz .LBB292_1264
; %bb.1261:                             ;   in Loop: Header=BB292_806 Depth=1
	v_dual_lshrrev_b32 v30, 3, v31 :: v_dual_bitop2_b32 v0, 7, v6 bitop3:0x40
	s_mov_b32 s18, exec_lo
	v_cmpx_gt_u32_e32 8, v31
; %bb.1262:                             ;   in Loop: Header=BB292_806 Depth=1
	s_delay_alu instid0(VALU_DEP_2) | instskip(NEXT) | instid1(VALU_DEP_1)
	v_clz_i32_u32_e32 v0, v0
	v_min_u32_e32 v0, 32, v0
	s_delay_alu instid0(VALU_DEP_1) | instskip(NEXT) | instid1(VALU_DEP_1)
	v_subrev_nc_u32_e32 v30, 28, v0
	v_lshlrev_b64_e32 v[32:33], v30, v[6:7]
	v_sub_nc_u32_e32 v30, 29, v0
	s_delay_alu instid0(VALU_DEP_2)
	v_and_b32_e32 v0, 7, v32
; %bb.1263:                             ;   in Loop: Header=BB292_806 Depth=1
	s_or_b32 exec_lo, exec_lo, s18
	s_delay_alu instid0(VALU_DEP_1) | instskip(NEXT) | instid1(VALU_DEP_3)
	v_dual_lshlrev_b32 v6, 8, v6 :: v_dual_lshlrev_b32 v0, 23, v0
	v_lshl_add_u32 v30, v30, 10, 0x2000
	s_delay_alu instid0(VALU_DEP_1) | instskip(NEXT) | instid1(VALU_DEP_1)
	v_and_or_b32 v6, 0x8000, v6, v30
	v_lshl_or_b32 v0, v6, 16, v0
.LBB292_1264:                           ;   in Loop: Header=BB292_806 Depth=1
	s_or_b32 exec_lo, exec_lo, s17
.LBB292_1265:                           ;   in Loop: Header=BB292_806 Depth=1
	s_delay_alu instid0(SALU_CYCLE_1)
	s_or_b32 exec_lo, exec_lo, s16
.LBB292_1266:                           ;   in Loop: Header=BB292_806 Depth=1
	s_delay_alu instid0(SALU_CYCLE_1) | instskip(SKIP_3) | instid1(VALU_DEP_3)
	s_or_b32 exec_lo, exec_lo, s15
	v_dual_lshrrev_b32 v6, 16, v1 :: v_dual_lshrrev_b32 v30, 16, v18
	v_or_b32_e32 v1, v1, v16
	v_or_b32_e32 v16, v18, v19
	v_cvt_f32_f16_e32 v19, v6
	s_delay_alu instid0(VALU_DEP_4)
	v_cvt_f32_f16_e32 v18, v30
	v_dual_lshrrev_b32 v23, 16, v29 :: v_dual_bitop2_b32 v6, v0, v23 bitop3:0x54
	v_lshrrev_b32_e32 v30, 16, v0
	v_cvt_f32_f16_e32 v0, v16
	v_cvt_f32_f16_e32 v1, v1
	v_or_b32_e32 v16, v29, v22
	s_wait_loadcnt_dscnt 0x0
	v_pk_mul_f32 v[18:19], v[28:29], v[18:19] op_sel_hi:[0,1]
	v_cvt_f32_f16_e32 v23, v23
	v_cvt_f32_f16_e32 v22, v30
	v_pk_mul_f32 v[0:1], v[28:29], v[0:1] op_sel_hi:[0,1]
	v_cvt_f32_f16_e32 v31, v16
	s_delay_alu instid0(VALU_DEP_2) | instskip(NEXT) | instid1(VALU_DEP_1)
	v_cvt_pk_f16_f32 v0, v0, v1
	v_lshrrev_b32_e32 v35, 16, v0
	v_cvt_f32_f16_e32 v30, v6
	v_cvt_pk_f16_f32 v6, v18, v19
	v_pk_mul_f32 v[18:19], v[28:29], v[22:23] op_sel_hi:[0,1]
	v_and_b32_e32 v34, 0xffff, v0
	s_delay_alu instid0(VALU_DEP_4) | instskip(NEXT) | instid1(VALU_DEP_4)
	v_pk_mul_f32 v[22:23], v[28:29], v[30:31] op_sel_hi:[0,1]
	v_and_b32_e32 v29, 0xffff0000, v6
	s_delay_alu instid0(VALU_DEP_4) | instskip(SKIP_1) | instid1(VALU_DEP_4)
	v_cvt_pk_f16_f32 v16, v18, v19
	v_lshlrev_b32_e32 v28, 16, v6
	v_cvt_pk_f16_f32 v6, v22, v23
	s_delay_alu instid0(VALU_DEP_4) | instskip(NEXT) | instid1(VALU_DEP_4)
	v_or_b32_e32 v33, v29, v35
	v_and_b32_e32 v1, 0xffff0000, v16
	s_delay_alu instid0(VALU_DEP_4) | instskip(NEXT) | instid1(VALU_DEP_4)
	v_dual_lshlrev_b32 v0, 16, v16 :: v_dual_bitop2_b32 v32, v28, v34 bitop3:0x54
	v_lshrrev_b32_e32 v19, 16, v6
	v_and_b32_e32 v6, 0xffff, v6
	s_delay_alu instid0(VALU_DEP_2) | instskip(NEXT) | instid1(VALU_DEP_2)
	v_or_b32_e32 v31, v1, v19
	v_or_b32_e32 v30, v0, v6
	s_and_saveexec_b32 s15, vcc_lo
	s_cbranch_execz .LBB292_1268
; %bb.1267:                             ;   in Loop: Header=BB292_806 Depth=1
	v_cmp_lt_i32_e64 s0, v49, v13
	s_delay_alu instid0(VALU_DEP_1) | instskip(SKIP_1) | instid1(VALU_DEP_1)
	v_cndmask_b32_e64 v16, 0, v35, s0
	v_cmp_lt_i32_e64 s0, v66, v116
	v_cndmask_b32_e64 v18, 0, v34, s0
	v_cmp_lt_i32_e64 s0, v65, v13
	s_delay_alu instid0(VALU_DEP_1) | instskip(SKIP_1) | instid1(VALU_DEP_1)
	v_cndmask_b32_e64 v22, 0, v29, s0
	v_cmp_lt_i32_e64 s0, v64, v116
	v_cndmask_b32_e64 v23, 0, v28, s0
	v_cmp_lt_i32_e64 s0, v55, v13
	s_delay_alu instid0(VALU_DEP_4) | instskip(NEXT) | instid1(VALU_DEP_3)
	v_or_b32_e32 v33, v16, v22
	v_or_b32_e32 v32, v18, v23
	s_delay_alu instid0(VALU_DEP_3) | instskip(SKIP_1) | instid1(VALU_DEP_1)
	v_cndmask_b32_e64 v19, 0, v19, s0
	v_cmp_lt_i32_e64 s0, v54, v116
	v_cndmask_b32_e64 v6, 0, v6, s0
	v_cmp_lt_i32_e64 s0, v53, v13
	s_delay_alu instid0(VALU_DEP_1) | instskip(SKIP_1) | instid1(VALU_DEP_1)
	v_cndmask_b32_e64 v1, 0, v1, s0
	v_cmp_lt_i32_e64 s0, v52, v116
	v_dual_cndmask_b32 v0, 0, v0, s0 :: v_dual_bitop2_b32 v31, v19, v1 bitop3:0x54
	s_delay_alu instid0(VALU_DEP_1)
	v_or_b32_e32 v30, v6, v0
.LBB292_1268:                           ;   in Loop: Header=BB292_806 Depth=1
	s_or_b32 exec_lo, exec_lo, s15
	;;#ASMSTART
	v_pk_mul_f16 v0, v70, v33;

	;;#ASMEND
	;;#ASMSTART
	v_pk_mul_f16 v1, v69, v32;

	;;#ASMEND
	;; [unrolled: 4-line block ×4, first 2 shown]
	;;#ASMSTART
	v_pk_add_f16 v0, v0, v1;

	;;#ASMEND
	;;#ASMSTART
	v_pk_add_f16 v0, v0, v6;

	;;#ASMEND
	;; [unrolled: 4-line block ×3, first 2 shown]
	v_and_b32_e32 v1, 0xffff, v0
	v_lshrrev_b32_e32 v0, 16, v0
	;;#ASMSTART
	v_cvt_f32_f16 v99, v1;
	;;#ASMEND
	;;#ASMSTART
	v_cvt_f32_f16 v100, v0;
	;;#ASMEND
	flat_load_b64 v[30:31], v[14:15] offset:1792
	scratch_load_b64 v[0:1], off, s32 offset:192 ; 8-byte Folded Reload
	v_mov_b32_e32 v16, 0
	s_mov_b32 s15, exec_lo
	s_wait_loadcnt 0x0
	flat_load_b32 v28, v[0:1]
	s_wait_dscnt 0x1
	s_wait_xcnt 0x0
	v_and_b32_e32 v0, 0xff, v30
	v_mov_b32_e32 v1, 0
	s_delay_alu instid0(VALU_DEP_2)
	v_cmpx_ne_u16_e32 0, v0
	s_cbranch_execz .LBB292_1276
; %bb.1269:                             ;   in Loop: Header=BB292_806 Depth=1
	v_mov_b32_e32 v16, 0x8000
	s_mov_b32 s16, exec_lo
	v_cmpx_ne_u16_e32 0x80, v0
	s_cbranch_execz .LBB292_1275
; %bb.1270:                             ;   in Loop: Header=BB292_806 Depth=1
	v_and_b32_e32 v18, 0x7f, v30
	v_mov_b32_e32 v16, 0x7c01
	s_mov_b32 s17, exec_lo
	s_delay_alu instid0(VALU_DEP_2)
	v_cmpx_ne_u32_e32 0x7f, v18
	s_cbranch_execz .LBB292_1274
; %bb.1271:                             ;   in Loop: Header=BB292_806 Depth=1
	v_and_b32_e32 v0, 7, v30
	v_lshrrev_b32_e32 v6, 3, v18
	s_mov_b32 s18, exec_lo
	v_cmpx_gt_u32_e32 8, v18
; %bb.1272:                             ;   in Loop: Header=BB292_806 Depth=1
	s_delay_alu instid0(VALU_DEP_3) | instskip(NEXT) | instid1(VALU_DEP_1)
	v_clz_i32_u32_e32 v0, v0
	v_min_u32_e32 v0, 32, v0
	s_delay_alu instid0(VALU_DEP_1) | instskip(NEXT) | instid1(VALU_DEP_1)
	v_subrev_nc_u32_e32 v6, 28, v0
	v_lshlrev_b64_e32 v[18:19], v6, v[30:31]
	s_delay_alu instid0(VALU_DEP_1)
	v_dual_sub_nc_u32 v6, 29, v0 :: v_dual_bitop2_b32 v0, 7, v18 bitop3:0x40
; %bb.1273:                             ;   in Loop: Header=BB292_806 Depth=1
	s_or_b32 exec_lo, exec_lo, s18
	s_delay_alu instid0(VALU_DEP_1) | instskip(NEXT) | instid1(VALU_DEP_2)
	v_dual_lshlrev_b32 v16, 8, v30 :: v_dual_lshlrev_b32 v0, 7, v0
	v_lshl_add_u32 v6, v6, 10, 0x2000
	s_delay_alu instid0(VALU_DEP_2) | instskip(NEXT) | instid1(VALU_DEP_2)
	v_and_b32_e32 v16, 0x8000, v16
	v_and_b32_e32 v6, 0xfc00, v6
	s_delay_alu instid0(VALU_DEP_1)
	v_or3_b32 v16, v16, v6, v0
.LBB292_1274:                           ;   in Loop: Header=BB292_806 Depth=1
	s_or_b32 exec_lo, exec_lo, s17
.LBB292_1275:                           ;   in Loop: Header=BB292_806 Depth=1
	s_delay_alu instid0(SALU_CYCLE_1)
	s_or_b32 exec_lo, exec_lo, s16
.LBB292_1276:                           ;   in Loop: Header=BB292_806 Depth=1
	s_delay_alu instid0(SALU_CYCLE_1) | instskip(SKIP_2) | instid1(VALU_DEP_1)
	s_or_b32 exec_lo, exec_lo, s15
	v_lshrrev_b16 v6, 8, v30
	s_mov_b32 s15, exec_lo
	v_cmpx_ne_u16_e32 0, v6
	s_cbranch_execz .LBB292_1284
; %bb.1277:                             ;   in Loop: Header=BB292_806 Depth=1
	v_bfrev_b32_e32 v1, 1
	s_mov_b32 s16, exec_lo
	v_cmpx_ne_u16_e32 0x80, v6
	s_cbranch_execz .LBB292_1283
; %bb.1278:                             ;   in Loop: Header=BB292_806 Depth=1
	v_and_b32_e32 v0, 0xffff, v6
	v_mov_b32_e32 v1, 0x7c010000
	s_mov_b32 s17, exec_lo
	s_delay_alu instid0(VALU_DEP_2) | instskip(NEXT) | instid1(VALU_DEP_1)
	v_and_b32_e32 v19, 0x7f, v0
	v_cmpx_ne_u32_e32 0x7f, v19
	s_cbranch_execz .LBB292_1282
; %bb.1279:                             ;   in Loop: Header=BB292_806 Depth=1
	v_dual_lshrrev_b32 v18, 3, v19 :: v_dual_bitop2_b32 v1, 7, v0 bitop3:0x40
	s_mov_b32 s18, exec_lo
	v_cmpx_gt_u32_e32 8, v19
; %bb.1280:                             ;   in Loop: Header=BB292_806 Depth=1
	s_delay_alu instid0(VALU_DEP_2) | instskip(NEXT) | instid1(VALU_DEP_1)
	v_clz_i32_u32_e32 v1, v1
	v_min_u32_e32 v1, 32, v1
	s_delay_alu instid0(VALU_DEP_1) | instskip(NEXT) | instid1(VALU_DEP_1)
	v_subrev_nc_u32_e32 v18, 28, v1
	v_lshlrev_b64_e32 v[22:23], v18, v[6:7]
	s_delay_alu instid0(VALU_DEP_1)
	v_dual_sub_nc_u32 v18, 29, v1 :: v_dual_bitop2_b32 v1, 7, v22 bitop3:0x40
; %bb.1281:                             ;   in Loop: Header=BB292_806 Depth=1
	s_or_b32 exec_lo, exec_lo, s18
	s_delay_alu instid0(VALU_DEP_1) | instskip(NEXT) | instid1(VALU_DEP_2)
	v_dual_lshlrev_b32 v0, 8, v0 :: v_dual_lshlrev_b32 v1, 23, v1
	v_lshl_add_u32 v6, v18, 10, 0x2000
	s_delay_alu instid0(VALU_DEP_1) | instskip(NEXT) | instid1(VALU_DEP_1)
	v_and_or_b32 v0, 0x8000, v0, v6
	v_lshl_or_b32 v1, v0, 16, v1
.LBB292_1282:                           ;   in Loop: Header=BB292_806 Depth=1
	s_or_b32 exec_lo, exec_lo, s17
.LBB292_1283:                           ;   in Loop: Header=BB292_806 Depth=1
	s_delay_alu instid0(SALU_CYCLE_1)
	s_or_b32 exec_lo, exec_lo, s16
.LBB292_1284:                           ;   in Loop: Header=BB292_806 Depth=1
	s_delay_alu instid0(SALU_CYCLE_1) | instskip(SKIP_3) | instid1(VALU_DEP_2)
	s_or_b32 exec_lo, exec_lo, s15
	v_dual_lshrrev_b32 v0, 16, v30 :: v_dual_mov_b32 v18, 0
	v_mov_b32_e32 v19, 0
	s_mov_b32 s15, exec_lo
	v_and_b32_e32 v6, 0xff, v0
	s_delay_alu instid0(VALU_DEP_1)
	v_cmpx_ne_u16_e32 0, v6
	s_cbranch_execz .LBB292_1292
; %bb.1285:                             ;   in Loop: Header=BB292_806 Depth=1
	v_mov_b32_e32 v19, 0x8000
	s_mov_b32 s16, exec_lo
	v_cmpx_ne_u16_e32 0x80, v6
	s_cbranch_execz .LBB292_1291
; %bb.1286:                             ;   in Loop: Header=BB292_806 Depth=1
	v_bfe_u32 v22, v30, 16, 7
	v_mov_b32_e32 v19, 0x7c01
	s_mov_b32 s17, exec_lo
	s_delay_alu instid0(VALU_DEP_2)
	v_cmpx_ne_u32_e32 0x7f, v22
	s_cbranch_execz .LBB292_1290
; %bb.1287:                             ;   in Loop: Header=BB292_806 Depth=1
	v_dual_lshrrev_b32 v19, 3, v22 :: v_dual_bitop2_b32 v6, 7, v0 bitop3:0x40
	s_mov_b32 s18, exec_lo
	v_cmpx_gt_u32_e32 8, v22
; %bb.1288:                             ;   in Loop: Header=BB292_806 Depth=1
	s_delay_alu instid0(VALU_DEP_2) | instskip(NEXT) | instid1(VALU_DEP_1)
	v_clz_i32_u32_e32 v6, v6
	v_min_u32_e32 v6, 32, v6
	s_delay_alu instid0(VALU_DEP_1) | instskip(NEXT) | instid1(VALU_DEP_1)
	v_subrev_nc_u32_e32 v19, 28, v6
	v_lshlrev_b64_e32 v[22:23], v19, v[0:1]
	v_sub_nc_u32_e32 v19, 29, v6
	s_delay_alu instid0(VALU_DEP_2)
	v_and_b32_e32 v6, 7, v22
; %bb.1289:                             ;   in Loop: Header=BB292_806 Depth=1
	s_or_b32 exec_lo, exec_lo, s18
	s_delay_alu instid0(VALU_DEP_1) | instskip(NEXT) | instid1(VALU_DEP_3)
	v_dual_lshlrev_b32 v0, 8, v0 :: v_dual_lshlrev_b32 v6, 7, v6
	v_lshl_add_u32 v19, v19, 10, 0x2000
	s_delay_alu instid0(VALU_DEP_2) | instskip(NEXT) | instid1(VALU_DEP_2)
	v_and_b32_e32 v0, 0x8000, v0
	v_and_b32_e32 v19, 0xfc00, v19
	s_delay_alu instid0(VALU_DEP_1)
	v_or3_b32 v19, v0, v19, v6
.LBB292_1290:                           ;   in Loop: Header=BB292_806 Depth=1
	s_or_b32 exec_lo, exec_lo, s17
.LBB292_1291:                           ;   in Loop: Header=BB292_806 Depth=1
	s_delay_alu instid0(SALU_CYCLE_1)
	s_or_b32 exec_lo, exec_lo, s16
.LBB292_1292:                           ;   in Loop: Header=BB292_806 Depth=1
	s_delay_alu instid0(SALU_CYCLE_1) | instskip(NEXT) | instid1(SALU_CYCLE_1)
	s_or_b32 exec_lo, exec_lo, s15
	s_mov_b32 s15, exec_lo
	v_cmpx_lt_u32_e32 0xffffff, v30
	s_cbranch_execz .LBB292_1300
; %bb.1293:                             ;   in Loop: Header=BB292_806 Depth=1
	v_lshrrev_b32_e32 v6, 24, v30
	v_bfrev_b32_e32 v18, 1
	s_mov_b32 s16, exec_lo
	s_delay_alu instid0(VALU_DEP_2)
	v_cmpx_ne_u32_e32 0x80, v6
	s_cbranch_execz .LBB292_1299
; %bb.1294:                             ;   in Loop: Header=BB292_806 Depth=1
	v_and_b32_e32 v22, 0x7f, v6
	v_mov_b32_e32 v18, 0x7c010000
	s_mov_b32 s17, exec_lo
	s_delay_alu instid0(VALU_DEP_2)
	v_cmpx_ne_u32_e32 0x7f, v22
	s_cbranch_execz .LBB292_1298
; %bb.1295:                             ;   in Loop: Header=BB292_806 Depth=1
	v_and_b32_e32 v0, 7, v6
	v_lshrrev_b32_e32 v18, 3, v22
	s_mov_b32 s18, exec_lo
	v_cmpx_gt_u32_e32 8, v22
; %bb.1296:                             ;   in Loop: Header=BB292_806 Depth=1
	s_delay_alu instid0(VALU_DEP_3) | instskip(NEXT) | instid1(VALU_DEP_1)
	v_clz_i32_u32_e32 v0, v0
	v_min_u32_e32 v0, 32, v0
	s_delay_alu instid0(VALU_DEP_1) | instskip(NEXT) | instid1(VALU_DEP_1)
	v_subrev_nc_u32_e32 v18, 28, v0
	v_lshlrev_b64_e32 v[22:23], v18, v[6:7]
	s_delay_alu instid0(VALU_DEP_1)
	v_dual_sub_nc_u32 v18, 29, v0 :: v_dual_bitop2_b32 v0, 7, v22 bitop3:0x40
; %bb.1297:                             ;   in Loop: Header=BB292_806 Depth=1
	s_or_b32 exec_lo, exec_lo, s18
	s_delay_alu instid0(VALU_DEP_1) | instskip(NEXT) | instid1(VALU_DEP_2)
	v_dual_lshlrev_b32 v6, 8, v6 :: v_dual_lshlrev_b32 v0, 23, v0
	v_lshl_add_u32 v18, v18, 10, 0x2000
	s_delay_alu instid0(VALU_DEP_1) | instskip(NEXT) | instid1(VALU_DEP_1)
	v_and_or_b32 v6, 0x8000, v6, v18
	v_lshl_or_b32 v18, v6, 16, v0
.LBB292_1298:                           ;   in Loop: Header=BB292_806 Depth=1
	s_or_b32 exec_lo, exec_lo, s17
.LBB292_1299:                           ;   in Loop: Header=BB292_806 Depth=1
	s_delay_alu instid0(SALU_CYCLE_1)
	s_or_b32 exec_lo, exec_lo, s16
.LBB292_1300:                           ;   in Loop: Header=BB292_806 Depth=1
	s_delay_alu instid0(SALU_CYCLE_1) | instskip(SKIP_4) | instid1(VALU_DEP_3)
	s_or_b32 exec_lo, exec_lo, s15
	v_and_b32_e32 v0, 0xff, v31
	v_dual_mov_b32 v6, v31 :: v_dual_mov_b32 v23, 0
	v_mov_b32_e32 v22, 0
	s_mov_b32 s15, exec_lo
	v_cmpx_ne_u16_e32 0, v0
	s_cbranch_execz .LBB292_1308
; %bb.1301:                             ;   in Loop: Header=BB292_806 Depth=1
	v_mov_b32_e32 v22, 0x8000
	s_mov_b32 s16, exec_lo
	v_cmpx_ne_u16_e32 0x80, v0
	s_cbranch_execz .LBB292_1307
; %bb.1302:                             ;   in Loop: Header=BB292_806 Depth=1
	v_and_b32_e32 v29, 0x7f, v31
	v_mov_b32_e32 v22, 0x7c01
	s_mov_b32 s17, exec_lo
	s_delay_alu instid0(VALU_DEP_2)
	v_cmpx_ne_u32_e32 0x7f, v29
	s_cbranch_execz .LBB292_1306
; %bb.1303:                             ;   in Loop: Header=BB292_806 Depth=1
	v_dual_lshrrev_b32 v22, 3, v29 :: v_dual_bitop2_b32 v0, 7, v31 bitop3:0x40
	s_mov_b32 s18, exec_lo
	v_cmpx_gt_u32_e32 8, v29
; %bb.1304:                             ;   in Loop: Header=BB292_806 Depth=1
	s_delay_alu instid0(VALU_DEP_2) | instskip(NEXT) | instid1(VALU_DEP_1)
	v_clz_i32_u32_e32 v0, v0
	v_min_u32_e32 v0, 32, v0
	s_delay_alu instid0(VALU_DEP_1) | instskip(NEXT) | instid1(VALU_DEP_1)
	v_subrev_nc_u32_e32 v22, 28, v0
	v_lshlrev_b64_e32 v[32:33], v22, v[6:7]
	v_sub_nc_u32_e32 v22, 29, v0
	s_delay_alu instid0(VALU_DEP_2)
	v_and_b32_e32 v0, 7, v32
; %bb.1305:                             ;   in Loop: Header=BB292_806 Depth=1
	s_or_b32 exec_lo, exec_lo, s18
	s_delay_alu instid0(VALU_DEP_1) | instskip(NEXT) | instid1(VALU_DEP_3)
	v_dual_lshlrev_b32 v29, 8, v31 :: v_dual_lshlrev_b32 v0, 7, v0
	v_lshl_add_u32 v22, v22, 10, 0x2000
	s_delay_alu instid0(VALU_DEP_2) | instskip(NEXT) | instid1(VALU_DEP_2)
	v_and_b32_e32 v29, 0x8000, v29
	v_and_b32_e32 v22, 0xfc00, v22
	s_delay_alu instid0(VALU_DEP_1)
	v_or3_b32 v22, v29, v22, v0
.LBB292_1306:                           ;   in Loop: Header=BB292_806 Depth=1
	s_or_b32 exec_lo, exec_lo, s17
.LBB292_1307:                           ;   in Loop: Header=BB292_806 Depth=1
	s_delay_alu instid0(SALU_CYCLE_1)
	s_or_b32 exec_lo, exec_lo, s16
.LBB292_1308:                           ;   in Loop: Header=BB292_806 Depth=1
	s_delay_alu instid0(SALU_CYCLE_1) | instskip(SKIP_3) | instid1(VALU_DEP_2)
	s_or_b32 exec_lo, exec_lo, s15
	v_lshrrev_b16 v6, 8, v6
	v_mov_b32_e32 v29, 0
	s_mov_b32 s15, exec_lo
	v_cmpx_ne_u16_e32 0, v6
	s_cbranch_execz .LBB292_1316
; %bb.1309:                             ;   in Loop: Header=BB292_806 Depth=1
	v_bfrev_b32_e32 v29, 1
	s_mov_b32 s16, exec_lo
	v_cmpx_ne_u16_e32 0x80, v6
	s_cbranch_execz .LBB292_1315
; %bb.1310:                             ;   in Loop: Header=BB292_806 Depth=1
	v_and_b32_e32 v0, 0xffff, v6
	v_mov_b32_e32 v29, 0x7c010000
	s_mov_b32 s17, exec_lo
	s_delay_alu instid0(VALU_DEP_2) | instskip(NEXT) | instid1(VALU_DEP_1)
	v_and_b32_e32 v33, 0x7f, v0
	v_cmpx_ne_u32_e32 0x7f, v33
	s_cbranch_execz .LBB292_1314
; %bb.1311:                             ;   in Loop: Header=BB292_806 Depth=1
	v_dual_lshrrev_b32 v32, 3, v33 :: v_dual_bitop2_b32 v29, 7, v0 bitop3:0x40
	s_mov_b32 s18, exec_lo
	v_cmpx_gt_u32_e32 8, v33
; %bb.1312:                             ;   in Loop: Header=BB292_806 Depth=1
	s_delay_alu instid0(VALU_DEP_2) | instskip(NEXT) | instid1(VALU_DEP_1)
	v_clz_i32_u32_e32 v29, v29
	v_min_u32_e32 v29, 32, v29
	s_delay_alu instid0(VALU_DEP_1) | instskip(NEXT) | instid1(VALU_DEP_1)
	v_subrev_nc_u32_e32 v32, 28, v29
	v_lshlrev_b64_e32 v[34:35], v32, v[6:7]
	s_delay_alu instid0(VALU_DEP_1)
	v_dual_sub_nc_u32 v32, 29, v29 :: v_dual_bitop2_b32 v29, 7, v34 bitop3:0x40
; %bb.1313:                             ;   in Loop: Header=BB292_806 Depth=1
	s_or_b32 exec_lo, exec_lo, s18
	v_lshlrev_b32_e32 v0, 8, v0
	s_delay_alu instid0(VALU_DEP_2) | instskip(NEXT) | instid1(VALU_DEP_1)
	v_lshl_add_u32 v6, v32, 10, 0x2000
	v_and_or_b32 v0, 0x8000, v0, v6
	v_lshlrev_b32_e32 v6, 23, v29
	s_delay_alu instid0(VALU_DEP_1)
	v_lshl_or_b32 v29, v0, 16, v6
.LBB292_1314:                           ;   in Loop: Header=BB292_806 Depth=1
	s_or_b32 exec_lo, exec_lo, s17
.LBB292_1315:                           ;   in Loop: Header=BB292_806 Depth=1
	s_delay_alu instid0(SALU_CYCLE_1)
	s_or_b32 exec_lo, exec_lo, s16
.LBB292_1316:                           ;   in Loop: Header=BB292_806 Depth=1
	s_delay_alu instid0(SALU_CYCLE_1) | instskip(SKIP_2) | instid1(VALU_DEP_1)
	s_or_b32 exec_lo, exec_lo, s15
	v_lshrrev_b32_e32 v0, 16, v31
	s_mov_b32 s15, exec_lo
	v_and_b32_e32 v6, 0xff, v0
	s_delay_alu instid0(VALU_DEP_1)
	v_cmpx_ne_u16_e32 0, v6
	s_cbranch_execz .LBB292_1324
; %bb.1317:                             ;   in Loop: Header=BB292_806 Depth=1
	v_mov_b32_e32 v23, 0x8000
	s_mov_b32 s16, exec_lo
	v_cmpx_ne_u16_e32 0x80, v6
	s_cbranch_execz .LBB292_1323
; %bb.1318:                             ;   in Loop: Header=BB292_806 Depth=1
	v_bfe_u32 v32, v31, 16, 7
	v_mov_b32_e32 v23, 0x7c01
	s_mov_b32 s17, exec_lo
	s_delay_alu instid0(VALU_DEP_2)
	v_cmpx_ne_u32_e32 0x7f, v32
	s_cbranch_execz .LBB292_1322
; %bb.1319:                             ;   in Loop: Header=BB292_806 Depth=1
	v_and_b32_e32 v6, 7, v0
	v_lshrrev_b32_e32 v23, 3, v32
	s_mov_b32 s18, exec_lo
	v_cmpx_gt_u32_e32 8, v32
; %bb.1320:                             ;   in Loop: Header=BB292_806 Depth=1
	s_delay_alu instid0(VALU_DEP_3) | instskip(NEXT) | instid1(VALU_DEP_1)
	v_clz_i32_u32_e32 v6, v6
	v_min_u32_e32 v6, 32, v6
	s_delay_alu instid0(VALU_DEP_1) | instskip(NEXT) | instid1(VALU_DEP_1)
	v_subrev_nc_u32_e32 v23, 28, v6
	v_lshlrev_b64_e32 v[32:33], v23, v[0:1]
	s_delay_alu instid0(VALU_DEP_1)
	v_dual_sub_nc_u32 v23, 29, v6 :: v_dual_bitop2_b32 v6, 7, v32 bitop3:0x40
; %bb.1321:                             ;   in Loop: Header=BB292_806 Depth=1
	s_or_b32 exec_lo, exec_lo, s18
	s_delay_alu instid0(VALU_DEP_1) | instskip(NEXT) | instid1(VALU_DEP_2)
	v_dual_lshlrev_b32 v0, 8, v0 :: v_dual_lshlrev_b32 v6, 7, v6
	v_lshl_add_u32 v23, v23, 10, 0x2000
	s_delay_alu instid0(VALU_DEP_2) | instskip(NEXT) | instid1(VALU_DEP_2)
	v_and_b32_e32 v0, 0x8000, v0
	v_and_b32_e32 v23, 0xfc00, v23
	s_delay_alu instid0(VALU_DEP_1)
	v_or3_b32 v23, v0, v23, v6
.LBB292_1322:                           ;   in Loop: Header=BB292_806 Depth=1
	s_or_b32 exec_lo, exec_lo, s17
.LBB292_1323:                           ;   in Loop: Header=BB292_806 Depth=1
	s_delay_alu instid0(SALU_CYCLE_1)
	s_or_b32 exec_lo, exec_lo, s16
.LBB292_1324:                           ;   in Loop: Header=BB292_806 Depth=1
	s_delay_alu instid0(SALU_CYCLE_1)
	s_or_b32 exec_lo, exec_lo, s15
	v_mov_b32_e32 v0, 0
	s_mov_b32 s15, exec_lo
	v_cmpx_lt_u64_e64 s[2:3], v[30:31]
	s_cbranch_execz .LBB292_1332
; %bb.1325:                             ;   in Loop: Header=BB292_806 Depth=1
	v_lshrrev_b32_e32 v6, 24, v31
	v_bfrev_b32_e32 v0, 1
	s_mov_b32 s16, exec_lo
	s_delay_alu instid0(VALU_DEP_2)
	v_cmpx_ne_u32_e32 0x80, v6
	s_cbranch_execz .LBB292_1331
; %bb.1326:                             ;   in Loop: Header=BB292_806 Depth=1
	v_and_b32_e32 v31, 0x7f, v6
	v_mov_b32_e32 v0, 0x7c010000
	s_mov_b32 s17, exec_lo
	s_delay_alu instid0(VALU_DEP_2)
	v_cmpx_ne_u32_e32 0x7f, v31
	s_cbranch_execz .LBB292_1330
; %bb.1327:                             ;   in Loop: Header=BB292_806 Depth=1
	v_dual_lshrrev_b32 v30, 3, v31 :: v_dual_bitop2_b32 v0, 7, v6 bitop3:0x40
	s_mov_b32 s18, exec_lo
	v_cmpx_gt_u32_e32 8, v31
; %bb.1328:                             ;   in Loop: Header=BB292_806 Depth=1
	s_delay_alu instid0(VALU_DEP_2) | instskip(NEXT) | instid1(VALU_DEP_1)
	v_clz_i32_u32_e32 v0, v0
	v_min_u32_e32 v0, 32, v0
	s_delay_alu instid0(VALU_DEP_1) | instskip(NEXT) | instid1(VALU_DEP_1)
	v_subrev_nc_u32_e32 v30, 28, v0
	v_lshlrev_b64_e32 v[32:33], v30, v[6:7]
	v_sub_nc_u32_e32 v30, 29, v0
	s_delay_alu instid0(VALU_DEP_2)
	v_and_b32_e32 v0, 7, v32
; %bb.1329:                             ;   in Loop: Header=BB292_806 Depth=1
	s_or_b32 exec_lo, exec_lo, s18
	s_delay_alu instid0(VALU_DEP_1) | instskip(NEXT) | instid1(VALU_DEP_3)
	v_dual_lshlrev_b32 v6, 8, v6 :: v_dual_lshlrev_b32 v0, 23, v0
	v_lshl_add_u32 v30, v30, 10, 0x2000
	s_delay_alu instid0(VALU_DEP_1) | instskip(NEXT) | instid1(VALU_DEP_1)
	v_and_or_b32 v6, 0x8000, v6, v30
	v_lshl_or_b32 v0, v6, 16, v0
.LBB292_1330:                           ;   in Loop: Header=BB292_806 Depth=1
	s_or_b32 exec_lo, exec_lo, s17
.LBB292_1331:                           ;   in Loop: Header=BB292_806 Depth=1
	s_delay_alu instid0(SALU_CYCLE_1)
	s_or_b32 exec_lo, exec_lo, s16
.LBB292_1332:                           ;   in Loop: Header=BB292_806 Depth=1
	s_delay_alu instid0(SALU_CYCLE_1) | instskip(SKIP_3) | instid1(VALU_DEP_3)
	s_or_b32 exec_lo, exec_lo, s15
	v_dual_lshrrev_b32 v6, 16, v1 :: v_dual_lshrrev_b32 v30, 16, v18
	v_or_b32_e32 v1, v1, v16
	v_or_b32_e32 v16, v18, v19
	v_cvt_f32_f16_e32 v19, v6
	s_delay_alu instid0(VALU_DEP_4)
	v_cvt_f32_f16_e32 v18, v30
	v_dual_lshrrev_b32 v23, 16, v29 :: v_dual_bitop2_b32 v6, v0, v23 bitop3:0x54
	v_lshrrev_b32_e32 v30, 16, v0
	v_cvt_f32_f16_e32 v0, v16
	v_cvt_f32_f16_e32 v1, v1
	v_or_b32_e32 v16, v29, v22
	s_wait_loadcnt_dscnt 0x0
	v_pk_mul_f32 v[18:19], v[28:29], v[18:19] op_sel_hi:[0,1]
	v_cvt_f32_f16_e32 v23, v23
	v_cvt_f32_f16_e32 v22, v30
	v_pk_mul_f32 v[0:1], v[28:29], v[0:1] op_sel_hi:[0,1]
	v_cvt_f32_f16_e32 v31, v16
	s_delay_alu instid0(VALU_DEP_2) | instskip(NEXT) | instid1(VALU_DEP_1)
	v_cvt_pk_f16_f32 v0, v0, v1
	v_lshrrev_b32_e32 v35, 16, v0
	v_cvt_f32_f16_e32 v30, v6
	v_cvt_pk_f16_f32 v6, v18, v19
	v_pk_mul_f32 v[18:19], v[28:29], v[22:23] op_sel_hi:[0,1]
	v_and_b32_e32 v34, 0xffff, v0
	s_delay_alu instid0(VALU_DEP_4) | instskip(NEXT) | instid1(VALU_DEP_4)
	v_pk_mul_f32 v[22:23], v[28:29], v[30:31] op_sel_hi:[0,1]
	v_and_b32_e32 v29, 0xffff0000, v6
	s_delay_alu instid0(VALU_DEP_4) | instskip(SKIP_1) | instid1(VALU_DEP_4)
	v_cvt_pk_f16_f32 v16, v18, v19
	v_lshlrev_b32_e32 v28, 16, v6
	v_cvt_pk_f16_f32 v6, v22, v23
	s_delay_alu instid0(VALU_DEP_4) | instskip(NEXT) | instid1(VALU_DEP_4)
	v_or_b32_e32 v33, v29, v35
	v_and_b32_e32 v1, 0xffff0000, v16
	s_delay_alu instid0(VALU_DEP_4) | instskip(NEXT) | instid1(VALU_DEP_4)
	v_dual_lshlrev_b32 v0, 16, v16 :: v_dual_bitop2_b32 v32, v28, v34 bitop3:0x54
	v_lshrrev_b32_e32 v19, 16, v6
	v_and_b32_e32 v6, 0xffff, v6
	s_delay_alu instid0(VALU_DEP_2) | instskip(NEXT) | instid1(VALU_DEP_2)
	v_or_b32_e32 v31, v1, v19
	v_or_b32_e32 v30, v0, v6
	s_and_saveexec_b32 s15, vcc_lo
	s_cbranch_execz .LBB292_1334
; %bb.1333:                             ;   in Loop: Header=BB292_806 Depth=1
	v_cmp_lt_i32_e64 s0, v49, v13
	s_delay_alu instid0(VALU_DEP_1) | instskip(SKIP_1) | instid1(VALU_DEP_1)
	v_cndmask_b32_e64 v16, 0, v35, s0
	v_cmp_lt_i32_e64 s0, v66, v116
	v_cndmask_b32_e64 v18, 0, v34, s0
	v_cmp_lt_i32_e64 s0, v65, v13
	s_delay_alu instid0(VALU_DEP_1) | instskip(SKIP_1) | instid1(VALU_DEP_1)
	v_cndmask_b32_e64 v22, 0, v29, s0
	v_cmp_lt_i32_e64 s0, v64, v116
	v_cndmask_b32_e64 v23, 0, v28, s0
	v_cmp_lt_i32_e64 s0, v55, v13
	s_delay_alu instid0(VALU_DEP_4) | instskip(NEXT) | instid1(VALU_DEP_3)
	v_or_b32_e32 v33, v16, v22
	v_or_b32_e32 v32, v18, v23
	s_delay_alu instid0(VALU_DEP_3) | instskip(SKIP_1) | instid1(VALU_DEP_1)
	v_cndmask_b32_e64 v19, 0, v19, s0
	v_cmp_lt_i32_e64 s0, v54, v116
	v_cndmask_b32_e64 v6, 0, v6, s0
	v_cmp_lt_i32_e64 s0, v53, v13
	s_delay_alu instid0(VALU_DEP_1) | instskip(SKIP_1) | instid1(VALU_DEP_1)
	v_cndmask_b32_e64 v1, 0, v1, s0
	v_cmp_lt_i32_e64 s0, v52, v116
	v_dual_cndmask_b32 v0, 0, v0, s0 :: v_dual_bitop2_b32 v31, v19, v1 bitop3:0x54
	s_delay_alu instid0(VALU_DEP_1)
	v_or_b32_e32 v30, v6, v0
.LBB292_1334:                           ;   in Loop: Header=BB292_806 Depth=1
	s_or_b32 exec_lo, exec_lo, s15
	;;#ASMSTART
	v_pk_mul_f16 v0, v70, v33;

	;;#ASMEND
	;;#ASMSTART
	v_pk_mul_f16 v1, v69, v32;

	;;#ASMEND
	;; [unrolled: 4-line block ×4, first 2 shown]
	;;#ASMSTART
	v_pk_add_f16 v0, v0, v1;

	;;#ASMEND
	;;#ASMSTART
	v_pk_add_f16 v0, v0, v6;

	;;#ASMEND
	;; [unrolled: 4-line block ×3, first 2 shown]
	v_and_b32_e32 v1, 0xffff, v0
	v_lshrrev_b32_e32 v0, 16, v0
	;;#ASMSTART
	v_cvt_f32_f16 v101, v1;
	;;#ASMEND
	;;#ASMSTART
	v_cvt_f32_f16 v102, v0;
	;;#ASMEND
	flat_load_b64 v[30:31], v[14:15] offset:2048
	scratch_load_b64 v[0:1], off, s32 offset:192 ; 8-byte Folded Reload
	v_mov_b32_e32 v16, 0
	s_mov_b32 s15, exec_lo
	s_wait_loadcnt 0x0
	flat_load_b32 v28, v[0:1]
	s_wait_dscnt 0x1
	s_wait_xcnt 0x0
	v_and_b32_e32 v0, 0xff, v30
	v_mov_b32_e32 v1, 0
	s_delay_alu instid0(VALU_DEP_2)
	v_cmpx_ne_u16_e32 0, v0
	s_cbranch_execz .LBB292_1342
; %bb.1335:                             ;   in Loop: Header=BB292_806 Depth=1
	v_mov_b32_e32 v16, 0x8000
	s_mov_b32 s16, exec_lo
	v_cmpx_ne_u16_e32 0x80, v0
	s_cbranch_execz .LBB292_1341
; %bb.1336:                             ;   in Loop: Header=BB292_806 Depth=1
	v_and_b32_e32 v18, 0x7f, v30
	v_mov_b32_e32 v16, 0x7c01
	s_mov_b32 s17, exec_lo
	s_delay_alu instid0(VALU_DEP_2)
	v_cmpx_ne_u32_e32 0x7f, v18
	s_cbranch_execz .LBB292_1340
; %bb.1337:                             ;   in Loop: Header=BB292_806 Depth=1
	v_and_b32_e32 v0, 7, v30
	v_lshrrev_b32_e32 v6, 3, v18
	s_mov_b32 s18, exec_lo
	v_cmpx_gt_u32_e32 8, v18
; %bb.1338:                             ;   in Loop: Header=BB292_806 Depth=1
	s_delay_alu instid0(VALU_DEP_3) | instskip(NEXT) | instid1(VALU_DEP_1)
	v_clz_i32_u32_e32 v0, v0
	v_min_u32_e32 v0, 32, v0
	s_delay_alu instid0(VALU_DEP_1) | instskip(NEXT) | instid1(VALU_DEP_1)
	v_subrev_nc_u32_e32 v6, 28, v0
	v_lshlrev_b64_e32 v[18:19], v6, v[30:31]
	s_delay_alu instid0(VALU_DEP_1)
	v_dual_sub_nc_u32 v6, 29, v0 :: v_dual_bitop2_b32 v0, 7, v18 bitop3:0x40
; %bb.1339:                             ;   in Loop: Header=BB292_806 Depth=1
	s_or_b32 exec_lo, exec_lo, s18
	s_delay_alu instid0(VALU_DEP_1) | instskip(NEXT) | instid1(VALU_DEP_2)
	v_dual_lshlrev_b32 v16, 8, v30 :: v_dual_lshlrev_b32 v0, 7, v0
	v_lshl_add_u32 v6, v6, 10, 0x2000
	s_delay_alu instid0(VALU_DEP_2) | instskip(NEXT) | instid1(VALU_DEP_2)
	v_and_b32_e32 v16, 0x8000, v16
	v_and_b32_e32 v6, 0xfc00, v6
	s_delay_alu instid0(VALU_DEP_1)
	v_or3_b32 v16, v16, v6, v0
.LBB292_1340:                           ;   in Loop: Header=BB292_806 Depth=1
	s_or_b32 exec_lo, exec_lo, s17
.LBB292_1341:                           ;   in Loop: Header=BB292_806 Depth=1
	s_delay_alu instid0(SALU_CYCLE_1)
	s_or_b32 exec_lo, exec_lo, s16
.LBB292_1342:                           ;   in Loop: Header=BB292_806 Depth=1
	s_delay_alu instid0(SALU_CYCLE_1) | instskip(SKIP_2) | instid1(VALU_DEP_1)
	s_or_b32 exec_lo, exec_lo, s15
	v_lshrrev_b16 v6, 8, v30
	s_mov_b32 s15, exec_lo
	v_cmpx_ne_u16_e32 0, v6
	s_cbranch_execz .LBB292_1350
; %bb.1343:                             ;   in Loop: Header=BB292_806 Depth=1
	v_bfrev_b32_e32 v1, 1
	s_mov_b32 s16, exec_lo
	v_cmpx_ne_u16_e32 0x80, v6
	s_cbranch_execz .LBB292_1349
; %bb.1344:                             ;   in Loop: Header=BB292_806 Depth=1
	v_and_b32_e32 v0, 0xffff, v6
	v_mov_b32_e32 v1, 0x7c010000
	s_mov_b32 s17, exec_lo
	s_delay_alu instid0(VALU_DEP_2) | instskip(NEXT) | instid1(VALU_DEP_1)
	v_and_b32_e32 v19, 0x7f, v0
	v_cmpx_ne_u32_e32 0x7f, v19
	s_cbranch_execz .LBB292_1348
; %bb.1345:                             ;   in Loop: Header=BB292_806 Depth=1
	v_dual_lshrrev_b32 v18, 3, v19 :: v_dual_bitop2_b32 v1, 7, v0 bitop3:0x40
	s_mov_b32 s18, exec_lo
	v_cmpx_gt_u32_e32 8, v19
; %bb.1346:                             ;   in Loop: Header=BB292_806 Depth=1
	s_delay_alu instid0(VALU_DEP_2) | instskip(NEXT) | instid1(VALU_DEP_1)
	v_clz_i32_u32_e32 v1, v1
	v_min_u32_e32 v1, 32, v1
	s_delay_alu instid0(VALU_DEP_1) | instskip(NEXT) | instid1(VALU_DEP_1)
	v_subrev_nc_u32_e32 v18, 28, v1
	v_lshlrev_b64_e32 v[22:23], v18, v[6:7]
	s_delay_alu instid0(VALU_DEP_1)
	v_dual_sub_nc_u32 v18, 29, v1 :: v_dual_bitop2_b32 v1, 7, v22 bitop3:0x40
; %bb.1347:                             ;   in Loop: Header=BB292_806 Depth=1
	s_or_b32 exec_lo, exec_lo, s18
	s_delay_alu instid0(VALU_DEP_1) | instskip(NEXT) | instid1(VALU_DEP_2)
	v_dual_lshlrev_b32 v0, 8, v0 :: v_dual_lshlrev_b32 v1, 23, v1
	v_lshl_add_u32 v6, v18, 10, 0x2000
	s_delay_alu instid0(VALU_DEP_1) | instskip(NEXT) | instid1(VALU_DEP_1)
	v_and_or_b32 v0, 0x8000, v0, v6
	v_lshl_or_b32 v1, v0, 16, v1
.LBB292_1348:                           ;   in Loop: Header=BB292_806 Depth=1
	s_or_b32 exec_lo, exec_lo, s17
.LBB292_1349:                           ;   in Loop: Header=BB292_806 Depth=1
	s_delay_alu instid0(SALU_CYCLE_1)
	s_or_b32 exec_lo, exec_lo, s16
.LBB292_1350:                           ;   in Loop: Header=BB292_806 Depth=1
	s_delay_alu instid0(SALU_CYCLE_1) | instskip(SKIP_3) | instid1(VALU_DEP_2)
	s_or_b32 exec_lo, exec_lo, s15
	v_dual_lshrrev_b32 v0, 16, v30 :: v_dual_mov_b32 v18, 0
	v_mov_b32_e32 v19, 0
	s_mov_b32 s15, exec_lo
	v_and_b32_e32 v6, 0xff, v0
	s_delay_alu instid0(VALU_DEP_1)
	v_cmpx_ne_u16_e32 0, v6
	s_cbranch_execz .LBB292_1358
; %bb.1351:                             ;   in Loop: Header=BB292_806 Depth=1
	v_mov_b32_e32 v19, 0x8000
	s_mov_b32 s16, exec_lo
	v_cmpx_ne_u16_e32 0x80, v6
	s_cbranch_execz .LBB292_1357
; %bb.1352:                             ;   in Loop: Header=BB292_806 Depth=1
	v_bfe_u32 v22, v30, 16, 7
	v_mov_b32_e32 v19, 0x7c01
	s_mov_b32 s17, exec_lo
	s_delay_alu instid0(VALU_DEP_2)
	v_cmpx_ne_u32_e32 0x7f, v22
	s_cbranch_execz .LBB292_1356
; %bb.1353:                             ;   in Loop: Header=BB292_806 Depth=1
	v_dual_lshrrev_b32 v19, 3, v22 :: v_dual_bitop2_b32 v6, 7, v0 bitop3:0x40
	s_mov_b32 s18, exec_lo
	v_cmpx_gt_u32_e32 8, v22
; %bb.1354:                             ;   in Loop: Header=BB292_806 Depth=1
	s_delay_alu instid0(VALU_DEP_2) | instskip(NEXT) | instid1(VALU_DEP_1)
	v_clz_i32_u32_e32 v6, v6
	v_min_u32_e32 v6, 32, v6
	s_delay_alu instid0(VALU_DEP_1) | instskip(NEXT) | instid1(VALU_DEP_1)
	v_subrev_nc_u32_e32 v19, 28, v6
	v_lshlrev_b64_e32 v[22:23], v19, v[0:1]
	v_sub_nc_u32_e32 v19, 29, v6
	s_delay_alu instid0(VALU_DEP_2)
	v_and_b32_e32 v6, 7, v22
; %bb.1355:                             ;   in Loop: Header=BB292_806 Depth=1
	s_or_b32 exec_lo, exec_lo, s18
	s_delay_alu instid0(VALU_DEP_1) | instskip(NEXT) | instid1(VALU_DEP_3)
	v_dual_lshlrev_b32 v0, 8, v0 :: v_dual_lshlrev_b32 v6, 7, v6
	v_lshl_add_u32 v19, v19, 10, 0x2000
	s_delay_alu instid0(VALU_DEP_2) | instskip(NEXT) | instid1(VALU_DEP_2)
	v_and_b32_e32 v0, 0x8000, v0
	v_and_b32_e32 v19, 0xfc00, v19
	s_delay_alu instid0(VALU_DEP_1)
	v_or3_b32 v19, v0, v19, v6
.LBB292_1356:                           ;   in Loop: Header=BB292_806 Depth=1
	s_or_b32 exec_lo, exec_lo, s17
.LBB292_1357:                           ;   in Loop: Header=BB292_806 Depth=1
	s_delay_alu instid0(SALU_CYCLE_1)
	s_or_b32 exec_lo, exec_lo, s16
.LBB292_1358:                           ;   in Loop: Header=BB292_806 Depth=1
	s_delay_alu instid0(SALU_CYCLE_1) | instskip(NEXT) | instid1(SALU_CYCLE_1)
	s_or_b32 exec_lo, exec_lo, s15
	s_mov_b32 s15, exec_lo
	v_cmpx_lt_u32_e32 0xffffff, v30
	s_cbranch_execz .LBB292_1366
; %bb.1359:                             ;   in Loop: Header=BB292_806 Depth=1
	v_lshrrev_b32_e32 v6, 24, v30
	v_bfrev_b32_e32 v18, 1
	s_mov_b32 s16, exec_lo
	s_delay_alu instid0(VALU_DEP_2)
	v_cmpx_ne_u32_e32 0x80, v6
	s_cbranch_execz .LBB292_1365
; %bb.1360:                             ;   in Loop: Header=BB292_806 Depth=1
	v_and_b32_e32 v22, 0x7f, v6
	v_mov_b32_e32 v18, 0x7c010000
	s_mov_b32 s17, exec_lo
	s_delay_alu instid0(VALU_DEP_2)
	v_cmpx_ne_u32_e32 0x7f, v22
	s_cbranch_execz .LBB292_1364
; %bb.1361:                             ;   in Loop: Header=BB292_806 Depth=1
	v_and_b32_e32 v0, 7, v6
	v_lshrrev_b32_e32 v18, 3, v22
	s_mov_b32 s18, exec_lo
	v_cmpx_gt_u32_e32 8, v22
; %bb.1362:                             ;   in Loop: Header=BB292_806 Depth=1
	s_delay_alu instid0(VALU_DEP_3) | instskip(NEXT) | instid1(VALU_DEP_1)
	v_clz_i32_u32_e32 v0, v0
	v_min_u32_e32 v0, 32, v0
	s_delay_alu instid0(VALU_DEP_1) | instskip(NEXT) | instid1(VALU_DEP_1)
	v_subrev_nc_u32_e32 v18, 28, v0
	v_lshlrev_b64_e32 v[22:23], v18, v[6:7]
	s_delay_alu instid0(VALU_DEP_1)
	v_dual_sub_nc_u32 v18, 29, v0 :: v_dual_bitop2_b32 v0, 7, v22 bitop3:0x40
; %bb.1363:                             ;   in Loop: Header=BB292_806 Depth=1
	s_or_b32 exec_lo, exec_lo, s18
	s_delay_alu instid0(VALU_DEP_1) | instskip(NEXT) | instid1(VALU_DEP_2)
	v_dual_lshlrev_b32 v6, 8, v6 :: v_dual_lshlrev_b32 v0, 23, v0
	v_lshl_add_u32 v18, v18, 10, 0x2000
	s_delay_alu instid0(VALU_DEP_1) | instskip(NEXT) | instid1(VALU_DEP_1)
	v_and_or_b32 v6, 0x8000, v6, v18
	v_lshl_or_b32 v18, v6, 16, v0
.LBB292_1364:                           ;   in Loop: Header=BB292_806 Depth=1
	s_or_b32 exec_lo, exec_lo, s17
.LBB292_1365:                           ;   in Loop: Header=BB292_806 Depth=1
	s_delay_alu instid0(SALU_CYCLE_1)
	s_or_b32 exec_lo, exec_lo, s16
.LBB292_1366:                           ;   in Loop: Header=BB292_806 Depth=1
	s_delay_alu instid0(SALU_CYCLE_1) | instskip(SKIP_4) | instid1(VALU_DEP_3)
	s_or_b32 exec_lo, exec_lo, s15
	v_and_b32_e32 v0, 0xff, v31
	v_dual_mov_b32 v6, v31 :: v_dual_mov_b32 v23, 0
	v_mov_b32_e32 v22, 0
	s_mov_b32 s15, exec_lo
	v_cmpx_ne_u16_e32 0, v0
	s_cbranch_execz .LBB292_1374
; %bb.1367:                             ;   in Loop: Header=BB292_806 Depth=1
	v_mov_b32_e32 v22, 0x8000
	s_mov_b32 s16, exec_lo
	v_cmpx_ne_u16_e32 0x80, v0
	s_cbranch_execz .LBB292_1373
; %bb.1368:                             ;   in Loop: Header=BB292_806 Depth=1
	v_and_b32_e32 v29, 0x7f, v31
	v_mov_b32_e32 v22, 0x7c01
	s_mov_b32 s17, exec_lo
	s_delay_alu instid0(VALU_DEP_2)
	v_cmpx_ne_u32_e32 0x7f, v29
	s_cbranch_execz .LBB292_1372
; %bb.1369:                             ;   in Loop: Header=BB292_806 Depth=1
	v_dual_lshrrev_b32 v22, 3, v29 :: v_dual_bitop2_b32 v0, 7, v31 bitop3:0x40
	s_mov_b32 s18, exec_lo
	v_cmpx_gt_u32_e32 8, v29
; %bb.1370:                             ;   in Loop: Header=BB292_806 Depth=1
	s_delay_alu instid0(VALU_DEP_2) | instskip(NEXT) | instid1(VALU_DEP_1)
	v_clz_i32_u32_e32 v0, v0
	v_min_u32_e32 v0, 32, v0
	s_delay_alu instid0(VALU_DEP_1) | instskip(NEXT) | instid1(VALU_DEP_1)
	v_subrev_nc_u32_e32 v22, 28, v0
	v_lshlrev_b64_e32 v[32:33], v22, v[6:7]
	v_sub_nc_u32_e32 v22, 29, v0
	s_delay_alu instid0(VALU_DEP_2)
	v_and_b32_e32 v0, 7, v32
; %bb.1371:                             ;   in Loop: Header=BB292_806 Depth=1
	s_or_b32 exec_lo, exec_lo, s18
	s_delay_alu instid0(VALU_DEP_1) | instskip(NEXT) | instid1(VALU_DEP_3)
	v_dual_lshlrev_b32 v29, 8, v31 :: v_dual_lshlrev_b32 v0, 7, v0
	v_lshl_add_u32 v22, v22, 10, 0x2000
	s_delay_alu instid0(VALU_DEP_2) | instskip(NEXT) | instid1(VALU_DEP_2)
	v_and_b32_e32 v29, 0x8000, v29
	v_and_b32_e32 v22, 0xfc00, v22
	s_delay_alu instid0(VALU_DEP_1)
	v_or3_b32 v22, v29, v22, v0
.LBB292_1372:                           ;   in Loop: Header=BB292_806 Depth=1
	s_or_b32 exec_lo, exec_lo, s17
.LBB292_1373:                           ;   in Loop: Header=BB292_806 Depth=1
	s_delay_alu instid0(SALU_CYCLE_1)
	s_or_b32 exec_lo, exec_lo, s16
.LBB292_1374:                           ;   in Loop: Header=BB292_806 Depth=1
	s_delay_alu instid0(SALU_CYCLE_1) | instskip(SKIP_3) | instid1(VALU_DEP_2)
	s_or_b32 exec_lo, exec_lo, s15
	v_lshrrev_b16 v6, 8, v6
	v_mov_b32_e32 v29, 0
	s_mov_b32 s15, exec_lo
	v_cmpx_ne_u16_e32 0, v6
	s_cbranch_execz .LBB292_1382
; %bb.1375:                             ;   in Loop: Header=BB292_806 Depth=1
	v_bfrev_b32_e32 v29, 1
	s_mov_b32 s16, exec_lo
	v_cmpx_ne_u16_e32 0x80, v6
	s_cbranch_execz .LBB292_1381
; %bb.1376:                             ;   in Loop: Header=BB292_806 Depth=1
	v_and_b32_e32 v0, 0xffff, v6
	v_mov_b32_e32 v29, 0x7c010000
	s_mov_b32 s17, exec_lo
	s_delay_alu instid0(VALU_DEP_2) | instskip(NEXT) | instid1(VALU_DEP_1)
	v_and_b32_e32 v33, 0x7f, v0
	v_cmpx_ne_u32_e32 0x7f, v33
	s_cbranch_execz .LBB292_1380
; %bb.1377:                             ;   in Loop: Header=BB292_806 Depth=1
	v_dual_lshrrev_b32 v32, 3, v33 :: v_dual_bitop2_b32 v29, 7, v0 bitop3:0x40
	s_mov_b32 s18, exec_lo
	v_cmpx_gt_u32_e32 8, v33
; %bb.1378:                             ;   in Loop: Header=BB292_806 Depth=1
	s_delay_alu instid0(VALU_DEP_2) | instskip(NEXT) | instid1(VALU_DEP_1)
	v_clz_i32_u32_e32 v29, v29
	v_min_u32_e32 v29, 32, v29
	s_delay_alu instid0(VALU_DEP_1) | instskip(NEXT) | instid1(VALU_DEP_1)
	v_subrev_nc_u32_e32 v32, 28, v29
	v_lshlrev_b64_e32 v[34:35], v32, v[6:7]
	s_delay_alu instid0(VALU_DEP_1)
	v_dual_sub_nc_u32 v32, 29, v29 :: v_dual_bitop2_b32 v29, 7, v34 bitop3:0x40
; %bb.1379:                             ;   in Loop: Header=BB292_806 Depth=1
	s_or_b32 exec_lo, exec_lo, s18
	v_lshlrev_b32_e32 v0, 8, v0
	s_delay_alu instid0(VALU_DEP_2) | instskip(NEXT) | instid1(VALU_DEP_1)
	v_lshl_add_u32 v6, v32, 10, 0x2000
	v_and_or_b32 v0, 0x8000, v0, v6
	v_lshlrev_b32_e32 v6, 23, v29
	s_delay_alu instid0(VALU_DEP_1)
	v_lshl_or_b32 v29, v0, 16, v6
.LBB292_1380:                           ;   in Loop: Header=BB292_806 Depth=1
	s_or_b32 exec_lo, exec_lo, s17
.LBB292_1381:                           ;   in Loop: Header=BB292_806 Depth=1
	s_delay_alu instid0(SALU_CYCLE_1)
	s_or_b32 exec_lo, exec_lo, s16
.LBB292_1382:                           ;   in Loop: Header=BB292_806 Depth=1
	s_delay_alu instid0(SALU_CYCLE_1) | instskip(SKIP_2) | instid1(VALU_DEP_1)
	s_or_b32 exec_lo, exec_lo, s15
	v_lshrrev_b32_e32 v0, 16, v31
	s_mov_b32 s15, exec_lo
	v_and_b32_e32 v6, 0xff, v0
	s_delay_alu instid0(VALU_DEP_1)
	v_cmpx_ne_u16_e32 0, v6
	s_cbranch_execz .LBB292_1390
; %bb.1383:                             ;   in Loop: Header=BB292_806 Depth=1
	v_mov_b32_e32 v23, 0x8000
	s_mov_b32 s16, exec_lo
	v_cmpx_ne_u16_e32 0x80, v6
	s_cbranch_execz .LBB292_1389
; %bb.1384:                             ;   in Loop: Header=BB292_806 Depth=1
	v_bfe_u32 v32, v31, 16, 7
	v_mov_b32_e32 v23, 0x7c01
	s_mov_b32 s17, exec_lo
	s_delay_alu instid0(VALU_DEP_2)
	v_cmpx_ne_u32_e32 0x7f, v32
	s_cbranch_execz .LBB292_1388
; %bb.1385:                             ;   in Loop: Header=BB292_806 Depth=1
	v_and_b32_e32 v6, 7, v0
	v_lshrrev_b32_e32 v23, 3, v32
	s_mov_b32 s18, exec_lo
	v_cmpx_gt_u32_e32 8, v32
; %bb.1386:                             ;   in Loop: Header=BB292_806 Depth=1
	s_delay_alu instid0(VALU_DEP_3) | instskip(NEXT) | instid1(VALU_DEP_1)
	v_clz_i32_u32_e32 v6, v6
	v_min_u32_e32 v6, 32, v6
	s_delay_alu instid0(VALU_DEP_1) | instskip(NEXT) | instid1(VALU_DEP_1)
	v_subrev_nc_u32_e32 v23, 28, v6
	v_lshlrev_b64_e32 v[32:33], v23, v[0:1]
	s_delay_alu instid0(VALU_DEP_1)
	v_dual_sub_nc_u32 v23, 29, v6 :: v_dual_bitop2_b32 v6, 7, v32 bitop3:0x40
; %bb.1387:                             ;   in Loop: Header=BB292_806 Depth=1
	s_or_b32 exec_lo, exec_lo, s18
	s_delay_alu instid0(VALU_DEP_1) | instskip(NEXT) | instid1(VALU_DEP_2)
	v_dual_lshlrev_b32 v0, 8, v0 :: v_dual_lshlrev_b32 v6, 7, v6
	v_lshl_add_u32 v23, v23, 10, 0x2000
	s_delay_alu instid0(VALU_DEP_2) | instskip(NEXT) | instid1(VALU_DEP_2)
	v_and_b32_e32 v0, 0x8000, v0
	v_and_b32_e32 v23, 0xfc00, v23
	s_delay_alu instid0(VALU_DEP_1)
	v_or3_b32 v23, v0, v23, v6
.LBB292_1388:                           ;   in Loop: Header=BB292_806 Depth=1
	s_or_b32 exec_lo, exec_lo, s17
.LBB292_1389:                           ;   in Loop: Header=BB292_806 Depth=1
	s_delay_alu instid0(SALU_CYCLE_1)
	s_or_b32 exec_lo, exec_lo, s16
.LBB292_1390:                           ;   in Loop: Header=BB292_806 Depth=1
	s_delay_alu instid0(SALU_CYCLE_1)
	s_or_b32 exec_lo, exec_lo, s15
	v_mov_b32_e32 v0, 0
	s_mov_b32 s15, exec_lo
	v_cmpx_lt_u64_e64 s[2:3], v[30:31]
	s_cbranch_execz .LBB292_1398
; %bb.1391:                             ;   in Loop: Header=BB292_806 Depth=1
	v_lshrrev_b32_e32 v6, 24, v31
	v_bfrev_b32_e32 v0, 1
	s_mov_b32 s16, exec_lo
	s_delay_alu instid0(VALU_DEP_2)
	v_cmpx_ne_u32_e32 0x80, v6
	s_cbranch_execz .LBB292_1397
; %bb.1392:                             ;   in Loop: Header=BB292_806 Depth=1
	v_and_b32_e32 v31, 0x7f, v6
	v_mov_b32_e32 v0, 0x7c010000
	s_mov_b32 s17, exec_lo
	s_delay_alu instid0(VALU_DEP_2)
	v_cmpx_ne_u32_e32 0x7f, v31
	s_cbranch_execz .LBB292_1396
; %bb.1393:                             ;   in Loop: Header=BB292_806 Depth=1
	v_dual_lshrrev_b32 v30, 3, v31 :: v_dual_bitop2_b32 v0, 7, v6 bitop3:0x40
	s_mov_b32 s18, exec_lo
	v_cmpx_gt_u32_e32 8, v31
; %bb.1394:                             ;   in Loop: Header=BB292_806 Depth=1
	s_delay_alu instid0(VALU_DEP_2) | instskip(NEXT) | instid1(VALU_DEP_1)
	v_clz_i32_u32_e32 v0, v0
	v_min_u32_e32 v0, 32, v0
	s_delay_alu instid0(VALU_DEP_1) | instskip(NEXT) | instid1(VALU_DEP_1)
	v_subrev_nc_u32_e32 v30, 28, v0
	v_lshlrev_b64_e32 v[32:33], v30, v[6:7]
	v_sub_nc_u32_e32 v30, 29, v0
	s_delay_alu instid0(VALU_DEP_2)
	v_and_b32_e32 v0, 7, v32
; %bb.1395:                             ;   in Loop: Header=BB292_806 Depth=1
	s_or_b32 exec_lo, exec_lo, s18
	s_delay_alu instid0(VALU_DEP_1) | instskip(NEXT) | instid1(VALU_DEP_3)
	v_dual_lshlrev_b32 v6, 8, v6 :: v_dual_lshlrev_b32 v0, 23, v0
	v_lshl_add_u32 v30, v30, 10, 0x2000
	s_delay_alu instid0(VALU_DEP_1) | instskip(NEXT) | instid1(VALU_DEP_1)
	v_and_or_b32 v6, 0x8000, v6, v30
	v_lshl_or_b32 v0, v6, 16, v0
.LBB292_1396:                           ;   in Loop: Header=BB292_806 Depth=1
	s_or_b32 exec_lo, exec_lo, s17
.LBB292_1397:                           ;   in Loop: Header=BB292_806 Depth=1
	s_delay_alu instid0(SALU_CYCLE_1)
	s_or_b32 exec_lo, exec_lo, s16
.LBB292_1398:                           ;   in Loop: Header=BB292_806 Depth=1
	s_delay_alu instid0(SALU_CYCLE_1) | instskip(SKIP_3) | instid1(VALU_DEP_3)
	s_or_b32 exec_lo, exec_lo, s15
	v_dual_lshrrev_b32 v6, 16, v1 :: v_dual_lshrrev_b32 v30, 16, v18
	v_or_b32_e32 v1, v1, v16
	v_or_b32_e32 v16, v18, v19
	v_cvt_f32_f16_e32 v19, v6
	s_delay_alu instid0(VALU_DEP_4)
	v_cvt_f32_f16_e32 v18, v30
	v_dual_lshrrev_b32 v23, 16, v29 :: v_dual_bitop2_b32 v6, v0, v23 bitop3:0x54
	v_lshrrev_b32_e32 v30, 16, v0
	v_cvt_f32_f16_e32 v0, v16
	v_cvt_f32_f16_e32 v1, v1
	v_or_b32_e32 v16, v29, v22
	s_wait_loadcnt_dscnt 0x0
	v_pk_mul_f32 v[18:19], v[28:29], v[18:19] op_sel_hi:[0,1]
	v_cvt_f32_f16_e32 v23, v23
	v_cvt_f32_f16_e32 v22, v30
	v_pk_mul_f32 v[0:1], v[28:29], v[0:1] op_sel_hi:[0,1]
	v_cvt_f32_f16_e32 v31, v16
	s_delay_alu instid0(VALU_DEP_2) | instskip(NEXT) | instid1(VALU_DEP_1)
	v_cvt_pk_f16_f32 v0, v0, v1
	v_lshrrev_b32_e32 v35, 16, v0
	v_cvt_f32_f16_e32 v30, v6
	v_cvt_pk_f16_f32 v6, v18, v19
	v_pk_mul_f32 v[18:19], v[28:29], v[22:23] op_sel_hi:[0,1]
	v_and_b32_e32 v34, 0xffff, v0
	s_delay_alu instid0(VALU_DEP_4) | instskip(NEXT) | instid1(VALU_DEP_4)
	v_pk_mul_f32 v[22:23], v[28:29], v[30:31] op_sel_hi:[0,1]
	v_and_b32_e32 v29, 0xffff0000, v6
	s_delay_alu instid0(VALU_DEP_4) | instskip(SKIP_1) | instid1(VALU_DEP_4)
	v_cvt_pk_f16_f32 v16, v18, v19
	v_lshlrev_b32_e32 v28, 16, v6
	v_cvt_pk_f16_f32 v6, v22, v23
	s_delay_alu instid0(VALU_DEP_4) | instskip(NEXT) | instid1(VALU_DEP_4)
	v_or_b32_e32 v33, v29, v35
	v_and_b32_e32 v1, 0xffff0000, v16
	s_delay_alu instid0(VALU_DEP_4) | instskip(NEXT) | instid1(VALU_DEP_4)
	v_dual_lshlrev_b32 v0, 16, v16 :: v_dual_bitop2_b32 v32, v28, v34 bitop3:0x54
	v_lshrrev_b32_e32 v19, 16, v6
	v_and_b32_e32 v6, 0xffff, v6
	s_delay_alu instid0(VALU_DEP_2) | instskip(NEXT) | instid1(VALU_DEP_2)
	v_or_b32_e32 v31, v1, v19
	v_or_b32_e32 v30, v0, v6
	s_and_saveexec_b32 s15, vcc_lo
	s_cbranch_execz .LBB292_1400
; %bb.1399:                             ;   in Loop: Header=BB292_806 Depth=1
	v_cmp_lt_i32_e64 s0, v49, v13
	s_delay_alu instid0(VALU_DEP_1) | instskip(SKIP_1) | instid1(VALU_DEP_1)
	v_cndmask_b32_e64 v16, 0, v35, s0
	v_cmp_lt_i32_e64 s0, v66, v116
	v_cndmask_b32_e64 v18, 0, v34, s0
	v_cmp_lt_i32_e64 s0, v65, v13
	s_delay_alu instid0(VALU_DEP_1) | instskip(SKIP_1) | instid1(VALU_DEP_1)
	v_cndmask_b32_e64 v22, 0, v29, s0
	v_cmp_lt_i32_e64 s0, v64, v116
	v_cndmask_b32_e64 v23, 0, v28, s0
	v_cmp_lt_i32_e64 s0, v55, v13
	s_delay_alu instid0(VALU_DEP_4) | instskip(NEXT) | instid1(VALU_DEP_3)
	v_or_b32_e32 v33, v16, v22
	v_or_b32_e32 v32, v18, v23
	s_delay_alu instid0(VALU_DEP_3) | instskip(SKIP_1) | instid1(VALU_DEP_1)
	v_cndmask_b32_e64 v19, 0, v19, s0
	v_cmp_lt_i32_e64 s0, v54, v116
	v_cndmask_b32_e64 v6, 0, v6, s0
	v_cmp_lt_i32_e64 s0, v53, v13
	s_delay_alu instid0(VALU_DEP_1) | instskip(SKIP_1) | instid1(VALU_DEP_1)
	v_cndmask_b32_e64 v1, 0, v1, s0
	v_cmp_lt_i32_e64 s0, v52, v116
	v_dual_cndmask_b32 v0, 0, v0, s0 :: v_dual_bitop2_b32 v31, v19, v1 bitop3:0x54
	s_delay_alu instid0(VALU_DEP_1)
	v_or_b32_e32 v30, v6, v0
.LBB292_1400:                           ;   in Loop: Header=BB292_806 Depth=1
	s_or_b32 exec_lo, exec_lo, s15
	;;#ASMSTART
	v_pk_mul_f16 v0, v70, v33;

	;;#ASMEND
	;;#ASMSTART
	v_pk_mul_f16 v1, v69, v32;

	;;#ASMEND
	;; [unrolled: 4-line block ×4, first 2 shown]
	;;#ASMSTART
	v_pk_add_f16 v0, v0, v1;

	;;#ASMEND
	;;#ASMSTART
	v_pk_add_f16 v0, v0, v6;

	;;#ASMEND
	;; [unrolled: 4-line block ×3, first 2 shown]
	v_and_b32_e32 v1, 0xffff, v0
	v_lshrrev_b32_e32 v0, 16, v0
	;;#ASMSTART
	v_cvt_f32_f16 v103, v1;
	;;#ASMEND
	;;#ASMSTART
	v_cvt_f32_f16 v112, v0;
	;;#ASMEND
	flat_load_b64 v[30:31], v[14:15] offset:2304
	scratch_load_b64 v[0:1], off, s32 offset:192 ; 8-byte Folded Reload
	v_mov_b32_e32 v16, 0
	s_mov_b32 s15, exec_lo
	s_wait_loadcnt 0x0
	flat_load_b32 v28, v[0:1]
	s_wait_dscnt 0x1
	s_wait_xcnt 0x0
	v_and_b32_e32 v0, 0xff, v30
	v_mov_b32_e32 v1, 0
	s_delay_alu instid0(VALU_DEP_2)
	v_cmpx_ne_u16_e32 0, v0
	s_cbranch_execz .LBB292_1408
; %bb.1401:                             ;   in Loop: Header=BB292_806 Depth=1
	v_mov_b32_e32 v16, 0x8000
	s_mov_b32 s16, exec_lo
	v_cmpx_ne_u16_e32 0x80, v0
	s_cbranch_execz .LBB292_1407
; %bb.1402:                             ;   in Loop: Header=BB292_806 Depth=1
	v_and_b32_e32 v18, 0x7f, v30
	v_mov_b32_e32 v16, 0x7c01
	s_mov_b32 s17, exec_lo
	s_delay_alu instid0(VALU_DEP_2)
	v_cmpx_ne_u32_e32 0x7f, v18
	s_cbranch_execz .LBB292_1406
; %bb.1403:                             ;   in Loop: Header=BB292_806 Depth=1
	v_and_b32_e32 v0, 7, v30
	v_lshrrev_b32_e32 v6, 3, v18
	s_mov_b32 s18, exec_lo
	v_cmpx_gt_u32_e32 8, v18
; %bb.1404:                             ;   in Loop: Header=BB292_806 Depth=1
	s_delay_alu instid0(VALU_DEP_3) | instskip(NEXT) | instid1(VALU_DEP_1)
	v_clz_i32_u32_e32 v0, v0
	v_min_u32_e32 v0, 32, v0
	s_delay_alu instid0(VALU_DEP_1) | instskip(NEXT) | instid1(VALU_DEP_1)
	v_subrev_nc_u32_e32 v6, 28, v0
	v_lshlrev_b64_e32 v[18:19], v6, v[30:31]
	s_delay_alu instid0(VALU_DEP_1)
	v_dual_sub_nc_u32 v6, 29, v0 :: v_dual_bitop2_b32 v0, 7, v18 bitop3:0x40
; %bb.1405:                             ;   in Loop: Header=BB292_806 Depth=1
	s_or_b32 exec_lo, exec_lo, s18
	s_delay_alu instid0(VALU_DEP_1) | instskip(NEXT) | instid1(VALU_DEP_2)
	v_dual_lshlrev_b32 v16, 8, v30 :: v_dual_lshlrev_b32 v0, 7, v0
	v_lshl_add_u32 v6, v6, 10, 0x2000
	s_delay_alu instid0(VALU_DEP_2) | instskip(NEXT) | instid1(VALU_DEP_2)
	v_and_b32_e32 v16, 0x8000, v16
	v_and_b32_e32 v6, 0xfc00, v6
	s_delay_alu instid0(VALU_DEP_1)
	v_or3_b32 v16, v16, v6, v0
.LBB292_1406:                           ;   in Loop: Header=BB292_806 Depth=1
	s_or_b32 exec_lo, exec_lo, s17
.LBB292_1407:                           ;   in Loop: Header=BB292_806 Depth=1
	s_delay_alu instid0(SALU_CYCLE_1)
	s_or_b32 exec_lo, exec_lo, s16
.LBB292_1408:                           ;   in Loop: Header=BB292_806 Depth=1
	s_delay_alu instid0(SALU_CYCLE_1) | instskip(SKIP_2) | instid1(VALU_DEP_1)
	s_or_b32 exec_lo, exec_lo, s15
	v_lshrrev_b16 v6, 8, v30
	s_mov_b32 s15, exec_lo
	v_cmpx_ne_u16_e32 0, v6
	s_cbranch_execz .LBB292_1416
; %bb.1409:                             ;   in Loop: Header=BB292_806 Depth=1
	v_bfrev_b32_e32 v1, 1
	s_mov_b32 s16, exec_lo
	v_cmpx_ne_u16_e32 0x80, v6
	s_cbranch_execz .LBB292_1415
; %bb.1410:                             ;   in Loop: Header=BB292_806 Depth=1
	v_and_b32_e32 v0, 0xffff, v6
	v_mov_b32_e32 v1, 0x7c010000
	s_mov_b32 s17, exec_lo
	s_delay_alu instid0(VALU_DEP_2) | instskip(NEXT) | instid1(VALU_DEP_1)
	v_and_b32_e32 v19, 0x7f, v0
	v_cmpx_ne_u32_e32 0x7f, v19
	s_cbranch_execz .LBB292_1414
; %bb.1411:                             ;   in Loop: Header=BB292_806 Depth=1
	v_dual_lshrrev_b32 v18, 3, v19 :: v_dual_bitop2_b32 v1, 7, v0 bitop3:0x40
	s_mov_b32 s18, exec_lo
	v_cmpx_gt_u32_e32 8, v19
; %bb.1412:                             ;   in Loop: Header=BB292_806 Depth=1
	s_delay_alu instid0(VALU_DEP_2) | instskip(NEXT) | instid1(VALU_DEP_1)
	v_clz_i32_u32_e32 v1, v1
	v_min_u32_e32 v1, 32, v1
	s_delay_alu instid0(VALU_DEP_1) | instskip(NEXT) | instid1(VALU_DEP_1)
	v_subrev_nc_u32_e32 v18, 28, v1
	v_lshlrev_b64_e32 v[22:23], v18, v[6:7]
	s_delay_alu instid0(VALU_DEP_1)
	v_dual_sub_nc_u32 v18, 29, v1 :: v_dual_bitop2_b32 v1, 7, v22 bitop3:0x40
; %bb.1413:                             ;   in Loop: Header=BB292_806 Depth=1
	s_or_b32 exec_lo, exec_lo, s18
	s_delay_alu instid0(VALU_DEP_1) | instskip(NEXT) | instid1(VALU_DEP_2)
	v_dual_lshlrev_b32 v0, 8, v0 :: v_dual_lshlrev_b32 v1, 23, v1
	v_lshl_add_u32 v6, v18, 10, 0x2000
	s_delay_alu instid0(VALU_DEP_1) | instskip(NEXT) | instid1(VALU_DEP_1)
	v_and_or_b32 v0, 0x8000, v0, v6
	v_lshl_or_b32 v1, v0, 16, v1
.LBB292_1414:                           ;   in Loop: Header=BB292_806 Depth=1
	s_or_b32 exec_lo, exec_lo, s17
.LBB292_1415:                           ;   in Loop: Header=BB292_806 Depth=1
	s_delay_alu instid0(SALU_CYCLE_1)
	s_or_b32 exec_lo, exec_lo, s16
.LBB292_1416:                           ;   in Loop: Header=BB292_806 Depth=1
	s_delay_alu instid0(SALU_CYCLE_1) | instskip(SKIP_3) | instid1(VALU_DEP_2)
	s_or_b32 exec_lo, exec_lo, s15
	v_dual_lshrrev_b32 v0, 16, v30 :: v_dual_mov_b32 v18, 0
	v_mov_b32_e32 v19, 0
	s_mov_b32 s15, exec_lo
	v_and_b32_e32 v6, 0xff, v0
	s_delay_alu instid0(VALU_DEP_1)
	v_cmpx_ne_u16_e32 0, v6
	s_cbranch_execz .LBB292_1424
; %bb.1417:                             ;   in Loop: Header=BB292_806 Depth=1
	v_mov_b32_e32 v19, 0x8000
	s_mov_b32 s16, exec_lo
	v_cmpx_ne_u16_e32 0x80, v6
	s_cbranch_execz .LBB292_1423
; %bb.1418:                             ;   in Loop: Header=BB292_806 Depth=1
	v_bfe_u32 v22, v30, 16, 7
	v_mov_b32_e32 v19, 0x7c01
	s_mov_b32 s17, exec_lo
	s_delay_alu instid0(VALU_DEP_2)
	v_cmpx_ne_u32_e32 0x7f, v22
	s_cbranch_execz .LBB292_1422
; %bb.1419:                             ;   in Loop: Header=BB292_806 Depth=1
	v_dual_lshrrev_b32 v19, 3, v22 :: v_dual_bitop2_b32 v6, 7, v0 bitop3:0x40
	s_mov_b32 s18, exec_lo
	v_cmpx_gt_u32_e32 8, v22
; %bb.1420:                             ;   in Loop: Header=BB292_806 Depth=1
	s_delay_alu instid0(VALU_DEP_2) | instskip(NEXT) | instid1(VALU_DEP_1)
	v_clz_i32_u32_e32 v6, v6
	v_min_u32_e32 v6, 32, v6
	s_delay_alu instid0(VALU_DEP_1) | instskip(NEXT) | instid1(VALU_DEP_1)
	v_subrev_nc_u32_e32 v19, 28, v6
	v_lshlrev_b64_e32 v[22:23], v19, v[0:1]
	v_sub_nc_u32_e32 v19, 29, v6
	s_delay_alu instid0(VALU_DEP_2)
	v_and_b32_e32 v6, 7, v22
; %bb.1421:                             ;   in Loop: Header=BB292_806 Depth=1
	s_or_b32 exec_lo, exec_lo, s18
	s_delay_alu instid0(VALU_DEP_1) | instskip(NEXT) | instid1(VALU_DEP_3)
	v_dual_lshlrev_b32 v0, 8, v0 :: v_dual_lshlrev_b32 v6, 7, v6
	v_lshl_add_u32 v19, v19, 10, 0x2000
	s_delay_alu instid0(VALU_DEP_2) | instskip(NEXT) | instid1(VALU_DEP_2)
	v_and_b32_e32 v0, 0x8000, v0
	v_and_b32_e32 v19, 0xfc00, v19
	s_delay_alu instid0(VALU_DEP_1)
	v_or3_b32 v19, v0, v19, v6
.LBB292_1422:                           ;   in Loop: Header=BB292_806 Depth=1
	s_or_b32 exec_lo, exec_lo, s17
.LBB292_1423:                           ;   in Loop: Header=BB292_806 Depth=1
	s_delay_alu instid0(SALU_CYCLE_1)
	s_or_b32 exec_lo, exec_lo, s16
.LBB292_1424:                           ;   in Loop: Header=BB292_806 Depth=1
	s_delay_alu instid0(SALU_CYCLE_1) | instskip(NEXT) | instid1(SALU_CYCLE_1)
	s_or_b32 exec_lo, exec_lo, s15
	s_mov_b32 s15, exec_lo
	v_cmpx_lt_u32_e32 0xffffff, v30
	s_cbranch_execz .LBB292_1432
; %bb.1425:                             ;   in Loop: Header=BB292_806 Depth=1
	v_lshrrev_b32_e32 v6, 24, v30
	v_bfrev_b32_e32 v18, 1
	s_mov_b32 s16, exec_lo
	s_delay_alu instid0(VALU_DEP_2)
	v_cmpx_ne_u32_e32 0x80, v6
	s_cbranch_execz .LBB292_1431
; %bb.1426:                             ;   in Loop: Header=BB292_806 Depth=1
	v_and_b32_e32 v22, 0x7f, v6
	v_mov_b32_e32 v18, 0x7c010000
	s_mov_b32 s17, exec_lo
	s_delay_alu instid0(VALU_DEP_2)
	v_cmpx_ne_u32_e32 0x7f, v22
	s_cbranch_execz .LBB292_1430
; %bb.1427:                             ;   in Loop: Header=BB292_806 Depth=1
	v_and_b32_e32 v0, 7, v6
	v_lshrrev_b32_e32 v18, 3, v22
	s_mov_b32 s18, exec_lo
	v_cmpx_gt_u32_e32 8, v22
; %bb.1428:                             ;   in Loop: Header=BB292_806 Depth=1
	s_delay_alu instid0(VALU_DEP_3) | instskip(NEXT) | instid1(VALU_DEP_1)
	v_clz_i32_u32_e32 v0, v0
	v_min_u32_e32 v0, 32, v0
	s_delay_alu instid0(VALU_DEP_1) | instskip(NEXT) | instid1(VALU_DEP_1)
	v_subrev_nc_u32_e32 v18, 28, v0
	v_lshlrev_b64_e32 v[22:23], v18, v[6:7]
	s_delay_alu instid0(VALU_DEP_1)
	v_dual_sub_nc_u32 v18, 29, v0 :: v_dual_bitop2_b32 v0, 7, v22 bitop3:0x40
; %bb.1429:                             ;   in Loop: Header=BB292_806 Depth=1
	s_or_b32 exec_lo, exec_lo, s18
	s_delay_alu instid0(VALU_DEP_1) | instskip(NEXT) | instid1(VALU_DEP_2)
	v_dual_lshlrev_b32 v6, 8, v6 :: v_dual_lshlrev_b32 v0, 23, v0
	v_lshl_add_u32 v18, v18, 10, 0x2000
	s_delay_alu instid0(VALU_DEP_1) | instskip(NEXT) | instid1(VALU_DEP_1)
	v_and_or_b32 v6, 0x8000, v6, v18
	v_lshl_or_b32 v18, v6, 16, v0
.LBB292_1430:                           ;   in Loop: Header=BB292_806 Depth=1
	s_or_b32 exec_lo, exec_lo, s17
.LBB292_1431:                           ;   in Loop: Header=BB292_806 Depth=1
	s_delay_alu instid0(SALU_CYCLE_1)
	s_or_b32 exec_lo, exec_lo, s16
.LBB292_1432:                           ;   in Loop: Header=BB292_806 Depth=1
	s_delay_alu instid0(SALU_CYCLE_1) | instskip(SKIP_4) | instid1(VALU_DEP_3)
	s_or_b32 exec_lo, exec_lo, s15
	v_and_b32_e32 v0, 0xff, v31
	v_dual_mov_b32 v6, v31 :: v_dual_mov_b32 v23, 0
	v_mov_b32_e32 v22, 0
	s_mov_b32 s15, exec_lo
	v_cmpx_ne_u16_e32 0, v0
	s_cbranch_execz .LBB292_1440
; %bb.1433:                             ;   in Loop: Header=BB292_806 Depth=1
	v_mov_b32_e32 v22, 0x8000
	s_mov_b32 s16, exec_lo
	v_cmpx_ne_u16_e32 0x80, v0
	s_cbranch_execz .LBB292_1439
; %bb.1434:                             ;   in Loop: Header=BB292_806 Depth=1
	v_and_b32_e32 v29, 0x7f, v31
	v_mov_b32_e32 v22, 0x7c01
	s_mov_b32 s17, exec_lo
	s_delay_alu instid0(VALU_DEP_2)
	v_cmpx_ne_u32_e32 0x7f, v29
	s_cbranch_execz .LBB292_1438
; %bb.1435:                             ;   in Loop: Header=BB292_806 Depth=1
	v_dual_lshrrev_b32 v22, 3, v29 :: v_dual_bitop2_b32 v0, 7, v31 bitop3:0x40
	s_mov_b32 s18, exec_lo
	v_cmpx_gt_u32_e32 8, v29
; %bb.1436:                             ;   in Loop: Header=BB292_806 Depth=1
	s_delay_alu instid0(VALU_DEP_2) | instskip(NEXT) | instid1(VALU_DEP_1)
	v_clz_i32_u32_e32 v0, v0
	v_min_u32_e32 v0, 32, v0
	s_delay_alu instid0(VALU_DEP_1) | instskip(NEXT) | instid1(VALU_DEP_1)
	v_subrev_nc_u32_e32 v22, 28, v0
	v_lshlrev_b64_e32 v[32:33], v22, v[6:7]
	v_sub_nc_u32_e32 v22, 29, v0
	s_delay_alu instid0(VALU_DEP_2)
	v_and_b32_e32 v0, 7, v32
; %bb.1437:                             ;   in Loop: Header=BB292_806 Depth=1
	s_or_b32 exec_lo, exec_lo, s18
	s_delay_alu instid0(VALU_DEP_1) | instskip(NEXT) | instid1(VALU_DEP_3)
	v_dual_lshlrev_b32 v29, 8, v31 :: v_dual_lshlrev_b32 v0, 7, v0
	v_lshl_add_u32 v22, v22, 10, 0x2000
	s_delay_alu instid0(VALU_DEP_2) | instskip(NEXT) | instid1(VALU_DEP_2)
	v_and_b32_e32 v29, 0x8000, v29
	v_and_b32_e32 v22, 0xfc00, v22
	s_delay_alu instid0(VALU_DEP_1)
	v_or3_b32 v22, v29, v22, v0
.LBB292_1438:                           ;   in Loop: Header=BB292_806 Depth=1
	s_or_b32 exec_lo, exec_lo, s17
.LBB292_1439:                           ;   in Loop: Header=BB292_806 Depth=1
	s_delay_alu instid0(SALU_CYCLE_1)
	s_or_b32 exec_lo, exec_lo, s16
.LBB292_1440:                           ;   in Loop: Header=BB292_806 Depth=1
	s_delay_alu instid0(SALU_CYCLE_1) | instskip(SKIP_3) | instid1(VALU_DEP_2)
	s_or_b32 exec_lo, exec_lo, s15
	v_lshrrev_b16 v6, 8, v6
	v_mov_b32_e32 v29, 0
	s_mov_b32 s15, exec_lo
	v_cmpx_ne_u16_e32 0, v6
	s_cbranch_execz .LBB292_1448
; %bb.1441:                             ;   in Loop: Header=BB292_806 Depth=1
	v_bfrev_b32_e32 v29, 1
	s_mov_b32 s16, exec_lo
	v_cmpx_ne_u16_e32 0x80, v6
	s_cbranch_execz .LBB292_1447
; %bb.1442:                             ;   in Loop: Header=BB292_806 Depth=1
	v_and_b32_e32 v0, 0xffff, v6
	v_mov_b32_e32 v29, 0x7c010000
	s_mov_b32 s17, exec_lo
	s_delay_alu instid0(VALU_DEP_2) | instskip(NEXT) | instid1(VALU_DEP_1)
	v_and_b32_e32 v33, 0x7f, v0
	v_cmpx_ne_u32_e32 0x7f, v33
	s_cbranch_execz .LBB292_1446
; %bb.1443:                             ;   in Loop: Header=BB292_806 Depth=1
	v_dual_lshrrev_b32 v32, 3, v33 :: v_dual_bitop2_b32 v29, 7, v0 bitop3:0x40
	s_mov_b32 s18, exec_lo
	v_cmpx_gt_u32_e32 8, v33
; %bb.1444:                             ;   in Loop: Header=BB292_806 Depth=1
	s_delay_alu instid0(VALU_DEP_2) | instskip(NEXT) | instid1(VALU_DEP_1)
	v_clz_i32_u32_e32 v29, v29
	v_min_u32_e32 v29, 32, v29
	s_delay_alu instid0(VALU_DEP_1) | instskip(NEXT) | instid1(VALU_DEP_1)
	v_subrev_nc_u32_e32 v32, 28, v29
	v_lshlrev_b64_e32 v[34:35], v32, v[6:7]
	s_delay_alu instid0(VALU_DEP_1)
	v_dual_sub_nc_u32 v32, 29, v29 :: v_dual_bitop2_b32 v29, 7, v34 bitop3:0x40
; %bb.1445:                             ;   in Loop: Header=BB292_806 Depth=1
	s_or_b32 exec_lo, exec_lo, s18
	v_lshlrev_b32_e32 v0, 8, v0
	s_delay_alu instid0(VALU_DEP_2) | instskip(NEXT) | instid1(VALU_DEP_1)
	v_lshl_add_u32 v6, v32, 10, 0x2000
	v_and_or_b32 v0, 0x8000, v0, v6
	v_lshlrev_b32_e32 v6, 23, v29
	s_delay_alu instid0(VALU_DEP_1)
	v_lshl_or_b32 v29, v0, 16, v6
.LBB292_1446:                           ;   in Loop: Header=BB292_806 Depth=1
	s_or_b32 exec_lo, exec_lo, s17
.LBB292_1447:                           ;   in Loop: Header=BB292_806 Depth=1
	s_delay_alu instid0(SALU_CYCLE_1)
	s_or_b32 exec_lo, exec_lo, s16
.LBB292_1448:                           ;   in Loop: Header=BB292_806 Depth=1
	s_delay_alu instid0(SALU_CYCLE_1) | instskip(SKIP_2) | instid1(VALU_DEP_1)
	s_or_b32 exec_lo, exec_lo, s15
	v_lshrrev_b32_e32 v0, 16, v31
	s_mov_b32 s15, exec_lo
	v_and_b32_e32 v6, 0xff, v0
	s_delay_alu instid0(VALU_DEP_1)
	v_cmpx_ne_u16_e32 0, v6
	s_cbranch_execz .LBB292_1456
; %bb.1449:                             ;   in Loop: Header=BB292_806 Depth=1
	v_mov_b32_e32 v23, 0x8000
	s_mov_b32 s16, exec_lo
	v_cmpx_ne_u16_e32 0x80, v6
	s_cbranch_execz .LBB292_1455
; %bb.1450:                             ;   in Loop: Header=BB292_806 Depth=1
	v_bfe_u32 v32, v31, 16, 7
	v_mov_b32_e32 v23, 0x7c01
	s_mov_b32 s17, exec_lo
	s_delay_alu instid0(VALU_DEP_2)
	v_cmpx_ne_u32_e32 0x7f, v32
	s_cbranch_execz .LBB292_1454
; %bb.1451:                             ;   in Loop: Header=BB292_806 Depth=1
	v_and_b32_e32 v6, 7, v0
	v_lshrrev_b32_e32 v23, 3, v32
	s_mov_b32 s18, exec_lo
	v_cmpx_gt_u32_e32 8, v32
; %bb.1452:                             ;   in Loop: Header=BB292_806 Depth=1
	s_delay_alu instid0(VALU_DEP_3) | instskip(NEXT) | instid1(VALU_DEP_1)
	v_clz_i32_u32_e32 v6, v6
	v_min_u32_e32 v6, 32, v6
	s_delay_alu instid0(VALU_DEP_1) | instskip(NEXT) | instid1(VALU_DEP_1)
	v_subrev_nc_u32_e32 v23, 28, v6
	v_lshlrev_b64_e32 v[32:33], v23, v[0:1]
	s_delay_alu instid0(VALU_DEP_1)
	v_dual_sub_nc_u32 v23, 29, v6 :: v_dual_bitop2_b32 v6, 7, v32 bitop3:0x40
; %bb.1453:                             ;   in Loop: Header=BB292_806 Depth=1
	s_or_b32 exec_lo, exec_lo, s18
	s_delay_alu instid0(VALU_DEP_1) | instskip(NEXT) | instid1(VALU_DEP_2)
	v_dual_lshlrev_b32 v0, 8, v0 :: v_dual_lshlrev_b32 v6, 7, v6
	v_lshl_add_u32 v23, v23, 10, 0x2000
	s_delay_alu instid0(VALU_DEP_2) | instskip(NEXT) | instid1(VALU_DEP_2)
	v_and_b32_e32 v0, 0x8000, v0
	v_and_b32_e32 v23, 0xfc00, v23
	s_delay_alu instid0(VALU_DEP_1)
	v_or3_b32 v23, v0, v23, v6
.LBB292_1454:                           ;   in Loop: Header=BB292_806 Depth=1
	s_or_b32 exec_lo, exec_lo, s17
.LBB292_1455:                           ;   in Loop: Header=BB292_806 Depth=1
	s_delay_alu instid0(SALU_CYCLE_1)
	s_or_b32 exec_lo, exec_lo, s16
.LBB292_1456:                           ;   in Loop: Header=BB292_806 Depth=1
	s_delay_alu instid0(SALU_CYCLE_1)
	s_or_b32 exec_lo, exec_lo, s15
	v_mov_b32_e32 v0, 0
	s_mov_b32 s15, exec_lo
	v_cmpx_lt_u64_e64 s[2:3], v[30:31]
	s_cbranch_execz .LBB292_1464
; %bb.1457:                             ;   in Loop: Header=BB292_806 Depth=1
	v_lshrrev_b32_e32 v6, 24, v31
	v_bfrev_b32_e32 v0, 1
	s_mov_b32 s16, exec_lo
	s_delay_alu instid0(VALU_DEP_2)
	v_cmpx_ne_u32_e32 0x80, v6
	s_cbranch_execz .LBB292_1463
; %bb.1458:                             ;   in Loop: Header=BB292_806 Depth=1
	v_and_b32_e32 v31, 0x7f, v6
	v_mov_b32_e32 v0, 0x7c010000
	s_mov_b32 s17, exec_lo
	s_delay_alu instid0(VALU_DEP_2)
	v_cmpx_ne_u32_e32 0x7f, v31
	s_cbranch_execz .LBB292_1462
; %bb.1459:                             ;   in Loop: Header=BB292_806 Depth=1
	v_dual_lshrrev_b32 v30, 3, v31 :: v_dual_bitop2_b32 v0, 7, v6 bitop3:0x40
	s_mov_b32 s18, exec_lo
	v_cmpx_gt_u32_e32 8, v31
; %bb.1460:                             ;   in Loop: Header=BB292_806 Depth=1
	s_delay_alu instid0(VALU_DEP_2) | instskip(NEXT) | instid1(VALU_DEP_1)
	v_clz_i32_u32_e32 v0, v0
	v_min_u32_e32 v0, 32, v0
	s_delay_alu instid0(VALU_DEP_1) | instskip(NEXT) | instid1(VALU_DEP_1)
	v_subrev_nc_u32_e32 v30, 28, v0
	v_lshlrev_b64_e32 v[32:33], v30, v[6:7]
	v_sub_nc_u32_e32 v30, 29, v0
	s_delay_alu instid0(VALU_DEP_2)
	v_and_b32_e32 v0, 7, v32
; %bb.1461:                             ;   in Loop: Header=BB292_806 Depth=1
	s_or_b32 exec_lo, exec_lo, s18
	s_delay_alu instid0(VALU_DEP_1) | instskip(NEXT) | instid1(VALU_DEP_3)
	v_dual_lshlrev_b32 v6, 8, v6 :: v_dual_lshlrev_b32 v0, 23, v0
	v_lshl_add_u32 v30, v30, 10, 0x2000
	s_delay_alu instid0(VALU_DEP_1) | instskip(NEXT) | instid1(VALU_DEP_1)
	v_and_or_b32 v6, 0x8000, v6, v30
	v_lshl_or_b32 v0, v6, 16, v0
.LBB292_1462:                           ;   in Loop: Header=BB292_806 Depth=1
	s_or_b32 exec_lo, exec_lo, s17
.LBB292_1463:                           ;   in Loop: Header=BB292_806 Depth=1
	s_delay_alu instid0(SALU_CYCLE_1)
	s_or_b32 exec_lo, exec_lo, s16
.LBB292_1464:                           ;   in Loop: Header=BB292_806 Depth=1
	s_delay_alu instid0(SALU_CYCLE_1) | instskip(SKIP_3) | instid1(VALU_DEP_3)
	s_or_b32 exec_lo, exec_lo, s15
	v_dual_lshrrev_b32 v6, 16, v1 :: v_dual_lshrrev_b32 v30, 16, v18
	v_or_b32_e32 v1, v1, v16
	v_or_b32_e32 v16, v18, v19
	v_cvt_f32_f16_e32 v19, v6
	s_delay_alu instid0(VALU_DEP_4)
	v_cvt_f32_f16_e32 v18, v30
	v_dual_lshrrev_b32 v23, 16, v29 :: v_dual_bitop2_b32 v6, v0, v23 bitop3:0x54
	v_lshrrev_b32_e32 v30, 16, v0
	v_cvt_f32_f16_e32 v0, v16
	v_cvt_f32_f16_e32 v1, v1
	v_or_b32_e32 v16, v29, v22
	s_wait_loadcnt_dscnt 0x0
	v_pk_mul_f32 v[18:19], v[28:29], v[18:19] op_sel_hi:[0,1]
	v_cvt_f32_f16_e32 v23, v23
	v_cvt_f32_f16_e32 v22, v30
	v_pk_mul_f32 v[0:1], v[28:29], v[0:1] op_sel_hi:[0,1]
	v_cvt_f32_f16_e32 v31, v16
	s_delay_alu instid0(VALU_DEP_2) | instskip(NEXT) | instid1(VALU_DEP_1)
	v_cvt_pk_f16_f32 v0, v0, v1
	v_lshrrev_b32_e32 v35, 16, v0
	v_cvt_f32_f16_e32 v30, v6
	v_cvt_pk_f16_f32 v6, v18, v19
	v_pk_mul_f32 v[18:19], v[28:29], v[22:23] op_sel_hi:[0,1]
	v_and_b32_e32 v34, 0xffff, v0
	s_delay_alu instid0(VALU_DEP_4) | instskip(NEXT) | instid1(VALU_DEP_4)
	v_pk_mul_f32 v[22:23], v[28:29], v[30:31] op_sel_hi:[0,1]
	v_and_b32_e32 v29, 0xffff0000, v6
	s_delay_alu instid0(VALU_DEP_4) | instskip(SKIP_1) | instid1(VALU_DEP_4)
	v_cvt_pk_f16_f32 v16, v18, v19
	v_lshlrev_b32_e32 v28, 16, v6
	v_cvt_pk_f16_f32 v6, v22, v23
	s_delay_alu instid0(VALU_DEP_4) | instskip(NEXT) | instid1(VALU_DEP_4)
	v_or_b32_e32 v33, v29, v35
	v_and_b32_e32 v1, 0xffff0000, v16
	s_delay_alu instid0(VALU_DEP_4) | instskip(NEXT) | instid1(VALU_DEP_4)
	v_dual_lshlrev_b32 v0, 16, v16 :: v_dual_bitop2_b32 v32, v28, v34 bitop3:0x54
	v_lshrrev_b32_e32 v19, 16, v6
	v_and_b32_e32 v6, 0xffff, v6
	s_delay_alu instid0(VALU_DEP_2) | instskip(NEXT) | instid1(VALU_DEP_2)
	v_or_b32_e32 v31, v1, v19
	v_or_b32_e32 v30, v0, v6
	s_and_saveexec_b32 s15, vcc_lo
	s_cbranch_execz .LBB292_1466
; %bb.1465:                             ;   in Loop: Header=BB292_806 Depth=1
	v_cmp_lt_i32_e64 s0, v49, v13
	s_delay_alu instid0(VALU_DEP_1) | instskip(SKIP_1) | instid1(VALU_DEP_1)
	v_cndmask_b32_e64 v16, 0, v35, s0
	v_cmp_lt_i32_e64 s0, v66, v116
	v_cndmask_b32_e64 v18, 0, v34, s0
	v_cmp_lt_i32_e64 s0, v65, v13
	s_delay_alu instid0(VALU_DEP_1) | instskip(SKIP_1) | instid1(VALU_DEP_1)
	v_cndmask_b32_e64 v22, 0, v29, s0
	v_cmp_lt_i32_e64 s0, v64, v116
	v_cndmask_b32_e64 v23, 0, v28, s0
	v_cmp_lt_i32_e64 s0, v55, v13
	s_delay_alu instid0(VALU_DEP_4) | instskip(NEXT) | instid1(VALU_DEP_3)
	v_or_b32_e32 v33, v16, v22
	v_or_b32_e32 v32, v18, v23
	s_delay_alu instid0(VALU_DEP_3) | instskip(SKIP_1) | instid1(VALU_DEP_1)
	v_cndmask_b32_e64 v19, 0, v19, s0
	v_cmp_lt_i32_e64 s0, v54, v116
	v_cndmask_b32_e64 v6, 0, v6, s0
	v_cmp_lt_i32_e64 s0, v53, v13
	s_delay_alu instid0(VALU_DEP_1) | instskip(SKIP_1) | instid1(VALU_DEP_1)
	v_cndmask_b32_e64 v1, 0, v1, s0
	v_cmp_lt_i32_e64 s0, v52, v116
	v_dual_cndmask_b32 v0, 0, v0, s0 :: v_dual_bitop2_b32 v31, v19, v1 bitop3:0x54
	s_delay_alu instid0(VALU_DEP_1)
	v_or_b32_e32 v30, v6, v0
.LBB292_1466:                           ;   in Loop: Header=BB292_806 Depth=1
	s_or_b32 exec_lo, exec_lo, s15
	;;#ASMSTART
	v_pk_mul_f16 v0, v70, v33;

	;;#ASMEND
	;;#ASMSTART
	v_pk_mul_f16 v1, v69, v32;

	;;#ASMEND
	;; [unrolled: 4-line block ×4, first 2 shown]
	;;#ASMSTART
	v_pk_add_f16 v0, v0, v1;

	;;#ASMEND
	;;#ASMSTART
	v_pk_add_f16 v0, v0, v6;

	;;#ASMEND
	;; [unrolled: 4-line block ×3, first 2 shown]
	v_and_b32_e32 v1, 0xffff, v0
	v_lshrrev_b32_e32 v0, 16, v0
	;;#ASMSTART
	v_cvt_f32_f16 v113, v1;
	;;#ASMEND
	;;#ASMSTART
	v_cvt_f32_f16 v114, v0;
	;;#ASMEND
	flat_load_b64 v[30:31], v[14:15] offset:2560
	scratch_load_b64 v[0:1], off, s32 offset:192 ; 8-byte Folded Reload
	v_mov_b32_e32 v16, 0
	s_mov_b32 s15, exec_lo
	s_wait_loadcnt 0x0
	flat_load_b32 v28, v[0:1]
	s_wait_dscnt 0x1
	s_wait_xcnt 0x0
	v_and_b32_e32 v0, 0xff, v30
	v_mov_b32_e32 v1, 0
	s_delay_alu instid0(VALU_DEP_2)
	v_cmpx_ne_u16_e32 0, v0
	s_cbranch_execz .LBB292_1474
; %bb.1467:                             ;   in Loop: Header=BB292_806 Depth=1
	v_mov_b32_e32 v16, 0x8000
	s_mov_b32 s16, exec_lo
	v_cmpx_ne_u16_e32 0x80, v0
	s_cbranch_execz .LBB292_1473
; %bb.1468:                             ;   in Loop: Header=BB292_806 Depth=1
	v_and_b32_e32 v18, 0x7f, v30
	v_mov_b32_e32 v16, 0x7c01
	s_mov_b32 s17, exec_lo
	s_delay_alu instid0(VALU_DEP_2)
	v_cmpx_ne_u32_e32 0x7f, v18
	s_cbranch_execz .LBB292_1472
; %bb.1469:                             ;   in Loop: Header=BB292_806 Depth=1
	v_and_b32_e32 v0, 7, v30
	v_lshrrev_b32_e32 v6, 3, v18
	s_mov_b32 s18, exec_lo
	v_cmpx_gt_u32_e32 8, v18
; %bb.1470:                             ;   in Loop: Header=BB292_806 Depth=1
	s_delay_alu instid0(VALU_DEP_3) | instskip(NEXT) | instid1(VALU_DEP_1)
	v_clz_i32_u32_e32 v0, v0
	v_min_u32_e32 v0, 32, v0
	s_delay_alu instid0(VALU_DEP_1) | instskip(NEXT) | instid1(VALU_DEP_1)
	v_subrev_nc_u32_e32 v6, 28, v0
	v_lshlrev_b64_e32 v[18:19], v6, v[30:31]
	s_delay_alu instid0(VALU_DEP_1)
	v_dual_sub_nc_u32 v6, 29, v0 :: v_dual_bitop2_b32 v0, 7, v18 bitop3:0x40
; %bb.1471:                             ;   in Loop: Header=BB292_806 Depth=1
	s_or_b32 exec_lo, exec_lo, s18
	s_delay_alu instid0(VALU_DEP_1) | instskip(NEXT) | instid1(VALU_DEP_2)
	v_dual_lshlrev_b32 v16, 8, v30 :: v_dual_lshlrev_b32 v0, 7, v0
	v_lshl_add_u32 v6, v6, 10, 0x2000
	s_delay_alu instid0(VALU_DEP_2) | instskip(NEXT) | instid1(VALU_DEP_2)
	v_and_b32_e32 v16, 0x8000, v16
	v_and_b32_e32 v6, 0xfc00, v6
	s_delay_alu instid0(VALU_DEP_1)
	v_or3_b32 v16, v16, v6, v0
.LBB292_1472:                           ;   in Loop: Header=BB292_806 Depth=1
	s_or_b32 exec_lo, exec_lo, s17
.LBB292_1473:                           ;   in Loop: Header=BB292_806 Depth=1
	s_delay_alu instid0(SALU_CYCLE_1)
	s_or_b32 exec_lo, exec_lo, s16
.LBB292_1474:                           ;   in Loop: Header=BB292_806 Depth=1
	s_delay_alu instid0(SALU_CYCLE_1) | instskip(SKIP_2) | instid1(VALU_DEP_1)
	s_or_b32 exec_lo, exec_lo, s15
	v_lshrrev_b16 v6, 8, v30
	s_mov_b32 s15, exec_lo
	v_cmpx_ne_u16_e32 0, v6
	s_cbranch_execz .LBB292_1482
; %bb.1475:                             ;   in Loop: Header=BB292_806 Depth=1
	v_bfrev_b32_e32 v1, 1
	s_mov_b32 s16, exec_lo
	v_cmpx_ne_u16_e32 0x80, v6
	s_cbranch_execz .LBB292_1481
; %bb.1476:                             ;   in Loop: Header=BB292_806 Depth=1
	v_and_b32_e32 v0, 0xffff, v6
	v_mov_b32_e32 v1, 0x7c010000
	s_mov_b32 s17, exec_lo
	s_delay_alu instid0(VALU_DEP_2) | instskip(NEXT) | instid1(VALU_DEP_1)
	v_and_b32_e32 v19, 0x7f, v0
	v_cmpx_ne_u32_e32 0x7f, v19
	s_cbranch_execz .LBB292_1480
; %bb.1477:                             ;   in Loop: Header=BB292_806 Depth=1
	v_dual_lshrrev_b32 v18, 3, v19 :: v_dual_bitop2_b32 v1, 7, v0 bitop3:0x40
	s_mov_b32 s18, exec_lo
	v_cmpx_gt_u32_e32 8, v19
; %bb.1478:                             ;   in Loop: Header=BB292_806 Depth=1
	s_delay_alu instid0(VALU_DEP_2) | instskip(NEXT) | instid1(VALU_DEP_1)
	v_clz_i32_u32_e32 v1, v1
	v_min_u32_e32 v1, 32, v1
	s_delay_alu instid0(VALU_DEP_1) | instskip(NEXT) | instid1(VALU_DEP_1)
	v_subrev_nc_u32_e32 v18, 28, v1
	v_lshlrev_b64_e32 v[22:23], v18, v[6:7]
	s_delay_alu instid0(VALU_DEP_1)
	v_dual_sub_nc_u32 v18, 29, v1 :: v_dual_bitop2_b32 v1, 7, v22 bitop3:0x40
; %bb.1479:                             ;   in Loop: Header=BB292_806 Depth=1
	s_or_b32 exec_lo, exec_lo, s18
	s_delay_alu instid0(VALU_DEP_1) | instskip(NEXT) | instid1(VALU_DEP_2)
	v_dual_lshlrev_b32 v0, 8, v0 :: v_dual_lshlrev_b32 v1, 23, v1
	v_lshl_add_u32 v6, v18, 10, 0x2000
	s_delay_alu instid0(VALU_DEP_1) | instskip(NEXT) | instid1(VALU_DEP_1)
	v_and_or_b32 v0, 0x8000, v0, v6
	v_lshl_or_b32 v1, v0, 16, v1
.LBB292_1480:                           ;   in Loop: Header=BB292_806 Depth=1
	s_or_b32 exec_lo, exec_lo, s17
.LBB292_1481:                           ;   in Loop: Header=BB292_806 Depth=1
	s_delay_alu instid0(SALU_CYCLE_1)
	s_or_b32 exec_lo, exec_lo, s16
.LBB292_1482:                           ;   in Loop: Header=BB292_806 Depth=1
	s_delay_alu instid0(SALU_CYCLE_1) | instskip(SKIP_3) | instid1(VALU_DEP_2)
	s_or_b32 exec_lo, exec_lo, s15
	v_dual_lshrrev_b32 v0, 16, v30 :: v_dual_mov_b32 v18, 0
	v_mov_b32_e32 v19, 0
	s_mov_b32 s15, exec_lo
	v_and_b32_e32 v6, 0xff, v0
	s_delay_alu instid0(VALU_DEP_1)
	v_cmpx_ne_u16_e32 0, v6
	s_cbranch_execz .LBB292_1490
; %bb.1483:                             ;   in Loop: Header=BB292_806 Depth=1
	v_mov_b32_e32 v19, 0x8000
	s_mov_b32 s16, exec_lo
	v_cmpx_ne_u16_e32 0x80, v6
	s_cbranch_execz .LBB292_1489
; %bb.1484:                             ;   in Loop: Header=BB292_806 Depth=1
	v_bfe_u32 v22, v30, 16, 7
	v_mov_b32_e32 v19, 0x7c01
	s_mov_b32 s17, exec_lo
	s_delay_alu instid0(VALU_DEP_2)
	v_cmpx_ne_u32_e32 0x7f, v22
	s_cbranch_execz .LBB292_1488
; %bb.1485:                             ;   in Loop: Header=BB292_806 Depth=1
	v_dual_lshrrev_b32 v19, 3, v22 :: v_dual_bitop2_b32 v6, 7, v0 bitop3:0x40
	s_mov_b32 s18, exec_lo
	v_cmpx_gt_u32_e32 8, v22
; %bb.1486:                             ;   in Loop: Header=BB292_806 Depth=1
	s_delay_alu instid0(VALU_DEP_2) | instskip(NEXT) | instid1(VALU_DEP_1)
	v_clz_i32_u32_e32 v6, v6
	v_min_u32_e32 v6, 32, v6
	s_delay_alu instid0(VALU_DEP_1) | instskip(NEXT) | instid1(VALU_DEP_1)
	v_subrev_nc_u32_e32 v19, 28, v6
	v_lshlrev_b64_e32 v[22:23], v19, v[0:1]
	v_sub_nc_u32_e32 v19, 29, v6
	s_delay_alu instid0(VALU_DEP_2)
	v_and_b32_e32 v6, 7, v22
; %bb.1487:                             ;   in Loop: Header=BB292_806 Depth=1
	s_or_b32 exec_lo, exec_lo, s18
	s_delay_alu instid0(VALU_DEP_1) | instskip(NEXT) | instid1(VALU_DEP_3)
	v_dual_lshlrev_b32 v0, 8, v0 :: v_dual_lshlrev_b32 v6, 7, v6
	v_lshl_add_u32 v19, v19, 10, 0x2000
	s_delay_alu instid0(VALU_DEP_2) | instskip(NEXT) | instid1(VALU_DEP_2)
	v_and_b32_e32 v0, 0x8000, v0
	v_and_b32_e32 v19, 0xfc00, v19
	s_delay_alu instid0(VALU_DEP_1)
	v_or3_b32 v19, v0, v19, v6
.LBB292_1488:                           ;   in Loop: Header=BB292_806 Depth=1
	s_or_b32 exec_lo, exec_lo, s17
.LBB292_1489:                           ;   in Loop: Header=BB292_806 Depth=1
	s_delay_alu instid0(SALU_CYCLE_1)
	s_or_b32 exec_lo, exec_lo, s16
.LBB292_1490:                           ;   in Loop: Header=BB292_806 Depth=1
	s_delay_alu instid0(SALU_CYCLE_1) | instskip(NEXT) | instid1(SALU_CYCLE_1)
	s_or_b32 exec_lo, exec_lo, s15
	s_mov_b32 s15, exec_lo
	v_cmpx_lt_u32_e32 0xffffff, v30
	s_cbranch_execz .LBB292_1498
; %bb.1491:                             ;   in Loop: Header=BB292_806 Depth=1
	v_lshrrev_b32_e32 v6, 24, v30
	v_bfrev_b32_e32 v18, 1
	s_mov_b32 s16, exec_lo
	s_delay_alu instid0(VALU_DEP_2)
	v_cmpx_ne_u32_e32 0x80, v6
	s_cbranch_execz .LBB292_1497
; %bb.1492:                             ;   in Loop: Header=BB292_806 Depth=1
	v_and_b32_e32 v22, 0x7f, v6
	v_mov_b32_e32 v18, 0x7c010000
	s_mov_b32 s17, exec_lo
	s_delay_alu instid0(VALU_DEP_2)
	v_cmpx_ne_u32_e32 0x7f, v22
	s_cbranch_execz .LBB292_1496
; %bb.1493:                             ;   in Loop: Header=BB292_806 Depth=1
	v_and_b32_e32 v0, 7, v6
	v_lshrrev_b32_e32 v18, 3, v22
	s_mov_b32 s18, exec_lo
	v_cmpx_gt_u32_e32 8, v22
; %bb.1494:                             ;   in Loop: Header=BB292_806 Depth=1
	s_delay_alu instid0(VALU_DEP_3) | instskip(NEXT) | instid1(VALU_DEP_1)
	v_clz_i32_u32_e32 v0, v0
	v_min_u32_e32 v0, 32, v0
	s_delay_alu instid0(VALU_DEP_1) | instskip(NEXT) | instid1(VALU_DEP_1)
	v_subrev_nc_u32_e32 v18, 28, v0
	v_lshlrev_b64_e32 v[22:23], v18, v[6:7]
	s_delay_alu instid0(VALU_DEP_1)
	v_dual_sub_nc_u32 v18, 29, v0 :: v_dual_bitop2_b32 v0, 7, v22 bitop3:0x40
; %bb.1495:                             ;   in Loop: Header=BB292_806 Depth=1
	s_or_b32 exec_lo, exec_lo, s18
	s_delay_alu instid0(VALU_DEP_1) | instskip(NEXT) | instid1(VALU_DEP_2)
	v_dual_lshlrev_b32 v6, 8, v6 :: v_dual_lshlrev_b32 v0, 23, v0
	v_lshl_add_u32 v18, v18, 10, 0x2000
	s_delay_alu instid0(VALU_DEP_1) | instskip(NEXT) | instid1(VALU_DEP_1)
	v_and_or_b32 v6, 0x8000, v6, v18
	v_lshl_or_b32 v18, v6, 16, v0
.LBB292_1496:                           ;   in Loop: Header=BB292_806 Depth=1
	s_or_b32 exec_lo, exec_lo, s17
.LBB292_1497:                           ;   in Loop: Header=BB292_806 Depth=1
	s_delay_alu instid0(SALU_CYCLE_1)
	s_or_b32 exec_lo, exec_lo, s16
.LBB292_1498:                           ;   in Loop: Header=BB292_806 Depth=1
	s_delay_alu instid0(SALU_CYCLE_1) | instskip(SKIP_4) | instid1(VALU_DEP_3)
	s_or_b32 exec_lo, exec_lo, s15
	v_and_b32_e32 v0, 0xff, v31
	v_dual_mov_b32 v6, v31 :: v_dual_mov_b32 v23, 0
	v_mov_b32_e32 v22, 0
	s_mov_b32 s15, exec_lo
	v_cmpx_ne_u16_e32 0, v0
	s_cbranch_execz .LBB292_1506
; %bb.1499:                             ;   in Loop: Header=BB292_806 Depth=1
	v_mov_b32_e32 v22, 0x8000
	s_mov_b32 s16, exec_lo
	v_cmpx_ne_u16_e32 0x80, v0
	s_cbranch_execz .LBB292_1505
; %bb.1500:                             ;   in Loop: Header=BB292_806 Depth=1
	v_and_b32_e32 v29, 0x7f, v31
	v_mov_b32_e32 v22, 0x7c01
	s_mov_b32 s17, exec_lo
	s_delay_alu instid0(VALU_DEP_2)
	v_cmpx_ne_u32_e32 0x7f, v29
	s_cbranch_execz .LBB292_1504
; %bb.1501:                             ;   in Loop: Header=BB292_806 Depth=1
	v_dual_lshrrev_b32 v22, 3, v29 :: v_dual_bitop2_b32 v0, 7, v31 bitop3:0x40
	s_mov_b32 s18, exec_lo
	v_cmpx_gt_u32_e32 8, v29
; %bb.1502:                             ;   in Loop: Header=BB292_806 Depth=1
	s_delay_alu instid0(VALU_DEP_2) | instskip(NEXT) | instid1(VALU_DEP_1)
	v_clz_i32_u32_e32 v0, v0
	v_min_u32_e32 v0, 32, v0
	s_delay_alu instid0(VALU_DEP_1) | instskip(NEXT) | instid1(VALU_DEP_1)
	v_subrev_nc_u32_e32 v22, 28, v0
	v_lshlrev_b64_e32 v[32:33], v22, v[6:7]
	v_sub_nc_u32_e32 v22, 29, v0
	s_delay_alu instid0(VALU_DEP_2)
	v_and_b32_e32 v0, 7, v32
; %bb.1503:                             ;   in Loop: Header=BB292_806 Depth=1
	s_or_b32 exec_lo, exec_lo, s18
	s_delay_alu instid0(VALU_DEP_1) | instskip(NEXT) | instid1(VALU_DEP_3)
	v_dual_lshlrev_b32 v29, 8, v31 :: v_dual_lshlrev_b32 v0, 7, v0
	v_lshl_add_u32 v22, v22, 10, 0x2000
	s_delay_alu instid0(VALU_DEP_2) | instskip(NEXT) | instid1(VALU_DEP_2)
	v_and_b32_e32 v29, 0x8000, v29
	v_and_b32_e32 v22, 0xfc00, v22
	s_delay_alu instid0(VALU_DEP_1)
	v_or3_b32 v22, v29, v22, v0
.LBB292_1504:                           ;   in Loop: Header=BB292_806 Depth=1
	s_or_b32 exec_lo, exec_lo, s17
.LBB292_1505:                           ;   in Loop: Header=BB292_806 Depth=1
	s_delay_alu instid0(SALU_CYCLE_1)
	s_or_b32 exec_lo, exec_lo, s16
.LBB292_1506:                           ;   in Loop: Header=BB292_806 Depth=1
	s_delay_alu instid0(SALU_CYCLE_1) | instskip(SKIP_3) | instid1(VALU_DEP_2)
	s_or_b32 exec_lo, exec_lo, s15
	v_lshrrev_b16 v6, 8, v6
	v_mov_b32_e32 v29, 0
	s_mov_b32 s15, exec_lo
	v_cmpx_ne_u16_e32 0, v6
	s_cbranch_execz .LBB292_1514
; %bb.1507:                             ;   in Loop: Header=BB292_806 Depth=1
	v_bfrev_b32_e32 v29, 1
	s_mov_b32 s16, exec_lo
	v_cmpx_ne_u16_e32 0x80, v6
	s_cbranch_execz .LBB292_1513
; %bb.1508:                             ;   in Loop: Header=BB292_806 Depth=1
	v_and_b32_e32 v0, 0xffff, v6
	v_mov_b32_e32 v29, 0x7c010000
	s_mov_b32 s17, exec_lo
	s_delay_alu instid0(VALU_DEP_2) | instskip(NEXT) | instid1(VALU_DEP_1)
	v_and_b32_e32 v33, 0x7f, v0
	v_cmpx_ne_u32_e32 0x7f, v33
	s_cbranch_execz .LBB292_1512
; %bb.1509:                             ;   in Loop: Header=BB292_806 Depth=1
	v_dual_lshrrev_b32 v32, 3, v33 :: v_dual_bitop2_b32 v29, 7, v0 bitop3:0x40
	s_mov_b32 s18, exec_lo
	v_cmpx_gt_u32_e32 8, v33
; %bb.1510:                             ;   in Loop: Header=BB292_806 Depth=1
	s_delay_alu instid0(VALU_DEP_2) | instskip(NEXT) | instid1(VALU_DEP_1)
	v_clz_i32_u32_e32 v29, v29
	v_min_u32_e32 v29, 32, v29
	s_delay_alu instid0(VALU_DEP_1) | instskip(NEXT) | instid1(VALU_DEP_1)
	v_subrev_nc_u32_e32 v32, 28, v29
	v_lshlrev_b64_e32 v[34:35], v32, v[6:7]
	s_delay_alu instid0(VALU_DEP_1)
	v_dual_sub_nc_u32 v32, 29, v29 :: v_dual_bitop2_b32 v29, 7, v34 bitop3:0x40
; %bb.1511:                             ;   in Loop: Header=BB292_806 Depth=1
	s_or_b32 exec_lo, exec_lo, s18
	v_lshlrev_b32_e32 v0, 8, v0
	s_delay_alu instid0(VALU_DEP_2) | instskip(NEXT) | instid1(VALU_DEP_1)
	v_lshl_add_u32 v6, v32, 10, 0x2000
	v_and_or_b32 v0, 0x8000, v0, v6
	v_lshlrev_b32_e32 v6, 23, v29
	s_delay_alu instid0(VALU_DEP_1)
	v_lshl_or_b32 v29, v0, 16, v6
.LBB292_1512:                           ;   in Loop: Header=BB292_806 Depth=1
	s_or_b32 exec_lo, exec_lo, s17
.LBB292_1513:                           ;   in Loop: Header=BB292_806 Depth=1
	s_delay_alu instid0(SALU_CYCLE_1)
	s_or_b32 exec_lo, exec_lo, s16
.LBB292_1514:                           ;   in Loop: Header=BB292_806 Depth=1
	s_delay_alu instid0(SALU_CYCLE_1) | instskip(SKIP_2) | instid1(VALU_DEP_1)
	s_or_b32 exec_lo, exec_lo, s15
	v_lshrrev_b32_e32 v0, 16, v31
	s_mov_b32 s15, exec_lo
	v_and_b32_e32 v6, 0xff, v0
	s_delay_alu instid0(VALU_DEP_1)
	v_cmpx_ne_u16_e32 0, v6
	s_cbranch_execz .LBB292_1522
; %bb.1515:                             ;   in Loop: Header=BB292_806 Depth=1
	v_mov_b32_e32 v23, 0x8000
	s_mov_b32 s16, exec_lo
	v_cmpx_ne_u16_e32 0x80, v6
	s_cbranch_execz .LBB292_1521
; %bb.1516:                             ;   in Loop: Header=BB292_806 Depth=1
	v_bfe_u32 v32, v31, 16, 7
	v_mov_b32_e32 v23, 0x7c01
	s_mov_b32 s17, exec_lo
	s_delay_alu instid0(VALU_DEP_2)
	v_cmpx_ne_u32_e32 0x7f, v32
	s_cbranch_execz .LBB292_1520
; %bb.1517:                             ;   in Loop: Header=BB292_806 Depth=1
	v_and_b32_e32 v6, 7, v0
	v_lshrrev_b32_e32 v23, 3, v32
	s_mov_b32 s18, exec_lo
	v_cmpx_gt_u32_e32 8, v32
; %bb.1518:                             ;   in Loop: Header=BB292_806 Depth=1
	s_delay_alu instid0(VALU_DEP_3) | instskip(NEXT) | instid1(VALU_DEP_1)
	v_clz_i32_u32_e32 v6, v6
	v_min_u32_e32 v6, 32, v6
	s_delay_alu instid0(VALU_DEP_1) | instskip(NEXT) | instid1(VALU_DEP_1)
	v_subrev_nc_u32_e32 v23, 28, v6
	v_lshlrev_b64_e32 v[32:33], v23, v[0:1]
	s_delay_alu instid0(VALU_DEP_1)
	v_dual_sub_nc_u32 v23, 29, v6 :: v_dual_bitop2_b32 v6, 7, v32 bitop3:0x40
; %bb.1519:                             ;   in Loop: Header=BB292_806 Depth=1
	s_or_b32 exec_lo, exec_lo, s18
	s_delay_alu instid0(VALU_DEP_1) | instskip(NEXT) | instid1(VALU_DEP_2)
	v_dual_lshlrev_b32 v0, 8, v0 :: v_dual_lshlrev_b32 v6, 7, v6
	v_lshl_add_u32 v23, v23, 10, 0x2000
	s_delay_alu instid0(VALU_DEP_2) | instskip(NEXT) | instid1(VALU_DEP_2)
	v_and_b32_e32 v0, 0x8000, v0
	v_and_b32_e32 v23, 0xfc00, v23
	s_delay_alu instid0(VALU_DEP_1)
	v_or3_b32 v23, v0, v23, v6
.LBB292_1520:                           ;   in Loop: Header=BB292_806 Depth=1
	s_or_b32 exec_lo, exec_lo, s17
.LBB292_1521:                           ;   in Loop: Header=BB292_806 Depth=1
	s_delay_alu instid0(SALU_CYCLE_1)
	s_or_b32 exec_lo, exec_lo, s16
.LBB292_1522:                           ;   in Loop: Header=BB292_806 Depth=1
	s_delay_alu instid0(SALU_CYCLE_1)
	s_or_b32 exec_lo, exec_lo, s15
	v_mov_b32_e32 v0, 0
	s_mov_b32 s15, exec_lo
	v_cmpx_lt_u64_e64 s[2:3], v[30:31]
	s_cbranch_execz .LBB292_1530
; %bb.1523:                             ;   in Loop: Header=BB292_806 Depth=1
	v_lshrrev_b32_e32 v6, 24, v31
	v_bfrev_b32_e32 v0, 1
	s_mov_b32 s16, exec_lo
	s_delay_alu instid0(VALU_DEP_2)
	v_cmpx_ne_u32_e32 0x80, v6
	s_cbranch_execz .LBB292_1529
; %bb.1524:                             ;   in Loop: Header=BB292_806 Depth=1
	v_and_b32_e32 v31, 0x7f, v6
	v_mov_b32_e32 v0, 0x7c010000
	s_mov_b32 s17, exec_lo
	s_delay_alu instid0(VALU_DEP_2)
	v_cmpx_ne_u32_e32 0x7f, v31
	s_cbranch_execz .LBB292_1528
; %bb.1525:                             ;   in Loop: Header=BB292_806 Depth=1
	v_dual_lshrrev_b32 v30, 3, v31 :: v_dual_bitop2_b32 v0, 7, v6 bitop3:0x40
	s_mov_b32 s18, exec_lo
	v_cmpx_gt_u32_e32 8, v31
; %bb.1526:                             ;   in Loop: Header=BB292_806 Depth=1
	s_delay_alu instid0(VALU_DEP_2) | instskip(NEXT) | instid1(VALU_DEP_1)
	v_clz_i32_u32_e32 v0, v0
	v_min_u32_e32 v0, 32, v0
	s_delay_alu instid0(VALU_DEP_1) | instskip(NEXT) | instid1(VALU_DEP_1)
	v_subrev_nc_u32_e32 v30, 28, v0
	v_lshlrev_b64_e32 v[32:33], v30, v[6:7]
	v_sub_nc_u32_e32 v30, 29, v0
	s_delay_alu instid0(VALU_DEP_2)
	v_and_b32_e32 v0, 7, v32
; %bb.1527:                             ;   in Loop: Header=BB292_806 Depth=1
	s_or_b32 exec_lo, exec_lo, s18
	s_delay_alu instid0(VALU_DEP_1) | instskip(NEXT) | instid1(VALU_DEP_3)
	v_dual_lshlrev_b32 v6, 8, v6 :: v_dual_lshlrev_b32 v0, 23, v0
	v_lshl_add_u32 v30, v30, 10, 0x2000
	s_delay_alu instid0(VALU_DEP_1) | instskip(NEXT) | instid1(VALU_DEP_1)
	v_and_or_b32 v6, 0x8000, v6, v30
	v_lshl_or_b32 v0, v6, 16, v0
.LBB292_1528:                           ;   in Loop: Header=BB292_806 Depth=1
	s_or_b32 exec_lo, exec_lo, s17
.LBB292_1529:                           ;   in Loop: Header=BB292_806 Depth=1
	s_delay_alu instid0(SALU_CYCLE_1)
	s_or_b32 exec_lo, exec_lo, s16
.LBB292_1530:                           ;   in Loop: Header=BB292_806 Depth=1
	s_delay_alu instid0(SALU_CYCLE_1) | instskip(SKIP_3) | instid1(VALU_DEP_3)
	s_or_b32 exec_lo, exec_lo, s15
	v_dual_lshrrev_b32 v6, 16, v1 :: v_dual_lshrrev_b32 v30, 16, v18
	v_or_b32_e32 v1, v1, v16
	v_or_b32_e32 v16, v18, v19
	v_cvt_f32_f16_e32 v19, v6
	s_delay_alu instid0(VALU_DEP_4)
	v_cvt_f32_f16_e32 v18, v30
	v_dual_lshrrev_b32 v23, 16, v29 :: v_dual_bitop2_b32 v6, v0, v23 bitop3:0x54
	v_lshrrev_b32_e32 v30, 16, v0
	v_cvt_f32_f16_e32 v0, v16
	v_cvt_f32_f16_e32 v1, v1
	v_or_b32_e32 v16, v29, v22
	s_wait_loadcnt_dscnt 0x0
	v_pk_mul_f32 v[18:19], v[28:29], v[18:19] op_sel_hi:[0,1]
	v_cvt_f32_f16_e32 v23, v23
	v_cvt_f32_f16_e32 v22, v30
	v_pk_mul_f32 v[0:1], v[28:29], v[0:1] op_sel_hi:[0,1]
	v_cvt_f32_f16_e32 v31, v16
	s_delay_alu instid0(VALU_DEP_2) | instskip(NEXT) | instid1(VALU_DEP_1)
	v_cvt_pk_f16_f32 v0, v0, v1
	v_lshrrev_b32_e32 v35, 16, v0
	v_cvt_f32_f16_e32 v30, v6
	v_cvt_pk_f16_f32 v6, v18, v19
	v_pk_mul_f32 v[18:19], v[28:29], v[22:23] op_sel_hi:[0,1]
	v_and_b32_e32 v34, 0xffff, v0
	s_delay_alu instid0(VALU_DEP_4) | instskip(NEXT) | instid1(VALU_DEP_4)
	v_pk_mul_f32 v[22:23], v[28:29], v[30:31] op_sel_hi:[0,1]
	v_and_b32_e32 v29, 0xffff0000, v6
	s_delay_alu instid0(VALU_DEP_4) | instskip(SKIP_1) | instid1(VALU_DEP_4)
	v_cvt_pk_f16_f32 v16, v18, v19
	v_lshlrev_b32_e32 v28, 16, v6
	v_cvt_pk_f16_f32 v6, v22, v23
	s_delay_alu instid0(VALU_DEP_4) | instskip(NEXT) | instid1(VALU_DEP_4)
	v_or_b32_e32 v33, v29, v35
	v_and_b32_e32 v1, 0xffff0000, v16
	s_delay_alu instid0(VALU_DEP_4) | instskip(NEXT) | instid1(VALU_DEP_4)
	v_dual_lshlrev_b32 v0, 16, v16 :: v_dual_bitop2_b32 v32, v28, v34 bitop3:0x54
	v_lshrrev_b32_e32 v19, 16, v6
	v_and_b32_e32 v6, 0xffff, v6
	s_delay_alu instid0(VALU_DEP_2) | instskip(NEXT) | instid1(VALU_DEP_2)
	v_or_b32_e32 v31, v1, v19
	v_or_b32_e32 v30, v0, v6
	s_and_saveexec_b32 s15, vcc_lo
	s_cbranch_execz .LBB292_1532
; %bb.1531:                             ;   in Loop: Header=BB292_806 Depth=1
	v_cmp_lt_i32_e64 s0, v49, v13
	s_delay_alu instid0(VALU_DEP_1) | instskip(SKIP_1) | instid1(VALU_DEP_1)
	v_cndmask_b32_e64 v16, 0, v35, s0
	v_cmp_lt_i32_e64 s0, v66, v116
	v_cndmask_b32_e64 v18, 0, v34, s0
	v_cmp_lt_i32_e64 s0, v65, v13
	s_delay_alu instid0(VALU_DEP_1) | instskip(SKIP_1) | instid1(VALU_DEP_1)
	v_cndmask_b32_e64 v22, 0, v29, s0
	v_cmp_lt_i32_e64 s0, v64, v116
	v_cndmask_b32_e64 v23, 0, v28, s0
	v_cmp_lt_i32_e64 s0, v55, v13
	s_delay_alu instid0(VALU_DEP_4) | instskip(NEXT) | instid1(VALU_DEP_3)
	v_or_b32_e32 v33, v16, v22
	v_or_b32_e32 v32, v18, v23
	s_delay_alu instid0(VALU_DEP_3) | instskip(SKIP_1) | instid1(VALU_DEP_1)
	v_cndmask_b32_e64 v19, 0, v19, s0
	v_cmp_lt_i32_e64 s0, v54, v116
	v_cndmask_b32_e64 v6, 0, v6, s0
	v_cmp_lt_i32_e64 s0, v53, v13
	s_delay_alu instid0(VALU_DEP_1) | instskip(SKIP_1) | instid1(VALU_DEP_1)
	v_cndmask_b32_e64 v1, 0, v1, s0
	v_cmp_lt_i32_e64 s0, v52, v116
	v_dual_cndmask_b32 v0, 0, v0, s0 :: v_dual_bitop2_b32 v31, v19, v1 bitop3:0x54
	s_delay_alu instid0(VALU_DEP_1)
	v_or_b32_e32 v30, v6, v0
.LBB292_1532:                           ;   in Loop: Header=BB292_806 Depth=1
	s_or_b32 exec_lo, exec_lo, s15
	;;#ASMSTART
	v_pk_mul_f16 v0, v70, v33;

	;;#ASMEND
	;;#ASMSTART
	v_pk_mul_f16 v1, v69, v32;

	;;#ASMEND
	;;#ASMSTART
	v_pk_mul_f16 v6, v68, v31;

	;;#ASMEND
	;;#ASMSTART
	v_pk_mul_f16 v16, v67, v30;

	;;#ASMEND
	;;#ASMSTART
	v_pk_add_f16 v0, v0, v1;

	;;#ASMEND
	;;#ASMSTART
	v_pk_add_f16 v0, v0, v6;

	;;#ASMEND
	;;#ASMSTART
	v_pk_add_f16 v0, v0, v16;

	;;#ASMEND
	v_and_b32_e32 v1, 0xffff, v0
	v_lshrrev_b32_e32 v0, 16, v0
	;;#ASMSTART
	v_cvt_f32_f16 v34, v1;
	;;#ASMEND
	;;#ASMSTART
	v_cvt_f32_f16 v35, v0;
	;;#ASMEND
	flat_load_b64 v[28:29], v[14:15] offset:2816
	scratch_load_b64 v[0:1], off, s32 offset:192 ; 8-byte Folded Reload
	s_wait_xcnt 0x1
	v_mov_b32_e32 v15, 0
	s_mov_b32 s15, exec_lo
	s_wait_loadcnt 0x0
	flat_load_b32 v14, v[0:1]
	s_wait_dscnt 0x1
	s_wait_xcnt 0x0
	v_and_b32_e32 v0, 0xff, v28
	v_mov_b32_e32 v1, 0
	s_delay_alu instid0(VALU_DEP_2)
	v_cmpx_ne_u16_e32 0, v0
	s_cbranch_execz .LBB292_1540
; %bb.1533:                             ;   in Loop: Header=BB292_806 Depth=1
	v_mov_b32_e32 v15, 0x8000
	s_mov_b32 s16, exec_lo
	v_cmpx_ne_u16_e32 0x80, v0
	s_cbranch_execz .LBB292_1539
; %bb.1534:                             ;   in Loop: Header=BB292_806 Depth=1
	v_and_b32_e32 v16, 0x7f, v28
	v_mov_b32_e32 v15, 0x7c01
	s_mov_b32 s17, exec_lo
	s_delay_alu instid0(VALU_DEP_2)
	v_cmpx_ne_u32_e32 0x7f, v16
	s_cbranch_execz .LBB292_1538
; %bb.1535:                             ;   in Loop: Header=BB292_806 Depth=1
	v_and_b32_e32 v0, 7, v28
	v_lshrrev_b32_e32 v6, 3, v16
	s_mov_b32 s18, exec_lo
	v_cmpx_gt_u32_e32 8, v16
; %bb.1536:                             ;   in Loop: Header=BB292_806 Depth=1
	s_delay_alu instid0(VALU_DEP_3) | instskip(NEXT) | instid1(VALU_DEP_1)
	v_clz_i32_u32_e32 v0, v0
	v_min_u32_e32 v0, 32, v0
	s_delay_alu instid0(VALU_DEP_1) | instskip(NEXT) | instid1(VALU_DEP_1)
	v_subrev_nc_u32_e32 v6, 28, v0
	v_lshlrev_b64_e32 v[18:19], v6, v[28:29]
	s_delay_alu instid0(VALU_DEP_1)
	v_dual_sub_nc_u32 v6, 29, v0 :: v_dual_bitop2_b32 v0, 7, v18 bitop3:0x40
; %bb.1537:                             ;   in Loop: Header=BB292_806 Depth=1
	s_or_b32 exec_lo, exec_lo, s18
	v_lshlrev_b32_e32 v15, 8, v28
	s_delay_alu instid0(VALU_DEP_2) | instskip(NEXT) | instid1(VALU_DEP_3)
	v_lshl_add_u32 v6, v6, 10, 0x2000
	v_lshlrev_b32_e32 v0, 7, v0
	s_delay_alu instid0(VALU_DEP_3) | instskip(NEXT) | instid1(VALU_DEP_3)
	v_and_b32_e32 v15, 0x8000, v15
	v_and_b32_e32 v6, 0xfc00, v6
	s_delay_alu instid0(VALU_DEP_1)
	v_or3_b32 v15, v15, v6, v0
.LBB292_1538:                           ;   in Loop: Header=BB292_806 Depth=1
	s_or_b32 exec_lo, exec_lo, s17
.LBB292_1539:                           ;   in Loop: Header=BB292_806 Depth=1
	s_delay_alu instid0(SALU_CYCLE_1)
	s_or_b32 exec_lo, exec_lo, s16
.LBB292_1540:                           ;   in Loop: Header=BB292_806 Depth=1
	s_delay_alu instid0(SALU_CYCLE_1) | instskip(SKIP_2) | instid1(VALU_DEP_1)
	s_or_b32 exec_lo, exec_lo, s15
	v_lshrrev_b16 v6, 8, v28
	s_mov_b32 s15, exec_lo
	v_cmpx_ne_u16_e32 0, v6
	s_cbranch_execz .LBB292_1548
; %bb.1541:                             ;   in Loop: Header=BB292_806 Depth=1
	v_bfrev_b32_e32 v1, 1
	s_mov_b32 s16, exec_lo
	v_cmpx_ne_u16_e32 0x80, v6
	s_cbranch_execz .LBB292_1547
; %bb.1542:                             ;   in Loop: Header=BB292_806 Depth=1
	v_and_b32_e32 v0, 0xffff, v6
	v_mov_b32_e32 v1, 0x7c010000
	s_mov_b32 s17, exec_lo
	s_delay_alu instid0(VALU_DEP_2) | instskip(NEXT) | instid1(VALU_DEP_1)
	v_and_b32_e32 v18, 0x7f, v0
	v_cmpx_ne_u32_e32 0x7f, v18
	s_cbranch_execz .LBB292_1546
; %bb.1543:                             ;   in Loop: Header=BB292_806 Depth=1
	v_dual_lshrrev_b32 v16, 3, v18 :: v_dual_bitop2_b32 v1, 7, v0 bitop3:0x40
	s_mov_b32 s18, exec_lo
	v_cmpx_gt_u32_e32 8, v18
; %bb.1544:                             ;   in Loop: Header=BB292_806 Depth=1
	s_delay_alu instid0(VALU_DEP_2) | instskip(NEXT) | instid1(VALU_DEP_1)
	v_clz_i32_u32_e32 v1, v1
	v_min_u32_e32 v1, 32, v1
	s_delay_alu instid0(VALU_DEP_1) | instskip(NEXT) | instid1(VALU_DEP_1)
	v_subrev_nc_u32_e32 v16, 28, v1
	v_lshlrev_b64_e32 v[18:19], v16, v[6:7]
	s_delay_alu instid0(VALU_DEP_1)
	v_dual_sub_nc_u32 v16, 29, v1 :: v_dual_bitop2_b32 v1, 7, v18 bitop3:0x40
; %bb.1545:                             ;   in Loop: Header=BB292_806 Depth=1
	s_or_b32 exec_lo, exec_lo, s18
	s_delay_alu instid0(VALU_DEP_1) | instskip(NEXT) | instid1(VALU_DEP_2)
	v_dual_lshlrev_b32 v0, 8, v0 :: v_dual_lshlrev_b32 v1, 23, v1
	v_lshl_add_u32 v6, v16, 10, 0x2000
	s_delay_alu instid0(VALU_DEP_1) | instskip(NEXT) | instid1(VALU_DEP_1)
	v_and_or_b32 v0, 0x8000, v0, v6
	v_lshl_or_b32 v1, v0, 16, v1
.LBB292_1546:                           ;   in Loop: Header=BB292_806 Depth=1
	s_or_b32 exec_lo, exec_lo, s17
.LBB292_1547:                           ;   in Loop: Header=BB292_806 Depth=1
	s_delay_alu instid0(SALU_CYCLE_1)
	s_or_b32 exec_lo, exec_lo, s16
.LBB292_1548:                           ;   in Loop: Header=BB292_806 Depth=1
	s_delay_alu instid0(SALU_CYCLE_1) | instskip(SKIP_3) | instid1(VALU_DEP_2)
	s_or_b32 exec_lo, exec_lo, s15
	v_dual_lshrrev_b32 v0, 16, v28 :: v_dual_mov_b32 v16, 0
	v_mov_b32_e32 v18, 0
	s_mov_b32 s15, exec_lo
	v_and_b32_e32 v6, 0xff, v0
	s_delay_alu instid0(VALU_DEP_1)
	v_cmpx_ne_u16_e32 0, v6
	s_cbranch_execz .LBB292_1556
; %bb.1549:                             ;   in Loop: Header=BB292_806 Depth=1
	v_mov_b32_e32 v18, 0x8000
	s_mov_b32 s16, exec_lo
	v_cmpx_ne_u16_e32 0x80, v6
	s_cbranch_execz .LBB292_1555
; %bb.1550:                             ;   in Loop: Header=BB292_806 Depth=1
	v_bfe_u32 v19, v28, 16, 7
	v_mov_b32_e32 v18, 0x7c01
	s_mov_b32 s17, exec_lo
	s_delay_alu instid0(VALU_DEP_2)
	v_cmpx_ne_u32_e32 0x7f, v19
	s_cbranch_execz .LBB292_1554
; %bb.1551:                             ;   in Loop: Header=BB292_806 Depth=1
	v_dual_lshrrev_b32 v18, 3, v19 :: v_dual_bitop2_b32 v6, 7, v0 bitop3:0x40
	s_mov_b32 s18, exec_lo
	v_cmpx_gt_u32_e32 8, v19
; %bb.1552:                             ;   in Loop: Header=BB292_806 Depth=1
	s_delay_alu instid0(VALU_DEP_2) | instskip(NEXT) | instid1(VALU_DEP_1)
	v_clz_i32_u32_e32 v6, v6
	v_min_u32_e32 v6, 32, v6
	s_delay_alu instid0(VALU_DEP_1) | instskip(NEXT) | instid1(VALU_DEP_1)
	v_subrev_nc_u32_e32 v18, 28, v6
	v_lshlrev_b64_e32 v[22:23], v18, v[0:1]
	v_sub_nc_u32_e32 v18, 29, v6
	s_delay_alu instid0(VALU_DEP_2)
	v_and_b32_e32 v6, 7, v22
; %bb.1553:                             ;   in Loop: Header=BB292_806 Depth=1
	s_or_b32 exec_lo, exec_lo, s18
	s_delay_alu instid0(VALU_DEP_1) | instskip(NEXT) | instid1(VALU_DEP_3)
	v_dual_lshlrev_b32 v0, 8, v0 :: v_dual_lshlrev_b32 v6, 7, v6
	v_lshl_add_u32 v18, v18, 10, 0x2000
	s_delay_alu instid0(VALU_DEP_2) | instskip(NEXT) | instid1(VALU_DEP_2)
	v_and_b32_e32 v0, 0x8000, v0
	v_and_b32_e32 v18, 0xfc00, v18
	s_delay_alu instid0(VALU_DEP_1)
	v_or3_b32 v18, v0, v18, v6
.LBB292_1554:                           ;   in Loop: Header=BB292_806 Depth=1
	s_or_b32 exec_lo, exec_lo, s17
.LBB292_1555:                           ;   in Loop: Header=BB292_806 Depth=1
	s_delay_alu instid0(SALU_CYCLE_1)
	s_or_b32 exec_lo, exec_lo, s16
.LBB292_1556:                           ;   in Loop: Header=BB292_806 Depth=1
	s_delay_alu instid0(SALU_CYCLE_1) | instskip(NEXT) | instid1(SALU_CYCLE_1)
	s_or_b32 exec_lo, exec_lo, s15
	s_mov_b32 s15, exec_lo
	v_cmpx_lt_u32_e32 0xffffff, v28
	s_cbranch_execz .LBB292_1564
; %bb.1557:                             ;   in Loop: Header=BB292_806 Depth=1
	v_lshrrev_b32_e32 v6, 24, v28
	v_bfrev_b32_e32 v16, 1
	s_mov_b32 s16, exec_lo
	s_delay_alu instid0(VALU_DEP_2)
	v_cmpx_ne_u32_e32 0x80, v6
	s_cbranch_execz .LBB292_1563
; %bb.1558:                             ;   in Loop: Header=BB292_806 Depth=1
	v_and_b32_e32 v19, 0x7f, v6
	v_mov_b32_e32 v16, 0x7c010000
	s_mov_b32 s17, exec_lo
	s_delay_alu instid0(VALU_DEP_2)
	v_cmpx_ne_u32_e32 0x7f, v19
	s_cbranch_execz .LBB292_1562
; %bb.1559:                             ;   in Loop: Header=BB292_806 Depth=1
	v_dual_lshrrev_b32 v16, 3, v19 :: v_dual_bitop2_b32 v0, 7, v6 bitop3:0x40
	s_mov_b32 s18, exec_lo
	v_cmpx_gt_u32_e32 8, v19
; %bb.1560:                             ;   in Loop: Header=BB292_806 Depth=1
	s_delay_alu instid0(VALU_DEP_2) | instskip(NEXT) | instid1(VALU_DEP_1)
	v_clz_i32_u32_e32 v0, v0
	v_min_u32_e32 v0, 32, v0
	s_delay_alu instid0(VALU_DEP_1) | instskip(NEXT) | instid1(VALU_DEP_1)
	v_subrev_nc_u32_e32 v16, 28, v0
	v_lshlrev_b64_e32 v[22:23], v16, v[6:7]
	s_delay_alu instid0(VALU_DEP_1)
	v_dual_sub_nc_u32 v16, 29, v0 :: v_dual_bitop2_b32 v0, 7, v22 bitop3:0x40
; %bb.1561:                             ;   in Loop: Header=BB292_806 Depth=1
	s_or_b32 exec_lo, exec_lo, s18
	s_delay_alu instid0(VALU_DEP_1) | instskip(NEXT) | instid1(VALU_DEP_2)
	v_dual_lshlrev_b32 v6, 8, v6 :: v_dual_lshlrev_b32 v0, 23, v0
	v_lshl_add_u32 v16, v16, 10, 0x2000
	s_delay_alu instid0(VALU_DEP_1) | instskip(NEXT) | instid1(VALU_DEP_1)
	v_and_or_b32 v6, 0x8000, v6, v16
	v_lshl_or_b32 v16, v6, 16, v0
.LBB292_1562:                           ;   in Loop: Header=BB292_806 Depth=1
	s_or_b32 exec_lo, exec_lo, s17
.LBB292_1563:                           ;   in Loop: Header=BB292_806 Depth=1
	s_delay_alu instid0(SALU_CYCLE_1)
	s_or_b32 exec_lo, exec_lo, s16
.LBB292_1564:                           ;   in Loop: Header=BB292_806 Depth=1
	s_delay_alu instid0(SALU_CYCLE_1) | instskip(SKIP_4) | instid1(VALU_DEP_3)
	s_or_b32 exec_lo, exec_lo, s15
	v_and_b32_e32 v0, 0xff, v29
	v_dual_mov_b32 v6, v29 :: v_dual_mov_b32 v22, 0
	v_mov_b32_e32 v19, 0
	s_mov_b32 s15, exec_lo
	v_cmpx_ne_u16_e32 0, v0
	s_cbranch_execz .LBB292_1572
; %bb.1565:                             ;   in Loop: Header=BB292_806 Depth=1
	v_mov_b32_e32 v19, 0x8000
	s_mov_b32 s16, exec_lo
	v_cmpx_ne_u16_e32 0x80, v0
	s_cbranch_execz .LBB292_1571
; %bb.1566:                             ;   in Loop: Header=BB292_806 Depth=1
	v_and_b32_e32 v23, 0x7f, v29
	v_mov_b32_e32 v19, 0x7c01
	s_mov_b32 s17, exec_lo
	s_delay_alu instid0(VALU_DEP_2)
	v_cmpx_ne_u32_e32 0x7f, v23
	s_cbranch_execz .LBB292_1570
; %bb.1567:                             ;   in Loop: Header=BB292_806 Depth=1
	v_dual_lshrrev_b32 v19, 3, v23 :: v_dual_bitop2_b32 v0, 7, v29 bitop3:0x40
	s_mov_b32 s18, exec_lo
	v_cmpx_gt_u32_e32 8, v23
; %bb.1568:                             ;   in Loop: Header=BB292_806 Depth=1
	s_delay_alu instid0(VALU_DEP_2) | instskip(NEXT) | instid1(VALU_DEP_1)
	v_clz_i32_u32_e32 v0, v0
	v_min_u32_e32 v0, 32, v0
	s_delay_alu instid0(VALU_DEP_1) | instskip(NEXT) | instid1(VALU_DEP_1)
	v_subrev_nc_u32_e32 v19, 28, v0
	v_lshlrev_b64_e32 v[30:31], v19, v[6:7]
	s_delay_alu instid0(VALU_DEP_1)
	v_dual_sub_nc_u32 v19, 29, v0 :: v_dual_bitop2_b32 v0, 7, v30 bitop3:0x40
; %bb.1569:                             ;   in Loop: Header=BB292_806 Depth=1
	s_or_b32 exec_lo, exec_lo, s18
	s_delay_alu instid0(VALU_DEP_1) | instskip(NEXT) | instid1(VALU_DEP_2)
	v_dual_lshlrev_b32 v23, 8, v29 :: v_dual_lshlrev_b32 v0, 7, v0
	v_lshl_add_u32 v19, v19, 10, 0x2000
	s_delay_alu instid0(VALU_DEP_2) | instskip(NEXT) | instid1(VALU_DEP_2)
	v_and_b32_e32 v23, 0x8000, v23
	v_and_b32_e32 v19, 0xfc00, v19
	s_delay_alu instid0(VALU_DEP_1)
	v_or3_b32 v19, v23, v19, v0
.LBB292_1570:                           ;   in Loop: Header=BB292_806 Depth=1
	s_or_b32 exec_lo, exec_lo, s17
.LBB292_1571:                           ;   in Loop: Header=BB292_806 Depth=1
	s_delay_alu instid0(SALU_CYCLE_1)
	s_or_b32 exec_lo, exec_lo, s16
.LBB292_1572:                           ;   in Loop: Header=BB292_806 Depth=1
	s_delay_alu instid0(SALU_CYCLE_1) | instskip(SKIP_3) | instid1(VALU_DEP_2)
	s_or_b32 exec_lo, exec_lo, s15
	v_lshrrev_b16 v6, 8, v6
	v_mov_b32_e32 v23, 0
	s_mov_b32 s15, exec_lo
	v_cmpx_ne_u16_e32 0, v6
	s_cbranch_execz .LBB292_1580
; %bb.1573:                             ;   in Loop: Header=BB292_806 Depth=1
	v_bfrev_b32_e32 v23, 1
	s_mov_b32 s16, exec_lo
	v_cmpx_ne_u16_e32 0x80, v6
	s_cbranch_execz .LBB292_1579
; %bb.1574:                             ;   in Loop: Header=BB292_806 Depth=1
	v_and_b32_e32 v0, 0xffff, v6
	v_mov_b32_e32 v23, 0x7c010000
	s_mov_b32 s17, exec_lo
	s_delay_alu instid0(VALU_DEP_2) | instskip(NEXT) | instid1(VALU_DEP_1)
	v_and_b32_e32 v31, 0x7f, v0
	v_cmpx_ne_u32_e32 0x7f, v31
	s_cbranch_execz .LBB292_1578
; %bb.1575:                             ;   in Loop: Header=BB292_806 Depth=1
	v_dual_lshrrev_b32 v30, 3, v31 :: v_dual_bitop2_b32 v23, 7, v0 bitop3:0x40
	s_mov_b32 s18, exec_lo
	v_cmpx_gt_u32_e32 8, v31
; %bb.1576:                             ;   in Loop: Header=BB292_806 Depth=1
	s_delay_alu instid0(VALU_DEP_2) | instskip(NEXT) | instid1(VALU_DEP_1)
	v_clz_i32_u32_e32 v23, v23
	v_min_u32_e32 v23, 32, v23
	s_delay_alu instid0(VALU_DEP_1) | instskip(NEXT) | instid1(VALU_DEP_1)
	v_subrev_nc_u32_e32 v30, 28, v23
	v_lshlrev_b64_e32 v[32:33], v30, v[6:7]
	s_delay_alu instid0(VALU_DEP_1)
	v_dual_sub_nc_u32 v30, 29, v23 :: v_dual_bitop2_b32 v23, 7, v32 bitop3:0x40
; %bb.1577:                             ;   in Loop: Header=BB292_806 Depth=1
	s_or_b32 exec_lo, exec_lo, s18
	v_lshlrev_b32_e32 v0, 8, v0
	s_delay_alu instid0(VALU_DEP_2) | instskip(NEXT) | instid1(VALU_DEP_1)
	v_lshl_add_u32 v6, v30, 10, 0x2000
	v_and_or_b32 v0, 0x8000, v0, v6
	v_lshlrev_b32_e32 v6, 23, v23
	s_delay_alu instid0(VALU_DEP_1)
	v_lshl_or_b32 v23, v0, 16, v6
.LBB292_1578:                           ;   in Loop: Header=BB292_806 Depth=1
	s_or_b32 exec_lo, exec_lo, s17
.LBB292_1579:                           ;   in Loop: Header=BB292_806 Depth=1
	s_delay_alu instid0(SALU_CYCLE_1)
	s_or_b32 exec_lo, exec_lo, s16
.LBB292_1580:                           ;   in Loop: Header=BB292_806 Depth=1
	s_delay_alu instid0(SALU_CYCLE_1) | instskip(SKIP_2) | instid1(VALU_DEP_1)
	s_or_b32 exec_lo, exec_lo, s15
	v_lshrrev_b32_e32 v0, 16, v29
	s_mov_b32 s15, exec_lo
	v_and_b32_e32 v6, 0xff, v0
	s_delay_alu instid0(VALU_DEP_1)
	v_cmpx_ne_u16_e32 0, v6
	s_cbranch_execz .LBB292_1588
; %bb.1581:                             ;   in Loop: Header=BB292_806 Depth=1
	v_mov_b32_e32 v22, 0x8000
	s_mov_b32 s16, exec_lo
	v_cmpx_ne_u16_e32 0x80, v6
	s_cbranch_execz .LBB292_1587
; %bb.1582:                             ;   in Loop: Header=BB292_806 Depth=1
	v_bfe_u32 v30, v29, 16, 7
	v_mov_b32_e32 v22, 0x7c01
	s_mov_b32 s17, exec_lo
	s_delay_alu instid0(VALU_DEP_2)
	v_cmpx_ne_u32_e32 0x7f, v30
	s_cbranch_execz .LBB292_1586
; %bb.1583:                             ;   in Loop: Header=BB292_806 Depth=1
	v_dual_lshrrev_b32 v22, 3, v30 :: v_dual_bitop2_b32 v6, 7, v0 bitop3:0x40
	s_mov_b32 s18, exec_lo
	v_cmpx_gt_u32_e32 8, v30
; %bb.1584:                             ;   in Loop: Header=BB292_806 Depth=1
	s_delay_alu instid0(VALU_DEP_2) | instskip(NEXT) | instid1(VALU_DEP_1)
	v_clz_i32_u32_e32 v6, v6
	v_min_u32_e32 v6, 32, v6
	s_delay_alu instid0(VALU_DEP_1) | instskip(NEXT) | instid1(VALU_DEP_1)
	v_subrev_nc_u32_e32 v22, 28, v6
	v_lshlrev_b64_e32 v[30:31], v22, v[0:1]
	v_sub_nc_u32_e32 v22, 29, v6
	s_delay_alu instid0(VALU_DEP_2)
	v_and_b32_e32 v6, 7, v30
; %bb.1585:                             ;   in Loop: Header=BB292_806 Depth=1
	s_or_b32 exec_lo, exec_lo, s18
	s_delay_alu instid0(VALU_DEP_1) | instskip(NEXT) | instid1(VALU_DEP_3)
	v_dual_lshlrev_b32 v0, 8, v0 :: v_dual_lshlrev_b32 v6, 7, v6
	v_lshl_add_u32 v22, v22, 10, 0x2000
	s_delay_alu instid0(VALU_DEP_2) | instskip(NEXT) | instid1(VALU_DEP_2)
	v_and_b32_e32 v0, 0x8000, v0
	v_and_b32_e32 v22, 0xfc00, v22
	s_delay_alu instid0(VALU_DEP_1)
	v_or3_b32 v22, v0, v22, v6
.LBB292_1586:                           ;   in Loop: Header=BB292_806 Depth=1
	s_or_b32 exec_lo, exec_lo, s17
.LBB292_1587:                           ;   in Loop: Header=BB292_806 Depth=1
	s_delay_alu instid0(SALU_CYCLE_1)
	s_or_b32 exec_lo, exec_lo, s16
.LBB292_1588:                           ;   in Loop: Header=BB292_806 Depth=1
	s_delay_alu instid0(SALU_CYCLE_1)
	s_or_b32 exec_lo, exec_lo, s15
	v_mov_b32_e32 v0, 0
	s_mov_b32 s15, exec_lo
	v_cmpx_lt_u64_e64 s[2:3], v[28:29]
	s_cbranch_execz .LBB292_1596
; %bb.1589:                             ;   in Loop: Header=BB292_806 Depth=1
	v_lshrrev_b32_e32 v6, 24, v29
	v_bfrev_b32_e32 v0, 1
	s_mov_b32 s16, exec_lo
	s_delay_alu instid0(VALU_DEP_2)
	v_cmpx_ne_u32_e32 0x80, v6
	s_cbranch_execz .LBB292_1595
; %bb.1590:                             ;   in Loop: Header=BB292_806 Depth=1
	v_and_b32_e32 v29, 0x7f, v6
	v_mov_b32_e32 v0, 0x7c010000
	s_mov_b32 s17, exec_lo
	s_delay_alu instid0(VALU_DEP_2)
	v_cmpx_ne_u32_e32 0x7f, v29
	s_cbranch_execz .LBB292_1594
; %bb.1591:                             ;   in Loop: Header=BB292_806 Depth=1
	v_dual_lshrrev_b32 v28, 3, v29 :: v_dual_bitop2_b32 v0, 7, v6 bitop3:0x40
	s_mov_b32 s18, exec_lo
	v_cmpx_gt_u32_e32 8, v29
; %bb.1592:                             ;   in Loop: Header=BB292_806 Depth=1
	s_delay_alu instid0(VALU_DEP_2) | instskip(NEXT) | instid1(VALU_DEP_1)
	v_clz_i32_u32_e32 v0, v0
	v_min_u32_e32 v0, 32, v0
	s_delay_alu instid0(VALU_DEP_1) | instskip(NEXT) | instid1(VALU_DEP_1)
	v_subrev_nc_u32_e32 v28, 28, v0
	v_lshlrev_b64_e32 v[30:31], v28, v[6:7]
	s_delay_alu instid0(VALU_DEP_1)
	v_dual_sub_nc_u32 v28, 29, v0 :: v_dual_bitop2_b32 v0, 7, v30 bitop3:0x40
; %bb.1593:                             ;   in Loop: Header=BB292_806 Depth=1
	s_or_b32 exec_lo, exec_lo, s18
	s_delay_alu instid0(VALU_DEP_1) | instskip(NEXT) | instid1(VALU_DEP_2)
	v_dual_lshlrev_b32 v6, 8, v6 :: v_dual_lshlrev_b32 v0, 23, v0
	v_lshl_add_u32 v28, v28, 10, 0x2000
	s_delay_alu instid0(VALU_DEP_1) | instskip(NEXT) | instid1(VALU_DEP_1)
	v_and_or_b32 v6, 0x8000, v6, v28
	v_lshl_or_b32 v0, v6, 16, v0
.LBB292_1594:                           ;   in Loop: Header=BB292_806 Depth=1
	s_or_b32 exec_lo, exec_lo, s17
.LBB292_1595:                           ;   in Loop: Header=BB292_806 Depth=1
	s_delay_alu instid0(SALU_CYCLE_1)
	s_or_b32 exec_lo, exec_lo, s16
.LBB292_1596:                           ;   in Loop: Header=BB292_806 Depth=1
	s_delay_alu instid0(SALU_CYCLE_1) | instskip(SKIP_3) | instid1(VALU_DEP_3)
	s_or_b32 exec_lo, exec_lo, s15
	v_dual_lshrrev_b32 v6, 16, v1 :: v_dual_lshrrev_b32 v28, 16, v16
	v_or_b32_e32 v1, v1, v15
	v_dual_lshrrev_b32 v16, 16, v23 :: v_dual_bitop2_b32 v15, v16, v18 bitop3:0x54
	v_cvt_f32_f16_e32 v29, v6
	s_delay_alu instid0(VALU_DEP_4) | instskip(SKIP_1) | instid1(VALU_DEP_4)
	v_cvt_f32_f16_e32 v28, v28
	v_dual_lshrrev_b32 v18, 16, v0 :: v_dual_bitop2_b32 v6, v0, v22 bitop3:0x54
	v_cvt_f32_f16_e32 v0, v15
	v_cvt_f32_f16_e32 v1, v1
	s_wait_loadcnt_dscnt 0x0
	v_pk_mul_f32 v[28:29], v[14:15], v[28:29] op_sel_hi:[0,1]
	v_or_b32_e32 v15, v23, v19
	v_cvt_f32_f16_e32 v19, v16
	v_cvt_f32_f16_e32 v18, v18
	s_delay_alu instid0(VALU_DEP_3) | instskip(NEXT) | instid1(VALU_DEP_1)
	v_pk_mul_f32 v[0:1], v[14:15], v[0:1] op_sel_hi:[0,1]
	v_cvt_pk_f16_f32 v0, v0, v1
	s_delay_alu instid0(VALU_DEP_1) | instskip(SKIP_3) | instid1(VALU_DEP_2)
	v_lshrrev_b32_e32 v33, 16, v0
	v_cvt_f32_f16_e32 v22, v6
	v_cvt_pk_f16_f32 v6, v28, v29
	v_and_b32_e32 v32, 0xffff, v0
	v_lshlrev_b32_e32 v30, 16, v6
	v_cvt_f32_f16_e32 v23, v15
	v_pk_mul_f32 v[18:19], v[14:15], v[18:19] op_sel_hi:[0,1]
	v_and_b32_e32 v31, 0xffff0000, v6
	s_delay_alu instid0(VALU_DEP_3) | instskip(NEXT) | instid1(VALU_DEP_3)
	v_pk_mul_f32 v[14:15], v[14:15], v[22:23] op_sel_hi:[0,1]
	v_cvt_pk_f16_f32 v1, v18, v19
	s_delay_alu instid0(VALU_DEP_2) | instskip(NEXT) | instid1(VALU_DEP_2)
	v_cvt_pk_f16_f32 v6, v14, v15
	v_and_b32_e32 v19, 0xffff0000, v1
	v_lshlrev_b32_e32 v14, 16, v1
	s_delay_alu instid0(VALU_DEP_3) | instskip(SKIP_2) | instid1(VALU_DEP_3)
	v_dual_lshrrev_b32 v29, 16, v6 :: v_dual_bitop2_b32 v15, v31, v33 bitop3:0x54
	v_and_b32_e32 v28, 0xffff, v6
	v_or_b32_e32 v6, v30, v32
	v_or_b32_e32 v1, v19, v29
	s_delay_alu instid0(VALU_DEP_3)
	v_or_b32_e32 v0, v14, v28
	s_and_saveexec_b32 s0, vcc_lo
	s_cbranch_execz .LBB292_805
; %bb.1597:                             ;   in Loop: Header=BB292_806 Depth=1
	v_cmp_lt_i32_e32 vcc_lo, v49, v13
	v_cndmask_b32_e32 v0, 0, v33, vcc_lo
	v_cmp_lt_i32_e32 vcc_lo, v66, v116
	v_cndmask_b32_e32 v1, 0, v32, vcc_lo
	;; [unrolled: 2-line block ×4, first 2 shown]
	v_cmp_lt_i32_e32 vcc_lo, v55, v13
	s_delay_alu instid0(VALU_DEP_4) | instskip(NEXT) | instid1(VALU_DEP_3)
	v_or_b32_e32 v15, v0, v6
	v_dual_cndmask_b32 v18, 0, v29, vcc_lo :: v_dual_bitop2_b32 v6, v1, v16 bitop3:0x54
	v_cmp_lt_i32_e32 vcc_lo, v54, v116
	v_cndmask_b32_e32 v22, 0, v28, vcc_lo
	v_cmp_lt_i32_e32 vcc_lo, v53, v13
	v_cndmask_b32_e32 v19, 0, v19, vcc_lo
	v_cmp_lt_i32_e32 vcc_lo, v52, v116
	s_delay_alu instid0(VALU_DEP_2) | instskip(NEXT) | instid1(VALU_DEP_1)
	v_dual_cndmask_b32 v14, 0, v14, vcc_lo :: v_dual_bitop2_b32 v1, v18, v19 bitop3:0x54
	v_or_b32_e32 v0, v22, v14
	s_branch .LBB292_805
.LBB292_1598:
	s_or_b32 exec_lo, exec_lo, s14
	v_mov_b64_e32 v[14:15], s[6:7]
.LBB292_1599:
	s_or_b32 exec_lo, exec_lo, s1
	s_delay_alu instid0(VALU_DEP_1)
	v_lshl_add_u64 v[0:1], v[14:15], 2, s[8:9]
	s_wait_storecnt 0x0
	s_barrier_signal -1
	s_barrier_wait -1
	global_load_b32 v14, v[0:1], off
	s_wait_xcnt 0x0
	ds_bpermute_b32 v0, v38, v26
	ds_bpermute_b32 v1, v38, v27
	;; [unrolled: 1-line block ×12, first 2 shown]
	s_mov_b32 s0, exec_lo
	scratch_load_b32 v15, off, s32 offset:296 ; 4-byte Folded Reload
	s_wait_dscnt 0xa
	v_pk_add_f32 v[26:27], v[26:27], v[0:1]
	s_wait_dscnt 0x8
	v_pk_add_f32 v[6:7], v[24:25], v[6:7]
	;; [unrolled: 2-line block ×3, first 2 shown]
	ds_bpermute_b32 v24, v17, v26
	s_wait_dscnt 0x5
	v_pk_add_f32 v[30:31], v[8:9], v[12:13]
	ds_bpermute_b32 v25, v17, v27
	s_wait_dscnt 0x4
	v_pk_add_f32 v[18:19], v[4:5], v[18:19]
	;; [unrolled: 3-line block ×3, first 2 shown]
	ds_bpermute_b32 v29, v17, v7
	ds_bpermute_b32 v4, v17, v20
	;; [unrolled: 1-line block ×9, first 2 shown]
	scratch_load_b32 v17, off, s32 offset:304 ; 4-byte Folded Reload
	s_wait_dscnt 0xa
	v_pk_add_f32 v[10:11], v[26:27], v[24:25]
	s_wait_dscnt 0x8
	v_pk_add_f32 v[8:9], v[6:7], v[28:29]
	;; [unrolled: 2-line block ×5, first 2 shown]
	s_wait_loadcnt 0x1
	v_and_b32_e32 v15, 28, v15
	s_wait_loadcnt 0x0
	v_and_b32_e32 v16, 0x3c3, v17
	s_delay_alu instid0(VALU_DEP_1) | instskip(SKIP_1) | instid1(SALU_CYCLE_1)
	v_cmpx_ne_u32_e32 64, v16
	s_xor_b32 s0, exec_lo, s0
	s_or_saveexec_b32 s0, s0
	s_wait_dscnt 0x0
	v_pk_add_f32 v[12:13], v[0:1], v[12:13]
	scratch_load_b32 v0, off, s32 offset:296 th:TH_LOAD_LU ; 4-byte Folded Reload
	v_add_nc_u32_e32 v1, v14, v15
	scratch_load_b32 v15, off, s32 offset:300 th:TH_LOAD_LU ; 4-byte Folded Reload
	s_wait_loadcnt 0x1
	v_lshrrev_b32_e32 v0, 2, v0
	s_wait_loadcnt 0x0
	v_mul_u32_u24_e32 v15, 0x180, v15
	s_xor_b32 exec_lo, exec_lo, s0
	s_cbranch_execz .LBB292_1601
; %bb.1600:
	s_delay_alu instid0(VALU_DEP_1) | instskip(NEXT) | instid1(VALU_DEP_1)
	v_add_nc_u32_e32 v16, v1, v15
	v_add_nc_u32_e32 v17, 0xfffffd00, v16
	;; [unrolled: 1-line block ×9, first 2 shown]
	ds_store_b32 v17, v10
	ds_store_b32 v18, v11
	ds_store_b32 v19, v8
	ds_store_b32 v20, v9
	ds_store_b32 v21, v6
	ds_store_b32 v22, v7
	ds_store_b32 v23, v4
	ds_store_b32 v24, v5
	scratch_load_b32 v17, off, s32 offset:304 ; 4-byte Folded Reload
	v_add_nc_u32_e32 v25, 0xfffffe00, v16
	v_add_nc_u32_e32 v26, 0xfffffe20, v16
	;; [unrolled: 1-line block ×4, first 2 shown]
	ds_store_b32 v25, v2
	ds_store_b32 v26, v3
	ds_store_b32 v27, v12
	ds_store_b32 v16, v13
.LBB292_1601:
	s_wait_xcnt 0x0
	s_or_b32 exec_lo, exec_lo, s0
	v_lshlrev_b32_e32 v0, 2, v0
	s_mov_b32 s1, exec_lo
	v_cmp_eq_u32_e32 vcc_lo, 0, v39
	s_wait_loadcnt_dscnt 0x0
	s_barrier_signal -1
	v_add3_u32 v0, v14, v15, v0
	s_barrier_wait -1
	v_cmpx_gt_u32_e32 64, v17
	s_cbranch_execz .LBB292_1616
; %bb.1602:
	s_and_saveexec_b32 s0, vcc_lo
	s_cbranch_execnz .LBB292_1636
; %bb.1603:
	s_or_b32 exec_lo, exec_lo, s0
	s_and_saveexec_b32 s0, vcc_lo
	s_cbranch_execnz .LBB292_1637
.LBB292_1604:
	s_or_b32 exec_lo, exec_lo, s0
	s_and_saveexec_b32 s0, vcc_lo
	s_cbranch_execnz .LBB292_1638
.LBB292_1605:
	s_or_b32 exec_lo, exec_lo, s0
	s_and_saveexec_b32 s0, vcc_lo
	s_cbranch_execnz .LBB292_1639
.LBB292_1606:
	s_or_b32 exec_lo, exec_lo, s0
	s_and_saveexec_b32 s0, vcc_lo
	s_cbranch_execnz .LBB292_1640
.LBB292_1607:
	s_or_b32 exec_lo, exec_lo, s0
	s_and_saveexec_b32 s0, vcc_lo
	s_cbranch_execnz .LBB292_1641
.LBB292_1608:
	s_or_b32 exec_lo, exec_lo, s0
	s_and_saveexec_b32 s0, vcc_lo
	s_cbranch_execnz .LBB292_1642
.LBB292_1609:
	s_or_b32 exec_lo, exec_lo, s0
	s_and_saveexec_b32 s0, vcc_lo
	s_cbranch_execnz .LBB292_1643
.LBB292_1610:
	s_or_b32 exec_lo, exec_lo, s0
	s_and_saveexec_b32 s0, vcc_lo
	s_cbranch_execnz .LBB292_1644
.LBB292_1611:
	s_or_b32 exec_lo, exec_lo, s0
	s_and_saveexec_b32 s0, vcc_lo
	s_cbranch_execnz .LBB292_1645
.LBB292_1612:
	s_or_b32 exec_lo, exec_lo, s0
	s_and_saveexec_b32 s0, vcc_lo
	s_cbranch_execnz .LBB292_1646
.LBB292_1613:
	s_or_b32 exec_lo, exec_lo, s0
	s_and_saveexec_b32 s0, vcc_lo
	s_cbranch_execz .LBB292_1615
.LBB292_1614:
	ds_load_b32 v14, v0 offset:352
	s_wait_dscnt 0x0
	v_add_f32_e32 v13, v14, v13
.LBB292_1615:
	s_or_b32 exec_lo, exec_lo, s0
.LBB292_1616:
	s_delay_alu instid0(SALU_CYCLE_1) | instskip(SKIP_4) | instid1(VALU_DEP_1)
	s_or_b32 exec_lo, exec_lo, s1
	v_and_b32_e32 v14, 0x3e3, v17
	s_mov_b32 s1, exec_lo
	s_barrier_signal -1
	s_barrier_wait -1
	v_cmpx_eq_u32_e32 32, v14
	s_cbranch_execz .LBB292_1618
; %bb.1617:
	ds_store_2addr_b32 v1, v10, v11 offset1:8
	ds_store_2addr_b32 v1, v8, v9 offset0:16 offset1:24
	ds_store_2addr_b32 v1, v6, v7 offset0:32 offset1:40
	;; [unrolled: 1-line block ×5, first 2 shown]
.LBB292_1618:
	s_or_b32 exec_lo, exec_lo, s1
	s_delay_alu instid0(SALU_CYCLE_1)
	s_mov_b32 s1, exec_lo
	s_wait_dscnt 0x0
	s_barrier_signal -1
	s_barrier_wait -1
	v_cmpx_gt_u32_e32 32, v17
	s_cbranch_execz .LBB292_1633
; %bb.1619:
	s_and_saveexec_b32 s0, vcc_lo
	s_cbranch_execnz .LBB292_1647
; %bb.1620:
	s_or_b32 exec_lo, exec_lo, s0
	s_and_saveexec_b32 s0, vcc_lo
	s_cbranch_execnz .LBB292_1648
.LBB292_1621:
	s_or_b32 exec_lo, exec_lo, s0
	s_and_saveexec_b32 s0, vcc_lo
	s_cbranch_execnz .LBB292_1649
.LBB292_1622:
	s_or_b32 exec_lo, exec_lo, s0
	s_and_saveexec_b32 s0, vcc_lo
	s_cbranch_execnz .LBB292_1650
.LBB292_1623:
	s_or_b32 exec_lo, exec_lo, s0
	s_and_saveexec_b32 s0, vcc_lo
	s_cbranch_execnz .LBB292_1651
.LBB292_1624:
	s_or_b32 exec_lo, exec_lo, s0
	s_and_saveexec_b32 s0, vcc_lo
	s_cbranch_execnz .LBB292_1652
.LBB292_1625:
	s_or_b32 exec_lo, exec_lo, s0
	s_and_saveexec_b32 s0, vcc_lo
	s_cbranch_execnz .LBB292_1653
.LBB292_1626:
	s_or_b32 exec_lo, exec_lo, s0
	s_and_saveexec_b32 s0, vcc_lo
	s_cbranch_execnz .LBB292_1654
.LBB292_1627:
	s_or_b32 exec_lo, exec_lo, s0
	s_and_saveexec_b32 s0, vcc_lo
	s_cbranch_execnz .LBB292_1655
.LBB292_1628:
	s_or_b32 exec_lo, exec_lo, s0
	s_and_saveexec_b32 s0, vcc_lo
	s_cbranch_execnz .LBB292_1656
.LBB292_1629:
	s_or_b32 exec_lo, exec_lo, s0
	s_and_saveexec_b32 s0, vcc_lo
	s_cbranch_execnz .LBB292_1657
.LBB292_1630:
	s_or_b32 exec_lo, exec_lo, s0
	s_and_saveexec_b32 s0, vcc_lo
	s_cbranch_execz .LBB292_1632
.LBB292_1631:
	ds_load_b32 v0, v0 offset:352
	s_wait_dscnt 0x0
	v_add_f32_e32 v13, v0, v13
.LBB292_1632:
	s_or_b32 exec_lo, exec_lo, s0
.LBB292_1633:
	s_delay_alu instid0(SALU_CYCLE_1)
	s_or_b32 exec_lo, exec_lo, s1
	s_mov_b32 s1, 0
	s_mov_b32 s2, exec_lo
	s_barrier_signal -1
	s_barrier_wait -1
	v_cmpx_eq_u32_e32 0, v14
	s_cbranch_execz .LBB292_1635
; %bb.1634:
	scratch_load_b64 v[0:1], off, s32 offset:336 th:TH_LOAD_LU ; 8-byte Folded Reload
	s_and_b32 s0, 0xffff, s13
	v_dual_mov_b32 v15, 0 :: v_dual_lshrrev_b32 v14, 1, v17
	s_cmp_lg_u32 s0, 0
	;;#ASMSTART
	v_cvt_f16_f32 v10, v10;

	;;#ASMEND
	s_cselect_b32 s0, -1, 0
	s_delay_alu instid0(SALU_CYCLE_1)
	s_cmp_lg_u32 s0, 0
	s_wait_kmcnt 0x0
	s_add_co_ci_u32 s0, s5, 0
	s_bfe_u32 s8, ttmp6, 0x40014
	s_mul_i32 s5, s0, s11
	s_lshr_b32 s3, ttmp7, 16
	s_mul_i32 s5, s5, s12
	s_add_co_i32 s8, s8, 1
	s_mul_i32 s6, s5, 0x60
	s_bfe_u32 s9, ttmp6, 0x40008
	s_ashr_i32 s7, s6, 31
	s_mul_i32 s4, s4, s0
	s_mul_i32 s0, s3, s8
	s_ashr_i32 s5, s4, 31
	s_add_co_i32 s9, s9, s0
	s_cmp_eq_u32 s10, 0
	s_cselect_b32 s0, s3, s9
	s_delay_alu instid0(SALU_CYCLE_1) | instskip(SKIP_2) | instid1(VALU_DEP_1)
	s_mulk_i32 s0, 0xc0
	s_wait_loadcnt 0x0
	v_lshl_add_u64 v[0:1], s[6:7], 1, v[0:1]
	v_lshl_add_u64 v[0:1], s[4:5], 1, v[0:1]
	s_delay_alu instid0(VALU_DEP_1) | instskip(NEXT) | instid1(VALU_DEP_1)
	v_add_nc_u64_e32 v[0:1], s[0:1], v[0:1]
	v_add_nc_u64_e32 v[0:1], v[0:1], v[14:15]
	flat_store_b16 v[0:1], v10
	s_wait_xcnt 0x0
	;;#ASMSTART
	v_cvt_f16_f32 v10, v11;

	;;#ASMEND
	flat_store_b16 v[0:1], v10 offset:16
	;;#ASMSTART
	v_cvt_f16_f32 v8, v8;

	;;#ASMEND
	flat_store_b16 v[0:1], v8 offset:32
	s_wait_xcnt 0x0
	;;#ASMSTART
	v_cvt_f16_f32 v8, v9;

	;;#ASMEND
	flat_store_b16 v[0:1], v8 offset:48
	;;#ASMSTART
	v_cvt_f16_f32 v6, v6;

	;;#ASMEND
	flat_store_b16 v[0:1], v6 offset:64
	;; [unrolled: 11-line block ×4, first 2 shown]
	s_wait_xcnt 0x0
	;;#ASMSTART
	v_cvt_f16_f32 v2, v3;

	;;#ASMEND
	flat_store_b16 v[0:1], v2 offset:144
	s_wait_xcnt 0x0
	;;#ASMSTART
	v_cvt_f16_f32 v2, v12;

	;;#ASMEND
	flat_store_b16 v[0:1], v2 offset:160
	;; [unrolled: 6-line block ×3, first 2 shown]
.LBB292_1635:
	s_wait_xcnt 0x0
	s_or_b32 exec_lo, exec_lo, s2
	s_clause 0x2f
	scratch_load_b32 v127, off, s32
	scratch_load_b32 v126, off, s32 offset:4
	scratch_load_b32 v125, off, s32 offset:8
	;; [unrolled: 1-line block ×47, first 2 shown]
	s_wait_loadcnt_dscnt 0x0
	s_wait_kmcnt 0x0
	s_set_pc_i64 s[30:31]
.LBB292_1636:
	ds_load_b32 v14, v0
	s_wait_dscnt 0x0
	v_add_f32_e32 v10, v14, v10
	s_or_b32 exec_lo, exec_lo, s0
	s_and_saveexec_b32 s0, vcc_lo
	s_cbranch_execz .LBB292_1604
.LBB292_1637:
	ds_load_b32 v14, v0 offset:32
	s_wait_dscnt 0x0
	v_add_f32_e32 v11, v14, v11
	s_or_b32 exec_lo, exec_lo, s0
	s_and_saveexec_b32 s0, vcc_lo
	s_cbranch_execz .LBB292_1605
.LBB292_1638:
	ds_load_b32 v14, v0 offset:64
	s_wait_dscnt 0x0
	v_add_f32_e32 v8, v14, v8
	s_or_b32 exec_lo, exec_lo, s0
	s_and_saveexec_b32 s0, vcc_lo
	s_cbranch_execz .LBB292_1606
.LBB292_1639:
	ds_load_b32 v14, v0 offset:96
	s_wait_dscnt 0x0
	v_add_f32_e32 v9, v14, v9
	s_or_b32 exec_lo, exec_lo, s0
	s_and_saveexec_b32 s0, vcc_lo
	s_cbranch_execz .LBB292_1607
.LBB292_1640:
	ds_load_b32 v14, v0 offset:128
	s_wait_dscnt 0x0
	v_add_f32_e32 v6, v14, v6
	s_or_b32 exec_lo, exec_lo, s0
	s_and_saveexec_b32 s0, vcc_lo
	s_cbranch_execz .LBB292_1608
.LBB292_1641:
	ds_load_b32 v14, v0 offset:160
	s_wait_dscnt 0x0
	v_add_f32_e32 v7, v14, v7
	s_or_b32 exec_lo, exec_lo, s0
	s_and_saveexec_b32 s0, vcc_lo
	s_cbranch_execz .LBB292_1609
.LBB292_1642:
	ds_load_b32 v14, v0 offset:192
	s_wait_dscnt 0x0
	v_add_f32_e32 v4, v14, v4
	s_or_b32 exec_lo, exec_lo, s0
	s_and_saveexec_b32 s0, vcc_lo
	s_cbranch_execz .LBB292_1610
.LBB292_1643:
	ds_load_b32 v14, v0 offset:224
	s_wait_dscnt 0x0
	v_add_f32_e32 v5, v14, v5
	s_or_b32 exec_lo, exec_lo, s0
	s_and_saveexec_b32 s0, vcc_lo
	s_cbranch_execz .LBB292_1611
.LBB292_1644:
	ds_load_b32 v14, v0 offset:256
	s_wait_dscnt 0x0
	v_add_f32_e32 v2, v14, v2
	s_or_b32 exec_lo, exec_lo, s0
	s_and_saveexec_b32 s0, vcc_lo
	s_cbranch_execz .LBB292_1612
.LBB292_1645:
	ds_load_b32 v14, v0 offset:288
	s_wait_dscnt 0x0
	v_add_f32_e32 v3, v14, v3
	s_or_b32 exec_lo, exec_lo, s0
	s_and_saveexec_b32 s0, vcc_lo
	s_cbranch_execz .LBB292_1613
.LBB292_1646:
	ds_load_b32 v14, v0 offset:320
	s_wait_dscnt 0x0
	v_add_f32_e32 v12, v14, v12
	s_or_b32 exec_lo, exec_lo, s0
	s_and_saveexec_b32 s0, vcc_lo
	s_cbranch_execnz .LBB292_1614
	s_branch .LBB292_1615
.LBB292_1647:
	ds_load_b32 v1, v0
	s_wait_dscnt 0x0
	v_add_f32_e32 v10, v1, v10
	s_or_b32 exec_lo, exec_lo, s0
	s_and_saveexec_b32 s0, vcc_lo
	s_cbranch_execz .LBB292_1621
.LBB292_1648:
	ds_load_b32 v1, v0 offset:32
	s_wait_dscnt 0x0
	v_add_f32_e32 v11, v1, v11
	s_or_b32 exec_lo, exec_lo, s0
	s_and_saveexec_b32 s0, vcc_lo
	s_cbranch_execz .LBB292_1622
.LBB292_1649:
	ds_load_b32 v1, v0 offset:64
	s_wait_dscnt 0x0
	v_add_f32_e32 v8, v1, v8
	s_or_b32 exec_lo, exec_lo, s0
	s_and_saveexec_b32 s0, vcc_lo
	s_cbranch_execz .LBB292_1623
.LBB292_1650:
	ds_load_b32 v1, v0 offset:96
	s_wait_dscnt 0x0
	v_add_f32_e32 v9, v1, v9
	s_or_b32 exec_lo, exec_lo, s0
	s_and_saveexec_b32 s0, vcc_lo
	s_cbranch_execz .LBB292_1624
.LBB292_1651:
	ds_load_b32 v1, v0 offset:128
	s_wait_dscnt 0x0
	v_add_f32_e32 v6, v1, v6
	s_or_b32 exec_lo, exec_lo, s0
	s_and_saveexec_b32 s0, vcc_lo
	s_cbranch_execz .LBB292_1625
.LBB292_1652:
	ds_load_b32 v1, v0 offset:160
	s_wait_dscnt 0x0
	v_add_f32_e32 v7, v1, v7
	s_or_b32 exec_lo, exec_lo, s0
	s_and_saveexec_b32 s0, vcc_lo
	s_cbranch_execz .LBB292_1626
.LBB292_1653:
	ds_load_b32 v1, v0 offset:192
	s_wait_dscnt 0x0
	v_add_f32_e32 v4, v1, v4
	s_or_b32 exec_lo, exec_lo, s0
	s_and_saveexec_b32 s0, vcc_lo
	s_cbranch_execz .LBB292_1627
.LBB292_1654:
	ds_load_b32 v1, v0 offset:224
	s_wait_dscnt 0x0
	v_add_f32_e32 v5, v1, v5
	s_or_b32 exec_lo, exec_lo, s0
	s_and_saveexec_b32 s0, vcc_lo
	s_cbranch_execz .LBB292_1628
.LBB292_1655:
	ds_load_b32 v1, v0 offset:256
	s_wait_dscnt 0x0
	v_add_f32_e32 v2, v1, v2
	s_or_b32 exec_lo, exec_lo, s0
	s_and_saveexec_b32 s0, vcc_lo
	s_cbranch_execz .LBB292_1629
.LBB292_1656:
	ds_load_b32 v1, v0 offset:288
	s_wait_dscnt 0x0
	v_add_f32_e32 v3, v1, v3
	s_or_b32 exec_lo, exec_lo, s0
	s_and_saveexec_b32 s0, vcc_lo
	s_cbranch_execz .LBB292_1630
.LBB292_1657:
	ds_load_b32 v1, v0 offset:320
	s_wait_dscnt 0x0
	v_add_f32_e32 v12, v1, v12
	s_or_b32 exec_lo, exec_lo, s0
	s_and_saveexec_b32 s0, vcc_lo
	s_cbranch_execnz .LBB292_1631
	s_branch .LBB292_1632
.Lfunc_end292:
	.size	_ZN4vllm22paged_attention_kernelIthLi96ELi32ELi128ELNS_18Fp8KVCacheDataTypeE1ELb0ELi0EEEvPfS2_PT_PKS3_PKT0_S9_ifPKiSB_iPKfiiiSD_SD_iiiii, .Lfunc_end292-_ZN4vllm22paged_attention_kernelIthLi96ELi32ELi128ELNS_18Fp8KVCacheDataTypeE1ELb0ELi0EEEvPfS2_PT_PKS3_PKT0_S9_ifPKiSB_iPKfiiiSD_SD_iiiii
                                        ; -- End function
	.set .L_ZN4vllm22paged_attention_kernelIthLi96ELi32ELi128ELNS_18Fp8KVCacheDataTypeE1ELb0ELi0EEEvPfS2_PT_PKS3_PKT0_S9_ifPKiSB_iPKfiiiSD_SD_iiiii.num_vgpr, 128
	.set .L_ZN4vllm22paged_attention_kernelIthLi96ELi32ELi128ELNS_18Fp8KVCacheDataTypeE1ELb0ELi0EEEvPfS2_PT_PKS3_PKT0_S9_ifPKiSB_iPKfiiiSD_SD_iiiii.num_agpr, 0
	.set .L_ZN4vllm22paged_attention_kernelIthLi96ELi32ELi128ELNS_18Fp8KVCacheDataTypeE1ELb0ELi0EEEvPfS2_PT_PKS3_PKT0_S9_ifPKiSB_iPKfiiiSD_SD_iiiii.numbered_sgpr, 33
	.set .L_ZN4vllm22paged_attention_kernelIthLi96ELi32ELi128ELNS_18Fp8KVCacheDataTypeE1ELb0ELi0EEEvPfS2_PT_PKS3_PKT0_S9_ifPKiSB_iPKfiiiSD_SD_iiiii.num_named_barrier, 0
	.set .L_ZN4vllm22paged_attention_kernelIthLi96ELi32ELi128ELNS_18Fp8KVCacheDataTypeE1ELb0ELi0EEEvPfS2_PT_PKS3_PKT0_S9_ifPKiSB_iPKfiiiSD_SD_iiiii.private_seg_size, 360
	.set .L_ZN4vllm22paged_attention_kernelIthLi96ELi32ELi128ELNS_18Fp8KVCacheDataTypeE1ELb0ELi0EEEvPfS2_PT_PKS3_PKT0_S9_ifPKiSB_iPKfiiiSD_SD_iiiii.uses_vcc, 1
	.set .L_ZN4vllm22paged_attention_kernelIthLi96ELi32ELi128ELNS_18Fp8KVCacheDataTypeE1ELb0ELi0EEEvPfS2_PT_PKS3_PKT0_S9_ifPKiSB_iPKfiiiSD_SD_iiiii.uses_flat_scratch, 1
	.set .L_ZN4vllm22paged_attention_kernelIthLi96ELi32ELi128ELNS_18Fp8KVCacheDataTypeE1ELb0ELi0EEEvPfS2_PT_PKS3_PKT0_S9_ifPKiSB_iPKfiiiSD_SD_iiiii.has_dyn_sized_stack, 0
	.set .L_ZN4vllm22paged_attention_kernelIthLi96ELi32ELi128ELNS_18Fp8KVCacheDataTypeE1ELb0ELi0EEEvPfS2_PT_PKS3_PKT0_S9_ifPKiSB_iPKfiiiSD_SD_iiiii.has_recursion, 0
	.set .L_ZN4vllm22paged_attention_kernelIthLi96ELi32ELi128ELNS_18Fp8KVCacheDataTypeE1ELb0ELi0EEEvPfS2_PT_PKS3_PKT0_S9_ifPKiSB_iPKfiiiSD_SD_iiiii.has_indirect_call, 0
	.section	.AMDGPU.csdata,"",@progbits
; Function info:
; codeLenInByte = 65536
; TotalNumSgprs: 35
; NumVgprs: 128
; ScratchSize: 360
; MemoryBound: 0
	.section	.text._ZN4vllm25paged_attention_v1_kernelIthLi96ELi32ELi128ELNS_18Fp8KVCacheDataTypeE1ELb0EEEvPT_PKS2_PKT0_S8_ifPKiSA_iPKfiiiSC_SC_iiiii,"axG",@progbits,_ZN4vllm25paged_attention_v1_kernelIthLi96ELi32ELi128ELNS_18Fp8KVCacheDataTypeE1ELb0EEEvPT_PKS2_PKT0_S8_ifPKiSA_iPKfiiiSC_SC_iiiii,comdat
	.protected	_ZN4vllm25paged_attention_v1_kernelIthLi96ELi32ELi128ELNS_18Fp8KVCacheDataTypeE1ELb0EEEvPT_PKS2_PKT0_S8_ifPKiSA_iPKfiiiSC_SC_iiiii ; -- Begin function _ZN4vllm25paged_attention_v1_kernelIthLi96ELi32ELi128ELNS_18Fp8KVCacheDataTypeE1ELb0EEEvPT_PKS2_PKT0_S8_ifPKiSA_iPKfiiiSC_SC_iiiii
	.globl	_ZN4vllm25paged_attention_v1_kernelIthLi96ELi32ELi128ELNS_18Fp8KVCacheDataTypeE1ELb0EEEvPT_PKS2_PKT0_S8_ifPKiSA_iPKfiiiSC_SC_iiiii
	.p2align	8
	.type	_ZN4vllm25paged_attention_v1_kernelIthLi96ELi32ELi128ELNS_18Fp8KVCacheDataTypeE1ELb0EEEvPT_PKS2_PKT0_S8_ifPKiSA_iPKfiiiSC_SC_iiiii,@function
_ZN4vllm25paged_attention_v1_kernelIthLi96ELi32ELi128ELNS_18Fp8KVCacheDataTypeE1ELb0EEEvPT_PKS2_PKT0_S8_ifPKiSA_iPKfiiiSC_SC_iiiii: ; @_ZN4vllm25paged_attention_v1_kernelIthLi96ELi32ELi128ELNS_18Fp8KVCacheDataTypeE1ELb0EEEvPT_PKS2_PKT0_S8_ifPKiSA_iPKfiiiSC_SC_iiiii
; %bb.0:
	s_clause 0x5
	s_load_b256 s[12:19], s[0:1], 0x0
	s_load_b128 s[4:7], s[0:1], 0x20
	s_load_b96 s[20:22], s[0:1], 0x30
	s_load_b64 s[10:11], s[0:1], 0x40
	s_load_b96 s[28:30], s[0:1], 0x48
	s_load_b128 s[24:27], s[0:1], 0x58
	v_mov_b32_e32 v31, v0
	s_get_pc_i64 s[2:3]
	s_add_nc_u64 s[2:3], s[2:3], _ZN4vllm22paged_attention_kernelIthLi96ELi32ELi128ELNS_18Fp8KVCacheDataTypeE1ELb0ELi0EEEvPfS2_PT_PKS3_PKT0_S9_ifPKiSB_iPKfiiiSD_SD_iiiii@rel64+4
	s_add_nc_u64 s[8:9], s[0:1], 0x80
	s_mov_b32 s32, 0
	s_wait_kmcnt 0x0
	v_dual_mov_b32 v0, s12 :: v_dual_mov_b32 v1, s13
	v_dual_mov_b32 v2, s14 :: v_dual_mov_b32 v3, s15
	;; [unrolled: 1-line block ×12, first 2 shown]
	s_mov_b32 s15, 48
	s_swap_pc_i64 s[30:31], s[2:3]
	s_endpgm
	.section	.rodata,"a",@progbits
	.p2align	6, 0x0
	.amdhsa_kernel _ZN4vllm25paged_attention_v1_kernelIthLi96ELi32ELi128ELNS_18Fp8KVCacheDataTypeE1ELb0EEEvPT_PKS2_PKT0_S8_ifPKiSA_iPKfiiiSC_SC_iiiii
		.amdhsa_group_segment_fixed_size 224
		.amdhsa_private_segment_fixed_size 360
		.amdhsa_kernarg_size 384
		.amdhsa_user_sgpr_count 2
		.amdhsa_user_sgpr_dispatch_ptr 0
		.amdhsa_user_sgpr_queue_ptr 0
		.amdhsa_user_sgpr_kernarg_segment_ptr 1
		.amdhsa_user_sgpr_dispatch_id 0
		.amdhsa_user_sgpr_kernarg_preload_length 0
		.amdhsa_user_sgpr_kernarg_preload_offset 0
		.amdhsa_user_sgpr_private_segment_size 0
		.amdhsa_wavefront_size32 1
		.amdhsa_uses_dynamic_stack 0
		.amdhsa_enable_private_segment 1
		.amdhsa_system_sgpr_workgroup_id_x 1
		.amdhsa_system_sgpr_workgroup_id_y 1
		.amdhsa_system_sgpr_workgroup_id_z 1
		.amdhsa_system_sgpr_workgroup_info 0
		.amdhsa_system_vgpr_workitem_id 0
		.amdhsa_next_free_vgpr 128
		.amdhsa_next_free_sgpr 33
		.amdhsa_named_barrier_count 0
		.amdhsa_reserve_vcc 1
		.amdhsa_float_round_mode_32 0
		.amdhsa_float_round_mode_16_64 0
		.amdhsa_float_denorm_mode_32 3
		.amdhsa_float_denorm_mode_16_64 3
		.amdhsa_fp16_overflow 0
		.amdhsa_memory_ordered 1
		.amdhsa_forward_progress 1
		.amdhsa_inst_pref_size 2
		.amdhsa_round_robin_scheduling 0
		.amdhsa_exception_fp_ieee_invalid_op 0
		.amdhsa_exception_fp_denorm_src 0
		.amdhsa_exception_fp_ieee_div_zero 0
		.amdhsa_exception_fp_ieee_overflow 0
		.amdhsa_exception_fp_ieee_underflow 0
		.amdhsa_exception_fp_ieee_inexact 0
		.amdhsa_exception_int_div_zero 0
	.end_amdhsa_kernel
	.section	.text._ZN4vllm25paged_attention_v1_kernelIthLi96ELi32ELi128ELNS_18Fp8KVCacheDataTypeE1ELb0EEEvPT_PKS2_PKT0_S8_ifPKiSA_iPKfiiiSC_SC_iiiii,"axG",@progbits,_ZN4vllm25paged_attention_v1_kernelIthLi96ELi32ELi128ELNS_18Fp8KVCacheDataTypeE1ELb0EEEvPT_PKS2_PKT0_S8_ifPKiSA_iPKfiiiSC_SC_iiiii,comdat
.Lfunc_end293:
	.size	_ZN4vllm25paged_attention_v1_kernelIthLi96ELi32ELi128ELNS_18Fp8KVCacheDataTypeE1ELb0EEEvPT_PKS2_PKT0_S8_ifPKiSA_iPKfiiiSC_SC_iiiii, .Lfunc_end293-_ZN4vllm25paged_attention_v1_kernelIthLi96ELi32ELi128ELNS_18Fp8KVCacheDataTypeE1ELb0EEEvPT_PKS2_PKT0_S8_ifPKiSA_iPKfiiiSC_SC_iiiii
                                        ; -- End function
	.set _ZN4vllm25paged_attention_v1_kernelIthLi96ELi32ELi128ELNS_18Fp8KVCacheDataTypeE1ELb0EEEvPT_PKS2_PKT0_S8_ifPKiSA_iPKfiiiSC_SC_iiiii.num_vgpr, max(32, .L_ZN4vllm22paged_attention_kernelIthLi96ELi32ELi128ELNS_18Fp8KVCacheDataTypeE1ELb0ELi0EEEvPfS2_PT_PKS3_PKT0_S9_ifPKiSB_iPKfiiiSD_SD_iiiii.num_vgpr)
	.set _ZN4vllm25paged_attention_v1_kernelIthLi96ELi32ELi128ELNS_18Fp8KVCacheDataTypeE1ELb0EEEvPT_PKS2_PKT0_S8_ifPKiSA_iPKfiiiSC_SC_iiiii.num_agpr, max(0, .L_ZN4vllm22paged_attention_kernelIthLi96ELi32ELi128ELNS_18Fp8KVCacheDataTypeE1ELb0ELi0EEEvPfS2_PT_PKS3_PKT0_S9_ifPKiSB_iPKfiiiSD_SD_iiiii.num_agpr)
	.set _ZN4vllm25paged_attention_v1_kernelIthLi96ELi32ELi128ELNS_18Fp8KVCacheDataTypeE1ELb0EEEvPT_PKS2_PKT0_S8_ifPKiSA_iPKfiiiSC_SC_iiiii.numbered_sgpr, max(33, .L_ZN4vllm22paged_attention_kernelIthLi96ELi32ELi128ELNS_18Fp8KVCacheDataTypeE1ELb0ELi0EEEvPfS2_PT_PKS3_PKT0_S9_ifPKiSB_iPKfiiiSD_SD_iiiii.numbered_sgpr)
	.set _ZN4vllm25paged_attention_v1_kernelIthLi96ELi32ELi128ELNS_18Fp8KVCacheDataTypeE1ELb0EEEvPT_PKS2_PKT0_S8_ifPKiSA_iPKfiiiSC_SC_iiiii.num_named_barrier, max(0, .L_ZN4vllm22paged_attention_kernelIthLi96ELi32ELi128ELNS_18Fp8KVCacheDataTypeE1ELb0ELi0EEEvPfS2_PT_PKS3_PKT0_S9_ifPKiSB_iPKfiiiSD_SD_iiiii.num_named_barrier)
	.set _ZN4vllm25paged_attention_v1_kernelIthLi96ELi32ELi128ELNS_18Fp8KVCacheDataTypeE1ELb0EEEvPT_PKS2_PKT0_S8_ifPKiSA_iPKfiiiSC_SC_iiiii.private_seg_size, 0+max(.L_ZN4vllm22paged_attention_kernelIthLi96ELi32ELi128ELNS_18Fp8KVCacheDataTypeE1ELb0ELi0EEEvPfS2_PT_PKS3_PKT0_S9_ifPKiSB_iPKfiiiSD_SD_iiiii.private_seg_size)
	.set _ZN4vllm25paged_attention_v1_kernelIthLi96ELi32ELi128ELNS_18Fp8KVCacheDataTypeE1ELb0EEEvPT_PKS2_PKT0_S8_ifPKiSA_iPKfiiiSC_SC_iiiii.uses_vcc, or(1, .L_ZN4vllm22paged_attention_kernelIthLi96ELi32ELi128ELNS_18Fp8KVCacheDataTypeE1ELb0ELi0EEEvPfS2_PT_PKS3_PKT0_S9_ifPKiSB_iPKfiiiSD_SD_iiiii.uses_vcc)
	.set _ZN4vllm25paged_attention_v1_kernelIthLi96ELi32ELi128ELNS_18Fp8KVCacheDataTypeE1ELb0EEEvPT_PKS2_PKT0_S8_ifPKiSA_iPKfiiiSC_SC_iiiii.uses_flat_scratch, or(0, .L_ZN4vllm22paged_attention_kernelIthLi96ELi32ELi128ELNS_18Fp8KVCacheDataTypeE1ELb0ELi0EEEvPfS2_PT_PKS3_PKT0_S9_ifPKiSB_iPKfiiiSD_SD_iiiii.uses_flat_scratch)
	.set _ZN4vllm25paged_attention_v1_kernelIthLi96ELi32ELi128ELNS_18Fp8KVCacheDataTypeE1ELb0EEEvPT_PKS2_PKT0_S8_ifPKiSA_iPKfiiiSC_SC_iiiii.has_dyn_sized_stack, or(0, .L_ZN4vllm22paged_attention_kernelIthLi96ELi32ELi128ELNS_18Fp8KVCacheDataTypeE1ELb0ELi0EEEvPfS2_PT_PKS3_PKT0_S9_ifPKiSB_iPKfiiiSD_SD_iiiii.has_dyn_sized_stack)
	.set _ZN4vllm25paged_attention_v1_kernelIthLi96ELi32ELi128ELNS_18Fp8KVCacheDataTypeE1ELb0EEEvPT_PKS2_PKT0_S8_ifPKiSA_iPKfiiiSC_SC_iiiii.has_recursion, or(0, .L_ZN4vllm22paged_attention_kernelIthLi96ELi32ELi128ELNS_18Fp8KVCacheDataTypeE1ELb0ELi0EEEvPfS2_PT_PKS3_PKT0_S9_ifPKiSB_iPKfiiiSD_SD_iiiii.has_recursion)
	.set _ZN4vllm25paged_attention_v1_kernelIthLi96ELi32ELi128ELNS_18Fp8KVCacheDataTypeE1ELb0EEEvPT_PKS2_PKT0_S8_ifPKiSA_iPKfiiiSC_SC_iiiii.has_indirect_call, or(0, .L_ZN4vllm22paged_attention_kernelIthLi96ELi32ELi128ELNS_18Fp8KVCacheDataTypeE1ELb0ELi0EEEvPfS2_PT_PKS3_PKT0_S9_ifPKiSB_iPKfiiiSD_SD_iiiii.has_indirect_call)
	.section	.AMDGPU.csdata,"",@progbits
; Kernel info:
; codeLenInByte = 196
; TotalNumSgprs: 35
; NumVgprs: 128
; ScratchSize: 360
; MemoryBound: 0
; FloatMode: 240
; IeeeMode: 1
; LDSByteSize: 224 bytes/workgroup (compile time only)
; SGPRBlocks: 0
; VGPRBlocks: 7
; NumSGPRsForWavesPerEU: 35
; NumVGPRsForWavesPerEU: 128
; NamedBarCnt: 0
; Occupancy: 8
; WaveLimiterHint : 1
; COMPUTE_PGM_RSRC2:SCRATCH_EN: 1
; COMPUTE_PGM_RSRC2:USER_SGPR: 2
; COMPUTE_PGM_RSRC2:TRAP_HANDLER: 0
; COMPUTE_PGM_RSRC2:TGID_X_EN: 1
; COMPUTE_PGM_RSRC2:TGID_Y_EN: 1
; COMPUTE_PGM_RSRC2:TGID_Z_EN: 1
; COMPUTE_PGM_RSRC2:TIDIG_COMP_CNT: 0
	.text
	.p2align	2                               ; -- Begin function _ZN4vllm22paged_attention_kernelIthLi112ELi32ELi128ELNS_18Fp8KVCacheDataTypeE1ELb0ELi0EEEvPfS2_PT_PKS3_PKT0_S9_ifPKiSB_iPKfiiiSD_SD_iiiii
	.type	_ZN4vllm22paged_attention_kernelIthLi112ELi32ELi128ELNS_18Fp8KVCacheDataTypeE1ELb0ELi0EEEvPfS2_PT_PKS3_PKT0_S9_ifPKiSB_iPKfiiiSD_SD_iiiii,@function
_ZN4vllm22paged_attention_kernelIthLi112ELi32ELi128ELNS_18Fp8KVCacheDataTypeE1ELb0ELi0EEEvPfS2_PT_PKS3_PKT0_S9_ifPKiSB_iPKfiiiSD_SD_iiiii: ; @_ZN4vllm22paged_attention_kernelIthLi112ELi32ELi128ELNS_18Fp8KVCacheDataTypeE1ELb0ELi0EEEvPfS2_PT_PKS3_PKT0_S9_ifPKiSB_iPKfiiiSD_SD_iiiii
; %bb.0:
	s_wait_loadcnt_dscnt 0x0
	s_wait_kmcnt 0x0
	s_clause 0x2f
	scratch_store_b32 off, v40, s32 offset:188
	; meta instruction
	scratch_store_b32 off, v41, s32 offset:184
	; meta instruction
	;; [unrolled: 2-line block ×47, first 2 shown]
	scratch_store_b32 off, v127, s32
	s_bfe_u32 s0, ttmp6, 0x4000c
	s_bfe_u32 s2, ttmp6, 0x40010
	s_add_co_i32 s0, s0, 1
	s_and_b32 s1, ttmp6, 15
	s_mul_i32 s0, ttmp9, s0
	s_and_b32 s3, ttmp7, 0xffff
	s_add_co_i32 s2, s2, 1
	s_add_co_i32 s0, s1, s0
	s_mul_i32 s1, s3, s2
	s_bfe_u32 s2, ttmp6, 0x40004
	s_getreg_b32 s10, hwreg(HW_REG_IB_STS2, 6, 4)
	s_add_co_i32 s2, s2, s1
	s_cmp_eq_u32 s10, 0
	s_mov_b32 s1, 0
	s_cselect_b32 s11, s3, s2
	s_cselect_b32 s2, ttmp9, s0
	s_lshl_b32 s0, s11, 2
	s_clause 0x6
	scratch_store_b64 off, v[22:23], s32 offset:192
	scratch_store_b64 off, v[20:21], s32 offset:280
	;; [unrolled: 1-line block ×4, first 2 shown]
	scratch_store_b32 off, v9, s32 offset:288
	scratch_store_b64 off, v[6:7], s32 offset:360
	scratch_store_b64 off, v[0:1], s32 offset:352
	s_wait_xcnt 0x0
	v_add_nc_u64_e32 v[0:1], s[0:1], v[12:13]
	v_mov_b32_e32 v27, 0
	s_clause 0x1
	s_load_u16 s0, s[8:9], 0x12
	s_load_b32 s3, s[8:9], 0x0
	v_dual_mov_b32 v25, v16 :: v_dual_mov_b32 v24, v15
	s_mov_b32 s6, s15
	flat_load_b32 v124, v[0:1]
	s_wait_xcnt 0x0
	v_sub_nc_u32_e32 v0, 0, v8
	global_load_u16 v6, v27, s[8:9] offset:22
	s_mov_b32 s4, exec_lo
	v_max_i32_e32 v0, v8, v0
	s_delay_alu instid0(VALU_DEP_1) | instskip(SKIP_2) | instid1(VALU_DEP_1)
	v_cvt_f32_u32_e32 v1, v0
	s_wait_kmcnt 0x0
	s_cmp_lg_u32 s0, 0
	v_rcp_iflag_f32_e32 v1, v1
	s_cselect_b32 s0, -1, 0
	s_delay_alu instid0(SALU_CYCLE_1) | instskip(SKIP_2) | instid1(TRANS32_DEP_1)
	s_cmp_lg_u32 s0, 0
	s_add_co_ci_u32 s12, s3, 0
	v_nop
	v_mul_f32_e32 v1, 0x4f7ffffe, v1
	v_sub_nc_u32_e32 v7, 0, v0
	s_abs_i32 s0, s12
	s_delay_alu instid0(VALU_DEP_2) | instskip(NEXT) | instid1(VALU_DEP_1)
	v_cvt_u32_f32_e32 v1, v1
	v_mul_lo_u32 v7, v7, v1
	s_delay_alu instid0(VALU_DEP_1) | instskip(NEXT) | instid1(VALU_DEP_1)
	v_mul_hi_u32 v7, v1, v7
	v_add_nc_u32_e32 v1, v1, v7
	s_delay_alu instid0(VALU_DEP_1) | instskip(NEXT) | instid1(VALU_DEP_1)
	v_mul_hi_u32 v1, s0, v1
	v_mul_lo_u32 v7, v1, v0
	s_delay_alu instid0(VALU_DEP_1) | instskip(SKIP_1) | instid1(VALU_DEP_1)
	v_dual_add_nc_u32 v9, 1, v1 :: v_dual_sub_nc_u32 v7, s0, v7
	s_abs_i32 s0, s2
	v_cmp_ge_u32_e32 vcc_lo, v7, v0
	s_delay_alu instid0(VALU_DEP_2) | instskip(NEXT) | instid1(VALU_DEP_1)
	v_dual_cndmask_b32 v1, v1, v9 :: v_dual_sub_nc_u32 v10, v7, v0
	v_dual_cndmask_b32 v7, v7, v10, vcc_lo :: v_dual_bitop2_b32 v8, s12, v8 bitop3:0x14
	s_delay_alu instid0(VALU_DEP_1) | instskip(NEXT) | instid1(VALU_DEP_2)
	v_dual_add_nc_u32 v9, 1, v1 :: v_dual_ashrrev_i32 v8, 31, v8
	v_cmp_ge_u32_e32 vcc_lo, v7, v0
	s_delay_alu instid0(VALU_DEP_2) | instskip(NEXT) | instid1(VALU_DEP_1)
	v_cndmask_b32_e32 v0, v1, v9, vcc_lo
	v_xor_b32_e32 v0, v0, v8
	s_delay_alu instid0(VALU_DEP_1) | instskip(SKIP_2) | instid1(VALU_DEP_2)
	v_sub_nc_u32_e32 v1, v0, v8
	s_wait_loadcnt 0x0
	v_readfirstlane_b32 s13, v6
	v_dual_mov_b32 v6, v27 :: v_dual_sub_nc_u32 v0, 0, v1
	scratch_store_b32 off, v6, s32 offset:276 ; 4-byte Folded Spill
	v_max_i32_e32 v0, v1, v0
	s_delay_alu instid0(VALU_DEP_1) | instskip(SKIP_1) | instid1(VALU_DEP_2)
	v_cvt_f32_u32_e32 v7, v0
	v_sub_nc_u32_e32 v8, 0, v0
	v_rcp_iflag_f32_e32 v7, v7
	v_nop
	s_delay_alu instid0(TRANS32_DEP_1) | instskip(NEXT) | instid1(VALU_DEP_1)
	v_mul_f32_e32 v7, 0x4f7ffffe, v7
	v_cvt_u32_f32_e32 v7, v7
	s_delay_alu instid0(VALU_DEP_1) | instskip(NEXT) | instid1(VALU_DEP_1)
	v_mul_lo_u32 v8, v8, v7
	v_mul_hi_u32 v8, v7, v8
	s_delay_alu instid0(VALU_DEP_1)
	v_add_nc_u32_e32 v26, v7, v8
	s_wait_xcnt 0x0
	v_cmpx_ne_u64_e32 0, v[24:25]
	s_cbranch_execz .LBB294_2
; %bb.1:
	s_ashr_i32 s3, s2, 31
	s_delay_alu instid0(SALU_CYCLE_1)
	v_lshl_add_u64 v[6:7], s[2:3], 2, v[24:25]
	flat_load_b32 v6, v[6:7]
	s_wait_loadcnt_dscnt 0x0
	scratch_store_b32 off, v6, s32 offset:276 ; 4-byte Folded Spill
.LBB294_2:
	s_wait_xcnt 0x0
	s_or_b32 exec_lo, exec_lo, s4
	v_mul_u64_e32 v[24:25], s[0:1], v[26:27]
	v_and_b32_e32 v13, 0x3ff, v31
	v_ashrrev_i32_e32 v1, 31, v1
	s_ashr_i32 s1, s2, 31
	s_mul_i32 s4, s2, 0x70
	s_mov_b32 s2, exec_lo
	v_cmpx_gt_u32_e32 14, v13
	s_cbranch_execz .LBB294_4
; %bb.3:
	v_mul_lo_u32 v6, v17, s11
	s_ashr_i32 s5, s4, 31
	v_dual_mov_b32 v11, 0 :: v_dual_lshlrev_b32 v10, 4, v13
	s_delay_alu instid0(VALU_DEP_2) | instskip(NEXT) | instid1(VALU_DEP_1)
	v_ashrrev_i32_e32 v7, 31, v6
	v_lshl_add_u64 v[2:3], v[6:7], 1, v[2:3]
	s_delay_alu instid0(VALU_DEP_1) | instskip(NEXT) | instid1(VALU_DEP_1)
	v_lshl_add_u64 v[2:3], s[4:5], 1, v[2:3]
	v_add_nc_u64_e32 v[2:3], v[2:3], v[10:11]
	flat_load_b128 v[6:9], v[2:3]
	s_wait_loadcnt_dscnt 0x0
	ds_store_b128 v10, v[6:9]
.LBB294_4:
	s_wait_xcnt 0x0
	s_or_b32 exec_lo, exec_lo, s2
	s_delay_alu instid0(VALU_DEP_4)
	v_mul_lo_u32 v2, v25, v0
	s_wait_dscnt 0x0
	v_dual_add_nc_u32 v7, 31, v124 :: v_dual_bitop2_b32 v1, s1, v1 bitop3:0x14
	s_load_b32 s5, s[8:9], 0x8
	s_wait_xcnt 0x0
	s_get_pc_i64 s[8:9]
	s_add_nc_u64 s[8:9], s[8:9], llvm.amdgcn.dynlds.offset.table@rel64+4
	v_add_nc_u32_e32 v3, 1, v25
	s_delay_alu instid0(VALU_DEP_3) | instskip(NEXT) | instid1(VALU_DEP_1)
	v_dual_mov_b32 v11, 0xff7fffff :: v_dual_sub_nc_u32 v2, s0, v2
	v_cmp_ge_u32_e32 vcc_lo, v2, v0
	s_delay_alu instid0(VALU_DEP_3) | instskip(NEXT) | instid1(VALU_DEP_1)
	v_dual_cndmask_b32 v3, v25, v3 :: v_dual_sub_nc_u32 v6, v2, v0
	v_dual_cndmask_b32 v2, v2, v6, vcc_lo :: v_dual_add_nc_u32 v6, 1, v3
	s_delay_alu instid0(VALU_DEP_1) | instskip(NEXT) | instid1(VALU_DEP_2)
	v_cmp_ge_u32_e32 vcc_lo, v2, v0
	v_dual_ashrrev_i32 v2, 31, v7 :: v_dual_cndmask_b32 v0, v3, v6, vcc_lo
	s_delay_alu instid0(VALU_DEP_1) | instskip(SKIP_1) | instid1(VALU_DEP_3)
	v_lshrrev_b32_e32 v2, 27, v2
	v_mul_lo_u32 v6, v14, s11
	v_xor_b32_e32 v0, v0, v1
	s_delay_alu instid0(VALU_DEP_1) | instskip(NEXT) | instid1(VALU_DEP_3)
	v_dual_sub_nc_u32 v0, v0, v1 :: v_dual_add_nc_u32 v1, v7, v2
	v_dual_ashrrev_i32 v7, 31, v6 :: v_dual_bitop2_b32 v2, 31, v13 bitop3:0x40
	s_delay_alu instid0(VALU_DEP_2) | instskip(SKIP_1) | instid1(VALU_DEP_4)
	v_mul_lo_u32 v8, v0, v19
	v_lshrrev_b32_e32 v0, 5, v13
	v_ashrrev_i32_e32 v44, 5, v1
	v_lshrrev_b32_e32 v1, 3, v13
	scratch_store_b64 off, v[6:7], s32 offset:340 ; 8-byte Folded Spill
	v_lshlrev_b32_e32 v10, 2, v2
	scratch_store_b32 off, v0, s32 offset:316 ; 4-byte Folded Spill
	v_cmp_ge_i32_e64 s0, v0, v44
	scratch_store_b32 off, v1, s32 offset:348 ; 4-byte Folded Spill
	v_cmp_lt_i32_e32 vcc_lo, v0, v44
	v_ashrrev_i32_e32 v9, 31, v8
	s_clause 0x1
	scratch_store_b64 off, v[8:9], s32 offset:324
	scratch_store_b32 off, v2, s32 offset:312
	s_wait_storecnt 0x0
	s_barrier_signal -1
	s_barrier_wait -1
	s_wait_xcnt 0x0
	s_mov_b32 s14, exec_lo
	s_delay_alu instid0(SALU_CYCLE_1)
	s_and_b32 s1, s14, vcc_lo
	scratch_store_b32 off, v13, s32 offset:320 ; 4-byte Folded Spill
	s_wait_xcnt 0x0
	s_mov_b32 exec_lo, s1
	s_cbranch_execz .LBB294_904
; %bb.5:
	s_clause 0x1
	scratch_load_b64 v[0:1], off, s32 offset:324
	scratch_load_b32 v2, off, s32 offset:312
	s_ashr_i32 s7, s6, 31
	v_mov_b32_e32 v25, 0
	s_lshl_b64 s[2:3], s[6:7], 2
	s_mov_b32 s7, 0
	s_add_nc_u64 s[2:3], s[8:9], s[2:3]
	scratch_store_b32 off, v10, s32 offset:368 ; 4-byte Folded Spill
	s_load_b32 s1, s[2:3], 0x0
	s_wait_xcnt 0x0
	s_mov_b64 s[2:3], 0xffffffffffffff
	scratch_load_b32 v126, off, s32 offset:316 ; 4-byte Folded Reload
	s_wait_loadcnt 0x2
	v_add_nc_u64_e32 v[0:1], v[4:5], v[0:1]
	s_wait_loadcnt 0x1
	v_lshlrev_b32_e32 v24, 4, v2
	scratch_load_b64 v[4:5], off, s32 offset:332 ; 8-byte Folded Reload
	v_add_nc_u64_e32 v[0:1], v[0:1], v[24:25]
	s_wait_loadcnt 0x1
	v_lshl_or_b32 v127, v126, 5, v2
	v_lshl_or_b32 v2, v126, 7, v10
	v_mov_b32_e32 v11, 0xff7fffff
	s_clause 0x1
	scratch_store_b64 off, v[0:1], s32 offset:296
	scratch_load_b32 v0, off, s32 offset:348
	s_wait_kmcnt 0x0
	v_add_nc_u32_e32 v12, s1, v2
	s_wait_loadcnt 0x0
	v_and_b32_e32 v24, 0x7c, v0
	scratch_load_b32 v0, off, s32 offset:276 ; 4-byte Folded Reload
	s_wait_loadcnt 0x0
	v_cmp_neq_f32_e32 vcc_lo, 0, v0
	s_clause 0x2
	scratch_load_b64 v[0:1], off, s32 offset:340
	scratch_store_b32 off, v44, s32 offset:292
	scratch_store_b64 off, v[124:125], s32 offset:304
	s_wait_loadcnt 0x0
	v_lshl_add_u64 v[0:1], v[0:1], 2, v[24:25]
	s_delay_alu instid0(VALU_DEP_1)
	v_add_nc_u64_e32 v[0:1], v[4:5], v[0:1]
	s_branch .LBB294_10
.LBB294_6:                              ;   in Loop: Header=BB294_10 Depth=1
	s_or_b32 exec_lo, exec_lo, s18
	s_delay_alu instid0(VALU_DEP_1) | instskip(NEXT) | instid1(VALU_DEP_2)
	v_dual_lshlrev_b32 v4, 8, v24 :: v_dual_lshlrev_b32 v2, 23, v2
	v_lshl_add_u32 v3, v3, 10, 0x2000
	s_delay_alu instid0(VALU_DEP_1) | instskip(NEXT) | instid1(VALU_DEP_1)
	v_and_or_b32 v3, 0x8000, v4, v3
	v_lshl_or_b32 v6, v3, 16, v2
.LBB294_7:                              ;   in Loop: Header=BB294_10 Depth=1
	s_or_b32 exec_lo, exec_lo, s17
.LBB294_8:                              ;   in Loop: Header=BB294_10 Depth=1
	s_delay_alu instid0(SALU_CYCLE_1)
	s_or_b32 exec_lo, exec_lo, s16
	v_dual_mov_b32 v12, v113 :: v_dual_mov_b32 v126, v114
.LBB294_9:                              ;   in Loop: Header=BB294_10 Depth=1
	s_or_b32 exec_lo, exec_lo, s15
	ds_load_b128 v[2:5], v25
	v_add_nc_u32_e32 v126, 4, v126
	s_wait_dscnt 0x0
	v_dual_lshrrev_b32 v8, 16, v2 :: v_dual_lshrrev_b32 v24, 16, v3
	v_and_b32_e32 v2, 0xffff, v2
	;;#ASMSTART
	v_cvt_f32_f16 v102, v2;
	;;#ASMEND
	v_or_b32_e32 v2, v32, v30
	v_and_b32_e32 v29, 0xffff, v3
	v_fma_mixlo_f16 v3, v15, v32, 0 op_sel:[0,1,0] op_sel_hi:[0,1,0]
	;;#ASMSTART
	v_cvt_f32_f16 v103, v8;
	;;#ASMEND
	v_dual_lshrrev_b32 v101, 16, v4 :: v_dual_lshrrev_b32 v113, 16, v5
	v_fma_mixlo_f16 v2, v15, v2, 0 op_sel_hi:[0,1,0]
	s_delay_alu instid0(VALU_DEP_3) | instskip(SKIP_2) | instid1(VALU_DEP_4)
	v_and_b32_e32 v3, 0xffff, v3
	v_and_b32_e32 v4, 0xffff, v4
	;; [unrolled: 1-line block ×4, first 2 shown]
	;;#ASMSTART
	v_cvt_f32_f16 v114, v2;
	;;#ASMEND
	v_or_b32_e32 v2, v34, v31
	;;#ASMSTART
	v_cvt_f32_f16 v115, v3;
	;;#ASMEND
	v_fma_mixlo_f16 v3, v15, v34, 0 op_sel:[0,1,0] op_sel_hi:[0,1,0]
	;;#ASMSTART
	v_cvt_f32_f16 v117, v29;
	;;#ASMEND
	;;#ASMSTART
	v_cvt_f32_f16 v116, v24;
	;;#ASMEND
	v_fma_mixlo_f16 v2, v15, v2, 0 op_sel_hi:[0,1,0]
	v_fma_mixlo_f16 v24, v15, v51, 0 op_sel:[0,1,0] op_sel_hi:[0,1,0]
	v_and_b32_e32 v3, 0xffff, v3
	s_delay_alu instid0(VALU_DEP_3)
	v_and_b32_e32 v2, 0xffff, v2
	;;#ASMSTART
	v_cvt_f32_f16 v31, v2;
	;;#ASMEND
	v_or_b32_e32 v2, v36, v33
	;;#ASMSTART
	v_cvt_f32_f16 v30, v3;
	;;#ASMEND
	v_fma_mixlo_f16 v3, v15, v36, 0 op_sel:[0,1,0] op_sel_hi:[0,1,0]
	;;#ASMSTART
	v_cvt_f32_f16 v45, v4;
	;;#ASMEND
	;;#ASMSTART
	v_cvt_f32_f16 v44, v101;
	;;#ASMEND
	v_fma_mixlo_f16 v2, v15, v2, 0 op_sel_hi:[0,1,0]
	v_and_b32_e32 v24, 0xffff, v24
	v_and_b32_e32 v3, 0xffff, v3
	s_delay_alu instid0(VALU_DEP_3)
	v_and_b32_e32 v2, 0xffff, v2
	;;#ASMSTART
	v_cvt_f32_f16 v33, v2;
	;;#ASMEND
	v_or_b32_e32 v2, v38, v35
	;;#ASMSTART
	v_cvt_f32_f16 v32, v3;
	;;#ASMEND
	v_fma_mixlo_f16 v3, v15, v38, 0 op_sel:[0,1,0] op_sel_hi:[0,1,0]
	;;#ASMSTART
	v_cvt_f32_f16 v57, v5;
	;;#ASMEND
	;;#ASMSTART
	v_cvt_f32_f16 v56, v113;
	;;#ASMEND
	v_fma_mixlo_f16 v2, v15, v2, 0 op_sel_hi:[0,1,0]
	s_delay_alu instid0(VALU_DEP_2) | instskip(NEXT) | instid1(VALU_DEP_2)
	v_and_b32_e32 v3, 0xffff, v3
	v_and_b32_e32 v2, 0xffff, v2
	;;#ASMSTART
	v_cvt_f32_f16 v121, v2;
	;;#ASMEND
	;;#ASMSTART
	v_cvt_f32_f16 v120, v3;
	;;#ASMEND
	ds_load_b128 v[2:5], v25 offset:16
	s_wait_dscnt 0x0
	v_and_b32_e32 v8, 0xffff, v2
	v_lshrrev_b32_e32 v2, 16, v2
	;;#ASMSTART
	v_cvt_f32_f16 v34, v8;
	;;#ASMEND
	;;#ASMSTART
	v_cvt_f32_f16 v35, v2;
	;;#ASMEND
	v_or_b32_e32 v2, v48, v37
	v_fma_mixlo_f16 v8, v15, v48, 0 op_sel:[0,1,0] op_sel_hi:[0,1,0]
	s_delay_alu instid0(VALU_DEP_2) | instskip(NEXT) | instid1(VALU_DEP_2)
	v_fma_mixlo_f16 v2, v15, v2, 0 op_sel_hi:[0,1,0]
	v_and_b32_e32 v8, 0xffff, v8
	s_delay_alu instid0(VALU_DEP_2)
	v_and_b32_e32 v2, 0xffff, v2
	;;#ASMSTART
	v_cvt_f32_f16 v36, v2;
	;;#ASMEND
	;;#ASMSTART
	v_cvt_f32_f16 v37, v8;
	;;#ASMEND
	v_and_b32_e32 v2, 0xffff, v3
	v_lshrrev_b32_e32 v8, 16, v3
	;;#ASMSTART
	v_cvt_f32_f16 v3, v2;
	;;#ASMEND
	;;#ASMSTART
	v_cvt_f32_f16 v2, v8;
	;;#ASMEND
	v_or_b32_e32 v8, v51, v39
	v_pk_mul_f32 v[34:35], v[34:35], v[36:37]
	s_delay_alu instid0(VALU_DEP_2) | instskip(NEXT) | instid1(VALU_DEP_2)
	v_fma_mixlo_f16 v8, v15, v8, 0 op_sel_hi:[0,1,0]
	v_pk_fma_f32 v[36:37], v[102:103], v[114:115], v[34:35]
	s_delay_alu instid0(VALU_DEP_2) | instskip(SKIP_3) | instid1(VALU_DEP_2)
	v_and_b32_e32 v8, 0xffff, v8
	;;#ASMSTART
	v_cvt_f32_f16 v35, v8;
	;;#ASMEND
	;;#ASMSTART
	v_cvt_f32_f16 v34, v24;
	;;#ASMEND
	v_pk_mul_f32 v[2:3], v[2:3], v[34:35]
	v_fma_mixlo_f16 v8, v15, v55, 0 op_sel:[0,1,0] op_sel_hi:[0,1,0]
	s_delay_alu instid0(VALU_DEP_2)
	v_pk_fma_f32 v[34:35], v[116:117], v[30:31], v[2:3]
	v_and_b32_e32 v2, 0xffff, v4
	v_lshrrev_b32_e32 v4, 16, v4
	;;#ASMSTART
	v_cvt_f32_f16 v3, v2;
	;;#ASMEND
	;;#ASMSTART
	v_cvt_f32_f16 v2, v4;
	;;#ASMEND
	v_or_b32_e32 v4, v55, v49
	v_and_b32_e32 v8, 0xffff, v8
	s_delay_alu instid0(VALU_DEP_2) | instskip(NEXT) | instid1(VALU_DEP_1)
	v_fma_mixlo_f16 v4, v15, v4, 0 op_sel_hi:[0,1,0]
	v_and_b32_e32 v4, 0xffff, v4
	;;#ASMSTART
	v_cvt_f32_f16 v31, v4;
	;;#ASMEND
	;;#ASMSTART
	v_cvt_f32_f16 v30, v8;
	;;#ASMEND
	v_pk_mul_f32 v[2:3], v[2:3], v[30:31]
	v_lshrrev_b32_e32 v4, 16, v5
	s_delay_alu instid0(VALU_DEP_2)
	v_pk_fma_f32 v[32:33], v[44:45], v[32:33], v[2:3]
	v_and_b32_e32 v2, 0xffff, v5
	;;#ASMSTART
	v_cvt_f32_f16 v3, v2;
	;;#ASMEND
	;;#ASMSTART
	v_cvt_f32_f16 v2, v4;
	;;#ASMEND
	v_or_b32_e32 v4, v67, v54
	v_fma_mixlo_f16 v5, v15, v67, 0 op_sel:[0,1,0] op_sel_hi:[0,1,0]
	s_delay_alu instid0(VALU_DEP_2) | instskip(NEXT) | instid1(VALU_DEP_2)
	v_fma_mixlo_f16 v4, v15, v4, 0 op_sel_hi:[0,1,0]
	v_and_b32_e32 v8, 0xffff, v5
	s_delay_alu instid0(VALU_DEP_2) | instskip(SKIP_2) | instid1(VALU_DEP_1)
	v_and_b32_e32 v4, 0xffff, v4
	;;#ASMSTART
	v_cvt_f32_f16 v5, v4;
	;;#ASMEND
	;;#ASMSTART
	v_cvt_f32_f16 v4, v8;
	;;#ASMEND
	v_pk_mul_f32 v[2:3], v[2:3], v[4:5]
	s_delay_alu instid0(VALU_DEP_1)
	v_pk_fma_f32 v[30:31], v[56:57], v[120:121], v[2:3]
	ds_load_b128 v[2:5], v25 offset:32
	s_wait_dscnt 0x0
	v_and_b32_e32 v8, 0xffff, v2
	v_lshrrev_b32_e32 v2, 16, v2
	;;#ASMSTART
	v_cvt_f32_f16 v38, v8;
	;;#ASMEND
	;;#ASMSTART
	v_cvt_f32_f16 v39, v2;
	;;#ASMEND
	v_or_b32_e32 v2, v70, v100
	v_fma_mixlo_f16 v8, v15, v70, 0 op_sel:[0,1,0] op_sel_hi:[0,1,0]
	v_and_b32_e32 v24, 0xffff, v3
	v_lshrrev_b32_e32 v29, 16, v4
	s_delay_alu instid0(VALU_DEP_4) | instskip(NEXT) | instid1(VALU_DEP_4)
	v_fma_mixlo_f16 v2, v15, v2, 0 op_sel_hi:[0,1,0]
	v_and_b32_e32 v8, 0xffff, v8
	s_delay_alu instid0(VALU_DEP_2)
	v_and_b32_e32 v2, 0xffff, v2
	;;#ASMSTART
	v_cvt_f32_f16 v48, v2;
	;;#ASMEND
	v_or_b32_e32 v2, v53, v50
	;;#ASMSTART
	v_cvt_f32_f16 v49, v8;
	;;#ASMEND
	v_pk_fma_f32 v[36:37], v[38:39], v[48:49], v[36:37]
	v_lshrrev_b32_e32 v8, 16, v3
	v_and_b32_e32 v38, 0xffff, v4
	v_fma_mixlo_f16 v2, v15, v2, 0 op_sel_hi:[0,1,0]
	v_fma_mixlo_f16 v3, v15, v53, 0 op_sel:[0,1,0] op_sel_hi:[0,1,0]
	;;#ASMSTART
	v_cvt_f32_f16 v101, v24;
	;;#ASMEND
	;;#ASMSTART
	v_cvt_f32_f16 v100, v8;
	;;#ASMEND
	v_lshrrev_b32_e32 v39, 16, v5
	v_and_b32_e32 v4, 0xffff, v2
	v_or_b32_e32 v2, v64, v52
	v_and_b32_e32 v24, 0xffff, v3
	v_or_b32_e32 v3, v69, v65
	;;#ASMSTART
	v_cvt_f32_f16 v103, v4;
	;;#ASMEND
	v_fma_mixlo_f16 v4, v15, v64, 0 op_sel:[0,1,0] op_sel_hi:[0,1,0]
	v_fma_mixlo_f16 v2, v15, v2, 0 op_sel_hi:[0,1,0]
	v_and_b32_e32 v5, 0xffff, v5
	;;#ASMSTART
	v_cvt_f32_f16 v102, v24;
	;;#ASMEND
	;;#ASMSTART
	v_cvt_f32_f16 v45, v38;
	;;#ASMEND
	v_and_b32_e32 v4, 0xffff, v4
	v_and_b32_e32 v8, 0xffff, v2
	v_fma_mixlo_f16 v2, v15, v3, 0 op_sel_hi:[0,1,0]
	v_fma_mixlo_f16 v3, v15, v69, 0 op_sel:[0,1,0] op_sel_hi:[0,1,0]
	;;#ASMSTART
	v_cvt_f32_f16 v44, v29;
	;;#ASMEND
	;;#ASMSTART
	v_cvt_f32_f16 v57, v8;
	;;#ASMEND
	;; [unrolled: 3-line block ×3, first 2 shown]
	v_and_b32_e32 v2, 0xffff, v2
	v_and_b32_e32 v3, 0xffff, v3
	;;#ASMSTART
	v_cvt_f32_f16 v53, v5;
	;;#ASMEND
	;;#ASMSTART
	v_cvt_f32_f16 v52, v39;
	;;#ASMEND
	;; [unrolled: 3-line block ×4, first 2 shown]
	ds_load_b128 v[2:5], v25 offset:48
	s_wait_dscnt 0x0
	v_and_b32_e32 v8, 0xffff, v2
	v_lshrrev_b32_e32 v2, 16, v2
	;;#ASMSTART
	v_cvt_f32_f16 v38, v8;
	;;#ASMEND
	;;#ASMSTART
	v_cvt_f32_f16 v39, v2;
	;;#ASMEND
	v_or_b32_e32 v2, v80, v68
	v_fma_mixlo_f16 v8, v15, v80, 0 op_sel:[0,1,0] op_sel_hi:[0,1,0]
	v_lshrrev_b32_e32 v24, 16, v5
	v_and_b32_e32 v29, 0xffff, v5
	v_fma_mixlo_f16 v5, v15, v84, 0 op_sel:[0,1,0] op_sel_hi:[0,1,0]
	v_fma_mixlo_f16 v2, v15, v2, 0 op_sel_hi:[0,1,0]
	v_and_b32_e32 v8, 0xffff, v8
	s_delay_alu instid0(VALU_DEP_2)
	v_and_b32_e32 v2, 0xffff, v2
	;;#ASMSTART
	v_cvt_f32_f16 v48, v2;
	;;#ASMEND
	v_lshrrev_b32_e32 v2, 16, v3
	v_and_b32_e32 v3, 0xffff, v3
	;;#ASMSTART
	v_cvt_f32_f16 v49, v8;
	;;#ASMEND
	;;#ASMSTART
	v_cvt_f32_f16 v115, v3;
	;;#ASMEND
	;; [unrolled: 3-line block ×3, first 2 shown]
	v_or_b32_e32 v2, v82, v71
	v_fma_mixlo_f16 v3, v15, v82, 0 op_sel:[0,1,0] op_sel_hi:[0,1,0]
	v_lshrrev_b32_e32 v8, 16, v4
	v_and_b32_e32 v4, 0xffff, v4
	v_pk_fma_f32 v[64:65], v[38:39], v[48:49], v[36:37]
	v_fma_mixlo_f16 v2, v15, v2, 0 op_sel_hi:[0,1,0]
	v_and_b32_e32 v3, 0xffff, v3
	s_delay_alu instid0(VALU_DEP_2)
	v_and_b32_e32 v2, 0xffff, v2
	;;#ASMSTART
	v_cvt_f32_f16 v117, v2;
	;;#ASMEND
	;;#ASMSTART
	v_cvt_f32_f16 v116, v3;
	;;#ASMEND
	;;#ASMSTART
	v_cvt_f32_f16 v3, v4;
	;;#ASMEND
	v_or_b32_e32 v4, v84, v42
	;;#ASMSTART
	v_cvt_f32_f16 v2, v8;
	;;#ASMEND
	v_and_b32_e32 v8, 0xffff, v5
	s_delay_alu instid0(VALU_DEP_2) | instskip(NEXT) | instid1(VALU_DEP_1)
	v_fma_mixlo_f16 v4, v15, v4, 0 op_sel_hi:[0,1,0]
	v_and_b32_e32 v4, 0xffff, v4
	;;#ASMSTART
	v_cvt_f32_f16 v5, v4;
	;;#ASMEND
	;;#ASMSTART
	v_cvt_f32_f16 v4, v8;
	;;#ASMEND
	v_or_b32_e32 v8, v86, v43
	;;#ASMSTART
	v_cvt_f32_f16 v37, v29;
	;;#ASMEND
	;;#ASMSTART
	v_cvt_f32_f16 v36, v24;
	;;#ASMEND
	v_fma_mixlo_f16 v24, v15, v86, 0 op_sel:[0,1,0] op_sel_hi:[0,1,0]
	s_delay_alu instid0(VALU_DEP_2) | instskip(NEXT) | instid1(VALU_DEP_2)
	v_fma_mixlo_f16 v8, v15, v8, 0 op_sel_hi:[0,1,0]
	v_and_b32_e32 v24, 0xffff, v24
	s_delay_alu instid0(VALU_DEP_2)
	v_and_b32_e32 v8, 0xffff, v8
	;;#ASMSTART
	v_cvt_f32_f16 v39, v8;
	;;#ASMEND
	;;#ASMSTART
	v_cvt_f32_f16 v38, v24;
	;;#ASMEND
	ds_load_b128 v[48:51], v25 offset:64
	s_wait_dscnt 0x0
	v_and_b32_e32 v8, 0xffff, v48
	;;#ASMSTART
	v_cvt_f32_f16 v68, v8;
	;;#ASMEND
	v_dual_lshrrev_b32 v24, 16, v48 :: v_dual_bitop2_b32 v8, v96, v47 bitop3:0x54
	;;#ASMSTART
	v_cvt_f32_f16 v69, v24;
	;;#ASMEND
	v_lshrrev_b32_e32 v29, 16, v50
	v_and_b32_e32 v48, 0xffff, v50
	s_delay_alu instid0(VALU_DEP_3) | instskip(SKIP_2) | instid1(VALU_DEP_3)
	v_fma_mixlo_f16 v8, v15, v8, 0 op_sel_hi:[0,1,0]
	v_fma_mixlo_f16 v24, v15, v96, 0 op_sel:[0,1,0] op_sel_hi:[0,1,0]
	v_lshrrev_b32_e32 v50, 16, v51
	v_and_b32_e32 v8, 0xffff, v8
	s_delay_alu instid0(VALU_DEP_3)
	v_and_b32_e32 v24, 0xffff, v24
	;;#ASMSTART
	v_cvt_f32_f16 v70, v8;
	;;#ASMEND
	v_lshrrev_b32_e32 v8, 16, v49
	;;#ASMSTART
	v_cvt_f32_f16 v71, v24;
	;;#ASMEND
	v_and_b32_e32 v24, 0xffff, v49
	;;#ASMSTART
	v_cvt_f32_f16 v43, v24;
	;;#ASMEND
	;;#ASMSTART
	v_cvt_f32_f16 v42, v8;
	;;#ASMEND
	v_or_b32_e32 v8, v97, v46
	v_and_b32_e32 v49, 0xffff, v51
	v_fma_mixlo_f16 v24, v15, v97, 0 op_sel:[0,1,0] op_sel_hi:[0,1,0]
	v_pk_fma_f32 v[64:65], v[68:69], v[70:71], v[64:65]
	s_delay_alu instid0(VALU_DEP_4) | instskip(NEXT) | instid1(VALU_DEP_3)
	v_fma_mixlo_f16 v8, v15, v8, 0 op_sel_hi:[0,1,0]
	v_and_b32_e32 v24, 0xffff, v24
	s_delay_alu instid0(VALU_DEP_2)
	v_and_b32_e32 v8, 0xffff, v8
	;;#ASMSTART
	v_cvt_f32_f16 v47, v8;
	;;#ASMEND
	v_or_b32_e32 v8, v99, v98
	;;#ASMSTART
	v_cvt_f32_f16 v46, v24;
	;;#ASMEND
	v_fma_mixlo_f16 v24, v15, v99, 0 op_sel:[0,1,0] op_sel_hi:[0,1,0]
	;;#ASMSTART
	v_cvt_f32_f16 v97, v48;
	;;#ASMEND
	;;#ASMSTART
	v_cvt_f32_f16 v96, v29;
	;;#ASMEND
	v_fma_mixlo_f16 v8, v15, v8, 0 op_sel_hi:[0,1,0]
	s_delay_alu instid0(VALU_DEP_2) | instskip(NEXT) | instid1(VALU_DEP_2)
	v_and_b32_e32 v24, 0xffff, v24
	v_and_b32_e32 v8, 0xffff, v8
	;;#ASMSTART
	v_cvt_f32_f16 v99, v8;
	;;#ASMEND
	v_or_b32_e32 v8, v77, v93
	;;#ASMSTART
	v_cvt_f32_f16 v98, v24;
	;;#ASMEND
	v_fma_mixlo_f16 v24, v15, v77, 0 op_sel:[0,1,0] op_sel_hi:[0,1,0]
	;;#ASMSTART
	v_cvt_f32_f16 v49, v49;
	;;#ASMEND
	;;#ASMSTART
	v_cvt_f32_f16 v48, v50;
	;;#ASMEND
	v_fma_mixlo_f16 v8, v15, v8, 0 op_sel_hi:[0,1,0]
	s_delay_alu instid0(VALU_DEP_2) | instskip(NEXT) | instid1(VALU_DEP_2)
	v_and_b32_e32 v24, 0xffff, v24
	v_and_b32_e32 v8, 0xffff, v8
	;;#ASMSTART
	v_cvt_f32_f16 v51, v8;
	;;#ASMEND
	;;#ASMSTART
	v_cvt_f32_f16 v50, v24;
	;;#ASMEND
	ds_load_b128 v[68:71], v25 offset:80
	s_wait_dscnt 0x0
	v_and_b32_e32 v8, 0xffff, v68
	;;#ASMSTART
	v_cvt_f32_f16 v92, v8;
	;;#ASMEND
	v_dual_lshrrev_b32 v24, 16, v68 :: v_dual_bitop2_b32 v8, v95, v94 bitop3:0x54
	;;#ASMSTART
	v_cvt_f32_f16 v93, v24;
	;;#ASMEND
	v_dual_lshrrev_b32 v29, 16, v70 :: v_dual_lshrrev_b32 v67, 16, v71
	s_delay_alu instid0(VALU_DEP_2) | instskip(NEXT) | instid1(VALU_DEP_3)
	v_fma_mixlo_f16 v8, v15, v8, 0 op_sel_hi:[0,1,0]
	v_fma_mixlo_f16 v24, v15, v95, 0 op_sel:[0,1,0] op_sel_hi:[0,1,0]
	s_delay_alu instid0(VALU_DEP_2) | instskip(NEXT) | instid1(VALU_DEP_2)
	v_and_b32_e32 v8, 0xffff, v8
	v_and_b32_e32 v24, 0xffff, v24
	;;#ASMSTART
	v_cvt_f32_f16 v94, v8;
	;;#ASMEND
	;;#ASMSTART
	v_cvt_f32_f16 v95, v24;
	;;#ASMEND
	v_lshrrev_b32_e32 v8, 16, v69
	v_pk_fma_f32 v[120:121], v[92:93], v[94:95], v[64:65]
	v_and_b32_e32 v24, 0xffff, v69
	;;#ASMSTART
	v_cvt_f32_f16 v95, v24;
	;;#ASMEND
	;;#ASMSTART
	v_cvt_f32_f16 v94, v8;
	;;#ASMEND
	v_or_b32_e32 v8, v105, v104
	v_and_b32_e32 v64, 0xffff, v70
	v_fma_mixlo_f16 v24, v15, v105, 0 op_sel:[0,1,0] op_sel_hi:[0,1,0]
	v_and_b32_e32 v65, 0xffff, v71
	s_delay_alu instid0(VALU_DEP_4) | instskip(NEXT) | instid1(VALU_DEP_3)
	v_fma_mixlo_f16 v8, v15, v8, 0 op_sel_hi:[0,1,0]
	v_and_b32_e32 v24, 0xffff, v24
	s_delay_alu instid0(VALU_DEP_2)
	v_and_b32_e32 v8, 0xffff, v8
	;;#ASMSTART
	v_cvt_f32_f16 v105, v8;
	;;#ASMEND
	v_or_b32_e32 v8, v60, v90
	;;#ASMSTART
	v_cvt_f32_f16 v104, v24;
	;;#ASMEND
	v_fma_mixlo_f16 v24, v15, v60, 0 op_sel:[0,1,0] op_sel_hi:[0,1,0]
	;;#ASMSTART
	v_cvt_f32_f16 v69, v64;
	;;#ASMEND
	;;#ASMSTART
	v_cvt_f32_f16 v68, v29;
	;;#ASMEND
	v_fma_mixlo_f16 v8, v15, v8, 0 op_sel_hi:[0,1,0]
	s_delay_alu instid0(VALU_DEP_2) | instskip(NEXT) | instid1(VALU_DEP_2)
	v_and_b32_e32 v24, 0xffff, v24
	v_and_b32_e32 v8, 0xffff, v8
	;;#ASMSTART
	v_cvt_f32_f16 v71, v8;
	;;#ASMEND
	v_or_b32_e32 v8, v66, v91
	;;#ASMSTART
	v_cvt_f32_f16 v70, v24;
	;;#ASMEND
	v_fma_mixlo_f16 v24, v15, v66, 0 op_sel:[0,1,0] op_sel_hi:[0,1,0]
	;;#ASMSTART
	v_cvt_f32_f16 v65, v65;
	;;#ASMEND
	;;#ASMSTART
	v_cvt_f32_f16 v64, v67;
	;;#ASMEND
	v_fma_mixlo_f16 v8, v15, v8, 0 op_sel_hi:[0,1,0]
	s_delay_alu instid0(VALU_DEP_2) | instskip(NEXT) | instid1(VALU_DEP_2)
	v_and_b32_e32 v24, 0xffff, v24
	v_and_b32_e32 v8, 0xffff, v8
	;;#ASMSTART
	v_cvt_f32_f16 v67, v8;
	;;#ASMEND
	;;#ASMSTART
	v_cvt_f32_f16 v66, v24;
	;;#ASMEND
	ds_load_b128 v[90:93], v25 offset:96
	s_wait_dscnt 0x0
	v_and_b32_e32 v8, 0xffff, v90
	;;#ASMSTART
	v_cvt_f32_f16 v122, v8;
	;;#ASMEND
	v_dual_lshrrev_b32 v24, 16, v90 :: v_dual_bitop2_b32 v8, v72, v81 bitop3:0x54
	;;#ASMSTART
	v_cvt_f32_f16 v123, v24;
	;;#ASMEND
	v_dual_lshrrev_b32 v82, 16, v93 :: v_dual_lshrrev_b32 v29, 16, v92
	s_delay_alu instid0(VALU_DEP_2) | instskip(NEXT) | instid1(VALU_DEP_3)
	v_fma_mixlo_f16 v8, v15, v8, 0 op_sel_hi:[0,1,0]
	v_fma_mixlo_f16 v24, v15, v72, 0 op_sel:[0,1,0] op_sel_hi:[0,1,0]
	s_delay_alu instid0(VALU_DEP_2) | instskip(NEXT) | instid1(VALU_DEP_2)
	v_and_b32_e32 v8, 0xffff, v8
	v_and_b32_e32 v24, 0xffff, v24
	;;#ASMSTART
	v_cvt_f32_f16 v80, v8;
	;;#ASMEND
	v_lshrrev_b32_e32 v8, 16, v91
	;;#ASMSTART
	v_cvt_f32_f16 v81, v24;
	;;#ASMEND
	v_and_b32_e32 v24, 0xffff, v91
	;;#ASMSTART
	v_cvt_f32_f16 v91, v24;
	;;#ASMEND
	;;#ASMSTART
	v_cvt_f32_f16 v90, v8;
	;;#ASMEND
	v_or_b32_e32 v8, v79, v85
	v_pk_fma_f32 v[120:121], v[122:123], v[80:81], v[120:121]
	v_fma_mixlo_f16 v24, v15, v79, 0 op_sel:[0,1,0] op_sel_hi:[0,1,0]
	v_and_b32_e32 v81, 0xffff, v93
	v_and_b32_e32 v80, 0xffff, v92
	v_fma_mixlo_f16 v8, v15, v8, 0 op_sel_hi:[0,1,0]
	s_delay_alu instid0(VALU_DEP_4) | instskip(NEXT) | instid1(VALU_DEP_2)
	v_and_b32_e32 v24, 0xffff, v24
	v_and_b32_e32 v8, 0xffff, v8
	;;#ASMSTART
	v_cvt_f32_f16 v93, v8;
	;;#ASMEND
	v_or_b32_e32 v8, v76, v87
	;;#ASMSTART
	v_cvt_f32_f16 v92, v24;
	;;#ASMEND
	v_fma_mixlo_f16 v24, v15, v76, 0 op_sel:[0,1,0] op_sel_hi:[0,1,0]
	;;#ASMSTART
	v_cvt_f32_f16 v85, v80;
	;;#ASMEND
	;;#ASMSTART
	v_cvt_f32_f16 v84, v29;
	;;#ASMEND
	v_fma_mixlo_f16 v8, v15, v8, 0 op_sel_hi:[0,1,0]
	s_delay_alu instid0(VALU_DEP_2) | instskip(NEXT) | instid1(VALU_DEP_2)
	v_and_b32_e32 v24, 0xffff, v24
	v_and_b32_e32 v8, 0xffff, v8
	;;#ASMSTART
	v_cvt_f32_f16 v87, v8;
	;;#ASMEND
	v_or_b32_e32 v8, v78, v83
	;;#ASMSTART
	v_cvt_f32_f16 v86, v24;
	;;#ASMEND
	v_fma_mixlo_f16 v24, v15, v78, 0 op_sel:[0,1,0] op_sel_hi:[0,1,0]
	;;#ASMSTART
	v_cvt_f32_f16 v81, v81;
	;;#ASMEND
	;;#ASMSTART
	v_cvt_f32_f16 v80, v82;
	;;#ASMEND
	v_fma_mixlo_f16 v8, v15, v8, 0 op_sel_hi:[0,1,0]
	s_delay_alu instid0(VALU_DEP_2) | instskip(NEXT) | instid1(VALU_DEP_2)
	v_and_b32_e32 v24, 0xffff, v24
	v_and_b32_e32 v8, 0xffff, v8
	;;#ASMSTART
	v_cvt_f32_f16 v83, v8;
	;;#ASMEND
	;;#ASMSTART
	v_cvt_f32_f16 v82, v24;
	;;#ASMEND
	ds_load_b128 v[76:79], v25 offset:112
	s_wait_dscnt 0x0
	v_and_b32_e32 v8, 0xffff, v76
	;;#ASMSTART
	v_cvt_f32_f16 v122, v8;
	;;#ASMEND
	v_or_b32_e32 v8, v112, v88
	v_lshrrev_b32_e32 v24, 16, v76
	;;#ASMSTART
	v_cvt_f32_f16 v123, v24;
	;;#ASMEND
	v_lshrrev_b32_e32 v29, 16, v78
	s_delay_alu instid0(VALU_DEP_3) | instskip(NEXT) | instid1(VALU_DEP_3)
	v_fma_mixlo_f16 v8, v15, v8, 0 op_sel_hi:[0,1,0]
	v_fma_mixlo_f16 v24, v15, v112, 0 op_sel:[0,1,0] op_sel_hi:[0,1,0]
	s_delay_alu instid0(VALU_DEP_2) | instskip(NEXT) | instid1(VALU_DEP_2)
	v_and_b32_e32 v8, 0xffff, v8
	v_and_b32_e32 v24, 0xffff, v24
	;;#ASMSTART
	v_cvt_f32_f16 v112, v8;
	;;#ASMEND
	v_lshrrev_b32_e32 v8, 16, v77
	;;#ASMSTART
	v_cvt_f32_f16 v113, v24;
	;;#ASMEND
	v_pk_fma_f32 v[120:121], v[122:123], v[112:113], v[120:121]
	v_pk_fma_f32 v[122:123], v[100:101], v[102:103], v[34:35]
	v_and_b32_e32 v24, 0xffff, v77
	v_and_b32_e32 v34, 0xffff, v78
	v_lshrrev_b32_e32 v100, 16, v79
	v_and_b32_e32 v35, 0xffff, v79
	;;#ASMSTART
	v_cvt_f32_f16 v79, v24;
	;;#ASMEND
	;;#ASMSTART
	v_cvt_f32_f16 v78, v8;
	;;#ASMEND
	v_or_b32_e32 v8, v89, v109
	v_fma_mixlo_f16 v24, v15, v89, 0 op_sel:[0,1,0] op_sel_hi:[0,1,0]
	v_pk_fma_f32 v[122:123], v[114:115], v[116:117], v[122:123]
	s_delay_alu instid0(VALU_DEP_3) | instskip(NEXT) | instid1(VALU_DEP_3)
	v_fma_mixlo_f16 v8, v15, v8, 0 op_sel_hi:[0,1,0]
	v_and_b32_e32 v24, 0xffff, v24
	s_delay_alu instid0(VALU_DEP_2)
	v_and_b32_e32 v8, 0xffff, v8
	;;#ASMSTART
	v_cvt_f32_f16 v89, v8;
	;;#ASMEND
	v_or_b32_e32 v8, v108, v61
	;;#ASMSTART
	v_cvt_f32_f16 v88, v24;
	;;#ASMEND
	v_fma_mixlo_f16 v24, v15, v108, 0 op_sel:[0,1,0] op_sel_hi:[0,1,0]
	;;#ASMSTART
	v_cvt_f32_f16 v103, v34;
	;;#ASMEND
	;;#ASMSTART
	v_cvt_f32_f16 v102, v29;
	;;#ASMEND
	v_fma_mixlo_f16 v8, v15, v8, 0 op_sel_hi:[0,1,0]
	s_delay_alu instid0(VALU_DEP_2) | instskip(NEXT) | instid1(VALU_DEP_2)
	v_and_b32_e32 v24, 0xffff, v24
	v_and_b32_e32 v8, 0xffff, v8
	;;#ASMSTART
	v_cvt_f32_f16 v113, v8;
	;;#ASMEND
	v_or_b32_e32 v8, v110, v111
	;;#ASMSTART
	v_cvt_f32_f16 v112, v24;
	;;#ASMEND
	v_fma_mixlo_f16 v24, v15, v110, 0 op_sel:[0,1,0] op_sel_hi:[0,1,0]
	;;#ASMSTART
	v_cvt_f32_f16 v35, v35;
	;;#ASMEND
	;;#ASMSTART
	v_cvt_f32_f16 v34, v100;
	;;#ASMEND
	v_fma_mixlo_f16 v8, v15, v8, 0 op_sel_hi:[0,1,0]
	s_delay_alu instid0(VALU_DEP_2) | instskip(NEXT) | instid1(VALU_DEP_2)
	v_and_b32_e32 v24, 0xffff, v24
	v_and_b32_e32 v8, 0xffff, v8
	;;#ASMSTART
	v_cvt_f32_f16 v101, v8;
	;;#ASMEND
	;;#ASMSTART
	v_cvt_f32_f16 v100, v24;
	;;#ASMEND
	ds_load_b128 v[108:111], v25 offset:128
	s_wait_dscnt 0x0
	v_and_b32_e32 v8, 0xffff, v108
	;;#ASMSTART
	v_cvt_f32_f16 v76, v8;
	;;#ASMEND
	v_dual_lshrrev_b32 v24, 16, v108 :: v_dual_bitop2_b32 v8, v119, v118 bitop3:0x54
	;;#ASMSTART
	v_cvt_f32_f16 v77, v24;
	;;#ASMEND
	v_lshrrev_b32_e32 v29, 16, v110
	v_and_b32_e32 v114, 0xffff, v110
	s_delay_alu instid0(VALU_DEP_3)
	v_fma_mixlo_f16 v8, v15, v8, 0 op_sel_hi:[0,1,0]
	v_fma_mixlo_f16 v24, v15, v119, 0 op_sel:[0,1,0] op_sel_hi:[0,1,0]
	v_lshrrev_b32_e32 v116, 16, v111
	v_and_b32_e32 v115, 0xffff, v111
	v_pk_fma_f32 v[110:111], v[42:43], v[46:47], v[122:123]
	v_and_b32_e32 v8, 0xffff, v8
	v_and_b32_e32 v24, 0xffff, v24
	;;#ASMSTART
	v_cvt_f32_f16 v118, v8;
	;;#ASMEND
	v_lshrrev_b32_e32 v8, 16, v109
	;;#ASMSTART
	v_cvt_f32_f16 v119, v24;
	;;#ASMEND
	v_and_b32_e32 v24, 0xffff, v109
	;;#ASMSTART
	v_cvt_f32_f16 v61, v24;
	;;#ASMEND
	;;#ASMSTART
	v_cvt_f32_f16 v60, v8;
	;;#ASMEND
	v_or_b32_e32 v8, v75, v73
	v_pk_fma_f32 v[120:121], v[76:77], v[118:119], v[120:121]
	v_fma_mixlo_f16 v24, v15, v75, 0 op_sel:[0,1,0] op_sel_hi:[0,1,0]
	v_pk_fma_f32 v[110:111], v[94:95], v[104:105], v[110:111]
	s_delay_alu instid0(VALU_DEP_4) | instskip(NEXT) | instid1(VALU_DEP_3)
	v_fma_mixlo_f16 v8, v15, v8, 0 op_sel_hi:[0,1,0]
	v_and_b32_e32 v24, 0xffff, v24
	s_delay_alu instid0(VALU_DEP_2)
	v_and_b32_e32 v8, 0xffff, v8
	;;#ASMSTART
	v_cvt_f32_f16 v73, v8;
	;;#ASMEND
	v_or_b32_e32 v8, v40, v41
	;;#ASMSTART
	v_cvt_f32_f16 v72, v24;
	;;#ASMEND
	v_fma_mixlo_f16 v24, v15, v40, 0 op_sel:[0,1,0] op_sel_hi:[0,1,0]
	;;#ASMSTART
	v_cvt_f32_f16 v119, v114;
	;;#ASMEND
	;;#ASMSTART
	v_cvt_f32_f16 v118, v29;
	;;#ASMEND
	v_fma_mixlo_f16 v8, v15, v8, 0 op_sel_hi:[0,1,0]
	s_delay_alu instid0(VALU_DEP_2) | instskip(NEXT) | instid1(VALU_DEP_2)
	v_and_b32_e32 v24, 0xffff, v24
	v_and_b32_e32 v8, 0xffff, v8
	;;#ASMSTART
	v_cvt_f32_f16 v41, v8;
	;;#ASMEND
	v_or_b32_e32 v8, v58, v74
	;;#ASMSTART
	v_cvt_f32_f16 v40, v24;
	;;#ASMEND
	v_fma_mixlo_f16 v24, v15, v58, 0 op_sel:[0,1,0] op_sel_hi:[0,1,0]
	;;#ASMSTART
	v_cvt_f32_f16 v115, v115;
	;;#ASMEND
	;;#ASMSTART
	v_cvt_f32_f16 v114, v116;
	;;#ASMEND
	v_fma_mixlo_f16 v8, v15, v8, 0 op_sel_hi:[0,1,0]
	s_delay_alu instid0(VALU_DEP_2) | instskip(NEXT) | instid1(VALU_DEP_2)
	v_and_b32_e32 v24, 0xffff, v24
	v_and_b32_e32 v8, 0xffff, v8
	;;#ASMSTART
	v_cvt_f32_f16 v117, v8;
	;;#ASMEND
	;;#ASMSTART
	v_cvt_f32_f16 v116, v24;
	;;#ASMEND
	ds_load_b128 v[74:77], v25 offset:144
	s_wait_dscnt 0x0
	v_and_b32_e32 v8, 0xffff, v74
	;;#ASMSTART
	v_cvt_f32_f16 v108, v8;
	;;#ASMEND
	v_or_b32_e32 v8, v59, v106
	v_lshrrev_b32_e32 v24, 16, v74
	;;#ASMSTART
	v_cvt_f32_f16 v109, v24;
	;;#ASMEND
	v_lshrrev_b32_e32 v46, 16, v77
	v_and_b32_e32 v43, 0xffff, v77
	v_fma_mixlo_f16 v8, v15, v8, 0 op_sel_hi:[0,1,0]
	v_fma_mixlo_f16 v24, v15, v59, 0 op_sel:[0,1,0] op_sel_hi:[0,1,0]
	v_lshrrev_b32_e32 v29, 16, v76
	v_and_b32_e32 v42, 0xffff, v76
	s_delay_alu instid0(VALU_DEP_4) | instskip(NEXT) | instid1(VALU_DEP_4)
	v_and_b32_e32 v8, 0xffff, v8
	v_and_b32_e32 v24, 0xffff, v24
	;;#ASMSTART
	v_cvt_f32_f16 v58, v8;
	;;#ASMEND
	v_lshrrev_b32_e32 v8, 16, v75
	;;#ASMSTART
	v_cvt_f32_f16 v59, v24;
	;;#ASMEND
	v_and_b32_e32 v24, 0xffff, v75
	;;#ASMSTART
	v_cvt_f32_f16 v75, v24;
	;;#ASMEND
	;;#ASMSTART
	v_cvt_f32_f16 v74, v8;
	;;#ASMEND
	v_or_b32_e32 v8, v62, v107
	v_pk_fma_f32 v[108:109], v[108:109], v[58:59], v[120:121]
	v_fma_mixlo_f16 v24, v15, v62, 0 op_sel:[0,1,0] op_sel_hi:[0,1,0]
	s_delay_alu instid0(VALU_DEP_3) | instskip(NEXT) | instid1(VALU_DEP_2)
	v_fma_mixlo_f16 v8, v15, v8, 0 op_sel_hi:[0,1,0]
	v_and_b32_e32 v24, 0xffff, v24
	s_delay_alu instid0(VALU_DEP_2)
	v_and_b32_e32 v8, 0xffff, v8
	;;#ASMSTART
	v_cvt_f32_f16 v77, v8;
	;;#ASMEND
	v_or_b32_e32 v8, v63, v125
	;;#ASMSTART
	v_cvt_f32_f16 v76, v24;
	;;#ASMEND
	;;#ASMSTART
	v_cvt_f32_f16 v59, v42;
	;;#ASMEND
	;;#ASMSTART
	v_cvt_f32_f16 v58, v29;
	;;#ASMEND
	v_fma_mixlo_f16 v24, v15, v63, 0 op_sel:[0,1,0] op_sel_hi:[0,1,0]
	v_fma_mixlo_f16 v8, v15, v8, 0 op_sel_hi:[0,1,0]
	s_delay_alu instid0(VALU_DEP_2) | instskip(NEXT) | instid1(VALU_DEP_2)
	v_and_b32_e32 v24, 0xffff, v24
	v_and_b32_e32 v8, 0xffff, v8
	;;#ASMSTART
	v_cvt_f32_f16 v63, v8;
	;;#ASMEND
	v_or_b32_e32 v8, v18, v19
	v_fma_mixlo_f16 v19, v15, v18, 0 op_sel:[0,1,0] op_sel_hi:[0,1,0]
	;;#ASMSTART
	v_cvt_f32_f16 v62, v24;
	;;#ASMEND
	;;#ASMSTART
	v_cvt_f32_f16 v43, v43;
	;;#ASMEND
	;; [unrolled: 3-line block ×3, first 2 shown]
	v_fma_mixlo_f16 v8, v15, v8, 0 op_sel_hi:[0,1,0]
	v_and_b32_e32 v19, 0xffff, v19
	v_fma_mixlo_f16 v18, v15, v9, 0 op_sel:[0,1,0] op_sel_hi:[0,1,0]
	s_delay_alu instid0(VALU_DEP_3)
	v_and_b32_e32 v8, 0xffff, v8
	;;#ASMSTART
	v_cvt_f32_f16 v47, v8;
	;;#ASMEND
	;;#ASMSTART
	v_cvt_f32_f16 v46, v19;
	;;#ASMEND
	ds_load_b128 v[120:123], v25 offset:160
	v_and_b32_e32 v18, 0xffff, v18
	s_wait_dscnt 0x0
	v_and_b32_e32 v8, 0xffff, v120
	;;#ASMSTART
	v_cvt_f32_f16 v106, v8;
	;;#ASMEND
	v_or_b32_e32 v8, v9, v28
	v_lshrrev_b32_e32 v19, 16, v120
	;;#ASMSTART
	v_cvt_f32_f16 v107, v19;
	;;#ASMEND
	v_fma_mixlo_f16 v9, v15, v20, 0 op_sel:[0,1,0] op_sel_hi:[0,1,0]
	v_lshrrev_b32_e32 v19, 16, v122
	v_fma_mixlo_f16 v8, v15, v8, 0 op_sel_hi:[0,1,0]
	v_and_b32_e32 v24, 0xffff, v122
	v_lshrrev_b32_e32 v29, 16, v123
	v_and_b32_e32 v9, 0xffff, v9
	s_delay_alu instid0(VALU_DEP_4)
	v_and_b32_e32 v8, 0xffff, v8
	;;#ASMSTART
	v_cvt_f32_f16 v124, v8;
	;;#ASMEND
	v_lshrrev_b32_e32 v8, 16, v121
	;;#ASMSTART
	v_cvt_f32_f16 v125, v18;
	;;#ASMEND
	v_and_b32_e32 v18, 0xffff, v121
	;;#ASMSTART
	v_cvt_f32_f16 v105, v18;
	;;#ASMEND
	;;#ASMSTART
	v_cvt_f32_f16 v104, v8;
	;;#ASMEND
	v_or_b32_e32 v8, v20, v21
	v_pk_fma_f32 v[108:109], v[106:107], v[124:125], v[108:109]
	v_pk_fma_f32 v[124:125], v[44:45], v[56:57], v[32:33]
	v_and_b32_e32 v32, 0xffff, v123
	s_delay_alu instid0(VALU_DEP_4) | instskip(NEXT) | instid1(VALU_DEP_1)
	v_fma_mixlo_f16 v8, v15, v8, 0 op_sel_hi:[0,1,0]
	v_and_b32_e32 v8, 0xffff, v8
	;;#ASMSTART
	v_cvt_f32_f16 v107, v8;
	;;#ASMEND
	v_or_b32_e32 v8, v22, v0
	;;#ASMSTART
	v_cvt_f32_f16 v106, v9;
	;;#ASMEND
	v_fma_mixlo_f16 v9, v15, v22, 0 op_sel:[0,1,0] op_sel_hi:[0,1,0]
	;;#ASMSTART
	v_cvt_f32_f16 v57, v24;
	;;#ASMEND
	;;#ASMSTART
	v_cvt_f32_f16 v56, v19;
	;;#ASMEND
	v_fma_mixlo_f16 v8, v15, v8, 0 op_sel_hi:[0,1,0]
	s_delay_alu instid0(VALU_DEP_2) | instskip(NEXT) | instid1(VALU_DEP_2)
	v_and_b32_e32 v9, 0xffff, v9
	v_and_b32_e32 v8, 0xffff, v8
	;;#ASMSTART
	v_cvt_f32_f16 v95, v8;
	;;#ASMEND
	v_or_b32_e32 v8, v27, v7
	;;#ASMSTART
	v_cvt_f32_f16 v94, v9;
	;;#ASMEND
	v_fma_mixlo_f16 v9, v15, v27, 0 op_sel:[0,1,0] op_sel_hi:[0,1,0]
	;;#ASMSTART
	v_cvt_f32_f16 v33, v32;
	;;#ASMEND
	;;#ASMSTART
	v_cvt_f32_f16 v32, v29;
	;;#ASMEND
	v_fma_mixlo_f16 v8, v15, v8, 0 op_sel_hi:[0,1,0]
	v_pk_fma_f32 v[28:29], v[2:3], v[4:5], v[124:125]
	v_and_b32_e32 v9, 0xffff, v9
	s_delay_alu instid0(VALU_DEP_3)
	v_and_b32_e32 v8, 0xffff, v8
	;;#ASMSTART
	v_cvt_f32_f16 v45, v8;
	;;#ASMEND
	;;#ASMSTART
	v_cvt_f32_f16 v44, v9;
	;;#ASMEND
	ds_load_b128 v[120:123], v25 offset:176
	v_pk_fma_f32 v[96:97], v[96:97], v[98:99], v[28:29]
	v_fma_mixlo_f16 v28, v15, v6, 0 op_sel:[0,1,0] op_sel_hi:[0,1,0]
	s_wait_dscnt 0x0
	v_and_b32_e32 v8, 0xffff, v120
	v_lshrrev_b32_e32 v9, 16, v120
	;;#ASMSTART
	v_cvt_f32_f16 v18, v8;
	;;#ASMEND
	;;#ASMSTART
	v_cvt_f32_f16 v19, v9;
	;;#ASMEND
	s_clause 0x1
	scratch_load_b32 v0, off, s32 offset:220 th:TH_LOAD_LU
	scratch_load_b32 v7, off, s32 offset:228 th:TH_LOAD_LU
	v_and_b32_e32 v3, 0xffff, v121
	v_dual_lshrrev_b32 v2, 16, v121 :: v_dual_lshrrev_b32 v4, 16, v122
	v_and_b32_e32 v5, 0xffff, v122
	v_lshrrev_b32_e32 v20, 16, v123
	v_and_b32_e32 v21, 0xffff, v123
	s_wait_loadcnt 0x0
	v_or_b32_e32 v8, v7, v0
	v_fma_mixlo_f16 v9, v15, v7, 0 op_sel:[0,1,0] op_sel_hi:[0,1,0]
	s_delay_alu instid0(VALU_DEP_2) | instskip(NEXT) | instid1(VALU_DEP_2)
	v_fma_mixlo_f16 v8, v15, v8, 0 op_sel_hi:[0,1,0]
	v_and_b32_e32 v9, 0xffff, v9
	s_delay_alu instid0(VALU_DEP_2)
	v_and_b32_e32 v8, 0xffff, v8
	;;#ASMSTART
	v_cvt_f32_f16 v8, v8;
	;;#ASMEND
	;;#ASMSTART
	v_cvt_f32_f16 v9, v9;
	;;#ASMEND
	;; [unrolled: 3-line block ×4, first 2 shown]
	s_clause 0x1
	scratch_load_b32 v0, off, s32 offset:224 th:TH_LOAD_LU
	scratch_load_b32 v3, off, s32 offset:236 th:TH_LOAD_LU
	v_pk_fma_f32 v[8:9], v[18:19], v[8:9], v[108:109]
	v_pk_fma_f32 v[18:19], v[90:91], v[92:93], v[110:111]
	s_delay_alu instid0(VALU_DEP_1) | instskip(SKIP_3) | instid1(VALU_DEP_2)
	v_pk_fma_f32 v[78:79], v[78:79], v[88:89], v[18:19]
	s_wait_loadcnt 0x0
	v_or_b32_e32 v2, v3, v0
	v_fma_mixlo_f16 v3, v15, v3, 0 op_sel:[0,1,0] op_sel_hi:[0,1,0]
	v_fma_mixlo_f16 v2, v15, v2, 0 op_sel_hi:[0,1,0]
	s_delay_alu instid0(VALU_DEP_2) | instskip(NEXT) | instid1(VALU_DEP_2)
	v_and_b32_e32 v3, 0xffff, v3
	v_and_b32_e32 v2, 0xffff, v2
	;;#ASMSTART
	v_cvt_f32_f16 v123, v2;
	;;#ASMEND
	;;#ASMSTART
	v_cvt_f32_f16 v122, v3;
	;;#ASMEND
	;; [unrolled: 3-line block ×4, first 2 shown]
	s_clause 0x1
	scratch_load_b32 v0, off, s32 offset:232 th:TH_LOAD_LU
	scratch_load_b32 v3, off, s32 offset:244 th:TH_LOAD_LU
	s_wait_loadcnt 0x0
	v_or_b32_e32 v2, v3, v0
	v_fma_mixlo_f16 v3, v15, v3, 0 op_sel:[0,1,0] op_sel_hi:[0,1,0]
	s_delay_alu instid0(VALU_DEP_2) | instskip(NEXT) | instid1(VALU_DEP_2)
	v_fma_mixlo_f16 v2, v15, v2, 0 op_sel_hi:[0,1,0]
	v_and_b32_e32 v3, 0xffff, v3
	s_delay_alu instid0(VALU_DEP_2)
	v_and_b32_e32 v2, 0xffff, v2
	;;#ASMSTART
	v_cvt_f32_f16 v111, v2;
	;;#ASMEND
	;;#ASMSTART
	v_cvt_f32_f16 v110, v3;
	;;#ASMEND
	;; [unrolled: 3-line block ×4, first 2 shown]
	scratch_load_b32 v0, off, s32 offset:240 th:TH_LOAD_LU ; 4-byte Folded Reload
	v_fma_mixlo_f16 v3, v15, v11, 0 op_sel:[0,1,0] op_sel_hi:[0,1,0]
	s_delay_alu instid0(VALU_DEP_1) | instskip(SKIP_2) | instid1(VALU_DEP_1)
	v_and_b32_e32 v3, 0xffff, v3
	s_wait_loadcnt 0x0
	v_or_b32_e32 v2, v11, v0
	v_fma_mixlo_f16 v2, v15, v2, 0 op_sel_hi:[0,1,0]
	s_delay_alu instid0(VALU_DEP_1)
	v_and_b32_e32 v2, 0xffff, v2
	;;#ASMSTART
	v_cvt_f32_f16 v93, v2;
	;;#ASMEND
	;;#ASMSTART
	v_cvt_f32_f16 v92, v3;
	;;#ASMEND
	ds_load_b128 v[2:5], v25 offset:192
	s_wait_dscnt 0x0
	v_and_b32_e32 v11, 0xffff, v2
	v_lshrrev_b32_e32 v2, 16, v2
	;;#ASMSTART
	v_cvt_f32_f16 v124, v11;
	;;#ASMEND
	;;#ASMSTART
	v_cvt_f32_f16 v125, v2;
	;;#ASMEND
	scratch_load_b32 v0, off, s32 offset:248 th:TH_LOAD_LU ; 4-byte Folded Reload
	v_fma_mixlo_f16 v11, v15, v17, 0 op_sel:[0,1,0] op_sel_hi:[0,1,0]
	v_lshrrev_b32_e32 v22, 16, v4
	v_and_b32_e32 v4, 0xffff, v4
	v_lshrrev_b32_e32 v24, 16, v5
	v_and_b32_e32 v5, 0xffff, v5
	v_and_b32_e32 v11, 0xffff, v11
	s_wait_loadcnt 0x0
	v_or_b32_e32 v2, v17, v0
	v_and_b32_e32 v17, 0xffff, v3
	s_delay_alu instid0(VALU_DEP_2) | instskip(NEXT) | instid1(VALU_DEP_1)
	v_fma_mixlo_f16 v2, v15, v2, 0 op_sel_hi:[0,1,0]
	v_and_b32_e32 v2, 0xffff, v2
	;;#ASMSTART
	v_cvt_f32_f16 v20, v2;
	;;#ASMEND
	;;#ASMSTART
	v_cvt_f32_f16 v21, v11;
	;;#ASMEND
	scratch_load_b32 v0, off, s32 offset:252 th:TH_LOAD_LU ; 4-byte Folded Reload
	v_pk_fma_f32 v[124:125], v[124:125], v[20:21], v[8:9]
	v_lshrrev_b32_e32 v11, 16, v3
	v_fma_mixlo_f16 v3, v15, v26, 0 op_sel:[0,1,0] op_sel_hi:[0,1,0]
	v_pk_fma_f32 v[8:9], v[52:53], v[54:55], v[30:31]
	s_delay_alu instid0(VALU_DEP_1) | instskip(NEXT) | instid1(VALU_DEP_1)
	v_pk_fma_f32 v[8:9], v[36:37], v[38:39], v[8:9]
	v_pk_fma_f32 v[8:9], v[48:49], v[50:51], v[8:9]
	s_delay_alu instid0(VALU_DEP_1) | instskip(NEXT) | instid1(VALU_DEP_1)
	v_pk_fma_f32 v[8:9], v[64:65], v[66:67], v[8:9]
	;; [unrolled: 3-line block ×4, first 2 shown]
	v_pk_fma_f32 v[8:9], v[32:33], v[44:45], v[8:9]
	s_wait_loadcnt 0x0
	v_or_b32_e32 v2, v26, v0
	scratch_load_b32 v0, off, s32 offset:256 th:TH_LOAD_LU ; 4-byte Folded Reload
	;;#ASMSTART
	v_cvt_f32_f16 v19, v17;
	;;#ASMEND
	;;#ASMSTART
	v_cvt_f32_f16 v18, v11;
	;;#ASMEND
	v_and_b32_e32 v17, 0xffff, v3
	v_fma_mixlo_f16 v2, v15, v2, 0 op_sel_hi:[0,1,0]
	s_delay_alu instid0(VALU_DEP_1)
	v_and_b32_e32 v20, 0xffff, v2
	;;#ASMSTART
	v_cvt_f32_f16 v21, v20;
	;;#ASMEND
	s_wait_loadcnt 0x0
	v_or_b32_e32 v2, v1, v0
	scratch_load_b32 v0, off, s32 offset:260 th:TH_LOAD_LU ; 4-byte Folded Reload
	;;#ASMSTART
	v_cvt_f32_f16 v20, v17;
	;;#ASMEND
	;;#ASMSTART
	v_cvt_f32_f16 v55, v4;
	;;#ASMEND
	v_fma_mixlo_f16 v1, v15, v1, 0 op_sel:[0,1,0] op_sel_hi:[0,1,0]
	v_fma_mixlo_f16 v2, v15, v2, 0 op_sel_hi:[0,1,0]
	;;#ASMSTART
	v_cvt_f32_f16 v54, v22;
	;;#ASMEND
	s_delay_alu instid0(VALU_DEP_2) | instskip(NEXT) | instid1(VALU_DEP_2)
	v_and_b32_e32 v1, 0xffff, v1
	v_and_b32_e32 v4, 0xffff, v2
	;;#ASMSTART
	v_cvt_f32_f16 v99, v4;
	;;#ASMEND
	;;#ASMSTART
	v_cvt_f32_f16 v98, v1;
	;;#ASMEND
	;; [unrolled: 3-line block ×4, first 2 shown]
	s_wait_loadcnt 0x0
	v_or_b32_e32 v3, v13, v0
	s_delay_alu instid0(VALU_DEP_1) | instskip(SKIP_1) | instid1(VALU_DEP_2)
	v_fma_mixlo_f16 v2, v15, v3, 0 op_sel_hi:[0,1,0]
	v_fma_mixlo_f16 v3, v15, v13, 0 op_sel:[0,1,0] op_sel_hi:[0,1,0]
	v_and_b32_e32 v2, 0xffff, v2
	s_delay_alu instid0(VALU_DEP_2)
	v_and_b32_e32 v3, 0xffff, v3
	;;#ASMSTART
	v_cvt_f32_f16 v53, v2;
	;;#ASMEND
	;;#ASMSTART
	v_cvt_f32_f16 v52, v3;
	;;#ASMEND
	ds_load_b128 v[2:5], v25 offset:208
	s_wait_dscnt 0x0
	v_and_b32_e32 v1, 0xffff, v2
	v_lshrrev_b32_e32 v2, 16, v2
	;;#ASMSTART
	v_cvt_f32_f16 v26, v1;
	;;#ASMEND
	;;#ASMSTART
	v_cvt_f32_f16 v27, v2;
	;;#ASMEND
	scratch_load_b32 v0, off, s32 offset:264 th:TH_LOAD_LU ; 4-byte Folded Reload
	v_fma_mixlo_f16 v1, v15, v10, 0 op_sel:[0,1,0] op_sel_hi:[0,1,0]
	s_delay_alu instid0(VALU_DEP_1) | instskip(SKIP_3) | instid1(VALU_DEP_2)
	v_and_b32_e32 v1, 0xffff, v1
	s_wait_loadcnt 0x0
	v_or_b32_e32 v0, v10, v0
	v_pk_fma_f32 v[10:11], v[60:61], v[72:73], v[78:79]
	v_fma_mixlo_f16 v0, v15, v0, 0 op_sel_hi:[0,1,0]
	s_delay_alu instid0(VALU_DEP_1) | instskip(SKIP_2) | instid1(VALU_DEP_1)
	v_and_b32_e32 v0, 0xffff, v0
	;;#ASMSTART
	v_cvt_f32_f16 v0, v0;
	;;#ASMEND
	;;#ASMSTART
	v_cvt_f32_f16 v1, v1;
	;;#ASMEND
	v_pk_fma_f32 v[0:1], v[26:27], v[0:1], v[124:125]
	s_clause 0x2
	scratch_load_b64 v[124:125], off, s32 offset:304
	scratch_load_b32 v7, off, s32 offset:268 th:TH_LOAD_LU
	scratch_load_b32 v22, off, s32 offset:272 th:TH_LOAD_LU
	v_pk_fma_f32 v[26:27], v[68:69], v[70:71], v[96:97]
	s_wait_loadcnt 0x1
	v_dual_sub_nc_u32 v2, 1, v124 :: v_dual_bitop2_b32 v7, v16, v7 bitop3:0x54
	v_cmp_lt_i32_e64 s1, v127, v124
	v_fma_mixlo_f16 v16, v15, v16, 0 op_sel:[0,1,0] op_sel_hi:[0,1,0]
	s_delay_alu instid0(VALU_DEP_3) | instskip(NEXT) | instid1(VALU_DEP_4)
	v_add_nc_u32_e32 v2, v2, v127
	v_fma_mixlo_f16 v17, v15, v7, 0 op_sel_hi:[0,1,0]
	v_add_nc_u32_e32 v127, 0x80, v127
	s_delay_alu instid0(VALU_DEP_4) | instskip(NEXT) | instid1(VALU_DEP_4)
	v_and_b32_e32 v16, 0xffff, v16
	v_cvt_f32_i32_e32 v13, v2
	s_wait_loadcnt 0x0
	v_or_b32_e32 v2, v22, v14
	v_or_b32_e32 v14, v6, v23
	v_pk_fma_f32 v[6:7], v[84:85], v[86:87], v[26:27]
	v_fma_mixlo_f16 v22, v15, v22, 0 op_sel:[0,1,0] op_sel_hi:[0,1,0]
	s_delay_alu instid0(VALU_DEP_4) | instskip(NEXT) | instid1(VALU_DEP_4)
	v_fma_mixlo_f16 v23, v15, v2, 0 op_sel_hi:[0,1,0]
	v_fma_mixlo_f16 v24, v15, v14, 0 op_sel_hi:[0,1,0]
	v_and_b32_e32 v14, 0xffff, v3
	v_lshrrev_b32_e32 v15, 16, v3
	v_pk_fma_f32 v[2:3], v[74:75], v[76:77], v[10:11]
	v_pk_fma_f32 v[6:7], v[102:103], v[112:113], v[6:7]
	;;#ASMSTART
	v_cvt_f32_f16 v11, v14;
	;;#ASMEND
	v_and_b32_e32 v14, 0xffff, v17
	;;#ASMSTART
	v_cvt_f32_f16 v10, v15;
	;;#ASMEND
	v_pk_fma_f32 v[2:3], v[104:105], v[106:107], v[2:3]
	v_pk_fma_f32 v[6:7], v[118:119], v[40:41], v[6:7]
	;;#ASMSTART
	v_cvt_f32_f16 v15, v14;
	;;#ASMEND
	;;#ASMSTART
	v_cvt_f32_f16 v14, v16;
	;;#ASMEND
	v_and_b32_e32 v16, 0xffff, v4
	v_pk_fma_f32 v[2:3], v[120:121], v[122:123], v[2:3]
	v_pk_fma_f32 v[6:7], v[58:59], v[62:63], v[6:7]
	v_lshrrev_b32_e32 v4, 16, v4
	s_delay_alu instid0(VALU_DEP_3) | instskip(NEXT) | instid1(VALU_DEP_3)
	v_pk_fma_f32 v[2:3], v[18:19], v[20:21], v[2:3]
	v_pk_fma_f32 v[6:7], v[56:57], v[94:95], v[6:7]
	s_delay_alu instid0(VALU_DEP_2) | instskip(SKIP_2) | instid1(VALU_DEP_2)
	v_pk_fma_f32 v[2:3], v[10:11], v[14:15], v[2:3]
	;;#ASMSTART
	v_cvt_f32_f16 v11, v16;
	;;#ASMEND
	;;#ASMSTART
	v_cvt_f32_f16 v10, v4;
	;;#ASMEND
	v_pk_fma_f32 v[6:7], v[108:109], v[110:111], v[6:7]
	v_add_f32_e32 v4, v0, v1
	v_and_b32_e32 v14, 0xffff, v23
	v_and_b32_e32 v15, 0xffff, v22
	;;#ASMSTART
	v_cvt_f32_f16 v1, v14;
	;;#ASMEND
	v_pk_fma_f32 v[6:7], v[54:55], v[98:99], v[6:7]
	v_add_f32_e32 v3, v4, v3
	;;#ASMSTART
	v_cvt_f32_f16 v0, v15;
	;;#ASMEND
	v_and_b32_e32 v14, 0xffff, v5
	s_delay_alu instid0(VALU_DEP_3)
	v_pk_fma_f32 v[0:1], v[10:11], v[0:1], v[6:7]
	v_lshrrev_b32_e32 v6, 16, v5
	v_pk_fma_f32 v[4:5], v[90:91], v[92:93], v[8:9]
	v_add_f32_e32 v2, v2, v3
	;;#ASMSTART
	v_cvt_f32_f16 v3, v14;
	;;#ASMEND
	v_and_b32_e32 v7, 0xffff, v24
	v_and_b32_e32 v8, 0xffff, v28
	v_pk_fma_f32 v[4:5], v[30:31], v[52:53], v[4:5]
	v_add_f32_e32 v1, v2, v1
	;;#ASMSTART
	v_cvt_f32_f16 v2, v6;
	;;#ASMEND
	;;#ASMSTART
	v_cvt_f32_f16 v7, v7;
	;;#ASMEND
	;; [unrolled: 3-line block ×3, first 2 shown]
	v_pk_fma_f32 v[2:3], v[2:3], v[6:7], v[4:5]
	v_add_f32_e32 v0, v0, v1
	s_clause 0x1
	scratch_load_b32 v1, off, s32 offset:276
	scratch_load_b32 v44, off, s32 offset:292
	v_add_f32_e32 v0, v0, v3
	s_delay_alu instid0(VALU_DEP_1)
	v_add_f32_e32 v0, v2, v0
	s_clause 0x1
	scratch_load_b32 v2, off, s32 offset:288
	scratch_load_b32 v11, off, s32 offset:208 th:TH_LOAD_LU
	s_wait_loadcnt 0x3
	v_mul_f32_e32 v1, v1, v13
	s_delay_alu instid0(VALU_DEP_1) | instskip(SKIP_1) | instid1(VALU_DEP_1)
	v_cndmask_b32_e32 v1, 0, v1, vcc_lo
	s_wait_loadcnt 0x0
	v_dual_fmac_f32 v1, v2, v0 :: v_dual_max_num_f32 v0, v11, v11
	s_delay_alu instid0(VALU_DEP_1)
	v_dual_cndmask_b32 v2, 0, v1, s1 :: v_dual_max_num_f32 v0, v0, v1
	ds_store_b32 v12, v2
	v_cndmask_b32_e64 v11, v11, v0, s1
	scratch_load_b64 v[0:1], off, s32 offset:212 th:TH_LOAD_LU ; 8-byte Folded Reload
	v_cmp_ge_i32_e64 s1, v126, v44
	v_add_nc_u32_e32 v12, 0x200, v12
	s_or_b32 s7, s1, s7
	s_wait_loadcnt 0x0
	v_add_nc_u64_e32 v[0:1], 16, v[0:1]
	s_wait_xcnt 0x0
	s_and_not1_b32 exec_lo, exec_lo, s7
	s_cbranch_execz .LBB294_903
.LBB294_10:                             ; =>This Inner Loop Header: Depth=1
	s_clause 0x1
	scratch_store_b32 off, v11, s32 offset:208
	scratch_store_b64 off, v[0:1], s32 offset:212
	flat_load_b32 v0, v[0:1]
	s_clause 0x1
	scratch_load_b64 v[2:3], off, s32 offset:200
	scratch_load_b64 v[4:5], off, s32 offset:296
	v_dual_mov_b32 v114, v126 :: v_dual_mov_b32 v113, v12
	v_mov_b32_e32 v30, 0
	s_mov_b32 s15, exec_lo
	s_wait_loadcnt_dscnt 0x0
	v_mad_nc_i64_i32 v[2:3], v0, v2, v[4:5]
	flat_load_b64 v[4:5], v[2:3]
	scratch_load_b64 v[0:1], off, s32 offset:280 ; 8-byte Folded Reload
	s_wait_loadcnt 0x0
	flat_load_b32 v15, v[0:1]
	s_wait_dscnt 0x1
	s_wait_xcnt 0x0
	v_and_b32_e32 v0, 0xff, v4
	s_delay_alu instid0(VALU_DEP_1)
	v_cmpx_ne_u16_e32 0, v0
	s_cbranch_execz .LBB294_18
; %bb.11:                               ;   in Loop: Header=BB294_10 Depth=1
	v_mov_b32_e32 v30, 0x8000
	s_mov_b32 s16, exec_lo
	v_cmpx_ne_u16_e32 0x80, v0
	s_cbranch_execz .LBB294_17
; %bb.12:                               ;   in Loop: Header=BB294_10 Depth=1
	v_and_b32_e32 v6, 0x7f, v4
	v_mov_b32_e32 v30, 0x7c01
	s_mov_b32 s17, exec_lo
	s_delay_alu instid0(VALU_DEP_2)
	v_cmpx_ne_u32_e32 0x7f, v6
	s_cbranch_execz .LBB294_16
; %bb.13:                               ;   in Loop: Header=BB294_10 Depth=1
	v_dual_lshrrev_b32 v1, 3, v6 :: v_dual_bitop2_b32 v0, 7, v4 bitop3:0x40
	s_mov_b32 s18, exec_lo
	v_cmpx_gt_u32_e32 8, v6
; %bb.14:                               ;   in Loop: Header=BB294_10 Depth=1
	s_delay_alu instid0(VALU_DEP_2) | instskip(NEXT) | instid1(VALU_DEP_1)
	v_clz_i32_u32_e32 v0, v0
	v_min_u32_e32 v6, 32, v0
	s_delay_alu instid0(VALU_DEP_1) | instskip(NEXT) | instid1(VALU_DEP_1)
	v_subrev_nc_u32_e32 v0, 28, v6
	v_lshlrev_b64_e32 v[0:1], v0, v[4:5]
	s_delay_alu instid0(VALU_DEP_1)
	v_dual_sub_nc_u32 v1, 29, v6 :: v_dual_bitop2_b32 v0, 7, v0 bitop3:0x40
; %bb.15:                               ;   in Loop: Header=BB294_10 Depth=1
	s_or_b32 exec_lo, exec_lo, s18
	v_lshlrev_b32_e32 v6, 8, v4
	s_delay_alu instid0(VALU_DEP_2) | instskip(NEXT) | instid1(VALU_DEP_3)
	v_lshl_add_u32 v1, v1, 10, 0x2000
	v_lshlrev_b32_e32 v0, 7, v0
	s_delay_alu instid0(VALU_DEP_3) | instskip(NEXT) | instid1(VALU_DEP_3)
	v_and_b32_e32 v6, 0x8000, v6
	v_and_b32_e32 v1, 0xfc00, v1
	s_delay_alu instid0(VALU_DEP_1)
	v_or3_b32 v30, v6, v1, v0
.LBB294_16:                             ;   in Loop: Header=BB294_10 Depth=1
	s_or_b32 exec_lo, exec_lo, s17
.LBB294_17:                             ;   in Loop: Header=BB294_10 Depth=1
	s_delay_alu instid0(SALU_CYCLE_1)
	s_or_b32 exec_lo, exec_lo, s16
.LBB294_18:                             ;   in Loop: Header=BB294_10 Depth=1
	s_delay_alu instid0(SALU_CYCLE_1) | instskip(SKIP_3) | instid1(VALU_DEP_2)
	s_or_b32 exec_lo, exec_lo, s15
	v_lshrrev_b16 v24, 8, v4
	v_dual_mov_b32 v31, 0 :: v_dual_mov_b32 v32, 0
	s_mov_b32 s15, exec_lo
	v_cmpx_ne_u16_e32 0, v24
	s_cbranch_execz .LBB294_26
; %bb.19:                               ;   in Loop: Header=BB294_10 Depth=1
	v_bfrev_b32_e32 v32, 1
	s_mov_b32 s16, exec_lo
	v_cmpx_ne_u16_e32 0x80, v24
	s_cbranch_execz .LBB294_25
; %bb.20:                               ;   in Loop: Header=BB294_10 Depth=1
	v_and_b32_e32 v0, 0xffff, v24
	v_mov_b32_e32 v32, 0x7c010000
	s_mov_b32 s17, exec_lo
	s_delay_alu instid0(VALU_DEP_2) | instskip(NEXT) | instid1(VALU_DEP_1)
	v_and_b32_e32 v7, 0x7f, v0
	v_cmpx_ne_u32_e32 0x7f, v7
	s_cbranch_execz .LBB294_24
; %bb.21:                               ;   in Loop: Header=BB294_10 Depth=1
	v_dual_lshrrev_b32 v6, 3, v7 :: v_dual_bitop2_b32 v1, 7, v0 bitop3:0x40
	s_mov_b32 s18, exec_lo
	v_cmpx_gt_u32_e32 8, v7
; %bb.22:                               ;   in Loop: Header=BB294_10 Depth=1
	s_delay_alu instid0(VALU_DEP_2) | instskip(NEXT) | instid1(VALU_DEP_1)
	v_clz_i32_u32_e32 v1, v1
	v_min_u32_e32 v1, 32, v1
	s_delay_alu instid0(VALU_DEP_1) | instskip(NEXT) | instid1(VALU_DEP_1)
	v_subrev_nc_u32_e32 v6, 28, v1
	v_lshlrev_b64_e32 v[8:9], v6, v[24:25]
	s_delay_alu instid0(VALU_DEP_1)
	v_dual_sub_nc_u32 v6, 29, v1 :: v_dual_bitop2_b32 v1, 7, v8 bitop3:0x40
; %bb.23:                               ;   in Loop: Header=BB294_10 Depth=1
	s_or_b32 exec_lo, exec_lo, s18
	s_delay_alu instid0(VALU_DEP_1) | instskip(NEXT) | instid1(VALU_DEP_2)
	v_dual_lshlrev_b32 v0, 8, v0 :: v_dual_lshlrev_b32 v1, 23, v1
	v_lshl_add_u32 v6, v6, 10, 0x2000
	s_delay_alu instid0(VALU_DEP_1) | instskip(NEXT) | instid1(VALU_DEP_1)
	v_and_or_b32 v0, 0x8000, v0, v6
	v_lshl_or_b32 v32, v0, 16, v1
.LBB294_24:                             ;   in Loop: Header=BB294_10 Depth=1
	s_or_b32 exec_lo, exec_lo, s17
.LBB294_25:                             ;   in Loop: Header=BB294_10 Depth=1
	s_delay_alu instid0(SALU_CYCLE_1)
	s_or_b32 exec_lo, exec_lo, s16
.LBB294_26:                             ;   in Loop: Header=BB294_10 Depth=1
	s_delay_alu instid0(SALU_CYCLE_1) | instskip(SKIP_2) | instid1(VALU_DEP_1)
	s_or_b32 exec_lo, exec_lo, s15
	v_lshrrev_b32_e32 v8, 16, v4
	s_mov_b32 s15, exec_lo
	v_and_b32_e32 v0, 0xff, v8
	s_delay_alu instid0(VALU_DEP_1)
	v_cmpx_ne_u16_e32 0, v0
	s_cbranch_execz .LBB294_34
; %bb.27:                               ;   in Loop: Header=BB294_10 Depth=1
	v_mov_b32_e32 v31, 0x8000
	s_mov_b32 s16, exec_lo
	v_cmpx_ne_u16_e32 0x80, v0
	s_cbranch_execz .LBB294_33
; %bb.28:                               ;   in Loop: Header=BB294_10 Depth=1
	v_bfe_u32 v6, v4, 16, 7
	v_mov_b32_e32 v31, 0x7c01
	s_mov_b32 s17, exec_lo
	s_delay_alu instid0(VALU_DEP_2)
	v_cmpx_ne_u32_e32 0x7f, v6
	s_cbranch_execz .LBB294_32
; %bb.29:                               ;   in Loop: Header=BB294_10 Depth=1
	v_dual_lshrrev_b32 v1, 3, v6 :: v_dual_bitop2_b32 v0, 7, v8 bitop3:0x40
	s_mov_b32 s18, exec_lo
	v_cmpx_gt_u32_e32 8, v6
; %bb.30:                               ;   in Loop: Header=BB294_10 Depth=1
	s_delay_alu instid0(VALU_DEP_2) | instskip(NEXT) | instid1(VALU_DEP_1)
	v_clz_i32_u32_e32 v0, v0
	v_min_u32_e32 v6, 32, v0
	s_delay_alu instid0(VALU_DEP_1) | instskip(NEXT) | instid1(VALU_DEP_1)
	v_subrev_nc_u32_e32 v0, 28, v6
	v_lshlrev_b64_e32 v[0:1], v0, v[8:9]
	s_delay_alu instid0(VALU_DEP_1)
	v_dual_sub_nc_u32 v1, 29, v6 :: v_dual_bitop2_b32 v0, 7, v0 bitop3:0x40
; %bb.31:                               ;   in Loop: Header=BB294_10 Depth=1
	s_or_b32 exec_lo, exec_lo, s18
	v_lshlrev_b32_e32 v6, 8, v8
	s_delay_alu instid0(VALU_DEP_2) | instskip(NEXT) | instid1(VALU_DEP_3)
	v_lshl_add_u32 v1, v1, 10, 0x2000
	v_lshlrev_b32_e32 v0, 7, v0
	s_delay_alu instid0(VALU_DEP_3) | instskip(NEXT) | instid1(VALU_DEP_3)
	v_and_b32_e32 v6, 0x8000, v6
	v_and_b32_e32 v1, 0xfc00, v1
	s_delay_alu instid0(VALU_DEP_1)
	v_or3_b32 v31, v6, v1, v0
.LBB294_32:                             ;   in Loop: Header=BB294_10 Depth=1
	s_or_b32 exec_lo, exec_lo, s17
.LBB294_33:                             ;   in Loop: Header=BB294_10 Depth=1
	s_delay_alu instid0(SALU_CYCLE_1)
	s_or_b32 exec_lo, exec_lo, s16
.LBB294_34:                             ;   in Loop: Header=BB294_10 Depth=1
	s_delay_alu instid0(SALU_CYCLE_1)
	s_or_b32 exec_lo, exec_lo, s15
	v_dual_mov_b32 v33, 0 :: v_dual_mov_b32 v34, 0
	s_mov_b32 s15, exec_lo
	v_cmpx_lt_u32_e32 0xffffff, v4
	s_cbranch_execz .LBB294_42
; %bb.35:                               ;   in Loop: Header=BB294_10 Depth=1
	v_lshrrev_b32_e32 v24, 24, v4
	v_bfrev_b32_e32 v34, 1
	s_mov_b32 s16, exec_lo
	s_delay_alu instid0(VALU_DEP_2)
	v_cmpx_ne_u32_e32 0x80, v24
	s_cbranch_execz .LBB294_41
; %bb.36:                               ;   in Loop: Header=BB294_10 Depth=1
	v_and_b32_e32 v6, 0x7f, v24
	v_mov_b32_e32 v34, 0x7c010000
	s_mov_b32 s17, exec_lo
	s_delay_alu instid0(VALU_DEP_2)
	v_cmpx_ne_u32_e32 0x7f, v6
	s_cbranch_execz .LBB294_40
; %bb.37:                               ;   in Loop: Header=BB294_10 Depth=1
	v_dual_lshrrev_b32 v1, 3, v6 :: v_dual_bitop2_b32 v0, 7, v24 bitop3:0x40
	s_mov_b32 s18, exec_lo
	v_cmpx_gt_u32_e32 8, v6
; %bb.38:                               ;   in Loop: Header=BB294_10 Depth=1
	s_delay_alu instid0(VALU_DEP_2) | instskip(NEXT) | instid1(VALU_DEP_1)
	v_clz_i32_u32_e32 v0, v0
	v_min_u32_e32 v6, 32, v0
	s_delay_alu instid0(VALU_DEP_1) | instskip(NEXT) | instid1(VALU_DEP_1)
	v_subrev_nc_u32_e32 v0, 28, v6
	v_lshlrev_b64_e32 v[0:1], v0, v[24:25]
	s_delay_alu instid0(VALU_DEP_1)
	v_dual_sub_nc_u32 v1, 29, v6 :: v_dual_bitop2_b32 v0, 7, v0 bitop3:0x40
; %bb.39:                               ;   in Loop: Header=BB294_10 Depth=1
	s_or_b32 exec_lo, exec_lo, s18
	v_lshlrev_b32_e32 v6, 8, v24
	s_delay_alu instid0(VALU_DEP_2) | instskip(NEXT) | instid1(VALU_DEP_3)
	v_lshl_add_u32 v1, v1, 10, 0x2000
	v_lshlrev_b32_e32 v0, 23, v0
	s_delay_alu instid0(VALU_DEP_2) | instskip(NEXT) | instid1(VALU_DEP_1)
	v_and_or_b32 v1, 0x8000, v6, v1
	v_lshl_or_b32 v34, v1, 16, v0
.LBB294_40:                             ;   in Loop: Header=BB294_10 Depth=1
	s_or_b32 exec_lo, exec_lo, s17
.LBB294_41:                             ;   in Loop: Header=BB294_10 Depth=1
	s_delay_alu instid0(SALU_CYCLE_1)
	s_or_b32 exec_lo, exec_lo, s16
.LBB294_42:                             ;   in Loop: Header=BB294_10 Depth=1
	s_delay_alu instid0(SALU_CYCLE_1) | instskip(SKIP_3) | instid1(VALU_DEP_2)
	s_or_b32 exec_lo, exec_lo, s15
	v_and_b32_e32 v0, 0xff, v5
	v_mov_b32_e32 v24, v5
	s_mov_b32 s15, exec_lo
	v_cmpx_ne_u16_e32 0, v0
	s_cbranch_execz .LBB294_50
; %bb.43:                               ;   in Loop: Header=BB294_10 Depth=1
	v_mov_b32_e32 v33, 0x8000
	s_mov_b32 s16, exec_lo
	v_cmpx_ne_u16_e32 0x80, v0
	s_cbranch_execz .LBB294_49
; %bb.44:                               ;   in Loop: Header=BB294_10 Depth=1
	v_and_b32_e32 v6, 0x7f, v5
	v_mov_b32_e32 v33, 0x7c01
	s_mov_b32 s17, exec_lo
	s_delay_alu instid0(VALU_DEP_2)
	v_cmpx_ne_u32_e32 0x7f, v6
	s_cbranch_execz .LBB294_48
; %bb.45:                               ;   in Loop: Header=BB294_10 Depth=1
	v_dual_lshrrev_b32 v1, 3, v6 :: v_dual_bitop2_b32 v0, 7, v5 bitop3:0x40
	s_mov_b32 s18, exec_lo
	v_cmpx_gt_u32_e32 8, v6
; %bb.46:                               ;   in Loop: Header=BB294_10 Depth=1
	s_delay_alu instid0(VALU_DEP_2) | instskip(NEXT) | instid1(VALU_DEP_1)
	v_clz_i32_u32_e32 v0, v0
	v_min_u32_e32 v6, 32, v0
	s_delay_alu instid0(VALU_DEP_1) | instskip(NEXT) | instid1(VALU_DEP_1)
	v_subrev_nc_u32_e32 v0, 28, v6
	v_lshlrev_b64_e32 v[0:1], v0, v[24:25]
	s_delay_alu instid0(VALU_DEP_1)
	v_dual_sub_nc_u32 v1, 29, v6 :: v_dual_bitop2_b32 v0, 7, v0 bitop3:0x40
; %bb.47:                               ;   in Loop: Header=BB294_10 Depth=1
	s_or_b32 exec_lo, exec_lo, s18
	s_delay_alu instid0(VALU_DEP_1) | instskip(NEXT) | instid1(VALU_DEP_2)
	v_dual_lshlrev_b32 v6, 8, v5 :: v_dual_lshlrev_b32 v0, 7, v0
	v_lshl_add_u32 v1, v1, 10, 0x2000
	s_delay_alu instid0(VALU_DEP_2) | instskip(NEXT) | instid1(VALU_DEP_2)
	v_and_b32_e32 v6, 0x8000, v6
	v_and_b32_e32 v1, 0xfc00, v1
	s_delay_alu instid0(VALU_DEP_1)
	v_or3_b32 v33, v6, v1, v0
.LBB294_48:                             ;   in Loop: Header=BB294_10 Depth=1
	s_or_b32 exec_lo, exec_lo, s17
.LBB294_49:                             ;   in Loop: Header=BB294_10 Depth=1
	s_delay_alu instid0(SALU_CYCLE_1)
	s_or_b32 exec_lo, exec_lo, s16
.LBB294_50:                             ;   in Loop: Header=BB294_10 Depth=1
	s_delay_alu instid0(SALU_CYCLE_1) | instskip(SKIP_3) | instid1(VALU_DEP_2)
	s_or_b32 exec_lo, exec_lo, s15
	v_lshrrev_b16 v24, 8, v24
	v_dual_mov_b32 v35, 0 :: v_dual_mov_b32 v36, 0
	s_mov_b32 s15, exec_lo
	v_cmpx_ne_u16_e32 0, v24
	s_cbranch_execz .LBB294_58
; %bb.51:                               ;   in Loop: Header=BB294_10 Depth=1
	v_bfrev_b32_e32 v36, 1
	s_mov_b32 s16, exec_lo
	v_cmpx_ne_u16_e32 0x80, v24
	s_cbranch_execz .LBB294_57
; %bb.52:                               ;   in Loop: Header=BB294_10 Depth=1
	v_and_b32_e32 v0, 0xffff, v24
	v_mov_b32_e32 v36, 0x7c010000
	s_mov_b32 s17, exec_lo
	s_delay_alu instid0(VALU_DEP_2) | instskip(NEXT) | instid1(VALU_DEP_1)
	v_and_b32_e32 v7, 0x7f, v0
	v_cmpx_ne_u32_e32 0x7f, v7
	s_cbranch_execz .LBB294_56
; %bb.53:                               ;   in Loop: Header=BB294_10 Depth=1
	v_dual_lshrrev_b32 v6, 3, v7 :: v_dual_bitop2_b32 v1, 7, v0 bitop3:0x40
	s_mov_b32 s18, exec_lo
	v_cmpx_gt_u32_e32 8, v7
; %bb.54:                               ;   in Loop: Header=BB294_10 Depth=1
	s_delay_alu instid0(VALU_DEP_2) | instskip(NEXT) | instid1(VALU_DEP_1)
	v_clz_i32_u32_e32 v1, v1
	v_min_u32_e32 v1, 32, v1
	s_delay_alu instid0(VALU_DEP_1) | instskip(NEXT) | instid1(VALU_DEP_1)
	v_subrev_nc_u32_e32 v6, 28, v1
	v_lshlrev_b64_e32 v[8:9], v6, v[24:25]
	s_delay_alu instid0(VALU_DEP_1)
	v_dual_sub_nc_u32 v6, 29, v1 :: v_dual_bitop2_b32 v1, 7, v8 bitop3:0x40
; %bb.55:                               ;   in Loop: Header=BB294_10 Depth=1
	s_or_b32 exec_lo, exec_lo, s18
	s_delay_alu instid0(VALU_DEP_1) | instskip(NEXT) | instid1(VALU_DEP_2)
	v_dual_lshlrev_b32 v0, 8, v0 :: v_dual_lshlrev_b32 v1, 23, v1
	v_lshl_add_u32 v6, v6, 10, 0x2000
	s_delay_alu instid0(VALU_DEP_1) | instskip(NEXT) | instid1(VALU_DEP_1)
	v_and_or_b32 v0, 0x8000, v0, v6
	v_lshl_or_b32 v36, v0, 16, v1
.LBB294_56:                             ;   in Loop: Header=BB294_10 Depth=1
	s_or_b32 exec_lo, exec_lo, s17
.LBB294_57:                             ;   in Loop: Header=BB294_10 Depth=1
	s_delay_alu instid0(SALU_CYCLE_1)
	s_or_b32 exec_lo, exec_lo, s16
.LBB294_58:                             ;   in Loop: Header=BB294_10 Depth=1
	s_delay_alu instid0(SALU_CYCLE_1) | instskip(SKIP_2) | instid1(VALU_DEP_1)
	s_or_b32 exec_lo, exec_lo, s15
	v_lshrrev_b32_e32 v8, 16, v5
	s_mov_b32 s15, exec_lo
	v_and_b32_e32 v0, 0xff, v8
	s_delay_alu instid0(VALU_DEP_1)
	v_cmpx_ne_u16_e32 0, v0
	s_cbranch_execz .LBB294_66
; %bb.59:                               ;   in Loop: Header=BB294_10 Depth=1
	v_mov_b32_e32 v35, 0x8000
	s_mov_b32 s16, exec_lo
	v_cmpx_ne_u16_e32 0x80, v0
	s_cbranch_execz .LBB294_65
; %bb.60:                               ;   in Loop: Header=BB294_10 Depth=1
	v_bfe_u32 v6, v5, 16, 7
	v_mov_b32_e32 v35, 0x7c01
	s_mov_b32 s17, exec_lo
	s_delay_alu instid0(VALU_DEP_2)
	v_cmpx_ne_u32_e32 0x7f, v6
	s_cbranch_execz .LBB294_64
; %bb.61:                               ;   in Loop: Header=BB294_10 Depth=1
	v_dual_lshrrev_b32 v1, 3, v6 :: v_dual_bitop2_b32 v0, 7, v8 bitop3:0x40
	s_mov_b32 s18, exec_lo
	v_cmpx_gt_u32_e32 8, v6
; %bb.62:                               ;   in Loop: Header=BB294_10 Depth=1
	s_delay_alu instid0(VALU_DEP_2) | instskip(NEXT) | instid1(VALU_DEP_1)
	v_clz_i32_u32_e32 v0, v0
	v_min_u32_e32 v6, 32, v0
	s_delay_alu instid0(VALU_DEP_1) | instskip(NEXT) | instid1(VALU_DEP_1)
	v_subrev_nc_u32_e32 v0, 28, v6
	v_lshlrev_b64_e32 v[0:1], v0, v[8:9]
	s_delay_alu instid0(VALU_DEP_1)
	v_dual_sub_nc_u32 v1, 29, v6 :: v_dual_bitop2_b32 v0, 7, v0 bitop3:0x40
; %bb.63:                               ;   in Loop: Header=BB294_10 Depth=1
	s_or_b32 exec_lo, exec_lo, s18
	v_lshlrev_b32_e32 v6, 8, v8
	s_delay_alu instid0(VALU_DEP_2) | instskip(NEXT) | instid1(VALU_DEP_3)
	v_lshl_add_u32 v1, v1, 10, 0x2000
	v_lshlrev_b32_e32 v0, 7, v0
	s_delay_alu instid0(VALU_DEP_3) | instskip(NEXT) | instid1(VALU_DEP_3)
	v_and_b32_e32 v6, 0x8000, v6
	v_and_b32_e32 v1, 0xfc00, v1
	s_delay_alu instid0(VALU_DEP_1)
	v_or3_b32 v35, v6, v1, v0
.LBB294_64:                             ;   in Loop: Header=BB294_10 Depth=1
	s_or_b32 exec_lo, exec_lo, s17
.LBB294_65:                             ;   in Loop: Header=BB294_10 Depth=1
	s_delay_alu instid0(SALU_CYCLE_1)
	s_or_b32 exec_lo, exec_lo, s16
.LBB294_66:                             ;   in Loop: Header=BB294_10 Depth=1
	s_delay_alu instid0(SALU_CYCLE_1)
	s_or_b32 exec_lo, exec_lo, s15
	v_dual_mov_b32 v37, 0 :: v_dual_mov_b32 v38, 0
	s_mov_b32 s15, exec_lo
	v_cmpx_lt_u64_e64 s[2:3], v[4:5]
	s_cbranch_execz .LBB294_74
; %bb.67:                               ;   in Loop: Header=BB294_10 Depth=1
	v_lshrrev_b32_e32 v24, 24, v5
	v_bfrev_b32_e32 v38, 1
	s_mov_b32 s16, exec_lo
	s_delay_alu instid0(VALU_DEP_2)
	v_cmpx_ne_u32_e32 0x80, v24
	s_cbranch_execz .LBB294_73
; %bb.68:                               ;   in Loop: Header=BB294_10 Depth=1
	v_and_b32_e32 v4, 0x7f, v24
	v_mov_b32_e32 v38, 0x7c010000
	s_mov_b32 s17, exec_lo
	s_delay_alu instid0(VALU_DEP_2)
	v_cmpx_ne_u32_e32 0x7f, v4
	s_cbranch_execz .LBB294_72
; %bb.69:                               ;   in Loop: Header=BB294_10 Depth=1
	v_and_b32_e32 v0, 7, v24
	v_lshrrev_b32_e32 v1, 3, v4
	s_mov_b32 s18, exec_lo
	v_cmpx_gt_u32_e32 8, v4
; %bb.70:                               ;   in Loop: Header=BB294_10 Depth=1
	s_delay_alu instid0(VALU_DEP_3) | instskip(NEXT) | instid1(VALU_DEP_1)
	v_clz_i32_u32_e32 v0, v0
	v_min_u32_e32 v4, 32, v0
	s_delay_alu instid0(VALU_DEP_1) | instskip(NEXT) | instid1(VALU_DEP_1)
	v_subrev_nc_u32_e32 v0, 28, v4
	v_lshlrev_b64_e32 v[0:1], v0, v[24:25]
	v_sub_nc_u32_e32 v1, 29, v4
	s_delay_alu instid0(VALU_DEP_2)
	v_and_b32_e32 v0, 7, v0
; %bb.71:                               ;   in Loop: Header=BB294_10 Depth=1
	s_or_b32 exec_lo, exec_lo, s18
	v_lshlrev_b32_e32 v4, 8, v24
	s_delay_alu instid0(VALU_DEP_3) | instskip(NEXT) | instid1(VALU_DEP_3)
	v_lshl_add_u32 v1, v1, 10, 0x2000
	v_lshlrev_b32_e32 v0, 23, v0
	s_delay_alu instid0(VALU_DEP_2) | instskip(NEXT) | instid1(VALU_DEP_1)
	v_and_or_b32 v1, 0x8000, v4, v1
	v_lshl_or_b32 v38, v1, 16, v0
.LBB294_72:                             ;   in Loop: Header=BB294_10 Depth=1
	s_or_b32 exec_lo, exec_lo, s17
.LBB294_73:                             ;   in Loop: Header=BB294_10 Depth=1
	s_delay_alu instid0(SALU_CYCLE_1)
	s_or_b32 exec_lo, exec_lo, s16
.LBB294_74:                             ;   in Loop: Header=BB294_10 Depth=1
	s_delay_alu instid0(SALU_CYCLE_1)
	s_or_b32 exec_lo, exec_lo, s15
	flat_load_b64 v[4:5], v[2:3] offset:8
	s_mov_b32 s15, exec_lo
	s_wait_loadcnt_dscnt 0x0
	v_and_b32_e32 v0, 0xff, v4
	s_wait_xcnt 0x0
	s_delay_alu instid0(VALU_DEP_1)
	v_cmpx_ne_u16_e32 0, v0
	s_cbranch_execz .LBB294_82
; %bb.75:                               ;   in Loop: Header=BB294_10 Depth=1
	v_mov_b32_e32 v37, 0x8000
	s_mov_b32 s16, exec_lo
	v_cmpx_ne_u16_e32 0x80, v0
	s_cbranch_execz .LBB294_81
; %bb.76:                               ;   in Loop: Header=BB294_10 Depth=1
	v_and_b32_e32 v6, 0x7f, v4
	v_mov_b32_e32 v37, 0x7c01
	s_mov_b32 s17, exec_lo
	s_delay_alu instid0(VALU_DEP_2)
	v_cmpx_ne_u32_e32 0x7f, v6
	s_cbranch_execz .LBB294_80
; %bb.77:                               ;   in Loop: Header=BB294_10 Depth=1
	v_dual_lshrrev_b32 v1, 3, v6 :: v_dual_bitop2_b32 v0, 7, v4 bitop3:0x40
	s_mov_b32 s18, exec_lo
	v_cmpx_gt_u32_e32 8, v6
; %bb.78:                               ;   in Loop: Header=BB294_10 Depth=1
	s_delay_alu instid0(VALU_DEP_2) | instskip(NEXT) | instid1(VALU_DEP_1)
	v_clz_i32_u32_e32 v0, v0
	v_min_u32_e32 v6, 32, v0
	s_delay_alu instid0(VALU_DEP_1) | instskip(NEXT) | instid1(VALU_DEP_1)
	v_subrev_nc_u32_e32 v0, 28, v6
	v_lshlrev_b64_e32 v[0:1], v0, v[4:5]
	s_delay_alu instid0(VALU_DEP_1)
	v_dual_sub_nc_u32 v1, 29, v6 :: v_dual_bitop2_b32 v0, 7, v0 bitop3:0x40
; %bb.79:                               ;   in Loop: Header=BB294_10 Depth=1
	s_or_b32 exec_lo, exec_lo, s18
	v_lshlrev_b32_e32 v6, 8, v4
	s_delay_alu instid0(VALU_DEP_2) | instskip(NEXT) | instid1(VALU_DEP_3)
	v_lshl_add_u32 v1, v1, 10, 0x2000
	v_lshlrev_b32_e32 v0, 7, v0
	s_delay_alu instid0(VALU_DEP_3) | instskip(NEXT) | instid1(VALU_DEP_3)
	v_and_b32_e32 v6, 0x8000, v6
	v_and_b32_e32 v1, 0xfc00, v1
	s_delay_alu instid0(VALU_DEP_1)
	v_or3_b32 v37, v6, v1, v0
.LBB294_80:                             ;   in Loop: Header=BB294_10 Depth=1
	s_or_b32 exec_lo, exec_lo, s17
.LBB294_81:                             ;   in Loop: Header=BB294_10 Depth=1
	s_delay_alu instid0(SALU_CYCLE_1)
	s_or_b32 exec_lo, exec_lo, s16
.LBB294_82:                             ;   in Loop: Header=BB294_10 Depth=1
	s_delay_alu instid0(SALU_CYCLE_1) | instskip(SKIP_3) | instid1(VALU_DEP_2)
	s_or_b32 exec_lo, exec_lo, s15
	v_lshrrev_b16 v24, 8, v4
	v_dual_mov_b32 v39, 0 :: v_dual_mov_b32 v48, 0
	s_mov_b32 s15, exec_lo
	v_cmpx_ne_u16_e32 0, v24
	s_cbranch_execz .LBB294_90
; %bb.83:                               ;   in Loop: Header=BB294_10 Depth=1
	v_bfrev_b32_e32 v48, 1
	s_mov_b32 s16, exec_lo
	v_cmpx_ne_u16_e32 0x80, v24
	s_cbranch_execz .LBB294_89
; %bb.84:                               ;   in Loop: Header=BB294_10 Depth=1
	v_and_b32_e32 v0, 0xffff, v24
	v_mov_b32_e32 v48, 0x7c010000
	s_mov_b32 s17, exec_lo
	s_delay_alu instid0(VALU_DEP_2) | instskip(NEXT) | instid1(VALU_DEP_1)
	v_and_b32_e32 v7, 0x7f, v0
	v_cmpx_ne_u32_e32 0x7f, v7
	s_cbranch_execz .LBB294_88
; %bb.85:                               ;   in Loop: Header=BB294_10 Depth=1
	v_dual_lshrrev_b32 v6, 3, v7 :: v_dual_bitop2_b32 v1, 7, v0 bitop3:0x40
	s_mov_b32 s18, exec_lo
	v_cmpx_gt_u32_e32 8, v7
; %bb.86:                               ;   in Loop: Header=BB294_10 Depth=1
	s_delay_alu instid0(VALU_DEP_2) | instskip(NEXT) | instid1(VALU_DEP_1)
	v_clz_i32_u32_e32 v1, v1
	v_min_u32_e32 v1, 32, v1
	s_delay_alu instid0(VALU_DEP_1) | instskip(NEXT) | instid1(VALU_DEP_1)
	v_subrev_nc_u32_e32 v6, 28, v1
	v_lshlrev_b64_e32 v[8:9], v6, v[24:25]
	s_delay_alu instid0(VALU_DEP_1)
	v_dual_sub_nc_u32 v6, 29, v1 :: v_dual_bitop2_b32 v1, 7, v8 bitop3:0x40
; %bb.87:                               ;   in Loop: Header=BB294_10 Depth=1
	s_or_b32 exec_lo, exec_lo, s18
	s_delay_alu instid0(VALU_DEP_1) | instskip(NEXT) | instid1(VALU_DEP_2)
	v_dual_lshlrev_b32 v0, 8, v0 :: v_dual_lshlrev_b32 v1, 23, v1
	v_lshl_add_u32 v6, v6, 10, 0x2000
	s_delay_alu instid0(VALU_DEP_1) | instskip(NEXT) | instid1(VALU_DEP_1)
	v_and_or_b32 v0, 0x8000, v0, v6
	v_lshl_or_b32 v48, v0, 16, v1
.LBB294_88:                             ;   in Loop: Header=BB294_10 Depth=1
	s_or_b32 exec_lo, exec_lo, s17
.LBB294_89:                             ;   in Loop: Header=BB294_10 Depth=1
	s_delay_alu instid0(SALU_CYCLE_1)
	s_or_b32 exec_lo, exec_lo, s16
.LBB294_90:                             ;   in Loop: Header=BB294_10 Depth=1
	s_delay_alu instid0(SALU_CYCLE_1) | instskip(SKIP_2) | instid1(VALU_DEP_1)
	s_or_b32 exec_lo, exec_lo, s15
	v_lshrrev_b32_e32 v8, 16, v4
	s_mov_b32 s15, exec_lo
	v_and_b32_e32 v0, 0xff, v8
	s_delay_alu instid0(VALU_DEP_1)
	v_cmpx_ne_u16_e32 0, v0
	s_cbranch_execz .LBB294_98
; %bb.91:                               ;   in Loop: Header=BB294_10 Depth=1
	v_mov_b32_e32 v39, 0x8000
	s_mov_b32 s16, exec_lo
	v_cmpx_ne_u16_e32 0x80, v0
	s_cbranch_execz .LBB294_97
; %bb.92:                               ;   in Loop: Header=BB294_10 Depth=1
	v_bfe_u32 v6, v4, 16, 7
	v_mov_b32_e32 v39, 0x7c01
	s_mov_b32 s17, exec_lo
	s_delay_alu instid0(VALU_DEP_2)
	v_cmpx_ne_u32_e32 0x7f, v6
	s_cbranch_execz .LBB294_96
; %bb.93:                               ;   in Loop: Header=BB294_10 Depth=1
	v_dual_lshrrev_b32 v1, 3, v6 :: v_dual_bitop2_b32 v0, 7, v8 bitop3:0x40
	s_mov_b32 s18, exec_lo
	v_cmpx_gt_u32_e32 8, v6
; %bb.94:                               ;   in Loop: Header=BB294_10 Depth=1
	s_delay_alu instid0(VALU_DEP_2) | instskip(NEXT) | instid1(VALU_DEP_1)
	v_clz_i32_u32_e32 v0, v0
	v_min_u32_e32 v6, 32, v0
	s_delay_alu instid0(VALU_DEP_1) | instskip(NEXT) | instid1(VALU_DEP_1)
	v_subrev_nc_u32_e32 v0, 28, v6
	v_lshlrev_b64_e32 v[0:1], v0, v[8:9]
	s_delay_alu instid0(VALU_DEP_1)
	v_dual_sub_nc_u32 v1, 29, v6 :: v_dual_bitop2_b32 v0, 7, v0 bitop3:0x40
; %bb.95:                               ;   in Loop: Header=BB294_10 Depth=1
	s_or_b32 exec_lo, exec_lo, s18
	v_lshlrev_b32_e32 v6, 8, v8
	s_delay_alu instid0(VALU_DEP_2) | instskip(NEXT) | instid1(VALU_DEP_3)
	v_lshl_add_u32 v1, v1, 10, 0x2000
	v_lshlrev_b32_e32 v0, 7, v0
	s_delay_alu instid0(VALU_DEP_3) | instskip(NEXT) | instid1(VALU_DEP_3)
	v_and_b32_e32 v6, 0x8000, v6
	v_and_b32_e32 v1, 0xfc00, v1
	s_delay_alu instid0(VALU_DEP_1)
	v_or3_b32 v39, v6, v1, v0
.LBB294_96:                             ;   in Loop: Header=BB294_10 Depth=1
	s_or_b32 exec_lo, exec_lo, s17
.LBB294_97:                             ;   in Loop: Header=BB294_10 Depth=1
	s_delay_alu instid0(SALU_CYCLE_1)
	s_or_b32 exec_lo, exec_lo, s16
.LBB294_98:                             ;   in Loop: Header=BB294_10 Depth=1
	s_delay_alu instid0(SALU_CYCLE_1)
	s_or_b32 exec_lo, exec_lo, s15
	v_dual_mov_b32 v49, 0 :: v_dual_mov_b32 v51, 0
	s_mov_b32 s15, exec_lo
	v_cmpx_lt_u32_e32 0xffffff, v4
	s_cbranch_execz .LBB294_106
; %bb.99:                               ;   in Loop: Header=BB294_10 Depth=1
	v_lshrrev_b32_e32 v24, 24, v4
	v_bfrev_b32_e32 v51, 1
	s_mov_b32 s16, exec_lo
	s_delay_alu instid0(VALU_DEP_2)
	v_cmpx_ne_u32_e32 0x80, v24
	s_cbranch_execz .LBB294_105
; %bb.100:                              ;   in Loop: Header=BB294_10 Depth=1
	v_and_b32_e32 v6, 0x7f, v24
	v_mov_b32_e32 v51, 0x7c010000
	s_mov_b32 s17, exec_lo
	s_delay_alu instid0(VALU_DEP_2)
	v_cmpx_ne_u32_e32 0x7f, v6
	s_cbranch_execz .LBB294_104
; %bb.101:                              ;   in Loop: Header=BB294_10 Depth=1
	v_dual_lshrrev_b32 v1, 3, v6 :: v_dual_bitop2_b32 v0, 7, v24 bitop3:0x40
	s_mov_b32 s18, exec_lo
	v_cmpx_gt_u32_e32 8, v6
; %bb.102:                              ;   in Loop: Header=BB294_10 Depth=1
	s_delay_alu instid0(VALU_DEP_2) | instskip(NEXT) | instid1(VALU_DEP_1)
	v_clz_i32_u32_e32 v0, v0
	v_min_u32_e32 v6, 32, v0
	s_delay_alu instid0(VALU_DEP_1) | instskip(NEXT) | instid1(VALU_DEP_1)
	v_subrev_nc_u32_e32 v0, 28, v6
	v_lshlrev_b64_e32 v[0:1], v0, v[24:25]
	s_delay_alu instid0(VALU_DEP_1)
	v_dual_sub_nc_u32 v1, 29, v6 :: v_dual_bitop2_b32 v0, 7, v0 bitop3:0x40
; %bb.103:                              ;   in Loop: Header=BB294_10 Depth=1
	s_or_b32 exec_lo, exec_lo, s18
	v_lshlrev_b32_e32 v6, 8, v24
	s_delay_alu instid0(VALU_DEP_2) | instskip(NEXT) | instid1(VALU_DEP_3)
	v_lshl_add_u32 v1, v1, 10, 0x2000
	v_lshlrev_b32_e32 v0, 23, v0
	s_delay_alu instid0(VALU_DEP_2) | instskip(NEXT) | instid1(VALU_DEP_1)
	v_and_or_b32 v1, 0x8000, v6, v1
	v_lshl_or_b32 v51, v1, 16, v0
.LBB294_104:                            ;   in Loop: Header=BB294_10 Depth=1
	s_or_b32 exec_lo, exec_lo, s17
.LBB294_105:                            ;   in Loop: Header=BB294_10 Depth=1
	s_delay_alu instid0(SALU_CYCLE_1)
	s_or_b32 exec_lo, exec_lo, s16
.LBB294_106:                            ;   in Loop: Header=BB294_10 Depth=1
	s_delay_alu instid0(SALU_CYCLE_1) | instskip(SKIP_3) | instid1(VALU_DEP_2)
	s_or_b32 exec_lo, exec_lo, s15
	v_and_b32_e32 v0, 0xff, v5
	v_mov_b32_e32 v24, v5
	s_mov_b32 s15, exec_lo
	v_cmpx_ne_u16_e32 0, v0
	s_cbranch_execz .LBB294_114
; %bb.107:                              ;   in Loop: Header=BB294_10 Depth=1
	v_mov_b32_e32 v49, 0x8000
	s_mov_b32 s16, exec_lo
	v_cmpx_ne_u16_e32 0x80, v0
	s_cbranch_execz .LBB294_113
; %bb.108:                              ;   in Loop: Header=BB294_10 Depth=1
	v_and_b32_e32 v6, 0x7f, v5
	v_mov_b32_e32 v49, 0x7c01
	s_mov_b32 s17, exec_lo
	s_delay_alu instid0(VALU_DEP_2)
	v_cmpx_ne_u32_e32 0x7f, v6
	s_cbranch_execz .LBB294_112
; %bb.109:                              ;   in Loop: Header=BB294_10 Depth=1
	v_dual_lshrrev_b32 v1, 3, v6 :: v_dual_bitop2_b32 v0, 7, v5 bitop3:0x40
	s_mov_b32 s18, exec_lo
	v_cmpx_gt_u32_e32 8, v6
; %bb.110:                              ;   in Loop: Header=BB294_10 Depth=1
	s_delay_alu instid0(VALU_DEP_2) | instskip(NEXT) | instid1(VALU_DEP_1)
	v_clz_i32_u32_e32 v0, v0
	v_min_u32_e32 v6, 32, v0
	s_delay_alu instid0(VALU_DEP_1) | instskip(NEXT) | instid1(VALU_DEP_1)
	v_subrev_nc_u32_e32 v0, 28, v6
	v_lshlrev_b64_e32 v[0:1], v0, v[24:25]
	s_delay_alu instid0(VALU_DEP_1)
	v_dual_sub_nc_u32 v1, 29, v6 :: v_dual_bitop2_b32 v0, 7, v0 bitop3:0x40
; %bb.111:                              ;   in Loop: Header=BB294_10 Depth=1
	s_or_b32 exec_lo, exec_lo, s18
	s_delay_alu instid0(VALU_DEP_1) | instskip(NEXT) | instid1(VALU_DEP_2)
	v_dual_lshlrev_b32 v6, 8, v5 :: v_dual_lshlrev_b32 v0, 7, v0
	v_lshl_add_u32 v1, v1, 10, 0x2000
	s_delay_alu instid0(VALU_DEP_2) | instskip(NEXT) | instid1(VALU_DEP_2)
	v_and_b32_e32 v6, 0x8000, v6
	v_and_b32_e32 v1, 0xfc00, v1
	s_delay_alu instid0(VALU_DEP_1)
	v_or3_b32 v49, v6, v1, v0
.LBB294_112:                            ;   in Loop: Header=BB294_10 Depth=1
	s_or_b32 exec_lo, exec_lo, s17
.LBB294_113:                            ;   in Loop: Header=BB294_10 Depth=1
	s_delay_alu instid0(SALU_CYCLE_1)
	s_or_b32 exec_lo, exec_lo, s16
.LBB294_114:                            ;   in Loop: Header=BB294_10 Depth=1
	s_delay_alu instid0(SALU_CYCLE_1) | instskip(SKIP_3) | instid1(VALU_DEP_2)
	s_or_b32 exec_lo, exec_lo, s15
	v_lshrrev_b16 v24, 8, v24
	v_dual_mov_b32 v54, 0 :: v_dual_mov_b32 v55, 0
	s_mov_b32 s15, exec_lo
	v_cmpx_ne_u16_e32 0, v24
	s_cbranch_execz .LBB294_122
; %bb.115:                              ;   in Loop: Header=BB294_10 Depth=1
	v_bfrev_b32_e32 v55, 1
	s_mov_b32 s16, exec_lo
	v_cmpx_ne_u16_e32 0x80, v24
	s_cbranch_execz .LBB294_121
; %bb.116:                              ;   in Loop: Header=BB294_10 Depth=1
	v_and_b32_e32 v0, 0xffff, v24
	v_mov_b32_e32 v55, 0x7c010000
	s_mov_b32 s17, exec_lo
	s_delay_alu instid0(VALU_DEP_2) | instskip(NEXT) | instid1(VALU_DEP_1)
	v_and_b32_e32 v7, 0x7f, v0
	v_cmpx_ne_u32_e32 0x7f, v7
	s_cbranch_execz .LBB294_120
; %bb.117:                              ;   in Loop: Header=BB294_10 Depth=1
	v_dual_lshrrev_b32 v6, 3, v7 :: v_dual_bitop2_b32 v1, 7, v0 bitop3:0x40
	s_mov_b32 s18, exec_lo
	v_cmpx_gt_u32_e32 8, v7
; %bb.118:                              ;   in Loop: Header=BB294_10 Depth=1
	s_delay_alu instid0(VALU_DEP_2) | instskip(NEXT) | instid1(VALU_DEP_1)
	v_clz_i32_u32_e32 v1, v1
	v_min_u32_e32 v1, 32, v1
	s_delay_alu instid0(VALU_DEP_1) | instskip(NEXT) | instid1(VALU_DEP_1)
	v_subrev_nc_u32_e32 v6, 28, v1
	v_lshlrev_b64_e32 v[8:9], v6, v[24:25]
	s_delay_alu instid0(VALU_DEP_1)
	v_dual_sub_nc_u32 v6, 29, v1 :: v_dual_bitop2_b32 v1, 7, v8 bitop3:0x40
; %bb.119:                              ;   in Loop: Header=BB294_10 Depth=1
	s_or_b32 exec_lo, exec_lo, s18
	s_delay_alu instid0(VALU_DEP_1) | instskip(NEXT) | instid1(VALU_DEP_2)
	v_dual_lshlrev_b32 v0, 8, v0 :: v_dual_lshlrev_b32 v1, 23, v1
	v_lshl_add_u32 v6, v6, 10, 0x2000
	s_delay_alu instid0(VALU_DEP_1) | instskip(NEXT) | instid1(VALU_DEP_1)
	v_and_or_b32 v0, 0x8000, v0, v6
	v_lshl_or_b32 v55, v0, 16, v1
.LBB294_120:                            ;   in Loop: Header=BB294_10 Depth=1
	s_or_b32 exec_lo, exec_lo, s17
.LBB294_121:                            ;   in Loop: Header=BB294_10 Depth=1
	s_delay_alu instid0(SALU_CYCLE_1)
	s_or_b32 exec_lo, exec_lo, s16
.LBB294_122:                            ;   in Loop: Header=BB294_10 Depth=1
	s_delay_alu instid0(SALU_CYCLE_1) | instskip(SKIP_2) | instid1(VALU_DEP_1)
	s_or_b32 exec_lo, exec_lo, s15
	v_lshrrev_b32_e32 v8, 16, v5
	s_mov_b32 s15, exec_lo
	v_and_b32_e32 v0, 0xff, v8
	s_delay_alu instid0(VALU_DEP_1)
	v_cmpx_ne_u16_e32 0, v0
	s_cbranch_execz .LBB294_130
; %bb.123:                              ;   in Loop: Header=BB294_10 Depth=1
	v_mov_b32_e32 v54, 0x8000
	s_mov_b32 s16, exec_lo
	v_cmpx_ne_u16_e32 0x80, v0
	s_cbranch_execz .LBB294_129
; %bb.124:                              ;   in Loop: Header=BB294_10 Depth=1
	v_bfe_u32 v6, v5, 16, 7
	v_mov_b32_e32 v54, 0x7c01
	s_mov_b32 s17, exec_lo
	s_delay_alu instid0(VALU_DEP_2)
	v_cmpx_ne_u32_e32 0x7f, v6
	s_cbranch_execz .LBB294_128
; %bb.125:                              ;   in Loop: Header=BB294_10 Depth=1
	v_dual_lshrrev_b32 v1, 3, v6 :: v_dual_bitop2_b32 v0, 7, v8 bitop3:0x40
	s_mov_b32 s18, exec_lo
	v_cmpx_gt_u32_e32 8, v6
; %bb.126:                              ;   in Loop: Header=BB294_10 Depth=1
	s_delay_alu instid0(VALU_DEP_2) | instskip(NEXT) | instid1(VALU_DEP_1)
	v_clz_i32_u32_e32 v0, v0
	v_min_u32_e32 v6, 32, v0
	s_delay_alu instid0(VALU_DEP_1) | instskip(NEXT) | instid1(VALU_DEP_1)
	v_subrev_nc_u32_e32 v0, 28, v6
	v_lshlrev_b64_e32 v[0:1], v0, v[8:9]
	s_delay_alu instid0(VALU_DEP_1)
	v_dual_sub_nc_u32 v1, 29, v6 :: v_dual_bitop2_b32 v0, 7, v0 bitop3:0x40
; %bb.127:                              ;   in Loop: Header=BB294_10 Depth=1
	s_or_b32 exec_lo, exec_lo, s18
	v_lshlrev_b32_e32 v6, 8, v8
	s_delay_alu instid0(VALU_DEP_2) | instskip(NEXT) | instid1(VALU_DEP_3)
	v_lshl_add_u32 v1, v1, 10, 0x2000
	v_lshlrev_b32_e32 v0, 7, v0
	s_delay_alu instid0(VALU_DEP_3) | instskip(NEXT) | instid1(VALU_DEP_3)
	v_and_b32_e32 v6, 0x8000, v6
	v_and_b32_e32 v1, 0xfc00, v1
	s_delay_alu instid0(VALU_DEP_1)
	v_or3_b32 v54, v6, v1, v0
.LBB294_128:                            ;   in Loop: Header=BB294_10 Depth=1
	s_or_b32 exec_lo, exec_lo, s17
.LBB294_129:                            ;   in Loop: Header=BB294_10 Depth=1
	s_delay_alu instid0(SALU_CYCLE_1)
	s_or_b32 exec_lo, exec_lo, s16
.LBB294_130:                            ;   in Loop: Header=BB294_10 Depth=1
	s_delay_alu instid0(SALU_CYCLE_1)
	s_or_b32 exec_lo, exec_lo, s15
	v_dual_mov_b32 v100, 0 :: v_dual_mov_b32 v67, 0
	s_mov_b32 s15, exec_lo
	v_cmpx_lt_u64_e64 s[2:3], v[4:5]
	s_cbranch_execz .LBB294_138
; %bb.131:                              ;   in Loop: Header=BB294_10 Depth=1
	v_lshrrev_b32_e32 v24, 24, v5
	v_bfrev_b32_e32 v67, 1
	s_mov_b32 s16, exec_lo
	s_delay_alu instid0(VALU_DEP_2)
	v_cmpx_ne_u32_e32 0x80, v24
	s_cbranch_execz .LBB294_137
; %bb.132:                              ;   in Loop: Header=BB294_10 Depth=1
	v_and_b32_e32 v4, 0x7f, v24
	v_mov_b32_e32 v67, 0x7c010000
	s_mov_b32 s17, exec_lo
	s_delay_alu instid0(VALU_DEP_2)
	v_cmpx_ne_u32_e32 0x7f, v4
	s_cbranch_execz .LBB294_136
; %bb.133:                              ;   in Loop: Header=BB294_10 Depth=1
	v_and_b32_e32 v0, 7, v24
	v_lshrrev_b32_e32 v1, 3, v4
	s_mov_b32 s18, exec_lo
	v_cmpx_gt_u32_e32 8, v4
; %bb.134:                              ;   in Loop: Header=BB294_10 Depth=1
	s_delay_alu instid0(VALU_DEP_3) | instskip(NEXT) | instid1(VALU_DEP_1)
	v_clz_i32_u32_e32 v0, v0
	v_min_u32_e32 v4, 32, v0
	s_delay_alu instid0(VALU_DEP_1) | instskip(NEXT) | instid1(VALU_DEP_1)
	v_subrev_nc_u32_e32 v0, 28, v4
	v_lshlrev_b64_e32 v[0:1], v0, v[24:25]
	v_sub_nc_u32_e32 v1, 29, v4
	s_delay_alu instid0(VALU_DEP_2)
	v_and_b32_e32 v0, 7, v0
; %bb.135:                              ;   in Loop: Header=BB294_10 Depth=1
	s_or_b32 exec_lo, exec_lo, s18
	v_lshlrev_b32_e32 v4, 8, v24
	s_delay_alu instid0(VALU_DEP_3) | instskip(NEXT) | instid1(VALU_DEP_3)
	v_lshl_add_u32 v1, v1, 10, 0x2000
	v_lshlrev_b32_e32 v0, 23, v0
	s_delay_alu instid0(VALU_DEP_2) | instskip(NEXT) | instid1(VALU_DEP_1)
	v_and_or_b32 v1, 0x8000, v4, v1
	v_lshl_or_b32 v67, v1, 16, v0
.LBB294_136:                            ;   in Loop: Header=BB294_10 Depth=1
	s_or_b32 exec_lo, exec_lo, s17
.LBB294_137:                            ;   in Loop: Header=BB294_10 Depth=1
	s_delay_alu instid0(SALU_CYCLE_1)
	s_or_b32 exec_lo, exec_lo, s16
.LBB294_138:                            ;   in Loop: Header=BB294_10 Depth=1
	s_delay_alu instid0(SALU_CYCLE_1)
	s_or_b32 exec_lo, exec_lo, s15
	flat_load_b64 v[4:5], v[2:3] offset:512
	s_mov_b32 s15, exec_lo
	s_wait_loadcnt_dscnt 0x0
	v_and_b32_e32 v0, 0xff, v4
	s_wait_xcnt 0x0
	s_delay_alu instid0(VALU_DEP_1)
	v_cmpx_ne_u16_e32 0, v0
	s_cbranch_execz .LBB294_146
; %bb.139:                              ;   in Loop: Header=BB294_10 Depth=1
	v_mov_b32_e32 v100, 0x8000
	s_mov_b32 s16, exec_lo
	v_cmpx_ne_u16_e32 0x80, v0
	s_cbranch_execz .LBB294_145
; %bb.140:                              ;   in Loop: Header=BB294_10 Depth=1
	v_and_b32_e32 v6, 0x7f, v4
	v_mov_b32_e32 v100, 0x7c01
	s_mov_b32 s17, exec_lo
	s_delay_alu instid0(VALU_DEP_2)
	v_cmpx_ne_u32_e32 0x7f, v6
	s_cbranch_execz .LBB294_144
; %bb.141:                              ;   in Loop: Header=BB294_10 Depth=1
	v_dual_lshrrev_b32 v1, 3, v6 :: v_dual_bitop2_b32 v0, 7, v4 bitop3:0x40
	s_mov_b32 s18, exec_lo
	v_cmpx_gt_u32_e32 8, v6
; %bb.142:                              ;   in Loop: Header=BB294_10 Depth=1
	s_delay_alu instid0(VALU_DEP_2) | instskip(NEXT) | instid1(VALU_DEP_1)
	v_clz_i32_u32_e32 v0, v0
	v_min_u32_e32 v6, 32, v0
	s_delay_alu instid0(VALU_DEP_1) | instskip(NEXT) | instid1(VALU_DEP_1)
	v_subrev_nc_u32_e32 v0, 28, v6
	v_lshlrev_b64_e32 v[0:1], v0, v[4:5]
	s_delay_alu instid0(VALU_DEP_1)
	v_dual_sub_nc_u32 v1, 29, v6 :: v_dual_bitop2_b32 v0, 7, v0 bitop3:0x40
; %bb.143:                              ;   in Loop: Header=BB294_10 Depth=1
	s_or_b32 exec_lo, exec_lo, s18
	v_lshlrev_b32_e32 v6, 8, v4
	s_delay_alu instid0(VALU_DEP_2) | instskip(NEXT) | instid1(VALU_DEP_3)
	v_lshl_add_u32 v1, v1, 10, 0x2000
	v_lshlrev_b32_e32 v0, 7, v0
	s_delay_alu instid0(VALU_DEP_3) | instskip(NEXT) | instid1(VALU_DEP_3)
	v_and_b32_e32 v6, 0x8000, v6
	v_and_b32_e32 v1, 0xfc00, v1
	s_delay_alu instid0(VALU_DEP_1)
	v_or3_b32 v100, v6, v1, v0
.LBB294_144:                            ;   in Loop: Header=BB294_10 Depth=1
	s_or_b32 exec_lo, exec_lo, s17
.LBB294_145:                            ;   in Loop: Header=BB294_10 Depth=1
	s_delay_alu instid0(SALU_CYCLE_1)
	s_or_b32 exec_lo, exec_lo, s16
.LBB294_146:                            ;   in Loop: Header=BB294_10 Depth=1
	s_delay_alu instid0(SALU_CYCLE_1) | instskip(SKIP_3) | instid1(VALU_DEP_2)
	s_or_b32 exec_lo, exec_lo, s15
	v_lshrrev_b16 v24, 8, v4
	v_dual_mov_b32 v50, 0 :: v_dual_mov_b32 v70, 0
	s_mov_b32 s15, exec_lo
	v_cmpx_ne_u16_e32 0, v24
	s_cbranch_execz .LBB294_154
; %bb.147:                              ;   in Loop: Header=BB294_10 Depth=1
	v_bfrev_b32_e32 v70, 1
	s_mov_b32 s16, exec_lo
	v_cmpx_ne_u16_e32 0x80, v24
	s_cbranch_execz .LBB294_153
; %bb.148:                              ;   in Loop: Header=BB294_10 Depth=1
	v_and_b32_e32 v0, 0xffff, v24
	v_mov_b32_e32 v70, 0x7c010000
	s_mov_b32 s17, exec_lo
	s_delay_alu instid0(VALU_DEP_2) | instskip(NEXT) | instid1(VALU_DEP_1)
	v_and_b32_e32 v7, 0x7f, v0
	v_cmpx_ne_u32_e32 0x7f, v7
	s_cbranch_execz .LBB294_152
; %bb.149:                              ;   in Loop: Header=BB294_10 Depth=1
	v_dual_lshrrev_b32 v6, 3, v7 :: v_dual_bitop2_b32 v1, 7, v0 bitop3:0x40
	s_mov_b32 s18, exec_lo
	v_cmpx_gt_u32_e32 8, v7
; %bb.150:                              ;   in Loop: Header=BB294_10 Depth=1
	s_delay_alu instid0(VALU_DEP_2) | instskip(NEXT) | instid1(VALU_DEP_1)
	v_clz_i32_u32_e32 v1, v1
	v_min_u32_e32 v1, 32, v1
	s_delay_alu instid0(VALU_DEP_1) | instskip(NEXT) | instid1(VALU_DEP_1)
	v_subrev_nc_u32_e32 v6, 28, v1
	v_lshlrev_b64_e32 v[8:9], v6, v[24:25]
	s_delay_alu instid0(VALU_DEP_1)
	v_dual_sub_nc_u32 v6, 29, v1 :: v_dual_bitop2_b32 v1, 7, v8 bitop3:0x40
; %bb.151:                              ;   in Loop: Header=BB294_10 Depth=1
	s_or_b32 exec_lo, exec_lo, s18
	s_delay_alu instid0(VALU_DEP_1) | instskip(NEXT) | instid1(VALU_DEP_2)
	v_dual_lshlrev_b32 v0, 8, v0 :: v_dual_lshlrev_b32 v1, 23, v1
	v_lshl_add_u32 v6, v6, 10, 0x2000
	s_delay_alu instid0(VALU_DEP_1) | instskip(NEXT) | instid1(VALU_DEP_1)
	v_and_or_b32 v0, 0x8000, v0, v6
	v_lshl_or_b32 v70, v0, 16, v1
.LBB294_152:                            ;   in Loop: Header=BB294_10 Depth=1
	s_or_b32 exec_lo, exec_lo, s17
.LBB294_153:                            ;   in Loop: Header=BB294_10 Depth=1
	s_delay_alu instid0(SALU_CYCLE_1)
	s_or_b32 exec_lo, exec_lo, s16
.LBB294_154:                            ;   in Loop: Header=BB294_10 Depth=1
	s_delay_alu instid0(SALU_CYCLE_1) | instskip(SKIP_2) | instid1(VALU_DEP_1)
	s_or_b32 exec_lo, exec_lo, s15
	v_lshrrev_b32_e32 v8, 16, v4
	s_mov_b32 s15, exec_lo
	v_and_b32_e32 v0, 0xff, v8
	s_delay_alu instid0(VALU_DEP_1)
	v_cmpx_ne_u16_e32 0, v0
	s_cbranch_execz .LBB294_162
; %bb.155:                              ;   in Loop: Header=BB294_10 Depth=1
	v_mov_b32_e32 v50, 0x8000
	s_mov_b32 s16, exec_lo
	v_cmpx_ne_u16_e32 0x80, v0
	s_cbranch_execz .LBB294_161
; %bb.156:                              ;   in Loop: Header=BB294_10 Depth=1
	v_bfe_u32 v6, v4, 16, 7
	v_mov_b32_e32 v50, 0x7c01
	s_mov_b32 s17, exec_lo
	s_delay_alu instid0(VALU_DEP_2)
	v_cmpx_ne_u32_e32 0x7f, v6
	s_cbranch_execz .LBB294_160
; %bb.157:                              ;   in Loop: Header=BB294_10 Depth=1
	v_dual_lshrrev_b32 v1, 3, v6 :: v_dual_bitop2_b32 v0, 7, v8 bitop3:0x40
	s_mov_b32 s18, exec_lo
	v_cmpx_gt_u32_e32 8, v6
; %bb.158:                              ;   in Loop: Header=BB294_10 Depth=1
	s_delay_alu instid0(VALU_DEP_2) | instskip(NEXT) | instid1(VALU_DEP_1)
	v_clz_i32_u32_e32 v0, v0
	v_min_u32_e32 v6, 32, v0
	s_delay_alu instid0(VALU_DEP_1) | instskip(NEXT) | instid1(VALU_DEP_1)
	v_subrev_nc_u32_e32 v0, 28, v6
	v_lshlrev_b64_e32 v[0:1], v0, v[8:9]
	s_delay_alu instid0(VALU_DEP_1)
	v_dual_sub_nc_u32 v1, 29, v6 :: v_dual_bitop2_b32 v0, 7, v0 bitop3:0x40
; %bb.159:                              ;   in Loop: Header=BB294_10 Depth=1
	s_or_b32 exec_lo, exec_lo, s18
	v_lshlrev_b32_e32 v6, 8, v8
	s_delay_alu instid0(VALU_DEP_2) | instskip(NEXT) | instid1(VALU_DEP_3)
	v_lshl_add_u32 v1, v1, 10, 0x2000
	v_lshlrev_b32_e32 v0, 7, v0
	s_delay_alu instid0(VALU_DEP_3) | instskip(NEXT) | instid1(VALU_DEP_3)
	v_and_b32_e32 v6, 0x8000, v6
	v_and_b32_e32 v1, 0xfc00, v1
	s_delay_alu instid0(VALU_DEP_1)
	v_or3_b32 v50, v6, v1, v0
.LBB294_160:                            ;   in Loop: Header=BB294_10 Depth=1
	s_or_b32 exec_lo, exec_lo, s17
.LBB294_161:                            ;   in Loop: Header=BB294_10 Depth=1
	s_delay_alu instid0(SALU_CYCLE_1)
	s_or_b32 exec_lo, exec_lo, s16
.LBB294_162:                            ;   in Loop: Header=BB294_10 Depth=1
	s_delay_alu instid0(SALU_CYCLE_1)
	s_or_b32 exec_lo, exec_lo, s15
	v_dual_mov_b32 v52, 0 :: v_dual_mov_b32 v53, 0
	s_mov_b32 s15, exec_lo
	v_cmpx_lt_u32_e32 0xffffff, v4
	s_cbranch_execz .LBB294_170
; %bb.163:                              ;   in Loop: Header=BB294_10 Depth=1
	v_lshrrev_b32_e32 v24, 24, v4
	v_bfrev_b32_e32 v53, 1
	s_mov_b32 s16, exec_lo
	s_delay_alu instid0(VALU_DEP_2)
	v_cmpx_ne_u32_e32 0x80, v24
	s_cbranch_execz .LBB294_169
; %bb.164:                              ;   in Loop: Header=BB294_10 Depth=1
	v_and_b32_e32 v6, 0x7f, v24
	v_mov_b32_e32 v53, 0x7c010000
	s_mov_b32 s17, exec_lo
	s_delay_alu instid0(VALU_DEP_2)
	v_cmpx_ne_u32_e32 0x7f, v6
	s_cbranch_execz .LBB294_168
; %bb.165:                              ;   in Loop: Header=BB294_10 Depth=1
	v_dual_lshrrev_b32 v1, 3, v6 :: v_dual_bitop2_b32 v0, 7, v24 bitop3:0x40
	s_mov_b32 s18, exec_lo
	v_cmpx_gt_u32_e32 8, v6
; %bb.166:                              ;   in Loop: Header=BB294_10 Depth=1
	s_delay_alu instid0(VALU_DEP_2) | instskip(NEXT) | instid1(VALU_DEP_1)
	v_clz_i32_u32_e32 v0, v0
	v_min_u32_e32 v6, 32, v0
	s_delay_alu instid0(VALU_DEP_1) | instskip(NEXT) | instid1(VALU_DEP_1)
	v_subrev_nc_u32_e32 v0, 28, v6
	v_lshlrev_b64_e32 v[0:1], v0, v[24:25]
	s_delay_alu instid0(VALU_DEP_1)
	v_dual_sub_nc_u32 v1, 29, v6 :: v_dual_bitop2_b32 v0, 7, v0 bitop3:0x40
; %bb.167:                              ;   in Loop: Header=BB294_10 Depth=1
	s_or_b32 exec_lo, exec_lo, s18
	v_lshlrev_b32_e32 v6, 8, v24
	s_delay_alu instid0(VALU_DEP_2) | instskip(NEXT) | instid1(VALU_DEP_3)
	v_lshl_add_u32 v1, v1, 10, 0x2000
	v_lshlrev_b32_e32 v0, 23, v0
	s_delay_alu instid0(VALU_DEP_2) | instskip(NEXT) | instid1(VALU_DEP_1)
	v_and_or_b32 v1, 0x8000, v6, v1
	v_lshl_or_b32 v53, v1, 16, v0
.LBB294_168:                            ;   in Loop: Header=BB294_10 Depth=1
	s_or_b32 exec_lo, exec_lo, s17
.LBB294_169:                            ;   in Loop: Header=BB294_10 Depth=1
	s_delay_alu instid0(SALU_CYCLE_1)
	s_or_b32 exec_lo, exec_lo, s16
.LBB294_170:                            ;   in Loop: Header=BB294_10 Depth=1
	s_delay_alu instid0(SALU_CYCLE_1) | instskip(SKIP_3) | instid1(VALU_DEP_2)
	s_or_b32 exec_lo, exec_lo, s15
	v_and_b32_e32 v0, 0xff, v5
	v_mov_b32_e32 v24, v5
	s_mov_b32 s15, exec_lo
	v_cmpx_ne_u16_e32 0, v0
	s_cbranch_execz .LBB294_178
; %bb.171:                              ;   in Loop: Header=BB294_10 Depth=1
	v_mov_b32_e32 v52, 0x8000
	s_mov_b32 s16, exec_lo
	v_cmpx_ne_u16_e32 0x80, v0
	s_cbranch_execz .LBB294_177
; %bb.172:                              ;   in Loop: Header=BB294_10 Depth=1
	v_and_b32_e32 v6, 0x7f, v5
	v_mov_b32_e32 v52, 0x7c01
	s_mov_b32 s17, exec_lo
	s_delay_alu instid0(VALU_DEP_2)
	v_cmpx_ne_u32_e32 0x7f, v6
	s_cbranch_execz .LBB294_176
; %bb.173:                              ;   in Loop: Header=BB294_10 Depth=1
	v_dual_lshrrev_b32 v1, 3, v6 :: v_dual_bitop2_b32 v0, 7, v5 bitop3:0x40
	s_mov_b32 s18, exec_lo
	v_cmpx_gt_u32_e32 8, v6
; %bb.174:                              ;   in Loop: Header=BB294_10 Depth=1
	s_delay_alu instid0(VALU_DEP_2) | instskip(NEXT) | instid1(VALU_DEP_1)
	v_clz_i32_u32_e32 v0, v0
	v_min_u32_e32 v6, 32, v0
	s_delay_alu instid0(VALU_DEP_1) | instskip(NEXT) | instid1(VALU_DEP_1)
	v_subrev_nc_u32_e32 v0, 28, v6
	v_lshlrev_b64_e32 v[0:1], v0, v[24:25]
	s_delay_alu instid0(VALU_DEP_1)
	v_dual_sub_nc_u32 v1, 29, v6 :: v_dual_bitop2_b32 v0, 7, v0 bitop3:0x40
; %bb.175:                              ;   in Loop: Header=BB294_10 Depth=1
	s_or_b32 exec_lo, exec_lo, s18
	s_delay_alu instid0(VALU_DEP_1) | instskip(NEXT) | instid1(VALU_DEP_2)
	v_dual_lshlrev_b32 v6, 8, v5 :: v_dual_lshlrev_b32 v0, 7, v0
	v_lshl_add_u32 v1, v1, 10, 0x2000
	s_delay_alu instid0(VALU_DEP_2) | instskip(NEXT) | instid1(VALU_DEP_2)
	v_and_b32_e32 v6, 0x8000, v6
	v_and_b32_e32 v1, 0xfc00, v1
	s_delay_alu instid0(VALU_DEP_1)
	v_or3_b32 v52, v6, v1, v0
.LBB294_176:                            ;   in Loop: Header=BB294_10 Depth=1
	s_or_b32 exec_lo, exec_lo, s17
.LBB294_177:                            ;   in Loop: Header=BB294_10 Depth=1
	s_delay_alu instid0(SALU_CYCLE_1)
	s_or_b32 exec_lo, exec_lo, s16
.LBB294_178:                            ;   in Loop: Header=BB294_10 Depth=1
	s_delay_alu instid0(SALU_CYCLE_1) | instskip(SKIP_3) | instid1(VALU_DEP_2)
	s_or_b32 exec_lo, exec_lo, s15
	v_lshrrev_b16 v24, 8, v24
	v_dual_mov_b32 v65, 0 :: v_dual_mov_b32 v64, 0
	s_mov_b32 s15, exec_lo
	v_cmpx_ne_u16_e32 0, v24
	s_cbranch_execz .LBB294_186
; %bb.179:                              ;   in Loop: Header=BB294_10 Depth=1
	v_bfrev_b32_e32 v64, 1
	s_mov_b32 s16, exec_lo
	v_cmpx_ne_u16_e32 0x80, v24
	s_cbranch_execz .LBB294_185
; %bb.180:                              ;   in Loop: Header=BB294_10 Depth=1
	v_and_b32_e32 v0, 0xffff, v24
	v_mov_b32_e32 v64, 0x7c010000
	s_mov_b32 s17, exec_lo
	s_delay_alu instid0(VALU_DEP_2) | instskip(NEXT) | instid1(VALU_DEP_1)
	v_and_b32_e32 v7, 0x7f, v0
	v_cmpx_ne_u32_e32 0x7f, v7
	s_cbranch_execz .LBB294_184
; %bb.181:                              ;   in Loop: Header=BB294_10 Depth=1
	v_dual_lshrrev_b32 v6, 3, v7 :: v_dual_bitop2_b32 v1, 7, v0 bitop3:0x40
	s_mov_b32 s18, exec_lo
	v_cmpx_gt_u32_e32 8, v7
; %bb.182:                              ;   in Loop: Header=BB294_10 Depth=1
	s_delay_alu instid0(VALU_DEP_2) | instskip(NEXT) | instid1(VALU_DEP_1)
	v_clz_i32_u32_e32 v1, v1
	v_min_u32_e32 v1, 32, v1
	s_delay_alu instid0(VALU_DEP_1) | instskip(NEXT) | instid1(VALU_DEP_1)
	v_subrev_nc_u32_e32 v6, 28, v1
	v_lshlrev_b64_e32 v[8:9], v6, v[24:25]
	s_delay_alu instid0(VALU_DEP_1)
	v_dual_sub_nc_u32 v6, 29, v1 :: v_dual_bitop2_b32 v1, 7, v8 bitop3:0x40
; %bb.183:                              ;   in Loop: Header=BB294_10 Depth=1
	s_or_b32 exec_lo, exec_lo, s18
	s_delay_alu instid0(VALU_DEP_1) | instskip(NEXT) | instid1(VALU_DEP_2)
	v_dual_lshlrev_b32 v0, 8, v0 :: v_dual_lshlrev_b32 v1, 23, v1
	v_lshl_add_u32 v6, v6, 10, 0x2000
	s_delay_alu instid0(VALU_DEP_1) | instskip(NEXT) | instid1(VALU_DEP_1)
	v_and_or_b32 v0, 0x8000, v0, v6
	v_lshl_or_b32 v64, v0, 16, v1
.LBB294_184:                            ;   in Loop: Header=BB294_10 Depth=1
	s_or_b32 exec_lo, exec_lo, s17
.LBB294_185:                            ;   in Loop: Header=BB294_10 Depth=1
	s_delay_alu instid0(SALU_CYCLE_1)
	s_or_b32 exec_lo, exec_lo, s16
.LBB294_186:                            ;   in Loop: Header=BB294_10 Depth=1
	s_delay_alu instid0(SALU_CYCLE_1) | instskip(SKIP_2) | instid1(VALU_DEP_1)
	s_or_b32 exec_lo, exec_lo, s15
	v_lshrrev_b32_e32 v8, 16, v5
	s_mov_b32 s15, exec_lo
	v_and_b32_e32 v0, 0xff, v8
	s_delay_alu instid0(VALU_DEP_1)
	v_cmpx_ne_u16_e32 0, v0
	s_cbranch_execz .LBB294_194
; %bb.187:                              ;   in Loop: Header=BB294_10 Depth=1
	v_mov_b32_e32 v65, 0x8000
	s_mov_b32 s16, exec_lo
	v_cmpx_ne_u16_e32 0x80, v0
	s_cbranch_execz .LBB294_193
; %bb.188:                              ;   in Loop: Header=BB294_10 Depth=1
	v_bfe_u32 v6, v5, 16, 7
	v_mov_b32_e32 v65, 0x7c01
	s_mov_b32 s17, exec_lo
	s_delay_alu instid0(VALU_DEP_2)
	v_cmpx_ne_u32_e32 0x7f, v6
	s_cbranch_execz .LBB294_192
; %bb.189:                              ;   in Loop: Header=BB294_10 Depth=1
	v_dual_lshrrev_b32 v1, 3, v6 :: v_dual_bitop2_b32 v0, 7, v8 bitop3:0x40
	s_mov_b32 s18, exec_lo
	v_cmpx_gt_u32_e32 8, v6
; %bb.190:                              ;   in Loop: Header=BB294_10 Depth=1
	s_delay_alu instid0(VALU_DEP_2) | instskip(NEXT) | instid1(VALU_DEP_1)
	v_clz_i32_u32_e32 v0, v0
	v_min_u32_e32 v6, 32, v0
	s_delay_alu instid0(VALU_DEP_1) | instskip(NEXT) | instid1(VALU_DEP_1)
	v_subrev_nc_u32_e32 v0, 28, v6
	v_lshlrev_b64_e32 v[0:1], v0, v[8:9]
	s_delay_alu instid0(VALU_DEP_1)
	v_dual_sub_nc_u32 v1, 29, v6 :: v_dual_bitop2_b32 v0, 7, v0 bitop3:0x40
; %bb.191:                              ;   in Loop: Header=BB294_10 Depth=1
	s_or_b32 exec_lo, exec_lo, s18
	v_lshlrev_b32_e32 v6, 8, v8
	s_delay_alu instid0(VALU_DEP_2) | instskip(NEXT) | instid1(VALU_DEP_3)
	v_lshl_add_u32 v1, v1, 10, 0x2000
	v_lshlrev_b32_e32 v0, 7, v0
	s_delay_alu instid0(VALU_DEP_3) | instskip(NEXT) | instid1(VALU_DEP_3)
	v_and_b32_e32 v6, 0x8000, v6
	v_and_b32_e32 v1, 0xfc00, v1
	s_delay_alu instid0(VALU_DEP_1)
	v_or3_b32 v65, v6, v1, v0
.LBB294_192:                            ;   in Loop: Header=BB294_10 Depth=1
	s_or_b32 exec_lo, exec_lo, s17
.LBB294_193:                            ;   in Loop: Header=BB294_10 Depth=1
	s_delay_alu instid0(SALU_CYCLE_1)
	s_or_b32 exec_lo, exec_lo, s16
.LBB294_194:                            ;   in Loop: Header=BB294_10 Depth=1
	s_delay_alu instid0(SALU_CYCLE_1)
	s_or_b32 exec_lo, exec_lo, s15
	v_dual_mov_b32 v68, 0 :: v_dual_mov_b32 v69, 0
	s_mov_b32 s15, exec_lo
	v_cmpx_lt_u64_e64 s[2:3], v[4:5]
	s_cbranch_execz .LBB294_202
; %bb.195:                              ;   in Loop: Header=BB294_10 Depth=1
	v_lshrrev_b32_e32 v24, 24, v5
	v_bfrev_b32_e32 v69, 1
	s_mov_b32 s16, exec_lo
	s_delay_alu instid0(VALU_DEP_2)
	v_cmpx_ne_u32_e32 0x80, v24
	s_cbranch_execz .LBB294_201
; %bb.196:                              ;   in Loop: Header=BB294_10 Depth=1
	v_and_b32_e32 v4, 0x7f, v24
	v_mov_b32_e32 v69, 0x7c010000
	s_mov_b32 s17, exec_lo
	s_delay_alu instid0(VALU_DEP_2)
	v_cmpx_ne_u32_e32 0x7f, v4
	s_cbranch_execz .LBB294_200
; %bb.197:                              ;   in Loop: Header=BB294_10 Depth=1
	v_and_b32_e32 v0, 7, v24
	v_lshrrev_b32_e32 v1, 3, v4
	s_mov_b32 s18, exec_lo
	v_cmpx_gt_u32_e32 8, v4
; %bb.198:                              ;   in Loop: Header=BB294_10 Depth=1
	s_delay_alu instid0(VALU_DEP_3) | instskip(NEXT) | instid1(VALU_DEP_1)
	v_clz_i32_u32_e32 v0, v0
	v_min_u32_e32 v4, 32, v0
	s_delay_alu instid0(VALU_DEP_1) | instskip(NEXT) | instid1(VALU_DEP_1)
	v_subrev_nc_u32_e32 v0, 28, v4
	v_lshlrev_b64_e32 v[0:1], v0, v[24:25]
	v_sub_nc_u32_e32 v1, 29, v4
	s_delay_alu instid0(VALU_DEP_2)
	v_and_b32_e32 v0, 7, v0
; %bb.199:                              ;   in Loop: Header=BB294_10 Depth=1
	s_or_b32 exec_lo, exec_lo, s18
	v_lshlrev_b32_e32 v4, 8, v24
	s_delay_alu instid0(VALU_DEP_3) | instskip(NEXT) | instid1(VALU_DEP_3)
	v_lshl_add_u32 v1, v1, 10, 0x2000
	v_lshlrev_b32_e32 v0, 23, v0
	s_delay_alu instid0(VALU_DEP_2) | instskip(NEXT) | instid1(VALU_DEP_1)
	v_and_or_b32 v1, 0x8000, v4, v1
	v_lshl_or_b32 v69, v1, 16, v0
.LBB294_200:                            ;   in Loop: Header=BB294_10 Depth=1
	s_or_b32 exec_lo, exec_lo, s17
.LBB294_201:                            ;   in Loop: Header=BB294_10 Depth=1
	s_delay_alu instid0(SALU_CYCLE_1)
	s_or_b32 exec_lo, exec_lo, s16
.LBB294_202:                            ;   in Loop: Header=BB294_10 Depth=1
	s_delay_alu instid0(SALU_CYCLE_1)
	s_or_b32 exec_lo, exec_lo, s15
	flat_load_b64 v[4:5], v[2:3] offset:520
	s_mov_b32 s15, exec_lo
	s_wait_loadcnt_dscnt 0x0
	v_and_b32_e32 v0, 0xff, v4
	s_wait_xcnt 0x0
	s_delay_alu instid0(VALU_DEP_1)
	v_cmpx_ne_u16_e32 0, v0
	s_cbranch_execz .LBB294_210
; %bb.203:                              ;   in Loop: Header=BB294_10 Depth=1
	v_mov_b32_e32 v68, 0x8000
	s_mov_b32 s16, exec_lo
	v_cmpx_ne_u16_e32 0x80, v0
	s_cbranch_execz .LBB294_209
; %bb.204:                              ;   in Loop: Header=BB294_10 Depth=1
	v_and_b32_e32 v6, 0x7f, v4
	v_mov_b32_e32 v68, 0x7c01
	s_mov_b32 s17, exec_lo
	s_delay_alu instid0(VALU_DEP_2)
	v_cmpx_ne_u32_e32 0x7f, v6
	s_cbranch_execz .LBB294_208
; %bb.205:                              ;   in Loop: Header=BB294_10 Depth=1
	v_dual_lshrrev_b32 v1, 3, v6 :: v_dual_bitop2_b32 v0, 7, v4 bitop3:0x40
	s_mov_b32 s18, exec_lo
	v_cmpx_gt_u32_e32 8, v6
; %bb.206:                              ;   in Loop: Header=BB294_10 Depth=1
	s_delay_alu instid0(VALU_DEP_2) | instskip(NEXT) | instid1(VALU_DEP_1)
	v_clz_i32_u32_e32 v0, v0
	v_min_u32_e32 v6, 32, v0
	s_delay_alu instid0(VALU_DEP_1) | instskip(NEXT) | instid1(VALU_DEP_1)
	v_subrev_nc_u32_e32 v0, 28, v6
	v_lshlrev_b64_e32 v[0:1], v0, v[4:5]
	s_delay_alu instid0(VALU_DEP_1)
	v_dual_sub_nc_u32 v1, 29, v6 :: v_dual_bitop2_b32 v0, 7, v0 bitop3:0x40
; %bb.207:                              ;   in Loop: Header=BB294_10 Depth=1
	s_or_b32 exec_lo, exec_lo, s18
	v_lshlrev_b32_e32 v6, 8, v4
	s_delay_alu instid0(VALU_DEP_2) | instskip(NEXT) | instid1(VALU_DEP_3)
	v_lshl_add_u32 v1, v1, 10, 0x2000
	v_lshlrev_b32_e32 v0, 7, v0
	s_delay_alu instid0(VALU_DEP_3) | instskip(NEXT) | instid1(VALU_DEP_3)
	v_and_b32_e32 v6, 0x8000, v6
	v_and_b32_e32 v1, 0xfc00, v1
	s_delay_alu instid0(VALU_DEP_1)
	v_or3_b32 v68, v6, v1, v0
.LBB294_208:                            ;   in Loop: Header=BB294_10 Depth=1
	s_or_b32 exec_lo, exec_lo, s17
.LBB294_209:                            ;   in Loop: Header=BB294_10 Depth=1
	s_delay_alu instid0(SALU_CYCLE_1)
	s_or_b32 exec_lo, exec_lo, s16
.LBB294_210:                            ;   in Loop: Header=BB294_10 Depth=1
	s_delay_alu instid0(SALU_CYCLE_1) | instskip(SKIP_3) | instid1(VALU_DEP_2)
	s_or_b32 exec_lo, exec_lo, s15
	v_lshrrev_b16 v24, 8, v4
	v_dual_mov_b32 v71, 0 :: v_dual_mov_b32 v80, 0
	s_mov_b32 s15, exec_lo
	v_cmpx_ne_u16_e32 0, v24
	s_cbranch_execz .LBB294_218
; %bb.211:                              ;   in Loop: Header=BB294_10 Depth=1
	v_bfrev_b32_e32 v80, 1
	s_mov_b32 s16, exec_lo
	v_cmpx_ne_u16_e32 0x80, v24
	s_cbranch_execz .LBB294_217
; %bb.212:                              ;   in Loop: Header=BB294_10 Depth=1
	v_and_b32_e32 v0, 0xffff, v24
	v_mov_b32_e32 v80, 0x7c010000
	s_mov_b32 s17, exec_lo
	s_delay_alu instid0(VALU_DEP_2) | instskip(NEXT) | instid1(VALU_DEP_1)
	v_and_b32_e32 v7, 0x7f, v0
	v_cmpx_ne_u32_e32 0x7f, v7
	s_cbranch_execz .LBB294_216
; %bb.213:                              ;   in Loop: Header=BB294_10 Depth=1
	v_dual_lshrrev_b32 v6, 3, v7 :: v_dual_bitop2_b32 v1, 7, v0 bitop3:0x40
	s_mov_b32 s18, exec_lo
	v_cmpx_gt_u32_e32 8, v7
; %bb.214:                              ;   in Loop: Header=BB294_10 Depth=1
	s_delay_alu instid0(VALU_DEP_2) | instskip(NEXT) | instid1(VALU_DEP_1)
	v_clz_i32_u32_e32 v1, v1
	v_min_u32_e32 v1, 32, v1
	s_delay_alu instid0(VALU_DEP_1) | instskip(NEXT) | instid1(VALU_DEP_1)
	v_subrev_nc_u32_e32 v6, 28, v1
	v_lshlrev_b64_e32 v[8:9], v6, v[24:25]
	s_delay_alu instid0(VALU_DEP_1)
	v_dual_sub_nc_u32 v6, 29, v1 :: v_dual_bitop2_b32 v1, 7, v8 bitop3:0x40
; %bb.215:                              ;   in Loop: Header=BB294_10 Depth=1
	s_or_b32 exec_lo, exec_lo, s18
	s_delay_alu instid0(VALU_DEP_1) | instskip(NEXT) | instid1(VALU_DEP_2)
	v_dual_lshlrev_b32 v0, 8, v0 :: v_dual_lshlrev_b32 v1, 23, v1
	v_lshl_add_u32 v6, v6, 10, 0x2000
	s_delay_alu instid0(VALU_DEP_1) | instskip(NEXT) | instid1(VALU_DEP_1)
	v_and_or_b32 v0, 0x8000, v0, v6
	v_lshl_or_b32 v80, v0, 16, v1
.LBB294_216:                            ;   in Loop: Header=BB294_10 Depth=1
	s_or_b32 exec_lo, exec_lo, s17
.LBB294_217:                            ;   in Loop: Header=BB294_10 Depth=1
	s_delay_alu instid0(SALU_CYCLE_1)
	s_or_b32 exec_lo, exec_lo, s16
.LBB294_218:                            ;   in Loop: Header=BB294_10 Depth=1
	s_delay_alu instid0(SALU_CYCLE_1) | instskip(SKIP_2) | instid1(VALU_DEP_1)
	s_or_b32 exec_lo, exec_lo, s15
	v_lshrrev_b32_e32 v8, 16, v4
	s_mov_b32 s15, exec_lo
	v_and_b32_e32 v0, 0xff, v8
	s_delay_alu instid0(VALU_DEP_1)
	v_cmpx_ne_u16_e32 0, v0
	s_cbranch_execz .LBB294_226
; %bb.219:                              ;   in Loop: Header=BB294_10 Depth=1
	v_mov_b32_e32 v71, 0x8000
	s_mov_b32 s16, exec_lo
	v_cmpx_ne_u16_e32 0x80, v0
	s_cbranch_execz .LBB294_225
; %bb.220:                              ;   in Loop: Header=BB294_10 Depth=1
	v_bfe_u32 v6, v4, 16, 7
	v_mov_b32_e32 v71, 0x7c01
	s_mov_b32 s17, exec_lo
	s_delay_alu instid0(VALU_DEP_2)
	v_cmpx_ne_u32_e32 0x7f, v6
	s_cbranch_execz .LBB294_224
; %bb.221:                              ;   in Loop: Header=BB294_10 Depth=1
	v_dual_lshrrev_b32 v1, 3, v6 :: v_dual_bitop2_b32 v0, 7, v8 bitop3:0x40
	s_mov_b32 s18, exec_lo
	v_cmpx_gt_u32_e32 8, v6
; %bb.222:                              ;   in Loop: Header=BB294_10 Depth=1
	s_delay_alu instid0(VALU_DEP_2) | instskip(NEXT) | instid1(VALU_DEP_1)
	v_clz_i32_u32_e32 v0, v0
	v_min_u32_e32 v6, 32, v0
	s_delay_alu instid0(VALU_DEP_1) | instskip(NEXT) | instid1(VALU_DEP_1)
	v_subrev_nc_u32_e32 v0, 28, v6
	v_lshlrev_b64_e32 v[0:1], v0, v[8:9]
	s_delay_alu instid0(VALU_DEP_1)
	v_dual_sub_nc_u32 v1, 29, v6 :: v_dual_bitop2_b32 v0, 7, v0 bitop3:0x40
; %bb.223:                              ;   in Loop: Header=BB294_10 Depth=1
	s_or_b32 exec_lo, exec_lo, s18
	v_lshlrev_b32_e32 v6, 8, v8
	s_delay_alu instid0(VALU_DEP_2) | instskip(NEXT) | instid1(VALU_DEP_3)
	v_lshl_add_u32 v1, v1, 10, 0x2000
	v_lshlrev_b32_e32 v0, 7, v0
	s_delay_alu instid0(VALU_DEP_3) | instskip(NEXT) | instid1(VALU_DEP_3)
	v_and_b32_e32 v6, 0x8000, v6
	v_and_b32_e32 v1, 0xfc00, v1
	s_delay_alu instid0(VALU_DEP_1)
	v_or3_b32 v71, v6, v1, v0
.LBB294_224:                            ;   in Loop: Header=BB294_10 Depth=1
	s_or_b32 exec_lo, exec_lo, s17
.LBB294_225:                            ;   in Loop: Header=BB294_10 Depth=1
	s_delay_alu instid0(SALU_CYCLE_1)
	s_or_b32 exec_lo, exec_lo, s16
.LBB294_226:                            ;   in Loop: Header=BB294_10 Depth=1
	s_delay_alu instid0(SALU_CYCLE_1)
	s_or_b32 exec_lo, exec_lo, s15
	v_dual_mov_b32 v42, 0 :: v_dual_mov_b32 v82, 0
	s_mov_b32 s15, exec_lo
	v_cmpx_lt_u32_e32 0xffffff, v4
	s_cbranch_execz .LBB294_234
; %bb.227:                              ;   in Loop: Header=BB294_10 Depth=1
	v_lshrrev_b32_e32 v24, 24, v4
	v_bfrev_b32_e32 v82, 1
	s_mov_b32 s16, exec_lo
	s_delay_alu instid0(VALU_DEP_2)
	v_cmpx_ne_u32_e32 0x80, v24
	s_cbranch_execz .LBB294_233
; %bb.228:                              ;   in Loop: Header=BB294_10 Depth=1
	v_and_b32_e32 v6, 0x7f, v24
	v_mov_b32_e32 v82, 0x7c010000
	s_mov_b32 s17, exec_lo
	s_delay_alu instid0(VALU_DEP_2)
	v_cmpx_ne_u32_e32 0x7f, v6
	s_cbranch_execz .LBB294_232
; %bb.229:                              ;   in Loop: Header=BB294_10 Depth=1
	v_dual_lshrrev_b32 v1, 3, v6 :: v_dual_bitop2_b32 v0, 7, v24 bitop3:0x40
	s_mov_b32 s18, exec_lo
	v_cmpx_gt_u32_e32 8, v6
; %bb.230:                              ;   in Loop: Header=BB294_10 Depth=1
	s_delay_alu instid0(VALU_DEP_2) | instskip(NEXT) | instid1(VALU_DEP_1)
	v_clz_i32_u32_e32 v0, v0
	v_min_u32_e32 v6, 32, v0
	s_delay_alu instid0(VALU_DEP_1) | instskip(NEXT) | instid1(VALU_DEP_1)
	v_subrev_nc_u32_e32 v0, 28, v6
	v_lshlrev_b64_e32 v[0:1], v0, v[24:25]
	s_delay_alu instid0(VALU_DEP_1)
	v_dual_sub_nc_u32 v1, 29, v6 :: v_dual_bitop2_b32 v0, 7, v0 bitop3:0x40
; %bb.231:                              ;   in Loop: Header=BB294_10 Depth=1
	s_or_b32 exec_lo, exec_lo, s18
	v_lshlrev_b32_e32 v6, 8, v24
	s_delay_alu instid0(VALU_DEP_2) | instskip(NEXT) | instid1(VALU_DEP_3)
	v_lshl_add_u32 v1, v1, 10, 0x2000
	v_lshlrev_b32_e32 v0, 23, v0
	s_delay_alu instid0(VALU_DEP_2) | instskip(NEXT) | instid1(VALU_DEP_1)
	v_and_or_b32 v1, 0x8000, v6, v1
	v_lshl_or_b32 v82, v1, 16, v0
.LBB294_232:                            ;   in Loop: Header=BB294_10 Depth=1
	s_or_b32 exec_lo, exec_lo, s17
.LBB294_233:                            ;   in Loop: Header=BB294_10 Depth=1
	s_delay_alu instid0(SALU_CYCLE_1)
	s_or_b32 exec_lo, exec_lo, s16
.LBB294_234:                            ;   in Loop: Header=BB294_10 Depth=1
	s_delay_alu instid0(SALU_CYCLE_1) | instskip(SKIP_3) | instid1(VALU_DEP_2)
	s_or_b32 exec_lo, exec_lo, s15
	v_and_b32_e32 v0, 0xff, v5
	v_mov_b32_e32 v24, v5
	s_mov_b32 s15, exec_lo
	v_cmpx_ne_u16_e32 0, v0
	s_cbranch_execz .LBB294_242
; %bb.235:                              ;   in Loop: Header=BB294_10 Depth=1
	v_mov_b32_e32 v42, 0x8000
	s_mov_b32 s16, exec_lo
	v_cmpx_ne_u16_e32 0x80, v0
	s_cbranch_execz .LBB294_241
; %bb.236:                              ;   in Loop: Header=BB294_10 Depth=1
	v_and_b32_e32 v6, 0x7f, v5
	v_mov_b32_e32 v42, 0x7c01
	s_mov_b32 s17, exec_lo
	s_delay_alu instid0(VALU_DEP_2)
	v_cmpx_ne_u32_e32 0x7f, v6
	s_cbranch_execz .LBB294_240
; %bb.237:                              ;   in Loop: Header=BB294_10 Depth=1
	v_dual_lshrrev_b32 v1, 3, v6 :: v_dual_bitop2_b32 v0, 7, v5 bitop3:0x40
	s_mov_b32 s18, exec_lo
	v_cmpx_gt_u32_e32 8, v6
; %bb.238:                              ;   in Loop: Header=BB294_10 Depth=1
	s_delay_alu instid0(VALU_DEP_2) | instskip(NEXT) | instid1(VALU_DEP_1)
	v_clz_i32_u32_e32 v0, v0
	v_min_u32_e32 v6, 32, v0
	s_delay_alu instid0(VALU_DEP_1) | instskip(NEXT) | instid1(VALU_DEP_1)
	v_subrev_nc_u32_e32 v0, 28, v6
	v_lshlrev_b64_e32 v[0:1], v0, v[24:25]
	s_delay_alu instid0(VALU_DEP_1)
	v_dual_sub_nc_u32 v1, 29, v6 :: v_dual_bitop2_b32 v0, 7, v0 bitop3:0x40
; %bb.239:                              ;   in Loop: Header=BB294_10 Depth=1
	s_or_b32 exec_lo, exec_lo, s18
	s_delay_alu instid0(VALU_DEP_1) | instskip(NEXT) | instid1(VALU_DEP_2)
	v_dual_lshlrev_b32 v6, 8, v5 :: v_dual_lshlrev_b32 v0, 7, v0
	v_lshl_add_u32 v1, v1, 10, 0x2000
	s_delay_alu instid0(VALU_DEP_2) | instskip(NEXT) | instid1(VALU_DEP_2)
	v_and_b32_e32 v6, 0x8000, v6
	v_and_b32_e32 v1, 0xfc00, v1
	s_delay_alu instid0(VALU_DEP_1)
	v_or3_b32 v42, v6, v1, v0
.LBB294_240:                            ;   in Loop: Header=BB294_10 Depth=1
	s_or_b32 exec_lo, exec_lo, s17
.LBB294_241:                            ;   in Loop: Header=BB294_10 Depth=1
	s_delay_alu instid0(SALU_CYCLE_1)
	s_or_b32 exec_lo, exec_lo, s16
.LBB294_242:                            ;   in Loop: Header=BB294_10 Depth=1
	s_delay_alu instid0(SALU_CYCLE_1) | instskip(SKIP_3) | instid1(VALU_DEP_2)
	s_or_b32 exec_lo, exec_lo, s15
	v_lshrrev_b16 v24, 8, v24
	v_dual_mov_b32 v43, 0 :: v_dual_mov_b32 v84, 0
	s_mov_b32 s15, exec_lo
	v_cmpx_ne_u16_e32 0, v24
	s_cbranch_execz .LBB294_250
; %bb.243:                              ;   in Loop: Header=BB294_10 Depth=1
	v_bfrev_b32_e32 v84, 1
	s_mov_b32 s16, exec_lo
	v_cmpx_ne_u16_e32 0x80, v24
	s_cbranch_execz .LBB294_249
; %bb.244:                              ;   in Loop: Header=BB294_10 Depth=1
	v_and_b32_e32 v0, 0xffff, v24
	v_mov_b32_e32 v84, 0x7c010000
	s_mov_b32 s17, exec_lo
	s_delay_alu instid0(VALU_DEP_2) | instskip(NEXT) | instid1(VALU_DEP_1)
	v_and_b32_e32 v7, 0x7f, v0
	v_cmpx_ne_u32_e32 0x7f, v7
	s_cbranch_execz .LBB294_248
; %bb.245:                              ;   in Loop: Header=BB294_10 Depth=1
	v_dual_lshrrev_b32 v6, 3, v7 :: v_dual_bitop2_b32 v1, 7, v0 bitop3:0x40
	s_mov_b32 s18, exec_lo
	v_cmpx_gt_u32_e32 8, v7
; %bb.246:                              ;   in Loop: Header=BB294_10 Depth=1
	s_delay_alu instid0(VALU_DEP_2) | instskip(NEXT) | instid1(VALU_DEP_1)
	v_clz_i32_u32_e32 v1, v1
	v_min_u32_e32 v1, 32, v1
	s_delay_alu instid0(VALU_DEP_1) | instskip(NEXT) | instid1(VALU_DEP_1)
	v_subrev_nc_u32_e32 v6, 28, v1
	v_lshlrev_b64_e32 v[8:9], v6, v[24:25]
	s_delay_alu instid0(VALU_DEP_1)
	v_dual_sub_nc_u32 v6, 29, v1 :: v_dual_bitop2_b32 v1, 7, v8 bitop3:0x40
; %bb.247:                              ;   in Loop: Header=BB294_10 Depth=1
	s_or_b32 exec_lo, exec_lo, s18
	s_delay_alu instid0(VALU_DEP_1) | instskip(NEXT) | instid1(VALU_DEP_2)
	v_dual_lshlrev_b32 v0, 8, v0 :: v_dual_lshlrev_b32 v1, 23, v1
	v_lshl_add_u32 v6, v6, 10, 0x2000
	s_delay_alu instid0(VALU_DEP_1) | instskip(NEXT) | instid1(VALU_DEP_1)
	v_and_or_b32 v0, 0x8000, v0, v6
	v_lshl_or_b32 v84, v0, 16, v1
.LBB294_248:                            ;   in Loop: Header=BB294_10 Depth=1
	s_or_b32 exec_lo, exec_lo, s17
.LBB294_249:                            ;   in Loop: Header=BB294_10 Depth=1
	s_delay_alu instid0(SALU_CYCLE_1)
	s_or_b32 exec_lo, exec_lo, s16
.LBB294_250:                            ;   in Loop: Header=BB294_10 Depth=1
	s_delay_alu instid0(SALU_CYCLE_1) | instskip(SKIP_2) | instid1(VALU_DEP_1)
	s_or_b32 exec_lo, exec_lo, s15
	v_lshrrev_b32_e32 v8, 16, v5
	s_mov_b32 s15, exec_lo
	v_and_b32_e32 v0, 0xff, v8
	s_delay_alu instid0(VALU_DEP_1)
	v_cmpx_ne_u16_e32 0, v0
	s_cbranch_execz .LBB294_258
; %bb.251:                              ;   in Loop: Header=BB294_10 Depth=1
	v_mov_b32_e32 v43, 0x8000
	s_mov_b32 s16, exec_lo
	v_cmpx_ne_u16_e32 0x80, v0
	s_cbranch_execz .LBB294_257
; %bb.252:                              ;   in Loop: Header=BB294_10 Depth=1
	v_bfe_u32 v6, v5, 16, 7
	v_mov_b32_e32 v43, 0x7c01
	s_mov_b32 s17, exec_lo
	s_delay_alu instid0(VALU_DEP_2)
	v_cmpx_ne_u32_e32 0x7f, v6
	s_cbranch_execz .LBB294_256
; %bb.253:                              ;   in Loop: Header=BB294_10 Depth=1
	v_dual_lshrrev_b32 v1, 3, v6 :: v_dual_bitop2_b32 v0, 7, v8 bitop3:0x40
	s_mov_b32 s18, exec_lo
	v_cmpx_gt_u32_e32 8, v6
; %bb.254:                              ;   in Loop: Header=BB294_10 Depth=1
	s_delay_alu instid0(VALU_DEP_2) | instskip(NEXT) | instid1(VALU_DEP_1)
	v_clz_i32_u32_e32 v0, v0
	v_min_u32_e32 v6, 32, v0
	s_delay_alu instid0(VALU_DEP_1) | instskip(NEXT) | instid1(VALU_DEP_1)
	v_subrev_nc_u32_e32 v0, 28, v6
	v_lshlrev_b64_e32 v[0:1], v0, v[8:9]
	s_delay_alu instid0(VALU_DEP_1)
	v_dual_sub_nc_u32 v1, 29, v6 :: v_dual_bitop2_b32 v0, 7, v0 bitop3:0x40
; %bb.255:                              ;   in Loop: Header=BB294_10 Depth=1
	s_or_b32 exec_lo, exec_lo, s18
	v_lshlrev_b32_e32 v6, 8, v8
	s_delay_alu instid0(VALU_DEP_2) | instskip(NEXT) | instid1(VALU_DEP_3)
	v_lshl_add_u32 v1, v1, 10, 0x2000
	v_lshlrev_b32_e32 v0, 7, v0
	s_delay_alu instid0(VALU_DEP_3) | instskip(NEXT) | instid1(VALU_DEP_3)
	v_and_b32_e32 v6, 0x8000, v6
	v_and_b32_e32 v1, 0xfc00, v1
	s_delay_alu instid0(VALU_DEP_1)
	v_or3_b32 v43, v6, v1, v0
.LBB294_256:                            ;   in Loop: Header=BB294_10 Depth=1
	s_or_b32 exec_lo, exec_lo, s17
.LBB294_257:                            ;   in Loop: Header=BB294_10 Depth=1
	s_delay_alu instid0(SALU_CYCLE_1)
	s_or_b32 exec_lo, exec_lo, s16
.LBB294_258:                            ;   in Loop: Header=BB294_10 Depth=1
	s_delay_alu instid0(SALU_CYCLE_1)
	s_or_b32 exec_lo, exec_lo, s15
	v_dual_mov_b32 v47, 0 :: v_dual_mov_b32 v86, 0
	s_mov_b32 s15, exec_lo
	v_cmpx_lt_u64_e64 s[2:3], v[4:5]
	s_cbranch_execz .LBB294_266
; %bb.259:                              ;   in Loop: Header=BB294_10 Depth=1
	v_lshrrev_b32_e32 v24, 24, v5
	v_bfrev_b32_e32 v86, 1
	s_mov_b32 s16, exec_lo
	s_delay_alu instid0(VALU_DEP_2)
	v_cmpx_ne_u32_e32 0x80, v24
	s_cbranch_execz .LBB294_265
; %bb.260:                              ;   in Loop: Header=BB294_10 Depth=1
	v_and_b32_e32 v4, 0x7f, v24
	v_mov_b32_e32 v86, 0x7c010000
	s_mov_b32 s17, exec_lo
	s_delay_alu instid0(VALU_DEP_2)
	v_cmpx_ne_u32_e32 0x7f, v4
	s_cbranch_execz .LBB294_264
; %bb.261:                              ;   in Loop: Header=BB294_10 Depth=1
	v_and_b32_e32 v0, 7, v24
	v_lshrrev_b32_e32 v1, 3, v4
	s_mov_b32 s18, exec_lo
	v_cmpx_gt_u32_e32 8, v4
; %bb.262:                              ;   in Loop: Header=BB294_10 Depth=1
	s_delay_alu instid0(VALU_DEP_3) | instskip(NEXT) | instid1(VALU_DEP_1)
	v_clz_i32_u32_e32 v0, v0
	v_min_u32_e32 v4, 32, v0
	s_delay_alu instid0(VALU_DEP_1) | instskip(NEXT) | instid1(VALU_DEP_1)
	v_subrev_nc_u32_e32 v0, 28, v4
	v_lshlrev_b64_e32 v[0:1], v0, v[24:25]
	v_sub_nc_u32_e32 v1, 29, v4
	s_delay_alu instid0(VALU_DEP_2)
	v_and_b32_e32 v0, 7, v0
; %bb.263:                              ;   in Loop: Header=BB294_10 Depth=1
	s_or_b32 exec_lo, exec_lo, s18
	v_lshlrev_b32_e32 v4, 8, v24
	s_delay_alu instid0(VALU_DEP_3) | instskip(NEXT) | instid1(VALU_DEP_3)
	v_lshl_add_u32 v1, v1, 10, 0x2000
	v_lshlrev_b32_e32 v0, 23, v0
	s_delay_alu instid0(VALU_DEP_2) | instskip(NEXT) | instid1(VALU_DEP_1)
	v_and_or_b32 v1, 0x8000, v4, v1
	v_lshl_or_b32 v86, v1, 16, v0
.LBB294_264:                            ;   in Loop: Header=BB294_10 Depth=1
	s_or_b32 exec_lo, exec_lo, s17
.LBB294_265:                            ;   in Loop: Header=BB294_10 Depth=1
	s_delay_alu instid0(SALU_CYCLE_1)
	s_or_b32 exec_lo, exec_lo, s16
.LBB294_266:                            ;   in Loop: Header=BB294_10 Depth=1
	s_delay_alu instid0(SALU_CYCLE_1)
	s_or_b32 exec_lo, exec_lo, s15
	flat_load_b64 v[4:5], v[2:3] offset:1024
	s_mov_b32 s15, exec_lo
	s_wait_loadcnt_dscnt 0x0
	v_and_b32_e32 v0, 0xff, v4
	s_wait_xcnt 0x0
	s_delay_alu instid0(VALU_DEP_1)
	v_cmpx_ne_u16_e32 0, v0
	s_cbranch_execz .LBB294_274
; %bb.267:                              ;   in Loop: Header=BB294_10 Depth=1
	v_mov_b32_e32 v47, 0x8000
	s_mov_b32 s16, exec_lo
	v_cmpx_ne_u16_e32 0x80, v0
	s_cbranch_execz .LBB294_273
; %bb.268:                              ;   in Loop: Header=BB294_10 Depth=1
	v_and_b32_e32 v6, 0x7f, v4
	v_mov_b32_e32 v47, 0x7c01
	s_mov_b32 s17, exec_lo
	s_delay_alu instid0(VALU_DEP_2)
	v_cmpx_ne_u32_e32 0x7f, v6
	s_cbranch_execz .LBB294_272
; %bb.269:                              ;   in Loop: Header=BB294_10 Depth=1
	v_dual_lshrrev_b32 v1, 3, v6 :: v_dual_bitop2_b32 v0, 7, v4 bitop3:0x40
	s_mov_b32 s18, exec_lo
	v_cmpx_gt_u32_e32 8, v6
; %bb.270:                              ;   in Loop: Header=BB294_10 Depth=1
	s_delay_alu instid0(VALU_DEP_2) | instskip(NEXT) | instid1(VALU_DEP_1)
	v_clz_i32_u32_e32 v0, v0
	v_min_u32_e32 v6, 32, v0
	s_delay_alu instid0(VALU_DEP_1) | instskip(NEXT) | instid1(VALU_DEP_1)
	v_subrev_nc_u32_e32 v0, 28, v6
	v_lshlrev_b64_e32 v[0:1], v0, v[4:5]
	s_delay_alu instid0(VALU_DEP_1)
	v_dual_sub_nc_u32 v1, 29, v6 :: v_dual_bitop2_b32 v0, 7, v0 bitop3:0x40
; %bb.271:                              ;   in Loop: Header=BB294_10 Depth=1
	s_or_b32 exec_lo, exec_lo, s18
	v_lshlrev_b32_e32 v6, 8, v4
	s_delay_alu instid0(VALU_DEP_2) | instskip(NEXT) | instid1(VALU_DEP_3)
	v_lshl_add_u32 v1, v1, 10, 0x2000
	v_lshlrev_b32_e32 v0, 7, v0
	s_delay_alu instid0(VALU_DEP_3) | instskip(NEXT) | instid1(VALU_DEP_3)
	v_and_b32_e32 v6, 0x8000, v6
	v_and_b32_e32 v1, 0xfc00, v1
	s_delay_alu instid0(VALU_DEP_1)
	v_or3_b32 v47, v6, v1, v0
.LBB294_272:                            ;   in Loop: Header=BB294_10 Depth=1
	s_or_b32 exec_lo, exec_lo, s17
.LBB294_273:                            ;   in Loop: Header=BB294_10 Depth=1
	s_delay_alu instid0(SALU_CYCLE_1)
	s_or_b32 exec_lo, exec_lo, s16
.LBB294_274:                            ;   in Loop: Header=BB294_10 Depth=1
	s_delay_alu instid0(SALU_CYCLE_1) | instskip(SKIP_3) | instid1(VALU_DEP_2)
	s_or_b32 exec_lo, exec_lo, s15
	v_lshrrev_b16 v24, 8, v4
	v_dual_mov_b32 v46, 0 :: v_dual_mov_b32 v96, 0
	s_mov_b32 s15, exec_lo
	v_cmpx_ne_u16_e32 0, v24
	s_cbranch_execz .LBB294_282
; %bb.275:                              ;   in Loop: Header=BB294_10 Depth=1
	v_bfrev_b32_e32 v96, 1
	s_mov_b32 s16, exec_lo
	v_cmpx_ne_u16_e32 0x80, v24
	s_cbranch_execz .LBB294_281
; %bb.276:                              ;   in Loop: Header=BB294_10 Depth=1
	v_and_b32_e32 v0, 0xffff, v24
	v_mov_b32_e32 v96, 0x7c010000
	s_mov_b32 s17, exec_lo
	s_delay_alu instid0(VALU_DEP_2) | instskip(NEXT) | instid1(VALU_DEP_1)
	v_and_b32_e32 v7, 0x7f, v0
	v_cmpx_ne_u32_e32 0x7f, v7
	s_cbranch_execz .LBB294_280
; %bb.277:                              ;   in Loop: Header=BB294_10 Depth=1
	v_dual_lshrrev_b32 v6, 3, v7 :: v_dual_bitop2_b32 v1, 7, v0 bitop3:0x40
	s_mov_b32 s18, exec_lo
	v_cmpx_gt_u32_e32 8, v7
; %bb.278:                              ;   in Loop: Header=BB294_10 Depth=1
	s_delay_alu instid0(VALU_DEP_2) | instskip(NEXT) | instid1(VALU_DEP_1)
	v_clz_i32_u32_e32 v1, v1
	v_min_u32_e32 v1, 32, v1
	s_delay_alu instid0(VALU_DEP_1) | instskip(NEXT) | instid1(VALU_DEP_1)
	v_subrev_nc_u32_e32 v6, 28, v1
	v_lshlrev_b64_e32 v[8:9], v6, v[24:25]
	s_delay_alu instid0(VALU_DEP_1)
	v_dual_sub_nc_u32 v6, 29, v1 :: v_dual_bitop2_b32 v1, 7, v8 bitop3:0x40
; %bb.279:                              ;   in Loop: Header=BB294_10 Depth=1
	s_or_b32 exec_lo, exec_lo, s18
	s_delay_alu instid0(VALU_DEP_1) | instskip(NEXT) | instid1(VALU_DEP_2)
	v_dual_lshlrev_b32 v0, 8, v0 :: v_dual_lshlrev_b32 v1, 23, v1
	v_lshl_add_u32 v6, v6, 10, 0x2000
	s_delay_alu instid0(VALU_DEP_1) | instskip(NEXT) | instid1(VALU_DEP_1)
	v_and_or_b32 v0, 0x8000, v0, v6
	v_lshl_or_b32 v96, v0, 16, v1
.LBB294_280:                            ;   in Loop: Header=BB294_10 Depth=1
	s_or_b32 exec_lo, exec_lo, s17
.LBB294_281:                            ;   in Loop: Header=BB294_10 Depth=1
	s_delay_alu instid0(SALU_CYCLE_1)
	s_or_b32 exec_lo, exec_lo, s16
.LBB294_282:                            ;   in Loop: Header=BB294_10 Depth=1
	s_delay_alu instid0(SALU_CYCLE_1) | instskip(SKIP_2) | instid1(VALU_DEP_1)
	s_or_b32 exec_lo, exec_lo, s15
	v_lshrrev_b32_e32 v8, 16, v4
	s_mov_b32 s15, exec_lo
	v_and_b32_e32 v0, 0xff, v8
	s_delay_alu instid0(VALU_DEP_1)
	v_cmpx_ne_u16_e32 0, v0
	s_cbranch_execz .LBB294_290
; %bb.283:                              ;   in Loop: Header=BB294_10 Depth=1
	v_mov_b32_e32 v46, 0x8000
	s_mov_b32 s16, exec_lo
	v_cmpx_ne_u16_e32 0x80, v0
	s_cbranch_execz .LBB294_289
; %bb.284:                              ;   in Loop: Header=BB294_10 Depth=1
	v_bfe_u32 v6, v4, 16, 7
	v_mov_b32_e32 v46, 0x7c01
	s_mov_b32 s17, exec_lo
	s_delay_alu instid0(VALU_DEP_2)
	v_cmpx_ne_u32_e32 0x7f, v6
	s_cbranch_execz .LBB294_288
; %bb.285:                              ;   in Loop: Header=BB294_10 Depth=1
	v_dual_lshrrev_b32 v1, 3, v6 :: v_dual_bitop2_b32 v0, 7, v8 bitop3:0x40
	s_mov_b32 s18, exec_lo
	v_cmpx_gt_u32_e32 8, v6
; %bb.286:                              ;   in Loop: Header=BB294_10 Depth=1
	s_delay_alu instid0(VALU_DEP_2) | instskip(NEXT) | instid1(VALU_DEP_1)
	v_clz_i32_u32_e32 v0, v0
	v_min_u32_e32 v6, 32, v0
	s_delay_alu instid0(VALU_DEP_1) | instskip(NEXT) | instid1(VALU_DEP_1)
	v_subrev_nc_u32_e32 v0, 28, v6
	v_lshlrev_b64_e32 v[0:1], v0, v[8:9]
	s_delay_alu instid0(VALU_DEP_1)
	v_dual_sub_nc_u32 v1, 29, v6 :: v_dual_bitop2_b32 v0, 7, v0 bitop3:0x40
; %bb.287:                              ;   in Loop: Header=BB294_10 Depth=1
	s_or_b32 exec_lo, exec_lo, s18
	v_lshlrev_b32_e32 v6, 8, v8
	s_delay_alu instid0(VALU_DEP_2) | instskip(NEXT) | instid1(VALU_DEP_3)
	v_lshl_add_u32 v1, v1, 10, 0x2000
	v_lshlrev_b32_e32 v0, 7, v0
	s_delay_alu instid0(VALU_DEP_3) | instskip(NEXT) | instid1(VALU_DEP_3)
	v_and_b32_e32 v6, 0x8000, v6
	v_and_b32_e32 v1, 0xfc00, v1
	s_delay_alu instid0(VALU_DEP_1)
	v_or3_b32 v46, v6, v1, v0
.LBB294_288:                            ;   in Loop: Header=BB294_10 Depth=1
	s_or_b32 exec_lo, exec_lo, s17
.LBB294_289:                            ;   in Loop: Header=BB294_10 Depth=1
	s_delay_alu instid0(SALU_CYCLE_1)
	s_or_b32 exec_lo, exec_lo, s16
.LBB294_290:                            ;   in Loop: Header=BB294_10 Depth=1
	s_delay_alu instid0(SALU_CYCLE_1)
	s_or_b32 exec_lo, exec_lo, s15
	v_dual_mov_b32 v98, 0 :: v_dual_mov_b32 v97, 0
	s_mov_b32 s15, exec_lo
	v_cmpx_lt_u32_e32 0xffffff, v4
	s_cbranch_execz .LBB294_298
; %bb.291:                              ;   in Loop: Header=BB294_10 Depth=1
	v_lshrrev_b32_e32 v24, 24, v4
	v_bfrev_b32_e32 v97, 1
	s_mov_b32 s16, exec_lo
	s_delay_alu instid0(VALU_DEP_2)
	v_cmpx_ne_u32_e32 0x80, v24
	s_cbranch_execz .LBB294_297
; %bb.292:                              ;   in Loop: Header=BB294_10 Depth=1
	v_and_b32_e32 v6, 0x7f, v24
	v_mov_b32_e32 v97, 0x7c010000
	s_mov_b32 s17, exec_lo
	s_delay_alu instid0(VALU_DEP_2)
	v_cmpx_ne_u32_e32 0x7f, v6
	s_cbranch_execz .LBB294_296
; %bb.293:                              ;   in Loop: Header=BB294_10 Depth=1
	v_dual_lshrrev_b32 v1, 3, v6 :: v_dual_bitop2_b32 v0, 7, v24 bitop3:0x40
	s_mov_b32 s18, exec_lo
	v_cmpx_gt_u32_e32 8, v6
; %bb.294:                              ;   in Loop: Header=BB294_10 Depth=1
	s_delay_alu instid0(VALU_DEP_2) | instskip(NEXT) | instid1(VALU_DEP_1)
	v_clz_i32_u32_e32 v0, v0
	v_min_u32_e32 v6, 32, v0
	s_delay_alu instid0(VALU_DEP_1) | instskip(NEXT) | instid1(VALU_DEP_1)
	v_subrev_nc_u32_e32 v0, 28, v6
	v_lshlrev_b64_e32 v[0:1], v0, v[24:25]
	s_delay_alu instid0(VALU_DEP_1)
	v_dual_sub_nc_u32 v1, 29, v6 :: v_dual_bitop2_b32 v0, 7, v0 bitop3:0x40
; %bb.295:                              ;   in Loop: Header=BB294_10 Depth=1
	s_or_b32 exec_lo, exec_lo, s18
	v_lshlrev_b32_e32 v6, 8, v24
	s_delay_alu instid0(VALU_DEP_2) | instskip(NEXT) | instid1(VALU_DEP_3)
	v_lshl_add_u32 v1, v1, 10, 0x2000
	v_lshlrev_b32_e32 v0, 23, v0
	s_delay_alu instid0(VALU_DEP_2) | instskip(NEXT) | instid1(VALU_DEP_1)
	v_and_or_b32 v1, 0x8000, v6, v1
	v_lshl_or_b32 v97, v1, 16, v0
.LBB294_296:                            ;   in Loop: Header=BB294_10 Depth=1
	s_or_b32 exec_lo, exec_lo, s17
.LBB294_297:                            ;   in Loop: Header=BB294_10 Depth=1
	s_delay_alu instid0(SALU_CYCLE_1)
	s_or_b32 exec_lo, exec_lo, s16
.LBB294_298:                            ;   in Loop: Header=BB294_10 Depth=1
	s_delay_alu instid0(SALU_CYCLE_1) | instskip(SKIP_3) | instid1(VALU_DEP_2)
	s_or_b32 exec_lo, exec_lo, s15
	v_and_b32_e32 v0, 0xff, v5
	v_mov_b32_e32 v24, v5
	s_mov_b32 s15, exec_lo
	v_cmpx_ne_u16_e32 0, v0
	s_cbranch_execz .LBB294_306
; %bb.299:                              ;   in Loop: Header=BB294_10 Depth=1
	v_mov_b32_e32 v98, 0x8000
	s_mov_b32 s16, exec_lo
	v_cmpx_ne_u16_e32 0x80, v0
	s_cbranch_execz .LBB294_305
; %bb.300:                              ;   in Loop: Header=BB294_10 Depth=1
	v_and_b32_e32 v6, 0x7f, v5
	v_mov_b32_e32 v98, 0x7c01
	s_mov_b32 s17, exec_lo
	s_delay_alu instid0(VALU_DEP_2)
	v_cmpx_ne_u32_e32 0x7f, v6
	s_cbranch_execz .LBB294_304
; %bb.301:                              ;   in Loop: Header=BB294_10 Depth=1
	v_dual_lshrrev_b32 v1, 3, v6 :: v_dual_bitop2_b32 v0, 7, v5 bitop3:0x40
	s_mov_b32 s18, exec_lo
	v_cmpx_gt_u32_e32 8, v6
; %bb.302:                              ;   in Loop: Header=BB294_10 Depth=1
	s_delay_alu instid0(VALU_DEP_2) | instskip(NEXT) | instid1(VALU_DEP_1)
	v_clz_i32_u32_e32 v0, v0
	v_min_u32_e32 v6, 32, v0
	s_delay_alu instid0(VALU_DEP_1) | instskip(NEXT) | instid1(VALU_DEP_1)
	v_subrev_nc_u32_e32 v0, 28, v6
	v_lshlrev_b64_e32 v[0:1], v0, v[24:25]
	s_delay_alu instid0(VALU_DEP_1)
	v_dual_sub_nc_u32 v1, 29, v6 :: v_dual_bitop2_b32 v0, 7, v0 bitop3:0x40
; %bb.303:                              ;   in Loop: Header=BB294_10 Depth=1
	s_or_b32 exec_lo, exec_lo, s18
	s_delay_alu instid0(VALU_DEP_1) | instskip(NEXT) | instid1(VALU_DEP_2)
	v_dual_lshlrev_b32 v6, 8, v5 :: v_dual_lshlrev_b32 v0, 7, v0
	v_lshl_add_u32 v1, v1, 10, 0x2000
	s_delay_alu instid0(VALU_DEP_2) | instskip(NEXT) | instid1(VALU_DEP_2)
	v_and_b32_e32 v6, 0x8000, v6
	v_and_b32_e32 v1, 0xfc00, v1
	s_delay_alu instid0(VALU_DEP_1)
	v_or3_b32 v98, v6, v1, v0
.LBB294_304:                            ;   in Loop: Header=BB294_10 Depth=1
	s_or_b32 exec_lo, exec_lo, s17
.LBB294_305:                            ;   in Loop: Header=BB294_10 Depth=1
	s_delay_alu instid0(SALU_CYCLE_1)
	s_or_b32 exec_lo, exec_lo, s16
.LBB294_306:                            ;   in Loop: Header=BB294_10 Depth=1
	s_delay_alu instid0(SALU_CYCLE_1) | instskip(SKIP_3) | instid1(VALU_DEP_2)
	s_or_b32 exec_lo, exec_lo, s15
	v_lshrrev_b16 v24, 8, v24
	v_dual_mov_b32 v93, 0 :: v_dual_mov_b32 v99, 0
	s_mov_b32 s15, exec_lo
	v_cmpx_ne_u16_e32 0, v24
	s_cbranch_execz .LBB294_314
; %bb.307:                              ;   in Loop: Header=BB294_10 Depth=1
	v_bfrev_b32_e32 v99, 1
	s_mov_b32 s16, exec_lo
	v_cmpx_ne_u16_e32 0x80, v24
	s_cbranch_execz .LBB294_313
; %bb.308:                              ;   in Loop: Header=BB294_10 Depth=1
	v_and_b32_e32 v0, 0xffff, v24
	v_mov_b32_e32 v99, 0x7c010000
	s_mov_b32 s17, exec_lo
	s_delay_alu instid0(VALU_DEP_2) | instskip(NEXT) | instid1(VALU_DEP_1)
	v_and_b32_e32 v7, 0x7f, v0
	v_cmpx_ne_u32_e32 0x7f, v7
	s_cbranch_execz .LBB294_312
; %bb.309:                              ;   in Loop: Header=BB294_10 Depth=1
	v_dual_lshrrev_b32 v6, 3, v7 :: v_dual_bitop2_b32 v1, 7, v0 bitop3:0x40
	s_mov_b32 s18, exec_lo
	v_cmpx_gt_u32_e32 8, v7
; %bb.310:                              ;   in Loop: Header=BB294_10 Depth=1
	s_delay_alu instid0(VALU_DEP_2) | instskip(NEXT) | instid1(VALU_DEP_1)
	v_clz_i32_u32_e32 v1, v1
	v_min_u32_e32 v1, 32, v1
	s_delay_alu instid0(VALU_DEP_1) | instskip(NEXT) | instid1(VALU_DEP_1)
	v_subrev_nc_u32_e32 v6, 28, v1
	v_lshlrev_b64_e32 v[8:9], v6, v[24:25]
	s_delay_alu instid0(VALU_DEP_1)
	v_dual_sub_nc_u32 v6, 29, v1 :: v_dual_bitop2_b32 v1, 7, v8 bitop3:0x40
; %bb.311:                              ;   in Loop: Header=BB294_10 Depth=1
	s_or_b32 exec_lo, exec_lo, s18
	s_delay_alu instid0(VALU_DEP_1) | instskip(NEXT) | instid1(VALU_DEP_2)
	v_dual_lshlrev_b32 v0, 8, v0 :: v_dual_lshlrev_b32 v1, 23, v1
	v_lshl_add_u32 v6, v6, 10, 0x2000
	s_delay_alu instid0(VALU_DEP_1) | instskip(NEXT) | instid1(VALU_DEP_1)
	v_and_or_b32 v0, 0x8000, v0, v6
	v_lshl_or_b32 v99, v0, 16, v1
.LBB294_312:                            ;   in Loop: Header=BB294_10 Depth=1
	s_or_b32 exec_lo, exec_lo, s17
.LBB294_313:                            ;   in Loop: Header=BB294_10 Depth=1
	s_delay_alu instid0(SALU_CYCLE_1)
	s_or_b32 exec_lo, exec_lo, s16
.LBB294_314:                            ;   in Loop: Header=BB294_10 Depth=1
	s_delay_alu instid0(SALU_CYCLE_1) | instskip(SKIP_2) | instid1(VALU_DEP_1)
	s_or_b32 exec_lo, exec_lo, s15
	v_lshrrev_b32_e32 v8, 16, v5
	s_mov_b32 s15, exec_lo
	v_and_b32_e32 v0, 0xff, v8
	s_delay_alu instid0(VALU_DEP_1)
	v_cmpx_ne_u16_e32 0, v0
	s_cbranch_execz .LBB294_322
; %bb.315:                              ;   in Loop: Header=BB294_10 Depth=1
	v_mov_b32_e32 v93, 0x8000
	s_mov_b32 s16, exec_lo
	v_cmpx_ne_u16_e32 0x80, v0
	s_cbranch_execz .LBB294_321
; %bb.316:                              ;   in Loop: Header=BB294_10 Depth=1
	v_bfe_u32 v6, v5, 16, 7
	v_mov_b32_e32 v93, 0x7c01
	s_mov_b32 s17, exec_lo
	s_delay_alu instid0(VALU_DEP_2)
	v_cmpx_ne_u32_e32 0x7f, v6
	s_cbranch_execz .LBB294_320
; %bb.317:                              ;   in Loop: Header=BB294_10 Depth=1
	v_dual_lshrrev_b32 v1, 3, v6 :: v_dual_bitop2_b32 v0, 7, v8 bitop3:0x40
	s_mov_b32 s18, exec_lo
	v_cmpx_gt_u32_e32 8, v6
; %bb.318:                              ;   in Loop: Header=BB294_10 Depth=1
	s_delay_alu instid0(VALU_DEP_2) | instskip(NEXT) | instid1(VALU_DEP_1)
	v_clz_i32_u32_e32 v0, v0
	v_min_u32_e32 v6, 32, v0
	s_delay_alu instid0(VALU_DEP_1) | instskip(NEXT) | instid1(VALU_DEP_1)
	v_subrev_nc_u32_e32 v0, 28, v6
	v_lshlrev_b64_e32 v[0:1], v0, v[8:9]
	s_delay_alu instid0(VALU_DEP_1)
	v_dual_sub_nc_u32 v1, 29, v6 :: v_dual_bitop2_b32 v0, 7, v0 bitop3:0x40
; %bb.319:                              ;   in Loop: Header=BB294_10 Depth=1
	s_or_b32 exec_lo, exec_lo, s18
	v_lshlrev_b32_e32 v6, 8, v8
	s_delay_alu instid0(VALU_DEP_2) | instskip(NEXT) | instid1(VALU_DEP_3)
	v_lshl_add_u32 v1, v1, 10, 0x2000
	v_lshlrev_b32_e32 v0, 7, v0
	s_delay_alu instid0(VALU_DEP_3) | instskip(NEXT) | instid1(VALU_DEP_3)
	v_and_b32_e32 v6, 0x8000, v6
	v_and_b32_e32 v1, 0xfc00, v1
	s_delay_alu instid0(VALU_DEP_1)
	v_or3_b32 v93, v6, v1, v0
.LBB294_320:                            ;   in Loop: Header=BB294_10 Depth=1
	s_or_b32 exec_lo, exec_lo, s17
.LBB294_321:                            ;   in Loop: Header=BB294_10 Depth=1
	s_delay_alu instid0(SALU_CYCLE_1)
	s_or_b32 exec_lo, exec_lo, s16
.LBB294_322:                            ;   in Loop: Header=BB294_10 Depth=1
	s_delay_alu instid0(SALU_CYCLE_1)
	s_or_b32 exec_lo, exec_lo, s15
	v_dual_mov_b32 v94, 0 :: v_dual_mov_b32 v77, 0
	s_mov_b32 s15, exec_lo
	v_cmpx_lt_u64_e64 s[2:3], v[4:5]
	s_cbranch_execz .LBB294_330
; %bb.323:                              ;   in Loop: Header=BB294_10 Depth=1
	v_lshrrev_b32_e32 v24, 24, v5
	v_bfrev_b32_e32 v77, 1
	s_mov_b32 s16, exec_lo
	s_delay_alu instid0(VALU_DEP_2)
	v_cmpx_ne_u32_e32 0x80, v24
	s_cbranch_execz .LBB294_329
; %bb.324:                              ;   in Loop: Header=BB294_10 Depth=1
	v_and_b32_e32 v4, 0x7f, v24
	v_mov_b32_e32 v77, 0x7c010000
	s_mov_b32 s17, exec_lo
	s_delay_alu instid0(VALU_DEP_2)
	v_cmpx_ne_u32_e32 0x7f, v4
	s_cbranch_execz .LBB294_328
; %bb.325:                              ;   in Loop: Header=BB294_10 Depth=1
	v_and_b32_e32 v0, 7, v24
	v_lshrrev_b32_e32 v1, 3, v4
	s_mov_b32 s18, exec_lo
	v_cmpx_gt_u32_e32 8, v4
; %bb.326:                              ;   in Loop: Header=BB294_10 Depth=1
	s_delay_alu instid0(VALU_DEP_3) | instskip(NEXT) | instid1(VALU_DEP_1)
	v_clz_i32_u32_e32 v0, v0
	v_min_u32_e32 v4, 32, v0
	s_delay_alu instid0(VALU_DEP_1) | instskip(NEXT) | instid1(VALU_DEP_1)
	v_subrev_nc_u32_e32 v0, 28, v4
	v_lshlrev_b64_e32 v[0:1], v0, v[24:25]
	v_sub_nc_u32_e32 v1, 29, v4
	s_delay_alu instid0(VALU_DEP_2)
	v_and_b32_e32 v0, 7, v0
; %bb.327:                              ;   in Loop: Header=BB294_10 Depth=1
	s_or_b32 exec_lo, exec_lo, s18
	v_lshlrev_b32_e32 v4, 8, v24
	s_delay_alu instid0(VALU_DEP_3) | instskip(NEXT) | instid1(VALU_DEP_3)
	v_lshl_add_u32 v1, v1, 10, 0x2000
	v_lshlrev_b32_e32 v0, 23, v0
	s_delay_alu instid0(VALU_DEP_2) | instskip(NEXT) | instid1(VALU_DEP_1)
	v_and_or_b32 v1, 0x8000, v4, v1
	v_lshl_or_b32 v77, v1, 16, v0
.LBB294_328:                            ;   in Loop: Header=BB294_10 Depth=1
	s_or_b32 exec_lo, exec_lo, s17
.LBB294_329:                            ;   in Loop: Header=BB294_10 Depth=1
	s_delay_alu instid0(SALU_CYCLE_1)
	s_or_b32 exec_lo, exec_lo, s16
.LBB294_330:                            ;   in Loop: Header=BB294_10 Depth=1
	s_delay_alu instid0(SALU_CYCLE_1)
	s_or_b32 exec_lo, exec_lo, s15
	flat_load_b64 v[4:5], v[2:3] offset:1032
	s_mov_b32 s15, exec_lo
	s_wait_loadcnt_dscnt 0x0
	v_and_b32_e32 v0, 0xff, v4
	s_wait_xcnt 0x0
	s_delay_alu instid0(VALU_DEP_1)
	v_cmpx_ne_u16_e32 0, v0
	s_cbranch_execz .LBB294_338
; %bb.331:                              ;   in Loop: Header=BB294_10 Depth=1
	v_mov_b32_e32 v94, 0x8000
	s_mov_b32 s16, exec_lo
	v_cmpx_ne_u16_e32 0x80, v0
	s_cbranch_execz .LBB294_337
; %bb.332:                              ;   in Loop: Header=BB294_10 Depth=1
	v_and_b32_e32 v6, 0x7f, v4
	v_mov_b32_e32 v94, 0x7c01
	s_mov_b32 s17, exec_lo
	s_delay_alu instid0(VALU_DEP_2)
	v_cmpx_ne_u32_e32 0x7f, v6
	s_cbranch_execz .LBB294_336
; %bb.333:                              ;   in Loop: Header=BB294_10 Depth=1
	v_dual_lshrrev_b32 v1, 3, v6 :: v_dual_bitop2_b32 v0, 7, v4 bitop3:0x40
	s_mov_b32 s18, exec_lo
	v_cmpx_gt_u32_e32 8, v6
; %bb.334:                              ;   in Loop: Header=BB294_10 Depth=1
	s_delay_alu instid0(VALU_DEP_2) | instskip(NEXT) | instid1(VALU_DEP_1)
	v_clz_i32_u32_e32 v0, v0
	v_min_u32_e32 v6, 32, v0
	s_delay_alu instid0(VALU_DEP_1) | instskip(NEXT) | instid1(VALU_DEP_1)
	v_subrev_nc_u32_e32 v0, 28, v6
	v_lshlrev_b64_e32 v[0:1], v0, v[4:5]
	s_delay_alu instid0(VALU_DEP_1)
	v_dual_sub_nc_u32 v1, 29, v6 :: v_dual_bitop2_b32 v0, 7, v0 bitop3:0x40
; %bb.335:                              ;   in Loop: Header=BB294_10 Depth=1
	s_or_b32 exec_lo, exec_lo, s18
	v_lshlrev_b32_e32 v6, 8, v4
	s_delay_alu instid0(VALU_DEP_2) | instskip(NEXT) | instid1(VALU_DEP_3)
	v_lshl_add_u32 v1, v1, 10, 0x2000
	v_lshlrev_b32_e32 v0, 7, v0
	s_delay_alu instid0(VALU_DEP_3) | instskip(NEXT) | instid1(VALU_DEP_3)
	v_and_b32_e32 v6, 0x8000, v6
	v_and_b32_e32 v1, 0xfc00, v1
	s_delay_alu instid0(VALU_DEP_1)
	v_or3_b32 v94, v6, v1, v0
.LBB294_336:                            ;   in Loop: Header=BB294_10 Depth=1
	s_or_b32 exec_lo, exec_lo, s17
.LBB294_337:                            ;   in Loop: Header=BB294_10 Depth=1
	s_delay_alu instid0(SALU_CYCLE_1)
	s_or_b32 exec_lo, exec_lo, s16
.LBB294_338:                            ;   in Loop: Header=BB294_10 Depth=1
	s_delay_alu instid0(SALU_CYCLE_1) | instskip(SKIP_3) | instid1(VALU_DEP_2)
	s_or_b32 exec_lo, exec_lo, s15
	v_lshrrev_b16 v24, 8, v4
	v_dual_mov_b32 v104, 0 :: v_dual_mov_b32 v95, 0
	s_mov_b32 s15, exec_lo
	v_cmpx_ne_u16_e32 0, v24
	s_cbranch_execz .LBB294_346
; %bb.339:                              ;   in Loop: Header=BB294_10 Depth=1
	v_bfrev_b32_e32 v95, 1
	s_mov_b32 s16, exec_lo
	v_cmpx_ne_u16_e32 0x80, v24
	s_cbranch_execz .LBB294_345
; %bb.340:                              ;   in Loop: Header=BB294_10 Depth=1
	v_and_b32_e32 v0, 0xffff, v24
	v_mov_b32_e32 v95, 0x7c010000
	s_mov_b32 s17, exec_lo
	s_delay_alu instid0(VALU_DEP_2) | instskip(NEXT) | instid1(VALU_DEP_1)
	v_and_b32_e32 v7, 0x7f, v0
	v_cmpx_ne_u32_e32 0x7f, v7
	s_cbranch_execz .LBB294_344
; %bb.341:                              ;   in Loop: Header=BB294_10 Depth=1
	v_dual_lshrrev_b32 v6, 3, v7 :: v_dual_bitop2_b32 v1, 7, v0 bitop3:0x40
	s_mov_b32 s18, exec_lo
	v_cmpx_gt_u32_e32 8, v7
; %bb.342:                              ;   in Loop: Header=BB294_10 Depth=1
	s_delay_alu instid0(VALU_DEP_2) | instskip(NEXT) | instid1(VALU_DEP_1)
	v_clz_i32_u32_e32 v1, v1
	v_min_u32_e32 v1, 32, v1
	s_delay_alu instid0(VALU_DEP_1) | instskip(NEXT) | instid1(VALU_DEP_1)
	v_subrev_nc_u32_e32 v6, 28, v1
	v_lshlrev_b64_e32 v[8:9], v6, v[24:25]
	s_delay_alu instid0(VALU_DEP_1)
	v_dual_sub_nc_u32 v6, 29, v1 :: v_dual_bitop2_b32 v1, 7, v8 bitop3:0x40
; %bb.343:                              ;   in Loop: Header=BB294_10 Depth=1
	s_or_b32 exec_lo, exec_lo, s18
	s_delay_alu instid0(VALU_DEP_1) | instskip(NEXT) | instid1(VALU_DEP_2)
	v_dual_lshlrev_b32 v0, 8, v0 :: v_dual_lshlrev_b32 v1, 23, v1
	v_lshl_add_u32 v6, v6, 10, 0x2000
	s_delay_alu instid0(VALU_DEP_1) | instskip(NEXT) | instid1(VALU_DEP_1)
	v_and_or_b32 v0, 0x8000, v0, v6
	v_lshl_or_b32 v95, v0, 16, v1
.LBB294_344:                            ;   in Loop: Header=BB294_10 Depth=1
	s_or_b32 exec_lo, exec_lo, s17
.LBB294_345:                            ;   in Loop: Header=BB294_10 Depth=1
	s_delay_alu instid0(SALU_CYCLE_1)
	s_or_b32 exec_lo, exec_lo, s16
.LBB294_346:                            ;   in Loop: Header=BB294_10 Depth=1
	s_delay_alu instid0(SALU_CYCLE_1) | instskip(SKIP_2) | instid1(VALU_DEP_1)
	s_or_b32 exec_lo, exec_lo, s15
	v_lshrrev_b32_e32 v8, 16, v4
	s_mov_b32 s15, exec_lo
	v_and_b32_e32 v0, 0xff, v8
	s_delay_alu instid0(VALU_DEP_1)
	v_cmpx_ne_u16_e32 0, v0
	s_cbranch_execz .LBB294_354
; %bb.347:                              ;   in Loop: Header=BB294_10 Depth=1
	v_mov_b32_e32 v104, 0x8000
	s_mov_b32 s16, exec_lo
	v_cmpx_ne_u16_e32 0x80, v0
	s_cbranch_execz .LBB294_353
; %bb.348:                              ;   in Loop: Header=BB294_10 Depth=1
	v_bfe_u32 v6, v4, 16, 7
	v_mov_b32_e32 v104, 0x7c01
	s_mov_b32 s17, exec_lo
	s_delay_alu instid0(VALU_DEP_2)
	v_cmpx_ne_u32_e32 0x7f, v6
	s_cbranch_execz .LBB294_352
; %bb.349:                              ;   in Loop: Header=BB294_10 Depth=1
	v_dual_lshrrev_b32 v1, 3, v6 :: v_dual_bitop2_b32 v0, 7, v8 bitop3:0x40
	s_mov_b32 s18, exec_lo
	v_cmpx_gt_u32_e32 8, v6
; %bb.350:                              ;   in Loop: Header=BB294_10 Depth=1
	s_delay_alu instid0(VALU_DEP_2) | instskip(NEXT) | instid1(VALU_DEP_1)
	v_clz_i32_u32_e32 v0, v0
	v_min_u32_e32 v6, 32, v0
	s_delay_alu instid0(VALU_DEP_1) | instskip(NEXT) | instid1(VALU_DEP_1)
	v_subrev_nc_u32_e32 v0, 28, v6
	v_lshlrev_b64_e32 v[0:1], v0, v[8:9]
	s_delay_alu instid0(VALU_DEP_1)
	v_dual_sub_nc_u32 v1, 29, v6 :: v_dual_bitop2_b32 v0, 7, v0 bitop3:0x40
; %bb.351:                              ;   in Loop: Header=BB294_10 Depth=1
	s_or_b32 exec_lo, exec_lo, s18
	v_lshlrev_b32_e32 v6, 8, v8
	s_delay_alu instid0(VALU_DEP_2) | instskip(NEXT) | instid1(VALU_DEP_3)
	v_lshl_add_u32 v1, v1, 10, 0x2000
	v_lshlrev_b32_e32 v0, 7, v0
	s_delay_alu instid0(VALU_DEP_3) | instskip(NEXT) | instid1(VALU_DEP_3)
	v_and_b32_e32 v6, 0x8000, v6
	v_and_b32_e32 v1, 0xfc00, v1
	s_delay_alu instid0(VALU_DEP_1)
	v_or3_b32 v104, v6, v1, v0
.LBB294_352:                            ;   in Loop: Header=BB294_10 Depth=1
	s_or_b32 exec_lo, exec_lo, s17
.LBB294_353:                            ;   in Loop: Header=BB294_10 Depth=1
	s_delay_alu instid0(SALU_CYCLE_1)
	s_or_b32 exec_lo, exec_lo, s16
.LBB294_354:                            ;   in Loop: Header=BB294_10 Depth=1
	s_delay_alu instid0(SALU_CYCLE_1)
	s_or_b32 exec_lo, exec_lo, s15
	v_dual_mov_b32 v90, 0 :: v_dual_mov_b32 v105, 0
	s_mov_b32 s15, exec_lo
	v_cmpx_lt_u32_e32 0xffffff, v4
	s_cbranch_execz .LBB294_362
; %bb.355:                              ;   in Loop: Header=BB294_10 Depth=1
	v_lshrrev_b32_e32 v24, 24, v4
	v_bfrev_b32_e32 v105, 1
	s_mov_b32 s16, exec_lo
	s_delay_alu instid0(VALU_DEP_2)
	v_cmpx_ne_u32_e32 0x80, v24
	s_cbranch_execz .LBB294_361
; %bb.356:                              ;   in Loop: Header=BB294_10 Depth=1
	v_and_b32_e32 v6, 0x7f, v24
	v_mov_b32_e32 v105, 0x7c010000
	s_mov_b32 s17, exec_lo
	s_delay_alu instid0(VALU_DEP_2)
	v_cmpx_ne_u32_e32 0x7f, v6
	s_cbranch_execz .LBB294_360
; %bb.357:                              ;   in Loop: Header=BB294_10 Depth=1
	v_dual_lshrrev_b32 v1, 3, v6 :: v_dual_bitop2_b32 v0, 7, v24 bitop3:0x40
	s_mov_b32 s18, exec_lo
	v_cmpx_gt_u32_e32 8, v6
; %bb.358:                              ;   in Loop: Header=BB294_10 Depth=1
	s_delay_alu instid0(VALU_DEP_2) | instskip(NEXT) | instid1(VALU_DEP_1)
	v_clz_i32_u32_e32 v0, v0
	v_min_u32_e32 v6, 32, v0
	s_delay_alu instid0(VALU_DEP_1) | instskip(NEXT) | instid1(VALU_DEP_1)
	v_subrev_nc_u32_e32 v0, 28, v6
	v_lshlrev_b64_e32 v[0:1], v0, v[24:25]
	s_delay_alu instid0(VALU_DEP_1)
	v_dual_sub_nc_u32 v1, 29, v6 :: v_dual_bitop2_b32 v0, 7, v0 bitop3:0x40
; %bb.359:                              ;   in Loop: Header=BB294_10 Depth=1
	s_or_b32 exec_lo, exec_lo, s18
	v_lshlrev_b32_e32 v6, 8, v24
	s_delay_alu instid0(VALU_DEP_2) | instskip(NEXT) | instid1(VALU_DEP_3)
	v_lshl_add_u32 v1, v1, 10, 0x2000
	v_lshlrev_b32_e32 v0, 23, v0
	s_delay_alu instid0(VALU_DEP_2) | instskip(NEXT) | instid1(VALU_DEP_1)
	v_and_or_b32 v1, 0x8000, v6, v1
	v_lshl_or_b32 v105, v1, 16, v0
.LBB294_360:                            ;   in Loop: Header=BB294_10 Depth=1
	s_or_b32 exec_lo, exec_lo, s17
.LBB294_361:                            ;   in Loop: Header=BB294_10 Depth=1
	s_delay_alu instid0(SALU_CYCLE_1)
	s_or_b32 exec_lo, exec_lo, s16
.LBB294_362:                            ;   in Loop: Header=BB294_10 Depth=1
	s_delay_alu instid0(SALU_CYCLE_1) | instskip(SKIP_3) | instid1(VALU_DEP_2)
	s_or_b32 exec_lo, exec_lo, s15
	v_and_b32_e32 v0, 0xff, v5
	v_mov_b32_e32 v24, v5
	s_mov_b32 s15, exec_lo
	v_cmpx_ne_u16_e32 0, v0
	s_cbranch_execz .LBB294_370
; %bb.363:                              ;   in Loop: Header=BB294_10 Depth=1
	v_mov_b32_e32 v90, 0x8000
	s_mov_b32 s16, exec_lo
	v_cmpx_ne_u16_e32 0x80, v0
	s_cbranch_execz .LBB294_369
; %bb.364:                              ;   in Loop: Header=BB294_10 Depth=1
	v_and_b32_e32 v6, 0x7f, v5
	v_mov_b32_e32 v90, 0x7c01
	s_mov_b32 s17, exec_lo
	s_delay_alu instid0(VALU_DEP_2)
	v_cmpx_ne_u32_e32 0x7f, v6
	s_cbranch_execz .LBB294_368
; %bb.365:                              ;   in Loop: Header=BB294_10 Depth=1
	v_dual_lshrrev_b32 v1, 3, v6 :: v_dual_bitop2_b32 v0, 7, v5 bitop3:0x40
	s_mov_b32 s18, exec_lo
	v_cmpx_gt_u32_e32 8, v6
; %bb.366:                              ;   in Loop: Header=BB294_10 Depth=1
	s_delay_alu instid0(VALU_DEP_2) | instskip(NEXT) | instid1(VALU_DEP_1)
	v_clz_i32_u32_e32 v0, v0
	v_min_u32_e32 v6, 32, v0
	s_delay_alu instid0(VALU_DEP_1) | instskip(NEXT) | instid1(VALU_DEP_1)
	v_subrev_nc_u32_e32 v0, 28, v6
	v_lshlrev_b64_e32 v[0:1], v0, v[24:25]
	s_delay_alu instid0(VALU_DEP_1)
	v_dual_sub_nc_u32 v1, 29, v6 :: v_dual_bitop2_b32 v0, 7, v0 bitop3:0x40
; %bb.367:                              ;   in Loop: Header=BB294_10 Depth=1
	s_or_b32 exec_lo, exec_lo, s18
	s_delay_alu instid0(VALU_DEP_1) | instskip(NEXT) | instid1(VALU_DEP_2)
	v_dual_lshlrev_b32 v6, 8, v5 :: v_dual_lshlrev_b32 v0, 7, v0
	v_lshl_add_u32 v1, v1, 10, 0x2000
	s_delay_alu instid0(VALU_DEP_2) | instskip(NEXT) | instid1(VALU_DEP_2)
	v_and_b32_e32 v6, 0x8000, v6
	v_and_b32_e32 v1, 0xfc00, v1
	s_delay_alu instid0(VALU_DEP_1)
	v_or3_b32 v90, v6, v1, v0
.LBB294_368:                            ;   in Loop: Header=BB294_10 Depth=1
	s_or_b32 exec_lo, exec_lo, s17
.LBB294_369:                            ;   in Loop: Header=BB294_10 Depth=1
	s_delay_alu instid0(SALU_CYCLE_1)
	s_or_b32 exec_lo, exec_lo, s16
.LBB294_370:                            ;   in Loop: Header=BB294_10 Depth=1
	s_delay_alu instid0(SALU_CYCLE_1) | instskip(SKIP_3) | instid1(VALU_DEP_2)
	s_or_b32 exec_lo, exec_lo, s15
	v_lshrrev_b16 v24, 8, v24
	v_dual_mov_b32 v91, 0 :: v_dual_mov_b32 v60, 0
	s_mov_b32 s15, exec_lo
	v_cmpx_ne_u16_e32 0, v24
	s_cbranch_execz .LBB294_378
; %bb.371:                              ;   in Loop: Header=BB294_10 Depth=1
	v_bfrev_b32_e32 v60, 1
	s_mov_b32 s16, exec_lo
	v_cmpx_ne_u16_e32 0x80, v24
	s_cbranch_execz .LBB294_377
; %bb.372:                              ;   in Loop: Header=BB294_10 Depth=1
	v_and_b32_e32 v0, 0xffff, v24
	v_mov_b32_e32 v60, 0x7c010000
	s_mov_b32 s17, exec_lo
	s_delay_alu instid0(VALU_DEP_2) | instskip(NEXT) | instid1(VALU_DEP_1)
	v_and_b32_e32 v7, 0x7f, v0
	v_cmpx_ne_u32_e32 0x7f, v7
	s_cbranch_execz .LBB294_376
; %bb.373:                              ;   in Loop: Header=BB294_10 Depth=1
	v_dual_lshrrev_b32 v6, 3, v7 :: v_dual_bitop2_b32 v1, 7, v0 bitop3:0x40
	s_mov_b32 s18, exec_lo
	v_cmpx_gt_u32_e32 8, v7
; %bb.374:                              ;   in Loop: Header=BB294_10 Depth=1
	s_delay_alu instid0(VALU_DEP_2) | instskip(NEXT) | instid1(VALU_DEP_1)
	v_clz_i32_u32_e32 v1, v1
	v_min_u32_e32 v1, 32, v1
	s_delay_alu instid0(VALU_DEP_1) | instskip(NEXT) | instid1(VALU_DEP_1)
	v_subrev_nc_u32_e32 v6, 28, v1
	v_lshlrev_b64_e32 v[8:9], v6, v[24:25]
	s_delay_alu instid0(VALU_DEP_1)
	v_dual_sub_nc_u32 v6, 29, v1 :: v_dual_bitop2_b32 v1, 7, v8 bitop3:0x40
; %bb.375:                              ;   in Loop: Header=BB294_10 Depth=1
	s_or_b32 exec_lo, exec_lo, s18
	s_delay_alu instid0(VALU_DEP_1) | instskip(NEXT) | instid1(VALU_DEP_2)
	v_dual_lshlrev_b32 v0, 8, v0 :: v_dual_lshlrev_b32 v1, 23, v1
	v_lshl_add_u32 v6, v6, 10, 0x2000
	s_delay_alu instid0(VALU_DEP_1) | instskip(NEXT) | instid1(VALU_DEP_1)
	v_and_or_b32 v0, 0x8000, v0, v6
	v_lshl_or_b32 v60, v0, 16, v1
.LBB294_376:                            ;   in Loop: Header=BB294_10 Depth=1
	s_or_b32 exec_lo, exec_lo, s17
.LBB294_377:                            ;   in Loop: Header=BB294_10 Depth=1
	s_delay_alu instid0(SALU_CYCLE_1)
	s_or_b32 exec_lo, exec_lo, s16
.LBB294_378:                            ;   in Loop: Header=BB294_10 Depth=1
	s_delay_alu instid0(SALU_CYCLE_1) | instskip(SKIP_2) | instid1(VALU_DEP_1)
	s_or_b32 exec_lo, exec_lo, s15
	v_lshrrev_b32_e32 v8, 16, v5
	s_mov_b32 s15, exec_lo
	v_and_b32_e32 v0, 0xff, v8
	s_delay_alu instid0(VALU_DEP_1)
	v_cmpx_ne_u16_e32 0, v0
	s_cbranch_execz .LBB294_386
; %bb.379:                              ;   in Loop: Header=BB294_10 Depth=1
	v_mov_b32_e32 v91, 0x8000
	s_mov_b32 s16, exec_lo
	v_cmpx_ne_u16_e32 0x80, v0
	s_cbranch_execz .LBB294_385
; %bb.380:                              ;   in Loop: Header=BB294_10 Depth=1
	v_bfe_u32 v6, v5, 16, 7
	v_mov_b32_e32 v91, 0x7c01
	s_mov_b32 s17, exec_lo
	s_delay_alu instid0(VALU_DEP_2)
	v_cmpx_ne_u32_e32 0x7f, v6
	s_cbranch_execz .LBB294_384
; %bb.381:                              ;   in Loop: Header=BB294_10 Depth=1
	v_dual_lshrrev_b32 v1, 3, v6 :: v_dual_bitop2_b32 v0, 7, v8 bitop3:0x40
	s_mov_b32 s18, exec_lo
	v_cmpx_gt_u32_e32 8, v6
; %bb.382:                              ;   in Loop: Header=BB294_10 Depth=1
	s_delay_alu instid0(VALU_DEP_2) | instskip(NEXT) | instid1(VALU_DEP_1)
	v_clz_i32_u32_e32 v0, v0
	v_min_u32_e32 v6, 32, v0
	s_delay_alu instid0(VALU_DEP_1) | instskip(NEXT) | instid1(VALU_DEP_1)
	v_subrev_nc_u32_e32 v0, 28, v6
	v_lshlrev_b64_e32 v[0:1], v0, v[8:9]
	s_delay_alu instid0(VALU_DEP_1)
	v_dual_sub_nc_u32 v1, 29, v6 :: v_dual_bitop2_b32 v0, 7, v0 bitop3:0x40
; %bb.383:                              ;   in Loop: Header=BB294_10 Depth=1
	s_or_b32 exec_lo, exec_lo, s18
	v_lshlrev_b32_e32 v6, 8, v8
	s_delay_alu instid0(VALU_DEP_2) | instskip(NEXT) | instid1(VALU_DEP_3)
	v_lshl_add_u32 v1, v1, 10, 0x2000
	v_lshlrev_b32_e32 v0, 7, v0
	s_delay_alu instid0(VALU_DEP_3) | instskip(NEXT) | instid1(VALU_DEP_3)
	v_and_b32_e32 v6, 0x8000, v6
	v_and_b32_e32 v1, 0xfc00, v1
	s_delay_alu instid0(VALU_DEP_1)
	v_or3_b32 v91, v6, v1, v0
.LBB294_384:                            ;   in Loop: Header=BB294_10 Depth=1
	s_or_b32 exec_lo, exec_lo, s17
.LBB294_385:                            ;   in Loop: Header=BB294_10 Depth=1
	s_delay_alu instid0(SALU_CYCLE_1)
	s_or_b32 exec_lo, exec_lo, s16
.LBB294_386:                            ;   in Loop: Header=BB294_10 Depth=1
	s_delay_alu instid0(SALU_CYCLE_1)
	s_or_b32 exec_lo, exec_lo, s15
	v_dual_mov_b32 v81, 0 :: v_dual_mov_b32 v66, 0
	s_mov_b32 s15, exec_lo
	v_cmpx_lt_u64_e64 s[2:3], v[4:5]
	s_cbranch_execz .LBB294_394
; %bb.387:                              ;   in Loop: Header=BB294_10 Depth=1
	v_lshrrev_b32_e32 v24, 24, v5
	v_bfrev_b32_e32 v66, 1
	s_mov_b32 s16, exec_lo
	s_delay_alu instid0(VALU_DEP_2)
	v_cmpx_ne_u32_e32 0x80, v24
	s_cbranch_execz .LBB294_393
; %bb.388:                              ;   in Loop: Header=BB294_10 Depth=1
	v_and_b32_e32 v4, 0x7f, v24
	v_mov_b32_e32 v66, 0x7c010000
	s_mov_b32 s17, exec_lo
	s_delay_alu instid0(VALU_DEP_2)
	v_cmpx_ne_u32_e32 0x7f, v4
	s_cbranch_execz .LBB294_392
; %bb.389:                              ;   in Loop: Header=BB294_10 Depth=1
	v_and_b32_e32 v0, 7, v24
	v_lshrrev_b32_e32 v1, 3, v4
	s_mov_b32 s18, exec_lo
	v_cmpx_gt_u32_e32 8, v4
; %bb.390:                              ;   in Loop: Header=BB294_10 Depth=1
	s_delay_alu instid0(VALU_DEP_3) | instskip(NEXT) | instid1(VALU_DEP_1)
	v_clz_i32_u32_e32 v0, v0
	v_min_u32_e32 v4, 32, v0
	s_delay_alu instid0(VALU_DEP_1) | instskip(NEXT) | instid1(VALU_DEP_1)
	v_subrev_nc_u32_e32 v0, 28, v4
	v_lshlrev_b64_e32 v[0:1], v0, v[24:25]
	v_sub_nc_u32_e32 v1, 29, v4
	s_delay_alu instid0(VALU_DEP_2)
	v_and_b32_e32 v0, 7, v0
; %bb.391:                              ;   in Loop: Header=BB294_10 Depth=1
	s_or_b32 exec_lo, exec_lo, s18
	v_lshlrev_b32_e32 v4, 8, v24
	s_delay_alu instid0(VALU_DEP_3) | instskip(NEXT) | instid1(VALU_DEP_3)
	v_lshl_add_u32 v1, v1, 10, 0x2000
	v_lshlrev_b32_e32 v0, 23, v0
	s_delay_alu instid0(VALU_DEP_2) | instskip(NEXT) | instid1(VALU_DEP_1)
	v_and_or_b32 v1, 0x8000, v4, v1
	v_lshl_or_b32 v66, v1, 16, v0
.LBB294_392:                            ;   in Loop: Header=BB294_10 Depth=1
	s_or_b32 exec_lo, exec_lo, s17
.LBB294_393:                            ;   in Loop: Header=BB294_10 Depth=1
	s_delay_alu instid0(SALU_CYCLE_1)
	s_or_b32 exec_lo, exec_lo, s16
.LBB294_394:                            ;   in Loop: Header=BB294_10 Depth=1
	s_delay_alu instid0(SALU_CYCLE_1)
	s_or_b32 exec_lo, exec_lo, s15
	flat_load_b64 v[4:5], v[2:3] offset:1536
	s_mov_b32 s15, exec_lo
	s_wait_loadcnt_dscnt 0x0
	v_and_b32_e32 v0, 0xff, v4
	s_wait_xcnt 0x0
	s_delay_alu instid0(VALU_DEP_1)
	v_cmpx_ne_u16_e32 0, v0
	s_cbranch_execz .LBB294_402
; %bb.395:                              ;   in Loop: Header=BB294_10 Depth=1
	v_mov_b32_e32 v81, 0x8000
	s_mov_b32 s16, exec_lo
	v_cmpx_ne_u16_e32 0x80, v0
	s_cbranch_execz .LBB294_401
; %bb.396:                              ;   in Loop: Header=BB294_10 Depth=1
	v_and_b32_e32 v6, 0x7f, v4
	v_mov_b32_e32 v81, 0x7c01
	s_mov_b32 s17, exec_lo
	s_delay_alu instid0(VALU_DEP_2)
	v_cmpx_ne_u32_e32 0x7f, v6
	s_cbranch_execz .LBB294_400
; %bb.397:                              ;   in Loop: Header=BB294_10 Depth=1
	v_dual_lshrrev_b32 v1, 3, v6 :: v_dual_bitop2_b32 v0, 7, v4 bitop3:0x40
	s_mov_b32 s18, exec_lo
	v_cmpx_gt_u32_e32 8, v6
; %bb.398:                              ;   in Loop: Header=BB294_10 Depth=1
	s_delay_alu instid0(VALU_DEP_2) | instskip(NEXT) | instid1(VALU_DEP_1)
	v_clz_i32_u32_e32 v0, v0
	v_min_u32_e32 v6, 32, v0
	s_delay_alu instid0(VALU_DEP_1) | instskip(NEXT) | instid1(VALU_DEP_1)
	v_subrev_nc_u32_e32 v0, 28, v6
	v_lshlrev_b64_e32 v[0:1], v0, v[4:5]
	s_delay_alu instid0(VALU_DEP_1)
	v_dual_sub_nc_u32 v1, 29, v6 :: v_dual_bitop2_b32 v0, 7, v0 bitop3:0x40
; %bb.399:                              ;   in Loop: Header=BB294_10 Depth=1
	s_or_b32 exec_lo, exec_lo, s18
	v_lshlrev_b32_e32 v6, 8, v4
	s_delay_alu instid0(VALU_DEP_2) | instskip(NEXT) | instid1(VALU_DEP_3)
	v_lshl_add_u32 v1, v1, 10, 0x2000
	v_lshlrev_b32_e32 v0, 7, v0
	s_delay_alu instid0(VALU_DEP_3) | instskip(NEXT) | instid1(VALU_DEP_3)
	v_and_b32_e32 v6, 0x8000, v6
	v_and_b32_e32 v1, 0xfc00, v1
	s_delay_alu instid0(VALU_DEP_1)
	v_or3_b32 v81, v6, v1, v0
.LBB294_400:                            ;   in Loop: Header=BB294_10 Depth=1
	s_or_b32 exec_lo, exec_lo, s17
.LBB294_401:                            ;   in Loop: Header=BB294_10 Depth=1
	s_delay_alu instid0(SALU_CYCLE_1)
	s_or_b32 exec_lo, exec_lo, s16
.LBB294_402:                            ;   in Loop: Header=BB294_10 Depth=1
	s_delay_alu instid0(SALU_CYCLE_1) | instskip(SKIP_3) | instid1(VALU_DEP_2)
	s_or_b32 exec_lo, exec_lo, s15
	v_lshrrev_b16 v24, 8, v4
	v_dual_mov_b32 v85, 0 :: v_dual_mov_b32 v72, 0
	s_mov_b32 s15, exec_lo
	v_cmpx_ne_u16_e32 0, v24
	s_cbranch_execz .LBB294_410
; %bb.403:                              ;   in Loop: Header=BB294_10 Depth=1
	v_bfrev_b32_e32 v72, 1
	s_mov_b32 s16, exec_lo
	v_cmpx_ne_u16_e32 0x80, v24
	s_cbranch_execz .LBB294_409
; %bb.404:                              ;   in Loop: Header=BB294_10 Depth=1
	v_and_b32_e32 v0, 0xffff, v24
	v_mov_b32_e32 v72, 0x7c010000
	s_mov_b32 s17, exec_lo
	s_delay_alu instid0(VALU_DEP_2) | instskip(NEXT) | instid1(VALU_DEP_1)
	v_and_b32_e32 v7, 0x7f, v0
	v_cmpx_ne_u32_e32 0x7f, v7
	s_cbranch_execz .LBB294_408
; %bb.405:                              ;   in Loop: Header=BB294_10 Depth=1
	v_dual_lshrrev_b32 v6, 3, v7 :: v_dual_bitop2_b32 v1, 7, v0 bitop3:0x40
	s_mov_b32 s18, exec_lo
	v_cmpx_gt_u32_e32 8, v7
; %bb.406:                              ;   in Loop: Header=BB294_10 Depth=1
	s_delay_alu instid0(VALU_DEP_2) | instskip(NEXT) | instid1(VALU_DEP_1)
	v_clz_i32_u32_e32 v1, v1
	v_min_u32_e32 v1, 32, v1
	s_delay_alu instid0(VALU_DEP_1) | instskip(NEXT) | instid1(VALU_DEP_1)
	v_subrev_nc_u32_e32 v6, 28, v1
	v_lshlrev_b64_e32 v[8:9], v6, v[24:25]
	s_delay_alu instid0(VALU_DEP_1)
	v_dual_sub_nc_u32 v6, 29, v1 :: v_dual_bitop2_b32 v1, 7, v8 bitop3:0x40
; %bb.407:                              ;   in Loop: Header=BB294_10 Depth=1
	s_or_b32 exec_lo, exec_lo, s18
	s_delay_alu instid0(VALU_DEP_1) | instskip(NEXT) | instid1(VALU_DEP_2)
	v_dual_lshlrev_b32 v0, 8, v0 :: v_dual_lshlrev_b32 v1, 23, v1
	v_lshl_add_u32 v6, v6, 10, 0x2000
	s_delay_alu instid0(VALU_DEP_1) | instskip(NEXT) | instid1(VALU_DEP_1)
	v_and_or_b32 v0, 0x8000, v0, v6
	v_lshl_or_b32 v72, v0, 16, v1
.LBB294_408:                            ;   in Loop: Header=BB294_10 Depth=1
	s_or_b32 exec_lo, exec_lo, s17
.LBB294_409:                            ;   in Loop: Header=BB294_10 Depth=1
	s_delay_alu instid0(SALU_CYCLE_1)
	s_or_b32 exec_lo, exec_lo, s16
.LBB294_410:                            ;   in Loop: Header=BB294_10 Depth=1
	s_delay_alu instid0(SALU_CYCLE_1) | instskip(SKIP_2) | instid1(VALU_DEP_1)
	s_or_b32 exec_lo, exec_lo, s15
	v_lshrrev_b32_e32 v8, 16, v4
	s_mov_b32 s15, exec_lo
	v_and_b32_e32 v0, 0xff, v8
	s_delay_alu instid0(VALU_DEP_1)
	v_cmpx_ne_u16_e32 0, v0
	s_cbranch_execz .LBB294_418
; %bb.411:                              ;   in Loop: Header=BB294_10 Depth=1
	v_mov_b32_e32 v85, 0x8000
	s_mov_b32 s16, exec_lo
	v_cmpx_ne_u16_e32 0x80, v0
	s_cbranch_execz .LBB294_417
; %bb.412:                              ;   in Loop: Header=BB294_10 Depth=1
	v_bfe_u32 v6, v4, 16, 7
	v_mov_b32_e32 v85, 0x7c01
	s_mov_b32 s17, exec_lo
	s_delay_alu instid0(VALU_DEP_2)
	v_cmpx_ne_u32_e32 0x7f, v6
	s_cbranch_execz .LBB294_416
; %bb.413:                              ;   in Loop: Header=BB294_10 Depth=1
	v_dual_lshrrev_b32 v1, 3, v6 :: v_dual_bitop2_b32 v0, 7, v8 bitop3:0x40
	s_mov_b32 s18, exec_lo
	v_cmpx_gt_u32_e32 8, v6
; %bb.414:                              ;   in Loop: Header=BB294_10 Depth=1
	s_delay_alu instid0(VALU_DEP_2) | instskip(NEXT) | instid1(VALU_DEP_1)
	v_clz_i32_u32_e32 v0, v0
	v_min_u32_e32 v6, 32, v0
	s_delay_alu instid0(VALU_DEP_1) | instskip(NEXT) | instid1(VALU_DEP_1)
	v_subrev_nc_u32_e32 v0, 28, v6
	v_lshlrev_b64_e32 v[0:1], v0, v[8:9]
	s_delay_alu instid0(VALU_DEP_1)
	v_dual_sub_nc_u32 v1, 29, v6 :: v_dual_bitop2_b32 v0, 7, v0 bitop3:0x40
; %bb.415:                              ;   in Loop: Header=BB294_10 Depth=1
	s_or_b32 exec_lo, exec_lo, s18
	v_lshlrev_b32_e32 v6, 8, v8
	s_delay_alu instid0(VALU_DEP_2) | instskip(NEXT) | instid1(VALU_DEP_3)
	v_lshl_add_u32 v1, v1, 10, 0x2000
	v_lshlrev_b32_e32 v0, 7, v0
	s_delay_alu instid0(VALU_DEP_3) | instskip(NEXT) | instid1(VALU_DEP_3)
	v_and_b32_e32 v6, 0x8000, v6
	v_and_b32_e32 v1, 0xfc00, v1
	s_delay_alu instid0(VALU_DEP_1)
	v_or3_b32 v85, v6, v1, v0
.LBB294_416:                            ;   in Loop: Header=BB294_10 Depth=1
	s_or_b32 exec_lo, exec_lo, s17
.LBB294_417:                            ;   in Loop: Header=BB294_10 Depth=1
	s_delay_alu instid0(SALU_CYCLE_1)
	s_or_b32 exec_lo, exec_lo, s16
.LBB294_418:                            ;   in Loop: Header=BB294_10 Depth=1
	s_delay_alu instid0(SALU_CYCLE_1)
	s_or_b32 exec_lo, exec_lo, s15
	v_dual_mov_b32 v87, 0 :: v_dual_mov_b32 v79, 0
	s_mov_b32 s15, exec_lo
	v_cmpx_lt_u32_e32 0xffffff, v4
	s_cbranch_execz .LBB294_426
; %bb.419:                              ;   in Loop: Header=BB294_10 Depth=1
	v_lshrrev_b32_e32 v24, 24, v4
	v_bfrev_b32_e32 v79, 1
	s_mov_b32 s16, exec_lo
	s_delay_alu instid0(VALU_DEP_2)
	v_cmpx_ne_u32_e32 0x80, v24
	s_cbranch_execz .LBB294_425
; %bb.420:                              ;   in Loop: Header=BB294_10 Depth=1
	v_and_b32_e32 v6, 0x7f, v24
	v_mov_b32_e32 v79, 0x7c010000
	s_mov_b32 s17, exec_lo
	s_delay_alu instid0(VALU_DEP_2)
	v_cmpx_ne_u32_e32 0x7f, v6
	s_cbranch_execz .LBB294_424
; %bb.421:                              ;   in Loop: Header=BB294_10 Depth=1
	v_dual_lshrrev_b32 v1, 3, v6 :: v_dual_bitop2_b32 v0, 7, v24 bitop3:0x40
	s_mov_b32 s18, exec_lo
	v_cmpx_gt_u32_e32 8, v6
; %bb.422:                              ;   in Loop: Header=BB294_10 Depth=1
	s_delay_alu instid0(VALU_DEP_2) | instskip(NEXT) | instid1(VALU_DEP_1)
	v_clz_i32_u32_e32 v0, v0
	v_min_u32_e32 v6, 32, v0
	s_delay_alu instid0(VALU_DEP_1) | instskip(NEXT) | instid1(VALU_DEP_1)
	v_subrev_nc_u32_e32 v0, 28, v6
	v_lshlrev_b64_e32 v[0:1], v0, v[24:25]
	s_delay_alu instid0(VALU_DEP_1)
	v_dual_sub_nc_u32 v1, 29, v6 :: v_dual_bitop2_b32 v0, 7, v0 bitop3:0x40
; %bb.423:                              ;   in Loop: Header=BB294_10 Depth=1
	s_or_b32 exec_lo, exec_lo, s18
	v_lshlrev_b32_e32 v6, 8, v24
	s_delay_alu instid0(VALU_DEP_2) | instskip(NEXT) | instid1(VALU_DEP_3)
	v_lshl_add_u32 v1, v1, 10, 0x2000
	v_lshlrev_b32_e32 v0, 23, v0
	s_delay_alu instid0(VALU_DEP_2) | instskip(NEXT) | instid1(VALU_DEP_1)
	v_and_or_b32 v1, 0x8000, v6, v1
	v_lshl_or_b32 v79, v1, 16, v0
.LBB294_424:                            ;   in Loop: Header=BB294_10 Depth=1
	s_or_b32 exec_lo, exec_lo, s17
.LBB294_425:                            ;   in Loop: Header=BB294_10 Depth=1
	s_delay_alu instid0(SALU_CYCLE_1)
	s_or_b32 exec_lo, exec_lo, s16
.LBB294_426:                            ;   in Loop: Header=BB294_10 Depth=1
	s_delay_alu instid0(SALU_CYCLE_1) | instskip(SKIP_3) | instid1(VALU_DEP_2)
	s_or_b32 exec_lo, exec_lo, s15
	v_and_b32_e32 v0, 0xff, v5
	v_mov_b32_e32 v24, v5
	s_mov_b32 s15, exec_lo
	v_cmpx_ne_u16_e32 0, v0
	s_cbranch_execz .LBB294_434
; %bb.427:                              ;   in Loop: Header=BB294_10 Depth=1
	v_mov_b32_e32 v87, 0x8000
	s_mov_b32 s16, exec_lo
	v_cmpx_ne_u16_e32 0x80, v0
	s_cbranch_execz .LBB294_433
; %bb.428:                              ;   in Loop: Header=BB294_10 Depth=1
	v_and_b32_e32 v6, 0x7f, v5
	v_mov_b32_e32 v87, 0x7c01
	s_mov_b32 s17, exec_lo
	s_delay_alu instid0(VALU_DEP_2)
	v_cmpx_ne_u32_e32 0x7f, v6
	s_cbranch_execz .LBB294_432
; %bb.429:                              ;   in Loop: Header=BB294_10 Depth=1
	v_dual_lshrrev_b32 v1, 3, v6 :: v_dual_bitop2_b32 v0, 7, v5 bitop3:0x40
	s_mov_b32 s18, exec_lo
	v_cmpx_gt_u32_e32 8, v6
; %bb.430:                              ;   in Loop: Header=BB294_10 Depth=1
	s_delay_alu instid0(VALU_DEP_2) | instskip(NEXT) | instid1(VALU_DEP_1)
	v_clz_i32_u32_e32 v0, v0
	v_min_u32_e32 v6, 32, v0
	s_delay_alu instid0(VALU_DEP_1) | instskip(NEXT) | instid1(VALU_DEP_1)
	v_subrev_nc_u32_e32 v0, 28, v6
	v_lshlrev_b64_e32 v[0:1], v0, v[24:25]
	s_delay_alu instid0(VALU_DEP_1)
	v_dual_sub_nc_u32 v1, 29, v6 :: v_dual_bitop2_b32 v0, 7, v0 bitop3:0x40
; %bb.431:                              ;   in Loop: Header=BB294_10 Depth=1
	s_or_b32 exec_lo, exec_lo, s18
	s_delay_alu instid0(VALU_DEP_1) | instskip(NEXT) | instid1(VALU_DEP_2)
	v_dual_lshlrev_b32 v6, 8, v5 :: v_dual_lshlrev_b32 v0, 7, v0
	v_lshl_add_u32 v1, v1, 10, 0x2000
	s_delay_alu instid0(VALU_DEP_2) | instskip(NEXT) | instid1(VALU_DEP_2)
	v_and_b32_e32 v6, 0x8000, v6
	v_and_b32_e32 v1, 0xfc00, v1
	s_delay_alu instid0(VALU_DEP_1)
	v_or3_b32 v87, v6, v1, v0
.LBB294_432:                            ;   in Loop: Header=BB294_10 Depth=1
	s_or_b32 exec_lo, exec_lo, s17
.LBB294_433:                            ;   in Loop: Header=BB294_10 Depth=1
	s_delay_alu instid0(SALU_CYCLE_1)
	s_or_b32 exec_lo, exec_lo, s16
.LBB294_434:                            ;   in Loop: Header=BB294_10 Depth=1
	s_delay_alu instid0(SALU_CYCLE_1) | instskip(SKIP_3) | instid1(VALU_DEP_2)
	s_or_b32 exec_lo, exec_lo, s15
	v_lshrrev_b16 v24, 8, v24
	v_dual_mov_b32 v83, 0 :: v_dual_mov_b32 v76, 0
	s_mov_b32 s15, exec_lo
	v_cmpx_ne_u16_e32 0, v24
	s_cbranch_execz .LBB294_442
; %bb.435:                              ;   in Loop: Header=BB294_10 Depth=1
	v_bfrev_b32_e32 v76, 1
	s_mov_b32 s16, exec_lo
	v_cmpx_ne_u16_e32 0x80, v24
	s_cbranch_execz .LBB294_441
; %bb.436:                              ;   in Loop: Header=BB294_10 Depth=1
	v_and_b32_e32 v0, 0xffff, v24
	v_mov_b32_e32 v76, 0x7c010000
	s_mov_b32 s17, exec_lo
	s_delay_alu instid0(VALU_DEP_2) | instskip(NEXT) | instid1(VALU_DEP_1)
	v_and_b32_e32 v7, 0x7f, v0
	v_cmpx_ne_u32_e32 0x7f, v7
	s_cbranch_execz .LBB294_440
; %bb.437:                              ;   in Loop: Header=BB294_10 Depth=1
	v_dual_lshrrev_b32 v6, 3, v7 :: v_dual_bitop2_b32 v1, 7, v0 bitop3:0x40
	s_mov_b32 s18, exec_lo
	v_cmpx_gt_u32_e32 8, v7
; %bb.438:                              ;   in Loop: Header=BB294_10 Depth=1
	s_delay_alu instid0(VALU_DEP_2) | instskip(NEXT) | instid1(VALU_DEP_1)
	v_clz_i32_u32_e32 v1, v1
	v_min_u32_e32 v1, 32, v1
	s_delay_alu instid0(VALU_DEP_1) | instskip(NEXT) | instid1(VALU_DEP_1)
	v_subrev_nc_u32_e32 v6, 28, v1
	v_lshlrev_b64_e32 v[8:9], v6, v[24:25]
	s_delay_alu instid0(VALU_DEP_1)
	v_dual_sub_nc_u32 v6, 29, v1 :: v_dual_bitop2_b32 v1, 7, v8 bitop3:0x40
; %bb.439:                              ;   in Loop: Header=BB294_10 Depth=1
	s_or_b32 exec_lo, exec_lo, s18
	s_delay_alu instid0(VALU_DEP_1) | instskip(NEXT) | instid1(VALU_DEP_2)
	v_dual_lshlrev_b32 v0, 8, v0 :: v_dual_lshlrev_b32 v1, 23, v1
	v_lshl_add_u32 v6, v6, 10, 0x2000
	s_delay_alu instid0(VALU_DEP_1) | instskip(NEXT) | instid1(VALU_DEP_1)
	v_and_or_b32 v0, 0x8000, v0, v6
	v_lshl_or_b32 v76, v0, 16, v1
.LBB294_440:                            ;   in Loop: Header=BB294_10 Depth=1
	s_or_b32 exec_lo, exec_lo, s17
.LBB294_441:                            ;   in Loop: Header=BB294_10 Depth=1
	s_delay_alu instid0(SALU_CYCLE_1)
	s_or_b32 exec_lo, exec_lo, s16
.LBB294_442:                            ;   in Loop: Header=BB294_10 Depth=1
	s_delay_alu instid0(SALU_CYCLE_1) | instskip(SKIP_2) | instid1(VALU_DEP_1)
	s_or_b32 exec_lo, exec_lo, s15
	v_lshrrev_b32_e32 v8, 16, v5
	s_mov_b32 s15, exec_lo
	v_and_b32_e32 v0, 0xff, v8
	s_delay_alu instid0(VALU_DEP_1)
	v_cmpx_ne_u16_e32 0, v0
	s_cbranch_execz .LBB294_450
; %bb.443:                              ;   in Loop: Header=BB294_10 Depth=1
	v_mov_b32_e32 v83, 0x8000
	s_mov_b32 s16, exec_lo
	v_cmpx_ne_u16_e32 0x80, v0
	s_cbranch_execz .LBB294_449
; %bb.444:                              ;   in Loop: Header=BB294_10 Depth=1
	v_bfe_u32 v6, v5, 16, 7
	v_mov_b32_e32 v83, 0x7c01
	s_mov_b32 s17, exec_lo
	s_delay_alu instid0(VALU_DEP_2)
	v_cmpx_ne_u32_e32 0x7f, v6
	s_cbranch_execz .LBB294_448
; %bb.445:                              ;   in Loop: Header=BB294_10 Depth=1
	v_dual_lshrrev_b32 v1, 3, v6 :: v_dual_bitop2_b32 v0, 7, v8 bitop3:0x40
	s_mov_b32 s18, exec_lo
	v_cmpx_gt_u32_e32 8, v6
; %bb.446:                              ;   in Loop: Header=BB294_10 Depth=1
	s_delay_alu instid0(VALU_DEP_2) | instskip(NEXT) | instid1(VALU_DEP_1)
	v_clz_i32_u32_e32 v0, v0
	v_min_u32_e32 v6, 32, v0
	s_delay_alu instid0(VALU_DEP_1) | instskip(NEXT) | instid1(VALU_DEP_1)
	v_subrev_nc_u32_e32 v0, 28, v6
	v_lshlrev_b64_e32 v[0:1], v0, v[8:9]
	s_delay_alu instid0(VALU_DEP_1)
	v_dual_sub_nc_u32 v1, 29, v6 :: v_dual_bitop2_b32 v0, 7, v0 bitop3:0x40
; %bb.447:                              ;   in Loop: Header=BB294_10 Depth=1
	s_or_b32 exec_lo, exec_lo, s18
	v_lshlrev_b32_e32 v6, 8, v8
	s_delay_alu instid0(VALU_DEP_2) | instskip(NEXT) | instid1(VALU_DEP_3)
	v_lshl_add_u32 v1, v1, 10, 0x2000
	v_lshlrev_b32_e32 v0, 7, v0
	s_delay_alu instid0(VALU_DEP_3) | instskip(NEXT) | instid1(VALU_DEP_3)
	v_and_b32_e32 v6, 0x8000, v6
	v_and_b32_e32 v1, 0xfc00, v1
	s_delay_alu instid0(VALU_DEP_1)
	v_or3_b32 v83, v6, v1, v0
.LBB294_448:                            ;   in Loop: Header=BB294_10 Depth=1
	s_or_b32 exec_lo, exec_lo, s17
.LBB294_449:                            ;   in Loop: Header=BB294_10 Depth=1
	s_delay_alu instid0(SALU_CYCLE_1)
	s_or_b32 exec_lo, exec_lo, s16
.LBB294_450:                            ;   in Loop: Header=BB294_10 Depth=1
	s_delay_alu instid0(SALU_CYCLE_1)
	s_or_b32 exec_lo, exec_lo, s15
	v_dual_mov_b32 v117, 0 :: v_dual_mov_b32 v78, 0
	s_mov_b32 s15, exec_lo
	v_cmpx_lt_u64_e64 s[2:3], v[4:5]
	s_cbranch_execz .LBB294_458
; %bb.451:                              ;   in Loop: Header=BB294_10 Depth=1
	v_lshrrev_b32_e32 v24, 24, v5
	v_bfrev_b32_e32 v78, 1
	s_mov_b32 s16, exec_lo
	s_delay_alu instid0(VALU_DEP_2)
	v_cmpx_ne_u32_e32 0x80, v24
	s_cbranch_execz .LBB294_457
; %bb.452:                              ;   in Loop: Header=BB294_10 Depth=1
	v_and_b32_e32 v4, 0x7f, v24
	v_mov_b32_e32 v78, 0x7c010000
	s_mov_b32 s17, exec_lo
	s_delay_alu instid0(VALU_DEP_2)
	v_cmpx_ne_u32_e32 0x7f, v4
	s_cbranch_execz .LBB294_456
; %bb.453:                              ;   in Loop: Header=BB294_10 Depth=1
	v_and_b32_e32 v0, 7, v24
	v_lshrrev_b32_e32 v1, 3, v4
	s_mov_b32 s18, exec_lo
	v_cmpx_gt_u32_e32 8, v4
; %bb.454:                              ;   in Loop: Header=BB294_10 Depth=1
	s_delay_alu instid0(VALU_DEP_3) | instskip(NEXT) | instid1(VALU_DEP_1)
	v_clz_i32_u32_e32 v0, v0
	v_min_u32_e32 v4, 32, v0
	s_delay_alu instid0(VALU_DEP_1) | instskip(NEXT) | instid1(VALU_DEP_1)
	v_subrev_nc_u32_e32 v0, 28, v4
	v_lshlrev_b64_e32 v[0:1], v0, v[24:25]
	v_sub_nc_u32_e32 v1, 29, v4
	s_delay_alu instid0(VALU_DEP_2)
	v_and_b32_e32 v0, 7, v0
; %bb.455:                              ;   in Loop: Header=BB294_10 Depth=1
	s_or_b32 exec_lo, exec_lo, s18
	v_lshlrev_b32_e32 v4, 8, v24
	s_delay_alu instid0(VALU_DEP_3) | instskip(NEXT) | instid1(VALU_DEP_3)
	v_lshl_add_u32 v1, v1, 10, 0x2000
	v_lshlrev_b32_e32 v0, 23, v0
	s_delay_alu instid0(VALU_DEP_2) | instskip(NEXT) | instid1(VALU_DEP_1)
	v_and_or_b32 v1, 0x8000, v4, v1
	v_lshl_or_b32 v78, v1, 16, v0
.LBB294_456:                            ;   in Loop: Header=BB294_10 Depth=1
	s_or_b32 exec_lo, exec_lo, s17
.LBB294_457:                            ;   in Loop: Header=BB294_10 Depth=1
	s_delay_alu instid0(SALU_CYCLE_1)
	s_or_b32 exec_lo, exec_lo, s16
.LBB294_458:                            ;   in Loop: Header=BB294_10 Depth=1
	s_delay_alu instid0(SALU_CYCLE_1)
	s_or_b32 exec_lo, exec_lo, s15
	flat_load_b64 v[4:5], v[2:3] offset:1544
	s_mov_b32 s15, exec_lo
	s_wait_loadcnt_dscnt 0x0
	v_and_b32_e32 v0, 0xff, v4
	s_wait_xcnt 0x0
	s_delay_alu instid0(VALU_DEP_1)
	v_cmpx_ne_u16_e32 0, v0
	s_cbranch_execz .LBB294_466
; %bb.459:                              ;   in Loop: Header=BB294_10 Depth=1
	v_mov_b32_e32 v117, 0x8000
	s_mov_b32 s16, exec_lo
	v_cmpx_ne_u16_e32 0x80, v0
	s_cbranch_execz .LBB294_465
; %bb.460:                              ;   in Loop: Header=BB294_10 Depth=1
	v_and_b32_e32 v6, 0x7f, v4
	v_mov_b32_e32 v117, 0x7c01
	s_mov_b32 s17, exec_lo
	s_delay_alu instid0(VALU_DEP_2)
	v_cmpx_ne_u32_e32 0x7f, v6
	s_cbranch_execz .LBB294_464
; %bb.461:                              ;   in Loop: Header=BB294_10 Depth=1
	v_dual_lshrrev_b32 v1, 3, v6 :: v_dual_bitop2_b32 v0, 7, v4 bitop3:0x40
	s_mov_b32 s18, exec_lo
	v_cmpx_gt_u32_e32 8, v6
; %bb.462:                              ;   in Loop: Header=BB294_10 Depth=1
	s_delay_alu instid0(VALU_DEP_2) | instskip(NEXT) | instid1(VALU_DEP_1)
	v_clz_i32_u32_e32 v0, v0
	v_min_u32_e32 v6, 32, v0
	s_delay_alu instid0(VALU_DEP_1) | instskip(NEXT) | instid1(VALU_DEP_1)
	v_subrev_nc_u32_e32 v0, 28, v6
	v_lshlrev_b64_e32 v[0:1], v0, v[4:5]
	s_delay_alu instid0(VALU_DEP_1)
	v_dual_sub_nc_u32 v1, 29, v6 :: v_dual_bitop2_b32 v0, 7, v0 bitop3:0x40
; %bb.463:                              ;   in Loop: Header=BB294_10 Depth=1
	s_or_b32 exec_lo, exec_lo, s18
	v_lshlrev_b32_e32 v6, 8, v4
	s_delay_alu instid0(VALU_DEP_2) | instskip(NEXT) | instid1(VALU_DEP_3)
	v_lshl_add_u32 v1, v1, 10, 0x2000
	v_lshlrev_b32_e32 v0, 7, v0
	s_delay_alu instid0(VALU_DEP_3) | instskip(NEXT) | instid1(VALU_DEP_3)
	v_and_b32_e32 v6, 0x8000, v6
	v_and_b32_e32 v1, 0xfc00, v1
	s_delay_alu instid0(VALU_DEP_1)
	v_or3_b32 v117, v6, v1, v0
.LBB294_464:                            ;   in Loop: Header=BB294_10 Depth=1
	s_or_b32 exec_lo, exec_lo, s17
.LBB294_465:                            ;   in Loop: Header=BB294_10 Depth=1
	s_delay_alu instid0(SALU_CYCLE_1)
	s_or_b32 exec_lo, exec_lo, s16
.LBB294_466:                            ;   in Loop: Header=BB294_10 Depth=1
	s_delay_alu instid0(SALU_CYCLE_1) | instskip(SKIP_3) | instid1(VALU_DEP_2)
	s_or_b32 exec_lo, exec_lo, s15
	v_lshrrev_b16 v24, 8, v4
	v_dual_mov_b32 v45, 0 :: v_dual_mov_b32 v112, 0
	s_mov_b32 s15, exec_lo
	v_cmpx_ne_u16_e32 0, v24
	s_cbranch_execz .LBB294_474
; %bb.467:                              ;   in Loop: Header=BB294_10 Depth=1
	v_bfrev_b32_e32 v112, 1
	s_mov_b32 s16, exec_lo
	v_cmpx_ne_u16_e32 0x80, v24
	s_cbranch_execz .LBB294_473
; %bb.468:                              ;   in Loop: Header=BB294_10 Depth=1
	v_and_b32_e32 v0, 0xffff, v24
	v_mov_b32_e32 v112, 0x7c010000
	s_mov_b32 s17, exec_lo
	s_delay_alu instid0(VALU_DEP_2) | instskip(NEXT) | instid1(VALU_DEP_1)
	v_and_b32_e32 v7, 0x7f, v0
	v_cmpx_ne_u32_e32 0x7f, v7
	s_cbranch_execz .LBB294_472
; %bb.469:                              ;   in Loop: Header=BB294_10 Depth=1
	v_dual_lshrrev_b32 v6, 3, v7 :: v_dual_bitop2_b32 v1, 7, v0 bitop3:0x40
	s_mov_b32 s18, exec_lo
	v_cmpx_gt_u32_e32 8, v7
; %bb.470:                              ;   in Loop: Header=BB294_10 Depth=1
	s_delay_alu instid0(VALU_DEP_2) | instskip(NEXT) | instid1(VALU_DEP_1)
	v_clz_i32_u32_e32 v1, v1
	v_min_u32_e32 v1, 32, v1
	s_delay_alu instid0(VALU_DEP_1) | instskip(NEXT) | instid1(VALU_DEP_1)
	v_subrev_nc_u32_e32 v6, 28, v1
	v_lshlrev_b64_e32 v[8:9], v6, v[24:25]
	s_delay_alu instid0(VALU_DEP_1)
	v_dual_sub_nc_u32 v6, 29, v1 :: v_dual_bitop2_b32 v1, 7, v8 bitop3:0x40
; %bb.471:                              ;   in Loop: Header=BB294_10 Depth=1
	s_or_b32 exec_lo, exec_lo, s18
	s_delay_alu instid0(VALU_DEP_1) | instskip(NEXT) | instid1(VALU_DEP_2)
	v_dual_lshlrev_b32 v0, 8, v0 :: v_dual_lshlrev_b32 v1, 23, v1
	v_lshl_add_u32 v6, v6, 10, 0x2000
	s_delay_alu instid0(VALU_DEP_1) | instskip(NEXT) | instid1(VALU_DEP_1)
	v_and_or_b32 v0, 0x8000, v0, v6
	v_lshl_or_b32 v112, v0, 16, v1
.LBB294_472:                            ;   in Loop: Header=BB294_10 Depth=1
	s_or_b32 exec_lo, exec_lo, s17
.LBB294_473:                            ;   in Loop: Header=BB294_10 Depth=1
	s_delay_alu instid0(SALU_CYCLE_1)
	s_or_b32 exec_lo, exec_lo, s16
.LBB294_474:                            ;   in Loop: Header=BB294_10 Depth=1
	s_delay_alu instid0(SALU_CYCLE_1) | instskip(SKIP_2) | instid1(VALU_DEP_1)
	s_or_b32 exec_lo, exec_lo, s15
	v_lshrrev_b32_e32 v8, 16, v4
	s_mov_b32 s15, exec_lo
	v_and_b32_e32 v0, 0xff, v8
	s_delay_alu instid0(VALU_DEP_1)
	v_cmpx_ne_u16_e32 0, v0
	s_cbranch_execz .LBB294_482
; %bb.475:                              ;   in Loop: Header=BB294_10 Depth=1
	v_mov_b32_e32 v45, 0x8000
	s_mov_b32 s16, exec_lo
	v_cmpx_ne_u16_e32 0x80, v0
	s_cbranch_execz .LBB294_481
; %bb.476:                              ;   in Loop: Header=BB294_10 Depth=1
	v_bfe_u32 v6, v4, 16, 7
	v_mov_b32_e32 v45, 0x7c01
	s_mov_b32 s17, exec_lo
	s_delay_alu instid0(VALU_DEP_2)
	v_cmpx_ne_u32_e32 0x7f, v6
	s_cbranch_execz .LBB294_480
; %bb.477:                              ;   in Loop: Header=BB294_10 Depth=1
	v_dual_lshrrev_b32 v1, 3, v6 :: v_dual_bitop2_b32 v0, 7, v8 bitop3:0x40
	s_mov_b32 s18, exec_lo
	v_cmpx_gt_u32_e32 8, v6
; %bb.478:                              ;   in Loop: Header=BB294_10 Depth=1
	s_delay_alu instid0(VALU_DEP_2) | instskip(NEXT) | instid1(VALU_DEP_1)
	v_clz_i32_u32_e32 v0, v0
	v_min_u32_e32 v6, 32, v0
	s_delay_alu instid0(VALU_DEP_1) | instskip(NEXT) | instid1(VALU_DEP_1)
	v_subrev_nc_u32_e32 v0, 28, v6
	v_lshlrev_b64_e32 v[0:1], v0, v[8:9]
	s_delay_alu instid0(VALU_DEP_1)
	v_dual_sub_nc_u32 v1, 29, v6 :: v_dual_bitop2_b32 v0, 7, v0 bitop3:0x40
; %bb.479:                              ;   in Loop: Header=BB294_10 Depth=1
	s_or_b32 exec_lo, exec_lo, s18
	v_lshlrev_b32_e32 v6, 8, v8
	s_delay_alu instid0(VALU_DEP_2) | instskip(NEXT) | instid1(VALU_DEP_3)
	v_lshl_add_u32 v1, v1, 10, 0x2000
	v_lshlrev_b32_e32 v0, 7, v0
	s_delay_alu instid0(VALU_DEP_3) | instskip(NEXT) | instid1(VALU_DEP_3)
	v_and_b32_e32 v6, 0x8000, v6
	v_and_b32_e32 v1, 0xfc00, v1
	s_delay_alu instid0(VALU_DEP_1)
	v_or3_b32 v45, v6, v1, v0
.LBB294_480:                            ;   in Loop: Header=BB294_10 Depth=1
	s_or_b32 exec_lo, exec_lo, s17
.LBB294_481:                            ;   in Loop: Header=BB294_10 Depth=1
	s_delay_alu instid0(SALU_CYCLE_1)
	s_or_b32 exec_lo, exec_lo, s16
.LBB294_482:                            ;   in Loop: Header=BB294_10 Depth=1
	s_delay_alu instid0(SALU_CYCLE_1)
	s_or_b32 exec_lo, exec_lo, s15
	v_dual_mov_b32 v56, 0 :: v_dual_mov_b32 v89, 0
	s_mov_b32 s15, exec_lo
	v_cmpx_lt_u32_e32 0xffffff, v4
	s_cbranch_execz .LBB294_490
; %bb.483:                              ;   in Loop: Header=BB294_10 Depth=1
	v_lshrrev_b32_e32 v24, 24, v4
	v_bfrev_b32_e32 v89, 1
	s_mov_b32 s16, exec_lo
	s_delay_alu instid0(VALU_DEP_2)
	v_cmpx_ne_u32_e32 0x80, v24
	s_cbranch_execz .LBB294_489
; %bb.484:                              ;   in Loop: Header=BB294_10 Depth=1
	v_and_b32_e32 v6, 0x7f, v24
	v_mov_b32_e32 v89, 0x7c010000
	s_mov_b32 s17, exec_lo
	s_delay_alu instid0(VALU_DEP_2)
	v_cmpx_ne_u32_e32 0x7f, v6
	s_cbranch_execz .LBB294_488
; %bb.485:                              ;   in Loop: Header=BB294_10 Depth=1
	v_dual_lshrrev_b32 v1, 3, v6 :: v_dual_bitop2_b32 v0, 7, v24 bitop3:0x40
	s_mov_b32 s18, exec_lo
	v_cmpx_gt_u32_e32 8, v6
; %bb.486:                              ;   in Loop: Header=BB294_10 Depth=1
	s_delay_alu instid0(VALU_DEP_2) | instskip(NEXT) | instid1(VALU_DEP_1)
	v_clz_i32_u32_e32 v0, v0
	v_min_u32_e32 v6, 32, v0
	s_delay_alu instid0(VALU_DEP_1) | instskip(NEXT) | instid1(VALU_DEP_1)
	v_subrev_nc_u32_e32 v0, 28, v6
	v_lshlrev_b64_e32 v[0:1], v0, v[24:25]
	s_delay_alu instid0(VALU_DEP_1)
	v_dual_sub_nc_u32 v1, 29, v6 :: v_dual_bitop2_b32 v0, 7, v0 bitop3:0x40
; %bb.487:                              ;   in Loop: Header=BB294_10 Depth=1
	s_or_b32 exec_lo, exec_lo, s18
	v_lshlrev_b32_e32 v6, 8, v24
	s_delay_alu instid0(VALU_DEP_2) | instskip(NEXT) | instid1(VALU_DEP_3)
	v_lshl_add_u32 v1, v1, 10, 0x2000
	v_lshlrev_b32_e32 v0, 23, v0
	s_delay_alu instid0(VALU_DEP_2) | instskip(NEXT) | instid1(VALU_DEP_1)
	v_and_or_b32 v1, 0x8000, v6, v1
	v_lshl_or_b32 v89, v1, 16, v0
.LBB294_488:                            ;   in Loop: Header=BB294_10 Depth=1
	s_or_b32 exec_lo, exec_lo, s17
.LBB294_489:                            ;   in Loop: Header=BB294_10 Depth=1
	s_delay_alu instid0(SALU_CYCLE_1)
	s_or_b32 exec_lo, exec_lo, s16
.LBB294_490:                            ;   in Loop: Header=BB294_10 Depth=1
	s_delay_alu instid0(SALU_CYCLE_1) | instskip(SKIP_3) | instid1(VALU_DEP_2)
	s_or_b32 exec_lo, exec_lo, s15
	v_and_b32_e32 v0, 0xff, v5
	v_mov_b32_e32 v24, v5
	s_mov_b32 s15, exec_lo
	v_cmpx_ne_u16_e32 0, v0
	s_cbranch_execz .LBB294_498
; %bb.491:                              ;   in Loop: Header=BB294_10 Depth=1
	v_mov_b32_e32 v56, 0x8000
	s_mov_b32 s16, exec_lo
	v_cmpx_ne_u16_e32 0x80, v0
	s_cbranch_execz .LBB294_497
; %bb.492:                              ;   in Loop: Header=BB294_10 Depth=1
	v_and_b32_e32 v6, 0x7f, v5
	v_mov_b32_e32 v56, 0x7c01
	s_mov_b32 s17, exec_lo
	s_delay_alu instid0(VALU_DEP_2)
	v_cmpx_ne_u32_e32 0x7f, v6
	s_cbranch_execz .LBB294_496
; %bb.493:                              ;   in Loop: Header=BB294_10 Depth=1
	v_dual_lshrrev_b32 v1, 3, v6 :: v_dual_bitop2_b32 v0, 7, v5 bitop3:0x40
	s_mov_b32 s18, exec_lo
	v_cmpx_gt_u32_e32 8, v6
; %bb.494:                              ;   in Loop: Header=BB294_10 Depth=1
	s_delay_alu instid0(VALU_DEP_2) | instskip(NEXT) | instid1(VALU_DEP_1)
	v_clz_i32_u32_e32 v0, v0
	v_min_u32_e32 v6, 32, v0
	s_delay_alu instid0(VALU_DEP_1) | instskip(NEXT) | instid1(VALU_DEP_1)
	v_subrev_nc_u32_e32 v0, 28, v6
	v_lshlrev_b64_e32 v[0:1], v0, v[24:25]
	s_delay_alu instid0(VALU_DEP_1)
	v_dual_sub_nc_u32 v1, 29, v6 :: v_dual_bitop2_b32 v0, 7, v0 bitop3:0x40
; %bb.495:                              ;   in Loop: Header=BB294_10 Depth=1
	s_or_b32 exec_lo, exec_lo, s18
	s_delay_alu instid0(VALU_DEP_1) | instskip(NEXT) | instid1(VALU_DEP_2)
	v_dual_lshlrev_b32 v6, 8, v5 :: v_dual_lshlrev_b32 v0, 7, v0
	v_lshl_add_u32 v1, v1, 10, 0x2000
	s_delay_alu instid0(VALU_DEP_2) | instskip(NEXT) | instid1(VALU_DEP_2)
	v_and_b32_e32 v6, 0x8000, v6
	v_and_b32_e32 v1, 0xfc00, v1
	s_delay_alu instid0(VALU_DEP_1)
	v_or3_b32 v56, v6, v1, v0
.LBB294_496:                            ;   in Loop: Header=BB294_10 Depth=1
	s_or_b32 exec_lo, exec_lo, s17
.LBB294_497:                            ;   in Loop: Header=BB294_10 Depth=1
	s_delay_alu instid0(SALU_CYCLE_1)
	s_or_b32 exec_lo, exec_lo, s16
.LBB294_498:                            ;   in Loop: Header=BB294_10 Depth=1
	s_delay_alu instid0(SALU_CYCLE_1) | instskip(SKIP_3) | instid1(VALU_DEP_2)
	s_or_b32 exec_lo, exec_lo, s15
	v_lshrrev_b16 v24, 8, v24
	v_dual_mov_b32 v116, 0 :: v_dual_mov_b32 v108, 0
	s_mov_b32 s15, exec_lo
	v_cmpx_ne_u16_e32 0, v24
	s_cbranch_execz .LBB294_506
; %bb.499:                              ;   in Loop: Header=BB294_10 Depth=1
	v_bfrev_b32_e32 v108, 1
	s_mov_b32 s16, exec_lo
	v_cmpx_ne_u16_e32 0x80, v24
	s_cbranch_execz .LBB294_505
; %bb.500:                              ;   in Loop: Header=BB294_10 Depth=1
	v_and_b32_e32 v0, 0xffff, v24
	v_mov_b32_e32 v108, 0x7c010000
	s_mov_b32 s17, exec_lo
	s_delay_alu instid0(VALU_DEP_2) | instskip(NEXT) | instid1(VALU_DEP_1)
	v_and_b32_e32 v7, 0x7f, v0
	v_cmpx_ne_u32_e32 0x7f, v7
	s_cbranch_execz .LBB294_504
; %bb.501:                              ;   in Loop: Header=BB294_10 Depth=1
	v_dual_lshrrev_b32 v6, 3, v7 :: v_dual_bitop2_b32 v1, 7, v0 bitop3:0x40
	s_mov_b32 s18, exec_lo
	v_cmpx_gt_u32_e32 8, v7
; %bb.502:                              ;   in Loop: Header=BB294_10 Depth=1
	s_delay_alu instid0(VALU_DEP_2) | instskip(NEXT) | instid1(VALU_DEP_1)
	v_clz_i32_u32_e32 v1, v1
	v_min_u32_e32 v1, 32, v1
	s_delay_alu instid0(VALU_DEP_1) | instskip(NEXT) | instid1(VALU_DEP_1)
	v_subrev_nc_u32_e32 v6, 28, v1
	v_lshlrev_b64_e32 v[8:9], v6, v[24:25]
	s_delay_alu instid0(VALU_DEP_1)
	v_dual_sub_nc_u32 v6, 29, v1 :: v_dual_bitop2_b32 v1, 7, v8 bitop3:0x40
; %bb.503:                              ;   in Loop: Header=BB294_10 Depth=1
	s_or_b32 exec_lo, exec_lo, s18
	s_delay_alu instid0(VALU_DEP_1) | instskip(NEXT) | instid1(VALU_DEP_2)
	v_dual_lshlrev_b32 v0, 8, v0 :: v_dual_lshlrev_b32 v1, 23, v1
	v_lshl_add_u32 v6, v6, 10, 0x2000
	s_delay_alu instid0(VALU_DEP_1) | instskip(NEXT) | instid1(VALU_DEP_1)
	v_and_or_b32 v0, 0x8000, v0, v6
	v_lshl_or_b32 v108, v0, 16, v1
.LBB294_504:                            ;   in Loop: Header=BB294_10 Depth=1
	s_or_b32 exec_lo, exec_lo, s17
.LBB294_505:                            ;   in Loop: Header=BB294_10 Depth=1
	s_delay_alu instid0(SALU_CYCLE_1)
	s_or_b32 exec_lo, exec_lo, s16
.LBB294_506:                            ;   in Loop: Header=BB294_10 Depth=1
	s_delay_alu instid0(SALU_CYCLE_1) | instskip(SKIP_2) | instid1(VALU_DEP_1)
	s_or_b32 exec_lo, exec_lo, s15
	v_lshrrev_b32_e32 v8, 16, v5
	s_mov_b32 s15, exec_lo
	v_and_b32_e32 v0, 0xff, v8
	s_delay_alu instid0(VALU_DEP_1)
	v_cmpx_ne_u16_e32 0, v0
	s_cbranch_execz .LBB294_514
; %bb.507:                              ;   in Loop: Header=BB294_10 Depth=1
	v_mov_b32_e32 v116, 0x8000
	s_mov_b32 s16, exec_lo
	v_cmpx_ne_u16_e32 0x80, v0
	s_cbranch_execz .LBB294_513
; %bb.508:                              ;   in Loop: Header=BB294_10 Depth=1
	v_bfe_u32 v6, v5, 16, 7
	v_mov_b32_e32 v116, 0x7c01
	s_mov_b32 s17, exec_lo
	s_delay_alu instid0(VALU_DEP_2)
	v_cmpx_ne_u32_e32 0x7f, v6
	s_cbranch_execz .LBB294_512
; %bb.509:                              ;   in Loop: Header=BB294_10 Depth=1
	v_dual_lshrrev_b32 v1, 3, v6 :: v_dual_bitop2_b32 v0, 7, v8 bitop3:0x40
	s_mov_b32 s18, exec_lo
	v_cmpx_gt_u32_e32 8, v6
; %bb.510:                              ;   in Loop: Header=BB294_10 Depth=1
	s_delay_alu instid0(VALU_DEP_2) | instskip(NEXT) | instid1(VALU_DEP_1)
	v_clz_i32_u32_e32 v0, v0
	v_min_u32_e32 v6, 32, v0
	s_delay_alu instid0(VALU_DEP_1) | instskip(NEXT) | instid1(VALU_DEP_1)
	v_subrev_nc_u32_e32 v0, 28, v6
	v_lshlrev_b64_e32 v[0:1], v0, v[8:9]
	s_delay_alu instid0(VALU_DEP_1)
	v_dual_sub_nc_u32 v1, 29, v6 :: v_dual_bitop2_b32 v0, 7, v0 bitop3:0x40
; %bb.511:                              ;   in Loop: Header=BB294_10 Depth=1
	s_or_b32 exec_lo, exec_lo, s18
	v_lshlrev_b32_e32 v6, 8, v8
	s_delay_alu instid0(VALU_DEP_2) | instskip(NEXT) | instid1(VALU_DEP_3)
	v_lshl_add_u32 v1, v1, 10, 0x2000
	v_lshlrev_b32_e32 v0, 7, v0
	s_delay_alu instid0(VALU_DEP_3) | instskip(NEXT) | instid1(VALU_DEP_3)
	v_and_b32_e32 v6, 0x8000, v6
	v_and_b32_e32 v1, 0xfc00, v1
	s_delay_alu instid0(VALU_DEP_1)
	v_or3_b32 v116, v6, v1, v0
.LBB294_512:                            ;   in Loop: Header=BB294_10 Depth=1
	s_or_b32 exec_lo, exec_lo, s17
.LBB294_513:                            ;   in Loop: Header=BB294_10 Depth=1
	s_delay_alu instid0(SALU_CYCLE_1)
	s_or_b32 exec_lo, exec_lo, s16
.LBB294_514:                            ;   in Loop: Header=BB294_10 Depth=1
	s_delay_alu instid0(SALU_CYCLE_1)
	s_or_b32 exec_lo, exec_lo, s15
	v_dual_mov_b32 v57, 0 :: v_dual_mov_b32 v110, 0
	s_mov_b32 s15, exec_lo
	v_cmpx_lt_u64_e64 s[2:3], v[4:5]
	s_cbranch_execz .LBB294_522
; %bb.515:                              ;   in Loop: Header=BB294_10 Depth=1
	v_lshrrev_b32_e32 v24, 24, v5
	v_bfrev_b32_e32 v110, 1
	s_mov_b32 s16, exec_lo
	s_delay_alu instid0(VALU_DEP_2)
	v_cmpx_ne_u32_e32 0x80, v24
	s_cbranch_execz .LBB294_521
; %bb.516:                              ;   in Loop: Header=BB294_10 Depth=1
	v_and_b32_e32 v4, 0x7f, v24
	v_mov_b32_e32 v110, 0x7c010000
	s_mov_b32 s17, exec_lo
	s_delay_alu instid0(VALU_DEP_2)
	v_cmpx_ne_u32_e32 0x7f, v4
	s_cbranch_execz .LBB294_520
; %bb.517:                              ;   in Loop: Header=BB294_10 Depth=1
	v_and_b32_e32 v0, 7, v24
	v_lshrrev_b32_e32 v1, 3, v4
	s_mov_b32 s18, exec_lo
	v_cmpx_gt_u32_e32 8, v4
; %bb.518:                              ;   in Loop: Header=BB294_10 Depth=1
	s_delay_alu instid0(VALU_DEP_3) | instskip(NEXT) | instid1(VALU_DEP_1)
	v_clz_i32_u32_e32 v0, v0
	v_min_u32_e32 v4, 32, v0
	s_delay_alu instid0(VALU_DEP_1) | instskip(NEXT) | instid1(VALU_DEP_1)
	v_subrev_nc_u32_e32 v0, 28, v4
	v_lshlrev_b64_e32 v[0:1], v0, v[24:25]
	v_sub_nc_u32_e32 v1, 29, v4
	s_delay_alu instid0(VALU_DEP_2)
	v_and_b32_e32 v0, 7, v0
; %bb.519:                              ;   in Loop: Header=BB294_10 Depth=1
	s_or_b32 exec_lo, exec_lo, s18
	v_lshlrev_b32_e32 v4, 8, v24
	s_delay_alu instid0(VALU_DEP_3) | instskip(NEXT) | instid1(VALU_DEP_3)
	v_lshl_add_u32 v1, v1, 10, 0x2000
	v_lshlrev_b32_e32 v0, 23, v0
	s_delay_alu instid0(VALU_DEP_2) | instskip(NEXT) | instid1(VALU_DEP_1)
	v_and_or_b32 v1, 0x8000, v4, v1
	v_lshl_or_b32 v110, v1, 16, v0
.LBB294_520:                            ;   in Loop: Header=BB294_10 Depth=1
	s_or_b32 exec_lo, exec_lo, s17
.LBB294_521:                            ;   in Loop: Header=BB294_10 Depth=1
	s_delay_alu instid0(SALU_CYCLE_1)
	s_or_b32 exec_lo, exec_lo, s16
.LBB294_522:                            ;   in Loop: Header=BB294_10 Depth=1
	s_delay_alu instid0(SALU_CYCLE_1)
	s_or_b32 exec_lo, exec_lo, s15
	flat_load_b64 v[4:5], v[2:3] offset:2048
	s_mov_b32 s15, exec_lo
	s_wait_loadcnt_dscnt 0x0
	v_and_b32_e32 v0, 0xff, v4
	s_wait_xcnt 0x0
	s_delay_alu instid0(VALU_DEP_1)
	v_cmpx_ne_u16_e32 0, v0
	s_cbranch_execz .LBB294_530
; %bb.523:                              ;   in Loop: Header=BB294_10 Depth=1
	v_mov_b32_e32 v57, 0x8000
	s_mov_b32 s16, exec_lo
	v_cmpx_ne_u16_e32 0x80, v0
	s_cbranch_execz .LBB294_529
; %bb.524:                              ;   in Loop: Header=BB294_10 Depth=1
	v_and_b32_e32 v6, 0x7f, v4
	v_mov_b32_e32 v57, 0x7c01
	s_mov_b32 s17, exec_lo
	s_delay_alu instid0(VALU_DEP_2)
	v_cmpx_ne_u32_e32 0x7f, v6
	s_cbranch_execz .LBB294_528
; %bb.525:                              ;   in Loop: Header=BB294_10 Depth=1
	v_dual_lshrrev_b32 v1, 3, v6 :: v_dual_bitop2_b32 v0, 7, v4 bitop3:0x40
	s_mov_b32 s18, exec_lo
	v_cmpx_gt_u32_e32 8, v6
; %bb.526:                              ;   in Loop: Header=BB294_10 Depth=1
	s_delay_alu instid0(VALU_DEP_2) | instskip(NEXT) | instid1(VALU_DEP_1)
	v_clz_i32_u32_e32 v0, v0
	v_min_u32_e32 v6, 32, v0
	s_delay_alu instid0(VALU_DEP_1) | instskip(NEXT) | instid1(VALU_DEP_1)
	v_subrev_nc_u32_e32 v0, 28, v6
	v_lshlrev_b64_e32 v[0:1], v0, v[4:5]
	s_delay_alu instid0(VALU_DEP_1)
	v_dual_sub_nc_u32 v1, 29, v6 :: v_dual_bitop2_b32 v0, 7, v0 bitop3:0x40
; %bb.527:                              ;   in Loop: Header=BB294_10 Depth=1
	s_or_b32 exec_lo, exec_lo, s18
	v_lshlrev_b32_e32 v6, 8, v4
	s_delay_alu instid0(VALU_DEP_2) | instskip(NEXT) | instid1(VALU_DEP_3)
	v_lshl_add_u32 v1, v1, 10, 0x2000
	v_lshlrev_b32_e32 v0, 7, v0
	s_delay_alu instid0(VALU_DEP_3) | instskip(NEXT) | instid1(VALU_DEP_3)
	v_and_b32_e32 v6, 0x8000, v6
	v_and_b32_e32 v1, 0xfc00, v1
	s_delay_alu instid0(VALU_DEP_1)
	v_or3_b32 v57, v6, v1, v0
.LBB294_528:                            ;   in Loop: Header=BB294_10 Depth=1
	s_or_b32 exec_lo, exec_lo, s17
.LBB294_529:                            ;   in Loop: Header=BB294_10 Depth=1
	s_delay_alu instid0(SALU_CYCLE_1)
	s_or_b32 exec_lo, exec_lo, s16
.LBB294_530:                            ;   in Loop: Header=BB294_10 Depth=1
	s_delay_alu instid0(SALU_CYCLE_1) | instskip(SKIP_3) | instid1(VALU_DEP_2)
	s_or_b32 exec_lo, exec_lo, s15
	v_lshrrev_b16 v24, 8, v4
	v_dual_mov_b32 v73, 0 :: v_dual_mov_b32 v119, 0
	s_mov_b32 s15, exec_lo
	v_cmpx_ne_u16_e32 0, v24
	s_cbranch_execz .LBB294_538
; %bb.531:                              ;   in Loop: Header=BB294_10 Depth=1
	v_bfrev_b32_e32 v119, 1
	s_mov_b32 s16, exec_lo
	v_cmpx_ne_u16_e32 0x80, v24
	s_cbranch_execz .LBB294_537
; %bb.532:                              ;   in Loop: Header=BB294_10 Depth=1
	v_and_b32_e32 v0, 0xffff, v24
	v_mov_b32_e32 v119, 0x7c010000
	s_mov_b32 s17, exec_lo
	s_delay_alu instid0(VALU_DEP_2) | instskip(NEXT) | instid1(VALU_DEP_1)
	v_and_b32_e32 v7, 0x7f, v0
	v_cmpx_ne_u32_e32 0x7f, v7
	s_cbranch_execz .LBB294_536
; %bb.533:                              ;   in Loop: Header=BB294_10 Depth=1
	v_dual_lshrrev_b32 v6, 3, v7 :: v_dual_bitop2_b32 v1, 7, v0 bitop3:0x40
	s_mov_b32 s18, exec_lo
	v_cmpx_gt_u32_e32 8, v7
; %bb.534:                              ;   in Loop: Header=BB294_10 Depth=1
	s_delay_alu instid0(VALU_DEP_2) | instskip(NEXT) | instid1(VALU_DEP_1)
	v_clz_i32_u32_e32 v1, v1
	v_min_u32_e32 v1, 32, v1
	s_delay_alu instid0(VALU_DEP_1) | instskip(NEXT) | instid1(VALU_DEP_1)
	v_subrev_nc_u32_e32 v6, 28, v1
	v_lshlrev_b64_e32 v[8:9], v6, v[24:25]
	s_delay_alu instid0(VALU_DEP_1)
	v_dual_sub_nc_u32 v6, 29, v1 :: v_dual_bitop2_b32 v1, 7, v8 bitop3:0x40
; %bb.535:                              ;   in Loop: Header=BB294_10 Depth=1
	s_or_b32 exec_lo, exec_lo, s18
	s_delay_alu instid0(VALU_DEP_1) | instskip(NEXT) | instid1(VALU_DEP_2)
	v_dual_lshlrev_b32 v0, 8, v0 :: v_dual_lshlrev_b32 v1, 23, v1
	v_lshl_add_u32 v6, v6, 10, 0x2000
	s_delay_alu instid0(VALU_DEP_1) | instskip(NEXT) | instid1(VALU_DEP_1)
	v_and_or_b32 v0, 0x8000, v0, v6
	v_lshl_or_b32 v119, v0, 16, v1
.LBB294_536:                            ;   in Loop: Header=BB294_10 Depth=1
	s_or_b32 exec_lo, exec_lo, s17
.LBB294_537:                            ;   in Loop: Header=BB294_10 Depth=1
	s_delay_alu instid0(SALU_CYCLE_1)
	s_or_b32 exec_lo, exec_lo, s16
.LBB294_538:                            ;   in Loop: Header=BB294_10 Depth=1
	s_delay_alu instid0(SALU_CYCLE_1) | instskip(SKIP_2) | instid1(VALU_DEP_1)
	s_or_b32 exec_lo, exec_lo, s15
	v_lshrrev_b32_e32 v8, 16, v4
	s_mov_b32 s15, exec_lo
	v_and_b32_e32 v0, 0xff, v8
	s_delay_alu instid0(VALU_DEP_1)
	v_cmpx_ne_u16_e32 0, v0
	s_cbranch_execz .LBB294_546
; %bb.539:                              ;   in Loop: Header=BB294_10 Depth=1
	v_mov_b32_e32 v73, 0x8000
	s_mov_b32 s16, exec_lo
	v_cmpx_ne_u16_e32 0x80, v0
	s_cbranch_execz .LBB294_545
; %bb.540:                              ;   in Loop: Header=BB294_10 Depth=1
	v_bfe_u32 v6, v4, 16, 7
	v_mov_b32_e32 v73, 0x7c01
	s_mov_b32 s17, exec_lo
	s_delay_alu instid0(VALU_DEP_2)
	v_cmpx_ne_u32_e32 0x7f, v6
	s_cbranch_execz .LBB294_544
; %bb.541:                              ;   in Loop: Header=BB294_10 Depth=1
	v_dual_lshrrev_b32 v1, 3, v6 :: v_dual_bitop2_b32 v0, 7, v8 bitop3:0x40
	s_mov_b32 s18, exec_lo
	v_cmpx_gt_u32_e32 8, v6
; %bb.542:                              ;   in Loop: Header=BB294_10 Depth=1
	s_delay_alu instid0(VALU_DEP_2) | instskip(NEXT) | instid1(VALU_DEP_1)
	v_clz_i32_u32_e32 v0, v0
	v_min_u32_e32 v6, 32, v0
	s_delay_alu instid0(VALU_DEP_1) | instskip(NEXT) | instid1(VALU_DEP_1)
	v_subrev_nc_u32_e32 v0, 28, v6
	v_lshlrev_b64_e32 v[0:1], v0, v[8:9]
	s_delay_alu instid0(VALU_DEP_1)
	v_dual_sub_nc_u32 v1, 29, v6 :: v_dual_bitop2_b32 v0, 7, v0 bitop3:0x40
; %bb.543:                              ;   in Loop: Header=BB294_10 Depth=1
	s_or_b32 exec_lo, exec_lo, s18
	v_lshlrev_b32_e32 v6, 8, v8
	s_delay_alu instid0(VALU_DEP_2) | instskip(NEXT) | instid1(VALU_DEP_3)
	v_lshl_add_u32 v1, v1, 10, 0x2000
	v_lshlrev_b32_e32 v0, 7, v0
	s_delay_alu instid0(VALU_DEP_3) | instskip(NEXT) | instid1(VALU_DEP_3)
	v_and_b32_e32 v6, 0x8000, v6
	v_and_b32_e32 v1, 0xfc00, v1
	s_delay_alu instid0(VALU_DEP_1)
	v_or3_b32 v73, v6, v1, v0
.LBB294_544:                            ;   in Loop: Header=BB294_10 Depth=1
	s_or_b32 exec_lo, exec_lo, s17
.LBB294_545:                            ;   in Loop: Header=BB294_10 Depth=1
	s_delay_alu instid0(SALU_CYCLE_1)
	s_or_b32 exec_lo, exec_lo, s16
.LBB294_546:                            ;   in Loop: Header=BB294_10 Depth=1
	s_delay_alu instid0(SALU_CYCLE_1)
	s_or_b32 exec_lo, exec_lo, s15
	v_dual_mov_b32 v41, 0 :: v_dual_mov_b32 v75, 0
	s_mov_b32 s15, exec_lo
	v_cmpx_lt_u32_e32 0xffffff, v4
	s_cbranch_execz .LBB294_554
; %bb.547:                              ;   in Loop: Header=BB294_10 Depth=1
	v_lshrrev_b32_e32 v24, 24, v4
	v_bfrev_b32_e32 v75, 1
	s_mov_b32 s16, exec_lo
	s_delay_alu instid0(VALU_DEP_2)
	v_cmpx_ne_u32_e32 0x80, v24
	s_cbranch_execz .LBB294_553
; %bb.548:                              ;   in Loop: Header=BB294_10 Depth=1
	v_and_b32_e32 v6, 0x7f, v24
	v_mov_b32_e32 v75, 0x7c010000
	s_mov_b32 s17, exec_lo
	s_delay_alu instid0(VALU_DEP_2)
	v_cmpx_ne_u32_e32 0x7f, v6
	s_cbranch_execz .LBB294_552
; %bb.549:                              ;   in Loop: Header=BB294_10 Depth=1
	v_dual_lshrrev_b32 v1, 3, v6 :: v_dual_bitop2_b32 v0, 7, v24 bitop3:0x40
	s_mov_b32 s18, exec_lo
	v_cmpx_gt_u32_e32 8, v6
; %bb.550:                              ;   in Loop: Header=BB294_10 Depth=1
	s_delay_alu instid0(VALU_DEP_2) | instskip(NEXT) | instid1(VALU_DEP_1)
	v_clz_i32_u32_e32 v0, v0
	v_min_u32_e32 v6, 32, v0
	s_delay_alu instid0(VALU_DEP_1) | instskip(NEXT) | instid1(VALU_DEP_1)
	v_subrev_nc_u32_e32 v0, 28, v6
	v_lshlrev_b64_e32 v[0:1], v0, v[24:25]
	s_delay_alu instid0(VALU_DEP_1)
	v_dual_sub_nc_u32 v1, 29, v6 :: v_dual_bitop2_b32 v0, 7, v0 bitop3:0x40
; %bb.551:                              ;   in Loop: Header=BB294_10 Depth=1
	s_or_b32 exec_lo, exec_lo, s18
	v_lshlrev_b32_e32 v6, 8, v24
	s_delay_alu instid0(VALU_DEP_2) | instskip(NEXT) | instid1(VALU_DEP_3)
	v_lshl_add_u32 v1, v1, 10, 0x2000
	v_lshlrev_b32_e32 v0, 23, v0
	s_delay_alu instid0(VALU_DEP_2) | instskip(NEXT) | instid1(VALU_DEP_1)
	v_and_or_b32 v1, 0x8000, v6, v1
	v_lshl_or_b32 v75, v1, 16, v0
.LBB294_552:                            ;   in Loop: Header=BB294_10 Depth=1
	s_or_b32 exec_lo, exec_lo, s17
.LBB294_553:                            ;   in Loop: Header=BB294_10 Depth=1
	s_delay_alu instid0(SALU_CYCLE_1)
	s_or_b32 exec_lo, exec_lo, s16
.LBB294_554:                            ;   in Loop: Header=BB294_10 Depth=1
	s_delay_alu instid0(SALU_CYCLE_1) | instskip(SKIP_3) | instid1(VALU_DEP_2)
	s_or_b32 exec_lo, exec_lo, s15
	v_and_b32_e32 v0, 0xff, v5
	v_mov_b32_e32 v24, v5
	s_mov_b32 s15, exec_lo
	v_cmpx_ne_u16_e32 0, v0
	s_cbranch_execz .LBB294_562
; %bb.555:                              ;   in Loop: Header=BB294_10 Depth=1
	v_mov_b32_e32 v41, 0x8000
	s_mov_b32 s16, exec_lo
	v_cmpx_ne_u16_e32 0x80, v0
	s_cbranch_execz .LBB294_561
; %bb.556:                              ;   in Loop: Header=BB294_10 Depth=1
	v_and_b32_e32 v6, 0x7f, v5
	v_mov_b32_e32 v41, 0x7c01
	s_mov_b32 s17, exec_lo
	s_delay_alu instid0(VALU_DEP_2)
	v_cmpx_ne_u32_e32 0x7f, v6
	s_cbranch_execz .LBB294_560
; %bb.557:                              ;   in Loop: Header=BB294_10 Depth=1
	v_dual_lshrrev_b32 v1, 3, v6 :: v_dual_bitop2_b32 v0, 7, v5 bitop3:0x40
	s_mov_b32 s18, exec_lo
	v_cmpx_gt_u32_e32 8, v6
; %bb.558:                              ;   in Loop: Header=BB294_10 Depth=1
	s_delay_alu instid0(VALU_DEP_2) | instskip(NEXT) | instid1(VALU_DEP_1)
	v_clz_i32_u32_e32 v0, v0
	v_min_u32_e32 v6, 32, v0
	s_delay_alu instid0(VALU_DEP_1) | instskip(NEXT) | instid1(VALU_DEP_1)
	v_subrev_nc_u32_e32 v0, 28, v6
	v_lshlrev_b64_e32 v[0:1], v0, v[24:25]
	s_delay_alu instid0(VALU_DEP_1)
	v_dual_sub_nc_u32 v1, 29, v6 :: v_dual_bitop2_b32 v0, 7, v0 bitop3:0x40
; %bb.559:                              ;   in Loop: Header=BB294_10 Depth=1
	s_or_b32 exec_lo, exec_lo, s18
	s_delay_alu instid0(VALU_DEP_1) | instskip(NEXT) | instid1(VALU_DEP_2)
	v_dual_lshlrev_b32 v6, 8, v5 :: v_dual_lshlrev_b32 v0, 7, v0
	v_lshl_add_u32 v1, v1, 10, 0x2000
	s_delay_alu instid0(VALU_DEP_2) | instskip(NEXT) | instid1(VALU_DEP_2)
	v_and_b32_e32 v6, 0x8000, v6
	v_and_b32_e32 v1, 0xfc00, v1
	s_delay_alu instid0(VALU_DEP_1)
	v_or3_b32 v41, v6, v1, v0
.LBB294_560:                            ;   in Loop: Header=BB294_10 Depth=1
	s_or_b32 exec_lo, exec_lo, s17
.LBB294_561:                            ;   in Loop: Header=BB294_10 Depth=1
	s_delay_alu instid0(SALU_CYCLE_1)
	s_or_b32 exec_lo, exec_lo, s16
.LBB294_562:                            ;   in Loop: Header=BB294_10 Depth=1
	s_delay_alu instid0(SALU_CYCLE_1) | instskip(SKIP_3) | instid1(VALU_DEP_2)
	s_or_b32 exec_lo, exec_lo, s15
	v_lshrrev_b16 v24, 8, v24
	v_dual_mov_b32 v61, 0 :: v_dual_mov_b32 v40, 0
	s_mov_b32 s15, exec_lo
	v_cmpx_ne_u16_e32 0, v24
	s_cbranch_execz .LBB294_570
; %bb.563:                              ;   in Loop: Header=BB294_10 Depth=1
	v_bfrev_b32_e32 v40, 1
	s_mov_b32 s16, exec_lo
	v_cmpx_ne_u16_e32 0x80, v24
	s_cbranch_execz .LBB294_569
; %bb.564:                              ;   in Loop: Header=BB294_10 Depth=1
	v_and_b32_e32 v0, 0xffff, v24
	v_mov_b32_e32 v40, 0x7c010000
	s_mov_b32 s17, exec_lo
	s_delay_alu instid0(VALU_DEP_2) | instskip(NEXT) | instid1(VALU_DEP_1)
	v_and_b32_e32 v7, 0x7f, v0
	v_cmpx_ne_u32_e32 0x7f, v7
	s_cbranch_execz .LBB294_568
; %bb.565:                              ;   in Loop: Header=BB294_10 Depth=1
	v_dual_lshrrev_b32 v6, 3, v7 :: v_dual_bitop2_b32 v1, 7, v0 bitop3:0x40
	s_mov_b32 s18, exec_lo
	v_cmpx_gt_u32_e32 8, v7
; %bb.566:                              ;   in Loop: Header=BB294_10 Depth=1
	s_delay_alu instid0(VALU_DEP_2) | instskip(NEXT) | instid1(VALU_DEP_1)
	v_clz_i32_u32_e32 v1, v1
	v_min_u32_e32 v1, 32, v1
	s_delay_alu instid0(VALU_DEP_1) | instskip(NEXT) | instid1(VALU_DEP_1)
	v_subrev_nc_u32_e32 v6, 28, v1
	v_lshlrev_b64_e32 v[8:9], v6, v[24:25]
	s_delay_alu instid0(VALU_DEP_1)
	v_dual_sub_nc_u32 v6, 29, v1 :: v_dual_bitop2_b32 v1, 7, v8 bitop3:0x40
; %bb.567:                              ;   in Loop: Header=BB294_10 Depth=1
	s_or_b32 exec_lo, exec_lo, s18
	s_delay_alu instid0(VALU_DEP_1) | instskip(NEXT) | instid1(VALU_DEP_2)
	v_dual_lshlrev_b32 v0, 8, v0 :: v_dual_lshlrev_b32 v1, 23, v1
	v_lshl_add_u32 v6, v6, 10, 0x2000
	s_delay_alu instid0(VALU_DEP_1) | instskip(NEXT) | instid1(VALU_DEP_1)
	v_and_or_b32 v0, 0x8000, v0, v6
	v_lshl_or_b32 v40, v0, 16, v1
.LBB294_568:                            ;   in Loop: Header=BB294_10 Depth=1
	s_or_b32 exec_lo, exec_lo, s17
.LBB294_569:                            ;   in Loop: Header=BB294_10 Depth=1
	s_delay_alu instid0(SALU_CYCLE_1)
	s_or_b32 exec_lo, exec_lo, s16
.LBB294_570:                            ;   in Loop: Header=BB294_10 Depth=1
	s_delay_alu instid0(SALU_CYCLE_1) | instskip(SKIP_2) | instid1(VALU_DEP_1)
	s_or_b32 exec_lo, exec_lo, s15
	v_lshrrev_b32_e32 v8, 16, v5
	s_mov_b32 s15, exec_lo
	v_and_b32_e32 v0, 0xff, v8
	s_delay_alu instid0(VALU_DEP_1)
	v_cmpx_ne_u16_e32 0, v0
	s_cbranch_execz .LBB294_578
; %bb.571:                              ;   in Loop: Header=BB294_10 Depth=1
	v_mov_b32_e32 v61, 0x8000
	s_mov_b32 s16, exec_lo
	v_cmpx_ne_u16_e32 0x80, v0
	s_cbranch_execz .LBB294_577
; %bb.572:                              ;   in Loop: Header=BB294_10 Depth=1
	v_bfe_u32 v6, v5, 16, 7
	v_mov_b32_e32 v61, 0x7c01
	s_mov_b32 s17, exec_lo
	s_delay_alu instid0(VALU_DEP_2)
	v_cmpx_ne_u32_e32 0x7f, v6
	s_cbranch_execz .LBB294_576
; %bb.573:                              ;   in Loop: Header=BB294_10 Depth=1
	v_dual_lshrrev_b32 v1, 3, v6 :: v_dual_bitop2_b32 v0, 7, v8 bitop3:0x40
	s_mov_b32 s18, exec_lo
	v_cmpx_gt_u32_e32 8, v6
; %bb.574:                              ;   in Loop: Header=BB294_10 Depth=1
	s_delay_alu instid0(VALU_DEP_2) | instskip(NEXT) | instid1(VALU_DEP_1)
	v_clz_i32_u32_e32 v0, v0
	v_min_u32_e32 v6, 32, v0
	s_delay_alu instid0(VALU_DEP_1) | instskip(NEXT) | instid1(VALU_DEP_1)
	v_subrev_nc_u32_e32 v0, 28, v6
	v_lshlrev_b64_e32 v[0:1], v0, v[8:9]
	s_delay_alu instid0(VALU_DEP_1)
	v_dual_sub_nc_u32 v1, 29, v6 :: v_dual_bitop2_b32 v0, 7, v0 bitop3:0x40
; %bb.575:                              ;   in Loop: Header=BB294_10 Depth=1
	s_or_b32 exec_lo, exec_lo, s18
	v_lshlrev_b32_e32 v6, 8, v8
	s_delay_alu instid0(VALU_DEP_2) | instskip(NEXT) | instid1(VALU_DEP_3)
	v_lshl_add_u32 v1, v1, 10, 0x2000
	v_lshlrev_b32_e32 v0, 7, v0
	s_delay_alu instid0(VALU_DEP_3) | instskip(NEXT) | instid1(VALU_DEP_3)
	v_and_b32_e32 v6, 0x8000, v6
	v_and_b32_e32 v1, 0xfc00, v1
	s_delay_alu instid0(VALU_DEP_1)
	v_or3_b32 v61, v6, v1, v0
.LBB294_576:                            ;   in Loop: Header=BB294_10 Depth=1
	s_or_b32 exec_lo, exec_lo, s17
.LBB294_577:                            ;   in Loop: Header=BB294_10 Depth=1
	s_delay_alu instid0(SALU_CYCLE_1)
	s_or_b32 exec_lo, exec_lo, s16
.LBB294_578:                            ;   in Loop: Header=BB294_10 Depth=1
	s_delay_alu instid0(SALU_CYCLE_1)
	s_or_b32 exec_lo, exec_lo, s15
	v_dual_mov_b32 v12, 0 :: v_dual_mov_b32 v58, 0
	s_mov_b32 s15, exec_lo
	v_cmpx_lt_u64_e64 s[2:3], v[4:5]
	s_cbranch_execz .LBB294_586
; %bb.579:                              ;   in Loop: Header=BB294_10 Depth=1
	v_lshrrev_b32_e32 v24, 24, v5
	v_bfrev_b32_e32 v58, 1
	s_mov_b32 s16, exec_lo
	s_delay_alu instid0(VALU_DEP_2)
	v_cmpx_ne_u32_e32 0x80, v24
	s_cbranch_execz .LBB294_585
; %bb.580:                              ;   in Loop: Header=BB294_10 Depth=1
	v_and_b32_e32 v4, 0x7f, v24
	v_mov_b32_e32 v58, 0x7c010000
	s_mov_b32 s17, exec_lo
	s_delay_alu instid0(VALU_DEP_2)
	v_cmpx_ne_u32_e32 0x7f, v4
	s_cbranch_execz .LBB294_584
; %bb.581:                              ;   in Loop: Header=BB294_10 Depth=1
	v_and_b32_e32 v0, 7, v24
	v_lshrrev_b32_e32 v1, 3, v4
	s_mov_b32 s18, exec_lo
	v_cmpx_gt_u32_e32 8, v4
; %bb.582:                              ;   in Loop: Header=BB294_10 Depth=1
	s_delay_alu instid0(VALU_DEP_3) | instskip(NEXT) | instid1(VALU_DEP_1)
	v_clz_i32_u32_e32 v0, v0
	v_min_u32_e32 v4, 32, v0
	s_delay_alu instid0(VALU_DEP_1) | instskip(NEXT) | instid1(VALU_DEP_1)
	v_subrev_nc_u32_e32 v0, 28, v4
	v_lshlrev_b64_e32 v[0:1], v0, v[24:25]
	v_sub_nc_u32_e32 v1, 29, v4
	s_delay_alu instid0(VALU_DEP_2)
	v_and_b32_e32 v0, 7, v0
; %bb.583:                              ;   in Loop: Header=BB294_10 Depth=1
	s_or_b32 exec_lo, exec_lo, s18
	v_lshlrev_b32_e32 v4, 8, v24
	s_delay_alu instid0(VALU_DEP_3) | instskip(NEXT) | instid1(VALU_DEP_3)
	v_lshl_add_u32 v1, v1, 10, 0x2000
	v_lshlrev_b32_e32 v0, 23, v0
	s_delay_alu instid0(VALU_DEP_2) | instskip(NEXT) | instid1(VALU_DEP_1)
	v_and_or_b32 v1, 0x8000, v4, v1
	v_lshl_or_b32 v58, v1, 16, v0
.LBB294_584:                            ;   in Loop: Header=BB294_10 Depth=1
	s_or_b32 exec_lo, exec_lo, s17
.LBB294_585:                            ;   in Loop: Header=BB294_10 Depth=1
	s_delay_alu instid0(SALU_CYCLE_1)
	s_or_b32 exec_lo, exec_lo, s16
.LBB294_586:                            ;   in Loop: Header=BB294_10 Depth=1
	s_delay_alu instid0(SALU_CYCLE_1)
	s_or_b32 exec_lo, exec_lo, s15
	flat_load_b64 v[4:5], v[2:3] offset:2056
	s_mov_b32 s15, exec_lo
	s_wait_loadcnt_dscnt 0x0
	v_and_b32_e32 v0, 0xff, v4
	s_wait_xcnt 0x0
	s_delay_alu instid0(VALU_DEP_1)
	v_cmpx_ne_u16_e32 0, v0
	s_cbranch_execz .LBB294_594
; %bb.587:                              ;   in Loop: Header=BB294_10 Depth=1
	v_mov_b32_e32 v12, 0x8000
	s_mov_b32 s16, exec_lo
	v_cmpx_ne_u16_e32 0x80, v0
	s_cbranch_execz .LBB294_593
; %bb.588:                              ;   in Loop: Header=BB294_10 Depth=1
	v_and_b32_e32 v6, 0x7f, v4
	v_mov_b32_e32 v12, 0x7c01
	s_mov_b32 s17, exec_lo
	s_delay_alu instid0(VALU_DEP_2)
	v_cmpx_ne_u32_e32 0x7f, v6
	s_cbranch_execz .LBB294_592
; %bb.589:                              ;   in Loop: Header=BB294_10 Depth=1
	v_dual_lshrrev_b32 v1, 3, v6 :: v_dual_bitop2_b32 v0, 7, v4 bitop3:0x40
	s_mov_b32 s18, exec_lo
	v_cmpx_gt_u32_e32 8, v6
; %bb.590:                              ;   in Loop: Header=BB294_10 Depth=1
	s_delay_alu instid0(VALU_DEP_2) | instskip(NEXT) | instid1(VALU_DEP_1)
	v_clz_i32_u32_e32 v0, v0
	v_min_u32_e32 v6, 32, v0
	s_delay_alu instid0(VALU_DEP_1) | instskip(NEXT) | instid1(VALU_DEP_1)
	v_subrev_nc_u32_e32 v0, 28, v6
	v_lshlrev_b64_e32 v[0:1], v0, v[4:5]
	s_delay_alu instid0(VALU_DEP_1)
	v_dual_sub_nc_u32 v1, 29, v6 :: v_dual_bitop2_b32 v0, 7, v0 bitop3:0x40
; %bb.591:                              ;   in Loop: Header=BB294_10 Depth=1
	s_or_b32 exec_lo, exec_lo, s18
	v_lshlrev_b32_e32 v6, 8, v4
	s_delay_alu instid0(VALU_DEP_2) | instskip(NEXT) | instid1(VALU_DEP_3)
	v_lshl_add_u32 v1, v1, 10, 0x2000
	v_lshlrev_b32_e32 v0, 7, v0
	s_delay_alu instid0(VALU_DEP_3) | instskip(NEXT) | instid1(VALU_DEP_3)
	v_and_b32_e32 v6, 0x8000, v6
	v_and_b32_e32 v1, 0xfc00, v1
	s_delay_alu instid0(VALU_DEP_1)
	v_or3_b32 v12, v6, v1, v0
.LBB294_592:                            ;   in Loop: Header=BB294_10 Depth=1
	s_or_b32 exec_lo, exec_lo, s17
.LBB294_593:                            ;   in Loop: Header=BB294_10 Depth=1
	s_delay_alu instid0(SALU_CYCLE_1)
	s_or_b32 exec_lo, exec_lo, s16
.LBB294_594:                            ;   in Loop: Header=BB294_10 Depth=1
	s_delay_alu instid0(SALU_CYCLE_1) | instskip(SKIP_3) | instid1(VALU_DEP_2)
	s_or_b32 exec_lo, exec_lo, s15
	v_lshrrev_b16 v24, 8, v4
	v_dual_mov_b32 v115, 0 :: v_dual_mov_b32 v59, 0
	s_mov_b32 s15, exec_lo
	v_cmpx_ne_u16_e32 0, v24
	s_cbranch_execz .LBB294_602
; %bb.595:                              ;   in Loop: Header=BB294_10 Depth=1
	v_bfrev_b32_e32 v59, 1
	s_mov_b32 s16, exec_lo
	v_cmpx_ne_u16_e32 0x80, v24
	s_cbranch_execz .LBB294_601
; %bb.596:                              ;   in Loop: Header=BB294_10 Depth=1
	v_and_b32_e32 v0, 0xffff, v24
	v_mov_b32_e32 v59, 0x7c010000
	s_mov_b32 s17, exec_lo
	s_delay_alu instid0(VALU_DEP_2) | instskip(NEXT) | instid1(VALU_DEP_1)
	v_and_b32_e32 v7, 0x7f, v0
	v_cmpx_ne_u32_e32 0x7f, v7
	s_cbranch_execz .LBB294_600
; %bb.597:                              ;   in Loop: Header=BB294_10 Depth=1
	v_dual_lshrrev_b32 v6, 3, v7 :: v_dual_bitop2_b32 v1, 7, v0 bitop3:0x40
	s_mov_b32 s18, exec_lo
	v_cmpx_gt_u32_e32 8, v7
; %bb.598:                              ;   in Loop: Header=BB294_10 Depth=1
	s_delay_alu instid0(VALU_DEP_2) | instskip(NEXT) | instid1(VALU_DEP_1)
	v_clz_i32_u32_e32 v1, v1
	v_min_u32_e32 v1, 32, v1
	s_delay_alu instid0(VALU_DEP_1) | instskip(NEXT) | instid1(VALU_DEP_1)
	v_subrev_nc_u32_e32 v6, 28, v1
	v_lshlrev_b64_e32 v[8:9], v6, v[24:25]
	s_delay_alu instid0(VALU_DEP_1)
	v_dual_sub_nc_u32 v6, 29, v1 :: v_dual_bitop2_b32 v1, 7, v8 bitop3:0x40
; %bb.599:                              ;   in Loop: Header=BB294_10 Depth=1
	s_or_b32 exec_lo, exec_lo, s18
	s_delay_alu instid0(VALU_DEP_1) | instskip(NEXT) | instid1(VALU_DEP_2)
	v_dual_lshlrev_b32 v0, 8, v0 :: v_dual_lshlrev_b32 v1, 23, v1
	v_lshl_add_u32 v6, v6, 10, 0x2000
	s_delay_alu instid0(VALU_DEP_1) | instskip(NEXT) | instid1(VALU_DEP_1)
	v_and_or_b32 v0, 0x8000, v0, v6
	v_lshl_or_b32 v59, v0, 16, v1
.LBB294_600:                            ;   in Loop: Header=BB294_10 Depth=1
	s_or_b32 exec_lo, exec_lo, s17
.LBB294_601:                            ;   in Loop: Header=BB294_10 Depth=1
	s_delay_alu instid0(SALU_CYCLE_1)
	s_or_b32 exec_lo, exec_lo, s16
.LBB294_602:                            ;   in Loop: Header=BB294_10 Depth=1
	s_delay_alu instid0(SALU_CYCLE_1) | instskip(SKIP_2) | instid1(VALU_DEP_1)
	s_or_b32 exec_lo, exec_lo, s15
	v_lshrrev_b32_e32 v8, 16, v4
	s_mov_b32 s15, exec_lo
	v_and_b32_e32 v0, 0xff, v8
	s_delay_alu instid0(VALU_DEP_1)
	v_cmpx_ne_u16_e32 0, v0
	s_cbranch_execz .LBB294_610
; %bb.603:                              ;   in Loop: Header=BB294_10 Depth=1
	v_mov_b32_e32 v115, 0x8000
	s_mov_b32 s16, exec_lo
	v_cmpx_ne_u16_e32 0x80, v0
	s_cbranch_execz .LBB294_609
; %bb.604:                              ;   in Loop: Header=BB294_10 Depth=1
	v_bfe_u32 v6, v4, 16, 7
	v_mov_b32_e32 v115, 0x7c01
	s_mov_b32 s17, exec_lo
	s_delay_alu instid0(VALU_DEP_2)
	v_cmpx_ne_u32_e32 0x7f, v6
	s_cbranch_execz .LBB294_608
; %bb.605:                              ;   in Loop: Header=BB294_10 Depth=1
	v_dual_lshrrev_b32 v1, 3, v6 :: v_dual_bitop2_b32 v0, 7, v8 bitop3:0x40
	s_mov_b32 s18, exec_lo
	v_cmpx_gt_u32_e32 8, v6
; %bb.606:                              ;   in Loop: Header=BB294_10 Depth=1
	s_delay_alu instid0(VALU_DEP_2) | instskip(NEXT) | instid1(VALU_DEP_1)
	v_clz_i32_u32_e32 v0, v0
	v_min_u32_e32 v6, 32, v0
	s_delay_alu instid0(VALU_DEP_1) | instskip(NEXT) | instid1(VALU_DEP_1)
	v_subrev_nc_u32_e32 v0, 28, v6
	v_lshlrev_b64_e32 v[0:1], v0, v[8:9]
	s_delay_alu instid0(VALU_DEP_1)
	v_dual_sub_nc_u32 v1, 29, v6 :: v_dual_bitop2_b32 v0, 7, v0 bitop3:0x40
; %bb.607:                              ;   in Loop: Header=BB294_10 Depth=1
	s_or_b32 exec_lo, exec_lo, s18
	v_lshlrev_b32_e32 v6, 8, v8
	s_delay_alu instid0(VALU_DEP_2) | instskip(NEXT) | instid1(VALU_DEP_3)
	v_lshl_add_u32 v1, v1, 10, 0x2000
	v_lshlrev_b32_e32 v0, 7, v0
	s_delay_alu instid0(VALU_DEP_3) | instskip(NEXT) | instid1(VALU_DEP_3)
	v_and_b32_e32 v6, 0x8000, v6
	v_and_b32_e32 v1, 0xfc00, v1
	s_delay_alu instid0(VALU_DEP_1)
	v_or3_b32 v115, v6, v1, v0
.LBB294_608:                            ;   in Loop: Header=BB294_10 Depth=1
	s_or_b32 exec_lo, exec_lo, s17
.LBB294_609:                            ;   in Loop: Header=BB294_10 Depth=1
	s_delay_alu instid0(SALU_CYCLE_1)
	s_or_b32 exec_lo, exec_lo, s16
.LBB294_610:                            ;   in Loop: Header=BB294_10 Depth=1
	s_delay_alu instid0(SALU_CYCLE_1)
	s_or_b32 exec_lo, exec_lo, s15
	v_dual_mov_b32 v125, 0 :: v_dual_mov_b32 v62, 0
	s_mov_b32 s15, exec_lo
	v_cmpx_lt_u32_e32 0xffffff, v4
	s_cbranch_execz .LBB294_618
; %bb.611:                              ;   in Loop: Header=BB294_10 Depth=1
	v_lshrrev_b32_e32 v24, 24, v4
	v_bfrev_b32_e32 v62, 1
	s_mov_b32 s16, exec_lo
	s_delay_alu instid0(VALU_DEP_2)
	v_cmpx_ne_u32_e32 0x80, v24
	s_cbranch_execz .LBB294_617
; %bb.612:                              ;   in Loop: Header=BB294_10 Depth=1
	v_and_b32_e32 v6, 0x7f, v24
	v_mov_b32_e32 v62, 0x7c010000
	s_mov_b32 s17, exec_lo
	s_delay_alu instid0(VALU_DEP_2)
	v_cmpx_ne_u32_e32 0x7f, v6
	s_cbranch_execz .LBB294_616
; %bb.613:                              ;   in Loop: Header=BB294_10 Depth=1
	v_dual_lshrrev_b32 v1, 3, v6 :: v_dual_bitop2_b32 v0, 7, v24 bitop3:0x40
	s_mov_b32 s18, exec_lo
	v_cmpx_gt_u32_e32 8, v6
; %bb.614:                              ;   in Loop: Header=BB294_10 Depth=1
	s_delay_alu instid0(VALU_DEP_2) | instskip(NEXT) | instid1(VALU_DEP_1)
	v_clz_i32_u32_e32 v0, v0
	v_min_u32_e32 v6, 32, v0
	s_delay_alu instid0(VALU_DEP_1) | instskip(NEXT) | instid1(VALU_DEP_1)
	v_subrev_nc_u32_e32 v0, 28, v6
	v_lshlrev_b64_e32 v[0:1], v0, v[24:25]
	s_delay_alu instid0(VALU_DEP_1)
	v_dual_sub_nc_u32 v1, 29, v6 :: v_dual_bitop2_b32 v0, 7, v0 bitop3:0x40
; %bb.615:                              ;   in Loop: Header=BB294_10 Depth=1
	s_or_b32 exec_lo, exec_lo, s18
	v_lshlrev_b32_e32 v6, 8, v24
	s_delay_alu instid0(VALU_DEP_2) | instskip(NEXT) | instid1(VALU_DEP_3)
	v_lshl_add_u32 v1, v1, 10, 0x2000
	v_lshlrev_b32_e32 v0, 23, v0
	s_delay_alu instid0(VALU_DEP_2) | instskip(NEXT) | instid1(VALU_DEP_1)
	v_and_or_b32 v1, 0x8000, v6, v1
	v_lshl_or_b32 v62, v1, 16, v0
.LBB294_616:                            ;   in Loop: Header=BB294_10 Depth=1
	s_or_b32 exec_lo, exec_lo, s17
.LBB294_617:                            ;   in Loop: Header=BB294_10 Depth=1
	s_delay_alu instid0(SALU_CYCLE_1)
	s_or_b32 exec_lo, exec_lo, s16
.LBB294_618:                            ;   in Loop: Header=BB294_10 Depth=1
	s_delay_alu instid0(SALU_CYCLE_1) | instskip(SKIP_3) | instid1(VALU_DEP_2)
	s_or_b32 exec_lo, exec_lo, s15
	v_and_b32_e32 v0, 0xff, v5
	v_mov_b32_e32 v24, v5
	s_mov_b32 s15, exec_lo
	v_cmpx_ne_u16_e32 0, v0
	s_cbranch_execz .LBB294_626
; %bb.619:                              ;   in Loop: Header=BB294_10 Depth=1
	v_mov_b32_e32 v125, 0x8000
	s_mov_b32 s16, exec_lo
	v_cmpx_ne_u16_e32 0x80, v0
	s_cbranch_execz .LBB294_625
; %bb.620:                              ;   in Loop: Header=BB294_10 Depth=1
	v_and_b32_e32 v6, 0x7f, v5
	v_mov_b32_e32 v125, 0x7c01
	s_mov_b32 s17, exec_lo
	s_delay_alu instid0(VALU_DEP_2)
	v_cmpx_ne_u32_e32 0x7f, v6
	s_cbranch_execz .LBB294_624
; %bb.621:                              ;   in Loop: Header=BB294_10 Depth=1
	v_dual_lshrrev_b32 v1, 3, v6 :: v_dual_bitop2_b32 v0, 7, v5 bitop3:0x40
	s_mov_b32 s18, exec_lo
	v_cmpx_gt_u32_e32 8, v6
; %bb.622:                              ;   in Loop: Header=BB294_10 Depth=1
	s_delay_alu instid0(VALU_DEP_2) | instskip(NEXT) | instid1(VALU_DEP_1)
	v_clz_i32_u32_e32 v0, v0
	v_min_u32_e32 v6, 32, v0
	s_delay_alu instid0(VALU_DEP_1) | instskip(NEXT) | instid1(VALU_DEP_1)
	v_subrev_nc_u32_e32 v0, 28, v6
	v_lshlrev_b64_e32 v[0:1], v0, v[24:25]
	s_delay_alu instid0(VALU_DEP_1)
	v_dual_sub_nc_u32 v1, 29, v6 :: v_dual_bitop2_b32 v0, 7, v0 bitop3:0x40
; %bb.623:                              ;   in Loop: Header=BB294_10 Depth=1
	s_or_b32 exec_lo, exec_lo, s18
	s_delay_alu instid0(VALU_DEP_1) | instskip(NEXT) | instid1(VALU_DEP_2)
	v_dual_lshlrev_b32 v6, 8, v5 :: v_dual_lshlrev_b32 v0, 7, v0
	v_lshl_add_u32 v1, v1, 10, 0x2000
	s_delay_alu instid0(VALU_DEP_2) | instskip(NEXT) | instid1(VALU_DEP_2)
	v_and_b32_e32 v6, 0x8000, v6
	v_and_b32_e32 v1, 0xfc00, v1
	s_delay_alu instid0(VALU_DEP_1)
	v_or3_b32 v125, v6, v1, v0
.LBB294_624:                            ;   in Loop: Header=BB294_10 Depth=1
	s_or_b32 exec_lo, exec_lo, s17
.LBB294_625:                            ;   in Loop: Header=BB294_10 Depth=1
	s_delay_alu instid0(SALU_CYCLE_1)
	s_or_b32 exec_lo, exec_lo, s16
.LBB294_626:                            ;   in Loop: Header=BB294_10 Depth=1
	s_delay_alu instid0(SALU_CYCLE_1) | instskip(SKIP_3) | instid1(VALU_DEP_2)
	s_or_b32 exec_lo, exec_lo, s15
	v_lshrrev_b16 v24, 8, v24
	v_dual_mov_b32 v74, 0 :: v_dual_mov_b32 v63, 0
	s_mov_b32 s15, exec_lo
	v_cmpx_ne_u16_e32 0, v24
	s_cbranch_execz .LBB294_634
; %bb.627:                              ;   in Loop: Header=BB294_10 Depth=1
	v_bfrev_b32_e32 v63, 1
	s_mov_b32 s16, exec_lo
	v_cmpx_ne_u16_e32 0x80, v24
	s_cbranch_execz .LBB294_633
; %bb.628:                              ;   in Loop: Header=BB294_10 Depth=1
	v_and_b32_e32 v0, 0xffff, v24
	v_mov_b32_e32 v63, 0x7c010000
	s_mov_b32 s17, exec_lo
	s_delay_alu instid0(VALU_DEP_2) | instskip(NEXT) | instid1(VALU_DEP_1)
	v_and_b32_e32 v7, 0x7f, v0
	v_cmpx_ne_u32_e32 0x7f, v7
	s_cbranch_execz .LBB294_632
; %bb.629:                              ;   in Loop: Header=BB294_10 Depth=1
	v_dual_lshrrev_b32 v6, 3, v7 :: v_dual_bitop2_b32 v1, 7, v0 bitop3:0x40
	s_mov_b32 s18, exec_lo
	v_cmpx_gt_u32_e32 8, v7
; %bb.630:                              ;   in Loop: Header=BB294_10 Depth=1
	s_delay_alu instid0(VALU_DEP_2) | instskip(NEXT) | instid1(VALU_DEP_1)
	v_clz_i32_u32_e32 v1, v1
	v_min_u32_e32 v1, 32, v1
	s_delay_alu instid0(VALU_DEP_1) | instskip(NEXT) | instid1(VALU_DEP_1)
	v_subrev_nc_u32_e32 v6, 28, v1
	v_lshlrev_b64_e32 v[8:9], v6, v[24:25]
	s_delay_alu instid0(VALU_DEP_1)
	v_dual_sub_nc_u32 v6, 29, v1 :: v_dual_bitop2_b32 v1, 7, v8 bitop3:0x40
; %bb.631:                              ;   in Loop: Header=BB294_10 Depth=1
	s_or_b32 exec_lo, exec_lo, s18
	s_delay_alu instid0(VALU_DEP_1) | instskip(NEXT) | instid1(VALU_DEP_2)
	v_dual_lshlrev_b32 v0, 8, v0 :: v_dual_lshlrev_b32 v1, 23, v1
	v_lshl_add_u32 v6, v6, 10, 0x2000
	s_delay_alu instid0(VALU_DEP_1) | instskip(NEXT) | instid1(VALU_DEP_1)
	v_and_or_b32 v0, 0x8000, v0, v6
	v_lshl_or_b32 v63, v0, 16, v1
.LBB294_632:                            ;   in Loop: Header=BB294_10 Depth=1
	s_or_b32 exec_lo, exec_lo, s17
.LBB294_633:                            ;   in Loop: Header=BB294_10 Depth=1
	s_delay_alu instid0(SALU_CYCLE_1)
	s_or_b32 exec_lo, exec_lo, s16
.LBB294_634:                            ;   in Loop: Header=BB294_10 Depth=1
	s_delay_alu instid0(SALU_CYCLE_1) | instskip(SKIP_2) | instid1(VALU_DEP_1)
	s_or_b32 exec_lo, exec_lo, s15
	v_lshrrev_b32_e32 v8, 16, v5
	s_mov_b32 s15, exec_lo
	v_and_b32_e32 v0, 0xff, v8
	s_delay_alu instid0(VALU_DEP_1)
	v_cmpx_ne_u16_e32 0, v0
	s_cbranch_execz .LBB294_642
; %bb.635:                              ;   in Loop: Header=BB294_10 Depth=1
	v_mov_b32_e32 v74, 0x8000
	s_mov_b32 s16, exec_lo
	v_cmpx_ne_u16_e32 0x80, v0
	s_cbranch_execz .LBB294_641
; %bb.636:                              ;   in Loop: Header=BB294_10 Depth=1
	v_bfe_u32 v6, v5, 16, 7
	v_mov_b32_e32 v74, 0x7c01
	s_mov_b32 s17, exec_lo
	s_delay_alu instid0(VALU_DEP_2)
	v_cmpx_ne_u32_e32 0x7f, v6
	s_cbranch_execz .LBB294_640
; %bb.637:                              ;   in Loop: Header=BB294_10 Depth=1
	v_dual_lshrrev_b32 v1, 3, v6 :: v_dual_bitop2_b32 v0, 7, v8 bitop3:0x40
	s_mov_b32 s18, exec_lo
	v_cmpx_gt_u32_e32 8, v6
; %bb.638:                              ;   in Loop: Header=BB294_10 Depth=1
	s_delay_alu instid0(VALU_DEP_2) | instskip(NEXT) | instid1(VALU_DEP_1)
	v_clz_i32_u32_e32 v0, v0
	v_min_u32_e32 v6, 32, v0
	s_delay_alu instid0(VALU_DEP_1) | instskip(NEXT) | instid1(VALU_DEP_1)
	v_subrev_nc_u32_e32 v0, 28, v6
	v_lshlrev_b64_e32 v[0:1], v0, v[8:9]
	s_delay_alu instid0(VALU_DEP_1)
	v_dual_sub_nc_u32 v1, 29, v6 :: v_dual_bitop2_b32 v0, 7, v0 bitop3:0x40
; %bb.639:                              ;   in Loop: Header=BB294_10 Depth=1
	s_or_b32 exec_lo, exec_lo, s18
	v_lshlrev_b32_e32 v6, 8, v8
	s_delay_alu instid0(VALU_DEP_2) | instskip(NEXT) | instid1(VALU_DEP_3)
	v_lshl_add_u32 v1, v1, 10, 0x2000
	v_lshlrev_b32_e32 v0, 7, v0
	s_delay_alu instid0(VALU_DEP_3) | instskip(NEXT) | instid1(VALU_DEP_3)
	v_and_b32_e32 v6, 0x8000, v6
	v_and_b32_e32 v1, 0xfc00, v1
	s_delay_alu instid0(VALU_DEP_1)
	v_or3_b32 v74, v6, v1, v0
.LBB294_640:                            ;   in Loop: Header=BB294_10 Depth=1
	s_or_b32 exec_lo, exec_lo, s17
.LBB294_641:                            ;   in Loop: Header=BB294_10 Depth=1
	s_delay_alu instid0(SALU_CYCLE_1)
	s_or_b32 exec_lo, exec_lo, s16
.LBB294_642:                            ;   in Loop: Header=BB294_10 Depth=1
	s_delay_alu instid0(SALU_CYCLE_1)
	s_or_b32 exec_lo, exec_lo, s15
	v_dual_mov_b32 v19, 0 :: v_dual_mov_b32 v18, 0
	s_mov_b32 s15, exec_lo
	v_cmpx_lt_u64_e64 s[2:3], v[4:5]
	s_cbranch_execz .LBB294_650
; %bb.643:                              ;   in Loop: Header=BB294_10 Depth=1
	v_lshrrev_b32_e32 v24, 24, v5
	v_bfrev_b32_e32 v18, 1
	s_mov_b32 s16, exec_lo
	s_delay_alu instid0(VALU_DEP_2)
	v_cmpx_ne_u32_e32 0x80, v24
	s_cbranch_execz .LBB294_649
; %bb.644:                              ;   in Loop: Header=BB294_10 Depth=1
	v_and_b32_e32 v4, 0x7f, v24
	v_mov_b32_e32 v18, 0x7c010000
	s_mov_b32 s17, exec_lo
	s_delay_alu instid0(VALU_DEP_2)
	v_cmpx_ne_u32_e32 0x7f, v4
	s_cbranch_execz .LBB294_648
; %bb.645:                              ;   in Loop: Header=BB294_10 Depth=1
	v_and_b32_e32 v0, 7, v24
	v_lshrrev_b32_e32 v1, 3, v4
	s_mov_b32 s18, exec_lo
	v_cmpx_gt_u32_e32 8, v4
; %bb.646:                              ;   in Loop: Header=BB294_10 Depth=1
	s_delay_alu instid0(VALU_DEP_3) | instskip(NEXT) | instid1(VALU_DEP_1)
	v_clz_i32_u32_e32 v0, v0
	v_min_u32_e32 v4, 32, v0
	s_delay_alu instid0(VALU_DEP_1) | instskip(NEXT) | instid1(VALU_DEP_1)
	v_subrev_nc_u32_e32 v0, 28, v4
	v_lshlrev_b64_e32 v[0:1], v0, v[24:25]
	v_sub_nc_u32_e32 v1, 29, v4
	s_delay_alu instid0(VALU_DEP_2)
	v_and_b32_e32 v0, 7, v0
; %bb.647:                              ;   in Loop: Header=BB294_10 Depth=1
	s_or_b32 exec_lo, exec_lo, s18
	v_lshlrev_b32_e32 v4, 8, v24
	s_delay_alu instid0(VALU_DEP_3) | instskip(NEXT) | instid1(VALU_DEP_3)
	v_lshl_add_u32 v1, v1, 10, 0x2000
	v_lshlrev_b32_e32 v0, 23, v0
	s_delay_alu instid0(VALU_DEP_2) | instskip(NEXT) | instid1(VALU_DEP_1)
	v_and_or_b32 v1, 0x8000, v4, v1
	v_lshl_or_b32 v18, v1, 16, v0
.LBB294_648:                            ;   in Loop: Header=BB294_10 Depth=1
	s_or_b32 exec_lo, exec_lo, s17
.LBB294_649:                            ;   in Loop: Header=BB294_10 Depth=1
	s_delay_alu instid0(SALU_CYCLE_1)
	s_or_b32 exec_lo, exec_lo, s16
.LBB294_650:                            ;   in Loop: Header=BB294_10 Depth=1
	s_delay_alu instid0(SALU_CYCLE_1)
	s_or_b32 exec_lo, exec_lo, s15
	flat_load_b64 v[4:5], v[2:3] offset:2560
	s_mov_b32 s15, exec_lo
	s_wait_loadcnt_dscnt 0x0
	v_and_b32_e32 v0, 0xff, v4
	s_wait_xcnt 0x0
	s_delay_alu instid0(VALU_DEP_1)
	v_cmpx_ne_u16_e32 0, v0
	s_cbranch_execz .LBB294_658
; %bb.651:                              ;   in Loop: Header=BB294_10 Depth=1
	v_mov_b32_e32 v19, 0x8000
	s_mov_b32 s16, exec_lo
	v_cmpx_ne_u16_e32 0x80, v0
	s_cbranch_execz .LBB294_657
; %bb.652:                              ;   in Loop: Header=BB294_10 Depth=1
	v_and_b32_e32 v6, 0x7f, v4
	v_mov_b32_e32 v19, 0x7c01
	s_mov_b32 s17, exec_lo
	s_delay_alu instid0(VALU_DEP_2)
	v_cmpx_ne_u32_e32 0x7f, v6
	s_cbranch_execz .LBB294_656
; %bb.653:                              ;   in Loop: Header=BB294_10 Depth=1
	v_dual_lshrrev_b32 v1, 3, v6 :: v_dual_bitop2_b32 v0, 7, v4 bitop3:0x40
	s_mov_b32 s18, exec_lo
	v_cmpx_gt_u32_e32 8, v6
; %bb.654:                              ;   in Loop: Header=BB294_10 Depth=1
	s_delay_alu instid0(VALU_DEP_2) | instskip(NEXT) | instid1(VALU_DEP_1)
	v_clz_i32_u32_e32 v0, v0
	v_min_u32_e32 v6, 32, v0
	s_delay_alu instid0(VALU_DEP_1) | instskip(NEXT) | instid1(VALU_DEP_1)
	v_subrev_nc_u32_e32 v0, 28, v6
	v_lshlrev_b64_e32 v[0:1], v0, v[4:5]
	s_delay_alu instid0(VALU_DEP_1)
	v_dual_sub_nc_u32 v1, 29, v6 :: v_dual_bitop2_b32 v0, 7, v0 bitop3:0x40
; %bb.655:                              ;   in Loop: Header=BB294_10 Depth=1
	s_or_b32 exec_lo, exec_lo, s18
	v_lshlrev_b32_e32 v6, 8, v4
	s_delay_alu instid0(VALU_DEP_2) | instskip(NEXT) | instid1(VALU_DEP_3)
	v_lshl_add_u32 v1, v1, 10, 0x2000
	v_lshlrev_b32_e32 v0, 7, v0
	s_delay_alu instid0(VALU_DEP_3) | instskip(NEXT) | instid1(VALU_DEP_3)
	v_and_b32_e32 v6, 0x8000, v6
	v_and_b32_e32 v1, 0xfc00, v1
	s_delay_alu instid0(VALU_DEP_1)
	v_or3_b32 v19, v6, v1, v0
.LBB294_656:                            ;   in Loop: Header=BB294_10 Depth=1
	s_or_b32 exec_lo, exec_lo, s17
.LBB294_657:                            ;   in Loop: Header=BB294_10 Depth=1
	s_delay_alu instid0(SALU_CYCLE_1)
	s_or_b32 exec_lo, exec_lo, s16
.LBB294_658:                            ;   in Loop: Header=BB294_10 Depth=1
	s_delay_alu instid0(SALU_CYCLE_1) | instskip(SKIP_3) | instid1(VALU_DEP_2)
	s_or_b32 exec_lo, exec_lo, s15
	v_lshrrev_b16 v24, 8, v4
	v_dual_mov_b32 v88, 0 :: v_dual_mov_b32 v9, 0
	s_mov_b32 s15, exec_lo
	v_cmpx_ne_u16_e32 0, v24
	s_cbranch_execz .LBB294_666
; %bb.659:                              ;   in Loop: Header=BB294_10 Depth=1
	v_bfrev_b32_e32 v9, 1
	s_mov_b32 s16, exec_lo
	v_cmpx_ne_u16_e32 0x80, v24
	s_cbranch_execz .LBB294_665
; %bb.660:                              ;   in Loop: Header=BB294_10 Depth=1
	v_and_b32_e32 v0, 0xffff, v24
	v_mov_b32_e32 v9, 0x7c010000
	s_mov_b32 s17, exec_lo
	s_delay_alu instid0(VALU_DEP_2) | instskip(NEXT) | instid1(VALU_DEP_1)
	v_and_b32_e32 v7, 0x7f, v0
	v_cmpx_ne_u32_e32 0x7f, v7
	s_cbranch_execz .LBB294_664
; %bb.661:                              ;   in Loop: Header=BB294_10 Depth=1
	v_dual_lshrrev_b32 v6, 3, v7 :: v_dual_bitop2_b32 v1, 7, v0 bitop3:0x40
	s_mov_b32 s18, exec_lo
	v_cmpx_gt_u32_e32 8, v7
; %bb.662:                              ;   in Loop: Header=BB294_10 Depth=1
	s_delay_alu instid0(VALU_DEP_2) | instskip(NEXT) | instid1(VALU_DEP_1)
	v_clz_i32_u32_e32 v1, v1
	v_min_u32_e32 v1, 32, v1
	s_delay_alu instid0(VALU_DEP_1) | instskip(NEXT) | instid1(VALU_DEP_1)
	v_subrev_nc_u32_e32 v6, 28, v1
	v_lshlrev_b64_e32 v[8:9], v6, v[24:25]
	s_delay_alu instid0(VALU_DEP_1)
	v_dual_sub_nc_u32 v6, 29, v1 :: v_dual_bitop2_b32 v1, 7, v8 bitop3:0x40
; %bb.663:                              ;   in Loop: Header=BB294_10 Depth=1
	s_or_b32 exec_lo, exec_lo, s18
	s_delay_alu instid0(VALU_DEP_1) | instskip(NEXT) | instid1(VALU_DEP_2)
	v_dual_lshlrev_b32 v0, 8, v0 :: v_dual_lshlrev_b32 v1, 23, v1
	v_lshl_add_u32 v6, v6, 10, 0x2000
	s_delay_alu instid0(VALU_DEP_1) | instskip(NEXT) | instid1(VALU_DEP_1)
	v_and_or_b32 v0, 0x8000, v0, v6
	v_lshl_or_b32 v9, v0, 16, v1
.LBB294_664:                            ;   in Loop: Header=BB294_10 Depth=1
	s_or_b32 exec_lo, exec_lo, s17
.LBB294_665:                            ;   in Loop: Header=BB294_10 Depth=1
	s_delay_alu instid0(SALU_CYCLE_1)
	s_or_b32 exec_lo, exec_lo, s16
.LBB294_666:                            ;   in Loop: Header=BB294_10 Depth=1
	s_delay_alu instid0(SALU_CYCLE_1) | instskip(SKIP_2) | instid1(VALU_DEP_1)
	s_or_b32 exec_lo, exec_lo, s15
	v_lshrrev_b32_e32 v8, 16, v4
	s_mov_b32 s15, exec_lo
	v_and_b32_e32 v0, 0xff, v8
	s_delay_alu instid0(VALU_DEP_1)
	v_cmpx_ne_u16_e32 0, v0
	s_cbranch_execz .LBB294_674
; %bb.667:                              ;   in Loop: Header=BB294_10 Depth=1
	v_mov_b32_e32 v88, 0x8000
	s_mov_b32 s16, exec_lo
	v_cmpx_ne_u16_e32 0x80, v0
	s_cbranch_execz .LBB294_673
; %bb.668:                              ;   in Loop: Header=BB294_10 Depth=1
	v_bfe_u32 v6, v4, 16, 7
	v_mov_b32_e32 v88, 0x7c01
	s_mov_b32 s17, exec_lo
	s_delay_alu instid0(VALU_DEP_2)
	v_cmpx_ne_u32_e32 0x7f, v6
	s_cbranch_execz .LBB294_672
; %bb.669:                              ;   in Loop: Header=BB294_10 Depth=1
	v_dual_lshrrev_b32 v1, 3, v6 :: v_dual_bitop2_b32 v0, 7, v8 bitop3:0x40
	s_mov_b32 s18, exec_lo
	v_cmpx_gt_u32_e32 8, v6
; %bb.670:                              ;   in Loop: Header=BB294_10 Depth=1
	s_delay_alu instid0(VALU_DEP_2) | instskip(NEXT) | instid1(VALU_DEP_1)
	v_clz_i32_u32_e32 v0, v0
	v_min_u32_e32 v6, 32, v0
	s_delay_alu instid0(VALU_DEP_1) | instskip(NEXT) | instid1(VALU_DEP_1)
	v_subrev_nc_u32_e32 v0, 28, v6
	v_lshlrev_b64_e32 v[0:1], v0, v[8:9]
	s_delay_alu instid0(VALU_DEP_1)
	v_dual_sub_nc_u32 v1, 29, v6 :: v_dual_bitop2_b32 v0, 7, v0 bitop3:0x40
; %bb.671:                              ;   in Loop: Header=BB294_10 Depth=1
	s_or_b32 exec_lo, exec_lo, s18
	v_lshlrev_b32_e32 v6, 8, v8
	s_delay_alu instid0(VALU_DEP_2) | instskip(NEXT) | instid1(VALU_DEP_3)
	v_lshl_add_u32 v1, v1, 10, 0x2000
	v_lshlrev_b32_e32 v0, 7, v0
	s_delay_alu instid0(VALU_DEP_3) | instskip(NEXT) | instid1(VALU_DEP_3)
	v_and_b32_e32 v6, 0x8000, v6
	v_and_b32_e32 v1, 0xfc00, v1
	s_delay_alu instid0(VALU_DEP_1)
	v_or3_b32 v88, v6, v1, v0
.LBB294_672:                            ;   in Loop: Header=BB294_10 Depth=1
	s_or_b32 exec_lo, exec_lo, s17
.LBB294_673:                            ;   in Loop: Header=BB294_10 Depth=1
	s_delay_alu instid0(SALU_CYCLE_1)
	s_or_b32 exec_lo, exec_lo, s16
.LBB294_674:                            ;   in Loop: Header=BB294_10 Depth=1
	s_delay_alu instid0(SALU_CYCLE_1)
	s_or_b32 exec_lo, exec_lo, s15
	v_dual_mov_b32 v21, 0 :: v_dual_mov_b32 v28, 0
	s_mov_b32 s15, exec_lo
	v_cmpx_lt_u32_e32 0xffffff, v4
	s_cbranch_execz .LBB294_682
; %bb.675:                              ;   in Loop: Header=BB294_10 Depth=1
	v_lshrrev_b32_e32 v24, 24, v4
	v_bfrev_b32_e32 v28, 1
	s_mov_b32 s16, exec_lo
	s_delay_alu instid0(VALU_DEP_2)
	v_cmpx_ne_u32_e32 0x80, v24
	s_cbranch_execz .LBB294_681
; %bb.676:                              ;   in Loop: Header=BB294_10 Depth=1
	v_and_b32_e32 v6, 0x7f, v24
	v_mov_b32_e32 v28, 0x7c010000
	s_mov_b32 s17, exec_lo
	s_delay_alu instid0(VALU_DEP_2)
	v_cmpx_ne_u32_e32 0x7f, v6
	s_cbranch_execz .LBB294_680
; %bb.677:                              ;   in Loop: Header=BB294_10 Depth=1
	v_dual_lshrrev_b32 v1, 3, v6 :: v_dual_bitop2_b32 v0, 7, v24 bitop3:0x40
	s_mov_b32 s18, exec_lo
	v_cmpx_gt_u32_e32 8, v6
; %bb.678:                              ;   in Loop: Header=BB294_10 Depth=1
	s_delay_alu instid0(VALU_DEP_2) | instskip(NEXT) | instid1(VALU_DEP_1)
	v_clz_i32_u32_e32 v0, v0
	v_min_u32_e32 v6, 32, v0
	s_delay_alu instid0(VALU_DEP_1) | instskip(NEXT) | instid1(VALU_DEP_1)
	v_subrev_nc_u32_e32 v0, 28, v6
	v_lshlrev_b64_e32 v[0:1], v0, v[24:25]
	s_delay_alu instid0(VALU_DEP_1)
	v_dual_sub_nc_u32 v1, 29, v6 :: v_dual_bitop2_b32 v0, 7, v0 bitop3:0x40
; %bb.679:                              ;   in Loop: Header=BB294_10 Depth=1
	s_or_b32 exec_lo, exec_lo, s18
	v_lshlrev_b32_e32 v6, 8, v24
	s_delay_alu instid0(VALU_DEP_2) | instskip(NEXT) | instid1(VALU_DEP_3)
	v_lshl_add_u32 v1, v1, 10, 0x2000
	v_lshlrev_b32_e32 v0, 23, v0
	s_delay_alu instid0(VALU_DEP_2) | instskip(NEXT) | instid1(VALU_DEP_1)
	v_and_or_b32 v1, 0x8000, v6, v1
	v_lshl_or_b32 v28, v1, 16, v0
.LBB294_680:                            ;   in Loop: Header=BB294_10 Depth=1
	s_or_b32 exec_lo, exec_lo, s17
.LBB294_681:                            ;   in Loop: Header=BB294_10 Depth=1
	s_delay_alu instid0(SALU_CYCLE_1)
	s_or_b32 exec_lo, exec_lo, s16
.LBB294_682:                            ;   in Loop: Header=BB294_10 Depth=1
	s_delay_alu instid0(SALU_CYCLE_1) | instskip(SKIP_3) | instid1(VALU_DEP_2)
	s_or_b32 exec_lo, exec_lo, s15
	v_and_b32_e32 v0, 0xff, v5
	v_mov_b32_e32 v24, v5
	s_mov_b32 s15, exec_lo
	v_cmpx_ne_u16_e32 0, v0
	s_cbranch_execz .LBB294_690
; %bb.683:                              ;   in Loop: Header=BB294_10 Depth=1
	v_mov_b32_e32 v21, 0x8000
	s_mov_b32 s16, exec_lo
	v_cmpx_ne_u16_e32 0x80, v0
	s_cbranch_execz .LBB294_689
; %bb.684:                              ;   in Loop: Header=BB294_10 Depth=1
	v_and_b32_e32 v6, 0x7f, v5
	v_mov_b32_e32 v21, 0x7c01
	s_mov_b32 s17, exec_lo
	s_delay_alu instid0(VALU_DEP_2)
	v_cmpx_ne_u32_e32 0x7f, v6
	s_cbranch_execz .LBB294_688
; %bb.685:                              ;   in Loop: Header=BB294_10 Depth=1
	v_dual_lshrrev_b32 v1, 3, v6 :: v_dual_bitop2_b32 v0, 7, v5 bitop3:0x40
	s_mov_b32 s18, exec_lo
	v_cmpx_gt_u32_e32 8, v6
; %bb.686:                              ;   in Loop: Header=BB294_10 Depth=1
	s_delay_alu instid0(VALU_DEP_2) | instskip(NEXT) | instid1(VALU_DEP_1)
	v_clz_i32_u32_e32 v0, v0
	v_min_u32_e32 v6, 32, v0
	s_delay_alu instid0(VALU_DEP_1) | instskip(NEXT) | instid1(VALU_DEP_1)
	v_subrev_nc_u32_e32 v0, 28, v6
	v_lshlrev_b64_e32 v[0:1], v0, v[24:25]
	s_delay_alu instid0(VALU_DEP_1)
	v_dual_sub_nc_u32 v1, 29, v6 :: v_dual_bitop2_b32 v0, 7, v0 bitop3:0x40
; %bb.687:                              ;   in Loop: Header=BB294_10 Depth=1
	s_or_b32 exec_lo, exec_lo, s18
	s_delay_alu instid0(VALU_DEP_1) | instskip(NEXT) | instid1(VALU_DEP_2)
	v_dual_lshlrev_b32 v6, 8, v5 :: v_dual_lshlrev_b32 v0, 7, v0
	v_lshl_add_u32 v1, v1, 10, 0x2000
	s_delay_alu instid0(VALU_DEP_2) | instskip(NEXT) | instid1(VALU_DEP_2)
	v_and_b32_e32 v6, 0x8000, v6
	v_and_b32_e32 v1, 0xfc00, v1
	s_delay_alu instid0(VALU_DEP_1)
	v_or3_b32 v21, v6, v1, v0
.LBB294_688:                            ;   in Loop: Header=BB294_10 Depth=1
	s_or_b32 exec_lo, exec_lo, s17
.LBB294_689:                            ;   in Loop: Header=BB294_10 Depth=1
	s_delay_alu instid0(SALU_CYCLE_1)
	s_or_b32 exec_lo, exec_lo, s16
.LBB294_690:                            ;   in Loop: Header=BB294_10 Depth=1
	s_delay_alu instid0(SALU_CYCLE_1) | instskip(SKIP_3) | instid1(VALU_DEP_2)
	s_or_b32 exec_lo, exec_lo, s15
	v_lshrrev_b16 v24, 8, v24
	v_dual_mov_b32 v20, 0 :: v_dual_mov_b32 v22, 0
	s_mov_b32 s15, exec_lo
	v_cmpx_ne_u16_e32 0, v24
	s_cbranch_execz .LBB294_698
; %bb.691:                              ;   in Loop: Header=BB294_10 Depth=1
	v_bfrev_b32_e32 v22, 1
	s_mov_b32 s16, exec_lo
	v_cmpx_ne_u16_e32 0x80, v24
	s_cbranch_execz .LBB294_697
; %bb.692:                              ;   in Loop: Header=BB294_10 Depth=1
	v_and_b32_e32 v0, 0xffff, v24
	v_mov_b32_e32 v22, 0x7c010000
	s_mov_b32 s17, exec_lo
	s_delay_alu instid0(VALU_DEP_2) | instskip(NEXT) | instid1(VALU_DEP_1)
	v_and_b32_e32 v7, 0x7f, v0
	v_cmpx_ne_u32_e32 0x7f, v7
	s_cbranch_execz .LBB294_696
; %bb.693:                              ;   in Loop: Header=BB294_10 Depth=1
	v_dual_lshrrev_b32 v6, 3, v7 :: v_dual_bitop2_b32 v1, 7, v0 bitop3:0x40
	s_mov_b32 s18, exec_lo
	v_cmpx_gt_u32_e32 8, v7
; %bb.694:                              ;   in Loop: Header=BB294_10 Depth=1
	s_delay_alu instid0(VALU_DEP_2) | instskip(NEXT) | instid1(VALU_DEP_1)
	v_clz_i32_u32_e32 v1, v1
	v_min_u32_e32 v1, 32, v1
	s_delay_alu instid0(VALU_DEP_1) | instskip(NEXT) | instid1(VALU_DEP_1)
	v_subrev_nc_u32_e32 v6, 28, v1
	v_lshlrev_b64_e32 v[10:11], v6, v[24:25]
	s_delay_alu instid0(VALU_DEP_1)
	v_dual_sub_nc_u32 v6, 29, v1 :: v_dual_bitop2_b32 v1, 7, v10 bitop3:0x40
; %bb.695:                              ;   in Loop: Header=BB294_10 Depth=1
	s_or_b32 exec_lo, exec_lo, s18
	s_delay_alu instid0(VALU_DEP_1) | instskip(NEXT) | instid1(VALU_DEP_2)
	v_dual_lshlrev_b32 v0, 8, v0 :: v_dual_lshlrev_b32 v1, 23, v1
	v_lshl_add_u32 v6, v6, 10, 0x2000
	s_delay_alu instid0(VALU_DEP_1) | instskip(NEXT) | instid1(VALU_DEP_1)
	v_and_or_b32 v0, 0x8000, v0, v6
	v_lshl_or_b32 v22, v0, 16, v1
.LBB294_696:                            ;   in Loop: Header=BB294_10 Depth=1
	s_or_b32 exec_lo, exec_lo, s17
.LBB294_697:                            ;   in Loop: Header=BB294_10 Depth=1
	s_delay_alu instid0(SALU_CYCLE_1)
	s_or_b32 exec_lo, exec_lo, s16
.LBB294_698:                            ;   in Loop: Header=BB294_10 Depth=1
	s_delay_alu instid0(SALU_CYCLE_1) | instskip(SKIP_2) | instid1(VALU_DEP_1)
	s_or_b32 exec_lo, exec_lo, s15
	v_lshrrev_b32_e32 v8, 16, v5
	s_mov_b32 s15, exec_lo
	v_and_b32_e32 v0, 0xff, v8
	s_delay_alu instid0(VALU_DEP_1)
	v_cmpx_ne_u16_e32 0, v0
	s_cbranch_execz .LBB294_706
; %bb.699:                              ;   in Loop: Header=BB294_10 Depth=1
	v_mov_b32_e32 v20, 0x8000
	s_mov_b32 s16, exec_lo
	v_cmpx_ne_u16_e32 0x80, v0
	s_cbranch_execz .LBB294_705
; %bb.700:                              ;   in Loop: Header=BB294_10 Depth=1
	v_bfe_u32 v6, v5, 16, 7
	v_mov_b32_e32 v20, 0x7c01
	s_mov_b32 s17, exec_lo
	s_delay_alu instid0(VALU_DEP_2)
	v_cmpx_ne_u32_e32 0x7f, v6
	s_cbranch_execz .LBB294_704
; %bb.701:                              ;   in Loop: Header=BB294_10 Depth=1
	v_dual_lshrrev_b32 v1, 3, v6 :: v_dual_bitop2_b32 v0, 7, v8 bitop3:0x40
	s_mov_b32 s18, exec_lo
	v_cmpx_gt_u32_e32 8, v6
; %bb.702:                              ;   in Loop: Header=BB294_10 Depth=1
	s_delay_alu instid0(VALU_DEP_2) | instskip(NEXT) | instid1(VALU_DEP_1)
	v_clz_i32_u32_e32 v0, v0
	v_min_u32_e32 v6, 32, v0
	s_delay_alu instid0(VALU_DEP_1) | instskip(NEXT) | instid1(VALU_DEP_1)
	v_subrev_nc_u32_e32 v0, 28, v6
	v_lshlrev_b64_e32 v[0:1], v0, v[8:9]
	s_delay_alu instid0(VALU_DEP_1)
	v_dual_sub_nc_u32 v1, 29, v6 :: v_dual_bitop2_b32 v0, 7, v0 bitop3:0x40
; %bb.703:                              ;   in Loop: Header=BB294_10 Depth=1
	s_or_b32 exec_lo, exec_lo, s18
	v_lshlrev_b32_e32 v6, 8, v8
	s_delay_alu instid0(VALU_DEP_2) | instskip(NEXT) | instid1(VALU_DEP_3)
	v_lshl_add_u32 v1, v1, 10, 0x2000
	v_lshlrev_b32_e32 v0, 7, v0
	s_delay_alu instid0(VALU_DEP_3) | instskip(NEXT) | instid1(VALU_DEP_3)
	v_and_b32_e32 v6, 0x8000, v6
	v_and_b32_e32 v1, 0xfc00, v1
	s_delay_alu instid0(VALU_DEP_1)
	v_or3_b32 v20, v6, v1, v0
.LBB294_704:                            ;   in Loop: Header=BB294_10 Depth=1
	s_or_b32 exec_lo, exec_lo, s17
.LBB294_705:                            ;   in Loop: Header=BB294_10 Depth=1
	s_delay_alu instid0(SALU_CYCLE_1)
	s_or_b32 exec_lo, exec_lo, s16
.LBB294_706:                            ;   in Loop: Header=BB294_10 Depth=1
	s_delay_alu instid0(SALU_CYCLE_1)
	s_or_b32 exec_lo, exec_lo, s15
	v_dual_mov_b32 v92, 0 :: v_dual_mov_b32 v106, 0
	s_mov_b32 s15, exec_lo
	v_cmpx_lt_u64_e64 s[2:3], v[4:5]
	s_cbranch_execz .LBB294_714
; %bb.707:                              ;   in Loop: Header=BB294_10 Depth=1
	v_lshrrev_b32_e32 v24, 24, v5
	v_bfrev_b32_e32 v106, 1
	s_mov_b32 s16, exec_lo
	s_delay_alu instid0(VALU_DEP_2)
	v_cmpx_ne_u32_e32 0x80, v24
	s_cbranch_execz .LBB294_713
; %bb.708:                              ;   in Loop: Header=BB294_10 Depth=1
	v_and_b32_e32 v4, 0x7f, v24
	v_mov_b32_e32 v106, 0x7c010000
	s_mov_b32 s17, exec_lo
	s_delay_alu instid0(VALU_DEP_2)
	v_cmpx_ne_u32_e32 0x7f, v4
	s_cbranch_execz .LBB294_712
; %bb.709:                              ;   in Loop: Header=BB294_10 Depth=1
	v_and_b32_e32 v0, 7, v24
	v_lshrrev_b32_e32 v1, 3, v4
	s_mov_b32 s18, exec_lo
	v_cmpx_gt_u32_e32 8, v4
; %bb.710:                              ;   in Loop: Header=BB294_10 Depth=1
	s_delay_alu instid0(VALU_DEP_3) | instskip(NEXT) | instid1(VALU_DEP_1)
	v_clz_i32_u32_e32 v0, v0
	v_min_u32_e32 v4, 32, v0
	s_delay_alu instid0(VALU_DEP_1) | instskip(NEXT) | instid1(VALU_DEP_1)
	v_subrev_nc_u32_e32 v0, 28, v4
	v_lshlrev_b64_e32 v[0:1], v0, v[24:25]
	v_sub_nc_u32_e32 v1, 29, v4
	s_delay_alu instid0(VALU_DEP_2)
	v_and_b32_e32 v0, 7, v0
; %bb.711:                              ;   in Loop: Header=BB294_10 Depth=1
	s_or_b32 exec_lo, exec_lo, s18
	v_lshlrev_b32_e32 v4, 8, v24
	s_delay_alu instid0(VALU_DEP_3) | instskip(NEXT) | instid1(VALU_DEP_3)
	v_lshl_add_u32 v1, v1, 10, 0x2000
	v_lshlrev_b32_e32 v0, 23, v0
	s_delay_alu instid0(VALU_DEP_2) | instskip(NEXT) | instid1(VALU_DEP_1)
	v_and_or_b32 v1, 0x8000, v4, v1
	v_lshl_or_b32 v106, v1, 16, v0
.LBB294_712:                            ;   in Loop: Header=BB294_10 Depth=1
	s_or_b32 exec_lo, exec_lo, s17
.LBB294_713:                            ;   in Loop: Header=BB294_10 Depth=1
	s_delay_alu instid0(SALU_CYCLE_1)
	s_or_b32 exec_lo, exec_lo, s16
.LBB294_714:                            ;   in Loop: Header=BB294_10 Depth=1
	s_delay_alu instid0(SALU_CYCLE_1)
	s_or_b32 exec_lo, exec_lo, s15
	flat_load_b64 v[4:5], v[2:3] offset:2568
	s_mov_b32 s15, exec_lo
	s_wait_loadcnt_dscnt 0x0
	v_and_b32_e32 v0, 0xff, v4
	s_wait_xcnt 0x0
	s_delay_alu instid0(VALU_DEP_1)
	v_cmpx_ne_u16_e32 0, v0
	s_cbranch_execz .LBB294_722
; %bb.715:                              ;   in Loop: Header=BB294_10 Depth=1
	v_mov_b32_e32 v92, 0x8000
	s_mov_b32 s16, exec_lo
	v_cmpx_ne_u16_e32 0x80, v0
	s_cbranch_execz .LBB294_721
; %bb.716:                              ;   in Loop: Header=BB294_10 Depth=1
	v_and_b32_e32 v6, 0x7f, v4
	v_mov_b32_e32 v92, 0x7c01
	s_mov_b32 s17, exec_lo
	s_delay_alu instid0(VALU_DEP_2)
	v_cmpx_ne_u32_e32 0x7f, v6
	s_cbranch_execz .LBB294_720
; %bb.717:                              ;   in Loop: Header=BB294_10 Depth=1
	v_dual_lshrrev_b32 v1, 3, v6 :: v_dual_bitop2_b32 v0, 7, v4 bitop3:0x40
	s_mov_b32 s18, exec_lo
	v_cmpx_gt_u32_e32 8, v6
; %bb.718:                              ;   in Loop: Header=BB294_10 Depth=1
	s_delay_alu instid0(VALU_DEP_2) | instskip(NEXT) | instid1(VALU_DEP_1)
	v_clz_i32_u32_e32 v0, v0
	v_min_u32_e32 v6, 32, v0
	s_delay_alu instid0(VALU_DEP_1) | instskip(NEXT) | instid1(VALU_DEP_1)
	v_subrev_nc_u32_e32 v0, 28, v6
	v_lshlrev_b64_e32 v[0:1], v0, v[4:5]
	s_delay_alu instid0(VALU_DEP_1)
	v_dual_sub_nc_u32 v1, 29, v6 :: v_dual_bitop2_b32 v0, 7, v0 bitop3:0x40
; %bb.719:                              ;   in Loop: Header=BB294_10 Depth=1
	s_or_b32 exec_lo, exec_lo, s18
	v_lshlrev_b32_e32 v6, 8, v4
	s_delay_alu instid0(VALU_DEP_2) | instskip(NEXT) | instid1(VALU_DEP_3)
	v_lshl_add_u32 v1, v1, 10, 0x2000
	v_lshlrev_b32_e32 v0, 7, v0
	s_delay_alu instid0(VALU_DEP_3) | instskip(NEXT) | instid1(VALU_DEP_3)
	v_and_b32_e32 v6, 0x8000, v6
	v_and_b32_e32 v1, 0xfc00, v1
	s_delay_alu instid0(VALU_DEP_1)
	v_or3_b32 v92, v6, v1, v0
.LBB294_720:                            ;   in Loop: Header=BB294_10 Depth=1
	s_or_b32 exec_lo, exec_lo, s17
.LBB294_721:                            ;   in Loop: Header=BB294_10 Depth=1
	s_delay_alu instid0(SALU_CYCLE_1)
	s_or_b32 exec_lo, exec_lo, s16
.LBB294_722:                            ;   in Loop: Header=BB294_10 Depth=1
	s_delay_alu instid0(SALU_CYCLE_1) | instskip(SKIP_3) | instid1(VALU_DEP_2)
	s_or_b32 exec_lo, exec_lo, s15
	v_lshrrev_b16 v24, 8, v4
	v_dual_mov_b32 v27, 0 :: v_dual_mov_b32 v107, 0
	s_mov_b32 s15, exec_lo
	v_cmpx_ne_u16_e32 0, v24
	s_cbranch_execz .LBB294_730
; %bb.723:                              ;   in Loop: Header=BB294_10 Depth=1
	v_bfrev_b32_e32 v107, 1
	s_mov_b32 s16, exec_lo
	v_cmpx_ne_u16_e32 0x80, v24
	s_cbranch_execz .LBB294_729
; %bb.724:                              ;   in Loop: Header=BB294_10 Depth=1
	v_and_b32_e32 v0, 0xffff, v24
	v_mov_b32_e32 v107, 0x7c010000
	s_mov_b32 s17, exec_lo
	s_delay_alu instid0(VALU_DEP_2) | instskip(NEXT) | instid1(VALU_DEP_1)
	v_and_b32_e32 v7, 0x7f, v0
	v_cmpx_ne_u32_e32 0x7f, v7
	s_cbranch_execz .LBB294_728
; %bb.725:                              ;   in Loop: Header=BB294_10 Depth=1
	v_dual_lshrrev_b32 v6, 3, v7 :: v_dual_bitop2_b32 v1, 7, v0 bitop3:0x40
	s_mov_b32 s18, exec_lo
	v_cmpx_gt_u32_e32 8, v7
; %bb.726:                              ;   in Loop: Header=BB294_10 Depth=1
	s_delay_alu instid0(VALU_DEP_2) | instskip(NEXT) | instid1(VALU_DEP_1)
	v_clz_i32_u32_e32 v1, v1
	v_min_u32_e32 v1, 32, v1
	s_delay_alu instid0(VALU_DEP_1) | instskip(NEXT) | instid1(VALU_DEP_1)
	v_subrev_nc_u32_e32 v6, 28, v1
	v_lshlrev_b64_e32 v[10:11], v6, v[24:25]
	s_delay_alu instid0(VALU_DEP_1)
	v_dual_sub_nc_u32 v6, 29, v1 :: v_dual_bitop2_b32 v1, 7, v10 bitop3:0x40
; %bb.727:                              ;   in Loop: Header=BB294_10 Depth=1
	s_or_b32 exec_lo, exec_lo, s18
	s_delay_alu instid0(VALU_DEP_1) | instskip(NEXT) | instid1(VALU_DEP_2)
	v_dual_lshlrev_b32 v0, 8, v0 :: v_dual_lshlrev_b32 v1, 23, v1
	v_lshl_add_u32 v6, v6, 10, 0x2000
	s_delay_alu instid0(VALU_DEP_1) | instskip(NEXT) | instid1(VALU_DEP_1)
	v_and_or_b32 v0, 0x8000, v0, v6
	v_lshl_or_b32 v107, v0, 16, v1
.LBB294_728:                            ;   in Loop: Header=BB294_10 Depth=1
	s_or_b32 exec_lo, exec_lo, s17
.LBB294_729:                            ;   in Loop: Header=BB294_10 Depth=1
	s_delay_alu instid0(SALU_CYCLE_1)
	s_or_b32 exec_lo, exec_lo, s16
.LBB294_730:                            ;   in Loop: Header=BB294_10 Depth=1
	s_delay_alu instid0(SALU_CYCLE_1) | instskip(SKIP_2) | instid1(VALU_DEP_1)
	s_or_b32 exec_lo, exec_lo, s15
	v_lshrrev_b32_e32 v8, 16, v4
	s_mov_b32 s15, exec_lo
	v_and_b32_e32 v0, 0xff, v8
	s_delay_alu instid0(VALU_DEP_1)
	v_cmpx_ne_u16_e32 0, v0
	s_cbranch_execz .LBB294_738
; %bb.731:                              ;   in Loop: Header=BB294_10 Depth=1
	v_mov_b32_e32 v27, 0x8000
	s_mov_b32 s16, exec_lo
	v_cmpx_ne_u16_e32 0x80, v0
	s_cbranch_execz .LBB294_737
; %bb.732:                              ;   in Loop: Header=BB294_10 Depth=1
	v_bfe_u32 v6, v4, 16, 7
	v_mov_b32_e32 v27, 0x7c01
	s_mov_b32 s17, exec_lo
	s_delay_alu instid0(VALU_DEP_2)
	v_cmpx_ne_u32_e32 0x7f, v6
	s_cbranch_execz .LBB294_736
; %bb.733:                              ;   in Loop: Header=BB294_10 Depth=1
	v_dual_lshrrev_b32 v1, 3, v6 :: v_dual_bitop2_b32 v0, 7, v8 bitop3:0x40
	s_mov_b32 s18, exec_lo
	v_cmpx_gt_u32_e32 8, v6
; %bb.734:                              ;   in Loop: Header=BB294_10 Depth=1
	s_delay_alu instid0(VALU_DEP_2) | instskip(NEXT) | instid1(VALU_DEP_1)
	v_clz_i32_u32_e32 v0, v0
	v_min_u32_e32 v6, 32, v0
	s_delay_alu instid0(VALU_DEP_1) | instskip(NEXT) | instid1(VALU_DEP_1)
	v_subrev_nc_u32_e32 v0, 28, v6
	v_lshlrev_b64_e32 v[0:1], v0, v[8:9]
	s_delay_alu instid0(VALU_DEP_1)
	v_dual_sub_nc_u32 v1, 29, v6 :: v_dual_bitop2_b32 v0, 7, v0 bitop3:0x40
; %bb.735:                              ;   in Loop: Header=BB294_10 Depth=1
	s_or_b32 exec_lo, exec_lo, s18
	v_lshlrev_b32_e32 v6, 8, v8
	s_delay_alu instid0(VALU_DEP_2) | instskip(NEXT) | instid1(VALU_DEP_3)
	v_lshl_add_u32 v1, v1, 10, 0x2000
	v_lshlrev_b32_e32 v0, 7, v0
	s_delay_alu instid0(VALU_DEP_3) | instskip(NEXT) | instid1(VALU_DEP_3)
	v_and_b32_e32 v6, 0x8000, v6
	v_and_b32_e32 v1, 0xfc00, v1
	s_delay_alu instid0(VALU_DEP_1)
	v_or3_b32 v27, v6, v1, v0
.LBB294_736:                            ;   in Loop: Header=BB294_10 Depth=1
	s_or_b32 exec_lo, exec_lo, s17
.LBB294_737:                            ;   in Loop: Header=BB294_10 Depth=1
	s_delay_alu instid0(SALU_CYCLE_1)
	s_or_b32 exec_lo, exec_lo, s16
.LBB294_738:                            ;   in Loop: Header=BB294_10 Depth=1
	s_delay_alu instid0(SALU_CYCLE_1)
	s_or_b32 exec_lo, exec_lo, s15
	v_dual_mov_b32 v109, 0 :: v_dual_mov_b32 v111, 0
	s_mov_b32 s15, exec_lo
	v_cmpx_lt_u32_e32 0xffffff, v4
	s_cbranch_execz .LBB294_746
; %bb.739:                              ;   in Loop: Header=BB294_10 Depth=1
	v_lshrrev_b32_e32 v24, 24, v4
	v_bfrev_b32_e32 v111, 1
	s_mov_b32 s16, exec_lo
	s_delay_alu instid0(VALU_DEP_2)
	v_cmpx_ne_u32_e32 0x80, v24
	s_cbranch_execz .LBB294_745
; %bb.740:                              ;   in Loop: Header=BB294_10 Depth=1
	v_and_b32_e32 v6, 0x7f, v24
	v_mov_b32_e32 v111, 0x7c010000
	s_mov_b32 s17, exec_lo
	s_delay_alu instid0(VALU_DEP_2)
	v_cmpx_ne_u32_e32 0x7f, v6
	s_cbranch_execz .LBB294_744
; %bb.741:                              ;   in Loop: Header=BB294_10 Depth=1
	v_dual_lshrrev_b32 v1, 3, v6 :: v_dual_bitop2_b32 v0, 7, v24 bitop3:0x40
	s_mov_b32 s18, exec_lo
	v_cmpx_gt_u32_e32 8, v6
; %bb.742:                              ;   in Loop: Header=BB294_10 Depth=1
	s_delay_alu instid0(VALU_DEP_2) | instskip(NEXT) | instid1(VALU_DEP_1)
	v_clz_i32_u32_e32 v0, v0
	v_min_u32_e32 v6, 32, v0
	s_delay_alu instid0(VALU_DEP_1) | instskip(NEXT) | instid1(VALU_DEP_1)
	v_subrev_nc_u32_e32 v0, 28, v6
	v_lshlrev_b64_e32 v[0:1], v0, v[24:25]
	s_delay_alu instid0(VALU_DEP_1)
	v_dual_sub_nc_u32 v1, 29, v6 :: v_dual_bitop2_b32 v0, 7, v0 bitop3:0x40
; %bb.743:                              ;   in Loop: Header=BB294_10 Depth=1
	s_or_b32 exec_lo, exec_lo, s18
	v_lshlrev_b32_e32 v6, 8, v24
	s_delay_alu instid0(VALU_DEP_2) | instskip(NEXT) | instid1(VALU_DEP_3)
	v_lshl_add_u32 v1, v1, 10, 0x2000
	v_lshlrev_b32_e32 v0, 23, v0
	s_delay_alu instid0(VALU_DEP_2) | instskip(NEXT) | instid1(VALU_DEP_1)
	v_and_or_b32 v1, 0x8000, v6, v1
	v_lshl_or_b32 v111, v1, 16, v0
.LBB294_744:                            ;   in Loop: Header=BB294_10 Depth=1
	s_or_b32 exec_lo, exec_lo, s17
.LBB294_745:                            ;   in Loop: Header=BB294_10 Depth=1
	s_delay_alu instid0(SALU_CYCLE_1)
	s_or_b32 exec_lo, exec_lo, s16
.LBB294_746:                            ;   in Loop: Header=BB294_10 Depth=1
	s_delay_alu instid0(SALU_CYCLE_1) | instskip(SKIP_3) | instid1(VALU_DEP_2)
	s_or_b32 exec_lo, exec_lo, s15
	v_and_b32_e32 v0, 0xff, v5
	v_mov_b32_e32 v24, v5
	s_mov_b32 s15, exec_lo
	v_cmpx_ne_u16_e32 0, v0
	s_cbranch_execz .LBB294_754
; %bb.747:                              ;   in Loop: Header=BB294_10 Depth=1
	v_mov_b32_e32 v109, 0x8000
	s_mov_b32 s16, exec_lo
	v_cmpx_ne_u16_e32 0x80, v0
	s_cbranch_execz .LBB294_753
; %bb.748:                              ;   in Loop: Header=BB294_10 Depth=1
	v_and_b32_e32 v6, 0x7f, v5
	v_mov_b32_e32 v109, 0x7c01
	s_mov_b32 s17, exec_lo
	s_delay_alu instid0(VALU_DEP_2)
	v_cmpx_ne_u32_e32 0x7f, v6
	s_cbranch_execz .LBB294_752
; %bb.749:                              ;   in Loop: Header=BB294_10 Depth=1
	v_dual_lshrrev_b32 v1, 3, v6 :: v_dual_bitop2_b32 v0, 7, v5 bitop3:0x40
	s_mov_b32 s18, exec_lo
	v_cmpx_gt_u32_e32 8, v6
; %bb.750:                              ;   in Loop: Header=BB294_10 Depth=1
	s_delay_alu instid0(VALU_DEP_2) | instskip(NEXT) | instid1(VALU_DEP_1)
	v_clz_i32_u32_e32 v0, v0
	v_min_u32_e32 v6, 32, v0
	s_delay_alu instid0(VALU_DEP_1) | instskip(NEXT) | instid1(VALU_DEP_1)
	v_subrev_nc_u32_e32 v0, 28, v6
	v_lshlrev_b64_e32 v[0:1], v0, v[24:25]
	s_delay_alu instid0(VALU_DEP_1)
	v_dual_sub_nc_u32 v1, 29, v6 :: v_dual_bitop2_b32 v0, 7, v0 bitop3:0x40
; %bb.751:                              ;   in Loop: Header=BB294_10 Depth=1
	s_or_b32 exec_lo, exec_lo, s18
	s_delay_alu instid0(VALU_DEP_1) | instskip(NEXT) | instid1(VALU_DEP_2)
	v_dual_lshlrev_b32 v6, 8, v5 :: v_dual_lshlrev_b32 v0, 7, v0
	v_lshl_add_u32 v1, v1, 10, 0x2000
	s_delay_alu instid0(VALU_DEP_2) | instskip(NEXT) | instid1(VALU_DEP_2)
	v_and_b32_e32 v6, 0x8000, v6
	v_and_b32_e32 v1, 0xfc00, v1
	s_delay_alu instid0(VALU_DEP_1)
	v_or3_b32 v109, v6, v1, v0
.LBB294_752:                            ;   in Loop: Header=BB294_10 Depth=1
	s_or_b32 exec_lo, exec_lo, s17
.LBB294_753:                            ;   in Loop: Header=BB294_10 Depth=1
	s_delay_alu instid0(SALU_CYCLE_1)
	s_or_b32 exec_lo, exec_lo, s16
.LBB294_754:                            ;   in Loop: Header=BB294_10 Depth=1
	s_delay_alu instid0(SALU_CYCLE_1) | instskip(SKIP_3) | instid1(VALU_DEP_2)
	s_or_b32 exec_lo, exec_lo, s15
	v_lshrrev_b16 v24, 8, v24
	v_dual_mov_b32 v120, 0 :: v_dual_mov_b32 v121, 0
	s_mov_b32 s15, exec_lo
	v_cmpx_ne_u16_e32 0, v24
	s_cbranch_execz .LBB294_762
; %bb.755:                              ;   in Loop: Header=BB294_10 Depth=1
	v_bfrev_b32_e32 v121, 1
	s_mov_b32 s16, exec_lo
	v_cmpx_ne_u16_e32 0x80, v24
	s_cbranch_execz .LBB294_761
; %bb.756:                              ;   in Loop: Header=BB294_10 Depth=1
	v_and_b32_e32 v0, 0xffff, v24
	v_mov_b32_e32 v121, 0x7c010000
	s_mov_b32 s17, exec_lo
	s_delay_alu instid0(VALU_DEP_2) | instskip(NEXT) | instid1(VALU_DEP_1)
	v_and_b32_e32 v7, 0x7f, v0
	v_cmpx_ne_u32_e32 0x7f, v7
	s_cbranch_execz .LBB294_760
; %bb.757:                              ;   in Loop: Header=BB294_10 Depth=1
	v_dual_lshrrev_b32 v6, 3, v7 :: v_dual_bitop2_b32 v1, 7, v0 bitop3:0x40
	s_mov_b32 s18, exec_lo
	v_cmpx_gt_u32_e32 8, v7
; %bb.758:                              ;   in Loop: Header=BB294_10 Depth=1
	s_delay_alu instid0(VALU_DEP_2) | instskip(NEXT) | instid1(VALU_DEP_1)
	v_clz_i32_u32_e32 v1, v1
	v_min_u32_e32 v1, 32, v1
	s_delay_alu instid0(VALU_DEP_1) | instskip(NEXT) | instid1(VALU_DEP_1)
	v_subrev_nc_u32_e32 v6, 28, v1
	v_lshlrev_b64_e32 v[10:11], v6, v[24:25]
	s_delay_alu instid0(VALU_DEP_1)
	v_dual_sub_nc_u32 v6, 29, v1 :: v_dual_bitop2_b32 v1, 7, v10 bitop3:0x40
; %bb.759:                              ;   in Loop: Header=BB294_10 Depth=1
	s_or_b32 exec_lo, exec_lo, s18
	s_delay_alu instid0(VALU_DEP_1) | instskip(NEXT) | instid1(VALU_DEP_2)
	v_dual_lshlrev_b32 v0, 8, v0 :: v_dual_lshlrev_b32 v1, 23, v1
	v_lshl_add_u32 v6, v6, 10, 0x2000
	s_delay_alu instid0(VALU_DEP_1) | instskip(NEXT) | instid1(VALU_DEP_1)
	v_and_or_b32 v0, 0x8000, v0, v6
	v_lshl_or_b32 v121, v0, 16, v1
.LBB294_760:                            ;   in Loop: Header=BB294_10 Depth=1
	s_or_b32 exec_lo, exec_lo, s17
.LBB294_761:                            ;   in Loop: Header=BB294_10 Depth=1
	s_delay_alu instid0(SALU_CYCLE_1)
	s_or_b32 exec_lo, exec_lo, s16
.LBB294_762:                            ;   in Loop: Header=BB294_10 Depth=1
	s_delay_alu instid0(SALU_CYCLE_1) | instskip(SKIP_2) | instid1(VALU_DEP_1)
	s_or_b32 exec_lo, exec_lo, s15
	v_lshrrev_b32_e32 v8, 16, v5
	s_mov_b32 s15, exec_lo
	v_and_b32_e32 v0, 0xff, v8
	s_delay_alu instid0(VALU_DEP_1)
	v_cmpx_ne_u16_e32 0, v0
	s_cbranch_execz .LBB294_770
; %bb.763:                              ;   in Loop: Header=BB294_10 Depth=1
	v_mov_b32_e32 v120, 0x8000
	s_mov_b32 s16, exec_lo
	v_cmpx_ne_u16_e32 0x80, v0
	s_cbranch_execz .LBB294_769
; %bb.764:                              ;   in Loop: Header=BB294_10 Depth=1
	v_bfe_u32 v6, v5, 16, 7
	v_mov_b32_e32 v120, 0x7c01
	s_mov_b32 s17, exec_lo
	s_delay_alu instid0(VALU_DEP_2)
	v_cmpx_ne_u32_e32 0x7f, v6
	s_cbranch_execz .LBB294_768
; %bb.765:                              ;   in Loop: Header=BB294_10 Depth=1
	v_dual_lshrrev_b32 v1, 3, v6 :: v_dual_bitop2_b32 v0, 7, v8 bitop3:0x40
	s_mov_b32 s18, exec_lo
	v_cmpx_gt_u32_e32 8, v6
; %bb.766:                              ;   in Loop: Header=BB294_10 Depth=1
	s_delay_alu instid0(VALU_DEP_2) | instskip(NEXT) | instid1(VALU_DEP_1)
	v_clz_i32_u32_e32 v0, v0
	v_min_u32_e32 v6, 32, v0
	s_delay_alu instid0(VALU_DEP_1) | instskip(NEXT) | instid1(VALU_DEP_1)
	v_subrev_nc_u32_e32 v0, 28, v6
	v_lshlrev_b64_e32 v[0:1], v0, v[8:9]
	s_delay_alu instid0(VALU_DEP_1)
	v_dual_sub_nc_u32 v1, 29, v6 :: v_dual_bitop2_b32 v0, 7, v0 bitop3:0x40
; %bb.767:                              ;   in Loop: Header=BB294_10 Depth=1
	s_or_b32 exec_lo, exec_lo, s18
	v_lshlrev_b32_e32 v6, 8, v8
	s_delay_alu instid0(VALU_DEP_2) | instskip(NEXT) | instid1(VALU_DEP_3)
	v_lshl_add_u32 v1, v1, 10, 0x2000
	v_lshlrev_b32_e32 v0, 7, v0
	s_delay_alu instid0(VALU_DEP_3) | instskip(NEXT) | instid1(VALU_DEP_3)
	v_and_b32_e32 v6, 0x8000, v6
	v_and_b32_e32 v1, 0xfc00, v1
	s_delay_alu instid0(VALU_DEP_1)
	v_or3_b32 v120, v6, v1, v0
.LBB294_768:                            ;   in Loop: Header=BB294_10 Depth=1
	s_or_b32 exec_lo, exec_lo, s17
.LBB294_769:                            ;   in Loop: Header=BB294_10 Depth=1
	s_delay_alu instid0(SALU_CYCLE_1)
	s_or_b32 exec_lo, exec_lo, s16
.LBB294_770:                            ;   in Loop: Header=BB294_10 Depth=1
	s_delay_alu instid0(SALU_CYCLE_1)
	s_or_b32 exec_lo, exec_lo, s15
	v_dual_mov_b32 v122, 0 :: v_dual_mov_b32 v11, 0
	s_mov_b32 s15, exec_lo
	v_cmpx_lt_u64_e64 s[2:3], v[4:5]
	s_cbranch_execz .LBB294_778
; %bb.771:                              ;   in Loop: Header=BB294_10 Depth=1
	v_lshrrev_b32_e32 v24, 24, v5
	v_bfrev_b32_e32 v11, 1
	s_mov_b32 s16, exec_lo
	s_delay_alu instid0(VALU_DEP_2)
	v_cmpx_ne_u32_e32 0x80, v24
	s_cbranch_execz .LBB294_777
; %bb.772:                              ;   in Loop: Header=BB294_10 Depth=1
	v_and_b32_e32 v4, 0x7f, v24
	v_mov_b32_e32 v11, 0x7c010000
	s_mov_b32 s17, exec_lo
	s_delay_alu instid0(VALU_DEP_2)
	v_cmpx_ne_u32_e32 0x7f, v4
	s_cbranch_execz .LBB294_776
; %bb.773:                              ;   in Loop: Header=BB294_10 Depth=1
	v_and_b32_e32 v0, 7, v24
	v_lshrrev_b32_e32 v1, 3, v4
	s_mov_b32 s18, exec_lo
	v_cmpx_gt_u32_e32 8, v4
; %bb.774:                              ;   in Loop: Header=BB294_10 Depth=1
	s_delay_alu instid0(VALU_DEP_3) | instskip(NEXT) | instid1(VALU_DEP_1)
	v_clz_i32_u32_e32 v0, v0
	v_min_u32_e32 v4, 32, v0
	s_delay_alu instid0(VALU_DEP_1) | instskip(NEXT) | instid1(VALU_DEP_1)
	v_subrev_nc_u32_e32 v0, 28, v4
	v_lshlrev_b64_e32 v[0:1], v0, v[24:25]
	v_sub_nc_u32_e32 v1, 29, v4
	s_delay_alu instid0(VALU_DEP_2)
	v_and_b32_e32 v0, 7, v0
; %bb.775:                              ;   in Loop: Header=BB294_10 Depth=1
	s_or_b32 exec_lo, exec_lo, s18
	v_lshlrev_b32_e32 v4, 8, v24
	s_delay_alu instid0(VALU_DEP_3) | instskip(NEXT) | instid1(VALU_DEP_3)
	v_lshl_add_u32 v1, v1, 10, 0x2000
	v_lshlrev_b32_e32 v0, 23, v0
	s_delay_alu instid0(VALU_DEP_2) | instskip(NEXT) | instid1(VALU_DEP_1)
	v_and_or_b32 v1, 0x8000, v4, v1
	v_lshl_or_b32 v11, v1, 16, v0
.LBB294_776:                            ;   in Loop: Header=BB294_10 Depth=1
	s_or_b32 exec_lo, exec_lo, s17
.LBB294_777:                            ;   in Loop: Header=BB294_10 Depth=1
	s_delay_alu instid0(SALU_CYCLE_1)
	s_or_b32 exec_lo, exec_lo, s16
.LBB294_778:                            ;   in Loop: Header=BB294_10 Depth=1
	s_delay_alu instid0(SALU_CYCLE_1)
	s_or_b32 exec_lo, exec_lo, s15
	flat_load_b64 v[4:5], v[2:3] offset:3072
	s_mov_b32 s15, exec_lo
	s_wait_loadcnt_dscnt 0x0
	v_and_b32_e32 v0, 0xff, v4
	s_wait_xcnt 0x0
	s_delay_alu instid0(VALU_DEP_1)
	v_cmpx_ne_u16_e32 0, v0
	s_cbranch_execz .LBB294_786
; %bb.779:                              ;   in Loop: Header=BB294_10 Depth=1
	v_mov_b32_e32 v122, 0x8000
	s_mov_b32 s16, exec_lo
	v_cmpx_ne_u16_e32 0x80, v0
	s_cbranch_execz .LBB294_785
; %bb.780:                              ;   in Loop: Header=BB294_10 Depth=1
	v_and_b32_e32 v6, 0x7f, v4
	v_mov_b32_e32 v122, 0x7c01
	s_mov_b32 s17, exec_lo
	s_delay_alu instid0(VALU_DEP_2)
	v_cmpx_ne_u32_e32 0x7f, v6
	s_cbranch_execz .LBB294_784
; %bb.781:                              ;   in Loop: Header=BB294_10 Depth=1
	v_dual_lshrrev_b32 v1, 3, v6 :: v_dual_bitop2_b32 v0, 7, v4 bitop3:0x40
	s_mov_b32 s18, exec_lo
	v_cmpx_gt_u32_e32 8, v6
; %bb.782:                              ;   in Loop: Header=BB294_10 Depth=1
	s_delay_alu instid0(VALU_DEP_2) | instskip(NEXT) | instid1(VALU_DEP_1)
	v_clz_i32_u32_e32 v0, v0
	v_min_u32_e32 v6, 32, v0
	s_delay_alu instid0(VALU_DEP_1) | instskip(NEXT) | instid1(VALU_DEP_1)
	v_subrev_nc_u32_e32 v0, 28, v6
	v_lshlrev_b64_e32 v[0:1], v0, v[4:5]
	s_delay_alu instid0(VALU_DEP_1)
	v_dual_sub_nc_u32 v1, 29, v6 :: v_dual_bitop2_b32 v0, 7, v0 bitop3:0x40
; %bb.783:                              ;   in Loop: Header=BB294_10 Depth=1
	s_or_b32 exec_lo, exec_lo, s18
	v_lshlrev_b32_e32 v6, 8, v4
	s_delay_alu instid0(VALU_DEP_2) | instskip(NEXT) | instid1(VALU_DEP_3)
	v_lshl_add_u32 v1, v1, 10, 0x2000
	v_lshlrev_b32_e32 v0, 7, v0
	s_delay_alu instid0(VALU_DEP_3) | instskip(NEXT) | instid1(VALU_DEP_3)
	v_and_b32_e32 v6, 0x8000, v6
	v_and_b32_e32 v1, 0xfc00, v1
	s_delay_alu instid0(VALU_DEP_1)
	v_or3_b32 v122, v6, v1, v0
.LBB294_784:                            ;   in Loop: Header=BB294_10 Depth=1
	s_or_b32 exec_lo, exec_lo, s17
.LBB294_785:                            ;   in Loop: Header=BB294_10 Depth=1
	s_delay_alu instid0(SALU_CYCLE_1)
	s_or_b32 exec_lo, exec_lo, s16
.LBB294_786:                            ;   in Loop: Header=BB294_10 Depth=1
	s_delay_alu instid0(SALU_CYCLE_1) | instskip(SKIP_3) | instid1(VALU_DEP_2)
	s_or_b32 exec_lo, exec_lo, s15
	v_lshrrev_b16 v24, 8, v4
	v_dual_mov_b32 v123, 0 :: v_dual_mov_b32 v17, 0
	s_mov_b32 s15, exec_lo
	v_cmpx_ne_u16_e32 0, v24
	s_cbranch_execz .LBB294_794
; %bb.787:                              ;   in Loop: Header=BB294_10 Depth=1
	v_bfrev_b32_e32 v17, 1
	s_mov_b32 s16, exec_lo
	v_cmpx_ne_u16_e32 0x80, v24
	s_cbranch_execz .LBB294_793
; %bb.788:                              ;   in Loop: Header=BB294_10 Depth=1
	v_and_b32_e32 v1, 0xffff, v24
	v_mov_b32_e32 v17, 0x7c010000
	s_mov_b32 s17, exec_lo
	s_delay_alu instid0(VALU_DEP_2) | instskip(NEXT) | instid1(VALU_DEP_1)
	v_and_b32_e32 v8, 0x7f, v1
	v_cmpx_ne_u32_e32 0x7f, v8
	s_cbranch_execz .LBB294_792
; %bb.789:                              ;   in Loop: Header=BB294_10 Depth=1
	v_dual_lshrrev_b32 v7, 3, v8 :: v_dual_bitop2_b32 v6, 7, v1 bitop3:0x40
	s_mov_b32 s18, exec_lo
	v_cmpx_gt_u32_e32 8, v8
; %bb.790:                              ;   in Loop: Header=BB294_10 Depth=1
	s_delay_alu instid0(VALU_DEP_2) | instskip(NEXT) | instid1(VALU_DEP_1)
	v_clz_i32_u32_e32 v0, v6
	v_min_u32_e32 v0, 32, v0
	s_delay_alu instid0(VALU_DEP_1) | instskip(NEXT) | instid1(VALU_DEP_1)
	v_subrev_nc_u32_e32 v6, 28, v0
	v_lshlrev_b64_e32 v[6:7], v6, v[24:25]
	s_delay_alu instid0(VALU_DEP_1)
	v_dual_sub_nc_u32 v7, 29, v0 :: v_dual_bitop2_b32 v6, 7, v6 bitop3:0x40
; %bb.791:                              ;   in Loop: Header=BB294_10 Depth=1
	s_or_b32 exec_lo, exec_lo, s18
	v_lshlrev_b32_e32 v0, 8, v1
	s_delay_alu instid0(VALU_DEP_2) | instskip(NEXT) | instid1(VALU_DEP_1)
	v_lshl_add_u32 v1, v7, 10, 0x2000
	v_and_or_b32 v0, 0x8000, v0, v1
	v_lshlrev_b32_e32 v1, 23, v6
	s_delay_alu instid0(VALU_DEP_1)
	v_lshl_or_b32 v17, v0, 16, v1
.LBB294_792:                            ;   in Loop: Header=BB294_10 Depth=1
	s_or_b32 exec_lo, exec_lo, s17
.LBB294_793:                            ;   in Loop: Header=BB294_10 Depth=1
	s_delay_alu instid0(SALU_CYCLE_1)
	s_or_b32 exec_lo, exec_lo, s16
.LBB294_794:                            ;   in Loop: Header=BB294_10 Depth=1
	s_delay_alu instid0(SALU_CYCLE_1) | instskip(SKIP_2) | instid1(VALU_DEP_1)
	s_or_b32 exec_lo, exec_lo, s15
	v_lshrrev_b32_e32 v8, 16, v4
	s_mov_b32 s15, exec_lo
	v_and_b32_e32 v1, 0xff, v8
	s_delay_alu instid0(VALU_DEP_1)
	v_cmpx_ne_u16_e32 0, v1
	s_cbranch_execz .LBB294_802
; %bb.795:                              ;   in Loop: Header=BB294_10 Depth=1
	v_mov_b32_e32 v123, 0x8000
	s_mov_b32 s16, exec_lo
	v_cmpx_ne_u16_e32 0x80, v1
	s_cbranch_execz .LBB294_801
; %bb.796:                              ;   in Loop: Header=BB294_10 Depth=1
	v_bfe_u32 v6, v4, 16, 7
	v_mov_b32_e32 v123, 0x7c01
	s_mov_b32 s17, exec_lo
	s_delay_alu instid0(VALU_DEP_2)
	v_cmpx_ne_u32_e32 0x7f, v6
	s_cbranch_execz .LBB294_800
; %bb.797:                              ;   in Loop: Header=BB294_10 Depth=1
	v_dual_lshrrev_b32 v1, 3, v6 :: v_dual_bitop2_b32 v0, 7, v8 bitop3:0x40
	s_mov_b32 s18, exec_lo
	v_cmpx_gt_u32_e32 8, v6
; %bb.798:                              ;   in Loop: Header=BB294_10 Depth=1
	s_delay_alu instid0(VALU_DEP_2) | instskip(NEXT) | instid1(VALU_DEP_1)
	v_clz_i32_u32_e32 v0, v0
	v_min_u32_e32 v6, 32, v0
	s_delay_alu instid0(VALU_DEP_1) | instskip(NEXT) | instid1(VALU_DEP_1)
	v_subrev_nc_u32_e32 v0, 28, v6
	v_lshlrev_b64_e32 v[0:1], v0, v[8:9]
	s_delay_alu instid0(VALU_DEP_1)
	v_dual_sub_nc_u32 v1, 29, v6 :: v_dual_bitop2_b32 v0, 7, v0 bitop3:0x40
; %bb.799:                              ;   in Loop: Header=BB294_10 Depth=1
	s_or_b32 exec_lo, exec_lo, s18
	v_lshlrev_b32_e32 v6, 8, v8
	s_delay_alu instid0(VALU_DEP_2) | instskip(NEXT) | instid1(VALU_DEP_3)
	v_lshl_add_u32 v1, v1, 10, 0x2000
	v_lshlrev_b32_e32 v0, 7, v0
	s_delay_alu instid0(VALU_DEP_3) | instskip(NEXT) | instid1(VALU_DEP_3)
	v_and_b32_e32 v6, 0x8000, v6
	v_and_b32_e32 v1, 0xfc00, v1
	s_delay_alu instid0(VALU_DEP_1)
	v_or3_b32 v123, v6, v1, v0
.LBB294_800:                            ;   in Loop: Header=BB294_10 Depth=1
	s_or_b32 exec_lo, exec_lo, s17
.LBB294_801:                            ;   in Loop: Header=BB294_10 Depth=1
	s_delay_alu instid0(SALU_CYCLE_1)
	s_or_b32 exec_lo, exec_lo, s16
.LBB294_802:                            ;   in Loop: Header=BB294_10 Depth=1
	s_delay_alu instid0(SALU_CYCLE_1)
	s_or_b32 exec_lo, exec_lo, s15
	v_dual_mov_b32 v101, 0 :: v_dual_mov_b32 v26, 0
	s_mov_b32 s15, exec_lo
	v_cmpx_lt_u32_e32 0xffffff, v4
	s_cbranch_execz .LBB294_810
; %bb.803:                              ;   in Loop: Header=BB294_10 Depth=1
	v_lshrrev_b32_e32 v24, 24, v4
	v_bfrev_b32_e32 v26, 1
	s_mov_b32 s16, exec_lo
	s_delay_alu instid0(VALU_DEP_2)
	v_cmpx_ne_u32_e32 0x80, v24
	s_cbranch_execz .LBB294_809
; %bb.804:                              ;   in Loop: Header=BB294_10 Depth=1
	v_and_b32_e32 v8, 0x7f, v24
	v_mov_b32_e32 v26, 0x7c010000
	s_mov_b32 s17, exec_lo
	s_delay_alu instid0(VALU_DEP_2)
	v_cmpx_ne_u32_e32 0x7f, v8
	s_cbranch_execz .LBB294_808
; %bb.805:                              ;   in Loop: Header=BB294_10 Depth=1
	v_and_b32_e32 v1, 7, v24
	v_lshrrev_b32_e32 v6, 3, v8
	s_mov_b32 s18, exec_lo
	v_cmpx_gt_u32_e32 8, v8
; %bb.806:                              ;   in Loop: Header=BB294_10 Depth=1
	s_delay_alu instid0(VALU_DEP_3) | instskip(NEXT) | instid1(VALU_DEP_1)
	v_clz_i32_u32_e32 v0, v1
	v_min_u32_e32 v0, 32, v0
	s_delay_alu instid0(VALU_DEP_1) | instskip(NEXT) | instid1(VALU_DEP_1)
	v_subrev_nc_u32_e32 v1, 28, v0
	v_lshlrev_b64_e32 v[102:103], v1, v[24:25]
	s_delay_alu instid0(VALU_DEP_1)
	v_dual_sub_nc_u32 v6, 29, v0 :: v_dual_bitop2_b32 v1, 7, v102 bitop3:0x40
; %bb.807:                              ;   in Loop: Header=BB294_10 Depth=1
	s_or_b32 exec_lo, exec_lo, s18
	s_delay_alu instid0(VALU_DEP_1) | instskip(NEXT) | instid1(VALU_DEP_2)
	v_dual_lshlrev_b32 v0, 8, v24 :: v_dual_lshlrev_b32 v1, 23, v1
	v_lshl_add_u32 v6, v6, 10, 0x2000
	s_delay_alu instid0(VALU_DEP_1) | instskip(NEXT) | instid1(VALU_DEP_1)
	v_and_or_b32 v0, 0x8000, v0, v6
	v_lshl_or_b32 v26, v0, 16, v1
.LBB294_808:                            ;   in Loop: Header=BB294_10 Depth=1
	s_or_b32 exec_lo, exec_lo, s17
.LBB294_809:                            ;   in Loop: Header=BB294_10 Depth=1
	s_delay_alu instid0(SALU_CYCLE_1)
	s_or_b32 exec_lo, exec_lo, s16
.LBB294_810:                            ;   in Loop: Header=BB294_10 Depth=1
	s_delay_alu instid0(SALU_CYCLE_1) | instskip(SKIP_3) | instid1(VALU_DEP_2)
	s_or_b32 exec_lo, exec_lo, s15
	v_and_b32_e32 v1, 0xff, v5
	v_mov_b32_e32 v24, v5
	s_mov_b32 s15, exec_lo
	v_cmpx_ne_u16_e32 0, v1
	s_cbranch_execz .LBB294_818
; %bb.811:                              ;   in Loop: Header=BB294_10 Depth=1
	v_mov_b32_e32 v101, 0x8000
	s_mov_b32 s16, exec_lo
	v_cmpx_ne_u16_e32 0x80, v1
	s_cbranch_execz .LBB294_817
; %bb.812:                              ;   in Loop: Header=BB294_10 Depth=1
	v_and_b32_e32 v8, 0x7f, v5
	v_mov_b32_e32 v101, 0x7c01
	s_mov_b32 s17, exec_lo
	s_delay_alu instid0(VALU_DEP_2)
	v_cmpx_ne_u32_e32 0x7f, v8
	s_cbranch_execz .LBB294_816
; %bb.813:                              ;   in Loop: Header=BB294_10 Depth=1
	v_dual_lshrrev_b32 v6, 3, v8 :: v_dual_bitop2_b32 v1, 7, v5 bitop3:0x40
	s_mov_b32 s18, exec_lo
	v_cmpx_gt_u32_e32 8, v8
; %bb.814:                              ;   in Loop: Header=BB294_10 Depth=1
	s_delay_alu instid0(VALU_DEP_2) | instskip(NEXT) | instid1(VALU_DEP_1)
	v_clz_i32_u32_e32 v0, v1
	v_min_u32_e32 v0, 32, v0
	s_delay_alu instid0(VALU_DEP_1) | instskip(NEXT) | instid1(VALU_DEP_1)
	v_subrev_nc_u32_e32 v1, 28, v0
	v_lshlrev_b64_e32 v[102:103], v1, v[24:25]
	s_delay_alu instid0(VALU_DEP_1)
	v_dual_sub_nc_u32 v6, 29, v0 :: v_dual_bitop2_b32 v1, 7, v102 bitop3:0x40
; %bb.815:                              ;   in Loop: Header=BB294_10 Depth=1
	s_or_b32 exec_lo, exec_lo, s18
	v_lshlrev_b32_e32 v0, 8, v5
	s_delay_alu instid0(VALU_DEP_2) | instskip(NEXT) | instid1(VALU_DEP_3)
	v_lshl_add_u32 v6, v6, 10, 0x2000
	v_lshlrev_b32_e32 v1, 7, v1
	s_delay_alu instid0(VALU_DEP_3) | instskip(NEXT) | instid1(VALU_DEP_3)
	v_and_b32_e32 v0, 0x8000, v0
	v_and_b32_e32 v6, 0xfc00, v6
	s_delay_alu instid0(VALU_DEP_1)
	v_or3_b32 v101, v0, v6, v1
.LBB294_816:                            ;   in Loop: Header=BB294_10 Depth=1
	s_or_b32 exec_lo, exec_lo, s17
.LBB294_817:                            ;   in Loop: Header=BB294_10 Depth=1
	s_delay_alu instid0(SALU_CYCLE_1)
	s_or_b32 exec_lo, exec_lo, s16
.LBB294_818:                            ;   in Loop: Header=BB294_10 Depth=1
	s_delay_alu instid0(SALU_CYCLE_1) | instskip(SKIP_3) | instid1(VALU_DEP_2)
	s_or_b32 exec_lo, exec_lo, s15
	v_lshrrev_b16 v24, 8, v24
	v_dual_mov_b32 v7, 0 :: v_dual_mov_b32 v1, 0
	s_mov_b32 s15, exec_lo
	v_cmpx_ne_u16_e32 0, v24
	s_cbranch_execz .LBB294_826
; %bb.819:                              ;   in Loop: Header=BB294_10 Depth=1
	v_bfrev_b32_e32 v1, 1
	s_mov_b32 s16, exec_lo
	v_cmpx_ne_u16_e32 0x80, v24
	s_cbranch_execz .LBB294_825
; %bb.820:                              ;   in Loop: Header=BB294_10 Depth=1
	v_and_b32_e32 v6, 0xffff, v24
	v_mov_b32_e32 v1, 0x7c010000
	s_mov_b32 s17, exec_lo
	s_delay_alu instid0(VALU_DEP_2) | instskip(NEXT) | instid1(VALU_DEP_1)
	v_and_b32_e32 v10, 0x7f, v6
	v_cmpx_ne_u32_e32 0x7f, v10
	s_cbranch_execz .LBB294_824
; %bb.821:                              ;   in Loop: Header=BB294_10 Depth=1
	v_and_b32_e32 v1, 7, v6
	v_lshrrev_b32_e32 v8, 3, v10
	s_mov_b32 s18, exec_lo
	v_cmpx_gt_u32_e32 8, v10
; %bb.822:                              ;   in Loop: Header=BB294_10 Depth=1
	s_delay_alu instid0(VALU_DEP_3) | instskip(SKIP_1) | instid1(VALU_DEP_2)
	v_clz_i32_u32_e32 v0, v1
	v_mov_b32_e32 v7, 0
	v_min_u32_e32 v0, 32, v0
	s_delay_alu instid0(VALU_DEP_1) | instskip(NEXT) | instid1(VALU_DEP_1)
	v_subrev_nc_u32_e32 v1, 28, v0
	v_lshlrev_b64_e32 v[102:103], v1, v[24:25]
	s_delay_alu instid0(VALU_DEP_1)
	v_dual_sub_nc_u32 v8, 29, v0 :: v_dual_bitop2_b32 v1, 7, v102 bitop3:0x40
; %bb.823:                              ;   in Loop: Header=BB294_10 Depth=1
	s_or_b32 exec_lo, exec_lo, s18
	s_delay_alu instid0(VALU_DEP_1) | instskip(NEXT) | instid1(VALU_DEP_2)
	v_dual_lshlrev_b32 v0, 8, v6 :: v_dual_lshlrev_b32 v1, 23, v1
	v_lshl_add_u32 v6, v8, 10, 0x2000
	s_delay_alu instid0(VALU_DEP_1) | instskip(NEXT) | instid1(VALU_DEP_1)
	v_and_or_b32 v0, 0x8000, v0, v6
	v_lshl_or_b32 v1, v0, 16, v1
.LBB294_824:                            ;   in Loop: Header=BB294_10 Depth=1
	s_or_b32 exec_lo, exec_lo, s17
.LBB294_825:                            ;   in Loop: Header=BB294_10 Depth=1
	s_delay_alu instid0(SALU_CYCLE_1)
	s_or_b32 exec_lo, exec_lo, s16
.LBB294_826:                            ;   in Loop: Header=BB294_10 Depth=1
	s_delay_alu instid0(SALU_CYCLE_1) | instskip(SKIP_2) | instid1(VALU_DEP_1)
	s_or_b32 exec_lo, exec_lo, s15
	v_lshrrev_b32_e32 v8, 16, v5
	s_mov_b32 s15, exec_lo
	v_and_b32_e32 v6, 0xff, v8
	s_delay_alu instid0(VALU_DEP_1)
	v_cmpx_ne_u16_e32 0, v6
	s_cbranch_execz .LBB294_834
; %bb.827:                              ;   in Loop: Header=BB294_10 Depth=1
	v_mov_b32_e32 v7, 0x8000
	s_mov_b32 s16, exec_lo
	v_cmpx_ne_u16_e32 0x80, v6
	s_cbranch_execz .LBB294_833
; %bb.828:                              ;   in Loop: Header=BB294_10 Depth=1
	v_bfe_u32 v13, v5, 16, 7
	v_mov_b32_e32 v7, 0x7c01
	s_mov_b32 s17, exec_lo
	s_delay_alu instid0(VALU_DEP_2)
	v_cmpx_ne_u32_e32 0x7f, v13
	s_cbranch_execz .LBB294_832
; %bb.829:                              ;   in Loop: Header=BB294_10 Depth=1
	v_dual_lshrrev_b32 v10, 3, v13 :: v_dual_bitop2_b32 v6, 7, v8 bitop3:0x40
	s_mov_b32 s18, exec_lo
	v_cmpx_gt_u32_e32 8, v13
; %bb.830:                              ;   in Loop: Header=BB294_10 Depth=1
	s_delay_alu instid0(VALU_DEP_2) | instskip(NEXT) | instid1(VALU_DEP_1)
	v_clz_i32_u32_e32 v0, v6
	v_min_u32_e32 v0, 32, v0
	s_delay_alu instid0(VALU_DEP_1) | instskip(NEXT) | instid1(VALU_DEP_1)
	v_subrev_nc_u32_e32 v6, 28, v0
	v_lshlrev_b64_e32 v[102:103], v6, v[8:9]
	s_delay_alu instid0(VALU_DEP_1)
	v_dual_sub_nc_u32 v10, 29, v0 :: v_dual_bitop2_b32 v6, 7, v102 bitop3:0x40
; %bb.831:                              ;   in Loop: Header=BB294_10 Depth=1
	s_or_b32 exec_lo, exec_lo, s18
	s_delay_alu instid0(VALU_DEP_1) | instskip(NEXT) | instid1(VALU_DEP_2)
	v_dual_lshlrev_b32 v0, 8, v8 :: v_dual_lshlrev_b32 v6, 7, v6
	v_lshl_add_u32 v7, v10, 10, 0x2000
	s_delay_alu instid0(VALU_DEP_2) | instskip(NEXT) | instid1(VALU_DEP_2)
	v_and_b32_e32 v0, 0x8000, v0
	v_and_b32_e32 v7, 0xfc00, v7
	s_delay_alu instid0(VALU_DEP_1)
	v_or3_b32 v7, v0, v7, v6
.LBB294_832:                            ;   in Loop: Header=BB294_10 Depth=1
	s_or_b32 exec_lo, exec_lo, s17
.LBB294_833:                            ;   in Loop: Header=BB294_10 Depth=1
	s_delay_alu instid0(SALU_CYCLE_1)
	s_or_b32 exec_lo, exec_lo, s16
.LBB294_834:                            ;   in Loop: Header=BB294_10 Depth=1
	s_delay_alu instid0(SALU_CYCLE_1)
	s_or_b32 exec_lo, exec_lo, s15
	v_dual_mov_b32 v0, 0 :: v_dual_mov_b32 v13, 0
	s_mov_b32 s15, exec_lo
	v_cmpx_lt_u64_e64 s[2:3], v[4:5]
	s_cbranch_execz .LBB294_842
; %bb.835:                              ;   in Loop: Header=BB294_10 Depth=1
	v_lshrrev_b32_e32 v24, 24, v5
	v_bfrev_b32_e32 v13, 1
	s_mov_b32 s16, exec_lo
	s_delay_alu instid0(VALU_DEP_2)
	v_cmpx_ne_u32_e32 0x80, v24
	s_cbranch_execz .LBB294_841
; %bb.836:                              ;   in Loop: Header=BB294_10 Depth=1
	v_and_b32_e32 v6, 0x7f, v24
	v_mov_b32_e32 v13, 0x7c010000
	s_mov_b32 s17, exec_lo
	s_delay_alu instid0(VALU_DEP_2)
	v_cmpx_ne_u32_e32 0x7f, v6
	s_cbranch_execz .LBB294_840
; %bb.837:                              ;   in Loop: Header=BB294_10 Depth=1
	v_dual_lshrrev_b32 v5, 3, v6 :: v_dual_bitop2_b32 v4, 7, v24 bitop3:0x40
	s_mov_b32 s18, exec_lo
	v_cmpx_gt_u32_e32 8, v6
; %bb.838:                              ;   in Loop: Header=BB294_10 Depth=1
	s_delay_alu instid0(VALU_DEP_2) | instskip(NEXT) | instid1(VALU_DEP_1)
	v_clz_i32_u32_e32 v4, v4
	v_min_u32_e32 v6, 32, v4
	s_delay_alu instid0(VALU_DEP_1) | instskip(NEXT) | instid1(VALU_DEP_1)
	v_subrev_nc_u32_e32 v4, 28, v6
	v_lshlrev_b64_e32 v[4:5], v4, v[24:25]
	s_delay_alu instid0(VALU_DEP_1)
	v_dual_sub_nc_u32 v5, 29, v6 :: v_dual_bitop2_b32 v4, 7, v4 bitop3:0x40
; %bb.839:                              ;   in Loop: Header=BB294_10 Depth=1
	s_or_b32 exec_lo, exec_lo, s18
	v_lshlrev_b32_e32 v6, 8, v24
	s_delay_alu instid0(VALU_DEP_2) | instskip(NEXT) | instid1(VALU_DEP_3)
	v_lshl_add_u32 v5, v5, 10, 0x2000
	v_lshlrev_b32_e32 v4, 23, v4
	s_delay_alu instid0(VALU_DEP_2) | instskip(NEXT) | instid1(VALU_DEP_1)
	v_and_or_b32 v5, 0x8000, v6, v5
	v_lshl_or_b32 v13, v5, 16, v4
.LBB294_840:                            ;   in Loop: Header=BB294_10 Depth=1
	s_or_b32 exec_lo, exec_lo, s17
.LBB294_841:                            ;   in Loop: Header=BB294_10 Depth=1
	s_delay_alu instid0(SALU_CYCLE_1)
	s_or_b32 exec_lo, exec_lo, s16
.LBB294_842:                            ;   in Loop: Header=BB294_10 Depth=1
	s_delay_alu instid0(SALU_CYCLE_1)
	s_or_b32 exec_lo, exec_lo, s15
	flat_load_b64 v[2:3], v[2:3] offset:3080
	s_mov_b32 s15, exec_lo
	s_wait_loadcnt_dscnt 0x0
	v_and_b32_e32 v4, 0xff, v2
	s_wait_xcnt 0x0
	s_delay_alu instid0(VALU_DEP_1)
	v_cmpx_ne_u16_e32 0, v4
	s_cbranch_execz .LBB294_850
; %bb.843:                              ;   in Loop: Header=BB294_10 Depth=1
	v_mov_b32_e32 v0, 0x8000
	s_mov_b32 s16, exec_lo
	v_cmpx_ne_u16_e32 0x80, v4
	s_cbranch_execz .LBB294_849
; %bb.844:                              ;   in Loop: Header=BB294_10 Depth=1
	v_and_b32_e32 v6, 0x7f, v2
	v_mov_b32_e32 v0, 0x7c01
	s_mov_b32 s17, exec_lo
	s_delay_alu instid0(VALU_DEP_2)
	v_cmpx_ne_u32_e32 0x7f, v6
	s_cbranch_execz .LBB294_848
; %bb.845:                              ;   in Loop: Header=BB294_10 Depth=1
	v_and_b32_e32 v4, 7, v2
	v_lshrrev_b32_e32 v5, 3, v6
	s_mov_b32 s18, exec_lo
	v_cmpx_gt_u32_e32 8, v6
; %bb.846:                              ;   in Loop: Header=BB294_10 Depth=1
	s_delay_alu instid0(VALU_DEP_3) | instskip(NEXT) | instid1(VALU_DEP_1)
	v_clz_i32_u32_e32 v0, v4
	v_min_u32_e32 v0, 32, v0
	s_delay_alu instid0(VALU_DEP_1) | instskip(NEXT) | instid1(VALU_DEP_1)
	v_subrev_nc_u32_e32 v4, 28, v0
	v_lshlrev_b64_e32 v[4:5], v4, v[2:3]
	v_sub_nc_u32_e32 v5, 29, v0
	s_delay_alu instid0(VALU_DEP_2)
	v_and_b32_e32 v4, 7, v4
; %bb.847:                              ;   in Loop: Header=BB294_10 Depth=1
	s_or_b32 exec_lo, exec_lo, s18
	s_delay_alu instid0(VALU_DEP_1) | instskip(NEXT) | instid1(VALU_DEP_3)
	v_dual_lshlrev_b32 v0, 8, v2 :: v_dual_lshlrev_b32 v4, 7, v4
	v_lshl_add_u32 v5, v5, 10, 0x2000
	s_delay_alu instid0(VALU_DEP_2) | instskip(NEXT) | instid1(VALU_DEP_2)
	v_and_b32_e32 v0, 0x8000, v0
	v_and_b32_e32 v5, 0xfc00, v5
	s_delay_alu instid0(VALU_DEP_1)
	v_or3_b32 v0, v0, v5, v4
.LBB294_848:                            ;   in Loop: Header=BB294_10 Depth=1
	s_or_b32 exec_lo, exec_lo, s17
.LBB294_849:                            ;   in Loop: Header=BB294_10 Depth=1
	s_delay_alu instid0(SALU_CYCLE_1)
	s_or_b32 exec_lo, exec_lo, s16
.LBB294_850:                            ;   in Loop: Header=BB294_10 Depth=1
	s_delay_alu instid0(SALU_CYCLE_1)
	s_or_b32 exec_lo, exec_lo, s15
	v_lshrrev_b16 v24, 8, v2
	v_dual_mov_b32 v102, 0 :: v_dual_mov_b32 v10, 0
	scratch_store_b32 off, v0, s32 offset:264 ; 4-byte Folded Spill
	v_cmp_ne_u16_e64 s1, 0, v24
	s_wait_xcnt 0x0
	s_mov_b32 s15, exec_lo
	s_delay_alu instid0(SALU_CYCLE_1)
	s_and_b32 s1, s15, s1
	scratch_store_b32 off, v7, s32 offset:260 ; 4-byte Folded Spill
	s_wait_xcnt 0x0
	s_mov_b32 exec_lo, s1
	s_cbranch_execz .LBB294_858
; %bb.851:                              ;   in Loop: Header=BB294_10 Depth=1
	v_bfrev_b32_e32 v10, 1
	s_mov_b32 s16, exec_lo
	v_cmpx_ne_u16_e32 0x80, v24
	s_cbranch_execz .LBB294_857
; %bb.852:                              ;   in Loop: Header=BB294_10 Depth=1
	v_and_b32_e32 v4, 0xffff, v24
	v_mov_b32_e32 v10, 0x7c010000
	s_mov_b32 s17, exec_lo
	s_delay_alu instid0(VALU_DEP_2) | instskip(NEXT) | instid1(VALU_DEP_1)
	v_and_b32_e32 v16, 0x7f, v4
	v_cmpx_ne_u32_e32 0x7f, v16
	s_cbranch_execz .LBB294_856
; %bb.853:                              ;   in Loop: Header=BB294_10 Depth=1
	v_and_b32_e32 v5, 7, v4
	v_lshrrev_b32_e32 v6, 3, v16
	s_mov_b32 s18, exec_lo
	v_cmpx_gt_u32_e32 8, v16
; %bb.854:                              ;   in Loop: Header=BB294_10 Depth=1
	s_delay_alu instid0(VALU_DEP_3) | instskip(NEXT) | instid1(VALU_DEP_1)
	v_clz_i32_u32_e32 v5, v5
	v_min_u32_e32 v5, 32, v5
	s_delay_alu instid0(VALU_DEP_1) | instskip(NEXT) | instid1(VALU_DEP_1)
	v_subrev_nc_u32_e32 v6, 28, v5
	v_lshlrev_b64_e32 v[102:103], v6, v[24:25]
	s_delay_alu instid0(VALU_DEP_1)
	v_dual_sub_nc_u32 v6, 29, v5 :: v_dual_bitop2_b32 v5, 7, v102 bitop3:0x40
	v_mov_b32_e32 v102, 0
; %bb.855:                              ;   in Loop: Header=BB294_10 Depth=1
	s_or_b32 exec_lo, exec_lo, s18
	s_delay_alu instid0(VALU_DEP_2) | instskip(NEXT) | instid1(VALU_DEP_3)
	v_dual_lshlrev_b32 v4, 8, v4 :: v_dual_lshlrev_b32 v5, 23, v5
	v_lshl_add_u32 v6, v6, 10, 0x2000
	s_delay_alu instid0(VALU_DEP_1) | instskip(NEXT) | instid1(VALU_DEP_1)
	v_and_or_b32 v4, 0x8000, v4, v6
	v_lshl_or_b32 v10, v4, 16, v5
.LBB294_856:                            ;   in Loop: Header=BB294_10 Depth=1
	s_or_b32 exec_lo, exec_lo, s17
.LBB294_857:                            ;   in Loop: Header=BB294_10 Depth=1
	s_delay_alu instid0(SALU_CYCLE_1)
	s_or_b32 exec_lo, exec_lo, s16
.LBB294_858:                            ;   in Loop: Header=BB294_10 Depth=1
	s_delay_alu instid0(SALU_CYCLE_1) | instskip(SKIP_2) | instid1(VALU_DEP_1)
	s_or_b32 exec_lo, exec_lo, s15
	v_lshrrev_b32_e32 v4, 16, v2
	s_mov_b32 s15, exec_lo
	v_and_b32_e32 v5, 0xff, v4
	s_delay_alu instid0(VALU_DEP_1)
	v_cmpx_ne_u16_e32 0, v5
	s_cbranch_execz .LBB294_866
; %bb.859:                              ;   in Loop: Header=BB294_10 Depth=1
	v_mov_b32_e32 v102, 0x8000
	s_mov_b32 s16, exec_lo
	v_cmpx_ne_u16_e32 0x80, v5
	s_cbranch_execz .LBB294_865
; %bb.860:                              ;   in Loop: Header=BB294_10 Depth=1
	v_bfe_u32 v16, v2, 16, 7
	v_mov_b32_e32 v102, 0x7c01
	s_mov_b32 s17, exec_lo
	s_delay_alu instid0(VALU_DEP_2)
	v_cmpx_ne_u32_e32 0x7f, v16
	s_cbranch_execz .LBB294_864
; %bb.861:                              ;   in Loop: Header=BB294_10 Depth=1
	v_and_b32_e32 v5, 7, v4
	v_lshrrev_b32_e32 v6, 3, v16
	s_mov_b32 s18, exec_lo
	v_cmpx_gt_u32_e32 8, v16
; %bb.862:                              ;   in Loop: Header=BB294_10 Depth=1
	s_delay_alu instid0(VALU_DEP_3) | instskip(NEXT) | instid1(VALU_DEP_1)
	v_clz_i32_u32_e32 v5, v5
	v_min_u32_e32 v5, 32, v5
	s_delay_alu instid0(VALU_DEP_1) | instskip(NEXT) | instid1(VALU_DEP_1)
	v_subrev_nc_u32_e32 v6, 28, v5
	v_lshlrev_b64_e32 v[102:103], v6, v[4:5]
	s_delay_alu instid0(VALU_DEP_1)
	v_dual_sub_nc_u32 v6, 29, v5 :: v_dual_bitop2_b32 v5, 7, v102 bitop3:0x40
; %bb.863:                              ;   in Loop: Header=BB294_10 Depth=1
	s_or_b32 exec_lo, exec_lo, s18
	s_delay_alu instid0(VALU_DEP_1) | instskip(NEXT) | instid1(VALU_DEP_2)
	v_dual_lshlrev_b32 v4, 8, v4 :: v_dual_lshlrev_b32 v5, 7, v5
	v_lshl_add_u32 v6, v6, 10, 0x2000
	s_delay_alu instid0(VALU_DEP_2) | instskip(NEXT) | instid1(VALU_DEP_2)
	v_and_b32_e32 v4, 0x8000, v4
	v_and_b32_e32 v6, 0xfc00, v6
	s_delay_alu instid0(VALU_DEP_1)
	v_or3_b32 v102, v4, v6, v5
.LBB294_864:                            ;   in Loop: Header=BB294_10 Depth=1
	s_or_b32 exec_lo, exec_lo, s17
.LBB294_865:                            ;   in Loop: Header=BB294_10 Depth=1
	s_delay_alu instid0(SALU_CYCLE_1)
	s_or_b32 exec_lo, exec_lo, s16
.LBB294_866:                            ;   in Loop: Header=BB294_10 Depth=1
	s_delay_alu instid0(SALU_CYCLE_1)
	s_or_b32 exec_lo, exec_lo, s15
	v_dual_mov_b32 v14, 0 :: v_dual_mov_b32 v16, 0
	s_mov_b32 s15, exec_lo
	v_cmpx_lt_u32_e32 0xffffff, v2
	s_cbranch_execz .LBB294_874
; %bb.867:                              ;   in Loop: Header=BB294_10 Depth=1
	v_lshrrev_b32_e32 v24, 24, v2
	v_bfrev_b32_e32 v16, 1
	s_mov_b32 s16, exec_lo
	s_delay_alu instid0(VALU_DEP_2)
	v_cmpx_ne_u32_e32 0x80, v24
	s_cbranch_execz .LBB294_873
; %bb.868:                              ;   in Loop: Header=BB294_10 Depth=1
	v_and_b32_e32 v6, 0x7f, v24
	v_mov_b32_e32 v16, 0x7c010000
	s_mov_b32 s17, exec_lo
	s_delay_alu instid0(VALU_DEP_2)
	v_cmpx_ne_u32_e32 0x7f, v6
	s_cbranch_execz .LBB294_872
; %bb.869:                              ;   in Loop: Header=BB294_10 Depth=1
	v_dual_lshrrev_b32 v5, 3, v6 :: v_dual_bitop2_b32 v4, 7, v24 bitop3:0x40
	s_mov_b32 s18, exec_lo
	v_cmpx_gt_u32_e32 8, v6
; %bb.870:                              ;   in Loop: Header=BB294_10 Depth=1
	s_delay_alu instid0(VALU_DEP_2) | instskip(NEXT) | instid1(VALU_DEP_1)
	v_clz_i32_u32_e32 v4, v4
	v_min_u32_e32 v6, 32, v4
	s_delay_alu instid0(VALU_DEP_1) | instskip(NEXT) | instid1(VALU_DEP_1)
	v_subrev_nc_u32_e32 v4, 28, v6
	v_lshlrev_b64_e32 v[4:5], v4, v[24:25]
	s_delay_alu instid0(VALU_DEP_1)
	v_dual_sub_nc_u32 v5, 29, v6 :: v_dual_bitop2_b32 v4, 7, v4 bitop3:0x40
; %bb.871:                              ;   in Loop: Header=BB294_10 Depth=1
	s_or_b32 exec_lo, exec_lo, s18
	v_lshlrev_b32_e32 v6, 8, v24
	s_delay_alu instid0(VALU_DEP_2) | instskip(NEXT) | instid1(VALU_DEP_3)
	v_lshl_add_u32 v5, v5, 10, 0x2000
	v_lshlrev_b32_e32 v4, 23, v4
	s_delay_alu instid0(VALU_DEP_2) | instskip(NEXT) | instid1(VALU_DEP_1)
	v_and_or_b32 v5, 0x8000, v6, v5
	v_lshl_or_b32 v16, v5, 16, v4
.LBB294_872:                            ;   in Loop: Header=BB294_10 Depth=1
	s_or_b32 exec_lo, exec_lo, s17
.LBB294_873:                            ;   in Loop: Header=BB294_10 Depth=1
	s_delay_alu instid0(SALU_CYCLE_1)
	s_or_b32 exec_lo, exec_lo, s16
.LBB294_874:                            ;   in Loop: Header=BB294_10 Depth=1
	s_delay_alu instid0(SALU_CYCLE_1) | instskip(SKIP_3) | instid1(VALU_DEP_2)
	s_or_b32 exec_lo, exec_lo, s15
	v_and_b32_e32 v4, 0xff, v3
	v_mov_b32_e32 v24, v3
	s_mov_b32 s15, exec_lo
	v_cmpx_ne_u16_e32 0, v4
	s_cbranch_execz .LBB294_882
; %bb.875:                              ;   in Loop: Header=BB294_10 Depth=1
	v_mov_b32_e32 v14, 0x8000
	s_mov_b32 s16, exec_lo
	v_cmpx_ne_u16_e32 0x80, v4
	s_cbranch_execz .LBB294_881
; %bb.876:                              ;   in Loop: Header=BB294_10 Depth=1
	v_and_b32_e32 v6, 0x7f, v3
	v_mov_b32_e32 v14, 0x7c01
	s_mov_b32 s17, exec_lo
	s_delay_alu instid0(VALU_DEP_2)
	v_cmpx_ne_u32_e32 0x7f, v6
	s_cbranch_execz .LBB294_880
; %bb.877:                              ;   in Loop: Header=BB294_10 Depth=1
	v_dual_lshrrev_b32 v5, 3, v6 :: v_dual_bitop2_b32 v4, 7, v3 bitop3:0x40
	s_mov_b32 s18, exec_lo
	v_cmpx_gt_u32_e32 8, v6
; %bb.878:                              ;   in Loop: Header=BB294_10 Depth=1
	s_delay_alu instid0(VALU_DEP_2) | instskip(NEXT) | instid1(VALU_DEP_1)
	v_clz_i32_u32_e32 v4, v4
	v_min_u32_e32 v6, 32, v4
	s_delay_alu instid0(VALU_DEP_1) | instskip(NEXT) | instid1(VALU_DEP_1)
	v_subrev_nc_u32_e32 v4, 28, v6
	v_lshlrev_b64_e32 v[4:5], v4, v[24:25]
	s_delay_alu instid0(VALU_DEP_1)
	v_dual_sub_nc_u32 v5, 29, v6 :: v_dual_bitop2_b32 v4, 7, v4 bitop3:0x40
; %bb.879:                              ;   in Loop: Header=BB294_10 Depth=1
	s_or_b32 exec_lo, exec_lo, s18
	s_delay_alu instid0(VALU_DEP_1) | instskip(NEXT) | instid1(VALU_DEP_2)
	v_dual_lshlrev_b32 v6, 8, v3 :: v_dual_lshlrev_b32 v4, 7, v4
	v_lshl_add_u32 v5, v5, 10, 0x2000
	s_delay_alu instid0(VALU_DEP_2) | instskip(NEXT) | instid1(VALU_DEP_2)
	v_and_b32_e32 v6, 0x8000, v6
	v_and_b32_e32 v5, 0xfc00, v5
	s_delay_alu instid0(VALU_DEP_1)
	v_or3_b32 v14, v6, v5, v4
.LBB294_880:                            ;   in Loop: Header=BB294_10 Depth=1
	s_or_b32 exec_lo, exec_lo, s17
.LBB294_881:                            ;   in Loop: Header=BB294_10 Depth=1
	s_delay_alu instid0(SALU_CYCLE_1)
	s_or_b32 exec_lo, exec_lo, s16
.LBB294_882:                            ;   in Loop: Header=BB294_10 Depth=1
	s_delay_alu instid0(SALU_CYCLE_1) | instskip(SKIP_3) | instid1(VALU_DEP_2)
	s_or_b32 exec_lo, exec_lo, s15
	v_lshrrev_b16 v24, 8, v24
	v_dual_mov_b32 v23, 0 :: v_dual_mov_b32 v6, 0
	s_mov_b32 s15, exec_lo
	v_cmpx_ne_u16_e32 0, v24
	s_cbranch_execz .LBB294_890
; %bb.883:                              ;   in Loop: Header=BB294_10 Depth=1
	v_bfrev_b32_e32 v6, 1
	s_mov_b32 s16, exec_lo
	v_cmpx_ne_u16_e32 0x80, v24
	s_cbranch_execz .LBB294_889
; %bb.884:                              ;   in Loop: Header=BB294_10 Depth=1
	v_and_b32_e32 v4, 0xffff, v24
	v_mov_b32_e32 v0, v101
	v_mov_b32_e32 v6, 0x7c010000
	s_mov_b32 s17, exec_lo
	s_delay_alu instid0(VALU_DEP_3) | instskip(NEXT) | instid1(VALU_DEP_1)
	v_and_b32_e32 v101, 0x7f, v4
	v_cmpx_ne_u32_e32 0x7f, v101
	s_cbranch_execz .LBB294_888
; %bb.885:                              ;   in Loop: Header=BB294_10 Depth=1
	v_dual_lshrrev_b32 v6, 3, v101 :: v_dual_bitop2_b32 v5, 7, v4 bitop3:0x40
	s_mov_b32 s18, exec_lo
	v_cmpx_gt_u32_e32 8, v101
	s_cbranch_execz .LBB294_887
; %bb.886:                              ;   in Loop: Header=BB294_10 Depth=1
	s_delay_alu instid0(VALU_DEP_2) | instskip(NEXT) | instid1(VALU_DEP_1)
	v_clz_i32_u32_e32 v5, v5
	v_min_u32_e32 v5, 32, v5
	v_mov_b32_e32 v7, v102
	s_delay_alu instid0(VALU_DEP_2) | instskip(NEXT) | instid1(VALU_DEP_1)
	v_subrev_nc_u32_e32 v6, 28, v5
	v_lshlrev_b64_e32 v[102:103], v6, v[24:25]
	s_delay_alu instid0(VALU_DEP_1) | instskip(NEXT) | instid1(VALU_DEP_4)
	v_dual_sub_nc_u32 v6, 29, v5 :: v_dual_bitop2_b32 v5, 7, v102 bitop3:0x40
	v_mov_b32_e32 v102, v7
.LBB294_887:                            ;   in Loop: Header=BB294_10 Depth=1
	s_or_b32 exec_lo, exec_lo, s18
	s_delay_alu instid0(VALU_DEP_2) | instskip(NEXT) | instid1(VALU_DEP_3)
	v_dual_lshlrev_b32 v4, 8, v4 :: v_dual_lshlrev_b32 v5, 23, v5
	v_lshl_add_u32 v6, v6, 10, 0x2000
	s_delay_alu instid0(VALU_DEP_1) | instskip(NEXT) | instid1(VALU_DEP_1)
	v_and_or_b32 v4, 0x8000, v4, v6
	v_lshl_or_b32 v6, v4, 16, v5
.LBB294_888:                            ;   in Loop: Header=BB294_10 Depth=1
	s_or_b32 exec_lo, exec_lo, s17
	v_mov_b32_e32 v101, v0
.LBB294_889:                            ;   in Loop: Header=BB294_10 Depth=1
	s_or_b32 exec_lo, exec_lo, s16
.LBB294_890:                            ;   in Loop: Header=BB294_10 Depth=1
	s_delay_alu instid0(SALU_CYCLE_1) | instskip(SKIP_2) | instid1(VALU_DEP_1)
	s_or_b32 exec_lo, exec_lo, s15
	v_lshrrev_b32_e32 v4, 16, v3
	s_mov_b32 s15, exec_lo
	v_and_b32_e32 v5, 0xff, v4
	s_delay_alu instid0(VALU_DEP_1)
	v_cmpx_ne_u16_e32 0, v5
	s_cbranch_execz .LBB294_898
; %bb.891:                              ;   in Loop: Header=BB294_10 Depth=1
	v_mov_b32_e32 v23, 0x8000
	s_mov_b32 s16, exec_lo
	v_cmpx_ne_u16_e32 0x80, v5
	s_cbranch_execz .LBB294_897
; %bb.892:                              ;   in Loop: Header=BB294_10 Depth=1
	v_bfe_u32 v24, v3, 16, 7
	v_mov_b32_e32 v23, 0x7c01
	s_mov_b32 s17, exec_lo
	s_delay_alu instid0(VALU_DEP_2)
	v_cmpx_ne_u32_e32 0x7f, v24
	s_cbranch_execz .LBB294_896
; %bb.893:                              ;   in Loop: Header=BB294_10 Depth=1
	v_and_b32_e32 v5, 7, v4
	v_lshrrev_b32_e32 v23, 3, v24
	s_mov_b32 s18, exec_lo
	v_cmpx_gt_u32_e32 8, v24
; %bb.894:                              ;   in Loop: Header=BB294_10 Depth=1
	s_delay_alu instid0(VALU_DEP_3) | instskip(NEXT) | instid1(VALU_DEP_1)
	v_clz_i32_u32_e32 v5, v5
	v_min_u32_e32 v5, 32, v5
	s_delay_alu instid0(VALU_DEP_1) | instskip(SKIP_1) | instid1(VALU_DEP_1)
	v_dual_mov_b32 v0, v102 :: v_dual_sub_nc_u32 v23, 29, v5
	v_subrev_nc_u32_e32 v8, 28, v5
	v_lshlrev_b64_e32 v[102:103], v8, v[4:5]
	s_delay_alu instid0(VALU_DEP_1)
	v_dual_mov_b32 v102, v0 :: v_dual_bitop2_b32 v5, 7, v102 bitop3:0x40
; %bb.895:                              ;   in Loop: Header=BB294_10 Depth=1
	s_or_b32 exec_lo, exec_lo, s18
	s_delay_alu instid0(VALU_DEP_1) | instskip(SKIP_1) | instid1(VALU_DEP_2)
	v_dual_lshlrev_b32 v4, 8, v4 :: v_dual_lshlrev_b32 v5, 7, v5
	v_lshl_add_u32 v8, v23, 10, 0x2000
	v_and_b32_e32 v4, 0x8000, v4
	s_delay_alu instid0(VALU_DEP_2) | instskip(NEXT) | instid1(VALU_DEP_1)
	v_and_b32_e32 v8, 0xfc00, v8
	v_or3_b32 v23, v4, v8, v5
.LBB294_896:                            ;   in Loop: Header=BB294_10 Depth=1
	s_or_b32 exec_lo, exec_lo, s17
.LBB294_897:                            ;   in Loop: Header=BB294_10 Depth=1
	s_delay_alu instid0(SALU_CYCLE_1)
	s_or_b32 exec_lo, exec_lo, s16
.LBB294_898:                            ;   in Loop: Header=BB294_10 Depth=1
	s_delay_alu instid0(SALU_CYCLE_1)
	s_or_b32 exec_lo, exec_lo, s15
	s_clause 0xa
	scratch_store_b32 off, v6, s32 offset:272
	scratch_store_b32 off, v102, s32 offset:268
	;; [unrolled: 1-line block ×11, first 2 shown]
	s_wait_xcnt 0x0
	v_dual_mov_b32 v27, v106 :: v_dual_mov_b32 v7, v20
	v_dual_mov_b32 v20, v28 :: v_dual_mov_b32 v0, v21
	;; [unrolled: 1-line block ×8, first 2 shown]
	scratch_store_b32 off, v92, s32 offset:220 ; 4-byte Folded Spill
	v_cmp_lt_u64_e64 s1, s[2:3], v[2:3]
	s_wait_xcnt 0x0
	s_mov_b32 s15, exec_lo
	v_dual_mov_b32 v12, v113 :: v_dual_mov_b32 v126, v114
	s_and_b32 s1, s15, s1
	s_delay_alu instid0(SALU_CYCLE_1)
	s_mov_b32 exec_lo, s1
	s_cbranch_execz .LBB294_9
; %bb.899:                              ;   in Loop: Header=BB294_10 Depth=1
	v_lshrrev_b32_e32 v24, 24, v3
	v_bfrev_b32_e32 v6, 1
	s_mov_b32 s16, exec_lo
	s_delay_alu instid0(VALU_DEP_2)
	v_cmpx_ne_u32_e32 0x80, v24
	s_cbranch_execz .LBB294_8
; %bb.900:                              ;   in Loop: Header=BB294_10 Depth=1
	v_and_b32_e32 v4, 0x7f, v24
	v_mov_b32_e32 v6, 0x7c010000
	s_mov_b32 s17, exec_lo
	s_delay_alu instid0(VALU_DEP_2)
	v_cmpx_ne_u32_e32 0x7f, v4
	s_cbranch_execz .LBB294_7
; %bb.901:                              ;   in Loop: Header=BB294_10 Depth=1
	v_and_b32_e32 v2, 7, v24
	v_lshrrev_b32_e32 v3, 3, v4
	s_mov_b32 s18, exec_lo
	v_cmpx_gt_u32_e32 8, v4
	s_cbranch_execz .LBB294_6
; %bb.902:                              ;   in Loop: Header=BB294_10 Depth=1
	v_clz_i32_u32_e32 v2, v2
	s_delay_alu instid0(VALU_DEP_1) | instskip(NEXT) | instid1(VALU_DEP_1)
	v_min_u32_e32 v4, 32, v2
	v_subrev_nc_u32_e32 v2, 28, v4
	s_delay_alu instid0(VALU_DEP_1) | instskip(NEXT) | instid1(VALU_DEP_1)
	v_lshlrev_b64_e32 v[2:3], v2, v[24:25]
	v_dual_sub_nc_u32 v3, 29, v4 :: v_dual_bitop2_b32 v2, 7, v2 bitop3:0x40
	s_branch .LBB294_6
.LBB294_903:
	s_or_b32 exec_lo, exec_lo, s7
	s_clause 0x1
	scratch_load_b32 v13, off, s32 offset:320
	scratch_load_b32 v10, off, s32 offset:368
.LBB294_904:
	s_wait_xcnt 0x0
	s_or_b32 exec_lo, exec_lo, s14
	v_mbcnt_lo_u32_b32 v0, -1, 0
	s_delay_alu instid0(VALU_DEP_1) | instskip(SKIP_1) | instid1(VALU_DEP_2)
	v_dual_max_num_f32 v4, v11, v11 :: v_dual_bitop2_b32 v1, 16, v0 bitop3:0x14
	v_xor_b32_e32 v3, 8, v0
	v_cmp_gt_i32_e32 vcc_lo, 32, v1
	v_cndmask_b32_e32 v1, v0, v1, vcc_lo
	s_delay_alu instid0(VALU_DEP_3) | instskip(NEXT) | instid1(VALU_DEP_2)
	v_cmp_gt_i32_e32 vcc_lo, 32, v3
	v_dual_lshlrev_b32 v1, 2, v1 :: v_dual_cndmask_b32 v3, v0, v3, vcc_lo
	ds_bpermute_b32 v2, v1, v11
	s_wait_dscnt 0x0
	v_dual_max_num_f32 v5, v2, v2 :: v_dual_lshlrev_b32 v2, 2, v3
	s_delay_alu instid0(VALU_DEP_1) | instskip(SKIP_4) | instid1(VALU_DEP_1)
	v_dual_max_num_f32 v4, v4, v5 :: v_dual_bitop2_b32 v5, 4, v0 bitop3:0x14
	ds_bpermute_b32 v3, v2, v4
	v_cmp_gt_i32_e32 vcc_lo, 32, v5
	s_wait_dscnt 0x0
	v_dual_cndmask_b32 v5, v0, v5 :: v_dual_max_num_f32 v6, v3, v3
	v_dual_max_num_f32 v4, v4, v6 :: v_dual_lshlrev_b32 v3, 2, v5
	ds_bpermute_b32 v5, v3, v4
	s_wait_dscnt 0x0
	v_dual_max_num_f32 v5, v5, v5 :: v_dual_bitop2_b32 v6, 2, v0 bitop3:0x14
	s_delay_alu instid0(VALU_DEP_1) | instskip(NEXT) | instid1(VALU_DEP_2)
	v_cmp_gt_i32_e32 vcc_lo, 32, v6
	v_max_num_f32_e32 v4, v4, v5
	v_cndmask_b32_e32 v6, v0, v6, vcc_lo
	s_delay_alu instid0(VALU_DEP_1) | instskip(SKIP_3) | instid1(VALU_DEP_1)
	v_lshlrev_b32_e32 v49, 2, v6
	ds_bpermute_b32 v5, v49, v4
	s_wait_dscnt 0x0
	v_dual_max_num_f32 v5, v5, v5 :: v_dual_bitop2_b32 v6, 1, v0 bitop3:0x14
	v_cmp_gt_i32_e32 vcc_lo, 32, v6
	v_cndmask_b32_e32 v6, v0, v6, vcc_lo
	s_delay_alu instid0(VALU_DEP_3)
	v_max_num_f32_e32 v0, v4, v5
	scratch_load_b32 v4, off, s32 offset:312 ; 4-byte Folded Reload
	s_wait_loadcnt 0x0
	v_cmp_eq_u32_e32 vcc_lo, 0, v4
	scratch_load_b32 v4, off, s32 offset:316 ; 4-byte Folded Reload
	s_wait_loadcnt 0x0
	v_dual_lshlrev_b32 v4, 2, v4 :: v_dual_lshlrev_b32 v48, 2, v6
	ds_bpermute_b32 v5, v48, v0
	s_wait_xcnt 0x0
	s_and_saveexec_b32 s1, vcc_lo
	s_cbranch_execz .LBB294_906
; %bb.905:
	s_wait_dscnt 0x0
	v_dual_max_num_f32 v5, v5, v5 :: v_dual_max_num_f32 v0, v0, v0
	s_delay_alu instid0(VALU_DEP_1)
	v_max_num_f32_e32 v0, v0, v5
	ds_store_b32 v4, v0 offset:224
.LBB294_906:
	s_or_b32 exec_lo, exec_lo, s1
	scratch_load_b32 v0, off, s32 offset:312 ; 4-byte Folded Reload
	s_wait_storecnt 0x0
	s_wait_loadcnt_dscnt 0x0
	s_barrier_signal -1
	s_barrier_wait -1
	v_cmp_gt_u32_e64 s1, 4, v0
	v_mov_b32_e32 v0, 0xff7fffff
	s_and_saveexec_b32 s2, s1
; %bb.907:
	ds_load_b32 v0, v10 offset:224
; %bb.908:
	s_or_b32 exec_lo, exec_lo, s2
	s_wait_dscnt 0x0
	ds_bpermute_b32 v5, v49, v0
	s_wait_dscnt 0x0
	v_dual_max_num_f32 v0, v0, v0 :: v_dual_max_num_f32 v5, v5, v5
	s_delay_alu instid0(VALU_DEP_1) | instskip(SKIP_3) | instid1(VALU_DEP_1)
	v_max_num_f32_e32 v0, v0, v5
	ds_bpermute_b32 v5, v48, v0
	s_wait_dscnt 0x0
	v_max_num_f32_e32 v5, v5, v5
	v_dual_max_num_f32 v0, v0, v5 :: v_dual_mov_b32 v5, 0
	ds_bpermute_b32 v6, v5, v0
	v_lshlrev_b32_e32 v0, 5, v44
	s_delay_alu instid0(VALU_DEP_1) | instskip(NEXT) | instid1(VALU_DEP_1)
	v_min_i32_e32 v0, v0, v124
	v_cmp_lt_i32_e64 s2, v13, v0
	s_and_saveexec_b32 s14, s2
	s_cbranch_execz .LBB294_912
; %bb.909:
	s_ashr_i32 s7, s6, 31
	v_dual_mov_b32 v5, 0 :: v_dual_mov_b32 v8, v13
	s_lshl_b64 s[16:17], s[6:7], 2
	s_mov_b32 s7, 0
	s_add_nc_u64 s[16:17], s[8:9], s[16:17]
	s_load_b32 s3, s[16:17], 0x0
	s_wait_kmcnt 0x0
	v_lshl_add_u32 v7, v13, 2, s3
.LBB294_910:                            ; =>This Inner Loop Header: Depth=1
	ds_load_b32 v9, v7
	v_add_nc_u32_e32 v8, 0x80, v8
	s_delay_alu instid0(VALU_DEP_1) | instskip(SKIP_3) | instid1(VALU_DEP_1)
	v_cmp_ge_i32_e64 s3, v8, v0
	s_or_b32 s7, s3, s7
	s_wait_dscnt 0x0
	v_sub_f32_e32 v9, v9, v6
	v_mul_f32_e32 v9, 0x3fb8aa3b, v9
	s_delay_alu instid0(VALU_DEP_1)
	v_exp_f32_e32 v9, v9
	ds_store_b32 v7, v9
	v_nop
	v_add_f32_e32 v5, v5, v9
	v_add_nc_u32_e32 v7, 0x200, v7
	s_and_not1_b32 exec_lo, exec_lo, s7
	s_cbranch_execnz .LBB294_910
; %bb.911:
	s_or_b32 exec_lo, exec_lo, s7
.LBB294_912:
	s_delay_alu instid0(SALU_CYCLE_1)
	s_or_b32 exec_lo, exec_lo, s14
	ds_bpermute_b32 v1, v1, v5
	s_wait_dscnt 0x0
	v_add_f32_e32 v1, v5, v1
	ds_bpermute_b32 v2, v2, v1
	s_wait_dscnt 0x0
	v_add_f32_e32 v1, v1, v2
	ds_bpermute_b32 v2, v3, v1
	s_wait_dscnt 0x0
	v_add_f32_e32 v1, v1, v2
	ds_bpermute_b32 v2, v49, v1
	s_wait_dscnt 0x0
	v_add_f32_e32 v1, v1, v2
	ds_bpermute_b32 v2, v48, v1
	s_wait_dscnt 0x0
	v_add_f32_e32 v1, v1, v2
	s_and_saveexec_b32 s3, vcc_lo
; %bb.913:
	ds_store_b32 v4, v1 offset:240
; %bb.914:
	s_or_b32 exec_lo, exec_lo, s3
	s_wait_dscnt 0x0
	s_barrier_signal -1
	s_barrier_wait -1
	s_and_saveexec_b32 s3, s1
; %bb.915:
	ds_load_b32 v1, v10 offset:240
; %bb.916:
	s_or_b32 exec_lo, exec_lo, s3
	s_wait_dscnt 0x0
	ds_bpermute_b32 v2, v49, v1
	s_wait_dscnt 0x0
	v_add_f32_e32 v1, v1, v2
	ds_bpermute_b32 v2, v48, v1
	s_wait_dscnt 0x0
	v_dual_add_f32 v1, v1, v2 :: v_dual_mov_b32 v2, 0
	ds_bpermute_b32 v1, v2, v1
	s_and_saveexec_b32 s1, s2
	s_cbranch_execz .LBB294_929
; %bb.917:
	s_wait_dscnt 0x0
	v_add_f32_e32 v1, 0x358637bd, v1
	s_mov_b32 s3, -1
	s_mov_b32 s2, exec_lo
	s_delay_alu instid0(VALU_DEP_1) | instskip(NEXT) | instid1(VALU_DEP_1)
	v_div_scale_f32 v2, null, v1, v1, 1.0
	v_rcp_f32_e32 v4, v2
	v_nop
	s_delay_alu instid0(TRANS32_DEP_1) | instskip(NEXT) | instid1(VALU_DEP_1)
	v_fma_f32 v3, -v2, v4, 1.0
	v_fmac_f32_e32 v4, v3, v4
	v_div_scale_f32 v5, vcc_lo, 1.0, v1, 1.0
	s_delay_alu instid0(VALU_DEP_1) | instskip(NEXT) | instid1(VALU_DEP_1)
	v_mul_f32_e32 v6, v5, v4
	v_fma_f32 v3, -v2, v6, v5
	s_delay_alu instid0(VALU_DEP_1) | instskip(SKIP_1) | instid1(VALU_DEP_2)
	v_fmac_f32_e32 v6, v3, v4
	v_xad_u32 v3, v13, -1, v0
	v_fma_f32 v2, -v2, v6, v5
	s_delay_alu instid0(VALU_DEP_1) | instskip(NEXT) | instid1(VALU_DEP_1)
	v_div_fmas_f32 v2, v2, v4, v6
	v_div_fixup_f32 v2, v2, v1, 1.0
	v_mov_b32_e32 v1, v13
	v_cmpx_lt_u32_e32 0x7f, v3
	s_cbranch_execz .LBB294_926
; %bb.918:
	s_delay_alu instid0(VALU_DEP_3) | instskip(NEXT) | instid1(VALU_DEP_1)
	v_dual_lshrrev_b32 v1, 7, v3 :: v_dual_mov_b32 v3, v2
	v_dual_mov_b32 v7, 0 :: v_dual_add_nc_u32 v4, -1, v1
	s_delay_alu instid0(VALU_DEP_1) | instskip(SKIP_1) | instid1(VALU_DEP_2)
	v_lshrrev_b32_e32 v5, 1, v4
	v_cmp_lt_u32_e32 vcc_lo, 13, v4
	v_add_nc_u32_e32 v4, 1, v5
	s_and_saveexec_b32 s3, vcc_lo
	s_cbranch_execz .LBB294_922
; %bb.919:
	s_ashr_i32 s7, s6, 31
	s_delay_alu instid0(VALU_DEP_1) | instskip(SKIP_1) | instid1(SALU_CYCLE_1)
	v_and_b32_e32 v5, -8, v4
	s_lshl_b64 s[14:15], s[6:7], 2
	s_add_nc_u64 s[14:15], s[8:9], s[14:15]
	s_load_b32 s7, s[14:15], 0x0
	s_wait_xcnt 0x0
	s_mov_b32 s14, 0
	s_wait_kmcnt 0x0
	v_lshl_add_u32 v6, v13, 2, s7
	s_mov_b32 s7, 0
.LBB294_920:                            ; =>This Inner Loop Header: Depth=1
	ds_load_2addr_stride64_b32 v[8:9], v6 offset1:2
	ds_load_2addr_stride64_b32 v[10:11], v6 offset0:4 offset1:6
	ds_load_2addr_stride64_b32 v[14:15], v6 offset0:8 offset1:10
	;; [unrolled: 1-line block ×7, first 2 shown]
	s_add_co_i32 s14, s14, 16
	s_delay_alu instid0(SALU_CYCLE_1) | instskip(NEXT) | instid1(VALU_DEP_1)
	v_dual_add_nc_u32 v5, -8, v5 :: v_dual_mov_b32 v7, s14
	v_cmp_eq_u32_e32 vcc_lo, 0, v5
	s_or_b32 s7, vcc_lo, s7
	s_wait_dscnt 0x7
	v_pk_mul_f32 v[8:9], v[2:3], v[8:9]
	s_wait_dscnt 0x6
	v_pk_mul_f32 v[10:11], v[2:3], v[10:11]
	;; [unrolled: 2-line block ×8, first 2 shown]
	ds_store_2addr_stride64_b32 v6, v8, v9 offset1:2
	ds_store_2addr_stride64_b32 v6, v10, v11 offset0:4 offset1:6
	ds_store_2addr_stride64_b32 v6, v14, v15 offset0:8 offset1:10
	;; [unrolled: 1-line block ×7, first 2 shown]
	v_add_nc_u32_e32 v6, 0x2000, v6
	s_and_not1_b32 exec_lo, exec_lo, s7
	s_cbranch_execnz .LBB294_920
; %bb.921:
	s_or_b32 exec_lo, exec_lo, s7
	scratch_load_b32 v13, off, s32 offset:320 ; 4-byte Folded Reload
.LBB294_922:
	s_wait_xcnt 0x0
	s_or_b32 exec_lo, exec_lo, s3
	v_and_b32_e32 v4, 7, v4
	s_mov_b32 s14, 0
	s_mov_b32 s3, exec_lo
	s_delay_alu instid0(VALU_DEP_1)
	v_cmpx_ne_u32_e32 0, v4
	s_cbranch_execz .LBB294_925
; %bb.923:
	s_ashr_i32 s7, s6, 31
	s_wait_loadcnt 0x0
	v_dual_lshlrev_b32 v5, 9, v7 :: v_dual_lshlrev_b32 v6, 2, v13
	s_lshl_b64 s[16:17], s[6:7], 2
	s_delay_alu instid0(SALU_CYCLE_1)
	s_add_nc_u64 s[16:17], s[8:9], s[16:17]
	s_load_b32 s7, s[16:17], 0x0
	s_wait_kmcnt 0x0
	v_add3_u32 v5, v5, v6, s7
.LBB294_924:                            ; =>This Inner Loop Header: Depth=1
	ds_load_2addr_stride64_b32 v[6:7], v5 offset1:2
	v_add_nc_u32_e32 v4, -1, v4
	s_delay_alu instid0(VALU_DEP_1)
	v_cmp_eq_u32_e32 vcc_lo, 0, v4
	s_or_b32 s14, vcc_lo, s14
	s_wait_dscnt 0x0
	v_pk_mul_f32 v[6:7], v[2:3], v[6:7]
	ds_store_2addr_stride64_b32 v5, v6, v7 offset1:2
	v_add_nc_u32_e32 v5, 0x400, v5
	s_and_not1_b32 exec_lo, exec_lo, s14
	s_cbranch_execnz .LBB294_924
.LBB294_925:
	s_or_b32 exec_lo, exec_lo, s3
	v_add_nc_u32_e32 v1, 1, v1
	s_delay_alu instid0(VALU_DEP_1) | instskip(NEXT) | instid1(VALU_DEP_1)
	v_and_b32_e32 v3, 0x3fffffe, v1
	v_cmp_ne_u32_e32 vcc_lo, v1, v3
	s_wait_loadcnt 0x0
	v_lshl_add_u32 v1, v3, 7, v13
	s_or_not1_b32 s3, vcc_lo, exec_lo
.LBB294_926:
	s_or_b32 exec_lo, exec_lo, s2
	s_delay_alu instid0(SALU_CYCLE_1)
	s_and_b32 exec_lo, exec_lo, s3
	s_cbranch_execz .LBB294_929
; %bb.927:
	s_ashr_i32 s7, s6, 31
	s_delay_alu instid0(SALU_CYCLE_1) | instskip(NEXT) | instid1(SALU_CYCLE_1)
	s_lshl_b64 s[2:3], s[6:7], 2
	s_add_nc_u64 s[2:3], s[8:9], s[2:3]
	s_load_b32 s2, s[2:3], 0x0
	s_wait_kmcnt 0x0
	v_lshl_add_u32 v3, v1, 2, s2
	s_mov_b32 s2, 0
.LBB294_928:                            ; =>This Inner Loop Header: Depth=1
	ds_load_b32 v4, v3
	s_wait_dscnt 0x0
	v_dual_mul_f32 v4, v2, v4 :: v_dual_add_nc_u32 v1, 0x80, v1
	s_delay_alu instid0(VALU_DEP_1) | instskip(SKIP_3) | instid1(SALU_CYCLE_1)
	v_cmp_ge_i32_e32 vcc_lo, v1, v0
	ds_store_b32 v3, v4
	v_add_nc_u32_e32 v3, 0x200, v3
	s_or_b32 s2, vcc_lo, s2
	s_and_not1_b32 exec_lo, exec_lo, s2
	s_cbranch_execnz .LBB294_928
.LBB294_929:
	s_or_b32 exec_lo, exec_lo, s1
	s_wait_dscnt 0x0
	s_barrier_signal -1
	s_barrier_wait -1
	s_and_saveexec_b32 s1, s0
	s_delay_alu instid0(SALU_CYCLE_1)
	s_xor_b32 s0, exec_lo, s1
	s_cbranch_execz .LBB294_931
; %bb.930:
	s_ashr_i32 s7, s6, 31
                                        ; implicit-def: $vgpr0
	s_clause 0x1
	scratch_store_b64 off, v[0:1], s32 offset:200
	; meta instruction
	; meta instruction
	; meta instruction
	; meta instruction
	; meta instruction
	; meta instruction
	; meta instruction
	; meta instruction
	; meta instruction
	scratch_store_b64 off, v[0:1], s32 offset:324
                                        ; implicit-def: $vgpr124
                                        ; implicit-def: $vgpr44
                                        ; implicit-def: $vgpr0
                                        ; kill: killed $vgpr0
.LBB294_931:
	s_wait_xcnt 0x0
	s_or_saveexec_b32 s1, s0
	v_mov_b64_e32 v[30:31], s[6:7]
	v_dual_mov_b32 v3, 0 :: v_dual_bitop2_b32 v50, 3, v13 bitop3:0x40
	v_dual_mov_b32 v2, 0 :: v_dual_mov_b32 v5, 0
	v_dual_mov_b32 v4, 0 :: v_dual_mov_b32 v9, 0
	;; [unrolled: 1-line block ×6, first 2 shown]
	v_mov_b32_e32 v28, 0
	s_xor_b32 exec_lo, exec_lo, s1
	s_cbranch_execz .LBB294_1859
; %bb.932:
	scratch_load_b32 v0, off, s32 offset:320 ; 4-byte Folded Reload
	s_ashr_i32 s7, s6, 31
	v_lshlrev_b32_e32 v9, 5, v50
	s_lshl_b64 s[2:3], s[6:7], 2
	v_dual_add_nc_u32 v51, -1, v44 :: v_dual_mov_b32 v13, v124
	s_add_nc_u64 s[2:3], s[8:9], s[2:3]
	v_dual_mov_b32 v20, 0 :: v_dual_mov_b32 v25, 0
	v_dual_mov_b32 v24, 0 :: v_dual_mov_b32 v27, 0
	;; [unrolled: 1-line block ×3, first 2 shown]
	v_mov_b32_e32 v28, 0
	s_mov_b32 s14, 0
	v_dual_mov_b32 v7, 0 :: v_dual_mov_b32 v5, 0
	s_wait_loadcnt 0x0
	v_dual_mov_b32 v21, 0 :: v_dual_lshlrev_b32 v8, 3, v0
	s_clause 0x2
	scratch_load_b64 v[0:1], off, s32 offset:360 th:TH_LOAD_LU
	scratch_load_b64 v[2:3], off, s32 offset:324 th:TH_LOAD_LU
	scratch_load_b32 v54, off, s32 offset:316
	v_mov_b32_e32 v4, 0
	s_load_b32 s0, s[2:3], 0x0
	v_and_b32_e32 v6, 0xf8, v8
	v_dual_mov_b32 v8, 0 :: v_dual_bitop2_b32 v10, 24, v8 bitop3:0x40
	s_wait_xcnt 0x0
	s_mov_b64 s[2:3], 0xffffffffffffff
	s_wait_loadcnt 0x1
	v_add_nc_u64_e32 v[0:1], v[0:1], v[2:3]
	s_wait_loadcnt 0x0
	v_lshl_or_b32 v52, v54, 5, v10
	scratch_load_b64 v[10:11], off, s32 offset:332 th:TH_LOAD_LU ; 8-byte Folded Reload
	v_dual_mov_b32 v3, 0 :: v_dual_mov_b32 v2, 0
	v_add_nc_u64_e32 v[16:17], v[0:1], v[6:7]
	scratch_load_b32 v0, off, s32 offset:348 th:TH_LOAD_LU ; 4-byte Folded Reload
	s_wait_loadcnt 0x0
	v_and_b32_e32 v6, 0x7c, v0
	scratch_load_b64 v[0:1], off, s32 offset:340 th:TH_LOAD_LU ; 8-byte Folded Reload
	s_wait_loadcnt 0x0
	v_lshl_add_u64 v[0:1], v[0:1], 2, v[6:7]
	v_lshl_or_b32 v6, v54, 7, v9
	v_mov_b32_e32 v9, 0
	s_delay_alu instid0(VALU_DEP_3) | instskip(SKIP_1) | instid1(VALU_DEP_3)
	v_add_nc_u64_e32 v[10:11], v[10:11], v[0:1]
	s_wait_kmcnt 0x0
	v_add_nc_u32_e32 v53, s0, v6
	s_branch .LBB294_934
.LBB294_933:                            ;   in Loop: Header=BB294_934 Depth=1
	s_or_b32 exec_lo, exec_lo, s0
	v_dual_add_f32 v0, v38, v39 :: v_dual_add_f32 v1, v119, v40
	v_dual_add_f32 v18, v117, v118 :: v_dual_add_f32 v22, v115, v116
	s_delay_alu instid0(VALU_DEP_2) | instskip(NEXT) | instid1(VALU_DEP_3)
	v_dual_add_f32 v23, v113, v114 :: v_dual_add_f32 v2, v2, v0
	v_dual_add_f32 v0, v103, v112 :: v_dual_add_f32 v5, v5, v1
	s_delay_alu instid0(VALU_DEP_3) | instskip(SKIP_1) | instid1(VALU_DEP_4)
	v_add_f32_e32 v4, v4, v18
	v_add_f32_e32 v1, v101, v102
	v_dual_add_f32 v9, v9, v22 :: v_dual_add_f32 v8, v8, v23
	v_dual_add_f32 v18, v99, v100 :: v_dual_add_f32 v22, v97, v98
	v_add_f32_e32 v21, v21, v0
	;;#ASMSTART
	v_pk_mul_f16 v0, v80, v19;

	;;#ASMEND
	v_dual_add_f32 v23, v87, v96 :: v_dual_add_f32 v20, v20, v1
	;;#ASMSTART
	v_pk_mul_f16 v1, v71, v14;

	;;#ASMEND
	;;#ASMSTART
	v_pk_mul_f16 v14, v70, v15;

	;;#ASMEND
	;; [unrolled: 4-line block ×3, first 2 shown]
	;;#ASMSTART
	v_pk_add_f16 v0, v0, v1;

	;;#ASMEND
	;;#ASMSTART
	v_pk_add_f16 v0, v0, v14;

	;;#ASMEND
	;; [unrolled: 4-line block ×3, first 2 shown]
	v_and_b32_e32 v14, 0xffff, v0
	v_dual_add_f32 v0, v85, v86 :: v_dual_lshrrev_b32 v15, 16, v0
	;;#ASMSTART
	v_cvt_f32_f16 v14, v14;
	;;#ASMEND
	;;#ASMSTART
	v_cvt_f32_f16 v15, v15;
	;;#ASMEND
	s_delay_alu instid0(VALU_DEP_1) | instskip(SKIP_3) | instid1(VALU_DEP_4)
	v_dual_add_f32 v14, v14, v15 :: v_dual_add_nc_u32 v54, 4, v54
	v_dual_add_f32 v1, v83, v84 :: v_dual_add_f32 v6, v81, v82
	v_add_nc_u64_e32 v[10:11], 16, v[10:11]
	v_dual_add_f32 v25, v25, v18 :: v_dual_add_f32 v27, v27, v23
	v_cmp_ge_i32_e32 vcc_lo, v54, v44
	v_dual_add_f32 v24, v24, v22 :: v_dual_add_f32 v26, v26, v0
	v_dual_add_f32 v29, v29, v1 :: v_dual_add_f32 v28, v28, v6
	v_add_nc_u32_e32 v53, 0x200, v53
	v_dual_add_f32 v3, v3, v14 :: v_dual_add_nc_u32 v52, 0x80, v52
	s_or_b32 s14, vcc_lo, s14
	s_delay_alu instid0(SALU_CYCLE_1)
	s_and_not1_b32 exec_lo, exec_lo, s14
	s_cbranch_execz .LBB294_1858
.LBB294_934:                            ; =>This Inner Loop Header: Depth=1
	flat_load_b32 v0, v[10:11]
	ds_load_2addr_b64 v[30:33], v53 offset1:1
	ds_load_2addr_b64 v[34:37], v53 offset0:2 offset1:3
	scratch_load_b64 v[14:15], off, s32 offset:200 ; 8-byte Folded Reload
	s_mov_b32 s0, exec_lo
	s_wait_dscnt 0x1
	;;#ASMSTART
	v_cvt_f16_f32 v71, v30;

	;;#ASMEND
	;;#ASMSTART
	v_cvt_f16_f32 v69, v31;

	;;#ASMEND
	;; [unrolled: 4-line block ×4, first 2 shown]
	s_wait_dscnt 0x0
	;;#ASMSTART
	v_cvt_f16_f32 v83, v34;

	;;#ASMEND
	;;#ASMSTART
	v_cvt_f16_f32 v81, v35;

	;;#ASMEND
	;; [unrolled: 4-line block ×4, first 2 shown]
	s_wait_loadcnt 0x0
	v_mad_nc_i64_i32 v[14:15], v0, v14, v[16:17]
	flat_load_b64 v[32:33], v[14:15]
	scratch_load_b64 v[0:1], off, s32 offset:192 ; 8-byte Folded Reload
	s_wait_loadcnt 0x0
	flat_load_b32 v30, v[0:1]
	s_wait_dscnt 0x1
	s_wait_xcnt 0x0
	v_and_b32_e32 v1, 0xff, v32
	v_mov_b32_e32 v0, 0
	s_delay_alu instid0(VALU_DEP_2)
	v_cmpx_ne_u16_e32 0, v1
	s_cbranch_execz .LBB294_942
; %bb.935:                              ;   in Loop: Header=BB294_934 Depth=1
	v_mov_b32_e32 v0, 0x8000
	s_mov_b32 s15, exec_lo
	v_cmpx_ne_u16_e32 0x80, v1
	s_cbranch_execz .LBB294_941
; %bb.936:                              ;   in Loop: Header=BB294_934 Depth=1
	v_and_b32_e32 v6, 0x7f, v32
	v_mov_b32_e32 v0, 0x7c01
	s_mov_b32 s16, exec_lo
	s_delay_alu instid0(VALU_DEP_2)
	v_cmpx_ne_u32_e32 0x7f, v6
	s_cbranch_execz .LBB294_940
; %bb.937:                              ;   in Loop: Header=BB294_934 Depth=1
	v_dual_lshrrev_b32 v1, 3, v6 :: v_dual_bitop2_b32 v0, 7, v32 bitop3:0x40
	s_mov_b32 s17, exec_lo
	v_cmpx_gt_u32_e32 8, v6
; %bb.938:                              ;   in Loop: Header=BB294_934 Depth=1
	s_delay_alu instid0(VALU_DEP_2) | instskip(NEXT) | instid1(VALU_DEP_1)
	v_clz_i32_u32_e32 v0, v0
	v_min_u32_e32 v6, 32, v0
	s_delay_alu instid0(VALU_DEP_1) | instskip(NEXT) | instid1(VALU_DEP_1)
	v_subrev_nc_u32_e32 v0, 28, v6
	v_lshlrev_b64_e32 v[0:1], v0, v[32:33]
	s_delay_alu instid0(VALU_DEP_1)
	v_dual_sub_nc_u32 v1, 29, v6 :: v_dual_bitop2_b32 v0, 7, v0 bitop3:0x40
; %bb.939:                              ;   in Loop: Header=BB294_934 Depth=1
	s_or_b32 exec_lo, exec_lo, s17
	v_lshlrev_b32_e32 v6, 8, v32
	s_delay_alu instid0(VALU_DEP_2) | instskip(NEXT) | instid1(VALU_DEP_3)
	v_lshl_add_u32 v1, v1, 10, 0x2000
	v_lshlrev_b32_e32 v0, 7, v0
	s_delay_alu instid0(VALU_DEP_3) | instskip(NEXT) | instid1(VALU_DEP_3)
	v_and_b32_e32 v6, 0x8000, v6
	v_and_b32_e32 v1, 0xfc00, v1
	s_delay_alu instid0(VALU_DEP_1)
	v_or3_b32 v0, v6, v1, v0
.LBB294_940:                            ;   in Loop: Header=BB294_934 Depth=1
	s_or_b32 exec_lo, exec_lo, s16
.LBB294_941:                            ;   in Loop: Header=BB294_934 Depth=1
	s_delay_alu instid0(SALU_CYCLE_1)
	s_or_b32 exec_lo, exec_lo, s15
.LBB294_942:                            ;   in Loop: Header=BB294_934 Depth=1
	s_delay_alu instid0(SALU_CYCLE_1) | instskip(SKIP_3) | instid1(VALU_DEP_2)
	s_or_b32 exec_lo, exec_lo, s0
	v_lshrrev_b16 v6, 8, v32
	v_dual_mov_b32 v1, 0 :: v_dual_mov_b32 v18, 0
	s_mov_b32 s0, exec_lo
	v_cmpx_ne_u16_e32 0, v6
	s_cbranch_execz .LBB294_950
; %bb.943:                              ;   in Loop: Header=BB294_934 Depth=1
	v_bfrev_b32_e32 v18, 1
	s_mov_b32 s15, exec_lo
	v_cmpx_ne_u16_e32 0x80, v6
	s_cbranch_execz .LBB294_949
; %bb.944:                              ;   in Loop: Header=BB294_934 Depth=1
	v_and_b32_e32 v19, 0xffff, v6
	v_mov_b32_e32 v18, 0x7c010000
	s_mov_b32 s16, exec_lo
	s_delay_alu instid0(VALU_DEP_2) | instskip(NEXT) | instid1(VALU_DEP_1)
	v_and_b32_e32 v23, 0x7f, v19
	v_cmpx_ne_u32_e32 0x7f, v23
	s_cbranch_execz .LBB294_948
; %bb.945:                              ;   in Loop: Header=BB294_934 Depth=1
	v_and_b32_e32 v18, 7, v19
	v_lshrrev_b32_e32 v22, 3, v23
	s_mov_b32 s17, exec_lo
	v_cmpx_gt_u32_e32 8, v23
; %bb.946:                              ;   in Loop: Header=BB294_934 Depth=1
	s_delay_alu instid0(VALU_DEP_3) | instskip(NEXT) | instid1(VALU_DEP_1)
	v_clz_i32_u32_e32 v18, v18
	v_min_u32_e32 v18, 32, v18
	s_delay_alu instid0(VALU_DEP_1) | instskip(NEXT) | instid1(VALU_DEP_1)
	v_subrev_nc_u32_e32 v22, 28, v18
	v_lshlrev_b64_e32 v[34:35], v22, v[6:7]
	v_sub_nc_u32_e32 v22, 29, v18
	s_delay_alu instid0(VALU_DEP_2)
	v_and_b32_e32 v18, 7, v34
; %bb.947:                              ;   in Loop: Header=BB294_934 Depth=1
	s_or_b32 exec_lo, exec_lo, s17
	s_delay_alu instid0(VALU_DEP_1) | instskip(NEXT) | instid1(VALU_DEP_3)
	v_dual_lshlrev_b32 v6, 8, v19 :: v_dual_lshlrev_b32 v18, 23, v18
	v_lshl_add_u32 v19, v22, 10, 0x2000
	s_delay_alu instid0(VALU_DEP_1) | instskip(NEXT) | instid1(VALU_DEP_1)
	v_and_or_b32 v6, 0x8000, v6, v19
	v_lshl_or_b32 v18, v6, 16, v18
.LBB294_948:                            ;   in Loop: Header=BB294_934 Depth=1
	s_or_b32 exec_lo, exec_lo, s16
.LBB294_949:                            ;   in Loop: Header=BB294_934 Depth=1
	s_delay_alu instid0(SALU_CYCLE_1)
	s_or_b32 exec_lo, exec_lo, s15
.LBB294_950:                            ;   in Loop: Header=BB294_934 Depth=1
	s_delay_alu instid0(SALU_CYCLE_1) | instskip(SKIP_2) | instid1(VALU_DEP_1)
	s_or_b32 exec_lo, exec_lo, s0
	v_lshrrev_b32_e32 v6, 16, v32
	s_mov_b32 s0, exec_lo
	v_and_b32_e32 v19, 0xff, v6
	s_delay_alu instid0(VALU_DEP_1)
	v_cmpx_ne_u16_e32 0, v19
	s_cbranch_execz .LBB294_958
; %bb.951:                              ;   in Loop: Header=BB294_934 Depth=1
	v_mov_b32_e32 v1, 0x8000
	s_mov_b32 s15, exec_lo
	v_cmpx_ne_u16_e32 0x80, v19
	s_cbranch_execz .LBB294_957
; %bb.952:                              ;   in Loop: Header=BB294_934 Depth=1
	v_bfe_u32 v22, v32, 16, 7
	v_mov_b32_e32 v1, 0x7c01
	s_mov_b32 s16, exec_lo
	s_delay_alu instid0(VALU_DEP_2)
	v_cmpx_ne_u32_e32 0x7f, v22
	s_cbranch_execz .LBB294_956
; %bb.953:                              ;   in Loop: Header=BB294_934 Depth=1
	v_and_b32_e32 v1, 7, v6
	v_lshrrev_b32_e32 v19, 3, v22
	s_mov_b32 s17, exec_lo
	v_cmpx_gt_u32_e32 8, v22
; %bb.954:                              ;   in Loop: Header=BB294_934 Depth=1
	s_delay_alu instid0(VALU_DEP_3) | instskip(NEXT) | instid1(VALU_DEP_1)
	v_clz_i32_u32_e32 v1, v1
	v_min_u32_e32 v1, 32, v1
	s_delay_alu instid0(VALU_DEP_1) | instskip(NEXT) | instid1(VALU_DEP_1)
	v_subrev_nc_u32_e32 v19, 28, v1
	v_lshlrev_b64_e32 v[22:23], v19, v[6:7]
	s_delay_alu instid0(VALU_DEP_1)
	v_dual_sub_nc_u32 v19, 29, v1 :: v_dual_bitop2_b32 v1, 7, v22 bitop3:0x40
; %bb.955:                              ;   in Loop: Header=BB294_934 Depth=1
	s_or_b32 exec_lo, exec_lo, s17
	s_delay_alu instid0(VALU_DEP_1) | instskip(NEXT) | instid1(VALU_DEP_2)
	v_dual_lshlrev_b32 v6, 8, v6 :: v_dual_lshlrev_b32 v1, 7, v1
	v_lshl_add_u32 v19, v19, 10, 0x2000
	s_delay_alu instid0(VALU_DEP_2) | instskip(NEXT) | instid1(VALU_DEP_2)
	v_and_b32_e32 v6, 0x8000, v6
	v_and_b32_e32 v19, 0xfc00, v19
	s_delay_alu instid0(VALU_DEP_1)
	v_or3_b32 v1, v6, v19, v1
.LBB294_956:                            ;   in Loop: Header=BB294_934 Depth=1
	s_or_b32 exec_lo, exec_lo, s16
.LBB294_957:                            ;   in Loop: Header=BB294_934 Depth=1
	s_delay_alu instid0(SALU_CYCLE_1)
	s_or_b32 exec_lo, exec_lo, s15
.LBB294_958:                            ;   in Loop: Header=BB294_934 Depth=1
	s_delay_alu instid0(SALU_CYCLE_1)
	s_or_b32 exec_lo, exec_lo, s0
	v_dual_mov_b32 v19, 0 :: v_dual_mov_b32 v22, 0
	s_mov_b32 s0, exec_lo
	v_cmpx_lt_u32_e32 0xffffff, v32
	s_cbranch_execz .LBB294_966
; %bb.959:                              ;   in Loop: Header=BB294_934 Depth=1
	v_lshrrev_b32_e32 v6, 24, v32
	v_bfrev_b32_e32 v22, 1
	s_mov_b32 s15, exec_lo
	s_delay_alu instid0(VALU_DEP_2)
	v_cmpx_ne_u32_e32 0x80, v6
	s_cbranch_execz .LBB294_965
; %bb.960:                              ;   in Loop: Header=BB294_934 Depth=1
	v_and_b32_e32 v31, 0x7f, v6
	v_mov_b32_e32 v22, 0x7c010000
	s_mov_b32 s16, exec_lo
	s_delay_alu instid0(VALU_DEP_2)
	v_cmpx_ne_u32_e32 0x7f, v31
	s_cbranch_execz .LBB294_964
; %bb.961:                              ;   in Loop: Header=BB294_934 Depth=1
	v_dual_lshrrev_b32 v23, 3, v31 :: v_dual_bitop2_b32 v22, 7, v6 bitop3:0x40
	s_mov_b32 s17, exec_lo
	v_cmpx_gt_u32_e32 8, v31
; %bb.962:                              ;   in Loop: Header=BB294_934 Depth=1
	s_delay_alu instid0(VALU_DEP_2) | instskip(NEXT) | instid1(VALU_DEP_1)
	v_clz_i32_u32_e32 v22, v22
	v_min_u32_e32 v31, 32, v22
	s_delay_alu instid0(VALU_DEP_1) | instskip(NEXT) | instid1(VALU_DEP_1)
	v_subrev_nc_u32_e32 v22, 28, v31
	v_lshlrev_b64_e32 v[22:23], v22, v[6:7]
	s_delay_alu instid0(VALU_DEP_1)
	v_dual_sub_nc_u32 v23, 29, v31 :: v_dual_bitop2_b32 v22, 7, v22 bitop3:0x40
; %bb.963:                              ;   in Loop: Header=BB294_934 Depth=1
	s_or_b32 exec_lo, exec_lo, s17
	v_lshlrev_b32_e32 v6, 8, v6
	s_delay_alu instid0(VALU_DEP_2) | instskip(NEXT) | instid1(VALU_DEP_3)
	v_lshl_add_u32 v23, v23, 10, 0x2000
	v_lshlrev_b32_e32 v22, 23, v22
	s_delay_alu instid0(VALU_DEP_2) | instskip(NEXT) | instid1(VALU_DEP_1)
	v_and_or_b32 v6, 0x8000, v6, v23
	v_lshl_or_b32 v22, v6, 16, v22
.LBB294_964:                            ;   in Loop: Header=BB294_934 Depth=1
	s_or_b32 exec_lo, exec_lo, s16
.LBB294_965:                            ;   in Loop: Header=BB294_934 Depth=1
	s_delay_alu instid0(SALU_CYCLE_1)
	s_or_b32 exec_lo, exec_lo, s15
.LBB294_966:                            ;   in Loop: Header=BB294_934 Depth=1
	s_delay_alu instid0(SALU_CYCLE_1) | instskip(SKIP_3) | instid1(VALU_DEP_2)
	s_or_b32 exec_lo, exec_lo, s0
	v_and_b32_e32 v23, 0xff, v33
	v_mov_b32_e32 v6, v33
	s_mov_b32 s0, exec_lo
	v_cmpx_ne_u16_e32 0, v23
	s_cbranch_execz .LBB294_974
; %bb.967:                              ;   in Loop: Header=BB294_934 Depth=1
	v_mov_b32_e32 v19, 0x8000
	s_mov_b32 s15, exec_lo
	v_cmpx_ne_u16_e32 0x80, v23
	s_cbranch_execz .LBB294_973
; %bb.968:                              ;   in Loop: Header=BB294_934 Depth=1
	v_and_b32_e32 v31, 0x7f, v33
	v_mov_b32_e32 v19, 0x7c01
	s_mov_b32 s16, exec_lo
	s_delay_alu instid0(VALU_DEP_2)
	v_cmpx_ne_u32_e32 0x7f, v31
	s_cbranch_execz .LBB294_972
; %bb.969:                              ;   in Loop: Header=BB294_934 Depth=1
	v_dual_lshrrev_b32 v23, 3, v31 :: v_dual_bitop2_b32 v19, 7, v33 bitop3:0x40
	s_mov_b32 s17, exec_lo
	v_cmpx_gt_u32_e32 8, v31
; %bb.970:                              ;   in Loop: Header=BB294_934 Depth=1
	s_delay_alu instid0(VALU_DEP_2) | instskip(NEXT) | instid1(VALU_DEP_1)
	v_clz_i32_u32_e32 v19, v19
	v_min_u32_e32 v19, 32, v19
	s_delay_alu instid0(VALU_DEP_1) | instskip(NEXT) | instid1(VALU_DEP_1)
	v_subrev_nc_u32_e32 v23, 28, v19
	v_lshlrev_b64_e32 v[34:35], v23, v[6:7]
	s_delay_alu instid0(VALU_DEP_1)
	v_dual_sub_nc_u32 v23, 29, v19 :: v_dual_bitop2_b32 v19, 7, v34 bitop3:0x40
; %bb.971:                              ;   in Loop: Header=BB294_934 Depth=1
	s_or_b32 exec_lo, exec_lo, s17
	s_delay_alu instid0(VALU_DEP_1) | instskip(NEXT) | instid1(VALU_DEP_2)
	v_dual_lshlrev_b32 v31, 8, v33 :: v_dual_lshlrev_b32 v19, 7, v19
	v_lshl_add_u32 v23, v23, 10, 0x2000
	s_delay_alu instid0(VALU_DEP_2) | instskip(NEXT) | instid1(VALU_DEP_2)
	v_and_b32_e32 v31, 0x8000, v31
	v_and_b32_e32 v23, 0xfc00, v23
	s_delay_alu instid0(VALU_DEP_1)
	v_or3_b32 v19, v31, v23, v19
.LBB294_972:                            ;   in Loop: Header=BB294_934 Depth=1
	s_or_b32 exec_lo, exec_lo, s16
.LBB294_973:                            ;   in Loop: Header=BB294_934 Depth=1
	s_delay_alu instid0(SALU_CYCLE_1)
	s_or_b32 exec_lo, exec_lo, s15
.LBB294_974:                            ;   in Loop: Header=BB294_934 Depth=1
	s_delay_alu instid0(SALU_CYCLE_1) | instskip(SKIP_3) | instid1(VALU_DEP_2)
	s_or_b32 exec_lo, exec_lo, s0
	v_lshrrev_b16 v6, 8, v6
	v_dual_mov_b32 v31, 0 :: v_dual_mov_b32 v23, 0
	s_mov_b32 s0, exec_lo
	v_cmpx_ne_u16_e32 0, v6
	s_cbranch_execz .LBB294_982
; %bb.975:                              ;   in Loop: Header=BB294_934 Depth=1
	v_bfrev_b32_e32 v23, 1
	s_mov_b32 s15, exec_lo
	v_cmpx_ne_u16_e32 0x80, v6
	s_cbranch_execz .LBB294_981
; %bb.976:                              ;   in Loop: Header=BB294_934 Depth=1
	v_and_b32_e32 v34, 0xffff, v6
	v_mov_b32_e32 v23, 0x7c010000
	s_mov_b32 s16, exec_lo
	s_delay_alu instid0(VALU_DEP_2) | instskip(NEXT) | instid1(VALU_DEP_1)
	v_and_b32_e32 v36, 0x7f, v34
	v_cmpx_ne_u32_e32 0x7f, v36
	s_cbranch_execz .LBB294_980
; %bb.977:                              ;   in Loop: Header=BB294_934 Depth=1
	v_dual_lshrrev_b32 v35, 3, v36 :: v_dual_bitop2_b32 v23, 7, v34 bitop3:0x40
	s_mov_b32 s17, exec_lo
	v_cmpx_gt_u32_e32 8, v36
; %bb.978:                              ;   in Loop: Header=BB294_934 Depth=1
	s_delay_alu instid0(VALU_DEP_2) | instskip(NEXT) | instid1(VALU_DEP_1)
	v_clz_i32_u32_e32 v23, v23
	v_min_u32_e32 v23, 32, v23
	s_delay_alu instid0(VALU_DEP_1) | instskip(NEXT) | instid1(VALU_DEP_1)
	v_subrev_nc_u32_e32 v35, 28, v23
	v_lshlrev_b64_e32 v[36:37], v35, v[6:7]
	s_delay_alu instid0(VALU_DEP_1)
	v_dual_sub_nc_u32 v35, 29, v23 :: v_dual_bitop2_b32 v23, 7, v36 bitop3:0x40
; %bb.979:                              ;   in Loop: Header=BB294_934 Depth=1
	s_or_b32 exec_lo, exec_lo, s17
	s_delay_alu instid0(VALU_DEP_1) | instskip(NEXT) | instid1(VALU_DEP_2)
	v_dual_lshlrev_b32 v6, 8, v34 :: v_dual_lshlrev_b32 v23, 23, v23
	v_lshl_add_u32 v34, v35, 10, 0x2000
	s_delay_alu instid0(VALU_DEP_1) | instskip(NEXT) | instid1(VALU_DEP_1)
	v_and_or_b32 v6, 0x8000, v6, v34
	v_lshl_or_b32 v23, v6, 16, v23
.LBB294_980:                            ;   in Loop: Header=BB294_934 Depth=1
	s_or_b32 exec_lo, exec_lo, s16
.LBB294_981:                            ;   in Loop: Header=BB294_934 Depth=1
	s_delay_alu instid0(SALU_CYCLE_1)
	s_or_b32 exec_lo, exec_lo, s15
.LBB294_982:                            ;   in Loop: Header=BB294_934 Depth=1
	s_delay_alu instid0(SALU_CYCLE_1) | instskip(SKIP_2) | instid1(VALU_DEP_1)
	s_or_b32 exec_lo, exec_lo, s0
	v_lshrrev_b32_e32 v6, 16, v33
	s_mov_b32 s0, exec_lo
	v_and_b32_e32 v34, 0xff, v6
	s_delay_alu instid0(VALU_DEP_1)
	v_cmpx_ne_u16_e32 0, v34
	s_cbranch_execz .LBB294_990
; %bb.983:                              ;   in Loop: Header=BB294_934 Depth=1
	v_mov_b32_e32 v31, 0x8000
	s_mov_b32 s15, exec_lo
	v_cmpx_ne_u16_e32 0x80, v34
	s_cbranch_execz .LBB294_989
; %bb.984:                              ;   in Loop: Header=BB294_934 Depth=1
	v_bfe_u32 v35, v33, 16, 7
	v_mov_b32_e32 v31, 0x7c01
	s_mov_b32 s16, exec_lo
	s_delay_alu instid0(VALU_DEP_2)
	v_cmpx_ne_u32_e32 0x7f, v35
	s_cbranch_execz .LBB294_988
; %bb.985:                              ;   in Loop: Header=BB294_934 Depth=1
	v_dual_lshrrev_b32 v34, 3, v35 :: v_dual_bitop2_b32 v31, 7, v6 bitop3:0x40
	s_mov_b32 s17, exec_lo
	v_cmpx_gt_u32_e32 8, v35
; %bb.986:                              ;   in Loop: Header=BB294_934 Depth=1
	s_delay_alu instid0(VALU_DEP_2) | instskip(NEXT) | instid1(VALU_DEP_1)
	v_clz_i32_u32_e32 v31, v31
	v_min_u32_e32 v31, 32, v31
	s_delay_alu instid0(VALU_DEP_1) | instskip(NEXT) | instid1(VALU_DEP_1)
	v_subrev_nc_u32_e32 v34, 28, v31
	v_lshlrev_b64_e32 v[36:37], v34, v[6:7]
	s_delay_alu instid0(VALU_DEP_1)
	v_dual_sub_nc_u32 v34, 29, v31 :: v_dual_bitop2_b32 v31, 7, v36 bitop3:0x40
; %bb.987:                              ;   in Loop: Header=BB294_934 Depth=1
	s_or_b32 exec_lo, exec_lo, s17
	s_delay_alu instid0(VALU_DEP_1) | instskip(NEXT) | instid1(VALU_DEP_2)
	v_dual_lshlrev_b32 v6, 8, v6 :: v_dual_lshlrev_b32 v31, 7, v31
	v_lshl_add_u32 v34, v34, 10, 0x2000
	s_delay_alu instid0(VALU_DEP_2) | instskip(NEXT) | instid1(VALU_DEP_2)
	v_and_b32_e32 v6, 0x8000, v6
	v_and_b32_e32 v34, 0xfc00, v34
	s_delay_alu instid0(VALU_DEP_1)
	v_or3_b32 v31, v6, v34, v31
.LBB294_988:                            ;   in Loop: Header=BB294_934 Depth=1
	s_or_b32 exec_lo, exec_lo, s16
.LBB294_989:                            ;   in Loop: Header=BB294_934 Depth=1
	s_delay_alu instid0(SALU_CYCLE_1)
	s_or_b32 exec_lo, exec_lo, s15
.LBB294_990:                            ;   in Loop: Header=BB294_934 Depth=1
	s_delay_alu instid0(SALU_CYCLE_1)
	s_or_b32 exec_lo, exec_lo, s0
	v_cmp_lt_u64_e32 vcc_lo, s[2:3], v[32:33]
	v_mov_b32_e32 v32, 0
	s_and_saveexec_b32 s0, vcc_lo
	s_cbranch_execz .LBB294_998
; %bb.991:                              ;   in Loop: Header=BB294_934 Depth=1
	v_lshrrev_b32_e32 v6, 24, v33
	v_bfrev_b32_e32 v32, 1
	s_mov_b32 s15, exec_lo
	s_delay_alu instid0(VALU_DEP_2)
	v_cmpx_ne_u32_e32 0x80, v6
	s_cbranch_execz .LBB294_997
; %bb.992:                              ;   in Loop: Header=BB294_934 Depth=1
	v_and_b32_e32 v34, 0x7f, v6
	v_mov_b32_e32 v32, 0x7c010000
	s_mov_b32 s16, exec_lo
	s_delay_alu instid0(VALU_DEP_2)
	v_cmpx_ne_u32_e32 0x7f, v34
	s_cbranch_execz .LBB294_996
; %bb.993:                              ;   in Loop: Header=BB294_934 Depth=1
	v_and_b32_e32 v32, 7, v6
	v_lshrrev_b32_e32 v33, 3, v34
	s_mov_b32 s17, exec_lo
	v_cmpx_gt_u32_e32 8, v34
; %bb.994:                              ;   in Loop: Header=BB294_934 Depth=1
	s_delay_alu instid0(VALU_DEP_3) | instskip(NEXT) | instid1(VALU_DEP_1)
	v_clz_i32_u32_e32 v32, v32
	v_min_u32_e32 v34, 32, v32
	s_delay_alu instid0(VALU_DEP_1) | instskip(NEXT) | instid1(VALU_DEP_1)
	v_subrev_nc_u32_e32 v32, 28, v34
	v_lshlrev_b64_e32 v[32:33], v32, v[6:7]
	s_delay_alu instid0(VALU_DEP_1)
	v_dual_sub_nc_u32 v33, 29, v34 :: v_dual_bitop2_b32 v32, 7, v32 bitop3:0x40
; %bb.995:                              ;   in Loop: Header=BB294_934 Depth=1
	s_or_b32 exec_lo, exec_lo, s17
	s_delay_alu instid0(VALU_DEP_1) | instskip(NEXT) | instid1(VALU_DEP_2)
	v_dual_lshlrev_b32 v6, 8, v6 :: v_dual_lshlrev_b32 v32, 23, v32
	v_lshl_add_u32 v33, v33, 10, 0x2000
	s_delay_alu instid0(VALU_DEP_1) | instskip(NEXT) | instid1(VALU_DEP_1)
	v_and_or_b32 v6, 0x8000, v6, v33
	v_lshl_or_b32 v32, v6, 16, v32
.LBB294_996:                            ;   in Loop: Header=BB294_934 Depth=1
	s_or_b32 exec_lo, exec_lo, s16
.LBB294_997:                            ;   in Loop: Header=BB294_934 Depth=1
	s_delay_alu instid0(SALU_CYCLE_1)
	s_or_b32 exec_lo, exec_lo, s15
.LBB294_998:                            ;   in Loop: Header=BB294_934 Depth=1
	s_delay_alu instid0(SALU_CYCLE_1) | instskip(SKIP_3) | instid1(VALU_DEP_3)
	s_or_b32 exec_lo, exec_lo, s0
	v_dual_lshrrev_b32 v6, 16, v18 :: v_dual_bitop2_b32 v34, v18, v0 bitop3:0x54
	v_dual_lshrrev_b32 v33, 16, v22 :: v_dual_bitop2_b32 v18, v22, v1 bitop3:0x54
	v_cmp_eq_u32_e32 vcc_lo, v51, v54
	v_cvt_f32_f16_e32 v1, v6
	v_dual_lshrrev_b32 v31, 16, v32 :: v_dual_bitop2_b32 v6, v32, v31 bitop3:0x54
	s_delay_alu instid0(VALU_DEP_4)
	v_cvt_f32_f16_e32 v0, v33
	v_cvt_f32_f16_e32 v18, v18
	v_or_b32_e32 v33, v23, v19
	v_cvt_f32_f16_e32 v19, v34
	v_cvt_f32_f16_e32 v32, v6
	s_wait_loadcnt_dscnt 0x0
	v_pk_mul_f32 v[0:1], v[30:31], v[0:1] op_sel_hi:[0,1]
	v_or_b32_e32 v67, 1, v52
	v_or_b32_e32 v66, 3, v52
	v_pk_mul_f32 v[18:19], v[30:31], v[18:19] op_sel_hi:[0,1]
	v_or_b32_e32 v65, 4, v52
	v_cvt_pk_f16_f32 v6, v0, v1
	v_dual_lshrrev_b32 v22, 16, v23 :: v_dual_bitop2_b32 v64, 6, v52 bitop3:0x54
	s_delay_alu instid0(VALU_DEP_4) | instskip(NEXT) | instid1(VALU_DEP_3)
	v_cvt_pk_f16_f32 v18, v18, v19
	v_dual_lshlrev_b32 v36, 16, v6 :: v_dual_bitop2_b32 v55, 5, v52 bitop3:0x54
	s_delay_alu instid0(VALU_DEP_3) | instskip(SKIP_1) | instid1(VALU_DEP_4)
	v_cvt_f32_f16_e32 v23, v22
	v_cvt_f32_f16_e32 v22, v31
	v_lshrrev_b32_e32 v39, 16, v18
	v_cvt_f32_f16_e32 v33, v33
	v_and_b32_e32 v37, 0xffff0000, v6
	v_and_b32_e32 v38, 0xffff, v18
	v_pk_mul_f32 v[0:1], v[30:31], v[22:23] op_sel_hi:[0,1]
	v_add_nc_u32_e32 v68, 2, v52
	v_pk_mul_f32 v[22:23], v[30:31], v[32:33] op_sel_hi:[0,1]
	v_or_b32_e32 v33, v37, v39
	v_or_b32_e32 v32, v36, v38
	v_cvt_pk_f16_f32 v0, v0, v1
	s_delay_alu instid0(VALU_DEP_4) | instskip(NEXT) | instid1(VALU_DEP_2)
	v_cvt_pk_f16_f32 v1, v22, v23
	v_and_b32_e32 v19, 0xffff0000, v0
	s_delay_alu instid0(VALU_DEP_2) | instskip(SKIP_2) | instid1(VALU_DEP_3)
	v_dual_lshlrev_b32 v6, 16, v0 :: v_dual_lshrrev_b32 v35, 16, v1
	v_and_b32_e32 v34, 0xffff, v1
	v_or_b32_e32 v0, 7, v52
	v_or_b32_e32 v31, v19, v35
	s_delay_alu instid0(VALU_DEP_3)
	v_or_b32_e32 v30, v6, v34
	s_and_saveexec_b32 s15, vcc_lo
	s_cbranch_execz .LBB294_1000
; %bb.999:                              ;   in Loop: Header=BB294_934 Depth=1
	v_cmp_lt_i32_e64 s0, v52, v13
	s_delay_alu instid0(VALU_DEP_1) | instskip(SKIP_1) | instid1(VALU_DEP_1)
	v_cndmask_b32_e64 v1, 0, v39, s0
	v_cmp_lt_i32_e64 s0, v68, v124
	v_cndmask_b32_e64 v18, 0, v38, s0
	v_cmp_lt_i32_e64 s0, v67, v13
	s_delay_alu instid0(VALU_DEP_1) | instskip(SKIP_1) | instid1(VALU_DEP_1)
	v_cndmask_b32_e64 v22, 0, v37, s0
	v_cmp_lt_i32_e64 s0, v66, v124
	v_cndmask_b32_e64 v23, 0, v36, s0
	v_cmp_lt_i32_e64 s0, v65, v13
	s_delay_alu instid0(VALU_DEP_4) | instskip(NEXT) | instid1(VALU_DEP_3)
	v_or_b32_e32 v33, v1, v22
	v_or_b32_e32 v32, v18, v23
	s_delay_alu instid0(VALU_DEP_3) | instskip(SKIP_1) | instid1(VALU_DEP_1)
	v_cndmask_b32_e64 v30, 0, v35, s0
	v_cmp_lt_i32_e64 s0, v64, v124
	v_cndmask_b32_e64 v34, 0, v34, s0
	v_cmp_lt_i32_e64 s0, v55, v13
	s_delay_alu instid0(VALU_DEP_1) | instskip(SKIP_1) | instid1(VALU_DEP_1)
	v_cndmask_b32_e64 v19, 0, v19, s0
	v_cmp_lt_i32_e64 s0, v0, v124
	v_dual_cndmask_b32 v6, 0, v6, s0 :: v_dual_bitop2_b32 v31, v30, v19 bitop3:0x54
	s_delay_alu instid0(VALU_DEP_1)
	v_or_b32_e32 v30, v34, v6
.LBB294_1000:                           ;   in Loop: Header=BB294_934 Depth=1
	s_or_b32 exec_lo, exec_lo, s15
	v_and_b32_e32 v1, 0xffff, v71
	v_and_b32_e32 v6, 0xffff, v80
	;; [unrolled: 1-line block ×4, first 2 shown]
	s_mov_b32 s15, exec_lo
	v_lshl_or_b32 v80, v69, 16, v1
	;;#ASMSTART
	v_pk_mul_f16 v1, v80, v33;

	;;#ASMEND
	v_lshl_or_b32 v71, v70, 16, v6
	v_lshl_or_b32 v70, v81, 16, v18
	;; [unrolled: 1-line block ×3, first 2 shown]
	;;#ASMSTART
	v_pk_mul_f16 v6, v71, v32;

	;;#ASMEND
	;;#ASMSTART
	v_pk_mul_f16 v18, v70, v31;

	;;#ASMEND
	;; [unrolled: 4-line block ×3, first 2 shown]
	;;#ASMSTART
	v_pk_add_f16 v1, v1, v6;

	;;#ASMEND
	;;#ASMSTART
	v_pk_add_f16 v1, v1, v18;

	;;#ASMEND
	;; [unrolled: 4-line block ×3, first 2 shown]
	v_and_b32_e32 v6, 0xffff, v1
	v_lshrrev_b32_e32 v1, 16, v1
	;;#ASMSTART
	v_cvt_f32_f16 v81, v6;
	;;#ASMEND
	;;#ASMSTART
	v_cvt_f32_f16 v82, v1;
	;;#ASMEND
	flat_load_b64 v[32:33], v[14:15] offset:256
	scratch_load_b64 v[18:19], off, s32 offset:192 ; 8-byte Folded Reload
	v_mov_b32_e32 v1, 0
	s_wait_loadcnt_dscnt 0x100
	v_and_b32_e32 v6, 0xff, v32
	s_wait_loadcnt 0x0
	flat_load_b32 v30, v[18:19]
	s_wait_xcnt 0x0
	v_mov_b32_e32 v18, 0
	v_cmpx_ne_u16_e32 0, v6
	s_cbranch_execz .LBB294_1008
; %bb.1001:                             ;   in Loop: Header=BB294_934 Depth=1
	v_mov_b32_e32 v18, 0x8000
	s_mov_b32 s16, exec_lo
	v_cmpx_ne_u16_e32 0x80, v6
	s_cbranch_execz .LBB294_1007
; %bb.1002:                             ;   in Loop: Header=BB294_934 Depth=1
	v_and_b32_e32 v19, 0x7f, v32
	v_mov_b32_e32 v18, 0x7c01
	s_mov_b32 s17, exec_lo
	s_delay_alu instid0(VALU_DEP_2)
	v_cmpx_ne_u32_e32 0x7f, v19
	s_cbranch_execz .LBB294_1006
; %bb.1003:                             ;   in Loop: Header=BB294_934 Depth=1
	v_dual_lshrrev_b32 v18, 3, v19 :: v_dual_bitop2_b32 v6, 7, v32 bitop3:0x40
	s_mov_b32 s18, exec_lo
	v_cmpx_gt_u32_e32 8, v19
; %bb.1004:                             ;   in Loop: Header=BB294_934 Depth=1
	s_delay_alu instid0(VALU_DEP_2) | instskip(NEXT) | instid1(VALU_DEP_1)
	v_clz_i32_u32_e32 v6, v6
	v_min_u32_e32 v6, 32, v6
	s_delay_alu instid0(VALU_DEP_1) | instskip(NEXT) | instid1(VALU_DEP_1)
	v_subrev_nc_u32_e32 v18, 28, v6
	v_lshlrev_b64_e32 v[22:23], v18, v[32:33]
	v_sub_nc_u32_e32 v18, 29, v6
	s_delay_alu instid0(VALU_DEP_2)
	v_and_b32_e32 v6, 7, v22
; %bb.1005:                             ;   in Loop: Header=BB294_934 Depth=1
	s_or_b32 exec_lo, exec_lo, s18
	s_delay_alu instid0(VALU_DEP_1) | instskip(NEXT) | instid1(VALU_DEP_3)
	v_dual_lshlrev_b32 v19, 8, v32 :: v_dual_lshlrev_b32 v6, 7, v6
	v_lshl_add_u32 v18, v18, 10, 0x2000
	s_delay_alu instid0(VALU_DEP_2) | instskip(NEXT) | instid1(VALU_DEP_2)
	v_and_b32_e32 v19, 0x8000, v19
	v_and_b32_e32 v18, 0xfc00, v18
	s_delay_alu instid0(VALU_DEP_1)
	v_or3_b32 v18, v19, v18, v6
.LBB294_1006:                           ;   in Loop: Header=BB294_934 Depth=1
	s_or_b32 exec_lo, exec_lo, s17
.LBB294_1007:                           ;   in Loop: Header=BB294_934 Depth=1
	s_delay_alu instid0(SALU_CYCLE_1)
	s_or_b32 exec_lo, exec_lo, s16
.LBB294_1008:                           ;   in Loop: Header=BB294_934 Depth=1
	s_delay_alu instid0(SALU_CYCLE_1) | instskip(SKIP_2) | instid1(VALU_DEP_1)
	s_or_b32 exec_lo, exec_lo, s15
	v_lshrrev_b16 v6, 8, v32
	s_mov_b32 s15, exec_lo
	v_cmpx_ne_u16_e32 0, v6
	s_cbranch_execz .LBB294_1016
; %bb.1009:                             ;   in Loop: Header=BB294_934 Depth=1
	v_bfrev_b32_e32 v1, 1
	s_mov_b32 s16, exec_lo
	v_cmpx_ne_u16_e32 0x80, v6
	s_cbranch_execz .LBB294_1015
; %bb.1010:                             ;   in Loop: Header=BB294_934 Depth=1
	v_and_b32_e32 v19, 0xffff, v6
	v_mov_b32_e32 v1, 0x7c010000
	s_mov_b32 s17, exec_lo
	s_delay_alu instid0(VALU_DEP_2) | instskip(NEXT) | instid1(VALU_DEP_1)
	v_and_b32_e32 v23, 0x7f, v19
	v_cmpx_ne_u32_e32 0x7f, v23
	s_cbranch_execz .LBB294_1014
; %bb.1011:                             ;   in Loop: Header=BB294_934 Depth=1
	v_and_b32_e32 v1, 7, v19
	v_lshrrev_b32_e32 v22, 3, v23
	s_mov_b32 s18, exec_lo
	v_cmpx_gt_u32_e32 8, v23
; %bb.1012:                             ;   in Loop: Header=BB294_934 Depth=1
	s_delay_alu instid0(VALU_DEP_3) | instskip(NEXT) | instid1(VALU_DEP_1)
	v_clz_i32_u32_e32 v1, v1
	v_min_u32_e32 v1, 32, v1
	s_delay_alu instid0(VALU_DEP_1) | instskip(NEXT) | instid1(VALU_DEP_1)
	v_subrev_nc_u32_e32 v22, 28, v1
	v_lshlrev_b64_e32 v[34:35], v22, v[6:7]
	s_delay_alu instid0(VALU_DEP_1)
	v_dual_sub_nc_u32 v22, 29, v1 :: v_dual_bitop2_b32 v1, 7, v34 bitop3:0x40
; %bb.1013:                             ;   in Loop: Header=BB294_934 Depth=1
	s_or_b32 exec_lo, exec_lo, s18
	s_delay_alu instid0(VALU_DEP_1) | instskip(NEXT) | instid1(VALU_DEP_2)
	v_dual_lshlrev_b32 v6, 8, v19 :: v_dual_lshlrev_b32 v1, 23, v1
	v_lshl_add_u32 v19, v22, 10, 0x2000
	s_delay_alu instid0(VALU_DEP_1) | instskip(NEXT) | instid1(VALU_DEP_1)
	v_and_or_b32 v6, 0x8000, v6, v19
	v_lshl_or_b32 v1, v6, 16, v1
.LBB294_1014:                           ;   in Loop: Header=BB294_934 Depth=1
	s_or_b32 exec_lo, exec_lo, s17
.LBB294_1015:                           ;   in Loop: Header=BB294_934 Depth=1
	s_delay_alu instid0(SALU_CYCLE_1)
	s_or_b32 exec_lo, exec_lo, s16
.LBB294_1016:                           ;   in Loop: Header=BB294_934 Depth=1
	s_delay_alu instid0(SALU_CYCLE_1) | instskip(SKIP_3) | instid1(VALU_DEP_2)
	s_or_b32 exec_lo, exec_lo, s15
	v_dual_mov_b32 v19, 0 :: v_dual_lshrrev_b32 v6, 16, v32
	v_mov_b32_e32 v22, 0
	s_mov_b32 s15, exec_lo
	v_and_b32_e32 v23, 0xff, v6
	s_delay_alu instid0(VALU_DEP_1)
	v_cmpx_ne_u16_e32 0, v23
	s_cbranch_execz .LBB294_1024
; %bb.1017:                             ;   in Loop: Header=BB294_934 Depth=1
	v_mov_b32_e32 v22, 0x8000
	s_mov_b32 s16, exec_lo
	v_cmpx_ne_u16_e32 0x80, v23
	s_cbranch_execz .LBB294_1023
; %bb.1018:                             ;   in Loop: Header=BB294_934 Depth=1
	v_bfe_u32 v31, v32, 16, 7
	v_mov_b32_e32 v22, 0x7c01
	s_mov_b32 s17, exec_lo
	s_delay_alu instid0(VALU_DEP_2)
	v_cmpx_ne_u32_e32 0x7f, v31
	s_cbranch_execz .LBB294_1022
; %bb.1019:                             ;   in Loop: Header=BB294_934 Depth=1
	v_dual_lshrrev_b32 v23, 3, v31 :: v_dual_bitop2_b32 v22, 7, v6 bitop3:0x40
	s_mov_b32 s18, exec_lo
	v_cmpx_gt_u32_e32 8, v31
; %bb.1020:                             ;   in Loop: Header=BB294_934 Depth=1
	s_delay_alu instid0(VALU_DEP_2) | instskip(NEXT) | instid1(VALU_DEP_1)
	v_clz_i32_u32_e32 v22, v22
	v_min_u32_e32 v31, 32, v22
	s_delay_alu instid0(VALU_DEP_1) | instskip(NEXT) | instid1(VALU_DEP_1)
	v_subrev_nc_u32_e32 v22, 28, v31
	v_lshlrev_b64_e32 v[22:23], v22, v[6:7]
	s_delay_alu instid0(VALU_DEP_1)
	v_dual_sub_nc_u32 v23, 29, v31 :: v_dual_bitop2_b32 v22, 7, v22 bitop3:0x40
; %bb.1021:                             ;   in Loop: Header=BB294_934 Depth=1
	s_or_b32 exec_lo, exec_lo, s18
	v_lshlrev_b32_e32 v6, 8, v6
	s_delay_alu instid0(VALU_DEP_2) | instskip(NEXT) | instid1(VALU_DEP_3)
	v_lshl_add_u32 v23, v23, 10, 0x2000
	v_lshlrev_b32_e32 v22, 7, v22
	s_delay_alu instid0(VALU_DEP_3) | instskip(NEXT) | instid1(VALU_DEP_3)
	v_and_b32_e32 v6, 0x8000, v6
	v_and_b32_e32 v23, 0xfc00, v23
	s_delay_alu instid0(VALU_DEP_1)
	v_or3_b32 v22, v6, v23, v22
.LBB294_1022:                           ;   in Loop: Header=BB294_934 Depth=1
	s_or_b32 exec_lo, exec_lo, s17
.LBB294_1023:                           ;   in Loop: Header=BB294_934 Depth=1
	s_delay_alu instid0(SALU_CYCLE_1)
	s_or_b32 exec_lo, exec_lo, s16
.LBB294_1024:                           ;   in Loop: Header=BB294_934 Depth=1
	s_delay_alu instid0(SALU_CYCLE_1) | instskip(NEXT) | instid1(SALU_CYCLE_1)
	s_or_b32 exec_lo, exec_lo, s15
	s_mov_b32 s15, exec_lo
	v_cmpx_lt_u32_e32 0xffffff, v32
	s_cbranch_execz .LBB294_1032
; %bb.1025:                             ;   in Loop: Header=BB294_934 Depth=1
	v_lshrrev_b32_e32 v6, 24, v32
	v_bfrev_b32_e32 v19, 1
	s_mov_b32 s16, exec_lo
	s_delay_alu instid0(VALU_DEP_2)
	v_cmpx_ne_u32_e32 0x80, v6
	s_cbranch_execz .LBB294_1031
; %bb.1026:                             ;   in Loop: Header=BB294_934 Depth=1
	v_and_b32_e32 v31, 0x7f, v6
	v_mov_b32_e32 v19, 0x7c010000
	s_mov_b32 s17, exec_lo
	s_delay_alu instid0(VALU_DEP_2)
	v_cmpx_ne_u32_e32 0x7f, v31
	s_cbranch_execz .LBB294_1030
; %bb.1027:                             ;   in Loop: Header=BB294_934 Depth=1
	v_dual_lshrrev_b32 v23, 3, v31 :: v_dual_bitop2_b32 v19, 7, v6 bitop3:0x40
	s_mov_b32 s18, exec_lo
	v_cmpx_gt_u32_e32 8, v31
; %bb.1028:                             ;   in Loop: Header=BB294_934 Depth=1
	s_delay_alu instid0(VALU_DEP_2) | instskip(NEXT) | instid1(VALU_DEP_1)
	v_clz_i32_u32_e32 v19, v19
	v_min_u32_e32 v19, 32, v19
	s_delay_alu instid0(VALU_DEP_1) | instskip(NEXT) | instid1(VALU_DEP_1)
	v_subrev_nc_u32_e32 v23, 28, v19
	v_lshlrev_b64_e32 v[34:35], v23, v[6:7]
	s_delay_alu instid0(VALU_DEP_1)
	v_dual_sub_nc_u32 v23, 29, v19 :: v_dual_bitop2_b32 v19, 7, v34 bitop3:0x40
; %bb.1029:                             ;   in Loop: Header=BB294_934 Depth=1
	s_or_b32 exec_lo, exec_lo, s18
	s_delay_alu instid0(VALU_DEP_1) | instskip(NEXT) | instid1(VALU_DEP_2)
	v_dual_lshlrev_b32 v6, 8, v6 :: v_dual_lshlrev_b32 v19, 23, v19
	v_lshl_add_u32 v23, v23, 10, 0x2000
	s_delay_alu instid0(VALU_DEP_1) | instskip(NEXT) | instid1(VALU_DEP_1)
	v_and_or_b32 v6, 0x8000, v6, v23
	v_lshl_or_b32 v19, v6, 16, v19
.LBB294_1030:                           ;   in Loop: Header=BB294_934 Depth=1
	s_or_b32 exec_lo, exec_lo, s17
.LBB294_1031:                           ;   in Loop: Header=BB294_934 Depth=1
	s_delay_alu instid0(SALU_CYCLE_1)
	s_or_b32 exec_lo, exec_lo, s16
.LBB294_1032:                           ;   in Loop: Header=BB294_934 Depth=1
	s_delay_alu instid0(SALU_CYCLE_1) | instskip(SKIP_4) | instid1(VALU_DEP_3)
	s_or_b32 exec_lo, exec_lo, s15
	v_and_b32_e32 v34, 0xff, v33
	v_dual_mov_b32 v6, v33 :: v_dual_mov_b32 v31, 0
	v_mov_b32_e32 v23, 0
	s_mov_b32 s15, exec_lo
	v_cmpx_ne_u16_e32 0, v34
	s_cbranch_execz .LBB294_1040
; %bb.1033:                             ;   in Loop: Header=BB294_934 Depth=1
	v_mov_b32_e32 v23, 0x8000
	s_mov_b32 s16, exec_lo
	v_cmpx_ne_u16_e32 0x80, v34
	s_cbranch_execz .LBB294_1039
; %bb.1034:                             ;   in Loop: Header=BB294_934 Depth=1
	v_and_b32_e32 v35, 0x7f, v33
	v_mov_b32_e32 v23, 0x7c01
	s_mov_b32 s17, exec_lo
	s_delay_alu instid0(VALU_DEP_2)
	v_cmpx_ne_u32_e32 0x7f, v35
	s_cbranch_execz .LBB294_1038
; %bb.1035:                             ;   in Loop: Header=BB294_934 Depth=1
	v_dual_lshrrev_b32 v34, 3, v35 :: v_dual_bitop2_b32 v23, 7, v33 bitop3:0x40
	s_mov_b32 s18, exec_lo
	v_cmpx_gt_u32_e32 8, v35
; %bb.1036:                             ;   in Loop: Header=BB294_934 Depth=1
	s_delay_alu instid0(VALU_DEP_2) | instskip(NEXT) | instid1(VALU_DEP_1)
	v_clz_i32_u32_e32 v23, v23
	v_min_u32_e32 v23, 32, v23
	s_delay_alu instid0(VALU_DEP_1) | instskip(NEXT) | instid1(VALU_DEP_1)
	v_subrev_nc_u32_e32 v34, 28, v23
	v_lshlrev_b64_e32 v[36:37], v34, v[6:7]
	s_delay_alu instid0(VALU_DEP_1)
	v_dual_sub_nc_u32 v34, 29, v23 :: v_dual_bitop2_b32 v23, 7, v36 bitop3:0x40
; %bb.1037:                             ;   in Loop: Header=BB294_934 Depth=1
	s_or_b32 exec_lo, exec_lo, s18
	s_delay_alu instid0(VALU_DEP_1) | instskip(NEXT) | instid1(VALU_DEP_2)
	v_dual_lshlrev_b32 v35, 8, v33 :: v_dual_lshlrev_b32 v23, 7, v23
	v_lshl_add_u32 v34, v34, 10, 0x2000
	s_delay_alu instid0(VALU_DEP_2) | instskip(NEXT) | instid1(VALU_DEP_2)
	v_and_b32_e32 v35, 0x8000, v35
	v_and_b32_e32 v34, 0xfc00, v34
	s_delay_alu instid0(VALU_DEP_1)
	v_or3_b32 v23, v35, v34, v23
.LBB294_1038:                           ;   in Loop: Header=BB294_934 Depth=1
	s_or_b32 exec_lo, exec_lo, s17
.LBB294_1039:                           ;   in Loop: Header=BB294_934 Depth=1
	s_delay_alu instid0(SALU_CYCLE_1)
	s_or_b32 exec_lo, exec_lo, s16
.LBB294_1040:                           ;   in Loop: Header=BB294_934 Depth=1
	s_delay_alu instid0(SALU_CYCLE_1) | instskip(SKIP_3) | instid1(VALU_DEP_2)
	s_or_b32 exec_lo, exec_lo, s15
	v_lshrrev_b16 v6, 8, v6
	v_mov_b32_e32 v34, 0
	s_mov_b32 s15, exec_lo
	v_cmpx_ne_u16_e32 0, v6
	s_cbranch_execz .LBB294_1048
; %bb.1041:                             ;   in Loop: Header=BB294_934 Depth=1
	v_bfrev_b32_e32 v34, 1
	s_mov_b32 s16, exec_lo
	v_cmpx_ne_u16_e32 0x80, v6
	s_cbranch_execz .LBB294_1047
; %bb.1042:                             ;   in Loop: Header=BB294_934 Depth=1
	v_and_b32_e32 v35, 0xffff, v6
	v_mov_b32_e32 v34, 0x7c010000
	s_mov_b32 s17, exec_lo
	s_delay_alu instid0(VALU_DEP_2) | instskip(NEXT) | instid1(VALU_DEP_1)
	v_and_b32_e32 v37, 0x7f, v35
	v_cmpx_ne_u32_e32 0x7f, v37
	s_cbranch_execz .LBB294_1046
; %bb.1043:                             ;   in Loop: Header=BB294_934 Depth=1
	v_dual_lshrrev_b32 v36, 3, v37 :: v_dual_bitop2_b32 v34, 7, v35 bitop3:0x40
	s_mov_b32 s18, exec_lo
	v_cmpx_gt_u32_e32 8, v37
; %bb.1044:                             ;   in Loop: Header=BB294_934 Depth=1
	s_delay_alu instid0(VALU_DEP_2) | instskip(NEXT) | instid1(VALU_DEP_1)
	v_clz_i32_u32_e32 v34, v34
	v_min_u32_e32 v34, 32, v34
	s_delay_alu instid0(VALU_DEP_1) | instskip(NEXT) | instid1(VALU_DEP_1)
	v_subrev_nc_u32_e32 v36, 28, v34
	v_lshlrev_b64_e32 v[38:39], v36, v[6:7]
	v_sub_nc_u32_e32 v36, 29, v34
	s_delay_alu instid0(VALU_DEP_2)
	v_and_b32_e32 v34, 7, v38
; %bb.1045:                             ;   in Loop: Header=BB294_934 Depth=1
	s_or_b32 exec_lo, exec_lo, s18
	s_delay_alu instid0(VALU_DEP_1) | instskip(NEXT) | instid1(VALU_DEP_3)
	v_dual_lshlrev_b32 v6, 8, v35 :: v_dual_lshlrev_b32 v34, 23, v34
	v_lshl_add_u32 v35, v36, 10, 0x2000
	s_delay_alu instid0(VALU_DEP_1) | instskip(NEXT) | instid1(VALU_DEP_1)
	v_and_or_b32 v6, 0x8000, v6, v35
	v_lshl_or_b32 v34, v6, 16, v34
.LBB294_1046:                           ;   in Loop: Header=BB294_934 Depth=1
	s_or_b32 exec_lo, exec_lo, s17
.LBB294_1047:                           ;   in Loop: Header=BB294_934 Depth=1
	s_delay_alu instid0(SALU_CYCLE_1)
	s_or_b32 exec_lo, exec_lo, s16
.LBB294_1048:                           ;   in Loop: Header=BB294_934 Depth=1
	s_delay_alu instid0(SALU_CYCLE_1) | instskip(SKIP_2) | instid1(VALU_DEP_1)
	s_or_b32 exec_lo, exec_lo, s15
	v_lshrrev_b32_e32 v6, 16, v33
	s_mov_b32 s15, exec_lo
	v_and_b32_e32 v35, 0xff, v6
	s_delay_alu instid0(VALU_DEP_1)
	v_cmpx_ne_u16_e32 0, v35
	s_cbranch_execz .LBB294_1056
; %bb.1049:                             ;   in Loop: Header=BB294_934 Depth=1
	v_mov_b32_e32 v31, 0x8000
	s_mov_b32 s16, exec_lo
	v_cmpx_ne_u16_e32 0x80, v35
	s_cbranch_execz .LBB294_1055
; %bb.1050:                             ;   in Loop: Header=BB294_934 Depth=1
	v_bfe_u32 v36, v33, 16, 7
	v_mov_b32_e32 v31, 0x7c01
	s_mov_b32 s17, exec_lo
	s_delay_alu instid0(VALU_DEP_2)
	v_cmpx_ne_u32_e32 0x7f, v36
	s_cbranch_execz .LBB294_1054
; %bb.1051:                             ;   in Loop: Header=BB294_934 Depth=1
	v_dual_lshrrev_b32 v35, 3, v36 :: v_dual_bitop2_b32 v31, 7, v6 bitop3:0x40
	s_mov_b32 s18, exec_lo
	v_cmpx_gt_u32_e32 8, v36
; %bb.1052:                             ;   in Loop: Header=BB294_934 Depth=1
	s_delay_alu instid0(VALU_DEP_2) | instskip(NEXT) | instid1(VALU_DEP_1)
	v_clz_i32_u32_e32 v31, v31
	v_min_u32_e32 v31, 32, v31
	s_delay_alu instid0(VALU_DEP_1) | instskip(NEXT) | instid1(VALU_DEP_1)
	v_subrev_nc_u32_e32 v35, 28, v31
	v_lshlrev_b64_e32 v[36:37], v35, v[6:7]
	s_delay_alu instid0(VALU_DEP_1)
	v_dual_sub_nc_u32 v35, 29, v31 :: v_dual_bitop2_b32 v31, 7, v36 bitop3:0x40
; %bb.1053:                             ;   in Loop: Header=BB294_934 Depth=1
	s_or_b32 exec_lo, exec_lo, s18
	s_delay_alu instid0(VALU_DEP_1) | instskip(NEXT) | instid1(VALU_DEP_2)
	v_dual_lshlrev_b32 v6, 8, v6 :: v_dual_lshlrev_b32 v31, 7, v31
	v_lshl_add_u32 v35, v35, 10, 0x2000
	s_delay_alu instid0(VALU_DEP_2) | instskip(NEXT) | instid1(VALU_DEP_2)
	v_and_b32_e32 v6, 0x8000, v6
	v_and_b32_e32 v35, 0xfc00, v35
	s_delay_alu instid0(VALU_DEP_1)
	v_or3_b32 v31, v6, v35, v31
.LBB294_1054:                           ;   in Loop: Header=BB294_934 Depth=1
	s_or_b32 exec_lo, exec_lo, s17
.LBB294_1055:                           ;   in Loop: Header=BB294_934 Depth=1
	s_delay_alu instid0(SALU_CYCLE_1)
	s_or_b32 exec_lo, exec_lo, s16
.LBB294_1056:                           ;   in Loop: Header=BB294_934 Depth=1
	s_delay_alu instid0(SALU_CYCLE_1)
	s_or_b32 exec_lo, exec_lo, s15
	v_cmp_lt_u64_e64 s0, s[2:3], v[32:33]
	v_mov_b32_e32 v32, 0
	s_and_saveexec_b32 s15, s0
	s_cbranch_execz .LBB294_1064
; %bb.1057:                             ;   in Loop: Header=BB294_934 Depth=1
	v_lshrrev_b32_e32 v6, 24, v33
	v_bfrev_b32_e32 v32, 1
	s_mov_b32 s16, exec_lo
	s_delay_alu instid0(VALU_DEP_2)
	v_cmpx_ne_u32_e32 0x80, v6
	s_cbranch_execz .LBB294_1063
; %bb.1058:                             ;   in Loop: Header=BB294_934 Depth=1
	v_and_b32_e32 v35, 0x7f, v6
	v_mov_b32_e32 v32, 0x7c010000
	s_mov_b32 s17, exec_lo
	s_delay_alu instid0(VALU_DEP_2)
	v_cmpx_ne_u32_e32 0x7f, v35
	s_cbranch_execz .LBB294_1062
; %bb.1059:                             ;   in Loop: Header=BB294_934 Depth=1
	v_dual_lshrrev_b32 v33, 3, v35 :: v_dual_bitop2_b32 v32, 7, v6 bitop3:0x40
	s_mov_b32 s18, exec_lo
	v_cmpx_gt_u32_e32 8, v35
; %bb.1060:                             ;   in Loop: Header=BB294_934 Depth=1
	s_delay_alu instid0(VALU_DEP_2) | instskip(NEXT) | instid1(VALU_DEP_1)
	v_clz_i32_u32_e32 v32, v32
	v_min_u32_e32 v35, 32, v32
	s_delay_alu instid0(VALU_DEP_1) | instskip(NEXT) | instid1(VALU_DEP_1)
	v_subrev_nc_u32_e32 v32, 28, v35
	v_lshlrev_b64_e32 v[32:33], v32, v[6:7]
	s_delay_alu instid0(VALU_DEP_1)
	v_dual_sub_nc_u32 v33, 29, v35 :: v_dual_bitop2_b32 v32, 7, v32 bitop3:0x40
; %bb.1061:                             ;   in Loop: Header=BB294_934 Depth=1
	s_or_b32 exec_lo, exec_lo, s18
	s_delay_alu instid0(VALU_DEP_1) | instskip(NEXT) | instid1(VALU_DEP_2)
	v_dual_lshlrev_b32 v6, 8, v6 :: v_dual_lshlrev_b32 v32, 23, v32
	v_lshl_add_u32 v33, v33, 10, 0x2000
	s_delay_alu instid0(VALU_DEP_1) | instskip(NEXT) | instid1(VALU_DEP_1)
	v_and_or_b32 v6, 0x8000, v6, v33
	v_lshl_or_b32 v32, v6, 16, v32
.LBB294_1062:                           ;   in Loop: Header=BB294_934 Depth=1
	s_or_b32 exec_lo, exec_lo, s17
.LBB294_1063:                           ;   in Loop: Header=BB294_934 Depth=1
	s_delay_alu instid0(SALU_CYCLE_1)
	s_or_b32 exec_lo, exec_lo, s16
.LBB294_1064:                           ;   in Loop: Header=BB294_934 Depth=1
	s_delay_alu instid0(SALU_CYCLE_1) | instskip(SKIP_4) | instid1(VALU_DEP_4)
	s_or_b32 exec_lo, exec_lo, s15
	v_dual_lshrrev_b32 v6, 16, v1 :: v_dual_lshrrev_b32 v33, 16, v19
	v_or_b32_e32 v1, v1, v18
	v_or_b32_e32 v22, v19, v22
	;; [unrolled: 1-line block ×3, first 2 shown]
	v_cvt_f32_f16_e32 v19, v6
	v_cvt_f32_f16_e32 v18, v33
	v_dual_lshrrev_b32 v31, 16, v34 :: v_dual_bitop2_b32 v6, v32, v31 bitop3:0x54
	v_lshrrev_b32_e32 v32, 16, v32
	v_cvt_f32_f16_e32 v23, v1
	s_delay_alu instid0(VALU_DEP_3) | instskip(SKIP_4) | instid1(VALU_DEP_3)
	v_cvt_f32_f16_e32 v34, v6
	s_wait_loadcnt_dscnt 0x0
	v_pk_mul_f32 v[18:19], v[30:31], v[18:19] op_sel_hi:[0,1]
	v_cvt_f32_f16_e32 v33, v31
	v_cvt_f32_f16_e32 v32, v32
	v_cvt_pk_f16_f32 v1, v18, v19
	s_delay_alu instid0(VALU_DEP_2) | instskip(NEXT) | instid1(VALU_DEP_2)
	v_pk_mul_f32 v[18:19], v[30:31], v[32:33] op_sel_hi:[0,1]
	v_lshlrev_b32_e32 v32, 16, v1
	v_cvt_f32_f16_e32 v22, v22
	v_and_b32_e32 v33, 0xffff0000, v1
	s_delay_alu instid0(VALU_DEP_4) | instskip(NEXT) | instid1(VALU_DEP_3)
	v_cvt_pk_f16_f32 v18, v18, v19
	v_pk_mul_f32 v[22:23], v[30:31], v[22:23] op_sel_hi:[0,1]
	s_delay_alu instid0(VALU_DEP_2) | instskip(NEXT) | instid1(VALU_DEP_2)
	v_and_b32_e32 v19, 0xffff0000, v18
	v_cvt_pk_f16_f32 v6, v22, v23
	s_delay_alu instid0(VALU_DEP_1) | instskip(SKIP_2) | instid1(VALU_DEP_3)
	v_lshrrev_b32_e32 v39, 16, v6
	v_cvt_f32_f16_e32 v35, v35
	v_and_b32_e32 v38, 0xffff, v6
	v_or_b32_e32 v37, v33, v39
	s_delay_alu instid0(VALU_DEP_3) | instskip(NEXT) | instid1(VALU_DEP_3)
	v_pk_mul_f32 v[30:31], v[30:31], v[34:35] op_sel_hi:[0,1]
	v_or_b32_e32 v36, v32, v38
	s_delay_alu instid0(VALU_DEP_2) | instskip(NEXT) | instid1(VALU_DEP_1)
	v_cvt_pk_f16_f32 v1, v30, v31
	v_dual_lshlrev_b32 v6, 16, v18 :: v_dual_lshrrev_b32 v31, 16, v1
	v_and_b32_e32 v30, 0xffff, v1
	s_delay_alu instid0(VALU_DEP_2) | instskip(NEXT) | instid1(VALU_DEP_2)
	v_or_b32_e32 v35, v19, v31
	v_or_b32_e32 v34, v6, v30
	s_and_saveexec_b32 s15, vcc_lo
	s_cbranch_execz .LBB294_1066
; %bb.1065:                             ;   in Loop: Header=BB294_934 Depth=1
	v_cmp_lt_i32_e64 s0, v52, v13
	s_delay_alu instid0(VALU_DEP_1) | instskip(SKIP_1) | instid1(VALU_DEP_1)
	v_cndmask_b32_e64 v1, 0, v39, s0
	v_cmp_lt_i32_e64 s0, v68, v124
	v_cndmask_b32_e64 v18, 0, v38, s0
	v_cmp_lt_i32_e64 s0, v67, v13
	s_delay_alu instid0(VALU_DEP_1) | instskip(SKIP_1) | instid1(VALU_DEP_1)
	v_cndmask_b32_e64 v22, 0, v33, s0
	v_cmp_lt_i32_e64 s0, v66, v124
	v_cndmask_b32_e64 v23, 0, v32, s0
	v_cmp_lt_i32_e64 s0, v65, v13
	s_delay_alu instid0(VALU_DEP_4) | instskip(NEXT) | instid1(VALU_DEP_3)
	v_or_b32_e32 v37, v1, v22
	v_or_b32_e32 v36, v18, v23
	s_delay_alu instid0(VALU_DEP_3) | instskip(SKIP_1) | instid1(VALU_DEP_1)
	v_cndmask_b32_e64 v31, 0, v31, s0
	v_cmp_lt_i32_e64 s0, v64, v124
	v_cndmask_b32_e64 v30, 0, v30, s0
	v_cmp_lt_i32_e64 s0, v55, v13
	s_delay_alu instid0(VALU_DEP_1) | instskip(SKIP_1) | instid1(VALU_DEP_1)
	v_cndmask_b32_e64 v19, 0, v19, s0
	v_cmp_lt_i32_e64 s0, v0, v124
	v_dual_cndmask_b32 v6, 0, v6, s0 :: v_dual_bitop2_b32 v35, v31, v19 bitop3:0x54
	s_delay_alu instid0(VALU_DEP_1)
	v_or_b32_e32 v34, v30, v6
.LBB294_1066:                           ;   in Loop: Header=BB294_934 Depth=1
	s_or_b32 exec_lo, exec_lo, s15
	;;#ASMSTART
	v_pk_mul_f16 v1, v80, v37;

	;;#ASMEND
	;;#ASMSTART
	v_pk_mul_f16 v6, v71, v36;

	;;#ASMEND
	;; [unrolled: 4-line block ×4, first 2 shown]
	;;#ASMSTART
	v_pk_add_f16 v1, v1, v6;

	;;#ASMEND
	;;#ASMSTART
	v_pk_add_f16 v1, v1, v18;

	;;#ASMEND
	;;#ASMSTART
	v_pk_add_f16 v1, v1, v19;

	;;#ASMEND
	v_and_b32_e32 v6, 0xffff, v1
	v_lshrrev_b32_e32 v1, 16, v1
	;;#ASMSTART
	v_cvt_f32_f16 v83, v6;
	;;#ASMEND
	;;#ASMSTART
	v_cvt_f32_f16 v84, v1;
	;;#ASMEND
	flat_load_b64 v[32:33], v[14:15] offset:512
	scratch_load_b64 v[18:19], off, s32 offset:192 ; 8-byte Folded Reload
	v_mov_b32_e32 v1, 0
	s_mov_b32 s15, exec_lo
	s_wait_loadcnt_dscnt 0x100
	v_and_b32_e32 v6, 0xff, v32
	s_wait_loadcnt 0x0
	flat_load_b32 v30, v[18:19]
	s_wait_xcnt 0x0
	v_mov_b32_e32 v18, 0
	v_cmpx_ne_u16_e32 0, v6
	s_cbranch_execz .LBB294_1074
; %bb.1067:                             ;   in Loop: Header=BB294_934 Depth=1
	v_mov_b32_e32 v18, 0x8000
	s_mov_b32 s16, exec_lo
	v_cmpx_ne_u16_e32 0x80, v6
	s_cbranch_execz .LBB294_1073
; %bb.1068:                             ;   in Loop: Header=BB294_934 Depth=1
	v_and_b32_e32 v19, 0x7f, v32
	v_mov_b32_e32 v18, 0x7c01
	s_mov_b32 s17, exec_lo
	s_delay_alu instid0(VALU_DEP_2)
	v_cmpx_ne_u32_e32 0x7f, v19
	s_cbranch_execz .LBB294_1072
; %bb.1069:                             ;   in Loop: Header=BB294_934 Depth=1
	v_dual_lshrrev_b32 v18, 3, v19 :: v_dual_bitop2_b32 v6, 7, v32 bitop3:0x40
	s_mov_b32 s18, exec_lo
	v_cmpx_gt_u32_e32 8, v19
; %bb.1070:                             ;   in Loop: Header=BB294_934 Depth=1
	s_delay_alu instid0(VALU_DEP_2) | instskip(NEXT) | instid1(VALU_DEP_1)
	v_clz_i32_u32_e32 v6, v6
	v_min_u32_e32 v6, 32, v6
	s_delay_alu instid0(VALU_DEP_1) | instskip(NEXT) | instid1(VALU_DEP_1)
	v_subrev_nc_u32_e32 v18, 28, v6
	v_lshlrev_b64_e32 v[22:23], v18, v[32:33]
	v_sub_nc_u32_e32 v18, 29, v6
	s_delay_alu instid0(VALU_DEP_2)
	v_and_b32_e32 v6, 7, v22
; %bb.1071:                             ;   in Loop: Header=BB294_934 Depth=1
	s_or_b32 exec_lo, exec_lo, s18
	s_delay_alu instid0(VALU_DEP_1) | instskip(NEXT) | instid1(VALU_DEP_3)
	v_dual_lshlrev_b32 v19, 8, v32 :: v_dual_lshlrev_b32 v6, 7, v6
	v_lshl_add_u32 v18, v18, 10, 0x2000
	s_delay_alu instid0(VALU_DEP_2) | instskip(NEXT) | instid1(VALU_DEP_2)
	v_and_b32_e32 v19, 0x8000, v19
	v_and_b32_e32 v18, 0xfc00, v18
	s_delay_alu instid0(VALU_DEP_1)
	v_or3_b32 v18, v19, v18, v6
.LBB294_1072:                           ;   in Loop: Header=BB294_934 Depth=1
	s_or_b32 exec_lo, exec_lo, s17
.LBB294_1073:                           ;   in Loop: Header=BB294_934 Depth=1
	s_delay_alu instid0(SALU_CYCLE_1)
	s_or_b32 exec_lo, exec_lo, s16
.LBB294_1074:                           ;   in Loop: Header=BB294_934 Depth=1
	s_delay_alu instid0(SALU_CYCLE_1) | instskip(SKIP_2) | instid1(VALU_DEP_1)
	s_or_b32 exec_lo, exec_lo, s15
	v_lshrrev_b16 v6, 8, v32
	s_mov_b32 s15, exec_lo
	v_cmpx_ne_u16_e32 0, v6
	s_cbranch_execz .LBB294_1082
; %bb.1075:                             ;   in Loop: Header=BB294_934 Depth=1
	v_bfrev_b32_e32 v1, 1
	s_mov_b32 s16, exec_lo
	v_cmpx_ne_u16_e32 0x80, v6
	s_cbranch_execz .LBB294_1081
; %bb.1076:                             ;   in Loop: Header=BB294_934 Depth=1
	v_and_b32_e32 v19, 0xffff, v6
	v_mov_b32_e32 v1, 0x7c010000
	s_mov_b32 s17, exec_lo
	s_delay_alu instid0(VALU_DEP_2) | instskip(NEXT) | instid1(VALU_DEP_1)
	v_and_b32_e32 v23, 0x7f, v19
	v_cmpx_ne_u32_e32 0x7f, v23
	s_cbranch_execz .LBB294_1080
; %bb.1077:                             ;   in Loop: Header=BB294_934 Depth=1
	v_and_b32_e32 v1, 7, v19
	v_lshrrev_b32_e32 v22, 3, v23
	s_mov_b32 s18, exec_lo
	v_cmpx_gt_u32_e32 8, v23
; %bb.1078:                             ;   in Loop: Header=BB294_934 Depth=1
	s_delay_alu instid0(VALU_DEP_3) | instskip(NEXT) | instid1(VALU_DEP_1)
	v_clz_i32_u32_e32 v1, v1
	v_min_u32_e32 v1, 32, v1
	s_delay_alu instid0(VALU_DEP_1) | instskip(NEXT) | instid1(VALU_DEP_1)
	v_subrev_nc_u32_e32 v22, 28, v1
	v_lshlrev_b64_e32 v[34:35], v22, v[6:7]
	s_delay_alu instid0(VALU_DEP_1)
	v_dual_sub_nc_u32 v22, 29, v1 :: v_dual_bitop2_b32 v1, 7, v34 bitop3:0x40
; %bb.1079:                             ;   in Loop: Header=BB294_934 Depth=1
	s_or_b32 exec_lo, exec_lo, s18
	s_delay_alu instid0(VALU_DEP_1) | instskip(NEXT) | instid1(VALU_DEP_2)
	v_dual_lshlrev_b32 v6, 8, v19 :: v_dual_lshlrev_b32 v1, 23, v1
	v_lshl_add_u32 v19, v22, 10, 0x2000
	s_delay_alu instid0(VALU_DEP_1) | instskip(NEXT) | instid1(VALU_DEP_1)
	v_and_or_b32 v6, 0x8000, v6, v19
	v_lshl_or_b32 v1, v6, 16, v1
.LBB294_1080:                           ;   in Loop: Header=BB294_934 Depth=1
	s_or_b32 exec_lo, exec_lo, s17
.LBB294_1081:                           ;   in Loop: Header=BB294_934 Depth=1
	s_delay_alu instid0(SALU_CYCLE_1)
	s_or_b32 exec_lo, exec_lo, s16
.LBB294_1082:                           ;   in Loop: Header=BB294_934 Depth=1
	s_delay_alu instid0(SALU_CYCLE_1) | instskip(SKIP_3) | instid1(VALU_DEP_2)
	s_or_b32 exec_lo, exec_lo, s15
	v_dual_mov_b32 v19, 0 :: v_dual_lshrrev_b32 v6, 16, v32
	v_mov_b32_e32 v22, 0
	s_mov_b32 s15, exec_lo
	v_and_b32_e32 v23, 0xff, v6
	s_delay_alu instid0(VALU_DEP_1)
	v_cmpx_ne_u16_e32 0, v23
	s_cbranch_execz .LBB294_1090
; %bb.1083:                             ;   in Loop: Header=BB294_934 Depth=1
	v_mov_b32_e32 v22, 0x8000
	s_mov_b32 s16, exec_lo
	v_cmpx_ne_u16_e32 0x80, v23
	s_cbranch_execz .LBB294_1089
; %bb.1084:                             ;   in Loop: Header=BB294_934 Depth=1
	v_bfe_u32 v31, v32, 16, 7
	v_mov_b32_e32 v22, 0x7c01
	s_mov_b32 s17, exec_lo
	s_delay_alu instid0(VALU_DEP_2)
	v_cmpx_ne_u32_e32 0x7f, v31
	s_cbranch_execz .LBB294_1088
; %bb.1085:                             ;   in Loop: Header=BB294_934 Depth=1
	v_dual_lshrrev_b32 v23, 3, v31 :: v_dual_bitop2_b32 v22, 7, v6 bitop3:0x40
	s_mov_b32 s18, exec_lo
	v_cmpx_gt_u32_e32 8, v31
; %bb.1086:                             ;   in Loop: Header=BB294_934 Depth=1
	s_delay_alu instid0(VALU_DEP_2) | instskip(NEXT) | instid1(VALU_DEP_1)
	v_clz_i32_u32_e32 v22, v22
	v_min_u32_e32 v31, 32, v22
	s_delay_alu instid0(VALU_DEP_1) | instskip(NEXT) | instid1(VALU_DEP_1)
	v_subrev_nc_u32_e32 v22, 28, v31
	v_lshlrev_b64_e32 v[22:23], v22, v[6:7]
	s_delay_alu instid0(VALU_DEP_1)
	v_dual_sub_nc_u32 v23, 29, v31 :: v_dual_bitop2_b32 v22, 7, v22 bitop3:0x40
; %bb.1087:                             ;   in Loop: Header=BB294_934 Depth=1
	s_or_b32 exec_lo, exec_lo, s18
	v_lshlrev_b32_e32 v6, 8, v6
	s_delay_alu instid0(VALU_DEP_2) | instskip(NEXT) | instid1(VALU_DEP_3)
	v_lshl_add_u32 v23, v23, 10, 0x2000
	v_lshlrev_b32_e32 v22, 7, v22
	s_delay_alu instid0(VALU_DEP_3) | instskip(NEXT) | instid1(VALU_DEP_3)
	v_and_b32_e32 v6, 0x8000, v6
	v_and_b32_e32 v23, 0xfc00, v23
	s_delay_alu instid0(VALU_DEP_1)
	v_or3_b32 v22, v6, v23, v22
.LBB294_1088:                           ;   in Loop: Header=BB294_934 Depth=1
	s_or_b32 exec_lo, exec_lo, s17
.LBB294_1089:                           ;   in Loop: Header=BB294_934 Depth=1
	s_delay_alu instid0(SALU_CYCLE_1)
	s_or_b32 exec_lo, exec_lo, s16
.LBB294_1090:                           ;   in Loop: Header=BB294_934 Depth=1
	s_delay_alu instid0(SALU_CYCLE_1) | instskip(NEXT) | instid1(SALU_CYCLE_1)
	s_or_b32 exec_lo, exec_lo, s15
	s_mov_b32 s15, exec_lo
	v_cmpx_lt_u32_e32 0xffffff, v32
	s_cbranch_execz .LBB294_1098
; %bb.1091:                             ;   in Loop: Header=BB294_934 Depth=1
	v_lshrrev_b32_e32 v6, 24, v32
	v_bfrev_b32_e32 v19, 1
	s_mov_b32 s16, exec_lo
	s_delay_alu instid0(VALU_DEP_2)
	v_cmpx_ne_u32_e32 0x80, v6
	s_cbranch_execz .LBB294_1097
; %bb.1092:                             ;   in Loop: Header=BB294_934 Depth=1
	v_and_b32_e32 v31, 0x7f, v6
	v_mov_b32_e32 v19, 0x7c010000
	s_mov_b32 s17, exec_lo
	s_delay_alu instid0(VALU_DEP_2)
	v_cmpx_ne_u32_e32 0x7f, v31
	s_cbranch_execz .LBB294_1096
; %bb.1093:                             ;   in Loop: Header=BB294_934 Depth=1
	v_dual_lshrrev_b32 v23, 3, v31 :: v_dual_bitop2_b32 v19, 7, v6 bitop3:0x40
	s_mov_b32 s18, exec_lo
	v_cmpx_gt_u32_e32 8, v31
; %bb.1094:                             ;   in Loop: Header=BB294_934 Depth=1
	s_delay_alu instid0(VALU_DEP_2) | instskip(NEXT) | instid1(VALU_DEP_1)
	v_clz_i32_u32_e32 v19, v19
	v_min_u32_e32 v19, 32, v19
	s_delay_alu instid0(VALU_DEP_1) | instskip(NEXT) | instid1(VALU_DEP_1)
	v_subrev_nc_u32_e32 v23, 28, v19
	v_lshlrev_b64_e32 v[34:35], v23, v[6:7]
	s_delay_alu instid0(VALU_DEP_1)
	v_dual_sub_nc_u32 v23, 29, v19 :: v_dual_bitop2_b32 v19, 7, v34 bitop3:0x40
; %bb.1095:                             ;   in Loop: Header=BB294_934 Depth=1
	s_or_b32 exec_lo, exec_lo, s18
	s_delay_alu instid0(VALU_DEP_1) | instskip(NEXT) | instid1(VALU_DEP_2)
	v_dual_lshlrev_b32 v6, 8, v6 :: v_dual_lshlrev_b32 v19, 23, v19
	v_lshl_add_u32 v23, v23, 10, 0x2000
	s_delay_alu instid0(VALU_DEP_1) | instskip(NEXT) | instid1(VALU_DEP_1)
	v_and_or_b32 v6, 0x8000, v6, v23
	v_lshl_or_b32 v19, v6, 16, v19
.LBB294_1096:                           ;   in Loop: Header=BB294_934 Depth=1
	s_or_b32 exec_lo, exec_lo, s17
.LBB294_1097:                           ;   in Loop: Header=BB294_934 Depth=1
	s_delay_alu instid0(SALU_CYCLE_1)
	s_or_b32 exec_lo, exec_lo, s16
.LBB294_1098:                           ;   in Loop: Header=BB294_934 Depth=1
	s_delay_alu instid0(SALU_CYCLE_1) | instskip(SKIP_4) | instid1(VALU_DEP_3)
	s_or_b32 exec_lo, exec_lo, s15
	v_and_b32_e32 v34, 0xff, v33
	v_dual_mov_b32 v6, v33 :: v_dual_mov_b32 v31, 0
	v_mov_b32_e32 v23, 0
	s_mov_b32 s15, exec_lo
	v_cmpx_ne_u16_e32 0, v34
	s_cbranch_execz .LBB294_1106
; %bb.1099:                             ;   in Loop: Header=BB294_934 Depth=1
	v_mov_b32_e32 v23, 0x8000
	s_mov_b32 s16, exec_lo
	v_cmpx_ne_u16_e32 0x80, v34
	s_cbranch_execz .LBB294_1105
; %bb.1100:                             ;   in Loop: Header=BB294_934 Depth=1
	v_and_b32_e32 v35, 0x7f, v33
	v_mov_b32_e32 v23, 0x7c01
	s_mov_b32 s17, exec_lo
	s_delay_alu instid0(VALU_DEP_2)
	v_cmpx_ne_u32_e32 0x7f, v35
	s_cbranch_execz .LBB294_1104
; %bb.1101:                             ;   in Loop: Header=BB294_934 Depth=1
	v_dual_lshrrev_b32 v34, 3, v35 :: v_dual_bitop2_b32 v23, 7, v33 bitop3:0x40
	s_mov_b32 s18, exec_lo
	v_cmpx_gt_u32_e32 8, v35
; %bb.1102:                             ;   in Loop: Header=BB294_934 Depth=1
	s_delay_alu instid0(VALU_DEP_2) | instskip(NEXT) | instid1(VALU_DEP_1)
	v_clz_i32_u32_e32 v23, v23
	v_min_u32_e32 v23, 32, v23
	s_delay_alu instid0(VALU_DEP_1) | instskip(NEXT) | instid1(VALU_DEP_1)
	v_subrev_nc_u32_e32 v34, 28, v23
	v_lshlrev_b64_e32 v[36:37], v34, v[6:7]
	s_delay_alu instid0(VALU_DEP_1)
	v_dual_sub_nc_u32 v34, 29, v23 :: v_dual_bitop2_b32 v23, 7, v36 bitop3:0x40
; %bb.1103:                             ;   in Loop: Header=BB294_934 Depth=1
	s_or_b32 exec_lo, exec_lo, s18
	s_delay_alu instid0(VALU_DEP_1) | instskip(NEXT) | instid1(VALU_DEP_2)
	v_dual_lshlrev_b32 v35, 8, v33 :: v_dual_lshlrev_b32 v23, 7, v23
	v_lshl_add_u32 v34, v34, 10, 0x2000
	s_delay_alu instid0(VALU_DEP_2) | instskip(NEXT) | instid1(VALU_DEP_2)
	v_and_b32_e32 v35, 0x8000, v35
	v_and_b32_e32 v34, 0xfc00, v34
	s_delay_alu instid0(VALU_DEP_1)
	v_or3_b32 v23, v35, v34, v23
.LBB294_1104:                           ;   in Loop: Header=BB294_934 Depth=1
	s_or_b32 exec_lo, exec_lo, s17
.LBB294_1105:                           ;   in Loop: Header=BB294_934 Depth=1
	s_delay_alu instid0(SALU_CYCLE_1)
	s_or_b32 exec_lo, exec_lo, s16
.LBB294_1106:                           ;   in Loop: Header=BB294_934 Depth=1
	s_delay_alu instid0(SALU_CYCLE_1) | instskip(SKIP_3) | instid1(VALU_DEP_2)
	s_or_b32 exec_lo, exec_lo, s15
	v_lshrrev_b16 v6, 8, v6
	v_mov_b32_e32 v34, 0
	s_mov_b32 s15, exec_lo
	v_cmpx_ne_u16_e32 0, v6
	s_cbranch_execz .LBB294_1114
; %bb.1107:                             ;   in Loop: Header=BB294_934 Depth=1
	v_bfrev_b32_e32 v34, 1
	s_mov_b32 s16, exec_lo
	v_cmpx_ne_u16_e32 0x80, v6
	s_cbranch_execz .LBB294_1113
; %bb.1108:                             ;   in Loop: Header=BB294_934 Depth=1
	v_and_b32_e32 v35, 0xffff, v6
	v_mov_b32_e32 v34, 0x7c010000
	s_mov_b32 s17, exec_lo
	s_delay_alu instid0(VALU_DEP_2) | instskip(NEXT) | instid1(VALU_DEP_1)
	v_and_b32_e32 v37, 0x7f, v35
	v_cmpx_ne_u32_e32 0x7f, v37
	s_cbranch_execz .LBB294_1112
; %bb.1109:                             ;   in Loop: Header=BB294_934 Depth=1
	v_dual_lshrrev_b32 v36, 3, v37 :: v_dual_bitop2_b32 v34, 7, v35 bitop3:0x40
	s_mov_b32 s18, exec_lo
	v_cmpx_gt_u32_e32 8, v37
; %bb.1110:                             ;   in Loop: Header=BB294_934 Depth=1
	s_delay_alu instid0(VALU_DEP_2) | instskip(NEXT) | instid1(VALU_DEP_1)
	v_clz_i32_u32_e32 v34, v34
	v_min_u32_e32 v34, 32, v34
	s_delay_alu instid0(VALU_DEP_1) | instskip(NEXT) | instid1(VALU_DEP_1)
	v_subrev_nc_u32_e32 v36, 28, v34
	v_lshlrev_b64_e32 v[38:39], v36, v[6:7]
	v_sub_nc_u32_e32 v36, 29, v34
	s_delay_alu instid0(VALU_DEP_2)
	v_and_b32_e32 v34, 7, v38
; %bb.1111:                             ;   in Loop: Header=BB294_934 Depth=1
	s_or_b32 exec_lo, exec_lo, s18
	s_delay_alu instid0(VALU_DEP_1) | instskip(NEXT) | instid1(VALU_DEP_3)
	v_dual_lshlrev_b32 v6, 8, v35 :: v_dual_lshlrev_b32 v34, 23, v34
	v_lshl_add_u32 v35, v36, 10, 0x2000
	s_delay_alu instid0(VALU_DEP_1) | instskip(NEXT) | instid1(VALU_DEP_1)
	v_and_or_b32 v6, 0x8000, v6, v35
	v_lshl_or_b32 v34, v6, 16, v34
.LBB294_1112:                           ;   in Loop: Header=BB294_934 Depth=1
	s_or_b32 exec_lo, exec_lo, s17
.LBB294_1113:                           ;   in Loop: Header=BB294_934 Depth=1
	s_delay_alu instid0(SALU_CYCLE_1)
	s_or_b32 exec_lo, exec_lo, s16
.LBB294_1114:                           ;   in Loop: Header=BB294_934 Depth=1
	s_delay_alu instid0(SALU_CYCLE_1) | instskip(SKIP_2) | instid1(VALU_DEP_1)
	s_or_b32 exec_lo, exec_lo, s15
	v_lshrrev_b32_e32 v6, 16, v33
	s_mov_b32 s15, exec_lo
	v_and_b32_e32 v35, 0xff, v6
	s_delay_alu instid0(VALU_DEP_1)
	v_cmpx_ne_u16_e32 0, v35
	s_cbranch_execz .LBB294_1122
; %bb.1115:                             ;   in Loop: Header=BB294_934 Depth=1
	v_mov_b32_e32 v31, 0x8000
	s_mov_b32 s16, exec_lo
	v_cmpx_ne_u16_e32 0x80, v35
	s_cbranch_execz .LBB294_1121
; %bb.1116:                             ;   in Loop: Header=BB294_934 Depth=1
	v_bfe_u32 v36, v33, 16, 7
	v_mov_b32_e32 v31, 0x7c01
	s_mov_b32 s17, exec_lo
	s_delay_alu instid0(VALU_DEP_2)
	v_cmpx_ne_u32_e32 0x7f, v36
	s_cbranch_execz .LBB294_1120
; %bb.1117:                             ;   in Loop: Header=BB294_934 Depth=1
	v_dual_lshrrev_b32 v35, 3, v36 :: v_dual_bitop2_b32 v31, 7, v6 bitop3:0x40
	s_mov_b32 s18, exec_lo
	v_cmpx_gt_u32_e32 8, v36
; %bb.1118:                             ;   in Loop: Header=BB294_934 Depth=1
	s_delay_alu instid0(VALU_DEP_2) | instskip(NEXT) | instid1(VALU_DEP_1)
	v_clz_i32_u32_e32 v31, v31
	v_min_u32_e32 v31, 32, v31
	s_delay_alu instid0(VALU_DEP_1) | instskip(NEXT) | instid1(VALU_DEP_1)
	v_subrev_nc_u32_e32 v35, 28, v31
	v_lshlrev_b64_e32 v[36:37], v35, v[6:7]
	s_delay_alu instid0(VALU_DEP_1)
	v_dual_sub_nc_u32 v35, 29, v31 :: v_dual_bitop2_b32 v31, 7, v36 bitop3:0x40
; %bb.1119:                             ;   in Loop: Header=BB294_934 Depth=1
	s_or_b32 exec_lo, exec_lo, s18
	s_delay_alu instid0(VALU_DEP_1) | instskip(NEXT) | instid1(VALU_DEP_2)
	v_dual_lshlrev_b32 v6, 8, v6 :: v_dual_lshlrev_b32 v31, 7, v31
	v_lshl_add_u32 v35, v35, 10, 0x2000
	s_delay_alu instid0(VALU_DEP_2) | instskip(NEXT) | instid1(VALU_DEP_2)
	v_and_b32_e32 v6, 0x8000, v6
	v_and_b32_e32 v35, 0xfc00, v35
	s_delay_alu instid0(VALU_DEP_1)
	v_or3_b32 v31, v6, v35, v31
.LBB294_1120:                           ;   in Loop: Header=BB294_934 Depth=1
	s_or_b32 exec_lo, exec_lo, s17
.LBB294_1121:                           ;   in Loop: Header=BB294_934 Depth=1
	s_delay_alu instid0(SALU_CYCLE_1)
	s_or_b32 exec_lo, exec_lo, s16
.LBB294_1122:                           ;   in Loop: Header=BB294_934 Depth=1
	s_delay_alu instid0(SALU_CYCLE_1)
	s_or_b32 exec_lo, exec_lo, s15
	v_cmp_lt_u64_e64 s0, s[2:3], v[32:33]
	v_mov_b32_e32 v32, 0
	s_and_saveexec_b32 s15, s0
	s_cbranch_execz .LBB294_1130
; %bb.1123:                             ;   in Loop: Header=BB294_934 Depth=1
	v_lshrrev_b32_e32 v6, 24, v33
	v_bfrev_b32_e32 v32, 1
	s_mov_b32 s16, exec_lo
	s_delay_alu instid0(VALU_DEP_2)
	v_cmpx_ne_u32_e32 0x80, v6
	s_cbranch_execz .LBB294_1129
; %bb.1124:                             ;   in Loop: Header=BB294_934 Depth=1
	v_and_b32_e32 v35, 0x7f, v6
	v_mov_b32_e32 v32, 0x7c010000
	s_mov_b32 s17, exec_lo
	s_delay_alu instid0(VALU_DEP_2)
	v_cmpx_ne_u32_e32 0x7f, v35
	s_cbranch_execz .LBB294_1128
; %bb.1125:                             ;   in Loop: Header=BB294_934 Depth=1
	v_dual_lshrrev_b32 v33, 3, v35 :: v_dual_bitop2_b32 v32, 7, v6 bitop3:0x40
	s_mov_b32 s18, exec_lo
	v_cmpx_gt_u32_e32 8, v35
; %bb.1126:                             ;   in Loop: Header=BB294_934 Depth=1
	s_delay_alu instid0(VALU_DEP_2) | instskip(NEXT) | instid1(VALU_DEP_1)
	v_clz_i32_u32_e32 v32, v32
	v_min_u32_e32 v35, 32, v32
	s_delay_alu instid0(VALU_DEP_1) | instskip(NEXT) | instid1(VALU_DEP_1)
	v_subrev_nc_u32_e32 v32, 28, v35
	v_lshlrev_b64_e32 v[32:33], v32, v[6:7]
	s_delay_alu instid0(VALU_DEP_1)
	v_dual_sub_nc_u32 v33, 29, v35 :: v_dual_bitop2_b32 v32, 7, v32 bitop3:0x40
; %bb.1127:                             ;   in Loop: Header=BB294_934 Depth=1
	s_or_b32 exec_lo, exec_lo, s18
	s_delay_alu instid0(VALU_DEP_1) | instskip(NEXT) | instid1(VALU_DEP_2)
	v_dual_lshlrev_b32 v6, 8, v6 :: v_dual_lshlrev_b32 v32, 23, v32
	v_lshl_add_u32 v33, v33, 10, 0x2000
	s_delay_alu instid0(VALU_DEP_1) | instskip(NEXT) | instid1(VALU_DEP_1)
	v_and_or_b32 v6, 0x8000, v6, v33
	v_lshl_or_b32 v32, v6, 16, v32
.LBB294_1128:                           ;   in Loop: Header=BB294_934 Depth=1
	s_or_b32 exec_lo, exec_lo, s17
.LBB294_1129:                           ;   in Loop: Header=BB294_934 Depth=1
	s_delay_alu instid0(SALU_CYCLE_1)
	s_or_b32 exec_lo, exec_lo, s16
.LBB294_1130:                           ;   in Loop: Header=BB294_934 Depth=1
	s_delay_alu instid0(SALU_CYCLE_1) | instskip(SKIP_4) | instid1(VALU_DEP_4)
	s_or_b32 exec_lo, exec_lo, s15
	v_dual_lshrrev_b32 v6, 16, v1 :: v_dual_lshrrev_b32 v33, 16, v19
	v_or_b32_e32 v1, v1, v18
	v_or_b32_e32 v22, v19, v22
	;; [unrolled: 1-line block ×3, first 2 shown]
	v_cvt_f32_f16_e32 v19, v6
	v_cvt_f32_f16_e32 v18, v33
	v_dual_lshrrev_b32 v31, 16, v34 :: v_dual_bitop2_b32 v6, v32, v31 bitop3:0x54
	v_lshrrev_b32_e32 v32, 16, v32
	v_cvt_f32_f16_e32 v23, v1
	s_delay_alu instid0(VALU_DEP_3) | instskip(SKIP_4) | instid1(VALU_DEP_3)
	v_cvt_f32_f16_e32 v34, v6
	s_wait_loadcnt_dscnt 0x0
	v_pk_mul_f32 v[18:19], v[30:31], v[18:19] op_sel_hi:[0,1]
	v_cvt_f32_f16_e32 v33, v31
	v_cvt_f32_f16_e32 v32, v32
	v_cvt_pk_f16_f32 v1, v18, v19
	s_delay_alu instid0(VALU_DEP_2) | instskip(NEXT) | instid1(VALU_DEP_2)
	v_pk_mul_f32 v[18:19], v[30:31], v[32:33] op_sel_hi:[0,1]
	v_lshlrev_b32_e32 v32, 16, v1
	v_cvt_f32_f16_e32 v22, v22
	v_and_b32_e32 v33, 0xffff0000, v1
	s_delay_alu instid0(VALU_DEP_4) | instskip(NEXT) | instid1(VALU_DEP_3)
	v_cvt_pk_f16_f32 v18, v18, v19
	v_pk_mul_f32 v[22:23], v[30:31], v[22:23] op_sel_hi:[0,1]
	s_delay_alu instid0(VALU_DEP_2) | instskip(NEXT) | instid1(VALU_DEP_2)
	v_and_b32_e32 v19, 0xffff0000, v18
	v_cvt_pk_f16_f32 v6, v22, v23
	s_delay_alu instid0(VALU_DEP_1) | instskip(SKIP_2) | instid1(VALU_DEP_3)
	v_lshrrev_b32_e32 v39, 16, v6
	v_cvt_f32_f16_e32 v35, v35
	v_and_b32_e32 v38, 0xffff, v6
	v_or_b32_e32 v37, v33, v39
	s_delay_alu instid0(VALU_DEP_3) | instskip(NEXT) | instid1(VALU_DEP_3)
	v_pk_mul_f32 v[30:31], v[30:31], v[34:35] op_sel_hi:[0,1]
	v_or_b32_e32 v36, v32, v38
	s_delay_alu instid0(VALU_DEP_2) | instskip(NEXT) | instid1(VALU_DEP_1)
	v_cvt_pk_f16_f32 v1, v30, v31
	v_dual_lshlrev_b32 v6, 16, v18 :: v_dual_lshrrev_b32 v31, 16, v1
	v_and_b32_e32 v30, 0xffff, v1
	s_delay_alu instid0(VALU_DEP_2) | instskip(NEXT) | instid1(VALU_DEP_2)
	v_or_b32_e32 v35, v19, v31
	v_or_b32_e32 v34, v6, v30
	s_and_saveexec_b32 s15, vcc_lo
	s_cbranch_execz .LBB294_1132
; %bb.1131:                             ;   in Loop: Header=BB294_934 Depth=1
	v_cmp_lt_i32_e64 s0, v52, v13
	s_delay_alu instid0(VALU_DEP_1) | instskip(SKIP_1) | instid1(VALU_DEP_1)
	v_cndmask_b32_e64 v1, 0, v39, s0
	v_cmp_lt_i32_e64 s0, v68, v124
	v_cndmask_b32_e64 v18, 0, v38, s0
	v_cmp_lt_i32_e64 s0, v67, v13
	s_delay_alu instid0(VALU_DEP_1) | instskip(SKIP_1) | instid1(VALU_DEP_1)
	v_cndmask_b32_e64 v22, 0, v33, s0
	v_cmp_lt_i32_e64 s0, v66, v124
	v_cndmask_b32_e64 v23, 0, v32, s0
	v_cmp_lt_i32_e64 s0, v65, v13
	s_delay_alu instid0(VALU_DEP_4) | instskip(NEXT) | instid1(VALU_DEP_3)
	v_or_b32_e32 v37, v1, v22
	v_or_b32_e32 v36, v18, v23
	s_delay_alu instid0(VALU_DEP_3) | instskip(SKIP_1) | instid1(VALU_DEP_1)
	v_cndmask_b32_e64 v31, 0, v31, s0
	v_cmp_lt_i32_e64 s0, v64, v124
	v_cndmask_b32_e64 v30, 0, v30, s0
	v_cmp_lt_i32_e64 s0, v55, v13
	s_delay_alu instid0(VALU_DEP_1) | instskip(SKIP_1) | instid1(VALU_DEP_1)
	v_cndmask_b32_e64 v19, 0, v19, s0
	v_cmp_lt_i32_e64 s0, v0, v124
	v_dual_cndmask_b32 v6, 0, v6, s0 :: v_dual_bitop2_b32 v35, v31, v19 bitop3:0x54
	s_delay_alu instid0(VALU_DEP_1)
	v_or_b32_e32 v34, v30, v6
.LBB294_1132:                           ;   in Loop: Header=BB294_934 Depth=1
	s_or_b32 exec_lo, exec_lo, s15
	;;#ASMSTART
	v_pk_mul_f16 v1, v80, v37;

	;;#ASMEND
	;;#ASMSTART
	v_pk_mul_f16 v6, v71, v36;

	;;#ASMEND
	;; [unrolled: 4-line block ×4, first 2 shown]
	;;#ASMSTART
	v_pk_add_f16 v1, v1, v6;

	;;#ASMEND
	;;#ASMSTART
	v_pk_add_f16 v1, v1, v18;

	;;#ASMEND
	;; [unrolled: 4-line block ×3, first 2 shown]
	v_and_b32_e32 v6, 0xffff, v1
	v_lshrrev_b32_e32 v1, 16, v1
	;;#ASMSTART
	v_cvt_f32_f16 v85, v6;
	;;#ASMEND
	;;#ASMSTART
	v_cvt_f32_f16 v86, v1;
	;;#ASMEND
	flat_load_b64 v[32:33], v[14:15] offset:768
	scratch_load_b64 v[18:19], off, s32 offset:192 ; 8-byte Folded Reload
	v_mov_b32_e32 v1, 0
	s_mov_b32 s15, exec_lo
	s_wait_loadcnt_dscnt 0x100
	v_and_b32_e32 v6, 0xff, v32
	s_wait_loadcnt 0x0
	flat_load_b32 v30, v[18:19]
	s_wait_xcnt 0x0
	v_mov_b32_e32 v18, 0
	v_cmpx_ne_u16_e32 0, v6
	s_cbranch_execz .LBB294_1140
; %bb.1133:                             ;   in Loop: Header=BB294_934 Depth=1
	v_mov_b32_e32 v18, 0x8000
	s_mov_b32 s16, exec_lo
	v_cmpx_ne_u16_e32 0x80, v6
	s_cbranch_execz .LBB294_1139
; %bb.1134:                             ;   in Loop: Header=BB294_934 Depth=1
	v_and_b32_e32 v19, 0x7f, v32
	v_mov_b32_e32 v18, 0x7c01
	s_mov_b32 s17, exec_lo
	s_delay_alu instid0(VALU_DEP_2)
	v_cmpx_ne_u32_e32 0x7f, v19
	s_cbranch_execz .LBB294_1138
; %bb.1135:                             ;   in Loop: Header=BB294_934 Depth=1
	v_dual_lshrrev_b32 v18, 3, v19 :: v_dual_bitop2_b32 v6, 7, v32 bitop3:0x40
	s_mov_b32 s18, exec_lo
	v_cmpx_gt_u32_e32 8, v19
; %bb.1136:                             ;   in Loop: Header=BB294_934 Depth=1
	s_delay_alu instid0(VALU_DEP_2) | instskip(NEXT) | instid1(VALU_DEP_1)
	v_clz_i32_u32_e32 v6, v6
	v_min_u32_e32 v6, 32, v6
	s_delay_alu instid0(VALU_DEP_1) | instskip(NEXT) | instid1(VALU_DEP_1)
	v_subrev_nc_u32_e32 v18, 28, v6
	v_lshlrev_b64_e32 v[22:23], v18, v[32:33]
	v_sub_nc_u32_e32 v18, 29, v6
	s_delay_alu instid0(VALU_DEP_2)
	v_and_b32_e32 v6, 7, v22
; %bb.1137:                             ;   in Loop: Header=BB294_934 Depth=1
	s_or_b32 exec_lo, exec_lo, s18
	s_delay_alu instid0(VALU_DEP_1) | instskip(NEXT) | instid1(VALU_DEP_3)
	v_dual_lshlrev_b32 v19, 8, v32 :: v_dual_lshlrev_b32 v6, 7, v6
	v_lshl_add_u32 v18, v18, 10, 0x2000
	s_delay_alu instid0(VALU_DEP_2) | instskip(NEXT) | instid1(VALU_DEP_2)
	v_and_b32_e32 v19, 0x8000, v19
	v_and_b32_e32 v18, 0xfc00, v18
	s_delay_alu instid0(VALU_DEP_1)
	v_or3_b32 v18, v19, v18, v6
.LBB294_1138:                           ;   in Loop: Header=BB294_934 Depth=1
	s_or_b32 exec_lo, exec_lo, s17
.LBB294_1139:                           ;   in Loop: Header=BB294_934 Depth=1
	s_delay_alu instid0(SALU_CYCLE_1)
	s_or_b32 exec_lo, exec_lo, s16
.LBB294_1140:                           ;   in Loop: Header=BB294_934 Depth=1
	s_delay_alu instid0(SALU_CYCLE_1) | instskip(SKIP_2) | instid1(VALU_DEP_1)
	s_or_b32 exec_lo, exec_lo, s15
	v_lshrrev_b16 v6, 8, v32
	s_mov_b32 s15, exec_lo
	v_cmpx_ne_u16_e32 0, v6
	s_cbranch_execz .LBB294_1148
; %bb.1141:                             ;   in Loop: Header=BB294_934 Depth=1
	v_bfrev_b32_e32 v1, 1
	s_mov_b32 s16, exec_lo
	v_cmpx_ne_u16_e32 0x80, v6
	s_cbranch_execz .LBB294_1147
; %bb.1142:                             ;   in Loop: Header=BB294_934 Depth=1
	v_and_b32_e32 v19, 0xffff, v6
	v_mov_b32_e32 v1, 0x7c010000
	s_mov_b32 s17, exec_lo
	s_delay_alu instid0(VALU_DEP_2) | instskip(NEXT) | instid1(VALU_DEP_1)
	v_and_b32_e32 v23, 0x7f, v19
	v_cmpx_ne_u32_e32 0x7f, v23
	s_cbranch_execz .LBB294_1146
; %bb.1143:                             ;   in Loop: Header=BB294_934 Depth=1
	v_and_b32_e32 v1, 7, v19
	v_lshrrev_b32_e32 v22, 3, v23
	s_mov_b32 s18, exec_lo
	v_cmpx_gt_u32_e32 8, v23
; %bb.1144:                             ;   in Loop: Header=BB294_934 Depth=1
	s_delay_alu instid0(VALU_DEP_3) | instskip(NEXT) | instid1(VALU_DEP_1)
	v_clz_i32_u32_e32 v1, v1
	v_min_u32_e32 v1, 32, v1
	s_delay_alu instid0(VALU_DEP_1) | instskip(NEXT) | instid1(VALU_DEP_1)
	v_subrev_nc_u32_e32 v22, 28, v1
	v_lshlrev_b64_e32 v[34:35], v22, v[6:7]
	s_delay_alu instid0(VALU_DEP_1)
	v_dual_sub_nc_u32 v22, 29, v1 :: v_dual_bitop2_b32 v1, 7, v34 bitop3:0x40
; %bb.1145:                             ;   in Loop: Header=BB294_934 Depth=1
	s_or_b32 exec_lo, exec_lo, s18
	s_delay_alu instid0(VALU_DEP_1) | instskip(NEXT) | instid1(VALU_DEP_2)
	v_dual_lshlrev_b32 v6, 8, v19 :: v_dual_lshlrev_b32 v1, 23, v1
	v_lshl_add_u32 v19, v22, 10, 0x2000
	s_delay_alu instid0(VALU_DEP_1) | instskip(NEXT) | instid1(VALU_DEP_1)
	v_and_or_b32 v6, 0x8000, v6, v19
	v_lshl_or_b32 v1, v6, 16, v1
.LBB294_1146:                           ;   in Loop: Header=BB294_934 Depth=1
	s_or_b32 exec_lo, exec_lo, s17
.LBB294_1147:                           ;   in Loop: Header=BB294_934 Depth=1
	s_delay_alu instid0(SALU_CYCLE_1)
	s_or_b32 exec_lo, exec_lo, s16
.LBB294_1148:                           ;   in Loop: Header=BB294_934 Depth=1
	s_delay_alu instid0(SALU_CYCLE_1) | instskip(SKIP_3) | instid1(VALU_DEP_2)
	s_or_b32 exec_lo, exec_lo, s15
	v_dual_mov_b32 v19, 0 :: v_dual_lshrrev_b32 v6, 16, v32
	v_mov_b32_e32 v22, 0
	s_mov_b32 s15, exec_lo
	v_and_b32_e32 v23, 0xff, v6
	s_delay_alu instid0(VALU_DEP_1)
	v_cmpx_ne_u16_e32 0, v23
	s_cbranch_execz .LBB294_1156
; %bb.1149:                             ;   in Loop: Header=BB294_934 Depth=1
	v_mov_b32_e32 v22, 0x8000
	s_mov_b32 s16, exec_lo
	v_cmpx_ne_u16_e32 0x80, v23
	s_cbranch_execz .LBB294_1155
; %bb.1150:                             ;   in Loop: Header=BB294_934 Depth=1
	v_bfe_u32 v31, v32, 16, 7
	v_mov_b32_e32 v22, 0x7c01
	s_mov_b32 s17, exec_lo
	s_delay_alu instid0(VALU_DEP_2)
	v_cmpx_ne_u32_e32 0x7f, v31
	s_cbranch_execz .LBB294_1154
; %bb.1151:                             ;   in Loop: Header=BB294_934 Depth=1
	v_dual_lshrrev_b32 v23, 3, v31 :: v_dual_bitop2_b32 v22, 7, v6 bitop3:0x40
	s_mov_b32 s18, exec_lo
	v_cmpx_gt_u32_e32 8, v31
; %bb.1152:                             ;   in Loop: Header=BB294_934 Depth=1
	s_delay_alu instid0(VALU_DEP_2) | instskip(NEXT) | instid1(VALU_DEP_1)
	v_clz_i32_u32_e32 v22, v22
	v_min_u32_e32 v31, 32, v22
	s_delay_alu instid0(VALU_DEP_1) | instskip(NEXT) | instid1(VALU_DEP_1)
	v_subrev_nc_u32_e32 v22, 28, v31
	v_lshlrev_b64_e32 v[22:23], v22, v[6:7]
	s_delay_alu instid0(VALU_DEP_1)
	v_dual_sub_nc_u32 v23, 29, v31 :: v_dual_bitop2_b32 v22, 7, v22 bitop3:0x40
; %bb.1153:                             ;   in Loop: Header=BB294_934 Depth=1
	s_or_b32 exec_lo, exec_lo, s18
	v_lshlrev_b32_e32 v6, 8, v6
	s_delay_alu instid0(VALU_DEP_2) | instskip(NEXT) | instid1(VALU_DEP_3)
	v_lshl_add_u32 v23, v23, 10, 0x2000
	v_lshlrev_b32_e32 v22, 7, v22
	s_delay_alu instid0(VALU_DEP_3) | instskip(NEXT) | instid1(VALU_DEP_3)
	v_and_b32_e32 v6, 0x8000, v6
	v_and_b32_e32 v23, 0xfc00, v23
	s_delay_alu instid0(VALU_DEP_1)
	v_or3_b32 v22, v6, v23, v22
.LBB294_1154:                           ;   in Loop: Header=BB294_934 Depth=1
	s_or_b32 exec_lo, exec_lo, s17
.LBB294_1155:                           ;   in Loop: Header=BB294_934 Depth=1
	s_delay_alu instid0(SALU_CYCLE_1)
	s_or_b32 exec_lo, exec_lo, s16
.LBB294_1156:                           ;   in Loop: Header=BB294_934 Depth=1
	s_delay_alu instid0(SALU_CYCLE_1) | instskip(NEXT) | instid1(SALU_CYCLE_1)
	s_or_b32 exec_lo, exec_lo, s15
	s_mov_b32 s15, exec_lo
	v_cmpx_lt_u32_e32 0xffffff, v32
	s_cbranch_execz .LBB294_1164
; %bb.1157:                             ;   in Loop: Header=BB294_934 Depth=1
	v_lshrrev_b32_e32 v6, 24, v32
	v_bfrev_b32_e32 v19, 1
	s_mov_b32 s16, exec_lo
	s_delay_alu instid0(VALU_DEP_2)
	v_cmpx_ne_u32_e32 0x80, v6
	s_cbranch_execz .LBB294_1163
; %bb.1158:                             ;   in Loop: Header=BB294_934 Depth=1
	v_and_b32_e32 v31, 0x7f, v6
	v_mov_b32_e32 v19, 0x7c010000
	s_mov_b32 s17, exec_lo
	s_delay_alu instid0(VALU_DEP_2)
	v_cmpx_ne_u32_e32 0x7f, v31
	s_cbranch_execz .LBB294_1162
; %bb.1159:                             ;   in Loop: Header=BB294_934 Depth=1
	v_dual_lshrrev_b32 v23, 3, v31 :: v_dual_bitop2_b32 v19, 7, v6 bitop3:0x40
	s_mov_b32 s18, exec_lo
	v_cmpx_gt_u32_e32 8, v31
; %bb.1160:                             ;   in Loop: Header=BB294_934 Depth=1
	s_delay_alu instid0(VALU_DEP_2) | instskip(NEXT) | instid1(VALU_DEP_1)
	v_clz_i32_u32_e32 v19, v19
	v_min_u32_e32 v19, 32, v19
	s_delay_alu instid0(VALU_DEP_1) | instskip(NEXT) | instid1(VALU_DEP_1)
	v_subrev_nc_u32_e32 v23, 28, v19
	v_lshlrev_b64_e32 v[34:35], v23, v[6:7]
	s_delay_alu instid0(VALU_DEP_1)
	v_dual_sub_nc_u32 v23, 29, v19 :: v_dual_bitop2_b32 v19, 7, v34 bitop3:0x40
; %bb.1161:                             ;   in Loop: Header=BB294_934 Depth=1
	s_or_b32 exec_lo, exec_lo, s18
	s_delay_alu instid0(VALU_DEP_1) | instskip(NEXT) | instid1(VALU_DEP_2)
	v_dual_lshlrev_b32 v6, 8, v6 :: v_dual_lshlrev_b32 v19, 23, v19
	v_lshl_add_u32 v23, v23, 10, 0x2000
	s_delay_alu instid0(VALU_DEP_1) | instskip(NEXT) | instid1(VALU_DEP_1)
	v_and_or_b32 v6, 0x8000, v6, v23
	v_lshl_or_b32 v19, v6, 16, v19
.LBB294_1162:                           ;   in Loop: Header=BB294_934 Depth=1
	s_or_b32 exec_lo, exec_lo, s17
.LBB294_1163:                           ;   in Loop: Header=BB294_934 Depth=1
	s_delay_alu instid0(SALU_CYCLE_1)
	s_or_b32 exec_lo, exec_lo, s16
.LBB294_1164:                           ;   in Loop: Header=BB294_934 Depth=1
	s_delay_alu instid0(SALU_CYCLE_1) | instskip(SKIP_4) | instid1(VALU_DEP_3)
	s_or_b32 exec_lo, exec_lo, s15
	v_and_b32_e32 v34, 0xff, v33
	v_dual_mov_b32 v6, v33 :: v_dual_mov_b32 v31, 0
	v_mov_b32_e32 v23, 0
	s_mov_b32 s15, exec_lo
	v_cmpx_ne_u16_e32 0, v34
	s_cbranch_execz .LBB294_1172
; %bb.1165:                             ;   in Loop: Header=BB294_934 Depth=1
	v_mov_b32_e32 v23, 0x8000
	s_mov_b32 s16, exec_lo
	v_cmpx_ne_u16_e32 0x80, v34
	s_cbranch_execz .LBB294_1171
; %bb.1166:                             ;   in Loop: Header=BB294_934 Depth=1
	v_and_b32_e32 v35, 0x7f, v33
	v_mov_b32_e32 v23, 0x7c01
	s_mov_b32 s17, exec_lo
	s_delay_alu instid0(VALU_DEP_2)
	v_cmpx_ne_u32_e32 0x7f, v35
	s_cbranch_execz .LBB294_1170
; %bb.1167:                             ;   in Loop: Header=BB294_934 Depth=1
	v_dual_lshrrev_b32 v34, 3, v35 :: v_dual_bitop2_b32 v23, 7, v33 bitop3:0x40
	s_mov_b32 s18, exec_lo
	v_cmpx_gt_u32_e32 8, v35
; %bb.1168:                             ;   in Loop: Header=BB294_934 Depth=1
	s_delay_alu instid0(VALU_DEP_2) | instskip(NEXT) | instid1(VALU_DEP_1)
	v_clz_i32_u32_e32 v23, v23
	v_min_u32_e32 v23, 32, v23
	s_delay_alu instid0(VALU_DEP_1) | instskip(NEXT) | instid1(VALU_DEP_1)
	v_subrev_nc_u32_e32 v34, 28, v23
	v_lshlrev_b64_e32 v[36:37], v34, v[6:7]
	s_delay_alu instid0(VALU_DEP_1)
	v_dual_sub_nc_u32 v34, 29, v23 :: v_dual_bitop2_b32 v23, 7, v36 bitop3:0x40
; %bb.1169:                             ;   in Loop: Header=BB294_934 Depth=1
	s_or_b32 exec_lo, exec_lo, s18
	s_delay_alu instid0(VALU_DEP_1) | instskip(NEXT) | instid1(VALU_DEP_2)
	v_dual_lshlrev_b32 v35, 8, v33 :: v_dual_lshlrev_b32 v23, 7, v23
	v_lshl_add_u32 v34, v34, 10, 0x2000
	s_delay_alu instid0(VALU_DEP_2) | instskip(NEXT) | instid1(VALU_DEP_2)
	v_and_b32_e32 v35, 0x8000, v35
	v_and_b32_e32 v34, 0xfc00, v34
	s_delay_alu instid0(VALU_DEP_1)
	v_or3_b32 v23, v35, v34, v23
.LBB294_1170:                           ;   in Loop: Header=BB294_934 Depth=1
	s_or_b32 exec_lo, exec_lo, s17
.LBB294_1171:                           ;   in Loop: Header=BB294_934 Depth=1
	s_delay_alu instid0(SALU_CYCLE_1)
	s_or_b32 exec_lo, exec_lo, s16
.LBB294_1172:                           ;   in Loop: Header=BB294_934 Depth=1
	s_delay_alu instid0(SALU_CYCLE_1) | instskip(SKIP_3) | instid1(VALU_DEP_2)
	s_or_b32 exec_lo, exec_lo, s15
	v_lshrrev_b16 v6, 8, v6
	v_mov_b32_e32 v34, 0
	s_mov_b32 s15, exec_lo
	v_cmpx_ne_u16_e32 0, v6
	s_cbranch_execz .LBB294_1180
; %bb.1173:                             ;   in Loop: Header=BB294_934 Depth=1
	v_bfrev_b32_e32 v34, 1
	s_mov_b32 s16, exec_lo
	v_cmpx_ne_u16_e32 0x80, v6
	s_cbranch_execz .LBB294_1179
; %bb.1174:                             ;   in Loop: Header=BB294_934 Depth=1
	v_and_b32_e32 v35, 0xffff, v6
	v_mov_b32_e32 v34, 0x7c010000
	s_mov_b32 s17, exec_lo
	s_delay_alu instid0(VALU_DEP_2) | instskip(NEXT) | instid1(VALU_DEP_1)
	v_and_b32_e32 v37, 0x7f, v35
	v_cmpx_ne_u32_e32 0x7f, v37
	s_cbranch_execz .LBB294_1178
; %bb.1175:                             ;   in Loop: Header=BB294_934 Depth=1
	v_dual_lshrrev_b32 v36, 3, v37 :: v_dual_bitop2_b32 v34, 7, v35 bitop3:0x40
	s_mov_b32 s18, exec_lo
	v_cmpx_gt_u32_e32 8, v37
; %bb.1176:                             ;   in Loop: Header=BB294_934 Depth=1
	s_delay_alu instid0(VALU_DEP_2) | instskip(NEXT) | instid1(VALU_DEP_1)
	v_clz_i32_u32_e32 v34, v34
	v_min_u32_e32 v34, 32, v34
	s_delay_alu instid0(VALU_DEP_1) | instskip(NEXT) | instid1(VALU_DEP_1)
	v_subrev_nc_u32_e32 v36, 28, v34
	v_lshlrev_b64_e32 v[38:39], v36, v[6:7]
	v_sub_nc_u32_e32 v36, 29, v34
	s_delay_alu instid0(VALU_DEP_2)
	v_and_b32_e32 v34, 7, v38
; %bb.1177:                             ;   in Loop: Header=BB294_934 Depth=1
	s_or_b32 exec_lo, exec_lo, s18
	s_delay_alu instid0(VALU_DEP_1) | instskip(NEXT) | instid1(VALU_DEP_3)
	v_dual_lshlrev_b32 v6, 8, v35 :: v_dual_lshlrev_b32 v34, 23, v34
	v_lshl_add_u32 v35, v36, 10, 0x2000
	s_delay_alu instid0(VALU_DEP_1) | instskip(NEXT) | instid1(VALU_DEP_1)
	v_and_or_b32 v6, 0x8000, v6, v35
	v_lshl_or_b32 v34, v6, 16, v34
.LBB294_1178:                           ;   in Loop: Header=BB294_934 Depth=1
	s_or_b32 exec_lo, exec_lo, s17
.LBB294_1179:                           ;   in Loop: Header=BB294_934 Depth=1
	s_delay_alu instid0(SALU_CYCLE_1)
	s_or_b32 exec_lo, exec_lo, s16
.LBB294_1180:                           ;   in Loop: Header=BB294_934 Depth=1
	s_delay_alu instid0(SALU_CYCLE_1) | instskip(SKIP_2) | instid1(VALU_DEP_1)
	s_or_b32 exec_lo, exec_lo, s15
	v_lshrrev_b32_e32 v6, 16, v33
	s_mov_b32 s15, exec_lo
	v_and_b32_e32 v35, 0xff, v6
	s_delay_alu instid0(VALU_DEP_1)
	v_cmpx_ne_u16_e32 0, v35
	s_cbranch_execz .LBB294_1188
; %bb.1181:                             ;   in Loop: Header=BB294_934 Depth=1
	v_mov_b32_e32 v31, 0x8000
	s_mov_b32 s16, exec_lo
	v_cmpx_ne_u16_e32 0x80, v35
	s_cbranch_execz .LBB294_1187
; %bb.1182:                             ;   in Loop: Header=BB294_934 Depth=1
	v_bfe_u32 v36, v33, 16, 7
	v_mov_b32_e32 v31, 0x7c01
	s_mov_b32 s17, exec_lo
	s_delay_alu instid0(VALU_DEP_2)
	v_cmpx_ne_u32_e32 0x7f, v36
	s_cbranch_execz .LBB294_1186
; %bb.1183:                             ;   in Loop: Header=BB294_934 Depth=1
	v_dual_lshrrev_b32 v35, 3, v36 :: v_dual_bitop2_b32 v31, 7, v6 bitop3:0x40
	s_mov_b32 s18, exec_lo
	v_cmpx_gt_u32_e32 8, v36
; %bb.1184:                             ;   in Loop: Header=BB294_934 Depth=1
	s_delay_alu instid0(VALU_DEP_2) | instskip(NEXT) | instid1(VALU_DEP_1)
	v_clz_i32_u32_e32 v31, v31
	v_min_u32_e32 v31, 32, v31
	s_delay_alu instid0(VALU_DEP_1) | instskip(NEXT) | instid1(VALU_DEP_1)
	v_subrev_nc_u32_e32 v35, 28, v31
	v_lshlrev_b64_e32 v[36:37], v35, v[6:7]
	s_delay_alu instid0(VALU_DEP_1)
	v_dual_sub_nc_u32 v35, 29, v31 :: v_dual_bitop2_b32 v31, 7, v36 bitop3:0x40
; %bb.1185:                             ;   in Loop: Header=BB294_934 Depth=1
	s_or_b32 exec_lo, exec_lo, s18
	s_delay_alu instid0(VALU_DEP_1) | instskip(NEXT) | instid1(VALU_DEP_2)
	v_dual_lshlrev_b32 v6, 8, v6 :: v_dual_lshlrev_b32 v31, 7, v31
	v_lshl_add_u32 v35, v35, 10, 0x2000
	s_delay_alu instid0(VALU_DEP_2) | instskip(NEXT) | instid1(VALU_DEP_2)
	v_and_b32_e32 v6, 0x8000, v6
	v_and_b32_e32 v35, 0xfc00, v35
	s_delay_alu instid0(VALU_DEP_1)
	v_or3_b32 v31, v6, v35, v31
.LBB294_1186:                           ;   in Loop: Header=BB294_934 Depth=1
	s_or_b32 exec_lo, exec_lo, s17
.LBB294_1187:                           ;   in Loop: Header=BB294_934 Depth=1
	s_delay_alu instid0(SALU_CYCLE_1)
	s_or_b32 exec_lo, exec_lo, s16
.LBB294_1188:                           ;   in Loop: Header=BB294_934 Depth=1
	s_delay_alu instid0(SALU_CYCLE_1)
	s_or_b32 exec_lo, exec_lo, s15
	v_cmp_lt_u64_e64 s0, s[2:3], v[32:33]
	v_mov_b32_e32 v32, 0
	s_and_saveexec_b32 s15, s0
	s_cbranch_execz .LBB294_1196
; %bb.1189:                             ;   in Loop: Header=BB294_934 Depth=1
	v_lshrrev_b32_e32 v6, 24, v33
	v_bfrev_b32_e32 v32, 1
	s_mov_b32 s16, exec_lo
	s_delay_alu instid0(VALU_DEP_2)
	v_cmpx_ne_u32_e32 0x80, v6
	s_cbranch_execz .LBB294_1195
; %bb.1190:                             ;   in Loop: Header=BB294_934 Depth=1
	v_and_b32_e32 v35, 0x7f, v6
	v_mov_b32_e32 v32, 0x7c010000
	s_mov_b32 s17, exec_lo
	s_delay_alu instid0(VALU_DEP_2)
	v_cmpx_ne_u32_e32 0x7f, v35
	s_cbranch_execz .LBB294_1194
; %bb.1191:                             ;   in Loop: Header=BB294_934 Depth=1
	v_dual_lshrrev_b32 v33, 3, v35 :: v_dual_bitop2_b32 v32, 7, v6 bitop3:0x40
	s_mov_b32 s18, exec_lo
	v_cmpx_gt_u32_e32 8, v35
; %bb.1192:                             ;   in Loop: Header=BB294_934 Depth=1
	s_delay_alu instid0(VALU_DEP_2) | instskip(NEXT) | instid1(VALU_DEP_1)
	v_clz_i32_u32_e32 v32, v32
	v_min_u32_e32 v35, 32, v32
	s_delay_alu instid0(VALU_DEP_1) | instskip(NEXT) | instid1(VALU_DEP_1)
	v_subrev_nc_u32_e32 v32, 28, v35
	v_lshlrev_b64_e32 v[32:33], v32, v[6:7]
	s_delay_alu instid0(VALU_DEP_1)
	v_dual_sub_nc_u32 v33, 29, v35 :: v_dual_bitop2_b32 v32, 7, v32 bitop3:0x40
; %bb.1193:                             ;   in Loop: Header=BB294_934 Depth=1
	s_or_b32 exec_lo, exec_lo, s18
	s_delay_alu instid0(VALU_DEP_1) | instskip(NEXT) | instid1(VALU_DEP_2)
	v_dual_lshlrev_b32 v6, 8, v6 :: v_dual_lshlrev_b32 v32, 23, v32
	v_lshl_add_u32 v33, v33, 10, 0x2000
	s_delay_alu instid0(VALU_DEP_1) | instskip(NEXT) | instid1(VALU_DEP_1)
	v_and_or_b32 v6, 0x8000, v6, v33
	v_lshl_or_b32 v32, v6, 16, v32
.LBB294_1194:                           ;   in Loop: Header=BB294_934 Depth=1
	s_or_b32 exec_lo, exec_lo, s17
.LBB294_1195:                           ;   in Loop: Header=BB294_934 Depth=1
	s_delay_alu instid0(SALU_CYCLE_1)
	s_or_b32 exec_lo, exec_lo, s16
.LBB294_1196:                           ;   in Loop: Header=BB294_934 Depth=1
	s_delay_alu instid0(SALU_CYCLE_1) | instskip(SKIP_4) | instid1(VALU_DEP_4)
	s_or_b32 exec_lo, exec_lo, s15
	v_dual_lshrrev_b32 v6, 16, v1 :: v_dual_lshrrev_b32 v33, 16, v19
	v_or_b32_e32 v1, v1, v18
	v_or_b32_e32 v22, v19, v22
	;; [unrolled: 1-line block ×3, first 2 shown]
	v_cvt_f32_f16_e32 v19, v6
	v_cvt_f32_f16_e32 v18, v33
	v_dual_lshrrev_b32 v31, 16, v34 :: v_dual_bitop2_b32 v6, v32, v31 bitop3:0x54
	v_lshrrev_b32_e32 v32, 16, v32
	v_cvt_f32_f16_e32 v23, v1
	s_delay_alu instid0(VALU_DEP_3) | instskip(SKIP_4) | instid1(VALU_DEP_3)
	v_cvt_f32_f16_e32 v34, v6
	s_wait_loadcnt_dscnt 0x0
	v_pk_mul_f32 v[18:19], v[30:31], v[18:19] op_sel_hi:[0,1]
	v_cvt_f32_f16_e32 v33, v31
	v_cvt_f32_f16_e32 v32, v32
	v_cvt_pk_f16_f32 v1, v18, v19
	s_delay_alu instid0(VALU_DEP_2) | instskip(NEXT) | instid1(VALU_DEP_2)
	v_pk_mul_f32 v[18:19], v[30:31], v[32:33] op_sel_hi:[0,1]
	v_lshlrev_b32_e32 v32, 16, v1
	v_cvt_f32_f16_e32 v22, v22
	v_and_b32_e32 v33, 0xffff0000, v1
	s_delay_alu instid0(VALU_DEP_4) | instskip(NEXT) | instid1(VALU_DEP_3)
	v_cvt_pk_f16_f32 v18, v18, v19
	v_pk_mul_f32 v[22:23], v[30:31], v[22:23] op_sel_hi:[0,1]
	s_delay_alu instid0(VALU_DEP_2) | instskip(NEXT) | instid1(VALU_DEP_2)
	v_and_b32_e32 v19, 0xffff0000, v18
	v_cvt_pk_f16_f32 v6, v22, v23
	s_delay_alu instid0(VALU_DEP_1) | instskip(SKIP_2) | instid1(VALU_DEP_3)
	v_lshrrev_b32_e32 v39, 16, v6
	v_cvt_f32_f16_e32 v35, v35
	v_and_b32_e32 v38, 0xffff, v6
	v_or_b32_e32 v37, v33, v39
	s_delay_alu instid0(VALU_DEP_3) | instskip(NEXT) | instid1(VALU_DEP_3)
	v_pk_mul_f32 v[30:31], v[30:31], v[34:35] op_sel_hi:[0,1]
	v_or_b32_e32 v36, v32, v38
	s_delay_alu instid0(VALU_DEP_2) | instskip(NEXT) | instid1(VALU_DEP_1)
	v_cvt_pk_f16_f32 v1, v30, v31
	v_dual_lshlrev_b32 v6, 16, v18 :: v_dual_lshrrev_b32 v31, 16, v1
	v_and_b32_e32 v30, 0xffff, v1
	s_delay_alu instid0(VALU_DEP_2) | instskip(NEXT) | instid1(VALU_DEP_2)
	v_or_b32_e32 v35, v19, v31
	v_or_b32_e32 v34, v6, v30
	s_and_saveexec_b32 s15, vcc_lo
	s_cbranch_execz .LBB294_1198
; %bb.1197:                             ;   in Loop: Header=BB294_934 Depth=1
	v_cmp_lt_i32_e64 s0, v52, v13
	s_delay_alu instid0(VALU_DEP_1) | instskip(SKIP_1) | instid1(VALU_DEP_1)
	v_cndmask_b32_e64 v1, 0, v39, s0
	v_cmp_lt_i32_e64 s0, v68, v124
	v_cndmask_b32_e64 v18, 0, v38, s0
	v_cmp_lt_i32_e64 s0, v67, v13
	s_delay_alu instid0(VALU_DEP_1) | instskip(SKIP_1) | instid1(VALU_DEP_1)
	v_cndmask_b32_e64 v22, 0, v33, s0
	v_cmp_lt_i32_e64 s0, v66, v124
	v_cndmask_b32_e64 v23, 0, v32, s0
	v_cmp_lt_i32_e64 s0, v65, v13
	s_delay_alu instid0(VALU_DEP_4) | instskip(NEXT) | instid1(VALU_DEP_3)
	v_or_b32_e32 v37, v1, v22
	v_or_b32_e32 v36, v18, v23
	s_delay_alu instid0(VALU_DEP_3) | instskip(SKIP_1) | instid1(VALU_DEP_1)
	v_cndmask_b32_e64 v31, 0, v31, s0
	v_cmp_lt_i32_e64 s0, v64, v124
	v_cndmask_b32_e64 v30, 0, v30, s0
	v_cmp_lt_i32_e64 s0, v55, v13
	s_delay_alu instid0(VALU_DEP_1) | instskip(SKIP_1) | instid1(VALU_DEP_1)
	v_cndmask_b32_e64 v19, 0, v19, s0
	v_cmp_lt_i32_e64 s0, v0, v124
	v_dual_cndmask_b32 v6, 0, v6, s0 :: v_dual_bitop2_b32 v35, v31, v19 bitop3:0x54
	s_delay_alu instid0(VALU_DEP_1)
	v_or_b32_e32 v34, v30, v6
.LBB294_1198:                           ;   in Loop: Header=BB294_934 Depth=1
	s_or_b32 exec_lo, exec_lo, s15
	;;#ASMSTART
	v_pk_mul_f16 v1, v80, v37;

	;;#ASMEND
	;;#ASMSTART
	v_pk_mul_f16 v6, v71, v36;

	;;#ASMEND
	;; [unrolled: 4-line block ×4, first 2 shown]
	;;#ASMSTART
	v_pk_add_f16 v1, v1, v6;

	;;#ASMEND
	;;#ASMSTART
	v_pk_add_f16 v1, v1, v18;

	;;#ASMEND
	;; [unrolled: 4-line block ×3, first 2 shown]
	v_and_b32_e32 v6, 0xffff, v1
	v_lshrrev_b32_e32 v1, 16, v1
	;;#ASMSTART
	v_cvt_f32_f16 v87, v6;
	;;#ASMEND
	;;#ASMSTART
	v_cvt_f32_f16 v96, v1;
	;;#ASMEND
	flat_load_b64 v[32:33], v[14:15] offset:1024
	scratch_load_b64 v[18:19], off, s32 offset:192 ; 8-byte Folded Reload
	v_mov_b32_e32 v1, 0
	s_mov_b32 s15, exec_lo
	s_wait_loadcnt_dscnt 0x100
	v_and_b32_e32 v6, 0xff, v32
	s_wait_loadcnt 0x0
	flat_load_b32 v30, v[18:19]
	s_wait_xcnt 0x0
	v_mov_b32_e32 v18, 0
	v_cmpx_ne_u16_e32 0, v6
	s_cbranch_execz .LBB294_1206
; %bb.1199:                             ;   in Loop: Header=BB294_934 Depth=1
	v_mov_b32_e32 v18, 0x8000
	s_mov_b32 s16, exec_lo
	v_cmpx_ne_u16_e32 0x80, v6
	s_cbranch_execz .LBB294_1205
; %bb.1200:                             ;   in Loop: Header=BB294_934 Depth=1
	v_and_b32_e32 v19, 0x7f, v32
	v_mov_b32_e32 v18, 0x7c01
	s_mov_b32 s17, exec_lo
	s_delay_alu instid0(VALU_DEP_2)
	v_cmpx_ne_u32_e32 0x7f, v19
	s_cbranch_execz .LBB294_1204
; %bb.1201:                             ;   in Loop: Header=BB294_934 Depth=1
	v_dual_lshrrev_b32 v18, 3, v19 :: v_dual_bitop2_b32 v6, 7, v32 bitop3:0x40
	s_mov_b32 s18, exec_lo
	v_cmpx_gt_u32_e32 8, v19
; %bb.1202:                             ;   in Loop: Header=BB294_934 Depth=1
	s_delay_alu instid0(VALU_DEP_2) | instskip(NEXT) | instid1(VALU_DEP_1)
	v_clz_i32_u32_e32 v6, v6
	v_min_u32_e32 v6, 32, v6
	s_delay_alu instid0(VALU_DEP_1) | instskip(NEXT) | instid1(VALU_DEP_1)
	v_subrev_nc_u32_e32 v18, 28, v6
	v_lshlrev_b64_e32 v[22:23], v18, v[32:33]
	v_sub_nc_u32_e32 v18, 29, v6
	s_delay_alu instid0(VALU_DEP_2)
	v_and_b32_e32 v6, 7, v22
; %bb.1203:                             ;   in Loop: Header=BB294_934 Depth=1
	s_or_b32 exec_lo, exec_lo, s18
	s_delay_alu instid0(VALU_DEP_1) | instskip(NEXT) | instid1(VALU_DEP_3)
	v_dual_lshlrev_b32 v19, 8, v32 :: v_dual_lshlrev_b32 v6, 7, v6
	v_lshl_add_u32 v18, v18, 10, 0x2000
	s_delay_alu instid0(VALU_DEP_2) | instskip(NEXT) | instid1(VALU_DEP_2)
	v_and_b32_e32 v19, 0x8000, v19
	v_and_b32_e32 v18, 0xfc00, v18
	s_delay_alu instid0(VALU_DEP_1)
	v_or3_b32 v18, v19, v18, v6
.LBB294_1204:                           ;   in Loop: Header=BB294_934 Depth=1
	s_or_b32 exec_lo, exec_lo, s17
.LBB294_1205:                           ;   in Loop: Header=BB294_934 Depth=1
	s_delay_alu instid0(SALU_CYCLE_1)
	s_or_b32 exec_lo, exec_lo, s16
.LBB294_1206:                           ;   in Loop: Header=BB294_934 Depth=1
	s_delay_alu instid0(SALU_CYCLE_1) | instskip(SKIP_2) | instid1(VALU_DEP_1)
	s_or_b32 exec_lo, exec_lo, s15
	v_lshrrev_b16 v6, 8, v32
	s_mov_b32 s15, exec_lo
	v_cmpx_ne_u16_e32 0, v6
	s_cbranch_execz .LBB294_1214
; %bb.1207:                             ;   in Loop: Header=BB294_934 Depth=1
	v_bfrev_b32_e32 v1, 1
	s_mov_b32 s16, exec_lo
	v_cmpx_ne_u16_e32 0x80, v6
	s_cbranch_execz .LBB294_1213
; %bb.1208:                             ;   in Loop: Header=BB294_934 Depth=1
	v_and_b32_e32 v19, 0xffff, v6
	v_mov_b32_e32 v1, 0x7c010000
	s_mov_b32 s17, exec_lo
	s_delay_alu instid0(VALU_DEP_2) | instskip(NEXT) | instid1(VALU_DEP_1)
	v_and_b32_e32 v23, 0x7f, v19
	v_cmpx_ne_u32_e32 0x7f, v23
	s_cbranch_execz .LBB294_1212
; %bb.1209:                             ;   in Loop: Header=BB294_934 Depth=1
	v_and_b32_e32 v1, 7, v19
	v_lshrrev_b32_e32 v22, 3, v23
	s_mov_b32 s18, exec_lo
	v_cmpx_gt_u32_e32 8, v23
; %bb.1210:                             ;   in Loop: Header=BB294_934 Depth=1
	s_delay_alu instid0(VALU_DEP_3) | instskip(NEXT) | instid1(VALU_DEP_1)
	v_clz_i32_u32_e32 v1, v1
	v_min_u32_e32 v1, 32, v1
	s_delay_alu instid0(VALU_DEP_1) | instskip(NEXT) | instid1(VALU_DEP_1)
	v_subrev_nc_u32_e32 v22, 28, v1
	v_lshlrev_b64_e32 v[34:35], v22, v[6:7]
	s_delay_alu instid0(VALU_DEP_1)
	v_dual_sub_nc_u32 v22, 29, v1 :: v_dual_bitop2_b32 v1, 7, v34 bitop3:0x40
; %bb.1211:                             ;   in Loop: Header=BB294_934 Depth=1
	s_or_b32 exec_lo, exec_lo, s18
	s_delay_alu instid0(VALU_DEP_1) | instskip(NEXT) | instid1(VALU_DEP_2)
	v_dual_lshlrev_b32 v6, 8, v19 :: v_dual_lshlrev_b32 v1, 23, v1
	v_lshl_add_u32 v19, v22, 10, 0x2000
	s_delay_alu instid0(VALU_DEP_1) | instskip(NEXT) | instid1(VALU_DEP_1)
	v_and_or_b32 v6, 0x8000, v6, v19
	v_lshl_or_b32 v1, v6, 16, v1
.LBB294_1212:                           ;   in Loop: Header=BB294_934 Depth=1
	s_or_b32 exec_lo, exec_lo, s17
.LBB294_1213:                           ;   in Loop: Header=BB294_934 Depth=1
	s_delay_alu instid0(SALU_CYCLE_1)
	s_or_b32 exec_lo, exec_lo, s16
.LBB294_1214:                           ;   in Loop: Header=BB294_934 Depth=1
	s_delay_alu instid0(SALU_CYCLE_1) | instskip(SKIP_3) | instid1(VALU_DEP_2)
	s_or_b32 exec_lo, exec_lo, s15
	v_dual_mov_b32 v19, 0 :: v_dual_lshrrev_b32 v6, 16, v32
	v_mov_b32_e32 v22, 0
	s_mov_b32 s15, exec_lo
	v_and_b32_e32 v23, 0xff, v6
	s_delay_alu instid0(VALU_DEP_1)
	v_cmpx_ne_u16_e32 0, v23
	s_cbranch_execz .LBB294_1222
; %bb.1215:                             ;   in Loop: Header=BB294_934 Depth=1
	v_mov_b32_e32 v22, 0x8000
	s_mov_b32 s16, exec_lo
	v_cmpx_ne_u16_e32 0x80, v23
	s_cbranch_execz .LBB294_1221
; %bb.1216:                             ;   in Loop: Header=BB294_934 Depth=1
	v_bfe_u32 v31, v32, 16, 7
	v_mov_b32_e32 v22, 0x7c01
	s_mov_b32 s17, exec_lo
	s_delay_alu instid0(VALU_DEP_2)
	v_cmpx_ne_u32_e32 0x7f, v31
	s_cbranch_execz .LBB294_1220
; %bb.1217:                             ;   in Loop: Header=BB294_934 Depth=1
	v_dual_lshrrev_b32 v23, 3, v31 :: v_dual_bitop2_b32 v22, 7, v6 bitop3:0x40
	s_mov_b32 s18, exec_lo
	v_cmpx_gt_u32_e32 8, v31
; %bb.1218:                             ;   in Loop: Header=BB294_934 Depth=1
	s_delay_alu instid0(VALU_DEP_2) | instskip(NEXT) | instid1(VALU_DEP_1)
	v_clz_i32_u32_e32 v22, v22
	v_min_u32_e32 v31, 32, v22
	s_delay_alu instid0(VALU_DEP_1) | instskip(NEXT) | instid1(VALU_DEP_1)
	v_subrev_nc_u32_e32 v22, 28, v31
	v_lshlrev_b64_e32 v[22:23], v22, v[6:7]
	s_delay_alu instid0(VALU_DEP_1)
	v_dual_sub_nc_u32 v23, 29, v31 :: v_dual_bitop2_b32 v22, 7, v22 bitop3:0x40
; %bb.1219:                             ;   in Loop: Header=BB294_934 Depth=1
	s_or_b32 exec_lo, exec_lo, s18
	v_lshlrev_b32_e32 v6, 8, v6
	s_delay_alu instid0(VALU_DEP_2) | instskip(NEXT) | instid1(VALU_DEP_3)
	v_lshl_add_u32 v23, v23, 10, 0x2000
	v_lshlrev_b32_e32 v22, 7, v22
	s_delay_alu instid0(VALU_DEP_3) | instskip(NEXT) | instid1(VALU_DEP_3)
	v_and_b32_e32 v6, 0x8000, v6
	v_and_b32_e32 v23, 0xfc00, v23
	s_delay_alu instid0(VALU_DEP_1)
	v_or3_b32 v22, v6, v23, v22
.LBB294_1220:                           ;   in Loop: Header=BB294_934 Depth=1
	s_or_b32 exec_lo, exec_lo, s17
.LBB294_1221:                           ;   in Loop: Header=BB294_934 Depth=1
	s_delay_alu instid0(SALU_CYCLE_1)
	s_or_b32 exec_lo, exec_lo, s16
.LBB294_1222:                           ;   in Loop: Header=BB294_934 Depth=1
	s_delay_alu instid0(SALU_CYCLE_1) | instskip(NEXT) | instid1(SALU_CYCLE_1)
	s_or_b32 exec_lo, exec_lo, s15
	s_mov_b32 s15, exec_lo
	v_cmpx_lt_u32_e32 0xffffff, v32
	s_cbranch_execz .LBB294_1230
; %bb.1223:                             ;   in Loop: Header=BB294_934 Depth=1
	v_lshrrev_b32_e32 v6, 24, v32
	v_bfrev_b32_e32 v19, 1
	s_mov_b32 s16, exec_lo
	s_delay_alu instid0(VALU_DEP_2)
	v_cmpx_ne_u32_e32 0x80, v6
	s_cbranch_execz .LBB294_1229
; %bb.1224:                             ;   in Loop: Header=BB294_934 Depth=1
	v_and_b32_e32 v31, 0x7f, v6
	v_mov_b32_e32 v19, 0x7c010000
	s_mov_b32 s17, exec_lo
	s_delay_alu instid0(VALU_DEP_2)
	v_cmpx_ne_u32_e32 0x7f, v31
	s_cbranch_execz .LBB294_1228
; %bb.1225:                             ;   in Loop: Header=BB294_934 Depth=1
	v_dual_lshrrev_b32 v23, 3, v31 :: v_dual_bitop2_b32 v19, 7, v6 bitop3:0x40
	s_mov_b32 s18, exec_lo
	v_cmpx_gt_u32_e32 8, v31
; %bb.1226:                             ;   in Loop: Header=BB294_934 Depth=1
	s_delay_alu instid0(VALU_DEP_2) | instskip(NEXT) | instid1(VALU_DEP_1)
	v_clz_i32_u32_e32 v19, v19
	v_min_u32_e32 v19, 32, v19
	s_delay_alu instid0(VALU_DEP_1) | instskip(NEXT) | instid1(VALU_DEP_1)
	v_subrev_nc_u32_e32 v23, 28, v19
	v_lshlrev_b64_e32 v[34:35], v23, v[6:7]
	s_delay_alu instid0(VALU_DEP_1)
	v_dual_sub_nc_u32 v23, 29, v19 :: v_dual_bitop2_b32 v19, 7, v34 bitop3:0x40
; %bb.1227:                             ;   in Loop: Header=BB294_934 Depth=1
	s_or_b32 exec_lo, exec_lo, s18
	s_delay_alu instid0(VALU_DEP_1) | instskip(NEXT) | instid1(VALU_DEP_2)
	v_dual_lshlrev_b32 v6, 8, v6 :: v_dual_lshlrev_b32 v19, 23, v19
	v_lshl_add_u32 v23, v23, 10, 0x2000
	s_delay_alu instid0(VALU_DEP_1) | instskip(NEXT) | instid1(VALU_DEP_1)
	v_and_or_b32 v6, 0x8000, v6, v23
	v_lshl_or_b32 v19, v6, 16, v19
.LBB294_1228:                           ;   in Loop: Header=BB294_934 Depth=1
	s_or_b32 exec_lo, exec_lo, s17
.LBB294_1229:                           ;   in Loop: Header=BB294_934 Depth=1
	s_delay_alu instid0(SALU_CYCLE_1)
	s_or_b32 exec_lo, exec_lo, s16
.LBB294_1230:                           ;   in Loop: Header=BB294_934 Depth=1
	s_delay_alu instid0(SALU_CYCLE_1) | instskip(SKIP_4) | instid1(VALU_DEP_3)
	s_or_b32 exec_lo, exec_lo, s15
	v_and_b32_e32 v34, 0xff, v33
	v_dual_mov_b32 v6, v33 :: v_dual_mov_b32 v31, 0
	v_mov_b32_e32 v23, 0
	s_mov_b32 s15, exec_lo
	v_cmpx_ne_u16_e32 0, v34
	s_cbranch_execz .LBB294_1238
; %bb.1231:                             ;   in Loop: Header=BB294_934 Depth=1
	v_mov_b32_e32 v23, 0x8000
	s_mov_b32 s16, exec_lo
	v_cmpx_ne_u16_e32 0x80, v34
	s_cbranch_execz .LBB294_1237
; %bb.1232:                             ;   in Loop: Header=BB294_934 Depth=1
	v_and_b32_e32 v35, 0x7f, v33
	v_mov_b32_e32 v23, 0x7c01
	s_mov_b32 s17, exec_lo
	s_delay_alu instid0(VALU_DEP_2)
	v_cmpx_ne_u32_e32 0x7f, v35
	s_cbranch_execz .LBB294_1236
; %bb.1233:                             ;   in Loop: Header=BB294_934 Depth=1
	v_dual_lshrrev_b32 v34, 3, v35 :: v_dual_bitop2_b32 v23, 7, v33 bitop3:0x40
	s_mov_b32 s18, exec_lo
	v_cmpx_gt_u32_e32 8, v35
; %bb.1234:                             ;   in Loop: Header=BB294_934 Depth=1
	s_delay_alu instid0(VALU_DEP_2) | instskip(NEXT) | instid1(VALU_DEP_1)
	v_clz_i32_u32_e32 v23, v23
	v_min_u32_e32 v23, 32, v23
	s_delay_alu instid0(VALU_DEP_1) | instskip(NEXT) | instid1(VALU_DEP_1)
	v_subrev_nc_u32_e32 v34, 28, v23
	v_lshlrev_b64_e32 v[36:37], v34, v[6:7]
	s_delay_alu instid0(VALU_DEP_1)
	v_dual_sub_nc_u32 v34, 29, v23 :: v_dual_bitop2_b32 v23, 7, v36 bitop3:0x40
; %bb.1235:                             ;   in Loop: Header=BB294_934 Depth=1
	s_or_b32 exec_lo, exec_lo, s18
	s_delay_alu instid0(VALU_DEP_1) | instskip(NEXT) | instid1(VALU_DEP_2)
	v_dual_lshlrev_b32 v35, 8, v33 :: v_dual_lshlrev_b32 v23, 7, v23
	v_lshl_add_u32 v34, v34, 10, 0x2000
	s_delay_alu instid0(VALU_DEP_2) | instskip(NEXT) | instid1(VALU_DEP_2)
	v_and_b32_e32 v35, 0x8000, v35
	v_and_b32_e32 v34, 0xfc00, v34
	s_delay_alu instid0(VALU_DEP_1)
	v_or3_b32 v23, v35, v34, v23
.LBB294_1236:                           ;   in Loop: Header=BB294_934 Depth=1
	s_or_b32 exec_lo, exec_lo, s17
.LBB294_1237:                           ;   in Loop: Header=BB294_934 Depth=1
	s_delay_alu instid0(SALU_CYCLE_1)
	s_or_b32 exec_lo, exec_lo, s16
.LBB294_1238:                           ;   in Loop: Header=BB294_934 Depth=1
	s_delay_alu instid0(SALU_CYCLE_1) | instskip(SKIP_3) | instid1(VALU_DEP_2)
	s_or_b32 exec_lo, exec_lo, s15
	v_lshrrev_b16 v6, 8, v6
	v_mov_b32_e32 v34, 0
	s_mov_b32 s15, exec_lo
	v_cmpx_ne_u16_e32 0, v6
	s_cbranch_execz .LBB294_1246
; %bb.1239:                             ;   in Loop: Header=BB294_934 Depth=1
	v_bfrev_b32_e32 v34, 1
	s_mov_b32 s16, exec_lo
	v_cmpx_ne_u16_e32 0x80, v6
	s_cbranch_execz .LBB294_1245
; %bb.1240:                             ;   in Loop: Header=BB294_934 Depth=1
	v_and_b32_e32 v35, 0xffff, v6
	v_mov_b32_e32 v34, 0x7c010000
	s_mov_b32 s17, exec_lo
	s_delay_alu instid0(VALU_DEP_2) | instskip(NEXT) | instid1(VALU_DEP_1)
	v_and_b32_e32 v37, 0x7f, v35
	v_cmpx_ne_u32_e32 0x7f, v37
	s_cbranch_execz .LBB294_1244
; %bb.1241:                             ;   in Loop: Header=BB294_934 Depth=1
	v_dual_lshrrev_b32 v36, 3, v37 :: v_dual_bitop2_b32 v34, 7, v35 bitop3:0x40
	s_mov_b32 s18, exec_lo
	v_cmpx_gt_u32_e32 8, v37
; %bb.1242:                             ;   in Loop: Header=BB294_934 Depth=1
	s_delay_alu instid0(VALU_DEP_2) | instskip(NEXT) | instid1(VALU_DEP_1)
	v_clz_i32_u32_e32 v34, v34
	v_min_u32_e32 v34, 32, v34
	s_delay_alu instid0(VALU_DEP_1) | instskip(NEXT) | instid1(VALU_DEP_1)
	v_subrev_nc_u32_e32 v36, 28, v34
	v_lshlrev_b64_e32 v[38:39], v36, v[6:7]
	v_sub_nc_u32_e32 v36, 29, v34
	s_delay_alu instid0(VALU_DEP_2)
	v_and_b32_e32 v34, 7, v38
; %bb.1243:                             ;   in Loop: Header=BB294_934 Depth=1
	s_or_b32 exec_lo, exec_lo, s18
	s_delay_alu instid0(VALU_DEP_1) | instskip(NEXT) | instid1(VALU_DEP_3)
	v_dual_lshlrev_b32 v6, 8, v35 :: v_dual_lshlrev_b32 v34, 23, v34
	v_lshl_add_u32 v35, v36, 10, 0x2000
	s_delay_alu instid0(VALU_DEP_1) | instskip(NEXT) | instid1(VALU_DEP_1)
	v_and_or_b32 v6, 0x8000, v6, v35
	v_lshl_or_b32 v34, v6, 16, v34
.LBB294_1244:                           ;   in Loop: Header=BB294_934 Depth=1
	s_or_b32 exec_lo, exec_lo, s17
.LBB294_1245:                           ;   in Loop: Header=BB294_934 Depth=1
	s_delay_alu instid0(SALU_CYCLE_1)
	s_or_b32 exec_lo, exec_lo, s16
.LBB294_1246:                           ;   in Loop: Header=BB294_934 Depth=1
	s_delay_alu instid0(SALU_CYCLE_1) | instskip(SKIP_2) | instid1(VALU_DEP_1)
	s_or_b32 exec_lo, exec_lo, s15
	v_lshrrev_b32_e32 v6, 16, v33
	s_mov_b32 s15, exec_lo
	v_and_b32_e32 v35, 0xff, v6
	s_delay_alu instid0(VALU_DEP_1)
	v_cmpx_ne_u16_e32 0, v35
	s_cbranch_execz .LBB294_1254
; %bb.1247:                             ;   in Loop: Header=BB294_934 Depth=1
	v_mov_b32_e32 v31, 0x8000
	s_mov_b32 s16, exec_lo
	v_cmpx_ne_u16_e32 0x80, v35
	s_cbranch_execz .LBB294_1253
; %bb.1248:                             ;   in Loop: Header=BB294_934 Depth=1
	v_bfe_u32 v36, v33, 16, 7
	v_mov_b32_e32 v31, 0x7c01
	s_mov_b32 s17, exec_lo
	s_delay_alu instid0(VALU_DEP_2)
	v_cmpx_ne_u32_e32 0x7f, v36
	s_cbranch_execz .LBB294_1252
; %bb.1249:                             ;   in Loop: Header=BB294_934 Depth=1
	v_dual_lshrrev_b32 v35, 3, v36 :: v_dual_bitop2_b32 v31, 7, v6 bitop3:0x40
	s_mov_b32 s18, exec_lo
	v_cmpx_gt_u32_e32 8, v36
; %bb.1250:                             ;   in Loop: Header=BB294_934 Depth=1
	s_delay_alu instid0(VALU_DEP_2) | instskip(NEXT) | instid1(VALU_DEP_1)
	v_clz_i32_u32_e32 v31, v31
	v_min_u32_e32 v31, 32, v31
	s_delay_alu instid0(VALU_DEP_1) | instskip(NEXT) | instid1(VALU_DEP_1)
	v_subrev_nc_u32_e32 v35, 28, v31
	v_lshlrev_b64_e32 v[36:37], v35, v[6:7]
	s_delay_alu instid0(VALU_DEP_1)
	v_dual_sub_nc_u32 v35, 29, v31 :: v_dual_bitop2_b32 v31, 7, v36 bitop3:0x40
; %bb.1251:                             ;   in Loop: Header=BB294_934 Depth=1
	s_or_b32 exec_lo, exec_lo, s18
	s_delay_alu instid0(VALU_DEP_1) | instskip(NEXT) | instid1(VALU_DEP_2)
	v_dual_lshlrev_b32 v6, 8, v6 :: v_dual_lshlrev_b32 v31, 7, v31
	v_lshl_add_u32 v35, v35, 10, 0x2000
	s_delay_alu instid0(VALU_DEP_2) | instskip(NEXT) | instid1(VALU_DEP_2)
	v_and_b32_e32 v6, 0x8000, v6
	v_and_b32_e32 v35, 0xfc00, v35
	s_delay_alu instid0(VALU_DEP_1)
	v_or3_b32 v31, v6, v35, v31
.LBB294_1252:                           ;   in Loop: Header=BB294_934 Depth=1
	s_or_b32 exec_lo, exec_lo, s17
.LBB294_1253:                           ;   in Loop: Header=BB294_934 Depth=1
	s_delay_alu instid0(SALU_CYCLE_1)
	s_or_b32 exec_lo, exec_lo, s16
.LBB294_1254:                           ;   in Loop: Header=BB294_934 Depth=1
	s_delay_alu instid0(SALU_CYCLE_1)
	s_or_b32 exec_lo, exec_lo, s15
	v_cmp_lt_u64_e64 s0, s[2:3], v[32:33]
	v_mov_b32_e32 v32, 0
	s_and_saveexec_b32 s15, s0
	s_cbranch_execz .LBB294_1262
; %bb.1255:                             ;   in Loop: Header=BB294_934 Depth=1
	v_lshrrev_b32_e32 v6, 24, v33
	v_bfrev_b32_e32 v32, 1
	s_mov_b32 s16, exec_lo
	s_delay_alu instid0(VALU_DEP_2)
	v_cmpx_ne_u32_e32 0x80, v6
	s_cbranch_execz .LBB294_1261
; %bb.1256:                             ;   in Loop: Header=BB294_934 Depth=1
	v_and_b32_e32 v35, 0x7f, v6
	v_mov_b32_e32 v32, 0x7c010000
	s_mov_b32 s17, exec_lo
	s_delay_alu instid0(VALU_DEP_2)
	v_cmpx_ne_u32_e32 0x7f, v35
	s_cbranch_execz .LBB294_1260
; %bb.1257:                             ;   in Loop: Header=BB294_934 Depth=1
	v_dual_lshrrev_b32 v33, 3, v35 :: v_dual_bitop2_b32 v32, 7, v6 bitop3:0x40
	s_mov_b32 s18, exec_lo
	v_cmpx_gt_u32_e32 8, v35
; %bb.1258:                             ;   in Loop: Header=BB294_934 Depth=1
	s_delay_alu instid0(VALU_DEP_2) | instskip(NEXT) | instid1(VALU_DEP_1)
	v_clz_i32_u32_e32 v32, v32
	v_min_u32_e32 v35, 32, v32
	s_delay_alu instid0(VALU_DEP_1) | instskip(NEXT) | instid1(VALU_DEP_1)
	v_subrev_nc_u32_e32 v32, 28, v35
	v_lshlrev_b64_e32 v[32:33], v32, v[6:7]
	s_delay_alu instid0(VALU_DEP_1)
	v_dual_sub_nc_u32 v33, 29, v35 :: v_dual_bitop2_b32 v32, 7, v32 bitop3:0x40
; %bb.1259:                             ;   in Loop: Header=BB294_934 Depth=1
	s_or_b32 exec_lo, exec_lo, s18
	s_delay_alu instid0(VALU_DEP_1) | instskip(NEXT) | instid1(VALU_DEP_2)
	v_dual_lshlrev_b32 v6, 8, v6 :: v_dual_lshlrev_b32 v32, 23, v32
	v_lshl_add_u32 v33, v33, 10, 0x2000
	s_delay_alu instid0(VALU_DEP_1) | instskip(NEXT) | instid1(VALU_DEP_1)
	v_and_or_b32 v6, 0x8000, v6, v33
	v_lshl_or_b32 v32, v6, 16, v32
.LBB294_1260:                           ;   in Loop: Header=BB294_934 Depth=1
	s_or_b32 exec_lo, exec_lo, s17
.LBB294_1261:                           ;   in Loop: Header=BB294_934 Depth=1
	s_delay_alu instid0(SALU_CYCLE_1)
	s_or_b32 exec_lo, exec_lo, s16
.LBB294_1262:                           ;   in Loop: Header=BB294_934 Depth=1
	s_delay_alu instid0(SALU_CYCLE_1) | instskip(SKIP_4) | instid1(VALU_DEP_4)
	s_or_b32 exec_lo, exec_lo, s15
	v_dual_lshrrev_b32 v6, 16, v1 :: v_dual_lshrrev_b32 v33, 16, v19
	v_or_b32_e32 v1, v1, v18
	v_or_b32_e32 v22, v19, v22
	;; [unrolled: 1-line block ×3, first 2 shown]
	v_cvt_f32_f16_e32 v19, v6
	v_cvt_f32_f16_e32 v18, v33
	v_dual_lshrrev_b32 v31, 16, v34 :: v_dual_bitop2_b32 v6, v32, v31 bitop3:0x54
	v_lshrrev_b32_e32 v32, 16, v32
	v_cvt_f32_f16_e32 v23, v1
	s_delay_alu instid0(VALU_DEP_3) | instskip(SKIP_4) | instid1(VALU_DEP_3)
	v_cvt_f32_f16_e32 v34, v6
	s_wait_loadcnt_dscnt 0x0
	v_pk_mul_f32 v[18:19], v[30:31], v[18:19] op_sel_hi:[0,1]
	v_cvt_f32_f16_e32 v33, v31
	v_cvt_f32_f16_e32 v32, v32
	v_cvt_pk_f16_f32 v1, v18, v19
	s_delay_alu instid0(VALU_DEP_2) | instskip(NEXT) | instid1(VALU_DEP_2)
	v_pk_mul_f32 v[18:19], v[30:31], v[32:33] op_sel_hi:[0,1]
	v_lshlrev_b32_e32 v32, 16, v1
	v_cvt_f32_f16_e32 v22, v22
	v_and_b32_e32 v33, 0xffff0000, v1
	s_delay_alu instid0(VALU_DEP_4) | instskip(NEXT) | instid1(VALU_DEP_3)
	v_cvt_pk_f16_f32 v18, v18, v19
	v_pk_mul_f32 v[22:23], v[30:31], v[22:23] op_sel_hi:[0,1]
	s_delay_alu instid0(VALU_DEP_2) | instskip(NEXT) | instid1(VALU_DEP_2)
	v_and_b32_e32 v19, 0xffff0000, v18
	v_cvt_pk_f16_f32 v6, v22, v23
	s_delay_alu instid0(VALU_DEP_1) | instskip(SKIP_2) | instid1(VALU_DEP_3)
	v_lshrrev_b32_e32 v39, 16, v6
	v_cvt_f32_f16_e32 v35, v35
	v_and_b32_e32 v38, 0xffff, v6
	v_or_b32_e32 v37, v33, v39
	s_delay_alu instid0(VALU_DEP_3) | instskip(NEXT) | instid1(VALU_DEP_3)
	v_pk_mul_f32 v[30:31], v[30:31], v[34:35] op_sel_hi:[0,1]
	v_or_b32_e32 v36, v32, v38
	s_delay_alu instid0(VALU_DEP_2) | instskip(NEXT) | instid1(VALU_DEP_1)
	v_cvt_pk_f16_f32 v1, v30, v31
	v_dual_lshlrev_b32 v6, 16, v18 :: v_dual_lshrrev_b32 v31, 16, v1
	v_and_b32_e32 v30, 0xffff, v1
	s_delay_alu instid0(VALU_DEP_2) | instskip(NEXT) | instid1(VALU_DEP_2)
	v_or_b32_e32 v35, v19, v31
	v_or_b32_e32 v34, v6, v30
	s_and_saveexec_b32 s15, vcc_lo
	s_cbranch_execz .LBB294_1264
; %bb.1263:                             ;   in Loop: Header=BB294_934 Depth=1
	v_cmp_lt_i32_e64 s0, v52, v13
	s_delay_alu instid0(VALU_DEP_1) | instskip(SKIP_1) | instid1(VALU_DEP_1)
	v_cndmask_b32_e64 v1, 0, v39, s0
	v_cmp_lt_i32_e64 s0, v68, v124
	v_cndmask_b32_e64 v18, 0, v38, s0
	v_cmp_lt_i32_e64 s0, v67, v13
	s_delay_alu instid0(VALU_DEP_1) | instskip(SKIP_1) | instid1(VALU_DEP_1)
	v_cndmask_b32_e64 v22, 0, v33, s0
	v_cmp_lt_i32_e64 s0, v66, v124
	v_cndmask_b32_e64 v23, 0, v32, s0
	v_cmp_lt_i32_e64 s0, v65, v13
	s_delay_alu instid0(VALU_DEP_4) | instskip(NEXT) | instid1(VALU_DEP_3)
	v_or_b32_e32 v37, v1, v22
	v_or_b32_e32 v36, v18, v23
	s_delay_alu instid0(VALU_DEP_3) | instskip(SKIP_1) | instid1(VALU_DEP_1)
	v_cndmask_b32_e64 v31, 0, v31, s0
	v_cmp_lt_i32_e64 s0, v64, v124
	v_cndmask_b32_e64 v30, 0, v30, s0
	v_cmp_lt_i32_e64 s0, v55, v13
	s_delay_alu instid0(VALU_DEP_1) | instskip(SKIP_1) | instid1(VALU_DEP_1)
	v_cndmask_b32_e64 v19, 0, v19, s0
	v_cmp_lt_i32_e64 s0, v0, v124
	v_dual_cndmask_b32 v6, 0, v6, s0 :: v_dual_bitop2_b32 v35, v31, v19 bitop3:0x54
	s_delay_alu instid0(VALU_DEP_1)
	v_or_b32_e32 v34, v30, v6
.LBB294_1264:                           ;   in Loop: Header=BB294_934 Depth=1
	s_or_b32 exec_lo, exec_lo, s15
	;;#ASMSTART
	v_pk_mul_f16 v1, v80, v37;

	;;#ASMEND
	;;#ASMSTART
	v_pk_mul_f16 v6, v71, v36;

	;;#ASMEND
	;; [unrolled: 4-line block ×4, first 2 shown]
	;;#ASMSTART
	v_pk_add_f16 v1, v1, v6;

	;;#ASMEND
	;;#ASMSTART
	v_pk_add_f16 v1, v1, v18;

	;;#ASMEND
	;; [unrolled: 4-line block ×3, first 2 shown]
	v_and_b32_e32 v6, 0xffff, v1
	v_lshrrev_b32_e32 v1, 16, v1
	;;#ASMSTART
	v_cvt_f32_f16 v97, v6;
	;;#ASMEND
	;;#ASMSTART
	v_cvt_f32_f16 v98, v1;
	;;#ASMEND
	flat_load_b64 v[32:33], v[14:15] offset:1280
	scratch_load_b64 v[18:19], off, s32 offset:192 ; 8-byte Folded Reload
	v_mov_b32_e32 v1, 0
	s_mov_b32 s15, exec_lo
	s_wait_loadcnt_dscnt 0x100
	v_and_b32_e32 v6, 0xff, v32
	s_wait_loadcnt 0x0
	flat_load_b32 v30, v[18:19]
	s_wait_xcnt 0x0
	v_mov_b32_e32 v18, 0
	v_cmpx_ne_u16_e32 0, v6
	s_cbranch_execz .LBB294_1272
; %bb.1265:                             ;   in Loop: Header=BB294_934 Depth=1
	v_mov_b32_e32 v18, 0x8000
	s_mov_b32 s16, exec_lo
	v_cmpx_ne_u16_e32 0x80, v6
	s_cbranch_execz .LBB294_1271
; %bb.1266:                             ;   in Loop: Header=BB294_934 Depth=1
	v_and_b32_e32 v19, 0x7f, v32
	v_mov_b32_e32 v18, 0x7c01
	s_mov_b32 s17, exec_lo
	s_delay_alu instid0(VALU_DEP_2)
	v_cmpx_ne_u32_e32 0x7f, v19
	s_cbranch_execz .LBB294_1270
; %bb.1267:                             ;   in Loop: Header=BB294_934 Depth=1
	v_dual_lshrrev_b32 v18, 3, v19 :: v_dual_bitop2_b32 v6, 7, v32 bitop3:0x40
	s_mov_b32 s18, exec_lo
	v_cmpx_gt_u32_e32 8, v19
; %bb.1268:                             ;   in Loop: Header=BB294_934 Depth=1
	s_delay_alu instid0(VALU_DEP_2) | instskip(NEXT) | instid1(VALU_DEP_1)
	v_clz_i32_u32_e32 v6, v6
	v_min_u32_e32 v6, 32, v6
	s_delay_alu instid0(VALU_DEP_1) | instskip(NEXT) | instid1(VALU_DEP_1)
	v_subrev_nc_u32_e32 v18, 28, v6
	v_lshlrev_b64_e32 v[22:23], v18, v[32:33]
	v_sub_nc_u32_e32 v18, 29, v6
	s_delay_alu instid0(VALU_DEP_2)
	v_and_b32_e32 v6, 7, v22
; %bb.1269:                             ;   in Loop: Header=BB294_934 Depth=1
	s_or_b32 exec_lo, exec_lo, s18
	s_delay_alu instid0(VALU_DEP_1) | instskip(NEXT) | instid1(VALU_DEP_3)
	v_dual_lshlrev_b32 v19, 8, v32 :: v_dual_lshlrev_b32 v6, 7, v6
	v_lshl_add_u32 v18, v18, 10, 0x2000
	s_delay_alu instid0(VALU_DEP_2) | instskip(NEXT) | instid1(VALU_DEP_2)
	v_and_b32_e32 v19, 0x8000, v19
	v_and_b32_e32 v18, 0xfc00, v18
	s_delay_alu instid0(VALU_DEP_1)
	v_or3_b32 v18, v19, v18, v6
.LBB294_1270:                           ;   in Loop: Header=BB294_934 Depth=1
	s_or_b32 exec_lo, exec_lo, s17
.LBB294_1271:                           ;   in Loop: Header=BB294_934 Depth=1
	s_delay_alu instid0(SALU_CYCLE_1)
	s_or_b32 exec_lo, exec_lo, s16
.LBB294_1272:                           ;   in Loop: Header=BB294_934 Depth=1
	s_delay_alu instid0(SALU_CYCLE_1) | instskip(SKIP_2) | instid1(VALU_DEP_1)
	s_or_b32 exec_lo, exec_lo, s15
	v_lshrrev_b16 v6, 8, v32
	s_mov_b32 s15, exec_lo
	v_cmpx_ne_u16_e32 0, v6
	s_cbranch_execz .LBB294_1280
; %bb.1273:                             ;   in Loop: Header=BB294_934 Depth=1
	v_bfrev_b32_e32 v1, 1
	s_mov_b32 s16, exec_lo
	v_cmpx_ne_u16_e32 0x80, v6
	s_cbranch_execz .LBB294_1279
; %bb.1274:                             ;   in Loop: Header=BB294_934 Depth=1
	v_and_b32_e32 v19, 0xffff, v6
	v_mov_b32_e32 v1, 0x7c010000
	s_mov_b32 s17, exec_lo
	s_delay_alu instid0(VALU_DEP_2) | instskip(NEXT) | instid1(VALU_DEP_1)
	v_and_b32_e32 v23, 0x7f, v19
	v_cmpx_ne_u32_e32 0x7f, v23
	s_cbranch_execz .LBB294_1278
; %bb.1275:                             ;   in Loop: Header=BB294_934 Depth=1
	v_and_b32_e32 v1, 7, v19
	v_lshrrev_b32_e32 v22, 3, v23
	s_mov_b32 s18, exec_lo
	v_cmpx_gt_u32_e32 8, v23
; %bb.1276:                             ;   in Loop: Header=BB294_934 Depth=1
	s_delay_alu instid0(VALU_DEP_3) | instskip(NEXT) | instid1(VALU_DEP_1)
	v_clz_i32_u32_e32 v1, v1
	v_min_u32_e32 v1, 32, v1
	s_delay_alu instid0(VALU_DEP_1) | instskip(NEXT) | instid1(VALU_DEP_1)
	v_subrev_nc_u32_e32 v22, 28, v1
	v_lshlrev_b64_e32 v[34:35], v22, v[6:7]
	s_delay_alu instid0(VALU_DEP_1)
	v_dual_sub_nc_u32 v22, 29, v1 :: v_dual_bitop2_b32 v1, 7, v34 bitop3:0x40
; %bb.1277:                             ;   in Loop: Header=BB294_934 Depth=1
	s_or_b32 exec_lo, exec_lo, s18
	s_delay_alu instid0(VALU_DEP_1) | instskip(NEXT) | instid1(VALU_DEP_2)
	v_dual_lshlrev_b32 v6, 8, v19 :: v_dual_lshlrev_b32 v1, 23, v1
	v_lshl_add_u32 v19, v22, 10, 0x2000
	s_delay_alu instid0(VALU_DEP_1) | instskip(NEXT) | instid1(VALU_DEP_1)
	v_and_or_b32 v6, 0x8000, v6, v19
	v_lshl_or_b32 v1, v6, 16, v1
.LBB294_1278:                           ;   in Loop: Header=BB294_934 Depth=1
	s_or_b32 exec_lo, exec_lo, s17
.LBB294_1279:                           ;   in Loop: Header=BB294_934 Depth=1
	s_delay_alu instid0(SALU_CYCLE_1)
	s_or_b32 exec_lo, exec_lo, s16
.LBB294_1280:                           ;   in Loop: Header=BB294_934 Depth=1
	s_delay_alu instid0(SALU_CYCLE_1) | instskip(SKIP_3) | instid1(VALU_DEP_2)
	s_or_b32 exec_lo, exec_lo, s15
	v_dual_mov_b32 v19, 0 :: v_dual_lshrrev_b32 v6, 16, v32
	v_mov_b32_e32 v22, 0
	s_mov_b32 s15, exec_lo
	v_and_b32_e32 v23, 0xff, v6
	s_delay_alu instid0(VALU_DEP_1)
	v_cmpx_ne_u16_e32 0, v23
	s_cbranch_execz .LBB294_1288
; %bb.1281:                             ;   in Loop: Header=BB294_934 Depth=1
	v_mov_b32_e32 v22, 0x8000
	s_mov_b32 s16, exec_lo
	v_cmpx_ne_u16_e32 0x80, v23
	s_cbranch_execz .LBB294_1287
; %bb.1282:                             ;   in Loop: Header=BB294_934 Depth=1
	v_bfe_u32 v31, v32, 16, 7
	v_mov_b32_e32 v22, 0x7c01
	s_mov_b32 s17, exec_lo
	s_delay_alu instid0(VALU_DEP_2)
	v_cmpx_ne_u32_e32 0x7f, v31
	s_cbranch_execz .LBB294_1286
; %bb.1283:                             ;   in Loop: Header=BB294_934 Depth=1
	v_dual_lshrrev_b32 v23, 3, v31 :: v_dual_bitop2_b32 v22, 7, v6 bitop3:0x40
	s_mov_b32 s18, exec_lo
	v_cmpx_gt_u32_e32 8, v31
; %bb.1284:                             ;   in Loop: Header=BB294_934 Depth=1
	s_delay_alu instid0(VALU_DEP_2) | instskip(NEXT) | instid1(VALU_DEP_1)
	v_clz_i32_u32_e32 v22, v22
	v_min_u32_e32 v31, 32, v22
	s_delay_alu instid0(VALU_DEP_1) | instskip(NEXT) | instid1(VALU_DEP_1)
	v_subrev_nc_u32_e32 v22, 28, v31
	v_lshlrev_b64_e32 v[22:23], v22, v[6:7]
	s_delay_alu instid0(VALU_DEP_1)
	v_dual_sub_nc_u32 v23, 29, v31 :: v_dual_bitop2_b32 v22, 7, v22 bitop3:0x40
; %bb.1285:                             ;   in Loop: Header=BB294_934 Depth=1
	s_or_b32 exec_lo, exec_lo, s18
	v_lshlrev_b32_e32 v6, 8, v6
	s_delay_alu instid0(VALU_DEP_2) | instskip(NEXT) | instid1(VALU_DEP_3)
	v_lshl_add_u32 v23, v23, 10, 0x2000
	v_lshlrev_b32_e32 v22, 7, v22
	s_delay_alu instid0(VALU_DEP_3) | instskip(NEXT) | instid1(VALU_DEP_3)
	v_and_b32_e32 v6, 0x8000, v6
	v_and_b32_e32 v23, 0xfc00, v23
	s_delay_alu instid0(VALU_DEP_1)
	v_or3_b32 v22, v6, v23, v22
.LBB294_1286:                           ;   in Loop: Header=BB294_934 Depth=1
	s_or_b32 exec_lo, exec_lo, s17
.LBB294_1287:                           ;   in Loop: Header=BB294_934 Depth=1
	s_delay_alu instid0(SALU_CYCLE_1)
	s_or_b32 exec_lo, exec_lo, s16
.LBB294_1288:                           ;   in Loop: Header=BB294_934 Depth=1
	s_delay_alu instid0(SALU_CYCLE_1) | instskip(NEXT) | instid1(SALU_CYCLE_1)
	s_or_b32 exec_lo, exec_lo, s15
	s_mov_b32 s15, exec_lo
	v_cmpx_lt_u32_e32 0xffffff, v32
	s_cbranch_execz .LBB294_1296
; %bb.1289:                             ;   in Loop: Header=BB294_934 Depth=1
	v_lshrrev_b32_e32 v6, 24, v32
	v_bfrev_b32_e32 v19, 1
	s_mov_b32 s16, exec_lo
	s_delay_alu instid0(VALU_DEP_2)
	v_cmpx_ne_u32_e32 0x80, v6
	s_cbranch_execz .LBB294_1295
; %bb.1290:                             ;   in Loop: Header=BB294_934 Depth=1
	v_and_b32_e32 v31, 0x7f, v6
	v_mov_b32_e32 v19, 0x7c010000
	s_mov_b32 s17, exec_lo
	s_delay_alu instid0(VALU_DEP_2)
	v_cmpx_ne_u32_e32 0x7f, v31
	s_cbranch_execz .LBB294_1294
; %bb.1291:                             ;   in Loop: Header=BB294_934 Depth=1
	v_dual_lshrrev_b32 v23, 3, v31 :: v_dual_bitop2_b32 v19, 7, v6 bitop3:0x40
	s_mov_b32 s18, exec_lo
	v_cmpx_gt_u32_e32 8, v31
; %bb.1292:                             ;   in Loop: Header=BB294_934 Depth=1
	s_delay_alu instid0(VALU_DEP_2) | instskip(NEXT) | instid1(VALU_DEP_1)
	v_clz_i32_u32_e32 v19, v19
	v_min_u32_e32 v19, 32, v19
	s_delay_alu instid0(VALU_DEP_1) | instskip(NEXT) | instid1(VALU_DEP_1)
	v_subrev_nc_u32_e32 v23, 28, v19
	v_lshlrev_b64_e32 v[34:35], v23, v[6:7]
	s_delay_alu instid0(VALU_DEP_1)
	v_dual_sub_nc_u32 v23, 29, v19 :: v_dual_bitop2_b32 v19, 7, v34 bitop3:0x40
; %bb.1293:                             ;   in Loop: Header=BB294_934 Depth=1
	s_or_b32 exec_lo, exec_lo, s18
	s_delay_alu instid0(VALU_DEP_1) | instskip(NEXT) | instid1(VALU_DEP_2)
	v_dual_lshlrev_b32 v6, 8, v6 :: v_dual_lshlrev_b32 v19, 23, v19
	v_lshl_add_u32 v23, v23, 10, 0x2000
	s_delay_alu instid0(VALU_DEP_1) | instskip(NEXT) | instid1(VALU_DEP_1)
	v_and_or_b32 v6, 0x8000, v6, v23
	v_lshl_or_b32 v19, v6, 16, v19
.LBB294_1294:                           ;   in Loop: Header=BB294_934 Depth=1
	s_or_b32 exec_lo, exec_lo, s17
.LBB294_1295:                           ;   in Loop: Header=BB294_934 Depth=1
	s_delay_alu instid0(SALU_CYCLE_1)
	s_or_b32 exec_lo, exec_lo, s16
.LBB294_1296:                           ;   in Loop: Header=BB294_934 Depth=1
	s_delay_alu instid0(SALU_CYCLE_1) | instskip(SKIP_4) | instid1(VALU_DEP_3)
	s_or_b32 exec_lo, exec_lo, s15
	v_and_b32_e32 v34, 0xff, v33
	v_dual_mov_b32 v6, v33 :: v_dual_mov_b32 v31, 0
	v_mov_b32_e32 v23, 0
	s_mov_b32 s15, exec_lo
	v_cmpx_ne_u16_e32 0, v34
	s_cbranch_execz .LBB294_1304
; %bb.1297:                             ;   in Loop: Header=BB294_934 Depth=1
	v_mov_b32_e32 v23, 0x8000
	s_mov_b32 s16, exec_lo
	v_cmpx_ne_u16_e32 0x80, v34
	s_cbranch_execz .LBB294_1303
; %bb.1298:                             ;   in Loop: Header=BB294_934 Depth=1
	v_and_b32_e32 v35, 0x7f, v33
	v_mov_b32_e32 v23, 0x7c01
	s_mov_b32 s17, exec_lo
	s_delay_alu instid0(VALU_DEP_2)
	v_cmpx_ne_u32_e32 0x7f, v35
	s_cbranch_execz .LBB294_1302
; %bb.1299:                             ;   in Loop: Header=BB294_934 Depth=1
	v_dual_lshrrev_b32 v34, 3, v35 :: v_dual_bitop2_b32 v23, 7, v33 bitop3:0x40
	s_mov_b32 s18, exec_lo
	v_cmpx_gt_u32_e32 8, v35
; %bb.1300:                             ;   in Loop: Header=BB294_934 Depth=1
	s_delay_alu instid0(VALU_DEP_2) | instskip(NEXT) | instid1(VALU_DEP_1)
	v_clz_i32_u32_e32 v23, v23
	v_min_u32_e32 v23, 32, v23
	s_delay_alu instid0(VALU_DEP_1) | instskip(NEXT) | instid1(VALU_DEP_1)
	v_subrev_nc_u32_e32 v34, 28, v23
	v_lshlrev_b64_e32 v[36:37], v34, v[6:7]
	s_delay_alu instid0(VALU_DEP_1)
	v_dual_sub_nc_u32 v34, 29, v23 :: v_dual_bitop2_b32 v23, 7, v36 bitop3:0x40
; %bb.1301:                             ;   in Loop: Header=BB294_934 Depth=1
	s_or_b32 exec_lo, exec_lo, s18
	s_delay_alu instid0(VALU_DEP_1) | instskip(NEXT) | instid1(VALU_DEP_2)
	v_dual_lshlrev_b32 v35, 8, v33 :: v_dual_lshlrev_b32 v23, 7, v23
	v_lshl_add_u32 v34, v34, 10, 0x2000
	s_delay_alu instid0(VALU_DEP_2) | instskip(NEXT) | instid1(VALU_DEP_2)
	v_and_b32_e32 v35, 0x8000, v35
	v_and_b32_e32 v34, 0xfc00, v34
	s_delay_alu instid0(VALU_DEP_1)
	v_or3_b32 v23, v35, v34, v23
.LBB294_1302:                           ;   in Loop: Header=BB294_934 Depth=1
	s_or_b32 exec_lo, exec_lo, s17
.LBB294_1303:                           ;   in Loop: Header=BB294_934 Depth=1
	s_delay_alu instid0(SALU_CYCLE_1)
	s_or_b32 exec_lo, exec_lo, s16
.LBB294_1304:                           ;   in Loop: Header=BB294_934 Depth=1
	s_delay_alu instid0(SALU_CYCLE_1) | instskip(SKIP_3) | instid1(VALU_DEP_2)
	s_or_b32 exec_lo, exec_lo, s15
	v_lshrrev_b16 v6, 8, v6
	v_mov_b32_e32 v34, 0
	s_mov_b32 s15, exec_lo
	v_cmpx_ne_u16_e32 0, v6
	s_cbranch_execz .LBB294_1312
; %bb.1305:                             ;   in Loop: Header=BB294_934 Depth=1
	v_bfrev_b32_e32 v34, 1
	s_mov_b32 s16, exec_lo
	v_cmpx_ne_u16_e32 0x80, v6
	s_cbranch_execz .LBB294_1311
; %bb.1306:                             ;   in Loop: Header=BB294_934 Depth=1
	v_and_b32_e32 v35, 0xffff, v6
	v_mov_b32_e32 v34, 0x7c010000
	s_mov_b32 s17, exec_lo
	s_delay_alu instid0(VALU_DEP_2) | instskip(NEXT) | instid1(VALU_DEP_1)
	v_and_b32_e32 v37, 0x7f, v35
	v_cmpx_ne_u32_e32 0x7f, v37
	s_cbranch_execz .LBB294_1310
; %bb.1307:                             ;   in Loop: Header=BB294_934 Depth=1
	v_dual_lshrrev_b32 v36, 3, v37 :: v_dual_bitop2_b32 v34, 7, v35 bitop3:0x40
	s_mov_b32 s18, exec_lo
	v_cmpx_gt_u32_e32 8, v37
; %bb.1308:                             ;   in Loop: Header=BB294_934 Depth=1
	s_delay_alu instid0(VALU_DEP_2) | instskip(NEXT) | instid1(VALU_DEP_1)
	v_clz_i32_u32_e32 v34, v34
	v_min_u32_e32 v34, 32, v34
	s_delay_alu instid0(VALU_DEP_1) | instskip(NEXT) | instid1(VALU_DEP_1)
	v_subrev_nc_u32_e32 v36, 28, v34
	v_lshlrev_b64_e32 v[38:39], v36, v[6:7]
	v_sub_nc_u32_e32 v36, 29, v34
	s_delay_alu instid0(VALU_DEP_2)
	v_and_b32_e32 v34, 7, v38
; %bb.1309:                             ;   in Loop: Header=BB294_934 Depth=1
	s_or_b32 exec_lo, exec_lo, s18
	s_delay_alu instid0(VALU_DEP_1) | instskip(NEXT) | instid1(VALU_DEP_3)
	v_dual_lshlrev_b32 v6, 8, v35 :: v_dual_lshlrev_b32 v34, 23, v34
	v_lshl_add_u32 v35, v36, 10, 0x2000
	s_delay_alu instid0(VALU_DEP_1) | instskip(NEXT) | instid1(VALU_DEP_1)
	v_and_or_b32 v6, 0x8000, v6, v35
	v_lshl_or_b32 v34, v6, 16, v34
.LBB294_1310:                           ;   in Loop: Header=BB294_934 Depth=1
	s_or_b32 exec_lo, exec_lo, s17
.LBB294_1311:                           ;   in Loop: Header=BB294_934 Depth=1
	s_delay_alu instid0(SALU_CYCLE_1)
	s_or_b32 exec_lo, exec_lo, s16
.LBB294_1312:                           ;   in Loop: Header=BB294_934 Depth=1
	s_delay_alu instid0(SALU_CYCLE_1) | instskip(SKIP_2) | instid1(VALU_DEP_1)
	s_or_b32 exec_lo, exec_lo, s15
	v_lshrrev_b32_e32 v6, 16, v33
	s_mov_b32 s15, exec_lo
	v_and_b32_e32 v35, 0xff, v6
	s_delay_alu instid0(VALU_DEP_1)
	v_cmpx_ne_u16_e32 0, v35
	s_cbranch_execz .LBB294_1320
; %bb.1313:                             ;   in Loop: Header=BB294_934 Depth=1
	v_mov_b32_e32 v31, 0x8000
	s_mov_b32 s16, exec_lo
	v_cmpx_ne_u16_e32 0x80, v35
	s_cbranch_execz .LBB294_1319
; %bb.1314:                             ;   in Loop: Header=BB294_934 Depth=1
	v_bfe_u32 v36, v33, 16, 7
	v_mov_b32_e32 v31, 0x7c01
	s_mov_b32 s17, exec_lo
	s_delay_alu instid0(VALU_DEP_2)
	v_cmpx_ne_u32_e32 0x7f, v36
	s_cbranch_execz .LBB294_1318
; %bb.1315:                             ;   in Loop: Header=BB294_934 Depth=1
	v_dual_lshrrev_b32 v35, 3, v36 :: v_dual_bitop2_b32 v31, 7, v6 bitop3:0x40
	s_mov_b32 s18, exec_lo
	v_cmpx_gt_u32_e32 8, v36
; %bb.1316:                             ;   in Loop: Header=BB294_934 Depth=1
	s_delay_alu instid0(VALU_DEP_2) | instskip(NEXT) | instid1(VALU_DEP_1)
	v_clz_i32_u32_e32 v31, v31
	v_min_u32_e32 v31, 32, v31
	s_delay_alu instid0(VALU_DEP_1) | instskip(NEXT) | instid1(VALU_DEP_1)
	v_subrev_nc_u32_e32 v35, 28, v31
	v_lshlrev_b64_e32 v[36:37], v35, v[6:7]
	s_delay_alu instid0(VALU_DEP_1)
	v_dual_sub_nc_u32 v35, 29, v31 :: v_dual_bitop2_b32 v31, 7, v36 bitop3:0x40
; %bb.1317:                             ;   in Loop: Header=BB294_934 Depth=1
	s_or_b32 exec_lo, exec_lo, s18
	s_delay_alu instid0(VALU_DEP_1) | instskip(NEXT) | instid1(VALU_DEP_2)
	v_dual_lshlrev_b32 v6, 8, v6 :: v_dual_lshlrev_b32 v31, 7, v31
	v_lshl_add_u32 v35, v35, 10, 0x2000
	s_delay_alu instid0(VALU_DEP_2) | instskip(NEXT) | instid1(VALU_DEP_2)
	v_and_b32_e32 v6, 0x8000, v6
	v_and_b32_e32 v35, 0xfc00, v35
	s_delay_alu instid0(VALU_DEP_1)
	v_or3_b32 v31, v6, v35, v31
.LBB294_1318:                           ;   in Loop: Header=BB294_934 Depth=1
	s_or_b32 exec_lo, exec_lo, s17
.LBB294_1319:                           ;   in Loop: Header=BB294_934 Depth=1
	s_delay_alu instid0(SALU_CYCLE_1)
	s_or_b32 exec_lo, exec_lo, s16
.LBB294_1320:                           ;   in Loop: Header=BB294_934 Depth=1
	s_delay_alu instid0(SALU_CYCLE_1)
	s_or_b32 exec_lo, exec_lo, s15
	v_cmp_lt_u64_e64 s0, s[2:3], v[32:33]
	v_mov_b32_e32 v32, 0
	s_and_saveexec_b32 s15, s0
	s_cbranch_execz .LBB294_1328
; %bb.1321:                             ;   in Loop: Header=BB294_934 Depth=1
	v_lshrrev_b32_e32 v6, 24, v33
	v_bfrev_b32_e32 v32, 1
	s_mov_b32 s16, exec_lo
	s_delay_alu instid0(VALU_DEP_2)
	v_cmpx_ne_u32_e32 0x80, v6
	s_cbranch_execz .LBB294_1327
; %bb.1322:                             ;   in Loop: Header=BB294_934 Depth=1
	v_and_b32_e32 v35, 0x7f, v6
	v_mov_b32_e32 v32, 0x7c010000
	s_mov_b32 s17, exec_lo
	s_delay_alu instid0(VALU_DEP_2)
	v_cmpx_ne_u32_e32 0x7f, v35
	s_cbranch_execz .LBB294_1326
; %bb.1323:                             ;   in Loop: Header=BB294_934 Depth=1
	v_dual_lshrrev_b32 v33, 3, v35 :: v_dual_bitop2_b32 v32, 7, v6 bitop3:0x40
	s_mov_b32 s18, exec_lo
	v_cmpx_gt_u32_e32 8, v35
; %bb.1324:                             ;   in Loop: Header=BB294_934 Depth=1
	s_delay_alu instid0(VALU_DEP_2) | instskip(NEXT) | instid1(VALU_DEP_1)
	v_clz_i32_u32_e32 v32, v32
	v_min_u32_e32 v35, 32, v32
	s_delay_alu instid0(VALU_DEP_1) | instskip(NEXT) | instid1(VALU_DEP_1)
	v_subrev_nc_u32_e32 v32, 28, v35
	v_lshlrev_b64_e32 v[32:33], v32, v[6:7]
	s_delay_alu instid0(VALU_DEP_1)
	v_dual_sub_nc_u32 v33, 29, v35 :: v_dual_bitop2_b32 v32, 7, v32 bitop3:0x40
; %bb.1325:                             ;   in Loop: Header=BB294_934 Depth=1
	s_or_b32 exec_lo, exec_lo, s18
	s_delay_alu instid0(VALU_DEP_1) | instskip(NEXT) | instid1(VALU_DEP_2)
	v_dual_lshlrev_b32 v6, 8, v6 :: v_dual_lshlrev_b32 v32, 23, v32
	v_lshl_add_u32 v33, v33, 10, 0x2000
	s_delay_alu instid0(VALU_DEP_1) | instskip(NEXT) | instid1(VALU_DEP_1)
	v_and_or_b32 v6, 0x8000, v6, v33
	v_lshl_or_b32 v32, v6, 16, v32
.LBB294_1326:                           ;   in Loop: Header=BB294_934 Depth=1
	s_or_b32 exec_lo, exec_lo, s17
.LBB294_1327:                           ;   in Loop: Header=BB294_934 Depth=1
	s_delay_alu instid0(SALU_CYCLE_1)
	s_or_b32 exec_lo, exec_lo, s16
.LBB294_1328:                           ;   in Loop: Header=BB294_934 Depth=1
	s_delay_alu instid0(SALU_CYCLE_1) | instskip(SKIP_4) | instid1(VALU_DEP_4)
	s_or_b32 exec_lo, exec_lo, s15
	v_dual_lshrrev_b32 v6, 16, v1 :: v_dual_lshrrev_b32 v33, 16, v19
	v_or_b32_e32 v1, v1, v18
	v_or_b32_e32 v22, v19, v22
	;; [unrolled: 1-line block ×3, first 2 shown]
	v_cvt_f32_f16_e32 v19, v6
	v_cvt_f32_f16_e32 v18, v33
	v_dual_lshrrev_b32 v31, 16, v34 :: v_dual_bitop2_b32 v6, v32, v31 bitop3:0x54
	v_lshrrev_b32_e32 v32, 16, v32
	v_cvt_f32_f16_e32 v23, v1
	s_delay_alu instid0(VALU_DEP_3) | instskip(SKIP_4) | instid1(VALU_DEP_3)
	v_cvt_f32_f16_e32 v34, v6
	s_wait_loadcnt_dscnt 0x0
	v_pk_mul_f32 v[18:19], v[30:31], v[18:19] op_sel_hi:[0,1]
	v_cvt_f32_f16_e32 v33, v31
	v_cvt_f32_f16_e32 v32, v32
	v_cvt_pk_f16_f32 v1, v18, v19
	s_delay_alu instid0(VALU_DEP_2) | instskip(NEXT) | instid1(VALU_DEP_2)
	v_pk_mul_f32 v[18:19], v[30:31], v[32:33] op_sel_hi:[0,1]
	v_lshlrev_b32_e32 v32, 16, v1
	v_cvt_f32_f16_e32 v22, v22
	v_and_b32_e32 v33, 0xffff0000, v1
	s_delay_alu instid0(VALU_DEP_4) | instskip(NEXT) | instid1(VALU_DEP_3)
	v_cvt_pk_f16_f32 v18, v18, v19
	v_pk_mul_f32 v[22:23], v[30:31], v[22:23] op_sel_hi:[0,1]
	s_delay_alu instid0(VALU_DEP_2) | instskip(NEXT) | instid1(VALU_DEP_2)
	v_and_b32_e32 v19, 0xffff0000, v18
	v_cvt_pk_f16_f32 v6, v22, v23
	s_delay_alu instid0(VALU_DEP_1) | instskip(SKIP_2) | instid1(VALU_DEP_3)
	v_lshrrev_b32_e32 v39, 16, v6
	v_cvt_f32_f16_e32 v35, v35
	v_and_b32_e32 v38, 0xffff, v6
	v_or_b32_e32 v37, v33, v39
	s_delay_alu instid0(VALU_DEP_3) | instskip(NEXT) | instid1(VALU_DEP_3)
	v_pk_mul_f32 v[30:31], v[30:31], v[34:35] op_sel_hi:[0,1]
	v_or_b32_e32 v36, v32, v38
	s_delay_alu instid0(VALU_DEP_2) | instskip(NEXT) | instid1(VALU_DEP_1)
	v_cvt_pk_f16_f32 v1, v30, v31
	v_dual_lshlrev_b32 v6, 16, v18 :: v_dual_lshrrev_b32 v31, 16, v1
	v_and_b32_e32 v30, 0xffff, v1
	s_delay_alu instid0(VALU_DEP_2) | instskip(NEXT) | instid1(VALU_DEP_2)
	v_or_b32_e32 v35, v19, v31
	v_or_b32_e32 v34, v6, v30
	s_and_saveexec_b32 s15, vcc_lo
	s_cbranch_execz .LBB294_1330
; %bb.1329:                             ;   in Loop: Header=BB294_934 Depth=1
	v_cmp_lt_i32_e64 s0, v52, v13
	s_delay_alu instid0(VALU_DEP_1) | instskip(SKIP_1) | instid1(VALU_DEP_1)
	v_cndmask_b32_e64 v1, 0, v39, s0
	v_cmp_lt_i32_e64 s0, v68, v124
	v_cndmask_b32_e64 v18, 0, v38, s0
	v_cmp_lt_i32_e64 s0, v67, v13
	s_delay_alu instid0(VALU_DEP_1) | instskip(SKIP_1) | instid1(VALU_DEP_1)
	v_cndmask_b32_e64 v22, 0, v33, s0
	v_cmp_lt_i32_e64 s0, v66, v124
	v_cndmask_b32_e64 v23, 0, v32, s0
	v_cmp_lt_i32_e64 s0, v65, v13
	s_delay_alu instid0(VALU_DEP_4) | instskip(NEXT) | instid1(VALU_DEP_3)
	v_or_b32_e32 v37, v1, v22
	v_or_b32_e32 v36, v18, v23
	s_delay_alu instid0(VALU_DEP_3) | instskip(SKIP_1) | instid1(VALU_DEP_1)
	v_cndmask_b32_e64 v31, 0, v31, s0
	v_cmp_lt_i32_e64 s0, v64, v124
	v_cndmask_b32_e64 v30, 0, v30, s0
	v_cmp_lt_i32_e64 s0, v55, v13
	s_delay_alu instid0(VALU_DEP_1) | instskip(SKIP_1) | instid1(VALU_DEP_1)
	v_cndmask_b32_e64 v19, 0, v19, s0
	v_cmp_lt_i32_e64 s0, v0, v124
	v_dual_cndmask_b32 v6, 0, v6, s0 :: v_dual_bitop2_b32 v35, v31, v19 bitop3:0x54
	s_delay_alu instid0(VALU_DEP_1)
	v_or_b32_e32 v34, v30, v6
.LBB294_1330:                           ;   in Loop: Header=BB294_934 Depth=1
	s_or_b32 exec_lo, exec_lo, s15
	;;#ASMSTART
	v_pk_mul_f16 v1, v80, v37;

	;;#ASMEND
	;;#ASMSTART
	v_pk_mul_f16 v6, v71, v36;

	;;#ASMEND
	;; [unrolled: 4-line block ×4, first 2 shown]
	;;#ASMSTART
	v_pk_add_f16 v1, v1, v6;

	;;#ASMEND
	;;#ASMSTART
	v_pk_add_f16 v1, v1, v18;

	;;#ASMEND
	;; [unrolled: 4-line block ×3, first 2 shown]
	v_and_b32_e32 v6, 0xffff, v1
	v_lshrrev_b32_e32 v1, 16, v1
	;;#ASMSTART
	v_cvt_f32_f16 v99, v6;
	;;#ASMEND
	;;#ASMSTART
	v_cvt_f32_f16 v100, v1;
	;;#ASMEND
	flat_load_b64 v[32:33], v[14:15] offset:1536
	scratch_load_b64 v[18:19], off, s32 offset:192 ; 8-byte Folded Reload
	v_mov_b32_e32 v1, 0
	s_mov_b32 s15, exec_lo
	s_wait_loadcnt_dscnt 0x100
	v_and_b32_e32 v6, 0xff, v32
	s_wait_loadcnt 0x0
	flat_load_b32 v30, v[18:19]
	s_wait_xcnt 0x0
	v_mov_b32_e32 v18, 0
	v_cmpx_ne_u16_e32 0, v6
	s_cbranch_execz .LBB294_1338
; %bb.1331:                             ;   in Loop: Header=BB294_934 Depth=1
	v_mov_b32_e32 v18, 0x8000
	s_mov_b32 s16, exec_lo
	v_cmpx_ne_u16_e32 0x80, v6
	s_cbranch_execz .LBB294_1337
; %bb.1332:                             ;   in Loop: Header=BB294_934 Depth=1
	v_and_b32_e32 v19, 0x7f, v32
	v_mov_b32_e32 v18, 0x7c01
	s_mov_b32 s17, exec_lo
	s_delay_alu instid0(VALU_DEP_2)
	v_cmpx_ne_u32_e32 0x7f, v19
	s_cbranch_execz .LBB294_1336
; %bb.1333:                             ;   in Loop: Header=BB294_934 Depth=1
	v_dual_lshrrev_b32 v18, 3, v19 :: v_dual_bitop2_b32 v6, 7, v32 bitop3:0x40
	s_mov_b32 s18, exec_lo
	v_cmpx_gt_u32_e32 8, v19
; %bb.1334:                             ;   in Loop: Header=BB294_934 Depth=1
	s_delay_alu instid0(VALU_DEP_2) | instskip(NEXT) | instid1(VALU_DEP_1)
	v_clz_i32_u32_e32 v6, v6
	v_min_u32_e32 v6, 32, v6
	s_delay_alu instid0(VALU_DEP_1) | instskip(NEXT) | instid1(VALU_DEP_1)
	v_subrev_nc_u32_e32 v18, 28, v6
	v_lshlrev_b64_e32 v[22:23], v18, v[32:33]
	v_sub_nc_u32_e32 v18, 29, v6
	s_delay_alu instid0(VALU_DEP_2)
	v_and_b32_e32 v6, 7, v22
; %bb.1335:                             ;   in Loop: Header=BB294_934 Depth=1
	s_or_b32 exec_lo, exec_lo, s18
	s_delay_alu instid0(VALU_DEP_1) | instskip(NEXT) | instid1(VALU_DEP_3)
	v_dual_lshlrev_b32 v19, 8, v32 :: v_dual_lshlrev_b32 v6, 7, v6
	v_lshl_add_u32 v18, v18, 10, 0x2000
	s_delay_alu instid0(VALU_DEP_2) | instskip(NEXT) | instid1(VALU_DEP_2)
	v_and_b32_e32 v19, 0x8000, v19
	v_and_b32_e32 v18, 0xfc00, v18
	s_delay_alu instid0(VALU_DEP_1)
	v_or3_b32 v18, v19, v18, v6
.LBB294_1336:                           ;   in Loop: Header=BB294_934 Depth=1
	s_or_b32 exec_lo, exec_lo, s17
.LBB294_1337:                           ;   in Loop: Header=BB294_934 Depth=1
	s_delay_alu instid0(SALU_CYCLE_1)
	s_or_b32 exec_lo, exec_lo, s16
.LBB294_1338:                           ;   in Loop: Header=BB294_934 Depth=1
	s_delay_alu instid0(SALU_CYCLE_1) | instskip(SKIP_2) | instid1(VALU_DEP_1)
	s_or_b32 exec_lo, exec_lo, s15
	v_lshrrev_b16 v6, 8, v32
	s_mov_b32 s15, exec_lo
	v_cmpx_ne_u16_e32 0, v6
	s_cbranch_execz .LBB294_1346
; %bb.1339:                             ;   in Loop: Header=BB294_934 Depth=1
	v_bfrev_b32_e32 v1, 1
	s_mov_b32 s16, exec_lo
	v_cmpx_ne_u16_e32 0x80, v6
	s_cbranch_execz .LBB294_1345
; %bb.1340:                             ;   in Loop: Header=BB294_934 Depth=1
	v_and_b32_e32 v19, 0xffff, v6
	v_mov_b32_e32 v1, 0x7c010000
	s_mov_b32 s17, exec_lo
	s_delay_alu instid0(VALU_DEP_2) | instskip(NEXT) | instid1(VALU_DEP_1)
	v_and_b32_e32 v23, 0x7f, v19
	v_cmpx_ne_u32_e32 0x7f, v23
	s_cbranch_execz .LBB294_1344
; %bb.1341:                             ;   in Loop: Header=BB294_934 Depth=1
	v_and_b32_e32 v1, 7, v19
	v_lshrrev_b32_e32 v22, 3, v23
	s_mov_b32 s18, exec_lo
	v_cmpx_gt_u32_e32 8, v23
; %bb.1342:                             ;   in Loop: Header=BB294_934 Depth=1
	s_delay_alu instid0(VALU_DEP_3) | instskip(NEXT) | instid1(VALU_DEP_1)
	v_clz_i32_u32_e32 v1, v1
	v_min_u32_e32 v1, 32, v1
	s_delay_alu instid0(VALU_DEP_1) | instskip(NEXT) | instid1(VALU_DEP_1)
	v_subrev_nc_u32_e32 v22, 28, v1
	v_lshlrev_b64_e32 v[34:35], v22, v[6:7]
	s_delay_alu instid0(VALU_DEP_1)
	v_dual_sub_nc_u32 v22, 29, v1 :: v_dual_bitop2_b32 v1, 7, v34 bitop3:0x40
; %bb.1343:                             ;   in Loop: Header=BB294_934 Depth=1
	s_or_b32 exec_lo, exec_lo, s18
	s_delay_alu instid0(VALU_DEP_1) | instskip(NEXT) | instid1(VALU_DEP_2)
	v_dual_lshlrev_b32 v6, 8, v19 :: v_dual_lshlrev_b32 v1, 23, v1
	v_lshl_add_u32 v19, v22, 10, 0x2000
	s_delay_alu instid0(VALU_DEP_1) | instskip(NEXT) | instid1(VALU_DEP_1)
	v_and_or_b32 v6, 0x8000, v6, v19
	v_lshl_or_b32 v1, v6, 16, v1
.LBB294_1344:                           ;   in Loop: Header=BB294_934 Depth=1
	s_or_b32 exec_lo, exec_lo, s17
.LBB294_1345:                           ;   in Loop: Header=BB294_934 Depth=1
	s_delay_alu instid0(SALU_CYCLE_1)
	s_or_b32 exec_lo, exec_lo, s16
.LBB294_1346:                           ;   in Loop: Header=BB294_934 Depth=1
	s_delay_alu instid0(SALU_CYCLE_1) | instskip(SKIP_3) | instid1(VALU_DEP_2)
	s_or_b32 exec_lo, exec_lo, s15
	v_dual_mov_b32 v19, 0 :: v_dual_lshrrev_b32 v6, 16, v32
	v_mov_b32_e32 v22, 0
	s_mov_b32 s15, exec_lo
	v_and_b32_e32 v23, 0xff, v6
	s_delay_alu instid0(VALU_DEP_1)
	v_cmpx_ne_u16_e32 0, v23
	s_cbranch_execz .LBB294_1354
; %bb.1347:                             ;   in Loop: Header=BB294_934 Depth=1
	v_mov_b32_e32 v22, 0x8000
	s_mov_b32 s16, exec_lo
	v_cmpx_ne_u16_e32 0x80, v23
	s_cbranch_execz .LBB294_1353
; %bb.1348:                             ;   in Loop: Header=BB294_934 Depth=1
	v_bfe_u32 v31, v32, 16, 7
	v_mov_b32_e32 v22, 0x7c01
	s_mov_b32 s17, exec_lo
	s_delay_alu instid0(VALU_DEP_2)
	v_cmpx_ne_u32_e32 0x7f, v31
	s_cbranch_execz .LBB294_1352
; %bb.1349:                             ;   in Loop: Header=BB294_934 Depth=1
	v_dual_lshrrev_b32 v23, 3, v31 :: v_dual_bitop2_b32 v22, 7, v6 bitop3:0x40
	s_mov_b32 s18, exec_lo
	v_cmpx_gt_u32_e32 8, v31
; %bb.1350:                             ;   in Loop: Header=BB294_934 Depth=1
	s_delay_alu instid0(VALU_DEP_2) | instskip(NEXT) | instid1(VALU_DEP_1)
	v_clz_i32_u32_e32 v22, v22
	v_min_u32_e32 v31, 32, v22
	s_delay_alu instid0(VALU_DEP_1) | instskip(NEXT) | instid1(VALU_DEP_1)
	v_subrev_nc_u32_e32 v22, 28, v31
	v_lshlrev_b64_e32 v[22:23], v22, v[6:7]
	s_delay_alu instid0(VALU_DEP_1)
	v_dual_sub_nc_u32 v23, 29, v31 :: v_dual_bitop2_b32 v22, 7, v22 bitop3:0x40
; %bb.1351:                             ;   in Loop: Header=BB294_934 Depth=1
	s_or_b32 exec_lo, exec_lo, s18
	v_lshlrev_b32_e32 v6, 8, v6
	s_delay_alu instid0(VALU_DEP_2) | instskip(NEXT) | instid1(VALU_DEP_3)
	v_lshl_add_u32 v23, v23, 10, 0x2000
	v_lshlrev_b32_e32 v22, 7, v22
	s_delay_alu instid0(VALU_DEP_3) | instskip(NEXT) | instid1(VALU_DEP_3)
	v_and_b32_e32 v6, 0x8000, v6
	v_and_b32_e32 v23, 0xfc00, v23
	s_delay_alu instid0(VALU_DEP_1)
	v_or3_b32 v22, v6, v23, v22
.LBB294_1352:                           ;   in Loop: Header=BB294_934 Depth=1
	s_or_b32 exec_lo, exec_lo, s17
.LBB294_1353:                           ;   in Loop: Header=BB294_934 Depth=1
	s_delay_alu instid0(SALU_CYCLE_1)
	s_or_b32 exec_lo, exec_lo, s16
.LBB294_1354:                           ;   in Loop: Header=BB294_934 Depth=1
	s_delay_alu instid0(SALU_CYCLE_1) | instskip(NEXT) | instid1(SALU_CYCLE_1)
	s_or_b32 exec_lo, exec_lo, s15
	s_mov_b32 s15, exec_lo
	v_cmpx_lt_u32_e32 0xffffff, v32
	s_cbranch_execz .LBB294_1362
; %bb.1355:                             ;   in Loop: Header=BB294_934 Depth=1
	v_lshrrev_b32_e32 v6, 24, v32
	v_bfrev_b32_e32 v19, 1
	s_mov_b32 s16, exec_lo
	s_delay_alu instid0(VALU_DEP_2)
	v_cmpx_ne_u32_e32 0x80, v6
	s_cbranch_execz .LBB294_1361
; %bb.1356:                             ;   in Loop: Header=BB294_934 Depth=1
	v_and_b32_e32 v31, 0x7f, v6
	v_mov_b32_e32 v19, 0x7c010000
	s_mov_b32 s17, exec_lo
	s_delay_alu instid0(VALU_DEP_2)
	v_cmpx_ne_u32_e32 0x7f, v31
	s_cbranch_execz .LBB294_1360
; %bb.1357:                             ;   in Loop: Header=BB294_934 Depth=1
	v_dual_lshrrev_b32 v23, 3, v31 :: v_dual_bitop2_b32 v19, 7, v6 bitop3:0x40
	s_mov_b32 s18, exec_lo
	v_cmpx_gt_u32_e32 8, v31
; %bb.1358:                             ;   in Loop: Header=BB294_934 Depth=1
	s_delay_alu instid0(VALU_DEP_2) | instskip(NEXT) | instid1(VALU_DEP_1)
	v_clz_i32_u32_e32 v19, v19
	v_min_u32_e32 v19, 32, v19
	s_delay_alu instid0(VALU_DEP_1) | instskip(NEXT) | instid1(VALU_DEP_1)
	v_subrev_nc_u32_e32 v23, 28, v19
	v_lshlrev_b64_e32 v[34:35], v23, v[6:7]
	s_delay_alu instid0(VALU_DEP_1)
	v_dual_sub_nc_u32 v23, 29, v19 :: v_dual_bitop2_b32 v19, 7, v34 bitop3:0x40
; %bb.1359:                             ;   in Loop: Header=BB294_934 Depth=1
	s_or_b32 exec_lo, exec_lo, s18
	s_delay_alu instid0(VALU_DEP_1) | instskip(NEXT) | instid1(VALU_DEP_2)
	v_dual_lshlrev_b32 v6, 8, v6 :: v_dual_lshlrev_b32 v19, 23, v19
	v_lshl_add_u32 v23, v23, 10, 0x2000
	s_delay_alu instid0(VALU_DEP_1) | instskip(NEXT) | instid1(VALU_DEP_1)
	v_and_or_b32 v6, 0x8000, v6, v23
	v_lshl_or_b32 v19, v6, 16, v19
.LBB294_1360:                           ;   in Loop: Header=BB294_934 Depth=1
	s_or_b32 exec_lo, exec_lo, s17
.LBB294_1361:                           ;   in Loop: Header=BB294_934 Depth=1
	s_delay_alu instid0(SALU_CYCLE_1)
	s_or_b32 exec_lo, exec_lo, s16
.LBB294_1362:                           ;   in Loop: Header=BB294_934 Depth=1
	s_delay_alu instid0(SALU_CYCLE_1) | instskip(SKIP_4) | instid1(VALU_DEP_3)
	s_or_b32 exec_lo, exec_lo, s15
	v_and_b32_e32 v34, 0xff, v33
	v_dual_mov_b32 v6, v33 :: v_dual_mov_b32 v31, 0
	v_mov_b32_e32 v23, 0
	s_mov_b32 s15, exec_lo
	v_cmpx_ne_u16_e32 0, v34
	s_cbranch_execz .LBB294_1370
; %bb.1363:                             ;   in Loop: Header=BB294_934 Depth=1
	v_mov_b32_e32 v23, 0x8000
	s_mov_b32 s16, exec_lo
	v_cmpx_ne_u16_e32 0x80, v34
	s_cbranch_execz .LBB294_1369
; %bb.1364:                             ;   in Loop: Header=BB294_934 Depth=1
	v_and_b32_e32 v35, 0x7f, v33
	v_mov_b32_e32 v23, 0x7c01
	s_mov_b32 s17, exec_lo
	s_delay_alu instid0(VALU_DEP_2)
	v_cmpx_ne_u32_e32 0x7f, v35
	s_cbranch_execz .LBB294_1368
; %bb.1365:                             ;   in Loop: Header=BB294_934 Depth=1
	v_dual_lshrrev_b32 v34, 3, v35 :: v_dual_bitop2_b32 v23, 7, v33 bitop3:0x40
	s_mov_b32 s18, exec_lo
	v_cmpx_gt_u32_e32 8, v35
; %bb.1366:                             ;   in Loop: Header=BB294_934 Depth=1
	s_delay_alu instid0(VALU_DEP_2) | instskip(NEXT) | instid1(VALU_DEP_1)
	v_clz_i32_u32_e32 v23, v23
	v_min_u32_e32 v23, 32, v23
	s_delay_alu instid0(VALU_DEP_1) | instskip(NEXT) | instid1(VALU_DEP_1)
	v_subrev_nc_u32_e32 v34, 28, v23
	v_lshlrev_b64_e32 v[36:37], v34, v[6:7]
	s_delay_alu instid0(VALU_DEP_1)
	v_dual_sub_nc_u32 v34, 29, v23 :: v_dual_bitop2_b32 v23, 7, v36 bitop3:0x40
; %bb.1367:                             ;   in Loop: Header=BB294_934 Depth=1
	s_or_b32 exec_lo, exec_lo, s18
	s_delay_alu instid0(VALU_DEP_1) | instskip(NEXT) | instid1(VALU_DEP_2)
	v_dual_lshlrev_b32 v35, 8, v33 :: v_dual_lshlrev_b32 v23, 7, v23
	v_lshl_add_u32 v34, v34, 10, 0x2000
	s_delay_alu instid0(VALU_DEP_2) | instskip(NEXT) | instid1(VALU_DEP_2)
	v_and_b32_e32 v35, 0x8000, v35
	v_and_b32_e32 v34, 0xfc00, v34
	s_delay_alu instid0(VALU_DEP_1)
	v_or3_b32 v23, v35, v34, v23
.LBB294_1368:                           ;   in Loop: Header=BB294_934 Depth=1
	s_or_b32 exec_lo, exec_lo, s17
.LBB294_1369:                           ;   in Loop: Header=BB294_934 Depth=1
	s_delay_alu instid0(SALU_CYCLE_1)
	s_or_b32 exec_lo, exec_lo, s16
.LBB294_1370:                           ;   in Loop: Header=BB294_934 Depth=1
	s_delay_alu instid0(SALU_CYCLE_1) | instskip(SKIP_3) | instid1(VALU_DEP_2)
	s_or_b32 exec_lo, exec_lo, s15
	v_lshrrev_b16 v6, 8, v6
	v_mov_b32_e32 v34, 0
	s_mov_b32 s15, exec_lo
	v_cmpx_ne_u16_e32 0, v6
	s_cbranch_execz .LBB294_1378
; %bb.1371:                             ;   in Loop: Header=BB294_934 Depth=1
	v_bfrev_b32_e32 v34, 1
	s_mov_b32 s16, exec_lo
	v_cmpx_ne_u16_e32 0x80, v6
	s_cbranch_execz .LBB294_1377
; %bb.1372:                             ;   in Loop: Header=BB294_934 Depth=1
	v_and_b32_e32 v35, 0xffff, v6
	v_mov_b32_e32 v34, 0x7c010000
	s_mov_b32 s17, exec_lo
	s_delay_alu instid0(VALU_DEP_2) | instskip(NEXT) | instid1(VALU_DEP_1)
	v_and_b32_e32 v37, 0x7f, v35
	v_cmpx_ne_u32_e32 0x7f, v37
	s_cbranch_execz .LBB294_1376
; %bb.1373:                             ;   in Loop: Header=BB294_934 Depth=1
	v_dual_lshrrev_b32 v36, 3, v37 :: v_dual_bitop2_b32 v34, 7, v35 bitop3:0x40
	s_mov_b32 s18, exec_lo
	v_cmpx_gt_u32_e32 8, v37
; %bb.1374:                             ;   in Loop: Header=BB294_934 Depth=1
	s_delay_alu instid0(VALU_DEP_2) | instskip(NEXT) | instid1(VALU_DEP_1)
	v_clz_i32_u32_e32 v34, v34
	v_min_u32_e32 v34, 32, v34
	s_delay_alu instid0(VALU_DEP_1) | instskip(NEXT) | instid1(VALU_DEP_1)
	v_subrev_nc_u32_e32 v36, 28, v34
	v_lshlrev_b64_e32 v[38:39], v36, v[6:7]
	v_sub_nc_u32_e32 v36, 29, v34
	s_delay_alu instid0(VALU_DEP_2)
	v_and_b32_e32 v34, 7, v38
; %bb.1375:                             ;   in Loop: Header=BB294_934 Depth=1
	s_or_b32 exec_lo, exec_lo, s18
	s_delay_alu instid0(VALU_DEP_1) | instskip(NEXT) | instid1(VALU_DEP_3)
	v_dual_lshlrev_b32 v6, 8, v35 :: v_dual_lshlrev_b32 v34, 23, v34
	v_lshl_add_u32 v35, v36, 10, 0x2000
	s_delay_alu instid0(VALU_DEP_1) | instskip(NEXT) | instid1(VALU_DEP_1)
	v_and_or_b32 v6, 0x8000, v6, v35
	v_lshl_or_b32 v34, v6, 16, v34
.LBB294_1376:                           ;   in Loop: Header=BB294_934 Depth=1
	s_or_b32 exec_lo, exec_lo, s17
.LBB294_1377:                           ;   in Loop: Header=BB294_934 Depth=1
	s_delay_alu instid0(SALU_CYCLE_1)
	s_or_b32 exec_lo, exec_lo, s16
.LBB294_1378:                           ;   in Loop: Header=BB294_934 Depth=1
	s_delay_alu instid0(SALU_CYCLE_1) | instskip(SKIP_2) | instid1(VALU_DEP_1)
	s_or_b32 exec_lo, exec_lo, s15
	v_lshrrev_b32_e32 v6, 16, v33
	s_mov_b32 s15, exec_lo
	v_and_b32_e32 v35, 0xff, v6
	s_delay_alu instid0(VALU_DEP_1)
	v_cmpx_ne_u16_e32 0, v35
	s_cbranch_execz .LBB294_1386
; %bb.1379:                             ;   in Loop: Header=BB294_934 Depth=1
	v_mov_b32_e32 v31, 0x8000
	s_mov_b32 s16, exec_lo
	v_cmpx_ne_u16_e32 0x80, v35
	s_cbranch_execz .LBB294_1385
; %bb.1380:                             ;   in Loop: Header=BB294_934 Depth=1
	v_bfe_u32 v36, v33, 16, 7
	v_mov_b32_e32 v31, 0x7c01
	s_mov_b32 s17, exec_lo
	s_delay_alu instid0(VALU_DEP_2)
	v_cmpx_ne_u32_e32 0x7f, v36
	s_cbranch_execz .LBB294_1384
; %bb.1381:                             ;   in Loop: Header=BB294_934 Depth=1
	v_dual_lshrrev_b32 v35, 3, v36 :: v_dual_bitop2_b32 v31, 7, v6 bitop3:0x40
	s_mov_b32 s18, exec_lo
	v_cmpx_gt_u32_e32 8, v36
; %bb.1382:                             ;   in Loop: Header=BB294_934 Depth=1
	s_delay_alu instid0(VALU_DEP_2) | instskip(NEXT) | instid1(VALU_DEP_1)
	v_clz_i32_u32_e32 v31, v31
	v_min_u32_e32 v31, 32, v31
	s_delay_alu instid0(VALU_DEP_1) | instskip(NEXT) | instid1(VALU_DEP_1)
	v_subrev_nc_u32_e32 v35, 28, v31
	v_lshlrev_b64_e32 v[36:37], v35, v[6:7]
	s_delay_alu instid0(VALU_DEP_1)
	v_dual_sub_nc_u32 v35, 29, v31 :: v_dual_bitop2_b32 v31, 7, v36 bitop3:0x40
; %bb.1383:                             ;   in Loop: Header=BB294_934 Depth=1
	s_or_b32 exec_lo, exec_lo, s18
	s_delay_alu instid0(VALU_DEP_1) | instskip(NEXT) | instid1(VALU_DEP_2)
	v_dual_lshlrev_b32 v6, 8, v6 :: v_dual_lshlrev_b32 v31, 7, v31
	v_lshl_add_u32 v35, v35, 10, 0x2000
	s_delay_alu instid0(VALU_DEP_2) | instskip(NEXT) | instid1(VALU_DEP_2)
	v_and_b32_e32 v6, 0x8000, v6
	v_and_b32_e32 v35, 0xfc00, v35
	s_delay_alu instid0(VALU_DEP_1)
	v_or3_b32 v31, v6, v35, v31
.LBB294_1384:                           ;   in Loop: Header=BB294_934 Depth=1
	s_or_b32 exec_lo, exec_lo, s17
.LBB294_1385:                           ;   in Loop: Header=BB294_934 Depth=1
	s_delay_alu instid0(SALU_CYCLE_1)
	s_or_b32 exec_lo, exec_lo, s16
.LBB294_1386:                           ;   in Loop: Header=BB294_934 Depth=1
	s_delay_alu instid0(SALU_CYCLE_1)
	s_or_b32 exec_lo, exec_lo, s15
	v_cmp_lt_u64_e64 s0, s[2:3], v[32:33]
	v_mov_b32_e32 v32, 0
	s_and_saveexec_b32 s15, s0
	s_cbranch_execz .LBB294_1394
; %bb.1387:                             ;   in Loop: Header=BB294_934 Depth=1
	v_lshrrev_b32_e32 v6, 24, v33
	v_bfrev_b32_e32 v32, 1
	s_mov_b32 s16, exec_lo
	s_delay_alu instid0(VALU_DEP_2)
	v_cmpx_ne_u32_e32 0x80, v6
	s_cbranch_execz .LBB294_1393
; %bb.1388:                             ;   in Loop: Header=BB294_934 Depth=1
	v_and_b32_e32 v35, 0x7f, v6
	v_mov_b32_e32 v32, 0x7c010000
	s_mov_b32 s17, exec_lo
	s_delay_alu instid0(VALU_DEP_2)
	v_cmpx_ne_u32_e32 0x7f, v35
	s_cbranch_execz .LBB294_1392
; %bb.1389:                             ;   in Loop: Header=BB294_934 Depth=1
	v_dual_lshrrev_b32 v33, 3, v35 :: v_dual_bitop2_b32 v32, 7, v6 bitop3:0x40
	s_mov_b32 s18, exec_lo
	v_cmpx_gt_u32_e32 8, v35
; %bb.1390:                             ;   in Loop: Header=BB294_934 Depth=1
	s_delay_alu instid0(VALU_DEP_2) | instskip(NEXT) | instid1(VALU_DEP_1)
	v_clz_i32_u32_e32 v32, v32
	v_min_u32_e32 v35, 32, v32
	s_delay_alu instid0(VALU_DEP_1) | instskip(NEXT) | instid1(VALU_DEP_1)
	v_subrev_nc_u32_e32 v32, 28, v35
	v_lshlrev_b64_e32 v[32:33], v32, v[6:7]
	s_delay_alu instid0(VALU_DEP_1)
	v_dual_sub_nc_u32 v33, 29, v35 :: v_dual_bitop2_b32 v32, 7, v32 bitop3:0x40
; %bb.1391:                             ;   in Loop: Header=BB294_934 Depth=1
	s_or_b32 exec_lo, exec_lo, s18
	s_delay_alu instid0(VALU_DEP_1) | instskip(NEXT) | instid1(VALU_DEP_2)
	v_dual_lshlrev_b32 v6, 8, v6 :: v_dual_lshlrev_b32 v32, 23, v32
	v_lshl_add_u32 v33, v33, 10, 0x2000
	s_delay_alu instid0(VALU_DEP_1) | instskip(NEXT) | instid1(VALU_DEP_1)
	v_and_or_b32 v6, 0x8000, v6, v33
	v_lshl_or_b32 v32, v6, 16, v32
.LBB294_1392:                           ;   in Loop: Header=BB294_934 Depth=1
	s_or_b32 exec_lo, exec_lo, s17
.LBB294_1393:                           ;   in Loop: Header=BB294_934 Depth=1
	s_delay_alu instid0(SALU_CYCLE_1)
	s_or_b32 exec_lo, exec_lo, s16
.LBB294_1394:                           ;   in Loop: Header=BB294_934 Depth=1
	s_delay_alu instid0(SALU_CYCLE_1) | instskip(SKIP_4) | instid1(VALU_DEP_4)
	s_or_b32 exec_lo, exec_lo, s15
	v_dual_lshrrev_b32 v6, 16, v1 :: v_dual_lshrrev_b32 v33, 16, v19
	v_or_b32_e32 v1, v1, v18
	v_or_b32_e32 v22, v19, v22
	;; [unrolled: 1-line block ×3, first 2 shown]
	v_cvt_f32_f16_e32 v19, v6
	v_cvt_f32_f16_e32 v18, v33
	v_dual_lshrrev_b32 v31, 16, v34 :: v_dual_bitop2_b32 v6, v32, v31 bitop3:0x54
	v_lshrrev_b32_e32 v32, 16, v32
	v_cvt_f32_f16_e32 v23, v1
	s_delay_alu instid0(VALU_DEP_3) | instskip(SKIP_4) | instid1(VALU_DEP_3)
	v_cvt_f32_f16_e32 v34, v6
	s_wait_loadcnt_dscnt 0x0
	v_pk_mul_f32 v[18:19], v[30:31], v[18:19] op_sel_hi:[0,1]
	v_cvt_f32_f16_e32 v33, v31
	v_cvt_f32_f16_e32 v32, v32
	v_cvt_pk_f16_f32 v1, v18, v19
	s_delay_alu instid0(VALU_DEP_2) | instskip(NEXT) | instid1(VALU_DEP_2)
	v_pk_mul_f32 v[18:19], v[30:31], v[32:33] op_sel_hi:[0,1]
	v_lshlrev_b32_e32 v32, 16, v1
	v_cvt_f32_f16_e32 v22, v22
	v_and_b32_e32 v33, 0xffff0000, v1
	s_delay_alu instid0(VALU_DEP_4) | instskip(NEXT) | instid1(VALU_DEP_3)
	v_cvt_pk_f16_f32 v18, v18, v19
	v_pk_mul_f32 v[22:23], v[30:31], v[22:23] op_sel_hi:[0,1]
	s_delay_alu instid0(VALU_DEP_2) | instskip(NEXT) | instid1(VALU_DEP_2)
	v_and_b32_e32 v19, 0xffff0000, v18
	v_cvt_pk_f16_f32 v6, v22, v23
	s_delay_alu instid0(VALU_DEP_1) | instskip(SKIP_2) | instid1(VALU_DEP_3)
	v_lshrrev_b32_e32 v39, 16, v6
	v_cvt_f32_f16_e32 v35, v35
	v_and_b32_e32 v38, 0xffff, v6
	v_or_b32_e32 v37, v33, v39
	s_delay_alu instid0(VALU_DEP_3) | instskip(NEXT) | instid1(VALU_DEP_3)
	v_pk_mul_f32 v[30:31], v[30:31], v[34:35] op_sel_hi:[0,1]
	v_or_b32_e32 v36, v32, v38
	s_delay_alu instid0(VALU_DEP_2) | instskip(NEXT) | instid1(VALU_DEP_1)
	v_cvt_pk_f16_f32 v1, v30, v31
	v_dual_lshlrev_b32 v6, 16, v18 :: v_dual_lshrrev_b32 v31, 16, v1
	v_and_b32_e32 v30, 0xffff, v1
	s_delay_alu instid0(VALU_DEP_2) | instskip(NEXT) | instid1(VALU_DEP_2)
	v_or_b32_e32 v35, v19, v31
	v_or_b32_e32 v34, v6, v30
	s_and_saveexec_b32 s15, vcc_lo
	s_cbranch_execz .LBB294_1396
; %bb.1395:                             ;   in Loop: Header=BB294_934 Depth=1
	v_cmp_lt_i32_e64 s0, v52, v13
	s_delay_alu instid0(VALU_DEP_1) | instskip(SKIP_1) | instid1(VALU_DEP_1)
	v_cndmask_b32_e64 v1, 0, v39, s0
	v_cmp_lt_i32_e64 s0, v68, v124
	v_cndmask_b32_e64 v18, 0, v38, s0
	v_cmp_lt_i32_e64 s0, v67, v13
	s_delay_alu instid0(VALU_DEP_1) | instskip(SKIP_1) | instid1(VALU_DEP_1)
	v_cndmask_b32_e64 v22, 0, v33, s0
	v_cmp_lt_i32_e64 s0, v66, v124
	v_cndmask_b32_e64 v23, 0, v32, s0
	v_cmp_lt_i32_e64 s0, v65, v13
	s_delay_alu instid0(VALU_DEP_4) | instskip(NEXT) | instid1(VALU_DEP_3)
	v_or_b32_e32 v37, v1, v22
	v_or_b32_e32 v36, v18, v23
	s_delay_alu instid0(VALU_DEP_3) | instskip(SKIP_1) | instid1(VALU_DEP_1)
	v_cndmask_b32_e64 v31, 0, v31, s0
	v_cmp_lt_i32_e64 s0, v64, v124
	v_cndmask_b32_e64 v30, 0, v30, s0
	v_cmp_lt_i32_e64 s0, v55, v13
	s_delay_alu instid0(VALU_DEP_1) | instskip(SKIP_1) | instid1(VALU_DEP_1)
	v_cndmask_b32_e64 v19, 0, v19, s0
	v_cmp_lt_i32_e64 s0, v0, v124
	v_dual_cndmask_b32 v6, 0, v6, s0 :: v_dual_bitop2_b32 v35, v31, v19 bitop3:0x54
	s_delay_alu instid0(VALU_DEP_1)
	v_or_b32_e32 v34, v30, v6
.LBB294_1396:                           ;   in Loop: Header=BB294_934 Depth=1
	s_or_b32 exec_lo, exec_lo, s15
	;;#ASMSTART
	v_pk_mul_f16 v1, v80, v37;

	;;#ASMEND
	;;#ASMSTART
	v_pk_mul_f16 v6, v71, v36;

	;;#ASMEND
	;; [unrolled: 4-line block ×4, first 2 shown]
	;;#ASMSTART
	v_pk_add_f16 v1, v1, v6;

	;;#ASMEND
	;;#ASMSTART
	v_pk_add_f16 v1, v1, v18;

	;;#ASMEND
	;; [unrolled: 4-line block ×3, first 2 shown]
	v_and_b32_e32 v6, 0xffff, v1
	v_lshrrev_b32_e32 v1, 16, v1
	;;#ASMSTART
	v_cvt_f32_f16 v101, v6;
	;;#ASMEND
	;;#ASMSTART
	v_cvt_f32_f16 v102, v1;
	;;#ASMEND
	flat_load_b64 v[32:33], v[14:15] offset:1792
	scratch_load_b64 v[18:19], off, s32 offset:192 ; 8-byte Folded Reload
	v_mov_b32_e32 v1, 0
	s_mov_b32 s15, exec_lo
	s_wait_loadcnt_dscnt 0x100
	v_and_b32_e32 v6, 0xff, v32
	s_wait_loadcnt 0x0
	flat_load_b32 v30, v[18:19]
	s_wait_xcnt 0x0
	v_mov_b32_e32 v18, 0
	v_cmpx_ne_u16_e32 0, v6
	s_cbranch_execz .LBB294_1404
; %bb.1397:                             ;   in Loop: Header=BB294_934 Depth=1
	v_mov_b32_e32 v18, 0x8000
	s_mov_b32 s16, exec_lo
	v_cmpx_ne_u16_e32 0x80, v6
	s_cbranch_execz .LBB294_1403
; %bb.1398:                             ;   in Loop: Header=BB294_934 Depth=1
	v_and_b32_e32 v19, 0x7f, v32
	v_mov_b32_e32 v18, 0x7c01
	s_mov_b32 s17, exec_lo
	s_delay_alu instid0(VALU_DEP_2)
	v_cmpx_ne_u32_e32 0x7f, v19
	s_cbranch_execz .LBB294_1402
; %bb.1399:                             ;   in Loop: Header=BB294_934 Depth=1
	v_dual_lshrrev_b32 v18, 3, v19 :: v_dual_bitop2_b32 v6, 7, v32 bitop3:0x40
	s_mov_b32 s18, exec_lo
	v_cmpx_gt_u32_e32 8, v19
; %bb.1400:                             ;   in Loop: Header=BB294_934 Depth=1
	s_delay_alu instid0(VALU_DEP_2) | instskip(NEXT) | instid1(VALU_DEP_1)
	v_clz_i32_u32_e32 v6, v6
	v_min_u32_e32 v6, 32, v6
	s_delay_alu instid0(VALU_DEP_1) | instskip(NEXT) | instid1(VALU_DEP_1)
	v_subrev_nc_u32_e32 v18, 28, v6
	v_lshlrev_b64_e32 v[22:23], v18, v[32:33]
	v_sub_nc_u32_e32 v18, 29, v6
	s_delay_alu instid0(VALU_DEP_2)
	v_and_b32_e32 v6, 7, v22
; %bb.1401:                             ;   in Loop: Header=BB294_934 Depth=1
	s_or_b32 exec_lo, exec_lo, s18
	s_delay_alu instid0(VALU_DEP_1) | instskip(NEXT) | instid1(VALU_DEP_3)
	v_dual_lshlrev_b32 v19, 8, v32 :: v_dual_lshlrev_b32 v6, 7, v6
	v_lshl_add_u32 v18, v18, 10, 0x2000
	s_delay_alu instid0(VALU_DEP_2) | instskip(NEXT) | instid1(VALU_DEP_2)
	v_and_b32_e32 v19, 0x8000, v19
	v_and_b32_e32 v18, 0xfc00, v18
	s_delay_alu instid0(VALU_DEP_1)
	v_or3_b32 v18, v19, v18, v6
.LBB294_1402:                           ;   in Loop: Header=BB294_934 Depth=1
	s_or_b32 exec_lo, exec_lo, s17
.LBB294_1403:                           ;   in Loop: Header=BB294_934 Depth=1
	s_delay_alu instid0(SALU_CYCLE_1)
	s_or_b32 exec_lo, exec_lo, s16
.LBB294_1404:                           ;   in Loop: Header=BB294_934 Depth=1
	s_delay_alu instid0(SALU_CYCLE_1) | instskip(SKIP_2) | instid1(VALU_DEP_1)
	s_or_b32 exec_lo, exec_lo, s15
	v_lshrrev_b16 v6, 8, v32
	s_mov_b32 s15, exec_lo
	v_cmpx_ne_u16_e32 0, v6
	s_cbranch_execz .LBB294_1412
; %bb.1405:                             ;   in Loop: Header=BB294_934 Depth=1
	v_bfrev_b32_e32 v1, 1
	s_mov_b32 s16, exec_lo
	v_cmpx_ne_u16_e32 0x80, v6
	s_cbranch_execz .LBB294_1411
; %bb.1406:                             ;   in Loop: Header=BB294_934 Depth=1
	v_and_b32_e32 v19, 0xffff, v6
	v_mov_b32_e32 v1, 0x7c010000
	s_mov_b32 s17, exec_lo
	s_delay_alu instid0(VALU_DEP_2) | instskip(NEXT) | instid1(VALU_DEP_1)
	v_and_b32_e32 v23, 0x7f, v19
	v_cmpx_ne_u32_e32 0x7f, v23
	s_cbranch_execz .LBB294_1410
; %bb.1407:                             ;   in Loop: Header=BB294_934 Depth=1
	v_and_b32_e32 v1, 7, v19
	v_lshrrev_b32_e32 v22, 3, v23
	s_mov_b32 s18, exec_lo
	v_cmpx_gt_u32_e32 8, v23
; %bb.1408:                             ;   in Loop: Header=BB294_934 Depth=1
	s_delay_alu instid0(VALU_DEP_3) | instskip(NEXT) | instid1(VALU_DEP_1)
	v_clz_i32_u32_e32 v1, v1
	v_min_u32_e32 v1, 32, v1
	s_delay_alu instid0(VALU_DEP_1) | instskip(NEXT) | instid1(VALU_DEP_1)
	v_subrev_nc_u32_e32 v22, 28, v1
	v_lshlrev_b64_e32 v[34:35], v22, v[6:7]
	s_delay_alu instid0(VALU_DEP_1)
	v_dual_sub_nc_u32 v22, 29, v1 :: v_dual_bitop2_b32 v1, 7, v34 bitop3:0x40
; %bb.1409:                             ;   in Loop: Header=BB294_934 Depth=1
	s_or_b32 exec_lo, exec_lo, s18
	s_delay_alu instid0(VALU_DEP_1) | instskip(NEXT) | instid1(VALU_DEP_2)
	v_dual_lshlrev_b32 v6, 8, v19 :: v_dual_lshlrev_b32 v1, 23, v1
	v_lshl_add_u32 v19, v22, 10, 0x2000
	s_delay_alu instid0(VALU_DEP_1) | instskip(NEXT) | instid1(VALU_DEP_1)
	v_and_or_b32 v6, 0x8000, v6, v19
	v_lshl_or_b32 v1, v6, 16, v1
.LBB294_1410:                           ;   in Loop: Header=BB294_934 Depth=1
	s_or_b32 exec_lo, exec_lo, s17
.LBB294_1411:                           ;   in Loop: Header=BB294_934 Depth=1
	s_delay_alu instid0(SALU_CYCLE_1)
	s_or_b32 exec_lo, exec_lo, s16
.LBB294_1412:                           ;   in Loop: Header=BB294_934 Depth=1
	s_delay_alu instid0(SALU_CYCLE_1) | instskip(SKIP_3) | instid1(VALU_DEP_2)
	s_or_b32 exec_lo, exec_lo, s15
	v_dual_mov_b32 v19, 0 :: v_dual_lshrrev_b32 v6, 16, v32
	v_mov_b32_e32 v22, 0
	s_mov_b32 s15, exec_lo
	v_and_b32_e32 v23, 0xff, v6
	s_delay_alu instid0(VALU_DEP_1)
	v_cmpx_ne_u16_e32 0, v23
	s_cbranch_execz .LBB294_1420
; %bb.1413:                             ;   in Loop: Header=BB294_934 Depth=1
	v_mov_b32_e32 v22, 0x8000
	s_mov_b32 s16, exec_lo
	v_cmpx_ne_u16_e32 0x80, v23
	s_cbranch_execz .LBB294_1419
; %bb.1414:                             ;   in Loop: Header=BB294_934 Depth=1
	v_bfe_u32 v31, v32, 16, 7
	v_mov_b32_e32 v22, 0x7c01
	s_mov_b32 s17, exec_lo
	s_delay_alu instid0(VALU_DEP_2)
	v_cmpx_ne_u32_e32 0x7f, v31
	s_cbranch_execz .LBB294_1418
; %bb.1415:                             ;   in Loop: Header=BB294_934 Depth=1
	v_dual_lshrrev_b32 v23, 3, v31 :: v_dual_bitop2_b32 v22, 7, v6 bitop3:0x40
	s_mov_b32 s18, exec_lo
	v_cmpx_gt_u32_e32 8, v31
; %bb.1416:                             ;   in Loop: Header=BB294_934 Depth=1
	s_delay_alu instid0(VALU_DEP_2) | instskip(NEXT) | instid1(VALU_DEP_1)
	v_clz_i32_u32_e32 v22, v22
	v_min_u32_e32 v31, 32, v22
	s_delay_alu instid0(VALU_DEP_1) | instskip(NEXT) | instid1(VALU_DEP_1)
	v_subrev_nc_u32_e32 v22, 28, v31
	v_lshlrev_b64_e32 v[22:23], v22, v[6:7]
	s_delay_alu instid0(VALU_DEP_1)
	v_dual_sub_nc_u32 v23, 29, v31 :: v_dual_bitop2_b32 v22, 7, v22 bitop3:0x40
; %bb.1417:                             ;   in Loop: Header=BB294_934 Depth=1
	s_or_b32 exec_lo, exec_lo, s18
	v_lshlrev_b32_e32 v6, 8, v6
	s_delay_alu instid0(VALU_DEP_2) | instskip(NEXT) | instid1(VALU_DEP_3)
	v_lshl_add_u32 v23, v23, 10, 0x2000
	v_lshlrev_b32_e32 v22, 7, v22
	s_delay_alu instid0(VALU_DEP_3) | instskip(NEXT) | instid1(VALU_DEP_3)
	v_and_b32_e32 v6, 0x8000, v6
	v_and_b32_e32 v23, 0xfc00, v23
	s_delay_alu instid0(VALU_DEP_1)
	v_or3_b32 v22, v6, v23, v22
.LBB294_1418:                           ;   in Loop: Header=BB294_934 Depth=1
	s_or_b32 exec_lo, exec_lo, s17
.LBB294_1419:                           ;   in Loop: Header=BB294_934 Depth=1
	s_delay_alu instid0(SALU_CYCLE_1)
	s_or_b32 exec_lo, exec_lo, s16
.LBB294_1420:                           ;   in Loop: Header=BB294_934 Depth=1
	s_delay_alu instid0(SALU_CYCLE_1) | instskip(NEXT) | instid1(SALU_CYCLE_1)
	s_or_b32 exec_lo, exec_lo, s15
	s_mov_b32 s15, exec_lo
	v_cmpx_lt_u32_e32 0xffffff, v32
	s_cbranch_execz .LBB294_1428
; %bb.1421:                             ;   in Loop: Header=BB294_934 Depth=1
	v_lshrrev_b32_e32 v6, 24, v32
	v_bfrev_b32_e32 v19, 1
	s_mov_b32 s16, exec_lo
	s_delay_alu instid0(VALU_DEP_2)
	v_cmpx_ne_u32_e32 0x80, v6
	s_cbranch_execz .LBB294_1427
; %bb.1422:                             ;   in Loop: Header=BB294_934 Depth=1
	v_and_b32_e32 v31, 0x7f, v6
	v_mov_b32_e32 v19, 0x7c010000
	s_mov_b32 s17, exec_lo
	s_delay_alu instid0(VALU_DEP_2)
	v_cmpx_ne_u32_e32 0x7f, v31
	s_cbranch_execz .LBB294_1426
; %bb.1423:                             ;   in Loop: Header=BB294_934 Depth=1
	v_dual_lshrrev_b32 v23, 3, v31 :: v_dual_bitop2_b32 v19, 7, v6 bitop3:0x40
	s_mov_b32 s18, exec_lo
	v_cmpx_gt_u32_e32 8, v31
; %bb.1424:                             ;   in Loop: Header=BB294_934 Depth=1
	s_delay_alu instid0(VALU_DEP_2) | instskip(NEXT) | instid1(VALU_DEP_1)
	v_clz_i32_u32_e32 v19, v19
	v_min_u32_e32 v19, 32, v19
	s_delay_alu instid0(VALU_DEP_1) | instskip(NEXT) | instid1(VALU_DEP_1)
	v_subrev_nc_u32_e32 v23, 28, v19
	v_lshlrev_b64_e32 v[34:35], v23, v[6:7]
	s_delay_alu instid0(VALU_DEP_1)
	v_dual_sub_nc_u32 v23, 29, v19 :: v_dual_bitop2_b32 v19, 7, v34 bitop3:0x40
; %bb.1425:                             ;   in Loop: Header=BB294_934 Depth=1
	s_or_b32 exec_lo, exec_lo, s18
	s_delay_alu instid0(VALU_DEP_1) | instskip(NEXT) | instid1(VALU_DEP_2)
	v_dual_lshlrev_b32 v6, 8, v6 :: v_dual_lshlrev_b32 v19, 23, v19
	v_lshl_add_u32 v23, v23, 10, 0x2000
	s_delay_alu instid0(VALU_DEP_1) | instskip(NEXT) | instid1(VALU_DEP_1)
	v_and_or_b32 v6, 0x8000, v6, v23
	v_lshl_or_b32 v19, v6, 16, v19
.LBB294_1426:                           ;   in Loop: Header=BB294_934 Depth=1
	s_or_b32 exec_lo, exec_lo, s17
.LBB294_1427:                           ;   in Loop: Header=BB294_934 Depth=1
	s_delay_alu instid0(SALU_CYCLE_1)
	s_or_b32 exec_lo, exec_lo, s16
.LBB294_1428:                           ;   in Loop: Header=BB294_934 Depth=1
	s_delay_alu instid0(SALU_CYCLE_1) | instskip(SKIP_4) | instid1(VALU_DEP_3)
	s_or_b32 exec_lo, exec_lo, s15
	v_and_b32_e32 v34, 0xff, v33
	v_dual_mov_b32 v6, v33 :: v_dual_mov_b32 v31, 0
	v_mov_b32_e32 v23, 0
	s_mov_b32 s15, exec_lo
	v_cmpx_ne_u16_e32 0, v34
	s_cbranch_execz .LBB294_1436
; %bb.1429:                             ;   in Loop: Header=BB294_934 Depth=1
	v_mov_b32_e32 v23, 0x8000
	s_mov_b32 s16, exec_lo
	v_cmpx_ne_u16_e32 0x80, v34
	s_cbranch_execz .LBB294_1435
; %bb.1430:                             ;   in Loop: Header=BB294_934 Depth=1
	v_and_b32_e32 v35, 0x7f, v33
	v_mov_b32_e32 v23, 0x7c01
	s_mov_b32 s17, exec_lo
	s_delay_alu instid0(VALU_DEP_2)
	v_cmpx_ne_u32_e32 0x7f, v35
	s_cbranch_execz .LBB294_1434
; %bb.1431:                             ;   in Loop: Header=BB294_934 Depth=1
	v_dual_lshrrev_b32 v34, 3, v35 :: v_dual_bitop2_b32 v23, 7, v33 bitop3:0x40
	s_mov_b32 s18, exec_lo
	v_cmpx_gt_u32_e32 8, v35
; %bb.1432:                             ;   in Loop: Header=BB294_934 Depth=1
	s_delay_alu instid0(VALU_DEP_2) | instskip(NEXT) | instid1(VALU_DEP_1)
	v_clz_i32_u32_e32 v23, v23
	v_min_u32_e32 v23, 32, v23
	s_delay_alu instid0(VALU_DEP_1) | instskip(NEXT) | instid1(VALU_DEP_1)
	v_subrev_nc_u32_e32 v34, 28, v23
	v_lshlrev_b64_e32 v[36:37], v34, v[6:7]
	s_delay_alu instid0(VALU_DEP_1)
	v_dual_sub_nc_u32 v34, 29, v23 :: v_dual_bitop2_b32 v23, 7, v36 bitop3:0x40
; %bb.1433:                             ;   in Loop: Header=BB294_934 Depth=1
	s_or_b32 exec_lo, exec_lo, s18
	s_delay_alu instid0(VALU_DEP_1) | instskip(NEXT) | instid1(VALU_DEP_2)
	v_dual_lshlrev_b32 v35, 8, v33 :: v_dual_lshlrev_b32 v23, 7, v23
	v_lshl_add_u32 v34, v34, 10, 0x2000
	s_delay_alu instid0(VALU_DEP_2) | instskip(NEXT) | instid1(VALU_DEP_2)
	v_and_b32_e32 v35, 0x8000, v35
	v_and_b32_e32 v34, 0xfc00, v34
	s_delay_alu instid0(VALU_DEP_1)
	v_or3_b32 v23, v35, v34, v23
.LBB294_1434:                           ;   in Loop: Header=BB294_934 Depth=1
	s_or_b32 exec_lo, exec_lo, s17
.LBB294_1435:                           ;   in Loop: Header=BB294_934 Depth=1
	s_delay_alu instid0(SALU_CYCLE_1)
	s_or_b32 exec_lo, exec_lo, s16
.LBB294_1436:                           ;   in Loop: Header=BB294_934 Depth=1
	s_delay_alu instid0(SALU_CYCLE_1) | instskip(SKIP_3) | instid1(VALU_DEP_2)
	s_or_b32 exec_lo, exec_lo, s15
	v_lshrrev_b16 v6, 8, v6
	v_mov_b32_e32 v34, 0
	s_mov_b32 s15, exec_lo
	v_cmpx_ne_u16_e32 0, v6
	s_cbranch_execz .LBB294_1444
; %bb.1437:                             ;   in Loop: Header=BB294_934 Depth=1
	v_bfrev_b32_e32 v34, 1
	s_mov_b32 s16, exec_lo
	v_cmpx_ne_u16_e32 0x80, v6
	s_cbranch_execz .LBB294_1443
; %bb.1438:                             ;   in Loop: Header=BB294_934 Depth=1
	v_and_b32_e32 v35, 0xffff, v6
	v_mov_b32_e32 v34, 0x7c010000
	s_mov_b32 s17, exec_lo
	s_delay_alu instid0(VALU_DEP_2) | instskip(NEXT) | instid1(VALU_DEP_1)
	v_and_b32_e32 v37, 0x7f, v35
	v_cmpx_ne_u32_e32 0x7f, v37
	s_cbranch_execz .LBB294_1442
; %bb.1439:                             ;   in Loop: Header=BB294_934 Depth=1
	v_dual_lshrrev_b32 v36, 3, v37 :: v_dual_bitop2_b32 v34, 7, v35 bitop3:0x40
	s_mov_b32 s18, exec_lo
	v_cmpx_gt_u32_e32 8, v37
; %bb.1440:                             ;   in Loop: Header=BB294_934 Depth=1
	s_delay_alu instid0(VALU_DEP_2) | instskip(NEXT) | instid1(VALU_DEP_1)
	v_clz_i32_u32_e32 v34, v34
	v_min_u32_e32 v34, 32, v34
	s_delay_alu instid0(VALU_DEP_1) | instskip(NEXT) | instid1(VALU_DEP_1)
	v_subrev_nc_u32_e32 v36, 28, v34
	v_lshlrev_b64_e32 v[38:39], v36, v[6:7]
	v_sub_nc_u32_e32 v36, 29, v34
	s_delay_alu instid0(VALU_DEP_2)
	v_and_b32_e32 v34, 7, v38
; %bb.1441:                             ;   in Loop: Header=BB294_934 Depth=1
	s_or_b32 exec_lo, exec_lo, s18
	s_delay_alu instid0(VALU_DEP_1) | instskip(NEXT) | instid1(VALU_DEP_3)
	v_dual_lshlrev_b32 v6, 8, v35 :: v_dual_lshlrev_b32 v34, 23, v34
	v_lshl_add_u32 v35, v36, 10, 0x2000
	s_delay_alu instid0(VALU_DEP_1) | instskip(NEXT) | instid1(VALU_DEP_1)
	v_and_or_b32 v6, 0x8000, v6, v35
	v_lshl_or_b32 v34, v6, 16, v34
.LBB294_1442:                           ;   in Loop: Header=BB294_934 Depth=1
	s_or_b32 exec_lo, exec_lo, s17
.LBB294_1443:                           ;   in Loop: Header=BB294_934 Depth=1
	s_delay_alu instid0(SALU_CYCLE_1)
	s_or_b32 exec_lo, exec_lo, s16
.LBB294_1444:                           ;   in Loop: Header=BB294_934 Depth=1
	s_delay_alu instid0(SALU_CYCLE_1) | instskip(SKIP_2) | instid1(VALU_DEP_1)
	s_or_b32 exec_lo, exec_lo, s15
	v_lshrrev_b32_e32 v6, 16, v33
	s_mov_b32 s15, exec_lo
	v_and_b32_e32 v35, 0xff, v6
	s_delay_alu instid0(VALU_DEP_1)
	v_cmpx_ne_u16_e32 0, v35
	s_cbranch_execz .LBB294_1452
; %bb.1445:                             ;   in Loop: Header=BB294_934 Depth=1
	v_mov_b32_e32 v31, 0x8000
	s_mov_b32 s16, exec_lo
	v_cmpx_ne_u16_e32 0x80, v35
	s_cbranch_execz .LBB294_1451
; %bb.1446:                             ;   in Loop: Header=BB294_934 Depth=1
	v_bfe_u32 v36, v33, 16, 7
	v_mov_b32_e32 v31, 0x7c01
	s_mov_b32 s17, exec_lo
	s_delay_alu instid0(VALU_DEP_2)
	v_cmpx_ne_u32_e32 0x7f, v36
	s_cbranch_execz .LBB294_1450
; %bb.1447:                             ;   in Loop: Header=BB294_934 Depth=1
	v_dual_lshrrev_b32 v35, 3, v36 :: v_dual_bitop2_b32 v31, 7, v6 bitop3:0x40
	s_mov_b32 s18, exec_lo
	v_cmpx_gt_u32_e32 8, v36
; %bb.1448:                             ;   in Loop: Header=BB294_934 Depth=1
	s_delay_alu instid0(VALU_DEP_2) | instskip(NEXT) | instid1(VALU_DEP_1)
	v_clz_i32_u32_e32 v31, v31
	v_min_u32_e32 v31, 32, v31
	s_delay_alu instid0(VALU_DEP_1) | instskip(NEXT) | instid1(VALU_DEP_1)
	v_subrev_nc_u32_e32 v35, 28, v31
	v_lshlrev_b64_e32 v[36:37], v35, v[6:7]
	s_delay_alu instid0(VALU_DEP_1)
	v_dual_sub_nc_u32 v35, 29, v31 :: v_dual_bitop2_b32 v31, 7, v36 bitop3:0x40
; %bb.1449:                             ;   in Loop: Header=BB294_934 Depth=1
	s_or_b32 exec_lo, exec_lo, s18
	s_delay_alu instid0(VALU_DEP_1) | instskip(NEXT) | instid1(VALU_DEP_2)
	v_dual_lshlrev_b32 v6, 8, v6 :: v_dual_lshlrev_b32 v31, 7, v31
	v_lshl_add_u32 v35, v35, 10, 0x2000
	s_delay_alu instid0(VALU_DEP_2) | instskip(NEXT) | instid1(VALU_DEP_2)
	v_and_b32_e32 v6, 0x8000, v6
	v_and_b32_e32 v35, 0xfc00, v35
	s_delay_alu instid0(VALU_DEP_1)
	v_or3_b32 v31, v6, v35, v31
.LBB294_1450:                           ;   in Loop: Header=BB294_934 Depth=1
	s_or_b32 exec_lo, exec_lo, s17
.LBB294_1451:                           ;   in Loop: Header=BB294_934 Depth=1
	s_delay_alu instid0(SALU_CYCLE_1)
	s_or_b32 exec_lo, exec_lo, s16
.LBB294_1452:                           ;   in Loop: Header=BB294_934 Depth=1
	s_delay_alu instid0(SALU_CYCLE_1)
	s_or_b32 exec_lo, exec_lo, s15
	v_cmp_lt_u64_e64 s0, s[2:3], v[32:33]
	v_mov_b32_e32 v32, 0
	s_and_saveexec_b32 s15, s0
	s_cbranch_execz .LBB294_1460
; %bb.1453:                             ;   in Loop: Header=BB294_934 Depth=1
	v_lshrrev_b32_e32 v6, 24, v33
	v_bfrev_b32_e32 v32, 1
	s_mov_b32 s16, exec_lo
	s_delay_alu instid0(VALU_DEP_2)
	v_cmpx_ne_u32_e32 0x80, v6
	s_cbranch_execz .LBB294_1459
; %bb.1454:                             ;   in Loop: Header=BB294_934 Depth=1
	v_and_b32_e32 v35, 0x7f, v6
	v_mov_b32_e32 v32, 0x7c010000
	s_mov_b32 s17, exec_lo
	s_delay_alu instid0(VALU_DEP_2)
	v_cmpx_ne_u32_e32 0x7f, v35
	s_cbranch_execz .LBB294_1458
; %bb.1455:                             ;   in Loop: Header=BB294_934 Depth=1
	v_dual_lshrrev_b32 v33, 3, v35 :: v_dual_bitop2_b32 v32, 7, v6 bitop3:0x40
	s_mov_b32 s18, exec_lo
	v_cmpx_gt_u32_e32 8, v35
; %bb.1456:                             ;   in Loop: Header=BB294_934 Depth=1
	s_delay_alu instid0(VALU_DEP_2) | instskip(NEXT) | instid1(VALU_DEP_1)
	v_clz_i32_u32_e32 v32, v32
	v_min_u32_e32 v35, 32, v32
	s_delay_alu instid0(VALU_DEP_1) | instskip(NEXT) | instid1(VALU_DEP_1)
	v_subrev_nc_u32_e32 v32, 28, v35
	v_lshlrev_b64_e32 v[32:33], v32, v[6:7]
	s_delay_alu instid0(VALU_DEP_1)
	v_dual_sub_nc_u32 v33, 29, v35 :: v_dual_bitop2_b32 v32, 7, v32 bitop3:0x40
; %bb.1457:                             ;   in Loop: Header=BB294_934 Depth=1
	s_or_b32 exec_lo, exec_lo, s18
	s_delay_alu instid0(VALU_DEP_1) | instskip(NEXT) | instid1(VALU_DEP_2)
	v_dual_lshlrev_b32 v6, 8, v6 :: v_dual_lshlrev_b32 v32, 23, v32
	v_lshl_add_u32 v33, v33, 10, 0x2000
	s_delay_alu instid0(VALU_DEP_1) | instskip(NEXT) | instid1(VALU_DEP_1)
	v_and_or_b32 v6, 0x8000, v6, v33
	v_lshl_or_b32 v32, v6, 16, v32
.LBB294_1458:                           ;   in Loop: Header=BB294_934 Depth=1
	s_or_b32 exec_lo, exec_lo, s17
.LBB294_1459:                           ;   in Loop: Header=BB294_934 Depth=1
	s_delay_alu instid0(SALU_CYCLE_1)
	s_or_b32 exec_lo, exec_lo, s16
.LBB294_1460:                           ;   in Loop: Header=BB294_934 Depth=1
	s_delay_alu instid0(SALU_CYCLE_1) | instskip(SKIP_4) | instid1(VALU_DEP_4)
	s_or_b32 exec_lo, exec_lo, s15
	v_dual_lshrrev_b32 v6, 16, v1 :: v_dual_lshrrev_b32 v33, 16, v19
	v_or_b32_e32 v1, v1, v18
	v_or_b32_e32 v22, v19, v22
	v_or_b32_e32 v35, v34, v23
	v_cvt_f32_f16_e32 v19, v6
	v_cvt_f32_f16_e32 v18, v33
	v_dual_lshrrev_b32 v31, 16, v34 :: v_dual_bitop2_b32 v6, v32, v31 bitop3:0x54
	v_lshrrev_b32_e32 v32, 16, v32
	v_cvt_f32_f16_e32 v23, v1
	s_delay_alu instid0(VALU_DEP_3) | instskip(SKIP_4) | instid1(VALU_DEP_3)
	v_cvt_f32_f16_e32 v34, v6
	s_wait_loadcnt_dscnt 0x0
	v_pk_mul_f32 v[18:19], v[30:31], v[18:19] op_sel_hi:[0,1]
	v_cvt_f32_f16_e32 v33, v31
	v_cvt_f32_f16_e32 v32, v32
	v_cvt_pk_f16_f32 v1, v18, v19
	s_delay_alu instid0(VALU_DEP_2) | instskip(NEXT) | instid1(VALU_DEP_2)
	v_pk_mul_f32 v[18:19], v[30:31], v[32:33] op_sel_hi:[0,1]
	v_lshlrev_b32_e32 v32, 16, v1
	v_cvt_f32_f16_e32 v22, v22
	v_and_b32_e32 v33, 0xffff0000, v1
	s_delay_alu instid0(VALU_DEP_4) | instskip(NEXT) | instid1(VALU_DEP_3)
	v_cvt_pk_f16_f32 v18, v18, v19
	v_pk_mul_f32 v[22:23], v[30:31], v[22:23] op_sel_hi:[0,1]
	s_delay_alu instid0(VALU_DEP_2) | instskip(NEXT) | instid1(VALU_DEP_2)
	v_and_b32_e32 v19, 0xffff0000, v18
	v_cvt_pk_f16_f32 v6, v22, v23
	s_delay_alu instid0(VALU_DEP_1) | instskip(SKIP_2) | instid1(VALU_DEP_3)
	v_lshrrev_b32_e32 v39, 16, v6
	v_cvt_f32_f16_e32 v35, v35
	v_and_b32_e32 v38, 0xffff, v6
	v_or_b32_e32 v37, v33, v39
	s_delay_alu instid0(VALU_DEP_3) | instskip(NEXT) | instid1(VALU_DEP_3)
	v_pk_mul_f32 v[30:31], v[30:31], v[34:35] op_sel_hi:[0,1]
	v_or_b32_e32 v36, v32, v38
	s_delay_alu instid0(VALU_DEP_2) | instskip(NEXT) | instid1(VALU_DEP_1)
	v_cvt_pk_f16_f32 v1, v30, v31
	v_dual_lshlrev_b32 v6, 16, v18 :: v_dual_lshrrev_b32 v31, 16, v1
	v_and_b32_e32 v30, 0xffff, v1
	s_delay_alu instid0(VALU_DEP_2) | instskip(NEXT) | instid1(VALU_DEP_2)
	v_or_b32_e32 v35, v19, v31
	v_or_b32_e32 v34, v6, v30
	s_and_saveexec_b32 s15, vcc_lo
	s_cbranch_execz .LBB294_1462
; %bb.1461:                             ;   in Loop: Header=BB294_934 Depth=1
	v_cmp_lt_i32_e64 s0, v52, v13
	s_delay_alu instid0(VALU_DEP_1) | instskip(SKIP_1) | instid1(VALU_DEP_1)
	v_cndmask_b32_e64 v1, 0, v39, s0
	v_cmp_lt_i32_e64 s0, v68, v124
	v_cndmask_b32_e64 v18, 0, v38, s0
	v_cmp_lt_i32_e64 s0, v67, v13
	s_delay_alu instid0(VALU_DEP_1) | instskip(SKIP_1) | instid1(VALU_DEP_1)
	v_cndmask_b32_e64 v22, 0, v33, s0
	v_cmp_lt_i32_e64 s0, v66, v124
	v_cndmask_b32_e64 v23, 0, v32, s0
	v_cmp_lt_i32_e64 s0, v65, v13
	s_delay_alu instid0(VALU_DEP_4) | instskip(NEXT) | instid1(VALU_DEP_3)
	v_or_b32_e32 v37, v1, v22
	v_or_b32_e32 v36, v18, v23
	s_delay_alu instid0(VALU_DEP_3) | instskip(SKIP_1) | instid1(VALU_DEP_1)
	v_cndmask_b32_e64 v31, 0, v31, s0
	v_cmp_lt_i32_e64 s0, v64, v124
	v_cndmask_b32_e64 v30, 0, v30, s0
	v_cmp_lt_i32_e64 s0, v55, v13
	s_delay_alu instid0(VALU_DEP_1) | instskip(SKIP_1) | instid1(VALU_DEP_1)
	v_cndmask_b32_e64 v19, 0, v19, s0
	v_cmp_lt_i32_e64 s0, v0, v124
	v_dual_cndmask_b32 v6, 0, v6, s0 :: v_dual_bitop2_b32 v35, v31, v19 bitop3:0x54
	s_delay_alu instid0(VALU_DEP_1)
	v_or_b32_e32 v34, v30, v6
.LBB294_1462:                           ;   in Loop: Header=BB294_934 Depth=1
	s_or_b32 exec_lo, exec_lo, s15
	;;#ASMSTART
	v_pk_mul_f16 v1, v80, v37;

	;;#ASMEND
	;;#ASMSTART
	v_pk_mul_f16 v6, v71, v36;

	;;#ASMEND
	;;#ASMSTART
	v_pk_mul_f16 v18, v70, v35;

	;;#ASMEND
	;;#ASMSTART
	v_pk_mul_f16 v19, v69, v34;

	;;#ASMEND
	;;#ASMSTART
	v_pk_add_f16 v1, v1, v6;

	;;#ASMEND
	;;#ASMSTART
	v_pk_add_f16 v1, v1, v18;

	;;#ASMEND
	;;#ASMSTART
	v_pk_add_f16 v1, v1, v19;

	;;#ASMEND
	v_and_b32_e32 v6, 0xffff, v1
	v_lshrrev_b32_e32 v1, 16, v1
	;;#ASMSTART
	v_cvt_f32_f16 v103, v6;
	;;#ASMEND
	;;#ASMSTART
	v_cvt_f32_f16 v112, v1;
	;;#ASMEND
	flat_load_b64 v[32:33], v[14:15] offset:2048
	scratch_load_b64 v[18:19], off, s32 offset:192 ; 8-byte Folded Reload
	v_mov_b32_e32 v1, 0
	s_mov_b32 s15, exec_lo
	s_wait_loadcnt_dscnt 0x100
	v_and_b32_e32 v6, 0xff, v32
	s_wait_loadcnt 0x0
	flat_load_b32 v30, v[18:19]
	s_wait_xcnt 0x0
	v_mov_b32_e32 v18, 0
	v_cmpx_ne_u16_e32 0, v6
	s_cbranch_execz .LBB294_1470
; %bb.1463:                             ;   in Loop: Header=BB294_934 Depth=1
	v_mov_b32_e32 v18, 0x8000
	s_mov_b32 s16, exec_lo
	v_cmpx_ne_u16_e32 0x80, v6
	s_cbranch_execz .LBB294_1469
; %bb.1464:                             ;   in Loop: Header=BB294_934 Depth=1
	v_and_b32_e32 v19, 0x7f, v32
	v_mov_b32_e32 v18, 0x7c01
	s_mov_b32 s17, exec_lo
	s_delay_alu instid0(VALU_DEP_2)
	v_cmpx_ne_u32_e32 0x7f, v19
	s_cbranch_execz .LBB294_1468
; %bb.1465:                             ;   in Loop: Header=BB294_934 Depth=1
	v_dual_lshrrev_b32 v18, 3, v19 :: v_dual_bitop2_b32 v6, 7, v32 bitop3:0x40
	s_mov_b32 s18, exec_lo
	v_cmpx_gt_u32_e32 8, v19
; %bb.1466:                             ;   in Loop: Header=BB294_934 Depth=1
	s_delay_alu instid0(VALU_DEP_2) | instskip(NEXT) | instid1(VALU_DEP_1)
	v_clz_i32_u32_e32 v6, v6
	v_min_u32_e32 v6, 32, v6
	s_delay_alu instid0(VALU_DEP_1) | instskip(NEXT) | instid1(VALU_DEP_1)
	v_subrev_nc_u32_e32 v18, 28, v6
	v_lshlrev_b64_e32 v[22:23], v18, v[32:33]
	v_sub_nc_u32_e32 v18, 29, v6
	s_delay_alu instid0(VALU_DEP_2)
	v_and_b32_e32 v6, 7, v22
; %bb.1467:                             ;   in Loop: Header=BB294_934 Depth=1
	s_or_b32 exec_lo, exec_lo, s18
	s_delay_alu instid0(VALU_DEP_1) | instskip(NEXT) | instid1(VALU_DEP_3)
	v_dual_lshlrev_b32 v19, 8, v32 :: v_dual_lshlrev_b32 v6, 7, v6
	v_lshl_add_u32 v18, v18, 10, 0x2000
	s_delay_alu instid0(VALU_DEP_2) | instskip(NEXT) | instid1(VALU_DEP_2)
	v_and_b32_e32 v19, 0x8000, v19
	v_and_b32_e32 v18, 0xfc00, v18
	s_delay_alu instid0(VALU_DEP_1)
	v_or3_b32 v18, v19, v18, v6
.LBB294_1468:                           ;   in Loop: Header=BB294_934 Depth=1
	s_or_b32 exec_lo, exec_lo, s17
.LBB294_1469:                           ;   in Loop: Header=BB294_934 Depth=1
	s_delay_alu instid0(SALU_CYCLE_1)
	s_or_b32 exec_lo, exec_lo, s16
.LBB294_1470:                           ;   in Loop: Header=BB294_934 Depth=1
	s_delay_alu instid0(SALU_CYCLE_1) | instskip(SKIP_2) | instid1(VALU_DEP_1)
	s_or_b32 exec_lo, exec_lo, s15
	v_lshrrev_b16 v6, 8, v32
	s_mov_b32 s15, exec_lo
	v_cmpx_ne_u16_e32 0, v6
	s_cbranch_execz .LBB294_1478
; %bb.1471:                             ;   in Loop: Header=BB294_934 Depth=1
	v_bfrev_b32_e32 v1, 1
	s_mov_b32 s16, exec_lo
	v_cmpx_ne_u16_e32 0x80, v6
	s_cbranch_execz .LBB294_1477
; %bb.1472:                             ;   in Loop: Header=BB294_934 Depth=1
	v_and_b32_e32 v19, 0xffff, v6
	v_mov_b32_e32 v1, 0x7c010000
	s_mov_b32 s17, exec_lo
	s_delay_alu instid0(VALU_DEP_2) | instskip(NEXT) | instid1(VALU_DEP_1)
	v_and_b32_e32 v23, 0x7f, v19
	v_cmpx_ne_u32_e32 0x7f, v23
	s_cbranch_execz .LBB294_1476
; %bb.1473:                             ;   in Loop: Header=BB294_934 Depth=1
	v_and_b32_e32 v1, 7, v19
	v_lshrrev_b32_e32 v22, 3, v23
	s_mov_b32 s18, exec_lo
	v_cmpx_gt_u32_e32 8, v23
; %bb.1474:                             ;   in Loop: Header=BB294_934 Depth=1
	s_delay_alu instid0(VALU_DEP_3) | instskip(NEXT) | instid1(VALU_DEP_1)
	v_clz_i32_u32_e32 v1, v1
	v_min_u32_e32 v1, 32, v1
	s_delay_alu instid0(VALU_DEP_1) | instskip(NEXT) | instid1(VALU_DEP_1)
	v_subrev_nc_u32_e32 v22, 28, v1
	v_lshlrev_b64_e32 v[34:35], v22, v[6:7]
	s_delay_alu instid0(VALU_DEP_1)
	v_dual_sub_nc_u32 v22, 29, v1 :: v_dual_bitop2_b32 v1, 7, v34 bitop3:0x40
; %bb.1475:                             ;   in Loop: Header=BB294_934 Depth=1
	s_or_b32 exec_lo, exec_lo, s18
	s_delay_alu instid0(VALU_DEP_1) | instskip(NEXT) | instid1(VALU_DEP_2)
	v_dual_lshlrev_b32 v6, 8, v19 :: v_dual_lshlrev_b32 v1, 23, v1
	v_lshl_add_u32 v19, v22, 10, 0x2000
	s_delay_alu instid0(VALU_DEP_1) | instskip(NEXT) | instid1(VALU_DEP_1)
	v_and_or_b32 v6, 0x8000, v6, v19
	v_lshl_or_b32 v1, v6, 16, v1
.LBB294_1476:                           ;   in Loop: Header=BB294_934 Depth=1
	s_or_b32 exec_lo, exec_lo, s17
.LBB294_1477:                           ;   in Loop: Header=BB294_934 Depth=1
	s_delay_alu instid0(SALU_CYCLE_1)
	s_or_b32 exec_lo, exec_lo, s16
.LBB294_1478:                           ;   in Loop: Header=BB294_934 Depth=1
	s_delay_alu instid0(SALU_CYCLE_1) | instskip(SKIP_3) | instid1(VALU_DEP_2)
	s_or_b32 exec_lo, exec_lo, s15
	v_dual_mov_b32 v19, 0 :: v_dual_lshrrev_b32 v6, 16, v32
	v_mov_b32_e32 v22, 0
	s_mov_b32 s15, exec_lo
	v_and_b32_e32 v23, 0xff, v6
	s_delay_alu instid0(VALU_DEP_1)
	v_cmpx_ne_u16_e32 0, v23
	s_cbranch_execz .LBB294_1486
; %bb.1479:                             ;   in Loop: Header=BB294_934 Depth=1
	v_mov_b32_e32 v22, 0x8000
	s_mov_b32 s16, exec_lo
	v_cmpx_ne_u16_e32 0x80, v23
	s_cbranch_execz .LBB294_1485
; %bb.1480:                             ;   in Loop: Header=BB294_934 Depth=1
	v_bfe_u32 v31, v32, 16, 7
	v_mov_b32_e32 v22, 0x7c01
	s_mov_b32 s17, exec_lo
	s_delay_alu instid0(VALU_DEP_2)
	v_cmpx_ne_u32_e32 0x7f, v31
	s_cbranch_execz .LBB294_1484
; %bb.1481:                             ;   in Loop: Header=BB294_934 Depth=1
	v_dual_lshrrev_b32 v23, 3, v31 :: v_dual_bitop2_b32 v22, 7, v6 bitop3:0x40
	s_mov_b32 s18, exec_lo
	v_cmpx_gt_u32_e32 8, v31
; %bb.1482:                             ;   in Loop: Header=BB294_934 Depth=1
	s_delay_alu instid0(VALU_DEP_2) | instskip(NEXT) | instid1(VALU_DEP_1)
	v_clz_i32_u32_e32 v22, v22
	v_min_u32_e32 v31, 32, v22
	s_delay_alu instid0(VALU_DEP_1) | instskip(NEXT) | instid1(VALU_DEP_1)
	v_subrev_nc_u32_e32 v22, 28, v31
	v_lshlrev_b64_e32 v[22:23], v22, v[6:7]
	s_delay_alu instid0(VALU_DEP_1)
	v_dual_sub_nc_u32 v23, 29, v31 :: v_dual_bitop2_b32 v22, 7, v22 bitop3:0x40
; %bb.1483:                             ;   in Loop: Header=BB294_934 Depth=1
	s_or_b32 exec_lo, exec_lo, s18
	v_lshlrev_b32_e32 v6, 8, v6
	s_delay_alu instid0(VALU_DEP_2) | instskip(NEXT) | instid1(VALU_DEP_3)
	v_lshl_add_u32 v23, v23, 10, 0x2000
	v_lshlrev_b32_e32 v22, 7, v22
	s_delay_alu instid0(VALU_DEP_3) | instskip(NEXT) | instid1(VALU_DEP_3)
	v_and_b32_e32 v6, 0x8000, v6
	v_and_b32_e32 v23, 0xfc00, v23
	s_delay_alu instid0(VALU_DEP_1)
	v_or3_b32 v22, v6, v23, v22
.LBB294_1484:                           ;   in Loop: Header=BB294_934 Depth=1
	s_or_b32 exec_lo, exec_lo, s17
.LBB294_1485:                           ;   in Loop: Header=BB294_934 Depth=1
	s_delay_alu instid0(SALU_CYCLE_1)
	s_or_b32 exec_lo, exec_lo, s16
.LBB294_1486:                           ;   in Loop: Header=BB294_934 Depth=1
	s_delay_alu instid0(SALU_CYCLE_1) | instskip(NEXT) | instid1(SALU_CYCLE_1)
	s_or_b32 exec_lo, exec_lo, s15
	s_mov_b32 s15, exec_lo
	v_cmpx_lt_u32_e32 0xffffff, v32
	s_cbranch_execz .LBB294_1494
; %bb.1487:                             ;   in Loop: Header=BB294_934 Depth=1
	v_lshrrev_b32_e32 v6, 24, v32
	v_bfrev_b32_e32 v19, 1
	s_mov_b32 s16, exec_lo
	s_delay_alu instid0(VALU_DEP_2)
	v_cmpx_ne_u32_e32 0x80, v6
	s_cbranch_execz .LBB294_1493
; %bb.1488:                             ;   in Loop: Header=BB294_934 Depth=1
	v_and_b32_e32 v31, 0x7f, v6
	v_mov_b32_e32 v19, 0x7c010000
	s_mov_b32 s17, exec_lo
	s_delay_alu instid0(VALU_DEP_2)
	v_cmpx_ne_u32_e32 0x7f, v31
	s_cbranch_execz .LBB294_1492
; %bb.1489:                             ;   in Loop: Header=BB294_934 Depth=1
	v_dual_lshrrev_b32 v23, 3, v31 :: v_dual_bitop2_b32 v19, 7, v6 bitop3:0x40
	s_mov_b32 s18, exec_lo
	v_cmpx_gt_u32_e32 8, v31
; %bb.1490:                             ;   in Loop: Header=BB294_934 Depth=1
	s_delay_alu instid0(VALU_DEP_2) | instskip(NEXT) | instid1(VALU_DEP_1)
	v_clz_i32_u32_e32 v19, v19
	v_min_u32_e32 v19, 32, v19
	s_delay_alu instid0(VALU_DEP_1) | instskip(NEXT) | instid1(VALU_DEP_1)
	v_subrev_nc_u32_e32 v23, 28, v19
	v_lshlrev_b64_e32 v[34:35], v23, v[6:7]
	s_delay_alu instid0(VALU_DEP_1)
	v_dual_sub_nc_u32 v23, 29, v19 :: v_dual_bitop2_b32 v19, 7, v34 bitop3:0x40
; %bb.1491:                             ;   in Loop: Header=BB294_934 Depth=1
	s_or_b32 exec_lo, exec_lo, s18
	s_delay_alu instid0(VALU_DEP_1) | instskip(NEXT) | instid1(VALU_DEP_2)
	v_dual_lshlrev_b32 v6, 8, v6 :: v_dual_lshlrev_b32 v19, 23, v19
	v_lshl_add_u32 v23, v23, 10, 0x2000
	s_delay_alu instid0(VALU_DEP_1) | instskip(NEXT) | instid1(VALU_DEP_1)
	v_and_or_b32 v6, 0x8000, v6, v23
	v_lshl_or_b32 v19, v6, 16, v19
.LBB294_1492:                           ;   in Loop: Header=BB294_934 Depth=1
	s_or_b32 exec_lo, exec_lo, s17
.LBB294_1493:                           ;   in Loop: Header=BB294_934 Depth=1
	s_delay_alu instid0(SALU_CYCLE_1)
	s_or_b32 exec_lo, exec_lo, s16
.LBB294_1494:                           ;   in Loop: Header=BB294_934 Depth=1
	s_delay_alu instid0(SALU_CYCLE_1) | instskip(SKIP_4) | instid1(VALU_DEP_3)
	s_or_b32 exec_lo, exec_lo, s15
	v_and_b32_e32 v34, 0xff, v33
	v_dual_mov_b32 v6, v33 :: v_dual_mov_b32 v31, 0
	v_mov_b32_e32 v23, 0
	s_mov_b32 s15, exec_lo
	v_cmpx_ne_u16_e32 0, v34
	s_cbranch_execz .LBB294_1502
; %bb.1495:                             ;   in Loop: Header=BB294_934 Depth=1
	v_mov_b32_e32 v23, 0x8000
	s_mov_b32 s16, exec_lo
	v_cmpx_ne_u16_e32 0x80, v34
	s_cbranch_execz .LBB294_1501
; %bb.1496:                             ;   in Loop: Header=BB294_934 Depth=1
	v_and_b32_e32 v35, 0x7f, v33
	v_mov_b32_e32 v23, 0x7c01
	s_mov_b32 s17, exec_lo
	s_delay_alu instid0(VALU_DEP_2)
	v_cmpx_ne_u32_e32 0x7f, v35
	s_cbranch_execz .LBB294_1500
; %bb.1497:                             ;   in Loop: Header=BB294_934 Depth=1
	v_dual_lshrrev_b32 v34, 3, v35 :: v_dual_bitop2_b32 v23, 7, v33 bitop3:0x40
	s_mov_b32 s18, exec_lo
	v_cmpx_gt_u32_e32 8, v35
; %bb.1498:                             ;   in Loop: Header=BB294_934 Depth=1
	s_delay_alu instid0(VALU_DEP_2) | instskip(NEXT) | instid1(VALU_DEP_1)
	v_clz_i32_u32_e32 v23, v23
	v_min_u32_e32 v23, 32, v23
	s_delay_alu instid0(VALU_DEP_1) | instskip(NEXT) | instid1(VALU_DEP_1)
	v_subrev_nc_u32_e32 v34, 28, v23
	v_lshlrev_b64_e32 v[36:37], v34, v[6:7]
	s_delay_alu instid0(VALU_DEP_1)
	v_dual_sub_nc_u32 v34, 29, v23 :: v_dual_bitop2_b32 v23, 7, v36 bitop3:0x40
; %bb.1499:                             ;   in Loop: Header=BB294_934 Depth=1
	s_or_b32 exec_lo, exec_lo, s18
	s_delay_alu instid0(VALU_DEP_1) | instskip(NEXT) | instid1(VALU_DEP_2)
	v_dual_lshlrev_b32 v35, 8, v33 :: v_dual_lshlrev_b32 v23, 7, v23
	v_lshl_add_u32 v34, v34, 10, 0x2000
	s_delay_alu instid0(VALU_DEP_2) | instskip(NEXT) | instid1(VALU_DEP_2)
	v_and_b32_e32 v35, 0x8000, v35
	v_and_b32_e32 v34, 0xfc00, v34
	s_delay_alu instid0(VALU_DEP_1)
	v_or3_b32 v23, v35, v34, v23
.LBB294_1500:                           ;   in Loop: Header=BB294_934 Depth=1
	s_or_b32 exec_lo, exec_lo, s17
.LBB294_1501:                           ;   in Loop: Header=BB294_934 Depth=1
	s_delay_alu instid0(SALU_CYCLE_1)
	s_or_b32 exec_lo, exec_lo, s16
.LBB294_1502:                           ;   in Loop: Header=BB294_934 Depth=1
	s_delay_alu instid0(SALU_CYCLE_1) | instskip(SKIP_3) | instid1(VALU_DEP_2)
	s_or_b32 exec_lo, exec_lo, s15
	v_lshrrev_b16 v6, 8, v6
	v_mov_b32_e32 v34, 0
	s_mov_b32 s15, exec_lo
	v_cmpx_ne_u16_e32 0, v6
	s_cbranch_execz .LBB294_1510
; %bb.1503:                             ;   in Loop: Header=BB294_934 Depth=1
	v_bfrev_b32_e32 v34, 1
	s_mov_b32 s16, exec_lo
	v_cmpx_ne_u16_e32 0x80, v6
	s_cbranch_execz .LBB294_1509
; %bb.1504:                             ;   in Loop: Header=BB294_934 Depth=1
	v_and_b32_e32 v35, 0xffff, v6
	v_mov_b32_e32 v34, 0x7c010000
	s_mov_b32 s17, exec_lo
	s_delay_alu instid0(VALU_DEP_2) | instskip(NEXT) | instid1(VALU_DEP_1)
	v_and_b32_e32 v37, 0x7f, v35
	v_cmpx_ne_u32_e32 0x7f, v37
	s_cbranch_execz .LBB294_1508
; %bb.1505:                             ;   in Loop: Header=BB294_934 Depth=1
	v_dual_lshrrev_b32 v36, 3, v37 :: v_dual_bitop2_b32 v34, 7, v35 bitop3:0x40
	s_mov_b32 s18, exec_lo
	v_cmpx_gt_u32_e32 8, v37
; %bb.1506:                             ;   in Loop: Header=BB294_934 Depth=1
	s_delay_alu instid0(VALU_DEP_2) | instskip(NEXT) | instid1(VALU_DEP_1)
	v_clz_i32_u32_e32 v34, v34
	v_min_u32_e32 v34, 32, v34
	s_delay_alu instid0(VALU_DEP_1) | instskip(NEXT) | instid1(VALU_DEP_1)
	v_subrev_nc_u32_e32 v36, 28, v34
	v_lshlrev_b64_e32 v[38:39], v36, v[6:7]
	v_sub_nc_u32_e32 v36, 29, v34
	s_delay_alu instid0(VALU_DEP_2)
	v_and_b32_e32 v34, 7, v38
; %bb.1507:                             ;   in Loop: Header=BB294_934 Depth=1
	s_or_b32 exec_lo, exec_lo, s18
	s_delay_alu instid0(VALU_DEP_1) | instskip(NEXT) | instid1(VALU_DEP_3)
	v_dual_lshlrev_b32 v6, 8, v35 :: v_dual_lshlrev_b32 v34, 23, v34
	v_lshl_add_u32 v35, v36, 10, 0x2000
	s_delay_alu instid0(VALU_DEP_1) | instskip(NEXT) | instid1(VALU_DEP_1)
	v_and_or_b32 v6, 0x8000, v6, v35
	v_lshl_or_b32 v34, v6, 16, v34
.LBB294_1508:                           ;   in Loop: Header=BB294_934 Depth=1
	s_or_b32 exec_lo, exec_lo, s17
.LBB294_1509:                           ;   in Loop: Header=BB294_934 Depth=1
	s_delay_alu instid0(SALU_CYCLE_1)
	s_or_b32 exec_lo, exec_lo, s16
.LBB294_1510:                           ;   in Loop: Header=BB294_934 Depth=1
	s_delay_alu instid0(SALU_CYCLE_1) | instskip(SKIP_2) | instid1(VALU_DEP_1)
	s_or_b32 exec_lo, exec_lo, s15
	v_lshrrev_b32_e32 v6, 16, v33
	s_mov_b32 s15, exec_lo
	v_and_b32_e32 v35, 0xff, v6
	s_delay_alu instid0(VALU_DEP_1)
	v_cmpx_ne_u16_e32 0, v35
	s_cbranch_execz .LBB294_1518
; %bb.1511:                             ;   in Loop: Header=BB294_934 Depth=1
	v_mov_b32_e32 v31, 0x8000
	s_mov_b32 s16, exec_lo
	v_cmpx_ne_u16_e32 0x80, v35
	s_cbranch_execz .LBB294_1517
; %bb.1512:                             ;   in Loop: Header=BB294_934 Depth=1
	v_bfe_u32 v36, v33, 16, 7
	v_mov_b32_e32 v31, 0x7c01
	s_mov_b32 s17, exec_lo
	s_delay_alu instid0(VALU_DEP_2)
	v_cmpx_ne_u32_e32 0x7f, v36
	s_cbranch_execz .LBB294_1516
; %bb.1513:                             ;   in Loop: Header=BB294_934 Depth=1
	v_dual_lshrrev_b32 v35, 3, v36 :: v_dual_bitop2_b32 v31, 7, v6 bitop3:0x40
	s_mov_b32 s18, exec_lo
	v_cmpx_gt_u32_e32 8, v36
; %bb.1514:                             ;   in Loop: Header=BB294_934 Depth=1
	s_delay_alu instid0(VALU_DEP_2) | instskip(NEXT) | instid1(VALU_DEP_1)
	v_clz_i32_u32_e32 v31, v31
	v_min_u32_e32 v31, 32, v31
	s_delay_alu instid0(VALU_DEP_1) | instskip(NEXT) | instid1(VALU_DEP_1)
	v_subrev_nc_u32_e32 v35, 28, v31
	v_lshlrev_b64_e32 v[36:37], v35, v[6:7]
	s_delay_alu instid0(VALU_DEP_1)
	v_dual_sub_nc_u32 v35, 29, v31 :: v_dual_bitop2_b32 v31, 7, v36 bitop3:0x40
; %bb.1515:                             ;   in Loop: Header=BB294_934 Depth=1
	s_or_b32 exec_lo, exec_lo, s18
	s_delay_alu instid0(VALU_DEP_1) | instskip(NEXT) | instid1(VALU_DEP_2)
	v_dual_lshlrev_b32 v6, 8, v6 :: v_dual_lshlrev_b32 v31, 7, v31
	v_lshl_add_u32 v35, v35, 10, 0x2000
	s_delay_alu instid0(VALU_DEP_2) | instskip(NEXT) | instid1(VALU_DEP_2)
	v_and_b32_e32 v6, 0x8000, v6
	v_and_b32_e32 v35, 0xfc00, v35
	s_delay_alu instid0(VALU_DEP_1)
	v_or3_b32 v31, v6, v35, v31
.LBB294_1516:                           ;   in Loop: Header=BB294_934 Depth=1
	s_or_b32 exec_lo, exec_lo, s17
.LBB294_1517:                           ;   in Loop: Header=BB294_934 Depth=1
	s_delay_alu instid0(SALU_CYCLE_1)
	s_or_b32 exec_lo, exec_lo, s16
.LBB294_1518:                           ;   in Loop: Header=BB294_934 Depth=1
	s_delay_alu instid0(SALU_CYCLE_1)
	s_or_b32 exec_lo, exec_lo, s15
	v_cmp_lt_u64_e64 s0, s[2:3], v[32:33]
	v_mov_b32_e32 v32, 0
	s_and_saveexec_b32 s15, s0
	s_cbranch_execz .LBB294_1526
; %bb.1519:                             ;   in Loop: Header=BB294_934 Depth=1
	v_lshrrev_b32_e32 v6, 24, v33
	v_bfrev_b32_e32 v32, 1
	s_mov_b32 s16, exec_lo
	s_delay_alu instid0(VALU_DEP_2)
	v_cmpx_ne_u32_e32 0x80, v6
	s_cbranch_execz .LBB294_1525
; %bb.1520:                             ;   in Loop: Header=BB294_934 Depth=1
	v_and_b32_e32 v35, 0x7f, v6
	v_mov_b32_e32 v32, 0x7c010000
	s_mov_b32 s17, exec_lo
	s_delay_alu instid0(VALU_DEP_2)
	v_cmpx_ne_u32_e32 0x7f, v35
	s_cbranch_execz .LBB294_1524
; %bb.1521:                             ;   in Loop: Header=BB294_934 Depth=1
	v_dual_lshrrev_b32 v33, 3, v35 :: v_dual_bitop2_b32 v32, 7, v6 bitop3:0x40
	s_mov_b32 s18, exec_lo
	v_cmpx_gt_u32_e32 8, v35
; %bb.1522:                             ;   in Loop: Header=BB294_934 Depth=1
	s_delay_alu instid0(VALU_DEP_2) | instskip(NEXT) | instid1(VALU_DEP_1)
	v_clz_i32_u32_e32 v32, v32
	v_min_u32_e32 v35, 32, v32
	s_delay_alu instid0(VALU_DEP_1) | instskip(NEXT) | instid1(VALU_DEP_1)
	v_subrev_nc_u32_e32 v32, 28, v35
	v_lshlrev_b64_e32 v[32:33], v32, v[6:7]
	s_delay_alu instid0(VALU_DEP_1)
	v_dual_sub_nc_u32 v33, 29, v35 :: v_dual_bitop2_b32 v32, 7, v32 bitop3:0x40
; %bb.1523:                             ;   in Loop: Header=BB294_934 Depth=1
	s_or_b32 exec_lo, exec_lo, s18
	s_delay_alu instid0(VALU_DEP_1) | instskip(NEXT) | instid1(VALU_DEP_2)
	v_dual_lshlrev_b32 v6, 8, v6 :: v_dual_lshlrev_b32 v32, 23, v32
	v_lshl_add_u32 v33, v33, 10, 0x2000
	s_delay_alu instid0(VALU_DEP_1) | instskip(NEXT) | instid1(VALU_DEP_1)
	v_and_or_b32 v6, 0x8000, v6, v33
	v_lshl_or_b32 v32, v6, 16, v32
.LBB294_1524:                           ;   in Loop: Header=BB294_934 Depth=1
	s_or_b32 exec_lo, exec_lo, s17
.LBB294_1525:                           ;   in Loop: Header=BB294_934 Depth=1
	s_delay_alu instid0(SALU_CYCLE_1)
	s_or_b32 exec_lo, exec_lo, s16
.LBB294_1526:                           ;   in Loop: Header=BB294_934 Depth=1
	s_delay_alu instid0(SALU_CYCLE_1) | instskip(SKIP_4) | instid1(VALU_DEP_4)
	s_or_b32 exec_lo, exec_lo, s15
	v_dual_lshrrev_b32 v6, 16, v1 :: v_dual_lshrrev_b32 v33, 16, v19
	v_or_b32_e32 v1, v1, v18
	v_or_b32_e32 v22, v19, v22
	;; [unrolled: 1-line block ×3, first 2 shown]
	v_cvt_f32_f16_e32 v19, v6
	v_cvt_f32_f16_e32 v18, v33
	v_dual_lshrrev_b32 v31, 16, v34 :: v_dual_bitop2_b32 v6, v32, v31 bitop3:0x54
	v_lshrrev_b32_e32 v32, 16, v32
	v_cvt_f32_f16_e32 v23, v1
	s_delay_alu instid0(VALU_DEP_3) | instskip(SKIP_4) | instid1(VALU_DEP_3)
	v_cvt_f32_f16_e32 v34, v6
	s_wait_loadcnt_dscnt 0x0
	v_pk_mul_f32 v[18:19], v[30:31], v[18:19] op_sel_hi:[0,1]
	v_cvt_f32_f16_e32 v33, v31
	v_cvt_f32_f16_e32 v32, v32
	v_cvt_pk_f16_f32 v1, v18, v19
	s_delay_alu instid0(VALU_DEP_2) | instskip(NEXT) | instid1(VALU_DEP_2)
	v_pk_mul_f32 v[18:19], v[30:31], v[32:33] op_sel_hi:[0,1]
	v_lshlrev_b32_e32 v32, 16, v1
	v_cvt_f32_f16_e32 v22, v22
	v_and_b32_e32 v33, 0xffff0000, v1
	s_delay_alu instid0(VALU_DEP_4) | instskip(NEXT) | instid1(VALU_DEP_3)
	v_cvt_pk_f16_f32 v18, v18, v19
	v_pk_mul_f32 v[22:23], v[30:31], v[22:23] op_sel_hi:[0,1]
	s_delay_alu instid0(VALU_DEP_2) | instskip(NEXT) | instid1(VALU_DEP_2)
	v_and_b32_e32 v19, 0xffff0000, v18
	v_cvt_pk_f16_f32 v6, v22, v23
	s_delay_alu instid0(VALU_DEP_1) | instskip(SKIP_2) | instid1(VALU_DEP_3)
	v_lshrrev_b32_e32 v39, 16, v6
	v_cvt_f32_f16_e32 v35, v35
	v_and_b32_e32 v38, 0xffff, v6
	v_or_b32_e32 v37, v33, v39
	s_delay_alu instid0(VALU_DEP_3) | instskip(NEXT) | instid1(VALU_DEP_3)
	v_pk_mul_f32 v[30:31], v[30:31], v[34:35] op_sel_hi:[0,1]
	v_or_b32_e32 v36, v32, v38
	s_delay_alu instid0(VALU_DEP_2) | instskip(NEXT) | instid1(VALU_DEP_1)
	v_cvt_pk_f16_f32 v1, v30, v31
	v_dual_lshlrev_b32 v6, 16, v18 :: v_dual_lshrrev_b32 v31, 16, v1
	v_and_b32_e32 v30, 0xffff, v1
	s_delay_alu instid0(VALU_DEP_2) | instskip(NEXT) | instid1(VALU_DEP_2)
	v_or_b32_e32 v35, v19, v31
	v_or_b32_e32 v34, v6, v30
	s_and_saveexec_b32 s15, vcc_lo
	s_cbranch_execz .LBB294_1528
; %bb.1527:                             ;   in Loop: Header=BB294_934 Depth=1
	v_cmp_lt_i32_e64 s0, v52, v13
	s_delay_alu instid0(VALU_DEP_1) | instskip(SKIP_1) | instid1(VALU_DEP_1)
	v_cndmask_b32_e64 v1, 0, v39, s0
	v_cmp_lt_i32_e64 s0, v68, v124
	v_cndmask_b32_e64 v18, 0, v38, s0
	v_cmp_lt_i32_e64 s0, v67, v13
	s_delay_alu instid0(VALU_DEP_1) | instskip(SKIP_1) | instid1(VALU_DEP_1)
	v_cndmask_b32_e64 v22, 0, v33, s0
	v_cmp_lt_i32_e64 s0, v66, v124
	v_cndmask_b32_e64 v23, 0, v32, s0
	v_cmp_lt_i32_e64 s0, v65, v13
	s_delay_alu instid0(VALU_DEP_4) | instskip(NEXT) | instid1(VALU_DEP_3)
	v_or_b32_e32 v37, v1, v22
	v_or_b32_e32 v36, v18, v23
	s_delay_alu instid0(VALU_DEP_3) | instskip(SKIP_1) | instid1(VALU_DEP_1)
	v_cndmask_b32_e64 v31, 0, v31, s0
	v_cmp_lt_i32_e64 s0, v64, v124
	v_cndmask_b32_e64 v30, 0, v30, s0
	v_cmp_lt_i32_e64 s0, v55, v13
	s_delay_alu instid0(VALU_DEP_1) | instskip(SKIP_1) | instid1(VALU_DEP_1)
	v_cndmask_b32_e64 v19, 0, v19, s0
	v_cmp_lt_i32_e64 s0, v0, v124
	v_dual_cndmask_b32 v6, 0, v6, s0 :: v_dual_bitop2_b32 v35, v31, v19 bitop3:0x54
	s_delay_alu instid0(VALU_DEP_1)
	v_or_b32_e32 v34, v30, v6
.LBB294_1528:                           ;   in Loop: Header=BB294_934 Depth=1
	s_or_b32 exec_lo, exec_lo, s15
	;;#ASMSTART
	v_pk_mul_f16 v1, v80, v37;

	;;#ASMEND
	;;#ASMSTART
	v_pk_mul_f16 v6, v71, v36;

	;;#ASMEND
	;; [unrolled: 4-line block ×4, first 2 shown]
	;;#ASMSTART
	v_pk_add_f16 v1, v1, v6;

	;;#ASMEND
	;;#ASMSTART
	v_pk_add_f16 v1, v1, v18;

	;;#ASMEND
	;; [unrolled: 4-line block ×3, first 2 shown]
	v_and_b32_e32 v6, 0xffff, v1
	v_lshrrev_b32_e32 v1, 16, v1
	;;#ASMSTART
	v_cvt_f32_f16 v113, v6;
	;;#ASMEND
	;;#ASMSTART
	v_cvt_f32_f16 v114, v1;
	;;#ASMEND
	flat_load_b64 v[32:33], v[14:15] offset:2304
	scratch_load_b64 v[18:19], off, s32 offset:192 ; 8-byte Folded Reload
	v_mov_b32_e32 v1, 0
	s_mov_b32 s15, exec_lo
	s_wait_loadcnt_dscnt 0x100
	v_and_b32_e32 v6, 0xff, v32
	s_wait_loadcnt 0x0
	flat_load_b32 v30, v[18:19]
	s_wait_xcnt 0x0
	v_mov_b32_e32 v18, 0
	v_cmpx_ne_u16_e32 0, v6
	s_cbranch_execz .LBB294_1536
; %bb.1529:                             ;   in Loop: Header=BB294_934 Depth=1
	v_mov_b32_e32 v18, 0x8000
	s_mov_b32 s16, exec_lo
	v_cmpx_ne_u16_e32 0x80, v6
	s_cbranch_execz .LBB294_1535
; %bb.1530:                             ;   in Loop: Header=BB294_934 Depth=1
	v_and_b32_e32 v19, 0x7f, v32
	v_mov_b32_e32 v18, 0x7c01
	s_mov_b32 s17, exec_lo
	s_delay_alu instid0(VALU_DEP_2)
	v_cmpx_ne_u32_e32 0x7f, v19
	s_cbranch_execz .LBB294_1534
; %bb.1531:                             ;   in Loop: Header=BB294_934 Depth=1
	v_dual_lshrrev_b32 v18, 3, v19 :: v_dual_bitop2_b32 v6, 7, v32 bitop3:0x40
	s_mov_b32 s18, exec_lo
	v_cmpx_gt_u32_e32 8, v19
; %bb.1532:                             ;   in Loop: Header=BB294_934 Depth=1
	s_delay_alu instid0(VALU_DEP_2) | instskip(NEXT) | instid1(VALU_DEP_1)
	v_clz_i32_u32_e32 v6, v6
	v_min_u32_e32 v6, 32, v6
	s_delay_alu instid0(VALU_DEP_1) | instskip(NEXT) | instid1(VALU_DEP_1)
	v_subrev_nc_u32_e32 v18, 28, v6
	v_lshlrev_b64_e32 v[22:23], v18, v[32:33]
	v_sub_nc_u32_e32 v18, 29, v6
	s_delay_alu instid0(VALU_DEP_2)
	v_and_b32_e32 v6, 7, v22
; %bb.1533:                             ;   in Loop: Header=BB294_934 Depth=1
	s_or_b32 exec_lo, exec_lo, s18
	s_delay_alu instid0(VALU_DEP_1) | instskip(NEXT) | instid1(VALU_DEP_3)
	v_dual_lshlrev_b32 v19, 8, v32 :: v_dual_lshlrev_b32 v6, 7, v6
	v_lshl_add_u32 v18, v18, 10, 0x2000
	s_delay_alu instid0(VALU_DEP_2) | instskip(NEXT) | instid1(VALU_DEP_2)
	v_and_b32_e32 v19, 0x8000, v19
	v_and_b32_e32 v18, 0xfc00, v18
	s_delay_alu instid0(VALU_DEP_1)
	v_or3_b32 v18, v19, v18, v6
.LBB294_1534:                           ;   in Loop: Header=BB294_934 Depth=1
	s_or_b32 exec_lo, exec_lo, s17
.LBB294_1535:                           ;   in Loop: Header=BB294_934 Depth=1
	s_delay_alu instid0(SALU_CYCLE_1)
	s_or_b32 exec_lo, exec_lo, s16
.LBB294_1536:                           ;   in Loop: Header=BB294_934 Depth=1
	s_delay_alu instid0(SALU_CYCLE_1) | instskip(SKIP_2) | instid1(VALU_DEP_1)
	s_or_b32 exec_lo, exec_lo, s15
	v_lshrrev_b16 v6, 8, v32
	s_mov_b32 s15, exec_lo
	v_cmpx_ne_u16_e32 0, v6
	s_cbranch_execz .LBB294_1544
; %bb.1537:                             ;   in Loop: Header=BB294_934 Depth=1
	v_bfrev_b32_e32 v1, 1
	s_mov_b32 s16, exec_lo
	v_cmpx_ne_u16_e32 0x80, v6
	s_cbranch_execz .LBB294_1543
; %bb.1538:                             ;   in Loop: Header=BB294_934 Depth=1
	v_and_b32_e32 v19, 0xffff, v6
	v_mov_b32_e32 v1, 0x7c010000
	s_mov_b32 s17, exec_lo
	s_delay_alu instid0(VALU_DEP_2) | instskip(NEXT) | instid1(VALU_DEP_1)
	v_and_b32_e32 v23, 0x7f, v19
	v_cmpx_ne_u32_e32 0x7f, v23
	s_cbranch_execz .LBB294_1542
; %bb.1539:                             ;   in Loop: Header=BB294_934 Depth=1
	v_and_b32_e32 v1, 7, v19
	v_lshrrev_b32_e32 v22, 3, v23
	s_mov_b32 s18, exec_lo
	v_cmpx_gt_u32_e32 8, v23
; %bb.1540:                             ;   in Loop: Header=BB294_934 Depth=1
	s_delay_alu instid0(VALU_DEP_3) | instskip(NEXT) | instid1(VALU_DEP_1)
	v_clz_i32_u32_e32 v1, v1
	v_min_u32_e32 v1, 32, v1
	s_delay_alu instid0(VALU_DEP_1) | instskip(NEXT) | instid1(VALU_DEP_1)
	v_subrev_nc_u32_e32 v22, 28, v1
	v_lshlrev_b64_e32 v[34:35], v22, v[6:7]
	s_delay_alu instid0(VALU_DEP_1)
	v_dual_sub_nc_u32 v22, 29, v1 :: v_dual_bitop2_b32 v1, 7, v34 bitop3:0x40
; %bb.1541:                             ;   in Loop: Header=BB294_934 Depth=1
	s_or_b32 exec_lo, exec_lo, s18
	s_delay_alu instid0(VALU_DEP_1) | instskip(NEXT) | instid1(VALU_DEP_2)
	v_dual_lshlrev_b32 v6, 8, v19 :: v_dual_lshlrev_b32 v1, 23, v1
	v_lshl_add_u32 v19, v22, 10, 0x2000
	s_delay_alu instid0(VALU_DEP_1) | instskip(NEXT) | instid1(VALU_DEP_1)
	v_and_or_b32 v6, 0x8000, v6, v19
	v_lshl_or_b32 v1, v6, 16, v1
.LBB294_1542:                           ;   in Loop: Header=BB294_934 Depth=1
	s_or_b32 exec_lo, exec_lo, s17
.LBB294_1543:                           ;   in Loop: Header=BB294_934 Depth=1
	s_delay_alu instid0(SALU_CYCLE_1)
	s_or_b32 exec_lo, exec_lo, s16
.LBB294_1544:                           ;   in Loop: Header=BB294_934 Depth=1
	s_delay_alu instid0(SALU_CYCLE_1) | instskip(SKIP_3) | instid1(VALU_DEP_2)
	s_or_b32 exec_lo, exec_lo, s15
	v_dual_mov_b32 v19, 0 :: v_dual_lshrrev_b32 v6, 16, v32
	v_mov_b32_e32 v22, 0
	s_mov_b32 s15, exec_lo
	v_and_b32_e32 v23, 0xff, v6
	s_delay_alu instid0(VALU_DEP_1)
	v_cmpx_ne_u16_e32 0, v23
	s_cbranch_execz .LBB294_1552
; %bb.1545:                             ;   in Loop: Header=BB294_934 Depth=1
	v_mov_b32_e32 v22, 0x8000
	s_mov_b32 s16, exec_lo
	v_cmpx_ne_u16_e32 0x80, v23
	s_cbranch_execz .LBB294_1551
; %bb.1546:                             ;   in Loop: Header=BB294_934 Depth=1
	v_bfe_u32 v31, v32, 16, 7
	v_mov_b32_e32 v22, 0x7c01
	s_mov_b32 s17, exec_lo
	s_delay_alu instid0(VALU_DEP_2)
	v_cmpx_ne_u32_e32 0x7f, v31
	s_cbranch_execz .LBB294_1550
; %bb.1547:                             ;   in Loop: Header=BB294_934 Depth=1
	v_dual_lshrrev_b32 v23, 3, v31 :: v_dual_bitop2_b32 v22, 7, v6 bitop3:0x40
	s_mov_b32 s18, exec_lo
	v_cmpx_gt_u32_e32 8, v31
; %bb.1548:                             ;   in Loop: Header=BB294_934 Depth=1
	s_delay_alu instid0(VALU_DEP_2) | instskip(NEXT) | instid1(VALU_DEP_1)
	v_clz_i32_u32_e32 v22, v22
	v_min_u32_e32 v31, 32, v22
	s_delay_alu instid0(VALU_DEP_1) | instskip(NEXT) | instid1(VALU_DEP_1)
	v_subrev_nc_u32_e32 v22, 28, v31
	v_lshlrev_b64_e32 v[22:23], v22, v[6:7]
	s_delay_alu instid0(VALU_DEP_1)
	v_dual_sub_nc_u32 v23, 29, v31 :: v_dual_bitop2_b32 v22, 7, v22 bitop3:0x40
; %bb.1549:                             ;   in Loop: Header=BB294_934 Depth=1
	s_or_b32 exec_lo, exec_lo, s18
	v_lshlrev_b32_e32 v6, 8, v6
	s_delay_alu instid0(VALU_DEP_2) | instskip(NEXT) | instid1(VALU_DEP_3)
	v_lshl_add_u32 v23, v23, 10, 0x2000
	v_lshlrev_b32_e32 v22, 7, v22
	s_delay_alu instid0(VALU_DEP_3) | instskip(NEXT) | instid1(VALU_DEP_3)
	v_and_b32_e32 v6, 0x8000, v6
	v_and_b32_e32 v23, 0xfc00, v23
	s_delay_alu instid0(VALU_DEP_1)
	v_or3_b32 v22, v6, v23, v22
.LBB294_1550:                           ;   in Loop: Header=BB294_934 Depth=1
	s_or_b32 exec_lo, exec_lo, s17
.LBB294_1551:                           ;   in Loop: Header=BB294_934 Depth=1
	s_delay_alu instid0(SALU_CYCLE_1)
	s_or_b32 exec_lo, exec_lo, s16
.LBB294_1552:                           ;   in Loop: Header=BB294_934 Depth=1
	s_delay_alu instid0(SALU_CYCLE_1) | instskip(NEXT) | instid1(SALU_CYCLE_1)
	s_or_b32 exec_lo, exec_lo, s15
	s_mov_b32 s15, exec_lo
	v_cmpx_lt_u32_e32 0xffffff, v32
	s_cbranch_execz .LBB294_1560
; %bb.1553:                             ;   in Loop: Header=BB294_934 Depth=1
	v_lshrrev_b32_e32 v6, 24, v32
	v_bfrev_b32_e32 v19, 1
	s_mov_b32 s16, exec_lo
	s_delay_alu instid0(VALU_DEP_2)
	v_cmpx_ne_u32_e32 0x80, v6
	s_cbranch_execz .LBB294_1559
; %bb.1554:                             ;   in Loop: Header=BB294_934 Depth=1
	v_and_b32_e32 v31, 0x7f, v6
	v_mov_b32_e32 v19, 0x7c010000
	s_mov_b32 s17, exec_lo
	s_delay_alu instid0(VALU_DEP_2)
	v_cmpx_ne_u32_e32 0x7f, v31
	s_cbranch_execz .LBB294_1558
; %bb.1555:                             ;   in Loop: Header=BB294_934 Depth=1
	v_dual_lshrrev_b32 v23, 3, v31 :: v_dual_bitop2_b32 v19, 7, v6 bitop3:0x40
	s_mov_b32 s18, exec_lo
	v_cmpx_gt_u32_e32 8, v31
; %bb.1556:                             ;   in Loop: Header=BB294_934 Depth=1
	s_delay_alu instid0(VALU_DEP_2) | instskip(NEXT) | instid1(VALU_DEP_1)
	v_clz_i32_u32_e32 v19, v19
	v_min_u32_e32 v19, 32, v19
	s_delay_alu instid0(VALU_DEP_1) | instskip(NEXT) | instid1(VALU_DEP_1)
	v_subrev_nc_u32_e32 v23, 28, v19
	v_lshlrev_b64_e32 v[34:35], v23, v[6:7]
	s_delay_alu instid0(VALU_DEP_1)
	v_dual_sub_nc_u32 v23, 29, v19 :: v_dual_bitop2_b32 v19, 7, v34 bitop3:0x40
; %bb.1557:                             ;   in Loop: Header=BB294_934 Depth=1
	s_or_b32 exec_lo, exec_lo, s18
	s_delay_alu instid0(VALU_DEP_1) | instskip(NEXT) | instid1(VALU_DEP_2)
	v_dual_lshlrev_b32 v6, 8, v6 :: v_dual_lshlrev_b32 v19, 23, v19
	v_lshl_add_u32 v23, v23, 10, 0x2000
	s_delay_alu instid0(VALU_DEP_1) | instskip(NEXT) | instid1(VALU_DEP_1)
	v_and_or_b32 v6, 0x8000, v6, v23
	v_lshl_or_b32 v19, v6, 16, v19
.LBB294_1558:                           ;   in Loop: Header=BB294_934 Depth=1
	s_or_b32 exec_lo, exec_lo, s17
.LBB294_1559:                           ;   in Loop: Header=BB294_934 Depth=1
	s_delay_alu instid0(SALU_CYCLE_1)
	s_or_b32 exec_lo, exec_lo, s16
.LBB294_1560:                           ;   in Loop: Header=BB294_934 Depth=1
	s_delay_alu instid0(SALU_CYCLE_1) | instskip(SKIP_4) | instid1(VALU_DEP_3)
	s_or_b32 exec_lo, exec_lo, s15
	v_and_b32_e32 v34, 0xff, v33
	v_dual_mov_b32 v6, v33 :: v_dual_mov_b32 v31, 0
	v_mov_b32_e32 v23, 0
	s_mov_b32 s15, exec_lo
	v_cmpx_ne_u16_e32 0, v34
	s_cbranch_execz .LBB294_1568
; %bb.1561:                             ;   in Loop: Header=BB294_934 Depth=1
	v_mov_b32_e32 v23, 0x8000
	s_mov_b32 s16, exec_lo
	v_cmpx_ne_u16_e32 0x80, v34
	s_cbranch_execz .LBB294_1567
; %bb.1562:                             ;   in Loop: Header=BB294_934 Depth=1
	v_and_b32_e32 v35, 0x7f, v33
	v_mov_b32_e32 v23, 0x7c01
	s_mov_b32 s17, exec_lo
	s_delay_alu instid0(VALU_DEP_2)
	v_cmpx_ne_u32_e32 0x7f, v35
	s_cbranch_execz .LBB294_1566
; %bb.1563:                             ;   in Loop: Header=BB294_934 Depth=1
	v_dual_lshrrev_b32 v34, 3, v35 :: v_dual_bitop2_b32 v23, 7, v33 bitop3:0x40
	s_mov_b32 s18, exec_lo
	v_cmpx_gt_u32_e32 8, v35
; %bb.1564:                             ;   in Loop: Header=BB294_934 Depth=1
	s_delay_alu instid0(VALU_DEP_2) | instskip(NEXT) | instid1(VALU_DEP_1)
	v_clz_i32_u32_e32 v23, v23
	v_min_u32_e32 v23, 32, v23
	s_delay_alu instid0(VALU_DEP_1) | instskip(NEXT) | instid1(VALU_DEP_1)
	v_subrev_nc_u32_e32 v34, 28, v23
	v_lshlrev_b64_e32 v[36:37], v34, v[6:7]
	s_delay_alu instid0(VALU_DEP_1)
	v_dual_sub_nc_u32 v34, 29, v23 :: v_dual_bitop2_b32 v23, 7, v36 bitop3:0x40
; %bb.1565:                             ;   in Loop: Header=BB294_934 Depth=1
	s_or_b32 exec_lo, exec_lo, s18
	s_delay_alu instid0(VALU_DEP_1) | instskip(NEXT) | instid1(VALU_DEP_2)
	v_dual_lshlrev_b32 v35, 8, v33 :: v_dual_lshlrev_b32 v23, 7, v23
	v_lshl_add_u32 v34, v34, 10, 0x2000
	s_delay_alu instid0(VALU_DEP_2) | instskip(NEXT) | instid1(VALU_DEP_2)
	v_and_b32_e32 v35, 0x8000, v35
	v_and_b32_e32 v34, 0xfc00, v34
	s_delay_alu instid0(VALU_DEP_1)
	v_or3_b32 v23, v35, v34, v23
.LBB294_1566:                           ;   in Loop: Header=BB294_934 Depth=1
	s_or_b32 exec_lo, exec_lo, s17
.LBB294_1567:                           ;   in Loop: Header=BB294_934 Depth=1
	s_delay_alu instid0(SALU_CYCLE_1)
	s_or_b32 exec_lo, exec_lo, s16
.LBB294_1568:                           ;   in Loop: Header=BB294_934 Depth=1
	s_delay_alu instid0(SALU_CYCLE_1) | instskip(SKIP_3) | instid1(VALU_DEP_2)
	s_or_b32 exec_lo, exec_lo, s15
	v_lshrrev_b16 v6, 8, v6
	v_mov_b32_e32 v34, 0
	s_mov_b32 s15, exec_lo
	v_cmpx_ne_u16_e32 0, v6
	s_cbranch_execz .LBB294_1576
; %bb.1569:                             ;   in Loop: Header=BB294_934 Depth=1
	v_bfrev_b32_e32 v34, 1
	s_mov_b32 s16, exec_lo
	v_cmpx_ne_u16_e32 0x80, v6
	s_cbranch_execz .LBB294_1575
; %bb.1570:                             ;   in Loop: Header=BB294_934 Depth=1
	v_and_b32_e32 v35, 0xffff, v6
	v_mov_b32_e32 v34, 0x7c010000
	s_mov_b32 s17, exec_lo
	s_delay_alu instid0(VALU_DEP_2) | instskip(NEXT) | instid1(VALU_DEP_1)
	v_and_b32_e32 v37, 0x7f, v35
	v_cmpx_ne_u32_e32 0x7f, v37
	s_cbranch_execz .LBB294_1574
; %bb.1571:                             ;   in Loop: Header=BB294_934 Depth=1
	v_dual_lshrrev_b32 v36, 3, v37 :: v_dual_bitop2_b32 v34, 7, v35 bitop3:0x40
	s_mov_b32 s18, exec_lo
	v_cmpx_gt_u32_e32 8, v37
; %bb.1572:                             ;   in Loop: Header=BB294_934 Depth=1
	s_delay_alu instid0(VALU_DEP_2) | instskip(NEXT) | instid1(VALU_DEP_1)
	v_clz_i32_u32_e32 v34, v34
	v_min_u32_e32 v34, 32, v34
	s_delay_alu instid0(VALU_DEP_1) | instskip(NEXT) | instid1(VALU_DEP_1)
	v_subrev_nc_u32_e32 v36, 28, v34
	v_lshlrev_b64_e32 v[38:39], v36, v[6:7]
	v_sub_nc_u32_e32 v36, 29, v34
	s_delay_alu instid0(VALU_DEP_2)
	v_and_b32_e32 v34, 7, v38
; %bb.1573:                             ;   in Loop: Header=BB294_934 Depth=1
	s_or_b32 exec_lo, exec_lo, s18
	s_delay_alu instid0(VALU_DEP_1) | instskip(NEXT) | instid1(VALU_DEP_3)
	v_dual_lshlrev_b32 v6, 8, v35 :: v_dual_lshlrev_b32 v34, 23, v34
	v_lshl_add_u32 v35, v36, 10, 0x2000
	s_delay_alu instid0(VALU_DEP_1) | instskip(NEXT) | instid1(VALU_DEP_1)
	v_and_or_b32 v6, 0x8000, v6, v35
	v_lshl_or_b32 v34, v6, 16, v34
.LBB294_1574:                           ;   in Loop: Header=BB294_934 Depth=1
	s_or_b32 exec_lo, exec_lo, s17
.LBB294_1575:                           ;   in Loop: Header=BB294_934 Depth=1
	s_delay_alu instid0(SALU_CYCLE_1)
	s_or_b32 exec_lo, exec_lo, s16
.LBB294_1576:                           ;   in Loop: Header=BB294_934 Depth=1
	s_delay_alu instid0(SALU_CYCLE_1) | instskip(SKIP_2) | instid1(VALU_DEP_1)
	s_or_b32 exec_lo, exec_lo, s15
	v_lshrrev_b32_e32 v6, 16, v33
	s_mov_b32 s15, exec_lo
	v_and_b32_e32 v35, 0xff, v6
	s_delay_alu instid0(VALU_DEP_1)
	v_cmpx_ne_u16_e32 0, v35
	s_cbranch_execz .LBB294_1584
; %bb.1577:                             ;   in Loop: Header=BB294_934 Depth=1
	v_mov_b32_e32 v31, 0x8000
	s_mov_b32 s16, exec_lo
	v_cmpx_ne_u16_e32 0x80, v35
	s_cbranch_execz .LBB294_1583
; %bb.1578:                             ;   in Loop: Header=BB294_934 Depth=1
	v_bfe_u32 v36, v33, 16, 7
	v_mov_b32_e32 v31, 0x7c01
	s_mov_b32 s17, exec_lo
	s_delay_alu instid0(VALU_DEP_2)
	v_cmpx_ne_u32_e32 0x7f, v36
	s_cbranch_execz .LBB294_1582
; %bb.1579:                             ;   in Loop: Header=BB294_934 Depth=1
	v_dual_lshrrev_b32 v35, 3, v36 :: v_dual_bitop2_b32 v31, 7, v6 bitop3:0x40
	s_mov_b32 s18, exec_lo
	v_cmpx_gt_u32_e32 8, v36
; %bb.1580:                             ;   in Loop: Header=BB294_934 Depth=1
	s_delay_alu instid0(VALU_DEP_2) | instskip(NEXT) | instid1(VALU_DEP_1)
	v_clz_i32_u32_e32 v31, v31
	v_min_u32_e32 v31, 32, v31
	s_delay_alu instid0(VALU_DEP_1) | instskip(NEXT) | instid1(VALU_DEP_1)
	v_subrev_nc_u32_e32 v35, 28, v31
	v_lshlrev_b64_e32 v[36:37], v35, v[6:7]
	s_delay_alu instid0(VALU_DEP_1)
	v_dual_sub_nc_u32 v35, 29, v31 :: v_dual_bitop2_b32 v31, 7, v36 bitop3:0x40
; %bb.1581:                             ;   in Loop: Header=BB294_934 Depth=1
	s_or_b32 exec_lo, exec_lo, s18
	s_delay_alu instid0(VALU_DEP_1) | instskip(NEXT) | instid1(VALU_DEP_2)
	v_dual_lshlrev_b32 v6, 8, v6 :: v_dual_lshlrev_b32 v31, 7, v31
	v_lshl_add_u32 v35, v35, 10, 0x2000
	s_delay_alu instid0(VALU_DEP_2) | instskip(NEXT) | instid1(VALU_DEP_2)
	v_and_b32_e32 v6, 0x8000, v6
	v_and_b32_e32 v35, 0xfc00, v35
	s_delay_alu instid0(VALU_DEP_1)
	v_or3_b32 v31, v6, v35, v31
.LBB294_1582:                           ;   in Loop: Header=BB294_934 Depth=1
	s_or_b32 exec_lo, exec_lo, s17
.LBB294_1583:                           ;   in Loop: Header=BB294_934 Depth=1
	s_delay_alu instid0(SALU_CYCLE_1)
	s_or_b32 exec_lo, exec_lo, s16
.LBB294_1584:                           ;   in Loop: Header=BB294_934 Depth=1
	s_delay_alu instid0(SALU_CYCLE_1)
	s_or_b32 exec_lo, exec_lo, s15
	v_cmp_lt_u64_e64 s0, s[2:3], v[32:33]
	v_mov_b32_e32 v32, 0
	s_and_saveexec_b32 s15, s0
	s_cbranch_execz .LBB294_1592
; %bb.1585:                             ;   in Loop: Header=BB294_934 Depth=1
	v_lshrrev_b32_e32 v6, 24, v33
	v_bfrev_b32_e32 v32, 1
	s_mov_b32 s16, exec_lo
	s_delay_alu instid0(VALU_DEP_2)
	v_cmpx_ne_u32_e32 0x80, v6
	s_cbranch_execz .LBB294_1591
; %bb.1586:                             ;   in Loop: Header=BB294_934 Depth=1
	v_and_b32_e32 v35, 0x7f, v6
	v_mov_b32_e32 v32, 0x7c010000
	s_mov_b32 s17, exec_lo
	s_delay_alu instid0(VALU_DEP_2)
	v_cmpx_ne_u32_e32 0x7f, v35
	s_cbranch_execz .LBB294_1590
; %bb.1587:                             ;   in Loop: Header=BB294_934 Depth=1
	v_dual_lshrrev_b32 v33, 3, v35 :: v_dual_bitop2_b32 v32, 7, v6 bitop3:0x40
	s_mov_b32 s18, exec_lo
	v_cmpx_gt_u32_e32 8, v35
; %bb.1588:                             ;   in Loop: Header=BB294_934 Depth=1
	s_delay_alu instid0(VALU_DEP_2) | instskip(NEXT) | instid1(VALU_DEP_1)
	v_clz_i32_u32_e32 v32, v32
	v_min_u32_e32 v35, 32, v32
	s_delay_alu instid0(VALU_DEP_1) | instskip(NEXT) | instid1(VALU_DEP_1)
	v_subrev_nc_u32_e32 v32, 28, v35
	v_lshlrev_b64_e32 v[32:33], v32, v[6:7]
	s_delay_alu instid0(VALU_DEP_1)
	v_dual_sub_nc_u32 v33, 29, v35 :: v_dual_bitop2_b32 v32, 7, v32 bitop3:0x40
; %bb.1589:                             ;   in Loop: Header=BB294_934 Depth=1
	s_or_b32 exec_lo, exec_lo, s18
	s_delay_alu instid0(VALU_DEP_1) | instskip(NEXT) | instid1(VALU_DEP_2)
	v_dual_lshlrev_b32 v6, 8, v6 :: v_dual_lshlrev_b32 v32, 23, v32
	v_lshl_add_u32 v33, v33, 10, 0x2000
	s_delay_alu instid0(VALU_DEP_1) | instskip(NEXT) | instid1(VALU_DEP_1)
	v_and_or_b32 v6, 0x8000, v6, v33
	v_lshl_or_b32 v32, v6, 16, v32
.LBB294_1590:                           ;   in Loop: Header=BB294_934 Depth=1
	s_or_b32 exec_lo, exec_lo, s17
.LBB294_1591:                           ;   in Loop: Header=BB294_934 Depth=1
	s_delay_alu instid0(SALU_CYCLE_1)
	s_or_b32 exec_lo, exec_lo, s16
.LBB294_1592:                           ;   in Loop: Header=BB294_934 Depth=1
	s_delay_alu instid0(SALU_CYCLE_1) | instskip(SKIP_4) | instid1(VALU_DEP_4)
	s_or_b32 exec_lo, exec_lo, s15
	v_dual_lshrrev_b32 v6, 16, v1 :: v_dual_lshrrev_b32 v33, 16, v19
	v_or_b32_e32 v1, v1, v18
	v_or_b32_e32 v22, v19, v22
	;; [unrolled: 1-line block ×3, first 2 shown]
	v_cvt_f32_f16_e32 v19, v6
	v_cvt_f32_f16_e32 v18, v33
	v_dual_lshrrev_b32 v31, 16, v34 :: v_dual_bitop2_b32 v6, v32, v31 bitop3:0x54
	v_lshrrev_b32_e32 v32, 16, v32
	v_cvt_f32_f16_e32 v23, v1
	s_delay_alu instid0(VALU_DEP_3) | instskip(SKIP_4) | instid1(VALU_DEP_3)
	v_cvt_f32_f16_e32 v34, v6
	s_wait_loadcnt_dscnt 0x0
	v_pk_mul_f32 v[18:19], v[30:31], v[18:19] op_sel_hi:[0,1]
	v_cvt_f32_f16_e32 v33, v31
	v_cvt_f32_f16_e32 v32, v32
	v_cvt_pk_f16_f32 v1, v18, v19
	s_delay_alu instid0(VALU_DEP_2) | instskip(NEXT) | instid1(VALU_DEP_2)
	v_pk_mul_f32 v[18:19], v[30:31], v[32:33] op_sel_hi:[0,1]
	v_lshlrev_b32_e32 v32, 16, v1
	v_cvt_f32_f16_e32 v22, v22
	v_and_b32_e32 v33, 0xffff0000, v1
	s_delay_alu instid0(VALU_DEP_4) | instskip(NEXT) | instid1(VALU_DEP_3)
	v_cvt_pk_f16_f32 v18, v18, v19
	v_pk_mul_f32 v[22:23], v[30:31], v[22:23] op_sel_hi:[0,1]
	s_delay_alu instid0(VALU_DEP_2) | instskip(NEXT) | instid1(VALU_DEP_2)
	v_and_b32_e32 v19, 0xffff0000, v18
	v_cvt_pk_f16_f32 v6, v22, v23
	s_delay_alu instid0(VALU_DEP_1) | instskip(SKIP_2) | instid1(VALU_DEP_3)
	v_lshrrev_b32_e32 v39, 16, v6
	v_cvt_f32_f16_e32 v35, v35
	v_and_b32_e32 v38, 0xffff, v6
	v_or_b32_e32 v37, v33, v39
	s_delay_alu instid0(VALU_DEP_3) | instskip(NEXT) | instid1(VALU_DEP_3)
	v_pk_mul_f32 v[30:31], v[30:31], v[34:35] op_sel_hi:[0,1]
	v_or_b32_e32 v36, v32, v38
	s_delay_alu instid0(VALU_DEP_2) | instskip(NEXT) | instid1(VALU_DEP_1)
	v_cvt_pk_f16_f32 v1, v30, v31
	v_dual_lshlrev_b32 v6, 16, v18 :: v_dual_lshrrev_b32 v31, 16, v1
	v_and_b32_e32 v30, 0xffff, v1
	s_delay_alu instid0(VALU_DEP_2) | instskip(NEXT) | instid1(VALU_DEP_2)
	v_or_b32_e32 v35, v19, v31
	v_or_b32_e32 v34, v6, v30
	s_and_saveexec_b32 s15, vcc_lo
	s_cbranch_execz .LBB294_1594
; %bb.1593:                             ;   in Loop: Header=BB294_934 Depth=1
	v_cmp_lt_i32_e64 s0, v52, v13
	s_delay_alu instid0(VALU_DEP_1) | instskip(SKIP_1) | instid1(VALU_DEP_1)
	v_cndmask_b32_e64 v1, 0, v39, s0
	v_cmp_lt_i32_e64 s0, v68, v124
	v_cndmask_b32_e64 v18, 0, v38, s0
	v_cmp_lt_i32_e64 s0, v67, v13
	s_delay_alu instid0(VALU_DEP_1) | instskip(SKIP_1) | instid1(VALU_DEP_1)
	v_cndmask_b32_e64 v22, 0, v33, s0
	v_cmp_lt_i32_e64 s0, v66, v124
	v_cndmask_b32_e64 v23, 0, v32, s0
	v_cmp_lt_i32_e64 s0, v65, v13
	s_delay_alu instid0(VALU_DEP_4) | instskip(NEXT) | instid1(VALU_DEP_3)
	v_or_b32_e32 v37, v1, v22
	v_or_b32_e32 v36, v18, v23
	s_delay_alu instid0(VALU_DEP_3) | instskip(SKIP_1) | instid1(VALU_DEP_1)
	v_cndmask_b32_e64 v31, 0, v31, s0
	v_cmp_lt_i32_e64 s0, v64, v124
	v_cndmask_b32_e64 v30, 0, v30, s0
	v_cmp_lt_i32_e64 s0, v55, v13
	s_delay_alu instid0(VALU_DEP_1) | instskip(SKIP_1) | instid1(VALU_DEP_1)
	v_cndmask_b32_e64 v19, 0, v19, s0
	v_cmp_lt_i32_e64 s0, v0, v124
	v_dual_cndmask_b32 v6, 0, v6, s0 :: v_dual_bitop2_b32 v35, v31, v19 bitop3:0x54
	s_delay_alu instid0(VALU_DEP_1)
	v_or_b32_e32 v34, v30, v6
.LBB294_1594:                           ;   in Loop: Header=BB294_934 Depth=1
	s_or_b32 exec_lo, exec_lo, s15
	;;#ASMSTART
	v_pk_mul_f16 v1, v80, v37;

	;;#ASMEND
	;;#ASMSTART
	v_pk_mul_f16 v6, v71, v36;

	;;#ASMEND
	;; [unrolled: 4-line block ×4, first 2 shown]
	;;#ASMSTART
	v_pk_add_f16 v1, v1, v6;

	;;#ASMEND
	;;#ASMSTART
	v_pk_add_f16 v1, v1, v18;

	;;#ASMEND
	;; [unrolled: 4-line block ×3, first 2 shown]
	v_and_b32_e32 v6, 0xffff, v1
	v_lshrrev_b32_e32 v1, 16, v1
	;;#ASMSTART
	v_cvt_f32_f16 v115, v6;
	;;#ASMEND
	;;#ASMSTART
	v_cvt_f32_f16 v116, v1;
	;;#ASMEND
	flat_load_b64 v[32:33], v[14:15] offset:2560
	scratch_load_b64 v[18:19], off, s32 offset:192 ; 8-byte Folded Reload
	v_mov_b32_e32 v1, 0
	s_mov_b32 s15, exec_lo
	s_wait_loadcnt_dscnt 0x100
	v_and_b32_e32 v6, 0xff, v32
	s_wait_loadcnt 0x0
	flat_load_b32 v30, v[18:19]
	s_wait_xcnt 0x0
	v_mov_b32_e32 v18, 0
	v_cmpx_ne_u16_e32 0, v6
	s_cbranch_execz .LBB294_1602
; %bb.1595:                             ;   in Loop: Header=BB294_934 Depth=1
	v_mov_b32_e32 v18, 0x8000
	s_mov_b32 s16, exec_lo
	v_cmpx_ne_u16_e32 0x80, v6
	s_cbranch_execz .LBB294_1601
; %bb.1596:                             ;   in Loop: Header=BB294_934 Depth=1
	v_and_b32_e32 v19, 0x7f, v32
	v_mov_b32_e32 v18, 0x7c01
	s_mov_b32 s17, exec_lo
	s_delay_alu instid0(VALU_DEP_2)
	v_cmpx_ne_u32_e32 0x7f, v19
	s_cbranch_execz .LBB294_1600
; %bb.1597:                             ;   in Loop: Header=BB294_934 Depth=1
	v_dual_lshrrev_b32 v18, 3, v19 :: v_dual_bitop2_b32 v6, 7, v32 bitop3:0x40
	s_mov_b32 s18, exec_lo
	v_cmpx_gt_u32_e32 8, v19
; %bb.1598:                             ;   in Loop: Header=BB294_934 Depth=1
	s_delay_alu instid0(VALU_DEP_2) | instskip(NEXT) | instid1(VALU_DEP_1)
	v_clz_i32_u32_e32 v6, v6
	v_min_u32_e32 v6, 32, v6
	s_delay_alu instid0(VALU_DEP_1) | instskip(NEXT) | instid1(VALU_DEP_1)
	v_subrev_nc_u32_e32 v18, 28, v6
	v_lshlrev_b64_e32 v[22:23], v18, v[32:33]
	v_sub_nc_u32_e32 v18, 29, v6
	s_delay_alu instid0(VALU_DEP_2)
	v_and_b32_e32 v6, 7, v22
; %bb.1599:                             ;   in Loop: Header=BB294_934 Depth=1
	s_or_b32 exec_lo, exec_lo, s18
	s_delay_alu instid0(VALU_DEP_1) | instskip(NEXT) | instid1(VALU_DEP_3)
	v_dual_lshlrev_b32 v19, 8, v32 :: v_dual_lshlrev_b32 v6, 7, v6
	v_lshl_add_u32 v18, v18, 10, 0x2000
	s_delay_alu instid0(VALU_DEP_2) | instskip(NEXT) | instid1(VALU_DEP_2)
	v_and_b32_e32 v19, 0x8000, v19
	v_and_b32_e32 v18, 0xfc00, v18
	s_delay_alu instid0(VALU_DEP_1)
	v_or3_b32 v18, v19, v18, v6
.LBB294_1600:                           ;   in Loop: Header=BB294_934 Depth=1
	s_or_b32 exec_lo, exec_lo, s17
.LBB294_1601:                           ;   in Loop: Header=BB294_934 Depth=1
	s_delay_alu instid0(SALU_CYCLE_1)
	s_or_b32 exec_lo, exec_lo, s16
.LBB294_1602:                           ;   in Loop: Header=BB294_934 Depth=1
	s_delay_alu instid0(SALU_CYCLE_1) | instskip(SKIP_2) | instid1(VALU_DEP_1)
	s_or_b32 exec_lo, exec_lo, s15
	v_lshrrev_b16 v6, 8, v32
	s_mov_b32 s15, exec_lo
	v_cmpx_ne_u16_e32 0, v6
	s_cbranch_execz .LBB294_1610
; %bb.1603:                             ;   in Loop: Header=BB294_934 Depth=1
	v_bfrev_b32_e32 v1, 1
	s_mov_b32 s16, exec_lo
	v_cmpx_ne_u16_e32 0x80, v6
	s_cbranch_execz .LBB294_1609
; %bb.1604:                             ;   in Loop: Header=BB294_934 Depth=1
	v_and_b32_e32 v19, 0xffff, v6
	v_mov_b32_e32 v1, 0x7c010000
	s_mov_b32 s17, exec_lo
	s_delay_alu instid0(VALU_DEP_2) | instskip(NEXT) | instid1(VALU_DEP_1)
	v_and_b32_e32 v23, 0x7f, v19
	v_cmpx_ne_u32_e32 0x7f, v23
	s_cbranch_execz .LBB294_1608
; %bb.1605:                             ;   in Loop: Header=BB294_934 Depth=1
	v_and_b32_e32 v1, 7, v19
	v_lshrrev_b32_e32 v22, 3, v23
	s_mov_b32 s18, exec_lo
	v_cmpx_gt_u32_e32 8, v23
; %bb.1606:                             ;   in Loop: Header=BB294_934 Depth=1
	s_delay_alu instid0(VALU_DEP_3) | instskip(NEXT) | instid1(VALU_DEP_1)
	v_clz_i32_u32_e32 v1, v1
	v_min_u32_e32 v1, 32, v1
	s_delay_alu instid0(VALU_DEP_1) | instskip(NEXT) | instid1(VALU_DEP_1)
	v_subrev_nc_u32_e32 v22, 28, v1
	v_lshlrev_b64_e32 v[34:35], v22, v[6:7]
	s_delay_alu instid0(VALU_DEP_1)
	v_dual_sub_nc_u32 v22, 29, v1 :: v_dual_bitop2_b32 v1, 7, v34 bitop3:0x40
; %bb.1607:                             ;   in Loop: Header=BB294_934 Depth=1
	s_or_b32 exec_lo, exec_lo, s18
	s_delay_alu instid0(VALU_DEP_1) | instskip(NEXT) | instid1(VALU_DEP_2)
	v_dual_lshlrev_b32 v6, 8, v19 :: v_dual_lshlrev_b32 v1, 23, v1
	v_lshl_add_u32 v19, v22, 10, 0x2000
	s_delay_alu instid0(VALU_DEP_1) | instskip(NEXT) | instid1(VALU_DEP_1)
	v_and_or_b32 v6, 0x8000, v6, v19
	v_lshl_or_b32 v1, v6, 16, v1
.LBB294_1608:                           ;   in Loop: Header=BB294_934 Depth=1
	s_or_b32 exec_lo, exec_lo, s17
.LBB294_1609:                           ;   in Loop: Header=BB294_934 Depth=1
	s_delay_alu instid0(SALU_CYCLE_1)
	s_or_b32 exec_lo, exec_lo, s16
.LBB294_1610:                           ;   in Loop: Header=BB294_934 Depth=1
	s_delay_alu instid0(SALU_CYCLE_1) | instskip(SKIP_3) | instid1(VALU_DEP_2)
	s_or_b32 exec_lo, exec_lo, s15
	v_dual_mov_b32 v19, 0 :: v_dual_lshrrev_b32 v6, 16, v32
	v_mov_b32_e32 v22, 0
	s_mov_b32 s15, exec_lo
	v_and_b32_e32 v23, 0xff, v6
	s_delay_alu instid0(VALU_DEP_1)
	v_cmpx_ne_u16_e32 0, v23
	s_cbranch_execz .LBB294_1618
; %bb.1611:                             ;   in Loop: Header=BB294_934 Depth=1
	v_mov_b32_e32 v22, 0x8000
	s_mov_b32 s16, exec_lo
	v_cmpx_ne_u16_e32 0x80, v23
	s_cbranch_execz .LBB294_1617
; %bb.1612:                             ;   in Loop: Header=BB294_934 Depth=1
	v_bfe_u32 v31, v32, 16, 7
	v_mov_b32_e32 v22, 0x7c01
	s_mov_b32 s17, exec_lo
	s_delay_alu instid0(VALU_DEP_2)
	v_cmpx_ne_u32_e32 0x7f, v31
	s_cbranch_execz .LBB294_1616
; %bb.1613:                             ;   in Loop: Header=BB294_934 Depth=1
	v_dual_lshrrev_b32 v23, 3, v31 :: v_dual_bitop2_b32 v22, 7, v6 bitop3:0x40
	s_mov_b32 s18, exec_lo
	v_cmpx_gt_u32_e32 8, v31
; %bb.1614:                             ;   in Loop: Header=BB294_934 Depth=1
	s_delay_alu instid0(VALU_DEP_2) | instskip(NEXT) | instid1(VALU_DEP_1)
	v_clz_i32_u32_e32 v22, v22
	v_min_u32_e32 v31, 32, v22
	s_delay_alu instid0(VALU_DEP_1) | instskip(NEXT) | instid1(VALU_DEP_1)
	v_subrev_nc_u32_e32 v22, 28, v31
	v_lshlrev_b64_e32 v[22:23], v22, v[6:7]
	s_delay_alu instid0(VALU_DEP_1)
	v_dual_sub_nc_u32 v23, 29, v31 :: v_dual_bitop2_b32 v22, 7, v22 bitop3:0x40
; %bb.1615:                             ;   in Loop: Header=BB294_934 Depth=1
	s_or_b32 exec_lo, exec_lo, s18
	v_lshlrev_b32_e32 v6, 8, v6
	s_delay_alu instid0(VALU_DEP_2) | instskip(NEXT) | instid1(VALU_DEP_3)
	v_lshl_add_u32 v23, v23, 10, 0x2000
	v_lshlrev_b32_e32 v22, 7, v22
	s_delay_alu instid0(VALU_DEP_3) | instskip(NEXT) | instid1(VALU_DEP_3)
	v_and_b32_e32 v6, 0x8000, v6
	v_and_b32_e32 v23, 0xfc00, v23
	s_delay_alu instid0(VALU_DEP_1)
	v_or3_b32 v22, v6, v23, v22
.LBB294_1616:                           ;   in Loop: Header=BB294_934 Depth=1
	s_or_b32 exec_lo, exec_lo, s17
.LBB294_1617:                           ;   in Loop: Header=BB294_934 Depth=1
	s_delay_alu instid0(SALU_CYCLE_1)
	s_or_b32 exec_lo, exec_lo, s16
.LBB294_1618:                           ;   in Loop: Header=BB294_934 Depth=1
	s_delay_alu instid0(SALU_CYCLE_1) | instskip(NEXT) | instid1(SALU_CYCLE_1)
	s_or_b32 exec_lo, exec_lo, s15
	s_mov_b32 s15, exec_lo
	v_cmpx_lt_u32_e32 0xffffff, v32
	s_cbranch_execz .LBB294_1626
; %bb.1619:                             ;   in Loop: Header=BB294_934 Depth=1
	v_lshrrev_b32_e32 v6, 24, v32
	v_bfrev_b32_e32 v19, 1
	s_mov_b32 s16, exec_lo
	s_delay_alu instid0(VALU_DEP_2)
	v_cmpx_ne_u32_e32 0x80, v6
	s_cbranch_execz .LBB294_1625
; %bb.1620:                             ;   in Loop: Header=BB294_934 Depth=1
	v_and_b32_e32 v31, 0x7f, v6
	v_mov_b32_e32 v19, 0x7c010000
	s_mov_b32 s17, exec_lo
	s_delay_alu instid0(VALU_DEP_2)
	v_cmpx_ne_u32_e32 0x7f, v31
	s_cbranch_execz .LBB294_1624
; %bb.1621:                             ;   in Loop: Header=BB294_934 Depth=1
	v_dual_lshrrev_b32 v23, 3, v31 :: v_dual_bitop2_b32 v19, 7, v6 bitop3:0x40
	s_mov_b32 s18, exec_lo
	v_cmpx_gt_u32_e32 8, v31
; %bb.1622:                             ;   in Loop: Header=BB294_934 Depth=1
	s_delay_alu instid0(VALU_DEP_2) | instskip(NEXT) | instid1(VALU_DEP_1)
	v_clz_i32_u32_e32 v19, v19
	v_min_u32_e32 v19, 32, v19
	s_delay_alu instid0(VALU_DEP_1) | instskip(NEXT) | instid1(VALU_DEP_1)
	v_subrev_nc_u32_e32 v23, 28, v19
	v_lshlrev_b64_e32 v[34:35], v23, v[6:7]
	s_delay_alu instid0(VALU_DEP_1)
	v_dual_sub_nc_u32 v23, 29, v19 :: v_dual_bitop2_b32 v19, 7, v34 bitop3:0x40
; %bb.1623:                             ;   in Loop: Header=BB294_934 Depth=1
	s_or_b32 exec_lo, exec_lo, s18
	s_delay_alu instid0(VALU_DEP_1) | instskip(NEXT) | instid1(VALU_DEP_2)
	v_dual_lshlrev_b32 v6, 8, v6 :: v_dual_lshlrev_b32 v19, 23, v19
	v_lshl_add_u32 v23, v23, 10, 0x2000
	s_delay_alu instid0(VALU_DEP_1) | instskip(NEXT) | instid1(VALU_DEP_1)
	v_and_or_b32 v6, 0x8000, v6, v23
	v_lshl_or_b32 v19, v6, 16, v19
.LBB294_1624:                           ;   in Loop: Header=BB294_934 Depth=1
	s_or_b32 exec_lo, exec_lo, s17
.LBB294_1625:                           ;   in Loop: Header=BB294_934 Depth=1
	s_delay_alu instid0(SALU_CYCLE_1)
	s_or_b32 exec_lo, exec_lo, s16
.LBB294_1626:                           ;   in Loop: Header=BB294_934 Depth=1
	s_delay_alu instid0(SALU_CYCLE_1) | instskip(SKIP_4) | instid1(VALU_DEP_3)
	s_or_b32 exec_lo, exec_lo, s15
	v_and_b32_e32 v34, 0xff, v33
	v_dual_mov_b32 v6, v33 :: v_dual_mov_b32 v31, 0
	v_mov_b32_e32 v23, 0
	s_mov_b32 s15, exec_lo
	v_cmpx_ne_u16_e32 0, v34
	s_cbranch_execz .LBB294_1634
; %bb.1627:                             ;   in Loop: Header=BB294_934 Depth=1
	v_mov_b32_e32 v23, 0x8000
	s_mov_b32 s16, exec_lo
	v_cmpx_ne_u16_e32 0x80, v34
	s_cbranch_execz .LBB294_1633
; %bb.1628:                             ;   in Loop: Header=BB294_934 Depth=1
	v_and_b32_e32 v35, 0x7f, v33
	v_mov_b32_e32 v23, 0x7c01
	s_mov_b32 s17, exec_lo
	s_delay_alu instid0(VALU_DEP_2)
	v_cmpx_ne_u32_e32 0x7f, v35
	s_cbranch_execz .LBB294_1632
; %bb.1629:                             ;   in Loop: Header=BB294_934 Depth=1
	v_dual_lshrrev_b32 v34, 3, v35 :: v_dual_bitop2_b32 v23, 7, v33 bitop3:0x40
	s_mov_b32 s18, exec_lo
	v_cmpx_gt_u32_e32 8, v35
; %bb.1630:                             ;   in Loop: Header=BB294_934 Depth=1
	s_delay_alu instid0(VALU_DEP_2) | instskip(NEXT) | instid1(VALU_DEP_1)
	v_clz_i32_u32_e32 v23, v23
	v_min_u32_e32 v23, 32, v23
	s_delay_alu instid0(VALU_DEP_1) | instskip(NEXT) | instid1(VALU_DEP_1)
	v_subrev_nc_u32_e32 v34, 28, v23
	v_lshlrev_b64_e32 v[36:37], v34, v[6:7]
	s_delay_alu instid0(VALU_DEP_1)
	v_dual_sub_nc_u32 v34, 29, v23 :: v_dual_bitop2_b32 v23, 7, v36 bitop3:0x40
; %bb.1631:                             ;   in Loop: Header=BB294_934 Depth=1
	s_or_b32 exec_lo, exec_lo, s18
	s_delay_alu instid0(VALU_DEP_1) | instskip(NEXT) | instid1(VALU_DEP_2)
	v_dual_lshlrev_b32 v35, 8, v33 :: v_dual_lshlrev_b32 v23, 7, v23
	v_lshl_add_u32 v34, v34, 10, 0x2000
	s_delay_alu instid0(VALU_DEP_2) | instskip(NEXT) | instid1(VALU_DEP_2)
	v_and_b32_e32 v35, 0x8000, v35
	v_and_b32_e32 v34, 0xfc00, v34
	s_delay_alu instid0(VALU_DEP_1)
	v_or3_b32 v23, v35, v34, v23
.LBB294_1632:                           ;   in Loop: Header=BB294_934 Depth=1
	s_or_b32 exec_lo, exec_lo, s17
.LBB294_1633:                           ;   in Loop: Header=BB294_934 Depth=1
	s_delay_alu instid0(SALU_CYCLE_1)
	s_or_b32 exec_lo, exec_lo, s16
.LBB294_1634:                           ;   in Loop: Header=BB294_934 Depth=1
	s_delay_alu instid0(SALU_CYCLE_1) | instskip(SKIP_3) | instid1(VALU_DEP_2)
	s_or_b32 exec_lo, exec_lo, s15
	v_lshrrev_b16 v6, 8, v6
	v_mov_b32_e32 v34, 0
	s_mov_b32 s15, exec_lo
	v_cmpx_ne_u16_e32 0, v6
	s_cbranch_execz .LBB294_1642
; %bb.1635:                             ;   in Loop: Header=BB294_934 Depth=1
	v_bfrev_b32_e32 v34, 1
	s_mov_b32 s16, exec_lo
	v_cmpx_ne_u16_e32 0x80, v6
	s_cbranch_execz .LBB294_1641
; %bb.1636:                             ;   in Loop: Header=BB294_934 Depth=1
	v_and_b32_e32 v35, 0xffff, v6
	v_mov_b32_e32 v34, 0x7c010000
	s_mov_b32 s17, exec_lo
	s_delay_alu instid0(VALU_DEP_2) | instskip(NEXT) | instid1(VALU_DEP_1)
	v_and_b32_e32 v37, 0x7f, v35
	v_cmpx_ne_u32_e32 0x7f, v37
	s_cbranch_execz .LBB294_1640
; %bb.1637:                             ;   in Loop: Header=BB294_934 Depth=1
	v_dual_lshrrev_b32 v36, 3, v37 :: v_dual_bitop2_b32 v34, 7, v35 bitop3:0x40
	s_mov_b32 s18, exec_lo
	v_cmpx_gt_u32_e32 8, v37
; %bb.1638:                             ;   in Loop: Header=BB294_934 Depth=1
	s_delay_alu instid0(VALU_DEP_2) | instskip(NEXT) | instid1(VALU_DEP_1)
	v_clz_i32_u32_e32 v34, v34
	v_min_u32_e32 v34, 32, v34
	s_delay_alu instid0(VALU_DEP_1) | instskip(NEXT) | instid1(VALU_DEP_1)
	v_subrev_nc_u32_e32 v36, 28, v34
	v_lshlrev_b64_e32 v[38:39], v36, v[6:7]
	v_sub_nc_u32_e32 v36, 29, v34
	s_delay_alu instid0(VALU_DEP_2)
	v_and_b32_e32 v34, 7, v38
; %bb.1639:                             ;   in Loop: Header=BB294_934 Depth=1
	s_or_b32 exec_lo, exec_lo, s18
	s_delay_alu instid0(VALU_DEP_1) | instskip(NEXT) | instid1(VALU_DEP_3)
	v_dual_lshlrev_b32 v6, 8, v35 :: v_dual_lshlrev_b32 v34, 23, v34
	v_lshl_add_u32 v35, v36, 10, 0x2000
	s_delay_alu instid0(VALU_DEP_1) | instskip(NEXT) | instid1(VALU_DEP_1)
	v_and_or_b32 v6, 0x8000, v6, v35
	v_lshl_or_b32 v34, v6, 16, v34
.LBB294_1640:                           ;   in Loop: Header=BB294_934 Depth=1
	s_or_b32 exec_lo, exec_lo, s17
.LBB294_1641:                           ;   in Loop: Header=BB294_934 Depth=1
	s_delay_alu instid0(SALU_CYCLE_1)
	s_or_b32 exec_lo, exec_lo, s16
.LBB294_1642:                           ;   in Loop: Header=BB294_934 Depth=1
	s_delay_alu instid0(SALU_CYCLE_1) | instskip(SKIP_2) | instid1(VALU_DEP_1)
	s_or_b32 exec_lo, exec_lo, s15
	v_lshrrev_b32_e32 v6, 16, v33
	s_mov_b32 s15, exec_lo
	v_and_b32_e32 v35, 0xff, v6
	s_delay_alu instid0(VALU_DEP_1)
	v_cmpx_ne_u16_e32 0, v35
	s_cbranch_execz .LBB294_1650
; %bb.1643:                             ;   in Loop: Header=BB294_934 Depth=1
	v_mov_b32_e32 v31, 0x8000
	s_mov_b32 s16, exec_lo
	v_cmpx_ne_u16_e32 0x80, v35
	s_cbranch_execz .LBB294_1649
; %bb.1644:                             ;   in Loop: Header=BB294_934 Depth=1
	v_bfe_u32 v36, v33, 16, 7
	v_mov_b32_e32 v31, 0x7c01
	s_mov_b32 s17, exec_lo
	s_delay_alu instid0(VALU_DEP_2)
	v_cmpx_ne_u32_e32 0x7f, v36
	s_cbranch_execz .LBB294_1648
; %bb.1645:                             ;   in Loop: Header=BB294_934 Depth=1
	v_dual_lshrrev_b32 v35, 3, v36 :: v_dual_bitop2_b32 v31, 7, v6 bitop3:0x40
	s_mov_b32 s18, exec_lo
	v_cmpx_gt_u32_e32 8, v36
; %bb.1646:                             ;   in Loop: Header=BB294_934 Depth=1
	s_delay_alu instid0(VALU_DEP_2) | instskip(NEXT) | instid1(VALU_DEP_1)
	v_clz_i32_u32_e32 v31, v31
	v_min_u32_e32 v31, 32, v31
	s_delay_alu instid0(VALU_DEP_1) | instskip(NEXT) | instid1(VALU_DEP_1)
	v_subrev_nc_u32_e32 v35, 28, v31
	v_lshlrev_b64_e32 v[36:37], v35, v[6:7]
	s_delay_alu instid0(VALU_DEP_1)
	v_dual_sub_nc_u32 v35, 29, v31 :: v_dual_bitop2_b32 v31, 7, v36 bitop3:0x40
; %bb.1647:                             ;   in Loop: Header=BB294_934 Depth=1
	s_or_b32 exec_lo, exec_lo, s18
	s_delay_alu instid0(VALU_DEP_1) | instskip(NEXT) | instid1(VALU_DEP_2)
	v_dual_lshlrev_b32 v6, 8, v6 :: v_dual_lshlrev_b32 v31, 7, v31
	v_lshl_add_u32 v35, v35, 10, 0x2000
	s_delay_alu instid0(VALU_DEP_2) | instskip(NEXT) | instid1(VALU_DEP_2)
	v_and_b32_e32 v6, 0x8000, v6
	v_and_b32_e32 v35, 0xfc00, v35
	s_delay_alu instid0(VALU_DEP_1)
	v_or3_b32 v31, v6, v35, v31
.LBB294_1648:                           ;   in Loop: Header=BB294_934 Depth=1
	s_or_b32 exec_lo, exec_lo, s17
.LBB294_1649:                           ;   in Loop: Header=BB294_934 Depth=1
	s_delay_alu instid0(SALU_CYCLE_1)
	s_or_b32 exec_lo, exec_lo, s16
.LBB294_1650:                           ;   in Loop: Header=BB294_934 Depth=1
	s_delay_alu instid0(SALU_CYCLE_1)
	s_or_b32 exec_lo, exec_lo, s15
	v_cmp_lt_u64_e64 s0, s[2:3], v[32:33]
	v_mov_b32_e32 v32, 0
	s_and_saveexec_b32 s15, s0
	s_cbranch_execz .LBB294_1658
; %bb.1651:                             ;   in Loop: Header=BB294_934 Depth=1
	v_lshrrev_b32_e32 v6, 24, v33
	v_bfrev_b32_e32 v32, 1
	s_mov_b32 s16, exec_lo
	s_delay_alu instid0(VALU_DEP_2)
	v_cmpx_ne_u32_e32 0x80, v6
	s_cbranch_execz .LBB294_1657
; %bb.1652:                             ;   in Loop: Header=BB294_934 Depth=1
	v_and_b32_e32 v35, 0x7f, v6
	v_mov_b32_e32 v32, 0x7c010000
	s_mov_b32 s17, exec_lo
	s_delay_alu instid0(VALU_DEP_2)
	v_cmpx_ne_u32_e32 0x7f, v35
	s_cbranch_execz .LBB294_1656
; %bb.1653:                             ;   in Loop: Header=BB294_934 Depth=1
	v_dual_lshrrev_b32 v33, 3, v35 :: v_dual_bitop2_b32 v32, 7, v6 bitop3:0x40
	s_mov_b32 s18, exec_lo
	v_cmpx_gt_u32_e32 8, v35
; %bb.1654:                             ;   in Loop: Header=BB294_934 Depth=1
	s_delay_alu instid0(VALU_DEP_2) | instskip(NEXT) | instid1(VALU_DEP_1)
	v_clz_i32_u32_e32 v32, v32
	v_min_u32_e32 v35, 32, v32
	s_delay_alu instid0(VALU_DEP_1) | instskip(NEXT) | instid1(VALU_DEP_1)
	v_subrev_nc_u32_e32 v32, 28, v35
	v_lshlrev_b64_e32 v[32:33], v32, v[6:7]
	s_delay_alu instid0(VALU_DEP_1)
	v_dual_sub_nc_u32 v33, 29, v35 :: v_dual_bitop2_b32 v32, 7, v32 bitop3:0x40
; %bb.1655:                             ;   in Loop: Header=BB294_934 Depth=1
	s_or_b32 exec_lo, exec_lo, s18
	s_delay_alu instid0(VALU_DEP_1) | instskip(NEXT) | instid1(VALU_DEP_2)
	v_dual_lshlrev_b32 v6, 8, v6 :: v_dual_lshlrev_b32 v32, 23, v32
	v_lshl_add_u32 v33, v33, 10, 0x2000
	s_delay_alu instid0(VALU_DEP_1) | instskip(NEXT) | instid1(VALU_DEP_1)
	v_and_or_b32 v6, 0x8000, v6, v33
	v_lshl_or_b32 v32, v6, 16, v32
.LBB294_1656:                           ;   in Loop: Header=BB294_934 Depth=1
	s_or_b32 exec_lo, exec_lo, s17
.LBB294_1657:                           ;   in Loop: Header=BB294_934 Depth=1
	s_delay_alu instid0(SALU_CYCLE_1)
	s_or_b32 exec_lo, exec_lo, s16
.LBB294_1658:                           ;   in Loop: Header=BB294_934 Depth=1
	s_delay_alu instid0(SALU_CYCLE_1) | instskip(SKIP_4) | instid1(VALU_DEP_4)
	s_or_b32 exec_lo, exec_lo, s15
	v_dual_lshrrev_b32 v6, 16, v1 :: v_dual_lshrrev_b32 v33, 16, v19
	v_or_b32_e32 v1, v1, v18
	v_or_b32_e32 v22, v19, v22
	;; [unrolled: 1-line block ×3, first 2 shown]
	v_cvt_f32_f16_e32 v19, v6
	v_cvt_f32_f16_e32 v18, v33
	v_dual_lshrrev_b32 v31, 16, v34 :: v_dual_bitop2_b32 v6, v32, v31 bitop3:0x54
	v_lshrrev_b32_e32 v32, 16, v32
	v_cvt_f32_f16_e32 v23, v1
	s_delay_alu instid0(VALU_DEP_3) | instskip(SKIP_4) | instid1(VALU_DEP_3)
	v_cvt_f32_f16_e32 v34, v6
	s_wait_loadcnt_dscnt 0x0
	v_pk_mul_f32 v[18:19], v[30:31], v[18:19] op_sel_hi:[0,1]
	v_cvt_f32_f16_e32 v33, v31
	v_cvt_f32_f16_e32 v32, v32
	v_cvt_pk_f16_f32 v1, v18, v19
	s_delay_alu instid0(VALU_DEP_2) | instskip(NEXT) | instid1(VALU_DEP_2)
	v_pk_mul_f32 v[18:19], v[30:31], v[32:33] op_sel_hi:[0,1]
	v_lshlrev_b32_e32 v32, 16, v1
	v_cvt_f32_f16_e32 v22, v22
	v_and_b32_e32 v33, 0xffff0000, v1
	s_delay_alu instid0(VALU_DEP_4) | instskip(NEXT) | instid1(VALU_DEP_3)
	v_cvt_pk_f16_f32 v18, v18, v19
	v_pk_mul_f32 v[22:23], v[30:31], v[22:23] op_sel_hi:[0,1]
	s_delay_alu instid0(VALU_DEP_2) | instskip(NEXT) | instid1(VALU_DEP_2)
	v_and_b32_e32 v19, 0xffff0000, v18
	v_cvt_pk_f16_f32 v6, v22, v23
	s_delay_alu instid0(VALU_DEP_1) | instskip(SKIP_2) | instid1(VALU_DEP_3)
	v_lshrrev_b32_e32 v39, 16, v6
	v_cvt_f32_f16_e32 v35, v35
	v_and_b32_e32 v38, 0xffff, v6
	v_or_b32_e32 v37, v33, v39
	s_delay_alu instid0(VALU_DEP_3) | instskip(NEXT) | instid1(VALU_DEP_3)
	v_pk_mul_f32 v[30:31], v[30:31], v[34:35] op_sel_hi:[0,1]
	v_or_b32_e32 v36, v32, v38
	s_delay_alu instid0(VALU_DEP_2) | instskip(NEXT) | instid1(VALU_DEP_1)
	v_cvt_pk_f16_f32 v1, v30, v31
	v_dual_lshlrev_b32 v6, 16, v18 :: v_dual_lshrrev_b32 v31, 16, v1
	v_and_b32_e32 v30, 0xffff, v1
	s_delay_alu instid0(VALU_DEP_2) | instskip(NEXT) | instid1(VALU_DEP_2)
	v_or_b32_e32 v35, v19, v31
	v_or_b32_e32 v34, v6, v30
	s_and_saveexec_b32 s15, vcc_lo
	s_cbranch_execz .LBB294_1660
; %bb.1659:                             ;   in Loop: Header=BB294_934 Depth=1
	v_cmp_lt_i32_e64 s0, v52, v13
	s_delay_alu instid0(VALU_DEP_1) | instskip(SKIP_1) | instid1(VALU_DEP_1)
	v_cndmask_b32_e64 v1, 0, v39, s0
	v_cmp_lt_i32_e64 s0, v68, v124
	v_cndmask_b32_e64 v18, 0, v38, s0
	v_cmp_lt_i32_e64 s0, v67, v13
	s_delay_alu instid0(VALU_DEP_1) | instskip(SKIP_1) | instid1(VALU_DEP_1)
	v_cndmask_b32_e64 v22, 0, v33, s0
	v_cmp_lt_i32_e64 s0, v66, v124
	v_cndmask_b32_e64 v23, 0, v32, s0
	v_cmp_lt_i32_e64 s0, v65, v13
	s_delay_alu instid0(VALU_DEP_4) | instskip(NEXT) | instid1(VALU_DEP_3)
	v_or_b32_e32 v37, v1, v22
	v_or_b32_e32 v36, v18, v23
	s_delay_alu instid0(VALU_DEP_3) | instskip(SKIP_1) | instid1(VALU_DEP_1)
	v_cndmask_b32_e64 v31, 0, v31, s0
	v_cmp_lt_i32_e64 s0, v64, v124
	v_cndmask_b32_e64 v30, 0, v30, s0
	v_cmp_lt_i32_e64 s0, v55, v13
	s_delay_alu instid0(VALU_DEP_1) | instskip(SKIP_1) | instid1(VALU_DEP_1)
	v_cndmask_b32_e64 v19, 0, v19, s0
	v_cmp_lt_i32_e64 s0, v0, v124
	v_dual_cndmask_b32 v6, 0, v6, s0 :: v_dual_bitop2_b32 v35, v31, v19 bitop3:0x54
	s_delay_alu instid0(VALU_DEP_1)
	v_or_b32_e32 v34, v30, v6
.LBB294_1660:                           ;   in Loop: Header=BB294_934 Depth=1
	s_or_b32 exec_lo, exec_lo, s15
	;;#ASMSTART
	v_pk_mul_f16 v1, v80, v37;

	;;#ASMEND
	;;#ASMSTART
	v_pk_mul_f16 v6, v71, v36;

	;;#ASMEND
	;; [unrolled: 4-line block ×4, first 2 shown]
	;;#ASMSTART
	v_pk_add_f16 v1, v1, v6;

	;;#ASMEND
	;;#ASMSTART
	v_pk_add_f16 v1, v1, v18;

	;;#ASMEND
	;; [unrolled: 4-line block ×3, first 2 shown]
	v_and_b32_e32 v6, 0xffff, v1
	v_lshrrev_b32_e32 v1, 16, v1
	;;#ASMSTART
	v_cvt_f32_f16 v117, v6;
	;;#ASMEND
	;;#ASMSTART
	v_cvt_f32_f16 v118, v1;
	;;#ASMEND
	flat_load_b64 v[32:33], v[14:15] offset:2816
	scratch_load_b64 v[18:19], off, s32 offset:192 ; 8-byte Folded Reload
	v_mov_b32_e32 v1, 0
	s_mov_b32 s15, exec_lo
	s_wait_loadcnt_dscnt 0x100
	v_and_b32_e32 v6, 0xff, v32
	s_wait_loadcnt 0x0
	flat_load_b32 v30, v[18:19]
	s_wait_xcnt 0x0
	v_mov_b32_e32 v18, 0
	v_cmpx_ne_u16_e32 0, v6
	s_cbranch_execz .LBB294_1668
; %bb.1661:                             ;   in Loop: Header=BB294_934 Depth=1
	v_mov_b32_e32 v18, 0x8000
	s_mov_b32 s16, exec_lo
	v_cmpx_ne_u16_e32 0x80, v6
	s_cbranch_execz .LBB294_1667
; %bb.1662:                             ;   in Loop: Header=BB294_934 Depth=1
	v_and_b32_e32 v19, 0x7f, v32
	v_mov_b32_e32 v18, 0x7c01
	s_mov_b32 s17, exec_lo
	s_delay_alu instid0(VALU_DEP_2)
	v_cmpx_ne_u32_e32 0x7f, v19
	s_cbranch_execz .LBB294_1666
; %bb.1663:                             ;   in Loop: Header=BB294_934 Depth=1
	v_dual_lshrrev_b32 v18, 3, v19 :: v_dual_bitop2_b32 v6, 7, v32 bitop3:0x40
	s_mov_b32 s18, exec_lo
	v_cmpx_gt_u32_e32 8, v19
; %bb.1664:                             ;   in Loop: Header=BB294_934 Depth=1
	s_delay_alu instid0(VALU_DEP_2) | instskip(NEXT) | instid1(VALU_DEP_1)
	v_clz_i32_u32_e32 v6, v6
	v_min_u32_e32 v6, 32, v6
	s_delay_alu instid0(VALU_DEP_1) | instskip(NEXT) | instid1(VALU_DEP_1)
	v_subrev_nc_u32_e32 v18, 28, v6
	v_lshlrev_b64_e32 v[22:23], v18, v[32:33]
	v_sub_nc_u32_e32 v18, 29, v6
	s_delay_alu instid0(VALU_DEP_2)
	v_and_b32_e32 v6, 7, v22
; %bb.1665:                             ;   in Loop: Header=BB294_934 Depth=1
	s_or_b32 exec_lo, exec_lo, s18
	s_delay_alu instid0(VALU_DEP_1) | instskip(NEXT) | instid1(VALU_DEP_3)
	v_dual_lshlrev_b32 v19, 8, v32 :: v_dual_lshlrev_b32 v6, 7, v6
	v_lshl_add_u32 v18, v18, 10, 0x2000
	s_delay_alu instid0(VALU_DEP_2) | instskip(NEXT) | instid1(VALU_DEP_2)
	v_and_b32_e32 v19, 0x8000, v19
	v_and_b32_e32 v18, 0xfc00, v18
	s_delay_alu instid0(VALU_DEP_1)
	v_or3_b32 v18, v19, v18, v6
.LBB294_1666:                           ;   in Loop: Header=BB294_934 Depth=1
	s_or_b32 exec_lo, exec_lo, s17
.LBB294_1667:                           ;   in Loop: Header=BB294_934 Depth=1
	s_delay_alu instid0(SALU_CYCLE_1)
	s_or_b32 exec_lo, exec_lo, s16
.LBB294_1668:                           ;   in Loop: Header=BB294_934 Depth=1
	s_delay_alu instid0(SALU_CYCLE_1) | instskip(SKIP_2) | instid1(VALU_DEP_1)
	s_or_b32 exec_lo, exec_lo, s15
	v_lshrrev_b16 v6, 8, v32
	s_mov_b32 s15, exec_lo
	v_cmpx_ne_u16_e32 0, v6
	s_cbranch_execz .LBB294_1676
; %bb.1669:                             ;   in Loop: Header=BB294_934 Depth=1
	v_bfrev_b32_e32 v1, 1
	s_mov_b32 s16, exec_lo
	v_cmpx_ne_u16_e32 0x80, v6
	s_cbranch_execz .LBB294_1675
; %bb.1670:                             ;   in Loop: Header=BB294_934 Depth=1
	v_and_b32_e32 v19, 0xffff, v6
	v_mov_b32_e32 v1, 0x7c010000
	s_mov_b32 s17, exec_lo
	s_delay_alu instid0(VALU_DEP_2) | instskip(NEXT) | instid1(VALU_DEP_1)
	v_and_b32_e32 v23, 0x7f, v19
	v_cmpx_ne_u32_e32 0x7f, v23
	s_cbranch_execz .LBB294_1674
; %bb.1671:                             ;   in Loop: Header=BB294_934 Depth=1
	v_and_b32_e32 v1, 7, v19
	v_lshrrev_b32_e32 v22, 3, v23
	s_mov_b32 s18, exec_lo
	v_cmpx_gt_u32_e32 8, v23
; %bb.1672:                             ;   in Loop: Header=BB294_934 Depth=1
	s_delay_alu instid0(VALU_DEP_3) | instskip(NEXT) | instid1(VALU_DEP_1)
	v_clz_i32_u32_e32 v1, v1
	v_min_u32_e32 v1, 32, v1
	s_delay_alu instid0(VALU_DEP_1) | instskip(NEXT) | instid1(VALU_DEP_1)
	v_subrev_nc_u32_e32 v22, 28, v1
	v_lshlrev_b64_e32 v[34:35], v22, v[6:7]
	s_delay_alu instid0(VALU_DEP_1)
	v_dual_sub_nc_u32 v22, 29, v1 :: v_dual_bitop2_b32 v1, 7, v34 bitop3:0x40
; %bb.1673:                             ;   in Loop: Header=BB294_934 Depth=1
	s_or_b32 exec_lo, exec_lo, s18
	s_delay_alu instid0(VALU_DEP_1) | instskip(NEXT) | instid1(VALU_DEP_2)
	v_dual_lshlrev_b32 v6, 8, v19 :: v_dual_lshlrev_b32 v1, 23, v1
	v_lshl_add_u32 v19, v22, 10, 0x2000
	s_delay_alu instid0(VALU_DEP_1) | instskip(NEXT) | instid1(VALU_DEP_1)
	v_and_or_b32 v6, 0x8000, v6, v19
	v_lshl_or_b32 v1, v6, 16, v1
.LBB294_1674:                           ;   in Loop: Header=BB294_934 Depth=1
	s_or_b32 exec_lo, exec_lo, s17
.LBB294_1675:                           ;   in Loop: Header=BB294_934 Depth=1
	s_delay_alu instid0(SALU_CYCLE_1)
	s_or_b32 exec_lo, exec_lo, s16
.LBB294_1676:                           ;   in Loop: Header=BB294_934 Depth=1
	s_delay_alu instid0(SALU_CYCLE_1) | instskip(SKIP_3) | instid1(VALU_DEP_2)
	s_or_b32 exec_lo, exec_lo, s15
	v_dual_mov_b32 v19, 0 :: v_dual_lshrrev_b32 v6, 16, v32
	v_mov_b32_e32 v22, 0
	s_mov_b32 s15, exec_lo
	v_and_b32_e32 v23, 0xff, v6
	s_delay_alu instid0(VALU_DEP_1)
	v_cmpx_ne_u16_e32 0, v23
	s_cbranch_execz .LBB294_1684
; %bb.1677:                             ;   in Loop: Header=BB294_934 Depth=1
	v_mov_b32_e32 v22, 0x8000
	s_mov_b32 s16, exec_lo
	v_cmpx_ne_u16_e32 0x80, v23
	s_cbranch_execz .LBB294_1683
; %bb.1678:                             ;   in Loop: Header=BB294_934 Depth=1
	v_bfe_u32 v31, v32, 16, 7
	v_mov_b32_e32 v22, 0x7c01
	s_mov_b32 s17, exec_lo
	s_delay_alu instid0(VALU_DEP_2)
	v_cmpx_ne_u32_e32 0x7f, v31
	s_cbranch_execz .LBB294_1682
; %bb.1679:                             ;   in Loop: Header=BB294_934 Depth=1
	v_dual_lshrrev_b32 v23, 3, v31 :: v_dual_bitop2_b32 v22, 7, v6 bitop3:0x40
	s_mov_b32 s18, exec_lo
	v_cmpx_gt_u32_e32 8, v31
; %bb.1680:                             ;   in Loop: Header=BB294_934 Depth=1
	s_delay_alu instid0(VALU_DEP_2) | instskip(NEXT) | instid1(VALU_DEP_1)
	v_clz_i32_u32_e32 v22, v22
	v_min_u32_e32 v31, 32, v22
	s_delay_alu instid0(VALU_DEP_1) | instskip(NEXT) | instid1(VALU_DEP_1)
	v_subrev_nc_u32_e32 v22, 28, v31
	v_lshlrev_b64_e32 v[22:23], v22, v[6:7]
	s_delay_alu instid0(VALU_DEP_1)
	v_dual_sub_nc_u32 v23, 29, v31 :: v_dual_bitop2_b32 v22, 7, v22 bitop3:0x40
; %bb.1681:                             ;   in Loop: Header=BB294_934 Depth=1
	s_or_b32 exec_lo, exec_lo, s18
	v_lshlrev_b32_e32 v6, 8, v6
	s_delay_alu instid0(VALU_DEP_2) | instskip(NEXT) | instid1(VALU_DEP_3)
	v_lshl_add_u32 v23, v23, 10, 0x2000
	v_lshlrev_b32_e32 v22, 7, v22
	s_delay_alu instid0(VALU_DEP_3) | instskip(NEXT) | instid1(VALU_DEP_3)
	v_and_b32_e32 v6, 0x8000, v6
	v_and_b32_e32 v23, 0xfc00, v23
	s_delay_alu instid0(VALU_DEP_1)
	v_or3_b32 v22, v6, v23, v22
.LBB294_1682:                           ;   in Loop: Header=BB294_934 Depth=1
	s_or_b32 exec_lo, exec_lo, s17
.LBB294_1683:                           ;   in Loop: Header=BB294_934 Depth=1
	s_delay_alu instid0(SALU_CYCLE_1)
	s_or_b32 exec_lo, exec_lo, s16
.LBB294_1684:                           ;   in Loop: Header=BB294_934 Depth=1
	s_delay_alu instid0(SALU_CYCLE_1) | instskip(NEXT) | instid1(SALU_CYCLE_1)
	s_or_b32 exec_lo, exec_lo, s15
	s_mov_b32 s15, exec_lo
	v_cmpx_lt_u32_e32 0xffffff, v32
	s_cbranch_execz .LBB294_1692
; %bb.1685:                             ;   in Loop: Header=BB294_934 Depth=1
	v_lshrrev_b32_e32 v6, 24, v32
	v_bfrev_b32_e32 v19, 1
	s_mov_b32 s16, exec_lo
	s_delay_alu instid0(VALU_DEP_2)
	v_cmpx_ne_u32_e32 0x80, v6
	s_cbranch_execz .LBB294_1691
; %bb.1686:                             ;   in Loop: Header=BB294_934 Depth=1
	v_and_b32_e32 v31, 0x7f, v6
	v_mov_b32_e32 v19, 0x7c010000
	s_mov_b32 s17, exec_lo
	s_delay_alu instid0(VALU_DEP_2)
	v_cmpx_ne_u32_e32 0x7f, v31
	s_cbranch_execz .LBB294_1690
; %bb.1687:                             ;   in Loop: Header=BB294_934 Depth=1
	v_dual_lshrrev_b32 v23, 3, v31 :: v_dual_bitop2_b32 v19, 7, v6 bitop3:0x40
	s_mov_b32 s18, exec_lo
	v_cmpx_gt_u32_e32 8, v31
; %bb.1688:                             ;   in Loop: Header=BB294_934 Depth=1
	s_delay_alu instid0(VALU_DEP_2) | instskip(NEXT) | instid1(VALU_DEP_1)
	v_clz_i32_u32_e32 v19, v19
	v_min_u32_e32 v19, 32, v19
	s_delay_alu instid0(VALU_DEP_1) | instskip(NEXT) | instid1(VALU_DEP_1)
	v_subrev_nc_u32_e32 v23, 28, v19
	v_lshlrev_b64_e32 v[34:35], v23, v[6:7]
	s_delay_alu instid0(VALU_DEP_1)
	v_dual_sub_nc_u32 v23, 29, v19 :: v_dual_bitop2_b32 v19, 7, v34 bitop3:0x40
; %bb.1689:                             ;   in Loop: Header=BB294_934 Depth=1
	s_or_b32 exec_lo, exec_lo, s18
	s_delay_alu instid0(VALU_DEP_1) | instskip(NEXT) | instid1(VALU_DEP_2)
	v_dual_lshlrev_b32 v6, 8, v6 :: v_dual_lshlrev_b32 v19, 23, v19
	v_lshl_add_u32 v23, v23, 10, 0x2000
	s_delay_alu instid0(VALU_DEP_1) | instskip(NEXT) | instid1(VALU_DEP_1)
	v_and_or_b32 v6, 0x8000, v6, v23
	v_lshl_or_b32 v19, v6, 16, v19
.LBB294_1690:                           ;   in Loop: Header=BB294_934 Depth=1
	s_or_b32 exec_lo, exec_lo, s17
.LBB294_1691:                           ;   in Loop: Header=BB294_934 Depth=1
	s_delay_alu instid0(SALU_CYCLE_1)
	s_or_b32 exec_lo, exec_lo, s16
.LBB294_1692:                           ;   in Loop: Header=BB294_934 Depth=1
	s_delay_alu instid0(SALU_CYCLE_1) | instskip(SKIP_4) | instid1(VALU_DEP_3)
	s_or_b32 exec_lo, exec_lo, s15
	v_and_b32_e32 v34, 0xff, v33
	v_dual_mov_b32 v6, v33 :: v_dual_mov_b32 v31, 0
	v_mov_b32_e32 v23, 0
	s_mov_b32 s15, exec_lo
	v_cmpx_ne_u16_e32 0, v34
	s_cbranch_execz .LBB294_1700
; %bb.1693:                             ;   in Loop: Header=BB294_934 Depth=1
	v_mov_b32_e32 v23, 0x8000
	s_mov_b32 s16, exec_lo
	v_cmpx_ne_u16_e32 0x80, v34
	s_cbranch_execz .LBB294_1699
; %bb.1694:                             ;   in Loop: Header=BB294_934 Depth=1
	v_and_b32_e32 v35, 0x7f, v33
	v_mov_b32_e32 v23, 0x7c01
	s_mov_b32 s17, exec_lo
	s_delay_alu instid0(VALU_DEP_2)
	v_cmpx_ne_u32_e32 0x7f, v35
	s_cbranch_execz .LBB294_1698
; %bb.1695:                             ;   in Loop: Header=BB294_934 Depth=1
	v_dual_lshrrev_b32 v34, 3, v35 :: v_dual_bitop2_b32 v23, 7, v33 bitop3:0x40
	s_mov_b32 s18, exec_lo
	v_cmpx_gt_u32_e32 8, v35
; %bb.1696:                             ;   in Loop: Header=BB294_934 Depth=1
	s_delay_alu instid0(VALU_DEP_2) | instskip(NEXT) | instid1(VALU_DEP_1)
	v_clz_i32_u32_e32 v23, v23
	v_min_u32_e32 v23, 32, v23
	s_delay_alu instid0(VALU_DEP_1) | instskip(NEXT) | instid1(VALU_DEP_1)
	v_subrev_nc_u32_e32 v34, 28, v23
	v_lshlrev_b64_e32 v[36:37], v34, v[6:7]
	s_delay_alu instid0(VALU_DEP_1)
	v_dual_sub_nc_u32 v34, 29, v23 :: v_dual_bitop2_b32 v23, 7, v36 bitop3:0x40
; %bb.1697:                             ;   in Loop: Header=BB294_934 Depth=1
	s_or_b32 exec_lo, exec_lo, s18
	s_delay_alu instid0(VALU_DEP_1) | instskip(NEXT) | instid1(VALU_DEP_2)
	v_dual_lshlrev_b32 v35, 8, v33 :: v_dual_lshlrev_b32 v23, 7, v23
	v_lshl_add_u32 v34, v34, 10, 0x2000
	s_delay_alu instid0(VALU_DEP_2) | instskip(NEXT) | instid1(VALU_DEP_2)
	v_and_b32_e32 v35, 0x8000, v35
	v_and_b32_e32 v34, 0xfc00, v34
	s_delay_alu instid0(VALU_DEP_1)
	v_or3_b32 v23, v35, v34, v23
.LBB294_1698:                           ;   in Loop: Header=BB294_934 Depth=1
	s_or_b32 exec_lo, exec_lo, s17
.LBB294_1699:                           ;   in Loop: Header=BB294_934 Depth=1
	s_delay_alu instid0(SALU_CYCLE_1)
	s_or_b32 exec_lo, exec_lo, s16
.LBB294_1700:                           ;   in Loop: Header=BB294_934 Depth=1
	s_delay_alu instid0(SALU_CYCLE_1) | instskip(SKIP_3) | instid1(VALU_DEP_2)
	s_or_b32 exec_lo, exec_lo, s15
	v_lshrrev_b16 v6, 8, v6
	v_mov_b32_e32 v34, 0
	s_mov_b32 s15, exec_lo
	v_cmpx_ne_u16_e32 0, v6
	s_cbranch_execz .LBB294_1708
; %bb.1701:                             ;   in Loop: Header=BB294_934 Depth=1
	v_bfrev_b32_e32 v34, 1
	s_mov_b32 s16, exec_lo
	v_cmpx_ne_u16_e32 0x80, v6
	s_cbranch_execz .LBB294_1707
; %bb.1702:                             ;   in Loop: Header=BB294_934 Depth=1
	v_and_b32_e32 v35, 0xffff, v6
	v_mov_b32_e32 v34, 0x7c010000
	s_mov_b32 s17, exec_lo
	s_delay_alu instid0(VALU_DEP_2) | instskip(NEXT) | instid1(VALU_DEP_1)
	v_and_b32_e32 v37, 0x7f, v35
	v_cmpx_ne_u32_e32 0x7f, v37
	s_cbranch_execz .LBB294_1706
; %bb.1703:                             ;   in Loop: Header=BB294_934 Depth=1
	v_dual_lshrrev_b32 v36, 3, v37 :: v_dual_bitop2_b32 v34, 7, v35 bitop3:0x40
	s_mov_b32 s18, exec_lo
	v_cmpx_gt_u32_e32 8, v37
; %bb.1704:                             ;   in Loop: Header=BB294_934 Depth=1
	s_delay_alu instid0(VALU_DEP_2) | instskip(NEXT) | instid1(VALU_DEP_1)
	v_clz_i32_u32_e32 v34, v34
	v_min_u32_e32 v34, 32, v34
	s_delay_alu instid0(VALU_DEP_1) | instskip(NEXT) | instid1(VALU_DEP_1)
	v_subrev_nc_u32_e32 v36, 28, v34
	v_lshlrev_b64_e32 v[38:39], v36, v[6:7]
	v_sub_nc_u32_e32 v36, 29, v34
	s_delay_alu instid0(VALU_DEP_2)
	v_and_b32_e32 v34, 7, v38
; %bb.1705:                             ;   in Loop: Header=BB294_934 Depth=1
	s_or_b32 exec_lo, exec_lo, s18
	s_delay_alu instid0(VALU_DEP_1) | instskip(NEXT) | instid1(VALU_DEP_3)
	v_dual_lshlrev_b32 v6, 8, v35 :: v_dual_lshlrev_b32 v34, 23, v34
	v_lshl_add_u32 v35, v36, 10, 0x2000
	s_delay_alu instid0(VALU_DEP_1) | instskip(NEXT) | instid1(VALU_DEP_1)
	v_and_or_b32 v6, 0x8000, v6, v35
	v_lshl_or_b32 v34, v6, 16, v34
.LBB294_1706:                           ;   in Loop: Header=BB294_934 Depth=1
	s_or_b32 exec_lo, exec_lo, s17
.LBB294_1707:                           ;   in Loop: Header=BB294_934 Depth=1
	s_delay_alu instid0(SALU_CYCLE_1)
	s_or_b32 exec_lo, exec_lo, s16
.LBB294_1708:                           ;   in Loop: Header=BB294_934 Depth=1
	s_delay_alu instid0(SALU_CYCLE_1) | instskip(SKIP_2) | instid1(VALU_DEP_1)
	s_or_b32 exec_lo, exec_lo, s15
	v_lshrrev_b32_e32 v6, 16, v33
	s_mov_b32 s15, exec_lo
	v_and_b32_e32 v35, 0xff, v6
	s_delay_alu instid0(VALU_DEP_1)
	v_cmpx_ne_u16_e32 0, v35
	s_cbranch_execz .LBB294_1716
; %bb.1709:                             ;   in Loop: Header=BB294_934 Depth=1
	v_mov_b32_e32 v31, 0x8000
	s_mov_b32 s16, exec_lo
	v_cmpx_ne_u16_e32 0x80, v35
	s_cbranch_execz .LBB294_1715
; %bb.1710:                             ;   in Loop: Header=BB294_934 Depth=1
	v_bfe_u32 v36, v33, 16, 7
	v_mov_b32_e32 v31, 0x7c01
	s_mov_b32 s17, exec_lo
	s_delay_alu instid0(VALU_DEP_2)
	v_cmpx_ne_u32_e32 0x7f, v36
	s_cbranch_execz .LBB294_1714
; %bb.1711:                             ;   in Loop: Header=BB294_934 Depth=1
	v_dual_lshrrev_b32 v35, 3, v36 :: v_dual_bitop2_b32 v31, 7, v6 bitop3:0x40
	s_mov_b32 s18, exec_lo
	v_cmpx_gt_u32_e32 8, v36
; %bb.1712:                             ;   in Loop: Header=BB294_934 Depth=1
	s_delay_alu instid0(VALU_DEP_2) | instskip(NEXT) | instid1(VALU_DEP_1)
	v_clz_i32_u32_e32 v31, v31
	v_min_u32_e32 v31, 32, v31
	s_delay_alu instid0(VALU_DEP_1) | instskip(NEXT) | instid1(VALU_DEP_1)
	v_subrev_nc_u32_e32 v35, 28, v31
	v_lshlrev_b64_e32 v[36:37], v35, v[6:7]
	s_delay_alu instid0(VALU_DEP_1)
	v_dual_sub_nc_u32 v35, 29, v31 :: v_dual_bitop2_b32 v31, 7, v36 bitop3:0x40
; %bb.1713:                             ;   in Loop: Header=BB294_934 Depth=1
	s_or_b32 exec_lo, exec_lo, s18
	s_delay_alu instid0(VALU_DEP_1) | instskip(NEXT) | instid1(VALU_DEP_2)
	v_dual_lshlrev_b32 v6, 8, v6 :: v_dual_lshlrev_b32 v31, 7, v31
	v_lshl_add_u32 v35, v35, 10, 0x2000
	s_delay_alu instid0(VALU_DEP_2) | instskip(NEXT) | instid1(VALU_DEP_2)
	v_and_b32_e32 v6, 0x8000, v6
	v_and_b32_e32 v35, 0xfc00, v35
	s_delay_alu instid0(VALU_DEP_1)
	v_or3_b32 v31, v6, v35, v31
.LBB294_1714:                           ;   in Loop: Header=BB294_934 Depth=1
	s_or_b32 exec_lo, exec_lo, s17
.LBB294_1715:                           ;   in Loop: Header=BB294_934 Depth=1
	s_delay_alu instid0(SALU_CYCLE_1)
	s_or_b32 exec_lo, exec_lo, s16
.LBB294_1716:                           ;   in Loop: Header=BB294_934 Depth=1
	s_delay_alu instid0(SALU_CYCLE_1)
	s_or_b32 exec_lo, exec_lo, s15
	v_cmp_lt_u64_e64 s0, s[2:3], v[32:33]
	v_mov_b32_e32 v32, 0
	s_and_saveexec_b32 s15, s0
	s_cbranch_execz .LBB294_1724
; %bb.1717:                             ;   in Loop: Header=BB294_934 Depth=1
	v_lshrrev_b32_e32 v6, 24, v33
	v_bfrev_b32_e32 v32, 1
	s_mov_b32 s16, exec_lo
	s_delay_alu instid0(VALU_DEP_2)
	v_cmpx_ne_u32_e32 0x80, v6
	s_cbranch_execz .LBB294_1723
; %bb.1718:                             ;   in Loop: Header=BB294_934 Depth=1
	v_and_b32_e32 v35, 0x7f, v6
	v_mov_b32_e32 v32, 0x7c010000
	s_mov_b32 s17, exec_lo
	s_delay_alu instid0(VALU_DEP_2)
	v_cmpx_ne_u32_e32 0x7f, v35
	s_cbranch_execz .LBB294_1722
; %bb.1719:                             ;   in Loop: Header=BB294_934 Depth=1
	v_dual_lshrrev_b32 v33, 3, v35 :: v_dual_bitop2_b32 v32, 7, v6 bitop3:0x40
	s_mov_b32 s18, exec_lo
	v_cmpx_gt_u32_e32 8, v35
; %bb.1720:                             ;   in Loop: Header=BB294_934 Depth=1
	s_delay_alu instid0(VALU_DEP_2) | instskip(NEXT) | instid1(VALU_DEP_1)
	v_clz_i32_u32_e32 v32, v32
	v_min_u32_e32 v35, 32, v32
	s_delay_alu instid0(VALU_DEP_1) | instskip(NEXT) | instid1(VALU_DEP_1)
	v_subrev_nc_u32_e32 v32, 28, v35
	v_lshlrev_b64_e32 v[32:33], v32, v[6:7]
	s_delay_alu instid0(VALU_DEP_1)
	v_dual_sub_nc_u32 v33, 29, v35 :: v_dual_bitop2_b32 v32, 7, v32 bitop3:0x40
; %bb.1721:                             ;   in Loop: Header=BB294_934 Depth=1
	s_or_b32 exec_lo, exec_lo, s18
	s_delay_alu instid0(VALU_DEP_1) | instskip(NEXT) | instid1(VALU_DEP_2)
	v_dual_lshlrev_b32 v6, 8, v6 :: v_dual_lshlrev_b32 v32, 23, v32
	v_lshl_add_u32 v33, v33, 10, 0x2000
	s_delay_alu instid0(VALU_DEP_1) | instskip(NEXT) | instid1(VALU_DEP_1)
	v_and_or_b32 v6, 0x8000, v6, v33
	v_lshl_or_b32 v32, v6, 16, v32
.LBB294_1722:                           ;   in Loop: Header=BB294_934 Depth=1
	s_or_b32 exec_lo, exec_lo, s17
.LBB294_1723:                           ;   in Loop: Header=BB294_934 Depth=1
	s_delay_alu instid0(SALU_CYCLE_1)
	s_or_b32 exec_lo, exec_lo, s16
.LBB294_1724:                           ;   in Loop: Header=BB294_934 Depth=1
	s_delay_alu instid0(SALU_CYCLE_1) | instskip(SKIP_4) | instid1(VALU_DEP_4)
	s_or_b32 exec_lo, exec_lo, s15
	v_dual_lshrrev_b32 v6, 16, v1 :: v_dual_lshrrev_b32 v33, 16, v19
	v_or_b32_e32 v1, v1, v18
	v_or_b32_e32 v22, v19, v22
	;; [unrolled: 1-line block ×3, first 2 shown]
	v_cvt_f32_f16_e32 v19, v6
	v_cvt_f32_f16_e32 v18, v33
	v_dual_lshrrev_b32 v31, 16, v34 :: v_dual_bitop2_b32 v6, v32, v31 bitop3:0x54
	v_lshrrev_b32_e32 v32, 16, v32
	v_cvt_f32_f16_e32 v23, v1
	s_delay_alu instid0(VALU_DEP_3) | instskip(SKIP_4) | instid1(VALU_DEP_3)
	v_cvt_f32_f16_e32 v34, v6
	s_wait_loadcnt_dscnt 0x0
	v_pk_mul_f32 v[18:19], v[30:31], v[18:19] op_sel_hi:[0,1]
	v_cvt_f32_f16_e32 v33, v31
	v_cvt_f32_f16_e32 v32, v32
	v_cvt_pk_f16_f32 v1, v18, v19
	s_delay_alu instid0(VALU_DEP_2) | instskip(NEXT) | instid1(VALU_DEP_2)
	v_pk_mul_f32 v[18:19], v[30:31], v[32:33] op_sel_hi:[0,1]
	v_lshlrev_b32_e32 v32, 16, v1
	v_cvt_f32_f16_e32 v22, v22
	v_and_b32_e32 v33, 0xffff0000, v1
	s_delay_alu instid0(VALU_DEP_4) | instskip(NEXT) | instid1(VALU_DEP_3)
	v_cvt_pk_f16_f32 v18, v18, v19
	v_pk_mul_f32 v[22:23], v[30:31], v[22:23] op_sel_hi:[0,1]
	s_delay_alu instid0(VALU_DEP_2) | instskip(NEXT) | instid1(VALU_DEP_2)
	v_and_b32_e32 v19, 0xffff0000, v18
	v_cvt_pk_f16_f32 v6, v22, v23
	s_delay_alu instid0(VALU_DEP_1) | instskip(SKIP_2) | instid1(VALU_DEP_3)
	v_lshrrev_b32_e32 v39, 16, v6
	v_cvt_f32_f16_e32 v35, v35
	v_and_b32_e32 v38, 0xffff, v6
	v_or_b32_e32 v37, v33, v39
	s_delay_alu instid0(VALU_DEP_3) | instskip(NEXT) | instid1(VALU_DEP_3)
	v_pk_mul_f32 v[30:31], v[30:31], v[34:35] op_sel_hi:[0,1]
	v_or_b32_e32 v36, v32, v38
	s_delay_alu instid0(VALU_DEP_2) | instskip(NEXT) | instid1(VALU_DEP_1)
	v_cvt_pk_f16_f32 v1, v30, v31
	v_dual_lshlrev_b32 v6, 16, v18 :: v_dual_lshrrev_b32 v31, 16, v1
	v_and_b32_e32 v30, 0xffff, v1
	s_delay_alu instid0(VALU_DEP_2) | instskip(NEXT) | instid1(VALU_DEP_2)
	v_or_b32_e32 v35, v19, v31
	v_or_b32_e32 v34, v6, v30
	s_and_saveexec_b32 s15, vcc_lo
	s_cbranch_execz .LBB294_1726
; %bb.1725:                             ;   in Loop: Header=BB294_934 Depth=1
	v_cmp_lt_i32_e64 s0, v52, v13
	s_delay_alu instid0(VALU_DEP_1) | instskip(SKIP_1) | instid1(VALU_DEP_1)
	v_cndmask_b32_e64 v1, 0, v39, s0
	v_cmp_lt_i32_e64 s0, v68, v124
	v_cndmask_b32_e64 v18, 0, v38, s0
	v_cmp_lt_i32_e64 s0, v67, v13
	s_delay_alu instid0(VALU_DEP_1) | instskip(SKIP_1) | instid1(VALU_DEP_1)
	v_cndmask_b32_e64 v22, 0, v33, s0
	v_cmp_lt_i32_e64 s0, v66, v124
	v_cndmask_b32_e64 v23, 0, v32, s0
	v_cmp_lt_i32_e64 s0, v65, v13
	s_delay_alu instid0(VALU_DEP_4) | instskip(NEXT) | instid1(VALU_DEP_3)
	v_or_b32_e32 v37, v1, v22
	v_or_b32_e32 v36, v18, v23
	s_delay_alu instid0(VALU_DEP_3) | instskip(SKIP_1) | instid1(VALU_DEP_1)
	v_cndmask_b32_e64 v31, 0, v31, s0
	v_cmp_lt_i32_e64 s0, v64, v124
	v_cndmask_b32_e64 v30, 0, v30, s0
	v_cmp_lt_i32_e64 s0, v55, v13
	s_delay_alu instid0(VALU_DEP_1) | instskip(SKIP_1) | instid1(VALU_DEP_1)
	v_cndmask_b32_e64 v19, 0, v19, s0
	v_cmp_lt_i32_e64 s0, v0, v124
	v_dual_cndmask_b32 v6, 0, v6, s0 :: v_dual_bitop2_b32 v35, v31, v19 bitop3:0x54
	s_delay_alu instid0(VALU_DEP_1)
	v_or_b32_e32 v34, v30, v6
.LBB294_1726:                           ;   in Loop: Header=BB294_934 Depth=1
	s_or_b32 exec_lo, exec_lo, s15
	;;#ASMSTART
	v_pk_mul_f16 v1, v80, v37;

	;;#ASMEND
	;;#ASMSTART
	v_pk_mul_f16 v6, v71, v36;

	;;#ASMEND
	;; [unrolled: 4-line block ×4, first 2 shown]
	;;#ASMSTART
	v_pk_add_f16 v1, v1, v6;

	;;#ASMEND
	;;#ASMSTART
	v_pk_add_f16 v1, v1, v18;

	;;#ASMEND
	;; [unrolled: 4-line block ×3, first 2 shown]
	v_and_b32_e32 v6, 0xffff, v1
	v_lshrrev_b32_e32 v1, 16, v1
	;;#ASMSTART
	v_cvt_f32_f16 v119, v6;
	;;#ASMEND
	;;#ASMSTART
	v_cvt_f32_f16 v40, v1;
	;;#ASMEND
	flat_load_b64 v[32:33], v[14:15] offset:3072
	scratch_load_b64 v[18:19], off, s32 offset:192 ; 8-byte Folded Reload
	v_mov_b32_e32 v1, 0
	s_mov_b32 s15, exec_lo
	s_wait_loadcnt_dscnt 0x100
	v_and_b32_e32 v6, 0xff, v32
	s_wait_loadcnt 0x0
	flat_load_b32 v30, v[18:19]
	s_wait_xcnt 0x0
	v_mov_b32_e32 v18, 0
	v_cmpx_ne_u16_e32 0, v6
	s_cbranch_execz .LBB294_1734
; %bb.1727:                             ;   in Loop: Header=BB294_934 Depth=1
	v_mov_b32_e32 v18, 0x8000
	s_mov_b32 s16, exec_lo
	v_cmpx_ne_u16_e32 0x80, v6
	s_cbranch_execz .LBB294_1733
; %bb.1728:                             ;   in Loop: Header=BB294_934 Depth=1
	v_and_b32_e32 v19, 0x7f, v32
	v_mov_b32_e32 v18, 0x7c01
	s_mov_b32 s17, exec_lo
	s_delay_alu instid0(VALU_DEP_2)
	v_cmpx_ne_u32_e32 0x7f, v19
	s_cbranch_execz .LBB294_1732
; %bb.1729:                             ;   in Loop: Header=BB294_934 Depth=1
	v_dual_lshrrev_b32 v18, 3, v19 :: v_dual_bitop2_b32 v6, 7, v32 bitop3:0x40
	s_mov_b32 s18, exec_lo
	v_cmpx_gt_u32_e32 8, v19
; %bb.1730:                             ;   in Loop: Header=BB294_934 Depth=1
	s_delay_alu instid0(VALU_DEP_2) | instskip(NEXT) | instid1(VALU_DEP_1)
	v_clz_i32_u32_e32 v6, v6
	v_min_u32_e32 v6, 32, v6
	s_delay_alu instid0(VALU_DEP_1) | instskip(NEXT) | instid1(VALU_DEP_1)
	v_subrev_nc_u32_e32 v18, 28, v6
	v_lshlrev_b64_e32 v[22:23], v18, v[32:33]
	v_sub_nc_u32_e32 v18, 29, v6
	s_delay_alu instid0(VALU_DEP_2)
	v_and_b32_e32 v6, 7, v22
; %bb.1731:                             ;   in Loop: Header=BB294_934 Depth=1
	s_or_b32 exec_lo, exec_lo, s18
	s_delay_alu instid0(VALU_DEP_1) | instskip(NEXT) | instid1(VALU_DEP_3)
	v_dual_lshlrev_b32 v19, 8, v32 :: v_dual_lshlrev_b32 v6, 7, v6
	v_lshl_add_u32 v18, v18, 10, 0x2000
	s_delay_alu instid0(VALU_DEP_2) | instskip(NEXT) | instid1(VALU_DEP_2)
	v_and_b32_e32 v19, 0x8000, v19
	v_and_b32_e32 v18, 0xfc00, v18
	s_delay_alu instid0(VALU_DEP_1)
	v_or3_b32 v18, v19, v18, v6
.LBB294_1732:                           ;   in Loop: Header=BB294_934 Depth=1
	s_or_b32 exec_lo, exec_lo, s17
.LBB294_1733:                           ;   in Loop: Header=BB294_934 Depth=1
	s_delay_alu instid0(SALU_CYCLE_1)
	s_or_b32 exec_lo, exec_lo, s16
.LBB294_1734:                           ;   in Loop: Header=BB294_934 Depth=1
	s_delay_alu instid0(SALU_CYCLE_1) | instskip(SKIP_2) | instid1(VALU_DEP_1)
	s_or_b32 exec_lo, exec_lo, s15
	v_lshrrev_b16 v6, 8, v32
	s_mov_b32 s15, exec_lo
	v_cmpx_ne_u16_e32 0, v6
	s_cbranch_execz .LBB294_1742
; %bb.1735:                             ;   in Loop: Header=BB294_934 Depth=1
	v_bfrev_b32_e32 v1, 1
	s_mov_b32 s16, exec_lo
	v_cmpx_ne_u16_e32 0x80, v6
	s_cbranch_execz .LBB294_1741
; %bb.1736:                             ;   in Loop: Header=BB294_934 Depth=1
	v_and_b32_e32 v19, 0xffff, v6
	v_mov_b32_e32 v1, 0x7c010000
	s_mov_b32 s17, exec_lo
	s_delay_alu instid0(VALU_DEP_2) | instskip(NEXT) | instid1(VALU_DEP_1)
	v_and_b32_e32 v23, 0x7f, v19
	v_cmpx_ne_u32_e32 0x7f, v23
	s_cbranch_execz .LBB294_1740
; %bb.1737:                             ;   in Loop: Header=BB294_934 Depth=1
	v_and_b32_e32 v1, 7, v19
	v_lshrrev_b32_e32 v22, 3, v23
	s_mov_b32 s18, exec_lo
	v_cmpx_gt_u32_e32 8, v23
; %bb.1738:                             ;   in Loop: Header=BB294_934 Depth=1
	s_delay_alu instid0(VALU_DEP_3) | instskip(NEXT) | instid1(VALU_DEP_1)
	v_clz_i32_u32_e32 v1, v1
	v_min_u32_e32 v1, 32, v1
	s_delay_alu instid0(VALU_DEP_1) | instskip(NEXT) | instid1(VALU_DEP_1)
	v_subrev_nc_u32_e32 v22, 28, v1
	v_lshlrev_b64_e32 v[34:35], v22, v[6:7]
	s_delay_alu instid0(VALU_DEP_1)
	v_dual_sub_nc_u32 v22, 29, v1 :: v_dual_bitop2_b32 v1, 7, v34 bitop3:0x40
; %bb.1739:                             ;   in Loop: Header=BB294_934 Depth=1
	s_or_b32 exec_lo, exec_lo, s18
	s_delay_alu instid0(VALU_DEP_1) | instskip(NEXT) | instid1(VALU_DEP_2)
	v_dual_lshlrev_b32 v6, 8, v19 :: v_dual_lshlrev_b32 v1, 23, v1
	v_lshl_add_u32 v19, v22, 10, 0x2000
	s_delay_alu instid0(VALU_DEP_1) | instskip(NEXT) | instid1(VALU_DEP_1)
	v_and_or_b32 v6, 0x8000, v6, v19
	v_lshl_or_b32 v1, v6, 16, v1
.LBB294_1740:                           ;   in Loop: Header=BB294_934 Depth=1
	s_or_b32 exec_lo, exec_lo, s17
.LBB294_1741:                           ;   in Loop: Header=BB294_934 Depth=1
	s_delay_alu instid0(SALU_CYCLE_1)
	s_or_b32 exec_lo, exec_lo, s16
.LBB294_1742:                           ;   in Loop: Header=BB294_934 Depth=1
	s_delay_alu instid0(SALU_CYCLE_1) | instskip(SKIP_3) | instid1(VALU_DEP_2)
	s_or_b32 exec_lo, exec_lo, s15
	v_dual_mov_b32 v19, 0 :: v_dual_lshrrev_b32 v6, 16, v32
	v_mov_b32_e32 v22, 0
	s_mov_b32 s15, exec_lo
	v_and_b32_e32 v23, 0xff, v6
	s_delay_alu instid0(VALU_DEP_1)
	v_cmpx_ne_u16_e32 0, v23
	s_cbranch_execz .LBB294_1750
; %bb.1743:                             ;   in Loop: Header=BB294_934 Depth=1
	v_mov_b32_e32 v22, 0x8000
	s_mov_b32 s16, exec_lo
	v_cmpx_ne_u16_e32 0x80, v23
	s_cbranch_execz .LBB294_1749
; %bb.1744:                             ;   in Loop: Header=BB294_934 Depth=1
	v_bfe_u32 v31, v32, 16, 7
	v_mov_b32_e32 v22, 0x7c01
	s_mov_b32 s17, exec_lo
	s_delay_alu instid0(VALU_DEP_2)
	v_cmpx_ne_u32_e32 0x7f, v31
	s_cbranch_execz .LBB294_1748
; %bb.1745:                             ;   in Loop: Header=BB294_934 Depth=1
	v_dual_lshrrev_b32 v23, 3, v31 :: v_dual_bitop2_b32 v22, 7, v6 bitop3:0x40
	s_mov_b32 s18, exec_lo
	v_cmpx_gt_u32_e32 8, v31
; %bb.1746:                             ;   in Loop: Header=BB294_934 Depth=1
	s_delay_alu instid0(VALU_DEP_2) | instskip(NEXT) | instid1(VALU_DEP_1)
	v_clz_i32_u32_e32 v22, v22
	v_min_u32_e32 v31, 32, v22
	s_delay_alu instid0(VALU_DEP_1) | instskip(NEXT) | instid1(VALU_DEP_1)
	v_subrev_nc_u32_e32 v22, 28, v31
	v_lshlrev_b64_e32 v[22:23], v22, v[6:7]
	s_delay_alu instid0(VALU_DEP_1)
	v_dual_sub_nc_u32 v23, 29, v31 :: v_dual_bitop2_b32 v22, 7, v22 bitop3:0x40
; %bb.1747:                             ;   in Loop: Header=BB294_934 Depth=1
	s_or_b32 exec_lo, exec_lo, s18
	v_lshlrev_b32_e32 v6, 8, v6
	s_delay_alu instid0(VALU_DEP_2) | instskip(NEXT) | instid1(VALU_DEP_3)
	v_lshl_add_u32 v23, v23, 10, 0x2000
	v_lshlrev_b32_e32 v22, 7, v22
	s_delay_alu instid0(VALU_DEP_3) | instskip(NEXT) | instid1(VALU_DEP_3)
	v_and_b32_e32 v6, 0x8000, v6
	v_and_b32_e32 v23, 0xfc00, v23
	s_delay_alu instid0(VALU_DEP_1)
	v_or3_b32 v22, v6, v23, v22
.LBB294_1748:                           ;   in Loop: Header=BB294_934 Depth=1
	s_or_b32 exec_lo, exec_lo, s17
.LBB294_1749:                           ;   in Loop: Header=BB294_934 Depth=1
	s_delay_alu instid0(SALU_CYCLE_1)
	s_or_b32 exec_lo, exec_lo, s16
.LBB294_1750:                           ;   in Loop: Header=BB294_934 Depth=1
	s_delay_alu instid0(SALU_CYCLE_1) | instskip(NEXT) | instid1(SALU_CYCLE_1)
	s_or_b32 exec_lo, exec_lo, s15
	s_mov_b32 s15, exec_lo
	v_cmpx_lt_u32_e32 0xffffff, v32
	s_cbranch_execz .LBB294_1758
; %bb.1751:                             ;   in Loop: Header=BB294_934 Depth=1
	v_lshrrev_b32_e32 v6, 24, v32
	v_bfrev_b32_e32 v19, 1
	s_mov_b32 s16, exec_lo
	s_delay_alu instid0(VALU_DEP_2)
	v_cmpx_ne_u32_e32 0x80, v6
	s_cbranch_execz .LBB294_1757
; %bb.1752:                             ;   in Loop: Header=BB294_934 Depth=1
	v_and_b32_e32 v31, 0x7f, v6
	v_mov_b32_e32 v19, 0x7c010000
	s_mov_b32 s17, exec_lo
	s_delay_alu instid0(VALU_DEP_2)
	v_cmpx_ne_u32_e32 0x7f, v31
	s_cbranch_execz .LBB294_1756
; %bb.1753:                             ;   in Loop: Header=BB294_934 Depth=1
	v_dual_lshrrev_b32 v23, 3, v31 :: v_dual_bitop2_b32 v19, 7, v6 bitop3:0x40
	s_mov_b32 s18, exec_lo
	v_cmpx_gt_u32_e32 8, v31
; %bb.1754:                             ;   in Loop: Header=BB294_934 Depth=1
	s_delay_alu instid0(VALU_DEP_2) | instskip(NEXT) | instid1(VALU_DEP_1)
	v_clz_i32_u32_e32 v19, v19
	v_min_u32_e32 v19, 32, v19
	s_delay_alu instid0(VALU_DEP_1) | instskip(NEXT) | instid1(VALU_DEP_1)
	v_subrev_nc_u32_e32 v23, 28, v19
	v_lshlrev_b64_e32 v[34:35], v23, v[6:7]
	s_delay_alu instid0(VALU_DEP_1)
	v_dual_sub_nc_u32 v23, 29, v19 :: v_dual_bitop2_b32 v19, 7, v34 bitop3:0x40
; %bb.1755:                             ;   in Loop: Header=BB294_934 Depth=1
	s_or_b32 exec_lo, exec_lo, s18
	s_delay_alu instid0(VALU_DEP_1) | instskip(NEXT) | instid1(VALU_DEP_2)
	v_dual_lshlrev_b32 v6, 8, v6 :: v_dual_lshlrev_b32 v19, 23, v19
	v_lshl_add_u32 v23, v23, 10, 0x2000
	s_delay_alu instid0(VALU_DEP_1) | instskip(NEXT) | instid1(VALU_DEP_1)
	v_and_or_b32 v6, 0x8000, v6, v23
	v_lshl_or_b32 v19, v6, 16, v19
.LBB294_1756:                           ;   in Loop: Header=BB294_934 Depth=1
	s_or_b32 exec_lo, exec_lo, s17
.LBB294_1757:                           ;   in Loop: Header=BB294_934 Depth=1
	s_delay_alu instid0(SALU_CYCLE_1)
	s_or_b32 exec_lo, exec_lo, s16
.LBB294_1758:                           ;   in Loop: Header=BB294_934 Depth=1
	s_delay_alu instid0(SALU_CYCLE_1) | instskip(SKIP_4) | instid1(VALU_DEP_3)
	s_or_b32 exec_lo, exec_lo, s15
	v_and_b32_e32 v34, 0xff, v33
	v_dual_mov_b32 v6, v33 :: v_dual_mov_b32 v31, 0
	v_mov_b32_e32 v23, 0
	s_mov_b32 s15, exec_lo
	v_cmpx_ne_u16_e32 0, v34
	s_cbranch_execz .LBB294_1766
; %bb.1759:                             ;   in Loop: Header=BB294_934 Depth=1
	v_mov_b32_e32 v23, 0x8000
	s_mov_b32 s16, exec_lo
	v_cmpx_ne_u16_e32 0x80, v34
	s_cbranch_execz .LBB294_1765
; %bb.1760:                             ;   in Loop: Header=BB294_934 Depth=1
	v_and_b32_e32 v35, 0x7f, v33
	v_mov_b32_e32 v23, 0x7c01
	s_mov_b32 s17, exec_lo
	s_delay_alu instid0(VALU_DEP_2)
	v_cmpx_ne_u32_e32 0x7f, v35
	s_cbranch_execz .LBB294_1764
; %bb.1761:                             ;   in Loop: Header=BB294_934 Depth=1
	v_dual_lshrrev_b32 v34, 3, v35 :: v_dual_bitop2_b32 v23, 7, v33 bitop3:0x40
	s_mov_b32 s18, exec_lo
	v_cmpx_gt_u32_e32 8, v35
; %bb.1762:                             ;   in Loop: Header=BB294_934 Depth=1
	s_delay_alu instid0(VALU_DEP_2) | instskip(NEXT) | instid1(VALU_DEP_1)
	v_clz_i32_u32_e32 v23, v23
	v_min_u32_e32 v23, 32, v23
	s_delay_alu instid0(VALU_DEP_1) | instskip(NEXT) | instid1(VALU_DEP_1)
	v_subrev_nc_u32_e32 v34, 28, v23
	v_lshlrev_b64_e32 v[36:37], v34, v[6:7]
	s_delay_alu instid0(VALU_DEP_1)
	v_dual_sub_nc_u32 v34, 29, v23 :: v_dual_bitop2_b32 v23, 7, v36 bitop3:0x40
; %bb.1763:                             ;   in Loop: Header=BB294_934 Depth=1
	s_or_b32 exec_lo, exec_lo, s18
	s_delay_alu instid0(VALU_DEP_1) | instskip(NEXT) | instid1(VALU_DEP_2)
	v_dual_lshlrev_b32 v35, 8, v33 :: v_dual_lshlrev_b32 v23, 7, v23
	v_lshl_add_u32 v34, v34, 10, 0x2000
	s_delay_alu instid0(VALU_DEP_2) | instskip(NEXT) | instid1(VALU_DEP_2)
	v_and_b32_e32 v35, 0x8000, v35
	v_and_b32_e32 v34, 0xfc00, v34
	s_delay_alu instid0(VALU_DEP_1)
	v_or3_b32 v23, v35, v34, v23
.LBB294_1764:                           ;   in Loop: Header=BB294_934 Depth=1
	s_or_b32 exec_lo, exec_lo, s17
.LBB294_1765:                           ;   in Loop: Header=BB294_934 Depth=1
	s_delay_alu instid0(SALU_CYCLE_1)
	s_or_b32 exec_lo, exec_lo, s16
.LBB294_1766:                           ;   in Loop: Header=BB294_934 Depth=1
	s_delay_alu instid0(SALU_CYCLE_1) | instskip(SKIP_3) | instid1(VALU_DEP_2)
	s_or_b32 exec_lo, exec_lo, s15
	v_lshrrev_b16 v6, 8, v6
	v_mov_b32_e32 v34, 0
	s_mov_b32 s15, exec_lo
	v_cmpx_ne_u16_e32 0, v6
	s_cbranch_execz .LBB294_1774
; %bb.1767:                             ;   in Loop: Header=BB294_934 Depth=1
	v_bfrev_b32_e32 v34, 1
	s_mov_b32 s16, exec_lo
	v_cmpx_ne_u16_e32 0x80, v6
	s_cbranch_execz .LBB294_1773
; %bb.1768:                             ;   in Loop: Header=BB294_934 Depth=1
	v_and_b32_e32 v35, 0xffff, v6
	v_mov_b32_e32 v34, 0x7c010000
	s_mov_b32 s17, exec_lo
	s_delay_alu instid0(VALU_DEP_2) | instskip(NEXT) | instid1(VALU_DEP_1)
	v_and_b32_e32 v37, 0x7f, v35
	v_cmpx_ne_u32_e32 0x7f, v37
	s_cbranch_execz .LBB294_1772
; %bb.1769:                             ;   in Loop: Header=BB294_934 Depth=1
	v_dual_lshrrev_b32 v36, 3, v37 :: v_dual_bitop2_b32 v34, 7, v35 bitop3:0x40
	s_mov_b32 s18, exec_lo
	v_cmpx_gt_u32_e32 8, v37
; %bb.1770:                             ;   in Loop: Header=BB294_934 Depth=1
	s_delay_alu instid0(VALU_DEP_2) | instskip(NEXT) | instid1(VALU_DEP_1)
	v_clz_i32_u32_e32 v34, v34
	v_min_u32_e32 v34, 32, v34
	s_delay_alu instid0(VALU_DEP_1) | instskip(NEXT) | instid1(VALU_DEP_1)
	v_subrev_nc_u32_e32 v36, 28, v34
	v_lshlrev_b64_e32 v[38:39], v36, v[6:7]
	v_sub_nc_u32_e32 v36, 29, v34
	s_delay_alu instid0(VALU_DEP_2)
	v_and_b32_e32 v34, 7, v38
; %bb.1771:                             ;   in Loop: Header=BB294_934 Depth=1
	s_or_b32 exec_lo, exec_lo, s18
	s_delay_alu instid0(VALU_DEP_1) | instskip(NEXT) | instid1(VALU_DEP_3)
	v_dual_lshlrev_b32 v6, 8, v35 :: v_dual_lshlrev_b32 v34, 23, v34
	v_lshl_add_u32 v35, v36, 10, 0x2000
	s_delay_alu instid0(VALU_DEP_1) | instskip(NEXT) | instid1(VALU_DEP_1)
	v_and_or_b32 v6, 0x8000, v6, v35
	v_lshl_or_b32 v34, v6, 16, v34
.LBB294_1772:                           ;   in Loop: Header=BB294_934 Depth=1
	s_or_b32 exec_lo, exec_lo, s17
.LBB294_1773:                           ;   in Loop: Header=BB294_934 Depth=1
	s_delay_alu instid0(SALU_CYCLE_1)
	s_or_b32 exec_lo, exec_lo, s16
.LBB294_1774:                           ;   in Loop: Header=BB294_934 Depth=1
	s_delay_alu instid0(SALU_CYCLE_1) | instskip(SKIP_2) | instid1(VALU_DEP_1)
	s_or_b32 exec_lo, exec_lo, s15
	v_lshrrev_b32_e32 v6, 16, v33
	s_mov_b32 s15, exec_lo
	v_and_b32_e32 v35, 0xff, v6
	s_delay_alu instid0(VALU_DEP_1)
	v_cmpx_ne_u16_e32 0, v35
	s_cbranch_execz .LBB294_1782
; %bb.1775:                             ;   in Loop: Header=BB294_934 Depth=1
	v_mov_b32_e32 v31, 0x8000
	s_mov_b32 s16, exec_lo
	v_cmpx_ne_u16_e32 0x80, v35
	s_cbranch_execz .LBB294_1781
; %bb.1776:                             ;   in Loop: Header=BB294_934 Depth=1
	v_bfe_u32 v36, v33, 16, 7
	v_mov_b32_e32 v31, 0x7c01
	s_mov_b32 s17, exec_lo
	s_delay_alu instid0(VALU_DEP_2)
	v_cmpx_ne_u32_e32 0x7f, v36
	s_cbranch_execz .LBB294_1780
; %bb.1777:                             ;   in Loop: Header=BB294_934 Depth=1
	v_dual_lshrrev_b32 v35, 3, v36 :: v_dual_bitop2_b32 v31, 7, v6 bitop3:0x40
	s_mov_b32 s18, exec_lo
	v_cmpx_gt_u32_e32 8, v36
; %bb.1778:                             ;   in Loop: Header=BB294_934 Depth=1
	s_delay_alu instid0(VALU_DEP_2) | instskip(NEXT) | instid1(VALU_DEP_1)
	v_clz_i32_u32_e32 v31, v31
	v_min_u32_e32 v31, 32, v31
	s_delay_alu instid0(VALU_DEP_1) | instskip(NEXT) | instid1(VALU_DEP_1)
	v_subrev_nc_u32_e32 v35, 28, v31
	v_lshlrev_b64_e32 v[36:37], v35, v[6:7]
	s_delay_alu instid0(VALU_DEP_1)
	v_dual_sub_nc_u32 v35, 29, v31 :: v_dual_bitop2_b32 v31, 7, v36 bitop3:0x40
; %bb.1779:                             ;   in Loop: Header=BB294_934 Depth=1
	s_or_b32 exec_lo, exec_lo, s18
	s_delay_alu instid0(VALU_DEP_1) | instskip(NEXT) | instid1(VALU_DEP_2)
	v_dual_lshlrev_b32 v6, 8, v6 :: v_dual_lshlrev_b32 v31, 7, v31
	v_lshl_add_u32 v35, v35, 10, 0x2000
	s_delay_alu instid0(VALU_DEP_2) | instskip(NEXT) | instid1(VALU_DEP_2)
	v_and_b32_e32 v6, 0x8000, v6
	v_and_b32_e32 v35, 0xfc00, v35
	s_delay_alu instid0(VALU_DEP_1)
	v_or3_b32 v31, v6, v35, v31
.LBB294_1780:                           ;   in Loop: Header=BB294_934 Depth=1
	s_or_b32 exec_lo, exec_lo, s17
.LBB294_1781:                           ;   in Loop: Header=BB294_934 Depth=1
	s_delay_alu instid0(SALU_CYCLE_1)
	s_or_b32 exec_lo, exec_lo, s16
.LBB294_1782:                           ;   in Loop: Header=BB294_934 Depth=1
	s_delay_alu instid0(SALU_CYCLE_1)
	s_or_b32 exec_lo, exec_lo, s15
	v_cmp_lt_u64_e64 s0, s[2:3], v[32:33]
	v_mov_b32_e32 v32, 0
	s_and_saveexec_b32 s15, s0
	s_cbranch_execz .LBB294_1790
; %bb.1783:                             ;   in Loop: Header=BB294_934 Depth=1
	v_lshrrev_b32_e32 v6, 24, v33
	v_bfrev_b32_e32 v32, 1
	s_mov_b32 s16, exec_lo
	s_delay_alu instid0(VALU_DEP_2)
	v_cmpx_ne_u32_e32 0x80, v6
	s_cbranch_execz .LBB294_1789
; %bb.1784:                             ;   in Loop: Header=BB294_934 Depth=1
	v_and_b32_e32 v35, 0x7f, v6
	v_mov_b32_e32 v32, 0x7c010000
	s_mov_b32 s17, exec_lo
	s_delay_alu instid0(VALU_DEP_2)
	v_cmpx_ne_u32_e32 0x7f, v35
	s_cbranch_execz .LBB294_1788
; %bb.1785:                             ;   in Loop: Header=BB294_934 Depth=1
	v_dual_lshrrev_b32 v33, 3, v35 :: v_dual_bitop2_b32 v32, 7, v6 bitop3:0x40
	s_mov_b32 s18, exec_lo
	v_cmpx_gt_u32_e32 8, v35
; %bb.1786:                             ;   in Loop: Header=BB294_934 Depth=1
	s_delay_alu instid0(VALU_DEP_2) | instskip(NEXT) | instid1(VALU_DEP_1)
	v_clz_i32_u32_e32 v32, v32
	v_min_u32_e32 v35, 32, v32
	s_delay_alu instid0(VALU_DEP_1) | instskip(NEXT) | instid1(VALU_DEP_1)
	v_subrev_nc_u32_e32 v32, 28, v35
	v_lshlrev_b64_e32 v[32:33], v32, v[6:7]
	s_delay_alu instid0(VALU_DEP_1)
	v_dual_sub_nc_u32 v33, 29, v35 :: v_dual_bitop2_b32 v32, 7, v32 bitop3:0x40
; %bb.1787:                             ;   in Loop: Header=BB294_934 Depth=1
	s_or_b32 exec_lo, exec_lo, s18
	s_delay_alu instid0(VALU_DEP_1) | instskip(NEXT) | instid1(VALU_DEP_2)
	v_dual_lshlrev_b32 v6, 8, v6 :: v_dual_lshlrev_b32 v32, 23, v32
	v_lshl_add_u32 v33, v33, 10, 0x2000
	s_delay_alu instid0(VALU_DEP_1) | instskip(NEXT) | instid1(VALU_DEP_1)
	v_and_or_b32 v6, 0x8000, v6, v33
	v_lshl_or_b32 v32, v6, 16, v32
.LBB294_1788:                           ;   in Loop: Header=BB294_934 Depth=1
	s_or_b32 exec_lo, exec_lo, s17
.LBB294_1789:                           ;   in Loop: Header=BB294_934 Depth=1
	s_delay_alu instid0(SALU_CYCLE_1)
	s_or_b32 exec_lo, exec_lo, s16
.LBB294_1790:                           ;   in Loop: Header=BB294_934 Depth=1
	s_delay_alu instid0(SALU_CYCLE_1) | instskip(SKIP_4) | instid1(VALU_DEP_4)
	s_or_b32 exec_lo, exec_lo, s15
	v_dual_lshrrev_b32 v6, 16, v1 :: v_dual_lshrrev_b32 v33, 16, v19
	v_or_b32_e32 v1, v1, v18
	v_or_b32_e32 v22, v19, v22
	;; [unrolled: 1-line block ×3, first 2 shown]
	v_cvt_f32_f16_e32 v19, v6
	v_cvt_f32_f16_e32 v18, v33
	v_dual_lshrrev_b32 v31, 16, v34 :: v_dual_bitop2_b32 v6, v32, v31 bitop3:0x54
	v_lshrrev_b32_e32 v32, 16, v32
	v_cvt_f32_f16_e32 v23, v1
	s_delay_alu instid0(VALU_DEP_3) | instskip(SKIP_4) | instid1(VALU_DEP_3)
	v_cvt_f32_f16_e32 v34, v6
	s_wait_loadcnt_dscnt 0x0
	v_pk_mul_f32 v[18:19], v[30:31], v[18:19] op_sel_hi:[0,1]
	v_cvt_f32_f16_e32 v33, v31
	v_cvt_f32_f16_e32 v32, v32
	v_cvt_pk_f16_f32 v1, v18, v19
	s_delay_alu instid0(VALU_DEP_2) | instskip(NEXT) | instid1(VALU_DEP_2)
	v_pk_mul_f32 v[18:19], v[30:31], v[32:33] op_sel_hi:[0,1]
	v_lshlrev_b32_e32 v32, 16, v1
	v_cvt_f32_f16_e32 v22, v22
	v_and_b32_e32 v33, 0xffff0000, v1
	s_delay_alu instid0(VALU_DEP_4) | instskip(NEXT) | instid1(VALU_DEP_3)
	v_cvt_pk_f16_f32 v18, v18, v19
	v_pk_mul_f32 v[22:23], v[30:31], v[22:23] op_sel_hi:[0,1]
	s_delay_alu instid0(VALU_DEP_2) | instskip(NEXT) | instid1(VALU_DEP_2)
	v_and_b32_e32 v19, 0xffff0000, v18
	v_cvt_pk_f16_f32 v6, v22, v23
	s_delay_alu instid0(VALU_DEP_1) | instskip(SKIP_2) | instid1(VALU_DEP_3)
	v_lshrrev_b32_e32 v39, 16, v6
	v_cvt_f32_f16_e32 v35, v35
	v_and_b32_e32 v38, 0xffff, v6
	v_or_b32_e32 v37, v33, v39
	s_delay_alu instid0(VALU_DEP_3) | instskip(NEXT) | instid1(VALU_DEP_3)
	v_pk_mul_f32 v[30:31], v[30:31], v[34:35] op_sel_hi:[0,1]
	v_or_b32_e32 v36, v32, v38
	s_delay_alu instid0(VALU_DEP_2) | instskip(NEXT) | instid1(VALU_DEP_1)
	v_cvt_pk_f16_f32 v1, v30, v31
	v_dual_lshlrev_b32 v6, 16, v18 :: v_dual_lshrrev_b32 v31, 16, v1
	v_and_b32_e32 v30, 0xffff, v1
	s_delay_alu instid0(VALU_DEP_2) | instskip(NEXT) | instid1(VALU_DEP_2)
	v_or_b32_e32 v35, v19, v31
	v_or_b32_e32 v34, v6, v30
	s_and_saveexec_b32 s15, vcc_lo
	s_cbranch_execz .LBB294_1792
; %bb.1791:                             ;   in Loop: Header=BB294_934 Depth=1
	v_cmp_lt_i32_e64 s0, v52, v13
	s_delay_alu instid0(VALU_DEP_1) | instskip(SKIP_1) | instid1(VALU_DEP_1)
	v_cndmask_b32_e64 v1, 0, v39, s0
	v_cmp_lt_i32_e64 s0, v68, v124
	v_cndmask_b32_e64 v18, 0, v38, s0
	v_cmp_lt_i32_e64 s0, v67, v13
	s_delay_alu instid0(VALU_DEP_1) | instskip(SKIP_1) | instid1(VALU_DEP_1)
	v_cndmask_b32_e64 v22, 0, v33, s0
	v_cmp_lt_i32_e64 s0, v66, v124
	v_cndmask_b32_e64 v23, 0, v32, s0
	v_cmp_lt_i32_e64 s0, v65, v13
	s_delay_alu instid0(VALU_DEP_4) | instskip(NEXT) | instid1(VALU_DEP_3)
	v_or_b32_e32 v37, v1, v22
	v_or_b32_e32 v36, v18, v23
	s_delay_alu instid0(VALU_DEP_3) | instskip(SKIP_1) | instid1(VALU_DEP_1)
	v_cndmask_b32_e64 v31, 0, v31, s0
	v_cmp_lt_i32_e64 s0, v64, v124
	v_cndmask_b32_e64 v30, 0, v30, s0
	v_cmp_lt_i32_e64 s0, v55, v13
	s_delay_alu instid0(VALU_DEP_1) | instskip(SKIP_1) | instid1(VALU_DEP_1)
	v_cndmask_b32_e64 v19, 0, v19, s0
	v_cmp_lt_i32_e64 s0, v0, v124
	v_dual_cndmask_b32 v6, 0, v6, s0 :: v_dual_bitop2_b32 v35, v31, v19 bitop3:0x54
	s_delay_alu instid0(VALU_DEP_1)
	v_or_b32_e32 v34, v30, v6
.LBB294_1792:                           ;   in Loop: Header=BB294_934 Depth=1
	s_or_b32 exec_lo, exec_lo, s15
	;;#ASMSTART
	v_pk_mul_f16 v1, v80, v37;

	;;#ASMEND
	;;#ASMSTART
	v_pk_mul_f16 v6, v71, v36;

	;;#ASMEND
	;; [unrolled: 4-line block ×4, first 2 shown]
	;;#ASMSTART
	v_pk_add_f16 v1, v1, v6;

	;;#ASMEND
	;;#ASMSTART
	v_pk_add_f16 v1, v1, v18;

	;;#ASMEND
	;; [unrolled: 4-line block ×3, first 2 shown]
	v_and_b32_e32 v6, 0xffff, v1
	v_lshrrev_b32_e32 v1, 16, v1
	;;#ASMSTART
	v_cvt_f32_f16 v38, v6;
	;;#ASMEND
	;;#ASMSTART
	v_cvt_f32_f16 v39, v1;
	;;#ASMEND
	flat_load_b64 v[30:31], v[14:15] offset:3328
	scratch_load_b64 v[14:15], off, s32 offset:192 ; 8-byte Folded Reload
	v_mov_b32_e32 v1, 0
	s_mov_b32 s15, exec_lo
	s_wait_loadcnt_dscnt 0x100
	v_and_b32_e32 v6, 0xff, v30
	s_wait_loadcnt 0x0
	flat_load_b32 v14, v[14:15]
	s_wait_xcnt 0x0
	v_mov_b32_e32 v15, 0
	v_cmpx_ne_u16_e32 0, v6
	s_cbranch_execz .LBB294_1800
; %bb.1793:                             ;   in Loop: Header=BB294_934 Depth=1
	v_mov_b32_e32 v15, 0x8000
	s_mov_b32 s16, exec_lo
	v_cmpx_ne_u16_e32 0x80, v6
	s_cbranch_execz .LBB294_1799
; %bb.1794:                             ;   in Loop: Header=BB294_934 Depth=1
	v_and_b32_e32 v18, 0x7f, v30
	v_mov_b32_e32 v15, 0x7c01
	s_mov_b32 s17, exec_lo
	s_delay_alu instid0(VALU_DEP_2)
	v_cmpx_ne_u32_e32 0x7f, v18
	s_cbranch_execz .LBB294_1798
; %bb.1795:                             ;   in Loop: Header=BB294_934 Depth=1
	v_and_b32_e32 v6, 7, v30
	v_lshrrev_b32_e32 v15, 3, v18
	s_mov_b32 s18, exec_lo
	v_cmpx_gt_u32_e32 8, v18
; %bb.1796:                             ;   in Loop: Header=BB294_934 Depth=1
	s_delay_alu instid0(VALU_DEP_3) | instskip(NEXT) | instid1(VALU_DEP_1)
	v_clz_i32_u32_e32 v6, v6
	v_min_u32_e32 v6, 32, v6
	s_delay_alu instid0(VALU_DEP_1) | instskip(NEXT) | instid1(VALU_DEP_1)
	v_subrev_nc_u32_e32 v15, 28, v6
	v_lshlrev_b64_e32 v[18:19], v15, v[30:31]
	v_sub_nc_u32_e32 v15, 29, v6
	s_delay_alu instid0(VALU_DEP_2)
	v_and_b32_e32 v6, 7, v18
; %bb.1797:                             ;   in Loop: Header=BB294_934 Depth=1
	s_or_b32 exec_lo, exec_lo, s18
	v_lshlrev_b32_e32 v18, 8, v30
	s_delay_alu instid0(VALU_DEP_3) | instskip(NEXT) | instid1(VALU_DEP_3)
	v_lshl_add_u32 v15, v15, 10, 0x2000
	v_lshlrev_b32_e32 v6, 7, v6
	s_delay_alu instid0(VALU_DEP_3) | instskip(NEXT) | instid1(VALU_DEP_3)
	v_and_b32_e32 v18, 0x8000, v18
	v_and_b32_e32 v15, 0xfc00, v15
	s_delay_alu instid0(VALU_DEP_1)
	v_or3_b32 v15, v18, v15, v6
.LBB294_1798:                           ;   in Loop: Header=BB294_934 Depth=1
	s_or_b32 exec_lo, exec_lo, s17
.LBB294_1799:                           ;   in Loop: Header=BB294_934 Depth=1
	s_delay_alu instid0(SALU_CYCLE_1)
	s_or_b32 exec_lo, exec_lo, s16
.LBB294_1800:                           ;   in Loop: Header=BB294_934 Depth=1
	s_delay_alu instid0(SALU_CYCLE_1) | instskip(SKIP_2) | instid1(VALU_DEP_1)
	s_or_b32 exec_lo, exec_lo, s15
	v_lshrrev_b16 v6, 8, v30
	s_mov_b32 s15, exec_lo
	v_cmpx_ne_u16_e32 0, v6
	s_cbranch_execz .LBB294_1808
; %bb.1801:                             ;   in Loop: Header=BB294_934 Depth=1
	v_bfrev_b32_e32 v1, 1
	s_mov_b32 s16, exec_lo
	v_cmpx_ne_u16_e32 0x80, v6
	s_cbranch_execz .LBB294_1807
; %bb.1802:                             ;   in Loop: Header=BB294_934 Depth=1
	v_and_b32_e32 v18, 0xffff, v6
	v_mov_b32_e32 v1, 0x7c010000
	s_mov_b32 s17, exec_lo
	s_delay_alu instid0(VALU_DEP_2) | instskip(NEXT) | instid1(VALU_DEP_1)
	v_and_b32_e32 v22, 0x7f, v18
	v_cmpx_ne_u32_e32 0x7f, v22
	s_cbranch_execz .LBB294_1806
; %bb.1803:                             ;   in Loop: Header=BB294_934 Depth=1
	v_and_b32_e32 v1, 7, v18
	v_lshrrev_b32_e32 v19, 3, v22
	s_mov_b32 s18, exec_lo
	v_cmpx_gt_u32_e32 8, v22
; %bb.1804:                             ;   in Loop: Header=BB294_934 Depth=1
	s_delay_alu instid0(VALU_DEP_3) | instskip(NEXT) | instid1(VALU_DEP_1)
	v_clz_i32_u32_e32 v1, v1
	v_min_u32_e32 v1, 32, v1
	s_delay_alu instid0(VALU_DEP_1) | instskip(NEXT) | instid1(VALU_DEP_1)
	v_subrev_nc_u32_e32 v19, 28, v1
	v_lshlrev_b64_e32 v[22:23], v19, v[6:7]
	s_delay_alu instid0(VALU_DEP_1)
	v_dual_sub_nc_u32 v19, 29, v1 :: v_dual_bitop2_b32 v1, 7, v22 bitop3:0x40
; %bb.1805:                             ;   in Loop: Header=BB294_934 Depth=1
	s_or_b32 exec_lo, exec_lo, s18
	s_delay_alu instid0(VALU_DEP_1) | instskip(NEXT) | instid1(VALU_DEP_2)
	v_dual_lshlrev_b32 v6, 8, v18 :: v_dual_lshlrev_b32 v1, 23, v1
	v_lshl_add_u32 v18, v19, 10, 0x2000
	s_delay_alu instid0(VALU_DEP_1) | instskip(NEXT) | instid1(VALU_DEP_1)
	v_and_or_b32 v6, 0x8000, v6, v18
	v_lshl_or_b32 v1, v6, 16, v1
.LBB294_1806:                           ;   in Loop: Header=BB294_934 Depth=1
	s_or_b32 exec_lo, exec_lo, s17
.LBB294_1807:                           ;   in Loop: Header=BB294_934 Depth=1
	s_delay_alu instid0(SALU_CYCLE_1)
	s_or_b32 exec_lo, exec_lo, s16
.LBB294_1808:                           ;   in Loop: Header=BB294_934 Depth=1
	s_delay_alu instid0(SALU_CYCLE_1) | instskip(SKIP_3) | instid1(VALU_DEP_2)
	s_or_b32 exec_lo, exec_lo, s15
	v_dual_lshrrev_b32 v6, 16, v30 :: v_dual_mov_b32 v18, 0
	v_mov_b32_e32 v19, 0
	s_mov_b32 s15, exec_lo
	v_and_b32_e32 v22, 0xff, v6
	s_delay_alu instid0(VALU_DEP_1)
	v_cmpx_ne_u16_e32 0, v22
	s_cbranch_execz .LBB294_1816
; %bb.1809:                             ;   in Loop: Header=BB294_934 Depth=1
	v_mov_b32_e32 v19, 0x8000
	s_mov_b32 s16, exec_lo
	v_cmpx_ne_u16_e32 0x80, v22
	s_cbranch_execz .LBB294_1815
; %bb.1810:                             ;   in Loop: Header=BB294_934 Depth=1
	v_bfe_u32 v23, v30, 16, 7
	v_mov_b32_e32 v19, 0x7c01
	s_mov_b32 s17, exec_lo
	s_delay_alu instid0(VALU_DEP_2)
	v_cmpx_ne_u32_e32 0x7f, v23
	s_cbranch_execz .LBB294_1814
; %bb.1811:                             ;   in Loop: Header=BB294_934 Depth=1
	v_dual_lshrrev_b32 v22, 3, v23 :: v_dual_bitop2_b32 v19, 7, v6 bitop3:0x40
	s_mov_b32 s18, exec_lo
	v_cmpx_gt_u32_e32 8, v23
; %bb.1812:                             ;   in Loop: Header=BB294_934 Depth=1
	s_delay_alu instid0(VALU_DEP_2) | instskip(NEXT) | instid1(VALU_DEP_1)
	v_clz_i32_u32_e32 v19, v19
	v_min_u32_e32 v19, 32, v19
	s_delay_alu instid0(VALU_DEP_1) | instskip(NEXT) | instid1(VALU_DEP_1)
	v_subrev_nc_u32_e32 v22, 28, v19
	v_lshlrev_b64_e32 v[32:33], v22, v[6:7]
	s_delay_alu instid0(VALU_DEP_1)
	v_dual_sub_nc_u32 v22, 29, v19 :: v_dual_bitop2_b32 v19, 7, v32 bitop3:0x40
; %bb.1813:                             ;   in Loop: Header=BB294_934 Depth=1
	s_or_b32 exec_lo, exec_lo, s18
	s_delay_alu instid0(VALU_DEP_1) | instskip(NEXT) | instid1(VALU_DEP_2)
	v_dual_lshlrev_b32 v6, 8, v6 :: v_dual_lshlrev_b32 v19, 7, v19
	v_lshl_add_u32 v22, v22, 10, 0x2000
	s_delay_alu instid0(VALU_DEP_2) | instskip(NEXT) | instid1(VALU_DEP_2)
	v_and_b32_e32 v6, 0x8000, v6
	v_and_b32_e32 v22, 0xfc00, v22
	s_delay_alu instid0(VALU_DEP_1)
	v_or3_b32 v19, v6, v22, v19
.LBB294_1814:                           ;   in Loop: Header=BB294_934 Depth=1
	s_or_b32 exec_lo, exec_lo, s17
.LBB294_1815:                           ;   in Loop: Header=BB294_934 Depth=1
	s_delay_alu instid0(SALU_CYCLE_1)
	s_or_b32 exec_lo, exec_lo, s16
.LBB294_1816:                           ;   in Loop: Header=BB294_934 Depth=1
	s_delay_alu instid0(SALU_CYCLE_1) | instskip(NEXT) | instid1(SALU_CYCLE_1)
	s_or_b32 exec_lo, exec_lo, s15
	s_mov_b32 s15, exec_lo
	v_cmpx_lt_u32_e32 0xffffff, v30
	s_cbranch_execz .LBB294_1824
; %bb.1817:                             ;   in Loop: Header=BB294_934 Depth=1
	v_lshrrev_b32_e32 v6, 24, v30
	v_bfrev_b32_e32 v18, 1
	s_mov_b32 s16, exec_lo
	s_delay_alu instid0(VALU_DEP_2)
	v_cmpx_ne_u32_e32 0x80, v6
	s_cbranch_execz .LBB294_1823
; %bb.1818:                             ;   in Loop: Header=BB294_934 Depth=1
	v_and_b32_e32 v23, 0x7f, v6
	v_mov_b32_e32 v18, 0x7c010000
	s_mov_b32 s17, exec_lo
	s_delay_alu instid0(VALU_DEP_2)
	v_cmpx_ne_u32_e32 0x7f, v23
	s_cbranch_execz .LBB294_1822
; %bb.1819:                             ;   in Loop: Header=BB294_934 Depth=1
	v_dual_lshrrev_b32 v22, 3, v23 :: v_dual_bitop2_b32 v18, 7, v6 bitop3:0x40
	s_mov_b32 s18, exec_lo
	v_cmpx_gt_u32_e32 8, v23
; %bb.1820:                             ;   in Loop: Header=BB294_934 Depth=1
	s_delay_alu instid0(VALU_DEP_2) | instskip(NEXT) | instid1(VALU_DEP_1)
	v_clz_i32_u32_e32 v18, v18
	v_min_u32_e32 v18, 32, v18
	s_delay_alu instid0(VALU_DEP_1) | instskip(NEXT) | instid1(VALU_DEP_1)
	v_subrev_nc_u32_e32 v22, 28, v18
	v_lshlrev_b64_e32 v[32:33], v22, v[6:7]
	s_delay_alu instid0(VALU_DEP_1)
	v_dual_sub_nc_u32 v22, 29, v18 :: v_dual_bitop2_b32 v18, 7, v32 bitop3:0x40
; %bb.1821:                             ;   in Loop: Header=BB294_934 Depth=1
	s_or_b32 exec_lo, exec_lo, s18
	v_lshlrev_b32_e32 v6, 8, v6
	s_delay_alu instid0(VALU_DEP_2) | instskip(NEXT) | instid1(VALU_DEP_3)
	v_lshl_add_u32 v22, v22, 10, 0x2000
	v_lshlrev_b32_e32 v18, 23, v18
	s_delay_alu instid0(VALU_DEP_2) | instskip(NEXT) | instid1(VALU_DEP_1)
	v_and_or_b32 v6, 0x8000, v6, v22
	v_lshl_or_b32 v18, v6, 16, v18
.LBB294_1822:                           ;   in Loop: Header=BB294_934 Depth=1
	s_or_b32 exec_lo, exec_lo, s17
.LBB294_1823:                           ;   in Loop: Header=BB294_934 Depth=1
	s_delay_alu instid0(SALU_CYCLE_1)
	s_or_b32 exec_lo, exec_lo, s16
.LBB294_1824:                           ;   in Loop: Header=BB294_934 Depth=1
	s_delay_alu instid0(SALU_CYCLE_1) | instskip(SKIP_4) | instid1(VALU_DEP_3)
	s_or_b32 exec_lo, exec_lo, s15
	v_and_b32_e32 v32, 0xff, v31
	v_dual_mov_b32 v6, v31 :: v_dual_mov_b32 v23, 0
	v_mov_b32_e32 v22, 0
	s_mov_b32 s15, exec_lo
	v_cmpx_ne_u16_e32 0, v32
	s_cbranch_execz .LBB294_1832
; %bb.1825:                             ;   in Loop: Header=BB294_934 Depth=1
	v_mov_b32_e32 v22, 0x8000
	s_mov_b32 s16, exec_lo
	v_cmpx_ne_u16_e32 0x80, v32
	s_cbranch_execz .LBB294_1831
; %bb.1826:                             ;   in Loop: Header=BB294_934 Depth=1
	v_and_b32_e32 v33, 0x7f, v31
	v_mov_b32_e32 v22, 0x7c01
	s_mov_b32 s17, exec_lo
	s_delay_alu instid0(VALU_DEP_2)
	v_cmpx_ne_u32_e32 0x7f, v33
	s_cbranch_execz .LBB294_1830
; %bb.1827:                             ;   in Loop: Header=BB294_934 Depth=1
	v_dual_lshrrev_b32 v32, 3, v33 :: v_dual_bitop2_b32 v22, 7, v31 bitop3:0x40
	s_mov_b32 s18, exec_lo
	v_cmpx_gt_u32_e32 8, v33
; %bb.1828:                             ;   in Loop: Header=BB294_934 Depth=1
	s_delay_alu instid0(VALU_DEP_2) | instskip(NEXT) | instid1(VALU_DEP_1)
	v_clz_i32_u32_e32 v22, v22
	v_min_u32_e32 v22, 32, v22
	s_delay_alu instid0(VALU_DEP_1) | instskip(NEXT) | instid1(VALU_DEP_1)
	v_subrev_nc_u32_e32 v32, 28, v22
	v_lshlrev_b64_e32 v[34:35], v32, v[6:7]
	v_sub_nc_u32_e32 v32, 29, v22
	s_delay_alu instid0(VALU_DEP_2)
	v_and_b32_e32 v22, 7, v34
; %bb.1829:                             ;   in Loop: Header=BB294_934 Depth=1
	s_or_b32 exec_lo, exec_lo, s18
	s_delay_alu instid0(VALU_DEP_1) | instskip(NEXT) | instid1(VALU_DEP_3)
	v_dual_lshlrev_b32 v33, 8, v31 :: v_dual_lshlrev_b32 v22, 7, v22
	v_lshl_add_u32 v32, v32, 10, 0x2000
	s_delay_alu instid0(VALU_DEP_2) | instskip(NEXT) | instid1(VALU_DEP_2)
	v_and_b32_e32 v33, 0x8000, v33
	v_and_b32_e32 v32, 0xfc00, v32
	s_delay_alu instid0(VALU_DEP_1)
	v_or3_b32 v22, v33, v32, v22
.LBB294_1830:                           ;   in Loop: Header=BB294_934 Depth=1
	s_or_b32 exec_lo, exec_lo, s17
.LBB294_1831:                           ;   in Loop: Header=BB294_934 Depth=1
	s_delay_alu instid0(SALU_CYCLE_1)
	s_or_b32 exec_lo, exec_lo, s16
.LBB294_1832:                           ;   in Loop: Header=BB294_934 Depth=1
	s_delay_alu instid0(SALU_CYCLE_1) | instskip(SKIP_3) | instid1(VALU_DEP_2)
	s_or_b32 exec_lo, exec_lo, s15
	v_lshrrev_b16 v6, 8, v6
	v_mov_b32_e32 v32, 0
	s_mov_b32 s15, exec_lo
	v_cmpx_ne_u16_e32 0, v6
	s_cbranch_execz .LBB294_1840
; %bb.1833:                             ;   in Loop: Header=BB294_934 Depth=1
	v_bfrev_b32_e32 v32, 1
	s_mov_b32 s16, exec_lo
	v_cmpx_ne_u16_e32 0x80, v6
	s_cbranch_execz .LBB294_1839
; %bb.1834:                             ;   in Loop: Header=BB294_934 Depth=1
	v_and_b32_e32 v33, 0xffff, v6
	v_mov_b32_e32 v32, 0x7c010000
	s_mov_b32 s17, exec_lo
	s_delay_alu instid0(VALU_DEP_2) | instskip(NEXT) | instid1(VALU_DEP_1)
	v_and_b32_e32 v35, 0x7f, v33
	v_cmpx_ne_u32_e32 0x7f, v35
	s_cbranch_execz .LBB294_1838
; %bb.1835:                             ;   in Loop: Header=BB294_934 Depth=1
	v_dual_lshrrev_b32 v34, 3, v35 :: v_dual_bitop2_b32 v32, 7, v33 bitop3:0x40
	s_mov_b32 s18, exec_lo
	v_cmpx_gt_u32_e32 8, v35
; %bb.1836:                             ;   in Loop: Header=BB294_934 Depth=1
	s_delay_alu instid0(VALU_DEP_2) | instskip(NEXT) | instid1(VALU_DEP_1)
	v_clz_i32_u32_e32 v32, v32
	v_min_u32_e32 v32, 32, v32
	s_delay_alu instid0(VALU_DEP_1) | instskip(NEXT) | instid1(VALU_DEP_1)
	v_subrev_nc_u32_e32 v34, 28, v32
	v_lshlrev_b64_e32 v[36:37], v34, v[6:7]
	v_sub_nc_u32_e32 v34, 29, v32
	s_delay_alu instid0(VALU_DEP_2)
	v_and_b32_e32 v32, 7, v36
; %bb.1837:                             ;   in Loop: Header=BB294_934 Depth=1
	s_or_b32 exec_lo, exec_lo, s18
	s_delay_alu instid0(VALU_DEP_1) | instskip(NEXT) | instid1(VALU_DEP_3)
	v_dual_lshlrev_b32 v6, 8, v33 :: v_dual_lshlrev_b32 v32, 23, v32
	v_lshl_add_u32 v33, v34, 10, 0x2000
	s_delay_alu instid0(VALU_DEP_1) | instskip(NEXT) | instid1(VALU_DEP_1)
	v_and_or_b32 v6, 0x8000, v6, v33
	v_lshl_or_b32 v32, v6, 16, v32
.LBB294_1838:                           ;   in Loop: Header=BB294_934 Depth=1
	s_or_b32 exec_lo, exec_lo, s17
.LBB294_1839:                           ;   in Loop: Header=BB294_934 Depth=1
	s_delay_alu instid0(SALU_CYCLE_1)
	s_or_b32 exec_lo, exec_lo, s16
.LBB294_1840:                           ;   in Loop: Header=BB294_934 Depth=1
	s_delay_alu instid0(SALU_CYCLE_1) | instskip(SKIP_2) | instid1(VALU_DEP_1)
	s_or_b32 exec_lo, exec_lo, s15
	v_lshrrev_b32_e32 v6, 16, v31
	s_mov_b32 s15, exec_lo
	v_and_b32_e32 v33, 0xff, v6
	s_delay_alu instid0(VALU_DEP_1)
	v_cmpx_ne_u16_e32 0, v33
	s_cbranch_execz .LBB294_1848
; %bb.1841:                             ;   in Loop: Header=BB294_934 Depth=1
	v_mov_b32_e32 v23, 0x8000
	s_mov_b32 s16, exec_lo
	v_cmpx_ne_u16_e32 0x80, v33
	s_cbranch_execz .LBB294_1847
; %bb.1842:                             ;   in Loop: Header=BB294_934 Depth=1
	v_bfe_u32 v34, v31, 16, 7
	v_mov_b32_e32 v23, 0x7c01
	s_mov_b32 s17, exec_lo
	s_delay_alu instid0(VALU_DEP_2)
	v_cmpx_ne_u32_e32 0x7f, v34
	s_cbranch_execz .LBB294_1846
; %bb.1843:                             ;   in Loop: Header=BB294_934 Depth=1
	v_and_b32_e32 v23, 7, v6
	v_lshrrev_b32_e32 v33, 3, v34
	s_mov_b32 s18, exec_lo
	v_cmpx_gt_u32_e32 8, v34
; %bb.1844:                             ;   in Loop: Header=BB294_934 Depth=1
	s_delay_alu instid0(VALU_DEP_3) | instskip(NEXT) | instid1(VALU_DEP_1)
	v_clz_i32_u32_e32 v23, v23
	v_min_u32_e32 v23, 32, v23
	s_delay_alu instid0(VALU_DEP_1) | instskip(NEXT) | instid1(VALU_DEP_1)
	v_subrev_nc_u32_e32 v33, 28, v23
	v_lshlrev_b64_e32 v[34:35], v33, v[6:7]
	s_delay_alu instid0(VALU_DEP_1)
	v_dual_sub_nc_u32 v33, 29, v23 :: v_dual_bitop2_b32 v23, 7, v34 bitop3:0x40
; %bb.1845:                             ;   in Loop: Header=BB294_934 Depth=1
	s_or_b32 exec_lo, exec_lo, s18
	s_delay_alu instid0(VALU_DEP_1) | instskip(NEXT) | instid1(VALU_DEP_2)
	v_dual_lshlrev_b32 v6, 8, v6 :: v_dual_lshlrev_b32 v23, 7, v23
	v_lshl_add_u32 v33, v33, 10, 0x2000
	s_delay_alu instid0(VALU_DEP_2) | instskip(NEXT) | instid1(VALU_DEP_2)
	v_and_b32_e32 v6, 0x8000, v6
	v_and_b32_e32 v33, 0xfc00, v33
	s_delay_alu instid0(VALU_DEP_1)
	v_or3_b32 v23, v6, v33, v23
.LBB294_1846:                           ;   in Loop: Header=BB294_934 Depth=1
	s_or_b32 exec_lo, exec_lo, s17
.LBB294_1847:                           ;   in Loop: Header=BB294_934 Depth=1
	s_delay_alu instid0(SALU_CYCLE_1)
	s_or_b32 exec_lo, exec_lo, s16
.LBB294_1848:                           ;   in Loop: Header=BB294_934 Depth=1
	s_delay_alu instid0(SALU_CYCLE_1)
	s_or_b32 exec_lo, exec_lo, s15
	v_cmp_lt_u64_e64 s0, s[2:3], v[30:31]
	v_mov_b32_e32 v30, 0
	s_and_saveexec_b32 s15, s0
	s_cbranch_execz .LBB294_1856
; %bb.1849:                             ;   in Loop: Header=BB294_934 Depth=1
	v_lshrrev_b32_e32 v6, 24, v31
	v_bfrev_b32_e32 v30, 1
	s_mov_b32 s16, exec_lo
	s_delay_alu instid0(VALU_DEP_2)
	v_cmpx_ne_u32_e32 0x80, v6
	s_cbranch_execz .LBB294_1855
; %bb.1850:                             ;   in Loop: Header=BB294_934 Depth=1
	v_and_b32_e32 v33, 0x7f, v6
	v_mov_b32_e32 v30, 0x7c010000
	s_mov_b32 s17, exec_lo
	s_delay_alu instid0(VALU_DEP_2)
	v_cmpx_ne_u32_e32 0x7f, v33
	s_cbranch_execz .LBB294_1854
; %bb.1851:                             ;   in Loop: Header=BB294_934 Depth=1
	v_dual_lshrrev_b32 v31, 3, v33 :: v_dual_bitop2_b32 v30, 7, v6 bitop3:0x40
	s_mov_b32 s18, exec_lo
	v_cmpx_gt_u32_e32 8, v33
; %bb.1852:                             ;   in Loop: Header=BB294_934 Depth=1
	s_delay_alu instid0(VALU_DEP_2) | instskip(NEXT) | instid1(VALU_DEP_1)
	v_clz_i32_u32_e32 v30, v30
	v_min_u32_e32 v33, 32, v30
	s_delay_alu instid0(VALU_DEP_1) | instskip(NEXT) | instid1(VALU_DEP_1)
	v_subrev_nc_u32_e32 v30, 28, v33
	v_lshlrev_b64_e32 v[30:31], v30, v[6:7]
	s_delay_alu instid0(VALU_DEP_1)
	v_dual_sub_nc_u32 v31, 29, v33 :: v_dual_bitop2_b32 v30, 7, v30 bitop3:0x40
; %bb.1853:                             ;   in Loop: Header=BB294_934 Depth=1
	s_or_b32 exec_lo, exec_lo, s18
	v_lshlrev_b32_e32 v6, 8, v6
	s_delay_alu instid0(VALU_DEP_2) | instskip(NEXT) | instid1(VALU_DEP_3)
	v_lshl_add_u32 v31, v31, 10, 0x2000
	v_lshlrev_b32_e32 v30, 23, v30
	s_delay_alu instid0(VALU_DEP_2) | instskip(NEXT) | instid1(VALU_DEP_1)
	v_and_or_b32 v6, 0x8000, v6, v31
	v_lshl_or_b32 v30, v6, 16, v30
.LBB294_1854:                           ;   in Loop: Header=BB294_934 Depth=1
	s_or_b32 exec_lo, exec_lo, s17
.LBB294_1855:                           ;   in Loop: Header=BB294_934 Depth=1
	s_delay_alu instid0(SALU_CYCLE_1)
	s_or_b32 exec_lo, exec_lo, s16
.LBB294_1856:                           ;   in Loop: Header=BB294_934 Depth=1
	s_delay_alu instid0(SALU_CYCLE_1) | instskip(SKIP_3) | instid1(VALU_DEP_3)
	s_or_b32 exec_lo, exec_lo, s15
	v_dual_lshrrev_b32 v6, 16, v1 :: v_dual_lshrrev_b32 v31, 16, v18
	v_or_b32_e32 v1, v1, v15
	v_dual_lshrrev_b32 v33, 16, v30 :: v_dual_bitop2_b32 v15, v18, v19 bitop3:0x54
	v_cvt_f32_f16_e32 v19, v6
	s_delay_alu instid0(VALU_DEP_4) | instskip(SKIP_1) | instid1(VALU_DEP_4)
	v_cvt_f32_f16_e32 v18, v31
	v_dual_lshrrev_b32 v23, 16, v32 :: v_dual_bitop2_b32 v6, v30, v23 bitop3:0x54
	v_cvt_f32_f16_e32 v30, v15
	v_cvt_f32_f16_e32 v31, v1
	s_wait_loadcnt_dscnt 0x0
	v_pk_mul_f32 v[18:19], v[14:15], v[18:19] op_sel_hi:[0,1]
	v_or_b32_e32 v15, v32, v22
	v_cvt_f32_f16_e32 v23, v23
	v_cvt_f32_f16_e32 v22, v33
	s_delay_alu instid0(VALU_DEP_4) | instskip(NEXT) | instid1(VALU_DEP_4)
	v_cvt_pk_f16_f32 v1, v18, v19
	v_cvt_f32_f16_e32 v33, v15
	v_pk_mul_f32 v[30:31], v[14:15], v[30:31] op_sel_hi:[0,1]
	s_delay_alu instid0(VALU_DEP_4) | instskip(NEXT) | instid1(VALU_DEP_4)
	v_pk_mul_f32 v[18:19], v[14:15], v[22:23] op_sel_hi:[0,1]
	v_lshlrev_b32_e32 v34, 16, v1
	v_cvt_f32_f16_e32 v32, v6
	s_delay_alu instid0(VALU_DEP_4) | instskip(SKIP_2) | instid1(VALU_DEP_4)
	v_cvt_pk_f16_f32 v6, v30, v31
	v_and_b32_e32 v35, 0xffff0000, v1
	v_cvt_pk_f16_f32 v18, v18, v19
	v_pk_mul_f32 v[14:15], v[14:15], v[32:33] op_sel_hi:[0,1]
	s_delay_alu instid0(VALU_DEP_4) | instskip(SKIP_1) | instid1(VALU_DEP_4)
	v_and_b32_e32 v36, 0xffff, v6
	v_lshrrev_b32_e32 v37, 16, v6
	v_and_b32_e32 v31, 0xffff0000, v18
	s_delay_alu instid0(VALU_DEP_4) | instskip(NEXT) | instid1(VALU_DEP_4)
	v_cvt_pk_f16_f32 v1, v14, v15
	v_dual_lshlrev_b32 v30, 16, v18 :: v_dual_bitop2_b32 v14, v34, v36 bitop3:0x54
	s_delay_alu instid0(VALU_DEP_4) | instskip(NEXT) | instid1(VALU_DEP_3)
	v_or_b32_e32 v19, v35, v37
	v_lshrrev_b32_e32 v33, 16, v1
	v_and_b32_e32 v32, 0xffff, v1
	s_delay_alu instid0(VALU_DEP_2) | instskip(NEXT) | instid1(VALU_DEP_2)
	v_or_b32_e32 v15, v31, v33
	v_or_b32_e32 v6, v30, v32
	s_and_saveexec_b32 s0, vcc_lo
	s_cbranch_execz .LBB294_933
; %bb.1857:                             ;   in Loop: Header=BB294_934 Depth=1
	v_cmp_lt_i32_e32 vcc_lo, v52, v13
	v_cndmask_b32_e32 v1, 0, v37, vcc_lo
	v_cmp_lt_i32_e32 vcc_lo, v68, v124
	v_cndmask_b32_e32 v6, 0, v36, vcc_lo
	;; [unrolled: 2-line block ×4, first 2 shown]
	v_cmp_lt_i32_e32 vcc_lo, v65, v13
	s_delay_alu instid0(VALU_DEP_4) | instskip(NEXT) | instid1(VALU_DEP_3)
	v_or_b32_e32 v19, v1, v14
	v_dual_cndmask_b32 v18, 0, v33, vcc_lo :: v_dual_bitop2_b32 v14, v6, v15 bitop3:0x54
	v_cmp_lt_i32_e32 vcc_lo, v64, v124
	v_cndmask_b32_e32 v22, 0, v32, vcc_lo
	v_cmp_lt_i32_e32 vcc_lo, v55, v13
	v_cndmask_b32_e32 v23, 0, v31, vcc_lo
	v_cmp_lt_i32_e32 vcc_lo, v0, v124
	s_delay_alu instid0(VALU_DEP_2) | instskip(NEXT) | instid1(VALU_DEP_1)
	v_dual_cndmask_b32 v0, 0, v30, vcc_lo :: v_dual_bitop2_b32 v15, v18, v23 bitop3:0x54
	v_or_b32_e32 v6, v22, v0
	s_branch .LBB294_933
.LBB294_1858:
	s_or_b32 exec_lo, exec_lo, s14
	v_mov_b64_e32 v[30:31], s[6:7]
.LBB294_1859:
	s_or_b32 exec_lo, exec_lo, s1
	ds_bpermute_b32 v12, v49, v24
	ds_bpermute_b32 v13, v49, v25
	v_lshl_add_u64 v[0:1], v[30:31], 2, s[8:9]
	ds_bpermute_b32 v16, v49, v8
	ds_bpermute_b32 v17, v49, v9
	s_wait_storecnt_dscnt 0x0
	s_barrier_signal -1
	s_barrier_wait -1
	global_load_b32 v0, v[0:1], off
	ds_bpermute_b32 v6, v49, v28
	ds_bpermute_b32 v7, v49, v29
	;; [unrolled: 1-line block ×10, first 2 shown]
	s_mov_b32 s0, exec_lo
	v_pk_add_f32 v[24:25], v[24:25], v[12:13]
	scratch_load_b32 v1, off, s32 offset:312 ; 4-byte Folded Reload
	v_pk_add_f32 v[32:33], v[8:9], v[16:17]
	ds_bpermute_b32 v30, v48, v24
	ds_bpermute_b32 v31, v48, v25
	;; [unrolled: 1-line block ×4, first 2 shown]
	s_wait_dscnt 0xc
	v_pk_add_f32 v[6:7], v[28:29], v[6:7]
	s_wait_dscnt 0xa
	v_pk_add_f32 v[10:11], v[26:27], v[10:11]
	;; [unrolled: 2-line block ×3, first 2 shown]
	ds_bpermute_b32 v26, v48, v6
	s_wait_dscnt 0x7
	v_pk_add_f32 v[18:19], v[4:5], v[18:19]
	ds_bpermute_b32 v27, v48, v7
	ds_bpermute_b32 v28, v48, v10
	;; [unrolled: 1-line block ×7, first 2 shown]
	s_wait_dscnt 0xc
	v_pk_add_f32 v[14:15], v[2:3], v[22:23]
	s_wait_dscnt 0xa
	v_pk_add_f32 v[8:9], v[24:25], v[30:31]
	scratch_load_b32 v24, off, s32 offset:320 ; 4-byte Folded Reload
	ds_bpermute_b32 v16, v48, v14
	ds_bpermute_b32 v17, v48, v15
	s_wait_dscnt 0x8
	v_pk_add_f32 v[12:13], v[6:7], v[26:27]
	s_wait_dscnt 0x6
	v_pk_add_f32 v[10:11], v[10:11], v[28:29]
	s_wait_dscnt 0x4
	v_pk_add_f32 v[6:7], v[20:21], v[4:5]
	v_pk_add_f32 v[4:5], v[32:33], v[34:35]
	s_wait_dscnt 0x2
	v_pk_add_f32 v[2:3], v[18:19], v[36:37]
	s_wait_loadcnt 0x1
	v_and_b32_e32 v1, 28, v1
	s_wait_loadcnt 0x0
	v_and_b32_e32 v22, 0x3c3, v24
	s_delay_alu instid0(VALU_DEP_1) | instskip(SKIP_1) | instid1(SALU_CYCLE_1)
	v_cmpx_ne_u32_e32 64, v22
	s_xor_b32 s0, exec_lo, s0
	s_or_saveexec_b32 s0, s0
	s_wait_dscnt 0x0
	v_pk_add_f32 v[14:15], v[14:15], v[16:17]
	s_clause 0x1
	scratch_load_b32 v16, off, s32 offset:312 th:TH_LOAD_LU
	scratch_load_b32 v17, off, s32 offset:316 th:TH_LOAD_LU
	s_wait_loadcnt 0x1
	v_dual_add_nc_u32 v1, v0, v1 :: v_dual_lshrrev_b32 v16, 2, v16
	s_wait_loadcnt 0x0
	v_mul_u32_u24_e32 v17, 0x1c0, v17
	s_xor_b32 exec_lo, exec_lo, s0
	s_cbranch_execz .LBB294_1861
; %bb.1860:
	s_delay_alu instid0(VALU_DEP_1) | instskip(NEXT) | instid1(VALU_DEP_1)
	v_add_nc_u32_e32 v18, v1, v17
	v_add_nc_u32_e32 v19, 0xfffffc80, v18
	;; [unrolled: 1-line block ×7, first 2 shown]
	ds_store_b32 v19, v12
	ds_store_b32 v20, v13
	;; [unrolled: 1-line block ×6, first 2 shown]
	scratch_load_b32 v24, off, s32 offset:320 ; 4-byte Folded Reload
	v_add_nc_u32_e32 v25, 0xfffffd40, v18
	v_add_nc_u32_e32 v19, 0xfffffd80, v18
	;; [unrolled: 1-line block ×7, first 2 shown]
	ds_store_b32 v25, v6
	ds_store_b32 v26, v7
	v_add_nc_u32_e32 v18, 0xfffffe20, v18
	ds_store_b32 v19, v4
	ds_store_b32 v20, v5
	;; [unrolled: 1-line block ×6, first 2 shown]
.LBB294_1861:
	s_wait_xcnt 0x0
	s_or_b32 exec_lo, exec_lo, s0
	v_lshlrev_b32_e32 v16, 2, v16
	s_mov_b32 s1, exec_lo
	v_cmp_eq_u32_e32 vcc_lo, 0, v50
	s_wait_loadcnt_dscnt 0x0
	s_barrier_signal -1
	v_add3_u32 v0, v0, v17, v16
	s_barrier_wait -1
	v_cmpx_gt_u32_e32 64, v24
	s_cbranch_execz .LBB294_1878
; %bb.1862:
	s_and_saveexec_b32 s0, vcc_lo
	s_cbranch_execnz .LBB294_1900
; %bb.1863:
	s_or_b32 exec_lo, exec_lo, s0
	s_and_saveexec_b32 s0, vcc_lo
	s_cbranch_execnz .LBB294_1901
.LBB294_1864:
	s_or_b32 exec_lo, exec_lo, s0
	s_and_saveexec_b32 s0, vcc_lo
	s_cbranch_execnz .LBB294_1902
.LBB294_1865:
	s_or_b32 exec_lo, exec_lo, s0
	s_and_saveexec_b32 s0, vcc_lo
	s_cbranch_execnz .LBB294_1903
.LBB294_1866:
	s_or_b32 exec_lo, exec_lo, s0
	s_and_saveexec_b32 s0, vcc_lo
	s_cbranch_execnz .LBB294_1904
.LBB294_1867:
	s_or_b32 exec_lo, exec_lo, s0
	s_and_saveexec_b32 s0, vcc_lo
	s_cbranch_execnz .LBB294_1905
.LBB294_1868:
	s_or_b32 exec_lo, exec_lo, s0
	s_and_saveexec_b32 s0, vcc_lo
	s_cbranch_execnz .LBB294_1906
.LBB294_1869:
	s_or_b32 exec_lo, exec_lo, s0
	s_and_saveexec_b32 s0, vcc_lo
	s_cbranch_execnz .LBB294_1907
.LBB294_1870:
	s_or_b32 exec_lo, exec_lo, s0
	s_and_saveexec_b32 s0, vcc_lo
	s_cbranch_execnz .LBB294_1908
.LBB294_1871:
	s_or_b32 exec_lo, exec_lo, s0
	s_and_saveexec_b32 s0, vcc_lo
	s_cbranch_execnz .LBB294_1909
.LBB294_1872:
	s_or_b32 exec_lo, exec_lo, s0
	s_and_saveexec_b32 s0, vcc_lo
	s_cbranch_execnz .LBB294_1910
.LBB294_1873:
	s_or_b32 exec_lo, exec_lo, s0
	s_and_saveexec_b32 s0, vcc_lo
	s_cbranch_execnz .LBB294_1911
.LBB294_1874:
	s_or_b32 exec_lo, exec_lo, s0
	s_and_saveexec_b32 s0, vcc_lo
	s_cbranch_execnz .LBB294_1912
.LBB294_1875:
	s_or_b32 exec_lo, exec_lo, s0
	s_and_saveexec_b32 s0, vcc_lo
	s_cbranch_execz .LBB294_1877
.LBB294_1876:
	ds_load_b32 v16, v0 offset:416
	s_wait_dscnt 0x0
	v_add_f32_e32 v15, v16, v15
.LBB294_1877:
	s_or_b32 exec_lo, exec_lo, s0
.LBB294_1878:
	s_delay_alu instid0(SALU_CYCLE_1) | instskip(SKIP_4) | instid1(VALU_DEP_1)
	s_or_b32 exec_lo, exec_lo, s1
	v_and_b32_e32 v16, 0x3e3, v24
	s_mov_b32 s1, exec_lo
	s_barrier_signal -1
	s_barrier_wait -1
	v_cmpx_eq_u32_e32 32, v16
	s_cbranch_execz .LBB294_1880
; %bb.1879:
	ds_store_2addr_b32 v1, v12, v13 offset1:8
	ds_store_2addr_b32 v1, v10, v11 offset0:16 offset1:24
	ds_store_2addr_b32 v1, v8, v9 offset0:32 offset1:40
	;; [unrolled: 1-line block ×6, first 2 shown]
.LBB294_1880:
	s_or_b32 exec_lo, exec_lo, s1
	s_delay_alu instid0(SALU_CYCLE_1)
	s_mov_b32 s1, exec_lo
	s_wait_dscnt 0x0
	s_barrier_signal -1
	s_barrier_wait -1
	v_cmpx_gt_u32_e32 32, v24
	s_cbranch_execz .LBB294_1897
; %bb.1881:
	s_and_saveexec_b32 s0, vcc_lo
	s_cbranch_execnz .LBB294_1913
; %bb.1882:
	s_or_b32 exec_lo, exec_lo, s0
	s_and_saveexec_b32 s0, vcc_lo
	s_cbranch_execnz .LBB294_1914
.LBB294_1883:
	s_or_b32 exec_lo, exec_lo, s0
	s_and_saveexec_b32 s0, vcc_lo
	s_cbranch_execnz .LBB294_1915
.LBB294_1884:
	s_or_b32 exec_lo, exec_lo, s0
	s_and_saveexec_b32 s0, vcc_lo
	s_cbranch_execnz .LBB294_1916
.LBB294_1885:
	s_or_b32 exec_lo, exec_lo, s0
	s_and_saveexec_b32 s0, vcc_lo
	s_cbranch_execnz .LBB294_1917
.LBB294_1886:
	s_or_b32 exec_lo, exec_lo, s0
	s_and_saveexec_b32 s0, vcc_lo
	s_cbranch_execnz .LBB294_1918
.LBB294_1887:
	s_or_b32 exec_lo, exec_lo, s0
	s_and_saveexec_b32 s0, vcc_lo
	s_cbranch_execnz .LBB294_1919
.LBB294_1888:
	s_or_b32 exec_lo, exec_lo, s0
	s_and_saveexec_b32 s0, vcc_lo
	s_cbranch_execnz .LBB294_1920
.LBB294_1889:
	s_or_b32 exec_lo, exec_lo, s0
	s_and_saveexec_b32 s0, vcc_lo
	s_cbranch_execnz .LBB294_1921
.LBB294_1890:
	s_or_b32 exec_lo, exec_lo, s0
	s_and_saveexec_b32 s0, vcc_lo
	s_cbranch_execnz .LBB294_1922
.LBB294_1891:
	s_or_b32 exec_lo, exec_lo, s0
	s_and_saveexec_b32 s0, vcc_lo
	s_cbranch_execnz .LBB294_1923
.LBB294_1892:
	s_or_b32 exec_lo, exec_lo, s0
	s_and_saveexec_b32 s0, vcc_lo
	s_cbranch_execnz .LBB294_1924
.LBB294_1893:
	s_or_b32 exec_lo, exec_lo, s0
	s_and_saveexec_b32 s0, vcc_lo
	s_cbranch_execnz .LBB294_1925
.LBB294_1894:
	s_or_b32 exec_lo, exec_lo, s0
	s_and_saveexec_b32 s0, vcc_lo
	s_cbranch_execz .LBB294_1896
.LBB294_1895:
	ds_load_b32 v0, v0 offset:416
	s_wait_dscnt 0x0
	v_add_f32_e32 v15, v0, v15
.LBB294_1896:
	s_or_b32 exec_lo, exec_lo, s0
.LBB294_1897:
	s_delay_alu instid0(SALU_CYCLE_1)
	s_or_b32 exec_lo, exec_lo, s1
	s_mov_b32 s1, 0
	s_mov_b32 s2, exec_lo
	s_barrier_signal -1
	s_barrier_wait -1
	v_cmpx_eq_u32_e32 0, v16
	s_cbranch_execz .LBB294_1899
; %bb.1898:
	scratch_load_b64 v[0:1], off, s32 offset:352 th:TH_LOAD_LU ; 8-byte Folded Reload
	s_and_b32 s0, 0xffff, s13
	v_dual_mov_b32 v17, 0 :: v_dual_lshrrev_b32 v16, 1, v24
	s_cmp_lg_u32 s0, 0
	;;#ASMSTART
	v_cvt_f16_f32 v12, v12;

	;;#ASMEND
	s_cselect_b32 s0, -1, 0
	s_delay_alu instid0(SALU_CYCLE_1)
	s_cmp_lg_u32 s0, 0
	s_wait_kmcnt 0x0
	s_add_co_ci_u32 s0, s5, 0
	s_bfe_u32 s8, ttmp6, 0x40014
	s_mul_i32 s5, s0, s11
	s_lshr_b32 s3, ttmp7, 16
	s_mul_i32 s5, s5, s12
	s_add_co_i32 s8, s8, 1
	s_mul_i32 s6, s5, 0x70
	s_bfe_u32 s9, ttmp6, 0x40008
	s_ashr_i32 s7, s6, 31
	s_mul_i32 s4, s4, s0
	s_mul_i32 s0, s3, s8
	s_ashr_i32 s5, s4, 31
	s_add_co_i32 s9, s9, s0
	s_cmp_eq_u32 s10, 0
	s_cselect_b32 s0, s3, s9
	s_delay_alu instid0(SALU_CYCLE_1) | instskip(SKIP_2) | instid1(VALU_DEP_1)
	s_mulk_i32 s0, 0xe0
	s_wait_loadcnt 0x0
	v_lshl_add_u64 v[0:1], s[6:7], 1, v[0:1]
	v_lshl_add_u64 v[0:1], s[4:5], 1, v[0:1]
	s_delay_alu instid0(VALU_DEP_1) | instskip(NEXT) | instid1(VALU_DEP_1)
	v_add_nc_u64_e32 v[0:1], s[0:1], v[0:1]
	v_add_nc_u64_e32 v[0:1], v[0:1], v[16:17]
	flat_store_b16 v[0:1], v12
	s_wait_xcnt 0x0
	;;#ASMSTART
	v_cvt_f16_f32 v12, v13;

	;;#ASMEND
	flat_store_b16 v[0:1], v12 offset:16
	;;#ASMSTART
	v_cvt_f16_f32 v10, v10;

	;;#ASMEND
	flat_store_b16 v[0:1], v10 offset:32
	s_wait_xcnt 0x0
	;;#ASMSTART
	v_cvt_f16_f32 v10, v11;

	;;#ASMEND
	flat_store_b16 v[0:1], v10 offset:48
	;;#ASMSTART
	v_cvt_f16_f32 v8, v8;

	;;#ASMEND
	flat_store_b16 v[0:1], v8 offset:64
	;; [unrolled: 11-line block ×5, first 2 shown]
	s_wait_xcnt 0x0
	;;#ASMSTART
	v_cvt_f16_f32 v2, v3;

	;;#ASMEND
	flat_store_b16 v[0:1], v2 offset:176
	s_wait_xcnt 0x0
	;;#ASMSTART
	v_cvt_f16_f32 v2, v14;

	;;#ASMEND
	flat_store_b16 v[0:1], v2 offset:192
	;; [unrolled: 6-line block ×3, first 2 shown]
.LBB294_1899:
	s_wait_xcnt 0x0
	s_or_b32 exec_lo, exec_lo, s2
	s_clause 0x2f
	scratch_load_b32 v127, off, s32
	scratch_load_b32 v126, off, s32 offset:4
	scratch_load_b32 v125, off, s32 offset:8
	;; [unrolled: 1-line block ×47, first 2 shown]
	s_wait_loadcnt_dscnt 0x0
	s_wait_kmcnt 0x0
	s_set_pc_i64 s[30:31]
.LBB294_1900:
	ds_load_b32 v16, v0
	s_wait_dscnt 0x0
	v_add_f32_e32 v12, v16, v12
	s_or_b32 exec_lo, exec_lo, s0
	s_and_saveexec_b32 s0, vcc_lo
	s_cbranch_execz .LBB294_1864
.LBB294_1901:
	ds_load_b32 v16, v0 offset:32
	s_wait_dscnt 0x0
	v_add_f32_e32 v13, v16, v13
	s_or_b32 exec_lo, exec_lo, s0
	s_and_saveexec_b32 s0, vcc_lo
	s_cbranch_execz .LBB294_1865
.LBB294_1902:
	ds_load_b32 v16, v0 offset:64
	s_wait_dscnt 0x0
	v_add_f32_e32 v10, v16, v10
	s_or_b32 exec_lo, exec_lo, s0
	s_and_saveexec_b32 s0, vcc_lo
	s_cbranch_execz .LBB294_1866
.LBB294_1903:
	ds_load_b32 v16, v0 offset:96
	s_wait_dscnt 0x0
	v_add_f32_e32 v11, v16, v11
	s_or_b32 exec_lo, exec_lo, s0
	s_and_saveexec_b32 s0, vcc_lo
	s_cbranch_execz .LBB294_1867
.LBB294_1904:
	ds_load_b32 v16, v0 offset:128
	s_wait_dscnt 0x0
	v_add_f32_e32 v8, v16, v8
	s_or_b32 exec_lo, exec_lo, s0
	s_and_saveexec_b32 s0, vcc_lo
	s_cbranch_execz .LBB294_1868
.LBB294_1905:
	ds_load_b32 v16, v0 offset:160
	s_wait_dscnt 0x0
	v_add_f32_e32 v9, v16, v9
	s_or_b32 exec_lo, exec_lo, s0
	s_and_saveexec_b32 s0, vcc_lo
	s_cbranch_execz .LBB294_1869
.LBB294_1906:
	ds_load_b32 v16, v0 offset:192
	s_wait_dscnt 0x0
	v_add_f32_e32 v6, v16, v6
	s_or_b32 exec_lo, exec_lo, s0
	s_and_saveexec_b32 s0, vcc_lo
	s_cbranch_execz .LBB294_1870
.LBB294_1907:
	ds_load_b32 v16, v0 offset:224
	s_wait_dscnt 0x0
	v_add_f32_e32 v7, v16, v7
	s_or_b32 exec_lo, exec_lo, s0
	s_and_saveexec_b32 s0, vcc_lo
	s_cbranch_execz .LBB294_1871
.LBB294_1908:
	ds_load_b32 v16, v0 offset:256
	s_wait_dscnt 0x0
	v_add_f32_e32 v4, v16, v4
	s_or_b32 exec_lo, exec_lo, s0
	s_and_saveexec_b32 s0, vcc_lo
	s_cbranch_execz .LBB294_1872
.LBB294_1909:
	ds_load_b32 v16, v0 offset:288
	s_wait_dscnt 0x0
	v_add_f32_e32 v5, v16, v5
	s_or_b32 exec_lo, exec_lo, s0
	s_and_saveexec_b32 s0, vcc_lo
	s_cbranch_execz .LBB294_1873
.LBB294_1910:
	ds_load_b32 v16, v0 offset:320
	s_wait_dscnt 0x0
	v_add_f32_e32 v2, v16, v2
	s_or_b32 exec_lo, exec_lo, s0
	s_and_saveexec_b32 s0, vcc_lo
	s_cbranch_execz .LBB294_1874
.LBB294_1911:
	ds_load_b32 v16, v0 offset:352
	s_wait_dscnt 0x0
	v_add_f32_e32 v3, v16, v3
	s_or_b32 exec_lo, exec_lo, s0
	s_and_saveexec_b32 s0, vcc_lo
	s_cbranch_execz .LBB294_1875
.LBB294_1912:
	ds_load_b32 v16, v0 offset:384
	s_wait_dscnt 0x0
	v_add_f32_e32 v14, v16, v14
	s_or_b32 exec_lo, exec_lo, s0
	s_and_saveexec_b32 s0, vcc_lo
	s_cbranch_execnz .LBB294_1876
	s_branch .LBB294_1877
.LBB294_1913:
	ds_load_b32 v1, v0
	s_wait_dscnt 0x0
	v_add_f32_e32 v12, v1, v12
	s_or_b32 exec_lo, exec_lo, s0
	s_and_saveexec_b32 s0, vcc_lo
	s_cbranch_execz .LBB294_1883
.LBB294_1914:
	ds_load_b32 v1, v0 offset:32
	s_wait_dscnt 0x0
	v_add_f32_e32 v13, v1, v13
	s_or_b32 exec_lo, exec_lo, s0
	s_and_saveexec_b32 s0, vcc_lo
	s_cbranch_execz .LBB294_1884
.LBB294_1915:
	ds_load_b32 v1, v0 offset:64
	s_wait_dscnt 0x0
	v_add_f32_e32 v10, v1, v10
	s_or_b32 exec_lo, exec_lo, s0
	s_and_saveexec_b32 s0, vcc_lo
	s_cbranch_execz .LBB294_1885
.LBB294_1916:
	ds_load_b32 v1, v0 offset:96
	s_wait_dscnt 0x0
	v_add_f32_e32 v11, v1, v11
	s_or_b32 exec_lo, exec_lo, s0
	s_and_saveexec_b32 s0, vcc_lo
	s_cbranch_execz .LBB294_1886
.LBB294_1917:
	ds_load_b32 v1, v0 offset:128
	s_wait_dscnt 0x0
	v_add_f32_e32 v8, v1, v8
	s_or_b32 exec_lo, exec_lo, s0
	s_and_saveexec_b32 s0, vcc_lo
	s_cbranch_execz .LBB294_1887
.LBB294_1918:
	ds_load_b32 v1, v0 offset:160
	s_wait_dscnt 0x0
	v_add_f32_e32 v9, v1, v9
	s_or_b32 exec_lo, exec_lo, s0
	s_and_saveexec_b32 s0, vcc_lo
	s_cbranch_execz .LBB294_1888
.LBB294_1919:
	ds_load_b32 v1, v0 offset:192
	s_wait_dscnt 0x0
	v_add_f32_e32 v6, v1, v6
	s_or_b32 exec_lo, exec_lo, s0
	s_and_saveexec_b32 s0, vcc_lo
	s_cbranch_execz .LBB294_1889
.LBB294_1920:
	ds_load_b32 v1, v0 offset:224
	s_wait_dscnt 0x0
	v_add_f32_e32 v7, v1, v7
	s_or_b32 exec_lo, exec_lo, s0
	s_and_saveexec_b32 s0, vcc_lo
	s_cbranch_execz .LBB294_1890
.LBB294_1921:
	ds_load_b32 v1, v0 offset:256
	s_wait_dscnt 0x0
	v_add_f32_e32 v4, v1, v4
	s_or_b32 exec_lo, exec_lo, s0
	s_and_saveexec_b32 s0, vcc_lo
	s_cbranch_execz .LBB294_1891
.LBB294_1922:
	ds_load_b32 v1, v0 offset:288
	s_wait_dscnt 0x0
	v_add_f32_e32 v5, v1, v5
	s_or_b32 exec_lo, exec_lo, s0
	s_and_saveexec_b32 s0, vcc_lo
	s_cbranch_execz .LBB294_1892
.LBB294_1923:
	ds_load_b32 v1, v0 offset:320
	s_wait_dscnt 0x0
	v_add_f32_e32 v2, v1, v2
	s_or_b32 exec_lo, exec_lo, s0
	s_and_saveexec_b32 s0, vcc_lo
	s_cbranch_execz .LBB294_1893
.LBB294_1924:
	ds_load_b32 v1, v0 offset:352
	s_wait_dscnt 0x0
	v_add_f32_e32 v3, v1, v3
	s_or_b32 exec_lo, exec_lo, s0
	s_and_saveexec_b32 s0, vcc_lo
	s_cbranch_execz .LBB294_1894
.LBB294_1925:
	ds_load_b32 v1, v0 offset:384
	s_wait_dscnt 0x0
	v_add_f32_e32 v14, v1, v14
	s_or_b32 exec_lo, exec_lo, s0
	s_and_saveexec_b32 s0, vcc_lo
	s_cbranch_execnz .LBB294_1895
	s_branch .LBB294_1896
.Lfunc_end294:
	.size	_ZN4vllm22paged_attention_kernelIthLi112ELi32ELi128ELNS_18Fp8KVCacheDataTypeE1ELb0ELi0EEEvPfS2_PT_PKS3_PKT0_S9_ifPKiSB_iPKfiiiSD_SD_iiiii, .Lfunc_end294-_ZN4vllm22paged_attention_kernelIthLi112ELi32ELi128ELNS_18Fp8KVCacheDataTypeE1ELb0ELi0EEEvPfS2_PT_PKS3_PKT0_S9_ifPKiSB_iPKfiiiSD_SD_iiiii
                                        ; -- End function
	.set .L_ZN4vllm22paged_attention_kernelIthLi112ELi32ELi128ELNS_18Fp8KVCacheDataTypeE1ELb0ELi0EEEvPfS2_PT_PKS3_PKT0_S9_ifPKiSB_iPKfiiiSD_SD_iiiii.num_vgpr, 128
	.set .L_ZN4vllm22paged_attention_kernelIthLi112ELi32ELi128ELNS_18Fp8KVCacheDataTypeE1ELb0ELi0EEEvPfS2_PT_PKS3_PKT0_S9_ifPKiSB_iPKfiiiSD_SD_iiiii.num_agpr, 0
	.set .L_ZN4vllm22paged_attention_kernelIthLi112ELi32ELi128ELNS_18Fp8KVCacheDataTypeE1ELb0ELi0EEEvPfS2_PT_PKS3_PKT0_S9_ifPKiSB_iPKfiiiSD_SD_iiiii.numbered_sgpr, 33
	.set .L_ZN4vllm22paged_attention_kernelIthLi112ELi32ELi128ELNS_18Fp8KVCacheDataTypeE1ELb0ELi0EEEvPfS2_PT_PKS3_PKT0_S9_ifPKiSB_iPKfiiiSD_SD_iiiii.num_named_barrier, 0
	.set .L_ZN4vllm22paged_attention_kernelIthLi112ELi32ELi128ELNS_18Fp8KVCacheDataTypeE1ELb0ELi0EEEvPfS2_PT_PKS3_PKT0_S9_ifPKiSB_iPKfiiiSD_SD_iiiii.private_seg_size, 376
	.set .L_ZN4vllm22paged_attention_kernelIthLi112ELi32ELi128ELNS_18Fp8KVCacheDataTypeE1ELb0ELi0EEEvPfS2_PT_PKS3_PKT0_S9_ifPKiSB_iPKfiiiSD_SD_iiiii.uses_vcc, 1
	.set .L_ZN4vllm22paged_attention_kernelIthLi112ELi32ELi128ELNS_18Fp8KVCacheDataTypeE1ELb0ELi0EEEvPfS2_PT_PKS3_PKT0_S9_ifPKiSB_iPKfiiiSD_SD_iiiii.uses_flat_scratch, 1
	.set .L_ZN4vllm22paged_attention_kernelIthLi112ELi32ELi128ELNS_18Fp8KVCacheDataTypeE1ELb0ELi0EEEvPfS2_PT_PKS3_PKT0_S9_ifPKiSB_iPKfiiiSD_SD_iiiii.has_dyn_sized_stack, 0
	.set .L_ZN4vllm22paged_attention_kernelIthLi112ELi32ELi128ELNS_18Fp8KVCacheDataTypeE1ELb0ELi0EEEvPfS2_PT_PKS3_PKT0_S9_ifPKiSB_iPKfiiiSD_SD_iiiii.has_recursion, 0
	.set .L_ZN4vllm22paged_attention_kernelIthLi112ELi32ELi128ELNS_18Fp8KVCacheDataTypeE1ELb0ELi0EEEvPfS2_PT_PKS3_PKT0_S9_ifPKiSB_iPKfiiiSD_SD_iiiii.has_indirect_call, 0
	.section	.AMDGPU.csdata,"",@progbits
; Function info:
; codeLenInByte = 75420
; TotalNumSgprs: 35
; NumVgprs: 128
; ScratchSize: 376
; MemoryBound: 0
	.section	.text._ZN4vllm25paged_attention_v1_kernelIthLi112ELi32ELi128ELNS_18Fp8KVCacheDataTypeE1ELb0EEEvPT_PKS2_PKT0_S8_ifPKiSA_iPKfiiiSC_SC_iiiii,"axG",@progbits,_ZN4vllm25paged_attention_v1_kernelIthLi112ELi32ELi128ELNS_18Fp8KVCacheDataTypeE1ELb0EEEvPT_PKS2_PKT0_S8_ifPKiSA_iPKfiiiSC_SC_iiiii,comdat
	.protected	_ZN4vllm25paged_attention_v1_kernelIthLi112ELi32ELi128ELNS_18Fp8KVCacheDataTypeE1ELb0EEEvPT_PKS2_PKT0_S8_ifPKiSA_iPKfiiiSC_SC_iiiii ; -- Begin function _ZN4vllm25paged_attention_v1_kernelIthLi112ELi32ELi128ELNS_18Fp8KVCacheDataTypeE1ELb0EEEvPT_PKS2_PKT0_S8_ifPKiSA_iPKfiiiSC_SC_iiiii
	.globl	_ZN4vllm25paged_attention_v1_kernelIthLi112ELi32ELi128ELNS_18Fp8KVCacheDataTypeE1ELb0EEEvPT_PKS2_PKT0_S8_ifPKiSA_iPKfiiiSC_SC_iiiii
	.p2align	8
	.type	_ZN4vllm25paged_attention_v1_kernelIthLi112ELi32ELi128ELNS_18Fp8KVCacheDataTypeE1ELb0EEEvPT_PKS2_PKT0_S8_ifPKiSA_iPKfiiiSC_SC_iiiii,@function
_ZN4vllm25paged_attention_v1_kernelIthLi112ELi32ELi128ELNS_18Fp8KVCacheDataTypeE1ELb0EEEvPT_PKS2_PKT0_S8_ifPKiSA_iPKfiiiSC_SC_iiiii: ; @_ZN4vllm25paged_attention_v1_kernelIthLi112ELi32ELi128ELNS_18Fp8KVCacheDataTypeE1ELb0EEEvPT_PKS2_PKT0_S8_ifPKiSA_iPKfiiiSC_SC_iiiii
; %bb.0:
	s_clause 0x5
	s_load_b256 s[12:19], s[0:1], 0x0
	s_load_b128 s[4:7], s[0:1], 0x20
	s_load_b96 s[20:22], s[0:1], 0x30
	s_load_b64 s[10:11], s[0:1], 0x40
	s_load_b96 s[28:30], s[0:1], 0x48
	s_load_b128 s[24:27], s[0:1], 0x58
	v_mov_b32_e32 v31, v0
	s_get_pc_i64 s[2:3]
	s_add_nc_u64 s[2:3], s[2:3], _ZN4vllm22paged_attention_kernelIthLi112ELi32ELi128ELNS_18Fp8KVCacheDataTypeE1ELb0ELi0EEEvPfS2_PT_PKS3_PKT0_S9_ifPKiSB_iPKfiiiSD_SD_iiiii@rel64+4
	s_add_nc_u64 s[8:9], s[0:1], 0x80
	s_mov_b32 s32, 0
	s_wait_kmcnt 0x0
	v_dual_mov_b32 v0, s12 :: v_dual_mov_b32 v1, s13
	v_dual_mov_b32 v2, s14 :: v_dual_mov_b32 v3, s15
	;; [unrolled: 1-line block ×12, first 2 shown]
	s_mov_b32 s15, 34
	s_swap_pc_i64 s[30:31], s[2:3]
	s_endpgm
	.section	.rodata,"a",@progbits
	.p2align	6, 0x0
	.amdhsa_kernel _ZN4vllm25paged_attention_v1_kernelIthLi112ELi32ELi128ELNS_18Fp8KVCacheDataTypeE1ELb0EEEvPT_PKS2_PKT0_S8_ifPKiSA_iPKfiiiSC_SC_iiiii
		.amdhsa_group_segment_fixed_size 256
		.amdhsa_private_segment_fixed_size 376
		.amdhsa_kernarg_size 384
		.amdhsa_user_sgpr_count 2
		.amdhsa_user_sgpr_dispatch_ptr 0
		.amdhsa_user_sgpr_queue_ptr 0
		.amdhsa_user_sgpr_kernarg_segment_ptr 1
		.amdhsa_user_sgpr_dispatch_id 0
		.amdhsa_user_sgpr_kernarg_preload_length 0
		.amdhsa_user_sgpr_kernarg_preload_offset 0
		.amdhsa_user_sgpr_private_segment_size 0
		.amdhsa_wavefront_size32 1
		.amdhsa_uses_dynamic_stack 0
		.amdhsa_enable_private_segment 1
		.amdhsa_system_sgpr_workgroup_id_x 1
		.amdhsa_system_sgpr_workgroup_id_y 1
		.amdhsa_system_sgpr_workgroup_id_z 1
		.amdhsa_system_sgpr_workgroup_info 0
		.amdhsa_system_vgpr_workitem_id 0
		.amdhsa_next_free_vgpr 128
		.amdhsa_next_free_sgpr 33
		.amdhsa_named_barrier_count 0
		.amdhsa_reserve_vcc 1
		.amdhsa_float_round_mode_32 0
		.amdhsa_float_round_mode_16_64 0
		.amdhsa_float_denorm_mode_32 3
		.amdhsa_float_denorm_mode_16_64 3
		.amdhsa_fp16_overflow 0
		.amdhsa_memory_ordered 1
		.amdhsa_forward_progress 1
		.amdhsa_inst_pref_size 2
		.amdhsa_round_robin_scheduling 0
		.amdhsa_exception_fp_ieee_invalid_op 0
		.amdhsa_exception_fp_denorm_src 0
		.amdhsa_exception_fp_ieee_div_zero 0
		.amdhsa_exception_fp_ieee_overflow 0
		.amdhsa_exception_fp_ieee_underflow 0
		.amdhsa_exception_fp_ieee_inexact 0
		.amdhsa_exception_int_div_zero 0
	.end_amdhsa_kernel
	.section	.text._ZN4vllm25paged_attention_v1_kernelIthLi112ELi32ELi128ELNS_18Fp8KVCacheDataTypeE1ELb0EEEvPT_PKS2_PKT0_S8_ifPKiSA_iPKfiiiSC_SC_iiiii,"axG",@progbits,_ZN4vllm25paged_attention_v1_kernelIthLi112ELi32ELi128ELNS_18Fp8KVCacheDataTypeE1ELb0EEEvPT_PKS2_PKT0_S8_ifPKiSA_iPKfiiiSC_SC_iiiii,comdat
.Lfunc_end295:
	.size	_ZN4vllm25paged_attention_v1_kernelIthLi112ELi32ELi128ELNS_18Fp8KVCacheDataTypeE1ELb0EEEvPT_PKS2_PKT0_S8_ifPKiSA_iPKfiiiSC_SC_iiiii, .Lfunc_end295-_ZN4vllm25paged_attention_v1_kernelIthLi112ELi32ELi128ELNS_18Fp8KVCacheDataTypeE1ELb0EEEvPT_PKS2_PKT0_S8_ifPKiSA_iPKfiiiSC_SC_iiiii
                                        ; -- End function
	.set _ZN4vllm25paged_attention_v1_kernelIthLi112ELi32ELi128ELNS_18Fp8KVCacheDataTypeE1ELb0EEEvPT_PKS2_PKT0_S8_ifPKiSA_iPKfiiiSC_SC_iiiii.num_vgpr, max(32, .L_ZN4vllm22paged_attention_kernelIthLi112ELi32ELi128ELNS_18Fp8KVCacheDataTypeE1ELb0ELi0EEEvPfS2_PT_PKS3_PKT0_S9_ifPKiSB_iPKfiiiSD_SD_iiiii.num_vgpr)
	.set _ZN4vllm25paged_attention_v1_kernelIthLi112ELi32ELi128ELNS_18Fp8KVCacheDataTypeE1ELb0EEEvPT_PKS2_PKT0_S8_ifPKiSA_iPKfiiiSC_SC_iiiii.num_agpr, max(0, .L_ZN4vllm22paged_attention_kernelIthLi112ELi32ELi128ELNS_18Fp8KVCacheDataTypeE1ELb0ELi0EEEvPfS2_PT_PKS3_PKT0_S9_ifPKiSB_iPKfiiiSD_SD_iiiii.num_agpr)
	.set _ZN4vllm25paged_attention_v1_kernelIthLi112ELi32ELi128ELNS_18Fp8KVCacheDataTypeE1ELb0EEEvPT_PKS2_PKT0_S8_ifPKiSA_iPKfiiiSC_SC_iiiii.numbered_sgpr, max(33, .L_ZN4vllm22paged_attention_kernelIthLi112ELi32ELi128ELNS_18Fp8KVCacheDataTypeE1ELb0ELi0EEEvPfS2_PT_PKS3_PKT0_S9_ifPKiSB_iPKfiiiSD_SD_iiiii.numbered_sgpr)
	.set _ZN4vllm25paged_attention_v1_kernelIthLi112ELi32ELi128ELNS_18Fp8KVCacheDataTypeE1ELb0EEEvPT_PKS2_PKT0_S8_ifPKiSA_iPKfiiiSC_SC_iiiii.num_named_barrier, max(0, .L_ZN4vllm22paged_attention_kernelIthLi112ELi32ELi128ELNS_18Fp8KVCacheDataTypeE1ELb0ELi0EEEvPfS2_PT_PKS3_PKT0_S9_ifPKiSB_iPKfiiiSD_SD_iiiii.num_named_barrier)
	.set _ZN4vllm25paged_attention_v1_kernelIthLi112ELi32ELi128ELNS_18Fp8KVCacheDataTypeE1ELb0EEEvPT_PKS2_PKT0_S8_ifPKiSA_iPKfiiiSC_SC_iiiii.private_seg_size, 0+max(.L_ZN4vllm22paged_attention_kernelIthLi112ELi32ELi128ELNS_18Fp8KVCacheDataTypeE1ELb0ELi0EEEvPfS2_PT_PKS3_PKT0_S9_ifPKiSB_iPKfiiiSD_SD_iiiii.private_seg_size)
	.set _ZN4vllm25paged_attention_v1_kernelIthLi112ELi32ELi128ELNS_18Fp8KVCacheDataTypeE1ELb0EEEvPT_PKS2_PKT0_S8_ifPKiSA_iPKfiiiSC_SC_iiiii.uses_vcc, or(1, .L_ZN4vllm22paged_attention_kernelIthLi112ELi32ELi128ELNS_18Fp8KVCacheDataTypeE1ELb0ELi0EEEvPfS2_PT_PKS3_PKT0_S9_ifPKiSB_iPKfiiiSD_SD_iiiii.uses_vcc)
	.set _ZN4vllm25paged_attention_v1_kernelIthLi112ELi32ELi128ELNS_18Fp8KVCacheDataTypeE1ELb0EEEvPT_PKS2_PKT0_S8_ifPKiSA_iPKfiiiSC_SC_iiiii.uses_flat_scratch, or(0, .L_ZN4vllm22paged_attention_kernelIthLi112ELi32ELi128ELNS_18Fp8KVCacheDataTypeE1ELb0ELi0EEEvPfS2_PT_PKS3_PKT0_S9_ifPKiSB_iPKfiiiSD_SD_iiiii.uses_flat_scratch)
	.set _ZN4vllm25paged_attention_v1_kernelIthLi112ELi32ELi128ELNS_18Fp8KVCacheDataTypeE1ELb0EEEvPT_PKS2_PKT0_S8_ifPKiSA_iPKfiiiSC_SC_iiiii.has_dyn_sized_stack, or(0, .L_ZN4vllm22paged_attention_kernelIthLi112ELi32ELi128ELNS_18Fp8KVCacheDataTypeE1ELb0ELi0EEEvPfS2_PT_PKS3_PKT0_S9_ifPKiSB_iPKfiiiSD_SD_iiiii.has_dyn_sized_stack)
	.set _ZN4vllm25paged_attention_v1_kernelIthLi112ELi32ELi128ELNS_18Fp8KVCacheDataTypeE1ELb0EEEvPT_PKS2_PKT0_S8_ifPKiSA_iPKfiiiSC_SC_iiiii.has_recursion, or(0, .L_ZN4vllm22paged_attention_kernelIthLi112ELi32ELi128ELNS_18Fp8KVCacheDataTypeE1ELb0ELi0EEEvPfS2_PT_PKS3_PKT0_S9_ifPKiSB_iPKfiiiSD_SD_iiiii.has_recursion)
	.set _ZN4vllm25paged_attention_v1_kernelIthLi112ELi32ELi128ELNS_18Fp8KVCacheDataTypeE1ELb0EEEvPT_PKS2_PKT0_S8_ifPKiSA_iPKfiiiSC_SC_iiiii.has_indirect_call, or(0, .L_ZN4vllm22paged_attention_kernelIthLi112ELi32ELi128ELNS_18Fp8KVCacheDataTypeE1ELb0ELi0EEEvPfS2_PT_PKS3_PKT0_S9_ifPKiSB_iPKfiiiSD_SD_iiiii.has_indirect_call)
	.section	.AMDGPU.csdata,"",@progbits
; Kernel info:
; codeLenInByte = 196
; TotalNumSgprs: 35
; NumVgprs: 128
; ScratchSize: 376
; MemoryBound: 0
; FloatMode: 240
; IeeeMode: 1
; LDSByteSize: 256 bytes/workgroup (compile time only)
; SGPRBlocks: 0
; VGPRBlocks: 7
; NumSGPRsForWavesPerEU: 35
; NumVGPRsForWavesPerEU: 128
; NamedBarCnt: 0
; Occupancy: 8
; WaveLimiterHint : 1
; COMPUTE_PGM_RSRC2:SCRATCH_EN: 1
; COMPUTE_PGM_RSRC2:USER_SGPR: 2
; COMPUTE_PGM_RSRC2:TRAP_HANDLER: 0
; COMPUTE_PGM_RSRC2:TGID_X_EN: 1
; COMPUTE_PGM_RSRC2:TGID_Y_EN: 1
; COMPUTE_PGM_RSRC2:TGID_Z_EN: 1
; COMPUTE_PGM_RSRC2:TIDIG_COMP_CNT: 0
	.text
	.p2align	2                               ; -- Begin function _ZN4vllm22paged_attention_kernelIthLi120ELi32ELi128ELNS_18Fp8KVCacheDataTypeE1ELb0ELi0EEEvPfS2_PT_PKS3_PKT0_S9_ifPKiSB_iPKfiiiSD_SD_iiiii
	.type	_ZN4vllm22paged_attention_kernelIthLi120ELi32ELi128ELNS_18Fp8KVCacheDataTypeE1ELb0ELi0EEEvPfS2_PT_PKS3_PKT0_S9_ifPKiSB_iPKfiiiSD_SD_iiiii,@function
_ZN4vllm22paged_attention_kernelIthLi120ELi32ELi128ELNS_18Fp8KVCacheDataTypeE1ELb0ELi0EEEvPfS2_PT_PKS3_PKT0_S9_ifPKiSB_iPKfiiiSD_SD_iiiii: ; @_ZN4vllm22paged_attention_kernelIthLi120ELi32ELi128ELNS_18Fp8KVCacheDataTypeE1ELb0ELi0EEEvPfS2_PT_PKS3_PKT0_S9_ifPKiSB_iPKfiiiSD_SD_iiiii
; %bb.0:
	s_wait_loadcnt_dscnt 0x0
	s_wait_kmcnt 0x0
	s_clause 0x2f
	scratch_store_b32 off, v40, s32 offset:188
	; meta instruction
	scratch_store_b32 off, v41, s32 offset:184
	; meta instruction
	;; [unrolled: 2-line block ×47, first 2 shown]
	scratch_store_b32 off, v127, s32
	s_bfe_u32 s0, ttmp6, 0x4000c
	s_bfe_u32 s2, ttmp6, 0x40010
	s_add_co_i32 s0, s0, 1
	s_and_b32 s1, ttmp6, 15
	s_mul_i32 s0, ttmp9, s0
	s_and_b32 s3, ttmp7, 0xffff
	s_add_co_i32 s2, s2, 1
	s_add_co_i32 s0, s1, s0
	s_mul_i32 s1, s3, s2
	s_bfe_u32 s2, ttmp6, 0x40004
	s_getreg_b32 s10, hwreg(HW_REG_IB_STS2, 6, 4)
	s_add_co_i32 s2, s2, s1
	s_cmp_eq_u32 s10, 0
	s_mov_b32 s1, 0
	s_cselect_b32 s11, s3, s2
	s_cselect_b32 s2, ttmp9, s0
	s_lshl_b32 s0, s11, 2
	s_clause 0x6
	scratch_store_b64 off, v[22:23], s32 offset:192
	scratch_store_b64 off, v[20:21], s32 offset:300
	;; [unrolled: 1-line block ×4, first 2 shown]
	scratch_store_b32 off, v9, s32 offset:308
	scratch_store_b64 off, v[6:7], s32 offset:380
	scratch_store_b64 off, v[0:1], s32 offset:372
	s_wait_xcnt 0x0
	v_add_nc_u64_e32 v[0:1], s[0:1], v[12:13]
	v_mov_b32_e32 v27, 0
	s_clause 0x1
	s_load_u16 s0, s[8:9], 0x12
	s_load_b32 s3, s[8:9], 0x0
	v_dual_mov_b32 v25, v16 :: v_dual_mov_b32 v24, v15
	s_mov_b32 s6, s15
	flat_load_b32 v58, v[0:1]
	s_wait_xcnt 0x0
	v_sub_nc_u32_e32 v0, 0, v8
	global_load_u16 v6, v27, s[8:9] offset:22
	s_mov_b32 s4, exec_lo
	v_max_i32_e32 v0, v8, v0
	s_delay_alu instid0(VALU_DEP_1) | instskip(SKIP_2) | instid1(VALU_DEP_1)
	v_cvt_f32_u32_e32 v1, v0
	s_wait_kmcnt 0x0
	s_cmp_lg_u32 s0, 0
	v_rcp_iflag_f32_e32 v1, v1
	s_cselect_b32 s0, -1, 0
	s_delay_alu instid0(SALU_CYCLE_1) | instskip(SKIP_2) | instid1(TRANS32_DEP_1)
	s_cmp_lg_u32 s0, 0
	s_add_co_ci_u32 s12, s3, 0
	v_nop
	v_mul_f32_e32 v1, 0x4f7ffffe, v1
	v_sub_nc_u32_e32 v7, 0, v0
	s_abs_i32 s0, s12
	s_delay_alu instid0(VALU_DEP_2) | instskip(NEXT) | instid1(VALU_DEP_1)
	v_cvt_u32_f32_e32 v1, v1
	v_mul_lo_u32 v7, v7, v1
	s_delay_alu instid0(VALU_DEP_1) | instskip(NEXT) | instid1(VALU_DEP_1)
	v_mul_hi_u32 v7, v1, v7
	v_add_nc_u32_e32 v1, v1, v7
	s_delay_alu instid0(VALU_DEP_1) | instskip(NEXT) | instid1(VALU_DEP_1)
	v_mul_hi_u32 v1, s0, v1
	v_mul_lo_u32 v7, v1, v0
	s_delay_alu instid0(VALU_DEP_1) | instskip(SKIP_1) | instid1(VALU_DEP_1)
	v_dual_add_nc_u32 v9, 1, v1 :: v_dual_sub_nc_u32 v7, s0, v7
	s_abs_i32 s0, s2
	v_cmp_ge_u32_e32 vcc_lo, v7, v0
	s_delay_alu instid0(VALU_DEP_2) | instskip(NEXT) | instid1(VALU_DEP_1)
	v_dual_cndmask_b32 v1, v1, v9 :: v_dual_sub_nc_u32 v10, v7, v0
	v_dual_cndmask_b32 v7, v7, v10, vcc_lo :: v_dual_bitop2_b32 v8, s12, v8 bitop3:0x14
	s_delay_alu instid0(VALU_DEP_1) | instskip(NEXT) | instid1(VALU_DEP_2)
	v_dual_add_nc_u32 v9, 1, v1 :: v_dual_ashrrev_i32 v8, 31, v8
	v_cmp_ge_u32_e32 vcc_lo, v7, v0
	s_delay_alu instid0(VALU_DEP_2) | instskip(NEXT) | instid1(VALU_DEP_1)
	v_cndmask_b32_e32 v0, v1, v9, vcc_lo
	v_xor_b32_e32 v0, v0, v8
	s_delay_alu instid0(VALU_DEP_1) | instskip(SKIP_2) | instid1(VALU_DEP_2)
	v_sub_nc_u32_e32 v1, v0, v8
	s_wait_loadcnt 0x0
	v_readfirstlane_b32 s13, v6
	v_dual_mov_b32 v6, v27 :: v_dual_sub_nc_u32 v0, 0, v1
	scratch_store_b32 off, v6, s32 offset:296 ; 4-byte Folded Spill
	v_max_i32_e32 v0, v1, v0
	s_delay_alu instid0(VALU_DEP_1) | instskip(SKIP_1) | instid1(VALU_DEP_2)
	v_cvt_f32_u32_e32 v7, v0
	v_sub_nc_u32_e32 v8, 0, v0
	v_rcp_iflag_f32_e32 v7, v7
	v_nop
	s_delay_alu instid0(TRANS32_DEP_1) | instskip(NEXT) | instid1(VALU_DEP_1)
	v_mul_f32_e32 v7, 0x4f7ffffe, v7
	v_cvt_u32_f32_e32 v7, v7
	s_delay_alu instid0(VALU_DEP_1) | instskip(NEXT) | instid1(VALU_DEP_1)
	v_mul_lo_u32 v8, v8, v7
	v_mul_hi_u32 v8, v7, v8
	s_delay_alu instid0(VALU_DEP_1)
	v_add_nc_u32_e32 v26, v7, v8
	s_wait_xcnt 0x0
	v_cmpx_ne_u64_e32 0, v[24:25]
	s_cbranch_execz .LBB296_2
; %bb.1:
	s_ashr_i32 s3, s2, 31
	s_delay_alu instid0(SALU_CYCLE_1)
	v_lshl_add_u64 v[6:7], s[2:3], 2, v[24:25]
	flat_load_b32 v6, v[6:7]
	s_wait_loadcnt_dscnt 0x0
	scratch_store_b32 off, v6, s32 offset:296 ; 4-byte Folded Spill
.LBB296_2:
	s_wait_xcnt 0x0
	s_or_b32 exec_lo, exec_lo, s4
	v_mul_u64_e32 v[24:25], s[0:1], v[26:27]
	v_and_b32_e32 v13, 0x3ff, v31
	v_ashrrev_i32_e32 v1, 31, v1
	s_ashr_i32 s1, s2, 31
	s_mul_i32 s4, s2, 0x78
	s_mov_b32 s2, exec_lo
	v_cmpx_gt_u32_e32 15, v13
	s_cbranch_execz .LBB296_4
; %bb.3:
	v_mul_lo_u32 v6, v17, s11
	s_ashr_i32 s5, s4, 31
	v_dual_mov_b32 v11, 0 :: v_dual_lshlrev_b32 v10, 4, v13
	s_delay_alu instid0(VALU_DEP_2) | instskip(NEXT) | instid1(VALU_DEP_1)
	v_ashrrev_i32_e32 v7, 31, v6
	v_lshl_add_u64 v[2:3], v[6:7], 1, v[2:3]
	s_delay_alu instid0(VALU_DEP_1) | instskip(NEXT) | instid1(VALU_DEP_1)
	v_lshl_add_u64 v[2:3], s[4:5], 1, v[2:3]
	v_add_nc_u64_e32 v[2:3], v[2:3], v[10:11]
	flat_load_b128 v[6:9], v[2:3]
	s_wait_loadcnt_dscnt 0x0
	ds_store_b128 v10, v[6:9]
.LBB296_4:
	s_wait_xcnt 0x0
	s_or_b32 exec_lo, exec_lo, s2
	s_delay_alu instid0(VALU_DEP_4)
	v_mul_lo_u32 v2, v25, v0
	s_wait_dscnt 0x0
	v_dual_add_nc_u32 v7, 31, v58 :: v_dual_bitop2_b32 v1, s1, v1 bitop3:0x14
	s_load_b32 s5, s[8:9], 0x8
	s_wait_xcnt 0x0
	s_get_pc_i64 s[8:9]
	s_add_nc_u64 s[8:9], s[8:9], llvm.amdgcn.dynlds.offset.table@rel64+4
	v_add_nc_u32_e32 v3, 1, v25
	s_delay_alu instid0(VALU_DEP_3) | instskip(NEXT) | instid1(VALU_DEP_1)
	v_dual_mov_b32 v11, 0xff7fffff :: v_dual_sub_nc_u32 v2, s0, v2
	v_cmp_ge_u32_e32 vcc_lo, v2, v0
	s_delay_alu instid0(VALU_DEP_3) | instskip(NEXT) | instid1(VALU_DEP_1)
	v_dual_cndmask_b32 v3, v25, v3 :: v_dual_sub_nc_u32 v6, v2, v0
	v_dual_cndmask_b32 v2, v2, v6, vcc_lo :: v_dual_add_nc_u32 v6, 1, v3
	s_delay_alu instid0(VALU_DEP_1) | instskip(NEXT) | instid1(VALU_DEP_2)
	v_cmp_ge_u32_e32 vcc_lo, v2, v0
	v_dual_ashrrev_i32 v2, 31, v7 :: v_dual_cndmask_b32 v0, v3, v6, vcc_lo
	s_delay_alu instid0(VALU_DEP_1) | instskip(SKIP_1) | instid1(VALU_DEP_3)
	v_lshrrev_b32_e32 v2, 27, v2
	v_mul_lo_u32 v6, v14, s11
	v_xor_b32_e32 v0, v0, v1
	s_delay_alu instid0(VALU_DEP_1) | instskip(NEXT) | instid1(VALU_DEP_3)
	v_dual_sub_nc_u32 v0, v0, v1 :: v_dual_add_nc_u32 v1, v7, v2
	v_dual_ashrrev_i32 v7, 31, v6 :: v_dual_bitop2_b32 v2, 31, v13 bitop3:0x40
	s_delay_alu instid0(VALU_DEP_2) | instskip(SKIP_1) | instid1(VALU_DEP_4)
	v_mul_lo_u32 v8, v0, v19
	v_lshrrev_b32_e32 v0, 5, v13
	v_ashrrev_i32_e32 v44, 5, v1
	v_lshrrev_b32_e32 v1, 3, v13
	scratch_store_b64 off, v[6:7], s32 offset:360 ; 8-byte Folded Spill
	v_lshlrev_b32_e32 v10, 2, v2
	scratch_store_b32 off, v0, s32 offset:336 ; 4-byte Folded Spill
	v_cmp_ge_i32_e64 s0, v0, v44
	scratch_store_b32 off, v1, s32 offset:368 ; 4-byte Folded Spill
	v_cmp_lt_i32_e32 vcc_lo, v0, v44
	v_ashrrev_i32_e32 v9, 31, v8
	s_clause 0x1
	scratch_store_b64 off, v[8:9], s32 offset:344
	scratch_store_b32 off, v2, s32 offset:332
	s_wait_storecnt 0x0
	s_barrier_signal -1
	s_barrier_wait -1
	s_wait_xcnt 0x0
	s_mov_b32 s14, exec_lo
	s_delay_alu instid0(SALU_CYCLE_1)
	s_and_b32 s1, s14, vcc_lo
	scratch_store_b32 off, v13, s32 offset:340 ; 4-byte Folded Spill
	s_wait_xcnt 0x0
	s_mov_b32 exec_lo, s1
	s_cbranch_execz .LBB296_968
; %bb.5:
	s_clause 0x1
	scratch_load_b64 v[0:1], off, s32 offset:344
	scratch_load_b32 v2, off, s32 offset:332
	s_ashr_i32 s7, s6, 31
	v_mov_b32_e32 v11, 0xff7fffff
	s_lshl_b64 s[2:3], s[6:7], 2
	s_mov_b32 s7, 0
	s_add_nc_u64 s[2:3], s[8:9], s[2:3]
	v_mov_b32_e32 v25, 0
	s_load_b32 s1, s[2:3], 0x0
	s_wait_xcnt 0x0
	s_mov_b64 s[2:3], 0xffffffffffffff
	s_clause 0x1
	scratch_store_b32 off, v10, s32 offset:388
	scratch_load_b32 v12, off, s32 offset:336
	s_wait_loadcnt 0x2
	v_add_nc_u64_e32 v[0:1], v[4:5], v[0:1]
	s_wait_loadcnt 0x1
	v_lshlrev_b32_e32 v24, 4, v2
	scratch_load_b64 v[4:5], off, s32 offset:352 ; 8-byte Folded Reload
	v_add_nc_u64_e32 v[0:1], v[0:1], v[24:25]
	s_wait_loadcnt 0x1
	v_lshl_or_b32 v18, v12, 5, v2
	v_lshl_or_b32 v2, v12, 7, v10
	s_clause 0x1
	scratch_store_b64 off, v[0:1], s32 offset:316
	scratch_load_b32 v0, off, s32 offset:368
	s_wait_kmcnt 0x0
	v_add_nc_u32_e32 v29, s1, v2
	s_wait_loadcnt 0x0
	v_and_b32_e32 v24, 0x7c, v0
	scratch_load_b32 v0, off, s32 offset:296 ; 4-byte Folded Reload
	s_wait_loadcnt 0x0
	v_cmp_neq_f32_e32 vcc_lo, 0, v0
	s_clause 0x2
	scratch_load_b64 v[0:1], off, s32 offset:360
	scratch_store_b32 off, v44, s32 offset:312
	scratch_store_b64 off, v[58:59], s32 offset:324
	s_wait_loadcnt 0x0
	v_lshl_add_u64 v[0:1], v[0:1], 2, v[24:25]
	s_delay_alu instid0(VALU_DEP_1)
	v_add_nc_u64_e32 v[0:1], v[4:5], v[0:1]
	s_branch .LBB296_10
.LBB296_6:                              ;   in Loop: Header=BB296_10 Depth=1
	s_or_b32 exec_lo, exec_lo, s18
	s_delay_alu instid0(VALU_DEP_1) | instskip(NEXT) | instid1(VALU_DEP_2)
	v_dual_lshlrev_b32 v3, 8, v24 :: v_dual_lshlrev_b32 v1, 23, v1
	v_lshl_add_u32 v2, v2, 10, 0x2000
	s_delay_alu instid0(VALU_DEP_1) | instskip(NEXT) | instid1(VALU_DEP_1)
	v_and_or_b32 v2, 0x8000, v3, v2
	v_lshl_or_b32 v1, v2, 16, v1
.LBB296_7:                              ;   in Loop: Header=BB296_10 Depth=1
	s_or_b32 exec_lo, exec_lo, s17
.LBB296_8:                              ;   in Loop: Header=BB296_10 Depth=1
	s_delay_alu instid0(SALU_CYCLE_1)
	s_or_b32 exec_lo, exec_lo, s16
	v_dual_mov_b32 v29, v19 :: v_dual_mov_b32 v12, v37
.LBB296_9:                              ;   in Loop: Header=BB296_10 Depth=1
	s_or_b32 exec_lo, exec_lo, s15
	ds_load_b128 v[2:5], v25
	s_wait_dscnt 0x0
	v_dual_add_nc_u32 v12, 4, v12 :: v_dual_lshrrev_b32 v8, 16, v2
	v_lshrrev_b32_e32 v18, 16, v3
	v_and_b32_e32 v2, 0xffff, v2
	;;#ASMSTART
	v_cvt_f32_f16 v58, v2;
	;;#ASMEND
	v_or_b32_e32 v2, v32, v30
	v_and_b32_e32 v19, 0xffff, v3
	v_fma_mixlo_f16 v3, v15, v32, 0 op_sel:[0,1,0] op_sel_hi:[0,1,0]
	;;#ASMSTART
	v_cvt_f32_f16 v59, v8;
	;;#ASMEND
	v_dual_lshrrev_b32 v24, 16, v4 :: v_dual_lshrrev_b32 v37, 16, v5
	v_fma_mixlo_f16 v2, v15, v2, 0 op_sel_hi:[0,1,0]
	s_delay_alu instid0(VALU_DEP_3) | instskip(SKIP_2) | instid1(VALU_DEP_4)
	v_and_b32_e32 v3, 0xffff, v3
	v_and_b32_e32 v4, 0xffff, v4
	;; [unrolled: 1-line block ×4, first 2 shown]
	;;#ASMSTART
	v_cvt_f32_f16 v120, v2;
	;;#ASMEND
	v_or_b32_e32 v2, v36, v31
	;;#ASMSTART
	v_cvt_f32_f16 v121, v3;
	;;#ASMEND
	v_fma_mixlo_f16 v3, v15, v36, 0 op_sel:[0,1,0] op_sel_hi:[0,1,0]
	;;#ASMSTART
	v_cvt_f32_f16 v35, v19;
	;;#ASMEND
	;;#ASMSTART
	v_cvt_f32_f16 v34, v18;
	;;#ASMEND
	v_fma_mixlo_f16 v2, v15, v2, 0 op_sel_hi:[0,1,0]
	s_delay_alu instid0(VALU_DEP_2) | instskip(NEXT) | instid1(VALU_DEP_2)
	v_and_b32_e32 v3, 0xffff, v3
	v_and_b32_e32 v2, 0xffff, v2
	;;#ASMSTART
	v_cvt_f32_f16 v39, v2;
	;;#ASMEND
	v_or_b32_e32 v2, v48, v33
	;;#ASMSTART
	v_cvt_f32_f16 v38, v3;
	;;#ASMEND
	;;#ASMSTART
	v_cvt_f32_f16 v31, v4;
	;;#ASMEND
	v_fma_mixlo_f16 v3, v15, v48, 0 op_sel:[0,1,0] op_sel_hi:[0,1,0]
	v_or_b32_e32 v4, v122, v100
	v_fma_mixlo_f16 v2, v15, v2, 0 op_sel_hi:[0,1,0]
	;;#ASMSTART
	v_cvt_f32_f16 v30, v24;
	;;#ASMEND
	s_delay_alu instid0(VALU_DEP_3) | instskip(NEXT) | instid1(VALU_DEP_3)
	v_and_b32_e32 v3, 0xffff, v3
	v_fma_mixlo_f16 v4, v15, v4, 0 op_sel_hi:[0,1,0]
	s_delay_alu instid0(VALU_DEP_3)
	v_and_b32_e32 v2, 0xffff, v2
	;;#ASMSTART
	v_cvt_f32_f16 v33, v2;
	;;#ASMEND
	;;#ASMSTART
	v_cvt_f32_f16 v32, v3;
	;;#ASMEND
	;; [unrolled: 3-line block ×3, first 2 shown]
	v_fma_mixlo_f16 v5, v15, v122, 0 op_sel:[0,1,0] op_sel_hi:[0,1,0]
	v_and_b32_e32 v4, 0xffff, v4
	;;#ASMSTART
	v_cvt_f32_f16 v2, v37;
	;;#ASMEND
	s_delay_alu instid0(VALU_DEP_2)
	v_and_b32_e32 v8, 0xffff, v5
	;;#ASMSTART
	v_cvt_f32_f16 v5, v4;
	;;#ASMEND
	;;#ASMSTART
	v_cvt_f32_f16 v4, v8;
	;;#ASMEND
	ds_load_b128 v[100:103], v25 offset:16
	s_wait_dscnt 0x0
	v_and_b32_e32 v8, 0xffff, v100
	v_lshrrev_b32_e32 v18, 16, v100
	;;#ASMSTART
	v_cvt_f32_f16 v122, v8;
	;;#ASMEND
	v_or_b32_e32 v8, v52, v49
	;;#ASMSTART
	v_cvt_f32_f16 v123, v18;
	;;#ASMEND
	v_lshrrev_b32_e32 v19, 16, v102
	v_fma_mixlo_f16 v18, v15, v52, 0 op_sel:[0,1,0] op_sel_hi:[0,1,0]
	v_and_b32_e32 v24, 0xffff, v102
	v_fma_mixlo_f16 v8, v15, v8, 0 op_sel_hi:[0,1,0]
	v_lshrrev_b32_e32 v48, 16, v103
	v_and_b32_e32 v49, 0xffff, v103
	v_and_b32_e32 v18, 0xffff, v18
	s_delay_alu instid0(VALU_DEP_4)
	v_and_b32_e32 v8, 0xffff, v8
	;;#ASMSTART
	v_cvt_f32_f16 v36, v8;
	;;#ASMEND
	;;#ASMSTART
	v_cvt_f32_f16 v37, v18;
	;;#ASMEND
	v_pk_mul_f32 v[36:37], v[122:123], v[36:37]
	v_lshrrev_b32_e32 v8, 16, v101
	v_and_b32_e32 v18, 0xffff, v101
	s_delay_alu instid0(VALU_DEP_3) | instskip(SKIP_4) | instid1(VALU_DEP_2)
	v_pk_fma_f32 v[36:37], v[58:59], v[120:121], v[36:37]
	;;#ASMSTART
	v_cvt_f32_f16 v59, v18;
	;;#ASMEND
	;;#ASMSTART
	v_cvt_f32_f16 v58, v8;
	;;#ASMEND
	v_or_b32_e32 v8, v54, v53
	v_fma_mixlo_f16 v18, v15, v54, 0 op_sel:[0,1,0] op_sel_hi:[0,1,0]
	v_fma_mixlo_f16 v8, v15, v8, 0 op_sel_hi:[0,1,0]
	s_delay_alu instid0(VALU_DEP_2) | instskip(NEXT) | instid1(VALU_DEP_2)
	v_and_b32_e32 v18, 0xffff, v18
	v_and_b32_e32 v8, 0xffff, v8
	;;#ASMSTART
	v_cvt_f32_f16 v121, v8;
	;;#ASMEND
	v_or_b32_e32 v8, v64, v55
	;;#ASMSTART
	v_cvt_f32_f16 v120, v18;
	;;#ASMEND
	v_fma_mixlo_f16 v18, v15, v64, 0 op_sel:[0,1,0] op_sel_hi:[0,1,0]
	;;#ASMSTART
	v_cvt_f32_f16 v123, v24;
	;;#ASMEND
	;;#ASMSTART
	v_cvt_f32_f16 v122, v19;
	;;#ASMEND
	v_fma_mixlo_f16 v8, v15, v8, 0 op_sel_hi:[0,1,0]
	s_delay_alu instid0(VALU_DEP_2) | instskip(NEXT) | instid1(VALU_DEP_2)
	v_and_b32_e32 v18, 0xffff, v18
	v_and_b32_e32 v8, 0xffff, v8
	;;#ASMSTART
	v_cvt_f32_f16 v55, v8;
	;;#ASMEND
	v_or_b32_e32 v8, v66, v45
	;;#ASMSTART
	v_cvt_f32_f16 v54, v18;
	;;#ASMEND
	v_fma_mixlo_f16 v18, v15, v66, 0 op_sel:[0,1,0] op_sel_hi:[0,1,0]
	;;#ASMSTART
	v_cvt_f32_f16 v49, v49;
	;;#ASMEND
	;;#ASMSTART
	v_cvt_f32_f16 v48, v48;
	;;#ASMEND
	v_fma_mixlo_f16 v8, v15, v8, 0 op_sel_hi:[0,1,0]
	s_delay_alu instid0(VALU_DEP_2) | instskip(NEXT) | instid1(VALU_DEP_2)
	v_and_b32_e32 v18, 0xffff, v18
	v_and_b32_e32 v8, 0xffff, v8
	;;#ASMSTART
	v_cvt_f32_f16 v45, v8;
	;;#ASMEND
	;;#ASMSTART
	v_cvt_f32_f16 v44, v18;
	;;#ASMEND
	ds_load_b128 v[100:103], v25 offset:32
	s_wait_dscnt 0x0
	v_and_b32_e32 v8, 0xffff, v100
	v_lshrrev_b32_e32 v18, 16, v100
	;;#ASMSTART
	v_cvt_f32_f16 v52, v8;
	;;#ASMEND
	v_or_b32_e32 v8, v69, v65
	;;#ASMSTART
	v_cvt_f32_f16 v53, v18;
	;;#ASMEND
	s_delay_alu instid0(VALU_DEP_2) | instskip(NEXT) | instid1(VALU_DEP_2)
	v_fma_mixlo_f16 v18, v15, v69, 0 op_sel:[0,1,0] op_sel_hi:[0,1,0]
	v_fma_mixlo_f16 v8, v15, v8, 0 op_sel_hi:[0,1,0]
	s_delay_alu instid0(VALU_DEP_2) | instskip(NEXT) | instid1(VALU_DEP_2)
	v_and_b32_e32 v18, 0xffff, v18
	v_and_b32_e32 v8, 0xffff, v8
	;;#ASMSTART
	v_cvt_f32_f16 v64, v8;
	;;#ASMEND
	;;#ASMSTART
	v_cvt_f32_f16 v65, v18;
	;;#ASMEND
	v_pk_fma_f32 v[36:37], v[52:53], v[64:65], v[36:37]
	v_pk_mul_f32 v[52:53], v[58:59], v[120:121]
	v_and_b32_e32 v8, 0xffff, v101
	v_lshrrev_b32_e32 v18, 16, v101
	s_delay_alu instid0(VALU_DEP_3) | instskip(SKIP_4) | instid1(VALU_DEP_2)
	v_pk_fma_f32 v[34:35], v[34:35], v[38:39], v[52:53]
	;;#ASMSTART
	v_cvt_f32_f16 v39, v8;
	;;#ASMEND
	v_or_b32_e32 v8, v86, v109
	;;#ASMSTART
	v_cvt_f32_f16 v38, v18;
	;;#ASMEND
	v_fma_mixlo_f16 v18, v15, v86, 0 op_sel:[0,1,0] op_sel_hi:[0,1,0]
	v_fma_mixlo_f16 v8, v15, v8, 0 op_sel_hi:[0,1,0]
	s_delay_alu instid0(VALU_DEP_2) | instskip(NEXT) | instid1(VALU_DEP_2)
	v_and_b32_e32 v18, 0xffff, v18
	v_and_b32_e32 v8, 0xffff, v8
	;;#ASMSTART
	v_cvt_f32_f16 v53, v8;
	;;#ASMEND
	;;#ASMSTART
	v_cvt_f32_f16 v52, v18;
	;;#ASMEND
	v_pk_fma_f32 v[34:35], v[38:39], v[52:53], v[34:35]
	v_pk_mul_f32 v[38:39], v[122:123], v[54:55]
	v_and_b32_e32 v8, 0xffff, v102
	v_lshrrev_b32_e32 v18, 16, v102
	s_delay_alu instid0(VALU_DEP_3) | instskip(SKIP_4) | instid1(VALU_DEP_2)
	v_pk_fma_f32 v[30:31], v[30:31], v[32:33], v[38:39]
	;;#ASMSTART
	v_cvt_f32_f16 v33, v8;
	;;#ASMEND
	v_or_b32_e32 v8, v56, v127
	;;#ASMSTART
	v_cvt_f32_f16 v32, v18;
	;;#ASMEND
	v_fma_mixlo_f16 v18, v15, v56, 0 op_sel:[0,1,0] op_sel_hi:[0,1,0]
	v_fma_mixlo_f16 v8, v15, v8, 0 op_sel_hi:[0,1,0]
	s_delay_alu instid0(VALU_DEP_2) | instskip(NEXT) | instid1(VALU_DEP_2)
	v_and_b32_e32 v18, 0xffff, v18
	v_and_b32_e32 v8, 0xffff, v8
	;;#ASMSTART
	v_cvt_f32_f16 v39, v8;
	;;#ASMEND
	;;#ASMSTART
	v_cvt_f32_f16 v38, v18;
	;;#ASMEND
	v_pk_fma_f32 v[32:33], v[32:33], v[38:39], v[30:31]
	v_pk_mul_f32 v[30:31], v[48:49], v[44:45]
	v_and_b32_e32 v8, 0xffff, v103
	v_lshrrev_b32_e32 v18, 16, v103
	s_delay_alu instid0(VALU_DEP_3) | instskip(SKIP_2) | instid1(VALU_DEP_2)
	v_pk_fma_f32 v[2:3], v[2:3], v[4:5], v[30:31]
	v_or_b32_e32 v4, v87, v114
	v_fma_mixlo_f16 v5, v15, v87, 0 op_sel:[0,1,0] op_sel_hi:[0,1,0]
	v_fma_mixlo_f16 v4, v15, v4, 0 op_sel_hi:[0,1,0]
	s_delay_alu instid0(VALU_DEP_2) | instskip(SKIP_1) | instid1(VALU_DEP_2)
	v_and_b32_e32 v24, 0xffff, v5
	;;#ASMSTART
	v_cvt_f32_f16 v5, v8;
	;;#ASMEND
	v_and_b32_e32 v19, 0xffff, v4
	;;#ASMSTART
	v_cvt_f32_f16 v4, v18;
	;;#ASMEND
	;;#ASMSTART
	v_cvt_f32_f16 v31, v19;
	;;#ASMEND
	;; [unrolled: 3-line block ×3, first 2 shown]
	v_pk_fma_f32 v[30:31], v[4:5], v[30:31], v[2:3]
	ds_load_b128 v[2:5], v25 offset:48
	s_wait_dscnt 0x0
	v_and_b32_e32 v8, 0xffff, v2
	v_lshrrev_b32_e32 v2, 16, v2
	;;#ASMSTART
	v_cvt_f32_f16 v38, v8;
	;;#ASMEND
	;;#ASMSTART
	v_cvt_f32_f16 v39, v2;
	;;#ASMEND
	v_or_b32_e32 v2, v98, v96
	v_fma_mixlo_f16 v8, v15, v98, 0 op_sel:[0,1,0] op_sel_hi:[0,1,0]
	v_and_b32_e32 v18, 0xffff, v3
	v_lshrrev_b32_e32 v19, 16, v4
	v_and_b32_e32 v24, 0xffff, v4
	v_fma_mixlo_f16 v2, v15, v2, 0 op_sel_hi:[0,1,0]
	v_and_b32_e32 v8, 0xffff, v8
	s_delay_alu instid0(VALU_DEP_2)
	v_and_b32_e32 v2, 0xffff, v2
	;;#ASMSTART
	v_cvt_f32_f16 v48, v2;
	;;#ASMEND
	v_or_b32_e32 v2, v50, v111
	;;#ASMSTART
	v_cvt_f32_f16 v49, v8;
	;;#ASMEND
	v_lshrrev_b32_e32 v8, 16, v3
	v_fma_mixlo_f16 v3, v15, v50, 0 op_sel:[0,1,0] op_sel_hi:[0,1,0]
	;;#ASMSTART
	v_cvt_f32_f16 v101, v18;
	;;#ASMEND
	v_fma_mixlo_f16 v2, v15, v2, 0 op_sel_hi:[0,1,0]
	;;#ASMSTART
	v_cvt_f32_f16 v100, v8;
	;;#ASMEND
	v_pk_fma_f32 v[36:37], v[38:39], v[48:49], v[36:37]
	v_and_b32_e32 v18, 0xffff, v3
	v_or_b32_e32 v3, v97, v57
	v_and_b32_e32 v4, 0xffff, v2
	v_or_b32_e32 v2, v84, v117
	;;#ASMSTART
	v_cvt_f32_f16 v103, v4;
	;;#ASMEND
	v_lshrrev_b32_e32 v38, 16, v5
	v_and_b32_e32 v5, 0xffff, v5
	v_fma_mixlo_f16 v4, v15, v84, 0 op_sel:[0,1,0] op_sel_hi:[0,1,0]
	v_fma_mixlo_f16 v2, v15, v2, 0 op_sel_hi:[0,1,0]
	;;#ASMSTART
	v_cvt_f32_f16 v102, v18;
	;;#ASMEND
	;;#ASMSTART
	v_cvt_f32_f16 v45, v24;
	;;#ASMEND
	;; [unrolled: 3-line block ×3, first 2 shown]
	v_and_b32_e32 v4, 0xffff, v4
	v_and_b32_e32 v8, 0xffff, v2
	v_fma_mixlo_f16 v2, v15, v3, 0 op_sel_hi:[0,1,0]
	v_fma_mixlo_f16 v3, v15, v97, 0 op_sel:[0,1,0] op_sel_hi:[0,1,0]
	;;#ASMSTART
	v_cvt_f32_f16 v57, v8;
	;;#ASMEND
	;;#ASMSTART
	v_cvt_f32_f16 v56, v4;
	;;#ASMEND
	;; [unrolled: 3-line block ×3, first 2 shown]
	v_and_b32_e32 v2, 0xffff, v2
	v_and_b32_e32 v3, 0xffff, v3
	;;#ASMSTART
	v_cvt_f32_f16 v52, v38;
	;;#ASMEND
	;;#ASMSTART
	v_cvt_f32_f16 v55, v2;
	;;#ASMEND
	;; [unrolled: 3-line block ×3, first 2 shown]
	ds_load_b128 v[2:5], v25 offset:64
	s_wait_dscnt 0x0
	v_and_b32_e32 v8, 0xffff, v2
	v_lshrrev_b32_e32 v2, 16, v2
	;;#ASMSTART
	v_cvt_f32_f16 v38, v8;
	;;#ASMEND
	;;#ASMSTART
	v_cvt_f32_f16 v39, v2;
	;;#ASMEND
	v_or_b32_e32 v2, v115, v99
	v_fma_mixlo_f16 v8, v15, v115, 0 op_sel:[0,1,0] op_sel_hi:[0,1,0]
	v_lshrrev_b32_e32 v18, 16, v5
	v_and_b32_e32 v19, 0xffff, v5
	v_fma_mixlo_f16 v5, v15, v68, 0 op_sel:[0,1,0] op_sel_hi:[0,1,0]
	v_fma_mixlo_f16 v2, v15, v2, 0 op_sel_hi:[0,1,0]
	v_and_b32_e32 v8, 0xffff, v8
	s_delay_alu instid0(VALU_DEP_2)
	v_and_b32_e32 v2, 0xffff, v2
	;;#ASMSTART
	v_cvt_f32_f16 v48, v2;
	;;#ASMEND
	v_lshrrev_b32_e32 v2, 16, v3
	v_and_b32_e32 v3, 0xffff, v3
	;;#ASMSTART
	v_cvt_f32_f16 v49, v8;
	;;#ASMEND
	;;#ASMSTART
	v_cvt_f32_f16 v115, v3;
	;;#ASMEND
	;; [unrolled: 3-line block ×3, first 2 shown]
	v_or_b32_e32 v2, v116, v43
	v_fma_mixlo_f16 v3, v15, v116, 0 op_sel:[0,1,0] op_sel_hi:[0,1,0]
	v_lshrrev_b32_e32 v8, 16, v4
	v_and_b32_e32 v4, 0xffff, v4
	v_pk_fma_f32 v[48:49], v[38:39], v[48:49], v[36:37]
	v_fma_mixlo_f16 v2, v15, v2, 0 op_sel_hi:[0,1,0]
	v_and_b32_e32 v3, 0xffff, v3
	s_delay_alu instid0(VALU_DEP_2)
	v_and_b32_e32 v2, 0xffff, v2
	;;#ASMSTART
	v_cvt_f32_f16 v117, v2;
	;;#ASMEND
	;;#ASMSTART
	v_cvt_f32_f16 v116, v3;
	;;#ASMEND
	;; [unrolled: 3-line block ×3, first 2 shown]
	v_or_b32_e32 v4, v68, v77
	;;#ASMSTART
	v_cvt_f32_f16 v2, v8;
	;;#ASMEND
	v_and_b32_e32 v8, 0xffff, v5
	s_delay_alu instid0(VALU_DEP_2) | instskip(NEXT) | instid1(VALU_DEP_1)
	v_fma_mixlo_f16 v4, v15, v4, 0 op_sel_hi:[0,1,0]
	v_and_b32_e32 v4, 0xffff, v4
	;;#ASMSTART
	v_cvt_f32_f16 v5, v4;
	;;#ASMEND
	;;#ASMSTART
	v_cvt_f32_f16 v4, v8;
	;;#ASMEND
	v_or_b32_e32 v8, v70, v51
	;;#ASMSTART
	v_cvt_f32_f16 v37, v19;
	;;#ASMEND
	;;#ASMSTART
	v_cvt_f32_f16 v36, v18;
	;;#ASMEND
	v_fma_mixlo_f16 v18, v15, v70, 0 op_sel:[0,1,0] op_sel_hi:[0,1,0]
	s_delay_alu instid0(VALU_DEP_2) | instskip(NEXT) | instid1(VALU_DEP_2)
	v_fma_mixlo_f16 v8, v15, v8, 0 op_sel_hi:[0,1,0]
	v_and_b32_e32 v18, 0xffff, v18
	s_delay_alu instid0(VALU_DEP_2)
	v_and_b32_e32 v8, 0xffff, v8
	;;#ASMSTART
	v_cvt_f32_f16 v39, v8;
	;;#ASMEND
	;;#ASMSTART
	v_cvt_f32_f16 v38, v18;
	;;#ASMEND
	ds_load_b128 v[96:99], v25 offset:80
	s_wait_dscnt 0x0
	v_and_b32_e32 v8, 0xffff, v96
	;;#ASMSTART
	v_cvt_f32_f16 v64, v8;
	;;#ASMEND
	v_dual_lshrrev_b32 v18, 16, v96 :: v_dual_bitop2_b32 v8, v42, v46 bitop3:0x54
	;;#ASMSTART
	v_cvt_f32_f16 v65, v18;
	;;#ASMEND
	v_lshrrev_b32_e32 v19, 16, v98
	v_and_b32_e32 v24, 0xffff, v98
	s_delay_alu instid0(VALU_DEP_3) | instskip(SKIP_1) | instid1(VALU_DEP_2)
	v_fma_mixlo_f16 v8, v15, v8, 0 op_sel_hi:[0,1,0]
	v_fma_mixlo_f16 v18, v15, v42, 0 op_sel:[0,1,0] op_sel_hi:[0,1,0]
	v_and_b32_e32 v8, 0xffff, v8
	s_delay_alu instid0(VALU_DEP_2)
	v_and_b32_e32 v18, 0xffff, v18
	;;#ASMSTART
	v_cvt_f32_f16 v50, v8;
	;;#ASMEND
	v_lshrrev_b32_e32 v8, 16, v97
	;;#ASMSTART
	v_cvt_f32_f16 v51, v18;
	;;#ASMEND
	v_and_b32_e32 v18, 0xffff, v97
	;;#ASMSTART
	v_cvt_f32_f16 v43, v18;
	;;#ASMEND
	;;#ASMSTART
	v_cvt_f32_f16 v42, v8;
	;;#ASMEND
	v_or_b32_e32 v8, v47, v67
	v_pk_fma_f32 v[68:69], v[64:65], v[50:51], v[48:49]
	v_fma_mixlo_f16 v18, v15, v47, 0 op_sel:[0,1,0] op_sel_hi:[0,1,0]
	v_lshrrev_b32_e32 v48, 16, v99
	v_and_b32_e32 v49, 0xffff, v99
	v_fma_mixlo_f16 v8, v15, v8, 0 op_sel_hi:[0,1,0]
	s_delay_alu instid0(VALU_DEP_4) | instskip(NEXT) | instid1(VALU_DEP_2)
	v_and_b32_e32 v18, 0xffff, v18
	v_and_b32_e32 v8, 0xffff, v8
	;;#ASMSTART
	v_cvt_f32_f16 v47, v8;
	;;#ASMEND
	v_or_b32_e32 v8, v60, v95
	;;#ASMSTART
	v_cvt_f32_f16 v46, v18;
	;;#ASMEND
	v_fma_mixlo_f16 v18, v15, v60, 0 op_sel:[0,1,0] op_sel_hi:[0,1,0]
	;;#ASMSTART
	v_cvt_f32_f16 v97, v24;
	;;#ASMEND
	;;#ASMSTART
	v_cvt_f32_f16 v96, v19;
	;;#ASMEND
	v_fma_mixlo_f16 v8, v15, v8, 0 op_sel_hi:[0,1,0]
	s_delay_alu instid0(VALU_DEP_2) | instskip(NEXT) | instid1(VALU_DEP_2)
	v_and_b32_e32 v18, 0xffff, v18
	v_and_b32_e32 v8, 0xffff, v8
	;;#ASMSTART
	v_cvt_f32_f16 v99, v8;
	;;#ASMEND
	v_or_b32_e32 v8, v105, v94
	;;#ASMSTART
	v_cvt_f32_f16 v98, v18;
	;;#ASMEND
	v_fma_mixlo_f16 v18, v15, v105, 0 op_sel:[0,1,0] op_sel_hi:[0,1,0]
	;;#ASMSTART
	v_cvt_f32_f16 v49, v49;
	;;#ASMEND
	;;#ASMSTART
	v_cvt_f32_f16 v48, v48;
	;;#ASMEND
	v_fma_mixlo_f16 v8, v15, v8, 0 op_sel_hi:[0,1,0]
	s_delay_alu instid0(VALU_DEP_2) | instskip(NEXT) | instid1(VALU_DEP_2)
	v_and_b32_e32 v18, 0xffff, v18
	v_and_b32_e32 v8, 0xffff, v8
	;;#ASMSTART
	v_cvt_f32_f16 v51, v8;
	;;#ASMEND
	;;#ASMSTART
	v_cvt_f32_f16 v50, v18;
	;;#ASMEND
	ds_load_b128 v[64:67], v25 offset:96
	s_wait_dscnt 0x0
	v_and_b32_e32 v8, 0xffff, v64
	;;#ASMSTART
	v_cvt_f32_f16 v86, v8;
	;;#ASMEND
	v_or_b32_e32 v8, v81, v104
	v_lshrrev_b32_e32 v18, 16, v64
	;;#ASMSTART
	v_cvt_f32_f16 v87, v18;
	;;#ASMEND
	v_lshrrev_b32_e32 v19, 16, v66
	v_and_b32_e32 v24, 0xffff, v66
	v_fma_mixlo_f16 v8, v15, v8, 0 op_sel_hi:[0,1,0]
	v_fma_mixlo_f16 v18, v15, v81, 0 op_sel:[0,1,0] op_sel_hi:[0,1,0]
	v_lshrrev_b32_e32 v64, 16, v67
	s_delay_alu instid0(VALU_DEP_3) | instskip(NEXT) | instid1(VALU_DEP_3)
	v_and_b32_e32 v8, 0xffff, v8
	v_and_b32_e32 v18, 0xffff, v18
	;;#ASMSTART
	v_cvt_f32_f16 v58, v8;
	;;#ASMEND
	v_lshrrev_b32_e32 v8, 16, v65
	;;#ASMSTART
	v_cvt_f32_f16 v59, v18;
	;;#ASMEND
	v_and_b32_e32 v18, 0xffff, v65
	;;#ASMSTART
	v_cvt_f32_f16 v95, v18;
	;;#ASMEND
	;;#ASMSTART
	v_cvt_f32_f16 v94, v8;
	;;#ASMEND
	v_or_b32_e32 v8, v71, v85
	v_pk_fma_f32 v[58:59], v[86:87], v[58:59], v[68:69]
	v_fma_mixlo_f16 v18, v15, v71, 0 op_sel:[0,1,0] op_sel_hi:[0,1,0]
	v_and_b32_e32 v65, 0xffff, v67
	s_delay_alu instid0(VALU_DEP_4) | instskip(NEXT) | instid1(VALU_DEP_3)
	v_fma_mixlo_f16 v8, v15, v8, 0 op_sel_hi:[0,1,0]
	v_and_b32_e32 v18, 0xffff, v18
	s_delay_alu instid0(VALU_DEP_2)
	v_and_b32_e32 v8, 0xffff, v8
	;;#ASMSTART
	v_cvt_f32_f16 v105, v8;
	;;#ASMEND
	v_or_b32_e32 v8, v76, v90
	;;#ASMSTART
	v_cvt_f32_f16 v104, v18;
	;;#ASMEND
	v_fma_mixlo_f16 v18, v15, v76, 0 op_sel:[0,1,0] op_sel_hi:[0,1,0]
	;;#ASMSTART
	v_cvt_f32_f16 v69, v24;
	;;#ASMEND
	;;#ASMSTART
	v_cvt_f32_f16 v68, v19;
	;;#ASMEND
	v_fma_mixlo_f16 v8, v15, v8, 0 op_sel_hi:[0,1,0]
	s_delay_alu instid0(VALU_DEP_2) | instskip(NEXT) | instid1(VALU_DEP_2)
	v_and_b32_e32 v18, 0xffff, v18
	v_and_b32_e32 v8, 0xffff, v8
	;;#ASMSTART
	v_cvt_f32_f16 v71, v8;
	;;#ASMEND
	v_or_b32_e32 v8, v78, v91
	;;#ASMSTART
	v_cvt_f32_f16 v70, v18;
	;;#ASMEND
	v_fma_mixlo_f16 v18, v15, v78, 0 op_sel:[0,1,0] op_sel_hi:[0,1,0]
	;;#ASMSTART
	v_cvt_f32_f16 v65, v65;
	;;#ASMEND
	;;#ASMSTART
	v_cvt_f32_f16 v64, v64;
	;;#ASMEND
	v_fma_mixlo_f16 v8, v15, v8, 0 op_sel_hi:[0,1,0]
	s_delay_alu instid0(VALU_DEP_2) | instskip(NEXT) | instid1(VALU_DEP_2)
	v_and_b32_e32 v18, 0xffff, v18
	v_and_b32_e32 v8, 0xffff, v8
	;;#ASMSTART
	v_cvt_f32_f16 v67, v8;
	;;#ASMEND
	;;#ASMSTART
	v_cvt_f32_f16 v66, v18;
	;;#ASMEND
	ds_load_b128 v[84:87], v25 offset:112
	s_wait_dscnt 0x0
	v_and_b32_e32 v8, 0xffff, v84
	;;#ASMSTART
	v_cvt_f32_f16 v76, v8;
	;;#ASMEND
	v_dual_lshrrev_b32 v18, 16, v84 :: v_dual_bitop2_b32 v8, v88, v93 bitop3:0x54
	;;#ASMSTART
	v_cvt_f32_f16 v77, v18;
	;;#ASMEND
	v_lshrrev_b32_e32 v19, 16, v86
	v_and_b32_e32 v24, 0xffff, v86
	s_delay_alu instid0(VALU_DEP_3) | instskip(SKIP_3) | instid1(VALU_DEP_4)
	v_fma_mixlo_f16 v8, v15, v8, 0 op_sel_hi:[0,1,0]
	v_fma_mixlo_f16 v18, v15, v88, 0 op_sel:[0,1,0] op_sel_hi:[0,1,0]
	v_lshrrev_b32_e32 v60, 16, v87
	v_and_b32_e32 v81, 0xffff, v87
	v_and_b32_e32 v8, 0xffff, v8
	s_delay_alu instid0(VALU_DEP_4)
	v_and_b32_e32 v18, 0xffff, v18
	;;#ASMSTART
	v_cvt_f32_f16 v90, v8;
	;;#ASMEND
	;;#ASMSTART
	v_cvt_f32_f16 v91, v18;
	;;#ASMEND
	v_lshrrev_b32_e32 v8, 16, v85
	v_pk_fma_f32 v[58:59], v[76:77], v[90:91], v[58:59]
	v_and_b32_e32 v18, 0xffff, v85
	;;#ASMSTART
	v_cvt_f32_f16 v91, v18;
	;;#ASMEND
	;;#ASMSTART
	v_cvt_f32_f16 v90, v8;
	;;#ASMEND
	v_or_b32_e32 v8, v92, v80
	s_delay_alu instid0(VALU_DEP_2) | instskip(NEXT) | instid1(VALU_DEP_2)
	v_fma_mixlo_f16 v18, v15, v92, 0 op_sel:[0,1,0] op_sel_hi:[0,1,0]
	v_fma_mixlo_f16 v8, v15, v8, 0 op_sel_hi:[0,1,0]
	s_delay_alu instid0(VALU_DEP_2) | instskip(NEXT) | instid1(VALU_DEP_2)
	v_and_b32_e32 v18, 0xffff, v18
	v_and_b32_e32 v8, 0xffff, v8
	;;#ASMSTART
	v_cvt_f32_f16 v93, v8;
	;;#ASMEND
	v_or_b32_e32 v8, v79, v82
	;;#ASMSTART
	v_cvt_f32_f16 v92, v18;
	;;#ASMEND
	v_fma_mixlo_f16 v18, v15, v79, 0 op_sel:[0,1,0] op_sel_hi:[0,1,0]
	;;#ASMSTART
	v_cvt_f32_f16 v85, v24;
	;;#ASMEND
	;;#ASMSTART
	v_cvt_f32_f16 v84, v19;
	;;#ASMEND
	v_fma_mixlo_f16 v8, v15, v8, 0 op_sel_hi:[0,1,0]
	s_delay_alu instid0(VALU_DEP_2) | instskip(NEXT) | instid1(VALU_DEP_2)
	v_and_b32_e32 v18, 0xffff, v18
	v_and_b32_e32 v8, 0xffff, v8
	;;#ASMSTART
	v_cvt_f32_f16 v87, v8;
	;;#ASMEND
	v_or_b32_e32 v8, v83, v89
	;;#ASMSTART
	v_cvt_f32_f16 v86, v18;
	;;#ASMEND
	v_fma_mixlo_f16 v18, v15, v83, 0 op_sel:[0,1,0] op_sel_hi:[0,1,0]
	;;#ASMSTART
	v_cvt_f32_f16 v81, v81;
	;;#ASMEND
	;;#ASMSTART
	v_cvt_f32_f16 v80, v60;
	;;#ASMEND
	v_fma_mixlo_f16 v8, v15, v8, 0 op_sel_hi:[0,1,0]
	s_delay_alu instid0(VALU_DEP_2) | instskip(NEXT) | instid1(VALU_DEP_2)
	v_and_b32_e32 v18, 0xffff, v18
	v_and_b32_e32 v8, 0xffff, v8
	;;#ASMSTART
	v_cvt_f32_f16 v83, v8;
	;;#ASMEND
	;;#ASMSTART
	v_cvt_f32_f16 v82, v18;
	;;#ASMEND
	ds_load_b128 v[76:79], v25 offset:128
	s_wait_dscnt 0x0
	v_and_b32_e32 v8, 0xffff, v76
	;;#ASMSTART
	v_cvt_f32_f16 v120, v8;
	;;#ASMEND
	v_dual_lshrrev_b32 v18, 16, v76 :: v_dual_bitop2_b32 v8, v106, v107 bitop3:0x54
	;;#ASMSTART
	v_cvt_f32_f16 v121, v18;
	;;#ASMEND
	v_lshrrev_b32_e32 v19, 16, v78
	v_and_b32_e32 v24, 0xffff, v78
	s_delay_alu instid0(VALU_DEP_3) | instskip(SKIP_1) | instid1(VALU_DEP_2)
	v_fma_mixlo_f16 v8, v15, v8, 0 op_sel_hi:[0,1,0]
	v_fma_mixlo_f16 v18, v15, v106, 0 op_sel:[0,1,0] op_sel_hi:[0,1,0]
	v_and_b32_e32 v8, 0xffff, v8
	s_delay_alu instid0(VALU_DEP_2)
	v_and_b32_e32 v18, 0xffff, v18
	;;#ASMSTART
	v_cvt_f32_f16 v122, v8;
	;;#ASMEND
	;;#ASMSTART
	v_cvt_f32_f16 v123, v18;
	;;#ASMEND
	v_lshrrev_b32_e32 v8, 16, v77
	v_pk_fma_f32 v[120:121], v[120:121], v[122:123], v[58:59]
	v_pk_fma_f32 v[122:123], v[100:101], v[102:103], v[34:35]
	v_and_b32_e32 v18, 0xffff, v77
	v_lshrrev_b32_e32 v34, 16, v79
	v_and_b32_e32 v35, 0xffff, v79
	;;#ASMSTART
	v_cvt_f32_f16 v79, v18;
	;;#ASMEND
	;;#ASMSTART
	v_cvt_f32_f16 v78, v8;
	;;#ASMEND
	v_or_b32_e32 v8, v112, v118
	v_fma_mixlo_f16 v18, v15, v112, 0 op_sel:[0,1,0] op_sel_hi:[0,1,0]
	v_pk_fma_f32 v[106:107], v[114:115], v[116:117], v[122:123]
	s_delay_alu instid0(VALU_DEP_3) | instskip(NEXT) | instid1(VALU_DEP_3)
	v_fma_mixlo_f16 v8, v15, v8, 0 op_sel_hi:[0,1,0]
	v_and_b32_e32 v18, 0xffff, v18
	s_delay_alu instid0(VALU_DEP_3) | instskip(NEXT) | instid1(VALU_DEP_3)
	v_pk_fma_f32 v[106:107], v[42:43], v[46:47], v[106:107]
	v_and_b32_e32 v8, 0xffff, v8
	;;#ASMSTART
	v_cvt_f32_f16 v89, v8;
	;;#ASMEND
	v_or_b32_e32 v8, v113, v108
	;;#ASMSTART
	v_cvt_f32_f16 v88, v18;
	;;#ASMEND
	v_fma_mixlo_f16 v18, v15, v113, 0 op_sel:[0,1,0] op_sel_hi:[0,1,0]
	;;#ASMSTART
	v_cvt_f32_f16 v103, v24;
	;;#ASMEND
	;;#ASMSTART
	v_cvt_f32_f16 v102, v19;
	;;#ASMEND
	v_fma_mixlo_f16 v8, v15, v8, 0 op_sel_hi:[0,1,0]
	s_delay_alu instid0(VALU_DEP_2) | instskip(NEXT) | instid1(VALU_DEP_2)
	v_and_b32_e32 v18, 0xffff, v18
	v_and_b32_e32 v8, 0xffff, v8
	;;#ASMSTART
	v_cvt_f32_f16 v113, v8;
	;;#ASMEND
	v_or_b32_e32 v8, v61, v73
	;;#ASMSTART
	v_cvt_f32_f16 v112, v18;
	;;#ASMEND
	v_fma_mixlo_f16 v18, v15, v61, 0 op_sel:[0,1,0] op_sel_hi:[0,1,0]
	;;#ASMSTART
	v_cvt_f32_f16 v35, v35;
	;;#ASMEND
	;;#ASMSTART
	v_cvt_f32_f16 v34, v34;
	;;#ASMEND
	v_fma_mixlo_f16 v8, v15, v8, 0 op_sel_hi:[0,1,0]
	s_delay_alu instid0(VALU_DEP_2) | instskip(NEXT) | instid1(VALU_DEP_2)
	v_and_b32_e32 v18, 0xffff, v18
	v_and_b32_e32 v8, 0xffff, v8
	;;#ASMSTART
	v_cvt_f32_f16 v101, v8;
	;;#ASMEND
	;;#ASMSTART
	v_cvt_f32_f16 v100, v18;
	;;#ASMEND
	ds_load_b128 v[58:61], v25 offset:144
	s_wait_dscnt 0x0
	v_and_b32_e32 v8, 0xffff, v58
	;;#ASMSTART
	v_cvt_f32_f16 v76, v8;
	;;#ASMEND
	v_dual_lshrrev_b32 v18, 16, v58 :: v_dual_bitop2_b32 v8, v119, v72 bitop3:0x54
	;;#ASMSTART
	v_cvt_f32_f16 v77, v18;
	;;#ASMEND
	v_lshrrev_b32_e32 v19, 16, v60
	v_and_b32_e32 v24, 0xffff, v60
	s_delay_alu instid0(VALU_DEP_3) | instskip(SKIP_3) | instid1(VALU_DEP_4)
	v_fma_mixlo_f16 v8, v15, v8, 0 op_sel_hi:[0,1,0]
	v_fma_mixlo_f16 v18, v15, v119, 0 op_sel:[0,1,0] op_sel_hi:[0,1,0]
	v_lshrrev_b32_e32 v114, 16, v61
	v_and_b32_e32 v115, 0xffff, v61
	v_and_b32_e32 v8, 0xffff, v8
	s_delay_alu instid0(VALU_DEP_4)
	v_and_b32_e32 v18, 0xffff, v18
	;;#ASMSTART
	v_cvt_f32_f16 v118, v8;
	;;#ASMEND
	v_lshrrev_b32_e32 v8, 16, v59
	;;#ASMSTART
	v_cvt_f32_f16 v119, v18;
	;;#ASMEND
	v_and_b32_e32 v18, 0xffff, v59
	;;#ASMSTART
	v_cvt_f32_f16 v61, v18;
	;;#ASMEND
	;;#ASMSTART
	v_cvt_f32_f16 v60, v8;
	;;#ASMEND
	v_or_b32_e32 v8, v41, v62
	v_pk_fma_f32 v[76:77], v[76:77], v[118:119], v[120:121]
	v_fma_mixlo_f16 v18, v15, v41, 0 op_sel:[0,1,0] op_sel_hi:[0,1,0]
	s_delay_alu instid0(VALU_DEP_3) | instskip(NEXT) | instid1(VALU_DEP_2)
	v_fma_mixlo_f16 v8, v15, v8, 0 op_sel_hi:[0,1,0]
	v_and_b32_e32 v18, 0xffff, v18
	s_delay_alu instid0(VALU_DEP_2)
	v_and_b32_e32 v8, 0xffff, v8
	;;#ASMSTART
	v_cvt_f32_f16 v73, v8;
	;;#ASMEND
	v_or_b32_e32 v8, v75, v40
	;;#ASMSTART
	v_cvt_f32_f16 v72, v18;
	;;#ASMEND
	v_fma_mixlo_f16 v18, v15, v75, 0 op_sel:[0,1,0] op_sel_hi:[0,1,0]
	;;#ASMSTART
	v_cvt_f32_f16 v119, v24;
	;;#ASMEND
	;;#ASMSTART
	v_cvt_f32_f16 v118, v19;
	;;#ASMEND
	v_fma_mixlo_f16 v8, v15, v8, 0 op_sel_hi:[0,1,0]
	s_delay_alu instid0(VALU_DEP_2) | instskip(NEXT) | instid1(VALU_DEP_2)
	v_and_b32_e32 v18, 0xffff, v18
	v_and_b32_e32 v8, 0xffff, v8
	;;#ASMSTART
	v_cvt_f32_f16 v41, v8;
	;;#ASMEND
	v_or_b32_e32 v8, v63, v74
	;;#ASMSTART
	v_cvt_f32_f16 v40, v18;
	;;#ASMEND
	v_fma_mixlo_f16 v18, v15, v63, 0 op_sel:[0,1,0] op_sel_hi:[0,1,0]
	;;#ASMSTART
	v_cvt_f32_f16 v115, v115;
	;;#ASMEND
	;;#ASMSTART
	v_cvt_f32_f16 v114, v114;
	;;#ASMEND
	v_fma_mixlo_f16 v8, v15, v8, 0 op_sel_hi:[0,1,0]
	s_delay_alu instid0(VALU_DEP_2) | instskip(NEXT) | instid1(VALU_DEP_2)
	v_and_b32_e32 v18, 0xffff, v18
	v_and_b32_e32 v8, 0xffff, v8
	;;#ASMSTART
	v_cvt_f32_f16 v117, v8;
	;;#ASMEND
	;;#ASMSTART
	v_cvt_f32_f16 v116, v18;
	;;#ASMEND
	ds_load_b128 v[120:123], v25 offset:160
	s_wait_dscnt 0x0
	v_and_b32_e32 v8, 0xffff, v120
	;;#ASMSTART
	v_cvt_f32_f16 v58, v8;
	;;#ASMEND
	v_dual_lshrrev_b32 v18, 16, v120 :: v_dual_bitop2_b32 v8, v17, v110 bitop3:0x54
	;;#ASMSTART
	v_cvt_f32_f16 v59, v18;
	;;#ASMEND
	v_lshrrev_b32_e32 v19, 16, v122
	v_and_b32_e32 v24, 0xffff, v122
	s_delay_alu instid0(VALU_DEP_3)
	v_fma_mixlo_f16 v8, v15, v8, 0 op_sel_hi:[0,1,0]
	v_fma_mixlo_f16 v18, v15, v17, 0 op_sel:[0,1,0] op_sel_hi:[0,1,0]
	v_lshrrev_b32_e32 v42, 16, v123
	v_and_b32_e32 v43, 0xffff, v123
	v_fma_mixlo_f16 v17, v15, v13, 0 op_sel:[0,1,0] op_sel_hi:[0,1,0]
	v_and_b32_e32 v8, 0xffff, v8
	v_and_b32_e32 v18, 0xffff, v18
	;;#ASMSTART
	v_cvt_f32_f16 v74, v8;
	;;#ASMEND
	;;#ASMSTART
	v_cvt_f32_f16 v75, v18;
	;;#ASMEND
	v_lshrrev_b32_e32 v8, 16, v121
	v_pk_fma_f32 v[108:109], v[58:59], v[74:75], v[76:77]
	v_and_b32_e32 v18, 0xffff, v121
	;;#ASMSTART
	v_cvt_f32_f16 v75, v18;
	;;#ASMEND
	;;#ASMSTART
	v_cvt_f32_f16 v74, v8;
	;;#ASMEND
	v_or_b32_e32 v8, v16, v125
	v_and_b32_e32 v17, 0xffff, v17
	v_fma_mixlo_f16 v18, v15, v16, 0 op_sel:[0,1,0] op_sel_hi:[0,1,0]
	s_delay_alu instid0(VALU_DEP_3) | instskip(NEXT) | instid1(VALU_DEP_2)
	v_fma_mixlo_f16 v8, v15, v8, 0 op_sel_hi:[0,1,0]
	v_and_b32_e32 v18, 0xffff, v18
	s_delay_alu instid0(VALU_DEP_2)
	v_and_b32_e32 v8, 0xffff, v8
	;;#ASMSTART
	v_cvt_f32_f16 v77, v8;
	;;#ASMEND
	v_or_b32_e32 v8, v126, v124
	;;#ASMSTART
	v_cvt_f32_f16 v76, v18;
	;;#ASMEND
	v_fma_mixlo_f16 v18, v15, v126, 0 op_sel:[0,1,0] op_sel_hi:[0,1,0]
	;;#ASMSTART
	v_cvt_f32_f16 v59, v24;
	;;#ASMEND
	;;#ASMSTART
	v_cvt_f32_f16 v58, v19;
	;;#ASMEND
	v_fma_mixlo_f16 v8, v15, v8, 0 op_sel_hi:[0,1,0]
	s_delay_alu instid0(VALU_DEP_2) | instskip(NEXT) | instid1(VALU_DEP_2)
	v_and_b32_e32 v18, 0xffff, v18
	v_and_b32_e32 v8, 0xffff, v8
	;;#ASMSTART
	v_cvt_f32_f16 v63, v8;
	;;#ASMEND
	v_or_b32_e32 v8, v20, v11
	;;#ASMSTART
	v_cvt_f32_f16 v62, v18;
	;;#ASMEND
	v_fma_mixlo_f16 v18, v15, v20, 0 op_sel:[0,1,0] op_sel_hi:[0,1,0]
	;;#ASMSTART
	v_cvt_f32_f16 v43, v43;
	;;#ASMEND
	;;#ASMSTART
	v_cvt_f32_f16 v42, v42;
	;;#ASMEND
	v_fma_mixlo_f16 v8, v15, v8, 0 op_sel_hi:[0,1,0]
	s_delay_alu instid0(VALU_DEP_2) | instskip(NEXT) | instid1(VALU_DEP_2)
	v_and_b32_e32 v18, 0xffff, v18
	v_and_b32_e32 v8, 0xffff, v8
	;;#ASMSTART
	v_cvt_f32_f16 v47, v8;
	;;#ASMEND
	;;#ASMSTART
	v_cvt_f32_f16 v46, v18;
	;;#ASMEND
	ds_load_b128 v[120:123], v25 offset:176
	s_wait_dscnt 0x0
	v_and_b32_e32 v8, 0xffff, v120
	;;#ASMSTART
	v_cvt_f32_f16 v110, v8;
	;;#ASMEND
	v_or_b32_e32 v8, v13, v0
	v_lshrrev_b32_e32 v18, 16, v120
	;;#ASMSTART
	v_cvt_f32_f16 v111, v18;
	;;#ASMEND
	v_lshrrev_b32_e32 v24, 16, v122
	s_delay_alu instid0(VALU_DEP_3) | instskip(NEXT) | instid1(VALU_DEP_1)
	v_fma_mixlo_f16 v8, v15, v8, 0 op_sel_hi:[0,1,0]
	v_and_b32_e32 v8, 0xffff, v8
	;;#ASMSTART
	v_cvt_f32_f16 v18, v8;
	;;#ASMEND
	;;#ASMSTART
	v_cvt_f32_f16 v19, v17;
	;;#ASMEND
	v_pk_fma_f32 v[108:109], v[110:111], v[18:19], v[108:109]
	v_pk_fma_f32 v[110:111], v[94:95], v[104:105], v[106:107]
	v_lshrrev_b32_e32 v8, 16, v121
	v_and_b32_e32 v17, 0xffff, v121
	;;#ASMSTART
	v_cvt_f32_f16 v105, v17;
	;;#ASMEND
	;;#ASMSTART
	v_cvt_f32_f16 v104, v8;
	;;#ASMEND
	s_clause 0x1
	scratch_load_b32 v0, off, s32 offset:244 th:TH_LOAD_LU
	scratch_load_b32 v11, off, s32 offset:252 th:TH_LOAD_LU
	v_pk_fma_f32 v[18:19], v[44:45], v[56:57], v[32:33]
	v_and_b32_e32 v32, 0xffff, v122
	v_and_b32_e32 v33, 0xffff, v123
	v_lshrrev_b32_e32 v44, 16, v123
	v_pk_fma_f32 v[126:127], v[90:91], v[92:93], v[110:111]
	v_pk_fma_f32 v[18:19], v[2:3], v[4:5], v[18:19]
	s_delay_alu instid0(VALU_DEP_2) | instskip(NEXT) | instid1(VALU_DEP_2)
	v_pk_fma_f32 v[78:79], v[78:79], v[88:89], v[126:127]
	v_pk_fma_f32 v[96:97], v[96:97], v[98:99], v[18:19]
	s_delay_alu instid0(VALU_DEP_1) | instskip(SKIP_3) | instid1(VALU_DEP_2)
	v_pk_fma_f32 v[68:69], v[68:69], v[70:71], v[96:97]
	s_wait_loadcnt 0x0
	v_or_b32_e32 v8, v11, v0
	v_fma_mixlo_f16 v17, v15, v11, 0 op_sel:[0,1,0] op_sel_hi:[0,1,0]
	v_fma_mixlo_f16 v8, v15, v8, 0 op_sel_hi:[0,1,0]
	s_delay_alu instid0(VALU_DEP_2) | instskip(NEXT) | instid1(VALU_DEP_2)
	v_and_b32_e32 v17, 0xffff, v17
	v_and_b32_e32 v8, 0xffff, v8
	;;#ASMSTART
	v_cvt_f32_f16 v107, v8;
	;;#ASMEND
	;;#ASMSTART
	v_cvt_f32_f16 v106, v17;
	;;#ASMEND
	;; [unrolled: 3-line block ×4, first 2 shown]
	s_clause 0x1
	scratch_load_b32 v0, off, s32 offset:248 th:TH_LOAD_LU
	scratch_load_b32 v11, off, s32 offset:260 th:TH_LOAD_LU
	s_wait_loadcnt 0x0
	v_or_b32_e32 v8, v11, v0
	v_fma_mixlo_f16 v16, v15, v11, 0 op_sel:[0,1,0] op_sel_hi:[0,1,0]
	s_delay_alu instid0(VALU_DEP_2) | instskip(NEXT) | instid1(VALU_DEP_2)
	v_fma_mixlo_f16 v8, v15, v8, 0 op_sel_hi:[0,1,0]
	v_and_b32_e32 v16, 0xffff, v16
	s_delay_alu instid0(VALU_DEP_2)
	v_and_b32_e32 v8, 0xffff, v8
	;;#ASMSTART
	v_cvt_f32_f16 v95, v8;
	;;#ASMEND
	;;#ASMSTART
	v_cvt_f32_f16 v94, v16;
	;;#ASMEND
	;; [unrolled: 3-line block ×4, first 2 shown]
	s_clause 0x1
	scratch_load_b32 v0, off, s32 offset:256 th:TH_LOAD_LU
	scratch_load_b32 v11, off, s32 offset:220 th:TH_LOAD_LU
	s_wait_loadcnt 0x0
	v_or_b32_e32 v8, v11, v0
	v_fma_mixlo_f16 v16, v15, v11, 0 op_sel:[0,1,0] op_sel_hi:[0,1,0]
	s_delay_alu instid0(VALU_DEP_2) | instskip(NEXT) | instid1(VALU_DEP_2)
	v_fma_mixlo_f16 v8, v15, v8, 0 op_sel_hi:[0,1,0]
	v_and_b32_e32 v16, 0xffff, v16
	s_delay_alu instid0(VALU_DEP_2)
	v_and_b32_e32 v8, 0xffff, v8
	;;#ASMSTART
	v_cvt_f32_f16 v45, v8;
	;;#ASMEND
	;;#ASMSTART
	v_cvt_f32_f16 v44, v16;
	;;#ASMEND
	ds_load_b128 v[120:123], v25 offset:192
	s_wait_dscnt 0x0
	v_and_b32_e32 v8, 0xffff, v120
	v_lshrrev_b32_e32 v16, 16, v120
	;;#ASMSTART
	v_cvt_f32_f16 v124, v8;
	;;#ASMEND
	;;#ASMSTART
	v_cvt_f32_f16 v125, v16;
	;;#ASMEND
	s_clause 0x1
	scratch_load_b32 v0, off, s32 offset:264 th:TH_LOAD_LU
	scratch_load_b32 v11, off, s32 offset:272 th:TH_LOAD_LU
	v_and_b32_e32 v3, 0xffff, v121
	v_dual_lshrrev_b32 v2, 16, v121 :: v_dual_lshrrev_b32 v4, 16, v122
	v_and_b32_e32 v5, 0xffff, v122
	v_and_b32_e32 v20, 0xffff, v123
	s_wait_loadcnt 0x0
	v_or_b32_e32 v8, v11, v0
	v_fma_mixlo_f16 v16, v15, v11, 0 op_sel:[0,1,0] op_sel_hi:[0,1,0]
	s_delay_alu instid0(VALU_DEP_2) | instskip(NEXT) | instid1(VALU_DEP_2)
	v_fma_mixlo_f16 v8, v15, v8, 0 op_sel_hi:[0,1,0]
	v_and_b32_e32 v17, 0xffff, v16
	s_delay_alu instid0(VALU_DEP_2)
	v_and_b32_e32 v8, 0xffff, v8
	;;#ASMSTART
	v_cvt_f32_f16 v16, v8;
	;;#ASMEND
	;;#ASMSTART
	v_cvt_f32_f16 v17, v17;
	;;#ASMEND
	;; [unrolled: 3-line block ×4, first 2 shown]
	s_clause 0x1
	scratch_load_b32 v0, off, s32 offset:268 th:TH_LOAD_LU
	scratch_load_b32 v3, off, s32 offset:280 th:TH_LOAD_LU
	v_pk_fma_f32 v[16:17], v[124:125], v[16:17], v[108:109]
	s_wait_loadcnt 0x0
	v_dual_lshrrev_b32 v8, 16, v123 :: v_dual_bitop2_b32 v2, v3, v0 bitop3:0x54
	v_fma_mixlo_f16 v3, v15, v3, 0 op_sel:[0,1,0] op_sel_hi:[0,1,0]
	s_delay_alu instid0(VALU_DEP_2) | instskip(NEXT) | instid1(VALU_DEP_2)
	v_fma_mixlo_f16 v2, v15, v2, 0 op_sel_hi:[0,1,0]
	v_and_b32_e32 v3, 0xffff, v3
	s_delay_alu instid0(VALU_DEP_2)
	v_and_b32_e32 v2, 0xffff, v2
	;;#ASMSTART
	v_cvt_f32_f16 v123, v2;
	;;#ASMEND
	;;#ASMSTART
	v_cvt_f32_f16 v122, v3;
	;;#ASMEND
	;; [unrolled: 3-line block ×4, first 2 shown]
	s_clause 0x1
	scratch_load_b32 v0, off, s32 offset:276 th:TH_LOAD_LU
	scratch_load_b32 v3, off, s32 offset:200 th:TH_LOAD_LU
	s_wait_loadcnt 0x0
	v_or_b32_e32 v2, v3, v0
	v_fma_mixlo_f16 v3, v15, v3, 0 op_sel:[0,1,0] op_sel_hi:[0,1,0]
	s_delay_alu instid0(VALU_DEP_2) | instskip(NEXT) | instid1(VALU_DEP_2)
	v_fma_mixlo_f16 v2, v15, v2, 0 op_sel_hi:[0,1,0]
	v_and_b32_e32 v3, 0xffff, v3
	s_delay_alu instid0(VALU_DEP_2)
	v_and_b32_e32 v2, 0xffff, v2
	;;#ASMSTART
	v_cvt_f32_f16 v111, v2;
	;;#ASMEND
	;;#ASMSTART
	v_cvt_f32_f16 v110, v3;
	;;#ASMEND
	;; [unrolled: 3-line block ×4, first 2 shown]
	scratch_load_b32 v0, off, s32 offset:284 th:TH_LOAD_LU ; 4-byte Folded Reload
	v_fma_mixlo_f16 v3, v15, v27, 0 op_sel:[0,1,0] op_sel_hi:[0,1,0]
	s_delay_alu instid0(VALU_DEP_1) | instskip(SKIP_2) | instid1(VALU_DEP_1)
	v_and_b32_e32 v3, 0xffff, v3
	s_wait_loadcnt 0x0
	v_or_b32_e32 v2, v27, v0
	v_fma_mixlo_f16 v2, v15, v2, 0 op_sel_hi:[0,1,0]
	s_delay_alu instid0(VALU_DEP_1)
	v_and_b32_e32 v2, 0xffff, v2
	;;#ASMSTART
	v_cvt_f32_f16 v93, v2;
	;;#ASMEND
	;;#ASMSTART
	v_cvt_f32_f16 v92, v3;
	;;#ASMEND
	ds_load_b128 v[2:5], v25 offset:208
	s_wait_dscnt 0x0
	v_and_b32_e32 v8, 0xffff, v2
	v_lshrrev_b32_e32 v2, 16, v2
	;;#ASMSTART
	v_cvt_f32_f16 v124, v8;
	;;#ASMEND
	;;#ASMSTART
	v_cvt_f32_f16 v125, v2;
	;;#ASMEND
	scratch_load_b32 v0, off, s32 offset:204 th:TH_LOAD_LU ; 4-byte Folded Reload
	v_fma_mixlo_f16 v8, v15, v9, 0 op_sel:[0,1,0] op_sel_hi:[0,1,0]
	v_dual_lshrrev_b32 v13, 16, v3 :: v_dual_lshrrev_b32 v20, 16, v4
	v_and_b32_e32 v24, 0xffff, v4
	v_lshrrev_b32_e32 v27, 16, v5
	v_and_b32_e32 v5, 0xffff, v5
	s_wait_loadcnt 0x0
	v_or_b32_e32 v2, v9, v0
	v_and_b32_e32 v9, 0xffff, v8
	s_delay_alu instid0(VALU_DEP_2) | instskip(NEXT) | instid1(VALU_DEP_1)
	v_fma_mixlo_f16 v2, v15, v2, 0 op_sel_hi:[0,1,0]
	v_and_b32_e32 v2, 0xffff, v2
	;;#ASMSTART
	v_cvt_f32_f16 v8, v2;
	;;#ASMEND
	;;#ASMSTART
	v_cvt_f32_f16 v9, v9;
	;;#ASMEND
	scratch_load_b32 v0, off, s32 offset:208 th:TH_LOAD_LU ; 4-byte Folded Reload
	v_pk_fma_f32 v[124:125], v[124:125], v[8:9], v[16:17]
	v_and_b32_e32 v16, 0xffff, v3
	v_fma_mixlo_f16 v3, v15, v23, 0 op_sel:[0,1,0] op_sel_hi:[0,1,0]
	v_pk_fma_f32 v[8:9], v[52:53], v[54:55], v[30:31]
	s_delay_alu instid0(VALU_DEP_2) | instskip(NEXT) | instid1(VALU_DEP_2)
	v_and_b32_e32 v18, 0xffff, v3
	v_pk_fma_f32 v[8:9], v[36:37], v[38:39], v[8:9]
	s_delay_alu instid0(VALU_DEP_1) | instskip(NEXT) | instid1(VALU_DEP_1)
	v_pk_fma_f32 v[8:9], v[48:49], v[50:51], v[8:9]
	v_pk_fma_f32 v[8:9], v[64:65], v[66:67], v[8:9]
	s_delay_alu instid0(VALU_DEP_1) | instskip(NEXT) | instid1(VALU_DEP_1)
	v_pk_fma_f32 v[8:9], v[80:81], v[82:83], v[8:9]
	;; [unrolled: 3-line block ×3, first 2 shown]
	v_pk_fma_f32 v[8:9], v[42:43], v[46:47], v[8:9]
	s_delay_alu instid0(VALU_DEP_1)
	v_pk_fma_f32 v[8:9], v[32:33], v[44:45], v[8:9]
	s_wait_loadcnt 0x0
	v_or_b32_e32 v2, v23, v0
	scratch_load_b32 v0, off, s32 offset:212 th:TH_LOAD_LU ; 4-byte Folded Reload
	;;#ASMSTART
	v_cvt_f32_f16 v17, v16;
	;;#ASMEND
	;;#ASMSTART
	v_cvt_f32_f16 v16, v13;
	;;#ASMEND
	v_fma_mixlo_f16 v2, v15, v2, 0 op_sel_hi:[0,1,0]
	s_delay_alu instid0(VALU_DEP_1) | instskip(SKIP_1) | instid1(VALU_DEP_1)
	v_and_b32_e32 v4, 0xffff, v2
	;;#ASMSTART
	v_cvt_f32_f16 v19, v4;
	;;#ASMEND
	v_fma_mixlo_f16 v4, v15, v22, 0 op_sel:[0,1,0] op_sel_hi:[0,1,0]
	s_delay_alu instid0(VALU_DEP_1)
	v_and_b32_e32 v4, 0xffff, v4
	s_wait_loadcnt 0x0
	v_or_b32_e32 v2, v22, v0
	scratch_load_b32 v0, off, s32 offset:216 th:TH_LOAD_LU ; 4-byte Folded Reload
	;;#ASMSTART
	v_cvt_f32_f16 v18, v18;
	;;#ASMEND
	;;#ASMSTART
	v_cvt_f32_f16 v55, v24;
	;;#ASMEND
	;; [unrolled: 3-line block ×3, first 2 shown]
	v_fma_mixlo_f16 v2, v15, v2, 0 op_sel_hi:[0,1,0]
	s_delay_alu instid0(VALU_DEP_1)
	v_and_b32_e32 v11, 0xffff, v2
	;;#ASMSTART
	v_cvt_f32_f16 v99, v11;
	;;#ASMEND
	;;#ASMSTART
	v_cvt_f32_f16 v98, v4;
	;;#ASMEND
	;; [unrolled: 3-line block ×4, first 2 shown]
	v_fma_mixlo_f16 v27, v15, v1, 0 op_sel:[0,1,0] op_sel_hi:[0,1,0]
	s_wait_loadcnt 0x0
	v_or_b32_e32 v3, v10, v0
	s_delay_alu instid0(VALU_DEP_1) | instskip(SKIP_1) | instid1(VALU_DEP_2)
	v_fma_mixlo_f16 v2, v15, v3, 0 op_sel_hi:[0,1,0]
	v_fma_mixlo_f16 v3, v15, v10, 0 op_sel:[0,1,0] op_sel_hi:[0,1,0]
	v_and_b32_e32 v2, 0xffff, v2
	s_delay_alu instid0(VALU_DEP_2)
	v_and_b32_e32 v3, 0xffff, v3
	;;#ASMSTART
	v_cvt_f32_f16 v53, v2;
	;;#ASMEND
	;;#ASMSTART
	v_cvt_f32_f16 v52, v3;
	;;#ASMEND
	ds_load_b128 v[2:5], v25 offset:224
	s_wait_dscnt 0x0
	v_and_b32_e32 v10, 0xffff, v2
	v_lshrrev_b32_e32 v2, 16, v2
	;;#ASMSTART
	v_cvt_f32_f16 v10, v10;
	;;#ASMEND
	;;#ASMSTART
	v_cvt_f32_f16 v11, v2;
	;;#ASMEND
	scratch_load_b32 v0, off, s32 offset:288 th:TH_LOAD_LU ; 4-byte Folded Reload
	v_fma_mixlo_f16 v2, v15, v6, 0 op_sel:[0,1,0] op_sel_hi:[0,1,0]
	s_delay_alu instid0(VALU_DEP_1) | instskip(SKIP_4) | instid1(VALU_DEP_3)
	v_and_b32_e32 v2, 0xffff, v2
	s_wait_loadcnt 0x0
	v_or_b32_e32 v0, v6, v0
	v_or_b32_e32 v6, v1, v21
	v_fma_mixlo_f16 v21, v15, v26, 0 op_sel:[0,1,0] op_sel_hi:[0,1,0]
	v_fma_mixlo_f16 v0, v15, v0, 0 op_sel_hi:[0,1,0]
	s_delay_alu instid0(VALU_DEP_1)
	v_and_b32_e32 v0, 0xffff, v0
	;;#ASMSTART
	v_cvt_f32_f16 v22, v0;
	;;#ASMEND
	;;#ASMSTART
	v_cvt_f32_f16 v23, v2;
	;;#ASMEND
	v_pk_fma_f32 v[10:11], v[10:11], v[22:23], v[124:125]
	v_pk_fma_f32 v[22:23], v[60:61], v[72:73], v[78:79]
	s_clause 0x1
	scratch_load_b64 v[60:61], off, s32 offset:324
	scratch_load_b32 v2, off, s32 offset:292 th:TH_LOAD_LU
	s_wait_loadcnt 0x0
	v_dual_sub_nc_u32 v0, 1, v60 :: v_dual_bitop2_b32 v2, v7, v2 bitop3:0x54
	s_delay_alu instid0(VALU_DEP_1) | instskip(NEXT) | instid1(VALU_DEP_2)
	v_add_nc_u32_e32 v0, v0, v28
	v_fma_mixlo_f16 v20, v15, v2, 0 op_sel_hi:[0,1,0]
	s_delay_alu instid0(VALU_DEP_2)
	v_cvt_f32_i32_e32 v13, v0
	v_or_b32_e32 v0, v26, v14
	v_fma_mixlo_f16 v14, v15, v7, 0 op_sel:[0,1,0] op_sel_hi:[0,1,0]
	v_fma_mixlo_f16 v26, v15, v6, 0 op_sel_hi:[0,1,0]
	v_and_b32_e32 v6, 0xffff, v3
	;;#ASMSTART
	v_cvt_f32_f16 v7, v6;
	;;#ASMEND
	v_fma_mixlo_f16 v24, v15, v0, 0 op_sel_hi:[0,1,0]
	v_lshrrev_b32_e32 v15, 16, v3
	v_pk_fma_f32 v[2:3], v[84:85], v[86:87], v[68:69]
	v_pk_fma_f32 v[0:1], v[74:75], v[76:77], v[22:23]
	;;#ASMSTART
	v_cvt_f32_f16 v6, v15;
	;;#ASMEND
	v_and_b32_e32 v15, 0xffff, v20
	v_and_b32_e32 v14, 0xffff, v14
	v_pk_fma_f32 v[2:3], v[102:103], v[112:113], v[2:3]
	v_pk_fma_f32 v[0:1], v[104:105], v[106:107], v[0:1]
	;;#ASMSTART
	v_cvt_f32_f16 v15, v15;
	;;#ASMEND
	;;#ASMSTART
	v_cvt_f32_f16 v14, v14;
	;;#ASMEND
	s_delay_alu instid0(VALU_DEP_2) | instskip(NEXT) | instid1(VALU_DEP_2)
	v_pk_fma_f32 v[2:3], v[118:119], v[40:41], v[2:3]
	v_pk_fma_f32 v[0:1], v[120:121], v[122:123], v[0:1]
	s_delay_alu instid0(VALU_DEP_2) | instskip(NEXT) | instid1(VALU_DEP_2)
	v_pk_fma_f32 v[2:3], v[58:59], v[62:63], v[2:3]
	v_pk_fma_f32 v[0:1], v[16:17], v[18:19], v[0:1]
	v_and_b32_e32 v16, 0xffff, v4
	v_dual_lshrrev_b32 v4, 16, v4 :: v_dual_mov_b32 v58, v60
	s_delay_alu instid0(VALU_DEP_4) | instskip(NEXT) | instid1(VALU_DEP_4)
	v_pk_fma_f32 v[2:3], v[56:57], v[94:95], v[2:3]
	v_pk_fma_f32 v[0:1], v[6:7], v[14:15], v[0:1]
	;;#ASMSTART
	v_cvt_f32_f16 v7, v16;
	;;#ASMEND
	;;#ASMSTART
	v_cvt_f32_f16 v6, v4;
	;;#ASMEND
	v_add_f32_e32 v4, v10, v11
	v_pk_fma_f32 v[2:3], v[108:109], v[110:111], v[2:3]
	v_and_b32_e32 v14, 0xffff, v24
	v_and_b32_e32 v15, 0xffff, v21
	;;#ASMSTART
	v_cvt_f32_f16 v11, v14;
	;;#ASMEND
	v_add_f32_e32 v1, v4, v1
	v_pk_fma_f32 v[2:3], v[54:55], v[98:99], v[2:3]
	;;#ASMSTART
	v_cvt_f32_f16 v10, v15;
	;;#ASMEND
	v_and_b32_e32 v14, 0xffff, v5
	v_cmp_lt_i32_e64 s1, v28, v58
	v_add_f32_e32 v0, v0, v1
	v_pk_fma_f32 v[2:3], v[6:7], v[10:11], v[2:3]
	v_lshrrev_b32_e32 v6, 16, v5
	v_pk_fma_f32 v[4:5], v[90:91], v[92:93], v[8:9]
	;;#ASMSTART
	v_cvt_f32_f16 v1, v14;
	;;#ASMEND
	v_and_b32_e32 v7, 0xffff, v26
	v_add_f32_e32 v3, v0, v3
	;;#ASMSTART
	v_cvt_f32_f16 v0, v6;
	;;#ASMEND
	v_pk_fma_f32 v[4:5], v[30:31], v[52:53], v[4:5]
	v_and_b32_e32 v8, 0xffff, v27
	;;#ASMSTART
	v_cvt_f32_f16 v7, v7;
	;;#ASMEND
	;;#ASMSTART
	v_cvt_f32_f16 v6, v8;
	;;#ASMEND
	v_add_f32_e32 v2, v2, v3
	v_pk_fma_f32 v[0:1], v[0:1], v[6:7], v[4:5]
	s_clause 0x1
	scratch_load_b32 v3, off, s32 offset:296
	scratch_load_b32 v44, off, s32 offset:312
	v_dual_add_f32 v1, v2, v1 :: v_dual_add_nc_u32 v18, 0x80, v28
	s_delay_alu instid0(VALU_DEP_1)
	v_add_f32_e32 v0, v0, v1
	s_clause 0x1
	scratch_load_b32 v1, off, s32 offset:308
	scratch_load_b32 v11, off, s32 offset:232 th:TH_LOAD_LU
	s_wait_loadcnt 0x3
	v_mul_f32_e32 v3, v3, v13
	s_delay_alu instid0(VALU_DEP_1) | instskip(SKIP_1) | instid1(VALU_DEP_1)
	v_cndmask_b32_e32 v2, 0, v3, vcc_lo
	s_wait_loadcnt 0x0
	v_dual_fmac_f32 v2, v1, v0 :: v_dual_max_num_f32 v0, v11, v11
	s_delay_alu instid0(VALU_DEP_1)
	v_dual_cndmask_b32 v1, 0, v2, s1 :: v_dual_max_num_f32 v0, v0, v2
	ds_store_b32 v29, v1
	v_cndmask_b32_e64 v11, v11, v0, s1
	scratch_load_b64 v[0:1], off, s32 offset:236 th:TH_LOAD_LU ; 8-byte Folded Reload
	v_cmp_ge_i32_e64 s1, v12, v44
	v_add_nc_u32_e32 v29, 0x200, v29
	s_or_b32 s7, s1, s7
	s_wait_loadcnt 0x0
	v_add_nc_u64_e32 v[0:1], 16, v[0:1]
	s_wait_xcnt 0x0
	s_and_not1_b32 exec_lo, exec_lo, s7
	s_cbranch_execz .LBB296_967
.LBB296_10:                             ; =>This Inner Loop Header: Depth=1
	s_clause 0x1
	scratch_store_b32 off, v11, s32 offset:232
	scratch_store_b64 off, v[0:1], s32 offset:236
	flat_load_b32 v0, v[0:1]
	s_clause 0x1
	scratch_load_b64 v[2:3], off, s32 offset:224
	scratch_load_b64 v[4:5], off, s32 offset:316
	v_dual_mov_b32 v37, v12 :: v_dual_mov_b32 v19, v29
	v_mov_b32_e32 v30, 0
	s_mov_b32 s15, exec_lo
	s_wait_loadcnt_dscnt 0x0
	v_mad_nc_i64_i32 v[2:3], v0, v2, v[4:5]
	flat_load_b64 v[4:5], v[2:3]
	scratch_load_b64 v[0:1], off, s32 offset:300 ; 8-byte Folded Reload
	s_wait_loadcnt 0x0
	flat_load_b32 v15, v[0:1]
	s_wait_dscnt 0x1
	s_wait_xcnt 0x0
	v_and_b32_e32 v0, 0xff, v4
	s_delay_alu instid0(VALU_DEP_1)
	v_cmpx_ne_u16_e32 0, v0
	s_cbranch_execz .LBB296_18
; %bb.11:                               ;   in Loop: Header=BB296_10 Depth=1
	v_mov_b32_e32 v30, 0x8000
	s_mov_b32 s16, exec_lo
	v_cmpx_ne_u16_e32 0x80, v0
	s_cbranch_execz .LBB296_17
; %bb.12:                               ;   in Loop: Header=BB296_10 Depth=1
	v_and_b32_e32 v6, 0x7f, v4
	v_mov_b32_e32 v30, 0x7c01
	s_mov_b32 s17, exec_lo
	s_delay_alu instid0(VALU_DEP_2)
	v_cmpx_ne_u32_e32 0x7f, v6
	s_cbranch_execz .LBB296_16
; %bb.13:                               ;   in Loop: Header=BB296_10 Depth=1
	v_dual_lshrrev_b32 v1, 3, v6 :: v_dual_bitop2_b32 v0, 7, v4 bitop3:0x40
	s_mov_b32 s18, exec_lo
	v_cmpx_gt_u32_e32 8, v6
; %bb.14:                               ;   in Loop: Header=BB296_10 Depth=1
	s_delay_alu instid0(VALU_DEP_2) | instskip(NEXT) | instid1(VALU_DEP_1)
	v_clz_i32_u32_e32 v0, v0
	v_min_u32_e32 v6, 32, v0
	s_delay_alu instid0(VALU_DEP_1) | instskip(NEXT) | instid1(VALU_DEP_1)
	v_subrev_nc_u32_e32 v0, 28, v6
	v_lshlrev_b64_e32 v[0:1], v0, v[4:5]
	s_delay_alu instid0(VALU_DEP_1)
	v_dual_sub_nc_u32 v1, 29, v6 :: v_dual_bitop2_b32 v0, 7, v0 bitop3:0x40
; %bb.15:                               ;   in Loop: Header=BB296_10 Depth=1
	s_or_b32 exec_lo, exec_lo, s18
	v_lshlrev_b32_e32 v6, 8, v4
	s_delay_alu instid0(VALU_DEP_2) | instskip(NEXT) | instid1(VALU_DEP_3)
	v_lshl_add_u32 v1, v1, 10, 0x2000
	v_lshlrev_b32_e32 v0, 7, v0
	s_delay_alu instid0(VALU_DEP_3) | instskip(NEXT) | instid1(VALU_DEP_3)
	v_and_b32_e32 v6, 0x8000, v6
	v_and_b32_e32 v1, 0xfc00, v1
	s_delay_alu instid0(VALU_DEP_1)
	v_or3_b32 v30, v6, v1, v0
.LBB296_16:                             ;   in Loop: Header=BB296_10 Depth=1
	s_or_b32 exec_lo, exec_lo, s17
.LBB296_17:                             ;   in Loop: Header=BB296_10 Depth=1
	s_delay_alu instid0(SALU_CYCLE_1)
	s_or_b32 exec_lo, exec_lo, s16
.LBB296_18:                             ;   in Loop: Header=BB296_10 Depth=1
	s_delay_alu instid0(SALU_CYCLE_1) | instskip(SKIP_3) | instid1(VALU_DEP_2)
	s_or_b32 exec_lo, exec_lo, s15
	v_lshrrev_b16 v24, 8, v4
	v_dual_mov_b32 v31, 0 :: v_dual_mov_b32 v32, 0
	s_mov_b32 s15, exec_lo
	v_cmpx_ne_u16_e32 0, v24
	s_cbranch_execz .LBB296_26
; %bb.19:                               ;   in Loop: Header=BB296_10 Depth=1
	v_bfrev_b32_e32 v32, 1
	s_mov_b32 s16, exec_lo
	v_cmpx_ne_u16_e32 0x80, v24
	s_cbranch_execz .LBB296_25
; %bb.20:                               ;   in Loop: Header=BB296_10 Depth=1
	v_and_b32_e32 v0, 0xffff, v24
	v_mov_b32_e32 v32, 0x7c010000
	s_mov_b32 s17, exec_lo
	s_delay_alu instid0(VALU_DEP_2) | instskip(NEXT) | instid1(VALU_DEP_1)
	v_and_b32_e32 v7, 0x7f, v0
	v_cmpx_ne_u32_e32 0x7f, v7
	s_cbranch_execz .LBB296_24
; %bb.21:                               ;   in Loop: Header=BB296_10 Depth=1
	v_dual_lshrrev_b32 v6, 3, v7 :: v_dual_bitop2_b32 v1, 7, v0 bitop3:0x40
	s_mov_b32 s18, exec_lo
	v_cmpx_gt_u32_e32 8, v7
; %bb.22:                               ;   in Loop: Header=BB296_10 Depth=1
	s_delay_alu instid0(VALU_DEP_2) | instskip(NEXT) | instid1(VALU_DEP_1)
	v_clz_i32_u32_e32 v1, v1
	v_min_u32_e32 v1, 32, v1
	s_delay_alu instid0(VALU_DEP_1) | instskip(NEXT) | instid1(VALU_DEP_1)
	v_subrev_nc_u32_e32 v6, 28, v1
	v_lshlrev_b64_e32 v[8:9], v6, v[24:25]
	s_delay_alu instid0(VALU_DEP_1)
	v_dual_sub_nc_u32 v6, 29, v1 :: v_dual_bitop2_b32 v1, 7, v8 bitop3:0x40
; %bb.23:                               ;   in Loop: Header=BB296_10 Depth=1
	s_or_b32 exec_lo, exec_lo, s18
	s_delay_alu instid0(VALU_DEP_1) | instskip(NEXT) | instid1(VALU_DEP_2)
	v_dual_lshlrev_b32 v0, 8, v0 :: v_dual_lshlrev_b32 v1, 23, v1
	v_lshl_add_u32 v6, v6, 10, 0x2000
	s_delay_alu instid0(VALU_DEP_1) | instskip(NEXT) | instid1(VALU_DEP_1)
	v_and_or_b32 v0, 0x8000, v0, v6
	v_lshl_or_b32 v32, v0, 16, v1
.LBB296_24:                             ;   in Loop: Header=BB296_10 Depth=1
	s_or_b32 exec_lo, exec_lo, s17
.LBB296_25:                             ;   in Loop: Header=BB296_10 Depth=1
	s_delay_alu instid0(SALU_CYCLE_1)
	s_or_b32 exec_lo, exec_lo, s16
.LBB296_26:                             ;   in Loop: Header=BB296_10 Depth=1
	s_delay_alu instid0(SALU_CYCLE_1) | instskip(SKIP_2) | instid1(VALU_DEP_1)
	s_or_b32 exec_lo, exec_lo, s15
	v_lshrrev_b32_e32 v8, 16, v4
	s_mov_b32 s15, exec_lo
	v_and_b32_e32 v0, 0xff, v8
	s_delay_alu instid0(VALU_DEP_1)
	v_cmpx_ne_u16_e32 0, v0
	s_cbranch_execz .LBB296_34
; %bb.27:                               ;   in Loop: Header=BB296_10 Depth=1
	v_mov_b32_e32 v31, 0x8000
	s_mov_b32 s16, exec_lo
	v_cmpx_ne_u16_e32 0x80, v0
	s_cbranch_execz .LBB296_33
; %bb.28:                               ;   in Loop: Header=BB296_10 Depth=1
	v_bfe_u32 v6, v4, 16, 7
	v_mov_b32_e32 v31, 0x7c01
	s_mov_b32 s17, exec_lo
	s_delay_alu instid0(VALU_DEP_2)
	v_cmpx_ne_u32_e32 0x7f, v6
	s_cbranch_execz .LBB296_32
; %bb.29:                               ;   in Loop: Header=BB296_10 Depth=1
	v_dual_lshrrev_b32 v1, 3, v6 :: v_dual_bitop2_b32 v0, 7, v8 bitop3:0x40
	s_mov_b32 s18, exec_lo
	v_cmpx_gt_u32_e32 8, v6
; %bb.30:                               ;   in Loop: Header=BB296_10 Depth=1
	s_delay_alu instid0(VALU_DEP_2) | instskip(NEXT) | instid1(VALU_DEP_1)
	v_clz_i32_u32_e32 v0, v0
	v_min_u32_e32 v6, 32, v0
	s_delay_alu instid0(VALU_DEP_1) | instskip(NEXT) | instid1(VALU_DEP_1)
	v_subrev_nc_u32_e32 v0, 28, v6
	v_lshlrev_b64_e32 v[0:1], v0, v[8:9]
	s_delay_alu instid0(VALU_DEP_1)
	v_dual_sub_nc_u32 v1, 29, v6 :: v_dual_bitop2_b32 v0, 7, v0 bitop3:0x40
; %bb.31:                               ;   in Loop: Header=BB296_10 Depth=1
	s_or_b32 exec_lo, exec_lo, s18
	v_lshlrev_b32_e32 v6, 8, v8
	s_delay_alu instid0(VALU_DEP_2) | instskip(NEXT) | instid1(VALU_DEP_3)
	v_lshl_add_u32 v1, v1, 10, 0x2000
	v_lshlrev_b32_e32 v0, 7, v0
	s_delay_alu instid0(VALU_DEP_3) | instskip(NEXT) | instid1(VALU_DEP_3)
	v_and_b32_e32 v6, 0x8000, v6
	v_and_b32_e32 v1, 0xfc00, v1
	s_delay_alu instid0(VALU_DEP_1)
	v_or3_b32 v31, v6, v1, v0
.LBB296_32:                             ;   in Loop: Header=BB296_10 Depth=1
	s_or_b32 exec_lo, exec_lo, s17
.LBB296_33:                             ;   in Loop: Header=BB296_10 Depth=1
	s_delay_alu instid0(SALU_CYCLE_1)
	s_or_b32 exec_lo, exec_lo, s16
.LBB296_34:                             ;   in Loop: Header=BB296_10 Depth=1
	s_delay_alu instid0(SALU_CYCLE_1)
	s_or_b32 exec_lo, exec_lo, s15
	v_dual_mov_b32 v33, 0 :: v_dual_mov_b32 v36, 0
	s_mov_b32 s15, exec_lo
	v_cmpx_lt_u32_e32 0xffffff, v4
	s_cbranch_execz .LBB296_42
; %bb.35:                               ;   in Loop: Header=BB296_10 Depth=1
	v_lshrrev_b32_e32 v24, 24, v4
	v_bfrev_b32_e32 v36, 1
	s_mov_b32 s16, exec_lo
	s_delay_alu instid0(VALU_DEP_2)
	v_cmpx_ne_u32_e32 0x80, v24
	s_cbranch_execz .LBB296_41
; %bb.36:                               ;   in Loop: Header=BB296_10 Depth=1
	v_and_b32_e32 v6, 0x7f, v24
	v_mov_b32_e32 v36, 0x7c010000
	s_mov_b32 s17, exec_lo
	s_delay_alu instid0(VALU_DEP_2)
	v_cmpx_ne_u32_e32 0x7f, v6
	s_cbranch_execz .LBB296_40
; %bb.37:                               ;   in Loop: Header=BB296_10 Depth=1
	v_dual_lshrrev_b32 v1, 3, v6 :: v_dual_bitop2_b32 v0, 7, v24 bitop3:0x40
	s_mov_b32 s18, exec_lo
	v_cmpx_gt_u32_e32 8, v6
; %bb.38:                               ;   in Loop: Header=BB296_10 Depth=1
	s_delay_alu instid0(VALU_DEP_2) | instskip(NEXT) | instid1(VALU_DEP_1)
	v_clz_i32_u32_e32 v0, v0
	v_min_u32_e32 v6, 32, v0
	s_delay_alu instid0(VALU_DEP_1) | instskip(NEXT) | instid1(VALU_DEP_1)
	v_subrev_nc_u32_e32 v0, 28, v6
	v_lshlrev_b64_e32 v[0:1], v0, v[24:25]
	s_delay_alu instid0(VALU_DEP_1)
	v_dual_sub_nc_u32 v1, 29, v6 :: v_dual_bitop2_b32 v0, 7, v0 bitop3:0x40
; %bb.39:                               ;   in Loop: Header=BB296_10 Depth=1
	s_or_b32 exec_lo, exec_lo, s18
	v_lshlrev_b32_e32 v6, 8, v24
	s_delay_alu instid0(VALU_DEP_2) | instskip(NEXT) | instid1(VALU_DEP_3)
	v_lshl_add_u32 v1, v1, 10, 0x2000
	v_lshlrev_b32_e32 v0, 23, v0
	s_delay_alu instid0(VALU_DEP_2) | instskip(NEXT) | instid1(VALU_DEP_1)
	v_and_or_b32 v1, 0x8000, v6, v1
	v_lshl_or_b32 v36, v1, 16, v0
.LBB296_40:                             ;   in Loop: Header=BB296_10 Depth=1
	s_or_b32 exec_lo, exec_lo, s17
.LBB296_41:                             ;   in Loop: Header=BB296_10 Depth=1
	s_delay_alu instid0(SALU_CYCLE_1)
	s_or_b32 exec_lo, exec_lo, s16
.LBB296_42:                             ;   in Loop: Header=BB296_10 Depth=1
	s_delay_alu instid0(SALU_CYCLE_1) | instskip(SKIP_3) | instid1(VALU_DEP_2)
	s_or_b32 exec_lo, exec_lo, s15
	v_and_b32_e32 v0, 0xff, v5
	v_mov_b32_e32 v24, v5
	s_mov_b32 s15, exec_lo
	v_cmpx_ne_u16_e32 0, v0
	s_cbranch_execz .LBB296_50
; %bb.43:                               ;   in Loop: Header=BB296_10 Depth=1
	v_mov_b32_e32 v33, 0x8000
	s_mov_b32 s16, exec_lo
	v_cmpx_ne_u16_e32 0x80, v0
	s_cbranch_execz .LBB296_49
; %bb.44:                               ;   in Loop: Header=BB296_10 Depth=1
	v_and_b32_e32 v6, 0x7f, v5
	v_mov_b32_e32 v33, 0x7c01
	s_mov_b32 s17, exec_lo
	s_delay_alu instid0(VALU_DEP_2)
	v_cmpx_ne_u32_e32 0x7f, v6
	s_cbranch_execz .LBB296_48
; %bb.45:                               ;   in Loop: Header=BB296_10 Depth=1
	v_dual_lshrrev_b32 v1, 3, v6 :: v_dual_bitop2_b32 v0, 7, v5 bitop3:0x40
	s_mov_b32 s18, exec_lo
	v_cmpx_gt_u32_e32 8, v6
; %bb.46:                               ;   in Loop: Header=BB296_10 Depth=1
	s_delay_alu instid0(VALU_DEP_2) | instskip(NEXT) | instid1(VALU_DEP_1)
	v_clz_i32_u32_e32 v0, v0
	v_min_u32_e32 v6, 32, v0
	s_delay_alu instid0(VALU_DEP_1) | instskip(NEXT) | instid1(VALU_DEP_1)
	v_subrev_nc_u32_e32 v0, 28, v6
	v_lshlrev_b64_e32 v[0:1], v0, v[24:25]
	s_delay_alu instid0(VALU_DEP_1)
	v_dual_sub_nc_u32 v1, 29, v6 :: v_dual_bitop2_b32 v0, 7, v0 bitop3:0x40
; %bb.47:                               ;   in Loop: Header=BB296_10 Depth=1
	s_or_b32 exec_lo, exec_lo, s18
	s_delay_alu instid0(VALU_DEP_1) | instskip(NEXT) | instid1(VALU_DEP_2)
	v_dual_lshlrev_b32 v6, 8, v5 :: v_dual_lshlrev_b32 v0, 7, v0
	v_lshl_add_u32 v1, v1, 10, 0x2000
	s_delay_alu instid0(VALU_DEP_2) | instskip(NEXT) | instid1(VALU_DEP_2)
	v_and_b32_e32 v6, 0x8000, v6
	v_and_b32_e32 v1, 0xfc00, v1
	s_delay_alu instid0(VALU_DEP_1)
	v_or3_b32 v33, v6, v1, v0
.LBB296_48:                             ;   in Loop: Header=BB296_10 Depth=1
	s_or_b32 exec_lo, exec_lo, s17
.LBB296_49:                             ;   in Loop: Header=BB296_10 Depth=1
	s_delay_alu instid0(SALU_CYCLE_1)
	s_or_b32 exec_lo, exec_lo, s16
.LBB296_50:                             ;   in Loop: Header=BB296_10 Depth=1
	s_delay_alu instid0(SALU_CYCLE_1) | instskip(SKIP_3) | instid1(VALU_DEP_2)
	s_or_b32 exec_lo, exec_lo, s15
	v_lshrrev_b16 v24, 8, v24
	v_dual_mov_b32 v100, 0 :: v_dual_mov_b32 v48, 0
	s_mov_b32 s15, exec_lo
	v_cmpx_ne_u16_e32 0, v24
	s_cbranch_execz .LBB296_58
; %bb.51:                               ;   in Loop: Header=BB296_10 Depth=1
	v_bfrev_b32_e32 v48, 1
	s_mov_b32 s16, exec_lo
	v_cmpx_ne_u16_e32 0x80, v24
	s_cbranch_execz .LBB296_57
; %bb.52:                               ;   in Loop: Header=BB296_10 Depth=1
	v_and_b32_e32 v0, 0xffff, v24
	v_mov_b32_e32 v48, 0x7c010000
	s_mov_b32 s17, exec_lo
	s_delay_alu instid0(VALU_DEP_2) | instskip(NEXT) | instid1(VALU_DEP_1)
	v_and_b32_e32 v7, 0x7f, v0
	v_cmpx_ne_u32_e32 0x7f, v7
	s_cbranch_execz .LBB296_56
; %bb.53:                               ;   in Loop: Header=BB296_10 Depth=1
	v_dual_lshrrev_b32 v6, 3, v7 :: v_dual_bitop2_b32 v1, 7, v0 bitop3:0x40
	s_mov_b32 s18, exec_lo
	v_cmpx_gt_u32_e32 8, v7
; %bb.54:                               ;   in Loop: Header=BB296_10 Depth=1
	s_delay_alu instid0(VALU_DEP_2) | instskip(NEXT) | instid1(VALU_DEP_1)
	v_clz_i32_u32_e32 v1, v1
	v_min_u32_e32 v1, 32, v1
	s_delay_alu instid0(VALU_DEP_1) | instskip(NEXT) | instid1(VALU_DEP_1)
	v_subrev_nc_u32_e32 v6, 28, v1
	v_lshlrev_b64_e32 v[8:9], v6, v[24:25]
	s_delay_alu instid0(VALU_DEP_1)
	v_dual_sub_nc_u32 v6, 29, v1 :: v_dual_bitop2_b32 v1, 7, v8 bitop3:0x40
; %bb.55:                               ;   in Loop: Header=BB296_10 Depth=1
	s_or_b32 exec_lo, exec_lo, s18
	s_delay_alu instid0(VALU_DEP_1) | instskip(NEXT) | instid1(VALU_DEP_2)
	v_dual_lshlrev_b32 v0, 8, v0 :: v_dual_lshlrev_b32 v1, 23, v1
	v_lshl_add_u32 v6, v6, 10, 0x2000
	s_delay_alu instid0(VALU_DEP_1) | instskip(NEXT) | instid1(VALU_DEP_1)
	v_and_or_b32 v0, 0x8000, v0, v6
	v_lshl_or_b32 v48, v0, 16, v1
.LBB296_56:                             ;   in Loop: Header=BB296_10 Depth=1
	s_or_b32 exec_lo, exec_lo, s17
.LBB296_57:                             ;   in Loop: Header=BB296_10 Depth=1
	s_delay_alu instid0(SALU_CYCLE_1)
	s_or_b32 exec_lo, exec_lo, s16
.LBB296_58:                             ;   in Loop: Header=BB296_10 Depth=1
	s_delay_alu instid0(SALU_CYCLE_1) | instskip(SKIP_2) | instid1(VALU_DEP_1)
	s_or_b32 exec_lo, exec_lo, s15
	v_lshrrev_b32_e32 v8, 16, v5
	s_mov_b32 s15, exec_lo
	v_and_b32_e32 v0, 0xff, v8
	s_delay_alu instid0(VALU_DEP_1)
	v_cmpx_ne_u16_e32 0, v0
	s_cbranch_execz .LBB296_66
; %bb.59:                               ;   in Loop: Header=BB296_10 Depth=1
	v_mov_b32_e32 v100, 0x8000
	s_mov_b32 s16, exec_lo
	v_cmpx_ne_u16_e32 0x80, v0
	s_cbranch_execz .LBB296_65
; %bb.60:                               ;   in Loop: Header=BB296_10 Depth=1
	v_bfe_u32 v6, v5, 16, 7
	v_mov_b32_e32 v100, 0x7c01
	s_mov_b32 s17, exec_lo
	s_delay_alu instid0(VALU_DEP_2)
	v_cmpx_ne_u32_e32 0x7f, v6
	s_cbranch_execz .LBB296_64
; %bb.61:                               ;   in Loop: Header=BB296_10 Depth=1
	v_dual_lshrrev_b32 v1, 3, v6 :: v_dual_bitop2_b32 v0, 7, v8 bitop3:0x40
	s_mov_b32 s18, exec_lo
	v_cmpx_gt_u32_e32 8, v6
; %bb.62:                               ;   in Loop: Header=BB296_10 Depth=1
	s_delay_alu instid0(VALU_DEP_2) | instskip(NEXT) | instid1(VALU_DEP_1)
	v_clz_i32_u32_e32 v0, v0
	v_min_u32_e32 v6, 32, v0
	s_delay_alu instid0(VALU_DEP_1) | instskip(NEXT) | instid1(VALU_DEP_1)
	v_subrev_nc_u32_e32 v0, 28, v6
	v_lshlrev_b64_e32 v[0:1], v0, v[8:9]
	s_delay_alu instid0(VALU_DEP_1)
	v_dual_sub_nc_u32 v1, 29, v6 :: v_dual_bitop2_b32 v0, 7, v0 bitop3:0x40
; %bb.63:                               ;   in Loop: Header=BB296_10 Depth=1
	s_or_b32 exec_lo, exec_lo, s18
	v_lshlrev_b32_e32 v6, 8, v8
	s_delay_alu instid0(VALU_DEP_2) | instskip(NEXT) | instid1(VALU_DEP_3)
	v_lshl_add_u32 v1, v1, 10, 0x2000
	v_lshlrev_b32_e32 v0, 7, v0
	s_delay_alu instid0(VALU_DEP_3) | instskip(NEXT) | instid1(VALU_DEP_3)
	v_and_b32_e32 v6, 0x8000, v6
	v_and_b32_e32 v1, 0xfc00, v1
	s_delay_alu instid0(VALU_DEP_1)
	v_or3_b32 v100, v6, v1, v0
.LBB296_64:                             ;   in Loop: Header=BB296_10 Depth=1
	s_or_b32 exec_lo, exec_lo, s17
.LBB296_65:                             ;   in Loop: Header=BB296_10 Depth=1
	s_delay_alu instid0(SALU_CYCLE_1)
	s_or_b32 exec_lo, exec_lo, s16
.LBB296_66:                             ;   in Loop: Header=BB296_10 Depth=1
	s_delay_alu instid0(SALU_CYCLE_1)
	s_or_b32 exec_lo, exec_lo, s15
	v_dual_mov_b32 v49, 0 :: v_dual_mov_b32 v122, 0
	s_mov_b32 s15, exec_lo
	v_cmpx_lt_u64_e64 s[2:3], v[4:5]
	s_cbranch_execz .LBB296_74
; %bb.67:                               ;   in Loop: Header=BB296_10 Depth=1
	v_lshrrev_b32_e32 v24, 24, v5
	v_bfrev_b32_e32 v122, 1
	s_mov_b32 s16, exec_lo
	s_delay_alu instid0(VALU_DEP_2)
	v_cmpx_ne_u32_e32 0x80, v24
	s_cbranch_execz .LBB296_73
; %bb.68:                               ;   in Loop: Header=BB296_10 Depth=1
	v_and_b32_e32 v4, 0x7f, v24
	v_mov_b32_e32 v122, 0x7c010000
	s_mov_b32 s17, exec_lo
	s_delay_alu instid0(VALU_DEP_2)
	v_cmpx_ne_u32_e32 0x7f, v4
	s_cbranch_execz .LBB296_72
; %bb.69:                               ;   in Loop: Header=BB296_10 Depth=1
	v_and_b32_e32 v0, 7, v24
	v_lshrrev_b32_e32 v1, 3, v4
	s_mov_b32 s18, exec_lo
	v_cmpx_gt_u32_e32 8, v4
; %bb.70:                               ;   in Loop: Header=BB296_10 Depth=1
	s_delay_alu instid0(VALU_DEP_3) | instskip(NEXT) | instid1(VALU_DEP_1)
	v_clz_i32_u32_e32 v0, v0
	v_min_u32_e32 v4, 32, v0
	s_delay_alu instid0(VALU_DEP_1) | instskip(NEXT) | instid1(VALU_DEP_1)
	v_subrev_nc_u32_e32 v0, 28, v4
	v_lshlrev_b64_e32 v[0:1], v0, v[24:25]
	v_sub_nc_u32_e32 v1, 29, v4
	s_delay_alu instid0(VALU_DEP_2)
	v_and_b32_e32 v0, 7, v0
; %bb.71:                               ;   in Loop: Header=BB296_10 Depth=1
	s_or_b32 exec_lo, exec_lo, s18
	v_lshlrev_b32_e32 v4, 8, v24
	s_delay_alu instid0(VALU_DEP_3) | instskip(NEXT) | instid1(VALU_DEP_3)
	v_lshl_add_u32 v1, v1, 10, 0x2000
	v_lshlrev_b32_e32 v0, 23, v0
	s_delay_alu instid0(VALU_DEP_2) | instskip(NEXT) | instid1(VALU_DEP_1)
	v_and_or_b32 v1, 0x8000, v4, v1
	v_lshl_or_b32 v122, v1, 16, v0
.LBB296_72:                             ;   in Loop: Header=BB296_10 Depth=1
	s_or_b32 exec_lo, exec_lo, s17
.LBB296_73:                             ;   in Loop: Header=BB296_10 Depth=1
	s_delay_alu instid0(SALU_CYCLE_1)
	s_or_b32 exec_lo, exec_lo, s16
.LBB296_74:                             ;   in Loop: Header=BB296_10 Depth=1
	s_delay_alu instid0(SALU_CYCLE_1)
	s_or_b32 exec_lo, exec_lo, s15
	flat_load_b64 v[4:5], v[2:3] offset:8
	s_mov_b32 s15, exec_lo
	s_wait_loadcnt_dscnt 0x0
	v_and_b32_e32 v0, 0xff, v4
	s_wait_xcnt 0x0
	s_delay_alu instid0(VALU_DEP_1)
	v_cmpx_ne_u16_e32 0, v0
	s_cbranch_execz .LBB296_82
; %bb.75:                               ;   in Loop: Header=BB296_10 Depth=1
	v_mov_b32_e32 v49, 0x8000
	s_mov_b32 s16, exec_lo
	v_cmpx_ne_u16_e32 0x80, v0
	s_cbranch_execz .LBB296_81
; %bb.76:                               ;   in Loop: Header=BB296_10 Depth=1
	v_and_b32_e32 v6, 0x7f, v4
	v_mov_b32_e32 v49, 0x7c01
	s_mov_b32 s17, exec_lo
	s_delay_alu instid0(VALU_DEP_2)
	v_cmpx_ne_u32_e32 0x7f, v6
	s_cbranch_execz .LBB296_80
; %bb.77:                               ;   in Loop: Header=BB296_10 Depth=1
	v_dual_lshrrev_b32 v1, 3, v6 :: v_dual_bitop2_b32 v0, 7, v4 bitop3:0x40
	s_mov_b32 s18, exec_lo
	v_cmpx_gt_u32_e32 8, v6
; %bb.78:                               ;   in Loop: Header=BB296_10 Depth=1
	s_delay_alu instid0(VALU_DEP_2) | instskip(NEXT) | instid1(VALU_DEP_1)
	v_clz_i32_u32_e32 v0, v0
	v_min_u32_e32 v6, 32, v0
	s_delay_alu instid0(VALU_DEP_1) | instskip(NEXT) | instid1(VALU_DEP_1)
	v_subrev_nc_u32_e32 v0, 28, v6
	v_lshlrev_b64_e32 v[0:1], v0, v[4:5]
	s_delay_alu instid0(VALU_DEP_1)
	v_dual_sub_nc_u32 v1, 29, v6 :: v_dual_bitop2_b32 v0, 7, v0 bitop3:0x40
; %bb.79:                               ;   in Loop: Header=BB296_10 Depth=1
	s_or_b32 exec_lo, exec_lo, s18
	v_lshlrev_b32_e32 v6, 8, v4
	s_delay_alu instid0(VALU_DEP_2) | instskip(NEXT) | instid1(VALU_DEP_3)
	v_lshl_add_u32 v1, v1, 10, 0x2000
	v_lshlrev_b32_e32 v0, 7, v0
	s_delay_alu instid0(VALU_DEP_3) | instskip(NEXT) | instid1(VALU_DEP_3)
	v_and_b32_e32 v6, 0x8000, v6
	v_and_b32_e32 v1, 0xfc00, v1
	s_delay_alu instid0(VALU_DEP_1)
	v_or3_b32 v49, v6, v1, v0
.LBB296_80:                             ;   in Loop: Header=BB296_10 Depth=1
	s_or_b32 exec_lo, exec_lo, s17
.LBB296_81:                             ;   in Loop: Header=BB296_10 Depth=1
	s_delay_alu instid0(SALU_CYCLE_1)
	s_or_b32 exec_lo, exec_lo, s16
.LBB296_82:                             ;   in Loop: Header=BB296_10 Depth=1
	s_delay_alu instid0(SALU_CYCLE_1) | instskip(SKIP_3) | instid1(VALU_DEP_2)
	s_or_b32 exec_lo, exec_lo, s15
	v_lshrrev_b16 v24, 8, v4
	v_dual_mov_b32 v53, 0 :: v_dual_mov_b32 v52, 0
	s_mov_b32 s15, exec_lo
	v_cmpx_ne_u16_e32 0, v24
	s_cbranch_execz .LBB296_90
; %bb.83:                               ;   in Loop: Header=BB296_10 Depth=1
	v_bfrev_b32_e32 v52, 1
	s_mov_b32 s16, exec_lo
	v_cmpx_ne_u16_e32 0x80, v24
	s_cbranch_execz .LBB296_89
; %bb.84:                               ;   in Loop: Header=BB296_10 Depth=1
	v_and_b32_e32 v0, 0xffff, v24
	v_mov_b32_e32 v52, 0x7c010000
	s_mov_b32 s17, exec_lo
	s_delay_alu instid0(VALU_DEP_2) | instskip(NEXT) | instid1(VALU_DEP_1)
	v_and_b32_e32 v7, 0x7f, v0
	v_cmpx_ne_u32_e32 0x7f, v7
	s_cbranch_execz .LBB296_88
; %bb.85:                               ;   in Loop: Header=BB296_10 Depth=1
	v_dual_lshrrev_b32 v6, 3, v7 :: v_dual_bitop2_b32 v1, 7, v0 bitop3:0x40
	s_mov_b32 s18, exec_lo
	v_cmpx_gt_u32_e32 8, v7
; %bb.86:                               ;   in Loop: Header=BB296_10 Depth=1
	s_delay_alu instid0(VALU_DEP_2) | instskip(NEXT) | instid1(VALU_DEP_1)
	v_clz_i32_u32_e32 v1, v1
	v_min_u32_e32 v1, 32, v1
	s_delay_alu instid0(VALU_DEP_1) | instskip(NEXT) | instid1(VALU_DEP_1)
	v_subrev_nc_u32_e32 v6, 28, v1
	v_lshlrev_b64_e32 v[8:9], v6, v[24:25]
	s_delay_alu instid0(VALU_DEP_1)
	v_dual_sub_nc_u32 v6, 29, v1 :: v_dual_bitop2_b32 v1, 7, v8 bitop3:0x40
; %bb.87:                               ;   in Loop: Header=BB296_10 Depth=1
	s_or_b32 exec_lo, exec_lo, s18
	s_delay_alu instid0(VALU_DEP_1) | instskip(NEXT) | instid1(VALU_DEP_2)
	v_dual_lshlrev_b32 v0, 8, v0 :: v_dual_lshlrev_b32 v1, 23, v1
	v_lshl_add_u32 v6, v6, 10, 0x2000
	s_delay_alu instid0(VALU_DEP_1) | instskip(NEXT) | instid1(VALU_DEP_1)
	v_and_or_b32 v0, 0x8000, v0, v6
	v_lshl_or_b32 v52, v0, 16, v1
.LBB296_88:                             ;   in Loop: Header=BB296_10 Depth=1
	s_or_b32 exec_lo, exec_lo, s17
.LBB296_89:                             ;   in Loop: Header=BB296_10 Depth=1
	s_delay_alu instid0(SALU_CYCLE_1)
	s_or_b32 exec_lo, exec_lo, s16
.LBB296_90:                             ;   in Loop: Header=BB296_10 Depth=1
	s_delay_alu instid0(SALU_CYCLE_1) | instskip(SKIP_2) | instid1(VALU_DEP_1)
	s_or_b32 exec_lo, exec_lo, s15
	v_lshrrev_b32_e32 v8, 16, v4
	s_mov_b32 s15, exec_lo
	v_and_b32_e32 v0, 0xff, v8
	s_delay_alu instid0(VALU_DEP_1)
	v_cmpx_ne_u16_e32 0, v0
	s_cbranch_execz .LBB296_98
; %bb.91:                               ;   in Loop: Header=BB296_10 Depth=1
	v_mov_b32_e32 v53, 0x8000
	s_mov_b32 s16, exec_lo
	v_cmpx_ne_u16_e32 0x80, v0
	s_cbranch_execz .LBB296_97
; %bb.92:                               ;   in Loop: Header=BB296_10 Depth=1
	v_bfe_u32 v6, v4, 16, 7
	v_mov_b32_e32 v53, 0x7c01
	s_mov_b32 s17, exec_lo
	s_delay_alu instid0(VALU_DEP_2)
	v_cmpx_ne_u32_e32 0x7f, v6
	s_cbranch_execz .LBB296_96
; %bb.93:                               ;   in Loop: Header=BB296_10 Depth=1
	v_dual_lshrrev_b32 v1, 3, v6 :: v_dual_bitop2_b32 v0, 7, v8 bitop3:0x40
	s_mov_b32 s18, exec_lo
	v_cmpx_gt_u32_e32 8, v6
; %bb.94:                               ;   in Loop: Header=BB296_10 Depth=1
	s_delay_alu instid0(VALU_DEP_2) | instskip(NEXT) | instid1(VALU_DEP_1)
	v_clz_i32_u32_e32 v0, v0
	v_min_u32_e32 v6, 32, v0
	s_delay_alu instid0(VALU_DEP_1) | instskip(NEXT) | instid1(VALU_DEP_1)
	v_subrev_nc_u32_e32 v0, 28, v6
	v_lshlrev_b64_e32 v[0:1], v0, v[8:9]
	s_delay_alu instid0(VALU_DEP_1)
	v_dual_sub_nc_u32 v1, 29, v6 :: v_dual_bitop2_b32 v0, 7, v0 bitop3:0x40
; %bb.95:                               ;   in Loop: Header=BB296_10 Depth=1
	s_or_b32 exec_lo, exec_lo, s18
	v_lshlrev_b32_e32 v6, 8, v8
	s_delay_alu instid0(VALU_DEP_2) | instskip(NEXT) | instid1(VALU_DEP_3)
	v_lshl_add_u32 v1, v1, 10, 0x2000
	v_lshlrev_b32_e32 v0, 7, v0
	s_delay_alu instid0(VALU_DEP_3) | instskip(NEXT) | instid1(VALU_DEP_3)
	v_and_b32_e32 v6, 0x8000, v6
	v_and_b32_e32 v1, 0xfc00, v1
	s_delay_alu instid0(VALU_DEP_1)
	v_or3_b32 v53, v6, v1, v0
.LBB296_96:                             ;   in Loop: Header=BB296_10 Depth=1
	s_or_b32 exec_lo, exec_lo, s17
.LBB296_97:                             ;   in Loop: Header=BB296_10 Depth=1
	s_delay_alu instid0(SALU_CYCLE_1)
	s_or_b32 exec_lo, exec_lo, s16
.LBB296_98:                             ;   in Loop: Header=BB296_10 Depth=1
	s_delay_alu instid0(SALU_CYCLE_1)
	s_or_b32 exec_lo, exec_lo, s15
	v_dual_mov_b32 v55, 0 :: v_dual_mov_b32 v54, 0
	s_mov_b32 s15, exec_lo
	v_cmpx_lt_u32_e32 0xffffff, v4
	s_cbranch_execz .LBB296_106
; %bb.99:                               ;   in Loop: Header=BB296_10 Depth=1
	v_lshrrev_b32_e32 v24, 24, v4
	v_bfrev_b32_e32 v54, 1
	s_mov_b32 s16, exec_lo
	s_delay_alu instid0(VALU_DEP_2)
	v_cmpx_ne_u32_e32 0x80, v24
	s_cbranch_execz .LBB296_105
; %bb.100:                              ;   in Loop: Header=BB296_10 Depth=1
	v_and_b32_e32 v6, 0x7f, v24
	v_mov_b32_e32 v54, 0x7c010000
	s_mov_b32 s17, exec_lo
	s_delay_alu instid0(VALU_DEP_2)
	v_cmpx_ne_u32_e32 0x7f, v6
	s_cbranch_execz .LBB296_104
; %bb.101:                              ;   in Loop: Header=BB296_10 Depth=1
	v_dual_lshrrev_b32 v1, 3, v6 :: v_dual_bitop2_b32 v0, 7, v24 bitop3:0x40
	s_mov_b32 s18, exec_lo
	v_cmpx_gt_u32_e32 8, v6
; %bb.102:                              ;   in Loop: Header=BB296_10 Depth=1
	s_delay_alu instid0(VALU_DEP_2) | instskip(NEXT) | instid1(VALU_DEP_1)
	v_clz_i32_u32_e32 v0, v0
	v_min_u32_e32 v6, 32, v0
	s_delay_alu instid0(VALU_DEP_1) | instskip(NEXT) | instid1(VALU_DEP_1)
	v_subrev_nc_u32_e32 v0, 28, v6
	v_lshlrev_b64_e32 v[0:1], v0, v[24:25]
	s_delay_alu instid0(VALU_DEP_1)
	v_dual_sub_nc_u32 v1, 29, v6 :: v_dual_bitop2_b32 v0, 7, v0 bitop3:0x40
; %bb.103:                              ;   in Loop: Header=BB296_10 Depth=1
	s_or_b32 exec_lo, exec_lo, s18
	v_lshlrev_b32_e32 v6, 8, v24
	s_delay_alu instid0(VALU_DEP_2) | instskip(NEXT) | instid1(VALU_DEP_3)
	v_lshl_add_u32 v1, v1, 10, 0x2000
	v_lshlrev_b32_e32 v0, 23, v0
	s_delay_alu instid0(VALU_DEP_2) | instskip(NEXT) | instid1(VALU_DEP_1)
	v_and_or_b32 v1, 0x8000, v6, v1
	v_lshl_or_b32 v54, v1, 16, v0
.LBB296_104:                            ;   in Loop: Header=BB296_10 Depth=1
	s_or_b32 exec_lo, exec_lo, s17
.LBB296_105:                            ;   in Loop: Header=BB296_10 Depth=1
	s_delay_alu instid0(SALU_CYCLE_1)
	s_or_b32 exec_lo, exec_lo, s16
.LBB296_106:                            ;   in Loop: Header=BB296_10 Depth=1
	s_delay_alu instid0(SALU_CYCLE_1) | instskip(SKIP_3) | instid1(VALU_DEP_2)
	s_or_b32 exec_lo, exec_lo, s15
	v_and_b32_e32 v0, 0xff, v5
	v_mov_b32_e32 v24, v5
	s_mov_b32 s15, exec_lo
	v_cmpx_ne_u16_e32 0, v0
	s_cbranch_execz .LBB296_114
; %bb.107:                              ;   in Loop: Header=BB296_10 Depth=1
	v_mov_b32_e32 v55, 0x8000
	s_mov_b32 s16, exec_lo
	v_cmpx_ne_u16_e32 0x80, v0
	s_cbranch_execz .LBB296_113
; %bb.108:                              ;   in Loop: Header=BB296_10 Depth=1
	v_and_b32_e32 v6, 0x7f, v5
	v_mov_b32_e32 v55, 0x7c01
	s_mov_b32 s17, exec_lo
	s_delay_alu instid0(VALU_DEP_2)
	v_cmpx_ne_u32_e32 0x7f, v6
	s_cbranch_execz .LBB296_112
; %bb.109:                              ;   in Loop: Header=BB296_10 Depth=1
	v_dual_lshrrev_b32 v1, 3, v6 :: v_dual_bitop2_b32 v0, 7, v5 bitop3:0x40
	s_mov_b32 s18, exec_lo
	v_cmpx_gt_u32_e32 8, v6
; %bb.110:                              ;   in Loop: Header=BB296_10 Depth=1
	s_delay_alu instid0(VALU_DEP_2) | instskip(NEXT) | instid1(VALU_DEP_1)
	v_clz_i32_u32_e32 v0, v0
	v_min_u32_e32 v6, 32, v0
	s_delay_alu instid0(VALU_DEP_1) | instskip(NEXT) | instid1(VALU_DEP_1)
	v_subrev_nc_u32_e32 v0, 28, v6
	v_lshlrev_b64_e32 v[0:1], v0, v[24:25]
	s_delay_alu instid0(VALU_DEP_1)
	v_dual_sub_nc_u32 v1, 29, v6 :: v_dual_bitop2_b32 v0, 7, v0 bitop3:0x40
; %bb.111:                              ;   in Loop: Header=BB296_10 Depth=1
	s_or_b32 exec_lo, exec_lo, s18
	s_delay_alu instid0(VALU_DEP_1) | instskip(NEXT) | instid1(VALU_DEP_2)
	v_dual_lshlrev_b32 v6, 8, v5 :: v_dual_lshlrev_b32 v0, 7, v0
	v_lshl_add_u32 v1, v1, 10, 0x2000
	s_delay_alu instid0(VALU_DEP_2) | instskip(NEXT) | instid1(VALU_DEP_2)
	v_and_b32_e32 v6, 0x8000, v6
	v_and_b32_e32 v1, 0xfc00, v1
	s_delay_alu instid0(VALU_DEP_1)
	v_or3_b32 v55, v6, v1, v0
.LBB296_112:                            ;   in Loop: Header=BB296_10 Depth=1
	s_or_b32 exec_lo, exec_lo, s17
.LBB296_113:                            ;   in Loop: Header=BB296_10 Depth=1
	s_delay_alu instid0(SALU_CYCLE_1)
	s_or_b32 exec_lo, exec_lo, s16
.LBB296_114:                            ;   in Loop: Header=BB296_10 Depth=1
	s_delay_alu instid0(SALU_CYCLE_1) | instskip(SKIP_3) | instid1(VALU_DEP_2)
	s_or_b32 exec_lo, exec_lo, s15
	v_lshrrev_b16 v24, 8, v24
	v_dual_mov_b32 v45, 0 :: v_dual_mov_b32 v64, 0
	s_mov_b32 s15, exec_lo
	v_cmpx_ne_u16_e32 0, v24
	s_cbranch_execz .LBB296_122
; %bb.115:                              ;   in Loop: Header=BB296_10 Depth=1
	v_bfrev_b32_e32 v64, 1
	s_mov_b32 s16, exec_lo
	v_cmpx_ne_u16_e32 0x80, v24
	s_cbranch_execz .LBB296_121
; %bb.116:                              ;   in Loop: Header=BB296_10 Depth=1
	v_and_b32_e32 v0, 0xffff, v24
	v_mov_b32_e32 v64, 0x7c010000
	s_mov_b32 s17, exec_lo
	s_delay_alu instid0(VALU_DEP_2) | instskip(NEXT) | instid1(VALU_DEP_1)
	v_and_b32_e32 v7, 0x7f, v0
	v_cmpx_ne_u32_e32 0x7f, v7
	s_cbranch_execz .LBB296_120
; %bb.117:                              ;   in Loop: Header=BB296_10 Depth=1
	v_dual_lshrrev_b32 v6, 3, v7 :: v_dual_bitop2_b32 v1, 7, v0 bitop3:0x40
	s_mov_b32 s18, exec_lo
	v_cmpx_gt_u32_e32 8, v7
; %bb.118:                              ;   in Loop: Header=BB296_10 Depth=1
	s_delay_alu instid0(VALU_DEP_2) | instskip(NEXT) | instid1(VALU_DEP_1)
	v_clz_i32_u32_e32 v1, v1
	v_min_u32_e32 v1, 32, v1
	s_delay_alu instid0(VALU_DEP_1) | instskip(NEXT) | instid1(VALU_DEP_1)
	v_subrev_nc_u32_e32 v6, 28, v1
	v_lshlrev_b64_e32 v[8:9], v6, v[24:25]
	s_delay_alu instid0(VALU_DEP_1)
	v_dual_sub_nc_u32 v6, 29, v1 :: v_dual_bitop2_b32 v1, 7, v8 bitop3:0x40
; %bb.119:                              ;   in Loop: Header=BB296_10 Depth=1
	s_or_b32 exec_lo, exec_lo, s18
	s_delay_alu instid0(VALU_DEP_1) | instskip(NEXT) | instid1(VALU_DEP_2)
	v_dual_lshlrev_b32 v0, 8, v0 :: v_dual_lshlrev_b32 v1, 23, v1
	v_lshl_add_u32 v6, v6, 10, 0x2000
	s_delay_alu instid0(VALU_DEP_1) | instskip(NEXT) | instid1(VALU_DEP_1)
	v_and_or_b32 v0, 0x8000, v0, v6
	v_lshl_or_b32 v64, v0, 16, v1
.LBB296_120:                            ;   in Loop: Header=BB296_10 Depth=1
	s_or_b32 exec_lo, exec_lo, s17
.LBB296_121:                            ;   in Loop: Header=BB296_10 Depth=1
	s_delay_alu instid0(SALU_CYCLE_1)
	s_or_b32 exec_lo, exec_lo, s16
.LBB296_122:                            ;   in Loop: Header=BB296_10 Depth=1
	s_delay_alu instid0(SALU_CYCLE_1) | instskip(SKIP_2) | instid1(VALU_DEP_1)
	s_or_b32 exec_lo, exec_lo, s15
	v_lshrrev_b32_e32 v8, 16, v5
	s_mov_b32 s15, exec_lo
	v_and_b32_e32 v0, 0xff, v8
	s_delay_alu instid0(VALU_DEP_1)
	v_cmpx_ne_u16_e32 0, v0
	s_cbranch_execz .LBB296_130
; %bb.123:                              ;   in Loop: Header=BB296_10 Depth=1
	v_mov_b32_e32 v45, 0x8000
	s_mov_b32 s16, exec_lo
	v_cmpx_ne_u16_e32 0x80, v0
	s_cbranch_execz .LBB296_129
; %bb.124:                              ;   in Loop: Header=BB296_10 Depth=1
	v_bfe_u32 v6, v5, 16, 7
	v_mov_b32_e32 v45, 0x7c01
	s_mov_b32 s17, exec_lo
	s_delay_alu instid0(VALU_DEP_2)
	v_cmpx_ne_u32_e32 0x7f, v6
	s_cbranch_execz .LBB296_128
; %bb.125:                              ;   in Loop: Header=BB296_10 Depth=1
	v_dual_lshrrev_b32 v1, 3, v6 :: v_dual_bitop2_b32 v0, 7, v8 bitop3:0x40
	s_mov_b32 s18, exec_lo
	v_cmpx_gt_u32_e32 8, v6
; %bb.126:                              ;   in Loop: Header=BB296_10 Depth=1
	s_delay_alu instid0(VALU_DEP_2) | instskip(NEXT) | instid1(VALU_DEP_1)
	v_clz_i32_u32_e32 v0, v0
	v_min_u32_e32 v6, 32, v0
	s_delay_alu instid0(VALU_DEP_1) | instskip(NEXT) | instid1(VALU_DEP_1)
	v_subrev_nc_u32_e32 v0, 28, v6
	v_lshlrev_b64_e32 v[0:1], v0, v[8:9]
	s_delay_alu instid0(VALU_DEP_1)
	v_dual_sub_nc_u32 v1, 29, v6 :: v_dual_bitop2_b32 v0, 7, v0 bitop3:0x40
; %bb.127:                              ;   in Loop: Header=BB296_10 Depth=1
	s_or_b32 exec_lo, exec_lo, s18
	v_lshlrev_b32_e32 v6, 8, v8
	s_delay_alu instid0(VALU_DEP_2) | instskip(NEXT) | instid1(VALU_DEP_3)
	v_lshl_add_u32 v1, v1, 10, 0x2000
	v_lshlrev_b32_e32 v0, 7, v0
	s_delay_alu instid0(VALU_DEP_3) | instskip(NEXT) | instid1(VALU_DEP_3)
	v_and_b32_e32 v6, 0x8000, v6
	v_and_b32_e32 v1, 0xfc00, v1
	s_delay_alu instid0(VALU_DEP_1)
	v_or3_b32 v45, v6, v1, v0
.LBB296_128:                            ;   in Loop: Header=BB296_10 Depth=1
	s_or_b32 exec_lo, exec_lo, s17
.LBB296_129:                            ;   in Loop: Header=BB296_10 Depth=1
	s_delay_alu instid0(SALU_CYCLE_1)
	s_or_b32 exec_lo, exec_lo, s16
.LBB296_130:                            ;   in Loop: Header=BB296_10 Depth=1
	s_delay_alu instid0(SALU_CYCLE_1)
	s_or_b32 exec_lo, exec_lo, s15
	v_dual_mov_b32 v28, 0 :: v_dual_mov_b32 v66, 0
	s_mov_b32 s15, exec_lo
	v_cmpx_lt_u64_e64 s[2:3], v[4:5]
	s_cbranch_execz .LBB296_138
; %bb.131:                              ;   in Loop: Header=BB296_10 Depth=1
	v_lshrrev_b32_e32 v24, 24, v5
	v_bfrev_b32_e32 v66, 1
	s_mov_b32 s16, exec_lo
	s_delay_alu instid0(VALU_DEP_2)
	v_cmpx_ne_u32_e32 0x80, v24
	s_cbranch_execz .LBB296_137
; %bb.132:                              ;   in Loop: Header=BB296_10 Depth=1
	v_and_b32_e32 v4, 0x7f, v24
	v_mov_b32_e32 v66, 0x7c010000
	s_mov_b32 s17, exec_lo
	s_delay_alu instid0(VALU_DEP_2)
	v_cmpx_ne_u32_e32 0x7f, v4
	s_cbranch_execz .LBB296_136
; %bb.133:                              ;   in Loop: Header=BB296_10 Depth=1
	v_and_b32_e32 v0, 7, v24
	v_lshrrev_b32_e32 v1, 3, v4
	s_mov_b32 s18, exec_lo
	v_cmpx_gt_u32_e32 8, v4
; %bb.134:                              ;   in Loop: Header=BB296_10 Depth=1
	s_delay_alu instid0(VALU_DEP_3) | instskip(NEXT) | instid1(VALU_DEP_1)
	v_clz_i32_u32_e32 v0, v0
	v_min_u32_e32 v4, 32, v0
	s_delay_alu instid0(VALU_DEP_1) | instskip(NEXT) | instid1(VALU_DEP_1)
	v_subrev_nc_u32_e32 v0, 28, v4
	v_lshlrev_b64_e32 v[0:1], v0, v[24:25]
	v_sub_nc_u32_e32 v1, 29, v4
	s_delay_alu instid0(VALU_DEP_2)
	v_and_b32_e32 v0, 7, v0
; %bb.135:                              ;   in Loop: Header=BB296_10 Depth=1
	s_or_b32 exec_lo, exec_lo, s18
	v_lshlrev_b32_e32 v4, 8, v24
	s_delay_alu instid0(VALU_DEP_3) | instskip(NEXT) | instid1(VALU_DEP_3)
	v_lshl_add_u32 v1, v1, 10, 0x2000
	v_lshlrev_b32_e32 v0, 23, v0
	s_delay_alu instid0(VALU_DEP_2) | instskip(NEXT) | instid1(VALU_DEP_1)
	v_and_or_b32 v1, 0x8000, v4, v1
	v_lshl_or_b32 v66, v1, 16, v0
.LBB296_136:                            ;   in Loop: Header=BB296_10 Depth=1
	s_or_b32 exec_lo, exec_lo, s17
.LBB296_137:                            ;   in Loop: Header=BB296_10 Depth=1
	s_delay_alu instid0(SALU_CYCLE_1)
	s_or_b32 exec_lo, exec_lo, s16
.LBB296_138:                            ;   in Loop: Header=BB296_10 Depth=1
	s_delay_alu instid0(SALU_CYCLE_1)
	s_or_b32 exec_lo, exec_lo, s15
	flat_load_b64 v[4:5], v[2:3] offset:512
	s_mov_b32 s15, exec_lo
	s_wait_loadcnt_dscnt 0x0
	v_and_b32_e32 v0, 0xff, v4
	s_wait_xcnt 0x0
	s_delay_alu instid0(VALU_DEP_1)
	v_cmpx_ne_u16_e32 0, v0
	s_cbranch_execz .LBB296_146
; %bb.139:                              ;   in Loop: Header=BB296_10 Depth=1
	v_mov_b32_e32 v28, 0x8000
	s_mov_b32 s16, exec_lo
	v_cmpx_ne_u16_e32 0x80, v0
	s_cbranch_execz .LBB296_145
; %bb.140:                              ;   in Loop: Header=BB296_10 Depth=1
	v_and_b32_e32 v6, 0x7f, v4
	v_mov_b32_e32 v28, 0x7c01
	s_mov_b32 s17, exec_lo
	s_delay_alu instid0(VALU_DEP_2)
	v_cmpx_ne_u32_e32 0x7f, v6
	s_cbranch_execz .LBB296_144
; %bb.141:                              ;   in Loop: Header=BB296_10 Depth=1
	v_dual_lshrrev_b32 v1, 3, v6 :: v_dual_bitop2_b32 v0, 7, v4 bitop3:0x40
	s_mov_b32 s18, exec_lo
	v_cmpx_gt_u32_e32 8, v6
; %bb.142:                              ;   in Loop: Header=BB296_10 Depth=1
	s_delay_alu instid0(VALU_DEP_2) | instskip(NEXT) | instid1(VALU_DEP_1)
	v_clz_i32_u32_e32 v0, v0
	v_min_u32_e32 v6, 32, v0
	s_delay_alu instid0(VALU_DEP_1) | instskip(NEXT) | instid1(VALU_DEP_1)
	v_subrev_nc_u32_e32 v0, 28, v6
	v_lshlrev_b64_e32 v[0:1], v0, v[4:5]
	s_delay_alu instid0(VALU_DEP_1)
	v_dual_sub_nc_u32 v1, 29, v6 :: v_dual_bitop2_b32 v0, 7, v0 bitop3:0x40
; %bb.143:                              ;   in Loop: Header=BB296_10 Depth=1
	s_or_b32 exec_lo, exec_lo, s18
	v_lshlrev_b32_e32 v6, 8, v4
	s_delay_alu instid0(VALU_DEP_2) | instskip(NEXT) | instid1(VALU_DEP_3)
	v_lshl_add_u32 v1, v1, 10, 0x2000
	v_lshlrev_b32_e32 v0, 7, v0
	s_delay_alu instid0(VALU_DEP_3) | instskip(NEXT) | instid1(VALU_DEP_3)
	v_and_b32_e32 v6, 0x8000, v6
	v_and_b32_e32 v1, 0xfc00, v1
	s_delay_alu instid0(VALU_DEP_1)
	v_or3_b32 v28, v6, v1, v0
.LBB296_144:                            ;   in Loop: Header=BB296_10 Depth=1
	s_or_b32 exec_lo, exec_lo, s17
.LBB296_145:                            ;   in Loop: Header=BB296_10 Depth=1
	s_delay_alu instid0(SALU_CYCLE_1)
	s_or_b32 exec_lo, exec_lo, s16
.LBB296_146:                            ;   in Loop: Header=BB296_10 Depth=1
	s_delay_alu instid0(SALU_CYCLE_1) | instskip(SKIP_3) | instid1(VALU_DEP_2)
	s_or_b32 exec_lo, exec_lo, s15
	v_lshrrev_b16 v24, 8, v4
	v_dual_mov_b32 v38, 0 :: v_dual_mov_b32 v69, 0
	s_mov_b32 s15, exec_lo
	v_cmpx_ne_u16_e32 0, v24
	s_cbranch_execz .LBB296_154
; %bb.147:                              ;   in Loop: Header=BB296_10 Depth=1
	v_bfrev_b32_e32 v69, 1
	s_mov_b32 s16, exec_lo
	v_cmpx_ne_u16_e32 0x80, v24
	s_cbranch_execz .LBB296_153
; %bb.148:                              ;   in Loop: Header=BB296_10 Depth=1
	v_and_b32_e32 v0, 0xffff, v24
	v_mov_b32_e32 v69, 0x7c010000
	s_mov_b32 s17, exec_lo
	s_delay_alu instid0(VALU_DEP_2) | instskip(NEXT) | instid1(VALU_DEP_1)
	v_and_b32_e32 v7, 0x7f, v0
	v_cmpx_ne_u32_e32 0x7f, v7
	s_cbranch_execz .LBB296_152
; %bb.149:                              ;   in Loop: Header=BB296_10 Depth=1
	v_dual_lshrrev_b32 v6, 3, v7 :: v_dual_bitop2_b32 v1, 7, v0 bitop3:0x40
	s_mov_b32 s18, exec_lo
	v_cmpx_gt_u32_e32 8, v7
; %bb.150:                              ;   in Loop: Header=BB296_10 Depth=1
	s_delay_alu instid0(VALU_DEP_2) | instskip(NEXT) | instid1(VALU_DEP_1)
	v_clz_i32_u32_e32 v1, v1
	v_min_u32_e32 v1, 32, v1
	s_delay_alu instid0(VALU_DEP_1) | instskip(NEXT) | instid1(VALU_DEP_1)
	v_subrev_nc_u32_e32 v6, 28, v1
	v_lshlrev_b64_e32 v[8:9], v6, v[24:25]
	s_delay_alu instid0(VALU_DEP_1)
	v_dual_sub_nc_u32 v6, 29, v1 :: v_dual_bitop2_b32 v1, 7, v8 bitop3:0x40
; %bb.151:                              ;   in Loop: Header=BB296_10 Depth=1
	s_or_b32 exec_lo, exec_lo, s18
	s_delay_alu instid0(VALU_DEP_1) | instskip(NEXT) | instid1(VALU_DEP_2)
	v_dual_lshlrev_b32 v0, 8, v0 :: v_dual_lshlrev_b32 v1, 23, v1
	v_lshl_add_u32 v6, v6, 10, 0x2000
	s_delay_alu instid0(VALU_DEP_1) | instskip(NEXT) | instid1(VALU_DEP_1)
	v_and_or_b32 v0, 0x8000, v0, v6
	v_lshl_or_b32 v69, v0, 16, v1
.LBB296_152:                            ;   in Loop: Header=BB296_10 Depth=1
	s_or_b32 exec_lo, exec_lo, s17
.LBB296_153:                            ;   in Loop: Header=BB296_10 Depth=1
	s_delay_alu instid0(SALU_CYCLE_1)
	s_or_b32 exec_lo, exec_lo, s16
.LBB296_154:                            ;   in Loop: Header=BB296_10 Depth=1
	s_delay_alu instid0(SALU_CYCLE_1) | instskip(SKIP_2) | instid1(VALU_DEP_1)
	s_or_b32 exec_lo, exec_lo, s15
	v_lshrrev_b32_e32 v8, 16, v4
	s_mov_b32 s15, exec_lo
	v_and_b32_e32 v0, 0xff, v8
	s_delay_alu instid0(VALU_DEP_1)
	v_cmpx_ne_u16_e32 0, v0
	s_cbranch_execz .LBB296_162
; %bb.155:                              ;   in Loop: Header=BB296_10 Depth=1
	v_mov_b32_e32 v38, 0x8000
	s_mov_b32 s16, exec_lo
	v_cmpx_ne_u16_e32 0x80, v0
	s_cbranch_execz .LBB296_161
; %bb.156:                              ;   in Loop: Header=BB296_10 Depth=1
	v_bfe_u32 v6, v4, 16, 7
	v_mov_b32_e32 v38, 0x7c01
	s_mov_b32 s17, exec_lo
	s_delay_alu instid0(VALU_DEP_2)
	v_cmpx_ne_u32_e32 0x7f, v6
	s_cbranch_execz .LBB296_160
; %bb.157:                              ;   in Loop: Header=BB296_10 Depth=1
	v_dual_lshrrev_b32 v1, 3, v6 :: v_dual_bitop2_b32 v0, 7, v8 bitop3:0x40
	s_mov_b32 s18, exec_lo
	v_cmpx_gt_u32_e32 8, v6
; %bb.158:                              ;   in Loop: Header=BB296_10 Depth=1
	s_delay_alu instid0(VALU_DEP_2) | instskip(NEXT) | instid1(VALU_DEP_1)
	v_clz_i32_u32_e32 v0, v0
	v_min_u32_e32 v6, 32, v0
	s_delay_alu instid0(VALU_DEP_1) | instskip(NEXT) | instid1(VALU_DEP_1)
	v_subrev_nc_u32_e32 v0, 28, v6
	v_lshlrev_b64_e32 v[0:1], v0, v[8:9]
	s_delay_alu instid0(VALU_DEP_1)
	v_dual_sub_nc_u32 v1, 29, v6 :: v_dual_bitop2_b32 v0, 7, v0 bitop3:0x40
; %bb.159:                              ;   in Loop: Header=BB296_10 Depth=1
	s_or_b32 exec_lo, exec_lo, s18
	v_lshlrev_b32_e32 v6, 8, v8
	s_delay_alu instid0(VALU_DEP_2) | instskip(NEXT) | instid1(VALU_DEP_3)
	v_lshl_add_u32 v1, v1, 10, 0x2000
	v_lshlrev_b32_e32 v0, 7, v0
	s_delay_alu instid0(VALU_DEP_3) | instskip(NEXT) | instid1(VALU_DEP_3)
	v_and_b32_e32 v6, 0x8000, v6
	v_and_b32_e32 v1, 0xfc00, v1
	s_delay_alu instid0(VALU_DEP_1)
	v_or3_b32 v38, v6, v1, v0
.LBB296_160:                            ;   in Loop: Header=BB296_10 Depth=1
	s_or_b32 exec_lo, exec_lo, s17
.LBB296_161:                            ;   in Loop: Header=BB296_10 Depth=1
	s_delay_alu instid0(SALU_CYCLE_1)
	s_or_b32 exec_lo, exec_lo, s16
.LBB296_162:                            ;   in Loop: Header=BB296_10 Depth=1
	s_delay_alu instid0(SALU_CYCLE_1)
	s_or_b32 exec_lo, exec_lo, s15
	v_dual_mov_b32 v127, 0 :: v_dual_mov_b32 v86, 0
	s_mov_b32 s15, exec_lo
	v_cmpx_lt_u32_e32 0xffffff, v4
	s_cbranch_execz .LBB296_170
; %bb.163:                              ;   in Loop: Header=BB296_10 Depth=1
	v_lshrrev_b32_e32 v24, 24, v4
	v_bfrev_b32_e32 v86, 1
	s_mov_b32 s16, exec_lo
	s_delay_alu instid0(VALU_DEP_2)
	v_cmpx_ne_u32_e32 0x80, v24
	s_cbranch_execz .LBB296_169
; %bb.164:                              ;   in Loop: Header=BB296_10 Depth=1
	v_and_b32_e32 v6, 0x7f, v24
	v_mov_b32_e32 v86, 0x7c010000
	s_mov_b32 s17, exec_lo
	s_delay_alu instid0(VALU_DEP_2)
	v_cmpx_ne_u32_e32 0x7f, v6
	s_cbranch_execz .LBB296_168
; %bb.165:                              ;   in Loop: Header=BB296_10 Depth=1
	v_dual_lshrrev_b32 v1, 3, v6 :: v_dual_bitop2_b32 v0, 7, v24 bitop3:0x40
	s_mov_b32 s18, exec_lo
	v_cmpx_gt_u32_e32 8, v6
; %bb.166:                              ;   in Loop: Header=BB296_10 Depth=1
	s_delay_alu instid0(VALU_DEP_2) | instskip(NEXT) | instid1(VALU_DEP_1)
	v_clz_i32_u32_e32 v0, v0
	v_min_u32_e32 v6, 32, v0
	s_delay_alu instid0(VALU_DEP_1) | instskip(NEXT) | instid1(VALU_DEP_1)
	v_subrev_nc_u32_e32 v0, 28, v6
	v_lshlrev_b64_e32 v[0:1], v0, v[24:25]
	s_delay_alu instid0(VALU_DEP_1)
	v_dual_sub_nc_u32 v1, 29, v6 :: v_dual_bitop2_b32 v0, 7, v0 bitop3:0x40
; %bb.167:                              ;   in Loop: Header=BB296_10 Depth=1
	s_or_b32 exec_lo, exec_lo, s18
	v_lshlrev_b32_e32 v6, 8, v24
	s_delay_alu instid0(VALU_DEP_2) | instskip(NEXT) | instid1(VALU_DEP_3)
	v_lshl_add_u32 v1, v1, 10, 0x2000
	v_lshlrev_b32_e32 v0, 23, v0
	s_delay_alu instid0(VALU_DEP_2) | instskip(NEXT) | instid1(VALU_DEP_1)
	v_and_or_b32 v1, 0x8000, v6, v1
	v_lshl_or_b32 v86, v1, 16, v0
.LBB296_168:                            ;   in Loop: Header=BB296_10 Depth=1
	s_or_b32 exec_lo, exec_lo, s17
.LBB296_169:                            ;   in Loop: Header=BB296_10 Depth=1
	s_delay_alu instid0(SALU_CYCLE_1)
	s_or_b32 exec_lo, exec_lo, s16
.LBB296_170:                            ;   in Loop: Header=BB296_10 Depth=1
	s_delay_alu instid0(SALU_CYCLE_1) | instskip(SKIP_3) | instid1(VALU_DEP_2)
	s_or_b32 exec_lo, exec_lo, s15
	v_and_b32_e32 v0, 0xff, v5
	v_mov_b32_e32 v24, v5
	s_mov_b32 s15, exec_lo
	v_cmpx_ne_u16_e32 0, v0
	s_cbranch_execz .LBB296_178
; %bb.171:                              ;   in Loop: Header=BB296_10 Depth=1
	v_mov_b32_e32 v127, 0x8000
	s_mov_b32 s16, exec_lo
	v_cmpx_ne_u16_e32 0x80, v0
	s_cbranch_execz .LBB296_177
; %bb.172:                              ;   in Loop: Header=BB296_10 Depth=1
	v_and_b32_e32 v6, 0x7f, v5
	v_mov_b32_e32 v127, 0x7c01
	s_mov_b32 s17, exec_lo
	s_delay_alu instid0(VALU_DEP_2)
	v_cmpx_ne_u32_e32 0x7f, v6
	s_cbranch_execz .LBB296_176
; %bb.173:                              ;   in Loop: Header=BB296_10 Depth=1
	v_dual_lshrrev_b32 v1, 3, v6 :: v_dual_bitop2_b32 v0, 7, v5 bitop3:0x40
	s_mov_b32 s18, exec_lo
	v_cmpx_gt_u32_e32 8, v6
; %bb.174:                              ;   in Loop: Header=BB296_10 Depth=1
	s_delay_alu instid0(VALU_DEP_2) | instskip(NEXT) | instid1(VALU_DEP_1)
	v_clz_i32_u32_e32 v0, v0
	v_min_u32_e32 v6, 32, v0
	s_delay_alu instid0(VALU_DEP_1) | instskip(NEXT) | instid1(VALU_DEP_1)
	v_subrev_nc_u32_e32 v0, 28, v6
	v_lshlrev_b64_e32 v[0:1], v0, v[24:25]
	s_delay_alu instid0(VALU_DEP_1)
	v_dual_sub_nc_u32 v1, 29, v6 :: v_dual_bitop2_b32 v0, 7, v0 bitop3:0x40
; %bb.175:                              ;   in Loop: Header=BB296_10 Depth=1
	s_or_b32 exec_lo, exec_lo, s18
	s_delay_alu instid0(VALU_DEP_1) | instskip(NEXT) | instid1(VALU_DEP_2)
	v_dual_lshlrev_b32 v6, 8, v5 :: v_dual_lshlrev_b32 v0, 7, v0
	v_lshl_add_u32 v1, v1, 10, 0x2000
	s_delay_alu instid0(VALU_DEP_2) | instskip(NEXT) | instid1(VALU_DEP_2)
	v_and_b32_e32 v6, 0x8000, v6
	v_and_b32_e32 v1, 0xfc00, v1
	s_delay_alu instid0(VALU_DEP_1)
	v_or3_b32 v127, v6, v1, v0
.LBB296_176:                            ;   in Loop: Header=BB296_10 Depth=1
	s_or_b32 exec_lo, exec_lo, s17
.LBB296_177:                            ;   in Loop: Header=BB296_10 Depth=1
	s_delay_alu instid0(SALU_CYCLE_1)
	s_or_b32 exec_lo, exec_lo, s16
.LBB296_178:                            ;   in Loop: Header=BB296_10 Depth=1
	s_delay_alu instid0(SALU_CYCLE_1) | instskip(SKIP_3) | instid1(VALU_DEP_2)
	s_or_b32 exec_lo, exec_lo, s15
	v_lshrrev_b16 v24, 8, v24
	v_dual_mov_b32 v102, 0 :: v_dual_mov_b32 v56, 0
	s_mov_b32 s15, exec_lo
	v_cmpx_ne_u16_e32 0, v24
	s_cbranch_execz .LBB296_186
; %bb.179:                              ;   in Loop: Header=BB296_10 Depth=1
	v_bfrev_b32_e32 v56, 1
	s_mov_b32 s16, exec_lo
	v_cmpx_ne_u16_e32 0x80, v24
	s_cbranch_execz .LBB296_185
; %bb.180:                              ;   in Loop: Header=BB296_10 Depth=1
	v_and_b32_e32 v0, 0xffff, v24
	v_mov_b32_e32 v56, 0x7c010000
	s_mov_b32 s17, exec_lo
	s_delay_alu instid0(VALU_DEP_2) | instskip(NEXT) | instid1(VALU_DEP_1)
	v_and_b32_e32 v7, 0x7f, v0
	v_cmpx_ne_u32_e32 0x7f, v7
	s_cbranch_execz .LBB296_184
; %bb.181:                              ;   in Loop: Header=BB296_10 Depth=1
	v_dual_lshrrev_b32 v6, 3, v7 :: v_dual_bitop2_b32 v1, 7, v0 bitop3:0x40
	s_mov_b32 s18, exec_lo
	v_cmpx_gt_u32_e32 8, v7
; %bb.182:                              ;   in Loop: Header=BB296_10 Depth=1
	s_delay_alu instid0(VALU_DEP_2) | instskip(NEXT) | instid1(VALU_DEP_1)
	v_clz_i32_u32_e32 v1, v1
	v_min_u32_e32 v1, 32, v1
	s_delay_alu instid0(VALU_DEP_1) | instskip(NEXT) | instid1(VALU_DEP_1)
	v_subrev_nc_u32_e32 v6, 28, v1
	v_lshlrev_b64_e32 v[8:9], v6, v[24:25]
	s_delay_alu instid0(VALU_DEP_1)
	v_dual_sub_nc_u32 v6, 29, v1 :: v_dual_bitop2_b32 v1, 7, v8 bitop3:0x40
; %bb.183:                              ;   in Loop: Header=BB296_10 Depth=1
	s_or_b32 exec_lo, exec_lo, s18
	s_delay_alu instid0(VALU_DEP_1) | instskip(NEXT) | instid1(VALU_DEP_2)
	v_dual_lshlrev_b32 v0, 8, v0 :: v_dual_lshlrev_b32 v1, 23, v1
	v_lshl_add_u32 v6, v6, 10, 0x2000
	s_delay_alu instid0(VALU_DEP_1) | instskip(NEXT) | instid1(VALU_DEP_1)
	v_and_or_b32 v0, 0x8000, v0, v6
	v_lshl_or_b32 v56, v0, 16, v1
.LBB296_184:                            ;   in Loop: Header=BB296_10 Depth=1
	s_or_b32 exec_lo, exec_lo, s17
.LBB296_185:                            ;   in Loop: Header=BB296_10 Depth=1
	s_delay_alu instid0(SALU_CYCLE_1)
	s_or_b32 exec_lo, exec_lo, s16
.LBB296_186:                            ;   in Loop: Header=BB296_10 Depth=1
	s_delay_alu instid0(SALU_CYCLE_1) | instskip(SKIP_2) | instid1(VALU_DEP_1)
	s_or_b32 exec_lo, exec_lo, s15
	v_lshrrev_b32_e32 v8, 16, v5
	s_mov_b32 s15, exec_lo
	v_and_b32_e32 v0, 0xff, v8
	s_delay_alu instid0(VALU_DEP_1)
	v_cmpx_ne_u16_e32 0, v0
	s_cbranch_execz .LBB296_194
; %bb.187:                              ;   in Loop: Header=BB296_10 Depth=1
	v_mov_b32_e32 v102, 0x8000
	s_mov_b32 s16, exec_lo
	v_cmpx_ne_u16_e32 0x80, v0
	s_cbranch_execz .LBB296_193
; %bb.188:                              ;   in Loop: Header=BB296_10 Depth=1
	v_bfe_u32 v6, v5, 16, 7
	v_mov_b32_e32 v102, 0x7c01
	s_mov_b32 s17, exec_lo
	s_delay_alu instid0(VALU_DEP_2)
	v_cmpx_ne_u32_e32 0x7f, v6
	s_cbranch_execz .LBB296_192
; %bb.189:                              ;   in Loop: Header=BB296_10 Depth=1
	v_dual_lshrrev_b32 v1, 3, v6 :: v_dual_bitop2_b32 v0, 7, v8 bitop3:0x40
	s_mov_b32 s18, exec_lo
	v_cmpx_gt_u32_e32 8, v6
; %bb.190:                              ;   in Loop: Header=BB296_10 Depth=1
	s_delay_alu instid0(VALU_DEP_2) | instskip(NEXT) | instid1(VALU_DEP_1)
	v_clz_i32_u32_e32 v0, v0
	v_min_u32_e32 v6, 32, v0
	s_delay_alu instid0(VALU_DEP_1) | instskip(NEXT) | instid1(VALU_DEP_1)
	v_subrev_nc_u32_e32 v0, 28, v6
	v_lshlrev_b64_e32 v[0:1], v0, v[8:9]
	s_delay_alu instid0(VALU_DEP_1)
	v_dual_sub_nc_u32 v1, 29, v6 :: v_dual_bitop2_b32 v0, 7, v0 bitop3:0x40
; %bb.191:                              ;   in Loop: Header=BB296_10 Depth=1
	s_or_b32 exec_lo, exec_lo, s18
	v_lshlrev_b32_e32 v6, 8, v8
	s_delay_alu instid0(VALU_DEP_2) | instskip(NEXT) | instid1(VALU_DEP_3)
	v_lshl_add_u32 v1, v1, 10, 0x2000
	v_lshlrev_b32_e32 v0, 7, v0
	s_delay_alu instid0(VALU_DEP_3) | instskip(NEXT) | instid1(VALU_DEP_3)
	v_and_b32_e32 v6, 0x8000, v6
	v_and_b32_e32 v1, 0xfc00, v1
	s_delay_alu instid0(VALU_DEP_1)
	v_or3_b32 v102, v6, v1, v0
.LBB296_192:                            ;   in Loop: Header=BB296_10 Depth=1
	s_or_b32 exec_lo, exec_lo, s17
.LBB296_193:                            ;   in Loop: Header=BB296_10 Depth=1
	s_delay_alu instid0(SALU_CYCLE_1)
	s_or_b32 exec_lo, exec_lo, s16
.LBB296_194:                            ;   in Loop: Header=BB296_10 Depth=1
	s_delay_alu instid0(SALU_CYCLE_1)
	s_or_b32 exec_lo, exec_lo, s15
	v_dual_mov_b32 v114, 0 :: v_dual_mov_b32 v87, 0
	s_mov_b32 s15, exec_lo
	v_cmpx_lt_u64_e64 s[2:3], v[4:5]
	s_cbranch_execz .LBB296_202
; %bb.195:                              ;   in Loop: Header=BB296_10 Depth=1
	v_lshrrev_b32_e32 v24, 24, v5
	v_bfrev_b32_e32 v87, 1
	s_mov_b32 s16, exec_lo
	s_delay_alu instid0(VALU_DEP_2)
	v_cmpx_ne_u32_e32 0x80, v24
	s_cbranch_execz .LBB296_201
; %bb.196:                              ;   in Loop: Header=BB296_10 Depth=1
	v_and_b32_e32 v4, 0x7f, v24
	v_mov_b32_e32 v87, 0x7c010000
	s_mov_b32 s17, exec_lo
	s_delay_alu instid0(VALU_DEP_2)
	v_cmpx_ne_u32_e32 0x7f, v4
	s_cbranch_execz .LBB296_200
; %bb.197:                              ;   in Loop: Header=BB296_10 Depth=1
	v_and_b32_e32 v0, 7, v24
	v_lshrrev_b32_e32 v1, 3, v4
	s_mov_b32 s18, exec_lo
	v_cmpx_gt_u32_e32 8, v4
; %bb.198:                              ;   in Loop: Header=BB296_10 Depth=1
	s_delay_alu instid0(VALU_DEP_3) | instskip(NEXT) | instid1(VALU_DEP_1)
	v_clz_i32_u32_e32 v0, v0
	v_min_u32_e32 v4, 32, v0
	s_delay_alu instid0(VALU_DEP_1) | instskip(NEXT) | instid1(VALU_DEP_1)
	v_subrev_nc_u32_e32 v0, 28, v4
	v_lshlrev_b64_e32 v[0:1], v0, v[24:25]
	v_sub_nc_u32_e32 v1, 29, v4
	s_delay_alu instid0(VALU_DEP_2)
	v_and_b32_e32 v0, 7, v0
; %bb.199:                              ;   in Loop: Header=BB296_10 Depth=1
	s_or_b32 exec_lo, exec_lo, s18
	v_lshlrev_b32_e32 v4, 8, v24
	s_delay_alu instid0(VALU_DEP_3) | instskip(NEXT) | instid1(VALU_DEP_3)
	v_lshl_add_u32 v1, v1, 10, 0x2000
	v_lshlrev_b32_e32 v0, 23, v0
	s_delay_alu instid0(VALU_DEP_2) | instskip(NEXT) | instid1(VALU_DEP_1)
	v_and_or_b32 v1, 0x8000, v4, v1
	v_lshl_or_b32 v87, v1, 16, v0
.LBB296_200:                            ;   in Loop: Header=BB296_10 Depth=1
	s_or_b32 exec_lo, exec_lo, s17
.LBB296_201:                            ;   in Loop: Header=BB296_10 Depth=1
	s_delay_alu instid0(SALU_CYCLE_1)
	s_or_b32 exec_lo, exec_lo, s16
.LBB296_202:                            ;   in Loop: Header=BB296_10 Depth=1
	s_delay_alu instid0(SALU_CYCLE_1)
	s_or_b32 exec_lo, exec_lo, s15
	flat_load_b64 v[4:5], v[2:3] offset:520
	s_mov_b32 s15, exec_lo
	s_wait_loadcnt_dscnt 0x0
	v_and_b32_e32 v0, 0xff, v4
	s_wait_xcnt 0x0
	s_delay_alu instid0(VALU_DEP_1)
	v_cmpx_ne_u16_e32 0, v0
	s_cbranch_execz .LBB296_210
; %bb.203:                              ;   in Loop: Header=BB296_10 Depth=1
	v_mov_b32_e32 v114, 0x8000
	s_mov_b32 s16, exec_lo
	v_cmpx_ne_u16_e32 0x80, v0
	s_cbranch_execz .LBB296_209
; %bb.204:                              ;   in Loop: Header=BB296_10 Depth=1
	v_and_b32_e32 v6, 0x7f, v4
	v_mov_b32_e32 v114, 0x7c01
	s_mov_b32 s17, exec_lo
	s_delay_alu instid0(VALU_DEP_2)
	v_cmpx_ne_u32_e32 0x7f, v6
	s_cbranch_execz .LBB296_208
; %bb.205:                              ;   in Loop: Header=BB296_10 Depth=1
	v_dual_lshrrev_b32 v1, 3, v6 :: v_dual_bitop2_b32 v0, 7, v4 bitop3:0x40
	s_mov_b32 s18, exec_lo
	v_cmpx_gt_u32_e32 8, v6
; %bb.206:                              ;   in Loop: Header=BB296_10 Depth=1
	s_delay_alu instid0(VALU_DEP_2) | instskip(NEXT) | instid1(VALU_DEP_1)
	v_clz_i32_u32_e32 v0, v0
	v_min_u32_e32 v6, 32, v0
	s_delay_alu instid0(VALU_DEP_1) | instskip(NEXT) | instid1(VALU_DEP_1)
	v_subrev_nc_u32_e32 v0, 28, v6
	v_lshlrev_b64_e32 v[0:1], v0, v[4:5]
	s_delay_alu instid0(VALU_DEP_1)
	v_dual_sub_nc_u32 v1, 29, v6 :: v_dual_bitop2_b32 v0, 7, v0 bitop3:0x40
; %bb.207:                              ;   in Loop: Header=BB296_10 Depth=1
	s_or_b32 exec_lo, exec_lo, s18
	v_lshlrev_b32_e32 v6, 8, v4
	s_delay_alu instid0(VALU_DEP_2) | instskip(NEXT) | instid1(VALU_DEP_3)
	v_lshl_add_u32 v1, v1, 10, 0x2000
	v_lshlrev_b32_e32 v0, 7, v0
	s_delay_alu instid0(VALU_DEP_3) | instskip(NEXT) | instid1(VALU_DEP_3)
	v_and_b32_e32 v6, 0x8000, v6
	v_and_b32_e32 v1, 0xfc00, v1
	s_delay_alu instid0(VALU_DEP_1)
	v_or3_b32 v114, v6, v1, v0
.LBB296_208:                            ;   in Loop: Header=BB296_10 Depth=1
	s_or_b32 exec_lo, exec_lo, s17
.LBB296_209:                            ;   in Loop: Header=BB296_10 Depth=1
	s_delay_alu instid0(SALU_CYCLE_1)
	s_or_b32 exec_lo, exec_lo, s16
.LBB296_210:                            ;   in Loop: Header=BB296_10 Depth=1
	s_delay_alu instid0(SALU_CYCLE_1) | instskip(SKIP_3) | instid1(VALU_DEP_2)
	s_or_b32 exec_lo, exec_lo, s15
	v_lshrrev_b16 v24, 8, v4
	v_dual_mov_b32 v39, 0 :: v_dual_mov_b32 v98, 0
	s_mov_b32 s15, exec_lo
	v_cmpx_ne_u16_e32 0, v24
	s_cbranch_execz .LBB296_218
; %bb.211:                              ;   in Loop: Header=BB296_10 Depth=1
	v_bfrev_b32_e32 v98, 1
	s_mov_b32 s16, exec_lo
	v_cmpx_ne_u16_e32 0x80, v24
	s_cbranch_execz .LBB296_217
; %bb.212:                              ;   in Loop: Header=BB296_10 Depth=1
	v_and_b32_e32 v0, 0xffff, v24
	v_mov_b32_e32 v98, 0x7c010000
	s_mov_b32 s17, exec_lo
	s_delay_alu instid0(VALU_DEP_2) | instskip(NEXT) | instid1(VALU_DEP_1)
	v_and_b32_e32 v7, 0x7f, v0
	v_cmpx_ne_u32_e32 0x7f, v7
	s_cbranch_execz .LBB296_216
; %bb.213:                              ;   in Loop: Header=BB296_10 Depth=1
	v_dual_lshrrev_b32 v6, 3, v7 :: v_dual_bitop2_b32 v1, 7, v0 bitop3:0x40
	s_mov_b32 s18, exec_lo
	v_cmpx_gt_u32_e32 8, v7
; %bb.214:                              ;   in Loop: Header=BB296_10 Depth=1
	s_delay_alu instid0(VALU_DEP_2) | instskip(NEXT) | instid1(VALU_DEP_1)
	v_clz_i32_u32_e32 v1, v1
	v_min_u32_e32 v1, 32, v1
	s_delay_alu instid0(VALU_DEP_1) | instskip(NEXT) | instid1(VALU_DEP_1)
	v_subrev_nc_u32_e32 v6, 28, v1
	v_lshlrev_b64_e32 v[8:9], v6, v[24:25]
	s_delay_alu instid0(VALU_DEP_1)
	v_dual_sub_nc_u32 v6, 29, v1 :: v_dual_bitop2_b32 v1, 7, v8 bitop3:0x40
; %bb.215:                              ;   in Loop: Header=BB296_10 Depth=1
	s_or_b32 exec_lo, exec_lo, s18
	s_delay_alu instid0(VALU_DEP_1) | instskip(NEXT) | instid1(VALU_DEP_2)
	v_dual_lshlrev_b32 v0, 8, v0 :: v_dual_lshlrev_b32 v1, 23, v1
	v_lshl_add_u32 v6, v6, 10, 0x2000
	s_delay_alu instid0(VALU_DEP_1) | instskip(NEXT) | instid1(VALU_DEP_1)
	v_and_or_b32 v0, 0x8000, v0, v6
	v_lshl_or_b32 v98, v0, 16, v1
.LBB296_216:                            ;   in Loop: Header=BB296_10 Depth=1
	s_or_b32 exec_lo, exec_lo, s17
.LBB296_217:                            ;   in Loop: Header=BB296_10 Depth=1
	s_delay_alu instid0(SALU_CYCLE_1)
	s_or_b32 exec_lo, exec_lo, s16
.LBB296_218:                            ;   in Loop: Header=BB296_10 Depth=1
	s_delay_alu instid0(SALU_CYCLE_1) | instskip(SKIP_2) | instid1(VALU_DEP_1)
	s_or_b32 exec_lo, exec_lo, s15
	v_lshrrev_b32_e32 v8, 16, v4
	s_mov_b32 s15, exec_lo
	v_and_b32_e32 v0, 0xff, v8
	s_delay_alu instid0(VALU_DEP_1)
	v_cmpx_ne_u16_e32 0, v0
	s_cbranch_execz .LBB296_226
; %bb.219:                              ;   in Loop: Header=BB296_10 Depth=1
	v_mov_b32_e32 v39, 0x8000
	s_mov_b32 s16, exec_lo
	v_cmpx_ne_u16_e32 0x80, v0
	s_cbranch_execz .LBB296_225
; %bb.220:                              ;   in Loop: Header=BB296_10 Depth=1
	v_bfe_u32 v6, v4, 16, 7
	v_mov_b32_e32 v39, 0x7c01
	s_mov_b32 s17, exec_lo
	s_delay_alu instid0(VALU_DEP_2)
	v_cmpx_ne_u32_e32 0x7f, v6
	s_cbranch_execz .LBB296_224
; %bb.221:                              ;   in Loop: Header=BB296_10 Depth=1
	v_dual_lshrrev_b32 v1, 3, v6 :: v_dual_bitop2_b32 v0, 7, v8 bitop3:0x40
	s_mov_b32 s18, exec_lo
	v_cmpx_gt_u32_e32 8, v6
; %bb.222:                              ;   in Loop: Header=BB296_10 Depth=1
	s_delay_alu instid0(VALU_DEP_2) | instskip(NEXT) | instid1(VALU_DEP_1)
	v_clz_i32_u32_e32 v0, v0
	v_min_u32_e32 v6, 32, v0
	s_delay_alu instid0(VALU_DEP_1) | instskip(NEXT) | instid1(VALU_DEP_1)
	v_subrev_nc_u32_e32 v0, 28, v6
	v_lshlrev_b64_e32 v[0:1], v0, v[8:9]
	s_delay_alu instid0(VALU_DEP_1)
	v_dual_sub_nc_u32 v1, 29, v6 :: v_dual_bitop2_b32 v0, 7, v0 bitop3:0x40
; %bb.223:                              ;   in Loop: Header=BB296_10 Depth=1
	s_or_b32 exec_lo, exec_lo, s18
	v_lshlrev_b32_e32 v6, 8, v8
	s_delay_alu instid0(VALU_DEP_2) | instskip(NEXT) | instid1(VALU_DEP_3)
	v_lshl_add_u32 v1, v1, 10, 0x2000
	v_lshlrev_b32_e32 v0, 7, v0
	s_delay_alu instid0(VALU_DEP_3) | instskip(NEXT) | instid1(VALU_DEP_3)
	v_and_b32_e32 v6, 0x8000, v6
	v_and_b32_e32 v1, 0xfc00, v1
	s_delay_alu instid0(VALU_DEP_1)
	v_or3_b32 v39, v6, v1, v0
.LBB296_224:                            ;   in Loop: Header=BB296_10 Depth=1
	s_or_b32 exec_lo, exec_lo, s17
.LBB296_225:                            ;   in Loop: Header=BB296_10 Depth=1
	s_delay_alu instid0(SALU_CYCLE_1)
	s_or_b32 exec_lo, exec_lo, s16
.LBB296_226:                            ;   in Loop: Header=BB296_10 Depth=1
	s_delay_alu instid0(SALU_CYCLE_1)
	s_or_b32 exec_lo, exec_lo, s15
	v_dual_mov_b32 v101, 0 :: v_dual_mov_b32 v50, 0
	s_mov_b32 s15, exec_lo
	v_cmpx_lt_u32_e32 0xffffff, v4
	s_cbranch_execz .LBB296_234
; %bb.227:                              ;   in Loop: Header=BB296_10 Depth=1
	v_lshrrev_b32_e32 v24, 24, v4
	v_bfrev_b32_e32 v50, 1
	s_mov_b32 s16, exec_lo
	s_delay_alu instid0(VALU_DEP_2)
	v_cmpx_ne_u32_e32 0x80, v24
	s_cbranch_execz .LBB296_233
; %bb.228:                              ;   in Loop: Header=BB296_10 Depth=1
	v_and_b32_e32 v6, 0x7f, v24
	v_mov_b32_e32 v50, 0x7c010000
	s_mov_b32 s17, exec_lo
	s_delay_alu instid0(VALU_DEP_2)
	v_cmpx_ne_u32_e32 0x7f, v6
	s_cbranch_execz .LBB296_232
; %bb.229:                              ;   in Loop: Header=BB296_10 Depth=1
	v_dual_lshrrev_b32 v1, 3, v6 :: v_dual_bitop2_b32 v0, 7, v24 bitop3:0x40
	s_mov_b32 s18, exec_lo
	v_cmpx_gt_u32_e32 8, v6
; %bb.230:                              ;   in Loop: Header=BB296_10 Depth=1
	s_delay_alu instid0(VALU_DEP_2) | instskip(NEXT) | instid1(VALU_DEP_1)
	v_clz_i32_u32_e32 v0, v0
	v_min_u32_e32 v6, 32, v0
	s_delay_alu instid0(VALU_DEP_1) | instskip(NEXT) | instid1(VALU_DEP_1)
	v_subrev_nc_u32_e32 v0, 28, v6
	v_lshlrev_b64_e32 v[0:1], v0, v[24:25]
	s_delay_alu instid0(VALU_DEP_1)
	v_dual_sub_nc_u32 v1, 29, v6 :: v_dual_bitop2_b32 v0, 7, v0 bitop3:0x40
; %bb.231:                              ;   in Loop: Header=BB296_10 Depth=1
	s_or_b32 exec_lo, exec_lo, s18
	v_lshlrev_b32_e32 v6, 8, v24
	s_delay_alu instid0(VALU_DEP_2) | instskip(NEXT) | instid1(VALU_DEP_3)
	v_lshl_add_u32 v1, v1, 10, 0x2000
	v_lshlrev_b32_e32 v0, 23, v0
	s_delay_alu instid0(VALU_DEP_2) | instskip(NEXT) | instid1(VALU_DEP_1)
	v_and_or_b32 v1, 0x8000, v6, v1
	v_lshl_or_b32 v50, v1, 16, v0
.LBB296_232:                            ;   in Loop: Header=BB296_10 Depth=1
	s_or_b32 exec_lo, exec_lo, s17
.LBB296_233:                            ;   in Loop: Header=BB296_10 Depth=1
	s_delay_alu instid0(SALU_CYCLE_1)
	s_or_b32 exec_lo, exec_lo, s16
.LBB296_234:                            ;   in Loop: Header=BB296_10 Depth=1
	s_delay_alu instid0(SALU_CYCLE_1) | instskip(SKIP_3) | instid1(VALU_DEP_2)
	s_or_b32 exec_lo, exec_lo, s15
	v_and_b32_e32 v0, 0xff, v5
	v_mov_b32_e32 v24, v5
	s_mov_b32 s15, exec_lo
	v_cmpx_ne_u16_e32 0, v0
	s_cbranch_execz .LBB296_242
; %bb.235:                              ;   in Loop: Header=BB296_10 Depth=1
	v_mov_b32_e32 v101, 0x8000
	s_mov_b32 s16, exec_lo
	v_cmpx_ne_u16_e32 0x80, v0
	s_cbranch_execz .LBB296_241
; %bb.236:                              ;   in Loop: Header=BB296_10 Depth=1
	v_and_b32_e32 v6, 0x7f, v5
	v_mov_b32_e32 v101, 0x7c01
	s_mov_b32 s17, exec_lo
	s_delay_alu instid0(VALU_DEP_2)
	v_cmpx_ne_u32_e32 0x7f, v6
	s_cbranch_execz .LBB296_240
; %bb.237:                              ;   in Loop: Header=BB296_10 Depth=1
	v_dual_lshrrev_b32 v1, 3, v6 :: v_dual_bitop2_b32 v0, 7, v5 bitop3:0x40
	s_mov_b32 s18, exec_lo
	v_cmpx_gt_u32_e32 8, v6
; %bb.238:                              ;   in Loop: Header=BB296_10 Depth=1
	s_delay_alu instid0(VALU_DEP_2) | instskip(NEXT) | instid1(VALU_DEP_1)
	v_clz_i32_u32_e32 v0, v0
	v_min_u32_e32 v6, 32, v0
	s_delay_alu instid0(VALU_DEP_1) | instskip(NEXT) | instid1(VALU_DEP_1)
	v_subrev_nc_u32_e32 v0, 28, v6
	v_lshlrev_b64_e32 v[0:1], v0, v[24:25]
	s_delay_alu instid0(VALU_DEP_1)
	v_dual_sub_nc_u32 v1, 29, v6 :: v_dual_bitop2_b32 v0, 7, v0 bitop3:0x40
; %bb.239:                              ;   in Loop: Header=BB296_10 Depth=1
	s_or_b32 exec_lo, exec_lo, s18
	s_delay_alu instid0(VALU_DEP_1) | instskip(NEXT) | instid1(VALU_DEP_2)
	v_dual_lshlrev_b32 v6, 8, v5 :: v_dual_lshlrev_b32 v0, 7, v0
	v_lshl_add_u32 v1, v1, 10, 0x2000
	s_delay_alu instid0(VALU_DEP_2) | instskip(NEXT) | instid1(VALU_DEP_2)
	v_and_b32_e32 v6, 0x8000, v6
	v_and_b32_e32 v1, 0xfc00, v1
	s_delay_alu instid0(VALU_DEP_1)
	v_or3_b32 v101, v6, v1, v0
.LBB296_240:                            ;   in Loop: Header=BB296_10 Depth=1
	s_or_b32 exec_lo, exec_lo, s17
.LBB296_241:                            ;   in Loop: Header=BB296_10 Depth=1
	s_delay_alu instid0(SALU_CYCLE_1)
	s_or_b32 exec_lo, exec_lo, s16
.LBB296_242:                            ;   in Loop: Header=BB296_10 Depth=1
	s_delay_alu instid0(SALU_CYCLE_1) | instskip(SKIP_3) | instid1(VALU_DEP_2)
	s_or_b32 exec_lo, exec_lo, s15
	v_lshrrev_b16 v24, 8, v24
	v_dual_mov_b32 v103, 0 :: v_dual_mov_b32 v84, 0
	s_mov_b32 s15, exec_lo
	v_cmpx_ne_u16_e32 0, v24
	s_cbranch_execz .LBB296_250
; %bb.243:                              ;   in Loop: Header=BB296_10 Depth=1
	v_bfrev_b32_e32 v84, 1
	s_mov_b32 s16, exec_lo
	v_cmpx_ne_u16_e32 0x80, v24
	s_cbranch_execz .LBB296_249
; %bb.244:                              ;   in Loop: Header=BB296_10 Depth=1
	v_and_b32_e32 v0, 0xffff, v24
	v_mov_b32_e32 v84, 0x7c010000
	s_mov_b32 s17, exec_lo
	s_delay_alu instid0(VALU_DEP_2) | instskip(NEXT) | instid1(VALU_DEP_1)
	v_and_b32_e32 v7, 0x7f, v0
	v_cmpx_ne_u32_e32 0x7f, v7
	s_cbranch_execz .LBB296_248
; %bb.245:                              ;   in Loop: Header=BB296_10 Depth=1
	v_dual_lshrrev_b32 v6, 3, v7 :: v_dual_bitop2_b32 v1, 7, v0 bitop3:0x40
	s_mov_b32 s18, exec_lo
	v_cmpx_gt_u32_e32 8, v7
; %bb.246:                              ;   in Loop: Header=BB296_10 Depth=1
	s_delay_alu instid0(VALU_DEP_2) | instskip(NEXT) | instid1(VALU_DEP_1)
	v_clz_i32_u32_e32 v1, v1
	v_min_u32_e32 v1, 32, v1
	s_delay_alu instid0(VALU_DEP_1) | instskip(NEXT) | instid1(VALU_DEP_1)
	v_subrev_nc_u32_e32 v6, 28, v1
	v_lshlrev_b64_e32 v[8:9], v6, v[24:25]
	s_delay_alu instid0(VALU_DEP_1)
	v_dual_sub_nc_u32 v6, 29, v1 :: v_dual_bitop2_b32 v1, 7, v8 bitop3:0x40
; %bb.247:                              ;   in Loop: Header=BB296_10 Depth=1
	s_or_b32 exec_lo, exec_lo, s18
	s_delay_alu instid0(VALU_DEP_1) | instskip(NEXT) | instid1(VALU_DEP_2)
	v_dual_lshlrev_b32 v0, 8, v0 :: v_dual_lshlrev_b32 v1, 23, v1
	v_lshl_add_u32 v6, v6, 10, 0x2000
	s_delay_alu instid0(VALU_DEP_1) | instskip(NEXT) | instid1(VALU_DEP_1)
	v_and_or_b32 v0, 0x8000, v0, v6
	v_lshl_or_b32 v84, v0, 16, v1
.LBB296_248:                            ;   in Loop: Header=BB296_10 Depth=1
	s_or_b32 exec_lo, exec_lo, s17
.LBB296_249:                            ;   in Loop: Header=BB296_10 Depth=1
	s_delay_alu instid0(SALU_CYCLE_1)
	s_or_b32 exec_lo, exec_lo, s16
.LBB296_250:                            ;   in Loop: Header=BB296_10 Depth=1
	s_delay_alu instid0(SALU_CYCLE_1) | instskip(SKIP_2) | instid1(VALU_DEP_1)
	s_or_b32 exec_lo, exec_lo, s15
	v_lshrrev_b32_e32 v8, 16, v5
	s_mov_b32 s15, exec_lo
	v_and_b32_e32 v0, 0xff, v8
	s_delay_alu instid0(VALU_DEP_1)
	v_cmpx_ne_u16_e32 0, v0
	s_cbranch_execz .LBB296_258
; %bb.251:                              ;   in Loop: Header=BB296_10 Depth=1
	v_mov_b32_e32 v103, 0x8000
	s_mov_b32 s16, exec_lo
	v_cmpx_ne_u16_e32 0x80, v0
	s_cbranch_execz .LBB296_257
; %bb.252:                              ;   in Loop: Header=BB296_10 Depth=1
	v_bfe_u32 v6, v5, 16, 7
	v_mov_b32_e32 v103, 0x7c01
	s_mov_b32 s17, exec_lo
	s_delay_alu instid0(VALU_DEP_2)
	v_cmpx_ne_u32_e32 0x7f, v6
	s_cbranch_execz .LBB296_256
; %bb.253:                              ;   in Loop: Header=BB296_10 Depth=1
	v_dual_lshrrev_b32 v1, 3, v6 :: v_dual_bitop2_b32 v0, 7, v8 bitop3:0x40
	s_mov_b32 s18, exec_lo
	v_cmpx_gt_u32_e32 8, v6
; %bb.254:                              ;   in Loop: Header=BB296_10 Depth=1
	s_delay_alu instid0(VALU_DEP_2) | instskip(NEXT) | instid1(VALU_DEP_1)
	v_clz_i32_u32_e32 v0, v0
	v_min_u32_e32 v6, 32, v0
	s_delay_alu instid0(VALU_DEP_1) | instskip(NEXT) | instid1(VALU_DEP_1)
	v_subrev_nc_u32_e32 v0, 28, v6
	v_lshlrev_b64_e32 v[0:1], v0, v[8:9]
	s_delay_alu instid0(VALU_DEP_1)
	v_dual_sub_nc_u32 v1, 29, v6 :: v_dual_bitop2_b32 v0, 7, v0 bitop3:0x40
; %bb.255:                              ;   in Loop: Header=BB296_10 Depth=1
	s_or_b32 exec_lo, exec_lo, s18
	v_lshlrev_b32_e32 v6, 8, v8
	s_delay_alu instid0(VALU_DEP_2) | instskip(NEXT) | instid1(VALU_DEP_3)
	v_lshl_add_u32 v1, v1, 10, 0x2000
	v_lshlrev_b32_e32 v0, 7, v0
	s_delay_alu instid0(VALU_DEP_3) | instskip(NEXT) | instid1(VALU_DEP_3)
	v_and_b32_e32 v6, 0x8000, v6
	v_and_b32_e32 v1, 0xfc00, v1
	s_delay_alu instid0(VALU_DEP_1)
	v_or3_b32 v103, v6, v1, v0
.LBB296_256:                            ;   in Loop: Header=BB296_10 Depth=1
	s_or_b32 exec_lo, exec_lo, s17
.LBB296_257:                            ;   in Loop: Header=BB296_10 Depth=1
	s_delay_alu instid0(SALU_CYCLE_1)
	s_or_b32 exec_lo, exec_lo, s16
.LBB296_258:                            ;   in Loop: Header=BB296_10 Depth=1
	s_delay_alu instid0(SALU_CYCLE_1)
	s_or_b32 exec_lo, exec_lo, s15
	v_dual_mov_b32 v96, 0 :: v_dual_mov_b32 v97, 0
	s_mov_b32 s15, exec_lo
	v_cmpx_lt_u64_e64 s[2:3], v[4:5]
	s_cbranch_execz .LBB296_266
; %bb.259:                              ;   in Loop: Header=BB296_10 Depth=1
	v_lshrrev_b32_e32 v24, 24, v5
	v_bfrev_b32_e32 v97, 1
	s_mov_b32 s16, exec_lo
	s_delay_alu instid0(VALU_DEP_2)
	v_cmpx_ne_u32_e32 0x80, v24
	s_cbranch_execz .LBB296_265
; %bb.260:                              ;   in Loop: Header=BB296_10 Depth=1
	v_and_b32_e32 v4, 0x7f, v24
	v_mov_b32_e32 v97, 0x7c010000
	s_mov_b32 s17, exec_lo
	s_delay_alu instid0(VALU_DEP_2)
	v_cmpx_ne_u32_e32 0x7f, v4
	s_cbranch_execz .LBB296_264
; %bb.261:                              ;   in Loop: Header=BB296_10 Depth=1
	v_and_b32_e32 v0, 7, v24
	v_lshrrev_b32_e32 v1, 3, v4
	s_mov_b32 s18, exec_lo
	v_cmpx_gt_u32_e32 8, v4
; %bb.262:                              ;   in Loop: Header=BB296_10 Depth=1
	s_delay_alu instid0(VALU_DEP_3) | instskip(NEXT) | instid1(VALU_DEP_1)
	v_clz_i32_u32_e32 v0, v0
	v_min_u32_e32 v4, 32, v0
	s_delay_alu instid0(VALU_DEP_1) | instskip(NEXT) | instid1(VALU_DEP_1)
	v_subrev_nc_u32_e32 v0, 28, v4
	v_lshlrev_b64_e32 v[0:1], v0, v[24:25]
	v_sub_nc_u32_e32 v1, 29, v4
	s_delay_alu instid0(VALU_DEP_2)
	v_and_b32_e32 v0, 7, v0
; %bb.263:                              ;   in Loop: Header=BB296_10 Depth=1
	s_or_b32 exec_lo, exec_lo, s18
	v_lshlrev_b32_e32 v4, 8, v24
	s_delay_alu instid0(VALU_DEP_3) | instskip(NEXT) | instid1(VALU_DEP_3)
	v_lshl_add_u32 v1, v1, 10, 0x2000
	v_lshlrev_b32_e32 v0, 23, v0
	s_delay_alu instid0(VALU_DEP_2) | instskip(NEXT) | instid1(VALU_DEP_1)
	v_and_or_b32 v1, 0x8000, v4, v1
	v_lshl_or_b32 v97, v1, 16, v0
.LBB296_264:                            ;   in Loop: Header=BB296_10 Depth=1
	s_or_b32 exec_lo, exec_lo, s17
.LBB296_265:                            ;   in Loop: Header=BB296_10 Depth=1
	s_delay_alu instid0(SALU_CYCLE_1)
	s_or_b32 exec_lo, exec_lo, s16
.LBB296_266:                            ;   in Loop: Header=BB296_10 Depth=1
	s_delay_alu instid0(SALU_CYCLE_1)
	s_or_b32 exec_lo, exec_lo, s15
	flat_load_b64 v[4:5], v[2:3] offset:1024
	s_mov_b32 s15, exec_lo
	s_wait_loadcnt_dscnt 0x0
	v_and_b32_e32 v0, 0xff, v4
	s_wait_xcnt 0x0
	s_delay_alu instid0(VALU_DEP_1)
	v_cmpx_ne_u16_e32 0, v0
	s_cbranch_execz .LBB296_274
; %bb.267:                              ;   in Loop: Header=BB296_10 Depth=1
	v_mov_b32_e32 v96, 0x8000
	s_mov_b32 s16, exec_lo
	v_cmpx_ne_u16_e32 0x80, v0
	s_cbranch_execz .LBB296_273
; %bb.268:                              ;   in Loop: Header=BB296_10 Depth=1
	v_and_b32_e32 v6, 0x7f, v4
	v_mov_b32_e32 v96, 0x7c01
	s_mov_b32 s17, exec_lo
	s_delay_alu instid0(VALU_DEP_2)
	v_cmpx_ne_u32_e32 0x7f, v6
	s_cbranch_execz .LBB296_272
; %bb.269:                              ;   in Loop: Header=BB296_10 Depth=1
	v_dual_lshrrev_b32 v1, 3, v6 :: v_dual_bitop2_b32 v0, 7, v4 bitop3:0x40
	s_mov_b32 s18, exec_lo
	v_cmpx_gt_u32_e32 8, v6
; %bb.270:                              ;   in Loop: Header=BB296_10 Depth=1
	s_delay_alu instid0(VALU_DEP_2) | instskip(NEXT) | instid1(VALU_DEP_1)
	v_clz_i32_u32_e32 v0, v0
	v_min_u32_e32 v6, 32, v0
	s_delay_alu instid0(VALU_DEP_1) | instskip(NEXT) | instid1(VALU_DEP_1)
	v_subrev_nc_u32_e32 v0, 28, v6
	v_lshlrev_b64_e32 v[0:1], v0, v[4:5]
	s_delay_alu instid0(VALU_DEP_1)
	v_dual_sub_nc_u32 v1, 29, v6 :: v_dual_bitop2_b32 v0, 7, v0 bitop3:0x40
; %bb.271:                              ;   in Loop: Header=BB296_10 Depth=1
	s_or_b32 exec_lo, exec_lo, s18
	v_lshlrev_b32_e32 v6, 8, v4
	s_delay_alu instid0(VALU_DEP_2) | instskip(NEXT) | instid1(VALU_DEP_3)
	v_lshl_add_u32 v1, v1, 10, 0x2000
	v_lshlrev_b32_e32 v0, 7, v0
	s_delay_alu instid0(VALU_DEP_3) | instskip(NEXT) | instid1(VALU_DEP_3)
	v_and_b32_e32 v6, 0x8000, v6
	v_and_b32_e32 v1, 0xfc00, v1
	s_delay_alu instid0(VALU_DEP_1)
	v_or3_b32 v96, v6, v1, v0
.LBB296_272:                            ;   in Loop: Header=BB296_10 Depth=1
	s_or_b32 exec_lo, exec_lo, s17
.LBB296_273:                            ;   in Loop: Header=BB296_10 Depth=1
	s_delay_alu instid0(SALU_CYCLE_1)
	s_or_b32 exec_lo, exec_lo, s16
.LBB296_274:                            ;   in Loop: Header=BB296_10 Depth=1
	s_delay_alu instid0(SALU_CYCLE_1) | instskip(SKIP_3) | instid1(VALU_DEP_2)
	s_or_b32 exec_lo, exec_lo, s15
	v_lshrrev_b16 v24, 8, v4
	v_dual_mov_b32 v99, 0 :: v_dual_mov_b32 v115, 0
	s_mov_b32 s15, exec_lo
	v_cmpx_ne_u16_e32 0, v24
	s_cbranch_execz .LBB296_282
; %bb.275:                              ;   in Loop: Header=BB296_10 Depth=1
	v_bfrev_b32_e32 v115, 1
	s_mov_b32 s16, exec_lo
	v_cmpx_ne_u16_e32 0x80, v24
	s_cbranch_execz .LBB296_281
; %bb.276:                              ;   in Loop: Header=BB296_10 Depth=1
	v_and_b32_e32 v0, 0xffff, v24
	v_mov_b32_e32 v115, 0x7c010000
	s_mov_b32 s17, exec_lo
	s_delay_alu instid0(VALU_DEP_2) | instskip(NEXT) | instid1(VALU_DEP_1)
	v_and_b32_e32 v7, 0x7f, v0
	v_cmpx_ne_u32_e32 0x7f, v7
	s_cbranch_execz .LBB296_280
; %bb.277:                              ;   in Loop: Header=BB296_10 Depth=1
	v_dual_lshrrev_b32 v6, 3, v7 :: v_dual_bitop2_b32 v1, 7, v0 bitop3:0x40
	s_mov_b32 s18, exec_lo
	v_cmpx_gt_u32_e32 8, v7
; %bb.278:                              ;   in Loop: Header=BB296_10 Depth=1
	s_delay_alu instid0(VALU_DEP_2) | instskip(NEXT) | instid1(VALU_DEP_1)
	v_clz_i32_u32_e32 v1, v1
	v_min_u32_e32 v1, 32, v1
	s_delay_alu instid0(VALU_DEP_1) | instskip(NEXT) | instid1(VALU_DEP_1)
	v_subrev_nc_u32_e32 v6, 28, v1
	v_lshlrev_b64_e32 v[8:9], v6, v[24:25]
	s_delay_alu instid0(VALU_DEP_1)
	v_dual_sub_nc_u32 v6, 29, v1 :: v_dual_bitop2_b32 v1, 7, v8 bitop3:0x40
; %bb.279:                              ;   in Loop: Header=BB296_10 Depth=1
	s_or_b32 exec_lo, exec_lo, s18
	s_delay_alu instid0(VALU_DEP_1) | instskip(NEXT) | instid1(VALU_DEP_2)
	v_dual_lshlrev_b32 v0, 8, v0 :: v_dual_lshlrev_b32 v1, 23, v1
	v_lshl_add_u32 v6, v6, 10, 0x2000
	s_delay_alu instid0(VALU_DEP_1) | instskip(NEXT) | instid1(VALU_DEP_1)
	v_and_or_b32 v0, 0x8000, v0, v6
	v_lshl_or_b32 v115, v0, 16, v1
.LBB296_280:                            ;   in Loop: Header=BB296_10 Depth=1
	s_or_b32 exec_lo, exec_lo, s17
.LBB296_281:                            ;   in Loop: Header=BB296_10 Depth=1
	s_delay_alu instid0(SALU_CYCLE_1)
	s_or_b32 exec_lo, exec_lo, s16
.LBB296_282:                            ;   in Loop: Header=BB296_10 Depth=1
	s_delay_alu instid0(SALU_CYCLE_1) | instskip(SKIP_2) | instid1(VALU_DEP_1)
	s_or_b32 exec_lo, exec_lo, s15
	v_lshrrev_b32_e32 v8, 16, v4
	s_mov_b32 s15, exec_lo
	v_and_b32_e32 v0, 0xff, v8
	s_delay_alu instid0(VALU_DEP_1)
	v_cmpx_ne_u16_e32 0, v0
	s_cbranch_execz .LBB296_290
; %bb.283:                              ;   in Loop: Header=BB296_10 Depth=1
	v_mov_b32_e32 v99, 0x8000
	s_mov_b32 s16, exec_lo
	v_cmpx_ne_u16_e32 0x80, v0
	s_cbranch_execz .LBB296_289
; %bb.284:                              ;   in Loop: Header=BB296_10 Depth=1
	v_bfe_u32 v6, v4, 16, 7
	v_mov_b32_e32 v99, 0x7c01
	s_mov_b32 s17, exec_lo
	s_delay_alu instid0(VALU_DEP_2)
	v_cmpx_ne_u32_e32 0x7f, v6
	s_cbranch_execz .LBB296_288
; %bb.285:                              ;   in Loop: Header=BB296_10 Depth=1
	v_dual_lshrrev_b32 v1, 3, v6 :: v_dual_bitop2_b32 v0, 7, v8 bitop3:0x40
	s_mov_b32 s18, exec_lo
	v_cmpx_gt_u32_e32 8, v6
; %bb.286:                              ;   in Loop: Header=BB296_10 Depth=1
	s_delay_alu instid0(VALU_DEP_2) | instskip(NEXT) | instid1(VALU_DEP_1)
	v_clz_i32_u32_e32 v0, v0
	v_min_u32_e32 v6, 32, v0
	s_delay_alu instid0(VALU_DEP_1) | instskip(NEXT) | instid1(VALU_DEP_1)
	v_subrev_nc_u32_e32 v0, 28, v6
	v_lshlrev_b64_e32 v[0:1], v0, v[8:9]
	s_delay_alu instid0(VALU_DEP_1)
	v_dual_sub_nc_u32 v1, 29, v6 :: v_dual_bitop2_b32 v0, 7, v0 bitop3:0x40
; %bb.287:                              ;   in Loop: Header=BB296_10 Depth=1
	s_or_b32 exec_lo, exec_lo, s18
	v_lshlrev_b32_e32 v6, 8, v8
	s_delay_alu instid0(VALU_DEP_2) | instskip(NEXT) | instid1(VALU_DEP_3)
	v_lshl_add_u32 v1, v1, 10, 0x2000
	v_lshlrev_b32_e32 v0, 7, v0
	s_delay_alu instid0(VALU_DEP_3) | instskip(NEXT) | instid1(VALU_DEP_3)
	v_and_b32_e32 v6, 0x8000, v6
	v_and_b32_e32 v1, 0xfc00, v1
	s_delay_alu instid0(VALU_DEP_1)
	v_or3_b32 v99, v6, v1, v0
.LBB296_288:                            ;   in Loop: Header=BB296_10 Depth=1
	s_or_b32 exec_lo, exec_lo, s17
.LBB296_289:                            ;   in Loop: Header=BB296_10 Depth=1
	s_delay_alu instid0(SALU_CYCLE_1)
	s_or_b32 exec_lo, exec_lo, s16
.LBB296_290:                            ;   in Loop: Header=BB296_10 Depth=1
	s_delay_alu instid0(SALU_CYCLE_1)
	s_or_b32 exec_lo, exec_lo, s15
	v_dual_mov_b32 v117, 0 :: v_dual_mov_b32 v116, 0
	s_mov_b32 s15, exec_lo
	v_cmpx_lt_u32_e32 0xffffff, v4
	s_cbranch_execz .LBB296_298
; %bb.291:                              ;   in Loop: Header=BB296_10 Depth=1
	v_lshrrev_b32_e32 v24, 24, v4
	v_bfrev_b32_e32 v116, 1
	s_mov_b32 s16, exec_lo
	s_delay_alu instid0(VALU_DEP_2)
	v_cmpx_ne_u32_e32 0x80, v24
	s_cbranch_execz .LBB296_297
; %bb.292:                              ;   in Loop: Header=BB296_10 Depth=1
	v_and_b32_e32 v6, 0x7f, v24
	v_mov_b32_e32 v116, 0x7c010000
	s_mov_b32 s17, exec_lo
	s_delay_alu instid0(VALU_DEP_2)
	v_cmpx_ne_u32_e32 0x7f, v6
	s_cbranch_execz .LBB296_296
; %bb.293:                              ;   in Loop: Header=BB296_10 Depth=1
	v_dual_lshrrev_b32 v1, 3, v6 :: v_dual_bitop2_b32 v0, 7, v24 bitop3:0x40
	s_mov_b32 s18, exec_lo
	v_cmpx_gt_u32_e32 8, v6
; %bb.294:                              ;   in Loop: Header=BB296_10 Depth=1
	s_delay_alu instid0(VALU_DEP_2) | instskip(NEXT) | instid1(VALU_DEP_1)
	v_clz_i32_u32_e32 v0, v0
	v_min_u32_e32 v6, 32, v0
	s_delay_alu instid0(VALU_DEP_1) | instskip(NEXT) | instid1(VALU_DEP_1)
	v_subrev_nc_u32_e32 v0, 28, v6
	v_lshlrev_b64_e32 v[0:1], v0, v[24:25]
	s_delay_alu instid0(VALU_DEP_1)
	v_dual_sub_nc_u32 v1, 29, v6 :: v_dual_bitop2_b32 v0, 7, v0 bitop3:0x40
; %bb.295:                              ;   in Loop: Header=BB296_10 Depth=1
	s_or_b32 exec_lo, exec_lo, s18
	v_lshlrev_b32_e32 v6, 8, v24
	s_delay_alu instid0(VALU_DEP_2) | instskip(NEXT) | instid1(VALU_DEP_3)
	v_lshl_add_u32 v1, v1, 10, 0x2000
	v_lshlrev_b32_e32 v0, 23, v0
	s_delay_alu instid0(VALU_DEP_2) | instskip(NEXT) | instid1(VALU_DEP_1)
	v_and_or_b32 v1, 0x8000, v6, v1
	v_lshl_or_b32 v116, v1, 16, v0
.LBB296_296:                            ;   in Loop: Header=BB296_10 Depth=1
	s_or_b32 exec_lo, exec_lo, s17
.LBB296_297:                            ;   in Loop: Header=BB296_10 Depth=1
	s_delay_alu instid0(SALU_CYCLE_1)
	s_or_b32 exec_lo, exec_lo, s16
.LBB296_298:                            ;   in Loop: Header=BB296_10 Depth=1
	s_delay_alu instid0(SALU_CYCLE_1) | instskip(SKIP_3) | instid1(VALU_DEP_2)
	s_or_b32 exec_lo, exec_lo, s15
	v_and_b32_e32 v0, 0xff, v5
	v_mov_b32_e32 v24, v5
	s_mov_b32 s15, exec_lo
	v_cmpx_ne_u16_e32 0, v0
	s_cbranch_execz .LBB296_306
; %bb.299:                              ;   in Loop: Header=BB296_10 Depth=1
	v_mov_b32_e32 v117, 0x8000
	s_mov_b32 s16, exec_lo
	v_cmpx_ne_u16_e32 0x80, v0
	s_cbranch_execz .LBB296_305
; %bb.300:                              ;   in Loop: Header=BB296_10 Depth=1
	v_and_b32_e32 v6, 0x7f, v5
	v_mov_b32_e32 v117, 0x7c01
	s_mov_b32 s17, exec_lo
	s_delay_alu instid0(VALU_DEP_2)
	v_cmpx_ne_u32_e32 0x7f, v6
	s_cbranch_execz .LBB296_304
; %bb.301:                              ;   in Loop: Header=BB296_10 Depth=1
	v_dual_lshrrev_b32 v1, 3, v6 :: v_dual_bitop2_b32 v0, 7, v5 bitop3:0x40
	s_mov_b32 s18, exec_lo
	v_cmpx_gt_u32_e32 8, v6
; %bb.302:                              ;   in Loop: Header=BB296_10 Depth=1
	s_delay_alu instid0(VALU_DEP_2) | instskip(NEXT) | instid1(VALU_DEP_1)
	v_clz_i32_u32_e32 v0, v0
	v_min_u32_e32 v6, 32, v0
	s_delay_alu instid0(VALU_DEP_1) | instskip(NEXT) | instid1(VALU_DEP_1)
	v_subrev_nc_u32_e32 v0, 28, v6
	v_lshlrev_b64_e32 v[0:1], v0, v[24:25]
	s_delay_alu instid0(VALU_DEP_1)
	v_dual_sub_nc_u32 v1, 29, v6 :: v_dual_bitop2_b32 v0, 7, v0 bitop3:0x40
; %bb.303:                              ;   in Loop: Header=BB296_10 Depth=1
	s_or_b32 exec_lo, exec_lo, s18
	s_delay_alu instid0(VALU_DEP_1) | instskip(NEXT) | instid1(VALU_DEP_2)
	v_dual_lshlrev_b32 v6, 8, v5 :: v_dual_lshlrev_b32 v0, 7, v0
	v_lshl_add_u32 v1, v1, 10, 0x2000
	s_delay_alu instid0(VALU_DEP_2) | instskip(NEXT) | instid1(VALU_DEP_2)
	v_and_b32_e32 v6, 0x8000, v6
	v_and_b32_e32 v1, 0xfc00, v1
	s_delay_alu instid0(VALU_DEP_1)
	v_or3_b32 v117, v6, v1, v0
.LBB296_304:                            ;   in Loop: Header=BB296_10 Depth=1
	s_or_b32 exec_lo, exec_lo, s17
.LBB296_305:                            ;   in Loop: Header=BB296_10 Depth=1
	s_delay_alu instid0(SALU_CYCLE_1)
	s_or_b32 exec_lo, exec_lo, s16
.LBB296_306:                            ;   in Loop: Header=BB296_10 Depth=1
	s_delay_alu instid0(SALU_CYCLE_1) | instskip(SKIP_3) | instid1(VALU_DEP_2)
	s_or_b32 exec_lo, exec_lo, s15
	v_lshrrev_b16 v24, 8, v24
	v_dual_mov_b32 v43, 0 :: v_dual_mov_b32 v68, 0
	s_mov_b32 s15, exec_lo
	v_cmpx_ne_u16_e32 0, v24
	s_cbranch_execz .LBB296_314
; %bb.307:                              ;   in Loop: Header=BB296_10 Depth=1
	v_bfrev_b32_e32 v68, 1
	s_mov_b32 s16, exec_lo
	v_cmpx_ne_u16_e32 0x80, v24
	s_cbranch_execz .LBB296_313
; %bb.308:                              ;   in Loop: Header=BB296_10 Depth=1
	v_and_b32_e32 v0, 0xffff, v24
	v_mov_b32_e32 v68, 0x7c010000
	s_mov_b32 s17, exec_lo
	s_delay_alu instid0(VALU_DEP_2) | instskip(NEXT) | instid1(VALU_DEP_1)
	v_and_b32_e32 v7, 0x7f, v0
	v_cmpx_ne_u32_e32 0x7f, v7
	s_cbranch_execz .LBB296_312
; %bb.309:                              ;   in Loop: Header=BB296_10 Depth=1
	v_dual_lshrrev_b32 v6, 3, v7 :: v_dual_bitop2_b32 v1, 7, v0 bitop3:0x40
	s_mov_b32 s18, exec_lo
	v_cmpx_gt_u32_e32 8, v7
; %bb.310:                              ;   in Loop: Header=BB296_10 Depth=1
	s_delay_alu instid0(VALU_DEP_2) | instskip(NEXT) | instid1(VALU_DEP_1)
	v_clz_i32_u32_e32 v1, v1
	v_min_u32_e32 v1, 32, v1
	s_delay_alu instid0(VALU_DEP_1) | instskip(NEXT) | instid1(VALU_DEP_1)
	v_subrev_nc_u32_e32 v6, 28, v1
	v_lshlrev_b64_e32 v[8:9], v6, v[24:25]
	s_delay_alu instid0(VALU_DEP_1)
	v_dual_sub_nc_u32 v6, 29, v1 :: v_dual_bitop2_b32 v1, 7, v8 bitop3:0x40
; %bb.311:                              ;   in Loop: Header=BB296_10 Depth=1
	s_or_b32 exec_lo, exec_lo, s18
	s_delay_alu instid0(VALU_DEP_1) | instskip(NEXT) | instid1(VALU_DEP_2)
	v_dual_lshlrev_b32 v0, 8, v0 :: v_dual_lshlrev_b32 v1, 23, v1
	v_lshl_add_u32 v6, v6, 10, 0x2000
	s_delay_alu instid0(VALU_DEP_1) | instskip(NEXT) | instid1(VALU_DEP_1)
	v_and_or_b32 v0, 0x8000, v0, v6
	v_lshl_or_b32 v68, v0, 16, v1
.LBB296_312:                            ;   in Loop: Header=BB296_10 Depth=1
	s_or_b32 exec_lo, exec_lo, s17
.LBB296_313:                            ;   in Loop: Header=BB296_10 Depth=1
	s_delay_alu instid0(SALU_CYCLE_1)
	s_or_b32 exec_lo, exec_lo, s16
.LBB296_314:                            ;   in Loop: Header=BB296_10 Depth=1
	s_delay_alu instid0(SALU_CYCLE_1) | instskip(SKIP_2) | instid1(VALU_DEP_1)
	s_or_b32 exec_lo, exec_lo, s15
	v_lshrrev_b32_e32 v8, 16, v5
	s_mov_b32 s15, exec_lo
	v_and_b32_e32 v0, 0xff, v8
	s_delay_alu instid0(VALU_DEP_1)
	v_cmpx_ne_u16_e32 0, v0
	s_cbranch_execz .LBB296_322
; %bb.315:                              ;   in Loop: Header=BB296_10 Depth=1
	v_mov_b32_e32 v43, 0x8000
	s_mov_b32 s16, exec_lo
	v_cmpx_ne_u16_e32 0x80, v0
	s_cbranch_execz .LBB296_321
; %bb.316:                              ;   in Loop: Header=BB296_10 Depth=1
	v_bfe_u32 v6, v5, 16, 7
	v_mov_b32_e32 v43, 0x7c01
	s_mov_b32 s17, exec_lo
	s_delay_alu instid0(VALU_DEP_2)
	v_cmpx_ne_u32_e32 0x7f, v6
	s_cbranch_execz .LBB296_320
; %bb.317:                              ;   in Loop: Header=BB296_10 Depth=1
	v_dual_lshrrev_b32 v1, 3, v6 :: v_dual_bitop2_b32 v0, 7, v8 bitop3:0x40
	s_mov_b32 s18, exec_lo
	v_cmpx_gt_u32_e32 8, v6
; %bb.318:                              ;   in Loop: Header=BB296_10 Depth=1
	s_delay_alu instid0(VALU_DEP_2) | instskip(NEXT) | instid1(VALU_DEP_1)
	v_clz_i32_u32_e32 v0, v0
	v_min_u32_e32 v6, 32, v0
	s_delay_alu instid0(VALU_DEP_1) | instskip(NEXT) | instid1(VALU_DEP_1)
	v_subrev_nc_u32_e32 v0, 28, v6
	v_lshlrev_b64_e32 v[0:1], v0, v[8:9]
	s_delay_alu instid0(VALU_DEP_1)
	v_dual_sub_nc_u32 v1, 29, v6 :: v_dual_bitop2_b32 v0, 7, v0 bitop3:0x40
; %bb.319:                              ;   in Loop: Header=BB296_10 Depth=1
	s_or_b32 exec_lo, exec_lo, s18
	v_lshlrev_b32_e32 v6, 8, v8
	s_delay_alu instid0(VALU_DEP_2) | instskip(NEXT) | instid1(VALU_DEP_3)
	v_lshl_add_u32 v1, v1, 10, 0x2000
	v_lshlrev_b32_e32 v0, 7, v0
	s_delay_alu instid0(VALU_DEP_3) | instskip(NEXT) | instid1(VALU_DEP_3)
	v_and_b32_e32 v6, 0x8000, v6
	v_and_b32_e32 v1, 0xfc00, v1
	s_delay_alu instid0(VALU_DEP_1)
	v_or3_b32 v43, v6, v1, v0
.LBB296_320:                            ;   in Loop: Header=BB296_10 Depth=1
	s_or_b32 exec_lo, exec_lo, s17
.LBB296_321:                            ;   in Loop: Header=BB296_10 Depth=1
	s_delay_alu instid0(SALU_CYCLE_1)
	s_or_b32 exec_lo, exec_lo, s16
.LBB296_322:                            ;   in Loop: Header=BB296_10 Depth=1
	s_delay_alu instid0(SALU_CYCLE_1)
	s_or_b32 exec_lo, exec_lo, s15
	v_dual_mov_b32 v51, 0 :: v_dual_mov_b32 v70, 0
	s_mov_b32 s15, exec_lo
	v_cmpx_lt_u64_e64 s[2:3], v[4:5]
	s_cbranch_execz .LBB296_330
; %bb.323:                              ;   in Loop: Header=BB296_10 Depth=1
	v_lshrrev_b32_e32 v24, 24, v5
	v_bfrev_b32_e32 v70, 1
	s_mov_b32 s16, exec_lo
	s_delay_alu instid0(VALU_DEP_2)
	v_cmpx_ne_u32_e32 0x80, v24
	s_cbranch_execz .LBB296_329
; %bb.324:                              ;   in Loop: Header=BB296_10 Depth=1
	v_and_b32_e32 v4, 0x7f, v24
	v_mov_b32_e32 v70, 0x7c010000
	s_mov_b32 s17, exec_lo
	s_delay_alu instid0(VALU_DEP_2)
	v_cmpx_ne_u32_e32 0x7f, v4
	s_cbranch_execz .LBB296_328
; %bb.325:                              ;   in Loop: Header=BB296_10 Depth=1
	v_and_b32_e32 v0, 7, v24
	v_lshrrev_b32_e32 v1, 3, v4
	s_mov_b32 s18, exec_lo
	v_cmpx_gt_u32_e32 8, v4
; %bb.326:                              ;   in Loop: Header=BB296_10 Depth=1
	s_delay_alu instid0(VALU_DEP_3) | instskip(NEXT) | instid1(VALU_DEP_1)
	v_clz_i32_u32_e32 v0, v0
	v_min_u32_e32 v4, 32, v0
	s_delay_alu instid0(VALU_DEP_1) | instskip(NEXT) | instid1(VALU_DEP_1)
	v_subrev_nc_u32_e32 v0, 28, v4
	v_lshlrev_b64_e32 v[0:1], v0, v[24:25]
	v_sub_nc_u32_e32 v1, 29, v4
	s_delay_alu instid0(VALU_DEP_2)
	v_and_b32_e32 v0, 7, v0
; %bb.327:                              ;   in Loop: Header=BB296_10 Depth=1
	s_or_b32 exec_lo, exec_lo, s18
	v_lshlrev_b32_e32 v4, 8, v24
	s_delay_alu instid0(VALU_DEP_3) | instskip(NEXT) | instid1(VALU_DEP_3)
	v_lshl_add_u32 v1, v1, 10, 0x2000
	v_lshlrev_b32_e32 v0, 23, v0
	s_delay_alu instid0(VALU_DEP_2) | instskip(NEXT) | instid1(VALU_DEP_1)
	v_and_or_b32 v1, 0x8000, v4, v1
	v_lshl_or_b32 v70, v1, 16, v0
.LBB296_328:                            ;   in Loop: Header=BB296_10 Depth=1
	s_or_b32 exec_lo, exec_lo, s17
.LBB296_329:                            ;   in Loop: Header=BB296_10 Depth=1
	s_delay_alu instid0(SALU_CYCLE_1)
	s_or_b32 exec_lo, exec_lo, s16
.LBB296_330:                            ;   in Loop: Header=BB296_10 Depth=1
	s_delay_alu instid0(SALU_CYCLE_1)
	s_or_b32 exec_lo, exec_lo, s15
	flat_load_b64 v[4:5], v[2:3] offset:1032
	s_mov_b32 s15, exec_lo
	s_wait_loadcnt_dscnt 0x0
	v_and_b32_e32 v0, 0xff, v4
	s_wait_xcnt 0x0
	s_delay_alu instid0(VALU_DEP_1)
	v_cmpx_ne_u16_e32 0, v0
	s_cbranch_execz .LBB296_338
; %bb.331:                              ;   in Loop: Header=BB296_10 Depth=1
	v_mov_b32_e32 v51, 0x8000
	s_mov_b32 s16, exec_lo
	v_cmpx_ne_u16_e32 0x80, v0
	s_cbranch_execz .LBB296_337
; %bb.332:                              ;   in Loop: Header=BB296_10 Depth=1
	v_and_b32_e32 v6, 0x7f, v4
	v_mov_b32_e32 v51, 0x7c01
	s_mov_b32 s17, exec_lo
	s_delay_alu instid0(VALU_DEP_2)
	v_cmpx_ne_u32_e32 0x7f, v6
	s_cbranch_execz .LBB296_336
; %bb.333:                              ;   in Loop: Header=BB296_10 Depth=1
	v_dual_lshrrev_b32 v1, 3, v6 :: v_dual_bitop2_b32 v0, 7, v4 bitop3:0x40
	s_mov_b32 s18, exec_lo
	v_cmpx_gt_u32_e32 8, v6
; %bb.334:                              ;   in Loop: Header=BB296_10 Depth=1
	s_delay_alu instid0(VALU_DEP_2) | instskip(NEXT) | instid1(VALU_DEP_1)
	v_clz_i32_u32_e32 v0, v0
	v_min_u32_e32 v6, 32, v0
	s_delay_alu instid0(VALU_DEP_1) | instskip(NEXT) | instid1(VALU_DEP_1)
	v_subrev_nc_u32_e32 v0, 28, v6
	v_lshlrev_b64_e32 v[0:1], v0, v[4:5]
	s_delay_alu instid0(VALU_DEP_1)
	v_dual_sub_nc_u32 v1, 29, v6 :: v_dual_bitop2_b32 v0, 7, v0 bitop3:0x40
; %bb.335:                              ;   in Loop: Header=BB296_10 Depth=1
	s_or_b32 exec_lo, exec_lo, s18
	v_lshlrev_b32_e32 v6, 8, v4
	s_delay_alu instid0(VALU_DEP_2) | instskip(NEXT) | instid1(VALU_DEP_3)
	v_lshl_add_u32 v1, v1, 10, 0x2000
	v_lshlrev_b32_e32 v0, 7, v0
	s_delay_alu instid0(VALU_DEP_3) | instskip(NEXT) | instid1(VALU_DEP_3)
	v_and_b32_e32 v6, 0x8000, v6
	v_and_b32_e32 v1, 0xfc00, v1
	s_delay_alu instid0(VALU_DEP_1)
	v_or3_b32 v51, v6, v1, v0
.LBB296_336:                            ;   in Loop: Header=BB296_10 Depth=1
	s_or_b32 exec_lo, exec_lo, s17
.LBB296_337:                            ;   in Loop: Header=BB296_10 Depth=1
	s_delay_alu instid0(SALU_CYCLE_1)
	s_or_b32 exec_lo, exec_lo, s16
.LBB296_338:                            ;   in Loop: Header=BB296_10 Depth=1
	s_delay_alu instid0(SALU_CYCLE_1) | instskip(SKIP_3) | instid1(VALU_DEP_2)
	s_or_b32 exec_lo, exec_lo, s15
	v_lshrrev_b16 v24, 8, v4
	v_dual_mov_b32 v46, 0 :: v_dual_mov_b32 v42, 0
	s_mov_b32 s15, exec_lo
	v_cmpx_ne_u16_e32 0, v24
	s_cbranch_execz .LBB296_346
; %bb.339:                              ;   in Loop: Header=BB296_10 Depth=1
	v_bfrev_b32_e32 v42, 1
	s_mov_b32 s16, exec_lo
	v_cmpx_ne_u16_e32 0x80, v24
	s_cbranch_execz .LBB296_345
; %bb.340:                              ;   in Loop: Header=BB296_10 Depth=1
	v_and_b32_e32 v0, 0xffff, v24
	v_mov_b32_e32 v42, 0x7c010000
	s_mov_b32 s17, exec_lo
	s_delay_alu instid0(VALU_DEP_2) | instskip(NEXT) | instid1(VALU_DEP_1)
	v_and_b32_e32 v7, 0x7f, v0
	v_cmpx_ne_u32_e32 0x7f, v7
	s_cbranch_execz .LBB296_344
; %bb.341:                              ;   in Loop: Header=BB296_10 Depth=1
	v_dual_lshrrev_b32 v6, 3, v7 :: v_dual_bitop2_b32 v1, 7, v0 bitop3:0x40
	s_mov_b32 s18, exec_lo
	v_cmpx_gt_u32_e32 8, v7
; %bb.342:                              ;   in Loop: Header=BB296_10 Depth=1
	s_delay_alu instid0(VALU_DEP_2) | instskip(NEXT) | instid1(VALU_DEP_1)
	v_clz_i32_u32_e32 v1, v1
	v_min_u32_e32 v1, 32, v1
	s_delay_alu instid0(VALU_DEP_1) | instskip(NEXT) | instid1(VALU_DEP_1)
	v_subrev_nc_u32_e32 v6, 28, v1
	v_lshlrev_b64_e32 v[8:9], v6, v[24:25]
	s_delay_alu instid0(VALU_DEP_1)
	v_dual_sub_nc_u32 v6, 29, v1 :: v_dual_bitop2_b32 v1, 7, v8 bitop3:0x40
; %bb.343:                              ;   in Loop: Header=BB296_10 Depth=1
	s_or_b32 exec_lo, exec_lo, s18
	s_delay_alu instid0(VALU_DEP_1) | instskip(NEXT) | instid1(VALU_DEP_2)
	v_dual_lshlrev_b32 v0, 8, v0 :: v_dual_lshlrev_b32 v1, 23, v1
	v_lshl_add_u32 v6, v6, 10, 0x2000
	s_delay_alu instid0(VALU_DEP_1) | instskip(NEXT) | instid1(VALU_DEP_1)
	v_and_or_b32 v0, 0x8000, v0, v6
	v_lshl_or_b32 v42, v0, 16, v1
.LBB296_344:                            ;   in Loop: Header=BB296_10 Depth=1
	s_or_b32 exec_lo, exec_lo, s17
.LBB296_345:                            ;   in Loop: Header=BB296_10 Depth=1
	s_delay_alu instid0(SALU_CYCLE_1)
	s_or_b32 exec_lo, exec_lo, s16
.LBB296_346:                            ;   in Loop: Header=BB296_10 Depth=1
	s_delay_alu instid0(SALU_CYCLE_1) | instskip(SKIP_2) | instid1(VALU_DEP_1)
	s_or_b32 exec_lo, exec_lo, s15
	v_lshrrev_b32_e32 v8, 16, v4
	s_mov_b32 s15, exec_lo
	v_and_b32_e32 v0, 0xff, v8
	s_delay_alu instid0(VALU_DEP_1)
	v_cmpx_ne_u16_e32 0, v0
	s_cbranch_execz .LBB296_354
; %bb.347:                              ;   in Loop: Header=BB296_10 Depth=1
	v_mov_b32_e32 v46, 0x8000
	s_mov_b32 s16, exec_lo
	v_cmpx_ne_u16_e32 0x80, v0
	s_cbranch_execz .LBB296_353
; %bb.348:                              ;   in Loop: Header=BB296_10 Depth=1
	v_bfe_u32 v6, v4, 16, 7
	v_mov_b32_e32 v46, 0x7c01
	s_mov_b32 s17, exec_lo
	s_delay_alu instid0(VALU_DEP_2)
	v_cmpx_ne_u32_e32 0x7f, v6
	s_cbranch_execz .LBB296_352
; %bb.349:                              ;   in Loop: Header=BB296_10 Depth=1
	v_dual_lshrrev_b32 v1, 3, v6 :: v_dual_bitop2_b32 v0, 7, v8 bitop3:0x40
	s_mov_b32 s18, exec_lo
	v_cmpx_gt_u32_e32 8, v6
; %bb.350:                              ;   in Loop: Header=BB296_10 Depth=1
	s_delay_alu instid0(VALU_DEP_2) | instskip(NEXT) | instid1(VALU_DEP_1)
	v_clz_i32_u32_e32 v0, v0
	v_min_u32_e32 v6, 32, v0
	s_delay_alu instid0(VALU_DEP_1) | instskip(NEXT) | instid1(VALU_DEP_1)
	v_subrev_nc_u32_e32 v0, 28, v6
	v_lshlrev_b64_e32 v[0:1], v0, v[8:9]
	s_delay_alu instid0(VALU_DEP_1)
	v_dual_sub_nc_u32 v1, 29, v6 :: v_dual_bitop2_b32 v0, 7, v0 bitop3:0x40
; %bb.351:                              ;   in Loop: Header=BB296_10 Depth=1
	s_or_b32 exec_lo, exec_lo, s18
	v_lshlrev_b32_e32 v6, 8, v8
	s_delay_alu instid0(VALU_DEP_2) | instskip(NEXT) | instid1(VALU_DEP_3)
	v_lshl_add_u32 v1, v1, 10, 0x2000
	v_lshlrev_b32_e32 v0, 7, v0
	s_delay_alu instid0(VALU_DEP_3) | instskip(NEXT) | instid1(VALU_DEP_3)
	v_and_b32_e32 v6, 0x8000, v6
	v_and_b32_e32 v1, 0xfc00, v1
	s_delay_alu instid0(VALU_DEP_1)
	v_or3_b32 v46, v6, v1, v0
.LBB296_352:                            ;   in Loop: Header=BB296_10 Depth=1
	s_or_b32 exec_lo, exec_lo, s17
.LBB296_353:                            ;   in Loop: Header=BB296_10 Depth=1
	s_delay_alu instid0(SALU_CYCLE_1)
	s_or_b32 exec_lo, exec_lo, s16
.LBB296_354:                            ;   in Loop: Header=BB296_10 Depth=1
	s_delay_alu instid0(SALU_CYCLE_1)
	s_or_b32 exec_lo, exec_lo, s15
	v_dual_mov_b32 v67, 0 :: v_dual_mov_b32 v47, 0
	s_mov_b32 s15, exec_lo
	v_cmpx_lt_u32_e32 0xffffff, v4
	s_cbranch_execz .LBB296_362
; %bb.355:                              ;   in Loop: Header=BB296_10 Depth=1
	v_lshrrev_b32_e32 v24, 24, v4
	v_bfrev_b32_e32 v47, 1
	s_mov_b32 s16, exec_lo
	s_delay_alu instid0(VALU_DEP_2)
	v_cmpx_ne_u32_e32 0x80, v24
	s_cbranch_execz .LBB296_361
; %bb.356:                              ;   in Loop: Header=BB296_10 Depth=1
	v_and_b32_e32 v6, 0x7f, v24
	v_mov_b32_e32 v47, 0x7c010000
	s_mov_b32 s17, exec_lo
	s_delay_alu instid0(VALU_DEP_2)
	v_cmpx_ne_u32_e32 0x7f, v6
	s_cbranch_execz .LBB296_360
; %bb.357:                              ;   in Loop: Header=BB296_10 Depth=1
	v_dual_lshrrev_b32 v1, 3, v6 :: v_dual_bitop2_b32 v0, 7, v24 bitop3:0x40
	s_mov_b32 s18, exec_lo
	v_cmpx_gt_u32_e32 8, v6
; %bb.358:                              ;   in Loop: Header=BB296_10 Depth=1
	s_delay_alu instid0(VALU_DEP_2) | instskip(NEXT) | instid1(VALU_DEP_1)
	v_clz_i32_u32_e32 v0, v0
	v_min_u32_e32 v6, 32, v0
	s_delay_alu instid0(VALU_DEP_1) | instskip(NEXT) | instid1(VALU_DEP_1)
	v_subrev_nc_u32_e32 v0, 28, v6
	v_lshlrev_b64_e32 v[0:1], v0, v[24:25]
	s_delay_alu instid0(VALU_DEP_1)
	v_dual_sub_nc_u32 v1, 29, v6 :: v_dual_bitop2_b32 v0, 7, v0 bitop3:0x40
; %bb.359:                              ;   in Loop: Header=BB296_10 Depth=1
	s_or_b32 exec_lo, exec_lo, s18
	v_lshlrev_b32_e32 v6, 8, v24
	s_delay_alu instid0(VALU_DEP_2) | instskip(NEXT) | instid1(VALU_DEP_3)
	v_lshl_add_u32 v1, v1, 10, 0x2000
	v_lshlrev_b32_e32 v0, 23, v0
	s_delay_alu instid0(VALU_DEP_2) | instskip(NEXT) | instid1(VALU_DEP_1)
	v_and_or_b32 v1, 0x8000, v6, v1
	v_lshl_or_b32 v47, v1, 16, v0
.LBB296_360:                            ;   in Loop: Header=BB296_10 Depth=1
	s_or_b32 exec_lo, exec_lo, s17
.LBB296_361:                            ;   in Loop: Header=BB296_10 Depth=1
	s_delay_alu instid0(SALU_CYCLE_1)
	s_or_b32 exec_lo, exec_lo, s16
.LBB296_362:                            ;   in Loop: Header=BB296_10 Depth=1
	s_delay_alu instid0(SALU_CYCLE_1) | instskip(SKIP_3) | instid1(VALU_DEP_2)
	s_or_b32 exec_lo, exec_lo, s15
	v_and_b32_e32 v0, 0xff, v5
	v_mov_b32_e32 v24, v5
	s_mov_b32 s15, exec_lo
	v_cmpx_ne_u16_e32 0, v0
	s_cbranch_execz .LBB296_370
; %bb.363:                              ;   in Loop: Header=BB296_10 Depth=1
	v_mov_b32_e32 v67, 0x8000
	s_mov_b32 s16, exec_lo
	v_cmpx_ne_u16_e32 0x80, v0
	s_cbranch_execz .LBB296_369
; %bb.364:                              ;   in Loop: Header=BB296_10 Depth=1
	v_and_b32_e32 v6, 0x7f, v5
	v_mov_b32_e32 v67, 0x7c01
	s_mov_b32 s17, exec_lo
	s_delay_alu instid0(VALU_DEP_2)
	v_cmpx_ne_u32_e32 0x7f, v6
	s_cbranch_execz .LBB296_368
; %bb.365:                              ;   in Loop: Header=BB296_10 Depth=1
	v_dual_lshrrev_b32 v1, 3, v6 :: v_dual_bitop2_b32 v0, 7, v5 bitop3:0x40
	s_mov_b32 s18, exec_lo
	v_cmpx_gt_u32_e32 8, v6
; %bb.366:                              ;   in Loop: Header=BB296_10 Depth=1
	s_delay_alu instid0(VALU_DEP_2) | instskip(NEXT) | instid1(VALU_DEP_1)
	v_clz_i32_u32_e32 v0, v0
	v_min_u32_e32 v6, 32, v0
	s_delay_alu instid0(VALU_DEP_1) | instskip(NEXT) | instid1(VALU_DEP_1)
	v_subrev_nc_u32_e32 v0, 28, v6
	v_lshlrev_b64_e32 v[0:1], v0, v[24:25]
	s_delay_alu instid0(VALU_DEP_1)
	v_dual_sub_nc_u32 v1, 29, v6 :: v_dual_bitop2_b32 v0, 7, v0 bitop3:0x40
; %bb.367:                              ;   in Loop: Header=BB296_10 Depth=1
	s_or_b32 exec_lo, exec_lo, s18
	s_delay_alu instid0(VALU_DEP_1) | instskip(NEXT) | instid1(VALU_DEP_2)
	v_dual_lshlrev_b32 v6, 8, v5 :: v_dual_lshlrev_b32 v0, 7, v0
	v_lshl_add_u32 v1, v1, 10, 0x2000
	s_delay_alu instid0(VALU_DEP_2) | instskip(NEXT) | instid1(VALU_DEP_2)
	v_and_b32_e32 v6, 0x8000, v6
	v_and_b32_e32 v1, 0xfc00, v1
	s_delay_alu instid0(VALU_DEP_1)
	v_or3_b32 v67, v6, v1, v0
.LBB296_368:                            ;   in Loop: Header=BB296_10 Depth=1
	s_or_b32 exec_lo, exec_lo, s17
.LBB296_369:                            ;   in Loop: Header=BB296_10 Depth=1
	s_delay_alu instid0(SALU_CYCLE_1)
	s_or_b32 exec_lo, exec_lo, s16
.LBB296_370:                            ;   in Loop: Header=BB296_10 Depth=1
	s_delay_alu instid0(SALU_CYCLE_1) | instskip(SKIP_3) | instid1(VALU_DEP_2)
	s_or_b32 exec_lo, exec_lo, s15
	v_lshrrev_b16 v24, 8, v24
	v_dual_mov_b32 v57, 0 :: v_dual_mov_b32 v60, 0
	s_mov_b32 s15, exec_lo
	v_cmpx_ne_u16_e32 0, v24
	s_cbranch_execz .LBB296_378
; %bb.371:                              ;   in Loop: Header=BB296_10 Depth=1
	v_bfrev_b32_e32 v60, 1
	s_mov_b32 s16, exec_lo
	v_cmpx_ne_u16_e32 0x80, v24
	s_cbranch_execz .LBB296_377
; %bb.372:                              ;   in Loop: Header=BB296_10 Depth=1
	v_and_b32_e32 v0, 0xffff, v24
	v_mov_b32_e32 v60, 0x7c010000
	s_mov_b32 s17, exec_lo
	s_delay_alu instid0(VALU_DEP_2) | instskip(NEXT) | instid1(VALU_DEP_1)
	v_and_b32_e32 v7, 0x7f, v0
	v_cmpx_ne_u32_e32 0x7f, v7
	s_cbranch_execz .LBB296_376
; %bb.373:                              ;   in Loop: Header=BB296_10 Depth=1
	v_dual_lshrrev_b32 v6, 3, v7 :: v_dual_bitop2_b32 v1, 7, v0 bitop3:0x40
	s_mov_b32 s18, exec_lo
	v_cmpx_gt_u32_e32 8, v7
; %bb.374:                              ;   in Loop: Header=BB296_10 Depth=1
	s_delay_alu instid0(VALU_DEP_2) | instskip(NEXT) | instid1(VALU_DEP_1)
	v_clz_i32_u32_e32 v1, v1
	v_min_u32_e32 v1, 32, v1
	s_delay_alu instid0(VALU_DEP_1) | instskip(NEXT) | instid1(VALU_DEP_1)
	v_subrev_nc_u32_e32 v6, 28, v1
	v_lshlrev_b64_e32 v[8:9], v6, v[24:25]
	s_delay_alu instid0(VALU_DEP_1)
	v_dual_sub_nc_u32 v6, 29, v1 :: v_dual_bitop2_b32 v1, 7, v8 bitop3:0x40
; %bb.375:                              ;   in Loop: Header=BB296_10 Depth=1
	s_or_b32 exec_lo, exec_lo, s18
	s_delay_alu instid0(VALU_DEP_1) | instskip(NEXT) | instid1(VALU_DEP_2)
	v_dual_lshlrev_b32 v0, 8, v0 :: v_dual_lshlrev_b32 v1, 23, v1
	v_lshl_add_u32 v6, v6, 10, 0x2000
	s_delay_alu instid0(VALU_DEP_1) | instskip(NEXT) | instid1(VALU_DEP_1)
	v_and_or_b32 v0, 0x8000, v0, v6
	v_lshl_or_b32 v60, v0, 16, v1
.LBB296_376:                            ;   in Loop: Header=BB296_10 Depth=1
	s_or_b32 exec_lo, exec_lo, s17
.LBB296_377:                            ;   in Loop: Header=BB296_10 Depth=1
	s_delay_alu instid0(SALU_CYCLE_1)
	s_or_b32 exec_lo, exec_lo, s16
.LBB296_378:                            ;   in Loop: Header=BB296_10 Depth=1
	s_delay_alu instid0(SALU_CYCLE_1) | instskip(SKIP_2) | instid1(VALU_DEP_1)
	s_or_b32 exec_lo, exec_lo, s15
	v_lshrrev_b32_e32 v8, 16, v5
	s_mov_b32 s15, exec_lo
	v_and_b32_e32 v0, 0xff, v8
	s_delay_alu instid0(VALU_DEP_1)
	v_cmpx_ne_u16_e32 0, v0
	s_cbranch_execz .LBB296_386
; %bb.379:                              ;   in Loop: Header=BB296_10 Depth=1
	v_mov_b32_e32 v57, 0x8000
	s_mov_b32 s16, exec_lo
	v_cmpx_ne_u16_e32 0x80, v0
	s_cbranch_execz .LBB296_385
; %bb.380:                              ;   in Loop: Header=BB296_10 Depth=1
	v_bfe_u32 v6, v5, 16, 7
	v_mov_b32_e32 v57, 0x7c01
	s_mov_b32 s17, exec_lo
	s_delay_alu instid0(VALU_DEP_2)
	v_cmpx_ne_u32_e32 0x7f, v6
	s_cbranch_execz .LBB296_384
; %bb.381:                              ;   in Loop: Header=BB296_10 Depth=1
	v_dual_lshrrev_b32 v1, 3, v6 :: v_dual_bitop2_b32 v0, 7, v8 bitop3:0x40
	s_mov_b32 s18, exec_lo
	v_cmpx_gt_u32_e32 8, v6
; %bb.382:                              ;   in Loop: Header=BB296_10 Depth=1
	s_delay_alu instid0(VALU_DEP_2) | instskip(NEXT) | instid1(VALU_DEP_1)
	v_clz_i32_u32_e32 v0, v0
	v_min_u32_e32 v6, 32, v0
	s_delay_alu instid0(VALU_DEP_1) | instskip(NEXT) | instid1(VALU_DEP_1)
	v_subrev_nc_u32_e32 v0, 28, v6
	v_lshlrev_b64_e32 v[0:1], v0, v[8:9]
	s_delay_alu instid0(VALU_DEP_1)
	v_dual_sub_nc_u32 v1, 29, v6 :: v_dual_bitop2_b32 v0, 7, v0 bitop3:0x40
; %bb.383:                              ;   in Loop: Header=BB296_10 Depth=1
	s_or_b32 exec_lo, exec_lo, s18
	v_lshlrev_b32_e32 v6, 8, v8
	s_delay_alu instid0(VALU_DEP_2) | instskip(NEXT) | instid1(VALU_DEP_3)
	v_lshl_add_u32 v1, v1, 10, 0x2000
	v_lshlrev_b32_e32 v0, 7, v0
	s_delay_alu instid0(VALU_DEP_3) | instskip(NEXT) | instid1(VALU_DEP_3)
	v_and_b32_e32 v6, 0x8000, v6
	v_and_b32_e32 v1, 0xfc00, v1
	s_delay_alu instid0(VALU_DEP_1)
	v_or3_b32 v57, v6, v1, v0
.LBB296_384:                            ;   in Loop: Header=BB296_10 Depth=1
	s_or_b32 exec_lo, exec_lo, s17
.LBB296_385:                            ;   in Loop: Header=BB296_10 Depth=1
	s_delay_alu instid0(SALU_CYCLE_1)
	s_or_b32 exec_lo, exec_lo, s16
.LBB296_386:                            ;   in Loop: Header=BB296_10 Depth=1
	s_delay_alu instid0(SALU_CYCLE_1)
	s_or_b32 exec_lo, exec_lo, s15
	v_dual_mov_b32 v59, 0 :: v_dual_mov_b32 v105, 0
	s_mov_b32 s15, exec_lo
	v_cmpx_lt_u64_e64 s[2:3], v[4:5]
	s_cbranch_execz .LBB296_394
; %bb.387:                              ;   in Loop: Header=BB296_10 Depth=1
	v_lshrrev_b32_e32 v24, 24, v5
	v_bfrev_b32_e32 v105, 1
	s_mov_b32 s16, exec_lo
	s_delay_alu instid0(VALU_DEP_2)
	v_cmpx_ne_u32_e32 0x80, v24
	s_cbranch_execz .LBB296_393
; %bb.388:                              ;   in Loop: Header=BB296_10 Depth=1
	v_and_b32_e32 v4, 0x7f, v24
	v_mov_b32_e32 v105, 0x7c010000
	s_mov_b32 s17, exec_lo
	s_delay_alu instid0(VALU_DEP_2)
	v_cmpx_ne_u32_e32 0x7f, v4
	s_cbranch_execz .LBB296_392
; %bb.389:                              ;   in Loop: Header=BB296_10 Depth=1
	v_and_b32_e32 v0, 7, v24
	v_lshrrev_b32_e32 v1, 3, v4
	s_mov_b32 s18, exec_lo
	v_cmpx_gt_u32_e32 8, v4
; %bb.390:                              ;   in Loop: Header=BB296_10 Depth=1
	s_delay_alu instid0(VALU_DEP_3) | instskip(NEXT) | instid1(VALU_DEP_1)
	v_clz_i32_u32_e32 v0, v0
	v_min_u32_e32 v4, 32, v0
	s_delay_alu instid0(VALU_DEP_1) | instskip(NEXT) | instid1(VALU_DEP_1)
	v_subrev_nc_u32_e32 v0, 28, v4
	v_lshlrev_b64_e32 v[0:1], v0, v[24:25]
	v_sub_nc_u32_e32 v1, 29, v4
	s_delay_alu instid0(VALU_DEP_2)
	v_and_b32_e32 v0, 7, v0
; %bb.391:                              ;   in Loop: Header=BB296_10 Depth=1
	s_or_b32 exec_lo, exec_lo, s18
	v_lshlrev_b32_e32 v4, 8, v24
	s_delay_alu instid0(VALU_DEP_3) | instskip(NEXT) | instid1(VALU_DEP_3)
	v_lshl_add_u32 v1, v1, 10, 0x2000
	v_lshlrev_b32_e32 v0, 23, v0
	s_delay_alu instid0(VALU_DEP_2) | instskip(NEXT) | instid1(VALU_DEP_1)
	v_and_or_b32 v1, 0x8000, v4, v1
	v_lshl_or_b32 v105, v1, 16, v0
.LBB296_392:                            ;   in Loop: Header=BB296_10 Depth=1
	s_or_b32 exec_lo, exec_lo, s17
.LBB296_393:                            ;   in Loop: Header=BB296_10 Depth=1
	s_delay_alu instid0(SALU_CYCLE_1)
	s_or_b32 exec_lo, exec_lo, s16
.LBB296_394:                            ;   in Loop: Header=BB296_10 Depth=1
	s_delay_alu instid0(SALU_CYCLE_1)
	s_or_b32 exec_lo, exec_lo, s15
	flat_load_b64 v[4:5], v[2:3] offset:1536
	s_mov_b32 s15, exec_lo
	s_wait_loadcnt_dscnt 0x0
	v_and_b32_e32 v0, 0xff, v4
	s_wait_xcnt 0x0
	s_delay_alu instid0(VALU_DEP_1)
	v_cmpx_ne_u16_e32 0, v0
	s_cbranch_execz .LBB296_402
; %bb.395:                              ;   in Loop: Header=BB296_10 Depth=1
	v_mov_b32_e32 v59, 0x8000
	s_mov_b32 s16, exec_lo
	v_cmpx_ne_u16_e32 0x80, v0
	s_cbranch_execz .LBB296_401
; %bb.396:                              ;   in Loop: Header=BB296_10 Depth=1
	v_and_b32_e32 v6, 0x7f, v4
	v_mov_b32_e32 v59, 0x7c01
	s_mov_b32 s17, exec_lo
	s_delay_alu instid0(VALU_DEP_2)
	v_cmpx_ne_u32_e32 0x7f, v6
	s_cbranch_execz .LBB296_400
; %bb.397:                              ;   in Loop: Header=BB296_10 Depth=1
	v_dual_lshrrev_b32 v1, 3, v6 :: v_dual_bitop2_b32 v0, 7, v4 bitop3:0x40
	s_mov_b32 s18, exec_lo
	v_cmpx_gt_u32_e32 8, v6
; %bb.398:                              ;   in Loop: Header=BB296_10 Depth=1
	s_delay_alu instid0(VALU_DEP_2) | instskip(NEXT) | instid1(VALU_DEP_1)
	v_clz_i32_u32_e32 v0, v0
	v_min_u32_e32 v6, 32, v0
	s_delay_alu instid0(VALU_DEP_1) | instskip(NEXT) | instid1(VALU_DEP_1)
	v_subrev_nc_u32_e32 v0, 28, v6
	v_lshlrev_b64_e32 v[0:1], v0, v[4:5]
	s_delay_alu instid0(VALU_DEP_1)
	v_dual_sub_nc_u32 v1, 29, v6 :: v_dual_bitop2_b32 v0, 7, v0 bitop3:0x40
; %bb.399:                              ;   in Loop: Header=BB296_10 Depth=1
	s_or_b32 exec_lo, exec_lo, s18
	v_lshlrev_b32_e32 v6, 8, v4
	s_delay_alu instid0(VALU_DEP_2) | instskip(NEXT) | instid1(VALU_DEP_3)
	v_lshl_add_u32 v1, v1, 10, 0x2000
	v_lshlrev_b32_e32 v0, 7, v0
	s_delay_alu instid0(VALU_DEP_3) | instskip(NEXT) | instid1(VALU_DEP_3)
	v_and_b32_e32 v6, 0x8000, v6
	v_and_b32_e32 v1, 0xfc00, v1
	s_delay_alu instid0(VALU_DEP_1)
	v_or3_b32 v59, v6, v1, v0
.LBB296_400:                            ;   in Loop: Header=BB296_10 Depth=1
	s_or_b32 exec_lo, exec_lo, s17
.LBB296_401:                            ;   in Loop: Header=BB296_10 Depth=1
	s_delay_alu instid0(SALU_CYCLE_1)
	s_or_b32 exec_lo, exec_lo, s16
.LBB296_402:                            ;   in Loop: Header=BB296_10 Depth=1
	s_delay_alu instid0(SALU_CYCLE_1) | instskip(SKIP_3) | instid1(VALU_DEP_2)
	s_or_b32 exec_lo, exec_lo, s15
	v_lshrrev_b16 v24, 8, v4
	v_dual_mov_b32 v77, 0 :: v_dual_mov_b32 v81, 0
	s_mov_b32 s15, exec_lo
	v_cmpx_ne_u16_e32 0, v24
	s_cbranch_execz .LBB296_410
; %bb.403:                              ;   in Loop: Header=BB296_10 Depth=1
	v_bfrev_b32_e32 v81, 1
	s_mov_b32 s16, exec_lo
	v_cmpx_ne_u16_e32 0x80, v24
	s_cbranch_execz .LBB296_409
; %bb.404:                              ;   in Loop: Header=BB296_10 Depth=1
	v_and_b32_e32 v0, 0xffff, v24
	v_mov_b32_e32 v81, 0x7c010000
	s_mov_b32 s17, exec_lo
	s_delay_alu instid0(VALU_DEP_2) | instskip(NEXT) | instid1(VALU_DEP_1)
	v_and_b32_e32 v7, 0x7f, v0
	v_cmpx_ne_u32_e32 0x7f, v7
	s_cbranch_execz .LBB296_408
; %bb.405:                              ;   in Loop: Header=BB296_10 Depth=1
	v_dual_lshrrev_b32 v6, 3, v7 :: v_dual_bitop2_b32 v1, 7, v0 bitop3:0x40
	s_mov_b32 s18, exec_lo
	v_cmpx_gt_u32_e32 8, v7
; %bb.406:                              ;   in Loop: Header=BB296_10 Depth=1
	s_delay_alu instid0(VALU_DEP_2) | instskip(NEXT) | instid1(VALU_DEP_1)
	v_clz_i32_u32_e32 v1, v1
	v_min_u32_e32 v1, 32, v1
	s_delay_alu instid0(VALU_DEP_1) | instskip(NEXT) | instid1(VALU_DEP_1)
	v_subrev_nc_u32_e32 v6, 28, v1
	v_lshlrev_b64_e32 v[8:9], v6, v[24:25]
	s_delay_alu instid0(VALU_DEP_1)
	v_dual_sub_nc_u32 v6, 29, v1 :: v_dual_bitop2_b32 v1, 7, v8 bitop3:0x40
; %bb.407:                              ;   in Loop: Header=BB296_10 Depth=1
	s_or_b32 exec_lo, exec_lo, s18
	s_delay_alu instid0(VALU_DEP_1) | instskip(NEXT) | instid1(VALU_DEP_2)
	v_dual_lshlrev_b32 v0, 8, v0 :: v_dual_lshlrev_b32 v1, 23, v1
	v_lshl_add_u32 v6, v6, 10, 0x2000
	s_delay_alu instid0(VALU_DEP_1) | instskip(NEXT) | instid1(VALU_DEP_1)
	v_and_or_b32 v0, 0x8000, v0, v6
	v_lshl_or_b32 v81, v0, 16, v1
.LBB296_408:                            ;   in Loop: Header=BB296_10 Depth=1
	s_or_b32 exec_lo, exec_lo, s17
.LBB296_409:                            ;   in Loop: Header=BB296_10 Depth=1
	s_delay_alu instid0(SALU_CYCLE_1)
	s_or_b32 exec_lo, exec_lo, s16
.LBB296_410:                            ;   in Loop: Header=BB296_10 Depth=1
	s_delay_alu instid0(SALU_CYCLE_1) | instskip(SKIP_2) | instid1(VALU_DEP_1)
	s_or_b32 exec_lo, exec_lo, s15
	v_lshrrev_b32_e32 v8, 16, v4
	s_mov_b32 s15, exec_lo
	v_and_b32_e32 v0, 0xff, v8
	s_delay_alu instid0(VALU_DEP_1)
	v_cmpx_ne_u16_e32 0, v0
	s_cbranch_execz .LBB296_418
; %bb.411:                              ;   in Loop: Header=BB296_10 Depth=1
	v_mov_b32_e32 v77, 0x8000
	s_mov_b32 s16, exec_lo
	v_cmpx_ne_u16_e32 0x80, v0
	s_cbranch_execz .LBB296_417
; %bb.412:                              ;   in Loop: Header=BB296_10 Depth=1
	v_bfe_u32 v6, v4, 16, 7
	v_mov_b32_e32 v77, 0x7c01
	s_mov_b32 s17, exec_lo
	s_delay_alu instid0(VALU_DEP_2)
	v_cmpx_ne_u32_e32 0x7f, v6
	s_cbranch_execz .LBB296_416
; %bb.413:                              ;   in Loop: Header=BB296_10 Depth=1
	v_dual_lshrrev_b32 v1, 3, v6 :: v_dual_bitop2_b32 v0, 7, v8 bitop3:0x40
	s_mov_b32 s18, exec_lo
	v_cmpx_gt_u32_e32 8, v6
; %bb.414:                              ;   in Loop: Header=BB296_10 Depth=1
	s_delay_alu instid0(VALU_DEP_2) | instskip(NEXT) | instid1(VALU_DEP_1)
	v_clz_i32_u32_e32 v0, v0
	v_min_u32_e32 v6, 32, v0
	s_delay_alu instid0(VALU_DEP_1) | instskip(NEXT) | instid1(VALU_DEP_1)
	v_subrev_nc_u32_e32 v0, 28, v6
	v_lshlrev_b64_e32 v[0:1], v0, v[8:9]
	s_delay_alu instid0(VALU_DEP_1)
	v_dual_sub_nc_u32 v1, 29, v6 :: v_dual_bitop2_b32 v0, 7, v0 bitop3:0x40
; %bb.415:                              ;   in Loop: Header=BB296_10 Depth=1
	s_or_b32 exec_lo, exec_lo, s18
	v_lshlrev_b32_e32 v6, 8, v8
	s_delay_alu instid0(VALU_DEP_2) | instskip(NEXT) | instid1(VALU_DEP_3)
	v_lshl_add_u32 v1, v1, 10, 0x2000
	v_lshlrev_b32_e32 v0, 7, v0
	s_delay_alu instid0(VALU_DEP_3) | instskip(NEXT) | instid1(VALU_DEP_3)
	v_and_b32_e32 v6, 0x8000, v6
	v_and_b32_e32 v1, 0xfc00, v1
	s_delay_alu instid0(VALU_DEP_1)
	v_or3_b32 v77, v6, v1, v0
.LBB296_416:                            ;   in Loop: Header=BB296_10 Depth=1
	s_or_b32 exec_lo, exec_lo, s17
.LBB296_417:                            ;   in Loop: Header=BB296_10 Depth=1
	s_delay_alu instid0(SALU_CYCLE_1)
	s_or_b32 exec_lo, exec_lo, s16
.LBB296_418:                            ;   in Loop: Header=BB296_10 Depth=1
	s_delay_alu instid0(SALU_CYCLE_1)
	s_or_b32 exec_lo, exec_lo, s15
	v_dual_mov_b32 v85, 0 :: v_dual_mov_b32 v71, 0
	s_mov_b32 s15, exec_lo
	v_cmpx_lt_u32_e32 0xffffff, v4
	s_cbranch_execz .LBB296_426
; %bb.419:                              ;   in Loop: Header=BB296_10 Depth=1
	v_lshrrev_b32_e32 v24, 24, v4
	v_bfrev_b32_e32 v71, 1
	s_mov_b32 s16, exec_lo
	s_delay_alu instid0(VALU_DEP_2)
	v_cmpx_ne_u32_e32 0x80, v24
	s_cbranch_execz .LBB296_425
; %bb.420:                              ;   in Loop: Header=BB296_10 Depth=1
	v_and_b32_e32 v6, 0x7f, v24
	v_mov_b32_e32 v71, 0x7c010000
	s_mov_b32 s17, exec_lo
	s_delay_alu instid0(VALU_DEP_2)
	v_cmpx_ne_u32_e32 0x7f, v6
	s_cbranch_execz .LBB296_424
; %bb.421:                              ;   in Loop: Header=BB296_10 Depth=1
	v_dual_lshrrev_b32 v1, 3, v6 :: v_dual_bitop2_b32 v0, 7, v24 bitop3:0x40
	s_mov_b32 s18, exec_lo
	v_cmpx_gt_u32_e32 8, v6
; %bb.422:                              ;   in Loop: Header=BB296_10 Depth=1
	s_delay_alu instid0(VALU_DEP_2) | instskip(NEXT) | instid1(VALU_DEP_1)
	v_clz_i32_u32_e32 v0, v0
	v_min_u32_e32 v6, 32, v0
	s_delay_alu instid0(VALU_DEP_1) | instskip(NEXT) | instid1(VALU_DEP_1)
	v_subrev_nc_u32_e32 v0, 28, v6
	v_lshlrev_b64_e32 v[0:1], v0, v[24:25]
	s_delay_alu instid0(VALU_DEP_1)
	v_dual_sub_nc_u32 v1, 29, v6 :: v_dual_bitop2_b32 v0, 7, v0 bitop3:0x40
; %bb.423:                              ;   in Loop: Header=BB296_10 Depth=1
	s_or_b32 exec_lo, exec_lo, s18
	v_lshlrev_b32_e32 v6, 8, v24
	s_delay_alu instid0(VALU_DEP_2) | instskip(NEXT) | instid1(VALU_DEP_3)
	v_lshl_add_u32 v1, v1, 10, 0x2000
	v_lshlrev_b32_e32 v0, 23, v0
	s_delay_alu instid0(VALU_DEP_2) | instskip(NEXT) | instid1(VALU_DEP_1)
	v_and_or_b32 v1, 0x8000, v6, v1
	v_lshl_or_b32 v71, v1, 16, v0
.LBB296_424:                            ;   in Loop: Header=BB296_10 Depth=1
	s_or_b32 exec_lo, exec_lo, s17
.LBB296_425:                            ;   in Loop: Header=BB296_10 Depth=1
	s_delay_alu instid0(SALU_CYCLE_1)
	s_or_b32 exec_lo, exec_lo, s16
.LBB296_426:                            ;   in Loop: Header=BB296_10 Depth=1
	s_delay_alu instid0(SALU_CYCLE_1) | instskip(SKIP_3) | instid1(VALU_DEP_2)
	s_or_b32 exec_lo, exec_lo, s15
	v_and_b32_e32 v0, 0xff, v5
	v_mov_b32_e32 v24, v5
	s_mov_b32 s15, exec_lo
	v_cmpx_ne_u16_e32 0, v0
	s_cbranch_execz .LBB296_434
; %bb.427:                              ;   in Loop: Header=BB296_10 Depth=1
	v_mov_b32_e32 v85, 0x8000
	s_mov_b32 s16, exec_lo
	v_cmpx_ne_u16_e32 0x80, v0
	s_cbranch_execz .LBB296_433
; %bb.428:                              ;   in Loop: Header=BB296_10 Depth=1
	v_and_b32_e32 v6, 0x7f, v5
	v_mov_b32_e32 v85, 0x7c01
	s_mov_b32 s17, exec_lo
	s_delay_alu instid0(VALU_DEP_2)
	v_cmpx_ne_u32_e32 0x7f, v6
	s_cbranch_execz .LBB296_432
; %bb.429:                              ;   in Loop: Header=BB296_10 Depth=1
	v_dual_lshrrev_b32 v1, 3, v6 :: v_dual_bitop2_b32 v0, 7, v5 bitop3:0x40
	s_mov_b32 s18, exec_lo
	v_cmpx_gt_u32_e32 8, v6
; %bb.430:                              ;   in Loop: Header=BB296_10 Depth=1
	s_delay_alu instid0(VALU_DEP_2) | instskip(NEXT) | instid1(VALU_DEP_1)
	v_clz_i32_u32_e32 v0, v0
	v_min_u32_e32 v6, 32, v0
	s_delay_alu instid0(VALU_DEP_1) | instskip(NEXT) | instid1(VALU_DEP_1)
	v_subrev_nc_u32_e32 v0, 28, v6
	v_lshlrev_b64_e32 v[0:1], v0, v[24:25]
	s_delay_alu instid0(VALU_DEP_1)
	v_dual_sub_nc_u32 v1, 29, v6 :: v_dual_bitop2_b32 v0, 7, v0 bitop3:0x40
; %bb.431:                              ;   in Loop: Header=BB296_10 Depth=1
	s_or_b32 exec_lo, exec_lo, s18
	s_delay_alu instid0(VALU_DEP_1) | instskip(NEXT) | instid1(VALU_DEP_2)
	v_dual_lshlrev_b32 v6, 8, v5 :: v_dual_lshlrev_b32 v0, 7, v0
	v_lshl_add_u32 v1, v1, 10, 0x2000
	s_delay_alu instid0(VALU_DEP_2) | instskip(NEXT) | instid1(VALU_DEP_2)
	v_and_b32_e32 v6, 0x8000, v6
	v_and_b32_e32 v1, 0xfc00, v1
	s_delay_alu instid0(VALU_DEP_1)
	v_or3_b32 v85, v6, v1, v0
.LBB296_432:                            ;   in Loop: Header=BB296_10 Depth=1
	s_or_b32 exec_lo, exec_lo, s17
.LBB296_433:                            ;   in Loop: Header=BB296_10 Depth=1
	s_delay_alu instid0(SALU_CYCLE_1)
	s_or_b32 exec_lo, exec_lo, s16
.LBB296_434:                            ;   in Loop: Header=BB296_10 Depth=1
	s_delay_alu instid0(SALU_CYCLE_1) | instskip(SKIP_3) | instid1(VALU_DEP_2)
	s_or_b32 exec_lo, exec_lo, s15
	v_lshrrev_b16 v24, 8, v24
	v_dual_mov_b32 v90, 0 :: v_dual_mov_b32 v76, 0
	s_mov_b32 s15, exec_lo
	v_cmpx_ne_u16_e32 0, v24
	s_cbranch_execz .LBB296_442
; %bb.435:                              ;   in Loop: Header=BB296_10 Depth=1
	v_bfrev_b32_e32 v76, 1
	s_mov_b32 s16, exec_lo
	v_cmpx_ne_u16_e32 0x80, v24
	s_cbranch_execz .LBB296_441
; %bb.436:                              ;   in Loop: Header=BB296_10 Depth=1
	v_and_b32_e32 v0, 0xffff, v24
	v_mov_b32_e32 v76, 0x7c010000
	s_mov_b32 s17, exec_lo
	s_delay_alu instid0(VALU_DEP_2) | instskip(NEXT) | instid1(VALU_DEP_1)
	v_and_b32_e32 v7, 0x7f, v0
	v_cmpx_ne_u32_e32 0x7f, v7
	s_cbranch_execz .LBB296_440
; %bb.437:                              ;   in Loop: Header=BB296_10 Depth=1
	v_dual_lshrrev_b32 v6, 3, v7 :: v_dual_bitop2_b32 v1, 7, v0 bitop3:0x40
	s_mov_b32 s18, exec_lo
	v_cmpx_gt_u32_e32 8, v7
; %bb.438:                              ;   in Loop: Header=BB296_10 Depth=1
	s_delay_alu instid0(VALU_DEP_2) | instskip(NEXT) | instid1(VALU_DEP_1)
	v_clz_i32_u32_e32 v1, v1
	v_min_u32_e32 v1, 32, v1
	s_delay_alu instid0(VALU_DEP_1) | instskip(NEXT) | instid1(VALU_DEP_1)
	v_subrev_nc_u32_e32 v6, 28, v1
	v_lshlrev_b64_e32 v[8:9], v6, v[24:25]
	s_delay_alu instid0(VALU_DEP_1)
	v_dual_sub_nc_u32 v6, 29, v1 :: v_dual_bitop2_b32 v1, 7, v8 bitop3:0x40
; %bb.439:                              ;   in Loop: Header=BB296_10 Depth=1
	s_or_b32 exec_lo, exec_lo, s18
	s_delay_alu instid0(VALU_DEP_1) | instskip(NEXT) | instid1(VALU_DEP_2)
	v_dual_lshlrev_b32 v0, 8, v0 :: v_dual_lshlrev_b32 v1, 23, v1
	v_lshl_add_u32 v6, v6, 10, 0x2000
	s_delay_alu instid0(VALU_DEP_1) | instskip(NEXT) | instid1(VALU_DEP_1)
	v_and_or_b32 v0, 0x8000, v0, v6
	v_lshl_or_b32 v76, v0, 16, v1
.LBB296_440:                            ;   in Loop: Header=BB296_10 Depth=1
	s_or_b32 exec_lo, exec_lo, s17
.LBB296_441:                            ;   in Loop: Header=BB296_10 Depth=1
	s_delay_alu instid0(SALU_CYCLE_1)
	s_or_b32 exec_lo, exec_lo, s16
.LBB296_442:                            ;   in Loop: Header=BB296_10 Depth=1
	s_delay_alu instid0(SALU_CYCLE_1) | instskip(SKIP_2) | instid1(VALU_DEP_1)
	s_or_b32 exec_lo, exec_lo, s15
	v_lshrrev_b32_e32 v8, 16, v5
	s_mov_b32 s15, exec_lo
	v_and_b32_e32 v0, 0xff, v8
	s_delay_alu instid0(VALU_DEP_1)
	v_cmpx_ne_u16_e32 0, v0
	s_cbranch_execz .LBB296_450
; %bb.443:                              ;   in Loop: Header=BB296_10 Depth=1
	v_mov_b32_e32 v90, 0x8000
	s_mov_b32 s16, exec_lo
	v_cmpx_ne_u16_e32 0x80, v0
	s_cbranch_execz .LBB296_449
; %bb.444:                              ;   in Loop: Header=BB296_10 Depth=1
	v_bfe_u32 v6, v5, 16, 7
	v_mov_b32_e32 v90, 0x7c01
	s_mov_b32 s17, exec_lo
	s_delay_alu instid0(VALU_DEP_2)
	v_cmpx_ne_u32_e32 0x7f, v6
	s_cbranch_execz .LBB296_448
; %bb.445:                              ;   in Loop: Header=BB296_10 Depth=1
	v_dual_lshrrev_b32 v1, 3, v6 :: v_dual_bitop2_b32 v0, 7, v8 bitop3:0x40
	s_mov_b32 s18, exec_lo
	v_cmpx_gt_u32_e32 8, v6
; %bb.446:                              ;   in Loop: Header=BB296_10 Depth=1
	s_delay_alu instid0(VALU_DEP_2) | instskip(NEXT) | instid1(VALU_DEP_1)
	v_clz_i32_u32_e32 v0, v0
	v_min_u32_e32 v6, 32, v0
	s_delay_alu instid0(VALU_DEP_1) | instskip(NEXT) | instid1(VALU_DEP_1)
	v_subrev_nc_u32_e32 v0, 28, v6
	v_lshlrev_b64_e32 v[0:1], v0, v[8:9]
	s_delay_alu instid0(VALU_DEP_1)
	v_dual_sub_nc_u32 v1, 29, v6 :: v_dual_bitop2_b32 v0, 7, v0 bitop3:0x40
; %bb.447:                              ;   in Loop: Header=BB296_10 Depth=1
	s_or_b32 exec_lo, exec_lo, s18
	v_lshlrev_b32_e32 v6, 8, v8
	s_delay_alu instid0(VALU_DEP_2) | instskip(NEXT) | instid1(VALU_DEP_3)
	v_lshl_add_u32 v1, v1, 10, 0x2000
	v_lshlrev_b32_e32 v0, 7, v0
	s_delay_alu instid0(VALU_DEP_3) | instskip(NEXT) | instid1(VALU_DEP_3)
	v_and_b32_e32 v6, 0x8000, v6
	v_and_b32_e32 v1, 0xfc00, v1
	s_delay_alu instid0(VALU_DEP_1)
	v_or3_b32 v90, v6, v1, v0
.LBB296_448:                            ;   in Loop: Header=BB296_10 Depth=1
	s_or_b32 exec_lo, exec_lo, s17
.LBB296_449:                            ;   in Loop: Header=BB296_10 Depth=1
	s_delay_alu instid0(SALU_CYCLE_1)
	s_or_b32 exec_lo, exec_lo, s16
.LBB296_450:                            ;   in Loop: Header=BB296_10 Depth=1
	s_delay_alu instid0(SALU_CYCLE_1)
	s_or_b32 exec_lo, exec_lo, s15
	v_dual_mov_b32 v91, 0 :: v_dual_mov_b32 v78, 0
	s_mov_b32 s15, exec_lo
	v_cmpx_lt_u64_e64 s[2:3], v[4:5]
	s_cbranch_execz .LBB296_458
; %bb.451:                              ;   in Loop: Header=BB296_10 Depth=1
	v_lshrrev_b32_e32 v24, 24, v5
	v_bfrev_b32_e32 v78, 1
	s_mov_b32 s16, exec_lo
	s_delay_alu instid0(VALU_DEP_2)
	v_cmpx_ne_u32_e32 0x80, v24
	s_cbranch_execz .LBB296_457
; %bb.452:                              ;   in Loop: Header=BB296_10 Depth=1
	v_and_b32_e32 v4, 0x7f, v24
	v_mov_b32_e32 v78, 0x7c010000
	s_mov_b32 s17, exec_lo
	s_delay_alu instid0(VALU_DEP_2)
	v_cmpx_ne_u32_e32 0x7f, v4
	s_cbranch_execz .LBB296_456
; %bb.453:                              ;   in Loop: Header=BB296_10 Depth=1
	v_and_b32_e32 v0, 7, v24
	v_lshrrev_b32_e32 v1, 3, v4
	s_mov_b32 s18, exec_lo
	v_cmpx_gt_u32_e32 8, v4
; %bb.454:                              ;   in Loop: Header=BB296_10 Depth=1
	s_delay_alu instid0(VALU_DEP_3) | instskip(NEXT) | instid1(VALU_DEP_1)
	v_clz_i32_u32_e32 v0, v0
	v_min_u32_e32 v4, 32, v0
	s_delay_alu instid0(VALU_DEP_1) | instskip(NEXT) | instid1(VALU_DEP_1)
	v_subrev_nc_u32_e32 v0, 28, v4
	v_lshlrev_b64_e32 v[0:1], v0, v[24:25]
	v_sub_nc_u32_e32 v1, 29, v4
	s_delay_alu instid0(VALU_DEP_2)
	v_and_b32_e32 v0, 7, v0
; %bb.455:                              ;   in Loop: Header=BB296_10 Depth=1
	s_or_b32 exec_lo, exec_lo, s18
	v_lshlrev_b32_e32 v4, 8, v24
	s_delay_alu instid0(VALU_DEP_3) | instskip(NEXT) | instid1(VALU_DEP_3)
	v_lshl_add_u32 v1, v1, 10, 0x2000
	v_lshlrev_b32_e32 v0, 23, v0
	s_delay_alu instid0(VALU_DEP_2) | instskip(NEXT) | instid1(VALU_DEP_1)
	v_and_or_b32 v1, 0x8000, v4, v1
	v_lshl_or_b32 v78, v1, 16, v0
.LBB296_456:                            ;   in Loop: Header=BB296_10 Depth=1
	s_or_b32 exec_lo, exec_lo, s17
.LBB296_457:                            ;   in Loop: Header=BB296_10 Depth=1
	s_delay_alu instid0(SALU_CYCLE_1)
	s_or_b32 exec_lo, exec_lo, s16
.LBB296_458:                            ;   in Loop: Header=BB296_10 Depth=1
	s_delay_alu instid0(SALU_CYCLE_1)
	s_or_b32 exec_lo, exec_lo, s15
	flat_load_b64 v[4:5], v[2:3] offset:1544
	s_mov_b32 s15, exec_lo
	s_wait_loadcnt_dscnt 0x0
	v_and_b32_e32 v0, 0xff, v4
	s_wait_xcnt 0x0
	s_delay_alu instid0(VALU_DEP_1)
	v_cmpx_ne_u16_e32 0, v0
	s_cbranch_execz .LBB296_466
; %bb.459:                              ;   in Loop: Header=BB296_10 Depth=1
	v_mov_b32_e32 v91, 0x8000
	s_mov_b32 s16, exec_lo
	v_cmpx_ne_u16_e32 0x80, v0
	s_cbranch_execz .LBB296_465
; %bb.460:                              ;   in Loop: Header=BB296_10 Depth=1
	v_and_b32_e32 v6, 0x7f, v4
	v_mov_b32_e32 v91, 0x7c01
	s_mov_b32 s17, exec_lo
	s_delay_alu instid0(VALU_DEP_2)
	v_cmpx_ne_u32_e32 0x7f, v6
	s_cbranch_execz .LBB296_464
; %bb.461:                              ;   in Loop: Header=BB296_10 Depth=1
	v_dual_lshrrev_b32 v1, 3, v6 :: v_dual_bitop2_b32 v0, 7, v4 bitop3:0x40
	s_mov_b32 s18, exec_lo
	v_cmpx_gt_u32_e32 8, v6
; %bb.462:                              ;   in Loop: Header=BB296_10 Depth=1
	s_delay_alu instid0(VALU_DEP_2) | instskip(NEXT) | instid1(VALU_DEP_1)
	v_clz_i32_u32_e32 v0, v0
	v_min_u32_e32 v6, 32, v0
	s_delay_alu instid0(VALU_DEP_1) | instskip(NEXT) | instid1(VALU_DEP_1)
	v_subrev_nc_u32_e32 v0, 28, v6
	v_lshlrev_b64_e32 v[0:1], v0, v[4:5]
	s_delay_alu instid0(VALU_DEP_1)
	v_dual_sub_nc_u32 v1, 29, v6 :: v_dual_bitop2_b32 v0, 7, v0 bitop3:0x40
; %bb.463:                              ;   in Loop: Header=BB296_10 Depth=1
	s_or_b32 exec_lo, exec_lo, s18
	v_lshlrev_b32_e32 v6, 8, v4
	s_delay_alu instid0(VALU_DEP_2) | instskip(NEXT) | instid1(VALU_DEP_3)
	v_lshl_add_u32 v1, v1, 10, 0x2000
	v_lshlrev_b32_e32 v0, 7, v0
	s_delay_alu instid0(VALU_DEP_3) | instskip(NEXT) | instid1(VALU_DEP_3)
	v_and_b32_e32 v6, 0x8000, v6
	v_and_b32_e32 v1, 0xfc00, v1
	s_delay_alu instid0(VALU_DEP_1)
	v_or3_b32 v91, v6, v1, v0
.LBB296_464:                            ;   in Loop: Header=BB296_10 Depth=1
	s_or_b32 exec_lo, exec_lo, s17
.LBB296_465:                            ;   in Loop: Header=BB296_10 Depth=1
	s_delay_alu instid0(SALU_CYCLE_1)
	s_or_b32 exec_lo, exec_lo, s16
.LBB296_466:                            ;   in Loop: Header=BB296_10 Depth=1
	s_delay_alu instid0(SALU_CYCLE_1) | instskip(SKIP_3) | instid1(VALU_DEP_2)
	s_or_b32 exec_lo, exec_lo, s15
	v_lshrrev_b16 v24, 8, v4
	v_dual_mov_b32 v93, 0 :: v_dual_mov_b32 v88, 0
	s_mov_b32 s15, exec_lo
	v_cmpx_ne_u16_e32 0, v24
	s_cbranch_execz .LBB296_474
; %bb.467:                              ;   in Loop: Header=BB296_10 Depth=1
	v_bfrev_b32_e32 v88, 1
	s_mov_b32 s16, exec_lo
	v_cmpx_ne_u16_e32 0x80, v24
	s_cbranch_execz .LBB296_473
; %bb.468:                              ;   in Loop: Header=BB296_10 Depth=1
	v_and_b32_e32 v0, 0xffff, v24
	v_mov_b32_e32 v88, 0x7c010000
	s_mov_b32 s17, exec_lo
	s_delay_alu instid0(VALU_DEP_2) | instskip(NEXT) | instid1(VALU_DEP_1)
	v_and_b32_e32 v7, 0x7f, v0
	v_cmpx_ne_u32_e32 0x7f, v7
	s_cbranch_execz .LBB296_472
; %bb.469:                              ;   in Loop: Header=BB296_10 Depth=1
	v_dual_lshrrev_b32 v6, 3, v7 :: v_dual_bitop2_b32 v1, 7, v0 bitop3:0x40
	s_mov_b32 s18, exec_lo
	v_cmpx_gt_u32_e32 8, v7
; %bb.470:                              ;   in Loop: Header=BB296_10 Depth=1
	s_delay_alu instid0(VALU_DEP_2) | instskip(NEXT) | instid1(VALU_DEP_1)
	v_clz_i32_u32_e32 v1, v1
	v_min_u32_e32 v1, 32, v1
	s_delay_alu instid0(VALU_DEP_1) | instskip(NEXT) | instid1(VALU_DEP_1)
	v_subrev_nc_u32_e32 v6, 28, v1
	v_lshlrev_b64_e32 v[8:9], v6, v[24:25]
	s_delay_alu instid0(VALU_DEP_1)
	v_dual_sub_nc_u32 v6, 29, v1 :: v_dual_bitop2_b32 v1, 7, v8 bitop3:0x40
; %bb.471:                              ;   in Loop: Header=BB296_10 Depth=1
	s_or_b32 exec_lo, exec_lo, s18
	s_delay_alu instid0(VALU_DEP_1) | instskip(NEXT) | instid1(VALU_DEP_2)
	v_dual_lshlrev_b32 v0, 8, v0 :: v_dual_lshlrev_b32 v1, 23, v1
	v_lshl_add_u32 v6, v6, 10, 0x2000
	s_delay_alu instid0(VALU_DEP_1) | instskip(NEXT) | instid1(VALU_DEP_1)
	v_and_or_b32 v0, 0x8000, v0, v6
	v_lshl_or_b32 v88, v0, 16, v1
.LBB296_472:                            ;   in Loop: Header=BB296_10 Depth=1
	s_or_b32 exec_lo, exec_lo, s17
.LBB296_473:                            ;   in Loop: Header=BB296_10 Depth=1
	s_delay_alu instid0(SALU_CYCLE_1)
	s_or_b32 exec_lo, exec_lo, s16
.LBB296_474:                            ;   in Loop: Header=BB296_10 Depth=1
	s_delay_alu instid0(SALU_CYCLE_1) | instskip(SKIP_2) | instid1(VALU_DEP_1)
	s_or_b32 exec_lo, exec_lo, s15
	v_lshrrev_b32_e32 v8, 16, v4
	s_mov_b32 s15, exec_lo
	v_and_b32_e32 v0, 0xff, v8
	s_delay_alu instid0(VALU_DEP_1)
	v_cmpx_ne_u16_e32 0, v0
	s_cbranch_execz .LBB296_482
; %bb.475:                              ;   in Loop: Header=BB296_10 Depth=1
	v_mov_b32_e32 v93, 0x8000
	s_mov_b32 s16, exec_lo
	v_cmpx_ne_u16_e32 0x80, v0
	s_cbranch_execz .LBB296_481
; %bb.476:                              ;   in Loop: Header=BB296_10 Depth=1
	v_bfe_u32 v6, v4, 16, 7
	v_mov_b32_e32 v93, 0x7c01
	s_mov_b32 s17, exec_lo
	s_delay_alu instid0(VALU_DEP_2)
	v_cmpx_ne_u32_e32 0x7f, v6
	s_cbranch_execz .LBB296_480
; %bb.477:                              ;   in Loop: Header=BB296_10 Depth=1
	v_dual_lshrrev_b32 v1, 3, v6 :: v_dual_bitop2_b32 v0, 7, v8 bitop3:0x40
	s_mov_b32 s18, exec_lo
	v_cmpx_gt_u32_e32 8, v6
; %bb.478:                              ;   in Loop: Header=BB296_10 Depth=1
	s_delay_alu instid0(VALU_DEP_2) | instskip(NEXT) | instid1(VALU_DEP_1)
	v_clz_i32_u32_e32 v0, v0
	v_min_u32_e32 v6, 32, v0
	s_delay_alu instid0(VALU_DEP_1) | instskip(NEXT) | instid1(VALU_DEP_1)
	v_subrev_nc_u32_e32 v0, 28, v6
	v_lshlrev_b64_e32 v[0:1], v0, v[8:9]
	s_delay_alu instid0(VALU_DEP_1)
	v_dual_sub_nc_u32 v1, 29, v6 :: v_dual_bitop2_b32 v0, 7, v0 bitop3:0x40
; %bb.479:                              ;   in Loop: Header=BB296_10 Depth=1
	s_or_b32 exec_lo, exec_lo, s18
	v_lshlrev_b32_e32 v6, 8, v8
	s_delay_alu instid0(VALU_DEP_2) | instskip(NEXT) | instid1(VALU_DEP_3)
	v_lshl_add_u32 v1, v1, 10, 0x2000
	v_lshlrev_b32_e32 v0, 7, v0
	s_delay_alu instid0(VALU_DEP_3) | instskip(NEXT) | instid1(VALU_DEP_3)
	v_and_b32_e32 v6, 0x8000, v6
	v_and_b32_e32 v1, 0xfc00, v1
	s_delay_alu instid0(VALU_DEP_1)
	v_or3_b32 v93, v6, v1, v0
.LBB296_480:                            ;   in Loop: Header=BB296_10 Depth=1
	s_or_b32 exec_lo, exec_lo, s17
.LBB296_481:                            ;   in Loop: Header=BB296_10 Depth=1
	s_delay_alu instid0(SALU_CYCLE_1)
	s_or_b32 exec_lo, exec_lo, s16
.LBB296_482:                            ;   in Loop: Header=BB296_10 Depth=1
	s_delay_alu instid0(SALU_CYCLE_1)
	s_or_b32 exec_lo, exec_lo, s15
	v_dual_mov_b32 v80, 0 :: v_dual_mov_b32 v92, 0
	s_mov_b32 s15, exec_lo
	v_cmpx_lt_u32_e32 0xffffff, v4
	s_cbranch_execz .LBB296_490
; %bb.483:                              ;   in Loop: Header=BB296_10 Depth=1
	v_lshrrev_b32_e32 v24, 24, v4
	v_bfrev_b32_e32 v92, 1
	s_mov_b32 s16, exec_lo
	s_delay_alu instid0(VALU_DEP_2)
	v_cmpx_ne_u32_e32 0x80, v24
	s_cbranch_execz .LBB296_489
; %bb.484:                              ;   in Loop: Header=BB296_10 Depth=1
	v_and_b32_e32 v6, 0x7f, v24
	v_mov_b32_e32 v92, 0x7c010000
	s_mov_b32 s17, exec_lo
	s_delay_alu instid0(VALU_DEP_2)
	v_cmpx_ne_u32_e32 0x7f, v6
	s_cbranch_execz .LBB296_488
; %bb.485:                              ;   in Loop: Header=BB296_10 Depth=1
	v_dual_lshrrev_b32 v1, 3, v6 :: v_dual_bitop2_b32 v0, 7, v24 bitop3:0x40
	s_mov_b32 s18, exec_lo
	v_cmpx_gt_u32_e32 8, v6
; %bb.486:                              ;   in Loop: Header=BB296_10 Depth=1
	s_delay_alu instid0(VALU_DEP_2) | instskip(NEXT) | instid1(VALU_DEP_1)
	v_clz_i32_u32_e32 v0, v0
	v_min_u32_e32 v6, 32, v0
	s_delay_alu instid0(VALU_DEP_1) | instskip(NEXT) | instid1(VALU_DEP_1)
	v_subrev_nc_u32_e32 v0, 28, v6
	v_lshlrev_b64_e32 v[0:1], v0, v[24:25]
	s_delay_alu instid0(VALU_DEP_1)
	v_dual_sub_nc_u32 v1, 29, v6 :: v_dual_bitop2_b32 v0, 7, v0 bitop3:0x40
; %bb.487:                              ;   in Loop: Header=BB296_10 Depth=1
	s_or_b32 exec_lo, exec_lo, s18
	v_lshlrev_b32_e32 v6, 8, v24
	s_delay_alu instid0(VALU_DEP_2) | instskip(NEXT) | instid1(VALU_DEP_3)
	v_lshl_add_u32 v1, v1, 10, 0x2000
	v_lshlrev_b32_e32 v0, 23, v0
	s_delay_alu instid0(VALU_DEP_2) | instskip(NEXT) | instid1(VALU_DEP_1)
	v_and_or_b32 v1, 0x8000, v6, v1
	v_lshl_or_b32 v92, v1, 16, v0
.LBB296_488:                            ;   in Loop: Header=BB296_10 Depth=1
	s_or_b32 exec_lo, exec_lo, s17
.LBB296_489:                            ;   in Loop: Header=BB296_10 Depth=1
	s_delay_alu instid0(SALU_CYCLE_1)
	s_or_b32 exec_lo, exec_lo, s16
.LBB296_490:                            ;   in Loop: Header=BB296_10 Depth=1
	s_delay_alu instid0(SALU_CYCLE_1) | instskip(SKIP_3) | instid1(VALU_DEP_2)
	s_or_b32 exec_lo, exec_lo, s15
	v_and_b32_e32 v0, 0xff, v5
	v_mov_b32_e32 v24, v5
	s_mov_b32 s15, exec_lo
	v_cmpx_ne_u16_e32 0, v0
	s_cbranch_execz .LBB296_498
; %bb.491:                              ;   in Loop: Header=BB296_10 Depth=1
	v_mov_b32_e32 v80, 0x8000
	s_mov_b32 s16, exec_lo
	v_cmpx_ne_u16_e32 0x80, v0
	s_cbranch_execz .LBB296_497
; %bb.492:                              ;   in Loop: Header=BB296_10 Depth=1
	v_and_b32_e32 v6, 0x7f, v5
	v_mov_b32_e32 v80, 0x7c01
	s_mov_b32 s17, exec_lo
	s_delay_alu instid0(VALU_DEP_2)
	v_cmpx_ne_u32_e32 0x7f, v6
	s_cbranch_execz .LBB296_496
; %bb.493:                              ;   in Loop: Header=BB296_10 Depth=1
	v_dual_lshrrev_b32 v1, 3, v6 :: v_dual_bitop2_b32 v0, 7, v5 bitop3:0x40
	s_mov_b32 s18, exec_lo
	v_cmpx_gt_u32_e32 8, v6
; %bb.494:                              ;   in Loop: Header=BB296_10 Depth=1
	s_delay_alu instid0(VALU_DEP_2) | instskip(NEXT) | instid1(VALU_DEP_1)
	v_clz_i32_u32_e32 v0, v0
	v_min_u32_e32 v6, 32, v0
	s_delay_alu instid0(VALU_DEP_1) | instskip(NEXT) | instid1(VALU_DEP_1)
	v_subrev_nc_u32_e32 v0, 28, v6
	v_lshlrev_b64_e32 v[0:1], v0, v[24:25]
	s_delay_alu instid0(VALU_DEP_1)
	v_dual_sub_nc_u32 v1, 29, v6 :: v_dual_bitop2_b32 v0, 7, v0 bitop3:0x40
; %bb.495:                              ;   in Loop: Header=BB296_10 Depth=1
	s_or_b32 exec_lo, exec_lo, s18
	s_delay_alu instid0(VALU_DEP_1) | instskip(NEXT) | instid1(VALU_DEP_2)
	v_dual_lshlrev_b32 v6, 8, v5 :: v_dual_lshlrev_b32 v0, 7, v0
	v_lshl_add_u32 v1, v1, 10, 0x2000
	s_delay_alu instid0(VALU_DEP_2) | instskip(NEXT) | instid1(VALU_DEP_2)
	v_and_b32_e32 v6, 0x8000, v6
	v_and_b32_e32 v1, 0xfc00, v1
	s_delay_alu instid0(VALU_DEP_1)
	v_or3_b32 v80, v6, v1, v0
.LBB296_496:                            ;   in Loop: Header=BB296_10 Depth=1
	s_or_b32 exec_lo, exec_lo, s17
.LBB296_497:                            ;   in Loop: Header=BB296_10 Depth=1
	s_delay_alu instid0(SALU_CYCLE_1)
	s_or_b32 exec_lo, exec_lo, s16
.LBB296_498:                            ;   in Loop: Header=BB296_10 Depth=1
	s_delay_alu instid0(SALU_CYCLE_1) | instskip(SKIP_3) | instid1(VALU_DEP_2)
	s_or_b32 exec_lo, exec_lo, s15
	v_lshrrev_b16 v24, 8, v24
	v_dual_mov_b32 v82, 0 :: v_dual_mov_b32 v79, 0
	s_mov_b32 s15, exec_lo
	v_cmpx_ne_u16_e32 0, v24
	s_cbranch_execz .LBB296_506
; %bb.499:                              ;   in Loop: Header=BB296_10 Depth=1
	v_bfrev_b32_e32 v79, 1
	s_mov_b32 s16, exec_lo
	v_cmpx_ne_u16_e32 0x80, v24
	s_cbranch_execz .LBB296_505
; %bb.500:                              ;   in Loop: Header=BB296_10 Depth=1
	v_and_b32_e32 v0, 0xffff, v24
	v_mov_b32_e32 v79, 0x7c010000
	s_mov_b32 s17, exec_lo
	s_delay_alu instid0(VALU_DEP_2) | instskip(NEXT) | instid1(VALU_DEP_1)
	v_and_b32_e32 v7, 0x7f, v0
	v_cmpx_ne_u32_e32 0x7f, v7
	s_cbranch_execz .LBB296_504
; %bb.501:                              ;   in Loop: Header=BB296_10 Depth=1
	v_dual_lshrrev_b32 v6, 3, v7 :: v_dual_bitop2_b32 v1, 7, v0 bitop3:0x40
	s_mov_b32 s18, exec_lo
	v_cmpx_gt_u32_e32 8, v7
; %bb.502:                              ;   in Loop: Header=BB296_10 Depth=1
	s_delay_alu instid0(VALU_DEP_2) | instskip(NEXT) | instid1(VALU_DEP_1)
	v_clz_i32_u32_e32 v1, v1
	v_min_u32_e32 v1, 32, v1
	s_delay_alu instid0(VALU_DEP_1) | instskip(NEXT) | instid1(VALU_DEP_1)
	v_subrev_nc_u32_e32 v6, 28, v1
	v_lshlrev_b64_e32 v[8:9], v6, v[24:25]
	s_delay_alu instid0(VALU_DEP_1)
	v_dual_sub_nc_u32 v6, 29, v1 :: v_dual_bitop2_b32 v1, 7, v8 bitop3:0x40
; %bb.503:                              ;   in Loop: Header=BB296_10 Depth=1
	s_or_b32 exec_lo, exec_lo, s18
	s_delay_alu instid0(VALU_DEP_1) | instskip(NEXT) | instid1(VALU_DEP_2)
	v_dual_lshlrev_b32 v0, 8, v0 :: v_dual_lshlrev_b32 v1, 23, v1
	v_lshl_add_u32 v6, v6, 10, 0x2000
	s_delay_alu instid0(VALU_DEP_1) | instskip(NEXT) | instid1(VALU_DEP_1)
	v_and_or_b32 v0, 0x8000, v0, v6
	v_lshl_or_b32 v79, v0, 16, v1
.LBB296_504:                            ;   in Loop: Header=BB296_10 Depth=1
	s_or_b32 exec_lo, exec_lo, s17
.LBB296_505:                            ;   in Loop: Header=BB296_10 Depth=1
	s_delay_alu instid0(SALU_CYCLE_1)
	s_or_b32 exec_lo, exec_lo, s16
.LBB296_506:                            ;   in Loop: Header=BB296_10 Depth=1
	s_delay_alu instid0(SALU_CYCLE_1) | instskip(SKIP_2) | instid1(VALU_DEP_1)
	s_or_b32 exec_lo, exec_lo, s15
	v_lshrrev_b32_e32 v8, 16, v5
	s_mov_b32 s15, exec_lo
	v_and_b32_e32 v0, 0xff, v8
	s_delay_alu instid0(VALU_DEP_1)
	v_cmpx_ne_u16_e32 0, v0
	s_cbranch_execz .LBB296_514
; %bb.507:                              ;   in Loop: Header=BB296_10 Depth=1
	v_mov_b32_e32 v82, 0x8000
	s_mov_b32 s16, exec_lo
	v_cmpx_ne_u16_e32 0x80, v0
	s_cbranch_execz .LBB296_513
; %bb.508:                              ;   in Loop: Header=BB296_10 Depth=1
	v_bfe_u32 v6, v5, 16, 7
	v_mov_b32_e32 v82, 0x7c01
	s_mov_b32 s17, exec_lo
	s_delay_alu instid0(VALU_DEP_2)
	v_cmpx_ne_u32_e32 0x7f, v6
	s_cbranch_execz .LBB296_512
; %bb.509:                              ;   in Loop: Header=BB296_10 Depth=1
	v_dual_lshrrev_b32 v1, 3, v6 :: v_dual_bitop2_b32 v0, 7, v8 bitop3:0x40
	s_mov_b32 s18, exec_lo
	v_cmpx_gt_u32_e32 8, v6
; %bb.510:                              ;   in Loop: Header=BB296_10 Depth=1
	s_delay_alu instid0(VALU_DEP_2) | instskip(NEXT) | instid1(VALU_DEP_1)
	v_clz_i32_u32_e32 v0, v0
	v_min_u32_e32 v6, 32, v0
	s_delay_alu instid0(VALU_DEP_1) | instskip(NEXT) | instid1(VALU_DEP_1)
	v_subrev_nc_u32_e32 v0, 28, v6
	v_lshlrev_b64_e32 v[0:1], v0, v[8:9]
	s_delay_alu instid0(VALU_DEP_1)
	v_dual_sub_nc_u32 v1, 29, v6 :: v_dual_bitop2_b32 v0, 7, v0 bitop3:0x40
; %bb.511:                              ;   in Loop: Header=BB296_10 Depth=1
	s_or_b32 exec_lo, exec_lo, s18
	v_lshlrev_b32_e32 v6, 8, v8
	s_delay_alu instid0(VALU_DEP_2) | instskip(NEXT) | instid1(VALU_DEP_3)
	v_lshl_add_u32 v1, v1, 10, 0x2000
	v_lshlrev_b32_e32 v0, 7, v0
	s_delay_alu instid0(VALU_DEP_3) | instskip(NEXT) | instid1(VALU_DEP_3)
	v_and_b32_e32 v6, 0x8000, v6
	v_and_b32_e32 v1, 0xfc00, v1
	s_delay_alu instid0(VALU_DEP_1)
	v_or3_b32 v82, v6, v1, v0
.LBB296_512:                            ;   in Loop: Header=BB296_10 Depth=1
	s_or_b32 exec_lo, exec_lo, s17
.LBB296_513:                            ;   in Loop: Header=BB296_10 Depth=1
	s_delay_alu instid0(SALU_CYCLE_1)
	s_or_b32 exec_lo, exec_lo, s16
.LBB296_514:                            ;   in Loop: Header=BB296_10 Depth=1
	s_delay_alu instid0(SALU_CYCLE_1)
	s_or_b32 exec_lo, exec_lo, s15
	v_dual_mov_b32 v12, 0 :: v_dual_mov_b32 v83, 0
	s_mov_b32 s15, exec_lo
	v_cmpx_lt_u64_e64 s[2:3], v[4:5]
	s_cbranch_execz .LBB296_522
; %bb.515:                              ;   in Loop: Header=BB296_10 Depth=1
	v_lshrrev_b32_e32 v24, 24, v5
	v_bfrev_b32_e32 v83, 1
	s_mov_b32 s16, exec_lo
	s_delay_alu instid0(VALU_DEP_2)
	v_cmpx_ne_u32_e32 0x80, v24
	s_cbranch_execz .LBB296_521
; %bb.516:                              ;   in Loop: Header=BB296_10 Depth=1
	v_and_b32_e32 v4, 0x7f, v24
	v_mov_b32_e32 v83, 0x7c010000
	s_mov_b32 s17, exec_lo
	s_delay_alu instid0(VALU_DEP_2)
	v_cmpx_ne_u32_e32 0x7f, v4
	s_cbranch_execz .LBB296_520
; %bb.517:                              ;   in Loop: Header=BB296_10 Depth=1
	v_and_b32_e32 v0, 7, v24
	v_lshrrev_b32_e32 v1, 3, v4
	s_mov_b32 s18, exec_lo
	v_cmpx_gt_u32_e32 8, v4
; %bb.518:                              ;   in Loop: Header=BB296_10 Depth=1
	s_delay_alu instid0(VALU_DEP_3) | instskip(NEXT) | instid1(VALU_DEP_1)
	v_clz_i32_u32_e32 v0, v0
	v_min_u32_e32 v4, 32, v0
	s_delay_alu instid0(VALU_DEP_1) | instskip(NEXT) | instid1(VALU_DEP_1)
	v_subrev_nc_u32_e32 v0, 28, v4
	v_lshlrev_b64_e32 v[0:1], v0, v[24:25]
	v_sub_nc_u32_e32 v1, 29, v4
	s_delay_alu instid0(VALU_DEP_2)
	v_and_b32_e32 v0, 7, v0
; %bb.519:                              ;   in Loop: Header=BB296_10 Depth=1
	s_or_b32 exec_lo, exec_lo, s18
	v_lshlrev_b32_e32 v4, 8, v24
	s_delay_alu instid0(VALU_DEP_3) | instskip(NEXT) | instid1(VALU_DEP_3)
	v_lshl_add_u32 v1, v1, 10, 0x2000
	v_lshlrev_b32_e32 v0, 23, v0
	s_delay_alu instid0(VALU_DEP_2) | instskip(NEXT) | instid1(VALU_DEP_1)
	v_and_or_b32 v1, 0x8000, v4, v1
	v_lshl_or_b32 v83, v1, 16, v0
.LBB296_520:                            ;   in Loop: Header=BB296_10 Depth=1
	s_or_b32 exec_lo, exec_lo, s17
.LBB296_521:                            ;   in Loop: Header=BB296_10 Depth=1
	s_delay_alu instid0(SALU_CYCLE_1)
	s_or_b32 exec_lo, exec_lo, s16
.LBB296_522:                            ;   in Loop: Header=BB296_10 Depth=1
	s_delay_alu instid0(SALU_CYCLE_1)
	s_or_b32 exec_lo, exec_lo, s15
	flat_load_b64 v[4:5], v[2:3] offset:2048
	s_mov_b32 s15, exec_lo
	s_wait_loadcnt_dscnt 0x0
	v_and_b32_e32 v0, 0xff, v4
	s_wait_xcnt 0x0
	s_delay_alu instid0(VALU_DEP_1)
	v_cmpx_ne_u16_e32 0, v0
	s_cbranch_execz .LBB296_530
; %bb.523:                              ;   in Loop: Header=BB296_10 Depth=1
	v_mov_b32_e32 v12, 0x8000
	s_mov_b32 s16, exec_lo
	v_cmpx_ne_u16_e32 0x80, v0
	s_cbranch_execz .LBB296_529
; %bb.524:                              ;   in Loop: Header=BB296_10 Depth=1
	v_and_b32_e32 v6, 0x7f, v4
	v_mov_b32_e32 v12, 0x7c01
	s_mov_b32 s17, exec_lo
	s_delay_alu instid0(VALU_DEP_2)
	v_cmpx_ne_u32_e32 0x7f, v6
	s_cbranch_execz .LBB296_528
; %bb.525:                              ;   in Loop: Header=BB296_10 Depth=1
	v_dual_lshrrev_b32 v1, 3, v6 :: v_dual_bitop2_b32 v0, 7, v4 bitop3:0x40
	s_mov_b32 s18, exec_lo
	v_cmpx_gt_u32_e32 8, v6
; %bb.526:                              ;   in Loop: Header=BB296_10 Depth=1
	s_delay_alu instid0(VALU_DEP_2) | instskip(NEXT) | instid1(VALU_DEP_1)
	v_clz_i32_u32_e32 v0, v0
	v_min_u32_e32 v6, 32, v0
	s_delay_alu instid0(VALU_DEP_1) | instskip(NEXT) | instid1(VALU_DEP_1)
	v_subrev_nc_u32_e32 v0, 28, v6
	v_lshlrev_b64_e32 v[0:1], v0, v[4:5]
	s_delay_alu instid0(VALU_DEP_1)
	v_dual_sub_nc_u32 v1, 29, v6 :: v_dual_bitop2_b32 v0, 7, v0 bitop3:0x40
; %bb.527:                              ;   in Loop: Header=BB296_10 Depth=1
	s_or_b32 exec_lo, exec_lo, s18
	v_lshlrev_b32_e32 v6, 8, v4
	s_delay_alu instid0(VALU_DEP_2) | instskip(NEXT) | instid1(VALU_DEP_3)
	v_lshl_add_u32 v1, v1, 10, 0x2000
	v_lshlrev_b32_e32 v0, 7, v0
	s_delay_alu instid0(VALU_DEP_3) | instskip(NEXT) | instid1(VALU_DEP_3)
	v_and_b32_e32 v6, 0x8000, v6
	v_and_b32_e32 v1, 0xfc00, v1
	s_delay_alu instid0(VALU_DEP_1)
	v_or3_b32 v12, v6, v1, v0
.LBB296_528:                            ;   in Loop: Header=BB296_10 Depth=1
	s_or_b32 exec_lo, exec_lo, s17
.LBB296_529:                            ;   in Loop: Header=BB296_10 Depth=1
	s_delay_alu instid0(SALU_CYCLE_1)
	s_or_b32 exec_lo, exec_lo, s16
.LBB296_530:                            ;   in Loop: Header=BB296_10 Depth=1
	s_delay_alu instid0(SALU_CYCLE_1) | instskip(SKIP_3) | instid1(VALU_DEP_2)
	s_or_b32 exec_lo, exec_lo, s15
	v_lshrrev_b16 v24, 8, v4
	v_dual_mov_b32 v89, 0 :: v_dual_mov_b32 v106, 0
	s_mov_b32 s15, exec_lo
	v_cmpx_ne_u16_e32 0, v24
	s_cbranch_execz .LBB296_538
; %bb.531:                              ;   in Loop: Header=BB296_10 Depth=1
	v_bfrev_b32_e32 v106, 1
	s_mov_b32 s16, exec_lo
	v_cmpx_ne_u16_e32 0x80, v24
	s_cbranch_execz .LBB296_537
; %bb.532:                              ;   in Loop: Header=BB296_10 Depth=1
	v_and_b32_e32 v0, 0xffff, v24
	v_mov_b32_e32 v106, 0x7c010000
	s_mov_b32 s17, exec_lo
	s_delay_alu instid0(VALU_DEP_2) | instskip(NEXT) | instid1(VALU_DEP_1)
	v_and_b32_e32 v7, 0x7f, v0
	v_cmpx_ne_u32_e32 0x7f, v7
	s_cbranch_execz .LBB296_536
; %bb.533:                              ;   in Loop: Header=BB296_10 Depth=1
	v_dual_lshrrev_b32 v6, 3, v7 :: v_dual_bitop2_b32 v1, 7, v0 bitop3:0x40
	s_mov_b32 s18, exec_lo
	v_cmpx_gt_u32_e32 8, v7
; %bb.534:                              ;   in Loop: Header=BB296_10 Depth=1
	s_delay_alu instid0(VALU_DEP_2) | instskip(NEXT) | instid1(VALU_DEP_1)
	v_clz_i32_u32_e32 v1, v1
	v_min_u32_e32 v1, 32, v1
	s_delay_alu instid0(VALU_DEP_1) | instskip(NEXT) | instid1(VALU_DEP_1)
	v_subrev_nc_u32_e32 v6, 28, v1
	v_lshlrev_b64_e32 v[8:9], v6, v[24:25]
	s_delay_alu instid0(VALU_DEP_1)
	v_dual_sub_nc_u32 v6, 29, v1 :: v_dual_bitop2_b32 v1, 7, v8 bitop3:0x40
; %bb.535:                              ;   in Loop: Header=BB296_10 Depth=1
	s_or_b32 exec_lo, exec_lo, s18
	s_delay_alu instid0(VALU_DEP_1) | instskip(NEXT) | instid1(VALU_DEP_2)
	v_dual_lshlrev_b32 v0, 8, v0 :: v_dual_lshlrev_b32 v1, 23, v1
	v_lshl_add_u32 v6, v6, 10, 0x2000
	s_delay_alu instid0(VALU_DEP_1) | instskip(NEXT) | instid1(VALU_DEP_1)
	v_and_or_b32 v0, 0x8000, v0, v6
	v_lshl_or_b32 v106, v0, 16, v1
.LBB296_536:                            ;   in Loop: Header=BB296_10 Depth=1
	s_or_b32 exec_lo, exec_lo, s17
.LBB296_537:                            ;   in Loop: Header=BB296_10 Depth=1
	s_delay_alu instid0(SALU_CYCLE_1)
	s_or_b32 exec_lo, exec_lo, s16
.LBB296_538:                            ;   in Loop: Header=BB296_10 Depth=1
	s_delay_alu instid0(SALU_CYCLE_1) | instskip(SKIP_2) | instid1(VALU_DEP_1)
	s_or_b32 exec_lo, exec_lo, s15
	v_lshrrev_b32_e32 v8, 16, v4
	s_mov_b32 s15, exec_lo
	v_and_b32_e32 v0, 0xff, v8
	s_delay_alu instid0(VALU_DEP_1)
	v_cmpx_ne_u16_e32 0, v0
	s_cbranch_execz .LBB296_546
; %bb.539:                              ;   in Loop: Header=BB296_10 Depth=1
	v_mov_b32_e32 v89, 0x8000
	s_mov_b32 s16, exec_lo
	v_cmpx_ne_u16_e32 0x80, v0
	s_cbranch_execz .LBB296_545
; %bb.540:                              ;   in Loop: Header=BB296_10 Depth=1
	v_bfe_u32 v6, v4, 16, 7
	v_mov_b32_e32 v89, 0x7c01
	s_mov_b32 s17, exec_lo
	s_delay_alu instid0(VALU_DEP_2)
	v_cmpx_ne_u32_e32 0x7f, v6
	s_cbranch_execz .LBB296_544
; %bb.541:                              ;   in Loop: Header=BB296_10 Depth=1
	v_dual_lshrrev_b32 v1, 3, v6 :: v_dual_bitop2_b32 v0, 7, v8 bitop3:0x40
	s_mov_b32 s18, exec_lo
	v_cmpx_gt_u32_e32 8, v6
; %bb.542:                              ;   in Loop: Header=BB296_10 Depth=1
	s_delay_alu instid0(VALU_DEP_2) | instskip(NEXT) | instid1(VALU_DEP_1)
	v_clz_i32_u32_e32 v0, v0
	v_min_u32_e32 v6, 32, v0
	s_delay_alu instid0(VALU_DEP_1) | instskip(NEXT) | instid1(VALU_DEP_1)
	v_subrev_nc_u32_e32 v0, 28, v6
	v_lshlrev_b64_e32 v[0:1], v0, v[8:9]
	s_delay_alu instid0(VALU_DEP_1)
	v_dual_sub_nc_u32 v1, 29, v6 :: v_dual_bitop2_b32 v0, 7, v0 bitop3:0x40
; %bb.543:                              ;   in Loop: Header=BB296_10 Depth=1
	s_or_b32 exec_lo, exec_lo, s18
	v_lshlrev_b32_e32 v6, 8, v8
	s_delay_alu instid0(VALU_DEP_2) | instskip(NEXT) | instid1(VALU_DEP_3)
	v_lshl_add_u32 v1, v1, 10, 0x2000
	v_lshlrev_b32_e32 v0, 7, v0
	s_delay_alu instid0(VALU_DEP_3) | instskip(NEXT) | instid1(VALU_DEP_3)
	v_and_b32_e32 v6, 0x8000, v6
	v_and_b32_e32 v1, 0xfc00, v1
	s_delay_alu instid0(VALU_DEP_1)
	v_or3_b32 v89, v6, v1, v0
.LBB296_544:                            ;   in Loop: Header=BB296_10 Depth=1
	s_or_b32 exec_lo, exec_lo, s17
.LBB296_545:                            ;   in Loop: Header=BB296_10 Depth=1
	s_delay_alu instid0(SALU_CYCLE_1)
	s_or_b32 exec_lo, exec_lo, s16
.LBB296_546:                            ;   in Loop: Header=BB296_10 Depth=1
	s_delay_alu instid0(SALU_CYCLE_1)
	s_or_b32 exec_lo, exec_lo, s15
	v_dual_mov_b32 v29, 0 :: v_dual_mov_b32 v112, 0
	s_mov_b32 s15, exec_lo
	v_cmpx_lt_u32_e32 0xffffff, v4
	s_cbranch_execz .LBB296_554
; %bb.547:                              ;   in Loop: Header=BB296_10 Depth=1
	v_lshrrev_b32_e32 v24, 24, v4
	v_bfrev_b32_e32 v112, 1
	s_mov_b32 s16, exec_lo
	s_delay_alu instid0(VALU_DEP_2)
	v_cmpx_ne_u32_e32 0x80, v24
	s_cbranch_execz .LBB296_553
; %bb.548:                              ;   in Loop: Header=BB296_10 Depth=1
	v_and_b32_e32 v6, 0x7f, v24
	v_mov_b32_e32 v112, 0x7c010000
	s_mov_b32 s17, exec_lo
	s_delay_alu instid0(VALU_DEP_2)
	v_cmpx_ne_u32_e32 0x7f, v6
	s_cbranch_execz .LBB296_552
; %bb.549:                              ;   in Loop: Header=BB296_10 Depth=1
	v_dual_lshrrev_b32 v1, 3, v6 :: v_dual_bitop2_b32 v0, 7, v24 bitop3:0x40
	s_mov_b32 s18, exec_lo
	v_cmpx_gt_u32_e32 8, v6
; %bb.550:                              ;   in Loop: Header=BB296_10 Depth=1
	s_delay_alu instid0(VALU_DEP_2) | instskip(NEXT) | instid1(VALU_DEP_1)
	v_clz_i32_u32_e32 v0, v0
	v_min_u32_e32 v6, 32, v0
	s_delay_alu instid0(VALU_DEP_1) | instskip(NEXT) | instid1(VALU_DEP_1)
	v_subrev_nc_u32_e32 v0, 28, v6
	v_lshlrev_b64_e32 v[0:1], v0, v[24:25]
	s_delay_alu instid0(VALU_DEP_1)
	v_dual_sub_nc_u32 v1, 29, v6 :: v_dual_bitop2_b32 v0, 7, v0 bitop3:0x40
; %bb.551:                              ;   in Loop: Header=BB296_10 Depth=1
	s_or_b32 exec_lo, exec_lo, s18
	v_lshlrev_b32_e32 v6, 8, v24
	s_delay_alu instid0(VALU_DEP_2) | instskip(NEXT) | instid1(VALU_DEP_3)
	v_lshl_add_u32 v1, v1, 10, 0x2000
	v_lshlrev_b32_e32 v0, 23, v0
	s_delay_alu instid0(VALU_DEP_2) | instskip(NEXT) | instid1(VALU_DEP_1)
	v_and_or_b32 v1, 0x8000, v6, v1
	v_lshl_or_b32 v112, v1, 16, v0
.LBB296_552:                            ;   in Loop: Header=BB296_10 Depth=1
	s_or_b32 exec_lo, exec_lo, s17
.LBB296_553:                            ;   in Loop: Header=BB296_10 Depth=1
	s_delay_alu instid0(SALU_CYCLE_1)
	s_or_b32 exec_lo, exec_lo, s16
.LBB296_554:                            ;   in Loop: Header=BB296_10 Depth=1
	s_delay_alu instid0(SALU_CYCLE_1) | instskip(SKIP_3) | instid1(VALU_DEP_2)
	s_or_b32 exec_lo, exec_lo, s15
	v_and_b32_e32 v0, 0xff, v5
	v_mov_b32_e32 v24, v5
	s_mov_b32 s15, exec_lo
	v_cmpx_ne_u16_e32 0, v0
	s_cbranch_execz .LBB296_562
; %bb.555:                              ;   in Loop: Header=BB296_10 Depth=1
	v_mov_b32_e32 v29, 0x8000
	s_mov_b32 s16, exec_lo
	v_cmpx_ne_u16_e32 0x80, v0
	s_cbranch_execz .LBB296_561
; %bb.556:                              ;   in Loop: Header=BB296_10 Depth=1
	v_and_b32_e32 v6, 0x7f, v5
	v_mov_b32_e32 v29, 0x7c01
	s_mov_b32 s17, exec_lo
	s_delay_alu instid0(VALU_DEP_2)
	v_cmpx_ne_u32_e32 0x7f, v6
	s_cbranch_execz .LBB296_560
; %bb.557:                              ;   in Loop: Header=BB296_10 Depth=1
	v_dual_lshrrev_b32 v1, 3, v6 :: v_dual_bitop2_b32 v0, 7, v5 bitop3:0x40
	s_mov_b32 s18, exec_lo
	v_cmpx_gt_u32_e32 8, v6
; %bb.558:                              ;   in Loop: Header=BB296_10 Depth=1
	s_delay_alu instid0(VALU_DEP_2) | instskip(NEXT) | instid1(VALU_DEP_1)
	v_clz_i32_u32_e32 v0, v0
	v_min_u32_e32 v6, 32, v0
	s_delay_alu instid0(VALU_DEP_1) | instskip(NEXT) | instid1(VALU_DEP_1)
	v_subrev_nc_u32_e32 v0, 28, v6
	v_lshlrev_b64_e32 v[0:1], v0, v[24:25]
	s_delay_alu instid0(VALU_DEP_1)
	v_dual_sub_nc_u32 v1, 29, v6 :: v_dual_bitop2_b32 v0, 7, v0 bitop3:0x40
; %bb.559:                              ;   in Loop: Header=BB296_10 Depth=1
	s_or_b32 exec_lo, exec_lo, s18
	s_delay_alu instid0(VALU_DEP_1) | instskip(NEXT) | instid1(VALU_DEP_2)
	v_dual_lshlrev_b32 v6, 8, v5 :: v_dual_lshlrev_b32 v0, 7, v0
	v_lshl_add_u32 v1, v1, 10, 0x2000
	s_delay_alu instid0(VALU_DEP_2) | instskip(NEXT) | instid1(VALU_DEP_2)
	v_and_b32_e32 v6, 0x8000, v6
	v_and_b32_e32 v1, 0xfc00, v1
	s_delay_alu instid0(VALU_DEP_1)
	v_or3_b32 v29, v6, v1, v0
.LBB296_560:                            ;   in Loop: Header=BB296_10 Depth=1
	s_or_b32 exec_lo, exec_lo, s17
.LBB296_561:                            ;   in Loop: Header=BB296_10 Depth=1
	s_delay_alu instid0(SALU_CYCLE_1)
	s_or_b32 exec_lo, exec_lo, s16
.LBB296_562:                            ;   in Loop: Header=BB296_10 Depth=1
	s_delay_alu instid0(SALU_CYCLE_1) | instskip(SKIP_3) | instid1(VALU_DEP_2)
	s_or_b32 exec_lo, exec_lo, s15
	v_lshrrev_b16 v24, 8, v24
	v_dual_mov_b32 v118, 0 :: v_dual_mov_b32 v113, 0
	s_mov_b32 s15, exec_lo
	v_cmpx_ne_u16_e32 0, v24
	s_cbranch_execz .LBB296_570
; %bb.563:                              ;   in Loop: Header=BB296_10 Depth=1
	v_bfrev_b32_e32 v113, 1
	s_mov_b32 s16, exec_lo
	v_cmpx_ne_u16_e32 0x80, v24
	s_cbranch_execz .LBB296_569
; %bb.564:                              ;   in Loop: Header=BB296_10 Depth=1
	v_and_b32_e32 v0, 0xffff, v24
	v_mov_b32_e32 v113, 0x7c010000
	s_mov_b32 s17, exec_lo
	s_delay_alu instid0(VALU_DEP_2) | instskip(NEXT) | instid1(VALU_DEP_1)
	v_and_b32_e32 v7, 0x7f, v0
	v_cmpx_ne_u32_e32 0x7f, v7
	s_cbranch_execz .LBB296_568
; %bb.565:                              ;   in Loop: Header=BB296_10 Depth=1
	v_dual_lshrrev_b32 v6, 3, v7 :: v_dual_bitop2_b32 v1, 7, v0 bitop3:0x40
	s_mov_b32 s18, exec_lo
	v_cmpx_gt_u32_e32 8, v7
; %bb.566:                              ;   in Loop: Header=BB296_10 Depth=1
	s_delay_alu instid0(VALU_DEP_2) | instskip(NEXT) | instid1(VALU_DEP_1)
	v_clz_i32_u32_e32 v1, v1
	v_min_u32_e32 v1, 32, v1
	s_delay_alu instid0(VALU_DEP_1) | instskip(NEXT) | instid1(VALU_DEP_1)
	v_subrev_nc_u32_e32 v6, 28, v1
	v_lshlrev_b64_e32 v[8:9], v6, v[24:25]
	s_delay_alu instid0(VALU_DEP_1)
	v_dual_sub_nc_u32 v6, 29, v1 :: v_dual_bitop2_b32 v1, 7, v8 bitop3:0x40
; %bb.567:                              ;   in Loop: Header=BB296_10 Depth=1
	s_or_b32 exec_lo, exec_lo, s18
	s_delay_alu instid0(VALU_DEP_1) | instskip(NEXT) | instid1(VALU_DEP_2)
	v_dual_lshlrev_b32 v0, 8, v0 :: v_dual_lshlrev_b32 v1, 23, v1
	v_lshl_add_u32 v6, v6, 10, 0x2000
	s_delay_alu instid0(VALU_DEP_1) | instskip(NEXT) | instid1(VALU_DEP_1)
	v_and_or_b32 v0, 0x8000, v0, v6
	v_lshl_or_b32 v113, v0, 16, v1
.LBB296_568:                            ;   in Loop: Header=BB296_10 Depth=1
	s_or_b32 exec_lo, exec_lo, s17
.LBB296_569:                            ;   in Loop: Header=BB296_10 Depth=1
	s_delay_alu instid0(SALU_CYCLE_1)
	s_or_b32 exec_lo, exec_lo, s16
.LBB296_570:                            ;   in Loop: Header=BB296_10 Depth=1
	s_delay_alu instid0(SALU_CYCLE_1) | instskip(SKIP_2) | instid1(VALU_DEP_1)
	s_or_b32 exec_lo, exec_lo, s15
	v_lshrrev_b32_e32 v8, 16, v5
	s_mov_b32 s15, exec_lo
	v_and_b32_e32 v0, 0xff, v8
	s_delay_alu instid0(VALU_DEP_1)
	v_cmpx_ne_u16_e32 0, v0
	s_cbranch_execz .LBB296_578
; %bb.571:                              ;   in Loop: Header=BB296_10 Depth=1
	v_mov_b32_e32 v118, 0x8000
	s_mov_b32 s16, exec_lo
	v_cmpx_ne_u16_e32 0x80, v0
	s_cbranch_execz .LBB296_577
; %bb.572:                              ;   in Loop: Header=BB296_10 Depth=1
	v_bfe_u32 v6, v5, 16, 7
	v_mov_b32_e32 v118, 0x7c01
	s_mov_b32 s17, exec_lo
	s_delay_alu instid0(VALU_DEP_2)
	v_cmpx_ne_u32_e32 0x7f, v6
	s_cbranch_execz .LBB296_576
; %bb.573:                              ;   in Loop: Header=BB296_10 Depth=1
	v_dual_lshrrev_b32 v1, 3, v6 :: v_dual_bitop2_b32 v0, 7, v8 bitop3:0x40
	s_mov_b32 s18, exec_lo
	v_cmpx_gt_u32_e32 8, v6
; %bb.574:                              ;   in Loop: Header=BB296_10 Depth=1
	s_delay_alu instid0(VALU_DEP_2) | instskip(NEXT) | instid1(VALU_DEP_1)
	v_clz_i32_u32_e32 v0, v0
	v_min_u32_e32 v6, 32, v0
	s_delay_alu instid0(VALU_DEP_1) | instskip(NEXT) | instid1(VALU_DEP_1)
	v_subrev_nc_u32_e32 v0, 28, v6
	v_lshlrev_b64_e32 v[0:1], v0, v[8:9]
	s_delay_alu instid0(VALU_DEP_1)
	v_dual_sub_nc_u32 v1, 29, v6 :: v_dual_bitop2_b32 v0, 7, v0 bitop3:0x40
; %bb.575:                              ;   in Loop: Header=BB296_10 Depth=1
	s_or_b32 exec_lo, exec_lo, s18
	v_lshlrev_b32_e32 v6, 8, v8
	s_delay_alu instid0(VALU_DEP_2) | instskip(NEXT) | instid1(VALU_DEP_3)
	v_lshl_add_u32 v1, v1, 10, 0x2000
	v_lshlrev_b32_e32 v0, 7, v0
	s_delay_alu instid0(VALU_DEP_3) | instskip(NEXT) | instid1(VALU_DEP_3)
	v_and_b32_e32 v6, 0x8000, v6
	v_and_b32_e32 v1, 0xfc00, v1
	s_delay_alu instid0(VALU_DEP_1)
	v_or3_b32 v118, v6, v1, v0
.LBB296_576:                            ;   in Loop: Header=BB296_10 Depth=1
	s_or_b32 exec_lo, exec_lo, s17
.LBB296_577:                            ;   in Loop: Header=BB296_10 Depth=1
	s_delay_alu instid0(SALU_CYCLE_1)
	s_or_b32 exec_lo, exec_lo, s16
.LBB296_578:                            ;   in Loop: Header=BB296_10 Depth=1
	s_delay_alu instid0(SALU_CYCLE_1)
	s_or_b32 exec_lo, exec_lo, s15
	v_dual_mov_b32 v73, 0 :: v_dual_mov_b32 v61, 0
	s_mov_b32 s15, exec_lo
	v_cmpx_lt_u64_e64 s[2:3], v[4:5]
	s_cbranch_execz .LBB296_586
; %bb.579:                              ;   in Loop: Header=BB296_10 Depth=1
	v_lshrrev_b32_e32 v24, 24, v5
	v_bfrev_b32_e32 v61, 1
	s_mov_b32 s16, exec_lo
	s_delay_alu instid0(VALU_DEP_2)
	v_cmpx_ne_u32_e32 0x80, v24
	s_cbranch_execz .LBB296_585
; %bb.580:                              ;   in Loop: Header=BB296_10 Depth=1
	v_and_b32_e32 v4, 0x7f, v24
	v_mov_b32_e32 v61, 0x7c010000
	s_mov_b32 s17, exec_lo
	s_delay_alu instid0(VALU_DEP_2)
	v_cmpx_ne_u32_e32 0x7f, v4
	s_cbranch_execz .LBB296_584
; %bb.581:                              ;   in Loop: Header=BB296_10 Depth=1
	v_and_b32_e32 v0, 7, v24
	v_lshrrev_b32_e32 v1, 3, v4
	s_mov_b32 s18, exec_lo
	v_cmpx_gt_u32_e32 8, v4
; %bb.582:                              ;   in Loop: Header=BB296_10 Depth=1
	s_delay_alu instid0(VALU_DEP_3) | instskip(NEXT) | instid1(VALU_DEP_1)
	v_clz_i32_u32_e32 v0, v0
	v_min_u32_e32 v4, 32, v0
	s_delay_alu instid0(VALU_DEP_1) | instskip(NEXT) | instid1(VALU_DEP_1)
	v_subrev_nc_u32_e32 v0, 28, v4
	v_lshlrev_b64_e32 v[0:1], v0, v[24:25]
	v_sub_nc_u32_e32 v1, 29, v4
	s_delay_alu instid0(VALU_DEP_2)
	v_and_b32_e32 v0, 7, v0
; %bb.583:                              ;   in Loop: Header=BB296_10 Depth=1
	s_or_b32 exec_lo, exec_lo, s18
	v_lshlrev_b32_e32 v4, 8, v24
	s_delay_alu instid0(VALU_DEP_3) | instskip(NEXT) | instid1(VALU_DEP_3)
	v_lshl_add_u32 v1, v1, 10, 0x2000
	v_lshlrev_b32_e32 v0, 23, v0
	s_delay_alu instid0(VALU_DEP_2) | instskip(NEXT) | instid1(VALU_DEP_1)
	v_and_or_b32 v1, 0x8000, v4, v1
	v_lshl_or_b32 v61, v1, 16, v0
.LBB296_584:                            ;   in Loop: Header=BB296_10 Depth=1
	s_or_b32 exec_lo, exec_lo, s17
.LBB296_585:                            ;   in Loop: Header=BB296_10 Depth=1
	s_delay_alu instid0(SALU_CYCLE_1)
	s_or_b32 exec_lo, exec_lo, s16
.LBB296_586:                            ;   in Loop: Header=BB296_10 Depth=1
	s_delay_alu instid0(SALU_CYCLE_1)
	s_or_b32 exec_lo, exec_lo, s15
	flat_load_b64 v[4:5], v[2:3] offset:2056
	s_mov_b32 s15, exec_lo
	s_wait_loadcnt_dscnt 0x0
	v_and_b32_e32 v0, 0xff, v4
	s_wait_xcnt 0x0
	s_delay_alu instid0(VALU_DEP_1)
	v_cmpx_ne_u16_e32 0, v0
	s_cbranch_execz .LBB296_594
; %bb.587:                              ;   in Loop: Header=BB296_10 Depth=1
	v_mov_b32_e32 v73, 0x8000
	s_mov_b32 s16, exec_lo
	v_cmpx_ne_u16_e32 0x80, v0
	s_cbranch_execz .LBB296_593
; %bb.588:                              ;   in Loop: Header=BB296_10 Depth=1
	v_and_b32_e32 v6, 0x7f, v4
	v_mov_b32_e32 v73, 0x7c01
	s_mov_b32 s17, exec_lo
	s_delay_alu instid0(VALU_DEP_2)
	v_cmpx_ne_u32_e32 0x7f, v6
	s_cbranch_execz .LBB296_592
; %bb.589:                              ;   in Loop: Header=BB296_10 Depth=1
	v_dual_lshrrev_b32 v1, 3, v6 :: v_dual_bitop2_b32 v0, 7, v4 bitop3:0x40
	s_mov_b32 s18, exec_lo
	v_cmpx_gt_u32_e32 8, v6
; %bb.590:                              ;   in Loop: Header=BB296_10 Depth=1
	s_delay_alu instid0(VALU_DEP_2) | instskip(NEXT) | instid1(VALU_DEP_1)
	v_clz_i32_u32_e32 v0, v0
	v_min_u32_e32 v6, 32, v0
	s_delay_alu instid0(VALU_DEP_1) | instskip(NEXT) | instid1(VALU_DEP_1)
	v_subrev_nc_u32_e32 v0, 28, v6
	v_lshlrev_b64_e32 v[0:1], v0, v[4:5]
	s_delay_alu instid0(VALU_DEP_1)
	v_dual_sub_nc_u32 v1, 29, v6 :: v_dual_bitop2_b32 v0, 7, v0 bitop3:0x40
; %bb.591:                              ;   in Loop: Header=BB296_10 Depth=1
	s_or_b32 exec_lo, exec_lo, s18
	v_lshlrev_b32_e32 v6, 8, v4
	s_delay_alu instid0(VALU_DEP_2) | instskip(NEXT) | instid1(VALU_DEP_3)
	v_lshl_add_u32 v1, v1, 10, 0x2000
	v_lshlrev_b32_e32 v0, 7, v0
	s_delay_alu instid0(VALU_DEP_3) | instskip(NEXT) | instid1(VALU_DEP_3)
	v_and_b32_e32 v6, 0x8000, v6
	v_and_b32_e32 v1, 0xfc00, v1
	s_delay_alu instid0(VALU_DEP_1)
	v_or3_b32 v73, v6, v1, v0
.LBB296_592:                            ;   in Loop: Header=BB296_10 Depth=1
	s_or_b32 exec_lo, exec_lo, s17
.LBB296_593:                            ;   in Loop: Header=BB296_10 Depth=1
	s_delay_alu instid0(SALU_CYCLE_1)
	s_or_b32 exec_lo, exec_lo, s16
.LBB296_594:                            ;   in Loop: Header=BB296_10 Depth=1
	s_delay_alu instid0(SALU_CYCLE_1) | instskip(SKIP_3) | instid1(VALU_DEP_2)
	s_or_b32 exec_lo, exec_lo, s15
	v_lshrrev_b16 v24, 8, v4
	v_dual_mov_b32 v72, 0 :: v_dual_mov_b32 v119, 0
	s_mov_b32 s15, exec_lo
	v_cmpx_ne_u16_e32 0, v24
	s_cbranch_execz .LBB296_602
; %bb.595:                              ;   in Loop: Header=BB296_10 Depth=1
	v_bfrev_b32_e32 v119, 1
	s_mov_b32 s16, exec_lo
	v_cmpx_ne_u16_e32 0x80, v24
	s_cbranch_execz .LBB296_601
; %bb.596:                              ;   in Loop: Header=BB296_10 Depth=1
	v_and_b32_e32 v0, 0xffff, v24
	v_mov_b32_e32 v119, 0x7c010000
	s_mov_b32 s17, exec_lo
	s_delay_alu instid0(VALU_DEP_2) | instskip(NEXT) | instid1(VALU_DEP_1)
	v_and_b32_e32 v7, 0x7f, v0
	v_cmpx_ne_u32_e32 0x7f, v7
	s_cbranch_execz .LBB296_600
; %bb.597:                              ;   in Loop: Header=BB296_10 Depth=1
	v_dual_lshrrev_b32 v6, 3, v7 :: v_dual_bitop2_b32 v1, 7, v0 bitop3:0x40
	s_mov_b32 s18, exec_lo
	v_cmpx_gt_u32_e32 8, v7
; %bb.598:                              ;   in Loop: Header=BB296_10 Depth=1
	s_delay_alu instid0(VALU_DEP_2) | instskip(NEXT) | instid1(VALU_DEP_1)
	v_clz_i32_u32_e32 v1, v1
	v_min_u32_e32 v1, 32, v1
	s_delay_alu instid0(VALU_DEP_1) | instskip(NEXT) | instid1(VALU_DEP_1)
	v_subrev_nc_u32_e32 v6, 28, v1
	v_lshlrev_b64_e32 v[8:9], v6, v[24:25]
	s_delay_alu instid0(VALU_DEP_1)
	v_dual_sub_nc_u32 v6, 29, v1 :: v_dual_bitop2_b32 v1, 7, v8 bitop3:0x40
; %bb.599:                              ;   in Loop: Header=BB296_10 Depth=1
	s_or_b32 exec_lo, exec_lo, s18
	s_delay_alu instid0(VALU_DEP_1) | instskip(NEXT) | instid1(VALU_DEP_2)
	v_dual_lshlrev_b32 v0, 8, v0 :: v_dual_lshlrev_b32 v1, 23, v1
	v_lshl_add_u32 v6, v6, 10, 0x2000
	s_delay_alu instid0(VALU_DEP_1) | instskip(NEXT) | instid1(VALU_DEP_1)
	v_and_or_b32 v0, 0x8000, v0, v6
	v_lshl_or_b32 v119, v0, 16, v1
.LBB296_600:                            ;   in Loop: Header=BB296_10 Depth=1
	s_or_b32 exec_lo, exec_lo, s17
.LBB296_601:                            ;   in Loop: Header=BB296_10 Depth=1
	s_delay_alu instid0(SALU_CYCLE_1)
	s_or_b32 exec_lo, exec_lo, s16
.LBB296_602:                            ;   in Loop: Header=BB296_10 Depth=1
	s_delay_alu instid0(SALU_CYCLE_1) | instskip(SKIP_2) | instid1(VALU_DEP_1)
	s_or_b32 exec_lo, exec_lo, s15
	v_lshrrev_b32_e32 v8, 16, v4
	s_mov_b32 s15, exec_lo
	v_and_b32_e32 v0, 0xff, v8
	s_delay_alu instid0(VALU_DEP_1)
	v_cmpx_ne_u16_e32 0, v0
	s_cbranch_execz .LBB296_610
; %bb.603:                              ;   in Loop: Header=BB296_10 Depth=1
	v_mov_b32_e32 v72, 0x8000
	s_mov_b32 s16, exec_lo
	v_cmpx_ne_u16_e32 0x80, v0
	s_cbranch_execz .LBB296_609
; %bb.604:                              ;   in Loop: Header=BB296_10 Depth=1
	v_bfe_u32 v6, v4, 16, 7
	v_mov_b32_e32 v72, 0x7c01
	s_mov_b32 s17, exec_lo
	s_delay_alu instid0(VALU_DEP_2)
	v_cmpx_ne_u32_e32 0x7f, v6
	s_cbranch_execz .LBB296_608
; %bb.605:                              ;   in Loop: Header=BB296_10 Depth=1
	v_dual_lshrrev_b32 v1, 3, v6 :: v_dual_bitop2_b32 v0, 7, v8 bitop3:0x40
	s_mov_b32 s18, exec_lo
	v_cmpx_gt_u32_e32 8, v6
; %bb.606:                              ;   in Loop: Header=BB296_10 Depth=1
	s_delay_alu instid0(VALU_DEP_2) | instskip(NEXT) | instid1(VALU_DEP_1)
	v_clz_i32_u32_e32 v0, v0
	v_min_u32_e32 v6, 32, v0
	s_delay_alu instid0(VALU_DEP_1) | instskip(NEXT) | instid1(VALU_DEP_1)
	v_subrev_nc_u32_e32 v0, 28, v6
	v_lshlrev_b64_e32 v[0:1], v0, v[8:9]
	s_delay_alu instid0(VALU_DEP_1)
	v_dual_sub_nc_u32 v1, 29, v6 :: v_dual_bitop2_b32 v0, 7, v0 bitop3:0x40
; %bb.607:                              ;   in Loop: Header=BB296_10 Depth=1
	s_or_b32 exec_lo, exec_lo, s18
	v_lshlrev_b32_e32 v6, 8, v8
	s_delay_alu instid0(VALU_DEP_2) | instskip(NEXT) | instid1(VALU_DEP_3)
	v_lshl_add_u32 v1, v1, 10, 0x2000
	v_lshlrev_b32_e32 v0, 7, v0
	s_delay_alu instid0(VALU_DEP_3) | instskip(NEXT) | instid1(VALU_DEP_3)
	v_and_b32_e32 v6, 0x8000, v6
	v_and_b32_e32 v1, 0xfc00, v1
	s_delay_alu instid0(VALU_DEP_1)
	v_or3_b32 v72, v6, v1, v0
.LBB296_608:                            ;   in Loop: Header=BB296_10 Depth=1
	s_or_b32 exec_lo, exec_lo, s17
.LBB296_609:                            ;   in Loop: Header=BB296_10 Depth=1
	s_delay_alu instid0(SALU_CYCLE_1)
	s_or_b32 exec_lo, exec_lo, s16
.LBB296_610:                            ;   in Loop: Header=BB296_10 Depth=1
	s_delay_alu instid0(SALU_CYCLE_1)
	s_or_b32 exec_lo, exec_lo, s15
	v_dual_mov_b32 v62, 0 :: v_dual_mov_b32 v41, 0
	s_mov_b32 s15, exec_lo
	v_cmpx_lt_u32_e32 0xffffff, v4
	s_cbranch_execz .LBB296_618
; %bb.611:                              ;   in Loop: Header=BB296_10 Depth=1
	v_lshrrev_b32_e32 v24, 24, v4
	v_bfrev_b32_e32 v41, 1
	s_mov_b32 s16, exec_lo
	s_delay_alu instid0(VALU_DEP_2)
	v_cmpx_ne_u32_e32 0x80, v24
	s_cbranch_execz .LBB296_617
; %bb.612:                              ;   in Loop: Header=BB296_10 Depth=1
	v_and_b32_e32 v6, 0x7f, v24
	v_mov_b32_e32 v41, 0x7c010000
	s_mov_b32 s17, exec_lo
	s_delay_alu instid0(VALU_DEP_2)
	v_cmpx_ne_u32_e32 0x7f, v6
	s_cbranch_execz .LBB296_616
; %bb.613:                              ;   in Loop: Header=BB296_10 Depth=1
	v_dual_lshrrev_b32 v1, 3, v6 :: v_dual_bitop2_b32 v0, 7, v24 bitop3:0x40
	s_mov_b32 s18, exec_lo
	v_cmpx_gt_u32_e32 8, v6
; %bb.614:                              ;   in Loop: Header=BB296_10 Depth=1
	s_delay_alu instid0(VALU_DEP_2) | instskip(NEXT) | instid1(VALU_DEP_1)
	v_clz_i32_u32_e32 v0, v0
	v_min_u32_e32 v6, 32, v0
	s_delay_alu instid0(VALU_DEP_1) | instskip(NEXT) | instid1(VALU_DEP_1)
	v_subrev_nc_u32_e32 v0, 28, v6
	v_lshlrev_b64_e32 v[0:1], v0, v[24:25]
	s_delay_alu instid0(VALU_DEP_1)
	v_dual_sub_nc_u32 v1, 29, v6 :: v_dual_bitop2_b32 v0, 7, v0 bitop3:0x40
; %bb.615:                              ;   in Loop: Header=BB296_10 Depth=1
	s_or_b32 exec_lo, exec_lo, s18
	v_lshlrev_b32_e32 v6, 8, v24
	s_delay_alu instid0(VALU_DEP_2) | instskip(NEXT) | instid1(VALU_DEP_3)
	v_lshl_add_u32 v1, v1, 10, 0x2000
	v_lshlrev_b32_e32 v0, 23, v0
	s_delay_alu instid0(VALU_DEP_2) | instskip(NEXT) | instid1(VALU_DEP_1)
	v_and_or_b32 v1, 0x8000, v6, v1
	v_lshl_or_b32 v41, v1, 16, v0
.LBB296_616:                            ;   in Loop: Header=BB296_10 Depth=1
	s_or_b32 exec_lo, exec_lo, s17
.LBB296_617:                            ;   in Loop: Header=BB296_10 Depth=1
	s_delay_alu instid0(SALU_CYCLE_1)
	s_or_b32 exec_lo, exec_lo, s16
.LBB296_618:                            ;   in Loop: Header=BB296_10 Depth=1
	s_delay_alu instid0(SALU_CYCLE_1) | instskip(SKIP_3) | instid1(VALU_DEP_2)
	s_or_b32 exec_lo, exec_lo, s15
	v_and_b32_e32 v0, 0xff, v5
	v_mov_b32_e32 v24, v5
	s_mov_b32 s15, exec_lo
	v_cmpx_ne_u16_e32 0, v0
	s_cbranch_execz .LBB296_626
; %bb.619:                              ;   in Loop: Header=BB296_10 Depth=1
	v_mov_b32_e32 v62, 0x8000
	s_mov_b32 s16, exec_lo
	v_cmpx_ne_u16_e32 0x80, v0
	s_cbranch_execz .LBB296_625
; %bb.620:                              ;   in Loop: Header=BB296_10 Depth=1
	v_and_b32_e32 v6, 0x7f, v5
	v_mov_b32_e32 v62, 0x7c01
	s_mov_b32 s17, exec_lo
	s_delay_alu instid0(VALU_DEP_2)
	v_cmpx_ne_u32_e32 0x7f, v6
	s_cbranch_execz .LBB296_624
; %bb.621:                              ;   in Loop: Header=BB296_10 Depth=1
	v_dual_lshrrev_b32 v1, 3, v6 :: v_dual_bitop2_b32 v0, 7, v5 bitop3:0x40
	s_mov_b32 s18, exec_lo
	v_cmpx_gt_u32_e32 8, v6
; %bb.622:                              ;   in Loop: Header=BB296_10 Depth=1
	s_delay_alu instid0(VALU_DEP_2) | instskip(NEXT) | instid1(VALU_DEP_1)
	v_clz_i32_u32_e32 v0, v0
	v_min_u32_e32 v6, 32, v0
	s_delay_alu instid0(VALU_DEP_1) | instskip(NEXT) | instid1(VALU_DEP_1)
	v_subrev_nc_u32_e32 v0, 28, v6
	v_lshlrev_b64_e32 v[0:1], v0, v[24:25]
	s_delay_alu instid0(VALU_DEP_1)
	v_dual_sub_nc_u32 v1, 29, v6 :: v_dual_bitop2_b32 v0, 7, v0 bitop3:0x40
; %bb.623:                              ;   in Loop: Header=BB296_10 Depth=1
	s_or_b32 exec_lo, exec_lo, s18
	s_delay_alu instid0(VALU_DEP_1) | instskip(NEXT) | instid1(VALU_DEP_2)
	v_dual_lshlrev_b32 v6, 8, v5 :: v_dual_lshlrev_b32 v0, 7, v0
	v_lshl_add_u32 v1, v1, 10, 0x2000
	s_delay_alu instid0(VALU_DEP_2) | instskip(NEXT) | instid1(VALU_DEP_2)
	v_and_b32_e32 v6, 0x8000, v6
	v_and_b32_e32 v1, 0xfc00, v1
	s_delay_alu instid0(VALU_DEP_1)
	v_or3_b32 v62, v6, v1, v0
.LBB296_624:                            ;   in Loop: Header=BB296_10 Depth=1
	s_or_b32 exec_lo, exec_lo, s17
.LBB296_625:                            ;   in Loop: Header=BB296_10 Depth=1
	s_delay_alu instid0(SALU_CYCLE_1)
	s_or_b32 exec_lo, exec_lo, s16
.LBB296_626:                            ;   in Loop: Header=BB296_10 Depth=1
	s_delay_alu instid0(SALU_CYCLE_1) | instskip(SKIP_3) | instid1(VALU_DEP_2)
	s_or_b32 exec_lo, exec_lo, s15
	v_lshrrev_b16 v24, 8, v24
	v_dual_mov_b32 v40, 0 :: v_dual_mov_b32 v75, 0
	s_mov_b32 s15, exec_lo
	v_cmpx_ne_u16_e32 0, v24
	s_cbranch_execz .LBB296_634
; %bb.627:                              ;   in Loop: Header=BB296_10 Depth=1
	v_bfrev_b32_e32 v75, 1
	s_mov_b32 s16, exec_lo
	v_cmpx_ne_u16_e32 0x80, v24
	s_cbranch_execz .LBB296_633
; %bb.628:                              ;   in Loop: Header=BB296_10 Depth=1
	v_and_b32_e32 v0, 0xffff, v24
	v_mov_b32_e32 v75, 0x7c010000
	s_mov_b32 s17, exec_lo
	s_delay_alu instid0(VALU_DEP_2) | instskip(NEXT) | instid1(VALU_DEP_1)
	v_and_b32_e32 v7, 0x7f, v0
	v_cmpx_ne_u32_e32 0x7f, v7
	s_cbranch_execz .LBB296_632
; %bb.629:                              ;   in Loop: Header=BB296_10 Depth=1
	v_dual_lshrrev_b32 v6, 3, v7 :: v_dual_bitop2_b32 v1, 7, v0 bitop3:0x40
	s_mov_b32 s18, exec_lo
	v_cmpx_gt_u32_e32 8, v7
; %bb.630:                              ;   in Loop: Header=BB296_10 Depth=1
	s_delay_alu instid0(VALU_DEP_2) | instskip(NEXT) | instid1(VALU_DEP_1)
	v_clz_i32_u32_e32 v1, v1
	v_min_u32_e32 v1, 32, v1
	s_delay_alu instid0(VALU_DEP_1) | instskip(NEXT) | instid1(VALU_DEP_1)
	v_subrev_nc_u32_e32 v6, 28, v1
	v_lshlrev_b64_e32 v[8:9], v6, v[24:25]
	s_delay_alu instid0(VALU_DEP_1)
	v_dual_sub_nc_u32 v6, 29, v1 :: v_dual_bitop2_b32 v1, 7, v8 bitop3:0x40
; %bb.631:                              ;   in Loop: Header=BB296_10 Depth=1
	s_or_b32 exec_lo, exec_lo, s18
	s_delay_alu instid0(VALU_DEP_1) | instskip(NEXT) | instid1(VALU_DEP_2)
	v_dual_lshlrev_b32 v0, 8, v0 :: v_dual_lshlrev_b32 v1, 23, v1
	v_lshl_add_u32 v6, v6, 10, 0x2000
	s_delay_alu instid0(VALU_DEP_1) | instskip(NEXT) | instid1(VALU_DEP_1)
	v_and_or_b32 v0, 0x8000, v0, v6
	v_lshl_or_b32 v75, v0, 16, v1
.LBB296_632:                            ;   in Loop: Header=BB296_10 Depth=1
	s_or_b32 exec_lo, exec_lo, s17
.LBB296_633:                            ;   in Loop: Header=BB296_10 Depth=1
	s_delay_alu instid0(SALU_CYCLE_1)
	s_or_b32 exec_lo, exec_lo, s16
.LBB296_634:                            ;   in Loop: Header=BB296_10 Depth=1
	s_delay_alu instid0(SALU_CYCLE_1) | instskip(SKIP_2) | instid1(VALU_DEP_1)
	s_or_b32 exec_lo, exec_lo, s15
	v_lshrrev_b32_e32 v8, 16, v5
	s_mov_b32 s15, exec_lo
	v_and_b32_e32 v0, 0xff, v8
	s_delay_alu instid0(VALU_DEP_1)
	v_cmpx_ne_u16_e32 0, v0
	s_cbranch_execz .LBB296_642
; %bb.635:                              ;   in Loop: Header=BB296_10 Depth=1
	v_mov_b32_e32 v40, 0x8000
	s_mov_b32 s16, exec_lo
	v_cmpx_ne_u16_e32 0x80, v0
	s_cbranch_execz .LBB296_641
; %bb.636:                              ;   in Loop: Header=BB296_10 Depth=1
	v_bfe_u32 v6, v5, 16, 7
	v_mov_b32_e32 v40, 0x7c01
	s_mov_b32 s17, exec_lo
	s_delay_alu instid0(VALU_DEP_2)
	v_cmpx_ne_u32_e32 0x7f, v6
	s_cbranch_execz .LBB296_640
; %bb.637:                              ;   in Loop: Header=BB296_10 Depth=1
	v_dual_lshrrev_b32 v1, 3, v6 :: v_dual_bitop2_b32 v0, 7, v8 bitop3:0x40
	s_mov_b32 s18, exec_lo
	v_cmpx_gt_u32_e32 8, v6
; %bb.638:                              ;   in Loop: Header=BB296_10 Depth=1
	s_delay_alu instid0(VALU_DEP_2) | instskip(NEXT) | instid1(VALU_DEP_1)
	v_clz_i32_u32_e32 v0, v0
	v_min_u32_e32 v6, 32, v0
	s_delay_alu instid0(VALU_DEP_1) | instskip(NEXT) | instid1(VALU_DEP_1)
	v_subrev_nc_u32_e32 v0, 28, v6
	v_lshlrev_b64_e32 v[0:1], v0, v[8:9]
	s_delay_alu instid0(VALU_DEP_1)
	v_dual_sub_nc_u32 v1, 29, v6 :: v_dual_bitop2_b32 v0, 7, v0 bitop3:0x40
; %bb.639:                              ;   in Loop: Header=BB296_10 Depth=1
	s_or_b32 exec_lo, exec_lo, s18
	v_lshlrev_b32_e32 v6, 8, v8
	s_delay_alu instid0(VALU_DEP_2) | instskip(NEXT) | instid1(VALU_DEP_3)
	v_lshl_add_u32 v1, v1, 10, 0x2000
	v_lshlrev_b32_e32 v0, 7, v0
	s_delay_alu instid0(VALU_DEP_3) | instskip(NEXT) | instid1(VALU_DEP_3)
	v_and_b32_e32 v6, 0x8000, v6
	v_and_b32_e32 v1, 0xfc00, v1
	s_delay_alu instid0(VALU_DEP_1)
	v_or3_b32 v40, v6, v1, v0
.LBB296_640:                            ;   in Loop: Header=BB296_10 Depth=1
	s_or_b32 exec_lo, exec_lo, s17
.LBB296_641:                            ;   in Loop: Header=BB296_10 Depth=1
	s_delay_alu instid0(SALU_CYCLE_1)
	s_or_b32 exec_lo, exec_lo, s16
.LBB296_642:                            ;   in Loop: Header=BB296_10 Depth=1
	s_delay_alu instid0(SALU_CYCLE_1)
	s_or_b32 exec_lo, exec_lo, s15
	v_dual_mov_b32 v74, 0 :: v_dual_mov_b32 v94, 0
	s_mov_b32 s15, exec_lo
	v_cmpx_lt_u64_e64 s[2:3], v[4:5]
	s_cbranch_execz .LBB296_650
; %bb.643:                              ;   in Loop: Header=BB296_10 Depth=1
	v_lshrrev_b32_e32 v24, 24, v5
	v_bfrev_b32_e32 v94, 1
	s_mov_b32 s16, exec_lo
	s_delay_alu instid0(VALU_DEP_2)
	v_cmpx_ne_u32_e32 0x80, v24
	s_cbranch_execz .LBB296_649
; %bb.644:                              ;   in Loop: Header=BB296_10 Depth=1
	v_and_b32_e32 v4, 0x7f, v24
	v_mov_b32_e32 v94, 0x7c010000
	s_mov_b32 s17, exec_lo
	s_delay_alu instid0(VALU_DEP_2)
	v_cmpx_ne_u32_e32 0x7f, v4
	s_cbranch_execz .LBB296_648
; %bb.645:                              ;   in Loop: Header=BB296_10 Depth=1
	v_and_b32_e32 v0, 7, v24
	v_lshrrev_b32_e32 v1, 3, v4
	s_mov_b32 s18, exec_lo
	v_cmpx_gt_u32_e32 8, v4
; %bb.646:                              ;   in Loop: Header=BB296_10 Depth=1
	s_delay_alu instid0(VALU_DEP_3) | instskip(NEXT) | instid1(VALU_DEP_1)
	v_clz_i32_u32_e32 v0, v0
	v_min_u32_e32 v4, 32, v0
	s_delay_alu instid0(VALU_DEP_1) | instskip(NEXT) | instid1(VALU_DEP_1)
	v_subrev_nc_u32_e32 v0, 28, v4
	v_lshlrev_b64_e32 v[0:1], v0, v[24:25]
	v_sub_nc_u32_e32 v1, 29, v4
	s_delay_alu instid0(VALU_DEP_2)
	v_and_b32_e32 v0, 7, v0
; %bb.647:                              ;   in Loop: Header=BB296_10 Depth=1
	s_or_b32 exec_lo, exec_lo, s18
	v_lshlrev_b32_e32 v4, 8, v24
	s_delay_alu instid0(VALU_DEP_3) | instskip(NEXT) | instid1(VALU_DEP_3)
	v_lshl_add_u32 v1, v1, 10, 0x2000
	v_lshlrev_b32_e32 v0, 23, v0
	s_delay_alu instid0(VALU_DEP_2) | instskip(NEXT) | instid1(VALU_DEP_1)
	v_and_or_b32 v1, 0x8000, v4, v1
	v_lshl_or_b32 v94, v1, 16, v0
.LBB296_648:                            ;   in Loop: Header=BB296_10 Depth=1
	s_or_b32 exec_lo, exec_lo, s17
.LBB296_649:                            ;   in Loop: Header=BB296_10 Depth=1
	s_delay_alu instid0(SALU_CYCLE_1)
	s_or_b32 exec_lo, exec_lo, s16
.LBB296_650:                            ;   in Loop: Header=BB296_10 Depth=1
	s_delay_alu instid0(SALU_CYCLE_1)
	s_or_b32 exec_lo, exec_lo, s15
	flat_load_b64 v[4:5], v[2:3] offset:2560
	s_mov_b32 s15, exec_lo
	s_wait_loadcnt_dscnt 0x0
	v_and_b32_e32 v0, 0xff, v4
	s_wait_xcnt 0x0
	s_delay_alu instid0(VALU_DEP_1)
	v_cmpx_ne_u16_e32 0, v0
	s_cbranch_execz .LBB296_658
; %bb.651:                              ;   in Loop: Header=BB296_10 Depth=1
	v_mov_b32_e32 v74, 0x8000
	s_mov_b32 s16, exec_lo
	v_cmpx_ne_u16_e32 0x80, v0
	s_cbranch_execz .LBB296_657
; %bb.652:                              ;   in Loop: Header=BB296_10 Depth=1
	v_and_b32_e32 v6, 0x7f, v4
	v_mov_b32_e32 v74, 0x7c01
	s_mov_b32 s17, exec_lo
	s_delay_alu instid0(VALU_DEP_2)
	v_cmpx_ne_u32_e32 0x7f, v6
	s_cbranch_execz .LBB296_656
; %bb.653:                              ;   in Loop: Header=BB296_10 Depth=1
	v_dual_lshrrev_b32 v1, 3, v6 :: v_dual_bitop2_b32 v0, 7, v4 bitop3:0x40
	s_mov_b32 s18, exec_lo
	v_cmpx_gt_u32_e32 8, v6
; %bb.654:                              ;   in Loop: Header=BB296_10 Depth=1
	s_delay_alu instid0(VALU_DEP_2) | instskip(NEXT) | instid1(VALU_DEP_1)
	v_clz_i32_u32_e32 v0, v0
	v_min_u32_e32 v6, 32, v0
	s_delay_alu instid0(VALU_DEP_1) | instskip(NEXT) | instid1(VALU_DEP_1)
	v_subrev_nc_u32_e32 v0, 28, v6
	v_lshlrev_b64_e32 v[0:1], v0, v[4:5]
	s_delay_alu instid0(VALU_DEP_1)
	v_dual_sub_nc_u32 v1, 29, v6 :: v_dual_bitop2_b32 v0, 7, v0 bitop3:0x40
; %bb.655:                              ;   in Loop: Header=BB296_10 Depth=1
	s_or_b32 exec_lo, exec_lo, s18
	v_lshlrev_b32_e32 v6, 8, v4
	s_delay_alu instid0(VALU_DEP_2) | instskip(NEXT) | instid1(VALU_DEP_3)
	v_lshl_add_u32 v1, v1, 10, 0x2000
	v_lshlrev_b32_e32 v0, 7, v0
	s_delay_alu instid0(VALU_DEP_3) | instskip(NEXT) | instid1(VALU_DEP_3)
	v_and_b32_e32 v6, 0x8000, v6
	v_and_b32_e32 v1, 0xfc00, v1
	s_delay_alu instid0(VALU_DEP_1)
	v_or3_b32 v74, v6, v1, v0
.LBB296_656:                            ;   in Loop: Header=BB296_10 Depth=1
	s_or_b32 exec_lo, exec_lo, s17
.LBB296_657:                            ;   in Loop: Header=BB296_10 Depth=1
	s_delay_alu instid0(SALU_CYCLE_1)
	s_or_b32 exec_lo, exec_lo, s16
.LBB296_658:                            ;   in Loop: Header=BB296_10 Depth=1
	s_delay_alu instid0(SALU_CYCLE_1) | instskip(SKIP_3) | instid1(VALU_DEP_2)
	s_or_b32 exec_lo, exec_lo, s15
	v_lshrrev_b16 v24, 8, v4
	v_dual_mov_b32 v125, 0 :: v_dual_mov_b32 v95, 0
	s_mov_b32 s15, exec_lo
	v_cmpx_ne_u16_e32 0, v24
	s_cbranch_execz .LBB296_666
; %bb.659:                              ;   in Loop: Header=BB296_10 Depth=1
	v_bfrev_b32_e32 v95, 1
	s_mov_b32 s16, exec_lo
	v_cmpx_ne_u16_e32 0x80, v24
	s_cbranch_execz .LBB296_665
; %bb.660:                              ;   in Loop: Header=BB296_10 Depth=1
	v_and_b32_e32 v0, 0xffff, v24
	v_mov_b32_e32 v95, 0x7c010000
	s_mov_b32 s17, exec_lo
	s_delay_alu instid0(VALU_DEP_2) | instskip(NEXT) | instid1(VALU_DEP_1)
	v_and_b32_e32 v7, 0x7f, v0
	v_cmpx_ne_u32_e32 0x7f, v7
	s_cbranch_execz .LBB296_664
; %bb.661:                              ;   in Loop: Header=BB296_10 Depth=1
	v_dual_lshrrev_b32 v6, 3, v7 :: v_dual_bitop2_b32 v1, 7, v0 bitop3:0x40
	s_mov_b32 s18, exec_lo
	v_cmpx_gt_u32_e32 8, v7
; %bb.662:                              ;   in Loop: Header=BB296_10 Depth=1
	s_delay_alu instid0(VALU_DEP_2) | instskip(NEXT) | instid1(VALU_DEP_1)
	v_clz_i32_u32_e32 v1, v1
	v_min_u32_e32 v1, 32, v1
	s_delay_alu instid0(VALU_DEP_1) | instskip(NEXT) | instid1(VALU_DEP_1)
	v_subrev_nc_u32_e32 v6, 28, v1
	v_lshlrev_b64_e32 v[8:9], v6, v[24:25]
	s_delay_alu instid0(VALU_DEP_1)
	v_dual_sub_nc_u32 v6, 29, v1 :: v_dual_bitop2_b32 v1, 7, v8 bitop3:0x40
; %bb.663:                              ;   in Loop: Header=BB296_10 Depth=1
	s_or_b32 exec_lo, exec_lo, s18
	s_delay_alu instid0(VALU_DEP_1) | instskip(NEXT) | instid1(VALU_DEP_2)
	v_dual_lshlrev_b32 v0, 8, v0 :: v_dual_lshlrev_b32 v1, 23, v1
	v_lshl_add_u32 v6, v6, 10, 0x2000
	s_delay_alu instid0(VALU_DEP_1) | instskip(NEXT) | instid1(VALU_DEP_1)
	v_and_or_b32 v0, 0x8000, v0, v6
	v_lshl_or_b32 v95, v0, 16, v1
.LBB296_664:                            ;   in Loop: Header=BB296_10 Depth=1
	s_or_b32 exec_lo, exec_lo, s17
.LBB296_665:                            ;   in Loop: Header=BB296_10 Depth=1
	s_delay_alu instid0(SALU_CYCLE_1)
	s_or_b32 exec_lo, exec_lo, s16
.LBB296_666:                            ;   in Loop: Header=BB296_10 Depth=1
	s_delay_alu instid0(SALU_CYCLE_1) | instskip(SKIP_2) | instid1(VALU_DEP_1)
	s_or_b32 exec_lo, exec_lo, s15
	v_lshrrev_b32_e32 v8, 16, v4
	s_mov_b32 s15, exec_lo
	v_and_b32_e32 v0, 0xff, v8
	s_delay_alu instid0(VALU_DEP_1)
	v_cmpx_ne_u16_e32 0, v0
	s_cbranch_execz .LBB296_674
; %bb.667:                              ;   in Loop: Header=BB296_10 Depth=1
	v_mov_b32_e32 v125, 0x8000
	s_mov_b32 s16, exec_lo
	v_cmpx_ne_u16_e32 0x80, v0
	s_cbranch_execz .LBB296_673
; %bb.668:                              ;   in Loop: Header=BB296_10 Depth=1
	v_bfe_u32 v6, v4, 16, 7
	v_mov_b32_e32 v125, 0x7c01
	s_mov_b32 s17, exec_lo
	s_delay_alu instid0(VALU_DEP_2)
	v_cmpx_ne_u32_e32 0x7f, v6
	s_cbranch_execz .LBB296_672
; %bb.669:                              ;   in Loop: Header=BB296_10 Depth=1
	v_dual_lshrrev_b32 v1, 3, v6 :: v_dual_bitop2_b32 v0, 7, v8 bitop3:0x40
	s_mov_b32 s18, exec_lo
	v_cmpx_gt_u32_e32 8, v6
; %bb.670:                              ;   in Loop: Header=BB296_10 Depth=1
	s_delay_alu instid0(VALU_DEP_2) | instskip(NEXT) | instid1(VALU_DEP_1)
	v_clz_i32_u32_e32 v0, v0
	v_min_u32_e32 v6, 32, v0
	s_delay_alu instid0(VALU_DEP_1) | instskip(NEXT) | instid1(VALU_DEP_1)
	v_subrev_nc_u32_e32 v0, 28, v6
	v_lshlrev_b64_e32 v[0:1], v0, v[8:9]
	s_delay_alu instid0(VALU_DEP_1)
	v_dual_sub_nc_u32 v1, 29, v6 :: v_dual_bitop2_b32 v0, 7, v0 bitop3:0x40
; %bb.671:                              ;   in Loop: Header=BB296_10 Depth=1
	s_or_b32 exec_lo, exec_lo, s18
	v_lshlrev_b32_e32 v6, 8, v8
	s_delay_alu instid0(VALU_DEP_2) | instskip(NEXT) | instid1(VALU_DEP_3)
	v_lshl_add_u32 v1, v1, 10, 0x2000
	v_lshlrev_b32_e32 v0, 7, v0
	s_delay_alu instid0(VALU_DEP_3) | instskip(NEXT) | instid1(VALU_DEP_3)
	v_and_b32_e32 v6, 0x8000, v6
	v_and_b32_e32 v1, 0xfc00, v1
	s_delay_alu instid0(VALU_DEP_1)
	v_or3_b32 v125, v6, v1, v0
.LBB296_672:                            ;   in Loop: Header=BB296_10 Depth=1
	s_or_b32 exec_lo, exec_lo, s17
.LBB296_673:                            ;   in Loop: Header=BB296_10 Depth=1
	s_delay_alu instid0(SALU_CYCLE_1)
	s_or_b32 exec_lo, exec_lo, s16
.LBB296_674:                            ;   in Loop: Header=BB296_10 Depth=1
	s_delay_alu instid0(SALU_CYCLE_1)
	s_or_b32 exec_lo, exec_lo, s15
	v_dual_mov_b32 v124, 0 :: v_dual_mov_b32 v104, 0
	s_mov_b32 s15, exec_lo
	v_cmpx_lt_u32_e32 0xffffff, v4
	s_cbranch_execz .LBB296_682
; %bb.675:                              ;   in Loop: Header=BB296_10 Depth=1
	v_lshrrev_b32_e32 v24, 24, v4
	v_bfrev_b32_e32 v104, 1
	s_mov_b32 s16, exec_lo
	s_delay_alu instid0(VALU_DEP_2)
	v_cmpx_ne_u32_e32 0x80, v24
	s_cbranch_execz .LBB296_681
; %bb.676:                              ;   in Loop: Header=BB296_10 Depth=1
	v_and_b32_e32 v6, 0x7f, v24
	v_mov_b32_e32 v104, 0x7c010000
	s_mov_b32 s17, exec_lo
	s_delay_alu instid0(VALU_DEP_2)
	v_cmpx_ne_u32_e32 0x7f, v6
	s_cbranch_execz .LBB296_680
; %bb.677:                              ;   in Loop: Header=BB296_10 Depth=1
	v_dual_lshrrev_b32 v1, 3, v6 :: v_dual_bitop2_b32 v0, 7, v24 bitop3:0x40
	s_mov_b32 s18, exec_lo
	v_cmpx_gt_u32_e32 8, v6
; %bb.678:                              ;   in Loop: Header=BB296_10 Depth=1
	s_delay_alu instid0(VALU_DEP_2) | instskip(NEXT) | instid1(VALU_DEP_1)
	v_clz_i32_u32_e32 v0, v0
	v_min_u32_e32 v6, 32, v0
	s_delay_alu instid0(VALU_DEP_1) | instskip(NEXT) | instid1(VALU_DEP_1)
	v_subrev_nc_u32_e32 v0, 28, v6
	v_lshlrev_b64_e32 v[0:1], v0, v[24:25]
	s_delay_alu instid0(VALU_DEP_1)
	v_dual_sub_nc_u32 v1, 29, v6 :: v_dual_bitop2_b32 v0, 7, v0 bitop3:0x40
; %bb.679:                              ;   in Loop: Header=BB296_10 Depth=1
	s_or_b32 exec_lo, exec_lo, s18
	v_lshlrev_b32_e32 v6, 8, v24
	s_delay_alu instid0(VALU_DEP_2) | instskip(NEXT) | instid1(VALU_DEP_3)
	v_lshl_add_u32 v1, v1, 10, 0x2000
	v_lshlrev_b32_e32 v0, 23, v0
	s_delay_alu instid0(VALU_DEP_2) | instskip(NEXT) | instid1(VALU_DEP_1)
	v_and_or_b32 v1, 0x8000, v6, v1
	v_lshl_or_b32 v104, v1, 16, v0
.LBB296_680:                            ;   in Loop: Header=BB296_10 Depth=1
	s_or_b32 exec_lo, exec_lo, s17
.LBB296_681:                            ;   in Loop: Header=BB296_10 Depth=1
	s_delay_alu instid0(SALU_CYCLE_1)
	s_or_b32 exec_lo, exec_lo, s16
.LBB296_682:                            ;   in Loop: Header=BB296_10 Depth=1
	s_delay_alu instid0(SALU_CYCLE_1) | instskip(SKIP_3) | instid1(VALU_DEP_2)
	s_or_b32 exec_lo, exec_lo, s15
	v_and_b32_e32 v0, 0xff, v5
	v_mov_b32_e32 v24, v5
	s_mov_b32 s15, exec_lo
	v_cmpx_ne_u16_e32 0, v0
	s_cbranch_execz .LBB296_690
; %bb.683:                              ;   in Loop: Header=BB296_10 Depth=1
	v_mov_b32_e32 v124, 0x8000
	s_mov_b32 s16, exec_lo
	v_cmpx_ne_u16_e32 0x80, v0
	s_cbranch_execz .LBB296_689
; %bb.684:                              ;   in Loop: Header=BB296_10 Depth=1
	v_and_b32_e32 v6, 0x7f, v5
	v_mov_b32_e32 v124, 0x7c01
	s_mov_b32 s17, exec_lo
	s_delay_alu instid0(VALU_DEP_2)
	v_cmpx_ne_u32_e32 0x7f, v6
	s_cbranch_execz .LBB296_688
; %bb.685:                              ;   in Loop: Header=BB296_10 Depth=1
	v_dual_lshrrev_b32 v1, 3, v6 :: v_dual_bitop2_b32 v0, 7, v5 bitop3:0x40
	s_mov_b32 s18, exec_lo
	v_cmpx_gt_u32_e32 8, v6
; %bb.686:                              ;   in Loop: Header=BB296_10 Depth=1
	s_delay_alu instid0(VALU_DEP_2) | instskip(NEXT) | instid1(VALU_DEP_1)
	v_clz_i32_u32_e32 v0, v0
	v_min_u32_e32 v6, 32, v0
	s_delay_alu instid0(VALU_DEP_1) | instskip(NEXT) | instid1(VALU_DEP_1)
	v_subrev_nc_u32_e32 v0, 28, v6
	v_lshlrev_b64_e32 v[0:1], v0, v[24:25]
	s_delay_alu instid0(VALU_DEP_1)
	v_dual_sub_nc_u32 v1, 29, v6 :: v_dual_bitop2_b32 v0, 7, v0 bitop3:0x40
; %bb.687:                              ;   in Loop: Header=BB296_10 Depth=1
	s_or_b32 exec_lo, exec_lo, s18
	s_delay_alu instid0(VALU_DEP_1) | instskip(NEXT) | instid1(VALU_DEP_2)
	v_dual_lshlrev_b32 v6, 8, v5 :: v_dual_lshlrev_b32 v0, 7, v0
	v_lshl_add_u32 v1, v1, 10, 0x2000
	s_delay_alu instid0(VALU_DEP_2) | instskip(NEXT) | instid1(VALU_DEP_2)
	v_and_b32_e32 v6, 0x8000, v6
	v_and_b32_e32 v1, 0xfc00, v1
	s_delay_alu instid0(VALU_DEP_1)
	v_or3_b32 v124, v6, v1, v0
.LBB296_688:                            ;   in Loop: Header=BB296_10 Depth=1
	s_or_b32 exec_lo, exec_lo, s17
.LBB296_689:                            ;   in Loop: Header=BB296_10 Depth=1
	s_delay_alu instid0(SALU_CYCLE_1)
	s_or_b32 exec_lo, exec_lo, s16
.LBB296_690:                            ;   in Loop: Header=BB296_10 Depth=1
	s_delay_alu instid0(SALU_CYCLE_1) | instskip(SKIP_3) | instid1(VALU_DEP_2)
	s_or_b32 exec_lo, exec_lo, s15
	v_lshrrev_b16 v24, 8, v24
	v_dual_mov_b32 v16, 0 :: v_dual_mov_b32 v126, 0
	s_mov_b32 s15, exec_lo
	v_cmpx_ne_u16_e32 0, v24
	s_cbranch_execz .LBB296_698
; %bb.691:                              ;   in Loop: Header=BB296_10 Depth=1
	v_bfrev_b32_e32 v126, 1
	s_mov_b32 s16, exec_lo
	v_cmpx_ne_u16_e32 0x80, v24
	s_cbranch_execz .LBB296_697
; %bb.692:                              ;   in Loop: Header=BB296_10 Depth=1
	v_and_b32_e32 v0, 0xffff, v24
	v_mov_b32_e32 v126, 0x7c010000
	s_mov_b32 s17, exec_lo
	s_delay_alu instid0(VALU_DEP_2) | instskip(NEXT) | instid1(VALU_DEP_1)
	v_and_b32_e32 v7, 0x7f, v0
	v_cmpx_ne_u32_e32 0x7f, v7
	s_cbranch_execz .LBB296_696
; %bb.693:                              ;   in Loop: Header=BB296_10 Depth=1
	v_dual_lshrrev_b32 v6, 3, v7 :: v_dual_bitop2_b32 v1, 7, v0 bitop3:0x40
	s_mov_b32 s18, exec_lo
	v_cmpx_gt_u32_e32 8, v7
; %bb.694:                              ;   in Loop: Header=BB296_10 Depth=1
	s_delay_alu instid0(VALU_DEP_2) | instskip(NEXT) | instid1(VALU_DEP_1)
	v_clz_i32_u32_e32 v1, v1
	v_min_u32_e32 v1, 32, v1
	s_delay_alu instid0(VALU_DEP_1) | instskip(NEXT) | instid1(VALU_DEP_1)
	v_subrev_nc_u32_e32 v6, 28, v1
	v_lshlrev_b64_e32 v[8:9], v6, v[24:25]
	s_delay_alu instid0(VALU_DEP_1)
	v_dual_sub_nc_u32 v6, 29, v1 :: v_dual_bitop2_b32 v1, 7, v8 bitop3:0x40
; %bb.695:                              ;   in Loop: Header=BB296_10 Depth=1
	s_or_b32 exec_lo, exec_lo, s18
	s_delay_alu instid0(VALU_DEP_1) | instskip(NEXT) | instid1(VALU_DEP_2)
	v_dual_lshlrev_b32 v0, 8, v0 :: v_dual_lshlrev_b32 v1, 23, v1
	v_lshl_add_u32 v6, v6, 10, 0x2000
	s_delay_alu instid0(VALU_DEP_1) | instskip(NEXT) | instid1(VALU_DEP_1)
	v_and_or_b32 v0, 0x8000, v0, v6
	v_lshl_or_b32 v126, v0, 16, v1
.LBB296_696:                            ;   in Loop: Header=BB296_10 Depth=1
	s_or_b32 exec_lo, exec_lo, s17
.LBB296_697:                            ;   in Loop: Header=BB296_10 Depth=1
	s_delay_alu instid0(SALU_CYCLE_1)
	s_or_b32 exec_lo, exec_lo, s16
.LBB296_698:                            ;   in Loop: Header=BB296_10 Depth=1
	s_delay_alu instid0(SALU_CYCLE_1) | instskip(SKIP_2) | instid1(VALU_DEP_1)
	s_or_b32 exec_lo, exec_lo, s15
	v_lshrrev_b32_e32 v8, 16, v5
	s_mov_b32 s15, exec_lo
	v_and_b32_e32 v0, 0xff, v8
	s_delay_alu instid0(VALU_DEP_1)
	v_cmpx_ne_u16_e32 0, v0
	s_cbranch_execz .LBB296_706
; %bb.699:                              ;   in Loop: Header=BB296_10 Depth=1
	v_mov_b32_e32 v16, 0x8000
	s_mov_b32 s16, exec_lo
	v_cmpx_ne_u16_e32 0x80, v0
	s_cbranch_execz .LBB296_705
; %bb.700:                              ;   in Loop: Header=BB296_10 Depth=1
	v_bfe_u32 v6, v5, 16, 7
	v_mov_b32_e32 v16, 0x7c01
	s_mov_b32 s17, exec_lo
	s_delay_alu instid0(VALU_DEP_2)
	v_cmpx_ne_u32_e32 0x7f, v6
	s_cbranch_execz .LBB296_704
; %bb.701:                              ;   in Loop: Header=BB296_10 Depth=1
	v_dual_lshrrev_b32 v1, 3, v6 :: v_dual_bitop2_b32 v0, 7, v8 bitop3:0x40
	s_mov_b32 s18, exec_lo
	v_cmpx_gt_u32_e32 8, v6
; %bb.702:                              ;   in Loop: Header=BB296_10 Depth=1
	s_delay_alu instid0(VALU_DEP_2) | instskip(NEXT) | instid1(VALU_DEP_1)
	v_clz_i32_u32_e32 v0, v0
	v_min_u32_e32 v6, 32, v0
	s_delay_alu instid0(VALU_DEP_1) | instskip(NEXT) | instid1(VALU_DEP_1)
	v_subrev_nc_u32_e32 v0, 28, v6
	v_lshlrev_b64_e32 v[0:1], v0, v[8:9]
	s_delay_alu instid0(VALU_DEP_1)
	v_dual_sub_nc_u32 v1, 29, v6 :: v_dual_bitop2_b32 v0, 7, v0 bitop3:0x40
; %bb.703:                              ;   in Loop: Header=BB296_10 Depth=1
	s_or_b32 exec_lo, exec_lo, s18
	v_lshlrev_b32_e32 v6, 8, v8
	s_delay_alu instid0(VALU_DEP_2) | instskip(NEXT) | instid1(VALU_DEP_3)
	v_lshl_add_u32 v1, v1, 10, 0x2000
	v_lshlrev_b32_e32 v0, 7, v0
	s_delay_alu instid0(VALU_DEP_3) | instskip(NEXT) | instid1(VALU_DEP_3)
	v_and_b32_e32 v6, 0x8000, v6
	v_and_b32_e32 v1, 0xfc00, v1
	s_delay_alu instid0(VALU_DEP_1)
	v_or3_b32 v16, v6, v1, v0
.LBB296_704:                            ;   in Loop: Header=BB296_10 Depth=1
	s_or_b32 exec_lo, exec_lo, s17
.LBB296_705:                            ;   in Loop: Header=BB296_10 Depth=1
	s_delay_alu instid0(SALU_CYCLE_1)
	s_or_b32 exec_lo, exec_lo, s16
.LBB296_706:                            ;   in Loop: Header=BB296_10 Depth=1
	s_delay_alu instid0(SALU_CYCLE_1)
	s_or_b32 exec_lo, exec_lo, s15
	v_dual_mov_b32 v108, 0 :: v_dual_mov_b32 v109, 0
	s_mov_b32 s15, exec_lo
	v_cmpx_lt_u64_e64 s[2:3], v[4:5]
	s_cbranch_execz .LBB296_714
; %bb.707:                              ;   in Loop: Header=BB296_10 Depth=1
	v_lshrrev_b32_e32 v24, 24, v5
	v_bfrev_b32_e32 v109, 1
	s_mov_b32 s16, exec_lo
	s_delay_alu instid0(VALU_DEP_2)
	v_cmpx_ne_u32_e32 0x80, v24
	s_cbranch_execz .LBB296_713
; %bb.708:                              ;   in Loop: Header=BB296_10 Depth=1
	v_and_b32_e32 v4, 0x7f, v24
	v_mov_b32_e32 v109, 0x7c010000
	s_mov_b32 s17, exec_lo
	s_delay_alu instid0(VALU_DEP_2)
	v_cmpx_ne_u32_e32 0x7f, v4
	s_cbranch_execz .LBB296_712
; %bb.709:                              ;   in Loop: Header=BB296_10 Depth=1
	v_and_b32_e32 v0, 7, v24
	v_lshrrev_b32_e32 v1, 3, v4
	s_mov_b32 s18, exec_lo
	v_cmpx_gt_u32_e32 8, v4
; %bb.710:                              ;   in Loop: Header=BB296_10 Depth=1
	s_delay_alu instid0(VALU_DEP_3) | instskip(NEXT) | instid1(VALU_DEP_1)
	v_clz_i32_u32_e32 v0, v0
	v_min_u32_e32 v4, 32, v0
	s_delay_alu instid0(VALU_DEP_1) | instskip(NEXT) | instid1(VALU_DEP_1)
	v_subrev_nc_u32_e32 v0, 28, v4
	v_lshlrev_b64_e32 v[0:1], v0, v[24:25]
	v_sub_nc_u32_e32 v1, 29, v4
	s_delay_alu instid0(VALU_DEP_2)
	v_and_b32_e32 v0, 7, v0
; %bb.711:                              ;   in Loop: Header=BB296_10 Depth=1
	s_or_b32 exec_lo, exec_lo, s18
	v_lshlrev_b32_e32 v4, 8, v24
	s_delay_alu instid0(VALU_DEP_3) | instskip(NEXT) | instid1(VALU_DEP_3)
	v_lshl_add_u32 v1, v1, 10, 0x2000
	v_lshlrev_b32_e32 v0, 23, v0
	s_delay_alu instid0(VALU_DEP_2) | instskip(NEXT) | instid1(VALU_DEP_1)
	v_and_or_b32 v1, 0x8000, v4, v1
	v_lshl_or_b32 v109, v1, 16, v0
.LBB296_712:                            ;   in Loop: Header=BB296_10 Depth=1
	s_or_b32 exec_lo, exec_lo, s17
.LBB296_713:                            ;   in Loop: Header=BB296_10 Depth=1
	s_delay_alu instid0(SALU_CYCLE_1)
	s_or_b32 exec_lo, exec_lo, s16
.LBB296_714:                            ;   in Loop: Header=BB296_10 Depth=1
	s_delay_alu instid0(SALU_CYCLE_1)
	s_or_b32 exec_lo, exec_lo, s15
	flat_load_b64 v[4:5], v[2:3] offset:2568
	s_mov_b32 s15, exec_lo
	s_wait_loadcnt_dscnt 0x0
	v_and_b32_e32 v0, 0xff, v4
	s_wait_xcnt 0x0
	s_delay_alu instid0(VALU_DEP_1)
	v_cmpx_ne_u16_e32 0, v0
	s_cbranch_execz .LBB296_722
; %bb.715:                              ;   in Loop: Header=BB296_10 Depth=1
	v_mov_b32_e32 v108, 0x8000
	s_mov_b32 s16, exec_lo
	v_cmpx_ne_u16_e32 0x80, v0
	s_cbranch_execz .LBB296_721
; %bb.716:                              ;   in Loop: Header=BB296_10 Depth=1
	v_and_b32_e32 v6, 0x7f, v4
	v_mov_b32_e32 v108, 0x7c01
	s_mov_b32 s17, exec_lo
	s_delay_alu instid0(VALU_DEP_2)
	v_cmpx_ne_u32_e32 0x7f, v6
	s_cbranch_execz .LBB296_720
; %bb.717:                              ;   in Loop: Header=BB296_10 Depth=1
	v_dual_lshrrev_b32 v1, 3, v6 :: v_dual_bitop2_b32 v0, 7, v4 bitop3:0x40
	s_mov_b32 s18, exec_lo
	v_cmpx_gt_u32_e32 8, v6
; %bb.718:                              ;   in Loop: Header=BB296_10 Depth=1
	s_delay_alu instid0(VALU_DEP_2) | instskip(NEXT) | instid1(VALU_DEP_1)
	v_clz_i32_u32_e32 v0, v0
	v_min_u32_e32 v6, 32, v0
	s_delay_alu instid0(VALU_DEP_1) | instskip(NEXT) | instid1(VALU_DEP_1)
	v_subrev_nc_u32_e32 v0, 28, v6
	v_lshlrev_b64_e32 v[0:1], v0, v[4:5]
	s_delay_alu instid0(VALU_DEP_1)
	v_dual_sub_nc_u32 v1, 29, v6 :: v_dual_bitop2_b32 v0, 7, v0 bitop3:0x40
; %bb.719:                              ;   in Loop: Header=BB296_10 Depth=1
	s_or_b32 exec_lo, exec_lo, s18
	v_lshlrev_b32_e32 v6, 8, v4
	s_delay_alu instid0(VALU_DEP_2) | instskip(NEXT) | instid1(VALU_DEP_3)
	v_lshl_add_u32 v1, v1, 10, 0x2000
	v_lshlrev_b32_e32 v0, 7, v0
	s_delay_alu instid0(VALU_DEP_3) | instskip(NEXT) | instid1(VALU_DEP_3)
	v_and_b32_e32 v6, 0x8000, v6
	v_and_b32_e32 v1, 0xfc00, v1
	s_delay_alu instid0(VALU_DEP_1)
	v_or3_b32 v108, v6, v1, v0
.LBB296_720:                            ;   in Loop: Header=BB296_10 Depth=1
	s_or_b32 exec_lo, exec_lo, s17
.LBB296_721:                            ;   in Loop: Header=BB296_10 Depth=1
	s_delay_alu instid0(SALU_CYCLE_1)
	s_or_b32 exec_lo, exec_lo, s16
.LBB296_722:                            ;   in Loop: Header=BB296_10 Depth=1
	s_delay_alu instid0(SALU_CYCLE_1) | instskip(SKIP_3) | instid1(VALU_DEP_2)
	s_or_b32 exec_lo, exec_lo, s15
	v_lshrrev_b16 v24, 8, v4
	v_dual_mov_b32 v20, 0 :: v_dual_mov_b32 v110, 0
	s_mov_b32 s15, exec_lo
	v_cmpx_ne_u16_e32 0, v24
	s_cbranch_execz .LBB296_730
; %bb.723:                              ;   in Loop: Header=BB296_10 Depth=1
	v_bfrev_b32_e32 v110, 1
	s_mov_b32 s16, exec_lo
	v_cmpx_ne_u16_e32 0x80, v24
	s_cbranch_execz .LBB296_729
; %bb.724:                              ;   in Loop: Header=BB296_10 Depth=1
	v_and_b32_e32 v0, 0xffff, v24
	v_mov_b32_e32 v110, 0x7c010000
	s_mov_b32 s17, exec_lo
	s_delay_alu instid0(VALU_DEP_2) | instskip(NEXT) | instid1(VALU_DEP_1)
	v_and_b32_e32 v7, 0x7f, v0
	v_cmpx_ne_u32_e32 0x7f, v7
	s_cbranch_execz .LBB296_728
; %bb.725:                              ;   in Loop: Header=BB296_10 Depth=1
	v_dual_lshrrev_b32 v6, 3, v7 :: v_dual_bitop2_b32 v1, 7, v0 bitop3:0x40
	s_mov_b32 s18, exec_lo
	v_cmpx_gt_u32_e32 8, v7
; %bb.726:                              ;   in Loop: Header=BB296_10 Depth=1
	s_delay_alu instid0(VALU_DEP_2) | instskip(NEXT) | instid1(VALU_DEP_1)
	v_clz_i32_u32_e32 v1, v1
	v_min_u32_e32 v1, 32, v1
	s_delay_alu instid0(VALU_DEP_1) | instskip(NEXT) | instid1(VALU_DEP_1)
	v_subrev_nc_u32_e32 v6, 28, v1
	v_lshlrev_b64_e32 v[8:9], v6, v[24:25]
	s_delay_alu instid0(VALU_DEP_1)
	v_dual_sub_nc_u32 v6, 29, v1 :: v_dual_bitop2_b32 v1, 7, v8 bitop3:0x40
; %bb.727:                              ;   in Loop: Header=BB296_10 Depth=1
	s_or_b32 exec_lo, exec_lo, s18
	s_delay_alu instid0(VALU_DEP_1) | instskip(NEXT) | instid1(VALU_DEP_2)
	v_dual_lshlrev_b32 v0, 8, v0 :: v_dual_lshlrev_b32 v1, 23, v1
	v_lshl_add_u32 v6, v6, 10, 0x2000
	s_delay_alu instid0(VALU_DEP_1) | instskip(NEXT) | instid1(VALU_DEP_1)
	v_and_or_b32 v0, 0x8000, v0, v6
	v_lshl_or_b32 v110, v0, 16, v1
.LBB296_728:                            ;   in Loop: Header=BB296_10 Depth=1
	s_or_b32 exec_lo, exec_lo, s17
.LBB296_729:                            ;   in Loop: Header=BB296_10 Depth=1
	s_delay_alu instid0(SALU_CYCLE_1)
	s_or_b32 exec_lo, exec_lo, s16
.LBB296_730:                            ;   in Loop: Header=BB296_10 Depth=1
	s_delay_alu instid0(SALU_CYCLE_1) | instskip(SKIP_2) | instid1(VALU_DEP_1)
	s_or_b32 exec_lo, exec_lo, s15
	v_lshrrev_b32_e32 v8, 16, v4
	s_mov_b32 s15, exec_lo
	v_and_b32_e32 v0, 0xff, v8
	s_delay_alu instid0(VALU_DEP_1)
	v_cmpx_ne_u16_e32 0, v0
	s_cbranch_execz .LBB296_738
; %bb.731:                              ;   in Loop: Header=BB296_10 Depth=1
	v_mov_b32_e32 v20, 0x8000
	s_mov_b32 s16, exec_lo
	v_cmpx_ne_u16_e32 0x80, v0
	s_cbranch_execz .LBB296_737
; %bb.732:                              ;   in Loop: Header=BB296_10 Depth=1
	v_bfe_u32 v6, v4, 16, 7
	v_mov_b32_e32 v20, 0x7c01
	s_mov_b32 s17, exec_lo
	s_delay_alu instid0(VALU_DEP_2)
	v_cmpx_ne_u32_e32 0x7f, v6
	s_cbranch_execz .LBB296_736
; %bb.733:                              ;   in Loop: Header=BB296_10 Depth=1
	v_dual_lshrrev_b32 v1, 3, v6 :: v_dual_bitop2_b32 v0, 7, v8 bitop3:0x40
	s_mov_b32 s18, exec_lo
	v_cmpx_gt_u32_e32 8, v6
; %bb.734:                              ;   in Loop: Header=BB296_10 Depth=1
	s_delay_alu instid0(VALU_DEP_2) | instskip(NEXT) | instid1(VALU_DEP_1)
	v_clz_i32_u32_e32 v0, v0
	v_min_u32_e32 v6, 32, v0
	s_delay_alu instid0(VALU_DEP_1) | instskip(NEXT) | instid1(VALU_DEP_1)
	v_subrev_nc_u32_e32 v0, 28, v6
	v_lshlrev_b64_e32 v[0:1], v0, v[8:9]
	s_delay_alu instid0(VALU_DEP_1)
	v_dual_sub_nc_u32 v1, 29, v6 :: v_dual_bitop2_b32 v0, 7, v0 bitop3:0x40
; %bb.735:                              ;   in Loop: Header=BB296_10 Depth=1
	s_or_b32 exec_lo, exec_lo, s18
	v_lshlrev_b32_e32 v6, 8, v8
	s_delay_alu instid0(VALU_DEP_2) | instskip(NEXT) | instid1(VALU_DEP_3)
	v_lshl_add_u32 v1, v1, 10, 0x2000
	v_lshlrev_b32_e32 v0, 7, v0
	s_delay_alu instid0(VALU_DEP_3) | instskip(NEXT) | instid1(VALU_DEP_3)
	v_and_b32_e32 v6, 0x8000, v6
	v_and_b32_e32 v1, 0xfc00, v1
	s_delay_alu instid0(VALU_DEP_1)
	v_or3_b32 v20, v6, v1, v0
.LBB296_736:                            ;   in Loop: Header=BB296_10 Depth=1
	s_or_b32 exec_lo, exec_lo, s17
.LBB296_737:                            ;   in Loop: Header=BB296_10 Depth=1
	s_delay_alu instid0(SALU_CYCLE_1)
	s_or_b32 exec_lo, exec_lo, s16
.LBB296_738:                            ;   in Loop: Header=BB296_10 Depth=1
	s_delay_alu instid0(SALU_CYCLE_1)
	s_or_b32 exec_lo, exec_lo, s15
	v_dual_mov_b32 v13, 0 :: v_dual_mov_b32 v111, 0
	s_mov_b32 s15, exec_lo
	v_cmpx_lt_u32_e32 0xffffff, v4
	s_cbranch_execz .LBB296_746
; %bb.739:                              ;   in Loop: Header=BB296_10 Depth=1
	v_lshrrev_b32_e32 v24, 24, v4
	v_bfrev_b32_e32 v111, 1
	s_mov_b32 s16, exec_lo
	s_delay_alu instid0(VALU_DEP_2)
	v_cmpx_ne_u32_e32 0x80, v24
	s_cbranch_execz .LBB296_745
; %bb.740:                              ;   in Loop: Header=BB296_10 Depth=1
	v_and_b32_e32 v6, 0x7f, v24
	v_mov_b32_e32 v111, 0x7c010000
	s_mov_b32 s17, exec_lo
	s_delay_alu instid0(VALU_DEP_2)
	v_cmpx_ne_u32_e32 0x7f, v6
	s_cbranch_execz .LBB296_744
; %bb.741:                              ;   in Loop: Header=BB296_10 Depth=1
	v_dual_lshrrev_b32 v1, 3, v6 :: v_dual_bitop2_b32 v0, 7, v24 bitop3:0x40
	s_mov_b32 s18, exec_lo
	v_cmpx_gt_u32_e32 8, v6
; %bb.742:                              ;   in Loop: Header=BB296_10 Depth=1
	s_delay_alu instid0(VALU_DEP_2) | instskip(NEXT) | instid1(VALU_DEP_1)
	v_clz_i32_u32_e32 v0, v0
	v_min_u32_e32 v6, 32, v0
	s_delay_alu instid0(VALU_DEP_1) | instskip(NEXT) | instid1(VALU_DEP_1)
	v_subrev_nc_u32_e32 v0, 28, v6
	v_lshlrev_b64_e32 v[0:1], v0, v[24:25]
	s_delay_alu instid0(VALU_DEP_1)
	v_dual_sub_nc_u32 v1, 29, v6 :: v_dual_bitop2_b32 v0, 7, v0 bitop3:0x40
; %bb.743:                              ;   in Loop: Header=BB296_10 Depth=1
	s_or_b32 exec_lo, exec_lo, s18
	v_lshlrev_b32_e32 v6, 8, v24
	s_delay_alu instid0(VALU_DEP_2) | instskip(NEXT) | instid1(VALU_DEP_3)
	v_lshl_add_u32 v1, v1, 10, 0x2000
	v_lshlrev_b32_e32 v0, 23, v0
	s_delay_alu instid0(VALU_DEP_2) | instskip(NEXT) | instid1(VALU_DEP_1)
	v_and_or_b32 v1, 0x8000, v6, v1
	v_lshl_or_b32 v111, v1, 16, v0
.LBB296_744:                            ;   in Loop: Header=BB296_10 Depth=1
	s_or_b32 exec_lo, exec_lo, s17
.LBB296_745:                            ;   in Loop: Header=BB296_10 Depth=1
	s_delay_alu instid0(SALU_CYCLE_1)
	s_or_b32 exec_lo, exec_lo, s16
.LBB296_746:                            ;   in Loop: Header=BB296_10 Depth=1
	s_delay_alu instid0(SALU_CYCLE_1) | instskip(SKIP_3) | instid1(VALU_DEP_2)
	s_or_b32 exec_lo, exec_lo, s15
	v_and_b32_e32 v0, 0xff, v5
	v_mov_b32_e32 v24, v5
	s_mov_b32 s15, exec_lo
	v_cmpx_ne_u16_e32 0, v0
	s_cbranch_execz .LBB296_754
; %bb.747:                              ;   in Loop: Header=BB296_10 Depth=1
	v_mov_b32_e32 v13, 0x8000
	s_mov_b32 s16, exec_lo
	v_cmpx_ne_u16_e32 0x80, v0
	s_cbranch_execz .LBB296_753
; %bb.748:                              ;   in Loop: Header=BB296_10 Depth=1
	v_and_b32_e32 v6, 0x7f, v5
	v_mov_b32_e32 v13, 0x7c01
	s_mov_b32 s17, exec_lo
	s_delay_alu instid0(VALU_DEP_2)
	v_cmpx_ne_u32_e32 0x7f, v6
	s_cbranch_execz .LBB296_752
; %bb.749:                              ;   in Loop: Header=BB296_10 Depth=1
	v_dual_lshrrev_b32 v1, 3, v6 :: v_dual_bitop2_b32 v0, 7, v5 bitop3:0x40
	s_mov_b32 s18, exec_lo
	v_cmpx_gt_u32_e32 8, v6
; %bb.750:                              ;   in Loop: Header=BB296_10 Depth=1
	s_delay_alu instid0(VALU_DEP_2) | instskip(NEXT) | instid1(VALU_DEP_1)
	v_clz_i32_u32_e32 v0, v0
	v_min_u32_e32 v6, 32, v0
	s_delay_alu instid0(VALU_DEP_1) | instskip(NEXT) | instid1(VALU_DEP_1)
	v_subrev_nc_u32_e32 v0, 28, v6
	v_lshlrev_b64_e32 v[0:1], v0, v[24:25]
	s_delay_alu instid0(VALU_DEP_1)
	v_dual_sub_nc_u32 v1, 29, v6 :: v_dual_bitop2_b32 v0, 7, v0 bitop3:0x40
; %bb.751:                              ;   in Loop: Header=BB296_10 Depth=1
	s_or_b32 exec_lo, exec_lo, s18
	s_delay_alu instid0(VALU_DEP_1) | instskip(NEXT) | instid1(VALU_DEP_2)
	v_dual_lshlrev_b32 v6, 8, v5 :: v_dual_lshlrev_b32 v0, 7, v0
	v_lshl_add_u32 v1, v1, 10, 0x2000
	s_delay_alu instid0(VALU_DEP_2) | instskip(NEXT) | instid1(VALU_DEP_2)
	v_and_b32_e32 v6, 0x8000, v6
	v_and_b32_e32 v1, 0xfc00, v1
	s_delay_alu instid0(VALU_DEP_1)
	v_or3_b32 v13, v6, v1, v0
.LBB296_752:                            ;   in Loop: Header=BB296_10 Depth=1
	s_or_b32 exec_lo, exec_lo, s17
.LBB296_753:                            ;   in Loop: Header=BB296_10 Depth=1
	s_delay_alu instid0(SALU_CYCLE_1)
	s_or_b32 exec_lo, exec_lo, s16
.LBB296_754:                            ;   in Loop: Header=BB296_10 Depth=1
	s_delay_alu instid0(SALU_CYCLE_1) | instskip(SKIP_3) | instid1(VALU_DEP_2)
	s_or_b32 exec_lo, exec_lo, s15
	v_lshrrev_b16 v24, 8, v24
	v_dual_mov_b32 v120, 0 :: v_dual_mov_b32 v121, 0
	s_mov_b32 s15, exec_lo
	v_cmpx_ne_u16_e32 0, v24
	s_cbranch_execz .LBB296_762
; %bb.755:                              ;   in Loop: Header=BB296_10 Depth=1
	v_bfrev_b32_e32 v121, 1
	s_mov_b32 s16, exec_lo
	v_cmpx_ne_u16_e32 0x80, v24
	s_cbranch_execz .LBB296_761
; %bb.756:                              ;   in Loop: Header=BB296_10 Depth=1
	v_and_b32_e32 v0, 0xffff, v24
	v_mov_b32_e32 v121, 0x7c010000
	s_mov_b32 s17, exec_lo
	s_delay_alu instid0(VALU_DEP_2) | instskip(NEXT) | instid1(VALU_DEP_1)
	v_and_b32_e32 v7, 0x7f, v0
	v_cmpx_ne_u32_e32 0x7f, v7
	s_cbranch_execz .LBB296_760
; %bb.757:                              ;   in Loop: Header=BB296_10 Depth=1
	v_dual_lshrrev_b32 v6, 3, v7 :: v_dual_bitop2_b32 v1, 7, v0 bitop3:0x40
	s_mov_b32 s18, exec_lo
	v_cmpx_gt_u32_e32 8, v7
; %bb.758:                              ;   in Loop: Header=BB296_10 Depth=1
	s_delay_alu instid0(VALU_DEP_2) | instskip(NEXT) | instid1(VALU_DEP_1)
	v_clz_i32_u32_e32 v1, v1
	v_min_u32_e32 v1, 32, v1
	s_delay_alu instid0(VALU_DEP_1) | instskip(NEXT) | instid1(VALU_DEP_1)
	v_subrev_nc_u32_e32 v6, 28, v1
	v_lshlrev_b64_e32 v[8:9], v6, v[24:25]
	s_delay_alu instid0(VALU_DEP_1)
	v_dual_sub_nc_u32 v6, 29, v1 :: v_dual_bitop2_b32 v1, 7, v8 bitop3:0x40
; %bb.759:                              ;   in Loop: Header=BB296_10 Depth=1
	s_or_b32 exec_lo, exec_lo, s18
	s_delay_alu instid0(VALU_DEP_1) | instskip(NEXT) | instid1(VALU_DEP_2)
	v_dual_lshlrev_b32 v0, 8, v0 :: v_dual_lshlrev_b32 v1, 23, v1
	v_lshl_add_u32 v6, v6, 10, 0x2000
	s_delay_alu instid0(VALU_DEP_1) | instskip(NEXT) | instid1(VALU_DEP_1)
	v_and_or_b32 v0, 0x8000, v0, v6
	v_lshl_or_b32 v121, v0, 16, v1
.LBB296_760:                            ;   in Loop: Header=BB296_10 Depth=1
	s_or_b32 exec_lo, exec_lo, s17
.LBB296_761:                            ;   in Loop: Header=BB296_10 Depth=1
	s_delay_alu instid0(SALU_CYCLE_1)
	s_or_b32 exec_lo, exec_lo, s16
.LBB296_762:                            ;   in Loop: Header=BB296_10 Depth=1
	s_delay_alu instid0(SALU_CYCLE_1) | instskip(SKIP_2) | instid1(VALU_DEP_1)
	s_or_b32 exec_lo, exec_lo, s15
	v_lshrrev_b32_e32 v8, 16, v5
	s_mov_b32 s15, exec_lo
	v_and_b32_e32 v0, 0xff, v8
	s_delay_alu instid0(VALU_DEP_1)
	v_cmpx_ne_u16_e32 0, v0
	s_cbranch_execz .LBB296_770
; %bb.763:                              ;   in Loop: Header=BB296_10 Depth=1
	v_mov_b32_e32 v120, 0x8000
	s_mov_b32 s16, exec_lo
	v_cmpx_ne_u16_e32 0x80, v0
	s_cbranch_execz .LBB296_769
; %bb.764:                              ;   in Loop: Header=BB296_10 Depth=1
	v_bfe_u32 v6, v5, 16, 7
	v_mov_b32_e32 v120, 0x7c01
	s_mov_b32 s17, exec_lo
	s_delay_alu instid0(VALU_DEP_2)
	v_cmpx_ne_u32_e32 0x7f, v6
	s_cbranch_execz .LBB296_768
; %bb.765:                              ;   in Loop: Header=BB296_10 Depth=1
	v_dual_lshrrev_b32 v1, 3, v6 :: v_dual_bitop2_b32 v0, 7, v8 bitop3:0x40
	s_mov_b32 s18, exec_lo
	v_cmpx_gt_u32_e32 8, v6
; %bb.766:                              ;   in Loop: Header=BB296_10 Depth=1
	s_delay_alu instid0(VALU_DEP_2) | instskip(NEXT) | instid1(VALU_DEP_1)
	v_clz_i32_u32_e32 v0, v0
	v_min_u32_e32 v6, 32, v0
	s_delay_alu instid0(VALU_DEP_1) | instskip(NEXT) | instid1(VALU_DEP_1)
	v_subrev_nc_u32_e32 v0, 28, v6
	v_lshlrev_b64_e32 v[0:1], v0, v[8:9]
	s_delay_alu instid0(VALU_DEP_1)
	v_dual_sub_nc_u32 v1, 29, v6 :: v_dual_bitop2_b32 v0, 7, v0 bitop3:0x40
; %bb.767:                              ;   in Loop: Header=BB296_10 Depth=1
	s_or_b32 exec_lo, exec_lo, s18
	v_lshlrev_b32_e32 v6, 8, v8
	s_delay_alu instid0(VALU_DEP_2) | instskip(NEXT) | instid1(VALU_DEP_3)
	v_lshl_add_u32 v1, v1, 10, 0x2000
	v_lshlrev_b32_e32 v0, 7, v0
	s_delay_alu instid0(VALU_DEP_3) | instskip(NEXT) | instid1(VALU_DEP_3)
	v_and_b32_e32 v6, 0x8000, v6
	v_and_b32_e32 v1, 0xfc00, v1
	s_delay_alu instid0(VALU_DEP_1)
	v_or3_b32 v120, v6, v1, v0
.LBB296_768:                            ;   in Loop: Header=BB296_10 Depth=1
	s_or_b32 exec_lo, exec_lo, s17
.LBB296_769:                            ;   in Loop: Header=BB296_10 Depth=1
	s_delay_alu instid0(SALU_CYCLE_1)
	s_or_b32 exec_lo, exec_lo, s16
.LBB296_770:                            ;   in Loop: Header=BB296_10 Depth=1
	s_delay_alu instid0(SALU_CYCLE_1)
	s_or_b32 exec_lo, exec_lo, s15
	v_dual_mov_b32 v123, 0 :: v_dual_mov_b32 v0, 0
	s_mov_b32 s15, exec_lo
	scratch_store_b32 off, v0, s32 offset:220 ; 4-byte Folded Spill
	s_wait_xcnt 0x0
	v_cmpx_lt_u64_e64 s[2:3], v[4:5]
	s_cbranch_execz .LBB296_778
; %bb.771:                              ;   in Loop: Header=BB296_10 Depth=1
	v_lshrrev_b32_e32 v24, 24, v5
	v_bfrev_b32_e32 v0, 1
	s_mov_b32 s16, exec_lo
	s_delay_alu instid0(VALU_DEP_2)
	v_cmpx_ne_u32_e32 0x80, v24
	s_cbranch_execz .LBB296_777
; %bb.772:                              ;   in Loop: Header=BB296_10 Depth=1
	v_and_b32_e32 v4, 0x7f, v24
	v_mov_b32_e32 v0, 0x7c010000
	s_mov_b32 s17, exec_lo
	s_delay_alu instid0(VALU_DEP_2)
	v_cmpx_ne_u32_e32 0x7f, v4
	s_cbranch_execz .LBB296_776
; %bb.773:                              ;   in Loop: Header=BB296_10 Depth=1
	v_and_b32_e32 v0, 7, v24
	v_lshrrev_b32_e32 v1, 3, v4
	s_mov_b32 s18, exec_lo
	v_cmpx_gt_u32_e32 8, v4
; %bb.774:                              ;   in Loop: Header=BB296_10 Depth=1
	s_delay_alu instid0(VALU_DEP_3) | instskip(NEXT) | instid1(VALU_DEP_1)
	v_clz_i32_u32_e32 v0, v0
	v_min_u32_e32 v4, 32, v0
	s_delay_alu instid0(VALU_DEP_1) | instskip(NEXT) | instid1(VALU_DEP_1)
	v_subrev_nc_u32_e32 v0, 28, v4
	v_lshlrev_b64_e32 v[0:1], v0, v[24:25]
	v_sub_nc_u32_e32 v1, 29, v4
	s_delay_alu instid0(VALU_DEP_2)
	v_and_b32_e32 v0, 7, v0
; %bb.775:                              ;   in Loop: Header=BB296_10 Depth=1
	s_or_b32 exec_lo, exec_lo, s18
	v_lshlrev_b32_e32 v4, 8, v24
	s_delay_alu instid0(VALU_DEP_3) | instskip(NEXT) | instid1(VALU_DEP_3)
	v_lshl_add_u32 v1, v1, 10, 0x2000
	v_lshlrev_b32_e32 v0, 23, v0
	s_delay_alu instid0(VALU_DEP_2) | instskip(NEXT) | instid1(VALU_DEP_1)
	v_and_or_b32 v1, 0x8000, v4, v1
	v_lshl_or_b32 v0, v1, 16, v0
.LBB296_776:                            ;   in Loop: Header=BB296_10 Depth=1
	s_or_b32 exec_lo, exec_lo, s17
.LBB296_777:                            ;   in Loop: Header=BB296_10 Depth=1
	s_delay_alu instid0(SALU_CYCLE_1)
	s_or_b32 exec_lo, exec_lo, s16
	scratch_store_b32 off, v0, s32 offset:220 ; 4-byte Folded Spill
.LBB296_778:                            ;   in Loop: Header=BB296_10 Depth=1
	s_wait_xcnt 0x0
	s_or_b32 exec_lo, exec_lo, s15
	flat_load_b64 v[4:5], v[2:3] offset:3072
	s_mov_b32 s15, exec_lo
	s_wait_loadcnt_dscnt 0x0
	v_and_b32_e32 v0, 0xff, v4
	s_wait_xcnt 0x0
	s_delay_alu instid0(VALU_DEP_1)
	v_cmpx_ne_u16_e32 0, v0
	s_cbranch_execz .LBB296_786
; %bb.779:                              ;   in Loop: Header=BB296_10 Depth=1
	v_mov_b32_e32 v123, 0x8000
	s_mov_b32 s16, exec_lo
	v_cmpx_ne_u16_e32 0x80, v0
	s_cbranch_execz .LBB296_785
; %bb.780:                              ;   in Loop: Header=BB296_10 Depth=1
	v_and_b32_e32 v6, 0x7f, v4
	v_mov_b32_e32 v123, 0x7c01
	s_mov_b32 s17, exec_lo
	s_delay_alu instid0(VALU_DEP_2)
	v_cmpx_ne_u32_e32 0x7f, v6
	s_cbranch_execz .LBB296_784
; %bb.781:                              ;   in Loop: Header=BB296_10 Depth=1
	v_dual_lshrrev_b32 v1, 3, v6 :: v_dual_bitop2_b32 v0, 7, v4 bitop3:0x40
	s_mov_b32 s18, exec_lo
	v_cmpx_gt_u32_e32 8, v6
; %bb.782:                              ;   in Loop: Header=BB296_10 Depth=1
	s_delay_alu instid0(VALU_DEP_2) | instskip(NEXT) | instid1(VALU_DEP_1)
	v_clz_i32_u32_e32 v0, v0
	v_min_u32_e32 v6, 32, v0
	s_delay_alu instid0(VALU_DEP_1) | instskip(NEXT) | instid1(VALU_DEP_1)
	v_subrev_nc_u32_e32 v0, 28, v6
	v_lshlrev_b64_e32 v[0:1], v0, v[4:5]
	s_delay_alu instid0(VALU_DEP_1)
	v_dual_sub_nc_u32 v1, 29, v6 :: v_dual_bitop2_b32 v0, 7, v0 bitop3:0x40
; %bb.783:                              ;   in Loop: Header=BB296_10 Depth=1
	s_or_b32 exec_lo, exec_lo, s18
	v_lshlrev_b32_e32 v6, 8, v4
	s_delay_alu instid0(VALU_DEP_2) | instskip(NEXT) | instid1(VALU_DEP_3)
	v_lshl_add_u32 v1, v1, 10, 0x2000
	v_lshlrev_b32_e32 v0, 7, v0
	s_delay_alu instid0(VALU_DEP_3) | instskip(NEXT) | instid1(VALU_DEP_3)
	v_and_b32_e32 v6, 0x8000, v6
	v_and_b32_e32 v1, 0xfc00, v1
	s_delay_alu instid0(VALU_DEP_1)
	v_or3_b32 v123, v6, v1, v0
.LBB296_784:                            ;   in Loop: Header=BB296_10 Depth=1
	s_or_b32 exec_lo, exec_lo, s17
.LBB296_785:                            ;   in Loop: Header=BB296_10 Depth=1
	s_delay_alu instid0(SALU_CYCLE_1)
	s_or_b32 exec_lo, exec_lo, s16
.LBB296_786:                            ;   in Loop: Header=BB296_10 Depth=1
	s_delay_alu instid0(SALU_CYCLE_1) | instskip(SKIP_3) | instid1(VALU_DEP_2)
	s_or_b32 exec_lo, exec_lo, s15
	v_lshrrev_b16 v24, 8, v4
	v_dual_mov_b32 v14, 0 :: v_dual_mov_b32 v21, 0
	s_mov_b32 s15, exec_lo
	v_cmpx_ne_u16_e32 0, v24
	s_cbranch_execz .LBB296_794
; %bb.787:                              ;   in Loop: Header=BB296_10 Depth=1
	v_bfrev_b32_e32 v21, 1
	s_mov_b32 s16, exec_lo
	v_cmpx_ne_u16_e32 0x80, v24
	s_cbranch_execz .LBB296_793
; %bb.788:                              ;   in Loop: Header=BB296_10 Depth=1
	v_and_b32_e32 v0, 0xffff, v24
	v_mov_b32_e32 v21, 0x7c010000
	s_mov_b32 s17, exec_lo
	s_delay_alu instid0(VALU_DEP_2) | instskip(NEXT) | instid1(VALU_DEP_1)
	v_and_b32_e32 v7, 0x7f, v0
	v_cmpx_ne_u32_e32 0x7f, v7
	s_cbranch_execz .LBB296_792
; %bb.789:                              ;   in Loop: Header=BB296_10 Depth=1
	v_dual_lshrrev_b32 v6, 3, v7 :: v_dual_bitop2_b32 v1, 7, v0 bitop3:0x40
	s_mov_b32 s18, exec_lo
	v_cmpx_gt_u32_e32 8, v7
; %bb.790:                              ;   in Loop: Header=BB296_10 Depth=1
	s_delay_alu instid0(VALU_DEP_2) | instskip(NEXT) | instid1(VALU_DEP_1)
	v_clz_i32_u32_e32 v1, v1
	v_min_u32_e32 v1, 32, v1
	s_delay_alu instid0(VALU_DEP_1) | instskip(NEXT) | instid1(VALU_DEP_1)
	v_subrev_nc_u32_e32 v6, 28, v1
	v_lshlrev_b64_e32 v[8:9], v6, v[24:25]
	s_delay_alu instid0(VALU_DEP_1)
	v_dual_sub_nc_u32 v6, 29, v1 :: v_dual_bitop2_b32 v1, 7, v8 bitop3:0x40
; %bb.791:                              ;   in Loop: Header=BB296_10 Depth=1
	s_or_b32 exec_lo, exec_lo, s18
	s_delay_alu instid0(VALU_DEP_1) | instskip(NEXT) | instid1(VALU_DEP_2)
	v_dual_lshlrev_b32 v0, 8, v0 :: v_dual_lshlrev_b32 v1, 23, v1
	v_lshl_add_u32 v6, v6, 10, 0x2000
	s_delay_alu instid0(VALU_DEP_1) | instskip(NEXT) | instid1(VALU_DEP_1)
	v_and_or_b32 v0, 0x8000, v0, v6
	v_lshl_or_b32 v21, v0, 16, v1
.LBB296_792:                            ;   in Loop: Header=BB296_10 Depth=1
	s_or_b32 exec_lo, exec_lo, s17
.LBB296_793:                            ;   in Loop: Header=BB296_10 Depth=1
	s_delay_alu instid0(SALU_CYCLE_1)
	s_or_b32 exec_lo, exec_lo, s16
.LBB296_794:                            ;   in Loop: Header=BB296_10 Depth=1
	s_delay_alu instid0(SALU_CYCLE_1) | instskip(SKIP_2) | instid1(VALU_DEP_1)
	s_or_b32 exec_lo, exec_lo, s15
	v_lshrrev_b32_e32 v8, 16, v4
	s_mov_b32 s15, exec_lo
	v_and_b32_e32 v0, 0xff, v8
	s_delay_alu instid0(VALU_DEP_1)
	v_cmpx_ne_u16_e32 0, v0
	s_cbranch_execz .LBB296_802
; %bb.795:                              ;   in Loop: Header=BB296_10 Depth=1
	v_mov_b32_e32 v14, 0x8000
	s_mov_b32 s16, exec_lo
	v_cmpx_ne_u16_e32 0x80, v0
	s_cbranch_execz .LBB296_801
; %bb.796:                              ;   in Loop: Header=BB296_10 Depth=1
	v_bfe_u32 v6, v4, 16, 7
	v_mov_b32_e32 v14, 0x7c01
	s_mov_b32 s17, exec_lo
	s_delay_alu instid0(VALU_DEP_2)
	v_cmpx_ne_u32_e32 0x7f, v6
	s_cbranch_execz .LBB296_800
; %bb.797:                              ;   in Loop: Header=BB296_10 Depth=1
	v_dual_lshrrev_b32 v1, 3, v6 :: v_dual_bitop2_b32 v0, 7, v8 bitop3:0x40
	s_mov_b32 s18, exec_lo
	v_cmpx_gt_u32_e32 8, v6
; %bb.798:                              ;   in Loop: Header=BB296_10 Depth=1
	s_delay_alu instid0(VALU_DEP_2) | instskip(NEXT) | instid1(VALU_DEP_1)
	v_clz_i32_u32_e32 v0, v0
	v_min_u32_e32 v6, 32, v0
	s_delay_alu instid0(VALU_DEP_1) | instskip(NEXT) | instid1(VALU_DEP_1)
	v_subrev_nc_u32_e32 v0, 28, v6
	v_lshlrev_b64_e32 v[0:1], v0, v[8:9]
	s_delay_alu instid0(VALU_DEP_1)
	v_dual_sub_nc_u32 v1, 29, v6 :: v_dual_bitop2_b32 v0, 7, v0 bitop3:0x40
; %bb.799:                              ;   in Loop: Header=BB296_10 Depth=1
	s_or_b32 exec_lo, exec_lo, s18
	v_lshlrev_b32_e32 v6, 8, v8
	s_delay_alu instid0(VALU_DEP_2) | instskip(NEXT) | instid1(VALU_DEP_3)
	v_lshl_add_u32 v1, v1, 10, 0x2000
	v_lshlrev_b32_e32 v0, 7, v0
	s_delay_alu instid0(VALU_DEP_3) | instskip(NEXT) | instid1(VALU_DEP_3)
	v_and_b32_e32 v6, 0x8000, v6
	v_and_b32_e32 v1, 0xfc00, v1
	s_delay_alu instid0(VALU_DEP_1)
	v_or3_b32 v14, v6, v1, v0
.LBB296_800:                            ;   in Loop: Header=BB296_10 Depth=1
	s_or_b32 exec_lo, exec_lo, s17
.LBB296_801:                            ;   in Loop: Header=BB296_10 Depth=1
	s_delay_alu instid0(SALU_CYCLE_1)
	s_or_b32 exec_lo, exec_lo, s16
.LBB296_802:                            ;   in Loop: Header=BB296_10 Depth=1
	s_delay_alu instid0(SALU_CYCLE_1)
	s_or_b32 exec_lo, exec_lo, s15
	v_dual_mov_b32 v26, 0 :: v_dual_mov_b32 v34, 0
	s_mov_b32 s15, exec_lo
	v_cmpx_lt_u32_e32 0xffffff, v4
	s_cbranch_execz .LBB296_810
; %bb.803:                              ;   in Loop: Header=BB296_10 Depth=1
	v_lshrrev_b32_e32 v24, 24, v4
	v_bfrev_b32_e32 v34, 1
	s_mov_b32 s16, exec_lo
	s_delay_alu instid0(VALU_DEP_2)
	v_cmpx_ne_u32_e32 0x80, v24
	s_cbranch_execz .LBB296_809
; %bb.804:                              ;   in Loop: Header=BB296_10 Depth=1
	v_and_b32_e32 v6, 0x7f, v24
	v_mov_b32_e32 v34, 0x7c010000
	s_mov_b32 s17, exec_lo
	s_delay_alu instid0(VALU_DEP_2)
	v_cmpx_ne_u32_e32 0x7f, v6
	s_cbranch_execz .LBB296_808
; %bb.805:                              ;   in Loop: Header=BB296_10 Depth=1
	v_dual_lshrrev_b32 v1, 3, v6 :: v_dual_bitop2_b32 v0, 7, v24 bitop3:0x40
	s_mov_b32 s18, exec_lo
	v_cmpx_gt_u32_e32 8, v6
; %bb.806:                              ;   in Loop: Header=BB296_10 Depth=1
	s_delay_alu instid0(VALU_DEP_2) | instskip(NEXT) | instid1(VALU_DEP_1)
	v_clz_i32_u32_e32 v0, v0
	v_min_u32_e32 v6, 32, v0
	s_delay_alu instid0(VALU_DEP_1) | instskip(NEXT) | instid1(VALU_DEP_1)
	v_subrev_nc_u32_e32 v0, 28, v6
	v_lshlrev_b64_e32 v[0:1], v0, v[24:25]
	s_delay_alu instid0(VALU_DEP_1)
	v_dual_sub_nc_u32 v1, 29, v6 :: v_dual_bitop2_b32 v0, 7, v0 bitop3:0x40
; %bb.807:                              ;   in Loop: Header=BB296_10 Depth=1
	s_or_b32 exec_lo, exec_lo, s18
	v_lshlrev_b32_e32 v6, 8, v24
	s_delay_alu instid0(VALU_DEP_2) | instskip(NEXT) | instid1(VALU_DEP_3)
	v_lshl_add_u32 v1, v1, 10, 0x2000
	v_lshlrev_b32_e32 v0, 23, v0
	s_delay_alu instid0(VALU_DEP_2) | instskip(NEXT) | instid1(VALU_DEP_1)
	v_and_or_b32 v1, 0x8000, v6, v1
	v_lshl_or_b32 v34, v1, 16, v0
.LBB296_808:                            ;   in Loop: Header=BB296_10 Depth=1
	s_or_b32 exec_lo, exec_lo, s17
.LBB296_809:                            ;   in Loop: Header=BB296_10 Depth=1
	s_delay_alu instid0(SALU_CYCLE_1)
	s_or_b32 exec_lo, exec_lo, s16
.LBB296_810:                            ;   in Loop: Header=BB296_10 Depth=1
	s_delay_alu instid0(SALU_CYCLE_1) | instskip(SKIP_3) | instid1(VALU_DEP_2)
	s_or_b32 exec_lo, exec_lo, s15
	v_and_b32_e32 v0, 0xff, v5
	v_mov_b32_e32 v24, v5
	s_mov_b32 s15, exec_lo
	v_cmpx_ne_u16_e32 0, v0
	s_cbranch_execz .LBB296_818
; %bb.811:                              ;   in Loop: Header=BB296_10 Depth=1
	v_mov_b32_e32 v26, 0x8000
	s_mov_b32 s16, exec_lo
	v_cmpx_ne_u16_e32 0x80, v0
	s_cbranch_execz .LBB296_817
; %bb.812:                              ;   in Loop: Header=BB296_10 Depth=1
	v_and_b32_e32 v6, 0x7f, v5
	v_mov_b32_e32 v26, 0x7c01
	s_mov_b32 s17, exec_lo
	s_delay_alu instid0(VALU_DEP_2)
	v_cmpx_ne_u32_e32 0x7f, v6
	s_cbranch_execz .LBB296_816
; %bb.813:                              ;   in Loop: Header=BB296_10 Depth=1
	v_dual_lshrrev_b32 v1, 3, v6 :: v_dual_bitop2_b32 v0, 7, v5 bitop3:0x40
	s_mov_b32 s18, exec_lo
	v_cmpx_gt_u32_e32 8, v6
; %bb.814:                              ;   in Loop: Header=BB296_10 Depth=1
	s_delay_alu instid0(VALU_DEP_2) | instskip(NEXT) | instid1(VALU_DEP_1)
	v_clz_i32_u32_e32 v0, v0
	v_min_u32_e32 v6, 32, v0
	s_delay_alu instid0(VALU_DEP_1) | instskip(NEXT) | instid1(VALU_DEP_1)
	v_subrev_nc_u32_e32 v0, 28, v6
	v_lshlrev_b64_e32 v[0:1], v0, v[24:25]
	s_delay_alu instid0(VALU_DEP_1)
	v_dual_sub_nc_u32 v1, 29, v6 :: v_dual_bitop2_b32 v0, 7, v0 bitop3:0x40
; %bb.815:                              ;   in Loop: Header=BB296_10 Depth=1
	s_or_b32 exec_lo, exec_lo, s18
	s_delay_alu instid0(VALU_DEP_1) | instskip(NEXT) | instid1(VALU_DEP_2)
	v_dual_lshlrev_b32 v6, 8, v5 :: v_dual_lshlrev_b32 v0, 7, v0
	v_lshl_add_u32 v1, v1, 10, 0x2000
	s_delay_alu instid0(VALU_DEP_2) | instskip(NEXT) | instid1(VALU_DEP_2)
	v_and_b32_e32 v6, 0x8000, v6
	v_and_b32_e32 v1, 0xfc00, v1
	s_delay_alu instid0(VALU_DEP_1)
	v_or3_b32 v26, v6, v1, v0
.LBB296_816:                            ;   in Loop: Header=BB296_10 Depth=1
	s_or_b32 exec_lo, exec_lo, s17
.LBB296_817:                            ;   in Loop: Header=BB296_10 Depth=1
	s_delay_alu instid0(SALU_CYCLE_1)
	s_or_b32 exec_lo, exec_lo, s16
.LBB296_818:                            ;   in Loop: Header=BB296_10 Depth=1
	s_delay_alu instid0(SALU_CYCLE_1)
	s_or_b32 exec_lo, exec_lo, s15
	v_lshrrev_b16 v24, 8, v24
	v_dual_mov_b32 v35, 0 :: v_dual_mov_b32 v0, 0
	s_mov_b32 s15, exec_lo
	scratch_store_b32 off, v0, s32 offset:200 ; 4-byte Folded Spill
	s_wait_xcnt 0x0
	v_cmpx_ne_u16_e32 0, v24
	s_cbranch_execz .LBB296_826
; %bb.819:                              ;   in Loop: Header=BB296_10 Depth=1
	v_bfrev_b32_e32 v0, 1
	s_mov_b32 s16, exec_lo
	scratch_store_b32 off, v0, s32 offset:200 ; 4-byte Folded Spill
	s_wait_xcnt 0x0
	v_cmpx_ne_u16_e32 0x80, v24
	s_cbranch_execz .LBB296_825
; %bb.820:                              ;   in Loop: Header=BB296_10 Depth=1
	v_and_b32_e32 v0, 0xffff, v24
	v_mov_b32_e32 v1, 0x7c010000
	s_mov_b32 s17, exec_lo
	s_delay_alu instid0(VALU_DEP_2)
	v_and_b32_e32 v7, 0x7f, v0
	scratch_store_b32 off, v1, s32 offset:200 ; 4-byte Folded Spill
	s_wait_xcnt 0x0
	v_cmpx_ne_u32_e32 0x7f, v7
	s_cbranch_execz .LBB296_824
; %bb.821:                              ;   in Loop: Header=BB296_10 Depth=1
	v_dual_lshrrev_b32 v6, 3, v7 :: v_dual_bitop2_b32 v1, 7, v0 bitop3:0x40
	s_mov_b32 s18, exec_lo
	v_cmpx_gt_u32_e32 8, v7
; %bb.822:                              ;   in Loop: Header=BB296_10 Depth=1
	s_delay_alu instid0(VALU_DEP_2) | instskip(NEXT) | instid1(VALU_DEP_1)
	v_clz_i32_u32_e32 v1, v1
	v_min_u32_e32 v1, 32, v1
	s_delay_alu instid0(VALU_DEP_1) | instskip(NEXT) | instid1(VALU_DEP_1)
	v_subrev_nc_u32_e32 v6, 28, v1
	v_lshlrev_b64_e32 v[8:9], v6, v[24:25]
	s_delay_alu instid0(VALU_DEP_1)
	v_dual_sub_nc_u32 v6, 29, v1 :: v_dual_bitop2_b32 v1, 7, v8 bitop3:0x40
; %bb.823:                              ;   in Loop: Header=BB296_10 Depth=1
	s_or_b32 exec_lo, exec_lo, s18
	s_delay_alu instid0(VALU_DEP_1) | instskip(NEXT) | instid1(VALU_DEP_2)
	v_dual_lshlrev_b32 v0, 8, v0 :: v_dual_lshlrev_b32 v1, 23, v1
	v_lshl_add_u32 v6, v6, 10, 0x2000
	s_delay_alu instid0(VALU_DEP_1) | instskip(NEXT) | instid1(VALU_DEP_1)
	v_and_or_b32 v0, 0x8000, v0, v6
	v_lshl_or_b32 v0, v0, 16, v1
	scratch_store_b32 off, v0, s32 offset:200 ; 4-byte Folded Spill
.LBB296_824:                            ;   in Loop: Header=BB296_10 Depth=1
	s_wait_xcnt 0x0
	s_or_b32 exec_lo, exec_lo, s17
.LBB296_825:                            ;   in Loop: Header=BB296_10 Depth=1
	s_delay_alu instid0(SALU_CYCLE_1)
	s_or_b32 exec_lo, exec_lo, s16
.LBB296_826:                            ;   in Loop: Header=BB296_10 Depth=1
	s_delay_alu instid0(SALU_CYCLE_1) | instskip(SKIP_2) | instid1(VALU_DEP_1)
	s_or_b32 exec_lo, exec_lo, s15
	v_lshrrev_b32_e32 v8, 16, v5
	s_mov_b32 s15, exec_lo
	v_and_b32_e32 v0, 0xff, v8
	s_delay_alu instid0(VALU_DEP_1)
	v_cmpx_ne_u16_e32 0, v0
	s_cbranch_execz .LBB296_834
; %bb.827:                              ;   in Loop: Header=BB296_10 Depth=1
	v_mov_b32_e32 v35, 0x8000
	s_mov_b32 s16, exec_lo
	v_cmpx_ne_u16_e32 0x80, v0
	s_cbranch_execz .LBB296_833
; %bb.828:                              ;   in Loop: Header=BB296_10 Depth=1
	v_bfe_u32 v6, v5, 16, 7
	v_mov_b32_e32 v35, 0x7c01
	s_mov_b32 s17, exec_lo
	s_delay_alu instid0(VALU_DEP_2)
	v_cmpx_ne_u32_e32 0x7f, v6
	s_cbranch_execz .LBB296_832
; %bb.829:                              ;   in Loop: Header=BB296_10 Depth=1
	v_dual_lshrrev_b32 v1, 3, v6 :: v_dual_bitop2_b32 v0, 7, v8 bitop3:0x40
	s_mov_b32 s18, exec_lo
	v_cmpx_gt_u32_e32 8, v6
; %bb.830:                              ;   in Loop: Header=BB296_10 Depth=1
	s_delay_alu instid0(VALU_DEP_2) | instskip(NEXT) | instid1(VALU_DEP_1)
	v_clz_i32_u32_e32 v0, v0
	v_min_u32_e32 v6, 32, v0
	s_delay_alu instid0(VALU_DEP_1) | instskip(NEXT) | instid1(VALU_DEP_1)
	v_subrev_nc_u32_e32 v0, 28, v6
	v_lshlrev_b64_e32 v[0:1], v0, v[8:9]
	s_delay_alu instid0(VALU_DEP_1)
	v_dual_sub_nc_u32 v1, 29, v6 :: v_dual_bitop2_b32 v0, 7, v0 bitop3:0x40
; %bb.831:                              ;   in Loop: Header=BB296_10 Depth=1
	s_or_b32 exec_lo, exec_lo, s18
	v_lshlrev_b32_e32 v6, 8, v8
	s_delay_alu instid0(VALU_DEP_2) | instskip(NEXT) | instid1(VALU_DEP_3)
	v_lshl_add_u32 v1, v1, 10, 0x2000
	v_lshlrev_b32_e32 v0, 7, v0
	s_delay_alu instid0(VALU_DEP_3) | instskip(NEXT) | instid1(VALU_DEP_3)
	v_and_b32_e32 v6, 0x8000, v6
	v_and_b32_e32 v1, 0xfc00, v1
	s_delay_alu instid0(VALU_DEP_1)
	v_or3_b32 v35, v6, v1, v0
.LBB296_832:                            ;   in Loop: Header=BB296_10 Depth=1
	s_or_b32 exec_lo, exec_lo, s17
.LBB296_833:                            ;   in Loop: Header=BB296_10 Depth=1
	s_delay_alu instid0(SALU_CYCLE_1)
	s_or_b32 exec_lo, exec_lo, s16
.LBB296_834:                            ;   in Loop: Header=BB296_10 Depth=1
	s_delay_alu instid0(SALU_CYCLE_1)
	s_or_b32 exec_lo, exec_lo, s15
	v_dual_mov_b32 v0, 0 :: v_dual_mov_b32 v27, 0
	s_mov_b32 s15, exec_lo
	scratch_store_b32 off, v0, s32 offset:204 ; 4-byte Folded Spill
	s_wait_xcnt 0x0
	v_cmpx_lt_u64_e64 s[2:3], v[4:5]
	s_cbranch_execz .LBB296_842
; %bb.835:                              ;   in Loop: Header=BB296_10 Depth=1
	v_lshrrev_b32_e32 v24, 24, v5
	v_bfrev_b32_e32 v27, 1
	s_mov_b32 s16, exec_lo
	s_delay_alu instid0(VALU_DEP_2)
	v_cmpx_ne_u32_e32 0x80, v24
	s_cbranch_execz .LBB296_841
; %bb.836:                              ;   in Loop: Header=BB296_10 Depth=1
	v_and_b32_e32 v5, 0x7f, v24
	v_mov_b32_e32 v27, 0x7c010000
	s_mov_b32 s17, exec_lo
	s_delay_alu instid0(VALU_DEP_2)
	v_cmpx_ne_u32_e32 0x7f, v5
	s_cbranch_execz .LBB296_840
; %bb.837:                              ;   in Loop: Header=BB296_10 Depth=1
	v_dual_lshrrev_b32 v4, 3, v5 :: v_dual_bitop2_b32 v1, 7, v24 bitop3:0x40
	s_mov_b32 s18, exec_lo
	v_cmpx_gt_u32_e32 8, v5
; %bb.838:                              ;   in Loop: Header=BB296_10 Depth=1
	s_delay_alu instid0(VALU_DEP_2) | instskip(NEXT) | instid1(VALU_DEP_1)
	v_clz_i32_u32_e32 v0, v1
	v_min_u32_e32 v0, 32, v0
	s_delay_alu instid0(VALU_DEP_1) | instskip(NEXT) | instid1(VALU_DEP_1)
	v_subrev_nc_u32_e32 v1, 28, v0
	v_lshlrev_b64_e32 v[6:7], v1, v[24:25]
	s_delay_alu instid0(VALU_DEP_1)
	v_dual_sub_nc_u32 v4, 29, v0 :: v_dual_bitop2_b32 v1, 7, v6 bitop3:0x40
; %bb.839:                              ;   in Loop: Header=BB296_10 Depth=1
	s_or_b32 exec_lo, exec_lo, s18
	s_delay_alu instid0(VALU_DEP_1) | instskip(NEXT) | instid1(VALU_DEP_2)
	v_dual_lshlrev_b32 v0, 8, v24 :: v_dual_lshlrev_b32 v1, 23, v1
	v_lshl_add_u32 v4, v4, 10, 0x2000
	s_delay_alu instid0(VALU_DEP_1) | instskip(NEXT) | instid1(VALU_DEP_1)
	v_and_or_b32 v0, 0x8000, v0, v4
	v_lshl_or_b32 v27, v0, 16, v1
.LBB296_840:                            ;   in Loop: Header=BB296_10 Depth=1
	s_or_b32 exec_lo, exec_lo, s17
.LBB296_841:                            ;   in Loop: Header=BB296_10 Depth=1
	s_delay_alu instid0(SALU_CYCLE_1)
	s_or_b32 exec_lo, exec_lo, s16
.LBB296_842:                            ;   in Loop: Header=BB296_10 Depth=1
	s_delay_alu instid0(SALU_CYCLE_1)
	s_or_b32 exec_lo, exec_lo, s15
	flat_load_b64 v[4:5], v[2:3] offset:3080
	s_mov_b32 s15, exec_lo
	s_wait_loadcnt_dscnt 0x0
	v_and_b32_e32 v1, 0xff, v4
	s_wait_xcnt 0x0
	s_delay_alu instid0(VALU_DEP_1)
	v_cmpx_ne_u16_e32 0, v1
	s_cbranch_execz .LBB296_850
; %bb.843:                              ;   in Loop: Header=BB296_10 Depth=1
	v_mov_b32_e32 v0, 0x8000
	s_mov_b32 s16, exec_lo
	scratch_store_b32 off, v0, s32 offset:204 ; 4-byte Folded Spill
	s_wait_xcnt 0x0
	v_cmpx_ne_u16_e32 0x80, v1
	s_cbranch_execz .LBB296_849
; %bb.844:                              ;   in Loop: Header=BB296_10 Depth=1
	v_and_b32_e32 v6, 0x7f, v4
	v_mov_b32_e32 v0, 0x7c01
	s_mov_b32 s17, exec_lo
	scratch_store_b32 off, v0, s32 offset:204 ; 4-byte Folded Spill
	s_wait_xcnt 0x0
	v_cmpx_ne_u32_e32 0x7f, v6
	s_cbranch_execz .LBB296_848
; %bb.845:                              ;   in Loop: Header=BB296_10 Depth=1
	v_dual_lshrrev_b32 v1, 3, v6 :: v_dual_bitop2_b32 v0, 7, v4 bitop3:0x40
	s_mov_b32 s18, exec_lo
	v_cmpx_gt_u32_e32 8, v6
; %bb.846:                              ;   in Loop: Header=BB296_10 Depth=1
	s_delay_alu instid0(VALU_DEP_2) | instskip(NEXT) | instid1(VALU_DEP_1)
	v_clz_i32_u32_e32 v0, v0
	v_min_u32_e32 v6, 32, v0
	s_delay_alu instid0(VALU_DEP_1) | instskip(NEXT) | instid1(VALU_DEP_1)
	v_subrev_nc_u32_e32 v0, 28, v6
	v_lshlrev_b64_e32 v[0:1], v0, v[4:5]
	s_delay_alu instid0(VALU_DEP_1)
	v_dual_sub_nc_u32 v1, 29, v6 :: v_dual_bitop2_b32 v0, 7, v0 bitop3:0x40
; %bb.847:                              ;   in Loop: Header=BB296_10 Depth=1
	s_or_b32 exec_lo, exec_lo, s18
	v_lshlrev_b32_e32 v6, 8, v4
	s_delay_alu instid0(VALU_DEP_2) | instskip(NEXT) | instid1(VALU_DEP_3)
	v_lshl_add_u32 v1, v1, 10, 0x2000
	v_lshlrev_b32_e32 v0, 7, v0
	s_delay_alu instid0(VALU_DEP_3) | instskip(NEXT) | instid1(VALU_DEP_3)
	v_and_b32_e32 v6, 0x8000, v6
	v_and_b32_e32 v1, 0xfc00, v1
	s_delay_alu instid0(VALU_DEP_1)
	v_or3_b32 v0, v6, v1, v0
	scratch_store_b32 off, v0, s32 offset:204 ; 4-byte Folded Spill
.LBB296_848:                            ;   in Loop: Header=BB296_10 Depth=1
	s_wait_xcnt 0x0
	s_or_b32 exec_lo, exec_lo, s17
.LBB296_849:                            ;   in Loop: Header=BB296_10 Depth=1
	s_delay_alu instid0(SALU_CYCLE_1)
	s_or_b32 exec_lo, exec_lo, s16
.LBB296_850:                            ;   in Loop: Header=BB296_10 Depth=1
	s_delay_alu instid0(SALU_CYCLE_1)
	s_or_b32 exec_lo, exec_lo, s15
	v_lshrrev_b16 v24, 8, v4
	v_dual_mov_b32 v0, 0 :: v_dual_mov_b32 v9, 0
	s_mov_b32 s15, exec_lo
	scratch_store_b32 off, v0, s32 offset:208 ; 4-byte Folded Spill
	s_wait_xcnt 0x0
	v_cmpx_ne_u16_e32 0, v24
	s_cbranch_execz .LBB296_858
; %bb.851:                              ;   in Loop: Header=BB296_10 Depth=1
	v_bfrev_b32_e32 v9, 1
	s_mov_b32 s16, exec_lo
	v_cmpx_ne_u16_e32 0x80, v24
	s_cbranch_execz .LBB296_857
; %bb.852:                              ;   in Loop: Header=BB296_10 Depth=1
	v_and_b32_e32 v1, 0xffff, v24
	v_mov_b32_e32 v9, 0x7c010000
	s_mov_b32 s17, exec_lo
	s_delay_alu instid0(VALU_DEP_2) | instskip(NEXT) | instid1(VALU_DEP_1)
	v_and_b32_e32 v8, 0x7f, v1
	v_cmpx_ne_u32_e32 0x7f, v8
	s_cbranch_execz .LBB296_856
; %bb.853:                              ;   in Loop: Header=BB296_10 Depth=1
	v_dual_lshrrev_b32 v7, 3, v8 :: v_dual_bitop2_b32 v6, 7, v1 bitop3:0x40
	s_mov_b32 s18, exec_lo
	v_cmpx_gt_u32_e32 8, v8
; %bb.854:                              ;   in Loop: Header=BB296_10 Depth=1
	s_delay_alu instid0(VALU_DEP_2) | instskip(NEXT) | instid1(VALU_DEP_1)
	v_clz_i32_u32_e32 v0, v6
	v_min_u32_e32 v0, 32, v0
	s_delay_alu instid0(VALU_DEP_1) | instskip(NEXT) | instid1(VALU_DEP_1)
	v_subrev_nc_u32_e32 v6, 28, v0
	v_lshlrev_b64_e32 v[6:7], v6, v[24:25]
	s_delay_alu instid0(VALU_DEP_1)
	v_dual_sub_nc_u32 v7, 29, v0 :: v_dual_bitop2_b32 v6, 7, v6 bitop3:0x40
; %bb.855:                              ;   in Loop: Header=BB296_10 Depth=1
	s_or_b32 exec_lo, exec_lo, s18
	v_lshlrev_b32_e32 v0, 8, v1
	s_delay_alu instid0(VALU_DEP_2) | instskip(NEXT) | instid1(VALU_DEP_1)
	v_lshl_add_u32 v1, v7, 10, 0x2000
	v_and_or_b32 v0, 0x8000, v0, v1
	v_lshlrev_b32_e32 v1, 23, v6
	s_delay_alu instid0(VALU_DEP_1)
	v_lshl_or_b32 v9, v0, 16, v1
.LBB296_856:                            ;   in Loop: Header=BB296_10 Depth=1
	s_or_b32 exec_lo, exec_lo, s17
.LBB296_857:                            ;   in Loop: Header=BB296_10 Depth=1
	s_delay_alu instid0(SALU_CYCLE_1)
	s_or_b32 exec_lo, exec_lo, s16
.LBB296_858:                            ;   in Loop: Header=BB296_10 Depth=1
	s_delay_alu instid0(SALU_CYCLE_1) | instskip(SKIP_2) | instid1(VALU_DEP_1)
	s_or_b32 exec_lo, exec_lo, s15
	v_lshrrev_b32_e32 v8, 16, v4
	s_mov_b32 s15, exec_lo
	v_and_b32_e32 v1, 0xff, v8
	s_delay_alu instid0(VALU_DEP_1)
	v_cmpx_ne_u16_e32 0, v1
	s_cbranch_execz .LBB296_866
; %bb.859:                              ;   in Loop: Header=BB296_10 Depth=1
	v_mov_b32_e32 v0, 0x8000
	s_mov_b32 s16, exec_lo
	scratch_store_b32 off, v0, s32 offset:208 ; 4-byte Folded Spill
	s_wait_xcnt 0x0
	v_cmpx_ne_u16_e32 0x80, v1
	s_cbranch_execz .LBB296_865
; %bb.860:                              ;   in Loop: Header=BB296_10 Depth=1
	v_bfe_u32 v7, v4, 16, 7
	v_mov_b32_e32 v0, 0x7c01
	s_mov_b32 s17, exec_lo
	scratch_store_b32 off, v0, s32 offset:208 ; 4-byte Folded Spill
	s_wait_xcnt 0x0
	v_cmpx_ne_u32_e32 0x7f, v7
	s_cbranch_execz .LBB296_864
; %bb.861:                              ;   in Loop: Header=BB296_10 Depth=1
	v_dual_lshrrev_b32 v6, 3, v7 :: v_dual_bitop2_b32 v1, 7, v8 bitop3:0x40
	s_mov_b32 s18, exec_lo
	v_cmpx_gt_u32_e32 8, v7
; %bb.862:                              ;   in Loop: Header=BB296_10 Depth=1
	s_delay_alu instid0(VALU_DEP_2) | instskip(NEXT) | instid1(VALU_DEP_1)
	v_clz_i32_u32_e32 v0, v1
	v_min_u32_e32 v0, 32, v0
	s_delay_alu instid0(VALU_DEP_1) | instskip(NEXT) | instid1(VALU_DEP_1)
	v_subrev_nc_u32_e32 v1, 28, v0
	v_lshlrev_b64_e32 v[10:11], v1, v[8:9]
	s_delay_alu instid0(VALU_DEP_1)
	v_dual_sub_nc_u32 v6, 29, v0 :: v_dual_bitop2_b32 v1, 7, v10 bitop3:0x40
; %bb.863:                              ;   in Loop: Header=BB296_10 Depth=1
	s_or_b32 exec_lo, exec_lo, s18
	s_delay_alu instid0(VALU_DEP_1) | instskip(NEXT) | instid1(VALU_DEP_2)
	v_dual_lshlrev_b32 v0, 8, v8 :: v_dual_lshlrev_b32 v1, 7, v1
	v_lshl_add_u32 v6, v6, 10, 0x2000
	s_delay_alu instid0(VALU_DEP_2) | instskip(NEXT) | instid1(VALU_DEP_2)
	v_and_b32_e32 v0, 0x8000, v0
	v_and_b32_e32 v6, 0xfc00, v6
	s_delay_alu instid0(VALU_DEP_1)
	v_or3_b32 v0, v0, v6, v1
	scratch_store_b32 off, v0, s32 offset:208 ; 4-byte Folded Spill
.LBB296_864:                            ;   in Loop: Header=BB296_10 Depth=1
	s_wait_xcnt 0x0
	s_or_b32 exec_lo, exec_lo, s17
.LBB296_865:                            ;   in Loop: Header=BB296_10 Depth=1
	s_delay_alu instid0(SALU_CYCLE_1)
	s_or_b32 exec_lo, exec_lo, s16
.LBB296_866:                            ;   in Loop: Header=BB296_10 Depth=1
	s_delay_alu instid0(SALU_CYCLE_1)
	s_or_b32 exec_lo, exec_lo, s15
	v_dual_mov_b32 v0, 0 :: v_dual_mov_b32 v23, 0
	s_mov_b32 s15, exec_lo
	scratch_store_b32 off, v0, s32 offset:212 ; 4-byte Folded Spill
	s_wait_xcnt 0x0
	v_cmpx_lt_u32_e32 0xffffff, v4
	s_cbranch_execz .LBB296_874
; %bb.867:                              ;   in Loop: Header=BB296_10 Depth=1
	v_lshrrev_b32_e32 v24, 24, v4
	v_bfrev_b32_e32 v23, 1
	s_mov_b32 s16, exec_lo
	s_delay_alu instid0(VALU_DEP_2)
	v_cmpx_ne_u32_e32 0x80, v24
	s_cbranch_execz .LBB296_873
; %bb.868:                              ;   in Loop: Header=BB296_10 Depth=1
	v_and_b32_e32 v7, 0x7f, v24
	v_mov_b32_e32 v23, 0x7c010000
	s_mov_b32 s17, exec_lo
	s_delay_alu instid0(VALU_DEP_2)
	v_cmpx_ne_u32_e32 0x7f, v7
	s_cbranch_execz .LBB296_872
; %bb.869:                              ;   in Loop: Header=BB296_10 Depth=1
	v_dual_lshrrev_b32 v6, 3, v7 :: v_dual_bitop2_b32 v1, 7, v24 bitop3:0x40
	s_mov_b32 s18, exec_lo
	v_cmpx_gt_u32_e32 8, v7
; %bb.870:                              ;   in Loop: Header=BB296_10 Depth=1
	s_delay_alu instid0(VALU_DEP_2) | instskip(NEXT) | instid1(VALU_DEP_1)
	v_clz_i32_u32_e32 v0, v1
	v_min_u32_e32 v0, 32, v0
	s_delay_alu instid0(VALU_DEP_1) | instskip(NEXT) | instid1(VALU_DEP_1)
	v_subrev_nc_u32_e32 v1, 28, v0
	v_lshlrev_b64_e32 v[10:11], v1, v[24:25]
	s_delay_alu instid0(VALU_DEP_1)
	v_dual_sub_nc_u32 v6, 29, v0 :: v_dual_bitop2_b32 v1, 7, v10 bitop3:0x40
; %bb.871:                              ;   in Loop: Header=BB296_10 Depth=1
	s_or_b32 exec_lo, exec_lo, s18
	s_delay_alu instid0(VALU_DEP_1) | instskip(NEXT) | instid1(VALU_DEP_2)
	v_dual_lshlrev_b32 v0, 8, v24 :: v_dual_lshlrev_b32 v1, 23, v1
	v_lshl_add_u32 v6, v6, 10, 0x2000
	s_delay_alu instid0(VALU_DEP_1) | instskip(NEXT) | instid1(VALU_DEP_1)
	v_and_or_b32 v0, 0x8000, v0, v6
	v_lshl_or_b32 v23, v0, 16, v1
.LBB296_872:                            ;   in Loop: Header=BB296_10 Depth=1
	s_or_b32 exec_lo, exec_lo, s17
.LBB296_873:                            ;   in Loop: Header=BB296_10 Depth=1
	s_delay_alu instid0(SALU_CYCLE_1)
	s_or_b32 exec_lo, exec_lo, s16
.LBB296_874:                            ;   in Loop: Header=BB296_10 Depth=1
	s_delay_alu instid0(SALU_CYCLE_1) | instskip(SKIP_3) | instid1(VALU_DEP_2)
	s_or_b32 exec_lo, exec_lo, s15
	v_and_b32_e32 v1, 0xff, v5
	v_mov_b32_e32 v24, v5
	s_mov_b32 s15, exec_lo
	v_cmpx_ne_u16_e32 0, v1
	s_cbranch_execz .LBB296_882
; %bb.875:                              ;   in Loop: Header=BB296_10 Depth=1
	v_mov_b32_e32 v0, 0x8000
	s_mov_b32 s16, exec_lo
	scratch_store_b32 off, v0, s32 offset:212 ; 4-byte Folded Spill
	s_wait_xcnt 0x0
	v_cmpx_ne_u16_e32 0x80, v1
	s_cbranch_execz .LBB296_881
; %bb.876:                              ;   in Loop: Header=BB296_10 Depth=1
	v_and_b32_e32 v7, 0x7f, v5
	v_mov_b32_e32 v0, 0x7c01
	s_mov_b32 s17, exec_lo
	scratch_store_b32 off, v0, s32 offset:212 ; 4-byte Folded Spill
	s_wait_xcnt 0x0
	v_cmpx_ne_u32_e32 0x7f, v7
	s_cbranch_execz .LBB296_880
; %bb.877:                              ;   in Loop: Header=BB296_10 Depth=1
	v_dual_lshrrev_b32 v6, 3, v7 :: v_dual_bitop2_b32 v1, 7, v5 bitop3:0x40
	s_mov_b32 s18, exec_lo
	v_cmpx_gt_u32_e32 8, v7
; %bb.878:                              ;   in Loop: Header=BB296_10 Depth=1
	s_delay_alu instid0(VALU_DEP_2) | instskip(NEXT) | instid1(VALU_DEP_1)
	v_clz_i32_u32_e32 v0, v1
	v_min_u32_e32 v0, 32, v0
	s_delay_alu instid0(VALU_DEP_1) | instskip(NEXT) | instid1(VALU_DEP_1)
	v_subrev_nc_u32_e32 v1, 28, v0
	v_lshlrev_b64_e32 v[10:11], v1, v[24:25]
	s_delay_alu instid0(VALU_DEP_1)
	v_dual_sub_nc_u32 v6, 29, v0 :: v_dual_bitop2_b32 v1, 7, v10 bitop3:0x40
; %bb.879:                              ;   in Loop: Header=BB296_10 Depth=1
	s_or_b32 exec_lo, exec_lo, s18
	v_lshlrev_b32_e32 v0, 8, v5
	s_delay_alu instid0(VALU_DEP_2) | instskip(NEXT) | instid1(VALU_DEP_3)
	v_lshl_add_u32 v6, v6, 10, 0x2000
	v_lshlrev_b32_e32 v1, 7, v1
	s_delay_alu instid0(VALU_DEP_3) | instskip(NEXT) | instid1(VALU_DEP_3)
	v_and_b32_e32 v0, 0x8000, v0
	v_and_b32_e32 v6, 0xfc00, v6
	s_delay_alu instid0(VALU_DEP_1)
	v_or3_b32 v0, v0, v6, v1
	scratch_store_b32 off, v0, s32 offset:212 ; 4-byte Folded Spill
.LBB296_880:                            ;   in Loop: Header=BB296_10 Depth=1
	s_wait_xcnt 0x0
	s_or_b32 exec_lo, exec_lo, s17
.LBB296_881:                            ;   in Loop: Header=BB296_10 Depth=1
	s_delay_alu instid0(SALU_CYCLE_1)
	s_or_b32 exec_lo, exec_lo, s16
.LBB296_882:                            ;   in Loop: Header=BB296_10 Depth=1
	s_delay_alu instid0(SALU_CYCLE_1)
	s_or_b32 exec_lo, exec_lo, s15
	v_lshrrev_b16 v24, 8, v24
	v_dual_mov_b32 v0, 0 :: v_dual_mov_b32 v22, 0
	s_mov_b32 s15, exec_lo
	scratch_store_b32 off, v0, s32 offset:216 ; 4-byte Folded Spill
	s_wait_xcnt 0x0
	v_cmpx_ne_u16_e32 0, v24
	s_cbranch_execz .LBB296_890
; %bb.883:                              ;   in Loop: Header=BB296_10 Depth=1
	v_bfrev_b32_e32 v22, 1
	s_mov_b32 s16, exec_lo
	v_cmpx_ne_u16_e32 0x80, v24
	s_cbranch_execz .LBB296_889
; %bb.884:                              ;   in Loop: Header=BB296_10 Depth=1
	v_and_b32_e32 v1, 0xffff, v24
	v_mov_b32_e32 v22, 0x7c010000
	s_mov_b32 s17, exec_lo
	s_delay_alu instid0(VALU_DEP_2) | instskip(NEXT) | instid1(VALU_DEP_1)
	v_and_b32_e32 v8, 0x7f, v1
	v_cmpx_ne_u32_e32 0x7f, v8
	s_cbranch_execz .LBB296_888
; %bb.885:                              ;   in Loop: Header=BB296_10 Depth=1
	v_dual_lshrrev_b32 v7, 3, v8 :: v_dual_bitop2_b32 v6, 7, v1 bitop3:0x40
	s_mov_b32 s18, exec_lo
	v_cmpx_gt_u32_e32 8, v8
; %bb.886:                              ;   in Loop: Header=BB296_10 Depth=1
	s_delay_alu instid0(VALU_DEP_2) | instskip(NEXT) | instid1(VALU_DEP_1)
	v_clz_i32_u32_e32 v0, v6
	v_min_u32_e32 v0, 32, v0
	s_delay_alu instid0(VALU_DEP_1) | instskip(NEXT) | instid1(VALU_DEP_1)
	v_subrev_nc_u32_e32 v6, 28, v0
	v_lshlrev_b64_e32 v[6:7], v6, v[24:25]
	s_delay_alu instid0(VALU_DEP_1)
	v_dual_sub_nc_u32 v7, 29, v0 :: v_dual_bitop2_b32 v6, 7, v6 bitop3:0x40
; %bb.887:                              ;   in Loop: Header=BB296_10 Depth=1
	s_or_b32 exec_lo, exec_lo, s18
	v_lshlrev_b32_e32 v0, 8, v1
	s_delay_alu instid0(VALU_DEP_2) | instskip(NEXT) | instid1(VALU_DEP_1)
	v_lshl_add_u32 v1, v7, 10, 0x2000
	v_and_or_b32 v0, 0x8000, v0, v1
	v_lshlrev_b32_e32 v1, 23, v6
	s_delay_alu instid0(VALU_DEP_1)
	v_lshl_or_b32 v22, v0, 16, v1
.LBB296_888:                            ;   in Loop: Header=BB296_10 Depth=1
	s_or_b32 exec_lo, exec_lo, s17
.LBB296_889:                            ;   in Loop: Header=BB296_10 Depth=1
	s_delay_alu instid0(SALU_CYCLE_1)
	s_or_b32 exec_lo, exec_lo, s16
.LBB296_890:                            ;   in Loop: Header=BB296_10 Depth=1
	s_delay_alu instid0(SALU_CYCLE_1) | instskip(SKIP_2) | instid1(VALU_DEP_1)
	s_or_b32 exec_lo, exec_lo, s15
	v_lshrrev_b32_e32 v8, 16, v5
	s_mov_b32 s15, exec_lo
	v_and_b32_e32 v1, 0xff, v8
	s_delay_alu instid0(VALU_DEP_1)
	v_cmpx_ne_u16_e32 0, v1
	s_cbranch_execz .LBB296_898
; %bb.891:                              ;   in Loop: Header=BB296_10 Depth=1
	v_mov_b32_e32 v0, 0x8000
	s_mov_b32 s16, exec_lo
	scratch_store_b32 off, v0, s32 offset:216 ; 4-byte Folded Spill
	s_wait_xcnt 0x0
	v_cmpx_ne_u16_e32 0x80, v1
	s_cbranch_execz .LBB296_897
; %bb.892:                              ;   in Loop: Header=BB296_10 Depth=1
	v_bfe_u32 v7, v5, 16, 7
	v_mov_b32_e32 v0, 0x7c01
	s_mov_b32 s17, exec_lo
	scratch_store_b32 off, v0, s32 offset:216 ; 4-byte Folded Spill
	s_wait_xcnt 0x0
	v_cmpx_ne_u32_e32 0x7f, v7
	s_cbranch_execz .LBB296_896
; %bb.893:                              ;   in Loop: Header=BB296_10 Depth=1
	v_dual_lshrrev_b32 v6, 3, v7 :: v_dual_bitop2_b32 v1, 7, v8 bitop3:0x40
	s_mov_b32 s18, exec_lo
	v_cmpx_gt_u32_e32 8, v7
; %bb.894:                              ;   in Loop: Header=BB296_10 Depth=1
	s_delay_alu instid0(VALU_DEP_2) | instskip(NEXT) | instid1(VALU_DEP_1)
	v_clz_i32_u32_e32 v0, v1
	v_min_u32_e32 v0, 32, v0
	s_delay_alu instid0(VALU_DEP_1) | instskip(NEXT) | instid1(VALU_DEP_1)
	v_subrev_nc_u32_e32 v1, 28, v0
	v_lshlrev_b64_e32 v[10:11], v1, v[8:9]
	s_delay_alu instid0(VALU_DEP_1)
	v_dual_sub_nc_u32 v6, 29, v0 :: v_dual_bitop2_b32 v1, 7, v10 bitop3:0x40
; %bb.895:                              ;   in Loop: Header=BB296_10 Depth=1
	s_or_b32 exec_lo, exec_lo, s18
	s_delay_alu instid0(VALU_DEP_1) | instskip(NEXT) | instid1(VALU_DEP_2)
	v_dual_lshlrev_b32 v0, 8, v8 :: v_dual_lshlrev_b32 v1, 7, v1
	v_lshl_add_u32 v6, v6, 10, 0x2000
	s_delay_alu instid0(VALU_DEP_2) | instskip(NEXT) | instid1(VALU_DEP_2)
	v_and_b32_e32 v0, 0x8000, v0
	v_and_b32_e32 v6, 0xfc00, v6
	s_delay_alu instid0(VALU_DEP_1)
	v_or3_b32 v0, v0, v6, v1
	scratch_store_b32 off, v0, s32 offset:216 ; 4-byte Folded Spill
.LBB296_896:                            ;   in Loop: Header=BB296_10 Depth=1
	s_wait_xcnt 0x0
	s_or_b32 exec_lo, exec_lo, s17
.LBB296_897:                            ;   in Loop: Header=BB296_10 Depth=1
	s_delay_alu instid0(SALU_CYCLE_1)
	s_or_b32 exec_lo, exec_lo, s16
.LBB296_898:                            ;   in Loop: Header=BB296_10 Depth=1
	s_delay_alu instid0(SALU_CYCLE_1)
	s_or_b32 exec_lo, exec_lo, s15
	v_dual_mov_b32 v0, 0 :: v_dual_mov_b32 v10, 0
	s_mov_b32 s15, exec_lo
	v_cmpx_lt_u64_e64 s[2:3], v[4:5]
	s_cbranch_execz .LBB296_906
; %bb.899:                              ;   in Loop: Header=BB296_10 Depth=1
	v_lshrrev_b32_e32 v24, 24, v5
	v_bfrev_b32_e32 v10, 1
	s_mov_b32 s16, exec_lo
	s_delay_alu instid0(VALU_DEP_2)
	v_cmpx_ne_u32_e32 0x80, v24
	s_cbranch_execz .LBB296_905
; %bb.900:                              ;   in Loop: Header=BB296_10 Depth=1
	v_and_b32_e32 v5, 0x7f, v24
	v_mov_b32_e32 v10, 0x7c010000
	s_mov_b32 s17, exec_lo
	s_delay_alu instid0(VALU_DEP_2)
	v_cmpx_ne_u32_e32 0x7f, v5
	s_cbranch_execz .LBB296_904
; %bb.901:                              ;   in Loop: Header=BB296_10 Depth=1
	v_dual_lshrrev_b32 v4, 3, v5 :: v_dual_bitop2_b32 v1, 7, v24 bitop3:0x40
	s_mov_b32 s18, exec_lo
	v_cmpx_gt_u32_e32 8, v5
; %bb.902:                              ;   in Loop: Header=BB296_10 Depth=1
	s_delay_alu instid0(VALU_DEP_2) | instskip(NEXT) | instid1(VALU_DEP_1)
	v_clz_i32_u32_e32 v1, v1
	v_min_u32_e32 v1, 32, v1
	s_delay_alu instid0(VALU_DEP_1) | instskip(NEXT) | instid1(VALU_DEP_1)
	v_subrev_nc_u32_e32 v4, 28, v1
	v_lshlrev_b64_e32 v[6:7], v4, v[24:25]
	s_delay_alu instid0(VALU_DEP_1)
	v_dual_sub_nc_u32 v4, 29, v1 :: v_dual_bitop2_b32 v1, 7, v6 bitop3:0x40
; %bb.903:                              ;   in Loop: Header=BB296_10 Depth=1
	s_or_b32 exec_lo, exec_lo, s18
	s_delay_alu instid0(VALU_DEP_1) | instskip(NEXT) | instid1(VALU_DEP_2)
	v_dual_lshlrev_b32 v5, 8, v24 :: v_dual_lshlrev_b32 v1, 23, v1
	v_lshl_add_u32 v4, v4, 10, 0x2000
	s_delay_alu instid0(VALU_DEP_1) | instskip(NEXT) | instid1(VALU_DEP_1)
	v_and_or_b32 v4, 0x8000, v5, v4
	v_lshl_or_b32 v10, v4, 16, v1
.LBB296_904:                            ;   in Loop: Header=BB296_10 Depth=1
	s_or_b32 exec_lo, exec_lo, s17
.LBB296_905:                            ;   in Loop: Header=BB296_10 Depth=1
	s_delay_alu instid0(SALU_CYCLE_1)
	s_or_b32 exec_lo, exec_lo, s16
.LBB296_906:                            ;   in Loop: Header=BB296_10 Depth=1
	s_delay_alu instid0(SALU_CYCLE_1)
	s_or_b32 exec_lo, exec_lo, s15
	flat_load_b64 v[2:3], v[2:3] offset:3584
	s_mov_b32 s15, exec_lo
	s_wait_loadcnt_dscnt 0x0
	v_and_b32_e32 v1, 0xff, v2
	s_wait_xcnt 0x0
	s_delay_alu instid0(VALU_DEP_1)
	v_cmpx_ne_u16_e32 0, v1
	s_cbranch_execz .LBB296_914
; %bb.907:                              ;   in Loop: Header=BB296_10 Depth=1
	v_mov_b32_e32 v0, 0x8000
	s_mov_b32 s16, exec_lo
	v_cmpx_ne_u16_e32 0x80, v1
	s_cbranch_execz .LBB296_913
; %bb.908:                              ;   in Loop: Header=BB296_10 Depth=1
	v_and_b32_e32 v5, 0x7f, v2
	v_mov_b32_e32 v0, 0x7c01
	s_mov_b32 s17, exec_lo
	s_delay_alu instid0(VALU_DEP_2)
	v_cmpx_ne_u32_e32 0x7f, v5
	s_cbranch_execz .LBB296_912
; %bb.909:                              ;   in Loop: Header=BB296_10 Depth=1
	v_dual_lshrrev_b32 v4, 3, v5 :: v_dual_bitop2_b32 v1, 7, v2 bitop3:0x40
	s_mov_b32 s18, exec_lo
	v_cmpx_gt_u32_e32 8, v5
; %bb.910:                              ;   in Loop: Header=BB296_10 Depth=1
	s_delay_alu instid0(VALU_DEP_2) | instskip(NEXT) | instid1(VALU_DEP_1)
	v_clz_i32_u32_e32 v0, v1
	v_min_u32_e32 v0, 32, v0
	s_delay_alu instid0(VALU_DEP_1) | instskip(NEXT) | instid1(VALU_DEP_1)
	v_subrev_nc_u32_e32 v1, 28, v0
	v_lshlrev_b64_e32 v[6:7], v1, v[2:3]
	s_delay_alu instid0(VALU_DEP_1)
	v_dual_sub_nc_u32 v4, 29, v0 :: v_dual_bitop2_b32 v1, 7, v6 bitop3:0x40
; %bb.911:                              ;   in Loop: Header=BB296_10 Depth=1
	s_or_b32 exec_lo, exec_lo, s18
	s_delay_alu instid0(VALU_DEP_1) | instskip(NEXT) | instid1(VALU_DEP_2)
	v_dual_lshlrev_b32 v0, 8, v2 :: v_dual_lshlrev_b32 v1, 7, v1
	v_lshl_add_u32 v4, v4, 10, 0x2000
	s_delay_alu instid0(VALU_DEP_2) | instskip(NEXT) | instid1(VALU_DEP_2)
	v_and_b32_e32 v0, 0x8000, v0
	v_and_b32_e32 v4, 0xfc00, v4
	s_delay_alu instid0(VALU_DEP_1)
	v_or3_b32 v0, v0, v4, v1
.LBB296_912:                            ;   in Loop: Header=BB296_10 Depth=1
	s_or_b32 exec_lo, exec_lo, s17
.LBB296_913:                            ;   in Loop: Header=BB296_10 Depth=1
	s_delay_alu instid0(SALU_CYCLE_1)
	s_or_b32 exec_lo, exec_lo, s16
.LBB296_914:                            ;   in Loop: Header=BB296_10 Depth=1
	s_delay_alu instid0(SALU_CYCLE_1) | instskip(SKIP_3) | instid1(VALU_DEP_2)
	s_or_b32 exec_lo, exec_lo, s15
	v_lshrrev_b16 v24, 8, v2
	v_dual_mov_b32 v8, 0 :: v_dual_mov_b32 v6, 0
	s_mov_b32 s15, exec_lo
	v_cmpx_ne_u16_e32 0, v24
	s_cbranch_execz .LBB296_922
; %bb.915:                              ;   in Loop: Header=BB296_10 Depth=1
	v_bfrev_b32_e32 v6, 1
	s_mov_b32 s16, exec_lo
	v_cmpx_ne_u16_e32 0x80, v24
	s_cbranch_execz .LBB296_921
; %bb.916:                              ;   in Loop: Header=BB296_10 Depth=1
	v_and_b32_e32 v1, 0xffff, v24
	v_mov_b32_e32 v6, 0x7c010000
	s_mov_b32 s17, exec_lo
	s_delay_alu instid0(VALU_DEP_2) | instskip(NEXT) | instid1(VALU_DEP_1)
	v_and_b32_e32 v7, 0x7f, v1
	v_cmpx_ne_u32_e32 0x7f, v7
	s_cbranch_execz .LBB296_920
; %bb.917:                              ;   in Loop: Header=BB296_10 Depth=1
	v_dual_lshrrev_b32 v5, 3, v7 :: v_dual_bitop2_b32 v4, 7, v1 bitop3:0x40
	s_mov_b32 s18, exec_lo
	v_cmpx_gt_u32_e32 8, v7
; %bb.918:                              ;   in Loop: Header=BB296_10 Depth=1
	s_delay_alu instid0(VALU_DEP_2) | instskip(NEXT) | instid1(VALU_DEP_1)
	v_clz_i32_u32_e32 v4, v4
	v_min_u32_e32 v6, 32, v4
	s_delay_alu instid0(VALU_DEP_1) | instskip(NEXT) | instid1(VALU_DEP_1)
	v_subrev_nc_u32_e32 v4, 28, v6
	v_lshlrev_b64_e32 v[4:5], v4, v[24:25]
	s_delay_alu instid0(VALU_DEP_1)
	v_dual_sub_nc_u32 v5, 29, v6 :: v_dual_bitop2_b32 v4, 7, v4 bitop3:0x40
; %bb.919:                              ;   in Loop: Header=BB296_10 Depth=1
	s_or_b32 exec_lo, exec_lo, s18
	s_delay_alu instid0(VALU_DEP_1) | instskip(NEXT) | instid1(VALU_DEP_2)
	v_dual_lshlrev_b32 v1, 8, v1 :: v_dual_lshlrev_b32 v4, 23, v4
	v_lshl_add_u32 v5, v5, 10, 0x2000
	s_delay_alu instid0(VALU_DEP_1) | instskip(NEXT) | instid1(VALU_DEP_1)
	v_and_or_b32 v1, 0x8000, v1, v5
	v_lshl_or_b32 v6, v1, 16, v4
.LBB296_920:                            ;   in Loop: Header=BB296_10 Depth=1
	s_or_b32 exec_lo, exec_lo, s17
.LBB296_921:                            ;   in Loop: Header=BB296_10 Depth=1
	s_delay_alu instid0(SALU_CYCLE_1)
	s_or_b32 exec_lo, exec_lo, s16
.LBB296_922:                            ;   in Loop: Header=BB296_10 Depth=1
	s_delay_alu instid0(SALU_CYCLE_1) | instskip(SKIP_1) | instid1(VALU_DEP_1)
	s_or_b32 exec_lo, exec_lo, s15
	v_lshrrev_b32_e32 v4, 16, v2
	v_and_b32_e32 v1, 0xff, v4
	s_delay_alu instid0(VALU_DEP_1) | instskip(SKIP_1) | instid1(SALU_CYCLE_1)
	v_cmp_ne_u16_e64 s1, 0, v1
	s_mov_b32 s15, exec_lo
	s_and_b32 s1, s15, s1
	s_clause 0x4
	scratch_store_b32 off, v14, s32 offset:268
	scratch_store_b32 off, v21, s32 offset:272
	;; [unrolled: 1-line block ×5, first 2 shown]
	s_wait_xcnt 0x0
	s_mov_b32 exec_lo, s1
	s_cbranch_execz .LBB296_930
; %bb.923:                              ;   in Loop: Header=BB296_10 Depth=1
	v_mov_b32_e32 v8, 0x8000
	s_mov_b32 s16, exec_lo
	v_cmpx_ne_u16_e32 0x80, v1
	s_cbranch_execz .LBB296_929
; %bb.924:                              ;   in Loop: Header=BB296_10 Depth=1
	v_bfe_u32 v7, v2, 16, 7
	v_mov_b32_e32 v8, 0x7c01
	s_mov_b32 s17, exec_lo
	s_delay_alu instid0(VALU_DEP_2)
	v_cmpx_ne_u32_e32 0x7f, v7
	s_cbranch_execz .LBB296_928
; %bb.925:                              ;   in Loop: Header=BB296_10 Depth=1
	v_dual_lshrrev_b32 v5, 3, v7 :: v_dual_bitop2_b32 v1, 7, v4 bitop3:0x40
	s_mov_b32 s18, exec_lo
	v_cmpx_gt_u32_e32 8, v7
; %bb.926:                              ;   in Loop: Header=BB296_10 Depth=1
	s_delay_alu instid0(VALU_DEP_2) | instskip(NEXT) | instid1(VALU_DEP_1)
	v_clz_i32_u32_e32 v1, v1
	v_min_u32_e32 v1, 32, v1
	s_delay_alu instid0(VALU_DEP_1) | instskip(NEXT) | instid1(VALU_DEP_1)
	v_subrev_nc_u32_e32 v5, 28, v1
	v_lshlrev_b64_e32 v[34:35], v5, v[4:5]
	s_delay_alu instid0(VALU_DEP_1)
	v_dual_sub_nc_u32 v5, 29, v1 :: v_dual_bitop2_b32 v1, 7, v34 bitop3:0x40
; %bb.927:                              ;   in Loop: Header=BB296_10 Depth=1
	s_or_b32 exec_lo, exec_lo, s18
	s_delay_alu instid0(VALU_DEP_1) | instskip(NEXT) | instid1(VALU_DEP_2)
	v_dual_lshlrev_b32 v4, 8, v4 :: v_dual_lshlrev_b32 v1, 7, v1
	v_lshl_add_u32 v5, v5, 10, 0x2000
	s_delay_alu instid0(VALU_DEP_2) | instskip(NEXT) | instid1(VALU_DEP_2)
	v_and_b32_e32 v4, 0x8000, v4
	v_and_b32_e32 v5, 0xfc00, v5
	s_delay_alu instid0(VALU_DEP_1)
	v_or3_b32 v8, v4, v5, v1
.LBB296_928:                            ;   in Loop: Header=BB296_10 Depth=1
	s_or_b32 exec_lo, exec_lo, s17
.LBB296_929:                            ;   in Loop: Header=BB296_10 Depth=1
	s_delay_alu instid0(SALU_CYCLE_1)
	s_or_b32 exec_lo, exec_lo, s16
.LBB296_930:                            ;   in Loop: Header=BB296_10 Depth=1
	s_delay_alu instid0(SALU_CYCLE_1)
	s_or_b32 exec_lo, exec_lo, s15
	v_dual_mov_b32 v14, 0 :: v_dual_mov_b32 v7, 0
	s_mov_b32 s15, exec_lo
	v_cmpx_lt_u32_e32 0xffffff, v2
	s_cbranch_execz .LBB296_938
; %bb.931:                              ;   in Loop: Header=BB296_10 Depth=1
	v_lshrrev_b32_e32 v24, 24, v2
	v_bfrev_b32_e32 v7, 1
	s_mov_b32 s16, exec_lo
	s_delay_alu instid0(VALU_DEP_2)
	v_cmpx_ne_u32_e32 0x80, v24
	s_cbranch_execz .LBB296_937
; %bb.932:                              ;   in Loop: Header=BB296_10 Depth=1
	v_and_b32_e32 v5, 0x7f, v24
	v_mov_b32_e32 v7, 0x7c010000
	s_mov_b32 s17, exec_lo
	s_delay_alu instid0(VALU_DEP_2)
	v_cmpx_ne_u32_e32 0x7f, v5
	s_cbranch_execz .LBB296_936
; %bb.933:                              ;   in Loop: Header=BB296_10 Depth=1
	v_dual_lshrrev_b32 v4, 3, v5 :: v_dual_bitop2_b32 v1, 7, v24 bitop3:0x40
	s_mov_b32 s18, exec_lo
	v_cmpx_gt_u32_e32 8, v5
; %bb.934:                              ;   in Loop: Header=BB296_10 Depth=1
	s_delay_alu instid0(VALU_DEP_2) | instskip(NEXT) | instid1(VALU_DEP_1)
	v_clz_i32_u32_e32 v1, v1
	v_min_u32_e32 v1, 32, v1
	s_delay_alu instid0(VALU_DEP_1) | instskip(NEXT) | instid1(VALU_DEP_1)
	v_subrev_nc_u32_e32 v4, 28, v1
	v_lshlrev_b64_e32 v[34:35], v4, v[24:25]
	s_delay_alu instid0(VALU_DEP_1)
	v_dual_sub_nc_u32 v4, 29, v1 :: v_dual_bitop2_b32 v1, 7, v34 bitop3:0x40
; %bb.935:                              ;   in Loop: Header=BB296_10 Depth=1
	s_or_b32 exec_lo, exec_lo, s18
	s_delay_alu instid0(VALU_DEP_1) | instskip(NEXT) | instid1(VALU_DEP_2)
	v_dual_lshlrev_b32 v5, 8, v24 :: v_dual_lshlrev_b32 v1, 23, v1
	v_lshl_add_u32 v4, v4, 10, 0x2000
	s_delay_alu instid0(VALU_DEP_1) | instskip(NEXT) | instid1(VALU_DEP_1)
	v_and_or_b32 v4, 0x8000, v5, v4
	v_lshl_or_b32 v7, v4, 16, v1
.LBB296_936:                            ;   in Loop: Header=BB296_10 Depth=1
	s_or_b32 exec_lo, exec_lo, s17
.LBB296_937:                            ;   in Loop: Header=BB296_10 Depth=1
	s_delay_alu instid0(SALU_CYCLE_1)
	s_or_b32 exec_lo, exec_lo, s16
.LBB296_938:                            ;   in Loop: Header=BB296_10 Depth=1
	s_delay_alu instid0(SALU_CYCLE_1) | instskip(SKIP_3) | instid1(VALU_DEP_2)
	s_or_b32 exec_lo, exec_lo, s15
	v_and_b32_e32 v1, 0xff, v3
	v_mov_b32_e32 v24, v3
	s_mov_b32 s15, exec_lo
	v_cmpx_ne_u16_e32 0, v1
	s_cbranch_execz .LBB296_946
; %bb.939:                              ;   in Loop: Header=BB296_10 Depth=1
	v_mov_b32_e32 v14, 0x8000
	s_mov_b32 s16, exec_lo
	v_cmpx_ne_u16_e32 0x80, v1
	s_cbranch_execz .LBB296_945
; %bb.940:                              ;   in Loop: Header=BB296_10 Depth=1
	v_and_b32_e32 v5, 0x7f, v3
	v_mov_b32_e32 v14, 0x7c01
	s_mov_b32 s17, exec_lo
	s_delay_alu instid0(VALU_DEP_2)
	v_cmpx_ne_u32_e32 0x7f, v5
	s_cbranch_execz .LBB296_944
; %bb.941:                              ;   in Loop: Header=BB296_10 Depth=1
	v_dual_lshrrev_b32 v4, 3, v5 :: v_dual_bitop2_b32 v1, 7, v3 bitop3:0x40
	s_mov_b32 s18, exec_lo
	v_cmpx_gt_u32_e32 8, v5
; %bb.942:                              ;   in Loop: Header=BB296_10 Depth=1
	s_delay_alu instid0(VALU_DEP_2) | instskip(NEXT) | instid1(VALU_DEP_1)
	v_clz_i32_u32_e32 v1, v1
	v_min_u32_e32 v1, 32, v1
	s_delay_alu instid0(VALU_DEP_1) | instskip(NEXT) | instid1(VALU_DEP_1)
	v_subrev_nc_u32_e32 v4, 28, v1
	v_lshlrev_b64_e32 v[34:35], v4, v[24:25]
	s_delay_alu instid0(VALU_DEP_1)
	v_dual_sub_nc_u32 v4, 29, v1 :: v_dual_bitop2_b32 v1, 7, v34 bitop3:0x40
; %bb.943:                              ;   in Loop: Header=BB296_10 Depth=1
	s_or_b32 exec_lo, exec_lo, s18
	s_delay_alu instid0(VALU_DEP_1) | instskip(NEXT) | instid1(VALU_DEP_2)
	v_dual_lshlrev_b32 v5, 8, v3 :: v_dual_lshlrev_b32 v1, 7, v1
	v_lshl_add_u32 v4, v4, 10, 0x2000
	s_delay_alu instid0(VALU_DEP_2) | instskip(NEXT) | instid1(VALU_DEP_2)
	v_and_b32_e32 v5, 0x8000, v5
	v_and_b32_e32 v4, 0xfc00, v4
	s_delay_alu instid0(VALU_DEP_1)
	v_or3_b32 v14, v5, v4, v1
.LBB296_944:                            ;   in Loop: Header=BB296_10 Depth=1
	s_or_b32 exec_lo, exec_lo, s17
.LBB296_945:                            ;   in Loop: Header=BB296_10 Depth=1
	s_delay_alu instid0(SALU_CYCLE_1)
	s_or_b32 exec_lo, exec_lo, s16
.LBB296_946:                            ;   in Loop: Header=BB296_10 Depth=1
	s_delay_alu instid0(SALU_CYCLE_1) | instskip(SKIP_3) | instid1(VALU_DEP_2)
	s_or_b32 exec_lo, exec_lo, s15
	v_lshrrev_b16 v24, 8, v24
	v_dual_mov_b32 v21, 0 :: v_dual_mov_b32 v26, 0
	s_mov_b32 s15, exec_lo
	v_cmpx_ne_u16_e32 0, v24
	s_cbranch_execz .LBB296_954
; %bb.947:                              ;   in Loop: Header=BB296_10 Depth=1
	v_bfrev_b32_e32 v26, 1
	s_mov_b32 s16, exec_lo
	v_cmpx_ne_u16_e32 0x80, v24
	s_cbranch_execz .LBB296_953
; %bb.948:                              ;   in Loop: Header=BB296_10 Depth=1
	v_and_b32_e32 v1, 0xffff, v24
	v_mov_b32_e32 v26, 0x7c010000
	s_mov_b32 s17, exec_lo
	s_delay_alu instid0(VALU_DEP_2) | instskip(NEXT) | instid1(VALU_DEP_1)
	v_and_b32_e32 v34, 0x7f, v1
	v_cmpx_ne_u32_e32 0x7f, v34
	s_cbranch_execz .LBB296_952
; %bb.949:                              ;   in Loop: Header=BB296_10 Depth=1
	v_dual_lshrrev_b32 v5, 3, v34 :: v_dual_bitop2_b32 v4, 7, v1 bitop3:0x40
	s_mov_b32 s18, exec_lo
	v_cmpx_gt_u32_e32 8, v34
	s_cbranch_execz .LBB296_951
; %bb.950:                              ;   in Loop: Header=BB296_10 Depth=1
	s_delay_alu instid0(VALU_DEP_2) | instskip(SKIP_1) | instid1(VALU_DEP_2)
	v_clz_i32_u32_e32 v4, v4
	v_mov_b32_e32 v11, v8
	v_min_u32_e32 v8, 32, v4
	s_delay_alu instid0(VALU_DEP_1) | instskip(NEXT) | instid1(VALU_DEP_1)
	v_subrev_nc_u32_e32 v4, 28, v8
	v_lshlrev_b64_e32 v[4:5], v4, v[24:25]
	s_delay_alu instid0(VALU_DEP_4) | instskip(NEXT) | instid1(VALU_DEP_2)
	v_dual_mov_b32 v8, v11 :: v_dual_sub_nc_u32 v5, 29, v8
	v_and_b32_e32 v4, 7, v4
.LBB296_951:                            ;   in Loop: Header=BB296_10 Depth=1
	s_or_b32 exec_lo, exec_lo, s18
	s_delay_alu instid0(VALU_DEP_1) | instskip(NEXT) | instid1(VALU_DEP_3)
	v_dual_lshlrev_b32 v1, 8, v1 :: v_dual_lshlrev_b32 v4, 23, v4
	v_lshl_add_u32 v5, v5, 10, 0x2000
	s_delay_alu instid0(VALU_DEP_1) | instskip(NEXT) | instid1(VALU_DEP_1)
	v_and_or_b32 v1, 0x8000, v1, v5
	v_lshl_or_b32 v26, v1, 16, v4
.LBB296_952:                            ;   in Loop: Header=BB296_10 Depth=1
	s_or_b32 exec_lo, exec_lo, s17
.LBB296_953:                            ;   in Loop: Header=BB296_10 Depth=1
	s_delay_alu instid0(SALU_CYCLE_1)
	s_or_b32 exec_lo, exec_lo, s16
.LBB296_954:                            ;   in Loop: Header=BB296_10 Depth=1
	s_delay_alu instid0(SALU_CYCLE_1) | instskip(SKIP_2) | instid1(VALU_DEP_1)
	s_or_b32 exec_lo, exec_lo, s15
	v_lshrrev_b32_e32 v4, 16, v3
	s_mov_b32 s15, exec_lo
	v_and_b32_e32 v1, 0xff, v4
	s_delay_alu instid0(VALU_DEP_1)
	v_cmpx_ne_u16_e32 0, v1
	s_cbranch_execz .LBB296_962
; %bb.955:                              ;   in Loop: Header=BB296_10 Depth=1
	v_mov_b32_e32 v21, 0x8000
	s_mov_b32 s16, exec_lo
	v_cmpx_ne_u16_e32 0x80, v1
	s_cbranch_execz .LBB296_961
; %bb.956:                              ;   in Loop: Header=BB296_10 Depth=1
	v_bfe_u32 v24, v3, 16, 7
	v_mov_b32_e32 v21, 0x7c01
	s_mov_b32 s17, exec_lo
	s_delay_alu instid0(VALU_DEP_2)
	v_cmpx_ne_u32_e32 0x7f, v24
	s_cbranch_execz .LBB296_960
; %bb.957:                              ;   in Loop: Header=BB296_10 Depth=1
	v_and_b32_e32 v1, 7, v4
	v_lshrrev_b32_e32 v5, 3, v24
	s_mov_b32 s18, exec_lo
	v_cmpx_gt_u32_e32 8, v24
; %bb.958:                              ;   in Loop: Header=BB296_10 Depth=1
	s_delay_alu instid0(VALU_DEP_3) | instskip(NEXT) | instid1(VALU_DEP_1)
	v_clz_i32_u32_e32 v1, v1
	v_min_u32_e32 v1, 32, v1
	s_delay_alu instid0(VALU_DEP_1) | instskip(NEXT) | instid1(VALU_DEP_1)
	v_subrev_nc_u32_e32 v5, 28, v1
	v_lshlrev_b64_e32 v[34:35], v5, v[4:5]
	s_delay_alu instid0(VALU_DEP_1)
	v_dual_sub_nc_u32 v5, 29, v1 :: v_dual_bitop2_b32 v1, 7, v34 bitop3:0x40
; %bb.959:                              ;   in Loop: Header=BB296_10 Depth=1
	s_or_b32 exec_lo, exec_lo, s18
	s_delay_alu instid0(VALU_DEP_1) | instskip(NEXT) | instid1(VALU_DEP_2)
	v_dual_lshlrev_b32 v4, 8, v4 :: v_dual_lshlrev_b32 v1, 7, v1
	v_lshl_add_u32 v5, v5, 10, 0x2000
	s_delay_alu instid0(VALU_DEP_2) | instskip(NEXT) | instid1(VALU_DEP_2)
	v_and_b32_e32 v4, 0x8000, v4
	v_and_b32_e32 v5, 0xfc00, v5
	s_delay_alu instid0(VALU_DEP_1)
	v_or3_b32 v21, v4, v5, v1
.LBB296_960:                            ;   in Loop: Header=BB296_10 Depth=1
	s_or_b32 exec_lo, exec_lo, s17
.LBB296_961:                            ;   in Loop: Header=BB296_10 Depth=1
	s_delay_alu instid0(SALU_CYCLE_1)
	s_or_b32 exec_lo, exec_lo, s16
.LBB296_962:                            ;   in Loop: Header=BB296_10 Depth=1
	s_delay_alu instid0(SALU_CYCLE_1)
	s_or_b32 exec_lo, exec_lo, s15
	s_clause 0x6
	scratch_store_b32 off, v8, s32 offset:292
	scratch_store_b32 off, v0, s32 offset:288
	;; [unrolled: 1-line block ×7, first 2 shown]
	s_wait_xcnt 0x0
	v_mov_b32_e32 v13, v110
	scratch_store_b32 off, v20, s32 offset:244 ; 4-byte Folded Spill
	s_wait_xcnt 0x0
	v_dual_mov_b32 v20, v109 :: v_dual_mov_b32 v0, v108
	v_dual_mov_b32 v11, v16 :: v_dual_mov_b32 v16, v104
	;; [unrolled: 1-line block ×19, first 2 shown]
	v_mov_b32_e32 v1, 0
	v_cmp_lt_u64_e64 s1, s[2:3], v[2:3]
	s_mov_b32 s15, exec_lo
	v_dual_mov_b32 v28, v18 :: v_dual_mov_b32 v29, v19
	v_mov_b32_e32 v12, v37
	s_and_b32 s1, s15, s1
	s_delay_alu instid0(SALU_CYCLE_1)
	s_mov_b32 exec_lo, s1
	s_cbranch_execz .LBB296_9
; %bb.963:                              ;   in Loop: Header=BB296_10 Depth=1
	v_lshrrev_b32_e32 v24, 24, v3
	v_bfrev_b32_e32 v1, 1
	s_mov_b32 s16, exec_lo
	s_delay_alu instid0(VALU_DEP_2)
	v_cmpx_ne_u32_e32 0x80, v24
	s_cbranch_execz .LBB296_8
; %bb.964:                              ;   in Loop: Header=BB296_10 Depth=1
	v_and_b32_e32 v3, 0x7f, v24
	v_mov_b32_e32 v1, 0x7c010000
	s_mov_b32 s17, exec_lo
	s_delay_alu instid0(VALU_DEP_2)
	v_cmpx_ne_u32_e32 0x7f, v3
	s_cbranch_execz .LBB296_7
; %bb.965:                              ;   in Loop: Header=BB296_10 Depth=1
	v_dual_lshrrev_b32 v2, 3, v3 :: v_dual_bitop2_b32 v1, 7, v24 bitop3:0x40
	s_mov_b32 s18, exec_lo
	v_cmpx_gt_u32_e32 8, v3
	s_cbranch_execz .LBB296_6
; %bb.966:                              ;   in Loop: Header=BB296_10 Depth=1
	s_delay_alu instid0(VALU_DEP_2) | instskip(NEXT) | instid1(VALU_DEP_1)
	v_clz_i32_u32_e32 v1, v1
	v_min_u32_e32 v1, 32, v1
	s_delay_alu instid0(VALU_DEP_1) | instskip(NEXT) | instid1(VALU_DEP_1)
	v_subrev_nc_u32_e32 v2, 28, v1
	v_lshlrev_b64_e32 v[4:5], v2, v[24:25]
	s_delay_alu instid0(VALU_DEP_1)
	v_dual_sub_nc_u32 v2, 29, v1 :: v_dual_bitop2_b32 v1, 7, v4 bitop3:0x40
	s_branch .LBB296_6
.LBB296_967:
	s_or_b32 exec_lo, exec_lo, s7
	s_clause 0x1
	scratch_load_b32 v13, off, s32 offset:340
	scratch_load_b32 v10, off, s32 offset:388
.LBB296_968:
	s_wait_xcnt 0x0
	s_or_b32 exec_lo, exec_lo, s14
	v_mbcnt_lo_u32_b32 v0, -1, 0
	s_delay_alu instid0(VALU_DEP_1) | instskip(SKIP_1) | instid1(VALU_DEP_2)
	v_dual_max_num_f32 v4, v11, v11 :: v_dual_bitop2_b32 v1, 16, v0 bitop3:0x14
	v_xor_b32_e32 v3, 8, v0
	v_cmp_gt_i32_e32 vcc_lo, 32, v1
	v_cndmask_b32_e32 v1, v0, v1, vcc_lo
	s_delay_alu instid0(VALU_DEP_3) | instskip(NEXT) | instid1(VALU_DEP_2)
	v_cmp_gt_i32_e32 vcc_lo, 32, v3
	v_dual_lshlrev_b32 v1, 2, v1 :: v_dual_cndmask_b32 v3, v0, v3, vcc_lo
	ds_bpermute_b32 v2, v1, v11
	s_wait_dscnt 0x0
	v_dual_max_num_f32 v5, v2, v2 :: v_dual_lshlrev_b32 v2, 2, v3
	s_delay_alu instid0(VALU_DEP_1) | instskip(SKIP_4) | instid1(VALU_DEP_1)
	v_dual_max_num_f32 v4, v4, v5 :: v_dual_bitop2_b32 v5, 4, v0 bitop3:0x14
	ds_bpermute_b32 v3, v2, v4
	v_cmp_gt_i32_e32 vcc_lo, 32, v5
	s_wait_dscnt 0x0
	v_dual_cndmask_b32 v5, v0, v5 :: v_dual_max_num_f32 v6, v3, v3
	v_dual_max_num_f32 v4, v4, v6 :: v_dual_lshlrev_b32 v3, 2, v5
	ds_bpermute_b32 v5, v3, v4
	s_wait_dscnt 0x0
	v_dual_max_num_f32 v5, v5, v5 :: v_dual_bitop2_b32 v6, 2, v0 bitop3:0x14
	s_delay_alu instid0(VALU_DEP_1) | instskip(NEXT) | instid1(VALU_DEP_2)
	v_cmp_gt_i32_e32 vcc_lo, 32, v6
	v_max_num_f32_e32 v4, v4, v5
	v_cndmask_b32_e32 v6, v0, v6, vcc_lo
	s_delay_alu instid0(VALU_DEP_1) | instskip(SKIP_3) | instid1(VALU_DEP_1)
	v_lshlrev_b32_e32 v49, 2, v6
	ds_bpermute_b32 v5, v49, v4
	s_wait_dscnt 0x0
	v_dual_max_num_f32 v5, v5, v5 :: v_dual_bitop2_b32 v6, 1, v0 bitop3:0x14
	v_cmp_gt_i32_e32 vcc_lo, 32, v6
	v_cndmask_b32_e32 v6, v0, v6, vcc_lo
	s_delay_alu instid0(VALU_DEP_3)
	v_max_num_f32_e32 v0, v4, v5
	scratch_load_b32 v4, off, s32 offset:332 ; 4-byte Folded Reload
	s_wait_loadcnt 0x0
	v_cmp_eq_u32_e32 vcc_lo, 0, v4
	scratch_load_b32 v4, off, s32 offset:336 ; 4-byte Folded Reload
	s_wait_loadcnt 0x0
	v_dual_lshlrev_b32 v4, 2, v4 :: v_dual_lshlrev_b32 v48, 2, v6
	ds_bpermute_b32 v5, v48, v0
	s_wait_xcnt 0x0
	s_and_saveexec_b32 s1, vcc_lo
	s_cbranch_execz .LBB296_970
; %bb.969:
	s_wait_dscnt 0x0
	v_dual_max_num_f32 v5, v5, v5 :: v_dual_max_num_f32 v0, v0, v0
	s_delay_alu instid0(VALU_DEP_1)
	v_max_num_f32_e32 v0, v0, v5
	ds_store_b32 v4, v0 offset:240
.LBB296_970:
	s_or_b32 exec_lo, exec_lo, s1
	scratch_load_b32 v0, off, s32 offset:332 ; 4-byte Folded Reload
	s_wait_storecnt 0x0
	s_wait_loadcnt_dscnt 0x0
	s_barrier_signal -1
	s_barrier_wait -1
	v_cmp_gt_u32_e64 s1, 4, v0
	v_mov_b32_e32 v0, 0xff7fffff
	s_and_saveexec_b32 s2, s1
; %bb.971:
	ds_load_b32 v0, v10 offset:240
; %bb.972:
	s_or_b32 exec_lo, exec_lo, s2
	s_wait_dscnt 0x0
	ds_bpermute_b32 v5, v49, v0
	s_wait_dscnt 0x0
	v_dual_max_num_f32 v0, v0, v0 :: v_dual_max_num_f32 v5, v5, v5
	s_delay_alu instid0(VALU_DEP_1) | instskip(SKIP_3) | instid1(VALU_DEP_1)
	v_max_num_f32_e32 v0, v0, v5
	ds_bpermute_b32 v5, v48, v0
	s_wait_dscnt 0x0
	v_max_num_f32_e32 v5, v5, v5
	v_dual_max_num_f32 v0, v0, v5 :: v_dual_mov_b32 v5, 0
	ds_bpermute_b32 v6, v5, v0
	v_lshlrev_b32_e32 v0, 5, v44
	s_delay_alu instid0(VALU_DEP_1) | instskip(NEXT) | instid1(VALU_DEP_1)
	v_min_i32_e32 v0, v0, v58
	v_cmp_lt_i32_e64 s2, v13, v0
	s_and_saveexec_b32 s14, s2
	s_cbranch_execz .LBB296_976
; %bb.973:
	s_ashr_i32 s7, s6, 31
	v_dual_mov_b32 v5, 0 :: v_dual_mov_b32 v8, v13
	s_lshl_b64 s[16:17], s[6:7], 2
	s_mov_b32 s7, 0
	s_add_nc_u64 s[16:17], s[8:9], s[16:17]
	s_load_b32 s3, s[16:17], 0x0
	s_wait_kmcnt 0x0
	v_lshl_add_u32 v7, v13, 2, s3
.LBB296_974:                            ; =>This Inner Loop Header: Depth=1
	ds_load_b32 v9, v7
	v_add_nc_u32_e32 v8, 0x80, v8
	s_delay_alu instid0(VALU_DEP_1) | instskip(SKIP_3) | instid1(VALU_DEP_1)
	v_cmp_ge_i32_e64 s3, v8, v0
	s_or_b32 s7, s3, s7
	s_wait_dscnt 0x0
	v_sub_f32_e32 v9, v9, v6
	v_mul_f32_e32 v9, 0x3fb8aa3b, v9
	s_delay_alu instid0(VALU_DEP_1)
	v_exp_f32_e32 v9, v9
	ds_store_b32 v7, v9
	v_nop
	v_add_f32_e32 v5, v5, v9
	v_add_nc_u32_e32 v7, 0x200, v7
	s_and_not1_b32 exec_lo, exec_lo, s7
	s_cbranch_execnz .LBB296_974
; %bb.975:
	s_or_b32 exec_lo, exec_lo, s7
.LBB296_976:
	s_delay_alu instid0(SALU_CYCLE_1)
	s_or_b32 exec_lo, exec_lo, s14
	ds_bpermute_b32 v1, v1, v5
	s_wait_dscnt 0x0
	v_add_f32_e32 v1, v5, v1
	ds_bpermute_b32 v2, v2, v1
	s_wait_dscnt 0x0
	v_add_f32_e32 v1, v1, v2
	;; [unrolled: 3-line block ×5, first 2 shown]
	s_and_saveexec_b32 s3, vcc_lo
; %bb.977:
	ds_store_b32 v4, v1 offset:256
; %bb.978:
	s_or_b32 exec_lo, exec_lo, s3
	s_wait_dscnt 0x0
	s_barrier_signal -1
	s_barrier_wait -1
	s_and_saveexec_b32 s3, s1
; %bb.979:
	ds_load_b32 v1, v10 offset:256
; %bb.980:
	s_or_b32 exec_lo, exec_lo, s3
	s_wait_dscnt 0x0
	ds_bpermute_b32 v2, v49, v1
	s_wait_dscnt 0x0
	v_add_f32_e32 v1, v1, v2
	ds_bpermute_b32 v2, v48, v1
	s_wait_dscnt 0x0
	v_dual_add_f32 v1, v1, v2 :: v_dual_mov_b32 v2, 0
	ds_bpermute_b32 v1, v2, v1
	s_and_saveexec_b32 s1, s2
	s_cbranch_execz .LBB296_993
; %bb.981:
	s_wait_dscnt 0x0
	v_add_f32_e32 v1, 0x358637bd, v1
	s_mov_b32 s3, -1
	s_mov_b32 s2, exec_lo
	s_delay_alu instid0(VALU_DEP_1) | instskip(NEXT) | instid1(VALU_DEP_1)
	v_div_scale_f32 v2, null, v1, v1, 1.0
	v_rcp_f32_e32 v4, v2
	v_nop
	s_delay_alu instid0(TRANS32_DEP_1) | instskip(NEXT) | instid1(VALU_DEP_1)
	v_fma_f32 v3, -v2, v4, 1.0
	v_fmac_f32_e32 v4, v3, v4
	v_div_scale_f32 v5, vcc_lo, 1.0, v1, 1.0
	s_delay_alu instid0(VALU_DEP_1) | instskip(NEXT) | instid1(VALU_DEP_1)
	v_mul_f32_e32 v6, v5, v4
	v_fma_f32 v3, -v2, v6, v5
	s_delay_alu instid0(VALU_DEP_1) | instskip(SKIP_1) | instid1(VALU_DEP_2)
	v_fmac_f32_e32 v6, v3, v4
	v_xad_u32 v3, v13, -1, v0
	v_fma_f32 v2, -v2, v6, v5
	s_delay_alu instid0(VALU_DEP_1) | instskip(NEXT) | instid1(VALU_DEP_1)
	v_div_fmas_f32 v2, v2, v4, v6
	v_div_fixup_f32 v2, v2, v1, 1.0
	v_mov_b32_e32 v1, v13
	v_cmpx_lt_u32_e32 0x7f, v3
	s_cbranch_execz .LBB296_990
; %bb.982:
	s_delay_alu instid0(VALU_DEP_3) | instskip(NEXT) | instid1(VALU_DEP_1)
	v_dual_lshrrev_b32 v1, 7, v3 :: v_dual_mov_b32 v3, v2
	v_dual_mov_b32 v7, 0 :: v_dual_add_nc_u32 v4, -1, v1
	s_delay_alu instid0(VALU_DEP_1) | instskip(SKIP_1) | instid1(VALU_DEP_2)
	v_lshrrev_b32_e32 v5, 1, v4
	v_cmp_lt_u32_e32 vcc_lo, 13, v4
	v_add_nc_u32_e32 v4, 1, v5
	s_and_saveexec_b32 s3, vcc_lo
	s_cbranch_execz .LBB296_986
; %bb.983:
	s_ashr_i32 s7, s6, 31
	s_delay_alu instid0(VALU_DEP_1) | instskip(SKIP_1) | instid1(SALU_CYCLE_1)
	v_and_b32_e32 v5, -8, v4
	s_lshl_b64 s[14:15], s[6:7], 2
	s_add_nc_u64 s[14:15], s[8:9], s[14:15]
	s_load_b32 s7, s[14:15], 0x0
	s_wait_xcnt 0x0
	s_mov_b32 s14, 0
	s_wait_kmcnt 0x0
	v_lshl_add_u32 v6, v13, 2, s7
	s_mov_b32 s7, 0
.LBB296_984:                            ; =>This Inner Loop Header: Depth=1
	ds_load_2addr_stride64_b32 v[8:9], v6 offset1:2
	ds_load_2addr_stride64_b32 v[10:11], v6 offset0:4 offset1:6
	ds_load_2addr_stride64_b32 v[14:15], v6 offset0:8 offset1:10
	;; [unrolled: 1-line block ×7, first 2 shown]
	s_add_co_i32 s14, s14, 16
	s_delay_alu instid0(SALU_CYCLE_1) | instskip(NEXT) | instid1(VALU_DEP_1)
	v_dual_add_nc_u32 v5, -8, v5 :: v_dual_mov_b32 v7, s14
	v_cmp_eq_u32_e32 vcc_lo, 0, v5
	s_or_b32 s7, vcc_lo, s7
	s_wait_dscnt 0x7
	v_pk_mul_f32 v[8:9], v[2:3], v[8:9]
	s_wait_dscnt 0x6
	v_pk_mul_f32 v[10:11], v[2:3], v[10:11]
	;; [unrolled: 2-line block ×8, first 2 shown]
	ds_store_2addr_stride64_b32 v6, v8, v9 offset1:2
	ds_store_2addr_stride64_b32 v6, v10, v11 offset0:4 offset1:6
	ds_store_2addr_stride64_b32 v6, v14, v15 offset0:8 offset1:10
	ds_store_2addr_stride64_b32 v6, v16, v17 offset0:12 offset1:14
	ds_store_2addr_stride64_b32 v6, v18, v19 offset0:16 offset1:18
	ds_store_2addr_stride64_b32 v6, v20, v21 offset0:20 offset1:22
	ds_store_2addr_stride64_b32 v6, v22, v23 offset0:24 offset1:26
	ds_store_2addr_stride64_b32 v6, v24, v25 offset0:28 offset1:30
	v_add_nc_u32_e32 v6, 0x2000, v6
	s_and_not1_b32 exec_lo, exec_lo, s7
	s_cbranch_execnz .LBB296_984
; %bb.985:
	s_or_b32 exec_lo, exec_lo, s7
	scratch_load_b32 v13, off, s32 offset:340 ; 4-byte Folded Reload
.LBB296_986:
	s_wait_xcnt 0x0
	s_or_b32 exec_lo, exec_lo, s3
	v_and_b32_e32 v4, 7, v4
	s_mov_b32 s14, 0
	s_mov_b32 s3, exec_lo
	s_delay_alu instid0(VALU_DEP_1)
	v_cmpx_ne_u32_e32 0, v4
	s_cbranch_execz .LBB296_989
; %bb.987:
	s_ashr_i32 s7, s6, 31
	s_wait_loadcnt 0x0
	v_dual_lshlrev_b32 v5, 9, v7 :: v_dual_lshlrev_b32 v6, 2, v13
	s_lshl_b64 s[16:17], s[6:7], 2
	s_delay_alu instid0(SALU_CYCLE_1)
	s_add_nc_u64 s[16:17], s[8:9], s[16:17]
	s_load_b32 s7, s[16:17], 0x0
	s_wait_kmcnt 0x0
	v_add3_u32 v5, v5, v6, s7
.LBB296_988:                            ; =>This Inner Loop Header: Depth=1
	ds_load_2addr_stride64_b32 v[6:7], v5 offset1:2
	v_add_nc_u32_e32 v4, -1, v4
	s_delay_alu instid0(VALU_DEP_1)
	v_cmp_eq_u32_e32 vcc_lo, 0, v4
	s_or_b32 s14, vcc_lo, s14
	s_wait_dscnt 0x0
	v_pk_mul_f32 v[6:7], v[2:3], v[6:7]
	ds_store_2addr_stride64_b32 v5, v6, v7 offset1:2
	v_add_nc_u32_e32 v5, 0x400, v5
	s_and_not1_b32 exec_lo, exec_lo, s14
	s_cbranch_execnz .LBB296_988
.LBB296_989:
	s_or_b32 exec_lo, exec_lo, s3
	v_add_nc_u32_e32 v1, 1, v1
	s_delay_alu instid0(VALU_DEP_1) | instskip(NEXT) | instid1(VALU_DEP_1)
	v_and_b32_e32 v3, 0x3fffffe, v1
	v_cmp_ne_u32_e32 vcc_lo, v1, v3
	s_wait_loadcnt 0x0
	v_lshl_add_u32 v1, v3, 7, v13
	s_or_not1_b32 s3, vcc_lo, exec_lo
.LBB296_990:
	s_or_b32 exec_lo, exec_lo, s2
	s_delay_alu instid0(SALU_CYCLE_1)
	s_and_b32 exec_lo, exec_lo, s3
	s_cbranch_execz .LBB296_993
; %bb.991:
	s_ashr_i32 s7, s6, 31
	s_delay_alu instid0(SALU_CYCLE_1) | instskip(NEXT) | instid1(SALU_CYCLE_1)
	s_lshl_b64 s[2:3], s[6:7], 2
	s_add_nc_u64 s[2:3], s[8:9], s[2:3]
	s_load_b32 s2, s[2:3], 0x0
	s_wait_kmcnt 0x0
	v_lshl_add_u32 v3, v1, 2, s2
	s_mov_b32 s2, 0
.LBB296_992:                            ; =>This Inner Loop Header: Depth=1
	ds_load_b32 v4, v3
	s_wait_dscnt 0x0
	v_dual_mul_f32 v4, v2, v4 :: v_dual_add_nc_u32 v1, 0x80, v1
	s_delay_alu instid0(VALU_DEP_1) | instskip(SKIP_3) | instid1(SALU_CYCLE_1)
	v_cmp_ge_i32_e32 vcc_lo, v1, v0
	ds_store_b32 v3, v4
	v_add_nc_u32_e32 v3, 0x200, v3
	s_or_b32 s2, vcc_lo, s2
	s_and_not1_b32 exec_lo, exec_lo, s2
	s_cbranch_execnz .LBB296_992
.LBB296_993:
	s_or_b32 exec_lo, exec_lo, s1
	s_wait_dscnt 0x0
	s_barrier_signal -1
	s_barrier_wait -1
	s_and_saveexec_b32 s1, s0
	s_delay_alu instid0(SALU_CYCLE_1)
	s_xor_b32 s0, exec_lo, s1
	s_cbranch_execz .LBB296_995
; %bb.994:
	s_ashr_i32 s7, s6, 31
                                        ; implicit-def: $vgpr0
	s_clause 0x1
	scratch_store_b64 off, v[0:1], s32 offset:224
	; meta instruction
	; meta instruction
	;; [unrolled: 1-line block ×9, first 2 shown]
	scratch_store_b64 off, v[0:1], s32 offset:344
                                        ; implicit-def: $vgpr58
                                        ; implicit-def: $vgpr44
                                        ; implicit-def: $vgpr0
                                        ; kill: killed $vgpr0
.LBB296_995:
	s_wait_xcnt 0x0
	s_or_saveexec_b32 s1, s0
	v_mov_b64_e32 v[30:31], s[6:7]
	v_dual_mov_b32 v3, 0 :: v_dual_bitop2_b32 v50, 3, v13 bitop3:0x40
	v_dual_mov_b32 v2, 0 :: v_dual_mov_b32 v5, 0
	v_dual_mov_b32 v4, 0 :: v_dual_mov_b32 v9, 0
	;; [unrolled: 1-line block ×7, first 2 shown]
	s_xor_b32 exec_lo, exec_lo, s1
	s_cbranch_execz .LBB296_1989
; %bb.996:
	scratch_load_b32 v0, off, s32 offset:340 ; 4-byte Folded Reload
	s_ashr_i32 s7, s6, 31
	v_dual_mov_b32 v51, 0 :: v_dual_lshlrev_b32 v8, 5, v50
	s_lshl_b64 s[2:3], s[6:7], 2
	v_dual_mov_b32 v13, v58 :: v_dual_add_nc_u32 v52, -1, v44
	s_add_nc_u64 s[2:3], s[8:9], s[2:3]
	v_dual_mov_b32 v21, 0 :: v_dual_mov_b32 v20, 0
	v_dual_mov_b32 v25, 0 :: v_dual_mov_b32 v24, 0
	;; [unrolled: 1-line block ×4, first 2 shown]
	s_mov_b32 s14, 0
	v_dual_mov_b32 v7, 0 :: v_dual_mov_b32 v9, 0
	s_wait_loadcnt 0x0
	v_lshlrev_b32_e32 v4, 3, v0
	s_clause 0x1
	scratch_load_b64 v[0:1], off, s32 offset:380 th:TH_LOAD_LU
	scratch_load_b64 v[2:3], off, s32 offset:344 th:TH_LOAD_LU
	v_mov_b32_e32 v5, 0
	s_load_b32 s0, s[2:3], 0x0
	s_wait_xcnt 0x0
	s_mov_b64 s[2:3], 0xffffffffffffff
	v_and_b32_e32 v6, 0xf8, v4
	v_dual_mov_b32 v4, 0 :: v_dual_bitop2_b32 v10, 24, v4 bitop3:0x40
	scratch_load_b32 v55, off, s32 offset:336 ; 4-byte Folded Reload
	s_wait_loadcnt 0x1
	v_add_nc_u64_e32 v[0:1], v[0:1], v[2:3]
	v_dual_mov_b32 v3, 0 :: v_dual_mov_b32 v2, 0
	s_delay_alu instid0(VALU_DEP_2)
	v_add_nc_u64_e32 v[16:17], v[0:1], v[6:7]
	scratch_load_b32 v0, off, s32 offset:368 th:TH_LOAD_LU ; 4-byte Folded Reload
	s_wait_loadcnt 0x1
	v_lshl_or_b32 v53, v55, 5, v10
	scratch_load_b64 v[10:11], off, s32 offset:352 th:TH_LOAD_LU ; 8-byte Folded Reload
	s_wait_loadcnt 0x1
	v_and_b32_e32 v6, 0x7c, v0
	scratch_load_b64 v[0:1], off, s32 offset:360 th:TH_LOAD_LU ; 8-byte Folded Reload
	s_wait_loadcnt 0x0
	v_lshl_add_u64 v[0:1], v[0:1], 2, v[6:7]
	v_lshl_or_b32 v6, v55, 7, v8
	v_mov_b32_e32 v8, 0
	s_delay_alu instid0(VALU_DEP_3) | instskip(SKIP_1) | instid1(VALU_DEP_3)
	v_add_nc_u64_e32 v[10:11], v[10:11], v[0:1]
	s_wait_kmcnt 0x0
	v_add_nc_u32_e32 v54, s0, v6
	s_branch .LBB296_998
.LBB296_997:                            ;   in Loop: Header=BB296_998 Depth=1
	s_or_b32 exec_lo, exec_lo, s0
	v_dual_add_f32 v0, v38, v39 :: v_dual_add_f32 v18, v40, v41
	v_dual_add_f32 v1, v42, v43 :: v_dual_add_f32 v23, v116, v117
	s_delay_alu instid0(VALU_DEP_2) | instskip(NEXT) | instid1(VALU_DEP_3)
	v_dual_add_f32 v22, v118, v119 :: v_dual_add_f32 v3, v3, v0
	v_dual_add_f32 v0, v114, v115 :: v_dual_add_f32 v5, v5, v18
	s_delay_alu instid0(VALU_DEP_3) | instskip(NEXT) | instid1(VALU_DEP_3)
	v_dual_add_f32 v9, v9, v23 :: v_dual_add_f32 v2, v2, v1
	v_add_f32_e32 v4, v4, v22
	s_delay_alu instid0(VALU_DEP_3) | instskip(SKIP_3) | instid1(VALU_DEP_3)
	v_add_f32_e32 v8, v8, v0
	v_dual_add_f32 v0, v112, v113 :: v_dual_add_f32 v1, v102, v103
	v_add_f32_e32 v23, v96, v97
	v_dual_add_f32 v18, v100, v101 :: v_dual_add_f32 v22, v98, v99
	v_add_f32_e32 v21, v21, v0
	;;#ASMSTART
	v_pk_mul_f16 v0, v81, v19;

	;;#ASMEND
	s_delay_alu instid0(VALU_DEP_2)
	v_dual_add_f32 v20, v20, v1 :: v_dual_add_f32 v25, v25, v18
	;;#ASMSTART
	v_pk_mul_f16 v1, v80, v14;

	;;#ASMEND
	;;#ASMSTART
	v_pk_mul_f16 v14, v71, v15;

	;;#ASMEND
	;; [unrolled: 4-line block ×3, first 2 shown]
	;;#ASMSTART
	v_pk_add_f16 v0, v0, v1;

	;;#ASMEND
	;;#ASMSTART
	v_pk_add_f16 v0, v0, v14;

	;;#ASMEND
	;; [unrolled: 4-line block ×3, first 2 shown]
	v_and_b32_e32 v14, 0xffff, v0
	v_dual_add_f32 v0, v86, v87 :: v_dual_lshrrev_b32 v15, 16, v0
	v_add_nc_u32_e32 v55, 4, v55
	;;#ASMSTART
	v_cvt_f32_f16 v14, v14;
	;;#ASMEND
	v_dual_add_f32 v1, v84, v85 :: v_dual_add_f32 v6, v82, v83
	;;#ASMSTART
	v_cvt_f32_f16 v15, v15;
	;;#ASMEND
	v_add_f32_e32 v14, v14, v15
	v_add_f32_e32 v26, v26, v0
	v_cmp_ge_i32_e32 vcc_lo, v55, v44
	v_add_nc_u64_e32 v[10:11], 16, v[10:11]
	v_dual_add_f32 v24, v24, v22 :: v_dual_add_f32 v27, v27, v23
	v_dual_add_f32 v29, v29, v1 :: v_dual_add_f32 v28, v28, v6
	v_add_nc_u32_e32 v53, 0x80, v53
	v_add_f32_e32 v51, v51, v14
	v_add_nc_u32_e32 v54, 0x200, v54
	s_or_b32 s14, vcc_lo, s14
	s_delay_alu instid0(SALU_CYCLE_1)
	s_and_not1_b32 exec_lo, exec_lo, s14
	s_cbranch_execz .LBB296_1988
.LBB296_998:                            ; =>This Inner Loop Header: Depth=1
	flat_load_b32 v0, v[10:11]
	ds_load_2addr_b64 v[30:33], v54 offset1:1
	ds_load_2addr_b64 v[34:37], v54 offset0:2 offset1:3
	scratch_load_b64 v[14:15], off, s32 offset:224 ; 8-byte Folded Reload
	s_mov_b32 s0, exec_lo
	s_wait_dscnt 0x1
	;;#ASMSTART
	v_cvt_f16_f32 v80, v30;

	;;#ASMEND
	;;#ASMSTART
	v_cvt_f16_f32 v70, v31;

	;;#ASMEND
	;; [unrolled: 4-line block ×4, first 2 shown]
	s_wait_dscnt 0x0
	;;#ASMSTART
	v_cvt_f16_f32 v84, v34;

	;;#ASMEND
	;;#ASMSTART
	v_cvt_f16_f32 v82, v35;

	;;#ASMEND
	;; [unrolled: 4-line block ×4, first 2 shown]
	s_wait_loadcnt 0x0
	v_mad_nc_i64_i32 v[14:15], v0, v14, v[16:17]
	flat_load_b64 v[32:33], v[14:15]
	scratch_load_b64 v[0:1], off, s32 offset:192 ; 8-byte Folded Reload
	s_wait_loadcnt 0x0
	flat_load_b32 v30, v[0:1]
	s_wait_dscnt 0x1
	s_wait_xcnt 0x0
	v_and_b32_e32 v1, 0xff, v32
	v_mov_b32_e32 v0, 0
	s_delay_alu instid0(VALU_DEP_2)
	v_cmpx_ne_u16_e32 0, v1
	s_cbranch_execz .LBB296_1006
; %bb.999:                              ;   in Loop: Header=BB296_998 Depth=1
	v_mov_b32_e32 v0, 0x8000
	s_mov_b32 s15, exec_lo
	v_cmpx_ne_u16_e32 0x80, v1
	s_cbranch_execz .LBB296_1005
; %bb.1000:                             ;   in Loop: Header=BB296_998 Depth=1
	v_and_b32_e32 v6, 0x7f, v32
	v_mov_b32_e32 v0, 0x7c01
	s_mov_b32 s16, exec_lo
	s_delay_alu instid0(VALU_DEP_2)
	v_cmpx_ne_u32_e32 0x7f, v6
	s_cbranch_execz .LBB296_1004
; %bb.1001:                             ;   in Loop: Header=BB296_998 Depth=1
	v_dual_lshrrev_b32 v1, 3, v6 :: v_dual_bitop2_b32 v0, 7, v32 bitop3:0x40
	s_mov_b32 s17, exec_lo
	v_cmpx_gt_u32_e32 8, v6
; %bb.1002:                             ;   in Loop: Header=BB296_998 Depth=1
	s_delay_alu instid0(VALU_DEP_2) | instskip(NEXT) | instid1(VALU_DEP_1)
	v_clz_i32_u32_e32 v0, v0
	v_min_u32_e32 v6, 32, v0
	s_delay_alu instid0(VALU_DEP_1) | instskip(NEXT) | instid1(VALU_DEP_1)
	v_subrev_nc_u32_e32 v0, 28, v6
	v_lshlrev_b64_e32 v[0:1], v0, v[32:33]
	s_delay_alu instid0(VALU_DEP_1)
	v_dual_sub_nc_u32 v1, 29, v6 :: v_dual_bitop2_b32 v0, 7, v0 bitop3:0x40
; %bb.1003:                             ;   in Loop: Header=BB296_998 Depth=1
	s_or_b32 exec_lo, exec_lo, s17
	v_lshlrev_b32_e32 v6, 8, v32
	s_delay_alu instid0(VALU_DEP_2) | instskip(NEXT) | instid1(VALU_DEP_3)
	v_lshl_add_u32 v1, v1, 10, 0x2000
	v_lshlrev_b32_e32 v0, 7, v0
	s_delay_alu instid0(VALU_DEP_3) | instskip(NEXT) | instid1(VALU_DEP_3)
	v_and_b32_e32 v6, 0x8000, v6
	v_and_b32_e32 v1, 0xfc00, v1
	s_delay_alu instid0(VALU_DEP_1)
	v_or3_b32 v0, v6, v1, v0
.LBB296_1004:                           ;   in Loop: Header=BB296_998 Depth=1
	s_or_b32 exec_lo, exec_lo, s16
.LBB296_1005:                           ;   in Loop: Header=BB296_998 Depth=1
	s_delay_alu instid0(SALU_CYCLE_1)
	s_or_b32 exec_lo, exec_lo, s15
.LBB296_1006:                           ;   in Loop: Header=BB296_998 Depth=1
	s_delay_alu instid0(SALU_CYCLE_1) | instskip(SKIP_3) | instid1(VALU_DEP_2)
	s_or_b32 exec_lo, exec_lo, s0
	v_lshrrev_b16 v6, 8, v32
	v_dual_mov_b32 v1, 0 :: v_dual_mov_b32 v18, 0
	s_mov_b32 s0, exec_lo
	v_cmpx_ne_u16_e32 0, v6
	s_cbranch_execz .LBB296_1014
; %bb.1007:                             ;   in Loop: Header=BB296_998 Depth=1
	v_bfrev_b32_e32 v18, 1
	s_mov_b32 s15, exec_lo
	v_cmpx_ne_u16_e32 0x80, v6
	s_cbranch_execz .LBB296_1013
; %bb.1008:                             ;   in Loop: Header=BB296_998 Depth=1
	v_and_b32_e32 v19, 0xffff, v6
	v_mov_b32_e32 v18, 0x7c010000
	s_mov_b32 s16, exec_lo
	s_delay_alu instid0(VALU_DEP_2) | instskip(NEXT) | instid1(VALU_DEP_1)
	v_and_b32_e32 v23, 0x7f, v19
	v_cmpx_ne_u32_e32 0x7f, v23
	s_cbranch_execz .LBB296_1012
; %bb.1009:                             ;   in Loop: Header=BB296_998 Depth=1
	v_and_b32_e32 v18, 7, v19
	v_lshrrev_b32_e32 v22, 3, v23
	s_mov_b32 s17, exec_lo
	v_cmpx_gt_u32_e32 8, v23
; %bb.1010:                             ;   in Loop: Header=BB296_998 Depth=1
	s_delay_alu instid0(VALU_DEP_3) | instskip(NEXT) | instid1(VALU_DEP_1)
	v_clz_i32_u32_e32 v18, v18
	v_min_u32_e32 v18, 32, v18
	s_delay_alu instid0(VALU_DEP_1) | instskip(NEXT) | instid1(VALU_DEP_1)
	v_subrev_nc_u32_e32 v22, 28, v18
	v_lshlrev_b64_e32 v[34:35], v22, v[6:7]
	v_sub_nc_u32_e32 v22, 29, v18
	s_delay_alu instid0(VALU_DEP_2)
	v_and_b32_e32 v18, 7, v34
; %bb.1011:                             ;   in Loop: Header=BB296_998 Depth=1
	s_or_b32 exec_lo, exec_lo, s17
	s_delay_alu instid0(VALU_DEP_1) | instskip(NEXT) | instid1(VALU_DEP_3)
	v_dual_lshlrev_b32 v6, 8, v19 :: v_dual_lshlrev_b32 v18, 23, v18
	v_lshl_add_u32 v19, v22, 10, 0x2000
	s_delay_alu instid0(VALU_DEP_1) | instskip(NEXT) | instid1(VALU_DEP_1)
	v_and_or_b32 v6, 0x8000, v6, v19
	v_lshl_or_b32 v18, v6, 16, v18
.LBB296_1012:                           ;   in Loop: Header=BB296_998 Depth=1
	s_or_b32 exec_lo, exec_lo, s16
.LBB296_1013:                           ;   in Loop: Header=BB296_998 Depth=1
	s_delay_alu instid0(SALU_CYCLE_1)
	s_or_b32 exec_lo, exec_lo, s15
.LBB296_1014:                           ;   in Loop: Header=BB296_998 Depth=1
	s_delay_alu instid0(SALU_CYCLE_1) | instskip(SKIP_2) | instid1(VALU_DEP_1)
	s_or_b32 exec_lo, exec_lo, s0
	v_lshrrev_b32_e32 v6, 16, v32
	s_mov_b32 s0, exec_lo
	v_and_b32_e32 v19, 0xff, v6
	s_delay_alu instid0(VALU_DEP_1)
	v_cmpx_ne_u16_e32 0, v19
	s_cbranch_execz .LBB296_1022
; %bb.1015:                             ;   in Loop: Header=BB296_998 Depth=1
	v_mov_b32_e32 v1, 0x8000
	s_mov_b32 s15, exec_lo
	v_cmpx_ne_u16_e32 0x80, v19
	s_cbranch_execz .LBB296_1021
; %bb.1016:                             ;   in Loop: Header=BB296_998 Depth=1
	v_bfe_u32 v22, v32, 16, 7
	v_mov_b32_e32 v1, 0x7c01
	s_mov_b32 s16, exec_lo
	s_delay_alu instid0(VALU_DEP_2)
	v_cmpx_ne_u32_e32 0x7f, v22
	s_cbranch_execz .LBB296_1020
; %bb.1017:                             ;   in Loop: Header=BB296_998 Depth=1
	v_and_b32_e32 v1, 7, v6
	v_lshrrev_b32_e32 v19, 3, v22
	s_mov_b32 s17, exec_lo
	v_cmpx_gt_u32_e32 8, v22
; %bb.1018:                             ;   in Loop: Header=BB296_998 Depth=1
	s_delay_alu instid0(VALU_DEP_3) | instskip(NEXT) | instid1(VALU_DEP_1)
	v_clz_i32_u32_e32 v1, v1
	v_min_u32_e32 v1, 32, v1
	s_delay_alu instid0(VALU_DEP_1) | instskip(NEXT) | instid1(VALU_DEP_1)
	v_subrev_nc_u32_e32 v19, 28, v1
	v_lshlrev_b64_e32 v[22:23], v19, v[6:7]
	s_delay_alu instid0(VALU_DEP_1)
	v_dual_sub_nc_u32 v19, 29, v1 :: v_dual_bitop2_b32 v1, 7, v22 bitop3:0x40
; %bb.1019:                             ;   in Loop: Header=BB296_998 Depth=1
	s_or_b32 exec_lo, exec_lo, s17
	s_delay_alu instid0(VALU_DEP_1) | instskip(NEXT) | instid1(VALU_DEP_2)
	v_dual_lshlrev_b32 v6, 8, v6 :: v_dual_lshlrev_b32 v1, 7, v1
	v_lshl_add_u32 v19, v19, 10, 0x2000
	s_delay_alu instid0(VALU_DEP_2) | instskip(NEXT) | instid1(VALU_DEP_2)
	v_and_b32_e32 v6, 0x8000, v6
	v_and_b32_e32 v19, 0xfc00, v19
	s_delay_alu instid0(VALU_DEP_1)
	v_or3_b32 v1, v6, v19, v1
.LBB296_1020:                           ;   in Loop: Header=BB296_998 Depth=1
	s_or_b32 exec_lo, exec_lo, s16
.LBB296_1021:                           ;   in Loop: Header=BB296_998 Depth=1
	s_delay_alu instid0(SALU_CYCLE_1)
	s_or_b32 exec_lo, exec_lo, s15
.LBB296_1022:                           ;   in Loop: Header=BB296_998 Depth=1
	s_delay_alu instid0(SALU_CYCLE_1)
	s_or_b32 exec_lo, exec_lo, s0
	v_dual_mov_b32 v19, 0 :: v_dual_mov_b32 v22, 0
	s_mov_b32 s0, exec_lo
	v_cmpx_lt_u32_e32 0xffffff, v32
	s_cbranch_execz .LBB296_1030
; %bb.1023:                             ;   in Loop: Header=BB296_998 Depth=1
	v_lshrrev_b32_e32 v6, 24, v32
	v_bfrev_b32_e32 v22, 1
	s_mov_b32 s15, exec_lo
	s_delay_alu instid0(VALU_DEP_2)
	v_cmpx_ne_u32_e32 0x80, v6
	s_cbranch_execz .LBB296_1029
; %bb.1024:                             ;   in Loop: Header=BB296_998 Depth=1
	v_and_b32_e32 v31, 0x7f, v6
	v_mov_b32_e32 v22, 0x7c010000
	s_mov_b32 s16, exec_lo
	s_delay_alu instid0(VALU_DEP_2)
	v_cmpx_ne_u32_e32 0x7f, v31
	s_cbranch_execz .LBB296_1028
; %bb.1025:                             ;   in Loop: Header=BB296_998 Depth=1
	v_dual_lshrrev_b32 v23, 3, v31 :: v_dual_bitop2_b32 v22, 7, v6 bitop3:0x40
	s_mov_b32 s17, exec_lo
	v_cmpx_gt_u32_e32 8, v31
; %bb.1026:                             ;   in Loop: Header=BB296_998 Depth=1
	s_delay_alu instid0(VALU_DEP_2) | instskip(NEXT) | instid1(VALU_DEP_1)
	v_clz_i32_u32_e32 v22, v22
	v_min_u32_e32 v31, 32, v22
	s_delay_alu instid0(VALU_DEP_1) | instskip(NEXT) | instid1(VALU_DEP_1)
	v_subrev_nc_u32_e32 v22, 28, v31
	v_lshlrev_b64_e32 v[22:23], v22, v[6:7]
	s_delay_alu instid0(VALU_DEP_1)
	v_dual_sub_nc_u32 v23, 29, v31 :: v_dual_bitop2_b32 v22, 7, v22 bitop3:0x40
; %bb.1027:                             ;   in Loop: Header=BB296_998 Depth=1
	s_or_b32 exec_lo, exec_lo, s17
	v_lshlrev_b32_e32 v6, 8, v6
	s_delay_alu instid0(VALU_DEP_2) | instskip(NEXT) | instid1(VALU_DEP_3)
	v_lshl_add_u32 v23, v23, 10, 0x2000
	v_lshlrev_b32_e32 v22, 23, v22
	s_delay_alu instid0(VALU_DEP_2) | instskip(NEXT) | instid1(VALU_DEP_1)
	v_and_or_b32 v6, 0x8000, v6, v23
	v_lshl_or_b32 v22, v6, 16, v22
.LBB296_1028:                           ;   in Loop: Header=BB296_998 Depth=1
	s_or_b32 exec_lo, exec_lo, s16
.LBB296_1029:                           ;   in Loop: Header=BB296_998 Depth=1
	s_delay_alu instid0(SALU_CYCLE_1)
	s_or_b32 exec_lo, exec_lo, s15
.LBB296_1030:                           ;   in Loop: Header=BB296_998 Depth=1
	s_delay_alu instid0(SALU_CYCLE_1) | instskip(SKIP_3) | instid1(VALU_DEP_2)
	s_or_b32 exec_lo, exec_lo, s0
	v_and_b32_e32 v23, 0xff, v33
	v_mov_b32_e32 v6, v33
	s_mov_b32 s0, exec_lo
	v_cmpx_ne_u16_e32 0, v23
	s_cbranch_execz .LBB296_1038
; %bb.1031:                             ;   in Loop: Header=BB296_998 Depth=1
	v_mov_b32_e32 v19, 0x8000
	s_mov_b32 s15, exec_lo
	v_cmpx_ne_u16_e32 0x80, v23
	s_cbranch_execz .LBB296_1037
; %bb.1032:                             ;   in Loop: Header=BB296_998 Depth=1
	v_and_b32_e32 v31, 0x7f, v33
	v_mov_b32_e32 v19, 0x7c01
	s_mov_b32 s16, exec_lo
	s_delay_alu instid0(VALU_DEP_2)
	v_cmpx_ne_u32_e32 0x7f, v31
	s_cbranch_execz .LBB296_1036
; %bb.1033:                             ;   in Loop: Header=BB296_998 Depth=1
	v_dual_lshrrev_b32 v23, 3, v31 :: v_dual_bitop2_b32 v19, 7, v33 bitop3:0x40
	s_mov_b32 s17, exec_lo
	v_cmpx_gt_u32_e32 8, v31
; %bb.1034:                             ;   in Loop: Header=BB296_998 Depth=1
	s_delay_alu instid0(VALU_DEP_2) | instskip(NEXT) | instid1(VALU_DEP_1)
	v_clz_i32_u32_e32 v19, v19
	v_min_u32_e32 v19, 32, v19
	s_delay_alu instid0(VALU_DEP_1) | instskip(NEXT) | instid1(VALU_DEP_1)
	v_subrev_nc_u32_e32 v23, 28, v19
	v_lshlrev_b64_e32 v[34:35], v23, v[6:7]
	s_delay_alu instid0(VALU_DEP_1)
	v_dual_sub_nc_u32 v23, 29, v19 :: v_dual_bitop2_b32 v19, 7, v34 bitop3:0x40
; %bb.1035:                             ;   in Loop: Header=BB296_998 Depth=1
	s_or_b32 exec_lo, exec_lo, s17
	s_delay_alu instid0(VALU_DEP_1) | instskip(NEXT) | instid1(VALU_DEP_2)
	v_dual_lshlrev_b32 v31, 8, v33 :: v_dual_lshlrev_b32 v19, 7, v19
	v_lshl_add_u32 v23, v23, 10, 0x2000
	s_delay_alu instid0(VALU_DEP_2) | instskip(NEXT) | instid1(VALU_DEP_2)
	v_and_b32_e32 v31, 0x8000, v31
	v_and_b32_e32 v23, 0xfc00, v23
	s_delay_alu instid0(VALU_DEP_1)
	v_or3_b32 v19, v31, v23, v19
.LBB296_1036:                           ;   in Loop: Header=BB296_998 Depth=1
	s_or_b32 exec_lo, exec_lo, s16
.LBB296_1037:                           ;   in Loop: Header=BB296_998 Depth=1
	s_delay_alu instid0(SALU_CYCLE_1)
	s_or_b32 exec_lo, exec_lo, s15
.LBB296_1038:                           ;   in Loop: Header=BB296_998 Depth=1
	s_delay_alu instid0(SALU_CYCLE_1) | instskip(SKIP_3) | instid1(VALU_DEP_2)
	s_or_b32 exec_lo, exec_lo, s0
	v_lshrrev_b16 v6, 8, v6
	v_dual_mov_b32 v31, 0 :: v_dual_mov_b32 v23, 0
	s_mov_b32 s0, exec_lo
	v_cmpx_ne_u16_e32 0, v6
	s_cbranch_execz .LBB296_1046
; %bb.1039:                             ;   in Loop: Header=BB296_998 Depth=1
	v_bfrev_b32_e32 v23, 1
	s_mov_b32 s15, exec_lo
	v_cmpx_ne_u16_e32 0x80, v6
	s_cbranch_execz .LBB296_1045
; %bb.1040:                             ;   in Loop: Header=BB296_998 Depth=1
	v_and_b32_e32 v34, 0xffff, v6
	v_mov_b32_e32 v23, 0x7c010000
	s_mov_b32 s16, exec_lo
	s_delay_alu instid0(VALU_DEP_2) | instskip(NEXT) | instid1(VALU_DEP_1)
	v_and_b32_e32 v36, 0x7f, v34
	v_cmpx_ne_u32_e32 0x7f, v36
	s_cbranch_execz .LBB296_1044
; %bb.1041:                             ;   in Loop: Header=BB296_998 Depth=1
	v_dual_lshrrev_b32 v35, 3, v36 :: v_dual_bitop2_b32 v23, 7, v34 bitop3:0x40
	s_mov_b32 s17, exec_lo
	v_cmpx_gt_u32_e32 8, v36
; %bb.1042:                             ;   in Loop: Header=BB296_998 Depth=1
	s_delay_alu instid0(VALU_DEP_2) | instskip(NEXT) | instid1(VALU_DEP_1)
	v_clz_i32_u32_e32 v23, v23
	v_min_u32_e32 v23, 32, v23
	s_delay_alu instid0(VALU_DEP_1) | instskip(NEXT) | instid1(VALU_DEP_1)
	v_subrev_nc_u32_e32 v35, 28, v23
	v_lshlrev_b64_e32 v[36:37], v35, v[6:7]
	s_delay_alu instid0(VALU_DEP_1)
	v_dual_sub_nc_u32 v35, 29, v23 :: v_dual_bitop2_b32 v23, 7, v36 bitop3:0x40
; %bb.1043:                             ;   in Loop: Header=BB296_998 Depth=1
	s_or_b32 exec_lo, exec_lo, s17
	s_delay_alu instid0(VALU_DEP_1) | instskip(NEXT) | instid1(VALU_DEP_2)
	v_dual_lshlrev_b32 v6, 8, v34 :: v_dual_lshlrev_b32 v23, 23, v23
	v_lshl_add_u32 v34, v35, 10, 0x2000
	s_delay_alu instid0(VALU_DEP_1) | instskip(NEXT) | instid1(VALU_DEP_1)
	v_and_or_b32 v6, 0x8000, v6, v34
	v_lshl_or_b32 v23, v6, 16, v23
.LBB296_1044:                           ;   in Loop: Header=BB296_998 Depth=1
	s_or_b32 exec_lo, exec_lo, s16
.LBB296_1045:                           ;   in Loop: Header=BB296_998 Depth=1
	s_delay_alu instid0(SALU_CYCLE_1)
	s_or_b32 exec_lo, exec_lo, s15
.LBB296_1046:                           ;   in Loop: Header=BB296_998 Depth=1
	s_delay_alu instid0(SALU_CYCLE_1) | instskip(SKIP_2) | instid1(VALU_DEP_1)
	s_or_b32 exec_lo, exec_lo, s0
	v_lshrrev_b32_e32 v6, 16, v33
	s_mov_b32 s0, exec_lo
	v_and_b32_e32 v34, 0xff, v6
	s_delay_alu instid0(VALU_DEP_1)
	v_cmpx_ne_u16_e32 0, v34
	s_cbranch_execz .LBB296_1054
; %bb.1047:                             ;   in Loop: Header=BB296_998 Depth=1
	v_mov_b32_e32 v31, 0x8000
	s_mov_b32 s15, exec_lo
	v_cmpx_ne_u16_e32 0x80, v34
	s_cbranch_execz .LBB296_1053
; %bb.1048:                             ;   in Loop: Header=BB296_998 Depth=1
	v_bfe_u32 v35, v33, 16, 7
	v_mov_b32_e32 v31, 0x7c01
	s_mov_b32 s16, exec_lo
	s_delay_alu instid0(VALU_DEP_2)
	v_cmpx_ne_u32_e32 0x7f, v35
	s_cbranch_execz .LBB296_1052
; %bb.1049:                             ;   in Loop: Header=BB296_998 Depth=1
	v_dual_lshrrev_b32 v34, 3, v35 :: v_dual_bitop2_b32 v31, 7, v6 bitop3:0x40
	s_mov_b32 s17, exec_lo
	v_cmpx_gt_u32_e32 8, v35
; %bb.1050:                             ;   in Loop: Header=BB296_998 Depth=1
	s_delay_alu instid0(VALU_DEP_2) | instskip(NEXT) | instid1(VALU_DEP_1)
	v_clz_i32_u32_e32 v31, v31
	v_min_u32_e32 v31, 32, v31
	s_delay_alu instid0(VALU_DEP_1) | instskip(NEXT) | instid1(VALU_DEP_1)
	v_subrev_nc_u32_e32 v34, 28, v31
	v_lshlrev_b64_e32 v[36:37], v34, v[6:7]
	s_delay_alu instid0(VALU_DEP_1)
	v_dual_sub_nc_u32 v34, 29, v31 :: v_dual_bitop2_b32 v31, 7, v36 bitop3:0x40
; %bb.1051:                             ;   in Loop: Header=BB296_998 Depth=1
	s_or_b32 exec_lo, exec_lo, s17
	s_delay_alu instid0(VALU_DEP_1) | instskip(NEXT) | instid1(VALU_DEP_2)
	v_dual_lshlrev_b32 v6, 8, v6 :: v_dual_lshlrev_b32 v31, 7, v31
	v_lshl_add_u32 v34, v34, 10, 0x2000
	s_delay_alu instid0(VALU_DEP_2) | instskip(NEXT) | instid1(VALU_DEP_2)
	v_and_b32_e32 v6, 0x8000, v6
	v_and_b32_e32 v34, 0xfc00, v34
	s_delay_alu instid0(VALU_DEP_1)
	v_or3_b32 v31, v6, v34, v31
.LBB296_1052:                           ;   in Loop: Header=BB296_998 Depth=1
	s_or_b32 exec_lo, exec_lo, s16
.LBB296_1053:                           ;   in Loop: Header=BB296_998 Depth=1
	s_delay_alu instid0(SALU_CYCLE_1)
	s_or_b32 exec_lo, exec_lo, s15
.LBB296_1054:                           ;   in Loop: Header=BB296_998 Depth=1
	s_delay_alu instid0(SALU_CYCLE_1)
	s_or_b32 exec_lo, exec_lo, s0
	v_cmp_lt_u64_e32 vcc_lo, s[2:3], v[32:33]
	v_mov_b32_e32 v32, 0
	s_and_saveexec_b32 s0, vcc_lo
	s_cbranch_execz .LBB296_1062
; %bb.1055:                             ;   in Loop: Header=BB296_998 Depth=1
	v_lshrrev_b32_e32 v6, 24, v33
	v_bfrev_b32_e32 v32, 1
	s_mov_b32 s15, exec_lo
	s_delay_alu instid0(VALU_DEP_2)
	v_cmpx_ne_u32_e32 0x80, v6
	s_cbranch_execz .LBB296_1061
; %bb.1056:                             ;   in Loop: Header=BB296_998 Depth=1
	v_and_b32_e32 v34, 0x7f, v6
	v_mov_b32_e32 v32, 0x7c010000
	s_mov_b32 s16, exec_lo
	s_delay_alu instid0(VALU_DEP_2)
	v_cmpx_ne_u32_e32 0x7f, v34
	s_cbranch_execz .LBB296_1060
; %bb.1057:                             ;   in Loop: Header=BB296_998 Depth=1
	v_and_b32_e32 v32, 7, v6
	v_lshrrev_b32_e32 v33, 3, v34
	s_mov_b32 s17, exec_lo
	v_cmpx_gt_u32_e32 8, v34
; %bb.1058:                             ;   in Loop: Header=BB296_998 Depth=1
	s_delay_alu instid0(VALU_DEP_3) | instskip(NEXT) | instid1(VALU_DEP_1)
	v_clz_i32_u32_e32 v32, v32
	v_min_u32_e32 v34, 32, v32
	s_delay_alu instid0(VALU_DEP_1) | instskip(NEXT) | instid1(VALU_DEP_1)
	v_subrev_nc_u32_e32 v32, 28, v34
	v_lshlrev_b64_e32 v[32:33], v32, v[6:7]
	s_delay_alu instid0(VALU_DEP_1)
	v_dual_sub_nc_u32 v33, 29, v34 :: v_dual_bitop2_b32 v32, 7, v32 bitop3:0x40
; %bb.1059:                             ;   in Loop: Header=BB296_998 Depth=1
	s_or_b32 exec_lo, exec_lo, s17
	s_delay_alu instid0(VALU_DEP_1) | instskip(NEXT) | instid1(VALU_DEP_2)
	v_dual_lshlrev_b32 v6, 8, v6 :: v_dual_lshlrev_b32 v32, 23, v32
	v_lshl_add_u32 v33, v33, 10, 0x2000
	s_delay_alu instid0(VALU_DEP_1) | instskip(NEXT) | instid1(VALU_DEP_1)
	v_and_or_b32 v6, 0x8000, v6, v33
	v_lshl_or_b32 v32, v6, 16, v32
.LBB296_1060:                           ;   in Loop: Header=BB296_998 Depth=1
	s_or_b32 exec_lo, exec_lo, s16
.LBB296_1061:                           ;   in Loop: Header=BB296_998 Depth=1
	s_delay_alu instid0(SALU_CYCLE_1)
	s_or_b32 exec_lo, exec_lo, s15
.LBB296_1062:                           ;   in Loop: Header=BB296_998 Depth=1
	s_delay_alu instid0(SALU_CYCLE_1) | instskip(SKIP_3) | instid1(VALU_DEP_3)
	s_or_b32 exec_lo, exec_lo, s0
	v_dual_lshrrev_b32 v6, 16, v18 :: v_dual_bitop2_b32 v34, v18, v0 bitop3:0x54
	v_dual_lshrrev_b32 v33, 16, v22 :: v_dual_bitop2_b32 v18, v22, v1 bitop3:0x54
	v_cmp_eq_u32_e32 vcc_lo, v52, v55
	v_cvt_f32_f16_e32 v1, v6
	v_dual_lshrrev_b32 v31, 16, v32 :: v_dual_bitop2_b32 v6, v32, v31 bitop3:0x54
	s_delay_alu instid0(VALU_DEP_4)
	v_cvt_f32_f16_e32 v0, v33
	v_cvt_f32_f16_e32 v18, v18
	v_or_b32_e32 v33, v23, v19
	v_cvt_f32_f16_e32 v19, v34
	v_cvt_f32_f16_e32 v32, v6
	s_wait_loadcnt_dscnt 0x0
	v_pk_mul_f32 v[0:1], v[30:31], v[0:1] op_sel_hi:[0,1]
	v_or_b32_e32 v68, 1, v53
	v_or_b32_e32 v67, 3, v53
	v_pk_mul_f32 v[18:19], v[30:31], v[18:19] op_sel_hi:[0,1]
	v_or_b32_e32 v66, 4, v53
	v_cvt_pk_f16_f32 v6, v0, v1
	v_dual_lshrrev_b32 v22, 16, v23 :: v_dual_bitop2_b32 v65, 6, v53 bitop3:0x54
	s_delay_alu instid0(VALU_DEP_4) | instskip(NEXT) | instid1(VALU_DEP_3)
	v_cvt_pk_f16_f32 v18, v18, v19
	v_dual_lshlrev_b32 v36, 16, v6 :: v_dual_bitop2_b32 v64, 5, v53 bitop3:0x54
	s_delay_alu instid0(VALU_DEP_3) | instskip(SKIP_1) | instid1(VALU_DEP_4)
	v_cvt_f32_f16_e32 v23, v22
	v_cvt_f32_f16_e32 v22, v31
	v_lshrrev_b32_e32 v39, 16, v18
	v_cvt_f32_f16_e32 v33, v33
	v_and_b32_e32 v37, 0xffff0000, v6
	v_and_b32_e32 v38, 0xffff, v18
	v_pk_mul_f32 v[0:1], v[30:31], v[22:23] op_sel_hi:[0,1]
	v_add_nc_u32_e32 v69, 2, v53
	v_pk_mul_f32 v[22:23], v[30:31], v[32:33] op_sel_hi:[0,1]
	v_or_b32_e32 v33, v37, v39
	v_or_b32_e32 v32, v36, v38
	v_cvt_pk_f16_f32 v0, v0, v1
	s_delay_alu instid0(VALU_DEP_4) | instskip(NEXT) | instid1(VALU_DEP_2)
	v_cvt_pk_f16_f32 v1, v22, v23
	v_and_b32_e32 v19, 0xffff0000, v0
	s_delay_alu instid0(VALU_DEP_2) | instskip(SKIP_2) | instid1(VALU_DEP_3)
	v_dual_lshlrev_b32 v6, 16, v0 :: v_dual_lshrrev_b32 v35, 16, v1
	v_and_b32_e32 v34, 0xffff, v1
	v_or_b32_e32 v0, 7, v53
	v_or_b32_e32 v31, v19, v35
	s_delay_alu instid0(VALU_DEP_3)
	v_or_b32_e32 v30, v6, v34
	s_and_saveexec_b32 s15, vcc_lo
	s_cbranch_execz .LBB296_1064
; %bb.1063:                             ;   in Loop: Header=BB296_998 Depth=1
	v_cmp_lt_i32_e64 s0, v53, v13
	s_delay_alu instid0(VALU_DEP_1) | instskip(SKIP_1) | instid1(VALU_DEP_1)
	v_cndmask_b32_e64 v1, 0, v39, s0
	v_cmp_lt_i32_e64 s0, v69, v58
	v_cndmask_b32_e64 v18, 0, v38, s0
	v_cmp_lt_i32_e64 s0, v68, v13
	s_delay_alu instid0(VALU_DEP_1) | instskip(SKIP_1) | instid1(VALU_DEP_1)
	v_cndmask_b32_e64 v22, 0, v37, s0
	v_cmp_lt_i32_e64 s0, v67, v58
	v_cndmask_b32_e64 v23, 0, v36, s0
	v_cmp_lt_i32_e64 s0, v66, v13
	s_delay_alu instid0(VALU_DEP_4) | instskip(NEXT) | instid1(VALU_DEP_3)
	v_or_b32_e32 v33, v1, v22
	v_or_b32_e32 v32, v18, v23
	s_delay_alu instid0(VALU_DEP_3) | instskip(SKIP_1) | instid1(VALU_DEP_1)
	v_cndmask_b32_e64 v30, 0, v35, s0
	v_cmp_lt_i32_e64 s0, v65, v58
	v_cndmask_b32_e64 v34, 0, v34, s0
	v_cmp_lt_i32_e64 s0, v64, v13
	s_delay_alu instid0(VALU_DEP_1) | instskip(SKIP_1) | instid1(VALU_DEP_1)
	v_cndmask_b32_e64 v19, 0, v19, s0
	v_cmp_lt_i32_e64 s0, v0, v58
	v_dual_cndmask_b32 v6, 0, v6, s0 :: v_dual_bitop2_b32 v31, v30, v19 bitop3:0x54
	s_delay_alu instid0(VALU_DEP_1)
	v_or_b32_e32 v30, v34, v6
.LBB296_1064:                           ;   in Loop: Header=BB296_998 Depth=1
	s_or_b32 exec_lo, exec_lo, s15
	v_and_b32_e32 v1, 0xffff, v80
	v_and_b32_e32 v6, 0xffff, v81
	;; [unrolled: 1-line block ×4, first 2 shown]
	s_mov_b32 s15, exec_lo
	v_lshl_or_b32 v81, v70, 16, v1
	;;#ASMSTART
	v_pk_mul_f16 v1, v81, v33;

	;;#ASMEND
	v_lshl_or_b32 v80, v71, 16, v6
	v_lshl_or_b32 v71, v82, 16, v18
	;; [unrolled: 1-line block ×3, first 2 shown]
	;;#ASMSTART
	v_pk_mul_f16 v6, v80, v32;

	;;#ASMEND
	;;#ASMSTART
	v_pk_mul_f16 v18, v71, v31;

	;;#ASMEND
	;; [unrolled: 4-line block ×3, first 2 shown]
	;;#ASMSTART
	v_pk_add_f16 v1, v1, v6;

	;;#ASMEND
	;;#ASMSTART
	v_pk_add_f16 v1, v1, v18;

	;;#ASMEND
	;; [unrolled: 4-line block ×3, first 2 shown]
	v_and_b32_e32 v6, 0xffff, v1
	v_lshrrev_b32_e32 v1, 16, v1
	;;#ASMSTART
	v_cvt_f32_f16 v82, v6;
	;;#ASMEND
	;;#ASMSTART
	v_cvt_f32_f16 v83, v1;
	;;#ASMEND
	flat_load_b64 v[32:33], v[14:15] offset:256
	scratch_load_b64 v[18:19], off, s32 offset:192 ; 8-byte Folded Reload
	v_mov_b32_e32 v1, 0
	s_wait_loadcnt_dscnt 0x100
	v_and_b32_e32 v6, 0xff, v32
	s_wait_loadcnt 0x0
	flat_load_b32 v30, v[18:19]
	s_wait_xcnt 0x0
	v_mov_b32_e32 v18, 0
	v_cmpx_ne_u16_e32 0, v6
	s_cbranch_execz .LBB296_1072
; %bb.1065:                             ;   in Loop: Header=BB296_998 Depth=1
	v_mov_b32_e32 v18, 0x8000
	s_mov_b32 s16, exec_lo
	v_cmpx_ne_u16_e32 0x80, v6
	s_cbranch_execz .LBB296_1071
; %bb.1066:                             ;   in Loop: Header=BB296_998 Depth=1
	v_and_b32_e32 v19, 0x7f, v32
	v_mov_b32_e32 v18, 0x7c01
	s_mov_b32 s17, exec_lo
	s_delay_alu instid0(VALU_DEP_2)
	v_cmpx_ne_u32_e32 0x7f, v19
	s_cbranch_execz .LBB296_1070
; %bb.1067:                             ;   in Loop: Header=BB296_998 Depth=1
	v_dual_lshrrev_b32 v18, 3, v19 :: v_dual_bitop2_b32 v6, 7, v32 bitop3:0x40
	s_mov_b32 s18, exec_lo
	v_cmpx_gt_u32_e32 8, v19
; %bb.1068:                             ;   in Loop: Header=BB296_998 Depth=1
	s_delay_alu instid0(VALU_DEP_2) | instskip(NEXT) | instid1(VALU_DEP_1)
	v_clz_i32_u32_e32 v6, v6
	v_min_u32_e32 v6, 32, v6
	s_delay_alu instid0(VALU_DEP_1) | instskip(NEXT) | instid1(VALU_DEP_1)
	v_subrev_nc_u32_e32 v18, 28, v6
	v_lshlrev_b64_e32 v[22:23], v18, v[32:33]
	v_sub_nc_u32_e32 v18, 29, v6
	s_delay_alu instid0(VALU_DEP_2)
	v_and_b32_e32 v6, 7, v22
; %bb.1069:                             ;   in Loop: Header=BB296_998 Depth=1
	s_or_b32 exec_lo, exec_lo, s18
	s_delay_alu instid0(VALU_DEP_1) | instskip(NEXT) | instid1(VALU_DEP_3)
	v_dual_lshlrev_b32 v19, 8, v32 :: v_dual_lshlrev_b32 v6, 7, v6
	v_lshl_add_u32 v18, v18, 10, 0x2000
	s_delay_alu instid0(VALU_DEP_2) | instskip(NEXT) | instid1(VALU_DEP_2)
	v_and_b32_e32 v19, 0x8000, v19
	v_and_b32_e32 v18, 0xfc00, v18
	s_delay_alu instid0(VALU_DEP_1)
	v_or3_b32 v18, v19, v18, v6
.LBB296_1070:                           ;   in Loop: Header=BB296_998 Depth=1
	s_or_b32 exec_lo, exec_lo, s17
.LBB296_1071:                           ;   in Loop: Header=BB296_998 Depth=1
	s_delay_alu instid0(SALU_CYCLE_1)
	s_or_b32 exec_lo, exec_lo, s16
.LBB296_1072:                           ;   in Loop: Header=BB296_998 Depth=1
	s_delay_alu instid0(SALU_CYCLE_1) | instskip(SKIP_2) | instid1(VALU_DEP_1)
	s_or_b32 exec_lo, exec_lo, s15
	v_lshrrev_b16 v6, 8, v32
	s_mov_b32 s15, exec_lo
	v_cmpx_ne_u16_e32 0, v6
	s_cbranch_execz .LBB296_1080
; %bb.1073:                             ;   in Loop: Header=BB296_998 Depth=1
	v_bfrev_b32_e32 v1, 1
	s_mov_b32 s16, exec_lo
	v_cmpx_ne_u16_e32 0x80, v6
	s_cbranch_execz .LBB296_1079
; %bb.1074:                             ;   in Loop: Header=BB296_998 Depth=1
	v_and_b32_e32 v19, 0xffff, v6
	v_mov_b32_e32 v1, 0x7c010000
	s_mov_b32 s17, exec_lo
	s_delay_alu instid0(VALU_DEP_2) | instskip(NEXT) | instid1(VALU_DEP_1)
	v_and_b32_e32 v23, 0x7f, v19
	v_cmpx_ne_u32_e32 0x7f, v23
	s_cbranch_execz .LBB296_1078
; %bb.1075:                             ;   in Loop: Header=BB296_998 Depth=1
	v_and_b32_e32 v1, 7, v19
	v_lshrrev_b32_e32 v22, 3, v23
	s_mov_b32 s18, exec_lo
	v_cmpx_gt_u32_e32 8, v23
; %bb.1076:                             ;   in Loop: Header=BB296_998 Depth=1
	s_delay_alu instid0(VALU_DEP_3) | instskip(NEXT) | instid1(VALU_DEP_1)
	v_clz_i32_u32_e32 v1, v1
	v_min_u32_e32 v1, 32, v1
	s_delay_alu instid0(VALU_DEP_1) | instskip(NEXT) | instid1(VALU_DEP_1)
	v_subrev_nc_u32_e32 v22, 28, v1
	v_lshlrev_b64_e32 v[34:35], v22, v[6:7]
	s_delay_alu instid0(VALU_DEP_1)
	v_dual_sub_nc_u32 v22, 29, v1 :: v_dual_bitop2_b32 v1, 7, v34 bitop3:0x40
; %bb.1077:                             ;   in Loop: Header=BB296_998 Depth=1
	s_or_b32 exec_lo, exec_lo, s18
	s_delay_alu instid0(VALU_DEP_1) | instskip(NEXT) | instid1(VALU_DEP_2)
	v_dual_lshlrev_b32 v6, 8, v19 :: v_dual_lshlrev_b32 v1, 23, v1
	v_lshl_add_u32 v19, v22, 10, 0x2000
	s_delay_alu instid0(VALU_DEP_1) | instskip(NEXT) | instid1(VALU_DEP_1)
	v_and_or_b32 v6, 0x8000, v6, v19
	v_lshl_or_b32 v1, v6, 16, v1
.LBB296_1078:                           ;   in Loop: Header=BB296_998 Depth=1
	s_or_b32 exec_lo, exec_lo, s17
.LBB296_1079:                           ;   in Loop: Header=BB296_998 Depth=1
	s_delay_alu instid0(SALU_CYCLE_1)
	s_or_b32 exec_lo, exec_lo, s16
.LBB296_1080:                           ;   in Loop: Header=BB296_998 Depth=1
	s_delay_alu instid0(SALU_CYCLE_1) | instskip(SKIP_3) | instid1(VALU_DEP_2)
	s_or_b32 exec_lo, exec_lo, s15
	v_dual_mov_b32 v19, 0 :: v_dual_lshrrev_b32 v6, 16, v32
	v_mov_b32_e32 v22, 0
	s_mov_b32 s15, exec_lo
	v_and_b32_e32 v23, 0xff, v6
	s_delay_alu instid0(VALU_DEP_1)
	v_cmpx_ne_u16_e32 0, v23
	s_cbranch_execz .LBB296_1088
; %bb.1081:                             ;   in Loop: Header=BB296_998 Depth=1
	v_mov_b32_e32 v22, 0x8000
	s_mov_b32 s16, exec_lo
	v_cmpx_ne_u16_e32 0x80, v23
	s_cbranch_execz .LBB296_1087
; %bb.1082:                             ;   in Loop: Header=BB296_998 Depth=1
	v_bfe_u32 v31, v32, 16, 7
	v_mov_b32_e32 v22, 0x7c01
	s_mov_b32 s17, exec_lo
	s_delay_alu instid0(VALU_DEP_2)
	v_cmpx_ne_u32_e32 0x7f, v31
	s_cbranch_execz .LBB296_1086
; %bb.1083:                             ;   in Loop: Header=BB296_998 Depth=1
	v_dual_lshrrev_b32 v23, 3, v31 :: v_dual_bitop2_b32 v22, 7, v6 bitop3:0x40
	s_mov_b32 s18, exec_lo
	v_cmpx_gt_u32_e32 8, v31
; %bb.1084:                             ;   in Loop: Header=BB296_998 Depth=1
	s_delay_alu instid0(VALU_DEP_2) | instskip(NEXT) | instid1(VALU_DEP_1)
	v_clz_i32_u32_e32 v22, v22
	v_min_u32_e32 v31, 32, v22
	s_delay_alu instid0(VALU_DEP_1) | instskip(NEXT) | instid1(VALU_DEP_1)
	v_subrev_nc_u32_e32 v22, 28, v31
	v_lshlrev_b64_e32 v[22:23], v22, v[6:7]
	s_delay_alu instid0(VALU_DEP_1)
	v_dual_sub_nc_u32 v23, 29, v31 :: v_dual_bitop2_b32 v22, 7, v22 bitop3:0x40
; %bb.1085:                             ;   in Loop: Header=BB296_998 Depth=1
	s_or_b32 exec_lo, exec_lo, s18
	v_lshlrev_b32_e32 v6, 8, v6
	s_delay_alu instid0(VALU_DEP_2) | instskip(NEXT) | instid1(VALU_DEP_3)
	v_lshl_add_u32 v23, v23, 10, 0x2000
	v_lshlrev_b32_e32 v22, 7, v22
	s_delay_alu instid0(VALU_DEP_3) | instskip(NEXT) | instid1(VALU_DEP_3)
	v_and_b32_e32 v6, 0x8000, v6
	v_and_b32_e32 v23, 0xfc00, v23
	s_delay_alu instid0(VALU_DEP_1)
	v_or3_b32 v22, v6, v23, v22
.LBB296_1086:                           ;   in Loop: Header=BB296_998 Depth=1
	s_or_b32 exec_lo, exec_lo, s17
.LBB296_1087:                           ;   in Loop: Header=BB296_998 Depth=1
	s_delay_alu instid0(SALU_CYCLE_1)
	s_or_b32 exec_lo, exec_lo, s16
.LBB296_1088:                           ;   in Loop: Header=BB296_998 Depth=1
	s_delay_alu instid0(SALU_CYCLE_1) | instskip(NEXT) | instid1(SALU_CYCLE_1)
	s_or_b32 exec_lo, exec_lo, s15
	s_mov_b32 s15, exec_lo
	v_cmpx_lt_u32_e32 0xffffff, v32
	s_cbranch_execz .LBB296_1096
; %bb.1089:                             ;   in Loop: Header=BB296_998 Depth=1
	v_lshrrev_b32_e32 v6, 24, v32
	v_bfrev_b32_e32 v19, 1
	s_mov_b32 s16, exec_lo
	s_delay_alu instid0(VALU_DEP_2)
	v_cmpx_ne_u32_e32 0x80, v6
	s_cbranch_execz .LBB296_1095
; %bb.1090:                             ;   in Loop: Header=BB296_998 Depth=1
	v_and_b32_e32 v31, 0x7f, v6
	v_mov_b32_e32 v19, 0x7c010000
	s_mov_b32 s17, exec_lo
	s_delay_alu instid0(VALU_DEP_2)
	v_cmpx_ne_u32_e32 0x7f, v31
	s_cbranch_execz .LBB296_1094
; %bb.1091:                             ;   in Loop: Header=BB296_998 Depth=1
	v_dual_lshrrev_b32 v23, 3, v31 :: v_dual_bitop2_b32 v19, 7, v6 bitop3:0x40
	s_mov_b32 s18, exec_lo
	v_cmpx_gt_u32_e32 8, v31
; %bb.1092:                             ;   in Loop: Header=BB296_998 Depth=1
	s_delay_alu instid0(VALU_DEP_2) | instskip(NEXT) | instid1(VALU_DEP_1)
	v_clz_i32_u32_e32 v19, v19
	v_min_u32_e32 v19, 32, v19
	s_delay_alu instid0(VALU_DEP_1) | instskip(NEXT) | instid1(VALU_DEP_1)
	v_subrev_nc_u32_e32 v23, 28, v19
	v_lshlrev_b64_e32 v[34:35], v23, v[6:7]
	s_delay_alu instid0(VALU_DEP_1)
	v_dual_sub_nc_u32 v23, 29, v19 :: v_dual_bitop2_b32 v19, 7, v34 bitop3:0x40
; %bb.1093:                             ;   in Loop: Header=BB296_998 Depth=1
	s_or_b32 exec_lo, exec_lo, s18
	s_delay_alu instid0(VALU_DEP_1) | instskip(NEXT) | instid1(VALU_DEP_2)
	v_dual_lshlrev_b32 v6, 8, v6 :: v_dual_lshlrev_b32 v19, 23, v19
	v_lshl_add_u32 v23, v23, 10, 0x2000
	s_delay_alu instid0(VALU_DEP_1) | instskip(NEXT) | instid1(VALU_DEP_1)
	v_and_or_b32 v6, 0x8000, v6, v23
	v_lshl_or_b32 v19, v6, 16, v19
.LBB296_1094:                           ;   in Loop: Header=BB296_998 Depth=1
	s_or_b32 exec_lo, exec_lo, s17
.LBB296_1095:                           ;   in Loop: Header=BB296_998 Depth=1
	s_delay_alu instid0(SALU_CYCLE_1)
	s_or_b32 exec_lo, exec_lo, s16
.LBB296_1096:                           ;   in Loop: Header=BB296_998 Depth=1
	s_delay_alu instid0(SALU_CYCLE_1) | instskip(SKIP_4) | instid1(VALU_DEP_3)
	s_or_b32 exec_lo, exec_lo, s15
	v_and_b32_e32 v34, 0xff, v33
	v_dual_mov_b32 v6, v33 :: v_dual_mov_b32 v31, 0
	v_mov_b32_e32 v23, 0
	s_mov_b32 s15, exec_lo
	v_cmpx_ne_u16_e32 0, v34
	s_cbranch_execz .LBB296_1104
; %bb.1097:                             ;   in Loop: Header=BB296_998 Depth=1
	v_mov_b32_e32 v23, 0x8000
	s_mov_b32 s16, exec_lo
	v_cmpx_ne_u16_e32 0x80, v34
	s_cbranch_execz .LBB296_1103
; %bb.1098:                             ;   in Loop: Header=BB296_998 Depth=1
	v_and_b32_e32 v35, 0x7f, v33
	v_mov_b32_e32 v23, 0x7c01
	s_mov_b32 s17, exec_lo
	s_delay_alu instid0(VALU_DEP_2)
	v_cmpx_ne_u32_e32 0x7f, v35
	s_cbranch_execz .LBB296_1102
; %bb.1099:                             ;   in Loop: Header=BB296_998 Depth=1
	v_dual_lshrrev_b32 v34, 3, v35 :: v_dual_bitop2_b32 v23, 7, v33 bitop3:0x40
	s_mov_b32 s18, exec_lo
	v_cmpx_gt_u32_e32 8, v35
; %bb.1100:                             ;   in Loop: Header=BB296_998 Depth=1
	s_delay_alu instid0(VALU_DEP_2) | instskip(NEXT) | instid1(VALU_DEP_1)
	v_clz_i32_u32_e32 v23, v23
	v_min_u32_e32 v23, 32, v23
	s_delay_alu instid0(VALU_DEP_1) | instskip(NEXT) | instid1(VALU_DEP_1)
	v_subrev_nc_u32_e32 v34, 28, v23
	v_lshlrev_b64_e32 v[36:37], v34, v[6:7]
	s_delay_alu instid0(VALU_DEP_1)
	v_dual_sub_nc_u32 v34, 29, v23 :: v_dual_bitop2_b32 v23, 7, v36 bitop3:0x40
; %bb.1101:                             ;   in Loop: Header=BB296_998 Depth=1
	s_or_b32 exec_lo, exec_lo, s18
	s_delay_alu instid0(VALU_DEP_1) | instskip(NEXT) | instid1(VALU_DEP_2)
	v_dual_lshlrev_b32 v35, 8, v33 :: v_dual_lshlrev_b32 v23, 7, v23
	v_lshl_add_u32 v34, v34, 10, 0x2000
	s_delay_alu instid0(VALU_DEP_2) | instskip(NEXT) | instid1(VALU_DEP_2)
	v_and_b32_e32 v35, 0x8000, v35
	v_and_b32_e32 v34, 0xfc00, v34
	s_delay_alu instid0(VALU_DEP_1)
	v_or3_b32 v23, v35, v34, v23
.LBB296_1102:                           ;   in Loop: Header=BB296_998 Depth=1
	s_or_b32 exec_lo, exec_lo, s17
.LBB296_1103:                           ;   in Loop: Header=BB296_998 Depth=1
	s_delay_alu instid0(SALU_CYCLE_1)
	s_or_b32 exec_lo, exec_lo, s16
.LBB296_1104:                           ;   in Loop: Header=BB296_998 Depth=1
	s_delay_alu instid0(SALU_CYCLE_1) | instskip(SKIP_3) | instid1(VALU_DEP_2)
	s_or_b32 exec_lo, exec_lo, s15
	v_lshrrev_b16 v6, 8, v6
	v_mov_b32_e32 v34, 0
	s_mov_b32 s15, exec_lo
	v_cmpx_ne_u16_e32 0, v6
	s_cbranch_execz .LBB296_1112
; %bb.1105:                             ;   in Loop: Header=BB296_998 Depth=1
	v_bfrev_b32_e32 v34, 1
	s_mov_b32 s16, exec_lo
	v_cmpx_ne_u16_e32 0x80, v6
	s_cbranch_execz .LBB296_1111
; %bb.1106:                             ;   in Loop: Header=BB296_998 Depth=1
	v_and_b32_e32 v35, 0xffff, v6
	v_mov_b32_e32 v34, 0x7c010000
	s_mov_b32 s17, exec_lo
	s_delay_alu instid0(VALU_DEP_2) | instskip(NEXT) | instid1(VALU_DEP_1)
	v_and_b32_e32 v37, 0x7f, v35
	v_cmpx_ne_u32_e32 0x7f, v37
	s_cbranch_execz .LBB296_1110
; %bb.1107:                             ;   in Loop: Header=BB296_998 Depth=1
	v_dual_lshrrev_b32 v36, 3, v37 :: v_dual_bitop2_b32 v34, 7, v35 bitop3:0x40
	s_mov_b32 s18, exec_lo
	v_cmpx_gt_u32_e32 8, v37
; %bb.1108:                             ;   in Loop: Header=BB296_998 Depth=1
	s_delay_alu instid0(VALU_DEP_2) | instskip(NEXT) | instid1(VALU_DEP_1)
	v_clz_i32_u32_e32 v34, v34
	v_min_u32_e32 v34, 32, v34
	s_delay_alu instid0(VALU_DEP_1) | instskip(NEXT) | instid1(VALU_DEP_1)
	v_subrev_nc_u32_e32 v36, 28, v34
	v_lshlrev_b64_e32 v[38:39], v36, v[6:7]
	v_sub_nc_u32_e32 v36, 29, v34
	s_delay_alu instid0(VALU_DEP_2)
	v_and_b32_e32 v34, 7, v38
; %bb.1109:                             ;   in Loop: Header=BB296_998 Depth=1
	s_or_b32 exec_lo, exec_lo, s18
	s_delay_alu instid0(VALU_DEP_1) | instskip(NEXT) | instid1(VALU_DEP_3)
	v_dual_lshlrev_b32 v6, 8, v35 :: v_dual_lshlrev_b32 v34, 23, v34
	v_lshl_add_u32 v35, v36, 10, 0x2000
	s_delay_alu instid0(VALU_DEP_1) | instskip(NEXT) | instid1(VALU_DEP_1)
	v_and_or_b32 v6, 0x8000, v6, v35
	v_lshl_or_b32 v34, v6, 16, v34
.LBB296_1110:                           ;   in Loop: Header=BB296_998 Depth=1
	s_or_b32 exec_lo, exec_lo, s17
.LBB296_1111:                           ;   in Loop: Header=BB296_998 Depth=1
	s_delay_alu instid0(SALU_CYCLE_1)
	s_or_b32 exec_lo, exec_lo, s16
.LBB296_1112:                           ;   in Loop: Header=BB296_998 Depth=1
	s_delay_alu instid0(SALU_CYCLE_1) | instskip(SKIP_2) | instid1(VALU_DEP_1)
	s_or_b32 exec_lo, exec_lo, s15
	v_lshrrev_b32_e32 v6, 16, v33
	s_mov_b32 s15, exec_lo
	v_and_b32_e32 v35, 0xff, v6
	s_delay_alu instid0(VALU_DEP_1)
	v_cmpx_ne_u16_e32 0, v35
	s_cbranch_execz .LBB296_1120
; %bb.1113:                             ;   in Loop: Header=BB296_998 Depth=1
	v_mov_b32_e32 v31, 0x8000
	s_mov_b32 s16, exec_lo
	v_cmpx_ne_u16_e32 0x80, v35
	s_cbranch_execz .LBB296_1119
; %bb.1114:                             ;   in Loop: Header=BB296_998 Depth=1
	v_bfe_u32 v36, v33, 16, 7
	v_mov_b32_e32 v31, 0x7c01
	s_mov_b32 s17, exec_lo
	s_delay_alu instid0(VALU_DEP_2)
	v_cmpx_ne_u32_e32 0x7f, v36
	s_cbranch_execz .LBB296_1118
; %bb.1115:                             ;   in Loop: Header=BB296_998 Depth=1
	v_dual_lshrrev_b32 v35, 3, v36 :: v_dual_bitop2_b32 v31, 7, v6 bitop3:0x40
	s_mov_b32 s18, exec_lo
	v_cmpx_gt_u32_e32 8, v36
; %bb.1116:                             ;   in Loop: Header=BB296_998 Depth=1
	s_delay_alu instid0(VALU_DEP_2) | instskip(NEXT) | instid1(VALU_DEP_1)
	v_clz_i32_u32_e32 v31, v31
	v_min_u32_e32 v31, 32, v31
	s_delay_alu instid0(VALU_DEP_1) | instskip(NEXT) | instid1(VALU_DEP_1)
	v_subrev_nc_u32_e32 v35, 28, v31
	v_lshlrev_b64_e32 v[36:37], v35, v[6:7]
	s_delay_alu instid0(VALU_DEP_1)
	v_dual_sub_nc_u32 v35, 29, v31 :: v_dual_bitop2_b32 v31, 7, v36 bitop3:0x40
; %bb.1117:                             ;   in Loop: Header=BB296_998 Depth=1
	s_or_b32 exec_lo, exec_lo, s18
	s_delay_alu instid0(VALU_DEP_1) | instskip(NEXT) | instid1(VALU_DEP_2)
	v_dual_lshlrev_b32 v6, 8, v6 :: v_dual_lshlrev_b32 v31, 7, v31
	v_lshl_add_u32 v35, v35, 10, 0x2000
	s_delay_alu instid0(VALU_DEP_2) | instskip(NEXT) | instid1(VALU_DEP_2)
	v_and_b32_e32 v6, 0x8000, v6
	v_and_b32_e32 v35, 0xfc00, v35
	s_delay_alu instid0(VALU_DEP_1)
	v_or3_b32 v31, v6, v35, v31
.LBB296_1118:                           ;   in Loop: Header=BB296_998 Depth=1
	s_or_b32 exec_lo, exec_lo, s17
.LBB296_1119:                           ;   in Loop: Header=BB296_998 Depth=1
	s_delay_alu instid0(SALU_CYCLE_1)
	s_or_b32 exec_lo, exec_lo, s16
.LBB296_1120:                           ;   in Loop: Header=BB296_998 Depth=1
	s_delay_alu instid0(SALU_CYCLE_1)
	s_or_b32 exec_lo, exec_lo, s15
	v_cmp_lt_u64_e64 s0, s[2:3], v[32:33]
	v_mov_b32_e32 v32, 0
	s_and_saveexec_b32 s15, s0
	s_cbranch_execz .LBB296_1128
; %bb.1121:                             ;   in Loop: Header=BB296_998 Depth=1
	v_lshrrev_b32_e32 v6, 24, v33
	v_bfrev_b32_e32 v32, 1
	s_mov_b32 s16, exec_lo
	s_delay_alu instid0(VALU_DEP_2)
	v_cmpx_ne_u32_e32 0x80, v6
	s_cbranch_execz .LBB296_1127
; %bb.1122:                             ;   in Loop: Header=BB296_998 Depth=1
	v_and_b32_e32 v35, 0x7f, v6
	v_mov_b32_e32 v32, 0x7c010000
	s_mov_b32 s17, exec_lo
	s_delay_alu instid0(VALU_DEP_2)
	v_cmpx_ne_u32_e32 0x7f, v35
	s_cbranch_execz .LBB296_1126
; %bb.1123:                             ;   in Loop: Header=BB296_998 Depth=1
	v_dual_lshrrev_b32 v33, 3, v35 :: v_dual_bitop2_b32 v32, 7, v6 bitop3:0x40
	s_mov_b32 s18, exec_lo
	v_cmpx_gt_u32_e32 8, v35
; %bb.1124:                             ;   in Loop: Header=BB296_998 Depth=1
	s_delay_alu instid0(VALU_DEP_2) | instskip(NEXT) | instid1(VALU_DEP_1)
	v_clz_i32_u32_e32 v32, v32
	v_min_u32_e32 v35, 32, v32
	s_delay_alu instid0(VALU_DEP_1) | instskip(NEXT) | instid1(VALU_DEP_1)
	v_subrev_nc_u32_e32 v32, 28, v35
	v_lshlrev_b64_e32 v[32:33], v32, v[6:7]
	s_delay_alu instid0(VALU_DEP_1)
	v_dual_sub_nc_u32 v33, 29, v35 :: v_dual_bitop2_b32 v32, 7, v32 bitop3:0x40
; %bb.1125:                             ;   in Loop: Header=BB296_998 Depth=1
	s_or_b32 exec_lo, exec_lo, s18
	s_delay_alu instid0(VALU_DEP_1) | instskip(NEXT) | instid1(VALU_DEP_2)
	v_dual_lshlrev_b32 v6, 8, v6 :: v_dual_lshlrev_b32 v32, 23, v32
	v_lshl_add_u32 v33, v33, 10, 0x2000
	s_delay_alu instid0(VALU_DEP_1) | instskip(NEXT) | instid1(VALU_DEP_1)
	v_and_or_b32 v6, 0x8000, v6, v33
	v_lshl_or_b32 v32, v6, 16, v32
.LBB296_1126:                           ;   in Loop: Header=BB296_998 Depth=1
	s_or_b32 exec_lo, exec_lo, s17
.LBB296_1127:                           ;   in Loop: Header=BB296_998 Depth=1
	s_delay_alu instid0(SALU_CYCLE_1)
	s_or_b32 exec_lo, exec_lo, s16
.LBB296_1128:                           ;   in Loop: Header=BB296_998 Depth=1
	s_delay_alu instid0(SALU_CYCLE_1) | instskip(SKIP_4) | instid1(VALU_DEP_4)
	s_or_b32 exec_lo, exec_lo, s15
	v_dual_lshrrev_b32 v6, 16, v1 :: v_dual_lshrrev_b32 v33, 16, v19
	v_or_b32_e32 v1, v1, v18
	v_or_b32_e32 v22, v19, v22
	;; [unrolled: 1-line block ×3, first 2 shown]
	v_cvt_f32_f16_e32 v19, v6
	v_cvt_f32_f16_e32 v18, v33
	v_dual_lshrrev_b32 v31, 16, v34 :: v_dual_bitop2_b32 v6, v32, v31 bitop3:0x54
	v_lshrrev_b32_e32 v32, 16, v32
	v_cvt_f32_f16_e32 v23, v1
	s_delay_alu instid0(VALU_DEP_3) | instskip(SKIP_4) | instid1(VALU_DEP_3)
	v_cvt_f32_f16_e32 v34, v6
	s_wait_loadcnt_dscnt 0x0
	v_pk_mul_f32 v[18:19], v[30:31], v[18:19] op_sel_hi:[0,1]
	v_cvt_f32_f16_e32 v33, v31
	v_cvt_f32_f16_e32 v32, v32
	v_cvt_pk_f16_f32 v1, v18, v19
	s_delay_alu instid0(VALU_DEP_2) | instskip(NEXT) | instid1(VALU_DEP_2)
	v_pk_mul_f32 v[18:19], v[30:31], v[32:33] op_sel_hi:[0,1]
	v_lshlrev_b32_e32 v32, 16, v1
	v_cvt_f32_f16_e32 v22, v22
	v_and_b32_e32 v33, 0xffff0000, v1
	s_delay_alu instid0(VALU_DEP_4) | instskip(NEXT) | instid1(VALU_DEP_3)
	v_cvt_pk_f16_f32 v18, v18, v19
	v_pk_mul_f32 v[22:23], v[30:31], v[22:23] op_sel_hi:[0,1]
	s_delay_alu instid0(VALU_DEP_2) | instskip(NEXT) | instid1(VALU_DEP_2)
	v_and_b32_e32 v19, 0xffff0000, v18
	v_cvt_pk_f16_f32 v6, v22, v23
	s_delay_alu instid0(VALU_DEP_1) | instskip(SKIP_2) | instid1(VALU_DEP_3)
	v_lshrrev_b32_e32 v39, 16, v6
	v_cvt_f32_f16_e32 v35, v35
	v_and_b32_e32 v38, 0xffff, v6
	v_or_b32_e32 v37, v33, v39
	s_delay_alu instid0(VALU_DEP_3) | instskip(NEXT) | instid1(VALU_DEP_3)
	v_pk_mul_f32 v[30:31], v[30:31], v[34:35] op_sel_hi:[0,1]
	v_or_b32_e32 v36, v32, v38
	s_delay_alu instid0(VALU_DEP_2) | instskip(NEXT) | instid1(VALU_DEP_1)
	v_cvt_pk_f16_f32 v1, v30, v31
	v_dual_lshlrev_b32 v6, 16, v18 :: v_dual_lshrrev_b32 v31, 16, v1
	v_and_b32_e32 v30, 0xffff, v1
	s_delay_alu instid0(VALU_DEP_2) | instskip(NEXT) | instid1(VALU_DEP_2)
	v_or_b32_e32 v35, v19, v31
	v_or_b32_e32 v34, v6, v30
	s_and_saveexec_b32 s15, vcc_lo
	s_cbranch_execz .LBB296_1130
; %bb.1129:                             ;   in Loop: Header=BB296_998 Depth=1
	v_cmp_lt_i32_e64 s0, v53, v13
	s_delay_alu instid0(VALU_DEP_1) | instskip(SKIP_1) | instid1(VALU_DEP_1)
	v_cndmask_b32_e64 v1, 0, v39, s0
	v_cmp_lt_i32_e64 s0, v69, v58
	v_cndmask_b32_e64 v18, 0, v38, s0
	v_cmp_lt_i32_e64 s0, v68, v13
	s_delay_alu instid0(VALU_DEP_1) | instskip(SKIP_1) | instid1(VALU_DEP_1)
	v_cndmask_b32_e64 v22, 0, v33, s0
	v_cmp_lt_i32_e64 s0, v67, v58
	v_cndmask_b32_e64 v23, 0, v32, s0
	v_cmp_lt_i32_e64 s0, v66, v13
	s_delay_alu instid0(VALU_DEP_4) | instskip(NEXT) | instid1(VALU_DEP_3)
	v_or_b32_e32 v37, v1, v22
	v_or_b32_e32 v36, v18, v23
	s_delay_alu instid0(VALU_DEP_3) | instskip(SKIP_1) | instid1(VALU_DEP_1)
	v_cndmask_b32_e64 v31, 0, v31, s0
	v_cmp_lt_i32_e64 s0, v65, v58
	v_cndmask_b32_e64 v30, 0, v30, s0
	v_cmp_lt_i32_e64 s0, v64, v13
	s_delay_alu instid0(VALU_DEP_1) | instskip(SKIP_1) | instid1(VALU_DEP_1)
	v_cndmask_b32_e64 v19, 0, v19, s0
	v_cmp_lt_i32_e64 s0, v0, v58
	v_dual_cndmask_b32 v6, 0, v6, s0 :: v_dual_bitop2_b32 v35, v31, v19 bitop3:0x54
	s_delay_alu instid0(VALU_DEP_1)
	v_or_b32_e32 v34, v30, v6
.LBB296_1130:                           ;   in Loop: Header=BB296_998 Depth=1
	s_or_b32 exec_lo, exec_lo, s15
	;;#ASMSTART
	v_pk_mul_f16 v1, v81, v37;

	;;#ASMEND
	;;#ASMSTART
	v_pk_mul_f16 v6, v80, v36;

	;;#ASMEND
	;; [unrolled: 4-line block ×4, first 2 shown]
	;;#ASMSTART
	v_pk_add_f16 v1, v1, v6;

	;;#ASMEND
	;;#ASMSTART
	v_pk_add_f16 v1, v1, v18;

	;;#ASMEND
	;; [unrolled: 4-line block ×3, first 2 shown]
	v_and_b32_e32 v6, 0xffff, v1
	v_lshrrev_b32_e32 v1, 16, v1
	;;#ASMSTART
	v_cvt_f32_f16 v84, v6;
	;;#ASMEND
	;;#ASMSTART
	v_cvt_f32_f16 v85, v1;
	;;#ASMEND
	flat_load_b64 v[32:33], v[14:15] offset:512
	scratch_load_b64 v[18:19], off, s32 offset:192 ; 8-byte Folded Reload
	v_mov_b32_e32 v1, 0
	s_mov_b32 s15, exec_lo
	s_wait_loadcnt_dscnt 0x100
	v_and_b32_e32 v6, 0xff, v32
	s_wait_loadcnt 0x0
	flat_load_b32 v30, v[18:19]
	s_wait_xcnt 0x0
	v_mov_b32_e32 v18, 0
	v_cmpx_ne_u16_e32 0, v6
	s_cbranch_execz .LBB296_1138
; %bb.1131:                             ;   in Loop: Header=BB296_998 Depth=1
	v_mov_b32_e32 v18, 0x8000
	s_mov_b32 s16, exec_lo
	v_cmpx_ne_u16_e32 0x80, v6
	s_cbranch_execz .LBB296_1137
; %bb.1132:                             ;   in Loop: Header=BB296_998 Depth=1
	v_and_b32_e32 v19, 0x7f, v32
	v_mov_b32_e32 v18, 0x7c01
	s_mov_b32 s17, exec_lo
	s_delay_alu instid0(VALU_DEP_2)
	v_cmpx_ne_u32_e32 0x7f, v19
	s_cbranch_execz .LBB296_1136
; %bb.1133:                             ;   in Loop: Header=BB296_998 Depth=1
	v_dual_lshrrev_b32 v18, 3, v19 :: v_dual_bitop2_b32 v6, 7, v32 bitop3:0x40
	s_mov_b32 s18, exec_lo
	v_cmpx_gt_u32_e32 8, v19
; %bb.1134:                             ;   in Loop: Header=BB296_998 Depth=1
	s_delay_alu instid0(VALU_DEP_2) | instskip(NEXT) | instid1(VALU_DEP_1)
	v_clz_i32_u32_e32 v6, v6
	v_min_u32_e32 v6, 32, v6
	s_delay_alu instid0(VALU_DEP_1) | instskip(NEXT) | instid1(VALU_DEP_1)
	v_subrev_nc_u32_e32 v18, 28, v6
	v_lshlrev_b64_e32 v[22:23], v18, v[32:33]
	v_sub_nc_u32_e32 v18, 29, v6
	s_delay_alu instid0(VALU_DEP_2)
	v_and_b32_e32 v6, 7, v22
; %bb.1135:                             ;   in Loop: Header=BB296_998 Depth=1
	s_or_b32 exec_lo, exec_lo, s18
	s_delay_alu instid0(VALU_DEP_1) | instskip(NEXT) | instid1(VALU_DEP_3)
	v_dual_lshlrev_b32 v19, 8, v32 :: v_dual_lshlrev_b32 v6, 7, v6
	v_lshl_add_u32 v18, v18, 10, 0x2000
	s_delay_alu instid0(VALU_DEP_2) | instskip(NEXT) | instid1(VALU_DEP_2)
	v_and_b32_e32 v19, 0x8000, v19
	v_and_b32_e32 v18, 0xfc00, v18
	s_delay_alu instid0(VALU_DEP_1)
	v_or3_b32 v18, v19, v18, v6
.LBB296_1136:                           ;   in Loop: Header=BB296_998 Depth=1
	s_or_b32 exec_lo, exec_lo, s17
.LBB296_1137:                           ;   in Loop: Header=BB296_998 Depth=1
	s_delay_alu instid0(SALU_CYCLE_1)
	s_or_b32 exec_lo, exec_lo, s16
.LBB296_1138:                           ;   in Loop: Header=BB296_998 Depth=1
	s_delay_alu instid0(SALU_CYCLE_1) | instskip(SKIP_2) | instid1(VALU_DEP_1)
	s_or_b32 exec_lo, exec_lo, s15
	v_lshrrev_b16 v6, 8, v32
	s_mov_b32 s15, exec_lo
	v_cmpx_ne_u16_e32 0, v6
	s_cbranch_execz .LBB296_1146
; %bb.1139:                             ;   in Loop: Header=BB296_998 Depth=1
	v_bfrev_b32_e32 v1, 1
	s_mov_b32 s16, exec_lo
	v_cmpx_ne_u16_e32 0x80, v6
	s_cbranch_execz .LBB296_1145
; %bb.1140:                             ;   in Loop: Header=BB296_998 Depth=1
	v_and_b32_e32 v19, 0xffff, v6
	v_mov_b32_e32 v1, 0x7c010000
	s_mov_b32 s17, exec_lo
	s_delay_alu instid0(VALU_DEP_2) | instskip(NEXT) | instid1(VALU_DEP_1)
	v_and_b32_e32 v23, 0x7f, v19
	v_cmpx_ne_u32_e32 0x7f, v23
	s_cbranch_execz .LBB296_1144
; %bb.1141:                             ;   in Loop: Header=BB296_998 Depth=1
	v_and_b32_e32 v1, 7, v19
	v_lshrrev_b32_e32 v22, 3, v23
	s_mov_b32 s18, exec_lo
	v_cmpx_gt_u32_e32 8, v23
; %bb.1142:                             ;   in Loop: Header=BB296_998 Depth=1
	s_delay_alu instid0(VALU_DEP_3) | instskip(NEXT) | instid1(VALU_DEP_1)
	v_clz_i32_u32_e32 v1, v1
	v_min_u32_e32 v1, 32, v1
	s_delay_alu instid0(VALU_DEP_1) | instskip(NEXT) | instid1(VALU_DEP_1)
	v_subrev_nc_u32_e32 v22, 28, v1
	v_lshlrev_b64_e32 v[34:35], v22, v[6:7]
	s_delay_alu instid0(VALU_DEP_1)
	v_dual_sub_nc_u32 v22, 29, v1 :: v_dual_bitop2_b32 v1, 7, v34 bitop3:0x40
; %bb.1143:                             ;   in Loop: Header=BB296_998 Depth=1
	s_or_b32 exec_lo, exec_lo, s18
	s_delay_alu instid0(VALU_DEP_1) | instskip(NEXT) | instid1(VALU_DEP_2)
	v_dual_lshlrev_b32 v6, 8, v19 :: v_dual_lshlrev_b32 v1, 23, v1
	v_lshl_add_u32 v19, v22, 10, 0x2000
	s_delay_alu instid0(VALU_DEP_1) | instskip(NEXT) | instid1(VALU_DEP_1)
	v_and_or_b32 v6, 0x8000, v6, v19
	v_lshl_or_b32 v1, v6, 16, v1
.LBB296_1144:                           ;   in Loop: Header=BB296_998 Depth=1
	s_or_b32 exec_lo, exec_lo, s17
.LBB296_1145:                           ;   in Loop: Header=BB296_998 Depth=1
	s_delay_alu instid0(SALU_CYCLE_1)
	s_or_b32 exec_lo, exec_lo, s16
.LBB296_1146:                           ;   in Loop: Header=BB296_998 Depth=1
	s_delay_alu instid0(SALU_CYCLE_1) | instskip(SKIP_3) | instid1(VALU_DEP_2)
	s_or_b32 exec_lo, exec_lo, s15
	v_dual_mov_b32 v19, 0 :: v_dual_lshrrev_b32 v6, 16, v32
	v_mov_b32_e32 v22, 0
	s_mov_b32 s15, exec_lo
	v_and_b32_e32 v23, 0xff, v6
	s_delay_alu instid0(VALU_DEP_1)
	v_cmpx_ne_u16_e32 0, v23
	s_cbranch_execz .LBB296_1154
; %bb.1147:                             ;   in Loop: Header=BB296_998 Depth=1
	v_mov_b32_e32 v22, 0x8000
	s_mov_b32 s16, exec_lo
	v_cmpx_ne_u16_e32 0x80, v23
	s_cbranch_execz .LBB296_1153
; %bb.1148:                             ;   in Loop: Header=BB296_998 Depth=1
	v_bfe_u32 v31, v32, 16, 7
	v_mov_b32_e32 v22, 0x7c01
	s_mov_b32 s17, exec_lo
	s_delay_alu instid0(VALU_DEP_2)
	v_cmpx_ne_u32_e32 0x7f, v31
	s_cbranch_execz .LBB296_1152
; %bb.1149:                             ;   in Loop: Header=BB296_998 Depth=1
	v_dual_lshrrev_b32 v23, 3, v31 :: v_dual_bitop2_b32 v22, 7, v6 bitop3:0x40
	s_mov_b32 s18, exec_lo
	v_cmpx_gt_u32_e32 8, v31
; %bb.1150:                             ;   in Loop: Header=BB296_998 Depth=1
	s_delay_alu instid0(VALU_DEP_2) | instskip(NEXT) | instid1(VALU_DEP_1)
	v_clz_i32_u32_e32 v22, v22
	v_min_u32_e32 v31, 32, v22
	s_delay_alu instid0(VALU_DEP_1) | instskip(NEXT) | instid1(VALU_DEP_1)
	v_subrev_nc_u32_e32 v22, 28, v31
	v_lshlrev_b64_e32 v[22:23], v22, v[6:7]
	s_delay_alu instid0(VALU_DEP_1)
	v_dual_sub_nc_u32 v23, 29, v31 :: v_dual_bitop2_b32 v22, 7, v22 bitop3:0x40
; %bb.1151:                             ;   in Loop: Header=BB296_998 Depth=1
	s_or_b32 exec_lo, exec_lo, s18
	v_lshlrev_b32_e32 v6, 8, v6
	s_delay_alu instid0(VALU_DEP_2) | instskip(NEXT) | instid1(VALU_DEP_3)
	v_lshl_add_u32 v23, v23, 10, 0x2000
	v_lshlrev_b32_e32 v22, 7, v22
	s_delay_alu instid0(VALU_DEP_3) | instskip(NEXT) | instid1(VALU_DEP_3)
	v_and_b32_e32 v6, 0x8000, v6
	v_and_b32_e32 v23, 0xfc00, v23
	s_delay_alu instid0(VALU_DEP_1)
	v_or3_b32 v22, v6, v23, v22
.LBB296_1152:                           ;   in Loop: Header=BB296_998 Depth=1
	s_or_b32 exec_lo, exec_lo, s17
.LBB296_1153:                           ;   in Loop: Header=BB296_998 Depth=1
	s_delay_alu instid0(SALU_CYCLE_1)
	s_or_b32 exec_lo, exec_lo, s16
.LBB296_1154:                           ;   in Loop: Header=BB296_998 Depth=1
	s_delay_alu instid0(SALU_CYCLE_1) | instskip(NEXT) | instid1(SALU_CYCLE_1)
	s_or_b32 exec_lo, exec_lo, s15
	s_mov_b32 s15, exec_lo
	v_cmpx_lt_u32_e32 0xffffff, v32
	s_cbranch_execz .LBB296_1162
; %bb.1155:                             ;   in Loop: Header=BB296_998 Depth=1
	v_lshrrev_b32_e32 v6, 24, v32
	v_bfrev_b32_e32 v19, 1
	s_mov_b32 s16, exec_lo
	s_delay_alu instid0(VALU_DEP_2)
	v_cmpx_ne_u32_e32 0x80, v6
	s_cbranch_execz .LBB296_1161
; %bb.1156:                             ;   in Loop: Header=BB296_998 Depth=1
	v_and_b32_e32 v31, 0x7f, v6
	v_mov_b32_e32 v19, 0x7c010000
	s_mov_b32 s17, exec_lo
	s_delay_alu instid0(VALU_DEP_2)
	v_cmpx_ne_u32_e32 0x7f, v31
	s_cbranch_execz .LBB296_1160
; %bb.1157:                             ;   in Loop: Header=BB296_998 Depth=1
	v_dual_lshrrev_b32 v23, 3, v31 :: v_dual_bitop2_b32 v19, 7, v6 bitop3:0x40
	s_mov_b32 s18, exec_lo
	v_cmpx_gt_u32_e32 8, v31
; %bb.1158:                             ;   in Loop: Header=BB296_998 Depth=1
	s_delay_alu instid0(VALU_DEP_2) | instskip(NEXT) | instid1(VALU_DEP_1)
	v_clz_i32_u32_e32 v19, v19
	v_min_u32_e32 v19, 32, v19
	s_delay_alu instid0(VALU_DEP_1) | instskip(NEXT) | instid1(VALU_DEP_1)
	v_subrev_nc_u32_e32 v23, 28, v19
	v_lshlrev_b64_e32 v[34:35], v23, v[6:7]
	s_delay_alu instid0(VALU_DEP_1)
	v_dual_sub_nc_u32 v23, 29, v19 :: v_dual_bitop2_b32 v19, 7, v34 bitop3:0x40
; %bb.1159:                             ;   in Loop: Header=BB296_998 Depth=1
	s_or_b32 exec_lo, exec_lo, s18
	s_delay_alu instid0(VALU_DEP_1) | instskip(NEXT) | instid1(VALU_DEP_2)
	v_dual_lshlrev_b32 v6, 8, v6 :: v_dual_lshlrev_b32 v19, 23, v19
	v_lshl_add_u32 v23, v23, 10, 0x2000
	s_delay_alu instid0(VALU_DEP_1) | instskip(NEXT) | instid1(VALU_DEP_1)
	v_and_or_b32 v6, 0x8000, v6, v23
	v_lshl_or_b32 v19, v6, 16, v19
.LBB296_1160:                           ;   in Loop: Header=BB296_998 Depth=1
	s_or_b32 exec_lo, exec_lo, s17
.LBB296_1161:                           ;   in Loop: Header=BB296_998 Depth=1
	s_delay_alu instid0(SALU_CYCLE_1)
	s_or_b32 exec_lo, exec_lo, s16
.LBB296_1162:                           ;   in Loop: Header=BB296_998 Depth=1
	s_delay_alu instid0(SALU_CYCLE_1) | instskip(SKIP_4) | instid1(VALU_DEP_3)
	s_or_b32 exec_lo, exec_lo, s15
	v_and_b32_e32 v34, 0xff, v33
	v_dual_mov_b32 v6, v33 :: v_dual_mov_b32 v31, 0
	v_mov_b32_e32 v23, 0
	s_mov_b32 s15, exec_lo
	v_cmpx_ne_u16_e32 0, v34
	s_cbranch_execz .LBB296_1170
; %bb.1163:                             ;   in Loop: Header=BB296_998 Depth=1
	v_mov_b32_e32 v23, 0x8000
	s_mov_b32 s16, exec_lo
	v_cmpx_ne_u16_e32 0x80, v34
	s_cbranch_execz .LBB296_1169
; %bb.1164:                             ;   in Loop: Header=BB296_998 Depth=1
	v_and_b32_e32 v35, 0x7f, v33
	v_mov_b32_e32 v23, 0x7c01
	s_mov_b32 s17, exec_lo
	s_delay_alu instid0(VALU_DEP_2)
	v_cmpx_ne_u32_e32 0x7f, v35
	s_cbranch_execz .LBB296_1168
; %bb.1165:                             ;   in Loop: Header=BB296_998 Depth=1
	v_dual_lshrrev_b32 v34, 3, v35 :: v_dual_bitop2_b32 v23, 7, v33 bitop3:0x40
	s_mov_b32 s18, exec_lo
	v_cmpx_gt_u32_e32 8, v35
; %bb.1166:                             ;   in Loop: Header=BB296_998 Depth=1
	s_delay_alu instid0(VALU_DEP_2) | instskip(NEXT) | instid1(VALU_DEP_1)
	v_clz_i32_u32_e32 v23, v23
	v_min_u32_e32 v23, 32, v23
	s_delay_alu instid0(VALU_DEP_1) | instskip(NEXT) | instid1(VALU_DEP_1)
	v_subrev_nc_u32_e32 v34, 28, v23
	v_lshlrev_b64_e32 v[36:37], v34, v[6:7]
	s_delay_alu instid0(VALU_DEP_1)
	v_dual_sub_nc_u32 v34, 29, v23 :: v_dual_bitop2_b32 v23, 7, v36 bitop3:0x40
; %bb.1167:                             ;   in Loop: Header=BB296_998 Depth=1
	s_or_b32 exec_lo, exec_lo, s18
	s_delay_alu instid0(VALU_DEP_1) | instskip(NEXT) | instid1(VALU_DEP_2)
	v_dual_lshlrev_b32 v35, 8, v33 :: v_dual_lshlrev_b32 v23, 7, v23
	v_lshl_add_u32 v34, v34, 10, 0x2000
	s_delay_alu instid0(VALU_DEP_2) | instskip(NEXT) | instid1(VALU_DEP_2)
	v_and_b32_e32 v35, 0x8000, v35
	v_and_b32_e32 v34, 0xfc00, v34
	s_delay_alu instid0(VALU_DEP_1)
	v_or3_b32 v23, v35, v34, v23
.LBB296_1168:                           ;   in Loop: Header=BB296_998 Depth=1
	s_or_b32 exec_lo, exec_lo, s17
.LBB296_1169:                           ;   in Loop: Header=BB296_998 Depth=1
	s_delay_alu instid0(SALU_CYCLE_1)
	s_or_b32 exec_lo, exec_lo, s16
.LBB296_1170:                           ;   in Loop: Header=BB296_998 Depth=1
	s_delay_alu instid0(SALU_CYCLE_1) | instskip(SKIP_3) | instid1(VALU_DEP_2)
	s_or_b32 exec_lo, exec_lo, s15
	v_lshrrev_b16 v6, 8, v6
	v_mov_b32_e32 v34, 0
	s_mov_b32 s15, exec_lo
	v_cmpx_ne_u16_e32 0, v6
	s_cbranch_execz .LBB296_1178
; %bb.1171:                             ;   in Loop: Header=BB296_998 Depth=1
	v_bfrev_b32_e32 v34, 1
	s_mov_b32 s16, exec_lo
	v_cmpx_ne_u16_e32 0x80, v6
	s_cbranch_execz .LBB296_1177
; %bb.1172:                             ;   in Loop: Header=BB296_998 Depth=1
	v_and_b32_e32 v35, 0xffff, v6
	v_mov_b32_e32 v34, 0x7c010000
	s_mov_b32 s17, exec_lo
	s_delay_alu instid0(VALU_DEP_2) | instskip(NEXT) | instid1(VALU_DEP_1)
	v_and_b32_e32 v37, 0x7f, v35
	v_cmpx_ne_u32_e32 0x7f, v37
	s_cbranch_execz .LBB296_1176
; %bb.1173:                             ;   in Loop: Header=BB296_998 Depth=1
	v_dual_lshrrev_b32 v36, 3, v37 :: v_dual_bitop2_b32 v34, 7, v35 bitop3:0x40
	s_mov_b32 s18, exec_lo
	v_cmpx_gt_u32_e32 8, v37
; %bb.1174:                             ;   in Loop: Header=BB296_998 Depth=1
	s_delay_alu instid0(VALU_DEP_2) | instskip(NEXT) | instid1(VALU_DEP_1)
	v_clz_i32_u32_e32 v34, v34
	v_min_u32_e32 v34, 32, v34
	s_delay_alu instid0(VALU_DEP_1) | instskip(NEXT) | instid1(VALU_DEP_1)
	v_subrev_nc_u32_e32 v36, 28, v34
	v_lshlrev_b64_e32 v[38:39], v36, v[6:7]
	v_sub_nc_u32_e32 v36, 29, v34
	s_delay_alu instid0(VALU_DEP_2)
	v_and_b32_e32 v34, 7, v38
; %bb.1175:                             ;   in Loop: Header=BB296_998 Depth=1
	s_or_b32 exec_lo, exec_lo, s18
	s_delay_alu instid0(VALU_DEP_1) | instskip(NEXT) | instid1(VALU_DEP_3)
	v_dual_lshlrev_b32 v6, 8, v35 :: v_dual_lshlrev_b32 v34, 23, v34
	v_lshl_add_u32 v35, v36, 10, 0x2000
	s_delay_alu instid0(VALU_DEP_1) | instskip(NEXT) | instid1(VALU_DEP_1)
	v_and_or_b32 v6, 0x8000, v6, v35
	v_lshl_or_b32 v34, v6, 16, v34
.LBB296_1176:                           ;   in Loop: Header=BB296_998 Depth=1
	s_or_b32 exec_lo, exec_lo, s17
.LBB296_1177:                           ;   in Loop: Header=BB296_998 Depth=1
	s_delay_alu instid0(SALU_CYCLE_1)
	s_or_b32 exec_lo, exec_lo, s16
.LBB296_1178:                           ;   in Loop: Header=BB296_998 Depth=1
	s_delay_alu instid0(SALU_CYCLE_1) | instskip(SKIP_2) | instid1(VALU_DEP_1)
	s_or_b32 exec_lo, exec_lo, s15
	v_lshrrev_b32_e32 v6, 16, v33
	s_mov_b32 s15, exec_lo
	v_and_b32_e32 v35, 0xff, v6
	s_delay_alu instid0(VALU_DEP_1)
	v_cmpx_ne_u16_e32 0, v35
	s_cbranch_execz .LBB296_1186
; %bb.1179:                             ;   in Loop: Header=BB296_998 Depth=1
	v_mov_b32_e32 v31, 0x8000
	s_mov_b32 s16, exec_lo
	v_cmpx_ne_u16_e32 0x80, v35
	s_cbranch_execz .LBB296_1185
; %bb.1180:                             ;   in Loop: Header=BB296_998 Depth=1
	v_bfe_u32 v36, v33, 16, 7
	v_mov_b32_e32 v31, 0x7c01
	s_mov_b32 s17, exec_lo
	s_delay_alu instid0(VALU_DEP_2)
	v_cmpx_ne_u32_e32 0x7f, v36
	s_cbranch_execz .LBB296_1184
; %bb.1181:                             ;   in Loop: Header=BB296_998 Depth=1
	v_dual_lshrrev_b32 v35, 3, v36 :: v_dual_bitop2_b32 v31, 7, v6 bitop3:0x40
	s_mov_b32 s18, exec_lo
	v_cmpx_gt_u32_e32 8, v36
; %bb.1182:                             ;   in Loop: Header=BB296_998 Depth=1
	s_delay_alu instid0(VALU_DEP_2) | instskip(NEXT) | instid1(VALU_DEP_1)
	v_clz_i32_u32_e32 v31, v31
	v_min_u32_e32 v31, 32, v31
	s_delay_alu instid0(VALU_DEP_1) | instskip(NEXT) | instid1(VALU_DEP_1)
	v_subrev_nc_u32_e32 v35, 28, v31
	v_lshlrev_b64_e32 v[36:37], v35, v[6:7]
	s_delay_alu instid0(VALU_DEP_1)
	v_dual_sub_nc_u32 v35, 29, v31 :: v_dual_bitop2_b32 v31, 7, v36 bitop3:0x40
; %bb.1183:                             ;   in Loop: Header=BB296_998 Depth=1
	s_or_b32 exec_lo, exec_lo, s18
	s_delay_alu instid0(VALU_DEP_1) | instskip(NEXT) | instid1(VALU_DEP_2)
	v_dual_lshlrev_b32 v6, 8, v6 :: v_dual_lshlrev_b32 v31, 7, v31
	v_lshl_add_u32 v35, v35, 10, 0x2000
	s_delay_alu instid0(VALU_DEP_2) | instskip(NEXT) | instid1(VALU_DEP_2)
	v_and_b32_e32 v6, 0x8000, v6
	v_and_b32_e32 v35, 0xfc00, v35
	s_delay_alu instid0(VALU_DEP_1)
	v_or3_b32 v31, v6, v35, v31
.LBB296_1184:                           ;   in Loop: Header=BB296_998 Depth=1
	s_or_b32 exec_lo, exec_lo, s17
.LBB296_1185:                           ;   in Loop: Header=BB296_998 Depth=1
	s_delay_alu instid0(SALU_CYCLE_1)
	s_or_b32 exec_lo, exec_lo, s16
.LBB296_1186:                           ;   in Loop: Header=BB296_998 Depth=1
	s_delay_alu instid0(SALU_CYCLE_1)
	s_or_b32 exec_lo, exec_lo, s15
	v_cmp_lt_u64_e64 s0, s[2:3], v[32:33]
	v_mov_b32_e32 v32, 0
	s_and_saveexec_b32 s15, s0
	s_cbranch_execz .LBB296_1194
; %bb.1187:                             ;   in Loop: Header=BB296_998 Depth=1
	v_lshrrev_b32_e32 v6, 24, v33
	v_bfrev_b32_e32 v32, 1
	s_mov_b32 s16, exec_lo
	s_delay_alu instid0(VALU_DEP_2)
	v_cmpx_ne_u32_e32 0x80, v6
	s_cbranch_execz .LBB296_1193
; %bb.1188:                             ;   in Loop: Header=BB296_998 Depth=1
	v_and_b32_e32 v35, 0x7f, v6
	v_mov_b32_e32 v32, 0x7c010000
	s_mov_b32 s17, exec_lo
	s_delay_alu instid0(VALU_DEP_2)
	v_cmpx_ne_u32_e32 0x7f, v35
	s_cbranch_execz .LBB296_1192
; %bb.1189:                             ;   in Loop: Header=BB296_998 Depth=1
	v_dual_lshrrev_b32 v33, 3, v35 :: v_dual_bitop2_b32 v32, 7, v6 bitop3:0x40
	s_mov_b32 s18, exec_lo
	v_cmpx_gt_u32_e32 8, v35
; %bb.1190:                             ;   in Loop: Header=BB296_998 Depth=1
	s_delay_alu instid0(VALU_DEP_2) | instskip(NEXT) | instid1(VALU_DEP_1)
	v_clz_i32_u32_e32 v32, v32
	v_min_u32_e32 v35, 32, v32
	s_delay_alu instid0(VALU_DEP_1) | instskip(NEXT) | instid1(VALU_DEP_1)
	v_subrev_nc_u32_e32 v32, 28, v35
	v_lshlrev_b64_e32 v[32:33], v32, v[6:7]
	s_delay_alu instid0(VALU_DEP_1)
	v_dual_sub_nc_u32 v33, 29, v35 :: v_dual_bitop2_b32 v32, 7, v32 bitop3:0x40
; %bb.1191:                             ;   in Loop: Header=BB296_998 Depth=1
	s_or_b32 exec_lo, exec_lo, s18
	s_delay_alu instid0(VALU_DEP_1) | instskip(NEXT) | instid1(VALU_DEP_2)
	v_dual_lshlrev_b32 v6, 8, v6 :: v_dual_lshlrev_b32 v32, 23, v32
	v_lshl_add_u32 v33, v33, 10, 0x2000
	s_delay_alu instid0(VALU_DEP_1) | instskip(NEXT) | instid1(VALU_DEP_1)
	v_and_or_b32 v6, 0x8000, v6, v33
	v_lshl_or_b32 v32, v6, 16, v32
.LBB296_1192:                           ;   in Loop: Header=BB296_998 Depth=1
	s_or_b32 exec_lo, exec_lo, s17
.LBB296_1193:                           ;   in Loop: Header=BB296_998 Depth=1
	s_delay_alu instid0(SALU_CYCLE_1)
	s_or_b32 exec_lo, exec_lo, s16
.LBB296_1194:                           ;   in Loop: Header=BB296_998 Depth=1
	s_delay_alu instid0(SALU_CYCLE_1) | instskip(SKIP_4) | instid1(VALU_DEP_4)
	s_or_b32 exec_lo, exec_lo, s15
	v_dual_lshrrev_b32 v6, 16, v1 :: v_dual_lshrrev_b32 v33, 16, v19
	v_or_b32_e32 v1, v1, v18
	v_or_b32_e32 v22, v19, v22
	;; [unrolled: 1-line block ×3, first 2 shown]
	v_cvt_f32_f16_e32 v19, v6
	v_cvt_f32_f16_e32 v18, v33
	v_dual_lshrrev_b32 v31, 16, v34 :: v_dual_bitop2_b32 v6, v32, v31 bitop3:0x54
	v_lshrrev_b32_e32 v32, 16, v32
	v_cvt_f32_f16_e32 v23, v1
	s_delay_alu instid0(VALU_DEP_3) | instskip(SKIP_4) | instid1(VALU_DEP_3)
	v_cvt_f32_f16_e32 v34, v6
	s_wait_loadcnt_dscnt 0x0
	v_pk_mul_f32 v[18:19], v[30:31], v[18:19] op_sel_hi:[0,1]
	v_cvt_f32_f16_e32 v33, v31
	v_cvt_f32_f16_e32 v32, v32
	v_cvt_pk_f16_f32 v1, v18, v19
	s_delay_alu instid0(VALU_DEP_2) | instskip(NEXT) | instid1(VALU_DEP_2)
	v_pk_mul_f32 v[18:19], v[30:31], v[32:33] op_sel_hi:[0,1]
	v_lshlrev_b32_e32 v32, 16, v1
	v_cvt_f32_f16_e32 v22, v22
	v_and_b32_e32 v33, 0xffff0000, v1
	s_delay_alu instid0(VALU_DEP_4) | instskip(NEXT) | instid1(VALU_DEP_3)
	v_cvt_pk_f16_f32 v18, v18, v19
	v_pk_mul_f32 v[22:23], v[30:31], v[22:23] op_sel_hi:[0,1]
	s_delay_alu instid0(VALU_DEP_2) | instskip(NEXT) | instid1(VALU_DEP_2)
	v_and_b32_e32 v19, 0xffff0000, v18
	v_cvt_pk_f16_f32 v6, v22, v23
	s_delay_alu instid0(VALU_DEP_1) | instskip(SKIP_2) | instid1(VALU_DEP_3)
	v_lshrrev_b32_e32 v39, 16, v6
	v_cvt_f32_f16_e32 v35, v35
	v_and_b32_e32 v38, 0xffff, v6
	v_or_b32_e32 v37, v33, v39
	s_delay_alu instid0(VALU_DEP_3) | instskip(NEXT) | instid1(VALU_DEP_3)
	v_pk_mul_f32 v[30:31], v[30:31], v[34:35] op_sel_hi:[0,1]
	v_or_b32_e32 v36, v32, v38
	s_delay_alu instid0(VALU_DEP_2) | instskip(NEXT) | instid1(VALU_DEP_1)
	v_cvt_pk_f16_f32 v1, v30, v31
	v_dual_lshlrev_b32 v6, 16, v18 :: v_dual_lshrrev_b32 v31, 16, v1
	v_and_b32_e32 v30, 0xffff, v1
	s_delay_alu instid0(VALU_DEP_2) | instskip(NEXT) | instid1(VALU_DEP_2)
	v_or_b32_e32 v35, v19, v31
	v_or_b32_e32 v34, v6, v30
	s_and_saveexec_b32 s15, vcc_lo
	s_cbranch_execz .LBB296_1196
; %bb.1195:                             ;   in Loop: Header=BB296_998 Depth=1
	v_cmp_lt_i32_e64 s0, v53, v13
	s_delay_alu instid0(VALU_DEP_1) | instskip(SKIP_1) | instid1(VALU_DEP_1)
	v_cndmask_b32_e64 v1, 0, v39, s0
	v_cmp_lt_i32_e64 s0, v69, v58
	v_cndmask_b32_e64 v18, 0, v38, s0
	v_cmp_lt_i32_e64 s0, v68, v13
	s_delay_alu instid0(VALU_DEP_1) | instskip(SKIP_1) | instid1(VALU_DEP_1)
	v_cndmask_b32_e64 v22, 0, v33, s0
	v_cmp_lt_i32_e64 s0, v67, v58
	v_cndmask_b32_e64 v23, 0, v32, s0
	v_cmp_lt_i32_e64 s0, v66, v13
	s_delay_alu instid0(VALU_DEP_4) | instskip(NEXT) | instid1(VALU_DEP_3)
	v_or_b32_e32 v37, v1, v22
	v_or_b32_e32 v36, v18, v23
	s_delay_alu instid0(VALU_DEP_3) | instskip(SKIP_1) | instid1(VALU_DEP_1)
	v_cndmask_b32_e64 v31, 0, v31, s0
	v_cmp_lt_i32_e64 s0, v65, v58
	v_cndmask_b32_e64 v30, 0, v30, s0
	v_cmp_lt_i32_e64 s0, v64, v13
	s_delay_alu instid0(VALU_DEP_1) | instskip(SKIP_1) | instid1(VALU_DEP_1)
	v_cndmask_b32_e64 v19, 0, v19, s0
	v_cmp_lt_i32_e64 s0, v0, v58
	v_dual_cndmask_b32 v6, 0, v6, s0 :: v_dual_bitop2_b32 v35, v31, v19 bitop3:0x54
	s_delay_alu instid0(VALU_DEP_1)
	v_or_b32_e32 v34, v30, v6
.LBB296_1196:                           ;   in Loop: Header=BB296_998 Depth=1
	s_or_b32 exec_lo, exec_lo, s15
	;;#ASMSTART
	v_pk_mul_f16 v1, v81, v37;

	;;#ASMEND
	;;#ASMSTART
	v_pk_mul_f16 v6, v80, v36;

	;;#ASMEND
	;; [unrolled: 4-line block ×4, first 2 shown]
	;;#ASMSTART
	v_pk_add_f16 v1, v1, v6;

	;;#ASMEND
	;;#ASMSTART
	v_pk_add_f16 v1, v1, v18;

	;;#ASMEND
	;; [unrolled: 4-line block ×3, first 2 shown]
	v_and_b32_e32 v6, 0xffff, v1
	v_lshrrev_b32_e32 v1, 16, v1
	;;#ASMSTART
	v_cvt_f32_f16 v86, v6;
	;;#ASMEND
	;;#ASMSTART
	v_cvt_f32_f16 v87, v1;
	;;#ASMEND
	flat_load_b64 v[32:33], v[14:15] offset:768
	scratch_load_b64 v[18:19], off, s32 offset:192 ; 8-byte Folded Reload
	v_mov_b32_e32 v1, 0
	s_mov_b32 s15, exec_lo
	s_wait_loadcnt_dscnt 0x100
	v_and_b32_e32 v6, 0xff, v32
	s_wait_loadcnt 0x0
	flat_load_b32 v30, v[18:19]
	s_wait_xcnt 0x0
	v_mov_b32_e32 v18, 0
	v_cmpx_ne_u16_e32 0, v6
	s_cbranch_execz .LBB296_1204
; %bb.1197:                             ;   in Loop: Header=BB296_998 Depth=1
	v_mov_b32_e32 v18, 0x8000
	s_mov_b32 s16, exec_lo
	v_cmpx_ne_u16_e32 0x80, v6
	s_cbranch_execz .LBB296_1203
; %bb.1198:                             ;   in Loop: Header=BB296_998 Depth=1
	v_and_b32_e32 v19, 0x7f, v32
	v_mov_b32_e32 v18, 0x7c01
	s_mov_b32 s17, exec_lo
	s_delay_alu instid0(VALU_DEP_2)
	v_cmpx_ne_u32_e32 0x7f, v19
	s_cbranch_execz .LBB296_1202
; %bb.1199:                             ;   in Loop: Header=BB296_998 Depth=1
	v_dual_lshrrev_b32 v18, 3, v19 :: v_dual_bitop2_b32 v6, 7, v32 bitop3:0x40
	s_mov_b32 s18, exec_lo
	v_cmpx_gt_u32_e32 8, v19
; %bb.1200:                             ;   in Loop: Header=BB296_998 Depth=1
	s_delay_alu instid0(VALU_DEP_2) | instskip(NEXT) | instid1(VALU_DEP_1)
	v_clz_i32_u32_e32 v6, v6
	v_min_u32_e32 v6, 32, v6
	s_delay_alu instid0(VALU_DEP_1) | instskip(NEXT) | instid1(VALU_DEP_1)
	v_subrev_nc_u32_e32 v18, 28, v6
	v_lshlrev_b64_e32 v[22:23], v18, v[32:33]
	v_sub_nc_u32_e32 v18, 29, v6
	s_delay_alu instid0(VALU_DEP_2)
	v_and_b32_e32 v6, 7, v22
; %bb.1201:                             ;   in Loop: Header=BB296_998 Depth=1
	s_or_b32 exec_lo, exec_lo, s18
	s_delay_alu instid0(VALU_DEP_1) | instskip(NEXT) | instid1(VALU_DEP_3)
	v_dual_lshlrev_b32 v19, 8, v32 :: v_dual_lshlrev_b32 v6, 7, v6
	v_lshl_add_u32 v18, v18, 10, 0x2000
	s_delay_alu instid0(VALU_DEP_2) | instskip(NEXT) | instid1(VALU_DEP_2)
	v_and_b32_e32 v19, 0x8000, v19
	v_and_b32_e32 v18, 0xfc00, v18
	s_delay_alu instid0(VALU_DEP_1)
	v_or3_b32 v18, v19, v18, v6
.LBB296_1202:                           ;   in Loop: Header=BB296_998 Depth=1
	s_or_b32 exec_lo, exec_lo, s17
.LBB296_1203:                           ;   in Loop: Header=BB296_998 Depth=1
	s_delay_alu instid0(SALU_CYCLE_1)
	s_or_b32 exec_lo, exec_lo, s16
.LBB296_1204:                           ;   in Loop: Header=BB296_998 Depth=1
	s_delay_alu instid0(SALU_CYCLE_1) | instskip(SKIP_2) | instid1(VALU_DEP_1)
	s_or_b32 exec_lo, exec_lo, s15
	v_lshrrev_b16 v6, 8, v32
	s_mov_b32 s15, exec_lo
	v_cmpx_ne_u16_e32 0, v6
	s_cbranch_execz .LBB296_1212
; %bb.1205:                             ;   in Loop: Header=BB296_998 Depth=1
	v_bfrev_b32_e32 v1, 1
	s_mov_b32 s16, exec_lo
	v_cmpx_ne_u16_e32 0x80, v6
	s_cbranch_execz .LBB296_1211
; %bb.1206:                             ;   in Loop: Header=BB296_998 Depth=1
	v_and_b32_e32 v19, 0xffff, v6
	v_mov_b32_e32 v1, 0x7c010000
	s_mov_b32 s17, exec_lo
	s_delay_alu instid0(VALU_DEP_2) | instskip(NEXT) | instid1(VALU_DEP_1)
	v_and_b32_e32 v23, 0x7f, v19
	v_cmpx_ne_u32_e32 0x7f, v23
	s_cbranch_execz .LBB296_1210
; %bb.1207:                             ;   in Loop: Header=BB296_998 Depth=1
	v_and_b32_e32 v1, 7, v19
	v_lshrrev_b32_e32 v22, 3, v23
	s_mov_b32 s18, exec_lo
	v_cmpx_gt_u32_e32 8, v23
; %bb.1208:                             ;   in Loop: Header=BB296_998 Depth=1
	s_delay_alu instid0(VALU_DEP_3) | instskip(NEXT) | instid1(VALU_DEP_1)
	v_clz_i32_u32_e32 v1, v1
	v_min_u32_e32 v1, 32, v1
	s_delay_alu instid0(VALU_DEP_1) | instskip(NEXT) | instid1(VALU_DEP_1)
	v_subrev_nc_u32_e32 v22, 28, v1
	v_lshlrev_b64_e32 v[34:35], v22, v[6:7]
	s_delay_alu instid0(VALU_DEP_1)
	v_dual_sub_nc_u32 v22, 29, v1 :: v_dual_bitop2_b32 v1, 7, v34 bitop3:0x40
; %bb.1209:                             ;   in Loop: Header=BB296_998 Depth=1
	s_or_b32 exec_lo, exec_lo, s18
	s_delay_alu instid0(VALU_DEP_1) | instskip(NEXT) | instid1(VALU_DEP_2)
	v_dual_lshlrev_b32 v6, 8, v19 :: v_dual_lshlrev_b32 v1, 23, v1
	v_lshl_add_u32 v19, v22, 10, 0x2000
	s_delay_alu instid0(VALU_DEP_1) | instskip(NEXT) | instid1(VALU_DEP_1)
	v_and_or_b32 v6, 0x8000, v6, v19
	v_lshl_or_b32 v1, v6, 16, v1
.LBB296_1210:                           ;   in Loop: Header=BB296_998 Depth=1
	s_or_b32 exec_lo, exec_lo, s17
.LBB296_1211:                           ;   in Loop: Header=BB296_998 Depth=1
	s_delay_alu instid0(SALU_CYCLE_1)
	s_or_b32 exec_lo, exec_lo, s16
.LBB296_1212:                           ;   in Loop: Header=BB296_998 Depth=1
	s_delay_alu instid0(SALU_CYCLE_1) | instskip(SKIP_3) | instid1(VALU_DEP_2)
	s_or_b32 exec_lo, exec_lo, s15
	v_dual_mov_b32 v19, 0 :: v_dual_lshrrev_b32 v6, 16, v32
	v_mov_b32_e32 v22, 0
	s_mov_b32 s15, exec_lo
	v_and_b32_e32 v23, 0xff, v6
	s_delay_alu instid0(VALU_DEP_1)
	v_cmpx_ne_u16_e32 0, v23
	s_cbranch_execz .LBB296_1220
; %bb.1213:                             ;   in Loop: Header=BB296_998 Depth=1
	v_mov_b32_e32 v22, 0x8000
	s_mov_b32 s16, exec_lo
	v_cmpx_ne_u16_e32 0x80, v23
	s_cbranch_execz .LBB296_1219
; %bb.1214:                             ;   in Loop: Header=BB296_998 Depth=1
	v_bfe_u32 v31, v32, 16, 7
	v_mov_b32_e32 v22, 0x7c01
	s_mov_b32 s17, exec_lo
	s_delay_alu instid0(VALU_DEP_2)
	v_cmpx_ne_u32_e32 0x7f, v31
	s_cbranch_execz .LBB296_1218
; %bb.1215:                             ;   in Loop: Header=BB296_998 Depth=1
	v_dual_lshrrev_b32 v23, 3, v31 :: v_dual_bitop2_b32 v22, 7, v6 bitop3:0x40
	s_mov_b32 s18, exec_lo
	v_cmpx_gt_u32_e32 8, v31
; %bb.1216:                             ;   in Loop: Header=BB296_998 Depth=1
	s_delay_alu instid0(VALU_DEP_2) | instskip(NEXT) | instid1(VALU_DEP_1)
	v_clz_i32_u32_e32 v22, v22
	v_min_u32_e32 v31, 32, v22
	s_delay_alu instid0(VALU_DEP_1) | instskip(NEXT) | instid1(VALU_DEP_1)
	v_subrev_nc_u32_e32 v22, 28, v31
	v_lshlrev_b64_e32 v[22:23], v22, v[6:7]
	s_delay_alu instid0(VALU_DEP_1)
	v_dual_sub_nc_u32 v23, 29, v31 :: v_dual_bitop2_b32 v22, 7, v22 bitop3:0x40
; %bb.1217:                             ;   in Loop: Header=BB296_998 Depth=1
	s_or_b32 exec_lo, exec_lo, s18
	v_lshlrev_b32_e32 v6, 8, v6
	s_delay_alu instid0(VALU_DEP_2) | instskip(NEXT) | instid1(VALU_DEP_3)
	v_lshl_add_u32 v23, v23, 10, 0x2000
	v_lshlrev_b32_e32 v22, 7, v22
	s_delay_alu instid0(VALU_DEP_3) | instskip(NEXT) | instid1(VALU_DEP_3)
	v_and_b32_e32 v6, 0x8000, v6
	v_and_b32_e32 v23, 0xfc00, v23
	s_delay_alu instid0(VALU_DEP_1)
	v_or3_b32 v22, v6, v23, v22
.LBB296_1218:                           ;   in Loop: Header=BB296_998 Depth=1
	s_or_b32 exec_lo, exec_lo, s17
.LBB296_1219:                           ;   in Loop: Header=BB296_998 Depth=1
	s_delay_alu instid0(SALU_CYCLE_1)
	s_or_b32 exec_lo, exec_lo, s16
.LBB296_1220:                           ;   in Loop: Header=BB296_998 Depth=1
	s_delay_alu instid0(SALU_CYCLE_1) | instskip(NEXT) | instid1(SALU_CYCLE_1)
	s_or_b32 exec_lo, exec_lo, s15
	s_mov_b32 s15, exec_lo
	v_cmpx_lt_u32_e32 0xffffff, v32
	s_cbranch_execz .LBB296_1228
; %bb.1221:                             ;   in Loop: Header=BB296_998 Depth=1
	v_lshrrev_b32_e32 v6, 24, v32
	v_bfrev_b32_e32 v19, 1
	s_mov_b32 s16, exec_lo
	s_delay_alu instid0(VALU_DEP_2)
	v_cmpx_ne_u32_e32 0x80, v6
	s_cbranch_execz .LBB296_1227
; %bb.1222:                             ;   in Loop: Header=BB296_998 Depth=1
	v_and_b32_e32 v31, 0x7f, v6
	v_mov_b32_e32 v19, 0x7c010000
	s_mov_b32 s17, exec_lo
	s_delay_alu instid0(VALU_DEP_2)
	v_cmpx_ne_u32_e32 0x7f, v31
	s_cbranch_execz .LBB296_1226
; %bb.1223:                             ;   in Loop: Header=BB296_998 Depth=1
	v_dual_lshrrev_b32 v23, 3, v31 :: v_dual_bitop2_b32 v19, 7, v6 bitop3:0x40
	s_mov_b32 s18, exec_lo
	v_cmpx_gt_u32_e32 8, v31
; %bb.1224:                             ;   in Loop: Header=BB296_998 Depth=1
	s_delay_alu instid0(VALU_DEP_2) | instskip(NEXT) | instid1(VALU_DEP_1)
	v_clz_i32_u32_e32 v19, v19
	v_min_u32_e32 v19, 32, v19
	s_delay_alu instid0(VALU_DEP_1) | instskip(NEXT) | instid1(VALU_DEP_1)
	v_subrev_nc_u32_e32 v23, 28, v19
	v_lshlrev_b64_e32 v[34:35], v23, v[6:7]
	s_delay_alu instid0(VALU_DEP_1)
	v_dual_sub_nc_u32 v23, 29, v19 :: v_dual_bitop2_b32 v19, 7, v34 bitop3:0x40
; %bb.1225:                             ;   in Loop: Header=BB296_998 Depth=1
	s_or_b32 exec_lo, exec_lo, s18
	s_delay_alu instid0(VALU_DEP_1) | instskip(NEXT) | instid1(VALU_DEP_2)
	v_dual_lshlrev_b32 v6, 8, v6 :: v_dual_lshlrev_b32 v19, 23, v19
	v_lshl_add_u32 v23, v23, 10, 0x2000
	s_delay_alu instid0(VALU_DEP_1) | instskip(NEXT) | instid1(VALU_DEP_1)
	v_and_or_b32 v6, 0x8000, v6, v23
	v_lshl_or_b32 v19, v6, 16, v19
.LBB296_1226:                           ;   in Loop: Header=BB296_998 Depth=1
	s_or_b32 exec_lo, exec_lo, s17
.LBB296_1227:                           ;   in Loop: Header=BB296_998 Depth=1
	s_delay_alu instid0(SALU_CYCLE_1)
	s_or_b32 exec_lo, exec_lo, s16
.LBB296_1228:                           ;   in Loop: Header=BB296_998 Depth=1
	s_delay_alu instid0(SALU_CYCLE_1) | instskip(SKIP_4) | instid1(VALU_DEP_3)
	s_or_b32 exec_lo, exec_lo, s15
	v_and_b32_e32 v34, 0xff, v33
	v_dual_mov_b32 v6, v33 :: v_dual_mov_b32 v31, 0
	v_mov_b32_e32 v23, 0
	s_mov_b32 s15, exec_lo
	v_cmpx_ne_u16_e32 0, v34
	s_cbranch_execz .LBB296_1236
; %bb.1229:                             ;   in Loop: Header=BB296_998 Depth=1
	v_mov_b32_e32 v23, 0x8000
	s_mov_b32 s16, exec_lo
	v_cmpx_ne_u16_e32 0x80, v34
	s_cbranch_execz .LBB296_1235
; %bb.1230:                             ;   in Loop: Header=BB296_998 Depth=1
	v_and_b32_e32 v35, 0x7f, v33
	v_mov_b32_e32 v23, 0x7c01
	s_mov_b32 s17, exec_lo
	s_delay_alu instid0(VALU_DEP_2)
	v_cmpx_ne_u32_e32 0x7f, v35
	s_cbranch_execz .LBB296_1234
; %bb.1231:                             ;   in Loop: Header=BB296_998 Depth=1
	v_dual_lshrrev_b32 v34, 3, v35 :: v_dual_bitop2_b32 v23, 7, v33 bitop3:0x40
	s_mov_b32 s18, exec_lo
	v_cmpx_gt_u32_e32 8, v35
; %bb.1232:                             ;   in Loop: Header=BB296_998 Depth=1
	s_delay_alu instid0(VALU_DEP_2) | instskip(NEXT) | instid1(VALU_DEP_1)
	v_clz_i32_u32_e32 v23, v23
	v_min_u32_e32 v23, 32, v23
	s_delay_alu instid0(VALU_DEP_1) | instskip(NEXT) | instid1(VALU_DEP_1)
	v_subrev_nc_u32_e32 v34, 28, v23
	v_lshlrev_b64_e32 v[36:37], v34, v[6:7]
	s_delay_alu instid0(VALU_DEP_1)
	v_dual_sub_nc_u32 v34, 29, v23 :: v_dual_bitop2_b32 v23, 7, v36 bitop3:0x40
; %bb.1233:                             ;   in Loop: Header=BB296_998 Depth=1
	s_or_b32 exec_lo, exec_lo, s18
	s_delay_alu instid0(VALU_DEP_1) | instskip(NEXT) | instid1(VALU_DEP_2)
	v_dual_lshlrev_b32 v35, 8, v33 :: v_dual_lshlrev_b32 v23, 7, v23
	v_lshl_add_u32 v34, v34, 10, 0x2000
	s_delay_alu instid0(VALU_DEP_2) | instskip(NEXT) | instid1(VALU_DEP_2)
	v_and_b32_e32 v35, 0x8000, v35
	v_and_b32_e32 v34, 0xfc00, v34
	s_delay_alu instid0(VALU_DEP_1)
	v_or3_b32 v23, v35, v34, v23
.LBB296_1234:                           ;   in Loop: Header=BB296_998 Depth=1
	s_or_b32 exec_lo, exec_lo, s17
.LBB296_1235:                           ;   in Loop: Header=BB296_998 Depth=1
	s_delay_alu instid0(SALU_CYCLE_1)
	s_or_b32 exec_lo, exec_lo, s16
.LBB296_1236:                           ;   in Loop: Header=BB296_998 Depth=1
	s_delay_alu instid0(SALU_CYCLE_1) | instskip(SKIP_3) | instid1(VALU_DEP_2)
	s_or_b32 exec_lo, exec_lo, s15
	v_lshrrev_b16 v6, 8, v6
	v_mov_b32_e32 v34, 0
	s_mov_b32 s15, exec_lo
	v_cmpx_ne_u16_e32 0, v6
	s_cbranch_execz .LBB296_1244
; %bb.1237:                             ;   in Loop: Header=BB296_998 Depth=1
	v_bfrev_b32_e32 v34, 1
	s_mov_b32 s16, exec_lo
	v_cmpx_ne_u16_e32 0x80, v6
	s_cbranch_execz .LBB296_1243
; %bb.1238:                             ;   in Loop: Header=BB296_998 Depth=1
	v_and_b32_e32 v35, 0xffff, v6
	v_mov_b32_e32 v34, 0x7c010000
	s_mov_b32 s17, exec_lo
	s_delay_alu instid0(VALU_DEP_2) | instskip(NEXT) | instid1(VALU_DEP_1)
	v_and_b32_e32 v37, 0x7f, v35
	v_cmpx_ne_u32_e32 0x7f, v37
	s_cbranch_execz .LBB296_1242
; %bb.1239:                             ;   in Loop: Header=BB296_998 Depth=1
	v_dual_lshrrev_b32 v36, 3, v37 :: v_dual_bitop2_b32 v34, 7, v35 bitop3:0x40
	s_mov_b32 s18, exec_lo
	v_cmpx_gt_u32_e32 8, v37
; %bb.1240:                             ;   in Loop: Header=BB296_998 Depth=1
	s_delay_alu instid0(VALU_DEP_2) | instskip(NEXT) | instid1(VALU_DEP_1)
	v_clz_i32_u32_e32 v34, v34
	v_min_u32_e32 v34, 32, v34
	s_delay_alu instid0(VALU_DEP_1) | instskip(NEXT) | instid1(VALU_DEP_1)
	v_subrev_nc_u32_e32 v36, 28, v34
	v_lshlrev_b64_e32 v[38:39], v36, v[6:7]
	v_sub_nc_u32_e32 v36, 29, v34
	s_delay_alu instid0(VALU_DEP_2)
	v_and_b32_e32 v34, 7, v38
; %bb.1241:                             ;   in Loop: Header=BB296_998 Depth=1
	s_or_b32 exec_lo, exec_lo, s18
	s_delay_alu instid0(VALU_DEP_1) | instskip(NEXT) | instid1(VALU_DEP_3)
	v_dual_lshlrev_b32 v6, 8, v35 :: v_dual_lshlrev_b32 v34, 23, v34
	v_lshl_add_u32 v35, v36, 10, 0x2000
	s_delay_alu instid0(VALU_DEP_1) | instskip(NEXT) | instid1(VALU_DEP_1)
	v_and_or_b32 v6, 0x8000, v6, v35
	v_lshl_or_b32 v34, v6, 16, v34
.LBB296_1242:                           ;   in Loop: Header=BB296_998 Depth=1
	s_or_b32 exec_lo, exec_lo, s17
.LBB296_1243:                           ;   in Loop: Header=BB296_998 Depth=1
	s_delay_alu instid0(SALU_CYCLE_1)
	s_or_b32 exec_lo, exec_lo, s16
.LBB296_1244:                           ;   in Loop: Header=BB296_998 Depth=1
	s_delay_alu instid0(SALU_CYCLE_1) | instskip(SKIP_2) | instid1(VALU_DEP_1)
	s_or_b32 exec_lo, exec_lo, s15
	v_lshrrev_b32_e32 v6, 16, v33
	s_mov_b32 s15, exec_lo
	v_and_b32_e32 v35, 0xff, v6
	s_delay_alu instid0(VALU_DEP_1)
	v_cmpx_ne_u16_e32 0, v35
	s_cbranch_execz .LBB296_1252
; %bb.1245:                             ;   in Loop: Header=BB296_998 Depth=1
	v_mov_b32_e32 v31, 0x8000
	s_mov_b32 s16, exec_lo
	v_cmpx_ne_u16_e32 0x80, v35
	s_cbranch_execz .LBB296_1251
; %bb.1246:                             ;   in Loop: Header=BB296_998 Depth=1
	v_bfe_u32 v36, v33, 16, 7
	v_mov_b32_e32 v31, 0x7c01
	s_mov_b32 s17, exec_lo
	s_delay_alu instid0(VALU_DEP_2)
	v_cmpx_ne_u32_e32 0x7f, v36
	s_cbranch_execz .LBB296_1250
; %bb.1247:                             ;   in Loop: Header=BB296_998 Depth=1
	v_dual_lshrrev_b32 v35, 3, v36 :: v_dual_bitop2_b32 v31, 7, v6 bitop3:0x40
	s_mov_b32 s18, exec_lo
	v_cmpx_gt_u32_e32 8, v36
; %bb.1248:                             ;   in Loop: Header=BB296_998 Depth=1
	s_delay_alu instid0(VALU_DEP_2) | instskip(NEXT) | instid1(VALU_DEP_1)
	v_clz_i32_u32_e32 v31, v31
	v_min_u32_e32 v31, 32, v31
	s_delay_alu instid0(VALU_DEP_1) | instskip(NEXT) | instid1(VALU_DEP_1)
	v_subrev_nc_u32_e32 v35, 28, v31
	v_lshlrev_b64_e32 v[36:37], v35, v[6:7]
	s_delay_alu instid0(VALU_DEP_1)
	v_dual_sub_nc_u32 v35, 29, v31 :: v_dual_bitop2_b32 v31, 7, v36 bitop3:0x40
; %bb.1249:                             ;   in Loop: Header=BB296_998 Depth=1
	s_or_b32 exec_lo, exec_lo, s18
	s_delay_alu instid0(VALU_DEP_1) | instskip(NEXT) | instid1(VALU_DEP_2)
	v_dual_lshlrev_b32 v6, 8, v6 :: v_dual_lshlrev_b32 v31, 7, v31
	v_lshl_add_u32 v35, v35, 10, 0x2000
	s_delay_alu instid0(VALU_DEP_2) | instskip(NEXT) | instid1(VALU_DEP_2)
	v_and_b32_e32 v6, 0x8000, v6
	v_and_b32_e32 v35, 0xfc00, v35
	s_delay_alu instid0(VALU_DEP_1)
	v_or3_b32 v31, v6, v35, v31
.LBB296_1250:                           ;   in Loop: Header=BB296_998 Depth=1
	s_or_b32 exec_lo, exec_lo, s17
.LBB296_1251:                           ;   in Loop: Header=BB296_998 Depth=1
	s_delay_alu instid0(SALU_CYCLE_1)
	s_or_b32 exec_lo, exec_lo, s16
.LBB296_1252:                           ;   in Loop: Header=BB296_998 Depth=1
	s_delay_alu instid0(SALU_CYCLE_1)
	s_or_b32 exec_lo, exec_lo, s15
	v_cmp_lt_u64_e64 s0, s[2:3], v[32:33]
	v_mov_b32_e32 v32, 0
	s_and_saveexec_b32 s15, s0
	s_cbranch_execz .LBB296_1260
; %bb.1253:                             ;   in Loop: Header=BB296_998 Depth=1
	v_lshrrev_b32_e32 v6, 24, v33
	v_bfrev_b32_e32 v32, 1
	s_mov_b32 s16, exec_lo
	s_delay_alu instid0(VALU_DEP_2)
	v_cmpx_ne_u32_e32 0x80, v6
	s_cbranch_execz .LBB296_1259
; %bb.1254:                             ;   in Loop: Header=BB296_998 Depth=1
	v_and_b32_e32 v35, 0x7f, v6
	v_mov_b32_e32 v32, 0x7c010000
	s_mov_b32 s17, exec_lo
	s_delay_alu instid0(VALU_DEP_2)
	v_cmpx_ne_u32_e32 0x7f, v35
	s_cbranch_execz .LBB296_1258
; %bb.1255:                             ;   in Loop: Header=BB296_998 Depth=1
	v_dual_lshrrev_b32 v33, 3, v35 :: v_dual_bitop2_b32 v32, 7, v6 bitop3:0x40
	s_mov_b32 s18, exec_lo
	v_cmpx_gt_u32_e32 8, v35
; %bb.1256:                             ;   in Loop: Header=BB296_998 Depth=1
	s_delay_alu instid0(VALU_DEP_2) | instskip(NEXT) | instid1(VALU_DEP_1)
	v_clz_i32_u32_e32 v32, v32
	v_min_u32_e32 v35, 32, v32
	s_delay_alu instid0(VALU_DEP_1) | instskip(NEXT) | instid1(VALU_DEP_1)
	v_subrev_nc_u32_e32 v32, 28, v35
	v_lshlrev_b64_e32 v[32:33], v32, v[6:7]
	s_delay_alu instid0(VALU_DEP_1)
	v_dual_sub_nc_u32 v33, 29, v35 :: v_dual_bitop2_b32 v32, 7, v32 bitop3:0x40
; %bb.1257:                             ;   in Loop: Header=BB296_998 Depth=1
	s_or_b32 exec_lo, exec_lo, s18
	s_delay_alu instid0(VALU_DEP_1) | instskip(NEXT) | instid1(VALU_DEP_2)
	v_dual_lshlrev_b32 v6, 8, v6 :: v_dual_lshlrev_b32 v32, 23, v32
	v_lshl_add_u32 v33, v33, 10, 0x2000
	s_delay_alu instid0(VALU_DEP_1) | instskip(NEXT) | instid1(VALU_DEP_1)
	v_and_or_b32 v6, 0x8000, v6, v33
	v_lshl_or_b32 v32, v6, 16, v32
.LBB296_1258:                           ;   in Loop: Header=BB296_998 Depth=1
	s_or_b32 exec_lo, exec_lo, s17
.LBB296_1259:                           ;   in Loop: Header=BB296_998 Depth=1
	s_delay_alu instid0(SALU_CYCLE_1)
	s_or_b32 exec_lo, exec_lo, s16
.LBB296_1260:                           ;   in Loop: Header=BB296_998 Depth=1
	s_delay_alu instid0(SALU_CYCLE_1) | instskip(SKIP_4) | instid1(VALU_DEP_4)
	s_or_b32 exec_lo, exec_lo, s15
	v_dual_lshrrev_b32 v6, 16, v1 :: v_dual_lshrrev_b32 v33, 16, v19
	v_or_b32_e32 v1, v1, v18
	v_or_b32_e32 v22, v19, v22
	;; [unrolled: 1-line block ×3, first 2 shown]
	v_cvt_f32_f16_e32 v19, v6
	v_cvt_f32_f16_e32 v18, v33
	v_dual_lshrrev_b32 v31, 16, v34 :: v_dual_bitop2_b32 v6, v32, v31 bitop3:0x54
	v_lshrrev_b32_e32 v32, 16, v32
	v_cvt_f32_f16_e32 v23, v1
	s_delay_alu instid0(VALU_DEP_3) | instskip(SKIP_4) | instid1(VALU_DEP_3)
	v_cvt_f32_f16_e32 v34, v6
	s_wait_loadcnt_dscnt 0x0
	v_pk_mul_f32 v[18:19], v[30:31], v[18:19] op_sel_hi:[0,1]
	v_cvt_f32_f16_e32 v33, v31
	v_cvt_f32_f16_e32 v32, v32
	v_cvt_pk_f16_f32 v1, v18, v19
	s_delay_alu instid0(VALU_DEP_2) | instskip(NEXT) | instid1(VALU_DEP_2)
	v_pk_mul_f32 v[18:19], v[30:31], v[32:33] op_sel_hi:[0,1]
	v_lshlrev_b32_e32 v32, 16, v1
	v_cvt_f32_f16_e32 v22, v22
	v_and_b32_e32 v33, 0xffff0000, v1
	s_delay_alu instid0(VALU_DEP_4) | instskip(NEXT) | instid1(VALU_DEP_3)
	v_cvt_pk_f16_f32 v18, v18, v19
	v_pk_mul_f32 v[22:23], v[30:31], v[22:23] op_sel_hi:[0,1]
	s_delay_alu instid0(VALU_DEP_2) | instskip(NEXT) | instid1(VALU_DEP_2)
	v_and_b32_e32 v19, 0xffff0000, v18
	v_cvt_pk_f16_f32 v6, v22, v23
	s_delay_alu instid0(VALU_DEP_1) | instskip(SKIP_2) | instid1(VALU_DEP_3)
	v_lshrrev_b32_e32 v39, 16, v6
	v_cvt_f32_f16_e32 v35, v35
	v_and_b32_e32 v38, 0xffff, v6
	v_or_b32_e32 v37, v33, v39
	s_delay_alu instid0(VALU_DEP_3) | instskip(NEXT) | instid1(VALU_DEP_3)
	v_pk_mul_f32 v[30:31], v[30:31], v[34:35] op_sel_hi:[0,1]
	v_or_b32_e32 v36, v32, v38
	s_delay_alu instid0(VALU_DEP_2) | instskip(NEXT) | instid1(VALU_DEP_1)
	v_cvt_pk_f16_f32 v1, v30, v31
	v_dual_lshlrev_b32 v6, 16, v18 :: v_dual_lshrrev_b32 v31, 16, v1
	v_and_b32_e32 v30, 0xffff, v1
	s_delay_alu instid0(VALU_DEP_2) | instskip(NEXT) | instid1(VALU_DEP_2)
	v_or_b32_e32 v35, v19, v31
	v_or_b32_e32 v34, v6, v30
	s_and_saveexec_b32 s15, vcc_lo
	s_cbranch_execz .LBB296_1262
; %bb.1261:                             ;   in Loop: Header=BB296_998 Depth=1
	v_cmp_lt_i32_e64 s0, v53, v13
	s_delay_alu instid0(VALU_DEP_1) | instskip(SKIP_1) | instid1(VALU_DEP_1)
	v_cndmask_b32_e64 v1, 0, v39, s0
	v_cmp_lt_i32_e64 s0, v69, v58
	v_cndmask_b32_e64 v18, 0, v38, s0
	v_cmp_lt_i32_e64 s0, v68, v13
	s_delay_alu instid0(VALU_DEP_1) | instskip(SKIP_1) | instid1(VALU_DEP_1)
	v_cndmask_b32_e64 v22, 0, v33, s0
	v_cmp_lt_i32_e64 s0, v67, v58
	v_cndmask_b32_e64 v23, 0, v32, s0
	v_cmp_lt_i32_e64 s0, v66, v13
	s_delay_alu instid0(VALU_DEP_4) | instskip(NEXT) | instid1(VALU_DEP_3)
	v_or_b32_e32 v37, v1, v22
	v_or_b32_e32 v36, v18, v23
	s_delay_alu instid0(VALU_DEP_3) | instskip(SKIP_1) | instid1(VALU_DEP_1)
	v_cndmask_b32_e64 v31, 0, v31, s0
	v_cmp_lt_i32_e64 s0, v65, v58
	v_cndmask_b32_e64 v30, 0, v30, s0
	v_cmp_lt_i32_e64 s0, v64, v13
	s_delay_alu instid0(VALU_DEP_1) | instskip(SKIP_1) | instid1(VALU_DEP_1)
	v_cndmask_b32_e64 v19, 0, v19, s0
	v_cmp_lt_i32_e64 s0, v0, v58
	v_dual_cndmask_b32 v6, 0, v6, s0 :: v_dual_bitop2_b32 v35, v31, v19 bitop3:0x54
	s_delay_alu instid0(VALU_DEP_1)
	v_or_b32_e32 v34, v30, v6
.LBB296_1262:                           ;   in Loop: Header=BB296_998 Depth=1
	s_or_b32 exec_lo, exec_lo, s15
	;;#ASMSTART
	v_pk_mul_f16 v1, v81, v37;

	;;#ASMEND
	;;#ASMSTART
	v_pk_mul_f16 v6, v80, v36;

	;;#ASMEND
	;; [unrolled: 4-line block ×4, first 2 shown]
	;;#ASMSTART
	v_pk_add_f16 v1, v1, v6;

	;;#ASMEND
	;;#ASMSTART
	v_pk_add_f16 v1, v1, v18;

	;;#ASMEND
	;;#ASMSTART
	v_pk_add_f16 v1, v1, v19;

	;;#ASMEND
	v_and_b32_e32 v6, 0xffff, v1
	v_lshrrev_b32_e32 v1, 16, v1
	;;#ASMSTART
	v_cvt_f32_f16 v96, v6;
	;;#ASMEND
	;;#ASMSTART
	v_cvt_f32_f16 v97, v1;
	;;#ASMEND
	flat_load_b64 v[32:33], v[14:15] offset:1024
	scratch_load_b64 v[18:19], off, s32 offset:192 ; 8-byte Folded Reload
	v_mov_b32_e32 v1, 0
	s_mov_b32 s15, exec_lo
	s_wait_loadcnt_dscnt 0x100
	v_and_b32_e32 v6, 0xff, v32
	s_wait_loadcnt 0x0
	flat_load_b32 v30, v[18:19]
	s_wait_xcnt 0x0
	v_mov_b32_e32 v18, 0
	v_cmpx_ne_u16_e32 0, v6
	s_cbranch_execz .LBB296_1270
; %bb.1263:                             ;   in Loop: Header=BB296_998 Depth=1
	v_mov_b32_e32 v18, 0x8000
	s_mov_b32 s16, exec_lo
	v_cmpx_ne_u16_e32 0x80, v6
	s_cbranch_execz .LBB296_1269
; %bb.1264:                             ;   in Loop: Header=BB296_998 Depth=1
	v_and_b32_e32 v19, 0x7f, v32
	v_mov_b32_e32 v18, 0x7c01
	s_mov_b32 s17, exec_lo
	s_delay_alu instid0(VALU_DEP_2)
	v_cmpx_ne_u32_e32 0x7f, v19
	s_cbranch_execz .LBB296_1268
; %bb.1265:                             ;   in Loop: Header=BB296_998 Depth=1
	v_dual_lshrrev_b32 v18, 3, v19 :: v_dual_bitop2_b32 v6, 7, v32 bitop3:0x40
	s_mov_b32 s18, exec_lo
	v_cmpx_gt_u32_e32 8, v19
; %bb.1266:                             ;   in Loop: Header=BB296_998 Depth=1
	s_delay_alu instid0(VALU_DEP_2) | instskip(NEXT) | instid1(VALU_DEP_1)
	v_clz_i32_u32_e32 v6, v6
	v_min_u32_e32 v6, 32, v6
	s_delay_alu instid0(VALU_DEP_1) | instskip(NEXT) | instid1(VALU_DEP_1)
	v_subrev_nc_u32_e32 v18, 28, v6
	v_lshlrev_b64_e32 v[22:23], v18, v[32:33]
	v_sub_nc_u32_e32 v18, 29, v6
	s_delay_alu instid0(VALU_DEP_2)
	v_and_b32_e32 v6, 7, v22
; %bb.1267:                             ;   in Loop: Header=BB296_998 Depth=1
	s_or_b32 exec_lo, exec_lo, s18
	s_delay_alu instid0(VALU_DEP_1) | instskip(NEXT) | instid1(VALU_DEP_3)
	v_dual_lshlrev_b32 v19, 8, v32 :: v_dual_lshlrev_b32 v6, 7, v6
	v_lshl_add_u32 v18, v18, 10, 0x2000
	s_delay_alu instid0(VALU_DEP_2) | instskip(NEXT) | instid1(VALU_DEP_2)
	v_and_b32_e32 v19, 0x8000, v19
	v_and_b32_e32 v18, 0xfc00, v18
	s_delay_alu instid0(VALU_DEP_1)
	v_or3_b32 v18, v19, v18, v6
.LBB296_1268:                           ;   in Loop: Header=BB296_998 Depth=1
	s_or_b32 exec_lo, exec_lo, s17
.LBB296_1269:                           ;   in Loop: Header=BB296_998 Depth=1
	s_delay_alu instid0(SALU_CYCLE_1)
	s_or_b32 exec_lo, exec_lo, s16
.LBB296_1270:                           ;   in Loop: Header=BB296_998 Depth=1
	s_delay_alu instid0(SALU_CYCLE_1) | instskip(SKIP_2) | instid1(VALU_DEP_1)
	s_or_b32 exec_lo, exec_lo, s15
	v_lshrrev_b16 v6, 8, v32
	s_mov_b32 s15, exec_lo
	v_cmpx_ne_u16_e32 0, v6
	s_cbranch_execz .LBB296_1278
; %bb.1271:                             ;   in Loop: Header=BB296_998 Depth=1
	v_bfrev_b32_e32 v1, 1
	s_mov_b32 s16, exec_lo
	v_cmpx_ne_u16_e32 0x80, v6
	s_cbranch_execz .LBB296_1277
; %bb.1272:                             ;   in Loop: Header=BB296_998 Depth=1
	v_and_b32_e32 v19, 0xffff, v6
	v_mov_b32_e32 v1, 0x7c010000
	s_mov_b32 s17, exec_lo
	s_delay_alu instid0(VALU_DEP_2) | instskip(NEXT) | instid1(VALU_DEP_1)
	v_and_b32_e32 v23, 0x7f, v19
	v_cmpx_ne_u32_e32 0x7f, v23
	s_cbranch_execz .LBB296_1276
; %bb.1273:                             ;   in Loop: Header=BB296_998 Depth=1
	v_and_b32_e32 v1, 7, v19
	v_lshrrev_b32_e32 v22, 3, v23
	s_mov_b32 s18, exec_lo
	v_cmpx_gt_u32_e32 8, v23
; %bb.1274:                             ;   in Loop: Header=BB296_998 Depth=1
	s_delay_alu instid0(VALU_DEP_3) | instskip(NEXT) | instid1(VALU_DEP_1)
	v_clz_i32_u32_e32 v1, v1
	v_min_u32_e32 v1, 32, v1
	s_delay_alu instid0(VALU_DEP_1) | instskip(NEXT) | instid1(VALU_DEP_1)
	v_subrev_nc_u32_e32 v22, 28, v1
	v_lshlrev_b64_e32 v[34:35], v22, v[6:7]
	s_delay_alu instid0(VALU_DEP_1)
	v_dual_sub_nc_u32 v22, 29, v1 :: v_dual_bitop2_b32 v1, 7, v34 bitop3:0x40
; %bb.1275:                             ;   in Loop: Header=BB296_998 Depth=1
	s_or_b32 exec_lo, exec_lo, s18
	s_delay_alu instid0(VALU_DEP_1) | instskip(NEXT) | instid1(VALU_DEP_2)
	v_dual_lshlrev_b32 v6, 8, v19 :: v_dual_lshlrev_b32 v1, 23, v1
	v_lshl_add_u32 v19, v22, 10, 0x2000
	s_delay_alu instid0(VALU_DEP_1) | instskip(NEXT) | instid1(VALU_DEP_1)
	v_and_or_b32 v6, 0x8000, v6, v19
	v_lshl_or_b32 v1, v6, 16, v1
.LBB296_1276:                           ;   in Loop: Header=BB296_998 Depth=1
	s_or_b32 exec_lo, exec_lo, s17
.LBB296_1277:                           ;   in Loop: Header=BB296_998 Depth=1
	s_delay_alu instid0(SALU_CYCLE_1)
	s_or_b32 exec_lo, exec_lo, s16
.LBB296_1278:                           ;   in Loop: Header=BB296_998 Depth=1
	s_delay_alu instid0(SALU_CYCLE_1) | instskip(SKIP_3) | instid1(VALU_DEP_2)
	s_or_b32 exec_lo, exec_lo, s15
	v_dual_mov_b32 v19, 0 :: v_dual_lshrrev_b32 v6, 16, v32
	v_mov_b32_e32 v22, 0
	s_mov_b32 s15, exec_lo
	v_and_b32_e32 v23, 0xff, v6
	s_delay_alu instid0(VALU_DEP_1)
	v_cmpx_ne_u16_e32 0, v23
	s_cbranch_execz .LBB296_1286
; %bb.1279:                             ;   in Loop: Header=BB296_998 Depth=1
	v_mov_b32_e32 v22, 0x8000
	s_mov_b32 s16, exec_lo
	v_cmpx_ne_u16_e32 0x80, v23
	s_cbranch_execz .LBB296_1285
; %bb.1280:                             ;   in Loop: Header=BB296_998 Depth=1
	v_bfe_u32 v31, v32, 16, 7
	v_mov_b32_e32 v22, 0x7c01
	s_mov_b32 s17, exec_lo
	s_delay_alu instid0(VALU_DEP_2)
	v_cmpx_ne_u32_e32 0x7f, v31
	s_cbranch_execz .LBB296_1284
; %bb.1281:                             ;   in Loop: Header=BB296_998 Depth=1
	v_dual_lshrrev_b32 v23, 3, v31 :: v_dual_bitop2_b32 v22, 7, v6 bitop3:0x40
	s_mov_b32 s18, exec_lo
	v_cmpx_gt_u32_e32 8, v31
; %bb.1282:                             ;   in Loop: Header=BB296_998 Depth=1
	s_delay_alu instid0(VALU_DEP_2) | instskip(NEXT) | instid1(VALU_DEP_1)
	v_clz_i32_u32_e32 v22, v22
	v_min_u32_e32 v31, 32, v22
	s_delay_alu instid0(VALU_DEP_1) | instskip(NEXT) | instid1(VALU_DEP_1)
	v_subrev_nc_u32_e32 v22, 28, v31
	v_lshlrev_b64_e32 v[22:23], v22, v[6:7]
	s_delay_alu instid0(VALU_DEP_1)
	v_dual_sub_nc_u32 v23, 29, v31 :: v_dual_bitop2_b32 v22, 7, v22 bitop3:0x40
; %bb.1283:                             ;   in Loop: Header=BB296_998 Depth=1
	s_or_b32 exec_lo, exec_lo, s18
	v_lshlrev_b32_e32 v6, 8, v6
	s_delay_alu instid0(VALU_DEP_2) | instskip(NEXT) | instid1(VALU_DEP_3)
	v_lshl_add_u32 v23, v23, 10, 0x2000
	v_lshlrev_b32_e32 v22, 7, v22
	s_delay_alu instid0(VALU_DEP_3) | instskip(NEXT) | instid1(VALU_DEP_3)
	v_and_b32_e32 v6, 0x8000, v6
	v_and_b32_e32 v23, 0xfc00, v23
	s_delay_alu instid0(VALU_DEP_1)
	v_or3_b32 v22, v6, v23, v22
.LBB296_1284:                           ;   in Loop: Header=BB296_998 Depth=1
	s_or_b32 exec_lo, exec_lo, s17
.LBB296_1285:                           ;   in Loop: Header=BB296_998 Depth=1
	s_delay_alu instid0(SALU_CYCLE_1)
	s_or_b32 exec_lo, exec_lo, s16
.LBB296_1286:                           ;   in Loop: Header=BB296_998 Depth=1
	s_delay_alu instid0(SALU_CYCLE_1) | instskip(NEXT) | instid1(SALU_CYCLE_1)
	s_or_b32 exec_lo, exec_lo, s15
	s_mov_b32 s15, exec_lo
	v_cmpx_lt_u32_e32 0xffffff, v32
	s_cbranch_execz .LBB296_1294
; %bb.1287:                             ;   in Loop: Header=BB296_998 Depth=1
	v_lshrrev_b32_e32 v6, 24, v32
	v_bfrev_b32_e32 v19, 1
	s_mov_b32 s16, exec_lo
	s_delay_alu instid0(VALU_DEP_2)
	v_cmpx_ne_u32_e32 0x80, v6
	s_cbranch_execz .LBB296_1293
; %bb.1288:                             ;   in Loop: Header=BB296_998 Depth=1
	v_and_b32_e32 v31, 0x7f, v6
	v_mov_b32_e32 v19, 0x7c010000
	s_mov_b32 s17, exec_lo
	s_delay_alu instid0(VALU_DEP_2)
	v_cmpx_ne_u32_e32 0x7f, v31
	s_cbranch_execz .LBB296_1292
; %bb.1289:                             ;   in Loop: Header=BB296_998 Depth=1
	v_dual_lshrrev_b32 v23, 3, v31 :: v_dual_bitop2_b32 v19, 7, v6 bitop3:0x40
	s_mov_b32 s18, exec_lo
	v_cmpx_gt_u32_e32 8, v31
; %bb.1290:                             ;   in Loop: Header=BB296_998 Depth=1
	s_delay_alu instid0(VALU_DEP_2) | instskip(NEXT) | instid1(VALU_DEP_1)
	v_clz_i32_u32_e32 v19, v19
	v_min_u32_e32 v19, 32, v19
	s_delay_alu instid0(VALU_DEP_1) | instskip(NEXT) | instid1(VALU_DEP_1)
	v_subrev_nc_u32_e32 v23, 28, v19
	v_lshlrev_b64_e32 v[34:35], v23, v[6:7]
	s_delay_alu instid0(VALU_DEP_1)
	v_dual_sub_nc_u32 v23, 29, v19 :: v_dual_bitop2_b32 v19, 7, v34 bitop3:0x40
; %bb.1291:                             ;   in Loop: Header=BB296_998 Depth=1
	s_or_b32 exec_lo, exec_lo, s18
	s_delay_alu instid0(VALU_DEP_1) | instskip(NEXT) | instid1(VALU_DEP_2)
	v_dual_lshlrev_b32 v6, 8, v6 :: v_dual_lshlrev_b32 v19, 23, v19
	v_lshl_add_u32 v23, v23, 10, 0x2000
	s_delay_alu instid0(VALU_DEP_1) | instskip(NEXT) | instid1(VALU_DEP_1)
	v_and_or_b32 v6, 0x8000, v6, v23
	v_lshl_or_b32 v19, v6, 16, v19
.LBB296_1292:                           ;   in Loop: Header=BB296_998 Depth=1
	s_or_b32 exec_lo, exec_lo, s17
.LBB296_1293:                           ;   in Loop: Header=BB296_998 Depth=1
	s_delay_alu instid0(SALU_CYCLE_1)
	s_or_b32 exec_lo, exec_lo, s16
.LBB296_1294:                           ;   in Loop: Header=BB296_998 Depth=1
	s_delay_alu instid0(SALU_CYCLE_1) | instskip(SKIP_4) | instid1(VALU_DEP_3)
	s_or_b32 exec_lo, exec_lo, s15
	v_and_b32_e32 v34, 0xff, v33
	v_dual_mov_b32 v6, v33 :: v_dual_mov_b32 v31, 0
	v_mov_b32_e32 v23, 0
	s_mov_b32 s15, exec_lo
	v_cmpx_ne_u16_e32 0, v34
	s_cbranch_execz .LBB296_1302
; %bb.1295:                             ;   in Loop: Header=BB296_998 Depth=1
	v_mov_b32_e32 v23, 0x8000
	s_mov_b32 s16, exec_lo
	v_cmpx_ne_u16_e32 0x80, v34
	s_cbranch_execz .LBB296_1301
; %bb.1296:                             ;   in Loop: Header=BB296_998 Depth=1
	v_and_b32_e32 v35, 0x7f, v33
	v_mov_b32_e32 v23, 0x7c01
	s_mov_b32 s17, exec_lo
	s_delay_alu instid0(VALU_DEP_2)
	v_cmpx_ne_u32_e32 0x7f, v35
	s_cbranch_execz .LBB296_1300
; %bb.1297:                             ;   in Loop: Header=BB296_998 Depth=1
	v_dual_lshrrev_b32 v34, 3, v35 :: v_dual_bitop2_b32 v23, 7, v33 bitop3:0x40
	s_mov_b32 s18, exec_lo
	v_cmpx_gt_u32_e32 8, v35
; %bb.1298:                             ;   in Loop: Header=BB296_998 Depth=1
	s_delay_alu instid0(VALU_DEP_2) | instskip(NEXT) | instid1(VALU_DEP_1)
	v_clz_i32_u32_e32 v23, v23
	v_min_u32_e32 v23, 32, v23
	s_delay_alu instid0(VALU_DEP_1) | instskip(NEXT) | instid1(VALU_DEP_1)
	v_subrev_nc_u32_e32 v34, 28, v23
	v_lshlrev_b64_e32 v[36:37], v34, v[6:7]
	s_delay_alu instid0(VALU_DEP_1)
	v_dual_sub_nc_u32 v34, 29, v23 :: v_dual_bitop2_b32 v23, 7, v36 bitop3:0x40
; %bb.1299:                             ;   in Loop: Header=BB296_998 Depth=1
	s_or_b32 exec_lo, exec_lo, s18
	s_delay_alu instid0(VALU_DEP_1) | instskip(NEXT) | instid1(VALU_DEP_2)
	v_dual_lshlrev_b32 v35, 8, v33 :: v_dual_lshlrev_b32 v23, 7, v23
	v_lshl_add_u32 v34, v34, 10, 0x2000
	s_delay_alu instid0(VALU_DEP_2) | instskip(NEXT) | instid1(VALU_DEP_2)
	v_and_b32_e32 v35, 0x8000, v35
	v_and_b32_e32 v34, 0xfc00, v34
	s_delay_alu instid0(VALU_DEP_1)
	v_or3_b32 v23, v35, v34, v23
.LBB296_1300:                           ;   in Loop: Header=BB296_998 Depth=1
	s_or_b32 exec_lo, exec_lo, s17
.LBB296_1301:                           ;   in Loop: Header=BB296_998 Depth=1
	s_delay_alu instid0(SALU_CYCLE_1)
	s_or_b32 exec_lo, exec_lo, s16
.LBB296_1302:                           ;   in Loop: Header=BB296_998 Depth=1
	s_delay_alu instid0(SALU_CYCLE_1) | instskip(SKIP_3) | instid1(VALU_DEP_2)
	s_or_b32 exec_lo, exec_lo, s15
	v_lshrrev_b16 v6, 8, v6
	v_mov_b32_e32 v34, 0
	s_mov_b32 s15, exec_lo
	v_cmpx_ne_u16_e32 0, v6
	s_cbranch_execz .LBB296_1310
; %bb.1303:                             ;   in Loop: Header=BB296_998 Depth=1
	v_bfrev_b32_e32 v34, 1
	s_mov_b32 s16, exec_lo
	v_cmpx_ne_u16_e32 0x80, v6
	s_cbranch_execz .LBB296_1309
; %bb.1304:                             ;   in Loop: Header=BB296_998 Depth=1
	v_and_b32_e32 v35, 0xffff, v6
	v_mov_b32_e32 v34, 0x7c010000
	s_mov_b32 s17, exec_lo
	s_delay_alu instid0(VALU_DEP_2) | instskip(NEXT) | instid1(VALU_DEP_1)
	v_and_b32_e32 v37, 0x7f, v35
	v_cmpx_ne_u32_e32 0x7f, v37
	s_cbranch_execz .LBB296_1308
; %bb.1305:                             ;   in Loop: Header=BB296_998 Depth=1
	v_dual_lshrrev_b32 v36, 3, v37 :: v_dual_bitop2_b32 v34, 7, v35 bitop3:0x40
	s_mov_b32 s18, exec_lo
	v_cmpx_gt_u32_e32 8, v37
; %bb.1306:                             ;   in Loop: Header=BB296_998 Depth=1
	s_delay_alu instid0(VALU_DEP_2) | instskip(NEXT) | instid1(VALU_DEP_1)
	v_clz_i32_u32_e32 v34, v34
	v_min_u32_e32 v34, 32, v34
	s_delay_alu instid0(VALU_DEP_1) | instskip(NEXT) | instid1(VALU_DEP_1)
	v_subrev_nc_u32_e32 v36, 28, v34
	v_lshlrev_b64_e32 v[38:39], v36, v[6:7]
	v_sub_nc_u32_e32 v36, 29, v34
	s_delay_alu instid0(VALU_DEP_2)
	v_and_b32_e32 v34, 7, v38
; %bb.1307:                             ;   in Loop: Header=BB296_998 Depth=1
	s_or_b32 exec_lo, exec_lo, s18
	s_delay_alu instid0(VALU_DEP_1) | instskip(NEXT) | instid1(VALU_DEP_3)
	v_dual_lshlrev_b32 v6, 8, v35 :: v_dual_lshlrev_b32 v34, 23, v34
	v_lshl_add_u32 v35, v36, 10, 0x2000
	s_delay_alu instid0(VALU_DEP_1) | instskip(NEXT) | instid1(VALU_DEP_1)
	v_and_or_b32 v6, 0x8000, v6, v35
	v_lshl_or_b32 v34, v6, 16, v34
.LBB296_1308:                           ;   in Loop: Header=BB296_998 Depth=1
	s_or_b32 exec_lo, exec_lo, s17
.LBB296_1309:                           ;   in Loop: Header=BB296_998 Depth=1
	s_delay_alu instid0(SALU_CYCLE_1)
	s_or_b32 exec_lo, exec_lo, s16
.LBB296_1310:                           ;   in Loop: Header=BB296_998 Depth=1
	s_delay_alu instid0(SALU_CYCLE_1) | instskip(SKIP_2) | instid1(VALU_DEP_1)
	s_or_b32 exec_lo, exec_lo, s15
	v_lshrrev_b32_e32 v6, 16, v33
	s_mov_b32 s15, exec_lo
	v_and_b32_e32 v35, 0xff, v6
	s_delay_alu instid0(VALU_DEP_1)
	v_cmpx_ne_u16_e32 0, v35
	s_cbranch_execz .LBB296_1318
; %bb.1311:                             ;   in Loop: Header=BB296_998 Depth=1
	v_mov_b32_e32 v31, 0x8000
	s_mov_b32 s16, exec_lo
	v_cmpx_ne_u16_e32 0x80, v35
	s_cbranch_execz .LBB296_1317
; %bb.1312:                             ;   in Loop: Header=BB296_998 Depth=1
	v_bfe_u32 v36, v33, 16, 7
	v_mov_b32_e32 v31, 0x7c01
	s_mov_b32 s17, exec_lo
	s_delay_alu instid0(VALU_DEP_2)
	v_cmpx_ne_u32_e32 0x7f, v36
	s_cbranch_execz .LBB296_1316
; %bb.1313:                             ;   in Loop: Header=BB296_998 Depth=1
	v_dual_lshrrev_b32 v35, 3, v36 :: v_dual_bitop2_b32 v31, 7, v6 bitop3:0x40
	s_mov_b32 s18, exec_lo
	v_cmpx_gt_u32_e32 8, v36
; %bb.1314:                             ;   in Loop: Header=BB296_998 Depth=1
	s_delay_alu instid0(VALU_DEP_2) | instskip(NEXT) | instid1(VALU_DEP_1)
	v_clz_i32_u32_e32 v31, v31
	v_min_u32_e32 v31, 32, v31
	s_delay_alu instid0(VALU_DEP_1) | instskip(NEXT) | instid1(VALU_DEP_1)
	v_subrev_nc_u32_e32 v35, 28, v31
	v_lshlrev_b64_e32 v[36:37], v35, v[6:7]
	s_delay_alu instid0(VALU_DEP_1)
	v_dual_sub_nc_u32 v35, 29, v31 :: v_dual_bitop2_b32 v31, 7, v36 bitop3:0x40
; %bb.1315:                             ;   in Loop: Header=BB296_998 Depth=1
	s_or_b32 exec_lo, exec_lo, s18
	s_delay_alu instid0(VALU_DEP_1) | instskip(NEXT) | instid1(VALU_DEP_2)
	v_dual_lshlrev_b32 v6, 8, v6 :: v_dual_lshlrev_b32 v31, 7, v31
	v_lshl_add_u32 v35, v35, 10, 0x2000
	s_delay_alu instid0(VALU_DEP_2) | instskip(NEXT) | instid1(VALU_DEP_2)
	v_and_b32_e32 v6, 0x8000, v6
	v_and_b32_e32 v35, 0xfc00, v35
	s_delay_alu instid0(VALU_DEP_1)
	v_or3_b32 v31, v6, v35, v31
.LBB296_1316:                           ;   in Loop: Header=BB296_998 Depth=1
	s_or_b32 exec_lo, exec_lo, s17
.LBB296_1317:                           ;   in Loop: Header=BB296_998 Depth=1
	s_delay_alu instid0(SALU_CYCLE_1)
	s_or_b32 exec_lo, exec_lo, s16
.LBB296_1318:                           ;   in Loop: Header=BB296_998 Depth=1
	s_delay_alu instid0(SALU_CYCLE_1)
	s_or_b32 exec_lo, exec_lo, s15
	v_cmp_lt_u64_e64 s0, s[2:3], v[32:33]
	v_mov_b32_e32 v32, 0
	s_and_saveexec_b32 s15, s0
	s_cbranch_execz .LBB296_1326
; %bb.1319:                             ;   in Loop: Header=BB296_998 Depth=1
	v_lshrrev_b32_e32 v6, 24, v33
	v_bfrev_b32_e32 v32, 1
	s_mov_b32 s16, exec_lo
	s_delay_alu instid0(VALU_DEP_2)
	v_cmpx_ne_u32_e32 0x80, v6
	s_cbranch_execz .LBB296_1325
; %bb.1320:                             ;   in Loop: Header=BB296_998 Depth=1
	v_and_b32_e32 v35, 0x7f, v6
	v_mov_b32_e32 v32, 0x7c010000
	s_mov_b32 s17, exec_lo
	s_delay_alu instid0(VALU_DEP_2)
	v_cmpx_ne_u32_e32 0x7f, v35
	s_cbranch_execz .LBB296_1324
; %bb.1321:                             ;   in Loop: Header=BB296_998 Depth=1
	v_dual_lshrrev_b32 v33, 3, v35 :: v_dual_bitop2_b32 v32, 7, v6 bitop3:0x40
	s_mov_b32 s18, exec_lo
	v_cmpx_gt_u32_e32 8, v35
; %bb.1322:                             ;   in Loop: Header=BB296_998 Depth=1
	s_delay_alu instid0(VALU_DEP_2) | instskip(NEXT) | instid1(VALU_DEP_1)
	v_clz_i32_u32_e32 v32, v32
	v_min_u32_e32 v35, 32, v32
	s_delay_alu instid0(VALU_DEP_1) | instskip(NEXT) | instid1(VALU_DEP_1)
	v_subrev_nc_u32_e32 v32, 28, v35
	v_lshlrev_b64_e32 v[32:33], v32, v[6:7]
	s_delay_alu instid0(VALU_DEP_1)
	v_dual_sub_nc_u32 v33, 29, v35 :: v_dual_bitop2_b32 v32, 7, v32 bitop3:0x40
; %bb.1323:                             ;   in Loop: Header=BB296_998 Depth=1
	s_or_b32 exec_lo, exec_lo, s18
	s_delay_alu instid0(VALU_DEP_1) | instskip(NEXT) | instid1(VALU_DEP_2)
	v_dual_lshlrev_b32 v6, 8, v6 :: v_dual_lshlrev_b32 v32, 23, v32
	v_lshl_add_u32 v33, v33, 10, 0x2000
	s_delay_alu instid0(VALU_DEP_1) | instskip(NEXT) | instid1(VALU_DEP_1)
	v_and_or_b32 v6, 0x8000, v6, v33
	v_lshl_or_b32 v32, v6, 16, v32
.LBB296_1324:                           ;   in Loop: Header=BB296_998 Depth=1
	s_or_b32 exec_lo, exec_lo, s17
.LBB296_1325:                           ;   in Loop: Header=BB296_998 Depth=1
	s_delay_alu instid0(SALU_CYCLE_1)
	s_or_b32 exec_lo, exec_lo, s16
.LBB296_1326:                           ;   in Loop: Header=BB296_998 Depth=1
	s_delay_alu instid0(SALU_CYCLE_1) | instskip(SKIP_4) | instid1(VALU_DEP_4)
	s_or_b32 exec_lo, exec_lo, s15
	v_dual_lshrrev_b32 v6, 16, v1 :: v_dual_lshrrev_b32 v33, 16, v19
	v_or_b32_e32 v1, v1, v18
	v_or_b32_e32 v22, v19, v22
	v_or_b32_e32 v35, v34, v23
	v_cvt_f32_f16_e32 v19, v6
	v_cvt_f32_f16_e32 v18, v33
	v_dual_lshrrev_b32 v31, 16, v34 :: v_dual_bitop2_b32 v6, v32, v31 bitop3:0x54
	v_lshrrev_b32_e32 v32, 16, v32
	v_cvt_f32_f16_e32 v23, v1
	s_delay_alu instid0(VALU_DEP_3) | instskip(SKIP_4) | instid1(VALU_DEP_3)
	v_cvt_f32_f16_e32 v34, v6
	s_wait_loadcnt_dscnt 0x0
	v_pk_mul_f32 v[18:19], v[30:31], v[18:19] op_sel_hi:[0,1]
	v_cvt_f32_f16_e32 v33, v31
	v_cvt_f32_f16_e32 v32, v32
	v_cvt_pk_f16_f32 v1, v18, v19
	s_delay_alu instid0(VALU_DEP_2) | instskip(NEXT) | instid1(VALU_DEP_2)
	v_pk_mul_f32 v[18:19], v[30:31], v[32:33] op_sel_hi:[0,1]
	v_lshlrev_b32_e32 v32, 16, v1
	v_cvt_f32_f16_e32 v22, v22
	v_and_b32_e32 v33, 0xffff0000, v1
	s_delay_alu instid0(VALU_DEP_4) | instskip(NEXT) | instid1(VALU_DEP_3)
	v_cvt_pk_f16_f32 v18, v18, v19
	v_pk_mul_f32 v[22:23], v[30:31], v[22:23] op_sel_hi:[0,1]
	s_delay_alu instid0(VALU_DEP_2) | instskip(NEXT) | instid1(VALU_DEP_2)
	v_and_b32_e32 v19, 0xffff0000, v18
	v_cvt_pk_f16_f32 v6, v22, v23
	s_delay_alu instid0(VALU_DEP_1) | instskip(SKIP_2) | instid1(VALU_DEP_3)
	v_lshrrev_b32_e32 v39, 16, v6
	v_cvt_f32_f16_e32 v35, v35
	v_and_b32_e32 v38, 0xffff, v6
	v_or_b32_e32 v37, v33, v39
	s_delay_alu instid0(VALU_DEP_3) | instskip(NEXT) | instid1(VALU_DEP_3)
	v_pk_mul_f32 v[30:31], v[30:31], v[34:35] op_sel_hi:[0,1]
	v_or_b32_e32 v36, v32, v38
	s_delay_alu instid0(VALU_DEP_2) | instskip(NEXT) | instid1(VALU_DEP_1)
	v_cvt_pk_f16_f32 v1, v30, v31
	v_dual_lshlrev_b32 v6, 16, v18 :: v_dual_lshrrev_b32 v31, 16, v1
	v_and_b32_e32 v30, 0xffff, v1
	s_delay_alu instid0(VALU_DEP_2) | instskip(NEXT) | instid1(VALU_DEP_2)
	v_or_b32_e32 v35, v19, v31
	v_or_b32_e32 v34, v6, v30
	s_and_saveexec_b32 s15, vcc_lo
	s_cbranch_execz .LBB296_1328
; %bb.1327:                             ;   in Loop: Header=BB296_998 Depth=1
	v_cmp_lt_i32_e64 s0, v53, v13
	s_delay_alu instid0(VALU_DEP_1) | instskip(SKIP_1) | instid1(VALU_DEP_1)
	v_cndmask_b32_e64 v1, 0, v39, s0
	v_cmp_lt_i32_e64 s0, v69, v58
	v_cndmask_b32_e64 v18, 0, v38, s0
	v_cmp_lt_i32_e64 s0, v68, v13
	s_delay_alu instid0(VALU_DEP_1) | instskip(SKIP_1) | instid1(VALU_DEP_1)
	v_cndmask_b32_e64 v22, 0, v33, s0
	v_cmp_lt_i32_e64 s0, v67, v58
	v_cndmask_b32_e64 v23, 0, v32, s0
	v_cmp_lt_i32_e64 s0, v66, v13
	s_delay_alu instid0(VALU_DEP_4) | instskip(NEXT) | instid1(VALU_DEP_3)
	v_or_b32_e32 v37, v1, v22
	v_or_b32_e32 v36, v18, v23
	s_delay_alu instid0(VALU_DEP_3) | instskip(SKIP_1) | instid1(VALU_DEP_1)
	v_cndmask_b32_e64 v31, 0, v31, s0
	v_cmp_lt_i32_e64 s0, v65, v58
	v_cndmask_b32_e64 v30, 0, v30, s0
	v_cmp_lt_i32_e64 s0, v64, v13
	s_delay_alu instid0(VALU_DEP_1) | instskip(SKIP_1) | instid1(VALU_DEP_1)
	v_cndmask_b32_e64 v19, 0, v19, s0
	v_cmp_lt_i32_e64 s0, v0, v58
	v_dual_cndmask_b32 v6, 0, v6, s0 :: v_dual_bitop2_b32 v35, v31, v19 bitop3:0x54
	s_delay_alu instid0(VALU_DEP_1)
	v_or_b32_e32 v34, v30, v6
.LBB296_1328:                           ;   in Loop: Header=BB296_998 Depth=1
	s_or_b32 exec_lo, exec_lo, s15
	;;#ASMSTART
	v_pk_mul_f16 v1, v81, v37;

	;;#ASMEND
	;;#ASMSTART
	v_pk_mul_f16 v6, v80, v36;

	;;#ASMEND
	;; [unrolled: 4-line block ×4, first 2 shown]
	;;#ASMSTART
	v_pk_add_f16 v1, v1, v6;

	;;#ASMEND
	;;#ASMSTART
	v_pk_add_f16 v1, v1, v18;

	;;#ASMEND
	;;#ASMSTART
	v_pk_add_f16 v1, v1, v19;

	;;#ASMEND
	v_and_b32_e32 v6, 0xffff, v1
	v_lshrrev_b32_e32 v1, 16, v1
	;;#ASMSTART
	v_cvt_f32_f16 v98, v6;
	;;#ASMEND
	;;#ASMSTART
	v_cvt_f32_f16 v99, v1;
	;;#ASMEND
	flat_load_b64 v[32:33], v[14:15] offset:1280
	scratch_load_b64 v[18:19], off, s32 offset:192 ; 8-byte Folded Reload
	v_mov_b32_e32 v1, 0
	s_mov_b32 s15, exec_lo
	s_wait_loadcnt_dscnt 0x100
	v_and_b32_e32 v6, 0xff, v32
	s_wait_loadcnt 0x0
	flat_load_b32 v30, v[18:19]
	s_wait_xcnt 0x0
	v_mov_b32_e32 v18, 0
	v_cmpx_ne_u16_e32 0, v6
	s_cbranch_execz .LBB296_1336
; %bb.1329:                             ;   in Loop: Header=BB296_998 Depth=1
	v_mov_b32_e32 v18, 0x8000
	s_mov_b32 s16, exec_lo
	v_cmpx_ne_u16_e32 0x80, v6
	s_cbranch_execz .LBB296_1335
; %bb.1330:                             ;   in Loop: Header=BB296_998 Depth=1
	v_and_b32_e32 v19, 0x7f, v32
	v_mov_b32_e32 v18, 0x7c01
	s_mov_b32 s17, exec_lo
	s_delay_alu instid0(VALU_DEP_2)
	v_cmpx_ne_u32_e32 0x7f, v19
	s_cbranch_execz .LBB296_1334
; %bb.1331:                             ;   in Loop: Header=BB296_998 Depth=1
	v_dual_lshrrev_b32 v18, 3, v19 :: v_dual_bitop2_b32 v6, 7, v32 bitop3:0x40
	s_mov_b32 s18, exec_lo
	v_cmpx_gt_u32_e32 8, v19
; %bb.1332:                             ;   in Loop: Header=BB296_998 Depth=1
	s_delay_alu instid0(VALU_DEP_2) | instskip(NEXT) | instid1(VALU_DEP_1)
	v_clz_i32_u32_e32 v6, v6
	v_min_u32_e32 v6, 32, v6
	s_delay_alu instid0(VALU_DEP_1) | instskip(NEXT) | instid1(VALU_DEP_1)
	v_subrev_nc_u32_e32 v18, 28, v6
	v_lshlrev_b64_e32 v[22:23], v18, v[32:33]
	v_sub_nc_u32_e32 v18, 29, v6
	s_delay_alu instid0(VALU_DEP_2)
	v_and_b32_e32 v6, 7, v22
; %bb.1333:                             ;   in Loop: Header=BB296_998 Depth=1
	s_or_b32 exec_lo, exec_lo, s18
	s_delay_alu instid0(VALU_DEP_1) | instskip(NEXT) | instid1(VALU_DEP_3)
	v_dual_lshlrev_b32 v19, 8, v32 :: v_dual_lshlrev_b32 v6, 7, v6
	v_lshl_add_u32 v18, v18, 10, 0x2000
	s_delay_alu instid0(VALU_DEP_2) | instskip(NEXT) | instid1(VALU_DEP_2)
	v_and_b32_e32 v19, 0x8000, v19
	v_and_b32_e32 v18, 0xfc00, v18
	s_delay_alu instid0(VALU_DEP_1)
	v_or3_b32 v18, v19, v18, v6
.LBB296_1334:                           ;   in Loop: Header=BB296_998 Depth=1
	s_or_b32 exec_lo, exec_lo, s17
.LBB296_1335:                           ;   in Loop: Header=BB296_998 Depth=1
	s_delay_alu instid0(SALU_CYCLE_1)
	s_or_b32 exec_lo, exec_lo, s16
.LBB296_1336:                           ;   in Loop: Header=BB296_998 Depth=1
	s_delay_alu instid0(SALU_CYCLE_1) | instskip(SKIP_2) | instid1(VALU_DEP_1)
	s_or_b32 exec_lo, exec_lo, s15
	v_lshrrev_b16 v6, 8, v32
	s_mov_b32 s15, exec_lo
	v_cmpx_ne_u16_e32 0, v6
	s_cbranch_execz .LBB296_1344
; %bb.1337:                             ;   in Loop: Header=BB296_998 Depth=1
	v_bfrev_b32_e32 v1, 1
	s_mov_b32 s16, exec_lo
	v_cmpx_ne_u16_e32 0x80, v6
	s_cbranch_execz .LBB296_1343
; %bb.1338:                             ;   in Loop: Header=BB296_998 Depth=1
	v_and_b32_e32 v19, 0xffff, v6
	v_mov_b32_e32 v1, 0x7c010000
	s_mov_b32 s17, exec_lo
	s_delay_alu instid0(VALU_DEP_2) | instskip(NEXT) | instid1(VALU_DEP_1)
	v_and_b32_e32 v23, 0x7f, v19
	v_cmpx_ne_u32_e32 0x7f, v23
	s_cbranch_execz .LBB296_1342
; %bb.1339:                             ;   in Loop: Header=BB296_998 Depth=1
	v_and_b32_e32 v1, 7, v19
	v_lshrrev_b32_e32 v22, 3, v23
	s_mov_b32 s18, exec_lo
	v_cmpx_gt_u32_e32 8, v23
; %bb.1340:                             ;   in Loop: Header=BB296_998 Depth=1
	s_delay_alu instid0(VALU_DEP_3) | instskip(NEXT) | instid1(VALU_DEP_1)
	v_clz_i32_u32_e32 v1, v1
	v_min_u32_e32 v1, 32, v1
	s_delay_alu instid0(VALU_DEP_1) | instskip(NEXT) | instid1(VALU_DEP_1)
	v_subrev_nc_u32_e32 v22, 28, v1
	v_lshlrev_b64_e32 v[34:35], v22, v[6:7]
	s_delay_alu instid0(VALU_DEP_1)
	v_dual_sub_nc_u32 v22, 29, v1 :: v_dual_bitop2_b32 v1, 7, v34 bitop3:0x40
; %bb.1341:                             ;   in Loop: Header=BB296_998 Depth=1
	s_or_b32 exec_lo, exec_lo, s18
	s_delay_alu instid0(VALU_DEP_1) | instskip(NEXT) | instid1(VALU_DEP_2)
	v_dual_lshlrev_b32 v6, 8, v19 :: v_dual_lshlrev_b32 v1, 23, v1
	v_lshl_add_u32 v19, v22, 10, 0x2000
	s_delay_alu instid0(VALU_DEP_1) | instskip(NEXT) | instid1(VALU_DEP_1)
	v_and_or_b32 v6, 0x8000, v6, v19
	v_lshl_or_b32 v1, v6, 16, v1
.LBB296_1342:                           ;   in Loop: Header=BB296_998 Depth=1
	s_or_b32 exec_lo, exec_lo, s17
.LBB296_1343:                           ;   in Loop: Header=BB296_998 Depth=1
	s_delay_alu instid0(SALU_CYCLE_1)
	s_or_b32 exec_lo, exec_lo, s16
.LBB296_1344:                           ;   in Loop: Header=BB296_998 Depth=1
	s_delay_alu instid0(SALU_CYCLE_1) | instskip(SKIP_3) | instid1(VALU_DEP_2)
	s_or_b32 exec_lo, exec_lo, s15
	v_dual_mov_b32 v19, 0 :: v_dual_lshrrev_b32 v6, 16, v32
	v_mov_b32_e32 v22, 0
	s_mov_b32 s15, exec_lo
	v_and_b32_e32 v23, 0xff, v6
	s_delay_alu instid0(VALU_DEP_1)
	v_cmpx_ne_u16_e32 0, v23
	s_cbranch_execz .LBB296_1352
; %bb.1345:                             ;   in Loop: Header=BB296_998 Depth=1
	v_mov_b32_e32 v22, 0x8000
	s_mov_b32 s16, exec_lo
	v_cmpx_ne_u16_e32 0x80, v23
	s_cbranch_execz .LBB296_1351
; %bb.1346:                             ;   in Loop: Header=BB296_998 Depth=1
	v_bfe_u32 v31, v32, 16, 7
	v_mov_b32_e32 v22, 0x7c01
	s_mov_b32 s17, exec_lo
	s_delay_alu instid0(VALU_DEP_2)
	v_cmpx_ne_u32_e32 0x7f, v31
	s_cbranch_execz .LBB296_1350
; %bb.1347:                             ;   in Loop: Header=BB296_998 Depth=1
	v_dual_lshrrev_b32 v23, 3, v31 :: v_dual_bitop2_b32 v22, 7, v6 bitop3:0x40
	s_mov_b32 s18, exec_lo
	v_cmpx_gt_u32_e32 8, v31
; %bb.1348:                             ;   in Loop: Header=BB296_998 Depth=1
	s_delay_alu instid0(VALU_DEP_2) | instskip(NEXT) | instid1(VALU_DEP_1)
	v_clz_i32_u32_e32 v22, v22
	v_min_u32_e32 v31, 32, v22
	s_delay_alu instid0(VALU_DEP_1) | instskip(NEXT) | instid1(VALU_DEP_1)
	v_subrev_nc_u32_e32 v22, 28, v31
	v_lshlrev_b64_e32 v[22:23], v22, v[6:7]
	s_delay_alu instid0(VALU_DEP_1)
	v_dual_sub_nc_u32 v23, 29, v31 :: v_dual_bitop2_b32 v22, 7, v22 bitop3:0x40
; %bb.1349:                             ;   in Loop: Header=BB296_998 Depth=1
	s_or_b32 exec_lo, exec_lo, s18
	v_lshlrev_b32_e32 v6, 8, v6
	s_delay_alu instid0(VALU_DEP_2) | instskip(NEXT) | instid1(VALU_DEP_3)
	v_lshl_add_u32 v23, v23, 10, 0x2000
	v_lshlrev_b32_e32 v22, 7, v22
	s_delay_alu instid0(VALU_DEP_3) | instskip(NEXT) | instid1(VALU_DEP_3)
	v_and_b32_e32 v6, 0x8000, v6
	v_and_b32_e32 v23, 0xfc00, v23
	s_delay_alu instid0(VALU_DEP_1)
	v_or3_b32 v22, v6, v23, v22
.LBB296_1350:                           ;   in Loop: Header=BB296_998 Depth=1
	s_or_b32 exec_lo, exec_lo, s17
.LBB296_1351:                           ;   in Loop: Header=BB296_998 Depth=1
	s_delay_alu instid0(SALU_CYCLE_1)
	s_or_b32 exec_lo, exec_lo, s16
.LBB296_1352:                           ;   in Loop: Header=BB296_998 Depth=1
	s_delay_alu instid0(SALU_CYCLE_1) | instskip(NEXT) | instid1(SALU_CYCLE_1)
	s_or_b32 exec_lo, exec_lo, s15
	s_mov_b32 s15, exec_lo
	v_cmpx_lt_u32_e32 0xffffff, v32
	s_cbranch_execz .LBB296_1360
; %bb.1353:                             ;   in Loop: Header=BB296_998 Depth=1
	v_lshrrev_b32_e32 v6, 24, v32
	v_bfrev_b32_e32 v19, 1
	s_mov_b32 s16, exec_lo
	s_delay_alu instid0(VALU_DEP_2)
	v_cmpx_ne_u32_e32 0x80, v6
	s_cbranch_execz .LBB296_1359
; %bb.1354:                             ;   in Loop: Header=BB296_998 Depth=1
	v_and_b32_e32 v31, 0x7f, v6
	v_mov_b32_e32 v19, 0x7c010000
	s_mov_b32 s17, exec_lo
	s_delay_alu instid0(VALU_DEP_2)
	v_cmpx_ne_u32_e32 0x7f, v31
	s_cbranch_execz .LBB296_1358
; %bb.1355:                             ;   in Loop: Header=BB296_998 Depth=1
	v_dual_lshrrev_b32 v23, 3, v31 :: v_dual_bitop2_b32 v19, 7, v6 bitop3:0x40
	s_mov_b32 s18, exec_lo
	v_cmpx_gt_u32_e32 8, v31
; %bb.1356:                             ;   in Loop: Header=BB296_998 Depth=1
	s_delay_alu instid0(VALU_DEP_2) | instskip(NEXT) | instid1(VALU_DEP_1)
	v_clz_i32_u32_e32 v19, v19
	v_min_u32_e32 v19, 32, v19
	s_delay_alu instid0(VALU_DEP_1) | instskip(NEXT) | instid1(VALU_DEP_1)
	v_subrev_nc_u32_e32 v23, 28, v19
	v_lshlrev_b64_e32 v[34:35], v23, v[6:7]
	s_delay_alu instid0(VALU_DEP_1)
	v_dual_sub_nc_u32 v23, 29, v19 :: v_dual_bitop2_b32 v19, 7, v34 bitop3:0x40
; %bb.1357:                             ;   in Loop: Header=BB296_998 Depth=1
	s_or_b32 exec_lo, exec_lo, s18
	s_delay_alu instid0(VALU_DEP_1) | instskip(NEXT) | instid1(VALU_DEP_2)
	v_dual_lshlrev_b32 v6, 8, v6 :: v_dual_lshlrev_b32 v19, 23, v19
	v_lshl_add_u32 v23, v23, 10, 0x2000
	s_delay_alu instid0(VALU_DEP_1) | instskip(NEXT) | instid1(VALU_DEP_1)
	v_and_or_b32 v6, 0x8000, v6, v23
	v_lshl_or_b32 v19, v6, 16, v19
.LBB296_1358:                           ;   in Loop: Header=BB296_998 Depth=1
	s_or_b32 exec_lo, exec_lo, s17
.LBB296_1359:                           ;   in Loop: Header=BB296_998 Depth=1
	s_delay_alu instid0(SALU_CYCLE_1)
	s_or_b32 exec_lo, exec_lo, s16
.LBB296_1360:                           ;   in Loop: Header=BB296_998 Depth=1
	s_delay_alu instid0(SALU_CYCLE_1) | instskip(SKIP_4) | instid1(VALU_DEP_3)
	s_or_b32 exec_lo, exec_lo, s15
	v_and_b32_e32 v34, 0xff, v33
	v_dual_mov_b32 v6, v33 :: v_dual_mov_b32 v31, 0
	v_mov_b32_e32 v23, 0
	s_mov_b32 s15, exec_lo
	v_cmpx_ne_u16_e32 0, v34
	s_cbranch_execz .LBB296_1368
; %bb.1361:                             ;   in Loop: Header=BB296_998 Depth=1
	v_mov_b32_e32 v23, 0x8000
	s_mov_b32 s16, exec_lo
	v_cmpx_ne_u16_e32 0x80, v34
	s_cbranch_execz .LBB296_1367
; %bb.1362:                             ;   in Loop: Header=BB296_998 Depth=1
	v_and_b32_e32 v35, 0x7f, v33
	v_mov_b32_e32 v23, 0x7c01
	s_mov_b32 s17, exec_lo
	s_delay_alu instid0(VALU_DEP_2)
	v_cmpx_ne_u32_e32 0x7f, v35
	s_cbranch_execz .LBB296_1366
; %bb.1363:                             ;   in Loop: Header=BB296_998 Depth=1
	v_dual_lshrrev_b32 v34, 3, v35 :: v_dual_bitop2_b32 v23, 7, v33 bitop3:0x40
	s_mov_b32 s18, exec_lo
	v_cmpx_gt_u32_e32 8, v35
; %bb.1364:                             ;   in Loop: Header=BB296_998 Depth=1
	s_delay_alu instid0(VALU_DEP_2) | instskip(NEXT) | instid1(VALU_DEP_1)
	v_clz_i32_u32_e32 v23, v23
	v_min_u32_e32 v23, 32, v23
	s_delay_alu instid0(VALU_DEP_1) | instskip(NEXT) | instid1(VALU_DEP_1)
	v_subrev_nc_u32_e32 v34, 28, v23
	v_lshlrev_b64_e32 v[36:37], v34, v[6:7]
	s_delay_alu instid0(VALU_DEP_1)
	v_dual_sub_nc_u32 v34, 29, v23 :: v_dual_bitop2_b32 v23, 7, v36 bitop3:0x40
; %bb.1365:                             ;   in Loop: Header=BB296_998 Depth=1
	s_or_b32 exec_lo, exec_lo, s18
	s_delay_alu instid0(VALU_DEP_1) | instskip(NEXT) | instid1(VALU_DEP_2)
	v_dual_lshlrev_b32 v35, 8, v33 :: v_dual_lshlrev_b32 v23, 7, v23
	v_lshl_add_u32 v34, v34, 10, 0x2000
	s_delay_alu instid0(VALU_DEP_2) | instskip(NEXT) | instid1(VALU_DEP_2)
	v_and_b32_e32 v35, 0x8000, v35
	v_and_b32_e32 v34, 0xfc00, v34
	s_delay_alu instid0(VALU_DEP_1)
	v_or3_b32 v23, v35, v34, v23
.LBB296_1366:                           ;   in Loop: Header=BB296_998 Depth=1
	s_or_b32 exec_lo, exec_lo, s17
.LBB296_1367:                           ;   in Loop: Header=BB296_998 Depth=1
	s_delay_alu instid0(SALU_CYCLE_1)
	s_or_b32 exec_lo, exec_lo, s16
.LBB296_1368:                           ;   in Loop: Header=BB296_998 Depth=1
	s_delay_alu instid0(SALU_CYCLE_1) | instskip(SKIP_3) | instid1(VALU_DEP_2)
	s_or_b32 exec_lo, exec_lo, s15
	v_lshrrev_b16 v6, 8, v6
	v_mov_b32_e32 v34, 0
	s_mov_b32 s15, exec_lo
	v_cmpx_ne_u16_e32 0, v6
	s_cbranch_execz .LBB296_1376
; %bb.1369:                             ;   in Loop: Header=BB296_998 Depth=1
	v_bfrev_b32_e32 v34, 1
	s_mov_b32 s16, exec_lo
	v_cmpx_ne_u16_e32 0x80, v6
	s_cbranch_execz .LBB296_1375
; %bb.1370:                             ;   in Loop: Header=BB296_998 Depth=1
	v_and_b32_e32 v35, 0xffff, v6
	v_mov_b32_e32 v34, 0x7c010000
	s_mov_b32 s17, exec_lo
	s_delay_alu instid0(VALU_DEP_2) | instskip(NEXT) | instid1(VALU_DEP_1)
	v_and_b32_e32 v37, 0x7f, v35
	v_cmpx_ne_u32_e32 0x7f, v37
	s_cbranch_execz .LBB296_1374
; %bb.1371:                             ;   in Loop: Header=BB296_998 Depth=1
	v_dual_lshrrev_b32 v36, 3, v37 :: v_dual_bitop2_b32 v34, 7, v35 bitop3:0x40
	s_mov_b32 s18, exec_lo
	v_cmpx_gt_u32_e32 8, v37
; %bb.1372:                             ;   in Loop: Header=BB296_998 Depth=1
	s_delay_alu instid0(VALU_DEP_2) | instskip(NEXT) | instid1(VALU_DEP_1)
	v_clz_i32_u32_e32 v34, v34
	v_min_u32_e32 v34, 32, v34
	s_delay_alu instid0(VALU_DEP_1) | instskip(NEXT) | instid1(VALU_DEP_1)
	v_subrev_nc_u32_e32 v36, 28, v34
	v_lshlrev_b64_e32 v[38:39], v36, v[6:7]
	v_sub_nc_u32_e32 v36, 29, v34
	s_delay_alu instid0(VALU_DEP_2)
	v_and_b32_e32 v34, 7, v38
; %bb.1373:                             ;   in Loop: Header=BB296_998 Depth=1
	s_or_b32 exec_lo, exec_lo, s18
	s_delay_alu instid0(VALU_DEP_1) | instskip(NEXT) | instid1(VALU_DEP_3)
	v_dual_lshlrev_b32 v6, 8, v35 :: v_dual_lshlrev_b32 v34, 23, v34
	v_lshl_add_u32 v35, v36, 10, 0x2000
	s_delay_alu instid0(VALU_DEP_1) | instskip(NEXT) | instid1(VALU_DEP_1)
	v_and_or_b32 v6, 0x8000, v6, v35
	v_lshl_or_b32 v34, v6, 16, v34
.LBB296_1374:                           ;   in Loop: Header=BB296_998 Depth=1
	s_or_b32 exec_lo, exec_lo, s17
.LBB296_1375:                           ;   in Loop: Header=BB296_998 Depth=1
	s_delay_alu instid0(SALU_CYCLE_1)
	s_or_b32 exec_lo, exec_lo, s16
.LBB296_1376:                           ;   in Loop: Header=BB296_998 Depth=1
	s_delay_alu instid0(SALU_CYCLE_1) | instskip(SKIP_2) | instid1(VALU_DEP_1)
	s_or_b32 exec_lo, exec_lo, s15
	v_lshrrev_b32_e32 v6, 16, v33
	s_mov_b32 s15, exec_lo
	v_and_b32_e32 v35, 0xff, v6
	s_delay_alu instid0(VALU_DEP_1)
	v_cmpx_ne_u16_e32 0, v35
	s_cbranch_execz .LBB296_1384
; %bb.1377:                             ;   in Loop: Header=BB296_998 Depth=1
	v_mov_b32_e32 v31, 0x8000
	s_mov_b32 s16, exec_lo
	v_cmpx_ne_u16_e32 0x80, v35
	s_cbranch_execz .LBB296_1383
; %bb.1378:                             ;   in Loop: Header=BB296_998 Depth=1
	v_bfe_u32 v36, v33, 16, 7
	v_mov_b32_e32 v31, 0x7c01
	s_mov_b32 s17, exec_lo
	s_delay_alu instid0(VALU_DEP_2)
	v_cmpx_ne_u32_e32 0x7f, v36
	s_cbranch_execz .LBB296_1382
; %bb.1379:                             ;   in Loop: Header=BB296_998 Depth=1
	v_dual_lshrrev_b32 v35, 3, v36 :: v_dual_bitop2_b32 v31, 7, v6 bitop3:0x40
	s_mov_b32 s18, exec_lo
	v_cmpx_gt_u32_e32 8, v36
; %bb.1380:                             ;   in Loop: Header=BB296_998 Depth=1
	s_delay_alu instid0(VALU_DEP_2) | instskip(NEXT) | instid1(VALU_DEP_1)
	v_clz_i32_u32_e32 v31, v31
	v_min_u32_e32 v31, 32, v31
	s_delay_alu instid0(VALU_DEP_1) | instskip(NEXT) | instid1(VALU_DEP_1)
	v_subrev_nc_u32_e32 v35, 28, v31
	v_lshlrev_b64_e32 v[36:37], v35, v[6:7]
	s_delay_alu instid0(VALU_DEP_1)
	v_dual_sub_nc_u32 v35, 29, v31 :: v_dual_bitop2_b32 v31, 7, v36 bitop3:0x40
; %bb.1381:                             ;   in Loop: Header=BB296_998 Depth=1
	s_or_b32 exec_lo, exec_lo, s18
	s_delay_alu instid0(VALU_DEP_1) | instskip(NEXT) | instid1(VALU_DEP_2)
	v_dual_lshlrev_b32 v6, 8, v6 :: v_dual_lshlrev_b32 v31, 7, v31
	v_lshl_add_u32 v35, v35, 10, 0x2000
	s_delay_alu instid0(VALU_DEP_2) | instskip(NEXT) | instid1(VALU_DEP_2)
	v_and_b32_e32 v6, 0x8000, v6
	v_and_b32_e32 v35, 0xfc00, v35
	s_delay_alu instid0(VALU_DEP_1)
	v_or3_b32 v31, v6, v35, v31
.LBB296_1382:                           ;   in Loop: Header=BB296_998 Depth=1
	s_or_b32 exec_lo, exec_lo, s17
.LBB296_1383:                           ;   in Loop: Header=BB296_998 Depth=1
	s_delay_alu instid0(SALU_CYCLE_1)
	s_or_b32 exec_lo, exec_lo, s16
.LBB296_1384:                           ;   in Loop: Header=BB296_998 Depth=1
	s_delay_alu instid0(SALU_CYCLE_1)
	s_or_b32 exec_lo, exec_lo, s15
	v_cmp_lt_u64_e64 s0, s[2:3], v[32:33]
	v_mov_b32_e32 v32, 0
	s_and_saveexec_b32 s15, s0
	s_cbranch_execz .LBB296_1392
; %bb.1385:                             ;   in Loop: Header=BB296_998 Depth=1
	v_lshrrev_b32_e32 v6, 24, v33
	v_bfrev_b32_e32 v32, 1
	s_mov_b32 s16, exec_lo
	s_delay_alu instid0(VALU_DEP_2)
	v_cmpx_ne_u32_e32 0x80, v6
	s_cbranch_execz .LBB296_1391
; %bb.1386:                             ;   in Loop: Header=BB296_998 Depth=1
	v_and_b32_e32 v35, 0x7f, v6
	v_mov_b32_e32 v32, 0x7c010000
	s_mov_b32 s17, exec_lo
	s_delay_alu instid0(VALU_DEP_2)
	v_cmpx_ne_u32_e32 0x7f, v35
	s_cbranch_execz .LBB296_1390
; %bb.1387:                             ;   in Loop: Header=BB296_998 Depth=1
	v_dual_lshrrev_b32 v33, 3, v35 :: v_dual_bitop2_b32 v32, 7, v6 bitop3:0x40
	s_mov_b32 s18, exec_lo
	v_cmpx_gt_u32_e32 8, v35
; %bb.1388:                             ;   in Loop: Header=BB296_998 Depth=1
	s_delay_alu instid0(VALU_DEP_2) | instskip(NEXT) | instid1(VALU_DEP_1)
	v_clz_i32_u32_e32 v32, v32
	v_min_u32_e32 v35, 32, v32
	s_delay_alu instid0(VALU_DEP_1) | instskip(NEXT) | instid1(VALU_DEP_1)
	v_subrev_nc_u32_e32 v32, 28, v35
	v_lshlrev_b64_e32 v[32:33], v32, v[6:7]
	s_delay_alu instid0(VALU_DEP_1)
	v_dual_sub_nc_u32 v33, 29, v35 :: v_dual_bitop2_b32 v32, 7, v32 bitop3:0x40
; %bb.1389:                             ;   in Loop: Header=BB296_998 Depth=1
	s_or_b32 exec_lo, exec_lo, s18
	s_delay_alu instid0(VALU_DEP_1) | instskip(NEXT) | instid1(VALU_DEP_2)
	v_dual_lshlrev_b32 v6, 8, v6 :: v_dual_lshlrev_b32 v32, 23, v32
	v_lshl_add_u32 v33, v33, 10, 0x2000
	s_delay_alu instid0(VALU_DEP_1) | instskip(NEXT) | instid1(VALU_DEP_1)
	v_and_or_b32 v6, 0x8000, v6, v33
	v_lshl_or_b32 v32, v6, 16, v32
.LBB296_1390:                           ;   in Loop: Header=BB296_998 Depth=1
	s_or_b32 exec_lo, exec_lo, s17
.LBB296_1391:                           ;   in Loop: Header=BB296_998 Depth=1
	s_delay_alu instid0(SALU_CYCLE_1)
	s_or_b32 exec_lo, exec_lo, s16
.LBB296_1392:                           ;   in Loop: Header=BB296_998 Depth=1
	s_delay_alu instid0(SALU_CYCLE_1) | instskip(SKIP_4) | instid1(VALU_DEP_4)
	s_or_b32 exec_lo, exec_lo, s15
	v_dual_lshrrev_b32 v6, 16, v1 :: v_dual_lshrrev_b32 v33, 16, v19
	v_or_b32_e32 v1, v1, v18
	v_or_b32_e32 v22, v19, v22
	;; [unrolled: 1-line block ×3, first 2 shown]
	v_cvt_f32_f16_e32 v19, v6
	v_cvt_f32_f16_e32 v18, v33
	v_dual_lshrrev_b32 v31, 16, v34 :: v_dual_bitop2_b32 v6, v32, v31 bitop3:0x54
	v_lshrrev_b32_e32 v32, 16, v32
	v_cvt_f32_f16_e32 v23, v1
	s_delay_alu instid0(VALU_DEP_3) | instskip(SKIP_4) | instid1(VALU_DEP_3)
	v_cvt_f32_f16_e32 v34, v6
	s_wait_loadcnt_dscnt 0x0
	v_pk_mul_f32 v[18:19], v[30:31], v[18:19] op_sel_hi:[0,1]
	v_cvt_f32_f16_e32 v33, v31
	v_cvt_f32_f16_e32 v32, v32
	v_cvt_pk_f16_f32 v1, v18, v19
	s_delay_alu instid0(VALU_DEP_2) | instskip(NEXT) | instid1(VALU_DEP_2)
	v_pk_mul_f32 v[18:19], v[30:31], v[32:33] op_sel_hi:[0,1]
	v_lshlrev_b32_e32 v32, 16, v1
	v_cvt_f32_f16_e32 v22, v22
	v_and_b32_e32 v33, 0xffff0000, v1
	s_delay_alu instid0(VALU_DEP_4) | instskip(NEXT) | instid1(VALU_DEP_3)
	v_cvt_pk_f16_f32 v18, v18, v19
	v_pk_mul_f32 v[22:23], v[30:31], v[22:23] op_sel_hi:[0,1]
	s_delay_alu instid0(VALU_DEP_2) | instskip(NEXT) | instid1(VALU_DEP_2)
	v_and_b32_e32 v19, 0xffff0000, v18
	v_cvt_pk_f16_f32 v6, v22, v23
	s_delay_alu instid0(VALU_DEP_1) | instskip(SKIP_2) | instid1(VALU_DEP_3)
	v_lshrrev_b32_e32 v39, 16, v6
	v_cvt_f32_f16_e32 v35, v35
	v_and_b32_e32 v38, 0xffff, v6
	v_or_b32_e32 v37, v33, v39
	s_delay_alu instid0(VALU_DEP_3) | instskip(NEXT) | instid1(VALU_DEP_3)
	v_pk_mul_f32 v[30:31], v[30:31], v[34:35] op_sel_hi:[0,1]
	v_or_b32_e32 v36, v32, v38
	s_delay_alu instid0(VALU_DEP_2) | instskip(NEXT) | instid1(VALU_DEP_1)
	v_cvt_pk_f16_f32 v1, v30, v31
	v_dual_lshlrev_b32 v6, 16, v18 :: v_dual_lshrrev_b32 v31, 16, v1
	v_and_b32_e32 v30, 0xffff, v1
	s_delay_alu instid0(VALU_DEP_2) | instskip(NEXT) | instid1(VALU_DEP_2)
	v_or_b32_e32 v35, v19, v31
	v_or_b32_e32 v34, v6, v30
	s_and_saveexec_b32 s15, vcc_lo
	s_cbranch_execz .LBB296_1394
; %bb.1393:                             ;   in Loop: Header=BB296_998 Depth=1
	v_cmp_lt_i32_e64 s0, v53, v13
	s_delay_alu instid0(VALU_DEP_1) | instskip(SKIP_1) | instid1(VALU_DEP_1)
	v_cndmask_b32_e64 v1, 0, v39, s0
	v_cmp_lt_i32_e64 s0, v69, v58
	v_cndmask_b32_e64 v18, 0, v38, s0
	v_cmp_lt_i32_e64 s0, v68, v13
	s_delay_alu instid0(VALU_DEP_1) | instskip(SKIP_1) | instid1(VALU_DEP_1)
	v_cndmask_b32_e64 v22, 0, v33, s0
	v_cmp_lt_i32_e64 s0, v67, v58
	v_cndmask_b32_e64 v23, 0, v32, s0
	v_cmp_lt_i32_e64 s0, v66, v13
	s_delay_alu instid0(VALU_DEP_4) | instskip(NEXT) | instid1(VALU_DEP_3)
	v_or_b32_e32 v37, v1, v22
	v_or_b32_e32 v36, v18, v23
	s_delay_alu instid0(VALU_DEP_3) | instskip(SKIP_1) | instid1(VALU_DEP_1)
	v_cndmask_b32_e64 v31, 0, v31, s0
	v_cmp_lt_i32_e64 s0, v65, v58
	v_cndmask_b32_e64 v30, 0, v30, s0
	v_cmp_lt_i32_e64 s0, v64, v13
	s_delay_alu instid0(VALU_DEP_1) | instskip(SKIP_1) | instid1(VALU_DEP_1)
	v_cndmask_b32_e64 v19, 0, v19, s0
	v_cmp_lt_i32_e64 s0, v0, v58
	v_dual_cndmask_b32 v6, 0, v6, s0 :: v_dual_bitop2_b32 v35, v31, v19 bitop3:0x54
	s_delay_alu instid0(VALU_DEP_1)
	v_or_b32_e32 v34, v30, v6
.LBB296_1394:                           ;   in Loop: Header=BB296_998 Depth=1
	s_or_b32 exec_lo, exec_lo, s15
	;;#ASMSTART
	v_pk_mul_f16 v1, v81, v37;

	;;#ASMEND
	;;#ASMSTART
	v_pk_mul_f16 v6, v80, v36;

	;;#ASMEND
	;; [unrolled: 4-line block ×4, first 2 shown]
	;;#ASMSTART
	v_pk_add_f16 v1, v1, v6;

	;;#ASMEND
	;;#ASMSTART
	v_pk_add_f16 v1, v1, v18;

	;;#ASMEND
	;; [unrolled: 4-line block ×3, first 2 shown]
	v_and_b32_e32 v6, 0xffff, v1
	v_lshrrev_b32_e32 v1, 16, v1
	;;#ASMSTART
	v_cvt_f32_f16 v100, v6;
	;;#ASMEND
	;;#ASMSTART
	v_cvt_f32_f16 v101, v1;
	;;#ASMEND
	flat_load_b64 v[32:33], v[14:15] offset:1536
	scratch_load_b64 v[18:19], off, s32 offset:192 ; 8-byte Folded Reload
	v_mov_b32_e32 v1, 0
	s_mov_b32 s15, exec_lo
	s_wait_loadcnt_dscnt 0x100
	v_and_b32_e32 v6, 0xff, v32
	s_wait_loadcnt 0x0
	flat_load_b32 v30, v[18:19]
	s_wait_xcnt 0x0
	v_mov_b32_e32 v18, 0
	v_cmpx_ne_u16_e32 0, v6
	s_cbranch_execz .LBB296_1402
; %bb.1395:                             ;   in Loop: Header=BB296_998 Depth=1
	v_mov_b32_e32 v18, 0x8000
	s_mov_b32 s16, exec_lo
	v_cmpx_ne_u16_e32 0x80, v6
	s_cbranch_execz .LBB296_1401
; %bb.1396:                             ;   in Loop: Header=BB296_998 Depth=1
	v_and_b32_e32 v19, 0x7f, v32
	v_mov_b32_e32 v18, 0x7c01
	s_mov_b32 s17, exec_lo
	s_delay_alu instid0(VALU_DEP_2)
	v_cmpx_ne_u32_e32 0x7f, v19
	s_cbranch_execz .LBB296_1400
; %bb.1397:                             ;   in Loop: Header=BB296_998 Depth=1
	v_dual_lshrrev_b32 v18, 3, v19 :: v_dual_bitop2_b32 v6, 7, v32 bitop3:0x40
	s_mov_b32 s18, exec_lo
	v_cmpx_gt_u32_e32 8, v19
; %bb.1398:                             ;   in Loop: Header=BB296_998 Depth=1
	s_delay_alu instid0(VALU_DEP_2) | instskip(NEXT) | instid1(VALU_DEP_1)
	v_clz_i32_u32_e32 v6, v6
	v_min_u32_e32 v6, 32, v6
	s_delay_alu instid0(VALU_DEP_1) | instskip(NEXT) | instid1(VALU_DEP_1)
	v_subrev_nc_u32_e32 v18, 28, v6
	v_lshlrev_b64_e32 v[22:23], v18, v[32:33]
	v_sub_nc_u32_e32 v18, 29, v6
	s_delay_alu instid0(VALU_DEP_2)
	v_and_b32_e32 v6, 7, v22
; %bb.1399:                             ;   in Loop: Header=BB296_998 Depth=1
	s_or_b32 exec_lo, exec_lo, s18
	s_delay_alu instid0(VALU_DEP_1) | instskip(NEXT) | instid1(VALU_DEP_3)
	v_dual_lshlrev_b32 v19, 8, v32 :: v_dual_lshlrev_b32 v6, 7, v6
	v_lshl_add_u32 v18, v18, 10, 0x2000
	s_delay_alu instid0(VALU_DEP_2) | instskip(NEXT) | instid1(VALU_DEP_2)
	v_and_b32_e32 v19, 0x8000, v19
	v_and_b32_e32 v18, 0xfc00, v18
	s_delay_alu instid0(VALU_DEP_1)
	v_or3_b32 v18, v19, v18, v6
.LBB296_1400:                           ;   in Loop: Header=BB296_998 Depth=1
	s_or_b32 exec_lo, exec_lo, s17
.LBB296_1401:                           ;   in Loop: Header=BB296_998 Depth=1
	s_delay_alu instid0(SALU_CYCLE_1)
	s_or_b32 exec_lo, exec_lo, s16
.LBB296_1402:                           ;   in Loop: Header=BB296_998 Depth=1
	s_delay_alu instid0(SALU_CYCLE_1) | instskip(SKIP_2) | instid1(VALU_DEP_1)
	s_or_b32 exec_lo, exec_lo, s15
	v_lshrrev_b16 v6, 8, v32
	s_mov_b32 s15, exec_lo
	v_cmpx_ne_u16_e32 0, v6
	s_cbranch_execz .LBB296_1410
; %bb.1403:                             ;   in Loop: Header=BB296_998 Depth=1
	v_bfrev_b32_e32 v1, 1
	s_mov_b32 s16, exec_lo
	v_cmpx_ne_u16_e32 0x80, v6
	s_cbranch_execz .LBB296_1409
; %bb.1404:                             ;   in Loop: Header=BB296_998 Depth=1
	v_and_b32_e32 v19, 0xffff, v6
	v_mov_b32_e32 v1, 0x7c010000
	s_mov_b32 s17, exec_lo
	s_delay_alu instid0(VALU_DEP_2) | instskip(NEXT) | instid1(VALU_DEP_1)
	v_and_b32_e32 v23, 0x7f, v19
	v_cmpx_ne_u32_e32 0x7f, v23
	s_cbranch_execz .LBB296_1408
; %bb.1405:                             ;   in Loop: Header=BB296_998 Depth=1
	v_and_b32_e32 v1, 7, v19
	v_lshrrev_b32_e32 v22, 3, v23
	s_mov_b32 s18, exec_lo
	v_cmpx_gt_u32_e32 8, v23
; %bb.1406:                             ;   in Loop: Header=BB296_998 Depth=1
	s_delay_alu instid0(VALU_DEP_3) | instskip(NEXT) | instid1(VALU_DEP_1)
	v_clz_i32_u32_e32 v1, v1
	v_min_u32_e32 v1, 32, v1
	s_delay_alu instid0(VALU_DEP_1) | instskip(NEXT) | instid1(VALU_DEP_1)
	v_subrev_nc_u32_e32 v22, 28, v1
	v_lshlrev_b64_e32 v[34:35], v22, v[6:7]
	s_delay_alu instid0(VALU_DEP_1)
	v_dual_sub_nc_u32 v22, 29, v1 :: v_dual_bitop2_b32 v1, 7, v34 bitop3:0x40
; %bb.1407:                             ;   in Loop: Header=BB296_998 Depth=1
	s_or_b32 exec_lo, exec_lo, s18
	s_delay_alu instid0(VALU_DEP_1) | instskip(NEXT) | instid1(VALU_DEP_2)
	v_dual_lshlrev_b32 v6, 8, v19 :: v_dual_lshlrev_b32 v1, 23, v1
	v_lshl_add_u32 v19, v22, 10, 0x2000
	s_delay_alu instid0(VALU_DEP_1) | instskip(NEXT) | instid1(VALU_DEP_1)
	v_and_or_b32 v6, 0x8000, v6, v19
	v_lshl_or_b32 v1, v6, 16, v1
.LBB296_1408:                           ;   in Loop: Header=BB296_998 Depth=1
	s_or_b32 exec_lo, exec_lo, s17
.LBB296_1409:                           ;   in Loop: Header=BB296_998 Depth=1
	s_delay_alu instid0(SALU_CYCLE_1)
	s_or_b32 exec_lo, exec_lo, s16
.LBB296_1410:                           ;   in Loop: Header=BB296_998 Depth=1
	s_delay_alu instid0(SALU_CYCLE_1) | instskip(SKIP_3) | instid1(VALU_DEP_2)
	s_or_b32 exec_lo, exec_lo, s15
	v_dual_mov_b32 v19, 0 :: v_dual_lshrrev_b32 v6, 16, v32
	v_mov_b32_e32 v22, 0
	s_mov_b32 s15, exec_lo
	v_and_b32_e32 v23, 0xff, v6
	s_delay_alu instid0(VALU_DEP_1)
	v_cmpx_ne_u16_e32 0, v23
	s_cbranch_execz .LBB296_1418
; %bb.1411:                             ;   in Loop: Header=BB296_998 Depth=1
	v_mov_b32_e32 v22, 0x8000
	s_mov_b32 s16, exec_lo
	v_cmpx_ne_u16_e32 0x80, v23
	s_cbranch_execz .LBB296_1417
; %bb.1412:                             ;   in Loop: Header=BB296_998 Depth=1
	v_bfe_u32 v31, v32, 16, 7
	v_mov_b32_e32 v22, 0x7c01
	s_mov_b32 s17, exec_lo
	s_delay_alu instid0(VALU_DEP_2)
	v_cmpx_ne_u32_e32 0x7f, v31
	s_cbranch_execz .LBB296_1416
; %bb.1413:                             ;   in Loop: Header=BB296_998 Depth=1
	v_dual_lshrrev_b32 v23, 3, v31 :: v_dual_bitop2_b32 v22, 7, v6 bitop3:0x40
	s_mov_b32 s18, exec_lo
	v_cmpx_gt_u32_e32 8, v31
; %bb.1414:                             ;   in Loop: Header=BB296_998 Depth=1
	s_delay_alu instid0(VALU_DEP_2) | instskip(NEXT) | instid1(VALU_DEP_1)
	v_clz_i32_u32_e32 v22, v22
	v_min_u32_e32 v31, 32, v22
	s_delay_alu instid0(VALU_DEP_1) | instskip(NEXT) | instid1(VALU_DEP_1)
	v_subrev_nc_u32_e32 v22, 28, v31
	v_lshlrev_b64_e32 v[22:23], v22, v[6:7]
	s_delay_alu instid0(VALU_DEP_1)
	v_dual_sub_nc_u32 v23, 29, v31 :: v_dual_bitop2_b32 v22, 7, v22 bitop3:0x40
; %bb.1415:                             ;   in Loop: Header=BB296_998 Depth=1
	s_or_b32 exec_lo, exec_lo, s18
	v_lshlrev_b32_e32 v6, 8, v6
	s_delay_alu instid0(VALU_DEP_2) | instskip(NEXT) | instid1(VALU_DEP_3)
	v_lshl_add_u32 v23, v23, 10, 0x2000
	v_lshlrev_b32_e32 v22, 7, v22
	s_delay_alu instid0(VALU_DEP_3) | instskip(NEXT) | instid1(VALU_DEP_3)
	v_and_b32_e32 v6, 0x8000, v6
	v_and_b32_e32 v23, 0xfc00, v23
	s_delay_alu instid0(VALU_DEP_1)
	v_or3_b32 v22, v6, v23, v22
.LBB296_1416:                           ;   in Loop: Header=BB296_998 Depth=1
	s_or_b32 exec_lo, exec_lo, s17
.LBB296_1417:                           ;   in Loop: Header=BB296_998 Depth=1
	s_delay_alu instid0(SALU_CYCLE_1)
	s_or_b32 exec_lo, exec_lo, s16
.LBB296_1418:                           ;   in Loop: Header=BB296_998 Depth=1
	s_delay_alu instid0(SALU_CYCLE_1) | instskip(NEXT) | instid1(SALU_CYCLE_1)
	s_or_b32 exec_lo, exec_lo, s15
	s_mov_b32 s15, exec_lo
	v_cmpx_lt_u32_e32 0xffffff, v32
	s_cbranch_execz .LBB296_1426
; %bb.1419:                             ;   in Loop: Header=BB296_998 Depth=1
	v_lshrrev_b32_e32 v6, 24, v32
	v_bfrev_b32_e32 v19, 1
	s_mov_b32 s16, exec_lo
	s_delay_alu instid0(VALU_DEP_2)
	v_cmpx_ne_u32_e32 0x80, v6
	s_cbranch_execz .LBB296_1425
; %bb.1420:                             ;   in Loop: Header=BB296_998 Depth=1
	v_and_b32_e32 v31, 0x7f, v6
	v_mov_b32_e32 v19, 0x7c010000
	s_mov_b32 s17, exec_lo
	s_delay_alu instid0(VALU_DEP_2)
	v_cmpx_ne_u32_e32 0x7f, v31
	s_cbranch_execz .LBB296_1424
; %bb.1421:                             ;   in Loop: Header=BB296_998 Depth=1
	v_dual_lshrrev_b32 v23, 3, v31 :: v_dual_bitop2_b32 v19, 7, v6 bitop3:0x40
	s_mov_b32 s18, exec_lo
	v_cmpx_gt_u32_e32 8, v31
; %bb.1422:                             ;   in Loop: Header=BB296_998 Depth=1
	s_delay_alu instid0(VALU_DEP_2) | instskip(NEXT) | instid1(VALU_DEP_1)
	v_clz_i32_u32_e32 v19, v19
	v_min_u32_e32 v19, 32, v19
	s_delay_alu instid0(VALU_DEP_1) | instskip(NEXT) | instid1(VALU_DEP_1)
	v_subrev_nc_u32_e32 v23, 28, v19
	v_lshlrev_b64_e32 v[34:35], v23, v[6:7]
	s_delay_alu instid0(VALU_DEP_1)
	v_dual_sub_nc_u32 v23, 29, v19 :: v_dual_bitop2_b32 v19, 7, v34 bitop3:0x40
; %bb.1423:                             ;   in Loop: Header=BB296_998 Depth=1
	s_or_b32 exec_lo, exec_lo, s18
	s_delay_alu instid0(VALU_DEP_1) | instskip(NEXT) | instid1(VALU_DEP_2)
	v_dual_lshlrev_b32 v6, 8, v6 :: v_dual_lshlrev_b32 v19, 23, v19
	v_lshl_add_u32 v23, v23, 10, 0x2000
	s_delay_alu instid0(VALU_DEP_1) | instskip(NEXT) | instid1(VALU_DEP_1)
	v_and_or_b32 v6, 0x8000, v6, v23
	v_lshl_or_b32 v19, v6, 16, v19
.LBB296_1424:                           ;   in Loop: Header=BB296_998 Depth=1
	s_or_b32 exec_lo, exec_lo, s17
.LBB296_1425:                           ;   in Loop: Header=BB296_998 Depth=1
	s_delay_alu instid0(SALU_CYCLE_1)
	s_or_b32 exec_lo, exec_lo, s16
.LBB296_1426:                           ;   in Loop: Header=BB296_998 Depth=1
	s_delay_alu instid0(SALU_CYCLE_1) | instskip(SKIP_4) | instid1(VALU_DEP_3)
	s_or_b32 exec_lo, exec_lo, s15
	v_and_b32_e32 v34, 0xff, v33
	v_dual_mov_b32 v6, v33 :: v_dual_mov_b32 v31, 0
	v_mov_b32_e32 v23, 0
	s_mov_b32 s15, exec_lo
	v_cmpx_ne_u16_e32 0, v34
	s_cbranch_execz .LBB296_1434
; %bb.1427:                             ;   in Loop: Header=BB296_998 Depth=1
	v_mov_b32_e32 v23, 0x8000
	s_mov_b32 s16, exec_lo
	v_cmpx_ne_u16_e32 0x80, v34
	s_cbranch_execz .LBB296_1433
; %bb.1428:                             ;   in Loop: Header=BB296_998 Depth=1
	v_and_b32_e32 v35, 0x7f, v33
	v_mov_b32_e32 v23, 0x7c01
	s_mov_b32 s17, exec_lo
	s_delay_alu instid0(VALU_DEP_2)
	v_cmpx_ne_u32_e32 0x7f, v35
	s_cbranch_execz .LBB296_1432
; %bb.1429:                             ;   in Loop: Header=BB296_998 Depth=1
	v_dual_lshrrev_b32 v34, 3, v35 :: v_dual_bitop2_b32 v23, 7, v33 bitop3:0x40
	s_mov_b32 s18, exec_lo
	v_cmpx_gt_u32_e32 8, v35
; %bb.1430:                             ;   in Loop: Header=BB296_998 Depth=1
	s_delay_alu instid0(VALU_DEP_2) | instskip(NEXT) | instid1(VALU_DEP_1)
	v_clz_i32_u32_e32 v23, v23
	v_min_u32_e32 v23, 32, v23
	s_delay_alu instid0(VALU_DEP_1) | instskip(NEXT) | instid1(VALU_DEP_1)
	v_subrev_nc_u32_e32 v34, 28, v23
	v_lshlrev_b64_e32 v[36:37], v34, v[6:7]
	s_delay_alu instid0(VALU_DEP_1)
	v_dual_sub_nc_u32 v34, 29, v23 :: v_dual_bitop2_b32 v23, 7, v36 bitop3:0x40
; %bb.1431:                             ;   in Loop: Header=BB296_998 Depth=1
	s_or_b32 exec_lo, exec_lo, s18
	s_delay_alu instid0(VALU_DEP_1) | instskip(NEXT) | instid1(VALU_DEP_2)
	v_dual_lshlrev_b32 v35, 8, v33 :: v_dual_lshlrev_b32 v23, 7, v23
	v_lshl_add_u32 v34, v34, 10, 0x2000
	s_delay_alu instid0(VALU_DEP_2) | instskip(NEXT) | instid1(VALU_DEP_2)
	v_and_b32_e32 v35, 0x8000, v35
	v_and_b32_e32 v34, 0xfc00, v34
	s_delay_alu instid0(VALU_DEP_1)
	v_or3_b32 v23, v35, v34, v23
.LBB296_1432:                           ;   in Loop: Header=BB296_998 Depth=1
	s_or_b32 exec_lo, exec_lo, s17
.LBB296_1433:                           ;   in Loop: Header=BB296_998 Depth=1
	s_delay_alu instid0(SALU_CYCLE_1)
	s_or_b32 exec_lo, exec_lo, s16
.LBB296_1434:                           ;   in Loop: Header=BB296_998 Depth=1
	s_delay_alu instid0(SALU_CYCLE_1) | instskip(SKIP_3) | instid1(VALU_DEP_2)
	s_or_b32 exec_lo, exec_lo, s15
	v_lshrrev_b16 v6, 8, v6
	v_mov_b32_e32 v34, 0
	s_mov_b32 s15, exec_lo
	v_cmpx_ne_u16_e32 0, v6
	s_cbranch_execz .LBB296_1442
; %bb.1435:                             ;   in Loop: Header=BB296_998 Depth=1
	v_bfrev_b32_e32 v34, 1
	s_mov_b32 s16, exec_lo
	v_cmpx_ne_u16_e32 0x80, v6
	s_cbranch_execz .LBB296_1441
; %bb.1436:                             ;   in Loop: Header=BB296_998 Depth=1
	v_and_b32_e32 v35, 0xffff, v6
	v_mov_b32_e32 v34, 0x7c010000
	s_mov_b32 s17, exec_lo
	s_delay_alu instid0(VALU_DEP_2) | instskip(NEXT) | instid1(VALU_DEP_1)
	v_and_b32_e32 v37, 0x7f, v35
	v_cmpx_ne_u32_e32 0x7f, v37
	s_cbranch_execz .LBB296_1440
; %bb.1437:                             ;   in Loop: Header=BB296_998 Depth=1
	v_dual_lshrrev_b32 v36, 3, v37 :: v_dual_bitop2_b32 v34, 7, v35 bitop3:0x40
	s_mov_b32 s18, exec_lo
	v_cmpx_gt_u32_e32 8, v37
; %bb.1438:                             ;   in Loop: Header=BB296_998 Depth=1
	s_delay_alu instid0(VALU_DEP_2) | instskip(NEXT) | instid1(VALU_DEP_1)
	v_clz_i32_u32_e32 v34, v34
	v_min_u32_e32 v34, 32, v34
	s_delay_alu instid0(VALU_DEP_1) | instskip(NEXT) | instid1(VALU_DEP_1)
	v_subrev_nc_u32_e32 v36, 28, v34
	v_lshlrev_b64_e32 v[38:39], v36, v[6:7]
	v_sub_nc_u32_e32 v36, 29, v34
	s_delay_alu instid0(VALU_DEP_2)
	v_and_b32_e32 v34, 7, v38
; %bb.1439:                             ;   in Loop: Header=BB296_998 Depth=1
	s_or_b32 exec_lo, exec_lo, s18
	s_delay_alu instid0(VALU_DEP_1) | instskip(NEXT) | instid1(VALU_DEP_3)
	v_dual_lshlrev_b32 v6, 8, v35 :: v_dual_lshlrev_b32 v34, 23, v34
	v_lshl_add_u32 v35, v36, 10, 0x2000
	s_delay_alu instid0(VALU_DEP_1) | instskip(NEXT) | instid1(VALU_DEP_1)
	v_and_or_b32 v6, 0x8000, v6, v35
	v_lshl_or_b32 v34, v6, 16, v34
.LBB296_1440:                           ;   in Loop: Header=BB296_998 Depth=1
	s_or_b32 exec_lo, exec_lo, s17
.LBB296_1441:                           ;   in Loop: Header=BB296_998 Depth=1
	s_delay_alu instid0(SALU_CYCLE_1)
	s_or_b32 exec_lo, exec_lo, s16
.LBB296_1442:                           ;   in Loop: Header=BB296_998 Depth=1
	s_delay_alu instid0(SALU_CYCLE_1) | instskip(SKIP_2) | instid1(VALU_DEP_1)
	s_or_b32 exec_lo, exec_lo, s15
	v_lshrrev_b32_e32 v6, 16, v33
	s_mov_b32 s15, exec_lo
	v_and_b32_e32 v35, 0xff, v6
	s_delay_alu instid0(VALU_DEP_1)
	v_cmpx_ne_u16_e32 0, v35
	s_cbranch_execz .LBB296_1450
; %bb.1443:                             ;   in Loop: Header=BB296_998 Depth=1
	v_mov_b32_e32 v31, 0x8000
	s_mov_b32 s16, exec_lo
	v_cmpx_ne_u16_e32 0x80, v35
	s_cbranch_execz .LBB296_1449
; %bb.1444:                             ;   in Loop: Header=BB296_998 Depth=1
	v_bfe_u32 v36, v33, 16, 7
	v_mov_b32_e32 v31, 0x7c01
	s_mov_b32 s17, exec_lo
	s_delay_alu instid0(VALU_DEP_2)
	v_cmpx_ne_u32_e32 0x7f, v36
	s_cbranch_execz .LBB296_1448
; %bb.1445:                             ;   in Loop: Header=BB296_998 Depth=1
	v_dual_lshrrev_b32 v35, 3, v36 :: v_dual_bitop2_b32 v31, 7, v6 bitop3:0x40
	s_mov_b32 s18, exec_lo
	v_cmpx_gt_u32_e32 8, v36
; %bb.1446:                             ;   in Loop: Header=BB296_998 Depth=1
	s_delay_alu instid0(VALU_DEP_2) | instskip(NEXT) | instid1(VALU_DEP_1)
	v_clz_i32_u32_e32 v31, v31
	v_min_u32_e32 v31, 32, v31
	s_delay_alu instid0(VALU_DEP_1) | instskip(NEXT) | instid1(VALU_DEP_1)
	v_subrev_nc_u32_e32 v35, 28, v31
	v_lshlrev_b64_e32 v[36:37], v35, v[6:7]
	s_delay_alu instid0(VALU_DEP_1)
	v_dual_sub_nc_u32 v35, 29, v31 :: v_dual_bitop2_b32 v31, 7, v36 bitop3:0x40
; %bb.1447:                             ;   in Loop: Header=BB296_998 Depth=1
	s_or_b32 exec_lo, exec_lo, s18
	s_delay_alu instid0(VALU_DEP_1) | instskip(NEXT) | instid1(VALU_DEP_2)
	v_dual_lshlrev_b32 v6, 8, v6 :: v_dual_lshlrev_b32 v31, 7, v31
	v_lshl_add_u32 v35, v35, 10, 0x2000
	s_delay_alu instid0(VALU_DEP_2) | instskip(NEXT) | instid1(VALU_DEP_2)
	v_and_b32_e32 v6, 0x8000, v6
	v_and_b32_e32 v35, 0xfc00, v35
	s_delay_alu instid0(VALU_DEP_1)
	v_or3_b32 v31, v6, v35, v31
.LBB296_1448:                           ;   in Loop: Header=BB296_998 Depth=1
	s_or_b32 exec_lo, exec_lo, s17
.LBB296_1449:                           ;   in Loop: Header=BB296_998 Depth=1
	s_delay_alu instid0(SALU_CYCLE_1)
	s_or_b32 exec_lo, exec_lo, s16
.LBB296_1450:                           ;   in Loop: Header=BB296_998 Depth=1
	s_delay_alu instid0(SALU_CYCLE_1)
	s_or_b32 exec_lo, exec_lo, s15
	v_cmp_lt_u64_e64 s0, s[2:3], v[32:33]
	v_mov_b32_e32 v32, 0
	s_and_saveexec_b32 s15, s0
	s_cbranch_execz .LBB296_1458
; %bb.1451:                             ;   in Loop: Header=BB296_998 Depth=1
	v_lshrrev_b32_e32 v6, 24, v33
	v_bfrev_b32_e32 v32, 1
	s_mov_b32 s16, exec_lo
	s_delay_alu instid0(VALU_DEP_2)
	v_cmpx_ne_u32_e32 0x80, v6
	s_cbranch_execz .LBB296_1457
; %bb.1452:                             ;   in Loop: Header=BB296_998 Depth=1
	v_and_b32_e32 v35, 0x7f, v6
	v_mov_b32_e32 v32, 0x7c010000
	s_mov_b32 s17, exec_lo
	s_delay_alu instid0(VALU_DEP_2)
	v_cmpx_ne_u32_e32 0x7f, v35
	s_cbranch_execz .LBB296_1456
; %bb.1453:                             ;   in Loop: Header=BB296_998 Depth=1
	v_dual_lshrrev_b32 v33, 3, v35 :: v_dual_bitop2_b32 v32, 7, v6 bitop3:0x40
	s_mov_b32 s18, exec_lo
	v_cmpx_gt_u32_e32 8, v35
; %bb.1454:                             ;   in Loop: Header=BB296_998 Depth=1
	s_delay_alu instid0(VALU_DEP_2) | instskip(NEXT) | instid1(VALU_DEP_1)
	v_clz_i32_u32_e32 v32, v32
	v_min_u32_e32 v35, 32, v32
	s_delay_alu instid0(VALU_DEP_1) | instskip(NEXT) | instid1(VALU_DEP_1)
	v_subrev_nc_u32_e32 v32, 28, v35
	v_lshlrev_b64_e32 v[32:33], v32, v[6:7]
	s_delay_alu instid0(VALU_DEP_1)
	v_dual_sub_nc_u32 v33, 29, v35 :: v_dual_bitop2_b32 v32, 7, v32 bitop3:0x40
; %bb.1455:                             ;   in Loop: Header=BB296_998 Depth=1
	s_or_b32 exec_lo, exec_lo, s18
	s_delay_alu instid0(VALU_DEP_1) | instskip(NEXT) | instid1(VALU_DEP_2)
	v_dual_lshlrev_b32 v6, 8, v6 :: v_dual_lshlrev_b32 v32, 23, v32
	v_lshl_add_u32 v33, v33, 10, 0x2000
	s_delay_alu instid0(VALU_DEP_1) | instskip(NEXT) | instid1(VALU_DEP_1)
	v_and_or_b32 v6, 0x8000, v6, v33
	v_lshl_or_b32 v32, v6, 16, v32
.LBB296_1456:                           ;   in Loop: Header=BB296_998 Depth=1
	s_or_b32 exec_lo, exec_lo, s17
.LBB296_1457:                           ;   in Loop: Header=BB296_998 Depth=1
	s_delay_alu instid0(SALU_CYCLE_1)
	s_or_b32 exec_lo, exec_lo, s16
.LBB296_1458:                           ;   in Loop: Header=BB296_998 Depth=1
	s_delay_alu instid0(SALU_CYCLE_1) | instskip(SKIP_4) | instid1(VALU_DEP_4)
	s_or_b32 exec_lo, exec_lo, s15
	v_dual_lshrrev_b32 v6, 16, v1 :: v_dual_lshrrev_b32 v33, 16, v19
	v_or_b32_e32 v1, v1, v18
	v_or_b32_e32 v22, v19, v22
	;; [unrolled: 1-line block ×3, first 2 shown]
	v_cvt_f32_f16_e32 v19, v6
	v_cvt_f32_f16_e32 v18, v33
	v_dual_lshrrev_b32 v31, 16, v34 :: v_dual_bitop2_b32 v6, v32, v31 bitop3:0x54
	v_lshrrev_b32_e32 v32, 16, v32
	v_cvt_f32_f16_e32 v23, v1
	s_delay_alu instid0(VALU_DEP_3) | instskip(SKIP_4) | instid1(VALU_DEP_3)
	v_cvt_f32_f16_e32 v34, v6
	s_wait_loadcnt_dscnt 0x0
	v_pk_mul_f32 v[18:19], v[30:31], v[18:19] op_sel_hi:[0,1]
	v_cvt_f32_f16_e32 v33, v31
	v_cvt_f32_f16_e32 v32, v32
	v_cvt_pk_f16_f32 v1, v18, v19
	s_delay_alu instid0(VALU_DEP_2) | instskip(NEXT) | instid1(VALU_DEP_2)
	v_pk_mul_f32 v[18:19], v[30:31], v[32:33] op_sel_hi:[0,1]
	v_lshlrev_b32_e32 v32, 16, v1
	v_cvt_f32_f16_e32 v22, v22
	v_and_b32_e32 v33, 0xffff0000, v1
	s_delay_alu instid0(VALU_DEP_4) | instskip(NEXT) | instid1(VALU_DEP_3)
	v_cvt_pk_f16_f32 v18, v18, v19
	v_pk_mul_f32 v[22:23], v[30:31], v[22:23] op_sel_hi:[0,1]
	s_delay_alu instid0(VALU_DEP_2) | instskip(NEXT) | instid1(VALU_DEP_2)
	v_and_b32_e32 v19, 0xffff0000, v18
	v_cvt_pk_f16_f32 v6, v22, v23
	s_delay_alu instid0(VALU_DEP_1) | instskip(SKIP_2) | instid1(VALU_DEP_3)
	v_lshrrev_b32_e32 v39, 16, v6
	v_cvt_f32_f16_e32 v35, v35
	v_and_b32_e32 v38, 0xffff, v6
	v_or_b32_e32 v37, v33, v39
	s_delay_alu instid0(VALU_DEP_3) | instskip(NEXT) | instid1(VALU_DEP_3)
	v_pk_mul_f32 v[30:31], v[30:31], v[34:35] op_sel_hi:[0,1]
	v_or_b32_e32 v36, v32, v38
	s_delay_alu instid0(VALU_DEP_2) | instskip(NEXT) | instid1(VALU_DEP_1)
	v_cvt_pk_f16_f32 v1, v30, v31
	v_dual_lshlrev_b32 v6, 16, v18 :: v_dual_lshrrev_b32 v31, 16, v1
	v_and_b32_e32 v30, 0xffff, v1
	s_delay_alu instid0(VALU_DEP_2) | instskip(NEXT) | instid1(VALU_DEP_2)
	v_or_b32_e32 v35, v19, v31
	v_or_b32_e32 v34, v6, v30
	s_and_saveexec_b32 s15, vcc_lo
	s_cbranch_execz .LBB296_1460
; %bb.1459:                             ;   in Loop: Header=BB296_998 Depth=1
	v_cmp_lt_i32_e64 s0, v53, v13
	s_delay_alu instid0(VALU_DEP_1) | instskip(SKIP_1) | instid1(VALU_DEP_1)
	v_cndmask_b32_e64 v1, 0, v39, s0
	v_cmp_lt_i32_e64 s0, v69, v58
	v_cndmask_b32_e64 v18, 0, v38, s0
	v_cmp_lt_i32_e64 s0, v68, v13
	s_delay_alu instid0(VALU_DEP_1) | instskip(SKIP_1) | instid1(VALU_DEP_1)
	v_cndmask_b32_e64 v22, 0, v33, s0
	v_cmp_lt_i32_e64 s0, v67, v58
	v_cndmask_b32_e64 v23, 0, v32, s0
	v_cmp_lt_i32_e64 s0, v66, v13
	s_delay_alu instid0(VALU_DEP_4) | instskip(NEXT) | instid1(VALU_DEP_3)
	v_or_b32_e32 v37, v1, v22
	v_or_b32_e32 v36, v18, v23
	s_delay_alu instid0(VALU_DEP_3) | instskip(SKIP_1) | instid1(VALU_DEP_1)
	v_cndmask_b32_e64 v31, 0, v31, s0
	v_cmp_lt_i32_e64 s0, v65, v58
	v_cndmask_b32_e64 v30, 0, v30, s0
	v_cmp_lt_i32_e64 s0, v64, v13
	s_delay_alu instid0(VALU_DEP_1) | instskip(SKIP_1) | instid1(VALU_DEP_1)
	v_cndmask_b32_e64 v19, 0, v19, s0
	v_cmp_lt_i32_e64 s0, v0, v58
	v_dual_cndmask_b32 v6, 0, v6, s0 :: v_dual_bitop2_b32 v35, v31, v19 bitop3:0x54
	s_delay_alu instid0(VALU_DEP_1)
	v_or_b32_e32 v34, v30, v6
.LBB296_1460:                           ;   in Loop: Header=BB296_998 Depth=1
	s_or_b32 exec_lo, exec_lo, s15
	;;#ASMSTART
	v_pk_mul_f16 v1, v81, v37;

	;;#ASMEND
	;;#ASMSTART
	v_pk_mul_f16 v6, v80, v36;

	;;#ASMEND
	;; [unrolled: 4-line block ×4, first 2 shown]
	;;#ASMSTART
	v_pk_add_f16 v1, v1, v6;

	;;#ASMEND
	;;#ASMSTART
	v_pk_add_f16 v1, v1, v18;

	;;#ASMEND
	;; [unrolled: 4-line block ×3, first 2 shown]
	v_and_b32_e32 v6, 0xffff, v1
	v_lshrrev_b32_e32 v1, 16, v1
	;;#ASMSTART
	v_cvt_f32_f16 v102, v6;
	;;#ASMEND
	;;#ASMSTART
	v_cvt_f32_f16 v103, v1;
	;;#ASMEND
	flat_load_b64 v[32:33], v[14:15] offset:1792
	scratch_load_b64 v[18:19], off, s32 offset:192 ; 8-byte Folded Reload
	v_mov_b32_e32 v1, 0
	s_mov_b32 s15, exec_lo
	s_wait_loadcnt_dscnt 0x100
	v_and_b32_e32 v6, 0xff, v32
	s_wait_loadcnt 0x0
	flat_load_b32 v30, v[18:19]
	s_wait_xcnt 0x0
	v_mov_b32_e32 v18, 0
	v_cmpx_ne_u16_e32 0, v6
	s_cbranch_execz .LBB296_1468
; %bb.1461:                             ;   in Loop: Header=BB296_998 Depth=1
	v_mov_b32_e32 v18, 0x8000
	s_mov_b32 s16, exec_lo
	v_cmpx_ne_u16_e32 0x80, v6
	s_cbranch_execz .LBB296_1467
; %bb.1462:                             ;   in Loop: Header=BB296_998 Depth=1
	v_and_b32_e32 v19, 0x7f, v32
	v_mov_b32_e32 v18, 0x7c01
	s_mov_b32 s17, exec_lo
	s_delay_alu instid0(VALU_DEP_2)
	v_cmpx_ne_u32_e32 0x7f, v19
	s_cbranch_execz .LBB296_1466
; %bb.1463:                             ;   in Loop: Header=BB296_998 Depth=1
	v_dual_lshrrev_b32 v18, 3, v19 :: v_dual_bitop2_b32 v6, 7, v32 bitop3:0x40
	s_mov_b32 s18, exec_lo
	v_cmpx_gt_u32_e32 8, v19
; %bb.1464:                             ;   in Loop: Header=BB296_998 Depth=1
	s_delay_alu instid0(VALU_DEP_2) | instskip(NEXT) | instid1(VALU_DEP_1)
	v_clz_i32_u32_e32 v6, v6
	v_min_u32_e32 v6, 32, v6
	s_delay_alu instid0(VALU_DEP_1) | instskip(NEXT) | instid1(VALU_DEP_1)
	v_subrev_nc_u32_e32 v18, 28, v6
	v_lshlrev_b64_e32 v[22:23], v18, v[32:33]
	v_sub_nc_u32_e32 v18, 29, v6
	s_delay_alu instid0(VALU_DEP_2)
	v_and_b32_e32 v6, 7, v22
; %bb.1465:                             ;   in Loop: Header=BB296_998 Depth=1
	s_or_b32 exec_lo, exec_lo, s18
	s_delay_alu instid0(VALU_DEP_1) | instskip(NEXT) | instid1(VALU_DEP_3)
	v_dual_lshlrev_b32 v19, 8, v32 :: v_dual_lshlrev_b32 v6, 7, v6
	v_lshl_add_u32 v18, v18, 10, 0x2000
	s_delay_alu instid0(VALU_DEP_2) | instskip(NEXT) | instid1(VALU_DEP_2)
	v_and_b32_e32 v19, 0x8000, v19
	v_and_b32_e32 v18, 0xfc00, v18
	s_delay_alu instid0(VALU_DEP_1)
	v_or3_b32 v18, v19, v18, v6
.LBB296_1466:                           ;   in Loop: Header=BB296_998 Depth=1
	s_or_b32 exec_lo, exec_lo, s17
.LBB296_1467:                           ;   in Loop: Header=BB296_998 Depth=1
	s_delay_alu instid0(SALU_CYCLE_1)
	s_or_b32 exec_lo, exec_lo, s16
.LBB296_1468:                           ;   in Loop: Header=BB296_998 Depth=1
	s_delay_alu instid0(SALU_CYCLE_1) | instskip(SKIP_2) | instid1(VALU_DEP_1)
	s_or_b32 exec_lo, exec_lo, s15
	v_lshrrev_b16 v6, 8, v32
	s_mov_b32 s15, exec_lo
	v_cmpx_ne_u16_e32 0, v6
	s_cbranch_execz .LBB296_1476
; %bb.1469:                             ;   in Loop: Header=BB296_998 Depth=1
	v_bfrev_b32_e32 v1, 1
	s_mov_b32 s16, exec_lo
	v_cmpx_ne_u16_e32 0x80, v6
	s_cbranch_execz .LBB296_1475
; %bb.1470:                             ;   in Loop: Header=BB296_998 Depth=1
	v_and_b32_e32 v19, 0xffff, v6
	v_mov_b32_e32 v1, 0x7c010000
	s_mov_b32 s17, exec_lo
	s_delay_alu instid0(VALU_DEP_2) | instskip(NEXT) | instid1(VALU_DEP_1)
	v_and_b32_e32 v23, 0x7f, v19
	v_cmpx_ne_u32_e32 0x7f, v23
	s_cbranch_execz .LBB296_1474
; %bb.1471:                             ;   in Loop: Header=BB296_998 Depth=1
	v_and_b32_e32 v1, 7, v19
	v_lshrrev_b32_e32 v22, 3, v23
	s_mov_b32 s18, exec_lo
	v_cmpx_gt_u32_e32 8, v23
; %bb.1472:                             ;   in Loop: Header=BB296_998 Depth=1
	s_delay_alu instid0(VALU_DEP_3) | instskip(NEXT) | instid1(VALU_DEP_1)
	v_clz_i32_u32_e32 v1, v1
	v_min_u32_e32 v1, 32, v1
	s_delay_alu instid0(VALU_DEP_1) | instskip(NEXT) | instid1(VALU_DEP_1)
	v_subrev_nc_u32_e32 v22, 28, v1
	v_lshlrev_b64_e32 v[34:35], v22, v[6:7]
	s_delay_alu instid0(VALU_DEP_1)
	v_dual_sub_nc_u32 v22, 29, v1 :: v_dual_bitop2_b32 v1, 7, v34 bitop3:0x40
; %bb.1473:                             ;   in Loop: Header=BB296_998 Depth=1
	s_or_b32 exec_lo, exec_lo, s18
	s_delay_alu instid0(VALU_DEP_1) | instskip(NEXT) | instid1(VALU_DEP_2)
	v_dual_lshlrev_b32 v6, 8, v19 :: v_dual_lshlrev_b32 v1, 23, v1
	v_lshl_add_u32 v19, v22, 10, 0x2000
	s_delay_alu instid0(VALU_DEP_1) | instskip(NEXT) | instid1(VALU_DEP_1)
	v_and_or_b32 v6, 0x8000, v6, v19
	v_lshl_or_b32 v1, v6, 16, v1
.LBB296_1474:                           ;   in Loop: Header=BB296_998 Depth=1
	s_or_b32 exec_lo, exec_lo, s17
.LBB296_1475:                           ;   in Loop: Header=BB296_998 Depth=1
	s_delay_alu instid0(SALU_CYCLE_1)
	s_or_b32 exec_lo, exec_lo, s16
.LBB296_1476:                           ;   in Loop: Header=BB296_998 Depth=1
	s_delay_alu instid0(SALU_CYCLE_1) | instskip(SKIP_3) | instid1(VALU_DEP_2)
	s_or_b32 exec_lo, exec_lo, s15
	v_dual_mov_b32 v19, 0 :: v_dual_lshrrev_b32 v6, 16, v32
	v_mov_b32_e32 v22, 0
	s_mov_b32 s15, exec_lo
	v_and_b32_e32 v23, 0xff, v6
	s_delay_alu instid0(VALU_DEP_1)
	v_cmpx_ne_u16_e32 0, v23
	s_cbranch_execz .LBB296_1484
; %bb.1477:                             ;   in Loop: Header=BB296_998 Depth=1
	v_mov_b32_e32 v22, 0x8000
	s_mov_b32 s16, exec_lo
	v_cmpx_ne_u16_e32 0x80, v23
	s_cbranch_execz .LBB296_1483
; %bb.1478:                             ;   in Loop: Header=BB296_998 Depth=1
	v_bfe_u32 v31, v32, 16, 7
	v_mov_b32_e32 v22, 0x7c01
	s_mov_b32 s17, exec_lo
	s_delay_alu instid0(VALU_DEP_2)
	v_cmpx_ne_u32_e32 0x7f, v31
	s_cbranch_execz .LBB296_1482
; %bb.1479:                             ;   in Loop: Header=BB296_998 Depth=1
	v_dual_lshrrev_b32 v23, 3, v31 :: v_dual_bitop2_b32 v22, 7, v6 bitop3:0x40
	s_mov_b32 s18, exec_lo
	v_cmpx_gt_u32_e32 8, v31
; %bb.1480:                             ;   in Loop: Header=BB296_998 Depth=1
	s_delay_alu instid0(VALU_DEP_2) | instskip(NEXT) | instid1(VALU_DEP_1)
	v_clz_i32_u32_e32 v22, v22
	v_min_u32_e32 v31, 32, v22
	s_delay_alu instid0(VALU_DEP_1) | instskip(NEXT) | instid1(VALU_DEP_1)
	v_subrev_nc_u32_e32 v22, 28, v31
	v_lshlrev_b64_e32 v[22:23], v22, v[6:7]
	s_delay_alu instid0(VALU_DEP_1)
	v_dual_sub_nc_u32 v23, 29, v31 :: v_dual_bitop2_b32 v22, 7, v22 bitop3:0x40
; %bb.1481:                             ;   in Loop: Header=BB296_998 Depth=1
	s_or_b32 exec_lo, exec_lo, s18
	v_lshlrev_b32_e32 v6, 8, v6
	s_delay_alu instid0(VALU_DEP_2) | instskip(NEXT) | instid1(VALU_DEP_3)
	v_lshl_add_u32 v23, v23, 10, 0x2000
	v_lshlrev_b32_e32 v22, 7, v22
	s_delay_alu instid0(VALU_DEP_3) | instskip(NEXT) | instid1(VALU_DEP_3)
	v_and_b32_e32 v6, 0x8000, v6
	v_and_b32_e32 v23, 0xfc00, v23
	s_delay_alu instid0(VALU_DEP_1)
	v_or3_b32 v22, v6, v23, v22
.LBB296_1482:                           ;   in Loop: Header=BB296_998 Depth=1
	s_or_b32 exec_lo, exec_lo, s17
.LBB296_1483:                           ;   in Loop: Header=BB296_998 Depth=1
	s_delay_alu instid0(SALU_CYCLE_1)
	s_or_b32 exec_lo, exec_lo, s16
.LBB296_1484:                           ;   in Loop: Header=BB296_998 Depth=1
	s_delay_alu instid0(SALU_CYCLE_1) | instskip(NEXT) | instid1(SALU_CYCLE_1)
	s_or_b32 exec_lo, exec_lo, s15
	s_mov_b32 s15, exec_lo
	v_cmpx_lt_u32_e32 0xffffff, v32
	s_cbranch_execz .LBB296_1492
; %bb.1485:                             ;   in Loop: Header=BB296_998 Depth=1
	v_lshrrev_b32_e32 v6, 24, v32
	v_bfrev_b32_e32 v19, 1
	s_mov_b32 s16, exec_lo
	s_delay_alu instid0(VALU_DEP_2)
	v_cmpx_ne_u32_e32 0x80, v6
	s_cbranch_execz .LBB296_1491
; %bb.1486:                             ;   in Loop: Header=BB296_998 Depth=1
	v_and_b32_e32 v31, 0x7f, v6
	v_mov_b32_e32 v19, 0x7c010000
	s_mov_b32 s17, exec_lo
	s_delay_alu instid0(VALU_DEP_2)
	v_cmpx_ne_u32_e32 0x7f, v31
	s_cbranch_execz .LBB296_1490
; %bb.1487:                             ;   in Loop: Header=BB296_998 Depth=1
	v_dual_lshrrev_b32 v23, 3, v31 :: v_dual_bitop2_b32 v19, 7, v6 bitop3:0x40
	s_mov_b32 s18, exec_lo
	v_cmpx_gt_u32_e32 8, v31
; %bb.1488:                             ;   in Loop: Header=BB296_998 Depth=1
	s_delay_alu instid0(VALU_DEP_2) | instskip(NEXT) | instid1(VALU_DEP_1)
	v_clz_i32_u32_e32 v19, v19
	v_min_u32_e32 v19, 32, v19
	s_delay_alu instid0(VALU_DEP_1) | instskip(NEXT) | instid1(VALU_DEP_1)
	v_subrev_nc_u32_e32 v23, 28, v19
	v_lshlrev_b64_e32 v[34:35], v23, v[6:7]
	s_delay_alu instid0(VALU_DEP_1)
	v_dual_sub_nc_u32 v23, 29, v19 :: v_dual_bitop2_b32 v19, 7, v34 bitop3:0x40
; %bb.1489:                             ;   in Loop: Header=BB296_998 Depth=1
	s_or_b32 exec_lo, exec_lo, s18
	s_delay_alu instid0(VALU_DEP_1) | instskip(NEXT) | instid1(VALU_DEP_2)
	v_dual_lshlrev_b32 v6, 8, v6 :: v_dual_lshlrev_b32 v19, 23, v19
	v_lshl_add_u32 v23, v23, 10, 0x2000
	s_delay_alu instid0(VALU_DEP_1) | instskip(NEXT) | instid1(VALU_DEP_1)
	v_and_or_b32 v6, 0x8000, v6, v23
	v_lshl_or_b32 v19, v6, 16, v19
.LBB296_1490:                           ;   in Loop: Header=BB296_998 Depth=1
	s_or_b32 exec_lo, exec_lo, s17
.LBB296_1491:                           ;   in Loop: Header=BB296_998 Depth=1
	s_delay_alu instid0(SALU_CYCLE_1)
	s_or_b32 exec_lo, exec_lo, s16
.LBB296_1492:                           ;   in Loop: Header=BB296_998 Depth=1
	s_delay_alu instid0(SALU_CYCLE_1) | instskip(SKIP_4) | instid1(VALU_DEP_3)
	s_or_b32 exec_lo, exec_lo, s15
	v_and_b32_e32 v34, 0xff, v33
	v_dual_mov_b32 v6, v33 :: v_dual_mov_b32 v31, 0
	v_mov_b32_e32 v23, 0
	s_mov_b32 s15, exec_lo
	v_cmpx_ne_u16_e32 0, v34
	s_cbranch_execz .LBB296_1500
; %bb.1493:                             ;   in Loop: Header=BB296_998 Depth=1
	v_mov_b32_e32 v23, 0x8000
	s_mov_b32 s16, exec_lo
	v_cmpx_ne_u16_e32 0x80, v34
	s_cbranch_execz .LBB296_1499
; %bb.1494:                             ;   in Loop: Header=BB296_998 Depth=1
	v_and_b32_e32 v35, 0x7f, v33
	v_mov_b32_e32 v23, 0x7c01
	s_mov_b32 s17, exec_lo
	s_delay_alu instid0(VALU_DEP_2)
	v_cmpx_ne_u32_e32 0x7f, v35
	s_cbranch_execz .LBB296_1498
; %bb.1495:                             ;   in Loop: Header=BB296_998 Depth=1
	v_dual_lshrrev_b32 v34, 3, v35 :: v_dual_bitop2_b32 v23, 7, v33 bitop3:0x40
	s_mov_b32 s18, exec_lo
	v_cmpx_gt_u32_e32 8, v35
; %bb.1496:                             ;   in Loop: Header=BB296_998 Depth=1
	s_delay_alu instid0(VALU_DEP_2) | instskip(NEXT) | instid1(VALU_DEP_1)
	v_clz_i32_u32_e32 v23, v23
	v_min_u32_e32 v23, 32, v23
	s_delay_alu instid0(VALU_DEP_1) | instskip(NEXT) | instid1(VALU_DEP_1)
	v_subrev_nc_u32_e32 v34, 28, v23
	v_lshlrev_b64_e32 v[36:37], v34, v[6:7]
	s_delay_alu instid0(VALU_DEP_1)
	v_dual_sub_nc_u32 v34, 29, v23 :: v_dual_bitop2_b32 v23, 7, v36 bitop3:0x40
; %bb.1497:                             ;   in Loop: Header=BB296_998 Depth=1
	s_or_b32 exec_lo, exec_lo, s18
	s_delay_alu instid0(VALU_DEP_1) | instskip(NEXT) | instid1(VALU_DEP_2)
	v_dual_lshlrev_b32 v35, 8, v33 :: v_dual_lshlrev_b32 v23, 7, v23
	v_lshl_add_u32 v34, v34, 10, 0x2000
	s_delay_alu instid0(VALU_DEP_2) | instskip(NEXT) | instid1(VALU_DEP_2)
	v_and_b32_e32 v35, 0x8000, v35
	v_and_b32_e32 v34, 0xfc00, v34
	s_delay_alu instid0(VALU_DEP_1)
	v_or3_b32 v23, v35, v34, v23
.LBB296_1498:                           ;   in Loop: Header=BB296_998 Depth=1
	s_or_b32 exec_lo, exec_lo, s17
.LBB296_1499:                           ;   in Loop: Header=BB296_998 Depth=1
	s_delay_alu instid0(SALU_CYCLE_1)
	s_or_b32 exec_lo, exec_lo, s16
.LBB296_1500:                           ;   in Loop: Header=BB296_998 Depth=1
	s_delay_alu instid0(SALU_CYCLE_1) | instskip(SKIP_3) | instid1(VALU_DEP_2)
	s_or_b32 exec_lo, exec_lo, s15
	v_lshrrev_b16 v6, 8, v6
	v_mov_b32_e32 v34, 0
	s_mov_b32 s15, exec_lo
	v_cmpx_ne_u16_e32 0, v6
	s_cbranch_execz .LBB296_1508
; %bb.1501:                             ;   in Loop: Header=BB296_998 Depth=1
	v_bfrev_b32_e32 v34, 1
	s_mov_b32 s16, exec_lo
	v_cmpx_ne_u16_e32 0x80, v6
	s_cbranch_execz .LBB296_1507
; %bb.1502:                             ;   in Loop: Header=BB296_998 Depth=1
	v_and_b32_e32 v35, 0xffff, v6
	v_mov_b32_e32 v34, 0x7c010000
	s_mov_b32 s17, exec_lo
	s_delay_alu instid0(VALU_DEP_2) | instskip(NEXT) | instid1(VALU_DEP_1)
	v_and_b32_e32 v37, 0x7f, v35
	v_cmpx_ne_u32_e32 0x7f, v37
	s_cbranch_execz .LBB296_1506
; %bb.1503:                             ;   in Loop: Header=BB296_998 Depth=1
	v_dual_lshrrev_b32 v36, 3, v37 :: v_dual_bitop2_b32 v34, 7, v35 bitop3:0x40
	s_mov_b32 s18, exec_lo
	v_cmpx_gt_u32_e32 8, v37
; %bb.1504:                             ;   in Loop: Header=BB296_998 Depth=1
	s_delay_alu instid0(VALU_DEP_2) | instskip(NEXT) | instid1(VALU_DEP_1)
	v_clz_i32_u32_e32 v34, v34
	v_min_u32_e32 v34, 32, v34
	s_delay_alu instid0(VALU_DEP_1) | instskip(NEXT) | instid1(VALU_DEP_1)
	v_subrev_nc_u32_e32 v36, 28, v34
	v_lshlrev_b64_e32 v[38:39], v36, v[6:7]
	v_sub_nc_u32_e32 v36, 29, v34
	s_delay_alu instid0(VALU_DEP_2)
	v_and_b32_e32 v34, 7, v38
; %bb.1505:                             ;   in Loop: Header=BB296_998 Depth=1
	s_or_b32 exec_lo, exec_lo, s18
	s_delay_alu instid0(VALU_DEP_1) | instskip(NEXT) | instid1(VALU_DEP_3)
	v_dual_lshlrev_b32 v6, 8, v35 :: v_dual_lshlrev_b32 v34, 23, v34
	v_lshl_add_u32 v35, v36, 10, 0x2000
	s_delay_alu instid0(VALU_DEP_1) | instskip(NEXT) | instid1(VALU_DEP_1)
	v_and_or_b32 v6, 0x8000, v6, v35
	v_lshl_or_b32 v34, v6, 16, v34
.LBB296_1506:                           ;   in Loop: Header=BB296_998 Depth=1
	s_or_b32 exec_lo, exec_lo, s17
.LBB296_1507:                           ;   in Loop: Header=BB296_998 Depth=1
	s_delay_alu instid0(SALU_CYCLE_1)
	s_or_b32 exec_lo, exec_lo, s16
.LBB296_1508:                           ;   in Loop: Header=BB296_998 Depth=1
	s_delay_alu instid0(SALU_CYCLE_1) | instskip(SKIP_2) | instid1(VALU_DEP_1)
	s_or_b32 exec_lo, exec_lo, s15
	v_lshrrev_b32_e32 v6, 16, v33
	s_mov_b32 s15, exec_lo
	v_and_b32_e32 v35, 0xff, v6
	s_delay_alu instid0(VALU_DEP_1)
	v_cmpx_ne_u16_e32 0, v35
	s_cbranch_execz .LBB296_1516
; %bb.1509:                             ;   in Loop: Header=BB296_998 Depth=1
	v_mov_b32_e32 v31, 0x8000
	s_mov_b32 s16, exec_lo
	v_cmpx_ne_u16_e32 0x80, v35
	s_cbranch_execz .LBB296_1515
; %bb.1510:                             ;   in Loop: Header=BB296_998 Depth=1
	v_bfe_u32 v36, v33, 16, 7
	v_mov_b32_e32 v31, 0x7c01
	s_mov_b32 s17, exec_lo
	s_delay_alu instid0(VALU_DEP_2)
	v_cmpx_ne_u32_e32 0x7f, v36
	s_cbranch_execz .LBB296_1514
; %bb.1511:                             ;   in Loop: Header=BB296_998 Depth=1
	v_dual_lshrrev_b32 v35, 3, v36 :: v_dual_bitop2_b32 v31, 7, v6 bitop3:0x40
	s_mov_b32 s18, exec_lo
	v_cmpx_gt_u32_e32 8, v36
; %bb.1512:                             ;   in Loop: Header=BB296_998 Depth=1
	s_delay_alu instid0(VALU_DEP_2) | instskip(NEXT) | instid1(VALU_DEP_1)
	v_clz_i32_u32_e32 v31, v31
	v_min_u32_e32 v31, 32, v31
	s_delay_alu instid0(VALU_DEP_1) | instskip(NEXT) | instid1(VALU_DEP_1)
	v_subrev_nc_u32_e32 v35, 28, v31
	v_lshlrev_b64_e32 v[36:37], v35, v[6:7]
	s_delay_alu instid0(VALU_DEP_1)
	v_dual_sub_nc_u32 v35, 29, v31 :: v_dual_bitop2_b32 v31, 7, v36 bitop3:0x40
; %bb.1513:                             ;   in Loop: Header=BB296_998 Depth=1
	s_or_b32 exec_lo, exec_lo, s18
	s_delay_alu instid0(VALU_DEP_1) | instskip(NEXT) | instid1(VALU_DEP_2)
	v_dual_lshlrev_b32 v6, 8, v6 :: v_dual_lshlrev_b32 v31, 7, v31
	v_lshl_add_u32 v35, v35, 10, 0x2000
	s_delay_alu instid0(VALU_DEP_2) | instskip(NEXT) | instid1(VALU_DEP_2)
	v_and_b32_e32 v6, 0x8000, v6
	v_and_b32_e32 v35, 0xfc00, v35
	s_delay_alu instid0(VALU_DEP_1)
	v_or3_b32 v31, v6, v35, v31
.LBB296_1514:                           ;   in Loop: Header=BB296_998 Depth=1
	s_or_b32 exec_lo, exec_lo, s17
.LBB296_1515:                           ;   in Loop: Header=BB296_998 Depth=1
	s_delay_alu instid0(SALU_CYCLE_1)
	s_or_b32 exec_lo, exec_lo, s16
.LBB296_1516:                           ;   in Loop: Header=BB296_998 Depth=1
	s_delay_alu instid0(SALU_CYCLE_1)
	s_or_b32 exec_lo, exec_lo, s15
	v_cmp_lt_u64_e64 s0, s[2:3], v[32:33]
	v_mov_b32_e32 v32, 0
	s_and_saveexec_b32 s15, s0
	s_cbranch_execz .LBB296_1524
; %bb.1517:                             ;   in Loop: Header=BB296_998 Depth=1
	v_lshrrev_b32_e32 v6, 24, v33
	v_bfrev_b32_e32 v32, 1
	s_mov_b32 s16, exec_lo
	s_delay_alu instid0(VALU_DEP_2)
	v_cmpx_ne_u32_e32 0x80, v6
	s_cbranch_execz .LBB296_1523
; %bb.1518:                             ;   in Loop: Header=BB296_998 Depth=1
	v_and_b32_e32 v35, 0x7f, v6
	v_mov_b32_e32 v32, 0x7c010000
	s_mov_b32 s17, exec_lo
	s_delay_alu instid0(VALU_DEP_2)
	v_cmpx_ne_u32_e32 0x7f, v35
	s_cbranch_execz .LBB296_1522
; %bb.1519:                             ;   in Loop: Header=BB296_998 Depth=1
	v_dual_lshrrev_b32 v33, 3, v35 :: v_dual_bitop2_b32 v32, 7, v6 bitop3:0x40
	s_mov_b32 s18, exec_lo
	v_cmpx_gt_u32_e32 8, v35
; %bb.1520:                             ;   in Loop: Header=BB296_998 Depth=1
	s_delay_alu instid0(VALU_DEP_2) | instskip(NEXT) | instid1(VALU_DEP_1)
	v_clz_i32_u32_e32 v32, v32
	v_min_u32_e32 v35, 32, v32
	s_delay_alu instid0(VALU_DEP_1) | instskip(NEXT) | instid1(VALU_DEP_1)
	v_subrev_nc_u32_e32 v32, 28, v35
	v_lshlrev_b64_e32 v[32:33], v32, v[6:7]
	s_delay_alu instid0(VALU_DEP_1)
	v_dual_sub_nc_u32 v33, 29, v35 :: v_dual_bitop2_b32 v32, 7, v32 bitop3:0x40
; %bb.1521:                             ;   in Loop: Header=BB296_998 Depth=1
	s_or_b32 exec_lo, exec_lo, s18
	s_delay_alu instid0(VALU_DEP_1) | instskip(NEXT) | instid1(VALU_DEP_2)
	v_dual_lshlrev_b32 v6, 8, v6 :: v_dual_lshlrev_b32 v32, 23, v32
	v_lshl_add_u32 v33, v33, 10, 0x2000
	s_delay_alu instid0(VALU_DEP_1) | instskip(NEXT) | instid1(VALU_DEP_1)
	v_and_or_b32 v6, 0x8000, v6, v33
	v_lshl_or_b32 v32, v6, 16, v32
.LBB296_1522:                           ;   in Loop: Header=BB296_998 Depth=1
	s_or_b32 exec_lo, exec_lo, s17
.LBB296_1523:                           ;   in Loop: Header=BB296_998 Depth=1
	s_delay_alu instid0(SALU_CYCLE_1)
	s_or_b32 exec_lo, exec_lo, s16
.LBB296_1524:                           ;   in Loop: Header=BB296_998 Depth=1
	s_delay_alu instid0(SALU_CYCLE_1) | instskip(SKIP_4) | instid1(VALU_DEP_4)
	s_or_b32 exec_lo, exec_lo, s15
	v_dual_lshrrev_b32 v6, 16, v1 :: v_dual_lshrrev_b32 v33, 16, v19
	v_or_b32_e32 v1, v1, v18
	v_or_b32_e32 v22, v19, v22
	;; [unrolled: 1-line block ×3, first 2 shown]
	v_cvt_f32_f16_e32 v19, v6
	v_cvt_f32_f16_e32 v18, v33
	v_dual_lshrrev_b32 v31, 16, v34 :: v_dual_bitop2_b32 v6, v32, v31 bitop3:0x54
	v_lshrrev_b32_e32 v32, 16, v32
	v_cvt_f32_f16_e32 v23, v1
	s_delay_alu instid0(VALU_DEP_3) | instskip(SKIP_4) | instid1(VALU_DEP_3)
	v_cvt_f32_f16_e32 v34, v6
	s_wait_loadcnt_dscnt 0x0
	v_pk_mul_f32 v[18:19], v[30:31], v[18:19] op_sel_hi:[0,1]
	v_cvt_f32_f16_e32 v33, v31
	v_cvt_f32_f16_e32 v32, v32
	v_cvt_pk_f16_f32 v1, v18, v19
	s_delay_alu instid0(VALU_DEP_2) | instskip(NEXT) | instid1(VALU_DEP_2)
	v_pk_mul_f32 v[18:19], v[30:31], v[32:33] op_sel_hi:[0,1]
	v_lshlrev_b32_e32 v32, 16, v1
	v_cvt_f32_f16_e32 v22, v22
	v_and_b32_e32 v33, 0xffff0000, v1
	s_delay_alu instid0(VALU_DEP_4) | instskip(NEXT) | instid1(VALU_DEP_3)
	v_cvt_pk_f16_f32 v18, v18, v19
	v_pk_mul_f32 v[22:23], v[30:31], v[22:23] op_sel_hi:[0,1]
	s_delay_alu instid0(VALU_DEP_2) | instskip(NEXT) | instid1(VALU_DEP_2)
	v_and_b32_e32 v19, 0xffff0000, v18
	v_cvt_pk_f16_f32 v6, v22, v23
	s_delay_alu instid0(VALU_DEP_1) | instskip(SKIP_2) | instid1(VALU_DEP_3)
	v_lshrrev_b32_e32 v39, 16, v6
	v_cvt_f32_f16_e32 v35, v35
	v_and_b32_e32 v38, 0xffff, v6
	v_or_b32_e32 v37, v33, v39
	s_delay_alu instid0(VALU_DEP_3) | instskip(NEXT) | instid1(VALU_DEP_3)
	v_pk_mul_f32 v[30:31], v[30:31], v[34:35] op_sel_hi:[0,1]
	v_or_b32_e32 v36, v32, v38
	s_delay_alu instid0(VALU_DEP_2) | instskip(NEXT) | instid1(VALU_DEP_1)
	v_cvt_pk_f16_f32 v1, v30, v31
	v_dual_lshlrev_b32 v6, 16, v18 :: v_dual_lshrrev_b32 v31, 16, v1
	v_and_b32_e32 v30, 0xffff, v1
	s_delay_alu instid0(VALU_DEP_2) | instskip(NEXT) | instid1(VALU_DEP_2)
	v_or_b32_e32 v35, v19, v31
	v_or_b32_e32 v34, v6, v30
	s_and_saveexec_b32 s15, vcc_lo
	s_cbranch_execz .LBB296_1526
; %bb.1525:                             ;   in Loop: Header=BB296_998 Depth=1
	v_cmp_lt_i32_e64 s0, v53, v13
	s_delay_alu instid0(VALU_DEP_1) | instskip(SKIP_1) | instid1(VALU_DEP_1)
	v_cndmask_b32_e64 v1, 0, v39, s0
	v_cmp_lt_i32_e64 s0, v69, v58
	v_cndmask_b32_e64 v18, 0, v38, s0
	v_cmp_lt_i32_e64 s0, v68, v13
	s_delay_alu instid0(VALU_DEP_1) | instskip(SKIP_1) | instid1(VALU_DEP_1)
	v_cndmask_b32_e64 v22, 0, v33, s0
	v_cmp_lt_i32_e64 s0, v67, v58
	v_cndmask_b32_e64 v23, 0, v32, s0
	v_cmp_lt_i32_e64 s0, v66, v13
	s_delay_alu instid0(VALU_DEP_4) | instskip(NEXT) | instid1(VALU_DEP_3)
	v_or_b32_e32 v37, v1, v22
	v_or_b32_e32 v36, v18, v23
	s_delay_alu instid0(VALU_DEP_3) | instskip(SKIP_1) | instid1(VALU_DEP_1)
	v_cndmask_b32_e64 v31, 0, v31, s0
	v_cmp_lt_i32_e64 s0, v65, v58
	v_cndmask_b32_e64 v30, 0, v30, s0
	v_cmp_lt_i32_e64 s0, v64, v13
	s_delay_alu instid0(VALU_DEP_1) | instskip(SKIP_1) | instid1(VALU_DEP_1)
	v_cndmask_b32_e64 v19, 0, v19, s0
	v_cmp_lt_i32_e64 s0, v0, v58
	v_dual_cndmask_b32 v6, 0, v6, s0 :: v_dual_bitop2_b32 v35, v31, v19 bitop3:0x54
	s_delay_alu instid0(VALU_DEP_1)
	v_or_b32_e32 v34, v30, v6
.LBB296_1526:                           ;   in Loop: Header=BB296_998 Depth=1
	s_or_b32 exec_lo, exec_lo, s15
	;;#ASMSTART
	v_pk_mul_f16 v1, v81, v37;

	;;#ASMEND
	;;#ASMSTART
	v_pk_mul_f16 v6, v80, v36;

	;;#ASMEND
	;; [unrolled: 4-line block ×4, first 2 shown]
	;;#ASMSTART
	v_pk_add_f16 v1, v1, v6;

	;;#ASMEND
	;;#ASMSTART
	v_pk_add_f16 v1, v1, v18;

	;;#ASMEND
	;; [unrolled: 4-line block ×3, first 2 shown]
	v_and_b32_e32 v6, 0xffff, v1
	v_lshrrev_b32_e32 v1, 16, v1
	;;#ASMSTART
	v_cvt_f32_f16 v112, v6;
	;;#ASMEND
	;;#ASMSTART
	v_cvt_f32_f16 v113, v1;
	;;#ASMEND
	flat_load_b64 v[32:33], v[14:15] offset:2048
	scratch_load_b64 v[18:19], off, s32 offset:192 ; 8-byte Folded Reload
	v_mov_b32_e32 v1, 0
	s_mov_b32 s15, exec_lo
	s_wait_loadcnt_dscnt 0x100
	v_and_b32_e32 v6, 0xff, v32
	s_wait_loadcnt 0x0
	flat_load_b32 v30, v[18:19]
	s_wait_xcnt 0x0
	v_mov_b32_e32 v18, 0
	v_cmpx_ne_u16_e32 0, v6
	s_cbranch_execz .LBB296_1534
; %bb.1527:                             ;   in Loop: Header=BB296_998 Depth=1
	v_mov_b32_e32 v18, 0x8000
	s_mov_b32 s16, exec_lo
	v_cmpx_ne_u16_e32 0x80, v6
	s_cbranch_execz .LBB296_1533
; %bb.1528:                             ;   in Loop: Header=BB296_998 Depth=1
	v_and_b32_e32 v19, 0x7f, v32
	v_mov_b32_e32 v18, 0x7c01
	s_mov_b32 s17, exec_lo
	s_delay_alu instid0(VALU_DEP_2)
	v_cmpx_ne_u32_e32 0x7f, v19
	s_cbranch_execz .LBB296_1532
; %bb.1529:                             ;   in Loop: Header=BB296_998 Depth=1
	v_dual_lshrrev_b32 v18, 3, v19 :: v_dual_bitop2_b32 v6, 7, v32 bitop3:0x40
	s_mov_b32 s18, exec_lo
	v_cmpx_gt_u32_e32 8, v19
; %bb.1530:                             ;   in Loop: Header=BB296_998 Depth=1
	s_delay_alu instid0(VALU_DEP_2) | instskip(NEXT) | instid1(VALU_DEP_1)
	v_clz_i32_u32_e32 v6, v6
	v_min_u32_e32 v6, 32, v6
	s_delay_alu instid0(VALU_DEP_1) | instskip(NEXT) | instid1(VALU_DEP_1)
	v_subrev_nc_u32_e32 v18, 28, v6
	v_lshlrev_b64_e32 v[22:23], v18, v[32:33]
	v_sub_nc_u32_e32 v18, 29, v6
	s_delay_alu instid0(VALU_DEP_2)
	v_and_b32_e32 v6, 7, v22
; %bb.1531:                             ;   in Loop: Header=BB296_998 Depth=1
	s_or_b32 exec_lo, exec_lo, s18
	s_delay_alu instid0(VALU_DEP_1) | instskip(NEXT) | instid1(VALU_DEP_3)
	v_dual_lshlrev_b32 v19, 8, v32 :: v_dual_lshlrev_b32 v6, 7, v6
	v_lshl_add_u32 v18, v18, 10, 0x2000
	s_delay_alu instid0(VALU_DEP_2) | instskip(NEXT) | instid1(VALU_DEP_2)
	v_and_b32_e32 v19, 0x8000, v19
	v_and_b32_e32 v18, 0xfc00, v18
	s_delay_alu instid0(VALU_DEP_1)
	v_or3_b32 v18, v19, v18, v6
.LBB296_1532:                           ;   in Loop: Header=BB296_998 Depth=1
	s_or_b32 exec_lo, exec_lo, s17
.LBB296_1533:                           ;   in Loop: Header=BB296_998 Depth=1
	s_delay_alu instid0(SALU_CYCLE_1)
	s_or_b32 exec_lo, exec_lo, s16
.LBB296_1534:                           ;   in Loop: Header=BB296_998 Depth=1
	s_delay_alu instid0(SALU_CYCLE_1) | instskip(SKIP_2) | instid1(VALU_DEP_1)
	s_or_b32 exec_lo, exec_lo, s15
	v_lshrrev_b16 v6, 8, v32
	s_mov_b32 s15, exec_lo
	v_cmpx_ne_u16_e32 0, v6
	s_cbranch_execz .LBB296_1542
; %bb.1535:                             ;   in Loop: Header=BB296_998 Depth=1
	v_bfrev_b32_e32 v1, 1
	s_mov_b32 s16, exec_lo
	v_cmpx_ne_u16_e32 0x80, v6
	s_cbranch_execz .LBB296_1541
; %bb.1536:                             ;   in Loop: Header=BB296_998 Depth=1
	v_and_b32_e32 v19, 0xffff, v6
	v_mov_b32_e32 v1, 0x7c010000
	s_mov_b32 s17, exec_lo
	s_delay_alu instid0(VALU_DEP_2) | instskip(NEXT) | instid1(VALU_DEP_1)
	v_and_b32_e32 v23, 0x7f, v19
	v_cmpx_ne_u32_e32 0x7f, v23
	s_cbranch_execz .LBB296_1540
; %bb.1537:                             ;   in Loop: Header=BB296_998 Depth=1
	v_and_b32_e32 v1, 7, v19
	v_lshrrev_b32_e32 v22, 3, v23
	s_mov_b32 s18, exec_lo
	v_cmpx_gt_u32_e32 8, v23
; %bb.1538:                             ;   in Loop: Header=BB296_998 Depth=1
	s_delay_alu instid0(VALU_DEP_3) | instskip(NEXT) | instid1(VALU_DEP_1)
	v_clz_i32_u32_e32 v1, v1
	v_min_u32_e32 v1, 32, v1
	s_delay_alu instid0(VALU_DEP_1) | instskip(NEXT) | instid1(VALU_DEP_1)
	v_subrev_nc_u32_e32 v22, 28, v1
	v_lshlrev_b64_e32 v[34:35], v22, v[6:7]
	s_delay_alu instid0(VALU_DEP_1)
	v_dual_sub_nc_u32 v22, 29, v1 :: v_dual_bitop2_b32 v1, 7, v34 bitop3:0x40
; %bb.1539:                             ;   in Loop: Header=BB296_998 Depth=1
	s_or_b32 exec_lo, exec_lo, s18
	s_delay_alu instid0(VALU_DEP_1) | instskip(NEXT) | instid1(VALU_DEP_2)
	v_dual_lshlrev_b32 v6, 8, v19 :: v_dual_lshlrev_b32 v1, 23, v1
	v_lshl_add_u32 v19, v22, 10, 0x2000
	s_delay_alu instid0(VALU_DEP_1) | instskip(NEXT) | instid1(VALU_DEP_1)
	v_and_or_b32 v6, 0x8000, v6, v19
	v_lshl_or_b32 v1, v6, 16, v1
.LBB296_1540:                           ;   in Loop: Header=BB296_998 Depth=1
	s_or_b32 exec_lo, exec_lo, s17
.LBB296_1541:                           ;   in Loop: Header=BB296_998 Depth=1
	s_delay_alu instid0(SALU_CYCLE_1)
	s_or_b32 exec_lo, exec_lo, s16
.LBB296_1542:                           ;   in Loop: Header=BB296_998 Depth=1
	s_delay_alu instid0(SALU_CYCLE_1) | instskip(SKIP_3) | instid1(VALU_DEP_2)
	s_or_b32 exec_lo, exec_lo, s15
	v_dual_mov_b32 v19, 0 :: v_dual_lshrrev_b32 v6, 16, v32
	v_mov_b32_e32 v22, 0
	s_mov_b32 s15, exec_lo
	v_and_b32_e32 v23, 0xff, v6
	s_delay_alu instid0(VALU_DEP_1)
	v_cmpx_ne_u16_e32 0, v23
	s_cbranch_execz .LBB296_1550
; %bb.1543:                             ;   in Loop: Header=BB296_998 Depth=1
	v_mov_b32_e32 v22, 0x8000
	s_mov_b32 s16, exec_lo
	v_cmpx_ne_u16_e32 0x80, v23
	s_cbranch_execz .LBB296_1549
; %bb.1544:                             ;   in Loop: Header=BB296_998 Depth=1
	v_bfe_u32 v31, v32, 16, 7
	v_mov_b32_e32 v22, 0x7c01
	s_mov_b32 s17, exec_lo
	s_delay_alu instid0(VALU_DEP_2)
	v_cmpx_ne_u32_e32 0x7f, v31
	s_cbranch_execz .LBB296_1548
; %bb.1545:                             ;   in Loop: Header=BB296_998 Depth=1
	v_dual_lshrrev_b32 v23, 3, v31 :: v_dual_bitop2_b32 v22, 7, v6 bitop3:0x40
	s_mov_b32 s18, exec_lo
	v_cmpx_gt_u32_e32 8, v31
; %bb.1546:                             ;   in Loop: Header=BB296_998 Depth=1
	s_delay_alu instid0(VALU_DEP_2) | instskip(NEXT) | instid1(VALU_DEP_1)
	v_clz_i32_u32_e32 v22, v22
	v_min_u32_e32 v31, 32, v22
	s_delay_alu instid0(VALU_DEP_1) | instskip(NEXT) | instid1(VALU_DEP_1)
	v_subrev_nc_u32_e32 v22, 28, v31
	v_lshlrev_b64_e32 v[22:23], v22, v[6:7]
	s_delay_alu instid0(VALU_DEP_1)
	v_dual_sub_nc_u32 v23, 29, v31 :: v_dual_bitop2_b32 v22, 7, v22 bitop3:0x40
; %bb.1547:                             ;   in Loop: Header=BB296_998 Depth=1
	s_or_b32 exec_lo, exec_lo, s18
	v_lshlrev_b32_e32 v6, 8, v6
	s_delay_alu instid0(VALU_DEP_2) | instskip(NEXT) | instid1(VALU_DEP_3)
	v_lshl_add_u32 v23, v23, 10, 0x2000
	v_lshlrev_b32_e32 v22, 7, v22
	s_delay_alu instid0(VALU_DEP_3) | instskip(NEXT) | instid1(VALU_DEP_3)
	v_and_b32_e32 v6, 0x8000, v6
	v_and_b32_e32 v23, 0xfc00, v23
	s_delay_alu instid0(VALU_DEP_1)
	v_or3_b32 v22, v6, v23, v22
.LBB296_1548:                           ;   in Loop: Header=BB296_998 Depth=1
	s_or_b32 exec_lo, exec_lo, s17
.LBB296_1549:                           ;   in Loop: Header=BB296_998 Depth=1
	s_delay_alu instid0(SALU_CYCLE_1)
	s_or_b32 exec_lo, exec_lo, s16
.LBB296_1550:                           ;   in Loop: Header=BB296_998 Depth=1
	s_delay_alu instid0(SALU_CYCLE_1) | instskip(NEXT) | instid1(SALU_CYCLE_1)
	s_or_b32 exec_lo, exec_lo, s15
	s_mov_b32 s15, exec_lo
	v_cmpx_lt_u32_e32 0xffffff, v32
	s_cbranch_execz .LBB296_1558
; %bb.1551:                             ;   in Loop: Header=BB296_998 Depth=1
	v_lshrrev_b32_e32 v6, 24, v32
	v_bfrev_b32_e32 v19, 1
	s_mov_b32 s16, exec_lo
	s_delay_alu instid0(VALU_DEP_2)
	v_cmpx_ne_u32_e32 0x80, v6
	s_cbranch_execz .LBB296_1557
; %bb.1552:                             ;   in Loop: Header=BB296_998 Depth=1
	v_and_b32_e32 v31, 0x7f, v6
	v_mov_b32_e32 v19, 0x7c010000
	s_mov_b32 s17, exec_lo
	s_delay_alu instid0(VALU_DEP_2)
	v_cmpx_ne_u32_e32 0x7f, v31
	s_cbranch_execz .LBB296_1556
; %bb.1553:                             ;   in Loop: Header=BB296_998 Depth=1
	v_dual_lshrrev_b32 v23, 3, v31 :: v_dual_bitop2_b32 v19, 7, v6 bitop3:0x40
	s_mov_b32 s18, exec_lo
	v_cmpx_gt_u32_e32 8, v31
; %bb.1554:                             ;   in Loop: Header=BB296_998 Depth=1
	s_delay_alu instid0(VALU_DEP_2) | instskip(NEXT) | instid1(VALU_DEP_1)
	v_clz_i32_u32_e32 v19, v19
	v_min_u32_e32 v19, 32, v19
	s_delay_alu instid0(VALU_DEP_1) | instskip(NEXT) | instid1(VALU_DEP_1)
	v_subrev_nc_u32_e32 v23, 28, v19
	v_lshlrev_b64_e32 v[34:35], v23, v[6:7]
	s_delay_alu instid0(VALU_DEP_1)
	v_dual_sub_nc_u32 v23, 29, v19 :: v_dual_bitop2_b32 v19, 7, v34 bitop3:0x40
; %bb.1555:                             ;   in Loop: Header=BB296_998 Depth=1
	s_or_b32 exec_lo, exec_lo, s18
	s_delay_alu instid0(VALU_DEP_1) | instskip(NEXT) | instid1(VALU_DEP_2)
	v_dual_lshlrev_b32 v6, 8, v6 :: v_dual_lshlrev_b32 v19, 23, v19
	v_lshl_add_u32 v23, v23, 10, 0x2000
	s_delay_alu instid0(VALU_DEP_1) | instskip(NEXT) | instid1(VALU_DEP_1)
	v_and_or_b32 v6, 0x8000, v6, v23
	v_lshl_or_b32 v19, v6, 16, v19
.LBB296_1556:                           ;   in Loop: Header=BB296_998 Depth=1
	s_or_b32 exec_lo, exec_lo, s17
.LBB296_1557:                           ;   in Loop: Header=BB296_998 Depth=1
	s_delay_alu instid0(SALU_CYCLE_1)
	s_or_b32 exec_lo, exec_lo, s16
.LBB296_1558:                           ;   in Loop: Header=BB296_998 Depth=1
	s_delay_alu instid0(SALU_CYCLE_1) | instskip(SKIP_4) | instid1(VALU_DEP_3)
	s_or_b32 exec_lo, exec_lo, s15
	v_and_b32_e32 v34, 0xff, v33
	v_dual_mov_b32 v6, v33 :: v_dual_mov_b32 v31, 0
	v_mov_b32_e32 v23, 0
	s_mov_b32 s15, exec_lo
	v_cmpx_ne_u16_e32 0, v34
	s_cbranch_execz .LBB296_1566
; %bb.1559:                             ;   in Loop: Header=BB296_998 Depth=1
	v_mov_b32_e32 v23, 0x8000
	s_mov_b32 s16, exec_lo
	v_cmpx_ne_u16_e32 0x80, v34
	s_cbranch_execz .LBB296_1565
; %bb.1560:                             ;   in Loop: Header=BB296_998 Depth=1
	v_and_b32_e32 v35, 0x7f, v33
	v_mov_b32_e32 v23, 0x7c01
	s_mov_b32 s17, exec_lo
	s_delay_alu instid0(VALU_DEP_2)
	v_cmpx_ne_u32_e32 0x7f, v35
	s_cbranch_execz .LBB296_1564
; %bb.1561:                             ;   in Loop: Header=BB296_998 Depth=1
	v_dual_lshrrev_b32 v34, 3, v35 :: v_dual_bitop2_b32 v23, 7, v33 bitop3:0x40
	s_mov_b32 s18, exec_lo
	v_cmpx_gt_u32_e32 8, v35
; %bb.1562:                             ;   in Loop: Header=BB296_998 Depth=1
	s_delay_alu instid0(VALU_DEP_2) | instskip(NEXT) | instid1(VALU_DEP_1)
	v_clz_i32_u32_e32 v23, v23
	v_min_u32_e32 v23, 32, v23
	s_delay_alu instid0(VALU_DEP_1) | instskip(NEXT) | instid1(VALU_DEP_1)
	v_subrev_nc_u32_e32 v34, 28, v23
	v_lshlrev_b64_e32 v[36:37], v34, v[6:7]
	s_delay_alu instid0(VALU_DEP_1)
	v_dual_sub_nc_u32 v34, 29, v23 :: v_dual_bitop2_b32 v23, 7, v36 bitop3:0x40
; %bb.1563:                             ;   in Loop: Header=BB296_998 Depth=1
	s_or_b32 exec_lo, exec_lo, s18
	s_delay_alu instid0(VALU_DEP_1) | instskip(NEXT) | instid1(VALU_DEP_2)
	v_dual_lshlrev_b32 v35, 8, v33 :: v_dual_lshlrev_b32 v23, 7, v23
	v_lshl_add_u32 v34, v34, 10, 0x2000
	s_delay_alu instid0(VALU_DEP_2) | instskip(NEXT) | instid1(VALU_DEP_2)
	v_and_b32_e32 v35, 0x8000, v35
	v_and_b32_e32 v34, 0xfc00, v34
	s_delay_alu instid0(VALU_DEP_1)
	v_or3_b32 v23, v35, v34, v23
.LBB296_1564:                           ;   in Loop: Header=BB296_998 Depth=1
	s_or_b32 exec_lo, exec_lo, s17
.LBB296_1565:                           ;   in Loop: Header=BB296_998 Depth=1
	s_delay_alu instid0(SALU_CYCLE_1)
	s_or_b32 exec_lo, exec_lo, s16
.LBB296_1566:                           ;   in Loop: Header=BB296_998 Depth=1
	s_delay_alu instid0(SALU_CYCLE_1) | instskip(SKIP_3) | instid1(VALU_DEP_2)
	s_or_b32 exec_lo, exec_lo, s15
	v_lshrrev_b16 v6, 8, v6
	v_mov_b32_e32 v34, 0
	s_mov_b32 s15, exec_lo
	v_cmpx_ne_u16_e32 0, v6
	s_cbranch_execz .LBB296_1574
; %bb.1567:                             ;   in Loop: Header=BB296_998 Depth=1
	v_bfrev_b32_e32 v34, 1
	s_mov_b32 s16, exec_lo
	v_cmpx_ne_u16_e32 0x80, v6
	s_cbranch_execz .LBB296_1573
; %bb.1568:                             ;   in Loop: Header=BB296_998 Depth=1
	v_and_b32_e32 v35, 0xffff, v6
	v_mov_b32_e32 v34, 0x7c010000
	s_mov_b32 s17, exec_lo
	s_delay_alu instid0(VALU_DEP_2) | instskip(NEXT) | instid1(VALU_DEP_1)
	v_and_b32_e32 v37, 0x7f, v35
	v_cmpx_ne_u32_e32 0x7f, v37
	s_cbranch_execz .LBB296_1572
; %bb.1569:                             ;   in Loop: Header=BB296_998 Depth=1
	v_dual_lshrrev_b32 v36, 3, v37 :: v_dual_bitop2_b32 v34, 7, v35 bitop3:0x40
	s_mov_b32 s18, exec_lo
	v_cmpx_gt_u32_e32 8, v37
; %bb.1570:                             ;   in Loop: Header=BB296_998 Depth=1
	s_delay_alu instid0(VALU_DEP_2) | instskip(NEXT) | instid1(VALU_DEP_1)
	v_clz_i32_u32_e32 v34, v34
	v_min_u32_e32 v34, 32, v34
	s_delay_alu instid0(VALU_DEP_1) | instskip(NEXT) | instid1(VALU_DEP_1)
	v_subrev_nc_u32_e32 v36, 28, v34
	v_lshlrev_b64_e32 v[38:39], v36, v[6:7]
	v_sub_nc_u32_e32 v36, 29, v34
	s_delay_alu instid0(VALU_DEP_2)
	v_and_b32_e32 v34, 7, v38
; %bb.1571:                             ;   in Loop: Header=BB296_998 Depth=1
	s_or_b32 exec_lo, exec_lo, s18
	s_delay_alu instid0(VALU_DEP_1) | instskip(NEXT) | instid1(VALU_DEP_3)
	v_dual_lshlrev_b32 v6, 8, v35 :: v_dual_lshlrev_b32 v34, 23, v34
	v_lshl_add_u32 v35, v36, 10, 0x2000
	s_delay_alu instid0(VALU_DEP_1) | instskip(NEXT) | instid1(VALU_DEP_1)
	v_and_or_b32 v6, 0x8000, v6, v35
	v_lshl_or_b32 v34, v6, 16, v34
.LBB296_1572:                           ;   in Loop: Header=BB296_998 Depth=1
	s_or_b32 exec_lo, exec_lo, s17
.LBB296_1573:                           ;   in Loop: Header=BB296_998 Depth=1
	s_delay_alu instid0(SALU_CYCLE_1)
	s_or_b32 exec_lo, exec_lo, s16
.LBB296_1574:                           ;   in Loop: Header=BB296_998 Depth=1
	s_delay_alu instid0(SALU_CYCLE_1) | instskip(SKIP_2) | instid1(VALU_DEP_1)
	s_or_b32 exec_lo, exec_lo, s15
	v_lshrrev_b32_e32 v6, 16, v33
	s_mov_b32 s15, exec_lo
	v_and_b32_e32 v35, 0xff, v6
	s_delay_alu instid0(VALU_DEP_1)
	v_cmpx_ne_u16_e32 0, v35
	s_cbranch_execz .LBB296_1582
; %bb.1575:                             ;   in Loop: Header=BB296_998 Depth=1
	v_mov_b32_e32 v31, 0x8000
	s_mov_b32 s16, exec_lo
	v_cmpx_ne_u16_e32 0x80, v35
	s_cbranch_execz .LBB296_1581
; %bb.1576:                             ;   in Loop: Header=BB296_998 Depth=1
	v_bfe_u32 v36, v33, 16, 7
	v_mov_b32_e32 v31, 0x7c01
	s_mov_b32 s17, exec_lo
	s_delay_alu instid0(VALU_DEP_2)
	v_cmpx_ne_u32_e32 0x7f, v36
	s_cbranch_execz .LBB296_1580
; %bb.1577:                             ;   in Loop: Header=BB296_998 Depth=1
	v_dual_lshrrev_b32 v35, 3, v36 :: v_dual_bitop2_b32 v31, 7, v6 bitop3:0x40
	s_mov_b32 s18, exec_lo
	v_cmpx_gt_u32_e32 8, v36
; %bb.1578:                             ;   in Loop: Header=BB296_998 Depth=1
	s_delay_alu instid0(VALU_DEP_2) | instskip(NEXT) | instid1(VALU_DEP_1)
	v_clz_i32_u32_e32 v31, v31
	v_min_u32_e32 v31, 32, v31
	s_delay_alu instid0(VALU_DEP_1) | instskip(NEXT) | instid1(VALU_DEP_1)
	v_subrev_nc_u32_e32 v35, 28, v31
	v_lshlrev_b64_e32 v[36:37], v35, v[6:7]
	s_delay_alu instid0(VALU_DEP_1)
	v_dual_sub_nc_u32 v35, 29, v31 :: v_dual_bitop2_b32 v31, 7, v36 bitop3:0x40
; %bb.1579:                             ;   in Loop: Header=BB296_998 Depth=1
	s_or_b32 exec_lo, exec_lo, s18
	s_delay_alu instid0(VALU_DEP_1) | instskip(NEXT) | instid1(VALU_DEP_2)
	v_dual_lshlrev_b32 v6, 8, v6 :: v_dual_lshlrev_b32 v31, 7, v31
	v_lshl_add_u32 v35, v35, 10, 0x2000
	s_delay_alu instid0(VALU_DEP_2) | instskip(NEXT) | instid1(VALU_DEP_2)
	v_and_b32_e32 v6, 0x8000, v6
	v_and_b32_e32 v35, 0xfc00, v35
	s_delay_alu instid0(VALU_DEP_1)
	v_or3_b32 v31, v6, v35, v31
.LBB296_1580:                           ;   in Loop: Header=BB296_998 Depth=1
	s_or_b32 exec_lo, exec_lo, s17
.LBB296_1581:                           ;   in Loop: Header=BB296_998 Depth=1
	s_delay_alu instid0(SALU_CYCLE_1)
	s_or_b32 exec_lo, exec_lo, s16
.LBB296_1582:                           ;   in Loop: Header=BB296_998 Depth=1
	s_delay_alu instid0(SALU_CYCLE_1)
	s_or_b32 exec_lo, exec_lo, s15
	v_cmp_lt_u64_e64 s0, s[2:3], v[32:33]
	v_mov_b32_e32 v32, 0
	s_and_saveexec_b32 s15, s0
	s_cbranch_execz .LBB296_1590
; %bb.1583:                             ;   in Loop: Header=BB296_998 Depth=1
	v_lshrrev_b32_e32 v6, 24, v33
	v_bfrev_b32_e32 v32, 1
	s_mov_b32 s16, exec_lo
	s_delay_alu instid0(VALU_DEP_2)
	v_cmpx_ne_u32_e32 0x80, v6
	s_cbranch_execz .LBB296_1589
; %bb.1584:                             ;   in Loop: Header=BB296_998 Depth=1
	v_and_b32_e32 v35, 0x7f, v6
	v_mov_b32_e32 v32, 0x7c010000
	s_mov_b32 s17, exec_lo
	s_delay_alu instid0(VALU_DEP_2)
	v_cmpx_ne_u32_e32 0x7f, v35
	s_cbranch_execz .LBB296_1588
; %bb.1585:                             ;   in Loop: Header=BB296_998 Depth=1
	v_dual_lshrrev_b32 v33, 3, v35 :: v_dual_bitop2_b32 v32, 7, v6 bitop3:0x40
	s_mov_b32 s18, exec_lo
	v_cmpx_gt_u32_e32 8, v35
; %bb.1586:                             ;   in Loop: Header=BB296_998 Depth=1
	s_delay_alu instid0(VALU_DEP_2) | instskip(NEXT) | instid1(VALU_DEP_1)
	v_clz_i32_u32_e32 v32, v32
	v_min_u32_e32 v35, 32, v32
	s_delay_alu instid0(VALU_DEP_1) | instskip(NEXT) | instid1(VALU_DEP_1)
	v_subrev_nc_u32_e32 v32, 28, v35
	v_lshlrev_b64_e32 v[32:33], v32, v[6:7]
	s_delay_alu instid0(VALU_DEP_1)
	v_dual_sub_nc_u32 v33, 29, v35 :: v_dual_bitop2_b32 v32, 7, v32 bitop3:0x40
; %bb.1587:                             ;   in Loop: Header=BB296_998 Depth=1
	s_or_b32 exec_lo, exec_lo, s18
	s_delay_alu instid0(VALU_DEP_1) | instskip(NEXT) | instid1(VALU_DEP_2)
	v_dual_lshlrev_b32 v6, 8, v6 :: v_dual_lshlrev_b32 v32, 23, v32
	v_lshl_add_u32 v33, v33, 10, 0x2000
	s_delay_alu instid0(VALU_DEP_1) | instskip(NEXT) | instid1(VALU_DEP_1)
	v_and_or_b32 v6, 0x8000, v6, v33
	v_lshl_or_b32 v32, v6, 16, v32
.LBB296_1588:                           ;   in Loop: Header=BB296_998 Depth=1
	s_or_b32 exec_lo, exec_lo, s17
.LBB296_1589:                           ;   in Loop: Header=BB296_998 Depth=1
	s_delay_alu instid0(SALU_CYCLE_1)
	s_or_b32 exec_lo, exec_lo, s16
.LBB296_1590:                           ;   in Loop: Header=BB296_998 Depth=1
	s_delay_alu instid0(SALU_CYCLE_1) | instskip(SKIP_4) | instid1(VALU_DEP_4)
	s_or_b32 exec_lo, exec_lo, s15
	v_dual_lshrrev_b32 v6, 16, v1 :: v_dual_lshrrev_b32 v33, 16, v19
	v_or_b32_e32 v1, v1, v18
	v_or_b32_e32 v22, v19, v22
	;; [unrolled: 1-line block ×3, first 2 shown]
	v_cvt_f32_f16_e32 v19, v6
	v_cvt_f32_f16_e32 v18, v33
	v_dual_lshrrev_b32 v31, 16, v34 :: v_dual_bitop2_b32 v6, v32, v31 bitop3:0x54
	v_lshrrev_b32_e32 v32, 16, v32
	v_cvt_f32_f16_e32 v23, v1
	s_delay_alu instid0(VALU_DEP_3) | instskip(SKIP_4) | instid1(VALU_DEP_3)
	v_cvt_f32_f16_e32 v34, v6
	s_wait_loadcnt_dscnt 0x0
	v_pk_mul_f32 v[18:19], v[30:31], v[18:19] op_sel_hi:[0,1]
	v_cvt_f32_f16_e32 v33, v31
	v_cvt_f32_f16_e32 v32, v32
	v_cvt_pk_f16_f32 v1, v18, v19
	s_delay_alu instid0(VALU_DEP_2) | instskip(NEXT) | instid1(VALU_DEP_2)
	v_pk_mul_f32 v[18:19], v[30:31], v[32:33] op_sel_hi:[0,1]
	v_lshlrev_b32_e32 v32, 16, v1
	v_cvt_f32_f16_e32 v22, v22
	v_and_b32_e32 v33, 0xffff0000, v1
	s_delay_alu instid0(VALU_DEP_4) | instskip(NEXT) | instid1(VALU_DEP_3)
	v_cvt_pk_f16_f32 v18, v18, v19
	v_pk_mul_f32 v[22:23], v[30:31], v[22:23] op_sel_hi:[0,1]
	s_delay_alu instid0(VALU_DEP_2) | instskip(NEXT) | instid1(VALU_DEP_2)
	v_and_b32_e32 v19, 0xffff0000, v18
	v_cvt_pk_f16_f32 v6, v22, v23
	s_delay_alu instid0(VALU_DEP_1) | instskip(SKIP_2) | instid1(VALU_DEP_3)
	v_lshrrev_b32_e32 v39, 16, v6
	v_cvt_f32_f16_e32 v35, v35
	v_and_b32_e32 v38, 0xffff, v6
	v_or_b32_e32 v37, v33, v39
	s_delay_alu instid0(VALU_DEP_3) | instskip(NEXT) | instid1(VALU_DEP_3)
	v_pk_mul_f32 v[30:31], v[30:31], v[34:35] op_sel_hi:[0,1]
	v_or_b32_e32 v36, v32, v38
	s_delay_alu instid0(VALU_DEP_2) | instskip(NEXT) | instid1(VALU_DEP_1)
	v_cvt_pk_f16_f32 v1, v30, v31
	v_dual_lshlrev_b32 v6, 16, v18 :: v_dual_lshrrev_b32 v31, 16, v1
	v_and_b32_e32 v30, 0xffff, v1
	s_delay_alu instid0(VALU_DEP_2) | instskip(NEXT) | instid1(VALU_DEP_2)
	v_or_b32_e32 v35, v19, v31
	v_or_b32_e32 v34, v6, v30
	s_and_saveexec_b32 s15, vcc_lo
	s_cbranch_execz .LBB296_1592
; %bb.1591:                             ;   in Loop: Header=BB296_998 Depth=1
	v_cmp_lt_i32_e64 s0, v53, v13
	s_delay_alu instid0(VALU_DEP_1) | instskip(SKIP_1) | instid1(VALU_DEP_1)
	v_cndmask_b32_e64 v1, 0, v39, s0
	v_cmp_lt_i32_e64 s0, v69, v58
	v_cndmask_b32_e64 v18, 0, v38, s0
	v_cmp_lt_i32_e64 s0, v68, v13
	s_delay_alu instid0(VALU_DEP_1) | instskip(SKIP_1) | instid1(VALU_DEP_1)
	v_cndmask_b32_e64 v22, 0, v33, s0
	v_cmp_lt_i32_e64 s0, v67, v58
	v_cndmask_b32_e64 v23, 0, v32, s0
	v_cmp_lt_i32_e64 s0, v66, v13
	s_delay_alu instid0(VALU_DEP_4) | instskip(NEXT) | instid1(VALU_DEP_3)
	v_or_b32_e32 v37, v1, v22
	v_or_b32_e32 v36, v18, v23
	s_delay_alu instid0(VALU_DEP_3) | instskip(SKIP_1) | instid1(VALU_DEP_1)
	v_cndmask_b32_e64 v31, 0, v31, s0
	v_cmp_lt_i32_e64 s0, v65, v58
	v_cndmask_b32_e64 v30, 0, v30, s0
	v_cmp_lt_i32_e64 s0, v64, v13
	s_delay_alu instid0(VALU_DEP_1) | instskip(SKIP_1) | instid1(VALU_DEP_1)
	v_cndmask_b32_e64 v19, 0, v19, s0
	v_cmp_lt_i32_e64 s0, v0, v58
	v_dual_cndmask_b32 v6, 0, v6, s0 :: v_dual_bitop2_b32 v35, v31, v19 bitop3:0x54
	s_delay_alu instid0(VALU_DEP_1)
	v_or_b32_e32 v34, v30, v6
.LBB296_1592:                           ;   in Loop: Header=BB296_998 Depth=1
	s_or_b32 exec_lo, exec_lo, s15
	;;#ASMSTART
	v_pk_mul_f16 v1, v81, v37;

	;;#ASMEND
	;;#ASMSTART
	v_pk_mul_f16 v6, v80, v36;

	;;#ASMEND
	;; [unrolled: 4-line block ×4, first 2 shown]
	;;#ASMSTART
	v_pk_add_f16 v1, v1, v6;

	;;#ASMEND
	;;#ASMSTART
	v_pk_add_f16 v1, v1, v18;

	;;#ASMEND
	;; [unrolled: 4-line block ×3, first 2 shown]
	v_and_b32_e32 v6, 0xffff, v1
	v_lshrrev_b32_e32 v1, 16, v1
	;;#ASMSTART
	v_cvt_f32_f16 v114, v6;
	;;#ASMEND
	;;#ASMSTART
	v_cvt_f32_f16 v115, v1;
	;;#ASMEND
	flat_load_b64 v[32:33], v[14:15] offset:2304
	scratch_load_b64 v[18:19], off, s32 offset:192 ; 8-byte Folded Reload
	v_mov_b32_e32 v1, 0
	s_mov_b32 s15, exec_lo
	s_wait_loadcnt_dscnt 0x100
	v_and_b32_e32 v6, 0xff, v32
	s_wait_loadcnt 0x0
	flat_load_b32 v30, v[18:19]
	s_wait_xcnt 0x0
	v_mov_b32_e32 v18, 0
	v_cmpx_ne_u16_e32 0, v6
	s_cbranch_execz .LBB296_1600
; %bb.1593:                             ;   in Loop: Header=BB296_998 Depth=1
	v_mov_b32_e32 v18, 0x8000
	s_mov_b32 s16, exec_lo
	v_cmpx_ne_u16_e32 0x80, v6
	s_cbranch_execz .LBB296_1599
; %bb.1594:                             ;   in Loop: Header=BB296_998 Depth=1
	v_and_b32_e32 v19, 0x7f, v32
	v_mov_b32_e32 v18, 0x7c01
	s_mov_b32 s17, exec_lo
	s_delay_alu instid0(VALU_DEP_2)
	v_cmpx_ne_u32_e32 0x7f, v19
	s_cbranch_execz .LBB296_1598
; %bb.1595:                             ;   in Loop: Header=BB296_998 Depth=1
	v_dual_lshrrev_b32 v18, 3, v19 :: v_dual_bitop2_b32 v6, 7, v32 bitop3:0x40
	s_mov_b32 s18, exec_lo
	v_cmpx_gt_u32_e32 8, v19
; %bb.1596:                             ;   in Loop: Header=BB296_998 Depth=1
	s_delay_alu instid0(VALU_DEP_2) | instskip(NEXT) | instid1(VALU_DEP_1)
	v_clz_i32_u32_e32 v6, v6
	v_min_u32_e32 v6, 32, v6
	s_delay_alu instid0(VALU_DEP_1) | instskip(NEXT) | instid1(VALU_DEP_1)
	v_subrev_nc_u32_e32 v18, 28, v6
	v_lshlrev_b64_e32 v[22:23], v18, v[32:33]
	v_sub_nc_u32_e32 v18, 29, v6
	s_delay_alu instid0(VALU_DEP_2)
	v_and_b32_e32 v6, 7, v22
; %bb.1597:                             ;   in Loop: Header=BB296_998 Depth=1
	s_or_b32 exec_lo, exec_lo, s18
	s_delay_alu instid0(VALU_DEP_1) | instskip(NEXT) | instid1(VALU_DEP_3)
	v_dual_lshlrev_b32 v19, 8, v32 :: v_dual_lshlrev_b32 v6, 7, v6
	v_lshl_add_u32 v18, v18, 10, 0x2000
	s_delay_alu instid0(VALU_DEP_2) | instskip(NEXT) | instid1(VALU_DEP_2)
	v_and_b32_e32 v19, 0x8000, v19
	v_and_b32_e32 v18, 0xfc00, v18
	s_delay_alu instid0(VALU_DEP_1)
	v_or3_b32 v18, v19, v18, v6
.LBB296_1598:                           ;   in Loop: Header=BB296_998 Depth=1
	s_or_b32 exec_lo, exec_lo, s17
.LBB296_1599:                           ;   in Loop: Header=BB296_998 Depth=1
	s_delay_alu instid0(SALU_CYCLE_1)
	s_or_b32 exec_lo, exec_lo, s16
.LBB296_1600:                           ;   in Loop: Header=BB296_998 Depth=1
	s_delay_alu instid0(SALU_CYCLE_1) | instskip(SKIP_2) | instid1(VALU_DEP_1)
	s_or_b32 exec_lo, exec_lo, s15
	v_lshrrev_b16 v6, 8, v32
	s_mov_b32 s15, exec_lo
	v_cmpx_ne_u16_e32 0, v6
	s_cbranch_execz .LBB296_1608
; %bb.1601:                             ;   in Loop: Header=BB296_998 Depth=1
	v_bfrev_b32_e32 v1, 1
	s_mov_b32 s16, exec_lo
	v_cmpx_ne_u16_e32 0x80, v6
	s_cbranch_execz .LBB296_1607
; %bb.1602:                             ;   in Loop: Header=BB296_998 Depth=1
	v_and_b32_e32 v19, 0xffff, v6
	v_mov_b32_e32 v1, 0x7c010000
	s_mov_b32 s17, exec_lo
	s_delay_alu instid0(VALU_DEP_2) | instskip(NEXT) | instid1(VALU_DEP_1)
	v_and_b32_e32 v23, 0x7f, v19
	v_cmpx_ne_u32_e32 0x7f, v23
	s_cbranch_execz .LBB296_1606
; %bb.1603:                             ;   in Loop: Header=BB296_998 Depth=1
	v_and_b32_e32 v1, 7, v19
	v_lshrrev_b32_e32 v22, 3, v23
	s_mov_b32 s18, exec_lo
	v_cmpx_gt_u32_e32 8, v23
; %bb.1604:                             ;   in Loop: Header=BB296_998 Depth=1
	s_delay_alu instid0(VALU_DEP_3) | instskip(NEXT) | instid1(VALU_DEP_1)
	v_clz_i32_u32_e32 v1, v1
	v_min_u32_e32 v1, 32, v1
	s_delay_alu instid0(VALU_DEP_1) | instskip(NEXT) | instid1(VALU_DEP_1)
	v_subrev_nc_u32_e32 v22, 28, v1
	v_lshlrev_b64_e32 v[34:35], v22, v[6:7]
	s_delay_alu instid0(VALU_DEP_1)
	v_dual_sub_nc_u32 v22, 29, v1 :: v_dual_bitop2_b32 v1, 7, v34 bitop3:0x40
; %bb.1605:                             ;   in Loop: Header=BB296_998 Depth=1
	s_or_b32 exec_lo, exec_lo, s18
	s_delay_alu instid0(VALU_DEP_1) | instskip(NEXT) | instid1(VALU_DEP_2)
	v_dual_lshlrev_b32 v6, 8, v19 :: v_dual_lshlrev_b32 v1, 23, v1
	v_lshl_add_u32 v19, v22, 10, 0x2000
	s_delay_alu instid0(VALU_DEP_1) | instskip(NEXT) | instid1(VALU_DEP_1)
	v_and_or_b32 v6, 0x8000, v6, v19
	v_lshl_or_b32 v1, v6, 16, v1
.LBB296_1606:                           ;   in Loop: Header=BB296_998 Depth=1
	s_or_b32 exec_lo, exec_lo, s17
.LBB296_1607:                           ;   in Loop: Header=BB296_998 Depth=1
	s_delay_alu instid0(SALU_CYCLE_1)
	s_or_b32 exec_lo, exec_lo, s16
.LBB296_1608:                           ;   in Loop: Header=BB296_998 Depth=1
	s_delay_alu instid0(SALU_CYCLE_1) | instskip(SKIP_3) | instid1(VALU_DEP_2)
	s_or_b32 exec_lo, exec_lo, s15
	v_dual_mov_b32 v19, 0 :: v_dual_lshrrev_b32 v6, 16, v32
	v_mov_b32_e32 v22, 0
	s_mov_b32 s15, exec_lo
	v_and_b32_e32 v23, 0xff, v6
	s_delay_alu instid0(VALU_DEP_1)
	v_cmpx_ne_u16_e32 0, v23
	s_cbranch_execz .LBB296_1616
; %bb.1609:                             ;   in Loop: Header=BB296_998 Depth=1
	v_mov_b32_e32 v22, 0x8000
	s_mov_b32 s16, exec_lo
	v_cmpx_ne_u16_e32 0x80, v23
	s_cbranch_execz .LBB296_1615
; %bb.1610:                             ;   in Loop: Header=BB296_998 Depth=1
	v_bfe_u32 v31, v32, 16, 7
	v_mov_b32_e32 v22, 0x7c01
	s_mov_b32 s17, exec_lo
	s_delay_alu instid0(VALU_DEP_2)
	v_cmpx_ne_u32_e32 0x7f, v31
	s_cbranch_execz .LBB296_1614
; %bb.1611:                             ;   in Loop: Header=BB296_998 Depth=1
	v_dual_lshrrev_b32 v23, 3, v31 :: v_dual_bitop2_b32 v22, 7, v6 bitop3:0x40
	s_mov_b32 s18, exec_lo
	v_cmpx_gt_u32_e32 8, v31
; %bb.1612:                             ;   in Loop: Header=BB296_998 Depth=1
	s_delay_alu instid0(VALU_DEP_2) | instskip(NEXT) | instid1(VALU_DEP_1)
	v_clz_i32_u32_e32 v22, v22
	v_min_u32_e32 v31, 32, v22
	s_delay_alu instid0(VALU_DEP_1) | instskip(NEXT) | instid1(VALU_DEP_1)
	v_subrev_nc_u32_e32 v22, 28, v31
	v_lshlrev_b64_e32 v[22:23], v22, v[6:7]
	s_delay_alu instid0(VALU_DEP_1)
	v_dual_sub_nc_u32 v23, 29, v31 :: v_dual_bitop2_b32 v22, 7, v22 bitop3:0x40
; %bb.1613:                             ;   in Loop: Header=BB296_998 Depth=1
	s_or_b32 exec_lo, exec_lo, s18
	v_lshlrev_b32_e32 v6, 8, v6
	s_delay_alu instid0(VALU_DEP_2) | instskip(NEXT) | instid1(VALU_DEP_3)
	v_lshl_add_u32 v23, v23, 10, 0x2000
	v_lshlrev_b32_e32 v22, 7, v22
	s_delay_alu instid0(VALU_DEP_3) | instskip(NEXT) | instid1(VALU_DEP_3)
	v_and_b32_e32 v6, 0x8000, v6
	v_and_b32_e32 v23, 0xfc00, v23
	s_delay_alu instid0(VALU_DEP_1)
	v_or3_b32 v22, v6, v23, v22
.LBB296_1614:                           ;   in Loop: Header=BB296_998 Depth=1
	s_or_b32 exec_lo, exec_lo, s17
.LBB296_1615:                           ;   in Loop: Header=BB296_998 Depth=1
	s_delay_alu instid0(SALU_CYCLE_1)
	s_or_b32 exec_lo, exec_lo, s16
.LBB296_1616:                           ;   in Loop: Header=BB296_998 Depth=1
	s_delay_alu instid0(SALU_CYCLE_1) | instskip(NEXT) | instid1(SALU_CYCLE_1)
	s_or_b32 exec_lo, exec_lo, s15
	s_mov_b32 s15, exec_lo
	v_cmpx_lt_u32_e32 0xffffff, v32
	s_cbranch_execz .LBB296_1624
; %bb.1617:                             ;   in Loop: Header=BB296_998 Depth=1
	v_lshrrev_b32_e32 v6, 24, v32
	v_bfrev_b32_e32 v19, 1
	s_mov_b32 s16, exec_lo
	s_delay_alu instid0(VALU_DEP_2)
	v_cmpx_ne_u32_e32 0x80, v6
	s_cbranch_execz .LBB296_1623
; %bb.1618:                             ;   in Loop: Header=BB296_998 Depth=1
	v_and_b32_e32 v31, 0x7f, v6
	v_mov_b32_e32 v19, 0x7c010000
	s_mov_b32 s17, exec_lo
	s_delay_alu instid0(VALU_DEP_2)
	v_cmpx_ne_u32_e32 0x7f, v31
	s_cbranch_execz .LBB296_1622
; %bb.1619:                             ;   in Loop: Header=BB296_998 Depth=1
	v_dual_lshrrev_b32 v23, 3, v31 :: v_dual_bitop2_b32 v19, 7, v6 bitop3:0x40
	s_mov_b32 s18, exec_lo
	v_cmpx_gt_u32_e32 8, v31
; %bb.1620:                             ;   in Loop: Header=BB296_998 Depth=1
	s_delay_alu instid0(VALU_DEP_2) | instskip(NEXT) | instid1(VALU_DEP_1)
	v_clz_i32_u32_e32 v19, v19
	v_min_u32_e32 v19, 32, v19
	s_delay_alu instid0(VALU_DEP_1) | instskip(NEXT) | instid1(VALU_DEP_1)
	v_subrev_nc_u32_e32 v23, 28, v19
	v_lshlrev_b64_e32 v[34:35], v23, v[6:7]
	s_delay_alu instid0(VALU_DEP_1)
	v_dual_sub_nc_u32 v23, 29, v19 :: v_dual_bitop2_b32 v19, 7, v34 bitop3:0x40
; %bb.1621:                             ;   in Loop: Header=BB296_998 Depth=1
	s_or_b32 exec_lo, exec_lo, s18
	s_delay_alu instid0(VALU_DEP_1) | instskip(NEXT) | instid1(VALU_DEP_2)
	v_dual_lshlrev_b32 v6, 8, v6 :: v_dual_lshlrev_b32 v19, 23, v19
	v_lshl_add_u32 v23, v23, 10, 0x2000
	s_delay_alu instid0(VALU_DEP_1) | instskip(NEXT) | instid1(VALU_DEP_1)
	v_and_or_b32 v6, 0x8000, v6, v23
	v_lshl_or_b32 v19, v6, 16, v19
.LBB296_1622:                           ;   in Loop: Header=BB296_998 Depth=1
	s_or_b32 exec_lo, exec_lo, s17
.LBB296_1623:                           ;   in Loop: Header=BB296_998 Depth=1
	s_delay_alu instid0(SALU_CYCLE_1)
	s_or_b32 exec_lo, exec_lo, s16
.LBB296_1624:                           ;   in Loop: Header=BB296_998 Depth=1
	s_delay_alu instid0(SALU_CYCLE_1) | instskip(SKIP_4) | instid1(VALU_DEP_3)
	s_or_b32 exec_lo, exec_lo, s15
	v_and_b32_e32 v34, 0xff, v33
	v_dual_mov_b32 v6, v33 :: v_dual_mov_b32 v31, 0
	v_mov_b32_e32 v23, 0
	s_mov_b32 s15, exec_lo
	v_cmpx_ne_u16_e32 0, v34
	s_cbranch_execz .LBB296_1632
; %bb.1625:                             ;   in Loop: Header=BB296_998 Depth=1
	v_mov_b32_e32 v23, 0x8000
	s_mov_b32 s16, exec_lo
	v_cmpx_ne_u16_e32 0x80, v34
	s_cbranch_execz .LBB296_1631
; %bb.1626:                             ;   in Loop: Header=BB296_998 Depth=1
	v_and_b32_e32 v35, 0x7f, v33
	v_mov_b32_e32 v23, 0x7c01
	s_mov_b32 s17, exec_lo
	s_delay_alu instid0(VALU_DEP_2)
	v_cmpx_ne_u32_e32 0x7f, v35
	s_cbranch_execz .LBB296_1630
; %bb.1627:                             ;   in Loop: Header=BB296_998 Depth=1
	v_dual_lshrrev_b32 v34, 3, v35 :: v_dual_bitop2_b32 v23, 7, v33 bitop3:0x40
	s_mov_b32 s18, exec_lo
	v_cmpx_gt_u32_e32 8, v35
; %bb.1628:                             ;   in Loop: Header=BB296_998 Depth=1
	s_delay_alu instid0(VALU_DEP_2) | instskip(NEXT) | instid1(VALU_DEP_1)
	v_clz_i32_u32_e32 v23, v23
	v_min_u32_e32 v23, 32, v23
	s_delay_alu instid0(VALU_DEP_1) | instskip(NEXT) | instid1(VALU_DEP_1)
	v_subrev_nc_u32_e32 v34, 28, v23
	v_lshlrev_b64_e32 v[36:37], v34, v[6:7]
	s_delay_alu instid0(VALU_DEP_1)
	v_dual_sub_nc_u32 v34, 29, v23 :: v_dual_bitop2_b32 v23, 7, v36 bitop3:0x40
; %bb.1629:                             ;   in Loop: Header=BB296_998 Depth=1
	s_or_b32 exec_lo, exec_lo, s18
	s_delay_alu instid0(VALU_DEP_1) | instskip(NEXT) | instid1(VALU_DEP_2)
	v_dual_lshlrev_b32 v35, 8, v33 :: v_dual_lshlrev_b32 v23, 7, v23
	v_lshl_add_u32 v34, v34, 10, 0x2000
	s_delay_alu instid0(VALU_DEP_2) | instskip(NEXT) | instid1(VALU_DEP_2)
	v_and_b32_e32 v35, 0x8000, v35
	v_and_b32_e32 v34, 0xfc00, v34
	s_delay_alu instid0(VALU_DEP_1)
	v_or3_b32 v23, v35, v34, v23
.LBB296_1630:                           ;   in Loop: Header=BB296_998 Depth=1
	s_or_b32 exec_lo, exec_lo, s17
.LBB296_1631:                           ;   in Loop: Header=BB296_998 Depth=1
	s_delay_alu instid0(SALU_CYCLE_1)
	s_or_b32 exec_lo, exec_lo, s16
.LBB296_1632:                           ;   in Loop: Header=BB296_998 Depth=1
	s_delay_alu instid0(SALU_CYCLE_1) | instskip(SKIP_3) | instid1(VALU_DEP_2)
	s_or_b32 exec_lo, exec_lo, s15
	v_lshrrev_b16 v6, 8, v6
	v_mov_b32_e32 v34, 0
	s_mov_b32 s15, exec_lo
	v_cmpx_ne_u16_e32 0, v6
	s_cbranch_execz .LBB296_1640
; %bb.1633:                             ;   in Loop: Header=BB296_998 Depth=1
	v_bfrev_b32_e32 v34, 1
	s_mov_b32 s16, exec_lo
	v_cmpx_ne_u16_e32 0x80, v6
	s_cbranch_execz .LBB296_1639
; %bb.1634:                             ;   in Loop: Header=BB296_998 Depth=1
	v_and_b32_e32 v35, 0xffff, v6
	v_mov_b32_e32 v34, 0x7c010000
	s_mov_b32 s17, exec_lo
	s_delay_alu instid0(VALU_DEP_2) | instskip(NEXT) | instid1(VALU_DEP_1)
	v_and_b32_e32 v37, 0x7f, v35
	v_cmpx_ne_u32_e32 0x7f, v37
	s_cbranch_execz .LBB296_1638
; %bb.1635:                             ;   in Loop: Header=BB296_998 Depth=1
	v_dual_lshrrev_b32 v36, 3, v37 :: v_dual_bitop2_b32 v34, 7, v35 bitop3:0x40
	s_mov_b32 s18, exec_lo
	v_cmpx_gt_u32_e32 8, v37
; %bb.1636:                             ;   in Loop: Header=BB296_998 Depth=1
	s_delay_alu instid0(VALU_DEP_2) | instskip(NEXT) | instid1(VALU_DEP_1)
	v_clz_i32_u32_e32 v34, v34
	v_min_u32_e32 v34, 32, v34
	s_delay_alu instid0(VALU_DEP_1) | instskip(NEXT) | instid1(VALU_DEP_1)
	v_subrev_nc_u32_e32 v36, 28, v34
	v_lshlrev_b64_e32 v[38:39], v36, v[6:7]
	v_sub_nc_u32_e32 v36, 29, v34
	s_delay_alu instid0(VALU_DEP_2)
	v_and_b32_e32 v34, 7, v38
; %bb.1637:                             ;   in Loop: Header=BB296_998 Depth=1
	s_or_b32 exec_lo, exec_lo, s18
	s_delay_alu instid0(VALU_DEP_1) | instskip(NEXT) | instid1(VALU_DEP_3)
	v_dual_lshlrev_b32 v6, 8, v35 :: v_dual_lshlrev_b32 v34, 23, v34
	v_lshl_add_u32 v35, v36, 10, 0x2000
	s_delay_alu instid0(VALU_DEP_1) | instskip(NEXT) | instid1(VALU_DEP_1)
	v_and_or_b32 v6, 0x8000, v6, v35
	v_lshl_or_b32 v34, v6, 16, v34
.LBB296_1638:                           ;   in Loop: Header=BB296_998 Depth=1
	s_or_b32 exec_lo, exec_lo, s17
.LBB296_1639:                           ;   in Loop: Header=BB296_998 Depth=1
	s_delay_alu instid0(SALU_CYCLE_1)
	s_or_b32 exec_lo, exec_lo, s16
.LBB296_1640:                           ;   in Loop: Header=BB296_998 Depth=1
	s_delay_alu instid0(SALU_CYCLE_1) | instskip(SKIP_2) | instid1(VALU_DEP_1)
	s_or_b32 exec_lo, exec_lo, s15
	v_lshrrev_b32_e32 v6, 16, v33
	s_mov_b32 s15, exec_lo
	v_and_b32_e32 v35, 0xff, v6
	s_delay_alu instid0(VALU_DEP_1)
	v_cmpx_ne_u16_e32 0, v35
	s_cbranch_execz .LBB296_1648
; %bb.1641:                             ;   in Loop: Header=BB296_998 Depth=1
	v_mov_b32_e32 v31, 0x8000
	s_mov_b32 s16, exec_lo
	v_cmpx_ne_u16_e32 0x80, v35
	s_cbranch_execz .LBB296_1647
; %bb.1642:                             ;   in Loop: Header=BB296_998 Depth=1
	v_bfe_u32 v36, v33, 16, 7
	v_mov_b32_e32 v31, 0x7c01
	s_mov_b32 s17, exec_lo
	s_delay_alu instid0(VALU_DEP_2)
	v_cmpx_ne_u32_e32 0x7f, v36
	s_cbranch_execz .LBB296_1646
; %bb.1643:                             ;   in Loop: Header=BB296_998 Depth=1
	v_dual_lshrrev_b32 v35, 3, v36 :: v_dual_bitop2_b32 v31, 7, v6 bitop3:0x40
	s_mov_b32 s18, exec_lo
	v_cmpx_gt_u32_e32 8, v36
; %bb.1644:                             ;   in Loop: Header=BB296_998 Depth=1
	s_delay_alu instid0(VALU_DEP_2) | instskip(NEXT) | instid1(VALU_DEP_1)
	v_clz_i32_u32_e32 v31, v31
	v_min_u32_e32 v31, 32, v31
	s_delay_alu instid0(VALU_DEP_1) | instskip(NEXT) | instid1(VALU_DEP_1)
	v_subrev_nc_u32_e32 v35, 28, v31
	v_lshlrev_b64_e32 v[36:37], v35, v[6:7]
	s_delay_alu instid0(VALU_DEP_1)
	v_dual_sub_nc_u32 v35, 29, v31 :: v_dual_bitop2_b32 v31, 7, v36 bitop3:0x40
; %bb.1645:                             ;   in Loop: Header=BB296_998 Depth=1
	s_or_b32 exec_lo, exec_lo, s18
	s_delay_alu instid0(VALU_DEP_1) | instskip(NEXT) | instid1(VALU_DEP_2)
	v_dual_lshlrev_b32 v6, 8, v6 :: v_dual_lshlrev_b32 v31, 7, v31
	v_lshl_add_u32 v35, v35, 10, 0x2000
	s_delay_alu instid0(VALU_DEP_2) | instskip(NEXT) | instid1(VALU_DEP_2)
	v_and_b32_e32 v6, 0x8000, v6
	v_and_b32_e32 v35, 0xfc00, v35
	s_delay_alu instid0(VALU_DEP_1)
	v_or3_b32 v31, v6, v35, v31
.LBB296_1646:                           ;   in Loop: Header=BB296_998 Depth=1
	s_or_b32 exec_lo, exec_lo, s17
.LBB296_1647:                           ;   in Loop: Header=BB296_998 Depth=1
	s_delay_alu instid0(SALU_CYCLE_1)
	s_or_b32 exec_lo, exec_lo, s16
.LBB296_1648:                           ;   in Loop: Header=BB296_998 Depth=1
	s_delay_alu instid0(SALU_CYCLE_1)
	s_or_b32 exec_lo, exec_lo, s15
	v_cmp_lt_u64_e64 s0, s[2:3], v[32:33]
	v_mov_b32_e32 v32, 0
	s_and_saveexec_b32 s15, s0
	s_cbranch_execz .LBB296_1656
; %bb.1649:                             ;   in Loop: Header=BB296_998 Depth=1
	v_lshrrev_b32_e32 v6, 24, v33
	v_bfrev_b32_e32 v32, 1
	s_mov_b32 s16, exec_lo
	s_delay_alu instid0(VALU_DEP_2)
	v_cmpx_ne_u32_e32 0x80, v6
	s_cbranch_execz .LBB296_1655
; %bb.1650:                             ;   in Loop: Header=BB296_998 Depth=1
	v_and_b32_e32 v35, 0x7f, v6
	v_mov_b32_e32 v32, 0x7c010000
	s_mov_b32 s17, exec_lo
	s_delay_alu instid0(VALU_DEP_2)
	v_cmpx_ne_u32_e32 0x7f, v35
	s_cbranch_execz .LBB296_1654
; %bb.1651:                             ;   in Loop: Header=BB296_998 Depth=1
	v_dual_lshrrev_b32 v33, 3, v35 :: v_dual_bitop2_b32 v32, 7, v6 bitop3:0x40
	s_mov_b32 s18, exec_lo
	v_cmpx_gt_u32_e32 8, v35
; %bb.1652:                             ;   in Loop: Header=BB296_998 Depth=1
	s_delay_alu instid0(VALU_DEP_2) | instskip(NEXT) | instid1(VALU_DEP_1)
	v_clz_i32_u32_e32 v32, v32
	v_min_u32_e32 v35, 32, v32
	s_delay_alu instid0(VALU_DEP_1) | instskip(NEXT) | instid1(VALU_DEP_1)
	v_subrev_nc_u32_e32 v32, 28, v35
	v_lshlrev_b64_e32 v[32:33], v32, v[6:7]
	s_delay_alu instid0(VALU_DEP_1)
	v_dual_sub_nc_u32 v33, 29, v35 :: v_dual_bitop2_b32 v32, 7, v32 bitop3:0x40
; %bb.1653:                             ;   in Loop: Header=BB296_998 Depth=1
	s_or_b32 exec_lo, exec_lo, s18
	s_delay_alu instid0(VALU_DEP_1) | instskip(NEXT) | instid1(VALU_DEP_2)
	v_dual_lshlrev_b32 v6, 8, v6 :: v_dual_lshlrev_b32 v32, 23, v32
	v_lshl_add_u32 v33, v33, 10, 0x2000
	s_delay_alu instid0(VALU_DEP_1) | instskip(NEXT) | instid1(VALU_DEP_1)
	v_and_or_b32 v6, 0x8000, v6, v33
	v_lshl_or_b32 v32, v6, 16, v32
.LBB296_1654:                           ;   in Loop: Header=BB296_998 Depth=1
	s_or_b32 exec_lo, exec_lo, s17
.LBB296_1655:                           ;   in Loop: Header=BB296_998 Depth=1
	s_delay_alu instid0(SALU_CYCLE_1)
	s_or_b32 exec_lo, exec_lo, s16
.LBB296_1656:                           ;   in Loop: Header=BB296_998 Depth=1
	s_delay_alu instid0(SALU_CYCLE_1) | instskip(SKIP_4) | instid1(VALU_DEP_4)
	s_or_b32 exec_lo, exec_lo, s15
	v_dual_lshrrev_b32 v6, 16, v1 :: v_dual_lshrrev_b32 v33, 16, v19
	v_or_b32_e32 v1, v1, v18
	v_or_b32_e32 v22, v19, v22
	;; [unrolled: 1-line block ×3, first 2 shown]
	v_cvt_f32_f16_e32 v19, v6
	v_cvt_f32_f16_e32 v18, v33
	v_dual_lshrrev_b32 v31, 16, v34 :: v_dual_bitop2_b32 v6, v32, v31 bitop3:0x54
	v_lshrrev_b32_e32 v32, 16, v32
	v_cvt_f32_f16_e32 v23, v1
	s_delay_alu instid0(VALU_DEP_3) | instskip(SKIP_4) | instid1(VALU_DEP_3)
	v_cvt_f32_f16_e32 v34, v6
	s_wait_loadcnt_dscnt 0x0
	v_pk_mul_f32 v[18:19], v[30:31], v[18:19] op_sel_hi:[0,1]
	v_cvt_f32_f16_e32 v33, v31
	v_cvt_f32_f16_e32 v32, v32
	v_cvt_pk_f16_f32 v1, v18, v19
	s_delay_alu instid0(VALU_DEP_2) | instskip(NEXT) | instid1(VALU_DEP_2)
	v_pk_mul_f32 v[18:19], v[30:31], v[32:33] op_sel_hi:[0,1]
	v_lshlrev_b32_e32 v32, 16, v1
	v_cvt_f32_f16_e32 v22, v22
	v_and_b32_e32 v33, 0xffff0000, v1
	s_delay_alu instid0(VALU_DEP_4) | instskip(NEXT) | instid1(VALU_DEP_3)
	v_cvt_pk_f16_f32 v18, v18, v19
	v_pk_mul_f32 v[22:23], v[30:31], v[22:23] op_sel_hi:[0,1]
	s_delay_alu instid0(VALU_DEP_2) | instskip(NEXT) | instid1(VALU_DEP_2)
	v_and_b32_e32 v19, 0xffff0000, v18
	v_cvt_pk_f16_f32 v6, v22, v23
	s_delay_alu instid0(VALU_DEP_1) | instskip(SKIP_2) | instid1(VALU_DEP_3)
	v_lshrrev_b32_e32 v39, 16, v6
	v_cvt_f32_f16_e32 v35, v35
	v_and_b32_e32 v38, 0xffff, v6
	v_or_b32_e32 v37, v33, v39
	s_delay_alu instid0(VALU_DEP_3) | instskip(NEXT) | instid1(VALU_DEP_3)
	v_pk_mul_f32 v[30:31], v[30:31], v[34:35] op_sel_hi:[0,1]
	v_or_b32_e32 v36, v32, v38
	s_delay_alu instid0(VALU_DEP_2) | instskip(NEXT) | instid1(VALU_DEP_1)
	v_cvt_pk_f16_f32 v1, v30, v31
	v_dual_lshlrev_b32 v6, 16, v18 :: v_dual_lshrrev_b32 v31, 16, v1
	v_and_b32_e32 v30, 0xffff, v1
	s_delay_alu instid0(VALU_DEP_2) | instskip(NEXT) | instid1(VALU_DEP_2)
	v_or_b32_e32 v35, v19, v31
	v_or_b32_e32 v34, v6, v30
	s_and_saveexec_b32 s15, vcc_lo
	s_cbranch_execz .LBB296_1658
; %bb.1657:                             ;   in Loop: Header=BB296_998 Depth=1
	v_cmp_lt_i32_e64 s0, v53, v13
	s_delay_alu instid0(VALU_DEP_1) | instskip(SKIP_1) | instid1(VALU_DEP_1)
	v_cndmask_b32_e64 v1, 0, v39, s0
	v_cmp_lt_i32_e64 s0, v69, v58
	v_cndmask_b32_e64 v18, 0, v38, s0
	v_cmp_lt_i32_e64 s0, v68, v13
	s_delay_alu instid0(VALU_DEP_1) | instskip(SKIP_1) | instid1(VALU_DEP_1)
	v_cndmask_b32_e64 v22, 0, v33, s0
	v_cmp_lt_i32_e64 s0, v67, v58
	v_cndmask_b32_e64 v23, 0, v32, s0
	v_cmp_lt_i32_e64 s0, v66, v13
	s_delay_alu instid0(VALU_DEP_4) | instskip(NEXT) | instid1(VALU_DEP_3)
	v_or_b32_e32 v37, v1, v22
	v_or_b32_e32 v36, v18, v23
	s_delay_alu instid0(VALU_DEP_3) | instskip(SKIP_1) | instid1(VALU_DEP_1)
	v_cndmask_b32_e64 v31, 0, v31, s0
	v_cmp_lt_i32_e64 s0, v65, v58
	v_cndmask_b32_e64 v30, 0, v30, s0
	v_cmp_lt_i32_e64 s0, v64, v13
	s_delay_alu instid0(VALU_DEP_1) | instskip(SKIP_1) | instid1(VALU_DEP_1)
	v_cndmask_b32_e64 v19, 0, v19, s0
	v_cmp_lt_i32_e64 s0, v0, v58
	v_dual_cndmask_b32 v6, 0, v6, s0 :: v_dual_bitop2_b32 v35, v31, v19 bitop3:0x54
	s_delay_alu instid0(VALU_DEP_1)
	v_or_b32_e32 v34, v30, v6
.LBB296_1658:                           ;   in Loop: Header=BB296_998 Depth=1
	s_or_b32 exec_lo, exec_lo, s15
	;;#ASMSTART
	v_pk_mul_f16 v1, v81, v37;

	;;#ASMEND
	;;#ASMSTART
	v_pk_mul_f16 v6, v80, v36;

	;;#ASMEND
	;; [unrolled: 4-line block ×4, first 2 shown]
	;;#ASMSTART
	v_pk_add_f16 v1, v1, v6;

	;;#ASMEND
	;;#ASMSTART
	v_pk_add_f16 v1, v1, v18;

	;;#ASMEND
	;; [unrolled: 4-line block ×3, first 2 shown]
	v_and_b32_e32 v6, 0xffff, v1
	v_lshrrev_b32_e32 v1, 16, v1
	;;#ASMSTART
	v_cvt_f32_f16 v116, v6;
	;;#ASMEND
	;;#ASMSTART
	v_cvt_f32_f16 v117, v1;
	;;#ASMEND
	flat_load_b64 v[32:33], v[14:15] offset:2560
	scratch_load_b64 v[18:19], off, s32 offset:192 ; 8-byte Folded Reload
	v_mov_b32_e32 v1, 0
	s_mov_b32 s15, exec_lo
	s_wait_loadcnt_dscnt 0x100
	v_and_b32_e32 v6, 0xff, v32
	s_wait_loadcnt 0x0
	flat_load_b32 v30, v[18:19]
	s_wait_xcnt 0x0
	v_mov_b32_e32 v18, 0
	v_cmpx_ne_u16_e32 0, v6
	s_cbranch_execz .LBB296_1666
; %bb.1659:                             ;   in Loop: Header=BB296_998 Depth=1
	v_mov_b32_e32 v18, 0x8000
	s_mov_b32 s16, exec_lo
	v_cmpx_ne_u16_e32 0x80, v6
	s_cbranch_execz .LBB296_1665
; %bb.1660:                             ;   in Loop: Header=BB296_998 Depth=1
	v_and_b32_e32 v19, 0x7f, v32
	v_mov_b32_e32 v18, 0x7c01
	s_mov_b32 s17, exec_lo
	s_delay_alu instid0(VALU_DEP_2)
	v_cmpx_ne_u32_e32 0x7f, v19
	s_cbranch_execz .LBB296_1664
; %bb.1661:                             ;   in Loop: Header=BB296_998 Depth=1
	v_dual_lshrrev_b32 v18, 3, v19 :: v_dual_bitop2_b32 v6, 7, v32 bitop3:0x40
	s_mov_b32 s18, exec_lo
	v_cmpx_gt_u32_e32 8, v19
; %bb.1662:                             ;   in Loop: Header=BB296_998 Depth=1
	s_delay_alu instid0(VALU_DEP_2) | instskip(NEXT) | instid1(VALU_DEP_1)
	v_clz_i32_u32_e32 v6, v6
	v_min_u32_e32 v6, 32, v6
	s_delay_alu instid0(VALU_DEP_1) | instskip(NEXT) | instid1(VALU_DEP_1)
	v_subrev_nc_u32_e32 v18, 28, v6
	v_lshlrev_b64_e32 v[22:23], v18, v[32:33]
	v_sub_nc_u32_e32 v18, 29, v6
	s_delay_alu instid0(VALU_DEP_2)
	v_and_b32_e32 v6, 7, v22
; %bb.1663:                             ;   in Loop: Header=BB296_998 Depth=1
	s_or_b32 exec_lo, exec_lo, s18
	s_delay_alu instid0(VALU_DEP_1) | instskip(NEXT) | instid1(VALU_DEP_3)
	v_dual_lshlrev_b32 v19, 8, v32 :: v_dual_lshlrev_b32 v6, 7, v6
	v_lshl_add_u32 v18, v18, 10, 0x2000
	s_delay_alu instid0(VALU_DEP_2) | instskip(NEXT) | instid1(VALU_DEP_2)
	v_and_b32_e32 v19, 0x8000, v19
	v_and_b32_e32 v18, 0xfc00, v18
	s_delay_alu instid0(VALU_DEP_1)
	v_or3_b32 v18, v19, v18, v6
.LBB296_1664:                           ;   in Loop: Header=BB296_998 Depth=1
	s_or_b32 exec_lo, exec_lo, s17
.LBB296_1665:                           ;   in Loop: Header=BB296_998 Depth=1
	s_delay_alu instid0(SALU_CYCLE_1)
	s_or_b32 exec_lo, exec_lo, s16
.LBB296_1666:                           ;   in Loop: Header=BB296_998 Depth=1
	s_delay_alu instid0(SALU_CYCLE_1) | instskip(SKIP_2) | instid1(VALU_DEP_1)
	s_or_b32 exec_lo, exec_lo, s15
	v_lshrrev_b16 v6, 8, v32
	s_mov_b32 s15, exec_lo
	v_cmpx_ne_u16_e32 0, v6
	s_cbranch_execz .LBB296_1674
; %bb.1667:                             ;   in Loop: Header=BB296_998 Depth=1
	v_bfrev_b32_e32 v1, 1
	s_mov_b32 s16, exec_lo
	v_cmpx_ne_u16_e32 0x80, v6
	s_cbranch_execz .LBB296_1673
; %bb.1668:                             ;   in Loop: Header=BB296_998 Depth=1
	v_and_b32_e32 v19, 0xffff, v6
	v_mov_b32_e32 v1, 0x7c010000
	s_mov_b32 s17, exec_lo
	s_delay_alu instid0(VALU_DEP_2) | instskip(NEXT) | instid1(VALU_DEP_1)
	v_and_b32_e32 v23, 0x7f, v19
	v_cmpx_ne_u32_e32 0x7f, v23
	s_cbranch_execz .LBB296_1672
; %bb.1669:                             ;   in Loop: Header=BB296_998 Depth=1
	v_and_b32_e32 v1, 7, v19
	v_lshrrev_b32_e32 v22, 3, v23
	s_mov_b32 s18, exec_lo
	v_cmpx_gt_u32_e32 8, v23
; %bb.1670:                             ;   in Loop: Header=BB296_998 Depth=1
	s_delay_alu instid0(VALU_DEP_3) | instskip(NEXT) | instid1(VALU_DEP_1)
	v_clz_i32_u32_e32 v1, v1
	v_min_u32_e32 v1, 32, v1
	s_delay_alu instid0(VALU_DEP_1) | instskip(NEXT) | instid1(VALU_DEP_1)
	v_subrev_nc_u32_e32 v22, 28, v1
	v_lshlrev_b64_e32 v[34:35], v22, v[6:7]
	s_delay_alu instid0(VALU_DEP_1)
	v_dual_sub_nc_u32 v22, 29, v1 :: v_dual_bitop2_b32 v1, 7, v34 bitop3:0x40
; %bb.1671:                             ;   in Loop: Header=BB296_998 Depth=1
	s_or_b32 exec_lo, exec_lo, s18
	s_delay_alu instid0(VALU_DEP_1) | instskip(NEXT) | instid1(VALU_DEP_2)
	v_dual_lshlrev_b32 v6, 8, v19 :: v_dual_lshlrev_b32 v1, 23, v1
	v_lshl_add_u32 v19, v22, 10, 0x2000
	s_delay_alu instid0(VALU_DEP_1) | instskip(NEXT) | instid1(VALU_DEP_1)
	v_and_or_b32 v6, 0x8000, v6, v19
	v_lshl_or_b32 v1, v6, 16, v1
.LBB296_1672:                           ;   in Loop: Header=BB296_998 Depth=1
	s_or_b32 exec_lo, exec_lo, s17
.LBB296_1673:                           ;   in Loop: Header=BB296_998 Depth=1
	s_delay_alu instid0(SALU_CYCLE_1)
	s_or_b32 exec_lo, exec_lo, s16
.LBB296_1674:                           ;   in Loop: Header=BB296_998 Depth=1
	s_delay_alu instid0(SALU_CYCLE_1) | instskip(SKIP_3) | instid1(VALU_DEP_2)
	s_or_b32 exec_lo, exec_lo, s15
	v_dual_mov_b32 v19, 0 :: v_dual_lshrrev_b32 v6, 16, v32
	v_mov_b32_e32 v22, 0
	s_mov_b32 s15, exec_lo
	v_and_b32_e32 v23, 0xff, v6
	s_delay_alu instid0(VALU_DEP_1)
	v_cmpx_ne_u16_e32 0, v23
	s_cbranch_execz .LBB296_1682
; %bb.1675:                             ;   in Loop: Header=BB296_998 Depth=1
	v_mov_b32_e32 v22, 0x8000
	s_mov_b32 s16, exec_lo
	v_cmpx_ne_u16_e32 0x80, v23
	s_cbranch_execz .LBB296_1681
; %bb.1676:                             ;   in Loop: Header=BB296_998 Depth=1
	v_bfe_u32 v31, v32, 16, 7
	v_mov_b32_e32 v22, 0x7c01
	s_mov_b32 s17, exec_lo
	s_delay_alu instid0(VALU_DEP_2)
	v_cmpx_ne_u32_e32 0x7f, v31
	s_cbranch_execz .LBB296_1680
; %bb.1677:                             ;   in Loop: Header=BB296_998 Depth=1
	v_dual_lshrrev_b32 v23, 3, v31 :: v_dual_bitop2_b32 v22, 7, v6 bitop3:0x40
	s_mov_b32 s18, exec_lo
	v_cmpx_gt_u32_e32 8, v31
; %bb.1678:                             ;   in Loop: Header=BB296_998 Depth=1
	s_delay_alu instid0(VALU_DEP_2) | instskip(NEXT) | instid1(VALU_DEP_1)
	v_clz_i32_u32_e32 v22, v22
	v_min_u32_e32 v31, 32, v22
	s_delay_alu instid0(VALU_DEP_1) | instskip(NEXT) | instid1(VALU_DEP_1)
	v_subrev_nc_u32_e32 v22, 28, v31
	v_lshlrev_b64_e32 v[22:23], v22, v[6:7]
	s_delay_alu instid0(VALU_DEP_1)
	v_dual_sub_nc_u32 v23, 29, v31 :: v_dual_bitop2_b32 v22, 7, v22 bitop3:0x40
; %bb.1679:                             ;   in Loop: Header=BB296_998 Depth=1
	s_or_b32 exec_lo, exec_lo, s18
	v_lshlrev_b32_e32 v6, 8, v6
	s_delay_alu instid0(VALU_DEP_2) | instskip(NEXT) | instid1(VALU_DEP_3)
	v_lshl_add_u32 v23, v23, 10, 0x2000
	v_lshlrev_b32_e32 v22, 7, v22
	s_delay_alu instid0(VALU_DEP_3) | instskip(NEXT) | instid1(VALU_DEP_3)
	v_and_b32_e32 v6, 0x8000, v6
	v_and_b32_e32 v23, 0xfc00, v23
	s_delay_alu instid0(VALU_DEP_1)
	v_or3_b32 v22, v6, v23, v22
.LBB296_1680:                           ;   in Loop: Header=BB296_998 Depth=1
	s_or_b32 exec_lo, exec_lo, s17
.LBB296_1681:                           ;   in Loop: Header=BB296_998 Depth=1
	s_delay_alu instid0(SALU_CYCLE_1)
	s_or_b32 exec_lo, exec_lo, s16
.LBB296_1682:                           ;   in Loop: Header=BB296_998 Depth=1
	s_delay_alu instid0(SALU_CYCLE_1) | instskip(NEXT) | instid1(SALU_CYCLE_1)
	s_or_b32 exec_lo, exec_lo, s15
	s_mov_b32 s15, exec_lo
	v_cmpx_lt_u32_e32 0xffffff, v32
	s_cbranch_execz .LBB296_1690
; %bb.1683:                             ;   in Loop: Header=BB296_998 Depth=1
	v_lshrrev_b32_e32 v6, 24, v32
	v_bfrev_b32_e32 v19, 1
	s_mov_b32 s16, exec_lo
	s_delay_alu instid0(VALU_DEP_2)
	v_cmpx_ne_u32_e32 0x80, v6
	s_cbranch_execz .LBB296_1689
; %bb.1684:                             ;   in Loop: Header=BB296_998 Depth=1
	v_and_b32_e32 v31, 0x7f, v6
	v_mov_b32_e32 v19, 0x7c010000
	s_mov_b32 s17, exec_lo
	s_delay_alu instid0(VALU_DEP_2)
	v_cmpx_ne_u32_e32 0x7f, v31
	s_cbranch_execz .LBB296_1688
; %bb.1685:                             ;   in Loop: Header=BB296_998 Depth=1
	v_dual_lshrrev_b32 v23, 3, v31 :: v_dual_bitop2_b32 v19, 7, v6 bitop3:0x40
	s_mov_b32 s18, exec_lo
	v_cmpx_gt_u32_e32 8, v31
; %bb.1686:                             ;   in Loop: Header=BB296_998 Depth=1
	s_delay_alu instid0(VALU_DEP_2) | instskip(NEXT) | instid1(VALU_DEP_1)
	v_clz_i32_u32_e32 v19, v19
	v_min_u32_e32 v19, 32, v19
	s_delay_alu instid0(VALU_DEP_1) | instskip(NEXT) | instid1(VALU_DEP_1)
	v_subrev_nc_u32_e32 v23, 28, v19
	v_lshlrev_b64_e32 v[34:35], v23, v[6:7]
	s_delay_alu instid0(VALU_DEP_1)
	v_dual_sub_nc_u32 v23, 29, v19 :: v_dual_bitop2_b32 v19, 7, v34 bitop3:0x40
; %bb.1687:                             ;   in Loop: Header=BB296_998 Depth=1
	s_or_b32 exec_lo, exec_lo, s18
	s_delay_alu instid0(VALU_DEP_1) | instskip(NEXT) | instid1(VALU_DEP_2)
	v_dual_lshlrev_b32 v6, 8, v6 :: v_dual_lshlrev_b32 v19, 23, v19
	v_lshl_add_u32 v23, v23, 10, 0x2000
	s_delay_alu instid0(VALU_DEP_1) | instskip(NEXT) | instid1(VALU_DEP_1)
	v_and_or_b32 v6, 0x8000, v6, v23
	v_lshl_or_b32 v19, v6, 16, v19
.LBB296_1688:                           ;   in Loop: Header=BB296_998 Depth=1
	s_or_b32 exec_lo, exec_lo, s17
.LBB296_1689:                           ;   in Loop: Header=BB296_998 Depth=1
	s_delay_alu instid0(SALU_CYCLE_1)
	s_or_b32 exec_lo, exec_lo, s16
.LBB296_1690:                           ;   in Loop: Header=BB296_998 Depth=1
	s_delay_alu instid0(SALU_CYCLE_1) | instskip(SKIP_4) | instid1(VALU_DEP_3)
	s_or_b32 exec_lo, exec_lo, s15
	v_and_b32_e32 v34, 0xff, v33
	v_dual_mov_b32 v6, v33 :: v_dual_mov_b32 v31, 0
	v_mov_b32_e32 v23, 0
	s_mov_b32 s15, exec_lo
	v_cmpx_ne_u16_e32 0, v34
	s_cbranch_execz .LBB296_1698
; %bb.1691:                             ;   in Loop: Header=BB296_998 Depth=1
	v_mov_b32_e32 v23, 0x8000
	s_mov_b32 s16, exec_lo
	v_cmpx_ne_u16_e32 0x80, v34
	s_cbranch_execz .LBB296_1697
; %bb.1692:                             ;   in Loop: Header=BB296_998 Depth=1
	v_and_b32_e32 v35, 0x7f, v33
	v_mov_b32_e32 v23, 0x7c01
	s_mov_b32 s17, exec_lo
	s_delay_alu instid0(VALU_DEP_2)
	v_cmpx_ne_u32_e32 0x7f, v35
	s_cbranch_execz .LBB296_1696
; %bb.1693:                             ;   in Loop: Header=BB296_998 Depth=1
	v_dual_lshrrev_b32 v34, 3, v35 :: v_dual_bitop2_b32 v23, 7, v33 bitop3:0x40
	s_mov_b32 s18, exec_lo
	v_cmpx_gt_u32_e32 8, v35
; %bb.1694:                             ;   in Loop: Header=BB296_998 Depth=1
	s_delay_alu instid0(VALU_DEP_2) | instskip(NEXT) | instid1(VALU_DEP_1)
	v_clz_i32_u32_e32 v23, v23
	v_min_u32_e32 v23, 32, v23
	s_delay_alu instid0(VALU_DEP_1) | instskip(NEXT) | instid1(VALU_DEP_1)
	v_subrev_nc_u32_e32 v34, 28, v23
	v_lshlrev_b64_e32 v[36:37], v34, v[6:7]
	s_delay_alu instid0(VALU_DEP_1)
	v_dual_sub_nc_u32 v34, 29, v23 :: v_dual_bitop2_b32 v23, 7, v36 bitop3:0x40
; %bb.1695:                             ;   in Loop: Header=BB296_998 Depth=1
	s_or_b32 exec_lo, exec_lo, s18
	s_delay_alu instid0(VALU_DEP_1) | instskip(NEXT) | instid1(VALU_DEP_2)
	v_dual_lshlrev_b32 v35, 8, v33 :: v_dual_lshlrev_b32 v23, 7, v23
	v_lshl_add_u32 v34, v34, 10, 0x2000
	s_delay_alu instid0(VALU_DEP_2) | instskip(NEXT) | instid1(VALU_DEP_2)
	v_and_b32_e32 v35, 0x8000, v35
	v_and_b32_e32 v34, 0xfc00, v34
	s_delay_alu instid0(VALU_DEP_1)
	v_or3_b32 v23, v35, v34, v23
.LBB296_1696:                           ;   in Loop: Header=BB296_998 Depth=1
	s_or_b32 exec_lo, exec_lo, s17
.LBB296_1697:                           ;   in Loop: Header=BB296_998 Depth=1
	s_delay_alu instid0(SALU_CYCLE_1)
	s_or_b32 exec_lo, exec_lo, s16
.LBB296_1698:                           ;   in Loop: Header=BB296_998 Depth=1
	s_delay_alu instid0(SALU_CYCLE_1) | instskip(SKIP_3) | instid1(VALU_DEP_2)
	s_or_b32 exec_lo, exec_lo, s15
	v_lshrrev_b16 v6, 8, v6
	v_mov_b32_e32 v34, 0
	s_mov_b32 s15, exec_lo
	v_cmpx_ne_u16_e32 0, v6
	s_cbranch_execz .LBB296_1706
; %bb.1699:                             ;   in Loop: Header=BB296_998 Depth=1
	v_bfrev_b32_e32 v34, 1
	s_mov_b32 s16, exec_lo
	v_cmpx_ne_u16_e32 0x80, v6
	s_cbranch_execz .LBB296_1705
; %bb.1700:                             ;   in Loop: Header=BB296_998 Depth=1
	v_and_b32_e32 v35, 0xffff, v6
	v_mov_b32_e32 v34, 0x7c010000
	s_mov_b32 s17, exec_lo
	s_delay_alu instid0(VALU_DEP_2) | instskip(NEXT) | instid1(VALU_DEP_1)
	v_and_b32_e32 v37, 0x7f, v35
	v_cmpx_ne_u32_e32 0x7f, v37
	s_cbranch_execz .LBB296_1704
; %bb.1701:                             ;   in Loop: Header=BB296_998 Depth=1
	v_dual_lshrrev_b32 v36, 3, v37 :: v_dual_bitop2_b32 v34, 7, v35 bitop3:0x40
	s_mov_b32 s18, exec_lo
	v_cmpx_gt_u32_e32 8, v37
; %bb.1702:                             ;   in Loop: Header=BB296_998 Depth=1
	s_delay_alu instid0(VALU_DEP_2) | instskip(NEXT) | instid1(VALU_DEP_1)
	v_clz_i32_u32_e32 v34, v34
	v_min_u32_e32 v34, 32, v34
	s_delay_alu instid0(VALU_DEP_1) | instskip(NEXT) | instid1(VALU_DEP_1)
	v_subrev_nc_u32_e32 v36, 28, v34
	v_lshlrev_b64_e32 v[38:39], v36, v[6:7]
	v_sub_nc_u32_e32 v36, 29, v34
	s_delay_alu instid0(VALU_DEP_2)
	v_and_b32_e32 v34, 7, v38
; %bb.1703:                             ;   in Loop: Header=BB296_998 Depth=1
	s_or_b32 exec_lo, exec_lo, s18
	s_delay_alu instid0(VALU_DEP_1) | instskip(NEXT) | instid1(VALU_DEP_3)
	v_dual_lshlrev_b32 v6, 8, v35 :: v_dual_lshlrev_b32 v34, 23, v34
	v_lshl_add_u32 v35, v36, 10, 0x2000
	s_delay_alu instid0(VALU_DEP_1) | instskip(NEXT) | instid1(VALU_DEP_1)
	v_and_or_b32 v6, 0x8000, v6, v35
	v_lshl_or_b32 v34, v6, 16, v34
.LBB296_1704:                           ;   in Loop: Header=BB296_998 Depth=1
	s_or_b32 exec_lo, exec_lo, s17
.LBB296_1705:                           ;   in Loop: Header=BB296_998 Depth=1
	s_delay_alu instid0(SALU_CYCLE_1)
	s_or_b32 exec_lo, exec_lo, s16
.LBB296_1706:                           ;   in Loop: Header=BB296_998 Depth=1
	s_delay_alu instid0(SALU_CYCLE_1) | instskip(SKIP_2) | instid1(VALU_DEP_1)
	s_or_b32 exec_lo, exec_lo, s15
	v_lshrrev_b32_e32 v6, 16, v33
	s_mov_b32 s15, exec_lo
	v_and_b32_e32 v35, 0xff, v6
	s_delay_alu instid0(VALU_DEP_1)
	v_cmpx_ne_u16_e32 0, v35
	s_cbranch_execz .LBB296_1714
; %bb.1707:                             ;   in Loop: Header=BB296_998 Depth=1
	v_mov_b32_e32 v31, 0x8000
	s_mov_b32 s16, exec_lo
	v_cmpx_ne_u16_e32 0x80, v35
	s_cbranch_execz .LBB296_1713
; %bb.1708:                             ;   in Loop: Header=BB296_998 Depth=1
	v_bfe_u32 v36, v33, 16, 7
	v_mov_b32_e32 v31, 0x7c01
	s_mov_b32 s17, exec_lo
	s_delay_alu instid0(VALU_DEP_2)
	v_cmpx_ne_u32_e32 0x7f, v36
	s_cbranch_execz .LBB296_1712
; %bb.1709:                             ;   in Loop: Header=BB296_998 Depth=1
	v_dual_lshrrev_b32 v35, 3, v36 :: v_dual_bitop2_b32 v31, 7, v6 bitop3:0x40
	s_mov_b32 s18, exec_lo
	v_cmpx_gt_u32_e32 8, v36
; %bb.1710:                             ;   in Loop: Header=BB296_998 Depth=1
	s_delay_alu instid0(VALU_DEP_2) | instskip(NEXT) | instid1(VALU_DEP_1)
	v_clz_i32_u32_e32 v31, v31
	v_min_u32_e32 v31, 32, v31
	s_delay_alu instid0(VALU_DEP_1) | instskip(NEXT) | instid1(VALU_DEP_1)
	v_subrev_nc_u32_e32 v35, 28, v31
	v_lshlrev_b64_e32 v[36:37], v35, v[6:7]
	s_delay_alu instid0(VALU_DEP_1)
	v_dual_sub_nc_u32 v35, 29, v31 :: v_dual_bitop2_b32 v31, 7, v36 bitop3:0x40
; %bb.1711:                             ;   in Loop: Header=BB296_998 Depth=1
	s_or_b32 exec_lo, exec_lo, s18
	s_delay_alu instid0(VALU_DEP_1) | instskip(NEXT) | instid1(VALU_DEP_2)
	v_dual_lshlrev_b32 v6, 8, v6 :: v_dual_lshlrev_b32 v31, 7, v31
	v_lshl_add_u32 v35, v35, 10, 0x2000
	s_delay_alu instid0(VALU_DEP_2) | instskip(NEXT) | instid1(VALU_DEP_2)
	v_and_b32_e32 v6, 0x8000, v6
	v_and_b32_e32 v35, 0xfc00, v35
	s_delay_alu instid0(VALU_DEP_1)
	v_or3_b32 v31, v6, v35, v31
.LBB296_1712:                           ;   in Loop: Header=BB296_998 Depth=1
	s_or_b32 exec_lo, exec_lo, s17
.LBB296_1713:                           ;   in Loop: Header=BB296_998 Depth=1
	s_delay_alu instid0(SALU_CYCLE_1)
	s_or_b32 exec_lo, exec_lo, s16
.LBB296_1714:                           ;   in Loop: Header=BB296_998 Depth=1
	s_delay_alu instid0(SALU_CYCLE_1)
	s_or_b32 exec_lo, exec_lo, s15
	v_cmp_lt_u64_e64 s0, s[2:3], v[32:33]
	v_mov_b32_e32 v32, 0
	s_and_saveexec_b32 s15, s0
	s_cbranch_execz .LBB296_1722
; %bb.1715:                             ;   in Loop: Header=BB296_998 Depth=1
	v_lshrrev_b32_e32 v6, 24, v33
	v_bfrev_b32_e32 v32, 1
	s_mov_b32 s16, exec_lo
	s_delay_alu instid0(VALU_DEP_2)
	v_cmpx_ne_u32_e32 0x80, v6
	s_cbranch_execz .LBB296_1721
; %bb.1716:                             ;   in Loop: Header=BB296_998 Depth=1
	v_and_b32_e32 v35, 0x7f, v6
	v_mov_b32_e32 v32, 0x7c010000
	s_mov_b32 s17, exec_lo
	s_delay_alu instid0(VALU_DEP_2)
	v_cmpx_ne_u32_e32 0x7f, v35
	s_cbranch_execz .LBB296_1720
; %bb.1717:                             ;   in Loop: Header=BB296_998 Depth=1
	v_dual_lshrrev_b32 v33, 3, v35 :: v_dual_bitop2_b32 v32, 7, v6 bitop3:0x40
	s_mov_b32 s18, exec_lo
	v_cmpx_gt_u32_e32 8, v35
; %bb.1718:                             ;   in Loop: Header=BB296_998 Depth=1
	s_delay_alu instid0(VALU_DEP_2) | instskip(NEXT) | instid1(VALU_DEP_1)
	v_clz_i32_u32_e32 v32, v32
	v_min_u32_e32 v35, 32, v32
	s_delay_alu instid0(VALU_DEP_1) | instskip(NEXT) | instid1(VALU_DEP_1)
	v_subrev_nc_u32_e32 v32, 28, v35
	v_lshlrev_b64_e32 v[32:33], v32, v[6:7]
	s_delay_alu instid0(VALU_DEP_1)
	v_dual_sub_nc_u32 v33, 29, v35 :: v_dual_bitop2_b32 v32, 7, v32 bitop3:0x40
; %bb.1719:                             ;   in Loop: Header=BB296_998 Depth=1
	s_or_b32 exec_lo, exec_lo, s18
	s_delay_alu instid0(VALU_DEP_1) | instskip(NEXT) | instid1(VALU_DEP_2)
	v_dual_lshlrev_b32 v6, 8, v6 :: v_dual_lshlrev_b32 v32, 23, v32
	v_lshl_add_u32 v33, v33, 10, 0x2000
	s_delay_alu instid0(VALU_DEP_1) | instskip(NEXT) | instid1(VALU_DEP_1)
	v_and_or_b32 v6, 0x8000, v6, v33
	v_lshl_or_b32 v32, v6, 16, v32
.LBB296_1720:                           ;   in Loop: Header=BB296_998 Depth=1
	s_or_b32 exec_lo, exec_lo, s17
.LBB296_1721:                           ;   in Loop: Header=BB296_998 Depth=1
	s_delay_alu instid0(SALU_CYCLE_1)
	s_or_b32 exec_lo, exec_lo, s16
.LBB296_1722:                           ;   in Loop: Header=BB296_998 Depth=1
	s_delay_alu instid0(SALU_CYCLE_1) | instskip(SKIP_4) | instid1(VALU_DEP_4)
	s_or_b32 exec_lo, exec_lo, s15
	v_dual_lshrrev_b32 v6, 16, v1 :: v_dual_lshrrev_b32 v33, 16, v19
	v_or_b32_e32 v1, v1, v18
	v_or_b32_e32 v22, v19, v22
	;; [unrolled: 1-line block ×3, first 2 shown]
	v_cvt_f32_f16_e32 v19, v6
	v_cvt_f32_f16_e32 v18, v33
	v_dual_lshrrev_b32 v31, 16, v34 :: v_dual_bitop2_b32 v6, v32, v31 bitop3:0x54
	v_lshrrev_b32_e32 v32, 16, v32
	v_cvt_f32_f16_e32 v23, v1
	s_delay_alu instid0(VALU_DEP_3) | instskip(SKIP_4) | instid1(VALU_DEP_3)
	v_cvt_f32_f16_e32 v34, v6
	s_wait_loadcnt_dscnt 0x0
	v_pk_mul_f32 v[18:19], v[30:31], v[18:19] op_sel_hi:[0,1]
	v_cvt_f32_f16_e32 v33, v31
	v_cvt_f32_f16_e32 v32, v32
	v_cvt_pk_f16_f32 v1, v18, v19
	s_delay_alu instid0(VALU_DEP_2) | instskip(NEXT) | instid1(VALU_DEP_2)
	v_pk_mul_f32 v[18:19], v[30:31], v[32:33] op_sel_hi:[0,1]
	v_lshlrev_b32_e32 v32, 16, v1
	v_cvt_f32_f16_e32 v22, v22
	v_and_b32_e32 v33, 0xffff0000, v1
	s_delay_alu instid0(VALU_DEP_4) | instskip(NEXT) | instid1(VALU_DEP_3)
	v_cvt_pk_f16_f32 v18, v18, v19
	v_pk_mul_f32 v[22:23], v[30:31], v[22:23] op_sel_hi:[0,1]
	s_delay_alu instid0(VALU_DEP_2) | instskip(NEXT) | instid1(VALU_DEP_2)
	v_and_b32_e32 v19, 0xffff0000, v18
	v_cvt_pk_f16_f32 v6, v22, v23
	s_delay_alu instid0(VALU_DEP_1) | instskip(SKIP_2) | instid1(VALU_DEP_3)
	v_lshrrev_b32_e32 v39, 16, v6
	v_cvt_f32_f16_e32 v35, v35
	v_and_b32_e32 v38, 0xffff, v6
	v_or_b32_e32 v37, v33, v39
	s_delay_alu instid0(VALU_DEP_3) | instskip(NEXT) | instid1(VALU_DEP_3)
	v_pk_mul_f32 v[30:31], v[30:31], v[34:35] op_sel_hi:[0,1]
	v_or_b32_e32 v36, v32, v38
	s_delay_alu instid0(VALU_DEP_2) | instskip(NEXT) | instid1(VALU_DEP_1)
	v_cvt_pk_f16_f32 v1, v30, v31
	v_dual_lshlrev_b32 v6, 16, v18 :: v_dual_lshrrev_b32 v31, 16, v1
	v_and_b32_e32 v30, 0xffff, v1
	s_delay_alu instid0(VALU_DEP_2) | instskip(NEXT) | instid1(VALU_DEP_2)
	v_or_b32_e32 v35, v19, v31
	v_or_b32_e32 v34, v6, v30
	s_and_saveexec_b32 s15, vcc_lo
	s_cbranch_execz .LBB296_1724
; %bb.1723:                             ;   in Loop: Header=BB296_998 Depth=1
	v_cmp_lt_i32_e64 s0, v53, v13
	s_delay_alu instid0(VALU_DEP_1) | instskip(SKIP_1) | instid1(VALU_DEP_1)
	v_cndmask_b32_e64 v1, 0, v39, s0
	v_cmp_lt_i32_e64 s0, v69, v58
	v_cndmask_b32_e64 v18, 0, v38, s0
	v_cmp_lt_i32_e64 s0, v68, v13
	s_delay_alu instid0(VALU_DEP_1) | instskip(SKIP_1) | instid1(VALU_DEP_1)
	v_cndmask_b32_e64 v22, 0, v33, s0
	v_cmp_lt_i32_e64 s0, v67, v58
	v_cndmask_b32_e64 v23, 0, v32, s0
	v_cmp_lt_i32_e64 s0, v66, v13
	s_delay_alu instid0(VALU_DEP_4) | instskip(NEXT) | instid1(VALU_DEP_3)
	v_or_b32_e32 v37, v1, v22
	v_or_b32_e32 v36, v18, v23
	s_delay_alu instid0(VALU_DEP_3) | instskip(SKIP_1) | instid1(VALU_DEP_1)
	v_cndmask_b32_e64 v31, 0, v31, s0
	v_cmp_lt_i32_e64 s0, v65, v58
	v_cndmask_b32_e64 v30, 0, v30, s0
	v_cmp_lt_i32_e64 s0, v64, v13
	s_delay_alu instid0(VALU_DEP_1) | instskip(SKIP_1) | instid1(VALU_DEP_1)
	v_cndmask_b32_e64 v19, 0, v19, s0
	v_cmp_lt_i32_e64 s0, v0, v58
	v_dual_cndmask_b32 v6, 0, v6, s0 :: v_dual_bitop2_b32 v35, v31, v19 bitop3:0x54
	s_delay_alu instid0(VALU_DEP_1)
	v_or_b32_e32 v34, v30, v6
.LBB296_1724:                           ;   in Loop: Header=BB296_998 Depth=1
	s_or_b32 exec_lo, exec_lo, s15
	;;#ASMSTART
	v_pk_mul_f16 v1, v81, v37;

	;;#ASMEND
	;;#ASMSTART
	v_pk_mul_f16 v6, v80, v36;

	;;#ASMEND
	;; [unrolled: 4-line block ×4, first 2 shown]
	;;#ASMSTART
	v_pk_add_f16 v1, v1, v6;

	;;#ASMEND
	;;#ASMSTART
	v_pk_add_f16 v1, v1, v18;

	;;#ASMEND
	;; [unrolled: 4-line block ×3, first 2 shown]
	v_and_b32_e32 v6, 0xffff, v1
	v_lshrrev_b32_e32 v1, 16, v1
	;;#ASMSTART
	v_cvt_f32_f16 v118, v6;
	;;#ASMEND
	;;#ASMSTART
	v_cvt_f32_f16 v119, v1;
	;;#ASMEND
	flat_load_b64 v[32:33], v[14:15] offset:2816
	scratch_load_b64 v[18:19], off, s32 offset:192 ; 8-byte Folded Reload
	v_mov_b32_e32 v1, 0
	s_mov_b32 s15, exec_lo
	s_wait_loadcnt_dscnt 0x100
	v_and_b32_e32 v6, 0xff, v32
	s_wait_loadcnt 0x0
	flat_load_b32 v30, v[18:19]
	s_wait_xcnt 0x0
	v_mov_b32_e32 v18, 0
	v_cmpx_ne_u16_e32 0, v6
	s_cbranch_execz .LBB296_1732
; %bb.1725:                             ;   in Loop: Header=BB296_998 Depth=1
	v_mov_b32_e32 v18, 0x8000
	s_mov_b32 s16, exec_lo
	v_cmpx_ne_u16_e32 0x80, v6
	s_cbranch_execz .LBB296_1731
; %bb.1726:                             ;   in Loop: Header=BB296_998 Depth=1
	v_and_b32_e32 v19, 0x7f, v32
	v_mov_b32_e32 v18, 0x7c01
	s_mov_b32 s17, exec_lo
	s_delay_alu instid0(VALU_DEP_2)
	v_cmpx_ne_u32_e32 0x7f, v19
	s_cbranch_execz .LBB296_1730
; %bb.1727:                             ;   in Loop: Header=BB296_998 Depth=1
	v_dual_lshrrev_b32 v18, 3, v19 :: v_dual_bitop2_b32 v6, 7, v32 bitop3:0x40
	s_mov_b32 s18, exec_lo
	v_cmpx_gt_u32_e32 8, v19
; %bb.1728:                             ;   in Loop: Header=BB296_998 Depth=1
	s_delay_alu instid0(VALU_DEP_2) | instskip(NEXT) | instid1(VALU_DEP_1)
	v_clz_i32_u32_e32 v6, v6
	v_min_u32_e32 v6, 32, v6
	s_delay_alu instid0(VALU_DEP_1) | instskip(NEXT) | instid1(VALU_DEP_1)
	v_subrev_nc_u32_e32 v18, 28, v6
	v_lshlrev_b64_e32 v[22:23], v18, v[32:33]
	v_sub_nc_u32_e32 v18, 29, v6
	s_delay_alu instid0(VALU_DEP_2)
	v_and_b32_e32 v6, 7, v22
; %bb.1729:                             ;   in Loop: Header=BB296_998 Depth=1
	s_or_b32 exec_lo, exec_lo, s18
	s_delay_alu instid0(VALU_DEP_1) | instskip(NEXT) | instid1(VALU_DEP_3)
	v_dual_lshlrev_b32 v19, 8, v32 :: v_dual_lshlrev_b32 v6, 7, v6
	v_lshl_add_u32 v18, v18, 10, 0x2000
	s_delay_alu instid0(VALU_DEP_2) | instskip(NEXT) | instid1(VALU_DEP_2)
	v_and_b32_e32 v19, 0x8000, v19
	v_and_b32_e32 v18, 0xfc00, v18
	s_delay_alu instid0(VALU_DEP_1)
	v_or3_b32 v18, v19, v18, v6
.LBB296_1730:                           ;   in Loop: Header=BB296_998 Depth=1
	s_or_b32 exec_lo, exec_lo, s17
.LBB296_1731:                           ;   in Loop: Header=BB296_998 Depth=1
	s_delay_alu instid0(SALU_CYCLE_1)
	s_or_b32 exec_lo, exec_lo, s16
.LBB296_1732:                           ;   in Loop: Header=BB296_998 Depth=1
	s_delay_alu instid0(SALU_CYCLE_1) | instskip(SKIP_2) | instid1(VALU_DEP_1)
	s_or_b32 exec_lo, exec_lo, s15
	v_lshrrev_b16 v6, 8, v32
	s_mov_b32 s15, exec_lo
	v_cmpx_ne_u16_e32 0, v6
	s_cbranch_execz .LBB296_1740
; %bb.1733:                             ;   in Loop: Header=BB296_998 Depth=1
	v_bfrev_b32_e32 v1, 1
	s_mov_b32 s16, exec_lo
	v_cmpx_ne_u16_e32 0x80, v6
	s_cbranch_execz .LBB296_1739
; %bb.1734:                             ;   in Loop: Header=BB296_998 Depth=1
	v_and_b32_e32 v19, 0xffff, v6
	v_mov_b32_e32 v1, 0x7c010000
	s_mov_b32 s17, exec_lo
	s_delay_alu instid0(VALU_DEP_2) | instskip(NEXT) | instid1(VALU_DEP_1)
	v_and_b32_e32 v23, 0x7f, v19
	v_cmpx_ne_u32_e32 0x7f, v23
	s_cbranch_execz .LBB296_1738
; %bb.1735:                             ;   in Loop: Header=BB296_998 Depth=1
	v_and_b32_e32 v1, 7, v19
	v_lshrrev_b32_e32 v22, 3, v23
	s_mov_b32 s18, exec_lo
	v_cmpx_gt_u32_e32 8, v23
; %bb.1736:                             ;   in Loop: Header=BB296_998 Depth=1
	s_delay_alu instid0(VALU_DEP_3) | instskip(NEXT) | instid1(VALU_DEP_1)
	v_clz_i32_u32_e32 v1, v1
	v_min_u32_e32 v1, 32, v1
	s_delay_alu instid0(VALU_DEP_1) | instskip(NEXT) | instid1(VALU_DEP_1)
	v_subrev_nc_u32_e32 v22, 28, v1
	v_lshlrev_b64_e32 v[34:35], v22, v[6:7]
	s_delay_alu instid0(VALU_DEP_1)
	v_dual_sub_nc_u32 v22, 29, v1 :: v_dual_bitop2_b32 v1, 7, v34 bitop3:0x40
; %bb.1737:                             ;   in Loop: Header=BB296_998 Depth=1
	s_or_b32 exec_lo, exec_lo, s18
	s_delay_alu instid0(VALU_DEP_1) | instskip(NEXT) | instid1(VALU_DEP_2)
	v_dual_lshlrev_b32 v6, 8, v19 :: v_dual_lshlrev_b32 v1, 23, v1
	v_lshl_add_u32 v19, v22, 10, 0x2000
	s_delay_alu instid0(VALU_DEP_1) | instskip(NEXT) | instid1(VALU_DEP_1)
	v_and_or_b32 v6, 0x8000, v6, v19
	v_lshl_or_b32 v1, v6, 16, v1
.LBB296_1738:                           ;   in Loop: Header=BB296_998 Depth=1
	s_or_b32 exec_lo, exec_lo, s17
.LBB296_1739:                           ;   in Loop: Header=BB296_998 Depth=1
	s_delay_alu instid0(SALU_CYCLE_1)
	s_or_b32 exec_lo, exec_lo, s16
.LBB296_1740:                           ;   in Loop: Header=BB296_998 Depth=1
	s_delay_alu instid0(SALU_CYCLE_1) | instskip(SKIP_3) | instid1(VALU_DEP_2)
	s_or_b32 exec_lo, exec_lo, s15
	v_dual_mov_b32 v19, 0 :: v_dual_lshrrev_b32 v6, 16, v32
	v_mov_b32_e32 v22, 0
	s_mov_b32 s15, exec_lo
	v_and_b32_e32 v23, 0xff, v6
	s_delay_alu instid0(VALU_DEP_1)
	v_cmpx_ne_u16_e32 0, v23
	s_cbranch_execz .LBB296_1748
; %bb.1741:                             ;   in Loop: Header=BB296_998 Depth=1
	v_mov_b32_e32 v22, 0x8000
	s_mov_b32 s16, exec_lo
	v_cmpx_ne_u16_e32 0x80, v23
	s_cbranch_execz .LBB296_1747
; %bb.1742:                             ;   in Loop: Header=BB296_998 Depth=1
	v_bfe_u32 v31, v32, 16, 7
	v_mov_b32_e32 v22, 0x7c01
	s_mov_b32 s17, exec_lo
	s_delay_alu instid0(VALU_DEP_2)
	v_cmpx_ne_u32_e32 0x7f, v31
	s_cbranch_execz .LBB296_1746
; %bb.1743:                             ;   in Loop: Header=BB296_998 Depth=1
	v_dual_lshrrev_b32 v23, 3, v31 :: v_dual_bitop2_b32 v22, 7, v6 bitop3:0x40
	s_mov_b32 s18, exec_lo
	v_cmpx_gt_u32_e32 8, v31
; %bb.1744:                             ;   in Loop: Header=BB296_998 Depth=1
	s_delay_alu instid0(VALU_DEP_2) | instskip(NEXT) | instid1(VALU_DEP_1)
	v_clz_i32_u32_e32 v22, v22
	v_min_u32_e32 v31, 32, v22
	s_delay_alu instid0(VALU_DEP_1) | instskip(NEXT) | instid1(VALU_DEP_1)
	v_subrev_nc_u32_e32 v22, 28, v31
	v_lshlrev_b64_e32 v[22:23], v22, v[6:7]
	s_delay_alu instid0(VALU_DEP_1)
	v_dual_sub_nc_u32 v23, 29, v31 :: v_dual_bitop2_b32 v22, 7, v22 bitop3:0x40
; %bb.1745:                             ;   in Loop: Header=BB296_998 Depth=1
	s_or_b32 exec_lo, exec_lo, s18
	v_lshlrev_b32_e32 v6, 8, v6
	s_delay_alu instid0(VALU_DEP_2) | instskip(NEXT) | instid1(VALU_DEP_3)
	v_lshl_add_u32 v23, v23, 10, 0x2000
	v_lshlrev_b32_e32 v22, 7, v22
	s_delay_alu instid0(VALU_DEP_3) | instskip(NEXT) | instid1(VALU_DEP_3)
	v_and_b32_e32 v6, 0x8000, v6
	v_and_b32_e32 v23, 0xfc00, v23
	s_delay_alu instid0(VALU_DEP_1)
	v_or3_b32 v22, v6, v23, v22
.LBB296_1746:                           ;   in Loop: Header=BB296_998 Depth=1
	s_or_b32 exec_lo, exec_lo, s17
.LBB296_1747:                           ;   in Loop: Header=BB296_998 Depth=1
	s_delay_alu instid0(SALU_CYCLE_1)
	s_or_b32 exec_lo, exec_lo, s16
.LBB296_1748:                           ;   in Loop: Header=BB296_998 Depth=1
	s_delay_alu instid0(SALU_CYCLE_1) | instskip(NEXT) | instid1(SALU_CYCLE_1)
	s_or_b32 exec_lo, exec_lo, s15
	s_mov_b32 s15, exec_lo
	v_cmpx_lt_u32_e32 0xffffff, v32
	s_cbranch_execz .LBB296_1756
; %bb.1749:                             ;   in Loop: Header=BB296_998 Depth=1
	v_lshrrev_b32_e32 v6, 24, v32
	v_bfrev_b32_e32 v19, 1
	s_mov_b32 s16, exec_lo
	s_delay_alu instid0(VALU_DEP_2)
	v_cmpx_ne_u32_e32 0x80, v6
	s_cbranch_execz .LBB296_1755
; %bb.1750:                             ;   in Loop: Header=BB296_998 Depth=1
	v_and_b32_e32 v31, 0x7f, v6
	v_mov_b32_e32 v19, 0x7c010000
	s_mov_b32 s17, exec_lo
	s_delay_alu instid0(VALU_DEP_2)
	v_cmpx_ne_u32_e32 0x7f, v31
	s_cbranch_execz .LBB296_1754
; %bb.1751:                             ;   in Loop: Header=BB296_998 Depth=1
	v_dual_lshrrev_b32 v23, 3, v31 :: v_dual_bitop2_b32 v19, 7, v6 bitop3:0x40
	s_mov_b32 s18, exec_lo
	v_cmpx_gt_u32_e32 8, v31
; %bb.1752:                             ;   in Loop: Header=BB296_998 Depth=1
	s_delay_alu instid0(VALU_DEP_2) | instskip(NEXT) | instid1(VALU_DEP_1)
	v_clz_i32_u32_e32 v19, v19
	v_min_u32_e32 v19, 32, v19
	s_delay_alu instid0(VALU_DEP_1) | instskip(NEXT) | instid1(VALU_DEP_1)
	v_subrev_nc_u32_e32 v23, 28, v19
	v_lshlrev_b64_e32 v[34:35], v23, v[6:7]
	s_delay_alu instid0(VALU_DEP_1)
	v_dual_sub_nc_u32 v23, 29, v19 :: v_dual_bitop2_b32 v19, 7, v34 bitop3:0x40
; %bb.1753:                             ;   in Loop: Header=BB296_998 Depth=1
	s_or_b32 exec_lo, exec_lo, s18
	s_delay_alu instid0(VALU_DEP_1) | instskip(NEXT) | instid1(VALU_DEP_2)
	v_dual_lshlrev_b32 v6, 8, v6 :: v_dual_lshlrev_b32 v19, 23, v19
	v_lshl_add_u32 v23, v23, 10, 0x2000
	s_delay_alu instid0(VALU_DEP_1) | instskip(NEXT) | instid1(VALU_DEP_1)
	v_and_or_b32 v6, 0x8000, v6, v23
	v_lshl_or_b32 v19, v6, 16, v19
.LBB296_1754:                           ;   in Loop: Header=BB296_998 Depth=1
	s_or_b32 exec_lo, exec_lo, s17
.LBB296_1755:                           ;   in Loop: Header=BB296_998 Depth=1
	s_delay_alu instid0(SALU_CYCLE_1)
	s_or_b32 exec_lo, exec_lo, s16
.LBB296_1756:                           ;   in Loop: Header=BB296_998 Depth=1
	s_delay_alu instid0(SALU_CYCLE_1) | instskip(SKIP_4) | instid1(VALU_DEP_3)
	s_or_b32 exec_lo, exec_lo, s15
	v_and_b32_e32 v34, 0xff, v33
	v_dual_mov_b32 v6, v33 :: v_dual_mov_b32 v31, 0
	v_mov_b32_e32 v23, 0
	s_mov_b32 s15, exec_lo
	v_cmpx_ne_u16_e32 0, v34
	s_cbranch_execz .LBB296_1764
; %bb.1757:                             ;   in Loop: Header=BB296_998 Depth=1
	v_mov_b32_e32 v23, 0x8000
	s_mov_b32 s16, exec_lo
	v_cmpx_ne_u16_e32 0x80, v34
	s_cbranch_execz .LBB296_1763
; %bb.1758:                             ;   in Loop: Header=BB296_998 Depth=1
	v_and_b32_e32 v35, 0x7f, v33
	v_mov_b32_e32 v23, 0x7c01
	s_mov_b32 s17, exec_lo
	s_delay_alu instid0(VALU_DEP_2)
	v_cmpx_ne_u32_e32 0x7f, v35
	s_cbranch_execz .LBB296_1762
; %bb.1759:                             ;   in Loop: Header=BB296_998 Depth=1
	v_dual_lshrrev_b32 v34, 3, v35 :: v_dual_bitop2_b32 v23, 7, v33 bitop3:0x40
	s_mov_b32 s18, exec_lo
	v_cmpx_gt_u32_e32 8, v35
; %bb.1760:                             ;   in Loop: Header=BB296_998 Depth=1
	s_delay_alu instid0(VALU_DEP_2) | instskip(NEXT) | instid1(VALU_DEP_1)
	v_clz_i32_u32_e32 v23, v23
	v_min_u32_e32 v23, 32, v23
	s_delay_alu instid0(VALU_DEP_1) | instskip(NEXT) | instid1(VALU_DEP_1)
	v_subrev_nc_u32_e32 v34, 28, v23
	v_lshlrev_b64_e32 v[36:37], v34, v[6:7]
	s_delay_alu instid0(VALU_DEP_1)
	v_dual_sub_nc_u32 v34, 29, v23 :: v_dual_bitop2_b32 v23, 7, v36 bitop3:0x40
; %bb.1761:                             ;   in Loop: Header=BB296_998 Depth=1
	s_or_b32 exec_lo, exec_lo, s18
	s_delay_alu instid0(VALU_DEP_1) | instskip(NEXT) | instid1(VALU_DEP_2)
	v_dual_lshlrev_b32 v35, 8, v33 :: v_dual_lshlrev_b32 v23, 7, v23
	v_lshl_add_u32 v34, v34, 10, 0x2000
	s_delay_alu instid0(VALU_DEP_2) | instskip(NEXT) | instid1(VALU_DEP_2)
	v_and_b32_e32 v35, 0x8000, v35
	v_and_b32_e32 v34, 0xfc00, v34
	s_delay_alu instid0(VALU_DEP_1)
	v_or3_b32 v23, v35, v34, v23
.LBB296_1762:                           ;   in Loop: Header=BB296_998 Depth=1
	s_or_b32 exec_lo, exec_lo, s17
.LBB296_1763:                           ;   in Loop: Header=BB296_998 Depth=1
	s_delay_alu instid0(SALU_CYCLE_1)
	s_or_b32 exec_lo, exec_lo, s16
.LBB296_1764:                           ;   in Loop: Header=BB296_998 Depth=1
	s_delay_alu instid0(SALU_CYCLE_1) | instskip(SKIP_3) | instid1(VALU_DEP_2)
	s_or_b32 exec_lo, exec_lo, s15
	v_lshrrev_b16 v6, 8, v6
	v_mov_b32_e32 v34, 0
	s_mov_b32 s15, exec_lo
	v_cmpx_ne_u16_e32 0, v6
	s_cbranch_execz .LBB296_1772
; %bb.1765:                             ;   in Loop: Header=BB296_998 Depth=1
	v_bfrev_b32_e32 v34, 1
	s_mov_b32 s16, exec_lo
	v_cmpx_ne_u16_e32 0x80, v6
	s_cbranch_execz .LBB296_1771
; %bb.1766:                             ;   in Loop: Header=BB296_998 Depth=1
	v_and_b32_e32 v35, 0xffff, v6
	v_mov_b32_e32 v34, 0x7c010000
	s_mov_b32 s17, exec_lo
	s_delay_alu instid0(VALU_DEP_2) | instskip(NEXT) | instid1(VALU_DEP_1)
	v_and_b32_e32 v37, 0x7f, v35
	v_cmpx_ne_u32_e32 0x7f, v37
	s_cbranch_execz .LBB296_1770
; %bb.1767:                             ;   in Loop: Header=BB296_998 Depth=1
	v_dual_lshrrev_b32 v36, 3, v37 :: v_dual_bitop2_b32 v34, 7, v35 bitop3:0x40
	s_mov_b32 s18, exec_lo
	v_cmpx_gt_u32_e32 8, v37
; %bb.1768:                             ;   in Loop: Header=BB296_998 Depth=1
	s_delay_alu instid0(VALU_DEP_2) | instskip(NEXT) | instid1(VALU_DEP_1)
	v_clz_i32_u32_e32 v34, v34
	v_min_u32_e32 v34, 32, v34
	s_delay_alu instid0(VALU_DEP_1) | instskip(NEXT) | instid1(VALU_DEP_1)
	v_subrev_nc_u32_e32 v36, 28, v34
	v_lshlrev_b64_e32 v[38:39], v36, v[6:7]
	v_sub_nc_u32_e32 v36, 29, v34
	s_delay_alu instid0(VALU_DEP_2)
	v_and_b32_e32 v34, 7, v38
; %bb.1769:                             ;   in Loop: Header=BB296_998 Depth=1
	s_or_b32 exec_lo, exec_lo, s18
	s_delay_alu instid0(VALU_DEP_1) | instskip(NEXT) | instid1(VALU_DEP_3)
	v_dual_lshlrev_b32 v6, 8, v35 :: v_dual_lshlrev_b32 v34, 23, v34
	v_lshl_add_u32 v35, v36, 10, 0x2000
	s_delay_alu instid0(VALU_DEP_1) | instskip(NEXT) | instid1(VALU_DEP_1)
	v_and_or_b32 v6, 0x8000, v6, v35
	v_lshl_or_b32 v34, v6, 16, v34
.LBB296_1770:                           ;   in Loop: Header=BB296_998 Depth=1
	s_or_b32 exec_lo, exec_lo, s17
.LBB296_1771:                           ;   in Loop: Header=BB296_998 Depth=1
	s_delay_alu instid0(SALU_CYCLE_1)
	s_or_b32 exec_lo, exec_lo, s16
.LBB296_1772:                           ;   in Loop: Header=BB296_998 Depth=1
	s_delay_alu instid0(SALU_CYCLE_1) | instskip(SKIP_2) | instid1(VALU_DEP_1)
	s_or_b32 exec_lo, exec_lo, s15
	v_lshrrev_b32_e32 v6, 16, v33
	s_mov_b32 s15, exec_lo
	v_and_b32_e32 v35, 0xff, v6
	s_delay_alu instid0(VALU_DEP_1)
	v_cmpx_ne_u16_e32 0, v35
	s_cbranch_execz .LBB296_1780
; %bb.1773:                             ;   in Loop: Header=BB296_998 Depth=1
	v_mov_b32_e32 v31, 0x8000
	s_mov_b32 s16, exec_lo
	v_cmpx_ne_u16_e32 0x80, v35
	s_cbranch_execz .LBB296_1779
; %bb.1774:                             ;   in Loop: Header=BB296_998 Depth=1
	v_bfe_u32 v36, v33, 16, 7
	v_mov_b32_e32 v31, 0x7c01
	s_mov_b32 s17, exec_lo
	s_delay_alu instid0(VALU_DEP_2)
	v_cmpx_ne_u32_e32 0x7f, v36
	s_cbranch_execz .LBB296_1778
; %bb.1775:                             ;   in Loop: Header=BB296_998 Depth=1
	v_dual_lshrrev_b32 v35, 3, v36 :: v_dual_bitop2_b32 v31, 7, v6 bitop3:0x40
	s_mov_b32 s18, exec_lo
	v_cmpx_gt_u32_e32 8, v36
; %bb.1776:                             ;   in Loop: Header=BB296_998 Depth=1
	s_delay_alu instid0(VALU_DEP_2) | instskip(NEXT) | instid1(VALU_DEP_1)
	v_clz_i32_u32_e32 v31, v31
	v_min_u32_e32 v31, 32, v31
	s_delay_alu instid0(VALU_DEP_1) | instskip(NEXT) | instid1(VALU_DEP_1)
	v_subrev_nc_u32_e32 v35, 28, v31
	v_lshlrev_b64_e32 v[36:37], v35, v[6:7]
	s_delay_alu instid0(VALU_DEP_1)
	v_dual_sub_nc_u32 v35, 29, v31 :: v_dual_bitop2_b32 v31, 7, v36 bitop3:0x40
; %bb.1777:                             ;   in Loop: Header=BB296_998 Depth=1
	s_or_b32 exec_lo, exec_lo, s18
	s_delay_alu instid0(VALU_DEP_1) | instskip(NEXT) | instid1(VALU_DEP_2)
	v_dual_lshlrev_b32 v6, 8, v6 :: v_dual_lshlrev_b32 v31, 7, v31
	v_lshl_add_u32 v35, v35, 10, 0x2000
	s_delay_alu instid0(VALU_DEP_2) | instskip(NEXT) | instid1(VALU_DEP_2)
	v_and_b32_e32 v6, 0x8000, v6
	v_and_b32_e32 v35, 0xfc00, v35
	s_delay_alu instid0(VALU_DEP_1)
	v_or3_b32 v31, v6, v35, v31
.LBB296_1778:                           ;   in Loop: Header=BB296_998 Depth=1
	s_or_b32 exec_lo, exec_lo, s17
.LBB296_1779:                           ;   in Loop: Header=BB296_998 Depth=1
	s_delay_alu instid0(SALU_CYCLE_1)
	s_or_b32 exec_lo, exec_lo, s16
.LBB296_1780:                           ;   in Loop: Header=BB296_998 Depth=1
	s_delay_alu instid0(SALU_CYCLE_1)
	s_or_b32 exec_lo, exec_lo, s15
	v_cmp_lt_u64_e64 s0, s[2:3], v[32:33]
	v_mov_b32_e32 v32, 0
	s_and_saveexec_b32 s15, s0
	s_cbranch_execz .LBB296_1788
; %bb.1781:                             ;   in Loop: Header=BB296_998 Depth=1
	v_lshrrev_b32_e32 v6, 24, v33
	v_bfrev_b32_e32 v32, 1
	s_mov_b32 s16, exec_lo
	s_delay_alu instid0(VALU_DEP_2)
	v_cmpx_ne_u32_e32 0x80, v6
	s_cbranch_execz .LBB296_1787
; %bb.1782:                             ;   in Loop: Header=BB296_998 Depth=1
	v_and_b32_e32 v35, 0x7f, v6
	v_mov_b32_e32 v32, 0x7c010000
	s_mov_b32 s17, exec_lo
	s_delay_alu instid0(VALU_DEP_2)
	v_cmpx_ne_u32_e32 0x7f, v35
	s_cbranch_execz .LBB296_1786
; %bb.1783:                             ;   in Loop: Header=BB296_998 Depth=1
	v_dual_lshrrev_b32 v33, 3, v35 :: v_dual_bitop2_b32 v32, 7, v6 bitop3:0x40
	s_mov_b32 s18, exec_lo
	v_cmpx_gt_u32_e32 8, v35
; %bb.1784:                             ;   in Loop: Header=BB296_998 Depth=1
	s_delay_alu instid0(VALU_DEP_2) | instskip(NEXT) | instid1(VALU_DEP_1)
	v_clz_i32_u32_e32 v32, v32
	v_min_u32_e32 v35, 32, v32
	s_delay_alu instid0(VALU_DEP_1) | instskip(NEXT) | instid1(VALU_DEP_1)
	v_subrev_nc_u32_e32 v32, 28, v35
	v_lshlrev_b64_e32 v[32:33], v32, v[6:7]
	s_delay_alu instid0(VALU_DEP_1)
	v_dual_sub_nc_u32 v33, 29, v35 :: v_dual_bitop2_b32 v32, 7, v32 bitop3:0x40
; %bb.1785:                             ;   in Loop: Header=BB296_998 Depth=1
	s_or_b32 exec_lo, exec_lo, s18
	s_delay_alu instid0(VALU_DEP_1) | instskip(NEXT) | instid1(VALU_DEP_2)
	v_dual_lshlrev_b32 v6, 8, v6 :: v_dual_lshlrev_b32 v32, 23, v32
	v_lshl_add_u32 v33, v33, 10, 0x2000
	s_delay_alu instid0(VALU_DEP_1) | instskip(NEXT) | instid1(VALU_DEP_1)
	v_and_or_b32 v6, 0x8000, v6, v33
	v_lshl_or_b32 v32, v6, 16, v32
.LBB296_1786:                           ;   in Loop: Header=BB296_998 Depth=1
	s_or_b32 exec_lo, exec_lo, s17
.LBB296_1787:                           ;   in Loop: Header=BB296_998 Depth=1
	s_delay_alu instid0(SALU_CYCLE_1)
	s_or_b32 exec_lo, exec_lo, s16
.LBB296_1788:                           ;   in Loop: Header=BB296_998 Depth=1
	s_delay_alu instid0(SALU_CYCLE_1) | instskip(SKIP_4) | instid1(VALU_DEP_4)
	s_or_b32 exec_lo, exec_lo, s15
	v_dual_lshrrev_b32 v6, 16, v1 :: v_dual_lshrrev_b32 v33, 16, v19
	v_or_b32_e32 v1, v1, v18
	v_or_b32_e32 v22, v19, v22
	v_or_b32_e32 v35, v34, v23
	v_cvt_f32_f16_e32 v19, v6
	v_cvt_f32_f16_e32 v18, v33
	v_dual_lshrrev_b32 v31, 16, v34 :: v_dual_bitop2_b32 v6, v32, v31 bitop3:0x54
	v_lshrrev_b32_e32 v32, 16, v32
	v_cvt_f32_f16_e32 v23, v1
	s_delay_alu instid0(VALU_DEP_3) | instskip(SKIP_4) | instid1(VALU_DEP_3)
	v_cvt_f32_f16_e32 v34, v6
	s_wait_loadcnt_dscnt 0x0
	v_pk_mul_f32 v[18:19], v[30:31], v[18:19] op_sel_hi:[0,1]
	v_cvt_f32_f16_e32 v33, v31
	v_cvt_f32_f16_e32 v32, v32
	v_cvt_pk_f16_f32 v1, v18, v19
	s_delay_alu instid0(VALU_DEP_2) | instskip(NEXT) | instid1(VALU_DEP_2)
	v_pk_mul_f32 v[18:19], v[30:31], v[32:33] op_sel_hi:[0,1]
	v_lshlrev_b32_e32 v32, 16, v1
	v_cvt_f32_f16_e32 v22, v22
	v_and_b32_e32 v33, 0xffff0000, v1
	s_delay_alu instid0(VALU_DEP_4) | instskip(NEXT) | instid1(VALU_DEP_3)
	v_cvt_pk_f16_f32 v18, v18, v19
	v_pk_mul_f32 v[22:23], v[30:31], v[22:23] op_sel_hi:[0,1]
	s_delay_alu instid0(VALU_DEP_2) | instskip(NEXT) | instid1(VALU_DEP_2)
	v_and_b32_e32 v19, 0xffff0000, v18
	v_cvt_pk_f16_f32 v6, v22, v23
	s_delay_alu instid0(VALU_DEP_1) | instskip(SKIP_2) | instid1(VALU_DEP_3)
	v_lshrrev_b32_e32 v39, 16, v6
	v_cvt_f32_f16_e32 v35, v35
	v_and_b32_e32 v38, 0xffff, v6
	v_or_b32_e32 v37, v33, v39
	s_delay_alu instid0(VALU_DEP_3) | instskip(NEXT) | instid1(VALU_DEP_3)
	v_pk_mul_f32 v[30:31], v[30:31], v[34:35] op_sel_hi:[0,1]
	v_or_b32_e32 v36, v32, v38
	s_delay_alu instid0(VALU_DEP_2) | instskip(NEXT) | instid1(VALU_DEP_1)
	v_cvt_pk_f16_f32 v1, v30, v31
	v_dual_lshlrev_b32 v6, 16, v18 :: v_dual_lshrrev_b32 v31, 16, v1
	v_and_b32_e32 v30, 0xffff, v1
	s_delay_alu instid0(VALU_DEP_2) | instskip(NEXT) | instid1(VALU_DEP_2)
	v_or_b32_e32 v35, v19, v31
	v_or_b32_e32 v34, v6, v30
	s_and_saveexec_b32 s15, vcc_lo
	s_cbranch_execz .LBB296_1790
; %bb.1789:                             ;   in Loop: Header=BB296_998 Depth=1
	v_cmp_lt_i32_e64 s0, v53, v13
	s_delay_alu instid0(VALU_DEP_1) | instskip(SKIP_1) | instid1(VALU_DEP_1)
	v_cndmask_b32_e64 v1, 0, v39, s0
	v_cmp_lt_i32_e64 s0, v69, v58
	v_cndmask_b32_e64 v18, 0, v38, s0
	v_cmp_lt_i32_e64 s0, v68, v13
	s_delay_alu instid0(VALU_DEP_1) | instskip(SKIP_1) | instid1(VALU_DEP_1)
	v_cndmask_b32_e64 v22, 0, v33, s0
	v_cmp_lt_i32_e64 s0, v67, v58
	v_cndmask_b32_e64 v23, 0, v32, s0
	v_cmp_lt_i32_e64 s0, v66, v13
	s_delay_alu instid0(VALU_DEP_4) | instskip(NEXT) | instid1(VALU_DEP_3)
	v_or_b32_e32 v37, v1, v22
	v_or_b32_e32 v36, v18, v23
	s_delay_alu instid0(VALU_DEP_3) | instskip(SKIP_1) | instid1(VALU_DEP_1)
	v_cndmask_b32_e64 v31, 0, v31, s0
	v_cmp_lt_i32_e64 s0, v65, v58
	v_cndmask_b32_e64 v30, 0, v30, s0
	v_cmp_lt_i32_e64 s0, v64, v13
	s_delay_alu instid0(VALU_DEP_1) | instskip(SKIP_1) | instid1(VALU_DEP_1)
	v_cndmask_b32_e64 v19, 0, v19, s0
	v_cmp_lt_i32_e64 s0, v0, v58
	v_dual_cndmask_b32 v6, 0, v6, s0 :: v_dual_bitop2_b32 v35, v31, v19 bitop3:0x54
	s_delay_alu instid0(VALU_DEP_1)
	v_or_b32_e32 v34, v30, v6
.LBB296_1790:                           ;   in Loop: Header=BB296_998 Depth=1
	s_or_b32 exec_lo, exec_lo, s15
	;;#ASMSTART
	v_pk_mul_f16 v1, v81, v37;

	;;#ASMEND
	;;#ASMSTART
	v_pk_mul_f16 v6, v80, v36;

	;;#ASMEND
	;; [unrolled: 4-line block ×4, first 2 shown]
	;;#ASMSTART
	v_pk_add_f16 v1, v1, v6;

	;;#ASMEND
	;;#ASMSTART
	v_pk_add_f16 v1, v1, v18;

	;;#ASMEND
	;; [unrolled: 4-line block ×3, first 2 shown]
	v_and_b32_e32 v6, 0xffff, v1
	v_lshrrev_b32_e32 v1, 16, v1
	;;#ASMSTART
	v_cvt_f32_f16 v40, v6;
	;;#ASMEND
	;;#ASMSTART
	v_cvt_f32_f16 v41, v1;
	;;#ASMEND
	flat_load_b64 v[32:33], v[14:15] offset:3072
	scratch_load_b64 v[18:19], off, s32 offset:192 ; 8-byte Folded Reload
	v_mov_b32_e32 v1, 0
	s_mov_b32 s15, exec_lo
	s_wait_loadcnt_dscnt 0x100
	v_and_b32_e32 v6, 0xff, v32
	s_wait_loadcnt 0x0
	flat_load_b32 v30, v[18:19]
	s_wait_xcnt 0x0
	v_mov_b32_e32 v18, 0
	v_cmpx_ne_u16_e32 0, v6
	s_cbranch_execz .LBB296_1798
; %bb.1791:                             ;   in Loop: Header=BB296_998 Depth=1
	v_mov_b32_e32 v18, 0x8000
	s_mov_b32 s16, exec_lo
	v_cmpx_ne_u16_e32 0x80, v6
	s_cbranch_execz .LBB296_1797
; %bb.1792:                             ;   in Loop: Header=BB296_998 Depth=1
	v_and_b32_e32 v19, 0x7f, v32
	v_mov_b32_e32 v18, 0x7c01
	s_mov_b32 s17, exec_lo
	s_delay_alu instid0(VALU_DEP_2)
	v_cmpx_ne_u32_e32 0x7f, v19
	s_cbranch_execz .LBB296_1796
; %bb.1793:                             ;   in Loop: Header=BB296_998 Depth=1
	v_dual_lshrrev_b32 v18, 3, v19 :: v_dual_bitop2_b32 v6, 7, v32 bitop3:0x40
	s_mov_b32 s18, exec_lo
	v_cmpx_gt_u32_e32 8, v19
; %bb.1794:                             ;   in Loop: Header=BB296_998 Depth=1
	s_delay_alu instid0(VALU_DEP_2) | instskip(NEXT) | instid1(VALU_DEP_1)
	v_clz_i32_u32_e32 v6, v6
	v_min_u32_e32 v6, 32, v6
	s_delay_alu instid0(VALU_DEP_1) | instskip(NEXT) | instid1(VALU_DEP_1)
	v_subrev_nc_u32_e32 v18, 28, v6
	v_lshlrev_b64_e32 v[22:23], v18, v[32:33]
	v_sub_nc_u32_e32 v18, 29, v6
	s_delay_alu instid0(VALU_DEP_2)
	v_and_b32_e32 v6, 7, v22
; %bb.1795:                             ;   in Loop: Header=BB296_998 Depth=1
	s_or_b32 exec_lo, exec_lo, s18
	s_delay_alu instid0(VALU_DEP_1) | instskip(NEXT) | instid1(VALU_DEP_3)
	v_dual_lshlrev_b32 v19, 8, v32 :: v_dual_lshlrev_b32 v6, 7, v6
	v_lshl_add_u32 v18, v18, 10, 0x2000
	s_delay_alu instid0(VALU_DEP_2) | instskip(NEXT) | instid1(VALU_DEP_2)
	v_and_b32_e32 v19, 0x8000, v19
	v_and_b32_e32 v18, 0xfc00, v18
	s_delay_alu instid0(VALU_DEP_1)
	v_or3_b32 v18, v19, v18, v6
.LBB296_1796:                           ;   in Loop: Header=BB296_998 Depth=1
	s_or_b32 exec_lo, exec_lo, s17
.LBB296_1797:                           ;   in Loop: Header=BB296_998 Depth=1
	s_delay_alu instid0(SALU_CYCLE_1)
	s_or_b32 exec_lo, exec_lo, s16
.LBB296_1798:                           ;   in Loop: Header=BB296_998 Depth=1
	s_delay_alu instid0(SALU_CYCLE_1) | instskip(SKIP_2) | instid1(VALU_DEP_1)
	s_or_b32 exec_lo, exec_lo, s15
	v_lshrrev_b16 v6, 8, v32
	s_mov_b32 s15, exec_lo
	v_cmpx_ne_u16_e32 0, v6
	s_cbranch_execz .LBB296_1806
; %bb.1799:                             ;   in Loop: Header=BB296_998 Depth=1
	v_bfrev_b32_e32 v1, 1
	s_mov_b32 s16, exec_lo
	v_cmpx_ne_u16_e32 0x80, v6
	s_cbranch_execz .LBB296_1805
; %bb.1800:                             ;   in Loop: Header=BB296_998 Depth=1
	v_and_b32_e32 v19, 0xffff, v6
	v_mov_b32_e32 v1, 0x7c010000
	s_mov_b32 s17, exec_lo
	s_delay_alu instid0(VALU_DEP_2) | instskip(NEXT) | instid1(VALU_DEP_1)
	v_and_b32_e32 v23, 0x7f, v19
	v_cmpx_ne_u32_e32 0x7f, v23
	s_cbranch_execz .LBB296_1804
; %bb.1801:                             ;   in Loop: Header=BB296_998 Depth=1
	v_and_b32_e32 v1, 7, v19
	v_lshrrev_b32_e32 v22, 3, v23
	s_mov_b32 s18, exec_lo
	v_cmpx_gt_u32_e32 8, v23
; %bb.1802:                             ;   in Loop: Header=BB296_998 Depth=1
	s_delay_alu instid0(VALU_DEP_3) | instskip(NEXT) | instid1(VALU_DEP_1)
	v_clz_i32_u32_e32 v1, v1
	v_min_u32_e32 v1, 32, v1
	s_delay_alu instid0(VALU_DEP_1) | instskip(NEXT) | instid1(VALU_DEP_1)
	v_subrev_nc_u32_e32 v22, 28, v1
	v_lshlrev_b64_e32 v[34:35], v22, v[6:7]
	s_delay_alu instid0(VALU_DEP_1)
	v_dual_sub_nc_u32 v22, 29, v1 :: v_dual_bitop2_b32 v1, 7, v34 bitop3:0x40
; %bb.1803:                             ;   in Loop: Header=BB296_998 Depth=1
	s_or_b32 exec_lo, exec_lo, s18
	s_delay_alu instid0(VALU_DEP_1) | instskip(NEXT) | instid1(VALU_DEP_2)
	v_dual_lshlrev_b32 v6, 8, v19 :: v_dual_lshlrev_b32 v1, 23, v1
	v_lshl_add_u32 v19, v22, 10, 0x2000
	s_delay_alu instid0(VALU_DEP_1) | instskip(NEXT) | instid1(VALU_DEP_1)
	v_and_or_b32 v6, 0x8000, v6, v19
	v_lshl_or_b32 v1, v6, 16, v1
.LBB296_1804:                           ;   in Loop: Header=BB296_998 Depth=1
	s_or_b32 exec_lo, exec_lo, s17
.LBB296_1805:                           ;   in Loop: Header=BB296_998 Depth=1
	s_delay_alu instid0(SALU_CYCLE_1)
	s_or_b32 exec_lo, exec_lo, s16
.LBB296_1806:                           ;   in Loop: Header=BB296_998 Depth=1
	s_delay_alu instid0(SALU_CYCLE_1) | instskip(SKIP_3) | instid1(VALU_DEP_2)
	s_or_b32 exec_lo, exec_lo, s15
	v_dual_mov_b32 v19, 0 :: v_dual_lshrrev_b32 v6, 16, v32
	v_mov_b32_e32 v22, 0
	s_mov_b32 s15, exec_lo
	v_and_b32_e32 v23, 0xff, v6
	s_delay_alu instid0(VALU_DEP_1)
	v_cmpx_ne_u16_e32 0, v23
	s_cbranch_execz .LBB296_1814
; %bb.1807:                             ;   in Loop: Header=BB296_998 Depth=1
	v_mov_b32_e32 v22, 0x8000
	s_mov_b32 s16, exec_lo
	v_cmpx_ne_u16_e32 0x80, v23
	s_cbranch_execz .LBB296_1813
; %bb.1808:                             ;   in Loop: Header=BB296_998 Depth=1
	v_bfe_u32 v31, v32, 16, 7
	v_mov_b32_e32 v22, 0x7c01
	s_mov_b32 s17, exec_lo
	s_delay_alu instid0(VALU_DEP_2)
	v_cmpx_ne_u32_e32 0x7f, v31
	s_cbranch_execz .LBB296_1812
; %bb.1809:                             ;   in Loop: Header=BB296_998 Depth=1
	v_dual_lshrrev_b32 v23, 3, v31 :: v_dual_bitop2_b32 v22, 7, v6 bitop3:0x40
	s_mov_b32 s18, exec_lo
	v_cmpx_gt_u32_e32 8, v31
; %bb.1810:                             ;   in Loop: Header=BB296_998 Depth=1
	s_delay_alu instid0(VALU_DEP_2) | instskip(NEXT) | instid1(VALU_DEP_1)
	v_clz_i32_u32_e32 v22, v22
	v_min_u32_e32 v31, 32, v22
	s_delay_alu instid0(VALU_DEP_1) | instskip(NEXT) | instid1(VALU_DEP_1)
	v_subrev_nc_u32_e32 v22, 28, v31
	v_lshlrev_b64_e32 v[22:23], v22, v[6:7]
	s_delay_alu instid0(VALU_DEP_1)
	v_dual_sub_nc_u32 v23, 29, v31 :: v_dual_bitop2_b32 v22, 7, v22 bitop3:0x40
; %bb.1811:                             ;   in Loop: Header=BB296_998 Depth=1
	s_or_b32 exec_lo, exec_lo, s18
	v_lshlrev_b32_e32 v6, 8, v6
	s_delay_alu instid0(VALU_DEP_2) | instskip(NEXT) | instid1(VALU_DEP_3)
	v_lshl_add_u32 v23, v23, 10, 0x2000
	v_lshlrev_b32_e32 v22, 7, v22
	s_delay_alu instid0(VALU_DEP_3) | instskip(NEXT) | instid1(VALU_DEP_3)
	v_and_b32_e32 v6, 0x8000, v6
	v_and_b32_e32 v23, 0xfc00, v23
	s_delay_alu instid0(VALU_DEP_1)
	v_or3_b32 v22, v6, v23, v22
.LBB296_1812:                           ;   in Loop: Header=BB296_998 Depth=1
	s_or_b32 exec_lo, exec_lo, s17
.LBB296_1813:                           ;   in Loop: Header=BB296_998 Depth=1
	s_delay_alu instid0(SALU_CYCLE_1)
	s_or_b32 exec_lo, exec_lo, s16
.LBB296_1814:                           ;   in Loop: Header=BB296_998 Depth=1
	s_delay_alu instid0(SALU_CYCLE_1) | instskip(NEXT) | instid1(SALU_CYCLE_1)
	s_or_b32 exec_lo, exec_lo, s15
	s_mov_b32 s15, exec_lo
	v_cmpx_lt_u32_e32 0xffffff, v32
	s_cbranch_execz .LBB296_1822
; %bb.1815:                             ;   in Loop: Header=BB296_998 Depth=1
	v_lshrrev_b32_e32 v6, 24, v32
	v_bfrev_b32_e32 v19, 1
	s_mov_b32 s16, exec_lo
	s_delay_alu instid0(VALU_DEP_2)
	v_cmpx_ne_u32_e32 0x80, v6
	s_cbranch_execz .LBB296_1821
; %bb.1816:                             ;   in Loop: Header=BB296_998 Depth=1
	v_and_b32_e32 v31, 0x7f, v6
	v_mov_b32_e32 v19, 0x7c010000
	s_mov_b32 s17, exec_lo
	s_delay_alu instid0(VALU_DEP_2)
	v_cmpx_ne_u32_e32 0x7f, v31
	s_cbranch_execz .LBB296_1820
; %bb.1817:                             ;   in Loop: Header=BB296_998 Depth=1
	v_dual_lshrrev_b32 v23, 3, v31 :: v_dual_bitop2_b32 v19, 7, v6 bitop3:0x40
	s_mov_b32 s18, exec_lo
	v_cmpx_gt_u32_e32 8, v31
; %bb.1818:                             ;   in Loop: Header=BB296_998 Depth=1
	s_delay_alu instid0(VALU_DEP_2) | instskip(NEXT) | instid1(VALU_DEP_1)
	v_clz_i32_u32_e32 v19, v19
	v_min_u32_e32 v19, 32, v19
	s_delay_alu instid0(VALU_DEP_1) | instskip(NEXT) | instid1(VALU_DEP_1)
	v_subrev_nc_u32_e32 v23, 28, v19
	v_lshlrev_b64_e32 v[34:35], v23, v[6:7]
	s_delay_alu instid0(VALU_DEP_1)
	v_dual_sub_nc_u32 v23, 29, v19 :: v_dual_bitop2_b32 v19, 7, v34 bitop3:0x40
; %bb.1819:                             ;   in Loop: Header=BB296_998 Depth=1
	s_or_b32 exec_lo, exec_lo, s18
	s_delay_alu instid0(VALU_DEP_1) | instskip(NEXT) | instid1(VALU_DEP_2)
	v_dual_lshlrev_b32 v6, 8, v6 :: v_dual_lshlrev_b32 v19, 23, v19
	v_lshl_add_u32 v23, v23, 10, 0x2000
	s_delay_alu instid0(VALU_DEP_1) | instskip(NEXT) | instid1(VALU_DEP_1)
	v_and_or_b32 v6, 0x8000, v6, v23
	v_lshl_or_b32 v19, v6, 16, v19
.LBB296_1820:                           ;   in Loop: Header=BB296_998 Depth=1
	s_or_b32 exec_lo, exec_lo, s17
.LBB296_1821:                           ;   in Loop: Header=BB296_998 Depth=1
	s_delay_alu instid0(SALU_CYCLE_1)
	s_or_b32 exec_lo, exec_lo, s16
.LBB296_1822:                           ;   in Loop: Header=BB296_998 Depth=1
	s_delay_alu instid0(SALU_CYCLE_1) | instskip(SKIP_4) | instid1(VALU_DEP_3)
	s_or_b32 exec_lo, exec_lo, s15
	v_and_b32_e32 v34, 0xff, v33
	v_dual_mov_b32 v6, v33 :: v_dual_mov_b32 v31, 0
	v_mov_b32_e32 v23, 0
	s_mov_b32 s15, exec_lo
	v_cmpx_ne_u16_e32 0, v34
	s_cbranch_execz .LBB296_1830
; %bb.1823:                             ;   in Loop: Header=BB296_998 Depth=1
	v_mov_b32_e32 v23, 0x8000
	s_mov_b32 s16, exec_lo
	v_cmpx_ne_u16_e32 0x80, v34
	s_cbranch_execz .LBB296_1829
; %bb.1824:                             ;   in Loop: Header=BB296_998 Depth=1
	v_and_b32_e32 v35, 0x7f, v33
	v_mov_b32_e32 v23, 0x7c01
	s_mov_b32 s17, exec_lo
	s_delay_alu instid0(VALU_DEP_2)
	v_cmpx_ne_u32_e32 0x7f, v35
	s_cbranch_execz .LBB296_1828
; %bb.1825:                             ;   in Loop: Header=BB296_998 Depth=1
	v_dual_lshrrev_b32 v34, 3, v35 :: v_dual_bitop2_b32 v23, 7, v33 bitop3:0x40
	s_mov_b32 s18, exec_lo
	v_cmpx_gt_u32_e32 8, v35
; %bb.1826:                             ;   in Loop: Header=BB296_998 Depth=1
	s_delay_alu instid0(VALU_DEP_2) | instskip(NEXT) | instid1(VALU_DEP_1)
	v_clz_i32_u32_e32 v23, v23
	v_min_u32_e32 v23, 32, v23
	s_delay_alu instid0(VALU_DEP_1) | instskip(NEXT) | instid1(VALU_DEP_1)
	v_subrev_nc_u32_e32 v34, 28, v23
	v_lshlrev_b64_e32 v[36:37], v34, v[6:7]
	s_delay_alu instid0(VALU_DEP_1)
	v_dual_sub_nc_u32 v34, 29, v23 :: v_dual_bitop2_b32 v23, 7, v36 bitop3:0x40
; %bb.1827:                             ;   in Loop: Header=BB296_998 Depth=1
	s_or_b32 exec_lo, exec_lo, s18
	s_delay_alu instid0(VALU_DEP_1) | instskip(NEXT) | instid1(VALU_DEP_2)
	v_dual_lshlrev_b32 v35, 8, v33 :: v_dual_lshlrev_b32 v23, 7, v23
	v_lshl_add_u32 v34, v34, 10, 0x2000
	s_delay_alu instid0(VALU_DEP_2) | instskip(NEXT) | instid1(VALU_DEP_2)
	v_and_b32_e32 v35, 0x8000, v35
	v_and_b32_e32 v34, 0xfc00, v34
	s_delay_alu instid0(VALU_DEP_1)
	v_or3_b32 v23, v35, v34, v23
.LBB296_1828:                           ;   in Loop: Header=BB296_998 Depth=1
	s_or_b32 exec_lo, exec_lo, s17
.LBB296_1829:                           ;   in Loop: Header=BB296_998 Depth=1
	s_delay_alu instid0(SALU_CYCLE_1)
	s_or_b32 exec_lo, exec_lo, s16
.LBB296_1830:                           ;   in Loop: Header=BB296_998 Depth=1
	s_delay_alu instid0(SALU_CYCLE_1) | instskip(SKIP_3) | instid1(VALU_DEP_2)
	s_or_b32 exec_lo, exec_lo, s15
	v_lshrrev_b16 v6, 8, v6
	v_mov_b32_e32 v34, 0
	s_mov_b32 s15, exec_lo
	v_cmpx_ne_u16_e32 0, v6
	s_cbranch_execz .LBB296_1838
; %bb.1831:                             ;   in Loop: Header=BB296_998 Depth=1
	v_bfrev_b32_e32 v34, 1
	s_mov_b32 s16, exec_lo
	v_cmpx_ne_u16_e32 0x80, v6
	s_cbranch_execz .LBB296_1837
; %bb.1832:                             ;   in Loop: Header=BB296_998 Depth=1
	v_and_b32_e32 v35, 0xffff, v6
	v_mov_b32_e32 v34, 0x7c010000
	s_mov_b32 s17, exec_lo
	s_delay_alu instid0(VALU_DEP_2) | instskip(NEXT) | instid1(VALU_DEP_1)
	v_and_b32_e32 v37, 0x7f, v35
	v_cmpx_ne_u32_e32 0x7f, v37
	s_cbranch_execz .LBB296_1836
; %bb.1833:                             ;   in Loop: Header=BB296_998 Depth=1
	v_dual_lshrrev_b32 v36, 3, v37 :: v_dual_bitop2_b32 v34, 7, v35 bitop3:0x40
	s_mov_b32 s18, exec_lo
	v_cmpx_gt_u32_e32 8, v37
; %bb.1834:                             ;   in Loop: Header=BB296_998 Depth=1
	s_delay_alu instid0(VALU_DEP_2) | instskip(NEXT) | instid1(VALU_DEP_1)
	v_clz_i32_u32_e32 v34, v34
	v_min_u32_e32 v34, 32, v34
	s_delay_alu instid0(VALU_DEP_1) | instskip(NEXT) | instid1(VALU_DEP_1)
	v_subrev_nc_u32_e32 v36, 28, v34
	v_lshlrev_b64_e32 v[38:39], v36, v[6:7]
	v_sub_nc_u32_e32 v36, 29, v34
	s_delay_alu instid0(VALU_DEP_2)
	v_and_b32_e32 v34, 7, v38
; %bb.1835:                             ;   in Loop: Header=BB296_998 Depth=1
	s_or_b32 exec_lo, exec_lo, s18
	s_delay_alu instid0(VALU_DEP_1) | instskip(NEXT) | instid1(VALU_DEP_3)
	v_dual_lshlrev_b32 v6, 8, v35 :: v_dual_lshlrev_b32 v34, 23, v34
	v_lshl_add_u32 v35, v36, 10, 0x2000
	s_delay_alu instid0(VALU_DEP_1) | instskip(NEXT) | instid1(VALU_DEP_1)
	v_and_or_b32 v6, 0x8000, v6, v35
	v_lshl_or_b32 v34, v6, 16, v34
.LBB296_1836:                           ;   in Loop: Header=BB296_998 Depth=1
	s_or_b32 exec_lo, exec_lo, s17
.LBB296_1837:                           ;   in Loop: Header=BB296_998 Depth=1
	s_delay_alu instid0(SALU_CYCLE_1)
	s_or_b32 exec_lo, exec_lo, s16
.LBB296_1838:                           ;   in Loop: Header=BB296_998 Depth=1
	s_delay_alu instid0(SALU_CYCLE_1) | instskip(SKIP_2) | instid1(VALU_DEP_1)
	s_or_b32 exec_lo, exec_lo, s15
	v_lshrrev_b32_e32 v6, 16, v33
	s_mov_b32 s15, exec_lo
	v_and_b32_e32 v35, 0xff, v6
	s_delay_alu instid0(VALU_DEP_1)
	v_cmpx_ne_u16_e32 0, v35
	s_cbranch_execz .LBB296_1846
; %bb.1839:                             ;   in Loop: Header=BB296_998 Depth=1
	v_mov_b32_e32 v31, 0x8000
	s_mov_b32 s16, exec_lo
	v_cmpx_ne_u16_e32 0x80, v35
	s_cbranch_execz .LBB296_1845
; %bb.1840:                             ;   in Loop: Header=BB296_998 Depth=1
	v_bfe_u32 v36, v33, 16, 7
	v_mov_b32_e32 v31, 0x7c01
	s_mov_b32 s17, exec_lo
	s_delay_alu instid0(VALU_DEP_2)
	v_cmpx_ne_u32_e32 0x7f, v36
	s_cbranch_execz .LBB296_1844
; %bb.1841:                             ;   in Loop: Header=BB296_998 Depth=1
	v_dual_lshrrev_b32 v35, 3, v36 :: v_dual_bitop2_b32 v31, 7, v6 bitop3:0x40
	s_mov_b32 s18, exec_lo
	v_cmpx_gt_u32_e32 8, v36
; %bb.1842:                             ;   in Loop: Header=BB296_998 Depth=1
	s_delay_alu instid0(VALU_DEP_2) | instskip(NEXT) | instid1(VALU_DEP_1)
	v_clz_i32_u32_e32 v31, v31
	v_min_u32_e32 v31, 32, v31
	s_delay_alu instid0(VALU_DEP_1) | instskip(NEXT) | instid1(VALU_DEP_1)
	v_subrev_nc_u32_e32 v35, 28, v31
	v_lshlrev_b64_e32 v[36:37], v35, v[6:7]
	s_delay_alu instid0(VALU_DEP_1)
	v_dual_sub_nc_u32 v35, 29, v31 :: v_dual_bitop2_b32 v31, 7, v36 bitop3:0x40
; %bb.1843:                             ;   in Loop: Header=BB296_998 Depth=1
	s_or_b32 exec_lo, exec_lo, s18
	s_delay_alu instid0(VALU_DEP_1) | instskip(NEXT) | instid1(VALU_DEP_2)
	v_dual_lshlrev_b32 v6, 8, v6 :: v_dual_lshlrev_b32 v31, 7, v31
	v_lshl_add_u32 v35, v35, 10, 0x2000
	s_delay_alu instid0(VALU_DEP_2) | instskip(NEXT) | instid1(VALU_DEP_2)
	v_and_b32_e32 v6, 0x8000, v6
	v_and_b32_e32 v35, 0xfc00, v35
	s_delay_alu instid0(VALU_DEP_1)
	v_or3_b32 v31, v6, v35, v31
.LBB296_1844:                           ;   in Loop: Header=BB296_998 Depth=1
	s_or_b32 exec_lo, exec_lo, s17
.LBB296_1845:                           ;   in Loop: Header=BB296_998 Depth=1
	s_delay_alu instid0(SALU_CYCLE_1)
	s_or_b32 exec_lo, exec_lo, s16
.LBB296_1846:                           ;   in Loop: Header=BB296_998 Depth=1
	s_delay_alu instid0(SALU_CYCLE_1)
	s_or_b32 exec_lo, exec_lo, s15
	v_cmp_lt_u64_e64 s0, s[2:3], v[32:33]
	v_mov_b32_e32 v32, 0
	s_and_saveexec_b32 s15, s0
	s_cbranch_execz .LBB296_1854
; %bb.1847:                             ;   in Loop: Header=BB296_998 Depth=1
	v_lshrrev_b32_e32 v6, 24, v33
	v_bfrev_b32_e32 v32, 1
	s_mov_b32 s16, exec_lo
	s_delay_alu instid0(VALU_DEP_2)
	v_cmpx_ne_u32_e32 0x80, v6
	s_cbranch_execz .LBB296_1853
; %bb.1848:                             ;   in Loop: Header=BB296_998 Depth=1
	v_and_b32_e32 v35, 0x7f, v6
	v_mov_b32_e32 v32, 0x7c010000
	s_mov_b32 s17, exec_lo
	s_delay_alu instid0(VALU_DEP_2)
	v_cmpx_ne_u32_e32 0x7f, v35
	s_cbranch_execz .LBB296_1852
; %bb.1849:                             ;   in Loop: Header=BB296_998 Depth=1
	v_dual_lshrrev_b32 v33, 3, v35 :: v_dual_bitop2_b32 v32, 7, v6 bitop3:0x40
	s_mov_b32 s18, exec_lo
	v_cmpx_gt_u32_e32 8, v35
; %bb.1850:                             ;   in Loop: Header=BB296_998 Depth=1
	s_delay_alu instid0(VALU_DEP_2) | instskip(NEXT) | instid1(VALU_DEP_1)
	v_clz_i32_u32_e32 v32, v32
	v_min_u32_e32 v35, 32, v32
	s_delay_alu instid0(VALU_DEP_1) | instskip(NEXT) | instid1(VALU_DEP_1)
	v_subrev_nc_u32_e32 v32, 28, v35
	v_lshlrev_b64_e32 v[32:33], v32, v[6:7]
	s_delay_alu instid0(VALU_DEP_1)
	v_dual_sub_nc_u32 v33, 29, v35 :: v_dual_bitop2_b32 v32, 7, v32 bitop3:0x40
; %bb.1851:                             ;   in Loop: Header=BB296_998 Depth=1
	s_or_b32 exec_lo, exec_lo, s18
	s_delay_alu instid0(VALU_DEP_1) | instskip(NEXT) | instid1(VALU_DEP_2)
	v_dual_lshlrev_b32 v6, 8, v6 :: v_dual_lshlrev_b32 v32, 23, v32
	v_lshl_add_u32 v33, v33, 10, 0x2000
	s_delay_alu instid0(VALU_DEP_1) | instskip(NEXT) | instid1(VALU_DEP_1)
	v_and_or_b32 v6, 0x8000, v6, v33
	v_lshl_or_b32 v32, v6, 16, v32
.LBB296_1852:                           ;   in Loop: Header=BB296_998 Depth=1
	s_or_b32 exec_lo, exec_lo, s17
.LBB296_1853:                           ;   in Loop: Header=BB296_998 Depth=1
	s_delay_alu instid0(SALU_CYCLE_1)
	s_or_b32 exec_lo, exec_lo, s16
.LBB296_1854:                           ;   in Loop: Header=BB296_998 Depth=1
	s_delay_alu instid0(SALU_CYCLE_1) | instskip(SKIP_4) | instid1(VALU_DEP_4)
	s_or_b32 exec_lo, exec_lo, s15
	v_dual_lshrrev_b32 v6, 16, v1 :: v_dual_lshrrev_b32 v33, 16, v19
	v_or_b32_e32 v1, v1, v18
	v_or_b32_e32 v22, v19, v22
	v_or_b32_e32 v35, v34, v23
	v_cvt_f32_f16_e32 v19, v6
	v_cvt_f32_f16_e32 v18, v33
	v_dual_lshrrev_b32 v31, 16, v34 :: v_dual_bitop2_b32 v6, v32, v31 bitop3:0x54
	v_lshrrev_b32_e32 v32, 16, v32
	v_cvt_f32_f16_e32 v23, v1
	s_delay_alu instid0(VALU_DEP_3) | instskip(SKIP_4) | instid1(VALU_DEP_3)
	v_cvt_f32_f16_e32 v34, v6
	s_wait_loadcnt_dscnt 0x0
	v_pk_mul_f32 v[18:19], v[30:31], v[18:19] op_sel_hi:[0,1]
	v_cvt_f32_f16_e32 v33, v31
	v_cvt_f32_f16_e32 v32, v32
	v_cvt_pk_f16_f32 v1, v18, v19
	s_delay_alu instid0(VALU_DEP_2) | instskip(NEXT) | instid1(VALU_DEP_2)
	v_pk_mul_f32 v[18:19], v[30:31], v[32:33] op_sel_hi:[0,1]
	v_lshlrev_b32_e32 v32, 16, v1
	v_cvt_f32_f16_e32 v22, v22
	v_and_b32_e32 v33, 0xffff0000, v1
	s_delay_alu instid0(VALU_DEP_4) | instskip(NEXT) | instid1(VALU_DEP_3)
	v_cvt_pk_f16_f32 v18, v18, v19
	v_pk_mul_f32 v[22:23], v[30:31], v[22:23] op_sel_hi:[0,1]
	s_delay_alu instid0(VALU_DEP_2) | instskip(NEXT) | instid1(VALU_DEP_2)
	v_and_b32_e32 v19, 0xffff0000, v18
	v_cvt_pk_f16_f32 v6, v22, v23
	s_delay_alu instid0(VALU_DEP_1) | instskip(SKIP_2) | instid1(VALU_DEP_3)
	v_lshrrev_b32_e32 v39, 16, v6
	v_cvt_f32_f16_e32 v35, v35
	v_and_b32_e32 v38, 0xffff, v6
	v_or_b32_e32 v37, v33, v39
	s_delay_alu instid0(VALU_DEP_3) | instskip(NEXT) | instid1(VALU_DEP_3)
	v_pk_mul_f32 v[30:31], v[30:31], v[34:35] op_sel_hi:[0,1]
	v_or_b32_e32 v36, v32, v38
	s_delay_alu instid0(VALU_DEP_2) | instskip(NEXT) | instid1(VALU_DEP_1)
	v_cvt_pk_f16_f32 v1, v30, v31
	v_dual_lshlrev_b32 v6, 16, v18 :: v_dual_lshrrev_b32 v31, 16, v1
	v_and_b32_e32 v30, 0xffff, v1
	s_delay_alu instid0(VALU_DEP_2) | instskip(NEXT) | instid1(VALU_DEP_2)
	v_or_b32_e32 v35, v19, v31
	v_or_b32_e32 v34, v6, v30
	s_and_saveexec_b32 s15, vcc_lo
	s_cbranch_execz .LBB296_1856
; %bb.1855:                             ;   in Loop: Header=BB296_998 Depth=1
	v_cmp_lt_i32_e64 s0, v53, v13
	s_delay_alu instid0(VALU_DEP_1) | instskip(SKIP_1) | instid1(VALU_DEP_1)
	v_cndmask_b32_e64 v1, 0, v39, s0
	v_cmp_lt_i32_e64 s0, v69, v58
	v_cndmask_b32_e64 v18, 0, v38, s0
	v_cmp_lt_i32_e64 s0, v68, v13
	s_delay_alu instid0(VALU_DEP_1) | instskip(SKIP_1) | instid1(VALU_DEP_1)
	v_cndmask_b32_e64 v22, 0, v33, s0
	v_cmp_lt_i32_e64 s0, v67, v58
	v_cndmask_b32_e64 v23, 0, v32, s0
	v_cmp_lt_i32_e64 s0, v66, v13
	s_delay_alu instid0(VALU_DEP_4) | instskip(NEXT) | instid1(VALU_DEP_3)
	v_or_b32_e32 v37, v1, v22
	v_or_b32_e32 v36, v18, v23
	s_delay_alu instid0(VALU_DEP_3) | instskip(SKIP_1) | instid1(VALU_DEP_1)
	v_cndmask_b32_e64 v31, 0, v31, s0
	v_cmp_lt_i32_e64 s0, v65, v58
	v_cndmask_b32_e64 v30, 0, v30, s0
	v_cmp_lt_i32_e64 s0, v64, v13
	s_delay_alu instid0(VALU_DEP_1) | instskip(SKIP_1) | instid1(VALU_DEP_1)
	v_cndmask_b32_e64 v19, 0, v19, s0
	v_cmp_lt_i32_e64 s0, v0, v58
	v_dual_cndmask_b32 v6, 0, v6, s0 :: v_dual_bitop2_b32 v35, v31, v19 bitop3:0x54
	s_delay_alu instid0(VALU_DEP_1)
	v_or_b32_e32 v34, v30, v6
.LBB296_1856:                           ;   in Loop: Header=BB296_998 Depth=1
	s_or_b32 exec_lo, exec_lo, s15
	;;#ASMSTART
	v_pk_mul_f16 v1, v81, v37;

	;;#ASMEND
	;;#ASMSTART
	v_pk_mul_f16 v6, v80, v36;

	;;#ASMEND
	;; [unrolled: 4-line block ×4, first 2 shown]
	;;#ASMSTART
	v_pk_add_f16 v1, v1, v6;

	;;#ASMEND
	;;#ASMSTART
	v_pk_add_f16 v1, v1, v18;

	;;#ASMEND
	;; [unrolled: 4-line block ×3, first 2 shown]
	v_and_b32_e32 v6, 0xffff, v1
	v_lshrrev_b32_e32 v1, 16, v1
	;;#ASMSTART
	v_cvt_f32_f16 v42, v6;
	;;#ASMEND
	;;#ASMSTART
	v_cvt_f32_f16 v43, v1;
	;;#ASMEND
	flat_load_b64 v[32:33], v[14:15] offset:3328
	scratch_load_b64 v[18:19], off, s32 offset:192 ; 8-byte Folded Reload
	v_mov_b32_e32 v1, 0
	s_mov_b32 s15, exec_lo
	s_wait_loadcnt_dscnt 0x100
	v_and_b32_e32 v6, 0xff, v32
	s_wait_loadcnt 0x0
	flat_load_b32 v30, v[18:19]
	s_wait_xcnt 0x0
	v_mov_b32_e32 v18, 0
	v_cmpx_ne_u16_e32 0, v6
	s_cbranch_execz .LBB296_1864
; %bb.1857:                             ;   in Loop: Header=BB296_998 Depth=1
	v_mov_b32_e32 v18, 0x8000
	s_mov_b32 s16, exec_lo
	v_cmpx_ne_u16_e32 0x80, v6
	s_cbranch_execz .LBB296_1863
; %bb.1858:                             ;   in Loop: Header=BB296_998 Depth=1
	v_and_b32_e32 v19, 0x7f, v32
	v_mov_b32_e32 v18, 0x7c01
	s_mov_b32 s17, exec_lo
	s_delay_alu instid0(VALU_DEP_2)
	v_cmpx_ne_u32_e32 0x7f, v19
	s_cbranch_execz .LBB296_1862
; %bb.1859:                             ;   in Loop: Header=BB296_998 Depth=1
	v_dual_lshrrev_b32 v18, 3, v19 :: v_dual_bitop2_b32 v6, 7, v32 bitop3:0x40
	s_mov_b32 s18, exec_lo
	v_cmpx_gt_u32_e32 8, v19
; %bb.1860:                             ;   in Loop: Header=BB296_998 Depth=1
	s_delay_alu instid0(VALU_DEP_2) | instskip(NEXT) | instid1(VALU_DEP_1)
	v_clz_i32_u32_e32 v6, v6
	v_min_u32_e32 v6, 32, v6
	s_delay_alu instid0(VALU_DEP_1) | instskip(NEXT) | instid1(VALU_DEP_1)
	v_subrev_nc_u32_e32 v18, 28, v6
	v_lshlrev_b64_e32 v[22:23], v18, v[32:33]
	v_sub_nc_u32_e32 v18, 29, v6
	s_delay_alu instid0(VALU_DEP_2)
	v_and_b32_e32 v6, 7, v22
; %bb.1861:                             ;   in Loop: Header=BB296_998 Depth=1
	s_or_b32 exec_lo, exec_lo, s18
	s_delay_alu instid0(VALU_DEP_1) | instskip(NEXT) | instid1(VALU_DEP_3)
	v_dual_lshlrev_b32 v19, 8, v32 :: v_dual_lshlrev_b32 v6, 7, v6
	v_lshl_add_u32 v18, v18, 10, 0x2000
	s_delay_alu instid0(VALU_DEP_2) | instskip(NEXT) | instid1(VALU_DEP_2)
	v_and_b32_e32 v19, 0x8000, v19
	v_and_b32_e32 v18, 0xfc00, v18
	s_delay_alu instid0(VALU_DEP_1)
	v_or3_b32 v18, v19, v18, v6
.LBB296_1862:                           ;   in Loop: Header=BB296_998 Depth=1
	s_or_b32 exec_lo, exec_lo, s17
.LBB296_1863:                           ;   in Loop: Header=BB296_998 Depth=1
	s_delay_alu instid0(SALU_CYCLE_1)
	s_or_b32 exec_lo, exec_lo, s16
.LBB296_1864:                           ;   in Loop: Header=BB296_998 Depth=1
	s_delay_alu instid0(SALU_CYCLE_1) | instskip(SKIP_2) | instid1(VALU_DEP_1)
	s_or_b32 exec_lo, exec_lo, s15
	v_lshrrev_b16 v6, 8, v32
	s_mov_b32 s15, exec_lo
	v_cmpx_ne_u16_e32 0, v6
	s_cbranch_execz .LBB296_1872
; %bb.1865:                             ;   in Loop: Header=BB296_998 Depth=1
	v_bfrev_b32_e32 v1, 1
	s_mov_b32 s16, exec_lo
	v_cmpx_ne_u16_e32 0x80, v6
	s_cbranch_execz .LBB296_1871
; %bb.1866:                             ;   in Loop: Header=BB296_998 Depth=1
	v_and_b32_e32 v19, 0xffff, v6
	v_mov_b32_e32 v1, 0x7c010000
	s_mov_b32 s17, exec_lo
	s_delay_alu instid0(VALU_DEP_2) | instskip(NEXT) | instid1(VALU_DEP_1)
	v_and_b32_e32 v23, 0x7f, v19
	v_cmpx_ne_u32_e32 0x7f, v23
	s_cbranch_execz .LBB296_1870
; %bb.1867:                             ;   in Loop: Header=BB296_998 Depth=1
	v_and_b32_e32 v1, 7, v19
	v_lshrrev_b32_e32 v22, 3, v23
	s_mov_b32 s18, exec_lo
	v_cmpx_gt_u32_e32 8, v23
; %bb.1868:                             ;   in Loop: Header=BB296_998 Depth=1
	s_delay_alu instid0(VALU_DEP_3) | instskip(NEXT) | instid1(VALU_DEP_1)
	v_clz_i32_u32_e32 v1, v1
	v_min_u32_e32 v1, 32, v1
	s_delay_alu instid0(VALU_DEP_1) | instskip(NEXT) | instid1(VALU_DEP_1)
	v_subrev_nc_u32_e32 v22, 28, v1
	v_lshlrev_b64_e32 v[34:35], v22, v[6:7]
	s_delay_alu instid0(VALU_DEP_1)
	v_dual_sub_nc_u32 v22, 29, v1 :: v_dual_bitop2_b32 v1, 7, v34 bitop3:0x40
; %bb.1869:                             ;   in Loop: Header=BB296_998 Depth=1
	s_or_b32 exec_lo, exec_lo, s18
	s_delay_alu instid0(VALU_DEP_1) | instskip(NEXT) | instid1(VALU_DEP_2)
	v_dual_lshlrev_b32 v6, 8, v19 :: v_dual_lshlrev_b32 v1, 23, v1
	v_lshl_add_u32 v19, v22, 10, 0x2000
	s_delay_alu instid0(VALU_DEP_1) | instskip(NEXT) | instid1(VALU_DEP_1)
	v_and_or_b32 v6, 0x8000, v6, v19
	v_lshl_or_b32 v1, v6, 16, v1
.LBB296_1870:                           ;   in Loop: Header=BB296_998 Depth=1
	s_or_b32 exec_lo, exec_lo, s17
.LBB296_1871:                           ;   in Loop: Header=BB296_998 Depth=1
	s_delay_alu instid0(SALU_CYCLE_1)
	s_or_b32 exec_lo, exec_lo, s16
.LBB296_1872:                           ;   in Loop: Header=BB296_998 Depth=1
	s_delay_alu instid0(SALU_CYCLE_1) | instskip(SKIP_3) | instid1(VALU_DEP_2)
	s_or_b32 exec_lo, exec_lo, s15
	v_dual_mov_b32 v19, 0 :: v_dual_lshrrev_b32 v6, 16, v32
	v_mov_b32_e32 v22, 0
	s_mov_b32 s15, exec_lo
	v_and_b32_e32 v23, 0xff, v6
	s_delay_alu instid0(VALU_DEP_1)
	v_cmpx_ne_u16_e32 0, v23
	s_cbranch_execz .LBB296_1880
; %bb.1873:                             ;   in Loop: Header=BB296_998 Depth=1
	v_mov_b32_e32 v22, 0x8000
	s_mov_b32 s16, exec_lo
	v_cmpx_ne_u16_e32 0x80, v23
	s_cbranch_execz .LBB296_1879
; %bb.1874:                             ;   in Loop: Header=BB296_998 Depth=1
	v_bfe_u32 v31, v32, 16, 7
	v_mov_b32_e32 v22, 0x7c01
	s_mov_b32 s17, exec_lo
	s_delay_alu instid0(VALU_DEP_2)
	v_cmpx_ne_u32_e32 0x7f, v31
	s_cbranch_execz .LBB296_1878
; %bb.1875:                             ;   in Loop: Header=BB296_998 Depth=1
	v_dual_lshrrev_b32 v23, 3, v31 :: v_dual_bitop2_b32 v22, 7, v6 bitop3:0x40
	s_mov_b32 s18, exec_lo
	v_cmpx_gt_u32_e32 8, v31
; %bb.1876:                             ;   in Loop: Header=BB296_998 Depth=1
	s_delay_alu instid0(VALU_DEP_2) | instskip(NEXT) | instid1(VALU_DEP_1)
	v_clz_i32_u32_e32 v22, v22
	v_min_u32_e32 v31, 32, v22
	s_delay_alu instid0(VALU_DEP_1) | instskip(NEXT) | instid1(VALU_DEP_1)
	v_subrev_nc_u32_e32 v22, 28, v31
	v_lshlrev_b64_e32 v[22:23], v22, v[6:7]
	s_delay_alu instid0(VALU_DEP_1)
	v_dual_sub_nc_u32 v23, 29, v31 :: v_dual_bitop2_b32 v22, 7, v22 bitop3:0x40
; %bb.1877:                             ;   in Loop: Header=BB296_998 Depth=1
	s_or_b32 exec_lo, exec_lo, s18
	v_lshlrev_b32_e32 v6, 8, v6
	s_delay_alu instid0(VALU_DEP_2) | instskip(NEXT) | instid1(VALU_DEP_3)
	v_lshl_add_u32 v23, v23, 10, 0x2000
	v_lshlrev_b32_e32 v22, 7, v22
	s_delay_alu instid0(VALU_DEP_3) | instskip(NEXT) | instid1(VALU_DEP_3)
	v_and_b32_e32 v6, 0x8000, v6
	v_and_b32_e32 v23, 0xfc00, v23
	s_delay_alu instid0(VALU_DEP_1)
	v_or3_b32 v22, v6, v23, v22
.LBB296_1878:                           ;   in Loop: Header=BB296_998 Depth=1
	s_or_b32 exec_lo, exec_lo, s17
.LBB296_1879:                           ;   in Loop: Header=BB296_998 Depth=1
	s_delay_alu instid0(SALU_CYCLE_1)
	s_or_b32 exec_lo, exec_lo, s16
.LBB296_1880:                           ;   in Loop: Header=BB296_998 Depth=1
	s_delay_alu instid0(SALU_CYCLE_1) | instskip(NEXT) | instid1(SALU_CYCLE_1)
	s_or_b32 exec_lo, exec_lo, s15
	s_mov_b32 s15, exec_lo
	v_cmpx_lt_u32_e32 0xffffff, v32
	s_cbranch_execz .LBB296_1888
; %bb.1881:                             ;   in Loop: Header=BB296_998 Depth=1
	v_lshrrev_b32_e32 v6, 24, v32
	v_bfrev_b32_e32 v19, 1
	s_mov_b32 s16, exec_lo
	s_delay_alu instid0(VALU_DEP_2)
	v_cmpx_ne_u32_e32 0x80, v6
	s_cbranch_execz .LBB296_1887
; %bb.1882:                             ;   in Loop: Header=BB296_998 Depth=1
	v_and_b32_e32 v31, 0x7f, v6
	v_mov_b32_e32 v19, 0x7c010000
	s_mov_b32 s17, exec_lo
	s_delay_alu instid0(VALU_DEP_2)
	v_cmpx_ne_u32_e32 0x7f, v31
	s_cbranch_execz .LBB296_1886
; %bb.1883:                             ;   in Loop: Header=BB296_998 Depth=1
	v_dual_lshrrev_b32 v23, 3, v31 :: v_dual_bitop2_b32 v19, 7, v6 bitop3:0x40
	s_mov_b32 s18, exec_lo
	v_cmpx_gt_u32_e32 8, v31
; %bb.1884:                             ;   in Loop: Header=BB296_998 Depth=1
	s_delay_alu instid0(VALU_DEP_2) | instskip(NEXT) | instid1(VALU_DEP_1)
	v_clz_i32_u32_e32 v19, v19
	v_min_u32_e32 v19, 32, v19
	s_delay_alu instid0(VALU_DEP_1) | instskip(NEXT) | instid1(VALU_DEP_1)
	v_subrev_nc_u32_e32 v23, 28, v19
	v_lshlrev_b64_e32 v[34:35], v23, v[6:7]
	s_delay_alu instid0(VALU_DEP_1)
	v_dual_sub_nc_u32 v23, 29, v19 :: v_dual_bitop2_b32 v19, 7, v34 bitop3:0x40
; %bb.1885:                             ;   in Loop: Header=BB296_998 Depth=1
	s_or_b32 exec_lo, exec_lo, s18
	s_delay_alu instid0(VALU_DEP_1) | instskip(NEXT) | instid1(VALU_DEP_2)
	v_dual_lshlrev_b32 v6, 8, v6 :: v_dual_lshlrev_b32 v19, 23, v19
	v_lshl_add_u32 v23, v23, 10, 0x2000
	s_delay_alu instid0(VALU_DEP_1) | instskip(NEXT) | instid1(VALU_DEP_1)
	v_and_or_b32 v6, 0x8000, v6, v23
	v_lshl_or_b32 v19, v6, 16, v19
.LBB296_1886:                           ;   in Loop: Header=BB296_998 Depth=1
	s_or_b32 exec_lo, exec_lo, s17
.LBB296_1887:                           ;   in Loop: Header=BB296_998 Depth=1
	s_delay_alu instid0(SALU_CYCLE_1)
	s_or_b32 exec_lo, exec_lo, s16
.LBB296_1888:                           ;   in Loop: Header=BB296_998 Depth=1
	s_delay_alu instid0(SALU_CYCLE_1) | instskip(SKIP_4) | instid1(VALU_DEP_3)
	s_or_b32 exec_lo, exec_lo, s15
	v_and_b32_e32 v34, 0xff, v33
	v_dual_mov_b32 v6, v33 :: v_dual_mov_b32 v31, 0
	v_mov_b32_e32 v23, 0
	s_mov_b32 s15, exec_lo
	v_cmpx_ne_u16_e32 0, v34
	s_cbranch_execz .LBB296_1896
; %bb.1889:                             ;   in Loop: Header=BB296_998 Depth=1
	v_mov_b32_e32 v23, 0x8000
	s_mov_b32 s16, exec_lo
	v_cmpx_ne_u16_e32 0x80, v34
	s_cbranch_execz .LBB296_1895
; %bb.1890:                             ;   in Loop: Header=BB296_998 Depth=1
	v_and_b32_e32 v35, 0x7f, v33
	v_mov_b32_e32 v23, 0x7c01
	s_mov_b32 s17, exec_lo
	s_delay_alu instid0(VALU_DEP_2)
	v_cmpx_ne_u32_e32 0x7f, v35
	s_cbranch_execz .LBB296_1894
; %bb.1891:                             ;   in Loop: Header=BB296_998 Depth=1
	v_dual_lshrrev_b32 v34, 3, v35 :: v_dual_bitop2_b32 v23, 7, v33 bitop3:0x40
	s_mov_b32 s18, exec_lo
	v_cmpx_gt_u32_e32 8, v35
; %bb.1892:                             ;   in Loop: Header=BB296_998 Depth=1
	s_delay_alu instid0(VALU_DEP_2) | instskip(NEXT) | instid1(VALU_DEP_1)
	v_clz_i32_u32_e32 v23, v23
	v_min_u32_e32 v23, 32, v23
	s_delay_alu instid0(VALU_DEP_1) | instskip(NEXT) | instid1(VALU_DEP_1)
	v_subrev_nc_u32_e32 v34, 28, v23
	v_lshlrev_b64_e32 v[36:37], v34, v[6:7]
	s_delay_alu instid0(VALU_DEP_1)
	v_dual_sub_nc_u32 v34, 29, v23 :: v_dual_bitop2_b32 v23, 7, v36 bitop3:0x40
; %bb.1893:                             ;   in Loop: Header=BB296_998 Depth=1
	s_or_b32 exec_lo, exec_lo, s18
	s_delay_alu instid0(VALU_DEP_1) | instskip(NEXT) | instid1(VALU_DEP_2)
	v_dual_lshlrev_b32 v35, 8, v33 :: v_dual_lshlrev_b32 v23, 7, v23
	v_lshl_add_u32 v34, v34, 10, 0x2000
	s_delay_alu instid0(VALU_DEP_2) | instskip(NEXT) | instid1(VALU_DEP_2)
	v_and_b32_e32 v35, 0x8000, v35
	v_and_b32_e32 v34, 0xfc00, v34
	s_delay_alu instid0(VALU_DEP_1)
	v_or3_b32 v23, v35, v34, v23
.LBB296_1894:                           ;   in Loop: Header=BB296_998 Depth=1
	s_or_b32 exec_lo, exec_lo, s17
.LBB296_1895:                           ;   in Loop: Header=BB296_998 Depth=1
	s_delay_alu instid0(SALU_CYCLE_1)
	s_or_b32 exec_lo, exec_lo, s16
.LBB296_1896:                           ;   in Loop: Header=BB296_998 Depth=1
	s_delay_alu instid0(SALU_CYCLE_1) | instskip(SKIP_3) | instid1(VALU_DEP_2)
	s_or_b32 exec_lo, exec_lo, s15
	v_lshrrev_b16 v6, 8, v6
	v_mov_b32_e32 v34, 0
	s_mov_b32 s15, exec_lo
	v_cmpx_ne_u16_e32 0, v6
	s_cbranch_execz .LBB296_1904
; %bb.1897:                             ;   in Loop: Header=BB296_998 Depth=1
	v_bfrev_b32_e32 v34, 1
	s_mov_b32 s16, exec_lo
	v_cmpx_ne_u16_e32 0x80, v6
	s_cbranch_execz .LBB296_1903
; %bb.1898:                             ;   in Loop: Header=BB296_998 Depth=1
	v_and_b32_e32 v35, 0xffff, v6
	v_mov_b32_e32 v34, 0x7c010000
	s_mov_b32 s17, exec_lo
	s_delay_alu instid0(VALU_DEP_2) | instskip(NEXT) | instid1(VALU_DEP_1)
	v_and_b32_e32 v37, 0x7f, v35
	v_cmpx_ne_u32_e32 0x7f, v37
	s_cbranch_execz .LBB296_1902
; %bb.1899:                             ;   in Loop: Header=BB296_998 Depth=1
	v_dual_lshrrev_b32 v36, 3, v37 :: v_dual_bitop2_b32 v34, 7, v35 bitop3:0x40
	s_mov_b32 s18, exec_lo
	v_cmpx_gt_u32_e32 8, v37
; %bb.1900:                             ;   in Loop: Header=BB296_998 Depth=1
	s_delay_alu instid0(VALU_DEP_2) | instskip(NEXT) | instid1(VALU_DEP_1)
	v_clz_i32_u32_e32 v34, v34
	v_min_u32_e32 v34, 32, v34
	s_delay_alu instid0(VALU_DEP_1) | instskip(NEXT) | instid1(VALU_DEP_1)
	v_subrev_nc_u32_e32 v36, 28, v34
	v_lshlrev_b64_e32 v[38:39], v36, v[6:7]
	v_sub_nc_u32_e32 v36, 29, v34
	s_delay_alu instid0(VALU_DEP_2)
	v_and_b32_e32 v34, 7, v38
; %bb.1901:                             ;   in Loop: Header=BB296_998 Depth=1
	s_or_b32 exec_lo, exec_lo, s18
	s_delay_alu instid0(VALU_DEP_1) | instskip(NEXT) | instid1(VALU_DEP_3)
	v_dual_lshlrev_b32 v6, 8, v35 :: v_dual_lshlrev_b32 v34, 23, v34
	v_lshl_add_u32 v35, v36, 10, 0x2000
	s_delay_alu instid0(VALU_DEP_1) | instskip(NEXT) | instid1(VALU_DEP_1)
	v_and_or_b32 v6, 0x8000, v6, v35
	v_lshl_or_b32 v34, v6, 16, v34
.LBB296_1902:                           ;   in Loop: Header=BB296_998 Depth=1
	s_or_b32 exec_lo, exec_lo, s17
.LBB296_1903:                           ;   in Loop: Header=BB296_998 Depth=1
	s_delay_alu instid0(SALU_CYCLE_1)
	s_or_b32 exec_lo, exec_lo, s16
.LBB296_1904:                           ;   in Loop: Header=BB296_998 Depth=1
	s_delay_alu instid0(SALU_CYCLE_1) | instskip(SKIP_2) | instid1(VALU_DEP_1)
	s_or_b32 exec_lo, exec_lo, s15
	v_lshrrev_b32_e32 v6, 16, v33
	s_mov_b32 s15, exec_lo
	v_and_b32_e32 v35, 0xff, v6
	s_delay_alu instid0(VALU_DEP_1)
	v_cmpx_ne_u16_e32 0, v35
	s_cbranch_execz .LBB296_1912
; %bb.1905:                             ;   in Loop: Header=BB296_998 Depth=1
	v_mov_b32_e32 v31, 0x8000
	s_mov_b32 s16, exec_lo
	v_cmpx_ne_u16_e32 0x80, v35
	s_cbranch_execz .LBB296_1911
; %bb.1906:                             ;   in Loop: Header=BB296_998 Depth=1
	v_bfe_u32 v36, v33, 16, 7
	v_mov_b32_e32 v31, 0x7c01
	s_mov_b32 s17, exec_lo
	s_delay_alu instid0(VALU_DEP_2)
	v_cmpx_ne_u32_e32 0x7f, v36
	s_cbranch_execz .LBB296_1910
; %bb.1907:                             ;   in Loop: Header=BB296_998 Depth=1
	v_dual_lshrrev_b32 v35, 3, v36 :: v_dual_bitop2_b32 v31, 7, v6 bitop3:0x40
	s_mov_b32 s18, exec_lo
	v_cmpx_gt_u32_e32 8, v36
; %bb.1908:                             ;   in Loop: Header=BB296_998 Depth=1
	s_delay_alu instid0(VALU_DEP_2) | instskip(NEXT) | instid1(VALU_DEP_1)
	v_clz_i32_u32_e32 v31, v31
	v_min_u32_e32 v31, 32, v31
	s_delay_alu instid0(VALU_DEP_1) | instskip(NEXT) | instid1(VALU_DEP_1)
	v_subrev_nc_u32_e32 v35, 28, v31
	v_lshlrev_b64_e32 v[36:37], v35, v[6:7]
	s_delay_alu instid0(VALU_DEP_1)
	v_dual_sub_nc_u32 v35, 29, v31 :: v_dual_bitop2_b32 v31, 7, v36 bitop3:0x40
; %bb.1909:                             ;   in Loop: Header=BB296_998 Depth=1
	s_or_b32 exec_lo, exec_lo, s18
	s_delay_alu instid0(VALU_DEP_1) | instskip(NEXT) | instid1(VALU_DEP_2)
	v_dual_lshlrev_b32 v6, 8, v6 :: v_dual_lshlrev_b32 v31, 7, v31
	v_lshl_add_u32 v35, v35, 10, 0x2000
	s_delay_alu instid0(VALU_DEP_2) | instskip(NEXT) | instid1(VALU_DEP_2)
	v_and_b32_e32 v6, 0x8000, v6
	v_and_b32_e32 v35, 0xfc00, v35
	s_delay_alu instid0(VALU_DEP_1)
	v_or3_b32 v31, v6, v35, v31
.LBB296_1910:                           ;   in Loop: Header=BB296_998 Depth=1
	s_or_b32 exec_lo, exec_lo, s17
.LBB296_1911:                           ;   in Loop: Header=BB296_998 Depth=1
	s_delay_alu instid0(SALU_CYCLE_1)
	s_or_b32 exec_lo, exec_lo, s16
.LBB296_1912:                           ;   in Loop: Header=BB296_998 Depth=1
	s_delay_alu instid0(SALU_CYCLE_1)
	s_or_b32 exec_lo, exec_lo, s15
	v_cmp_lt_u64_e64 s0, s[2:3], v[32:33]
	v_mov_b32_e32 v32, 0
	s_and_saveexec_b32 s15, s0
	s_cbranch_execz .LBB296_1920
; %bb.1913:                             ;   in Loop: Header=BB296_998 Depth=1
	v_lshrrev_b32_e32 v6, 24, v33
	v_bfrev_b32_e32 v32, 1
	s_mov_b32 s16, exec_lo
	s_delay_alu instid0(VALU_DEP_2)
	v_cmpx_ne_u32_e32 0x80, v6
	s_cbranch_execz .LBB296_1919
; %bb.1914:                             ;   in Loop: Header=BB296_998 Depth=1
	v_and_b32_e32 v35, 0x7f, v6
	v_mov_b32_e32 v32, 0x7c010000
	s_mov_b32 s17, exec_lo
	s_delay_alu instid0(VALU_DEP_2)
	v_cmpx_ne_u32_e32 0x7f, v35
	s_cbranch_execz .LBB296_1918
; %bb.1915:                             ;   in Loop: Header=BB296_998 Depth=1
	v_dual_lshrrev_b32 v33, 3, v35 :: v_dual_bitop2_b32 v32, 7, v6 bitop3:0x40
	s_mov_b32 s18, exec_lo
	v_cmpx_gt_u32_e32 8, v35
; %bb.1916:                             ;   in Loop: Header=BB296_998 Depth=1
	s_delay_alu instid0(VALU_DEP_2) | instskip(NEXT) | instid1(VALU_DEP_1)
	v_clz_i32_u32_e32 v32, v32
	v_min_u32_e32 v35, 32, v32
	s_delay_alu instid0(VALU_DEP_1) | instskip(NEXT) | instid1(VALU_DEP_1)
	v_subrev_nc_u32_e32 v32, 28, v35
	v_lshlrev_b64_e32 v[32:33], v32, v[6:7]
	s_delay_alu instid0(VALU_DEP_1)
	v_dual_sub_nc_u32 v33, 29, v35 :: v_dual_bitop2_b32 v32, 7, v32 bitop3:0x40
; %bb.1917:                             ;   in Loop: Header=BB296_998 Depth=1
	s_or_b32 exec_lo, exec_lo, s18
	s_delay_alu instid0(VALU_DEP_1) | instskip(NEXT) | instid1(VALU_DEP_2)
	v_dual_lshlrev_b32 v6, 8, v6 :: v_dual_lshlrev_b32 v32, 23, v32
	v_lshl_add_u32 v33, v33, 10, 0x2000
	s_delay_alu instid0(VALU_DEP_1) | instskip(NEXT) | instid1(VALU_DEP_1)
	v_and_or_b32 v6, 0x8000, v6, v33
	v_lshl_or_b32 v32, v6, 16, v32
.LBB296_1918:                           ;   in Loop: Header=BB296_998 Depth=1
	s_or_b32 exec_lo, exec_lo, s17
.LBB296_1919:                           ;   in Loop: Header=BB296_998 Depth=1
	s_delay_alu instid0(SALU_CYCLE_1)
	s_or_b32 exec_lo, exec_lo, s16
.LBB296_1920:                           ;   in Loop: Header=BB296_998 Depth=1
	s_delay_alu instid0(SALU_CYCLE_1) | instskip(SKIP_4) | instid1(VALU_DEP_4)
	s_or_b32 exec_lo, exec_lo, s15
	v_dual_lshrrev_b32 v6, 16, v1 :: v_dual_lshrrev_b32 v33, 16, v19
	v_or_b32_e32 v1, v1, v18
	v_or_b32_e32 v22, v19, v22
	v_or_b32_e32 v35, v34, v23
	v_cvt_f32_f16_e32 v19, v6
	v_cvt_f32_f16_e32 v18, v33
	v_dual_lshrrev_b32 v31, 16, v34 :: v_dual_bitop2_b32 v6, v32, v31 bitop3:0x54
	v_lshrrev_b32_e32 v32, 16, v32
	v_cvt_f32_f16_e32 v23, v1
	s_delay_alu instid0(VALU_DEP_3) | instskip(SKIP_4) | instid1(VALU_DEP_3)
	v_cvt_f32_f16_e32 v34, v6
	s_wait_loadcnt_dscnt 0x0
	v_pk_mul_f32 v[18:19], v[30:31], v[18:19] op_sel_hi:[0,1]
	v_cvt_f32_f16_e32 v33, v31
	v_cvt_f32_f16_e32 v32, v32
	v_cvt_pk_f16_f32 v1, v18, v19
	s_delay_alu instid0(VALU_DEP_2) | instskip(NEXT) | instid1(VALU_DEP_2)
	v_pk_mul_f32 v[18:19], v[30:31], v[32:33] op_sel_hi:[0,1]
	v_lshlrev_b32_e32 v32, 16, v1
	v_cvt_f32_f16_e32 v22, v22
	v_and_b32_e32 v33, 0xffff0000, v1
	s_delay_alu instid0(VALU_DEP_4) | instskip(NEXT) | instid1(VALU_DEP_3)
	v_cvt_pk_f16_f32 v18, v18, v19
	v_pk_mul_f32 v[22:23], v[30:31], v[22:23] op_sel_hi:[0,1]
	s_delay_alu instid0(VALU_DEP_2) | instskip(NEXT) | instid1(VALU_DEP_2)
	v_and_b32_e32 v19, 0xffff0000, v18
	v_cvt_pk_f16_f32 v6, v22, v23
	s_delay_alu instid0(VALU_DEP_1) | instskip(SKIP_2) | instid1(VALU_DEP_3)
	v_lshrrev_b32_e32 v39, 16, v6
	v_cvt_f32_f16_e32 v35, v35
	v_and_b32_e32 v38, 0xffff, v6
	v_or_b32_e32 v37, v33, v39
	s_delay_alu instid0(VALU_DEP_3) | instskip(NEXT) | instid1(VALU_DEP_3)
	v_pk_mul_f32 v[30:31], v[30:31], v[34:35] op_sel_hi:[0,1]
	v_or_b32_e32 v36, v32, v38
	s_delay_alu instid0(VALU_DEP_2) | instskip(NEXT) | instid1(VALU_DEP_1)
	v_cvt_pk_f16_f32 v1, v30, v31
	v_dual_lshlrev_b32 v6, 16, v18 :: v_dual_lshrrev_b32 v31, 16, v1
	v_and_b32_e32 v30, 0xffff, v1
	s_delay_alu instid0(VALU_DEP_2) | instskip(NEXT) | instid1(VALU_DEP_2)
	v_or_b32_e32 v35, v19, v31
	v_or_b32_e32 v34, v6, v30
	s_and_saveexec_b32 s15, vcc_lo
	s_cbranch_execz .LBB296_1922
; %bb.1921:                             ;   in Loop: Header=BB296_998 Depth=1
	v_cmp_lt_i32_e64 s0, v53, v13
	s_delay_alu instid0(VALU_DEP_1) | instskip(SKIP_1) | instid1(VALU_DEP_1)
	v_cndmask_b32_e64 v1, 0, v39, s0
	v_cmp_lt_i32_e64 s0, v69, v58
	v_cndmask_b32_e64 v18, 0, v38, s0
	v_cmp_lt_i32_e64 s0, v68, v13
	s_delay_alu instid0(VALU_DEP_1) | instskip(SKIP_1) | instid1(VALU_DEP_1)
	v_cndmask_b32_e64 v22, 0, v33, s0
	v_cmp_lt_i32_e64 s0, v67, v58
	v_cndmask_b32_e64 v23, 0, v32, s0
	v_cmp_lt_i32_e64 s0, v66, v13
	s_delay_alu instid0(VALU_DEP_4) | instskip(NEXT) | instid1(VALU_DEP_3)
	v_or_b32_e32 v37, v1, v22
	v_or_b32_e32 v36, v18, v23
	s_delay_alu instid0(VALU_DEP_3) | instskip(SKIP_1) | instid1(VALU_DEP_1)
	v_cndmask_b32_e64 v31, 0, v31, s0
	v_cmp_lt_i32_e64 s0, v65, v58
	v_cndmask_b32_e64 v30, 0, v30, s0
	v_cmp_lt_i32_e64 s0, v64, v13
	s_delay_alu instid0(VALU_DEP_1) | instskip(SKIP_1) | instid1(VALU_DEP_1)
	v_cndmask_b32_e64 v19, 0, v19, s0
	v_cmp_lt_i32_e64 s0, v0, v58
	v_dual_cndmask_b32 v6, 0, v6, s0 :: v_dual_bitop2_b32 v35, v31, v19 bitop3:0x54
	s_delay_alu instid0(VALU_DEP_1)
	v_or_b32_e32 v34, v30, v6
.LBB296_1922:                           ;   in Loop: Header=BB296_998 Depth=1
	s_or_b32 exec_lo, exec_lo, s15
	;;#ASMSTART
	v_pk_mul_f16 v1, v81, v37;

	;;#ASMEND
	;;#ASMSTART
	v_pk_mul_f16 v6, v80, v36;

	;;#ASMEND
	;; [unrolled: 4-line block ×4, first 2 shown]
	;;#ASMSTART
	v_pk_add_f16 v1, v1, v6;

	;;#ASMEND
	;;#ASMSTART
	v_pk_add_f16 v1, v1, v18;

	;;#ASMEND
	;; [unrolled: 4-line block ×3, first 2 shown]
	v_and_b32_e32 v6, 0xffff, v1
	v_lshrrev_b32_e32 v1, 16, v1
	;;#ASMSTART
	v_cvt_f32_f16 v38, v6;
	;;#ASMEND
	;;#ASMSTART
	v_cvt_f32_f16 v39, v1;
	;;#ASMEND
	flat_load_b64 v[30:31], v[14:15] offset:3584
	scratch_load_b64 v[14:15], off, s32 offset:192 ; 8-byte Folded Reload
	v_mov_b32_e32 v1, 0
	s_mov_b32 s15, exec_lo
	s_wait_loadcnt_dscnt 0x100
	v_and_b32_e32 v6, 0xff, v30
	s_wait_loadcnt 0x0
	flat_load_b32 v14, v[14:15]
	s_wait_xcnt 0x0
	v_mov_b32_e32 v15, 0
	v_cmpx_ne_u16_e32 0, v6
	s_cbranch_execz .LBB296_1930
; %bb.1923:                             ;   in Loop: Header=BB296_998 Depth=1
	v_mov_b32_e32 v15, 0x8000
	s_mov_b32 s16, exec_lo
	v_cmpx_ne_u16_e32 0x80, v6
	s_cbranch_execz .LBB296_1929
; %bb.1924:                             ;   in Loop: Header=BB296_998 Depth=1
	v_and_b32_e32 v18, 0x7f, v30
	v_mov_b32_e32 v15, 0x7c01
	s_mov_b32 s17, exec_lo
	s_delay_alu instid0(VALU_DEP_2)
	v_cmpx_ne_u32_e32 0x7f, v18
	s_cbranch_execz .LBB296_1928
; %bb.1925:                             ;   in Loop: Header=BB296_998 Depth=1
	v_and_b32_e32 v6, 7, v30
	v_lshrrev_b32_e32 v15, 3, v18
	s_mov_b32 s18, exec_lo
	v_cmpx_gt_u32_e32 8, v18
; %bb.1926:                             ;   in Loop: Header=BB296_998 Depth=1
	s_delay_alu instid0(VALU_DEP_3) | instskip(NEXT) | instid1(VALU_DEP_1)
	v_clz_i32_u32_e32 v6, v6
	v_min_u32_e32 v6, 32, v6
	s_delay_alu instid0(VALU_DEP_1) | instskip(NEXT) | instid1(VALU_DEP_1)
	v_subrev_nc_u32_e32 v15, 28, v6
	v_lshlrev_b64_e32 v[18:19], v15, v[30:31]
	v_sub_nc_u32_e32 v15, 29, v6
	s_delay_alu instid0(VALU_DEP_2)
	v_and_b32_e32 v6, 7, v18
; %bb.1927:                             ;   in Loop: Header=BB296_998 Depth=1
	s_or_b32 exec_lo, exec_lo, s18
	v_lshlrev_b32_e32 v18, 8, v30
	s_delay_alu instid0(VALU_DEP_3) | instskip(NEXT) | instid1(VALU_DEP_3)
	v_lshl_add_u32 v15, v15, 10, 0x2000
	v_lshlrev_b32_e32 v6, 7, v6
	s_delay_alu instid0(VALU_DEP_3) | instskip(NEXT) | instid1(VALU_DEP_3)
	v_and_b32_e32 v18, 0x8000, v18
	v_and_b32_e32 v15, 0xfc00, v15
	s_delay_alu instid0(VALU_DEP_1)
	v_or3_b32 v15, v18, v15, v6
.LBB296_1928:                           ;   in Loop: Header=BB296_998 Depth=1
	s_or_b32 exec_lo, exec_lo, s17
.LBB296_1929:                           ;   in Loop: Header=BB296_998 Depth=1
	s_delay_alu instid0(SALU_CYCLE_1)
	s_or_b32 exec_lo, exec_lo, s16
.LBB296_1930:                           ;   in Loop: Header=BB296_998 Depth=1
	s_delay_alu instid0(SALU_CYCLE_1) | instskip(SKIP_2) | instid1(VALU_DEP_1)
	s_or_b32 exec_lo, exec_lo, s15
	v_lshrrev_b16 v6, 8, v30
	s_mov_b32 s15, exec_lo
	v_cmpx_ne_u16_e32 0, v6
	s_cbranch_execz .LBB296_1938
; %bb.1931:                             ;   in Loop: Header=BB296_998 Depth=1
	v_bfrev_b32_e32 v1, 1
	s_mov_b32 s16, exec_lo
	v_cmpx_ne_u16_e32 0x80, v6
	s_cbranch_execz .LBB296_1937
; %bb.1932:                             ;   in Loop: Header=BB296_998 Depth=1
	v_and_b32_e32 v18, 0xffff, v6
	v_mov_b32_e32 v1, 0x7c010000
	s_mov_b32 s17, exec_lo
	s_delay_alu instid0(VALU_DEP_2) | instskip(NEXT) | instid1(VALU_DEP_1)
	v_and_b32_e32 v22, 0x7f, v18
	v_cmpx_ne_u32_e32 0x7f, v22
	s_cbranch_execz .LBB296_1936
; %bb.1933:                             ;   in Loop: Header=BB296_998 Depth=1
	v_and_b32_e32 v1, 7, v18
	v_lshrrev_b32_e32 v19, 3, v22
	s_mov_b32 s18, exec_lo
	v_cmpx_gt_u32_e32 8, v22
; %bb.1934:                             ;   in Loop: Header=BB296_998 Depth=1
	s_delay_alu instid0(VALU_DEP_3) | instskip(NEXT) | instid1(VALU_DEP_1)
	v_clz_i32_u32_e32 v1, v1
	v_min_u32_e32 v1, 32, v1
	s_delay_alu instid0(VALU_DEP_1) | instskip(NEXT) | instid1(VALU_DEP_1)
	v_subrev_nc_u32_e32 v19, 28, v1
	v_lshlrev_b64_e32 v[22:23], v19, v[6:7]
	s_delay_alu instid0(VALU_DEP_1)
	v_dual_sub_nc_u32 v19, 29, v1 :: v_dual_bitop2_b32 v1, 7, v22 bitop3:0x40
; %bb.1935:                             ;   in Loop: Header=BB296_998 Depth=1
	s_or_b32 exec_lo, exec_lo, s18
	s_delay_alu instid0(VALU_DEP_1) | instskip(NEXT) | instid1(VALU_DEP_2)
	v_dual_lshlrev_b32 v6, 8, v18 :: v_dual_lshlrev_b32 v1, 23, v1
	v_lshl_add_u32 v18, v19, 10, 0x2000
	s_delay_alu instid0(VALU_DEP_1) | instskip(NEXT) | instid1(VALU_DEP_1)
	v_and_or_b32 v6, 0x8000, v6, v18
	v_lshl_or_b32 v1, v6, 16, v1
.LBB296_1936:                           ;   in Loop: Header=BB296_998 Depth=1
	s_or_b32 exec_lo, exec_lo, s17
.LBB296_1937:                           ;   in Loop: Header=BB296_998 Depth=1
	s_delay_alu instid0(SALU_CYCLE_1)
	s_or_b32 exec_lo, exec_lo, s16
.LBB296_1938:                           ;   in Loop: Header=BB296_998 Depth=1
	s_delay_alu instid0(SALU_CYCLE_1) | instskip(SKIP_3) | instid1(VALU_DEP_2)
	s_or_b32 exec_lo, exec_lo, s15
	v_dual_lshrrev_b32 v6, 16, v30 :: v_dual_mov_b32 v18, 0
	v_mov_b32_e32 v19, 0
	s_mov_b32 s15, exec_lo
	v_and_b32_e32 v22, 0xff, v6
	s_delay_alu instid0(VALU_DEP_1)
	v_cmpx_ne_u16_e32 0, v22
	s_cbranch_execz .LBB296_1946
; %bb.1939:                             ;   in Loop: Header=BB296_998 Depth=1
	v_mov_b32_e32 v19, 0x8000
	s_mov_b32 s16, exec_lo
	v_cmpx_ne_u16_e32 0x80, v22
	s_cbranch_execz .LBB296_1945
; %bb.1940:                             ;   in Loop: Header=BB296_998 Depth=1
	v_bfe_u32 v23, v30, 16, 7
	v_mov_b32_e32 v19, 0x7c01
	s_mov_b32 s17, exec_lo
	s_delay_alu instid0(VALU_DEP_2)
	v_cmpx_ne_u32_e32 0x7f, v23
	s_cbranch_execz .LBB296_1944
; %bb.1941:                             ;   in Loop: Header=BB296_998 Depth=1
	v_dual_lshrrev_b32 v22, 3, v23 :: v_dual_bitop2_b32 v19, 7, v6 bitop3:0x40
	s_mov_b32 s18, exec_lo
	v_cmpx_gt_u32_e32 8, v23
; %bb.1942:                             ;   in Loop: Header=BB296_998 Depth=1
	s_delay_alu instid0(VALU_DEP_2) | instskip(NEXT) | instid1(VALU_DEP_1)
	v_clz_i32_u32_e32 v19, v19
	v_min_u32_e32 v19, 32, v19
	s_delay_alu instid0(VALU_DEP_1) | instskip(NEXT) | instid1(VALU_DEP_1)
	v_subrev_nc_u32_e32 v22, 28, v19
	v_lshlrev_b64_e32 v[32:33], v22, v[6:7]
	s_delay_alu instid0(VALU_DEP_1)
	v_dual_sub_nc_u32 v22, 29, v19 :: v_dual_bitop2_b32 v19, 7, v32 bitop3:0x40
; %bb.1943:                             ;   in Loop: Header=BB296_998 Depth=1
	s_or_b32 exec_lo, exec_lo, s18
	s_delay_alu instid0(VALU_DEP_1) | instskip(NEXT) | instid1(VALU_DEP_2)
	v_dual_lshlrev_b32 v6, 8, v6 :: v_dual_lshlrev_b32 v19, 7, v19
	v_lshl_add_u32 v22, v22, 10, 0x2000
	s_delay_alu instid0(VALU_DEP_2) | instskip(NEXT) | instid1(VALU_DEP_2)
	v_and_b32_e32 v6, 0x8000, v6
	v_and_b32_e32 v22, 0xfc00, v22
	s_delay_alu instid0(VALU_DEP_1)
	v_or3_b32 v19, v6, v22, v19
.LBB296_1944:                           ;   in Loop: Header=BB296_998 Depth=1
	s_or_b32 exec_lo, exec_lo, s17
.LBB296_1945:                           ;   in Loop: Header=BB296_998 Depth=1
	s_delay_alu instid0(SALU_CYCLE_1)
	s_or_b32 exec_lo, exec_lo, s16
.LBB296_1946:                           ;   in Loop: Header=BB296_998 Depth=1
	s_delay_alu instid0(SALU_CYCLE_1) | instskip(NEXT) | instid1(SALU_CYCLE_1)
	s_or_b32 exec_lo, exec_lo, s15
	s_mov_b32 s15, exec_lo
	v_cmpx_lt_u32_e32 0xffffff, v30
	s_cbranch_execz .LBB296_1954
; %bb.1947:                             ;   in Loop: Header=BB296_998 Depth=1
	v_lshrrev_b32_e32 v6, 24, v30
	v_bfrev_b32_e32 v18, 1
	s_mov_b32 s16, exec_lo
	s_delay_alu instid0(VALU_DEP_2)
	v_cmpx_ne_u32_e32 0x80, v6
	s_cbranch_execz .LBB296_1953
; %bb.1948:                             ;   in Loop: Header=BB296_998 Depth=1
	v_and_b32_e32 v23, 0x7f, v6
	v_mov_b32_e32 v18, 0x7c010000
	s_mov_b32 s17, exec_lo
	s_delay_alu instid0(VALU_DEP_2)
	v_cmpx_ne_u32_e32 0x7f, v23
	s_cbranch_execz .LBB296_1952
; %bb.1949:                             ;   in Loop: Header=BB296_998 Depth=1
	v_dual_lshrrev_b32 v22, 3, v23 :: v_dual_bitop2_b32 v18, 7, v6 bitop3:0x40
	s_mov_b32 s18, exec_lo
	v_cmpx_gt_u32_e32 8, v23
; %bb.1950:                             ;   in Loop: Header=BB296_998 Depth=1
	s_delay_alu instid0(VALU_DEP_2) | instskip(NEXT) | instid1(VALU_DEP_1)
	v_clz_i32_u32_e32 v18, v18
	v_min_u32_e32 v18, 32, v18
	s_delay_alu instid0(VALU_DEP_1) | instskip(NEXT) | instid1(VALU_DEP_1)
	v_subrev_nc_u32_e32 v22, 28, v18
	v_lshlrev_b64_e32 v[32:33], v22, v[6:7]
	s_delay_alu instid0(VALU_DEP_1)
	v_dual_sub_nc_u32 v22, 29, v18 :: v_dual_bitop2_b32 v18, 7, v32 bitop3:0x40
; %bb.1951:                             ;   in Loop: Header=BB296_998 Depth=1
	s_or_b32 exec_lo, exec_lo, s18
	v_lshlrev_b32_e32 v6, 8, v6
	s_delay_alu instid0(VALU_DEP_2) | instskip(NEXT) | instid1(VALU_DEP_3)
	v_lshl_add_u32 v22, v22, 10, 0x2000
	v_lshlrev_b32_e32 v18, 23, v18
	s_delay_alu instid0(VALU_DEP_2) | instskip(NEXT) | instid1(VALU_DEP_1)
	v_and_or_b32 v6, 0x8000, v6, v22
	v_lshl_or_b32 v18, v6, 16, v18
.LBB296_1952:                           ;   in Loop: Header=BB296_998 Depth=1
	s_or_b32 exec_lo, exec_lo, s17
.LBB296_1953:                           ;   in Loop: Header=BB296_998 Depth=1
	s_delay_alu instid0(SALU_CYCLE_1)
	s_or_b32 exec_lo, exec_lo, s16
.LBB296_1954:                           ;   in Loop: Header=BB296_998 Depth=1
	s_delay_alu instid0(SALU_CYCLE_1) | instskip(SKIP_4) | instid1(VALU_DEP_3)
	s_or_b32 exec_lo, exec_lo, s15
	v_and_b32_e32 v32, 0xff, v31
	v_dual_mov_b32 v6, v31 :: v_dual_mov_b32 v23, 0
	v_mov_b32_e32 v22, 0
	s_mov_b32 s15, exec_lo
	v_cmpx_ne_u16_e32 0, v32
	s_cbranch_execz .LBB296_1962
; %bb.1955:                             ;   in Loop: Header=BB296_998 Depth=1
	v_mov_b32_e32 v22, 0x8000
	s_mov_b32 s16, exec_lo
	v_cmpx_ne_u16_e32 0x80, v32
	s_cbranch_execz .LBB296_1961
; %bb.1956:                             ;   in Loop: Header=BB296_998 Depth=1
	v_and_b32_e32 v33, 0x7f, v31
	v_mov_b32_e32 v22, 0x7c01
	s_mov_b32 s17, exec_lo
	s_delay_alu instid0(VALU_DEP_2)
	v_cmpx_ne_u32_e32 0x7f, v33
	s_cbranch_execz .LBB296_1960
; %bb.1957:                             ;   in Loop: Header=BB296_998 Depth=1
	v_dual_lshrrev_b32 v32, 3, v33 :: v_dual_bitop2_b32 v22, 7, v31 bitop3:0x40
	s_mov_b32 s18, exec_lo
	v_cmpx_gt_u32_e32 8, v33
; %bb.1958:                             ;   in Loop: Header=BB296_998 Depth=1
	s_delay_alu instid0(VALU_DEP_2) | instskip(NEXT) | instid1(VALU_DEP_1)
	v_clz_i32_u32_e32 v22, v22
	v_min_u32_e32 v22, 32, v22
	s_delay_alu instid0(VALU_DEP_1) | instskip(NEXT) | instid1(VALU_DEP_1)
	v_subrev_nc_u32_e32 v32, 28, v22
	v_lshlrev_b64_e32 v[34:35], v32, v[6:7]
	v_sub_nc_u32_e32 v32, 29, v22
	s_delay_alu instid0(VALU_DEP_2)
	v_and_b32_e32 v22, 7, v34
; %bb.1959:                             ;   in Loop: Header=BB296_998 Depth=1
	s_or_b32 exec_lo, exec_lo, s18
	s_delay_alu instid0(VALU_DEP_1) | instskip(NEXT) | instid1(VALU_DEP_3)
	v_dual_lshlrev_b32 v33, 8, v31 :: v_dual_lshlrev_b32 v22, 7, v22
	v_lshl_add_u32 v32, v32, 10, 0x2000
	s_delay_alu instid0(VALU_DEP_2) | instskip(NEXT) | instid1(VALU_DEP_2)
	v_and_b32_e32 v33, 0x8000, v33
	v_and_b32_e32 v32, 0xfc00, v32
	s_delay_alu instid0(VALU_DEP_1)
	v_or3_b32 v22, v33, v32, v22
.LBB296_1960:                           ;   in Loop: Header=BB296_998 Depth=1
	s_or_b32 exec_lo, exec_lo, s17
.LBB296_1961:                           ;   in Loop: Header=BB296_998 Depth=1
	s_delay_alu instid0(SALU_CYCLE_1)
	s_or_b32 exec_lo, exec_lo, s16
.LBB296_1962:                           ;   in Loop: Header=BB296_998 Depth=1
	s_delay_alu instid0(SALU_CYCLE_1) | instskip(SKIP_3) | instid1(VALU_DEP_2)
	s_or_b32 exec_lo, exec_lo, s15
	v_lshrrev_b16 v6, 8, v6
	v_mov_b32_e32 v32, 0
	s_mov_b32 s15, exec_lo
	v_cmpx_ne_u16_e32 0, v6
	s_cbranch_execz .LBB296_1970
; %bb.1963:                             ;   in Loop: Header=BB296_998 Depth=1
	v_bfrev_b32_e32 v32, 1
	s_mov_b32 s16, exec_lo
	v_cmpx_ne_u16_e32 0x80, v6
	s_cbranch_execz .LBB296_1969
; %bb.1964:                             ;   in Loop: Header=BB296_998 Depth=1
	v_and_b32_e32 v33, 0xffff, v6
	v_mov_b32_e32 v32, 0x7c010000
	s_mov_b32 s17, exec_lo
	s_delay_alu instid0(VALU_DEP_2) | instskip(NEXT) | instid1(VALU_DEP_1)
	v_and_b32_e32 v35, 0x7f, v33
	v_cmpx_ne_u32_e32 0x7f, v35
	s_cbranch_execz .LBB296_1968
; %bb.1965:                             ;   in Loop: Header=BB296_998 Depth=1
	v_dual_lshrrev_b32 v34, 3, v35 :: v_dual_bitop2_b32 v32, 7, v33 bitop3:0x40
	s_mov_b32 s18, exec_lo
	v_cmpx_gt_u32_e32 8, v35
; %bb.1966:                             ;   in Loop: Header=BB296_998 Depth=1
	s_delay_alu instid0(VALU_DEP_2) | instskip(NEXT) | instid1(VALU_DEP_1)
	v_clz_i32_u32_e32 v32, v32
	v_min_u32_e32 v32, 32, v32
	s_delay_alu instid0(VALU_DEP_1) | instskip(NEXT) | instid1(VALU_DEP_1)
	v_subrev_nc_u32_e32 v34, 28, v32
	v_lshlrev_b64_e32 v[36:37], v34, v[6:7]
	v_sub_nc_u32_e32 v34, 29, v32
	s_delay_alu instid0(VALU_DEP_2)
	v_and_b32_e32 v32, 7, v36
; %bb.1967:                             ;   in Loop: Header=BB296_998 Depth=1
	s_or_b32 exec_lo, exec_lo, s18
	s_delay_alu instid0(VALU_DEP_1) | instskip(NEXT) | instid1(VALU_DEP_3)
	v_dual_lshlrev_b32 v6, 8, v33 :: v_dual_lshlrev_b32 v32, 23, v32
	v_lshl_add_u32 v33, v34, 10, 0x2000
	s_delay_alu instid0(VALU_DEP_1) | instskip(NEXT) | instid1(VALU_DEP_1)
	v_and_or_b32 v6, 0x8000, v6, v33
	v_lshl_or_b32 v32, v6, 16, v32
.LBB296_1968:                           ;   in Loop: Header=BB296_998 Depth=1
	s_or_b32 exec_lo, exec_lo, s17
.LBB296_1969:                           ;   in Loop: Header=BB296_998 Depth=1
	s_delay_alu instid0(SALU_CYCLE_1)
	s_or_b32 exec_lo, exec_lo, s16
.LBB296_1970:                           ;   in Loop: Header=BB296_998 Depth=1
	s_delay_alu instid0(SALU_CYCLE_1) | instskip(SKIP_2) | instid1(VALU_DEP_1)
	s_or_b32 exec_lo, exec_lo, s15
	v_lshrrev_b32_e32 v6, 16, v31
	s_mov_b32 s15, exec_lo
	v_and_b32_e32 v33, 0xff, v6
	s_delay_alu instid0(VALU_DEP_1)
	v_cmpx_ne_u16_e32 0, v33
	s_cbranch_execz .LBB296_1978
; %bb.1971:                             ;   in Loop: Header=BB296_998 Depth=1
	v_mov_b32_e32 v23, 0x8000
	s_mov_b32 s16, exec_lo
	v_cmpx_ne_u16_e32 0x80, v33
	s_cbranch_execz .LBB296_1977
; %bb.1972:                             ;   in Loop: Header=BB296_998 Depth=1
	v_bfe_u32 v34, v31, 16, 7
	v_mov_b32_e32 v23, 0x7c01
	s_mov_b32 s17, exec_lo
	s_delay_alu instid0(VALU_DEP_2)
	v_cmpx_ne_u32_e32 0x7f, v34
	s_cbranch_execz .LBB296_1976
; %bb.1973:                             ;   in Loop: Header=BB296_998 Depth=1
	v_and_b32_e32 v23, 7, v6
	v_lshrrev_b32_e32 v33, 3, v34
	s_mov_b32 s18, exec_lo
	v_cmpx_gt_u32_e32 8, v34
; %bb.1974:                             ;   in Loop: Header=BB296_998 Depth=1
	s_delay_alu instid0(VALU_DEP_3) | instskip(NEXT) | instid1(VALU_DEP_1)
	v_clz_i32_u32_e32 v23, v23
	v_min_u32_e32 v23, 32, v23
	s_delay_alu instid0(VALU_DEP_1) | instskip(NEXT) | instid1(VALU_DEP_1)
	v_subrev_nc_u32_e32 v33, 28, v23
	v_lshlrev_b64_e32 v[34:35], v33, v[6:7]
	s_delay_alu instid0(VALU_DEP_1)
	v_dual_sub_nc_u32 v33, 29, v23 :: v_dual_bitop2_b32 v23, 7, v34 bitop3:0x40
; %bb.1975:                             ;   in Loop: Header=BB296_998 Depth=1
	s_or_b32 exec_lo, exec_lo, s18
	s_delay_alu instid0(VALU_DEP_1) | instskip(NEXT) | instid1(VALU_DEP_2)
	v_dual_lshlrev_b32 v6, 8, v6 :: v_dual_lshlrev_b32 v23, 7, v23
	v_lshl_add_u32 v33, v33, 10, 0x2000
	s_delay_alu instid0(VALU_DEP_2) | instskip(NEXT) | instid1(VALU_DEP_2)
	v_and_b32_e32 v6, 0x8000, v6
	v_and_b32_e32 v33, 0xfc00, v33
	s_delay_alu instid0(VALU_DEP_1)
	v_or3_b32 v23, v6, v33, v23
.LBB296_1976:                           ;   in Loop: Header=BB296_998 Depth=1
	s_or_b32 exec_lo, exec_lo, s17
.LBB296_1977:                           ;   in Loop: Header=BB296_998 Depth=1
	s_delay_alu instid0(SALU_CYCLE_1)
	s_or_b32 exec_lo, exec_lo, s16
.LBB296_1978:                           ;   in Loop: Header=BB296_998 Depth=1
	s_delay_alu instid0(SALU_CYCLE_1)
	s_or_b32 exec_lo, exec_lo, s15
	v_cmp_lt_u64_e64 s0, s[2:3], v[30:31]
	v_mov_b32_e32 v30, 0
	s_and_saveexec_b32 s15, s0
	s_cbranch_execz .LBB296_1986
; %bb.1979:                             ;   in Loop: Header=BB296_998 Depth=1
	v_lshrrev_b32_e32 v6, 24, v31
	v_bfrev_b32_e32 v30, 1
	s_mov_b32 s16, exec_lo
	s_delay_alu instid0(VALU_DEP_2)
	v_cmpx_ne_u32_e32 0x80, v6
	s_cbranch_execz .LBB296_1985
; %bb.1980:                             ;   in Loop: Header=BB296_998 Depth=1
	v_and_b32_e32 v33, 0x7f, v6
	v_mov_b32_e32 v30, 0x7c010000
	s_mov_b32 s17, exec_lo
	s_delay_alu instid0(VALU_DEP_2)
	v_cmpx_ne_u32_e32 0x7f, v33
	s_cbranch_execz .LBB296_1984
; %bb.1981:                             ;   in Loop: Header=BB296_998 Depth=1
	v_dual_lshrrev_b32 v31, 3, v33 :: v_dual_bitop2_b32 v30, 7, v6 bitop3:0x40
	s_mov_b32 s18, exec_lo
	v_cmpx_gt_u32_e32 8, v33
; %bb.1982:                             ;   in Loop: Header=BB296_998 Depth=1
	s_delay_alu instid0(VALU_DEP_2) | instskip(NEXT) | instid1(VALU_DEP_1)
	v_clz_i32_u32_e32 v30, v30
	v_min_u32_e32 v33, 32, v30
	s_delay_alu instid0(VALU_DEP_1) | instskip(NEXT) | instid1(VALU_DEP_1)
	v_subrev_nc_u32_e32 v30, 28, v33
	v_lshlrev_b64_e32 v[30:31], v30, v[6:7]
	s_delay_alu instid0(VALU_DEP_1)
	v_dual_sub_nc_u32 v31, 29, v33 :: v_dual_bitop2_b32 v30, 7, v30 bitop3:0x40
; %bb.1983:                             ;   in Loop: Header=BB296_998 Depth=1
	s_or_b32 exec_lo, exec_lo, s18
	v_lshlrev_b32_e32 v6, 8, v6
	s_delay_alu instid0(VALU_DEP_2) | instskip(NEXT) | instid1(VALU_DEP_3)
	v_lshl_add_u32 v31, v31, 10, 0x2000
	v_lshlrev_b32_e32 v30, 23, v30
	s_delay_alu instid0(VALU_DEP_2) | instskip(NEXT) | instid1(VALU_DEP_1)
	v_and_or_b32 v6, 0x8000, v6, v31
	v_lshl_or_b32 v30, v6, 16, v30
.LBB296_1984:                           ;   in Loop: Header=BB296_998 Depth=1
	s_or_b32 exec_lo, exec_lo, s17
.LBB296_1985:                           ;   in Loop: Header=BB296_998 Depth=1
	s_delay_alu instid0(SALU_CYCLE_1)
	s_or_b32 exec_lo, exec_lo, s16
.LBB296_1986:                           ;   in Loop: Header=BB296_998 Depth=1
	s_delay_alu instid0(SALU_CYCLE_1) | instskip(SKIP_3) | instid1(VALU_DEP_3)
	s_or_b32 exec_lo, exec_lo, s15
	v_dual_lshrrev_b32 v6, 16, v1 :: v_dual_lshrrev_b32 v31, 16, v18
	v_or_b32_e32 v1, v1, v15
	v_dual_lshrrev_b32 v33, 16, v30 :: v_dual_bitop2_b32 v15, v18, v19 bitop3:0x54
	v_cvt_f32_f16_e32 v19, v6
	s_delay_alu instid0(VALU_DEP_4) | instskip(SKIP_1) | instid1(VALU_DEP_4)
	v_cvt_f32_f16_e32 v18, v31
	v_dual_lshrrev_b32 v23, 16, v32 :: v_dual_bitop2_b32 v6, v30, v23 bitop3:0x54
	v_cvt_f32_f16_e32 v30, v15
	v_cvt_f32_f16_e32 v31, v1
	s_wait_loadcnt_dscnt 0x0
	v_pk_mul_f32 v[18:19], v[14:15], v[18:19] op_sel_hi:[0,1]
	v_or_b32_e32 v15, v32, v22
	v_cvt_f32_f16_e32 v23, v23
	v_cvt_f32_f16_e32 v22, v33
	s_delay_alu instid0(VALU_DEP_4) | instskip(NEXT) | instid1(VALU_DEP_4)
	v_cvt_pk_f16_f32 v1, v18, v19
	v_cvt_f32_f16_e32 v33, v15
	v_pk_mul_f32 v[30:31], v[14:15], v[30:31] op_sel_hi:[0,1]
	s_delay_alu instid0(VALU_DEP_4) | instskip(NEXT) | instid1(VALU_DEP_4)
	v_pk_mul_f32 v[18:19], v[14:15], v[22:23] op_sel_hi:[0,1]
	v_lshlrev_b32_e32 v34, 16, v1
	v_cvt_f32_f16_e32 v32, v6
	s_delay_alu instid0(VALU_DEP_4) | instskip(SKIP_2) | instid1(VALU_DEP_4)
	v_cvt_pk_f16_f32 v6, v30, v31
	v_and_b32_e32 v35, 0xffff0000, v1
	v_cvt_pk_f16_f32 v18, v18, v19
	v_pk_mul_f32 v[14:15], v[14:15], v[32:33] op_sel_hi:[0,1]
	s_delay_alu instid0(VALU_DEP_4) | instskip(SKIP_1) | instid1(VALU_DEP_4)
	v_and_b32_e32 v36, 0xffff, v6
	v_lshrrev_b32_e32 v37, 16, v6
	v_and_b32_e32 v31, 0xffff0000, v18
	s_delay_alu instid0(VALU_DEP_4) | instskip(NEXT) | instid1(VALU_DEP_4)
	v_cvt_pk_f16_f32 v1, v14, v15
	v_dual_lshlrev_b32 v30, 16, v18 :: v_dual_bitop2_b32 v14, v34, v36 bitop3:0x54
	s_delay_alu instid0(VALU_DEP_4) | instskip(NEXT) | instid1(VALU_DEP_3)
	v_or_b32_e32 v19, v35, v37
	v_lshrrev_b32_e32 v33, 16, v1
	v_and_b32_e32 v32, 0xffff, v1
	s_delay_alu instid0(VALU_DEP_2) | instskip(NEXT) | instid1(VALU_DEP_2)
	v_or_b32_e32 v15, v31, v33
	v_or_b32_e32 v6, v30, v32
	s_and_saveexec_b32 s0, vcc_lo
	s_cbranch_execz .LBB296_997
; %bb.1987:                             ;   in Loop: Header=BB296_998 Depth=1
	v_cmp_lt_i32_e32 vcc_lo, v53, v13
	v_cndmask_b32_e32 v1, 0, v37, vcc_lo
	v_cmp_lt_i32_e32 vcc_lo, v69, v58
	v_cndmask_b32_e32 v6, 0, v36, vcc_lo
	;; [unrolled: 2-line block ×4, first 2 shown]
	v_cmp_lt_i32_e32 vcc_lo, v66, v13
	s_delay_alu instid0(VALU_DEP_4) | instskip(NEXT) | instid1(VALU_DEP_3)
	v_or_b32_e32 v19, v1, v14
	v_dual_cndmask_b32 v18, 0, v33, vcc_lo :: v_dual_bitop2_b32 v14, v6, v15 bitop3:0x54
	v_cmp_lt_i32_e32 vcc_lo, v65, v58
	v_cndmask_b32_e32 v22, 0, v32, vcc_lo
	v_cmp_lt_i32_e32 vcc_lo, v64, v13
	v_cndmask_b32_e32 v23, 0, v31, vcc_lo
	v_cmp_lt_i32_e32 vcc_lo, v0, v58
	s_delay_alu instid0(VALU_DEP_2) | instskip(NEXT) | instid1(VALU_DEP_1)
	v_dual_cndmask_b32 v0, 0, v30, vcc_lo :: v_dual_bitop2_b32 v15, v18, v23 bitop3:0x54
	v_or_b32_e32 v6, v22, v0
	s_branch .LBB296_997
.LBB296_1988:
	s_or_b32 exec_lo, exec_lo, s14
	v_mov_b64_e32 v[30:31], s[6:7]
.LBB296_1989:
	s_or_b32 exec_lo, exec_lo, s1
	ds_bpermute_b32 v14, v49, v20
	ds_bpermute_b32 v15, v49, v21
	;; [unrolled: 1-line block ×4, first 2 shown]
	v_lshl_add_u64 v[0:1], v[30:31], 2, s[8:9]
	s_wait_storecnt_dscnt 0x0
	s_barrier_signal -1
	s_barrier_wait -1
	global_load_b32 v0, v[0:1], off
	ds_bpermute_b32 v6, v49, v28
	ds_bpermute_b32 v7, v49, v29
	;; [unrolled: 1-line block ×10, first 2 shown]
	s_wait_xcnt 0x0
	ds_bpermute_b32 v1, v49, v51
	v_pk_add_f32 v[20:21], v[20:21], v[14:15]
	s_mov_b32 s0, exec_lo
	v_pk_add_f32 v[30:31], v[8:9], v[16:17]
	scratch_load_b32 v17, off, s32 offset:332 ; 4-byte Folded Reload
	ds_bpermute_b32 v8, v48, v20
	ds_bpermute_b32 v9, v48, v21
	s_wait_dscnt 0xb
	v_pk_add_f32 v[6:7], v[28:29], v[6:7]
	s_wait_dscnt 0x9
	v_pk_add_f32 v[10:11], v[26:27], v[10:11]
	;; [unrolled: 2-line block ×3, first 2 shown]
	ds_bpermute_b32 v26, v48, v6
	s_wait_dscnt 0x6
	v_pk_add_f32 v[4:5], v[4:5], v[18:19]
	ds_bpermute_b32 v27, v48, v7
	s_wait_dscnt 0x5
	v_pk_add_f32 v[2:3], v[2:3], v[22:23]
	ds_bpermute_b32 v12, v48, v10
	ds_bpermute_b32 v13, v48, v11
	;; [unrolled: 1-line block ×7, first 2 shown]
	s_wait_dscnt 0x9
	v_pk_add_f32 v[8:9], v[20:21], v[8:9]
	scratch_load_b32 v21, off, s32 offset:340 ; 4-byte Folded Reload
	ds_bpermute_b32 v23, v48, v5
	ds_bpermute_b32 v32, v48, v2
	;; [unrolled: 1-line block ×3, first 2 shown]
	v_add_f32_e32 v1, v51, v1
	ds_bpermute_b32 v16, v48, v1
	s_wait_dscnt 0xb
	v_pk_add_f32 v[14:15], v[6:7], v[26:27]
	s_wait_dscnt 0x9
	v_pk_add_f32 v[12:13], v[10:11], v[12:13]
	;; [unrolled: 2-line block ×6, first 2 shown]
	s_wait_loadcnt 0x1
	v_and_b32_e32 v17, 28, v17
	s_wait_loadcnt 0x0
	v_and_b32_e32 v20, 0x3c3, v21
	s_delay_alu instid0(VALU_DEP_1) | instskip(SKIP_1) | instid1(SALU_CYCLE_1)
	v_cmpx_ne_u32_e32 64, v20
	s_xor_b32 s0, exec_lo, s0
	s_or_saveexec_b32 s0, s0
	s_wait_dscnt 0x0
	v_add_f32_e32 v18, v1, v16
	scratch_load_b32 v1, off, s32 offset:332 th:TH_LOAD_LU ; 4-byte Folded Reload
	s_wait_loadcnt 0x0
	v_lshrrev_b32_e32 v16, 2, v1
	v_add_nc_u32_e32 v1, v0, v17
	scratch_load_b32 v17, off, s32 offset:336 th:TH_LOAD_LU ; 4-byte Folded Reload
	s_wait_loadcnt 0x0
	v_mul_u32_u24_e32 v17, 0x1e0, v17
	s_xor_b32 exec_lo, exec_lo, s0
	s_cbranch_execz .LBB296_1991
; %bb.1990:
	s_delay_alu instid0(VALU_DEP_1) | instskip(NEXT) | instid1(VALU_DEP_1)
	v_add_nc_u32_e32 v19, v1, v17
	v_add_nc_u32_e32 v20, 0xfffffc40, v19
	;; [unrolled: 1-line block ×9, first 2 shown]
	ds_store_b32 v20, v14
	ds_store_b32 v21, v15
	;; [unrolled: 1-line block ×8, first 2 shown]
	v_add_nc_u32_e32 v20, 0xfffffd40, v19
	v_add_nc_u32_e32 v21, 0xfffffd60, v19
	;; [unrolled: 1-line block ×5, first 2 shown]
	ds_store_b32 v20, v6
	ds_store_b32 v21, v7
	ds_store_b32 v22, v4
	ds_store_b32 v23, v5
	ds_store_b32 v24, v2
	scratch_load_b32 v21, off, s32 offset:340 ; 4-byte Folded Reload
	v_add_nc_u32_e32 v25, 0xfffffde0, v19
	v_add_nc_u32_e32 v19, 0xfffffe00, v19
	ds_store_b32 v25, v3
	ds_store_b32 v19, v18
.LBB296_1991:
	s_wait_xcnt 0x0
	s_or_b32 exec_lo, exec_lo, s0
	v_lshlrev_b32_e32 v16, 2, v16
	s_mov_b32 s1, exec_lo
	v_cmp_eq_u32_e32 vcc_lo, 0, v50
	s_wait_loadcnt_dscnt 0x0
	s_barrier_signal -1
	v_add3_u32 v0, v0, v17, v16
	s_barrier_wait -1
	v_cmpx_gt_u32_e32 64, v21
	s_cbranch_execz .LBB296_2009
; %bb.1992:
	s_and_saveexec_b32 s0, vcc_lo
	s_cbranch_execnz .LBB296_2032
; %bb.1993:
	s_or_b32 exec_lo, exec_lo, s0
	s_and_saveexec_b32 s0, vcc_lo
	s_cbranch_execnz .LBB296_2033
.LBB296_1994:
	s_or_b32 exec_lo, exec_lo, s0
	s_and_saveexec_b32 s0, vcc_lo
	s_cbranch_execnz .LBB296_2034
.LBB296_1995:
	s_or_b32 exec_lo, exec_lo, s0
	s_and_saveexec_b32 s0, vcc_lo
	s_cbranch_execnz .LBB296_2035
.LBB296_1996:
	s_or_b32 exec_lo, exec_lo, s0
	s_and_saveexec_b32 s0, vcc_lo
	s_cbranch_execnz .LBB296_2036
.LBB296_1997:
	s_or_b32 exec_lo, exec_lo, s0
	s_and_saveexec_b32 s0, vcc_lo
	s_cbranch_execnz .LBB296_2037
.LBB296_1998:
	s_or_b32 exec_lo, exec_lo, s0
	s_and_saveexec_b32 s0, vcc_lo
	s_cbranch_execnz .LBB296_2038
.LBB296_1999:
	s_or_b32 exec_lo, exec_lo, s0
	s_and_saveexec_b32 s0, vcc_lo
	s_cbranch_execnz .LBB296_2039
.LBB296_2000:
	s_or_b32 exec_lo, exec_lo, s0
	s_and_saveexec_b32 s0, vcc_lo
	s_cbranch_execnz .LBB296_2040
.LBB296_2001:
	s_or_b32 exec_lo, exec_lo, s0
	s_and_saveexec_b32 s0, vcc_lo
	s_cbranch_execnz .LBB296_2041
.LBB296_2002:
	s_or_b32 exec_lo, exec_lo, s0
	s_and_saveexec_b32 s0, vcc_lo
	s_cbranch_execnz .LBB296_2042
.LBB296_2003:
	s_or_b32 exec_lo, exec_lo, s0
	s_and_saveexec_b32 s0, vcc_lo
	s_cbranch_execnz .LBB296_2043
.LBB296_2004:
	s_or_b32 exec_lo, exec_lo, s0
	s_and_saveexec_b32 s0, vcc_lo
	s_cbranch_execnz .LBB296_2044
.LBB296_2005:
	s_or_b32 exec_lo, exec_lo, s0
	s_and_saveexec_b32 s0, vcc_lo
	s_cbranch_execnz .LBB296_2045
.LBB296_2006:
	s_or_b32 exec_lo, exec_lo, s0
	s_and_saveexec_b32 s0, vcc_lo
	s_cbranch_execz .LBB296_2008
.LBB296_2007:
	ds_load_b32 v16, v0 offset:448
	s_wait_dscnt 0x0
	v_add_f32_e32 v18, v16, v18
.LBB296_2008:
	s_or_b32 exec_lo, exec_lo, s0
.LBB296_2009:
	s_delay_alu instid0(SALU_CYCLE_1) | instskip(SKIP_4) | instid1(VALU_DEP_1)
	s_or_b32 exec_lo, exec_lo, s1
	v_and_b32_e32 v16, 0x3e3, v21
	s_mov_b32 s1, exec_lo
	s_barrier_signal -1
	s_barrier_wait -1
	v_cmpx_eq_u32_e32 32, v16
	s_cbranch_execz .LBB296_2011
; %bb.2010:
	ds_store_2addr_b32 v1, v14, v15 offset1:8
	ds_store_2addr_b32 v1, v12, v13 offset0:16 offset1:24
	ds_store_2addr_b32 v1, v10, v11 offset0:32 offset1:40
	;; [unrolled: 1-line block ×6, first 2 shown]
	ds_store_b32 v1, v18 offset:448
.LBB296_2011:
	s_or_b32 exec_lo, exec_lo, s1
	s_delay_alu instid0(SALU_CYCLE_1)
	s_mov_b32 s1, exec_lo
	s_wait_dscnt 0x0
	s_barrier_signal -1
	s_barrier_wait -1
	v_cmpx_gt_u32_e32 32, v21
	s_cbranch_execz .LBB296_2029
; %bb.2012:
	s_and_saveexec_b32 s0, vcc_lo
	s_cbranch_execnz .LBB296_2046
; %bb.2013:
	s_or_b32 exec_lo, exec_lo, s0
	s_and_saveexec_b32 s0, vcc_lo
	s_cbranch_execnz .LBB296_2047
.LBB296_2014:
	s_or_b32 exec_lo, exec_lo, s0
	s_and_saveexec_b32 s0, vcc_lo
	s_cbranch_execnz .LBB296_2048
.LBB296_2015:
	s_or_b32 exec_lo, exec_lo, s0
	s_and_saveexec_b32 s0, vcc_lo
	s_cbranch_execnz .LBB296_2049
.LBB296_2016:
	s_or_b32 exec_lo, exec_lo, s0
	s_and_saveexec_b32 s0, vcc_lo
	s_cbranch_execnz .LBB296_2050
.LBB296_2017:
	s_or_b32 exec_lo, exec_lo, s0
	s_and_saveexec_b32 s0, vcc_lo
	s_cbranch_execnz .LBB296_2051
.LBB296_2018:
	s_or_b32 exec_lo, exec_lo, s0
	s_and_saveexec_b32 s0, vcc_lo
	s_cbranch_execnz .LBB296_2052
.LBB296_2019:
	s_or_b32 exec_lo, exec_lo, s0
	s_and_saveexec_b32 s0, vcc_lo
	s_cbranch_execnz .LBB296_2053
.LBB296_2020:
	s_or_b32 exec_lo, exec_lo, s0
	s_and_saveexec_b32 s0, vcc_lo
	s_cbranch_execnz .LBB296_2054
.LBB296_2021:
	s_or_b32 exec_lo, exec_lo, s0
	s_and_saveexec_b32 s0, vcc_lo
	s_cbranch_execnz .LBB296_2055
.LBB296_2022:
	s_or_b32 exec_lo, exec_lo, s0
	s_and_saveexec_b32 s0, vcc_lo
	s_cbranch_execnz .LBB296_2056
.LBB296_2023:
	s_or_b32 exec_lo, exec_lo, s0
	s_and_saveexec_b32 s0, vcc_lo
	s_cbranch_execnz .LBB296_2057
.LBB296_2024:
	s_or_b32 exec_lo, exec_lo, s0
	s_and_saveexec_b32 s0, vcc_lo
	s_cbranch_execnz .LBB296_2058
.LBB296_2025:
	s_or_b32 exec_lo, exec_lo, s0
	s_and_saveexec_b32 s0, vcc_lo
	s_cbranch_execnz .LBB296_2059
.LBB296_2026:
	s_or_b32 exec_lo, exec_lo, s0
	s_and_saveexec_b32 s0, vcc_lo
	s_cbranch_execz .LBB296_2028
.LBB296_2027:
	ds_load_b32 v0, v0 offset:448
	s_wait_dscnt 0x0
	v_add_f32_e32 v18, v0, v18
.LBB296_2028:
	s_or_b32 exec_lo, exec_lo, s0
.LBB296_2029:
	s_delay_alu instid0(SALU_CYCLE_1)
	s_or_b32 exec_lo, exec_lo, s1
	s_mov_b32 s1, 0
	s_mov_b32 s2, exec_lo
	s_barrier_signal -1
	s_barrier_wait -1
	v_cmpx_eq_u32_e32 0, v16
	s_cbranch_execz .LBB296_2031
; %bb.2030:
	scratch_load_b64 v[0:1], off, s32 offset:372 th:TH_LOAD_LU ; 8-byte Folded Reload
	s_and_b32 s0, 0xffff, s13
	v_dual_mov_b32 v17, 0 :: v_dual_lshrrev_b32 v16, 1, v21
	s_cmp_lg_u32 s0, 0
	;;#ASMSTART
	v_cvt_f16_f32 v14, v14;

	;;#ASMEND
	s_cselect_b32 s0, -1, 0
	s_delay_alu instid0(SALU_CYCLE_1)
	s_cmp_lg_u32 s0, 0
	s_wait_kmcnt 0x0
	s_add_co_ci_u32 s0, s5, 0
	s_bfe_u32 s8, ttmp6, 0x40014
	s_mul_i32 s5, s0, s11
	s_lshr_b32 s3, ttmp7, 16
	s_mul_i32 s5, s5, s12
	s_add_co_i32 s8, s8, 1
	s_mul_i32 s6, s5, 0x78
	s_bfe_u32 s9, ttmp6, 0x40008
	s_ashr_i32 s7, s6, 31
	s_mul_i32 s4, s4, s0
	s_mul_i32 s0, s3, s8
	s_ashr_i32 s5, s4, 31
	s_add_co_i32 s9, s9, s0
	s_cmp_eq_u32 s10, 0
	s_cselect_b32 s0, s3, s9
	s_delay_alu instid0(SALU_CYCLE_1) | instskip(SKIP_2) | instid1(VALU_DEP_1)
	s_mulk_i32 s0, 0xf0
	s_wait_loadcnt 0x0
	v_lshl_add_u64 v[0:1], s[6:7], 1, v[0:1]
	v_lshl_add_u64 v[0:1], s[4:5], 1, v[0:1]
	s_delay_alu instid0(VALU_DEP_1) | instskip(NEXT) | instid1(VALU_DEP_1)
	v_add_nc_u64_e32 v[0:1], s[0:1], v[0:1]
	v_add_nc_u64_e32 v[0:1], v[0:1], v[16:17]
	flat_store_b16 v[0:1], v14
	s_wait_xcnt 0x0
	;;#ASMSTART
	v_cvt_f16_f32 v14, v15;

	;;#ASMEND
	flat_store_b16 v[0:1], v14 offset:16
	;;#ASMSTART
	v_cvt_f16_f32 v12, v12;

	;;#ASMEND
	flat_store_b16 v[0:1], v12 offset:32
	s_wait_xcnt 0x0
	;;#ASMSTART
	v_cvt_f16_f32 v12, v13;

	;;#ASMEND
	flat_store_b16 v[0:1], v12 offset:48
	;;#ASMSTART
	v_cvt_f16_f32 v10, v10;

	;;#ASMEND
	flat_store_b16 v[0:1], v10 offset:64
	;; [unrolled: 11-line block ×6, first 2 shown]
	s_wait_xcnt 0x0
	;;#ASMSTART
	v_cvt_f16_f32 v2, v3;

	;;#ASMEND
	flat_store_b16 v[0:1], v2 offset:208
	s_wait_xcnt 0x0
	;;#ASMSTART
	v_cvt_f16_f32 v2, v18;

	;;#ASMEND
	flat_store_b16 v[0:1], v2 offset:224
.LBB296_2031:
	s_wait_xcnt 0x0
	s_or_b32 exec_lo, exec_lo, s2
	s_clause 0x2f
	scratch_load_b32 v127, off, s32
	scratch_load_b32 v126, off, s32 offset:4
	scratch_load_b32 v125, off, s32 offset:8
	;; [unrolled: 1-line block ×47, first 2 shown]
	s_wait_loadcnt_dscnt 0x0
	s_wait_kmcnt 0x0
	s_set_pc_i64 s[30:31]
.LBB296_2032:
	ds_load_b32 v16, v0
	s_wait_dscnt 0x0
	v_add_f32_e32 v14, v16, v14
	s_or_b32 exec_lo, exec_lo, s0
	s_and_saveexec_b32 s0, vcc_lo
	s_cbranch_execz .LBB296_1994
.LBB296_2033:
	ds_load_b32 v16, v0 offset:32
	s_wait_dscnt 0x0
	v_add_f32_e32 v15, v16, v15
	s_or_b32 exec_lo, exec_lo, s0
	s_and_saveexec_b32 s0, vcc_lo
	s_cbranch_execz .LBB296_1995
.LBB296_2034:
	ds_load_b32 v16, v0 offset:64
	s_wait_dscnt 0x0
	v_add_f32_e32 v12, v16, v12
	s_or_b32 exec_lo, exec_lo, s0
	s_and_saveexec_b32 s0, vcc_lo
	s_cbranch_execz .LBB296_1996
.LBB296_2035:
	ds_load_b32 v16, v0 offset:96
	s_wait_dscnt 0x0
	v_add_f32_e32 v13, v16, v13
	s_or_b32 exec_lo, exec_lo, s0
	s_and_saveexec_b32 s0, vcc_lo
	s_cbranch_execz .LBB296_1997
.LBB296_2036:
	ds_load_b32 v16, v0 offset:128
	s_wait_dscnt 0x0
	v_add_f32_e32 v10, v16, v10
	s_or_b32 exec_lo, exec_lo, s0
	s_and_saveexec_b32 s0, vcc_lo
	s_cbranch_execz .LBB296_1998
.LBB296_2037:
	ds_load_b32 v16, v0 offset:160
	s_wait_dscnt 0x0
	v_add_f32_e32 v11, v16, v11
	s_or_b32 exec_lo, exec_lo, s0
	s_and_saveexec_b32 s0, vcc_lo
	s_cbranch_execz .LBB296_1999
.LBB296_2038:
	ds_load_b32 v16, v0 offset:192
	s_wait_dscnt 0x0
	v_add_f32_e32 v8, v16, v8
	s_or_b32 exec_lo, exec_lo, s0
	s_and_saveexec_b32 s0, vcc_lo
	s_cbranch_execz .LBB296_2000
.LBB296_2039:
	ds_load_b32 v16, v0 offset:224
	s_wait_dscnt 0x0
	v_add_f32_e32 v9, v16, v9
	s_or_b32 exec_lo, exec_lo, s0
	s_and_saveexec_b32 s0, vcc_lo
	s_cbranch_execz .LBB296_2001
.LBB296_2040:
	ds_load_b32 v16, v0 offset:256
	s_wait_dscnt 0x0
	v_add_f32_e32 v6, v16, v6
	s_or_b32 exec_lo, exec_lo, s0
	s_and_saveexec_b32 s0, vcc_lo
	s_cbranch_execz .LBB296_2002
.LBB296_2041:
	ds_load_b32 v16, v0 offset:288
	s_wait_dscnt 0x0
	v_add_f32_e32 v7, v16, v7
	s_or_b32 exec_lo, exec_lo, s0
	s_and_saveexec_b32 s0, vcc_lo
	s_cbranch_execz .LBB296_2003
.LBB296_2042:
	ds_load_b32 v16, v0 offset:320
	s_wait_dscnt 0x0
	v_add_f32_e32 v4, v16, v4
	s_or_b32 exec_lo, exec_lo, s0
	s_and_saveexec_b32 s0, vcc_lo
	s_cbranch_execz .LBB296_2004
.LBB296_2043:
	ds_load_b32 v16, v0 offset:352
	s_wait_dscnt 0x0
	v_add_f32_e32 v5, v16, v5
	s_or_b32 exec_lo, exec_lo, s0
	s_and_saveexec_b32 s0, vcc_lo
	s_cbranch_execz .LBB296_2005
.LBB296_2044:
	ds_load_b32 v16, v0 offset:384
	s_wait_dscnt 0x0
	v_add_f32_e32 v2, v16, v2
	s_or_b32 exec_lo, exec_lo, s0
	s_and_saveexec_b32 s0, vcc_lo
	s_cbranch_execz .LBB296_2006
.LBB296_2045:
	ds_load_b32 v16, v0 offset:416
	s_wait_dscnt 0x0
	v_add_f32_e32 v3, v16, v3
	s_or_b32 exec_lo, exec_lo, s0
	s_and_saveexec_b32 s0, vcc_lo
	s_cbranch_execnz .LBB296_2007
	s_branch .LBB296_2008
.LBB296_2046:
	ds_load_b32 v1, v0
	s_wait_dscnt 0x0
	v_add_f32_e32 v14, v1, v14
	s_or_b32 exec_lo, exec_lo, s0
	s_and_saveexec_b32 s0, vcc_lo
	s_cbranch_execz .LBB296_2014
.LBB296_2047:
	ds_load_b32 v1, v0 offset:32
	s_wait_dscnt 0x0
	v_add_f32_e32 v15, v1, v15
	s_or_b32 exec_lo, exec_lo, s0
	s_and_saveexec_b32 s0, vcc_lo
	s_cbranch_execz .LBB296_2015
.LBB296_2048:
	ds_load_b32 v1, v0 offset:64
	s_wait_dscnt 0x0
	v_add_f32_e32 v12, v1, v12
	s_or_b32 exec_lo, exec_lo, s0
	s_and_saveexec_b32 s0, vcc_lo
	s_cbranch_execz .LBB296_2016
.LBB296_2049:
	ds_load_b32 v1, v0 offset:96
	s_wait_dscnt 0x0
	v_add_f32_e32 v13, v1, v13
	s_or_b32 exec_lo, exec_lo, s0
	s_and_saveexec_b32 s0, vcc_lo
	s_cbranch_execz .LBB296_2017
.LBB296_2050:
	ds_load_b32 v1, v0 offset:128
	s_wait_dscnt 0x0
	v_add_f32_e32 v10, v1, v10
	s_or_b32 exec_lo, exec_lo, s0
	s_and_saveexec_b32 s0, vcc_lo
	s_cbranch_execz .LBB296_2018
.LBB296_2051:
	ds_load_b32 v1, v0 offset:160
	s_wait_dscnt 0x0
	v_add_f32_e32 v11, v1, v11
	s_or_b32 exec_lo, exec_lo, s0
	s_and_saveexec_b32 s0, vcc_lo
	s_cbranch_execz .LBB296_2019
.LBB296_2052:
	ds_load_b32 v1, v0 offset:192
	s_wait_dscnt 0x0
	v_add_f32_e32 v8, v1, v8
	s_or_b32 exec_lo, exec_lo, s0
	s_and_saveexec_b32 s0, vcc_lo
	s_cbranch_execz .LBB296_2020
.LBB296_2053:
	ds_load_b32 v1, v0 offset:224
	s_wait_dscnt 0x0
	v_add_f32_e32 v9, v1, v9
	s_or_b32 exec_lo, exec_lo, s0
	s_and_saveexec_b32 s0, vcc_lo
	s_cbranch_execz .LBB296_2021
.LBB296_2054:
	ds_load_b32 v1, v0 offset:256
	s_wait_dscnt 0x0
	v_add_f32_e32 v6, v1, v6
	s_or_b32 exec_lo, exec_lo, s0
	s_and_saveexec_b32 s0, vcc_lo
	s_cbranch_execz .LBB296_2022
.LBB296_2055:
	ds_load_b32 v1, v0 offset:288
	s_wait_dscnt 0x0
	v_add_f32_e32 v7, v1, v7
	s_or_b32 exec_lo, exec_lo, s0
	s_and_saveexec_b32 s0, vcc_lo
	s_cbranch_execz .LBB296_2023
.LBB296_2056:
	ds_load_b32 v1, v0 offset:320
	s_wait_dscnt 0x0
	v_add_f32_e32 v4, v1, v4
	s_or_b32 exec_lo, exec_lo, s0
	s_and_saveexec_b32 s0, vcc_lo
	s_cbranch_execz .LBB296_2024
.LBB296_2057:
	ds_load_b32 v1, v0 offset:352
	s_wait_dscnt 0x0
	v_add_f32_e32 v5, v1, v5
	s_or_b32 exec_lo, exec_lo, s0
	s_and_saveexec_b32 s0, vcc_lo
	s_cbranch_execz .LBB296_2025
.LBB296_2058:
	ds_load_b32 v1, v0 offset:384
	s_wait_dscnt 0x0
	v_add_f32_e32 v2, v1, v2
	s_or_b32 exec_lo, exec_lo, s0
	s_and_saveexec_b32 s0, vcc_lo
	s_cbranch_execz .LBB296_2026
.LBB296_2059:
	ds_load_b32 v1, v0 offset:416
	s_wait_dscnt 0x0
	v_add_f32_e32 v3, v1, v3
	s_or_b32 exec_lo, exec_lo, s0
	s_and_saveexec_b32 s0, vcc_lo
	s_cbranch_execnz .LBB296_2027
	s_branch .LBB296_2028
.Lfunc_end296:
	.size	_ZN4vllm22paged_attention_kernelIthLi120ELi32ELi128ELNS_18Fp8KVCacheDataTypeE1ELb0ELi0EEEvPfS2_PT_PKS3_PKT0_S9_ifPKiSB_iPKfiiiSD_SD_iiiii, .Lfunc_end296-_ZN4vllm22paged_attention_kernelIthLi120ELi32ELi128ELNS_18Fp8KVCacheDataTypeE1ELb0ELi0EEEvPfS2_PT_PKS3_PKT0_S9_ifPKiSB_iPKfiiiSD_SD_iiiii
                                        ; -- End function
	.set .L_ZN4vllm22paged_attention_kernelIthLi120ELi32ELi128ELNS_18Fp8KVCacheDataTypeE1ELb0ELi0EEEvPfS2_PT_PKS3_PKT0_S9_ifPKiSB_iPKfiiiSD_SD_iiiii.num_vgpr, 128
	.set .L_ZN4vllm22paged_attention_kernelIthLi120ELi32ELi128ELNS_18Fp8KVCacheDataTypeE1ELb0ELi0EEEvPfS2_PT_PKS3_PKT0_S9_ifPKiSB_iPKfiiiSD_SD_iiiii.num_agpr, 0
	.set .L_ZN4vllm22paged_attention_kernelIthLi120ELi32ELi128ELNS_18Fp8KVCacheDataTypeE1ELb0ELi0EEEvPfS2_PT_PKS3_PKT0_S9_ifPKiSB_iPKfiiiSD_SD_iiiii.numbered_sgpr, 33
	.set .L_ZN4vllm22paged_attention_kernelIthLi120ELi32ELi128ELNS_18Fp8KVCacheDataTypeE1ELb0ELi0EEEvPfS2_PT_PKS3_PKT0_S9_ifPKiSB_iPKfiiiSD_SD_iiiii.num_named_barrier, 0
	.set .L_ZN4vllm22paged_attention_kernelIthLi120ELi32ELi128ELNS_18Fp8KVCacheDataTypeE1ELb0ELi0EEEvPfS2_PT_PKS3_PKT0_S9_ifPKiSB_iPKfiiiSD_SD_iiiii.private_seg_size, 396
	.set .L_ZN4vllm22paged_attention_kernelIthLi120ELi32ELi128ELNS_18Fp8KVCacheDataTypeE1ELb0ELi0EEEvPfS2_PT_PKS3_PKT0_S9_ifPKiSB_iPKfiiiSD_SD_iiiii.uses_vcc, 1
	.set .L_ZN4vllm22paged_attention_kernelIthLi120ELi32ELi128ELNS_18Fp8KVCacheDataTypeE1ELb0ELi0EEEvPfS2_PT_PKS3_PKT0_S9_ifPKiSB_iPKfiiiSD_SD_iiiii.uses_flat_scratch, 1
	.set .L_ZN4vllm22paged_attention_kernelIthLi120ELi32ELi128ELNS_18Fp8KVCacheDataTypeE1ELb0ELi0EEEvPfS2_PT_PKS3_PKT0_S9_ifPKiSB_iPKfiiiSD_SD_iiiii.has_dyn_sized_stack, 0
	.set .L_ZN4vllm22paged_attention_kernelIthLi120ELi32ELi128ELNS_18Fp8KVCacheDataTypeE1ELb0ELi0EEEvPfS2_PT_PKS3_PKT0_S9_ifPKiSB_iPKfiiiSD_SD_iiiii.has_recursion, 0
	.set .L_ZN4vllm22paged_attention_kernelIthLi120ELi32ELi128ELNS_18Fp8KVCacheDataTypeE1ELb0ELi0EEEvPfS2_PT_PKS3_PKT0_S9_ifPKiSB_iPKfiiiSD_SD_iiiii.has_indirect_call, 0
	.section	.AMDGPU.csdata,"",@progbits
; Function info:
; codeLenInByte = 80944
; TotalNumSgprs: 35
; NumVgprs: 128
; ScratchSize: 396
; MemoryBound: 0
	.section	.text._ZN4vllm25paged_attention_v1_kernelIthLi120ELi32ELi128ELNS_18Fp8KVCacheDataTypeE1ELb0EEEvPT_PKS2_PKT0_S8_ifPKiSA_iPKfiiiSC_SC_iiiii,"axG",@progbits,_ZN4vllm25paged_attention_v1_kernelIthLi120ELi32ELi128ELNS_18Fp8KVCacheDataTypeE1ELb0EEEvPT_PKS2_PKT0_S8_ifPKiSA_iPKfiiiSC_SC_iiiii,comdat
	.protected	_ZN4vllm25paged_attention_v1_kernelIthLi120ELi32ELi128ELNS_18Fp8KVCacheDataTypeE1ELb0EEEvPT_PKS2_PKT0_S8_ifPKiSA_iPKfiiiSC_SC_iiiii ; -- Begin function _ZN4vllm25paged_attention_v1_kernelIthLi120ELi32ELi128ELNS_18Fp8KVCacheDataTypeE1ELb0EEEvPT_PKS2_PKT0_S8_ifPKiSA_iPKfiiiSC_SC_iiiii
	.globl	_ZN4vllm25paged_attention_v1_kernelIthLi120ELi32ELi128ELNS_18Fp8KVCacheDataTypeE1ELb0EEEvPT_PKS2_PKT0_S8_ifPKiSA_iPKfiiiSC_SC_iiiii
	.p2align	8
	.type	_ZN4vllm25paged_attention_v1_kernelIthLi120ELi32ELi128ELNS_18Fp8KVCacheDataTypeE1ELb0EEEvPT_PKS2_PKT0_S8_ifPKiSA_iPKfiiiSC_SC_iiiii,@function
_ZN4vllm25paged_attention_v1_kernelIthLi120ELi32ELi128ELNS_18Fp8KVCacheDataTypeE1ELb0EEEvPT_PKS2_PKT0_S8_ifPKiSA_iPKfiiiSC_SC_iiiii: ; @_ZN4vllm25paged_attention_v1_kernelIthLi120ELi32ELi128ELNS_18Fp8KVCacheDataTypeE1ELb0EEEvPT_PKS2_PKT0_S8_ifPKiSA_iPKfiiiSC_SC_iiiii
; %bb.0:
	s_clause 0x5
	s_load_b256 s[12:19], s[0:1], 0x0
	s_load_b128 s[4:7], s[0:1], 0x20
	s_load_b96 s[20:22], s[0:1], 0x30
	s_load_b64 s[10:11], s[0:1], 0x40
	s_load_b96 s[28:30], s[0:1], 0x48
	s_load_b128 s[24:27], s[0:1], 0x58
	v_mov_b32_e32 v31, v0
	s_get_pc_i64 s[2:3]
	s_add_nc_u64 s[2:3], s[2:3], _ZN4vllm22paged_attention_kernelIthLi120ELi32ELi128ELNS_18Fp8KVCacheDataTypeE1ELb0ELi0EEEvPfS2_PT_PKS3_PKT0_S9_ifPKiSB_iPKfiiiSD_SD_iiiii@rel64+4
	s_add_nc_u64 s[8:9], s[0:1], 0x80
	s_mov_b32 s32, 0
	s_wait_kmcnt 0x0
	v_dual_mov_b32 v0, s12 :: v_dual_mov_b32 v1, s13
	v_dual_mov_b32 v2, s14 :: v_dual_mov_b32 v3, s15
	;; [unrolled: 1-line block ×12, first 2 shown]
	s_mov_b32 s15, 36
	s_swap_pc_i64 s[30:31], s[2:3]
	s_endpgm
	.section	.rodata,"a",@progbits
	.p2align	6, 0x0
	.amdhsa_kernel _ZN4vllm25paged_attention_v1_kernelIthLi120ELi32ELi128ELNS_18Fp8KVCacheDataTypeE1ELb0EEEvPT_PKS2_PKT0_S8_ifPKiSA_iPKfiiiSC_SC_iiiii
		.amdhsa_group_segment_fixed_size 272
		.amdhsa_private_segment_fixed_size 396
		.amdhsa_kernarg_size 384
		.amdhsa_user_sgpr_count 2
		.amdhsa_user_sgpr_dispatch_ptr 0
		.amdhsa_user_sgpr_queue_ptr 0
		.amdhsa_user_sgpr_kernarg_segment_ptr 1
		.amdhsa_user_sgpr_dispatch_id 0
		.amdhsa_user_sgpr_kernarg_preload_length 0
		.amdhsa_user_sgpr_kernarg_preload_offset 0
		.amdhsa_user_sgpr_private_segment_size 0
		.amdhsa_wavefront_size32 1
		.amdhsa_uses_dynamic_stack 0
		.amdhsa_enable_private_segment 1
		.amdhsa_system_sgpr_workgroup_id_x 1
		.amdhsa_system_sgpr_workgroup_id_y 1
		.amdhsa_system_sgpr_workgroup_id_z 1
		.amdhsa_system_sgpr_workgroup_info 0
		.amdhsa_system_vgpr_workitem_id 0
		.amdhsa_next_free_vgpr 128
		.amdhsa_next_free_sgpr 33
		.amdhsa_named_barrier_count 0
		.amdhsa_reserve_vcc 1
		.amdhsa_float_round_mode_32 0
		.amdhsa_float_round_mode_16_64 0
		.amdhsa_float_denorm_mode_32 3
		.amdhsa_float_denorm_mode_16_64 3
		.amdhsa_fp16_overflow 0
		.amdhsa_memory_ordered 1
		.amdhsa_forward_progress 1
		.amdhsa_inst_pref_size 2
		.amdhsa_round_robin_scheduling 0
		.amdhsa_exception_fp_ieee_invalid_op 0
		.amdhsa_exception_fp_denorm_src 0
		.amdhsa_exception_fp_ieee_div_zero 0
		.amdhsa_exception_fp_ieee_overflow 0
		.amdhsa_exception_fp_ieee_underflow 0
		.amdhsa_exception_fp_ieee_inexact 0
		.amdhsa_exception_int_div_zero 0
	.end_amdhsa_kernel
	.section	.text._ZN4vllm25paged_attention_v1_kernelIthLi120ELi32ELi128ELNS_18Fp8KVCacheDataTypeE1ELb0EEEvPT_PKS2_PKT0_S8_ifPKiSA_iPKfiiiSC_SC_iiiii,"axG",@progbits,_ZN4vllm25paged_attention_v1_kernelIthLi120ELi32ELi128ELNS_18Fp8KVCacheDataTypeE1ELb0EEEvPT_PKS2_PKT0_S8_ifPKiSA_iPKfiiiSC_SC_iiiii,comdat
.Lfunc_end297:
	.size	_ZN4vllm25paged_attention_v1_kernelIthLi120ELi32ELi128ELNS_18Fp8KVCacheDataTypeE1ELb0EEEvPT_PKS2_PKT0_S8_ifPKiSA_iPKfiiiSC_SC_iiiii, .Lfunc_end297-_ZN4vllm25paged_attention_v1_kernelIthLi120ELi32ELi128ELNS_18Fp8KVCacheDataTypeE1ELb0EEEvPT_PKS2_PKT0_S8_ifPKiSA_iPKfiiiSC_SC_iiiii
                                        ; -- End function
	.set _ZN4vllm25paged_attention_v1_kernelIthLi120ELi32ELi128ELNS_18Fp8KVCacheDataTypeE1ELb0EEEvPT_PKS2_PKT0_S8_ifPKiSA_iPKfiiiSC_SC_iiiii.num_vgpr, max(32, .L_ZN4vllm22paged_attention_kernelIthLi120ELi32ELi128ELNS_18Fp8KVCacheDataTypeE1ELb0ELi0EEEvPfS2_PT_PKS3_PKT0_S9_ifPKiSB_iPKfiiiSD_SD_iiiii.num_vgpr)
	.set _ZN4vllm25paged_attention_v1_kernelIthLi120ELi32ELi128ELNS_18Fp8KVCacheDataTypeE1ELb0EEEvPT_PKS2_PKT0_S8_ifPKiSA_iPKfiiiSC_SC_iiiii.num_agpr, max(0, .L_ZN4vllm22paged_attention_kernelIthLi120ELi32ELi128ELNS_18Fp8KVCacheDataTypeE1ELb0ELi0EEEvPfS2_PT_PKS3_PKT0_S9_ifPKiSB_iPKfiiiSD_SD_iiiii.num_agpr)
	.set _ZN4vllm25paged_attention_v1_kernelIthLi120ELi32ELi128ELNS_18Fp8KVCacheDataTypeE1ELb0EEEvPT_PKS2_PKT0_S8_ifPKiSA_iPKfiiiSC_SC_iiiii.numbered_sgpr, max(33, .L_ZN4vllm22paged_attention_kernelIthLi120ELi32ELi128ELNS_18Fp8KVCacheDataTypeE1ELb0ELi0EEEvPfS2_PT_PKS3_PKT0_S9_ifPKiSB_iPKfiiiSD_SD_iiiii.numbered_sgpr)
	.set _ZN4vllm25paged_attention_v1_kernelIthLi120ELi32ELi128ELNS_18Fp8KVCacheDataTypeE1ELb0EEEvPT_PKS2_PKT0_S8_ifPKiSA_iPKfiiiSC_SC_iiiii.num_named_barrier, max(0, .L_ZN4vllm22paged_attention_kernelIthLi120ELi32ELi128ELNS_18Fp8KVCacheDataTypeE1ELb0ELi0EEEvPfS2_PT_PKS3_PKT0_S9_ifPKiSB_iPKfiiiSD_SD_iiiii.num_named_barrier)
	.set _ZN4vllm25paged_attention_v1_kernelIthLi120ELi32ELi128ELNS_18Fp8KVCacheDataTypeE1ELb0EEEvPT_PKS2_PKT0_S8_ifPKiSA_iPKfiiiSC_SC_iiiii.private_seg_size, 0+max(.L_ZN4vllm22paged_attention_kernelIthLi120ELi32ELi128ELNS_18Fp8KVCacheDataTypeE1ELb0ELi0EEEvPfS2_PT_PKS3_PKT0_S9_ifPKiSB_iPKfiiiSD_SD_iiiii.private_seg_size)
	.set _ZN4vllm25paged_attention_v1_kernelIthLi120ELi32ELi128ELNS_18Fp8KVCacheDataTypeE1ELb0EEEvPT_PKS2_PKT0_S8_ifPKiSA_iPKfiiiSC_SC_iiiii.uses_vcc, or(1, .L_ZN4vllm22paged_attention_kernelIthLi120ELi32ELi128ELNS_18Fp8KVCacheDataTypeE1ELb0ELi0EEEvPfS2_PT_PKS3_PKT0_S9_ifPKiSB_iPKfiiiSD_SD_iiiii.uses_vcc)
	.set _ZN4vllm25paged_attention_v1_kernelIthLi120ELi32ELi128ELNS_18Fp8KVCacheDataTypeE1ELb0EEEvPT_PKS2_PKT0_S8_ifPKiSA_iPKfiiiSC_SC_iiiii.uses_flat_scratch, or(0, .L_ZN4vllm22paged_attention_kernelIthLi120ELi32ELi128ELNS_18Fp8KVCacheDataTypeE1ELb0ELi0EEEvPfS2_PT_PKS3_PKT0_S9_ifPKiSB_iPKfiiiSD_SD_iiiii.uses_flat_scratch)
	.set _ZN4vllm25paged_attention_v1_kernelIthLi120ELi32ELi128ELNS_18Fp8KVCacheDataTypeE1ELb0EEEvPT_PKS2_PKT0_S8_ifPKiSA_iPKfiiiSC_SC_iiiii.has_dyn_sized_stack, or(0, .L_ZN4vllm22paged_attention_kernelIthLi120ELi32ELi128ELNS_18Fp8KVCacheDataTypeE1ELb0ELi0EEEvPfS2_PT_PKS3_PKT0_S9_ifPKiSB_iPKfiiiSD_SD_iiiii.has_dyn_sized_stack)
	.set _ZN4vllm25paged_attention_v1_kernelIthLi120ELi32ELi128ELNS_18Fp8KVCacheDataTypeE1ELb0EEEvPT_PKS2_PKT0_S8_ifPKiSA_iPKfiiiSC_SC_iiiii.has_recursion, or(0, .L_ZN4vllm22paged_attention_kernelIthLi120ELi32ELi128ELNS_18Fp8KVCacheDataTypeE1ELb0ELi0EEEvPfS2_PT_PKS3_PKT0_S9_ifPKiSB_iPKfiiiSD_SD_iiiii.has_recursion)
	.set _ZN4vllm25paged_attention_v1_kernelIthLi120ELi32ELi128ELNS_18Fp8KVCacheDataTypeE1ELb0EEEvPT_PKS2_PKT0_S8_ifPKiSA_iPKfiiiSC_SC_iiiii.has_indirect_call, or(0, .L_ZN4vllm22paged_attention_kernelIthLi120ELi32ELi128ELNS_18Fp8KVCacheDataTypeE1ELb0ELi0EEEvPfS2_PT_PKS3_PKT0_S9_ifPKiSB_iPKfiiiSD_SD_iiiii.has_indirect_call)
	.section	.AMDGPU.csdata,"",@progbits
; Kernel info:
; codeLenInByte = 196
; TotalNumSgprs: 35
; NumVgprs: 128
; ScratchSize: 396
; MemoryBound: 0
; FloatMode: 240
; IeeeMode: 1
; LDSByteSize: 272 bytes/workgroup (compile time only)
; SGPRBlocks: 0
; VGPRBlocks: 7
; NumSGPRsForWavesPerEU: 35
; NumVGPRsForWavesPerEU: 128
; NamedBarCnt: 0
; Occupancy: 8
; WaveLimiterHint : 1
; COMPUTE_PGM_RSRC2:SCRATCH_EN: 1
; COMPUTE_PGM_RSRC2:USER_SGPR: 2
; COMPUTE_PGM_RSRC2:TRAP_HANDLER: 0
; COMPUTE_PGM_RSRC2:TGID_X_EN: 1
; COMPUTE_PGM_RSRC2:TGID_Y_EN: 1
; COMPUTE_PGM_RSRC2:TGID_Z_EN: 1
; COMPUTE_PGM_RSRC2:TIDIG_COMP_CNT: 0
	.text
	.p2align	2                               ; -- Begin function _ZN4vllm22paged_attention_kernelIthLi128ELi32ELi128ELNS_18Fp8KVCacheDataTypeE1ELb0ELi0EEEvPfS2_PT_PKS3_PKT0_S9_ifPKiSB_iPKfiiiSD_SD_iiiii
	.type	_ZN4vllm22paged_attention_kernelIthLi128ELi32ELi128ELNS_18Fp8KVCacheDataTypeE1ELb0ELi0EEEvPfS2_PT_PKS3_PKT0_S9_ifPKiSB_iPKfiiiSD_SD_iiiii,@function
_ZN4vllm22paged_attention_kernelIthLi128ELi32ELi128ELNS_18Fp8KVCacheDataTypeE1ELb0ELi0EEEvPfS2_PT_PKS3_PKT0_S9_ifPKiSB_iPKfiiiSD_SD_iiiii: ; @_ZN4vllm22paged_attention_kernelIthLi128ELi32ELi128ELNS_18Fp8KVCacheDataTypeE1ELb0ELi0EEEvPfS2_PT_PKS3_PKT0_S9_ifPKiSB_iPKfiiiSD_SD_iiiii
; %bb.0:
	s_wait_loadcnt_dscnt 0x0
	s_wait_kmcnt 0x0
	s_clause 0x2f
	scratch_store_b32 off, v40, s32 offset:188
	; meta instruction
	scratch_store_b32 off, v41, s32 offset:184
	; meta instruction
	;; [unrolled: 2-line block ×47, first 2 shown]
	scratch_store_b32 off, v127, s32
	s_bfe_u32 s0, ttmp6, 0x4000c
	s_bfe_u32 s2, ttmp6, 0x40010
	s_add_co_i32 s0, s0, 1
	s_and_b32 s1, ttmp6, 15
	s_mul_i32 s0, ttmp9, s0
	s_and_b32 s3, ttmp7, 0xffff
	s_add_co_i32 s2, s2, 1
	s_add_co_i32 s0, s1, s0
	s_mul_i32 s1, s3, s2
	s_bfe_u32 s2, ttmp6, 0x40004
	s_getreg_b32 s10, hwreg(HW_REG_IB_STS2, 6, 4)
	s_add_co_i32 s2, s2, s1
	s_cmp_eq_u32 s10, 0
	s_mov_b32 s1, 0
	s_cselect_b32 s11, s3, s2
	s_cselect_b32 s2, ttmp9, s0
	s_lshl_b32 s0, s11, 2
	s_clause 0x6
	scratch_store_b64 off, v[22:23], s32 offset:192
	scratch_store_b64 off, v[20:21], s32 offset:340
	;; [unrolled: 1-line block ×4, first 2 shown]
	scratch_store_b32 off, v9, s32 offset:348
	scratch_store_b64 off, v[6:7], s32 offset:420
	scratch_store_b64 off, v[0:1], s32 offset:412
	s_wait_xcnt 0x0
	v_add_nc_u64_e32 v[0:1], s[0:1], v[12:13]
	v_mov_b32_e32 v27, 0
	s_clause 0x1
	s_load_u16 s0, s[8:9], 0x12
	s_load_b32 s3, s[8:9], 0x0
	v_dual_mov_b32 v25, v16 :: v_dual_mov_b32 v24, v15
	s_mov_b32 s6, s15
	flat_load_b32 v58, v[0:1]
	s_wait_xcnt 0x0
	v_sub_nc_u32_e32 v0, 0, v8
	global_load_u16 v6, v27, s[8:9] offset:22
	s_mov_b32 s4, exec_lo
	v_max_i32_e32 v0, v8, v0
	s_delay_alu instid0(VALU_DEP_1) | instskip(SKIP_2) | instid1(VALU_DEP_1)
	v_cvt_f32_u32_e32 v1, v0
	s_wait_kmcnt 0x0
	s_cmp_lg_u32 s0, 0
	v_rcp_iflag_f32_e32 v1, v1
	s_cselect_b32 s0, -1, 0
	s_delay_alu instid0(SALU_CYCLE_1) | instskip(SKIP_2) | instid1(TRANS32_DEP_1)
	s_cmp_lg_u32 s0, 0
	s_add_co_ci_u32 s12, s3, 0
	v_nop
	v_mul_f32_e32 v1, 0x4f7ffffe, v1
	v_sub_nc_u32_e32 v7, 0, v0
	s_abs_i32 s0, s12
	s_delay_alu instid0(VALU_DEP_2) | instskip(NEXT) | instid1(VALU_DEP_1)
	v_cvt_u32_f32_e32 v1, v1
	v_mul_lo_u32 v7, v7, v1
	s_delay_alu instid0(VALU_DEP_1) | instskip(NEXT) | instid1(VALU_DEP_1)
	v_mul_hi_u32 v7, v1, v7
	v_add_nc_u32_e32 v1, v1, v7
	s_delay_alu instid0(VALU_DEP_1) | instskip(NEXT) | instid1(VALU_DEP_1)
	v_mul_hi_u32 v1, s0, v1
	v_mul_lo_u32 v7, v1, v0
	s_delay_alu instid0(VALU_DEP_1) | instskip(SKIP_1) | instid1(VALU_DEP_1)
	v_dual_add_nc_u32 v9, 1, v1 :: v_dual_sub_nc_u32 v7, s0, v7
	s_abs_i32 s0, s2
	v_cmp_ge_u32_e32 vcc_lo, v7, v0
	s_delay_alu instid0(VALU_DEP_2) | instskip(NEXT) | instid1(VALU_DEP_1)
	v_dual_cndmask_b32 v1, v1, v9 :: v_dual_sub_nc_u32 v10, v7, v0
	v_dual_cndmask_b32 v7, v7, v10, vcc_lo :: v_dual_bitop2_b32 v8, s12, v8 bitop3:0x14
	s_delay_alu instid0(VALU_DEP_1) | instskip(NEXT) | instid1(VALU_DEP_2)
	v_dual_add_nc_u32 v9, 1, v1 :: v_dual_ashrrev_i32 v8, 31, v8
	v_cmp_ge_u32_e32 vcc_lo, v7, v0
	s_delay_alu instid0(VALU_DEP_2) | instskip(NEXT) | instid1(VALU_DEP_1)
	v_cndmask_b32_e32 v0, v1, v9, vcc_lo
	v_xor_b32_e32 v0, v0, v8
	s_delay_alu instid0(VALU_DEP_1) | instskip(SKIP_2) | instid1(VALU_DEP_2)
	v_sub_nc_u32_e32 v1, v0, v8
	s_wait_loadcnt 0x0
	v_readfirstlane_b32 s13, v6
	v_dual_mov_b32 v6, v27 :: v_dual_sub_nc_u32 v0, 0, v1
	scratch_store_b32 off, v6, s32 offset:336 ; 4-byte Folded Spill
	v_max_i32_e32 v0, v1, v0
	s_delay_alu instid0(VALU_DEP_1) | instskip(SKIP_1) | instid1(VALU_DEP_2)
	v_cvt_f32_u32_e32 v7, v0
	v_sub_nc_u32_e32 v8, 0, v0
	v_rcp_iflag_f32_e32 v7, v7
	v_nop
	s_delay_alu instid0(TRANS32_DEP_1) | instskip(NEXT) | instid1(VALU_DEP_1)
	v_mul_f32_e32 v7, 0x4f7ffffe, v7
	v_cvt_u32_f32_e32 v7, v7
	s_delay_alu instid0(VALU_DEP_1) | instskip(NEXT) | instid1(VALU_DEP_1)
	v_mul_lo_u32 v8, v8, v7
	v_mul_hi_u32 v8, v7, v8
	s_delay_alu instid0(VALU_DEP_1)
	v_add_nc_u32_e32 v26, v7, v8
	s_wait_xcnt 0x0
	v_cmpx_ne_u64_e32 0, v[24:25]
	s_cbranch_execz .LBB298_2
; %bb.1:
	s_ashr_i32 s3, s2, 31
	s_delay_alu instid0(SALU_CYCLE_1)
	v_lshl_add_u64 v[6:7], s[2:3], 2, v[24:25]
	flat_load_b32 v6, v[6:7]
	s_wait_loadcnt_dscnt 0x0
	scratch_store_b32 off, v6, s32 offset:336 ; 4-byte Folded Spill
.LBB298_2:
	s_wait_xcnt 0x0
	s_or_b32 exec_lo, exec_lo, s4
	v_mul_u64_e32 v[24:25], s[0:1], v[26:27]
	v_and_b32_e32 v13, 0x3ff, v31
	v_ashrrev_i32_e32 v1, 31, v1
	s_ashr_i32 s1, s2, 31
	s_lshl_b32 s4, s2, 7
	s_mov_b32 s2, exec_lo
	v_cmpx_gt_u32_e32 16, v13
	s_cbranch_execz .LBB298_4
; %bb.3:
	v_mul_lo_u32 v6, v17, s11
	s_ashr_i32 s5, s4, 31
	v_dual_mov_b32 v11, 0 :: v_dual_lshlrev_b32 v10, 4, v13
	s_delay_alu instid0(VALU_DEP_2) | instskip(NEXT) | instid1(VALU_DEP_1)
	v_ashrrev_i32_e32 v7, 31, v6
	v_lshl_add_u64 v[2:3], v[6:7], 1, v[2:3]
	s_delay_alu instid0(VALU_DEP_1) | instskip(NEXT) | instid1(VALU_DEP_1)
	v_lshl_add_u64 v[2:3], s[4:5], 1, v[2:3]
	v_add_nc_u64_e32 v[2:3], v[2:3], v[10:11]
	flat_load_b128 v[6:9], v[2:3]
	s_wait_loadcnt_dscnt 0x0
	ds_store_b128 v10, v[6:9]
.LBB298_4:
	s_wait_xcnt 0x0
	s_or_b32 exec_lo, exec_lo, s2
	s_delay_alu instid0(VALU_DEP_4)
	v_mul_lo_u32 v2, v25, v0
	s_wait_dscnt 0x0
	v_dual_add_nc_u32 v7, 31, v58 :: v_dual_bitop2_b32 v1, s1, v1 bitop3:0x14
	s_load_b32 s5, s[8:9], 0x8
	s_wait_xcnt 0x0
	s_get_pc_i64 s[8:9]
	s_add_nc_u64 s[8:9], s[8:9], llvm.amdgcn.dynlds.offset.table@rel64+4
	v_add_nc_u32_e32 v3, 1, v25
	s_delay_alu instid0(VALU_DEP_3) | instskip(NEXT) | instid1(VALU_DEP_1)
	v_dual_mov_b32 v11, 0xff7fffff :: v_dual_sub_nc_u32 v2, s0, v2
	v_cmp_ge_u32_e32 vcc_lo, v2, v0
	s_delay_alu instid0(VALU_DEP_3) | instskip(NEXT) | instid1(VALU_DEP_1)
	v_dual_cndmask_b32 v3, v25, v3 :: v_dual_sub_nc_u32 v6, v2, v0
	v_dual_cndmask_b32 v2, v2, v6, vcc_lo :: v_dual_add_nc_u32 v6, 1, v3
	s_delay_alu instid0(VALU_DEP_1) | instskip(NEXT) | instid1(VALU_DEP_2)
	v_cmp_ge_u32_e32 vcc_lo, v2, v0
	v_dual_ashrrev_i32 v2, 31, v7 :: v_dual_cndmask_b32 v0, v3, v6, vcc_lo
	s_delay_alu instid0(VALU_DEP_1) | instskip(SKIP_1) | instid1(VALU_DEP_3)
	v_lshrrev_b32_e32 v2, 27, v2
	v_mul_lo_u32 v6, v14, s11
	v_xor_b32_e32 v0, v0, v1
	s_delay_alu instid0(VALU_DEP_1) | instskip(NEXT) | instid1(VALU_DEP_3)
	v_dual_sub_nc_u32 v0, v0, v1 :: v_dual_add_nc_u32 v1, v7, v2
	v_dual_ashrrev_i32 v7, 31, v6 :: v_dual_bitop2_b32 v2, 31, v13 bitop3:0x40
	s_delay_alu instid0(VALU_DEP_2) | instskip(SKIP_1) | instid1(VALU_DEP_4)
	v_mul_lo_u32 v8, v0, v19
	v_lshrrev_b32_e32 v0, 5, v13
	v_ashrrev_i32_e32 v56, 5, v1
	v_lshrrev_b32_e32 v1, 3, v13
	scratch_store_b64 off, v[6:7], s32 offset:400 ; 8-byte Folded Spill
	v_lshlrev_b32_e32 v10, 2, v2
	scratch_store_b32 off, v0, s32 offset:380 ; 4-byte Folded Spill
	v_cmp_ge_i32_e64 s0, v0, v56
	scratch_store_b32 off, v1, s32 offset:408 ; 4-byte Folded Spill
	v_cmp_lt_i32_e32 vcc_lo, v0, v56
	v_ashrrev_i32_e32 v9, 31, v8
	s_clause 0x1
	scratch_store_b64 off, v[8:9], s32 offset:384
	scratch_store_b32 off, v2, s32 offset:372
	s_wait_storecnt 0x0
	s_barrier_signal -1
	s_barrier_wait -1
	s_wait_xcnt 0x0
	s_mov_b32 s14, exec_lo
	s_delay_alu instid0(SALU_CYCLE_1)
	s_and_b32 s1, s14, vcc_lo
	scratch_store_b32 off, v13, s32 offset:376 ; 4-byte Folded Spill
	s_wait_xcnt 0x0
	s_mov_b32 exec_lo, s1
	s_cbranch_execz .LBB298_1032
; %bb.5:
	s_clause 0x1
	scratch_load_b64 v[0:1], off, s32 offset:384
	scratch_load_b32 v2, off, s32 offset:372
	s_ashr_i32 s7, s6, 31
	v_mov_b32_e32 v25, 0
	s_lshl_b64 s[2:3], s[6:7], 2
	s_mov_b32 s7, 0
	s_add_nc_u64 s[2:3], s[8:9], s[2:3]
	scratch_store_b32 off, v10, s32 offset:428 ; 4-byte Folded Spill
	s_load_b32 s1, s[2:3], 0x0
	s_wait_xcnt 0x0
	s_mov_b64 s[2:3], 0xffffffffffffff
	scratch_load_b32 v3, off, s32 offset:380 ; 4-byte Folded Reload
	s_wait_loadcnt 0x2
	v_add_nc_u64_e32 v[0:1], v[4:5], v[0:1]
	s_wait_loadcnt 0x1
	v_lshlrev_b32_e32 v24, 4, v2
	scratch_load_b64 v[4:5], off, s32 offset:392 ; 8-byte Folded Reload
	v_add_nc_u64_e32 v[0:1], v[0:1], v[24:25]
	s_wait_loadcnt 0x1
	v_lshl_or_b32 v37, v3, 5, v2
	v_lshl_or_b32 v2, v3, 7, v10
	v_mov_b32_e32 v11, 0xff7fffff
	v_mov_b32_e32 v39, v3
	s_clause 0x1
	scratch_store_b64 off, v[0:1], s32 offset:356
	scratch_load_b32 v0, off, s32 offset:408
	s_wait_kmcnt 0x0
	v_add_nc_u32_e32 v28, s1, v2
	s_wait_loadcnt 0x0
	v_and_b32_e32 v24, 0x7c, v0
	scratch_load_b32 v0, off, s32 offset:336 ; 4-byte Folded Reload
	s_wait_loadcnt 0x0
	v_cmp_neq_f32_e32 vcc_lo, 0, v0
	s_clause 0x2
	scratch_load_b64 v[0:1], off, s32 offset:400
	scratch_store_b32 off, v56, s32 offset:352
	scratch_store_b64 off, v[58:59], s32 offset:364
	s_wait_loadcnt 0x0
	v_lshl_add_u64 v[0:1], v[0:1], 2, v[24:25]
	s_delay_alu instid0(VALU_DEP_1)
	v_add_nc_u64_e32 v[0:1], v[4:5], v[0:1]
	s_branch .LBB298_10
.LBB298_6:                              ;   in Loop: Header=BB298_10 Depth=1
	s_or_b32 exec_lo, exec_lo, s18
	v_lshlrev_b32_e32 v0, 8, v24
	s_delay_alu instid0(VALU_DEP_2) | instskip(NEXT) | instid1(VALU_DEP_1)
	v_lshl_add_u32 v1, v3, 10, 0x2000
	v_and_or_b32 v0, 0x8000, v0, v1
	v_lshlrev_b32_e32 v1, 23, v2
	s_delay_alu instid0(VALU_DEP_1)
	v_lshl_or_b32 v18, v0, 16, v1
.LBB298_7:                              ;   in Loop: Header=BB298_10 Depth=1
	s_or_b32 exec_lo, exec_lo, s17
.LBB298_8:                              ;   in Loop: Header=BB298_10 Depth=1
	s_delay_alu instid0(SALU_CYCLE_1)
	s_or_b32 exec_lo, exec_lo, s16
	v_dual_mov_b32 v0, v38 :: v_dual_mov_b32 v1, v39
.LBB298_9:                              ;   in Loop: Header=BB298_10 Depth=1
	s_or_b32 exec_lo, exec_lo, s15
	s_clause 0x1
	scratch_store_b32 off, v1, s32 offset:332
	scratch_store_b32 off, v0, s32 offset:328
	ds_load_b128 v[2:5], v25
	s_wait_dscnt 0x0
	s_wait_xcnt 0x0
	v_lshrrev_b32_e32 v0, 16, v2
	v_and_b32_e32 v1, 0xffff, v2
	v_lshrrev_b32_e32 v2, 16, v3
	;;#ASMSTART
	v_cvt_f32_f16 v38, v1;
	;;#ASMEND
	;;#ASMSTART
	v_cvt_f32_f16 v39, v0;
	;;#ASMEND
	v_or_b32_e32 v0, v32, v30
	v_fma_mixlo_f16 v1, v15, v32, 0 op_sel:[0,1,0] op_sel_hi:[0,1,0]
	v_and_b32_e32 v3, 0xffff, v3
	v_dual_lshrrev_b32 v6, 16, v4 :: v_dual_lshrrev_b32 v7, 16, v5
	s_delay_alu instid0(VALU_DEP_4) | instskip(NEXT) | instid1(VALU_DEP_4)
	v_fma_mixlo_f16 v0, v15, v0, 0 op_sel_hi:[0,1,0]
	v_and_b32_e32 v1, 0xffff, v1
	v_and_b32_e32 v4, 0xffff, v4
	;; [unrolled: 1-line block ×3, first 2 shown]
	s_delay_alu instid0(VALU_DEP_4)
	v_and_b32_e32 v0, 0xffff, v0
	;;#ASMSTART
	v_cvt_f32_f16 v48, v0;
	;;#ASMEND
	v_or_b32_e32 v0, v36, v31
	;;#ASMSTART
	v_cvt_f32_f16 v49, v1;
	;;#ASMEND
	v_fma_mixlo_f16 v1, v15, v36, 0 op_sel:[0,1,0] op_sel_hi:[0,1,0]
	;;#ASMSTART
	v_cvt_f32_f16 v35, v3;
	;;#ASMEND
	;;#ASMSTART
	v_cvt_f32_f16 v34, v2;
	;;#ASMEND
	v_fma_mixlo_f16 v0, v15, v0, 0 op_sel_hi:[0,1,0]
	s_delay_alu instid0(VALU_DEP_2) | instskip(NEXT) | instid1(VALU_DEP_2)
	v_and_b32_e32 v1, 0xffff, v1
	v_and_b32_e32 v0, 0xffff, v0
	;;#ASMSTART
	v_cvt_f32_f16 v37, v0;
	;;#ASMEND
	v_or_b32_e32 v0, v51, v33
	;;#ASMSTART
	v_cvt_f32_f16 v36, v1;
	;;#ASMEND
	v_fma_mixlo_f16 v1, v15, v51, 0 op_sel:[0,1,0] op_sel_hi:[0,1,0]
	;;#ASMSTART
	v_cvt_f32_f16 v31, v4;
	;;#ASMEND
	;;#ASMSTART
	v_cvt_f32_f16 v30, v6;
	;;#ASMEND
	v_fma_mixlo_f16 v0, v15, v0, 0 op_sel_hi:[0,1,0]
	s_delay_alu instid0(VALU_DEP_2) | instskip(NEXT) | instid1(VALU_DEP_2)
	v_and_b32_e32 v1, 0xffff, v1
	;; [unrolled: 18-line block ×3, first 2 shown]
	v_and_b32_e32 v0, 0xffff, v0
	;;#ASMSTART
	v_cvt_f32_f16 v5, v0;
	;;#ASMEND
	;;#ASMSTART
	v_cvt_f32_f16 v4, v1;
	;;#ASMEND
	ds_load_b128 v[64:67], v25 offset:16
	s_wait_dscnt 0x0
	v_and_b32_e32 v0, 0xffff, v64
	;;#ASMSTART
	v_cvt_f32_f16 v58, v0;
	;;#ASMEND
	v_or_b32_e32 v0, v122, v120
	v_lshrrev_b32_e32 v1, 16, v64
	;;#ASMSTART
	v_cvt_f32_f16 v59, v1;
	;;#ASMEND
	v_lshrrev_b32_e32 v6, 16, v66
	v_and_b32_e32 v7, 0xffff, v66
	v_fma_mixlo_f16 v0, v15, v0, 0 op_sel_hi:[0,1,0]
	v_fma_mixlo_f16 v1, v15, v122, 0 op_sel:[0,1,0] op_sel_hi:[0,1,0]
	v_lshrrev_b32_e32 v8, 16, v67
	v_and_b32_e32 v24, 0xffff, v67
	s_delay_alu instid0(VALU_DEP_4) | instskip(NEXT) | instid1(VALU_DEP_4)
	v_and_b32_e32 v0, 0xffff, v0
	v_and_b32_e32 v1, 0xffff, v1
	;;#ASMSTART
	v_cvt_f32_f16 v120, v0;
	;;#ASMEND
	;;#ASMSTART
	v_cvt_f32_f16 v121, v1;
	;;#ASMEND
	v_lshrrev_b32_e32 v0, 16, v65
	v_pk_mul_f32 v[58:59], v[58:59], v[120:121]
	v_and_b32_e32 v1, 0xffff, v65
	;;#ASMSTART
	v_cvt_f32_f16 v121, v1;
	;;#ASMEND
	;;#ASMSTART
	v_cvt_f32_f16 v120, v0;
	;;#ASMEND
	v_or_b32_e32 v0, v50, v71
	v_pk_fma_f32 v[58:59], v[38:39], v[48:49], v[58:59]
	v_fma_mixlo_f16 v1, v15, v50, 0 op_sel:[0,1,0] op_sel_hi:[0,1,0]
	s_delay_alu instid0(VALU_DEP_3) | instskip(NEXT) | instid1(VALU_DEP_2)
	v_fma_mixlo_f16 v0, v15, v0, 0 op_sel_hi:[0,1,0]
	v_and_b32_e32 v1, 0xffff, v1
	s_delay_alu instid0(VALU_DEP_2)
	v_and_b32_e32 v0, 0xffff, v0
	;;#ASMSTART
	v_cvt_f32_f16 v123, v0;
	;;#ASMEND
	v_or_b32_e32 v0, v44, v57
	;;#ASMSTART
	v_cvt_f32_f16 v122, v1;
	;;#ASMEND
	v_fma_mixlo_f16 v1, v15, v44, 0 op_sel:[0,1,0] op_sel_hi:[0,1,0]
	;;#ASMSTART
	v_cvt_f32_f16 v51, v7;
	;;#ASMEND
	;;#ASMSTART
	v_cvt_f32_f16 v50, v6;
	;;#ASMEND
	v_fma_mixlo_f16 v0, v15, v0, 0 op_sel_hi:[0,1,0]
	s_delay_alu instid0(VALU_DEP_2) | instskip(NEXT) | instid1(VALU_DEP_2)
	v_and_b32_e32 v1, 0xffff, v1
	v_and_b32_e32 v0, 0xffff, v0
	;;#ASMSTART
	v_cvt_f32_f16 v57, v0;
	;;#ASMEND
	v_or_b32_e32 v0, v70, v60
	;;#ASMSTART
	v_cvt_f32_f16 v56, v1;
	;;#ASMEND
	v_fma_mixlo_f16 v1, v15, v70, 0 op_sel:[0,1,0] op_sel_hi:[0,1,0]
	;;#ASMSTART
	v_cvt_f32_f16 v39, v24;
	;;#ASMEND
	;;#ASMSTART
	v_cvt_f32_f16 v38, v8;
	;;#ASMEND
	v_fma_mixlo_f16 v0, v15, v0, 0 op_sel_hi:[0,1,0]
	v_pk_mul_f32 v[50:51], v[50:51], v[56:57]
	v_and_b32_e32 v1, 0xffff, v1
	s_delay_alu instid0(VALU_DEP_3)
	v_and_b32_e32 v0, 0xffff, v0
	;;#ASMSTART
	v_cvt_f32_f16 v49, v0;
	;;#ASMEND
	;;#ASMSTART
	v_cvt_f32_f16 v48, v1;
	;;#ASMEND
	ds_load_b128 v[64:67], v25 offset:32
	v_pk_fma_f32 v[30:31], v[30:31], v[32:33], v[50:51]
	s_wait_dscnt 0x0
	v_and_b32_e32 v0, 0xffff, v64
	v_lshrrev_b32_e32 v1, 16, v64
	;;#ASMSTART
	v_cvt_f32_f16 v70, v0;
	;;#ASMEND
	v_or_b32_e32 v0, v97, v45
	;;#ASMSTART
	v_cvt_f32_f16 v71, v1;
	;;#ASMEND
	v_lshrrev_b32_e32 v6, 16, v66
	v_fma_mixlo_f16 v1, v15, v97, 0 op_sel:[0,1,0] op_sel_hi:[0,1,0]
	v_and_b32_e32 v7, 0xffff, v66
	v_fma_mixlo_f16 v0, v15, v0, 0 op_sel_hi:[0,1,0]
	v_lshrrev_b32_e32 v8, 16, v67
	v_and_b32_e32 v24, 0xffff, v67
	v_and_b32_e32 v1, 0xffff, v1
	s_delay_alu instid0(VALU_DEP_4)
	v_and_b32_e32 v0, 0xffff, v0
	;;#ASMSTART
	v_cvt_f32_f16 v44, v0;
	;;#ASMEND
	;;#ASMSTART
	v_cvt_f32_f16 v45, v1;
	;;#ASMEND
	v_pk_fma_f32 v[70:71], v[70:71], v[44:45], v[58:59]
	v_pk_mul_f32 v[44:45], v[120:121], v[122:123]
	v_lshrrev_b32_e32 v0, 16, v65
	v_and_b32_e32 v1, 0xffff, v65
	s_delay_alu instid0(VALU_DEP_3) | instskip(SKIP_4) | instid1(VALU_DEP_2)
	v_pk_fma_f32 v[34:35], v[34:35], v[36:37], v[44:45]
	;;#ASMSTART
	v_cvt_f32_f16 v45, v1;
	;;#ASMEND
	;;#ASMSTART
	v_cvt_f32_f16 v44, v0;
	;;#ASMEND
	v_or_b32_e32 v0, v55, v85
	v_fma_mixlo_f16 v1, v15, v55, 0 op_sel:[0,1,0] op_sel_hi:[0,1,0]
	v_fma_mixlo_f16 v0, v15, v0, 0 op_sel_hi:[0,1,0]
	s_delay_alu instid0(VALU_DEP_2) | instskip(NEXT) | instid1(VALU_DEP_2)
	v_and_b32_e32 v1, 0xffff, v1
	v_and_b32_e32 v0, 0xffff, v0
	;;#ASMSTART
	v_cvt_f32_f16 v59, v0;
	;;#ASMEND
	v_or_b32_e32 v0, v54, v28
	;;#ASMSTART
	v_cvt_f32_f16 v58, v1;
	;;#ASMEND
	v_fma_mixlo_f16 v1, v15, v54, 0 op_sel:[0,1,0] op_sel_hi:[0,1,0]
	;;#ASMSTART
	v_cvt_f32_f16 v121, v7;
	;;#ASMEND
	;;#ASMSTART
	v_cvt_f32_f16 v120, v6;
	;;#ASMEND
	v_fma_mixlo_f16 v0, v15, v0, 0 op_sel_hi:[0,1,0]
	v_pk_fma_f32 v[34:35], v[44:45], v[58:59], v[34:35]
	v_and_b32_e32 v1, 0xffff, v1
	s_delay_alu instid0(VALU_DEP_3)
	v_and_b32_e32 v0, 0xffff, v0
	;;#ASMSTART
	v_cvt_f32_f16 v55, v0;
	;;#ASMEND
	v_or_b32_e32 v0, v99, v96
	;;#ASMSTART
	v_cvt_f32_f16 v54, v1;
	;;#ASMEND
	v_fma_mixlo_f16 v1, v15, v99, 0 op_sel:[0,1,0] op_sel_hi:[0,1,0]
	;;#ASMSTART
	v_cvt_f32_f16 v123, v24;
	;;#ASMEND
	;;#ASMSTART
	v_cvt_f32_f16 v122, v8;
	;;#ASMEND
	v_fma_mixlo_f16 v0, v15, v0, 0 op_sel_hi:[0,1,0]
	v_pk_fma_f32 v[30:31], v[120:121], v[54:55], v[30:31]
	v_and_b32_e32 v1, 0xffff, v1
	s_delay_alu instid0(VALU_DEP_3)
	v_and_b32_e32 v0, 0xffff, v0
	;;#ASMSTART
	v_cvt_f32_f16 v97, v0;
	;;#ASMEND
	;;#ASMSTART
	v_cvt_f32_f16 v96, v1;
	;;#ASMEND
	ds_load_b128 v[64:67], v25 offset:48
	s_wait_dscnt 0x0
	v_and_b32_e32 v0, 0xffff, v64
	;;#ASMSTART
	v_cvt_f32_f16 v36, v0;
	;;#ASMEND
	v_dual_lshrrev_b32 v1, 16, v64 :: v_dual_bitop2_b32 v0, v103, v98 bitop3:0x54
	;;#ASMSTART
	v_cvt_f32_f16 v37, v1;
	;;#ASMEND
	v_lshrrev_b32_e32 v6, 16, v67
	s_delay_alu instid0(VALU_DEP_2) | instskip(NEXT) | instid1(VALU_DEP_3)
	v_fma_mixlo_f16 v0, v15, v0, 0 op_sel_hi:[0,1,0]
	v_fma_mixlo_f16 v1, v15, v103, 0 op_sel:[0,1,0] op_sel_hi:[0,1,0]
	s_delay_alu instid0(VALU_DEP_2) | instskip(NEXT) | instid1(VALU_DEP_2)
	v_and_b32_e32 v0, 0xffff, v0
	v_and_b32_e32 v1, 0xffff, v1
	;;#ASMSTART
	v_cvt_f32_f16 v98, v0;
	;;#ASMEND
	v_and_b32_e32 v0, 0xffff, v65
	;;#ASMSTART
	v_cvt_f32_f16 v99, v1;
	;;#ASMEND
	v_lshrrev_b32_e32 v1, 16, v65
	;;#ASMSTART
	v_cvt_f32_f16 v33, v0;
	;;#ASMEND
	v_or_b32_e32 v0, v101, v110
	;;#ASMSTART
	v_cvt_f32_f16 v32, v1;
	;;#ASMEND
	v_pk_fma_f32 v[36:37], v[36:37], v[98:99], v[70:71]
	v_fma_mixlo_f16 v1, v15, v101, 0 op_sel:[0,1,0] op_sel_hi:[0,1,0]
	s_delay_alu instid0(VALU_DEP_3) | instskip(NEXT) | instid1(VALU_DEP_2)
	v_fma_mixlo_f16 v0, v15, v0, 0 op_sel_hi:[0,1,0]
	v_and_b32_e32 v1, 0xffff, v1
	s_delay_alu instid0(VALU_DEP_2)
	v_and_b32_e32 v0, 0xffff, v0
	;;#ASMSTART
	v_cvt_f32_f16 v51, v0;
	;;#ASMEND
	;;#ASMSTART
	v_cvt_f32_f16 v50, v1;
	;;#ASMEND
	v_pk_fma_f32 v[34:35], v[32:33], v[50:51], v[34:35]
	v_pk_mul_f32 v[32:33], v[38:39], v[48:49]
	v_and_b32_e32 v0, 0xffff, v66
	v_lshrrev_b32_e32 v1, 16, v66
	s_delay_alu instid0(VALU_DEP_3)
	v_pk_fma_f32 v[2:3], v[2:3], v[4:5], v[32:33]
	;;#ASMSTART
	v_cvt_f32_f16 v5, v0;
	;;#ASMEND
	v_or_b32_e32 v0, v102, v125
	;;#ASMSTART
	v_cvt_f32_f16 v4, v1;
	;;#ASMEND
	v_fma_mixlo_f16 v1, v15, v102, 0 op_sel:[0,1,0] op_sel_hi:[0,1,0]
	v_pk_fma_f32 v[2:3], v[122:123], v[96:97], v[2:3]
	s_delay_alu instid0(VALU_DEP_3) | instskip(NEXT) | instid1(VALU_DEP_3)
	v_fma_mixlo_f16 v0, v15, v0, 0 op_sel_hi:[0,1,0]
	v_and_b32_e32 v1, 0xffff, v1
	s_delay_alu instid0(VALU_DEP_2)
	v_and_b32_e32 v0, 0xffff, v0
	;;#ASMSTART
	v_cvt_f32_f16 v33, v0;
	;;#ASMEND
	v_or_b32_e32 v0, v114, v74
	;;#ASMSTART
	v_cvt_f32_f16 v32, v1;
	;;#ASMEND
	v_fma_mixlo_f16 v1, v15, v114, 0 op_sel:[0,1,0] op_sel_hi:[0,1,0]
	v_pk_fma_f32 v[32:33], v[4:5], v[32:33], v[30:31]
	v_and_b32_e32 v4, 0xffff, v67
	v_fma_mixlo_f16 v0, v15, v0, 0 op_sel_hi:[0,1,0]
	;;#ASMSTART
	v_cvt_f32_f16 v5, v4;
	;;#ASMEND
	v_and_b32_e32 v1, 0xffff, v1
	;;#ASMSTART
	v_cvt_f32_f16 v4, v6;
	;;#ASMEND
	s_delay_alu instid0(VALU_DEP_2)
	v_and_b32_e32 v0, 0xffff, v0
	;;#ASMSTART
	v_cvt_f32_f16 v31, v0;
	;;#ASMEND
	;;#ASMSTART
	v_cvt_f32_f16 v30, v1;
	;;#ASMEND
	v_pk_fma_f32 v[30:31], v[4:5], v[30:31], v[2:3]
	ds_load_b128 v[2:5], v25 offset:64
	s_wait_dscnt 0x0
	v_and_b32_e32 v0, 0xffff, v2
	;;#ASMSTART
	v_cvt_f32_f16 v38, v0;
	;;#ASMEND
	v_or_b32_e32 v0, v117, v106
	v_lshrrev_b32_e32 v1, 16, v2
	;;#ASMSTART
	v_cvt_f32_f16 v39, v1;
	;;#ASMEND
	v_lshrrev_b32_e32 v2, 16, v3
	v_and_b32_e32 v3, 0xffff, v3
	v_fma_mixlo_f16 v0, v15, v0, 0 op_sel_hi:[0,1,0]
	v_fma_mixlo_f16 v1, v15, v117, 0 op_sel:[0,1,0] op_sel_hi:[0,1,0]
	v_lshrrev_b32_e32 v6, 16, v4
	v_and_b32_e32 v4, 0xffff, v4
	v_lshrrev_b32_e32 v7, 16, v5
	v_and_b32_e32 v0, 0xffff, v0
	;;#ASMSTART
	v_cvt_f32_f16 v48, v0;
	;;#ASMEND
	v_or_b32_e32 v0, v100, v111
	v_and_b32_e32 v1, 0xffff, v1
	;;#ASMSTART
	v_cvt_f32_f16 v49, v1;
	;;#ASMEND
	;;#ASMSTART
	v_cvt_f32_f16 v101, v3;
	;;#ASMEND
	v_and_b32_e32 v5, 0xffff, v5
	v_fma_mixlo_f16 v0, v15, v0, 0 op_sel_hi:[0,1,0]
	v_fma_mixlo_f16 v1, v15, v100, 0 op_sel:[0,1,0] op_sel_hi:[0,1,0]
	;;#ASMSTART
	v_cvt_f32_f16 v100, v2;
	;;#ASMEND
	v_fma_mixlo_f16 v2, v15, v52, 0 op_sel:[0,1,0] op_sel_hi:[0,1,0]
	v_pk_fma_f32 v[36:37], v[38:39], v[48:49], v[36:37]
	v_and_b32_e32 v8, 0xffff, v0
	v_or_b32_e32 v0, v52, v42
	v_and_b32_e32 v3, 0xffff, v1
	v_or_b32_e32 v1, v53, v75
	;;#ASMSTART
	v_cvt_f32_f16 v103, v8;
	;;#ASMEND
	;;#ASMSTART
	v_cvt_f32_f16 v102, v3;
	;;#ASMEND
	v_fma_mixlo_f16 v0, v15, v0, 0 op_sel_hi:[0,1,0]
	v_and_b32_e32 v2, 0xffff, v2
	;;#ASMSTART
	v_cvt_f32_f16 v45, v4;
	;;#ASMEND
	;;#ASMSTART
	v_cvt_f32_f16 v44, v6;
	;;#ASMEND
	s_delay_alu instid0(VALU_DEP_2)
	v_and_b32_e32 v3, 0xffff, v0
	v_fma_mixlo_f16 v0, v15, v1, 0 op_sel_hi:[0,1,0]
	v_fma_mixlo_f16 v1, v15, v53, 0 op_sel:[0,1,0] op_sel_hi:[0,1,0]
	;;#ASMSTART
	v_cvt_f32_f16 v57, v3;
	;;#ASMEND
	;;#ASMSTART
	v_cvt_f32_f16 v56, v2;
	;;#ASMEND
	;; [unrolled: 3-line block ×3, first 2 shown]
	v_and_b32_e32 v0, 0xffff, v0
	v_and_b32_e32 v1, 0xffff, v1
	;;#ASMSTART
	v_cvt_f32_f16 v52, v7;
	;;#ASMEND
	;;#ASMSTART
	v_cvt_f32_f16 v55, v0;
	;;#ASMEND
	;; [unrolled: 3-line block ×3, first 2 shown]
	ds_load_b128 v[2:5], v25 offset:80
	s_wait_dscnt 0x0
	v_and_b32_e32 v0, 0xffff, v2
	;;#ASMSTART
	v_cvt_f32_f16 v38, v0;
	;;#ASMEND
	v_dual_lshrrev_b32 v1, 16, v2 :: v_dual_bitop2_b32 v0, v115, v107 bitop3:0x54
	;;#ASMSTART
	v_cvt_f32_f16 v39, v1;
	;;#ASMEND
	v_dual_lshrrev_b32 v2, 16, v4 :: v_dual_lshrrev_b32 v6, 16, v5
	s_delay_alu instid0(VALU_DEP_2) | instskip(NEXT) | instid1(VALU_DEP_3)
	v_fma_mixlo_f16 v0, v15, v0, 0 op_sel_hi:[0,1,0]
	v_fma_mixlo_f16 v1, v15, v115, 0 op_sel:[0,1,0] op_sel_hi:[0,1,0]
	v_and_b32_e32 v7, 0xffff, v5
	s_delay_alu instid0(VALU_DEP_3) | instskip(NEXT) | instid1(VALU_DEP_3)
	v_and_b32_e32 v0, 0xffff, v0
	v_and_b32_e32 v1, 0xffff, v1
	;;#ASMSTART
	v_cvt_f32_f16 v48, v0;
	;;#ASMEND
	v_lshrrev_b32_e32 v0, 16, v3
	;;#ASMSTART
	v_cvt_f32_f16 v49, v1;
	;;#ASMEND
	v_and_b32_e32 v1, 0xffff, v3
	;;#ASMSTART
	v_cvt_f32_f16 v115, v1;
	;;#ASMEND
	;;#ASMSTART
	v_cvt_f32_f16 v114, v0;
	;;#ASMEND
	v_or_b32_e32 v0, v116, v46
	v_and_b32_e32 v3, 0xffff, v4
	v_fma_mixlo_f16 v1, v15, v116, 0 op_sel:[0,1,0] op_sel_hi:[0,1,0]
	v_pk_fma_f32 v[64:65], v[38:39], v[48:49], v[36:37]
	s_delay_alu instid0(VALU_DEP_4) | instskip(NEXT) | instid1(VALU_DEP_3)
	v_fma_mixlo_f16 v0, v15, v0, 0 op_sel_hi:[0,1,0]
	v_and_b32_e32 v1, 0xffff, v1
	s_delay_alu instid0(VALU_DEP_2)
	v_and_b32_e32 v0, 0xffff, v0
	;;#ASMSTART
	v_cvt_f32_f16 v117, v0;
	;;#ASMEND
	v_or_b32_e32 v0, v79, v94
	;;#ASMSTART
	v_cvt_f32_f16 v116, v1;
	;;#ASMEND
	v_fma_mixlo_f16 v1, v15, v79, 0 op_sel:[0,1,0] op_sel_hi:[0,1,0]
	;;#ASMSTART
	v_cvt_f32_f16 v3, v3;
	;;#ASMEND
	;;#ASMSTART
	v_cvt_f32_f16 v2, v2;
	;;#ASMEND
	v_fma_mixlo_f16 v0, v15, v0, 0 op_sel_hi:[0,1,0]
	s_delay_alu instid0(VALU_DEP_2) | instskip(NEXT) | instid1(VALU_DEP_2)
	v_and_b32_e32 v1, 0xffff, v1
	v_and_b32_e32 v0, 0xffff, v0
	;;#ASMSTART
	v_cvt_f32_f16 v5, v0;
	;;#ASMEND
	v_or_b32_e32 v0, v43, v105
	;;#ASMSTART
	v_cvt_f32_f16 v4, v1;
	;;#ASMEND
	v_fma_mixlo_f16 v1, v15, v43, 0 op_sel:[0,1,0] op_sel_hi:[0,1,0]
	;;#ASMSTART
	v_cvt_f32_f16 v37, v7;
	;;#ASMEND
	;;#ASMSTART
	v_cvt_f32_f16 v36, v6;
	;;#ASMEND
	v_fma_mixlo_f16 v0, v15, v0, 0 op_sel_hi:[0,1,0]
	s_delay_alu instid0(VALU_DEP_2) | instskip(NEXT) | instid1(VALU_DEP_2)
	v_and_b32_e32 v1, 0xffff, v1
	v_and_b32_e32 v0, 0xffff, v0
	;;#ASMSTART
	v_cvt_f32_f16 v39, v0;
	;;#ASMEND
	;;#ASMSTART
	v_cvt_f32_f16 v38, v1;
	;;#ASMEND
	ds_load_b128 v[48:51], v25 offset:96
	s_wait_dscnt 0x0
	v_and_b32_e32 v0, 0xffff, v48
	;;#ASMSTART
	v_cvt_f32_f16 v66, v0;
	;;#ASMEND
	v_dual_lshrrev_b32 v1, 16, v48 :: v_dual_bitop2_b32 v0, v68, v69 bitop3:0x54
	;;#ASMSTART
	v_cvt_f32_f16 v67, v1;
	;;#ASMEND
	v_lshrrev_b32_e32 v6, 16, v50
	v_and_b32_e32 v7, 0xffff, v50
	s_delay_alu instid0(VALU_DEP_3) | instskip(SKIP_3) | instid1(VALU_DEP_4)
	v_fma_mixlo_f16 v0, v15, v0, 0 op_sel_hi:[0,1,0]
	v_fma_mixlo_f16 v1, v15, v68, 0 op_sel:[0,1,0] op_sel_hi:[0,1,0]
	v_lshrrev_b32_e32 v8, 16, v51
	v_and_b32_e32 v24, 0xffff, v51
	v_and_b32_e32 v0, 0xffff, v0
	s_delay_alu instid0(VALU_DEP_4)
	v_and_b32_e32 v1, 0xffff, v1
	;;#ASMSTART
	v_cvt_f32_f16 v68, v0;
	;;#ASMEND
	v_lshrrev_b32_e32 v0, 16, v49
	;;#ASMSTART
	v_cvt_f32_f16 v69, v1;
	;;#ASMEND
	v_and_b32_e32 v1, 0xffff, v49
	;;#ASMSTART
	v_cvt_f32_f16 v43, v1;
	;;#ASMEND
	;;#ASMSTART
	v_cvt_f32_f16 v42, v0;
	;;#ASMEND
	v_or_b32_e32 v0, v47, v91
	v_pk_fma_f32 v[68:69], v[66:67], v[68:69], v[64:65]
	v_fma_mixlo_f16 v1, v15, v47, 0 op_sel:[0,1,0] op_sel_hi:[0,1,0]
	s_delay_alu instid0(VALU_DEP_3) | instskip(NEXT) | instid1(VALU_DEP_2)
	v_fma_mixlo_f16 v0, v15, v0, 0 op_sel_hi:[0,1,0]
	v_and_b32_e32 v1, 0xffff, v1
	s_delay_alu instid0(VALU_DEP_2)
	v_and_b32_e32 v0, 0xffff, v0
	;;#ASMSTART
	v_cvt_f32_f16 v47, v0;
	;;#ASMEND
	v_or_b32_e32 v0, v89, v81
	;;#ASMSTART
	v_cvt_f32_f16 v46, v1;
	;;#ASMEND
	v_fma_mixlo_f16 v1, v15, v89, 0 op_sel:[0,1,0] op_sel_hi:[0,1,0]
	;;#ASMSTART
	v_cvt_f32_f16 v97, v7;
	;;#ASMEND
	;;#ASMSTART
	v_cvt_f32_f16 v96, v6;
	;;#ASMEND
	v_fma_mixlo_f16 v0, v15, v0, 0 op_sel_hi:[0,1,0]
	s_delay_alu instid0(VALU_DEP_2) | instskip(NEXT) | instid1(VALU_DEP_2)
	v_and_b32_e32 v1, 0xffff, v1
	v_and_b32_e32 v0, 0xffff, v0
	;;#ASMSTART
	v_cvt_f32_f16 v99, v0;
	;;#ASMEND
	v_or_b32_e32 v0, v84, v92
	;;#ASMSTART
	v_cvt_f32_f16 v98, v1;
	;;#ASMEND
	v_fma_mixlo_f16 v1, v15, v84, 0 op_sel:[0,1,0] op_sel_hi:[0,1,0]
	;;#ASMSTART
	v_cvt_f32_f16 v49, v24;
	;;#ASMEND
	;;#ASMSTART
	v_cvt_f32_f16 v48, v8;
	;;#ASMEND
	v_fma_mixlo_f16 v0, v15, v0, 0 op_sel_hi:[0,1,0]
	s_delay_alu instid0(VALU_DEP_2) | instskip(NEXT) | instid1(VALU_DEP_2)
	v_and_b32_e32 v1, 0xffff, v1
	v_and_b32_e32 v0, 0xffff, v0
	;;#ASMSTART
	v_cvt_f32_f16 v51, v0;
	;;#ASMEND
	;;#ASMSTART
	v_cvt_f32_f16 v50, v1;
	;;#ASMEND
	ds_load_b128 v[64:67], v25 offset:112
	s_wait_dscnt 0x0
	v_and_b32_e32 v0, 0xffff, v64
	;;#ASMSTART
	v_cvt_f32_f16 v70, v0;
	;;#ASMEND
	v_or_b32_e32 v0, v95, v80
	v_lshrrev_b32_e32 v1, 16, v64
	;;#ASMSTART
	v_cvt_f32_f16 v71, v1;
	;;#ASMEND
	v_lshrrev_b32_e32 v6, 16, v66
	v_and_b32_e32 v7, 0xffff, v66
	v_fma_mixlo_f16 v0, v15, v0, 0 op_sel_hi:[0,1,0]
	v_fma_mixlo_f16 v1, v15, v95, 0 op_sel:[0,1,0] op_sel_hi:[0,1,0]
	v_lshrrev_b32_e32 v8, 16, v67
	v_and_b32_e32 v24, 0xffff, v67
	s_delay_alu instid0(VALU_DEP_4) | instskip(NEXT) | instid1(VALU_DEP_4)
	v_and_b32_e32 v0, 0xffff, v0
	v_and_b32_e32 v1, 0xffff, v1
	;;#ASMSTART
	v_cvt_f32_f16 v84, v0;
	;;#ASMEND
	v_lshrrev_b32_e32 v0, 16, v65
	;;#ASMSTART
	v_cvt_f32_f16 v85, v1;
	;;#ASMEND
	v_and_b32_e32 v1, 0xffff, v65
	;;#ASMSTART
	v_cvt_f32_f16 v95, v1;
	;;#ASMEND
	;;#ASMSTART
	v_cvt_f32_f16 v94, v0;
	;;#ASMEND
	v_or_b32_e32 v0, v104, v82
	v_pk_fma_f32 v[58:59], v[70:71], v[84:85], v[68:69]
	v_fma_mixlo_f16 v1, v15, v104, 0 op_sel:[0,1,0] op_sel_hi:[0,1,0]
	s_delay_alu instid0(VALU_DEP_3) | instskip(NEXT) | instid1(VALU_DEP_2)
	v_fma_mixlo_f16 v0, v15, v0, 0 op_sel_hi:[0,1,0]
	v_and_b32_e32 v1, 0xffff, v1
	s_delay_alu instid0(VALU_DEP_2)
	v_and_b32_e32 v0, 0xffff, v0
	;;#ASMSTART
	v_cvt_f32_f16 v105, v0;
	;;#ASMEND
	v_or_b32_e32 v0, v61, v87
	;;#ASMSTART
	v_cvt_f32_f16 v104, v1;
	;;#ASMEND
	v_fma_mixlo_f16 v1, v15, v61, 0 op_sel:[0,1,0] op_sel_hi:[0,1,0]
	;;#ASMSTART
	v_cvt_f32_f16 v69, v7;
	;;#ASMEND
	;;#ASMSTART
	v_cvt_f32_f16 v68, v6;
	;;#ASMEND
	v_fma_mixlo_f16 v0, v15, v0, 0 op_sel_hi:[0,1,0]
	s_delay_alu instid0(VALU_DEP_2) | instskip(NEXT) | instid1(VALU_DEP_2)
	v_and_b32_e32 v1, 0xffff, v1
	v_and_b32_e32 v0, 0xffff, v0
	;;#ASMSTART
	v_cvt_f32_f16 v71, v0;
	;;#ASMEND
	v_or_b32_e32 v0, v86, v88
	;;#ASMSTART
	v_cvt_f32_f16 v70, v1;
	;;#ASMEND
	v_fma_mixlo_f16 v1, v15, v86, 0 op_sel:[0,1,0] op_sel_hi:[0,1,0]
	;;#ASMSTART
	v_cvt_f32_f16 v65, v24;
	;;#ASMEND
	;;#ASMSTART
	v_cvt_f32_f16 v64, v8;
	;;#ASMEND
	v_fma_mixlo_f16 v0, v15, v0, 0 op_sel_hi:[0,1,0]
	s_delay_alu instid0(VALU_DEP_2) | instskip(NEXT) | instid1(VALU_DEP_2)
	v_and_b32_e32 v1, 0xffff, v1
	v_and_b32_e32 v0, 0xffff, v0
	;;#ASMSTART
	v_cvt_f32_f16 v67, v0;
	;;#ASMEND
	;;#ASMSTART
	v_cvt_f32_f16 v66, v1;
	;;#ASMEND
	ds_load_b128 v[84:87], v25 offset:128
	s_wait_dscnt 0x0
	v_and_b32_e32 v0, 0xffff, v84
	;;#ASMSTART
	v_cvt_f32_f16 v60, v0;
	;;#ASMEND
	v_dual_lshrrev_b32 v1, 16, v84 :: v_dual_bitop2_b32 v0, v90, v119 bitop3:0x54
	;;#ASMSTART
	v_cvt_f32_f16 v61, v1;
	;;#ASMEND
	v_lshrrev_b32_e32 v6, 16, v86
	v_and_b32_e32 v7, 0xffff, v86
	s_delay_alu instid0(VALU_DEP_3) | instskip(SKIP_3) | instid1(VALU_DEP_4)
	v_fma_mixlo_f16 v0, v15, v0, 0 op_sel_hi:[0,1,0]
	v_fma_mixlo_f16 v1, v15, v90, 0 op_sel:[0,1,0] op_sel_hi:[0,1,0]
	v_lshrrev_b32_e32 v8, 16, v87
	v_and_b32_e32 v24, 0xffff, v87
	v_and_b32_e32 v0, 0xffff, v0
	s_delay_alu instid0(VALU_DEP_4)
	v_and_b32_e32 v1, 0xffff, v1
	;;#ASMSTART
	v_cvt_f32_f16 v90, v0;
	;;#ASMEND
	;;#ASMSTART
	v_cvt_f32_f16 v91, v1;
	;;#ASMEND
	v_lshrrev_b32_e32 v0, 16, v85
	v_pk_fma_f32 v[120:121], v[60:61], v[90:91], v[58:59]
	v_and_b32_e32 v1, 0xffff, v85
	;;#ASMSTART
	v_cvt_f32_f16 v91, v1;
	;;#ASMEND
	;;#ASMSTART
	v_cvt_f32_f16 v90, v0;
	;;#ASMEND
	v_or_b32_e32 v0, v93, v73
	s_delay_alu instid0(VALU_DEP_2) | instskip(NEXT) | instid1(VALU_DEP_2)
	v_fma_mixlo_f16 v1, v15, v93, 0 op_sel:[0,1,0] op_sel_hi:[0,1,0]
	v_fma_mixlo_f16 v0, v15, v0, 0 op_sel_hi:[0,1,0]
	s_delay_alu instid0(VALU_DEP_2) | instskip(NEXT) | instid1(VALU_DEP_2)
	v_and_b32_e32 v1, 0xffff, v1
	v_and_b32_e32 v0, 0xffff, v0
	;;#ASMSTART
	v_cvt_f32_f16 v93, v0;
	;;#ASMEND
	v_or_b32_e32 v0, v72, v83
	;;#ASMSTART
	v_cvt_f32_f16 v92, v1;
	;;#ASMEND
	v_fma_mixlo_f16 v1, v15, v72, 0 op_sel:[0,1,0] op_sel_hi:[0,1,0]
	;;#ASMSTART
	v_cvt_f32_f16 v85, v7;
	;;#ASMEND
	;;#ASMSTART
	v_cvt_f32_f16 v84, v6;
	;;#ASMEND
	v_fma_mixlo_f16 v0, v15, v0, 0 op_sel_hi:[0,1,0]
	s_delay_alu instid0(VALU_DEP_2) | instskip(NEXT) | instid1(VALU_DEP_2)
	v_and_b32_e32 v1, 0xffff, v1
	v_and_b32_e32 v0, 0xffff, v0
	;;#ASMSTART
	v_cvt_f32_f16 v87, v0;
	;;#ASMEND
	v_or_b32_e32 v0, v113, v78
	;;#ASMSTART
	v_cvt_f32_f16 v86, v1;
	;;#ASMEND
	v_fma_mixlo_f16 v1, v15, v113, 0 op_sel:[0,1,0] op_sel_hi:[0,1,0]
	;;#ASMSTART
	v_cvt_f32_f16 v81, v24;
	;;#ASMEND
	;;#ASMSTART
	v_cvt_f32_f16 v80, v8;
	;;#ASMEND
	v_fma_mixlo_f16 v0, v15, v0, 0 op_sel_hi:[0,1,0]
	s_delay_alu instid0(VALU_DEP_2) | instskip(NEXT) | instid1(VALU_DEP_2)
	v_and_b32_e32 v1, 0xffff, v1
	v_and_b32_e32 v0, 0xffff, v0
	;;#ASMSTART
	v_cvt_f32_f16 v83, v0;
	;;#ASMEND
	;;#ASMSTART
	v_cvt_f32_f16 v82, v1;
	;;#ASMEND
	ds_load_b128 v[58:61], v25 offset:144
	s_wait_dscnt 0x0
	v_and_b32_e32 v0, 0xffff, v58
	;;#ASMSTART
	v_cvt_f32_f16 v122, v0;
	;;#ASMEND
	v_dual_lshrrev_b32 v1, 16, v58 :: v_dual_bitop2_b32 v0, v41, v112 bitop3:0x54
	;;#ASMSTART
	v_cvt_f32_f16 v123, v1;
	;;#ASMEND
	v_lshrrev_b32_e32 v6, 16, v60
	v_and_b32_e32 v7, 0xffff, v60
	s_delay_alu instid0(VALU_DEP_3) | instskip(SKIP_3) | instid1(VALU_DEP_4)
	v_fma_mixlo_f16 v0, v15, v0, 0 op_sel_hi:[0,1,0]
	v_fma_mixlo_f16 v1, v15, v41, 0 op_sel:[0,1,0] op_sel_hi:[0,1,0]
	v_lshrrev_b32_e32 v8, 16, v61
	v_and_b32_e32 v24, 0xffff, v61
	v_and_b32_e32 v0, 0xffff, v0
	s_delay_alu instid0(VALU_DEP_4)
	v_and_b32_e32 v1, 0xffff, v1
	;;#ASMSTART
	v_cvt_f32_f16 v78, v0;
	;;#ASMEND
	;;#ASMSTART
	v_cvt_f32_f16 v79, v1;
	;;#ASMEND
	v_lshrrev_b32_e32 v0, 16, v59
	v_pk_fma_f32 v[120:121], v[122:123], v[78:79], v[120:121]
	v_and_b32_e32 v1, 0xffff, v59
	;;#ASMSTART
	v_cvt_f32_f16 v79, v1;
	;;#ASMEND
	;;#ASMSTART
	v_cvt_f32_f16 v78, v0;
	;;#ASMEND
	v_or_b32_e32 v0, v118, v40
	v_pk_fma_f32 v[122:123], v[100:101], v[102:103], v[34:35]
	v_fma_mixlo_f16 v1, v15, v118, 0 op_sel:[0,1,0] op_sel_hi:[0,1,0]
	s_delay_alu instid0(VALU_DEP_3) | instskip(NEXT) | instid1(VALU_DEP_3)
	v_fma_mixlo_f16 v0, v15, v0, 0 op_sel_hi:[0,1,0]
	v_pk_fma_f32 v[74:75], v[114:115], v[116:117], v[122:123]
	s_delay_alu instid0(VALU_DEP_3) | instskip(NEXT) | instid1(VALU_DEP_3)
	v_and_b32_e32 v1, 0xffff, v1
	v_and_b32_e32 v0, 0xffff, v0
	;;#ASMSTART
	v_cvt_f32_f16 v89, v0;
	;;#ASMEND
	v_or_b32_e32 v0, v63, v76
	;;#ASMSTART
	v_cvt_f32_f16 v88, v1;
	;;#ASMEND
	v_fma_mixlo_f16 v1, v15, v63, 0 op_sel:[0,1,0] op_sel_hi:[0,1,0]
	;;#ASMSTART
	v_cvt_f32_f16 v103, v7;
	;;#ASMEND
	;;#ASMSTART
	v_cvt_f32_f16 v102, v6;
	;;#ASMEND
	v_fma_mixlo_f16 v0, v15, v0, 0 op_sel_hi:[0,1,0]
	v_pk_fma_f32 v[110:111], v[42:43], v[46:47], v[74:75]
	v_and_b32_e32 v1, 0xffff, v1
	s_delay_alu instid0(VALU_DEP_3)
	v_and_b32_e32 v0, 0xffff, v0
	;;#ASMSTART
	v_cvt_f32_f16 v113, v0;
	;;#ASMEND
	v_or_b32_e32 v0, v62, v77
	;;#ASMSTART
	v_cvt_f32_f16 v112, v1;
	;;#ASMEND
	v_fma_mixlo_f16 v1, v15, v62, 0 op_sel:[0,1,0] op_sel_hi:[0,1,0]
	;;#ASMSTART
	v_cvt_f32_f16 v35, v24;
	;;#ASMEND
	;;#ASMSTART
	v_cvt_f32_f16 v34, v8;
	;;#ASMEND
	v_fma_mixlo_f16 v0, v15, v0, 0 op_sel_hi:[0,1,0]
	v_pk_fma_f32 v[110:111], v[94:95], v[104:105], v[110:111]
	v_and_b32_e32 v1, 0xffff, v1
	s_delay_alu instid0(VALU_DEP_3)
	v_and_b32_e32 v0, 0xffff, v0
	;;#ASMSTART
	v_cvt_f32_f16 v101, v0;
	;;#ASMEND
	;;#ASMSTART
	v_cvt_f32_f16 v100, v1;
	;;#ASMEND
	ds_load_b128 v[58:61], v25 offset:160
	s_wait_dscnt 0x0
	v_and_b32_e32 v0, 0xffff, v58
	;;#ASMSTART
	v_cvt_f32_f16 v72, v0;
	;;#ASMEND
	v_dual_lshrrev_b32 v1, 16, v58 :: v_dual_bitop2_b32 v0, v124, v108 bitop3:0x54
	;;#ASMSTART
	v_cvt_f32_f16 v73, v1;
	;;#ASMEND
	v_lshrrev_b32_e32 v6, 16, v60
	v_and_b32_e32 v7, 0xffff, v60
	s_delay_alu instid0(VALU_DEP_3) | instskip(SKIP_3) | instid1(VALU_DEP_4)
	v_fma_mixlo_f16 v0, v15, v0, 0 op_sel_hi:[0,1,0]
	v_fma_mixlo_f16 v1, v15, v124, 0 op_sel:[0,1,0] op_sel_hi:[0,1,0]
	v_lshrrev_b32_e32 v8, 16, v61
	v_and_b32_e32 v24, 0xffff, v61
	v_and_b32_e32 v0, 0xffff, v0
	s_delay_alu instid0(VALU_DEP_4)
	v_and_b32_e32 v1, 0xffff, v1
	;;#ASMSTART
	v_cvt_f32_f16 v40, v0;
	;;#ASMEND
	v_lshrrev_b32_e32 v0, 16, v59
	;;#ASMSTART
	v_cvt_f32_f16 v41, v1;
	;;#ASMEND
	v_and_b32_e32 v1, 0xffff, v59
	;;#ASMSTART
	v_cvt_f32_f16 v61, v1;
	;;#ASMEND
	;;#ASMSTART
	v_cvt_f32_f16 v60, v0;
	;;#ASMEND
	v_or_b32_e32 v0, v126, v109
	v_pk_fma_f32 v[106:107], v[72:73], v[40:41], v[120:121]
	v_fma_mixlo_f16 v1, v15, v126, 0 op_sel:[0,1,0] op_sel_hi:[0,1,0]
	s_delay_alu instid0(VALU_DEP_3) | instskip(NEXT) | instid1(VALU_DEP_2)
	v_fma_mixlo_f16 v0, v15, v0, 0 op_sel_hi:[0,1,0]
	v_and_b32_e32 v1, 0xffff, v1
	s_delay_alu instid0(VALU_DEP_2)
	v_and_b32_e32 v0, 0xffff, v0
	;;#ASMSTART
	v_cvt_f32_f16 v73, v0;
	;;#ASMEND
	v_or_b32_e32 v0, v29, v9
	;;#ASMSTART
	v_cvt_f32_f16 v72, v1;
	;;#ASMEND
	v_fma_mixlo_f16 v1, v15, v29, 0 op_sel:[0,1,0] op_sel_hi:[0,1,0]
	;;#ASMSTART
	v_cvt_f32_f16 v119, v7;
	;;#ASMEND
	;;#ASMSTART
	v_cvt_f32_f16 v118, v6;
	;;#ASMEND
	v_fma_mixlo_f16 v0, v15, v0, 0 op_sel_hi:[0,1,0]
	s_delay_alu instid0(VALU_DEP_2) | instskip(NEXT) | instid1(VALU_DEP_2)
	v_and_b32_e32 v1, 0xffff, v1
	v_and_b32_e32 v0, 0xffff, v0
	;;#ASMSTART
	v_cvt_f32_f16 v41, v0;
	;;#ASMEND
	v_or_b32_e32 v0, v13, v23
	;;#ASMSTART
	v_cvt_f32_f16 v40, v1;
	;;#ASMEND
	v_fma_mixlo_f16 v1, v15, v13, 0 op_sel:[0,1,0] op_sel_hi:[0,1,0]
	;;#ASMSTART
	v_cvt_f32_f16 v115, v24;
	;;#ASMEND
	;;#ASMSTART
	v_cvt_f32_f16 v114, v8;
	;;#ASMEND
	v_fma_mixlo_f16 v0, v15, v0, 0 op_sel_hi:[0,1,0]
	s_delay_alu instid0(VALU_DEP_2) | instskip(NEXT) | instid1(VALU_DEP_2)
	v_and_b32_e32 v1, 0xffff, v1
	v_and_b32_e32 v0, 0xffff, v0
	;;#ASMSTART
	v_cvt_f32_f16 v117, v0;
	;;#ASMEND
	;;#ASMSTART
	v_cvt_f32_f16 v116, v1;
	;;#ASMEND
	ds_load_b128 v[120:123], v25 offset:176
	s_wait_dscnt 0x0
	v_and_b32_e32 v0, 0xffff, v120
	;;#ASMSTART
	v_cvt_f32_f16 v58, v0;
	;;#ASMEND
	v_dual_lshrrev_b32 v1, 16, v120 :: v_dual_bitop2_b32 v0, v11, v14 bitop3:0x54
	;;#ASMSTART
	v_cvt_f32_f16 v59, v1;
	;;#ASMEND
	v_lshrrev_b32_e32 v6, 16, v122
	v_and_b32_e32 v7, 0xffff, v122
	s_delay_alu instid0(VALU_DEP_3)
	v_fma_mixlo_f16 v0, v15, v0, 0 op_sel_hi:[0,1,0]
	v_fma_mixlo_f16 v1, v15, v11, 0 op_sel:[0,1,0] op_sel_hi:[0,1,0]
	v_lshrrev_b32_e32 v8, 16, v123
	v_and_b32_e32 v24, 0xffff, v123
	v_or_b32_e32 v11, v18, v20
	v_and_b32_e32 v0, 0xffff, v0
	v_and_b32_e32 v1, 0xffff, v1
	;;#ASMSTART
	v_cvt_f32_f16 v76, v0;
	;;#ASMEND
	v_lshrrev_b32_e32 v0, 16, v121
	;;#ASMSTART
	v_cvt_f32_f16 v77, v1;
	;;#ASMEND
	v_and_b32_e32 v1, 0xffff, v121
	;;#ASMSTART
	v_cvt_f32_f16 v75, v1;
	;;#ASMEND
	;;#ASMSTART
	v_cvt_f32_f16 v74, v0;
	;;#ASMEND
	scratch_load_b32 v0, off, s32 offset:280 th:TH_LOAD_LU ; 4-byte Folded Reload
	v_pk_fma_f32 v[106:107], v[58:59], v[76:77], v[106:107]
	v_fma_mixlo_f16 v1, v15, v127, 0 op_sel:[0,1,0] op_sel_hi:[0,1,0]
	s_delay_alu instid0(VALU_DEP_1) | instskip(SKIP_2) | instid1(VALU_DEP_1)
	v_and_b32_e32 v1, 0xffff, v1
	s_wait_loadcnt 0x0
	v_or_b32_e32 v0, v127, v0
	v_fma_mixlo_f16 v0, v15, v0, 0 op_sel_hi:[0,1,0]
	s_delay_alu instid0(VALU_DEP_1)
	v_and_b32_e32 v0, 0xffff, v0
	;;#ASMSTART
	v_cvt_f32_f16 v77, v0;
	;;#ASMEND
	;;#ASMSTART
	v_cvt_f32_f16 v76, v1;
	;;#ASMEND
	;; [unrolled: 3-line block ×4, first 2 shown]
	s_clause 0x1
	scratch_load_b32 v0, off, s32 offset:276 th:TH_LOAD_LU
	scratch_load_b32 v1, off, s32 offset:288 th:TH_LOAD_LU
	s_wait_loadcnt 0x0
	v_or_b32_e32 v0, v1, v0
	v_fma_mixlo_f16 v1, v15, v1, 0 op_sel:[0,1,0] op_sel_hi:[0,1,0]
	s_delay_alu instid0(VALU_DEP_2) | instskip(NEXT) | instid1(VALU_DEP_2)
	v_fma_mixlo_f16 v0, v15, v0, 0 op_sel_hi:[0,1,0]
	v_and_b32_e32 v1, 0xffff, v1
	s_delay_alu instid0(VALU_DEP_2)
	v_and_b32_e32 v0, 0xffff, v0
	;;#ASMSTART
	v_cvt_f32_f16 v63, v0;
	;;#ASMEND
	;;#ASMSTART
	v_cvt_f32_f16 v62, v1;
	;;#ASMEND
	;; [unrolled: 3-line block ×4, first 2 shown]
	s_clause 0x1
	scratch_load_b32 v0, off, s32 offset:284 th:TH_LOAD_LU
	scratch_load_b32 v1, off, s32 offset:248 th:TH_LOAD_LU
	s_wait_loadcnt 0x0
	v_or_b32_e32 v0, v1, v0
	v_fma_mixlo_f16 v1, v15, v1, 0 op_sel:[0,1,0] op_sel_hi:[0,1,0]
	s_delay_alu instid0(VALU_DEP_2) | instskip(NEXT) | instid1(VALU_DEP_2)
	v_fma_mixlo_f16 v0, v15, v0, 0 op_sel_hi:[0,1,0]
	v_and_b32_e32 v1, 0xffff, v1
	s_delay_alu instid0(VALU_DEP_2)
	v_and_b32_e32 v0, 0xffff, v0
	;;#ASMSTART
	v_cvt_f32_f16 v47, v0;
	;;#ASMEND
	;;#ASMSTART
	v_cvt_f32_f16 v46, v1;
	;;#ASMEND
	ds_load_b128 v[120:123], v25 offset:192
	s_wait_dscnt 0x0
	v_and_b32_e32 v0, 0xffff, v120
	v_lshrrev_b32_e32 v1, 16, v120
	;;#ASMSTART
	v_cvt_f32_f16 v108, v0;
	;;#ASMEND
	;;#ASMSTART
	v_cvt_f32_f16 v109, v1;
	;;#ASMEND
	s_clause 0x1
	scratch_load_b32 v0, off, s32 offset:292 th:TH_LOAD_LU
	scratch_load_b32 v1, off, s32 offset:300 th:TH_LOAD_LU
	v_lshrrev_b32_e32 v6, 16, v122
	v_and_b32_e32 v7, 0xffff, v122
	v_lshrrev_b32_e32 v8, 16, v123
	v_and_b32_e32 v24, 0xffff, v123
	s_wait_loadcnt 0x0
	v_or_b32_e32 v0, v1, v0
	v_fma_mixlo_f16 v1, v15, v1, 0 op_sel:[0,1,0] op_sel_hi:[0,1,0]
	s_delay_alu instid0(VALU_DEP_2) | instskip(NEXT) | instid1(VALU_DEP_2)
	v_fma_mixlo_f16 v0, v15, v0, 0 op_sel_hi:[0,1,0]
	v_and_b32_e32 v1, 0xffff, v1
	s_delay_alu instid0(VALU_DEP_2)
	v_and_b32_e32 v0, 0xffff, v0
	;;#ASMSTART
	v_cvt_f32_f16 v124, v0;
	;;#ASMEND
	;;#ASMSTART
	v_cvt_f32_f16 v125, v1;
	;;#ASMEND
	v_lshrrev_b32_e32 v0, 16, v121
	v_and_b32_e32 v1, 0xffff, v121
	;;#ASMSTART
	v_cvt_f32_f16 v105, v1;
	;;#ASMEND
	;;#ASMSTART
	v_cvt_f32_f16 v104, v0;
	;;#ASMEND
	s_clause 0x1
	scratch_load_b32 v0, off, s32 offset:296 th:TH_LOAD_LU
	scratch_load_b32 v1, off, s32 offset:308 th:TH_LOAD_LU
	v_pk_fma_f32 v[108:109], v[108:109], v[124:125], v[106:107]
	v_pk_fma_f32 v[124:125], v[44:45], v[56:57], v[32:33]
	s_wait_loadcnt 0x0
	v_or_b32_e32 v0, v1, v0
	v_fma_mixlo_f16 v1, v15, v1, 0 op_sel:[0,1,0] op_sel_hi:[0,1,0]
	s_delay_alu instid0(VALU_DEP_2) | instskip(NEXT) | instid1(VALU_DEP_2)
	v_fma_mixlo_f16 v0, v15, v0, 0 op_sel_hi:[0,1,0]
	v_and_b32_e32 v1, 0xffff, v1
	s_delay_alu instid0(VALU_DEP_2)
	v_and_b32_e32 v0, 0xffff, v0
	;;#ASMSTART
	v_cvt_f32_f16 v107, v0;
	;;#ASMEND
	;;#ASMSTART
	v_cvt_f32_f16 v106, v1;
	;;#ASMEND
	;; [unrolled: 3-line block ×4, first 2 shown]
	s_clause 0x1
	scratch_load_b32 v0, off, s32 offset:304 th:TH_LOAD_LU
	scratch_load_b32 v1, off, s32 offset:204 th:TH_LOAD_LU
	s_wait_loadcnt 0x0
	v_or_b32_e32 v0, v1, v0
	v_fma_mixlo_f16 v1, v15, v1, 0 op_sel:[0,1,0] op_sel_hi:[0,1,0]
	s_delay_alu instid0(VALU_DEP_2) | instskip(NEXT) | instid1(VALU_DEP_2)
	v_fma_mixlo_f16 v0, v15, v0, 0 op_sel_hi:[0,1,0]
	v_and_b32_e32 v1, 0xffff, v1
	s_delay_alu instid0(VALU_DEP_2)
	v_and_b32_e32 v0, 0xffff, v0
	;;#ASMSTART
	v_cvt_f32_f16 v95, v0;
	;;#ASMEND
	;;#ASMSTART
	v_cvt_f32_f16 v94, v1;
	;;#ASMEND
	;;#ASMSTART
	v_cvt_f32_f16 v33, v24;
	;;#ASMEND
	;;#ASMSTART
	v_cvt_f32_f16 v32, v8;
	;;#ASMEND
	s_clause 0x1
	scratch_load_b32 v0, off, s32 offset:200 th:TH_LOAD_LU
	scratch_load_b32 v1, off, s32 offset:252 th:TH_LOAD_LU
	s_wait_loadcnt 0x0
	v_or_b32_e32 v0, v1, v0
	v_fma_mixlo_f16 v1, v15, v1, 0 op_sel:[0,1,0] op_sel_hi:[0,1,0]
	s_delay_alu instid0(VALU_DEP_2) | instskip(NEXT) | instid1(VALU_DEP_2)
	v_fma_mixlo_f16 v0, v15, v0, 0 op_sel_hi:[0,1,0]
	v_and_b32_e32 v1, 0xffff, v1
	s_delay_alu instid0(VALU_DEP_2)
	v_and_b32_e32 v0, 0xffff, v0
	;;#ASMSTART
	v_cvt_f32_f16 v45, v0;
	;;#ASMEND
	;;#ASMSTART
	v_cvt_f32_f16 v44, v1;
	;;#ASMEND
	ds_load_b128 v[120:123], v25 offset:208
	s_wait_dscnt 0x0
	v_and_b32_e32 v0, 0xffff, v120
	v_lshrrev_b32_e32 v1, 16, v120
	;;#ASMSTART
	v_cvt_f32_f16 v8, v0;
	;;#ASMEND
	;;#ASMSTART
	v_cvt_f32_f16 v9, v1;
	;;#ASMEND
	s_clause 0x1
	scratch_load_b32 v0, off, s32 offset:208 th:TH_LOAD_LU
	scratch_load_b32 v1, off, s32 offset:216 th:TH_LOAD_LU
	v_lshrrev_b32_e32 v24, 16, v123
	v_and_b32_e32 v29, 0xffff, v123
	s_wait_loadcnt 0x0
	v_or_b32_e32 v0, v1, v0
	v_fma_mixlo_f16 v1, v15, v1, 0 op_sel:[0,1,0] op_sel_hi:[0,1,0]
	s_delay_alu instid0(VALU_DEP_2) | instskip(NEXT) | instid1(VALU_DEP_2)
	v_fma_mixlo_f16 v0, v15, v0, 0 op_sel_hi:[0,1,0]
	v_and_b32_e32 v1, 0xffff, v1
	s_delay_alu instid0(VALU_DEP_2)
	v_and_b32_e32 v0, 0xffff, v0
	;;#ASMSTART
	v_cvt_f32_f16 v6, v0;
	;;#ASMEND
	;;#ASMSTART
	v_cvt_f32_f16 v7, v1;
	;;#ASMEND
	v_pk_fma_f32 v[0:1], v[2:3], v[4:5], v[124:125]
	v_lshrrev_b32_e32 v2, 16, v121
	v_and_b32_e32 v3, 0xffff, v121
	;;#ASMSTART
	v_cvt_f32_f16 v121, v3;
	;;#ASMEND
	;;#ASMSTART
	v_cvt_f32_f16 v120, v2;
	;;#ASMEND
	s_clause 0x1
	scratch_load_b32 v2, off, s32 offset:212 th:TH_LOAD_LU
	scratch_load_b32 v3, off, s32 offset:224 th:TH_LOAD_LU
	v_pk_fma_f32 v[6:7], v[8:9], v[6:7], v[108:109]
	v_lshrrev_b32_e32 v4, 16, v122
	v_and_b32_e32 v5, 0xffff, v122
	v_pk_fma_f32 v[8:9], v[90:91], v[92:93], v[110:111]
	v_pk_fma_f32 v[96:97], v[96:97], v[98:99], v[0:1]
	v_pk_fma_f32 v[0:1], v[52:53], v[54:55], v[30:31]
	s_delay_alu instid0(VALU_DEP_3) | instskip(NEXT) | instid1(VALU_DEP_3)
	v_pk_fma_f32 v[78:79], v[78:79], v[88:89], v[8:9]
	v_pk_fma_f32 v[68:69], v[68:69], v[70:71], v[96:97]
	s_delay_alu instid0(VALU_DEP_3) | instskip(SKIP_1) | instid1(VALU_DEP_2)
	v_pk_fma_f32 v[0:1], v[36:37], v[38:39], v[0:1]
	v_add_nc_u32_e32 v37, 0x80, v12
	v_pk_fma_f32 v[0:1], v[48:49], v[50:51], v[0:1]
	s_delay_alu instid0(VALU_DEP_1) | instskip(NEXT) | instid1(VALU_DEP_1)
	v_pk_fma_f32 v[0:1], v[64:65], v[66:67], v[0:1]
	v_pk_fma_f32 v[0:1], v[80:81], v[82:83], v[0:1]
	s_delay_alu instid0(VALU_DEP_1) | instskip(NEXT) | instid1(VALU_DEP_1)
	v_pk_fma_f32 v[0:1], v[34:35], v[100:101], v[0:1]
	;; [unrolled: 3-line block ×3, first 2 shown]
	v_pk_fma_f32 v[0:1], v[32:33], v[44:45], v[0:1]
	s_wait_loadcnt 0x0
	v_or_b32_e32 v2, v3, v2
	v_fma_mixlo_f16 v3, v15, v3, 0 op_sel:[0,1,0] op_sel_hi:[0,1,0]
	s_delay_alu instid0(VALU_DEP_2) | instskip(NEXT) | instid1(VALU_DEP_2)
	v_fma_mixlo_f16 v2, v15, v2, 0 op_sel_hi:[0,1,0]
	v_and_b32_e32 v3, 0xffff, v3
	s_delay_alu instid0(VALU_DEP_2)
	v_and_b32_e32 v2, 0xffff, v2
	;;#ASMSTART
	v_cvt_f32_f16 v123, v2;
	;;#ASMEND
	;;#ASMSTART
	v_cvt_f32_f16 v122, v3;
	;;#ASMEND
	;; [unrolled: 3-line block ×4, first 2 shown]
	s_clause 0x1
	scratch_load_b32 v2, off, s32 offset:220 th:TH_LOAD_LU
	scratch_load_b32 v3, off, s32 offset:312 th:TH_LOAD_LU
	s_wait_loadcnt 0x0
	v_or_b32_e32 v2, v3, v2
	v_fma_mixlo_f16 v3, v15, v3, 0 op_sel:[0,1,0] op_sel_hi:[0,1,0]
	s_delay_alu instid0(VALU_DEP_2) | instskip(NEXT) | instid1(VALU_DEP_2)
	v_fma_mixlo_f16 v2, v15, v2, 0 op_sel_hi:[0,1,0]
	v_and_b32_e32 v3, 0xffff, v3
	s_delay_alu instid0(VALU_DEP_2)
	v_and_b32_e32 v2, 0xffff, v2
	;;#ASMSTART
	v_cvt_f32_f16 v111, v2;
	;;#ASMEND
	;;#ASMSTART
	v_cvt_f32_f16 v110, v3;
	;;#ASMEND
	;; [unrolled: 3-line block ×4, first 2 shown]
	scratch_load_b32 v2, off, s32 offset:228 th:TH_LOAD_LU ; 4-byte Folded Reload
	v_fma_mixlo_f16 v3, v15, v17, 0 op_sel:[0,1,0] op_sel_hi:[0,1,0]
	s_delay_alu instid0(VALU_DEP_1) | instskip(SKIP_2) | instid1(VALU_DEP_1)
	v_and_b32_e32 v3, 0xffff, v3
	s_wait_loadcnt 0x0
	v_or_b32_e32 v2, v17, v2
	v_fma_mixlo_f16 v2, v15, v2, 0 op_sel_hi:[0,1,0]
	s_delay_alu instid0(VALU_DEP_1)
	v_and_b32_e32 v2, 0xffff, v2
	;;#ASMSTART
	v_cvt_f32_f16 v93, v2;
	;;#ASMEND
	;;#ASMSTART
	v_cvt_f32_f16 v92, v3;
	;;#ASMEND
	ds_load_b128 v[2:5], v25 offset:224
	v_pk_fma_f32 v[0:1], v[90:91], v[92:93], v[0:1]
	s_wait_dscnt 0x0
	v_and_b32_e32 v14, 0xffff, v2
	v_lshrrev_b32_e32 v2, 16, v2
	;;#ASMSTART
	v_cvt_f32_f16 v124, v14;
	;;#ASMEND
	;;#ASMSTART
	v_cvt_f32_f16 v125, v2;
	;;#ASMEND
	scratch_load_b32 v2, off, s32 offset:232 th:TH_LOAD_LU ; 4-byte Folded Reload
	v_fma_mixlo_f16 v14, v15, v19, 0 op_sel:[0,1,0] op_sel_hi:[0,1,0]
	v_and_b32_e32 v17, 0xffff, v4
	s_delay_alu instid0(VALU_DEP_2) | instskip(SKIP_3) | instid1(VALU_DEP_2)
	v_and_b32_e32 v14, 0xffff, v14
	s_wait_loadcnt 0x0
	v_dual_lshrrev_b32 v19, 16, v5 :: v_dual_bitop2_b32 v2, v19, v2 bitop3:0x54
	v_and_b32_e32 v5, 0xffff, v5
	v_fma_mixlo_f16 v2, v15, v2, 0 op_sel_hi:[0,1,0]
	s_delay_alu instid0(VALU_DEP_1)
	v_and_b32_e32 v2, 0xffff, v2
	;;#ASMSTART
	v_cvt_f32_f16 v126, v2;
	;;#ASMEND
	;;#ASMSTART
	v_cvt_f32_f16 v127, v14;
	;;#ASMEND
	scratch_load_b32 v2, off, s32 offset:236 th:TH_LOAD_LU ; 4-byte Folded Reload
	v_pk_fma_f32 v[124:125], v[124:125], v[126:127], v[6:7]
	v_lshrrev_b32_e32 v6, 16, v3
	v_and_b32_e32 v7, 0xffff, v3
	v_lshrrev_b32_e32 v14, 16, v4
	v_fma_mixlo_f16 v3, v15, v22, 0 op_sel:[0,1,0] op_sel_hi:[0,1,0]
	s_delay_alu instid0(VALU_DEP_1) | instskip(SKIP_2) | instid1(VALU_DEP_1)
	v_and_b32_e32 v8, 0xffff, v3
	s_wait_loadcnt 0x0
	v_or_b32_e32 v2, v22, v2
	v_fma_mixlo_f16 v2, v15, v2, 0 op_sel_hi:[0,1,0]
	s_delay_alu instid0(VALU_DEP_1)
	v_and_b32_e32 v4, 0xffff, v2
	scratch_load_b32 v2, off, s32 offset:240 th:TH_LOAD_LU ; 4-byte Folded Reload
	;;#ASMSTART
	v_cvt_f32_f16 v7, v7;
	;;#ASMEND
	;;#ASMSTART
	v_cvt_f32_f16 v6, v6;
	;;#ASMEND
	;; [unrolled: 3-line block ×3, first 2 shown]
	scratch_load_b32 v3, off, s32 offset:244 th:TH_LOAD_LU ; 4-byte Folded Reload
	v_fma_mixlo_f16 v4, v15, v10, 0 op_sel:[0,1,0] op_sel_hi:[0,1,0]
	;;#ASMSTART
	v_cvt_f32_f16 v8, v8;
	;;#ASMEND
	;;#ASMSTART
	v_cvt_f32_f16 v55, v17;
	;;#ASMEND
	;; [unrolled: 3-line block ×3, first 2 shown]
	s_delay_alu instid0(VALU_DEP_1) | instskip(SKIP_4) | instid1(VALU_DEP_2)
	v_and_b32_e32 v4, 0xffff, v4
	s_wait_loadcnt 0x1
	v_or_b32_e32 v2, v10, v2
	s_wait_loadcnt 0x0
	v_or_b32_e32 v3, v16, v3
	v_fma_mixlo_f16 v2, v15, v2, 0 op_sel_hi:[0,1,0]
	s_delay_alu instid0(VALU_DEP_1) | instskip(NEXT) | instid1(VALU_DEP_3)
	v_and_b32_e32 v10, 0xffff, v2
	v_fma_mixlo_f16 v2, v15, v3, 0 op_sel_hi:[0,1,0]
	v_fma_mixlo_f16 v3, v15, v16, 0 op_sel:[0,1,0] op_sel_hi:[0,1,0]
	;;#ASMSTART
	v_cvt_f32_f16 v99, v10;
	;;#ASMEND
	;;#ASMSTART
	v_cvt_f32_f16 v98, v4;
	;;#ASMEND
	;; [unrolled: 3-line block ×3, first 2 shown]
	v_and_b32_e32 v2, 0xffff, v2
	v_and_b32_e32 v3, 0xffff, v3
	;;#ASMSTART
	v_cvt_f32_f16 v30, v19;
	;;#ASMEND
	;;#ASMSTART
	v_cvt_f32_f16 v53, v2;
	;;#ASMEND
	;; [unrolled: 3-line block ×3, first 2 shown]
	ds_load_b128 v[2:5], v25 offset:240
	v_fma_mixlo_f16 v19, v15, v26, 0 op_sel:[0,1,0] op_sel_hi:[0,1,0]
	v_pk_fma_f32 v[0:1], v[30:31], v[52:53], v[0:1]
	s_wait_dscnt 0x0
	v_and_b32_e32 v10, 0xffff, v2
	v_lshrrev_b32_e32 v2, 16, v2
	;;#ASMSTART
	v_cvt_f32_f16 v16, v10;
	;;#ASMEND
	;;#ASMSTART
	v_cvt_f32_f16 v17, v2;
	;;#ASMEND
	scratch_load_b32 v2, off, s32 offset:316 th:TH_LOAD_LU ; 4-byte Folded Reload
	v_fma_mixlo_f16 v10, v15, v21, 0 op_sel:[0,1,0] op_sel_hi:[0,1,0]
	v_and_b32_e32 v14, 0xffff, v3
	s_delay_alu instid0(VALU_DEP_2) | instskip(SKIP_3) | instid1(VALU_DEP_2)
	v_and_b32_e32 v10, 0xffff, v10
	s_wait_loadcnt 0x0
	v_or_b32_e32 v2, v21, v2
	v_fma_mixlo_f16 v21, v15, v27, 0 op_sel:[0,1,0] op_sel_hi:[0,1,0]
	v_fma_mixlo_f16 v2, v15, v2, 0 op_sel_hi:[0,1,0]
	s_delay_alu instid0(VALU_DEP_1)
	v_and_b32_e32 v2, 0xffff, v2
	;;#ASMSTART
	v_cvt_f32_f16 v22, v2;
	;;#ASMEND
	;;#ASMSTART
	v_cvt_f32_f16 v23, v10;
	;;#ASMEND
	v_pk_fma_f32 v[16:17], v[16:17], v[22:23], v[124:125]
	v_pk_fma_f32 v[22:23], v[60:61], v[72:73], v[78:79]
	s_clause 0x1
	scratch_load_b64 v[60:61], off, s32 offset:364
	scratch_load_b32 v10, off, s32 offset:320 th:TH_LOAD_LU
	s_wait_loadcnt 0x1
	v_sub_nc_u32_e32 v2, 1, v60
	s_delay_alu instid0(VALU_DEP_1) | instskip(NEXT) | instid1(VALU_DEP_1)
	v_add_nc_u32_e32 v2, v2, v12
	v_cvt_f32_i32_e32 v13, v2
	scratch_load_b32 v2, off, s32 offset:324 th:TH_LOAD_LU ; 4-byte Folded Reload
	s_wait_loadcnt 0x1
	v_or_b32_e32 v10, v26, v10
	v_fma_mixlo_f16 v26, v15, v11, 0 op_sel_hi:[0,1,0]
	s_delay_alu instid0(VALU_DEP_2) | instskip(SKIP_1) | instid1(VALU_DEP_1)
	v_fma_mixlo_f16 v20, v15, v10, 0 op_sel_hi:[0,1,0]
	v_pk_fma_f32 v[10:11], v[84:85], v[86:87], v[68:69]
	v_pk_fma_f32 v[10:11], v[102:103], v[112:113], v[10:11]
	s_delay_alu instid0(VALU_DEP_1) | instskip(SKIP_4) | instid1(VALU_DEP_3)
	v_pk_fma_f32 v[10:11], v[118:119], v[40:41], v[10:11]
	s_wait_loadcnt 0x0
	v_or_b32_e32 v2, v27, v2
	v_fma_mixlo_f16 v27, v15, v18, 0 op_sel:[0,1,0] op_sel_hi:[0,1,0]
	v_lshrrev_b32_e32 v18, 16, v3
	v_fma_mixlo_f16 v24, v15, v2, 0 op_sel_hi:[0,1,0]
	v_pk_fma_f32 v[2:3], v[74:75], v[76:77], v[22:23]
	;;#ASMSTART
	v_cvt_f32_f16 v15, v14;
	;;#ASMEND
	;;#ASMSTART
	v_cvt_f32_f16 v14, v18;
	;;#ASMEND
	v_and_b32_e32 v18, 0xffff, v20
	v_and_b32_e32 v20, 0xffff, v19
	v_pk_fma_f32 v[2:3], v[104:105], v[106:107], v[2:3]
	;;#ASMSTART
	v_cvt_f32_f16 v19, v18;
	;;#ASMEND
	;;#ASMSTART
	v_cvt_f32_f16 v18, v20;
	;;#ASMEND
	s_delay_alu instid0(VALU_DEP_1) | instskip(NEXT) | instid1(VALU_DEP_1)
	v_pk_fma_f32 v[2:3], v[120:121], v[122:123], v[2:3]
	v_pk_fma_f32 v[2:3], v[6:7], v[8:9], v[2:3]
	;; [unrolled: 1-line block ×3, first 2 shown]
	v_and_b32_e32 v8, 0xffff, v4
	v_lshrrev_b32_e32 v4, 16, v4
	;;#ASMSTART
	v_cvt_f32_f16 v9, v8;
	;;#ASMEND
	v_pk_fma_f32 v[2:3], v[14:15], v[18:19], v[2:3]
	v_pk_fma_f32 v[6:7], v[56:57], v[94:95], v[6:7]
	;;#ASMSTART
	v_cvt_f32_f16 v8, v4;
	;;#ASMEND
	v_add_f32_e32 v4, v16, v17
	v_and_b32_e32 v10, 0xffff, v24
	v_and_b32_e32 v14, 0xffff, v21
	v_pk_fma_f32 v[6:7], v[108:109], v[110:111], v[6:7]
	;;#ASMSTART
	v_cvt_f32_f16 v11, v10;
	;;#ASMEND
	v_add_f32_e32 v3, v4, v3
	;;#ASMSTART
	v_cvt_f32_f16 v10, v14;
	;;#ASMEND
	v_and_b32_e32 v4, 0xffff, v5
	v_pk_fma_f32 v[6:7], v[54:55], v[98:99], v[6:7]
	s_delay_alu instid0(VALU_DEP_3) | instskip(SKIP_2) | instid1(VALU_DEP_3)
	v_dual_add_f32 v2, v2, v3 :: v_dual_lshrrev_b32 v5, 16, v5
	;;#ASMSTART
	v_cvt_f32_f16 v3, v4;
	;;#ASMEND
	v_and_b32_e32 v4, 0xffff, v26
	v_pk_fma_f32 v[6:7], v[8:9], v[10:11], v[6:7]
	v_and_b32_e32 v8, 0xffff, v27
	s_delay_alu instid0(VALU_DEP_2)
	v_dual_mov_b32 v58, v60 :: v_dual_add_f32 v7, v2, v7
	;;#ASMSTART
	v_cvt_f32_f16 v2, v5;
	;;#ASMEND
	;;#ASMSTART
	v_cvt_f32_f16 v5, v4;
	;;#ASMEND
	;; [unrolled: 3-line block ×3, first 2 shown]
	v_pk_fma_f32 v[0:1], v[2:3], v[4:5], v[0:1]
	v_add_f32_e32 v2, v6, v7
	s_clause 0x3
	scratch_load_b32 v3, off, s32 offset:336
	scratch_load_b32 v11, off, s32 offset:264 th:TH_LOAD_LU
	scratch_load_b32 v56, off, s32 offset:352
	scratch_load_b32 v28, off, s32 offset:328 th:TH_LOAD_LU
	v_add_f32_e32 v1, v2, v1
	v_cmp_lt_i32_e64 s1, v12, v58
	scratch_load_b32 v39, off, s32 offset:332 th:TH_LOAD_LU ; 4-byte Folded Reload
	v_add_f32_e32 v0, v0, v1
	scratch_load_b32 v1, off, s32 offset:348 ; 4-byte Folded Reload
	s_wait_loadcnt 0x5
	v_mul_f32_e32 v3, v3, v13
	s_delay_alu instid0(VALU_DEP_1) | instskip(SKIP_1) | instid1(VALU_DEP_1)
	v_cndmask_b32_e32 v2, 0, v3, vcc_lo
	s_wait_loadcnt 0x0
	v_dual_fmac_f32 v2, v1, v0 :: v_dual_max_num_f32 v0, v11, v11
	s_delay_alu instid0(VALU_DEP_1)
	v_dual_cndmask_b32 v1, 0, v2, s1 :: v_dual_max_num_f32 v0, v0, v2
	ds_store_b32 v28, v1
	v_cndmask_b32_e64 v11, v11, v0, s1
	scratch_load_b64 v[0:1], off, s32 offset:268 th:TH_LOAD_LU ; 8-byte Folded Reload
	v_add_nc_u32_e32 v39, 4, v39
	v_add_nc_u32_e32 v28, 0x200, v28
	s_delay_alu instid0(VALU_DEP_2)
	v_cmp_ge_i32_e64 s1, v39, v56
	s_or_b32 s7, s1, s7
	s_wait_loadcnt 0x0
	v_add_nc_u64_e32 v[0:1], 16, v[0:1]
	s_wait_xcnt 0x0
	s_and_not1_b32 exec_lo, exec_lo, s7
	s_cbranch_execz .LBB298_1031
.LBB298_10:                             ; =>This Inner Loop Header: Depth=1
	s_clause 0x1
	scratch_store_b32 off, v11, s32 offset:264
	scratch_store_b64 off, v[0:1], s32 offset:268
	flat_load_b32 v0, v[0:1]
	s_clause 0x1
	scratch_load_b64 v[2:3], off, s32 offset:256
	scratch_load_b64 v[4:5], off, s32 offset:356
	v_dual_mov_b32 v38, v28 :: v_dual_mov_b32 v30, 0
	s_mov_b32 s15, exec_lo
	s_wait_loadcnt_dscnt 0x0
	v_mad_nc_i64_i32 v[2:3], v0, v2, v[4:5]
	flat_load_b64 v[4:5], v[2:3]
	scratch_load_b64 v[0:1], off, s32 offset:340 ; 8-byte Folded Reload
	s_wait_loadcnt 0x0
	flat_load_b32 v15, v[0:1]
	s_wait_dscnt 0x1
	s_wait_xcnt 0x0
	v_and_b32_e32 v0, 0xff, v4
	s_delay_alu instid0(VALU_DEP_1)
	v_cmpx_ne_u16_e32 0, v0
	s_cbranch_execz .LBB298_18
; %bb.11:                               ;   in Loop: Header=BB298_10 Depth=1
	v_mov_b32_e32 v30, 0x8000
	s_mov_b32 s16, exec_lo
	v_cmpx_ne_u16_e32 0x80, v0
	s_cbranch_execz .LBB298_17
; %bb.12:                               ;   in Loop: Header=BB298_10 Depth=1
	v_and_b32_e32 v6, 0x7f, v4
	v_mov_b32_e32 v30, 0x7c01
	s_mov_b32 s17, exec_lo
	s_delay_alu instid0(VALU_DEP_2)
	v_cmpx_ne_u32_e32 0x7f, v6
	s_cbranch_execz .LBB298_16
; %bb.13:                               ;   in Loop: Header=BB298_10 Depth=1
	v_dual_lshrrev_b32 v1, 3, v6 :: v_dual_bitop2_b32 v0, 7, v4 bitop3:0x40
	s_mov_b32 s18, exec_lo
	v_cmpx_gt_u32_e32 8, v6
; %bb.14:                               ;   in Loop: Header=BB298_10 Depth=1
	s_delay_alu instid0(VALU_DEP_2) | instskip(NEXT) | instid1(VALU_DEP_1)
	v_clz_i32_u32_e32 v0, v0
	v_min_u32_e32 v6, 32, v0
	s_delay_alu instid0(VALU_DEP_1) | instskip(NEXT) | instid1(VALU_DEP_1)
	v_subrev_nc_u32_e32 v0, 28, v6
	v_lshlrev_b64_e32 v[0:1], v0, v[4:5]
	s_delay_alu instid0(VALU_DEP_1)
	v_dual_sub_nc_u32 v1, 29, v6 :: v_dual_bitop2_b32 v0, 7, v0 bitop3:0x40
; %bb.15:                               ;   in Loop: Header=BB298_10 Depth=1
	s_or_b32 exec_lo, exec_lo, s18
	v_lshlrev_b32_e32 v6, 8, v4
	s_delay_alu instid0(VALU_DEP_2) | instskip(NEXT) | instid1(VALU_DEP_3)
	v_lshl_add_u32 v1, v1, 10, 0x2000
	v_lshlrev_b32_e32 v0, 7, v0
	s_delay_alu instid0(VALU_DEP_3) | instskip(NEXT) | instid1(VALU_DEP_3)
	v_and_b32_e32 v6, 0x8000, v6
	v_and_b32_e32 v1, 0xfc00, v1
	s_delay_alu instid0(VALU_DEP_1)
	v_or3_b32 v30, v6, v1, v0
.LBB298_16:                             ;   in Loop: Header=BB298_10 Depth=1
	s_or_b32 exec_lo, exec_lo, s17
.LBB298_17:                             ;   in Loop: Header=BB298_10 Depth=1
	s_delay_alu instid0(SALU_CYCLE_1)
	s_or_b32 exec_lo, exec_lo, s16
.LBB298_18:                             ;   in Loop: Header=BB298_10 Depth=1
	s_delay_alu instid0(SALU_CYCLE_1) | instskip(SKIP_3) | instid1(VALU_DEP_2)
	s_or_b32 exec_lo, exec_lo, s15
	v_lshrrev_b16 v24, 8, v4
	v_dual_mov_b32 v31, 0 :: v_dual_mov_b32 v32, 0
	s_mov_b32 s15, exec_lo
	v_cmpx_ne_u16_e32 0, v24
	s_cbranch_execz .LBB298_26
; %bb.19:                               ;   in Loop: Header=BB298_10 Depth=1
	v_bfrev_b32_e32 v32, 1
	s_mov_b32 s16, exec_lo
	v_cmpx_ne_u16_e32 0x80, v24
	s_cbranch_execz .LBB298_25
; %bb.20:                               ;   in Loop: Header=BB298_10 Depth=1
	v_and_b32_e32 v0, 0xffff, v24
	v_mov_b32_e32 v32, 0x7c010000
	s_mov_b32 s17, exec_lo
	s_delay_alu instid0(VALU_DEP_2) | instskip(NEXT) | instid1(VALU_DEP_1)
	v_and_b32_e32 v7, 0x7f, v0
	v_cmpx_ne_u32_e32 0x7f, v7
	s_cbranch_execz .LBB298_24
; %bb.21:                               ;   in Loop: Header=BB298_10 Depth=1
	v_dual_lshrrev_b32 v6, 3, v7 :: v_dual_bitop2_b32 v1, 7, v0 bitop3:0x40
	s_mov_b32 s18, exec_lo
	v_cmpx_gt_u32_e32 8, v7
; %bb.22:                               ;   in Loop: Header=BB298_10 Depth=1
	s_delay_alu instid0(VALU_DEP_2) | instskip(NEXT) | instid1(VALU_DEP_1)
	v_clz_i32_u32_e32 v1, v1
	v_min_u32_e32 v1, 32, v1
	s_delay_alu instid0(VALU_DEP_1) | instskip(NEXT) | instid1(VALU_DEP_1)
	v_subrev_nc_u32_e32 v6, 28, v1
	v_lshlrev_b64_e32 v[8:9], v6, v[24:25]
	s_delay_alu instid0(VALU_DEP_1)
	v_dual_sub_nc_u32 v6, 29, v1 :: v_dual_bitop2_b32 v1, 7, v8 bitop3:0x40
; %bb.23:                               ;   in Loop: Header=BB298_10 Depth=1
	s_or_b32 exec_lo, exec_lo, s18
	s_delay_alu instid0(VALU_DEP_1) | instskip(NEXT) | instid1(VALU_DEP_2)
	v_dual_lshlrev_b32 v0, 8, v0 :: v_dual_lshlrev_b32 v1, 23, v1
	v_lshl_add_u32 v6, v6, 10, 0x2000
	s_delay_alu instid0(VALU_DEP_1) | instskip(NEXT) | instid1(VALU_DEP_1)
	v_and_or_b32 v0, 0x8000, v0, v6
	v_lshl_or_b32 v32, v0, 16, v1
.LBB298_24:                             ;   in Loop: Header=BB298_10 Depth=1
	s_or_b32 exec_lo, exec_lo, s17
.LBB298_25:                             ;   in Loop: Header=BB298_10 Depth=1
	s_delay_alu instid0(SALU_CYCLE_1)
	s_or_b32 exec_lo, exec_lo, s16
.LBB298_26:                             ;   in Loop: Header=BB298_10 Depth=1
	s_delay_alu instid0(SALU_CYCLE_1) | instskip(SKIP_2) | instid1(VALU_DEP_1)
	s_or_b32 exec_lo, exec_lo, s15
	v_lshrrev_b32_e32 v8, 16, v4
	s_mov_b32 s15, exec_lo
	v_and_b32_e32 v0, 0xff, v8
	s_delay_alu instid0(VALU_DEP_1)
	v_cmpx_ne_u16_e32 0, v0
	s_cbranch_execz .LBB298_34
; %bb.27:                               ;   in Loop: Header=BB298_10 Depth=1
	v_mov_b32_e32 v31, 0x8000
	s_mov_b32 s16, exec_lo
	v_cmpx_ne_u16_e32 0x80, v0
	s_cbranch_execz .LBB298_33
; %bb.28:                               ;   in Loop: Header=BB298_10 Depth=1
	v_bfe_u32 v6, v4, 16, 7
	v_mov_b32_e32 v31, 0x7c01
	s_mov_b32 s17, exec_lo
	s_delay_alu instid0(VALU_DEP_2)
	v_cmpx_ne_u32_e32 0x7f, v6
	s_cbranch_execz .LBB298_32
; %bb.29:                               ;   in Loop: Header=BB298_10 Depth=1
	v_dual_lshrrev_b32 v1, 3, v6 :: v_dual_bitop2_b32 v0, 7, v8 bitop3:0x40
	s_mov_b32 s18, exec_lo
	v_cmpx_gt_u32_e32 8, v6
; %bb.30:                               ;   in Loop: Header=BB298_10 Depth=1
	s_delay_alu instid0(VALU_DEP_2) | instskip(NEXT) | instid1(VALU_DEP_1)
	v_clz_i32_u32_e32 v0, v0
	v_min_u32_e32 v6, 32, v0
	s_delay_alu instid0(VALU_DEP_1) | instskip(NEXT) | instid1(VALU_DEP_1)
	v_subrev_nc_u32_e32 v0, 28, v6
	v_lshlrev_b64_e32 v[0:1], v0, v[8:9]
	s_delay_alu instid0(VALU_DEP_1)
	v_dual_sub_nc_u32 v1, 29, v6 :: v_dual_bitop2_b32 v0, 7, v0 bitop3:0x40
; %bb.31:                               ;   in Loop: Header=BB298_10 Depth=1
	s_or_b32 exec_lo, exec_lo, s18
	v_lshlrev_b32_e32 v6, 8, v8
	s_delay_alu instid0(VALU_DEP_2) | instskip(NEXT) | instid1(VALU_DEP_3)
	v_lshl_add_u32 v1, v1, 10, 0x2000
	v_lshlrev_b32_e32 v0, 7, v0
	s_delay_alu instid0(VALU_DEP_3) | instskip(NEXT) | instid1(VALU_DEP_3)
	v_and_b32_e32 v6, 0x8000, v6
	v_and_b32_e32 v1, 0xfc00, v1
	s_delay_alu instid0(VALU_DEP_1)
	v_or3_b32 v31, v6, v1, v0
.LBB298_32:                             ;   in Loop: Header=BB298_10 Depth=1
	s_or_b32 exec_lo, exec_lo, s17
.LBB298_33:                             ;   in Loop: Header=BB298_10 Depth=1
	s_delay_alu instid0(SALU_CYCLE_1)
	s_or_b32 exec_lo, exec_lo, s16
.LBB298_34:                             ;   in Loop: Header=BB298_10 Depth=1
	s_delay_alu instid0(SALU_CYCLE_1)
	s_or_b32 exec_lo, exec_lo, s15
	v_dual_mov_b32 v33, 0 :: v_dual_mov_b32 v36, 0
	s_mov_b32 s15, exec_lo
	v_cmpx_lt_u32_e32 0xffffff, v4
	s_cbranch_execz .LBB298_42
; %bb.35:                               ;   in Loop: Header=BB298_10 Depth=1
	v_lshrrev_b32_e32 v24, 24, v4
	v_bfrev_b32_e32 v36, 1
	s_mov_b32 s16, exec_lo
	s_delay_alu instid0(VALU_DEP_2)
	v_cmpx_ne_u32_e32 0x80, v24
	s_cbranch_execz .LBB298_41
; %bb.36:                               ;   in Loop: Header=BB298_10 Depth=1
	v_and_b32_e32 v6, 0x7f, v24
	v_mov_b32_e32 v36, 0x7c010000
	s_mov_b32 s17, exec_lo
	s_delay_alu instid0(VALU_DEP_2)
	v_cmpx_ne_u32_e32 0x7f, v6
	s_cbranch_execz .LBB298_40
; %bb.37:                               ;   in Loop: Header=BB298_10 Depth=1
	v_dual_lshrrev_b32 v1, 3, v6 :: v_dual_bitop2_b32 v0, 7, v24 bitop3:0x40
	s_mov_b32 s18, exec_lo
	v_cmpx_gt_u32_e32 8, v6
; %bb.38:                               ;   in Loop: Header=BB298_10 Depth=1
	s_delay_alu instid0(VALU_DEP_2) | instskip(NEXT) | instid1(VALU_DEP_1)
	v_clz_i32_u32_e32 v0, v0
	v_min_u32_e32 v6, 32, v0
	s_delay_alu instid0(VALU_DEP_1) | instskip(NEXT) | instid1(VALU_DEP_1)
	v_subrev_nc_u32_e32 v0, 28, v6
	v_lshlrev_b64_e32 v[0:1], v0, v[24:25]
	s_delay_alu instid0(VALU_DEP_1)
	v_dual_sub_nc_u32 v1, 29, v6 :: v_dual_bitop2_b32 v0, 7, v0 bitop3:0x40
; %bb.39:                               ;   in Loop: Header=BB298_10 Depth=1
	s_or_b32 exec_lo, exec_lo, s18
	v_lshlrev_b32_e32 v6, 8, v24
	s_delay_alu instid0(VALU_DEP_2) | instskip(NEXT) | instid1(VALU_DEP_3)
	v_lshl_add_u32 v1, v1, 10, 0x2000
	v_lshlrev_b32_e32 v0, 23, v0
	s_delay_alu instid0(VALU_DEP_2) | instskip(NEXT) | instid1(VALU_DEP_1)
	v_and_or_b32 v1, 0x8000, v6, v1
	v_lshl_or_b32 v36, v1, 16, v0
.LBB298_40:                             ;   in Loop: Header=BB298_10 Depth=1
	s_or_b32 exec_lo, exec_lo, s17
.LBB298_41:                             ;   in Loop: Header=BB298_10 Depth=1
	s_delay_alu instid0(SALU_CYCLE_1)
	s_or_b32 exec_lo, exec_lo, s16
.LBB298_42:                             ;   in Loop: Header=BB298_10 Depth=1
	s_delay_alu instid0(SALU_CYCLE_1) | instskip(SKIP_3) | instid1(VALU_DEP_2)
	s_or_b32 exec_lo, exec_lo, s15
	v_and_b32_e32 v0, 0xff, v5
	v_mov_b32_e32 v24, v5
	s_mov_b32 s15, exec_lo
	v_cmpx_ne_u16_e32 0, v0
	s_cbranch_execz .LBB298_50
; %bb.43:                               ;   in Loop: Header=BB298_10 Depth=1
	v_mov_b32_e32 v33, 0x8000
	s_mov_b32 s16, exec_lo
	v_cmpx_ne_u16_e32 0x80, v0
	s_cbranch_execz .LBB298_49
; %bb.44:                               ;   in Loop: Header=BB298_10 Depth=1
	v_and_b32_e32 v6, 0x7f, v5
	v_mov_b32_e32 v33, 0x7c01
	s_mov_b32 s17, exec_lo
	s_delay_alu instid0(VALU_DEP_2)
	v_cmpx_ne_u32_e32 0x7f, v6
	s_cbranch_execz .LBB298_48
; %bb.45:                               ;   in Loop: Header=BB298_10 Depth=1
	v_dual_lshrrev_b32 v1, 3, v6 :: v_dual_bitop2_b32 v0, 7, v5 bitop3:0x40
	s_mov_b32 s18, exec_lo
	v_cmpx_gt_u32_e32 8, v6
; %bb.46:                               ;   in Loop: Header=BB298_10 Depth=1
	s_delay_alu instid0(VALU_DEP_2) | instskip(NEXT) | instid1(VALU_DEP_1)
	v_clz_i32_u32_e32 v0, v0
	v_min_u32_e32 v6, 32, v0
	s_delay_alu instid0(VALU_DEP_1) | instskip(NEXT) | instid1(VALU_DEP_1)
	v_subrev_nc_u32_e32 v0, 28, v6
	v_lshlrev_b64_e32 v[0:1], v0, v[24:25]
	s_delay_alu instid0(VALU_DEP_1)
	v_dual_sub_nc_u32 v1, 29, v6 :: v_dual_bitop2_b32 v0, 7, v0 bitop3:0x40
; %bb.47:                               ;   in Loop: Header=BB298_10 Depth=1
	s_or_b32 exec_lo, exec_lo, s18
	s_delay_alu instid0(VALU_DEP_1) | instskip(NEXT) | instid1(VALU_DEP_2)
	v_dual_lshlrev_b32 v6, 8, v5 :: v_dual_lshlrev_b32 v0, 7, v0
	v_lshl_add_u32 v1, v1, 10, 0x2000
	s_delay_alu instid0(VALU_DEP_2) | instskip(NEXT) | instid1(VALU_DEP_2)
	v_and_b32_e32 v6, 0x8000, v6
	v_and_b32_e32 v1, 0xfc00, v1
	s_delay_alu instid0(VALU_DEP_1)
	v_or3_b32 v33, v6, v1, v0
.LBB298_48:                             ;   in Loop: Header=BB298_10 Depth=1
	s_or_b32 exec_lo, exec_lo, s17
.LBB298_49:                             ;   in Loop: Header=BB298_10 Depth=1
	s_delay_alu instid0(SALU_CYCLE_1)
	s_or_b32 exec_lo, exec_lo, s16
.LBB298_50:                             ;   in Loop: Header=BB298_10 Depth=1
	s_delay_alu instid0(SALU_CYCLE_1) | instskip(SKIP_3) | instid1(VALU_DEP_2)
	s_or_b32 exec_lo, exec_lo, s15
	v_lshrrev_b16 v24, 8, v24
	v_dual_mov_b32 v64, 0 :: v_dual_mov_b32 v51, 0
	s_mov_b32 s15, exec_lo
	v_cmpx_ne_u16_e32 0, v24
	s_cbranch_execz .LBB298_58
; %bb.51:                               ;   in Loop: Header=BB298_10 Depth=1
	v_bfrev_b32_e32 v51, 1
	s_mov_b32 s16, exec_lo
	v_cmpx_ne_u16_e32 0x80, v24
	s_cbranch_execz .LBB298_57
; %bb.52:                               ;   in Loop: Header=BB298_10 Depth=1
	v_and_b32_e32 v0, 0xffff, v24
	v_mov_b32_e32 v51, 0x7c010000
	s_mov_b32 s17, exec_lo
	s_delay_alu instid0(VALU_DEP_2) | instskip(NEXT) | instid1(VALU_DEP_1)
	v_and_b32_e32 v7, 0x7f, v0
	v_cmpx_ne_u32_e32 0x7f, v7
	s_cbranch_execz .LBB298_56
; %bb.53:                               ;   in Loop: Header=BB298_10 Depth=1
	v_dual_lshrrev_b32 v6, 3, v7 :: v_dual_bitop2_b32 v1, 7, v0 bitop3:0x40
	s_mov_b32 s18, exec_lo
	v_cmpx_gt_u32_e32 8, v7
; %bb.54:                               ;   in Loop: Header=BB298_10 Depth=1
	s_delay_alu instid0(VALU_DEP_2) | instskip(NEXT) | instid1(VALU_DEP_1)
	v_clz_i32_u32_e32 v1, v1
	v_min_u32_e32 v1, 32, v1
	s_delay_alu instid0(VALU_DEP_1) | instskip(NEXT) | instid1(VALU_DEP_1)
	v_subrev_nc_u32_e32 v6, 28, v1
	v_lshlrev_b64_e32 v[8:9], v6, v[24:25]
	s_delay_alu instid0(VALU_DEP_1)
	v_dual_sub_nc_u32 v6, 29, v1 :: v_dual_bitop2_b32 v1, 7, v8 bitop3:0x40
; %bb.55:                               ;   in Loop: Header=BB298_10 Depth=1
	s_or_b32 exec_lo, exec_lo, s18
	s_delay_alu instid0(VALU_DEP_1) | instskip(NEXT) | instid1(VALU_DEP_2)
	v_dual_lshlrev_b32 v0, 8, v0 :: v_dual_lshlrev_b32 v1, 23, v1
	v_lshl_add_u32 v6, v6, 10, 0x2000
	s_delay_alu instid0(VALU_DEP_1) | instskip(NEXT) | instid1(VALU_DEP_1)
	v_and_or_b32 v0, 0x8000, v0, v6
	v_lshl_or_b32 v51, v0, 16, v1
.LBB298_56:                             ;   in Loop: Header=BB298_10 Depth=1
	s_or_b32 exec_lo, exec_lo, s17
.LBB298_57:                             ;   in Loop: Header=BB298_10 Depth=1
	s_delay_alu instid0(SALU_CYCLE_1)
	s_or_b32 exec_lo, exec_lo, s16
.LBB298_58:                             ;   in Loop: Header=BB298_10 Depth=1
	s_delay_alu instid0(SALU_CYCLE_1) | instskip(SKIP_2) | instid1(VALU_DEP_1)
	s_or_b32 exec_lo, exec_lo, s15
	v_lshrrev_b32_e32 v8, 16, v5
	s_mov_b32 s15, exec_lo
	v_and_b32_e32 v0, 0xff, v8
	s_delay_alu instid0(VALU_DEP_1)
	v_cmpx_ne_u16_e32 0, v0
	s_cbranch_execz .LBB298_66
; %bb.59:                               ;   in Loop: Header=BB298_10 Depth=1
	v_mov_b32_e32 v64, 0x8000
	s_mov_b32 s16, exec_lo
	v_cmpx_ne_u16_e32 0x80, v0
	s_cbranch_execz .LBB298_65
; %bb.60:                               ;   in Loop: Header=BB298_10 Depth=1
	v_bfe_u32 v6, v5, 16, 7
	v_mov_b32_e32 v64, 0x7c01
	s_mov_b32 s17, exec_lo
	s_delay_alu instid0(VALU_DEP_2)
	v_cmpx_ne_u32_e32 0x7f, v6
	s_cbranch_execz .LBB298_64
; %bb.61:                               ;   in Loop: Header=BB298_10 Depth=1
	v_dual_lshrrev_b32 v1, 3, v6 :: v_dual_bitop2_b32 v0, 7, v8 bitop3:0x40
	s_mov_b32 s18, exec_lo
	v_cmpx_gt_u32_e32 8, v6
; %bb.62:                               ;   in Loop: Header=BB298_10 Depth=1
	s_delay_alu instid0(VALU_DEP_2) | instskip(NEXT) | instid1(VALU_DEP_1)
	v_clz_i32_u32_e32 v0, v0
	v_min_u32_e32 v6, 32, v0
	s_delay_alu instid0(VALU_DEP_1) | instskip(NEXT) | instid1(VALU_DEP_1)
	v_subrev_nc_u32_e32 v0, 28, v6
	v_lshlrev_b64_e32 v[0:1], v0, v[8:9]
	s_delay_alu instid0(VALU_DEP_1)
	v_dual_sub_nc_u32 v1, 29, v6 :: v_dual_bitop2_b32 v0, 7, v0 bitop3:0x40
; %bb.63:                               ;   in Loop: Header=BB298_10 Depth=1
	s_or_b32 exec_lo, exec_lo, s18
	v_lshlrev_b32_e32 v6, 8, v8
	s_delay_alu instid0(VALU_DEP_2) | instskip(NEXT) | instid1(VALU_DEP_3)
	v_lshl_add_u32 v1, v1, 10, 0x2000
	v_lshlrev_b32_e32 v0, 7, v0
	s_delay_alu instid0(VALU_DEP_3) | instskip(NEXT) | instid1(VALU_DEP_3)
	v_and_b32_e32 v6, 0x8000, v6
	v_and_b32_e32 v1, 0xfc00, v1
	s_delay_alu instid0(VALU_DEP_1)
	v_or3_b32 v64, v6, v1, v0
.LBB298_64:                             ;   in Loop: Header=BB298_10 Depth=1
	s_or_b32 exec_lo, exec_lo, s17
.LBB298_65:                             ;   in Loop: Header=BB298_10 Depth=1
	s_delay_alu instid0(SALU_CYCLE_1)
	s_or_b32 exec_lo, exec_lo, s16
.LBB298_66:                             ;   in Loop: Header=BB298_10 Depth=1
	s_delay_alu instid0(SALU_CYCLE_1)
	s_or_b32 exec_lo, exec_lo, s15
	v_dual_mov_b32 v120, 0 :: v_dual_mov_b32 v121, 0
	s_mov_b32 s15, exec_lo
	v_cmpx_lt_u64_e64 s[2:3], v[4:5]
	s_cbranch_execz .LBB298_74
; %bb.67:                               ;   in Loop: Header=BB298_10 Depth=1
	v_lshrrev_b32_e32 v24, 24, v5
	v_bfrev_b32_e32 v121, 1
	s_mov_b32 s16, exec_lo
	s_delay_alu instid0(VALU_DEP_2)
	v_cmpx_ne_u32_e32 0x80, v24
	s_cbranch_execz .LBB298_73
; %bb.68:                               ;   in Loop: Header=BB298_10 Depth=1
	v_and_b32_e32 v4, 0x7f, v24
	v_mov_b32_e32 v121, 0x7c010000
	s_mov_b32 s17, exec_lo
	s_delay_alu instid0(VALU_DEP_2)
	v_cmpx_ne_u32_e32 0x7f, v4
	s_cbranch_execz .LBB298_72
; %bb.69:                               ;   in Loop: Header=BB298_10 Depth=1
	v_and_b32_e32 v0, 7, v24
	v_lshrrev_b32_e32 v1, 3, v4
	s_mov_b32 s18, exec_lo
	v_cmpx_gt_u32_e32 8, v4
; %bb.70:                               ;   in Loop: Header=BB298_10 Depth=1
	s_delay_alu instid0(VALU_DEP_3) | instskip(NEXT) | instid1(VALU_DEP_1)
	v_clz_i32_u32_e32 v0, v0
	v_min_u32_e32 v4, 32, v0
	s_delay_alu instid0(VALU_DEP_1) | instskip(NEXT) | instid1(VALU_DEP_1)
	v_subrev_nc_u32_e32 v0, 28, v4
	v_lshlrev_b64_e32 v[0:1], v0, v[24:25]
	v_sub_nc_u32_e32 v1, 29, v4
	s_delay_alu instid0(VALU_DEP_2)
	v_and_b32_e32 v0, 7, v0
; %bb.71:                               ;   in Loop: Header=BB298_10 Depth=1
	s_or_b32 exec_lo, exec_lo, s18
	v_lshlrev_b32_e32 v4, 8, v24
	s_delay_alu instid0(VALU_DEP_3) | instskip(NEXT) | instid1(VALU_DEP_3)
	v_lshl_add_u32 v1, v1, 10, 0x2000
	v_lshlrev_b32_e32 v0, 23, v0
	s_delay_alu instid0(VALU_DEP_2) | instskip(NEXT) | instid1(VALU_DEP_1)
	v_and_or_b32 v1, 0x8000, v4, v1
	v_lshl_or_b32 v121, v1, 16, v0
.LBB298_72:                             ;   in Loop: Header=BB298_10 Depth=1
	s_or_b32 exec_lo, exec_lo, s17
.LBB298_73:                             ;   in Loop: Header=BB298_10 Depth=1
	s_delay_alu instid0(SALU_CYCLE_1)
	s_or_b32 exec_lo, exec_lo, s16
.LBB298_74:                             ;   in Loop: Header=BB298_10 Depth=1
	s_delay_alu instid0(SALU_CYCLE_1)
	s_or_b32 exec_lo, exec_lo, s15
	flat_load_b64 v[4:5], v[2:3] offset:8
	s_mov_b32 s15, exec_lo
	s_wait_loadcnt_dscnt 0x0
	v_and_b32_e32 v0, 0xff, v4
	s_wait_xcnt 0x0
	s_delay_alu instid0(VALU_DEP_1)
	v_cmpx_ne_u16_e32 0, v0
	s_cbranch_execz .LBB298_82
; %bb.75:                               ;   in Loop: Header=BB298_10 Depth=1
	v_mov_b32_e32 v120, 0x8000
	s_mov_b32 s16, exec_lo
	v_cmpx_ne_u16_e32 0x80, v0
	s_cbranch_execz .LBB298_81
; %bb.76:                               ;   in Loop: Header=BB298_10 Depth=1
	v_and_b32_e32 v6, 0x7f, v4
	v_mov_b32_e32 v120, 0x7c01
	s_mov_b32 s17, exec_lo
	s_delay_alu instid0(VALU_DEP_2)
	v_cmpx_ne_u32_e32 0x7f, v6
	s_cbranch_execz .LBB298_80
; %bb.77:                               ;   in Loop: Header=BB298_10 Depth=1
	v_dual_lshrrev_b32 v1, 3, v6 :: v_dual_bitop2_b32 v0, 7, v4 bitop3:0x40
	s_mov_b32 s18, exec_lo
	v_cmpx_gt_u32_e32 8, v6
; %bb.78:                               ;   in Loop: Header=BB298_10 Depth=1
	s_delay_alu instid0(VALU_DEP_2) | instskip(NEXT) | instid1(VALU_DEP_1)
	v_clz_i32_u32_e32 v0, v0
	v_min_u32_e32 v6, 32, v0
	s_delay_alu instid0(VALU_DEP_1) | instskip(NEXT) | instid1(VALU_DEP_1)
	v_subrev_nc_u32_e32 v0, 28, v6
	v_lshlrev_b64_e32 v[0:1], v0, v[4:5]
	s_delay_alu instid0(VALU_DEP_1)
	v_dual_sub_nc_u32 v1, 29, v6 :: v_dual_bitop2_b32 v0, 7, v0 bitop3:0x40
; %bb.79:                               ;   in Loop: Header=BB298_10 Depth=1
	s_or_b32 exec_lo, exec_lo, s18
	v_lshlrev_b32_e32 v6, 8, v4
	s_delay_alu instid0(VALU_DEP_2) | instskip(NEXT) | instid1(VALU_DEP_3)
	v_lshl_add_u32 v1, v1, 10, 0x2000
	v_lshlrev_b32_e32 v0, 7, v0
	s_delay_alu instid0(VALU_DEP_3) | instskip(NEXT) | instid1(VALU_DEP_3)
	v_and_b32_e32 v6, 0x8000, v6
	v_and_b32_e32 v1, 0xfc00, v1
	s_delay_alu instid0(VALU_DEP_1)
	v_or3_b32 v120, v6, v1, v0
.LBB298_80:                             ;   in Loop: Header=BB298_10 Depth=1
	s_or_b32 exec_lo, exec_lo, s17
.LBB298_81:                             ;   in Loop: Header=BB298_10 Depth=1
	s_delay_alu instid0(SALU_CYCLE_1)
	s_or_b32 exec_lo, exec_lo, s16
.LBB298_82:                             ;   in Loop: Header=BB298_10 Depth=1
	s_delay_alu instid0(SALU_CYCLE_1) | instskip(SKIP_3) | instid1(VALU_DEP_2)
	s_or_b32 exec_lo, exec_lo, s15
	v_lshrrev_b16 v24, 8, v4
	v_dual_mov_b32 v71, 0 :: v_dual_mov_b32 v122, 0
	s_mov_b32 s15, exec_lo
	v_cmpx_ne_u16_e32 0, v24
	s_cbranch_execz .LBB298_90
; %bb.83:                               ;   in Loop: Header=BB298_10 Depth=1
	v_bfrev_b32_e32 v122, 1
	s_mov_b32 s16, exec_lo
	v_cmpx_ne_u16_e32 0x80, v24
	s_cbranch_execz .LBB298_89
; %bb.84:                               ;   in Loop: Header=BB298_10 Depth=1
	v_and_b32_e32 v0, 0xffff, v24
	v_mov_b32_e32 v122, 0x7c010000
	s_mov_b32 s17, exec_lo
	s_delay_alu instid0(VALU_DEP_2) | instskip(NEXT) | instid1(VALU_DEP_1)
	v_and_b32_e32 v7, 0x7f, v0
	v_cmpx_ne_u32_e32 0x7f, v7
	s_cbranch_execz .LBB298_88
; %bb.85:                               ;   in Loop: Header=BB298_10 Depth=1
	v_dual_lshrrev_b32 v6, 3, v7 :: v_dual_bitop2_b32 v1, 7, v0 bitop3:0x40
	s_mov_b32 s18, exec_lo
	v_cmpx_gt_u32_e32 8, v7
; %bb.86:                               ;   in Loop: Header=BB298_10 Depth=1
	s_delay_alu instid0(VALU_DEP_2) | instskip(NEXT) | instid1(VALU_DEP_1)
	v_clz_i32_u32_e32 v1, v1
	v_min_u32_e32 v1, 32, v1
	s_delay_alu instid0(VALU_DEP_1) | instskip(NEXT) | instid1(VALU_DEP_1)
	v_subrev_nc_u32_e32 v6, 28, v1
	v_lshlrev_b64_e32 v[8:9], v6, v[24:25]
	s_delay_alu instid0(VALU_DEP_1)
	v_dual_sub_nc_u32 v6, 29, v1 :: v_dual_bitop2_b32 v1, 7, v8 bitop3:0x40
; %bb.87:                               ;   in Loop: Header=BB298_10 Depth=1
	s_or_b32 exec_lo, exec_lo, s18
	s_delay_alu instid0(VALU_DEP_1) | instskip(NEXT) | instid1(VALU_DEP_2)
	v_dual_lshlrev_b32 v0, 8, v0 :: v_dual_lshlrev_b32 v1, 23, v1
	v_lshl_add_u32 v6, v6, 10, 0x2000
	s_delay_alu instid0(VALU_DEP_1) | instskip(NEXT) | instid1(VALU_DEP_1)
	v_and_or_b32 v0, 0x8000, v0, v6
	v_lshl_or_b32 v122, v0, 16, v1
.LBB298_88:                             ;   in Loop: Header=BB298_10 Depth=1
	s_or_b32 exec_lo, exec_lo, s17
.LBB298_89:                             ;   in Loop: Header=BB298_10 Depth=1
	s_delay_alu instid0(SALU_CYCLE_1)
	s_or_b32 exec_lo, exec_lo, s16
.LBB298_90:                             ;   in Loop: Header=BB298_10 Depth=1
	s_delay_alu instid0(SALU_CYCLE_1) | instskip(SKIP_2) | instid1(VALU_DEP_1)
	s_or_b32 exec_lo, exec_lo, s15
	v_lshrrev_b32_e32 v8, 16, v4
	s_mov_b32 s15, exec_lo
	v_and_b32_e32 v0, 0xff, v8
	s_delay_alu instid0(VALU_DEP_1)
	v_cmpx_ne_u16_e32 0, v0
	s_cbranch_execz .LBB298_98
; %bb.91:                               ;   in Loop: Header=BB298_10 Depth=1
	v_mov_b32_e32 v71, 0x8000
	s_mov_b32 s16, exec_lo
	v_cmpx_ne_u16_e32 0x80, v0
	s_cbranch_execz .LBB298_97
; %bb.92:                               ;   in Loop: Header=BB298_10 Depth=1
	v_bfe_u32 v6, v4, 16, 7
	v_mov_b32_e32 v71, 0x7c01
	s_mov_b32 s17, exec_lo
	s_delay_alu instid0(VALU_DEP_2)
	v_cmpx_ne_u32_e32 0x7f, v6
	s_cbranch_execz .LBB298_96
; %bb.93:                               ;   in Loop: Header=BB298_10 Depth=1
	v_dual_lshrrev_b32 v1, 3, v6 :: v_dual_bitop2_b32 v0, 7, v8 bitop3:0x40
	s_mov_b32 s18, exec_lo
	v_cmpx_gt_u32_e32 8, v6
; %bb.94:                               ;   in Loop: Header=BB298_10 Depth=1
	s_delay_alu instid0(VALU_DEP_2) | instskip(NEXT) | instid1(VALU_DEP_1)
	v_clz_i32_u32_e32 v0, v0
	v_min_u32_e32 v6, 32, v0
	s_delay_alu instid0(VALU_DEP_1) | instskip(NEXT) | instid1(VALU_DEP_1)
	v_subrev_nc_u32_e32 v0, 28, v6
	v_lshlrev_b64_e32 v[0:1], v0, v[8:9]
	s_delay_alu instid0(VALU_DEP_1)
	v_dual_sub_nc_u32 v1, 29, v6 :: v_dual_bitop2_b32 v0, 7, v0 bitop3:0x40
; %bb.95:                               ;   in Loop: Header=BB298_10 Depth=1
	s_or_b32 exec_lo, exec_lo, s18
	v_lshlrev_b32_e32 v6, 8, v8
	s_delay_alu instid0(VALU_DEP_2) | instskip(NEXT) | instid1(VALU_DEP_3)
	v_lshl_add_u32 v1, v1, 10, 0x2000
	v_lshlrev_b32_e32 v0, 7, v0
	s_delay_alu instid0(VALU_DEP_3) | instskip(NEXT) | instid1(VALU_DEP_3)
	v_and_b32_e32 v6, 0x8000, v6
	v_and_b32_e32 v1, 0xfc00, v1
	s_delay_alu instid0(VALU_DEP_1)
	v_or3_b32 v71, v6, v1, v0
.LBB298_96:                             ;   in Loop: Header=BB298_10 Depth=1
	s_or_b32 exec_lo, exec_lo, s17
.LBB298_97:                             ;   in Loop: Header=BB298_10 Depth=1
	s_delay_alu instid0(SALU_CYCLE_1)
	s_or_b32 exec_lo, exec_lo, s16
.LBB298_98:                             ;   in Loop: Header=BB298_10 Depth=1
	s_delay_alu instid0(SALU_CYCLE_1)
	s_or_b32 exec_lo, exec_lo, s15
	v_dual_mov_b32 v57, 0 :: v_dual_mov_b32 v50, 0
	s_mov_b32 s15, exec_lo
	v_cmpx_lt_u32_e32 0xffffff, v4
	s_cbranch_execz .LBB298_106
; %bb.99:                               ;   in Loop: Header=BB298_10 Depth=1
	v_lshrrev_b32_e32 v24, 24, v4
	v_bfrev_b32_e32 v50, 1
	s_mov_b32 s16, exec_lo
	s_delay_alu instid0(VALU_DEP_2)
	v_cmpx_ne_u32_e32 0x80, v24
	s_cbranch_execz .LBB298_105
; %bb.100:                              ;   in Loop: Header=BB298_10 Depth=1
	v_and_b32_e32 v6, 0x7f, v24
	v_mov_b32_e32 v50, 0x7c010000
	s_mov_b32 s17, exec_lo
	s_delay_alu instid0(VALU_DEP_2)
	v_cmpx_ne_u32_e32 0x7f, v6
	s_cbranch_execz .LBB298_104
; %bb.101:                              ;   in Loop: Header=BB298_10 Depth=1
	v_dual_lshrrev_b32 v1, 3, v6 :: v_dual_bitop2_b32 v0, 7, v24 bitop3:0x40
	s_mov_b32 s18, exec_lo
	v_cmpx_gt_u32_e32 8, v6
; %bb.102:                              ;   in Loop: Header=BB298_10 Depth=1
	s_delay_alu instid0(VALU_DEP_2) | instskip(NEXT) | instid1(VALU_DEP_1)
	v_clz_i32_u32_e32 v0, v0
	v_min_u32_e32 v6, 32, v0
	s_delay_alu instid0(VALU_DEP_1) | instskip(NEXT) | instid1(VALU_DEP_1)
	v_subrev_nc_u32_e32 v0, 28, v6
	v_lshlrev_b64_e32 v[0:1], v0, v[24:25]
	s_delay_alu instid0(VALU_DEP_1)
	v_dual_sub_nc_u32 v1, 29, v6 :: v_dual_bitop2_b32 v0, 7, v0 bitop3:0x40
; %bb.103:                              ;   in Loop: Header=BB298_10 Depth=1
	s_or_b32 exec_lo, exec_lo, s18
	v_lshlrev_b32_e32 v6, 8, v24
	s_delay_alu instid0(VALU_DEP_2) | instskip(NEXT) | instid1(VALU_DEP_3)
	v_lshl_add_u32 v1, v1, 10, 0x2000
	v_lshlrev_b32_e32 v0, 23, v0
	s_delay_alu instid0(VALU_DEP_2) | instskip(NEXT) | instid1(VALU_DEP_1)
	v_and_or_b32 v1, 0x8000, v6, v1
	v_lshl_or_b32 v50, v1, 16, v0
.LBB298_104:                            ;   in Loop: Header=BB298_10 Depth=1
	s_or_b32 exec_lo, exec_lo, s17
.LBB298_105:                            ;   in Loop: Header=BB298_10 Depth=1
	s_delay_alu instid0(SALU_CYCLE_1)
	s_or_b32 exec_lo, exec_lo, s16
.LBB298_106:                            ;   in Loop: Header=BB298_10 Depth=1
	s_delay_alu instid0(SALU_CYCLE_1) | instskip(SKIP_3) | instid1(VALU_DEP_2)
	s_or_b32 exec_lo, exec_lo, s15
	v_and_b32_e32 v0, 0xff, v5
	v_mov_b32_e32 v24, v5
	s_mov_b32 s15, exec_lo
	v_cmpx_ne_u16_e32 0, v0
	s_cbranch_execz .LBB298_114
; %bb.107:                              ;   in Loop: Header=BB298_10 Depth=1
	v_mov_b32_e32 v57, 0x8000
	s_mov_b32 s16, exec_lo
	v_cmpx_ne_u16_e32 0x80, v0
	s_cbranch_execz .LBB298_113
; %bb.108:                              ;   in Loop: Header=BB298_10 Depth=1
	v_and_b32_e32 v6, 0x7f, v5
	v_mov_b32_e32 v57, 0x7c01
	s_mov_b32 s17, exec_lo
	s_delay_alu instid0(VALU_DEP_2)
	v_cmpx_ne_u32_e32 0x7f, v6
	s_cbranch_execz .LBB298_112
; %bb.109:                              ;   in Loop: Header=BB298_10 Depth=1
	v_dual_lshrrev_b32 v1, 3, v6 :: v_dual_bitop2_b32 v0, 7, v5 bitop3:0x40
	s_mov_b32 s18, exec_lo
	v_cmpx_gt_u32_e32 8, v6
; %bb.110:                              ;   in Loop: Header=BB298_10 Depth=1
	s_delay_alu instid0(VALU_DEP_2) | instskip(NEXT) | instid1(VALU_DEP_1)
	v_clz_i32_u32_e32 v0, v0
	v_min_u32_e32 v6, 32, v0
	s_delay_alu instid0(VALU_DEP_1) | instskip(NEXT) | instid1(VALU_DEP_1)
	v_subrev_nc_u32_e32 v0, 28, v6
	v_lshlrev_b64_e32 v[0:1], v0, v[24:25]
	s_delay_alu instid0(VALU_DEP_1)
	v_dual_sub_nc_u32 v1, 29, v6 :: v_dual_bitop2_b32 v0, 7, v0 bitop3:0x40
; %bb.111:                              ;   in Loop: Header=BB298_10 Depth=1
	s_or_b32 exec_lo, exec_lo, s18
	s_delay_alu instid0(VALU_DEP_1) | instskip(NEXT) | instid1(VALU_DEP_2)
	v_dual_lshlrev_b32 v6, 8, v5 :: v_dual_lshlrev_b32 v0, 7, v0
	v_lshl_add_u32 v1, v1, 10, 0x2000
	s_delay_alu instid0(VALU_DEP_2) | instskip(NEXT) | instid1(VALU_DEP_2)
	v_and_b32_e32 v6, 0x8000, v6
	v_and_b32_e32 v1, 0xfc00, v1
	s_delay_alu instid0(VALU_DEP_1)
	v_or3_b32 v57, v6, v1, v0
.LBB298_112:                            ;   in Loop: Header=BB298_10 Depth=1
	s_or_b32 exec_lo, exec_lo, s17
.LBB298_113:                            ;   in Loop: Header=BB298_10 Depth=1
	s_delay_alu instid0(SALU_CYCLE_1)
	s_or_b32 exec_lo, exec_lo, s16
.LBB298_114:                            ;   in Loop: Header=BB298_10 Depth=1
	s_delay_alu instid0(SALU_CYCLE_1) | instskip(SKIP_3) | instid1(VALU_DEP_2)
	s_or_b32 exec_lo, exec_lo, s15
	v_lshrrev_b16 v24, 8, v24
	v_dual_mov_b32 v60, 0 :: v_dual_mov_b32 v44, 0
	s_mov_b32 s15, exec_lo
	v_cmpx_ne_u16_e32 0, v24
	s_cbranch_execz .LBB298_122
; %bb.115:                              ;   in Loop: Header=BB298_10 Depth=1
	v_bfrev_b32_e32 v44, 1
	s_mov_b32 s16, exec_lo
	v_cmpx_ne_u16_e32 0x80, v24
	s_cbranch_execz .LBB298_121
; %bb.116:                              ;   in Loop: Header=BB298_10 Depth=1
	v_and_b32_e32 v0, 0xffff, v24
	v_mov_b32_e32 v44, 0x7c010000
	s_mov_b32 s17, exec_lo
	s_delay_alu instid0(VALU_DEP_2) | instskip(NEXT) | instid1(VALU_DEP_1)
	v_and_b32_e32 v7, 0x7f, v0
	v_cmpx_ne_u32_e32 0x7f, v7
	s_cbranch_execz .LBB298_120
; %bb.117:                              ;   in Loop: Header=BB298_10 Depth=1
	v_dual_lshrrev_b32 v6, 3, v7 :: v_dual_bitop2_b32 v1, 7, v0 bitop3:0x40
	s_mov_b32 s18, exec_lo
	v_cmpx_gt_u32_e32 8, v7
; %bb.118:                              ;   in Loop: Header=BB298_10 Depth=1
	s_delay_alu instid0(VALU_DEP_2) | instskip(NEXT) | instid1(VALU_DEP_1)
	v_clz_i32_u32_e32 v1, v1
	v_min_u32_e32 v1, 32, v1
	s_delay_alu instid0(VALU_DEP_1) | instskip(NEXT) | instid1(VALU_DEP_1)
	v_subrev_nc_u32_e32 v6, 28, v1
	v_lshlrev_b64_e32 v[8:9], v6, v[24:25]
	s_delay_alu instid0(VALU_DEP_1)
	v_dual_sub_nc_u32 v6, 29, v1 :: v_dual_bitop2_b32 v1, 7, v8 bitop3:0x40
; %bb.119:                              ;   in Loop: Header=BB298_10 Depth=1
	s_or_b32 exec_lo, exec_lo, s18
	s_delay_alu instid0(VALU_DEP_1) | instskip(NEXT) | instid1(VALU_DEP_2)
	v_dual_lshlrev_b32 v0, 8, v0 :: v_dual_lshlrev_b32 v1, 23, v1
	v_lshl_add_u32 v6, v6, 10, 0x2000
	s_delay_alu instid0(VALU_DEP_1) | instskip(NEXT) | instid1(VALU_DEP_1)
	v_and_or_b32 v0, 0x8000, v0, v6
	v_lshl_or_b32 v44, v0, 16, v1
.LBB298_120:                            ;   in Loop: Header=BB298_10 Depth=1
	s_or_b32 exec_lo, exec_lo, s17
.LBB298_121:                            ;   in Loop: Header=BB298_10 Depth=1
	s_delay_alu instid0(SALU_CYCLE_1)
	s_or_b32 exec_lo, exec_lo, s16
.LBB298_122:                            ;   in Loop: Header=BB298_10 Depth=1
	s_delay_alu instid0(SALU_CYCLE_1) | instskip(SKIP_2) | instid1(VALU_DEP_1)
	s_or_b32 exec_lo, exec_lo, s15
	v_lshrrev_b32_e32 v8, 16, v5
	s_mov_b32 s15, exec_lo
	v_and_b32_e32 v0, 0xff, v8
	s_delay_alu instid0(VALU_DEP_1)
	v_cmpx_ne_u16_e32 0, v0
	s_cbranch_execz .LBB298_130
; %bb.123:                              ;   in Loop: Header=BB298_10 Depth=1
	v_mov_b32_e32 v60, 0x8000
	s_mov_b32 s16, exec_lo
	v_cmpx_ne_u16_e32 0x80, v0
	s_cbranch_execz .LBB298_129
; %bb.124:                              ;   in Loop: Header=BB298_10 Depth=1
	v_bfe_u32 v6, v5, 16, 7
	v_mov_b32_e32 v60, 0x7c01
	s_mov_b32 s17, exec_lo
	s_delay_alu instid0(VALU_DEP_2)
	v_cmpx_ne_u32_e32 0x7f, v6
	s_cbranch_execz .LBB298_128
; %bb.125:                              ;   in Loop: Header=BB298_10 Depth=1
	v_dual_lshrrev_b32 v1, 3, v6 :: v_dual_bitop2_b32 v0, 7, v8 bitop3:0x40
	s_mov_b32 s18, exec_lo
	v_cmpx_gt_u32_e32 8, v6
; %bb.126:                              ;   in Loop: Header=BB298_10 Depth=1
	s_delay_alu instid0(VALU_DEP_2) | instskip(NEXT) | instid1(VALU_DEP_1)
	v_clz_i32_u32_e32 v0, v0
	v_min_u32_e32 v6, 32, v0
	s_delay_alu instid0(VALU_DEP_1) | instskip(NEXT) | instid1(VALU_DEP_1)
	v_subrev_nc_u32_e32 v0, 28, v6
	v_lshlrev_b64_e32 v[0:1], v0, v[8:9]
	s_delay_alu instid0(VALU_DEP_1)
	v_dual_sub_nc_u32 v1, 29, v6 :: v_dual_bitop2_b32 v0, 7, v0 bitop3:0x40
; %bb.127:                              ;   in Loop: Header=BB298_10 Depth=1
	s_or_b32 exec_lo, exec_lo, s18
	v_lshlrev_b32_e32 v6, 8, v8
	s_delay_alu instid0(VALU_DEP_2) | instskip(NEXT) | instid1(VALU_DEP_3)
	v_lshl_add_u32 v1, v1, 10, 0x2000
	v_lshlrev_b32_e32 v0, 7, v0
	s_delay_alu instid0(VALU_DEP_3) | instskip(NEXT) | instid1(VALU_DEP_3)
	v_and_b32_e32 v6, 0x8000, v6
	v_and_b32_e32 v1, 0xfc00, v1
	s_delay_alu instid0(VALU_DEP_1)
	v_or3_b32 v60, v6, v1, v0
.LBB298_128:                            ;   in Loop: Header=BB298_10 Depth=1
	s_or_b32 exec_lo, exec_lo, s17
.LBB298_129:                            ;   in Loop: Header=BB298_10 Depth=1
	s_delay_alu instid0(SALU_CYCLE_1)
	s_or_b32 exec_lo, exec_lo, s16
.LBB298_130:                            ;   in Loop: Header=BB298_10 Depth=1
	s_delay_alu instid0(SALU_CYCLE_1)
	s_or_b32 exec_lo, exec_lo, s15
	v_dual_mov_b32 v67, 0 :: v_dual_mov_b32 v70, 0
	s_mov_b32 s15, exec_lo
	v_cmpx_lt_u64_e64 s[2:3], v[4:5]
	s_cbranch_execz .LBB298_138
; %bb.131:                              ;   in Loop: Header=BB298_10 Depth=1
	v_lshrrev_b32_e32 v24, 24, v5
	v_bfrev_b32_e32 v70, 1
	s_mov_b32 s16, exec_lo
	s_delay_alu instid0(VALU_DEP_2)
	v_cmpx_ne_u32_e32 0x80, v24
	s_cbranch_execz .LBB298_137
; %bb.132:                              ;   in Loop: Header=BB298_10 Depth=1
	v_and_b32_e32 v4, 0x7f, v24
	v_mov_b32_e32 v70, 0x7c010000
	s_mov_b32 s17, exec_lo
	s_delay_alu instid0(VALU_DEP_2)
	v_cmpx_ne_u32_e32 0x7f, v4
	s_cbranch_execz .LBB298_136
; %bb.133:                              ;   in Loop: Header=BB298_10 Depth=1
	v_and_b32_e32 v0, 7, v24
	v_lshrrev_b32_e32 v1, 3, v4
	s_mov_b32 s18, exec_lo
	v_cmpx_gt_u32_e32 8, v4
; %bb.134:                              ;   in Loop: Header=BB298_10 Depth=1
	s_delay_alu instid0(VALU_DEP_3) | instskip(NEXT) | instid1(VALU_DEP_1)
	v_clz_i32_u32_e32 v0, v0
	v_min_u32_e32 v4, 32, v0
	s_delay_alu instid0(VALU_DEP_1) | instskip(NEXT) | instid1(VALU_DEP_1)
	v_subrev_nc_u32_e32 v0, 28, v4
	v_lshlrev_b64_e32 v[0:1], v0, v[24:25]
	v_sub_nc_u32_e32 v1, 29, v4
	s_delay_alu instid0(VALU_DEP_2)
	v_and_b32_e32 v0, 7, v0
; %bb.135:                              ;   in Loop: Header=BB298_10 Depth=1
	s_or_b32 exec_lo, exec_lo, s18
	v_lshlrev_b32_e32 v4, 8, v24
	s_delay_alu instid0(VALU_DEP_3) | instskip(NEXT) | instid1(VALU_DEP_3)
	v_lshl_add_u32 v1, v1, 10, 0x2000
	v_lshlrev_b32_e32 v0, 23, v0
	s_delay_alu instid0(VALU_DEP_2) | instskip(NEXT) | instid1(VALU_DEP_1)
	v_and_or_b32 v1, 0x8000, v4, v1
	v_lshl_or_b32 v70, v1, 16, v0
.LBB298_136:                            ;   in Loop: Header=BB298_10 Depth=1
	s_or_b32 exec_lo, exec_lo, s17
.LBB298_137:                            ;   in Loop: Header=BB298_10 Depth=1
	s_delay_alu instid0(SALU_CYCLE_1)
	s_or_b32 exec_lo, exec_lo, s16
.LBB298_138:                            ;   in Loop: Header=BB298_10 Depth=1
	s_delay_alu instid0(SALU_CYCLE_1)
	s_or_b32 exec_lo, exec_lo, s15
	flat_load_b64 v[4:5], v[2:3] offset:512
	s_mov_b32 s15, exec_lo
	s_wait_loadcnt_dscnt 0x0
	v_and_b32_e32 v0, 0xff, v4
	s_wait_xcnt 0x0
	s_delay_alu instid0(VALU_DEP_1)
	v_cmpx_ne_u16_e32 0, v0
	s_cbranch_execz .LBB298_146
; %bb.139:                              ;   in Loop: Header=BB298_10 Depth=1
	v_mov_b32_e32 v67, 0x8000
	s_mov_b32 s16, exec_lo
	v_cmpx_ne_u16_e32 0x80, v0
	s_cbranch_execz .LBB298_145
; %bb.140:                              ;   in Loop: Header=BB298_10 Depth=1
	v_and_b32_e32 v6, 0x7f, v4
	v_mov_b32_e32 v67, 0x7c01
	s_mov_b32 s17, exec_lo
	s_delay_alu instid0(VALU_DEP_2)
	v_cmpx_ne_u32_e32 0x7f, v6
	s_cbranch_execz .LBB298_144
; %bb.141:                              ;   in Loop: Header=BB298_10 Depth=1
	v_dual_lshrrev_b32 v1, 3, v6 :: v_dual_bitop2_b32 v0, 7, v4 bitop3:0x40
	s_mov_b32 s18, exec_lo
	v_cmpx_gt_u32_e32 8, v6
; %bb.142:                              ;   in Loop: Header=BB298_10 Depth=1
	s_delay_alu instid0(VALU_DEP_2) | instskip(NEXT) | instid1(VALU_DEP_1)
	v_clz_i32_u32_e32 v0, v0
	v_min_u32_e32 v6, 32, v0
	s_delay_alu instid0(VALU_DEP_1) | instskip(NEXT) | instid1(VALU_DEP_1)
	v_subrev_nc_u32_e32 v0, 28, v6
	v_lshlrev_b64_e32 v[0:1], v0, v[4:5]
	s_delay_alu instid0(VALU_DEP_1)
	v_dual_sub_nc_u32 v1, 29, v6 :: v_dual_bitop2_b32 v0, 7, v0 bitop3:0x40
; %bb.143:                              ;   in Loop: Header=BB298_10 Depth=1
	s_or_b32 exec_lo, exec_lo, s18
	v_lshlrev_b32_e32 v6, 8, v4
	s_delay_alu instid0(VALU_DEP_2) | instskip(NEXT) | instid1(VALU_DEP_3)
	v_lshl_add_u32 v1, v1, 10, 0x2000
	v_lshlrev_b32_e32 v0, 7, v0
	s_delay_alu instid0(VALU_DEP_3) | instskip(NEXT) | instid1(VALU_DEP_3)
	v_and_b32_e32 v6, 0x8000, v6
	v_and_b32_e32 v1, 0xfc00, v1
	s_delay_alu instid0(VALU_DEP_1)
	v_or3_b32 v67, v6, v1, v0
.LBB298_144:                            ;   in Loop: Header=BB298_10 Depth=1
	s_or_b32 exec_lo, exec_lo, s17
.LBB298_145:                            ;   in Loop: Header=BB298_10 Depth=1
	s_delay_alu instid0(SALU_CYCLE_1)
	s_or_b32 exec_lo, exec_lo, s16
.LBB298_146:                            ;   in Loop: Header=BB298_10 Depth=1
	s_delay_alu instid0(SALU_CYCLE_1) | instskip(SKIP_3) | instid1(VALU_DEP_2)
	s_or_b32 exec_lo, exec_lo, s15
	v_lshrrev_b16 v24, 8, v4
	v_dual_mov_b32 v85, 0 :: v_dual_mov_b32 v97, 0
	s_mov_b32 s15, exec_lo
	v_cmpx_ne_u16_e32 0, v24
	s_cbranch_execz .LBB298_154
; %bb.147:                              ;   in Loop: Header=BB298_10 Depth=1
	v_bfrev_b32_e32 v97, 1
	s_mov_b32 s16, exec_lo
	v_cmpx_ne_u16_e32 0x80, v24
	s_cbranch_execz .LBB298_153
; %bb.148:                              ;   in Loop: Header=BB298_10 Depth=1
	v_and_b32_e32 v0, 0xffff, v24
	v_mov_b32_e32 v97, 0x7c010000
	s_mov_b32 s17, exec_lo
	s_delay_alu instid0(VALU_DEP_2) | instskip(NEXT) | instid1(VALU_DEP_1)
	v_and_b32_e32 v7, 0x7f, v0
	v_cmpx_ne_u32_e32 0x7f, v7
	s_cbranch_execz .LBB298_152
; %bb.149:                              ;   in Loop: Header=BB298_10 Depth=1
	v_dual_lshrrev_b32 v6, 3, v7 :: v_dual_bitop2_b32 v1, 7, v0 bitop3:0x40
	s_mov_b32 s18, exec_lo
	v_cmpx_gt_u32_e32 8, v7
; %bb.150:                              ;   in Loop: Header=BB298_10 Depth=1
	s_delay_alu instid0(VALU_DEP_2) | instskip(NEXT) | instid1(VALU_DEP_1)
	v_clz_i32_u32_e32 v1, v1
	v_min_u32_e32 v1, 32, v1
	s_delay_alu instid0(VALU_DEP_1) | instskip(NEXT) | instid1(VALU_DEP_1)
	v_subrev_nc_u32_e32 v6, 28, v1
	v_lshlrev_b64_e32 v[8:9], v6, v[24:25]
	s_delay_alu instid0(VALU_DEP_1)
	v_dual_sub_nc_u32 v6, 29, v1 :: v_dual_bitop2_b32 v1, 7, v8 bitop3:0x40
; %bb.151:                              ;   in Loop: Header=BB298_10 Depth=1
	s_or_b32 exec_lo, exec_lo, s18
	s_delay_alu instid0(VALU_DEP_1) | instskip(NEXT) | instid1(VALU_DEP_2)
	v_dual_lshlrev_b32 v0, 8, v0 :: v_dual_lshlrev_b32 v1, 23, v1
	v_lshl_add_u32 v6, v6, 10, 0x2000
	s_delay_alu instid0(VALU_DEP_1) | instskip(NEXT) | instid1(VALU_DEP_1)
	v_and_or_b32 v0, 0x8000, v0, v6
	v_lshl_or_b32 v97, v0, 16, v1
.LBB298_152:                            ;   in Loop: Header=BB298_10 Depth=1
	s_or_b32 exec_lo, exec_lo, s17
.LBB298_153:                            ;   in Loop: Header=BB298_10 Depth=1
	s_delay_alu instid0(SALU_CYCLE_1)
	s_or_b32 exec_lo, exec_lo, s16
.LBB298_154:                            ;   in Loop: Header=BB298_10 Depth=1
	s_delay_alu instid0(SALU_CYCLE_1) | instskip(SKIP_2) | instid1(VALU_DEP_1)
	s_or_b32 exec_lo, exec_lo, s15
	v_lshrrev_b32_e32 v8, 16, v4
	s_mov_b32 s15, exec_lo
	v_and_b32_e32 v0, 0xff, v8
	s_delay_alu instid0(VALU_DEP_1)
	v_cmpx_ne_u16_e32 0, v0
	s_cbranch_execz .LBB298_162
; %bb.155:                              ;   in Loop: Header=BB298_10 Depth=1
	v_mov_b32_e32 v85, 0x8000
	s_mov_b32 s16, exec_lo
	v_cmpx_ne_u16_e32 0x80, v0
	s_cbranch_execz .LBB298_161
; %bb.156:                              ;   in Loop: Header=BB298_10 Depth=1
	v_bfe_u32 v6, v4, 16, 7
	v_mov_b32_e32 v85, 0x7c01
	s_mov_b32 s17, exec_lo
	s_delay_alu instid0(VALU_DEP_2)
	v_cmpx_ne_u32_e32 0x7f, v6
	s_cbranch_execz .LBB298_160
; %bb.157:                              ;   in Loop: Header=BB298_10 Depth=1
	v_dual_lshrrev_b32 v1, 3, v6 :: v_dual_bitop2_b32 v0, 7, v8 bitop3:0x40
	s_mov_b32 s18, exec_lo
	v_cmpx_gt_u32_e32 8, v6
; %bb.158:                              ;   in Loop: Header=BB298_10 Depth=1
	s_delay_alu instid0(VALU_DEP_2) | instskip(NEXT) | instid1(VALU_DEP_1)
	v_clz_i32_u32_e32 v0, v0
	v_min_u32_e32 v6, 32, v0
	s_delay_alu instid0(VALU_DEP_1) | instskip(NEXT) | instid1(VALU_DEP_1)
	v_subrev_nc_u32_e32 v0, 28, v6
	v_lshlrev_b64_e32 v[0:1], v0, v[8:9]
	s_delay_alu instid0(VALU_DEP_1)
	v_dual_sub_nc_u32 v1, 29, v6 :: v_dual_bitop2_b32 v0, 7, v0 bitop3:0x40
; %bb.159:                              ;   in Loop: Header=BB298_10 Depth=1
	s_or_b32 exec_lo, exec_lo, s18
	v_lshlrev_b32_e32 v6, 8, v8
	s_delay_alu instid0(VALU_DEP_2) | instskip(NEXT) | instid1(VALU_DEP_3)
	v_lshl_add_u32 v1, v1, 10, 0x2000
	v_lshlrev_b32_e32 v0, 7, v0
	s_delay_alu instid0(VALU_DEP_3) | instskip(NEXT) | instid1(VALU_DEP_3)
	v_and_b32_e32 v6, 0x8000, v6
	v_and_b32_e32 v1, 0xfc00, v1
	s_delay_alu instid0(VALU_DEP_1)
	v_or3_b32 v85, v6, v1, v0
.LBB298_160:                            ;   in Loop: Header=BB298_10 Depth=1
	s_or_b32 exec_lo, exec_lo, s17
.LBB298_161:                            ;   in Loop: Header=BB298_10 Depth=1
	s_delay_alu instid0(SALU_CYCLE_1)
	s_or_b32 exec_lo, exec_lo, s16
.LBB298_162:                            ;   in Loop: Header=BB298_10 Depth=1
	s_delay_alu instid0(SALU_CYCLE_1)
	s_or_b32 exec_lo, exec_lo, s15
	v_dual_mov_b32 v28, 0 :: v_dual_mov_b32 v55, 0
	s_mov_b32 s15, exec_lo
	v_cmpx_lt_u32_e32 0xffffff, v4
	s_cbranch_execz .LBB298_170
; %bb.163:                              ;   in Loop: Header=BB298_10 Depth=1
	v_lshrrev_b32_e32 v24, 24, v4
	v_bfrev_b32_e32 v55, 1
	s_mov_b32 s16, exec_lo
	s_delay_alu instid0(VALU_DEP_2)
	v_cmpx_ne_u32_e32 0x80, v24
	s_cbranch_execz .LBB298_169
; %bb.164:                              ;   in Loop: Header=BB298_10 Depth=1
	v_and_b32_e32 v6, 0x7f, v24
	v_mov_b32_e32 v55, 0x7c010000
	s_mov_b32 s17, exec_lo
	s_delay_alu instid0(VALU_DEP_2)
	v_cmpx_ne_u32_e32 0x7f, v6
	s_cbranch_execz .LBB298_168
; %bb.165:                              ;   in Loop: Header=BB298_10 Depth=1
	v_dual_lshrrev_b32 v1, 3, v6 :: v_dual_bitop2_b32 v0, 7, v24 bitop3:0x40
	s_mov_b32 s18, exec_lo
	v_cmpx_gt_u32_e32 8, v6
; %bb.166:                              ;   in Loop: Header=BB298_10 Depth=1
	s_delay_alu instid0(VALU_DEP_2) | instskip(NEXT) | instid1(VALU_DEP_1)
	v_clz_i32_u32_e32 v0, v0
	v_min_u32_e32 v6, 32, v0
	s_delay_alu instid0(VALU_DEP_1) | instskip(NEXT) | instid1(VALU_DEP_1)
	v_subrev_nc_u32_e32 v0, 28, v6
	v_lshlrev_b64_e32 v[0:1], v0, v[24:25]
	s_delay_alu instid0(VALU_DEP_1)
	v_dual_sub_nc_u32 v1, 29, v6 :: v_dual_bitop2_b32 v0, 7, v0 bitop3:0x40
; %bb.167:                              ;   in Loop: Header=BB298_10 Depth=1
	s_or_b32 exec_lo, exec_lo, s18
	v_lshlrev_b32_e32 v6, 8, v24
	s_delay_alu instid0(VALU_DEP_2) | instskip(NEXT) | instid1(VALU_DEP_3)
	v_lshl_add_u32 v1, v1, 10, 0x2000
	v_lshlrev_b32_e32 v0, 23, v0
	s_delay_alu instid0(VALU_DEP_2) | instskip(NEXT) | instid1(VALU_DEP_1)
	v_and_or_b32 v1, 0x8000, v6, v1
	v_lshl_or_b32 v55, v1, 16, v0
.LBB298_168:                            ;   in Loop: Header=BB298_10 Depth=1
	s_or_b32 exec_lo, exec_lo, s17
.LBB298_169:                            ;   in Loop: Header=BB298_10 Depth=1
	s_delay_alu instid0(SALU_CYCLE_1)
	s_or_b32 exec_lo, exec_lo, s16
.LBB298_170:                            ;   in Loop: Header=BB298_10 Depth=1
	s_delay_alu instid0(SALU_CYCLE_1) | instskip(SKIP_3) | instid1(VALU_DEP_2)
	s_or_b32 exec_lo, exec_lo, s15
	v_and_b32_e32 v0, 0xff, v5
	v_mov_b32_e32 v24, v5
	s_mov_b32 s15, exec_lo
	v_cmpx_ne_u16_e32 0, v0
	s_cbranch_execz .LBB298_178
; %bb.171:                              ;   in Loop: Header=BB298_10 Depth=1
	v_mov_b32_e32 v28, 0x8000
	s_mov_b32 s16, exec_lo
	v_cmpx_ne_u16_e32 0x80, v0
	s_cbranch_execz .LBB298_177
; %bb.172:                              ;   in Loop: Header=BB298_10 Depth=1
	v_and_b32_e32 v6, 0x7f, v5
	v_mov_b32_e32 v28, 0x7c01
	s_mov_b32 s17, exec_lo
	s_delay_alu instid0(VALU_DEP_2)
	v_cmpx_ne_u32_e32 0x7f, v6
	s_cbranch_execz .LBB298_176
; %bb.173:                              ;   in Loop: Header=BB298_10 Depth=1
	v_dual_lshrrev_b32 v1, 3, v6 :: v_dual_bitop2_b32 v0, 7, v5 bitop3:0x40
	s_mov_b32 s18, exec_lo
	v_cmpx_gt_u32_e32 8, v6
; %bb.174:                              ;   in Loop: Header=BB298_10 Depth=1
	s_delay_alu instid0(VALU_DEP_2) | instskip(NEXT) | instid1(VALU_DEP_1)
	v_clz_i32_u32_e32 v0, v0
	v_min_u32_e32 v6, 32, v0
	s_delay_alu instid0(VALU_DEP_1) | instskip(NEXT) | instid1(VALU_DEP_1)
	v_subrev_nc_u32_e32 v0, 28, v6
	v_lshlrev_b64_e32 v[0:1], v0, v[24:25]
	s_delay_alu instid0(VALU_DEP_1)
	v_dual_sub_nc_u32 v1, 29, v6 :: v_dual_bitop2_b32 v0, 7, v0 bitop3:0x40
; %bb.175:                              ;   in Loop: Header=BB298_10 Depth=1
	s_or_b32 exec_lo, exec_lo, s18
	s_delay_alu instid0(VALU_DEP_1) | instskip(NEXT) | instid1(VALU_DEP_2)
	v_dual_lshlrev_b32 v6, 8, v5 :: v_dual_lshlrev_b32 v0, 7, v0
	v_lshl_add_u32 v1, v1, 10, 0x2000
	s_delay_alu instid0(VALU_DEP_2) | instskip(NEXT) | instid1(VALU_DEP_2)
	v_and_b32_e32 v6, 0x8000, v6
	v_and_b32_e32 v1, 0xfc00, v1
	s_delay_alu instid0(VALU_DEP_1)
	v_or3_b32 v28, v6, v1, v0
.LBB298_176:                            ;   in Loop: Header=BB298_10 Depth=1
	s_or_b32 exec_lo, exec_lo, s17
.LBB298_177:                            ;   in Loop: Header=BB298_10 Depth=1
	s_delay_alu instid0(SALU_CYCLE_1)
	s_or_b32 exec_lo, exec_lo, s16
.LBB298_178:                            ;   in Loop: Header=BB298_10 Depth=1
	s_delay_alu instid0(SALU_CYCLE_1) | instskip(SKIP_3) | instid1(VALU_DEP_2)
	s_or_b32 exec_lo, exec_lo, s15
	v_lshrrev_b16 v24, 8, v24
	v_dual_mov_b32 v49, 0 :: v_dual_mov_b32 v54, 0
	s_mov_b32 s15, exec_lo
	v_cmpx_ne_u16_e32 0, v24
	s_cbranch_execz .LBB298_186
; %bb.179:                              ;   in Loop: Header=BB298_10 Depth=1
	v_bfrev_b32_e32 v54, 1
	s_mov_b32 s16, exec_lo
	v_cmpx_ne_u16_e32 0x80, v24
	s_cbranch_execz .LBB298_185
; %bb.180:                              ;   in Loop: Header=BB298_10 Depth=1
	v_and_b32_e32 v0, 0xffff, v24
	v_mov_b32_e32 v54, 0x7c010000
	s_mov_b32 s17, exec_lo
	s_delay_alu instid0(VALU_DEP_2) | instskip(NEXT) | instid1(VALU_DEP_1)
	v_and_b32_e32 v7, 0x7f, v0
	v_cmpx_ne_u32_e32 0x7f, v7
	s_cbranch_execz .LBB298_184
; %bb.181:                              ;   in Loop: Header=BB298_10 Depth=1
	v_dual_lshrrev_b32 v6, 3, v7 :: v_dual_bitop2_b32 v1, 7, v0 bitop3:0x40
	s_mov_b32 s18, exec_lo
	v_cmpx_gt_u32_e32 8, v7
; %bb.182:                              ;   in Loop: Header=BB298_10 Depth=1
	s_delay_alu instid0(VALU_DEP_2) | instskip(NEXT) | instid1(VALU_DEP_1)
	v_clz_i32_u32_e32 v1, v1
	v_min_u32_e32 v1, 32, v1
	s_delay_alu instid0(VALU_DEP_1) | instskip(NEXT) | instid1(VALU_DEP_1)
	v_subrev_nc_u32_e32 v6, 28, v1
	v_lshlrev_b64_e32 v[8:9], v6, v[24:25]
	s_delay_alu instid0(VALU_DEP_1)
	v_dual_sub_nc_u32 v6, 29, v1 :: v_dual_bitop2_b32 v1, 7, v8 bitop3:0x40
; %bb.183:                              ;   in Loop: Header=BB298_10 Depth=1
	s_or_b32 exec_lo, exec_lo, s18
	s_delay_alu instid0(VALU_DEP_1) | instskip(NEXT) | instid1(VALU_DEP_2)
	v_dual_lshlrev_b32 v0, 8, v0 :: v_dual_lshlrev_b32 v1, 23, v1
	v_lshl_add_u32 v6, v6, 10, 0x2000
	s_delay_alu instid0(VALU_DEP_1) | instskip(NEXT) | instid1(VALU_DEP_1)
	v_and_or_b32 v0, 0x8000, v0, v6
	v_lshl_or_b32 v54, v0, 16, v1
.LBB298_184:                            ;   in Loop: Header=BB298_10 Depth=1
	s_or_b32 exec_lo, exec_lo, s17
.LBB298_185:                            ;   in Loop: Header=BB298_10 Depth=1
	s_delay_alu instid0(SALU_CYCLE_1)
	s_or_b32 exec_lo, exec_lo, s16
.LBB298_186:                            ;   in Loop: Header=BB298_10 Depth=1
	s_delay_alu instid0(SALU_CYCLE_1) | instskip(SKIP_2) | instid1(VALU_DEP_1)
	s_or_b32 exec_lo, exec_lo, s15
	v_lshrrev_b32_e32 v8, 16, v5
	s_mov_b32 s15, exec_lo
	v_and_b32_e32 v0, 0xff, v8
	s_delay_alu instid0(VALU_DEP_1)
	v_cmpx_ne_u16_e32 0, v0
	s_cbranch_execz .LBB298_194
; %bb.187:                              ;   in Loop: Header=BB298_10 Depth=1
	v_mov_b32_e32 v49, 0x8000
	s_mov_b32 s16, exec_lo
	v_cmpx_ne_u16_e32 0x80, v0
	s_cbranch_execz .LBB298_193
; %bb.188:                              ;   in Loop: Header=BB298_10 Depth=1
	v_bfe_u32 v6, v5, 16, 7
	v_mov_b32_e32 v49, 0x7c01
	s_mov_b32 s17, exec_lo
	s_delay_alu instid0(VALU_DEP_2)
	v_cmpx_ne_u32_e32 0x7f, v6
	s_cbranch_execz .LBB298_192
; %bb.189:                              ;   in Loop: Header=BB298_10 Depth=1
	v_dual_lshrrev_b32 v1, 3, v6 :: v_dual_bitop2_b32 v0, 7, v8 bitop3:0x40
	s_mov_b32 s18, exec_lo
	v_cmpx_gt_u32_e32 8, v6
; %bb.190:                              ;   in Loop: Header=BB298_10 Depth=1
	s_delay_alu instid0(VALU_DEP_2) | instskip(NEXT) | instid1(VALU_DEP_1)
	v_clz_i32_u32_e32 v0, v0
	v_min_u32_e32 v6, 32, v0
	s_delay_alu instid0(VALU_DEP_1) | instskip(NEXT) | instid1(VALU_DEP_1)
	v_subrev_nc_u32_e32 v0, 28, v6
	v_lshlrev_b64_e32 v[0:1], v0, v[8:9]
	s_delay_alu instid0(VALU_DEP_1)
	v_dual_sub_nc_u32 v1, 29, v6 :: v_dual_bitop2_b32 v0, 7, v0 bitop3:0x40
; %bb.191:                              ;   in Loop: Header=BB298_10 Depth=1
	s_or_b32 exec_lo, exec_lo, s18
	v_lshlrev_b32_e32 v6, 8, v8
	s_delay_alu instid0(VALU_DEP_2) | instskip(NEXT) | instid1(VALU_DEP_3)
	v_lshl_add_u32 v1, v1, 10, 0x2000
	v_lshlrev_b32_e32 v0, 7, v0
	s_delay_alu instid0(VALU_DEP_3) | instskip(NEXT) | instid1(VALU_DEP_3)
	v_and_b32_e32 v6, 0x8000, v6
	v_and_b32_e32 v1, 0xfc00, v1
	s_delay_alu instid0(VALU_DEP_1)
	v_or3_b32 v49, v6, v1, v0
.LBB298_192:                            ;   in Loop: Header=BB298_10 Depth=1
	s_or_b32 exec_lo, exec_lo, s17
.LBB298_193:                            ;   in Loop: Header=BB298_10 Depth=1
	s_delay_alu instid0(SALU_CYCLE_1)
	s_or_b32 exec_lo, exec_lo, s16
.LBB298_194:                            ;   in Loop: Header=BB298_10 Depth=1
	s_delay_alu instid0(SALU_CYCLE_1)
	s_or_b32 exec_lo, exec_lo, s15
	v_dual_mov_b32 v66, 0 :: v_dual_mov_b32 v99, 0
	s_mov_b32 s15, exec_lo
	v_cmpx_lt_u64_e64 s[2:3], v[4:5]
	s_cbranch_execz .LBB298_202
; %bb.195:                              ;   in Loop: Header=BB298_10 Depth=1
	v_lshrrev_b32_e32 v24, 24, v5
	v_bfrev_b32_e32 v99, 1
	s_mov_b32 s16, exec_lo
	s_delay_alu instid0(VALU_DEP_2)
	v_cmpx_ne_u32_e32 0x80, v24
	s_cbranch_execz .LBB298_201
; %bb.196:                              ;   in Loop: Header=BB298_10 Depth=1
	v_and_b32_e32 v4, 0x7f, v24
	v_mov_b32_e32 v99, 0x7c010000
	s_mov_b32 s17, exec_lo
	s_delay_alu instid0(VALU_DEP_2)
	v_cmpx_ne_u32_e32 0x7f, v4
	s_cbranch_execz .LBB298_200
; %bb.197:                              ;   in Loop: Header=BB298_10 Depth=1
	v_and_b32_e32 v0, 7, v24
	v_lshrrev_b32_e32 v1, 3, v4
	s_mov_b32 s18, exec_lo
	v_cmpx_gt_u32_e32 8, v4
; %bb.198:                              ;   in Loop: Header=BB298_10 Depth=1
	s_delay_alu instid0(VALU_DEP_3) | instskip(NEXT) | instid1(VALU_DEP_1)
	v_clz_i32_u32_e32 v0, v0
	v_min_u32_e32 v4, 32, v0
	s_delay_alu instid0(VALU_DEP_1) | instskip(NEXT) | instid1(VALU_DEP_1)
	v_subrev_nc_u32_e32 v0, 28, v4
	v_lshlrev_b64_e32 v[0:1], v0, v[24:25]
	v_sub_nc_u32_e32 v1, 29, v4
	s_delay_alu instid0(VALU_DEP_2)
	v_and_b32_e32 v0, 7, v0
; %bb.199:                              ;   in Loop: Header=BB298_10 Depth=1
	s_or_b32 exec_lo, exec_lo, s18
	v_lshlrev_b32_e32 v4, 8, v24
	s_delay_alu instid0(VALU_DEP_3) | instskip(NEXT) | instid1(VALU_DEP_3)
	v_lshl_add_u32 v1, v1, 10, 0x2000
	v_lshlrev_b32_e32 v0, 23, v0
	s_delay_alu instid0(VALU_DEP_2) | instskip(NEXT) | instid1(VALU_DEP_1)
	v_and_or_b32 v1, 0x8000, v4, v1
	v_lshl_or_b32 v99, v1, 16, v0
.LBB298_200:                            ;   in Loop: Header=BB298_10 Depth=1
	s_or_b32 exec_lo, exec_lo, s17
.LBB298_201:                            ;   in Loop: Header=BB298_10 Depth=1
	s_delay_alu instid0(SALU_CYCLE_1)
	s_or_b32 exec_lo, exec_lo, s16
.LBB298_202:                            ;   in Loop: Header=BB298_10 Depth=1
	s_delay_alu instid0(SALU_CYCLE_1)
	s_or_b32 exec_lo, exec_lo, s15
	flat_load_b64 v[4:5], v[2:3] offset:520
	s_mov_b32 s15, exec_lo
	s_wait_loadcnt_dscnt 0x0
	v_and_b32_e32 v0, 0xff, v4
	s_wait_xcnt 0x0
	s_delay_alu instid0(VALU_DEP_1)
	v_cmpx_ne_u16_e32 0, v0
	s_cbranch_execz .LBB298_210
; %bb.203:                              ;   in Loop: Header=BB298_10 Depth=1
	v_mov_b32_e32 v66, 0x8000
	s_mov_b32 s16, exec_lo
	v_cmpx_ne_u16_e32 0x80, v0
	s_cbranch_execz .LBB298_209
; %bb.204:                              ;   in Loop: Header=BB298_10 Depth=1
	v_and_b32_e32 v6, 0x7f, v4
	v_mov_b32_e32 v66, 0x7c01
	s_mov_b32 s17, exec_lo
	s_delay_alu instid0(VALU_DEP_2)
	v_cmpx_ne_u32_e32 0x7f, v6
	s_cbranch_execz .LBB298_208
; %bb.205:                              ;   in Loop: Header=BB298_10 Depth=1
	v_dual_lshrrev_b32 v1, 3, v6 :: v_dual_bitop2_b32 v0, 7, v4 bitop3:0x40
	s_mov_b32 s18, exec_lo
	v_cmpx_gt_u32_e32 8, v6
; %bb.206:                              ;   in Loop: Header=BB298_10 Depth=1
	s_delay_alu instid0(VALU_DEP_2) | instskip(NEXT) | instid1(VALU_DEP_1)
	v_clz_i32_u32_e32 v0, v0
	v_min_u32_e32 v6, 32, v0
	s_delay_alu instid0(VALU_DEP_1) | instskip(NEXT) | instid1(VALU_DEP_1)
	v_subrev_nc_u32_e32 v0, 28, v6
	v_lshlrev_b64_e32 v[0:1], v0, v[4:5]
	s_delay_alu instid0(VALU_DEP_1)
	v_dual_sub_nc_u32 v1, 29, v6 :: v_dual_bitop2_b32 v0, 7, v0 bitop3:0x40
; %bb.207:                              ;   in Loop: Header=BB298_10 Depth=1
	s_or_b32 exec_lo, exec_lo, s18
	v_lshlrev_b32_e32 v6, 8, v4
	s_delay_alu instid0(VALU_DEP_2) | instskip(NEXT) | instid1(VALU_DEP_3)
	v_lshl_add_u32 v1, v1, 10, 0x2000
	v_lshlrev_b32_e32 v0, 7, v0
	s_delay_alu instid0(VALU_DEP_3) | instskip(NEXT) | instid1(VALU_DEP_3)
	v_and_b32_e32 v6, 0x8000, v6
	v_and_b32_e32 v1, 0xfc00, v1
	s_delay_alu instid0(VALU_DEP_1)
	v_or3_b32 v66, v6, v1, v0
.LBB298_208:                            ;   in Loop: Header=BB298_10 Depth=1
	s_or_b32 exec_lo, exec_lo, s17
.LBB298_209:                            ;   in Loop: Header=BB298_10 Depth=1
	s_delay_alu instid0(SALU_CYCLE_1)
	s_or_b32 exec_lo, exec_lo, s16
.LBB298_210:                            ;   in Loop: Header=BB298_10 Depth=1
	s_delay_alu instid0(SALU_CYCLE_1) | instskip(SKIP_3) | instid1(VALU_DEP_2)
	s_or_b32 exec_lo, exec_lo, s15
	v_lshrrev_b16 v24, 8, v4
	v_dual_mov_b32 v98, 0 :: v_dual_mov_b32 v103, 0
	s_mov_b32 s15, exec_lo
	v_cmpx_ne_u16_e32 0, v24
	s_cbranch_execz .LBB298_218
; %bb.211:                              ;   in Loop: Header=BB298_10 Depth=1
	v_bfrev_b32_e32 v103, 1
	s_mov_b32 s16, exec_lo
	v_cmpx_ne_u16_e32 0x80, v24
	s_cbranch_execz .LBB298_217
; %bb.212:                              ;   in Loop: Header=BB298_10 Depth=1
	v_and_b32_e32 v0, 0xffff, v24
	v_mov_b32_e32 v103, 0x7c010000
	s_mov_b32 s17, exec_lo
	s_delay_alu instid0(VALU_DEP_2) | instskip(NEXT) | instid1(VALU_DEP_1)
	v_and_b32_e32 v7, 0x7f, v0
	v_cmpx_ne_u32_e32 0x7f, v7
	s_cbranch_execz .LBB298_216
; %bb.213:                              ;   in Loop: Header=BB298_10 Depth=1
	v_dual_lshrrev_b32 v6, 3, v7 :: v_dual_bitop2_b32 v1, 7, v0 bitop3:0x40
	s_mov_b32 s18, exec_lo
	v_cmpx_gt_u32_e32 8, v7
; %bb.214:                              ;   in Loop: Header=BB298_10 Depth=1
	s_delay_alu instid0(VALU_DEP_2) | instskip(NEXT) | instid1(VALU_DEP_1)
	v_clz_i32_u32_e32 v1, v1
	v_min_u32_e32 v1, 32, v1
	s_delay_alu instid0(VALU_DEP_1) | instskip(NEXT) | instid1(VALU_DEP_1)
	v_subrev_nc_u32_e32 v6, 28, v1
	v_lshlrev_b64_e32 v[8:9], v6, v[24:25]
	s_delay_alu instid0(VALU_DEP_1)
	v_dual_sub_nc_u32 v6, 29, v1 :: v_dual_bitop2_b32 v1, 7, v8 bitop3:0x40
; %bb.215:                              ;   in Loop: Header=BB298_10 Depth=1
	s_or_b32 exec_lo, exec_lo, s18
	s_delay_alu instid0(VALU_DEP_1) | instskip(NEXT) | instid1(VALU_DEP_2)
	v_dual_lshlrev_b32 v0, 8, v0 :: v_dual_lshlrev_b32 v1, 23, v1
	v_lshl_add_u32 v6, v6, 10, 0x2000
	s_delay_alu instid0(VALU_DEP_1) | instskip(NEXT) | instid1(VALU_DEP_1)
	v_and_or_b32 v0, 0x8000, v0, v6
	v_lshl_or_b32 v103, v0, 16, v1
.LBB298_216:                            ;   in Loop: Header=BB298_10 Depth=1
	s_or_b32 exec_lo, exec_lo, s17
.LBB298_217:                            ;   in Loop: Header=BB298_10 Depth=1
	s_delay_alu instid0(SALU_CYCLE_1)
	s_or_b32 exec_lo, exec_lo, s16
.LBB298_218:                            ;   in Loop: Header=BB298_10 Depth=1
	s_delay_alu instid0(SALU_CYCLE_1) | instskip(SKIP_2) | instid1(VALU_DEP_1)
	s_or_b32 exec_lo, exec_lo, s15
	v_lshrrev_b32_e32 v8, 16, v4
	s_mov_b32 s15, exec_lo
	v_and_b32_e32 v0, 0xff, v8
	s_delay_alu instid0(VALU_DEP_1)
	v_cmpx_ne_u16_e32 0, v0
	s_cbranch_execz .LBB298_226
; %bb.219:                              ;   in Loop: Header=BB298_10 Depth=1
	v_mov_b32_e32 v98, 0x8000
	s_mov_b32 s16, exec_lo
	v_cmpx_ne_u16_e32 0x80, v0
	s_cbranch_execz .LBB298_225
; %bb.220:                              ;   in Loop: Header=BB298_10 Depth=1
	v_bfe_u32 v6, v4, 16, 7
	v_mov_b32_e32 v98, 0x7c01
	s_mov_b32 s17, exec_lo
	s_delay_alu instid0(VALU_DEP_2)
	v_cmpx_ne_u32_e32 0x7f, v6
	s_cbranch_execz .LBB298_224
; %bb.221:                              ;   in Loop: Header=BB298_10 Depth=1
	v_dual_lshrrev_b32 v1, 3, v6 :: v_dual_bitop2_b32 v0, 7, v8 bitop3:0x40
	s_mov_b32 s18, exec_lo
	v_cmpx_gt_u32_e32 8, v6
; %bb.222:                              ;   in Loop: Header=BB298_10 Depth=1
	s_delay_alu instid0(VALU_DEP_2) | instskip(NEXT) | instid1(VALU_DEP_1)
	v_clz_i32_u32_e32 v0, v0
	v_min_u32_e32 v6, 32, v0
	s_delay_alu instid0(VALU_DEP_1) | instskip(NEXT) | instid1(VALU_DEP_1)
	v_subrev_nc_u32_e32 v0, 28, v6
	v_lshlrev_b64_e32 v[0:1], v0, v[8:9]
	s_delay_alu instid0(VALU_DEP_1)
	v_dual_sub_nc_u32 v1, 29, v6 :: v_dual_bitop2_b32 v0, 7, v0 bitop3:0x40
; %bb.223:                              ;   in Loop: Header=BB298_10 Depth=1
	s_or_b32 exec_lo, exec_lo, s18
	v_lshlrev_b32_e32 v6, 8, v8
	s_delay_alu instid0(VALU_DEP_2) | instskip(NEXT) | instid1(VALU_DEP_3)
	v_lshl_add_u32 v1, v1, 10, 0x2000
	v_lshlrev_b32_e32 v0, 7, v0
	s_delay_alu instid0(VALU_DEP_3) | instskip(NEXT) | instid1(VALU_DEP_3)
	v_and_b32_e32 v6, 0x8000, v6
	v_and_b32_e32 v1, 0xfc00, v1
	s_delay_alu instid0(VALU_DEP_1)
	v_or3_b32 v98, v6, v1, v0
.LBB298_224:                            ;   in Loop: Header=BB298_10 Depth=1
	s_or_b32 exec_lo, exec_lo, s17
.LBB298_225:                            ;   in Loop: Header=BB298_10 Depth=1
	s_delay_alu instid0(SALU_CYCLE_1)
	s_or_b32 exec_lo, exec_lo, s16
.LBB298_226:                            ;   in Loop: Header=BB298_10 Depth=1
	s_delay_alu instid0(SALU_CYCLE_1)
	s_or_b32 exec_lo, exec_lo, s15
	v_dual_mov_b32 v125, 0 :: v_dual_mov_b32 v101, 0
	s_mov_b32 s15, exec_lo
	v_cmpx_lt_u32_e32 0xffffff, v4
	s_cbranch_execz .LBB298_234
; %bb.227:                              ;   in Loop: Header=BB298_10 Depth=1
	v_lshrrev_b32_e32 v24, 24, v4
	v_bfrev_b32_e32 v101, 1
	s_mov_b32 s16, exec_lo
	s_delay_alu instid0(VALU_DEP_2)
	v_cmpx_ne_u32_e32 0x80, v24
	s_cbranch_execz .LBB298_233
; %bb.228:                              ;   in Loop: Header=BB298_10 Depth=1
	v_and_b32_e32 v6, 0x7f, v24
	v_mov_b32_e32 v101, 0x7c010000
	s_mov_b32 s17, exec_lo
	s_delay_alu instid0(VALU_DEP_2)
	v_cmpx_ne_u32_e32 0x7f, v6
	s_cbranch_execz .LBB298_232
; %bb.229:                              ;   in Loop: Header=BB298_10 Depth=1
	v_dual_lshrrev_b32 v1, 3, v6 :: v_dual_bitop2_b32 v0, 7, v24 bitop3:0x40
	s_mov_b32 s18, exec_lo
	v_cmpx_gt_u32_e32 8, v6
; %bb.230:                              ;   in Loop: Header=BB298_10 Depth=1
	s_delay_alu instid0(VALU_DEP_2) | instskip(NEXT) | instid1(VALU_DEP_1)
	v_clz_i32_u32_e32 v0, v0
	v_min_u32_e32 v6, 32, v0
	s_delay_alu instid0(VALU_DEP_1) | instskip(NEXT) | instid1(VALU_DEP_1)
	v_subrev_nc_u32_e32 v0, 28, v6
	v_lshlrev_b64_e32 v[0:1], v0, v[24:25]
	s_delay_alu instid0(VALU_DEP_1)
	v_dual_sub_nc_u32 v1, 29, v6 :: v_dual_bitop2_b32 v0, 7, v0 bitop3:0x40
; %bb.231:                              ;   in Loop: Header=BB298_10 Depth=1
	s_or_b32 exec_lo, exec_lo, s18
	v_lshlrev_b32_e32 v6, 8, v24
	s_delay_alu instid0(VALU_DEP_2) | instskip(NEXT) | instid1(VALU_DEP_3)
	v_lshl_add_u32 v1, v1, 10, 0x2000
	v_lshlrev_b32_e32 v0, 23, v0
	s_delay_alu instid0(VALU_DEP_2) | instskip(NEXT) | instid1(VALU_DEP_1)
	v_and_or_b32 v1, 0x8000, v6, v1
	v_lshl_or_b32 v101, v1, 16, v0
.LBB298_232:                            ;   in Loop: Header=BB298_10 Depth=1
	s_or_b32 exec_lo, exec_lo, s17
.LBB298_233:                            ;   in Loop: Header=BB298_10 Depth=1
	s_delay_alu instid0(SALU_CYCLE_1)
	s_or_b32 exec_lo, exec_lo, s16
.LBB298_234:                            ;   in Loop: Header=BB298_10 Depth=1
	s_delay_alu instid0(SALU_CYCLE_1) | instskip(SKIP_3) | instid1(VALU_DEP_2)
	s_or_b32 exec_lo, exec_lo, s15
	v_and_b32_e32 v0, 0xff, v5
	v_mov_b32_e32 v24, v5
	s_mov_b32 s15, exec_lo
	v_cmpx_ne_u16_e32 0, v0
	s_cbranch_execz .LBB298_242
; %bb.235:                              ;   in Loop: Header=BB298_10 Depth=1
	v_mov_b32_e32 v125, 0x8000
	s_mov_b32 s16, exec_lo
	v_cmpx_ne_u16_e32 0x80, v0
	s_cbranch_execz .LBB298_241
; %bb.236:                              ;   in Loop: Header=BB298_10 Depth=1
	v_and_b32_e32 v6, 0x7f, v5
	v_mov_b32_e32 v125, 0x7c01
	s_mov_b32 s17, exec_lo
	s_delay_alu instid0(VALU_DEP_2)
	v_cmpx_ne_u32_e32 0x7f, v6
	s_cbranch_execz .LBB298_240
; %bb.237:                              ;   in Loop: Header=BB298_10 Depth=1
	v_dual_lshrrev_b32 v1, 3, v6 :: v_dual_bitop2_b32 v0, 7, v5 bitop3:0x40
	s_mov_b32 s18, exec_lo
	v_cmpx_gt_u32_e32 8, v6
; %bb.238:                              ;   in Loop: Header=BB298_10 Depth=1
	s_delay_alu instid0(VALU_DEP_2) | instskip(NEXT) | instid1(VALU_DEP_1)
	v_clz_i32_u32_e32 v0, v0
	v_min_u32_e32 v6, 32, v0
	s_delay_alu instid0(VALU_DEP_1) | instskip(NEXT) | instid1(VALU_DEP_1)
	v_subrev_nc_u32_e32 v0, 28, v6
	v_lshlrev_b64_e32 v[0:1], v0, v[24:25]
	s_delay_alu instid0(VALU_DEP_1)
	v_dual_sub_nc_u32 v1, 29, v6 :: v_dual_bitop2_b32 v0, 7, v0 bitop3:0x40
; %bb.239:                              ;   in Loop: Header=BB298_10 Depth=1
	s_or_b32 exec_lo, exec_lo, s18
	s_delay_alu instid0(VALU_DEP_1) | instskip(NEXT) | instid1(VALU_DEP_2)
	v_dual_lshlrev_b32 v6, 8, v5 :: v_dual_lshlrev_b32 v0, 7, v0
	v_lshl_add_u32 v1, v1, 10, 0x2000
	s_delay_alu instid0(VALU_DEP_2) | instskip(NEXT) | instid1(VALU_DEP_2)
	v_and_b32_e32 v6, 0x8000, v6
	v_and_b32_e32 v1, 0xfc00, v1
	s_delay_alu instid0(VALU_DEP_1)
	v_or3_b32 v125, v6, v1, v0
.LBB298_240:                            ;   in Loop: Header=BB298_10 Depth=1
	s_or_b32 exec_lo, exec_lo, s17
.LBB298_241:                            ;   in Loop: Header=BB298_10 Depth=1
	s_delay_alu instid0(SALU_CYCLE_1)
	s_or_b32 exec_lo, exec_lo, s16
.LBB298_242:                            ;   in Loop: Header=BB298_10 Depth=1
	s_delay_alu instid0(SALU_CYCLE_1) | instskip(SKIP_3) | instid1(VALU_DEP_2)
	s_or_b32 exec_lo, exec_lo, s15
	v_lshrrev_b16 v24, 8, v24
	v_dual_mov_b32 v12, 0 :: v_dual_mov_b32 v102, 0
	s_mov_b32 s15, exec_lo
	v_cmpx_ne_u16_e32 0, v24
	s_cbranch_execz .LBB298_250
; %bb.243:                              ;   in Loop: Header=BB298_10 Depth=1
	v_bfrev_b32_e32 v102, 1
	s_mov_b32 s16, exec_lo
	v_cmpx_ne_u16_e32 0x80, v24
	s_cbranch_execz .LBB298_249
; %bb.244:                              ;   in Loop: Header=BB298_10 Depth=1
	v_and_b32_e32 v0, 0xffff, v24
	v_mov_b32_e32 v102, 0x7c010000
	s_mov_b32 s17, exec_lo
	s_delay_alu instid0(VALU_DEP_2) | instskip(NEXT) | instid1(VALU_DEP_1)
	v_and_b32_e32 v7, 0x7f, v0
	v_cmpx_ne_u32_e32 0x7f, v7
	s_cbranch_execz .LBB298_248
; %bb.245:                              ;   in Loop: Header=BB298_10 Depth=1
	v_dual_lshrrev_b32 v6, 3, v7 :: v_dual_bitop2_b32 v1, 7, v0 bitop3:0x40
	s_mov_b32 s18, exec_lo
	v_cmpx_gt_u32_e32 8, v7
; %bb.246:                              ;   in Loop: Header=BB298_10 Depth=1
	s_delay_alu instid0(VALU_DEP_2) | instskip(NEXT) | instid1(VALU_DEP_1)
	v_clz_i32_u32_e32 v1, v1
	v_min_u32_e32 v1, 32, v1
	s_delay_alu instid0(VALU_DEP_1) | instskip(NEXT) | instid1(VALU_DEP_1)
	v_subrev_nc_u32_e32 v6, 28, v1
	v_lshlrev_b64_e32 v[8:9], v6, v[24:25]
	s_delay_alu instid0(VALU_DEP_1)
	v_dual_sub_nc_u32 v6, 29, v1 :: v_dual_bitop2_b32 v1, 7, v8 bitop3:0x40
; %bb.247:                              ;   in Loop: Header=BB298_10 Depth=1
	s_or_b32 exec_lo, exec_lo, s18
	s_delay_alu instid0(VALU_DEP_1) | instskip(NEXT) | instid1(VALU_DEP_2)
	v_dual_lshlrev_b32 v0, 8, v0 :: v_dual_lshlrev_b32 v1, 23, v1
	v_lshl_add_u32 v6, v6, 10, 0x2000
	s_delay_alu instid0(VALU_DEP_1) | instskip(NEXT) | instid1(VALU_DEP_1)
	v_and_or_b32 v0, 0x8000, v0, v6
	v_lshl_or_b32 v102, v0, 16, v1
.LBB298_248:                            ;   in Loop: Header=BB298_10 Depth=1
	s_or_b32 exec_lo, exec_lo, s17
.LBB298_249:                            ;   in Loop: Header=BB298_10 Depth=1
	s_delay_alu instid0(SALU_CYCLE_1)
	s_or_b32 exec_lo, exec_lo, s16
.LBB298_250:                            ;   in Loop: Header=BB298_10 Depth=1
	s_delay_alu instid0(SALU_CYCLE_1) | instskip(SKIP_2) | instid1(VALU_DEP_1)
	s_or_b32 exec_lo, exec_lo, s15
	v_lshrrev_b32_e32 v8, 16, v5
	s_mov_b32 s15, exec_lo
	v_and_b32_e32 v0, 0xff, v8
	s_delay_alu instid0(VALU_DEP_1)
	v_cmpx_ne_u16_e32 0, v0
	s_cbranch_execz .LBB298_258
; %bb.251:                              ;   in Loop: Header=BB298_10 Depth=1
	v_mov_b32_e32 v12, 0x8000
	s_mov_b32 s16, exec_lo
	v_cmpx_ne_u16_e32 0x80, v0
	s_cbranch_execz .LBB298_257
; %bb.252:                              ;   in Loop: Header=BB298_10 Depth=1
	v_bfe_u32 v6, v5, 16, 7
	v_mov_b32_e32 v12, 0x7c01
	s_mov_b32 s17, exec_lo
	s_delay_alu instid0(VALU_DEP_2)
	v_cmpx_ne_u32_e32 0x7f, v6
	s_cbranch_execz .LBB298_256
; %bb.253:                              ;   in Loop: Header=BB298_10 Depth=1
	v_dual_lshrrev_b32 v1, 3, v6 :: v_dual_bitop2_b32 v0, 7, v8 bitop3:0x40
	s_mov_b32 s18, exec_lo
	v_cmpx_gt_u32_e32 8, v6
; %bb.254:                              ;   in Loop: Header=BB298_10 Depth=1
	s_delay_alu instid0(VALU_DEP_2) | instskip(NEXT) | instid1(VALU_DEP_1)
	v_clz_i32_u32_e32 v0, v0
	v_min_u32_e32 v6, 32, v0
	s_delay_alu instid0(VALU_DEP_1) | instskip(NEXT) | instid1(VALU_DEP_1)
	v_subrev_nc_u32_e32 v0, 28, v6
	v_lshlrev_b64_e32 v[0:1], v0, v[8:9]
	s_delay_alu instid0(VALU_DEP_1)
	v_dual_sub_nc_u32 v1, 29, v6 :: v_dual_bitop2_b32 v0, 7, v0 bitop3:0x40
; %bb.255:                              ;   in Loop: Header=BB298_10 Depth=1
	s_or_b32 exec_lo, exec_lo, s18
	v_lshlrev_b32_e32 v6, 8, v8
	s_delay_alu instid0(VALU_DEP_2) | instskip(NEXT) | instid1(VALU_DEP_3)
	v_lshl_add_u32 v1, v1, 10, 0x2000
	v_lshlrev_b32_e32 v0, 7, v0
	s_delay_alu instid0(VALU_DEP_3) | instskip(NEXT) | instid1(VALU_DEP_3)
	v_and_b32_e32 v6, 0x8000, v6
	v_and_b32_e32 v1, 0xfc00, v1
	s_delay_alu instid0(VALU_DEP_1)
	v_or3_b32 v12, v6, v1, v0
.LBB298_256:                            ;   in Loop: Header=BB298_10 Depth=1
	s_or_b32 exec_lo, exec_lo, s17
.LBB298_257:                            ;   in Loop: Header=BB298_10 Depth=1
	s_delay_alu instid0(SALU_CYCLE_1)
	s_or_b32 exec_lo, exec_lo, s16
.LBB298_258:                            ;   in Loop: Header=BB298_10 Depth=1
	s_delay_alu instid0(SALU_CYCLE_1)
	s_or_b32 exec_lo, exec_lo, s15
	v_dual_mov_b32 v65, 0 :: v_dual_mov_b32 v114, 0
	s_mov_b32 s15, exec_lo
	v_cmpx_lt_u64_e64 s[2:3], v[4:5]
	s_cbranch_execz .LBB298_266
; %bb.259:                              ;   in Loop: Header=BB298_10 Depth=1
	v_lshrrev_b32_e32 v24, 24, v5
	v_bfrev_b32_e32 v114, 1
	s_mov_b32 s16, exec_lo
	s_delay_alu instid0(VALU_DEP_2)
	v_cmpx_ne_u32_e32 0x80, v24
	s_cbranch_execz .LBB298_265
; %bb.260:                              ;   in Loop: Header=BB298_10 Depth=1
	v_and_b32_e32 v4, 0x7f, v24
	v_mov_b32_e32 v114, 0x7c010000
	s_mov_b32 s17, exec_lo
	s_delay_alu instid0(VALU_DEP_2)
	v_cmpx_ne_u32_e32 0x7f, v4
	s_cbranch_execz .LBB298_264
; %bb.261:                              ;   in Loop: Header=BB298_10 Depth=1
	v_and_b32_e32 v0, 7, v24
	v_lshrrev_b32_e32 v1, 3, v4
	s_mov_b32 s18, exec_lo
	v_cmpx_gt_u32_e32 8, v4
; %bb.262:                              ;   in Loop: Header=BB298_10 Depth=1
	s_delay_alu instid0(VALU_DEP_3) | instskip(NEXT) | instid1(VALU_DEP_1)
	v_clz_i32_u32_e32 v0, v0
	v_min_u32_e32 v4, 32, v0
	s_delay_alu instid0(VALU_DEP_1) | instskip(NEXT) | instid1(VALU_DEP_1)
	v_subrev_nc_u32_e32 v0, 28, v4
	v_lshlrev_b64_e32 v[0:1], v0, v[24:25]
	v_sub_nc_u32_e32 v1, 29, v4
	s_delay_alu instid0(VALU_DEP_2)
	v_and_b32_e32 v0, 7, v0
; %bb.263:                              ;   in Loop: Header=BB298_10 Depth=1
	s_or_b32 exec_lo, exec_lo, s18
	v_lshlrev_b32_e32 v4, 8, v24
	s_delay_alu instid0(VALU_DEP_3) | instskip(NEXT) | instid1(VALU_DEP_3)
	v_lshl_add_u32 v1, v1, 10, 0x2000
	v_lshlrev_b32_e32 v0, 23, v0
	s_delay_alu instid0(VALU_DEP_2) | instskip(NEXT) | instid1(VALU_DEP_1)
	v_and_or_b32 v1, 0x8000, v4, v1
	v_lshl_or_b32 v114, v1, 16, v0
.LBB298_264:                            ;   in Loop: Header=BB298_10 Depth=1
	s_or_b32 exec_lo, exec_lo, s17
.LBB298_265:                            ;   in Loop: Header=BB298_10 Depth=1
	s_delay_alu instid0(SALU_CYCLE_1)
	s_or_b32 exec_lo, exec_lo, s16
.LBB298_266:                            ;   in Loop: Header=BB298_10 Depth=1
	s_delay_alu instid0(SALU_CYCLE_1)
	s_or_b32 exec_lo, exec_lo, s15
	flat_load_b64 v[4:5], v[2:3] offset:1024
	s_mov_b32 s15, exec_lo
	s_wait_loadcnt_dscnt 0x0
	v_and_b32_e32 v0, 0xff, v4
	s_wait_xcnt 0x0
	s_delay_alu instid0(VALU_DEP_1)
	v_cmpx_ne_u16_e32 0, v0
	s_cbranch_execz .LBB298_274
; %bb.267:                              ;   in Loop: Header=BB298_10 Depth=1
	v_mov_b32_e32 v65, 0x8000
	s_mov_b32 s16, exec_lo
	v_cmpx_ne_u16_e32 0x80, v0
	s_cbranch_execz .LBB298_273
; %bb.268:                              ;   in Loop: Header=BB298_10 Depth=1
	v_and_b32_e32 v6, 0x7f, v4
	v_mov_b32_e32 v65, 0x7c01
	s_mov_b32 s17, exec_lo
	s_delay_alu instid0(VALU_DEP_2)
	v_cmpx_ne_u32_e32 0x7f, v6
	s_cbranch_execz .LBB298_272
; %bb.269:                              ;   in Loop: Header=BB298_10 Depth=1
	v_dual_lshrrev_b32 v1, 3, v6 :: v_dual_bitop2_b32 v0, 7, v4 bitop3:0x40
	s_mov_b32 s18, exec_lo
	v_cmpx_gt_u32_e32 8, v6
; %bb.270:                              ;   in Loop: Header=BB298_10 Depth=1
	s_delay_alu instid0(VALU_DEP_2) | instskip(NEXT) | instid1(VALU_DEP_1)
	v_clz_i32_u32_e32 v0, v0
	v_min_u32_e32 v6, 32, v0
	s_delay_alu instid0(VALU_DEP_1) | instskip(NEXT) | instid1(VALU_DEP_1)
	v_subrev_nc_u32_e32 v0, 28, v6
	v_lshlrev_b64_e32 v[0:1], v0, v[4:5]
	s_delay_alu instid0(VALU_DEP_1)
	v_dual_sub_nc_u32 v1, 29, v6 :: v_dual_bitop2_b32 v0, 7, v0 bitop3:0x40
; %bb.271:                              ;   in Loop: Header=BB298_10 Depth=1
	s_or_b32 exec_lo, exec_lo, s18
	v_lshlrev_b32_e32 v6, 8, v4
	s_delay_alu instid0(VALU_DEP_2) | instskip(NEXT) | instid1(VALU_DEP_3)
	v_lshl_add_u32 v1, v1, 10, 0x2000
	v_lshlrev_b32_e32 v0, 7, v0
	s_delay_alu instid0(VALU_DEP_3) | instskip(NEXT) | instid1(VALU_DEP_3)
	v_and_b32_e32 v6, 0x8000, v6
	v_and_b32_e32 v1, 0xfc00, v1
	s_delay_alu instid0(VALU_DEP_1)
	v_or3_b32 v65, v6, v1, v0
.LBB298_272:                            ;   in Loop: Header=BB298_10 Depth=1
	s_or_b32 exec_lo, exec_lo, s17
.LBB298_273:                            ;   in Loop: Header=BB298_10 Depth=1
	s_delay_alu instid0(SALU_CYCLE_1)
	s_or_b32 exec_lo, exec_lo, s16
.LBB298_274:                            ;   in Loop: Header=BB298_10 Depth=1
	s_delay_alu instid0(SALU_CYCLE_1) | instskip(SKIP_3) | instid1(VALU_DEP_2)
	s_or_b32 exec_lo, exec_lo, s15
	v_lshrrev_b16 v24, 8, v4
	v_dual_mov_b32 v45, 0 :: v_dual_mov_b32 v117, 0
	s_mov_b32 s15, exec_lo
	v_cmpx_ne_u16_e32 0, v24
	s_cbranch_execz .LBB298_282
; %bb.275:                              ;   in Loop: Header=BB298_10 Depth=1
	v_bfrev_b32_e32 v117, 1
	s_mov_b32 s16, exec_lo
	v_cmpx_ne_u16_e32 0x80, v24
	s_cbranch_execz .LBB298_281
; %bb.276:                              ;   in Loop: Header=BB298_10 Depth=1
	v_and_b32_e32 v0, 0xffff, v24
	v_mov_b32_e32 v117, 0x7c010000
	s_mov_b32 s17, exec_lo
	s_delay_alu instid0(VALU_DEP_2) | instskip(NEXT) | instid1(VALU_DEP_1)
	v_and_b32_e32 v7, 0x7f, v0
	v_cmpx_ne_u32_e32 0x7f, v7
	s_cbranch_execz .LBB298_280
; %bb.277:                              ;   in Loop: Header=BB298_10 Depth=1
	v_dual_lshrrev_b32 v6, 3, v7 :: v_dual_bitop2_b32 v1, 7, v0 bitop3:0x40
	s_mov_b32 s18, exec_lo
	v_cmpx_gt_u32_e32 8, v7
; %bb.278:                              ;   in Loop: Header=BB298_10 Depth=1
	s_delay_alu instid0(VALU_DEP_2) | instskip(NEXT) | instid1(VALU_DEP_1)
	v_clz_i32_u32_e32 v1, v1
	v_min_u32_e32 v1, 32, v1
	s_delay_alu instid0(VALU_DEP_1) | instskip(NEXT) | instid1(VALU_DEP_1)
	v_subrev_nc_u32_e32 v6, 28, v1
	v_lshlrev_b64_e32 v[8:9], v6, v[24:25]
	s_delay_alu instid0(VALU_DEP_1)
	v_dual_sub_nc_u32 v6, 29, v1 :: v_dual_bitop2_b32 v1, 7, v8 bitop3:0x40
; %bb.279:                              ;   in Loop: Header=BB298_10 Depth=1
	s_or_b32 exec_lo, exec_lo, s18
	s_delay_alu instid0(VALU_DEP_1) | instskip(NEXT) | instid1(VALU_DEP_2)
	v_dual_lshlrev_b32 v0, 8, v0 :: v_dual_lshlrev_b32 v1, 23, v1
	v_lshl_add_u32 v6, v6, 10, 0x2000
	s_delay_alu instid0(VALU_DEP_1) | instskip(NEXT) | instid1(VALU_DEP_1)
	v_and_or_b32 v0, 0x8000, v0, v6
	v_lshl_or_b32 v117, v0, 16, v1
.LBB298_280:                            ;   in Loop: Header=BB298_10 Depth=1
	s_or_b32 exec_lo, exec_lo, s17
.LBB298_281:                            ;   in Loop: Header=BB298_10 Depth=1
	s_delay_alu instid0(SALU_CYCLE_1)
	s_or_b32 exec_lo, exec_lo, s16
.LBB298_282:                            ;   in Loop: Header=BB298_10 Depth=1
	s_delay_alu instid0(SALU_CYCLE_1) | instskip(SKIP_2) | instid1(VALU_DEP_1)
	s_or_b32 exec_lo, exec_lo, s15
	v_lshrrev_b32_e32 v8, 16, v4
	s_mov_b32 s15, exec_lo
	v_and_b32_e32 v0, 0xff, v8
	s_delay_alu instid0(VALU_DEP_1)
	v_cmpx_ne_u16_e32 0, v0
	s_cbranch_execz .LBB298_290
; %bb.283:                              ;   in Loop: Header=BB298_10 Depth=1
	v_mov_b32_e32 v45, 0x8000
	s_mov_b32 s16, exec_lo
	v_cmpx_ne_u16_e32 0x80, v0
	s_cbranch_execz .LBB298_289
; %bb.284:                              ;   in Loop: Header=BB298_10 Depth=1
	v_bfe_u32 v6, v4, 16, 7
	v_mov_b32_e32 v45, 0x7c01
	s_mov_b32 s17, exec_lo
	s_delay_alu instid0(VALU_DEP_2)
	v_cmpx_ne_u32_e32 0x7f, v6
	s_cbranch_execz .LBB298_288
; %bb.285:                              ;   in Loop: Header=BB298_10 Depth=1
	v_dual_lshrrev_b32 v1, 3, v6 :: v_dual_bitop2_b32 v0, 7, v8 bitop3:0x40
	s_mov_b32 s18, exec_lo
	v_cmpx_gt_u32_e32 8, v6
; %bb.286:                              ;   in Loop: Header=BB298_10 Depth=1
	s_delay_alu instid0(VALU_DEP_2) | instskip(NEXT) | instid1(VALU_DEP_1)
	v_clz_i32_u32_e32 v0, v0
	v_min_u32_e32 v6, 32, v0
	s_delay_alu instid0(VALU_DEP_1) | instskip(NEXT) | instid1(VALU_DEP_1)
	v_subrev_nc_u32_e32 v0, 28, v6
	v_lshlrev_b64_e32 v[0:1], v0, v[8:9]
	s_delay_alu instid0(VALU_DEP_1)
	v_dual_sub_nc_u32 v1, 29, v6 :: v_dual_bitop2_b32 v0, 7, v0 bitop3:0x40
; %bb.287:                              ;   in Loop: Header=BB298_10 Depth=1
	s_or_b32 exec_lo, exec_lo, s18
	v_lshlrev_b32_e32 v6, 8, v8
	s_delay_alu instid0(VALU_DEP_2) | instskip(NEXT) | instid1(VALU_DEP_3)
	v_lshl_add_u32 v1, v1, 10, 0x2000
	v_lshlrev_b32_e32 v0, 7, v0
	s_delay_alu instid0(VALU_DEP_3) | instskip(NEXT) | instid1(VALU_DEP_3)
	v_and_b32_e32 v6, 0x8000, v6
	v_and_b32_e32 v1, 0xfc00, v1
	s_delay_alu instid0(VALU_DEP_1)
	v_or3_b32 v45, v6, v1, v0
.LBB298_288:                            ;   in Loop: Header=BB298_10 Depth=1
	s_or_b32 exec_lo, exec_lo, s17
.LBB298_289:                            ;   in Loop: Header=BB298_10 Depth=1
	s_delay_alu instid0(SALU_CYCLE_1)
	s_or_b32 exec_lo, exec_lo, s16
.LBB298_290:                            ;   in Loop: Header=BB298_10 Depth=1
	s_delay_alu instid0(SALU_CYCLE_1)
	s_or_b32 exec_lo, exec_lo, s15
	v_dual_mov_b32 v74, 0 :: v_dual_mov_b32 v100, 0
	s_mov_b32 s15, exec_lo
	v_cmpx_lt_u32_e32 0xffffff, v4
	s_cbranch_execz .LBB298_298
; %bb.291:                              ;   in Loop: Header=BB298_10 Depth=1
	v_lshrrev_b32_e32 v24, 24, v4
	v_bfrev_b32_e32 v100, 1
	s_mov_b32 s16, exec_lo
	s_delay_alu instid0(VALU_DEP_2)
	v_cmpx_ne_u32_e32 0x80, v24
	s_cbranch_execz .LBB298_297
; %bb.292:                              ;   in Loop: Header=BB298_10 Depth=1
	v_and_b32_e32 v6, 0x7f, v24
	v_mov_b32_e32 v100, 0x7c010000
	s_mov_b32 s17, exec_lo
	s_delay_alu instid0(VALU_DEP_2)
	v_cmpx_ne_u32_e32 0x7f, v6
	s_cbranch_execz .LBB298_296
; %bb.293:                              ;   in Loop: Header=BB298_10 Depth=1
	v_dual_lshrrev_b32 v1, 3, v6 :: v_dual_bitop2_b32 v0, 7, v24 bitop3:0x40
	s_mov_b32 s18, exec_lo
	v_cmpx_gt_u32_e32 8, v6
; %bb.294:                              ;   in Loop: Header=BB298_10 Depth=1
	s_delay_alu instid0(VALU_DEP_2) | instskip(NEXT) | instid1(VALU_DEP_1)
	v_clz_i32_u32_e32 v0, v0
	v_min_u32_e32 v6, 32, v0
	s_delay_alu instid0(VALU_DEP_1) | instskip(NEXT) | instid1(VALU_DEP_1)
	v_subrev_nc_u32_e32 v0, 28, v6
	v_lshlrev_b64_e32 v[0:1], v0, v[24:25]
	s_delay_alu instid0(VALU_DEP_1)
	v_dual_sub_nc_u32 v1, 29, v6 :: v_dual_bitop2_b32 v0, 7, v0 bitop3:0x40
; %bb.295:                              ;   in Loop: Header=BB298_10 Depth=1
	s_or_b32 exec_lo, exec_lo, s18
	v_lshlrev_b32_e32 v6, 8, v24
	s_delay_alu instid0(VALU_DEP_2) | instskip(NEXT) | instid1(VALU_DEP_3)
	v_lshl_add_u32 v1, v1, 10, 0x2000
	v_lshlrev_b32_e32 v0, 23, v0
	s_delay_alu instid0(VALU_DEP_2) | instskip(NEXT) | instid1(VALU_DEP_1)
	v_and_or_b32 v1, 0x8000, v6, v1
	v_lshl_or_b32 v100, v1, 16, v0
.LBB298_296:                            ;   in Loop: Header=BB298_10 Depth=1
	s_or_b32 exec_lo, exec_lo, s17
.LBB298_297:                            ;   in Loop: Header=BB298_10 Depth=1
	s_delay_alu instid0(SALU_CYCLE_1)
	s_or_b32 exec_lo, exec_lo, s16
.LBB298_298:                            ;   in Loop: Header=BB298_10 Depth=1
	s_delay_alu instid0(SALU_CYCLE_1) | instskip(SKIP_3) | instid1(VALU_DEP_2)
	s_or_b32 exec_lo, exec_lo, s15
	v_and_b32_e32 v0, 0xff, v5
	v_mov_b32_e32 v24, v5
	s_mov_b32 s15, exec_lo
	v_cmpx_ne_u16_e32 0, v0
	s_cbranch_execz .LBB298_306
; %bb.299:                              ;   in Loop: Header=BB298_10 Depth=1
	v_mov_b32_e32 v74, 0x8000
	s_mov_b32 s16, exec_lo
	v_cmpx_ne_u16_e32 0x80, v0
	s_cbranch_execz .LBB298_305
; %bb.300:                              ;   in Loop: Header=BB298_10 Depth=1
	v_and_b32_e32 v6, 0x7f, v5
	v_mov_b32_e32 v74, 0x7c01
	s_mov_b32 s17, exec_lo
	s_delay_alu instid0(VALU_DEP_2)
	v_cmpx_ne_u32_e32 0x7f, v6
	s_cbranch_execz .LBB298_304
; %bb.301:                              ;   in Loop: Header=BB298_10 Depth=1
	v_dual_lshrrev_b32 v1, 3, v6 :: v_dual_bitop2_b32 v0, 7, v5 bitop3:0x40
	s_mov_b32 s18, exec_lo
	v_cmpx_gt_u32_e32 8, v6
; %bb.302:                              ;   in Loop: Header=BB298_10 Depth=1
	s_delay_alu instid0(VALU_DEP_2) | instskip(NEXT) | instid1(VALU_DEP_1)
	v_clz_i32_u32_e32 v0, v0
	v_min_u32_e32 v6, 32, v0
	s_delay_alu instid0(VALU_DEP_1) | instskip(NEXT) | instid1(VALU_DEP_1)
	v_subrev_nc_u32_e32 v0, 28, v6
	v_lshlrev_b64_e32 v[0:1], v0, v[24:25]
	s_delay_alu instid0(VALU_DEP_1)
	v_dual_sub_nc_u32 v1, 29, v6 :: v_dual_bitop2_b32 v0, 7, v0 bitop3:0x40
; %bb.303:                              ;   in Loop: Header=BB298_10 Depth=1
	s_or_b32 exec_lo, exec_lo, s18
	s_delay_alu instid0(VALU_DEP_1) | instskip(NEXT) | instid1(VALU_DEP_2)
	v_dual_lshlrev_b32 v6, 8, v5 :: v_dual_lshlrev_b32 v0, 7, v0
	v_lshl_add_u32 v1, v1, 10, 0x2000
	s_delay_alu instid0(VALU_DEP_2) | instskip(NEXT) | instid1(VALU_DEP_2)
	v_and_b32_e32 v6, 0x8000, v6
	v_and_b32_e32 v1, 0xfc00, v1
	s_delay_alu instid0(VALU_DEP_1)
	v_or3_b32 v74, v6, v1, v0
.LBB298_304:                            ;   in Loop: Header=BB298_10 Depth=1
	s_or_b32 exec_lo, exec_lo, s17
.LBB298_305:                            ;   in Loop: Header=BB298_10 Depth=1
	s_delay_alu instid0(SALU_CYCLE_1)
	s_or_b32 exec_lo, exec_lo, s16
.LBB298_306:                            ;   in Loop: Header=BB298_10 Depth=1
	s_delay_alu instid0(SALU_CYCLE_1) | instskip(SKIP_3) | instid1(VALU_DEP_2)
	s_or_b32 exec_lo, exec_lo, s15
	v_lshrrev_b16 v24, 8, v24
	v_dual_mov_b32 v48, 0 :: v_dual_mov_b32 v52, 0
	s_mov_b32 s15, exec_lo
	v_cmpx_ne_u16_e32 0, v24
	s_cbranch_execz .LBB298_314
; %bb.307:                              ;   in Loop: Header=BB298_10 Depth=1
	v_bfrev_b32_e32 v52, 1
	s_mov_b32 s16, exec_lo
	v_cmpx_ne_u16_e32 0x80, v24
	s_cbranch_execz .LBB298_313
; %bb.308:                              ;   in Loop: Header=BB298_10 Depth=1
	v_and_b32_e32 v0, 0xffff, v24
	v_mov_b32_e32 v52, 0x7c010000
	s_mov_b32 s17, exec_lo
	s_delay_alu instid0(VALU_DEP_2) | instskip(NEXT) | instid1(VALU_DEP_1)
	v_and_b32_e32 v7, 0x7f, v0
	v_cmpx_ne_u32_e32 0x7f, v7
	s_cbranch_execz .LBB298_312
; %bb.309:                              ;   in Loop: Header=BB298_10 Depth=1
	v_dual_lshrrev_b32 v6, 3, v7 :: v_dual_bitop2_b32 v1, 7, v0 bitop3:0x40
	s_mov_b32 s18, exec_lo
	v_cmpx_gt_u32_e32 8, v7
; %bb.310:                              ;   in Loop: Header=BB298_10 Depth=1
	s_delay_alu instid0(VALU_DEP_2) | instskip(NEXT) | instid1(VALU_DEP_1)
	v_clz_i32_u32_e32 v1, v1
	v_min_u32_e32 v1, 32, v1
	s_delay_alu instid0(VALU_DEP_1) | instskip(NEXT) | instid1(VALU_DEP_1)
	v_subrev_nc_u32_e32 v6, 28, v1
	v_lshlrev_b64_e32 v[8:9], v6, v[24:25]
	s_delay_alu instid0(VALU_DEP_1)
	v_dual_sub_nc_u32 v6, 29, v1 :: v_dual_bitop2_b32 v1, 7, v8 bitop3:0x40
; %bb.311:                              ;   in Loop: Header=BB298_10 Depth=1
	s_or_b32 exec_lo, exec_lo, s18
	s_delay_alu instid0(VALU_DEP_1) | instskip(NEXT) | instid1(VALU_DEP_2)
	v_dual_lshlrev_b32 v0, 8, v0 :: v_dual_lshlrev_b32 v1, 23, v1
	v_lshl_add_u32 v6, v6, 10, 0x2000
	s_delay_alu instid0(VALU_DEP_1) | instskip(NEXT) | instid1(VALU_DEP_1)
	v_and_or_b32 v0, 0x8000, v0, v6
	v_lshl_or_b32 v52, v0, 16, v1
.LBB298_312:                            ;   in Loop: Header=BB298_10 Depth=1
	s_or_b32 exec_lo, exec_lo, s17
.LBB298_313:                            ;   in Loop: Header=BB298_10 Depth=1
	s_delay_alu instid0(SALU_CYCLE_1)
	s_or_b32 exec_lo, exec_lo, s16
.LBB298_314:                            ;   in Loop: Header=BB298_10 Depth=1
	s_delay_alu instid0(SALU_CYCLE_1) | instskip(SKIP_2) | instid1(VALU_DEP_1)
	s_or_b32 exec_lo, exec_lo, s15
	v_lshrrev_b32_e32 v8, 16, v5
	s_mov_b32 s15, exec_lo
	v_and_b32_e32 v0, 0xff, v8
	s_delay_alu instid0(VALU_DEP_1)
	v_cmpx_ne_u16_e32 0, v0
	s_cbranch_execz .LBB298_322
; %bb.315:                              ;   in Loop: Header=BB298_10 Depth=1
	v_mov_b32_e32 v48, 0x8000
	s_mov_b32 s16, exec_lo
	v_cmpx_ne_u16_e32 0x80, v0
	s_cbranch_execz .LBB298_321
; %bb.316:                              ;   in Loop: Header=BB298_10 Depth=1
	v_bfe_u32 v6, v5, 16, 7
	v_mov_b32_e32 v48, 0x7c01
	s_mov_b32 s17, exec_lo
	s_delay_alu instid0(VALU_DEP_2)
	v_cmpx_ne_u32_e32 0x7f, v6
	s_cbranch_execz .LBB298_320
; %bb.317:                              ;   in Loop: Header=BB298_10 Depth=1
	v_dual_lshrrev_b32 v1, 3, v6 :: v_dual_bitop2_b32 v0, 7, v8 bitop3:0x40
	s_mov_b32 s18, exec_lo
	v_cmpx_gt_u32_e32 8, v6
; %bb.318:                              ;   in Loop: Header=BB298_10 Depth=1
	s_delay_alu instid0(VALU_DEP_2) | instskip(NEXT) | instid1(VALU_DEP_1)
	v_clz_i32_u32_e32 v0, v0
	v_min_u32_e32 v6, 32, v0
	s_delay_alu instid0(VALU_DEP_1) | instskip(NEXT) | instid1(VALU_DEP_1)
	v_subrev_nc_u32_e32 v0, 28, v6
	v_lshlrev_b64_e32 v[0:1], v0, v[8:9]
	s_delay_alu instid0(VALU_DEP_1)
	v_dual_sub_nc_u32 v1, 29, v6 :: v_dual_bitop2_b32 v0, 7, v0 bitop3:0x40
; %bb.319:                              ;   in Loop: Header=BB298_10 Depth=1
	s_or_b32 exec_lo, exec_lo, s18
	v_lshlrev_b32_e32 v6, 8, v8
	s_delay_alu instid0(VALU_DEP_2) | instskip(NEXT) | instid1(VALU_DEP_3)
	v_lshl_add_u32 v1, v1, 10, 0x2000
	v_lshlrev_b32_e32 v0, 7, v0
	s_delay_alu instid0(VALU_DEP_3) | instskip(NEXT) | instid1(VALU_DEP_3)
	v_and_b32_e32 v6, 0x8000, v6
	v_and_b32_e32 v1, 0xfc00, v1
	s_delay_alu instid0(VALU_DEP_1)
	v_or3_b32 v48, v6, v1, v0
.LBB298_320:                            ;   in Loop: Header=BB298_10 Depth=1
	s_or_b32 exec_lo, exec_lo, s17
.LBB298_321:                            ;   in Loop: Header=BB298_10 Depth=1
	s_delay_alu instid0(SALU_CYCLE_1)
	s_or_b32 exec_lo, exec_lo, s16
.LBB298_322:                            ;   in Loop: Header=BB298_10 Depth=1
	s_delay_alu instid0(SALU_CYCLE_1)
	s_or_b32 exec_lo, exec_lo, s15
	v_dual_mov_b32 v96, 0 :: v_dual_mov_b32 v53, 0
	s_mov_b32 s15, exec_lo
	v_cmpx_lt_u64_e64 s[2:3], v[4:5]
	s_cbranch_execz .LBB298_330
; %bb.323:                              ;   in Loop: Header=BB298_10 Depth=1
	v_lshrrev_b32_e32 v24, 24, v5
	v_bfrev_b32_e32 v53, 1
	s_mov_b32 s16, exec_lo
	s_delay_alu instid0(VALU_DEP_2)
	v_cmpx_ne_u32_e32 0x80, v24
	s_cbranch_execz .LBB298_329
; %bb.324:                              ;   in Loop: Header=BB298_10 Depth=1
	v_and_b32_e32 v4, 0x7f, v24
	v_mov_b32_e32 v53, 0x7c010000
	s_mov_b32 s17, exec_lo
	s_delay_alu instid0(VALU_DEP_2)
	v_cmpx_ne_u32_e32 0x7f, v4
	s_cbranch_execz .LBB298_328
; %bb.325:                              ;   in Loop: Header=BB298_10 Depth=1
	v_and_b32_e32 v0, 7, v24
	v_lshrrev_b32_e32 v1, 3, v4
	s_mov_b32 s18, exec_lo
	v_cmpx_gt_u32_e32 8, v4
; %bb.326:                              ;   in Loop: Header=BB298_10 Depth=1
	s_delay_alu instid0(VALU_DEP_3) | instskip(NEXT) | instid1(VALU_DEP_1)
	v_clz_i32_u32_e32 v0, v0
	v_min_u32_e32 v4, 32, v0
	s_delay_alu instid0(VALU_DEP_1) | instskip(NEXT) | instid1(VALU_DEP_1)
	v_subrev_nc_u32_e32 v0, 28, v4
	v_lshlrev_b64_e32 v[0:1], v0, v[24:25]
	v_sub_nc_u32_e32 v1, 29, v4
	s_delay_alu instid0(VALU_DEP_2)
	v_and_b32_e32 v0, 7, v0
; %bb.327:                              ;   in Loop: Header=BB298_10 Depth=1
	s_or_b32 exec_lo, exec_lo, s18
	v_lshlrev_b32_e32 v4, 8, v24
	s_delay_alu instid0(VALU_DEP_3) | instskip(NEXT) | instid1(VALU_DEP_3)
	v_lshl_add_u32 v1, v1, 10, 0x2000
	v_lshlrev_b32_e32 v0, 23, v0
	s_delay_alu instid0(VALU_DEP_2) | instskip(NEXT) | instid1(VALU_DEP_1)
	v_and_or_b32 v1, 0x8000, v4, v1
	v_lshl_or_b32 v53, v1, 16, v0
.LBB298_328:                            ;   in Loop: Header=BB298_10 Depth=1
	s_or_b32 exec_lo, exec_lo, s17
.LBB298_329:                            ;   in Loop: Header=BB298_10 Depth=1
	s_delay_alu instid0(SALU_CYCLE_1)
	s_or_b32 exec_lo, exec_lo, s16
.LBB298_330:                            ;   in Loop: Header=BB298_10 Depth=1
	s_delay_alu instid0(SALU_CYCLE_1)
	s_or_b32 exec_lo, exec_lo, s15
	flat_load_b64 v[4:5], v[2:3] offset:1032
	s_mov_b32 s15, exec_lo
	s_wait_loadcnt_dscnt 0x0
	v_and_b32_e32 v0, 0xff, v4
	s_wait_xcnt 0x0
	s_delay_alu instid0(VALU_DEP_1)
	v_cmpx_ne_u16_e32 0, v0
	s_cbranch_execz .LBB298_338
; %bb.331:                              ;   in Loop: Header=BB298_10 Depth=1
	v_mov_b32_e32 v96, 0x8000
	s_mov_b32 s16, exec_lo
	v_cmpx_ne_u16_e32 0x80, v0
	s_cbranch_execz .LBB298_337
; %bb.332:                              ;   in Loop: Header=BB298_10 Depth=1
	v_and_b32_e32 v6, 0x7f, v4
	v_mov_b32_e32 v96, 0x7c01
	s_mov_b32 s17, exec_lo
	s_delay_alu instid0(VALU_DEP_2)
	v_cmpx_ne_u32_e32 0x7f, v6
	s_cbranch_execz .LBB298_336
; %bb.333:                              ;   in Loop: Header=BB298_10 Depth=1
	v_dual_lshrrev_b32 v1, 3, v6 :: v_dual_bitop2_b32 v0, 7, v4 bitop3:0x40
	s_mov_b32 s18, exec_lo
	v_cmpx_gt_u32_e32 8, v6
; %bb.334:                              ;   in Loop: Header=BB298_10 Depth=1
	s_delay_alu instid0(VALU_DEP_2) | instskip(NEXT) | instid1(VALU_DEP_1)
	v_clz_i32_u32_e32 v0, v0
	v_min_u32_e32 v6, 32, v0
	s_delay_alu instid0(VALU_DEP_1) | instskip(NEXT) | instid1(VALU_DEP_1)
	v_subrev_nc_u32_e32 v0, 28, v6
	v_lshlrev_b64_e32 v[0:1], v0, v[4:5]
	s_delay_alu instid0(VALU_DEP_1)
	v_dual_sub_nc_u32 v1, 29, v6 :: v_dual_bitop2_b32 v0, 7, v0 bitop3:0x40
; %bb.335:                              ;   in Loop: Header=BB298_10 Depth=1
	s_or_b32 exec_lo, exec_lo, s18
	v_lshlrev_b32_e32 v6, 8, v4
	s_delay_alu instid0(VALU_DEP_2) | instskip(NEXT) | instid1(VALU_DEP_3)
	v_lshl_add_u32 v1, v1, 10, 0x2000
	v_lshlrev_b32_e32 v0, 7, v0
	s_delay_alu instid0(VALU_DEP_3) | instskip(NEXT) | instid1(VALU_DEP_3)
	v_and_b32_e32 v6, 0x8000, v6
	v_and_b32_e32 v1, 0xfc00, v1
	s_delay_alu instid0(VALU_DEP_1)
	v_or3_b32 v96, v6, v1, v0
.LBB298_336:                            ;   in Loop: Header=BB298_10 Depth=1
	s_or_b32 exec_lo, exec_lo, s17
.LBB298_337:                            ;   in Loop: Header=BB298_10 Depth=1
	s_delay_alu instid0(SALU_CYCLE_1)
	s_or_b32 exec_lo, exec_lo, s16
.LBB298_338:                            ;   in Loop: Header=BB298_10 Depth=1
	s_delay_alu instid0(SALU_CYCLE_1) | instskip(SKIP_3) | instid1(VALU_DEP_2)
	s_or_b32 exec_lo, exec_lo, s15
	v_lshrrev_b16 v24, 8, v4
	v_dual_mov_b32 v42, 0 :: v_dual_mov_b32 v115, 0
	s_mov_b32 s15, exec_lo
	v_cmpx_ne_u16_e32 0, v24
	s_cbranch_execz .LBB298_346
; %bb.339:                              ;   in Loop: Header=BB298_10 Depth=1
	v_bfrev_b32_e32 v115, 1
	s_mov_b32 s16, exec_lo
	v_cmpx_ne_u16_e32 0x80, v24
	s_cbranch_execz .LBB298_345
; %bb.340:                              ;   in Loop: Header=BB298_10 Depth=1
	v_and_b32_e32 v0, 0xffff, v24
	v_mov_b32_e32 v115, 0x7c010000
	s_mov_b32 s17, exec_lo
	s_delay_alu instid0(VALU_DEP_2) | instskip(NEXT) | instid1(VALU_DEP_1)
	v_and_b32_e32 v7, 0x7f, v0
	v_cmpx_ne_u32_e32 0x7f, v7
	s_cbranch_execz .LBB298_344
; %bb.341:                              ;   in Loop: Header=BB298_10 Depth=1
	v_dual_lshrrev_b32 v6, 3, v7 :: v_dual_bitop2_b32 v1, 7, v0 bitop3:0x40
	s_mov_b32 s18, exec_lo
	v_cmpx_gt_u32_e32 8, v7
; %bb.342:                              ;   in Loop: Header=BB298_10 Depth=1
	s_delay_alu instid0(VALU_DEP_2) | instskip(NEXT) | instid1(VALU_DEP_1)
	v_clz_i32_u32_e32 v1, v1
	v_min_u32_e32 v1, 32, v1
	s_delay_alu instid0(VALU_DEP_1) | instskip(NEXT) | instid1(VALU_DEP_1)
	v_subrev_nc_u32_e32 v6, 28, v1
	v_lshlrev_b64_e32 v[8:9], v6, v[24:25]
	s_delay_alu instid0(VALU_DEP_1)
	v_dual_sub_nc_u32 v6, 29, v1 :: v_dual_bitop2_b32 v1, 7, v8 bitop3:0x40
; %bb.343:                              ;   in Loop: Header=BB298_10 Depth=1
	s_or_b32 exec_lo, exec_lo, s18
	s_delay_alu instid0(VALU_DEP_1) | instskip(NEXT) | instid1(VALU_DEP_2)
	v_dual_lshlrev_b32 v0, 8, v0 :: v_dual_lshlrev_b32 v1, 23, v1
	v_lshl_add_u32 v6, v6, 10, 0x2000
	s_delay_alu instid0(VALU_DEP_1) | instskip(NEXT) | instid1(VALU_DEP_1)
	v_and_or_b32 v0, 0x8000, v0, v6
	v_lshl_or_b32 v115, v0, 16, v1
.LBB298_344:                            ;   in Loop: Header=BB298_10 Depth=1
	s_or_b32 exec_lo, exec_lo, s17
.LBB298_345:                            ;   in Loop: Header=BB298_10 Depth=1
	s_delay_alu instid0(SALU_CYCLE_1)
	s_or_b32 exec_lo, exec_lo, s16
.LBB298_346:                            ;   in Loop: Header=BB298_10 Depth=1
	s_delay_alu instid0(SALU_CYCLE_1) | instskip(SKIP_2) | instid1(VALU_DEP_1)
	s_or_b32 exec_lo, exec_lo, s15
	v_lshrrev_b32_e32 v8, 16, v4
	s_mov_b32 s15, exec_lo
	v_and_b32_e32 v0, 0xff, v8
	s_delay_alu instid0(VALU_DEP_1)
	v_cmpx_ne_u16_e32 0, v0
	s_cbranch_execz .LBB298_354
; %bb.347:                              ;   in Loop: Header=BB298_10 Depth=1
	v_mov_b32_e32 v42, 0x8000
	s_mov_b32 s16, exec_lo
	v_cmpx_ne_u16_e32 0x80, v0
	s_cbranch_execz .LBB298_353
; %bb.348:                              ;   in Loop: Header=BB298_10 Depth=1
	v_bfe_u32 v6, v4, 16, 7
	v_mov_b32_e32 v42, 0x7c01
	s_mov_b32 s17, exec_lo
	s_delay_alu instid0(VALU_DEP_2)
	v_cmpx_ne_u32_e32 0x7f, v6
	s_cbranch_execz .LBB298_352
; %bb.349:                              ;   in Loop: Header=BB298_10 Depth=1
	v_dual_lshrrev_b32 v1, 3, v6 :: v_dual_bitop2_b32 v0, 7, v8 bitop3:0x40
	s_mov_b32 s18, exec_lo
	v_cmpx_gt_u32_e32 8, v6
; %bb.350:                              ;   in Loop: Header=BB298_10 Depth=1
	s_delay_alu instid0(VALU_DEP_2) | instskip(NEXT) | instid1(VALU_DEP_1)
	v_clz_i32_u32_e32 v0, v0
	v_min_u32_e32 v6, 32, v0
	s_delay_alu instid0(VALU_DEP_1) | instskip(NEXT) | instid1(VALU_DEP_1)
	v_subrev_nc_u32_e32 v0, 28, v6
	v_lshlrev_b64_e32 v[0:1], v0, v[8:9]
	s_delay_alu instid0(VALU_DEP_1)
	v_dual_sub_nc_u32 v1, 29, v6 :: v_dual_bitop2_b32 v0, 7, v0 bitop3:0x40
; %bb.351:                              ;   in Loop: Header=BB298_10 Depth=1
	s_or_b32 exec_lo, exec_lo, s18
	v_lshlrev_b32_e32 v6, 8, v8
	s_delay_alu instid0(VALU_DEP_2) | instskip(NEXT) | instid1(VALU_DEP_3)
	v_lshl_add_u32 v1, v1, 10, 0x2000
	v_lshlrev_b32_e32 v0, 7, v0
	s_delay_alu instid0(VALU_DEP_3) | instskip(NEXT) | instid1(VALU_DEP_3)
	v_and_b32_e32 v6, 0x8000, v6
	v_and_b32_e32 v1, 0xfc00, v1
	s_delay_alu instid0(VALU_DEP_1)
	v_or3_b32 v42, v6, v1, v0
.LBB298_352:                            ;   in Loop: Header=BB298_10 Depth=1
	s_or_b32 exec_lo, exec_lo, s17
.LBB298_353:                            ;   in Loop: Header=BB298_10 Depth=1
	s_delay_alu instid0(SALU_CYCLE_1)
	s_or_b32 exec_lo, exec_lo, s16
.LBB298_354:                            ;   in Loop: Header=BB298_10 Depth=1
	s_delay_alu instid0(SALU_CYCLE_1)
	s_or_b32 exec_lo, exec_lo, s15
	v_dual_mov_b32 v46, 0 :: v_dual_mov_b32 v116, 0
	s_mov_b32 s15, exec_lo
	v_cmpx_lt_u32_e32 0xffffff, v4
	s_cbranch_execz .LBB298_362
; %bb.355:                              ;   in Loop: Header=BB298_10 Depth=1
	v_lshrrev_b32_e32 v24, 24, v4
	v_bfrev_b32_e32 v116, 1
	s_mov_b32 s16, exec_lo
	s_delay_alu instid0(VALU_DEP_2)
	v_cmpx_ne_u32_e32 0x80, v24
	s_cbranch_execz .LBB298_361
; %bb.356:                              ;   in Loop: Header=BB298_10 Depth=1
	v_and_b32_e32 v6, 0x7f, v24
	v_mov_b32_e32 v116, 0x7c010000
	s_mov_b32 s17, exec_lo
	s_delay_alu instid0(VALU_DEP_2)
	v_cmpx_ne_u32_e32 0x7f, v6
	s_cbranch_execz .LBB298_360
; %bb.357:                              ;   in Loop: Header=BB298_10 Depth=1
	v_dual_lshrrev_b32 v1, 3, v6 :: v_dual_bitop2_b32 v0, 7, v24 bitop3:0x40
	s_mov_b32 s18, exec_lo
	v_cmpx_gt_u32_e32 8, v6
; %bb.358:                              ;   in Loop: Header=BB298_10 Depth=1
	s_delay_alu instid0(VALU_DEP_2) | instskip(NEXT) | instid1(VALU_DEP_1)
	v_clz_i32_u32_e32 v0, v0
	v_min_u32_e32 v6, 32, v0
	s_delay_alu instid0(VALU_DEP_1) | instskip(NEXT) | instid1(VALU_DEP_1)
	v_subrev_nc_u32_e32 v0, 28, v6
	v_lshlrev_b64_e32 v[0:1], v0, v[24:25]
	s_delay_alu instid0(VALU_DEP_1)
	v_dual_sub_nc_u32 v1, 29, v6 :: v_dual_bitop2_b32 v0, 7, v0 bitop3:0x40
; %bb.359:                              ;   in Loop: Header=BB298_10 Depth=1
	s_or_b32 exec_lo, exec_lo, s18
	v_lshlrev_b32_e32 v6, 8, v24
	s_delay_alu instid0(VALU_DEP_2) | instskip(NEXT) | instid1(VALU_DEP_3)
	v_lshl_add_u32 v1, v1, 10, 0x2000
	v_lshlrev_b32_e32 v0, 23, v0
	s_delay_alu instid0(VALU_DEP_2) | instskip(NEXT) | instid1(VALU_DEP_1)
	v_and_or_b32 v1, 0x8000, v6, v1
	v_lshl_or_b32 v116, v1, 16, v0
.LBB298_360:                            ;   in Loop: Header=BB298_10 Depth=1
	s_or_b32 exec_lo, exec_lo, s17
.LBB298_361:                            ;   in Loop: Header=BB298_10 Depth=1
	s_delay_alu instid0(SALU_CYCLE_1)
	s_or_b32 exec_lo, exec_lo, s16
.LBB298_362:                            ;   in Loop: Header=BB298_10 Depth=1
	s_delay_alu instid0(SALU_CYCLE_1) | instskip(SKIP_3) | instid1(VALU_DEP_2)
	s_or_b32 exec_lo, exec_lo, s15
	v_and_b32_e32 v0, 0xff, v5
	v_mov_b32_e32 v24, v5
	s_mov_b32 s15, exec_lo
	v_cmpx_ne_u16_e32 0, v0
	s_cbranch_execz .LBB298_370
; %bb.363:                              ;   in Loop: Header=BB298_10 Depth=1
	v_mov_b32_e32 v46, 0x8000
	s_mov_b32 s16, exec_lo
	v_cmpx_ne_u16_e32 0x80, v0
	s_cbranch_execz .LBB298_369
; %bb.364:                              ;   in Loop: Header=BB298_10 Depth=1
	v_and_b32_e32 v6, 0x7f, v5
	v_mov_b32_e32 v46, 0x7c01
	s_mov_b32 s17, exec_lo
	s_delay_alu instid0(VALU_DEP_2)
	v_cmpx_ne_u32_e32 0x7f, v6
	s_cbranch_execz .LBB298_368
; %bb.365:                              ;   in Loop: Header=BB298_10 Depth=1
	v_dual_lshrrev_b32 v1, 3, v6 :: v_dual_bitop2_b32 v0, 7, v5 bitop3:0x40
	s_mov_b32 s18, exec_lo
	v_cmpx_gt_u32_e32 8, v6
; %bb.366:                              ;   in Loop: Header=BB298_10 Depth=1
	s_delay_alu instid0(VALU_DEP_2) | instskip(NEXT) | instid1(VALU_DEP_1)
	v_clz_i32_u32_e32 v0, v0
	v_min_u32_e32 v6, 32, v0
	s_delay_alu instid0(VALU_DEP_1) | instskip(NEXT) | instid1(VALU_DEP_1)
	v_subrev_nc_u32_e32 v0, 28, v6
	v_lshlrev_b64_e32 v[0:1], v0, v[24:25]
	s_delay_alu instid0(VALU_DEP_1)
	v_dual_sub_nc_u32 v1, 29, v6 :: v_dual_bitop2_b32 v0, 7, v0 bitop3:0x40
; %bb.367:                              ;   in Loop: Header=BB298_10 Depth=1
	s_or_b32 exec_lo, exec_lo, s18
	s_delay_alu instid0(VALU_DEP_1) | instskip(NEXT) | instid1(VALU_DEP_2)
	v_dual_lshlrev_b32 v6, 8, v5 :: v_dual_lshlrev_b32 v0, 7, v0
	v_lshl_add_u32 v1, v1, 10, 0x2000
	s_delay_alu instid0(VALU_DEP_2) | instskip(NEXT) | instid1(VALU_DEP_2)
	v_and_b32_e32 v6, 0x8000, v6
	v_and_b32_e32 v1, 0xfc00, v1
	s_delay_alu instid0(VALU_DEP_1)
	v_or3_b32 v46, v6, v1, v0
.LBB298_368:                            ;   in Loop: Header=BB298_10 Depth=1
	s_or_b32 exec_lo, exec_lo, s17
.LBB298_369:                            ;   in Loop: Header=BB298_10 Depth=1
	s_delay_alu instid0(SALU_CYCLE_1)
	s_or_b32 exec_lo, exec_lo, s16
.LBB298_370:                            ;   in Loop: Header=BB298_10 Depth=1
	s_delay_alu instid0(SALU_CYCLE_1) | instskip(SKIP_3) | instid1(VALU_DEP_2)
	s_or_b32 exec_lo, exec_lo, s15
	v_lshrrev_b16 v24, 8, v24
	v_dual_mov_b32 v75, 0 :: v_dual_mov_b32 v79, 0
	s_mov_b32 s15, exec_lo
	v_cmpx_ne_u16_e32 0, v24
	s_cbranch_execz .LBB298_378
; %bb.371:                              ;   in Loop: Header=BB298_10 Depth=1
	v_bfrev_b32_e32 v79, 1
	s_mov_b32 s16, exec_lo
	v_cmpx_ne_u16_e32 0x80, v24
	s_cbranch_execz .LBB298_377
; %bb.372:                              ;   in Loop: Header=BB298_10 Depth=1
	v_and_b32_e32 v0, 0xffff, v24
	v_mov_b32_e32 v79, 0x7c010000
	s_mov_b32 s17, exec_lo
	s_delay_alu instid0(VALU_DEP_2) | instskip(NEXT) | instid1(VALU_DEP_1)
	v_and_b32_e32 v7, 0x7f, v0
	v_cmpx_ne_u32_e32 0x7f, v7
	s_cbranch_execz .LBB298_376
; %bb.373:                              ;   in Loop: Header=BB298_10 Depth=1
	v_dual_lshrrev_b32 v6, 3, v7 :: v_dual_bitop2_b32 v1, 7, v0 bitop3:0x40
	s_mov_b32 s18, exec_lo
	v_cmpx_gt_u32_e32 8, v7
; %bb.374:                              ;   in Loop: Header=BB298_10 Depth=1
	s_delay_alu instid0(VALU_DEP_2) | instskip(NEXT) | instid1(VALU_DEP_1)
	v_clz_i32_u32_e32 v1, v1
	v_min_u32_e32 v1, 32, v1
	s_delay_alu instid0(VALU_DEP_1) | instskip(NEXT) | instid1(VALU_DEP_1)
	v_subrev_nc_u32_e32 v6, 28, v1
	v_lshlrev_b64_e32 v[8:9], v6, v[24:25]
	s_delay_alu instid0(VALU_DEP_1)
	v_dual_sub_nc_u32 v6, 29, v1 :: v_dual_bitop2_b32 v1, 7, v8 bitop3:0x40
; %bb.375:                              ;   in Loop: Header=BB298_10 Depth=1
	s_or_b32 exec_lo, exec_lo, s18
	s_delay_alu instid0(VALU_DEP_1) | instskip(NEXT) | instid1(VALU_DEP_2)
	v_dual_lshlrev_b32 v0, 8, v0 :: v_dual_lshlrev_b32 v1, 23, v1
	v_lshl_add_u32 v6, v6, 10, 0x2000
	s_delay_alu instid0(VALU_DEP_1) | instskip(NEXT) | instid1(VALU_DEP_1)
	v_and_or_b32 v0, 0x8000, v0, v6
	v_lshl_or_b32 v79, v0, 16, v1
.LBB298_376:                            ;   in Loop: Header=BB298_10 Depth=1
	s_or_b32 exec_lo, exec_lo, s17
.LBB298_377:                            ;   in Loop: Header=BB298_10 Depth=1
	s_delay_alu instid0(SALU_CYCLE_1)
	s_or_b32 exec_lo, exec_lo, s16
.LBB298_378:                            ;   in Loop: Header=BB298_10 Depth=1
	s_delay_alu instid0(SALU_CYCLE_1) | instskip(SKIP_2) | instid1(VALU_DEP_1)
	s_or_b32 exec_lo, exec_lo, s15
	v_lshrrev_b32_e32 v8, 16, v5
	s_mov_b32 s15, exec_lo
	v_and_b32_e32 v0, 0xff, v8
	s_delay_alu instid0(VALU_DEP_1)
	v_cmpx_ne_u16_e32 0, v0
	s_cbranch_execz .LBB298_386
; %bb.379:                              ;   in Loop: Header=BB298_10 Depth=1
	v_mov_b32_e32 v75, 0x8000
	s_mov_b32 s16, exec_lo
	v_cmpx_ne_u16_e32 0x80, v0
	s_cbranch_execz .LBB298_385
; %bb.380:                              ;   in Loop: Header=BB298_10 Depth=1
	v_bfe_u32 v6, v5, 16, 7
	v_mov_b32_e32 v75, 0x7c01
	s_mov_b32 s17, exec_lo
	s_delay_alu instid0(VALU_DEP_2)
	v_cmpx_ne_u32_e32 0x7f, v6
	s_cbranch_execz .LBB298_384
; %bb.381:                              ;   in Loop: Header=BB298_10 Depth=1
	v_dual_lshrrev_b32 v1, 3, v6 :: v_dual_bitop2_b32 v0, 7, v8 bitop3:0x40
	s_mov_b32 s18, exec_lo
	v_cmpx_gt_u32_e32 8, v6
; %bb.382:                              ;   in Loop: Header=BB298_10 Depth=1
	s_delay_alu instid0(VALU_DEP_2) | instskip(NEXT) | instid1(VALU_DEP_1)
	v_clz_i32_u32_e32 v0, v0
	v_min_u32_e32 v6, 32, v0
	s_delay_alu instid0(VALU_DEP_1) | instskip(NEXT) | instid1(VALU_DEP_1)
	v_subrev_nc_u32_e32 v0, 28, v6
	v_lshlrev_b64_e32 v[0:1], v0, v[8:9]
	s_delay_alu instid0(VALU_DEP_1)
	v_dual_sub_nc_u32 v1, 29, v6 :: v_dual_bitop2_b32 v0, 7, v0 bitop3:0x40
; %bb.383:                              ;   in Loop: Header=BB298_10 Depth=1
	s_or_b32 exec_lo, exec_lo, s18
	v_lshlrev_b32_e32 v6, 8, v8
	s_delay_alu instid0(VALU_DEP_2) | instskip(NEXT) | instid1(VALU_DEP_3)
	v_lshl_add_u32 v1, v1, 10, 0x2000
	v_lshlrev_b32_e32 v0, 7, v0
	s_delay_alu instid0(VALU_DEP_3) | instskip(NEXT) | instid1(VALU_DEP_3)
	v_and_b32_e32 v6, 0x8000, v6
	v_and_b32_e32 v1, 0xfc00, v1
	s_delay_alu instid0(VALU_DEP_1)
	v_or3_b32 v75, v6, v1, v0
.LBB298_384:                            ;   in Loop: Header=BB298_10 Depth=1
	s_or_b32 exec_lo, exec_lo, s17
.LBB298_385:                            ;   in Loop: Header=BB298_10 Depth=1
	s_delay_alu instid0(SALU_CYCLE_1)
	s_or_b32 exec_lo, exec_lo, s16
.LBB298_386:                            ;   in Loop: Header=BB298_10 Depth=1
	s_delay_alu instid0(SALU_CYCLE_1)
	s_or_b32 exec_lo, exec_lo, s15
	v_dual_mov_b32 v94, 0 :: v_dual_mov_b32 v43, 0
	s_mov_b32 s15, exec_lo
	v_cmpx_lt_u64_e64 s[2:3], v[4:5]
	s_cbranch_execz .LBB298_394
; %bb.387:                              ;   in Loop: Header=BB298_10 Depth=1
	v_lshrrev_b32_e32 v24, 24, v5
	v_bfrev_b32_e32 v43, 1
	s_mov_b32 s16, exec_lo
	s_delay_alu instid0(VALU_DEP_2)
	v_cmpx_ne_u32_e32 0x80, v24
	s_cbranch_execz .LBB298_393
; %bb.388:                              ;   in Loop: Header=BB298_10 Depth=1
	v_and_b32_e32 v4, 0x7f, v24
	v_mov_b32_e32 v43, 0x7c010000
	s_mov_b32 s17, exec_lo
	s_delay_alu instid0(VALU_DEP_2)
	v_cmpx_ne_u32_e32 0x7f, v4
	s_cbranch_execz .LBB298_392
; %bb.389:                              ;   in Loop: Header=BB298_10 Depth=1
	v_and_b32_e32 v0, 7, v24
	v_lshrrev_b32_e32 v1, 3, v4
	s_mov_b32 s18, exec_lo
	v_cmpx_gt_u32_e32 8, v4
; %bb.390:                              ;   in Loop: Header=BB298_10 Depth=1
	s_delay_alu instid0(VALU_DEP_3) | instskip(NEXT) | instid1(VALU_DEP_1)
	v_clz_i32_u32_e32 v0, v0
	v_min_u32_e32 v4, 32, v0
	s_delay_alu instid0(VALU_DEP_1) | instskip(NEXT) | instid1(VALU_DEP_1)
	v_subrev_nc_u32_e32 v0, 28, v4
	v_lshlrev_b64_e32 v[0:1], v0, v[24:25]
	v_sub_nc_u32_e32 v1, 29, v4
	s_delay_alu instid0(VALU_DEP_2)
	v_and_b32_e32 v0, 7, v0
; %bb.391:                              ;   in Loop: Header=BB298_10 Depth=1
	s_or_b32 exec_lo, exec_lo, s18
	v_lshlrev_b32_e32 v4, 8, v24
	s_delay_alu instid0(VALU_DEP_3) | instskip(NEXT) | instid1(VALU_DEP_3)
	v_lshl_add_u32 v1, v1, 10, 0x2000
	v_lshlrev_b32_e32 v0, 23, v0
	s_delay_alu instid0(VALU_DEP_2) | instskip(NEXT) | instid1(VALU_DEP_1)
	v_and_or_b32 v1, 0x8000, v4, v1
	v_lshl_or_b32 v43, v1, 16, v0
.LBB298_392:                            ;   in Loop: Header=BB298_10 Depth=1
	s_or_b32 exec_lo, exec_lo, s17
.LBB298_393:                            ;   in Loop: Header=BB298_10 Depth=1
	s_delay_alu instid0(SALU_CYCLE_1)
	s_or_b32 exec_lo, exec_lo, s16
.LBB298_394:                            ;   in Loop: Header=BB298_10 Depth=1
	s_delay_alu instid0(SALU_CYCLE_1)
	s_or_b32 exec_lo, exec_lo, s15
	flat_load_b64 v[4:5], v[2:3] offset:1536
	s_mov_b32 s15, exec_lo
	s_wait_loadcnt_dscnt 0x0
	v_and_b32_e32 v0, 0xff, v4
	s_wait_xcnt 0x0
	s_delay_alu instid0(VALU_DEP_1)
	v_cmpx_ne_u16_e32 0, v0
	s_cbranch_execz .LBB298_402
; %bb.395:                              ;   in Loop: Header=BB298_10 Depth=1
	v_mov_b32_e32 v94, 0x8000
	s_mov_b32 s16, exec_lo
	v_cmpx_ne_u16_e32 0x80, v0
	s_cbranch_execz .LBB298_401
; %bb.396:                              ;   in Loop: Header=BB298_10 Depth=1
	v_and_b32_e32 v6, 0x7f, v4
	v_mov_b32_e32 v94, 0x7c01
	s_mov_b32 s17, exec_lo
	s_delay_alu instid0(VALU_DEP_2)
	v_cmpx_ne_u32_e32 0x7f, v6
	s_cbranch_execz .LBB298_400
; %bb.397:                              ;   in Loop: Header=BB298_10 Depth=1
	v_dual_lshrrev_b32 v1, 3, v6 :: v_dual_bitop2_b32 v0, 7, v4 bitop3:0x40
	s_mov_b32 s18, exec_lo
	v_cmpx_gt_u32_e32 8, v6
; %bb.398:                              ;   in Loop: Header=BB298_10 Depth=1
	s_delay_alu instid0(VALU_DEP_2) | instskip(NEXT) | instid1(VALU_DEP_1)
	v_clz_i32_u32_e32 v0, v0
	v_min_u32_e32 v6, 32, v0
	s_delay_alu instid0(VALU_DEP_1) | instskip(NEXT) | instid1(VALU_DEP_1)
	v_subrev_nc_u32_e32 v0, 28, v6
	v_lshlrev_b64_e32 v[0:1], v0, v[4:5]
	s_delay_alu instid0(VALU_DEP_1)
	v_dual_sub_nc_u32 v1, 29, v6 :: v_dual_bitop2_b32 v0, 7, v0 bitop3:0x40
; %bb.399:                              ;   in Loop: Header=BB298_10 Depth=1
	s_or_b32 exec_lo, exec_lo, s18
	v_lshlrev_b32_e32 v6, 8, v4
	s_delay_alu instid0(VALU_DEP_2) | instskip(NEXT) | instid1(VALU_DEP_3)
	v_lshl_add_u32 v1, v1, 10, 0x2000
	v_lshlrev_b32_e32 v0, 7, v0
	s_delay_alu instid0(VALU_DEP_3) | instskip(NEXT) | instid1(VALU_DEP_3)
	v_and_b32_e32 v6, 0x8000, v6
	v_and_b32_e32 v1, 0xfc00, v1
	s_delay_alu instid0(VALU_DEP_1)
	v_or3_b32 v94, v6, v1, v0
.LBB298_400:                            ;   in Loop: Header=BB298_10 Depth=1
	s_or_b32 exec_lo, exec_lo, s17
.LBB298_401:                            ;   in Loop: Header=BB298_10 Depth=1
	s_delay_alu instid0(SALU_CYCLE_1)
	s_or_b32 exec_lo, exec_lo, s16
.LBB298_402:                            ;   in Loop: Header=BB298_10 Depth=1
	s_delay_alu instid0(SALU_CYCLE_1) | instskip(SKIP_3) | instid1(VALU_DEP_2)
	s_or_b32 exec_lo, exec_lo, s15
	v_lshrrev_b16 v24, 8, v4
	v_dual_mov_b32 v69, 0 :: v_dual_mov_b32 v68, 0
	s_mov_b32 s15, exec_lo
	v_cmpx_ne_u16_e32 0, v24
	s_cbranch_execz .LBB298_410
; %bb.403:                              ;   in Loop: Header=BB298_10 Depth=1
	v_bfrev_b32_e32 v68, 1
	s_mov_b32 s16, exec_lo
	v_cmpx_ne_u16_e32 0x80, v24
	s_cbranch_execz .LBB298_409
; %bb.404:                              ;   in Loop: Header=BB298_10 Depth=1
	v_and_b32_e32 v0, 0xffff, v24
	v_mov_b32_e32 v68, 0x7c010000
	s_mov_b32 s17, exec_lo
	s_delay_alu instid0(VALU_DEP_2) | instskip(NEXT) | instid1(VALU_DEP_1)
	v_and_b32_e32 v7, 0x7f, v0
	v_cmpx_ne_u32_e32 0x7f, v7
	s_cbranch_execz .LBB298_408
; %bb.405:                              ;   in Loop: Header=BB298_10 Depth=1
	v_dual_lshrrev_b32 v6, 3, v7 :: v_dual_bitop2_b32 v1, 7, v0 bitop3:0x40
	s_mov_b32 s18, exec_lo
	v_cmpx_gt_u32_e32 8, v7
; %bb.406:                              ;   in Loop: Header=BB298_10 Depth=1
	s_delay_alu instid0(VALU_DEP_2) | instskip(NEXT) | instid1(VALU_DEP_1)
	v_clz_i32_u32_e32 v1, v1
	v_min_u32_e32 v1, 32, v1
	s_delay_alu instid0(VALU_DEP_1) | instskip(NEXT) | instid1(VALU_DEP_1)
	v_subrev_nc_u32_e32 v6, 28, v1
	v_lshlrev_b64_e32 v[8:9], v6, v[24:25]
	s_delay_alu instid0(VALU_DEP_1)
	v_dual_sub_nc_u32 v6, 29, v1 :: v_dual_bitop2_b32 v1, 7, v8 bitop3:0x40
; %bb.407:                              ;   in Loop: Header=BB298_10 Depth=1
	s_or_b32 exec_lo, exec_lo, s18
	s_delay_alu instid0(VALU_DEP_1) | instskip(NEXT) | instid1(VALU_DEP_2)
	v_dual_lshlrev_b32 v0, 8, v0 :: v_dual_lshlrev_b32 v1, 23, v1
	v_lshl_add_u32 v6, v6, 10, 0x2000
	s_delay_alu instid0(VALU_DEP_1) | instskip(NEXT) | instid1(VALU_DEP_1)
	v_and_or_b32 v0, 0x8000, v0, v6
	v_lshl_or_b32 v68, v0, 16, v1
.LBB298_408:                            ;   in Loop: Header=BB298_10 Depth=1
	s_or_b32 exec_lo, exec_lo, s17
.LBB298_409:                            ;   in Loop: Header=BB298_10 Depth=1
	s_delay_alu instid0(SALU_CYCLE_1)
	s_or_b32 exec_lo, exec_lo, s16
.LBB298_410:                            ;   in Loop: Header=BB298_10 Depth=1
	s_delay_alu instid0(SALU_CYCLE_1) | instskip(SKIP_2) | instid1(VALU_DEP_1)
	s_or_b32 exec_lo, exec_lo, s15
	v_lshrrev_b32_e32 v8, 16, v4
	s_mov_b32 s15, exec_lo
	v_and_b32_e32 v0, 0xff, v8
	s_delay_alu instid0(VALU_DEP_1)
	v_cmpx_ne_u16_e32 0, v0
	s_cbranch_execz .LBB298_418
; %bb.411:                              ;   in Loop: Header=BB298_10 Depth=1
	v_mov_b32_e32 v69, 0x8000
	s_mov_b32 s16, exec_lo
	v_cmpx_ne_u16_e32 0x80, v0
	s_cbranch_execz .LBB298_417
; %bb.412:                              ;   in Loop: Header=BB298_10 Depth=1
	v_bfe_u32 v6, v4, 16, 7
	v_mov_b32_e32 v69, 0x7c01
	s_mov_b32 s17, exec_lo
	s_delay_alu instid0(VALU_DEP_2)
	v_cmpx_ne_u32_e32 0x7f, v6
	s_cbranch_execz .LBB298_416
; %bb.413:                              ;   in Loop: Header=BB298_10 Depth=1
	v_dual_lshrrev_b32 v1, 3, v6 :: v_dual_bitop2_b32 v0, 7, v8 bitop3:0x40
	s_mov_b32 s18, exec_lo
	v_cmpx_gt_u32_e32 8, v6
; %bb.414:                              ;   in Loop: Header=BB298_10 Depth=1
	s_delay_alu instid0(VALU_DEP_2) | instskip(NEXT) | instid1(VALU_DEP_1)
	v_clz_i32_u32_e32 v0, v0
	v_min_u32_e32 v6, 32, v0
	s_delay_alu instid0(VALU_DEP_1) | instskip(NEXT) | instid1(VALU_DEP_1)
	v_subrev_nc_u32_e32 v0, 28, v6
	v_lshlrev_b64_e32 v[0:1], v0, v[8:9]
	s_delay_alu instid0(VALU_DEP_1)
	v_dual_sub_nc_u32 v1, 29, v6 :: v_dual_bitop2_b32 v0, 7, v0 bitop3:0x40
; %bb.415:                              ;   in Loop: Header=BB298_10 Depth=1
	s_or_b32 exec_lo, exec_lo, s18
	v_lshlrev_b32_e32 v6, 8, v8
	s_delay_alu instid0(VALU_DEP_2) | instskip(NEXT) | instid1(VALU_DEP_3)
	v_lshl_add_u32 v1, v1, 10, 0x2000
	v_lshlrev_b32_e32 v0, 7, v0
	s_delay_alu instid0(VALU_DEP_3) | instskip(NEXT) | instid1(VALU_DEP_3)
	v_and_b32_e32 v6, 0x8000, v6
	v_and_b32_e32 v1, 0xfc00, v1
	s_delay_alu instid0(VALU_DEP_1)
	v_or3_b32 v69, v6, v1, v0
.LBB298_416:                            ;   in Loop: Header=BB298_10 Depth=1
	s_or_b32 exec_lo, exec_lo, s17
.LBB298_417:                            ;   in Loop: Header=BB298_10 Depth=1
	s_delay_alu instid0(SALU_CYCLE_1)
	s_or_b32 exec_lo, exec_lo, s16
.LBB298_418:                            ;   in Loop: Header=BB298_10 Depth=1
	s_delay_alu instid0(SALU_CYCLE_1)
	s_or_b32 exec_lo, exec_lo, s15
	v_dual_mov_b32 v91, 0 :: v_dual_mov_b32 v47, 0
	s_mov_b32 s15, exec_lo
	v_cmpx_lt_u32_e32 0xffffff, v4
	s_cbranch_execz .LBB298_426
; %bb.419:                              ;   in Loop: Header=BB298_10 Depth=1
	v_lshrrev_b32_e32 v24, 24, v4
	v_bfrev_b32_e32 v47, 1
	s_mov_b32 s16, exec_lo
	s_delay_alu instid0(VALU_DEP_2)
	v_cmpx_ne_u32_e32 0x80, v24
	s_cbranch_execz .LBB298_425
; %bb.420:                              ;   in Loop: Header=BB298_10 Depth=1
	v_and_b32_e32 v6, 0x7f, v24
	v_mov_b32_e32 v47, 0x7c010000
	s_mov_b32 s17, exec_lo
	s_delay_alu instid0(VALU_DEP_2)
	v_cmpx_ne_u32_e32 0x7f, v6
	s_cbranch_execz .LBB298_424
; %bb.421:                              ;   in Loop: Header=BB298_10 Depth=1
	v_dual_lshrrev_b32 v1, 3, v6 :: v_dual_bitop2_b32 v0, 7, v24 bitop3:0x40
	s_mov_b32 s18, exec_lo
	v_cmpx_gt_u32_e32 8, v6
; %bb.422:                              ;   in Loop: Header=BB298_10 Depth=1
	s_delay_alu instid0(VALU_DEP_2) | instskip(NEXT) | instid1(VALU_DEP_1)
	v_clz_i32_u32_e32 v0, v0
	v_min_u32_e32 v6, 32, v0
	s_delay_alu instid0(VALU_DEP_1) | instskip(NEXT) | instid1(VALU_DEP_1)
	v_subrev_nc_u32_e32 v0, 28, v6
	v_lshlrev_b64_e32 v[0:1], v0, v[24:25]
	s_delay_alu instid0(VALU_DEP_1)
	v_dual_sub_nc_u32 v1, 29, v6 :: v_dual_bitop2_b32 v0, 7, v0 bitop3:0x40
; %bb.423:                              ;   in Loop: Header=BB298_10 Depth=1
	s_or_b32 exec_lo, exec_lo, s18
	v_lshlrev_b32_e32 v6, 8, v24
	s_delay_alu instid0(VALU_DEP_2) | instskip(NEXT) | instid1(VALU_DEP_3)
	v_lshl_add_u32 v1, v1, 10, 0x2000
	v_lshlrev_b32_e32 v0, 23, v0
	s_delay_alu instid0(VALU_DEP_2) | instskip(NEXT) | instid1(VALU_DEP_1)
	v_and_or_b32 v1, 0x8000, v6, v1
	v_lshl_or_b32 v47, v1, 16, v0
.LBB298_424:                            ;   in Loop: Header=BB298_10 Depth=1
	s_or_b32 exec_lo, exec_lo, s17
.LBB298_425:                            ;   in Loop: Header=BB298_10 Depth=1
	s_delay_alu instid0(SALU_CYCLE_1)
	s_or_b32 exec_lo, exec_lo, s16
.LBB298_426:                            ;   in Loop: Header=BB298_10 Depth=1
	s_delay_alu instid0(SALU_CYCLE_1) | instskip(SKIP_3) | instid1(VALU_DEP_2)
	s_or_b32 exec_lo, exec_lo, s15
	v_and_b32_e32 v0, 0xff, v5
	v_mov_b32_e32 v24, v5
	s_mov_b32 s15, exec_lo
	v_cmpx_ne_u16_e32 0, v0
	s_cbranch_execz .LBB298_434
; %bb.427:                              ;   in Loop: Header=BB298_10 Depth=1
	v_mov_b32_e32 v91, 0x8000
	s_mov_b32 s16, exec_lo
	v_cmpx_ne_u16_e32 0x80, v0
	s_cbranch_execz .LBB298_433
; %bb.428:                              ;   in Loop: Header=BB298_10 Depth=1
	v_and_b32_e32 v6, 0x7f, v5
	v_mov_b32_e32 v91, 0x7c01
	s_mov_b32 s17, exec_lo
	s_delay_alu instid0(VALU_DEP_2)
	v_cmpx_ne_u32_e32 0x7f, v6
	s_cbranch_execz .LBB298_432
; %bb.429:                              ;   in Loop: Header=BB298_10 Depth=1
	v_dual_lshrrev_b32 v1, 3, v6 :: v_dual_bitop2_b32 v0, 7, v5 bitop3:0x40
	s_mov_b32 s18, exec_lo
	v_cmpx_gt_u32_e32 8, v6
; %bb.430:                              ;   in Loop: Header=BB298_10 Depth=1
	s_delay_alu instid0(VALU_DEP_2) | instskip(NEXT) | instid1(VALU_DEP_1)
	v_clz_i32_u32_e32 v0, v0
	v_min_u32_e32 v6, 32, v0
	s_delay_alu instid0(VALU_DEP_1) | instskip(NEXT) | instid1(VALU_DEP_1)
	v_subrev_nc_u32_e32 v0, 28, v6
	v_lshlrev_b64_e32 v[0:1], v0, v[24:25]
	s_delay_alu instid0(VALU_DEP_1)
	v_dual_sub_nc_u32 v1, 29, v6 :: v_dual_bitop2_b32 v0, 7, v0 bitop3:0x40
; %bb.431:                              ;   in Loop: Header=BB298_10 Depth=1
	s_or_b32 exec_lo, exec_lo, s18
	s_delay_alu instid0(VALU_DEP_1) | instskip(NEXT) | instid1(VALU_DEP_2)
	v_dual_lshlrev_b32 v6, 8, v5 :: v_dual_lshlrev_b32 v0, 7, v0
	v_lshl_add_u32 v1, v1, 10, 0x2000
	s_delay_alu instid0(VALU_DEP_2) | instskip(NEXT) | instid1(VALU_DEP_2)
	v_and_b32_e32 v6, 0x8000, v6
	v_and_b32_e32 v1, 0xfc00, v1
	s_delay_alu instid0(VALU_DEP_1)
	v_or3_b32 v91, v6, v1, v0
.LBB298_432:                            ;   in Loop: Header=BB298_10 Depth=1
	s_or_b32 exec_lo, exec_lo, s17
.LBB298_433:                            ;   in Loop: Header=BB298_10 Depth=1
	s_delay_alu instid0(SALU_CYCLE_1)
	s_or_b32 exec_lo, exec_lo, s16
.LBB298_434:                            ;   in Loop: Header=BB298_10 Depth=1
	s_delay_alu instid0(SALU_CYCLE_1) | instskip(SKIP_3) | instid1(VALU_DEP_2)
	s_or_b32 exec_lo, exec_lo, s15
	v_lshrrev_b16 v24, 8, v24
	v_dual_mov_b32 v81, 0 :: v_dual_mov_b32 v89, 0
	s_mov_b32 s15, exec_lo
	v_cmpx_ne_u16_e32 0, v24
	s_cbranch_execz .LBB298_442
; %bb.435:                              ;   in Loop: Header=BB298_10 Depth=1
	v_bfrev_b32_e32 v89, 1
	s_mov_b32 s16, exec_lo
	v_cmpx_ne_u16_e32 0x80, v24
	s_cbranch_execz .LBB298_441
; %bb.436:                              ;   in Loop: Header=BB298_10 Depth=1
	v_and_b32_e32 v0, 0xffff, v24
	v_mov_b32_e32 v89, 0x7c010000
	s_mov_b32 s17, exec_lo
	s_delay_alu instid0(VALU_DEP_2) | instskip(NEXT) | instid1(VALU_DEP_1)
	v_and_b32_e32 v7, 0x7f, v0
	v_cmpx_ne_u32_e32 0x7f, v7
	s_cbranch_execz .LBB298_440
; %bb.437:                              ;   in Loop: Header=BB298_10 Depth=1
	v_dual_lshrrev_b32 v6, 3, v7 :: v_dual_bitop2_b32 v1, 7, v0 bitop3:0x40
	s_mov_b32 s18, exec_lo
	v_cmpx_gt_u32_e32 8, v7
; %bb.438:                              ;   in Loop: Header=BB298_10 Depth=1
	s_delay_alu instid0(VALU_DEP_2) | instskip(NEXT) | instid1(VALU_DEP_1)
	v_clz_i32_u32_e32 v1, v1
	v_min_u32_e32 v1, 32, v1
	s_delay_alu instid0(VALU_DEP_1) | instskip(NEXT) | instid1(VALU_DEP_1)
	v_subrev_nc_u32_e32 v6, 28, v1
	v_lshlrev_b64_e32 v[8:9], v6, v[24:25]
	s_delay_alu instid0(VALU_DEP_1)
	v_dual_sub_nc_u32 v6, 29, v1 :: v_dual_bitop2_b32 v1, 7, v8 bitop3:0x40
; %bb.439:                              ;   in Loop: Header=BB298_10 Depth=1
	s_or_b32 exec_lo, exec_lo, s18
	s_delay_alu instid0(VALU_DEP_1) | instskip(NEXT) | instid1(VALU_DEP_2)
	v_dual_lshlrev_b32 v0, 8, v0 :: v_dual_lshlrev_b32 v1, 23, v1
	v_lshl_add_u32 v6, v6, 10, 0x2000
	s_delay_alu instid0(VALU_DEP_1) | instskip(NEXT) | instid1(VALU_DEP_1)
	v_and_or_b32 v0, 0x8000, v0, v6
	v_lshl_or_b32 v89, v0, 16, v1
.LBB298_440:                            ;   in Loop: Header=BB298_10 Depth=1
	s_or_b32 exec_lo, exec_lo, s17
.LBB298_441:                            ;   in Loop: Header=BB298_10 Depth=1
	s_delay_alu instid0(SALU_CYCLE_1)
	s_or_b32 exec_lo, exec_lo, s16
.LBB298_442:                            ;   in Loop: Header=BB298_10 Depth=1
	s_delay_alu instid0(SALU_CYCLE_1) | instskip(SKIP_2) | instid1(VALU_DEP_1)
	s_or_b32 exec_lo, exec_lo, s15
	v_lshrrev_b32_e32 v8, 16, v5
	s_mov_b32 s15, exec_lo
	v_and_b32_e32 v0, 0xff, v8
	s_delay_alu instid0(VALU_DEP_1)
	v_cmpx_ne_u16_e32 0, v0
	s_cbranch_execz .LBB298_450
; %bb.443:                              ;   in Loop: Header=BB298_10 Depth=1
	v_mov_b32_e32 v81, 0x8000
	s_mov_b32 s16, exec_lo
	v_cmpx_ne_u16_e32 0x80, v0
	s_cbranch_execz .LBB298_449
; %bb.444:                              ;   in Loop: Header=BB298_10 Depth=1
	v_bfe_u32 v6, v5, 16, 7
	v_mov_b32_e32 v81, 0x7c01
	s_mov_b32 s17, exec_lo
	s_delay_alu instid0(VALU_DEP_2)
	v_cmpx_ne_u32_e32 0x7f, v6
	s_cbranch_execz .LBB298_448
; %bb.445:                              ;   in Loop: Header=BB298_10 Depth=1
	v_dual_lshrrev_b32 v1, 3, v6 :: v_dual_bitop2_b32 v0, 7, v8 bitop3:0x40
	s_mov_b32 s18, exec_lo
	v_cmpx_gt_u32_e32 8, v6
; %bb.446:                              ;   in Loop: Header=BB298_10 Depth=1
	s_delay_alu instid0(VALU_DEP_2) | instskip(NEXT) | instid1(VALU_DEP_1)
	v_clz_i32_u32_e32 v0, v0
	v_min_u32_e32 v6, 32, v0
	s_delay_alu instid0(VALU_DEP_1) | instskip(NEXT) | instid1(VALU_DEP_1)
	v_subrev_nc_u32_e32 v0, 28, v6
	v_lshlrev_b64_e32 v[0:1], v0, v[8:9]
	s_delay_alu instid0(VALU_DEP_1)
	v_dual_sub_nc_u32 v1, 29, v6 :: v_dual_bitop2_b32 v0, 7, v0 bitop3:0x40
; %bb.447:                              ;   in Loop: Header=BB298_10 Depth=1
	s_or_b32 exec_lo, exec_lo, s18
	v_lshlrev_b32_e32 v6, 8, v8
	s_delay_alu instid0(VALU_DEP_2) | instskip(NEXT) | instid1(VALU_DEP_3)
	v_lshl_add_u32 v1, v1, 10, 0x2000
	v_lshlrev_b32_e32 v0, 7, v0
	s_delay_alu instid0(VALU_DEP_3) | instskip(NEXT) | instid1(VALU_DEP_3)
	v_and_b32_e32 v6, 0x8000, v6
	v_and_b32_e32 v1, 0xfc00, v1
	s_delay_alu instid0(VALU_DEP_1)
	v_or3_b32 v81, v6, v1, v0
.LBB298_448:                            ;   in Loop: Header=BB298_10 Depth=1
	s_or_b32 exec_lo, exec_lo, s17
.LBB298_449:                            ;   in Loop: Header=BB298_10 Depth=1
	s_delay_alu instid0(SALU_CYCLE_1)
	s_or_b32 exec_lo, exec_lo, s16
.LBB298_450:                            ;   in Loop: Header=BB298_10 Depth=1
	s_delay_alu instid0(SALU_CYCLE_1)
	s_or_b32 exec_lo, exec_lo, s15
	v_dual_mov_b32 v92, 0 :: v_dual_mov_b32 v84, 0
	s_mov_b32 s15, exec_lo
	v_cmpx_lt_u64_e64 s[2:3], v[4:5]
	s_cbranch_execz .LBB298_458
; %bb.451:                              ;   in Loop: Header=BB298_10 Depth=1
	v_lshrrev_b32_e32 v24, 24, v5
	v_bfrev_b32_e32 v84, 1
	s_mov_b32 s16, exec_lo
	s_delay_alu instid0(VALU_DEP_2)
	v_cmpx_ne_u32_e32 0x80, v24
	s_cbranch_execz .LBB298_457
; %bb.452:                              ;   in Loop: Header=BB298_10 Depth=1
	v_and_b32_e32 v4, 0x7f, v24
	v_mov_b32_e32 v84, 0x7c010000
	s_mov_b32 s17, exec_lo
	s_delay_alu instid0(VALU_DEP_2)
	v_cmpx_ne_u32_e32 0x7f, v4
	s_cbranch_execz .LBB298_456
; %bb.453:                              ;   in Loop: Header=BB298_10 Depth=1
	v_and_b32_e32 v0, 7, v24
	v_lshrrev_b32_e32 v1, 3, v4
	s_mov_b32 s18, exec_lo
	v_cmpx_gt_u32_e32 8, v4
; %bb.454:                              ;   in Loop: Header=BB298_10 Depth=1
	s_delay_alu instid0(VALU_DEP_3) | instskip(NEXT) | instid1(VALU_DEP_1)
	v_clz_i32_u32_e32 v0, v0
	v_min_u32_e32 v4, 32, v0
	s_delay_alu instid0(VALU_DEP_1) | instskip(NEXT) | instid1(VALU_DEP_1)
	v_subrev_nc_u32_e32 v0, 28, v4
	v_lshlrev_b64_e32 v[0:1], v0, v[24:25]
	v_sub_nc_u32_e32 v1, 29, v4
	s_delay_alu instid0(VALU_DEP_2)
	v_and_b32_e32 v0, 7, v0
; %bb.455:                              ;   in Loop: Header=BB298_10 Depth=1
	s_or_b32 exec_lo, exec_lo, s18
	v_lshlrev_b32_e32 v4, 8, v24
	s_delay_alu instid0(VALU_DEP_3) | instskip(NEXT) | instid1(VALU_DEP_3)
	v_lshl_add_u32 v1, v1, 10, 0x2000
	v_lshlrev_b32_e32 v0, 23, v0
	s_delay_alu instid0(VALU_DEP_2) | instskip(NEXT) | instid1(VALU_DEP_1)
	v_and_or_b32 v1, 0x8000, v4, v1
	v_lshl_or_b32 v84, v1, 16, v0
.LBB298_456:                            ;   in Loop: Header=BB298_10 Depth=1
	s_or_b32 exec_lo, exec_lo, s17
.LBB298_457:                            ;   in Loop: Header=BB298_10 Depth=1
	s_delay_alu instid0(SALU_CYCLE_1)
	s_or_b32 exec_lo, exec_lo, s16
.LBB298_458:                            ;   in Loop: Header=BB298_10 Depth=1
	s_delay_alu instid0(SALU_CYCLE_1)
	s_or_b32 exec_lo, exec_lo, s15
	flat_load_b64 v[4:5], v[2:3] offset:1544
	s_mov_b32 s15, exec_lo
	s_wait_loadcnt_dscnt 0x0
	v_and_b32_e32 v0, 0xff, v4
	s_wait_xcnt 0x0
	s_delay_alu instid0(VALU_DEP_1)
	v_cmpx_ne_u16_e32 0, v0
	s_cbranch_execz .LBB298_466
; %bb.459:                              ;   in Loop: Header=BB298_10 Depth=1
	v_mov_b32_e32 v92, 0x8000
	s_mov_b32 s16, exec_lo
	v_cmpx_ne_u16_e32 0x80, v0
	s_cbranch_execz .LBB298_465
; %bb.460:                              ;   in Loop: Header=BB298_10 Depth=1
	v_and_b32_e32 v6, 0x7f, v4
	v_mov_b32_e32 v92, 0x7c01
	s_mov_b32 s17, exec_lo
	s_delay_alu instid0(VALU_DEP_2)
	v_cmpx_ne_u32_e32 0x7f, v6
	s_cbranch_execz .LBB298_464
; %bb.461:                              ;   in Loop: Header=BB298_10 Depth=1
	v_dual_lshrrev_b32 v1, 3, v6 :: v_dual_bitop2_b32 v0, 7, v4 bitop3:0x40
	s_mov_b32 s18, exec_lo
	v_cmpx_gt_u32_e32 8, v6
; %bb.462:                              ;   in Loop: Header=BB298_10 Depth=1
	s_delay_alu instid0(VALU_DEP_2) | instskip(NEXT) | instid1(VALU_DEP_1)
	v_clz_i32_u32_e32 v0, v0
	v_min_u32_e32 v6, 32, v0
	s_delay_alu instid0(VALU_DEP_1) | instskip(NEXT) | instid1(VALU_DEP_1)
	v_subrev_nc_u32_e32 v0, 28, v6
	v_lshlrev_b64_e32 v[0:1], v0, v[4:5]
	s_delay_alu instid0(VALU_DEP_1)
	v_dual_sub_nc_u32 v1, 29, v6 :: v_dual_bitop2_b32 v0, 7, v0 bitop3:0x40
; %bb.463:                              ;   in Loop: Header=BB298_10 Depth=1
	s_or_b32 exec_lo, exec_lo, s18
	v_lshlrev_b32_e32 v6, 8, v4
	s_delay_alu instid0(VALU_DEP_2) | instskip(NEXT) | instid1(VALU_DEP_3)
	v_lshl_add_u32 v1, v1, 10, 0x2000
	v_lshlrev_b32_e32 v0, 7, v0
	s_delay_alu instid0(VALU_DEP_3) | instskip(NEXT) | instid1(VALU_DEP_3)
	v_and_b32_e32 v6, 0x8000, v6
	v_and_b32_e32 v1, 0xfc00, v1
	s_delay_alu instid0(VALU_DEP_1)
	v_or3_b32 v92, v6, v1, v0
.LBB298_464:                            ;   in Loop: Header=BB298_10 Depth=1
	s_or_b32 exec_lo, exec_lo, s17
.LBB298_465:                            ;   in Loop: Header=BB298_10 Depth=1
	s_delay_alu instid0(SALU_CYCLE_1)
	s_or_b32 exec_lo, exec_lo, s16
.LBB298_466:                            ;   in Loop: Header=BB298_10 Depth=1
	s_delay_alu instid0(SALU_CYCLE_1) | instskip(SKIP_3) | instid1(VALU_DEP_2)
	s_or_b32 exec_lo, exec_lo, s15
	v_lshrrev_b16 v24, 8, v4
	v_dual_mov_b32 v80, 0 :: v_dual_mov_b32 v95, 0
	s_mov_b32 s15, exec_lo
	v_cmpx_ne_u16_e32 0, v24
	s_cbranch_execz .LBB298_474
; %bb.467:                              ;   in Loop: Header=BB298_10 Depth=1
	v_bfrev_b32_e32 v95, 1
	s_mov_b32 s16, exec_lo
	v_cmpx_ne_u16_e32 0x80, v24
	s_cbranch_execz .LBB298_473
; %bb.468:                              ;   in Loop: Header=BB298_10 Depth=1
	v_and_b32_e32 v0, 0xffff, v24
	v_mov_b32_e32 v95, 0x7c010000
	s_mov_b32 s17, exec_lo
	s_delay_alu instid0(VALU_DEP_2) | instskip(NEXT) | instid1(VALU_DEP_1)
	v_and_b32_e32 v7, 0x7f, v0
	v_cmpx_ne_u32_e32 0x7f, v7
	s_cbranch_execz .LBB298_472
; %bb.469:                              ;   in Loop: Header=BB298_10 Depth=1
	v_dual_lshrrev_b32 v6, 3, v7 :: v_dual_bitop2_b32 v1, 7, v0 bitop3:0x40
	s_mov_b32 s18, exec_lo
	v_cmpx_gt_u32_e32 8, v7
; %bb.470:                              ;   in Loop: Header=BB298_10 Depth=1
	s_delay_alu instid0(VALU_DEP_2) | instskip(NEXT) | instid1(VALU_DEP_1)
	v_clz_i32_u32_e32 v1, v1
	v_min_u32_e32 v1, 32, v1
	s_delay_alu instid0(VALU_DEP_1) | instskip(NEXT) | instid1(VALU_DEP_1)
	v_subrev_nc_u32_e32 v6, 28, v1
	v_lshlrev_b64_e32 v[8:9], v6, v[24:25]
	s_delay_alu instid0(VALU_DEP_1)
	v_dual_sub_nc_u32 v6, 29, v1 :: v_dual_bitop2_b32 v1, 7, v8 bitop3:0x40
; %bb.471:                              ;   in Loop: Header=BB298_10 Depth=1
	s_or_b32 exec_lo, exec_lo, s18
	s_delay_alu instid0(VALU_DEP_1) | instskip(NEXT) | instid1(VALU_DEP_2)
	v_dual_lshlrev_b32 v0, 8, v0 :: v_dual_lshlrev_b32 v1, 23, v1
	v_lshl_add_u32 v6, v6, 10, 0x2000
	s_delay_alu instid0(VALU_DEP_1) | instskip(NEXT) | instid1(VALU_DEP_1)
	v_and_or_b32 v0, 0x8000, v0, v6
	v_lshl_or_b32 v95, v0, 16, v1
.LBB298_472:                            ;   in Loop: Header=BB298_10 Depth=1
	s_or_b32 exec_lo, exec_lo, s17
.LBB298_473:                            ;   in Loop: Header=BB298_10 Depth=1
	s_delay_alu instid0(SALU_CYCLE_1)
	s_or_b32 exec_lo, exec_lo, s16
.LBB298_474:                            ;   in Loop: Header=BB298_10 Depth=1
	s_delay_alu instid0(SALU_CYCLE_1) | instskip(SKIP_2) | instid1(VALU_DEP_1)
	s_or_b32 exec_lo, exec_lo, s15
	v_lshrrev_b32_e32 v8, 16, v4
	s_mov_b32 s15, exec_lo
	v_and_b32_e32 v0, 0xff, v8
	s_delay_alu instid0(VALU_DEP_1)
	v_cmpx_ne_u16_e32 0, v0
	s_cbranch_execz .LBB298_482
; %bb.475:                              ;   in Loop: Header=BB298_10 Depth=1
	v_mov_b32_e32 v80, 0x8000
	s_mov_b32 s16, exec_lo
	v_cmpx_ne_u16_e32 0x80, v0
	s_cbranch_execz .LBB298_481
; %bb.476:                              ;   in Loop: Header=BB298_10 Depth=1
	v_bfe_u32 v6, v4, 16, 7
	v_mov_b32_e32 v80, 0x7c01
	s_mov_b32 s17, exec_lo
	s_delay_alu instid0(VALU_DEP_2)
	v_cmpx_ne_u32_e32 0x7f, v6
	s_cbranch_execz .LBB298_480
; %bb.477:                              ;   in Loop: Header=BB298_10 Depth=1
	v_dual_lshrrev_b32 v1, 3, v6 :: v_dual_bitop2_b32 v0, 7, v8 bitop3:0x40
	s_mov_b32 s18, exec_lo
	v_cmpx_gt_u32_e32 8, v6
; %bb.478:                              ;   in Loop: Header=BB298_10 Depth=1
	s_delay_alu instid0(VALU_DEP_2) | instskip(NEXT) | instid1(VALU_DEP_1)
	v_clz_i32_u32_e32 v0, v0
	v_min_u32_e32 v6, 32, v0
	s_delay_alu instid0(VALU_DEP_1) | instskip(NEXT) | instid1(VALU_DEP_1)
	v_subrev_nc_u32_e32 v0, 28, v6
	v_lshlrev_b64_e32 v[0:1], v0, v[8:9]
	s_delay_alu instid0(VALU_DEP_1)
	v_dual_sub_nc_u32 v1, 29, v6 :: v_dual_bitop2_b32 v0, 7, v0 bitop3:0x40
; %bb.479:                              ;   in Loop: Header=BB298_10 Depth=1
	s_or_b32 exec_lo, exec_lo, s18
	v_lshlrev_b32_e32 v6, 8, v8
	s_delay_alu instid0(VALU_DEP_2) | instskip(NEXT) | instid1(VALU_DEP_3)
	v_lshl_add_u32 v1, v1, 10, 0x2000
	v_lshlrev_b32_e32 v0, 7, v0
	s_delay_alu instid0(VALU_DEP_3) | instskip(NEXT) | instid1(VALU_DEP_3)
	v_and_b32_e32 v6, 0x8000, v6
	v_and_b32_e32 v1, 0xfc00, v1
	s_delay_alu instid0(VALU_DEP_1)
	v_or3_b32 v80, v6, v1, v0
.LBB298_480:                            ;   in Loop: Header=BB298_10 Depth=1
	s_or_b32 exec_lo, exec_lo, s17
.LBB298_481:                            ;   in Loop: Header=BB298_10 Depth=1
	s_delay_alu instid0(SALU_CYCLE_1)
	s_or_b32 exec_lo, exec_lo, s16
.LBB298_482:                            ;   in Loop: Header=BB298_10 Depth=1
	s_delay_alu instid0(SALU_CYCLE_1)
	s_or_b32 exec_lo, exec_lo, s15
	v_dual_mov_b32 v82, 0 :: v_dual_mov_b32 v104, 0
	s_mov_b32 s15, exec_lo
	v_cmpx_lt_u32_e32 0xffffff, v4
	s_cbranch_execz .LBB298_490
; %bb.483:                              ;   in Loop: Header=BB298_10 Depth=1
	v_lshrrev_b32_e32 v24, 24, v4
	v_bfrev_b32_e32 v104, 1
	s_mov_b32 s16, exec_lo
	s_delay_alu instid0(VALU_DEP_2)
	v_cmpx_ne_u32_e32 0x80, v24
	s_cbranch_execz .LBB298_489
; %bb.484:                              ;   in Loop: Header=BB298_10 Depth=1
	v_and_b32_e32 v6, 0x7f, v24
	v_mov_b32_e32 v104, 0x7c010000
	s_mov_b32 s17, exec_lo
	s_delay_alu instid0(VALU_DEP_2)
	v_cmpx_ne_u32_e32 0x7f, v6
	s_cbranch_execz .LBB298_488
; %bb.485:                              ;   in Loop: Header=BB298_10 Depth=1
	v_dual_lshrrev_b32 v1, 3, v6 :: v_dual_bitop2_b32 v0, 7, v24 bitop3:0x40
	s_mov_b32 s18, exec_lo
	v_cmpx_gt_u32_e32 8, v6
; %bb.486:                              ;   in Loop: Header=BB298_10 Depth=1
	s_delay_alu instid0(VALU_DEP_2) | instskip(NEXT) | instid1(VALU_DEP_1)
	v_clz_i32_u32_e32 v0, v0
	v_min_u32_e32 v6, 32, v0
	s_delay_alu instid0(VALU_DEP_1) | instskip(NEXT) | instid1(VALU_DEP_1)
	v_subrev_nc_u32_e32 v0, 28, v6
	v_lshlrev_b64_e32 v[0:1], v0, v[24:25]
	s_delay_alu instid0(VALU_DEP_1)
	v_dual_sub_nc_u32 v1, 29, v6 :: v_dual_bitop2_b32 v0, 7, v0 bitop3:0x40
; %bb.487:                              ;   in Loop: Header=BB298_10 Depth=1
	s_or_b32 exec_lo, exec_lo, s18
	v_lshlrev_b32_e32 v6, 8, v24
	s_delay_alu instid0(VALU_DEP_2) | instskip(NEXT) | instid1(VALU_DEP_3)
	v_lshl_add_u32 v1, v1, 10, 0x2000
	v_lshlrev_b32_e32 v0, 23, v0
	s_delay_alu instid0(VALU_DEP_2) | instskip(NEXT) | instid1(VALU_DEP_1)
	v_and_or_b32 v1, 0x8000, v6, v1
	v_lshl_or_b32 v104, v1, 16, v0
.LBB298_488:                            ;   in Loop: Header=BB298_10 Depth=1
	s_or_b32 exec_lo, exec_lo, s17
.LBB298_489:                            ;   in Loop: Header=BB298_10 Depth=1
	s_delay_alu instid0(SALU_CYCLE_1)
	s_or_b32 exec_lo, exec_lo, s16
.LBB298_490:                            ;   in Loop: Header=BB298_10 Depth=1
	s_delay_alu instid0(SALU_CYCLE_1) | instskip(SKIP_3) | instid1(VALU_DEP_2)
	s_or_b32 exec_lo, exec_lo, s15
	v_and_b32_e32 v0, 0xff, v5
	v_mov_b32_e32 v24, v5
	s_mov_b32 s15, exec_lo
	v_cmpx_ne_u16_e32 0, v0
	s_cbranch_execz .LBB298_498
; %bb.491:                              ;   in Loop: Header=BB298_10 Depth=1
	v_mov_b32_e32 v82, 0x8000
	s_mov_b32 s16, exec_lo
	v_cmpx_ne_u16_e32 0x80, v0
	s_cbranch_execz .LBB298_497
; %bb.492:                              ;   in Loop: Header=BB298_10 Depth=1
	v_and_b32_e32 v6, 0x7f, v5
	v_mov_b32_e32 v82, 0x7c01
	s_mov_b32 s17, exec_lo
	s_delay_alu instid0(VALU_DEP_2)
	v_cmpx_ne_u32_e32 0x7f, v6
	s_cbranch_execz .LBB298_496
; %bb.493:                              ;   in Loop: Header=BB298_10 Depth=1
	v_dual_lshrrev_b32 v1, 3, v6 :: v_dual_bitop2_b32 v0, 7, v5 bitop3:0x40
	s_mov_b32 s18, exec_lo
	v_cmpx_gt_u32_e32 8, v6
; %bb.494:                              ;   in Loop: Header=BB298_10 Depth=1
	s_delay_alu instid0(VALU_DEP_2) | instskip(NEXT) | instid1(VALU_DEP_1)
	v_clz_i32_u32_e32 v0, v0
	v_min_u32_e32 v6, 32, v0
	s_delay_alu instid0(VALU_DEP_1) | instskip(NEXT) | instid1(VALU_DEP_1)
	v_subrev_nc_u32_e32 v0, 28, v6
	v_lshlrev_b64_e32 v[0:1], v0, v[24:25]
	s_delay_alu instid0(VALU_DEP_1)
	v_dual_sub_nc_u32 v1, 29, v6 :: v_dual_bitop2_b32 v0, 7, v0 bitop3:0x40
; %bb.495:                              ;   in Loop: Header=BB298_10 Depth=1
	s_or_b32 exec_lo, exec_lo, s18
	s_delay_alu instid0(VALU_DEP_1) | instskip(NEXT) | instid1(VALU_DEP_2)
	v_dual_lshlrev_b32 v6, 8, v5 :: v_dual_lshlrev_b32 v0, 7, v0
	v_lshl_add_u32 v1, v1, 10, 0x2000
	s_delay_alu instid0(VALU_DEP_2) | instskip(NEXT) | instid1(VALU_DEP_2)
	v_and_b32_e32 v6, 0x8000, v6
	v_and_b32_e32 v1, 0xfc00, v1
	s_delay_alu instid0(VALU_DEP_1)
	v_or3_b32 v82, v6, v1, v0
.LBB298_496:                            ;   in Loop: Header=BB298_10 Depth=1
	s_or_b32 exec_lo, exec_lo, s17
.LBB298_497:                            ;   in Loop: Header=BB298_10 Depth=1
	s_delay_alu instid0(SALU_CYCLE_1)
	s_or_b32 exec_lo, exec_lo, s16
.LBB298_498:                            ;   in Loop: Header=BB298_10 Depth=1
	s_delay_alu instid0(SALU_CYCLE_1) | instskip(SKIP_3) | instid1(VALU_DEP_2)
	s_or_b32 exec_lo, exec_lo, s15
	v_lshrrev_b16 v24, 8, v24
	v_dual_mov_b32 v87, 0 :: v_dual_mov_b32 v61, 0
	s_mov_b32 s15, exec_lo
	v_cmpx_ne_u16_e32 0, v24
	s_cbranch_execz .LBB298_506
; %bb.499:                              ;   in Loop: Header=BB298_10 Depth=1
	v_bfrev_b32_e32 v61, 1
	s_mov_b32 s16, exec_lo
	v_cmpx_ne_u16_e32 0x80, v24
	s_cbranch_execz .LBB298_505
; %bb.500:                              ;   in Loop: Header=BB298_10 Depth=1
	v_and_b32_e32 v0, 0xffff, v24
	v_mov_b32_e32 v61, 0x7c010000
	s_mov_b32 s17, exec_lo
	s_delay_alu instid0(VALU_DEP_2) | instskip(NEXT) | instid1(VALU_DEP_1)
	v_and_b32_e32 v7, 0x7f, v0
	v_cmpx_ne_u32_e32 0x7f, v7
	s_cbranch_execz .LBB298_504
; %bb.501:                              ;   in Loop: Header=BB298_10 Depth=1
	v_dual_lshrrev_b32 v6, 3, v7 :: v_dual_bitop2_b32 v1, 7, v0 bitop3:0x40
	s_mov_b32 s18, exec_lo
	v_cmpx_gt_u32_e32 8, v7
; %bb.502:                              ;   in Loop: Header=BB298_10 Depth=1
	s_delay_alu instid0(VALU_DEP_2) | instskip(NEXT) | instid1(VALU_DEP_1)
	v_clz_i32_u32_e32 v1, v1
	v_min_u32_e32 v1, 32, v1
	s_delay_alu instid0(VALU_DEP_1) | instskip(NEXT) | instid1(VALU_DEP_1)
	v_subrev_nc_u32_e32 v6, 28, v1
	v_lshlrev_b64_e32 v[8:9], v6, v[24:25]
	s_delay_alu instid0(VALU_DEP_1)
	v_dual_sub_nc_u32 v6, 29, v1 :: v_dual_bitop2_b32 v1, 7, v8 bitop3:0x40
; %bb.503:                              ;   in Loop: Header=BB298_10 Depth=1
	s_or_b32 exec_lo, exec_lo, s18
	s_delay_alu instid0(VALU_DEP_1) | instskip(NEXT) | instid1(VALU_DEP_2)
	v_dual_lshlrev_b32 v0, 8, v0 :: v_dual_lshlrev_b32 v1, 23, v1
	v_lshl_add_u32 v6, v6, 10, 0x2000
	s_delay_alu instid0(VALU_DEP_1) | instskip(NEXT) | instid1(VALU_DEP_1)
	v_and_or_b32 v0, 0x8000, v0, v6
	v_lshl_or_b32 v61, v0, 16, v1
.LBB298_504:                            ;   in Loop: Header=BB298_10 Depth=1
	s_or_b32 exec_lo, exec_lo, s17
.LBB298_505:                            ;   in Loop: Header=BB298_10 Depth=1
	s_delay_alu instid0(SALU_CYCLE_1)
	s_or_b32 exec_lo, exec_lo, s16
.LBB298_506:                            ;   in Loop: Header=BB298_10 Depth=1
	s_delay_alu instid0(SALU_CYCLE_1) | instskip(SKIP_2) | instid1(VALU_DEP_1)
	s_or_b32 exec_lo, exec_lo, s15
	v_lshrrev_b32_e32 v8, 16, v5
	s_mov_b32 s15, exec_lo
	v_and_b32_e32 v0, 0xff, v8
	s_delay_alu instid0(VALU_DEP_1)
	v_cmpx_ne_u16_e32 0, v0
	s_cbranch_execz .LBB298_514
; %bb.507:                              ;   in Loop: Header=BB298_10 Depth=1
	v_mov_b32_e32 v87, 0x8000
	s_mov_b32 s16, exec_lo
	v_cmpx_ne_u16_e32 0x80, v0
	s_cbranch_execz .LBB298_513
; %bb.508:                              ;   in Loop: Header=BB298_10 Depth=1
	v_bfe_u32 v6, v5, 16, 7
	v_mov_b32_e32 v87, 0x7c01
	s_mov_b32 s17, exec_lo
	s_delay_alu instid0(VALU_DEP_2)
	v_cmpx_ne_u32_e32 0x7f, v6
	s_cbranch_execz .LBB298_512
; %bb.509:                              ;   in Loop: Header=BB298_10 Depth=1
	v_dual_lshrrev_b32 v1, 3, v6 :: v_dual_bitop2_b32 v0, 7, v8 bitop3:0x40
	s_mov_b32 s18, exec_lo
	v_cmpx_gt_u32_e32 8, v6
; %bb.510:                              ;   in Loop: Header=BB298_10 Depth=1
	s_delay_alu instid0(VALU_DEP_2) | instskip(NEXT) | instid1(VALU_DEP_1)
	v_clz_i32_u32_e32 v0, v0
	v_min_u32_e32 v6, 32, v0
	s_delay_alu instid0(VALU_DEP_1) | instskip(NEXT) | instid1(VALU_DEP_1)
	v_subrev_nc_u32_e32 v0, 28, v6
	v_lshlrev_b64_e32 v[0:1], v0, v[8:9]
	s_delay_alu instid0(VALU_DEP_1)
	v_dual_sub_nc_u32 v1, 29, v6 :: v_dual_bitop2_b32 v0, 7, v0 bitop3:0x40
; %bb.511:                              ;   in Loop: Header=BB298_10 Depth=1
	s_or_b32 exec_lo, exec_lo, s18
	v_lshlrev_b32_e32 v6, 8, v8
	s_delay_alu instid0(VALU_DEP_2) | instskip(NEXT) | instid1(VALU_DEP_3)
	v_lshl_add_u32 v1, v1, 10, 0x2000
	v_lshlrev_b32_e32 v0, 7, v0
	s_delay_alu instid0(VALU_DEP_3) | instskip(NEXT) | instid1(VALU_DEP_3)
	v_and_b32_e32 v6, 0x8000, v6
	v_and_b32_e32 v1, 0xfc00, v1
	s_delay_alu instid0(VALU_DEP_1)
	v_or3_b32 v87, v6, v1, v0
.LBB298_512:                            ;   in Loop: Header=BB298_10 Depth=1
	s_or_b32 exec_lo, exec_lo, s17
.LBB298_513:                            ;   in Loop: Header=BB298_10 Depth=1
	s_delay_alu instid0(SALU_CYCLE_1)
	s_or_b32 exec_lo, exec_lo, s16
.LBB298_514:                            ;   in Loop: Header=BB298_10 Depth=1
	s_delay_alu instid0(SALU_CYCLE_1)
	s_or_b32 exec_lo, exec_lo, s15
	v_dual_mov_b32 v88, 0 :: v_dual_mov_b32 v86, 0
	s_mov_b32 s15, exec_lo
	v_cmpx_lt_u64_e64 s[2:3], v[4:5]
	s_cbranch_execz .LBB298_522
; %bb.515:                              ;   in Loop: Header=BB298_10 Depth=1
	v_lshrrev_b32_e32 v24, 24, v5
	v_bfrev_b32_e32 v86, 1
	s_mov_b32 s16, exec_lo
	s_delay_alu instid0(VALU_DEP_2)
	v_cmpx_ne_u32_e32 0x80, v24
	s_cbranch_execz .LBB298_521
; %bb.516:                              ;   in Loop: Header=BB298_10 Depth=1
	v_and_b32_e32 v4, 0x7f, v24
	v_mov_b32_e32 v86, 0x7c010000
	s_mov_b32 s17, exec_lo
	s_delay_alu instid0(VALU_DEP_2)
	v_cmpx_ne_u32_e32 0x7f, v4
	s_cbranch_execz .LBB298_520
; %bb.517:                              ;   in Loop: Header=BB298_10 Depth=1
	v_and_b32_e32 v0, 7, v24
	v_lshrrev_b32_e32 v1, 3, v4
	s_mov_b32 s18, exec_lo
	v_cmpx_gt_u32_e32 8, v4
; %bb.518:                              ;   in Loop: Header=BB298_10 Depth=1
	s_delay_alu instid0(VALU_DEP_3) | instskip(NEXT) | instid1(VALU_DEP_1)
	v_clz_i32_u32_e32 v0, v0
	v_min_u32_e32 v4, 32, v0
	s_delay_alu instid0(VALU_DEP_1) | instskip(NEXT) | instid1(VALU_DEP_1)
	v_subrev_nc_u32_e32 v0, 28, v4
	v_lshlrev_b64_e32 v[0:1], v0, v[24:25]
	v_sub_nc_u32_e32 v1, 29, v4
	s_delay_alu instid0(VALU_DEP_2)
	v_and_b32_e32 v0, 7, v0
; %bb.519:                              ;   in Loop: Header=BB298_10 Depth=1
	s_or_b32 exec_lo, exec_lo, s18
	v_lshlrev_b32_e32 v4, 8, v24
	s_delay_alu instid0(VALU_DEP_3) | instskip(NEXT) | instid1(VALU_DEP_3)
	v_lshl_add_u32 v1, v1, 10, 0x2000
	v_lshlrev_b32_e32 v0, 23, v0
	s_delay_alu instid0(VALU_DEP_2) | instskip(NEXT) | instid1(VALU_DEP_1)
	v_and_or_b32 v1, 0x8000, v4, v1
	v_lshl_or_b32 v86, v1, 16, v0
.LBB298_520:                            ;   in Loop: Header=BB298_10 Depth=1
	s_or_b32 exec_lo, exec_lo, s17
.LBB298_521:                            ;   in Loop: Header=BB298_10 Depth=1
	s_delay_alu instid0(SALU_CYCLE_1)
	s_or_b32 exec_lo, exec_lo, s16
.LBB298_522:                            ;   in Loop: Header=BB298_10 Depth=1
	s_delay_alu instid0(SALU_CYCLE_1)
	s_or_b32 exec_lo, exec_lo, s15
	flat_load_b64 v[4:5], v[2:3] offset:2048
	s_mov_b32 s15, exec_lo
	s_wait_loadcnt_dscnt 0x0
	v_and_b32_e32 v0, 0xff, v4
	s_wait_xcnt 0x0
	s_delay_alu instid0(VALU_DEP_1)
	v_cmpx_ne_u16_e32 0, v0
	s_cbranch_execz .LBB298_530
; %bb.523:                              ;   in Loop: Header=BB298_10 Depth=1
	v_mov_b32_e32 v88, 0x8000
	s_mov_b32 s16, exec_lo
	v_cmpx_ne_u16_e32 0x80, v0
	s_cbranch_execz .LBB298_529
; %bb.524:                              ;   in Loop: Header=BB298_10 Depth=1
	v_and_b32_e32 v6, 0x7f, v4
	v_mov_b32_e32 v88, 0x7c01
	s_mov_b32 s17, exec_lo
	s_delay_alu instid0(VALU_DEP_2)
	v_cmpx_ne_u32_e32 0x7f, v6
	s_cbranch_execz .LBB298_528
; %bb.525:                              ;   in Loop: Header=BB298_10 Depth=1
	v_dual_lshrrev_b32 v1, 3, v6 :: v_dual_bitop2_b32 v0, 7, v4 bitop3:0x40
	s_mov_b32 s18, exec_lo
	v_cmpx_gt_u32_e32 8, v6
; %bb.526:                              ;   in Loop: Header=BB298_10 Depth=1
	s_delay_alu instid0(VALU_DEP_2) | instskip(NEXT) | instid1(VALU_DEP_1)
	v_clz_i32_u32_e32 v0, v0
	v_min_u32_e32 v6, 32, v0
	s_delay_alu instid0(VALU_DEP_1) | instskip(NEXT) | instid1(VALU_DEP_1)
	v_subrev_nc_u32_e32 v0, 28, v6
	v_lshlrev_b64_e32 v[0:1], v0, v[4:5]
	s_delay_alu instid0(VALU_DEP_1)
	v_dual_sub_nc_u32 v1, 29, v6 :: v_dual_bitop2_b32 v0, 7, v0 bitop3:0x40
; %bb.527:                              ;   in Loop: Header=BB298_10 Depth=1
	s_or_b32 exec_lo, exec_lo, s18
	v_lshlrev_b32_e32 v6, 8, v4
	s_delay_alu instid0(VALU_DEP_2) | instskip(NEXT) | instid1(VALU_DEP_3)
	v_lshl_add_u32 v1, v1, 10, 0x2000
	v_lshlrev_b32_e32 v0, 7, v0
	s_delay_alu instid0(VALU_DEP_3) | instskip(NEXT) | instid1(VALU_DEP_3)
	v_and_b32_e32 v6, 0x8000, v6
	v_and_b32_e32 v1, 0xfc00, v1
	s_delay_alu instid0(VALU_DEP_1)
	v_or3_b32 v88, v6, v1, v0
.LBB298_528:                            ;   in Loop: Header=BB298_10 Depth=1
	s_or_b32 exec_lo, exec_lo, s17
.LBB298_529:                            ;   in Loop: Header=BB298_10 Depth=1
	s_delay_alu instid0(SALU_CYCLE_1)
	s_or_b32 exec_lo, exec_lo, s16
.LBB298_530:                            ;   in Loop: Header=BB298_10 Depth=1
	s_delay_alu instid0(SALU_CYCLE_1) | instskip(SKIP_3) | instid1(VALU_DEP_2)
	s_or_b32 exec_lo, exec_lo, s15
	v_lshrrev_b16 v24, 8, v4
	v_dual_mov_b32 v119, 0 :: v_dual_mov_b32 v90, 0
	s_mov_b32 s15, exec_lo
	v_cmpx_ne_u16_e32 0, v24
	s_cbranch_execz .LBB298_538
; %bb.531:                              ;   in Loop: Header=BB298_10 Depth=1
	v_bfrev_b32_e32 v90, 1
	s_mov_b32 s16, exec_lo
	v_cmpx_ne_u16_e32 0x80, v24
	s_cbranch_execz .LBB298_537
; %bb.532:                              ;   in Loop: Header=BB298_10 Depth=1
	v_and_b32_e32 v0, 0xffff, v24
	v_mov_b32_e32 v90, 0x7c010000
	s_mov_b32 s17, exec_lo
	s_delay_alu instid0(VALU_DEP_2) | instskip(NEXT) | instid1(VALU_DEP_1)
	v_and_b32_e32 v7, 0x7f, v0
	v_cmpx_ne_u32_e32 0x7f, v7
	s_cbranch_execz .LBB298_536
; %bb.533:                              ;   in Loop: Header=BB298_10 Depth=1
	v_dual_lshrrev_b32 v6, 3, v7 :: v_dual_bitop2_b32 v1, 7, v0 bitop3:0x40
	s_mov_b32 s18, exec_lo
	v_cmpx_gt_u32_e32 8, v7
; %bb.534:                              ;   in Loop: Header=BB298_10 Depth=1
	s_delay_alu instid0(VALU_DEP_2) | instskip(NEXT) | instid1(VALU_DEP_1)
	v_clz_i32_u32_e32 v1, v1
	v_min_u32_e32 v1, 32, v1
	s_delay_alu instid0(VALU_DEP_1) | instskip(NEXT) | instid1(VALU_DEP_1)
	v_subrev_nc_u32_e32 v6, 28, v1
	v_lshlrev_b64_e32 v[8:9], v6, v[24:25]
	s_delay_alu instid0(VALU_DEP_1)
	v_dual_sub_nc_u32 v6, 29, v1 :: v_dual_bitop2_b32 v1, 7, v8 bitop3:0x40
; %bb.535:                              ;   in Loop: Header=BB298_10 Depth=1
	s_or_b32 exec_lo, exec_lo, s18
	s_delay_alu instid0(VALU_DEP_1) | instskip(NEXT) | instid1(VALU_DEP_2)
	v_dual_lshlrev_b32 v0, 8, v0 :: v_dual_lshlrev_b32 v1, 23, v1
	v_lshl_add_u32 v6, v6, 10, 0x2000
	s_delay_alu instid0(VALU_DEP_1) | instskip(NEXT) | instid1(VALU_DEP_1)
	v_and_or_b32 v0, 0x8000, v0, v6
	v_lshl_or_b32 v90, v0, 16, v1
.LBB298_536:                            ;   in Loop: Header=BB298_10 Depth=1
	s_or_b32 exec_lo, exec_lo, s17
.LBB298_537:                            ;   in Loop: Header=BB298_10 Depth=1
	s_delay_alu instid0(SALU_CYCLE_1)
	s_or_b32 exec_lo, exec_lo, s16
.LBB298_538:                            ;   in Loop: Header=BB298_10 Depth=1
	s_delay_alu instid0(SALU_CYCLE_1) | instskip(SKIP_2) | instid1(VALU_DEP_1)
	s_or_b32 exec_lo, exec_lo, s15
	v_lshrrev_b32_e32 v8, 16, v4
	s_mov_b32 s15, exec_lo
	v_and_b32_e32 v0, 0xff, v8
	s_delay_alu instid0(VALU_DEP_1)
	v_cmpx_ne_u16_e32 0, v0
	s_cbranch_execz .LBB298_546
; %bb.539:                              ;   in Loop: Header=BB298_10 Depth=1
	v_mov_b32_e32 v119, 0x8000
	s_mov_b32 s16, exec_lo
	v_cmpx_ne_u16_e32 0x80, v0
	s_cbranch_execz .LBB298_545
; %bb.540:                              ;   in Loop: Header=BB298_10 Depth=1
	v_bfe_u32 v6, v4, 16, 7
	v_mov_b32_e32 v119, 0x7c01
	s_mov_b32 s17, exec_lo
	s_delay_alu instid0(VALU_DEP_2)
	v_cmpx_ne_u32_e32 0x7f, v6
	s_cbranch_execz .LBB298_544
; %bb.541:                              ;   in Loop: Header=BB298_10 Depth=1
	v_dual_lshrrev_b32 v1, 3, v6 :: v_dual_bitop2_b32 v0, 7, v8 bitop3:0x40
	s_mov_b32 s18, exec_lo
	v_cmpx_gt_u32_e32 8, v6
; %bb.542:                              ;   in Loop: Header=BB298_10 Depth=1
	s_delay_alu instid0(VALU_DEP_2) | instskip(NEXT) | instid1(VALU_DEP_1)
	v_clz_i32_u32_e32 v0, v0
	v_min_u32_e32 v6, 32, v0
	s_delay_alu instid0(VALU_DEP_1) | instskip(NEXT) | instid1(VALU_DEP_1)
	v_subrev_nc_u32_e32 v0, 28, v6
	v_lshlrev_b64_e32 v[0:1], v0, v[8:9]
	s_delay_alu instid0(VALU_DEP_1)
	v_dual_sub_nc_u32 v1, 29, v6 :: v_dual_bitop2_b32 v0, 7, v0 bitop3:0x40
; %bb.543:                              ;   in Loop: Header=BB298_10 Depth=1
	s_or_b32 exec_lo, exec_lo, s18
	v_lshlrev_b32_e32 v6, 8, v8
	s_delay_alu instid0(VALU_DEP_2) | instskip(NEXT) | instid1(VALU_DEP_3)
	v_lshl_add_u32 v1, v1, 10, 0x2000
	v_lshlrev_b32_e32 v0, 7, v0
	s_delay_alu instid0(VALU_DEP_3) | instskip(NEXT) | instid1(VALU_DEP_3)
	v_and_b32_e32 v6, 0x8000, v6
	v_and_b32_e32 v1, 0xfc00, v1
	s_delay_alu instid0(VALU_DEP_1)
	v_or3_b32 v119, v6, v1, v0
.LBB298_544:                            ;   in Loop: Header=BB298_10 Depth=1
	s_or_b32 exec_lo, exec_lo, s17
.LBB298_545:                            ;   in Loop: Header=BB298_10 Depth=1
	s_delay_alu instid0(SALU_CYCLE_1)
	s_or_b32 exec_lo, exec_lo, s16
.LBB298_546:                            ;   in Loop: Header=BB298_10 Depth=1
	s_delay_alu instid0(SALU_CYCLE_1)
	s_or_b32 exec_lo, exec_lo, s15
	v_dual_mov_b32 v73, 0 :: v_dual_mov_b32 v93, 0
	s_mov_b32 s15, exec_lo
	v_cmpx_lt_u32_e32 0xffffff, v4
	s_cbranch_execz .LBB298_554
; %bb.547:                              ;   in Loop: Header=BB298_10 Depth=1
	v_lshrrev_b32_e32 v24, 24, v4
	v_bfrev_b32_e32 v93, 1
	s_mov_b32 s16, exec_lo
	s_delay_alu instid0(VALU_DEP_2)
	v_cmpx_ne_u32_e32 0x80, v24
	s_cbranch_execz .LBB298_553
; %bb.548:                              ;   in Loop: Header=BB298_10 Depth=1
	v_and_b32_e32 v6, 0x7f, v24
	v_mov_b32_e32 v93, 0x7c010000
	s_mov_b32 s17, exec_lo
	s_delay_alu instid0(VALU_DEP_2)
	v_cmpx_ne_u32_e32 0x7f, v6
	s_cbranch_execz .LBB298_552
; %bb.549:                              ;   in Loop: Header=BB298_10 Depth=1
	v_dual_lshrrev_b32 v1, 3, v6 :: v_dual_bitop2_b32 v0, 7, v24 bitop3:0x40
	s_mov_b32 s18, exec_lo
	v_cmpx_gt_u32_e32 8, v6
; %bb.550:                              ;   in Loop: Header=BB298_10 Depth=1
	s_delay_alu instid0(VALU_DEP_2) | instskip(NEXT) | instid1(VALU_DEP_1)
	v_clz_i32_u32_e32 v0, v0
	v_min_u32_e32 v6, 32, v0
	s_delay_alu instid0(VALU_DEP_1) | instskip(NEXT) | instid1(VALU_DEP_1)
	v_subrev_nc_u32_e32 v0, 28, v6
	v_lshlrev_b64_e32 v[0:1], v0, v[24:25]
	s_delay_alu instid0(VALU_DEP_1)
	v_dual_sub_nc_u32 v1, 29, v6 :: v_dual_bitop2_b32 v0, 7, v0 bitop3:0x40
; %bb.551:                              ;   in Loop: Header=BB298_10 Depth=1
	s_or_b32 exec_lo, exec_lo, s18
	v_lshlrev_b32_e32 v6, 8, v24
	s_delay_alu instid0(VALU_DEP_2) | instskip(NEXT) | instid1(VALU_DEP_3)
	v_lshl_add_u32 v1, v1, 10, 0x2000
	v_lshlrev_b32_e32 v0, 23, v0
	s_delay_alu instid0(VALU_DEP_2) | instskip(NEXT) | instid1(VALU_DEP_1)
	v_and_or_b32 v1, 0x8000, v6, v1
	v_lshl_or_b32 v93, v1, 16, v0
.LBB298_552:                            ;   in Loop: Header=BB298_10 Depth=1
	s_or_b32 exec_lo, exec_lo, s17
.LBB298_553:                            ;   in Loop: Header=BB298_10 Depth=1
	s_delay_alu instid0(SALU_CYCLE_1)
	s_or_b32 exec_lo, exec_lo, s16
.LBB298_554:                            ;   in Loop: Header=BB298_10 Depth=1
	s_delay_alu instid0(SALU_CYCLE_1) | instskip(SKIP_3) | instid1(VALU_DEP_2)
	s_or_b32 exec_lo, exec_lo, s15
	v_and_b32_e32 v0, 0xff, v5
	v_mov_b32_e32 v24, v5
	s_mov_b32 s15, exec_lo
	v_cmpx_ne_u16_e32 0, v0
	s_cbranch_execz .LBB298_562
; %bb.555:                              ;   in Loop: Header=BB298_10 Depth=1
	v_mov_b32_e32 v73, 0x8000
	s_mov_b32 s16, exec_lo
	v_cmpx_ne_u16_e32 0x80, v0
	s_cbranch_execz .LBB298_561
; %bb.556:                              ;   in Loop: Header=BB298_10 Depth=1
	v_and_b32_e32 v6, 0x7f, v5
	v_mov_b32_e32 v73, 0x7c01
	s_mov_b32 s17, exec_lo
	s_delay_alu instid0(VALU_DEP_2)
	v_cmpx_ne_u32_e32 0x7f, v6
	s_cbranch_execz .LBB298_560
; %bb.557:                              ;   in Loop: Header=BB298_10 Depth=1
	v_dual_lshrrev_b32 v1, 3, v6 :: v_dual_bitop2_b32 v0, 7, v5 bitop3:0x40
	s_mov_b32 s18, exec_lo
	v_cmpx_gt_u32_e32 8, v6
; %bb.558:                              ;   in Loop: Header=BB298_10 Depth=1
	s_delay_alu instid0(VALU_DEP_2) | instskip(NEXT) | instid1(VALU_DEP_1)
	v_clz_i32_u32_e32 v0, v0
	v_min_u32_e32 v6, 32, v0
	s_delay_alu instid0(VALU_DEP_1) | instskip(NEXT) | instid1(VALU_DEP_1)
	v_subrev_nc_u32_e32 v0, 28, v6
	v_lshlrev_b64_e32 v[0:1], v0, v[24:25]
	s_delay_alu instid0(VALU_DEP_1)
	v_dual_sub_nc_u32 v1, 29, v6 :: v_dual_bitop2_b32 v0, 7, v0 bitop3:0x40
; %bb.559:                              ;   in Loop: Header=BB298_10 Depth=1
	s_or_b32 exec_lo, exec_lo, s18
	s_delay_alu instid0(VALU_DEP_1) | instskip(NEXT) | instid1(VALU_DEP_2)
	v_dual_lshlrev_b32 v6, 8, v5 :: v_dual_lshlrev_b32 v0, 7, v0
	v_lshl_add_u32 v1, v1, 10, 0x2000
	s_delay_alu instid0(VALU_DEP_2) | instskip(NEXT) | instid1(VALU_DEP_2)
	v_and_b32_e32 v6, 0x8000, v6
	v_and_b32_e32 v1, 0xfc00, v1
	s_delay_alu instid0(VALU_DEP_1)
	v_or3_b32 v73, v6, v1, v0
.LBB298_560:                            ;   in Loop: Header=BB298_10 Depth=1
	s_or_b32 exec_lo, exec_lo, s17
.LBB298_561:                            ;   in Loop: Header=BB298_10 Depth=1
	s_delay_alu instid0(SALU_CYCLE_1)
	s_or_b32 exec_lo, exec_lo, s16
.LBB298_562:                            ;   in Loop: Header=BB298_10 Depth=1
	s_delay_alu instid0(SALU_CYCLE_1) | instskip(SKIP_3) | instid1(VALU_DEP_2)
	s_or_b32 exec_lo, exec_lo, s15
	v_lshrrev_b16 v24, 8, v24
	v_dual_mov_b32 v83, 0 :: v_dual_mov_b32 v72, 0
	s_mov_b32 s15, exec_lo
	v_cmpx_ne_u16_e32 0, v24
	s_cbranch_execz .LBB298_570
; %bb.563:                              ;   in Loop: Header=BB298_10 Depth=1
	v_bfrev_b32_e32 v72, 1
	s_mov_b32 s16, exec_lo
	v_cmpx_ne_u16_e32 0x80, v24
	s_cbranch_execz .LBB298_569
; %bb.564:                              ;   in Loop: Header=BB298_10 Depth=1
	v_and_b32_e32 v0, 0xffff, v24
	v_mov_b32_e32 v72, 0x7c010000
	s_mov_b32 s17, exec_lo
	s_delay_alu instid0(VALU_DEP_2) | instskip(NEXT) | instid1(VALU_DEP_1)
	v_and_b32_e32 v7, 0x7f, v0
	v_cmpx_ne_u32_e32 0x7f, v7
	s_cbranch_execz .LBB298_568
; %bb.565:                              ;   in Loop: Header=BB298_10 Depth=1
	v_dual_lshrrev_b32 v6, 3, v7 :: v_dual_bitop2_b32 v1, 7, v0 bitop3:0x40
	s_mov_b32 s18, exec_lo
	v_cmpx_gt_u32_e32 8, v7
; %bb.566:                              ;   in Loop: Header=BB298_10 Depth=1
	s_delay_alu instid0(VALU_DEP_2) | instskip(NEXT) | instid1(VALU_DEP_1)
	v_clz_i32_u32_e32 v1, v1
	v_min_u32_e32 v1, 32, v1
	s_delay_alu instid0(VALU_DEP_1) | instskip(NEXT) | instid1(VALU_DEP_1)
	v_subrev_nc_u32_e32 v6, 28, v1
	v_lshlrev_b64_e32 v[8:9], v6, v[24:25]
	s_delay_alu instid0(VALU_DEP_1)
	v_dual_sub_nc_u32 v6, 29, v1 :: v_dual_bitop2_b32 v1, 7, v8 bitop3:0x40
; %bb.567:                              ;   in Loop: Header=BB298_10 Depth=1
	s_or_b32 exec_lo, exec_lo, s18
	s_delay_alu instid0(VALU_DEP_1) | instskip(NEXT) | instid1(VALU_DEP_2)
	v_dual_lshlrev_b32 v0, 8, v0 :: v_dual_lshlrev_b32 v1, 23, v1
	v_lshl_add_u32 v6, v6, 10, 0x2000
	s_delay_alu instid0(VALU_DEP_1) | instskip(NEXT) | instid1(VALU_DEP_1)
	v_and_or_b32 v0, 0x8000, v0, v6
	v_lshl_or_b32 v72, v0, 16, v1
.LBB298_568:                            ;   in Loop: Header=BB298_10 Depth=1
	s_or_b32 exec_lo, exec_lo, s17
.LBB298_569:                            ;   in Loop: Header=BB298_10 Depth=1
	s_delay_alu instid0(SALU_CYCLE_1)
	s_or_b32 exec_lo, exec_lo, s16
.LBB298_570:                            ;   in Loop: Header=BB298_10 Depth=1
	s_delay_alu instid0(SALU_CYCLE_1) | instskip(SKIP_2) | instid1(VALU_DEP_1)
	s_or_b32 exec_lo, exec_lo, s15
	v_lshrrev_b32_e32 v8, 16, v5
	s_mov_b32 s15, exec_lo
	v_and_b32_e32 v0, 0xff, v8
	s_delay_alu instid0(VALU_DEP_1)
	v_cmpx_ne_u16_e32 0, v0
	s_cbranch_execz .LBB298_578
; %bb.571:                              ;   in Loop: Header=BB298_10 Depth=1
	v_mov_b32_e32 v83, 0x8000
	s_mov_b32 s16, exec_lo
	v_cmpx_ne_u16_e32 0x80, v0
	s_cbranch_execz .LBB298_577
; %bb.572:                              ;   in Loop: Header=BB298_10 Depth=1
	v_bfe_u32 v6, v5, 16, 7
	v_mov_b32_e32 v83, 0x7c01
	s_mov_b32 s17, exec_lo
	s_delay_alu instid0(VALU_DEP_2)
	v_cmpx_ne_u32_e32 0x7f, v6
	s_cbranch_execz .LBB298_576
; %bb.573:                              ;   in Loop: Header=BB298_10 Depth=1
	v_dual_lshrrev_b32 v1, 3, v6 :: v_dual_bitop2_b32 v0, 7, v8 bitop3:0x40
	s_mov_b32 s18, exec_lo
	v_cmpx_gt_u32_e32 8, v6
; %bb.574:                              ;   in Loop: Header=BB298_10 Depth=1
	s_delay_alu instid0(VALU_DEP_2) | instskip(NEXT) | instid1(VALU_DEP_1)
	v_clz_i32_u32_e32 v0, v0
	v_min_u32_e32 v6, 32, v0
	s_delay_alu instid0(VALU_DEP_1) | instskip(NEXT) | instid1(VALU_DEP_1)
	v_subrev_nc_u32_e32 v0, 28, v6
	v_lshlrev_b64_e32 v[0:1], v0, v[8:9]
	s_delay_alu instid0(VALU_DEP_1)
	v_dual_sub_nc_u32 v1, 29, v6 :: v_dual_bitop2_b32 v0, 7, v0 bitop3:0x40
; %bb.575:                              ;   in Loop: Header=BB298_10 Depth=1
	s_or_b32 exec_lo, exec_lo, s18
	v_lshlrev_b32_e32 v6, 8, v8
	s_delay_alu instid0(VALU_DEP_2) | instskip(NEXT) | instid1(VALU_DEP_3)
	v_lshl_add_u32 v1, v1, 10, 0x2000
	v_lshlrev_b32_e32 v0, 7, v0
	s_delay_alu instid0(VALU_DEP_3) | instskip(NEXT) | instid1(VALU_DEP_3)
	v_and_b32_e32 v6, 0x8000, v6
	v_and_b32_e32 v1, 0xfc00, v1
	s_delay_alu instid0(VALU_DEP_1)
	v_or3_b32 v83, v6, v1, v0
.LBB298_576:                            ;   in Loop: Header=BB298_10 Depth=1
	s_or_b32 exec_lo, exec_lo, s17
.LBB298_577:                            ;   in Loop: Header=BB298_10 Depth=1
	s_delay_alu instid0(SALU_CYCLE_1)
	s_or_b32 exec_lo, exec_lo, s16
.LBB298_578:                            ;   in Loop: Header=BB298_10 Depth=1
	s_delay_alu instid0(SALU_CYCLE_1)
	s_or_b32 exec_lo, exec_lo, s15
	v_dual_mov_b32 v78, 0 :: v_dual_mov_b32 v113, 0
	s_mov_b32 s15, exec_lo
	v_cmpx_lt_u64_e64 s[2:3], v[4:5]
	s_cbranch_execz .LBB298_586
; %bb.579:                              ;   in Loop: Header=BB298_10 Depth=1
	v_lshrrev_b32_e32 v24, 24, v5
	v_bfrev_b32_e32 v113, 1
	s_mov_b32 s16, exec_lo
	s_delay_alu instid0(VALU_DEP_2)
	v_cmpx_ne_u32_e32 0x80, v24
	s_cbranch_execz .LBB298_585
; %bb.580:                              ;   in Loop: Header=BB298_10 Depth=1
	v_and_b32_e32 v4, 0x7f, v24
	v_mov_b32_e32 v113, 0x7c010000
	s_mov_b32 s17, exec_lo
	s_delay_alu instid0(VALU_DEP_2)
	v_cmpx_ne_u32_e32 0x7f, v4
	s_cbranch_execz .LBB298_584
; %bb.581:                              ;   in Loop: Header=BB298_10 Depth=1
	v_and_b32_e32 v0, 7, v24
	v_lshrrev_b32_e32 v1, 3, v4
	s_mov_b32 s18, exec_lo
	v_cmpx_gt_u32_e32 8, v4
; %bb.582:                              ;   in Loop: Header=BB298_10 Depth=1
	s_delay_alu instid0(VALU_DEP_3) | instskip(NEXT) | instid1(VALU_DEP_1)
	v_clz_i32_u32_e32 v0, v0
	v_min_u32_e32 v4, 32, v0
	s_delay_alu instid0(VALU_DEP_1) | instskip(NEXT) | instid1(VALU_DEP_1)
	v_subrev_nc_u32_e32 v0, 28, v4
	v_lshlrev_b64_e32 v[0:1], v0, v[24:25]
	v_sub_nc_u32_e32 v1, 29, v4
	s_delay_alu instid0(VALU_DEP_2)
	v_and_b32_e32 v0, 7, v0
; %bb.583:                              ;   in Loop: Header=BB298_10 Depth=1
	s_or_b32 exec_lo, exec_lo, s18
	v_lshlrev_b32_e32 v4, 8, v24
	s_delay_alu instid0(VALU_DEP_3) | instskip(NEXT) | instid1(VALU_DEP_3)
	v_lshl_add_u32 v1, v1, 10, 0x2000
	v_lshlrev_b32_e32 v0, 23, v0
	s_delay_alu instid0(VALU_DEP_2) | instskip(NEXT) | instid1(VALU_DEP_1)
	v_and_or_b32 v1, 0x8000, v4, v1
	v_lshl_or_b32 v113, v1, 16, v0
.LBB298_584:                            ;   in Loop: Header=BB298_10 Depth=1
	s_or_b32 exec_lo, exec_lo, s17
.LBB298_585:                            ;   in Loop: Header=BB298_10 Depth=1
	s_delay_alu instid0(SALU_CYCLE_1)
	s_or_b32 exec_lo, exec_lo, s16
.LBB298_586:                            ;   in Loop: Header=BB298_10 Depth=1
	s_delay_alu instid0(SALU_CYCLE_1)
	s_or_b32 exec_lo, exec_lo, s15
	flat_load_b64 v[4:5], v[2:3] offset:2056
	s_mov_b32 s15, exec_lo
	s_wait_loadcnt_dscnt 0x0
	v_and_b32_e32 v0, 0xff, v4
	s_wait_xcnt 0x0
	s_delay_alu instid0(VALU_DEP_1)
	v_cmpx_ne_u16_e32 0, v0
	s_cbranch_execz .LBB298_594
; %bb.587:                              ;   in Loop: Header=BB298_10 Depth=1
	v_mov_b32_e32 v78, 0x8000
	s_mov_b32 s16, exec_lo
	v_cmpx_ne_u16_e32 0x80, v0
	s_cbranch_execz .LBB298_593
; %bb.588:                              ;   in Loop: Header=BB298_10 Depth=1
	v_and_b32_e32 v6, 0x7f, v4
	v_mov_b32_e32 v78, 0x7c01
	s_mov_b32 s17, exec_lo
	s_delay_alu instid0(VALU_DEP_2)
	v_cmpx_ne_u32_e32 0x7f, v6
	s_cbranch_execz .LBB298_592
; %bb.589:                              ;   in Loop: Header=BB298_10 Depth=1
	v_dual_lshrrev_b32 v1, 3, v6 :: v_dual_bitop2_b32 v0, 7, v4 bitop3:0x40
	s_mov_b32 s18, exec_lo
	v_cmpx_gt_u32_e32 8, v6
; %bb.590:                              ;   in Loop: Header=BB298_10 Depth=1
	s_delay_alu instid0(VALU_DEP_2) | instskip(NEXT) | instid1(VALU_DEP_1)
	v_clz_i32_u32_e32 v0, v0
	v_min_u32_e32 v6, 32, v0
	s_delay_alu instid0(VALU_DEP_1) | instskip(NEXT) | instid1(VALU_DEP_1)
	v_subrev_nc_u32_e32 v0, 28, v6
	v_lshlrev_b64_e32 v[0:1], v0, v[4:5]
	s_delay_alu instid0(VALU_DEP_1)
	v_dual_sub_nc_u32 v1, 29, v6 :: v_dual_bitop2_b32 v0, 7, v0 bitop3:0x40
; %bb.591:                              ;   in Loop: Header=BB298_10 Depth=1
	s_or_b32 exec_lo, exec_lo, s18
	v_lshlrev_b32_e32 v6, 8, v4
	s_delay_alu instid0(VALU_DEP_2) | instskip(NEXT) | instid1(VALU_DEP_3)
	v_lshl_add_u32 v1, v1, 10, 0x2000
	v_lshlrev_b32_e32 v0, 7, v0
	s_delay_alu instid0(VALU_DEP_3) | instskip(NEXT) | instid1(VALU_DEP_3)
	v_and_b32_e32 v6, 0x8000, v6
	v_and_b32_e32 v1, 0xfc00, v1
	s_delay_alu instid0(VALU_DEP_1)
	v_or3_b32 v78, v6, v1, v0
.LBB298_592:                            ;   in Loop: Header=BB298_10 Depth=1
	s_or_b32 exec_lo, exec_lo, s17
.LBB298_593:                            ;   in Loop: Header=BB298_10 Depth=1
	s_delay_alu instid0(SALU_CYCLE_1)
	s_or_b32 exec_lo, exec_lo, s16
.LBB298_594:                            ;   in Loop: Header=BB298_10 Depth=1
	s_delay_alu instid0(SALU_CYCLE_1) | instskip(SKIP_3) | instid1(VALU_DEP_2)
	s_or_b32 exec_lo, exec_lo, s15
	v_lshrrev_b16 v24, 8, v4
	v_dual_mov_b32 v112, 0 :: v_dual_mov_b32 v41, 0
	s_mov_b32 s15, exec_lo
	v_cmpx_ne_u16_e32 0, v24
	s_cbranch_execz .LBB298_602
; %bb.595:                              ;   in Loop: Header=BB298_10 Depth=1
	v_bfrev_b32_e32 v41, 1
	s_mov_b32 s16, exec_lo
	v_cmpx_ne_u16_e32 0x80, v24
	s_cbranch_execz .LBB298_601
; %bb.596:                              ;   in Loop: Header=BB298_10 Depth=1
	v_and_b32_e32 v0, 0xffff, v24
	v_mov_b32_e32 v41, 0x7c010000
	s_mov_b32 s17, exec_lo
	s_delay_alu instid0(VALU_DEP_2) | instskip(NEXT) | instid1(VALU_DEP_1)
	v_and_b32_e32 v7, 0x7f, v0
	v_cmpx_ne_u32_e32 0x7f, v7
	s_cbranch_execz .LBB298_600
; %bb.597:                              ;   in Loop: Header=BB298_10 Depth=1
	v_dual_lshrrev_b32 v6, 3, v7 :: v_dual_bitop2_b32 v1, 7, v0 bitop3:0x40
	s_mov_b32 s18, exec_lo
	v_cmpx_gt_u32_e32 8, v7
; %bb.598:                              ;   in Loop: Header=BB298_10 Depth=1
	s_delay_alu instid0(VALU_DEP_2) | instskip(NEXT) | instid1(VALU_DEP_1)
	v_clz_i32_u32_e32 v1, v1
	v_min_u32_e32 v1, 32, v1
	s_delay_alu instid0(VALU_DEP_1) | instskip(NEXT) | instid1(VALU_DEP_1)
	v_subrev_nc_u32_e32 v6, 28, v1
	v_lshlrev_b64_e32 v[8:9], v6, v[24:25]
	s_delay_alu instid0(VALU_DEP_1)
	v_dual_sub_nc_u32 v6, 29, v1 :: v_dual_bitop2_b32 v1, 7, v8 bitop3:0x40
; %bb.599:                              ;   in Loop: Header=BB298_10 Depth=1
	s_or_b32 exec_lo, exec_lo, s18
	s_delay_alu instid0(VALU_DEP_1) | instskip(NEXT) | instid1(VALU_DEP_2)
	v_dual_lshlrev_b32 v0, 8, v0 :: v_dual_lshlrev_b32 v1, 23, v1
	v_lshl_add_u32 v6, v6, 10, 0x2000
	s_delay_alu instid0(VALU_DEP_1) | instskip(NEXT) | instid1(VALU_DEP_1)
	v_and_or_b32 v0, 0x8000, v0, v6
	v_lshl_or_b32 v41, v0, 16, v1
.LBB298_600:                            ;   in Loop: Header=BB298_10 Depth=1
	s_or_b32 exec_lo, exec_lo, s17
.LBB298_601:                            ;   in Loop: Header=BB298_10 Depth=1
	s_delay_alu instid0(SALU_CYCLE_1)
	s_or_b32 exec_lo, exec_lo, s16
.LBB298_602:                            ;   in Loop: Header=BB298_10 Depth=1
	s_delay_alu instid0(SALU_CYCLE_1) | instskip(SKIP_2) | instid1(VALU_DEP_1)
	s_or_b32 exec_lo, exec_lo, s15
	v_lshrrev_b32_e32 v8, 16, v4
	s_mov_b32 s15, exec_lo
	v_and_b32_e32 v0, 0xff, v8
	s_delay_alu instid0(VALU_DEP_1)
	v_cmpx_ne_u16_e32 0, v0
	s_cbranch_execz .LBB298_610
; %bb.603:                              ;   in Loop: Header=BB298_10 Depth=1
	v_mov_b32_e32 v112, 0x8000
	s_mov_b32 s16, exec_lo
	v_cmpx_ne_u16_e32 0x80, v0
	s_cbranch_execz .LBB298_609
; %bb.604:                              ;   in Loop: Header=BB298_10 Depth=1
	v_bfe_u32 v6, v4, 16, 7
	v_mov_b32_e32 v112, 0x7c01
	s_mov_b32 s17, exec_lo
	s_delay_alu instid0(VALU_DEP_2)
	v_cmpx_ne_u32_e32 0x7f, v6
	s_cbranch_execz .LBB298_608
; %bb.605:                              ;   in Loop: Header=BB298_10 Depth=1
	v_dual_lshrrev_b32 v1, 3, v6 :: v_dual_bitop2_b32 v0, 7, v8 bitop3:0x40
	s_mov_b32 s18, exec_lo
	v_cmpx_gt_u32_e32 8, v6
; %bb.606:                              ;   in Loop: Header=BB298_10 Depth=1
	s_delay_alu instid0(VALU_DEP_2) | instskip(NEXT) | instid1(VALU_DEP_1)
	v_clz_i32_u32_e32 v0, v0
	v_min_u32_e32 v6, 32, v0
	s_delay_alu instid0(VALU_DEP_1) | instskip(NEXT) | instid1(VALU_DEP_1)
	v_subrev_nc_u32_e32 v0, 28, v6
	v_lshlrev_b64_e32 v[0:1], v0, v[8:9]
	s_delay_alu instid0(VALU_DEP_1)
	v_dual_sub_nc_u32 v1, 29, v6 :: v_dual_bitop2_b32 v0, 7, v0 bitop3:0x40
; %bb.607:                              ;   in Loop: Header=BB298_10 Depth=1
	s_or_b32 exec_lo, exec_lo, s18
	v_lshlrev_b32_e32 v6, 8, v8
	s_delay_alu instid0(VALU_DEP_2) | instskip(NEXT) | instid1(VALU_DEP_3)
	v_lshl_add_u32 v1, v1, 10, 0x2000
	v_lshlrev_b32_e32 v0, 7, v0
	s_delay_alu instid0(VALU_DEP_3) | instskip(NEXT) | instid1(VALU_DEP_3)
	v_and_b32_e32 v6, 0x8000, v6
	v_and_b32_e32 v1, 0xfc00, v1
	s_delay_alu instid0(VALU_DEP_1)
	v_or3_b32 v112, v6, v1, v0
.LBB298_608:                            ;   in Loop: Header=BB298_10 Depth=1
	s_or_b32 exec_lo, exec_lo, s17
.LBB298_609:                            ;   in Loop: Header=BB298_10 Depth=1
	s_delay_alu instid0(SALU_CYCLE_1)
	s_or_b32 exec_lo, exec_lo, s16
.LBB298_610:                            ;   in Loop: Header=BB298_10 Depth=1
	s_delay_alu instid0(SALU_CYCLE_1)
	s_or_b32 exec_lo, exec_lo, s15
	v_dual_mov_b32 v40, 0 :: v_dual_mov_b32 v118, 0
	s_mov_b32 s15, exec_lo
	v_cmpx_lt_u32_e32 0xffffff, v4
	s_cbranch_execz .LBB298_618
; %bb.611:                              ;   in Loop: Header=BB298_10 Depth=1
	v_lshrrev_b32_e32 v24, 24, v4
	v_bfrev_b32_e32 v118, 1
	s_mov_b32 s16, exec_lo
	s_delay_alu instid0(VALU_DEP_2)
	v_cmpx_ne_u32_e32 0x80, v24
	s_cbranch_execz .LBB298_617
; %bb.612:                              ;   in Loop: Header=BB298_10 Depth=1
	v_and_b32_e32 v6, 0x7f, v24
	v_mov_b32_e32 v118, 0x7c010000
	s_mov_b32 s17, exec_lo
	s_delay_alu instid0(VALU_DEP_2)
	v_cmpx_ne_u32_e32 0x7f, v6
	s_cbranch_execz .LBB298_616
; %bb.613:                              ;   in Loop: Header=BB298_10 Depth=1
	v_dual_lshrrev_b32 v1, 3, v6 :: v_dual_bitop2_b32 v0, 7, v24 bitop3:0x40
	s_mov_b32 s18, exec_lo
	v_cmpx_gt_u32_e32 8, v6
; %bb.614:                              ;   in Loop: Header=BB298_10 Depth=1
	s_delay_alu instid0(VALU_DEP_2) | instskip(NEXT) | instid1(VALU_DEP_1)
	v_clz_i32_u32_e32 v0, v0
	v_min_u32_e32 v6, 32, v0
	s_delay_alu instid0(VALU_DEP_1) | instskip(NEXT) | instid1(VALU_DEP_1)
	v_subrev_nc_u32_e32 v0, 28, v6
	v_lshlrev_b64_e32 v[0:1], v0, v[24:25]
	s_delay_alu instid0(VALU_DEP_1)
	v_dual_sub_nc_u32 v1, 29, v6 :: v_dual_bitop2_b32 v0, 7, v0 bitop3:0x40
; %bb.615:                              ;   in Loop: Header=BB298_10 Depth=1
	s_or_b32 exec_lo, exec_lo, s18
	v_lshlrev_b32_e32 v6, 8, v24
	s_delay_alu instid0(VALU_DEP_2) | instskip(NEXT) | instid1(VALU_DEP_3)
	v_lshl_add_u32 v1, v1, 10, 0x2000
	v_lshlrev_b32_e32 v0, 23, v0
	s_delay_alu instid0(VALU_DEP_2) | instskip(NEXT) | instid1(VALU_DEP_1)
	v_and_or_b32 v1, 0x8000, v6, v1
	v_lshl_or_b32 v118, v1, 16, v0
.LBB298_616:                            ;   in Loop: Header=BB298_10 Depth=1
	s_or_b32 exec_lo, exec_lo, s17
.LBB298_617:                            ;   in Loop: Header=BB298_10 Depth=1
	s_delay_alu instid0(SALU_CYCLE_1)
	s_or_b32 exec_lo, exec_lo, s16
.LBB298_618:                            ;   in Loop: Header=BB298_10 Depth=1
	s_delay_alu instid0(SALU_CYCLE_1) | instskip(SKIP_3) | instid1(VALU_DEP_2)
	s_or_b32 exec_lo, exec_lo, s15
	v_and_b32_e32 v0, 0xff, v5
	v_mov_b32_e32 v24, v5
	s_mov_b32 s15, exec_lo
	v_cmpx_ne_u16_e32 0, v0
	s_cbranch_execz .LBB298_626
; %bb.619:                              ;   in Loop: Header=BB298_10 Depth=1
	v_mov_b32_e32 v40, 0x8000
	s_mov_b32 s16, exec_lo
	v_cmpx_ne_u16_e32 0x80, v0
	s_cbranch_execz .LBB298_625
; %bb.620:                              ;   in Loop: Header=BB298_10 Depth=1
	v_and_b32_e32 v6, 0x7f, v5
	v_mov_b32_e32 v40, 0x7c01
	s_mov_b32 s17, exec_lo
	s_delay_alu instid0(VALU_DEP_2)
	v_cmpx_ne_u32_e32 0x7f, v6
	s_cbranch_execz .LBB298_624
; %bb.621:                              ;   in Loop: Header=BB298_10 Depth=1
	v_dual_lshrrev_b32 v1, 3, v6 :: v_dual_bitop2_b32 v0, 7, v5 bitop3:0x40
	s_mov_b32 s18, exec_lo
	v_cmpx_gt_u32_e32 8, v6
; %bb.622:                              ;   in Loop: Header=BB298_10 Depth=1
	s_delay_alu instid0(VALU_DEP_2) | instskip(NEXT) | instid1(VALU_DEP_1)
	v_clz_i32_u32_e32 v0, v0
	v_min_u32_e32 v6, 32, v0
	s_delay_alu instid0(VALU_DEP_1) | instskip(NEXT) | instid1(VALU_DEP_1)
	v_subrev_nc_u32_e32 v0, 28, v6
	v_lshlrev_b64_e32 v[0:1], v0, v[24:25]
	s_delay_alu instid0(VALU_DEP_1)
	v_dual_sub_nc_u32 v1, 29, v6 :: v_dual_bitop2_b32 v0, 7, v0 bitop3:0x40
; %bb.623:                              ;   in Loop: Header=BB298_10 Depth=1
	s_or_b32 exec_lo, exec_lo, s18
	s_delay_alu instid0(VALU_DEP_1) | instskip(NEXT) | instid1(VALU_DEP_2)
	v_dual_lshlrev_b32 v6, 8, v5 :: v_dual_lshlrev_b32 v0, 7, v0
	v_lshl_add_u32 v1, v1, 10, 0x2000
	s_delay_alu instid0(VALU_DEP_2) | instskip(NEXT) | instid1(VALU_DEP_2)
	v_and_b32_e32 v6, 0x8000, v6
	v_and_b32_e32 v1, 0xfc00, v1
	s_delay_alu instid0(VALU_DEP_1)
	v_or3_b32 v40, v6, v1, v0
.LBB298_624:                            ;   in Loop: Header=BB298_10 Depth=1
	s_or_b32 exec_lo, exec_lo, s17
.LBB298_625:                            ;   in Loop: Header=BB298_10 Depth=1
	s_delay_alu instid0(SALU_CYCLE_1)
	s_or_b32 exec_lo, exec_lo, s16
.LBB298_626:                            ;   in Loop: Header=BB298_10 Depth=1
	s_delay_alu instid0(SALU_CYCLE_1) | instskip(SKIP_3) | instid1(VALU_DEP_2)
	s_or_b32 exec_lo, exec_lo, s15
	v_lshrrev_b16 v24, 8, v24
	v_dual_mov_b32 v76, 0 :: v_dual_mov_b32 v63, 0
	s_mov_b32 s15, exec_lo
	v_cmpx_ne_u16_e32 0, v24
	s_cbranch_execz .LBB298_634
; %bb.627:                              ;   in Loop: Header=BB298_10 Depth=1
	v_bfrev_b32_e32 v63, 1
	s_mov_b32 s16, exec_lo
	v_cmpx_ne_u16_e32 0x80, v24
	s_cbranch_execz .LBB298_633
; %bb.628:                              ;   in Loop: Header=BB298_10 Depth=1
	v_and_b32_e32 v0, 0xffff, v24
	v_mov_b32_e32 v63, 0x7c010000
	s_mov_b32 s17, exec_lo
	s_delay_alu instid0(VALU_DEP_2) | instskip(NEXT) | instid1(VALU_DEP_1)
	v_and_b32_e32 v7, 0x7f, v0
	v_cmpx_ne_u32_e32 0x7f, v7
	s_cbranch_execz .LBB298_632
; %bb.629:                              ;   in Loop: Header=BB298_10 Depth=1
	v_dual_lshrrev_b32 v6, 3, v7 :: v_dual_bitop2_b32 v1, 7, v0 bitop3:0x40
	s_mov_b32 s18, exec_lo
	v_cmpx_gt_u32_e32 8, v7
; %bb.630:                              ;   in Loop: Header=BB298_10 Depth=1
	s_delay_alu instid0(VALU_DEP_2) | instskip(NEXT) | instid1(VALU_DEP_1)
	v_clz_i32_u32_e32 v1, v1
	v_min_u32_e32 v1, 32, v1
	s_delay_alu instid0(VALU_DEP_1) | instskip(NEXT) | instid1(VALU_DEP_1)
	v_subrev_nc_u32_e32 v6, 28, v1
	v_lshlrev_b64_e32 v[8:9], v6, v[24:25]
	s_delay_alu instid0(VALU_DEP_1)
	v_dual_sub_nc_u32 v6, 29, v1 :: v_dual_bitop2_b32 v1, 7, v8 bitop3:0x40
; %bb.631:                              ;   in Loop: Header=BB298_10 Depth=1
	s_or_b32 exec_lo, exec_lo, s18
	s_delay_alu instid0(VALU_DEP_1) | instskip(NEXT) | instid1(VALU_DEP_2)
	v_dual_lshlrev_b32 v0, 8, v0 :: v_dual_lshlrev_b32 v1, 23, v1
	v_lshl_add_u32 v6, v6, 10, 0x2000
	s_delay_alu instid0(VALU_DEP_1) | instskip(NEXT) | instid1(VALU_DEP_1)
	v_and_or_b32 v0, 0x8000, v0, v6
	v_lshl_or_b32 v63, v0, 16, v1
.LBB298_632:                            ;   in Loop: Header=BB298_10 Depth=1
	s_or_b32 exec_lo, exec_lo, s17
.LBB298_633:                            ;   in Loop: Header=BB298_10 Depth=1
	s_delay_alu instid0(SALU_CYCLE_1)
	s_or_b32 exec_lo, exec_lo, s16
.LBB298_634:                            ;   in Loop: Header=BB298_10 Depth=1
	s_delay_alu instid0(SALU_CYCLE_1) | instskip(SKIP_2) | instid1(VALU_DEP_1)
	s_or_b32 exec_lo, exec_lo, s15
	v_lshrrev_b32_e32 v8, 16, v5
	s_mov_b32 s15, exec_lo
	v_and_b32_e32 v0, 0xff, v8
	s_delay_alu instid0(VALU_DEP_1)
	v_cmpx_ne_u16_e32 0, v0
	s_cbranch_execz .LBB298_642
; %bb.635:                              ;   in Loop: Header=BB298_10 Depth=1
	v_mov_b32_e32 v76, 0x8000
	s_mov_b32 s16, exec_lo
	v_cmpx_ne_u16_e32 0x80, v0
	s_cbranch_execz .LBB298_641
; %bb.636:                              ;   in Loop: Header=BB298_10 Depth=1
	v_bfe_u32 v6, v5, 16, 7
	v_mov_b32_e32 v76, 0x7c01
	s_mov_b32 s17, exec_lo
	s_delay_alu instid0(VALU_DEP_2)
	v_cmpx_ne_u32_e32 0x7f, v6
	s_cbranch_execz .LBB298_640
; %bb.637:                              ;   in Loop: Header=BB298_10 Depth=1
	v_dual_lshrrev_b32 v1, 3, v6 :: v_dual_bitop2_b32 v0, 7, v8 bitop3:0x40
	s_mov_b32 s18, exec_lo
	v_cmpx_gt_u32_e32 8, v6
; %bb.638:                              ;   in Loop: Header=BB298_10 Depth=1
	s_delay_alu instid0(VALU_DEP_2) | instskip(NEXT) | instid1(VALU_DEP_1)
	v_clz_i32_u32_e32 v0, v0
	v_min_u32_e32 v6, 32, v0
	s_delay_alu instid0(VALU_DEP_1) | instskip(NEXT) | instid1(VALU_DEP_1)
	v_subrev_nc_u32_e32 v0, 28, v6
	v_lshlrev_b64_e32 v[0:1], v0, v[8:9]
	s_delay_alu instid0(VALU_DEP_1)
	v_dual_sub_nc_u32 v1, 29, v6 :: v_dual_bitop2_b32 v0, 7, v0 bitop3:0x40
; %bb.639:                              ;   in Loop: Header=BB298_10 Depth=1
	s_or_b32 exec_lo, exec_lo, s18
	v_lshlrev_b32_e32 v6, 8, v8
	s_delay_alu instid0(VALU_DEP_2) | instskip(NEXT) | instid1(VALU_DEP_3)
	v_lshl_add_u32 v1, v1, 10, 0x2000
	v_lshlrev_b32_e32 v0, 7, v0
	s_delay_alu instid0(VALU_DEP_3) | instskip(NEXT) | instid1(VALU_DEP_3)
	v_and_b32_e32 v6, 0x8000, v6
	v_and_b32_e32 v1, 0xfc00, v1
	s_delay_alu instid0(VALU_DEP_1)
	v_or3_b32 v76, v6, v1, v0
.LBB298_640:                            ;   in Loop: Header=BB298_10 Depth=1
	s_or_b32 exec_lo, exec_lo, s17
.LBB298_641:                            ;   in Loop: Header=BB298_10 Depth=1
	s_delay_alu instid0(SALU_CYCLE_1)
	s_or_b32 exec_lo, exec_lo, s16
.LBB298_642:                            ;   in Loop: Header=BB298_10 Depth=1
	s_delay_alu instid0(SALU_CYCLE_1)
	s_or_b32 exec_lo, exec_lo, s15
	v_dual_mov_b32 v77, 0 :: v_dual_mov_b32 v105, 0
	s_mov_b32 s15, exec_lo
	v_cmpx_lt_u64_e64 s[2:3], v[4:5]
	s_cbranch_execz .LBB298_650
; %bb.643:                              ;   in Loop: Header=BB298_10 Depth=1
	v_lshrrev_b32_e32 v24, 24, v5
	v_bfrev_b32_e32 v105, 1
	s_mov_b32 s16, exec_lo
	s_delay_alu instid0(VALU_DEP_2)
	v_cmpx_ne_u32_e32 0x80, v24
	s_cbranch_execz .LBB298_649
; %bb.644:                              ;   in Loop: Header=BB298_10 Depth=1
	v_and_b32_e32 v4, 0x7f, v24
	v_mov_b32_e32 v105, 0x7c010000
	s_mov_b32 s17, exec_lo
	s_delay_alu instid0(VALU_DEP_2)
	v_cmpx_ne_u32_e32 0x7f, v4
	s_cbranch_execz .LBB298_648
; %bb.645:                              ;   in Loop: Header=BB298_10 Depth=1
	v_and_b32_e32 v0, 7, v24
	v_lshrrev_b32_e32 v1, 3, v4
	s_mov_b32 s18, exec_lo
	v_cmpx_gt_u32_e32 8, v4
; %bb.646:                              ;   in Loop: Header=BB298_10 Depth=1
	s_delay_alu instid0(VALU_DEP_3) | instskip(NEXT) | instid1(VALU_DEP_1)
	v_clz_i32_u32_e32 v0, v0
	v_min_u32_e32 v4, 32, v0
	s_delay_alu instid0(VALU_DEP_1) | instskip(NEXT) | instid1(VALU_DEP_1)
	v_subrev_nc_u32_e32 v0, 28, v4
	v_lshlrev_b64_e32 v[0:1], v0, v[24:25]
	v_sub_nc_u32_e32 v1, 29, v4
	s_delay_alu instid0(VALU_DEP_2)
	v_and_b32_e32 v0, 7, v0
; %bb.647:                              ;   in Loop: Header=BB298_10 Depth=1
	s_or_b32 exec_lo, exec_lo, s18
	v_lshlrev_b32_e32 v4, 8, v24
	s_delay_alu instid0(VALU_DEP_3) | instskip(NEXT) | instid1(VALU_DEP_3)
	v_lshl_add_u32 v1, v1, 10, 0x2000
	v_lshlrev_b32_e32 v0, 23, v0
	s_delay_alu instid0(VALU_DEP_2) | instskip(NEXT) | instid1(VALU_DEP_1)
	v_and_or_b32 v1, 0x8000, v4, v1
	v_lshl_or_b32 v105, v1, 16, v0
.LBB298_648:                            ;   in Loop: Header=BB298_10 Depth=1
	s_or_b32 exec_lo, exec_lo, s17
.LBB298_649:                            ;   in Loop: Header=BB298_10 Depth=1
	s_delay_alu instid0(SALU_CYCLE_1)
	s_or_b32 exec_lo, exec_lo, s16
.LBB298_650:                            ;   in Loop: Header=BB298_10 Depth=1
	s_delay_alu instid0(SALU_CYCLE_1)
	s_or_b32 exec_lo, exec_lo, s15
	flat_load_b64 v[4:5], v[2:3] offset:2560
	s_mov_b32 s15, exec_lo
	s_wait_loadcnt_dscnt 0x0
	v_and_b32_e32 v0, 0xff, v4
	s_wait_xcnt 0x0
	s_delay_alu instid0(VALU_DEP_1)
	v_cmpx_ne_u16_e32 0, v0
	s_cbranch_execz .LBB298_658
; %bb.651:                              ;   in Loop: Header=BB298_10 Depth=1
	v_mov_b32_e32 v77, 0x8000
	s_mov_b32 s16, exec_lo
	v_cmpx_ne_u16_e32 0x80, v0
	s_cbranch_execz .LBB298_657
; %bb.652:                              ;   in Loop: Header=BB298_10 Depth=1
	v_and_b32_e32 v6, 0x7f, v4
	v_mov_b32_e32 v77, 0x7c01
	s_mov_b32 s17, exec_lo
	s_delay_alu instid0(VALU_DEP_2)
	v_cmpx_ne_u32_e32 0x7f, v6
	s_cbranch_execz .LBB298_656
; %bb.653:                              ;   in Loop: Header=BB298_10 Depth=1
	v_dual_lshrrev_b32 v1, 3, v6 :: v_dual_bitop2_b32 v0, 7, v4 bitop3:0x40
	s_mov_b32 s18, exec_lo
	v_cmpx_gt_u32_e32 8, v6
; %bb.654:                              ;   in Loop: Header=BB298_10 Depth=1
	s_delay_alu instid0(VALU_DEP_2) | instskip(NEXT) | instid1(VALU_DEP_1)
	v_clz_i32_u32_e32 v0, v0
	v_min_u32_e32 v6, 32, v0
	s_delay_alu instid0(VALU_DEP_1) | instskip(NEXT) | instid1(VALU_DEP_1)
	v_subrev_nc_u32_e32 v0, 28, v6
	v_lshlrev_b64_e32 v[0:1], v0, v[4:5]
	s_delay_alu instid0(VALU_DEP_1)
	v_dual_sub_nc_u32 v1, 29, v6 :: v_dual_bitop2_b32 v0, 7, v0 bitop3:0x40
; %bb.655:                              ;   in Loop: Header=BB298_10 Depth=1
	s_or_b32 exec_lo, exec_lo, s18
	v_lshlrev_b32_e32 v6, 8, v4
	s_delay_alu instid0(VALU_DEP_2) | instskip(NEXT) | instid1(VALU_DEP_3)
	v_lshl_add_u32 v1, v1, 10, 0x2000
	v_lshlrev_b32_e32 v0, 7, v0
	s_delay_alu instid0(VALU_DEP_3) | instskip(NEXT) | instid1(VALU_DEP_3)
	v_and_b32_e32 v6, 0x8000, v6
	v_and_b32_e32 v1, 0xfc00, v1
	s_delay_alu instid0(VALU_DEP_1)
	v_or3_b32 v77, v6, v1, v0
.LBB298_656:                            ;   in Loop: Header=BB298_10 Depth=1
	s_or_b32 exec_lo, exec_lo, s17
.LBB298_657:                            ;   in Loop: Header=BB298_10 Depth=1
	s_delay_alu instid0(SALU_CYCLE_1)
	s_or_b32 exec_lo, exec_lo, s16
.LBB298_658:                            ;   in Loop: Header=BB298_10 Depth=1
	s_delay_alu instid0(SALU_CYCLE_1) | instskip(SKIP_3) | instid1(VALU_DEP_2)
	s_or_b32 exec_lo, exec_lo, s15
	v_lshrrev_b16 v24, 8, v4
	v_dual_mov_b32 v62, 0 :: v_dual_mov_b32 v124, 0
	s_mov_b32 s15, exec_lo
	v_cmpx_ne_u16_e32 0, v24
	s_cbranch_execz .LBB298_666
; %bb.659:                              ;   in Loop: Header=BB298_10 Depth=1
	v_bfrev_b32_e32 v124, 1
	s_mov_b32 s16, exec_lo
	v_cmpx_ne_u16_e32 0x80, v24
	s_cbranch_execz .LBB298_665
; %bb.660:                              ;   in Loop: Header=BB298_10 Depth=1
	v_and_b32_e32 v0, 0xffff, v24
	v_mov_b32_e32 v124, 0x7c010000
	s_mov_b32 s17, exec_lo
	s_delay_alu instid0(VALU_DEP_2) | instskip(NEXT) | instid1(VALU_DEP_1)
	v_and_b32_e32 v7, 0x7f, v0
	v_cmpx_ne_u32_e32 0x7f, v7
	s_cbranch_execz .LBB298_664
; %bb.661:                              ;   in Loop: Header=BB298_10 Depth=1
	v_dual_lshrrev_b32 v6, 3, v7 :: v_dual_bitop2_b32 v1, 7, v0 bitop3:0x40
	s_mov_b32 s18, exec_lo
	v_cmpx_gt_u32_e32 8, v7
; %bb.662:                              ;   in Loop: Header=BB298_10 Depth=1
	s_delay_alu instid0(VALU_DEP_2) | instskip(NEXT) | instid1(VALU_DEP_1)
	v_clz_i32_u32_e32 v1, v1
	v_min_u32_e32 v1, 32, v1
	s_delay_alu instid0(VALU_DEP_1) | instskip(NEXT) | instid1(VALU_DEP_1)
	v_subrev_nc_u32_e32 v6, 28, v1
	v_lshlrev_b64_e32 v[8:9], v6, v[24:25]
	s_delay_alu instid0(VALU_DEP_1)
	v_dual_sub_nc_u32 v6, 29, v1 :: v_dual_bitop2_b32 v1, 7, v8 bitop3:0x40
; %bb.663:                              ;   in Loop: Header=BB298_10 Depth=1
	s_or_b32 exec_lo, exec_lo, s18
	s_delay_alu instid0(VALU_DEP_1) | instskip(NEXT) | instid1(VALU_DEP_2)
	v_dual_lshlrev_b32 v0, 8, v0 :: v_dual_lshlrev_b32 v1, 23, v1
	v_lshl_add_u32 v6, v6, 10, 0x2000
	s_delay_alu instid0(VALU_DEP_1) | instskip(NEXT) | instid1(VALU_DEP_1)
	v_and_or_b32 v0, 0x8000, v0, v6
	v_lshl_or_b32 v124, v0, 16, v1
.LBB298_664:                            ;   in Loop: Header=BB298_10 Depth=1
	s_or_b32 exec_lo, exec_lo, s17
.LBB298_665:                            ;   in Loop: Header=BB298_10 Depth=1
	s_delay_alu instid0(SALU_CYCLE_1)
	s_or_b32 exec_lo, exec_lo, s16
.LBB298_666:                            ;   in Loop: Header=BB298_10 Depth=1
	s_delay_alu instid0(SALU_CYCLE_1) | instskip(SKIP_2) | instid1(VALU_DEP_1)
	s_or_b32 exec_lo, exec_lo, s15
	v_lshrrev_b32_e32 v8, 16, v4
	s_mov_b32 s15, exec_lo
	v_and_b32_e32 v0, 0xff, v8
	s_delay_alu instid0(VALU_DEP_1)
	v_cmpx_ne_u16_e32 0, v0
	s_cbranch_execz .LBB298_674
; %bb.667:                              ;   in Loop: Header=BB298_10 Depth=1
	v_mov_b32_e32 v62, 0x8000
	s_mov_b32 s16, exec_lo
	v_cmpx_ne_u16_e32 0x80, v0
	s_cbranch_execz .LBB298_673
; %bb.668:                              ;   in Loop: Header=BB298_10 Depth=1
	v_bfe_u32 v6, v4, 16, 7
	v_mov_b32_e32 v62, 0x7c01
	s_mov_b32 s17, exec_lo
	s_delay_alu instid0(VALU_DEP_2)
	v_cmpx_ne_u32_e32 0x7f, v6
	s_cbranch_execz .LBB298_672
; %bb.669:                              ;   in Loop: Header=BB298_10 Depth=1
	v_dual_lshrrev_b32 v1, 3, v6 :: v_dual_bitop2_b32 v0, 7, v8 bitop3:0x40
	s_mov_b32 s18, exec_lo
	v_cmpx_gt_u32_e32 8, v6
; %bb.670:                              ;   in Loop: Header=BB298_10 Depth=1
	s_delay_alu instid0(VALU_DEP_2) | instskip(NEXT) | instid1(VALU_DEP_1)
	v_clz_i32_u32_e32 v0, v0
	v_min_u32_e32 v6, 32, v0
	s_delay_alu instid0(VALU_DEP_1) | instskip(NEXT) | instid1(VALU_DEP_1)
	v_subrev_nc_u32_e32 v0, 28, v6
	v_lshlrev_b64_e32 v[0:1], v0, v[8:9]
	s_delay_alu instid0(VALU_DEP_1)
	v_dual_sub_nc_u32 v1, 29, v6 :: v_dual_bitop2_b32 v0, 7, v0 bitop3:0x40
; %bb.671:                              ;   in Loop: Header=BB298_10 Depth=1
	s_or_b32 exec_lo, exec_lo, s18
	v_lshlrev_b32_e32 v6, 8, v8
	s_delay_alu instid0(VALU_DEP_2) | instskip(NEXT) | instid1(VALU_DEP_3)
	v_lshl_add_u32 v1, v1, 10, 0x2000
	v_lshlrev_b32_e32 v0, 7, v0
	s_delay_alu instid0(VALU_DEP_3) | instskip(NEXT) | instid1(VALU_DEP_3)
	v_and_b32_e32 v6, 0x8000, v6
	v_and_b32_e32 v1, 0xfc00, v1
	s_delay_alu instid0(VALU_DEP_1)
	v_or3_b32 v62, v6, v1, v0
.LBB298_672:                            ;   in Loop: Header=BB298_10 Depth=1
	s_or_b32 exec_lo, exec_lo, s17
.LBB298_673:                            ;   in Loop: Header=BB298_10 Depth=1
	s_delay_alu instid0(SALU_CYCLE_1)
	s_or_b32 exec_lo, exec_lo, s16
.LBB298_674:                            ;   in Loop: Header=BB298_10 Depth=1
	s_delay_alu instid0(SALU_CYCLE_1)
	s_or_b32 exec_lo, exec_lo, s15
	v_dual_mov_b32 v107, 0 :: v_dual_mov_b32 v126, 0
	s_mov_b32 s15, exec_lo
	v_cmpx_lt_u32_e32 0xffffff, v4
	s_cbranch_execz .LBB298_682
; %bb.675:                              ;   in Loop: Header=BB298_10 Depth=1
	v_lshrrev_b32_e32 v24, 24, v4
	v_bfrev_b32_e32 v126, 1
	s_mov_b32 s16, exec_lo
	s_delay_alu instid0(VALU_DEP_2)
	v_cmpx_ne_u32_e32 0x80, v24
	s_cbranch_execz .LBB298_681
; %bb.676:                              ;   in Loop: Header=BB298_10 Depth=1
	v_and_b32_e32 v6, 0x7f, v24
	v_mov_b32_e32 v126, 0x7c010000
	s_mov_b32 s17, exec_lo
	s_delay_alu instid0(VALU_DEP_2)
	v_cmpx_ne_u32_e32 0x7f, v6
	s_cbranch_execz .LBB298_680
; %bb.677:                              ;   in Loop: Header=BB298_10 Depth=1
	v_dual_lshrrev_b32 v1, 3, v6 :: v_dual_bitop2_b32 v0, 7, v24 bitop3:0x40
	s_mov_b32 s18, exec_lo
	v_cmpx_gt_u32_e32 8, v6
; %bb.678:                              ;   in Loop: Header=BB298_10 Depth=1
	s_delay_alu instid0(VALU_DEP_2) | instskip(NEXT) | instid1(VALU_DEP_1)
	v_clz_i32_u32_e32 v0, v0
	v_min_u32_e32 v6, 32, v0
	s_delay_alu instid0(VALU_DEP_1) | instskip(NEXT) | instid1(VALU_DEP_1)
	v_subrev_nc_u32_e32 v0, 28, v6
	v_lshlrev_b64_e32 v[0:1], v0, v[24:25]
	s_delay_alu instid0(VALU_DEP_1)
	v_dual_sub_nc_u32 v1, 29, v6 :: v_dual_bitop2_b32 v0, 7, v0 bitop3:0x40
; %bb.679:                              ;   in Loop: Header=BB298_10 Depth=1
	s_or_b32 exec_lo, exec_lo, s18
	v_lshlrev_b32_e32 v6, 8, v24
	s_delay_alu instid0(VALU_DEP_2) | instskip(NEXT) | instid1(VALU_DEP_3)
	v_lshl_add_u32 v1, v1, 10, 0x2000
	v_lshlrev_b32_e32 v0, 23, v0
	s_delay_alu instid0(VALU_DEP_2) | instskip(NEXT) | instid1(VALU_DEP_1)
	v_and_or_b32 v1, 0x8000, v6, v1
	v_lshl_or_b32 v126, v1, 16, v0
.LBB298_680:                            ;   in Loop: Header=BB298_10 Depth=1
	s_or_b32 exec_lo, exec_lo, s17
.LBB298_681:                            ;   in Loop: Header=BB298_10 Depth=1
	s_delay_alu instid0(SALU_CYCLE_1)
	s_or_b32 exec_lo, exec_lo, s16
.LBB298_682:                            ;   in Loop: Header=BB298_10 Depth=1
	s_delay_alu instid0(SALU_CYCLE_1) | instskip(SKIP_3) | instid1(VALU_DEP_2)
	s_or_b32 exec_lo, exec_lo, s15
	v_and_b32_e32 v0, 0xff, v5
	v_mov_b32_e32 v24, v5
	s_mov_b32 s15, exec_lo
	v_cmpx_ne_u16_e32 0, v0
	s_cbranch_execz .LBB298_690
; %bb.683:                              ;   in Loop: Header=BB298_10 Depth=1
	v_mov_b32_e32 v107, 0x8000
	s_mov_b32 s16, exec_lo
	v_cmpx_ne_u16_e32 0x80, v0
	s_cbranch_execz .LBB298_689
; %bb.684:                              ;   in Loop: Header=BB298_10 Depth=1
	v_and_b32_e32 v6, 0x7f, v5
	v_mov_b32_e32 v107, 0x7c01
	s_mov_b32 s17, exec_lo
	s_delay_alu instid0(VALU_DEP_2)
	v_cmpx_ne_u32_e32 0x7f, v6
	s_cbranch_execz .LBB298_688
; %bb.685:                              ;   in Loop: Header=BB298_10 Depth=1
	v_dual_lshrrev_b32 v1, 3, v6 :: v_dual_bitop2_b32 v0, 7, v5 bitop3:0x40
	s_mov_b32 s18, exec_lo
	v_cmpx_gt_u32_e32 8, v6
; %bb.686:                              ;   in Loop: Header=BB298_10 Depth=1
	s_delay_alu instid0(VALU_DEP_2) | instskip(NEXT) | instid1(VALU_DEP_1)
	v_clz_i32_u32_e32 v0, v0
	v_min_u32_e32 v6, 32, v0
	s_delay_alu instid0(VALU_DEP_1) | instskip(NEXT) | instid1(VALU_DEP_1)
	v_subrev_nc_u32_e32 v0, 28, v6
	v_lshlrev_b64_e32 v[0:1], v0, v[24:25]
	s_delay_alu instid0(VALU_DEP_1)
	v_dual_sub_nc_u32 v1, 29, v6 :: v_dual_bitop2_b32 v0, 7, v0 bitop3:0x40
; %bb.687:                              ;   in Loop: Header=BB298_10 Depth=1
	s_or_b32 exec_lo, exec_lo, s18
	s_delay_alu instid0(VALU_DEP_1) | instskip(NEXT) | instid1(VALU_DEP_2)
	v_dual_lshlrev_b32 v6, 8, v5 :: v_dual_lshlrev_b32 v0, 7, v0
	v_lshl_add_u32 v1, v1, 10, 0x2000
	s_delay_alu instid0(VALU_DEP_2) | instskip(NEXT) | instid1(VALU_DEP_2)
	v_and_b32_e32 v6, 0x8000, v6
	v_and_b32_e32 v1, 0xfc00, v1
	s_delay_alu instid0(VALU_DEP_1)
	v_or3_b32 v107, v6, v1, v0
.LBB298_688:                            ;   in Loop: Header=BB298_10 Depth=1
	s_or_b32 exec_lo, exec_lo, s17
.LBB298_689:                            ;   in Loop: Header=BB298_10 Depth=1
	s_delay_alu instid0(SALU_CYCLE_1)
	s_or_b32 exec_lo, exec_lo, s16
.LBB298_690:                            ;   in Loop: Header=BB298_10 Depth=1
	s_delay_alu instid0(SALU_CYCLE_1) | instskip(SKIP_3) | instid1(VALU_DEP_2)
	s_or_b32 exec_lo, exec_lo, s15
	v_lshrrev_b16 v24, 8, v24
	v_dual_mov_b32 v109, 0 :: v_dual_mov_b32 v110, 0
	s_mov_b32 s15, exec_lo
	v_cmpx_ne_u16_e32 0, v24
	s_cbranch_execz .LBB298_698
; %bb.691:                              ;   in Loop: Header=BB298_10 Depth=1
	v_bfrev_b32_e32 v110, 1
	s_mov_b32 s16, exec_lo
	v_cmpx_ne_u16_e32 0x80, v24
	s_cbranch_execz .LBB298_697
; %bb.692:                              ;   in Loop: Header=BB298_10 Depth=1
	v_and_b32_e32 v0, 0xffff, v24
	v_mov_b32_e32 v110, 0x7c010000
	s_mov_b32 s17, exec_lo
	s_delay_alu instid0(VALU_DEP_2) | instskip(NEXT) | instid1(VALU_DEP_1)
	v_and_b32_e32 v7, 0x7f, v0
	v_cmpx_ne_u32_e32 0x7f, v7
	s_cbranch_execz .LBB298_696
; %bb.693:                              ;   in Loop: Header=BB298_10 Depth=1
	v_dual_lshrrev_b32 v6, 3, v7 :: v_dual_bitop2_b32 v1, 7, v0 bitop3:0x40
	s_mov_b32 s18, exec_lo
	v_cmpx_gt_u32_e32 8, v7
; %bb.694:                              ;   in Loop: Header=BB298_10 Depth=1
	s_delay_alu instid0(VALU_DEP_2) | instskip(NEXT) | instid1(VALU_DEP_1)
	v_clz_i32_u32_e32 v1, v1
	v_min_u32_e32 v1, 32, v1
	s_delay_alu instid0(VALU_DEP_1) | instskip(NEXT) | instid1(VALU_DEP_1)
	v_subrev_nc_u32_e32 v6, 28, v1
	v_lshlrev_b64_e32 v[8:9], v6, v[24:25]
	s_delay_alu instid0(VALU_DEP_1)
	v_dual_sub_nc_u32 v6, 29, v1 :: v_dual_bitop2_b32 v1, 7, v8 bitop3:0x40
; %bb.695:                              ;   in Loop: Header=BB298_10 Depth=1
	s_or_b32 exec_lo, exec_lo, s18
	s_delay_alu instid0(VALU_DEP_1) | instskip(NEXT) | instid1(VALU_DEP_2)
	v_dual_lshlrev_b32 v0, 8, v0 :: v_dual_lshlrev_b32 v1, 23, v1
	v_lshl_add_u32 v6, v6, 10, 0x2000
	s_delay_alu instid0(VALU_DEP_1) | instskip(NEXT) | instid1(VALU_DEP_1)
	v_and_or_b32 v0, 0x8000, v0, v6
	v_lshl_or_b32 v110, v0, 16, v1
.LBB298_696:                            ;   in Loop: Header=BB298_10 Depth=1
	s_or_b32 exec_lo, exec_lo, s17
.LBB298_697:                            ;   in Loop: Header=BB298_10 Depth=1
	s_delay_alu instid0(SALU_CYCLE_1)
	s_or_b32 exec_lo, exec_lo, s16
.LBB298_698:                            ;   in Loop: Header=BB298_10 Depth=1
	s_delay_alu instid0(SALU_CYCLE_1) | instskip(SKIP_2) | instid1(VALU_DEP_1)
	s_or_b32 exec_lo, exec_lo, s15
	v_lshrrev_b32_e32 v8, 16, v5
	s_mov_b32 s15, exec_lo
	v_and_b32_e32 v0, 0xff, v8
	s_delay_alu instid0(VALU_DEP_1)
	v_cmpx_ne_u16_e32 0, v0
	s_cbranch_execz .LBB298_706
; %bb.699:                              ;   in Loop: Header=BB298_10 Depth=1
	v_mov_b32_e32 v109, 0x8000
	s_mov_b32 s16, exec_lo
	v_cmpx_ne_u16_e32 0x80, v0
	s_cbranch_execz .LBB298_705
; %bb.700:                              ;   in Loop: Header=BB298_10 Depth=1
	v_bfe_u32 v6, v5, 16, 7
	v_mov_b32_e32 v109, 0x7c01
	s_mov_b32 s17, exec_lo
	s_delay_alu instid0(VALU_DEP_2)
	v_cmpx_ne_u32_e32 0x7f, v6
	s_cbranch_execz .LBB298_704
; %bb.701:                              ;   in Loop: Header=BB298_10 Depth=1
	v_dual_lshrrev_b32 v1, 3, v6 :: v_dual_bitop2_b32 v0, 7, v8 bitop3:0x40
	s_mov_b32 s18, exec_lo
	v_cmpx_gt_u32_e32 8, v6
; %bb.702:                              ;   in Loop: Header=BB298_10 Depth=1
	s_delay_alu instid0(VALU_DEP_2) | instskip(NEXT) | instid1(VALU_DEP_1)
	v_clz_i32_u32_e32 v0, v0
	v_min_u32_e32 v6, 32, v0
	s_delay_alu instid0(VALU_DEP_1) | instskip(NEXT) | instid1(VALU_DEP_1)
	v_subrev_nc_u32_e32 v0, 28, v6
	v_lshlrev_b64_e32 v[0:1], v0, v[8:9]
	s_delay_alu instid0(VALU_DEP_1)
	v_dual_sub_nc_u32 v1, 29, v6 :: v_dual_bitop2_b32 v0, 7, v0 bitop3:0x40
; %bb.703:                              ;   in Loop: Header=BB298_10 Depth=1
	s_or_b32 exec_lo, exec_lo, s18
	v_lshlrev_b32_e32 v6, 8, v8
	s_delay_alu instid0(VALU_DEP_2) | instskip(NEXT) | instid1(VALU_DEP_3)
	v_lshl_add_u32 v1, v1, 10, 0x2000
	v_lshlrev_b32_e32 v0, 7, v0
	s_delay_alu instid0(VALU_DEP_3) | instskip(NEXT) | instid1(VALU_DEP_3)
	v_and_b32_e32 v6, 0x8000, v6
	v_and_b32_e32 v1, 0xfc00, v1
	s_delay_alu instid0(VALU_DEP_1)
	v_or3_b32 v109, v6, v1, v0
.LBB298_704:                            ;   in Loop: Header=BB298_10 Depth=1
	s_or_b32 exec_lo, exec_lo, s17
.LBB298_705:                            ;   in Loop: Header=BB298_10 Depth=1
	s_delay_alu instid0(SALU_CYCLE_1)
	s_or_b32 exec_lo, exec_lo, s16
.LBB298_706:                            ;   in Loop: Header=BB298_10 Depth=1
	s_delay_alu instid0(SALU_CYCLE_1)
	s_or_b32 exec_lo, exec_lo, s15
	v_dual_mov_b32 v29, 0 :: v_dual_mov_b32 v13, 0
	s_mov_b32 s15, exec_lo
	v_cmpx_lt_u64_e64 s[2:3], v[4:5]
	s_cbranch_execz .LBB298_714
; %bb.707:                              ;   in Loop: Header=BB298_10 Depth=1
	v_lshrrev_b32_e32 v24, 24, v5
	v_bfrev_b32_e32 v13, 1
	s_mov_b32 s16, exec_lo
	s_delay_alu instid0(VALU_DEP_2)
	v_cmpx_ne_u32_e32 0x80, v24
	s_cbranch_execz .LBB298_713
; %bb.708:                              ;   in Loop: Header=BB298_10 Depth=1
	v_and_b32_e32 v4, 0x7f, v24
	v_mov_b32_e32 v13, 0x7c010000
	s_mov_b32 s17, exec_lo
	s_delay_alu instid0(VALU_DEP_2)
	v_cmpx_ne_u32_e32 0x7f, v4
	s_cbranch_execz .LBB298_712
; %bb.709:                              ;   in Loop: Header=BB298_10 Depth=1
	v_and_b32_e32 v0, 7, v24
	v_lshrrev_b32_e32 v1, 3, v4
	s_mov_b32 s18, exec_lo
	v_cmpx_gt_u32_e32 8, v4
; %bb.710:                              ;   in Loop: Header=BB298_10 Depth=1
	s_delay_alu instid0(VALU_DEP_3) | instskip(NEXT) | instid1(VALU_DEP_1)
	v_clz_i32_u32_e32 v0, v0
	v_min_u32_e32 v4, 32, v0
	s_delay_alu instid0(VALU_DEP_1) | instskip(NEXT) | instid1(VALU_DEP_1)
	v_subrev_nc_u32_e32 v0, 28, v4
	v_lshlrev_b64_e32 v[0:1], v0, v[24:25]
	v_sub_nc_u32_e32 v1, 29, v4
	s_delay_alu instid0(VALU_DEP_2)
	v_and_b32_e32 v0, 7, v0
; %bb.711:                              ;   in Loop: Header=BB298_10 Depth=1
	s_or_b32 exec_lo, exec_lo, s18
	v_lshlrev_b32_e32 v4, 8, v24
	s_delay_alu instid0(VALU_DEP_3) | instskip(NEXT) | instid1(VALU_DEP_3)
	v_lshl_add_u32 v1, v1, 10, 0x2000
	v_lshlrev_b32_e32 v0, 23, v0
	s_delay_alu instid0(VALU_DEP_2) | instskip(NEXT) | instid1(VALU_DEP_1)
	v_and_or_b32 v1, 0x8000, v4, v1
	v_lshl_or_b32 v13, v1, 16, v0
.LBB298_712:                            ;   in Loop: Header=BB298_10 Depth=1
	s_or_b32 exec_lo, exec_lo, s17
.LBB298_713:                            ;   in Loop: Header=BB298_10 Depth=1
	s_delay_alu instid0(SALU_CYCLE_1)
	s_or_b32 exec_lo, exec_lo, s16
.LBB298_714:                            ;   in Loop: Header=BB298_10 Depth=1
	s_delay_alu instid0(SALU_CYCLE_1)
	s_or_b32 exec_lo, exec_lo, s15
	flat_load_b64 v[4:5], v[2:3] offset:2568
	s_mov_b32 s15, exec_lo
	s_wait_loadcnt_dscnt 0x0
	v_and_b32_e32 v0, 0xff, v4
	s_wait_xcnt 0x0
	s_delay_alu instid0(VALU_DEP_1)
	v_cmpx_ne_u16_e32 0, v0
	s_cbranch_execz .LBB298_722
; %bb.715:                              ;   in Loop: Header=BB298_10 Depth=1
	v_mov_b32_e32 v29, 0x8000
	s_mov_b32 s16, exec_lo
	v_cmpx_ne_u16_e32 0x80, v0
	s_cbranch_execz .LBB298_721
; %bb.716:                              ;   in Loop: Header=BB298_10 Depth=1
	v_and_b32_e32 v6, 0x7f, v4
	v_mov_b32_e32 v29, 0x7c01
	s_mov_b32 s17, exec_lo
	s_delay_alu instid0(VALU_DEP_2)
	v_cmpx_ne_u32_e32 0x7f, v6
	s_cbranch_execz .LBB298_720
; %bb.717:                              ;   in Loop: Header=BB298_10 Depth=1
	v_dual_lshrrev_b32 v1, 3, v6 :: v_dual_bitop2_b32 v0, 7, v4 bitop3:0x40
	s_mov_b32 s18, exec_lo
	v_cmpx_gt_u32_e32 8, v6
; %bb.718:                              ;   in Loop: Header=BB298_10 Depth=1
	s_delay_alu instid0(VALU_DEP_2) | instskip(NEXT) | instid1(VALU_DEP_1)
	v_clz_i32_u32_e32 v0, v0
	v_min_u32_e32 v6, 32, v0
	s_delay_alu instid0(VALU_DEP_1) | instskip(NEXT) | instid1(VALU_DEP_1)
	v_subrev_nc_u32_e32 v0, 28, v6
	v_lshlrev_b64_e32 v[0:1], v0, v[4:5]
	s_delay_alu instid0(VALU_DEP_1)
	v_dual_sub_nc_u32 v1, 29, v6 :: v_dual_bitop2_b32 v0, 7, v0 bitop3:0x40
; %bb.719:                              ;   in Loop: Header=BB298_10 Depth=1
	s_or_b32 exec_lo, exec_lo, s18
	v_lshlrev_b32_e32 v6, 8, v4
	s_delay_alu instid0(VALU_DEP_2) | instskip(NEXT) | instid1(VALU_DEP_3)
	v_lshl_add_u32 v1, v1, 10, 0x2000
	v_lshlrev_b32_e32 v0, 7, v0
	s_delay_alu instid0(VALU_DEP_3) | instskip(NEXT) | instid1(VALU_DEP_3)
	v_and_b32_e32 v6, 0x8000, v6
	v_and_b32_e32 v1, 0xfc00, v1
	s_delay_alu instid0(VALU_DEP_1)
	v_or3_b32 v29, v6, v1, v0
.LBB298_720:                            ;   in Loop: Header=BB298_10 Depth=1
	s_or_b32 exec_lo, exec_lo, s17
.LBB298_721:                            ;   in Loop: Header=BB298_10 Depth=1
	s_delay_alu instid0(SALU_CYCLE_1)
	s_or_b32 exec_lo, exec_lo, s16
.LBB298_722:                            ;   in Loop: Header=BB298_10 Depth=1
	s_delay_alu instid0(SALU_CYCLE_1) | instskip(SKIP_3) | instid1(VALU_DEP_2)
	s_or_b32 exec_lo, exec_lo, s15
	v_lshrrev_b16 v24, 8, v4
	v_dual_mov_b32 v14, 0 :: v_dual_mov_b32 v9, 0
	s_mov_b32 s15, exec_lo
	v_cmpx_ne_u16_e32 0, v24
	s_cbranch_execz .LBB298_730
; %bb.723:                              ;   in Loop: Header=BB298_10 Depth=1
	v_bfrev_b32_e32 v9, 1
	s_mov_b32 s16, exec_lo
	v_cmpx_ne_u16_e32 0x80, v24
	s_cbranch_execz .LBB298_729
; %bb.724:                              ;   in Loop: Header=BB298_10 Depth=1
	v_and_b32_e32 v0, 0xffff, v24
	v_mov_b32_e32 v9, 0x7c010000
	s_mov_b32 s17, exec_lo
	s_delay_alu instid0(VALU_DEP_2) | instskip(NEXT) | instid1(VALU_DEP_1)
	v_and_b32_e32 v7, 0x7f, v0
	v_cmpx_ne_u32_e32 0x7f, v7
	s_cbranch_execz .LBB298_728
; %bb.725:                              ;   in Loop: Header=BB298_10 Depth=1
	v_dual_lshrrev_b32 v6, 3, v7 :: v_dual_bitop2_b32 v1, 7, v0 bitop3:0x40
	s_mov_b32 s18, exec_lo
	v_cmpx_gt_u32_e32 8, v7
; %bb.726:                              ;   in Loop: Header=BB298_10 Depth=1
	s_delay_alu instid0(VALU_DEP_2) | instskip(NEXT) | instid1(VALU_DEP_1)
	v_clz_i32_u32_e32 v1, v1
	v_min_u32_e32 v1, 32, v1
	s_delay_alu instid0(VALU_DEP_1) | instskip(NEXT) | instid1(VALU_DEP_1)
	v_subrev_nc_u32_e32 v6, 28, v1
	v_lshlrev_b64_e32 v[8:9], v6, v[24:25]
	s_delay_alu instid0(VALU_DEP_1)
	v_dual_sub_nc_u32 v6, 29, v1 :: v_dual_bitop2_b32 v1, 7, v8 bitop3:0x40
; %bb.727:                              ;   in Loop: Header=BB298_10 Depth=1
	s_or_b32 exec_lo, exec_lo, s18
	s_delay_alu instid0(VALU_DEP_1) | instskip(NEXT) | instid1(VALU_DEP_2)
	v_dual_lshlrev_b32 v0, 8, v0 :: v_dual_lshlrev_b32 v1, 23, v1
	v_lshl_add_u32 v6, v6, 10, 0x2000
	s_delay_alu instid0(VALU_DEP_1) | instskip(NEXT) | instid1(VALU_DEP_1)
	v_and_or_b32 v0, 0x8000, v0, v6
	v_lshl_or_b32 v9, v0, 16, v1
.LBB298_728:                            ;   in Loop: Header=BB298_10 Depth=1
	s_or_b32 exec_lo, exec_lo, s17
.LBB298_729:                            ;   in Loop: Header=BB298_10 Depth=1
	s_delay_alu instid0(SALU_CYCLE_1)
	s_or_b32 exec_lo, exec_lo, s16
.LBB298_730:                            ;   in Loop: Header=BB298_10 Depth=1
	s_delay_alu instid0(SALU_CYCLE_1) | instskip(SKIP_2) | instid1(VALU_DEP_1)
	s_or_b32 exec_lo, exec_lo, s15
	v_lshrrev_b32_e32 v8, 16, v4
	s_mov_b32 s15, exec_lo
	v_and_b32_e32 v0, 0xff, v8
	s_delay_alu instid0(VALU_DEP_1)
	v_cmpx_ne_u16_e32 0, v0
	s_cbranch_execz .LBB298_738
; %bb.731:                              ;   in Loop: Header=BB298_10 Depth=1
	v_mov_b32_e32 v14, 0x8000
	s_mov_b32 s16, exec_lo
	v_cmpx_ne_u16_e32 0x80, v0
	s_cbranch_execz .LBB298_737
; %bb.732:                              ;   in Loop: Header=BB298_10 Depth=1
	v_bfe_u32 v6, v4, 16, 7
	v_mov_b32_e32 v14, 0x7c01
	s_mov_b32 s17, exec_lo
	s_delay_alu instid0(VALU_DEP_2)
	v_cmpx_ne_u32_e32 0x7f, v6
	s_cbranch_execz .LBB298_736
; %bb.733:                              ;   in Loop: Header=BB298_10 Depth=1
	v_dual_lshrrev_b32 v1, 3, v6 :: v_dual_bitop2_b32 v0, 7, v8 bitop3:0x40
	s_mov_b32 s18, exec_lo
	v_cmpx_gt_u32_e32 8, v6
; %bb.734:                              ;   in Loop: Header=BB298_10 Depth=1
	s_delay_alu instid0(VALU_DEP_2) | instskip(NEXT) | instid1(VALU_DEP_1)
	v_clz_i32_u32_e32 v0, v0
	v_min_u32_e32 v6, 32, v0
	s_delay_alu instid0(VALU_DEP_1) | instskip(NEXT) | instid1(VALU_DEP_1)
	v_subrev_nc_u32_e32 v0, 28, v6
	v_lshlrev_b64_e32 v[0:1], v0, v[8:9]
	s_delay_alu instid0(VALU_DEP_1)
	v_dual_sub_nc_u32 v1, 29, v6 :: v_dual_bitop2_b32 v0, 7, v0 bitop3:0x40
; %bb.735:                              ;   in Loop: Header=BB298_10 Depth=1
	s_or_b32 exec_lo, exec_lo, s18
	v_lshlrev_b32_e32 v6, 8, v8
	s_delay_alu instid0(VALU_DEP_2) | instskip(NEXT) | instid1(VALU_DEP_3)
	v_lshl_add_u32 v1, v1, 10, 0x2000
	v_lshlrev_b32_e32 v0, 7, v0
	s_delay_alu instid0(VALU_DEP_3) | instskip(NEXT) | instid1(VALU_DEP_3)
	v_and_b32_e32 v6, 0x8000, v6
	v_and_b32_e32 v1, 0xfc00, v1
	s_delay_alu instid0(VALU_DEP_1)
	v_or3_b32 v14, v6, v1, v0
.LBB298_736:                            ;   in Loop: Header=BB298_10 Depth=1
	s_or_b32 exec_lo, exec_lo, s17
.LBB298_737:                            ;   in Loop: Header=BB298_10 Depth=1
	s_delay_alu instid0(SALU_CYCLE_1)
	s_or_b32 exec_lo, exec_lo, s16
.LBB298_738:                            ;   in Loop: Header=BB298_10 Depth=1
	s_delay_alu instid0(SALU_CYCLE_1)
	s_or_b32 exec_lo, exec_lo, s15
	v_dual_mov_b32 v111, 0 :: v_dual_mov_b32 v127, 0
	s_mov_b32 s15, exec_lo
	v_cmpx_lt_u32_e32 0xffffff, v4
	s_cbranch_execz .LBB298_746
; %bb.739:                              ;   in Loop: Header=BB298_10 Depth=1
	v_lshrrev_b32_e32 v24, 24, v4
	v_bfrev_b32_e32 v127, 1
	s_mov_b32 s16, exec_lo
	s_delay_alu instid0(VALU_DEP_2)
	v_cmpx_ne_u32_e32 0x80, v24
	s_cbranch_execz .LBB298_745
; %bb.740:                              ;   in Loop: Header=BB298_10 Depth=1
	v_and_b32_e32 v6, 0x7f, v24
	v_mov_b32_e32 v127, 0x7c010000
	s_mov_b32 s17, exec_lo
	s_delay_alu instid0(VALU_DEP_2)
	v_cmpx_ne_u32_e32 0x7f, v6
	s_cbranch_execz .LBB298_744
; %bb.741:                              ;   in Loop: Header=BB298_10 Depth=1
	v_dual_lshrrev_b32 v1, 3, v6 :: v_dual_bitop2_b32 v0, 7, v24 bitop3:0x40
	s_mov_b32 s18, exec_lo
	v_cmpx_gt_u32_e32 8, v6
; %bb.742:                              ;   in Loop: Header=BB298_10 Depth=1
	s_delay_alu instid0(VALU_DEP_2) | instskip(NEXT) | instid1(VALU_DEP_1)
	v_clz_i32_u32_e32 v0, v0
	v_min_u32_e32 v6, 32, v0
	s_delay_alu instid0(VALU_DEP_1) | instskip(NEXT) | instid1(VALU_DEP_1)
	v_subrev_nc_u32_e32 v0, 28, v6
	v_lshlrev_b64_e32 v[0:1], v0, v[24:25]
	s_delay_alu instid0(VALU_DEP_1)
	v_dual_sub_nc_u32 v1, 29, v6 :: v_dual_bitop2_b32 v0, 7, v0 bitop3:0x40
; %bb.743:                              ;   in Loop: Header=BB298_10 Depth=1
	s_or_b32 exec_lo, exec_lo, s18
	v_lshlrev_b32_e32 v6, 8, v24
	s_delay_alu instid0(VALU_DEP_2) | instskip(NEXT) | instid1(VALU_DEP_3)
	v_lshl_add_u32 v1, v1, 10, 0x2000
	v_lshlrev_b32_e32 v0, 23, v0
	s_delay_alu instid0(VALU_DEP_2) | instskip(NEXT) | instid1(VALU_DEP_1)
	v_and_or_b32 v1, 0x8000, v6, v1
	v_lshl_or_b32 v127, v1, 16, v0
.LBB298_744:                            ;   in Loop: Header=BB298_10 Depth=1
	s_or_b32 exec_lo, exec_lo, s17
.LBB298_745:                            ;   in Loop: Header=BB298_10 Depth=1
	s_delay_alu instid0(SALU_CYCLE_1)
	s_or_b32 exec_lo, exec_lo, s16
.LBB298_746:                            ;   in Loop: Header=BB298_10 Depth=1
	s_delay_alu instid0(SALU_CYCLE_1) | instskip(SKIP_3) | instid1(VALU_DEP_2)
	s_or_b32 exec_lo, exec_lo, s15
	v_and_b32_e32 v0, 0xff, v5
	v_mov_b32_e32 v24, v5
	s_mov_b32 s15, exec_lo
	v_cmpx_ne_u16_e32 0, v0
	s_cbranch_execz .LBB298_754
; %bb.747:                              ;   in Loop: Header=BB298_10 Depth=1
	v_mov_b32_e32 v111, 0x8000
	s_mov_b32 s16, exec_lo
	v_cmpx_ne_u16_e32 0x80, v0
	s_cbranch_execz .LBB298_753
; %bb.748:                              ;   in Loop: Header=BB298_10 Depth=1
	v_and_b32_e32 v6, 0x7f, v5
	v_mov_b32_e32 v111, 0x7c01
	s_mov_b32 s17, exec_lo
	s_delay_alu instid0(VALU_DEP_2)
	v_cmpx_ne_u32_e32 0x7f, v6
	s_cbranch_execz .LBB298_752
; %bb.749:                              ;   in Loop: Header=BB298_10 Depth=1
	v_dual_lshrrev_b32 v1, 3, v6 :: v_dual_bitop2_b32 v0, 7, v5 bitop3:0x40
	s_mov_b32 s18, exec_lo
	v_cmpx_gt_u32_e32 8, v6
; %bb.750:                              ;   in Loop: Header=BB298_10 Depth=1
	s_delay_alu instid0(VALU_DEP_2) | instskip(NEXT) | instid1(VALU_DEP_1)
	v_clz_i32_u32_e32 v0, v0
	v_min_u32_e32 v6, 32, v0
	s_delay_alu instid0(VALU_DEP_1) | instskip(NEXT) | instid1(VALU_DEP_1)
	v_subrev_nc_u32_e32 v0, 28, v6
	v_lshlrev_b64_e32 v[0:1], v0, v[24:25]
	s_delay_alu instid0(VALU_DEP_1)
	v_dual_sub_nc_u32 v1, 29, v6 :: v_dual_bitop2_b32 v0, 7, v0 bitop3:0x40
; %bb.751:                              ;   in Loop: Header=BB298_10 Depth=1
	s_or_b32 exec_lo, exec_lo, s18
	s_delay_alu instid0(VALU_DEP_1) | instskip(NEXT) | instid1(VALU_DEP_2)
	v_dual_lshlrev_b32 v6, 8, v5 :: v_dual_lshlrev_b32 v0, 7, v0
	v_lshl_add_u32 v1, v1, 10, 0x2000
	s_delay_alu instid0(VALU_DEP_2) | instskip(NEXT) | instid1(VALU_DEP_2)
	v_and_b32_e32 v6, 0x8000, v6
	v_and_b32_e32 v1, 0xfc00, v1
	s_delay_alu instid0(VALU_DEP_1)
	v_or3_b32 v111, v6, v1, v0
.LBB298_752:                            ;   in Loop: Header=BB298_10 Depth=1
	s_or_b32 exec_lo, exec_lo, s17
.LBB298_753:                            ;   in Loop: Header=BB298_10 Depth=1
	s_delay_alu instid0(SALU_CYCLE_1)
	s_or_b32 exec_lo, exec_lo, s16
.LBB298_754:                            ;   in Loop: Header=BB298_10 Depth=1
	s_delay_alu instid0(SALU_CYCLE_1) | instskip(SKIP_3) | instid1(VALU_DEP_2)
	s_or_b32 exec_lo, exec_lo, s15
	v_lshrrev_b16 v24, 8, v24
	v_dual_mov_b32 v16, 0 :: v_dual_mov_b32 v20, 0
	s_mov_b32 s15, exec_lo
	v_cmpx_ne_u16_e32 0, v24
	s_cbranch_execz .LBB298_762
; %bb.755:                              ;   in Loop: Header=BB298_10 Depth=1
	v_bfrev_b32_e32 v20, 1
	s_mov_b32 s16, exec_lo
	v_cmpx_ne_u16_e32 0x80, v24
	s_cbranch_execz .LBB298_761
; %bb.756:                              ;   in Loop: Header=BB298_10 Depth=1
	v_and_b32_e32 v0, 0xffff, v24
	v_mov_b32_e32 v20, 0x7c010000
	s_mov_b32 s17, exec_lo
	s_delay_alu instid0(VALU_DEP_2) | instskip(NEXT) | instid1(VALU_DEP_1)
	v_and_b32_e32 v7, 0x7f, v0
	v_cmpx_ne_u32_e32 0x7f, v7
	s_cbranch_execz .LBB298_760
; %bb.757:                              ;   in Loop: Header=BB298_10 Depth=1
	v_dual_lshrrev_b32 v6, 3, v7 :: v_dual_bitop2_b32 v1, 7, v0 bitop3:0x40
	s_mov_b32 s18, exec_lo
	v_cmpx_gt_u32_e32 8, v7
; %bb.758:                              ;   in Loop: Header=BB298_10 Depth=1
	s_delay_alu instid0(VALU_DEP_2) | instskip(NEXT) | instid1(VALU_DEP_1)
	v_clz_i32_u32_e32 v1, v1
	v_min_u32_e32 v1, 32, v1
	s_delay_alu instid0(VALU_DEP_1) | instskip(NEXT) | instid1(VALU_DEP_1)
	v_subrev_nc_u32_e32 v6, 28, v1
	v_lshlrev_b64_e32 v[10:11], v6, v[24:25]
	s_delay_alu instid0(VALU_DEP_1)
	v_dual_sub_nc_u32 v6, 29, v1 :: v_dual_bitop2_b32 v1, 7, v10 bitop3:0x40
; %bb.759:                              ;   in Loop: Header=BB298_10 Depth=1
	s_or_b32 exec_lo, exec_lo, s18
	s_delay_alu instid0(VALU_DEP_1) | instskip(NEXT) | instid1(VALU_DEP_2)
	v_dual_lshlrev_b32 v0, 8, v0 :: v_dual_lshlrev_b32 v1, 23, v1
	v_lshl_add_u32 v6, v6, 10, 0x2000
	s_delay_alu instid0(VALU_DEP_1) | instskip(NEXT) | instid1(VALU_DEP_1)
	v_and_or_b32 v0, 0x8000, v0, v6
	v_lshl_or_b32 v20, v0, 16, v1
.LBB298_760:                            ;   in Loop: Header=BB298_10 Depth=1
	s_or_b32 exec_lo, exec_lo, s17
.LBB298_761:                            ;   in Loop: Header=BB298_10 Depth=1
	s_delay_alu instid0(SALU_CYCLE_1)
	s_or_b32 exec_lo, exec_lo, s16
.LBB298_762:                            ;   in Loop: Header=BB298_10 Depth=1
	s_delay_alu instid0(SALU_CYCLE_1) | instskip(SKIP_2) | instid1(VALU_DEP_1)
	s_or_b32 exec_lo, exec_lo, s15
	v_lshrrev_b32_e32 v8, 16, v5
	s_mov_b32 s15, exec_lo
	v_and_b32_e32 v0, 0xff, v8
	s_delay_alu instid0(VALU_DEP_1)
	v_cmpx_ne_u16_e32 0, v0
	s_cbranch_execz .LBB298_770
; %bb.763:                              ;   in Loop: Header=BB298_10 Depth=1
	v_mov_b32_e32 v16, 0x8000
	s_mov_b32 s16, exec_lo
	v_cmpx_ne_u16_e32 0x80, v0
	s_cbranch_execz .LBB298_769
; %bb.764:                              ;   in Loop: Header=BB298_10 Depth=1
	v_bfe_u32 v6, v5, 16, 7
	v_mov_b32_e32 v16, 0x7c01
	s_mov_b32 s17, exec_lo
	s_delay_alu instid0(VALU_DEP_2)
	v_cmpx_ne_u32_e32 0x7f, v6
	s_cbranch_execz .LBB298_768
; %bb.765:                              ;   in Loop: Header=BB298_10 Depth=1
	v_dual_lshrrev_b32 v1, 3, v6 :: v_dual_bitop2_b32 v0, 7, v8 bitop3:0x40
	s_mov_b32 s18, exec_lo
	v_cmpx_gt_u32_e32 8, v6
; %bb.766:                              ;   in Loop: Header=BB298_10 Depth=1
	s_delay_alu instid0(VALU_DEP_2) | instskip(NEXT) | instid1(VALU_DEP_1)
	v_clz_i32_u32_e32 v0, v0
	v_min_u32_e32 v6, 32, v0
	s_delay_alu instid0(VALU_DEP_1) | instskip(NEXT) | instid1(VALU_DEP_1)
	v_subrev_nc_u32_e32 v0, 28, v6
	v_lshlrev_b64_e32 v[0:1], v0, v[8:9]
	s_delay_alu instid0(VALU_DEP_1)
	v_dual_sub_nc_u32 v1, 29, v6 :: v_dual_bitop2_b32 v0, 7, v0 bitop3:0x40
; %bb.767:                              ;   in Loop: Header=BB298_10 Depth=1
	s_or_b32 exec_lo, exec_lo, s18
	v_lshlrev_b32_e32 v6, 8, v8
	s_delay_alu instid0(VALU_DEP_2) | instskip(NEXT) | instid1(VALU_DEP_3)
	v_lshl_add_u32 v1, v1, 10, 0x2000
	v_lshlrev_b32_e32 v0, 7, v0
	s_delay_alu instid0(VALU_DEP_3) | instskip(NEXT) | instid1(VALU_DEP_3)
	v_and_b32_e32 v6, 0x8000, v6
	v_and_b32_e32 v1, 0xfc00, v1
	s_delay_alu instid0(VALU_DEP_1)
	v_or3_b32 v16, v6, v1, v0
.LBB298_768:                            ;   in Loop: Header=BB298_10 Depth=1
	s_or_b32 exec_lo, exec_lo, s17
.LBB298_769:                            ;   in Loop: Header=BB298_10 Depth=1
	s_delay_alu instid0(SALU_CYCLE_1)
	s_or_b32 exec_lo, exec_lo, s16
.LBB298_770:                            ;   in Loop: Header=BB298_10 Depth=1
	s_delay_alu instid0(SALU_CYCLE_1)
	s_or_b32 exec_lo, exec_lo, s15
	v_dual_mov_b32 v21, 0 :: v_dual_mov_b32 v0, 0
	s_mov_b32 s15, exec_lo
	scratch_store_b32 off, v0, s32 offset:248 ; 4-byte Folded Spill
	s_wait_xcnt 0x0
	v_cmpx_lt_u64_e64 s[2:3], v[4:5]
	s_cbranch_execz .LBB298_778
; %bb.771:                              ;   in Loop: Header=BB298_10 Depth=1
	v_lshrrev_b32_e32 v24, 24, v5
	v_bfrev_b32_e32 v0, 1
	s_mov_b32 s16, exec_lo
	s_delay_alu instid0(VALU_DEP_2)
	v_cmpx_ne_u32_e32 0x80, v24
	s_cbranch_execz .LBB298_777
; %bb.772:                              ;   in Loop: Header=BB298_10 Depth=1
	v_and_b32_e32 v4, 0x7f, v24
	v_mov_b32_e32 v0, 0x7c010000
	s_mov_b32 s17, exec_lo
	s_delay_alu instid0(VALU_DEP_2)
	v_cmpx_ne_u32_e32 0x7f, v4
	s_cbranch_execz .LBB298_776
; %bb.773:                              ;   in Loop: Header=BB298_10 Depth=1
	v_and_b32_e32 v0, 7, v24
	v_lshrrev_b32_e32 v1, 3, v4
	s_mov_b32 s18, exec_lo
	v_cmpx_gt_u32_e32 8, v4
; %bb.774:                              ;   in Loop: Header=BB298_10 Depth=1
	s_delay_alu instid0(VALU_DEP_3) | instskip(NEXT) | instid1(VALU_DEP_1)
	v_clz_i32_u32_e32 v0, v0
	v_min_u32_e32 v4, 32, v0
	s_delay_alu instid0(VALU_DEP_1) | instskip(NEXT) | instid1(VALU_DEP_1)
	v_subrev_nc_u32_e32 v0, 28, v4
	v_lshlrev_b64_e32 v[0:1], v0, v[24:25]
	v_sub_nc_u32_e32 v1, 29, v4
	s_delay_alu instid0(VALU_DEP_2)
	v_and_b32_e32 v0, 7, v0
; %bb.775:                              ;   in Loop: Header=BB298_10 Depth=1
	s_or_b32 exec_lo, exec_lo, s18
	v_lshlrev_b32_e32 v4, 8, v24
	s_delay_alu instid0(VALU_DEP_3) | instskip(NEXT) | instid1(VALU_DEP_3)
	v_lshl_add_u32 v1, v1, 10, 0x2000
	v_lshlrev_b32_e32 v0, 23, v0
	s_delay_alu instid0(VALU_DEP_2) | instskip(NEXT) | instid1(VALU_DEP_1)
	v_and_or_b32 v1, 0x8000, v4, v1
	v_lshl_or_b32 v0, v1, 16, v0
.LBB298_776:                            ;   in Loop: Header=BB298_10 Depth=1
	s_or_b32 exec_lo, exec_lo, s17
.LBB298_777:                            ;   in Loop: Header=BB298_10 Depth=1
	s_delay_alu instid0(SALU_CYCLE_1)
	s_or_b32 exec_lo, exec_lo, s16
	scratch_store_b32 off, v0, s32 offset:248 ; 4-byte Folded Spill
.LBB298_778:                            ;   in Loop: Header=BB298_10 Depth=1
	s_wait_xcnt 0x0
	s_or_b32 exec_lo, exec_lo, s15
	flat_load_b64 v[4:5], v[2:3] offset:3072
	s_mov_b32 s15, exec_lo
	s_wait_loadcnt_dscnt 0x0
	v_and_b32_e32 v0, 0xff, v4
	s_wait_xcnt 0x0
	s_delay_alu instid0(VALU_DEP_1)
	v_cmpx_ne_u16_e32 0, v0
	s_cbranch_execz .LBB298_786
; %bb.779:                              ;   in Loop: Header=BB298_10 Depth=1
	v_mov_b32_e32 v21, 0x8000
	s_mov_b32 s16, exec_lo
	v_cmpx_ne_u16_e32 0x80, v0
	s_cbranch_execz .LBB298_785
; %bb.780:                              ;   in Loop: Header=BB298_10 Depth=1
	v_and_b32_e32 v6, 0x7f, v4
	v_mov_b32_e32 v21, 0x7c01
	s_mov_b32 s17, exec_lo
	s_delay_alu instid0(VALU_DEP_2)
	v_cmpx_ne_u32_e32 0x7f, v6
	s_cbranch_execz .LBB298_784
; %bb.781:                              ;   in Loop: Header=BB298_10 Depth=1
	v_dual_lshrrev_b32 v1, 3, v6 :: v_dual_bitop2_b32 v0, 7, v4 bitop3:0x40
	s_mov_b32 s18, exec_lo
	v_cmpx_gt_u32_e32 8, v6
; %bb.782:                              ;   in Loop: Header=BB298_10 Depth=1
	s_delay_alu instid0(VALU_DEP_2) | instskip(NEXT) | instid1(VALU_DEP_1)
	v_clz_i32_u32_e32 v0, v0
	v_min_u32_e32 v6, 32, v0
	s_delay_alu instid0(VALU_DEP_1) | instskip(NEXT) | instid1(VALU_DEP_1)
	v_subrev_nc_u32_e32 v0, 28, v6
	v_lshlrev_b64_e32 v[0:1], v0, v[4:5]
	s_delay_alu instid0(VALU_DEP_1)
	v_dual_sub_nc_u32 v1, 29, v6 :: v_dual_bitop2_b32 v0, 7, v0 bitop3:0x40
; %bb.783:                              ;   in Loop: Header=BB298_10 Depth=1
	s_or_b32 exec_lo, exec_lo, s18
	v_lshlrev_b32_e32 v6, 8, v4
	s_delay_alu instid0(VALU_DEP_2) | instskip(NEXT) | instid1(VALU_DEP_3)
	v_lshl_add_u32 v1, v1, 10, 0x2000
	v_lshlrev_b32_e32 v0, 7, v0
	s_delay_alu instid0(VALU_DEP_3) | instskip(NEXT) | instid1(VALU_DEP_3)
	v_and_b32_e32 v6, 0x8000, v6
	v_and_b32_e32 v1, 0xfc00, v1
	s_delay_alu instid0(VALU_DEP_1)
	v_or3_b32 v21, v6, v1, v0
.LBB298_784:                            ;   in Loop: Header=BB298_10 Depth=1
	s_or_b32 exec_lo, exec_lo, s17
.LBB298_785:                            ;   in Loop: Header=BB298_10 Depth=1
	s_delay_alu instid0(SALU_CYCLE_1)
	s_or_b32 exec_lo, exec_lo, s16
.LBB298_786:                            ;   in Loop: Header=BB298_10 Depth=1
	s_delay_alu instid0(SALU_CYCLE_1) | instskip(SKIP_3) | instid1(VALU_DEP_2)
	s_or_b32 exec_lo, exec_lo, s15
	v_lshrrev_b16 v24, 8, v4
	v_dual_mov_b32 v26, 0 :: v_dual_mov_b32 v27, 0
	s_mov_b32 s15, exec_lo
	v_cmpx_ne_u16_e32 0, v24
	s_cbranch_execz .LBB298_794
; %bb.787:                              ;   in Loop: Header=BB298_10 Depth=1
	v_bfrev_b32_e32 v27, 1
	s_mov_b32 s16, exec_lo
	v_cmpx_ne_u16_e32 0x80, v24
	s_cbranch_execz .LBB298_793
; %bb.788:                              ;   in Loop: Header=BB298_10 Depth=1
	v_and_b32_e32 v0, 0xffff, v24
	v_mov_b32_e32 v27, 0x7c010000
	s_mov_b32 s17, exec_lo
	s_delay_alu instid0(VALU_DEP_2) | instskip(NEXT) | instid1(VALU_DEP_1)
	v_and_b32_e32 v7, 0x7f, v0
	v_cmpx_ne_u32_e32 0x7f, v7
	s_cbranch_execz .LBB298_792
; %bb.789:                              ;   in Loop: Header=BB298_10 Depth=1
	v_dual_lshrrev_b32 v6, 3, v7 :: v_dual_bitop2_b32 v1, 7, v0 bitop3:0x40
	s_mov_b32 s18, exec_lo
	v_cmpx_gt_u32_e32 8, v7
; %bb.790:                              ;   in Loop: Header=BB298_10 Depth=1
	s_delay_alu instid0(VALU_DEP_2) | instskip(NEXT) | instid1(VALU_DEP_1)
	v_clz_i32_u32_e32 v1, v1
	v_min_u32_e32 v1, 32, v1
	s_delay_alu instid0(VALU_DEP_1) | instskip(NEXT) | instid1(VALU_DEP_1)
	v_subrev_nc_u32_e32 v6, 28, v1
	v_lshlrev_b64_e32 v[10:11], v6, v[24:25]
	s_delay_alu instid0(VALU_DEP_1)
	v_dual_sub_nc_u32 v6, 29, v1 :: v_dual_bitop2_b32 v1, 7, v10 bitop3:0x40
; %bb.791:                              ;   in Loop: Header=BB298_10 Depth=1
	s_or_b32 exec_lo, exec_lo, s18
	s_delay_alu instid0(VALU_DEP_1) | instskip(NEXT) | instid1(VALU_DEP_2)
	v_dual_lshlrev_b32 v0, 8, v0 :: v_dual_lshlrev_b32 v1, 23, v1
	v_lshl_add_u32 v6, v6, 10, 0x2000
	s_delay_alu instid0(VALU_DEP_1) | instskip(NEXT) | instid1(VALU_DEP_1)
	v_and_or_b32 v0, 0x8000, v0, v6
	v_lshl_or_b32 v27, v0, 16, v1
.LBB298_792:                            ;   in Loop: Header=BB298_10 Depth=1
	s_or_b32 exec_lo, exec_lo, s17
.LBB298_793:                            ;   in Loop: Header=BB298_10 Depth=1
	s_delay_alu instid0(SALU_CYCLE_1)
	s_or_b32 exec_lo, exec_lo, s16
.LBB298_794:                            ;   in Loop: Header=BB298_10 Depth=1
	s_delay_alu instid0(SALU_CYCLE_1) | instskip(SKIP_2) | instid1(VALU_DEP_1)
	s_or_b32 exec_lo, exec_lo, s15
	v_lshrrev_b32_e32 v8, 16, v4
	s_mov_b32 s15, exec_lo
	v_and_b32_e32 v0, 0xff, v8
	s_delay_alu instid0(VALU_DEP_1)
	v_cmpx_ne_u16_e32 0, v0
	s_cbranch_execz .LBB298_802
; %bb.795:                              ;   in Loop: Header=BB298_10 Depth=1
	v_mov_b32_e32 v26, 0x8000
	s_mov_b32 s16, exec_lo
	v_cmpx_ne_u16_e32 0x80, v0
	s_cbranch_execz .LBB298_801
; %bb.796:                              ;   in Loop: Header=BB298_10 Depth=1
	v_bfe_u32 v6, v4, 16, 7
	v_mov_b32_e32 v26, 0x7c01
	s_mov_b32 s17, exec_lo
	s_delay_alu instid0(VALU_DEP_2)
	v_cmpx_ne_u32_e32 0x7f, v6
	s_cbranch_execz .LBB298_800
; %bb.797:                              ;   in Loop: Header=BB298_10 Depth=1
	v_dual_lshrrev_b32 v1, 3, v6 :: v_dual_bitop2_b32 v0, 7, v8 bitop3:0x40
	s_mov_b32 s18, exec_lo
	v_cmpx_gt_u32_e32 8, v6
; %bb.798:                              ;   in Loop: Header=BB298_10 Depth=1
	s_delay_alu instid0(VALU_DEP_2) | instskip(NEXT) | instid1(VALU_DEP_1)
	v_clz_i32_u32_e32 v0, v0
	v_min_u32_e32 v6, 32, v0
	s_delay_alu instid0(VALU_DEP_1) | instskip(NEXT) | instid1(VALU_DEP_1)
	v_subrev_nc_u32_e32 v0, 28, v6
	v_lshlrev_b64_e32 v[0:1], v0, v[8:9]
	s_delay_alu instid0(VALU_DEP_1)
	v_dual_sub_nc_u32 v1, 29, v6 :: v_dual_bitop2_b32 v0, 7, v0 bitop3:0x40
; %bb.799:                              ;   in Loop: Header=BB298_10 Depth=1
	s_or_b32 exec_lo, exec_lo, s18
	v_lshlrev_b32_e32 v6, 8, v8
	s_delay_alu instid0(VALU_DEP_2) | instskip(NEXT) | instid1(VALU_DEP_3)
	v_lshl_add_u32 v1, v1, 10, 0x2000
	v_lshlrev_b32_e32 v0, 7, v0
	s_delay_alu instid0(VALU_DEP_3) | instskip(NEXT) | instid1(VALU_DEP_3)
	v_and_b32_e32 v6, 0x8000, v6
	v_and_b32_e32 v1, 0xfc00, v1
	s_delay_alu instid0(VALU_DEP_1)
	v_or3_b32 v26, v6, v1, v0
.LBB298_800:                            ;   in Loop: Header=BB298_10 Depth=1
	s_or_b32 exec_lo, exec_lo, s17
.LBB298_801:                            ;   in Loop: Header=BB298_10 Depth=1
	s_delay_alu instid0(SALU_CYCLE_1)
	s_or_b32 exec_lo, exec_lo, s16
.LBB298_802:                            ;   in Loop: Header=BB298_10 Depth=1
	s_delay_alu instid0(SALU_CYCLE_1)
	s_or_b32 exec_lo, exec_lo, s15
	v_dual_mov_b32 v34, 0 :: v_dual_mov_b32 v35, 0
	s_mov_b32 s15, exec_lo
	v_cmpx_lt_u32_e32 0xffffff, v4
	s_cbranch_execz .LBB298_810
; %bb.803:                              ;   in Loop: Header=BB298_10 Depth=1
	v_lshrrev_b32_e32 v24, 24, v4
	v_bfrev_b32_e32 v35, 1
	s_mov_b32 s16, exec_lo
	s_delay_alu instid0(VALU_DEP_2)
	v_cmpx_ne_u32_e32 0x80, v24
	s_cbranch_execz .LBB298_809
; %bb.804:                              ;   in Loop: Header=BB298_10 Depth=1
	v_and_b32_e32 v6, 0x7f, v24
	v_mov_b32_e32 v35, 0x7c010000
	s_mov_b32 s17, exec_lo
	s_delay_alu instid0(VALU_DEP_2)
	v_cmpx_ne_u32_e32 0x7f, v6
	s_cbranch_execz .LBB298_808
; %bb.805:                              ;   in Loop: Header=BB298_10 Depth=1
	v_dual_lshrrev_b32 v1, 3, v6 :: v_dual_bitop2_b32 v0, 7, v24 bitop3:0x40
	s_mov_b32 s18, exec_lo
	v_cmpx_gt_u32_e32 8, v6
; %bb.806:                              ;   in Loop: Header=BB298_10 Depth=1
	s_delay_alu instid0(VALU_DEP_2) | instskip(NEXT) | instid1(VALU_DEP_1)
	v_clz_i32_u32_e32 v0, v0
	v_min_u32_e32 v6, 32, v0
	s_delay_alu instid0(VALU_DEP_1) | instskip(NEXT) | instid1(VALU_DEP_1)
	v_subrev_nc_u32_e32 v0, 28, v6
	v_lshlrev_b64_e32 v[0:1], v0, v[24:25]
	s_delay_alu instid0(VALU_DEP_1)
	v_dual_sub_nc_u32 v1, 29, v6 :: v_dual_bitop2_b32 v0, 7, v0 bitop3:0x40
; %bb.807:                              ;   in Loop: Header=BB298_10 Depth=1
	s_or_b32 exec_lo, exec_lo, s18
	v_lshlrev_b32_e32 v6, 8, v24
	s_delay_alu instid0(VALU_DEP_2) | instskip(NEXT) | instid1(VALU_DEP_3)
	v_lshl_add_u32 v1, v1, 10, 0x2000
	v_lshlrev_b32_e32 v0, 23, v0
	s_delay_alu instid0(VALU_DEP_2) | instskip(NEXT) | instid1(VALU_DEP_1)
	v_and_or_b32 v1, 0x8000, v6, v1
	v_lshl_or_b32 v35, v1, 16, v0
.LBB298_808:                            ;   in Loop: Header=BB298_10 Depth=1
	s_or_b32 exec_lo, exec_lo, s17
.LBB298_809:                            ;   in Loop: Header=BB298_10 Depth=1
	s_delay_alu instid0(SALU_CYCLE_1)
	s_or_b32 exec_lo, exec_lo, s16
.LBB298_810:                            ;   in Loop: Header=BB298_10 Depth=1
	s_delay_alu instid0(SALU_CYCLE_1) | instskip(SKIP_3) | instid1(VALU_DEP_2)
	s_or_b32 exec_lo, exec_lo, s15
	v_and_b32_e32 v0, 0xff, v5
	v_mov_b32_e32 v24, v5
	s_mov_b32 s15, exec_lo
	v_cmpx_ne_u16_e32 0, v0
	s_cbranch_execz .LBB298_818
; %bb.811:                              ;   in Loop: Header=BB298_10 Depth=1
	v_mov_b32_e32 v34, 0x8000
	s_mov_b32 s16, exec_lo
	v_cmpx_ne_u16_e32 0x80, v0
	s_cbranch_execz .LBB298_817
; %bb.812:                              ;   in Loop: Header=BB298_10 Depth=1
	v_and_b32_e32 v6, 0x7f, v5
	v_mov_b32_e32 v34, 0x7c01
	s_mov_b32 s17, exec_lo
	s_delay_alu instid0(VALU_DEP_2)
	v_cmpx_ne_u32_e32 0x7f, v6
	s_cbranch_execz .LBB298_816
; %bb.813:                              ;   in Loop: Header=BB298_10 Depth=1
	v_dual_lshrrev_b32 v1, 3, v6 :: v_dual_bitop2_b32 v0, 7, v5 bitop3:0x40
	s_mov_b32 s18, exec_lo
	v_cmpx_gt_u32_e32 8, v6
; %bb.814:                              ;   in Loop: Header=BB298_10 Depth=1
	s_delay_alu instid0(VALU_DEP_2) | instskip(NEXT) | instid1(VALU_DEP_1)
	v_clz_i32_u32_e32 v0, v0
	v_min_u32_e32 v6, 32, v0
	s_delay_alu instid0(VALU_DEP_1) | instskip(NEXT) | instid1(VALU_DEP_1)
	v_subrev_nc_u32_e32 v0, 28, v6
	v_lshlrev_b64_e32 v[0:1], v0, v[24:25]
	s_delay_alu instid0(VALU_DEP_1)
	v_dual_sub_nc_u32 v1, 29, v6 :: v_dual_bitop2_b32 v0, 7, v0 bitop3:0x40
; %bb.815:                              ;   in Loop: Header=BB298_10 Depth=1
	s_or_b32 exec_lo, exec_lo, s18
	s_delay_alu instid0(VALU_DEP_1) | instskip(NEXT) | instid1(VALU_DEP_2)
	v_dual_lshlrev_b32 v6, 8, v5 :: v_dual_lshlrev_b32 v0, 7, v0
	v_lshl_add_u32 v1, v1, 10, 0x2000
	s_delay_alu instid0(VALU_DEP_2) | instskip(NEXT) | instid1(VALU_DEP_2)
	v_and_b32_e32 v6, 0x8000, v6
	v_and_b32_e32 v1, 0xfc00, v1
	s_delay_alu instid0(VALU_DEP_1)
	v_or3_b32 v34, v6, v1, v0
.LBB298_816:                            ;   in Loop: Header=BB298_10 Depth=1
	s_or_b32 exec_lo, exec_lo, s17
.LBB298_817:                            ;   in Loop: Header=BB298_10 Depth=1
	s_delay_alu instid0(SALU_CYCLE_1)
	s_or_b32 exec_lo, exec_lo, s16
.LBB298_818:                            ;   in Loop: Header=BB298_10 Depth=1
	s_delay_alu instid0(SALU_CYCLE_1)
	s_or_b32 exec_lo, exec_lo, s15
	v_mov_b32_e32 v0, 0
	v_lshrrev_b16 v24, 8, v24
	s_mov_b32 s15, exec_lo
	scratch_store_b32 off, v0, s32 offset:200 ; 4-byte Folded Spill
	s_wait_xcnt 0x0
	v_mov_b32_e32 v0, 0
	scratch_store_b32 off, v0, s32 offset:204 ; 4-byte Folded Spill
	s_wait_xcnt 0x0
	v_cmpx_ne_u16_e32 0, v24
	s_cbranch_execz .LBB298_826
; %bb.819:                              ;   in Loop: Header=BB298_10 Depth=1
	v_bfrev_b32_e32 v0, 1
	s_mov_b32 s16, exec_lo
	scratch_store_b32 off, v0, s32 offset:204 ; 4-byte Folded Spill
	s_wait_xcnt 0x0
	v_cmpx_ne_u16_e32 0x80, v24
	s_cbranch_execz .LBB298_825
; %bb.820:                              ;   in Loop: Header=BB298_10 Depth=1
	v_and_b32_e32 v0, 0xffff, v24
	v_mov_b32_e32 v1, 0x7c010000
	s_mov_b32 s17, exec_lo
	s_delay_alu instid0(VALU_DEP_2)
	v_and_b32_e32 v7, 0x7f, v0
	scratch_store_b32 off, v1, s32 offset:204 ; 4-byte Folded Spill
	s_wait_xcnt 0x0
	v_cmpx_ne_u32_e32 0x7f, v7
	s_cbranch_execz .LBB298_824
; %bb.821:                              ;   in Loop: Header=BB298_10 Depth=1
	v_dual_lshrrev_b32 v6, 3, v7 :: v_dual_bitop2_b32 v1, 7, v0 bitop3:0x40
	s_mov_b32 s18, exec_lo
	v_cmpx_gt_u32_e32 8, v7
; %bb.822:                              ;   in Loop: Header=BB298_10 Depth=1
	s_delay_alu instid0(VALU_DEP_2) | instskip(NEXT) | instid1(VALU_DEP_1)
	v_clz_i32_u32_e32 v1, v1
	v_min_u32_e32 v1, 32, v1
	s_delay_alu instid0(VALU_DEP_1) | instskip(NEXT) | instid1(VALU_DEP_1)
	v_subrev_nc_u32_e32 v6, 28, v1
	v_lshlrev_b64_e32 v[10:11], v6, v[24:25]
	s_delay_alu instid0(VALU_DEP_1)
	v_dual_sub_nc_u32 v6, 29, v1 :: v_dual_bitop2_b32 v1, 7, v10 bitop3:0x40
; %bb.823:                              ;   in Loop: Header=BB298_10 Depth=1
	s_or_b32 exec_lo, exec_lo, s18
	s_delay_alu instid0(VALU_DEP_1) | instskip(NEXT) | instid1(VALU_DEP_2)
	v_dual_lshlrev_b32 v0, 8, v0 :: v_dual_lshlrev_b32 v1, 23, v1
	v_lshl_add_u32 v6, v6, 10, 0x2000
	s_delay_alu instid0(VALU_DEP_1) | instskip(NEXT) | instid1(VALU_DEP_1)
	v_and_or_b32 v0, 0x8000, v0, v6
	v_lshl_or_b32 v0, v0, 16, v1
	scratch_store_b32 off, v0, s32 offset:204 ; 4-byte Folded Spill
.LBB298_824:                            ;   in Loop: Header=BB298_10 Depth=1
	s_wait_xcnt 0x0
	s_or_b32 exec_lo, exec_lo, s17
.LBB298_825:                            ;   in Loop: Header=BB298_10 Depth=1
	s_delay_alu instid0(SALU_CYCLE_1)
	s_or_b32 exec_lo, exec_lo, s16
.LBB298_826:                            ;   in Loop: Header=BB298_10 Depth=1
	s_delay_alu instid0(SALU_CYCLE_1) | instskip(SKIP_2) | instid1(VALU_DEP_1)
	s_or_b32 exec_lo, exec_lo, s15
	v_lshrrev_b32_e32 v8, 16, v5
	s_mov_b32 s15, exec_lo
	v_and_b32_e32 v0, 0xff, v8
	s_delay_alu instid0(VALU_DEP_1)
	v_cmpx_ne_u16_e32 0, v0
	s_cbranch_execz .LBB298_834
; %bb.827:                              ;   in Loop: Header=BB298_10 Depth=1
	v_cmp_ne_u16_e64 s1, 0x80, v0
	v_mov_b32_e32 v0, 0x8000
	scratch_store_b32 off, v0, s32 offset:200 ; 4-byte Folded Spill
	s_wait_xcnt 0x0
	s_and_saveexec_b32 s16, s1
	s_cbranch_execz .LBB298_833
; %bb.828:                              ;   in Loop: Header=BB298_10 Depth=1
	v_bfe_u32 v6, v5, 16, 7
	v_mov_b32_e32 v0, 0x7c01
	s_mov_b32 s17, exec_lo
	scratch_store_b32 off, v0, s32 offset:200 ; 4-byte Folded Spill
	s_wait_xcnt 0x0
	v_cmpx_ne_u32_e32 0x7f, v6
	s_cbranch_execz .LBB298_832
; %bb.829:                              ;   in Loop: Header=BB298_10 Depth=1
	v_dual_lshrrev_b32 v1, 3, v6 :: v_dual_bitop2_b32 v0, 7, v8 bitop3:0x40
	s_mov_b32 s18, exec_lo
	v_cmpx_gt_u32_e32 8, v6
; %bb.830:                              ;   in Loop: Header=BB298_10 Depth=1
	s_delay_alu instid0(VALU_DEP_2) | instskip(NEXT) | instid1(VALU_DEP_1)
	v_clz_i32_u32_e32 v0, v0
	v_min_u32_e32 v6, 32, v0
	s_delay_alu instid0(VALU_DEP_1) | instskip(NEXT) | instid1(VALU_DEP_1)
	v_subrev_nc_u32_e32 v0, 28, v6
	v_lshlrev_b64_e32 v[0:1], v0, v[8:9]
	s_delay_alu instid0(VALU_DEP_1)
	v_dual_sub_nc_u32 v1, 29, v6 :: v_dual_bitop2_b32 v0, 7, v0 bitop3:0x40
; %bb.831:                              ;   in Loop: Header=BB298_10 Depth=1
	s_or_b32 exec_lo, exec_lo, s18
	v_lshlrev_b32_e32 v6, 8, v8
	s_delay_alu instid0(VALU_DEP_2) | instskip(NEXT) | instid1(VALU_DEP_3)
	v_lshl_add_u32 v1, v1, 10, 0x2000
	v_lshlrev_b32_e32 v0, 7, v0
	s_delay_alu instid0(VALU_DEP_3) | instskip(NEXT) | instid1(VALU_DEP_3)
	v_and_b32_e32 v6, 0x8000, v6
	v_and_b32_e32 v1, 0xfc00, v1
	s_delay_alu instid0(VALU_DEP_1)
	v_or3_b32 v0, v6, v1, v0
	scratch_store_b32 off, v0, s32 offset:200 ; 4-byte Folded Spill
.LBB298_832:                            ;   in Loop: Header=BB298_10 Depth=1
	s_wait_xcnt 0x0
	s_or_b32 exec_lo, exec_lo, s17
.LBB298_833:                            ;   in Loop: Header=BB298_10 Depth=1
	s_delay_alu instid0(SALU_CYCLE_1)
	s_or_b32 exec_lo, exec_lo, s16
.LBB298_834:                            ;   in Loop: Header=BB298_10 Depth=1
	s_delay_alu instid0(SALU_CYCLE_1)
	s_or_b32 exec_lo, exec_lo, s15
	v_mov_b32_e32 v0, 0
	s_mov_b32 s15, exec_lo
	scratch_store_b32 off, v0, s32 offset:208 ; 4-byte Folded Spill
	s_wait_xcnt 0x0
	v_mov_b32_e32 v0, 0
	scratch_store_b32 off, v0, s32 offset:252 ; 4-byte Folded Spill
	s_wait_xcnt 0x0
	v_cmpx_lt_u64_e64 s[2:3], v[4:5]
	s_cbranch_execz .LBB298_842
; %bb.835:                              ;   in Loop: Header=BB298_10 Depth=1
	v_lshrrev_b32_e32 v24, 24, v5
	v_bfrev_b32_e32 v0, 1
	s_mov_b32 s16, exec_lo
	s_delay_alu instid0(VALU_DEP_2)
	v_cmpx_ne_u32_e32 0x80, v24
	s_cbranch_execz .LBB298_841
; %bb.836:                              ;   in Loop: Header=BB298_10 Depth=1
	v_and_b32_e32 v4, 0x7f, v24
	v_mov_b32_e32 v0, 0x7c010000
	s_mov_b32 s17, exec_lo
	s_delay_alu instid0(VALU_DEP_2)
	v_cmpx_ne_u32_e32 0x7f, v4
	s_cbranch_execz .LBB298_840
; %bb.837:                              ;   in Loop: Header=BB298_10 Depth=1
	v_and_b32_e32 v0, 7, v24
	v_lshrrev_b32_e32 v1, 3, v4
	s_mov_b32 s18, exec_lo
	v_cmpx_gt_u32_e32 8, v4
; %bb.838:                              ;   in Loop: Header=BB298_10 Depth=1
	s_delay_alu instid0(VALU_DEP_3) | instskip(NEXT) | instid1(VALU_DEP_1)
	v_clz_i32_u32_e32 v0, v0
	v_min_u32_e32 v4, 32, v0
	s_delay_alu instid0(VALU_DEP_1) | instskip(NEXT) | instid1(VALU_DEP_1)
	v_subrev_nc_u32_e32 v0, 28, v4
	v_lshlrev_b64_e32 v[0:1], v0, v[24:25]
	v_sub_nc_u32_e32 v1, 29, v4
	s_delay_alu instid0(VALU_DEP_2)
	v_and_b32_e32 v0, 7, v0
; %bb.839:                              ;   in Loop: Header=BB298_10 Depth=1
	s_or_b32 exec_lo, exec_lo, s18
	v_lshlrev_b32_e32 v4, 8, v24
	s_delay_alu instid0(VALU_DEP_3) | instskip(NEXT) | instid1(VALU_DEP_3)
	v_lshl_add_u32 v1, v1, 10, 0x2000
	v_lshlrev_b32_e32 v0, 23, v0
	s_delay_alu instid0(VALU_DEP_2) | instskip(NEXT) | instid1(VALU_DEP_1)
	v_and_or_b32 v1, 0x8000, v4, v1
	v_lshl_or_b32 v0, v1, 16, v0
.LBB298_840:                            ;   in Loop: Header=BB298_10 Depth=1
	s_or_b32 exec_lo, exec_lo, s17
.LBB298_841:                            ;   in Loop: Header=BB298_10 Depth=1
	s_delay_alu instid0(SALU_CYCLE_1)
	s_or_b32 exec_lo, exec_lo, s16
	scratch_store_b32 off, v0, s32 offset:252 ; 4-byte Folded Spill
.LBB298_842:                            ;   in Loop: Header=BB298_10 Depth=1
	s_wait_xcnt 0x0
	s_or_b32 exec_lo, exec_lo, s15
	flat_load_b64 v[4:5], v[2:3] offset:3080
	s_mov_b32 s15, exec_lo
	s_wait_loadcnt_dscnt 0x0
	v_and_b32_e32 v0, 0xff, v4
	s_wait_xcnt 0x0
	s_delay_alu instid0(VALU_DEP_1)
	v_cmpx_ne_u16_e32 0, v0
	s_cbranch_execz .LBB298_850
; %bb.843:                              ;   in Loop: Header=BB298_10 Depth=1
	v_cmp_ne_u16_e64 s1, 0x80, v0
	v_mov_b32_e32 v0, 0x8000
	scratch_store_b32 off, v0, s32 offset:208 ; 4-byte Folded Spill
	s_wait_xcnt 0x0
	s_and_saveexec_b32 s16, s1
	s_cbranch_execz .LBB298_849
; %bb.844:                              ;   in Loop: Header=BB298_10 Depth=1
	v_and_b32_e32 v6, 0x7f, v4
	v_mov_b32_e32 v0, 0x7c01
	s_mov_b32 s17, exec_lo
	scratch_store_b32 off, v0, s32 offset:208 ; 4-byte Folded Spill
	s_wait_xcnt 0x0
	v_cmpx_ne_u32_e32 0x7f, v6
	s_cbranch_execz .LBB298_848
; %bb.845:                              ;   in Loop: Header=BB298_10 Depth=1
	v_dual_lshrrev_b32 v1, 3, v6 :: v_dual_bitop2_b32 v0, 7, v4 bitop3:0x40
	s_mov_b32 s18, exec_lo
	v_cmpx_gt_u32_e32 8, v6
; %bb.846:                              ;   in Loop: Header=BB298_10 Depth=1
	s_delay_alu instid0(VALU_DEP_2) | instskip(NEXT) | instid1(VALU_DEP_1)
	v_clz_i32_u32_e32 v0, v0
	v_min_u32_e32 v6, 32, v0
	s_delay_alu instid0(VALU_DEP_1) | instskip(NEXT) | instid1(VALU_DEP_1)
	v_subrev_nc_u32_e32 v0, 28, v6
	v_lshlrev_b64_e32 v[0:1], v0, v[4:5]
	s_delay_alu instid0(VALU_DEP_1)
	v_dual_sub_nc_u32 v1, 29, v6 :: v_dual_bitop2_b32 v0, 7, v0 bitop3:0x40
; %bb.847:                              ;   in Loop: Header=BB298_10 Depth=1
	s_or_b32 exec_lo, exec_lo, s18
	v_lshlrev_b32_e32 v6, 8, v4
	s_delay_alu instid0(VALU_DEP_2) | instskip(NEXT) | instid1(VALU_DEP_3)
	v_lshl_add_u32 v1, v1, 10, 0x2000
	v_lshlrev_b32_e32 v0, 7, v0
	s_delay_alu instid0(VALU_DEP_3) | instskip(NEXT) | instid1(VALU_DEP_3)
	v_and_b32_e32 v6, 0x8000, v6
	v_and_b32_e32 v1, 0xfc00, v1
	s_delay_alu instid0(VALU_DEP_1)
	v_or3_b32 v0, v6, v1, v0
	scratch_store_b32 off, v0, s32 offset:208 ; 4-byte Folded Spill
.LBB298_848:                            ;   in Loop: Header=BB298_10 Depth=1
	s_wait_xcnt 0x0
	s_or_b32 exec_lo, exec_lo, s17
.LBB298_849:                            ;   in Loop: Header=BB298_10 Depth=1
	s_delay_alu instid0(SALU_CYCLE_1)
	s_or_b32 exec_lo, exec_lo, s16
.LBB298_850:                            ;   in Loop: Header=BB298_10 Depth=1
	s_delay_alu instid0(SALU_CYCLE_1)
	s_or_b32 exec_lo, exec_lo, s15
	v_mov_b32_e32 v0, 0
	v_lshrrev_b16 v24, 8, v4
	s_mov_b32 s15, exec_lo
	scratch_store_b32 off, v0, s32 offset:212 ; 4-byte Folded Spill
	s_wait_xcnt 0x0
	v_mov_b32_e32 v0, 0
	scratch_store_b32 off, v0, s32 offset:216 ; 4-byte Folded Spill
	s_wait_xcnt 0x0
	v_cmpx_ne_u16_e32 0, v24
	s_cbranch_execz .LBB298_858
; %bb.851:                              ;   in Loop: Header=BB298_10 Depth=1
	v_bfrev_b32_e32 v0, 1
	s_mov_b32 s16, exec_lo
	scratch_store_b32 off, v0, s32 offset:216 ; 4-byte Folded Spill
	s_wait_xcnt 0x0
	v_cmpx_ne_u16_e32 0x80, v24
	s_cbranch_execz .LBB298_857
; %bb.852:                              ;   in Loop: Header=BB298_10 Depth=1
	v_and_b32_e32 v0, 0xffff, v24
	v_mov_b32_e32 v1, 0x7c010000
	s_mov_b32 s17, exec_lo
	s_delay_alu instid0(VALU_DEP_2)
	v_and_b32_e32 v7, 0x7f, v0
	scratch_store_b32 off, v1, s32 offset:216 ; 4-byte Folded Spill
	s_wait_xcnt 0x0
	v_cmpx_ne_u32_e32 0x7f, v7
	s_cbranch_execz .LBB298_856
; %bb.853:                              ;   in Loop: Header=BB298_10 Depth=1
	v_dual_lshrrev_b32 v6, 3, v7 :: v_dual_bitop2_b32 v1, 7, v0 bitop3:0x40
	s_mov_b32 s18, exec_lo
	v_cmpx_gt_u32_e32 8, v7
; %bb.854:                              ;   in Loop: Header=BB298_10 Depth=1
	s_delay_alu instid0(VALU_DEP_2) | instskip(NEXT) | instid1(VALU_DEP_1)
	v_clz_i32_u32_e32 v1, v1
	v_min_u32_e32 v1, 32, v1
	s_delay_alu instid0(VALU_DEP_1) | instskip(NEXT) | instid1(VALU_DEP_1)
	v_subrev_nc_u32_e32 v6, 28, v1
	v_lshlrev_b64_e32 v[10:11], v6, v[24:25]
	s_delay_alu instid0(VALU_DEP_1)
	v_dual_sub_nc_u32 v6, 29, v1 :: v_dual_bitop2_b32 v1, 7, v10 bitop3:0x40
; %bb.855:                              ;   in Loop: Header=BB298_10 Depth=1
	s_or_b32 exec_lo, exec_lo, s18
	s_delay_alu instid0(VALU_DEP_1) | instskip(NEXT) | instid1(VALU_DEP_2)
	v_dual_lshlrev_b32 v0, 8, v0 :: v_dual_lshlrev_b32 v1, 23, v1
	v_lshl_add_u32 v6, v6, 10, 0x2000
	s_delay_alu instid0(VALU_DEP_1) | instskip(NEXT) | instid1(VALU_DEP_1)
	v_and_or_b32 v0, 0x8000, v0, v6
	v_lshl_or_b32 v0, v0, 16, v1
	scratch_store_b32 off, v0, s32 offset:216 ; 4-byte Folded Spill
.LBB298_856:                            ;   in Loop: Header=BB298_10 Depth=1
	s_wait_xcnt 0x0
	s_or_b32 exec_lo, exec_lo, s17
.LBB298_857:                            ;   in Loop: Header=BB298_10 Depth=1
	s_delay_alu instid0(SALU_CYCLE_1)
	s_or_b32 exec_lo, exec_lo, s16
.LBB298_858:                            ;   in Loop: Header=BB298_10 Depth=1
	s_delay_alu instid0(SALU_CYCLE_1) | instskip(SKIP_2) | instid1(VALU_DEP_1)
	s_or_b32 exec_lo, exec_lo, s15
	v_lshrrev_b32_e32 v8, 16, v4
	s_mov_b32 s15, exec_lo
	v_and_b32_e32 v0, 0xff, v8
	s_delay_alu instid0(VALU_DEP_1)
	v_cmpx_ne_u16_e32 0, v0
	s_cbranch_execz .LBB298_866
; %bb.859:                              ;   in Loop: Header=BB298_10 Depth=1
	v_cmp_ne_u16_e64 s1, 0x80, v0
	v_mov_b32_e32 v0, 0x8000
	scratch_store_b32 off, v0, s32 offset:212 ; 4-byte Folded Spill
	s_wait_xcnt 0x0
	s_and_saveexec_b32 s16, s1
	s_cbranch_execz .LBB298_865
; %bb.860:                              ;   in Loop: Header=BB298_10 Depth=1
	v_bfe_u32 v6, v4, 16, 7
	v_mov_b32_e32 v0, 0x7c01
	s_mov_b32 s17, exec_lo
	scratch_store_b32 off, v0, s32 offset:212 ; 4-byte Folded Spill
	s_wait_xcnt 0x0
	v_cmpx_ne_u32_e32 0x7f, v6
	s_cbranch_execz .LBB298_864
; %bb.861:                              ;   in Loop: Header=BB298_10 Depth=1
	v_dual_lshrrev_b32 v1, 3, v6 :: v_dual_bitop2_b32 v0, 7, v8 bitop3:0x40
	s_mov_b32 s18, exec_lo
	v_cmpx_gt_u32_e32 8, v6
; %bb.862:                              ;   in Loop: Header=BB298_10 Depth=1
	s_delay_alu instid0(VALU_DEP_2) | instskip(NEXT) | instid1(VALU_DEP_1)
	v_clz_i32_u32_e32 v0, v0
	v_min_u32_e32 v6, 32, v0
	s_delay_alu instid0(VALU_DEP_1) | instskip(NEXT) | instid1(VALU_DEP_1)
	v_subrev_nc_u32_e32 v0, 28, v6
	v_lshlrev_b64_e32 v[0:1], v0, v[8:9]
	s_delay_alu instid0(VALU_DEP_1)
	v_dual_sub_nc_u32 v1, 29, v6 :: v_dual_bitop2_b32 v0, 7, v0 bitop3:0x40
; %bb.863:                              ;   in Loop: Header=BB298_10 Depth=1
	s_or_b32 exec_lo, exec_lo, s18
	v_lshlrev_b32_e32 v6, 8, v8
	s_delay_alu instid0(VALU_DEP_2) | instskip(NEXT) | instid1(VALU_DEP_3)
	v_lshl_add_u32 v1, v1, 10, 0x2000
	v_lshlrev_b32_e32 v0, 7, v0
	s_delay_alu instid0(VALU_DEP_3) | instskip(NEXT) | instid1(VALU_DEP_3)
	v_and_b32_e32 v6, 0x8000, v6
	v_and_b32_e32 v1, 0xfc00, v1
	s_delay_alu instid0(VALU_DEP_1)
	v_or3_b32 v0, v6, v1, v0
	scratch_store_b32 off, v0, s32 offset:212 ; 4-byte Folded Spill
.LBB298_864:                            ;   in Loop: Header=BB298_10 Depth=1
	s_wait_xcnt 0x0
	s_or_b32 exec_lo, exec_lo, s17
.LBB298_865:                            ;   in Loop: Header=BB298_10 Depth=1
	s_delay_alu instid0(SALU_CYCLE_1)
	s_or_b32 exec_lo, exec_lo, s16
.LBB298_866:                            ;   in Loop: Header=BB298_10 Depth=1
	s_delay_alu instid0(SALU_CYCLE_1)
	s_or_b32 exec_lo, exec_lo, s15
	v_mov_b32_e32 v0, 0
	s_mov_b32 s15, exec_lo
	scratch_store_b32 off, v0, s32 offset:220 ; 4-byte Folded Spill
	s_wait_xcnt 0x0
	v_mov_b32_e32 v0, 0
	scratch_store_b32 off, v0, s32 offset:224 ; 4-byte Folded Spill
	s_wait_xcnt 0x0
	v_cmpx_lt_u32_e32 0xffffff, v4
	s_cbranch_execz .LBB298_874
; %bb.867:                              ;   in Loop: Header=BB298_10 Depth=1
	v_lshrrev_b32_e32 v24, 24, v4
	v_bfrev_b32_e32 v0, 1
	s_mov_b32 s16, exec_lo
	scratch_store_b32 off, v0, s32 offset:224 ; 4-byte Folded Spill
	s_wait_xcnt 0x0
	v_cmpx_ne_u32_e32 0x80, v24
	s_cbranch_execz .LBB298_873
; %bb.868:                              ;   in Loop: Header=BB298_10 Depth=1
	v_and_b32_e32 v6, 0x7f, v24
	v_mov_b32_e32 v0, 0x7c010000
	s_mov_b32 s17, exec_lo
	scratch_store_b32 off, v0, s32 offset:224 ; 4-byte Folded Spill
	s_wait_xcnt 0x0
	v_cmpx_ne_u32_e32 0x7f, v6
	s_cbranch_execz .LBB298_872
; %bb.869:                              ;   in Loop: Header=BB298_10 Depth=1
	v_dual_lshrrev_b32 v1, 3, v6 :: v_dual_bitop2_b32 v0, 7, v24 bitop3:0x40
	s_mov_b32 s18, exec_lo
	v_cmpx_gt_u32_e32 8, v6
; %bb.870:                              ;   in Loop: Header=BB298_10 Depth=1
	s_delay_alu instid0(VALU_DEP_2) | instskip(NEXT) | instid1(VALU_DEP_1)
	v_clz_i32_u32_e32 v0, v0
	v_min_u32_e32 v6, 32, v0
	s_delay_alu instid0(VALU_DEP_1) | instskip(NEXT) | instid1(VALU_DEP_1)
	v_subrev_nc_u32_e32 v0, 28, v6
	v_lshlrev_b64_e32 v[0:1], v0, v[24:25]
	s_delay_alu instid0(VALU_DEP_1)
	v_dual_sub_nc_u32 v1, 29, v6 :: v_dual_bitop2_b32 v0, 7, v0 bitop3:0x40
; %bb.871:                              ;   in Loop: Header=BB298_10 Depth=1
	s_or_b32 exec_lo, exec_lo, s18
	v_lshlrev_b32_e32 v6, 8, v24
	s_delay_alu instid0(VALU_DEP_2) | instskip(NEXT) | instid1(VALU_DEP_3)
	v_lshl_add_u32 v1, v1, 10, 0x2000
	v_lshlrev_b32_e32 v0, 23, v0
	s_delay_alu instid0(VALU_DEP_2) | instskip(NEXT) | instid1(VALU_DEP_1)
	v_and_or_b32 v1, 0x8000, v6, v1
	v_lshl_or_b32 v0, v1, 16, v0
	scratch_store_b32 off, v0, s32 offset:224 ; 4-byte Folded Spill
.LBB298_872:                            ;   in Loop: Header=BB298_10 Depth=1
	s_wait_xcnt 0x0
	s_or_b32 exec_lo, exec_lo, s17
.LBB298_873:                            ;   in Loop: Header=BB298_10 Depth=1
	s_delay_alu instid0(SALU_CYCLE_1)
	s_or_b32 exec_lo, exec_lo, s16
.LBB298_874:                            ;   in Loop: Header=BB298_10 Depth=1
	s_delay_alu instid0(SALU_CYCLE_1) | instskip(SKIP_3) | instid1(VALU_DEP_2)
	s_or_b32 exec_lo, exec_lo, s15
	v_and_b32_e32 v0, 0xff, v5
	v_mov_b32_e32 v24, v5
	s_mov_b32 s15, exec_lo
	v_cmpx_ne_u16_e32 0, v0
	s_cbranch_execz .LBB298_882
; %bb.875:                              ;   in Loop: Header=BB298_10 Depth=1
	v_cmp_ne_u16_e64 s1, 0x80, v0
	v_mov_b32_e32 v0, 0x8000
	scratch_store_b32 off, v0, s32 offset:220 ; 4-byte Folded Spill
	s_wait_xcnt 0x0
	s_and_saveexec_b32 s16, s1
	s_cbranch_execz .LBB298_881
; %bb.876:                              ;   in Loop: Header=BB298_10 Depth=1
	v_and_b32_e32 v6, 0x7f, v5
	v_mov_b32_e32 v0, 0x7c01
	s_mov_b32 s17, exec_lo
	scratch_store_b32 off, v0, s32 offset:220 ; 4-byte Folded Spill
	s_wait_xcnt 0x0
	v_cmpx_ne_u32_e32 0x7f, v6
	s_cbranch_execz .LBB298_880
; %bb.877:                              ;   in Loop: Header=BB298_10 Depth=1
	v_dual_lshrrev_b32 v1, 3, v6 :: v_dual_bitop2_b32 v0, 7, v5 bitop3:0x40
	s_mov_b32 s18, exec_lo
	v_cmpx_gt_u32_e32 8, v6
; %bb.878:                              ;   in Loop: Header=BB298_10 Depth=1
	s_delay_alu instid0(VALU_DEP_2) | instskip(NEXT) | instid1(VALU_DEP_1)
	v_clz_i32_u32_e32 v0, v0
	v_min_u32_e32 v6, 32, v0
	s_delay_alu instid0(VALU_DEP_1) | instskip(NEXT) | instid1(VALU_DEP_1)
	v_subrev_nc_u32_e32 v0, 28, v6
	v_lshlrev_b64_e32 v[0:1], v0, v[24:25]
	s_delay_alu instid0(VALU_DEP_1)
	v_dual_sub_nc_u32 v1, 29, v6 :: v_dual_bitop2_b32 v0, 7, v0 bitop3:0x40
; %bb.879:                              ;   in Loop: Header=BB298_10 Depth=1
	s_or_b32 exec_lo, exec_lo, s18
	s_delay_alu instid0(VALU_DEP_1) | instskip(NEXT) | instid1(VALU_DEP_2)
	v_dual_lshlrev_b32 v6, 8, v5 :: v_dual_lshlrev_b32 v0, 7, v0
	v_lshl_add_u32 v1, v1, 10, 0x2000
	s_delay_alu instid0(VALU_DEP_2) | instskip(NEXT) | instid1(VALU_DEP_2)
	v_and_b32_e32 v6, 0x8000, v6
	v_and_b32_e32 v1, 0xfc00, v1
	s_delay_alu instid0(VALU_DEP_1)
	v_or3_b32 v0, v6, v1, v0
	scratch_store_b32 off, v0, s32 offset:220 ; 4-byte Folded Spill
.LBB298_880:                            ;   in Loop: Header=BB298_10 Depth=1
	s_wait_xcnt 0x0
	s_or_b32 exec_lo, exec_lo, s17
.LBB298_881:                            ;   in Loop: Header=BB298_10 Depth=1
	s_delay_alu instid0(SALU_CYCLE_1)
	s_or_b32 exec_lo, exec_lo, s16
.LBB298_882:                            ;   in Loop: Header=BB298_10 Depth=1
	s_delay_alu instid0(SALU_CYCLE_1)
	s_or_b32 exec_lo, exec_lo, s15
	v_lshrrev_b16 v24, 8, v24
	v_dual_mov_b32 v0, 0 :: v_dual_mov_b32 v7, 0
	s_mov_b32 s15, exec_lo
	scratch_store_b32 off, v0, s32 offset:228 ; 4-byte Folded Spill
	s_wait_xcnt 0x0
	v_cmpx_ne_u16_e32 0, v24
	s_cbranch_execz .LBB298_890
; %bb.883:                              ;   in Loop: Header=BB298_10 Depth=1
	v_bfrev_b32_e32 v7, 1
	s_mov_b32 s16, exec_lo
	v_cmpx_ne_u16_e32 0x80, v24
	s_cbranch_execz .LBB298_889
; %bb.884:                              ;   in Loop: Header=BB298_10 Depth=1
	v_and_b32_e32 v1, 0xffff, v24
	v_mov_b32_e32 v7, 0x7c010000
	s_mov_b32 s17, exec_lo
	s_delay_alu instid0(VALU_DEP_2) | instskip(NEXT) | instid1(VALU_DEP_1)
	v_and_b32_e32 v8, 0x7f, v1
	v_cmpx_ne_u32_e32 0x7f, v8
	s_cbranch_execz .LBB298_888
; %bb.885:                              ;   in Loop: Header=BB298_10 Depth=1
	v_dual_lshrrev_b32 v7, 3, v8 :: v_dual_bitop2_b32 v6, 7, v1 bitop3:0x40
	s_mov_b32 s18, exec_lo
	v_cmpx_gt_u32_e32 8, v8
; %bb.886:                              ;   in Loop: Header=BB298_10 Depth=1
	s_delay_alu instid0(VALU_DEP_2) | instskip(NEXT) | instid1(VALU_DEP_1)
	v_clz_i32_u32_e32 v0, v6
	v_min_u32_e32 v0, 32, v0
	s_delay_alu instid0(VALU_DEP_1) | instskip(NEXT) | instid1(VALU_DEP_1)
	v_subrev_nc_u32_e32 v6, 28, v0
	v_lshlrev_b64_e32 v[6:7], v6, v[24:25]
	s_delay_alu instid0(VALU_DEP_1)
	v_dual_sub_nc_u32 v7, 29, v0 :: v_dual_bitop2_b32 v6, 7, v6 bitop3:0x40
; %bb.887:                              ;   in Loop: Header=BB298_10 Depth=1
	s_or_b32 exec_lo, exec_lo, s18
	v_lshlrev_b32_e32 v0, 8, v1
	s_delay_alu instid0(VALU_DEP_2) | instskip(NEXT) | instid1(VALU_DEP_1)
	v_lshl_add_u32 v1, v7, 10, 0x2000
	v_and_or_b32 v0, 0x8000, v0, v1
	v_lshlrev_b32_e32 v1, 23, v6
	s_delay_alu instid0(VALU_DEP_1)
	v_lshl_or_b32 v7, v0, 16, v1
.LBB298_888:                            ;   in Loop: Header=BB298_10 Depth=1
	s_or_b32 exec_lo, exec_lo, s17
.LBB298_889:                            ;   in Loop: Header=BB298_10 Depth=1
	s_delay_alu instid0(SALU_CYCLE_1)
	s_or_b32 exec_lo, exec_lo, s16
.LBB298_890:                            ;   in Loop: Header=BB298_10 Depth=1
	s_delay_alu instid0(SALU_CYCLE_1) | instskip(SKIP_2) | instid1(VALU_DEP_1)
	s_or_b32 exec_lo, exec_lo, s15
	v_lshrrev_b32_e32 v8, 16, v5
	s_mov_b32 s15, exec_lo
	v_and_b32_e32 v1, 0xff, v8
	s_delay_alu instid0(VALU_DEP_1)
	v_cmpx_ne_u16_e32 0, v1
	s_cbranch_execz .LBB298_898
; %bb.891:                              ;   in Loop: Header=BB298_10 Depth=1
	v_mov_b32_e32 v0, 0x8000
	s_mov_b32 s16, exec_lo
	scratch_store_b32 off, v0, s32 offset:228 ; 4-byte Folded Spill
	s_wait_xcnt 0x0
	v_cmpx_ne_u16_e32 0x80, v1
	s_cbranch_execz .LBB298_897
; %bb.892:                              ;   in Loop: Header=BB298_10 Depth=1
	v_bfe_u32 v6, v5, 16, 7
	v_mov_b32_e32 v0, 0x7c01
	s_mov_b32 s17, exec_lo
	scratch_store_b32 off, v0, s32 offset:228 ; 4-byte Folded Spill
	s_wait_xcnt 0x0
	v_cmpx_ne_u32_e32 0x7f, v6
	s_cbranch_execz .LBB298_896
; %bb.893:                              ;   in Loop: Header=BB298_10 Depth=1
	v_dual_lshrrev_b32 v1, 3, v6 :: v_dual_bitop2_b32 v0, 7, v8 bitop3:0x40
	s_mov_b32 s18, exec_lo
	v_cmpx_gt_u32_e32 8, v6
; %bb.894:                              ;   in Loop: Header=BB298_10 Depth=1
	s_delay_alu instid0(VALU_DEP_2) | instskip(NEXT) | instid1(VALU_DEP_1)
	v_clz_i32_u32_e32 v0, v0
	v_min_u32_e32 v6, 32, v0
	s_delay_alu instid0(VALU_DEP_1) | instskip(NEXT) | instid1(VALU_DEP_1)
	v_subrev_nc_u32_e32 v0, 28, v6
	v_lshlrev_b64_e32 v[0:1], v0, v[8:9]
	s_delay_alu instid0(VALU_DEP_1)
	v_dual_sub_nc_u32 v1, 29, v6 :: v_dual_bitop2_b32 v0, 7, v0 bitop3:0x40
; %bb.895:                              ;   in Loop: Header=BB298_10 Depth=1
	s_or_b32 exec_lo, exec_lo, s18
	v_lshlrev_b32_e32 v6, 8, v8
	s_delay_alu instid0(VALU_DEP_2) | instskip(NEXT) | instid1(VALU_DEP_3)
	v_lshl_add_u32 v1, v1, 10, 0x2000
	v_lshlrev_b32_e32 v0, 7, v0
	s_delay_alu instid0(VALU_DEP_3) | instskip(NEXT) | instid1(VALU_DEP_3)
	v_and_b32_e32 v6, 0x8000, v6
	v_and_b32_e32 v1, 0xfc00, v1
	s_delay_alu instid0(VALU_DEP_1)
	v_or3_b32 v0, v6, v1, v0
	scratch_store_b32 off, v0, s32 offset:228 ; 4-byte Folded Spill
.LBB298_896:                            ;   in Loop: Header=BB298_10 Depth=1
	s_wait_xcnt 0x0
	s_or_b32 exec_lo, exec_lo, s17
.LBB298_897:                            ;   in Loop: Header=BB298_10 Depth=1
	s_delay_alu instid0(SALU_CYCLE_1)
	s_or_b32 exec_lo, exec_lo, s16
.LBB298_898:                            ;   in Loop: Header=BB298_10 Depth=1
	s_delay_alu instid0(SALU_CYCLE_1)
	s_or_b32 exec_lo, exec_lo, s15
	v_dual_mov_b32 v0, 0 :: v_dual_mov_b32 v17, 0
	s_mov_b32 s15, exec_lo
	scratch_store_b32 off, v0, s32 offset:232 ; 4-byte Folded Spill
	s_wait_xcnt 0x0
	v_cmpx_lt_u64_e64 s[2:3], v[4:5]
	s_cbranch_execz .LBB298_906
; %bb.899:                              ;   in Loop: Header=BB298_10 Depth=1
	v_lshrrev_b32_e32 v24, 24, v5
	v_bfrev_b32_e32 v17, 1
	s_mov_b32 s16, exec_lo
	s_delay_alu instid0(VALU_DEP_2)
	v_cmpx_ne_u32_e32 0x80, v24
	s_cbranch_execz .LBB298_905
; %bb.900:                              ;   in Loop: Header=BB298_10 Depth=1
	v_and_b32_e32 v5, 0x7f, v24
	v_mov_b32_e32 v17, 0x7c010000
	s_mov_b32 s17, exec_lo
	s_delay_alu instid0(VALU_DEP_2)
	v_cmpx_ne_u32_e32 0x7f, v5
	s_cbranch_execz .LBB298_904
; %bb.901:                              ;   in Loop: Header=BB298_10 Depth=1
	v_dual_lshrrev_b32 v4, 3, v5 :: v_dual_bitop2_b32 v1, 7, v24 bitop3:0x40
	s_mov_b32 s18, exec_lo
	v_cmpx_gt_u32_e32 8, v5
; %bb.902:                              ;   in Loop: Header=BB298_10 Depth=1
	s_delay_alu instid0(VALU_DEP_2) | instskip(NEXT) | instid1(VALU_DEP_1)
	v_clz_i32_u32_e32 v0, v1
	v_min_u32_e32 v0, 32, v0
	s_delay_alu instid0(VALU_DEP_1) | instskip(NEXT) | instid1(VALU_DEP_1)
	v_subrev_nc_u32_e32 v1, 28, v0
	v_lshlrev_b64_e32 v[10:11], v1, v[24:25]
	s_delay_alu instid0(VALU_DEP_1)
	v_dual_sub_nc_u32 v4, 29, v0 :: v_dual_bitop2_b32 v1, 7, v10 bitop3:0x40
; %bb.903:                              ;   in Loop: Header=BB298_10 Depth=1
	s_or_b32 exec_lo, exec_lo, s18
	s_delay_alu instid0(VALU_DEP_1) | instskip(NEXT) | instid1(VALU_DEP_2)
	v_dual_lshlrev_b32 v0, 8, v24 :: v_dual_lshlrev_b32 v1, 23, v1
	v_lshl_add_u32 v4, v4, 10, 0x2000
	s_delay_alu instid0(VALU_DEP_1) | instskip(NEXT) | instid1(VALU_DEP_1)
	v_and_or_b32 v0, 0x8000, v0, v4
	v_lshl_or_b32 v17, v0, 16, v1
.LBB298_904:                            ;   in Loop: Header=BB298_10 Depth=1
	s_or_b32 exec_lo, exec_lo, s17
.LBB298_905:                            ;   in Loop: Header=BB298_10 Depth=1
	s_delay_alu instid0(SALU_CYCLE_1)
	s_or_b32 exec_lo, exec_lo, s16
.LBB298_906:                            ;   in Loop: Header=BB298_10 Depth=1
	s_delay_alu instid0(SALU_CYCLE_1)
	s_or_b32 exec_lo, exec_lo, s15
	flat_load_b64 v[4:5], v[2:3] offset:3584
	s_mov_b32 s15, exec_lo
	s_wait_loadcnt_dscnt 0x0
	v_and_b32_e32 v6, 0xff, v4
	s_wait_xcnt 0x0
	s_delay_alu instid0(VALU_DEP_1)
	v_cmpx_ne_u16_e32 0, v6
	s_cbranch_execz .LBB298_914
; %bb.907:                              ;   in Loop: Header=BB298_10 Depth=1
	v_mov_b32_e32 v0, 0x8000
	s_mov_b32 s16, exec_lo
	scratch_store_b32 off, v0, s32 offset:232 ; 4-byte Folded Spill
	s_wait_xcnt 0x0
	v_cmpx_ne_u16_e32 0x80, v6
	s_cbranch_execz .LBB298_913
; %bb.908:                              ;   in Loop: Header=BB298_10 Depth=1
	v_and_b32_e32 v10, 0x7f, v4
	v_mov_b32_e32 v0, 0x7c01
	s_mov_b32 s17, exec_lo
	scratch_store_b32 off, v0, s32 offset:232 ; 4-byte Folded Spill
	s_wait_xcnt 0x0
	v_cmpx_ne_u32_e32 0x7f, v10
	s_cbranch_execz .LBB298_912
; %bb.909:                              ;   in Loop: Header=BB298_10 Depth=1
	v_dual_lshrrev_b32 v8, 3, v10 :: v_dual_bitop2_b32 v6, 7, v4 bitop3:0x40
	s_mov_b32 s18, exec_lo
	v_cmpx_gt_u32_e32 8, v10
; %bb.910:                              ;   in Loop: Header=BB298_10 Depth=1
	s_delay_alu instid0(VALU_DEP_2) | instskip(NEXT) | instid1(VALU_DEP_1)
	v_clz_i32_u32_e32 v0, v6
	v_min_u32_e32 v0, 32, v0
	s_delay_alu instid0(VALU_DEP_1) | instskip(NEXT) | instid1(VALU_DEP_1)
	v_subrev_nc_u32_e32 v1, 28, v0
	v_lshlrev_b64_e32 v[10:11], v1, v[4:5]
	s_delay_alu instid0(VALU_DEP_1)
	v_dual_sub_nc_u32 v8, 29, v0 :: v_dual_bitop2_b32 v6, 7, v10 bitop3:0x40
; %bb.911:                              ;   in Loop: Header=BB298_10 Depth=1
	s_or_b32 exec_lo, exec_lo, s18
	s_delay_alu instid0(VALU_DEP_1) | instskip(NEXT) | instid1(VALU_DEP_2)
	v_dual_lshlrev_b32 v0, 8, v4 :: v_dual_lshlrev_b32 v6, 7, v6
	v_lshl_add_u32 v1, v8, 10, 0x2000
	s_delay_alu instid0(VALU_DEP_2) | instskip(NEXT) | instid1(VALU_DEP_2)
	v_and_b32_e32 v0, 0x8000, v0
	v_and_b32_e32 v1, 0xfc00, v1
	s_delay_alu instid0(VALU_DEP_1)
	v_or3_b32 v0, v0, v1, v6
	scratch_store_b32 off, v0, s32 offset:232 ; 4-byte Folded Spill
.LBB298_912:                            ;   in Loop: Header=BB298_10 Depth=1
	s_wait_xcnt 0x0
	s_or_b32 exec_lo, exec_lo, s17
.LBB298_913:                            ;   in Loop: Header=BB298_10 Depth=1
	s_delay_alu instid0(SALU_CYCLE_1)
	s_or_b32 exec_lo, exec_lo, s16
.LBB298_914:                            ;   in Loop: Header=BB298_10 Depth=1
	s_delay_alu instid0(SALU_CYCLE_1)
	s_or_b32 exec_lo, exec_lo, s15
	v_lshrrev_b16 v24, 8, v4
	v_dual_mov_b32 v0, 0 :: v_dual_mov_b32 v19, 0
	s_mov_b32 s15, exec_lo
	scratch_store_b32 off, v0, s32 offset:236 ; 4-byte Folded Spill
	s_wait_xcnt 0x0
	v_cmpx_ne_u16_e32 0, v24
	s_cbranch_execz .LBB298_922
; %bb.915:                              ;   in Loop: Header=BB298_10 Depth=1
	v_bfrev_b32_e32 v19, 1
	s_mov_b32 s16, exec_lo
	v_cmpx_ne_u16_e32 0x80, v24
	s_cbranch_execz .LBB298_921
; %bb.916:                              ;   in Loop: Header=BB298_10 Depth=1
	v_and_b32_e32 v6, 0xffff, v24
	v_mov_b32_e32 v19, 0x7c010000
	s_mov_b32 s17, exec_lo
	s_delay_alu instid0(VALU_DEP_2) | instskip(NEXT) | instid1(VALU_DEP_1)
	v_and_b32_e32 v11, 0x7f, v6
	v_cmpx_ne_u32_e32 0x7f, v11
	s_cbranch_execz .LBB298_920
; %bb.917:                              ;   in Loop: Header=BB298_10 Depth=1
	v_dual_lshrrev_b32 v10, 3, v11 :: v_dual_bitop2_b32 v8, 7, v6 bitop3:0x40
	s_mov_b32 s18, exec_lo
	v_cmpx_gt_u32_e32 8, v11
; %bb.918:                              ;   in Loop: Header=BB298_10 Depth=1
	s_delay_alu instid0(VALU_DEP_2) | instskip(NEXT) | instid1(VALU_DEP_1)
	v_clz_i32_u32_e32 v0, v8
	v_min_u32_e32 v0, 32, v0
	s_delay_alu instid0(VALU_DEP_1) | instskip(NEXT) | instid1(VALU_DEP_1)
	v_subrev_nc_u32_e32 v1, 28, v0
	v_lshlrev_b64_e32 v[18:19], v1, v[24:25]
	s_delay_alu instid0(VALU_DEP_1)
	v_dual_sub_nc_u32 v10, 29, v0 :: v_dual_bitop2_b32 v8, 7, v18 bitop3:0x40
; %bb.919:                              ;   in Loop: Header=BB298_10 Depth=1
	s_or_b32 exec_lo, exec_lo, s18
	v_lshlrev_b32_e32 v0, 8, v6
	s_delay_alu instid0(VALU_DEP_2) | instskip(NEXT) | instid1(VALU_DEP_1)
	v_lshl_add_u32 v1, v10, 10, 0x2000
	v_and_or_b32 v0, 0x8000, v0, v1
	v_lshlrev_b32_e32 v1, 23, v8
	s_delay_alu instid0(VALU_DEP_1)
	v_lshl_or_b32 v19, v0, 16, v1
.LBB298_920:                            ;   in Loop: Header=BB298_10 Depth=1
	s_or_b32 exec_lo, exec_lo, s17
.LBB298_921:                            ;   in Loop: Header=BB298_10 Depth=1
	s_delay_alu instid0(SALU_CYCLE_1)
	s_or_b32 exec_lo, exec_lo, s16
.LBB298_922:                            ;   in Loop: Header=BB298_10 Depth=1
	s_delay_alu instid0(SALU_CYCLE_1) | instskip(SKIP_2) | instid1(VALU_DEP_1)
	s_or_b32 exec_lo, exec_lo, s15
	v_lshrrev_b32_e32 v8, 16, v4
	s_mov_b32 s15, exec_lo
	v_and_b32_e32 v6, 0xff, v8
	s_delay_alu instid0(VALU_DEP_1)
	v_cmpx_ne_u16_e32 0, v6
	s_cbranch_execz .LBB298_930
; %bb.923:                              ;   in Loop: Header=BB298_10 Depth=1
	v_mov_b32_e32 v0, 0x8000
	s_mov_b32 s16, exec_lo
	scratch_store_b32 off, v0, s32 offset:236 ; 4-byte Folded Spill
	s_wait_xcnt 0x0
	v_cmpx_ne_u16_e32 0x80, v6
	s_cbranch_execz .LBB298_929
; %bb.924:                              ;   in Loop: Header=BB298_10 Depth=1
	v_bfe_u32 v11, v4, 16, 7
	v_mov_b32_e32 v0, 0x7c01
	s_mov_b32 s17, exec_lo
	scratch_store_b32 off, v0, s32 offset:236 ; 4-byte Folded Spill
	s_wait_xcnt 0x0
	v_cmpx_ne_u32_e32 0x7f, v11
	s_cbranch_execz .LBB298_928
; %bb.925:                              ;   in Loop: Header=BB298_10 Depth=1
	v_dual_lshrrev_b32 v10, 3, v11 :: v_dual_bitop2_b32 v6, 7, v8 bitop3:0x40
	s_mov_b32 s18, exec_lo
	v_cmpx_gt_u32_e32 8, v11
; %bb.926:                              ;   in Loop: Header=BB298_10 Depth=1
	s_delay_alu instid0(VALU_DEP_2) | instskip(NEXT) | instid1(VALU_DEP_1)
	v_clz_i32_u32_e32 v0, v6
	v_min_u32_e32 v0, 32, v0
	s_delay_alu instid0(VALU_DEP_1) | instskip(NEXT) | instid1(VALU_DEP_1)
	v_subrev_nc_u32_e32 v1, 28, v0
	v_lshlrev_b64_e32 v[22:23], v1, v[8:9]
	s_delay_alu instid0(VALU_DEP_1)
	v_dual_sub_nc_u32 v10, 29, v0 :: v_dual_bitop2_b32 v6, 7, v22 bitop3:0x40
; %bb.927:                              ;   in Loop: Header=BB298_10 Depth=1
	s_or_b32 exec_lo, exec_lo, s18
	s_delay_alu instid0(VALU_DEP_1) | instskip(NEXT) | instid1(VALU_DEP_2)
	v_dual_lshlrev_b32 v0, 8, v8 :: v_dual_lshlrev_b32 v6, 7, v6
	v_lshl_add_u32 v1, v10, 10, 0x2000
	s_delay_alu instid0(VALU_DEP_2) | instskip(NEXT) | instid1(VALU_DEP_2)
	v_and_b32_e32 v0, 0x8000, v0
	v_and_b32_e32 v1, 0xfc00, v1
	s_delay_alu instid0(VALU_DEP_1)
	v_or3_b32 v0, v0, v1, v6
	scratch_store_b32 off, v0, s32 offset:236 ; 4-byte Folded Spill
.LBB298_928:                            ;   in Loop: Header=BB298_10 Depth=1
	s_wait_xcnt 0x0
	s_or_b32 exec_lo, exec_lo, s17
.LBB298_929:                            ;   in Loop: Header=BB298_10 Depth=1
	s_delay_alu instid0(SALU_CYCLE_1)
	s_or_b32 exec_lo, exec_lo, s16
.LBB298_930:                            ;   in Loop: Header=BB298_10 Depth=1
	s_delay_alu instid0(SALU_CYCLE_1)
	s_or_b32 exec_lo, exec_lo, s15
	v_dual_mov_b32 v0, 0 :: v_dual_mov_b32 v22, 0
	s_mov_b32 s15, exec_lo
	scratch_store_b32 off, v0, s32 offset:240 ; 4-byte Folded Spill
	s_wait_xcnt 0x0
	v_cmpx_lt_u32_e32 0xffffff, v4
	s_cbranch_execz .LBB298_938
; %bb.931:                              ;   in Loop: Header=BB298_10 Depth=1
	v_lshrrev_b32_e32 v24, 24, v4
	v_bfrev_b32_e32 v22, 1
	s_mov_b32 s16, exec_lo
	s_delay_alu instid0(VALU_DEP_2)
	v_cmpx_ne_u32_e32 0x80, v24
	s_cbranch_execz .LBB298_937
; %bb.932:                              ;   in Loop: Header=BB298_10 Depth=1
	v_and_b32_e32 v10, 0x7f, v24
	v_mov_b32_e32 v22, 0x7c010000
	s_mov_b32 s17, exec_lo
	s_delay_alu instid0(VALU_DEP_2)
	v_cmpx_ne_u32_e32 0x7f, v10
	s_cbranch_execz .LBB298_936
; %bb.933:                              ;   in Loop: Header=BB298_10 Depth=1
	v_dual_lshrrev_b32 v8, 3, v10 :: v_dual_bitop2_b32 v6, 7, v24 bitop3:0x40
	s_mov_b32 s18, exec_lo
	v_cmpx_gt_u32_e32 8, v10
; %bb.934:                              ;   in Loop: Header=BB298_10 Depth=1
	s_delay_alu instid0(VALU_DEP_2) | instskip(NEXT) | instid1(VALU_DEP_1)
	v_clz_i32_u32_e32 v0, v6
	v_min_u32_e32 v0, 32, v0
	s_delay_alu instid0(VALU_DEP_1) | instskip(NEXT) | instid1(VALU_DEP_1)
	v_subrev_nc_u32_e32 v1, 28, v0
	v_lshlrev_b64_e32 v[10:11], v1, v[24:25]
	s_delay_alu instid0(VALU_DEP_1)
	v_dual_sub_nc_u32 v8, 29, v0 :: v_dual_bitop2_b32 v6, 7, v10 bitop3:0x40
; %bb.935:                              ;   in Loop: Header=BB298_10 Depth=1
	s_or_b32 exec_lo, exec_lo, s18
	v_lshlrev_b32_e32 v0, 8, v24
	s_delay_alu instid0(VALU_DEP_2) | instskip(NEXT) | instid1(VALU_DEP_1)
	v_lshl_add_u32 v1, v8, 10, 0x2000
	v_and_or_b32 v0, 0x8000, v0, v1
	v_lshlrev_b32_e32 v1, 23, v6
	s_delay_alu instid0(VALU_DEP_1)
	v_lshl_or_b32 v22, v0, 16, v1
.LBB298_936:                            ;   in Loop: Header=BB298_10 Depth=1
	s_or_b32 exec_lo, exec_lo, s17
.LBB298_937:                            ;   in Loop: Header=BB298_10 Depth=1
	s_delay_alu instid0(SALU_CYCLE_1)
	s_or_b32 exec_lo, exec_lo, s16
.LBB298_938:                            ;   in Loop: Header=BB298_10 Depth=1
	s_delay_alu instid0(SALU_CYCLE_1) | instskip(SKIP_3) | instid1(VALU_DEP_2)
	s_or_b32 exec_lo, exec_lo, s15
	v_and_b32_e32 v6, 0xff, v5
	v_mov_b32_e32 v24, v5
	s_mov_b32 s15, exec_lo
	v_cmpx_ne_u16_e32 0, v6
	s_cbranch_execz .LBB298_946
; %bb.939:                              ;   in Loop: Header=BB298_10 Depth=1
	v_mov_b32_e32 v0, 0x8000
	s_mov_b32 s16, exec_lo
	scratch_store_b32 off, v0, s32 offset:240 ; 4-byte Folded Spill
	s_wait_xcnt 0x0
	v_cmpx_ne_u16_e32 0x80, v6
	s_cbranch_execz .LBB298_945
; %bb.940:                              ;   in Loop: Header=BB298_10 Depth=1
	v_and_b32_e32 v10, 0x7f, v5
	v_mov_b32_e32 v0, 0x7c01
	s_mov_b32 s17, exec_lo
	scratch_store_b32 off, v0, s32 offset:240 ; 4-byte Folded Spill
	s_wait_xcnt 0x0
	v_cmpx_ne_u32_e32 0x7f, v10
	s_cbranch_execz .LBB298_944
; %bb.941:                              ;   in Loop: Header=BB298_10 Depth=1
	v_dual_lshrrev_b32 v8, 3, v10 :: v_dual_bitop2_b32 v6, 7, v5 bitop3:0x40
	s_mov_b32 s18, exec_lo
	v_cmpx_gt_u32_e32 8, v10
; %bb.942:                              ;   in Loop: Header=BB298_10 Depth=1
	s_delay_alu instid0(VALU_DEP_2) | instskip(NEXT) | instid1(VALU_DEP_1)
	v_clz_i32_u32_e32 v0, v6
	v_min_u32_e32 v0, 32, v0
	s_delay_alu instid0(VALU_DEP_1) | instskip(NEXT) | instid1(VALU_DEP_1)
	v_subrev_nc_u32_e32 v1, 28, v0
	v_lshlrev_b64_e32 v[10:11], v1, v[24:25]
	s_delay_alu instid0(VALU_DEP_1)
	v_dual_sub_nc_u32 v8, 29, v0 :: v_dual_bitop2_b32 v6, 7, v10 bitop3:0x40
; %bb.943:                              ;   in Loop: Header=BB298_10 Depth=1
	s_or_b32 exec_lo, exec_lo, s18
	s_delay_alu instid0(VALU_DEP_1) | instskip(NEXT) | instid1(VALU_DEP_2)
	v_dual_lshlrev_b32 v0, 8, v5 :: v_dual_lshlrev_b32 v6, 7, v6
	v_lshl_add_u32 v1, v8, 10, 0x2000
	s_delay_alu instid0(VALU_DEP_2) | instskip(NEXT) | instid1(VALU_DEP_2)
	v_and_b32_e32 v0, 0x8000, v0
	v_and_b32_e32 v1, 0xfc00, v1
	s_delay_alu instid0(VALU_DEP_1)
	v_or3_b32 v0, v0, v1, v6
	scratch_store_b32 off, v0, s32 offset:240 ; 4-byte Folded Spill
.LBB298_944:                            ;   in Loop: Header=BB298_10 Depth=1
	s_wait_xcnt 0x0
	s_or_b32 exec_lo, exec_lo, s17
.LBB298_945:                            ;   in Loop: Header=BB298_10 Depth=1
	s_delay_alu instid0(SALU_CYCLE_1)
	s_or_b32 exec_lo, exec_lo, s16
.LBB298_946:                            ;   in Loop: Header=BB298_10 Depth=1
	s_delay_alu instid0(SALU_CYCLE_1) | instskip(SKIP_2) | instid1(VALU_DEP_2)
	s_or_b32 exec_lo, exec_lo, s15
	v_lshrrev_b16 v24, 8, v24
	v_dual_mov_b32 v0, 0 :: v_dual_mov_b32 v10, 0
	v_cmp_ne_u16_e64 s1, 0, v24
	scratch_store_b32 off, v0, s32 offset:244 ; 4-byte Folded Spill
	s_wait_xcnt 0x0
	s_mov_b32 s15, exec_lo
	s_delay_alu instid0(SALU_CYCLE_1)
	s_and_b32 s1, s15, s1
	s_clause 0x6
	scratch_store_b32 off, v16, s32 offset:284
	scratch_store_b32 off, v20, s32 offset:288
	;; [unrolled: 1-line block ×7, first 2 shown]
	s_wait_xcnt 0x0
	s_mov_b32 exec_lo, s1
	s_cbranch_execz .LBB298_954
; %bb.947:                              ;   in Loop: Header=BB298_10 Depth=1
	v_bfrev_b32_e32 v10, 1
	s_mov_b32 s16, exec_lo
	v_cmpx_ne_u16_e32 0x80, v24
	s_cbranch_execz .LBB298_953
; %bb.948:                              ;   in Loop: Header=BB298_10 Depth=1
	v_and_b32_e32 v6, 0xffff, v24
	v_mov_b32_e32 v10, 0x7c010000
	s_mov_b32 s17, exec_lo
	s_delay_alu instid0(VALU_DEP_2) | instskip(NEXT) | instid1(VALU_DEP_1)
	v_and_b32_e32 v16, 0x7f, v6
	v_cmpx_ne_u32_e32 0x7f, v16
	s_cbranch_execz .LBB298_952
; %bb.949:                              ;   in Loop: Header=BB298_10 Depth=1
	v_dual_lshrrev_b32 v10, 3, v16 :: v_dual_bitop2_b32 v8, 7, v6 bitop3:0x40
	s_mov_b32 s18, exec_lo
	v_cmpx_gt_u32_e32 8, v16
; %bb.950:                              ;   in Loop: Header=BB298_10 Depth=1
	s_delay_alu instid0(VALU_DEP_2) | instskip(NEXT) | instid1(VALU_DEP_1)
	v_clz_i32_u32_e32 v0, v8
	v_min_u32_e32 v0, 32, v0
	s_delay_alu instid0(VALU_DEP_1) | instskip(NEXT) | instid1(VALU_DEP_1)
	v_subrev_nc_u32_e32 v1, 28, v0
	v_lshlrev_b64_e32 v[34:35], v1, v[24:25]
	s_delay_alu instid0(VALU_DEP_1)
	v_dual_sub_nc_u32 v10, 29, v0 :: v_dual_bitop2_b32 v8, 7, v34 bitop3:0x40
; %bb.951:                              ;   in Loop: Header=BB298_10 Depth=1
	s_or_b32 exec_lo, exec_lo, s18
	v_lshlrev_b32_e32 v0, 8, v6
	s_delay_alu instid0(VALU_DEP_2) | instskip(NEXT) | instid1(VALU_DEP_1)
	v_lshl_add_u32 v1, v10, 10, 0x2000
	v_and_or_b32 v0, 0x8000, v0, v1
	v_lshlrev_b32_e32 v1, 23, v8
	s_delay_alu instid0(VALU_DEP_1)
	v_lshl_or_b32 v10, v0, 16, v1
.LBB298_952:                            ;   in Loop: Header=BB298_10 Depth=1
	s_or_b32 exec_lo, exec_lo, s17
.LBB298_953:                            ;   in Loop: Header=BB298_10 Depth=1
	s_delay_alu instid0(SALU_CYCLE_1)
	s_or_b32 exec_lo, exec_lo, s16
.LBB298_954:                            ;   in Loop: Header=BB298_10 Depth=1
	s_delay_alu instid0(SALU_CYCLE_1) | instskip(SKIP_2) | instid1(VALU_DEP_1)
	s_or_b32 exec_lo, exec_lo, s15
	v_lshrrev_b32_e32 v8, 16, v5
	s_mov_b32 s15, exec_lo
	v_and_b32_e32 v6, 0xff, v8
	s_delay_alu instid0(VALU_DEP_1)
	v_cmpx_ne_u16_e32 0, v6
	s_cbranch_execz .LBB298_962
; %bb.955:                              ;   in Loop: Header=BB298_10 Depth=1
	v_mov_b32_e32 v0, 0x8000
	s_mov_b32 s16, exec_lo
	scratch_store_b32 off, v0, s32 offset:244 ; 4-byte Folded Spill
	s_wait_xcnt 0x0
	v_cmpx_ne_u16_e32 0x80, v6
	s_cbranch_execz .LBB298_961
; %bb.956:                              ;   in Loop: Header=BB298_10 Depth=1
	v_bfe_u32 v16, v5, 16, 7
	v_mov_b32_e32 v0, 0x7c01
	s_mov_b32 s17, exec_lo
	scratch_store_b32 off, v0, s32 offset:244 ; 4-byte Folded Spill
	s_wait_xcnt 0x0
	v_cmpx_ne_u32_e32 0x7f, v16
	s_cbranch_execz .LBB298_960
; %bb.957:                              ;   in Loop: Header=BB298_10 Depth=1
	v_and_b32_e32 v6, 7, v8
	v_lshrrev_b32_e32 v11, 3, v16
	s_mov_b32 s18, exec_lo
	v_cmpx_gt_u32_e32 8, v16
; %bb.958:                              ;   in Loop: Header=BB298_10 Depth=1
	s_delay_alu instid0(VALU_DEP_3) | instskip(NEXT) | instid1(VALU_DEP_1)
	v_clz_i32_u32_e32 v0, v6
	v_min_u32_e32 v0, 32, v0
	s_delay_alu instid0(VALU_DEP_1) | instskip(NEXT) | instid1(VALU_DEP_1)
	v_subrev_nc_u32_e32 v1, 28, v0
	v_lshlrev_b64_e32 v[34:35], v1, v[8:9]
	s_delay_alu instid0(VALU_DEP_1)
	v_dual_sub_nc_u32 v11, 29, v0 :: v_dual_bitop2_b32 v6, 7, v34 bitop3:0x40
; %bb.959:                              ;   in Loop: Header=BB298_10 Depth=1
	s_or_b32 exec_lo, exec_lo, s18
	s_delay_alu instid0(VALU_DEP_1) | instskip(NEXT) | instid1(VALU_DEP_2)
	v_dual_lshlrev_b32 v0, 8, v8 :: v_dual_lshlrev_b32 v6, 7, v6
	v_lshl_add_u32 v1, v11, 10, 0x2000
	s_delay_alu instid0(VALU_DEP_2) | instskip(NEXT) | instid1(VALU_DEP_2)
	v_and_b32_e32 v0, 0x8000, v0
	v_and_b32_e32 v1, 0xfc00, v1
	s_delay_alu instid0(VALU_DEP_1)
	v_or3_b32 v0, v0, v1, v6
	scratch_store_b32 off, v0, s32 offset:244 ; 4-byte Folded Spill
.LBB298_960:                            ;   in Loop: Header=BB298_10 Depth=1
	s_wait_xcnt 0x0
	s_or_b32 exec_lo, exec_lo, s17
.LBB298_961:                            ;   in Loop: Header=BB298_10 Depth=1
	s_delay_alu instid0(SALU_CYCLE_1)
	s_or_b32 exec_lo, exec_lo, s16
.LBB298_962:                            ;   in Loop: Header=BB298_10 Depth=1
	s_delay_alu instid0(SALU_CYCLE_1)
	s_or_b32 exec_lo, exec_lo, s15
	v_dual_mov_b32 v8, 0 :: v_dual_mov_b32 v16, 0
	s_mov_b32 s15, exec_lo
	v_cmpx_lt_u64_e64 s[2:3], v[4:5]
	s_cbranch_execz .LBB298_970
; %bb.963:                              ;   in Loop: Header=BB298_10 Depth=1
	v_lshrrev_b32_e32 v24, 24, v5
	v_bfrev_b32_e32 v16, 1
	s_mov_b32 s16, exec_lo
	s_delay_alu instid0(VALU_DEP_2)
	v_cmpx_ne_u32_e32 0x80, v24
	s_cbranch_execz .LBB298_969
; %bb.964:                              ;   in Loop: Header=BB298_10 Depth=1
	v_and_b32_e32 v6, 0x7f, v24
	v_mov_b32_e32 v16, 0x7c010000
	s_mov_b32 s17, exec_lo
	s_delay_alu instid0(VALU_DEP_2)
	v_cmpx_ne_u32_e32 0x7f, v6
	s_cbranch_execz .LBB298_968
; %bb.965:                              ;   in Loop: Header=BB298_10 Depth=1
	v_dual_lshrrev_b32 v5, 3, v6 :: v_dual_bitop2_b32 v4, 7, v24 bitop3:0x40
	s_mov_b32 s18, exec_lo
	v_cmpx_gt_u32_e32 8, v6
; %bb.966:                              ;   in Loop: Header=BB298_10 Depth=1
	s_delay_alu instid0(VALU_DEP_2) | instskip(NEXT) | instid1(VALU_DEP_1)
	v_clz_i32_u32_e32 v0, v4
	v_min_u32_e32 v0, 32, v0
	s_delay_alu instid0(VALU_DEP_1) | instskip(NEXT) | instid1(VALU_DEP_1)
	v_subrev_nc_u32_e32 v1, 28, v0
	v_lshlrev_b64_e32 v[4:5], v1, v[24:25]
	v_sub_nc_u32_e32 v5, 29, v0
	s_delay_alu instid0(VALU_DEP_2)
	v_and_b32_e32 v4, 7, v4
; %bb.967:                              ;   in Loop: Header=BB298_10 Depth=1
	s_or_b32 exec_lo, exec_lo, s18
	v_lshlrev_b32_e32 v0, 8, v24
	s_delay_alu instid0(VALU_DEP_3) | instskip(NEXT) | instid1(VALU_DEP_1)
	v_lshl_add_u32 v1, v5, 10, 0x2000
	v_and_or_b32 v0, 0x8000, v0, v1
	v_lshlrev_b32_e32 v1, 23, v4
	s_delay_alu instid0(VALU_DEP_1)
	v_lshl_or_b32 v16, v0, 16, v1
.LBB298_968:                            ;   in Loop: Header=BB298_10 Depth=1
	s_or_b32 exec_lo, exec_lo, s17
.LBB298_969:                            ;   in Loop: Header=BB298_10 Depth=1
	s_delay_alu instid0(SALU_CYCLE_1)
	s_or_b32 exec_lo, exec_lo, s16
.LBB298_970:                            ;   in Loop: Header=BB298_10 Depth=1
	s_delay_alu instid0(SALU_CYCLE_1)
	s_or_b32 exec_lo, exec_lo, s15
	flat_load_b64 v[2:3], v[2:3] offset:3592
	s_mov_b32 s15, exec_lo
	s_wait_loadcnt_dscnt 0x0
	v_and_b32_e32 v4, 0xff, v2
	s_wait_xcnt 0x0
	s_delay_alu instid0(VALU_DEP_1)
	v_cmpx_ne_u16_e32 0, v4
	s_cbranch_execz .LBB298_978
; %bb.971:                              ;   in Loop: Header=BB298_10 Depth=1
	v_mov_b32_e32 v8, 0x8000
	s_mov_b32 s16, exec_lo
	v_cmpx_ne_u16_e32 0x80, v4
	s_cbranch_execz .LBB298_977
; %bb.972:                              ;   in Loop: Header=BB298_10 Depth=1
	v_and_b32_e32 v6, 0x7f, v2
	v_mov_b32_e32 v8, 0x7c01
	s_mov_b32 s17, exec_lo
	s_delay_alu instid0(VALU_DEP_2)
	v_cmpx_ne_u32_e32 0x7f, v6
	s_cbranch_execz .LBB298_976
; %bb.973:                              ;   in Loop: Header=BB298_10 Depth=1
	v_and_b32_e32 v4, 7, v2
	v_lshrrev_b32_e32 v5, 3, v6
	s_mov_b32 s18, exec_lo
	v_cmpx_gt_u32_e32 8, v6
; %bb.974:                              ;   in Loop: Header=BB298_10 Depth=1
	s_delay_alu instid0(VALU_DEP_3) | instskip(NEXT) | instid1(VALU_DEP_1)
	v_clz_i32_u32_e32 v0, v4
	v_min_u32_e32 v0, 32, v0
	s_delay_alu instid0(VALU_DEP_1) | instskip(NEXT) | instid1(VALU_DEP_1)
	v_subrev_nc_u32_e32 v1, 28, v0
	v_lshlrev_b64_e32 v[4:5], v1, v[2:3]
	v_sub_nc_u32_e32 v5, 29, v0
	s_delay_alu instid0(VALU_DEP_2)
	v_and_b32_e32 v4, 7, v4
; %bb.975:                              ;   in Loop: Header=BB298_10 Depth=1
	s_or_b32 exec_lo, exec_lo, s18
	s_delay_alu instid0(VALU_DEP_1) | instskip(NEXT) | instid1(VALU_DEP_3)
	v_dual_lshlrev_b32 v0, 8, v2 :: v_dual_lshlrev_b32 v4, 7, v4
	v_lshl_add_u32 v1, v5, 10, 0x2000
	s_delay_alu instid0(VALU_DEP_2) | instskip(NEXT) | instid1(VALU_DEP_2)
	v_and_b32_e32 v0, 0x8000, v0
	v_and_b32_e32 v1, 0xfc00, v1
	s_delay_alu instid0(VALU_DEP_1)
	v_or3_b32 v8, v0, v1, v4
.LBB298_976:                            ;   in Loop: Header=BB298_10 Depth=1
	s_or_b32 exec_lo, exec_lo, s17
.LBB298_977:                            ;   in Loop: Header=BB298_10 Depth=1
	s_delay_alu instid0(SALU_CYCLE_1)
	s_or_b32 exec_lo, exec_lo, s16
.LBB298_978:                            ;   in Loop: Header=BB298_10 Depth=1
	s_delay_alu instid0(SALU_CYCLE_1) | instskip(SKIP_3) | instid1(VALU_DEP_2)
	s_or_b32 exec_lo, exec_lo, s15
	v_lshrrev_b16 v24, 8, v2
	v_dual_mov_b32 v6, 0 :: v_dual_mov_b32 v21, 0
	s_mov_b32 s15, exec_lo
	v_cmpx_ne_u16_e32 0, v24
	s_cbranch_execz .LBB298_986
; %bb.979:                              ;   in Loop: Header=BB298_10 Depth=1
	v_bfrev_b32_e32 v21, 1
	s_mov_b32 s16, exec_lo
	v_cmpx_ne_u16_e32 0x80, v24
	s_cbranch_execz .LBB298_985
; %bb.980:                              ;   in Loop: Header=BB298_10 Depth=1
	v_and_b32_e32 v4, 0xffff, v24
	v_mov_b32_e32 v21, 0x7c010000
	s_mov_b32 s17, exec_lo
	s_delay_alu instid0(VALU_DEP_2) | instskip(NEXT) | instid1(VALU_DEP_1)
	v_and_b32_e32 v27, 0x7f, v4
	v_cmpx_ne_u32_e32 0x7f, v27
	s_cbranch_execz .LBB298_984
; %bb.981:                              ;   in Loop: Header=BB298_10 Depth=1
	v_dual_lshrrev_b32 v18, 3, v27 :: v_dual_bitop2_b32 v5, 7, v4 bitop3:0x40
	s_mov_b32 s18, exec_lo
	v_cmpx_gt_u32_e32 8, v27
; %bb.982:                              ;   in Loop: Header=BB298_10 Depth=1
	s_delay_alu instid0(VALU_DEP_2) | instskip(NEXT) | instid1(VALU_DEP_1)
	v_clz_i32_u32_e32 v0, v5
	v_min_u32_e32 v0, 32, v0
	s_delay_alu instid0(VALU_DEP_1) | instskip(NEXT) | instid1(VALU_DEP_1)
	v_subrev_nc_u32_e32 v1, 28, v0
	v_lshlrev_b64_e32 v[34:35], v1, v[24:25]
	s_delay_alu instid0(VALU_DEP_1)
	v_dual_sub_nc_u32 v18, 29, v0 :: v_dual_bitop2_b32 v5, 7, v34 bitop3:0x40
; %bb.983:                              ;   in Loop: Header=BB298_10 Depth=1
	s_or_b32 exec_lo, exec_lo, s18
	v_lshlrev_b32_e32 v0, 8, v4
	s_delay_alu instid0(VALU_DEP_2) | instskip(NEXT) | instid1(VALU_DEP_1)
	v_lshl_add_u32 v1, v18, 10, 0x2000
	v_and_or_b32 v0, 0x8000, v0, v1
	v_lshlrev_b32_e32 v1, 23, v5
	s_delay_alu instid0(VALU_DEP_1)
	v_lshl_or_b32 v21, v0, 16, v1
.LBB298_984:                            ;   in Loop: Header=BB298_10 Depth=1
	s_or_b32 exec_lo, exec_lo, s17
.LBB298_985:                            ;   in Loop: Header=BB298_10 Depth=1
	s_delay_alu instid0(SALU_CYCLE_1)
	s_or_b32 exec_lo, exec_lo, s16
.LBB298_986:                            ;   in Loop: Header=BB298_10 Depth=1
	s_delay_alu instid0(SALU_CYCLE_1) | instskip(SKIP_2) | instid1(VALU_DEP_1)
	s_or_b32 exec_lo, exec_lo, s15
	v_lshrrev_b32_e32 v4, 16, v2
	s_mov_b32 s15, exec_lo
	v_and_b32_e32 v5, 0xff, v4
	s_delay_alu instid0(VALU_DEP_1)
	v_cmpx_ne_u16_e32 0, v5
	s_cbranch_execz .LBB298_994
; %bb.987:                              ;   in Loop: Header=BB298_10 Depth=1
	v_mov_b32_e32 v6, 0x8000
	s_mov_b32 s16, exec_lo
	v_cmpx_ne_u16_e32 0x80, v5
	s_cbranch_execz .LBB298_993
; %bb.988:                              ;   in Loop: Header=BB298_10 Depth=1
	v_bfe_u32 v18, v2, 16, 7
	v_mov_b32_e32 v6, 0x7c01
	s_mov_b32 s17, exec_lo
	s_delay_alu instid0(VALU_DEP_2)
	v_cmpx_ne_u32_e32 0x7f, v18
	s_cbranch_execz .LBB298_992
; %bb.989:                              ;   in Loop: Header=BB298_10 Depth=1
	v_dual_lshrrev_b32 v6, 3, v18 :: v_dual_bitop2_b32 v5, 7, v4 bitop3:0x40
	s_mov_b32 s18, exec_lo
	v_cmpx_gt_u32_e32 8, v18
; %bb.990:                              ;   in Loop: Header=BB298_10 Depth=1
	s_delay_alu instid0(VALU_DEP_2) | instskip(NEXT) | instid1(VALU_DEP_1)
	v_clz_i32_u32_e32 v0, v5
	v_min_u32_e32 v0, 32, v0
	s_delay_alu instid0(VALU_DEP_1) | instskip(NEXT) | instid1(VALU_DEP_1)
	v_subrev_nc_u32_e32 v1, 28, v0
	v_lshlrev_b64_e32 v[34:35], v1, v[4:5]
	s_delay_alu instid0(VALU_DEP_1)
	v_dual_sub_nc_u32 v6, 29, v0 :: v_dual_bitop2_b32 v5, 7, v34 bitop3:0x40
; %bb.991:                              ;   in Loop: Header=BB298_10 Depth=1
	s_or_b32 exec_lo, exec_lo, s18
	s_delay_alu instid0(VALU_DEP_1) | instskip(NEXT) | instid1(VALU_DEP_2)
	v_dual_lshlrev_b32 v0, 8, v4 :: v_dual_lshlrev_b32 v4, 7, v5
	v_lshl_add_u32 v1, v6, 10, 0x2000
	s_delay_alu instid0(VALU_DEP_2) | instskip(NEXT) | instid1(VALU_DEP_2)
	v_and_b32_e32 v0, 0x8000, v0
	v_and_b32_e32 v1, 0xfc00, v1
	s_delay_alu instid0(VALU_DEP_1)
	v_or3_b32 v6, v0, v1, v4
.LBB298_992:                            ;   in Loop: Header=BB298_10 Depth=1
	s_or_b32 exec_lo, exec_lo, s17
.LBB298_993:                            ;   in Loop: Header=BB298_10 Depth=1
	s_delay_alu instid0(SALU_CYCLE_1)
	s_or_b32 exec_lo, exec_lo, s16
.LBB298_994:                            ;   in Loop: Header=BB298_10 Depth=1
	s_delay_alu instid0(SALU_CYCLE_1)
	s_or_b32 exec_lo, exec_lo, s15
	v_dual_mov_b32 v11, 0 :: v_dual_mov_b32 v26, 0
	s_mov_b32 s15, exec_lo
	v_cmpx_lt_u32_e32 0xffffff, v2
	s_cbranch_execz .LBB298_1002
; %bb.995:                              ;   in Loop: Header=BB298_10 Depth=1
	v_lshrrev_b32_e32 v24, 24, v2
	v_bfrev_b32_e32 v26, 1
	s_mov_b32 s16, exec_lo
	s_delay_alu instid0(VALU_DEP_2)
	v_cmpx_ne_u32_e32 0x80, v24
	s_cbranch_execz .LBB298_1001
; %bb.996:                              ;   in Loop: Header=BB298_10 Depth=1
	v_and_b32_e32 v18, 0x7f, v24
	v_mov_b32_e32 v26, 0x7c010000
	s_mov_b32 s17, exec_lo
	s_delay_alu instid0(VALU_DEP_2)
	v_cmpx_ne_u32_e32 0x7f, v18
	s_cbranch_execz .LBB298_1000
; %bb.997:                              ;   in Loop: Header=BB298_10 Depth=1
	v_dual_lshrrev_b32 v5, 3, v18 :: v_dual_bitop2_b32 v4, 7, v24 bitop3:0x40
	s_mov_b32 s18, exec_lo
	v_cmpx_gt_u32_e32 8, v18
; %bb.998:                              ;   in Loop: Header=BB298_10 Depth=1
	s_delay_alu instid0(VALU_DEP_2) | instskip(NEXT) | instid1(VALU_DEP_1)
	v_clz_i32_u32_e32 v0, v4
	v_min_u32_e32 v0, 32, v0
	s_delay_alu instid0(VALU_DEP_1) | instskip(NEXT) | instid1(VALU_DEP_1)
	v_subrev_nc_u32_e32 v1, 28, v0
	v_lshlrev_b64_e32 v[4:5], v1, v[24:25]
	v_sub_nc_u32_e32 v5, 29, v0
	s_delay_alu instid0(VALU_DEP_2)
	v_and_b32_e32 v4, 7, v4
; %bb.999:                              ;   in Loop: Header=BB298_10 Depth=1
	s_or_b32 exec_lo, exec_lo, s18
	v_lshlrev_b32_e32 v0, 8, v24
	s_delay_alu instid0(VALU_DEP_3) | instskip(NEXT) | instid1(VALU_DEP_1)
	v_lshl_add_u32 v1, v5, 10, 0x2000
	v_and_or_b32 v0, 0x8000, v0, v1
	v_lshlrev_b32_e32 v1, 23, v4
	s_delay_alu instid0(VALU_DEP_1)
	v_lshl_or_b32 v26, v0, 16, v1
.LBB298_1000:                           ;   in Loop: Header=BB298_10 Depth=1
	s_or_b32 exec_lo, exec_lo, s17
.LBB298_1001:                           ;   in Loop: Header=BB298_10 Depth=1
	s_delay_alu instid0(SALU_CYCLE_1)
	s_or_b32 exec_lo, exec_lo, s16
.LBB298_1002:                           ;   in Loop: Header=BB298_10 Depth=1
	s_delay_alu instid0(SALU_CYCLE_1) | instskip(SKIP_3) | instid1(VALU_DEP_2)
	s_or_b32 exec_lo, exec_lo, s15
	v_and_b32_e32 v4, 0xff, v3
	v_mov_b32_e32 v24, v3
	s_mov_b32 s15, exec_lo
	v_cmpx_ne_u16_e32 0, v4
	s_cbranch_execz .LBB298_1010
; %bb.1003:                             ;   in Loop: Header=BB298_10 Depth=1
	v_mov_b32_e32 v11, 0x8000
	s_mov_b32 s16, exec_lo
	v_cmpx_ne_u16_e32 0x80, v4
	s_cbranch_execz .LBB298_1009
; %bb.1004:                             ;   in Loop: Header=BB298_10 Depth=1
	v_and_b32_e32 v18, 0x7f, v3
	v_mov_b32_e32 v11, 0x7c01
	s_mov_b32 s17, exec_lo
	s_delay_alu instid0(VALU_DEP_2)
	v_cmpx_ne_u32_e32 0x7f, v18
	s_cbranch_execz .LBB298_1008
; %bb.1005:                             ;   in Loop: Header=BB298_10 Depth=1
	v_dual_lshrrev_b32 v5, 3, v18 :: v_dual_bitop2_b32 v4, 7, v3 bitop3:0x40
	s_mov_b32 s18, exec_lo
	v_cmpx_gt_u32_e32 8, v18
; %bb.1006:                             ;   in Loop: Header=BB298_10 Depth=1
	s_delay_alu instid0(VALU_DEP_2) | instskip(NEXT) | instid1(VALU_DEP_1)
	v_clz_i32_u32_e32 v0, v4
	v_min_u32_e32 v0, 32, v0
	s_delay_alu instid0(VALU_DEP_1) | instskip(NEXT) | instid1(VALU_DEP_1)
	v_subrev_nc_u32_e32 v1, 28, v0
	v_lshlrev_b64_e32 v[4:5], v1, v[24:25]
	v_sub_nc_u32_e32 v5, 29, v0
	s_delay_alu instid0(VALU_DEP_2)
	v_and_b32_e32 v4, 7, v4
; %bb.1007:                             ;   in Loop: Header=BB298_10 Depth=1
	s_or_b32 exec_lo, exec_lo, s18
	s_delay_alu instid0(VALU_DEP_1) | instskip(NEXT) | instid1(VALU_DEP_3)
	v_dual_lshlrev_b32 v0, 8, v3 :: v_dual_lshlrev_b32 v4, 7, v4
	v_lshl_add_u32 v1, v5, 10, 0x2000
	s_delay_alu instid0(VALU_DEP_2) | instskip(NEXT) | instid1(VALU_DEP_2)
	v_and_b32_e32 v0, 0x8000, v0
	v_and_b32_e32 v1, 0xfc00, v1
	s_delay_alu instid0(VALU_DEP_1)
	v_or3_b32 v11, v0, v1, v4
.LBB298_1008:                           ;   in Loop: Header=BB298_10 Depth=1
	s_or_b32 exec_lo, exec_lo, s17
.LBB298_1009:                           ;   in Loop: Header=BB298_10 Depth=1
	s_delay_alu instid0(SALU_CYCLE_1)
	s_or_b32 exec_lo, exec_lo, s16
.LBB298_1010:                           ;   in Loop: Header=BB298_10 Depth=1
	s_delay_alu instid0(SALU_CYCLE_1) | instskip(SKIP_3) | instid1(VALU_DEP_2)
	s_or_b32 exec_lo, exec_lo, s15
	v_lshrrev_b16 v24, 8, v24
	v_dual_mov_b32 v20, 0 :: v_dual_mov_b32 v27, 0
	s_mov_b32 s15, exec_lo
	v_cmpx_ne_u16_e32 0, v24
	s_cbranch_execz .LBB298_1018
; %bb.1011:                             ;   in Loop: Header=BB298_10 Depth=1
	v_bfrev_b32_e32 v27, 1
	s_mov_b32 s16, exec_lo
	v_cmpx_ne_u16_e32 0x80, v24
	s_cbranch_execz .LBB298_1017
; %bb.1012:                             ;   in Loop: Header=BB298_10 Depth=1
	v_and_b32_e32 v4, 0xffff, v24
	v_mov_b32_e32 v27, 0x7c010000
	s_mov_b32 s17, exec_lo
	s_delay_alu instid0(VALU_DEP_2) | instskip(NEXT) | instid1(VALU_DEP_1)
	v_and_b32_e32 v34, 0x7f, v4
	v_cmpx_ne_u32_e32 0x7f, v34
	s_cbranch_execz .LBB298_1016
; %bb.1013:                             ;   in Loop: Header=BB298_10 Depth=1
	v_dual_lshrrev_b32 v18, 3, v34 :: v_dual_bitop2_b32 v5, 7, v4 bitop3:0x40
	s_mov_b32 s18, exec_lo
	v_cmpx_gt_u32_e32 8, v34
; %bb.1014:                             ;   in Loop: Header=BB298_10 Depth=1
	s_delay_alu instid0(VALU_DEP_2) | instskip(NEXT) | instid1(VALU_DEP_1)
	v_clz_i32_u32_e32 v0, v5
	v_min_u32_e32 v0, 32, v0
	s_delay_alu instid0(VALU_DEP_1) | instskip(NEXT) | instid1(VALU_DEP_1)
	v_subrev_nc_u32_e32 v1, 28, v0
	v_lshlrev_b64_e32 v[34:35], v1, v[24:25]
	s_delay_alu instid0(VALU_DEP_1)
	v_dual_sub_nc_u32 v18, 29, v0 :: v_dual_bitop2_b32 v5, 7, v34 bitop3:0x40
; %bb.1015:                             ;   in Loop: Header=BB298_10 Depth=1
	s_or_b32 exec_lo, exec_lo, s18
	v_lshlrev_b32_e32 v0, 8, v4
	s_delay_alu instid0(VALU_DEP_2) | instskip(NEXT) | instid1(VALU_DEP_1)
	v_lshl_add_u32 v1, v18, 10, 0x2000
	v_and_or_b32 v0, 0x8000, v0, v1
	v_lshlrev_b32_e32 v1, 23, v5
	s_delay_alu instid0(VALU_DEP_1)
	v_lshl_or_b32 v27, v0, 16, v1
.LBB298_1016:                           ;   in Loop: Header=BB298_10 Depth=1
	s_or_b32 exec_lo, exec_lo, s17
.LBB298_1017:                           ;   in Loop: Header=BB298_10 Depth=1
	s_delay_alu instid0(SALU_CYCLE_1)
	s_or_b32 exec_lo, exec_lo, s16
.LBB298_1018:                           ;   in Loop: Header=BB298_10 Depth=1
	s_delay_alu instid0(SALU_CYCLE_1) | instskip(SKIP_2) | instid1(VALU_DEP_1)
	s_or_b32 exec_lo, exec_lo, s15
	v_lshrrev_b32_e32 v4, 16, v3
	s_mov_b32 s15, exec_lo
	v_and_b32_e32 v5, 0xff, v4
	s_delay_alu instid0(VALU_DEP_1)
	v_cmpx_ne_u16_e32 0, v5
	s_cbranch_execz .LBB298_1026
; %bb.1019:                             ;   in Loop: Header=BB298_10 Depth=1
	v_mov_b32_e32 v20, 0x8000
	s_mov_b32 s16, exec_lo
	v_cmpx_ne_u16_e32 0x80, v5
	s_cbranch_execz .LBB298_1025
; %bb.1020:                             ;   in Loop: Header=BB298_10 Depth=1
	v_bfe_u32 v24, v3, 16, 7
	v_mov_b32_e32 v20, 0x7c01
	s_mov_b32 s17, exec_lo
	s_delay_alu instid0(VALU_DEP_2)
	v_cmpx_ne_u32_e32 0x7f, v24
	s_cbranch_execz .LBB298_1024
; %bb.1021:                             ;   in Loop: Header=BB298_10 Depth=1
	v_and_b32_e32 v5, 7, v4
	v_lshrrev_b32_e32 v18, 3, v24
	s_mov_b32 s18, exec_lo
	v_cmpx_gt_u32_e32 8, v24
; %bb.1022:                             ;   in Loop: Header=BB298_10 Depth=1
	s_delay_alu instid0(VALU_DEP_3) | instskip(NEXT) | instid1(VALU_DEP_1)
	v_clz_i32_u32_e32 v0, v5
	v_min_u32_e32 v0, 32, v0
	s_delay_alu instid0(VALU_DEP_1) | instskip(NEXT) | instid1(VALU_DEP_1)
	v_subrev_nc_u32_e32 v1, 28, v0
	v_lshlrev_b64_e32 v[34:35], v1, v[4:5]
	s_delay_alu instid0(VALU_DEP_1)
	v_dual_sub_nc_u32 v18, 29, v0 :: v_dual_bitop2_b32 v5, 7, v34 bitop3:0x40
; %bb.1023:                             ;   in Loop: Header=BB298_10 Depth=1
	s_or_b32 exec_lo, exec_lo, s18
	s_delay_alu instid0(VALU_DEP_1) | instskip(NEXT) | instid1(VALU_DEP_2)
	v_dual_lshlrev_b32 v0, 8, v4 :: v_dual_lshlrev_b32 v4, 7, v5
	v_lshl_add_u32 v1, v18, 10, 0x2000
	s_delay_alu instid0(VALU_DEP_2) | instskip(NEXT) | instid1(VALU_DEP_2)
	v_and_b32_e32 v0, 0x8000, v0
	v_and_b32_e32 v1, 0xfc00, v1
	s_delay_alu instid0(VALU_DEP_1)
	v_or3_b32 v20, v0, v1, v4
.LBB298_1024:                           ;   in Loop: Header=BB298_10 Depth=1
	s_or_b32 exec_lo, exec_lo, s17
.LBB298_1025:                           ;   in Loop: Header=BB298_10 Depth=1
	s_delay_alu instid0(SALU_CYCLE_1)
	s_or_b32 exec_lo, exec_lo, s16
.LBB298_1026:                           ;   in Loop: Header=BB298_10 Depth=1
	s_delay_alu instid0(SALU_CYCLE_1)
	s_or_b32 exec_lo, exec_lo, s15
	s_clause 0x4
	scratch_store_b32 off, v11, s32 offset:324
	scratch_store_b32 off, v6, s32 offset:320
	;; [unrolled: 1-line block ×5, first 2 shown]
	s_wait_xcnt 0x4
	v_mov_b32_e32 v11, v9
	scratch_store_b32 off, v14, s32 offset:280 ; 4-byte Folded Spill
	s_wait_xcnt 0x0
	v_dual_mov_b32 v14, v29 :: v_dual_mov_b32 v29, v110
	v_dual_mov_b32 v23, v109 :: v_dual_mov_b32 v9, v107
	;; [unrolled: 1-line block ×18, first 2 shown]
	v_mov_b32_e32 v18, 0
	v_cmp_lt_u64_e64 s1, s[2:3], v[2:3]
	s_mov_b32 s15, exec_lo
	v_dual_mov_b32 v12, v37 :: v_dual_mov_b32 v0, v38
	v_mov_b32_e32 v1, v39
	s_and_b32 s1, s15, s1
	s_delay_alu instid0(SALU_CYCLE_1)
	s_mov_b32 exec_lo, s1
	s_cbranch_execz .LBB298_9
; %bb.1027:                             ;   in Loop: Header=BB298_10 Depth=1
	v_lshrrev_b32_e32 v24, 24, v3
	v_bfrev_b32_e32 v18, 1
	s_mov_b32 s16, exec_lo
	s_delay_alu instid0(VALU_DEP_2)
	v_cmpx_ne_u32_e32 0x80, v24
	s_cbranch_execz .LBB298_8
; %bb.1028:                             ;   in Loop: Header=BB298_10 Depth=1
	v_and_b32_e32 v4, 0x7f, v24
	v_mov_b32_e32 v18, 0x7c010000
	s_mov_b32 s17, exec_lo
	s_delay_alu instid0(VALU_DEP_2)
	v_cmpx_ne_u32_e32 0x7f, v4
	s_cbranch_execz .LBB298_7
; %bb.1029:                             ;   in Loop: Header=BB298_10 Depth=1
	v_and_b32_e32 v2, 7, v24
	v_lshrrev_b32_e32 v3, 3, v4
	s_mov_b32 s18, exec_lo
	v_cmpx_gt_u32_e32 8, v4
	s_cbranch_execz .LBB298_6
; %bb.1030:                             ;   in Loop: Header=BB298_10 Depth=1
	v_clz_i32_u32_e32 v0, v2
	s_delay_alu instid0(VALU_DEP_1) | instskip(NEXT) | instid1(VALU_DEP_1)
	v_min_u32_e32 v0, 32, v0
	v_subrev_nc_u32_e32 v1, 28, v0
	s_delay_alu instid0(VALU_DEP_1) | instskip(NEXT) | instid1(VALU_DEP_1)
	v_lshlrev_b64_e32 v[2:3], v1, v[24:25]
	v_dual_sub_nc_u32 v3, 29, v0 :: v_dual_bitop2_b32 v2, 7, v2 bitop3:0x40
	s_branch .LBB298_6
.LBB298_1031:
	s_or_b32 exec_lo, exec_lo, s7
	s_clause 0x1
	scratch_load_b32 v13, off, s32 offset:376
	scratch_load_b32 v10, off, s32 offset:428
.LBB298_1032:
	s_wait_xcnt 0x0
	s_or_b32 exec_lo, exec_lo, s14
	v_mbcnt_lo_u32_b32 v0, -1, 0
	s_delay_alu instid0(VALU_DEP_1) | instskip(SKIP_1) | instid1(VALU_DEP_2)
	v_dual_max_num_f32 v4, v11, v11 :: v_dual_bitop2_b32 v1, 16, v0 bitop3:0x14
	v_xor_b32_e32 v3, 8, v0
	v_cmp_gt_i32_e32 vcc_lo, 32, v1
	v_cndmask_b32_e32 v1, v0, v1, vcc_lo
	s_delay_alu instid0(VALU_DEP_3) | instskip(NEXT) | instid1(VALU_DEP_2)
	v_cmp_gt_i32_e32 vcc_lo, 32, v3
	v_dual_lshlrev_b32 v1, 2, v1 :: v_dual_cndmask_b32 v3, v0, v3, vcc_lo
	ds_bpermute_b32 v2, v1, v11
	s_wait_dscnt 0x0
	v_dual_max_num_f32 v5, v2, v2 :: v_dual_lshlrev_b32 v2, 2, v3
	s_delay_alu instid0(VALU_DEP_1) | instskip(SKIP_4) | instid1(VALU_DEP_1)
	v_dual_max_num_f32 v4, v4, v5 :: v_dual_bitop2_b32 v5, 4, v0 bitop3:0x14
	ds_bpermute_b32 v3, v2, v4
	v_cmp_gt_i32_e32 vcc_lo, 32, v5
	s_wait_dscnt 0x0
	v_dual_cndmask_b32 v5, v0, v5 :: v_dual_max_num_f32 v6, v3, v3
	v_dual_max_num_f32 v4, v4, v6 :: v_dual_lshlrev_b32 v3, 2, v5
	ds_bpermute_b32 v5, v3, v4
	s_wait_dscnt 0x0
	v_dual_max_num_f32 v5, v5, v5 :: v_dual_bitop2_b32 v6, 2, v0 bitop3:0x14
	s_delay_alu instid0(VALU_DEP_1) | instskip(NEXT) | instid1(VALU_DEP_2)
	v_cmp_gt_i32_e32 vcc_lo, 32, v6
	v_max_num_f32_e32 v4, v4, v5
	v_cndmask_b32_e32 v6, v0, v6, vcc_lo
	s_delay_alu instid0(VALU_DEP_1) | instskip(SKIP_3) | instid1(VALU_DEP_1)
	v_lshlrev_b32_e32 v51, 2, v6
	ds_bpermute_b32 v5, v51, v4
	s_wait_dscnt 0x0
	v_dual_max_num_f32 v5, v5, v5 :: v_dual_bitop2_b32 v6, 1, v0 bitop3:0x14
	v_cmp_gt_i32_e32 vcc_lo, 32, v6
	v_cndmask_b32_e32 v6, v0, v6, vcc_lo
	s_delay_alu instid0(VALU_DEP_3)
	v_max_num_f32_e32 v0, v4, v5
	scratch_load_b32 v4, off, s32 offset:372 ; 4-byte Folded Reload
	s_wait_loadcnt 0x0
	v_cmp_eq_u32_e32 vcc_lo, 0, v4
	scratch_load_b32 v4, off, s32 offset:380 ; 4-byte Folded Reload
	s_wait_loadcnt 0x0
	v_dual_lshlrev_b32 v4, 2, v4 :: v_dual_lshlrev_b32 v50, 2, v6
	ds_bpermute_b32 v5, v50, v0
	s_wait_xcnt 0x0
	s_and_saveexec_b32 s1, vcc_lo
	s_cbranch_execz .LBB298_1034
; %bb.1033:
	s_wait_dscnt 0x0
	v_dual_max_num_f32 v5, v5, v5 :: v_dual_max_num_f32 v0, v0, v0
	s_delay_alu instid0(VALU_DEP_1)
	v_max_num_f32_e32 v0, v0, v5
	ds_store_b32 v4, v0 offset:256
.LBB298_1034:
	s_or_b32 exec_lo, exec_lo, s1
	scratch_load_b32 v0, off, s32 offset:372 ; 4-byte Folded Reload
	s_wait_storecnt 0x0
	s_wait_loadcnt_dscnt 0x0
	s_barrier_signal -1
	s_barrier_wait -1
	v_cmp_gt_u32_e64 s1, 4, v0
	v_mov_b32_e32 v0, 0xff7fffff
	s_and_saveexec_b32 s2, s1
; %bb.1035:
	ds_load_b32 v0, v10 offset:256
; %bb.1036:
	s_or_b32 exec_lo, exec_lo, s2
	s_wait_dscnt 0x0
	ds_bpermute_b32 v5, v51, v0
	s_wait_dscnt 0x0
	v_dual_max_num_f32 v0, v0, v0 :: v_dual_max_num_f32 v5, v5, v5
	s_delay_alu instid0(VALU_DEP_1) | instskip(SKIP_3) | instid1(VALU_DEP_1)
	v_max_num_f32_e32 v0, v0, v5
	ds_bpermute_b32 v5, v50, v0
	s_wait_dscnt 0x0
	v_max_num_f32_e32 v5, v5, v5
	v_dual_max_num_f32 v0, v0, v5 :: v_dual_mov_b32 v5, 0
	ds_bpermute_b32 v6, v5, v0
	v_lshlrev_b32_e32 v0, 5, v56
	s_delay_alu instid0(VALU_DEP_1) | instskip(NEXT) | instid1(VALU_DEP_1)
	v_min_i32_e32 v0, v0, v58
	v_cmp_lt_i32_e64 s2, v13, v0
	s_and_saveexec_b32 s14, s2
	s_cbranch_execz .LBB298_1040
; %bb.1037:
	s_ashr_i32 s7, s6, 31
	v_dual_mov_b32 v5, 0 :: v_dual_mov_b32 v8, v13
	s_lshl_b64 s[16:17], s[6:7], 2
	s_mov_b32 s7, 0
	s_add_nc_u64 s[16:17], s[8:9], s[16:17]
	s_load_b32 s3, s[16:17], 0x0
	s_wait_kmcnt 0x0
	v_lshl_add_u32 v7, v13, 2, s3
.LBB298_1038:                           ; =>This Inner Loop Header: Depth=1
	ds_load_b32 v9, v7
	v_add_nc_u32_e32 v8, 0x80, v8
	s_delay_alu instid0(VALU_DEP_1) | instskip(SKIP_3) | instid1(VALU_DEP_1)
	v_cmp_ge_i32_e64 s3, v8, v0
	s_or_b32 s7, s3, s7
	s_wait_dscnt 0x0
	v_sub_f32_e32 v9, v9, v6
	v_mul_f32_e32 v9, 0x3fb8aa3b, v9
	s_delay_alu instid0(VALU_DEP_1)
	v_exp_f32_e32 v9, v9
	ds_store_b32 v7, v9
	v_nop
	v_add_f32_e32 v5, v5, v9
	v_add_nc_u32_e32 v7, 0x200, v7
	s_and_not1_b32 exec_lo, exec_lo, s7
	s_cbranch_execnz .LBB298_1038
; %bb.1039:
	s_or_b32 exec_lo, exec_lo, s7
.LBB298_1040:
	s_delay_alu instid0(SALU_CYCLE_1)
	s_or_b32 exec_lo, exec_lo, s14
	ds_bpermute_b32 v1, v1, v5
	s_wait_dscnt 0x0
	v_add_f32_e32 v1, v5, v1
	ds_bpermute_b32 v2, v2, v1
	s_wait_dscnt 0x0
	v_add_f32_e32 v1, v1, v2
	;; [unrolled: 3-line block ×5, first 2 shown]
	s_and_saveexec_b32 s3, vcc_lo
; %bb.1041:
	ds_store_b32 v4, v1 offset:272
; %bb.1042:
	s_or_b32 exec_lo, exec_lo, s3
	s_wait_dscnt 0x0
	s_barrier_signal -1
	s_barrier_wait -1
	s_and_saveexec_b32 s3, s1
; %bb.1043:
	ds_load_b32 v1, v10 offset:272
; %bb.1044:
	s_or_b32 exec_lo, exec_lo, s3
	s_wait_dscnt 0x0
	ds_bpermute_b32 v2, v51, v1
	s_wait_dscnt 0x0
	v_add_f32_e32 v1, v1, v2
	ds_bpermute_b32 v2, v50, v1
	s_wait_dscnt 0x0
	v_dual_add_f32 v1, v1, v2 :: v_dual_mov_b32 v2, 0
	ds_bpermute_b32 v1, v2, v1
	s_and_saveexec_b32 s1, s2
	s_cbranch_execz .LBB298_1057
; %bb.1045:
	s_wait_dscnt 0x0
	v_add_f32_e32 v1, 0x358637bd, v1
	s_mov_b32 s3, -1
	s_mov_b32 s2, exec_lo
	s_delay_alu instid0(VALU_DEP_1) | instskip(NEXT) | instid1(VALU_DEP_1)
	v_div_scale_f32 v2, null, v1, v1, 1.0
	v_rcp_f32_e32 v4, v2
	v_nop
	s_delay_alu instid0(TRANS32_DEP_1) | instskip(NEXT) | instid1(VALU_DEP_1)
	v_fma_f32 v3, -v2, v4, 1.0
	v_fmac_f32_e32 v4, v3, v4
	v_div_scale_f32 v5, vcc_lo, 1.0, v1, 1.0
	s_delay_alu instid0(VALU_DEP_1) | instskip(NEXT) | instid1(VALU_DEP_1)
	v_mul_f32_e32 v6, v5, v4
	v_fma_f32 v3, -v2, v6, v5
	s_delay_alu instid0(VALU_DEP_1) | instskip(SKIP_1) | instid1(VALU_DEP_2)
	v_fmac_f32_e32 v6, v3, v4
	v_xad_u32 v3, v13, -1, v0
	v_fma_f32 v2, -v2, v6, v5
	s_delay_alu instid0(VALU_DEP_1) | instskip(NEXT) | instid1(VALU_DEP_1)
	v_div_fmas_f32 v2, v2, v4, v6
	v_div_fixup_f32 v2, v2, v1, 1.0
	v_mov_b32_e32 v1, v13
	v_cmpx_lt_u32_e32 0x7f, v3
	s_cbranch_execz .LBB298_1054
; %bb.1046:
	s_delay_alu instid0(VALU_DEP_3) | instskip(NEXT) | instid1(VALU_DEP_1)
	v_dual_lshrrev_b32 v1, 7, v3 :: v_dual_mov_b32 v3, v2
	v_dual_mov_b32 v7, 0 :: v_dual_add_nc_u32 v4, -1, v1
	s_delay_alu instid0(VALU_DEP_1) | instskip(SKIP_1) | instid1(VALU_DEP_2)
	v_lshrrev_b32_e32 v5, 1, v4
	v_cmp_lt_u32_e32 vcc_lo, 13, v4
	v_add_nc_u32_e32 v4, 1, v5
	s_and_saveexec_b32 s3, vcc_lo
	s_cbranch_execz .LBB298_1050
; %bb.1047:
	s_ashr_i32 s7, s6, 31
	s_delay_alu instid0(VALU_DEP_1) | instskip(SKIP_1) | instid1(SALU_CYCLE_1)
	v_and_b32_e32 v5, -8, v4
	s_lshl_b64 s[14:15], s[6:7], 2
	s_add_nc_u64 s[14:15], s[8:9], s[14:15]
	s_load_b32 s7, s[14:15], 0x0
	s_wait_xcnt 0x0
	s_mov_b32 s14, 0
	s_wait_kmcnt 0x0
	v_lshl_add_u32 v6, v13, 2, s7
	s_mov_b32 s7, 0
.LBB298_1048:                           ; =>This Inner Loop Header: Depth=1
	ds_load_2addr_stride64_b32 v[8:9], v6 offset1:2
	ds_load_2addr_stride64_b32 v[10:11], v6 offset0:4 offset1:6
	ds_load_2addr_stride64_b32 v[14:15], v6 offset0:8 offset1:10
	;; [unrolled: 1-line block ×7, first 2 shown]
	s_add_co_i32 s14, s14, 16
	s_delay_alu instid0(SALU_CYCLE_1) | instskip(NEXT) | instid1(VALU_DEP_1)
	v_dual_add_nc_u32 v5, -8, v5 :: v_dual_mov_b32 v7, s14
	v_cmp_eq_u32_e32 vcc_lo, 0, v5
	s_or_b32 s7, vcc_lo, s7
	s_wait_dscnt 0x7
	v_pk_mul_f32 v[8:9], v[2:3], v[8:9]
	s_wait_dscnt 0x6
	v_pk_mul_f32 v[10:11], v[2:3], v[10:11]
	;; [unrolled: 2-line block ×8, first 2 shown]
	ds_store_2addr_stride64_b32 v6, v8, v9 offset1:2
	ds_store_2addr_stride64_b32 v6, v10, v11 offset0:4 offset1:6
	ds_store_2addr_stride64_b32 v6, v14, v15 offset0:8 offset1:10
	;; [unrolled: 1-line block ×7, first 2 shown]
	v_add_nc_u32_e32 v6, 0x2000, v6
	s_and_not1_b32 exec_lo, exec_lo, s7
	s_cbranch_execnz .LBB298_1048
; %bb.1049:
	s_or_b32 exec_lo, exec_lo, s7
	scratch_load_b32 v13, off, s32 offset:376 ; 4-byte Folded Reload
.LBB298_1050:
	s_wait_xcnt 0x0
	s_or_b32 exec_lo, exec_lo, s3
	v_and_b32_e32 v4, 7, v4
	s_mov_b32 s14, 0
	s_mov_b32 s3, exec_lo
	s_delay_alu instid0(VALU_DEP_1)
	v_cmpx_ne_u32_e32 0, v4
	s_cbranch_execz .LBB298_1053
; %bb.1051:
	s_ashr_i32 s7, s6, 31
	s_wait_loadcnt 0x0
	v_dual_lshlrev_b32 v5, 9, v7 :: v_dual_lshlrev_b32 v6, 2, v13
	s_lshl_b64 s[16:17], s[6:7], 2
	s_delay_alu instid0(SALU_CYCLE_1)
	s_add_nc_u64 s[16:17], s[8:9], s[16:17]
	s_load_b32 s7, s[16:17], 0x0
	s_wait_kmcnt 0x0
	v_add3_u32 v5, v5, v6, s7
.LBB298_1052:                           ; =>This Inner Loop Header: Depth=1
	ds_load_2addr_stride64_b32 v[6:7], v5 offset1:2
	v_add_nc_u32_e32 v4, -1, v4
	s_delay_alu instid0(VALU_DEP_1)
	v_cmp_eq_u32_e32 vcc_lo, 0, v4
	s_or_b32 s14, vcc_lo, s14
	s_wait_dscnt 0x0
	v_pk_mul_f32 v[6:7], v[2:3], v[6:7]
	ds_store_2addr_stride64_b32 v5, v6, v7 offset1:2
	v_add_nc_u32_e32 v5, 0x400, v5
	s_and_not1_b32 exec_lo, exec_lo, s14
	s_cbranch_execnz .LBB298_1052
.LBB298_1053:
	s_or_b32 exec_lo, exec_lo, s3
	v_add_nc_u32_e32 v1, 1, v1
	s_delay_alu instid0(VALU_DEP_1) | instskip(NEXT) | instid1(VALU_DEP_1)
	v_and_b32_e32 v3, 0x3fffffe, v1
	v_cmp_ne_u32_e32 vcc_lo, v1, v3
	s_wait_loadcnt 0x0
	v_lshl_add_u32 v1, v3, 7, v13
	s_or_not1_b32 s3, vcc_lo, exec_lo
.LBB298_1054:
	s_or_b32 exec_lo, exec_lo, s2
	s_delay_alu instid0(SALU_CYCLE_1)
	s_and_b32 exec_lo, exec_lo, s3
	s_cbranch_execz .LBB298_1057
; %bb.1055:
	s_ashr_i32 s7, s6, 31
	s_delay_alu instid0(SALU_CYCLE_1) | instskip(NEXT) | instid1(SALU_CYCLE_1)
	s_lshl_b64 s[2:3], s[6:7], 2
	s_add_nc_u64 s[2:3], s[8:9], s[2:3]
	s_load_b32 s2, s[2:3], 0x0
	s_wait_kmcnt 0x0
	v_lshl_add_u32 v3, v1, 2, s2
	s_mov_b32 s2, 0
.LBB298_1056:                           ; =>This Inner Loop Header: Depth=1
	ds_load_b32 v4, v3
	s_wait_dscnt 0x0
	v_dual_mul_f32 v4, v2, v4 :: v_dual_add_nc_u32 v1, 0x80, v1
	s_delay_alu instid0(VALU_DEP_1) | instskip(SKIP_3) | instid1(SALU_CYCLE_1)
	v_cmp_ge_i32_e32 vcc_lo, v1, v0
	ds_store_b32 v3, v4
	v_add_nc_u32_e32 v3, 0x200, v3
	s_or_b32 s2, vcc_lo, s2
	s_and_not1_b32 exec_lo, exec_lo, s2
	s_cbranch_execnz .LBB298_1056
.LBB298_1057:
	s_or_b32 exec_lo, exec_lo, s1
	s_wait_dscnt 0x0
	s_barrier_signal -1
	s_barrier_wait -1
	s_and_saveexec_b32 s1, s0
	s_delay_alu instid0(SALU_CYCLE_1)
	s_xor_b32 s0, exec_lo, s1
	s_cbranch_execz .LBB298_1059
; %bb.1058:
	s_ashr_i32 s7, s6, 31
                                        ; implicit-def: $vgpr0
	s_clause 0x1
	scratch_store_b64 off, v[0:1], s32 offset:256
	; meta instruction
	; meta instruction
	;; [unrolled: 1-line block ×9, first 2 shown]
	scratch_store_b64 off, v[0:1], s32 offset:384
                                        ; implicit-def: $vgpr58
                                        ; implicit-def: $vgpr56
                                        ; implicit-def: $vgpr0
                                        ; kill: killed $vgpr0
.LBB298_1059:
	s_wait_xcnt 0x0
	s_or_saveexec_b32 s1, s0
	v_mov_b64_e32 v[32:33], s[6:7]
	v_dual_mov_b32 v3, 0 :: v_dual_bitop2_b32 v52, 3, v13 bitop3:0x40
	v_dual_mov_b32 v2, 0 :: v_dual_mov_b32 v5, 0
	v_dual_mov_b32 v4, 0 :: v_dual_mov_b32 v9, 0
	;; [unrolled: 1-line block ×7, first 2 shown]
	v_mov_b32_e32 v30, 0
	s_xor_b32 exec_lo, exec_lo, s1
	s_cbranch_execz .LBB298_2119
; %bb.1060:
	scratch_load_b32 v0, off, s32 offset:376 ; 4-byte Folded Reload
	s_ashr_i32 s7, s6, 31
	v_lshlrev_b32_e32 v9, 5, v52
	s_lshl_b64 s[2:3], s[6:7], 2
	v_dual_add_nc_u32 v53, -1, v56 :: v_dual_mov_b32 v13, v58
	s_add_nc_u64 s[2:3], s[8:9], s[2:3]
	v_dual_mov_b32 v20, 0 :: v_dual_mov_b32 v25, 0
	v_dual_mov_b32 v24, 0 :: v_dual_mov_b32 v27, 0
	;; [unrolled: 1-line block ×4, first 2 shown]
	v_mov_b32_e32 v30, 0
	s_mov_b32 s14, 0
	v_dual_mov_b32 v7, 0 :: v_dual_mov_b32 v5, 0
	s_wait_loadcnt 0x0
	v_dual_mov_b32 v21, 0 :: v_dual_lshlrev_b32 v8, 3, v0
	s_clause 0x2
	scratch_load_b64 v[0:1], off, s32 offset:420 th:TH_LOAD_LU
	scratch_load_b64 v[2:3], off, s32 offset:384 th:TH_LOAD_LU
	scratch_load_b32 v64, off, s32 offset:380
	v_mov_b32_e32 v4, 0
	s_load_b32 s0, s[2:3], 0x0
	v_and_b32_e32 v6, 0xf8, v8
	v_dual_mov_b32 v8, 0 :: v_dual_bitop2_b32 v10, 24, v8 bitop3:0x40
	s_wait_xcnt 0x0
	s_mov_b64 s[2:3], 0xffffffffffffff
	s_wait_loadcnt 0x1
	v_add_nc_u64_e32 v[0:1], v[0:1], v[2:3]
	s_wait_loadcnt 0x0
	v_lshl_or_b32 v54, v64, 5, v10
	scratch_load_b64 v[10:11], off, s32 offset:392 th:TH_LOAD_LU ; 8-byte Folded Reload
	v_dual_mov_b32 v3, 0 :: v_dual_mov_b32 v2, 0
	v_add_nc_u64_e32 v[16:17], v[0:1], v[6:7]
	scratch_load_b32 v0, off, s32 offset:408 th:TH_LOAD_LU ; 4-byte Folded Reload
	s_wait_loadcnt 0x0
	v_and_b32_e32 v6, 0x7c, v0
	scratch_load_b64 v[0:1], off, s32 offset:400 th:TH_LOAD_LU ; 8-byte Folded Reload
	s_wait_loadcnt 0x0
	v_lshl_add_u64 v[0:1], v[0:1], 2, v[6:7]
	v_lshl_or_b32 v6, v64, 7, v9
	v_mov_b32_e32 v9, 0
	s_delay_alu instid0(VALU_DEP_3) | instskip(SKIP_1) | instid1(VALU_DEP_3)
	v_add_nc_u64_e32 v[10:11], v[10:11], v[0:1]
	s_wait_kmcnt 0x0
	v_add_nc_u32_e32 v55, s0, v6
	s_branch .LBB298_1062
.LBB298_1061:                           ;   in Loop: Header=BB298_1062 Depth=1
	s_or_b32 exec_lo, exec_lo, s0
	v_dual_add_f32 v0, v48, v49 :: v_dual_add_f32 v1, v45, v46
	v_dual_add_f32 v18, v43, v44 :: v_dual_add_f32 v22, v41, v42
	v_add_f32_e32 v23, v115, v116
	s_delay_alu instid0(VALU_DEP_3) | instskip(SKIP_1) | instid1(VALU_DEP_4)
	v_dual_add_f32 v2, v2, v0 :: v_dual_add_f32 v5, v5, v1
	v_dual_add_f32 v0, v119, v40 :: v_dual_add_f32 v1, v117, v118
	v_add_f32_e32 v9, v9, v22
	v_add_f32_e32 v4, v4, v18
	v_dual_add_f32 v18, v101, v102 :: v_dual_add_f32 v22, v99, v100
	s_delay_alu instid0(VALU_DEP_4) | instskip(SKIP_2) | instid1(VALU_DEP_3)
	v_dual_add_f32 v8, v8, v0 :: v_dual_add_f32 v0, v113, v114
	v_dual_add_f32 v21, v21, v1 :: v_dual_add_f32 v20, v20, v23
	;; [unrolled: 1-line block ×4, first 2 shown]
	;;#ASMSTART
	v_pk_mul_f16 v0, v82, v19;

	;;#ASMEND
	s_delay_alu instid0(VALU_DEP_2)
	v_add_f32_e32 v24, v24, v1
	;;#ASMSTART
	v_pk_mul_f16 v1, v81, v14;

	;;#ASMEND
	;;#ASMSTART
	v_pk_mul_f16 v14, v80, v15;

	;;#ASMEND
	;; [unrolled: 4-line block ×3, first 2 shown]
	;;#ASMSTART
	v_pk_add_f16 v0, v0, v1;

	;;#ASMEND
	;;#ASMSTART
	v_pk_add_f16 v0, v0, v14;

	;;#ASMEND
	;; [unrolled: 4-line block ×3, first 2 shown]
	v_and_b32_e32 v14, 0xffff, v0
	v_dual_lshrrev_b32 v15, 16, v0 :: v_dual_add_f32 v1, v85, v86
	v_add_nc_u32_e32 v64, 4, v64
	;;#ASMSTART
	v_cvt_f32_f16 v14, v14;
	;;#ASMEND
	v_dual_add_f32 v6, v83, v84 :: v_dual_add_nc_u32 v55, 0x200, v55
	;;#ASMSTART
	v_cvt_f32_f16 v15, v15;
	;;#ASMEND
	v_dual_add_f32 v0, v87, v96 :: v_dual_add_f32 v14, v14, v15
	v_add_f32_e32 v31, v31, v1
	v_cmp_ge_i32_e32 vcc_lo, v64, v56
	v_add_nc_u64_e32 v[10:11], 16, v[10:11]
	v_dual_add_f32 v26, v26, v22 :: v_dual_add_f32 v29, v29, v23
	v_dual_add_f32 v28, v28, v0 :: v_dual_add_f32 v30, v30, v6
	v_add_f32_e32 v3, v3, v14
	v_add_nc_u32_e32 v54, 0x80, v54
	s_or_b32 s14, vcc_lo, s14
	s_delay_alu instid0(SALU_CYCLE_1)
	s_and_not1_b32 exec_lo, exec_lo, s14
	s_cbranch_execz .LBB298_2118
.LBB298_1062:                           ; =>This Inner Loop Header: Depth=1
	flat_load_b32 v0, v[10:11]
	ds_load_2addr_b64 v[32:35], v55 offset1:1
	ds_load_2addr_b64 v[36:39], v55 offset0:2 offset1:3
	scratch_load_b64 v[14:15], off, s32 offset:256 ; 8-byte Folded Reload
	s_mov_b32 s0, exec_lo
	s_wait_dscnt 0x1
	;;#ASMSTART
	v_cvt_f16_f32 v81, v32;

	;;#ASMEND
	;;#ASMSTART
	v_cvt_f16_f32 v71, v33;

	;;#ASMEND
	;; [unrolled: 4-line block ×4, first 2 shown]
	s_wait_dscnt 0x0
	;;#ASMSTART
	v_cvt_f16_f32 v85, v36;

	;;#ASMEND
	;;#ASMSTART
	v_cvt_f16_f32 v83, v37;

	;;#ASMEND
	;; [unrolled: 4-line block ×4, first 2 shown]
	s_wait_loadcnt 0x0
	v_mad_nc_i64_i32 v[14:15], v0, v14, v[16:17]
	flat_load_b64 v[34:35], v[14:15]
	scratch_load_b64 v[0:1], off, s32 offset:192 ; 8-byte Folded Reload
	s_wait_loadcnt 0x0
	flat_load_b32 v32, v[0:1]
	s_wait_dscnt 0x1
	s_wait_xcnt 0x0
	v_and_b32_e32 v1, 0xff, v34
	v_mov_b32_e32 v0, 0
	s_delay_alu instid0(VALU_DEP_2)
	v_cmpx_ne_u16_e32 0, v1
	s_cbranch_execz .LBB298_1070
; %bb.1063:                             ;   in Loop: Header=BB298_1062 Depth=1
	v_mov_b32_e32 v0, 0x8000
	s_mov_b32 s15, exec_lo
	v_cmpx_ne_u16_e32 0x80, v1
	s_cbranch_execz .LBB298_1069
; %bb.1064:                             ;   in Loop: Header=BB298_1062 Depth=1
	v_and_b32_e32 v6, 0x7f, v34
	v_mov_b32_e32 v0, 0x7c01
	s_mov_b32 s16, exec_lo
	s_delay_alu instid0(VALU_DEP_2)
	v_cmpx_ne_u32_e32 0x7f, v6
	s_cbranch_execz .LBB298_1068
; %bb.1065:                             ;   in Loop: Header=BB298_1062 Depth=1
	v_and_b32_e32 v0, 7, v34
	v_lshrrev_b32_e32 v1, 3, v6
	s_mov_b32 s17, exec_lo
	v_cmpx_gt_u32_e32 8, v6
; %bb.1066:                             ;   in Loop: Header=BB298_1062 Depth=1
	s_delay_alu instid0(VALU_DEP_3) | instskip(NEXT) | instid1(VALU_DEP_1)
	v_clz_i32_u32_e32 v0, v0
	v_min_u32_e32 v6, 32, v0
	s_delay_alu instid0(VALU_DEP_1) | instskip(NEXT) | instid1(VALU_DEP_1)
	v_subrev_nc_u32_e32 v0, 28, v6
	v_lshlrev_b64_e32 v[0:1], v0, v[34:35]
	s_delay_alu instid0(VALU_DEP_1)
	v_dual_sub_nc_u32 v1, 29, v6 :: v_dual_bitop2_b32 v0, 7, v0 bitop3:0x40
; %bb.1067:                             ;   in Loop: Header=BB298_1062 Depth=1
	s_or_b32 exec_lo, exec_lo, s17
	s_delay_alu instid0(VALU_DEP_1) | instskip(NEXT) | instid1(VALU_DEP_2)
	v_dual_lshlrev_b32 v6, 8, v34 :: v_dual_lshlrev_b32 v0, 7, v0
	v_lshl_add_u32 v1, v1, 10, 0x2000
	s_delay_alu instid0(VALU_DEP_2) | instskip(NEXT) | instid1(VALU_DEP_2)
	v_and_b32_e32 v6, 0x8000, v6
	v_and_b32_e32 v1, 0xfc00, v1
	s_delay_alu instid0(VALU_DEP_1)
	v_or3_b32 v0, v6, v1, v0
.LBB298_1068:                           ;   in Loop: Header=BB298_1062 Depth=1
	s_or_b32 exec_lo, exec_lo, s16
.LBB298_1069:                           ;   in Loop: Header=BB298_1062 Depth=1
	s_delay_alu instid0(SALU_CYCLE_1)
	s_or_b32 exec_lo, exec_lo, s15
.LBB298_1070:                           ;   in Loop: Header=BB298_1062 Depth=1
	s_delay_alu instid0(SALU_CYCLE_1) | instskip(SKIP_3) | instid1(VALU_DEP_2)
	s_or_b32 exec_lo, exec_lo, s0
	v_lshrrev_b16 v6, 8, v34
	v_dual_mov_b32 v1, 0 :: v_dual_mov_b32 v18, 0
	s_mov_b32 s0, exec_lo
	v_cmpx_ne_u16_e32 0, v6
	s_cbranch_execz .LBB298_1078
; %bb.1071:                             ;   in Loop: Header=BB298_1062 Depth=1
	v_bfrev_b32_e32 v18, 1
	s_mov_b32 s15, exec_lo
	v_cmpx_ne_u16_e32 0x80, v6
	s_cbranch_execz .LBB298_1077
; %bb.1072:                             ;   in Loop: Header=BB298_1062 Depth=1
	v_and_b32_e32 v19, 0xffff, v6
	v_mov_b32_e32 v18, 0x7c010000
	s_mov_b32 s16, exec_lo
	s_delay_alu instid0(VALU_DEP_2) | instskip(NEXT) | instid1(VALU_DEP_1)
	v_and_b32_e32 v23, 0x7f, v19
	v_cmpx_ne_u32_e32 0x7f, v23
	s_cbranch_execz .LBB298_1076
; %bb.1073:                             ;   in Loop: Header=BB298_1062 Depth=1
	v_and_b32_e32 v18, 7, v19
	v_lshrrev_b32_e32 v22, 3, v23
	s_mov_b32 s17, exec_lo
	v_cmpx_gt_u32_e32 8, v23
; %bb.1074:                             ;   in Loop: Header=BB298_1062 Depth=1
	s_delay_alu instid0(VALU_DEP_3) | instskip(NEXT) | instid1(VALU_DEP_1)
	v_clz_i32_u32_e32 v18, v18
	v_min_u32_e32 v18, 32, v18
	s_delay_alu instid0(VALU_DEP_1) | instskip(NEXT) | instid1(VALU_DEP_1)
	v_subrev_nc_u32_e32 v22, 28, v18
	v_lshlrev_b64_e32 v[36:37], v22, v[6:7]
	s_delay_alu instid0(VALU_DEP_1)
	v_dual_sub_nc_u32 v22, 29, v18 :: v_dual_bitop2_b32 v18, 7, v36 bitop3:0x40
; %bb.1075:                             ;   in Loop: Header=BB298_1062 Depth=1
	s_or_b32 exec_lo, exec_lo, s17
	s_delay_alu instid0(VALU_DEP_1) | instskip(NEXT) | instid1(VALU_DEP_2)
	v_dual_lshlrev_b32 v6, 8, v19 :: v_dual_lshlrev_b32 v18, 23, v18
	v_lshl_add_u32 v19, v22, 10, 0x2000
	s_delay_alu instid0(VALU_DEP_1) | instskip(NEXT) | instid1(VALU_DEP_1)
	v_and_or_b32 v6, 0x8000, v6, v19
	v_lshl_or_b32 v18, v6, 16, v18
.LBB298_1076:                           ;   in Loop: Header=BB298_1062 Depth=1
	s_or_b32 exec_lo, exec_lo, s16
.LBB298_1077:                           ;   in Loop: Header=BB298_1062 Depth=1
	s_delay_alu instid0(SALU_CYCLE_1)
	s_or_b32 exec_lo, exec_lo, s15
.LBB298_1078:                           ;   in Loop: Header=BB298_1062 Depth=1
	s_delay_alu instid0(SALU_CYCLE_1) | instskip(SKIP_2) | instid1(VALU_DEP_1)
	s_or_b32 exec_lo, exec_lo, s0
	v_lshrrev_b32_e32 v6, 16, v34
	s_mov_b32 s0, exec_lo
	v_and_b32_e32 v19, 0xff, v6
	s_delay_alu instid0(VALU_DEP_1)
	v_cmpx_ne_u16_e32 0, v19
	s_cbranch_execz .LBB298_1086
; %bb.1079:                             ;   in Loop: Header=BB298_1062 Depth=1
	v_mov_b32_e32 v1, 0x8000
	s_mov_b32 s15, exec_lo
	v_cmpx_ne_u16_e32 0x80, v19
	s_cbranch_execz .LBB298_1085
; %bb.1080:                             ;   in Loop: Header=BB298_1062 Depth=1
	v_bfe_u32 v22, v34, 16, 7
	v_mov_b32_e32 v1, 0x7c01
	s_mov_b32 s16, exec_lo
	s_delay_alu instid0(VALU_DEP_2)
	v_cmpx_ne_u32_e32 0x7f, v22
	s_cbranch_execz .LBB298_1084
; %bb.1081:                             ;   in Loop: Header=BB298_1062 Depth=1
	v_and_b32_e32 v1, 7, v6
	v_lshrrev_b32_e32 v19, 3, v22
	s_mov_b32 s17, exec_lo
	v_cmpx_gt_u32_e32 8, v22
; %bb.1082:                             ;   in Loop: Header=BB298_1062 Depth=1
	s_delay_alu instid0(VALU_DEP_3) | instskip(NEXT) | instid1(VALU_DEP_1)
	v_clz_i32_u32_e32 v1, v1
	v_min_u32_e32 v1, 32, v1
	s_delay_alu instid0(VALU_DEP_1) | instskip(NEXT) | instid1(VALU_DEP_1)
	v_subrev_nc_u32_e32 v19, 28, v1
	v_lshlrev_b64_e32 v[22:23], v19, v[6:7]
	s_delay_alu instid0(VALU_DEP_1)
	v_dual_sub_nc_u32 v19, 29, v1 :: v_dual_bitop2_b32 v1, 7, v22 bitop3:0x40
; %bb.1083:                             ;   in Loop: Header=BB298_1062 Depth=1
	s_or_b32 exec_lo, exec_lo, s17
	s_delay_alu instid0(VALU_DEP_1) | instskip(NEXT) | instid1(VALU_DEP_2)
	v_dual_lshlrev_b32 v6, 8, v6 :: v_dual_lshlrev_b32 v1, 7, v1
	v_lshl_add_u32 v19, v19, 10, 0x2000
	s_delay_alu instid0(VALU_DEP_2) | instskip(NEXT) | instid1(VALU_DEP_2)
	v_and_b32_e32 v6, 0x8000, v6
	v_and_b32_e32 v19, 0xfc00, v19
	s_delay_alu instid0(VALU_DEP_1)
	v_or3_b32 v1, v6, v19, v1
.LBB298_1084:                           ;   in Loop: Header=BB298_1062 Depth=1
	s_or_b32 exec_lo, exec_lo, s16
.LBB298_1085:                           ;   in Loop: Header=BB298_1062 Depth=1
	s_delay_alu instid0(SALU_CYCLE_1)
	s_or_b32 exec_lo, exec_lo, s15
.LBB298_1086:                           ;   in Loop: Header=BB298_1062 Depth=1
	s_delay_alu instid0(SALU_CYCLE_1)
	s_or_b32 exec_lo, exec_lo, s0
	v_dual_mov_b32 v19, 0 :: v_dual_mov_b32 v22, 0
	s_mov_b32 s0, exec_lo
	v_cmpx_lt_u32_e32 0xffffff, v34
	s_cbranch_execz .LBB298_1094
; %bb.1087:                             ;   in Loop: Header=BB298_1062 Depth=1
	v_lshrrev_b32_e32 v6, 24, v34
	v_bfrev_b32_e32 v22, 1
	s_mov_b32 s15, exec_lo
	s_delay_alu instid0(VALU_DEP_2)
	v_cmpx_ne_u32_e32 0x80, v6
	s_cbranch_execz .LBB298_1093
; %bb.1088:                             ;   in Loop: Header=BB298_1062 Depth=1
	v_and_b32_e32 v33, 0x7f, v6
	v_mov_b32_e32 v22, 0x7c010000
	s_mov_b32 s16, exec_lo
	s_delay_alu instid0(VALU_DEP_2)
	v_cmpx_ne_u32_e32 0x7f, v33
	s_cbranch_execz .LBB298_1092
; %bb.1089:                             ;   in Loop: Header=BB298_1062 Depth=1
	v_dual_lshrrev_b32 v23, 3, v33 :: v_dual_bitop2_b32 v22, 7, v6 bitop3:0x40
	s_mov_b32 s17, exec_lo
	v_cmpx_gt_u32_e32 8, v33
; %bb.1090:                             ;   in Loop: Header=BB298_1062 Depth=1
	s_delay_alu instid0(VALU_DEP_2) | instskip(NEXT) | instid1(VALU_DEP_1)
	v_clz_i32_u32_e32 v22, v22
	v_min_u32_e32 v33, 32, v22
	s_delay_alu instid0(VALU_DEP_1) | instskip(NEXT) | instid1(VALU_DEP_1)
	v_subrev_nc_u32_e32 v22, 28, v33
	v_lshlrev_b64_e32 v[22:23], v22, v[6:7]
	s_delay_alu instid0(VALU_DEP_1)
	v_dual_sub_nc_u32 v23, 29, v33 :: v_dual_bitop2_b32 v22, 7, v22 bitop3:0x40
; %bb.1091:                             ;   in Loop: Header=BB298_1062 Depth=1
	s_or_b32 exec_lo, exec_lo, s17
	v_lshlrev_b32_e32 v6, 8, v6
	s_delay_alu instid0(VALU_DEP_2) | instskip(NEXT) | instid1(VALU_DEP_3)
	v_lshl_add_u32 v23, v23, 10, 0x2000
	v_lshlrev_b32_e32 v22, 23, v22
	s_delay_alu instid0(VALU_DEP_2) | instskip(NEXT) | instid1(VALU_DEP_1)
	v_and_or_b32 v6, 0x8000, v6, v23
	v_lshl_or_b32 v22, v6, 16, v22
.LBB298_1092:                           ;   in Loop: Header=BB298_1062 Depth=1
	s_or_b32 exec_lo, exec_lo, s16
.LBB298_1093:                           ;   in Loop: Header=BB298_1062 Depth=1
	s_delay_alu instid0(SALU_CYCLE_1)
	s_or_b32 exec_lo, exec_lo, s15
.LBB298_1094:                           ;   in Loop: Header=BB298_1062 Depth=1
	s_delay_alu instid0(SALU_CYCLE_1) | instskip(SKIP_3) | instid1(VALU_DEP_2)
	s_or_b32 exec_lo, exec_lo, s0
	v_and_b32_e32 v23, 0xff, v35
	v_mov_b32_e32 v6, v35
	s_mov_b32 s0, exec_lo
	v_cmpx_ne_u16_e32 0, v23
	s_cbranch_execz .LBB298_1102
; %bb.1095:                             ;   in Loop: Header=BB298_1062 Depth=1
	v_mov_b32_e32 v19, 0x8000
	s_mov_b32 s15, exec_lo
	v_cmpx_ne_u16_e32 0x80, v23
	s_cbranch_execz .LBB298_1101
; %bb.1096:                             ;   in Loop: Header=BB298_1062 Depth=1
	v_and_b32_e32 v33, 0x7f, v35
	v_mov_b32_e32 v19, 0x7c01
	s_mov_b32 s16, exec_lo
	s_delay_alu instid0(VALU_DEP_2)
	v_cmpx_ne_u32_e32 0x7f, v33
	s_cbranch_execz .LBB298_1100
; %bb.1097:                             ;   in Loop: Header=BB298_1062 Depth=1
	v_dual_lshrrev_b32 v23, 3, v33 :: v_dual_bitop2_b32 v19, 7, v35 bitop3:0x40
	s_mov_b32 s17, exec_lo
	v_cmpx_gt_u32_e32 8, v33
; %bb.1098:                             ;   in Loop: Header=BB298_1062 Depth=1
	s_delay_alu instid0(VALU_DEP_2) | instskip(NEXT) | instid1(VALU_DEP_1)
	v_clz_i32_u32_e32 v19, v19
	v_min_u32_e32 v19, 32, v19
	s_delay_alu instid0(VALU_DEP_1) | instskip(NEXT) | instid1(VALU_DEP_1)
	v_subrev_nc_u32_e32 v23, 28, v19
	v_lshlrev_b64_e32 v[36:37], v23, v[6:7]
	s_delay_alu instid0(VALU_DEP_1)
	v_dual_sub_nc_u32 v23, 29, v19 :: v_dual_bitop2_b32 v19, 7, v36 bitop3:0x40
; %bb.1099:                             ;   in Loop: Header=BB298_1062 Depth=1
	s_or_b32 exec_lo, exec_lo, s17
	v_lshlrev_b32_e32 v33, 8, v35
	s_delay_alu instid0(VALU_DEP_2) | instskip(NEXT) | instid1(VALU_DEP_3)
	v_lshl_add_u32 v23, v23, 10, 0x2000
	v_lshlrev_b32_e32 v19, 7, v19
	s_delay_alu instid0(VALU_DEP_3) | instskip(NEXT) | instid1(VALU_DEP_3)
	v_and_b32_e32 v33, 0x8000, v33
	v_and_b32_e32 v23, 0xfc00, v23
	s_delay_alu instid0(VALU_DEP_1)
	v_or3_b32 v19, v33, v23, v19
.LBB298_1100:                           ;   in Loop: Header=BB298_1062 Depth=1
	s_or_b32 exec_lo, exec_lo, s16
.LBB298_1101:                           ;   in Loop: Header=BB298_1062 Depth=1
	s_delay_alu instid0(SALU_CYCLE_1)
	s_or_b32 exec_lo, exec_lo, s15
.LBB298_1102:                           ;   in Loop: Header=BB298_1062 Depth=1
	s_delay_alu instid0(SALU_CYCLE_1) | instskip(SKIP_3) | instid1(VALU_DEP_2)
	s_or_b32 exec_lo, exec_lo, s0
	v_lshrrev_b16 v6, 8, v6
	v_dual_mov_b32 v33, 0 :: v_dual_mov_b32 v23, 0
	s_mov_b32 s0, exec_lo
	v_cmpx_ne_u16_e32 0, v6
	s_cbranch_execz .LBB298_1110
; %bb.1103:                             ;   in Loop: Header=BB298_1062 Depth=1
	v_bfrev_b32_e32 v23, 1
	s_mov_b32 s15, exec_lo
	v_cmpx_ne_u16_e32 0x80, v6
	s_cbranch_execz .LBB298_1109
; %bb.1104:                             ;   in Loop: Header=BB298_1062 Depth=1
	v_and_b32_e32 v36, 0xffff, v6
	v_mov_b32_e32 v23, 0x7c010000
	s_mov_b32 s16, exec_lo
	s_delay_alu instid0(VALU_DEP_2) | instskip(NEXT) | instid1(VALU_DEP_1)
	v_and_b32_e32 v38, 0x7f, v36
	v_cmpx_ne_u32_e32 0x7f, v38
	s_cbranch_execz .LBB298_1108
; %bb.1105:                             ;   in Loop: Header=BB298_1062 Depth=1
	v_dual_lshrrev_b32 v37, 3, v38 :: v_dual_bitop2_b32 v23, 7, v36 bitop3:0x40
	s_mov_b32 s17, exec_lo
	v_cmpx_gt_u32_e32 8, v38
; %bb.1106:                             ;   in Loop: Header=BB298_1062 Depth=1
	s_delay_alu instid0(VALU_DEP_2) | instskip(NEXT) | instid1(VALU_DEP_1)
	v_clz_i32_u32_e32 v23, v23
	v_min_u32_e32 v23, 32, v23
	s_delay_alu instid0(VALU_DEP_1) | instskip(NEXT) | instid1(VALU_DEP_1)
	v_subrev_nc_u32_e32 v37, 28, v23
	v_lshlrev_b64_e32 v[38:39], v37, v[6:7]
	s_delay_alu instid0(VALU_DEP_1)
	v_dual_sub_nc_u32 v37, 29, v23 :: v_dual_bitop2_b32 v23, 7, v38 bitop3:0x40
; %bb.1107:                             ;   in Loop: Header=BB298_1062 Depth=1
	s_or_b32 exec_lo, exec_lo, s17
	s_delay_alu instid0(VALU_DEP_1) | instskip(NEXT) | instid1(VALU_DEP_2)
	v_dual_lshlrev_b32 v6, 8, v36 :: v_dual_lshlrev_b32 v23, 23, v23
	v_lshl_add_u32 v36, v37, 10, 0x2000
	s_delay_alu instid0(VALU_DEP_1) | instskip(NEXT) | instid1(VALU_DEP_1)
	v_and_or_b32 v6, 0x8000, v6, v36
	v_lshl_or_b32 v23, v6, 16, v23
.LBB298_1108:                           ;   in Loop: Header=BB298_1062 Depth=1
	s_or_b32 exec_lo, exec_lo, s16
.LBB298_1109:                           ;   in Loop: Header=BB298_1062 Depth=1
	s_delay_alu instid0(SALU_CYCLE_1)
	s_or_b32 exec_lo, exec_lo, s15
.LBB298_1110:                           ;   in Loop: Header=BB298_1062 Depth=1
	s_delay_alu instid0(SALU_CYCLE_1) | instskip(SKIP_2) | instid1(VALU_DEP_1)
	s_or_b32 exec_lo, exec_lo, s0
	v_lshrrev_b32_e32 v6, 16, v35
	s_mov_b32 s0, exec_lo
	v_and_b32_e32 v36, 0xff, v6
	s_delay_alu instid0(VALU_DEP_1)
	v_cmpx_ne_u16_e32 0, v36
	s_cbranch_execz .LBB298_1118
; %bb.1111:                             ;   in Loop: Header=BB298_1062 Depth=1
	v_mov_b32_e32 v33, 0x8000
	s_mov_b32 s15, exec_lo
	v_cmpx_ne_u16_e32 0x80, v36
	s_cbranch_execz .LBB298_1117
; %bb.1112:                             ;   in Loop: Header=BB298_1062 Depth=1
	v_bfe_u32 v37, v35, 16, 7
	v_mov_b32_e32 v33, 0x7c01
	s_mov_b32 s16, exec_lo
	s_delay_alu instid0(VALU_DEP_2)
	v_cmpx_ne_u32_e32 0x7f, v37
	s_cbranch_execz .LBB298_1116
; %bb.1113:                             ;   in Loop: Header=BB298_1062 Depth=1
	v_dual_lshrrev_b32 v36, 3, v37 :: v_dual_bitop2_b32 v33, 7, v6 bitop3:0x40
	s_mov_b32 s17, exec_lo
	v_cmpx_gt_u32_e32 8, v37
; %bb.1114:                             ;   in Loop: Header=BB298_1062 Depth=1
	s_delay_alu instid0(VALU_DEP_2) | instskip(NEXT) | instid1(VALU_DEP_1)
	v_clz_i32_u32_e32 v33, v33
	v_min_u32_e32 v33, 32, v33
	s_delay_alu instid0(VALU_DEP_1) | instskip(NEXT) | instid1(VALU_DEP_1)
	v_subrev_nc_u32_e32 v36, 28, v33
	v_lshlrev_b64_e32 v[38:39], v36, v[6:7]
	s_delay_alu instid0(VALU_DEP_1)
	v_dual_sub_nc_u32 v36, 29, v33 :: v_dual_bitop2_b32 v33, 7, v38 bitop3:0x40
; %bb.1115:                             ;   in Loop: Header=BB298_1062 Depth=1
	s_or_b32 exec_lo, exec_lo, s17
	s_delay_alu instid0(VALU_DEP_1) | instskip(NEXT) | instid1(VALU_DEP_2)
	v_dual_lshlrev_b32 v6, 8, v6 :: v_dual_lshlrev_b32 v33, 7, v33
	v_lshl_add_u32 v36, v36, 10, 0x2000
	s_delay_alu instid0(VALU_DEP_2) | instskip(NEXT) | instid1(VALU_DEP_2)
	v_and_b32_e32 v6, 0x8000, v6
	v_and_b32_e32 v36, 0xfc00, v36
	s_delay_alu instid0(VALU_DEP_1)
	v_or3_b32 v33, v6, v36, v33
.LBB298_1116:                           ;   in Loop: Header=BB298_1062 Depth=1
	s_or_b32 exec_lo, exec_lo, s16
.LBB298_1117:                           ;   in Loop: Header=BB298_1062 Depth=1
	s_delay_alu instid0(SALU_CYCLE_1)
	s_or_b32 exec_lo, exec_lo, s15
.LBB298_1118:                           ;   in Loop: Header=BB298_1062 Depth=1
	s_delay_alu instid0(SALU_CYCLE_1)
	s_or_b32 exec_lo, exec_lo, s0
	v_cmp_lt_u64_e32 vcc_lo, s[2:3], v[34:35]
	v_mov_b32_e32 v34, 0
	s_and_saveexec_b32 s0, vcc_lo
	s_cbranch_execz .LBB298_1126
; %bb.1119:                             ;   in Loop: Header=BB298_1062 Depth=1
	v_lshrrev_b32_e32 v6, 24, v35
	v_bfrev_b32_e32 v34, 1
	s_mov_b32 s15, exec_lo
	s_delay_alu instid0(VALU_DEP_2)
	v_cmpx_ne_u32_e32 0x80, v6
	s_cbranch_execz .LBB298_1125
; %bb.1120:                             ;   in Loop: Header=BB298_1062 Depth=1
	v_and_b32_e32 v36, 0x7f, v6
	v_mov_b32_e32 v34, 0x7c010000
	s_mov_b32 s16, exec_lo
	s_delay_alu instid0(VALU_DEP_2)
	v_cmpx_ne_u32_e32 0x7f, v36
	s_cbranch_execz .LBB298_1124
; %bb.1121:                             ;   in Loop: Header=BB298_1062 Depth=1
	v_dual_lshrrev_b32 v35, 3, v36 :: v_dual_bitop2_b32 v34, 7, v6 bitop3:0x40
	s_mov_b32 s17, exec_lo
	v_cmpx_gt_u32_e32 8, v36
; %bb.1122:                             ;   in Loop: Header=BB298_1062 Depth=1
	s_delay_alu instid0(VALU_DEP_2) | instskip(NEXT) | instid1(VALU_DEP_1)
	v_clz_i32_u32_e32 v34, v34
	v_min_u32_e32 v36, 32, v34
	s_delay_alu instid0(VALU_DEP_1) | instskip(NEXT) | instid1(VALU_DEP_1)
	v_subrev_nc_u32_e32 v34, 28, v36
	v_lshlrev_b64_e32 v[34:35], v34, v[6:7]
	s_delay_alu instid0(VALU_DEP_1)
	v_dual_sub_nc_u32 v35, 29, v36 :: v_dual_bitop2_b32 v34, 7, v34 bitop3:0x40
; %bb.1123:                             ;   in Loop: Header=BB298_1062 Depth=1
	s_or_b32 exec_lo, exec_lo, s17
	v_lshlrev_b32_e32 v6, 8, v6
	s_delay_alu instid0(VALU_DEP_2) | instskip(NEXT) | instid1(VALU_DEP_3)
	v_lshl_add_u32 v35, v35, 10, 0x2000
	v_lshlrev_b32_e32 v34, 23, v34
	s_delay_alu instid0(VALU_DEP_2) | instskip(NEXT) | instid1(VALU_DEP_1)
	v_and_or_b32 v6, 0x8000, v6, v35
	v_lshl_or_b32 v34, v6, 16, v34
.LBB298_1124:                           ;   in Loop: Header=BB298_1062 Depth=1
	s_or_b32 exec_lo, exec_lo, s16
.LBB298_1125:                           ;   in Loop: Header=BB298_1062 Depth=1
	s_delay_alu instid0(SALU_CYCLE_1)
	s_or_b32 exec_lo, exec_lo, s15
.LBB298_1126:                           ;   in Loop: Header=BB298_1062 Depth=1
	s_delay_alu instid0(SALU_CYCLE_1) | instskip(SKIP_3) | instid1(VALU_DEP_3)
	s_or_b32 exec_lo, exec_lo, s0
	v_dual_lshrrev_b32 v6, 16, v18 :: v_dual_bitop2_b32 v36, v18, v0 bitop3:0x54
	v_dual_lshrrev_b32 v35, 16, v22 :: v_dual_bitop2_b32 v18, v22, v1 bitop3:0x54
	v_cmp_eq_u32_e32 vcc_lo, v53, v64
	v_cvt_f32_f16_e32 v1, v6
	v_dual_lshrrev_b32 v22, 16, v23 :: v_dual_bitop2_b32 v6, v34, v33 bitop3:0x54
	s_delay_alu instid0(VALU_DEP_4)
	v_cvt_f32_f16_e32 v0, v35
	v_dual_lshrrev_b32 v33, 16, v34 :: v_dual_bitop2_b32 v35, v23, v19 bitop3:0x54
	v_cvt_f32_f16_e32 v18, v18
	v_cvt_f32_f16_e32 v19, v36
	;; [unrolled: 1-line block ×3, first 2 shown]
	s_wait_loadcnt_dscnt 0x0
	v_pk_mul_f32 v[0:1], v[32:33], v[0:1] op_sel_hi:[0,1]
	v_cvt_f32_f16_e32 v22, v33
	v_cvt_f32_f16_e32 v34, v6
	;; [unrolled: 1-line block ×3, first 2 shown]
	v_pk_mul_f32 v[18:19], v[32:33], v[18:19] op_sel_hi:[0,1]
	v_cvt_pk_f16_f32 v6, v0, v1
	v_pk_mul_f32 v[0:1], v[32:33], v[22:23] op_sel_hi:[0,1]
	v_or_b32_e32 v69, 1, v54
	v_pk_mul_f32 v[22:23], v[32:33], v[34:35] op_sel_hi:[0,1]
	v_cvt_pk_f16_f32 v18, v18, v19
	v_and_b32_e32 v39, 0xffff0000, v6
	v_cvt_pk_f16_f32 v0, v0, v1
	v_lshlrev_b32_e32 v38, 16, v6
	v_cvt_pk_f16_f32 v1, v22, v23
	v_lshrrev_b32_e32 v49, 16, v18
	v_and_b32_e32 v48, 0xffff, v18
	v_and_b32_e32 v19, 0xffff0000, v0
	s_delay_alu instid0(VALU_DEP_4) | instskip(SKIP_3) | instid1(VALU_DEP_4)
	v_dual_lshlrev_b32 v6, 16, v0 :: v_dual_lshrrev_b32 v37, 16, v1
	v_and_b32_e32 v36, 0xffff, v1
	v_dual_add_nc_u32 v70, 2, v54 :: v_dual_bitop2_b32 v35, v39, v49 bitop3:0x54
	v_or_b32_e32 v34, v38, v48
	v_or_b32_e32 v33, v19, v37
	s_delay_alu instid0(VALU_DEP_4)
	v_or_b32_e32 v32, v6, v36
	v_or_b32_e32 v68, 3, v54
	;; [unrolled: 1-line block ×6, first 2 shown]
	s_and_saveexec_b32 s15, vcc_lo
	s_cbranch_execz .LBB298_1128
; %bb.1127:                             ;   in Loop: Header=BB298_1062 Depth=1
	v_cmp_lt_i32_e64 s0, v54, v13
	s_delay_alu instid0(VALU_DEP_1) | instskip(SKIP_1) | instid1(VALU_DEP_1)
	v_cndmask_b32_e64 v1, 0, v49, s0
	v_cmp_lt_i32_e64 s0, v70, v58
	v_cndmask_b32_e64 v18, 0, v48, s0
	v_cmp_lt_i32_e64 s0, v69, v13
	s_delay_alu instid0(VALU_DEP_1) | instskip(SKIP_1) | instid1(VALU_DEP_1)
	v_cndmask_b32_e64 v22, 0, v39, s0
	v_cmp_lt_i32_e64 s0, v68, v58
	v_cndmask_b32_e64 v23, 0, v38, s0
	v_cmp_lt_i32_e64 s0, v67, v13
	s_delay_alu instid0(VALU_DEP_4) | instskip(NEXT) | instid1(VALU_DEP_2)
	v_or_b32_e32 v35, v1, v22
	v_dual_cndmask_b32 v32, 0, v37, s0 :: v_dual_bitop2_b32 v34, v18, v23 bitop3:0x54
	v_cmp_lt_i32_e64 s0, v66, v58
	s_delay_alu instid0(VALU_DEP_1) | instskip(SKIP_1) | instid1(VALU_DEP_1)
	v_cndmask_b32_e64 v36, 0, v36, s0
	v_cmp_lt_i32_e64 s0, v65, v13
	v_cndmask_b32_e64 v19, 0, v19, s0
	v_cmp_lt_i32_e64 s0, v0, v58
	s_delay_alu instid0(VALU_DEP_1) | instskip(NEXT) | instid1(VALU_DEP_1)
	v_dual_cndmask_b32 v6, 0, v6, s0 :: v_dual_bitop2_b32 v33, v32, v19 bitop3:0x54
	v_or_b32_e32 v32, v36, v6
.LBB298_1128:                           ;   in Loop: Header=BB298_1062 Depth=1
	s_or_b32 exec_lo, exec_lo, s15
	v_and_b32_e32 v1, 0xffff, v81
	v_and_b32_e32 v6, 0xffff, v82
	;; [unrolled: 1-line block ×4, first 2 shown]
	s_mov_b32 s15, exec_lo
	v_lshl_or_b32 v82, v71, 16, v1
	;;#ASMSTART
	v_pk_mul_f16 v1, v82, v35;

	;;#ASMEND
	v_lshl_or_b32 v81, v80, 16, v6
	v_lshl_or_b32 v80, v83, 16, v18
	;; [unrolled: 1-line block ×3, first 2 shown]
	;;#ASMSTART
	v_pk_mul_f16 v6, v81, v34;

	;;#ASMEND
	;;#ASMSTART
	v_pk_mul_f16 v18, v80, v33;

	;;#ASMEND
	;; [unrolled: 4-line block ×3, first 2 shown]
	;;#ASMSTART
	v_pk_add_f16 v1, v1, v6;

	;;#ASMEND
	;;#ASMSTART
	v_pk_add_f16 v1, v1, v18;

	;;#ASMEND
	;;#ASMSTART
	v_pk_add_f16 v1, v1, v19;

	;;#ASMEND
	v_and_b32_e32 v6, 0xffff, v1
	v_lshrrev_b32_e32 v1, 16, v1
	;;#ASMSTART
	v_cvt_f32_f16 v83, v6;
	;;#ASMEND
	;;#ASMSTART
	v_cvt_f32_f16 v84, v1;
	;;#ASMEND
	flat_load_b64 v[34:35], v[14:15] offset:256
	scratch_load_b64 v[18:19], off, s32 offset:192 ; 8-byte Folded Reload
	v_mov_b32_e32 v1, 0
	s_wait_loadcnt_dscnt 0x100
	v_and_b32_e32 v6, 0xff, v34
	s_wait_loadcnt 0x0
	flat_load_b32 v32, v[18:19]
	s_wait_xcnt 0x0
	v_mov_b32_e32 v18, 0
	v_cmpx_ne_u16_e32 0, v6
	s_cbranch_execz .LBB298_1136
; %bb.1129:                             ;   in Loop: Header=BB298_1062 Depth=1
	v_mov_b32_e32 v18, 0x8000
	s_mov_b32 s16, exec_lo
	v_cmpx_ne_u16_e32 0x80, v6
	s_cbranch_execz .LBB298_1135
; %bb.1130:                             ;   in Loop: Header=BB298_1062 Depth=1
	v_and_b32_e32 v19, 0x7f, v34
	v_mov_b32_e32 v18, 0x7c01
	s_mov_b32 s17, exec_lo
	s_delay_alu instid0(VALU_DEP_2)
	v_cmpx_ne_u32_e32 0x7f, v19
	s_cbranch_execz .LBB298_1134
; %bb.1131:                             ;   in Loop: Header=BB298_1062 Depth=1
	v_dual_lshrrev_b32 v18, 3, v19 :: v_dual_bitop2_b32 v6, 7, v34 bitop3:0x40
	s_mov_b32 s18, exec_lo
	v_cmpx_gt_u32_e32 8, v19
; %bb.1132:                             ;   in Loop: Header=BB298_1062 Depth=1
	s_delay_alu instid0(VALU_DEP_2) | instskip(NEXT) | instid1(VALU_DEP_1)
	v_clz_i32_u32_e32 v6, v6
	v_min_u32_e32 v6, 32, v6
	s_delay_alu instid0(VALU_DEP_1) | instskip(NEXT) | instid1(VALU_DEP_1)
	v_subrev_nc_u32_e32 v18, 28, v6
	v_lshlrev_b64_e32 v[22:23], v18, v[34:35]
	v_sub_nc_u32_e32 v18, 29, v6
	s_delay_alu instid0(VALU_DEP_2)
	v_and_b32_e32 v6, 7, v22
; %bb.1133:                             ;   in Loop: Header=BB298_1062 Depth=1
	s_or_b32 exec_lo, exec_lo, s18
	v_lshlrev_b32_e32 v19, 8, v34
	s_delay_alu instid0(VALU_DEP_3) | instskip(NEXT) | instid1(VALU_DEP_3)
	v_lshl_add_u32 v18, v18, 10, 0x2000
	v_lshlrev_b32_e32 v6, 7, v6
	s_delay_alu instid0(VALU_DEP_3) | instskip(NEXT) | instid1(VALU_DEP_3)
	v_and_b32_e32 v19, 0x8000, v19
	v_and_b32_e32 v18, 0xfc00, v18
	s_delay_alu instid0(VALU_DEP_1)
	v_or3_b32 v18, v19, v18, v6
.LBB298_1134:                           ;   in Loop: Header=BB298_1062 Depth=1
	s_or_b32 exec_lo, exec_lo, s17
.LBB298_1135:                           ;   in Loop: Header=BB298_1062 Depth=1
	s_delay_alu instid0(SALU_CYCLE_1)
	s_or_b32 exec_lo, exec_lo, s16
.LBB298_1136:                           ;   in Loop: Header=BB298_1062 Depth=1
	s_delay_alu instid0(SALU_CYCLE_1) | instskip(SKIP_2) | instid1(VALU_DEP_1)
	s_or_b32 exec_lo, exec_lo, s15
	v_lshrrev_b16 v6, 8, v34
	s_mov_b32 s15, exec_lo
	v_cmpx_ne_u16_e32 0, v6
	s_cbranch_execz .LBB298_1144
; %bb.1137:                             ;   in Loop: Header=BB298_1062 Depth=1
	v_bfrev_b32_e32 v1, 1
	s_mov_b32 s16, exec_lo
	v_cmpx_ne_u16_e32 0x80, v6
	s_cbranch_execz .LBB298_1143
; %bb.1138:                             ;   in Loop: Header=BB298_1062 Depth=1
	v_and_b32_e32 v19, 0xffff, v6
	v_mov_b32_e32 v1, 0x7c010000
	s_mov_b32 s17, exec_lo
	s_delay_alu instid0(VALU_DEP_2) | instskip(NEXT) | instid1(VALU_DEP_1)
	v_and_b32_e32 v23, 0x7f, v19
	v_cmpx_ne_u32_e32 0x7f, v23
	s_cbranch_execz .LBB298_1142
; %bb.1139:                             ;   in Loop: Header=BB298_1062 Depth=1
	v_and_b32_e32 v1, 7, v19
	v_lshrrev_b32_e32 v22, 3, v23
	s_mov_b32 s18, exec_lo
	v_cmpx_gt_u32_e32 8, v23
; %bb.1140:                             ;   in Loop: Header=BB298_1062 Depth=1
	s_delay_alu instid0(VALU_DEP_3) | instskip(NEXT) | instid1(VALU_DEP_1)
	v_clz_i32_u32_e32 v1, v1
	v_min_u32_e32 v1, 32, v1
	s_delay_alu instid0(VALU_DEP_1) | instskip(NEXT) | instid1(VALU_DEP_1)
	v_subrev_nc_u32_e32 v22, 28, v1
	v_lshlrev_b64_e32 v[36:37], v22, v[6:7]
	s_delay_alu instid0(VALU_DEP_1)
	v_dual_sub_nc_u32 v22, 29, v1 :: v_dual_bitop2_b32 v1, 7, v36 bitop3:0x40
; %bb.1141:                             ;   in Loop: Header=BB298_1062 Depth=1
	s_or_b32 exec_lo, exec_lo, s18
	s_delay_alu instid0(VALU_DEP_1) | instskip(NEXT) | instid1(VALU_DEP_2)
	v_dual_lshlrev_b32 v6, 8, v19 :: v_dual_lshlrev_b32 v1, 23, v1
	v_lshl_add_u32 v19, v22, 10, 0x2000
	s_delay_alu instid0(VALU_DEP_1) | instskip(NEXT) | instid1(VALU_DEP_1)
	v_and_or_b32 v6, 0x8000, v6, v19
	v_lshl_or_b32 v1, v6, 16, v1
.LBB298_1142:                           ;   in Loop: Header=BB298_1062 Depth=1
	s_or_b32 exec_lo, exec_lo, s17
.LBB298_1143:                           ;   in Loop: Header=BB298_1062 Depth=1
	s_delay_alu instid0(SALU_CYCLE_1)
	s_or_b32 exec_lo, exec_lo, s16
.LBB298_1144:                           ;   in Loop: Header=BB298_1062 Depth=1
	s_delay_alu instid0(SALU_CYCLE_1) | instskip(SKIP_3) | instid1(VALU_DEP_2)
	s_or_b32 exec_lo, exec_lo, s15
	v_dual_mov_b32 v19, 0 :: v_dual_lshrrev_b32 v6, 16, v34
	v_mov_b32_e32 v22, 0
	s_mov_b32 s15, exec_lo
	v_and_b32_e32 v23, 0xff, v6
	s_delay_alu instid0(VALU_DEP_1)
	v_cmpx_ne_u16_e32 0, v23
	s_cbranch_execz .LBB298_1152
; %bb.1145:                             ;   in Loop: Header=BB298_1062 Depth=1
	v_mov_b32_e32 v22, 0x8000
	s_mov_b32 s16, exec_lo
	v_cmpx_ne_u16_e32 0x80, v23
	s_cbranch_execz .LBB298_1151
; %bb.1146:                             ;   in Loop: Header=BB298_1062 Depth=1
	v_bfe_u32 v33, v34, 16, 7
	v_mov_b32_e32 v22, 0x7c01
	s_mov_b32 s17, exec_lo
	s_delay_alu instid0(VALU_DEP_2)
	v_cmpx_ne_u32_e32 0x7f, v33
	s_cbranch_execz .LBB298_1150
; %bb.1147:                             ;   in Loop: Header=BB298_1062 Depth=1
	v_dual_lshrrev_b32 v23, 3, v33 :: v_dual_bitop2_b32 v22, 7, v6 bitop3:0x40
	s_mov_b32 s18, exec_lo
	v_cmpx_gt_u32_e32 8, v33
; %bb.1148:                             ;   in Loop: Header=BB298_1062 Depth=1
	s_delay_alu instid0(VALU_DEP_2) | instskip(NEXT) | instid1(VALU_DEP_1)
	v_clz_i32_u32_e32 v22, v22
	v_min_u32_e32 v33, 32, v22
	s_delay_alu instid0(VALU_DEP_1) | instskip(NEXT) | instid1(VALU_DEP_1)
	v_subrev_nc_u32_e32 v22, 28, v33
	v_lshlrev_b64_e32 v[22:23], v22, v[6:7]
	s_delay_alu instid0(VALU_DEP_1)
	v_dual_sub_nc_u32 v23, 29, v33 :: v_dual_bitop2_b32 v22, 7, v22 bitop3:0x40
; %bb.1149:                             ;   in Loop: Header=BB298_1062 Depth=1
	s_or_b32 exec_lo, exec_lo, s18
	v_lshlrev_b32_e32 v6, 8, v6
	s_delay_alu instid0(VALU_DEP_2) | instskip(NEXT) | instid1(VALU_DEP_3)
	v_lshl_add_u32 v23, v23, 10, 0x2000
	v_lshlrev_b32_e32 v22, 7, v22
	s_delay_alu instid0(VALU_DEP_3) | instskip(NEXT) | instid1(VALU_DEP_3)
	v_and_b32_e32 v6, 0x8000, v6
	v_and_b32_e32 v23, 0xfc00, v23
	s_delay_alu instid0(VALU_DEP_1)
	v_or3_b32 v22, v6, v23, v22
.LBB298_1150:                           ;   in Loop: Header=BB298_1062 Depth=1
	s_or_b32 exec_lo, exec_lo, s17
.LBB298_1151:                           ;   in Loop: Header=BB298_1062 Depth=1
	s_delay_alu instid0(SALU_CYCLE_1)
	s_or_b32 exec_lo, exec_lo, s16
.LBB298_1152:                           ;   in Loop: Header=BB298_1062 Depth=1
	s_delay_alu instid0(SALU_CYCLE_1) | instskip(NEXT) | instid1(SALU_CYCLE_1)
	s_or_b32 exec_lo, exec_lo, s15
	s_mov_b32 s15, exec_lo
	v_cmpx_lt_u32_e32 0xffffff, v34
	s_cbranch_execz .LBB298_1160
; %bb.1153:                             ;   in Loop: Header=BB298_1062 Depth=1
	v_lshrrev_b32_e32 v6, 24, v34
	v_bfrev_b32_e32 v19, 1
	s_mov_b32 s16, exec_lo
	s_delay_alu instid0(VALU_DEP_2)
	v_cmpx_ne_u32_e32 0x80, v6
	s_cbranch_execz .LBB298_1159
; %bb.1154:                             ;   in Loop: Header=BB298_1062 Depth=1
	v_and_b32_e32 v33, 0x7f, v6
	v_mov_b32_e32 v19, 0x7c010000
	s_mov_b32 s17, exec_lo
	s_delay_alu instid0(VALU_DEP_2)
	v_cmpx_ne_u32_e32 0x7f, v33
	s_cbranch_execz .LBB298_1158
; %bb.1155:                             ;   in Loop: Header=BB298_1062 Depth=1
	v_dual_lshrrev_b32 v23, 3, v33 :: v_dual_bitop2_b32 v19, 7, v6 bitop3:0x40
	s_mov_b32 s18, exec_lo
	v_cmpx_gt_u32_e32 8, v33
; %bb.1156:                             ;   in Loop: Header=BB298_1062 Depth=1
	s_delay_alu instid0(VALU_DEP_2) | instskip(NEXT) | instid1(VALU_DEP_1)
	v_clz_i32_u32_e32 v19, v19
	v_min_u32_e32 v19, 32, v19
	s_delay_alu instid0(VALU_DEP_1) | instskip(NEXT) | instid1(VALU_DEP_1)
	v_subrev_nc_u32_e32 v23, 28, v19
	v_lshlrev_b64_e32 v[36:37], v23, v[6:7]
	s_delay_alu instid0(VALU_DEP_1)
	v_dual_sub_nc_u32 v23, 29, v19 :: v_dual_bitop2_b32 v19, 7, v36 bitop3:0x40
; %bb.1157:                             ;   in Loop: Header=BB298_1062 Depth=1
	s_or_b32 exec_lo, exec_lo, s18
	s_delay_alu instid0(VALU_DEP_1) | instskip(NEXT) | instid1(VALU_DEP_2)
	v_dual_lshlrev_b32 v6, 8, v6 :: v_dual_lshlrev_b32 v19, 23, v19
	v_lshl_add_u32 v23, v23, 10, 0x2000
	s_delay_alu instid0(VALU_DEP_1) | instskip(NEXT) | instid1(VALU_DEP_1)
	v_and_or_b32 v6, 0x8000, v6, v23
	v_lshl_or_b32 v19, v6, 16, v19
.LBB298_1158:                           ;   in Loop: Header=BB298_1062 Depth=1
	s_or_b32 exec_lo, exec_lo, s17
.LBB298_1159:                           ;   in Loop: Header=BB298_1062 Depth=1
	s_delay_alu instid0(SALU_CYCLE_1)
	s_or_b32 exec_lo, exec_lo, s16
.LBB298_1160:                           ;   in Loop: Header=BB298_1062 Depth=1
	s_delay_alu instid0(SALU_CYCLE_1) | instskip(SKIP_4) | instid1(VALU_DEP_3)
	s_or_b32 exec_lo, exec_lo, s15
	v_and_b32_e32 v36, 0xff, v35
	v_dual_mov_b32 v6, v35 :: v_dual_mov_b32 v33, 0
	v_mov_b32_e32 v23, 0
	s_mov_b32 s15, exec_lo
	v_cmpx_ne_u16_e32 0, v36
	s_cbranch_execz .LBB298_1168
; %bb.1161:                             ;   in Loop: Header=BB298_1062 Depth=1
	v_mov_b32_e32 v23, 0x8000
	s_mov_b32 s16, exec_lo
	v_cmpx_ne_u16_e32 0x80, v36
	s_cbranch_execz .LBB298_1167
; %bb.1162:                             ;   in Loop: Header=BB298_1062 Depth=1
	v_and_b32_e32 v37, 0x7f, v35
	v_mov_b32_e32 v23, 0x7c01
	s_mov_b32 s17, exec_lo
	s_delay_alu instid0(VALU_DEP_2)
	v_cmpx_ne_u32_e32 0x7f, v37
	s_cbranch_execz .LBB298_1166
; %bb.1163:                             ;   in Loop: Header=BB298_1062 Depth=1
	v_dual_lshrrev_b32 v36, 3, v37 :: v_dual_bitop2_b32 v23, 7, v35 bitop3:0x40
	s_mov_b32 s18, exec_lo
	v_cmpx_gt_u32_e32 8, v37
; %bb.1164:                             ;   in Loop: Header=BB298_1062 Depth=1
	s_delay_alu instid0(VALU_DEP_2) | instskip(NEXT) | instid1(VALU_DEP_1)
	v_clz_i32_u32_e32 v23, v23
	v_min_u32_e32 v23, 32, v23
	s_delay_alu instid0(VALU_DEP_1) | instskip(NEXT) | instid1(VALU_DEP_1)
	v_subrev_nc_u32_e32 v36, 28, v23
	v_lshlrev_b64_e32 v[38:39], v36, v[6:7]
	s_delay_alu instid0(VALU_DEP_1)
	v_dual_sub_nc_u32 v36, 29, v23 :: v_dual_bitop2_b32 v23, 7, v38 bitop3:0x40
; %bb.1165:                             ;   in Loop: Header=BB298_1062 Depth=1
	s_or_b32 exec_lo, exec_lo, s18
	v_lshlrev_b32_e32 v37, 8, v35
	s_delay_alu instid0(VALU_DEP_2) | instskip(NEXT) | instid1(VALU_DEP_3)
	v_lshl_add_u32 v36, v36, 10, 0x2000
	v_lshlrev_b32_e32 v23, 7, v23
	s_delay_alu instid0(VALU_DEP_3) | instskip(NEXT) | instid1(VALU_DEP_3)
	v_and_b32_e32 v37, 0x8000, v37
	v_and_b32_e32 v36, 0xfc00, v36
	s_delay_alu instid0(VALU_DEP_1)
	v_or3_b32 v23, v37, v36, v23
.LBB298_1166:                           ;   in Loop: Header=BB298_1062 Depth=1
	s_or_b32 exec_lo, exec_lo, s17
.LBB298_1167:                           ;   in Loop: Header=BB298_1062 Depth=1
	s_delay_alu instid0(SALU_CYCLE_1)
	s_or_b32 exec_lo, exec_lo, s16
.LBB298_1168:                           ;   in Loop: Header=BB298_1062 Depth=1
	s_delay_alu instid0(SALU_CYCLE_1) | instskip(SKIP_3) | instid1(VALU_DEP_2)
	s_or_b32 exec_lo, exec_lo, s15
	v_lshrrev_b16 v6, 8, v6
	v_mov_b32_e32 v36, 0
	s_mov_b32 s15, exec_lo
	v_cmpx_ne_u16_e32 0, v6
	s_cbranch_execz .LBB298_1176
; %bb.1169:                             ;   in Loop: Header=BB298_1062 Depth=1
	v_bfrev_b32_e32 v36, 1
	s_mov_b32 s16, exec_lo
	v_cmpx_ne_u16_e32 0x80, v6
	s_cbranch_execz .LBB298_1175
; %bb.1170:                             ;   in Loop: Header=BB298_1062 Depth=1
	v_and_b32_e32 v37, 0xffff, v6
	v_mov_b32_e32 v36, 0x7c010000
	s_mov_b32 s17, exec_lo
	s_delay_alu instid0(VALU_DEP_2) | instskip(NEXT) | instid1(VALU_DEP_1)
	v_and_b32_e32 v39, 0x7f, v37
	v_cmpx_ne_u32_e32 0x7f, v39
	s_cbranch_execz .LBB298_1174
; %bb.1171:                             ;   in Loop: Header=BB298_1062 Depth=1
	v_dual_lshrrev_b32 v38, 3, v39 :: v_dual_bitop2_b32 v36, 7, v37 bitop3:0x40
	s_mov_b32 s18, exec_lo
	v_cmpx_gt_u32_e32 8, v39
; %bb.1172:                             ;   in Loop: Header=BB298_1062 Depth=1
	s_delay_alu instid0(VALU_DEP_2) | instskip(NEXT) | instid1(VALU_DEP_1)
	v_clz_i32_u32_e32 v36, v36
	v_min_u32_e32 v36, 32, v36
	s_delay_alu instid0(VALU_DEP_1) | instskip(NEXT) | instid1(VALU_DEP_1)
	v_subrev_nc_u32_e32 v38, 28, v36
	v_lshlrev_b64_e32 v[48:49], v38, v[6:7]
	v_sub_nc_u32_e32 v38, 29, v36
	s_delay_alu instid0(VALU_DEP_2)
	v_and_b32_e32 v36, 7, v48
; %bb.1173:                             ;   in Loop: Header=BB298_1062 Depth=1
	s_or_b32 exec_lo, exec_lo, s18
	s_delay_alu instid0(VALU_DEP_1) | instskip(NEXT) | instid1(VALU_DEP_3)
	v_dual_lshlrev_b32 v6, 8, v37 :: v_dual_lshlrev_b32 v36, 23, v36
	v_lshl_add_u32 v37, v38, 10, 0x2000
	s_delay_alu instid0(VALU_DEP_1) | instskip(NEXT) | instid1(VALU_DEP_1)
	v_and_or_b32 v6, 0x8000, v6, v37
	v_lshl_or_b32 v36, v6, 16, v36
.LBB298_1174:                           ;   in Loop: Header=BB298_1062 Depth=1
	s_or_b32 exec_lo, exec_lo, s17
.LBB298_1175:                           ;   in Loop: Header=BB298_1062 Depth=1
	s_delay_alu instid0(SALU_CYCLE_1)
	s_or_b32 exec_lo, exec_lo, s16
.LBB298_1176:                           ;   in Loop: Header=BB298_1062 Depth=1
	s_delay_alu instid0(SALU_CYCLE_1) | instskip(SKIP_2) | instid1(VALU_DEP_1)
	s_or_b32 exec_lo, exec_lo, s15
	v_lshrrev_b32_e32 v6, 16, v35
	s_mov_b32 s15, exec_lo
	v_and_b32_e32 v37, 0xff, v6
	s_delay_alu instid0(VALU_DEP_1)
	v_cmpx_ne_u16_e32 0, v37
	s_cbranch_execz .LBB298_1184
; %bb.1177:                             ;   in Loop: Header=BB298_1062 Depth=1
	v_mov_b32_e32 v33, 0x8000
	s_mov_b32 s16, exec_lo
	v_cmpx_ne_u16_e32 0x80, v37
	s_cbranch_execz .LBB298_1183
; %bb.1178:                             ;   in Loop: Header=BB298_1062 Depth=1
	v_bfe_u32 v38, v35, 16, 7
	v_mov_b32_e32 v33, 0x7c01
	s_mov_b32 s17, exec_lo
	s_delay_alu instid0(VALU_DEP_2)
	v_cmpx_ne_u32_e32 0x7f, v38
	s_cbranch_execz .LBB298_1182
; %bb.1179:                             ;   in Loop: Header=BB298_1062 Depth=1
	v_and_b32_e32 v33, 7, v6
	v_lshrrev_b32_e32 v37, 3, v38
	s_mov_b32 s18, exec_lo
	v_cmpx_gt_u32_e32 8, v38
; %bb.1180:                             ;   in Loop: Header=BB298_1062 Depth=1
	s_delay_alu instid0(VALU_DEP_3) | instskip(NEXT) | instid1(VALU_DEP_1)
	v_clz_i32_u32_e32 v33, v33
	v_min_u32_e32 v33, 32, v33
	s_delay_alu instid0(VALU_DEP_1) | instskip(NEXT) | instid1(VALU_DEP_1)
	v_subrev_nc_u32_e32 v37, 28, v33
	v_lshlrev_b64_e32 v[38:39], v37, v[6:7]
	s_delay_alu instid0(VALU_DEP_1)
	v_dual_sub_nc_u32 v37, 29, v33 :: v_dual_bitop2_b32 v33, 7, v38 bitop3:0x40
; %bb.1181:                             ;   in Loop: Header=BB298_1062 Depth=1
	s_or_b32 exec_lo, exec_lo, s18
	s_delay_alu instid0(VALU_DEP_1) | instskip(NEXT) | instid1(VALU_DEP_2)
	v_dual_lshlrev_b32 v6, 8, v6 :: v_dual_lshlrev_b32 v33, 7, v33
	v_lshl_add_u32 v37, v37, 10, 0x2000
	s_delay_alu instid0(VALU_DEP_2) | instskip(NEXT) | instid1(VALU_DEP_2)
	v_and_b32_e32 v6, 0x8000, v6
	v_and_b32_e32 v37, 0xfc00, v37
	s_delay_alu instid0(VALU_DEP_1)
	v_or3_b32 v33, v6, v37, v33
.LBB298_1182:                           ;   in Loop: Header=BB298_1062 Depth=1
	s_or_b32 exec_lo, exec_lo, s17
.LBB298_1183:                           ;   in Loop: Header=BB298_1062 Depth=1
	s_delay_alu instid0(SALU_CYCLE_1)
	s_or_b32 exec_lo, exec_lo, s16
.LBB298_1184:                           ;   in Loop: Header=BB298_1062 Depth=1
	s_delay_alu instid0(SALU_CYCLE_1)
	s_or_b32 exec_lo, exec_lo, s15
	v_cmp_lt_u64_e64 s0, s[2:3], v[34:35]
	v_mov_b32_e32 v34, 0
	s_and_saveexec_b32 s15, s0
	s_cbranch_execz .LBB298_1192
; %bb.1185:                             ;   in Loop: Header=BB298_1062 Depth=1
	v_lshrrev_b32_e32 v6, 24, v35
	v_bfrev_b32_e32 v34, 1
	s_mov_b32 s16, exec_lo
	s_delay_alu instid0(VALU_DEP_2)
	v_cmpx_ne_u32_e32 0x80, v6
	s_cbranch_execz .LBB298_1191
; %bb.1186:                             ;   in Loop: Header=BB298_1062 Depth=1
	v_and_b32_e32 v37, 0x7f, v6
	v_mov_b32_e32 v34, 0x7c010000
	s_mov_b32 s17, exec_lo
	s_delay_alu instid0(VALU_DEP_2)
	v_cmpx_ne_u32_e32 0x7f, v37
	s_cbranch_execz .LBB298_1190
; %bb.1187:                             ;   in Loop: Header=BB298_1062 Depth=1
	v_dual_lshrrev_b32 v35, 3, v37 :: v_dual_bitop2_b32 v34, 7, v6 bitop3:0x40
	s_mov_b32 s18, exec_lo
	v_cmpx_gt_u32_e32 8, v37
; %bb.1188:                             ;   in Loop: Header=BB298_1062 Depth=1
	s_delay_alu instid0(VALU_DEP_2) | instskip(NEXT) | instid1(VALU_DEP_1)
	v_clz_i32_u32_e32 v34, v34
	v_min_u32_e32 v37, 32, v34
	s_delay_alu instid0(VALU_DEP_1) | instskip(NEXT) | instid1(VALU_DEP_1)
	v_subrev_nc_u32_e32 v34, 28, v37
	v_lshlrev_b64_e32 v[34:35], v34, v[6:7]
	s_delay_alu instid0(VALU_DEP_1)
	v_dual_sub_nc_u32 v35, 29, v37 :: v_dual_bitop2_b32 v34, 7, v34 bitop3:0x40
; %bb.1189:                             ;   in Loop: Header=BB298_1062 Depth=1
	s_or_b32 exec_lo, exec_lo, s18
	v_lshlrev_b32_e32 v6, 8, v6
	s_delay_alu instid0(VALU_DEP_2) | instskip(NEXT) | instid1(VALU_DEP_3)
	v_lshl_add_u32 v35, v35, 10, 0x2000
	v_lshlrev_b32_e32 v34, 23, v34
	s_delay_alu instid0(VALU_DEP_2) | instskip(NEXT) | instid1(VALU_DEP_1)
	v_and_or_b32 v6, 0x8000, v6, v35
	v_lshl_or_b32 v34, v6, 16, v34
.LBB298_1190:                           ;   in Loop: Header=BB298_1062 Depth=1
	s_or_b32 exec_lo, exec_lo, s17
.LBB298_1191:                           ;   in Loop: Header=BB298_1062 Depth=1
	s_delay_alu instid0(SALU_CYCLE_1)
	s_or_b32 exec_lo, exec_lo, s16
.LBB298_1192:                           ;   in Loop: Header=BB298_1062 Depth=1
	s_delay_alu instid0(SALU_CYCLE_1) | instskip(SKIP_4) | instid1(VALU_DEP_4)
	s_or_b32 exec_lo, exec_lo, s15
	v_dual_lshrrev_b32 v6, 16, v1 :: v_dual_lshrrev_b32 v35, 16, v19
	v_or_b32_e32 v1, v1, v18
	v_or_b32_e32 v22, v19, v22
	;; [unrolled: 1-line block ×3, first 2 shown]
	v_cvt_f32_f16_e32 v19, v6
	v_cvt_f32_f16_e32 v18, v35
	v_dual_lshrrev_b32 v34, 16, v34 :: v_dual_bitop2_b32 v6, v34, v33 bitop3:0x54
	v_lshrrev_b32_e32 v33, 16, v36
	v_cvt_f32_f16_e32 v23, v1
	s_delay_alu instid0(VALU_DEP_3) | instskip(NEXT) | instid1(VALU_DEP_4)
	v_cvt_f32_f16_e32 v36, v6
	v_cvt_f32_f16_e32 v34, v34
	s_wait_loadcnt_dscnt 0x0
	v_pk_mul_f32 v[18:19], v[32:33], v[18:19] op_sel_hi:[0,1]
	v_cvt_f32_f16_e32 v35, v33
	s_delay_alu instid0(VALU_DEP_2) | instskip(NEXT) | instid1(VALU_DEP_2)
	v_cvt_pk_f16_f32 v1, v18, v19
	v_pk_mul_f32 v[18:19], v[32:33], v[34:35] op_sel_hi:[0,1]
	s_delay_alu instid0(VALU_DEP_2) | instskip(SKIP_2) | instid1(VALU_DEP_4)
	v_lshlrev_b32_e32 v34, 16, v1
	v_cvt_f32_f16_e32 v22, v22
	v_and_b32_e32 v35, 0xffff0000, v1
	v_cvt_pk_f16_f32 v18, v18, v19
	s_delay_alu instid0(VALU_DEP_3) | instskip(NEXT) | instid1(VALU_DEP_2)
	v_pk_mul_f32 v[22:23], v[32:33], v[22:23] op_sel_hi:[0,1]
	v_and_b32_e32 v19, 0xffff0000, v18
	s_delay_alu instid0(VALU_DEP_2) | instskip(NEXT) | instid1(VALU_DEP_1)
	v_cvt_pk_f16_f32 v6, v22, v23
	v_lshrrev_b32_e32 v49, 16, v6
	v_cvt_f32_f16_e32 v37, v37
	v_and_b32_e32 v48, 0xffff, v6
	s_delay_alu instid0(VALU_DEP_3) | instskip(NEXT) | instid1(VALU_DEP_3)
	v_or_b32_e32 v39, v35, v49
	v_pk_mul_f32 v[32:33], v[32:33], v[36:37] op_sel_hi:[0,1]
	s_delay_alu instid0(VALU_DEP_3) | instskip(NEXT) | instid1(VALU_DEP_2)
	v_or_b32_e32 v38, v34, v48
	v_cvt_pk_f16_f32 v1, v32, v33
	s_delay_alu instid0(VALU_DEP_1) | instskip(SKIP_1) | instid1(VALU_DEP_2)
	v_dual_lshlrev_b32 v6, 16, v18 :: v_dual_lshrrev_b32 v33, 16, v1
	v_and_b32_e32 v32, 0xffff, v1
	v_or_b32_e32 v37, v19, v33
	s_delay_alu instid0(VALU_DEP_2)
	v_or_b32_e32 v36, v6, v32
	s_and_saveexec_b32 s15, vcc_lo
	s_cbranch_execz .LBB298_1194
; %bb.1193:                             ;   in Loop: Header=BB298_1062 Depth=1
	v_cmp_lt_i32_e64 s0, v54, v13
	s_delay_alu instid0(VALU_DEP_1) | instskip(SKIP_1) | instid1(VALU_DEP_1)
	v_cndmask_b32_e64 v1, 0, v49, s0
	v_cmp_lt_i32_e64 s0, v70, v58
	v_cndmask_b32_e64 v18, 0, v48, s0
	v_cmp_lt_i32_e64 s0, v69, v13
	s_delay_alu instid0(VALU_DEP_1) | instskip(SKIP_1) | instid1(VALU_DEP_1)
	v_cndmask_b32_e64 v22, 0, v35, s0
	v_cmp_lt_i32_e64 s0, v68, v58
	v_cndmask_b32_e64 v23, 0, v34, s0
	v_cmp_lt_i32_e64 s0, v67, v13
	s_delay_alu instid0(VALU_DEP_4) | instskip(NEXT) | instid1(VALU_DEP_2)
	v_or_b32_e32 v39, v1, v22
	v_dual_cndmask_b32 v33, 0, v33, s0 :: v_dual_bitop2_b32 v38, v18, v23 bitop3:0x54
	v_cmp_lt_i32_e64 s0, v66, v58
	s_delay_alu instid0(VALU_DEP_1) | instskip(SKIP_1) | instid1(VALU_DEP_1)
	v_cndmask_b32_e64 v32, 0, v32, s0
	v_cmp_lt_i32_e64 s0, v65, v13
	v_cndmask_b32_e64 v19, 0, v19, s0
	v_cmp_lt_i32_e64 s0, v0, v58
	s_delay_alu instid0(VALU_DEP_1) | instskip(NEXT) | instid1(VALU_DEP_1)
	v_dual_cndmask_b32 v6, 0, v6, s0 :: v_dual_bitop2_b32 v37, v33, v19 bitop3:0x54
	v_or_b32_e32 v36, v32, v6
.LBB298_1194:                           ;   in Loop: Header=BB298_1062 Depth=1
	s_or_b32 exec_lo, exec_lo, s15
	;;#ASMSTART
	v_pk_mul_f16 v1, v82, v39;

	;;#ASMEND
	;;#ASMSTART
	v_pk_mul_f16 v6, v81, v38;

	;;#ASMEND
	;; [unrolled: 4-line block ×4, first 2 shown]
	;;#ASMSTART
	v_pk_add_f16 v1, v1, v6;

	;;#ASMEND
	;;#ASMSTART
	v_pk_add_f16 v1, v1, v18;

	;;#ASMEND
	;; [unrolled: 4-line block ×3, first 2 shown]
	v_and_b32_e32 v6, 0xffff, v1
	v_lshrrev_b32_e32 v1, 16, v1
	;;#ASMSTART
	v_cvt_f32_f16 v85, v6;
	;;#ASMEND
	;;#ASMSTART
	v_cvt_f32_f16 v86, v1;
	;;#ASMEND
	flat_load_b64 v[34:35], v[14:15] offset:512
	scratch_load_b64 v[18:19], off, s32 offset:192 ; 8-byte Folded Reload
	v_mov_b32_e32 v1, 0
	s_mov_b32 s15, exec_lo
	s_wait_loadcnt_dscnt 0x100
	v_and_b32_e32 v6, 0xff, v34
	s_wait_loadcnt 0x0
	flat_load_b32 v32, v[18:19]
	s_wait_xcnt 0x0
	v_mov_b32_e32 v18, 0
	v_cmpx_ne_u16_e32 0, v6
	s_cbranch_execz .LBB298_1202
; %bb.1195:                             ;   in Loop: Header=BB298_1062 Depth=1
	v_mov_b32_e32 v18, 0x8000
	s_mov_b32 s16, exec_lo
	v_cmpx_ne_u16_e32 0x80, v6
	s_cbranch_execz .LBB298_1201
; %bb.1196:                             ;   in Loop: Header=BB298_1062 Depth=1
	v_and_b32_e32 v19, 0x7f, v34
	v_mov_b32_e32 v18, 0x7c01
	s_mov_b32 s17, exec_lo
	s_delay_alu instid0(VALU_DEP_2)
	v_cmpx_ne_u32_e32 0x7f, v19
	s_cbranch_execz .LBB298_1200
; %bb.1197:                             ;   in Loop: Header=BB298_1062 Depth=1
	v_dual_lshrrev_b32 v18, 3, v19 :: v_dual_bitop2_b32 v6, 7, v34 bitop3:0x40
	s_mov_b32 s18, exec_lo
	v_cmpx_gt_u32_e32 8, v19
; %bb.1198:                             ;   in Loop: Header=BB298_1062 Depth=1
	s_delay_alu instid0(VALU_DEP_2) | instskip(NEXT) | instid1(VALU_DEP_1)
	v_clz_i32_u32_e32 v6, v6
	v_min_u32_e32 v6, 32, v6
	s_delay_alu instid0(VALU_DEP_1) | instskip(NEXT) | instid1(VALU_DEP_1)
	v_subrev_nc_u32_e32 v18, 28, v6
	v_lshlrev_b64_e32 v[22:23], v18, v[34:35]
	v_sub_nc_u32_e32 v18, 29, v6
	s_delay_alu instid0(VALU_DEP_2)
	v_and_b32_e32 v6, 7, v22
; %bb.1199:                             ;   in Loop: Header=BB298_1062 Depth=1
	s_or_b32 exec_lo, exec_lo, s18
	v_lshlrev_b32_e32 v19, 8, v34
	s_delay_alu instid0(VALU_DEP_3) | instskip(NEXT) | instid1(VALU_DEP_3)
	v_lshl_add_u32 v18, v18, 10, 0x2000
	v_lshlrev_b32_e32 v6, 7, v6
	s_delay_alu instid0(VALU_DEP_3) | instskip(NEXT) | instid1(VALU_DEP_3)
	v_and_b32_e32 v19, 0x8000, v19
	v_and_b32_e32 v18, 0xfc00, v18
	s_delay_alu instid0(VALU_DEP_1)
	v_or3_b32 v18, v19, v18, v6
.LBB298_1200:                           ;   in Loop: Header=BB298_1062 Depth=1
	s_or_b32 exec_lo, exec_lo, s17
.LBB298_1201:                           ;   in Loop: Header=BB298_1062 Depth=1
	s_delay_alu instid0(SALU_CYCLE_1)
	s_or_b32 exec_lo, exec_lo, s16
.LBB298_1202:                           ;   in Loop: Header=BB298_1062 Depth=1
	s_delay_alu instid0(SALU_CYCLE_1) | instskip(SKIP_2) | instid1(VALU_DEP_1)
	s_or_b32 exec_lo, exec_lo, s15
	v_lshrrev_b16 v6, 8, v34
	s_mov_b32 s15, exec_lo
	v_cmpx_ne_u16_e32 0, v6
	s_cbranch_execz .LBB298_1210
; %bb.1203:                             ;   in Loop: Header=BB298_1062 Depth=1
	v_bfrev_b32_e32 v1, 1
	s_mov_b32 s16, exec_lo
	v_cmpx_ne_u16_e32 0x80, v6
	s_cbranch_execz .LBB298_1209
; %bb.1204:                             ;   in Loop: Header=BB298_1062 Depth=1
	v_and_b32_e32 v19, 0xffff, v6
	v_mov_b32_e32 v1, 0x7c010000
	s_mov_b32 s17, exec_lo
	s_delay_alu instid0(VALU_DEP_2) | instskip(NEXT) | instid1(VALU_DEP_1)
	v_and_b32_e32 v23, 0x7f, v19
	v_cmpx_ne_u32_e32 0x7f, v23
	s_cbranch_execz .LBB298_1208
; %bb.1205:                             ;   in Loop: Header=BB298_1062 Depth=1
	v_and_b32_e32 v1, 7, v19
	v_lshrrev_b32_e32 v22, 3, v23
	s_mov_b32 s18, exec_lo
	v_cmpx_gt_u32_e32 8, v23
; %bb.1206:                             ;   in Loop: Header=BB298_1062 Depth=1
	s_delay_alu instid0(VALU_DEP_3) | instskip(NEXT) | instid1(VALU_DEP_1)
	v_clz_i32_u32_e32 v1, v1
	v_min_u32_e32 v1, 32, v1
	s_delay_alu instid0(VALU_DEP_1) | instskip(NEXT) | instid1(VALU_DEP_1)
	v_subrev_nc_u32_e32 v22, 28, v1
	v_lshlrev_b64_e32 v[36:37], v22, v[6:7]
	s_delay_alu instid0(VALU_DEP_1)
	v_dual_sub_nc_u32 v22, 29, v1 :: v_dual_bitop2_b32 v1, 7, v36 bitop3:0x40
; %bb.1207:                             ;   in Loop: Header=BB298_1062 Depth=1
	s_or_b32 exec_lo, exec_lo, s18
	s_delay_alu instid0(VALU_DEP_1) | instskip(NEXT) | instid1(VALU_DEP_2)
	v_dual_lshlrev_b32 v6, 8, v19 :: v_dual_lshlrev_b32 v1, 23, v1
	v_lshl_add_u32 v19, v22, 10, 0x2000
	s_delay_alu instid0(VALU_DEP_1) | instskip(NEXT) | instid1(VALU_DEP_1)
	v_and_or_b32 v6, 0x8000, v6, v19
	v_lshl_or_b32 v1, v6, 16, v1
.LBB298_1208:                           ;   in Loop: Header=BB298_1062 Depth=1
	s_or_b32 exec_lo, exec_lo, s17
.LBB298_1209:                           ;   in Loop: Header=BB298_1062 Depth=1
	s_delay_alu instid0(SALU_CYCLE_1)
	s_or_b32 exec_lo, exec_lo, s16
.LBB298_1210:                           ;   in Loop: Header=BB298_1062 Depth=1
	s_delay_alu instid0(SALU_CYCLE_1) | instskip(SKIP_3) | instid1(VALU_DEP_2)
	s_or_b32 exec_lo, exec_lo, s15
	v_dual_mov_b32 v19, 0 :: v_dual_lshrrev_b32 v6, 16, v34
	v_mov_b32_e32 v22, 0
	s_mov_b32 s15, exec_lo
	v_and_b32_e32 v23, 0xff, v6
	s_delay_alu instid0(VALU_DEP_1)
	v_cmpx_ne_u16_e32 0, v23
	s_cbranch_execz .LBB298_1218
; %bb.1211:                             ;   in Loop: Header=BB298_1062 Depth=1
	v_mov_b32_e32 v22, 0x8000
	s_mov_b32 s16, exec_lo
	v_cmpx_ne_u16_e32 0x80, v23
	s_cbranch_execz .LBB298_1217
; %bb.1212:                             ;   in Loop: Header=BB298_1062 Depth=1
	v_bfe_u32 v33, v34, 16, 7
	v_mov_b32_e32 v22, 0x7c01
	s_mov_b32 s17, exec_lo
	s_delay_alu instid0(VALU_DEP_2)
	v_cmpx_ne_u32_e32 0x7f, v33
	s_cbranch_execz .LBB298_1216
; %bb.1213:                             ;   in Loop: Header=BB298_1062 Depth=1
	v_dual_lshrrev_b32 v23, 3, v33 :: v_dual_bitop2_b32 v22, 7, v6 bitop3:0x40
	s_mov_b32 s18, exec_lo
	v_cmpx_gt_u32_e32 8, v33
; %bb.1214:                             ;   in Loop: Header=BB298_1062 Depth=1
	s_delay_alu instid0(VALU_DEP_2) | instskip(NEXT) | instid1(VALU_DEP_1)
	v_clz_i32_u32_e32 v22, v22
	v_min_u32_e32 v33, 32, v22
	s_delay_alu instid0(VALU_DEP_1) | instskip(NEXT) | instid1(VALU_DEP_1)
	v_subrev_nc_u32_e32 v22, 28, v33
	v_lshlrev_b64_e32 v[22:23], v22, v[6:7]
	s_delay_alu instid0(VALU_DEP_1)
	v_dual_sub_nc_u32 v23, 29, v33 :: v_dual_bitop2_b32 v22, 7, v22 bitop3:0x40
; %bb.1215:                             ;   in Loop: Header=BB298_1062 Depth=1
	s_or_b32 exec_lo, exec_lo, s18
	v_lshlrev_b32_e32 v6, 8, v6
	s_delay_alu instid0(VALU_DEP_2) | instskip(NEXT) | instid1(VALU_DEP_3)
	v_lshl_add_u32 v23, v23, 10, 0x2000
	v_lshlrev_b32_e32 v22, 7, v22
	s_delay_alu instid0(VALU_DEP_3) | instskip(NEXT) | instid1(VALU_DEP_3)
	v_and_b32_e32 v6, 0x8000, v6
	v_and_b32_e32 v23, 0xfc00, v23
	s_delay_alu instid0(VALU_DEP_1)
	v_or3_b32 v22, v6, v23, v22
.LBB298_1216:                           ;   in Loop: Header=BB298_1062 Depth=1
	s_or_b32 exec_lo, exec_lo, s17
.LBB298_1217:                           ;   in Loop: Header=BB298_1062 Depth=1
	s_delay_alu instid0(SALU_CYCLE_1)
	s_or_b32 exec_lo, exec_lo, s16
.LBB298_1218:                           ;   in Loop: Header=BB298_1062 Depth=1
	s_delay_alu instid0(SALU_CYCLE_1) | instskip(NEXT) | instid1(SALU_CYCLE_1)
	s_or_b32 exec_lo, exec_lo, s15
	s_mov_b32 s15, exec_lo
	v_cmpx_lt_u32_e32 0xffffff, v34
	s_cbranch_execz .LBB298_1226
; %bb.1219:                             ;   in Loop: Header=BB298_1062 Depth=1
	v_lshrrev_b32_e32 v6, 24, v34
	v_bfrev_b32_e32 v19, 1
	s_mov_b32 s16, exec_lo
	s_delay_alu instid0(VALU_DEP_2)
	v_cmpx_ne_u32_e32 0x80, v6
	s_cbranch_execz .LBB298_1225
; %bb.1220:                             ;   in Loop: Header=BB298_1062 Depth=1
	v_and_b32_e32 v33, 0x7f, v6
	v_mov_b32_e32 v19, 0x7c010000
	s_mov_b32 s17, exec_lo
	s_delay_alu instid0(VALU_DEP_2)
	v_cmpx_ne_u32_e32 0x7f, v33
	s_cbranch_execz .LBB298_1224
; %bb.1221:                             ;   in Loop: Header=BB298_1062 Depth=1
	v_dual_lshrrev_b32 v23, 3, v33 :: v_dual_bitop2_b32 v19, 7, v6 bitop3:0x40
	s_mov_b32 s18, exec_lo
	v_cmpx_gt_u32_e32 8, v33
; %bb.1222:                             ;   in Loop: Header=BB298_1062 Depth=1
	s_delay_alu instid0(VALU_DEP_2) | instskip(NEXT) | instid1(VALU_DEP_1)
	v_clz_i32_u32_e32 v19, v19
	v_min_u32_e32 v19, 32, v19
	s_delay_alu instid0(VALU_DEP_1) | instskip(NEXT) | instid1(VALU_DEP_1)
	v_subrev_nc_u32_e32 v23, 28, v19
	v_lshlrev_b64_e32 v[36:37], v23, v[6:7]
	s_delay_alu instid0(VALU_DEP_1)
	v_dual_sub_nc_u32 v23, 29, v19 :: v_dual_bitop2_b32 v19, 7, v36 bitop3:0x40
; %bb.1223:                             ;   in Loop: Header=BB298_1062 Depth=1
	s_or_b32 exec_lo, exec_lo, s18
	s_delay_alu instid0(VALU_DEP_1) | instskip(NEXT) | instid1(VALU_DEP_2)
	v_dual_lshlrev_b32 v6, 8, v6 :: v_dual_lshlrev_b32 v19, 23, v19
	v_lshl_add_u32 v23, v23, 10, 0x2000
	s_delay_alu instid0(VALU_DEP_1) | instskip(NEXT) | instid1(VALU_DEP_1)
	v_and_or_b32 v6, 0x8000, v6, v23
	v_lshl_or_b32 v19, v6, 16, v19
.LBB298_1224:                           ;   in Loop: Header=BB298_1062 Depth=1
	s_or_b32 exec_lo, exec_lo, s17
.LBB298_1225:                           ;   in Loop: Header=BB298_1062 Depth=1
	s_delay_alu instid0(SALU_CYCLE_1)
	s_or_b32 exec_lo, exec_lo, s16
.LBB298_1226:                           ;   in Loop: Header=BB298_1062 Depth=1
	s_delay_alu instid0(SALU_CYCLE_1) | instskip(SKIP_4) | instid1(VALU_DEP_3)
	s_or_b32 exec_lo, exec_lo, s15
	v_and_b32_e32 v36, 0xff, v35
	v_dual_mov_b32 v6, v35 :: v_dual_mov_b32 v33, 0
	v_mov_b32_e32 v23, 0
	s_mov_b32 s15, exec_lo
	v_cmpx_ne_u16_e32 0, v36
	s_cbranch_execz .LBB298_1234
; %bb.1227:                             ;   in Loop: Header=BB298_1062 Depth=1
	v_mov_b32_e32 v23, 0x8000
	s_mov_b32 s16, exec_lo
	v_cmpx_ne_u16_e32 0x80, v36
	s_cbranch_execz .LBB298_1233
; %bb.1228:                             ;   in Loop: Header=BB298_1062 Depth=1
	v_and_b32_e32 v37, 0x7f, v35
	v_mov_b32_e32 v23, 0x7c01
	s_mov_b32 s17, exec_lo
	s_delay_alu instid0(VALU_DEP_2)
	v_cmpx_ne_u32_e32 0x7f, v37
	s_cbranch_execz .LBB298_1232
; %bb.1229:                             ;   in Loop: Header=BB298_1062 Depth=1
	v_dual_lshrrev_b32 v36, 3, v37 :: v_dual_bitop2_b32 v23, 7, v35 bitop3:0x40
	s_mov_b32 s18, exec_lo
	v_cmpx_gt_u32_e32 8, v37
; %bb.1230:                             ;   in Loop: Header=BB298_1062 Depth=1
	s_delay_alu instid0(VALU_DEP_2) | instskip(NEXT) | instid1(VALU_DEP_1)
	v_clz_i32_u32_e32 v23, v23
	v_min_u32_e32 v23, 32, v23
	s_delay_alu instid0(VALU_DEP_1) | instskip(NEXT) | instid1(VALU_DEP_1)
	v_subrev_nc_u32_e32 v36, 28, v23
	v_lshlrev_b64_e32 v[38:39], v36, v[6:7]
	s_delay_alu instid0(VALU_DEP_1)
	v_dual_sub_nc_u32 v36, 29, v23 :: v_dual_bitop2_b32 v23, 7, v38 bitop3:0x40
; %bb.1231:                             ;   in Loop: Header=BB298_1062 Depth=1
	s_or_b32 exec_lo, exec_lo, s18
	v_lshlrev_b32_e32 v37, 8, v35
	s_delay_alu instid0(VALU_DEP_2) | instskip(NEXT) | instid1(VALU_DEP_3)
	v_lshl_add_u32 v36, v36, 10, 0x2000
	v_lshlrev_b32_e32 v23, 7, v23
	s_delay_alu instid0(VALU_DEP_3) | instskip(NEXT) | instid1(VALU_DEP_3)
	v_and_b32_e32 v37, 0x8000, v37
	v_and_b32_e32 v36, 0xfc00, v36
	s_delay_alu instid0(VALU_DEP_1)
	v_or3_b32 v23, v37, v36, v23
.LBB298_1232:                           ;   in Loop: Header=BB298_1062 Depth=1
	s_or_b32 exec_lo, exec_lo, s17
.LBB298_1233:                           ;   in Loop: Header=BB298_1062 Depth=1
	s_delay_alu instid0(SALU_CYCLE_1)
	s_or_b32 exec_lo, exec_lo, s16
.LBB298_1234:                           ;   in Loop: Header=BB298_1062 Depth=1
	s_delay_alu instid0(SALU_CYCLE_1) | instskip(SKIP_3) | instid1(VALU_DEP_2)
	s_or_b32 exec_lo, exec_lo, s15
	v_lshrrev_b16 v6, 8, v6
	v_mov_b32_e32 v36, 0
	s_mov_b32 s15, exec_lo
	v_cmpx_ne_u16_e32 0, v6
	s_cbranch_execz .LBB298_1242
; %bb.1235:                             ;   in Loop: Header=BB298_1062 Depth=1
	v_bfrev_b32_e32 v36, 1
	s_mov_b32 s16, exec_lo
	v_cmpx_ne_u16_e32 0x80, v6
	s_cbranch_execz .LBB298_1241
; %bb.1236:                             ;   in Loop: Header=BB298_1062 Depth=1
	v_and_b32_e32 v37, 0xffff, v6
	v_mov_b32_e32 v36, 0x7c010000
	s_mov_b32 s17, exec_lo
	s_delay_alu instid0(VALU_DEP_2) | instskip(NEXT) | instid1(VALU_DEP_1)
	v_and_b32_e32 v39, 0x7f, v37
	v_cmpx_ne_u32_e32 0x7f, v39
	s_cbranch_execz .LBB298_1240
; %bb.1237:                             ;   in Loop: Header=BB298_1062 Depth=1
	v_dual_lshrrev_b32 v38, 3, v39 :: v_dual_bitop2_b32 v36, 7, v37 bitop3:0x40
	s_mov_b32 s18, exec_lo
	v_cmpx_gt_u32_e32 8, v39
; %bb.1238:                             ;   in Loop: Header=BB298_1062 Depth=1
	s_delay_alu instid0(VALU_DEP_2) | instskip(NEXT) | instid1(VALU_DEP_1)
	v_clz_i32_u32_e32 v36, v36
	v_min_u32_e32 v36, 32, v36
	s_delay_alu instid0(VALU_DEP_1) | instskip(NEXT) | instid1(VALU_DEP_1)
	v_subrev_nc_u32_e32 v38, 28, v36
	v_lshlrev_b64_e32 v[48:49], v38, v[6:7]
	v_sub_nc_u32_e32 v38, 29, v36
	s_delay_alu instid0(VALU_DEP_2)
	v_and_b32_e32 v36, 7, v48
; %bb.1239:                             ;   in Loop: Header=BB298_1062 Depth=1
	s_or_b32 exec_lo, exec_lo, s18
	s_delay_alu instid0(VALU_DEP_1) | instskip(NEXT) | instid1(VALU_DEP_3)
	v_dual_lshlrev_b32 v6, 8, v37 :: v_dual_lshlrev_b32 v36, 23, v36
	v_lshl_add_u32 v37, v38, 10, 0x2000
	s_delay_alu instid0(VALU_DEP_1) | instskip(NEXT) | instid1(VALU_DEP_1)
	v_and_or_b32 v6, 0x8000, v6, v37
	v_lshl_or_b32 v36, v6, 16, v36
.LBB298_1240:                           ;   in Loop: Header=BB298_1062 Depth=1
	s_or_b32 exec_lo, exec_lo, s17
.LBB298_1241:                           ;   in Loop: Header=BB298_1062 Depth=1
	s_delay_alu instid0(SALU_CYCLE_1)
	s_or_b32 exec_lo, exec_lo, s16
.LBB298_1242:                           ;   in Loop: Header=BB298_1062 Depth=1
	s_delay_alu instid0(SALU_CYCLE_1) | instskip(SKIP_2) | instid1(VALU_DEP_1)
	s_or_b32 exec_lo, exec_lo, s15
	v_lshrrev_b32_e32 v6, 16, v35
	s_mov_b32 s15, exec_lo
	v_and_b32_e32 v37, 0xff, v6
	s_delay_alu instid0(VALU_DEP_1)
	v_cmpx_ne_u16_e32 0, v37
	s_cbranch_execz .LBB298_1250
; %bb.1243:                             ;   in Loop: Header=BB298_1062 Depth=1
	v_mov_b32_e32 v33, 0x8000
	s_mov_b32 s16, exec_lo
	v_cmpx_ne_u16_e32 0x80, v37
	s_cbranch_execz .LBB298_1249
; %bb.1244:                             ;   in Loop: Header=BB298_1062 Depth=1
	v_bfe_u32 v38, v35, 16, 7
	v_mov_b32_e32 v33, 0x7c01
	s_mov_b32 s17, exec_lo
	s_delay_alu instid0(VALU_DEP_2)
	v_cmpx_ne_u32_e32 0x7f, v38
	s_cbranch_execz .LBB298_1248
; %bb.1245:                             ;   in Loop: Header=BB298_1062 Depth=1
	v_and_b32_e32 v33, 7, v6
	v_lshrrev_b32_e32 v37, 3, v38
	s_mov_b32 s18, exec_lo
	v_cmpx_gt_u32_e32 8, v38
; %bb.1246:                             ;   in Loop: Header=BB298_1062 Depth=1
	s_delay_alu instid0(VALU_DEP_3) | instskip(NEXT) | instid1(VALU_DEP_1)
	v_clz_i32_u32_e32 v33, v33
	v_min_u32_e32 v33, 32, v33
	s_delay_alu instid0(VALU_DEP_1) | instskip(NEXT) | instid1(VALU_DEP_1)
	v_subrev_nc_u32_e32 v37, 28, v33
	v_lshlrev_b64_e32 v[38:39], v37, v[6:7]
	s_delay_alu instid0(VALU_DEP_1)
	v_dual_sub_nc_u32 v37, 29, v33 :: v_dual_bitop2_b32 v33, 7, v38 bitop3:0x40
; %bb.1247:                             ;   in Loop: Header=BB298_1062 Depth=1
	s_or_b32 exec_lo, exec_lo, s18
	s_delay_alu instid0(VALU_DEP_1) | instskip(NEXT) | instid1(VALU_DEP_2)
	v_dual_lshlrev_b32 v6, 8, v6 :: v_dual_lshlrev_b32 v33, 7, v33
	v_lshl_add_u32 v37, v37, 10, 0x2000
	s_delay_alu instid0(VALU_DEP_2) | instskip(NEXT) | instid1(VALU_DEP_2)
	v_and_b32_e32 v6, 0x8000, v6
	v_and_b32_e32 v37, 0xfc00, v37
	s_delay_alu instid0(VALU_DEP_1)
	v_or3_b32 v33, v6, v37, v33
.LBB298_1248:                           ;   in Loop: Header=BB298_1062 Depth=1
	s_or_b32 exec_lo, exec_lo, s17
.LBB298_1249:                           ;   in Loop: Header=BB298_1062 Depth=1
	s_delay_alu instid0(SALU_CYCLE_1)
	s_or_b32 exec_lo, exec_lo, s16
.LBB298_1250:                           ;   in Loop: Header=BB298_1062 Depth=1
	s_delay_alu instid0(SALU_CYCLE_1)
	s_or_b32 exec_lo, exec_lo, s15
	v_cmp_lt_u64_e64 s0, s[2:3], v[34:35]
	v_mov_b32_e32 v34, 0
	s_and_saveexec_b32 s15, s0
	s_cbranch_execz .LBB298_1258
; %bb.1251:                             ;   in Loop: Header=BB298_1062 Depth=1
	v_lshrrev_b32_e32 v6, 24, v35
	v_bfrev_b32_e32 v34, 1
	s_mov_b32 s16, exec_lo
	s_delay_alu instid0(VALU_DEP_2)
	v_cmpx_ne_u32_e32 0x80, v6
	s_cbranch_execz .LBB298_1257
; %bb.1252:                             ;   in Loop: Header=BB298_1062 Depth=1
	v_and_b32_e32 v37, 0x7f, v6
	v_mov_b32_e32 v34, 0x7c010000
	s_mov_b32 s17, exec_lo
	s_delay_alu instid0(VALU_DEP_2)
	v_cmpx_ne_u32_e32 0x7f, v37
	s_cbranch_execz .LBB298_1256
; %bb.1253:                             ;   in Loop: Header=BB298_1062 Depth=1
	v_dual_lshrrev_b32 v35, 3, v37 :: v_dual_bitop2_b32 v34, 7, v6 bitop3:0x40
	s_mov_b32 s18, exec_lo
	v_cmpx_gt_u32_e32 8, v37
; %bb.1254:                             ;   in Loop: Header=BB298_1062 Depth=1
	s_delay_alu instid0(VALU_DEP_2) | instskip(NEXT) | instid1(VALU_DEP_1)
	v_clz_i32_u32_e32 v34, v34
	v_min_u32_e32 v37, 32, v34
	s_delay_alu instid0(VALU_DEP_1) | instskip(NEXT) | instid1(VALU_DEP_1)
	v_subrev_nc_u32_e32 v34, 28, v37
	v_lshlrev_b64_e32 v[34:35], v34, v[6:7]
	s_delay_alu instid0(VALU_DEP_1)
	v_dual_sub_nc_u32 v35, 29, v37 :: v_dual_bitop2_b32 v34, 7, v34 bitop3:0x40
; %bb.1255:                             ;   in Loop: Header=BB298_1062 Depth=1
	s_or_b32 exec_lo, exec_lo, s18
	v_lshlrev_b32_e32 v6, 8, v6
	s_delay_alu instid0(VALU_DEP_2) | instskip(NEXT) | instid1(VALU_DEP_3)
	v_lshl_add_u32 v35, v35, 10, 0x2000
	v_lshlrev_b32_e32 v34, 23, v34
	s_delay_alu instid0(VALU_DEP_2) | instskip(NEXT) | instid1(VALU_DEP_1)
	v_and_or_b32 v6, 0x8000, v6, v35
	v_lshl_or_b32 v34, v6, 16, v34
.LBB298_1256:                           ;   in Loop: Header=BB298_1062 Depth=1
	s_or_b32 exec_lo, exec_lo, s17
.LBB298_1257:                           ;   in Loop: Header=BB298_1062 Depth=1
	s_delay_alu instid0(SALU_CYCLE_1)
	s_or_b32 exec_lo, exec_lo, s16
.LBB298_1258:                           ;   in Loop: Header=BB298_1062 Depth=1
	s_delay_alu instid0(SALU_CYCLE_1) | instskip(SKIP_4) | instid1(VALU_DEP_4)
	s_or_b32 exec_lo, exec_lo, s15
	v_dual_lshrrev_b32 v6, 16, v1 :: v_dual_lshrrev_b32 v35, 16, v19
	v_or_b32_e32 v1, v1, v18
	v_or_b32_e32 v22, v19, v22
	;; [unrolled: 1-line block ×3, first 2 shown]
	v_cvt_f32_f16_e32 v19, v6
	v_cvt_f32_f16_e32 v18, v35
	v_dual_lshrrev_b32 v34, 16, v34 :: v_dual_bitop2_b32 v6, v34, v33 bitop3:0x54
	v_lshrrev_b32_e32 v33, 16, v36
	v_cvt_f32_f16_e32 v23, v1
	s_delay_alu instid0(VALU_DEP_3) | instskip(NEXT) | instid1(VALU_DEP_4)
	v_cvt_f32_f16_e32 v36, v6
	v_cvt_f32_f16_e32 v34, v34
	s_wait_loadcnt_dscnt 0x0
	v_pk_mul_f32 v[18:19], v[32:33], v[18:19] op_sel_hi:[0,1]
	v_cvt_f32_f16_e32 v35, v33
	s_delay_alu instid0(VALU_DEP_2) | instskip(NEXT) | instid1(VALU_DEP_2)
	v_cvt_pk_f16_f32 v1, v18, v19
	v_pk_mul_f32 v[18:19], v[32:33], v[34:35] op_sel_hi:[0,1]
	s_delay_alu instid0(VALU_DEP_2) | instskip(SKIP_2) | instid1(VALU_DEP_4)
	v_lshlrev_b32_e32 v34, 16, v1
	v_cvt_f32_f16_e32 v22, v22
	v_and_b32_e32 v35, 0xffff0000, v1
	v_cvt_pk_f16_f32 v18, v18, v19
	s_delay_alu instid0(VALU_DEP_3) | instskip(NEXT) | instid1(VALU_DEP_2)
	v_pk_mul_f32 v[22:23], v[32:33], v[22:23] op_sel_hi:[0,1]
	v_and_b32_e32 v19, 0xffff0000, v18
	s_delay_alu instid0(VALU_DEP_2) | instskip(NEXT) | instid1(VALU_DEP_1)
	v_cvt_pk_f16_f32 v6, v22, v23
	v_lshrrev_b32_e32 v49, 16, v6
	v_cvt_f32_f16_e32 v37, v37
	v_and_b32_e32 v48, 0xffff, v6
	s_delay_alu instid0(VALU_DEP_3) | instskip(NEXT) | instid1(VALU_DEP_3)
	v_or_b32_e32 v39, v35, v49
	v_pk_mul_f32 v[32:33], v[32:33], v[36:37] op_sel_hi:[0,1]
	s_delay_alu instid0(VALU_DEP_3) | instskip(NEXT) | instid1(VALU_DEP_2)
	v_or_b32_e32 v38, v34, v48
	v_cvt_pk_f16_f32 v1, v32, v33
	s_delay_alu instid0(VALU_DEP_1) | instskip(SKIP_1) | instid1(VALU_DEP_2)
	v_dual_lshlrev_b32 v6, 16, v18 :: v_dual_lshrrev_b32 v33, 16, v1
	v_and_b32_e32 v32, 0xffff, v1
	v_or_b32_e32 v37, v19, v33
	s_delay_alu instid0(VALU_DEP_2)
	v_or_b32_e32 v36, v6, v32
	s_and_saveexec_b32 s15, vcc_lo
	s_cbranch_execz .LBB298_1260
; %bb.1259:                             ;   in Loop: Header=BB298_1062 Depth=1
	v_cmp_lt_i32_e64 s0, v54, v13
	s_delay_alu instid0(VALU_DEP_1) | instskip(SKIP_1) | instid1(VALU_DEP_1)
	v_cndmask_b32_e64 v1, 0, v49, s0
	v_cmp_lt_i32_e64 s0, v70, v58
	v_cndmask_b32_e64 v18, 0, v48, s0
	v_cmp_lt_i32_e64 s0, v69, v13
	s_delay_alu instid0(VALU_DEP_1) | instskip(SKIP_1) | instid1(VALU_DEP_1)
	v_cndmask_b32_e64 v22, 0, v35, s0
	v_cmp_lt_i32_e64 s0, v68, v58
	v_cndmask_b32_e64 v23, 0, v34, s0
	v_cmp_lt_i32_e64 s0, v67, v13
	s_delay_alu instid0(VALU_DEP_4) | instskip(NEXT) | instid1(VALU_DEP_2)
	v_or_b32_e32 v39, v1, v22
	v_dual_cndmask_b32 v33, 0, v33, s0 :: v_dual_bitop2_b32 v38, v18, v23 bitop3:0x54
	v_cmp_lt_i32_e64 s0, v66, v58
	s_delay_alu instid0(VALU_DEP_1) | instskip(SKIP_1) | instid1(VALU_DEP_1)
	v_cndmask_b32_e64 v32, 0, v32, s0
	v_cmp_lt_i32_e64 s0, v65, v13
	v_cndmask_b32_e64 v19, 0, v19, s0
	v_cmp_lt_i32_e64 s0, v0, v58
	s_delay_alu instid0(VALU_DEP_1) | instskip(NEXT) | instid1(VALU_DEP_1)
	v_dual_cndmask_b32 v6, 0, v6, s0 :: v_dual_bitop2_b32 v37, v33, v19 bitop3:0x54
	v_or_b32_e32 v36, v32, v6
.LBB298_1260:                           ;   in Loop: Header=BB298_1062 Depth=1
	s_or_b32 exec_lo, exec_lo, s15
	;;#ASMSTART
	v_pk_mul_f16 v1, v82, v39;

	;;#ASMEND
	;;#ASMSTART
	v_pk_mul_f16 v6, v81, v38;

	;;#ASMEND
	;; [unrolled: 4-line block ×4, first 2 shown]
	;;#ASMSTART
	v_pk_add_f16 v1, v1, v6;

	;;#ASMEND
	;;#ASMSTART
	v_pk_add_f16 v1, v1, v18;

	;;#ASMEND
	;; [unrolled: 4-line block ×3, first 2 shown]
	v_and_b32_e32 v6, 0xffff, v1
	v_lshrrev_b32_e32 v1, 16, v1
	;;#ASMSTART
	v_cvt_f32_f16 v87, v6;
	;;#ASMEND
	;;#ASMSTART
	v_cvt_f32_f16 v96, v1;
	;;#ASMEND
	flat_load_b64 v[34:35], v[14:15] offset:768
	scratch_load_b64 v[18:19], off, s32 offset:192 ; 8-byte Folded Reload
	v_mov_b32_e32 v1, 0
	s_mov_b32 s15, exec_lo
	s_wait_loadcnt_dscnt 0x100
	v_and_b32_e32 v6, 0xff, v34
	s_wait_loadcnt 0x0
	flat_load_b32 v32, v[18:19]
	s_wait_xcnt 0x0
	v_mov_b32_e32 v18, 0
	v_cmpx_ne_u16_e32 0, v6
	s_cbranch_execz .LBB298_1268
; %bb.1261:                             ;   in Loop: Header=BB298_1062 Depth=1
	v_mov_b32_e32 v18, 0x8000
	s_mov_b32 s16, exec_lo
	v_cmpx_ne_u16_e32 0x80, v6
	s_cbranch_execz .LBB298_1267
; %bb.1262:                             ;   in Loop: Header=BB298_1062 Depth=1
	v_and_b32_e32 v19, 0x7f, v34
	v_mov_b32_e32 v18, 0x7c01
	s_mov_b32 s17, exec_lo
	s_delay_alu instid0(VALU_DEP_2)
	v_cmpx_ne_u32_e32 0x7f, v19
	s_cbranch_execz .LBB298_1266
; %bb.1263:                             ;   in Loop: Header=BB298_1062 Depth=1
	v_dual_lshrrev_b32 v18, 3, v19 :: v_dual_bitop2_b32 v6, 7, v34 bitop3:0x40
	s_mov_b32 s18, exec_lo
	v_cmpx_gt_u32_e32 8, v19
; %bb.1264:                             ;   in Loop: Header=BB298_1062 Depth=1
	s_delay_alu instid0(VALU_DEP_2) | instskip(NEXT) | instid1(VALU_DEP_1)
	v_clz_i32_u32_e32 v6, v6
	v_min_u32_e32 v6, 32, v6
	s_delay_alu instid0(VALU_DEP_1) | instskip(NEXT) | instid1(VALU_DEP_1)
	v_subrev_nc_u32_e32 v18, 28, v6
	v_lshlrev_b64_e32 v[22:23], v18, v[34:35]
	v_sub_nc_u32_e32 v18, 29, v6
	s_delay_alu instid0(VALU_DEP_2)
	v_and_b32_e32 v6, 7, v22
; %bb.1265:                             ;   in Loop: Header=BB298_1062 Depth=1
	s_or_b32 exec_lo, exec_lo, s18
	v_lshlrev_b32_e32 v19, 8, v34
	s_delay_alu instid0(VALU_DEP_3) | instskip(NEXT) | instid1(VALU_DEP_3)
	v_lshl_add_u32 v18, v18, 10, 0x2000
	v_lshlrev_b32_e32 v6, 7, v6
	s_delay_alu instid0(VALU_DEP_3) | instskip(NEXT) | instid1(VALU_DEP_3)
	v_and_b32_e32 v19, 0x8000, v19
	v_and_b32_e32 v18, 0xfc00, v18
	s_delay_alu instid0(VALU_DEP_1)
	v_or3_b32 v18, v19, v18, v6
.LBB298_1266:                           ;   in Loop: Header=BB298_1062 Depth=1
	s_or_b32 exec_lo, exec_lo, s17
.LBB298_1267:                           ;   in Loop: Header=BB298_1062 Depth=1
	s_delay_alu instid0(SALU_CYCLE_1)
	s_or_b32 exec_lo, exec_lo, s16
.LBB298_1268:                           ;   in Loop: Header=BB298_1062 Depth=1
	s_delay_alu instid0(SALU_CYCLE_1) | instskip(SKIP_2) | instid1(VALU_DEP_1)
	s_or_b32 exec_lo, exec_lo, s15
	v_lshrrev_b16 v6, 8, v34
	s_mov_b32 s15, exec_lo
	v_cmpx_ne_u16_e32 0, v6
	s_cbranch_execz .LBB298_1276
; %bb.1269:                             ;   in Loop: Header=BB298_1062 Depth=1
	v_bfrev_b32_e32 v1, 1
	s_mov_b32 s16, exec_lo
	v_cmpx_ne_u16_e32 0x80, v6
	s_cbranch_execz .LBB298_1275
; %bb.1270:                             ;   in Loop: Header=BB298_1062 Depth=1
	v_and_b32_e32 v19, 0xffff, v6
	v_mov_b32_e32 v1, 0x7c010000
	s_mov_b32 s17, exec_lo
	s_delay_alu instid0(VALU_DEP_2) | instskip(NEXT) | instid1(VALU_DEP_1)
	v_and_b32_e32 v23, 0x7f, v19
	v_cmpx_ne_u32_e32 0x7f, v23
	s_cbranch_execz .LBB298_1274
; %bb.1271:                             ;   in Loop: Header=BB298_1062 Depth=1
	v_and_b32_e32 v1, 7, v19
	v_lshrrev_b32_e32 v22, 3, v23
	s_mov_b32 s18, exec_lo
	v_cmpx_gt_u32_e32 8, v23
; %bb.1272:                             ;   in Loop: Header=BB298_1062 Depth=1
	s_delay_alu instid0(VALU_DEP_3) | instskip(NEXT) | instid1(VALU_DEP_1)
	v_clz_i32_u32_e32 v1, v1
	v_min_u32_e32 v1, 32, v1
	s_delay_alu instid0(VALU_DEP_1) | instskip(NEXT) | instid1(VALU_DEP_1)
	v_subrev_nc_u32_e32 v22, 28, v1
	v_lshlrev_b64_e32 v[36:37], v22, v[6:7]
	s_delay_alu instid0(VALU_DEP_1)
	v_dual_sub_nc_u32 v22, 29, v1 :: v_dual_bitop2_b32 v1, 7, v36 bitop3:0x40
; %bb.1273:                             ;   in Loop: Header=BB298_1062 Depth=1
	s_or_b32 exec_lo, exec_lo, s18
	s_delay_alu instid0(VALU_DEP_1) | instskip(NEXT) | instid1(VALU_DEP_2)
	v_dual_lshlrev_b32 v6, 8, v19 :: v_dual_lshlrev_b32 v1, 23, v1
	v_lshl_add_u32 v19, v22, 10, 0x2000
	s_delay_alu instid0(VALU_DEP_1) | instskip(NEXT) | instid1(VALU_DEP_1)
	v_and_or_b32 v6, 0x8000, v6, v19
	v_lshl_or_b32 v1, v6, 16, v1
.LBB298_1274:                           ;   in Loop: Header=BB298_1062 Depth=1
	s_or_b32 exec_lo, exec_lo, s17
.LBB298_1275:                           ;   in Loop: Header=BB298_1062 Depth=1
	s_delay_alu instid0(SALU_CYCLE_1)
	s_or_b32 exec_lo, exec_lo, s16
.LBB298_1276:                           ;   in Loop: Header=BB298_1062 Depth=1
	s_delay_alu instid0(SALU_CYCLE_1) | instskip(SKIP_3) | instid1(VALU_DEP_2)
	s_or_b32 exec_lo, exec_lo, s15
	v_dual_mov_b32 v19, 0 :: v_dual_lshrrev_b32 v6, 16, v34
	v_mov_b32_e32 v22, 0
	s_mov_b32 s15, exec_lo
	v_and_b32_e32 v23, 0xff, v6
	s_delay_alu instid0(VALU_DEP_1)
	v_cmpx_ne_u16_e32 0, v23
	s_cbranch_execz .LBB298_1284
; %bb.1277:                             ;   in Loop: Header=BB298_1062 Depth=1
	v_mov_b32_e32 v22, 0x8000
	s_mov_b32 s16, exec_lo
	v_cmpx_ne_u16_e32 0x80, v23
	s_cbranch_execz .LBB298_1283
; %bb.1278:                             ;   in Loop: Header=BB298_1062 Depth=1
	v_bfe_u32 v33, v34, 16, 7
	v_mov_b32_e32 v22, 0x7c01
	s_mov_b32 s17, exec_lo
	s_delay_alu instid0(VALU_DEP_2)
	v_cmpx_ne_u32_e32 0x7f, v33
	s_cbranch_execz .LBB298_1282
; %bb.1279:                             ;   in Loop: Header=BB298_1062 Depth=1
	v_dual_lshrrev_b32 v23, 3, v33 :: v_dual_bitop2_b32 v22, 7, v6 bitop3:0x40
	s_mov_b32 s18, exec_lo
	v_cmpx_gt_u32_e32 8, v33
; %bb.1280:                             ;   in Loop: Header=BB298_1062 Depth=1
	s_delay_alu instid0(VALU_DEP_2) | instskip(NEXT) | instid1(VALU_DEP_1)
	v_clz_i32_u32_e32 v22, v22
	v_min_u32_e32 v33, 32, v22
	s_delay_alu instid0(VALU_DEP_1) | instskip(NEXT) | instid1(VALU_DEP_1)
	v_subrev_nc_u32_e32 v22, 28, v33
	v_lshlrev_b64_e32 v[22:23], v22, v[6:7]
	s_delay_alu instid0(VALU_DEP_1)
	v_dual_sub_nc_u32 v23, 29, v33 :: v_dual_bitop2_b32 v22, 7, v22 bitop3:0x40
; %bb.1281:                             ;   in Loop: Header=BB298_1062 Depth=1
	s_or_b32 exec_lo, exec_lo, s18
	v_lshlrev_b32_e32 v6, 8, v6
	s_delay_alu instid0(VALU_DEP_2) | instskip(NEXT) | instid1(VALU_DEP_3)
	v_lshl_add_u32 v23, v23, 10, 0x2000
	v_lshlrev_b32_e32 v22, 7, v22
	s_delay_alu instid0(VALU_DEP_3) | instskip(NEXT) | instid1(VALU_DEP_3)
	v_and_b32_e32 v6, 0x8000, v6
	v_and_b32_e32 v23, 0xfc00, v23
	s_delay_alu instid0(VALU_DEP_1)
	v_or3_b32 v22, v6, v23, v22
.LBB298_1282:                           ;   in Loop: Header=BB298_1062 Depth=1
	s_or_b32 exec_lo, exec_lo, s17
.LBB298_1283:                           ;   in Loop: Header=BB298_1062 Depth=1
	s_delay_alu instid0(SALU_CYCLE_1)
	s_or_b32 exec_lo, exec_lo, s16
.LBB298_1284:                           ;   in Loop: Header=BB298_1062 Depth=1
	s_delay_alu instid0(SALU_CYCLE_1) | instskip(NEXT) | instid1(SALU_CYCLE_1)
	s_or_b32 exec_lo, exec_lo, s15
	s_mov_b32 s15, exec_lo
	v_cmpx_lt_u32_e32 0xffffff, v34
	s_cbranch_execz .LBB298_1292
; %bb.1285:                             ;   in Loop: Header=BB298_1062 Depth=1
	v_lshrrev_b32_e32 v6, 24, v34
	v_bfrev_b32_e32 v19, 1
	s_mov_b32 s16, exec_lo
	s_delay_alu instid0(VALU_DEP_2)
	v_cmpx_ne_u32_e32 0x80, v6
	s_cbranch_execz .LBB298_1291
; %bb.1286:                             ;   in Loop: Header=BB298_1062 Depth=1
	v_and_b32_e32 v33, 0x7f, v6
	v_mov_b32_e32 v19, 0x7c010000
	s_mov_b32 s17, exec_lo
	s_delay_alu instid0(VALU_DEP_2)
	v_cmpx_ne_u32_e32 0x7f, v33
	s_cbranch_execz .LBB298_1290
; %bb.1287:                             ;   in Loop: Header=BB298_1062 Depth=1
	v_dual_lshrrev_b32 v23, 3, v33 :: v_dual_bitop2_b32 v19, 7, v6 bitop3:0x40
	s_mov_b32 s18, exec_lo
	v_cmpx_gt_u32_e32 8, v33
; %bb.1288:                             ;   in Loop: Header=BB298_1062 Depth=1
	s_delay_alu instid0(VALU_DEP_2) | instskip(NEXT) | instid1(VALU_DEP_1)
	v_clz_i32_u32_e32 v19, v19
	v_min_u32_e32 v19, 32, v19
	s_delay_alu instid0(VALU_DEP_1) | instskip(NEXT) | instid1(VALU_DEP_1)
	v_subrev_nc_u32_e32 v23, 28, v19
	v_lshlrev_b64_e32 v[36:37], v23, v[6:7]
	s_delay_alu instid0(VALU_DEP_1)
	v_dual_sub_nc_u32 v23, 29, v19 :: v_dual_bitop2_b32 v19, 7, v36 bitop3:0x40
; %bb.1289:                             ;   in Loop: Header=BB298_1062 Depth=1
	s_or_b32 exec_lo, exec_lo, s18
	s_delay_alu instid0(VALU_DEP_1) | instskip(NEXT) | instid1(VALU_DEP_2)
	v_dual_lshlrev_b32 v6, 8, v6 :: v_dual_lshlrev_b32 v19, 23, v19
	v_lshl_add_u32 v23, v23, 10, 0x2000
	s_delay_alu instid0(VALU_DEP_1) | instskip(NEXT) | instid1(VALU_DEP_1)
	v_and_or_b32 v6, 0x8000, v6, v23
	v_lshl_or_b32 v19, v6, 16, v19
.LBB298_1290:                           ;   in Loop: Header=BB298_1062 Depth=1
	s_or_b32 exec_lo, exec_lo, s17
.LBB298_1291:                           ;   in Loop: Header=BB298_1062 Depth=1
	s_delay_alu instid0(SALU_CYCLE_1)
	s_or_b32 exec_lo, exec_lo, s16
.LBB298_1292:                           ;   in Loop: Header=BB298_1062 Depth=1
	s_delay_alu instid0(SALU_CYCLE_1) | instskip(SKIP_4) | instid1(VALU_DEP_3)
	s_or_b32 exec_lo, exec_lo, s15
	v_and_b32_e32 v36, 0xff, v35
	v_dual_mov_b32 v6, v35 :: v_dual_mov_b32 v33, 0
	v_mov_b32_e32 v23, 0
	s_mov_b32 s15, exec_lo
	v_cmpx_ne_u16_e32 0, v36
	s_cbranch_execz .LBB298_1300
; %bb.1293:                             ;   in Loop: Header=BB298_1062 Depth=1
	v_mov_b32_e32 v23, 0x8000
	s_mov_b32 s16, exec_lo
	v_cmpx_ne_u16_e32 0x80, v36
	s_cbranch_execz .LBB298_1299
; %bb.1294:                             ;   in Loop: Header=BB298_1062 Depth=1
	v_and_b32_e32 v37, 0x7f, v35
	v_mov_b32_e32 v23, 0x7c01
	s_mov_b32 s17, exec_lo
	s_delay_alu instid0(VALU_DEP_2)
	v_cmpx_ne_u32_e32 0x7f, v37
	s_cbranch_execz .LBB298_1298
; %bb.1295:                             ;   in Loop: Header=BB298_1062 Depth=1
	v_dual_lshrrev_b32 v36, 3, v37 :: v_dual_bitop2_b32 v23, 7, v35 bitop3:0x40
	s_mov_b32 s18, exec_lo
	v_cmpx_gt_u32_e32 8, v37
; %bb.1296:                             ;   in Loop: Header=BB298_1062 Depth=1
	s_delay_alu instid0(VALU_DEP_2) | instskip(NEXT) | instid1(VALU_DEP_1)
	v_clz_i32_u32_e32 v23, v23
	v_min_u32_e32 v23, 32, v23
	s_delay_alu instid0(VALU_DEP_1) | instskip(NEXT) | instid1(VALU_DEP_1)
	v_subrev_nc_u32_e32 v36, 28, v23
	v_lshlrev_b64_e32 v[38:39], v36, v[6:7]
	s_delay_alu instid0(VALU_DEP_1)
	v_dual_sub_nc_u32 v36, 29, v23 :: v_dual_bitop2_b32 v23, 7, v38 bitop3:0x40
; %bb.1297:                             ;   in Loop: Header=BB298_1062 Depth=1
	s_or_b32 exec_lo, exec_lo, s18
	v_lshlrev_b32_e32 v37, 8, v35
	s_delay_alu instid0(VALU_DEP_2) | instskip(NEXT) | instid1(VALU_DEP_3)
	v_lshl_add_u32 v36, v36, 10, 0x2000
	v_lshlrev_b32_e32 v23, 7, v23
	s_delay_alu instid0(VALU_DEP_3) | instskip(NEXT) | instid1(VALU_DEP_3)
	v_and_b32_e32 v37, 0x8000, v37
	v_and_b32_e32 v36, 0xfc00, v36
	s_delay_alu instid0(VALU_DEP_1)
	v_or3_b32 v23, v37, v36, v23
.LBB298_1298:                           ;   in Loop: Header=BB298_1062 Depth=1
	s_or_b32 exec_lo, exec_lo, s17
.LBB298_1299:                           ;   in Loop: Header=BB298_1062 Depth=1
	s_delay_alu instid0(SALU_CYCLE_1)
	s_or_b32 exec_lo, exec_lo, s16
.LBB298_1300:                           ;   in Loop: Header=BB298_1062 Depth=1
	s_delay_alu instid0(SALU_CYCLE_1) | instskip(SKIP_3) | instid1(VALU_DEP_2)
	s_or_b32 exec_lo, exec_lo, s15
	v_lshrrev_b16 v6, 8, v6
	v_mov_b32_e32 v36, 0
	s_mov_b32 s15, exec_lo
	v_cmpx_ne_u16_e32 0, v6
	s_cbranch_execz .LBB298_1308
; %bb.1301:                             ;   in Loop: Header=BB298_1062 Depth=1
	v_bfrev_b32_e32 v36, 1
	s_mov_b32 s16, exec_lo
	v_cmpx_ne_u16_e32 0x80, v6
	s_cbranch_execz .LBB298_1307
; %bb.1302:                             ;   in Loop: Header=BB298_1062 Depth=1
	v_and_b32_e32 v37, 0xffff, v6
	v_mov_b32_e32 v36, 0x7c010000
	s_mov_b32 s17, exec_lo
	s_delay_alu instid0(VALU_DEP_2) | instskip(NEXT) | instid1(VALU_DEP_1)
	v_and_b32_e32 v39, 0x7f, v37
	v_cmpx_ne_u32_e32 0x7f, v39
	s_cbranch_execz .LBB298_1306
; %bb.1303:                             ;   in Loop: Header=BB298_1062 Depth=1
	v_dual_lshrrev_b32 v38, 3, v39 :: v_dual_bitop2_b32 v36, 7, v37 bitop3:0x40
	s_mov_b32 s18, exec_lo
	v_cmpx_gt_u32_e32 8, v39
; %bb.1304:                             ;   in Loop: Header=BB298_1062 Depth=1
	s_delay_alu instid0(VALU_DEP_2) | instskip(NEXT) | instid1(VALU_DEP_1)
	v_clz_i32_u32_e32 v36, v36
	v_min_u32_e32 v36, 32, v36
	s_delay_alu instid0(VALU_DEP_1) | instskip(NEXT) | instid1(VALU_DEP_1)
	v_subrev_nc_u32_e32 v38, 28, v36
	v_lshlrev_b64_e32 v[48:49], v38, v[6:7]
	v_sub_nc_u32_e32 v38, 29, v36
	s_delay_alu instid0(VALU_DEP_2)
	v_and_b32_e32 v36, 7, v48
; %bb.1305:                             ;   in Loop: Header=BB298_1062 Depth=1
	s_or_b32 exec_lo, exec_lo, s18
	s_delay_alu instid0(VALU_DEP_1) | instskip(NEXT) | instid1(VALU_DEP_3)
	v_dual_lshlrev_b32 v6, 8, v37 :: v_dual_lshlrev_b32 v36, 23, v36
	v_lshl_add_u32 v37, v38, 10, 0x2000
	s_delay_alu instid0(VALU_DEP_1) | instskip(NEXT) | instid1(VALU_DEP_1)
	v_and_or_b32 v6, 0x8000, v6, v37
	v_lshl_or_b32 v36, v6, 16, v36
.LBB298_1306:                           ;   in Loop: Header=BB298_1062 Depth=1
	s_or_b32 exec_lo, exec_lo, s17
.LBB298_1307:                           ;   in Loop: Header=BB298_1062 Depth=1
	s_delay_alu instid0(SALU_CYCLE_1)
	s_or_b32 exec_lo, exec_lo, s16
.LBB298_1308:                           ;   in Loop: Header=BB298_1062 Depth=1
	s_delay_alu instid0(SALU_CYCLE_1) | instskip(SKIP_2) | instid1(VALU_DEP_1)
	s_or_b32 exec_lo, exec_lo, s15
	v_lshrrev_b32_e32 v6, 16, v35
	s_mov_b32 s15, exec_lo
	v_and_b32_e32 v37, 0xff, v6
	s_delay_alu instid0(VALU_DEP_1)
	v_cmpx_ne_u16_e32 0, v37
	s_cbranch_execz .LBB298_1316
; %bb.1309:                             ;   in Loop: Header=BB298_1062 Depth=1
	v_mov_b32_e32 v33, 0x8000
	s_mov_b32 s16, exec_lo
	v_cmpx_ne_u16_e32 0x80, v37
	s_cbranch_execz .LBB298_1315
; %bb.1310:                             ;   in Loop: Header=BB298_1062 Depth=1
	v_bfe_u32 v38, v35, 16, 7
	v_mov_b32_e32 v33, 0x7c01
	s_mov_b32 s17, exec_lo
	s_delay_alu instid0(VALU_DEP_2)
	v_cmpx_ne_u32_e32 0x7f, v38
	s_cbranch_execz .LBB298_1314
; %bb.1311:                             ;   in Loop: Header=BB298_1062 Depth=1
	v_and_b32_e32 v33, 7, v6
	v_lshrrev_b32_e32 v37, 3, v38
	s_mov_b32 s18, exec_lo
	v_cmpx_gt_u32_e32 8, v38
; %bb.1312:                             ;   in Loop: Header=BB298_1062 Depth=1
	s_delay_alu instid0(VALU_DEP_3) | instskip(NEXT) | instid1(VALU_DEP_1)
	v_clz_i32_u32_e32 v33, v33
	v_min_u32_e32 v33, 32, v33
	s_delay_alu instid0(VALU_DEP_1) | instskip(NEXT) | instid1(VALU_DEP_1)
	v_subrev_nc_u32_e32 v37, 28, v33
	v_lshlrev_b64_e32 v[38:39], v37, v[6:7]
	s_delay_alu instid0(VALU_DEP_1)
	v_dual_sub_nc_u32 v37, 29, v33 :: v_dual_bitop2_b32 v33, 7, v38 bitop3:0x40
; %bb.1313:                             ;   in Loop: Header=BB298_1062 Depth=1
	s_or_b32 exec_lo, exec_lo, s18
	s_delay_alu instid0(VALU_DEP_1) | instskip(NEXT) | instid1(VALU_DEP_2)
	v_dual_lshlrev_b32 v6, 8, v6 :: v_dual_lshlrev_b32 v33, 7, v33
	v_lshl_add_u32 v37, v37, 10, 0x2000
	s_delay_alu instid0(VALU_DEP_2) | instskip(NEXT) | instid1(VALU_DEP_2)
	v_and_b32_e32 v6, 0x8000, v6
	v_and_b32_e32 v37, 0xfc00, v37
	s_delay_alu instid0(VALU_DEP_1)
	v_or3_b32 v33, v6, v37, v33
.LBB298_1314:                           ;   in Loop: Header=BB298_1062 Depth=1
	s_or_b32 exec_lo, exec_lo, s17
.LBB298_1315:                           ;   in Loop: Header=BB298_1062 Depth=1
	s_delay_alu instid0(SALU_CYCLE_1)
	s_or_b32 exec_lo, exec_lo, s16
.LBB298_1316:                           ;   in Loop: Header=BB298_1062 Depth=1
	s_delay_alu instid0(SALU_CYCLE_1)
	s_or_b32 exec_lo, exec_lo, s15
	v_cmp_lt_u64_e64 s0, s[2:3], v[34:35]
	v_mov_b32_e32 v34, 0
	s_and_saveexec_b32 s15, s0
	s_cbranch_execz .LBB298_1324
; %bb.1317:                             ;   in Loop: Header=BB298_1062 Depth=1
	v_lshrrev_b32_e32 v6, 24, v35
	v_bfrev_b32_e32 v34, 1
	s_mov_b32 s16, exec_lo
	s_delay_alu instid0(VALU_DEP_2)
	v_cmpx_ne_u32_e32 0x80, v6
	s_cbranch_execz .LBB298_1323
; %bb.1318:                             ;   in Loop: Header=BB298_1062 Depth=1
	v_and_b32_e32 v37, 0x7f, v6
	v_mov_b32_e32 v34, 0x7c010000
	s_mov_b32 s17, exec_lo
	s_delay_alu instid0(VALU_DEP_2)
	v_cmpx_ne_u32_e32 0x7f, v37
	s_cbranch_execz .LBB298_1322
; %bb.1319:                             ;   in Loop: Header=BB298_1062 Depth=1
	v_dual_lshrrev_b32 v35, 3, v37 :: v_dual_bitop2_b32 v34, 7, v6 bitop3:0x40
	s_mov_b32 s18, exec_lo
	v_cmpx_gt_u32_e32 8, v37
; %bb.1320:                             ;   in Loop: Header=BB298_1062 Depth=1
	s_delay_alu instid0(VALU_DEP_2) | instskip(NEXT) | instid1(VALU_DEP_1)
	v_clz_i32_u32_e32 v34, v34
	v_min_u32_e32 v37, 32, v34
	s_delay_alu instid0(VALU_DEP_1) | instskip(NEXT) | instid1(VALU_DEP_1)
	v_subrev_nc_u32_e32 v34, 28, v37
	v_lshlrev_b64_e32 v[34:35], v34, v[6:7]
	s_delay_alu instid0(VALU_DEP_1)
	v_dual_sub_nc_u32 v35, 29, v37 :: v_dual_bitop2_b32 v34, 7, v34 bitop3:0x40
; %bb.1321:                             ;   in Loop: Header=BB298_1062 Depth=1
	s_or_b32 exec_lo, exec_lo, s18
	v_lshlrev_b32_e32 v6, 8, v6
	s_delay_alu instid0(VALU_DEP_2) | instskip(NEXT) | instid1(VALU_DEP_3)
	v_lshl_add_u32 v35, v35, 10, 0x2000
	v_lshlrev_b32_e32 v34, 23, v34
	s_delay_alu instid0(VALU_DEP_2) | instskip(NEXT) | instid1(VALU_DEP_1)
	v_and_or_b32 v6, 0x8000, v6, v35
	v_lshl_or_b32 v34, v6, 16, v34
.LBB298_1322:                           ;   in Loop: Header=BB298_1062 Depth=1
	s_or_b32 exec_lo, exec_lo, s17
.LBB298_1323:                           ;   in Loop: Header=BB298_1062 Depth=1
	s_delay_alu instid0(SALU_CYCLE_1)
	s_or_b32 exec_lo, exec_lo, s16
.LBB298_1324:                           ;   in Loop: Header=BB298_1062 Depth=1
	s_delay_alu instid0(SALU_CYCLE_1) | instskip(SKIP_4) | instid1(VALU_DEP_4)
	s_or_b32 exec_lo, exec_lo, s15
	v_dual_lshrrev_b32 v6, 16, v1 :: v_dual_lshrrev_b32 v35, 16, v19
	v_or_b32_e32 v1, v1, v18
	v_or_b32_e32 v22, v19, v22
	;; [unrolled: 1-line block ×3, first 2 shown]
	v_cvt_f32_f16_e32 v19, v6
	v_cvt_f32_f16_e32 v18, v35
	v_dual_lshrrev_b32 v34, 16, v34 :: v_dual_bitop2_b32 v6, v34, v33 bitop3:0x54
	v_lshrrev_b32_e32 v33, 16, v36
	v_cvt_f32_f16_e32 v23, v1
	s_delay_alu instid0(VALU_DEP_3) | instskip(NEXT) | instid1(VALU_DEP_4)
	v_cvt_f32_f16_e32 v36, v6
	v_cvt_f32_f16_e32 v34, v34
	s_wait_loadcnt_dscnt 0x0
	v_pk_mul_f32 v[18:19], v[32:33], v[18:19] op_sel_hi:[0,1]
	v_cvt_f32_f16_e32 v35, v33
	s_delay_alu instid0(VALU_DEP_2) | instskip(NEXT) | instid1(VALU_DEP_2)
	v_cvt_pk_f16_f32 v1, v18, v19
	v_pk_mul_f32 v[18:19], v[32:33], v[34:35] op_sel_hi:[0,1]
	s_delay_alu instid0(VALU_DEP_2) | instskip(SKIP_2) | instid1(VALU_DEP_4)
	v_lshlrev_b32_e32 v34, 16, v1
	v_cvt_f32_f16_e32 v22, v22
	v_and_b32_e32 v35, 0xffff0000, v1
	v_cvt_pk_f16_f32 v18, v18, v19
	s_delay_alu instid0(VALU_DEP_3) | instskip(NEXT) | instid1(VALU_DEP_2)
	v_pk_mul_f32 v[22:23], v[32:33], v[22:23] op_sel_hi:[0,1]
	v_and_b32_e32 v19, 0xffff0000, v18
	s_delay_alu instid0(VALU_DEP_2) | instskip(NEXT) | instid1(VALU_DEP_1)
	v_cvt_pk_f16_f32 v6, v22, v23
	v_lshrrev_b32_e32 v49, 16, v6
	v_cvt_f32_f16_e32 v37, v37
	v_and_b32_e32 v48, 0xffff, v6
	s_delay_alu instid0(VALU_DEP_3) | instskip(NEXT) | instid1(VALU_DEP_3)
	v_or_b32_e32 v39, v35, v49
	v_pk_mul_f32 v[32:33], v[32:33], v[36:37] op_sel_hi:[0,1]
	s_delay_alu instid0(VALU_DEP_3) | instskip(NEXT) | instid1(VALU_DEP_2)
	v_or_b32_e32 v38, v34, v48
	v_cvt_pk_f16_f32 v1, v32, v33
	s_delay_alu instid0(VALU_DEP_1) | instskip(SKIP_1) | instid1(VALU_DEP_2)
	v_dual_lshlrev_b32 v6, 16, v18 :: v_dual_lshrrev_b32 v33, 16, v1
	v_and_b32_e32 v32, 0xffff, v1
	v_or_b32_e32 v37, v19, v33
	s_delay_alu instid0(VALU_DEP_2)
	v_or_b32_e32 v36, v6, v32
	s_and_saveexec_b32 s15, vcc_lo
	s_cbranch_execz .LBB298_1326
; %bb.1325:                             ;   in Loop: Header=BB298_1062 Depth=1
	v_cmp_lt_i32_e64 s0, v54, v13
	s_delay_alu instid0(VALU_DEP_1) | instskip(SKIP_1) | instid1(VALU_DEP_1)
	v_cndmask_b32_e64 v1, 0, v49, s0
	v_cmp_lt_i32_e64 s0, v70, v58
	v_cndmask_b32_e64 v18, 0, v48, s0
	v_cmp_lt_i32_e64 s0, v69, v13
	s_delay_alu instid0(VALU_DEP_1) | instskip(SKIP_1) | instid1(VALU_DEP_1)
	v_cndmask_b32_e64 v22, 0, v35, s0
	v_cmp_lt_i32_e64 s0, v68, v58
	v_cndmask_b32_e64 v23, 0, v34, s0
	v_cmp_lt_i32_e64 s0, v67, v13
	s_delay_alu instid0(VALU_DEP_4) | instskip(NEXT) | instid1(VALU_DEP_2)
	v_or_b32_e32 v39, v1, v22
	v_dual_cndmask_b32 v33, 0, v33, s0 :: v_dual_bitop2_b32 v38, v18, v23 bitop3:0x54
	v_cmp_lt_i32_e64 s0, v66, v58
	s_delay_alu instid0(VALU_DEP_1) | instskip(SKIP_1) | instid1(VALU_DEP_1)
	v_cndmask_b32_e64 v32, 0, v32, s0
	v_cmp_lt_i32_e64 s0, v65, v13
	v_cndmask_b32_e64 v19, 0, v19, s0
	v_cmp_lt_i32_e64 s0, v0, v58
	s_delay_alu instid0(VALU_DEP_1) | instskip(NEXT) | instid1(VALU_DEP_1)
	v_dual_cndmask_b32 v6, 0, v6, s0 :: v_dual_bitop2_b32 v37, v33, v19 bitop3:0x54
	v_or_b32_e32 v36, v32, v6
.LBB298_1326:                           ;   in Loop: Header=BB298_1062 Depth=1
	s_or_b32 exec_lo, exec_lo, s15
	;;#ASMSTART
	v_pk_mul_f16 v1, v82, v39;

	;;#ASMEND
	;;#ASMSTART
	v_pk_mul_f16 v6, v81, v38;

	;;#ASMEND
	;; [unrolled: 4-line block ×4, first 2 shown]
	;;#ASMSTART
	v_pk_add_f16 v1, v1, v6;

	;;#ASMEND
	;;#ASMSTART
	v_pk_add_f16 v1, v1, v18;

	;;#ASMEND
	;; [unrolled: 4-line block ×3, first 2 shown]
	v_and_b32_e32 v6, 0xffff, v1
	v_lshrrev_b32_e32 v1, 16, v1
	;;#ASMSTART
	v_cvt_f32_f16 v97, v6;
	;;#ASMEND
	;;#ASMSTART
	v_cvt_f32_f16 v98, v1;
	;;#ASMEND
	flat_load_b64 v[34:35], v[14:15] offset:1024
	scratch_load_b64 v[18:19], off, s32 offset:192 ; 8-byte Folded Reload
	v_mov_b32_e32 v1, 0
	s_mov_b32 s15, exec_lo
	s_wait_loadcnt_dscnt 0x100
	v_and_b32_e32 v6, 0xff, v34
	s_wait_loadcnt 0x0
	flat_load_b32 v32, v[18:19]
	s_wait_xcnt 0x0
	v_mov_b32_e32 v18, 0
	v_cmpx_ne_u16_e32 0, v6
	s_cbranch_execz .LBB298_1334
; %bb.1327:                             ;   in Loop: Header=BB298_1062 Depth=1
	v_mov_b32_e32 v18, 0x8000
	s_mov_b32 s16, exec_lo
	v_cmpx_ne_u16_e32 0x80, v6
	s_cbranch_execz .LBB298_1333
; %bb.1328:                             ;   in Loop: Header=BB298_1062 Depth=1
	v_and_b32_e32 v19, 0x7f, v34
	v_mov_b32_e32 v18, 0x7c01
	s_mov_b32 s17, exec_lo
	s_delay_alu instid0(VALU_DEP_2)
	v_cmpx_ne_u32_e32 0x7f, v19
	s_cbranch_execz .LBB298_1332
; %bb.1329:                             ;   in Loop: Header=BB298_1062 Depth=1
	v_dual_lshrrev_b32 v18, 3, v19 :: v_dual_bitop2_b32 v6, 7, v34 bitop3:0x40
	s_mov_b32 s18, exec_lo
	v_cmpx_gt_u32_e32 8, v19
; %bb.1330:                             ;   in Loop: Header=BB298_1062 Depth=1
	s_delay_alu instid0(VALU_DEP_2) | instskip(NEXT) | instid1(VALU_DEP_1)
	v_clz_i32_u32_e32 v6, v6
	v_min_u32_e32 v6, 32, v6
	s_delay_alu instid0(VALU_DEP_1) | instskip(NEXT) | instid1(VALU_DEP_1)
	v_subrev_nc_u32_e32 v18, 28, v6
	v_lshlrev_b64_e32 v[22:23], v18, v[34:35]
	v_sub_nc_u32_e32 v18, 29, v6
	s_delay_alu instid0(VALU_DEP_2)
	v_and_b32_e32 v6, 7, v22
; %bb.1331:                             ;   in Loop: Header=BB298_1062 Depth=1
	s_or_b32 exec_lo, exec_lo, s18
	v_lshlrev_b32_e32 v19, 8, v34
	s_delay_alu instid0(VALU_DEP_3) | instskip(NEXT) | instid1(VALU_DEP_3)
	v_lshl_add_u32 v18, v18, 10, 0x2000
	v_lshlrev_b32_e32 v6, 7, v6
	s_delay_alu instid0(VALU_DEP_3) | instskip(NEXT) | instid1(VALU_DEP_3)
	v_and_b32_e32 v19, 0x8000, v19
	v_and_b32_e32 v18, 0xfc00, v18
	s_delay_alu instid0(VALU_DEP_1)
	v_or3_b32 v18, v19, v18, v6
.LBB298_1332:                           ;   in Loop: Header=BB298_1062 Depth=1
	s_or_b32 exec_lo, exec_lo, s17
.LBB298_1333:                           ;   in Loop: Header=BB298_1062 Depth=1
	s_delay_alu instid0(SALU_CYCLE_1)
	s_or_b32 exec_lo, exec_lo, s16
.LBB298_1334:                           ;   in Loop: Header=BB298_1062 Depth=1
	s_delay_alu instid0(SALU_CYCLE_1) | instskip(SKIP_2) | instid1(VALU_DEP_1)
	s_or_b32 exec_lo, exec_lo, s15
	v_lshrrev_b16 v6, 8, v34
	s_mov_b32 s15, exec_lo
	v_cmpx_ne_u16_e32 0, v6
	s_cbranch_execz .LBB298_1342
; %bb.1335:                             ;   in Loop: Header=BB298_1062 Depth=1
	v_bfrev_b32_e32 v1, 1
	s_mov_b32 s16, exec_lo
	v_cmpx_ne_u16_e32 0x80, v6
	s_cbranch_execz .LBB298_1341
; %bb.1336:                             ;   in Loop: Header=BB298_1062 Depth=1
	v_and_b32_e32 v19, 0xffff, v6
	v_mov_b32_e32 v1, 0x7c010000
	s_mov_b32 s17, exec_lo
	s_delay_alu instid0(VALU_DEP_2) | instskip(NEXT) | instid1(VALU_DEP_1)
	v_and_b32_e32 v23, 0x7f, v19
	v_cmpx_ne_u32_e32 0x7f, v23
	s_cbranch_execz .LBB298_1340
; %bb.1337:                             ;   in Loop: Header=BB298_1062 Depth=1
	v_and_b32_e32 v1, 7, v19
	v_lshrrev_b32_e32 v22, 3, v23
	s_mov_b32 s18, exec_lo
	v_cmpx_gt_u32_e32 8, v23
; %bb.1338:                             ;   in Loop: Header=BB298_1062 Depth=1
	s_delay_alu instid0(VALU_DEP_3) | instskip(NEXT) | instid1(VALU_DEP_1)
	v_clz_i32_u32_e32 v1, v1
	v_min_u32_e32 v1, 32, v1
	s_delay_alu instid0(VALU_DEP_1) | instskip(NEXT) | instid1(VALU_DEP_1)
	v_subrev_nc_u32_e32 v22, 28, v1
	v_lshlrev_b64_e32 v[36:37], v22, v[6:7]
	s_delay_alu instid0(VALU_DEP_1)
	v_dual_sub_nc_u32 v22, 29, v1 :: v_dual_bitop2_b32 v1, 7, v36 bitop3:0x40
; %bb.1339:                             ;   in Loop: Header=BB298_1062 Depth=1
	s_or_b32 exec_lo, exec_lo, s18
	s_delay_alu instid0(VALU_DEP_1) | instskip(NEXT) | instid1(VALU_DEP_2)
	v_dual_lshlrev_b32 v6, 8, v19 :: v_dual_lshlrev_b32 v1, 23, v1
	v_lshl_add_u32 v19, v22, 10, 0x2000
	s_delay_alu instid0(VALU_DEP_1) | instskip(NEXT) | instid1(VALU_DEP_1)
	v_and_or_b32 v6, 0x8000, v6, v19
	v_lshl_or_b32 v1, v6, 16, v1
.LBB298_1340:                           ;   in Loop: Header=BB298_1062 Depth=1
	s_or_b32 exec_lo, exec_lo, s17
.LBB298_1341:                           ;   in Loop: Header=BB298_1062 Depth=1
	s_delay_alu instid0(SALU_CYCLE_1)
	s_or_b32 exec_lo, exec_lo, s16
.LBB298_1342:                           ;   in Loop: Header=BB298_1062 Depth=1
	s_delay_alu instid0(SALU_CYCLE_1) | instskip(SKIP_3) | instid1(VALU_DEP_2)
	s_or_b32 exec_lo, exec_lo, s15
	v_dual_mov_b32 v19, 0 :: v_dual_lshrrev_b32 v6, 16, v34
	v_mov_b32_e32 v22, 0
	s_mov_b32 s15, exec_lo
	v_and_b32_e32 v23, 0xff, v6
	s_delay_alu instid0(VALU_DEP_1)
	v_cmpx_ne_u16_e32 0, v23
	s_cbranch_execz .LBB298_1350
; %bb.1343:                             ;   in Loop: Header=BB298_1062 Depth=1
	v_mov_b32_e32 v22, 0x8000
	s_mov_b32 s16, exec_lo
	v_cmpx_ne_u16_e32 0x80, v23
	s_cbranch_execz .LBB298_1349
; %bb.1344:                             ;   in Loop: Header=BB298_1062 Depth=1
	v_bfe_u32 v33, v34, 16, 7
	v_mov_b32_e32 v22, 0x7c01
	s_mov_b32 s17, exec_lo
	s_delay_alu instid0(VALU_DEP_2)
	v_cmpx_ne_u32_e32 0x7f, v33
	s_cbranch_execz .LBB298_1348
; %bb.1345:                             ;   in Loop: Header=BB298_1062 Depth=1
	v_dual_lshrrev_b32 v23, 3, v33 :: v_dual_bitop2_b32 v22, 7, v6 bitop3:0x40
	s_mov_b32 s18, exec_lo
	v_cmpx_gt_u32_e32 8, v33
; %bb.1346:                             ;   in Loop: Header=BB298_1062 Depth=1
	s_delay_alu instid0(VALU_DEP_2) | instskip(NEXT) | instid1(VALU_DEP_1)
	v_clz_i32_u32_e32 v22, v22
	v_min_u32_e32 v33, 32, v22
	s_delay_alu instid0(VALU_DEP_1) | instskip(NEXT) | instid1(VALU_DEP_1)
	v_subrev_nc_u32_e32 v22, 28, v33
	v_lshlrev_b64_e32 v[22:23], v22, v[6:7]
	s_delay_alu instid0(VALU_DEP_1)
	v_dual_sub_nc_u32 v23, 29, v33 :: v_dual_bitop2_b32 v22, 7, v22 bitop3:0x40
; %bb.1347:                             ;   in Loop: Header=BB298_1062 Depth=1
	s_or_b32 exec_lo, exec_lo, s18
	v_lshlrev_b32_e32 v6, 8, v6
	s_delay_alu instid0(VALU_DEP_2) | instskip(NEXT) | instid1(VALU_DEP_3)
	v_lshl_add_u32 v23, v23, 10, 0x2000
	v_lshlrev_b32_e32 v22, 7, v22
	s_delay_alu instid0(VALU_DEP_3) | instskip(NEXT) | instid1(VALU_DEP_3)
	v_and_b32_e32 v6, 0x8000, v6
	v_and_b32_e32 v23, 0xfc00, v23
	s_delay_alu instid0(VALU_DEP_1)
	v_or3_b32 v22, v6, v23, v22
.LBB298_1348:                           ;   in Loop: Header=BB298_1062 Depth=1
	s_or_b32 exec_lo, exec_lo, s17
.LBB298_1349:                           ;   in Loop: Header=BB298_1062 Depth=1
	s_delay_alu instid0(SALU_CYCLE_1)
	s_or_b32 exec_lo, exec_lo, s16
.LBB298_1350:                           ;   in Loop: Header=BB298_1062 Depth=1
	s_delay_alu instid0(SALU_CYCLE_1) | instskip(NEXT) | instid1(SALU_CYCLE_1)
	s_or_b32 exec_lo, exec_lo, s15
	s_mov_b32 s15, exec_lo
	v_cmpx_lt_u32_e32 0xffffff, v34
	s_cbranch_execz .LBB298_1358
; %bb.1351:                             ;   in Loop: Header=BB298_1062 Depth=1
	v_lshrrev_b32_e32 v6, 24, v34
	v_bfrev_b32_e32 v19, 1
	s_mov_b32 s16, exec_lo
	s_delay_alu instid0(VALU_DEP_2)
	v_cmpx_ne_u32_e32 0x80, v6
	s_cbranch_execz .LBB298_1357
; %bb.1352:                             ;   in Loop: Header=BB298_1062 Depth=1
	v_and_b32_e32 v33, 0x7f, v6
	v_mov_b32_e32 v19, 0x7c010000
	s_mov_b32 s17, exec_lo
	s_delay_alu instid0(VALU_DEP_2)
	v_cmpx_ne_u32_e32 0x7f, v33
	s_cbranch_execz .LBB298_1356
; %bb.1353:                             ;   in Loop: Header=BB298_1062 Depth=1
	v_dual_lshrrev_b32 v23, 3, v33 :: v_dual_bitop2_b32 v19, 7, v6 bitop3:0x40
	s_mov_b32 s18, exec_lo
	v_cmpx_gt_u32_e32 8, v33
; %bb.1354:                             ;   in Loop: Header=BB298_1062 Depth=1
	s_delay_alu instid0(VALU_DEP_2) | instskip(NEXT) | instid1(VALU_DEP_1)
	v_clz_i32_u32_e32 v19, v19
	v_min_u32_e32 v19, 32, v19
	s_delay_alu instid0(VALU_DEP_1) | instskip(NEXT) | instid1(VALU_DEP_1)
	v_subrev_nc_u32_e32 v23, 28, v19
	v_lshlrev_b64_e32 v[36:37], v23, v[6:7]
	s_delay_alu instid0(VALU_DEP_1)
	v_dual_sub_nc_u32 v23, 29, v19 :: v_dual_bitop2_b32 v19, 7, v36 bitop3:0x40
; %bb.1355:                             ;   in Loop: Header=BB298_1062 Depth=1
	s_or_b32 exec_lo, exec_lo, s18
	s_delay_alu instid0(VALU_DEP_1) | instskip(NEXT) | instid1(VALU_DEP_2)
	v_dual_lshlrev_b32 v6, 8, v6 :: v_dual_lshlrev_b32 v19, 23, v19
	v_lshl_add_u32 v23, v23, 10, 0x2000
	s_delay_alu instid0(VALU_DEP_1) | instskip(NEXT) | instid1(VALU_DEP_1)
	v_and_or_b32 v6, 0x8000, v6, v23
	v_lshl_or_b32 v19, v6, 16, v19
.LBB298_1356:                           ;   in Loop: Header=BB298_1062 Depth=1
	s_or_b32 exec_lo, exec_lo, s17
.LBB298_1357:                           ;   in Loop: Header=BB298_1062 Depth=1
	s_delay_alu instid0(SALU_CYCLE_1)
	s_or_b32 exec_lo, exec_lo, s16
.LBB298_1358:                           ;   in Loop: Header=BB298_1062 Depth=1
	s_delay_alu instid0(SALU_CYCLE_1) | instskip(SKIP_4) | instid1(VALU_DEP_3)
	s_or_b32 exec_lo, exec_lo, s15
	v_and_b32_e32 v36, 0xff, v35
	v_dual_mov_b32 v6, v35 :: v_dual_mov_b32 v33, 0
	v_mov_b32_e32 v23, 0
	s_mov_b32 s15, exec_lo
	v_cmpx_ne_u16_e32 0, v36
	s_cbranch_execz .LBB298_1366
; %bb.1359:                             ;   in Loop: Header=BB298_1062 Depth=1
	v_mov_b32_e32 v23, 0x8000
	s_mov_b32 s16, exec_lo
	v_cmpx_ne_u16_e32 0x80, v36
	s_cbranch_execz .LBB298_1365
; %bb.1360:                             ;   in Loop: Header=BB298_1062 Depth=1
	v_and_b32_e32 v37, 0x7f, v35
	v_mov_b32_e32 v23, 0x7c01
	s_mov_b32 s17, exec_lo
	s_delay_alu instid0(VALU_DEP_2)
	v_cmpx_ne_u32_e32 0x7f, v37
	s_cbranch_execz .LBB298_1364
; %bb.1361:                             ;   in Loop: Header=BB298_1062 Depth=1
	v_dual_lshrrev_b32 v36, 3, v37 :: v_dual_bitop2_b32 v23, 7, v35 bitop3:0x40
	s_mov_b32 s18, exec_lo
	v_cmpx_gt_u32_e32 8, v37
; %bb.1362:                             ;   in Loop: Header=BB298_1062 Depth=1
	s_delay_alu instid0(VALU_DEP_2) | instskip(NEXT) | instid1(VALU_DEP_1)
	v_clz_i32_u32_e32 v23, v23
	v_min_u32_e32 v23, 32, v23
	s_delay_alu instid0(VALU_DEP_1) | instskip(NEXT) | instid1(VALU_DEP_1)
	v_subrev_nc_u32_e32 v36, 28, v23
	v_lshlrev_b64_e32 v[38:39], v36, v[6:7]
	s_delay_alu instid0(VALU_DEP_1)
	v_dual_sub_nc_u32 v36, 29, v23 :: v_dual_bitop2_b32 v23, 7, v38 bitop3:0x40
; %bb.1363:                             ;   in Loop: Header=BB298_1062 Depth=1
	s_or_b32 exec_lo, exec_lo, s18
	v_lshlrev_b32_e32 v37, 8, v35
	s_delay_alu instid0(VALU_DEP_2) | instskip(NEXT) | instid1(VALU_DEP_3)
	v_lshl_add_u32 v36, v36, 10, 0x2000
	v_lshlrev_b32_e32 v23, 7, v23
	s_delay_alu instid0(VALU_DEP_3) | instskip(NEXT) | instid1(VALU_DEP_3)
	v_and_b32_e32 v37, 0x8000, v37
	v_and_b32_e32 v36, 0xfc00, v36
	s_delay_alu instid0(VALU_DEP_1)
	v_or3_b32 v23, v37, v36, v23
.LBB298_1364:                           ;   in Loop: Header=BB298_1062 Depth=1
	s_or_b32 exec_lo, exec_lo, s17
.LBB298_1365:                           ;   in Loop: Header=BB298_1062 Depth=1
	s_delay_alu instid0(SALU_CYCLE_1)
	s_or_b32 exec_lo, exec_lo, s16
.LBB298_1366:                           ;   in Loop: Header=BB298_1062 Depth=1
	s_delay_alu instid0(SALU_CYCLE_1) | instskip(SKIP_3) | instid1(VALU_DEP_2)
	s_or_b32 exec_lo, exec_lo, s15
	v_lshrrev_b16 v6, 8, v6
	v_mov_b32_e32 v36, 0
	s_mov_b32 s15, exec_lo
	v_cmpx_ne_u16_e32 0, v6
	s_cbranch_execz .LBB298_1374
; %bb.1367:                             ;   in Loop: Header=BB298_1062 Depth=1
	v_bfrev_b32_e32 v36, 1
	s_mov_b32 s16, exec_lo
	v_cmpx_ne_u16_e32 0x80, v6
	s_cbranch_execz .LBB298_1373
; %bb.1368:                             ;   in Loop: Header=BB298_1062 Depth=1
	v_and_b32_e32 v37, 0xffff, v6
	v_mov_b32_e32 v36, 0x7c010000
	s_mov_b32 s17, exec_lo
	s_delay_alu instid0(VALU_DEP_2) | instskip(NEXT) | instid1(VALU_DEP_1)
	v_and_b32_e32 v39, 0x7f, v37
	v_cmpx_ne_u32_e32 0x7f, v39
	s_cbranch_execz .LBB298_1372
; %bb.1369:                             ;   in Loop: Header=BB298_1062 Depth=1
	v_dual_lshrrev_b32 v38, 3, v39 :: v_dual_bitop2_b32 v36, 7, v37 bitop3:0x40
	s_mov_b32 s18, exec_lo
	v_cmpx_gt_u32_e32 8, v39
; %bb.1370:                             ;   in Loop: Header=BB298_1062 Depth=1
	s_delay_alu instid0(VALU_DEP_2) | instskip(NEXT) | instid1(VALU_DEP_1)
	v_clz_i32_u32_e32 v36, v36
	v_min_u32_e32 v36, 32, v36
	s_delay_alu instid0(VALU_DEP_1) | instskip(NEXT) | instid1(VALU_DEP_1)
	v_subrev_nc_u32_e32 v38, 28, v36
	v_lshlrev_b64_e32 v[48:49], v38, v[6:7]
	v_sub_nc_u32_e32 v38, 29, v36
	s_delay_alu instid0(VALU_DEP_2)
	v_and_b32_e32 v36, 7, v48
; %bb.1371:                             ;   in Loop: Header=BB298_1062 Depth=1
	s_or_b32 exec_lo, exec_lo, s18
	s_delay_alu instid0(VALU_DEP_1) | instskip(NEXT) | instid1(VALU_DEP_3)
	v_dual_lshlrev_b32 v6, 8, v37 :: v_dual_lshlrev_b32 v36, 23, v36
	v_lshl_add_u32 v37, v38, 10, 0x2000
	s_delay_alu instid0(VALU_DEP_1) | instskip(NEXT) | instid1(VALU_DEP_1)
	v_and_or_b32 v6, 0x8000, v6, v37
	v_lshl_or_b32 v36, v6, 16, v36
.LBB298_1372:                           ;   in Loop: Header=BB298_1062 Depth=1
	s_or_b32 exec_lo, exec_lo, s17
.LBB298_1373:                           ;   in Loop: Header=BB298_1062 Depth=1
	s_delay_alu instid0(SALU_CYCLE_1)
	s_or_b32 exec_lo, exec_lo, s16
.LBB298_1374:                           ;   in Loop: Header=BB298_1062 Depth=1
	s_delay_alu instid0(SALU_CYCLE_1) | instskip(SKIP_2) | instid1(VALU_DEP_1)
	s_or_b32 exec_lo, exec_lo, s15
	v_lshrrev_b32_e32 v6, 16, v35
	s_mov_b32 s15, exec_lo
	v_and_b32_e32 v37, 0xff, v6
	s_delay_alu instid0(VALU_DEP_1)
	v_cmpx_ne_u16_e32 0, v37
	s_cbranch_execz .LBB298_1382
; %bb.1375:                             ;   in Loop: Header=BB298_1062 Depth=1
	v_mov_b32_e32 v33, 0x8000
	s_mov_b32 s16, exec_lo
	v_cmpx_ne_u16_e32 0x80, v37
	s_cbranch_execz .LBB298_1381
; %bb.1376:                             ;   in Loop: Header=BB298_1062 Depth=1
	v_bfe_u32 v38, v35, 16, 7
	v_mov_b32_e32 v33, 0x7c01
	s_mov_b32 s17, exec_lo
	s_delay_alu instid0(VALU_DEP_2)
	v_cmpx_ne_u32_e32 0x7f, v38
	s_cbranch_execz .LBB298_1380
; %bb.1377:                             ;   in Loop: Header=BB298_1062 Depth=1
	v_and_b32_e32 v33, 7, v6
	v_lshrrev_b32_e32 v37, 3, v38
	s_mov_b32 s18, exec_lo
	v_cmpx_gt_u32_e32 8, v38
; %bb.1378:                             ;   in Loop: Header=BB298_1062 Depth=1
	s_delay_alu instid0(VALU_DEP_3) | instskip(NEXT) | instid1(VALU_DEP_1)
	v_clz_i32_u32_e32 v33, v33
	v_min_u32_e32 v33, 32, v33
	s_delay_alu instid0(VALU_DEP_1) | instskip(NEXT) | instid1(VALU_DEP_1)
	v_subrev_nc_u32_e32 v37, 28, v33
	v_lshlrev_b64_e32 v[38:39], v37, v[6:7]
	s_delay_alu instid0(VALU_DEP_1)
	v_dual_sub_nc_u32 v37, 29, v33 :: v_dual_bitop2_b32 v33, 7, v38 bitop3:0x40
; %bb.1379:                             ;   in Loop: Header=BB298_1062 Depth=1
	s_or_b32 exec_lo, exec_lo, s18
	s_delay_alu instid0(VALU_DEP_1) | instskip(NEXT) | instid1(VALU_DEP_2)
	v_dual_lshlrev_b32 v6, 8, v6 :: v_dual_lshlrev_b32 v33, 7, v33
	v_lshl_add_u32 v37, v37, 10, 0x2000
	s_delay_alu instid0(VALU_DEP_2) | instskip(NEXT) | instid1(VALU_DEP_2)
	v_and_b32_e32 v6, 0x8000, v6
	v_and_b32_e32 v37, 0xfc00, v37
	s_delay_alu instid0(VALU_DEP_1)
	v_or3_b32 v33, v6, v37, v33
.LBB298_1380:                           ;   in Loop: Header=BB298_1062 Depth=1
	s_or_b32 exec_lo, exec_lo, s17
.LBB298_1381:                           ;   in Loop: Header=BB298_1062 Depth=1
	s_delay_alu instid0(SALU_CYCLE_1)
	s_or_b32 exec_lo, exec_lo, s16
.LBB298_1382:                           ;   in Loop: Header=BB298_1062 Depth=1
	s_delay_alu instid0(SALU_CYCLE_1)
	s_or_b32 exec_lo, exec_lo, s15
	v_cmp_lt_u64_e64 s0, s[2:3], v[34:35]
	v_mov_b32_e32 v34, 0
	s_and_saveexec_b32 s15, s0
	s_cbranch_execz .LBB298_1390
; %bb.1383:                             ;   in Loop: Header=BB298_1062 Depth=1
	v_lshrrev_b32_e32 v6, 24, v35
	v_bfrev_b32_e32 v34, 1
	s_mov_b32 s16, exec_lo
	s_delay_alu instid0(VALU_DEP_2)
	v_cmpx_ne_u32_e32 0x80, v6
	s_cbranch_execz .LBB298_1389
; %bb.1384:                             ;   in Loop: Header=BB298_1062 Depth=1
	v_and_b32_e32 v37, 0x7f, v6
	v_mov_b32_e32 v34, 0x7c010000
	s_mov_b32 s17, exec_lo
	s_delay_alu instid0(VALU_DEP_2)
	v_cmpx_ne_u32_e32 0x7f, v37
	s_cbranch_execz .LBB298_1388
; %bb.1385:                             ;   in Loop: Header=BB298_1062 Depth=1
	v_dual_lshrrev_b32 v35, 3, v37 :: v_dual_bitop2_b32 v34, 7, v6 bitop3:0x40
	s_mov_b32 s18, exec_lo
	v_cmpx_gt_u32_e32 8, v37
; %bb.1386:                             ;   in Loop: Header=BB298_1062 Depth=1
	s_delay_alu instid0(VALU_DEP_2) | instskip(NEXT) | instid1(VALU_DEP_1)
	v_clz_i32_u32_e32 v34, v34
	v_min_u32_e32 v37, 32, v34
	s_delay_alu instid0(VALU_DEP_1) | instskip(NEXT) | instid1(VALU_DEP_1)
	v_subrev_nc_u32_e32 v34, 28, v37
	v_lshlrev_b64_e32 v[34:35], v34, v[6:7]
	s_delay_alu instid0(VALU_DEP_1)
	v_dual_sub_nc_u32 v35, 29, v37 :: v_dual_bitop2_b32 v34, 7, v34 bitop3:0x40
; %bb.1387:                             ;   in Loop: Header=BB298_1062 Depth=1
	s_or_b32 exec_lo, exec_lo, s18
	v_lshlrev_b32_e32 v6, 8, v6
	s_delay_alu instid0(VALU_DEP_2) | instskip(NEXT) | instid1(VALU_DEP_3)
	v_lshl_add_u32 v35, v35, 10, 0x2000
	v_lshlrev_b32_e32 v34, 23, v34
	s_delay_alu instid0(VALU_DEP_2) | instskip(NEXT) | instid1(VALU_DEP_1)
	v_and_or_b32 v6, 0x8000, v6, v35
	v_lshl_or_b32 v34, v6, 16, v34
.LBB298_1388:                           ;   in Loop: Header=BB298_1062 Depth=1
	s_or_b32 exec_lo, exec_lo, s17
.LBB298_1389:                           ;   in Loop: Header=BB298_1062 Depth=1
	s_delay_alu instid0(SALU_CYCLE_1)
	s_or_b32 exec_lo, exec_lo, s16
.LBB298_1390:                           ;   in Loop: Header=BB298_1062 Depth=1
	s_delay_alu instid0(SALU_CYCLE_1) | instskip(SKIP_4) | instid1(VALU_DEP_4)
	s_or_b32 exec_lo, exec_lo, s15
	v_dual_lshrrev_b32 v6, 16, v1 :: v_dual_lshrrev_b32 v35, 16, v19
	v_or_b32_e32 v1, v1, v18
	v_or_b32_e32 v22, v19, v22
	;; [unrolled: 1-line block ×3, first 2 shown]
	v_cvt_f32_f16_e32 v19, v6
	v_cvt_f32_f16_e32 v18, v35
	v_dual_lshrrev_b32 v34, 16, v34 :: v_dual_bitop2_b32 v6, v34, v33 bitop3:0x54
	v_lshrrev_b32_e32 v33, 16, v36
	v_cvt_f32_f16_e32 v23, v1
	s_delay_alu instid0(VALU_DEP_3) | instskip(NEXT) | instid1(VALU_DEP_4)
	v_cvt_f32_f16_e32 v36, v6
	v_cvt_f32_f16_e32 v34, v34
	s_wait_loadcnt_dscnt 0x0
	v_pk_mul_f32 v[18:19], v[32:33], v[18:19] op_sel_hi:[0,1]
	v_cvt_f32_f16_e32 v35, v33
	s_delay_alu instid0(VALU_DEP_2) | instskip(NEXT) | instid1(VALU_DEP_2)
	v_cvt_pk_f16_f32 v1, v18, v19
	v_pk_mul_f32 v[18:19], v[32:33], v[34:35] op_sel_hi:[0,1]
	s_delay_alu instid0(VALU_DEP_2) | instskip(SKIP_2) | instid1(VALU_DEP_4)
	v_lshlrev_b32_e32 v34, 16, v1
	v_cvt_f32_f16_e32 v22, v22
	v_and_b32_e32 v35, 0xffff0000, v1
	v_cvt_pk_f16_f32 v18, v18, v19
	s_delay_alu instid0(VALU_DEP_3) | instskip(NEXT) | instid1(VALU_DEP_2)
	v_pk_mul_f32 v[22:23], v[32:33], v[22:23] op_sel_hi:[0,1]
	v_and_b32_e32 v19, 0xffff0000, v18
	s_delay_alu instid0(VALU_DEP_2) | instskip(NEXT) | instid1(VALU_DEP_1)
	v_cvt_pk_f16_f32 v6, v22, v23
	v_lshrrev_b32_e32 v49, 16, v6
	v_cvt_f32_f16_e32 v37, v37
	v_and_b32_e32 v48, 0xffff, v6
	s_delay_alu instid0(VALU_DEP_3) | instskip(NEXT) | instid1(VALU_DEP_3)
	v_or_b32_e32 v39, v35, v49
	v_pk_mul_f32 v[32:33], v[32:33], v[36:37] op_sel_hi:[0,1]
	s_delay_alu instid0(VALU_DEP_3) | instskip(NEXT) | instid1(VALU_DEP_2)
	v_or_b32_e32 v38, v34, v48
	v_cvt_pk_f16_f32 v1, v32, v33
	s_delay_alu instid0(VALU_DEP_1) | instskip(SKIP_1) | instid1(VALU_DEP_2)
	v_dual_lshlrev_b32 v6, 16, v18 :: v_dual_lshrrev_b32 v33, 16, v1
	v_and_b32_e32 v32, 0xffff, v1
	v_or_b32_e32 v37, v19, v33
	s_delay_alu instid0(VALU_DEP_2)
	v_or_b32_e32 v36, v6, v32
	s_and_saveexec_b32 s15, vcc_lo
	s_cbranch_execz .LBB298_1392
; %bb.1391:                             ;   in Loop: Header=BB298_1062 Depth=1
	v_cmp_lt_i32_e64 s0, v54, v13
	s_delay_alu instid0(VALU_DEP_1) | instskip(SKIP_1) | instid1(VALU_DEP_1)
	v_cndmask_b32_e64 v1, 0, v49, s0
	v_cmp_lt_i32_e64 s0, v70, v58
	v_cndmask_b32_e64 v18, 0, v48, s0
	v_cmp_lt_i32_e64 s0, v69, v13
	s_delay_alu instid0(VALU_DEP_1) | instskip(SKIP_1) | instid1(VALU_DEP_1)
	v_cndmask_b32_e64 v22, 0, v35, s0
	v_cmp_lt_i32_e64 s0, v68, v58
	v_cndmask_b32_e64 v23, 0, v34, s0
	v_cmp_lt_i32_e64 s0, v67, v13
	s_delay_alu instid0(VALU_DEP_4) | instskip(NEXT) | instid1(VALU_DEP_2)
	v_or_b32_e32 v39, v1, v22
	v_dual_cndmask_b32 v33, 0, v33, s0 :: v_dual_bitop2_b32 v38, v18, v23 bitop3:0x54
	v_cmp_lt_i32_e64 s0, v66, v58
	s_delay_alu instid0(VALU_DEP_1) | instskip(SKIP_1) | instid1(VALU_DEP_1)
	v_cndmask_b32_e64 v32, 0, v32, s0
	v_cmp_lt_i32_e64 s0, v65, v13
	v_cndmask_b32_e64 v19, 0, v19, s0
	v_cmp_lt_i32_e64 s0, v0, v58
	s_delay_alu instid0(VALU_DEP_1) | instskip(NEXT) | instid1(VALU_DEP_1)
	v_dual_cndmask_b32 v6, 0, v6, s0 :: v_dual_bitop2_b32 v37, v33, v19 bitop3:0x54
	v_or_b32_e32 v36, v32, v6
.LBB298_1392:                           ;   in Loop: Header=BB298_1062 Depth=1
	s_or_b32 exec_lo, exec_lo, s15
	;;#ASMSTART
	v_pk_mul_f16 v1, v82, v39;

	;;#ASMEND
	;;#ASMSTART
	v_pk_mul_f16 v6, v81, v38;

	;;#ASMEND
	;; [unrolled: 4-line block ×4, first 2 shown]
	;;#ASMSTART
	v_pk_add_f16 v1, v1, v6;

	;;#ASMEND
	;;#ASMSTART
	v_pk_add_f16 v1, v1, v18;

	;;#ASMEND
	;; [unrolled: 4-line block ×3, first 2 shown]
	v_and_b32_e32 v6, 0xffff, v1
	v_lshrrev_b32_e32 v1, 16, v1
	;;#ASMSTART
	v_cvt_f32_f16 v99, v6;
	;;#ASMEND
	;;#ASMSTART
	v_cvt_f32_f16 v100, v1;
	;;#ASMEND
	flat_load_b64 v[34:35], v[14:15] offset:1280
	scratch_load_b64 v[18:19], off, s32 offset:192 ; 8-byte Folded Reload
	v_mov_b32_e32 v1, 0
	s_mov_b32 s15, exec_lo
	s_wait_loadcnt_dscnt 0x100
	v_and_b32_e32 v6, 0xff, v34
	s_wait_loadcnt 0x0
	flat_load_b32 v32, v[18:19]
	s_wait_xcnt 0x0
	v_mov_b32_e32 v18, 0
	v_cmpx_ne_u16_e32 0, v6
	s_cbranch_execz .LBB298_1400
; %bb.1393:                             ;   in Loop: Header=BB298_1062 Depth=1
	v_mov_b32_e32 v18, 0x8000
	s_mov_b32 s16, exec_lo
	v_cmpx_ne_u16_e32 0x80, v6
	s_cbranch_execz .LBB298_1399
; %bb.1394:                             ;   in Loop: Header=BB298_1062 Depth=1
	v_and_b32_e32 v19, 0x7f, v34
	v_mov_b32_e32 v18, 0x7c01
	s_mov_b32 s17, exec_lo
	s_delay_alu instid0(VALU_DEP_2)
	v_cmpx_ne_u32_e32 0x7f, v19
	s_cbranch_execz .LBB298_1398
; %bb.1395:                             ;   in Loop: Header=BB298_1062 Depth=1
	v_dual_lshrrev_b32 v18, 3, v19 :: v_dual_bitop2_b32 v6, 7, v34 bitop3:0x40
	s_mov_b32 s18, exec_lo
	v_cmpx_gt_u32_e32 8, v19
; %bb.1396:                             ;   in Loop: Header=BB298_1062 Depth=1
	s_delay_alu instid0(VALU_DEP_2) | instskip(NEXT) | instid1(VALU_DEP_1)
	v_clz_i32_u32_e32 v6, v6
	v_min_u32_e32 v6, 32, v6
	s_delay_alu instid0(VALU_DEP_1) | instskip(NEXT) | instid1(VALU_DEP_1)
	v_subrev_nc_u32_e32 v18, 28, v6
	v_lshlrev_b64_e32 v[22:23], v18, v[34:35]
	v_sub_nc_u32_e32 v18, 29, v6
	s_delay_alu instid0(VALU_DEP_2)
	v_and_b32_e32 v6, 7, v22
; %bb.1397:                             ;   in Loop: Header=BB298_1062 Depth=1
	s_or_b32 exec_lo, exec_lo, s18
	v_lshlrev_b32_e32 v19, 8, v34
	s_delay_alu instid0(VALU_DEP_3) | instskip(NEXT) | instid1(VALU_DEP_3)
	v_lshl_add_u32 v18, v18, 10, 0x2000
	v_lshlrev_b32_e32 v6, 7, v6
	s_delay_alu instid0(VALU_DEP_3) | instskip(NEXT) | instid1(VALU_DEP_3)
	v_and_b32_e32 v19, 0x8000, v19
	v_and_b32_e32 v18, 0xfc00, v18
	s_delay_alu instid0(VALU_DEP_1)
	v_or3_b32 v18, v19, v18, v6
.LBB298_1398:                           ;   in Loop: Header=BB298_1062 Depth=1
	s_or_b32 exec_lo, exec_lo, s17
.LBB298_1399:                           ;   in Loop: Header=BB298_1062 Depth=1
	s_delay_alu instid0(SALU_CYCLE_1)
	s_or_b32 exec_lo, exec_lo, s16
.LBB298_1400:                           ;   in Loop: Header=BB298_1062 Depth=1
	s_delay_alu instid0(SALU_CYCLE_1) | instskip(SKIP_2) | instid1(VALU_DEP_1)
	s_or_b32 exec_lo, exec_lo, s15
	v_lshrrev_b16 v6, 8, v34
	s_mov_b32 s15, exec_lo
	v_cmpx_ne_u16_e32 0, v6
	s_cbranch_execz .LBB298_1408
; %bb.1401:                             ;   in Loop: Header=BB298_1062 Depth=1
	v_bfrev_b32_e32 v1, 1
	s_mov_b32 s16, exec_lo
	v_cmpx_ne_u16_e32 0x80, v6
	s_cbranch_execz .LBB298_1407
; %bb.1402:                             ;   in Loop: Header=BB298_1062 Depth=1
	v_and_b32_e32 v19, 0xffff, v6
	v_mov_b32_e32 v1, 0x7c010000
	s_mov_b32 s17, exec_lo
	s_delay_alu instid0(VALU_DEP_2) | instskip(NEXT) | instid1(VALU_DEP_1)
	v_and_b32_e32 v23, 0x7f, v19
	v_cmpx_ne_u32_e32 0x7f, v23
	s_cbranch_execz .LBB298_1406
; %bb.1403:                             ;   in Loop: Header=BB298_1062 Depth=1
	v_and_b32_e32 v1, 7, v19
	v_lshrrev_b32_e32 v22, 3, v23
	s_mov_b32 s18, exec_lo
	v_cmpx_gt_u32_e32 8, v23
; %bb.1404:                             ;   in Loop: Header=BB298_1062 Depth=1
	s_delay_alu instid0(VALU_DEP_3) | instskip(NEXT) | instid1(VALU_DEP_1)
	v_clz_i32_u32_e32 v1, v1
	v_min_u32_e32 v1, 32, v1
	s_delay_alu instid0(VALU_DEP_1) | instskip(NEXT) | instid1(VALU_DEP_1)
	v_subrev_nc_u32_e32 v22, 28, v1
	v_lshlrev_b64_e32 v[36:37], v22, v[6:7]
	s_delay_alu instid0(VALU_DEP_1)
	v_dual_sub_nc_u32 v22, 29, v1 :: v_dual_bitop2_b32 v1, 7, v36 bitop3:0x40
; %bb.1405:                             ;   in Loop: Header=BB298_1062 Depth=1
	s_or_b32 exec_lo, exec_lo, s18
	s_delay_alu instid0(VALU_DEP_1) | instskip(NEXT) | instid1(VALU_DEP_2)
	v_dual_lshlrev_b32 v6, 8, v19 :: v_dual_lshlrev_b32 v1, 23, v1
	v_lshl_add_u32 v19, v22, 10, 0x2000
	s_delay_alu instid0(VALU_DEP_1) | instskip(NEXT) | instid1(VALU_DEP_1)
	v_and_or_b32 v6, 0x8000, v6, v19
	v_lshl_or_b32 v1, v6, 16, v1
.LBB298_1406:                           ;   in Loop: Header=BB298_1062 Depth=1
	s_or_b32 exec_lo, exec_lo, s17
.LBB298_1407:                           ;   in Loop: Header=BB298_1062 Depth=1
	s_delay_alu instid0(SALU_CYCLE_1)
	s_or_b32 exec_lo, exec_lo, s16
.LBB298_1408:                           ;   in Loop: Header=BB298_1062 Depth=1
	s_delay_alu instid0(SALU_CYCLE_1) | instskip(SKIP_3) | instid1(VALU_DEP_2)
	s_or_b32 exec_lo, exec_lo, s15
	v_dual_mov_b32 v19, 0 :: v_dual_lshrrev_b32 v6, 16, v34
	v_mov_b32_e32 v22, 0
	s_mov_b32 s15, exec_lo
	v_and_b32_e32 v23, 0xff, v6
	s_delay_alu instid0(VALU_DEP_1)
	v_cmpx_ne_u16_e32 0, v23
	s_cbranch_execz .LBB298_1416
; %bb.1409:                             ;   in Loop: Header=BB298_1062 Depth=1
	v_mov_b32_e32 v22, 0x8000
	s_mov_b32 s16, exec_lo
	v_cmpx_ne_u16_e32 0x80, v23
	s_cbranch_execz .LBB298_1415
; %bb.1410:                             ;   in Loop: Header=BB298_1062 Depth=1
	v_bfe_u32 v33, v34, 16, 7
	v_mov_b32_e32 v22, 0x7c01
	s_mov_b32 s17, exec_lo
	s_delay_alu instid0(VALU_DEP_2)
	v_cmpx_ne_u32_e32 0x7f, v33
	s_cbranch_execz .LBB298_1414
; %bb.1411:                             ;   in Loop: Header=BB298_1062 Depth=1
	v_dual_lshrrev_b32 v23, 3, v33 :: v_dual_bitop2_b32 v22, 7, v6 bitop3:0x40
	s_mov_b32 s18, exec_lo
	v_cmpx_gt_u32_e32 8, v33
; %bb.1412:                             ;   in Loop: Header=BB298_1062 Depth=1
	s_delay_alu instid0(VALU_DEP_2) | instskip(NEXT) | instid1(VALU_DEP_1)
	v_clz_i32_u32_e32 v22, v22
	v_min_u32_e32 v33, 32, v22
	s_delay_alu instid0(VALU_DEP_1) | instskip(NEXT) | instid1(VALU_DEP_1)
	v_subrev_nc_u32_e32 v22, 28, v33
	v_lshlrev_b64_e32 v[22:23], v22, v[6:7]
	s_delay_alu instid0(VALU_DEP_1)
	v_dual_sub_nc_u32 v23, 29, v33 :: v_dual_bitop2_b32 v22, 7, v22 bitop3:0x40
; %bb.1413:                             ;   in Loop: Header=BB298_1062 Depth=1
	s_or_b32 exec_lo, exec_lo, s18
	v_lshlrev_b32_e32 v6, 8, v6
	s_delay_alu instid0(VALU_DEP_2) | instskip(NEXT) | instid1(VALU_DEP_3)
	v_lshl_add_u32 v23, v23, 10, 0x2000
	v_lshlrev_b32_e32 v22, 7, v22
	s_delay_alu instid0(VALU_DEP_3) | instskip(NEXT) | instid1(VALU_DEP_3)
	v_and_b32_e32 v6, 0x8000, v6
	v_and_b32_e32 v23, 0xfc00, v23
	s_delay_alu instid0(VALU_DEP_1)
	v_or3_b32 v22, v6, v23, v22
.LBB298_1414:                           ;   in Loop: Header=BB298_1062 Depth=1
	s_or_b32 exec_lo, exec_lo, s17
.LBB298_1415:                           ;   in Loop: Header=BB298_1062 Depth=1
	s_delay_alu instid0(SALU_CYCLE_1)
	s_or_b32 exec_lo, exec_lo, s16
.LBB298_1416:                           ;   in Loop: Header=BB298_1062 Depth=1
	s_delay_alu instid0(SALU_CYCLE_1) | instskip(NEXT) | instid1(SALU_CYCLE_1)
	s_or_b32 exec_lo, exec_lo, s15
	s_mov_b32 s15, exec_lo
	v_cmpx_lt_u32_e32 0xffffff, v34
	s_cbranch_execz .LBB298_1424
; %bb.1417:                             ;   in Loop: Header=BB298_1062 Depth=1
	v_lshrrev_b32_e32 v6, 24, v34
	v_bfrev_b32_e32 v19, 1
	s_mov_b32 s16, exec_lo
	s_delay_alu instid0(VALU_DEP_2)
	v_cmpx_ne_u32_e32 0x80, v6
	s_cbranch_execz .LBB298_1423
; %bb.1418:                             ;   in Loop: Header=BB298_1062 Depth=1
	v_and_b32_e32 v33, 0x7f, v6
	v_mov_b32_e32 v19, 0x7c010000
	s_mov_b32 s17, exec_lo
	s_delay_alu instid0(VALU_DEP_2)
	v_cmpx_ne_u32_e32 0x7f, v33
	s_cbranch_execz .LBB298_1422
; %bb.1419:                             ;   in Loop: Header=BB298_1062 Depth=1
	v_dual_lshrrev_b32 v23, 3, v33 :: v_dual_bitop2_b32 v19, 7, v6 bitop3:0x40
	s_mov_b32 s18, exec_lo
	v_cmpx_gt_u32_e32 8, v33
; %bb.1420:                             ;   in Loop: Header=BB298_1062 Depth=1
	s_delay_alu instid0(VALU_DEP_2) | instskip(NEXT) | instid1(VALU_DEP_1)
	v_clz_i32_u32_e32 v19, v19
	v_min_u32_e32 v19, 32, v19
	s_delay_alu instid0(VALU_DEP_1) | instskip(NEXT) | instid1(VALU_DEP_1)
	v_subrev_nc_u32_e32 v23, 28, v19
	v_lshlrev_b64_e32 v[36:37], v23, v[6:7]
	s_delay_alu instid0(VALU_DEP_1)
	v_dual_sub_nc_u32 v23, 29, v19 :: v_dual_bitop2_b32 v19, 7, v36 bitop3:0x40
; %bb.1421:                             ;   in Loop: Header=BB298_1062 Depth=1
	s_or_b32 exec_lo, exec_lo, s18
	s_delay_alu instid0(VALU_DEP_1) | instskip(NEXT) | instid1(VALU_DEP_2)
	v_dual_lshlrev_b32 v6, 8, v6 :: v_dual_lshlrev_b32 v19, 23, v19
	v_lshl_add_u32 v23, v23, 10, 0x2000
	s_delay_alu instid0(VALU_DEP_1) | instskip(NEXT) | instid1(VALU_DEP_1)
	v_and_or_b32 v6, 0x8000, v6, v23
	v_lshl_or_b32 v19, v6, 16, v19
.LBB298_1422:                           ;   in Loop: Header=BB298_1062 Depth=1
	s_or_b32 exec_lo, exec_lo, s17
.LBB298_1423:                           ;   in Loop: Header=BB298_1062 Depth=1
	s_delay_alu instid0(SALU_CYCLE_1)
	s_or_b32 exec_lo, exec_lo, s16
.LBB298_1424:                           ;   in Loop: Header=BB298_1062 Depth=1
	s_delay_alu instid0(SALU_CYCLE_1) | instskip(SKIP_4) | instid1(VALU_DEP_3)
	s_or_b32 exec_lo, exec_lo, s15
	v_and_b32_e32 v36, 0xff, v35
	v_dual_mov_b32 v6, v35 :: v_dual_mov_b32 v33, 0
	v_mov_b32_e32 v23, 0
	s_mov_b32 s15, exec_lo
	v_cmpx_ne_u16_e32 0, v36
	s_cbranch_execz .LBB298_1432
; %bb.1425:                             ;   in Loop: Header=BB298_1062 Depth=1
	v_mov_b32_e32 v23, 0x8000
	s_mov_b32 s16, exec_lo
	v_cmpx_ne_u16_e32 0x80, v36
	s_cbranch_execz .LBB298_1431
; %bb.1426:                             ;   in Loop: Header=BB298_1062 Depth=1
	v_and_b32_e32 v37, 0x7f, v35
	v_mov_b32_e32 v23, 0x7c01
	s_mov_b32 s17, exec_lo
	s_delay_alu instid0(VALU_DEP_2)
	v_cmpx_ne_u32_e32 0x7f, v37
	s_cbranch_execz .LBB298_1430
; %bb.1427:                             ;   in Loop: Header=BB298_1062 Depth=1
	v_dual_lshrrev_b32 v36, 3, v37 :: v_dual_bitop2_b32 v23, 7, v35 bitop3:0x40
	s_mov_b32 s18, exec_lo
	v_cmpx_gt_u32_e32 8, v37
; %bb.1428:                             ;   in Loop: Header=BB298_1062 Depth=1
	s_delay_alu instid0(VALU_DEP_2) | instskip(NEXT) | instid1(VALU_DEP_1)
	v_clz_i32_u32_e32 v23, v23
	v_min_u32_e32 v23, 32, v23
	s_delay_alu instid0(VALU_DEP_1) | instskip(NEXT) | instid1(VALU_DEP_1)
	v_subrev_nc_u32_e32 v36, 28, v23
	v_lshlrev_b64_e32 v[38:39], v36, v[6:7]
	s_delay_alu instid0(VALU_DEP_1)
	v_dual_sub_nc_u32 v36, 29, v23 :: v_dual_bitop2_b32 v23, 7, v38 bitop3:0x40
; %bb.1429:                             ;   in Loop: Header=BB298_1062 Depth=1
	s_or_b32 exec_lo, exec_lo, s18
	v_lshlrev_b32_e32 v37, 8, v35
	s_delay_alu instid0(VALU_DEP_2) | instskip(NEXT) | instid1(VALU_DEP_3)
	v_lshl_add_u32 v36, v36, 10, 0x2000
	v_lshlrev_b32_e32 v23, 7, v23
	s_delay_alu instid0(VALU_DEP_3) | instskip(NEXT) | instid1(VALU_DEP_3)
	v_and_b32_e32 v37, 0x8000, v37
	v_and_b32_e32 v36, 0xfc00, v36
	s_delay_alu instid0(VALU_DEP_1)
	v_or3_b32 v23, v37, v36, v23
.LBB298_1430:                           ;   in Loop: Header=BB298_1062 Depth=1
	s_or_b32 exec_lo, exec_lo, s17
.LBB298_1431:                           ;   in Loop: Header=BB298_1062 Depth=1
	s_delay_alu instid0(SALU_CYCLE_1)
	s_or_b32 exec_lo, exec_lo, s16
.LBB298_1432:                           ;   in Loop: Header=BB298_1062 Depth=1
	s_delay_alu instid0(SALU_CYCLE_1) | instskip(SKIP_3) | instid1(VALU_DEP_2)
	s_or_b32 exec_lo, exec_lo, s15
	v_lshrrev_b16 v6, 8, v6
	v_mov_b32_e32 v36, 0
	s_mov_b32 s15, exec_lo
	v_cmpx_ne_u16_e32 0, v6
	s_cbranch_execz .LBB298_1440
; %bb.1433:                             ;   in Loop: Header=BB298_1062 Depth=1
	v_bfrev_b32_e32 v36, 1
	s_mov_b32 s16, exec_lo
	v_cmpx_ne_u16_e32 0x80, v6
	s_cbranch_execz .LBB298_1439
; %bb.1434:                             ;   in Loop: Header=BB298_1062 Depth=1
	v_and_b32_e32 v37, 0xffff, v6
	v_mov_b32_e32 v36, 0x7c010000
	s_mov_b32 s17, exec_lo
	s_delay_alu instid0(VALU_DEP_2) | instskip(NEXT) | instid1(VALU_DEP_1)
	v_and_b32_e32 v39, 0x7f, v37
	v_cmpx_ne_u32_e32 0x7f, v39
	s_cbranch_execz .LBB298_1438
; %bb.1435:                             ;   in Loop: Header=BB298_1062 Depth=1
	v_dual_lshrrev_b32 v38, 3, v39 :: v_dual_bitop2_b32 v36, 7, v37 bitop3:0x40
	s_mov_b32 s18, exec_lo
	v_cmpx_gt_u32_e32 8, v39
; %bb.1436:                             ;   in Loop: Header=BB298_1062 Depth=1
	s_delay_alu instid0(VALU_DEP_2) | instskip(NEXT) | instid1(VALU_DEP_1)
	v_clz_i32_u32_e32 v36, v36
	v_min_u32_e32 v36, 32, v36
	s_delay_alu instid0(VALU_DEP_1) | instskip(NEXT) | instid1(VALU_DEP_1)
	v_subrev_nc_u32_e32 v38, 28, v36
	v_lshlrev_b64_e32 v[48:49], v38, v[6:7]
	v_sub_nc_u32_e32 v38, 29, v36
	s_delay_alu instid0(VALU_DEP_2)
	v_and_b32_e32 v36, 7, v48
; %bb.1437:                             ;   in Loop: Header=BB298_1062 Depth=1
	s_or_b32 exec_lo, exec_lo, s18
	s_delay_alu instid0(VALU_DEP_1) | instskip(NEXT) | instid1(VALU_DEP_3)
	v_dual_lshlrev_b32 v6, 8, v37 :: v_dual_lshlrev_b32 v36, 23, v36
	v_lshl_add_u32 v37, v38, 10, 0x2000
	s_delay_alu instid0(VALU_DEP_1) | instskip(NEXT) | instid1(VALU_DEP_1)
	v_and_or_b32 v6, 0x8000, v6, v37
	v_lshl_or_b32 v36, v6, 16, v36
.LBB298_1438:                           ;   in Loop: Header=BB298_1062 Depth=1
	s_or_b32 exec_lo, exec_lo, s17
.LBB298_1439:                           ;   in Loop: Header=BB298_1062 Depth=1
	s_delay_alu instid0(SALU_CYCLE_1)
	s_or_b32 exec_lo, exec_lo, s16
.LBB298_1440:                           ;   in Loop: Header=BB298_1062 Depth=1
	s_delay_alu instid0(SALU_CYCLE_1) | instskip(SKIP_2) | instid1(VALU_DEP_1)
	s_or_b32 exec_lo, exec_lo, s15
	v_lshrrev_b32_e32 v6, 16, v35
	s_mov_b32 s15, exec_lo
	v_and_b32_e32 v37, 0xff, v6
	s_delay_alu instid0(VALU_DEP_1)
	v_cmpx_ne_u16_e32 0, v37
	s_cbranch_execz .LBB298_1448
; %bb.1441:                             ;   in Loop: Header=BB298_1062 Depth=1
	v_mov_b32_e32 v33, 0x8000
	s_mov_b32 s16, exec_lo
	v_cmpx_ne_u16_e32 0x80, v37
	s_cbranch_execz .LBB298_1447
; %bb.1442:                             ;   in Loop: Header=BB298_1062 Depth=1
	v_bfe_u32 v38, v35, 16, 7
	v_mov_b32_e32 v33, 0x7c01
	s_mov_b32 s17, exec_lo
	s_delay_alu instid0(VALU_DEP_2)
	v_cmpx_ne_u32_e32 0x7f, v38
	s_cbranch_execz .LBB298_1446
; %bb.1443:                             ;   in Loop: Header=BB298_1062 Depth=1
	v_and_b32_e32 v33, 7, v6
	v_lshrrev_b32_e32 v37, 3, v38
	s_mov_b32 s18, exec_lo
	v_cmpx_gt_u32_e32 8, v38
; %bb.1444:                             ;   in Loop: Header=BB298_1062 Depth=1
	s_delay_alu instid0(VALU_DEP_3) | instskip(NEXT) | instid1(VALU_DEP_1)
	v_clz_i32_u32_e32 v33, v33
	v_min_u32_e32 v33, 32, v33
	s_delay_alu instid0(VALU_DEP_1) | instskip(NEXT) | instid1(VALU_DEP_1)
	v_subrev_nc_u32_e32 v37, 28, v33
	v_lshlrev_b64_e32 v[38:39], v37, v[6:7]
	s_delay_alu instid0(VALU_DEP_1)
	v_dual_sub_nc_u32 v37, 29, v33 :: v_dual_bitop2_b32 v33, 7, v38 bitop3:0x40
; %bb.1445:                             ;   in Loop: Header=BB298_1062 Depth=1
	s_or_b32 exec_lo, exec_lo, s18
	s_delay_alu instid0(VALU_DEP_1) | instskip(NEXT) | instid1(VALU_DEP_2)
	v_dual_lshlrev_b32 v6, 8, v6 :: v_dual_lshlrev_b32 v33, 7, v33
	v_lshl_add_u32 v37, v37, 10, 0x2000
	s_delay_alu instid0(VALU_DEP_2) | instskip(NEXT) | instid1(VALU_DEP_2)
	v_and_b32_e32 v6, 0x8000, v6
	v_and_b32_e32 v37, 0xfc00, v37
	s_delay_alu instid0(VALU_DEP_1)
	v_or3_b32 v33, v6, v37, v33
.LBB298_1446:                           ;   in Loop: Header=BB298_1062 Depth=1
	s_or_b32 exec_lo, exec_lo, s17
.LBB298_1447:                           ;   in Loop: Header=BB298_1062 Depth=1
	s_delay_alu instid0(SALU_CYCLE_1)
	s_or_b32 exec_lo, exec_lo, s16
.LBB298_1448:                           ;   in Loop: Header=BB298_1062 Depth=1
	s_delay_alu instid0(SALU_CYCLE_1)
	s_or_b32 exec_lo, exec_lo, s15
	v_cmp_lt_u64_e64 s0, s[2:3], v[34:35]
	v_mov_b32_e32 v34, 0
	s_and_saveexec_b32 s15, s0
	s_cbranch_execz .LBB298_1456
; %bb.1449:                             ;   in Loop: Header=BB298_1062 Depth=1
	v_lshrrev_b32_e32 v6, 24, v35
	v_bfrev_b32_e32 v34, 1
	s_mov_b32 s16, exec_lo
	s_delay_alu instid0(VALU_DEP_2)
	v_cmpx_ne_u32_e32 0x80, v6
	s_cbranch_execz .LBB298_1455
; %bb.1450:                             ;   in Loop: Header=BB298_1062 Depth=1
	v_and_b32_e32 v37, 0x7f, v6
	v_mov_b32_e32 v34, 0x7c010000
	s_mov_b32 s17, exec_lo
	s_delay_alu instid0(VALU_DEP_2)
	v_cmpx_ne_u32_e32 0x7f, v37
	s_cbranch_execz .LBB298_1454
; %bb.1451:                             ;   in Loop: Header=BB298_1062 Depth=1
	v_dual_lshrrev_b32 v35, 3, v37 :: v_dual_bitop2_b32 v34, 7, v6 bitop3:0x40
	s_mov_b32 s18, exec_lo
	v_cmpx_gt_u32_e32 8, v37
; %bb.1452:                             ;   in Loop: Header=BB298_1062 Depth=1
	s_delay_alu instid0(VALU_DEP_2) | instskip(NEXT) | instid1(VALU_DEP_1)
	v_clz_i32_u32_e32 v34, v34
	v_min_u32_e32 v37, 32, v34
	s_delay_alu instid0(VALU_DEP_1) | instskip(NEXT) | instid1(VALU_DEP_1)
	v_subrev_nc_u32_e32 v34, 28, v37
	v_lshlrev_b64_e32 v[34:35], v34, v[6:7]
	s_delay_alu instid0(VALU_DEP_1)
	v_dual_sub_nc_u32 v35, 29, v37 :: v_dual_bitop2_b32 v34, 7, v34 bitop3:0x40
; %bb.1453:                             ;   in Loop: Header=BB298_1062 Depth=1
	s_or_b32 exec_lo, exec_lo, s18
	v_lshlrev_b32_e32 v6, 8, v6
	s_delay_alu instid0(VALU_DEP_2) | instskip(NEXT) | instid1(VALU_DEP_3)
	v_lshl_add_u32 v35, v35, 10, 0x2000
	v_lshlrev_b32_e32 v34, 23, v34
	s_delay_alu instid0(VALU_DEP_2) | instskip(NEXT) | instid1(VALU_DEP_1)
	v_and_or_b32 v6, 0x8000, v6, v35
	v_lshl_or_b32 v34, v6, 16, v34
.LBB298_1454:                           ;   in Loop: Header=BB298_1062 Depth=1
	s_or_b32 exec_lo, exec_lo, s17
.LBB298_1455:                           ;   in Loop: Header=BB298_1062 Depth=1
	s_delay_alu instid0(SALU_CYCLE_1)
	s_or_b32 exec_lo, exec_lo, s16
.LBB298_1456:                           ;   in Loop: Header=BB298_1062 Depth=1
	s_delay_alu instid0(SALU_CYCLE_1) | instskip(SKIP_4) | instid1(VALU_DEP_4)
	s_or_b32 exec_lo, exec_lo, s15
	v_dual_lshrrev_b32 v6, 16, v1 :: v_dual_lshrrev_b32 v35, 16, v19
	v_or_b32_e32 v1, v1, v18
	v_or_b32_e32 v22, v19, v22
	;; [unrolled: 1-line block ×3, first 2 shown]
	v_cvt_f32_f16_e32 v19, v6
	v_cvt_f32_f16_e32 v18, v35
	v_dual_lshrrev_b32 v34, 16, v34 :: v_dual_bitop2_b32 v6, v34, v33 bitop3:0x54
	v_lshrrev_b32_e32 v33, 16, v36
	v_cvt_f32_f16_e32 v23, v1
	s_delay_alu instid0(VALU_DEP_3) | instskip(NEXT) | instid1(VALU_DEP_4)
	v_cvt_f32_f16_e32 v36, v6
	v_cvt_f32_f16_e32 v34, v34
	s_wait_loadcnt_dscnt 0x0
	v_pk_mul_f32 v[18:19], v[32:33], v[18:19] op_sel_hi:[0,1]
	v_cvt_f32_f16_e32 v35, v33
	s_delay_alu instid0(VALU_DEP_2) | instskip(NEXT) | instid1(VALU_DEP_2)
	v_cvt_pk_f16_f32 v1, v18, v19
	v_pk_mul_f32 v[18:19], v[32:33], v[34:35] op_sel_hi:[0,1]
	s_delay_alu instid0(VALU_DEP_2) | instskip(SKIP_2) | instid1(VALU_DEP_4)
	v_lshlrev_b32_e32 v34, 16, v1
	v_cvt_f32_f16_e32 v22, v22
	v_and_b32_e32 v35, 0xffff0000, v1
	v_cvt_pk_f16_f32 v18, v18, v19
	s_delay_alu instid0(VALU_DEP_3) | instskip(NEXT) | instid1(VALU_DEP_2)
	v_pk_mul_f32 v[22:23], v[32:33], v[22:23] op_sel_hi:[0,1]
	v_and_b32_e32 v19, 0xffff0000, v18
	s_delay_alu instid0(VALU_DEP_2) | instskip(NEXT) | instid1(VALU_DEP_1)
	v_cvt_pk_f16_f32 v6, v22, v23
	v_lshrrev_b32_e32 v49, 16, v6
	v_cvt_f32_f16_e32 v37, v37
	v_and_b32_e32 v48, 0xffff, v6
	s_delay_alu instid0(VALU_DEP_3) | instskip(NEXT) | instid1(VALU_DEP_3)
	v_or_b32_e32 v39, v35, v49
	v_pk_mul_f32 v[32:33], v[32:33], v[36:37] op_sel_hi:[0,1]
	s_delay_alu instid0(VALU_DEP_3) | instskip(NEXT) | instid1(VALU_DEP_2)
	v_or_b32_e32 v38, v34, v48
	v_cvt_pk_f16_f32 v1, v32, v33
	s_delay_alu instid0(VALU_DEP_1) | instskip(SKIP_1) | instid1(VALU_DEP_2)
	v_dual_lshlrev_b32 v6, 16, v18 :: v_dual_lshrrev_b32 v33, 16, v1
	v_and_b32_e32 v32, 0xffff, v1
	v_or_b32_e32 v37, v19, v33
	s_delay_alu instid0(VALU_DEP_2)
	v_or_b32_e32 v36, v6, v32
	s_and_saveexec_b32 s15, vcc_lo
	s_cbranch_execz .LBB298_1458
; %bb.1457:                             ;   in Loop: Header=BB298_1062 Depth=1
	v_cmp_lt_i32_e64 s0, v54, v13
	s_delay_alu instid0(VALU_DEP_1) | instskip(SKIP_1) | instid1(VALU_DEP_1)
	v_cndmask_b32_e64 v1, 0, v49, s0
	v_cmp_lt_i32_e64 s0, v70, v58
	v_cndmask_b32_e64 v18, 0, v48, s0
	v_cmp_lt_i32_e64 s0, v69, v13
	s_delay_alu instid0(VALU_DEP_1) | instskip(SKIP_1) | instid1(VALU_DEP_1)
	v_cndmask_b32_e64 v22, 0, v35, s0
	v_cmp_lt_i32_e64 s0, v68, v58
	v_cndmask_b32_e64 v23, 0, v34, s0
	v_cmp_lt_i32_e64 s0, v67, v13
	s_delay_alu instid0(VALU_DEP_4) | instskip(NEXT) | instid1(VALU_DEP_2)
	v_or_b32_e32 v39, v1, v22
	v_dual_cndmask_b32 v33, 0, v33, s0 :: v_dual_bitop2_b32 v38, v18, v23 bitop3:0x54
	v_cmp_lt_i32_e64 s0, v66, v58
	s_delay_alu instid0(VALU_DEP_1) | instskip(SKIP_1) | instid1(VALU_DEP_1)
	v_cndmask_b32_e64 v32, 0, v32, s0
	v_cmp_lt_i32_e64 s0, v65, v13
	v_cndmask_b32_e64 v19, 0, v19, s0
	v_cmp_lt_i32_e64 s0, v0, v58
	s_delay_alu instid0(VALU_DEP_1) | instskip(NEXT) | instid1(VALU_DEP_1)
	v_dual_cndmask_b32 v6, 0, v6, s0 :: v_dual_bitop2_b32 v37, v33, v19 bitop3:0x54
	v_or_b32_e32 v36, v32, v6
.LBB298_1458:                           ;   in Loop: Header=BB298_1062 Depth=1
	s_or_b32 exec_lo, exec_lo, s15
	;;#ASMSTART
	v_pk_mul_f16 v1, v82, v39;

	;;#ASMEND
	;;#ASMSTART
	v_pk_mul_f16 v6, v81, v38;

	;;#ASMEND
	;; [unrolled: 4-line block ×4, first 2 shown]
	;;#ASMSTART
	v_pk_add_f16 v1, v1, v6;

	;;#ASMEND
	;;#ASMSTART
	v_pk_add_f16 v1, v1, v18;

	;;#ASMEND
	;; [unrolled: 4-line block ×3, first 2 shown]
	v_and_b32_e32 v6, 0xffff, v1
	v_lshrrev_b32_e32 v1, 16, v1
	;;#ASMSTART
	v_cvt_f32_f16 v101, v6;
	;;#ASMEND
	;;#ASMSTART
	v_cvt_f32_f16 v102, v1;
	;;#ASMEND
	flat_load_b64 v[34:35], v[14:15] offset:1536
	scratch_load_b64 v[18:19], off, s32 offset:192 ; 8-byte Folded Reload
	v_mov_b32_e32 v1, 0
	s_mov_b32 s15, exec_lo
	s_wait_loadcnt_dscnt 0x100
	v_and_b32_e32 v6, 0xff, v34
	s_wait_loadcnt 0x0
	flat_load_b32 v32, v[18:19]
	s_wait_xcnt 0x0
	v_mov_b32_e32 v18, 0
	v_cmpx_ne_u16_e32 0, v6
	s_cbranch_execz .LBB298_1466
; %bb.1459:                             ;   in Loop: Header=BB298_1062 Depth=1
	v_mov_b32_e32 v18, 0x8000
	s_mov_b32 s16, exec_lo
	v_cmpx_ne_u16_e32 0x80, v6
	s_cbranch_execz .LBB298_1465
; %bb.1460:                             ;   in Loop: Header=BB298_1062 Depth=1
	v_and_b32_e32 v19, 0x7f, v34
	v_mov_b32_e32 v18, 0x7c01
	s_mov_b32 s17, exec_lo
	s_delay_alu instid0(VALU_DEP_2)
	v_cmpx_ne_u32_e32 0x7f, v19
	s_cbranch_execz .LBB298_1464
; %bb.1461:                             ;   in Loop: Header=BB298_1062 Depth=1
	v_dual_lshrrev_b32 v18, 3, v19 :: v_dual_bitop2_b32 v6, 7, v34 bitop3:0x40
	s_mov_b32 s18, exec_lo
	v_cmpx_gt_u32_e32 8, v19
; %bb.1462:                             ;   in Loop: Header=BB298_1062 Depth=1
	s_delay_alu instid0(VALU_DEP_2) | instskip(NEXT) | instid1(VALU_DEP_1)
	v_clz_i32_u32_e32 v6, v6
	v_min_u32_e32 v6, 32, v6
	s_delay_alu instid0(VALU_DEP_1) | instskip(NEXT) | instid1(VALU_DEP_1)
	v_subrev_nc_u32_e32 v18, 28, v6
	v_lshlrev_b64_e32 v[22:23], v18, v[34:35]
	v_sub_nc_u32_e32 v18, 29, v6
	s_delay_alu instid0(VALU_DEP_2)
	v_and_b32_e32 v6, 7, v22
; %bb.1463:                             ;   in Loop: Header=BB298_1062 Depth=1
	s_or_b32 exec_lo, exec_lo, s18
	v_lshlrev_b32_e32 v19, 8, v34
	s_delay_alu instid0(VALU_DEP_3) | instskip(NEXT) | instid1(VALU_DEP_3)
	v_lshl_add_u32 v18, v18, 10, 0x2000
	v_lshlrev_b32_e32 v6, 7, v6
	s_delay_alu instid0(VALU_DEP_3) | instskip(NEXT) | instid1(VALU_DEP_3)
	v_and_b32_e32 v19, 0x8000, v19
	v_and_b32_e32 v18, 0xfc00, v18
	s_delay_alu instid0(VALU_DEP_1)
	v_or3_b32 v18, v19, v18, v6
.LBB298_1464:                           ;   in Loop: Header=BB298_1062 Depth=1
	s_or_b32 exec_lo, exec_lo, s17
.LBB298_1465:                           ;   in Loop: Header=BB298_1062 Depth=1
	s_delay_alu instid0(SALU_CYCLE_1)
	s_or_b32 exec_lo, exec_lo, s16
.LBB298_1466:                           ;   in Loop: Header=BB298_1062 Depth=1
	s_delay_alu instid0(SALU_CYCLE_1) | instskip(SKIP_2) | instid1(VALU_DEP_1)
	s_or_b32 exec_lo, exec_lo, s15
	v_lshrrev_b16 v6, 8, v34
	s_mov_b32 s15, exec_lo
	v_cmpx_ne_u16_e32 0, v6
	s_cbranch_execz .LBB298_1474
; %bb.1467:                             ;   in Loop: Header=BB298_1062 Depth=1
	v_bfrev_b32_e32 v1, 1
	s_mov_b32 s16, exec_lo
	v_cmpx_ne_u16_e32 0x80, v6
	s_cbranch_execz .LBB298_1473
; %bb.1468:                             ;   in Loop: Header=BB298_1062 Depth=1
	v_and_b32_e32 v19, 0xffff, v6
	v_mov_b32_e32 v1, 0x7c010000
	s_mov_b32 s17, exec_lo
	s_delay_alu instid0(VALU_DEP_2) | instskip(NEXT) | instid1(VALU_DEP_1)
	v_and_b32_e32 v23, 0x7f, v19
	v_cmpx_ne_u32_e32 0x7f, v23
	s_cbranch_execz .LBB298_1472
; %bb.1469:                             ;   in Loop: Header=BB298_1062 Depth=1
	v_and_b32_e32 v1, 7, v19
	v_lshrrev_b32_e32 v22, 3, v23
	s_mov_b32 s18, exec_lo
	v_cmpx_gt_u32_e32 8, v23
; %bb.1470:                             ;   in Loop: Header=BB298_1062 Depth=1
	s_delay_alu instid0(VALU_DEP_3) | instskip(NEXT) | instid1(VALU_DEP_1)
	v_clz_i32_u32_e32 v1, v1
	v_min_u32_e32 v1, 32, v1
	s_delay_alu instid0(VALU_DEP_1) | instskip(NEXT) | instid1(VALU_DEP_1)
	v_subrev_nc_u32_e32 v22, 28, v1
	v_lshlrev_b64_e32 v[36:37], v22, v[6:7]
	s_delay_alu instid0(VALU_DEP_1)
	v_dual_sub_nc_u32 v22, 29, v1 :: v_dual_bitop2_b32 v1, 7, v36 bitop3:0x40
; %bb.1471:                             ;   in Loop: Header=BB298_1062 Depth=1
	s_or_b32 exec_lo, exec_lo, s18
	s_delay_alu instid0(VALU_DEP_1) | instskip(NEXT) | instid1(VALU_DEP_2)
	v_dual_lshlrev_b32 v6, 8, v19 :: v_dual_lshlrev_b32 v1, 23, v1
	v_lshl_add_u32 v19, v22, 10, 0x2000
	s_delay_alu instid0(VALU_DEP_1) | instskip(NEXT) | instid1(VALU_DEP_1)
	v_and_or_b32 v6, 0x8000, v6, v19
	v_lshl_or_b32 v1, v6, 16, v1
.LBB298_1472:                           ;   in Loop: Header=BB298_1062 Depth=1
	s_or_b32 exec_lo, exec_lo, s17
.LBB298_1473:                           ;   in Loop: Header=BB298_1062 Depth=1
	s_delay_alu instid0(SALU_CYCLE_1)
	s_or_b32 exec_lo, exec_lo, s16
.LBB298_1474:                           ;   in Loop: Header=BB298_1062 Depth=1
	s_delay_alu instid0(SALU_CYCLE_1) | instskip(SKIP_3) | instid1(VALU_DEP_2)
	s_or_b32 exec_lo, exec_lo, s15
	v_dual_mov_b32 v19, 0 :: v_dual_lshrrev_b32 v6, 16, v34
	v_mov_b32_e32 v22, 0
	s_mov_b32 s15, exec_lo
	v_and_b32_e32 v23, 0xff, v6
	s_delay_alu instid0(VALU_DEP_1)
	v_cmpx_ne_u16_e32 0, v23
	s_cbranch_execz .LBB298_1482
; %bb.1475:                             ;   in Loop: Header=BB298_1062 Depth=1
	v_mov_b32_e32 v22, 0x8000
	s_mov_b32 s16, exec_lo
	v_cmpx_ne_u16_e32 0x80, v23
	s_cbranch_execz .LBB298_1481
; %bb.1476:                             ;   in Loop: Header=BB298_1062 Depth=1
	v_bfe_u32 v33, v34, 16, 7
	v_mov_b32_e32 v22, 0x7c01
	s_mov_b32 s17, exec_lo
	s_delay_alu instid0(VALU_DEP_2)
	v_cmpx_ne_u32_e32 0x7f, v33
	s_cbranch_execz .LBB298_1480
; %bb.1477:                             ;   in Loop: Header=BB298_1062 Depth=1
	v_dual_lshrrev_b32 v23, 3, v33 :: v_dual_bitop2_b32 v22, 7, v6 bitop3:0x40
	s_mov_b32 s18, exec_lo
	v_cmpx_gt_u32_e32 8, v33
; %bb.1478:                             ;   in Loop: Header=BB298_1062 Depth=1
	s_delay_alu instid0(VALU_DEP_2) | instskip(NEXT) | instid1(VALU_DEP_1)
	v_clz_i32_u32_e32 v22, v22
	v_min_u32_e32 v33, 32, v22
	s_delay_alu instid0(VALU_DEP_1) | instskip(NEXT) | instid1(VALU_DEP_1)
	v_subrev_nc_u32_e32 v22, 28, v33
	v_lshlrev_b64_e32 v[22:23], v22, v[6:7]
	s_delay_alu instid0(VALU_DEP_1)
	v_dual_sub_nc_u32 v23, 29, v33 :: v_dual_bitop2_b32 v22, 7, v22 bitop3:0x40
; %bb.1479:                             ;   in Loop: Header=BB298_1062 Depth=1
	s_or_b32 exec_lo, exec_lo, s18
	v_lshlrev_b32_e32 v6, 8, v6
	s_delay_alu instid0(VALU_DEP_2) | instskip(NEXT) | instid1(VALU_DEP_3)
	v_lshl_add_u32 v23, v23, 10, 0x2000
	v_lshlrev_b32_e32 v22, 7, v22
	s_delay_alu instid0(VALU_DEP_3) | instskip(NEXT) | instid1(VALU_DEP_3)
	v_and_b32_e32 v6, 0x8000, v6
	v_and_b32_e32 v23, 0xfc00, v23
	s_delay_alu instid0(VALU_DEP_1)
	v_or3_b32 v22, v6, v23, v22
.LBB298_1480:                           ;   in Loop: Header=BB298_1062 Depth=1
	s_or_b32 exec_lo, exec_lo, s17
.LBB298_1481:                           ;   in Loop: Header=BB298_1062 Depth=1
	s_delay_alu instid0(SALU_CYCLE_1)
	s_or_b32 exec_lo, exec_lo, s16
.LBB298_1482:                           ;   in Loop: Header=BB298_1062 Depth=1
	s_delay_alu instid0(SALU_CYCLE_1) | instskip(NEXT) | instid1(SALU_CYCLE_1)
	s_or_b32 exec_lo, exec_lo, s15
	s_mov_b32 s15, exec_lo
	v_cmpx_lt_u32_e32 0xffffff, v34
	s_cbranch_execz .LBB298_1490
; %bb.1483:                             ;   in Loop: Header=BB298_1062 Depth=1
	v_lshrrev_b32_e32 v6, 24, v34
	v_bfrev_b32_e32 v19, 1
	s_mov_b32 s16, exec_lo
	s_delay_alu instid0(VALU_DEP_2)
	v_cmpx_ne_u32_e32 0x80, v6
	s_cbranch_execz .LBB298_1489
; %bb.1484:                             ;   in Loop: Header=BB298_1062 Depth=1
	v_and_b32_e32 v33, 0x7f, v6
	v_mov_b32_e32 v19, 0x7c010000
	s_mov_b32 s17, exec_lo
	s_delay_alu instid0(VALU_DEP_2)
	v_cmpx_ne_u32_e32 0x7f, v33
	s_cbranch_execz .LBB298_1488
; %bb.1485:                             ;   in Loop: Header=BB298_1062 Depth=1
	v_dual_lshrrev_b32 v23, 3, v33 :: v_dual_bitop2_b32 v19, 7, v6 bitop3:0x40
	s_mov_b32 s18, exec_lo
	v_cmpx_gt_u32_e32 8, v33
; %bb.1486:                             ;   in Loop: Header=BB298_1062 Depth=1
	s_delay_alu instid0(VALU_DEP_2) | instskip(NEXT) | instid1(VALU_DEP_1)
	v_clz_i32_u32_e32 v19, v19
	v_min_u32_e32 v19, 32, v19
	s_delay_alu instid0(VALU_DEP_1) | instskip(NEXT) | instid1(VALU_DEP_1)
	v_subrev_nc_u32_e32 v23, 28, v19
	v_lshlrev_b64_e32 v[36:37], v23, v[6:7]
	s_delay_alu instid0(VALU_DEP_1)
	v_dual_sub_nc_u32 v23, 29, v19 :: v_dual_bitop2_b32 v19, 7, v36 bitop3:0x40
; %bb.1487:                             ;   in Loop: Header=BB298_1062 Depth=1
	s_or_b32 exec_lo, exec_lo, s18
	s_delay_alu instid0(VALU_DEP_1) | instskip(NEXT) | instid1(VALU_DEP_2)
	v_dual_lshlrev_b32 v6, 8, v6 :: v_dual_lshlrev_b32 v19, 23, v19
	v_lshl_add_u32 v23, v23, 10, 0x2000
	s_delay_alu instid0(VALU_DEP_1) | instskip(NEXT) | instid1(VALU_DEP_1)
	v_and_or_b32 v6, 0x8000, v6, v23
	v_lshl_or_b32 v19, v6, 16, v19
.LBB298_1488:                           ;   in Loop: Header=BB298_1062 Depth=1
	s_or_b32 exec_lo, exec_lo, s17
.LBB298_1489:                           ;   in Loop: Header=BB298_1062 Depth=1
	s_delay_alu instid0(SALU_CYCLE_1)
	s_or_b32 exec_lo, exec_lo, s16
.LBB298_1490:                           ;   in Loop: Header=BB298_1062 Depth=1
	s_delay_alu instid0(SALU_CYCLE_1) | instskip(SKIP_4) | instid1(VALU_DEP_3)
	s_or_b32 exec_lo, exec_lo, s15
	v_and_b32_e32 v36, 0xff, v35
	v_dual_mov_b32 v6, v35 :: v_dual_mov_b32 v33, 0
	v_mov_b32_e32 v23, 0
	s_mov_b32 s15, exec_lo
	v_cmpx_ne_u16_e32 0, v36
	s_cbranch_execz .LBB298_1498
; %bb.1491:                             ;   in Loop: Header=BB298_1062 Depth=1
	v_mov_b32_e32 v23, 0x8000
	s_mov_b32 s16, exec_lo
	v_cmpx_ne_u16_e32 0x80, v36
	s_cbranch_execz .LBB298_1497
; %bb.1492:                             ;   in Loop: Header=BB298_1062 Depth=1
	v_and_b32_e32 v37, 0x7f, v35
	v_mov_b32_e32 v23, 0x7c01
	s_mov_b32 s17, exec_lo
	s_delay_alu instid0(VALU_DEP_2)
	v_cmpx_ne_u32_e32 0x7f, v37
	s_cbranch_execz .LBB298_1496
; %bb.1493:                             ;   in Loop: Header=BB298_1062 Depth=1
	v_dual_lshrrev_b32 v36, 3, v37 :: v_dual_bitop2_b32 v23, 7, v35 bitop3:0x40
	s_mov_b32 s18, exec_lo
	v_cmpx_gt_u32_e32 8, v37
; %bb.1494:                             ;   in Loop: Header=BB298_1062 Depth=1
	s_delay_alu instid0(VALU_DEP_2) | instskip(NEXT) | instid1(VALU_DEP_1)
	v_clz_i32_u32_e32 v23, v23
	v_min_u32_e32 v23, 32, v23
	s_delay_alu instid0(VALU_DEP_1) | instskip(NEXT) | instid1(VALU_DEP_1)
	v_subrev_nc_u32_e32 v36, 28, v23
	v_lshlrev_b64_e32 v[38:39], v36, v[6:7]
	s_delay_alu instid0(VALU_DEP_1)
	v_dual_sub_nc_u32 v36, 29, v23 :: v_dual_bitop2_b32 v23, 7, v38 bitop3:0x40
; %bb.1495:                             ;   in Loop: Header=BB298_1062 Depth=1
	s_or_b32 exec_lo, exec_lo, s18
	v_lshlrev_b32_e32 v37, 8, v35
	s_delay_alu instid0(VALU_DEP_2) | instskip(NEXT) | instid1(VALU_DEP_3)
	v_lshl_add_u32 v36, v36, 10, 0x2000
	v_lshlrev_b32_e32 v23, 7, v23
	s_delay_alu instid0(VALU_DEP_3) | instskip(NEXT) | instid1(VALU_DEP_3)
	v_and_b32_e32 v37, 0x8000, v37
	v_and_b32_e32 v36, 0xfc00, v36
	s_delay_alu instid0(VALU_DEP_1)
	v_or3_b32 v23, v37, v36, v23
.LBB298_1496:                           ;   in Loop: Header=BB298_1062 Depth=1
	s_or_b32 exec_lo, exec_lo, s17
.LBB298_1497:                           ;   in Loop: Header=BB298_1062 Depth=1
	s_delay_alu instid0(SALU_CYCLE_1)
	s_or_b32 exec_lo, exec_lo, s16
.LBB298_1498:                           ;   in Loop: Header=BB298_1062 Depth=1
	s_delay_alu instid0(SALU_CYCLE_1) | instskip(SKIP_3) | instid1(VALU_DEP_2)
	s_or_b32 exec_lo, exec_lo, s15
	v_lshrrev_b16 v6, 8, v6
	v_mov_b32_e32 v36, 0
	s_mov_b32 s15, exec_lo
	v_cmpx_ne_u16_e32 0, v6
	s_cbranch_execz .LBB298_1506
; %bb.1499:                             ;   in Loop: Header=BB298_1062 Depth=1
	v_bfrev_b32_e32 v36, 1
	s_mov_b32 s16, exec_lo
	v_cmpx_ne_u16_e32 0x80, v6
	s_cbranch_execz .LBB298_1505
; %bb.1500:                             ;   in Loop: Header=BB298_1062 Depth=1
	v_and_b32_e32 v37, 0xffff, v6
	v_mov_b32_e32 v36, 0x7c010000
	s_mov_b32 s17, exec_lo
	s_delay_alu instid0(VALU_DEP_2) | instskip(NEXT) | instid1(VALU_DEP_1)
	v_and_b32_e32 v39, 0x7f, v37
	v_cmpx_ne_u32_e32 0x7f, v39
	s_cbranch_execz .LBB298_1504
; %bb.1501:                             ;   in Loop: Header=BB298_1062 Depth=1
	v_dual_lshrrev_b32 v38, 3, v39 :: v_dual_bitop2_b32 v36, 7, v37 bitop3:0x40
	s_mov_b32 s18, exec_lo
	v_cmpx_gt_u32_e32 8, v39
; %bb.1502:                             ;   in Loop: Header=BB298_1062 Depth=1
	s_delay_alu instid0(VALU_DEP_2) | instskip(NEXT) | instid1(VALU_DEP_1)
	v_clz_i32_u32_e32 v36, v36
	v_min_u32_e32 v36, 32, v36
	s_delay_alu instid0(VALU_DEP_1) | instskip(NEXT) | instid1(VALU_DEP_1)
	v_subrev_nc_u32_e32 v38, 28, v36
	v_lshlrev_b64_e32 v[48:49], v38, v[6:7]
	v_sub_nc_u32_e32 v38, 29, v36
	s_delay_alu instid0(VALU_DEP_2)
	v_and_b32_e32 v36, 7, v48
; %bb.1503:                             ;   in Loop: Header=BB298_1062 Depth=1
	s_or_b32 exec_lo, exec_lo, s18
	s_delay_alu instid0(VALU_DEP_1) | instskip(NEXT) | instid1(VALU_DEP_3)
	v_dual_lshlrev_b32 v6, 8, v37 :: v_dual_lshlrev_b32 v36, 23, v36
	v_lshl_add_u32 v37, v38, 10, 0x2000
	s_delay_alu instid0(VALU_DEP_1) | instskip(NEXT) | instid1(VALU_DEP_1)
	v_and_or_b32 v6, 0x8000, v6, v37
	v_lshl_or_b32 v36, v6, 16, v36
.LBB298_1504:                           ;   in Loop: Header=BB298_1062 Depth=1
	s_or_b32 exec_lo, exec_lo, s17
.LBB298_1505:                           ;   in Loop: Header=BB298_1062 Depth=1
	s_delay_alu instid0(SALU_CYCLE_1)
	s_or_b32 exec_lo, exec_lo, s16
.LBB298_1506:                           ;   in Loop: Header=BB298_1062 Depth=1
	s_delay_alu instid0(SALU_CYCLE_1) | instskip(SKIP_2) | instid1(VALU_DEP_1)
	s_or_b32 exec_lo, exec_lo, s15
	v_lshrrev_b32_e32 v6, 16, v35
	s_mov_b32 s15, exec_lo
	v_and_b32_e32 v37, 0xff, v6
	s_delay_alu instid0(VALU_DEP_1)
	v_cmpx_ne_u16_e32 0, v37
	s_cbranch_execz .LBB298_1514
; %bb.1507:                             ;   in Loop: Header=BB298_1062 Depth=1
	v_mov_b32_e32 v33, 0x8000
	s_mov_b32 s16, exec_lo
	v_cmpx_ne_u16_e32 0x80, v37
	s_cbranch_execz .LBB298_1513
; %bb.1508:                             ;   in Loop: Header=BB298_1062 Depth=1
	v_bfe_u32 v38, v35, 16, 7
	v_mov_b32_e32 v33, 0x7c01
	s_mov_b32 s17, exec_lo
	s_delay_alu instid0(VALU_DEP_2)
	v_cmpx_ne_u32_e32 0x7f, v38
	s_cbranch_execz .LBB298_1512
; %bb.1509:                             ;   in Loop: Header=BB298_1062 Depth=1
	v_and_b32_e32 v33, 7, v6
	v_lshrrev_b32_e32 v37, 3, v38
	s_mov_b32 s18, exec_lo
	v_cmpx_gt_u32_e32 8, v38
; %bb.1510:                             ;   in Loop: Header=BB298_1062 Depth=1
	s_delay_alu instid0(VALU_DEP_3) | instskip(NEXT) | instid1(VALU_DEP_1)
	v_clz_i32_u32_e32 v33, v33
	v_min_u32_e32 v33, 32, v33
	s_delay_alu instid0(VALU_DEP_1) | instskip(NEXT) | instid1(VALU_DEP_1)
	v_subrev_nc_u32_e32 v37, 28, v33
	v_lshlrev_b64_e32 v[38:39], v37, v[6:7]
	s_delay_alu instid0(VALU_DEP_1)
	v_dual_sub_nc_u32 v37, 29, v33 :: v_dual_bitop2_b32 v33, 7, v38 bitop3:0x40
; %bb.1511:                             ;   in Loop: Header=BB298_1062 Depth=1
	s_or_b32 exec_lo, exec_lo, s18
	s_delay_alu instid0(VALU_DEP_1) | instskip(NEXT) | instid1(VALU_DEP_2)
	v_dual_lshlrev_b32 v6, 8, v6 :: v_dual_lshlrev_b32 v33, 7, v33
	v_lshl_add_u32 v37, v37, 10, 0x2000
	s_delay_alu instid0(VALU_DEP_2) | instskip(NEXT) | instid1(VALU_DEP_2)
	v_and_b32_e32 v6, 0x8000, v6
	v_and_b32_e32 v37, 0xfc00, v37
	s_delay_alu instid0(VALU_DEP_1)
	v_or3_b32 v33, v6, v37, v33
.LBB298_1512:                           ;   in Loop: Header=BB298_1062 Depth=1
	s_or_b32 exec_lo, exec_lo, s17
.LBB298_1513:                           ;   in Loop: Header=BB298_1062 Depth=1
	s_delay_alu instid0(SALU_CYCLE_1)
	s_or_b32 exec_lo, exec_lo, s16
.LBB298_1514:                           ;   in Loop: Header=BB298_1062 Depth=1
	s_delay_alu instid0(SALU_CYCLE_1)
	s_or_b32 exec_lo, exec_lo, s15
	v_cmp_lt_u64_e64 s0, s[2:3], v[34:35]
	v_mov_b32_e32 v34, 0
	s_and_saveexec_b32 s15, s0
	s_cbranch_execz .LBB298_1522
; %bb.1515:                             ;   in Loop: Header=BB298_1062 Depth=1
	v_lshrrev_b32_e32 v6, 24, v35
	v_bfrev_b32_e32 v34, 1
	s_mov_b32 s16, exec_lo
	s_delay_alu instid0(VALU_DEP_2)
	v_cmpx_ne_u32_e32 0x80, v6
	s_cbranch_execz .LBB298_1521
; %bb.1516:                             ;   in Loop: Header=BB298_1062 Depth=1
	v_and_b32_e32 v37, 0x7f, v6
	v_mov_b32_e32 v34, 0x7c010000
	s_mov_b32 s17, exec_lo
	s_delay_alu instid0(VALU_DEP_2)
	v_cmpx_ne_u32_e32 0x7f, v37
	s_cbranch_execz .LBB298_1520
; %bb.1517:                             ;   in Loop: Header=BB298_1062 Depth=1
	v_dual_lshrrev_b32 v35, 3, v37 :: v_dual_bitop2_b32 v34, 7, v6 bitop3:0x40
	s_mov_b32 s18, exec_lo
	v_cmpx_gt_u32_e32 8, v37
; %bb.1518:                             ;   in Loop: Header=BB298_1062 Depth=1
	s_delay_alu instid0(VALU_DEP_2) | instskip(NEXT) | instid1(VALU_DEP_1)
	v_clz_i32_u32_e32 v34, v34
	v_min_u32_e32 v37, 32, v34
	s_delay_alu instid0(VALU_DEP_1) | instskip(NEXT) | instid1(VALU_DEP_1)
	v_subrev_nc_u32_e32 v34, 28, v37
	v_lshlrev_b64_e32 v[34:35], v34, v[6:7]
	s_delay_alu instid0(VALU_DEP_1)
	v_dual_sub_nc_u32 v35, 29, v37 :: v_dual_bitop2_b32 v34, 7, v34 bitop3:0x40
; %bb.1519:                             ;   in Loop: Header=BB298_1062 Depth=1
	s_or_b32 exec_lo, exec_lo, s18
	v_lshlrev_b32_e32 v6, 8, v6
	s_delay_alu instid0(VALU_DEP_2) | instskip(NEXT) | instid1(VALU_DEP_3)
	v_lshl_add_u32 v35, v35, 10, 0x2000
	v_lshlrev_b32_e32 v34, 23, v34
	s_delay_alu instid0(VALU_DEP_2) | instskip(NEXT) | instid1(VALU_DEP_1)
	v_and_or_b32 v6, 0x8000, v6, v35
	v_lshl_or_b32 v34, v6, 16, v34
.LBB298_1520:                           ;   in Loop: Header=BB298_1062 Depth=1
	s_or_b32 exec_lo, exec_lo, s17
.LBB298_1521:                           ;   in Loop: Header=BB298_1062 Depth=1
	s_delay_alu instid0(SALU_CYCLE_1)
	s_or_b32 exec_lo, exec_lo, s16
.LBB298_1522:                           ;   in Loop: Header=BB298_1062 Depth=1
	s_delay_alu instid0(SALU_CYCLE_1) | instskip(SKIP_4) | instid1(VALU_DEP_4)
	s_or_b32 exec_lo, exec_lo, s15
	v_dual_lshrrev_b32 v6, 16, v1 :: v_dual_lshrrev_b32 v35, 16, v19
	v_or_b32_e32 v1, v1, v18
	v_or_b32_e32 v22, v19, v22
	;; [unrolled: 1-line block ×3, first 2 shown]
	v_cvt_f32_f16_e32 v19, v6
	v_cvt_f32_f16_e32 v18, v35
	v_dual_lshrrev_b32 v34, 16, v34 :: v_dual_bitop2_b32 v6, v34, v33 bitop3:0x54
	v_lshrrev_b32_e32 v33, 16, v36
	v_cvt_f32_f16_e32 v23, v1
	s_delay_alu instid0(VALU_DEP_3) | instskip(NEXT) | instid1(VALU_DEP_4)
	v_cvt_f32_f16_e32 v36, v6
	v_cvt_f32_f16_e32 v34, v34
	s_wait_loadcnt_dscnt 0x0
	v_pk_mul_f32 v[18:19], v[32:33], v[18:19] op_sel_hi:[0,1]
	v_cvt_f32_f16_e32 v35, v33
	s_delay_alu instid0(VALU_DEP_2) | instskip(NEXT) | instid1(VALU_DEP_2)
	v_cvt_pk_f16_f32 v1, v18, v19
	v_pk_mul_f32 v[18:19], v[32:33], v[34:35] op_sel_hi:[0,1]
	s_delay_alu instid0(VALU_DEP_2) | instskip(SKIP_2) | instid1(VALU_DEP_4)
	v_lshlrev_b32_e32 v34, 16, v1
	v_cvt_f32_f16_e32 v22, v22
	v_and_b32_e32 v35, 0xffff0000, v1
	v_cvt_pk_f16_f32 v18, v18, v19
	s_delay_alu instid0(VALU_DEP_3) | instskip(NEXT) | instid1(VALU_DEP_2)
	v_pk_mul_f32 v[22:23], v[32:33], v[22:23] op_sel_hi:[0,1]
	v_and_b32_e32 v19, 0xffff0000, v18
	s_delay_alu instid0(VALU_DEP_2) | instskip(NEXT) | instid1(VALU_DEP_1)
	v_cvt_pk_f16_f32 v6, v22, v23
	v_lshrrev_b32_e32 v49, 16, v6
	v_cvt_f32_f16_e32 v37, v37
	v_and_b32_e32 v48, 0xffff, v6
	s_delay_alu instid0(VALU_DEP_3) | instskip(NEXT) | instid1(VALU_DEP_3)
	v_or_b32_e32 v39, v35, v49
	v_pk_mul_f32 v[32:33], v[32:33], v[36:37] op_sel_hi:[0,1]
	s_delay_alu instid0(VALU_DEP_3) | instskip(NEXT) | instid1(VALU_DEP_2)
	v_or_b32_e32 v38, v34, v48
	v_cvt_pk_f16_f32 v1, v32, v33
	s_delay_alu instid0(VALU_DEP_1) | instskip(SKIP_1) | instid1(VALU_DEP_2)
	v_dual_lshlrev_b32 v6, 16, v18 :: v_dual_lshrrev_b32 v33, 16, v1
	v_and_b32_e32 v32, 0xffff, v1
	v_or_b32_e32 v37, v19, v33
	s_delay_alu instid0(VALU_DEP_2)
	v_or_b32_e32 v36, v6, v32
	s_and_saveexec_b32 s15, vcc_lo
	s_cbranch_execz .LBB298_1524
; %bb.1523:                             ;   in Loop: Header=BB298_1062 Depth=1
	v_cmp_lt_i32_e64 s0, v54, v13
	s_delay_alu instid0(VALU_DEP_1) | instskip(SKIP_1) | instid1(VALU_DEP_1)
	v_cndmask_b32_e64 v1, 0, v49, s0
	v_cmp_lt_i32_e64 s0, v70, v58
	v_cndmask_b32_e64 v18, 0, v48, s0
	v_cmp_lt_i32_e64 s0, v69, v13
	s_delay_alu instid0(VALU_DEP_1) | instskip(SKIP_1) | instid1(VALU_DEP_1)
	v_cndmask_b32_e64 v22, 0, v35, s0
	v_cmp_lt_i32_e64 s0, v68, v58
	v_cndmask_b32_e64 v23, 0, v34, s0
	v_cmp_lt_i32_e64 s0, v67, v13
	s_delay_alu instid0(VALU_DEP_4) | instskip(NEXT) | instid1(VALU_DEP_2)
	v_or_b32_e32 v39, v1, v22
	v_dual_cndmask_b32 v33, 0, v33, s0 :: v_dual_bitop2_b32 v38, v18, v23 bitop3:0x54
	v_cmp_lt_i32_e64 s0, v66, v58
	s_delay_alu instid0(VALU_DEP_1) | instskip(SKIP_1) | instid1(VALU_DEP_1)
	v_cndmask_b32_e64 v32, 0, v32, s0
	v_cmp_lt_i32_e64 s0, v65, v13
	v_cndmask_b32_e64 v19, 0, v19, s0
	v_cmp_lt_i32_e64 s0, v0, v58
	s_delay_alu instid0(VALU_DEP_1) | instskip(NEXT) | instid1(VALU_DEP_1)
	v_dual_cndmask_b32 v6, 0, v6, s0 :: v_dual_bitop2_b32 v37, v33, v19 bitop3:0x54
	v_or_b32_e32 v36, v32, v6
.LBB298_1524:                           ;   in Loop: Header=BB298_1062 Depth=1
	s_or_b32 exec_lo, exec_lo, s15
	;;#ASMSTART
	v_pk_mul_f16 v1, v82, v39;

	;;#ASMEND
	;;#ASMSTART
	v_pk_mul_f16 v6, v81, v38;

	;;#ASMEND
	;; [unrolled: 4-line block ×4, first 2 shown]
	;;#ASMSTART
	v_pk_add_f16 v1, v1, v6;

	;;#ASMEND
	;;#ASMSTART
	v_pk_add_f16 v1, v1, v18;

	;;#ASMEND
	;; [unrolled: 4-line block ×3, first 2 shown]
	v_and_b32_e32 v6, 0xffff, v1
	v_lshrrev_b32_e32 v1, 16, v1
	;;#ASMSTART
	v_cvt_f32_f16 v103, v6;
	;;#ASMEND
	;;#ASMSTART
	v_cvt_f32_f16 v112, v1;
	;;#ASMEND
	flat_load_b64 v[34:35], v[14:15] offset:1792
	scratch_load_b64 v[18:19], off, s32 offset:192 ; 8-byte Folded Reload
	v_mov_b32_e32 v1, 0
	s_mov_b32 s15, exec_lo
	s_wait_loadcnt_dscnt 0x100
	v_and_b32_e32 v6, 0xff, v34
	s_wait_loadcnt 0x0
	flat_load_b32 v32, v[18:19]
	s_wait_xcnt 0x0
	v_mov_b32_e32 v18, 0
	v_cmpx_ne_u16_e32 0, v6
	s_cbranch_execz .LBB298_1532
; %bb.1525:                             ;   in Loop: Header=BB298_1062 Depth=1
	v_mov_b32_e32 v18, 0x8000
	s_mov_b32 s16, exec_lo
	v_cmpx_ne_u16_e32 0x80, v6
	s_cbranch_execz .LBB298_1531
; %bb.1526:                             ;   in Loop: Header=BB298_1062 Depth=1
	v_and_b32_e32 v19, 0x7f, v34
	v_mov_b32_e32 v18, 0x7c01
	s_mov_b32 s17, exec_lo
	s_delay_alu instid0(VALU_DEP_2)
	v_cmpx_ne_u32_e32 0x7f, v19
	s_cbranch_execz .LBB298_1530
; %bb.1527:                             ;   in Loop: Header=BB298_1062 Depth=1
	v_dual_lshrrev_b32 v18, 3, v19 :: v_dual_bitop2_b32 v6, 7, v34 bitop3:0x40
	s_mov_b32 s18, exec_lo
	v_cmpx_gt_u32_e32 8, v19
; %bb.1528:                             ;   in Loop: Header=BB298_1062 Depth=1
	s_delay_alu instid0(VALU_DEP_2) | instskip(NEXT) | instid1(VALU_DEP_1)
	v_clz_i32_u32_e32 v6, v6
	v_min_u32_e32 v6, 32, v6
	s_delay_alu instid0(VALU_DEP_1) | instskip(NEXT) | instid1(VALU_DEP_1)
	v_subrev_nc_u32_e32 v18, 28, v6
	v_lshlrev_b64_e32 v[22:23], v18, v[34:35]
	v_sub_nc_u32_e32 v18, 29, v6
	s_delay_alu instid0(VALU_DEP_2)
	v_and_b32_e32 v6, 7, v22
; %bb.1529:                             ;   in Loop: Header=BB298_1062 Depth=1
	s_or_b32 exec_lo, exec_lo, s18
	v_lshlrev_b32_e32 v19, 8, v34
	s_delay_alu instid0(VALU_DEP_3) | instskip(NEXT) | instid1(VALU_DEP_3)
	v_lshl_add_u32 v18, v18, 10, 0x2000
	v_lshlrev_b32_e32 v6, 7, v6
	s_delay_alu instid0(VALU_DEP_3) | instskip(NEXT) | instid1(VALU_DEP_3)
	v_and_b32_e32 v19, 0x8000, v19
	v_and_b32_e32 v18, 0xfc00, v18
	s_delay_alu instid0(VALU_DEP_1)
	v_or3_b32 v18, v19, v18, v6
.LBB298_1530:                           ;   in Loop: Header=BB298_1062 Depth=1
	s_or_b32 exec_lo, exec_lo, s17
.LBB298_1531:                           ;   in Loop: Header=BB298_1062 Depth=1
	s_delay_alu instid0(SALU_CYCLE_1)
	s_or_b32 exec_lo, exec_lo, s16
.LBB298_1532:                           ;   in Loop: Header=BB298_1062 Depth=1
	s_delay_alu instid0(SALU_CYCLE_1) | instskip(SKIP_2) | instid1(VALU_DEP_1)
	s_or_b32 exec_lo, exec_lo, s15
	v_lshrrev_b16 v6, 8, v34
	s_mov_b32 s15, exec_lo
	v_cmpx_ne_u16_e32 0, v6
	s_cbranch_execz .LBB298_1540
; %bb.1533:                             ;   in Loop: Header=BB298_1062 Depth=1
	v_bfrev_b32_e32 v1, 1
	s_mov_b32 s16, exec_lo
	v_cmpx_ne_u16_e32 0x80, v6
	s_cbranch_execz .LBB298_1539
; %bb.1534:                             ;   in Loop: Header=BB298_1062 Depth=1
	v_and_b32_e32 v19, 0xffff, v6
	v_mov_b32_e32 v1, 0x7c010000
	s_mov_b32 s17, exec_lo
	s_delay_alu instid0(VALU_DEP_2) | instskip(NEXT) | instid1(VALU_DEP_1)
	v_and_b32_e32 v23, 0x7f, v19
	v_cmpx_ne_u32_e32 0x7f, v23
	s_cbranch_execz .LBB298_1538
; %bb.1535:                             ;   in Loop: Header=BB298_1062 Depth=1
	v_and_b32_e32 v1, 7, v19
	v_lshrrev_b32_e32 v22, 3, v23
	s_mov_b32 s18, exec_lo
	v_cmpx_gt_u32_e32 8, v23
; %bb.1536:                             ;   in Loop: Header=BB298_1062 Depth=1
	s_delay_alu instid0(VALU_DEP_3) | instskip(NEXT) | instid1(VALU_DEP_1)
	v_clz_i32_u32_e32 v1, v1
	v_min_u32_e32 v1, 32, v1
	s_delay_alu instid0(VALU_DEP_1) | instskip(NEXT) | instid1(VALU_DEP_1)
	v_subrev_nc_u32_e32 v22, 28, v1
	v_lshlrev_b64_e32 v[36:37], v22, v[6:7]
	s_delay_alu instid0(VALU_DEP_1)
	v_dual_sub_nc_u32 v22, 29, v1 :: v_dual_bitop2_b32 v1, 7, v36 bitop3:0x40
; %bb.1537:                             ;   in Loop: Header=BB298_1062 Depth=1
	s_or_b32 exec_lo, exec_lo, s18
	s_delay_alu instid0(VALU_DEP_1) | instskip(NEXT) | instid1(VALU_DEP_2)
	v_dual_lshlrev_b32 v6, 8, v19 :: v_dual_lshlrev_b32 v1, 23, v1
	v_lshl_add_u32 v19, v22, 10, 0x2000
	s_delay_alu instid0(VALU_DEP_1) | instskip(NEXT) | instid1(VALU_DEP_1)
	v_and_or_b32 v6, 0x8000, v6, v19
	v_lshl_or_b32 v1, v6, 16, v1
.LBB298_1538:                           ;   in Loop: Header=BB298_1062 Depth=1
	s_or_b32 exec_lo, exec_lo, s17
.LBB298_1539:                           ;   in Loop: Header=BB298_1062 Depth=1
	s_delay_alu instid0(SALU_CYCLE_1)
	s_or_b32 exec_lo, exec_lo, s16
.LBB298_1540:                           ;   in Loop: Header=BB298_1062 Depth=1
	s_delay_alu instid0(SALU_CYCLE_1) | instskip(SKIP_3) | instid1(VALU_DEP_2)
	s_or_b32 exec_lo, exec_lo, s15
	v_dual_mov_b32 v19, 0 :: v_dual_lshrrev_b32 v6, 16, v34
	v_mov_b32_e32 v22, 0
	s_mov_b32 s15, exec_lo
	v_and_b32_e32 v23, 0xff, v6
	s_delay_alu instid0(VALU_DEP_1)
	v_cmpx_ne_u16_e32 0, v23
	s_cbranch_execz .LBB298_1548
; %bb.1541:                             ;   in Loop: Header=BB298_1062 Depth=1
	v_mov_b32_e32 v22, 0x8000
	s_mov_b32 s16, exec_lo
	v_cmpx_ne_u16_e32 0x80, v23
	s_cbranch_execz .LBB298_1547
; %bb.1542:                             ;   in Loop: Header=BB298_1062 Depth=1
	v_bfe_u32 v33, v34, 16, 7
	v_mov_b32_e32 v22, 0x7c01
	s_mov_b32 s17, exec_lo
	s_delay_alu instid0(VALU_DEP_2)
	v_cmpx_ne_u32_e32 0x7f, v33
	s_cbranch_execz .LBB298_1546
; %bb.1543:                             ;   in Loop: Header=BB298_1062 Depth=1
	v_dual_lshrrev_b32 v23, 3, v33 :: v_dual_bitop2_b32 v22, 7, v6 bitop3:0x40
	s_mov_b32 s18, exec_lo
	v_cmpx_gt_u32_e32 8, v33
; %bb.1544:                             ;   in Loop: Header=BB298_1062 Depth=1
	s_delay_alu instid0(VALU_DEP_2) | instskip(NEXT) | instid1(VALU_DEP_1)
	v_clz_i32_u32_e32 v22, v22
	v_min_u32_e32 v33, 32, v22
	s_delay_alu instid0(VALU_DEP_1) | instskip(NEXT) | instid1(VALU_DEP_1)
	v_subrev_nc_u32_e32 v22, 28, v33
	v_lshlrev_b64_e32 v[22:23], v22, v[6:7]
	s_delay_alu instid0(VALU_DEP_1)
	v_dual_sub_nc_u32 v23, 29, v33 :: v_dual_bitop2_b32 v22, 7, v22 bitop3:0x40
; %bb.1545:                             ;   in Loop: Header=BB298_1062 Depth=1
	s_or_b32 exec_lo, exec_lo, s18
	v_lshlrev_b32_e32 v6, 8, v6
	s_delay_alu instid0(VALU_DEP_2) | instskip(NEXT) | instid1(VALU_DEP_3)
	v_lshl_add_u32 v23, v23, 10, 0x2000
	v_lshlrev_b32_e32 v22, 7, v22
	s_delay_alu instid0(VALU_DEP_3) | instskip(NEXT) | instid1(VALU_DEP_3)
	v_and_b32_e32 v6, 0x8000, v6
	v_and_b32_e32 v23, 0xfc00, v23
	s_delay_alu instid0(VALU_DEP_1)
	v_or3_b32 v22, v6, v23, v22
.LBB298_1546:                           ;   in Loop: Header=BB298_1062 Depth=1
	s_or_b32 exec_lo, exec_lo, s17
.LBB298_1547:                           ;   in Loop: Header=BB298_1062 Depth=1
	s_delay_alu instid0(SALU_CYCLE_1)
	s_or_b32 exec_lo, exec_lo, s16
.LBB298_1548:                           ;   in Loop: Header=BB298_1062 Depth=1
	s_delay_alu instid0(SALU_CYCLE_1) | instskip(NEXT) | instid1(SALU_CYCLE_1)
	s_or_b32 exec_lo, exec_lo, s15
	s_mov_b32 s15, exec_lo
	v_cmpx_lt_u32_e32 0xffffff, v34
	s_cbranch_execz .LBB298_1556
; %bb.1549:                             ;   in Loop: Header=BB298_1062 Depth=1
	v_lshrrev_b32_e32 v6, 24, v34
	v_bfrev_b32_e32 v19, 1
	s_mov_b32 s16, exec_lo
	s_delay_alu instid0(VALU_DEP_2)
	v_cmpx_ne_u32_e32 0x80, v6
	s_cbranch_execz .LBB298_1555
; %bb.1550:                             ;   in Loop: Header=BB298_1062 Depth=1
	v_and_b32_e32 v33, 0x7f, v6
	v_mov_b32_e32 v19, 0x7c010000
	s_mov_b32 s17, exec_lo
	s_delay_alu instid0(VALU_DEP_2)
	v_cmpx_ne_u32_e32 0x7f, v33
	s_cbranch_execz .LBB298_1554
; %bb.1551:                             ;   in Loop: Header=BB298_1062 Depth=1
	v_dual_lshrrev_b32 v23, 3, v33 :: v_dual_bitop2_b32 v19, 7, v6 bitop3:0x40
	s_mov_b32 s18, exec_lo
	v_cmpx_gt_u32_e32 8, v33
; %bb.1552:                             ;   in Loop: Header=BB298_1062 Depth=1
	s_delay_alu instid0(VALU_DEP_2) | instskip(NEXT) | instid1(VALU_DEP_1)
	v_clz_i32_u32_e32 v19, v19
	v_min_u32_e32 v19, 32, v19
	s_delay_alu instid0(VALU_DEP_1) | instskip(NEXT) | instid1(VALU_DEP_1)
	v_subrev_nc_u32_e32 v23, 28, v19
	v_lshlrev_b64_e32 v[36:37], v23, v[6:7]
	s_delay_alu instid0(VALU_DEP_1)
	v_dual_sub_nc_u32 v23, 29, v19 :: v_dual_bitop2_b32 v19, 7, v36 bitop3:0x40
; %bb.1553:                             ;   in Loop: Header=BB298_1062 Depth=1
	s_or_b32 exec_lo, exec_lo, s18
	s_delay_alu instid0(VALU_DEP_1) | instskip(NEXT) | instid1(VALU_DEP_2)
	v_dual_lshlrev_b32 v6, 8, v6 :: v_dual_lshlrev_b32 v19, 23, v19
	v_lshl_add_u32 v23, v23, 10, 0x2000
	s_delay_alu instid0(VALU_DEP_1) | instskip(NEXT) | instid1(VALU_DEP_1)
	v_and_or_b32 v6, 0x8000, v6, v23
	v_lshl_or_b32 v19, v6, 16, v19
.LBB298_1554:                           ;   in Loop: Header=BB298_1062 Depth=1
	s_or_b32 exec_lo, exec_lo, s17
.LBB298_1555:                           ;   in Loop: Header=BB298_1062 Depth=1
	s_delay_alu instid0(SALU_CYCLE_1)
	s_or_b32 exec_lo, exec_lo, s16
.LBB298_1556:                           ;   in Loop: Header=BB298_1062 Depth=1
	s_delay_alu instid0(SALU_CYCLE_1) | instskip(SKIP_4) | instid1(VALU_DEP_3)
	s_or_b32 exec_lo, exec_lo, s15
	v_and_b32_e32 v36, 0xff, v35
	v_dual_mov_b32 v6, v35 :: v_dual_mov_b32 v33, 0
	v_mov_b32_e32 v23, 0
	s_mov_b32 s15, exec_lo
	v_cmpx_ne_u16_e32 0, v36
	s_cbranch_execz .LBB298_1564
; %bb.1557:                             ;   in Loop: Header=BB298_1062 Depth=1
	v_mov_b32_e32 v23, 0x8000
	s_mov_b32 s16, exec_lo
	v_cmpx_ne_u16_e32 0x80, v36
	s_cbranch_execz .LBB298_1563
; %bb.1558:                             ;   in Loop: Header=BB298_1062 Depth=1
	v_and_b32_e32 v37, 0x7f, v35
	v_mov_b32_e32 v23, 0x7c01
	s_mov_b32 s17, exec_lo
	s_delay_alu instid0(VALU_DEP_2)
	v_cmpx_ne_u32_e32 0x7f, v37
	s_cbranch_execz .LBB298_1562
; %bb.1559:                             ;   in Loop: Header=BB298_1062 Depth=1
	v_dual_lshrrev_b32 v36, 3, v37 :: v_dual_bitop2_b32 v23, 7, v35 bitop3:0x40
	s_mov_b32 s18, exec_lo
	v_cmpx_gt_u32_e32 8, v37
; %bb.1560:                             ;   in Loop: Header=BB298_1062 Depth=1
	s_delay_alu instid0(VALU_DEP_2) | instskip(NEXT) | instid1(VALU_DEP_1)
	v_clz_i32_u32_e32 v23, v23
	v_min_u32_e32 v23, 32, v23
	s_delay_alu instid0(VALU_DEP_1) | instskip(NEXT) | instid1(VALU_DEP_1)
	v_subrev_nc_u32_e32 v36, 28, v23
	v_lshlrev_b64_e32 v[38:39], v36, v[6:7]
	s_delay_alu instid0(VALU_DEP_1)
	v_dual_sub_nc_u32 v36, 29, v23 :: v_dual_bitop2_b32 v23, 7, v38 bitop3:0x40
; %bb.1561:                             ;   in Loop: Header=BB298_1062 Depth=1
	s_or_b32 exec_lo, exec_lo, s18
	v_lshlrev_b32_e32 v37, 8, v35
	s_delay_alu instid0(VALU_DEP_2) | instskip(NEXT) | instid1(VALU_DEP_3)
	v_lshl_add_u32 v36, v36, 10, 0x2000
	v_lshlrev_b32_e32 v23, 7, v23
	s_delay_alu instid0(VALU_DEP_3) | instskip(NEXT) | instid1(VALU_DEP_3)
	v_and_b32_e32 v37, 0x8000, v37
	v_and_b32_e32 v36, 0xfc00, v36
	s_delay_alu instid0(VALU_DEP_1)
	v_or3_b32 v23, v37, v36, v23
.LBB298_1562:                           ;   in Loop: Header=BB298_1062 Depth=1
	s_or_b32 exec_lo, exec_lo, s17
.LBB298_1563:                           ;   in Loop: Header=BB298_1062 Depth=1
	s_delay_alu instid0(SALU_CYCLE_1)
	s_or_b32 exec_lo, exec_lo, s16
.LBB298_1564:                           ;   in Loop: Header=BB298_1062 Depth=1
	s_delay_alu instid0(SALU_CYCLE_1) | instskip(SKIP_3) | instid1(VALU_DEP_2)
	s_or_b32 exec_lo, exec_lo, s15
	v_lshrrev_b16 v6, 8, v6
	v_mov_b32_e32 v36, 0
	s_mov_b32 s15, exec_lo
	v_cmpx_ne_u16_e32 0, v6
	s_cbranch_execz .LBB298_1572
; %bb.1565:                             ;   in Loop: Header=BB298_1062 Depth=1
	v_bfrev_b32_e32 v36, 1
	s_mov_b32 s16, exec_lo
	v_cmpx_ne_u16_e32 0x80, v6
	s_cbranch_execz .LBB298_1571
; %bb.1566:                             ;   in Loop: Header=BB298_1062 Depth=1
	v_and_b32_e32 v37, 0xffff, v6
	v_mov_b32_e32 v36, 0x7c010000
	s_mov_b32 s17, exec_lo
	s_delay_alu instid0(VALU_DEP_2) | instskip(NEXT) | instid1(VALU_DEP_1)
	v_and_b32_e32 v39, 0x7f, v37
	v_cmpx_ne_u32_e32 0x7f, v39
	s_cbranch_execz .LBB298_1570
; %bb.1567:                             ;   in Loop: Header=BB298_1062 Depth=1
	v_dual_lshrrev_b32 v38, 3, v39 :: v_dual_bitop2_b32 v36, 7, v37 bitop3:0x40
	s_mov_b32 s18, exec_lo
	v_cmpx_gt_u32_e32 8, v39
; %bb.1568:                             ;   in Loop: Header=BB298_1062 Depth=1
	s_delay_alu instid0(VALU_DEP_2) | instskip(NEXT) | instid1(VALU_DEP_1)
	v_clz_i32_u32_e32 v36, v36
	v_min_u32_e32 v36, 32, v36
	s_delay_alu instid0(VALU_DEP_1) | instskip(NEXT) | instid1(VALU_DEP_1)
	v_subrev_nc_u32_e32 v38, 28, v36
	v_lshlrev_b64_e32 v[48:49], v38, v[6:7]
	v_sub_nc_u32_e32 v38, 29, v36
	s_delay_alu instid0(VALU_DEP_2)
	v_and_b32_e32 v36, 7, v48
; %bb.1569:                             ;   in Loop: Header=BB298_1062 Depth=1
	s_or_b32 exec_lo, exec_lo, s18
	s_delay_alu instid0(VALU_DEP_1) | instskip(NEXT) | instid1(VALU_DEP_3)
	v_dual_lshlrev_b32 v6, 8, v37 :: v_dual_lshlrev_b32 v36, 23, v36
	v_lshl_add_u32 v37, v38, 10, 0x2000
	s_delay_alu instid0(VALU_DEP_1) | instskip(NEXT) | instid1(VALU_DEP_1)
	v_and_or_b32 v6, 0x8000, v6, v37
	v_lshl_or_b32 v36, v6, 16, v36
.LBB298_1570:                           ;   in Loop: Header=BB298_1062 Depth=1
	s_or_b32 exec_lo, exec_lo, s17
.LBB298_1571:                           ;   in Loop: Header=BB298_1062 Depth=1
	s_delay_alu instid0(SALU_CYCLE_1)
	s_or_b32 exec_lo, exec_lo, s16
.LBB298_1572:                           ;   in Loop: Header=BB298_1062 Depth=1
	s_delay_alu instid0(SALU_CYCLE_1) | instskip(SKIP_2) | instid1(VALU_DEP_1)
	s_or_b32 exec_lo, exec_lo, s15
	v_lshrrev_b32_e32 v6, 16, v35
	s_mov_b32 s15, exec_lo
	v_and_b32_e32 v37, 0xff, v6
	s_delay_alu instid0(VALU_DEP_1)
	v_cmpx_ne_u16_e32 0, v37
	s_cbranch_execz .LBB298_1580
; %bb.1573:                             ;   in Loop: Header=BB298_1062 Depth=1
	v_mov_b32_e32 v33, 0x8000
	s_mov_b32 s16, exec_lo
	v_cmpx_ne_u16_e32 0x80, v37
	s_cbranch_execz .LBB298_1579
; %bb.1574:                             ;   in Loop: Header=BB298_1062 Depth=1
	v_bfe_u32 v38, v35, 16, 7
	v_mov_b32_e32 v33, 0x7c01
	s_mov_b32 s17, exec_lo
	s_delay_alu instid0(VALU_DEP_2)
	v_cmpx_ne_u32_e32 0x7f, v38
	s_cbranch_execz .LBB298_1578
; %bb.1575:                             ;   in Loop: Header=BB298_1062 Depth=1
	v_and_b32_e32 v33, 7, v6
	v_lshrrev_b32_e32 v37, 3, v38
	s_mov_b32 s18, exec_lo
	v_cmpx_gt_u32_e32 8, v38
; %bb.1576:                             ;   in Loop: Header=BB298_1062 Depth=1
	s_delay_alu instid0(VALU_DEP_3) | instskip(NEXT) | instid1(VALU_DEP_1)
	v_clz_i32_u32_e32 v33, v33
	v_min_u32_e32 v33, 32, v33
	s_delay_alu instid0(VALU_DEP_1) | instskip(NEXT) | instid1(VALU_DEP_1)
	v_subrev_nc_u32_e32 v37, 28, v33
	v_lshlrev_b64_e32 v[38:39], v37, v[6:7]
	s_delay_alu instid0(VALU_DEP_1)
	v_dual_sub_nc_u32 v37, 29, v33 :: v_dual_bitop2_b32 v33, 7, v38 bitop3:0x40
; %bb.1577:                             ;   in Loop: Header=BB298_1062 Depth=1
	s_or_b32 exec_lo, exec_lo, s18
	s_delay_alu instid0(VALU_DEP_1) | instskip(NEXT) | instid1(VALU_DEP_2)
	v_dual_lshlrev_b32 v6, 8, v6 :: v_dual_lshlrev_b32 v33, 7, v33
	v_lshl_add_u32 v37, v37, 10, 0x2000
	s_delay_alu instid0(VALU_DEP_2) | instskip(NEXT) | instid1(VALU_DEP_2)
	v_and_b32_e32 v6, 0x8000, v6
	v_and_b32_e32 v37, 0xfc00, v37
	s_delay_alu instid0(VALU_DEP_1)
	v_or3_b32 v33, v6, v37, v33
.LBB298_1578:                           ;   in Loop: Header=BB298_1062 Depth=1
	s_or_b32 exec_lo, exec_lo, s17
.LBB298_1579:                           ;   in Loop: Header=BB298_1062 Depth=1
	s_delay_alu instid0(SALU_CYCLE_1)
	s_or_b32 exec_lo, exec_lo, s16
.LBB298_1580:                           ;   in Loop: Header=BB298_1062 Depth=1
	s_delay_alu instid0(SALU_CYCLE_1)
	s_or_b32 exec_lo, exec_lo, s15
	v_cmp_lt_u64_e64 s0, s[2:3], v[34:35]
	v_mov_b32_e32 v34, 0
	s_and_saveexec_b32 s15, s0
	s_cbranch_execz .LBB298_1588
; %bb.1581:                             ;   in Loop: Header=BB298_1062 Depth=1
	v_lshrrev_b32_e32 v6, 24, v35
	v_bfrev_b32_e32 v34, 1
	s_mov_b32 s16, exec_lo
	s_delay_alu instid0(VALU_DEP_2)
	v_cmpx_ne_u32_e32 0x80, v6
	s_cbranch_execz .LBB298_1587
; %bb.1582:                             ;   in Loop: Header=BB298_1062 Depth=1
	v_and_b32_e32 v37, 0x7f, v6
	v_mov_b32_e32 v34, 0x7c010000
	s_mov_b32 s17, exec_lo
	s_delay_alu instid0(VALU_DEP_2)
	v_cmpx_ne_u32_e32 0x7f, v37
	s_cbranch_execz .LBB298_1586
; %bb.1583:                             ;   in Loop: Header=BB298_1062 Depth=1
	v_dual_lshrrev_b32 v35, 3, v37 :: v_dual_bitop2_b32 v34, 7, v6 bitop3:0x40
	s_mov_b32 s18, exec_lo
	v_cmpx_gt_u32_e32 8, v37
; %bb.1584:                             ;   in Loop: Header=BB298_1062 Depth=1
	s_delay_alu instid0(VALU_DEP_2) | instskip(NEXT) | instid1(VALU_DEP_1)
	v_clz_i32_u32_e32 v34, v34
	v_min_u32_e32 v37, 32, v34
	s_delay_alu instid0(VALU_DEP_1) | instskip(NEXT) | instid1(VALU_DEP_1)
	v_subrev_nc_u32_e32 v34, 28, v37
	v_lshlrev_b64_e32 v[34:35], v34, v[6:7]
	s_delay_alu instid0(VALU_DEP_1)
	v_dual_sub_nc_u32 v35, 29, v37 :: v_dual_bitop2_b32 v34, 7, v34 bitop3:0x40
; %bb.1585:                             ;   in Loop: Header=BB298_1062 Depth=1
	s_or_b32 exec_lo, exec_lo, s18
	v_lshlrev_b32_e32 v6, 8, v6
	s_delay_alu instid0(VALU_DEP_2) | instskip(NEXT) | instid1(VALU_DEP_3)
	v_lshl_add_u32 v35, v35, 10, 0x2000
	v_lshlrev_b32_e32 v34, 23, v34
	s_delay_alu instid0(VALU_DEP_2) | instskip(NEXT) | instid1(VALU_DEP_1)
	v_and_or_b32 v6, 0x8000, v6, v35
	v_lshl_or_b32 v34, v6, 16, v34
.LBB298_1586:                           ;   in Loop: Header=BB298_1062 Depth=1
	s_or_b32 exec_lo, exec_lo, s17
.LBB298_1587:                           ;   in Loop: Header=BB298_1062 Depth=1
	s_delay_alu instid0(SALU_CYCLE_1)
	s_or_b32 exec_lo, exec_lo, s16
.LBB298_1588:                           ;   in Loop: Header=BB298_1062 Depth=1
	s_delay_alu instid0(SALU_CYCLE_1) | instskip(SKIP_4) | instid1(VALU_DEP_4)
	s_or_b32 exec_lo, exec_lo, s15
	v_dual_lshrrev_b32 v6, 16, v1 :: v_dual_lshrrev_b32 v35, 16, v19
	v_or_b32_e32 v1, v1, v18
	v_or_b32_e32 v22, v19, v22
	;; [unrolled: 1-line block ×3, first 2 shown]
	v_cvt_f32_f16_e32 v19, v6
	v_cvt_f32_f16_e32 v18, v35
	v_dual_lshrrev_b32 v34, 16, v34 :: v_dual_bitop2_b32 v6, v34, v33 bitop3:0x54
	v_lshrrev_b32_e32 v33, 16, v36
	v_cvt_f32_f16_e32 v23, v1
	s_delay_alu instid0(VALU_DEP_3) | instskip(NEXT) | instid1(VALU_DEP_4)
	v_cvt_f32_f16_e32 v36, v6
	v_cvt_f32_f16_e32 v34, v34
	s_wait_loadcnt_dscnt 0x0
	v_pk_mul_f32 v[18:19], v[32:33], v[18:19] op_sel_hi:[0,1]
	v_cvt_f32_f16_e32 v35, v33
	s_delay_alu instid0(VALU_DEP_2) | instskip(NEXT) | instid1(VALU_DEP_2)
	v_cvt_pk_f16_f32 v1, v18, v19
	v_pk_mul_f32 v[18:19], v[32:33], v[34:35] op_sel_hi:[0,1]
	s_delay_alu instid0(VALU_DEP_2) | instskip(SKIP_2) | instid1(VALU_DEP_4)
	v_lshlrev_b32_e32 v34, 16, v1
	v_cvt_f32_f16_e32 v22, v22
	v_and_b32_e32 v35, 0xffff0000, v1
	v_cvt_pk_f16_f32 v18, v18, v19
	s_delay_alu instid0(VALU_DEP_3) | instskip(NEXT) | instid1(VALU_DEP_2)
	v_pk_mul_f32 v[22:23], v[32:33], v[22:23] op_sel_hi:[0,1]
	v_and_b32_e32 v19, 0xffff0000, v18
	s_delay_alu instid0(VALU_DEP_2) | instskip(NEXT) | instid1(VALU_DEP_1)
	v_cvt_pk_f16_f32 v6, v22, v23
	v_lshrrev_b32_e32 v49, 16, v6
	v_cvt_f32_f16_e32 v37, v37
	v_and_b32_e32 v48, 0xffff, v6
	s_delay_alu instid0(VALU_DEP_3) | instskip(NEXT) | instid1(VALU_DEP_3)
	v_or_b32_e32 v39, v35, v49
	v_pk_mul_f32 v[32:33], v[32:33], v[36:37] op_sel_hi:[0,1]
	s_delay_alu instid0(VALU_DEP_3) | instskip(NEXT) | instid1(VALU_DEP_2)
	v_or_b32_e32 v38, v34, v48
	v_cvt_pk_f16_f32 v1, v32, v33
	s_delay_alu instid0(VALU_DEP_1) | instskip(SKIP_1) | instid1(VALU_DEP_2)
	v_dual_lshlrev_b32 v6, 16, v18 :: v_dual_lshrrev_b32 v33, 16, v1
	v_and_b32_e32 v32, 0xffff, v1
	v_or_b32_e32 v37, v19, v33
	s_delay_alu instid0(VALU_DEP_2)
	v_or_b32_e32 v36, v6, v32
	s_and_saveexec_b32 s15, vcc_lo
	s_cbranch_execz .LBB298_1590
; %bb.1589:                             ;   in Loop: Header=BB298_1062 Depth=1
	v_cmp_lt_i32_e64 s0, v54, v13
	s_delay_alu instid0(VALU_DEP_1) | instskip(SKIP_1) | instid1(VALU_DEP_1)
	v_cndmask_b32_e64 v1, 0, v49, s0
	v_cmp_lt_i32_e64 s0, v70, v58
	v_cndmask_b32_e64 v18, 0, v48, s0
	v_cmp_lt_i32_e64 s0, v69, v13
	s_delay_alu instid0(VALU_DEP_1) | instskip(SKIP_1) | instid1(VALU_DEP_1)
	v_cndmask_b32_e64 v22, 0, v35, s0
	v_cmp_lt_i32_e64 s0, v68, v58
	v_cndmask_b32_e64 v23, 0, v34, s0
	v_cmp_lt_i32_e64 s0, v67, v13
	s_delay_alu instid0(VALU_DEP_4) | instskip(NEXT) | instid1(VALU_DEP_2)
	v_or_b32_e32 v39, v1, v22
	v_dual_cndmask_b32 v33, 0, v33, s0 :: v_dual_bitop2_b32 v38, v18, v23 bitop3:0x54
	v_cmp_lt_i32_e64 s0, v66, v58
	s_delay_alu instid0(VALU_DEP_1) | instskip(SKIP_1) | instid1(VALU_DEP_1)
	v_cndmask_b32_e64 v32, 0, v32, s0
	v_cmp_lt_i32_e64 s0, v65, v13
	v_cndmask_b32_e64 v19, 0, v19, s0
	v_cmp_lt_i32_e64 s0, v0, v58
	s_delay_alu instid0(VALU_DEP_1) | instskip(NEXT) | instid1(VALU_DEP_1)
	v_dual_cndmask_b32 v6, 0, v6, s0 :: v_dual_bitop2_b32 v37, v33, v19 bitop3:0x54
	v_or_b32_e32 v36, v32, v6
.LBB298_1590:                           ;   in Loop: Header=BB298_1062 Depth=1
	s_or_b32 exec_lo, exec_lo, s15
	;;#ASMSTART
	v_pk_mul_f16 v1, v82, v39;

	;;#ASMEND
	;;#ASMSTART
	v_pk_mul_f16 v6, v81, v38;

	;;#ASMEND
	;; [unrolled: 4-line block ×4, first 2 shown]
	;;#ASMSTART
	v_pk_add_f16 v1, v1, v6;

	;;#ASMEND
	;;#ASMSTART
	v_pk_add_f16 v1, v1, v18;

	;;#ASMEND
	;; [unrolled: 4-line block ×3, first 2 shown]
	v_and_b32_e32 v6, 0xffff, v1
	v_lshrrev_b32_e32 v1, 16, v1
	;;#ASMSTART
	v_cvt_f32_f16 v113, v6;
	;;#ASMEND
	;;#ASMSTART
	v_cvt_f32_f16 v114, v1;
	;;#ASMEND
	flat_load_b64 v[34:35], v[14:15] offset:2048
	scratch_load_b64 v[18:19], off, s32 offset:192 ; 8-byte Folded Reload
	v_mov_b32_e32 v1, 0
	s_mov_b32 s15, exec_lo
	s_wait_loadcnt_dscnt 0x100
	v_and_b32_e32 v6, 0xff, v34
	s_wait_loadcnt 0x0
	flat_load_b32 v32, v[18:19]
	s_wait_xcnt 0x0
	v_mov_b32_e32 v18, 0
	v_cmpx_ne_u16_e32 0, v6
	s_cbranch_execz .LBB298_1598
; %bb.1591:                             ;   in Loop: Header=BB298_1062 Depth=1
	v_mov_b32_e32 v18, 0x8000
	s_mov_b32 s16, exec_lo
	v_cmpx_ne_u16_e32 0x80, v6
	s_cbranch_execz .LBB298_1597
; %bb.1592:                             ;   in Loop: Header=BB298_1062 Depth=1
	v_and_b32_e32 v19, 0x7f, v34
	v_mov_b32_e32 v18, 0x7c01
	s_mov_b32 s17, exec_lo
	s_delay_alu instid0(VALU_DEP_2)
	v_cmpx_ne_u32_e32 0x7f, v19
	s_cbranch_execz .LBB298_1596
; %bb.1593:                             ;   in Loop: Header=BB298_1062 Depth=1
	v_dual_lshrrev_b32 v18, 3, v19 :: v_dual_bitop2_b32 v6, 7, v34 bitop3:0x40
	s_mov_b32 s18, exec_lo
	v_cmpx_gt_u32_e32 8, v19
; %bb.1594:                             ;   in Loop: Header=BB298_1062 Depth=1
	s_delay_alu instid0(VALU_DEP_2) | instskip(NEXT) | instid1(VALU_DEP_1)
	v_clz_i32_u32_e32 v6, v6
	v_min_u32_e32 v6, 32, v6
	s_delay_alu instid0(VALU_DEP_1) | instskip(NEXT) | instid1(VALU_DEP_1)
	v_subrev_nc_u32_e32 v18, 28, v6
	v_lshlrev_b64_e32 v[22:23], v18, v[34:35]
	v_sub_nc_u32_e32 v18, 29, v6
	s_delay_alu instid0(VALU_DEP_2)
	v_and_b32_e32 v6, 7, v22
; %bb.1595:                             ;   in Loop: Header=BB298_1062 Depth=1
	s_or_b32 exec_lo, exec_lo, s18
	v_lshlrev_b32_e32 v19, 8, v34
	s_delay_alu instid0(VALU_DEP_3) | instskip(NEXT) | instid1(VALU_DEP_3)
	v_lshl_add_u32 v18, v18, 10, 0x2000
	v_lshlrev_b32_e32 v6, 7, v6
	s_delay_alu instid0(VALU_DEP_3) | instskip(NEXT) | instid1(VALU_DEP_3)
	v_and_b32_e32 v19, 0x8000, v19
	v_and_b32_e32 v18, 0xfc00, v18
	s_delay_alu instid0(VALU_DEP_1)
	v_or3_b32 v18, v19, v18, v6
.LBB298_1596:                           ;   in Loop: Header=BB298_1062 Depth=1
	s_or_b32 exec_lo, exec_lo, s17
.LBB298_1597:                           ;   in Loop: Header=BB298_1062 Depth=1
	s_delay_alu instid0(SALU_CYCLE_1)
	s_or_b32 exec_lo, exec_lo, s16
.LBB298_1598:                           ;   in Loop: Header=BB298_1062 Depth=1
	s_delay_alu instid0(SALU_CYCLE_1) | instskip(SKIP_2) | instid1(VALU_DEP_1)
	s_or_b32 exec_lo, exec_lo, s15
	v_lshrrev_b16 v6, 8, v34
	s_mov_b32 s15, exec_lo
	v_cmpx_ne_u16_e32 0, v6
	s_cbranch_execz .LBB298_1606
; %bb.1599:                             ;   in Loop: Header=BB298_1062 Depth=1
	v_bfrev_b32_e32 v1, 1
	s_mov_b32 s16, exec_lo
	v_cmpx_ne_u16_e32 0x80, v6
	s_cbranch_execz .LBB298_1605
; %bb.1600:                             ;   in Loop: Header=BB298_1062 Depth=1
	v_and_b32_e32 v19, 0xffff, v6
	v_mov_b32_e32 v1, 0x7c010000
	s_mov_b32 s17, exec_lo
	s_delay_alu instid0(VALU_DEP_2) | instskip(NEXT) | instid1(VALU_DEP_1)
	v_and_b32_e32 v23, 0x7f, v19
	v_cmpx_ne_u32_e32 0x7f, v23
	s_cbranch_execz .LBB298_1604
; %bb.1601:                             ;   in Loop: Header=BB298_1062 Depth=1
	v_and_b32_e32 v1, 7, v19
	v_lshrrev_b32_e32 v22, 3, v23
	s_mov_b32 s18, exec_lo
	v_cmpx_gt_u32_e32 8, v23
; %bb.1602:                             ;   in Loop: Header=BB298_1062 Depth=1
	s_delay_alu instid0(VALU_DEP_3) | instskip(NEXT) | instid1(VALU_DEP_1)
	v_clz_i32_u32_e32 v1, v1
	v_min_u32_e32 v1, 32, v1
	s_delay_alu instid0(VALU_DEP_1) | instskip(NEXT) | instid1(VALU_DEP_1)
	v_subrev_nc_u32_e32 v22, 28, v1
	v_lshlrev_b64_e32 v[36:37], v22, v[6:7]
	s_delay_alu instid0(VALU_DEP_1)
	v_dual_sub_nc_u32 v22, 29, v1 :: v_dual_bitop2_b32 v1, 7, v36 bitop3:0x40
; %bb.1603:                             ;   in Loop: Header=BB298_1062 Depth=1
	s_or_b32 exec_lo, exec_lo, s18
	s_delay_alu instid0(VALU_DEP_1) | instskip(NEXT) | instid1(VALU_DEP_2)
	v_dual_lshlrev_b32 v6, 8, v19 :: v_dual_lshlrev_b32 v1, 23, v1
	v_lshl_add_u32 v19, v22, 10, 0x2000
	s_delay_alu instid0(VALU_DEP_1) | instskip(NEXT) | instid1(VALU_DEP_1)
	v_and_or_b32 v6, 0x8000, v6, v19
	v_lshl_or_b32 v1, v6, 16, v1
.LBB298_1604:                           ;   in Loop: Header=BB298_1062 Depth=1
	s_or_b32 exec_lo, exec_lo, s17
.LBB298_1605:                           ;   in Loop: Header=BB298_1062 Depth=1
	s_delay_alu instid0(SALU_CYCLE_1)
	s_or_b32 exec_lo, exec_lo, s16
.LBB298_1606:                           ;   in Loop: Header=BB298_1062 Depth=1
	s_delay_alu instid0(SALU_CYCLE_1) | instskip(SKIP_3) | instid1(VALU_DEP_2)
	s_or_b32 exec_lo, exec_lo, s15
	v_dual_mov_b32 v19, 0 :: v_dual_lshrrev_b32 v6, 16, v34
	v_mov_b32_e32 v22, 0
	s_mov_b32 s15, exec_lo
	v_and_b32_e32 v23, 0xff, v6
	s_delay_alu instid0(VALU_DEP_1)
	v_cmpx_ne_u16_e32 0, v23
	s_cbranch_execz .LBB298_1614
; %bb.1607:                             ;   in Loop: Header=BB298_1062 Depth=1
	v_mov_b32_e32 v22, 0x8000
	s_mov_b32 s16, exec_lo
	v_cmpx_ne_u16_e32 0x80, v23
	s_cbranch_execz .LBB298_1613
; %bb.1608:                             ;   in Loop: Header=BB298_1062 Depth=1
	v_bfe_u32 v33, v34, 16, 7
	v_mov_b32_e32 v22, 0x7c01
	s_mov_b32 s17, exec_lo
	s_delay_alu instid0(VALU_DEP_2)
	v_cmpx_ne_u32_e32 0x7f, v33
	s_cbranch_execz .LBB298_1612
; %bb.1609:                             ;   in Loop: Header=BB298_1062 Depth=1
	v_dual_lshrrev_b32 v23, 3, v33 :: v_dual_bitop2_b32 v22, 7, v6 bitop3:0x40
	s_mov_b32 s18, exec_lo
	v_cmpx_gt_u32_e32 8, v33
; %bb.1610:                             ;   in Loop: Header=BB298_1062 Depth=1
	s_delay_alu instid0(VALU_DEP_2) | instskip(NEXT) | instid1(VALU_DEP_1)
	v_clz_i32_u32_e32 v22, v22
	v_min_u32_e32 v33, 32, v22
	s_delay_alu instid0(VALU_DEP_1) | instskip(NEXT) | instid1(VALU_DEP_1)
	v_subrev_nc_u32_e32 v22, 28, v33
	v_lshlrev_b64_e32 v[22:23], v22, v[6:7]
	s_delay_alu instid0(VALU_DEP_1)
	v_dual_sub_nc_u32 v23, 29, v33 :: v_dual_bitop2_b32 v22, 7, v22 bitop3:0x40
; %bb.1611:                             ;   in Loop: Header=BB298_1062 Depth=1
	s_or_b32 exec_lo, exec_lo, s18
	v_lshlrev_b32_e32 v6, 8, v6
	s_delay_alu instid0(VALU_DEP_2) | instskip(NEXT) | instid1(VALU_DEP_3)
	v_lshl_add_u32 v23, v23, 10, 0x2000
	v_lshlrev_b32_e32 v22, 7, v22
	s_delay_alu instid0(VALU_DEP_3) | instskip(NEXT) | instid1(VALU_DEP_3)
	v_and_b32_e32 v6, 0x8000, v6
	v_and_b32_e32 v23, 0xfc00, v23
	s_delay_alu instid0(VALU_DEP_1)
	v_or3_b32 v22, v6, v23, v22
.LBB298_1612:                           ;   in Loop: Header=BB298_1062 Depth=1
	s_or_b32 exec_lo, exec_lo, s17
.LBB298_1613:                           ;   in Loop: Header=BB298_1062 Depth=1
	s_delay_alu instid0(SALU_CYCLE_1)
	s_or_b32 exec_lo, exec_lo, s16
.LBB298_1614:                           ;   in Loop: Header=BB298_1062 Depth=1
	s_delay_alu instid0(SALU_CYCLE_1) | instskip(NEXT) | instid1(SALU_CYCLE_1)
	s_or_b32 exec_lo, exec_lo, s15
	s_mov_b32 s15, exec_lo
	v_cmpx_lt_u32_e32 0xffffff, v34
	s_cbranch_execz .LBB298_1622
; %bb.1615:                             ;   in Loop: Header=BB298_1062 Depth=1
	v_lshrrev_b32_e32 v6, 24, v34
	v_bfrev_b32_e32 v19, 1
	s_mov_b32 s16, exec_lo
	s_delay_alu instid0(VALU_DEP_2)
	v_cmpx_ne_u32_e32 0x80, v6
	s_cbranch_execz .LBB298_1621
; %bb.1616:                             ;   in Loop: Header=BB298_1062 Depth=1
	v_and_b32_e32 v33, 0x7f, v6
	v_mov_b32_e32 v19, 0x7c010000
	s_mov_b32 s17, exec_lo
	s_delay_alu instid0(VALU_DEP_2)
	v_cmpx_ne_u32_e32 0x7f, v33
	s_cbranch_execz .LBB298_1620
; %bb.1617:                             ;   in Loop: Header=BB298_1062 Depth=1
	v_dual_lshrrev_b32 v23, 3, v33 :: v_dual_bitop2_b32 v19, 7, v6 bitop3:0x40
	s_mov_b32 s18, exec_lo
	v_cmpx_gt_u32_e32 8, v33
; %bb.1618:                             ;   in Loop: Header=BB298_1062 Depth=1
	s_delay_alu instid0(VALU_DEP_2) | instskip(NEXT) | instid1(VALU_DEP_1)
	v_clz_i32_u32_e32 v19, v19
	v_min_u32_e32 v19, 32, v19
	s_delay_alu instid0(VALU_DEP_1) | instskip(NEXT) | instid1(VALU_DEP_1)
	v_subrev_nc_u32_e32 v23, 28, v19
	v_lshlrev_b64_e32 v[36:37], v23, v[6:7]
	s_delay_alu instid0(VALU_DEP_1)
	v_dual_sub_nc_u32 v23, 29, v19 :: v_dual_bitop2_b32 v19, 7, v36 bitop3:0x40
; %bb.1619:                             ;   in Loop: Header=BB298_1062 Depth=1
	s_or_b32 exec_lo, exec_lo, s18
	s_delay_alu instid0(VALU_DEP_1) | instskip(NEXT) | instid1(VALU_DEP_2)
	v_dual_lshlrev_b32 v6, 8, v6 :: v_dual_lshlrev_b32 v19, 23, v19
	v_lshl_add_u32 v23, v23, 10, 0x2000
	s_delay_alu instid0(VALU_DEP_1) | instskip(NEXT) | instid1(VALU_DEP_1)
	v_and_or_b32 v6, 0x8000, v6, v23
	v_lshl_or_b32 v19, v6, 16, v19
.LBB298_1620:                           ;   in Loop: Header=BB298_1062 Depth=1
	s_or_b32 exec_lo, exec_lo, s17
.LBB298_1621:                           ;   in Loop: Header=BB298_1062 Depth=1
	s_delay_alu instid0(SALU_CYCLE_1)
	s_or_b32 exec_lo, exec_lo, s16
.LBB298_1622:                           ;   in Loop: Header=BB298_1062 Depth=1
	s_delay_alu instid0(SALU_CYCLE_1) | instskip(SKIP_4) | instid1(VALU_DEP_3)
	s_or_b32 exec_lo, exec_lo, s15
	v_and_b32_e32 v36, 0xff, v35
	v_dual_mov_b32 v6, v35 :: v_dual_mov_b32 v33, 0
	v_mov_b32_e32 v23, 0
	s_mov_b32 s15, exec_lo
	v_cmpx_ne_u16_e32 0, v36
	s_cbranch_execz .LBB298_1630
; %bb.1623:                             ;   in Loop: Header=BB298_1062 Depth=1
	v_mov_b32_e32 v23, 0x8000
	s_mov_b32 s16, exec_lo
	v_cmpx_ne_u16_e32 0x80, v36
	s_cbranch_execz .LBB298_1629
; %bb.1624:                             ;   in Loop: Header=BB298_1062 Depth=1
	v_and_b32_e32 v37, 0x7f, v35
	v_mov_b32_e32 v23, 0x7c01
	s_mov_b32 s17, exec_lo
	s_delay_alu instid0(VALU_DEP_2)
	v_cmpx_ne_u32_e32 0x7f, v37
	s_cbranch_execz .LBB298_1628
; %bb.1625:                             ;   in Loop: Header=BB298_1062 Depth=1
	v_dual_lshrrev_b32 v36, 3, v37 :: v_dual_bitop2_b32 v23, 7, v35 bitop3:0x40
	s_mov_b32 s18, exec_lo
	v_cmpx_gt_u32_e32 8, v37
; %bb.1626:                             ;   in Loop: Header=BB298_1062 Depth=1
	s_delay_alu instid0(VALU_DEP_2) | instskip(NEXT) | instid1(VALU_DEP_1)
	v_clz_i32_u32_e32 v23, v23
	v_min_u32_e32 v23, 32, v23
	s_delay_alu instid0(VALU_DEP_1) | instskip(NEXT) | instid1(VALU_DEP_1)
	v_subrev_nc_u32_e32 v36, 28, v23
	v_lshlrev_b64_e32 v[38:39], v36, v[6:7]
	s_delay_alu instid0(VALU_DEP_1)
	v_dual_sub_nc_u32 v36, 29, v23 :: v_dual_bitop2_b32 v23, 7, v38 bitop3:0x40
; %bb.1627:                             ;   in Loop: Header=BB298_1062 Depth=1
	s_or_b32 exec_lo, exec_lo, s18
	v_lshlrev_b32_e32 v37, 8, v35
	s_delay_alu instid0(VALU_DEP_2) | instskip(NEXT) | instid1(VALU_DEP_3)
	v_lshl_add_u32 v36, v36, 10, 0x2000
	v_lshlrev_b32_e32 v23, 7, v23
	s_delay_alu instid0(VALU_DEP_3) | instskip(NEXT) | instid1(VALU_DEP_3)
	v_and_b32_e32 v37, 0x8000, v37
	v_and_b32_e32 v36, 0xfc00, v36
	s_delay_alu instid0(VALU_DEP_1)
	v_or3_b32 v23, v37, v36, v23
.LBB298_1628:                           ;   in Loop: Header=BB298_1062 Depth=1
	s_or_b32 exec_lo, exec_lo, s17
.LBB298_1629:                           ;   in Loop: Header=BB298_1062 Depth=1
	s_delay_alu instid0(SALU_CYCLE_1)
	s_or_b32 exec_lo, exec_lo, s16
.LBB298_1630:                           ;   in Loop: Header=BB298_1062 Depth=1
	s_delay_alu instid0(SALU_CYCLE_1) | instskip(SKIP_3) | instid1(VALU_DEP_2)
	s_or_b32 exec_lo, exec_lo, s15
	v_lshrrev_b16 v6, 8, v6
	v_mov_b32_e32 v36, 0
	s_mov_b32 s15, exec_lo
	v_cmpx_ne_u16_e32 0, v6
	s_cbranch_execz .LBB298_1638
; %bb.1631:                             ;   in Loop: Header=BB298_1062 Depth=1
	v_bfrev_b32_e32 v36, 1
	s_mov_b32 s16, exec_lo
	v_cmpx_ne_u16_e32 0x80, v6
	s_cbranch_execz .LBB298_1637
; %bb.1632:                             ;   in Loop: Header=BB298_1062 Depth=1
	v_and_b32_e32 v37, 0xffff, v6
	v_mov_b32_e32 v36, 0x7c010000
	s_mov_b32 s17, exec_lo
	s_delay_alu instid0(VALU_DEP_2) | instskip(NEXT) | instid1(VALU_DEP_1)
	v_and_b32_e32 v39, 0x7f, v37
	v_cmpx_ne_u32_e32 0x7f, v39
	s_cbranch_execz .LBB298_1636
; %bb.1633:                             ;   in Loop: Header=BB298_1062 Depth=1
	v_dual_lshrrev_b32 v38, 3, v39 :: v_dual_bitop2_b32 v36, 7, v37 bitop3:0x40
	s_mov_b32 s18, exec_lo
	v_cmpx_gt_u32_e32 8, v39
; %bb.1634:                             ;   in Loop: Header=BB298_1062 Depth=1
	s_delay_alu instid0(VALU_DEP_2) | instskip(NEXT) | instid1(VALU_DEP_1)
	v_clz_i32_u32_e32 v36, v36
	v_min_u32_e32 v36, 32, v36
	s_delay_alu instid0(VALU_DEP_1) | instskip(NEXT) | instid1(VALU_DEP_1)
	v_subrev_nc_u32_e32 v38, 28, v36
	v_lshlrev_b64_e32 v[48:49], v38, v[6:7]
	v_sub_nc_u32_e32 v38, 29, v36
	s_delay_alu instid0(VALU_DEP_2)
	v_and_b32_e32 v36, 7, v48
; %bb.1635:                             ;   in Loop: Header=BB298_1062 Depth=1
	s_or_b32 exec_lo, exec_lo, s18
	s_delay_alu instid0(VALU_DEP_1) | instskip(NEXT) | instid1(VALU_DEP_3)
	v_dual_lshlrev_b32 v6, 8, v37 :: v_dual_lshlrev_b32 v36, 23, v36
	v_lshl_add_u32 v37, v38, 10, 0x2000
	s_delay_alu instid0(VALU_DEP_1) | instskip(NEXT) | instid1(VALU_DEP_1)
	v_and_or_b32 v6, 0x8000, v6, v37
	v_lshl_or_b32 v36, v6, 16, v36
.LBB298_1636:                           ;   in Loop: Header=BB298_1062 Depth=1
	s_or_b32 exec_lo, exec_lo, s17
.LBB298_1637:                           ;   in Loop: Header=BB298_1062 Depth=1
	s_delay_alu instid0(SALU_CYCLE_1)
	s_or_b32 exec_lo, exec_lo, s16
.LBB298_1638:                           ;   in Loop: Header=BB298_1062 Depth=1
	s_delay_alu instid0(SALU_CYCLE_1) | instskip(SKIP_2) | instid1(VALU_DEP_1)
	s_or_b32 exec_lo, exec_lo, s15
	v_lshrrev_b32_e32 v6, 16, v35
	s_mov_b32 s15, exec_lo
	v_and_b32_e32 v37, 0xff, v6
	s_delay_alu instid0(VALU_DEP_1)
	v_cmpx_ne_u16_e32 0, v37
	s_cbranch_execz .LBB298_1646
; %bb.1639:                             ;   in Loop: Header=BB298_1062 Depth=1
	v_mov_b32_e32 v33, 0x8000
	s_mov_b32 s16, exec_lo
	v_cmpx_ne_u16_e32 0x80, v37
	s_cbranch_execz .LBB298_1645
; %bb.1640:                             ;   in Loop: Header=BB298_1062 Depth=1
	v_bfe_u32 v38, v35, 16, 7
	v_mov_b32_e32 v33, 0x7c01
	s_mov_b32 s17, exec_lo
	s_delay_alu instid0(VALU_DEP_2)
	v_cmpx_ne_u32_e32 0x7f, v38
	s_cbranch_execz .LBB298_1644
; %bb.1641:                             ;   in Loop: Header=BB298_1062 Depth=1
	v_and_b32_e32 v33, 7, v6
	v_lshrrev_b32_e32 v37, 3, v38
	s_mov_b32 s18, exec_lo
	v_cmpx_gt_u32_e32 8, v38
; %bb.1642:                             ;   in Loop: Header=BB298_1062 Depth=1
	s_delay_alu instid0(VALU_DEP_3) | instskip(NEXT) | instid1(VALU_DEP_1)
	v_clz_i32_u32_e32 v33, v33
	v_min_u32_e32 v33, 32, v33
	s_delay_alu instid0(VALU_DEP_1) | instskip(NEXT) | instid1(VALU_DEP_1)
	v_subrev_nc_u32_e32 v37, 28, v33
	v_lshlrev_b64_e32 v[38:39], v37, v[6:7]
	s_delay_alu instid0(VALU_DEP_1)
	v_dual_sub_nc_u32 v37, 29, v33 :: v_dual_bitop2_b32 v33, 7, v38 bitop3:0x40
; %bb.1643:                             ;   in Loop: Header=BB298_1062 Depth=1
	s_or_b32 exec_lo, exec_lo, s18
	s_delay_alu instid0(VALU_DEP_1) | instskip(NEXT) | instid1(VALU_DEP_2)
	v_dual_lshlrev_b32 v6, 8, v6 :: v_dual_lshlrev_b32 v33, 7, v33
	v_lshl_add_u32 v37, v37, 10, 0x2000
	s_delay_alu instid0(VALU_DEP_2) | instskip(NEXT) | instid1(VALU_DEP_2)
	v_and_b32_e32 v6, 0x8000, v6
	v_and_b32_e32 v37, 0xfc00, v37
	s_delay_alu instid0(VALU_DEP_1)
	v_or3_b32 v33, v6, v37, v33
.LBB298_1644:                           ;   in Loop: Header=BB298_1062 Depth=1
	s_or_b32 exec_lo, exec_lo, s17
.LBB298_1645:                           ;   in Loop: Header=BB298_1062 Depth=1
	s_delay_alu instid0(SALU_CYCLE_1)
	s_or_b32 exec_lo, exec_lo, s16
.LBB298_1646:                           ;   in Loop: Header=BB298_1062 Depth=1
	s_delay_alu instid0(SALU_CYCLE_1)
	s_or_b32 exec_lo, exec_lo, s15
	v_cmp_lt_u64_e64 s0, s[2:3], v[34:35]
	v_mov_b32_e32 v34, 0
	s_and_saveexec_b32 s15, s0
	s_cbranch_execz .LBB298_1654
; %bb.1647:                             ;   in Loop: Header=BB298_1062 Depth=1
	v_lshrrev_b32_e32 v6, 24, v35
	v_bfrev_b32_e32 v34, 1
	s_mov_b32 s16, exec_lo
	s_delay_alu instid0(VALU_DEP_2)
	v_cmpx_ne_u32_e32 0x80, v6
	s_cbranch_execz .LBB298_1653
; %bb.1648:                             ;   in Loop: Header=BB298_1062 Depth=1
	v_and_b32_e32 v37, 0x7f, v6
	v_mov_b32_e32 v34, 0x7c010000
	s_mov_b32 s17, exec_lo
	s_delay_alu instid0(VALU_DEP_2)
	v_cmpx_ne_u32_e32 0x7f, v37
	s_cbranch_execz .LBB298_1652
; %bb.1649:                             ;   in Loop: Header=BB298_1062 Depth=1
	v_dual_lshrrev_b32 v35, 3, v37 :: v_dual_bitop2_b32 v34, 7, v6 bitop3:0x40
	s_mov_b32 s18, exec_lo
	v_cmpx_gt_u32_e32 8, v37
; %bb.1650:                             ;   in Loop: Header=BB298_1062 Depth=1
	s_delay_alu instid0(VALU_DEP_2) | instskip(NEXT) | instid1(VALU_DEP_1)
	v_clz_i32_u32_e32 v34, v34
	v_min_u32_e32 v37, 32, v34
	s_delay_alu instid0(VALU_DEP_1) | instskip(NEXT) | instid1(VALU_DEP_1)
	v_subrev_nc_u32_e32 v34, 28, v37
	v_lshlrev_b64_e32 v[34:35], v34, v[6:7]
	s_delay_alu instid0(VALU_DEP_1)
	v_dual_sub_nc_u32 v35, 29, v37 :: v_dual_bitop2_b32 v34, 7, v34 bitop3:0x40
; %bb.1651:                             ;   in Loop: Header=BB298_1062 Depth=1
	s_or_b32 exec_lo, exec_lo, s18
	v_lshlrev_b32_e32 v6, 8, v6
	s_delay_alu instid0(VALU_DEP_2) | instskip(NEXT) | instid1(VALU_DEP_3)
	v_lshl_add_u32 v35, v35, 10, 0x2000
	v_lshlrev_b32_e32 v34, 23, v34
	s_delay_alu instid0(VALU_DEP_2) | instskip(NEXT) | instid1(VALU_DEP_1)
	v_and_or_b32 v6, 0x8000, v6, v35
	v_lshl_or_b32 v34, v6, 16, v34
.LBB298_1652:                           ;   in Loop: Header=BB298_1062 Depth=1
	s_or_b32 exec_lo, exec_lo, s17
.LBB298_1653:                           ;   in Loop: Header=BB298_1062 Depth=1
	s_delay_alu instid0(SALU_CYCLE_1)
	s_or_b32 exec_lo, exec_lo, s16
.LBB298_1654:                           ;   in Loop: Header=BB298_1062 Depth=1
	s_delay_alu instid0(SALU_CYCLE_1) | instskip(SKIP_4) | instid1(VALU_DEP_4)
	s_or_b32 exec_lo, exec_lo, s15
	v_dual_lshrrev_b32 v6, 16, v1 :: v_dual_lshrrev_b32 v35, 16, v19
	v_or_b32_e32 v1, v1, v18
	v_or_b32_e32 v22, v19, v22
	;; [unrolled: 1-line block ×3, first 2 shown]
	v_cvt_f32_f16_e32 v19, v6
	v_cvt_f32_f16_e32 v18, v35
	v_dual_lshrrev_b32 v34, 16, v34 :: v_dual_bitop2_b32 v6, v34, v33 bitop3:0x54
	v_lshrrev_b32_e32 v33, 16, v36
	v_cvt_f32_f16_e32 v23, v1
	s_delay_alu instid0(VALU_DEP_3) | instskip(NEXT) | instid1(VALU_DEP_4)
	v_cvt_f32_f16_e32 v36, v6
	v_cvt_f32_f16_e32 v34, v34
	s_wait_loadcnt_dscnt 0x0
	v_pk_mul_f32 v[18:19], v[32:33], v[18:19] op_sel_hi:[0,1]
	v_cvt_f32_f16_e32 v35, v33
	s_delay_alu instid0(VALU_DEP_2) | instskip(NEXT) | instid1(VALU_DEP_2)
	v_cvt_pk_f16_f32 v1, v18, v19
	v_pk_mul_f32 v[18:19], v[32:33], v[34:35] op_sel_hi:[0,1]
	s_delay_alu instid0(VALU_DEP_2) | instskip(SKIP_2) | instid1(VALU_DEP_4)
	v_lshlrev_b32_e32 v34, 16, v1
	v_cvt_f32_f16_e32 v22, v22
	v_and_b32_e32 v35, 0xffff0000, v1
	v_cvt_pk_f16_f32 v18, v18, v19
	s_delay_alu instid0(VALU_DEP_3) | instskip(NEXT) | instid1(VALU_DEP_2)
	v_pk_mul_f32 v[22:23], v[32:33], v[22:23] op_sel_hi:[0,1]
	v_and_b32_e32 v19, 0xffff0000, v18
	s_delay_alu instid0(VALU_DEP_2) | instskip(NEXT) | instid1(VALU_DEP_1)
	v_cvt_pk_f16_f32 v6, v22, v23
	v_lshrrev_b32_e32 v49, 16, v6
	v_cvt_f32_f16_e32 v37, v37
	v_and_b32_e32 v48, 0xffff, v6
	s_delay_alu instid0(VALU_DEP_3) | instskip(NEXT) | instid1(VALU_DEP_3)
	v_or_b32_e32 v39, v35, v49
	v_pk_mul_f32 v[32:33], v[32:33], v[36:37] op_sel_hi:[0,1]
	s_delay_alu instid0(VALU_DEP_3) | instskip(NEXT) | instid1(VALU_DEP_2)
	v_or_b32_e32 v38, v34, v48
	v_cvt_pk_f16_f32 v1, v32, v33
	s_delay_alu instid0(VALU_DEP_1) | instskip(SKIP_1) | instid1(VALU_DEP_2)
	v_dual_lshlrev_b32 v6, 16, v18 :: v_dual_lshrrev_b32 v33, 16, v1
	v_and_b32_e32 v32, 0xffff, v1
	v_or_b32_e32 v37, v19, v33
	s_delay_alu instid0(VALU_DEP_2)
	v_or_b32_e32 v36, v6, v32
	s_and_saveexec_b32 s15, vcc_lo
	s_cbranch_execz .LBB298_1656
; %bb.1655:                             ;   in Loop: Header=BB298_1062 Depth=1
	v_cmp_lt_i32_e64 s0, v54, v13
	s_delay_alu instid0(VALU_DEP_1) | instskip(SKIP_1) | instid1(VALU_DEP_1)
	v_cndmask_b32_e64 v1, 0, v49, s0
	v_cmp_lt_i32_e64 s0, v70, v58
	v_cndmask_b32_e64 v18, 0, v48, s0
	v_cmp_lt_i32_e64 s0, v69, v13
	s_delay_alu instid0(VALU_DEP_1) | instskip(SKIP_1) | instid1(VALU_DEP_1)
	v_cndmask_b32_e64 v22, 0, v35, s0
	v_cmp_lt_i32_e64 s0, v68, v58
	v_cndmask_b32_e64 v23, 0, v34, s0
	v_cmp_lt_i32_e64 s0, v67, v13
	s_delay_alu instid0(VALU_DEP_4) | instskip(NEXT) | instid1(VALU_DEP_2)
	v_or_b32_e32 v39, v1, v22
	v_dual_cndmask_b32 v33, 0, v33, s0 :: v_dual_bitop2_b32 v38, v18, v23 bitop3:0x54
	v_cmp_lt_i32_e64 s0, v66, v58
	s_delay_alu instid0(VALU_DEP_1) | instskip(SKIP_1) | instid1(VALU_DEP_1)
	v_cndmask_b32_e64 v32, 0, v32, s0
	v_cmp_lt_i32_e64 s0, v65, v13
	v_cndmask_b32_e64 v19, 0, v19, s0
	v_cmp_lt_i32_e64 s0, v0, v58
	s_delay_alu instid0(VALU_DEP_1) | instskip(NEXT) | instid1(VALU_DEP_1)
	v_dual_cndmask_b32 v6, 0, v6, s0 :: v_dual_bitop2_b32 v37, v33, v19 bitop3:0x54
	v_or_b32_e32 v36, v32, v6
.LBB298_1656:                           ;   in Loop: Header=BB298_1062 Depth=1
	s_or_b32 exec_lo, exec_lo, s15
	;;#ASMSTART
	v_pk_mul_f16 v1, v82, v39;

	;;#ASMEND
	;;#ASMSTART
	v_pk_mul_f16 v6, v81, v38;

	;;#ASMEND
	;; [unrolled: 4-line block ×4, first 2 shown]
	;;#ASMSTART
	v_pk_add_f16 v1, v1, v6;

	;;#ASMEND
	;;#ASMSTART
	v_pk_add_f16 v1, v1, v18;

	;;#ASMEND
	;; [unrolled: 4-line block ×3, first 2 shown]
	v_and_b32_e32 v6, 0xffff, v1
	v_lshrrev_b32_e32 v1, 16, v1
	;;#ASMSTART
	v_cvt_f32_f16 v115, v6;
	;;#ASMEND
	;;#ASMSTART
	v_cvt_f32_f16 v116, v1;
	;;#ASMEND
	flat_load_b64 v[34:35], v[14:15] offset:2304
	scratch_load_b64 v[18:19], off, s32 offset:192 ; 8-byte Folded Reload
	v_mov_b32_e32 v1, 0
	s_mov_b32 s15, exec_lo
	s_wait_loadcnt_dscnt 0x100
	v_and_b32_e32 v6, 0xff, v34
	s_wait_loadcnt 0x0
	flat_load_b32 v32, v[18:19]
	s_wait_xcnt 0x0
	v_mov_b32_e32 v18, 0
	v_cmpx_ne_u16_e32 0, v6
	s_cbranch_execz .LBB298_1664
; %bb.1657:                             ;   in Loop: Header=BB298_1062 Depth=1
	v_mov_b32_e32 v18, 0x8000
	s_mov_b32 s16, exec_lo
	v_cmpx_ne_u16_e32 0x80, v6
	s_cbranch_execz .LBB298_1663
; %bb.1658:                             ;   in Loop: Header=BB298_1062 Depth=1
	v_and_b32_e32 v19, 0x7f, v34
	v_mov_b32_e32 v18, 0x7c01
	s_mov_b32 s17, exec_lo
	s_delay_alu instid0(VALU_DEP_2)
	v_cmpx_ne_u32_e32 0x7f, v19
	s_cbranch_execz .LBB298_1662
; %bb.1659:                             ;   in Loop: Header=BB298_1062 Depth=1
	v_dual_lshrrev_b32 v18, 3, v19 :: v_dual_bitop2_b32 v6, 7, v34 bitop3:0x40
	s_mov_b32 s18, exec_lo
	v_cmpx_gt_u32_e32 8, v19
; %bb.1660:                             ;   in Loop: Header=BB298_1062 Depth=1
	s_delay_alu instid0(VALU_DEP_2) | instskip(NEXT) | instid1(VALU_DEP_1)
	v_clz_i32_u32_e32 v6, v6
	v_min_u32_e32 v6, 32, v6
	s_delay_alu instid0(VALU_DEP_1) | instskip(NEXT) | instid1(VALU_DEP_1)
	v_subrev_nc_u32_e32 v18, 28, v6
	v_lshlrev_b64_e32 v[22:23], v18, v[34:35]
	v_sub_nc_u32_e32 v18, 29, v6
	s_delay_alu instid0(VALU_DEP_2)
	v_and_b32_e32 v6, 7, v22
; %bb.1661:                             ;   in Loop: Header=BB298_1062 Depth=1
	s_or_b32 exec_lo, exec_lo, s18
	v_lshlrev_b32_e32 v19, 8, v34
	s_delay_alu instid0(VALU_DEP_3) | instskip(NEXT) | instid1(VALU_DEP_3)
	v_lshl_add_u32 v18, v18, 10, 0x2000
	v_lshlrev_b32_e32 v6, 7, v6
	s_delay_alu instid0(VALU_DEP_3) | instskip(NEXT) | instid1(VALU_DEP_3)
	v_and_b32_e32 v19, 0x8000, v19
	v_and_b32_e32 v18, 0xfc00, v18
	s_delay_alu instid0(VALU_DEP_1)
	v_or3_b32 v18, v19, v18, v6
.LBB298_1662:                           ;   in Loop: Header=BB298_1062 Depth=1
	s_or_b32 exec_lo, exec_lo, s17
.LBB298_1663:                           ;   in Loop: Header=BB298_1062 Depth=1
	s_delay_alu instid0(SALU_CYCLE_1)
	s_or_b32 exec_lo, exec_lo, s16
.LBB298_1664:                           ;   in Loop: Header=BB298_1062 Depth=1
	s_delay_alu instid0(SALU_CYCLE_1) | instskip(SKIP_2) | instid1(VALU_DEP_1)
	s_or_b32 exec_lo, exec_lo, s15
	v_lshrrev_b16 v6, 8, v34
	s_mov_b32 s15, exec_lo
	v_cmpx_ne_u16_e32 0, v6
	s_cbranch_execz .LBB298_1672
; %bb.1665:                             ;   in Loop: Header=BB298_1062 Depth=1
	v_bfrev_b32_e32 v1, 1
	s_mov_b32 s16, exec_lo
	v_cmpx_ne_u16_e32 0x80, v6
	s_cbranch_execz .LBB298_1671
; %bb.1666:                             ;   in Loop: Header=BB298_1062 Depth=1
	v_and_b32_e32 v19, 0xffff, v6
	v_mov_b32_e32 v1, 0x7c010000
	s_mov_b32 s17, exec_lo
	s_delay_alu instid0(VALU_DEP_2) | instskip(NEXT) | instid1(VALU_DEP_1)
	v_and_b32_e32 v23, 0x7f, v19
	v_cmpx_ne_u32_e32 0x7f, v23
	s_cbranch_execz .LBB298_1670
; %bb.1667:                             ;   in Loop: Header=BB298_1062 Depth=1
	v_and_b32_e32 v1, 7, v19
	v_lshrrev_b32_e32 v22, 3, v23
	s_mov_b32 s18, exec_lo
	v_cmpx_gt_u32_e32 8, v23
; %bb.1668:                             ;   in Loop: Header=BB298_1062 Depth=1
	s_delay_alu instid0(VALU_DEP_3) | instskip(NEXT) | instid1(VALU_DEP_1)
	v_clz_i32_u32_e32 v1, v1
	v_min_u32_e32 v1, 32, v1
	s_delay_alu instid0(VALU_DEP_1) | instskip(NEXT) | instid1(VALU_DEP_1)
	v_subrev_nc_u32_e32 v22, 28, v1
	v_lshlrev_b64_e32 v[36:37], v22, v[6:7]
	s_delay_alu instid0(VALU_DEP_1)
	v_dual_sub_nc_u32 v22, 29, v1 :: v_dual_bitop2_b32 v1, 7, v36 bitop3:0x40
; %bb.1669:                             ;   in Loop: Header=BB298_1062 Depth=1
	s_or_b32 exec_lo, exec_lo, s18
	s_delay_alu instid0(VALU_DEP_1) | instskip(NEXT) | instid1(VALU_DEP_2)
	v_dual_lshlrev_b32 v6, 8, v19 :: v_dual_lshlrev_b32 v1, 23, v1
	v_lshl_add_u32 v19, v22, 10, 0x2000
	s_delay_alu instid0(VALU_DEP_1) | instskip(NEXT) | instid1(VALU_DEP_1)
	v_and_or_b32 v6, 0x8000, v6, v19
	v_lshl_or_b32 v1, v6, 16, v1
.LBB298_1670:                           ;   in Loop: Header=BB298_1062 Depth=1
	s_or_b32 exec_lo, exec_lo, s17
.LBB298_1671:                           ;   in Loop: Header=BB298_1062 Depth=1
	s_delay_alu instid0(SALU_CYCLE_1)
	s_or_b32 exec_lo, exec_lo, s16
.LBB298_1672:                           ;   in Loop: Header=BB298_1062 Depth=1
	s_delay_alu instid0(SALU_CYCLE_1) | instskip(SKIP_3) | instid1(VALU_DEP_2)
	s_or_b32 exec_lo, exec_lo, s15
	v_dual_mov_b32 v19, 0 :: v_dual_lshrrev_b32 v6, 16, v34
	v_mov_b32_e32 v22, 0
	s_mov_b32 s15, exec_lo
	v_and_b32_e32 v23, 0xff, v6
	s_delay_alu instid0(VALU_DEP_1)
	v_cmpx_ne_u16_e32 0, v23
	s_cbranch_execz .LBB298_1680
; %bb.1673:                             ;   in Loop: Header=BB298_1062 Depth=1
	v_mov_b32_e32 v22, 0x8000
	s_mov_b32 s16, exec_lo
	v_cmpx_ne_u16_e32 0x80, v23
	s_cbranch_execz .LBB298_1679
; %bb.1674:                             ;   in Loop: Header=BB298_1062 Depth=1
	v_bfe_u32 v33, v34, 16, 7
	v_mov_b32_e32 v22, 0x7c01
	s_mov_b32 s17, exec_lo
	s_delay_alu instid0(VALU_DEP_2)
	v_cmpx_ne_u32_e32 0x7f, v33
	s_cbranch_execz .LBB298_1678
; %bb.1675:                             ;   in Loop: Header=BB298_1062 Depth=1
	v_dual_lshrrev_b32 v23, 3, v33 :: v_dual_bitop2_b32 v22, 7, v6 bitop3:0x40
	s_mov_b32 s18, exec_lo
	v_cmpx_gt_u32_e32 8, v33
; %bb.1676:                             ;   in Loop: Header=BB298_1062 Depth=1
	s_delay_alu instid0(VALU_DEP_2) | instskip(NEXT) | instid1(VALU_DEP_1)
	v_clz_i32_u32_e32 v22, v22
	v_min_u32_e32 v33, 32, v22
	s_delay_alu instid0(VALU_DEP_1) | instskip(NEXT) | instid1(VALU_DEP_1)
	v_subrev_nc_u32_e32 v22, 28, v33
	v_lshlrev_b64_e32 v[22:23], v22, v[6:7]
	s_delay_alu instid0(VALU_DEP_1)
	v_dual_sub_nc_u32 v23, 29, v33 :: v_dual_bitop2_b32 v22, 7, v22 bitop3:0x40
; %bb.1677:                             ;   in Loop: Header=BB298_1062 Depth=1
	s_or_b32 exec_lo, exec_lo, s18
	v_lshlrev_b32_e32 v6, 8, v6
	s_delay_alu instid0(VALU_DEP_2) | instskip(NEXT) | instid1(VALU_DEP_3)
	v_lshl_add_u32 v23, v23, 10, 0x2000
	v_lshlrev_b32_e32 v22, 7, v22
	s_delay_alu instid0(VALU_DEP_3) | instskip(NEXT) | instid1(VALU_DEP_3)
	v_and_b32_e32 v6, 0x8000, v6
	v_and_b32_e32 v23, 0xfc00, v23
	s_delay_alu instid0(VALU_DEP_1)
	v_or3_b32 v22, v6, v23, v22
.LBB298_1678:                           ;   in Loop: Header=BB298_1062 Depth=1
	s_or_b32 exec_lo, exec_lo, s17
.LBB298_1679:                           ;   in Loop: Header=BB298_1062 Depth=1
	s_delay_alu instid0(SALU_CYCLE_1)
	s_or_b32 exec_lo, exec_lo, s16
.LBB298_1680:                           ;   in Loop: Header=BB298_1062 Depth=1
	s_delay_alu instid0(SALU_CYCLE_1) | instskip(NEXT) | instid1(SALU_CYCLE_1)
	s_or_b32 exec_lo, exec_lo, s15
	s_mov_b32 s15, exec_lo
	v_cmpx_lt_u32_e32 0xffffff, v34
	s_cbranch_execz .LBB298_1688
; %bb.1681:                             ;   in Loop: Header=BB298_1062 Depth=1
	v_lshrrev_b32_e32 v6, 24, v34
	v_bfrev_b32_e32 v19, 1
	s_mov_b32 s16, exec_lo
	s_delay_alu instid0(VALU_DEP_2)
	v_cmpx_ne_u32_e32 0x80, v6
	s_cbranch_execz .LBB298_1687
; %bb.1682:                             ;   in Loop: Header=BB298_1062 Depth=1
	v_and_b32_e32 v33, 0x7f, v6
	v_mov_b32_e32 v19, 0x7c010000
	s_mov_b32 s17, exec_lo
	s_delay_alu instid0(VALU_DEP_2)
	v_cmpx_ne_u32_e32 0x7f, v33
	s_cbranch_execz .LBB298_1686
; %bb.1683:                             ;   in Loop: Header=BB298_1062 Depth=1
	v_dual_lshrrev_b32 v23, 3, v33 :: v_dual_bitop2_b32 v19, 7, v6 bitop3:0x40
	s_mov_b32 s18, exec_lo
	v_cmpx_gt_u32_e32 8, v33
; %bb.1684:                             ;   in Loop: Header=BB298_1062 Depth=1
	s_delay_alu instid0(VALU_DEP_2) | instskip(NEXT) | instid1(VALU_DEP_1)
	v_clz_i32_u32_e32 v19, v19
	v_min_u32_e32 v19, 32, v19
	s_delay_alu instid0(VALU_DEP_1) | instskip(NEXT) | instid1(VALU_DEP_1)
	v_subrev_nc_u32_e32 v23, 28, v19
	v_lshlrev_b64_e32 v[36:37], v23, v[6:7]
	s_delay_alu instid0(VALU_DEP_1)
	v_dual_sub_nc_u32 v23, 29, v19 :: v_dual_bitop2_b32 v19, 7, v36 bitop3:0x40
; %bb.1685:                             ;   in Loop: Header=BB298_1062 Depth=1
	s_or_b32 exec_lo, exec_lo, s18
	s_delay_alu instid0(VALU_DEP_1) | instskip(NEXT) | instid1(VALU_DEP_2)
	v_dual_lshlrev_b32 v6, 8, v6 :: v_dual_lshlrev_b32 v19, 23, v19
	v_lshl_add_u32 v23, v23, 10, 0x2000
	s_delay_alu instid0(VALU_DEP_1) | instskip(NEXT) | instid1(VALU_DEP_1)
	v_and_or_b32 v6, 0x8000, v6, v23
	v_lshl_or_b32 v19, v6, 16, v19
.LBB298_1686:                           ;   in Loop: Header=BB298_1062 Depth=1
	s_or_b32 exec_lo, exec_lo, s17
.LBB298_1687:                           ;   in Loop: Header=BB298_1062 Depth=1
	s_delay_alu instid0(SALU_CYCLE_1)
	s_or_b32 exec_lo, exec_lo, s16
.LBB298_1688:                           ;   in Loop: Header=BB298_1062 Depth=1
	s_delay_alu instid0(SALU_CYCLE_1) | instskip(SKIP_4) | instid1(VALU_DEP_3)
	s_or_b32 exec_lo, exec_lo, s15
	v_and_b32_e32 v36, 0xff, v35
	v_dual_mov_b32 v6, v35 :: v_dual_mov_b32 v33, 0
	v_mov_b32_e32 v23, 0
	s_mov_b32 s15, exec_lo
	v_cmpx_ne_u16_e32 0, v36
	s_cbranch_execz .LBB298_1696
; %bb.1689:                             ;   in Loop: Header=BB298_1062 Depth=1
	v_mov_b32_e32 v23, 0x8000
	s_mov_b32 s16, exec_lo
	v_cmpx_ne_u16_e32 0x80, v36
	s_cbranch_execz .LBB298_1695
; %bb.1690:                             ;   in Loop: Header=BB298_1062 Depth=1
	v_and_b32_e32 v37, 0x7f, v35
	v_mov_b32_e32 v23, 0x7c01
	s_mov_b32 s17, exec_lo
	s_delay_alu instid0(VALU_DEP_2)
	v_cmpx_ne_u32_e32 0x7f, v37
	s_cbranch_execz .LBB298_1694
; %bb.1691:                             ;   in Loop: Header=BB298_1062 Depth=1
	v_dual_lshrrev_b32 v36, 3, v37 :: v_dual_bitop2_b32 v23, 7, v35 bitop3:0x40
	s_mov_b32 s18, exec_lo
	v_cmpx_gt_u32_e32 8, v37
; %bb.1692:                             ;   in Loop: Header=BB298_1062 Depth=1
	s_delay_alu instid0(VALU_DEP_2) | instskip(NEXT) | instid1(VALU_DEP_1)
	v_clz_i32_u32_e32 v23, v23
	v_min_u32_e32 v23, 32, v23
	s_delay_alu instid0(VALU_DEP_1) | instskip(NEXT) | instid1(VALU_DEP_1)
	v_subrev_nc_u32_e32 v36, 28, v23
	v_lshlrev_b64_e32 v[38:39], v36, v[6:7]
	s_delay_alu instid0(VALU_DEP_1)
	v_dual_sub_nc_u32 v36, 29, v23 :: v_dual_bitop2_b32 v23, 7, v38 bitop3:0x40
; %bb.1693:                             ;   in Loop: Header=BB298_1062 Depth=1
	s_or_b32 exec_lo, exec_lo, s18
	v_lshlrev_b32_e32 v37, 8, v35
	s_delay_alu instid0(VALU_DEP_2) | instskip(NEXT) | instid1(VALU_DEP_3)
	v_lshl_add_u32 v36, v36, 10, 0x2000
	v_lshlrev_b32_e32 v23, 7, v23
	s_delay_alu instid0(VALU_DEP_3) | instskip(NEXT) | instid1(VALU_DEP_3)
	v_and_b32_e32 v37, 0x8000, v37
	v_and_b32_e32 v36, 0xfc00, v36
	s_delay_alu instid0(VALU_DEP_1)
	v_or3_b32 v23, v37, v36, v23
.LBB298_1694:                           ;   in Loop: Header=BB298_1062 Depth=1
	s_or_b32 exec_lo, exec_lo, s17
.LBB298_1695:                           ;   in Loop: Header=BB298_1062 Depth=1
	s_delay_alu instid0(SALU_CYCLE_1)
	s_or_b32 exec_lo, exec_lo, s16
.LBB298_1696:                           ;   in Loop: Header=BB298_1062 Depth=1
	s_delay_alu instid0(SALU_CYCLE_1) | instskip(SKIP_3) | instid1(VALU_DEP_2)
	s_or_b32 exec_lo, exec_lo, s15
	v_lshrrev_b16 v6, 8, v6
	v_mov_b32_e32 v36, 0
	s_mov_b32 s15, exec_lo
	v_cmpx_ne_u16_e32 0, v6
	s_cbranch_execz .LBB298_1704
; %bb.1697:                             ;   in Loop: Header=BB298_1062 Depth=1
	v_bfrev_b32_e32 v36, 1
	s_mov_b32 s16, exec_lo
	v_cmpx_ne_u16_e32 0x80, v6
	s_cbranch_execz .LBB298_1703
; %bb.1698:                             ;   in Loop: Header=BB298_1062 Depth=1
	v_and_b32_e32 v37, 0xffff, v6
	v_mov_b32_e32 v36, 0x7c010000
	s_mov_b32 s17, exec_lo
	s_delay_alu instid0(VALU_DEP_2) | instskip(NEXT) | instid1(VALU_DEP_1)
	v_and_b32_e32 v39, 0x7f, v37
	v_cmpx_ne_u32_e32 0x7f, v39
	s_cbranch_execz .LBB298_1702
; %bb.1699:                             ;   in Loop: Header=BB298_1062 Depth=1
	v_dual_lshrrev_b32 v38, 3, v39 :: v_dual_bitop2_b32 v36, 7, v37 bitop3:0x40
	s_mov_b32 s18, exec_lo
	v_cmpx_gt_u32_e32 8, v39
; %bb.1700:                             ;   in Loop: Header=BB298_1062 Depth=1
	s_delay_alu instid0(VALU_DEP_2) | instskip(NEXT) | instid1(VALU_DEP_1)
	v_clz_i32_u32_e32 v36, v36
	v_min_u32_e32 v36, 32, v36
	s_delay_alu instid0(VALU_DEP_1) | instskip(NEXT) | instid1(VALU_DEP_1)
	v_subrev_nc_u32_e32 v38, 28, v36
	v_lshlrev_b64_e32 v[48:49], v38, v[6:7]
	v_sub_nc_u32_e32 v38, 29, v36
	s_delay_alu instid0(VALU_DEP_2)
	v_and_b32_e32 v36, 7, v48
; %bb.1701:                             ;   in Loop: Header=BB298_1062 Depth=1
	s_or_b32 exec_lo, exec_lo, s18
	s_delay_alu instid0(VALU_DEP_1) | instskip(NEXT) | instid1(VALU_DEP_3)
	v_dual_lshlrev_b32 v6, 8, v37 :: v_dual_lshlrev_b32 v36, 23, v36
	v_lshl_add_u32 v37, v38, 10, 0x2000
	s_delay_alu instid0(VALU_DEP_1) | instskip(NEXT) | instid1(VALU_DEP_1)
	v_and_or_b32 v6, 0x8000, v6, v37
	v_lshl_or_b32 v36, v6, 16, v36
.LBB298_1702:                           ;   in Loop: Header=BB298_1062 Depth=1
	s_or_b32 exec_lo, exec_lo, s17
.LBB298_1703:                           ;   in Loop: Header=BB298_1062 Depth=1
	s_delay_alu instid0(SALU_CYCLE_1)
	s_or_b32 exec_lo, exec_lo, s16
.LBB298_1704:                           ;   in Loop: Header=BB298_1062 Depth=1
	s_delay_alu instid0(SALU_CYCLE_1) | instskip(SKIP_2) | instid1(VALU_DEP_1)
	s_or_b32 exec_lo, exec_lo, s15
	v_lshrrev_b32_e32 v6, 16, v35
	s_mov_b32 s15, exec_lo
	v_and_b32_e32 v37, 0xff, v6
	s_delay_alu instid0(VALU_DEP_1)
	v_cmpx_ne_u16_e32 0, v37
	s_cbranch_execz .LBB298_1712
; %bb.1705:                             ;   in Loop: Header=BB298_1062 Depth=1
	v_mov_b32_e32 v33, 0x8000
	s_mov_b32 s16, exec_lo
	v_cmpx_ne_u16_e32 0x80, v37
	s_cbranch_execz .LBB298_1711
; %bb.1706:                             ;   in Loop: Header=BB298_1062 Depth=1
	v_bfe_u32 v38, v35, 16, 7
	v_mov_b32_e32 v33, 0x7c01
	s_mov_b32 s17, exec_lo
	s_delay_alu instid0(VALU_DEP_2)
	v_cmpx_ne_u32_e32 0x7f, v38
	s_cbranch_execz .LBB298_1710
; %bb.1707:                             ;   in Loop: Header=BB298_1062 Depth=1
	v_and_b32_e32 v33, 7, v6
	v_lshrrev_b32_e32 v37, 3, v38
	s_mov_b32 s18, exec_lo
	v_cmpx_gt_u32_e32 8, v38
; %bb.1708:                             ;   in Loop: Header=BB298_1062 Depth=1
	s_delay_alu instid0(VALU_DEP_3) | instskip(NEXT) | instid1(VALU_DEP_1)
	v_clz_i32_u32_e32 v33, v33
	v_min_u32_e32 v33, 32, v33
	s_delay_alu instid0(VALU_DEP_1) | instskip(NEXT) | instid1(VALU_DEP_1)
	v_subrev_nc_u32_e32 v37, 28, v33
	v_lshlrev_b64_e32 v[38:39], v37, v[6:7]
	s_delay_alu instid0(VALU_DEP_1)
	v_dual_sub_nc_u32 v37, 29, v33 :: v_dual_bitop2_b32 v33, 7, v38 bitop3:0x40
; %bb.1709:                             ;   in Loop: Header=BB298_1062 Depth=1
	s_or_b32 exec_lo, exec_lo, s18
	s_delay_alu instid0(VALU_DEP_1) | instskip(NEXT) | instid1(VALU_DEP_2)
	v_dual_lshlrev_b32 v6, 8, v6 :: v_dual_lshlrev_b32 v33, 7, v33
	v_lshl_add_u32 v37, v37, 10, 0x2000
	s_delay_alu instid0(VALU_DEP_2) | instskip(NEXT) | instid1(VALU_DEP_2)
	v_and_b32_e32 v6, 0x8000, v6
	v_and_b32_e32 v37, 0xfc00, v37
	s_delay_alu instid0(VALU_DEP_1)
	v_or3_b32 v33, v6, v37, v33
.LBB298_1710:                           ;   in Loop: Header=BB298_1062 Depth=1
	s_or_b32 exec_lo, exec_lo, s17
.LBB298_1711:                           ;   in Loop: Header=BB298_1062 Depth=1
	s_delay_alu instid0(SALU_CYCLE_1)
	s_or_b32 exec_lo, exec_lo, s16
.LBB298_1712:                           ;   in Loop: Header=BB298_1062 Depth=1
	s_delay_alu instid0(SALU_CYCLE_1)
	s_or_b32 exec_lo, exec_lo, s15
	v_cmp_lt_u64_e64 s0, s[2:3], v[34:35]
	v_mov_b32_e32 v34, 0
	s_and_saveexec_b32 s15, s0
	s_cbranch_execz .LBB298_1720
; %bb.1713:                             ;   in Loop: Header=BB298_1062 Depth=1
	v_lshrrev_b32_e32 v6, 24, v35
	v_bfrev_b32_e32 v34, 1
	s_mov_b32 s16, exec_lo
	s_delay_alu instid0(VALU_DEP_2)
	v_cmpx_ne_u32_e32 0x80, v6
	s_cbranch_execz .LBB298_1719
; %bb.1714:                             ;   in Loop: Header=BB298_1062 Depth=1
	v_and_b32_e32 v37, 0x7f, v6
	v_mov_b32_e32 v34, 0x7c010000
	s_mov_b32 s17, exec_lo
	s_delay_alu instid0(VALU_DEP_2)
	v_cmpx_ne_u32_e32 0x7f, v37
	s_cbranch_execz .LBB298_1718
; %bb.1715:                             ;   in Loop: Header=BB298_1062 Depth=1
	v_dual_lshrrev_b32 v35, 3, v37 :: v_dual_bitop2_b32 v34, 7, v6 bitop3:0x40
	s_mov_b32 s18, exec_lo
	v_cmpx_gt_u32_e32 8, v37
; %bb.1716:                             ;   in Loop: Header=BB298_1062 Depth=1
	s_delay_alu instid0(VALU_DEP_2) | instskip(NEXT) | instid1(VALU_DEP_1)
	v_clz_i32_u32_e32 v34, v34
	v_min_u32_e32 v37, 32, v34
	s_delay_alu instid0(VALU_DEP_1) | instskip(NEXT) | instid1(VALU_DEP_1)
	v_subrev_nc_u32_e32 v34, 28, v37
	v_lshlrev_b64_e32 v[34:35], v34, v[6:7]
	s_delay_alu instid0(VALU_DEP_1)
	v_dual_sub_nc_u32 v35, 29, v37 :: v_dual_bitop2_b32 v34, 7, v34 bitop3:0x40
; %bb.1717:                             ;   in Loop: Header=BB298_1062 Depth=1
	s_or_b32 exec_lo, exec_lo, s18
	v_lshlrev_b32_e32 v6, 8, v6
	s_delay_alu instid0(VALU_DEP_2) | instskip(NEXT) | instid1(VALU_DEP_3)
	v_lshl_add_u32 v35, v35, 10, 0x2000
	v_lshlrev_b32_e32 v34, 23, v34
	s_delay_alu instid0(VALU_DEP_2) | instskip(NEXT) | instid1(VALU_DEP_1)
	v_and_or_b32 v6, 0x8000, v6, v35
	v_lshl_or_b32 v34, v6, 16, v34
.LBB298_1718:                           ;   in Loop: Header=BB298_1062 Depth=1
	s_or_b32 exec_lo, exec_lo, s17
.LBB298_1719:                           ;   in Loop: Header=BB298_1062 Depth=1
	s_delay_alu instid0(SALU_CYCLE_1)
	s_or_b32 exec_lo, exec_lo, s16
.LBB298_1720:                           ;   in Loop: Header=BB298_1062 Depth=1
	s_delay_alu instid0(SALU_CYCLE_1) | instskip(SKIP_4) | instid1(VALU_DEP_4)
	s_or_b32 exec_lo, exec_lo, s15
	v_dual_lshrrev_b32 v6, 16, v1 :: v_dual_lshrrev_b32 v35, 16, v19
	v_or_b32_e32 v1, v1, v18
	v_or_b32_e32 v22, v19, v22
	;; [unrolled: 1-line block ×3, first 2 shown]
	v_cvt_f32_f16_e32 v19, v6
	v_cvt_f32_f16_e32 v18, v35
	v_dual_lshrrev_b32 v34, 16, v34 :: v_dual_bitop2_b32 v6, v34, v33 bitop3:0x54
	v_lshrrev_b32_e32 v33, 16, v36
	v_cvt_f32_f16_e32 v23, v1
	s_delay_alu instid0(VALU_DEP_3) | instskip(NEXT) | instid1(VALU_DEP_4)
	v_cvt_f32_f16_e32 v36, v6
	v_cvt_f32_f16_e32 v34, v34
	s_wait_loadcnt_dscnt 0x0
	v_pk_mul_f32 v[18:19], v[32:33], v[18:19] op_sel_hi:[0,1]
	v_cvt_f32_f16_e32 v35, v33
	s_delay_alu instid0(VALU_DEP_2) | instskip(NEXT) | instid1(VALU_DEP_2)
	v_cvt_pk_f16_f32 v1, v18, v19
	v_pk_mul_f32 v[18:19], v[32:33], v[34:35] op_sel_hi:[0,1]
	s_delay_alu instid0(VALU_DEP_2) | instskip(SKIP_2) | instid1(VALU_DEP_4)
	v_lshlrev_b32_e32 v34, 16, v1
	v_cvt_f32_f16_e32 v22, v22
	v_and_b32_e32 v35, 0xffff0000, v1
	v_cvt_pk_f16_f32 v18, v18, v19
	s_delay_alu instid0(VALU_DEP_3) | instskip(NEXT) | instid1(VALU_DEP_2)
	v_pk_mul_f32 v[22:23], v[32:33], v[22:23] op_sel_hi:[0,1]
	v_and_b32_e32 v19, 0xffff0000, v18
	s_delay_alu instid0(VALU_DEP_2) | instskip(NEXT) | instid1(VALU_DEP_1)
	v_cvt_pk_f16_f32 v6, v22, v23
	v_lshrrev_b32_e32 v49, 16, v6
	v_cvt_f32_f16_e32 v37, v37
	v_and_b32_e32 v48, 0xffff, v6
	s_delay_alu instid0(VALU_DEP_3) | instskip(NEXT) | instid1(VALU_DEP_3)
	v_or_b32_e32 v39, v35, v49
	v_pk_mul_f32 v[32:33], v[32:33], v[36:37] op_sel_hi:[0,1]
	s_delay_alu instid0(VALU_DEP_3) | instskip(NEXT) | instid1(VALU_DEP_2)
	v_or_b32_e32 v38, v34, v48
	v_cvt_pk_f16_f32 v1, v32, v33
	s_delay_alu instid0(VALU_DEP_1) | instskip(SKIP_1) | instid1(VALU_DEP_2)
	v_dual_lshlrev_b32 v6, 16, v18 :: v_dual_lshrrev_b32 v33, 16, v1
	v_and_b32_e32 v32, 0xffff, v1
	v_or_b32_e32 v37, v19, v33
	s_delay_alu instid0(VALU_DEP_2)
	v_or_b32_e32 v36, v6, v32
	s_and_saveexec_b32 s15, vcc_lo
	s_cbranch_execz .LBB298_1722
; %bb.1721:                             ;   in Loop: Header=BB298_1062 Depth=1
	v_cmp_lt_i32_e64 s0, v54, v13
	s_delay_alu instid0(VALU_DEP_1) | instskip(SKIP_1) | instid1(VALU_DEP_1)
	v_cndmask_b32_e64 v1, 0, v49, s0
	v_cmp_lt_i32_e64 s0, v70, v58
	v_cndmask_b32_e64 v18, 0, v48, s0
	v_cmp_lt_i32_e64 s0, v69, v13
	s_delay_alu instid0(VALU_DEP_1) | instskip(SKIP_1) | instid1(VALU_DEP_1)
	v_cndmask_b32_e64 v22, 0, v35, s0
	v_cmp_lt_i32_e64 s0, v68, v58
	v_cndmask_b32_e64 v23, 0, v34, s0
	v_cmp_lt_i32_e64 s0, v67, v13
	s_delay_alu instid0(VALU_DEP_4) | instskip(NEXT) | instid1(VALU_DEP_2)
	v_or_b32_e32 v39, v1, v22
	v_dual_cndmask_b32 v33, 0, v33, s0 :: v_dual_bitop2_b32 v38, v18, v23 bitop3:0x54
	v_cmp_lt_i32_e64 s0, v66, v58
	s_delay_alu instid0(VALU_DEP_1) | instskip(SKIP_1) | instid1(VALU_DEP_1)
	v_cndmask_b32_e64 v32, 0, v32, s0
	v_cmp_lt_i32_e64 s0, v65, v13
	v_cndmask_b32_e64 v19, 0, v19, s0
	v_cmp_lt_i32_e64 s0, v0, v58
	s_delay_alu instid0(VALU_DEP_1) | instskip(NEXT) | instid1(VALU_DEP_1)
	v_dual_cndmask_b32 v6, 0, v6, s0 :: v_dual_bitop2_b32 v37, v33, v19 bitop3:0x54
	v_or_b32_e32 v36, v32, v6
.LBB298_1722:                           ;   in Loop: Header=BB298_1062 Depth=1
	s_or_b32 exec_lo, exec_lo, s15
	;;#ASMSTART
	v_pk_mul_f16 v1, v82, v39;

	;;#ASMEND
	;;#ASMSTART
	v_pk_mul_f16 v6, v81, v38;

	;;#ASMEND
	;;#ASMSTART
	v_pk_mul_f16 v18, v80, v37;

	;;#ASMEND
	;;#ASMSTART
	v_pk_mul_f16 v19, v71, v36;

	;;#ASMEND
	;;#ASMSTART
	v_pk_add_f16 v1, v1, v6;

	;;#ASMEND
	;;#ASMSTART
	v_pk_add_f16 v1, v1, v18;

	;;#ASMEND
	;; [unrolled: 4-line block ×3, first 2 shown]
	v_and_b32_e32 v6, 0xffff, v1
	v_lshrrev_b32_e32 v1, 16, v1
	;;#ASMSTART
	v_cvt_f32_f16 v117, v6;
	;;#ASMEND
	;;#ASMSTART
	v_cvt_f32_f16 v118, v1;
	;;#ASMEND
	flat_load_b64 v[34:35], v[14:15] offset:2560
	scratch_load_b64 v[18:19], off, s32 offset:192 ; 8-byte Folded Reload
	v_mov_b32_e32 v1, 0
	s_mov_b32 s15, exec_lo
	s_wait_loadcnt_dscnt 0x100
	v_and_b32_e32 v6, 0xff, v34
	s_wait_loadcnt 0x0
	flat_load_b32 v32, v[18:19]
	s_wait_xcnt 0x0
	v_mov_b32_e32 v18, 0
	v_cmpx_ne_u16_e32 0, v6
	s_cbranch_execz .LBB298_1730
; %bb.1723:                             ;   in Loop: Header=BB298_1062 Depth=1
	v_mov_b32_e32 v18, 0x8000
	s_mov_b32 s16, exec_lo
	v_cmpx_ne_u16_e32 0x80, v6
	s_cbranch_execz .LBB298_1729
; %bb.1724:                             ;   in Loop: Header=BB298_1062 Depth=1
	v_and_b32_e32 v19, 0x7f, v34
	v_mov_b32_e32 v18, 0x7c01
	s_mov_b32 s17, exec_lo
	s_delay_alu instid0(VALU_DEP_2)
	v_cmpx_ne_u32_e32 0x7f, v19
	s_cbranch_execz .LBB298_1728
; %bb.1725:                             ;   in Loop: Header=BB298_1062 Depth=1
	v_dual_lshrrev_b32 v18, 3, v19 :: v_dual_bitop2_b32 v6, 7, v34 bitop3:0x40
	s_mov_b32 s18, exec_lo
	v_cmpx_gt_u32_e32 8, v19
; %bb.1726:                             ;   in Loop: Header=BB298_1062 Depth=1
	s_delay_alu instid0(VALU_DEP_2) | instskip(NEXT) | instid1(VALU_DEP_1)
	v_clz_i32_u32_e32 v6, v6
	v_min_u32_e32 v6, 32, v6
	s_delay_alu instid0(VALU_DEP_1) | instskip(NEXT) | instid1(VALU_DEP_1)
	v_subrev_nc_u32_e32 v18, 28, v6
	v_lshlrev_b64_e32 v[22:23], v18, v[34:35]
	v_sub_nc_u32_e32 v18, 29, v6
	s_delay_alu instid0(VALU_DEP_2)
	v_and_b32_e32 v6, 7, v22
; %bb.1727:                             ;   in Loop: Header=BB298_1062 Depth=1
	s_or_b32 exec_lo, exec_lo, s18
	v_lshlrev_b32_e32 v19, 8, v34
	s_delay_alu instid0(VALU_DEP_3) | instskip(NEXT) | instid1(VALU_DEP_3)
	v_lshl_add_u32 v18, v18, 10, 0x2000
	v_lshlrev_b32_e32 v6, 7, v6
	s_delay_alu instid0(VALU_DEP_3) | instskip(NEXT) | instid1(VALU_DEP_3)
	v_and_b32_e32 v19, 0x8000, v19
	v_and_b32_e32 v18, 0xfc00, v18
	s_delay_alu instid0(VALU_DEP_1)
	v_or3_b32 v18, v19, v18, v6
.LBB298_1728:                           ;   in Loop: Header=BB298_1062 Depth=1
	s_or_b32 exec_lo, exec_lo, s17
.LBB298_1729:                           ;   in Loop: Header=BB298_1062 Depth=1
	s_delay_alu instid0(SALU_CYCLE_1)
	s_or_b32 exec_lo, exec_lo, s16
.LBB298_1730:                           ;   in Loop: Header=BB298_1062 Depth=1
	s_delay_alu instid0(SALU_CYCLE_1) | instskip(SKIP_2) | instid1(VALU_DEP_1)
	s_or_b32 exec_lo, exec_lo, s15
	v_lshrrev_b16 v6, 8, v34
	s_mov_b32 s15, exec_lo
	v_cmpx_ne_u16_e32 0, v6
	s_cbranch_execz .LBB298_1738
; %bb.1731:                             ;   in Loop: Header=BB298_1062 Depth=1
	v_bfrev_b32_e32 v1, 1
	s_mov_b32 s16, exec_lo
	v_cmpx_ne_u16_e32 0x80, v6
	s_cbranch_execz .LBB298_1737
; %bb.1732:                             ;   in Loop: Header=BB298_1062 Depth=1
	v_and_b32_e32 v19, 0xffff, v6
	v_mov_b32_e32 v1, 0x7c010000
	s_mov_b32 s17, exec_lo
	s_delay_alu instid0(VALU_DEP_2) | instskip(NEXT) | instid1(VALU_DEP_1)
	v_and_b32_e32 v23, 0x7f, v19
	v_cmpx_ne_u32_e32 0x7f, v23
	s_cbranch_execz .LBB298_1736
; %bb.1733:                             ;   in Loop: Header=BB298_1062 Depth=1
	v_and_b32_e32 v1, 7, v19
	v_lshrrev_b32_e32 v22, 3, v23
	s_mov_b32 s18, exec_lo
	v_cmpx_gt_u32_e32 8, v23
; %bb.1734:                             ;   in Loop: Header=BB298_1062 Depth=1
	s_delay_alu instid0(VALU_DEP_3) | instskip(NEXT) | instid1(VALU_DEP_1)
	v_clz_i32_u32_e32 v1, v1
	v_min_u32_e32 v1, 32, v1
	s_delay_alu instid0(VALU_DEP_1) | instskip(NEXT) | instid1(VALU_DEP_1)
	v_subrev_nc_u32_e32 v22, 28, v1
	v_lshlrev_b64_e32 v[36:37], v22, v[6:7]
	s_delay_alu instid0(VALU_DEP_1)
	v_dual_sub_nc_u32 v22, 29, v1 :: v_dual_bitop2_b32 v1, 7, v36 bitop3:0x40
; %bb.1735:                             ;   in Loop: Header=BB298_1062 Depth=1
	s_or_b32 exec_lo, exec_lo, s18
	s_delay_alu instid0(VALU_DEP_1) | instskip(NEXT) | instid1(VALU_DEP_2)
	v_dual_lshlrev_b32 v6, 8, v19 :: v_dual_lshlrev_b32 v1, 23, v1
	v_lshl_add_u32 v19, v22, 10, 0x2000
	s_delay_alu instid0(VALU_DEP_1) | instskip(NEXT) | instid1(VALU_DEP_1)
	v_and_or_b32 v6, 0x8000, v6, v19
	v_lshl_or_b32 v1, v6, 16, v1
.LBB298_1736:                           ;   in Loop: Header=BB298_1062 Depth=1
	s_or_b32 exec_lo, exec_lo, s17
.LBB298_1737:                           ;   in Loop: Header=BB298_1062 Depth=1
	s_delay_alu instid0(SALU_CYCLE_1)
	s_or_b32 exec_lo, exec_lo, s16
.LBB298_1738:                           ;   in Loop: Header=BB298_1062 Depth=1
	s_delay_alu instid0(SALU_CYCLE_1) | instskip(SKIP_3) | instid1(VALU_DEP_2)
	s_or_b32 exec_lo, exec_lo, s15
	v_dual_mov_b32 v19, 0 :: v_dual_lshrrev_b32 v6, 16, v34
	v_mov_b32_e32 v22, 0
	s_mov_b32 s15, exec_lo
	v_and_b32_e32 v23, 0xff, v6
	s_delay_alu instid0(VALU_DEP_1)
	v_cmpx_ne_u16_e32 0, v23
	s_cbranch_execz .LBB298_1746
; %bb.1739:                             ;   in Loop: Header=BB298_1062 Depth=1
	v_mov_b32_e32 v22, 0x8000
	s_mov_b32 s16, exec_lo
	v_cmpx_ne_u16_e32 0x80, v23
	s_cbranch_execz .LBB298_1745
; %bb.1740:                             ;   in Loop: Header=BB298_1062 Depth=1
	v_bfe_u32 v33, v34, 16, 7
	v_mov_b32_e32 v22, 0x7c01
	s_mov_b32 s17, exec_lo
	s_delay_alu instid0(VALU_DEP_2)
	v_cmpx_ne_u32_e32 0x7f, v33
	s_cbranch_execz .LBB298_1744
; %bb.1741:                             ;   in Loop: Header=BB298_1062 Depth=1
	v_dual_lshrrev_b32 v23, 3, v33 :: v_dual_bitop2_b32 v22, 7, v6 bitop3:0x40
	s_mov_b32 s18, exec_lo
	v_cmpx_gt_u32_e32 8, v33
; %bb.1742:                             ;   in Loop: Header=BB298_1062 Depth=1
	s_delay_alu instid0(VALU_DEP_2) | instskip(NEXT) | instid1(VALU_DEP_1)
	v_clz_i32_u32_e32 v22, v22
	v_min_u32_e32 v33, 32, v22
	s_delay_alu instid0(VALU_DEP_1) | instskip(NEXT) | instid1(VALU_DEP_1)
	v_subrev_nc_u32_e32 v22, 28, v33
	v_lshlrev_b64_e32 v[22:23], v22, v[6:7]
	s_delay_alu instid0(VALU_DEP_1)
	v_dual_sub_nc_u32 v23, 29, v33 :: v_dual_bitop2_b32 v22, 7, v22 bitop3:0x40
; %bb.1743:                             ;   in Loop: Header=BB298_1062 Depth=1
	s_or_b32 exec_lo, exec_lo, s18
	v_lshlrev_b32_e32 v6, 8, v6
	s_delay_alu instid0(VALU_DEP_2) | instskip(NEXT) | instid1(VALU_DEP_3)
	v_lshl_add_u32 v23, v23, 10, 0x2000
	v_lshlrev_b32_e32 v22, 7, v22
	s_delay_alu instid0(VALU_DEP_3) | instskip(NEXT) | instid1(VALU_DEP_3)
	v_and_b32_e32 v6, 0x8000, v6
	v_and_b32_e32 v23, 0xfc00, v23
	s_delay_alu instid0(VALU_DEP_1)
	v_or3_b32 v22, v6, v23, v22
.LBB298_1744:                           ;   in Loop: Header=BB298_1062 Depth=1
	s_or_b32 exec_lo, exec_lo, s17
.LBB298_1745:                           ;   in Loop: Header=BB298_1062 Depth=1
	s_delay_alu instid0(SALU_CYCLE_1)
	s_or_b32 exec_lo, exec_lo, s16
.LBB298_1746:                           ;   in Loop: Header=BB298_1062 Depth=1
	s_delay_alu instid0(SALU_CYCLE_1) | instskip(NEXT) | instid1(SALU_CYCLE_1)
	s_or_b32 exec_lo, exec_lo, s15
	s_mov_b32 s15, exec_lo
	v_cmpx_lt_u32_e32 0xffffff, v34
	s_cbranch_execz .LBB298_1754
; %bb.1747:                             ;   in Loop: Header=BB298_1062 Depth=1
	v_lshrrev_b32_e32 v6, 24, v34
	v_bfrev_b32_e32 v19, 1
	s_mov_b32 s16, exec_lo
	s_delay_alu instid0(VALU_DEP_2)
	v_cmpx_ne_u32_e32 0x80, v6
	s_cbranch_execz .LBB298_1753
; %bb.1748:                             ;   in Loop: Header=BB298_1062 Depth=1
	v_and_b32_e32 v33, 0x7f, v6
	v_mov_b32_e32 v19, 0x7c010000
	s_mov_b32 s17, exec_lo
	s_delay_alu instid0(VALU_DEP_2)
	v_cmpx_ne_u32_e32 0x7f, v33
	s_cbranch_execz .LBB298_1752
; %bb.1749:                             ;   in Loop: Header=BB298_1062 Depth=1
	v_dual_lshrrev_b32 v23, 3, v33 :: v_dual_bitop2_b32 v19, 7, v6 bitop3:0x40
	s_mov_b32 s18, exec_lo
	v_cmpx_gt_u32_e32 8, v33
; %bb.1750:                             ;   in Loop: Header=BB298_1062 Depth=1
	s_delay_alu instid0(VALU_DEP_2) | instskip(NEXT) | instid1(VALU_DEP_1)
	v_clz_i32_u32_e32 v19, v19
	v_min_u32_e32 v19, 32, v19
	s_delay_alu instid0(VALU_DEP_1) | instskip(NEXT) | instid1(VALU_DEP_1)
	v_subrev_nc_u32_e32 v23, 28, v19
	v_lshlrev_b64_e32 v[36:37], v23, v[6:7]
	s_delay_alu instid0(VALU_DEP_1)
	v_dual_sub_nc_u32 v23, 29, v19 :: v_dual_bitop2_b32 v19, 7, v36 bitop3:0x40
; %bb.1751:                             ;   in Loop: Header=BB298_1062 Depth=1
	s_or_b32 exec_lo, exec_lo, s18
	s_delay_alu instid0(VALU_DEP_1) | instskip(NEXT) | instid1(VALU_DEP_2)
	v_dual_lshlrev_b32 v6, 8, v6 :: v_dual_lshlrev_b32 v19, 23, v19
	v_lshl_add_u32 v23, v23, 10, 0x2000
	s_delay_alu instid0(VALU_DEP_1) | instskip(NEXT) | instid1(VALU_DEP_1)
	v_and_or_b32 v6, 0x8000, v6, v23
	v_lshl_or_b32 v19, v6, 16, v19
.LBB298_1752:                           ;   in Loop: Header=BB298_1062 Depth=1
	s_or_b32 exec_lo, exec_lo, s17
.LBB298_1753:                           ;   in Loop: Header=BB298_1062 Depth=1
	s_delay_alu instid0(SALU_CYCLE_1)
	s_or_b32 exec_lo, exec_lo, s16
.LBB298_1754:                           ;   in Loop: Header=BB298_1062 Depth=1
	s_delay_alu instid0(SALU_CYCLE_1) | instskip(SKIP_4) | instid1(VALU_DEP_3)
	s_or_b32 exec_lo, exec_lo, s15
	v_and_b32_e32 v36, 0xff, v35
	v_dual_mov_b32 v6, v35 :: v_dual_mov_b32 v33, 0
	v_mov_b32_e32 v23, 0
	s_mov_b32 s15, exec_lo
	v_cmpx_ne_u16_e32 0, v36
	s_cbranch_execz .LBB298_1762
; %bb.1755:                             ;   in Loop: Header=BB298_1062 Depth=1
	v_mov_b32_e32 v23, 0x8000
	s_mov_b32 s16, exec_lo
	v_cmpx_ne_u16_e32 0x80, v36
	s_cbranch_execz .LBB298_1761
; %bb.1756:                             ;   in Loop: Header=BB298_1062 Depth=1
	v_and_b32_e32 v37, 0x7f, v35
	v_mov_b32_e32 v23, 0x7c01
	s_mov_b32 s17, exec_lo
	s_delay_alu instid0(VALU_DEP_2)
	v_cmpx_ne_u32_e32 0x7f, v37
	s_cbranch_execz .LBB298_1760
; %bb.1757:                             ;   in Loop: Header=BB298_1062 Depth=1
	v_dual_lshrrev_b32 v36, 3, v37 :: v_dual_bitop2_b32 v23, 7, v35 bitop3:0x40
	s_mov_b32 s18, exec_lo
	v_cmpx_gt_u32_e32 8, v37
; %bb.1758:                             ;   in Loop: Header=BB298_1062 Depth=1
	s_delay_alu instid0(VALU_DEP_2) | instskip(NEXT) | instid1(VALU_DEP_1)
	v_clz_i32_u32_e32 v23, v23
	v_min_u32_e32 v23, 32, v23
	s_delay_alu instid0(VALU_DEP_1) | instskip(NEXT) | instid1(VALU_DEP_1)
	v_subrev_nc_u32_e32 v36, 28, v23
	v_lshlrev_b64_e32 v[38:39], v36, v[6:7]
	s_delay_alu instid0(VALU_DEP_1)
	v_dual_sub_nc_u32 v36, 29, v23 :: v_dual_bitop2_b32 v23, 7, v38 bitop3:0x40
; %bb.1759:                             ;   in Loop: Header=BB298_1062 Depth=1
	s_or_b32 exec_lo, exec_lo, s18
	v_lshlrev_b32_e32 v37, 8, v35
	s_delay_alu instid0(VALU_DEP_2) | instskip(NEXT) | instid1(VALU_DEP_3)
	v_lshl_add_u32 v36, v36, 10, 0x2000
	v_lshlrev_b32_e32 v23, 7, v23
	s_delay_alu instid0(VALU_DEP_3) | instskip(NEXT) | instid1(VALU_DEP_3)
	v_and_b32_e32 v37, 0x8000, v37
	v_and_b32_e32 v36, 0xfc00, v36
	s_delay_alu instid0(VALU_DEP_1)
	v_or3_b32 v23, v37, v36, v23
.LBB298_1760:                           ;   in Loop: Header=BB298_1062 Depth=1
	s_or_b32 exec_lo, exec_lo, s17
.LBB298_1761:                           ;   in Loop: Header=BB298_1062 Depth=1
	s_delay_alu instid0(SALU_CYCLE_1)
	s_or_b32 exec_lo, exec_lo, s16
.LBB298_1762:                           ;   in Loop: Header=BB298_1062 Depth=1
	s_delay_alu instid0(SALU_CYCLE_1) | instskip(SKIP_3) | instid1(VALU_DEP_2)
	s_or_b32 exec_lo, exec_lo, s15
	v_lshrrev_b16 v6, 8, v6
	v_mov_b32_e32 v36, 0
	s_mov_b32 s15, exec_lo
	v_cmpx_ne_u16_e32 0, v6
	s_cbranch_execz .LBB298_1770
; %bb.1763:                             ;   in Loop: Header=BB298_1062 Depth=1
	v_bfrev_b32_e32 v36, 1
	s_mov_b32 s16, exec_lo
	v_cmpx_ne_u16_e32 0x80, v6
	s_cbranch_execz .LBB298_1769
; %bb.1764:                             ;   in Loop: Header=BB298_1062 Depth=1
	v_and_b32_e32 v37, 0xffff, v6
	v_mov_b32_e32 v36, 0x7c010000
	s_mov_b32 s17, exec_lo
	s_delay_alu instid0(VALU_DEP_2) | instskip(NEXT) | instid1(VALU_DEP_1)
	v_and_b32_e32 v39, 0x7f, v37
	v_cmpx_ne_u32_e32 0x7f, v39
	s_cbranch_execz .LBB298_1768
; %bb.1765:                             ;   in Loop: Header=BB298_1062 Depth=1
	v_dual_lshrrev_b32 v38, 3, v39 :: v_dual_bitop2_b32 v36, 7, v37 bitop3:0x40
	s_mov_b32 s18, exec_lo
	v_cmpx_gt_u32_e32 8, v39
; %bb.1766:                             ;   in Loop: Header=BB298_1062 Depth=1
	s_delay_alu instid0(VALU_DEP_2) | instskip(NEXT) | instid1(VALU_DEP_1)
	v_clz_i32_u32_e32 v36, v36
	v_min_u32_e32 v36, 32, v36
	s_delay_alu instid0(VALU_DEP_1) | instskip(NEXT) | instid1(VALU_DEP_1)
	v_subrev_nc_u32_e32 v38, 28, v36
	v_lshlrev_b64_e32 v[48:49], v38, v[6:7]
	v_sub_nc_u32_e32 v38, 29, v36
	s_delay_alu instid0(VALU_DEP_2)
	v_and_b32_e32 v36, 7, v48
; %bb.1767:                             ;   in Loop: Header=BB298_1062 Depth=1
	s_or_b32 exec_lo, exec_lo, s18
	s_delay_alu instid0(VALU_DEP_1) | instskip(NEXT) | instid1(VALU_DEP_3)
	v_dual_lshlrev_b32 v6, 8, v37 :: v_dual_lshlrev_b32 v36, 23, v36
	v_lshl_add_u32 v37, v38, 10, 0x2000
	s_delay_alu instid0(VALU_DEP_1) | instskip(NEXT) | instid1(VALU_DEP_1)
	v_and_or_b32 v6, 0x8000, v6, v37
	v_lshl_or_b32 v36, v6, 16, v36
.LBB298_1768:                           ;   in Loop: Header=BB298_1062 Depth=1
	s_or_b32 exec_lo, exec_lo, s17
.LBB298_1769:                           ;   in Loop: Header=BB298_1062 Depth=1
	s_delay_alu instid0(SALU_CYCLE_1)
	s_or_b32 exec_lo, exec_lo, s16
.LBB298_1770:                           ;   in Loop: Header=BB298_1062 Depth=1
	s_delay_alu instid0(SALU_CYCLE_1) | instskip(SKIP_2) | instid1(VALU_DEP_1)
	s_or_b32 exec_lo, exec_lo, s15
	v_lshrrev_b32_e32 v6, 16, v35
	s_mov_b32 s15, exec_lo
	v_and_b32_e32 v37, 0xff, v6
	s_delay_alu instid0(VALU_DEP_1)
	v_cmpx_ne_u16_e32 0, v37
	s_cbranch_execz .LBB298_1778
; %bb.1771:                             ;   in Loop: Header=BB298_1062 Depth=1
	v_mov_b32_e32 v33, 0x8000
	s_mov_b32 s16, exec_lo
	v_cmpx_ne_u16_e32 0x80, v37
	s_cbranch_execz .LBB298_1777
; %bb.1772:                             ;   in Loop: Header=BB298_1062 Depth=1
	v_bfe_u32 v38, v35, 16, 7
	v_mov_b32_e32 v33, 0x7c01
	s_mov_b32 s17, exec_lo
	s_delay_alu instid0(VALU_DEP_2)
	v_cmpx_ne_u32_e32 0x7f, v38
	s_cbranch_execz .LBB298_1776
; %bb.1773:                             ;   in Loop: Header=BB298_1062 Depth=1
	v_and_b32_e32 v33, 7, v6
	v_lshrrev_b32_e32 v37, 3, v38
	s_mov_b32 s18, exec_lo
	v_cmpx_gt_u32_e32 8, v38
; %bb.1774:                             ;   in Loop: Header=BB298_1062 Depth=1
	s_delay_alu instid0(VALU_DEP_3) | instskip(NEXT) | instid1(VALU_DEP_1)
	v_clz_i32_u32_e32 v33, v33
	v_min_u32_e32 v33, 32, v33
	s_delay_alu instid0(VALU_DEP_1) | instskip(NEXT) | instid1(VALU_DEP_1)
	v_subrev_nc_u32_e32 v37, 28, v33
	v_lshlrev_b64_e32 v[38:39], v37, v[6:7]
	s_delay_alu instid0(VALU_DEP_1)
	v_dual_sub_nc_u32 v37, 29, v33 :: v_dual_bitop2_b32 v33, 7, v38 bitop3:0x40
; %bb.1775:                             ;   in Loop: Header=BB298_1062 Depth=1
	s_or_b32 exec_lo, exec_lo, s18
	s_delay_alu instid0(VALU_DEP_1) | instskip(NEXT) | instid1(VALU_DEP_2)
	v_dual_lshlrev_b32 v6, 8, v6 :: v_dual_lshlrev_b32 v33, 7, v33
	v_lshl_add_u32 v37, v37, 10, 0x2000
	s_delay_alu instid0(VALU_DEP_2) | instskip(NEXT) | instid1(VALU_DEP_2)
	v_and_b32_e32 v6, 0x8000, v6
	v_and_b32_e32 v37, 0xfc00, v37
	s_delay_alu instid0(VALU_DEP_1)
	v_or3_b32 v33, v6, v37, v33
.LBB298_1776:                           ;   in Loop: Header=BB298_1062 Depth=1
	s_or_b32 exec_lo, exec_lo, s17
.LBB298_1777:                           ;   in Loop: Header=BB298_1062 Depth=1
	s_delay_alu instid0(SALU_CYCLE_1)
	s_or_b32 exec_lo, exec_lo, s16
.LBB298_1778:                           ;   in Loop: Header=BB298_1062 Depth=1
	s_delay_alu instid0(SALU_CYCLE_1)
	s_or_b32 exec_lo, exec_lo, s15
	v_cmp_lt_u64_e64 s0, s[2:3], v[34:35]
	v_mov_b32_e32 v34, 0
	s_and_saveexec_b32 s15, s0
	s_cbranch_execz .LBB298_1786
; %bb.1779:                             ;   in Loop: Header=BB298_1062 Depth=1
	v_lshrrev_b32_e32 v6, 24, v35
	v_bfrev_b32_e32 v34, 1
	s_mov_b32 s16, exec_lo
	s_delay_alu instid0(VALU_DEP_2)
	v_cmpx_ne_u32_e32 0x80, v6
	s_cbranch_execz .LBB298_1785
; %bb.1780:                             ;   in Loop: Header=BB298_1062 Depth=1
	v_and_b32_e32 v37, 0x7f, v6
	v_mov_b32_e32 v34, 0x7c010000
	s_mov_b32 s17, exec_lo
	s_delay_alu instid0(VALU_DEP_2)
	v_cmpx_ne_u32_e32 0x7f, v37
	s_cbranch_execz .LBB298_1784
; %bb.1781:                             ;   in Loop: Header=BB298_1062 Depth=1
	v_dual_lshrrev_b32 v35, 3, v37 :: v_dual_bitop2_b32 v34, 7, v6 bitop3:0x40
	s_mov_b32 s18, exec_lo
	v_cmpx_gt_u32_e32 8, v37
; %bb.1782:                             ;   in Loop: Header=BB298_1062 Depth=1
	s_delay_alu instid0(VALU_DEP_2) | instskip(NEXT) | instid1(VALU_DEP_1)
	v_clz_i32_u32_e32 v34, v34
	v_min_u32_e32 v37, 32, v34
	s_delay_alu instid0(VALU_DEP_1) | instskip(NEXT) | instid1(VALU_DEP_1)
	v_subrev_nc_u32_e32 v34, 28, v37
	v_lshlrev_b64_e32 v[34:35], v34, v[6:7]
	s_delay_alu instid0(VALU_DEP_1)
	v_dual_sub_nc_u32 v35, 29, v37 :: v_dual_bitop2_b32 v34, 7, v34 bitop3:0x40
; %bb.1783:                             ;   in Loop: Header=BB298_1062 Depth=1
	s_or_b32 exec_lo, exec_lo, s18
	v_lshlrev_b32_e32 v6, 8, v6
	s_delay_alu instid0(VALU_DEP_2) | instskip(NEXT) | instid1(VALU_DEP_3)
	v_lshl_add_u32 v35, v35, 10, 0x2000
	v_lshlrev_b32_e32 v34, 23, v34
	s_delay_alu instid0(VALU_DEP_2) | instskip(NEXT) | instid1(VALU_DEP_1)
	v_and_or_b32 v6, 0x8000, v6, v35
	v_lshl_or_b32 v34, v6, 16, v34
.LBB298_1784:                           ;   in Loop: Header=BB298_1062 Depth=1
	s_or_b32 exec_lo, exec_lo, s17
.LBB298_1785:                           ;   in Loop: Header=BB298_1062 Depth=1
	s_delay_alu instid0(SALU_CYCLE_1)
	s_or_b32 exec_lo, exec_lo, s16
.LBB298_1786:                           ;   in Loop: Header=BB298_1062 Depth=1
	s_delay_alu instid0(SALU_CYCLE_1) | instskip(SKIP_4) | instid1(VALU_DEP_4)
	s_or_b32 exec_lo, exec_lo, s15
	v_dual_lshrrev_b32 v6, 16, v1 :: v_dual_lshrrev_b32 v35, 16, v19
	v_or_b32_e32 v1, v1, v18
	v_or_b32_e32 v22, v19, v22
	;; [unrolled: 1-line block ×3, first 2 shown]
	v_cvt_f32_f16_e32 v19, v6
	v_cvt_f32_f16_e32 v18, v35
	v_dual_lshrrev_b32 v34, 16, v34 :: v_dual_bitop2_b32 v6, v34, v33 bitop3:0x54
	v_lshrrev_b32_e32 v33, 16, v36
	v_cvt_f32_f16_e32 v23, v1
	s_delay_alu instid0(VALU_DEP_3) | instskip(NEXT) | instid1(VALU_DEP_4)
	v_cvt_f32_f16_e32 v36, v6
	v_cvt_f32_f16_e32 v34, v34
	s_wait_loadcnt_dscnt 0x0
	v_pk_mul_f32 v[18:19], v[32:33], v[18:19] op_sel_hi:[0,1]
	v_cvt_f32_f16_e32 v35, v33
	s_delay_alu instid0(VALU_DEP_2) | instskip(NEXT) | instid1(VALU_DEP_2)
	v_cvt_pk_f16_f32 v1, v18, v19
	v_pk_mul_f32 v[18:19], v[32:33], v[34:35] op_sel_hi:[0,1]
	s_delay_alu instid0(VALU_DEP_2) | instskip(SKIP_2) | instid1(VALU_DEP_4)
	v_lshlrev_b32_e32 v34, 16, v1
	v_cvt_f32_f16_e32 v22, v22
	v_and_b32_e32 v35, 0xffff0000, v1
	v_cvt_pk_f16_f32 v18, v18, v19
	s_delay_alu instid0(VALU_DEP_3) | instskip(NEXT) | instid1(VALU_DEP_2)
	v_pk_mul_f32 v[22:23], v[32:33], v[22:23] op_sel_hi:[0,1]
	v_and_b32_e32 v19, 0xffff0000, v18
	s_delay_alu instid0(VALU_DEP_2) | instskip(NEXT) | instid1(VALU_DEP_1)
	v_cvt_pk_f16_f32 v6, v22, v23
	v_lshrrev_b32_e32 v49, 16, v6
	v_cvt_f32_f16_e32 v37, v37
	v_and_b32_e32 v48, 0xffff, v6
	s_delay_alu instid0(VALU_DEP_3) | instskip(NEXT) | instid1(VALU_DEP_3)
	v_or_b32_e32 v39, v35, v49
	v_pk_mul_f32 v[32:33], v[32:33], v[36:37] op_sel_hi:[0,1]
	s_delay_alu instid0(VALU_DEP_3) | instskip(NEXT) | instid1(VALU_DEP_2)
	v_or_b32_e32 v38, v34, v48
	v_cvt_pk_f16_f32 v1, v32, v33
	s_delay_alu instid0(VALU_DEP_1) | instskip(SKIP_1) | instid1(VALU_DEP_2)
	v_dual_lshlrev_b32 v6, 16, v18 :: v_dual_lshrrev_b32 v33, 16, v1
	v_and_b32_e32 v32, 0xffff, v1
	v_or_b32_e32 v37, v19, v33
	s_delay_alu instid0(VALU_DEP_2)
	v_or_b32_e32 v36, v6, v32
	s_and_saveexec_b32 s15, vcc_lo
	s_cbranch_execz .LBB298_1788
; %bb.1787:                             ;   in Loop: Header=BB298_1062 Depth=1
	v_cmp_lt_i32_e64 s0, v54, v13
	s_delay_alu instid0(VALU_DEP_1) | instskip(SKIP_1) | instid1(VALU_DEP_1)
	v_cndmask_b32_e64 v1, 0, v49, s0
	v_cmp_lt_i32_e64 s0, v70, v58
	v_cndmask_b32_e64 v18, 0, v48, s0
	v_cmp_lt_i32_e64 s0, v69, v13
	s_delay_alu instid0(VALU_DEP_1) | instskip(SKIP_1) | instid1(VALU_DEP_1)
	v_cndmask_b32_e64 v22, 0, v35, s0
	v_cmp_lt_i32_e64 s0, v68, v58
	v_cndmask_b32_e64 v23, 0, v34, s0
	v_cmp_lt_i32_e64 s0, v67, v13
	s_delay_alu instid0(VALU_DEP_4) | instskip(NEXT) | instid1(VALU_DEP_2)
	v_or_b32_e32 v39, v1, v22
	v_dual_cndmask_b32 v33, 0, v33, s0 :: v_dual_bitop2_b32 v38, v18, v23 bitop3:0x54
	v_cmp_lt_i32_e64 s0, v66, v58
	s_delay_alu instid0(VALU_DEP_1) | instskip(SKIP_1) | instid1(VALU_DEP_1)
	v_cndmask_b32_e64 v32, 0, v32, s0
	v_cmp_lt_i32_e64 s0, v65, v13
	v_cndmask_b32_e64 v19, 0, v19, s0
	v_cmp_lt_i32_e64 s0, v0, v58
	s_delay_alu instid0(VALU_DEP_1) | instskip(NEXT) | instid1(VALU_DEP_1)
	v_dual_cndmask_b32 v6, 0, v6, s0 :: v_dual_bitop2_b32 v37, v33, v19 bitop3:0x54
	v_or_b32_e32 v36, v32, v6
.LBB298_1788:                           ;   in Loop: Header=BB298_1062 Depth=1
	s_or_b32 exec_lo, exec_lo, s15
	;;#ASMSTART
	v_pk_mul_f16 v1, v82, v39;

	;;#ASMEND
	;;#ASMSTART
	v_pk_mul_f16 v6, v81, v38;

	;;#ASMEND
	;; [unrolled: 4-line block ×4, first 2 shown]
	;;#ASMSTART
	v_pk_add_f16 v1, v1, v6;

	;;#ASMEND
	;;#ASMSTART
	v_pk_add_f16 v1, v1, v18;

	;;#ASMEND
	;; [unrolled: 4-line block ×3, first 2 shown]
	v_and_b32_e32 v6, 0xffff, v1
	v_lshrrev_b32_e32 v1, 16, v1
	;;#ASMSTART
	v_cvt_f32_f16 v119, v6;
	;;#ASMEND
	;;#ASMSTART
	v_cvt_f32_f16 v40, v1;
	;;#ASMEND
	flat_load_b64 v[34:35], v[14:15] offset:2816
	scratch_load_b64 v[18:19], off, s32 offset:192 ; 8-byte Folded Reload
	v_mov_b32_e32 v1, 0
	s_mov_b32 s15, exec_lo
	s_wait_loadcnt_dscnt 0x100
	v_and_b32_e32 v6, 0xff, v34
	s_wait_loadcnt 0x0
	flat_load_b32 v32, v[18:19]
	s_wait_xcnt 0x0
	v_mov_b32_e32 v18, 0
	v_cmpx_ne_u16_e32 0, v6
	s_cbranch_execz .LBB298_1796
; %bb.1789:                             ;   in Loop: Header=BB298_1062 Depth=1
	v_mov_b32_e32 v18, 0x8000
	s_mov_b32 s16, exec_lo
	v_cmpx_ne_u16_e32 0x80, v6
	s_cbranch_execz .LBB298_1795
; %bb.1790:                             ;   in Loop: Header=BB298_1062 Depth=1
	v_and_b32_e32 v19, 0x7f, v34
	v_mov_b32_e32 v18, 0x7c01
	s_mov_b32 s17, exec_lo
	s_delay_alu instid0(VALU_DEP_2)
	v_cmpx_ne_u32_e32 0x7f, v19
	s_cbranch_execz .LBB298_1794
; %bb.1791:                             ;   in Loop: Header=BB298_1062 Depth=1
	v_dual_lshrrev_b32 v18, 3, v19 :: v_dual_bitop2_b32 v6, 7, v34 bitop3:0x40
	s_mov_b32 s18, exec_lo
	v_cmpx_gt_u32_e32 8, v19
; %bb.1792:                             ;   in Loop: Header=BB298_1062 Depth=1
	s_delay_alu instid0(VALU_DEP_2) | instskip(NEXT) | instid1(VALU_DEP_1)
	v_clz_i32_u32_e32 v6, v6
	v_min_u32_e32 v6, 32, v6
	s_delay_alu instid0(VALU_DEP_1) | instskip(NEXT) | instid1(VALU_DEP_1)
	v_subrev_nc_u32_e32 v18, 28, v6
	v_lshlrev_b64_e32 v[22:23], v18, v[34:35]
	v_sub_nc_u32_e32 v18, 29, v6
	s_delay_alu instid0(VALU_DEP_2)
	v_and_b32_e32 v6, 7, v22
; %bb.1793:                             ;   in Loop: Header=BB298_1062 Depth=1
	s_or_b32 exec_lo, exec_lo, s18
	v_lshlrev_b32_e32 v19, 8, v34
	s_delay_alu instid0(VALU_DEP_3) | instskip(NEXT) | instid1(VALU_DEP_3)
	v_lshl_add_u32 v18, v18, 10, 0x2000
	v_lshlrev_b32_e32 v6, 7, v6
	s_delay_alu instid0(VALU_DEP_3) | instskip(NEXT) | instid1(VALU_DEP_3)
	v_and_b32_e32 v19, 0x8000, v19
	v_and_b32_e32 v18, 0xfc00, v18
	s_delay_alu instid0(VALU_DEP_1)
	v_or3_b32 v18, v19, v18, v6
.LBB298_1794:                           ;   in Loop: Header=BB298_1062 Depth=1
	s_or_b32 exec_lo, exec_lo, s17
.LBB298_1795:                           ;   in Loop: Header=BB298_1062 Depth=1
	s_delay_alu instid0(SALU_CYCLE_1)
	s_or_b32 exec_lo, exec_lo, s16
.LBB298_1796:                           ;   in Loop: Header=BB298_1062 Depth=1
	s_delay_alu instid0(SALU_CYCLE_1) | instskip(SKIP_2) | instid1(VALU_DEP_1)
	s_or_b32 exec_lo, exec_lo, s15
	v_lshrrev_b16 v6, 8, v34
	s_mov_b32 s15, exec_lo
	v_cmpx_ne_u16_e32 0, v6
	s_cbranch_execz .LBB298_1804
; %bb.1797:                             ;   in Loop: Header=BB298_1062 Depth=1
	v_bfrev_b32_e32 v1, 1
	s_mov_b32 s16, exec_lo
	v_cmpx_ne_u16_e32 0x80, v6
	s_cbranch_execz .LBB298_1803
; %bb.1798:                             ;   in Loop: Header=BB298_1062 Depth=1
	v_and_b32_e32 v19, 0xffff, v6
	v_mov_b32_e32 v1, 0x7c010000
	s_mov_b32 s17, exec_lo
	s_delay_alu instid0(VALU_DEP_2) | instskip(NEXT) | instid1(VALU_DEP_1)
	v_and_b32_e32 v23, 0x7f, v19
	v_cmpx_ne_u32_e32 0x7f, v23
	s_cbranch_execz .LBB298_1802
; %bb.1799:                             ;   in Loop: Header=BB298_1062 Depth=1
	v_and_b32_e32 v1, 7, v19
	v_lshrrev_b32_e32 v22, 3, v23
	s_mov_b32 s18, exec_lo
	v_cmpx_gt_u32_e32 8, v23
; %bb.1800:                             ;   in Loop: Header=BB298_1062 Depth=1
	s_delay_alu instid0(VALU_DEP_3) | instskip(NEXT) | instid1(VALU_DEP_1)
	v_clz_i32_u32_e32 v1, v1
	v_min_u32_e32 v1, 32, v1
	s_delay_alu instid0(VALU_DEP_1) | instskip(NEXT) | instid1(VALU_DEP_1)
	v_subrev_nc_u32_e32 v22, 28, v1
	v_lshlrev_b64_e32 v[36:37], v22, v[6:7]
	s_delay_alu instid0(VALU_DEP_1)
	v_dual_sub_nc_u32 v22, 29, v1 :: v_dual_bitop2_b32 v1, 7, v36 bitop3:0x40
; %bb.1801:                             ;   in Loop: Header=BB298_1062 Depth=1
	s_or_b32 exec_lo, exec_lo, s18
	s_delay_alu instid0(VALU_DEP_1) | instskip(NEXT) | instid1(VALU_DEP_2)
	v_dual_lshlrev_b32 v6, 8, v19 :: v_dual_lshlrev_b32 v1, 23, v1
	v_lshl_add_u32 v19, v22, 10, 0x2000
	s_delay_alu instid0(VALU_DEP_1) | instskip(NEXT) | instid1(VALU_DEP_1)
	v_and_or_b32 v6, 0x8000, v6, v19
	v_lshl_or_b32 v1, v6, 16, v1
.LBB298_1802:                           ;   in Loop: Header=BB298_1062 Depth=1
	s_or_b32 exec_lo, exec_lo, s17
.LBB298_1803:                           ;   in Loop: Header=BB298_1062 Depth=1
	s_delay_alu instid0(SALU_CYCLE_1)
	s_or_b32 exec_lo, exec_lo, s16
.LBB298_1804:                           ;   in Loop: Header=BB298_1062 Depth=1
	s_delay_alu instid0(SALU_CYCLE_1) | instskip(SKIP_3) | instid1(VALU_DEP_2)
	s_or_b32 exec_lo, exec_lo, s15
	v_dual_mov_b32 v19, 0 :: v_dual_lshrrev_b32 v6, 16, v34
	v_mov_b32_e32 v22, 0
	s_mov_b32 s15, exec_lo
	v_and_b32_e32 v23, 0xff, v6
	s_delay_alu instid0(VALU_DEP_1)
	v_cmpx_ne_u16_e32 0, v23
	s_cbranch_execz .LBB298_1812
; %bb.1805:                             ;   in Loop: Header=BB298_1062 Depth=1
	v_mov_b32_e32 v22, 0x8000
	s_mov_b32 s16, exec_lo
	v_cmpx_ne_u16_e32 0x80, v23
	s_cbranch_execz .LBB298_1811
; %bb.1806:                             ;   in Loop: Header=BB298_1062 Depth=1
	v_bfe_u32 v33, v34, 16, 7
	v_mov_b32_e32 v22, 0x7c01
	s_mov_b32 s17, exec_lo
	s_delay_alu instid0(VALU_DEP_2)
	v_cmpx_ne_u32_e32 0x7f, v33
	s_cbranch_execz .LBB298_1810
; %bb.1807:                             ;   in Loop: Header=BB298_1062 Depth=1
	v_dual_lshrrev_b32 v23, 3, v33 :: v_dual_bitop2_b32 v22, 7, v6 bitop3:0x40
	s_mov_b32 s18, exec_lo
	v_cmpx_gt_u32_e32 8, v33
; %bb.1808:                             ;   in Loop: Header=BB298_1062 Depth=1
	s_delay_alu instid0(VALU_DEP_2) | instskip(NEXT) | instid1(VALU_DEP_1)
	v_clz_i32_u32_e32 v22, v22
	v_min_u32_e32 v33, 32, v22
	s_delay_alu instid0(VALU_DEP_1) | instskip(NEXT) | instid1(VALU_DEP_1)
	v_subrev_nc_u32_e32 v22, 28, v33
	v_lshlrev_b64_e32 v[22:23], v22, v[6:7]
	s_delay_alu instid0(VALU_DEP_1)
	v_dual_sub_nc_u32 v23, 29, v33 :: v_dual_bitop2_b32 v22, 7, v22 bitop3:0x40
; %bb.1809:                             ;   in Loop: Header=BB298_1062 Depth=1
	s_or_b32 exec_lo, exec_lo, s18
	v_lshlrev_b32_e32 v6, 8, v6
	s_delay_alu instid0(VALU_DEP_2) | instskip(NEXT) | instid1(VALU_DEP_3)
	v_lshl_add_u32 v23, v23, 10, 0x2000
	v_lshlrev_b32_e32 v22, 7, v22
	s_delay_alu instid0(VALU_DEP_3) | instskip(NEXT) | instid1(VALU_DEP_3)
	v_and_b32_e32 v6, 0x8000, v6
	v_and_b32_e32 v23, 0xfc00, v23
	s_delay_alu instid0(VALU_DEP_1)
	v_or3_b32 v22, v6, v23, v22
.LBB298_1810:                           ;   in Loop: Header=BB298_1062 Depth=1
	s_or_b32 exec_lo, exec_lo, s17
.LBB298_1811:                           ;   in Loop: Header=BB298_1062 Depth=1
	s_delay_alu instid0(SALU_CYCLE_1)
	s_or_b32 exec_lo, exec_lo, s16
.LBB298_1812:                           ;   in Loop: Header=BB298_1062 Depth=1
	s_delay_alu instid0(SALU_CYCLE_1) | instskip(NEXT) | instid1(SALU_CYCLE_1)
	s_or_b32 exec_lo, exec_lo, s15
	s_mov_b32 s15, exec_lo
	v_cmpx_lt_u32_e32 0xffffff, v34
	s_cbranch_execz .LBB298_1820
; %bb.1813:                             ;   in Loop: Header=BB298_1062 Depth=1
	v_lshrrev_b32_e32 v6, 24, v34
	v_bfrev_b32_e32 v19, 1
	s_mov_b32 s16, exec_lo
	s_delay_alu instid0(VALU_DEP_2)
	v_cmpx_ne_u32_e32 0x80, v6
	s_cbranch_execz .LBB298_1819
; %bb.1814:                             ;   in Loop: Header=BB298_1062 Depth=1
	v_and_b32_e32 v33, 0x7f, v6
	v_mov_b32_e32 v19, 0x7c010000
	s_mov_b32 s17, exec_lo
	s_delay_alu instid0(VALU_DEP_2)
	v_cmpx_ne_u32_e32 0x7f, v33
	s_cbranch_execz .LBB298_1818
; %bb.1815:                             ;   in Loop: Header=BB298_1062 Depth=1
	v_dual_lshrrev_b32 v23, 3, v33 :: v_dual_bitop2_b32 v19, 7, v6 bitop3:0x40
	s_mov_b32 s18, exec_lo
	v_cmpx_gt_u32_e32 8, v33
; %bb.1816:                             ;   in Loop: Header=BB298_1062 Depth=1
	s_delay_alu instid0(VALU_DEP_2) | instskip(NEXT) | instid1(VALU_DEP_1)
	v_clz_i32_u32_e32 v19, v19
	v_min_u32_e32 v19, 32, v19
	s_delay_alu instid0(VALU_DEP_1) | instskip(NEXT) | instid1(VALU_DEP_1)
	v_subrev_nc_u32_e32 v23, 28, v19
	v_lshlrev_b64_e32 v[36:37], v23, v[6:7]
	s_delay_alu instid0(VALU_DEP_1)
	v_dual_sub_nc_u32 v23, 29, v19 :: v_dual_bitop2_b32 v19, 7, v36 bitop3:0x40
; %bb.1817:                             ;   in Loop: Header=BB298_1062 Depth=1
	s_or_b32 exec_lo, exec_lo, s18
	s_delay_alu instid0(VALU_DEP_1) | instskip(NEXT) | instid1(VALU_DEP_2)
	v_dual_lshlrev_b32 v6, 8, v6 :: v_dual_lshlrev_b32 v19, 23, v19
	v_lshl_add_u32 v23, v23, 10, 0x2000
	s_delay_alu instid0(VALU_DEP_1) | instskip(NEXT) | instid1(VALU_DEP_1)
	v_and_or_b32 v6, 0x8000, v6, v23
	v_lshl_or_b32 v19, v6, 16, v19
.LBB298_1818:                           ;   in Loop: Header=BB298_1062 Depth=1
	s_or_b32 exec_lo, exec_lo, s17
.LBB298_1819:                           ;   in Loop: Header=BB298_1062 Depth=1
	s_delay_alu instid0(SALU_CYCLE_1)
	s_or_b32 exec_lo, exec_lo, s16
.LBB298_1820:                           ;   in Loop: Header=BB298_1062 Depth=1
	s_delay_alu instid0(SALU_CYCLE_1) | instskip(SKIP_4) | instid1(VALU_DEP_3)
	s_or_b32 exec_lo, exec_lo, s15
	v_and_b32_e32 v36, 0xff, v35
	v_dual_mov_b32 v6, v35 :: v_dual_mov_b32 v33, 0
	v_mov_b32_e32 v23, 0
	s_mov_b32 s15, exec_lo
	v_cmpx_ne_u16_e32 0, v36
	s_cbranch_execz .LBB298_1828
; %bb.1821:                             ;   in Loop: Header=BB298_1062 Depth=1
	v_mov_b32_e32 v23, 0x8000
	s_mov_b32 s16, exec_lo
	v_cmpx_ne_u16_e32 0x80, v36
	s_cbranch_execz .LBB298_1827
; %bb.1822:                             ;   in Loop: Header=BB298_1062 Depth=1
	v_and_b32_e32 v37, 0x7f, v35
	v_mov_b32_e32 v23, 0x7c01
	s_mov_b32 s17, exec_lo
	s_delay_alu instid0(VALU_DEP_2)
	v_cmpx_ne_u32_e32 0x7f, v37
	s_cbranch_execz .LBB298_1826
; %bb.1823:                             ;   in Loop: Header=BB298_1062 Depth=1
	v_dual_lshrrev_b32 v36, 3, v37 :: v_dual_bitop2_b32 v23, 7, v35 bitop3:0x40
	s_mov_b32 s18, exec_lo
	v_cmpx_gt_u32_e32 8, v37
; %bb.1824:                             ;   in Loop: Header=BB298_1062 Depth=1
	s_delay_alu instid0(VALU_DEP_2) | instskip(NEXT) | instid1(VALU_DEP_1)
	v_clz_i32_u32_e32 v23, v23
	v_min_u32_e32 v23, 32, v23
	s_delay_alu instid0(VALU_DEP_1) | instskip(NEXT) | instid1(VALU_DEP_1)
	v_subrev_nc_u32_e32 v36, 28, v23
	v_lshlrev_b64_e32 v[38:39], v36, v[6:7]
	s_delay_alu instid0(VALU_DEP_1)
	v_dual_sub_nc_u32 v36, 29, v23 :: v_dual_bitop2_b32 v23, 7, v38 bitop3:0x40
; %bb.1825:                             ;   in Loop: Header=BB298_1062 Depth=1
	s_or_b32 exec_lo, exec_lo, s18
	v_lshlrev_b32_e32 v37, 8, v35
	s_delay_alu instid0(VALU_DEP_2) | instskip(NEXT) | instid1(VALU_DEP_3)
	v_lshl_add_u32 v36, v36, 10, 0x2000
	v_lshlrev_b32_e32 v23, 7, v23
	s_delay_alu instid0(VALU_DEP_3) | instskip(NEXT) | instid1(VALU_DEP_3)
	v_and_b32_e32 v37, 0x8000, v37
	v_and_b32_e32 v36, 0xfc00, v36
	s_delay_alu instid0(VALU_DEP_1)
	v_or3_b32 v23, v37, v36, v23
.LBB298_1826:                           ;   in Loop: Header=BB298_1062 Depth=1
	s_or_b32 exec_lo, exec_lo, s17
.LBB298_1827:                           ;   in Loop: Header=BB298_1062 Depth=1
	s_delay_alu instid0(SALU_CYCLE_1)
	s_or_b32 exec_lo, exec_lo, s16
.LBB298_1828:                           ;   in Loop: Header=BB298_1062 Depth=1
	s_delay_alu instid0(SALU_CYCLE_1) | instskip(SKIP_3) | instid1(VALU_DEP_2)
	s_or_b32 exec_lo, exec_lo, s15
	v_lshrrev_b16 v6, 8, v6
	v_mov_b32_e32 v36, 0
	s_mov_b32 s15, exec_lo
	v_cmpx_ne_u16_e32 0, v6
	s_cbranch_execz .LBB298_1836
; %bb.1829:                             ;   in Loop: Header=BB298_1062 Depth=1
	v_bfrev_b32_e32 v36, 1
	s_mov_b32 s16, exec_lo
	v_cmpx_ne_u16_e32 0x80, v6
	s_cbranch_execz .LBB298_1835
; %bb.1830:                             ;   in Loop: Header=BB298_1062 Depth=1
	v_and_b32_e32 v37, 0xffff, v6
	v_mov_b32_e32 v36, 0x7c010000
	s_mov_b32 s17, exec_lo
	s_delay_alu instid0(VALU_DEP_2) | instskip(NEXT) | instid1(VALU_DEP_1)
	v_and_b32_e32 v39, 0x7f, v37
	v_cmpx_ne_u32_e32 0x7f, v39
	s_cbranch_execz .LBB298_1834
; %bb.1831:                             ;   in Loop: Header=BB298_1062 Depth=1
	v_dual_lshrrev_b32 v38, 3, v39 :: v_dual_bitop2_b32 v36, 7, v37 bitop3:0x40
	s_mov_b32 s18, exec_lo
	v_cmpx_gt_u32_e32 8, v39
; %bb.1832:                             ;   in Loop: Header=BB298_1062 Depth=1
	s_delay_alu instid0(VALU_DEP_2) | instskip(NEXT) | instid1(VALU_DEP_1)
	v_clz_i32_u32_e32 v36, v36
	v_min_u32_e32 v36, 32, v36
	s_delay_alu instid0(VALU_DEP_1) | instskip(NEXT) | instid1(VALU_DEP_1)
	v_subrev_nc_u32_e32 v38, 28, v36
	v_lshlrev_b64_e32 v[48:49], v38, v[6:7]
	v_sub_nc_u32_e32 v38, 29, v36
	s_delay_alu instid0(VALU_DEP_2)
	v_and_b32_e32 v36, 7, v48
; %bb.1833:                             ;   in Loop: Header=BB298_1062 Depth=1
	s_or_b32 exec_lo, exec_lo, s18
	s_delay_alu instid0(VALU_DEP_1) | instskip(NEXT) | instid1(VALU_DEP_3)
	v_dual_lshlrev_b32 v6, 8, v37 :: v_dual_lshlrev_b32 v36, 23, v36
	v_lshl_add_u32 v37, v38, 10, 0x2000
	s_delay_alu instid0(VALU_DEP_1) | instskip(NEXT) | instid1(VALU_DEP_1)
	v_and_or_b32 v6, 0x8000, v6, v37
	v_lshl_or_b32 v36, v6, 16, v36
.LBB298_1834:                           ;   in Loop: Header=BB298_1062 Depth=1
	s_or_b32 exec_lo, exec_lo, s17
.LBB298_1835:                           ;   in Loop: Header=BB298_1062 Depth=1
	s_delay_alu instid0(SALU_CYCLE_1)
	s_or_b32 exec_lo, exec_lo, s16
.LBB298_1836:                           ;   in Loop: Header=BB298_1062 Depth=1
	s_delay_alu instid0(SALU_CYCLE_1) | instskip(SKIP_2) | instid1(VALU_DEP_1)
	s_or_b32 exec_lo, exec_lo, s15
	v_lshrrev_b32_e32 v6, 16, v35
	s_mov_b32 s15, exec_lo
	v_and_b32_e32 v37, 0xff, v6
	s_delay_alu instid0(VALU_DEP_1)
	v_cmpx_ne_u16_e32 0, v37
	s_cbranch_execz .LBB298_1844
; %bb.1837:                             ;   in Loop: Header=BB298_1062 Depth=1
	v_mov_b32_e32 v33, 0x8000
	s_mov_b32 s16, exec_lo
	v_cmpx_ne_u16_e32 0x80, v37
	s_cbranch_execz .LBB298_1843
; %bb.1838:                             ;   in Loop: Header=BB298_1062 Depth=1
	v_bfe_u32 v38, v35, 16, 7
	v_mov_b32_e32 v33, 0x7c01
	s_mov_b32 s17, exec_lo
	s_delay_alu instid0(VALU_DEP_2)
	v_cmpx_ne_u32_e32 0x7f, v38
	s_cbranch_execz .LBB298_1842
; %bb.1839:                             ;   in Loop: Header=BB298_1062 Depth=1
	v_and_b32_e32 v33, 7, v6
	v_lshrrev_b32_e32 v37, 3, v38
	s_mov_b32 s18, exec_lo
	v_cmpx_gt_u32_e32 8, v38
; %bb.1840:                             ;   in Loop: Header=BB298_1062 Depth=1
	s_delay_alu instid0(VALU_DEP_3) | instskip(NEXT) | instid1(VALU_DEP_1)
	v_clz_i32_u32_e32 v33, v33
	v_min_u32_e32 v33, 32, v33
	s_delay_alu instid0(VALU_DEP_1) | instskip(NEXT) | instid1(VALU_DEP_1)
	v_subrev_nc_u32_e32 v37, 28, v33
	v_lshlrev_b64_e32 v[38:39], v37, v[6:7]
	s_delay_alu instid0(VALU_DEP_1)
	v_dual_sub_nc_u32 v37, 29, v33 :: v_dual_bitop2_b32 v33, 7, v38 bitop3:0x40
; %bb.1841:                             ;   in Loop: Header=BB298_1062 Depth=1
	s_or_b32 exec_lo, exec_lo, s18
	s_delay_alu instid0(VALU_DEP_1) | instskip(NEXT) | instid1(VALU_DEP_2)
	v_dual_lshlrev_b32 v6, 8, v6 :: v_dual_lshlrev_b32 v33, 7, v33
	v_lshl_add_u32 v37, v37, 10, 0x2000
	s_delay_alu instid0(VALU_DEP_2) | instskip(NEXT) | instid1(VALU_DEP_2)
	v_and_b32_e32 v6, 0x8000, v6
	v_and_b32_e32 v37, 0xfc00, v37
	s_delay_alu instid0(VALU_DEP_1)
	v_or3_b32 v33, v6, v37, v33
.LBB298_1842:                           ;   in Loop: Header=BB298_1062 Depth=1
	s_or_b32 exec_lo, exec_lo, s17
.LBB298_1843:                           ;   in Loop: Header=BB298_1062 Depth=1
	s_delay_alu instid0(SALU_CYCLE_1)
	s_or_b32 exec_lo, exec_lo, s16
.LBB298_1844:                           ;   in Loop: Header=BB298_1062 Depth=1
	s_delay_alu instid0(SALU_CYCLE_1)
	s_or_b32 exec_lo, exec_lo, s15
	v_cmp_lt_u64_e64 s0, s[2:3], v[34:35]
	v_mov_b32_e32 v34, 0
	s_and_saveexec_b32 s15, s0
	s_cbranch_execz .LBB298_1852
; %bb.1845:                             ;   in Loop: Header=BB298_1062 Depth=1
	v_lshrrev_b32_e32 v6, 24, v35
	v_bfrev_b32_e32 v34, 1
	s_mov_b32 s16, exec_lo
	s_delay_alu instid0(VALU_DEP_2)
	v_cmpx_ne_u32_e32 0x80, v6
	s_cbranch_execz .LBB298_1851
; %bb.1846:                             ;   in Loop: Header=BB298_1062 Depth=1
	v_and_b32_e32 v37, 0x7f, v6
	v_mov_b32_e32 v34, 0x7c010000
	s_mov_b32 s17, exec_lo
	s_delay_alu instid0(VALU_DEP_2)
	v_cmpx_ne_u32_e32 0x7f, v37
	s_cbranch_execz .LBB298_1850
; %bb.1847:                             ;   in Loop: Header=BB298_1062 Depth=1
	v_dual_lshrrev_b32 v35, 3, v37 :: v_dual_bitop2_b32 v34, 7, v6 bitop3:0x40
	s_mov_b32 s18, exec_lo
	v_cmpx_gt_u32_e32 8, v37
; %bb.1848:                             ;   in Loop: Header=BB298_1062 Depth=1
	s_delay_alu instid0(VALU_DEP_2) | instskip(NEXT) | instid1(VALU_DEP_1)
	v_clz_i32_u32_e32 v34, v34
	v_min_u32_e32 v37, 32, v34
	s_delay_alu instid0(VALU_DEP_1) | instskip(NEXT) | instid1(VALU_DEP_1)
	v_subrev_nc_u32_e32 v34, 28, v37
	v_lshlrev_b64_e32 v[34:35], v34, v[6:7]
	s_delay_alu instid0(VALU_DEP_1)
	v_dual_sub_nc_u32 v35, 29, v37 :: v_dual_bitop2_b32 v34, 7, v34 bitop3:0x40
; %bb.1849:                             ;   in Loop: Header=BB298_1062 Depth=1
	s_or_b32 exec_lo, exec_lo, s18
	v_lshlrev_b32_e32 v6, 8, v6
	s_delay_alu instid0(VALU_DEP_2) | instskip(NEXT) | instid1(VALU_DEP_3)
	v_lshl_add_u32 v35, v35, 10, 0x2000
	v_lshlrev_b32_e32 v34, 23, v34
	s_delay_alu instid0(VALU_DEP_2) | instskip(NEXT) | instid1(VALU_DEP_1)
	v_and_or_b32 v6, 0x8000, v6, v35
	v_lshl_or_b32 v34, v6, 16, v34
.LBB298_1850:                           ;   in Loop: Header=BB298_1062 Depth=1
	s_or_b32 exec_lo, exec_lo, s17
.LBB298_1851:                           ;   in Loop: Header=BB298_1062 Depth=1
	s_delay_alu instid0(SALU_CYCLE_1)
	s_or_b32 exec_lo, exec_lo, s16
.LBB298_1852:                           ;   in Loop: Header=BB298_1062 Depth=1
	s_delay_alu instid0(SALU_CYCLE_1) | instskip(SKIP_4) | instid1(VALU_DEP_4)
	s_or_b32 exec_lo, exec_lo, s15
	v_dual_lshrrev_b32 v6, 16, v1 :: v_dual_lshrrev_b32 v35, 16, v19
	v_or_b32_e32 v1, v1, v18
	v_or_b32_e32 v22, v19, v22
	;; [unrolled: 1-line block ×3, first 2 shown]
	v_cvt_f32_f16_e32 v19, v6
	v_cvt_f32_f16_e32 v18, v35
	v_dual_lshrrev_b32 v34, 16, v34 :: v_dual_bitop2_b32 v6, v34, v33 bitop3:0x54
	v_lshrrev_b32_e32 v33, 16, v36
	v_cvt_f32_f16_e32 v23, v1
	s_delay_alu instid0(VALU_DEP_3) | instskip(NEXT) | instid1(VALU_DEP_4)
	v_cvt_f32_f16_e32 v36, v6
	v_cvt_f32_f16_e32 v34, v34
	s_wait_loadcnt_dscnt 0x0
	v_pk_mul_f32 v[18:19], v[32:33], v[18:19] op_sel_hi:[0,1]
	v_cvt_f32_f16_e32 v35, v33
	s_delay_alu instid0(VALU_DEP_2) | instskip(NEXT) | instid1(VALU_DEP_2)
	v_cvt_pk_f16_f32 v1, v18, v19
	v_pk_mul_f32 v[18:19], v[32:33], v[34:35] op_sel_hi:[0,1]
	s_delay_alu instid0(VALU_DEP_2) | instskip(SKIP_2) | instid1(VALU_DEP_4)
	v_lshlrev_b32_e32 v34, 16, v1
	v_cvt_f32_f16_e32 v22, v22
	v_and_b32_e32 v35, 0xffff0000, v1
	v_cvt_pk_f16_f32 v18, v18, v19
	s_delay_alu instid0(VALU_DEP_3) | instskip(NEXT) | instid1(VALU_DEP_2)
	v_pk_mul_f32 v[22:23], v[32:33], v[22:23] op_sel_hi:[0,1]
	v_and_b32_e32 v19, 0xffff0000, v18
	s_delay_alu instid0(VALU_DEP_2) | instskip(NEXT) | instid1(VALU_DEP_1)
	v_cvt_pk_f16_f32 v6, v22, v23
	v_lshrrev_b32_e32 v49, 16, v6
	v_cvt_f32_f16_e32 v37, v37
	v_and_b32_e32 v48, 0xffff, v6
	s_delay_alu instid0(VALU_DEP_3) | instskip(NEXT) | instid1(VALU_DEP_3)
	v_or_b32_e32 v39, v35, v49
	v_pk_mul_f32 v[32:33], v[32:33], v[36:37] op_sel_hi:[0,1]
	s_delay_alu instid0(VALU_DEP_3) | instskip(NEXT) | instid1(VALU_DEP_2)
	v_or_b32_e32 v38, v34, v48
	v_cvt_pk_f16_f32 v1, v32, v33
	s_delay_alu instid0(VALU_DEP_1) | instskip(SKIP_1) | instid1(VALU_DEP_2)
	v_dual_lshlrev_b32 v6, 16, v18 :: v_dual_lshrrev_b32 v33, 16, v1
	v_and_b32_e32 v32, 0xffff, v1
	v_or_b32_e32 v37, v19, v33
	s_delay_alu instid0(VALU_DEP_2)
	v_or_b32_e32 v36, v6, v32
	s_and_saveexec_b32 s15, vcc_lo
	s_cbranch_execz .LBB298_1854
; %bb.1853:                             ;   in Loop: Header=BB298_1062 Depth=1
	v_cmp_lt_i32_e64 s0, v54, v13
	s_delay_alu instid0(VALU_DEP_1) | instskip(SKIP_1) | instid1(VALU_DEP_1)
	v_cndmask_b32_e64 v1, 0, v49, s0
	v_cmp_lt_i32_e64 s0, v70, v58
	v_cndmask_b32_e64 v18, 0, v48, s0
	v_cmp_lt_i32_e64 s0, v69, v13
	s_delay_alu instid0(VALU_DEP_1) | instskip(SKIP_1) | instid1(VALU_DEP_1)
	v_cndmask_b32_e64 v22, 0, v35, s0
	v_cmp_lt_i32_e64 s0, v68, v58
	v_cndmask_b32_e64 v23, 0, v34, s0
	v_cmp_lt_i32_e64 s0, v67, v13
	s_delay_alu instid0(VALU_DEP_4) | instskip(NEXT) | instid1(VALU_DEP_2)
	v_or_b32_e32 v39, v1, v22
	v_dual_cndmask_b32 v33, 0, v33, s0 :: v_dual_bitop2_b32 v38, v18, v23 bitop3:0x54
	v_cmp_lt_i32_e64 s0, v66, v58
	s_delay_alu instid0(VALU_DEP_1) | instskip(SKIP_1) | instid1(VALU_DEP_1)
	v_cndmask_b32_e64 v32, 0, v32, s0
	v_cmp_lt_i32_e64 s0, v65, v13
	v_cndmask_b32_e64 v19, 0, v19, s0
	v_cmp_lt_i32_e64 s0, v0, v58
	s_delay_alu instid0(VALU_DEP_1) | instskip(NEXT) | instid1(VALU_DEP_1)
	v_dual_cndmask_b32 v6, 0, v6, s0 :: v_dual_bitop2_b32 v37, v33, v19 bitop3:0x54
	v_or_b32_e32 v36, v32, v6
.LBB298_1854:                           ;   in Loop: Header=BB298_1062 Depth=1
	s_or_b32 exec_lo, exec_lo, s15
	;;#ASMSTART
	v_pk_mul_f16 v1, v82, v39;

	;;#ASMEND
	;;#ASMSTART
	v_pk_mul_f16 v6, v81, v38;

	;;#ASMEND
	;; [unrolled: 4-line block ×4, first 2 shown]
	;;#ASMSTART
	v_pk_add_f16 v1, v1, v6;

	;;#ASMEND
	;;#ASMSTART
	v_pk_add_f16 v1, v1, v18;

	;;#ASMEND
	;; [unrolled: 4-line block ×3, first 2 shown]
	v_and_b32_e32 v6, 0xffff, v1
	v_lshrrev_b32_e32 v1, 16, v1
	;;#ASMSTART
	v_cvt_f32_f16 v41, v6;
	;;#ASMEND
	;;#ASMSTART
	v_cvt_f32_f16 v42, v1;
	;;#ASMEND
	flat_load_b64 v[34:35], v[14:15] offset:3072
	scratch_load_b64 v[18:19], off, s32 offset:192 ; 8-byte Folded Reload
	v_mov_b32_e32 v1, 0
	s_mov_b32 s15, exec_lo
	s_wait_loadcnt_dscnt 0x100
	v_and_b32_e32 v6, 0xff, v34
	s_wait_loadcnt 0x0
	flat_load_b32 v32, v[18:19]
	s_wait_xcnt 0x0
	v_mov_b32_e32 v18, 0
	v_cmpx_ne_u16_e32 0, v6
	s_cbranch_execz .LBB298_1862
; %bb.1855:                             ;   in Loop: Header=BB298_1062 Depth=1
	v_mov_b32_e32 v18, 0x8000
	s_mov_b32 s16, exec_lo
	v_cmpx_ne_u16_e32 0x80, v6
	s_cbranch_execz .LBB298_1861
; %bb.1856:                             ;   in Loop: Header=BB298_1062 Depth=1
	v_and_b32_e32 v19, 0x7f, v34
	v_mov_b32_e32 v18, 0x7c01
	s_mov_b32 s17, exec_lo
	s_delay_alu instid0(VALU_DEP_2)
	v_cmpx_ne_u32_e32 0x7f, v19
	s_cbranch_execz .LBB298_1860
; %bb.1857:                             ;   in Loop: Header=BB298_1062 Depth=1
	v_dual_lshrrev_b32 v18, 3, v19 :: v_dual_bitop2_b32 v6, 7, v34 bitop3:0x40
	s_mov_b32 s18, exec_lo
	v_cmpx_gt_u32_e32 8, v19
; %bb.1858:                             ;   in Loop: Header=BB298_1062 Depth=1
	s_delay_alu instid0(VALU_DEP_2) | instskip(NEXT) | instid1(VALU_DEP_1)
	v_clz_i32_u32_e32 v6, v6
	v_min_u32_e32 v6, 32, v6
	s_delay_alu instid0(VALU_DEP_1) | instskip(NEXT) | instid1(VALU_DEP_1)
	v_subrev_nc_u32_e32 v18, 28, v6
	v_lshlrev_b64_e32 v[22:23], v18, v[34:35]
	v_sub_nc_u32_e32 v18, 29, v6
	s_delay_alu instid0(VALU_DEP_2)
	v_and_b32_e32 v6, 7, v22
; %bb.1859:                             ;   in Loop: Header=BB298_1062 Depth=1
	s_or_b32 exec_lo, exec_lo, s18
	v_lshlrev_b32_e32 v19, 8, v34
	s_delay_alu instid0(VALU_DEP_3) | instskip(NEXT) | instid1(VALU_DEP_3)
	v_lshl_add_u32 v18, v18, 10, 0x2000
	v_lshlrev_b32_e32 v6, 7, v6
	s_delay_alu instid0(VALU_DEP_3) | instskip(NEXT) | instid1(VALU_DEP_3)
	v_and_b32_e32 v19, 0x8000, v19
	v_and_b32_e32 v18, 0xfc00, v18
	s_delay_alu instid0(VALU_DEP_1)
	v_or3_b32 v18, v19, v18, v6
.LBB298_1860:                           ;   in Loop: Header=BB298_1062 Depth=1
	s_or_b32 exec_lo, exec_lo, s17
.LBB298_1861:                           ;   in Loop: Header=BB298_1062 Depth=1
	s_delay_alu instid0(SALU_CYCLE_1)
	s_or_b32 exec_lo, exec_lo, s16
.LBB298_1862:                           ;   in Loop: Header=BB298_1062 Depth=1
	s_delay_alu instid0(SALU_CYCLE_1) | instskip(SKIP_2) | instid1(VALU_DEP_1)
	s_or_b32 exec_lo, exec_lo, s15
	v_lshrrev_b16 v6, 8, v34
	s_mov_b32 s15, exec_lo
	v_cmpx_ne_u16_e32 0, v6
	s_cbranch_execz .LBB298_1870
; %bb.1863:                             ;   in Loop: Header=BB298_1062 Depth=1
	v_bfrev_b32_e32 v1, 1
	s_mov_b32 s16, exec_lo
	v_cmpx_ne_u16_e32 0x80, v6
	s_cbranch_execz .LBB298_1869
; %bb.1864:                             ;   in Loop: Header=BB298_1062 Depth=1
	v_and_b32_e32 v19, 0xffff, v6
	v_mov_b32_e32 v1, 0x7c010000
	s_mov_b32 s17, exec_lo
	s_delay_alu instid0(VALU_DEP_2) | instskip(NEXT) | instid1(VALU_DEP_1)
	v_and_b32_e32 v23, 0x7f, v19
	v_cmpx_ne_u32_e32 0x7f, v23
	s_cbranch_execz .LBB298_1868
; %bb.1865:                             ;   in Loop: Header=BB298_1062 Depth=1
	v_and_b32_e32 v1, 7, v19
	v_lshrrev_b32_e32 v22, 3, v23
	s_mov_b32 s18, exec_lo
	v_cmpx_gt_u32_e32 8, v23
; %bb.1866:                             ;   in Loop: Header=BB298_1062 Depth=1
	s_delay_alu instid0(VALU_DEP_3) | instskip(NEXT) | instid1(VALU_DEP_1)
	v_clz_i32_u32_e32 v1, v1
	v_min_u32_e32 v1, 32, v1
	s_delay_alu instid0(VALU_DEP_1) | instskip(NEXT) | instid1(VALU_DEP_1)
	v_subrev_nc_u32_e32 v22, 28, v1
	v_lshlrev_b64_e32 v[36:37], v22, v[6:7]
	s_delay_alu instid0(VALU_DEP_1)
	v_dual_sub_nc_u32 v22, 29, v1 :: v_dual_bitop2_b32 v1, 7, v36 bitop3:0x40
; %bb.1867:                             ;   in Loop: Header=BB298_1062 Depth=1
	s_or_b32 exec_lo, exec_lo, s18
	s_delay_alu instid0(VALU_DEP_1) | instskip(NEXT) | instid1(VALU_DEP_2)
	v_dual_lshlrev_b32 v6, 8, v19 :: v_dual_lshlrev_b32 v1, 23, v1
	v_lshl_add_u32 v19, v22, 10, 0x2000
	s_delay_alu instid0(VALU_DEP_1) | instskip(NEXT) | instid1(VALU_DEP_1)
	v_and_or_b32 v6, 0x8000, v6, v19
	v_lshl_or_b32 v1, v6, 16, v1
.LBB298_1868:                           ;   in Loop: Header=BB298_1062 Depth=1
	s_or_b32 exec_lo, exec_lo, s17
.LBB298_1869:                           ;   in Loop: Header=BB298_1062 Depth=1
	s_delay_alu instid0(SALU_CYCLE_1)
	s_or_b32 exec_lo, exec_lo, s16
.LBB298_1870:                           ;   in Loop: Header=BB298_1062 Depth=1
	s_delay_alu instid0(SALU_CYCLE_1) | instskip(SKIP_3) | instid1(VALU_DEP_2)
	s_or_b32 exec_lo, exec_lo, s15
	v_dual_mov_b32 v19, 0 :: v_dual_lshrrev_b32 v6, 16, v34
	v_mov_b32_e32 v22, 0
	s_mov_b32 s15, exec_lo
	v_and_b32_e32 v23, 0xff, v6
	s_delay_alu instid0(VALU_DEP_1)
	v_cmpx_ne_u16_e32 0, v23
	s_cbranch_execz .LBB298_1878
; %bb.1871:                             ;   in Loop: Header=BB298_1062 Depth=1
	v_mov_b32_e32 v22, 0x8000
	s_mov_b32 s16, exec_lo
	v_cmpx_ne_u16_e32 0x80, v23
	s_cbranch_execz .LBB298_1877
; %bb.1872:                             ;   in Loop: Header=BB298_1062 Depth=1
	v_bfe_u32 v33, v34, 16, 7
	v_mov_b32_e32 v22, 0x7c01
	s_mov_b32 s17, exec_lo
	s_delay_alu instid0(VALU_DEP_2)
	v_cmpx_ne_u32_e32 0x7f, v33
	s_cbranch_execz .LBB298_1876
; %bb.1873:                             ;   in Loop: Header=BB298_1062 Depth=1
	v_dual_lshrrev_b32 v23, 3, v33 :: v_dual_bitop2_b32 v22, 7, v6 bitop3:0x40
	s_mov_b32 s18, exec_lo
	v_cmpx_gt_u32_e32 8, v33
; %bb.1874:                             ;   in Loop: Header=BB298_1062 Depth=1
	s_delay_alu instid0(VALU_DEP_2) | instskip(NEXT) | instid1(VALU_DEP_1)
	v_clz_i32_u32_e32 v22, v22
	v_min_u32_e32 v33, 32, v22
	s_delay_alu instid0(VALU_DEP_1) | instskip(NEXT) | instid1(VALU_DEP_1)
	v_subrev_nc_u32_e32 v22, 28, v33
	v_lshlrev_b64_e32 v[22:23], v22, v[6:7]
	s_delay_alu instid0(VALU_DEP_1)
	v_dual_sub_nc_u32 v23, 29, v33 :: v_dual_bitop2_b32 v22, 7, v22 bitop3:0x40
; %bb.1875:                             ;   in Loop: Header=BB298_1062 Depth=1
	s_or_b32 exec_lo, exec_lo, s18
	v_lshlrev_b32_e32 v6, 8, v6
	s_delay_alu instid0(VALU_DEP_2) | instskip(NEXT) | instid1(VALU_DEP_3)
	v_lshl_add_u32 v23, v23, 10, 0x2000
	v_lshlrev_b32_e32 v22, 7, v22
	s_delay_alu instid0(VALU_DEP_3) | instskip(NEXT) | instid1(VALU_DEP_3)
	v_and_b32_e32 v6, 0x8000, v6
	v_and_b32_e32 v23, 0xfc00, v23
	s_delay_alu instid0(VALU_DEP_1)
	v_or3_b32 v22, v6, v23, v22
.LBB298_1876:                           ;   in Loop: Header=BB298_1062 Depth=1
	s_or_b32 exec_lo, exec_lo, s17
.LBB298_1877:                           ;   in Loop: Header=BB298_1062 Depth=1
	s_delay_alu instid0(SALU_CYCLE_1)
	s_or_b32 exec_lo, exec_lo, s16
.LBB298_1878:                           ;   in Loop: Header=BB298_1062 Depth=1
	s_delay_alu instid0(SALU_CYCLE_1) | instskip(NEXT) | instid1(SALU_CYCLE_1)
	s_or_b32 exec_lo, exec_lo, s15
	s_mov_b32 s15, exec_lo
	v_cmpx_lt_u32_e32 0xffffff, v34
	s_cbranch_execz .LBB298_1886
; %bb.1879:                             ;   in Loop: Header=BB298_1062 Depth=1
	v_lshrrev_b32_e32 v6, 24, v34
	v_bfrev_b32_e32 v19, 1
	s_mov_b32 s16, exec_lo
	s_delay_alu instid0(VALU_DEP_2)
	v_cmpx_ne_u32_e32 0x80, v6
	s_cbranch_execz .LBB298_1885
; %bb.1880:                             ;   in Loop: Header=BB298_1062 Depth=1
	v_and_b32_e32 v33, 0x7f, v6
	v_mov_b32_e32 v19, 0x7c010000
	s_mov_b32 s17, exec_lo
	s_delay_alu instid0(VALU_DEP_2)
	v_cmpx_ne_u32_e32 0x7f, v33
	s_cbranch_execz .LBB298_1884
; %bb.1881:                             ;   in Loop: Header=BB298_1062 Depth=1
	v_dual_lshrrev_b32 v23, 3, v33 :: v_dual_bitop2_b32 v19, 7, v6 bitop3:0x40
	s_mov_b32 s18, exec_lo
	v_cmpx_gt_u32_e32 8, v33
; %bb.1882:                             ;   in Loop: Header=BB298_1062 Depth=1
	s_delay_alu instid0(VALU_DEP_2) | instskip(NEXT) | instid1(VALU_DEP_1)
	v_clz_i32_u32_e32 v19, v19
	v_min_u32_e32 v19, 32, v19
	s_delay_alu instid0(VALU_DEP_1) | instskip(NEXT) | instid1(VALU_DEP_1)
	v_subrev_nc_u32_e32 v23, 28, v19
	v_lshlrev_b64_e32 v[36:37], v23, v[6:7]
	s_delay_alu instid0(VALU_DEP_1)
	v_dual_sub_nc_u32 v23, 29, v19 :: v_dual_bitop2_b32 v19, 7, v36 bitop3:0x40
; %bb.1883:                             ;   in Loop: Header=BB298_1062 Depth=1
	s_or_b32 exec_lo, exec_lo, s18
	s_delay_alu instid0(VALU_DEP_1) | instskip(NEXT) | instid1(VALU_DEP_2)
	v_dual_lshlrev_b32 v6, 8, v6 :: v_dual_lshlrev_b32 v19, 23, v19
	v_lshl_add_u32 v23, v23, 10, 0x2000
	s_delay_alu instid0(VALU_DEP_1) | instskip(NEXT) | instid1(VALU_DEP_1)
	v_and_or_b32 v6, 0x8000, v6, v23
	v_lshl_or_b32 v19, v6, 16, v19
.LBB298_1884:                           ;   in Loop: Header=BB298_1062 Depth=1
	s_or_b32 exec_lo, exec_lo, s17
.LBB298_1885:                           ;   in Loop: Header=BB298_1062 Depth=1
	s_delay_alu instid0(SALU_CYCLE_1)
	s_or_b32 exec_lo, exec_lo, s16
.LBB298_1886:                           ;   in Loop: Header=BB298_1062 Depth=1
	s_delay_alu instid0(SALU_CYCLE_1) | instskip(SKIP_4) | instid1(VALU_DEP_3)
	s_or_b32 exec_lo, exec_lo, s15
	v_and_b32_e32 v36, 0xff, v35
	v_dual_mov_b32 v6, v35 :: v_dual_mov_b32 v33, 0
	v_mov_b32_e32 v23, 0
	s_mov_b32 s15, exec_lo
	v_cmpx_ne_u16_e32 0, v36
	s_cbranch_execz .LBB298_1894
; %bb.1887:                             ;   in Loop: Header=BB298_1062 Depth=1
	v_mov_b32_e32 v23, 0x8000
	s_mov_b32 s16, exec_lo
	v_cmpx_ne_u16_e32 0x80, v36
	s_cbranch_execz .LBB298_1893
; %bb.1888:                             ;   in Loop: Header=BB298_1062 Depth=1
	v_and_b32_e32 v37, 0x7f, v35
	v_mov_b32_e32 v23, 0x7c01
	s_mov_b32 s17, exec_lo
	s_delay_alu instid0(VALU_DEP_2)
	v_cmpx_ne_u32_e32 0x7f, v37
	s_cbranch_execz .LBB298_1892
; %bb.1889:                             ;   in Loop: Header=BB298_1062 Depth=1
	v_dual_lshrrev_b32 v36, 3, v37 :: v_dual_bitop2_b32 v23, 7, v35 bitop3:0x40
	s_mov_b32 s18, exec_lo
	v_cmpx_gt_u32_e32 8, v37
; %bb.1890:                             ;   in Loop: Header=BB298_1062 Depth=1
	s_delay_alu instid0(VALU_DEP_2) | instskip(NEXT) | instid1(VALU_DEP_1)
	v_clz_i32_u32_e32 v23, v23
	v_min_u32_e32 v23, 32, v23
	s_delay_alu instid0(VALU_DEP_1) | instskip(NEXT) | instid1(VALU_DEP_1)
	v_subrev_nc_u32_e32 v36, 28, v23
	v_lshlrev_b64_e32 v[38:39], v36, v[6:7]
	s_delay_alu instid0(VALU_DEP_1)
	v_dual_sub_nc_u32 v36, 29, v23 :: v_dual_bitop2_b32 v23, 7, v38 bitop3:0x40
; %bb.1891:                             ;   in Loop: Header=BB298_1062 Depth=1
	s_or_b32 exec_lo, exec_lo, s18
	v_lshlrev_b32_e32 v37, 8, v35
	s_delay_alu instid0(VALU_DEP_2) | instskip(NEXT) | instid1(VALU_DEP_3)
	v_lshl_add_u32 v36, v36, 10, 0x2000
	v_lshlrev_b32_e32 v23, 7, v23
	s_delay_alu instid0(VALU_DEP_3) | instskip(NEXT) | instid1(VALU_DEP_3)
	v_and_b32_e32 v37, 0x8000, v37
	v_and_b32_e32 v36, 0xfc00, v36
	s_delay_alu instid0(VALU_DEP_1)
	v_or3_b32 v23, v37, v36, v23
.LBB298_1892:                           ;   in Loop: Header=BB298_1062 Depth=1
	s_or_b32 exec_lo, exec_lo, s17
.LBB298_1893:                           ;   in Loop: Header=BB298_1062 Depth=1
	s_delay_alu instid0(SALU_CYCLE_1)
	s_or_b32 exec_lo, exec_lo, s16
.LBB298_1894:                           ;   in Loop: Header=BB298_1062 Depth=1
	s_delay_alu instid0(SALU_CYCLE_1) | instskip(SKIP_3) | instid1(VALU_DEP_2)
	s_or_b32 exec_lo, exec_lo, s15
	v_lshrrev_b16 v6, 8, v6
	v_mov_b32_e32 v36, 0
	s_mov_b32 s15, exec_lo
	v_cmpx_ne_u16_e32 0, v6
	s_cbranch_execz .LBB298_1902
; %bb.1895:                             ;   in Loop: Header=BB298_1062 Depth=1
	v_bfrev_b32_e32 v36, 1
	s_mov_b32 s16, exec_lo
	v_cmpx_ne_u16_e32 0x80, v6
	s_cbranch_execz .LBB298_1901
; %bb.1896:                             ;   in Loop: Header=BB298_1062 Depth=1
	v_and_b32_e32 v37, 0xffff, v6
	v_mov_b32_e32 v36, 0x7c010000
	s_mov_b32 s17, exec_lo
	s_delay_alu instid0(VALU_DEP_2) | instskip(NEXT) | instid1(VALU_DEP_1)
	v_and_b32_e32 v39, 0x7f, v37
	v_cmpx_ne_u32_e32 0x7f, v39
	s_cbranch_execz .LBB298_1900
; %bb.1897:                             ;   in Loop: Header=BB298_1062 Depth=1
	v_dual_lshrrev_b32 v38, 3, v39 :: v_dual_bitop2_b32 v36, 7, v37 bitop3:0x40
	s_mov_b32 s18, exec_lo
	v_cmpx_gt_u32_e32 8, v39
; %bb.1898:                             ;   in Loop: Header=BB298_1062 Depth=1
	s_delay_alu instid0(VALU_DEP_2) | instskip(NEXT) | instid1(VALU_DEP_1)
	v_clz_i32_u32_e32 v36, v36
	v_min_u32_e32 v36, 32, v36
	s_delay_alu instid0(VALU_DEP_1) | instskip(NEXT) | instid1(VALU_DEP_1)
	v_subrev_nc_u32_e32 v38, 28, v36
	v_lshlrev_b64_e32 v[48:49], v38, v[6:7]
	v_sub_nc_u32_e32 v38, 29, v36
	s_delay_alu instid0(VALU_DEP_2)
	v_and_b32_e32 v36, 7, v48
; %bb.1899:                             ;   in Loop: Header=BB298_1062 Depth=1
	s_or_b32 exec_lo, exec_lo, s18
	s_delay_alu instid0(VALU_DEP_1) | instskip(NEXT) | instid1(VALU_DEP_3)
	v_dual_lshlrev_b32 v6, 8, v37 :: v_dual_lshlrev_b32 v36, 23, v36
	v_lshl_add_u32 v37, v38, 10, 0x2000
	s_delay_alu instid0(VALU_DEP_1) | instskip(NEXT) | instid1(VALU_DEP_1)
	v_and_or_b32 v6, 0x8000, v6, v37
	v_lshl_or_b32 v36, v6, 16, v36
.LBB298_1900:                           ;   in Loop: Header=BB298_1062 Depth=1
	s_or_b32 exec_lo, exec_lo, s17
.LBB298_1901:                           ;   in Loop: Header=BB298_1062 Depth=1
	s_delay_alu instid0(SALU_CYCLE_1)
	s_or_b32 exec_lo, exec_lo, s16
.LBB298_1902:                           ;   in Loop: Header=BB298_1062 Depth=1
	s_delay_alu instid0(SALU_CYCLE_1) | instskip(SKIP_2) | instid1(VALU_DEP_1)
	s_or_b32 exec_lo, exec_lo, s15
	v_lshrrev_b32_e32 v6, 16, v35
	s_mov_b32 s15, exec_lo
	v_and_b32_e32 v37, 0xff, v6
	s_delay_alu instid0(VALU_DEP_1)
	v_cmpx_ne_u16_e32 0, v37
	s_cbranch_execz .LBB298_1910
; %bb.1903:                             ;   in Loop: Header=BB298_1062 Depth=1
	v_mov_b32_e32 v33, 0x8000
	s_mov_b32 s16, exec_lo
	v_cmpx_ne_u16_e32 0x80, v37
	s_cbranch_execz .LBB298_1909
; %bb.1904:                             ;   in Loop: Header=BB298_1062 Depth=1
	v_bfe_u32 v38, v35, 16, 7
	v_mov_b32_e32 v33, 0x7c01
	s_mov_b32 s17, exec_lo
	s_delay_alu instid0(VALU_DEP_2)
	v_cmpx_ne_u32_e32 0x7f, v38
	s_cbranch_execz .LBB298_1908
; %bb.1905:                             ;   in Loop: Header=BB298_1062 Depth=1
	v_and_b32_e32 v33, 7, v6
	v_lshrrev_b32_e32 v37, 3, v38
	s_mov_b32 s18, exec_lo
	v_cmpx_gt_u32_e32 8, v38
; %bb.1906:                             ;   in Loop: Header=BB298_1062 Depth=1
	s_delay_alu instid0(VALU_DEP_3) | instskip(NEXT) | instid1(VALU_DEP_1)
	v_clz_i32_u32_e32 v33, v33
	v_min_u32_e32 v33, 32, v33
	s_delay_alu instid0(VALU_DEP_1) | instskip(NEXT) | instid1(VALU_DEP_1)
	v_subrev_nc_u32_e32 v37, 28, v33
	v_lshlrev_b64_e32 v[38:39], v37, v[6:7]
	s_delay_alu instid0(VALU_DEP_1)
	v_dual_sub_nc_u32 v37, 29, v33 :: v_dual_bitop2_b32 v33, 7, v38 bitop3:0x40
; %bb.1907:                             ;   in Loop: Header=BB298_1062 Depth=1
	s_or_b32 exec_lo, exec_lo, s18
	s_delay_alu instid0(VALU_DEP_1) | instskip(NEXT) | instid1(VALU_DEP_2)
	v_dual_lshlrev_b32 v6, 8, v6 :: v_dual_lshlrev_b32 v33, 7, v33
	v_lshl_add_u32 v37, v37, 10, 0x2000
	s_delay_alu instid0(VALU_DEP_2) | instskip(NEXT) | instid1(VALU_DEP_2)
	v_and_b32_e32 v6, 0x8000, v6
	v_and_b32_e32 v37, 0xfc00, v37
	s_delay_alu instid0(VALU_DEP_1)
	v_or3_b32 v33, v6, v37, v33
.LBB298_1908:                           ;   in Loop: Header=BB298_1062 Depth=1
	s_or_b32 exec_lo, exec_lo, s17
.LBB298_1909:                           ;   in Loop: Header=BB298_1062 Depth=1
	s_delay_alu instid0(SALU_CYCLE_1)
	s_or_b32 exec_lo, exec_lo, s16
.LBB298_1910:                           ;   in Loop: Header=BB298_1062 Depth=1
	s_delay_alu instid0(SALU_CYCLE_1)
	s_or_b32 exec_lo, exec_lo, s15
	v_cmp_lt_u64_e64 s0, s[2:3], v[34:35]
	v_mov_b32_e32 v34, 0
	s_and_saveexec_b32 s15, s0
	s_cbranch_execz .LBB298_1918
; %bb.1911:                             ;   in Loop: Header=BB298_1062 Depth=1
	v_lshrrev_b32_e32 v6, 24, v35
	v_bfrev_b32_e32 v34, 1
	s_mov_b32 s16, exec_lo
	s_delay_alu instid0(VALU_DEP_2)
	v_cmpx_ne_u32_e32 0x80, v6
	s_cbranch_execz .LBB298_1917
; %bb.1912:                             ;   in Loop: Header=BB298_1062 Depth=1
	v_and_b32_e32 v37, 0x7f, v6
	v_mov_b32_e32 v34, 0x7c010000
	s_mov_b32 s17, exec_lo
	s_delay_alu instid0(VALU_DEP_2)
	v_cmpx_ne_u32_e32 0x7f, v37
	s_cbranch_execz .LBB298_1916
; %bb.1913:                             ;   in Loop: Header=BB298_1062 Depth=1
	v_dual_lshrrev_b32 v35, 3, v37 :: v_dual_bitop2_b32 v34, 7, v6 bitop3:0x40
	s_mov_b32 s18, exec_lo
	v_cmpx_gt_u32_e32 8, v37
; %bb.1914:                             ;   in Loop: Header=BB298_1062 Depth=1
	s_delay_alu instid0(VALU_DEP_2) | instskip(NEXT) | instid1(VALU_DEP_1)
	v_clz_i32_u32_e32 v34, v34
	v_min_u32_e32 v37, 32, v34
	s_delay_alu instid0(VALU_DEP_1) | instskip(NEXT) | instid1(VALU_DEP_1)
	v_subrev_nc_u32_e32 v34, 28, v37
	v_lshlrev_b64_e32 v[34:35], v34, v[6:7]
	s_delay_alu instid0(VALU_DEP_1)
	v_dual_sub_nc_u32 v35, 29, v37 :: v_dual_bitop2_b32 v34, 7, v34 bitop3:0x40
; %bb.1915:                             ;   in Loop: Header=BB298_1062 Depth=1
	s_or_b32 exec_lo, exec_lo, s18
	v_lshlrev_b32_e32 v6, 8, v6
	s_delay_alu instid0(VALU_DEP_2) | instskip(NEXT) | instid1(VALU_DEP_3)
	v_lshl_add_u32 v35, v35, 10, 0x2000
	v_lshlrev_b32_e32 v34, 23, v34
	s_delay_alu instid0(VALU_DEP_2) | instskip(NEXT) | instid1(VALU_DEP_1)
	v_and_or_b32 v6, 0x8000, v6, v35
	v_lshl_or_b32 v34, v6, 16, v34
.LBB298_1916:                           ;   in Loop: Header=BB298_1062 Depth=1
	s_or_b32 exec_lo, exec_lo, s17
.LBB298_1917:                           ;   in Loop: Header=BB298_1062 Depth=1
	s_delay_alu instid0(SALU_CYCLE_1)
	s_or_b32 exec_lo, exec_lo, s16
.LBB298_1918:                           ;   in Loop: Header=BB298_1062 Depth=1
	s_delay_alu instid0(SALU_CYCLE_1) | instskip(SKIP_4) | instid1(VALU_DEP_4)
	s_or_b32 exec_lo, exec_lo, s15
	v_dual_lshrrev_b32 v6, 16, v1 :: v_dual_lshrrev_b32 v35, 16, v19
	v_or_b32_e32 v1, v1, v18
	v_or_b32_e32 v22, v19, v22
	v_or_b32_e32 v37, v36, v23
	v_cvt_f32_f16_e32 v19, v6
	v_cvt_f32_f16_e32 v18, v35
	v_dual_lshrrev_b32 v34, 16, v34 :: v_dual_bitop2_b32 v6, v34, v33 bitop3:0x54
	v_lshrrev_b32_e32 v33, 16, v36
	v_cvt_f32_f16_e32 v23, v1
	s_delay_alu instid0(VALU_DEP_3) | instskip(NEXT) | instid1(VALU_DEP_4)
	v_cvt_f32_f16_e32 v36, v6
	v_cvt_f32_f16_e32 v34, v34
	s_wait_loadcnt_dscnt 0x0
	v_pk_mul_f32 v[18:19], v[32:33], v[18:19] op_sel_hi:[0,1]
	v_cvt_f32_f16_e32 v35, v33
	s_delay_alu instid0(VALU_DEP_2) | instskip(NEXT) | instid1(VALU_DEP_2)
	v_cvt_pk_f16_f32 v1, v18, v19
	v_pk_mul_f32 v[18:19], v[32:33], v[34:35] op_sel_hi:[0,1]
	s_delay_alu instid0(VALU_DEP_2) | instskip(SKIP_2) | instid1(VALU_DEP_4)
	v_lshlrev_b32_e32 v34, 16, v1
	v_cvt_f32_f16_e32 v22, v22
	v_and_b32_e32 v35, 0xffff0000, v1
	v_cvt_pk_f16_f32 v18, v18, v19
	s_delay_alu instid0(VALU_DEP_3) | instskip(NEXT) | instid1(VALU_DEP_2)
	v_pk_mul_f32 v[22:23], v[32:33], v[22:23] op_sel_hi:[0,1]
	v_and_b32_e32 v19, 0xffff0000, v18
	s_delay_alu instid0(VALU_DEP_2) | instskip(NEXT) | instid1(VALU_DEP_1)
	v_cvt_pk_f16_f32 v6, v22, v23
	v_lshrrev_b32_e32 v49, 16, v6
	v_cvt_f32_f16_e32 v37, v37
	v_and_b32_e32 v48, 0xffff, v6
	s_delay_alu instid0(VALU_DEP_3) | instskip(NEXT) | instid1(VALU_DEP_3)
	v_or_b32_e32 v39, v35, v49
	v_pk_mul_f32 v[32:33], v[32:33], v[36:37] op_sel_hi:[0,1]
	s_delay_alu instid0(VALU_DEP_3) | instskip(NEXT) | instid1(VALU_DEP_2)
	v_or_b32_e32 v38, v34, v48
	v_cvt_pk_f16_f32 v1, v32, v33
	s_delay_alu instid0(VALU_DEP_1) | instskip(SKIP_1) | instid1(VALU_DEP_2)
	v_dual_lshlrev_b32 v6, 16, v18 :: v_dual_lshrrev_b32 v33, 16, v1
	v_and_b32_e32 v32, 0xffff, v1
	v_or_b32_e32 v37, v19, v33
	s_delay_alu instid0(VALU_DEP_2)
	v_or_b32_e32 v36, v6, v32
	s_and_saveexec_b32 s15, vcc_lo
	s_cbranch_execz .LBB298_1920
; %bb.1919:                             ;   in Loop: Header=BB298_1062 Depth=1
	v_cmp_lt_i32_e64 s0, v54, v13
	s_delay_alu instid0(VALU_DEP_1) | instskip(SKIP_1) | instid1(VALU_DEP_1)
	v_cndmask_b32_e64 v1, 0, v49, s0
	v_cmp_lt_i32_e64 s0, v70, v58
	v_cndmask_b32_e64 v18, 0, v48, s0
	v_cmp_lt_i32_e64 s0, v69, v13
	s_delay_alu instid0(VALU_DEP_1) | instskip(SKIP_1) | instid1(VALU_DEP_1)
	v_cndmask_b32_e64 v22, 0, v35, s0
	v_cmp_lt_i32_e64 s0, v68, v58
	v_cndmask_b32_e64 v23, 0, v34, s0
	v_cmp_lt_i32_e64 s0, v67, v13
	s_delay_alu instid0(VALU_DEP_4) | instskip(NEXT) | instid1(VALU_DEP_2)
	v_or_b32_e32 v39, v1, v22
	v_dual_cndmask_b32 v33, 0, v33, s0 :: v_dual_bitop2_b32 v38, v18, v23 bitop3:0x54
	v_cmp_lt_i32_e64 s0, v66, v58
	s_delay_alu instid0(VALU_DEP_1) | instskip(SKIP_1) | instid1(VALU_DEP_1)
	v_cndmask_b32_e64 v32, 0, v32, s0
	v_cmp_lt_i32_e64 s0, v65, v13
	v_cndmask_b32_e64 v19, 0, v19, s0
	v_cmp_lt_i32_e64 s0, v0, v58
	s_delay_alu instid0(VALU_DEP_1) | instskip(NEXT) | instid1(VALU_DEP_1)
	v_dual_cndmask_b32 v6, 0, v6, s0 :: v_dual_bitop2_b32 v37, v33, v19 bitop3:0x54
	v_or_b32_e32 v36, v32, v6
.LBB298_1920:                           ;   in Loop: Header=BB298_1062 Depth=1
	s_or_b32 exec_lo, exec_lo, s15
	;;#ASMSTART
	v_pk_mul_f16 v1, v82, v39;

	;;#ASMEND
	;;#ASMSTART
	v_pk_mul_f16 v6, v81, v38;

	;;#ASMEND
	;; [unrolled: 4-line block ×4, first 2 shown]
	;;#ASMSTART
	v_pk_add_f16 v1, v1, v6;

	;;#ASMEND
	;;#ASMSTART
	v_pk_add_f16 v1, v1, v18;

	;;#ASMEND
	;; [unrolled: 4-line block ×3, first 2 shown]
	v_and_b32_e32 v6, 0xffff, v1
	v_lshrrev_b32_e32 v1, 16, v1
	;;#ASMSTART
	v_cvt_f32_f16 v43, v6;
	;;#ASMEND
	;;#ASMSTART
	v_cvt_f32_f16 v44, v1;
	;;#ASMEND
	flat_load_b64 v[34:35], v[14:15] offset:3328
	scratch_load_b64 v[18:19], off, s32 offset:192 ; 8-byte Folded Reload
	v_mov_b32_e32 v1, 0
	s_mov_b32 s15, exec_lo
	s_wait_loadcnt_dscnt 0x100
	v_and_b32_e32 v6, 0xff, v34
	s_wait_loadcnt 0x0
	flat_load_b32 v32, v[18:19]
	s_wait_xcnt 0x0
	v_mov_b32_e32 v18, 0
	v_cmpx_ne_u16_e32 0, v6
	s_cbranch_execz .LBB298_1928
; %bb.1921:                             ;   in Loop: Header=BB298_1062 Depth=1
	v_mov_b32_e32 v18, 0x8000
	s_mov_b32 s16, exec_lo
	v_cmpx_ne_u16_e32 0x80, v6
	s_cbranch_execz .LBB298_1927
; %bb.1922:                             ;   in Loop: Header=BB298_1062 Depth=1
	v_and_b32_e32 v19, 0x7f, v34
	v_mov_b32_e32 v18, 0x7c01
	s_mov_b32 s17, exec_lo
	s_delay_alu instid0(VALU_DEP_2)
	v_cmpx_ne_u32_e32 0x7f, v19
	s_cbranch_execz .LBB298_1926
; %bb.1923:                             ;   in Loop: Header=BB298_1062 Depth=1
	v_dual_lshrrev_b32 v18, 3, v19 :: v_dual_bitop2_b32 v6, 7, v34 bitop3:0x40
	s_mov_b32 s18, exec_lo
	v_cmpx_gt_u32_e32 8, v19
; %bb.1924:                             ;   in Loop: Header=BB298_1062 Depth=1
	s_delay_alu instid0(VALU_DEP_2) | instskip(NEXT) | instid1(VALU_DEP_1)
	v_clz_i32_u32_e32 v6, v6
	v_min_u32_e32 v6, 32, v6
	s_delay_alu instid0(VALU_DEP_1) | instskip(NEXT) | instid1(VALU_DEP_1)
	v_subrev_nc_u32_e32 v18, 28, v6
	v_lshlrev_b64_e32 v[22:23], v18, v[34:35]
	v_sub_nc_u32_e32 v18, 29, v6
	s_delay_alu instid0(VALU_DEP_2)
	v_and_b32_e32 v6, 7, v22
; %bb.1925:                             ;   in Loop: Header=BB298_1062 Depth=1
	s_or_b32 exec_lo, exec_lo, s18
	v_lshlrev_b32_e32 v19, 8, v34
	s_delay_alu instid0(VALU_DEP_3) | instskip(NEXT) | instid1(VALU_DEP_3)
	v_lshl_add_u32 v18, v18, 10, 0x2000
	v_lshlrev_b32_e32 v6, 7, v6
	s_delay_alu instid0(VALU_DEP_3) | instskip(NEXT) | instid1(VALU_DEP_3)
	v_and_b32_e32 v19, 0x8000, v19
	v_and_b32_e32 v18, 0xfc00, v18
	s_delay_alu instid0(VALU_DEP_1)
	v_or3_b32 v18, v19, v18, v6
.LBB298_1926:                           ;   in Loop: Header=BB298_1062 Depth=1
	s_or_b32 exec_lo, exec_lo, s17
.LBB298_1927:                           ;   in Loop: Header=BB298_1062 Depth=1
	s_delay_alu instid0(SALU_CYCLE_1)
	s_or_b32 exec_lo, exec_lo, s16
.LBB298_1928:                           ;   in Loop: Header=BB298_1062 Depth=1
	s_delay_alu instid0(SALU_CYCLE_1) | instskip(SKIP_2) | instid1(VALU_DEP_1)
	s_or_b32 exec_lo, exec_lo, s15
	v_lshrrev_b16 v6, 8, v34
	s_mov_b32 s15, exec_lo
	v_cmpx_ne_u16_e32 0, v6
	s_cbranch_execz .LBB298_1936
; %bb.1929:                             ;   in Loop: Header=BB298_1062 Depth=1
	v_bfrev_b32_e32 v1, 1
	s_mov_b32 s16, exec_lo
	v_cmpx_ne_u16_e32 0x80, v6
	s_cbranch_execz .LBB298_1935
; %bb.1930:                             ;   in Loop: Header=BB298_1062 Depth=1
	v_and_b32_e32 v19, 0xffff, v6
	v_mov_b32_e32 v1, 0x7c010000
	s_mov_b32 s17, exec_lo
	s_delay_alu instid0(VALU_DEP_2) | instskip(NEXT) | instid1(VALU_DEP_1)
	v_and_b32_e32 v23, 0x7f, v19
	v_cmpx_ne_u32_e32 0x7f, v23
	s_cbranch_execz .LBB298_1934
; %bb.1931:                             ;   in Loop: Header=BB298_1062 Depth=1
	v_and_b32_e32 v1, 7, v19
	v_lshrrev_b32_e32 v22, 3, v23
	s_mov_b32 s18, exec_lo
	v_cmpx_gt_u32_e32 8, v23
; %bb.1932:                             ;   in Loop: Header=BB298_1062 Depth=1
	s_delay_alu instid0(VALU_DEP_3) | instskip(NEXT) | instid1(VALU_DEP_1)
	v_clz_i32_u32_e32 v1, v1
	v_min_u32_e32 v1, 32, v1
	s_delay_alu instid0(VALU_DEP_1) | instskip(NEXT) | instid1(VALU_DEP_1)
	v_subrev_nc_u32_e32 v22, 28, v1
	v_lshlrev_b64_e32 v[36:37], v22, v[6:7]
	s_delay_alu instid0(VALU_DEP_1)
	v_dual_sub_nc_u32 v22, 29, v1 :: v_dual_bitop2_b32 v1, 7, v36 bitop3:0x40
; %bb.1933:                             ;   in Loop: Header=BB298_1062 Depth=1
	s_or_b32 exec_lo, exec_lo, s18
	s_delay_alu instid0(VALU_DEP_1) | instskip(NEXT) | instid1(VALU_DEP_2)
	v_dual_lshlrev_b32 v6, 8, v19 :: v_dual_lshlrev_b32 v1, 23, v1
	v_lshl_add_u32 v19, v22, 10, 0x2000
	s_delay_alu instid0(VALU_DEP_1) | instskip(NEXT) | instid1(VALU_DEP_1)
	v_and_or_b32 v6, 0x8000, v6, v19
	v_lshl_or_b32 v1, v6, 16, v1
.LBB298_1934:                           ;   in Loop: Header=BB298_1062 Depth=1
	s_or_b32 exec_lo, exec_lo, s17
.LBB298_1935:                           ;   in Loop: Header=BB298_1062 Depth=1
	s_delay_alu instid0(SALU_CYCLE_1)
	s_or_b32 exec_lo, exec_lo, s16
.LBB298_1936:                           ;   in Loop: Header=BB298_1062 Depth=1
	s_delay_alu instid0(SALU_CYCLE_1) | instskip(SKIP_3) | instid1(VALU_DEP_2)
	s_or_b32 exec_lo, exec_lo, s15
	v_dual_mov_b32 v19, 0 :: v_dual_lshrrev_b32 v6, 16, v34
	v_mov_b32_e32 v22, 0
	s_mov_b32 s15, exec_lo
	v_and_b32_e32 v23, 0xff, v6
	s_delay_alu instid0(VALU_DEP_1)
	v_cmpx_ne_u16_e32 0, v23
	s_cbranch_execz .LBB298_1944
; %bb.1937:                             ;   in Loop: Header=BB298_1062 Depth=1
	v_mov_b32_e32 v22, 0x8000
	s_mov_b32 s16, exec_lo
	v_cmpx_ne_u16_e32 0x80, v23
	s_cbranch_execz .LBB298_1943
; %bb.1938:                             ;   in Loop: Header=BB298_1062 Depth=1
	v_bfe_u32 v33, v34, 16, 7
	v_mov_b32_e32 v22, 0x7c01
	s_mov_b32 s17, exec_lo
	s_delay_alu instid0(VALU_DEP_2)
	v_cmpx_ne_u32_e32 0x7f, v33
	s_cbranch_execz .LBB298_1942
; %bb.1939:                             ;   in Loop: Header=BB298_1062 Depth=1
	v_dual_lshrrev_b32 v23, 3, v33 :: v_dual_bitop2_b32 v22, 7, v6 bitop3:0x40
	s_mov_b32 s18, exec_lo
	v_cmpx_gt_u32_e32 8, v33
; %bb.1940:                             ;   in Loop: Header=BB298_1062 Depth=1
	s_delay_alu instid0(VALU_DEP_2) | instskip(NEXT) | instid1(VALU_DEP_1)
	v_clz_i32_u32_e32 v22, v22
	v_min_u32_e32 v33, 32, v22
	s_delay_alu instid0(VALU_DEP_1) | instskip(NEXT) | instid1(VALU_DEP_1)
	v_subrev_nc_u32_e32 v22, 28, v33
	v_lshlrev_b64_e32 v[22:23], v22, v[6:7]
	s_delay_alu instid0(VALU_DEP_1)
	v_dual_sub_nc_u32 v23, 29, v33 :: v_dual_bitop2_b32 v22, 7, v22 bitop3:0x40
; %bb.1941:                             ;   in Loop: Header=BB298_1062 Depth=1
	s_or_b32 exec_lo, exec_lo, s18
	v_lshlrev_b32_e32 v6, 8, v6
	s_delay_alu instid0(VALU_DEP_2) | instskip(NEXT) | instid1(VALU_DEP_3)
	v_lshl_add_u32 v23, v23, 10, 0x2000
	v_lshlrev_b32_e32 v22, 7, v22
	s_delay_alu instid0(VALU_DEP_3) | instskip(NEXT) | instid1(VALU_DEP_3)
	v_and_b32_e32 v6, 0x8000, v6
	v_and_b32_e32 v23, 0xfc00, v23
	s_delay_alu instid0(VALU_DEP_1)
	v_or3_b32 v22, v6, v23, v22
.LBB298_1942:                           ;   in Loop: Header=BB298_1062 Depth=1
	s_or_b32 exec_lo, exec_lo, s17
.LBB298_1943:                           ;   in Loop: Header=BB298_1062 Depth=1
	s_delay_alu instid0(SALU_CYCLE_1)
	s_or_b32 exec_lo, exec_lo, s16
.LBB298_1944:                           ;   in Loop: Header=BB298_1062 Depth=1
	s_delay_alu instid0(SALU_CYCLE_1) | instskip(NEXT) | instid1(SALU_CYCLE_1)
	s_or_b32 exec_lo, exec_lo, s15
	s_mov_b32 s15, exec_lo
	v_cmpx_lt_u32_e32 0xffffff, v34
	s_cbranch_execz .LBB298_1952
; %bb.1945:                             ;   in Loop: Header=BB298_1062 Depth=1
	v_lshrrev_b32_e32 v6, 24, v34
	v_bfrev_b32_e32 v19, 1
	s_mov_b32 s16, exec_lo
	s_delay_alu instid0(VALU_DEP_2)
	v_cmpx_ne_u32_e32 0x80, v6
	s_cbranch_execz .LBB298_1951
; %bb.1946:                             ;   in Loop: Header=BB298_1062 Depth=1
	v_and_b32_e32 v33, 0x7f, v6
	v_mov_b32_e32 v19, 0x7c010000
	s_mov_b32 s17, exec_lo
	s_delay_alu instid0(VALU_DEP_2)
	v_cmpx_ne_u32_e32 0x7f, v33
	s_cbranch_execz .LBB298_1950
; %bb.1947:                             ;   in Loop: Header=BB298_1062 Depth=1
	v_dual_lshrrev_b32 v23, 3, v33 :: v_dual_bitop2_b32 v19, 7, v6 bitop3:0x40
	s_mov_b32 s18, exec_lo
	v_cmpx_gt_u32_e32 8, v33
; %bb.1948:                             ;   in Loop: Header=BB298_1062 Depth=1
	s_delay_alu instid0(VALU_DEP_2) | instskip(NEXT) | instid1(VALU_DEP_1)
	v_clz_i32_u32_e32 v19, v19
	v_min_u32_e32 v19, 32, v19
	s_delay_alu instid0(VALU_DEP_1) | instskip(NEXT) | instid1(VALU_DEP_1)
	v_subrev_nc_u32_e32 v23, 28, v19
	v_lshlrev_b64_e32 v[36:37], v23, v[6:7]
	s_delay_alu instid0(VALU_DEP_1)
	v_dual_sub_nc_u32 v23, 29, v19 :: v_dual_bitop2_b32 v19, 7, v36 bitop3:0x40
; %bb.1949:                             ;   in Loop: Header=BB298_1062 Depth=1
	s_or_b32 exec_lo, exec_lo, s18
	s_delay_alu instid0(VALU_DEP_1) | instskip(NEXT) | instid1(VALU_DEP_2)
	v_dual_lshlrev_b32 v6, 8, v6 :: v_dual_lshlrev_b32 v19, 23, v19
	v_lshl_add_u32 v23, v23, 10, 0x2000
	s_delay_alu instid0(VALU_DEP_1) | instskip(NEXT) | instid1(VALU_DEP_1)
	v_and_or_b32 v6, 0x8000, v6, v23
	v_lshl_or_b32 v19, v6, 16, v19
.LBB298_1950:                           ;   in Loop: Header=BB298_1062 Depth=1
	s_or_b32 exec_lo, exec_lo, s17
.LBB298_1951:                           ;   in Loop: Header=BB298_1062 Depth=1
	s_delay_alu instid0(SALU_CYCLE_1)
	s_or_b32 exec_lo, exec_lo, s16
.LBB298_1952:                           ;   in Loop: Header=BB298_1062 Depth=1
	s_delay_alu instid0(SALU_CYCLE_1) | instskip(SKIP_4) | instid1(VALU_DEP_3)
	s_or_b32 exec_lo, exec_lo, s15
	v_and_b32_e32 v36, 0xff, v35
	v_dual_mov_b32 v6, v35 :: v_dual_mov_b32 v33, 0
	v_mov_b32_e32 v23, 0
	s_mov_b32 s15, exec_lo
	v_cmpx_ne_u16_e32 0, v36
	s_cbranch_execz .LBB298_1960
; %bb.1953:                             ;   in Loop: Header=BB298_1062 Depth=1
	v_mov_b32_e32 v23, 0x8000
	s_mov_b32 s16, exec_lo
	v_cmpx_ne_u16_e32 0x80, v36
	s_cbranch_execz .LBB298_1959
; %bb.1954:                             ;   in Loop: Header=BB298_1062 Depth=1
	v_and_b32_e32 v37, 0x7f, v35
	v_mov_b32_e32 v23, 0x7c01
	s_mov_b32 s17, exec_lo
	s_delay_alu instid0(VALU_DEP_2)
	v_cmpx_ne_u32_e32 0x7f, v37
	s_cbranch_execz .LBB298_1958
; %bb.1955:                             ;   in Loop: Header=BB298_1062 Depth=1
	v_dual_lshrrev_b32 v36, 3, v37 :: v_dual_bitop2_b32 v23, 7, v35 bitop3:0x40
	s_mov_b32 s18, exec_lo
	v_cmpx_gt_u32_e32 8, v37
; %bb.1956:                             ;   in Loop: Header=BB298_1062 Depth=1
	s_delay_alu instid0(VALU_DEP_2) | instskip(NEXT) | instid1(VALU_DEP_1)
	v_clz_i32_u32_e32 v23, v23
	v_min_u32_e32 v23, 32, v23
	s_delay_alu instid0(VALU_DEP_1) | instskip(NEXT) | instid1(VALU_DEP_1)
	v_subrev_nc_u32_e32 v36, 28, v23
	v_lshlrev_b64_e32 v[38:39], v36, v[6:7]
	s_delay_alu instid0(VALU_DEP_1)
	v_dual_sub_nc_u32 v36, 29, v23 :: v_dual_bitop2_b32 v23, 7, v38 bitop3:0x40
; %bb.1957:                             ;   in Loop: Header=BB298_1062 Depth=1
	s_or_b32 exec_lo, exec_lo, s18
	v_lshlrev_b32_e32 v37, 8, v35
	s_delay_alu instid0(VALU_DEP_2) | instskip(NEXT) | instid1(VALU_DEP_3)
	v_lshl_add_u32 v36, v36, 10, 0x2000
	v_lshlrev_b32_e32 v23, 7, v23
	s_delay_alu instid0(VALU_DEP_3) | instskip(NEXT) | instid1(VALU_DEP_3)
	v_and_b32_e32 v37, 0x8000, v37
	v_and_b32_e32 v36, 0xfc00, v36
	s_delay_alu instid0(VALU_DEP_1)
	v_or3_b32 v23, v37, v36, v23
.LBB298_1958:                           ;   in Loop: Header=BB298_1062 Depth=1
	s_or_b32 exec_lo, exec_lo, s17
.LBB298_1959:                           ;   in Loop: Header=BB298_1062 Depth=1
	s_delay_alu instid0(SALU_CYCLE_1)
	s_or_b32 exec_lo, exec_lo, s16
.LBB298_1960:                           ;   in Loop: Header=BB298_1062 Depth=1
	s_delay_alu instid0(SALU_CYCLE_1) | instskip(SKIP_3) | instid1(VALU_DEP_2)
	s_or_b32 exec_lo, exec_lo, s15
	v_lshrrev_b16 v6, 8, v6
	v_mov_b32_e32 v36, 0
	s_mov_b32 s15, exec_lo
	v_cmpx_ne_u16_e32 0, v6
	s_cbranch_execz .LBB298_1968
; %bb.1961:                             ;   in Loop: Header=BB298_1062 Depth=1
	v_bfrev_b32_e32 v36, 1
	s_mov_b32 s16, exec_lo
	v_cmpx_ne_u16_e32 0x80, v6
	s_cbranch_execz .LBB298_1967
; %bb.1962:                             ;   in Loop: Header=BB298_1062 Depth=1
	v_and_b32_e32 v37, 0xffff, v6
	v_mov_b32_e32 v36, 0x7c010000
	s_mov_b32 s17, exec_lo
	s_delay_alu instid0(VALU_DEP_2) | instskip(NEXT) | instid1(VALU_DEP_1)
	v_and_b32_e32 v39, 0x7f, v37
	v_cmpx_ne_u32_e32 0x7f, v39
	s_cbranch_execz .LBB298_1966
; %bb.1963:                             ;   in Loop: Header=BB298_1062 Depth=1
	v_dual_lshrrev_b32 v38, 3, v39 :: v_dual_bitop2_b32 v36, 7, v37 bitop3:0x40
	s_mov_b32 s18, exec_lo
	v_cmpx_gt_u32_e32 8, v39
; %bb.1964:                             ;   in Loop: Header=BB298_1062 Depth=1
	s_delay_alu instid0(VALU_DEP_2) | instskip(NEXT) | instid1(VALU_DEP_1)
	v_clz_i32_u32_e32 v36, v36
	v_min_u32_e32 v36, 32, v36
	s_delay_alu instid0(VALU_DEP_1) | instskip(NEXT) | instid1(VALU_DEP_1)
	v_subrev_nc_u32_e32 v38, 28, v36
	v_lshlrev_b64_e32 v[48:49], v38, v[6:7]
	v_sub_nc_u32_e32 v38, 29, v36
	s_delay_alu instid0(VALU_DEP_2)
	v_and_b32_e32 v36, 7, v48
; %bb.1965:                             ;   in Loop: Header=BB298_1062 Depth=1
	s_or_b32 exec_lo, exec_lo, s18
	s_delay_alu instid0(VALU_DEP_1) | instskip(NEXT) | instid1(VALU_DEP_3)
	v_dual_lshlrev_b32 v6, 8, v37 :: v_dual_lshlrev_b32 v36, 23, v36
	v_lshl_add_u32 v37, v38, 10, 0x2000
	s_delay_alu instid0(VALU_DEP_1) | instskip(NEXT) | instid1(VALU_DEP_1)
	v_and_or_b32 v6, 0x8000, v6, v37
	v_lshl_or_b32 v36, v6, 16, v36
.LBB298_1966:                           ;   in Loop: Header=BB298_1062 Depth=1
	s_or_b32 exec_lo, exec_lo, s17
.LBB298_1967:                           ;   in Loop: Header=BB298_1062 Depth=1
	s_delay_alu instid0(SALU_CYCLE_1)
	s_or_b32 exec_lo, exec_lo, s16
.LBB298_1968:                           ;   in Loop: Header=BB298_1062 Depth=1
	s_delay_alu instid0(SALU_CYCLE_1) | instskip(SKIP_2) | instid1(VALU_DEP_1)
	s_or_b32 exec_lo, exec_lo, s15
	v_lshrrev_b32_e32 v6, 16, v35
	s_mov_b32 s15, exec_lo
	v_and_b32_e32 v37, 0xff, v6
	s_delay_alu instid0(VALU_DEP_1)
	v_cmpx_ne_u16_e32 0, v37
	s_cbranch_execz .LBB298_1976
; %bb.1969:                             ;   in Loop: Header=BB298_1062 Depth=1
	v_mov_b32_e32 v33, 0x8000
	s_mov_b32 s16, exec_lo
	v_cmpx_ne_u16_e32 0x80, v37
	s_cbranch_execz .LBB298_1975
; %bb.1970:                             ;   in Loop: Header=BB298_1062 Depth=1
	v_bfe_u32 v38, v35, 16, 7
	v_mov_b32_e32 v33, 0x7c01
	s_mov_b32 s17, exec_lo
	s_delay_alu instid0(VALU_DEP_2)
	v_cmpx_ne_u32_e32 0x7f, v38
	s_cbranch_execz .LBB298_1974
; %bb.1971:                             ;   in Loop: Header=BB298_1062 Depth=1
	v_and_b32_e32 v33, 7, v6
	v_lshrrev_b32_e32 v37, 3, v38
	s_mov_b32 s18, exec_lo
	v_cmpx_gt_u32_e32 8, v38
; %bb.1972:                             ;   in Loop: Header=BB298_1062 Depth=1
	s_delay_alu instid0(VALU_DEP_3) | instskip(NEXT) | instid1(VALU_DEP_1)
	v_clz_i32_u32_e32 v33, v33
	v_min_u32_e32 v33, 32, v33
	s_delay_alu instid0(VALU_DEP_1) | instskip(NEXT) | instid1(VALU_DEP_1)
	v_subrev_nc_u32_e32 v37, 28, v33
	v_lshlrev_b64_e32 v[38:39], v37, v[6:7]
	s_delay_alu instid0(VALU_DEP_1)
	v_dual_sub_nc_u32 v37, 29, v33 :: v_dual_bitop2_b32 v33, 7, v38 bitop3:0x40
; %bb.1973:                             ;   in Loop: Header=BB298_1062 Depth=1
	s_or_b32 exec_lo, exec_lo, s18
	s_delay_alu instid0(VALU_DEP_1) | instskip(NEXT) | instid1(VALU_DEP_2)
	v_dual_lshlrev_b32 v6, 8, v6 :: v_dual_lshlrev_b32 v33, 7, v33
	v_lshl_add_u32 v37, v37, 10, 0x2000
	s_delay_alu instid0(VALU_DEP_2) | instskip(NEXT) | instid1(VALU_DEP_2)
	v_and_b32_e32 v6, 0x8000, v6
	v_and_b32_e32 v37, 0xfc00, v37
	s_delay_alu instid0(VALU_DEP_1)
	v_or3_b32 v33, v6, v37, v33
.LBB298_1974:                           ;   in Loop: Header=BB298_1062 Depth=1
	s_or_b32 exec_lo, exec_lo, s17
.LBB298_1975:                           ;   in Loop: Header=BB298_1062 Depth=1
	s_delay_alu instid0(SALU_CYCLE_1)
	s_or_b32 exec_lo, exec_lo, s16
.LBB298_1976:                           ;   in Loop: Header=BB298_1062 Depth=1
	s_delay_alu instid0(SALU_CYCLE_1)
	s_or_b32 exec_lo, exec_lo, s15
	v_cmp_lt_u64_e64 s0, s[2:3], v[34:35]
	v_mov_b32_e32 v34, 0
	s_and_saveexec_b32 s15, s0
	s_cbranch_execz .LBB298_1984
; %bb.1977:                             ;   in Loop: Header=BB298_1062 Depth=1
	v_lshrrev_b32_e32 v6, 24, v35
	v_bfrev_b32_e32 v34, 1
	s_mov_b32 s16, exec_lo
	s_delay_alu instid0(VALU_DEP_2)
	v_cmpx_ne_u32_e32 0x80, v6
	s_cbranch_execz .LBB298_1983
; %bb.1978:                             ;   in Loop: Header=BB298_1062 Depth=1
	v_and_b32_e32 v37, 0x7f, v6
	v_mov_b32_e32 v34, 0x7c010000
	s_mov_b32 s17, exec_lo
	s_delay_alu instid0(VALU_DEP_2)
	v_cmpx_ne_u32_e32 0x7f, v37
	s_cbranch_execz .LBB298_1982
; %bb.1979:                             ;   in Loop: Header=BB298_1062 Depth=1
	v_dual_lshrrev_b32 v35, 3, v37 :: v_dual_bitop2_b32 v34, 7, v6 bitop3:0x40
	s_mov_b32 s18, exec_lo
	v_cmpx_gt_u32_e32 8, v37
; %bb.1980:                             ;   in Loop: Header=BB298_1062 Depth=1
	s_delay_alu instid0(VALU_DEP_2) | instskip(NEXT) | instid1(VALU_DEP_1)
	v_clz_i32_u32_e32 v34, v34
	v_min_u32_e32 v37, 32, v34
	s_delay_alu instid0(VALU_DEP_1) | instskip(NEXT) | instid1(VALU_DEP_1)
	v_subrev_nc_u32_e32 v34, 28, v37
	v_lshlrev_b64_e32 v[34:35], v34, v[6:7]
	s_delay_alu instid0(VALU_DEP_1)
	v_dual_sub_nc_u32 v35, 29, v37 :: v_dual_bitop2_b32 v34, 7, v34 bitop3:0x40
; %bb.1981:                             ;   in Loop: Header=BB298_1062 Depth=1
	s_or_b32 exec_lo, exec_lo, s18
	v_lshlrev_b32_e32 v6, 8, v6
	s_delay_alu instid0(VALU_DEP_2) | instskip(NEXT) | instid1(VALU_DEP_3)
	v_lshl_add_u32 v35, v35, 10, 0x2000
	v_lshlrev_b32_e32 v34, 23, v34
	s_delay_alu instid0(VALU_DEP_2) | instskip(NEXT) | instid1(VALU_DEP_1)
	v_and_or_b32 v6, 0x8000, v6, v35
	v_lshl_or_b32 v34, v6, 16, v34
.LBB298_1982:                           ;   in Loop: Header=BB298_1062 Depth=1
	s_or_b32 exec_lo, exec_lo, s17
.LBB298_1983:                           ;   in Loop: Header=BB298_1062 Depth=1
	s_delay_alu instid0(SALU_CYCLE_1)
	s_or_b32 exec_lo, exec_lo, s16
.LBB298_1984:                           ;   in Loop: Header=BB298_1062 Depth=1
	s_delay_alu instid0(SALU_CYCLE_1) | instskip(SKIP_4) | instid1(VALU_DEP_4)
	s_or_b32 exec_lo, exec_lo, s15
	v_dual_lshrrev_b32 v6, 16, v1 :: v_dual_lshrrev_b32 v35, 16, v19
	v_or_b32_e32 v1, v1, v18
	v_or_b32_e32 v22, v19, v22
	;; [unrolled: 1-line block ×3, first 2 shown]
	v_cvt_f32_f16_e32 v19, v6
	v_cvt_f32_f16_e32 v18, v35
	v_dual_lshrrev_b32 v34, 16, v34 :: v_dual_bitop2_b32 v6, v34, v33 bitop3:0x54
	v_lshrrev_b32_e32 v33, 16, v36
	v_cvt_f32_f16_e32 v23, v1
	s_delay_alu instid0(VALU_DEP_3) | instskip(NEXT) | instid1(VALU_DEP_4)
	v_cvt_f32_f16_e32 v36, v6
	v_cvt_f32_f16_e32 v34, v34
	s_wait_loadcnt_dscnt 0x0
	v_pk_mul_f32 v[18:19], v[32:33], v[18:19] op_sel_hi:[0,1]
	v_cvt_f32_f16_e32 v35, v33
	s_delay_alu instid0(VALU_DEP_2) | instskip(NEXT) | instid1(VALU_DEP_2)
	v_cvt_pk_f16_f32 v1, v18, v19
	v_pk_mul_f32 v[18:19], v[32:33], v[34:35] op_sel_hi:[0,1]
	s_delay_alu instid0(VALU_DEP_2) | instskip(SKIP_2) | instid1(VALU_DEP_4)
	v_lshlrev_b32_e32 v34, 16, v1
	v_cvt_f32_f16_e32 v22, v22
	v_and_b32_e32 v35, 0xffff0000, v1
	v_cvt_pk_f16_f32 v18, v18, v19
	s_delay_alu instid0(VALU_DEP_3) | instskip(NEXT) | instid1(VALU_DEP_2)
	v_pk_mul_f32 v[22:23], v[32:33], v[22:23] op_sel_hi:[0,1]
	v_and_b32_e32 v19, 0xffff0000, v18
	s_delay_alu instid0(VALU_DEP_2) | instskip(NEXT) | instid1(VALU_DEP_1)
	v_cvt_pk_f16_f32 v6, v22, v23
	v_lshrrev_b32_e32 v49, 16, v6
	v_cvt_f32_f16_e32 v37, v37
	v_and_b32_e32 v48, 0xffff, v6
	s_delay_alu instid0(VALU_DEP_3) | instskip(NEXT) | instid1(VALU_DEP_3)
	v_or_b32_e32 v39, v35, v49
	v_pk_mul_f32 v[32:33], v[32:33], v[36:37] op_sel_hi:[0,1]
	s_delay_alu instid0(VALU_DEP_3) | instskip(NEXT) | instid1(VALU_DEP_2)
	v_or_b32_e32 v38, v34, v48
	v_cvt_pk_f16_f32 v1, v32, v33
	s_delay_alu instid0(VALU_DEP_1) | instskip(SKIP_1) | instid1(VALU_DEP_2)
	v_dual_lshlrev_b32 v6, 16, v18 :: v_dual_lshrrev_b32 v33, 16, v1
	v_and_b32_e32 v32, 0xffff, v1
	v_or_b32_e32 v37, v19, v33
	s_delay_alu instid0(VALU_DEP_2)
	v_or_b32_e32 v36, v6, v32
	s_and_saveexec_b32 s15, vcc_lo
	s_cbranch_execz .LBB298_1986
; %bb.1985:                             ;   in Loop: Header=BB298_1062 Depth=1
	v_cmp_lt_i32_e64 s0, v54, v13
	s_delay_alu instid0(VALU_DEP_1) | instskip(SKIP_1) | instid1(VALU_DEP_1)
	v_cndmask_b32_e64 v1, 0, v49, s0
	v_cmp_lt_i32_e64 s0, v70, v58
	v_cndmask_b32_e64 v18, 0, v48, s0
	v_cmp_lt_i32_e64 s0, v69, v13
	s_delay_alu instid0(VALU_DEP_1) | instskip(SKIP_1) | instid1(VALU_DEP_1)
	v_cndmask_b32_e64 v22, 0, v35, s0
	v_cmp_lt_i32_e64 s0, v68, v58
	v_cndmask_b32_e64 v23, 0, v34, s0
	v_cmp_lt_i32_e64 s0, v67, v13
	s_delay_alu instid0(VALU_DEP_4) | instskip(NEXT) | instid1(VALU_DEP_2)
	v_or_b32_e32 v39, v1, v22
	v_dual_cndmask_b32 v33, 0, v33, s0 :: v_dual_bitop2_b32 v38, v18, v23 bitop3:0x54
	v_cmp_lt_i32_e64 s0, v66, v58
	s_delay_alu instid0(VALU_DEP_1) | instskip(SKIP_1) | instid1(VALU_DEP_1)
	v_cndmask_b32_e64 v32, 0, v32, s0
	v_cmp_lt_i32_e64 s0, v65, v13
	v_cndmask_b32_e64 v19, 0, v19, s0
	v_cmp_lt_i32_e64 s0, v0, v58
	s_delay_alu instid0(VALU_DEP_1) | instskip(NEXT) | instid1(VALU_DEP_1)
	v_dual_cndmask_b32 v6, 0, v6, s0 :: v_dual_bitop2_b32 v37, v33, v19 bitop3:0x54
	v_or_b32_e32 v36, v32, v6
.LBB298_1986:                           ;   in Loop: Header=BB298_1062 Depth=1
	s_or_b32 exec_lo, exec_lo, s15
	;;#ASMSTART
	v_pk_mul_f16 v1, v82, v39;

	;;#ASMEND
	;;#ASMSTART
	v_pk_mul_f16 v6, v81, v38;

	;;#ASMEND
	;; [unrolled: 4-line block ×4, first 2 shown]
	;;#ASMSTART
	v_pk_add_f16 v1, v1, v6;

	;;#ASMEND
	;;#ASMSTART
	v_pk_add_f16 v1, v1, v18;

	;;#ASMEND
	;; [unrolled: 4-line block ×3, first 2 shown]
	v_and_b32_e32 v6, 0xffff, v1
	v_lshrrev_b32_e32 v1, 16, v1
	;;#ASMSTART
	v_cvt_f32_f16 v45, v6;
	;;#ASMEND
	;;#ASMSTART
	v_cvt_f32_f16 v46, v1;
	;;#ASMEND
	flat_load_b64 v[34:35], v[14:15] offset:3584
	scratch_load_b64 v[18:19], off, s32 offset:192 ; 8-byte Folded Reload
	v_mov_b32_e32 v1, 0
	s_mov_b32 s15, exec_lo
	s_wait_loadcnt_dscnt 0x100
	v_and_b32_e32 v6, 0xff, v34
	s_wait_loadcnt 0x0
	flat_load_b32 v32, v[18:19]
	s_wait_xcnt 0x0
	v_mov_b32_e32 v18, 0
	v_cmpx_ne_u16_e32 0, v6
	s_cbranch_execz .LBB298_1994
; %bb.1987:                             ;   in Loop: Header=BB298_1062 Depth=1
	v_mov_b32_e32 v18, 0x8000
	s_mov_b32 s16, exec_lo
	v_cmpx_ne_u16_e32 0x80, v6
	s_cbranch_execz .LBB298_1993
; %bb.1988:                             ;   in Loop: Header=BB298_1062 Depth=1
	v_and_b32_e32 v19, 0x7f, v34
	v_mov_b32_e32 v18, 0x7c01
	s_mov_b32 s17, exec_lo
	s_delay_alu instid0(VALU_DEP_2)
	v_cmpx_ne_u32_e32 0x7f, v19
	s_cbranch_execz .LBB298_1992
; %bb.1989:                             ;   in Loop: Header=BB298_1062 Depth=1
	v_dual_lshrrev_b32 v18, 3, v19 :: v_dual_bitop2_b32 v6, 7, v34 bitop3:0x40
	s_mov_b32 s18, exec_lo
	v_cmpx_gt_u32_e32 8, v19
; %bb.1990:                             ;   in Loop: Header=BB298_1062 Depth=1
	s_delay_alu instid0(VALU_DEP_2) | instskip(NEXT) | instid1(VALU_DEP_1)
	v_clz_i32_u32_e32 v6, v6
	v_min_u32_e32 v6, 32, v6
	s_delay_alu instid0(VALU_DEP_1) | instskip(NEXT) | instid1(VALU_DEP_1)
	v_subrev_nc_u32_e32 v18, 28, v6
	v_lshlrev_b64_e32 v[22:23], v18, v[34:35]
	v_sub_nc_u32_e32 v18, 29, v6
	s_delay_alu instid0(VALU_DEP_2)
	v_and_b32_e32 v6, 7, v22
; %bb.1991:                             ;   in Loop: Header=BB298_1062 Depth=1
	s_or_b32 exec_lo, exec_lo, s18
	v_lshlrev_b32_e32 v19, 8, v34
	s_delay_alu instid0(VALU_DEP_3) | instskip(NEXT) | instid1(VALU_DEP_3)
	v_lshl_add_u32 v18, v18, 10, 0x2000
	v_lshlrev_b32_e32 v6, 7, v6
	s_delay_alu instid0(VALU_DEP_3) | instskip(NEXT) | instid1(VALU_DEP_3)
	v_and_b32_e32 v19, 0x8000, v19
	v_and_b32_e32 v18, 0xfc00, v18
	s_delay_alu instid0(VALU_DEP_1)
	v_or3_b32 v18, v19, v18, v6
.LBB298_1992:                           ;   in Loop: Header=BB298_1062 Depth=1
	s_or_b32 exec_lo, exec_lo, s17
.LBB298_1993:                           ;   in Loop: Header=BB298_1062 Depth=1
	s_delay_alu instid0(SALU_CYCLE_1)
	s_or_b32 exec_lo, exec_lo, s16
.LBB298_1994:                           ;   in Loop: Header=BB298_1062 Depth=1
	s_delay_alu instid0(SALU_CYCLE_1) | instskip(SKIP_2) | instid1(VALU_DEP_1)
	s_or_b32 exec_lo, exec_lo, s15
	v_lshrrev_b16 v6, 8, v34
	s_mov_b32 s15, exec_lo
	v_cmpx_ne_u16_e32 0, v6
	s_cbranch_execz .LBB298_2002
; %bb.1995:                             ;   in Loop: Header=BB298_1062 Depth=1
	v_bfrev_b32_e32 v1, 1
	s_mov_b32 s16, exec_lo
	v_cmpx_ne_u16_e32 0x80, v6
	s_cbranch_execz .LBB298_2001
; %bb.1996:                             ;   in Loop: Header=BB298_1062 Depth=1
	v_and_b32_e32 v19, 0xffff, v6
	v_mov_b32_e32 v1, 0x7c010000
	s_mov_b32 s17, exec_lo
	s_delay_alu instid0(VALU_DEP_2) | instskip(NEXT) | instid1(VALU_DEP_1)
	v_and_b32_e32 v23, 0x7f, v19
	v_cmpx_ne_u32_e32 0x7f, v23
	s_cbranch_execz .LBB298_2000
; %bb.1997:                             ;   in Loop: Header=BB298_1062 Depth=1
	v_and_b32_e32 v1, 7, v19
	v_lshrrev_b32_e32 v22, 3, v23
	s_mov_b32 s18, exec_lo
	v_cmpx_gt_u32_e32 8, v23
; %bb.1998:                             ;   in Loop: Header=BB298_1062 Depth=1
	s_delay_alu instid0(VALU_DEP_3) | instskip(NEXT) | instid1(VALU_DEP_1)
	v_clz_i32_u32_e32 v1, v1
	v_min_u32_e32 v1, 32, v1
	s_delay_alu instid0(VALU_DEP_1) | instskip(NEXT) | instid1(VALU_DEP_1)
	v_subrev_nc_u32_e32 v22, 28, v1
	v_lshlrev_b64_e32 v[36:37], v22, v[6:7]
	s_delay_alu instid0(VALU_DEP_1)
	v_dual_sub_nc_u32 v22, 29, v1 :: v_dual_bitop2_b32 v1, 7, v36 bitop3:0x40
; %bb.1999:                             ;   in Loop: Header=BB298_1062 Depth=1
	s_or_b32 exec_lo, exec_lo, s18
	s_delay_alu instid0(VALU_DEP_1) | instskip(NEXT) | instid1(VALU_DEP_2)
	v_dual_lshlrev_b32 v6, 8, v19 :: v_dual_lshlrev_b32 v1, 23, v1
	v_lshl_add_u32 v19, v22, 10, 0x2000
	s_delay_alu instid0(VALU_DEP_1) | instskip(NEXT) | instid1(VALU_DEP_1)
	v_and_or_b32 v6, 0x8000, v6, v19
	v_lshl_or_b32 v1, v6, 16, v1
.LBB298_2000:                           ;   in Loop: Header=BB298_1062 Depth=1
	s_or_b32 exec_lo, exec_lo, s17
.LBB298_2001:                           ;   in Loop: Header=BB298_1062 Depth=1
	s_delay_alu instid0(SALU_CYCLE_1)
	s_or_b32 exec_lo, exec_lo, s16
.LBB298_2002:                           ;   in Loop: Header=BB298_1062 Depth=1
	s_delay_alu instid0(SALU_CYCLE_1) | instskip(SKIP_3) | instid1(VALU_DEP_2)
	s_or_b32 exec_lo, exec_lo, s15
	v_dual_mov_b32 v19, 0 :: v_dual_lshrrev_b32 v6, 16, v34
	v_mov_b32_e32 v22, 0
	s_mov_b32 s15, exec_lo
	v_and_b32_e32 v23, 0xff, v6
	s_delay_alu instid0(VALU_DEP_1)
	v_cmpx_ne_u16_e32 0, v23
	s_cbranch_execz .LBB298_2010
; %bb.2003:                             ;   in Loop: Header=BB298_1062 Depth=1
	v_mov_b32_e32 v22, 0x8000
	s_mov_b32 s16, exec_lo
	v_cmpx_ne_u16_e32 0x80, v23
	s_cbranch_execz .LBB298_2009
; %bb.2004:                             ;   in Loop: Header=BB298_1062 Depth=1
	v_bfe_u32 v33, v34, 16, 7
	v_mov_b32_e32 v22, 0x7c01
	s_mov_b32 s17, exec_lo
	s_delay_alu instid0(VALU_DEP_2)
	v_cmpx_ne_u32_e32 0x7f, v33
	s_cbranch_execz .LBB298_2008
; %bb.2005:                             ;   in Loop: Header=BB298_1062 Depth=1
	v_dual_lshrrev_b32 v23, 3, v33 :: v_dual_bitop2_b32 v22, 7, v6 bitop3:0x40
	s_mov_b32 s18, exec_lo
	v_cmpx_gt_u32_e32 8, v33
; %bb.2006:                             ;   in Loop: Header=BB298_1062 Depth=1
	s_delay_alu instid0(VALU_DEP_2) | instskip(NEXT) | instid1(VALU_DEP_1)
	v_clz_i32_u32_e32 v22, v22
	v_min_u32_e32 v33, 32, v22
	s_delay_alu instid0(VALU_DEP_1) | instskip(NEXT) | instid1(VALU_DEP_1)
	v_subrev_nc_u32_e32 v22, 28, v33
	v_lshlrev_b64_e32 v[22:23], v22, v[6:7]
	s_delay_alu instid0(VALU_DEP_1)
	v_dual_sub_nc_u32 v23, 29, v33 :: v_dual_bitop2_b32 v22, 7, v22 bitop3:0x40
; %bb.2007:                             ;   in Loop: Header=BB298_1062 Depth=1
	s_or_b32 exec_lo, exec_lo, s18
	v_lshlrev_b32_e32 v6, 8, v6
	s_delay_alu instid0(VALU_DEP_2) | instskip(NEXT) | instid1(VALU_DEP_3)
	v_lshl_add_u32 v23, v23, 10, 0x2000
	v_lshlrev_b32_e32 v22, 7, v22
	s_delay_alu instid0(VALU_DEP_3) | instskip(NEXT) | instid1(VALU_DEP_3)
	v_and_b32_e32 v6, 0x8000, v6
	v_and_b32_e32 v23, 0xfc00, v23
	s_delay_alu instid0(VALU_DEP_1)
	v_or3_b32 v22, v6, v23, v22
.LBB298_2008:                           ;   in Loop: Header=BB298_1062 Depth=1
	s_or_b32 exec_lo, exec_lo, s17
.LBB298_2009:                           ;   in Loop: Header=BB298_1062 Depth=1
	s_delay_alu instid0(SALU_CYCLE_1)
	s_or_b32 exec_lo, exec_lo, s16
.LBB298_2010:                           ;   in Loop: Header=BB298_1062 Depth=1
	s_delay_alu instid0(SALU_CYCLE_1) | instskip(NEXT) | instid1(SALU_CYCLE_1)
	s_or_b32 exec_lo, exec_lo, s15
	s_mov_b32 s15, exec_lo
	v_cmpx_lt_u32_e32 0xffffff, v34
	s_cbranch_execz .LBB298_2018
; %bb.2011:                             ;   in Loop: Header=BB298_1062 Depth=1
	v_lshrrev_b32_e32 v6, 24, v34
	v_bfrev_b32_e32 v19, 1
	s_mov_b32 s16, exec_lo
	s_delay_alu instid0(VALU_DEP_2)
	v_cmpx_ne_u32_e32 0x80, v6
	s_cbranch_execz .LBB298_2017
; %bb.2012:                             ;   in Loop: Header=BB298_1062 Depth=1
	v_and_b32_e32 v33, 0x7f, v6
	v_mov_b32_e32 v19, 0x7c010000
	s_mov_b32 s17, exec_lo
	s_delay_alu instid0(VALU_DEP_2)
	v_cmpx_ne_u32_e32 0x7f, v33
	s_cbranch_execz .LBB298_2016
; %bb.2013:                             ;   in Loop: Header=BB298_1062 Depth=1
	v_dual_lshrrev_b32 v23, 3, v33 :: v_dual_bitop2_b32 v19, 7, v6 bitop3:0x40
	s_mov_b32 s18, exec_lo
	v_cmpx_gt_u32_e32 8, v33
; %bb.2014:                             ;   in Loop: Header=BB298_1062 Depth=1
	s_delay_alu instid0(VALU_DEP_2) | instskip(NEXT) | instid1(VALU_DEP_1)
	v_clz_i32_u32_e32 v19, v19
	v_min_u32_e32 v19, 32, v19
	s_delay_alu instid0(VALU_DEP_1) | instskip(NEXT) | instid1(VALU_DEP_1)
	v_subrev_nc_u32_e32 v23, 28, v19
	v_lshlrev_b64_e32 v[36:37], v23, v[6:7]
	s_delay_alu instid0(VALU_DEP_1)
	v_dual_sub_nc_u32 v23, 29, v19 :: v_dual_bitop2_b32 v19, 7, v36 bitop3:0x40
; %bb.2015:                             ;   in Loop: Header=BB298_1062 Depth=1
	s_or_b32 exec_lo, exec_lo, s18
	s_delay_alu instid0(VALU_DEP_1) | instskip(NEXT) | instid1(VALU_DEP_2)
	v_dual_lshlrev_b32 v6, 8, v6 :: v_dual_lshlrev_b32 v19, 23, v19
	v_lshl_add_u32 v23, v23, 10, 0x2000
	s_delay_alu instid0(VALU_DEP_1) | instskip(NEXT) | instid1(VALU_DEP_1)
	v_and_or_b32 v6, 0x8000, v6, v23
	v_lshl_or_b32 v19, v6, 16, v19
.LBB298_2016:                           ;   in Loop: Header=BB298_1062 Depth=1
	s_or_b32 exec_lo, exec_lo, s17
.LBB298_2017:                           ;   in Loop: Header=BB298_1062 Depth=1
	s_delay_alu instid0(SALU_CYCLE_1)
	s_or_b32 exec_lo, exec_lo, s16
.LBB298_2018:                           ;   in Loop: Header=BB298_1062 Depth=1
	s_delay_alu instid0(SALU_CYCLE_1) | instskip(SKIP_4) | instid1(VALU_DEP_3)
	s_or_b32 exec_lo, exec_lo, s15
	v_and_b32_e32 v36, 0xff, v35
	v_dual_mov_b32 v6, v35 :: v_dual_mov_b32 v33, 0
	v_mov_b32_e32 v23, 0
	s_mov_b32 s15, exec_lo
	v_cmpx_ne_u16_e32 0, v36
	s_cbranch_execz .LBB298_2026
; %bb.2019:                             ;   in Loop: Header=BB298_1062 Depth=1
	v_mov_b32_e32 v23, 0x8000
	s_mov_b32 s16, exec_lo
	v_cmpx_ne_u16_e32 0x80, v36
	s_cbranch_execz .LBB298_2025
; %bb.2020:                             ;   in Loop: Header=BB298_1062 Depth=1
	v_and_b32_e32 v37, 0x7f, v35
	v_mov_b32_e32 v23, 0x7c01
	s_mov_b32 s17, exec_lo
	s_delay_alu instid0(VALU_DEP_2)
	v_cmpx_ne_u32_e32 0x7f, v37
	s_cbranch_execz .LBB298_2024
; %bb.2021:                             ;   in Loop: Header=BB298_1062 Depth=1
	v_dual_lshrrev_b32 v36, 3, v37 :: v_dual_bitop2_b32 v23, 7, v35 bitop3:0x40
	s_mov_b32 s18, exec_lo
	v_cmpx_gt_u32_e32 8, v37
; %bb.2022:                             ;   in Loop: Header=BB298_1062 Depth=1
	s_delay_alu instid0(VALU_DEP_2) | instskip(NEXT) | instid1(VALU_DEP_1)
	v_clz_i32_u32_e32 v23, v23
	v_min_u32_e32 v23, 32, v23
	s_delay_alu instid0(VALU_DEP_1) | instskip(NEXT) | instid1(VALU_DEP_1)
	v_subrev_nc_u32_e32 v36, 28, v23
	v_lshlrev_b64_e32 v[38:39], v36, v[6:7]
	s_delay_alu instid0(VALU_DEP_1)
	v_dual_sub_nc_u32 v36, 29, v23 :: v_dual_bitop2_b32 v23, 7, v38 bitop3:0x40
; %bb.2023:                             ;   in Loop: Header=BB298_1062 Depth=1
	s_or_b32 exec_lo, exec_lo, s18
	v_lshlrev_b32_e32 v37, 8, v35
	s_delay_alu instid0(VALU_DEP_2) | instskip(NEXT) | instid1(VALU_DEP_3)
	v_lshl_add_u32 v36, v36, 10, 0x2000
	v_lshlrev_b32_e32 v23, 7, v23
	s_delay_alu instid0(VALU_DEP_3) | instskip(NEXT) | instid1(VALU_DEP_3)
	v_and_b32_e32 v37, 0x8000, v37
	v_and_b32_e32 v36, 0xfc00, v36
	s_delay_alu instid0(VALU_DEP_1)
	v_or3_b32 v23, v37, v36, v23
.LBB298_2024:                           ;   in Loop: Header=BB298_1062 Depth=1
	s_or_b32 exec_lo, exec_lo, s17
.LBB298_2025:                           ;   in Loop: Header=BB298_1062 Depth=1
	s_delay_alu instid0(SALU_CYCLE_1)
	s_or_b32 exec_lo, exec_lo, s16
.LBB298_2026:                           ;   in Loop: Header=BB298_1062 Depth=1
	s_delay_alu instid0(SALU_CYCLE_1) | instskip(SKIP_3) | instid1(VALU_DEP_2)
	s_or_b32 exec_lo, exec_lo, s15
	v_lshrrev_b16 v6, 8, v6
	v_mov_b32_e32 v36, 0
	s_mov_b32 s15, exec_lo
	v_cmpx_ne_u16_e32 0, v6
	s_cbranch_execz .LBB298_2034
; %bb.2027:                             ;   in Loop: Header=BB298_1062 Depth=1
	v_bfrev_b32_e32 v36, 1
	s_mov_b32 s16, exec_lo
	v_cmpx_ne_u16_e32 0x80, v6
	s_cbranch_execz .LBB298_2033
; %bb.2028:                             ;   in Loop: Header=BB298_1062 Depth=1
	v_and_b32_e32 v37, 0xffff, v6
	v_mov_b32_e32 v36, 0x7c010000
	s_mov_b32 s17, exec_lo
	s_delay_alu instid0(VALU_DEP_2) | instskip(NEXT) | instid1(VALU_DEP_1)
	v_and_b32_e32 v39, 0x7f, v37
	v_cmpx_ne_u32_e32 0x7f, v39
	s_cbranch_execz .LBB298_2032
; %bb.2029:                             ;   in Loop: Header=BB298_1062 Depth=1
	v_dual_lshrrev_b32 v38, 3, v39 :: v_dual_bitop2_b32 v36, 7, v37 bitop3:0x40
	s_mov_b32 s18, exec_lo
	v_cmpx_gt_u32_e32 8, v39
; %bb.2030:                             ;   in Loop: Header=BB298_1062 Depth=1
	s_delay_alu instid0(VALU_DEP_2) | instskip(NEXT) | instid1(VALU_DEP_1)
	v_clz_i32_u32_e32 v36, v36
	v_min_u32_e32 v36, 32, v36
	s_delay_alu instid0(VALU_DEP_1) | instskip(NEXT) | instid1(VALU_DEP_1)
	v_subrev_nc_u32_e32 v38, 28, v36
	v_lshlrev_b64_e32 v[48:49], v38, v[6:7]
	v_sub_nc_u32_e32 v38, 29, v36
	s_delay_alu instid0(VALU_DEP_2)
	v_and_b32_e32 v36, 7, v48
; %bb.2031:                             ;   in Loop: Header=BB298_1062 Depth=1
	s_or_b32 exec_lo, exec_lo, s18
	s_delay_alu instid0(VALU_DEP_1) | instskip(NEXT) | instid1(VALU_DEP_3)
	v_dual_lshlrev_b32 v6, 8, v37 :: v_dual_lshlrev_b32 v36, 23, v36
	v_lshl_add_u32 v37, v38, 10, 0x2000
	s_delay_alu instid0(VALU_DEP_1) | instskip(NEXT) | instid1(VALU_DEP_1)
	v_and_or_b32 v6, 0x8000, v6, v37
	v_lshl_or_b32 v36, v6, 16, v36
.LBB298_2032:                           ;   in Loop: Header=BB298_1062 Depth=1
	s_or_b32 exec_lo, exec_lo, s17
.LBB298_2033:                           ;   in Loop: Header=BB298_1062 Depth=1
	s_delay_alu instid0(SALU_CYCLE_1)
	s_or_b32 exec_lo, exec_lo, s16
.LBB298_2034:                           ;   in Loop: Header=BB298_1062 Depth=1
	s_delay_alu instid0(SALU_CYCLE_1) | instskip(SKIP_2) | instid1(VALU_DEP_1)
	s_or_b32 exec_lo, exec_lo, s15
	v_lshrrev_b32_e32 v6, 16, v35
	s_mov_b32 s15, exec_lo
	v_and_b32_e32 v37, 0xff, v6
	s_delay_alu instid0(VALU_DEP_1)
	v_cmpx_ne_u16_e32 0, v37
	s_cbranch_execz .LBB298_2042
; %bb.2035:                             ;   in Loop: Header=BB298_1062 Depth=1
	v_mov_b32_e32 v33, 0x8000
	s_mov_b32 s16, exec_lo
	v_cmpx_ne_u16_e32 0x80, v37
	s_cbranch_execz .LBB298_2041
; %bb.2036:                             ;   in Loop: Header=BB298_1062 Depth=1
	v_bfe_u32 v38, v35, 16, 7
	v_mov_b32_e32 v33, 0x7c01
	s_mov_b32 s17, exec_lo
	s_delay_alu instid0(VALU_DEP_2)
	v_cmpx_ne_u32_e32 0x7f, v38
	s_cbranch_execz .LBB298_2040
; %bb.2037:                             ;   in Loop: Header=BB298_1062 Depth=1
	v_and_b32_e32 v33, 7, v6
	v_lshrrev_b32_e32 v37, 3, v38
	s_mov_b32 s18, exec_lo
	v_cmpx_gt_u32_e32 8, v38
; %bb.2038:                             ;   in Loop: Header=BB298_1062 Depth=1
	s_delay_alu instid0(VALU_DEP_3) | instskip(NEXT) | instid1(VALU_DEP_1)
	v_clz_i32_u32_e32 v33, v33
	v_min_u32_e32 v33, 32, v33
	s_delay_alu instid0(VALU_DEP_1) | instskip(NEXT) | instid1(VALU_DEP_1)
	v_subrev_nc_u32_e32 v37, 28, v33
	v_lshlrev_b64_e32 v[38:39], v37, v[6:7]
	s_delay_alu instid0(VALU_DEP_1)
	v_dual_sub_nc_u32 v37, 29, v33 :: v_dual_bitop2_b32 v33, 7, v38 bitop3:0x40
; %bb.2039:                             ;   in Loop: Header=BB298_1062 Depth=1
	s_or_b32 exec_lo, exec_lo, s18
	s_delay_alu instid0(VALU_DEP_1) | instskip(NEXT) | instid1(VALU_DEP_2)
	v_dual_lshlrev_b32 v6, 8, v6 :: v_dual_lshlrev_b32 v33, 7, v33
	v_lshl_add_u32 v37, v37, 10, 0x2000
	s_delay_alu instid0(VALU_DEP_2) | instskip(NEXT) | instid1(VALU_DEP_2)
	v_and_b32_e32 v6, 0x8000, v6
	v_and_b32_e32 v37, 0xfc00, v37
	s_delay_alu instid0(VALU_DEP_1)
	v_or3_b32 v33, v6, v37, v33
.LBB298_2040:                           ;   in Loop: Header=BB298_1062 Depth=1
	s_or_b32 exec_lo, exec_lo, s17
.LBB298_2041:                           ;   in Loop: Header=BB298_1062 Depth=1
	s_delay_alu instid0(SALU_CYCLE_1)
	s_or_b32 exec_lo, exec_lo, s16
.LBB298_2042:                           ;   in Loop: Header=BB298_1062 Depth=1
	s_delay_alu instid0(SALU_CYCLE_1)
	s_or_b32 exec_lo, exec_lo, s15
	v_cmp_lt_u64_e64 s0, s[2:3], v[34:35]
	v_mov_b32_e32 v34, 0
	s_and_saveexec_b32 s15, s0
	s_cbranch_execz .LBB298_2050
; %bb.2043:                             ;   in Loop: Header=BB298_1062 Depth=1
	v_lshrrev_b32_e32 v6, 24, v35
	v_bfrev_b32_e32 v34, 1
	s_mov_b32 s16, exec_lo
	s_delay_alu instid0(VALU_DEP_2)
	v_cmpx_ne_u32_e32 0x80, v6
	s_cbranch_execz .LBB298_2049
; %bb.2044:                             ;   in Loop: Header=BB298_1062 Depth=1
	v_and_b32_e32 v37, 0x7f, v6
	v_mov_b32_e32 v34, 0x7c010000
	s_mov_b32 s17, exec_lo
	s_delay_alu instid0(VALU_DEP_2)
	v_cmpx_ne_u32_e32 0x7f, v37
	s_cbranch_execz .LBB298_2048
; %bb.2045:                             ;   in Loop: Header=BB298_1062 Depth=1
	v_dual_lshrrev_b32 v35, 3, v37 :: v_dual_bitop2_b32 v34, 7, v6 bitop3:0x40
	s_mov_b32 s18, exec_lo
	v_cmpx_gt_u32_e32 8, v37
; %bb.2046:                             ;   in Loop: Header=BB298_1062 Depth=1
	s_delay_alu instid0(VALU_DEP_2) | instskip(NEXT) | instid1(VALU_DEP_1)
	v_clz_i32_u32_e32 v34, v34
	v_min_u32_e32 v37, 32, v34
	s_delay_alu instid0(VALU_DEP_1) | instskip(NEXT) | instid1(VALU_DEP_1)
	v_subrev_nc_u32_e32 v34, 28, v37
	v_lshlrev_b64_e32 v[34:35], v34, v[6:7]
	s_delay_alu instid0(VALU_DEP_1)
	v_dual_sub_nc_u32 v35, 29, v37 :: v_dual_bitop2_b32 v34, 7, v34 bitop3:0x40
; %bb.2047:                             ;   in Loop: Header=BB298_1062 Depth=1
	s_or_b32 exec_lo, exec_lo, s18
	v_lshlrev_b32_e32 v6, 8, v6
	s_delay_alu instid0(VALU_DEP_2) | instskip(NEXT) | instid1(VALU_DEP_3)
	v_lshl_add_u32 v35, v35, 10, 0x2000
	v_lshlrev_b32_e32 v34, 23, v34
	s_delay_alu instid0(VALU_DEP_2) | instskip(NEXT) | instid1(VALU_DEP_1)
	v_and_or_b32 v6, 0x8000, v6, v35
	v_lshl_or_b32 v34, v6, 16, v34
.LBB298_2048:                           ;   in Loop: Header=BB298_1062 Depth=1
	s_or_b32 exec_lo, exec_lo, s17
.LBB298_2049:                           ;   in Loop: Header=BB298_1062 Depth=1
	s_delay_alu instid0(SALU_CYCLE_1)
	s_or_b32 exec_lo, exec_lo, s16
.LBB298_2050:                           ;   in Loop: Header=BB298_1062 Depth=1
	s_delay_alu instid0(SALU_CYCLE_1) | instskip(SKIP_4) | instid1(VALU_DEP_4)
	s_or_b32 exec_lo, exec_lo, s15
	v_dual_lshrrev_b32 v6, 16, v1 :: v_dual_lshrrev_b32 v35, 16, v19
	v_or_b32_e32 v1, v1, v18
	v_or_b32_e32 v22, v19, v22
	;; [unrolled: 1-line block ×3, first 2 shown]
	v_cvt_f32_f16_e32 v19, v6
	v_cvt_f32_f16_e32 v18, v35
	v_dual_lshrrev_b32 v34, 16, v34 :: v_dual_bitop2_b32 v6, v34, v33 bitop3:0x54
	v_lshrrev_b32_e32 v33, 16, v36
	v_cvt_f32_f16_e32 v23, v1
	s_delay_alu instid0(VALU_DEP_3) | instskip(NEXT) | instid1(VALU_DEP_4)
	v_cvt_f32_f16_e32 v36, v6
	v_cvt_f32_f16_e32 v34, v34
	s_wait_loadcnt_dscnt 0x0
	v_pk_mul_f32 v[18:19], v[32:33], v[18:19] op_sel_hi:[0,1]
	v_cvt_f32_f16_e32 v35, v33
	s_delay_alu instid0(VALU_DEP_2) | instskip(NEXT) | instid1(VALU_DEP_2)
	v_cvt_pk_f16_f32 v1, v18, v19
	v_pk_mul_f32 v[18:19], v[32:33], v[34:35] op_sel_hi:[0,1]
	s_delay_alu instid0(VALU_DEP_2) | instskip(SKIP_2) | instid1(VALU_DEP_4)
	v_lshlrev_b32_e32 v34, 16, v1
	v_cvt_f32_f16_e32 v22, v22
	v_and_b32_e32 v35, 0xffff0000, v1
	v_cvt_pk_f16_f32 v18, v18, v19
	s_delay_alu instid0(VALU_DEP_3) | instskip(NEXT) | instid1(VALU_DEP_2)
	v_pk_mul_f32 v[22:23], v[32:33], v[22:23] op_sel_hi:[0,1]
	v_and_b32_e32 v19, 0xffff0000, v18
	s_delay_alu instid0(VALU_DEP_2) | instskip(NEXT) | instid1(VALU_DEP_1)
	v_cvt_pk_f16_f32 v6, v22, v23
	v_lshrrev_b32_e32 v49, 16, v6
	v_cvt_f32_f16_e32 v37, v37
	v_and_b32_e32 v48, 0xffff, v6
	s_delay_alu instid0(VALU_DEP_3) | instskip(NEXT) | instid1(VALU_DEP_3)
	v_or_b32_e32 v39, v35, v49
	v_pk_mul_f32 v[32:33], v[32:33], v[36:37] op_sel_hi:[0,1]
	s_delay_alu instid0(VALU_DEP_3) | instskip(NEXT) | instid1(VALU_DEP_2)
	v_or_b32_e32 v38, v34, v48
	v_cvt_pk_f16_f32 v1, v32, v33
	s_delay_alu instid0(VALU_DEP_1) | instskip(SKIP_1) | instid1(VALU_DEP_2)
	v_dual_lshlrev_b32 v6, 16, v18 :: v_dual_lshrrev_b32 v33, 16, v1
	v_and_b32_e32 v32, 0xffff, v1
	v_or_b32_e32 v37, v19, v33
	s_delay_alu instid0(VALU_DEP_2)
	v_or_b32_e32 v36, v6, v32
	s_and_saveexec_b32 s15, vcc_lo
	s_cbranch_execz .LBB298_2052
; %bb.2051:                             ;   in Loop: Header=BB298_1062 Depth=1
	v_cmp_lt_i32_e64 s0, v54, v13
	s_delay_alu instid0(VALU_DEP_1) | instskip(SKIP_1) | instid1(VALU_DEP_1)
	v_cndmask_b32_e64 v1, 0, v49, s0
	v_cmp_lt_i32_e64 s0, v70, v58
	v_cndmask_b32_e64 v18, 0, v48, s0
	v_cmp_lt_i32_e64 s0, v69, v13
	s_delay_alu instid0(VALU_DEP_1) | instskip(SKIP_1) | instid1(VALU_DEP_1)
	v_cndmask_b32_e64 v22, 0, v35, s0
	v_cmp_lt_i32_e64 s0, v68, v58
	v_cndmask_b32_e64 v23, 0, v34, s0
	v_cmp_lt_i32_e64 s0, v67, v13
	s_delay_alu instid0(VALU_DEP_4) | instskip(NEXT) | instid1(VALU_DEP_2)
	v_or_b32_e32 v39, v1, v22
	v_dual_cndmask_b32 v33, 0, v33, s0 :: v_dual_bitop2_b32 v38, v18, v23 bitop3:0x54
	v_cmp_lt_i32_e64 s0, v66, v58
	s_delay_alu instid0(VALU_DEP_1) | instskip(SKIP_1) | instid1(VALU_DEP_1)
	v_cndmask_b32_e64 v32, 0, v32, s0
	v_cmp_lt_i32_e64 s0, v65, v13
	v_cndmask_b32_e64 v19, 0, v19, s0
	v_cmp_lt_i32_e64 s0, v0, v58
	s_delay_alu instid0(VALU_DEP_1) | instskip(NEXT) | instid1(VALU_DEP_1)
	v_dual_cndmask_b32 v6, 0, v6, s0 :: v_dual_bitop2_b32 v37, v33, v19 bitop3:0x54
	v_or_b32_e32 v36, v32, v6
.LBB298_2052:                           ;   in Loop: Header=BB298_1062 Depth=1
	s_or_b32 exec_lo, exec_lo, s15
	;;#ASMSTART
	v_pk_mul_f16 v1, v82, v39;

	;;#ASMEND
	;;#ASMSTART
	v_pk_mul_f16 v6, v81, v38;

	;;#ASMEND
	;; [unrolled: 4-line block ×4, first 2 shown]
	;;#ASMSTART
	v_pk_add_f16 v1, v1, v6;

	;;#ASMEND
	;;#ASMSTART
	v_pk_add_f16 v1, v1, v18;

	;;#ASMEND
	;; [unrolled: 4-line block ×3, first 2 shown]
	v_and_b32_e32 v6, 0xffff, v1
	v_lshrrev_b32_e32 v1, 16, v1
	;;#ASMSTART
	v_cvt_f32_f16 v48, v6;
	;;#ASMEND
	;;#ASMSTART
	v_cvt_f32_f16 v49, v1;
	;;#ASMEND
	flat_load_b64 v[32:33], v[14:15] offset:3840
	scratch_load_b64 v[14:15], off, s32 offset:192 ; 8-byte Folded Reload
	v_mov_b32_e32 v1, 0
	s_mov_b32 s15, exec_lo
	s_wait_loadcnt_dscnt 0x100
	v_and_b32_e32 v6, 0xff, v32
	s_wait_loadcnt 0x0
	flat_load_b32 v14, v[14:15]
	s_wait_xcnt 0x0
	v_mov_b32_e32 v15, 0
	v_cmpx_ne_u16_e32 0, v6
	s_cbranch_execz .LBB298_2060
; %bb.2053:                             ;   in Loop: Header=BB298_1062 Depth=1
	v_mov_b32_e32 v15, 0x8000
	s_mov_b32 s16, exec_lo
	v_cmpx_ne_u16_e32 0x80, v6
	s_cbranch_execz .LBB298_2059
; %bb.2054:                             ;   in Loop: Header=BB298_1062 Depth=1
	v_and_b32_e32 v18, 0x7f, v32
	v_mov_b32_e32 v15, 0x7c01
	s_mov_b32 s17, exec_lo
	s_delay_alu instid0(VALU_DEP_2)
	v_cmpx_ne_u32_e32 0x7f, v18
	s_cbranch_execz .LBB298_2058
; %bb.2055:                             ;   in Loop: Header=BB298_1062 Depth=1
	v_dual_lshrrev_b32 v15, 3, v18 :: v_dual_bitop2_b32 v6, 7, v32 bitop3:0x40
	s_mov_b32 s18, exec_lo
	v_cmpx_gt_u32_e32 8, v18
; %bb.2056:                             ;   in Loop: Header=BB298_1062 Depth=1
	s_delay_alu instid0(VALU_DEP_2) | instskip(NEXT) | instid1(VALU_DEP_1)
	v_clz_i32_u32_e32 v6, v6
	v_min_u32_e32 v6, 32, v6
	s_delay_alu instid0(VALU_DEP_1) | instskip(NEXT) | instid1(VALU_DEP_1)
	v_subrev_nc_u32_e32 v15, 28, v6
	v_lshlrev_b64_e32 v[18:19], v15, v[32:33]
	v_sub_nc_u32_e32 v15, 29, v6
	s_delay_alu instid0(VALU_DEP_2)
	v_and_b32_e32 v6, 7, v18
; %bb.2057:                             ;   in Loop: Header=BB298_1062 Depth=1
	s_or_b32 exec_lo, exec_lo, s18
	s_delay_alu instid0(VALU_DEP_1) | instskip(NEXT) | instid1(VALU_DEP_3)
	v_dual_lshlrev_b32 v18, 8, v32 :: v_dual_lshlrev_b32 v6, 7, v6
	v_lshl_add_u32 v15, v15, 10, 0x2000
	s_delay_alu instid0(VALU_DEP_2) | instskip(NEXT) | instid1(VALU_DEP_2)
	v_and_b32_e32 v18, 0x8000, v18
	v_and_b32_e32 v15, 0xfc00, v15
	s_delay_alu instid0(VALU_DEP_1)
	v_or3_b32 v15, v18, v15, v6
.LBB298_2058:                           ;   in Loop: Header=BB298_1062 Depth=1
	s_or_b32 exec_lo, exec_lo, s17
.LBB298_2059:                           ;   in Loop: Header=BB298_1062 Depth=1
	s_delay_alu instid0(SALU_CYCLE_1)
	s_or_b32 exec_lo, exec_lo, s16
.LBB298_2060:                           ;   in Loop: Header=BB298_1062 Depth=1
	s_delay_alu instid0(SALU_CYCLE_1) | instskip(SKIP_2) | instid1(VALU_DEP_1)
	s_or_b32 exec_lo, exec_lo, s15
	v_lshrrev_b16 v6, 8, v32
	s_mov_b32 s15, exec_lo
	v_cmpx_ne_u16_e32 0, v6
	s_cbranch_execz .LBB298_2068
; %bb.2061:                             ;   in Loop: Header=BB298_1062 Depth=1
	v_bfrev_b32_e32 v1, 1
	s_mov_b32 s16, exec_lo
	v_cmpx_ne_u16_e32 0x80, v6
	s_cbranch_execz .LBB298_2067
; %bb.2062:                             ;   in Loop: Header=BB298_1062 Depth=1
	v_and_b32_e32 v18, 0xffff, v6
	v_mov_b32_e32 v1, 0x7c010000
	s_mov_b32 s17, exec_lo
	s_delay_alu instid0(VALU_DEP_2) | instskip(NEXT) | instid1(VALU_DEP_1)
	v_and_b32_e32 v22, 0x7f, v18
	v_cmpx_ne_u32_e32 0x7f, v22
	s_cbranch_execz .LBB298_2066
; %bb.2063:                             ;   in Loop: Header=BB298_1062 Depth=1
	v_and_b32_e32 v1, 7, v18
	v_lshrrev_b32_e32 v19, 3, v22
	s_mov_b32 s18, exec_lo
	v_cmpx_gt_u32_e32 8, v22
; %bb.2064:                             ;   in Loop: Header=BB298_1062 Depth=1
	s_delay_alu instid0(VALU_DEP_3) | instskip(NEXT) | instid1(VALU_DEP_1)
	v_clz_i32_u32_e32 v1, v1
	v_min_u32_e32 v1, 32, v1
	s_delay_alu instid0(VALU_DEP_1) | instskip(NEXT) | instid1(VALU_DEP_1)
	v_subrev_nc_u32_e32 v19, 28, v1
	v_lshlrev_b64_e32 v[22:23], v19, v[6:7]
	s_delay_alu instid0(VALU_DEP_1)
	v_dual_sub_nc_u32 v19, 29, v1 :: v_dual_bitop2_b32 v1, 7, v22 bitop3:0x40
; %bb.2065:                             ;   in Loop: Header=BB298_1062 Depth=1
	s_or_b32 exec_lo, exec_lo, s18
	s_delay_alu instid0(VALU_DEP_1) | instskip(NEXT) | instid1(VALU_DEP_2)
	v_dual_lshlrev_b32 v6, 8, v18 :: v_dual_lshlrev_b32 v1, 23, v1
	v_lshl_add_u32 v18, v19, 10, 0x2000
	s_delay_alu instid0(VALU_DEP_1) | instskip(NEXT) | instid1(VALU_DEP_1)
	v_and_or_b32 v6, 0x8000, v6, v18
	v_lshl_or_b32 v1, v6, 16, v1
.LBB298_2066:                           ;   in Loop: Header=BB298_1062 Depth=1
	s_or_b32 exec_lo, exec_lo, s17
.LBB298_2067:                           ;   in Loop: Header=BB298_1062 Depth=1
	s_delay_alu instid0(SALU_CYCLE_1)
	s_or_b32 exec_lo, exec_lo, s16
.LBB298_2068:                           ;   in Loop: Header=BB298_1062 Depth=1
	s_delay_alu instid0(SALU_CYCLE_1) | instskip(SKIP_3) | instid1(VALU_DEP_2)
	s_or_b32 exec_lo, exec_lo, s15
	v_dual_lshrrev_b32 v6, 16, v32 :: v_dual_mov_b32 v18, 0
	v_mov_b32_e32 v19, 0
	s_mov_b32 s15, exec_lo
	v_and_b32_e32 v22, 0xff, v6
	s_delay_alu instid0(VALU_DEP_1)
	v_cmpx_ne_u16_e32 0, v22
	s_cbranch_execz .LBB298_2076
; %bb.2069:                             ;   in Loop: Header=BB298_1062 Depth=1
	v_mov_b32_e32 v19, 0x8000
	s_mov_b32 s16, exec_lo
	v_cmpx_ne_u16_e32 0x80, v22
	s_cbranch_execz .LBB298_2075
; %bb.2070:                             ;   in Loop: Header=BB298_1062 Depth=1
	v_bfe_u32 v23, v32, 16, 7
	v_mov_b32_e32 v19, 0x7c01
	s_mov_b32 s17, exec_lo
	s_delay_alu instid0(VALU_DEP_2)
	v_cmpx_ne_u32_e32 0x7f, v23
	s_cbranch_execz .LBB298_2074
; %bb.2071:                             ;   in Loop: Header=BB298_1062 Depth=1
	v_dual_lshrrev_b32 v22, 3, v23 :: v_dual_bitop2_b32 v19, 7, v6 bitop3:0x40
	s_mov_b32 s18, exec_lo
	v_cmpx_gt_u32_e32 8, v23
; %bb.2072:                             ;   in Loop: Header=BB298_1062 Depth=1
	s_delay_alu instid0(VALU_DEP_2) | instskip(NEXT) | instid1(VALU_DEP_1)
	v_clz_i32_u32_e32 v19, v19
	v_min_u32_e32 v19, 32, v19
	s_delay_alu instid0(VALU_DEP_1) | instskip(NEXT) | instid1(VALU_DEP_1)
	v_subrev_nc_u32_e32 v22, 28, v19
	v_lshlrev_b64_e32 v[34:35], v22, v[6:7]
	s_delay_alu instid0(VALU_DEP_1)
	v_dual_sub_nc_u32 v22, 29, v19 :: v_dual_bitop2_b32 v19, 7, v34 bitop3:0x40
; %bb.2073:                             ;   in Loop: Header=BB298_1062 Depth=1
	s_or_b32 exec_lo, exec_lo, s18
	s_delay_alu instid0(VALU_DEP_1) | instskip(NEXT) | instid1(VALU_DEP_2)
	v_dual_lshlrev_b32 v6, 8, v6 :: v_dual_lshlrev_b32 v19, 7, v19
	v_lshl_add_u32 v22, v22, 10, 0x2000
	s_delay_alu instid0(VALU_DEP_2) | instskip(NEXT) | instid1(VALU_DEP_2)
	v_and_b32_e32 v6, 0x8000, v6
	v_and_b32_e32 v22, 0xfc00, v22
	s_delay_alu instid0(VALU_DEP_1)
	v_or3_b32 v19, v6, v22, v19
.LBB298_2074:                           ;   in Loop: Header=BB298_1062 Depth=1
	s_or_b32 exec_lo, exec_lo, s17
.LBB298_2075:                           ;   in Loop: Header=BB298_1062 Depth=1
	s_delay_alu instid0(SALU_CYCLE_1)
	s_or_b32 exec_lo, exec_lo, s16
.LBB298_2076:                           ;   in Loop: Header=BB298_1062 Depth=1
	s_delay_alu instid0(SALU_CYCLE_1) | instskip(NEXT) | instid1(SALU_CYCLE_1)
	s_or_b32 exec_lo, exec_lo, s15
	s_mov_b32 s15, exec_lo
	v_cmpx_lt_u32_e32 0xffffff, v32
	s_cbranch_execz .LBB298_2084
; %bb.2077:                             ;   in Loop: Header=BB298_1062 Depth=1
	v_lshrrev_b32_e32 v6, 24, v32
	v_bfrev_b32_e32 v18, 1
	s_mov_b32 s16, exec_lo
	s_delay_alu instid0(VALU_DEP_2)
	v_cmpx_ne_u32_e32 0x80, v6
	s_cbranch_execz .LBB298_2083
; %bb.2078:                             ;   in Loop: Header=BB298_1062 Depth=1
	v_and_b32_e32 v23, 0x7f, v6
	v_mov_b32_e32 v18, 0x7c010000
	s_mov_b32 s17, exec_lo
	s_delay_alu instid0(VALU_DEP_2)
	v_cmpx_ne_u32_e32 0x7f, v23
	s_cbranch_execz .LBB298_2082
; %bb.2079:                             ;   in Loop: Header=BB298_1062 Depth=1
	v_dual_lshrrev_b32 v22, 3, v23 :: v_dual_bitop2_b32 v18, 7, v6 bitop3:0x40
	s_mov_b32 s18, exec_lo
	v_cmpx_gt_u32_e32 8, v23
; %bb.2080:                             ;   in Loop: Header=BB298_1062 Depth=1
	s_delay_alu instid0(VALU_DEP_2) | instskip(NEXT) | instid1(VALU_DEP_1)
	v_clz_i32_u32_e32 v18, v18
	v_min_u32_e32 v18, 32, v18
	s_delay_alu instid0(VALU_DEP_1) | instskip(NEXT) | instid1(VALU_DEP_1)
	v_subrev_nc_u32_e32 v22, 28, v18
	v_lshlrev_b64_e32 v[34:35], v22, v[6:7]
	v_sub_nc_u32_e32 v22, 29, v18
	s_delay_alu instid0(VALU_DEP_2)
	v_and_b32_e32 v18, 7, v34
; %bb.2081:                             ;   in Loop: Header=BB298_1062 Depth=1
	s_or_b32 exec_lo, exec_lo, s18
	v_lshlrev_b32_e32 v6, 8, v6
	s_delay_alu instid0(VALU_DEP_3) | instskip(NEXT) | instid1(VALU_DEP_3)
	v_lshl_add_u32 v22, v22, 10, 0x2000
	v_lshlrev_b32_e32 v18, 23, v18
	s_delay_alu instid0(VALU_DEP_2) | instskip(NEXT) | instid1(VALU_DEP_1)
	v_and_or_b32 v6, 0x8000, v6, v22
	v_lshl_or_b32 v18, v6, 16, v18
.LBB298_2082:                           ;   in Loop: Header=BB298_1062 Depth=1
	s_or_b32 exec_lo, exec_lo, s17
.LBB298_2083:                           ;   in Loop: Header=BB298_1062 Depth=1
	s_delay_alu instid0(SALU_CYCLE_1)
	s_or_b32 exec_lo, exec_lo, s16
.LBB298_2084:                           ;   in Loop: Header=BB298_1062 Depth=1
	s_delay_alu instid0(SALU_CYCLE_1) | instskip(SKIP_4) | instid1(VALU_DEP_3)
	s_or_b32 exec_lo, exec_lo, s15
	v_and_b32_e32 v34, 0xff, v33
	v_dual_mov_b32 v6, v33 :: v_dual_mov_b32 v23, 0
	v_mov_b32_e32 v22, 0
	s_mov_b32 s15, exec_lo
	v_cmpx_ne_u16_e32 0, v34
	s_cbranch_execz .LBB298_2092
; %bb.2085:                             ;   in Loop: Header=BB298_1062 Depth=1
	v_mov_b32_e32 v22, 0x8000
	s_mov_b32 s16, exec_lo
	v_cmpx_ne_u16_e32 0x80, v34
	s_cbranch_execz .LBB298_2091
; %bb.2086:                             ;   in Loop: Header=BB298_1062 Depth=1
	v_and_b32_e32 v35, 0x7f, v33
	v_mov_b32_e32 v22, 0x7c01
	s_mov_b32 s17, exec_lo
	s_delay_alu instid0(VALU_DEP_2)
	v_cmpx_ne_u32_e32 0x7f, v35
	s_cbranch_execz .LBB298_2090
; %bb.2087:                             ;   in Loop: Header=BB298_1062 Depth=1
	v_dual_lshrrev_b32 v34, 3, v35 :: v_dual_bitop2_b32 v22, 7, v33 bitop3:0x40
	s_mov_b32 s18, exec_lo
	v_cmpx_gt_u32_e32 8, v35
; %bb.2088:                             ;   in Loop: Header=BB298_1062 Depth=1
	s_delay_alu instid0(VALU_DEP_2) | instskip(NEXT) | instid1(VALU_DEP_1)
	v_clz_i32_u32_e32 v22, v22
	v_min_u32_e32 v22, 32, v22
	s_delay_alu instid0(VALU_DEP_1) | instskip(NEXT) | instid1(VALU_DEP_1)
	v_subrev_nc_u32_e32 v34, 28, v22
	v_lshlrev_b64_e32 v[36:37], v34, v[6:7]
	s_delay_alu instid0(VALU_DEP_1)
	v_dual_sub_nc_u32 v34, 29, v22 :: v_dual_bitop2_b32 v22, 7, v36 bitop3:0x40
; %bb.2089:                             ;   in Loop: Header=BB298_1062 Depth=1
	s_or_b32 exec_lo, exec_lo, s18
	s_delay_alu instid0(VALU_DEP_1) | instskip(NEXT) | instid1(VALU_DEP_2)
	v_dual_lshlrev_b32 v35, 8, v33 :: v_dual_lshlrev_b32 v22, 7, v22
	v_lshl_add_u32 v34, v34, 10, 0x2000
	s_delay_alu instid0(VALU_DEP_2) | instskip(NEXT) | instid1(VALU_DEP_2)
	v_and_b32_e32 v35, 0x8000, v35
	v_and_b32_e32 v34, 0xfc00, v34
	s_delay_alu instid0(VALU_DEP_1)
	v_or3_b32 v22, v35, v34, v22
.LBB298_2090:                           ;   in Loop: Header=BB298_1062 Depth=1
	s_or_b32 exec_lo, exec_lo, s17
.LBB298_2091:                           ;   in Loop: Header=BB298_1062 Depth=1
	s_delay_alu instid0(SALU_CYCLE_1)
	s_or_b32 exec_lo, exec_lo, s16
.LBB298_2092:                           ;   in Loop: Header=BB298_1062 Depth=1
	s_delay_alu instid0(SALU_CYCLE_1) | instskip(SKIP_3) | instid1(VALU_DEP_2)
	s_or_b32 exec_lo, exec_lo, s15
	v_lshrrev_b16 v6, 8, v6
	v_mov_b32_e32 v34, 0
	s_mov_b32 s15, exec_lo
	v_cmpx_ne_u16_e32 0, v6
	s_cbranch_execz .LBB298_2100
; %bb.2093:                             ;   in Loop: Header=BB298_1062 Depth=1
	v_bfrev_b32_e32 v34, 1
	s_mov_b32 s16, exec_lo
	v_cmpx_ne_u16_e32 0x80, v6
	s_cbranch_execz .LBB298_2099
; %bb.2094:                             ;   in Loop: Header=BB298_1062 Depth=1
	v_and_b32_e32 v35, 0xffff, v6
	v_mov_b32_e32 v34, 0x7c010000
	s_mov_b32 s17, exec_lo
	s_delay_alu instid0(VALU_DEP_2) | instskip(NEXT) | instid1(VALU_DEP_1)
	v_and_b32_e32 v37, 0x7f, v35
	v_cmpx_ne_u32_e32 0x7f, v37
	s_cbranch_execz .LBB298_2098
; %bb.2095:                             ;   in Loop: Header=BB298_1062 Depth=1
	v_dual_lshrrev_b32 v36, 3, v37 :: v_dual_bitop2_b32 v34, 7, v35 bitop3:0x40
	s_mov_b32 s18, exec_lo
	v_cmpx_gt_u32_e32 8, v37
; %bb.2096:                             ;   in Loop: Header=BB298_1062 Depth=1
	s_delay_alu instid0(VALU_DEP_2) | instskip(NEXT) | instid1(VALU_DEP_1)
	v_clz_i32_u32_e32 v34, v34
	v_min_u32_e32 v34, 32, v34
	s_delay_alu instid0(VALU_DEP_1) | instskip(NEXT) | instid1(VALU_DEP_1)
	v_subrev_nc_u32_e32 v36, 28, v34
	v_lshlrev_b64_e32 v[38:39], v36, v[6:7]
	v_sub_nc_u32_e32 v36, 29, v34
	s_delay_alu instid0(VALU_DEP_2)
	v_and_b32_e32 v34, 7, v38
; %bb.2097:                             ;   in Loop: Header=BB298_1062 Depth=1
	s_or_b32 exec_lo, exec_lo, s18
	s_delay_alu instid0(VALU_DEP_1) | instskip(NEXT) | instid1(VALU_DEP_3)
	v_dual_lshlrev_b32 v6, 8, v35 :: v_dual_lshlrev_b32 v34, 23, v34
	v_lshl_add_u32 v35, v36, 10, 0x2000
	s_delay_alu instid0(VALU_DEP_1) | instskip(NEXT) | instid1(VALU_DEP_1)
	v_and_or_b32 v6, 0x8000, v6, v35
	v_lshl_or_b32 v34, v6, 16, v34
.LBB298_2098:                           ;   in Loop: Header=BB298_1062 Depth=1
	s_or_b32 exec_lo, exec_lo, s17
.LBB298_2099:                           ;   in Loop: Header=BB298_1062 Depth=1
	s_delay_alu instid0(SALU_CYCLE_1)
	s_or_b32 exec_lo, exec_lo, s16
.LBB298_2100:                           ;   in Loop: Header=BB298_1062 Depth=1
	s_delay_alu instid0(SALU_CYCLE_1) | instskip(SKIP_2) | instid1(VALU_DEP_1)
	s_or_b32 exec_lo, exec_lo, s15
	v_lshrrev_b32_e32 v6, 16, v33
	s_mov_b32 s15, exec_lo
	v_and_b32_e32 v35, 0xff, v6
	s_delay_alu instid0(VALU_DEP_1)
	v_cmpx_ne_u16_e32 0, v35
	s_cbranch_execz .LBB298_2108
; %bb.2101:                             ;   in Loop: Header=BB298_1062 Depth=1
	v_mov_b32_e32 v23, 0x8000
	s_mov_b32 s16, exec_lo
	v_cmpx_ne_u16_e32 0x80, v35
	s_cbranch_execz .LBB298_2107
; %bb.2102:                             ;   in Loop: Header=BB298_1062 Depth=1
	v_bfe_u32 v36, v33, 16, 7
	v_mov_b32_e32 v23, 0x7c01
	s_mov_b32 s17, exec_lo
	s_delay_alu instid0(VALU_DEP_2)
	v_cmpx_ne_u32_e32 0x7f, v36
	s_cbranch_execz .LBB298_2106
; %bb.2103:                             ;   in Loop: Header=BB298_1062 Depth=1
	v_dual_lshrrev_b32 v35, 3, v36 :: v_dual_bitop2_b32 v23, 7, v6 bitop3:0x40
	s_mov_b32 s18, exec_lo
	v_cmpx_gt_u32_e32 8, v36
; %bb.2104:                             ;   in Loop: Header=BB298_1062 Depth=1
	s_delay_alu instid0(VALU_DEP_2) | instskip(NEXT) | instid1(VALU_DEP_1)
	v_clz_i32_u32_e32 v23, v23
	v_min_u32_e32 v23, 32, v23
	s_delay_alu instid0(VALU_DEP_1) | instskip(NEXT) | instid1(VALU_DEP_1)
	v_subrev_nc_u32_e32 v35, 28, v23
	v_lshlrev_b64_e32 v[36:37], v35, v[6:7]
	s_delay_alu instid0(VALU_DEP_1)
	v_dual_sub_nc_u32 v35, 29, v23 :: v_dual_bitop2_b32 v23, 7, v36 bitop3:0x40
; %bb.2105:                             ;   in Loop: Header=BB298_1062 Depth=1
	s_or_b32 exec_lo, exec_lo, s18
	s_delay_alu instid0(VALU_DEP_1) | instskip(NEXT) | instid1(VALU_DEP_2)
	v_dual_lshlrev_b32 v6, 8, v6 :: v_dual_lshlrev_b32 v23, 7, v23
	v_lshl_add_u32 v35, v35, 10, 0x2000
	s_delay_alu instid0(VALU_DEP_2) | instskip(NEXT) | instid1(VALU_DEP_2)
	v_and_b32_e32 v6, 0x8000, v6
	v_and_b32_e32 v35, 0xfc00, v35
	s_delay_alu instid0(VALU_DEP_1)
	v_or3_b32 v23, v6, v35, v23
.LBB298_2106:                           ;   in Loop: Header=BB298_1062 Depth=1
	s_or_b32 exec_lo, exec_lo, s17
.LBB298_2107:                           ;   in Loop: Header=BB298_1062 Depth=1
	s_delay_alu instid0(SALU_CYCLE_1)
	s_or_b32 exec_lo, exec_lo, s16
.LBB298_2108:                           ;   in Loop: Header=BB298_1062 Depth=1
	s_delay_alu instid0(SALU_CYCLE_1)
	s_or_b32 exec_lo, exec_lo, s15
	v_cmp_lt_u64_e64 s0, s[2:3], v[32:33]
	v_mov_b32_e32 v32, 0
	s_and_saveexec_b32 s15, s0
	s_cbranch_execz .LBB298_2116
; %bb.2109:                             ;   in Loop: Header=BB298_1062 Depth=1
	v_lshrrev_b32_e32 v6, 24, v33
	v_bfrev_b32_e32 v32, 1
	s_mov_b32 s16, exec_lo
	s_delay_alu instid0(VALU_DEP_2)
	v_cmpx_ne_u32_e32 0x80, v6
	s_cbranch_execz .LBB298_2115
; %bb.2110:                             ;   in Loop: Header=BB298_1062 Depth=1
	v_and_b32_e32 v35, 0x7f, v6
	v_mov_b32_e32 v32, 0x7c010000
	s_mov_b32 s17, exec_lo
	s_delay_alu instid0(VALU_DEP_2)
	v_cmpx_ne_u32_e32 0x7f, v35
	s_cbranch_execz .LBB298_2114
; %bb.2111:                             ;   in Loop: Header=BB298_1062 Depth=1
	v_dual_lshrrev_b32 v33, 3, v35 :: v_dual_bitop2_b32 v32, 7, v6 bitop3:0x40
	s_mov_b32 s18, exec_lo
	v_cmpx_gt_u32_e32 8, v35
; %bb.2112:                             ;   in Loop: Header=BB298_1062 Depth=1
	s_delay_alu instid0(VALU_DEP_2) | instskip(NEXT) | instid1(VALU_DEP_1)
	v_clz_i32_u32_e32 v32, v32
	v_min_u32_e32 v35, 32, v32
	s_delay_alu instid0(VALU_DEP_1) | instskip(NEXT) | instid1(VALU_DEP_1)
	v_subrev_nc_u32_e32 v32, 28, v35
	v_lshlrev_b64_e32 v[32:33], v32, v[6:7]
	s_delay_alu instid0(VALU_DEP_1)
	v_dual_sub_nc_u32 v33, 29, v35 :: v_dual_bitop2_b32 v32, 7, v32 bitop3:0x40
; %bb.2113:                             ;   in Loop: Header=BB298_1062 Depth=1
	s_or_b32 exec_lo, exec_lo, s18
	s_delay_alu instid0(VALU_DEP_1) | instskip(NEXT) | instid1(VALU_DEP_2)
	v_dual_lshlrev_b32 v6, 8, v6 :: v_dual_lshlrev_b32 v32, 23, v32
	v_lshl_add_u32 v33, v33, 10, 0x2000
	s_delay_alu instid0(VALU_DEP_1) | instskip(NEXT) | instid1(VALU_DEP_1)
	v_and_or_b32 v6, 0x8000, v6, v33
	v_lshl_or_b32 v32, v6, 16, v32
.LBB298_2114:                           ;   in Loop: Header=BB298_1062 Depth=1
	s_or_b32 exec_lo, exec_lo, s17
.LBB298_2115:                           ;   in Loop: Header=BB298_1062 Depth=1
	s_delay_alu instid0(SALU_CYCLE_1)
	s_or_b32 exec_lo, exec_lo, s16
.LBB298_2116:                           ;   in Loop: Header=BB298_1062 Depth=1
	s_delay_alu instid0(SALU_CYCLE_1) | instskip(SKIP_3) | instid1(VALU_DEP_3)
	s_or_b32 exec_lo, exec_lo, s15
	v_dual_lshrrev_b32 v6, 16, v1 :: v_dual_lshrrev_b32 v33, 16, v18
	v_or_b32_e32 v1, v1, v15
	v_dual_lshrrev_b32 v35, 16, v32 :: v_dual_bitop2_b32 v15, v18, v19 bitop3:0x54
	v_cvt_f32_f16_e32 v19, v6
	s_delay_alu instid0(VALU_DEP_4) | instskip(SKIP_1) | instid1(VALU_DEP_4)
	v_cvt_f32_f16_e32 v18, v33
	v_dual_lshrrev_b32 v23, 16, v34 :: v_dual_bitop2_b32 v6, v32, v23 bitop3:0x54
	v_cvt_f32_f16_e32 v32, v15
	v_cvt_f32_f16_e32 v33, v1
	s_wait_loadcnt_dscnt 0x0
	v_pk_mul_f32 v[18:19], v[14:15], v[18:19] op_sel_hi:[0,1]
	v_or_b32_e32 v15, v34, v22
	v_cvt_f32_f16_e32 v23, v23
	v_cvt_f32_f16_e32 v22, v35
	s_delay_alu instid0(VALU_DEP_4) | instskip(NEXT) | instid1(VALU_DEP_4)
	v_cvt_pk_f16_f32 v1, v18, v19
	v_cvt_f32_f16_e32 v35, v15
	v_pk_mul_f32 v[32:33], v[14:15], v[32:33] op_sel_hi:[0,1]
	s_delay_alu instid0(VALU_DEP_4) | instskip(NEXT) | instid1(VALU_DEP_4)
	v_pk_mul_f32 v[18:19], v[14:15], v[22:23] op_sel_hi:[0,1]
	v_lshlrev_b32_e32 v36, 16, v1
	v_cvt_f32_f16_e32 v34, v6
	v_and_b32_e32 v37, 0xffff0000, v1
	s_delay_alu instid0(VALU_DEP_4) | instskip(SKIP_1) | instid1(VALU_DEP_4)
	v_cvt_pk_f16_f32 v18, v18, v19
	v_cvt_pk_f16_f32 v6, v32, v33
	v_pk_mul_f32 v[14:15], v[14:15], v[34:35] op_sel_hi:[0,1]
	s_delay_alu instid0(VALU_DEP_3) | instskip(NEXT) | instid1(VALU_DEP_3)
	v_and_b32_e32 v33, 0xffff0000, v18
	v_and_b32_e32 v38, 0xffff, v6
	s_delay_alu instid0(VALU_DEP_3) | instskip(NEXT) | instid1(VALU_DEP_1)
	v_cvt_pk_f16_f32 v1, v14, v15
	v_dual_lshrrev_b32 v35, 16, v1 :: v_dual_bitop2_b32 v14, v36, v38 bitop3:0x54
	v_lshrrev_b32_e32 v39, 16, v6
	v_and_b32_e32 v34, 0xffff, v1
	s_delay_alu instid0(VALU_DEP_3) | instskip(NEXT) | instid1(VALU_DEP_3)
	v_dual_lshlrev_b32 v32, 16, v18 :: v_dual_bitop2_b32 v15, v33, v35 bitop3:0x54
	v_or_b32_e32 v19, v37, v39
	s_delay_alu instid0(VALU_DEP_2)
	v_or_b32_e32 v6, v32, v34
	s_and_saveexec_b32 s0, vcc_lo
	s_cbranch_execz .LBB298_1061
; %bb.2117:                             ;   in Loop: Header=BB298_1062 Depth=1
	v_cmp_lt_i32_e32 vcc_lo, v54, v13
	v_cndmask_b32_e32 v1, 0, v39, vcc_lo
	v_cmp_lt_i32_e32 vcc_lo, v70, v58
	v_cndmask_b32_e32 v6, 0, v38, vcc_lo
	;; [unrolled: 2-line block ×4, first 2 shown]
	v_cmp_lt_i32_e32 vcc_lo, v67, v13
	s_delay_alu instid0(VALU_DEP_4) | instskip(NEXT) | instid1(VALU_DEP_3)
	v_or_b32_e32 v19, v1, v14
	v_or_b32_e32 v14, v6, v15
	v_cndmask_b32_e32 v18, 0, v35, vcc_lo
	v_cmp_lt_i32_e32 vcc_lo, v66, v58
	v_cndmask_b32_e32 v22, 0, v34, vcc_lo
	v_cmp_lt_i32_e32 vcc_lo, v65, v13
	;; [unrolled: 2-line block ×3, first 2 shown]
	s_delay_alu instid0(VALU_DEP_2) | instskip(NEXT) | instid1(VALU_DEP_1)
	v_dual_cndmask_b32 v0, 0, v32, vcc_lo :: v_dual_bitop2_b32 v15, v18, v23 bitop3:0x54
	v_or_b32_e32 v6, v22, v0
	s_branch .LBB298_1061
.LBB298_2118:
	s_or_b32 exec_lo, exec_lo, s14
	v_mov_b64_e32 v[32:33], s[6:7]
.LBB298_2119:
	s_or_b32 exec_lo, exec_lo, s1
	s_delay_alu instid0(VALU_DEP_1)
	v_lshl_add_u64 v[0:1], v[32:33], 2, s[8:9]
	s_wait_storecnt 0x0
	s_barrier_signal -1
	s_barrier_wait -1
	global_load_b32 v0, v[0:1], off
	scratch_load_b32 v1, off, s32 offset:376 ; 4-byte Folded Reload
	ds_bpermute_b32 v14, v51, v24
	ds_bpermute_b32 v15, v51, v25
	;; [unrolled: 1-line block ×14, first 2 shown]
	s_mov_b32 s0, exec_lo
	s_wait_dscnt 0xc
	v_pk_add_f32 v[24:25], v[24:25], v[14:15]
	s_wait_dscnt 0xa
	v_pk_add_f32 v[36:37], v[8:9], v[18:19]
	;; [unrolled: 2-line block ×3, first 2 shown]
	ds_bpermute_b32 v34, v50, v24
	ds_bpermute_b32 v35, v50, v25
	;; [unrolled: 1-line block ×4, first 2 shown]
	s_wait_dscnt 0xa
	v_pk_add_f32 v[6:7], v[30:31], v[6:7]
	s_wait_dscnt 0x8
	v_pk_add_f32 v[26:27], v[26:27], v[12:13]
	;; [unrolled: 2-line block ×4, first 2 shown]
	ds_bpermute_b32 v12, v50, v10
	ds_bpermute_b32 v30, v50, v6
	;; [unrolled: 1-line block ×12, first 2 shown]
	s_wait_dscnt 0xe
	v_pk_add_f32 v[8:9], v[24:25], v[34:35]
	s_wait_dscnt 0xc
	v_pk_add_f32 v[16:17], v[2:3], v[28:29]
	ds_bpermute_b32 v18, v50, v16
	ds_bpermute_b32 v19, v50, v17
	s_wait_dscnt 0xb
	v_pk_add_f32 v[14:15], v[6:7], v[30:31]
	s_wait_dscnt 0xa
	v_pk_add_f32 v[12:13], v[10:11], v[12:13]
	;; [unrolled: 2-line block ×6, first 2 shown]
	s_wait_loadcnt 0x0
	v_and_b32_e32 v24, 0x3c3, v1
	scratch_load_b32 v1, off, s32 offset:372 ; 4-byte Folded Reload
	s_wait_loadcnt 0x0
	v_and_b32_e32 v1, 28, v1
	v_cmpx_ne_u32_e32 64, v24
	s_xor_b32 s0, exec_lo, s0
	s_delay_alu instid0(SALU_CYCLE_1)
	s_or_saveexec_b32 s0, s0
	s_wait_dscnt 0x0
	v_pk_add_f32 v[16:17], v[16:17], v[18:19]
	s_clause 0x1
	scratch_load_b32 v18, off, s32 offset:372 th:TH_LOAD_LU
	scratch_load_b32 v19, off, s32 offset:380 th:TH_LOAD_LU
	s_wait_loadcnt 0x1
	v_dual_add_nc_u32 v1, v0, v1 :: v_dual_lshrrev_b32 v18, 2, v18
	s_wait_loadcnt 0x0
	v_lshlrev_b32_e32 v19, 9, v19
	s_xor_b32 exec_lo, exec_lo, s0
	s_cbranch_execz .LBB298_2121
; %bb.2120:
	s_delay_alu instid0(VALU_DEP_1) | instskip(NEXT) | instid1(VALU_DEP_1)
	v_add_nc_u32_e32 v20, v1, v19
	v_add_nc_u32_e32 v21, 0xfffffc00, v20
	;; [unrolled: 1-line block ×9, first 2 shown]
	ds_store_b32 v21, v14
	ds_store_b32 v22, v15
	;; [unrolled: 1-line block ×8, first 2 shown]
	v_add_nc_u32_e32 v21, 0xfffffd00, v20
	v_add_nc_u32_e32 v22, 0xfffffd20, v20
	;; [unrolled: 1-line block ×8, first 2 shown]
	ds_store_b32 v21, v6
	ds_store_b32 v22, v7
	;; [unrolled: 1-line block ×8, first 2 shown]
.LBB298_2121:
	s_or_b32 exec_lo, exec_lo, s0
	v_lshlrev_b32_e32 v18, 2, v18
	s_mov_b32 s1, exec_lo
	v_cmp_eq_u32_e32 vcc_lo, 0, v52
	s_delay_alu instid0(VALU_DEP_2)
	v_add3_u32 v0, v0, v19, v18
	scratch_load_b32 v19, off, s32 offset:376 ; 4-byte Folded Reload
	s_wait_loadcnt_dscnt 0x0
	s_barrier_signal -1
	s_barrier_wait -1
	v_cmpx_gt_u32_e32 64, v19
	s_cbranch_execz .LBB298_2140
; %bb.2122:
	s_and_saveexec_b32 s0, vcc_lo
	s_cbranch_execnz .LBB298_2164
; %bb.2123:
	s_or_b32 exec_lo, exec_lo, s0
	s_and_saveexec_b32 s0, vcc_lo
	s_cbranch_execnz .LBB298_2165
.LBB298_2124:
	s_or_b32 exec_lo, exec_lo, s0
	s_and_saveexec_b32 s0, vcc_lo
	s_cbranch_execnz .LBB298_2166
.LBB298_2125:
	s_or_b32 exec_lo, exec_lo, s0
	s_and_saveexec_b32 s0, vcc_lo
	s_cbranch_execnz .LBB298_2167
.LBB298_2126:
	s_or_b32 exec_lo, exec_lo, s0
	s_and_saveexec_b32 s0, vcc_lo
	s_cbranch_execnz .LBB298_2168
.LBB298_2127:
	s_or_b32 exec_lo, exec_lo, s0
	s_and_saveexec_b32 s0, vcc_lo
	s_cbranch_execnz .LBB298_2169
.LBB298_2128:
	s_or_b32 exec_lo, exec_lo, s0
	s_and_saveexec_b32 s0, vcc_lo
	s_cbranch_execnz .LBB298_2170
.LBB298_2129:
	s_or_b32 exec_lo, exec_lo, s0
	s_and_saveexec_b32 s0, vcc_lo
	s_cbranch_execnz .LBB298_2171
.LBB298_2130:
	s_or_b32 exec_lo, exec_lo, s0
	s_and_saveexec_b32 s0, vcc_lo
	s_cbranch_execnz .LBB298_2172
.LBB298_2131:
	s_or_b32 exec_lo, exec_lo, s0
	s_and_saveexec_b32 s0, vcc_lo
	s_cbranch_execnz .LBB298_2173
.LBB298_2132:
	s_or_b32 exec_lo, exec_lo, s0
	s_and_saveexec_b32 s0, vcc_lo
	s_cbranch_execnz .LBB298_2174
.LBB298_2133:
	s_or_b32 exec_lo, exec_lo, s0
	s_and_saveexec_b32 s0, vcc_lo
	s_cbranch_execnz .LBB298_2175
.LBB298_2134:
	s_or_b32 exec_lo, exec_lo, s0
	s_and_saveexec_b32 s0, vcc_lo
	s_cbranch_execnz .LBB298_2176
.LBB298_2135:
	s_or_b32 exec_lo, exec_lo, s0
	s_and_saveexec_b32 s0, vcc_lo
	s_cbranch_execnz .LBB298_2177
.LBB298_2136:
	s_or_b32 exec_lo, exec_lo, s0
	s_and_saveexec_b32 s0, vcc_lo
	s_cbranch_execnz .LBB298_2178
.LBB298_2137:
	s_or_b32 exec_lo, exec_lo, s0
	s_and_saveexec_b32 s0, vcc_lo
	s_cbranch_execz .LBB298_2139
.LBB298_2138:
	ds_load_b32 v18, v0 offset:480
	s_wait_dscnt 0x0
	v_add_f32_e32 v17, v18, v17
.LBB298_2139:
	s_or_b32 exec_lo, exec_lo, s0
.LBB298_2140:
	s_delay_alu instid0(SALU_CYCLE_1) | instskip(SKIP_4) | instid1(VALU_DEP_1)
	s_or_b32 exec_lo, exec_lo, s1
	v_and_b32_e32 v18, 0x3e3, v19
	s_mov_b32 s1, exec_lo
	s_barrier_signal -1
	s_barrier_wait -1
	v_cmpx_eq_u32_e32 32, v18
	s_cbranch_execz .LBB298_2142
; %bb.2141:
	ds_store_2addr_b32 v1, v14, v15 offset1:8
	ds_store_2addr_b32 v1, v12, v13 offset0:16 offset1:24
	ds_store_2addr_b32 v1, v10, v11 offset0:32 offset1:40
	;; [unrolled: 1-line block ×7, first 2 shown]
.LBB298_2142:
	s_or_b32 exec_lo, exec_lo, s1
	s_delay_alu instid0(SALU_CYCLE_1)
	s_mov_b32 s1, exec_lo
	s_wait_dscnt 0x0
	s_barrier_signal -1
	s_barrier_wait -1
	v_cmpx_gt_u32_e32 32, v19
	s_cbranch_execz .LBB298_2161
; %bb.2143:
	s_and_saveexec_b32 s0, vcc_lo
	s_cbranch_execnz .LBB298_2179
; %bb.2144:
	s_or_b32 exec_lo, exec_lo, s0
	s_and_saveexec_b32 s0, vcc_lo
	s_cbranch_execnz .LBB298_2180
.LBB298_2145:
	s_or_b32 exec_lo, exec_lo, s0
	s_and_saveexec_b32 s0, vcc_lo
	s_cbranch_execnz .LBB298_2181
.LBB298_2146:
	s_or_b32 exec_lo, exec_lo, s0
	s_and_saveexec_b32 s0, vcc_lo
	s_cbranch_execnz .LBB298_2182
.LBB298_2147:
	s_or_b32 exec_lo, exec_lo, s0
	s_and_saveexec_b32 s0, vcc_lo
	s_cbranch_execnz .LBB298_2183
.LBB298_2148:
	s_or_b32 exec_lo, exec_lo, s0
	s_and_saveexec_b32 s0, vcc_lo
	s_cbranch_execnz .LBB298_2184
.LBB298_2149:
	s_or_b32 exec_lo, exec_lo, s0
	s_and_saveexec_b32 s0, vcc_lo
	s_cbranch_execnz .LBB298_2185
.LBB298_2150:
	s_or_b32 exec_lo, exec_lo, s0
	s_and_saveexec_b32 s0, vcc_lo
	s_cbranch_execnz .LBB298_2186
.LBB298_2151:
	s_or_b32 exec_lo, exec_lo, s0
	s_and_saveexec_b32 s0, vcc_lo
	s_cbranch_execnz .LBB298_2187
.LBB298_2152:
	s_or_b32 exec_lo, exec_lo, s0
	s_and_saveexec_b32 s0, vcc_lo
	s_cbranch_execnz .LBB298_2188
.LBB298_2153:
	s_or_b32 exec_lo, exec_lo, s0
	s_and_saveexec_b32 s0, vcc_lo
	s_cbranch_execnz .LBB298_2189
.LBB298_2154:
	s_or_b32 exec_lo, exec_lo, s0
	s_and_saveexec_b32 s0, vcc_lo
	s_cbranch_execnz .LBB298_2190
.LBB298_2155:
	s_or_b32 exec_lo, exec_lo, s0
	s_and_saveexec_b32 s0, vcc_lo
	s_cbranch_execnz .LBB298_2191
.LBB298_2156:
	s_or_b32 exec_lo, exec_lo, s0
	s_and_saveexec_b32 s0, vcc_lo
	s_cbranch_execnz .LBB298_2192
.LBB298_2157:
	s_or_b32 exec_lo, exec_lo, s0
	s_and_saveexec_b32 s0, vcc_lo
	s_cbranch_execnz .LBB298_2193
.LBB298_2158:
	s_or_b32 exec_lo, exec_lo, s0
	s_and_saveexec_b32 s0, vcc_lo
	s_cbranch_execz .LBB298_2160
.LBB298_2159:
	ds_load_b32 v0, v0 offset:480
	s_wait_dscnt 0x0
	v_add_f32_e32 v17, v0, v17
.LBB298_2160:
	s_or_b32 exec_lo, exec_lo, s0
.LBB298_2161:
	s_delay_alu instid0(SALU_CYCLE_1)
	s_or_b32 exec_lo, exec_lo, s1
	s_mov_b32 s1, 0
	s_mov_b32 s2, exec_lo
	s_barrier_signal -1
	s_barrier_wait -1
	v_cmpx_eq_u32_e32 0, v18
	s_cbranch_execz .LBB298_2163
; %bb.2162:
	scratch_load_b64 v[0:1], off, s32 offset:412 th:TH_LOAD_LU ; 8-byte Folded Reload
	s_and_b32 s0, 0xffff, s13
	v_dual_mov_b32 v19, 0 :: v_dual_lshrrev_b32 v18, 1, v19
	s_cmp_lg_u32 s0, 0
	;;#ASMSTART
	v_cvt_f16_f32 v14, v14;

	;;#ASMEND
	s_cselect_b32 s0, -1, 0
	s_delay_alu instid0(SALU_CYCLE_1)
	s_cmp_lg_u32 s0, 0
	s_wait_kmcnt 0x0
	s_add_co_ci_u32 s0, s5, 0
	s_bfe_u32 s8, ttmp6, 0x40014
	s_mul_i32 s5, s11, s0
	s_lshr_b32 s3, ttmp7, 16
	s_mul_i32 s5, s5, s12
	s_add_co_i32 s8, s8, 1
	s_lshl_b32 s6, s5, 7
	s_bfe_u32 s9, ttmp6, 0x40008
	s_ashr_i32 s7, s6, 31
	s_mul_i32 s4, s4, s0
	s_mul_i32 s0, s3, s8
	s_ashr_i32 s5, s4, 31
	s_add_co_i32 s9, s9, s0
	s_cmp_eq_u32 s10, 0
	s_cselect_b32 s0, s3, s9
	s_delay_alu instid0(SALU_CYCLE_1) | instskip(SKIP_2) | instid1(VALU_DEP_1)
	s_lshl_b32 s0, s0, 8
	s_wait_loadcnt 0x0
	v_lshl_add_u64 v[0:1], s[6:7], 1, v[0:1]
	v_lshl_add_u64 v[0:1], s[4:5], 1, v[0:1]
	s_delay_alu instid0(VALU_DEP_1) | instskip(NEXT) | instid1(VALU_DEP_1)
	v_add_nc_u64_e32 v[0:1], s[0:1], v[0:1]
	v_add_nc_u64_e32 v[0:1], v[0:1], v[18:19]
	flat_store_b16 v[0:1], v14
	s_wait_xcnt 0x0
	;;#ASMSTART
	v_cvt_f16_f32 v14, v15;

	;;#ASMEND
	flat_store_b16 v[0:1], v14 offset:16
	;;#ASMSTART
	v_cvt_f16_f32 v12, v12;

	;;#ASMEND
	flat_store_b16 v[0:1], v12 offset:32
	s_wait_xcnt 0x0
	;;#ASMSTART
	v_cvt_f16_f32 v12, v13;

	;;#ASMEND
	flat_store_b16 v[0:1], v12 offset:48
	;;#ASMSTART
	v_cvt_f16_f32 v10, v10;

	;;#ASMEND
	flat_store_b16 v[0:1], v10 offset:64
	;; [unrolled: 11-line block ×6, first 2 shown]
	s_wait_xcnt 0x0
	;;#ASMSTART
	v_cvt_f16_f32 v2, v3;

	;;#ASMEND
	flat_store_b16 v[0:1], v2 offset:208
	s_wait_xcnt 0x0
	;;#ASMSTART
	v_cvt_f16_f32 v2, v16;

	;;#ASMEND
	flat_store_b16 v[0:1], v2 offset:224
	;; [unrolled: 6-line block ×3, first 2 shown]
.LBB298_2163:
	s_wait_xcnt 0x0
	s_or_b32 exec_lo, exec_lo, s2
	s_clause 0x2f
	scratch_load_b32 v127, off, s32
	scratch_load_b32 v126, off, s32 offset:4
	scratch_load_b32 v125, off, s32 offset:8
	;; [unrolled: 1-line block ×47, first 2 shown]
	s_wait_loadcnt_dscnt 0x0
	s_wait_kmcnt 0x0
	s_set_pc_i64 s[30:31]
.LBB298_2164:
	ds_load_b32 v18, v0
	s_wait_dscnt 0x0
	v_add_f32_e32 v14, v18, v14
	s_or_b32 exec_lo, exec_lo, s0
	s_and_saveexec_b32 s0, vcc_lo
	s_cbranch_execz .LBB298_2124
.LBB298_2165:
	ds_load_b32 v18, v0 offset:32
	s_wait_dscnt 0x0
	v_add_f32_e32 v15, v18, v15
	s_or_b32 exec_lo, exec_lo, s0
	s_and_saveexec_b32 s0, vcc_lo
	s_cbranch_execz .LBB298_2125
.LBB298_2166:
	ds_load_b32 v18, v0 offset:64
	s_wait_dscnt 0x0
	v_add_f32_e32 v12, v18, v12
	s_or_b32 exec_lo, exec_lo, s0
	s_and_saveexec_b32 s0, vcc_lo
	s_cbranch_execz .LBB298_2126
.LBB298_2167:
	ds_load_b32 v18, v0 offset:96
	s_wait_dscnt 0x0
	v_add_f32_e32 v13, v18, v13
	s_or_b32 exec_lo, exec_lo, s0
	s_and_saveexec_b32 s0, vcc_lo
	s_cbranch_execz .LBB298_2127
.LBB298_2168:
	ds_load_b32 v18, v0 offset:128
	s_wait_dscnt 0x0
	v_add_f32_e32 v10, v18, v10
	s_or_b32 exec_lo, exec_lo, s0
	s_and_saveexec_b32 s0, vcc_lo
	s_cbranch_execz .LBB298_2128
.LBB298_2169:
	ds_load_b32 v18, v0 offset:160
	s_wait_dscnt 0x0
	v_add_f32_e32 v11, v18, v11
	s_or_b32 exec_lo, exec_lo, s0
	s_and_saveexec_b32 s0, vcc_lo
	s_cbranch_execz .LBB298_2129
.LBB298_2170:
	ds_load_b32 v18, v0 offset:192
	s_wait_dscnt 0x0
	v_add_f32_e32 v8, v18, v8
	s_or_b32 exec_lo, exec_lo, s0
	s_and_saveexec_b32 s0, vcc_lo
	s_cbranch_execz .LBB298_2130
.LBB298_2171:
	ds_load_b32 v18, v0 offset:224
	s_wait_dscnt 0x0
	v_add_f32_e32 v9, v18, v9
	s_or_b32 exec_lo, exec_lo, s0
	s_and_saveexec_b32 s0, vcc_lo
	s_cbranch_execz .LBB298_2131
.LBB298_2172:
	ds_load_b32 v18, v0 offset:256
	s_wait_dscnt 0x0
	v_add_f32_e32 v6, v18, v6
	s_or_b32 exec_lo, exec_lo, s0
	s_and_saveexec_b32 s0, vcc_lo
	s_cbranch_execz .LBB298_2132
.LBB298_2173:
	ds_load_b32 v18, v0 offset:288
	s_wait_dscnt 0x0
	v_add_f32_e32 v7, v18, v7
	s_or_b32 exec_lo, exec_lo, s0
	s_and_saveexec_b32 s0, vcc_lo
	s_cbranch_execz .LBB298_2133
.LBB298_2174:
	ds_load_b32 v18, v0 offset:320
	s_wait_dscnt 0x0
	v_add_f32_e32 v4, v18, v4
	s_or_b32 exec_lo, exec_lo, s0
	s_and_saveexec_b32 s0, vcc_lo
	s_cbranch_execz .LBB298_2134
.LBB298_2175:
	ds_load_b32 v18, v0 offset:352
	s_wait_dscnt 0x0
	v_add_f32_e32 v5, v18, v5
	s_or_b32 exec_lo, exec_lo, s0
	s_and_saveexec_b32 s0, vcc_lo
	s_cbranch_execz .LBB298_2135
.LBB298_2176:
	ds_load_b32 v18, v0 offset:384
	s_wait_dscnt 0x0
	v_add_f32_e32 v2, v18, v2
	s_or_b32 exec_lo, exec_lo, s0
	s_and_saveexec_b32 s0, vcc_lo
	s_cbranch_execz .LBB298_2136
.LBB298_2177:
	ds_load_b32 v18, v0 offset:416
	s_wait_dscnt 0x0
	v_add_f32_e32 v3, v18, v3
	s_or_b32 exec_lo, exec_lo, s0
	s_and_saveexec_b32 s0, vcc_lo
	s_cbranch_execz .LBB298_2137
.LBB298_2178:
	ds_load_b32 v18, v0 offset:448
	s_wait_dscnt 0x0
	v_add_f32_e32 v16, v18, v16
	s_or_b32 exec_lo, exec_lo, s0
	s_and_saveexec_b32 s0, vcc_lo
	s_cbranch_execnz .LBB298_2138
	s_branch .LBB298_2139
.LBB298_2179:
	ds_load_b32 v1, v0
	s_wait_dscnt 0x0
	v_add_f32_e32 v14, v1, v14
	s_or_b32 exec_lo, exec_lo, s0
	s_and_saveexec_b32 s0, vcc_lo
	s_cbranch_execz .LBB298_2145
.LBB298_2180:
	ds_load_b32 v1, v0 offset:32
	s_wait_dscnt 0x0
	v_add_f32_e32 v15, v1, v15
	s_or_b32 exec_lo, exec_lo, s0
	s_and_saveexec_b32 s0, vcc_lo
	s_cbranch_execz .LBB298_2146
.LBB298_2181:
	ds_load_b32 v1, v0 offset:64
	s_wait_dscnt 0x0
	v_add_f32_e32 v12, v1, v12
	s_or_b32 exec_lo, exec_lo, s0
	s_and_saveexec_b32 s0, vcc_lo
	s_cbranch_execz .LBB298_2147
.LBB298_2182:
	ds_load_b32 v1, v0 offset:96
	s_wait_dscnt 0x0
	v_add_f32_e32 v13, v1, v13
	s_or_b32 exec_lo, exec_lo, s0
	s_and_saveexec_b32 s0, vcc_lo
	s_cbranch_execz .LBB298_2148
.LBB298_2183:
	ds_load_b32 v1, v0 offset:128
	s_wait_dscnt 0x0
	v_add_f32_e32 v10, v1, v10
	s_or_b32 exec_lo, exec_lo, s0
	s_and_saveexec_b32 s0, vcc_lo
	s_cbranch_execz .LBB298_2149
.LBB298_2184:
	ds_load_b32 v1, v0 offset:160
	s_wait_dscnt 0x0
	v_add_f32_e32 v11, v1, v11
	s_or_b32 exec_lo, exec_lo, s0
	s_and_saveexec_b32 s0, vcc_lo
	s_cbranch_execz .LBB298_2150
.LBB298_2185:
	ds_load_b32 v1, v0 offset:192
	s_wait_dscnt 0x0
	v_add_f32_e32 v8, v1, v8
	s_or_b32 exec_lo, exec_lo, s0
	s_and_saveexec_b32 s0, vcc_lo
	s_cbranch_execz .LBB298_2151
.LBB298_2186:
	ds_load_b32 v1, v0 offset:224
	s_wait_dscnt 0x0
	v_add_f32_e32 v9, v1, v9
	s_or_b32 exec_lo, exec_lo, s0
	s_and_saveexec_b32 s0, vcc_lo
	s_cbranch_execz .LBB298_2152
.LBB298_2187:
	ds_load_b32 v1, v0 offset:256
	s_wait_dscnt 0x0
	v_add_f32_e32 v6, v1, v6
	s_or_b32 exec_lo, exec_lo, s0
	s_and_saveexec_b32 s0, vcc_lo
	s_cbranch_execz .LBB298_2153
.LBB298_2188:
	ds_load_b32 v1, v0 offset:288
	s_wait_dscnt 0x0
	v_add_f32_e32 v7, v1, v7
	s_or_b32 exec_lo, exec_lo, s0
	s_and_saveexec_b32 s0, vcc_lo
	s_cbranch_execz .LBB298_2154
.LBB298_2189:
	ds_load_b32 v1, v0 offset:320
	s_wait_dscnt 0x0
	v_add_f32_e32 v4, v1, v4
	s_or_b32 exec_lo, exec_lo, s0
	s_and_saveexec_b32 s0, vcc_lo
	s_cbranch_execz .LBB298_2155
.LBB298_2190:
	ds_load_b32 v1, v0 offset:352
	s_wait_dscnt 0x0
	v_add_f32_e32 v5, v1, v5
	s_or_b32 exec_lo, exec_lo, s0
	s_and_saveexec_b32 s0, vcc_lo
	s_cbranch_execz .LBB298_2156
.LBB298_2191:
	ds_load_b32 v1, v0 offset:384
	s_wait_dscnt 0x0
	v_add_f32_e32 v2, v1, v2
	s_or_b32 exec_lo, exec_lo, s0
	s_and_saveexec_b32 s0, vcc_lo
	s_cbranch_execz .LBB298_2157
.LBB298_2192:
	ds_load_b32 v1, v0 offset:416
	s_wait_dscnt 0x0
	v_add_f32_e32 v3, v1, v3
	s_or_b32 exec_lo, exec_lo, s0
	s_and_saveexec_b32 s0, vcc_lo
	s_cbranch_execz .LBB298_2158
.LBB298_2193:
	ds_load_b32 v1, v0 offset:448
	s_wait_dscnt 0x0
	v_add_f32_e32 v16, v1, v16
	s_or_b32 exec_lo, exec_lo, s0
	s_and_saveexec_b32 s0, vcc_lo
	s_cbranch_execnz .LBB298_2159
	s_branch .LBB298_2160
.Lfunc_end298:
	.size	_ZN4vllm22paged_attention_kernelIthLi128ELi32ELi128ELNS_18Fp8KVCacheDataTypeE1ELb0ELi0EEEvPfS2_PT_PKS3_PKT0_S9_ifPKiSB_iPKfiiiSD_SD_iiiii, .Lfunc_end298-_ZN4vllm22paged_attention_kernelIthLi128ELi32ELi128ELNS_18Fp8KVCacheDataTypeE1ELb0ELi0EEEvPfS2_PT_PKS3_PKT0_S9_ifPKiSB_iPKfiiiSD_SD_iiiii
                                        ; -- End function
	.set .L_ZN4vllm22paged_attention_kernelIthLi128ELi32ELi128ELNS_18Fp8KVCacheDataTypeE1ELb0ELi0EEEvPfS2_PT_PKS3_PKT0_S9_ifPKiSB_iPKfiiiSD_SD_iiiii.num_vgpr, 128
	.set .L_ZN4vllm22paged_attention_kernelIthLi128ELi32ELi128ELNS_18Fp8KVCacheDataTypeE1ELb0ELi0EEEvPfS2_PT_PKS3_PKT0_S9_ifPKiSB_iPKfiiiSD_SD_iiiii.num_agpr, 0
	.set .L_ZN4vllm22paged_attention_kernelIthLi128ELi32ELi128ELNS_18Fp8KVCacheDataTypeE1ELb0ELi0EEEvPfS2_PT_PKS3_PKT0_S9_ifPKiSB_iPKfiiiSD_SD_iiiii.numbered_sgpr, 33
	.set .L_ZN4vllm22paged_attention_kernelIthLi128ELi32ELi128ELNS_18Fp8KVCacheDataTypeE1ELb0ELi0EEEvPfS2_PT_PKS3_PKT0_S9_ifPKiSB_iPKfiiiSD_SD_iiiii.num_named_barrier, 0
	.set .L_ZN4vllm22paged_attention_kernelIthLi128ELi32ELi128ELNS_18Fp8KVCacheDataTypeE1ELb0ELi0EEEvPfS2_PT_PKS3_PKT0_S9_ifPKiSB_iPKfiiiSD_SD_iiiii.private_seg_size, 436
	.set .L_ZN4vllm22paged_attention_kernelIthLi128ELi32ELi128ELNS_18Fp8KVCacheDataTypeE1ELb0ELi0EEEvPfS2_PT_PKS3_PKT0_S9_ifPKiSB_iPKfiiiSD_SD_iiiii.uses_vcc, 1
	.set .L_ZN4vllm22paged_attention_kernelIthLi128ELi32ELi128ELNS_18Fp8KVCacheDataTypeE1ELb0ELi0EEEvPfS2_PT_PKS3_PKT0_S9_ifPKiSB_iPKfiiiSD_SD_iiiii.uses_flat_scratch, 1
	.set .L_ZN4vllm22paged_attention_kernelIthLi128ELi32ELi128ELNS_18Fp8KVCacheDataTypeE1ELb0ELi0EEEvPfS2_PT_PKS3_PKT0_S9_ifPKiSB_iPKfiiiSD_SD_iiiii.has_dyn_sized_stack, 0
	.set .L_ZN4vllm22paged_attention_kernelIthLi128ELi32ELi128ELNS_18Fp8KVCacheDataTypeE1ELb0ELi0EEEvPfS2_PT_PKS3_PKT0_S9_ifPKiSB_iPKfiiiSD_SD_iiiii.has_recursion, 0
	.set .L_ZN4vllm22paged_attention_kernelIthLi128ELi32ELi128ELNS_18Fp8KVCacheDataTypeE1ELb0ELi0EEEvPfS2_PT_PKS3_PKT0_S9_ifPKiSB_iPKfiiiSD_SD_iiiii.has_indirect_call, 0
	.section	.AMDGPU.csdata,"",@progbits
; Function info:
; codeLenInByte = 86268
; TotalNumSgprs: 35
; NumVgprs: 128
; ScratchSize: 436
; MemoryBound: 0
	.section	.text._ZN4vllm25paged_attention_v1_kernelIthLi128ELi32ELi128ELNS_18Fp8KVCacheDataTypeE1ELb0EEEvPT_PKS2_PKT0_S8_ifPKiSA_iPKfiiiSC_SC_iiiii,"axG",@progbits,_ZN4vllm25paged_attention_v1_kernelIthLi128ELi32ELi128ELNS_18Fp8KVCacheDataTypeE1ELb0EEEvPT_PKS2_PKT0_S8_ifPKiSA_iPKfiiiSC_SC_iiiii,comdat
	.protected	_ZN4vllm25paged_attention_v1_kernelIthLi128ELi32ELi128ELNS_18Fp8KVCacheDataTypeE1ELb0EEEvPT_PKS2_PKT0_S8_ifPKiSA_iPKfiiiSC_SC_iiiii ; -- Begin function _ZN4vllm25paged_attention_v1_kernelIthLi128ELi32ELi128ELNS_18Fp8KVCacheDataTypeE1ELb0EEEvPT_PKS2_PKT0_S8_ifPKiSA_iPKfiiiSC_SC_iiiii
	.globl	_ZN4vllm25paged_attention_v1_kernelIthLi128ELi32ELi128ELNS_18Fp8KVCacheDataTypeE1ELb0EEEvPT_PKS2_PKT0_S8_ifPKiSA_iPKfiiiSC_SC_iiiii
	.p2align	8
	.type	_ZN4vllm25paged_attention_v1_kernelIthLi128ELi32ELi128ELNS_18Fp8KVCacheDataTypeE1ELb0EEEvPT_PKS2_PKT0_S8_ifPKiSA_iPKfiiiSC_SC_iiiii,@function
_ZN4vllm25paged_attention_v1_kernelIthLi128ELi32ELi128ELNS_18Fp8KVCacheDataTypeE1ELb0EEEvPT_PKS2_PKT0_S8_ifPKiSA_iPKfiiiSC_SC_iiiii: ; @_ZN4vllm25paged_attention_v1_kernelIthLi128ELi32ELi128ELNS_18Fp8KVCacheDataTypeE1ELb0EEEvPT_PKS2_PKT0_S8_ifPKiSA_iPKfiiiSC_SC_iiiii
; %bb.0:
	s_clause 0x5
	s_load_b256 s[12:19], s[0:1], 0x0
	s_load_b128 s[4:7], s[0:1], 0x20
	s_load_b96 s[20:22], s[0:1], 0x30
	s_load_b64 s[10:11], s[0:1], 0x40
	s_load_b96 s[28:30], s[0:1], 0x48
	s_load_b128 s[24:27], s[0:1], 0x58
	v_mov_b32_e32 v31, v0
	s_get_pc_i64 s[2:3]
	s_add_nc_u64 s[2:3], s[2:3], _ZN4vllm22paged_attention_kernelIthLi128ELi32ELi128ELNS_18Fp8KVCacheDataTypeE1ELb0ELi0EEEvPfS2_PT_PKS3_PKT0_S9_ifPKiSB_iPKfiiiSD_SD_iiiii@rel64+4
	s_add_nc_u64 s[8:9], s[0:1], 0x80
	s_mov_b32 s32, 0
	s_wait_kmcnt 0x0
	v_dual_mov_b32 v0, s12 :: v_dual_mov_b32 v1, s13
	v_dual_mov_b32 v2, s14 :: v_dual_mov_b32 v3, s15
	;; [unrolled: 1-line block ×12, first 2 shown]
	s_mov_b32 s15, 38
	s_swap_pc_i64 s[30:31], s[2:3]
	s_endpgm
	.section	.rodata,"a",@progbits
	.p2align	6, 0x0
	.amdhsa_kernel _ZN4vllm25paged_attention_v1_kernelIthLi128ELi32ELi128ELNS_18Fp8KVCacheDataTypeE1ELb0EEEvPT_PKS2_PKT0_S8_ifPKiSA_iPKfiiiSC_SC_iiiii
		.amdhsa_group_segment_fixed_size 288
		.amdhsa_private_segment_fixed_size 436
		.amdhsa_kernarg_size 384
		.amdhsa_user_sgpr_count 2
		.amdhsa_user_sgpr_dispatch_ptr 0
		.amdhsa_user_sgpr_queue_ptr 0
		.amdhsa_user_sgpr_kernarg_segment_ptr 1
		.amdhsa_user_sgpr_dispatch_id 0
		.amdhsa_user_sgpr_kernarg_preload_length 0
		.amdhsa_user_sgpr_kernarg_preload_offset 0
		.amdhsa_user_sgpr_private_segment_size 0
		.amdhsa_wavefront_size32 1
		.amdhsa_uses_dynamic_stack 0
		.amdhsa_enable_private_segment 1
		.amdhsa_system_sgpr_workgroup_id_x 1
		.amdhsa_system_sgpr_workgroup_id_y 1
		.amdhsa_system_sgpr_workgroup_id_z 1
		.amdhsa_system_sgpr_workgroup_info 0
		.amdhsa_system_vgpr_workitem_id 0
		.amdhsa_next_free_vgpr 128
		.amdhsa_next_free_sgpr 33
		.amdhsa_named_barrier_count 0
		.amdhsa_reserve_vcc 1
		.amdhsa_float_round_mode_32 0
		.amdhsa_float_round_mode_16_64 0
		.amdhsa_float_denorm_mode_32 3
		.amdhsa_float_denorm_mode_16_64 3
		.amdhsa_fp16_overflow 0
		.amdhsa_memory_ordered 1
		.amdhsa_forward_progress 1
		.amdhsa_inst_pref_size 2
		.amdhsa_round_robin_scheduling 0
		.amdhsa_exception_fp_ieee_invalid_op 0
		.amdhsa_exception_fp_denorm_src 0
		.amdhsa_exception_fp_ieee_div_zero 0
		.amdhsa_exception_fp_ieee_overflow 0
		.amdhsa_exception_fp_ieee_underflow 0
		.amdhsa_exception_fp_ieee_inexact 0
		.amdhsa_exception_int_div_zero 0
	.end_amdhsa_kernel
	.section	.text._ZN4vllm25paged_attention_v1_kernelIthLi128ELi32ELi128ELNS_18Fp8KVCacheDataTypeE1ELb0EEEvPT_PKS2_PKT0_S8_ifPKiSA_iPKfiiiSC_SC_iiiii,"axG",@progbits,_ZN4vllm25paged_attention_v1_kernelIthLi128ELi32ELi128ELNS_18Fp8KVCacheDataTypeE1ELb0EEEvPT_PKS2_PKT0_S8_ifPKiSA_iPKfiiiSC_SC_iiiii,comdat
.Lfunc_end299:
	.size	_ZN4vllm25paged_attention_v1_kernelIthLi128ELi32ELi128ELNS_18Fp8KVCacheDataTypeE1ELb0EEEvPT_PKS2_PKT0_S8_ifPKiSA_iPKfiiiSC_SC_iiiii, .Lfunc_end299-_ZN4vllm25paged_attention_v1_kernelIthLi128ELi32ELi128ELNS_18Fp8KVCacheDataTypeE1ELb0EEEvPT_PKS2_PKT0_S8_ifPKiSA_iPKfiiiSC_SC_iiiii
                                        ; -- End function
	.set _ZN4vllm25paged_attention_v1_kernelIthLi128ELi32ELi128ELNS_18Fp8KVCacheDataTypeE1ELb0EEEvPT_PKS2_PKT0_S8_ifPKiSA_iPKfiiiSC_SC_iiiii.num_vgpr, max(32, .L_ZN4vllm22paged_attention_kernelIthLi128ELi32ELi128ELNS_18Fp8KVCacheDataTypeE1ELb0ELi0EEEvPfS2_PT_PKS3_PKT0_S9_ifPKiSB_iPKfiiiSD_SD_iiiii.num_vgpr)
	.set _ZN4vllm25paged_attention_v1_kernelIthLi128ELi32ELi128ELNS_18Fp8KVCacheDataTypeE1ELb0EEEvPT_PKS2_PKT0_S8_ifPKiSA_iPKfiiiSC_SC_iiiii.num_agpr, max(0, .L_ZN4vllm22paged_attention_kernelIthLi128ELi32ELi128ELNS_18Fp8KVCacheDataTypeE1ELb0ELi0EEEvPfS2_PT_PKS3_PKT0_S9_ifPKiSB_iPKfiiiSD_SD_iiiii.num_agpr)
	.set _ZN4vllm25paged_attention_v1_kernelIthLi128ELi32ELi128ELNS_18Fp8KVCacheDataTypeE1ELb0EEEvPT_PKS2_PKT0_S8_ifPKiSA_iPKfiiiSC_SC_iiiii.numbered_sgpr, max(33, .L_ZN4vllm22paged_attention_kernelIthLi128ELi32ELi128ELNS_18Fp8KVCacheDataTypeE1ELb0ELi0EEEvPfS2_PT_PKS3_PKT0_S9_ifPKiSB_iPKfiiiSD_SD_iiiii.numbered_sgpr)
	.set _ZN4vllm25paged_attention_v1_kernelIthLi128ELi32ELi128ELNS_18Fp8KVCacheDataTypeE1ELb0EEEvPT_PKS2_PKT0_S8_ifPKiSA_iPKfiiiSC_SC_iiiii.num_named_barrier, max(0, .L_ZN4vllm22paged_attention_kernelIthLi128ELi32ELi128ELNS_18Fp8KVCacheDataTypeE1ELb0ELi0EEEvPfS2_PT_PKS3_PKT0_S9_ifPKiSB_iPKfiiiSD_SD_iiiii.num_named_barrier)
	.set _ZN4vllm25paged_attention_v1_kernelIthLi128ELi32ELi128ELNS_18Fp8KVCacheDataTypeE1ELb0EEEvPT_PKS2_PKT0_S8_ifPKiSA_iPKfiiiSC_SC_iiiii.private_seg_size, 0+max(.L_ZN4vllm22paged_attention_kernelIthLi128ELi32ELi128ELNS_18Fp8KVCacheDataTypeE1ELb0ELi0EEEvPfS2_PT_PKS3_PKT0_S9_ifPKiSB_iPKfiiiSD_SD_iiiii.private_seg_size)
	.set _ZN4vllm25paged_attention_v1_kernelIthLi128ELi32ELi128ELNS_18Fp8KVCacheDataTypeE1ELb0EEEvPT_PKS2_PKT0_S8_ifPKiSA_iPKfiiiSC_SC_iiiii.uses_vcc, or(1, .L_ZN4vllm22paged_attention_kernelIthLi128ELi32ELi128ELNS_18Fp8KVCacheDataTypeE1ELb0ELi0EEEvPfS2_PT_PKS3_PKT0_S9_ifPKiSB_iPKfiiiSD_SD_iiiii.uses_vcc)
	.set _ZN4vllm25paged_attention_v1_kernelIthLi128ELi32ELi128ELNS_18Fp8KVCacheDataTypeE1ELb0EEEvPT_PKS2_PKT0_S8_ifPKiSA_iPKfiiiSC_SC_iiiii.uses_flat_scratch, or(0, .L_ZN4vllm22paged_attention_kernelIthLi128ELi32ELi128ELNS_18Fp8KVCacheDataTypeE1ELb0ELi0EEEvPfS2_PT_PKS3_PKT0_S9_ifPKiSB_iPKfiiiSD_SD_iiiii.uses_flat_scratch)
	.set _ZN4vllm25paged_attention_v1_kernelIthLi128ELi32ELi128ELNS_18Fp8KVCacheDataTypeE1ELb0EEEvPT_PKS2_PKT0_S8_ifPKiSA_iPKfiiiSC_SC_iiiii.has_dyn_sized_stack, or(0, .L_ZN4vllm22paged_attention_kernelIthLi128ELi32ELi128ELNS_18Fp8KVCacheDataTypeE1ELb0ELi0EEEvPfS2_PT_PKS3_PKT0_S9_ifPKiSB_iPKfiiiSD_SD_iiiii.has_dyn_sized_stack)
	.set _ZN4vllm25paged_attention_v1_kernelIthLi128ELi32ELi128ELNS_18Fp8KVCacheDataTypeE1ELb0EEEvPT_PKS2_PKT0_S8_ifPKiSA_iPKfiiiSC_SC_iiiii.has_recursion, or(0, .L_ZN4vllm22paged_attention_kernelIthLi128ELi32ELi128ELNS_18Fp8KVCacheDataTypeE1ELb0ELi0EEEvPfS2_PT_PKS3_PKT0_S9_ifPKiSB_iPKfiiiSD_SD_iiiii.has_recursion)
	.set _ZN4vllm25paged_attention_v1_kernelIthLi128ELi32ELi128ELNS_18Fp8KVCacheDataTypeE1ELb0EEEvPT_PKS2_PKT0_S8_ifPKiSA_iPKfiiiSC_SC_iiiii.has_indirect_call, or(0, .L_ZN4vllm22paged_attention_kernelIthLi128ELi32ELi128ELNS_18Fp8KVCacheDataTypeE1ELb0ELi0EEEvPfS2_PT_PKS3_PKT0_S9_ifPKiSB_iPKfiiiSD_SD_iiiii.has_indirect_call)
	.section	.AMDGPU.csdata,"",@progbits
; Kernel info:
; codeLenInByte = 196
; TotalNumSgprs: 35
; NumVgprs: 128
; ScratchSize: 436
; MemoryBound: 0
; FloatMode: 240
; IeeeMode: 1
; LDSByteSize: 288 bytes/workgroup (compile time only)
; SGPRBlocks: 0
; VGPRBlocks: 7
; NumSGPRsForWavesPerEU: 35
; NumVGPRsForWavesPerEU: 128
; NamedBarCnt: 0
; Occupancy: 8
; WaveLimiterHint : 1
; COMPUTE_PGM_RSRC2:SCRATCH_EN: 1
; COMPUTE_PGM_RSRC2:USER_SGPR: 2
; COMPUTE_PGM_RSRC2:TRAP_HANDLER: 0
; COMPUTE_PGM_RSRC2:TGID_X_EN: 1
; COMPUTE_PGM_RSRC2:TGID_Y_EN: 1
; COMPUTE_PGM_RSRC2:TGID_Z_EN: 1
; COMPUTE_PGM_RSRC2:TIDIG_COMP_CNT: 0
	.text
	.p2align	2                               ; -- Begin function _ZN4vllm22paged_attention_kernelIthLi192ELi32ELi128ELNS_18Fp8KVCacheDataTypeE1ELb0ELi0EEEvPfS2_PT_PKS3_PKT0_S9_ifPKiSB_iPKfiiiSD_SD_iiiii
	.type	_ZN4vllm22paged_attention_kernelIthLi192ELi32ELi128ELNS_18Fp8KVCacheDataTypeE1ELb0ELi0EEEvPfS2_PT_PKS3_PKT0_S9_ifPKiSB_iPKfiiiSD_SD_iiiii,@function
_ZN4vllm22paged_attention_kernelIthLi192ELi32ELi128ELNS_18Fp8KVCacheDataTypeE1ELb0ELi0EEEvPfS2_PT_PKS3_PKT0_S9_ifPKiSB_iPKfiiiSD_SD_iiiii: ; @_ZN4vllm22paged_attention_kernelIthLi192ELi32ELi128ELNS_18Fp8KVCacheDataTypeE1ELb0ELi0EEEvPfS2_PT_PKS3_PKT0_S9_ifPKiSB_iPKfiiiSD_SD_iiiii
; %bb.0:
	s_wait_loadcnt_dscnt 0x0
	s_wait_kmcnt 0x0
	s_clause 0x2f
	scratch_store_b32 off, v40, s32 offset:188
	; meta instruction
	scratch_store_b32 off, v41, s32 offset:184
	; meta instruction
	;; [unrolled: 2-line block ×47, first 2 shown]
	scratch_store_b32 off, v127, s32
	s_bfe_u32 s0, ttmp6, 0x4000c
	s_bfe_u32 s2, ttmp6, 0x40010
	s_add_co_i32 s0, s0, 1
	s_and_b32 s1, ttmp6, 15
	s_mul_i32 s0, ttmp9, s0
	s_and_b32 s3, ttmp7, 0xffff
	s_add_co_i32 s2, s2, 1
	s_add_co_i32 s0, s1, s0
	s_mul_i32 s1, s3, s2
	s_bfe_u32 s2, ttmp6, 0x40004
	s_getreg_b32 s12, hwreg(HW_REG_IB_STS2, 6, 4)
	s_add_co_i32 s2, s2, s1
	s_cmp_eq_u32 s12, 0
	s_mov_b32 s1, 0
	s_cselect_b32 s13, s3, s2
	s_cselect_b32 s2, ttmp9, s0
	s_lshl_b32 s0, s13, 2
	s_clause 0x6
	scratch_store_b64 off, v[22:23], s32 offset:192
	scratch_store_b64 off, v[20:21], s32 offset:592
	;; [unrolled: 1-line block ×4, first 2 shown]
	scratch_store_b32 off, v9, s32 offset:600
	scratch_store_b64 off, v[6:7], s32 offset:664
	scratch_store_b64 off, v[0:1], s32 offset:656
	s_wait_xcnt 0x0
	v_add_nc_u64_e32 v[0:1], s[0:1], v[12:13]
	v_mov_b32_e32 v27, 0
	s_clause 0x1
	s_load_u16 s0, s[8:9], 0x12
	s_load_b32 s3, s[8:9], 0x0
	s_mov_b32 s10, s15
	v_dual_mov_b32 v25, v16 :: v_dual_mov_b32 v24, v15
	flat_load_b32 v12, v[0:1]
	s_wait_xcnt 0x0
	v_sub_nc_u32_e32 v0, 0, v8
	global_load_u16 v6, v27, s[8:9] offset:22
	s_mov_b32 s4, exec_lo
	v_max_i32_e32 v0, v8, v0
	s_delay_alu instid0(VALU_DEP_1) | instskip(SKIP_2) | instid1(VALU_DEP_1)
	v_cvt_f32_u32_e32 v1, v0
	s_wait_kmcnt 0x0
	s_cmp_lg_u32 s0, 0
	v_rcp_iflag_f32_e32 v1, v1
	s_cselect_b32 s0, -1, 0
	s_delay_alu instid0(SALU_CYCLE_1) | instskip(SKIP_2) | instid1(TRANS32_DEP_1)
	s_cmp_lg_u32 s0, 0
	s_add_co_ci_u32 s14, s3, 0
	v_nop
	v_mul_f32_e32 v1, 0x4f7ffffe, v1
	v_sub_nc_u32_e32 v7, 0, v0
	s_abs_i32 s0, s14
	s_delay_alu instid0(VALU_DEP_2) | instskip(NEXT) | instid1(VALU_DEP_1)
	v_cvt_u32_f32_e32 v1, v1
	v_mul_lo_u32 v7, v7, v1
	s_delay_alu instid0(VALU_DEP_1) | instskip(NEXT) | instid1(VALU_DEP_1)
	v_mul_hi_u32 v7, v1, v7
	v_add_nc_u32_e32 v1, v1, v7
	s_delay_alu instid0(VALU_DEP_1) | instskip(NEXT) | instid1(VALU_DEP_1)
	v_mul_hi_u32 v1, s0, v1
	v_mul_lo_u32 v7, v1, v0
	s_delay_alu instid0(VALU_DEP_1) | instskip(SKIP_1) | instid1(VALU_DEP_1)
	v_dual_add_nc_u32 v9, 1, v1 :: v_dual_sub_nc_u32 v7, s0, v7
	s_abs_i32 s0, s2
	v_cmp_ge_u32_e32 vcc_lo, v7, v0
	s_delay_alu instid0(VALU_DEP_2) | instskip(NEXT) | instid1(VALU_DEP_1)
	v_dual_cndmask_b32 v1, v1, v9 :: v_dual_sub_nc_u32 v10, v7, v0
	v_dual_cndmask_b32 v7, v7, v10, vcc_lo :: v_dual_bitop2_b32 v8, s14, v8 bitop3:0x14
	s_delay_alu instid0(VALU_DEP_1) | instskip(NEXT) | instid1(VALU_DEP_2)
	v_dual_add_nc_u32 v9, 1, v1 :: v_dual_ashrrev_i32 v8, 31, v8
	v_cmp_ge_u32_e32 vcc_lo, v7, v0
	s_delay_alu instid0(VALU_DEP_2) | instskip(NEXT) | instid1(VALU_DEP_1)
	v_cndmask_b32_e32 v0, v1, v9, vcc_lo
	v_xor_b32_e32 v0, v0, v8
	s_delay_alu instid0(VALU_DEP_1) | instskip(SKIP_2) | instid1(VALU_DEP_2)
	v_sub_nc_u32_e32 v1, v0, v8
	s_wait_loadcnt 0x0
	v_readfirstlane_b32 s15, v6
	v_dual_mov_b32 v6, v27 :: v_dual_sub_nc_u32 v0, 0, v1
	scratch_store_b32 off, v6, s32 offset:588 ; 4-byte Folded Spill
	v_max_i32_e32 v0, v1, v0
	s_delay_alu instid0(VALU_DEP_1) | instskip(SKIP_1) | instid1(VALU_DEP_2)
	v_cvt_f32_u32_e32 v7, v0
	v_sub_nc_u32_e32 v8, 0, v0
	v_rcp_iflag_f32_e32 v7, v7
	v_nop
	s_delay_alu instid0(TRANS32_DEP_1) | instskip(NEXT) | instid1(VALU_DEP_1)
	v_mul_f32_e32 v7, 0x4f7ffffe, v7
	v_cvt_u32_f32_e32 v7, v7
	s_delay_alu instid0(VALU_DEP_1) | instskip(NEXT) | instid1(VALU_DEP_1)
	v_mul_lo_u32 v8, v8, v7
	v_mul_hi_u32 v8, v7, v8
	s_delay_alu instid0(VALU_DEP_1)
	v_add_nc_u32_e32 v26, v7, v8
	s_wait_xcnt 0x0
	v_cmpx_ne_u64_e32 0, v[24:25]
	s_cbranch_execz .LBB300_2
; %bb.1:
	s_ashr_i32 s3, s2, 31
	s_delay_alu instid0(SALU_CYCLE_1)
	v_lshl_add_u64 v[6:7], s[2:3], 2, v[24:25]
	flat_load_b32 v6, v[6:7]
	s_wait_loadcnt_dscnt 0x0
	scratch_store_b32 off, v6, s32 offset:588 ; 4-byte Folded Spill
.LBB300_2:
	s_wait_xcnt 0x0
	s_or_b32 exec_lo, exec_lo, s4
	v_mul_u64_e32 v[24:25], s[0:1], v[26:27]
	v_and_b32_e32 v13, 0x3ff, v31
	v_ashrrev_i32_e32 v1, 31, v1
	s_ashr_i32 s1, s2, 31
	s_mul_i32 s4, s2, 0xc0
	s_mov_b32 s2, exec_lo
	v_cmpx_gt_u32_e32 24, v13
	s_cbranch_execz .LBB300_4
; %bb.3:
	v_mul_lo_u32 v6, v17, s13
	s_ashr_i32 s5, s4, 31
	v_dual_mov_b32 v11, 0 :: v_dual_lshlrev_b32 v10, 4, v13
	s_delay_alu instid0(VALU_DEP_2) | instskip(NEXT) | instid1(VALU_DEP_1)
	v_ashrrev_i32_e32 v7, 31, v6
	v_lshl_add_u64 v[2:3], v[6:7], 1, v[2:3]
	s_delay_alu instid0(VALU_DEP_1) | instskip(NEXT) | instid1(VALU_DEP_1)
	v_lshl_add_u64 v[2:3], s[4:5], 1, v[2:3]
	v_add_nc_u64_e32 v[2:3], v[2:3], v[10:11]
	flat_load_b128 v[6:9], v[2:3]
	s_wait_loadcnt_dscnt 0x0
	ds_store_b128 v10, v[6:9]
.LBB300_4:
	s_wait_xcnt 0x0
	s_or_b32 exec_lo, exec_lo, s2
	s_delay_alu instid0(VALU_DEP_4)
	v_mul_lo_u32 v2, v25, v0
	s_wait_dscnt 0x0
	v_dual_add_nc_u32 v7, 31, v12 :: v_dual_bitop2_b32 v1, s1, v1 bitop3:0x14
	s_load_b32 s5, s[8:9], 0x8
	v_mov_b32_e32 v24, 0xff7fffff
	s_get_pc_i64 s[6:7]
	s_add_nc_u64 s[6:7], s[6:7], llvm.amdgcn.dynlds.offset.table@rel64+4
	s_delay_alu instid0(VALU_DEP_3) | instskip(NEXT) | instid1(VALU_DEP_1)
	v_dual_add_nc_u32 v3, 1, v25 :: v_dual_sub_nc_u32 v2, s0, v2
	v_cmp_ge_u32_e32 vcc_lo, v2, v0
	s_delay_alu instid0(VALU_DEP_2) | instskip(NEXT) | instid1(VALU_DEP_1)
	v_dual_cndmask_b32 v3, v25, v3 :: v_dual_sub_nc_u32 v6, v2, v0
	v_dual_cndmask_b32 v2, v2, v6, vcc_lo :: v_dual_add_nc_u32 v6, 1, v3
	s_delay_alu instid0(VALU_DEP_1) | instskip(NEXT) | instid1(VALU_DEP_2)
	v_cmp_ge_u32_e32 vcc_lo, v2, v0
	v_dual_ashrrev_i32 v2, 31, v7 :: v_dual_cndmask_b32 v0, v3, v6, vcc_lo
	v_mul_lo_u32 v6, v14, s13
	s_delay_alu instid0(VALU_DEP_2) | instskip(NEXT) | instid1(VALU_DEP_1)
	v_dual_lshrrev_b32 v2, 27, v2 :: v_dual_bitop2_b32 v0, v0, v1 bitop3:0x14
	v_dual_sub_nc_u32 v0, v0, v1 :: v_dual_add_nc_u32 v1, v7, v2
	s_delay_alu instid0(VALU_DEP_3) | instskip(NEXT) | instid1(VALU_DEP_2)
	v_dual_ashrrev_i32 v7, 31, v6 :: v_dual_bitop2_b32 v2, 31, v13 bitop3:0x40
	v_mul_lo_u32 v8, v0, v19
	v_lshrrev_b32_e32 v0, 5, v13
	s_delay_alu instid0(VALU_DEP_4)
	v_ashrrev_i32_e32 v104, 5, v1
	v_lshrrev_b32_e32 v1, 3, v13
	scratch_store_b64 off, v[6:7], s32 offset:644 ; 8-byte Folded Spill
	v_lshlrev_b32_e32 v10, 2, v2
	scratch_store_b32 off, v0, s32 offset:624 ; 4-byte Folded Spill
	v_cmp_ge_i32_e64 s0, v0, v104
	scratch_store_b32 off, v1, s32 offset:652 ; 4-byte Folded Spill
	v_cmp_lt_i32_e32 vcc_lo, v0, v104
	v_ashrrev_i32_e32 v9, 31, v8
	s_clause 0x1
	scratch_store_b64 off, v[8:9], s32 offset:628
	scratch_store_b32 off, v2, s32 offset:620
	s_wait_storecnt 0x0
	s_barrier_signal -1
	s_barrier_wait -1
	s_wait_xcnt 0x0
	s_mov_b32 s8, exec_lo
	s_delay_alu instid0(SALU_CYCLE_1)
	s_and_b32 s1, s8, vcc_lo
	scratch_store_b32 off, v13, s32 offset:616 ; 4-byte Folded Spill
	s_wait_xcnt 0x0
	s_mov_b32 exec_lo, s1
	s_cbranch_execz .LBB300_1544
; %bb.5:
	s_clause 0x1
	scratch_load_b64 v[0:1], off, s32 offset:628
	scratch_load_b32 v2, off, s32 offset:620
	s_ashr_i32 s11, s10, 31
	s_mov_b32 s9, 0
	s_lshl_b64 s[2:3], s[10:11], 2
	v_mov_b32_e32 v15, 0
	s_add_nc_u64 s[2:3], s[6:7], s[2:3]
	s_clause 0x1
	scratch_store_b32 off, v10, s32 offset:672
	scratch_store_b32 off, v104, s32 offset:604
	s_load_b32 s1, s[2:3], 0x0
	s_wait_xcnt 0x0
	s_mov_b64 s[2:3], 0xffffffffffffff
	scratch_load_b32 v126, off, s32 offset:624 ; 4-byte Folded Reload
	s_wait_loadcnt 0x2
	v_add_nc_u64_e32 v[0:1], v[4:5], v[0:1]
	s_wait_loadcnt 0x1
	v_lshlrev_b32_e32 v14, 4, v2
	scratch_load_b64 v[4:5], off, s32 offset:636 ; 8-byte Folded Reload
	v_add_nc_u64_e32 v[0:1], v[0:1], v[14:15]
	s_wait_loadcnt 0x1
	v_lshl_or_b32 v31, v126, 5, v2
	v_lshl_or_b32 v2, v126, 7, v10
	v_mov_b32_e32 v24, 0xff7fffff
	s_clause 0x1
	scratch_store_b64 off, v[0:1], s32 offset:608
	scratch_load_b32 v0, off, s32 offset:652
	s_wait_kmcnt 0x0
	v_add_nc_u32_e32 v127, s1, v2
	s_wait_loadcnt 0x0
	v_and_b32_e32 v14, 0x7c, v0
	scratch_load_b32 v0, off, s32 offset:588 ; 4-byte Folded Reload
	s_wait_loadcnt 0x0
	v_cmp_neq_f32_e32 vcc_lo, 0, v0
	scratch_load_b64 v[0:1], off, s32 offset:644 ; 8-byte Folded Reload
	s_wait_loadcnt 0x0
	v_lshl_add_u64 v[0:1], v[0:1], 2, v[14:15]
	s_delay_alu instid0(VALU_DEP_1)
	v_add_nc_u64_e32 v[0:1], v[4:5], v[0:1]
	s_branch .LBB300_10
.LBB300_6:                              ;   in Loop: Header=BB300_10 Depth=1
	s_or_b32 exec_lo, exec_lo, s18
	v_lshlrev_b32_e32 v4, 8, v14
	s_delay_alu instid0(VALU_DEP_2) | instskip(SKIP_1) | instid1(VALU_DEP_2)
	v_lshl_add_u32 v3, v3, 10, 0x2000
	v_lshlrev_b32_e32 v2, 23, v2
	v_and_or_b32 v3, 0x8000, v4, v3
	s_delay_alu instid0(VALU_DEP_1)
	v_lshl_or_b32 v23, v3, 16, v2
.LBB300_7:                              ;   in Loop: Header=BB300_10 Depth=1
	s_or_b32 exec_lo, exec_lo, s17
.LBB300_8:                              ;   in Loop: Header=BB300_10 Depth=1
	s_delay_alu instid0(SALU_CYCLE_1)
	s_or_b32 exec_lo, exec_lo, s16
	v_dual_mov_b32 v127, v48 :: v_dual_mov_b32 v126, v49
.LBB300_9:                              ;   in Loop: Header=BB300_10 Depth=1
	s_or_b32 exec_lo, exec_lo, s11
	ds_load_b128 v[2:5], v15
	v_cmp_lt_i32_e64 s1, v36, v12
	v_add_nc_u32_e32 v126, 4, v126
	s_wait_dscnt 0x0
	v_dual_lshrrev_b32 v6, 16, v2 :: v_dual_lshrrev_b32 v7, 16, v3
	v_and_b32_e32 v2, 0xffff, v2
	;;#ASMSTART
	v_cvt_f32_f16 v50, v2;
	;;#ASMEND
	v_or_b32_e32 v2, v28, v26
	v_and_b32_e32 v8, 0xffff, v3
	v_fma_mixlo_f16 v3, v37, v28, 0 op_sel:[0,1,0] op_sel_hi:[0,1,0]
	;;#ASMSTART
	v_cvt_f32_f16 v51, v6;
	;;#ASMEND
	v_dual_lshrrev_b32 v14, 16, v4 :: v_dual_lshrrev_b32 v24, 16, v5
	v_fma_mixlo_f16 v2, v37, v2, 0 op_sel_hi:[0,1,0]
	s_delay_alu instid0(VALU_DEP_3) | instskip(SKIP_2) | instid1(VALU_DEP_4)
	v_and_b32_e32 v3, 0xffff, v3
	v_and_b32_e32 v4, 0xffff, v4
	;; [unrolled: 1-line block ×4, first 2 shown]
	;;#ASMSTART
	v_cvt_f32_f16 v52, v2;
	;;#ASMEND
	v_or_b32_e32 v2, v30, v27
	;;#ASMSTART
	v_cvt_f32_f16 v53, v3;
	;;#ASMEND
	v_fma_mixlo_f16 v3, v37, v30, 0 op_sel:[0,1,0] op_sel_hi:[0,1,0]
	;;#ASMSTART
	v_cvt_f32_f16 v35, v8;
	;;#ASMEND
	;;#ASMSTART
	v_cvt_f32_f16 v34, v7;
	;;#ASMEND
	v_fma_mixlo_f16 v2, v37, v2, 0 op_sel_hi:[0,1,0]
	s_delay_alu instid0(VALU_DEP_2) | instskip(NEXT) | instid1(VALU_DEP_2)
	v_and_b32_e32 v3, 0xffff, v3
	v_and_b32_e32 v2, 0xffff, v2
	;;#ASMSTART
	v_cvt_f32_f16 v49, v2;
	;;#ASMEND
	v_or_b32_e32 v2, v32, v33
	;;#ASMSTART
	v_cvt_f32_f16 v48, v3;
	;;#ASMEND
	v_fma_mixlo_f16 v3, v37, v32, 0 op_sel:[0,1,0] op_sel_hi:[0,1,0]
	;;#ASMSTART
	v_cvt_f32_f16 v31, v4;
	;;#ASMEND
	;;#ASMSTART
	v_cvt_f32_f16 v30, v14;
	;;#ASMEND
	v_fma_mixlo_f16 v2, v37, v2, 0 op_sel_hi:[0,1,0]
	s_delay_alu instid0(VALU_DEP_2) | instskip(NEXT) | instid1(VALU_DEP_2)
	v_and_b32_e32 v3, 0xffff, v3
	v_and_b32_e32 v2, 0xffff, v2
	;; [unrolled: 18-line block ×3, first 2 shown]
	;;#ASMSTART
	v_cvt_f32_f16 v29, v2;
	;;#ASMEND
	;;#ASMSTART
	v_cvt_f32_f16 v28, v3;
	;;#ASMEND
	ds_load_b128 v[2:5], v15 offset:16
	s_wait_dscnt 0x0
	v_and_b32_e32 v6, 0xffff, v2
	v_lshrrev_b32_e32 v2, 16, v2
	;;#ASMSTART
	v_cvt_f32_f16 v102, v6;
	;;#ASMEND
	;;#ASMSTART
	v_cvt_f32_f16 v103, v2;
	;;#ASMEND
	v_or_b32_e32 v2, v65, v55
	v_fma_mixlo_f16 v6, v37, v65, 0 op_sel:[0,1,0] op_sel_hi:[0,1,0]
	v_and_b32_e32 v7, 0xffff, v4
	v_lshrrev_b32_e32 v8, 16, v5
	v_and_b32_e32 v14, 0xffff, v5
	v_fma_mixlo_f16 v2, v37, v2, 0 op_sel_hi:[0,1,0]
	v_and_b32_e32 v6, 0xffff, v6
	v_fma_mixlo_f16 v5, v37, v61, 0 op_sel:[0,1,0] op_sel_hi:[0,1,0]
	s_delay_alu instid0(VALU_DEP_3)
	v_and_b32_e32 v2, 0xffff, v2
	;;#ASMSTART
	v_cvt_f32_f16 v54, v2;
	;;#ASMEND
	;;#ASMSTART
	v_cvt_f32_f16 v55, v6;
	;;#ASMEND
	v_lshrrev_b32_e32 v6, 16, v4
	v_or_b32_e32 v4, v61, v60
	v_pk_mul_f32 v[54:55], v[102:103], v[54:55]
	v_lshrrev_b32_e32 v2, 16, v3
	v_and_b32_e32 v3, 0xffff, v3
	;;#ASMSTART
	v_cvt_f32_f16 v3, v3;
	;;#ASMEND
	v_fma_mixlo_f16 v4, v37, v4, 0 op_sel_hi:[0,1,0]
	;;#ASMSTART
	v_cvt_f32_f16 v2, v2;
	;;#ASMEND
	v_and_b32_e32 v5, 0xffff, v5
	v_pk_fma_f32 v[54:55], v[50:51], v[52:53], v[54:55]
	s_delay_alu instid0(VALU_DEP_3)
	v_and_b32_e32 v4, 0xffff, v4
	;;#ASMSTART
	v_cvt_f32_f16 v61, v4;
	;;#ASMEND
	v_or_b32_e32 v4, v64, v105
	;;#ASMSTART
	v_cvt_f32_f16 v60, v5;
	;;#ASMEND
	;;#ASMSTART
	v_cvt_f32_f16 v53, v7;
	;;#ASMEND
	;;#ASMSTART
	v_cvt_f32_f16 v52, v6;
	;;#ASMEND
	v_or_b32_e32 v6, v117, v120
	v_fma_mixlo_f16 v4, v37, v4, 0 op_sel_hi:[0,1,0]
	v_fma_mixlo_f16 v5, v37, v64, 0 op_sel:[0,1,0] op_sel_hi:[0,1,0]
	v_fma_mixlo_f16 v7, v37, v117, 0 op_sel:[0,1,0] op_sel_hi:[0,1,0]
	v_pk_mul_f32 v[2:3], v[2:3], v[60:61]
	v_fma_mixlo_f16 v6, v37, v6, 0 op_sel_hi:[0,1,0]
	v_and_b32_e32 v4, 0xffff, v4
	v_and_b32_e32 v5, 0xffff, v5
	;;#ASMSTART
	v_cvt_f32_f16 v65, v4;
	;;#ASMEND
	;;#ASMSTART
	v_cvt_f32_f16 v64, v5;
	;;#ASMEND
	;; [unrolled: 3-line block ×4, first 2 shown]
	v_and_b32_e32 v6, 0xffff, v6
	v_and_b32_e32 v7, 0xffff, v7
	;;#ASMSTART
	v_cvt_f32_f16 v51, v6;
	;;#ASMEND
	;;#ASMSTART
	v_cvt_f32_f16 v50, v7;
	;;#ASMEND
	ds_load_b128 v[102:105], v15 offset:32
	v_pk_fma_f32 v[60:61], v[34:35], v[48:49], v[2:3]
	v_pk_mul_f32 v[52:53], v[52:53], v[64:65]
	v_pk_mul_f32 v[4:5], v[4:5], v[50:51]
	s_delay_alu instid0(VALU_DEP_1)
	v_pk_fma_f32 v[50:51], v[26:27], v[28:29], v[4:5]
	s_wait_dscnt 0x0
	v_and_b32_e32 v6, 0xffff, v102
	v_lshrrev_b32_e32 v7, 16, v102
	;;#ASMSTART
	v_cvt_f32_f16 v120, v6;
	;;#ASMEND
	v_or_b32_e32 v6, v44, v116
	;;#ASMSTART
	v_cvt_f32_f16 v121, v7;
	;;#ASMEND
	v_lshrrev_b32_e32 v2, 16, v103
	v_fma_mixlo_f16 v7, v37, v44, 0 op_sel:[0,1,0] op_sel_hi:[0,1,0]
	v_and_b32_e32 v3, 0xffff, v103
	v_fma_mixlo_f16 v6, v37, v6, 0 op_sel_hi:[0,1,0]
	v_lshrrev_b32_e32 v8, 16, v105
	v_and_b32_e32 v14, 0xffff, v105
	v_and_b32_e32 v7, 0xffff, v7
	s_delay_alu instid0(VALU_DEP_4)
	v_and_b32_e32 v6, 0xffff, v6
	;;#ASMSTART
	v_cvt_f32_f16 v116, v6;
	;;#ASMEND
	;;#ASMSTART
	v_cvt_f32_f16 v117, v7;
	;;#ASMEND
	v_pk_fma_f32 v[116:117], v[120:121], v[116:117], v[54:55]
	;;#ASMSTART
	v_cvt_f32_f16 v121, v3;
	;;#ASMEND
	;;#ASMSTART
	v_cvt_f32_f16 v120, v2;
	;;#ASMEND
	v_or_b32_e32 v2, v114, v115
	v_fma_mixlo_f16 v3, v37, v114, 0 op_sel:[0,1,0] op_sel_hi:[0,1,0]
	v_lshrrev_b32_e32 v6, 16, v104
	v_and_b32_e32 v7, 0xffff, v104
	s_delay_alu instid0(VALU_DEP_4) | instskip(NEXT) | instid1(VALU_DEP_4)
	v_fma_mixlo_f16 v2, v37, v2, 0 op_sel_hi:[0,1,0]
	v_and_b32_e32 v3, 0xffff, v3
	s_delay_alu instid0(VALU_DEP_2)
	v_and_b32_e32 v2, 0xffff, v2
	;;#ASMSTART
	v_cvt_f32_f16 v115, v2;
	;;#ASMEND
	v_or_b32_e32 v2, v45, v70
	;;#ASMSTART
	v_cvt_f32_f16 v114, v3;
	;;#ASMEND
	;;#ASMSTART
	v_cvt_f32_f16 v49, v7;
	;;#ASMEND
	;;#ASMSTART
	v_cvt_f32_f16 v48, v6;
	;;#ASMEND
	v_or_b32_e32 v6, v100, v101
	v_fma_mixlo_f16 v2, v37, v2, 0 op_sel_hi:[0,1,0]
	v_fma_mixlo_f16 v3, v37, v45, 0 op_sel:[0,1,0] op_sel_hi:[0,1,0]
	v_fma_mixlo_f16 v7, v37, v100, 0 op_sel:[0,1,0] op_sel_hi:[0,1,0]
	v_pk_fma_f32 v[114:115], v[120:121], v[114:115], v[60:61]
	v_fma_mixlo_f16 v6, v37, v6, 0 op_sel_hi:[0,1,0]
	v_and_b32_e32 v2, 0xffff, v2
	v_and_b32_e32 v3, 0xffff, v3
	;;#ASMSTART
	v_cvt_f32_f16 v55, v2;
	;;#ASMEND
	;;#ASMSTART
	v_cvt_f32_f16 v54, v3;
	;;#ASMEND
	;; [unrolled: 3-line block ×4, first 2 shown]
	v_and_b32_e32 v6, 0xffff, v6
	v_and_b32_e32 v7, 0xffff, v7
	;;#ASMSTART
	v_cvt_f32_f16 v35, v6;
	;;#ASMEND
	;;#ASMSTART
	v_cvt_f32_f16 v34, v7;
	;;#ASMEND
	ds_load_b128 v[102:105], v15 offset:48
	v_pk_fma_f32 v[34:35], v[2:3], v[34:35], v[50:51]
	s_wait_dscnt 0x0
	v_and_b32_e32 v6, 0xffff, v102
	;;#ASMSTART
	v_cvt_f32_f16 v44, v6;
	;;#ASMEND
	v_dual_lshrrev_b32 v24, 16, v105 :: v_dual_bitop2_b32 v6, v46, v47 bitop3:0x54
	v_lshrrev_b32_e32 v7, 16, v102
	;;#ASMSTART
	v_cvt_f32_f16 v45, v7;
	;;#ASMEND
	v_lshrrev_b32_e32 v8, 16, v104
	s_delay_alu instid0(VALU_DEP_3) | instskip(SKIP_2) | instid1(VALU_DEP_3)
	v_fma_mixlo_f16 v6, v37, v6, 0 op_sel_hi:[0,1,0]
	v_and_b32_e32 v14, 0xffff, v104
	v_fma_mixlo_f16 v7, v37, v46, 0 op_sel:[0,1,0] op_sel_hi:[0,1,0]
	v_and_b32_e32 v6, 0xffff, v6
	;;#ASMSTART
	v_cvt_f32_f16 v46, v6;
	;;#ASMEND
	s_delay_alu instid0(VALU_DEP_2)
	v_and_b32_e32 v7, 0xffff, v7
	;;#ASMSTART
	v_cvt_f32_f16 v47, v7;
	;;#ASMEND
	v_lshrrev_b32_e32 v6, 16, v103
	v_pk_fma_f32 v[116:117], v[44:45], v[46:47], v[116:117]
	v_and_b32_e32 v7, 0xffff, v103
	;;#ASMSTART
	v_cvt_f32_f16 v47, v7;
	;;#ASMEND
	;;#ASMSTART
	v_cvt_f32_f16 v46, v6;
	;;#ASMEND
	v_or_b32_e32 v6, v107, v125
	v_pk_fma_f32 v[44:45], v[30:31], v[32:33], v[52:53]
	v_fma_mixlo_f16 v7, v37, v107, 0 op_sel:[0,1,0] op_sel_hi:[0,1,0]
	v_and_b32_e32 v30, 0xffff, v105
	s_delay_alu instid0(VALU_DEP_4) | instskip(NEXT) | instid1(VALU_DEP_4)
	v_fma_mixlo_f16 v6, v37, v6, 0 op_sel_hi:[0,1,0]
	v_pk_fma_f32 v[48:49], v[48:49], v[54:55], v[44:45]
	s_delay_alu instid0(VALU_DEP_4) | instskip(NEXT) | instid1(VALU_DEP_3)
	v_and_b32_e32 v7, 0xffff, v7
	v_and_b32_e32 v6, 0xffff, v6
	;;#ASMSTART
	v_cvt_f32_f16 v61, v6;
	;;#ASMEND
	v_or_b32_e32 v6, v66, v63
	;;#ASMSTART
	v_cvt_f32_f16 v60, v7;
	;;#ASMEND
	v_fma_mixlo_f16 v7, v37, v66, 0 op_sel:[0,1,0] op_sel_hi:[0,1,0]
	;;#ASMSTART
	v_cvt_f32_f16 v53, v14;
	;;#ASMEND
	;;#ASMSTART
	v_cvt_f32_f16 v52, v8;
	;;#ASMEND
	v_fma_mixlo_f16 v6, v37, v6, 0 op_sel_hi:[0,1,0]
	v_pk_fma_f32 v[114:115], v[46:47], v[60:61], v[114:115]
	v_and_b32_e32 v7, 0xffff, v7
	s_delay_alu instid0(VALU_DEP_3)
	v_and_b32_e32 v6, 0xffff, v6
	;;#ASMSTART
	v_cvt_f32_f16 v65, v6;
	;;#ASMEND
	v_or_b32_e32 v6, v69, v78
	;;#ASMSTART
	v_cvt_f32_f16 v64, v7;
	;;#ASMEND
	v_fma_mixlo_f16 v7, v37, v69, 0 op_sel:[0,1,0] op_sel_hi:[0,1,0]
	;;#ASMSTART
	v_cvt_f32_f16 v31, v30;
	;;#ASMEND
	;;#ASMSTART
	v_cvt_f32_f16 v30, v24;
	;;#ASMEND
	v_fma_mixlo_f16 v6, v37, v6, 0 op_sel_hi:[0,1,0]
	v_pk_fma_f32 v[48:49], v[52:53], v[64:65], v[48:49]
	v_and_b32_e32 v7, 0xffff, v7
	s_delay_alu instid0(VALU_DEP_3)
	v_and_b32_e32 v6, 0xffff, v6
	;;#ASMSTART
	v_cvt_f32_f16 v33, v6;
	;;#ASMEND
	;;#ASMSTART
	v_cvt_f32_f16 v32, v7;
	;;#ASMEND
	ds_load_b128 v[102:105], v15 offset:64
	v_pk_fma_f32 v[32:33], v[30:31], v[32:33], v[34:35]
	s_wait_dscnt 0x0
	v_and_b32_e32 v6, 0xffff, v102
	v_lshrrev_b32_e32 v7, 16, v102
	;;#ASMSTART
	v_cvt_f32_f16 v120, v6;
	;;#ASMEND
	v_or_b32_e32 v6, v42, v90
	;;#ASMSTART
	v_cvt_f32_f16 v121, v7;
	;;#ASMEND
	v_lshrrev_b32_e32 v4, 16, v103
	v_fma_mixlo_f16 v7, v37, v42, 0 op_sel:[0,1,0] op_sel_hi:[0,1,0]
	v_and_b32_e32 v5, 0xffff, v103
	v_fma_mixlo_f16 v6, v37, v6, 0 op_sel_hi:[0,1,0]
	v_lshrrev_b32_e32 v8, 16, v105
	v_and_b32_e32 v14, 0xffff, v105
	v_and_b32_e32 v7, 0xffff, v7
	s_delay_alu instid0(VALU_DEP_4)
	v_and_b32_e32 v6, 0xffff, v6
	;;#ASMSTART
	v_cvt_f32_f16 v100, v6;
	;;#ASMEND
	;;#ASMSTART
	v_cvt_f32_f16 v101, v7;
	;;#ASMEND
	;; [unrolled: 3-line block ×4, first 2 shown]
	v_or_b32_e32 v4, v98, v92
	v_fma_mixlo_f16 v5, v37, v98, 0 op_sel:[0,1,0] op_sel_hi:[0,1,0]
	v_lshrrev_b32_e32 v6, 16, v104
	v_pk_fma_f32 v[100:101], v[120:121], v[100:101], v[116:117]
	v_and_b32_e32 v7, 0xffff, v104
	v_fma_mixlo_f16 v4, v37, v4, 0 op_sel_hi:[0,1,0]
	v_and_b32_e32 v5, 0xffff, v5
	s_delay_alu instid0(VALU_DEP_2)
	v_and_b32_e32 v4, 0xffff, v4
	;;#ASMSTART
	v_cvt_f32_f16 v103, v4;
	;;#ASMEND
	v_or_b32_e32 v4, v96, v85
	;;#ASMSTART
	v_cvt_f32_f16 v102, v5;
	;;#ASMEND
	;;#ASMSTART
	v_cvt_f32_f16 v117, v7;
	;;#ASMEND
	;; [unrolled: 3-line block ×3, first 2 shown]
	v_or_b32_e32 v6, v80, v86
	v_fma_mixlo_f16 v4, v37, v4, 0 op_sel_hi:[0,1,0]
	v_fma_mixlo_f16 v5, v37, v96, 0 op_sel:[0,1,0] op_sel_hi:[0,1,0]
	v_fma_mixlo_f16 v7, v37, v80, 0 op_sel:[0,1,0] op_sel_hi:[0,1,0]
	v_pk_fma_f32 v[54:55], v[54:55], v[102:103], v[114:115]
	v_fma_mixlo_f16 v6, v37, v6, 0 op_sel_hi:[0,1,0]
	v_and_b32_e32 v4, 0xffff, v4
	v_and_b32_e32 v5, 0xffff, v5
	;;#ASMSTART
	v_cvt_f32_f16 v45, v4;
	;;#ASMEND
	;;#ASMSTART
	v_cvt_f32_f16 v44, v5;
	;;#ASMEND
	;;#ASMSTART
	v_cvt_f32_f16 v5, v14;
	;;#ASMEND
	;;#ASMSTART
	v_cvt_f32_f16 v4, v8;
	;;#ASMEND
	v_and_b32_e32 v6, 0xffff, v6
	v_and_b32_e32 v7, 0xffff, v7
	;;#ASMSTART
	v_cvt_f32_f16 v47, v6;
	;;#ASMEND
	;;#ASMSTART
	v_cvt_f32_f16 v46, v7;
	;;#ASMEND
	ds_load_b128 v[26:29], v15 offset:80
	v_pk_fma_f32 v[48:49], v[116:117], v[44:45], v[48:49]
	v_pk_fma_f32 v[32:33], v[4:5], v[46:47], v[32:33]
	s_wait_dscnt 0x0
	v_and_b32_e32 v6, 0xffff, v26
	;;#ASMSTART
	v_cvt_f32_f16 v60, v6;
	;;#ASMEND
	v_dual_lshrrev_b32 v7, 16, v26 :: v_dual_bitop2_b32 v6, v74, v59 bitop3:0x54
	;;#ASMSTART
	v_cvt_f32_f16 v61, v7;
	;;#ASMEND
	v_lshrrev_b32_e32 v2, 16, v27
	v_and_b32_e32 v3, 0xffff, v27
	s_delay_alu instid0(VALU_DEP_3) | instskip(SKIP_3) | instid1(VALU_DEP_4)
	v_fma_mixlo_f16 v6, v37, v6, 0 op_sel_hi:[0,1,0]
	v_fma_mixlo_f16 v7, v37, v74, 0 op_sel:[0,1,0] op_sel_hi:[0,1,0]
	v_lshrrev_b32_e32 v8, 16, v29
	v_and_b32_e32 v14, 0xffff, v29
	v_and_b32_e32 v6, 0xffff, v6
	s_delay_alu instid0(VALU_DEP_4)
	v_and_b32_e32 v7, 0xffff, v7
	;;#ASMSTART
	v_cvt_f32_f16 v104, v6;
	;;#ASMEND
	;;#ASMSTART
	v_cvt_f32_f16 v105, v7;
	;;#ASMEND
	v_lshrrev_b32_e32 v6, 16, v28
	;;#ASMSTART
	v_cvt_f32_f16 v51, v3;
	;;#ASMEND
	;;#ASMSTART
	v_cvt_f32_f16 v50, v2;
	;;#ASMEND
	v_or_b32_e32 v2, v57, v94
	v_fma_mixlo_f16 v3, v37, v57, 0 op_sel:[0,1,0] op_sel_hi:[0,1,0]
	v_and_b32_e32 v7, 0xffff, v28
	v_pk_fma_f32 v[100:101], v[60:61], v[104:105], v[100:101]
	s_delay_alu instid0(VALU_DEP_4) | instskip(NEXT) | instid1(VALU_DEP_4)
	v_fma_mixlo_f16 v2, v37, v2, 0 op_sel_hi:[0,1,0]
	v_and_b32_e32 v3, 0xffff, v3
	s_delay_alu instid0(VALU_DEP_2)
	v_and_b32_e32 v2, 0xffff, v2
	;;#ASMSTART
	v_cvt_f32_f16 v53, v2;
	;;#ASMEND
	v_or_b32_e32 v2, v67, v56
	;;#ASMSTART
	v_cvt_f32_f16 v52, v3;
	;;#ASMEND
	;;#ASMSTART
	v_cvt_f32_f16 v65, v7;
	;;#ASMEND
	;; [unrolled: 3-line block ×3, first 2 shown]
	v_or_b32_e32 v6, v68, v119
	v_fma_mixlo_f16 v2, v37, v2, 0 op_sel_hi:[0,1,0]
	v_fma_mixlo_f16 v3, v37, v67, 0 op_sel:[0,1,0] op_sel_hi:[0,1,0]
	v_fma_mixlo_f16 v7, v37, v68, 0 op_sel:[0,1,0] op_sel_hi:[0,1,0]
	v_pk_fma_f32 v[50:51], v[50:51], v[52:53], v[54:55]
	v_fma_mixlo_f16 v6, v37, v6, 0 op_sel_hi:[0,1,0]
	v_and_b32_e32 v2, 0xffff, v2
	v_and_b32_e32 v3, 0xffff, v3
	;;#ASMSTART
	v_cvt_f32_f16 v103, v2;
	;;#ASMEND
	;;#ASMSTART
	v_cvt_f32_f16 v102, v3;
	;;#ASMEND
	;; [unrolled: 3-line block ×4, first 2 shown]
	v_and_b32_e32 v6, 0xffff, v6
	v_and_b32_e32 v7, 0xffff, v7
	;;#ASMSTART
	v_cvt_f32_f16 v115, v6;
	;;#ASMEND
	;;#ASMSTART
	v_cvt_f32_f16 v114, v7;
	;;#ASMEND
	ds_load_b128 v[26:29], v15 offset:96
	v_pk_fma_f32 v[48:49], v[64:65], v[102:103], v[48:49]
	v_pk_fma_f32 v[32:33], v[2:3], v[114:115], v[32:33]
	s_wait_dscnt 0x0
	v_and_b32_e32 v6, 0xffff, v26
	;;#ASMSTART
	v_cvt_f32_f16 v60, v6;
	;;#ASMEND
	v_dual_lshrrev_b32 v7, 16, v26 :: v_dual_bitop2_b32 v6, v83, v81 bitop3:0x54
	;;#ASMSTART
	v_cvt_f32_f16 v61, v7;
	;;#ASMEND
	v_lshrrev_b32_e32 v8, 16, v28
	v_and_b32_e32 v14, 0xffff, v28
	s_delay_alu instid0(VALU_DEP_3) | instskip(SKIP_3) | instid1(VALU_DEP_4)
	v_fma_mixlo_f16 v6, v37, v6, 0 op_sel_hi:[0,1,0]
	v_fma_mixlo_f16 v7, v37, v83, 0 op_sel:[0,1,0] op_sel_hi:[0,1,0]
	v_and_b32_e32 v26, 0xffff, v29
	v_lshrrev_b32_e32 v24, 16, v29
	v_and_b32_e32 v6, 0xffff, v6
	s_delay_alu instid0(VALU_DEP_4)
	v_and_b32_e32 v7, 0xffff, v7
	;;#ASMSTART
	v_cvt_f32_f16 v104, v6;
	;;#ASMEND
	v_lshrrev_b32_e32 v6, 16, v27
	;;#ASMSTART
	v_cvt_f32_f16 v105, v7;
	;;#ASMEND
	v_and_b32_e32 v7, 0xffff, v27
	;;#ASMSTART
	v_cvt_f32_f16 v35, v7;
	;;#ASMEND
	;;#ASMSTART
	v_cvt_f32_f16 v34, v6;
	;;#ASMEND
	v_or_b32_e32 v6, v99, v87
	v_pk_fma_f32 v[100:101], v[60:61], v[104:105], v[100:101]
	v_fma_mixlo_f16 v7, v37, v99, 0 op_sel:[0,1,0] op_sel_hi:[0,1,0]
	s_delay_alu instid0(VALU_DEP_3) | instskip(NEXT) | instid1(VALU_DEP_2)
	v_fma_mixlo_f16 v6, v37, v6, 0 op_sel_hi:[0,1,0]
	v_and_b32_e32 v7, 0xffff, v7
	s_delay_alu instid0(VALU_DEP_2)
	v_and_b32_e32 v6, 0xffff, v6
	;;#ASMSTART
	v_cvt_f32_f16 v53, v6;
	;;#ASMEND
	v_or_b32_e32 v6, v43, v58
	;;#ASMSTART
	v_cvt_f32_f16 v52, v7;
	;;#ASMEND
	v_fma_mixlo_f16 v7, v37, v43, 0 op_sel:[0,1,0] op_sel_hi:[0,1,0]
	;;#ASMSTART
	v_cvt_f32_f16 v55, v14;
	;;#ASMEND
	;;#ASMSTART
	v_cvt_f32_f16 v54, v8;
	;;#ASMEND
	v_fma_mixlo_f16 v6, v37, v6, 0 op_sel_hi:[0,1,0]
	v_pk_fma_f32 v[34:35], v[34:35], v[52:53], v[50:51]
	v_and_b32_e32 v7, 0xffff, v7
	s_delay_alu instid0(VALU_DEP_3)
	v_and_b32_e32 v6, 0xffff, v6
	;;#ASMSTART
	v_cvt_f32_f16 v117, v6;
	;;#ASMEND
	v_or_b32_e32 v6, v97, v62
	;;#ASMSTART
	v_cvt_f32_f16 v116, v7;
	;;#ASMEND
	v_fma_mixlo_f16 v7, v37, v97, 0 op_sel:[0,1,0] op_sel_hi:[0,1,0]
	;;#ASMSTART
	v_cvt_f32_f16 v27, v26;
	;;#ASMEND
	;;#ASMSTART
	v_cvt_f32_f16 v26, v24;
	;;#ASMEND
	v_fma_mixlo_f16 v6, v37, v6, 0 op_sel_hi:[0,1,0]
	v_pk_fma_f32 v[48:49], v[54:55], v[116:117], v[48:49]
	v_and_b32_e32 v7, 0xffff, v7
	s_delay_alu instid0(VALU_DEP_3)
	v_and_b32_e32 v6, 0xffff, v6
	;;#ASMSTART
	v_cvt_f32_f16 v45, v6;
	;;#ASMEND
	;;#ASMSTART
	v_cvt_f32_f16 v44, v7;
	;;#ASMEND
	ds_load_b128 v[28:31], v15 offset:112
	v_pk_fma_f32 v[32:33], v[26:27], v[44:45], v[32:33]
	s_wait_dscnt 0x0
	v_and_b32_e32 v6, 0xffff, v28
	;;#ASMSTART
	v_cvt_f32_f16 v60, v6;
	;;#ASMEND
	v_dual_lshrrev_b32 v7, 16, v28 :: v_dual_bitop2_b32 v6, v75, v73 bitop3:0x54
	;;#ASMSTART
	v_cvt_f32_f16 v61, v7;
	;;#ASMEND
	v_lshrrev_b32_e32 v4, 16, v29
	v_and_b32_e32 v5, 0xffff, v29
	s_delay_alu instid0(VALU_DEP_3) | instskip(SKIP_3) | instid1(VALU_DEP_4)
	v_fma_mixlo_f16 v6, v37, v6, 0 op_sel_hi:[0,1,0]
	v_fma_mixlo_f16 v7, v37, v75, 0 op_sel:[0,1,0] op_sel_hi:[0,1,0]
	v_lshrrev_b32_e32 v8, 16, v31
	v_and_b32_e32 v14, 0xffff, v31
	v_and_b32_e32 v6, 0xffff, v6
	s_delay_alu instid0(VALU_DEP_4)
	v_and_b32_e32 v7, 0xffff, v7
	;;#ASMSTART
	v_cvt_f32_f16 v104, v6;
	;;#ASMEND
	;;#ASMSTART
	v_cvt_f32_f16 v105, v7;
	;;#ASMEND
	v_lshrrev_b32_e32 v6, 16, v30
	;;#ASMSTART
	v_cvt_f32_f16 v51, v5;
	;;#ASMEND
	;;#ASMSTART
	v_cvt_f32_f16 v50, v4;
	;;#ASMEND
	v_or_b32_e32 v4, v79, v95
	v_fma_mixlo_f16 v5, v37, v79, 0 op_sel:[0,1,0] op_sel_hi:[0,1,0]
	v_and_b32_e32 v7, 0xffff, v30
	v_pk_fma_f32 v[100:101], v[60:61], v[104:105], v[100:101]
	s_delay_alu instid0(VALU_DEP_4) | instskip(NEXT) | instid1(VALU_DEP_4)
	v_fma_mixlo_f16 v4, v37, v4, 0 op_sel_hi:[0,1,0]
	v_and_b32_e32 v5, 0xffff, v5
	s_delay_alu instid0(VALU_DEP_2)
	v_and_b32_e32 v4, 0xffff, v4
	;;#ASMSTART
	v_cvt_f32_f16 v53, v4;
	;;#ASMEND
	v_or_b32_e32 v4, v93, v77
	;;#ASMSTART
	v_cvt_f32_f16 v52, v5;
	;;#ASMEND
	;;#ASMSTART
	v_cvt_f32_f16 v65, v7;
	;;#ASMEND
	;; [unrolled: 3-line block ×3, first 2 shown]
	v_or_b32_e32 v6, v71, v91
	v_fma_mixlo_f16 v4, v37, v4, 0 op_sel_hi:[0,1,0]
	v_fma_mixlo_f16 v5, v37, v93, 0 op_sel:[0,1,0] op_sel_hi:[0,1,0]
	v_fma_mixlo_f16 v7, v37, v71, 0 op_sel:[0,1,0] op_sel_hi:[0,1,0]
	v_pk_fma_f32 v[34:35], v[50:51], v[52:53], v[34:35]
	v_fma_mixlo_f16 v6, v37, v6, 0 op_sel_hi:[0,1,0]
	v_and_b32_e32 v4, 0xffff, v4
	v_and_b32_e32 v5, 0xffff, v5
	;;#ASMSTART
	v_cvt_f32_f16 v103, v4;
	;;#ASMEND
	;;#ASMSTART
	v_cvt_f32_f16 v102, v5;
	;;#ASMEND
	;; [unrolled: 3-line block ×4, first 2 shown]
	v_and_b32_e32 v6, 0xffff, v6
	v_and_b32_e32 v7, 0xffff, v7
	;;#ASMSTART
	v_cvt_f32_f16 v47, v6;
	;;#ASMEND
	;;#ASMSTART
	v_cvt_f32_f16 v46, v7;
	;;#ASMEND
	ds_load_b128 v[28:31], v15 offset:128
	v_pk_fma_f32 v[48:49], v[64:65], v[102:103], v[48:49]
	v_pk_fma_f32 v[4:5], v[4:5], v[46:47], v[32:33]
	s_wait_dscnt 0x0
	v_and_b32_e32 v6, 0xffff, v28
	v_lshrrev_b32_e32 v7, 16, v28
	;;#ASMSTART
	v_cvt_f32_f16 v60, v6;
	;;#ASMEND
	v_or_b32_e32 v6, v84, v123
	;;#ASMSTART
	v_cvt_f32_f16 v61, v7;
	;;#ASMEND
	v_lshrrev_b32_e32 v2, 16, v29
	v_fma_mixlo_f16 v7, v37, v84, 0 op_sel:[0,1,0] op_sel_hi:[0,1,0]
	v_and_b32_e32 v3, 0xffff, v29
	v_fma_mixlo_f16 v6, v37, v6, 0 op_sel_hi:[0,1,0]
	v_lshrrev_b32_e32 v8, 16, v31
	v_and_b32_e32 v14, 0xffff, v31
	v_and_b32_e32 v7, 0xffff, v7
	s_delay_alu instid0(VALU_DEP_4)
	v_and_b32_e32 v6, 0xffff, v6
	;;#ASMSTART
	v_cvt_f32_f16 v104, v6;
	;;#ASMEND
	;;#ASMSTART
	v_cvt_f32_f16 v105, v7;
	;;#ASMEND
	;; [unrolled: 3-line block ×4, first 2 shown]
	v_or_b32_e32 v2, v111, v88
	v_fma_mixlo_f16 v3, v37, v111, 0 op_sel:[0,1,0] op_sel_hi:[0,1,0]
	v_lshrrev_b32_e32 v6, 16, v30
	v_and_b32_e32 v7, 0xffff, v30
	v_pk_fma_f32 v[100:101], v[60:61], v[104:105], v[100:101]
	v_fma_mixlo_f16 v2, v37, v2, 0 op_sel_hi:[0,1,0]
	v_and_b32_e32 v3, 0xffff, v3
	s_delay_alu instid0(VALU_DEP_2)
	v_and_b32_e32 v2, 0xffff, v2
	;;#ASMSTART
	v_cvt_f32_f16 v53, v2;
	;;#ASMEND
	v_or_b32_e32 v2, v112, v109
	;;#ASMSTART
	v_cvt_f32_f16 v52, v3;
	;;#ASMEND
	;;#ASMSTART
	v_cvt_f32_f16 v55, v7;
	;;#ASMEND
	;; [unrolled: 3-line block ×3, first 2 shown]
	v_or_b32_e32 v6, v40, v82
	v_fma_mixlo_f16 v2, v37, v2, 0 op_sel_hi:[0,1,0]
	v_fma_mixlo_f16 v3, v37, v112, 0 op_sel:[0,1,0] op_sel_hi:[0,1,0]
	v_fma_mixlo_f16 v7, v37, v40, 0 op_sel:[0,1,0] op_sel_hi:[0,1,0]
	v_pk_fma_f32 v[34:35], v[50:51], v[52:53], v[34:35]
	v_fma_mixlo_f16 v6, v37, v6, 0 op_sel_hi:[0,1,0]
	v_and_b32_e32 v2, 0xffff, v2
	v_and_b32_e32 v3, 0xffff, v3
	;;#ASMSTART
	v_cvt_f32_f16 v115, v2;
	;;#ASMEND
	;;#ASMSTART
	v_cvt_f32_f16 v114, v3;
	;;#ASMEND
	;; [unrolled: 3-line block ×4, first 2 shown]
	v_and_b32_e32 v6, 0xffff, v6
	v_and_b32_e32 v7, 0xffff, v7
	;;#ASMSTART
	v_cvt_f32_f16 v117, v6;
	;;#ASMEND
	;;#ASMSTART
	v_cvt_f32_f16 v116, v7;
	;;#ASMEND
	ds_load_b128 v[28:31], v15 offset:144
	v_pk_fma_f32 v[2:3], v[2:3], v[116:117], v[4:5]
	s_wait_dscnt 0x0
	v_and_b32_e32 v6, 0xffff, v28
	;;#ASMSTART
	v_cvt_f32_f16 v60, v6;
	;;#ASMEND
	v_dual_lshrrev_b32 v7, 16, v28 :: v_dual_bitop2_b32 v6, v113, v89 bitop3:0x54
	;;#ASMSTART
	v_cvt_f32_f16 v61, v7;
	;;#ASMEND
	v_lshrrev_b32_e32 v8, 16, v30
	v_and_b32_e32 v14, 0xffff, v30
	s_delay_alu instid0(VALU_DEP_3) | instskip(SKIP_3) | instid1(VALU_DEP_4)
	v_fma_mixlo_f16 v6, v37, v6, 0 op_sel_hi:[0,1,0]
	v_fma_mixlo_f16 v7, v37, v113, 0 op_sel:[0,1,0] op_sel_hi:[0,1,0]
	v_lshrrev_b32_e32 v24, 16, v31
	v_and_b32_e32 v26, 0xffff, v31
	v_and_b32_e32 v6, 0xffff, v6
	s_delay_alu instid0(VALU_DEP_4)
	v_and_b32_e32 v7, 0xffff, v7
	;;#ASMSTART
	v_cvt_f32_f16 v104, v6;
	;;#ASMEND
	v_lshrrev_b32_e32 v6, 16, v29
	;;#ASMSTART
	v_cvt_f32_f16 v105, v7;
	;;#ASMEND
	v_and_b32_e32 v7, 0xffff, v29
	;;#ASMSTART
	v_cvt_f32_f16 v31, v7;
	;;#ASMEND
	;;#ASMSTART
	v_cvt_f32_f16 v30, v6;
	;;#ASMEND
	v_or_b32_e32 v6, v41, v118
	v_pk_fma_f32 v[100:101], v[60:61], v[104:105], v[100:101]
	v_fma_mixlo_f16 v7, v37, v41, 0 op_sel:[0,1,0] op_sel_hi:[0,1,0]
	s_delay_alu instid0(VALU_DEP_3) | instskip(NEXT) | instid1(VALU_DEP_2)
	v_fma_mixlo_f16 v6, v37, v6, 0 op_sel_hi:[0,1,0]
	v_and_b32_e32 v7, 0xffff, v7
	s_delay_alu instid0(VALU_DEP_2)
	v_and_b32_e32 v6, 0xffff, v6
	;;#ASMSTART
	v_cvt_f32_f16 v51, v6;
	;;#ASMEND
	v_or_b32_e32 v6, v76, v72
	;;#ASMSTART
	v_cvt_f32_f16 v50, v7;
	;;#ASMEND
	v_fma_mixlo_f16 v7, v37, v76, 0 op_sel:[0,1,0] op_sel_hi:[0,1,0]
	;;#ASMSTART
	v_cvt_f32_f16 v53, v14;
	;;#ASMEND
	;;#ASMSTART
	v_cvt_f32_f16 v52, v8;
	;;#ASMEND
	v_fma_mixlo_f16 v6, v37, v6, 0 op_sel_hi:[0,1,0]
	v_pk_fma_f32 v[30:31], v[30:31], v[50:51], v[34:35]
	v_and_b32_e32 v7, 0xffff, v7
	v_pk_fma_f32 v[34:35], v[54:55], v[114:115], v[48:49]
	s_delay_alu instid0(VALU_DEP_4)
	v_and_b32_e32 v6, 0xffff, v6
	;;#ASMSTART
	v_cvt_f32_f16 v65, v6;
	;;#ASMEND
	v_or_b32_e32 v6, v106, v122
	;;#ASMSTART
	v_cvt_f32_f16 v64, v7;
	;;#ASMEND
	v_fma_mixlo_f16 v7, v37, v106, 0 op_sel:[0,1,0] op_sel_hi:[0,1,0]
	;;#ASMSTART
	v_cvt_f32_f16 v103, v26;
	;;#ASMEND
	;;#ASMSTART
	v_cvt_f32_f16 v102, v24;
	;;#ASMEND
	v_fma_mixlo_f16 v6, v37, v6, 0 op_sel_hi:[0,1,0]
	s_delay_alu instid0(VALU_DEP_2) | instskip(NEXT) | instid1(VALU_DEP_2)
	v_and_b32_e32 v7, 0xffff, v7
	v_and_b32_e32 v6, 0xffff, v6
	;;#ASMSTART
	v_cvt_f32_f16 v45, v6;
	;;#ASMEND
	;;#ASMSTART
	v_cvt_f32_f16 v44, v7;
	;;#ASMEND
	ds_load_b128 v[26:29], v15 offset:160
	v_pk_fma_f32 v[2:3], v[102:103], v[44:45], v[2:3]
	s_wait_dscnt 0x0
	v_and_b32_e32 v6, 0xffff, v26
	;;#ASMSTART
	v_cvt_f32_f16 v60, v6;
	;;#ASMEND
	v_or_b32_e32 v6, v108, v110
	v_lshrrev_b32_e32 v7, 16, v26
	;;#ASMSTART
	v_cvt_f32_f16 v61, v7;
	;;#ASMEND
	v_lshrrev_b32_e32 v24, 16, v29
	v_and_b32_e32 v32, 0xffff, v29
	v_fma_mixlo_f16 v6, v37, v6, 0 op_sel_hi:[0,1,0]
	v_fma_mixlo_f16 v7, v37, v108, 0 op_sel:[0,1,0] op_sel_hi:[0,1,0]
	v_lshrrev_b32_e32 v8, 16, v28
	v_and_b32_e32 v14, 0xffff, v28
	s_delay_alu instid0(VALU_DEP_4) | instskip(NEXT) | instid1(VALU_DEP_4)
	v_and_b32_e32 v6, 0xffff, v6
	v_and_b32_e32 v7, 0xffff, v7
	;;#ASMSTART
	v_cvt_f32_f16 v104, v6;
	;;#ASMEND
	v_lshrrev_b32_e32 v6, 16, v27
	;;#ASMSTART
	v_cvt_f32_f16 v105, v7;
	;;#ASMEND
	v_and_b32_e32 v7, 0xffff, v27
	;;#ASMSTART
	v_cvt_f32_f16 v27, v7;
	;;#ASMEND
	;;#ASMSTART
	v_cvt_f32_f16 v26, v6;
	;;#ASMEND
	v_or_b32_e32 v6, v10, v124
	v_pk_fma_f32 v[100:101], v[60:61], v[104:105], v[100:101]
	v_fma_mixlo_f16 v7, v37, v10, 0 op_sel:[0,1,0] op_sel_hi:[0,1,0]
	s_delay_alu instid0(VALU_DEP_3) | instskip(NEXT) | instid1(VALU_DEP_2)
	v_fma_mixlo_f16 v6, v37, v6, 0 op_sel_hi:[0,1,0]
	v_and_b32_e32 v7, 0xffff, v7
	s_delay_alu instid0(VALU_DEP_2)
	v_and_b32_e32 v6, 0xffff, v6
	;;#ASMSTART
	v_cvt_f32_f16 v29, v6;
	;;#ASMEND
	v_or_b32_e32 v6, v20, v25
	;;#ASMSTART
	v_cvt_f32_f16 v28, v7;
	;;#ASMEND
	v_fma_mixlo_f16 v7, v37, v20, 0 op_sel:[0,1,0] op_sel_hi:[0,1,0]
	;;#ASMSTART
	v_cvt_f32_f16 v55, v14;
	;;#ASMEND
	;;#ASMSTART
	v_cvt_f32_f16 v54, v8;
	;;#ASMEND
	v_fma_mixlo_f16 v6, v37, v6, 0 op_sel_hi:[0,1,0]
	v_pk_fma_f32 v[26:27], v[26:27], v[28:29], v[30:31]
	v_and_b32_e32 v7, 0xffff, v7
	v_pk_fma_f32 v[28:29], v[52:53], v[64:65], v[34:35]
	v_fma_mixlo_f16 v20, v37, v21, 0 op_sel:[0,1,0] op_sel_hi:[0,1,0]
	v_and_b32_e32 v6, 0xffff, v6
	;;#ASMSTART
	v_cvt_f32_f16 v115, v6;
	;;#ASMEND
	v_or_b32_e32 v6, v16, v1
	;;#ASMSTART
	v_cvt_f32_f16 v114, v7;
	;;#ASMEND
	v_fma_mixlo_f16 v7, v37, v16, 0 op_sel:[0,1,0] op_sel_hi:[0,1,0]
	;;#ASMSTART
	v_cvt_f32_f16 v47, v32;
	;;#ASMEND
	;;#ASMSTART
	v_cvt_f32_f16 v46, v24;
	;;#ASMEND
	v_fma_mixlo_f16 v6, v37, v6, 0 op_sel_hi:[0,1,0]
	v_and_b32_e32 v20, 0xffff, v20
	v_and_b32_e32 v7, 0xffff, v7
	s_delay_alu instid0(VALU_DEP_3)
	v_and_b32_e32 v6, 0xffff, v6
	;;#ASMSTART
	v_cvt_f32_f16 v61, v6;
	;;#ASMEND
	;;#ASMSTART
	v_cvt_f32_f16 v60, v7;
	;;#ASMEND
	ds_load_b128 v[48:51], v15 offset:176
	v_pk_fma_f32 v[2:3], v[46:47], v[60:61], v[2:3]
	s_wait_dscnt 0x0
	v_and_b32_e32 v6, 0xffff, v48
	;;#ASMSTART
	v_cvt_f32_f16 v32, v6;
	;;#ASMEND
	v_dual_lshrrev_b32 v7, 16, v48 :: v_dual_bitop2_b32 v6, v38, v9 bitop3:0x54
	;;#ASMSTART
	v_cvt_f32_f16 v33, v7;
	;;#ASMEND
	v_and_b32_e32 v4, 0xffff, v49
	s_delay_alu instid0(VALU_DEP_2) | instskip(NEXT) | instid1(VALU_DEP_3)
	v_fma_mixlo_f16 v6, v37, v6, 0 op_sel_hi:[0,1,0]
	v_fma_mixlo_f16 v7, v37, v38, 0 op_sel:[0,1,0] op_sel_hi:[0,1,0]
	s_delay_alu instid0(VALU_DEP_2) | instskip(NEXT) | instid1(VALU_DEP_2)
	v_and_b32_e32 v6, 0xffff, v6
	v_and_b32_e32 v7, 0xffff, v7
	;;#ASMSTART
	v_cvt_f32_f16 v104, v6;
	;;#ASMEND
	;;#ASMSTART
	v_cvt_f32_f16 v105, v7;
	;;#ASMEND
	v_lshrrev_b32_e32 v6, 16, v49
	;;#ASMSTART
	v_cvt_f32_f16 v5, v4;
	;;#ASMEND
	;;#ASMSTART
	v_cvt_f32_f16 v4, v6;
	;;#ASMEND
	scratch_load_b32 v1, off, s32 offset:204 th:TH_LOAD_LU ; 4-byte Folded Reload
	v_pk_fma_f32 v[32:33], v[32:33], v[104:105], v[100:101]
	s_wait_loadcnt 0x0
	v_or_b32_e32 v6, v1, v18
	v_fma_mixlo_f16 v7, v37, v1, 0 op_sel:[0,1,0] op_sel_hi:[0,1,0]
	s_delay_alu instid0(VALU_DEP_2) | instskip(NEXT) | instid1(VALU_DEP_2)
	v_fma_mixlo_f16 v6, v37, v6, 0 op_sel_hi:[0,1,0]
	v_and_b32_e32 v7, 0xffff, v7
	s_delay_alu instid0(VALU_DEP_2)
	v_and_b32_e32 v6, 0xffff, v6
	;;#ASMSTART
	v_cvt_f32_f16 v31, v6;
	;;#ASMEND
	;;#ASMSTART
	v_cvt_f32_f16 v30, v7;
	;;#ASMEND
	v_lshrrev_b32_e32 v7, 16, v50
	v_pk_fma_f32 v[30:31], v[4:5], v[30:31], v[26:27]
	v_and_b32_e32 v6, 0xffff, v50
	;;#ASMSTART
	v_cvt_f32_f16 v27, v6;
	;;#ASMEND
	;;#ASMSTART
	v_cvt_f32_f16 v26, v7;
	;;#ASMEND
	s_clause 0x1
	scratch_load_b32 v1, off, s32 offset:200 th:TH_LOAD_LU
	scratch_load_b32 v7, off, s32 offset:220 th:TH_LOAD_LU
	v_pk_fma_f32 v[4:5], v[54:55], v[114:115], v[28:29]
	s_wait_loadcnt 0x0
	v_or_b32_e32 v6, v7, v1
	v_fma_mixlo_f16 v7, v37, v7, 0 op_sel:[0,1,0] op_sel_hi:[0,1,0]
	s_delay_alu instid0(VALU_DEP_2) | instskip(NEXT) | instid1(VALU_DEP_2)
	v_fma_mixlo_f16 v6, v37, v6, 0 op_sel_hi:[0,1,0]
	v_and_b32_e32 v7, 0xffff, v7
	s_delay_alu instid0(VALU_DEP_2)
	v_and_b32_e32 v6, 0xffff, v6
	;;#ASMSTART
	v_cvt_f32_f16 v29, v6;
	;;#ASMEND
	;;#ASMSTART
	v_cvt_f32_f16 v28, v7;
	;;#ASMEND
	v_pk_fma_f32 v[28:29], v[26:27], v[28:29], v[4:5]
	s_clause 0x1
	scratch_load_b32 v1, off, s32 offset:216 th:TH_LOAD_LU
	scratch_load_b32 v5, off, s32 offset:516 th:TH_LOAD_LU
	v_and_b32_e32 v6, 0xffff, v51
	s_wait_loadcnt 0x0
	v_dual_lshrrev_b32 v7, 16, v51 :: v_dual_bitop2_b32 v4, v5, v1 bitop3:0x54
	v_fma_mixlo_f16 v5, v37, v5, 0 op_sel:[0,1,0] op_sel_hi:[0,1,0]
	s_delay_alu instid0(VALU_DEP_2) | instskip(NEXT) | instid1(VALU_DEP_2)
	v_fma_mixlo_f16 v4, v37, v4, 0 op_sel_hi:[0,1,0]
	v_and_b32_e32 v14, 0xffff, v5
	;;#ASMSTART
	v_cvt_f32_f16 v5, v6;
	;;#ASMEND
	s_delay_alu instid0(VALU_DEP_2)
	v_and_b32_e32 v8, 0xffff, v4
	;;#ASMSTART
	v_cvt_f32_f16 v4, v7;
	;;#ASMEND
	;;#ASMSTART
	v_cvt_f32_f16 v27, v8;
	;;#ASMEND
	;; [unrolled: 3-line block ×3, first 2 shown]
	v_pk_fma_f32 v[26:27], v[4:5], v[26:27], v[2:3]
	ds_load_b128 v[2:5], v15 offset:192
	s_wait_dscnt 0x0
	v_and_b32_e32 v6, 0xffff, v2
	v_lshrrev_b32_e32 v2, 16, v2
	;;#ASMSTART
	v_cvt_f32_f16 v34, v6;
	;;#ASMEND
	;;#ASMSTART
	v_cvt_f32_f16 v35, v2;
	;;#ASMEND
	s_clause 0x1
	scratch_load_b32 v1, off, s32 offset:232 th:TH_LOAD_LU
	scratch_load_b32 v6, off, s32 offset:240 th:TH_LOAD_LU
	v_and_b32_e32 v7, 0xffff, v3
	v_lshrrev_b32_e32 v8, 16, v4
	v_and_b32_e32 v14, 0xffff, v4
	v_lshrrev_b32_e32 v24, 16, v5
	v_and_b32_e32 v5, 0xffff, v5
	s_wait_loadcnt 0x0
	v_or_b32_e32 v2, v6, v1
	v_fma_mixlo_f16 v6, v37, v6, 0 op_sel:[0,1,0] op_sel_hi:[0,1,0]
	s_delay_alu instid0(VALU_DEP_2) | instskip(NEXT) | instid1(VALU_DEP_2)
	v_fma_mixlo_f16 v2, v37, v2, 0 op_sel_hi:[0,1,0]
	v_and_b32_e32 v6, 0xffff, v6
	s_delay_alu instid0(VALU_DEP_2)
	v_and_b32_e32 v2, 0xffff, v2
	;;#ASMSTART
	v_cvt_f32_f16 v48, v2;
	;;#ASMEND
	;;#ASMSTART
	v_cvt_f32_f16 v49, v6;
	;;#ASMEND
	v_lshrrev_b32_e32 v6, 16, v3
	s_clause 0x1
	scratch_load_b32 v1, off, s32 offset:576 th:TH_LOAD_LU
	scratch_load_b32 v3, off, s32 offset:212 th:TH_LOAD_LU
	v_pk_fma_f32 v[32:33], v[34:35], v[48:49], v[32:33]
	s_wait_loadcnt 0x0
	v_or_b32_e32 v2, v3, v1
	s_clause 0x1
	scratch_load_b32 v1, off, s32 offset:208 th:TH_LOAD_LU
	scratch_load_b32 v9, off, s32 offset:224 th:TH_LOAD_LU
	;;#ASMSTART
	v_cvt_f32_f16 v101, v7;
	;;#ASMEND
	;;#ASMSTART
	v_cvt_f32_f16 v100, v6;
	;;#ASMEND
	v_fma_mixlo_f16 v3, v37, v3, 0 op_sel:[0,1,0] op_sel_hi:[0,1,0]
	v_fma_mixlo_f16 v2, v37, v2, 0 op_sel_hi:[0,1,0]
	s_delay_alu instid0(VALU_DEP_2) | instskip(NEXT) | instid1(VALU_DEP_2)
	v_and_b32_e32 v7, 0xffff, v3
	v_and_b32_e32 v4, 0xffff, v2
	;;#ASMSTART
	v_cvt_f32_f16 v103, v4;
	;;#ASMEND
	s_wait_loadcnt 0x0
	v_or_b32_e32 v2, v9, v1
	s_clause 0x1
	scratch_load_b32 v1, off, s32 offset:228 th:TH_LOAD_LU
	scratch_load_b32 v10, off, s32 offset:520 th:TH_LOAD_LU
	v_fma_mixlo_f16 v4, v37, v9, 0 op_sel:[0,1,0] op_sel_hi:[0,1,0]
	;;#ASMSTART
	v_cvt_f32_f16 v102, v7;
	;;#ASMEND
	;;#ASMSTART
	v_cvt_f32_f16 v45, v14;
	;;#ASMEND
	v_fma_mixlo_f16 v2, v37, v2, 0 op_sel_hi:[0,1,0]
	;;#ASMSTART
	v_cvt_f32_f16 v44, v8;
	;;#ASMEND
	v_and_b32_e32 v4, 0xffff, v4
	s_delay_alu instid0(VALU_DEP_2)
	v_and_b32_e32 v6, 0xffff, v2
	;;#ASMSTART
	v_cvt_f32_f16 v57, v6;
	;;#ASMEND
	;;#ASMSTART
	v_cvt_f32_f16 v56, v4;
	;;#ASMEND
	;; [unrolled: 3-line block ×4, first 2 shown]
	s_wait_loadcnt 0x0
	v_or_b32_e32 v3, v10, v1
	s_delay_alu instid0(VALU_DEP_1) | instskip(SKIP_1) | instid1(VALU_DEP_2)
	v_fma_mixlo_f16 v2, v37, v3, 0 op_sel_hi:[0,1,0]
	v_fma_mixlo_f16 v3, v37, v10, 0 op_sel:[0,1,0] op_sel_hi:[0,1,0]
	v_and_b32_e32 v2, 0xffff, v2
	s_delay_alu instid0(VALU_DEP_2)
	v_and_b32_e32 v3, 0xffff, v3
	;;#ASMSTART
	v_cvt_f32_f16 v55, v2;
	;;#ASMEND
	;;#ASMSTART
	v_cvt_f32_f16 v54, v3;
	;;#ASMEND
	ds_load_b128 v[2:5], v15 offset:208
	s_wait_dscnt 0x0
	v_and_b32_e32 v6, 0xffff, v2
	v_lshrrev_b32_e32 v2, 16, v2
	;;#ASMSTART
	v_cvt_f32_f16 v34, v6;
	;;#ASMEND
	;;#ASMSTART
	v_cvt_f32_f16 v35, v2;
	;;#ASMEND
	s_clause 0x1
	scratch_load_b32 v1, off, s32 offset:236 th:TH_LOAD_LU
	scratch_load_b32 v6, off, s32 offset:248 th:TH_LOAD_LU
	v_lshrrev_b32_e32 v7, 16, v5
	v_and_b32_e32 v8, 0xffff, v5
	s_wait_loadcnt 0x0
	v_or_b32_e32 v2, v6, v1
	v_fma_mixlo_f16 v6, v37, v6, 0 op_sel:[0,1,0] op_sel_hi:[0,1,0]
	s_delay_alu instid0(VALU_DEP_2) | instskip(NEXT) | instid1(VALU_DEP_2)
	v_fma_mixlo_f16 v2, v37, v2, 0 op_sel_hi:[0,1,0]
	v_and_b32_e32 v6, 0xffff, v6
	s_delay_alu instid0(VALU_DEP_2)
	v_and_b32_e32 v2, 0xffff, v2
	;;#ASMSTART
	v_cvt_f32_f16 v48, v2;
	;;#ASMEND
	v_lshrrev_b32_e32 v2, 16, v3
	v_and_b32_e32 v3, 0xffff, v3
	;;#ASMSTART
	v_cvt_f32_f16 v49, v6;
	;;#ASMEND
	;;#ASMSTART
	v_cvt_f32_f16 v115, v3;
	;;#ASMEND
	;; [unrolled: 3-line block ×3, first 2 shown]
	s_clause 0x1
	scratch_load_b32 v1, off, s32 offset:244 th:TH_LOAD_LU
	scratch_load_b32 v3, off, s32 offset:256 th:TH_LOAD_LU
	v_lshrrev_b32_e32 v6, 16, v4
	v_and_b32_e32 v4, 0xffff, v4
	v_pk_fma_f32 v[64:65], v[34:35], v[48:49], v[32:33]
	s_wait_loadcnt 0x0
	v_or_b32_e32 v2, v3, v1
	v_fma_mixlo_f16 v3, v37, v3, 0 op_sel:[0,1,0] op_sel_hi:[0,1,0]
	s_delay_alu instid0(VALU_DEP_2) | instskip(NEXT) | instid1(VALU_DEP_2)
	v_fma_mixlo_f16 v2, v37, v2, 0 op_sel_hi:[0,1,0]
	v_and_b32_e32 v3, 0xffff, v3
	s_delay_alu instid0(VALU_DEP_2)
	v_and_b32_e32 v2, 0xffff, v2
	;;#ASMSTART
	v_cvt_f32_f16 v117, v2;
	;;#ASMEND
	;;#ASMSTART
	v_cvt_f32_f16 v116, v3;
	;;#ASMEND
	;; [unrolled: 3-line block ×4, first 2 shown]
	s_clause 0x1
	scratch_load_b32 v1, off, s32 offset:252 th:TH_LOAD_LU
	scratch_load_b32 v5, off, s32 offset:264 th:TH_LOAD_LU
	s_wait_loadcnt 0x0
	v_or_b32_e32 v4, v5, v1
	v_fma_mixlo_f16 v5, v37, v5, 0 op_sel:[0,1,0] op_sel_hi:[0,1,0]
	s_delay_alu instid0(VALU_DEP_2) | instskip(NEXT) | instid1(VALU_DEP_2)
	v_fma_mixlo_f16 v4, v37, v4, 0 op_sel_hi:[0,1,0]
	v_and_b32_e32 v6, 0xffff, v5
	s_delay_alu instid0(VALU_DEP_2)
	v_and_b32_e32 v4, 0xffff, v4
	;;#ASMSTART
	v_cvt_f32_f16 v5, v4;
	;;#ASMEND
	;;#ASMSTART
	v_cvt_f32_f16 v4, v6;
	;;#ASMEND
	;; [unrolled: 3-line block ×4, first 2 shown]
	s_clause 0x1
	scratch_load_b32 v1, off, s32 offset:260 th:TH_LOAD_LU
	scratch_load_b32 v7, off, s32 offset:524 th:TH_LOAD_LU
	s_wait_loadcnt 0x0
	v_or_b32_e32 v6, v7, v1
	v_fma_mixlo_f16 v7, v37, v7, 0 op_sel:[0,1,0] op_sel_hi:[0,1,0]
	s_delay_alu instid0(VALU_DEP_2) | instskip(NEXT) | instid1(VALU_DEP_2)
	v_fma_mixlo_f16 v6, v37, v6, 0 op_sel_hi:[0,1,0]
	v_and_b32_e32 v7, 0xffff, v7
	s_delay_alu instid0(VALU_DEP_2)
	v_and_b32_e32 v6, 0xffff, v6
	;;#ASMSTART
	v_cvt_f32_f16 v35, v6;
	;;#ASMEND
	;;#ASMSTART
	v_cvt_f32_f16 v34, v7;
	;;#ASMEND
	ds_load_b128 v[48:51], v15 offset:224
	s_wait_dscnt 0x0
	v_lshrrev_b32_e32 v7, 16, v48
	v_and_b32_e32 v6, 0xffff, v48
	;;#ASMSTART
	v_cvt_f32_f16 v66, v6;
	;;#ASMEND
	;;#ASMSTART
	v_cvt_f32_f16 v67, v7;
	;;#ASMEND
	s_clause 0x1
	scratch_load_b32 v1, off, s32 offset:268 th:TH_LOAD_LU
	scratch_load_b32 v7, off, s32 offset:276 th:TH_LOAD_LU
	v_lshrrev_b32_e32 v8, 16, v50
	v_and_b32_e32 v14, 0xffff, v50
	v_and_b32_e32 v48, 0xffff, v51
	s_wait_loadcnt 0x0
	v_dual_lshrrev_b32 v24, 16, v51 :: v_dual_bitop2_b32 v6, v7, v1 bitop3:0x54
	v_fma_mixlo_f16 v7, v37, v7, 0 op_sel:[0,1,0] op_sel_hi:[0,1,0]
	s_delay_alu instid0(VALU_DEP_2) | instskip(NEXT) | instid1(VALU_DEP_2)
	v_fma_mixlo_f16 v6, v37, v6, 0 op_sel_hi:[0,1,0]
	v_and_b32_e32 v7, 0xffff, v7
	s_delay_alu instid0(VALU_DEP_2)
	v_and_b32_e32 v6, 0xffff, v6
	;;#ASMSTART
	v_cvt_f32_f16 v68, v6;
	;;#ASMEND
	;;#ASMSTART
	v_cvt_f32_f16 v69, v7;
	;;#ASMEND
	v_and_b32_e32 v7, 0xffff, v49
	v_lshrrev_b32_e32 v6, 16, v49
	;;#ASMSTART
	v_cvt_f32_f16 v43, v7;
	;;#ASMEND
	;;#ASMSTART
	v_cvt_f32_f16 v42, v6;
	;;#ASMEND
	s_clause 0x1
	scratch_load_b32 v1, off, s32 offset:272 th:TH_LOAD_LU
	scratch_load_b32 v7, off, s32 offset:284 th:TH_LOAD_LU
	v_pk_fma_f32 v[68:69], v[66:67], v[68:69], v[64:65]
	s_wait_loadcnt 0x0
	v_or_b32_e32 v6, v7, v1
	v_fma_mixlo_f16 v7, v37, v7, 0 op_sel:[0,1,0] op_sel_hi:[0,1,0]
	s_delay_alu instid0(VALU_DEP_2) | instskip(NEXT) | instid1(VALU_DEP_2)
	v_fma_mixlo_f16 v6, v37, v6, 0 op_sel_hi:[0,1,0]
	v_and_b32_e32 v7, 0xffff, v7
	s_delay_alu instid0(VALU_DEP_2)
	v_and_b32_e32 v6, 0xffff, v6
	;;#ASMSTART
	v_cvt_f32_f16 v47, v6;
	;;#ASMEND
	;;#ASMSTART
	v_cvt_f32_f16 v46, v7;
	;;#ASMEND
	;; [unrolled: 3-line block ×4, first 2 shown]
	s_clause 0x1
	scratch_load_b32 v1, off, s32 offset:280 th:TH_LOAD_LU
	scratch_load_b32 v7, off, s32 offset:292 th:TH_LOAD_LU
	s_wait_loadcnt 0x0
	v_or_b32_e32 v6, v7, v1
	v_fma_mixlo_f16 v7, v37, v7, 0 op_sel:[0,1,0] op_sel_hi:[0,1,0]
	s_delay_alu instid0(VALU_DEP_2) | instskip(NEXT) | instid1(VALU_DEP_2)
	v_fma_mixlo_f16 v6, v37, v6, 0 op_sel_hi:[0,1,0]
	v_and_b32_e32 v7, 0xffff, v7
	s_delay_alu instid0(VALU_DEP_2)
	v_and_b32_e32 v6, 0xffff, v6
	;;#ASMSTART
	v_cvt_f32_f16 v99, v6;
	;;#ASMEND
	;;#ASMSTART
	v_cvt_f32_f16 v98, v7;
	;;#ASMEND
	;; [unrolled: 3-line block ×4, first 2 shown]
	s_clause 0x1
	scratch_load_b32 v1, off, s32 offset:288 th:TH_LOAD_LU
	scratch_load_b32 v7, off, s32 offset:528 th:TH_LOAD_LU
	s_wait_loadcnt 0x0
	v_or_b32_e32 v6, v7, v1
	v_fma_mixlo_f16 v7, v37, v7, 0 op_sel:[0,1,0] op_sel_hi:[0,1,0]
	s_delay_alu instid0(VALU_DEP_2) | instskip(NEXT) | instid1(VALU_DEP_2)
	v_fma_mixlo_f16 v6, v37, v6, 0 op_sel_hi:[0,1,0]
	v_and_b32_e32 v7, 0xffff, v7
	s_delay_alu instid0(VALU_DEP_2)
	v_and_b32_e32 v6, 0xffff, v6
	;;#ASMSTART
	v_cvt_f32_f16 v51, v6;
	;;#ASMEND
	;;#ASMSTART
	v_cvt_f32_f16 v50, v7;
	;;#ASMEND
	ds_load_b128 v[64:67], v15 offset:240
	s_wait_dscnt 0x0
	v_lshrrev_b32_e32 v7, 16, v64
	v_and_b32_e32 v6, 0xffff, v64
	;;#ASMSTART
	v_cvt_f32_f16 v58, v6;
	;;#ASMEND
	;;#ASMSTART
	v_cvt_f32_f16 v59, v7;
	;;#ASMEND
	s_clause 0x1
	scratch_load_b32 v1, off, s32 offset:296 th:TH_LOAD_LU
	scratch_load_b32 v7, off, s32 offset:304 th:TH_LOAD_LU
	v_lshrrev_b32_e32 v8, 16, v66
	v_and_b32_e32 v14, 0xffff, v66
	v_and_b32_e32 v64, 0xffff, v67
	s_wait_loadcnt 0x0
	v_dual_lshrrev_b32 v24, 16, v67 :: v_dual_bitop2_b32 v6, v7, v1 bitop3:0x54
	v_fma_mixlo_f16 v7, v37, v7, 0 op_sel:[0,1,0] op_sel_hi:[0,1,0]
	s_delay_alu instid0(VALU_DEP_2) | instskip(NEXT) | instid1(VALU_DEP_2)
	v_fma_mixlo_f16 v6, v37, v6, 0 op_sel_hi:[0,1,0]
	v_and_b32_e32 v7, 0xffff, v7
	s_delay_alu instid0(VALU_DEP_2)
	v_and_b32_e32 v6, 0xffff, v6
	;;#ASMSTART
	v_cvt_f32_f16 v60, v6;
	;;#ASMEND
	;;#ASMSTART
	v_cvt_f32_f16 v61, v7;
	;;#ASMEND
	v_and_b32_e32 v7, 0xffff, v65
	v_lshrrev_b32_e32 v6, 16, v65
	;;#ASMSTART
	v_cvt_f32_f16 v95, v7;
	;;#ASMEND
	;;#ASMSTART
	v_cvt_f32_f16 v94, v6;
	;;#ASMEND
	s_clause 0x1
	scratch_load_b32 v1, off, s32 offset:300 th:TH_LOAD_LU
	scratch_load_b32 v7, off, s32 offset:312 th:TH_LOAD_LU
	v_pk_fma_f32 v[58:59], v[58:59], v[60:61], v[68:69]
	s_wait_loadcnt 0x0
	v_or_b32_e32 v6, v7, v1
	v_fma_mixlo_f16 v7, v37, v7, 0 op_sel:[0,1,0] op_sel_hi:[0,1,0]
	s_delay_alu instid0(VALU_DEP_2) | instskip(NEXT) | instid1(VALU_DEP_2)
	v_fma_mixlo_f16 v6, v37, v6, 0 op_sel_hi:[0,1,0]
	v_and_b32_e32 v7, 0xffff, v7
	s_delay_alu instid0(VALU_DEP_2)
	v_and_b32_e32 v6, 0xffff, v6
	;;#ASMSTART
	v_cvt_f32_f16 v105, v6;
	;;#ASMEND
	;;#ASMSTART
	v_cvt_f32_f16 v104, v7;
	;;#ASMEND
	;; [unrolled: 3-line block ×4, first 2 shown]
	s_clause 0x1
	scratch_load_b32 v1, off, s32 offset:308 th:TH_LOAD_LU
	scratch_load_b32 v7, off, s32 offset:320 th:TH_LOAD_LU
	s_wait_loadcnt 0x0
	v_or_b32_e32 v6, v7, v1
	v_fma_mixlo_f16 v7, v37, v7, 0 op_sel:[0,1,0] op_sel_hi:[0,1,0]
	s_delay_alu instid0(VALU_DEP_2) | instskip(NEXT) | instid1(VALU_DEP_2)
	v_fma_mixlo_f16 v6, v37, v6, 0 op_sel_hi:[0,1,0]
	v_and_b32_e32 v7, 0xffff, v7
	s_delay_alu instid0(VALU_DEP_2)
	v_and_b32_e32 v6, 0xffff, v6
	;;#ASMSTART
	v_cvt_f32_f16 v71, v6;
	;;#ASMEND
	;;#ASMSTART
	v_cvt_f32_f16 v70, v7;
	;;#ASMEND
	;; [unrolled: 3-line block ×4, first 2 shown]
	s_clause 0x1
	scratch_load_b32 v1, off, s32 offset:316 th:TH_LOAD_LU
	scratch_load_b32 v7, off, s32 offset:532 th:TH_LOAD_LU
	s_wait_loadcnt 0x0
	v_or_b32_e32 v6, v7, v1
	v_fma_mixlo_f16 v7, v37, v7, 0 op_sel:[0,1,0] op_sel_hi:[0,1,0]
	s_delay_alu instid0(VALU_DEP_2) | instskip(NEXT) | instid1(VALU_DEP_2)
	v_fma_mixlo_f16 v6, v37, v6, 0 op_sel_hi:[0,1,0]
	v_and_b32_e32 v7, 0xffff, v7
	s_delay_alu instid0(VALU_DEP_2)
	v_and_b32_e32 v6, 0xffff, v6
	;;#ASMSTART
	v_cvt_f32_f16 v67, v6;
	;;#ASMEND
	;;#ASMSTART
	v_cvt_f32_f16 v66, v7;
	;;#ASMEND
	ds_load_b128 v[90:93], v15 offset:256
	s_wait_dscnt 0x0
	v_lshrrev_b32_e32 v7, 16, v90
	v_and_b32_e32 v6, 0xffff, v90
	;;#ASMSTART
	v_cvt_f32_f16 v60, v6;
	;;#ASMEND
	;;#ASMSTART
	v_cvt_f32_f16 v61, v7;
	;;#ASMEND
	s_clause 0x1
	scratch_load_b32 v1, off, s32 offset:324 th:TH_LOAD_LU
	scratch_load_b32 v7, off, s32 offset:332 th:TH_LOAD_LU
	v_lshrrev_b32_e32 v8, 16, v92
	v_and_b32_e32 v14, 0xffff, v92
	v_lshrrev_b32_e32 v24, 16, v93
	v_and_b32_e32 v81, 0xffff, v93
	s_wait_loadcnt 0x0
	v_or_b32_e32 v6, v7, v1
	v_fma_mixlo_f16 v7, v37, v7, 0 op_sel:[0,1,0] op_sel_hi:[0,1,0]
	s_delay_alu instid0(VALU_DEP_2) | instskip(NEXT) | instid1(VALU_DEP_2)
	v_fma_mixlo_f16 v6, v37, v6, 0 op_sel_hi:[0,1,0]
	v_and_b32_e32 v7, 0xffff, v7
	s_delay_alu instid0(VALU_DEP_2)
	v_and_b32_e32 v6, 0xffff, v6
	;;#ASMSTART
	v_cvt_f32_f16 v84, v6;
	;;#ASMEND
	;;#ASMSTART
	v_cvt_f32_f16 v85, v7;
	;;#ASMEND
	v_and_b32_e32 v7, 0xffff, v91
	v_lshrrev_b32_e32 v6, 16, v91
	;;#ASMSTART
	v_cvt_f32_f16 v91, v7;
	;;#ASMEND
	;;#ASMSTART
	v_cvt_f32_f16 v90, v6;
	;;#ASMEND
	s_clause 0x1
	scratch_load_b32 v1, off, s32 offset:328 th:TH_LOAD_LU
	scratch_load_b32 v7, off, s32 offset:340 th:TH_LOAD_LU
	v_pk_fma_f32 v[120:121], v[60:61], v[84:85], v[58:59]
	s_wait_loadcnt 0x0
	v_or_b32_e32 v6, v7, v1
	v_fma_mixlo_f16 v7, v37, v7, 0 op_sel:[0,1,0] op_sel_hi:[0,1,0]
	s_delay_alu instid0(VALU_DEP_2) | instskip(NEXT) | instid1(VALU_DEP_2)
	v_fma_mixlo_f16 v6, v37, v6, 0 op_sel_hi:[0,1,0]
	v_and_b32_e32 v7, 0xffff, v7
	s_delay_alu instid0(VALU_DEP_2)
	v_and_b32_e32 v6, 0xffff, v6
	;;#ASMSTART
	v_cvt_f32_f16 v93, v6;
	;;#ASMEND
	;;#ASMSTART
	v_cvt_f32_f16 v92, v7;
	;;#ASMEND
	;; [unrolled: 3-line block ×4, first 2 shown]
	s_clause 0x1
	scratch_load_b32 v1, off, s32 offset:336 th:TH_LOAD_LU
	scratch_load_b32 v7, off, s32 offset:348 th:TH_LOAD_LU
	s_wait_loadcnt 0x0
	v_or_b32_e32 v6, v7, v1
	v_fma_mixlo_f16 v7, v37, v7, 0 op_sel:[0,1,0] op_sel_hi:[0,1,0]
	s_delay_alu instid0(VALU_DEP_2) | instskip(NEXT) | instid1(VALU_DEP_2)
	v_fma_mixlo_f16 v6, v37, v6, 0 op_sel_hi:[0,1,0]
	v_and_b32_e32 v7, 0xffff, v7
	s_delay_alu instid0(VALU_DEP_2)
	v_and_b32_e32 v6, 0xffff, v6
	;;#ASMSTART
	v_cvt_f32_f16 v87, v6;
	;;#ASMEND
	;;#ASMSTART
	v_cvt_f32_f16 v86, v7;
	;;#ASMEND
	;; [unrolled: 3-line block ×4, first 2 shown]
	s_clause 0x1
	scratch_load_b32 v1, off, s32 offset:344 th:TH_LOAD_LU
	scratch_load_b32 v7, off, s32 offset:536 th:TH_LOAD_LU
	s_wait_loadcnt 0x0
	v_or_b32_e32 v6, v7, v1
	v_fma_mixlo_f16 v7, v37, v7, 0 op_sel:[0,1,0] op_sel_hi:[0,1,0]
	s_delay_alu instid0(VALU_DEP_2) | instskip(NEXT) | instid1(VALU_DEP_2)
	v_fma_mixlo_f16 v6, v37, v6, 0 op_sel_hi:[0,1,0]
	v_and_b32_e32 v7, 0xffff, v7
	s_delay_alu instid0(VALU_DEP_2)
	v_and_b32_e32 v6, 0xffff, v6
	;;#ASMSTART
	v_cvt_f32_f16 v83, v6;
	;;#ASMEND
	;;#ASMSTART
	v_cvt_f32_f16 v82, v7;
	;;#ASMEND
	ds_load_b128 v[58:61], v15 offset:272
	s_wait_dscnt 0x0
	v_lshrrev_b32_e32 v7, 16, v58
	v_and_b32_e32 v6, 0xffff, v58
	;;#ASMSTART
	v_cvt_f32_f16 v78, v6;
	;;#ASMEND
	;;#ASMSTART
	v_cvt_f32_f16 v79, v7;
	;;#ASMEND
	s_clause 0x1
	scratch_load_b32 v1, off, s32 offset:352 th:TH_LOAD_LU
	scratch_load_b32 v7, off, s32 offset:360 th:TH_LOAD_LU
	v_lshrrev_b32_e32 v8, 16, v60
	v_and_b32_e32 v14, 0xffff, v60
	v_lshrrev_b32_e32 v24, 16, v61
	s_wait_loadcnt 0x0
	v_or_b32_e32 v6, v7, v1
	v_fma_mixlo_f16 v7, v37, v7, 0 op_sel:[0,1,0] op_sel_hi:[0,1,0]
	s_delay_alu instid0(VALU_DEP_2) | instskip(NEXT) | instid1(VALU_DEP_2)
	v_fma_mixlo_f16 v6, v37, v6, 0 op_sel_hi:[0,1,0]
	v_and_b32_e32 v7, 0xffff, v7
	s_delay_alu instid0(VALU_DEP_2)
	v_and_b32_e32 v6, 0xffff, v6
	;;#ASMSTART
	v_cvt_f32_f16 v74, v6;
	;;#ASMEND
	;;#ASMSTART
	v_cvt_f32_f16 v75, v7;
	;;#ASMEND
	v_and_b32_e32 v7, 0xffff, v59
	v_pk_fma_f32 v[74:75], v[78:79], v[74:75], v[120:121]
	v_lshrrev_b32_e32 v6, 16, v59
	;;#ASMSTART
	v_cvt_f32_f16 v79, v7;
	;;#ASMEND
	;;#ASMSTART
	v_cvt_f32_f16 v78, v6;
	;;#ASMEND
	s_clause 0x1
	scratch_load_b32 v1, off, s32 offset:356 th:TH_LOAD_LU
	scratch_load_b32 v7, off, s32 offset:368 th:TH_LOAD_LU
	v_pk_fma_f32 v[120:121], v[100:101], v[102:103], v[30:31]
	v_and_b32_e32 v30, 0xffff, v61
	s_delay_alu instid0(VALU_DEP_2) | instskip(NEXT) | instid1(VALU_DEP_1)
	v_pk_fma_f32 v[120:121], v[114:115], v[116:117], v[120:121]
	v_pk_fma_f32 v[106:107], v[42:43], v[46:47], v[120:121]
	s_wait_loadcnt 0x0
	v_or_b32_e32 v6, v7, v1
	v_fma_mixlo_f16 v7, v37, v7, 0 op_sel:[0,1,0] op_sel_hi:[0,1,0]
	s_delay_alu instid0(VALU_DEP_2) | instskip(NEXT) | instid1(VALU_DEP_2)
	v_fma_mixlo_f16 v6, v37, v6, 0 op_sel_hi:[0,1,0]
	v_and_b32_e32 v7, 0xffff, v7
	s_delay_alu instid0(VALU_DEP_2)
	v_and_b32_e32 v6, 0xffff, v6
	;;#ASMSTART
	v_cvt_f32_f16 v89, v6;
	;;#ASMEND
	;;#ASMSTART
	v_cvt_f32_f16 v88, v7;
	;;#ASMEND
	;; [unrolled: 3-line block ×4, first 2 shown]
	s_clause 0x1
	scratch_load_b32 v1, off, s32 offset:364 th:TH_LOAD_LU
	scratch_load_b32 v7, off, s32 offset:376 th:TH_LOAD_LU
	s_wait_loadcnt 0x0
	v_or_b32_e32 v6, v7, v1
	v_fma_mixlo_f16 v7, v37, v7, 0 op_sel:[0,1,0] op_sel_hi:[0,1,0]
	s_delay_alu instid0(VALU_DEP_2) | instskip(NEXT) | instid1(VALU_DEP_2)
	v_fma_mixlo_f16 v6, v37, v6, 0 op_sel_hi:[0,1,0]
	v_and_b32_e32 v7, 0xffff, v7
	s_delay_alu instid0(VALU_DEP_2)
	v_and_b32_e32 v6, 0xffff, v6
	;;#ASMSTART
	v_cvt_f32_f16 v113, v6;
	;;#ASMEND
	;;#ASMSTART
	v_cvt_f32_f16 v112, v7;
	;;#ASMEND
	;; [unrolled: 3-line block ×4, first 2 shown]
	s_clause 0x1
	scratch_load_b32 v1, off, s32 offset:372 th:TH_LOAD_LU
	scratch_load_b32 v7, off, s32 offset:540 th:TH_LOAD_LU
	s_wait_loadcnt 0x0
	v_or_b32_e32 v6, v7, v1
	v_fma_mixlo_f16 v7, v37, v7, 0 op_sel:[0,1,0] op_sel_hi:[0,1,0]
	s_delay_alu instid0(VALU_DEP_2) | instskip(NEXT) | instid1(VALU_DEP_2)
	v_fma_mixlo_f16 v6, v37, v6, 0 op_sel_hi:[0,1,0]
	v_and_b32_e32 v7, 0xffff, v7
	s_delay_alu instid0(VALU_DEP_2)
	v_and_b32_e32 v6, 0xffff, v6
	;;#ASMSTART
	v_cvt_f32_f16 v101, v6;
	;;#ASMEND
	;;#ASMSTART
	v_cvt_f32_f16 v100, v7;
	;;#ASMEND
	ds_load_b128 v[58:61], v15 offset:288
	s_wait_dscnt 0x0
	v_lshrrev_b32_e32 v7, 16, v58
	v_and_b32_e32 v6, 0xffff, v58
	;;#ASMSTART
	v_cvt_f32_f16 v118, v6;
	;;#ASMEND
	;;#ASMSTART
	v_cvt_f32_f16 v119, v7;
	;;#ASMEND
	s_clause 0x1
	scratch_load_b32 v1, off, s32 offset:380 th:TH_LOAD_LU
	scratch_load_b32 v7, off, s32 offset:388 th:TH_LOAD_LU
	v_lshrrev_b32_e32 v8, 16, v60
	v_and_b32_e32 v14, 0xffff, v60
	v_lshrrev_b32_e32 v24, 16, v61
	v_and_b32_e32 v114, 0xffff, v61
	s_wait_loadcnt 0x0
	v_or_b32_e32 v6, v7, v1
	v_fma_mixlo_f16 v7, v37, v7, 0 op_sel:[0,1,0] op_sel_hi:[0,1,0]
	s_delay_alu instid0(VALU_DEP_2) | instskip(NEXT) | instid1(VALU_DEP_2)
	v_fma_mixlo_f16 v6, v37, v6, 0 op_sel_hi:[0,1,0]
	v_and_b32_e32 v7, 0xffff, v7
	s_delay_alu instid0(VALU_DEP_2)
	v_and_b32_e32 v6, 0xffff, v6
	;;#ASMSTART
	v_cvt_f32_f16 v40, v6;
	;;#ASMEND
	;;#ASMSTART
	v_cvt_f32_f16 v41, v7;
	;;#ASMEND
	v_and_b32_e32 v7, 0xffff, v59
	v_lshrrev_b32_e32 v6, 16, v59
	;;#ASMSTART
	v_cvt_f32_f16 v61, v7;
	;;#ASMEND
	;;#ASMSTART
	v_cvt_f32_f16 v60, v6;
	;;#ASMEND
	s_clause 0x1
	scratch_load_b32 v1, off, s32 offset:384 th:TH_LOAD_LU
	scratch_load_b32 v7, off, s32 offset:396 th:TH_LOAD_LU
	v_pk_fma_f32 v[62:63], v[118:119], v[40:41], v[74:75]
	s_wait_loadcnt 0x0
	v_or_b32_e32 v6, v7, v1
	v_fma_mixlo_f16 v7, v37, v7, 0 op_sel:[0,1,0] op_sel_hi:[0,1,0]
	s_delay_alu instid0(VALU_DEP_2) | instskip(NEXT) | instid1(VALU_DEP_2)
	v_fma_mixlo_f16 v6, v37, v6, 0 op_sel_hi:[0,1,0]
	v_and_b32_e32 v7, 0xffff, v7
	s_delay_alu instid0(VALU_DEP_2)
	v_and_b32_e32 v6, 0xffff, v6
	;;#ASMSTART
	v_cvt_f32_f16 v73, v6;
	;;#ASMEND
	;;#ASMSTART
	v_cvt_f32_f16 v72, v7;
	;;#ASMEND
	;; [unrolled: 3-line block ×4, first 2 shown]
	s_clause 0x1
	scratch_load_b32 v1, off, s32 offset:392 th:TH_LOAD_LU
	scratch_load_b32 v7, off, s32 offset:404 th:TH_LOAD_LU
	s_wait_loadcnt 0x0
	v_or_b32_e32 v6, v7, v1
	v_fma_mixlo_f16 v7, v37, v7, 0 op_sel:[0,1,0] op_sel_hi:[0,1,0]
	s_delay_alu instid0(VALU_DEP_2) | instskip(NEXT) | instid1(VALU_DEP_2)
	v_fma_mixlo_f16 v6, v37, v6, 0 op_sel_hi:[0,1,0]
	v_and_b32_e32 v7, 0xffff, v7
	s_delay_alu instid0(VALU_DEP_2)
	v_and_b32_e32 v6, 0xffff, v6
	;;#ASMSTART
	v_cvt_f32_f16 v41, v6;
	;;#ASMEND
	;;#ASMSTART
	v_cvt_f32_f16 v40, v7;
	;;#ASMEND
	;; [unrolled: 3-line block ×4, first 2 shown]
	s_clause 0x1
	scratch_load_b32 v1, off, s32 offset:400 th:TH_LOAD_LU
	scratch_load_b32 v7, off, s32 offset:544 th:TH_LOAD_LU
	s_wait_loadcnt 0x0
	v_or_b32_e32 v6, v7, v1
	v_fma_mixlo_f16 v7, v37, v7, 0 op_sel:[0,1,0] op_sel_hi:[0,1,0]
	s_delay_alu instid0(VALU_DEP_2) | instskip(NEXT) | instid1(VALU_DEP_2)
	v_fma_mixlo_f16 v6, v37, v6, 0 op_sel_hi:[0,1,0]
	v_and_b32_e32 v7, 0xffff, v7
	s_delay_alu instid0(VALU_DEP_2)
	v_and_b32_e32 v6, 0xffff, v6
	;;#ASMSTART
	v_cvt_f32_f16 v117, v6;
	;;#ASMEND
	;;#ASMSTART
	v_cvt_f32_f16 v116, v7;
	;;#ASMEND
	ds_load_b128 v[74:77], v15 offset:304
	s_wait_dscnt 0x0
	v_lshrrev_b32_e32 v7, 16, v74
	v_and_b32_e32 v6, 0xffff, v74
	;;#ASMSTART
	v_cvt_f32_f16 v58, v6;
	;;#ASMEND
	;;#ASMSTART
	v_cvt_f32_f16 v59, v7;
	;;#ASMEND
	s_clause 0x1
	scratch_load_b32 v1, off, s32 offset:408 th:TH_LOAD_LU
	scratch_load_b32 v7, off, s32 offset:416 th:TH_LOAD_LU
	v_lshrrev_b32_e32 v8, 16, v76
	v_and_b32_e32 v14, 0xffff, v76
	v_lshrrev_b32_e32 v24, 16, v77
	v_and_b32_e32 v42, 0xffff, v77
	s_wait_loadcnt 0x0
	v_or_b32_e32 v6, v7, v1
	v_fma_mixlo_f16 v7, v37, v7, 0 op_sel:[0,1,0] op_sel_hi:[0,1,0]
	s_delay_alu instid0(VALU_DEP_2) | instskip(NEXT) | instid1(VALU_DEP_2)
	v_fma_mixlo_f16 v6, v37, v6, 0 op_sel_hi:[0,1,0]
	v_and_b32_e32 v7, 0xffff, v7
	s_delay_alu instid0(VALU_DEP_2)
	v_and_b32_e32 v6, 0xffff, v6
	;;#ASMSTART
	v_cvt_f32_f16 v110, v6;
	;;#ASMEND
	;;#ASMSTART
	v_cvt_f32_f16 v111, v7;
	;;#ASMEND
	v_and_b32_e32 v7, 0xffff, v75
	v_lshrrev_b32_e32 v6, 16, v75
	;;#ASMSTART
	v_cvt_f32_f16 v75, v7;
	;;#ASMEND
	;;#ASMSTART
	v_cvt_f32_f16 v74, v6;
	;;#ASMEND
	s_clause 0x1
	scratch_load_b32 v1, off, s32 offset:412 th:TH_LOAD_LU
	scratch_load_b32 v7, off, s32 offset:424 th:TH_LOAD_LU
	v_pk_fma_f32 v[110:111], v[58:59], v[110:111], v[62:63]
	s_wait_loadcnt 0x0
	v_or_b32_e32 v6, v7, v1
	v_fma_mixlo_f16 v7, v37, v7, 0 op_sel:[0,1,0] op_sel_hi:[0,1,0]
	s_delay_alu instid0(VALU_DEP_2) | instskip(NEXT) | instid1(VALU_DEP_2)
	v_fma_mixlo_f16 v6, v37, v6, 0 op_sel_hi:[0,1,0]
	v_and_b32_e32 v7, 0xffff, v7
	s_delay_alu instid0(VALU_DEP_2)
	v_and_b32_e32 v6, 0xffff, v6
	;;#ASMSTART
	v_cvt_f32_f16 v77, v6;
	;;#ASMEND
	;;#ASMSTART
	v_cvt_f32_f16 v76, v7;
	;;#ASMEND
	;;#ASMSTART
	v_cvt_f32_f16 v59, v14;
	;;#ASMEND
	;;#ASMSTART
	v_cvt_f32_f16 v58, v8;
	;;#ASMEND
	s_clause 0x1
	scratch_load_b32 v1, off, s32 offset:420 th:TH_LOAD_LU
	scratch_load_b32 v7, off, s32 offset:432 th:TH_LOAD_LU
	s_wait_loadcnt 0x0
	v_or_b32_e32 v6, v7, v1
	v_fma_mixlo_f16 v7, v37, v7, 0 op_sel:[0,1,0] op_sel_hi:[0,1,0]
	s_delay_alu instid0(VALU_DEP_2) | instskip(NEXT) | instid1(VALU_DEP_2)
	v_fma_mixlo_f16 v6, v37, v6, 0 op_sel_hi:[0,1,0]
	v_and_b32_e32 v7, 0xffff, v7
	s_delay_alu instid0(VALU_DEP_2)
	v_and_b32_e32 v6, 0xffff, v6
	;;#ASMSTART
	v_cvt_f32_f16 v63, v6;
	;;#ASMEND
	;;#ASMSTART
	v_cvt_f32_f16 v62, v7;
	;;#ASMEND
	;; [unrolled: 3-line block ×4, first 2 shown]
	s_clause 0x1
	scratch_load_b32 v1, off, s32 offset:428 th:TH_LOAD_LU
	scratch_load_b32 v7, off, s32 offset:548 th:TH_LOAD_LU
	s_wait_loadcnt 0x0
	v_or_b32_e32 v6, v7, v1
	v_fma_mixlo_f16 v7, v37, v7, 0 op_sel:[0,1,0] op_sel_hi:[0,1,0]
	s_delay_alu instid0(VALU_DEP_2) | instskip(NEXT) | instid1(VALU_DEP_2)
	v_fma_mixlo_f16 v6, v37, v6, 0 op_sel_hi:[0,1,0]
	v_and_b32_e32 v7, 0xffff, v7
	s_delay_alu instid0(VALU_DEP_2)
	v_and_b32_e32 v6, 0xffff, v6
	;;#ASMSTART
	v_cvt_f32_f16 v47, v6;
	;;#ASMEND
	;;#ASMSTART
	v_cvt_f32_f16 v46, v7;
	;;#ASMEND
	ds_load_b128 v[120:123], v15 offset:320
	s_wait_dscnt 0x0
	v_lshrrev_b32_e32 v7, 16, v120
	v_and_b32_e32 v6, 0xffff, v120
	;;#ASMSTART
	v_cvt_f32_f16 v108, v6;
	;;#ASMEND
	;;#ASMSTART
	v_cvt_f32_f16 v109, v7;
	;;#ASMEND
	s_clause 0x1
	scratch_load_b32 v1, off, s32 offset:436 th:TH_LOAD_LU
	scratch_load_b32 v7, off, s32 offset:444 th:TH_LOAD_LU
	v_lshrrev_b32_e32 v8, 16, v122
	v_and_b32_e32 v10, 0xffff, v122
	v_lshrrev_b32_e32 v14, 16, v123
	v_and_b32_e32 v24, 0xffff, v123
	s_wait_loadcnt 0x0
	v_or_b32_e32 v6, v7, v1
	v_fma_mixlo_f16 v7, v37, v7, 0 op_sel:[0,1,0] op_sel_hi:[0,1,0]
	s_delay_alu instid0(VALU_DEP_2) | instskip(NEXT) | instid1(VALU_DEP_2)
	v_fma_mixlo_f16 v6, v37, v6, 0 op_sel_hi:[0,1,0]
	v_and_b32_e32 v7, 0xffff, v7
	s_delay_alu instid0(VALU_DEP_2)
	v_and_b32_e32 v6, 0xffff, v6
	;;#ASMSTART
	v_cvt_f32_f16 v124, v6;
	;;#ASMEND
	;;#ASMSTART
	v_cvt_f32_f16 v125, v7;
	;;#ASMEND
	v_and_b32_e32 v7, 0xffff, v121
	v_pk_fma_f32 v[108:109], v[108:109], v[124:125], v[110:111]
	v_pk_fma_f32 v[110:111], v[94:95], v[104:105], v[106:107]
	v_lshrrev_b32_e32 v6, 16, v121
	;;#ASMSTART
	v_cvt_f32_f16 v105, v7;
	;;#ASMEND
	;;#ASMSTART
	v_cvt_f32_f16 v104, v6;
	;;#ASMEND
	s_clause 0x1
	scratch_load_b32 v1, off, s32 offset:440 th:TH_LOAD_LU
	scratch_load_b32 v7, off, s32 offset:452 th:TH_LOAD_LU
	v_pk_fma_f32 v[124:125], v[44:45], v[56:57], v[28:29]
	s_wait_loadcnt 0x0
	v_or_b32_e32 v6, v7, v1
	v_fma_mixlo_f16 v7, v37, v7, 0 op_sel:[0,1,0] op_sel_hi:[0,1,0]
	s_delay_alu instid0(VALU_DEP_2) | instskip(NEXT) | instid1(VALU_DEP_2)
	v_fma_mixlo_f16 v6, v37, v6, 0 op_sel_hi:[0,1,0]
	v_and_b32_e32 v7, 0xffff, v7
	s_delay_alu instid0(VALU_DEP_2)
	v_and_b32_e32 v6, 0xffff, v6
	;;#ASMSTART
	v_cvt_f32_f16 v107, v6;
	;;#ASMEND
	;;#ASMSTART
	v_cvt_f32_f16 v106, v7;
	;;#ASMEND
	;; [unrolled: 3-line block ×4, first 2 shown]
	s_clause 0x1
	scratch_load_b32 v1, off, s32 offset:448 th:TH_LOAD_LU
	scratch_load_b32 v7, off, s32 offset:460 th:TH_LOAD_LU
	s_wait_loadcnt 0x0
	v_or_b32_e32 v6, v7, v1
	v_fma_mixlo_f16 v7, v37, v7, 0 op_sel:[0,1,0] op_sel_hi:[0,1,0]
	s_delay_alu instid0(VALU_DEP_2) | instskip(NEXT) | instid1(VALU_DEP_2)
	v_fma_mixlo_f16 v6, v37, v6, 0 op_sel_hi:[0,1,0]
	v_and_b32_e32 v7, 0xffff, v7
	s_delay_alu instid0(VALU_DEP_2)
	v_and_b32_e32 v6, 0xffff, v6
	;;#ASMSTART
	v_cvt_f32_f16 v95, v6;
	;;#ASMEND
	;;#ASMSTART
	v_cvt_f32_f16 v94, v7;
	;;#ASMEND
	;; [unrolled: 3-line block ×4, first 2 shown]
	s_clause 0x1
	scratch_load_b32 v1, off, s32 offset:456 th:TH_LOAD_LU
	scratch_load_b32 v7, off, s32 offset:552 th:TH_LOAD_LU
	s_wait_loadcnt 0x0
	v_or_b32_e32 v6, v7, v1
	v_fma_mixlo_f16 v1, v37, v7, 0 op_sel:[0,1,0] op_sel_hi:[0,1,0]
	s_delay_alu instid0(VALU_DEP_2) | instskip(NEXT) | instid1(VALU_DEP_2)
	v_fma_mixlo_f16 v6, v37, v6, 0 op_sel_hi:[0,1,0]
	v_and_b32_e32 v1, 0xffff, v1
	s_delay_alu instid0(VALU_DEP_2)
	v_and_b32_e32 v6, 0xffff, v6
	;;#ASMSTART
	v_cvt_f32_f16 v45, v6;
	;;#ASMEND
	;;#ASMSTART
	v_cvt_f32_f16 v44, v1;
	;;#ASMEND
	ds_load_b128 v[120:123], v15 offset:336
	s_wait_dscnt 0x0
	v_and_b32_e32 v1, 0xffff, v120
	v_lshrrev_b32_e32 v6, 16, v120
	;;#ASMSTART
	v_cvt_f32_f16 v24, v1;
	;;#ASMEND
	;;#ASMSTART
	v_cvt_f32_f16 v25, v6;
	;;#ASMEND
	s_clause 0x1
	scratch_load_b32 v1, off, s32 offset:464 th:TH_LOAD_LU
	scratch_load_b32 v6, off, s32 offset:472 th:TH_LOAD_LU
	v_and_b32_e32 v10, 0xffff, v123
	s_wait_loadcnt 0x0
	v_or_b32_e32 v1, v6, v1
	v_fma_mixlo_f16 v6, v37, v6, 0 op_sel:[0,1,0] op_sel_hi:[0,1,0]
	s_delay_alu instid0(VALU_DEP_2) | instskip(NEXT) | instid1(VALU_DEP_2)
	v_fma_mixlo_f16 v1, v37, v1, 0 op_sel_hi:[0,1,0]
	v_and_b32_e32 v6, 0xffff, v6
	s_delay_alu instid0(VALU_DEP_2)
	v_and_b32_e32 v1, 0xffff, v1
	;;#ASMSTART
	v_cvt_f32_f16 v8, v1;
	;;#ASMEND
	;;#ASMSTART
	v_cvt_f32_f16 v9, v6;
	;;#ASMEND
	v_pk_fma_f32 v[6:7], v[2:3], v[4:5], v[124:125]
	v_lshrrev_b32_e32 v1, 16, v121
	v_and_b32_e32 v2, 0xffff, v121
	;;#ASMSTART
	v_cvt_f32_f16 v121, v2;
	;;#ASMEND
	;;#ASMSTART
	v_cvt_f32_f16 v120, v1;
	;;#ASMEND
	s_clause 0x1
	scratch_load_b32 v1, off, s32 offset:468 th:TH_LOAD_LU
	scratch_load_b32 v2, off, s32 offset:480 th:TH_LOAD_LU
	v_pk_fma_f32 v[8:9], v[24:25], v[8:9], v[108:109]
	v_lshrrev_b32_e32 v3, 16, v122
	v_and_b32_e32 v4, 0xffff, v122
	v_lshrrev_b32_e32 v5, 16, v123
	v_pk_fma_f32 v[24:25], v[90:91], v[92:93], v[110:111]
	v_pk_fma_f32 v[96:97], v[96:97], v[98:99], v[6:7]
	;; [unrolled: 1-line block ×3, first 2 shown]
	s_delay_alu instid0(VALU_DEP_3) | instskip(NEXT) | instid1(VALU_DEP_2)
	v_pk_fma_f32 v[78:79], v[78:79], v[88:89], v[24:25]
	v_pk_fma_f32 v[6:7], v[32:33], v[34:35], v[6:7]
	s_delay_alu instid0(VALU_DEP_1) | instskip(NEXT) | instid1(VALU_DEP_1)
	v_pk_fma_f32 v[6:7], v[48:49], v[50:51], v[6:7]
	v_pk_fma_f32 v[6:7], v[64:65], v[66:67], v[6:7]
	s_delay_alu instid0(VALU_DEP_1) | instskip(NEXT) | instid1(VALU_DEP_1)
	v_pk_fma_f32 v[6:7], v[80:81], v[82:83], v[6:7]
	v_pk_fma_f32 v[6:7], v[30:31], v[100:101], v[6:7]
	v_add_nc_u32_e32 v31, 0x80, v36
	s_delay_alu instid0(VALU_DEP_2) | instskip(NEXT) | instid1(VALU_DEP_1)
	v_pk_fma_f32 v[6:7], v[114:115], v[116:117], v[6:7]
	v_pk_fma_f32 v[6:7], v[42:43], v[46:47], v[6:7]
	s_delay_alu instid0(VALU_DEP_1) | instskip(SKIP_3) | instid1(VALU_DEP_2)
	v_pk_fma_f32 v[6:7], v[28:29], v[44:45], v[6:7]
	s_wait_loadcnt 0x0
	v_or_b32_e32 v1, v2, v1
	v_fma_mixlo_f16 v2, v37, v2, 0 op_sel:[0,1,0] op_sel_hi:[0,1,0]
	v_fma_mixlo_f16 v1, v37, v1, 0 op_sel_hi:[0,1,0]
	s_delay_alu instid0(VALU_DEP_2) | instskip(NEXT) | instid1(VALU_DEP_2)
	v_and_b32_e32 v2, 0xffff, v2
	v_and_b32_e32 v1, 0xffff, v1
	;;#ASMSTART
	v_cvt_f32_f16 v123, v1;
	;;#ASMEND
	;;#ASMSTART
	v_cvt_f32_f16 v122, v2;
	;;#ASMEND
	;; [unrolled: 3-line block ×4, first 2 shown]
	s_clause 0x1
	scratch_load_b32 v1, off, s32 offset:476 th:TH_LOAD_LU
	scratch_load_b32 v2, off, s32 offset:488 th:TH_LOAD_LU
	s_wait_loadcnt 0x0
	v_or_b32_e32 v1, v2, v1
	v_fma_mixlo_f16 v2, v37, v2, 0 op_sel:[0,1,0] op_sel_hi:[0,1,0]
	s_delay_alu instid0(VALU_DEP_2) | instskip(NEXT) | instid1(VALU_DEP_2)
	v_fma_mixlo_f16 v1, v37, v1, 0 op_sel_hi:[0,1,0]
	v_and_b32_e32 v2, 0xffff, v2
	s_delay_alu instid0(VALU_DEP_2)
	v_and_b32_e32 v1, 0xffff, v1
	;;#ASMSTART
	v_cvt_f32_f16 v111, v1;
	;;#ASMEND
	;;#ASMSTART
	v_cvt_f32_f16 v110, v2;
	;;#ASMEND
	;; [unrolled: 3-line block ×4, first 2 shown]
	scratch_load_b32 v1, off, s32 offset:484 th:TH_LOAD_LU ; 4-byte Folded Reload
	v_fma_mixlo_f16 v2, v37, v17, 0 op_sel:[0,1,0] op_sel_hi:[0,1,0]
	s_delay_alu instid0(VALU_DEP_1) | instskip(SKIP_2) | instid1(VALU_DEP_1)
	v_and_b32_e32 v2, 0xffff, v2
	s_wait_loadcnt 0x0
	v_or_b32_e32 v1, v17, v1
	v_fma_mixlo_f16 v1, v37, v1, 0 op_sel_hi:[0,1,0]
	s_delay_alu instid0(VALU_DEP_1)
	v_and_b32_e32 v1, 0xffff, v1
	;;#ASMSTART
	v_cvt_f32_f16 v93, v1;
	;;#ASMEND
	;;#ASMSTART
	v_cvt_f32_f16 v92, v2;
	;;#ASMEND
	ds_load_b128 v[2:5], v15 offset:352
	s_wait_dscnt 0x0
	v_and_b32_e32 v1, 0xffff, v2
	v_lshrrev_b32_e32 v2, 16, v2
	;;#ASMSTART
	v_cvt_f32_f16 v16, v1;
	;;#ASMEND
	;;#ASMSTART
	v_cvt_f32_f16 v17, v2;
	;;#ASMEND
	scratch_load_b32 v1, off, s32 offset:492 th:TH_LOAD_LU ; 4-byte Folded Reload
	v_lshrrev_b32_e32 v10, 16, v4
	v_fma_mixlo_f16 v2, v37, v19, 0 op_sel:[0,1,0] op_sel_hi:[0,1,0]
	v_and_b32_e32 v14, 0xffff, v4
	s_delay_alu instid0(VALU_DEP_2) | instskip(SKIP_2) | instid1(VALU_DEP_1)
	v_and_b32_e32 v2, 0xffff, v2
	s_wait_loadcnt 0x0
	v_or_b32_e32 v1, v19, v1
	v_fma_mixlo_f16 v1, v37, v1, 0 op_sel_hi:[0,1,0]
	s_delay_alu instid0(VALU_DEP_1)
	v_and_b32_e32 v1, 0xffff, v1
	;;#ASMSTART
	v_cvt_f32_f16 v124, v1;
	;;#ASMEND
	;;#ASMSTART
	v_cvt_f32_f16 v125, v2;
	;;#ASMEND
	scratch_load_b32 v1, off, s32 offset:496 th:TH_LOAD_LU ; 4-byte Folded Reload
	v_pk_fma_f32 v[124:125], v[16:17], v[124:125], v[8:9]
	v_lshrrev_b32_e32 v8, 16, v3
	v_and_b32_e32 v3, 0xffff, v3
	s_wait_loadcnt 0x0
	v_or_b32_e32 v1, v0, v1
	v_fma_mixlo_f16 v0, v37, v0, 0 op_sel:[0,1,0] op_sel_hi:[0,1,0]
	s_delay_alu instid0(VALU_DEP_2) | instskip(NEXT) | instid1(VALU_DEP_2)
	v_fma_mixlo_f16 v1, v37, v1, 0 op_sel_hi:[0,1,0]
	v_and_b32_e32 v17, 0xffff, v0
	s_delay_alu instid0(VALU_DEP_2)
	v_and_b32_e32 v4, 0xffff, v1
	scratch_load_b32 v1, off, s32 offset:500 th:TH_LOAD_LU ; 4-byte Folded Reload
	s_wait_loadcnt 0x0
	v_or_b32_e32 v2, v39, v1
	;;#ASMSTART
	v_cvt_f32_f16 v1, v3;
	;;#ASMEND
	;;#ASMSTART
	v_cvt_f32_f16 v0, v8;
	;;#ASMEND
	;; [unrolled: 3-line block ×3, first 2 shown]
	scratch_load_b32 v3, off, s32 offset:504 th:TH_LOAD_LU ; 4-byte Folded Reload
	v_lshrrev_b32_e32 v16, 16, v5
	v_fma_mixlo_f16 v2, v37, v2, 0 op_sel_hi:[0,1,0]
	;;#ASMSTART
	v_cvt_f32_f16 v8, v17;
	;;#ASMEND
	v_fma_mixlo_f16 v4, v37, v39, 0 op_sel:[0,1,0] op_sel_hi:[0,1,0]
	;;#ASMSTART
	v_cvt_f32_f16 v55, v14;
	;;#ASMEND
	v_and_b32_e32 v5, 0xffff, v5
	v_and_b32_e32 v14, 0xffff, v2
	;;#ASMSTART
	v_cvt_f32_f16 v54, v10;
	;;#ASMEND
	v_and_b32_e32 v4, 0xffff, v4
	;;#ASMSTART
	v_cvt_f32_f16 v99, v14;
	;;#ASMEND
	;;#ASMSTART
	v_cvt_f32_f16 v98, v4;
	;;#ASMEND
	;; [unrolled: 3-line block ×3, first 2 shown]
	v_pk_fma_f32 v[38:39], v[68:69], v[70:71], v[96:97]
	s_wait_loadcnt 0x0
	v_or_b32_e32 v3, v22, v3
	;;#ASMSTART
	v_cvt_f32_f16 v26, v16;
	;;#ASMEND
	s_delay_alu instid0(VALU_DEP_1) | instskip(SKIP_2) | instid1(VALU_DEP_3)
	v_fma_mixlo_f16 v2, v37, v3, 0 op_sel_hi:[0,1,0]
	v_fma_mixlo_f16 v3, v37, v22, 0 op_sel:[0,1,0] op_sel_hi:[0,1,0]
	v_fma_mixlo_f16 v22, v37, v11, 0 op_sel:[0,1,0] op_sel_hi:[0,1,0]
	v_and_b32_e32 v2, 0xffff, v2
	s_delay_alu instid0(VALU_DEP_3)
	v_and_b32_e32 v3, 0xffff, v3
	;;#ASMSTART
	v_cvt_f32_f16 v53, v2;
	;;#ASMEND
	;;#ASMSTART
	v_cvt_f32_f16 v52, v3;
	;;#ASMEND
	ds_load_b128 v[2:5], v15 offset:368
	s_wait_dscnt 0x0
	v_and_b32_e32 v10, 0xffff, v2
	v_lshrrev_b32_e32 v2, 16, v2
	;;#ASMSTART
	v_cvt_f32_f16 v16, v10;
	;;#ASMEND
	;;#ASMSTART
	v_cvt_f32_f16 v17, v2;
	;;#ASMEND
	scratch_load_b32 v2, off, s32 offset:580 th:TH_LOAD_LU ; 4-byte Folded Reload
	v_fma_mixlo_f16 v10, v37, v13, 0 op_sel:[0,1,0] op_sel_hi:[0,1,0]
	v_and_b32_e32 v18, 0xffff, v3
	v_lshrrev_b32_e32 v33, 16, v3
	s_delay_alu instid0(VALU_DEP_3) | instskip(SKIP_2) | instid1(VALU_DEP_1)
	v_and_b32_e32 v10, 0xffff, v10
	s_wait_loadcnt 0x0
	v_or_b32_e32 v2, v13, v2
	v_fma_mixlo_f16 v2, v37, v2, 0 op_sel_hi:[0,1,0]
	s_delay_alu instid0(VALU_DEP_1)
	v_and_b32_e32 v2, 0xffff, v2
	;;#ASMSTART
	v_cvt_f32_f16 v24, v2;
	;;#ASMEND
	v_sub_nc_u32_e32 v2, 1, v12
	;;#ASMSTART
	v_cvt_f32_f16 v25, v10;
	;;#ASMEND
	s_clause 0x1
	scratch_load_b32 v10, off, s32 offset:508 th:TH_LOAD_LU
	scratch_load_b32 v14, off, s32 offset:584 th:TH_LOAD_LU
	v_pk_fma_f32 v[16:17], v[16:17], v[24:25], v[124:125]
	v_add_nc_u32_e32 v2, v2, v36
	v_pk_fma_f32 v[24:25], v[60:61], v[72:73], v[78:79]
	s_delay_alu instid0(VALU_DEP_2)
	v_cvt_f32_i32_e32 v13, v2
	scratch_load_b32 v2, off, s32 offset:512 th:TH_LOAD_LU ; 4-byte Folded Reload
	;;#ASMSTART
	v_cvt_f32_f16 v19, v18;
	;;#ASMEND
	;;#ASMSTART
	v_cvt_f32_f16 v18, v33;
	;;#ASMEND
	s_wait_loadcnt 0x2
	v_or_b32_e32 v10, v21, v10
	s_wait_loadcnt 0x1
	v_or_b32_e32 v14, v23, v14
	v_fma_mixlo_f16 v23, v37, v23, 0 op_sel:[0,1,0] op_sel_hi:[0,1,0]
	s_delay_alu instid0(VALU_DEP_3) | instskip(NEXT) | instid1(VALU_DEP_3)
	v_fma_mixlo_f16 v21, v37, v10, 0 op_sel_hi:[0,1,0]
	v_fma_mixlo_f16 v14, v37, v14, 0 op_sel_hi:[0,1,0]
	s_wait_loadcnt 0x0
	v_or_b32_e32 v2, v11, v2
	v_pk_fma_f32 v[10:11], v[84:85], v[86:87], v[38:39]
	v_and_b32_e32 v21, 0xffff, v21
	;;#ASMSTART
	v_cvt_f32_f16 v21, v21;
	;;#ASMEND
	;;#ASMSTART
	v_cvt_f32_f16 v20, v20;
	;;#ASMEND
	v_fma_mixlo_f16 v32, v37, v2, 0 op_sel_hi:[0,1,0]
	v_pk_fma_f32 v[2:3], v[74:75], v[76:77], v[24:25]
	v_pk_fma_f32 v[10:11], v[102:103], v[112:113], v[10:11]
	s_delay_alu instid0(VALU_DEP_2) | instskip(NEXT) | instid1(VALU_DEP_2)
	v_pk_fma_f32 v[2:3], v[104:105], v[106:107], v[2:3]
	v_pk_fma_f32 v[10:11], v[118:119], v[40:41], v[10:11]
	s_delay_alu instid0(VALU_DEP_2) | instskip(NEXT) | instid1(VALU_DEP_1)
	v_pk_fma_f32 v[2:3], v[120:121], v[122:123], v[2:3]
	v_pk_fma_f32 v[0:1], v[0:1], v[8:9], v[2:3]
	s_delay_alu instid0(VALU_DEP_3)
	v_pk_fma_f32 v[2:3], v[58:59], v[62:63], v[10:11]
	v_and_b32_e32 v8, 0xffff, v4
	v_lshrrev_b32_e32 v4, 16, v4
	;;#ASMSTART
	v_cvt_f32_f16 v9, v8;
	;;#ASMEND
	v_pk_fma_f32 v[0:1], v[18:19], v[20:21], v[0:1]
	v_pk_fma_f32 v[2:3], v[56:57], v[94:95], v[2:3]
	;;#ASMSTART
	v_cvt_f32_f16 v8, v4;
	;;#ASMEND
	v_add_f32_e32 v4, v16, v17
	v_and_b32_e32 v10, 0xffff, v32
	v_and_b32_e32 v18, 0xffff, v22
	v_pk_fma_f32 v[2:3], v[108:109], v[110:111], v[2:3]
	;;#ASMSTART
	v_cvt_f32_f16 v11, v10;
	;;#ASMEND
	v_add_f32_e32 v1, v4, v1
	;;#ASMSTART
	v_cvt_f32_f16 v10, v18;
	;;#ASMEND
	v_and_b32_e32 v16, 0xffff, v5
	v_pk_fma_f32 v[2:3], v[54:55], v[98:99], v[2:3]
	s_delay_alu instid0(VALU_DEP_3) | instskip(SKIP_1) | instid1(VALU_DEP_2)
	v_add_f32_e32 v0, v0, v1
	;;#ASMSTART
	v_cvt_f32_f16 v1, v16;
	;;#ASMEND
	v_pk_fma_f32 v[2:3], v[8:9], v[10:11], v[2:3]
	v_lshrrev_b32_e32 v8, 16, v5
	v_pk_fma_f32 v[4:5], v[90:91], v[92:93], v[6:7]
	v_and_b32_e32 v6, 0xffff, v14
	v_and_b32_e32 v9, 0xffff, v23
	v_add_f32_e32 v3, v0, v3
	;;#ASMSTART
	v_cvt_f32_f16 v0, v8;
	;;#ASMEND
	v_pk_fma_f32 v[4:5], v[26:27], v[52:53], v[4:5]
	;;#ASMSTART
	v_cvt_f32_f16 v7, v6;
	;;#ASMEND
	;;#ASMSTART
	v_cvt_f32_f16 v6, v9;
	;;#ASMEND
	v_add_f32_e32 v2, v2, v3
	scratch_load_b32 v3, off, s32 offset:588 ; 4-byte Folded Reload
	v_pk_fma_f32 v[0:1], v[0:1], v[6:7], v[4:5]
	scratch_load_b32 v104, off, s32 offset:604 ; 4-byte Folded Reload
	v_add_f32_e32 v1, v2, v1
	s_delay_alu instid0(VALU_DEP_1)
	v_add_f32_e32 v0, v0, v1
	s_clause 0x1
	scratch_load_b32 v1, off, s32 offset:600
	scratch_load_b32 v24, off, s32 offset:564 th:TH_LOAD_LU
	s_wait_loadcnt 0x3
	v_mul_f32_e32 v3, v3, v13
	s_delay_alu instid0(VALU_DEP_1) | instskip(SKIP_1) | instid1(VALU_DEP_1)
	v_cndmask_b32_e32 v2, 0, v3, vcc_lo
	s_wait_loadcnt 0x1
	v_fmac_f32_e32 v2, v1, v0
	s_wait_loadcnt 0x0
	s_delay_alu instid0(VALU_DEP_1) | instskip(NEXT) | instid1(VALU_DEP_1)
	v_dual_max_num_f32 v0, v24, v24 :: v_dual_cndmask_b32 v1, 0, v2, s1
	v_max_num_f32_e32 v0, v0, v2
	ds_store_b32 v127, v1
	v_cndmask_b32_e64 v24, v24, v0, s1
	scratch_load_b64 v[0:1], off, s32 offset:568 th:TH_LOAD_LU ; 8-byte Folded Reload
	v_cmp_ge_i32_e64 s1, v126, v104
	v_add_nc_u32_e32 v127, 0x200, v127
	s_or_b32 s9, s1, s9
	s_wait_loadcnt 0x0
	v_add_nc_u64_e32 v[0:1], 16, v[0:1]
	s_wait_xcnt 0x0
	s_and_not1_b32 exec_lo, exec_lo, s9
	s_cbranch_execz .LBB300_1543
.LBB300_10:                             ; =>This Inner Loop Header: Depth=1
	scratch_store_b64 off, v[0:1], s32 offset:568 ; 8-byte Folded Spill
	flat_load_b32 v0, v[0:1]
	s_clause 0x1
	scratch_load_b64 v[2:3], off, s32 offset:556
	scratch_load_b64 v[4:5], off, s32 offset:608
	v_dual_mov_b32 v49, v126 :: v_dual_mov_b32 v48, v127
	v_mov_b32_e32 v26, 0
	s_mov_b32 s11, exec_lo
	s_wait_loadcnt_dscnt 0x0
	v_mad_nc_i64_i32 v[2:3], v0, v2, v[4:5]
	flat_load_b64 v[4:5], v[2:3]
	scratch_load_b64 v[0:1], off, s32 offset:592 ; 8-byte Folded Reload
	s_wait_loadcnt 0x0
	flat_load_b32 v37, v[0:1]
	s_wait_dscnt 0x1
	s_wait_xcnt 0x0
	v_and_b32_e32 v0, 0xff, v4
	s_delay_alu instid0(VALU_DEP_1)
	v_cmpx_ne_u16_e32 0, v0
	s_cbranch_execz .LBB300_18
; %bb.11:                               ;   in Loop: Header=BB300_10 Depth=1
	v_mov_b32_e32 v26, 0x8000
	s_mov_b32 s16, exec_lo
	v_cmpx_ne_u16_e32 0x80, v0
	s_cbranch_execz .LBB300_17
; %bb.12:                               ;   in Loop: Header=BB300_10 Depth=1
	v_and_b32_e32 v6, 0x7f, v4
	v_mov_b32_e32 v26, 0x7c01
	s_mov_b32 s17, exec_lo
	s_delay_alu instid0(VALU_DEP_2)
	v_cmpx_ne_u32_e32 0x7f, v6
	s_cbranch_execz .LBB300_16
; %bb.13:                               ;   in Loop: Header=BB300_10 Depth=1
	v_dual_lshrrev_b32 v1, 3, v6 :: v_dual_bitop2_b32 v0, 7, v4 bitop3:0x40
	s_mov_b32 s18, exec_lo
	v_cmpx_gt_u32_e32 8, v6
; %bb.14:                               ;   in Loop: Header=BB300_10 Depth=1
	s_delay_alu instid0(VALU_DEP_2) | instskip(NEXT) | instid1(VALU_DEP_1)
	v_clz_i32_u32_e32 v0, v0
	v_min_u32_e32 v6, 32, v0
	s_delay_alu instid0(VALU_DEP_1) | instskip(NEXT) | instid1(VALU_DEP_1)
	v_subrev_nc_u32_e32 v0, 28, v6
	v_lshlrev_b64_e32 v[0:1], v0, v[4:5]
	s_delay_alu instid0(VALU_DEP_1)
	v_dual_sub_nc_u32 v1, 29, v6 :: v_dual_bitop2_b32 v0, 7, v0 bitop3:0x40
; %bb.15:                               ;   in Loop: Header=BB300_10 Depth=1
	s_or_b32 exec_lo, exec_lo, s18
	v_lshlrev_b32_e32 v6, 8, v4
	s_delay_alu instid0(VALU_DEP_2) | instskip(NEXT) | instid1(VALU_DEP_3)
	v_lshl_add_u32 v1, v1, 10, 0x2000
	v_lshlrev_b32_e32 v0, 7, v0
	s_delay_alu instid0(VALU_DEP_3) | instskip(NEXT) | instid1(VALU_DEP_3)
	v_and_b32_e32 v6, 0x8000, v6
	v_and_b32_e32 v1, 0xfc00, v1
	s_delay_alu instid0(VALU_DEP_1)
	v_or3_b32 v26, v6, v1, v0
.LBB300_16:                             ;   in Loop: Header=BB300_10 Depth=1
	s_or_b32 exec_lo, exec_lo, s17
.LBB300_17:                             ;   in Loop: Header=BB300_10 Depth=1
	s_delay_alu instid0(SALU_CYCLE_1)
	s_or_b32 exec_lo, exec_lo, s16
.LBB300_18:                             ;   in Loop: Header=BB300_10 Depth=1
	s_delay_alu instid0(SALU_CYCLE_1) | instskip(SKIP_3) | instid1(VALU_DEP_2)
	s_or_b32 exec_lo, exec_lo, s11
	v_lshrrev_b16 v14, 8, v4
	v_dual_mov_b32 v27, 0 :: v_dual_mov_b32 v28, 0
	s_mov_b32 s11, exec_lo
	v_cmpx_ne_u16_e32 0, v14
	s_cbranch_execz .LBB300_26
; %bb.19:                               ;   in Loop: Header=BB300_10 Depth=1
	v_bfrev_b32_e32 v28, 1
	s_mov_b32 s16, exec_lo
	v_cmpx_ne_u16_e32 0x80, v14
	s_cbranch_execz .LBB300_25
; %bb.20:                               ;   in Loop: Header=BB300_10 Depth=1
	v_and_b32_e32 v0, 0xffff, v14
	v_mov_b32_e32 v28, 0x7c010000
	s_mov_b32 s17, exec_lo
	s_delay_alu instid0(VALU_DEP_2) | instskip(NEXT) | instid1(VALU_DEP_1)
	v_and_b32_e32 v7, 0x7f, v0
	v_cmpx_ne_u32_e32 0x7f, v7
	s_cbranch_execz .LBB300_24
; %bb.21:                               ;   in Loop: Header=BB300_10 Depth=1
	v_dual_lshrrev_b32 v6, 3, v7 :: v_dual_bitop2_b32 v1, 7, v0 bitop3:0x40
	s_mov_b32 s18, exec_lo
	v_cmpx_gt_u32_e32 8, v7
; %bb.22:                               ;   in Loop: Header=BB300_10 Depth=1
	s_delay_alu instid0(VALU_DEP_2) | instskip(NEXT) | instid1(VALU_DEP_1)
	v_clz_i32_u32_e32 v1, v1
	v_min_u32_e32 v1, 32, v1
	s_delay_alu instid0(VALU_DEP_1) | instskip(NEXT) | instid1(VALU_DEP_1)
	v_subrev_nc_u32_e32 v6, 28, v1
	v_lshlrev_b64_e32 v[8:9], v6, v[14:15]
	s_delay_alu instid0(VALU_DEP_1)
	v_dual_sub_nc_u32 v6, 29, v1 :: v_dual_bitop2_b32 v1, 7, v8 bitop3:0x40
; %bb.23:                               ;   in Loop: Header=BB300_10 Depth=1
	s_or_b32 exec_lo, exec_lo, s18
	s_delay_alu instid0(VALU_DEP_1) | instskip(NEXT) | instid1(VALU_DEP_2)
	v_dual_lshlrev_b32 v0, 8, v0 :: v_dual_lshlrev_b32 v1, 23, v1
	v_lshl_add_u32 v6, v6, 10, 0x2000
	s_delay_alu instid0(VALU_DEP_1) | instskip(NEXT) | instid1(VALU_DEP_1)
	v_and_or_b32 v0, 0x8000, v0, v6
	v_lshl_or_b32 v28, v0, 16, v1
.LBB300_24:                             ;   in Loop: Header=BB300_10 Depth=1
	s_or_b32 exec_lo, exec_lo, s17
.LBB300_25:                             ;   in Loop: Header=BB300_10 Depth=1
	s_delay_alu instid0(SALU_CYCLE_1)
	s_or_b32 exec_lo, exec_lo, s16
.LBB300_26:                             ;   in Loop: Header=BB300_10 Depth=1
	s_delay_alu instid0(SALU_CYCLE_1) | instskip(SKIP_2) | instid1(VALU_DEP_1)
	s_or_b32 exec_lo, exec_lo, s11
	v_lshrrev_b32_e32 v8, 16, v4
	s_mov_b32 s11, exec_lo
	v_and_b32_e32 v0, 0xff, v8
	s_delay_alu instid0(VALU_DEP_1)
	v_cmpx_ne_u16_e32 0, v0
	s_cbranch_execz .LBB300_34
; %bb.27:                               ;   in Loop: Header=BB300_10 Depth=1
	v_mov_b32_e32 v27, 0x8000
	s_mov_b32 s16, exec_lo
	v_cmpx_ne_u16_e32 0x80, v0
	s_cbranch_execz .LBB300_33
; %bb.28:                               ;   in Loop: Header=BB300_10 Depth=1
	v_bfe_u32 v6, v4, 16, 7
	v_mov_b32_e32 v27, 0x7c01
	s_mov_b32 s17, exec_lo
	s_delay_alu instid0(VALU_DEP_2)
	v_cmpx_ne_u32_e32 0x7f, v6
	s_cbranch_execz .LBB300_32
; %bb.29:                               ;   in Loop: Header=BB300_10 Depth=1
	v_dual_lshrrev_b32 v1, 3, v6 :: v_dual_bitop2_b32 v0, 7, v8 bitop3:0x40
	s_mov_b32 s18, exec_lo
	v_cmpx_gt_u32_e32 8, v6
; %bb.30:                               ;   in Loop: Header=BB300_10 Depth=1
	s_delay_alu instid0(VALU_DEP_2) | instskip(NEXT) | instid1(VALU_DEP_1)
	v_clz_i32_u32_e32 v0, v0
	v_min_u32_e32 v6, 32, v0
	s_delay_alu instid0(VALU_DEP_1) | instskip(NEXT) | instid1(VALU_DEP_1)
	v_subrev_nc_u32_e32 v0, 28, v6
	v_lshlrev_b64_e32 v[0:1], v0, v[8:9]
	s_delay_alu instid0(VALU_DEP_1)
	v_dual_sub_nc_u32 v1, 29, v6 :: v_dual_bitop2_b32 v0, 7, v0 bitop3:0x40
; %bb.31:                               ;   in Loop: Header=BB300_10 Depth=1
	s_or_b32 exec_lo, exec_lo, s18
	v_lshlrev_b32_e32 v6, 8, v8
	s_delay_alu instid0(VALU_DEP_2) | instskip(NEXT) | instid1(VALU_DEP_3)
	v_lshl_add_u32 v1, v1, 10, 0x2000
	v_lshlrev_b32_e32 v0, 7, v0
	s_delay_alu instid0(VALU_DEP_3) | instskip(NEXT) | instid1(VALU_DEP_3)
	v_and_b32_e32 v6, 0x8000, v6
	v_and_b32_e32 v1, 0xfc00, v1
	s_delay_alu instid0(VALU_DEP_1)
	v_or3_b32 v27, v6, v1, v0
.LBB300_32:                             ;   in Loop: Header=BB300_10 Depth=1
	s_or_b32 exec_lo, exec_lo, s17
.LBB300_33:                             ;   in Loop: Header=BB300_10 Depth=1
	s_delay_alu instid0(SALU_CYCLE_1)
	s_or_b32 exec_lo, exec_lo, s16
.LBB300_34:                             ;   in Loop: Header=BB300_10 Depth=1
	s_delay_alu instid0(SALU_CYCLE_1)
	s_or_b32 exec_lo, exec_lo, s11
	v_dual_mov_b32 v33, 0 :: v_dual_mov_b32 v30, 0
	s_mov_b32 s11, exec_lo
	v_cmpx_lt_u32_e32 0xffffff, v4
	s_cbranch_execz .LBB300_42
; %bb.35:                               ;   in Loop: Header=BB300_10 Depth=1
	v_lshrrev_b32_e32 v14, 24, v4
	v_bfrev_b32_e32 v30, 1
	s_mov_b32 s16, exec_lo
	s_delay_alu instid0(VALU_DEP_2)
	v_cmpx_ne_u32_e32 0x80, v14
	s_cbranch_execz .LBB300_41
; %bb.36:                               ;   in Loop: Header=BB300_10 Depth=1
	v_and_b32_e32 v6, 0x7f, v14
	v_mov_b32_e32 v30, 0x7c010000
	s_mov_b32 s17, exec_lo
	s_delay_alu instid0(VALU_DEP_2)
	v_cmpx_ne_u32_e32 0x7f, v6
	s_cbranch_execz .LBB300_40
; %bb.37:                               ;   in Loop: Header=BB300_10 Depth=1
	v_and_b32_e32 v0, 7, v14
	v_lshrrev_b32_e32 v1, 3, v6
	s_mov_b32 s18, exec_lo
	v_cmpx_gt_u32_e32 8, v6
; %bb.38:                               ;   in Loop: Header=BB300_10 Depth=1
	s_delay_alu instid0(VALU_DEP_3) | instskip(NEXT) | instid1(VALU_DEP_1)
	v_clz_i32_u32_e32 v0, v0
	v_min_u32_e32 v6, 32, v0
	s_delay_alu instid0(VALU_DEP_1) | instskip(NEXT) | instid1(VALU_DEP_1)
	v_subrev_nc_u32_e32 v0, 28, v6
	v_lshlrev_b64_e32 v[0:1], v0, v[14:15]
	s_delay_alu instid0(VALU_DEP_1)
	v_dual_sub_nc_u32 v1, 29, v6 :: v_dual_bitop2_b32 v0, 7, v0 bitop3:0x40
; %bb.39:                               ;   in Loop: Header=BB300_10 Depth=1
	s_or_b32 exec_lo, exec_lo, s18
	s_delay_alu instid0(VALU_DEP_1) | instskip(NEXT) | instid1(VALU_DEP_2)
	v_dual_lshlrev_b32 v6, 8, v14 :: v_dual_lshlrev_b32 v0, 23, v0
	v_lshl_add_u32 v1, v1, 10, 0x2000
	s_delay_alu instid0(VALU_DEP_1) | instskip(NEXT) | instid1(VALU_DEP_1)
	v_and_or_b32 v1, 0x8000, v6, v1
	v_lshl_or_b32 v30, v1, 16, v0
.LBB300_40:                             ;   in Loop: Header=BB300_10 Depth=1
	s_or_b32 exec_lo, exec_lo, s17
.LBB300_41:                             ;   in Loop: Header=BB300_10 Depth=1
	s_delay_alu instid0(SALU_CYCLE_1)
	s_or_b32 exec_lo, exec_lo, s16
.LBB300_42:                             ;   in Loop: Header=BB300_10 Depth=1
	s_delay_alu instid0(SALU_CYCLE_1) | instskip(SKIP_3) | instid1(VALU_DEP_2)
	s_or_b32 exec_lo, exec_lo, s11
	v_and_b32_e32 v0, 0xff, v5
	v_mov_b32_e32 v14, v5
	s_mov_b32 s11, exec_lo
	v_cmpx_ne_u16_e32 0, v0
	s_cbranch_execz .LBB300_50
; %bb.43:                               ;   in Loop: Header=BB300_10 Depth=1
	v_mov_b32_e32 v33, 0x8000
	s_mov_b32 s16, exec_lo
	v_cmpx_ne_u16_e32 0x80, v0
	s_cbranch_execz .LBB300_49
; %bb.44:                               ;   in Loop: Header=BB300_10 Depth=1
	v_and_b32_e32 v6, 0x7f, v5
	v_mov_b32_e32 v33, 0x7c01
	s_mov_b32 s17, exec_lo
	s_delay_alu instid0(VALU_DEP_2)
	v_cmpx_ne_u32_e32 0x7f, v6
	s_cbranch_execz .LBB300_48
; %bb.45:                               ;   in Loop: Header=BB300_10 Depth=1
	v_dual_lshrrev_b32 v1, 3, v6 :: v_dual_bitop2_b32 v0, 7, v5 bitop3:0x40
	s_mov_b32 s18, exec_lo
	v_cmpx_gt_u32_e32 8, v6
; %bb.46:                               ;   in Loop: Header=BB300_10 Depth=1
	s_delay_alu instid0(VALU_DEP_2) | instskip(NEXT) | instid1(VALU_DEP_1)
	v_clz_i32_u32_e32 v0, v0
	v_min_u32_e32 v6, 32, v0
	s_delay_alu instid0(VALU_DEP_1) | instskip(NEXT) | instid1(VALU_DEP_1)
	v_subrev_nc_u32_e32 v0, 28, v6
	v_lshlrev_b64_e32 v[0:1], v0, v[14:15]
	s_delay_alu instid0(VALU_DEP_1)
	v_dual_sub_nc_u32 v1, 29, v6 :: v_dual_bitop2_b32 v0, 7, v0 bitop3:0x40
; %bb.47:                               ;   in Loop: Header=BB300_10 Depth=1
	s_or_b32 exec_lo, exec_lo, s18
	s_delay_alu instid0(VALU_DEP_1) | instskip(NEXT) | instid1(VALU_DEP_2)
	v_dual_lshlrev_b32 v6, 8, v5 :: v_dual_lshlrev_b32 v0, 7, v0
	v_lshl_add_u32 v1, v1, 10, 0x2000
	s_delay_alu instid0(VALU_DEP_2) | instskip(NEXT) | instid1(VALU_DEP_2)
	v_and_b32_e32 v6, 0x8000, v6
	v_and_b32_e32 v1, 0xfc00, v1
	s_delay_alu instid0(VALU_DEP_1)
	v_or3_b32 v33, v6, v1, v0
.LBB300_48:                             ;   in Loop: Header=BB300_10 Depth=1
	s_or_b32 exec_lo, exec_lo, s17
.LBB300_49:                             ;   in Loop: Header=BB300_10 Depth=1
	s_delay_alu instid0(SALU_CYCLE_1)
	s_or_b32 exec_lo, exec_lo, s16
.LBB300_50:                             ;   in Loop: Header=BB300_10 Depth=1
	s_delay_alu instid0(SALU_CYCLE_1) | instskip(SKIP_3) | instid1(VALU_DEP_2)
	s_or_b32 exec_lo, exec_lo, s11
	v_lshrrev_b16 v14, 8, v14
	v_dual_mov_b32 v54, 0 :: v_dual_mov_b32 v32, 0
	s_mov_b32 s11, exec_lo
	v_cmpx_ne_u16_e32 0, v14
	s_cbranch_execz .LBB300_58
; %bb.51:                               ;   in Loop: Header=BB300_10 Depth=1
	v_bfrev_b32_e32 v32, 1
	s_mov_b32 s16, exec_lo
	v_cmpx_ne_u16_e32 0x80, v14
	s_cbranch_execz .LBB300_57
; %bb.52:                               ;   in Loop: Header=BB300_10 Depth=1
	v_and_b32_e32 v0, 0xffff, v14
	v_mov_b32_e32 v32, 0x7c010000
	s_mov_b32 s17, exec_lo
	s_delay_alu instid0(VALU_DEP_2) | instskip(NEXT) | instid1(VALU_DEP_1)
	v_and_b32_e32 v7, 0x7f, v0
	v_cmpx_ne_u32_e32 0x7f, v7
	s_cbranch_execz .LBB300_56
; %bb.53:                               ;   in Loop: Header=BB300_10 Depth=1
	v_dual_lshrrev_b32 v6, 3, v7 :: v_dual_bitop2_b32 v1, 7, v0 bitop3:0x40
	s_mov_b32 s18, exec_lo
	v_cmpx_gt_u32_e32 8, v7
; %bb.54:                               ;   in Loop: Header=BB300_10 Depth=1
	s_delay_alu instid0(VALU_DEP_2) | instskip(NEXT) | instid1(VALU_DEP_1)
	v_clz_i32_u32_e32 v1, v1
	v_min_u32_e32 v1, 32, v1
	s_delay_alu instid0(VALU_DEP_1) | instskip(NEXT) | instid1(VALU_DEP_1)
	v_subrev_nc_u32_e32 v6, 28, v1
	v_lshlrev_b64_e32 v[8:9], v6, v[14:15]
	s_delay_alu instid0(VALU_DEP_1)
	v_dual_sub_nc_u32 v6, 29, v1 :: v_dual_bitop2_b32 v1, 7, v8 bitop3:0x40
; %bb.55:                               ;   in Loop: Header=BB300_10 Depth=1
	s_or_b32 exec_lo, exec_lo, s18
	s_delay_alu instid0(VALU_DEP_1) | instskip(NEXT) | instid1(VALU_DEP_2)
	v_dual_lshlrev_b32 v0, 8, v0 :: v_dual_lshlrev_b32 v1, 23, v1
	v_lshl_add_u32 v6, v6, 10, 0x2000
	s_delay_alu instid0(VALU_DEP_1) | instskip(NEXT) | instid1(VALU_DEP_1)
	v_and_or_b32 v0, 0x8000, v0, v6
	v_lshl_or_b32 v32, v0, 16, v1
.LBB300_56:                             ;   in Loop: Header=BB300_10 Depth=1
	s_or_b32 exec_lo, exec_lo, s17
.LBB300_57:                             ;   in Loop: Header=BB300_10 Depth=1
	s_delay_alu instid0(SALU_CYCLE_1)
	s_or_b32 exec_lo, exec_lo, s16
.LBB300_58:                             ;   in Loop: Header=BB300_10 Depth=1
	s_delay_alu instid0(SALU_CYCLE_1) | instskip(SKIP_2) | instid1(VALU_DEP_1)
	s_or_b32 exec_lo, exec_lo, s11
	v_lshrrev_b32_e32 v8, 16, v5
	s_mov_b32 s11, exec_lo
	v_and_b32_e32 v0, 0xff, v8
	s_delay_alu instid0(VALU_DEP_1)
	v_cmpx_ne_u16_e32 0, v0
	s_cbranch_execz .LBB300_66
; %bb.59:                               ;   in Loop: Header=BB300_10 Depth=1
	v_mov_b32_e32 v54, 0x8000
	s_mov_b32 s16, exec_lo
	v_cmpx_ne_u16_e32 0x80, v0
	s_cbranch_execz .LBB300_65
; %bb.60:                               ;   in Loop: Header=BB300_10 Depth=1
	v_bfe_u32 v6, v5, 16, 7
	v_mov_b32_e32 v54, 0x7c01
	s_mov_b32 s17, exec_lo
	s_delay_alu instid0(VALU_DEP_2)
	v_cmpx_ne_u32_e32 0x7f, v6
	s_cbranch_execz .LBB300_64
; %bb.61:                               ;   in Loop: Header=BB300_10 Depth=1
	v_dual_lshrrev_b32 v1, 3, v6 :: v_dual_bitop2_b32 v0, 7, v8 bitop3:0x40
	s_mov_b32 s18, exec_lo
	v_cmpx_gt_u32_e32 8, v6
; %bb.62:                               ;   in Loop: Header=BB300_10 Depth=1
	s_delay_alu instid0(VALU_DEP_2) | instskip(NEXT) | instid1(VALU_DEP_1)
	v_clz_i32_u32_e32 v0, v0
	v_min_u32_e32 v6, 32, v0
	s_delay_alu instid0(VALU_DEP_1) | instskip(NEXT) | instid1(VALU_DEP_1)
	v_subrev_nc_u32_e32 v0, 28, v6
	v_lshlrev_b64_e32 v[0:1], v0, v[8:9]
	s_delay_alu instid0(VALU_DEP_1)
	v_dual_sub_nc_u32 v1, 29, v6 :: v_dual_bitop2_b32 v0, 7, v0 bitop3:0x40
; %bb.63:                               ;   in Loop: Header=BB300_10 Depth=1
	s_or_b32 exec_lo, exec_lo, s18
	v_lshlrev_b32_e32 v6, 8, v8
	s_delay_alu instid0(VALU_DEP_2) | instskip(NEXT) | instid1(VALU_DEP_3)
	v_lshl_add_u32 v1, v1, 10, 0x2000
	v_lshlrev_b32_e32 v0, 7, v0
	s_delay_alu instid0(VALU_DEP_3) | instskip(NEXT) | instid1(VALU_DEP_3)
	v_and_b32_e32 v6, 0x8000, v6
	v_and_b32_e32 v1, 0xfc00, v1
	s_delay_alu instid0(VALU_DEP_1)
	v_or3_b32 v54, v6, v1, v0
.LBB300_64:                             ;   in Loop: Header=BB300_10 Depth=1
	s_or_b32 exec_lo, exec_lo, s17
.LBB300_65:                             ;   in Loop: Header=BB300_10 Depth=1
	s_delay_alu instid0(SALU_CYCLE_1)
	s_or_b32 exec_lo, exec_lo, s16
.LBB300_66:                             ;   in Loop: Header=BB300_10 Depth=1
	s_delay_alu instid0(SALU_CYCLE_1)
	s_or_b32 exec_lo, exec_lo, s11
	v_dual_mov_b32 v55, 0 :: v_dual_mov_b32 v29, 0
	s_mov_b32 s11, exec_lo
	v_cmpx_lt_u64_e64 s[2:3], v[4:5]
	s_cbranch_execz .LBB300_74
; %bb.67:                               ;   in Loop: Header=BB300_10 Depth=1
	v_lshrrev_b32_e32 v14, 24, v5
	v_bfrev_b32_e32 v29, 1
	s_mov_b32 s16, exec_lo
	s_delay_alu instid0(VALU_DEP_2)
	v_cmpx_ne_u32_e32 0x80, v14
	s_cbranch_execz .LBB300_73
; %bb.68:                               ;   in Loop: Header=BB300_10 Depth=1
	v_and_b32_e32 v4, 0x7f, v14
	v_mov_b32_e32 v29, 0x7c010000
	s_mov_b32 s17, exec_lo
	s_delay_alu instid0(VALU_DEP_2)
	v_cmpx_ne_u32_e32 0x7f, v4
	s_cbranch_execz .LBB300_72
; %bb.69:                               ;   in Loop: Header=BB300_10 Depth=1
	v_dual_lshrrev_b32 v1, 3, v4 :: v_dual_bitop2_b32 v0, 7, v14 bitop3:0x40
	s_mov_b32 s18, exec_lo
	v_cmpx_gt_u32_e32 8, v4
; %bb.70:                               ;   in Loop: Header=BB300_10 Depth=1
	s_delay_alu instid0(VALU_DEP_2) | instskip(NEXT) | instid1(VALU_DEP_1)
	v_clz_i32_u32_e32 v0, v0
	v_min_u32_e32 v4, 32, v0
	s_delay_alu instid0(VALU_DEP_1) | instskip(NEXT) | instid1(VALU_DEP_1)
	v_subrev_nc_u32_e32 v0, 28, v4
	v_lshlrev_b64_e32 v[0:1], v0, v[14:15]
	v_sub_nc_u32_e32 v1, 29, v4
	s_delay_alu instid0(VALU_DEP_2)
	v_and_b32_e32 v0, 7, v0
; %bb.71:                               ;   in Loop: Header=BB300_10 Depth=1
	s_or_b32 exec_lo, exec_lo, s18
	s_delay_alu instid0(VALU_DEP_1) | instskip(NEXT) | instid1(VALU_DEP_3)
	v_dual_lshlrev_b32 v4, 8, v14 :: v_dual_lshlrev_b32 v0, 23, v0
	v_lshl_add_u32 v1, v1, 10, 0x2000
	s_delay_alu instid0(VALU_DEP_1) | instskip(NEXT) | instid1(VALU_DEP_1)
	v_and_or_b32 v1, 0x8000, v4, v1
	v_lshl_or_b32 v29, v1, 16, v0
.LBB300_72:                             ;   in Loop: Header=BB300_10 Depth=1
	s_or_b32 exec_lo, exec_lo, s17
.LBB300_73:                             ;   in Loop: Header=BB300_10 Depth=1
	s_delay_alu instid0(SALU_CYCLE_1)
	s_or_b32 exec_lo, exec_lo, s16
.LBB300_74:                             ;   in Loop: Header=BB300_10 Depth=1
	s_delay_alu instid0(SALU_CYCLE_1)
	s_or_b32 exec_lo, exec_lo, s11
	flat_load_b64 v[4:5], v[2:3] offset:8
	s_mov_b32 s11, exec_lo
	s_wait_loadcnt_dscnt 0x0
	v_and_b32_e32 v0, 0xff, v4
	s_wait_xcnt 0x0
	s_delay_alu instid0(VALU_DEP_1)
	v_cmpx_ne_u16_e32 0, v0
	s_cbranch_execz .LBB300_82
; %bb.75:                               ;   in Loop: Header=BB300_10 Depth=1
	v_mov_b32_e32 v55, 0x8000
	s_mov_b32 s16, exec_lo
	v_cmpx_ne_u16_e32 0x80, v0
	s_cbranch_execz .LBB300_81
; %bb.76:                               ;   in Loop: Header=BB300_10 Depth=1
	v_and_b32_e32 v6, 0x7f, v4
	v_mov_b32_e32 v55, 0x7c01
	s_mov_b32 s17, exec_lo
	s_delay_alu instid0(VALU_DEP_2)
	v_cmpx_ne_u32_e32 0x7f, v6
	s_cbranch_execz .LBB300_80
; %bb.77:                               ;   in Loop: Header=BB300_10 Depth=1
	v_dual_lshrrev_b32 v1, 3, v6 :: v_dual_bitop2_b32 v0, 7, v4 bitop3:0x40
	s_mov_b32 s18, exec_lo
	v_cmpx_gt_u32_e32 8, v6
; %bb.78:                               ;   in Loop: Header=BB300_10 Depth=1
	s_delay_alu instid0(VALU_DEP_2) | instskip(NEXT) | instid1(VALU_DEP_1)
	v_clz_i32_u32_e32 v0, v0
	v_min_u32_e32 v6, 32, v0
	s_delay_alu instid0(VALU_DEP_1) | instskip(NEXT) | instid1(VALU_DEP_1)
	v_subrev_nc_u32_e32 v0, 28, v6
	v_lshlrev_b64_e32 v[0:1], v0, v[4:5]
	s_delay_alu instid0(VALU_DEP_1)
	v_dual_sub_nc_u32 v1, 29, v6 :: v_dual_bitop2_b32 v0, 7, v0 bitop3:0x40
; %bb.79:                               ;   in Loop: Header=BB300_10 Depth=1
	s_or_b32 exec_lo, exec_lo, s18
	v_lshlrev_b32_e32 v6, 8, v4
	s_delay_alu instid0(VALU_DEP_2) | instskip(NEXT) | instid1(VALU_DEP_3)
	v_lshl_add_u32 v1, v1, 10, 0x2000
	v_lshlrev_b32_e32 v0, 7, v0
	s_delay_alu instid0(VALU_DEP_3) | instskip(NEXT) | instid1(VALU_DEP_3)
	v_and_b32_e32 v6, 0x8000, v6
	v_and_b32_e32 v1, 0xfc00, v1
	s_delay_alu instid0(VALU_DEP_1)
	v_or3_b32 v55, v6, v1, v0
.LBB300_80:                             ;   in Loop: Header=BB300_10 Depth=1
	s_or_b32 exec_lo, exec_lo, s17
.LBB300_81:                             ;   in Loop: Header=BB300_10 Depth=1
	s_delay_alu instid0(SALU_CYCLE_1)
	s_or_b32 exec_lo, exec_lo, s16
.LBB300_82:                             ;   in Loop: Header=BB300_10 Depth=1
	s_delay_alu instid0(SALU_CYCLE_1) | instskip(SKIP_3) | instid1(VALU_DEP_2)
	s_or_b32 exec_lo, exec_lo, s11
	v_lshrrev_b16 v14, 8, v4
	v_dual_mov_b32 v60, 0 :: v_dual_mov_b32 v65, 0
	s_mov_b32 s11, exec_lo
	v_cmpx_ne_u16_e32 0, v14
	s_cbranch_execz .LBB300_90
; %bb.83:                               ;   in Loop: Header=BB300_10 Depth=1
	v_bfrev_b32_e32 v65, 1
	s_mov_b32 s16, exec_lo
	v_cmpx_ne_u16_e32 0x80, v14
	s_cbranch_execz .LBB300_89
; %bb.84:                               ;   in Loop: Header=BB300_10 Depth=1
	v_and_b32_e32 v0, 0xffff, v14
	v_mov_b32_e32 v65, 0x7c010000
	s_mov_b32 s17, exec_lo
	s_delay_alu instid0(VALU_DEP_2) | instskip(NEXT) | instid1(VALU_DEP_1)
	v_and_b32_e32 v7, 0x7f, v0
	v_cmpx_ne_u32_e32 0x7f, v7
	s_cbranch_execz .LBB300_88
; %bb.85:                               ;   in Loop: Header=BB300_10 Depth=1
	v_dual_lshrrev_b32 v6, 3, v7 :: v_dual_bitop2_b32 v1, 7, v0 bitop3:0x40
	s_mov_b32 s18, exec_lo
	v_cmpx_gt_u32_e32 8, v7
; %bb.86:                               ;   in Loop: Header=BB300_10 Depth=1
	s_delay_alu instid0(VALU_DEP_2) | instskip(NEXT) | instid1(VALU_DEP_1)
	v_clz_i32_u32_e32 v1, v1
	v_min_u32_e32 v1, 32, v1
	s_delay_alu instid0(VALU_DEP_1) | instskip(NEXT) | instid1(VALU_DEP_1)
	v_subrev_nc_u32_e32 v6, 28, v1
	v_lshlrev_b64_e32 v[8:9], v6, v[14:15]
	s_delay_alu instid0(VALU_DEP_1)
	v_dual_sub_nc_u32 v6, 29, v1 :: v_dual_bitop2_b32 v1, 7, v8 bitop3:0x40
; %bb.87:                               ;   in Loop: Header=BB300_10 Depth=1
	s_or_b32 exec_lo, exec_lo, s18
	s_delay_alu instid0(VALU_DEP_1) | instskip(NEXT) | instid1(VALU_DEP_2)
	v_dual_lshlrev_b32 v0, 8, v0 :: v_dual_lshlrev_b32 v1, 23, v1
	v_lshl_add_u32 v6, v6, 10, 0x2000
	s_delay_alu instid0(VALU_DEP_1) | instskip(NEXT) | instid1(VALU_DEP_1)
	v_and_or_b32 v0, 0x8000, v0, v6
	v_lshl_or_b32 v65, v0, 16, v1
.LBB300_88:                             ;   in Loop: Header=BB300_10 Depth=1
	s_or_b32 exec_lo, exec_lo, s17
.LBB300_89:                             ;   in Loop: Header=BB300_10 Depth=1
	s_delay_alu instid0(SALU_CYCLE_1)
	s_or_b32 exec_lo, exec_lo, s16
.LBB300_90:                             ;   in Loop: Header=BB300_10 Depth=1
	s_delay_alu instid0(SALU_CYCLE_1) | instskip(SKIP_2) | instid1(VALU_DEP_1)
	s_or_b32 exec_lo, exec_lo, s11
	v_lshrrev_b32_e32 v8, 16, v4
	s_mov_b32 s11, exec_lo
	v_and_b32_e32 v0, 0xff, v8
	s_delay_alu instid0(VALU_DEP_1)
	v_cmpx_ne_u16_e32 0, v0
	s_cbranch_execz .LBB300_98
; %bb.91:                               ;   in Loop: Header=BB300_10 Depth=1
	v_mov_b32_e32 v60, 0x8000
	s_mov_b32 s16, exec_lo
	v_cmpx_ne_u16_e32 0x80, v0
	s_cbranch_execz .LBB300_97
; %bb.92:                               ;   in Loop: Header=BB300_10 Depth=1
	v_bfe_u32 v6, v4, 16, 7
	v_mov_b32_e32 v60, 0x7c01
	s_mov_b32 s17, exec_lo
	s_delay_alu instid0(VALU_DEP_2)
	v_cmpx_ne_u32_e32 0x7f, v6
	s_cbranch_execz .LBB300_96
; %bb.93:                               ;   in Loop: Header=BB300_10 Depth=1
	v_dual_lshrrev_b32 v1, 3, v6 :: v_dual_bitop2_b32 v0, 7, v8 bitop3:0x40
	s_mov_b32 s18, exec_lo
	v_cmpx_gt_u32_e32 8, v6
; %bb.94:                               ;   in Loop: Header=BB300_10 Depth=1
	s_delay_alu instid0(VALU_DEP_2) | instskip(NEXT) | instid1(VALU_DEP_1)
	v_clz_i32_u32_e32 v0, v0
	v_min_u32_e32 v6, 32, v0
	s_delay_alu instid0(VALU_DEP_1) | instskip(NEXT) | instid1(VALU_DEP_1)
	v_subrev_nc_u32_e32 v0, 28, v6
	v_lshlrev_b64_e32 v[0:1], v0, v[8:9]
	s_delay_alu instid0(VALU_DEP_1)
	v_dual_sub_nc_u32 v1, 29, v6 :: v_dual_bitop2_b32 v0, 7, v0 bitop3:0x40
; %bb.95:                               ;   in Loop: Header=BB300_10 Depth=1
	s_or_b32 exec_lo, exec_lo, s18
	v_lshlrev_b32_e32 v6, 8, v8
	s_delay_alu instid0(VALU_DEP_2) | instskip(NEXT) | instid1(VALU_DEP_3)
	v_lshl_add_u32 v1, v1, 10, 0x2000
	v_lshlrev_b32_e32 v0, 7, v0
	s_delay_alu instid0(VALU_DEP_3) | instskip(NEXT) | instid1(VALU_DEP_3)
	v_and_b32_e32 v6, 0x8000, v6
	v_and_b32_e32 v1, 0xfc00, v1
	s_delay_alu instid0(VALU_DEP_1)
	v_or3_b32 v60, v6, v1, v0
.LBB300_96:                             ;   in Loop: Header=BB300_10 Depth=1
	s_or_b32 exec_lo, exec_lo, s17
.LBB300_97:                             ;   in Loop: Header=BB300_10 Depth=1
	s_delay_alu instid0(SALU_CYCLE_1)
	s_or_b32 exec_lo, exec_lo, s16
.LBB300_98:                             ;   in Loop: Header=BB300_10 Depth=1
	s_delay_alu instid0(SALU_CYCLE_1)
	s_or_b32 exec_lo, exec_lo, s11
	v_dual_mov_b32 v105, 0 :: v_dual_mov_b32 v61, 0
	s_mov_b32 s11, exec_lo
	v_cmpx_lt_u32_e32 0xffffff, v4
	s_cbranch_execz .LBB300_106
; %bb.99:                               ;   in Loop: Header=BB300_10 Depth=1
	v_lshrrev_b32_e32 v14, 24, v4
	v_bfrev_b32_e32 v61, 1
	s_mov_b32 s16, exec_lo
	s_delay_alu instid0(VALU_DEP_2)
	v_cmpx_ne_u32_e32 0x80, v14
	s_cbranch_execz .LBB300_105
; %bb.100:                              ;   in Loop: Header=BB300_10 Depth=1
	v_and_b32_e32 v6, 0x7f, v14
	v_mov_b32_e32 v61, 0x7c010000
	s_mov_b32 s17, exec_lo
	s_delay_alu instid0(VALU_DEP_2)
	v_cmpx_ne_u32_e32 0x7f, v6
	s_cbranch_execz .LBB300_104
; %bb.101:                              ;   in Loop: Header=BB300_10 Depth=1
	v_and_b32_e32 v0, 7, v14
	v_lshrrev_b32_e32 v1, 3, v6
	s_mov_b32 s18, exec_lo
	v_cmpx_gt_u32_e32 8, v6
; %bb.102:                              ;   in Loop: Header=BB300_10 Depth=1
	s_delay_alu instid0(VALU_DEP_3) | instskip(NEXT) | instid1(VALU_DEP_1)
	v_clz_i32_u32_e32 v0, v0
	v_min_u32_e32 v6, 32, v0
	s_delay_alu instid0(VALU_DEP_1) | instskip(NEXT) | instid1(VALU_DEP_1)
	v_subrev_nc_u32_e32 v0, 28, v6
	v_lshlrev_b64_e32 v[0:1], v0, v[14:15]
	s_delay_alu instid0(VALU_DEP_1)
	v_dual_sub_nc_u32 v1, 29, v6 :: v_dual_bitop2_b32 v0, 7, v0 bitop3:0x40
; %bb.103:                              ;   in Loop: Header=BB300_10 Depth=1
	s_or_b32 exec_lo, exec_lo, s18
	s_delay_alu instid0(VALU_DEP_1) | instskip(NEXT) | instid1(VALU_DEP_2)
	v_dual_lshlrev_b32 v6, 8, v14 :: v_dual_lshlrev_b32 v0, 23, v0
	v_lshl_add_u32 v1, v1, 10, 0x2000
	s_delay_alu instid0(VALU_DEP_1) | instskip(NEXT) | instid1(VALU_DEP_1)
	v_and_or_b32 v1, 0x8000, v6, v1
	v_lshl_or_b32 v61, v1, 16, v0
.LBB300_104:                            ;   in Loop: Header=BB300_10 Depth=1
	s_or_b32 exec_lo, exec_lo, s17
.LBB300_105:                            ;   in Loop: Header=BB300_10 Depth=1
	s_delay_alu instid0(SALU_CYCLE_1)
	s_or_b32 exec_lo, exec_lo, s16
.LBB300_106:                            ;   in Loop: Header=BB300_10 Depth=1
	s_delay_alu instid0(SALU_CYCLE_1) | instskip(SKIP_3) | instid1(VALU_DEP_2)
	s_or_b32 exec_lo, exec_lo, s11
	v_and_b32_e32 v0, 0xff, v5
	v_mov_b32_e32 v14, v5
	s_mov_b32 s11, exec_lo
	v_cmpx_ne_u16_e32 0, v0
	s_cbranch_execz .LBB300_114
; %bb.107:                              ;   in Loop: Header=BB300_10 Depth=1
	v_mov_b32_e32 v105, 0x8000
	s_mov_b32 s16, exec_lo
	v_cmpx_ne_u16_e32 0x80, v0
	s_cbranch_execz .LBB300_113
; %bb.108:                              ;   in Loop: Header=BB300_10 Depth=1
	v_and_b32_e32 v6, 0x7f, v5
	v_mov_b32_e32 v105, 0x7c01
	s_mov_b32 s17, exec_lo
	s_delay_alu instid0(VALU_DEP_2)
	v_cmpx_ne_u32_e32 0x7f, v6
	s_cbranch_execz .LBB300_112
; %bb.109:                              ;   in Loop: Header=BB300_10 Depth=1
	v_dual_lshrrev_b32 v1, 3, v6 :: v_dual_bitop2_b32 v0, 7, v5 bitop3:0x40
	s_mov_b32 s18, exec_lo
	v_cmpx_gt_u32_e32 8, v6
; %bb.110:                              ;   in Loop: Header=BB300_10 Depth=1
	s_delay_alu instid0(VALU_DEP_2) | instskip(NEXT) | instid1(VALU_DEP_1)
	v_clz_i32_u32_e32 v0, v0
	v_min_u32_e32 v6, 32, v0
	s_delay_alu instid0(VALU_DEP_1) | instskip(NEXT) | instid1(VALU_DEP_1)
	v_subrev_nc_u32_e32 v0, 28, v6
	v_lshlrev_b64_e32 v[0:1], v0, v[14:15]
	s_delay_alu instid0(VALU_DEP_1)
	v_dual_sub_nc_u32 v1, 29, v6 :: v_dual_bitop2_b32 v0, 7, v0 bitop3:0x40
; %bb.111:                              ;   in Loop: Header=BB300_10 Depth=1
	s_or_b32 exec_lo, exec_lo, s18
	s_delay_alu instid0(VALU_DEP_1) | instskip(NEXT) | instid1(VALU_DEP_2)
	v_dual_lshlrev_b32 v6, 8, v5 :: v_dual_lshlrev_b32 v0, 7, v0
	v_lshl_add_u32 v1, v1, 10, 0x2000
	s_delay_alu instid0(VALU_DEP_2) | instskip(NEXT) | instid1(VALU_DEP_2)
	v_and_b32_e32 v6, 0x8000, v6
	v_and_b32_e32 v1, 0xfc00, v1
	s_delay_alu instid0(VALU_DEP_1)
	v_or3_b32 v105, v6, v1, v0
.LBB300_112:                            ;   in Loop: Header=BB300_10 Depth=1
	s_or_b32 exec_lo, exec_lo, s17
.LBB300_113:                            ;   in Loop: Header=BB300_10 Depth=1
	s_delay_alu instid0(SALU_CYCLE_1)
	s_or_b32 exec_lo, exec_lo, s16
.LBB300_114:                            ;   in Loop: Header=BB300_10 Depth=1
	s_delay_alu instid0(SALU_CYCLE_1) | instskip(SKIP_3) | instid1(VALU_DEP_2)
	s_or_b32 exec_lo, exec_lo, s11
	v_lshrrev_b16 v14, 8, v14
	v_dual_mov_b32 v120, 0 :: v_dual_mov_b32 v64, 0
	s_mov_b32 s11, exec_lo
	v_cmpx_ne_u16_e32 0, v14
	s_cbranch_execz .LBB300_122
; %bb.115:                              ;   in Loop: Header=BB300_10 Depth=1
	v_bfrev_b32_e32 v64, 1
	s_mov_b32 s16, exec_lo
	v_cmpx_ne_u16_e32 0x80, v14
	s_cbranch_execz .LBB300_121
; %bb.116:                              ;   in Loop: Header=BB300_10 Depth=1
	v_and_b32_e32 v0, 0xffff, v14
	v_mov_b32_e32 v64, 0x7c010000
	s_mov_b32 s17, exec_lo
	s_delay_alu instid0(VALU_DEP_2) | instskip(NEXT) | instid1(VALU_DEP_1)
	v_and_b32_e32 v7, 0x7f, v0
	v_cmpx_ne_u32_e32 0x7f, v7
	s_cbranch_execz .LBB300_120
; %bb.117:                              ;   in Loop: Header=BB300_10 Depth=1
	v_dual_lshrrev_b32 v6, 3, v7 :: v_dual_bitop2_b32 v1, 7, v0 bitop3:0x40
	s_mov_b32 s18, exec_lo
	v_cmpx_gt_u32_e32 8, v7
; %bb.118:                              ;   in Loop: Header=BB300_10 Depth=1
	s_delay_alu instid0(VALU_DEP_2) | instskip(NEXT) | instid1(VALU_DEP_1)
	v_clz_i32_u32_e32 v1, v1
	v_min_u32_e32 v1, 32, v1
	s_delay_alu instid0(VALU_DEP_1) | instskip(NEXT) | instid1(VALU_DEP_1)
	v_subrev_nc_u32_e32 v6, 28, v1
	v_lshlrev_b64_e32 v[8:9], v6, v[14:15]
	s_delay_alu instid0(VALU_DEP_1)
	v_dual_sub_nc_u32 v6, 29, v1 :: v_dual_bitop2_b32 v1, 7, v8 bitop3:0x40
; %bb.119:                              ;   in Loop: Header=BB300_10 Depth=1
	s_or_b32 exec_lo, exec_lo, s18
	s_delay_alu instid0(VALU_DEP_1) | instskip(NEXT) | instid1(VALU_DEP_2)
	v_dual_lshlrev_b32 v0, 8, v0 :: v_dual_lshlrev_b32 v1, 23, v1
	v_lshl_add_u32 v6, v6, 10, 0x2000
	s_delay_alu instid0(VALU_DEP_1) | instskip(NEXT) | instid1(VALU_DEP_1)
	v_and_or_b32 v0, 0x8000, v0, v6
	v_lshl_or_b32 v64, v0, 16, v1
.LBB300_120:                            ;   in Loop: Header=BB300_10 Depth=1
	s_or_b32 exec_lo, exec_lo, s17
.LBB300_121:                            ;   in Loop: Header=BB300_10 Depth=1
	s_delay_alu instid0(SALU_CYCLE_1)
	s_or_b32 exec_lo, exec_lo, s16
.LBB300_122:                            ;   in Loop: Header=BB300_10 Depth=1
	s_delay_alu instid0(SALU_CYCLE_1) | instskip(SKIP_2) | instid1(VALU_DEP_1)
	s_or_b32 exec_lo, exec_lo, s11
	v_lshrrev_b32_e32 v8, 16, v5
	s_mov_b32 s11, exec_lo
	v_and_b32_e32 v0, 0xff, v8
	s_delay_alu instid0(VALU_DEP_1)
	v_cmpx_ne_u16_e32 0, v0
	s_cbranch_execz .LBB300_130
; %bb.123:                              ;   in Loop: Header=BB300_10 Depth=1
	v_mov_b32_e32 v120, 0x8000
	s_mov_b32 s16, exec_lo
	v_cmpx_ne_u16_e32 0x80, v0
	s_cbranch_execz .LBB300_129
; %bb.124:                              ;   in Loop: Header=BB300_10 Depth=1
	v_bfe_u32 v6, v5, 16, 7
	v_mov_b32_e32 v120, 0x7c01
	s_mov_b32 s17, exec_lo
	s_delay_alu instid0(VALU_DEP_2)
	v_cmpx_ne_u32_e32 0x7f, v6
	s_cbranch_execz .LBB300_128
; %bb.125:                              ;   in Loop: Header=BB300_10 Depth=1
	v_dual_lshrrev_b32 v1, 3, v6 :: v_dual_bitop2_b32 v0, 7, v8 bitop3:0x40
	s_mov_b32 s18, exec_lo
	v_cmpx_gt_u32_e32 8, v6
; %bb.126:                              ;   in Loop: Header=BB300_10 Depth=1
	s_delay_alu instid0(VALU_DEP_2) | instskip(NEXT) | instid1(VALU_DEP_1)
	v_clz_i32_u32_e32 v0, v0
	v_min_u32_e32 v6, 32, v0
	s_delay_alu instid0(VALU_DEP_1) | instskip(NEXT) | instid1(VALU_DEP_1)
	v_subrev_nc_u32_e32 v0, 28, v6
	v_lshlrev_b64_e32 v[0:1], v0, v[8:9]
	s_delay_alu instid0(VALU_DEP_1)
	v_dual_sub_nc_u32 v1, 29, v6 :: v_dual_bitop2_b32 v0, 7, v0 bitop3:0x40
; %bb.127:                              ;   in Loop: Header=BB300_10 Depth=1
	s_or_b32 exec_lo, exec_lo, s18
	v_lshlrev_b32_e32 v6, 8, v8
	s_delay_alu instid0(VALU_DEP_2) | instskip(NEXT) | instid1(VALU_DEP_3)
	v_lshl_add_u32 v1, v1, 10, 0x2000
	v_lshlrev_b32_e32 v0, 7, v0
	s_delay_alu instid0(VALU_DEP_3) | instskip(NEXT) | instid1(VALU_DEP_3)
	v_and_b32_e32 v6, 0x8000, v6
	v_and_b32_e32 v1, 0xfc00, v1
	s_delay_alu instid0(VALU_DEP_1)
	v_or3_b32 v120, v6, v1, v0
.LBB300_128:                            ;   in Loop: Header=BB300_10 Depth=1
	s_or_b32 exec_lo, exec_lo, s17
.LBB300_129:                            ;   in Loop: Header=BB300_10 Depth=1
	s_delay_alu instid0(SALU_CYCLE_1)
	s_or_b32 exec_lo, exec_lo, s16
.LBB300_130:                            ;   in Loop: Header=BB300_10 Depth=1
	s_delay_alu instid0(SALU_CYCLE_1)
	s_or_b32 exec_lo, exec_lo, s11
	v_dual_mov_b32 v116, 0 :: v_dual_mov_b32 v117, 0
	s_mov_b32 s11, exec_lo
	v_cmpx_lt_u64_e64 s[2:3], v[4:5]
	s_cbranch_execz .LBB300_138
; %bb.131:                              ;   in Loop: Header=BB300_10 Depth=1
	v_lshrrev_b32_e32 v14, 24, v5
	v_bfrev_b32_e32 v117, 1
	s_mov_b32 s16, exec_lo
	s_delay_alu instid0(VALU_DEP_2)
	v_cmpx_ne_u32_e32 0x80, v14
	s_cbranch_execz .LBB300_137
; %bb.132:                              ;   in Loop: Header=BB300_10 Depth=1
	v_and_b32_e32 v4, 0x7f, v14
	v_mov_b32_e32 v117, 0x7c010000
	s_mov_b32 s17, exec_lo
	s_delay_alu instid0(VALU_DEP_2)
	v_cmpx_ne_u32_e32 0x7f, v4
	s_cbranch_execz .LBB300_136
; %bb.133:                              ;   in Loop: Header=BB300_10 Depth=1
	v_dual_lshrrev_b32 v1, 3, v4 :: v_dual_bitop2_b32 v0, 7, v14 bitop3:0x40
	s_mov_b32 s18, exec_lo
	v_cmpx_gt_u32_e32 8, v4
; %bb.134:                              ;   in Loop: Header=BB300_10 Depth=1
	s_delay_alu instid0(VALU_DEP_2) | instskip(NEXT) | instid1(VALU_DEP_1)
	v_clz_i32_u32_e32 v0, v0
	v_min_u32_e32 v4, 32, v0
	s_delay_alu instid0(VALU_DEP_1) | instskip(NEXT) | instid1(VALU_DEP_1)
	v_subrev_nc_u32_e32 v0, 28, v4
	v_lshlrev_b64_e32 v[0:1], v0, v[14:15]
	v_sub_nc_u32_e32 v1, 29, v4
	s_delay_alu instid0(VALU_DEP_2)
	v_and_b32_e32 v0, 7, v0
; %bb.135:                              ;   in Loop: Header=BB300_10 Depth=1
	s_or_b32 exec_lo, exec_lo, s18
	s_delay_alu instid0(VALU_DEP_1) | instskip(NEXT) | instid1(VALU_DEP_3)
	v_dual_lshlrev_b32 v4, 8, v14 :: v_dual_lshlrev_b32 v0, 23, v0
	v_lshl_add_u32 v1, v1, 10, 0x2000
	s_delay_alu instid0(VALU_DEP_1) | instskip(NEXT) | instid1(VALU_DEP_1)
	v_and_or_b32 v1, 0x8000, v4, v1
	v_lshl_or_b32 v117, v1, 16, v0
.LBB300_136:                            ;   in Loop: Header=BB300_10 Depth=1
	s_or_b32 exec_lo, exec_lo, s17
.LBB300_137:                            ;   in Loop: Header=BB300_10 Depth=1
	s_delay_alu instid0(SALU_CYCLE_1)
	s_or_b32 exec_lo, exec_lo, s16
.LBB300_138:                            ;   in Loop: Header=BB300_10 Depth=1
	s_delay_alu instid0(SALU_CYCLE_1)
	s_or_b32 exec_lo, exec_lo, s11
	flat_load_b64 v[4:5], v[2:3] offset:512
	s_mov_b32 s11, exec_lo
	s_wait_loadcnt_dscnt 0x0
	v_and_b32_e32 v0, 0xff, v4
	s_wait_xcnt 0x0
	s_delay_alu instid0(VALU_DEP_1)
	v_cmpx_ne_u16_e32 0, v0
	s_cbranch_execz .LBB300_146
; %bb.139:                              ;   in Loop: Header=BB300_10 Depth=1
	v_mov_b32_e32 v116, 0x8000
	s_mov_b32 s16, exec_lo
	v_cmpx_ne_u16_e32 0x80, v0
	s_cbranch_execz .LBB300_145
; %bb.140:                              ;   in Loop: Header=BB300_10 Depth=1
	v_and_b32_e32 v6, 0x7f, v4
	v_mov_b32_e32 v116, 0x7c01
	s_mov_b32 s17, exec_lo
	s_delay_alu instid0(VALU_DEP_2)
	v_cmpx_ne_u32_e32 0x7f, v6
	s_cbranch_execz .LBB300_144
; %bb.141:                              ;   in Loop: Header=BB300_10 Depth=1
	v_dual_lshrrev_b32 v1, 3, v6 :: v_dual_bitop2_b32 v0, 7, v4 bitop3:0x40
	s_mov_b32 s18, exec_lo
	v_cmpx_gt_u32_e32 8, v6
; %bb.142:                              ;   in Loop: Header=BB300_10 Depth=1
	s_delay_alu instid0(VALU_DEP_2) | instskip(NEXT) | instid1(VALU_DEP_1)
	v_clz_i32_u32_e32 v0, v0
	v_min_u32_e32 v6, 32, v0
	s_delay_alu instid0(VALU_DEP_1) | instskip(NEXT) | instid1(VALU_DEP_1)
	v_subrev_nc_u32_e32 v0, 28, v6
	v_lshlrev_b64_e32 v[0:1], v0, v[4:5]
	s_delay_alu instid0(VALU_DEP_1)
	v_dual_sub_nc_u32 v1, 29, v6 :: v_dual_bitop2_b32 v0, 7, v0 bitop3:0x40
; %bb.143:                              ;   in Loop: Header=BB300_10 Depth=1
	s_or_b32 exec_lo, exec_lo, s18
	v_lshlrev_b32_e32 v6, 8, v4
	s_delay_alu instid0(VALU_DEP_2) | instskip(NEXT) | instid1(VALU_DEP_3)
	v_lshl_add_u32 v1, v1, 10, 0x2000
	v_lshlrev_b32_e32 v0, 7, v0
	s_delay_alu instid0(VALU_DEP_3) | instskip(NEXT) | instid1(VALU_DEP_3)
	v_and_b32_e32 v6, 0x8000, v6
	v_and_b32_e32 v1, 0xfc00, v1
	s_delay_alu instid0(VALU_DEP_1)
	v_or3_b32 v116, v6, v1, v0
.LBB300_144:                            ;   in Loop: Header=BB300_10 Depth=1
	s_or_b32 exec_lo, exec_lo, s17
.LBB300_145:                            ;   in Loop: Header=BB300_10 Depth=1
	s_delay_alu instid0(SALU_CYCLE_1)
	s_or_b32 exec_lo, exec_lo, s16
.LBB300_146:                            ;   in Loop: Header=BB300_10 Depth=1
	s_delay_alu instid0(SALU_CYCLE_1) | instskip(SKIP_3) | instid1(VALU_DEP_2)
	s_or_b32 exec_lo, exec_lo, s11
	v_lshrrev_b16 v14, 8, v4
	v_dual_mov_b32 v53, 0 :: v_dual_mov_b32 v44, 0
	s_mov_b32 s11, exec_lo
	v_cmpx_ne_u16_e32 0, v14
	s_cbranch_execz .LBB300_154
; %bb.147:                              ;   in Loop: Header=BB300_10 Depth=1
	v_bfrev_b32_e32 v44, 1
	s_mov_b32 s16, exec_lo
	v_cmpx_ne_u16_e32 0x80, v14
	s_cbranch_execz .LBB300_153
; %bb.148:                              ;   in Loop: Header=BB300_10 Depth=1
	v_and_b32_e32 v0, 0xffff, v14
	v_mov_b32_e32 v44, 0x7c010000
	s_mov_b32 s17, exec_lo
	s_delay_alu instid0(VALU_DEP_2) | instskip(NEXT) | instid1(VALU_DEP_1)
	v_and_b32_e32 v7, 0x7f, v0
	v_cmpx_ne_u32_e32 0x7f, v7
	s_cbranch_execz .LBB300_152
; %bb.149:                              ;   in Loop: Header=BB300_10 Depth=1
	v_dual_lshrrev_b32 v6, 3, v7 :: v_dual_bitop2_b32 v1, 7, v0 bitop3:0x40
	s_mov_b32 s18, exec_lo
	v_cmpx_gt_u32_e32 8, v7
; %bb.150:                              ;   in Loop: Header=BB300_10 Depth=1
	s_delay_alu instid0(VALU_DEP_2) | instskip(NEXT) | instid1(VALU_DEP_1)
	v_clz_i32_u32_e32 v1, v1
	v_min_u32_e32 v1, 32, v1
	s_delay_alu instid0(VALU_DEP_1) | instskip(NEXT) | instid1(VALU_DEP_1)
	v_subrev_nc_u32_e32 v6, 28, v1
	v_lshlrev_b64_e32 v[8:9], v6, v[14:15]
	s_delay_alu instid0(VALU_DEP_1)
	v_dual_sub_nc_u32 v6, 29, v1 :: v_dual_bitop2_b32 v1, 7, v8 bitop3:0x40
; %bb.151:                              ;   in Loop: Header=BB300_10 Depth=1
	s_or_b32 exec_lo, exec_lo, s18
	s_delay_alu instid0(VALU_DEP_1) | instskip(NEXT) | instid1(VALU_DEP_2)
	v_dual_lshlrev_b32 v0, 8, v0 :: v_dual_lshlrev_b32 v1, 23, v1
	v_lshl_add_u32 v6, v6, 10, 0x2000
	s_delay_alu instid0(VALU_DEP_1) | instskip(NEXT) | instid1(VALU_DEP_1)
	v_and_or_b32 v0, 0x8000, v0, v6
	v_lshl_or_b32 v44, v0, 16, v1
.LBB300_152:                            ;   in Loop: Header=BB300_10 Depth=1
	s_or_b32 exec_lo, exec_lo, s17
.LBB300_153:                            ;   in Loop: Header=BB300_10 Depth=1
	s_delay_alu instid0(SALU_CYCLE_1)
	s_or_b32 exec_lo, exec_lo, s16
.LBB300_154:                            ;   in Loop: Header=BB300_10 Depth=1
	s_delay_alu instid0(SALU_CYCLE_1) | instskip(SKIP_2) | instid1(VALU_DEP_1)
	s_or_b32 exec_lo, exec_lo, s11
	v_lshrrev_b32_e32 v8, 16, v4
	s_mov_b32 s11, exec_lo
	v_and_b32_e32 v0, 0xff, v8
	s_delay_alu instid0(VALU_DEP_1)
	v_cmpx_ne_u16_e32 0, v0
	s_cbranch_execz .LBB300_162
; %bb.155:                              ;   in Loop: Header=BB300_10 Depth=1
	v_mov_b32_e32 v53, 0x8000
	s_mov_b32 s16, exec_lo
	v_cmpx_ne_u16_e32 0x80, v0
	s_cbranch_execz .LBB300_161
; %bb.156:                              ;   in Loop: Header=BB300_10 Depth=1
	v_bfe_u32 v6, v4, 16, 7
	v_mov_b32_e32 v53, 0x7c01
	s_mov_b32 s17, exec_lo
	s_delay_alu instid0(VALU_DEP_2)
	v_cmpx_ne_u32_e32 0x7f, v6
	s_cbranch_execz .LBB300_160
; %bb.157:                              ;   in Loop: Header=BB300_10 Depth=1
	v_dual_lshrrev_b32 v1, 3, v6 :: v_dual_bitop2_b32 v0, 7, v8 bitop3:0x40
	s_mov_b32 s18, exec_lo
	v_cmpx_gt_u32_e32 8, v6
; %bb.158:                              ;   in Loop: Header=BB300_10 Depth=1
	s_delay_alu instid0(VALU_DEP_2) | instskip(NEXT) | instid1(VALU_DEP_1)
	v_clz_i32_u32_e32 v0, v0
	v_min_u32_e32 v6, 32, v0
	s_delay_alu instid0(VALU_DEP_1) | instskip(NEXT) | instid1(VALU_DEP_1)
	v_subrev_nc_u32_e32 v0, 28, v6
	v_lshlrev_b64_e32 v[0:1], v0, v[8:9]
	s_delay_alu instid0(VALU_DEP_1)
	v_dual_sub_nc_u32 v1, 29, v6 :: v_dual_bitop2_b32 v0, 7, v0 bitop3:0x40
; %bb.159:                              ;   in Loop: Header=BB300_10 Depth=1
	s_or_b32 exec_lo, exec_lo, s18
	v_lshlrev_b32_e32 v6, 8, v8
	s_delay_alu instid0(VALU_DEP_2) | instskip(NEXT) | instid1(VALU_DEP_3)
	v_lshl_add_u32 v1, v1, 10, 0x2000
	v_lshlrev_b32_e32 v0, 7, v0
	s_delay_alu instid0(VALU_DEP_3) | instskip(NEXT) | instid1(VALU_DEP_3)
	v_and_b32_e32 v6, 0x8000, v6
	v_and_b32_e32 v1, 0xfc00, v1
	s_delay_alu instid0(VALU_DEP_1)
	v_or3_b32 v53, v6, v1, v0
.LBB300_160:                            ;   in Loop: Header=BB300_10 Depth=1
	s_or_b32 exec_lo, exec_lo, s17
.LBB300_161:                            ;   in Loop: Header=BB300_10 Depth=1
	s_delay_alu instid0(SALU_CYCLE_1)
	s_or_b32 exec_lo, exec_lo, s16
.LBB300_162:                            ;   in Loop: Header=BB300_10 Depth=1
	s_delay_alu instid0(SALU_CYCLE_1)
	s_or_b32 exec_lo, exec_lo, s11
	v_dual_mov_b32 v52, 0 :: v_dual_mov_b32 v103, 0
	s_mov_b32 s11, exec_lo
	v_cmpx_lt_u32_e32 0xffffff, v4
	s_cbranch_execz .LBB300_170
; %bb.163:                              ;   in Loop: Header=BB300_10 Depth=1
	v_lshrrev_b32_e32 v14, 24, v4
	v_bfrev_b32_e32 v103, 1
	s_mov_b32 s16, exec_lo
	s_delay_alu instid0(VALU_DEP_2)
	v_cmpx_ne_u32_e32 0x80, v14
	s_cbranch_execz .LBB300_169
; %bb.164:                              ;   in Loop: Header=BB300_10 Depth=1
	v_and_b32_e32 v6, 0x7f, v14
	v_mov_b32_e32 v103, 0x7c010000
	s_mov_b32 s17, exec_lo
	s_delay_alu instid0(VALU_DEP_2)
	v_cmpx_ne_u32_e32 0x7f, v6
	s_cbranch_execz .LBB300_168
; %bb.165:                              ;   in Loop: Header=BB300_10 Depth=1
	v_and_b32_e32 v0, 7, v14
	v_lshrrev_b32_e32 v1, 3, v6
	s_mov_b32 s18, exec_lo
	v_cmpx_gt_u32_e32 8, v6
; %bb.166:                              ;   in Loop: Header=BB300_10 Depth=1
	s_delay_alu instid0(VALU_DEP_3) | instskip(NEXT) | instid1(VALU_DEP_1)
	v_clz_i32_u32_e32 v0, v0
	v_min_u32_e32 v6, 32, v0
	s_delay_alu instid0(VALU_DEP_1) | instskip(NEXT) | instid1(VALU_DEP_1)
	v_subrev_nc_u32_e32 v0, 28, v6
	v_lshlrev_b64_e32 v[0:1], v0, v[14:15]
	s_delay_alu instid0(VALU_DEP_1)
	v_dual_sub_nc_u32 v1, 29, v6 :: v_dual_bitop2_b32 v0, 7, v0 bitop3:0x40
; %bb.167:                              ;   in Loop: Header=BB300_10 Depth=1
	s_or_b32 exec_lo, exec_lo, s18
	s_delay_alu instid0(VALU_DEP_1) | instskip(NEXT) | instid1(VALU_DEP_2)
	v_dual_lshlrev_b32 v6, 8, v14 :: v_dual_lshlrev_b32 v0, 23, v0
	v_lshl_add_u32 v1, v1, 10, 0x2000
	s_delay_alu instid0(VALU_DEP_1) | instskip(NEXT) | instid1(VALU_DEP_1)
	v_and_or_b32 v1, 0x8000, v6, v1
	v_lshl_or_b32 v103, v1, 16, v0
.LBB300_168:                            ;   in Loop: Header=BB300_10 Depth=1
	s_or_b32 exec_lo, exec_lo, s17
.LBB300_169:                            ;   in Loop: Header=BB300_10 Depth=1
	s_delay_alu instid0(SALU_CYCLE_1)
	s_or_b32 exec_lo, exec_lo, s16
.LBB300_170:                            ;   in Loop: Header=BB300_10 Depth=1
	s_delay_alu instid0(SALU_CYCLE_1) | instskip(SKIP_3) | instid1(VALU_DEP_2)
	s_or_b32 exec_lo, exec_lo, s11
	v_and_b32_e32 v0, 0xff, v5
	v_mov_b32_e32 v14, v5
	s_mov_b32 s11, exec_lo
	v_cmpx_ne_u16_e32 0, v0
	s_cbranch_execz .LBB300_178
; %bb.171:                              ;   in Loop: Header=BB300_10 Depth=1
	v_mov_b32_e32 v52, 0x8000
	s_mov_b32 s16, exec_lo
	v_cmpx_ne_u16_e32 0x80, v0
	s_cbranch_execz .LBB300_177
; %bb.172:                              ;   in Loop: Header=BB300_10 Depth=1
	v_and_b32_e32 v6, 0x7f, v5
	v_mov_b32_e32 v52, 0x7c01
	s_mov_b32 s17, exec_lo
	s_delay_alu instid0(VALU_DEP_2)
	v_cmpx_ne_u32_e32 0x7f, v6
	s_cbranch_execz .LBB300_176
; %bb.173:                              ;   in Loop: Header=BB300_10 Depth=1
	v_dual_lshrrev_b32 v1, 3, v6 :: v_dual_bitop2_b32 v0, 7, v5 bitop3:0x40
	s_mov_b32 s18, exec_lo
	v_cmpx_gt_u32_e32 8, v6
; %bb.174:                              ;   in Loop: Header=BB300_10 Depth=1
	s_delay_alu instid0(VALU_DEP_2) | instskip(NEXT) | instid1(VALU_DEP_1)
	v_clz_i32_u32_e32 v0, v0
	v_min_u32_e32 v6, 32, v0
	s_delay_alu instid0(VALU_DEP_1) | instskip(NEXT) | instid1(VALU_DEP_1)
	v_subrev_nc_u32_e32 v0, 28, v6
	v_lshlrev_b64_e32 v[0:1], v0, v[14:15]
	s_delay_alu instid0(VALU_DEP_1)
	v_dual_sub_nc_u32 v1, 29, v6 :: v_dual_bitop2_b32 v0, 7, v0 bitop3:0x40
; %bb.175:                              ;   in Loop: Header=BB300_10 Depth=1
	s_or_b32 exec_lo, exec_lo, s18
	s_delay_alu instid0(VALU_DEP_1) | instskip(NEXT) | instid1(VALU_DEP_2)
	v_dual_lshlrev_b32 v6, 8, v5 :: v_dual_lshlrev_b32 v0, 7, v0
	v_lshl_add_u32 v1, v1, 10, 0x2000
	s_delay_alu instid0(VALU_DEP_2) | instskip(NEXT) | instid1(VALU_DEP_2)
	v_and_b32_e32 v6, 0x8000, v6
	v_and_b32_e32 v1, 0xfc00, v1
	s_delay_alu instid0(VALU_DEP_1)
	v_or3_b32 v52, v6, v1, v0
.LBB300_176:                            ;   in Loop: Header=BB300_10 Depth=1
	s_or_b32 exec_lo, exec_lo, s17
.LBB300_177:                            ;   in Loop: Header=BB300_10 Depth=1
	s_delay_alu instid0(SALU_CYCLE_1)
	s_or_b32 exec_lo, exec_lo, s16
.LBB300_178:                            ;   in Loop: Header=BB300_10 Depth=1
	s_delay_alu instid0(SALU_CYCLE_1) | instskip(SKIP_3) | instid1(VALU_DEP_2)
	s_or_b32 exec_lo, exec_lo, s11
	v_lshrrev_b16 v14, 8, v14
	v_dual_mov_b32 v101, 0 :: v_dual_mov_b32 v115, 0
	s_mov_b32 s11, exec_lo
	v_cmpx_ne_u16_e32 0, v14
	s_cbranch_execz .LBB300_186
; %bb.179:                              ;   in Loop: Header=BB300_10 Depth=1
	v_bfrev_b32_e32 v115, 1
	s_mov_b32 s16, exec_lo
	v_cmpx_ne_u16_e32 0x80, v14
	s_cbranch_execz .LBB300_185
; %bb.180:                              ;   in Loop: Header=BB300_10 Depth=1
	v_and_b32_e32 v0, 0xffff, v14
	v_mov_b32_e32 v115, 0x7c010000
	s_mov_b32 s17, exec_lo
	s_delay_alu instid0(VALU_DEP_2) | instskip(NEXT) | instid1(VALU_DEP_1)
	v_and_b32_e32 v7, 0x7f, v0
	v_cmpx_ne_u32_e32 0x7f, v7
	s_cbranch_execz .LBB300_184
; %bb.181:                              ;   in Loop: Header=BB300_10 Depth=1
	v_dual_lshrrev_b32 v6, 3, v7 :: v_dual_bitop2_b32 v1, 7, v0 bitop3:0x40
	s_mov_b32 s18, exec_lo
	v_cmpx_gt_u32_e32 8, v7
; %bb.182:                              ;   in Loop: Header=BB300_10 Depth=1
	s_delay_alu instid0(VALU_DEP_2) | instskip(NEXT) | instid1(VALU_DEP_1)
	v_clz_i32_u32_e32 v1, v1
	v_min_u32_e32 v1, 32, v1
	s_delay_alu instid0(VALU_DEP_1) | instskip(NEXT) | instid1(VALU_DEP_1)
	v_subrev_nc_u32_e32 v6, 28, v1
	v_lshlrev_b64_e32 v[8:9], v6, v[14:15]
	s_delay_alu instid0(VALU_DEP_1)
	v_dual_sub_nc_u32 v6, 29, v1 :: v_dual_bitop2_b32 v1, 7, v8 bitop3:0x40
; %bb.183:                              ;   in Loop: Header=BB300_10 Depth=1
	s_or_b32 exec_lo, exec_lo, s18
	s_delay_alu instid0(VALU_DEP_1) | instskip(NEXT) | instid1(VALU_DEP_2)
	v_dual_lshlrev_b32 v0, 8, v0 :: v_dual_lshlrev_b32 v1, 23, v1
	v_lshl_add_u32 v6, v6, 10, 0x2000
	s_delay_alu instid0(VALU_DEP_1) | instskip(NEXT) | instid1(VALU_DEP_1)
	v_and_or_b32 v0, 0x8000, v0, v6
	v_lshl_or_b32 v115, v0, 16, v1
.LBB300_184:                            ;   in Loop: Header=BB300_10 Depth=1
	s_or_b32 exec_lo, exec_lo, s17
.LBB300_185:                            ;   in Loop: Header=BB300_10 Depth=1
	s_delay_alu instid0(SALU_CYCLE_1)
	s_or_b32 exec_lo, exec_lo, s16
.LBB300_186:                            ;   in Loop: Header=BB300_10 Depth=1
	s_delay_alu instid0(SALU_CYCLE_1) | instskip(SKIP_2) | instid1(VALU_DEP_1)
	s_or_b32 exec_lo, exec_lo, s11
	v_lshrrev_b32_e32 v8, 16, v5
	s_mov_b32 s11, exec_lo
	v_and_b32_e32 v0, 0xff, v8
	s_delay_alu instid0(VALU_DEP_1)
	v_cmpx_ne_u16_e32 0, v0
	s_cbranch_execz .LBB300_194
; %bb.187:                              ;   in Loop: Header=BB300_10 Depth=1
	v_mov_b32_e32 v101, 0x8000
	s_mov_b32 s16, exec_lo
	v_cmpx_ne_u16_e32 0x80, v0
	s_cbranch_execz .LBB300_193
; %bb.188:                              ;   in Loop: Header=BB300_10 Depth=1
	v_bfe_u32 v6, v5, 16, 7
	v_mov_b32_e32 v101, 0x7c01
	s_mov_b32 s17, exec_lo
	s_delay_alu instid0(VALU_DEP_2)
	v_cmpx_ne_u32_e32 0x7f, v6
	s_cbranch_execz .LBB300_192
; %bb.189:                              ;   in Loop: Header=BB300_10 Depth=1
	v_dual_lshrrev_b32 v1, 3, v6 :: v_dual_bitop2_b32 v0, 7, v8 bitop3:0x40
	s_mov_b32 s18, exec_lo
	v_cmpx_gt_u32_e32 8, v6
; %bb.190:                              ;   in Loop: Header=BB300_10 Depth=1
	s_delay_alu instid0(VALU_DEP_2) | instskip(NEXT) | instid1(VALU_DEP_1)
	v_clz_i32_u32_e32 v0, v0
	v_min_u32_e32 v6, 32, v0
	s_delay_alu instid0(VALU_DEP_1) | instskip(NEXT) | instid1(VALU_DEP_1)
	v_subrev_nc_u32_e32 v0, 28, v6
	v_lshlrev_b64_e32 v[0:1], v0, v[8:9]
	s_delay_alu instid0(VALU_DEP_1)
	v_dual_sub_nc_u32 v1, 29, v6 :: v_dual_bitop2_b32 v0, 7, v0 bitop3:0x40
; %bb.191:                              ;   in Loop: Header=BB300_10 Depth=1
	s_or_b32 exec_lo, exec_lo, s18
	v_lshlrev_b32_e32 v6, 8, v8
	s_delay_alu instid0(VALU_DEP_2) | instskip(NEXT) | instid1(VALU_DEP_3)
	v_lshl_add_u32 v1, v1, 10, 0x2000
	v_lshlrev_b32_e32 v0, 7, v0
	s_delay_alu instid0(VALU_DEP_3) | instskip(NEXT) | instid1(VALU_DEP_3)
	v_and_b32_e32 v6, 0x8000, v6
	v_and_b32_e32 v1, 0xfc00, v1
	s_delay_alu instid0(VALU_DEP_1)
	v_or3_b32 v101, v6, v1, v0
.LBB300_192:                            ;   in Loop: Header=BB300_10 Depth=1
	s_or_b32 exec_lo, exec_lo, s17
.LBB300_193:                            ;   in Loop: Header=BB300_10 Depth=1
	s_delay_alu instid0(SALU_CYCLE_1)
	s_or_b32 exec_lo, exec_lo, s16
.LBB300_194:                            ;   in Loop: Header=BB300_10 Depth=1
	s_delay_alu instid0(SALU_CYCLE_1)
	s_or_b32 exec_lo, exec_lo, s11
	v_dual_mov_b32 v102, 0 :: v_dual_mov_b32 v36, 0
	s_mov_b32 s11, exec_lo
	v_cmpx_lt_u64_e64 s[2:3], v[4:5]
	s_cbranch_execz .LBB300_202
; %bb.195:                              ;   in Loop: Header=BB300_10 Depth=1
	v_lshrrev_b32_e32 v14, 24, v5
	v_bfrev_b32_e32 v36, 1
	s_mov_b32 s16, exec_lo
	s_delay_alu instid0(VALU_DEP_2)
	v_cmpx_ne_u32_e32 0x80, v14
	s_cbranch_execz .LBB300_201
; %bb.196:                              ;   in Loop: Header=BB300_10 Depth=1
	v_and_b32_e32 v4, 0x7f, v14
	v_mov_b32_e32 v36, 0x7c010000
	s_mov_b32 s17, exec_lo
	s_delay_alu instid0(VALU_DEP_2)
	v_cmpx_ne_u32_e32 0x7f, v4
	s_cbranch_execz .LBB300_200
; %bb.197:                              ;   in Loop: Header=BB300_10 Depth=1
	v_dual_lshrrev_b32 v1, 3, v4 :: v_dual_bitop2_b32 v0, 7, v14 bitop3:0x40
	s_mov_b32 s18, exec_lo
	v_cmpx_gt_u32_e32 8, v4
; %bb.198:                              ;   in Loop: Header=BB300_10 Depth=1
	s_delay_alu instid0(VALU_DEP_2) | instskip(NEXT) | instid1(VALU_DEP_1)
	v_clz_i32_u32_e32 v0, v0
	v_min_u32_e32 v4, 32, v0
	s_delay_alu instid0(VALU_DEP_1) | instskip(NEXT) | instid1(VALU_DEP_1)
	v_subrev_nc_u32_e32 v0, 28, v4
	v_lshlrev_b64_e32 v[0:1], v0, v[14:15]
	v_sub_nc_u32_e32 v1, 29, v4
	s_delay_alu instid0(VALU_DEP_2)
	v_and_b32_e32 v0, 7, v0
; %bb.199:                              ;   in Loop: Header=BB300_10 Depth=1
	s_or_b32 exec_lo, exec_lo, s18
	s_delay_alu instid0(VALU_DEP_1) | instskip(NEXT) | instid1(VALU_DEP_3)
	v_dual_lshlrev_b32 v4, 8, v14 :: v_dual_lshlrev_b32 v0, 23, v0
	v_lshl_add_u32 v1, v1, 10, 0x2000
	s_delay_alu instid0(VALU_DEP_1) | instskip(NEXT) | instid1(VALU_DEP_1)
	v_and_or_b32 v1, 0x8000, v4, v1
	v_lshl_or_b32 v36, v1, 16, v0
.LBB300_200:                            ;   in Loop: Header=BB300_10 Depth=1
	s_or_b32 exec_lo, exec_lo, s17
.LBB300_201:                            ;   in Loop: Header=BB300_10 Depth=1
	s_delay_alu instid0(SALU_CYCLE_1)
	s_or_b32 exec_lo, exec_lo, s16
.LBB300_202:                            ;   in Loop: Header=BB300_10 Depth=1
	s_delay_alu instid0(SALU_CYCLE_1)
	s_or_b32 exec_lo, exec_lo, s11
	flat_load_b64 v[4:5], v[2:3] offset:520
	s_mov_b32 s11, exec_lo
	s_wait_loadcnt_dscnt 0x0
	v_and_b32_e32 v0, 0xff, v4
	s_wait_xcnt 0x0
	s_delay_alu instid0(VALU_DEP_1)
	v_cmpx_ne_u16_e32 0, v0
	s_cbranch_execz .LBB300_210
; %bb.203:                              ;   in Loop: Header=BB300_10 Depth=1
	v_mov_b32_e32 v102, 0x8000
	s_mov_b32 s16, exec_lo
	v_cmpx_ne_u16_e32 0x80, v0
	s_cbranch_execz .LBB300_209
; %bb.204:                              ;   in Loop: Header=BB300_10 Depth=1
	v_and_b32_e32 v6, 0x7f, v4
	v_mov_b32_e32 v102, 0x7c01
	s_mov_b32 s17, exec_lo
	s_delay_alu instid0(VALU_DEP_2)
	v_cmpx_ne_u32_e32 0x7f, v6
	s_cbranch_execz .LBB300_208
; %bb.205:                              ;   in Loop: Header=BB300_10 Depth=1
	v_dual_lshrrev_b32 v1, 3, v6 :: v_dual_bitop2_b32 v0, 7, v4 bitop3:0x40
	s_mov_b32 s18, exec_lo
	v_cmpx_gt_u32_e32 8, v6
; %bb.206:                              ;   in Loop: Header=BB300_10 Depth=1
	s_delay_alu instid0(VALU_DEP_2) | instskip(NEXT) | instid1(VALU_DEP_1)
	v_clz_i32_u32_e32 v0, v0
	v_min_u32_e32 v6, 32, v0
	s_delay_alu instid0(VALU_DEP_1) | instskip(NEXT) | instid1(VALU_DEP_1)
	v_subrev_nc_u32_e32 v0, 28, v6
	v_lshlrev_b64_e32 v[0:1], v0, v[4:5]
	s_delay_alu instid0(VALU_DEP_1)
	v_dual_sub_nc_u32 v1, 29, v6 :: v_dual_bitop2_b32 v0, 7, v0 bitop3:0x40
; %bb.207:                              ;   in Loop: Header=BB300_10 Depth=1
	s_or_b32 exec_lo, exec_lo, s18
	v_lshlrev_b32_e32 v6, 8, v4
	s_delay_alu instid0(VALU_DEP_2) | instskip(NEXT) | instid1(VALU_DEP_3)
	v_lshl_add_u32 v1, v1, 10, 0x2000
	v_lshlrev_b32_e32 v0, 7, v0
	s_delay_alu instid0(VALU_DEP_3) | instskip(NEXT) | instid1(VALU_DEP_3)
	v_and_b32_e32 v6, 0x8000, v6
	v_and_b32_e32 v1, 0xfc00, v1
	s_delay_alu instid0(VALU_DEP_1)
	v_or3_b32 v102, v6, v1, v0
.LBB300_208:                            ;   in Loop: Header=BB300_10 Depth=1
	s_or_b32 exec_lo, exec_lo, s17
.LBB300_209:                            ;   in Loop: Header=BB300_10 Depth=1
	s_delay_alu instid0(SALU_CYCLE_1)
	s_or_b32 exec_lo, exec_lo, s16
.LBB300_210:                            ;   in Loop: Header=BB300_10 Depth=1
	s_delay_alu instid0(SALU_CYCLE_1) | instskip(SKIP_3) | instid1(VALU_DEP_2)
	s_or_b32 exec_lo, exec_lo, s11
	v_lshrrev_b16 v14, 8, v4
	v_dual_mov_b32 v125, 0 :: v_dual_mov_b32 v51, 0
	s_mov_b32 s11, exec_lo
	v_cmpx_ne_u16_e32 0, v14
	s_cbranch_execz .LBB300_218
; %bb.211:                              ;   in Loop: Header=BB300_10 Depth=1
	v_bfrev_b32_e32 v51, 1
	s_mov_b32 s16, exec_lo
	v_cmpx_ne_u16_e32 0x80, v14
	s_cbranch_execz .LBB300_217
; %bb.212:                              ;   in Loop: Header=BB300_10 Depth=1
	v_and_b32_e32 v0, 0xffff, v14
	v_mov_b32_e32 v51, 0x7c010000
	s_mov_b32 s17, exec_lo
	s_delay_alu instid0(VALU_DEP_2) | instskip(NEXT) | instid1(VALU_DEP_1)
	v_and_b32_e32 v7, 0x7f, v0
	v_cmpx_ne_u32_e32 0x7f, v7
	s_cbranch_execz .LBB300_216
; %bb.213:                              ;   in Loop: Header=BB300_10 Depth=1
	v_dual_lshrrev_b32 v6, 3, v7 :: v_dual_bitop2_b32 v1, 7, v0 bitop3:0x40
	s_mov_b32 s18, exec_lo
	v_cmpx_gt_u32_e32 8, v7
; %bb.214:                              ;   in Loop: Header=BB300_10 Depth=1
	s_delay_alu instid0(VALU_DEP_2) | instskip(NEXT) | instid1(VALU_DEP_1)
	v_clz_i32_u32_e32 v1, v1
	v_min_u32_e32 v1, 32, v1
	s_delay_alu instid0(VALU_DEP_1) | instskip(NEXT) | instid1(VALU_DEP_1)
	v_subrev_nc_u32_e32 v6, 28, v1
	v_lshlrev_b64_e32 v[8:9], v6, v[14:15]
	s_delay_alu instid0(VALU_DEP_1)
	v_dual_sub_nc_u32 v6, 29, v1 :: v_dual_bitop2_b32 v1, 7, v8 bitop3:0x40
; %bb.215:                              ;   in Loop: Header=BB300_10 Depth=1
	s_or_b32 exec_lo, exec_lo, s18
	s_delay_alu instid0(VALU_DEP_1) | instskip(NEXT) | instid1(VALU_DEP_2)
	v_dual_lshlrev_b32 v0, 8, v0 :: v_dual_lshlrev_b32 v1, 23, v1
	v_lshl_add_u32 v6, v6, 10, 0x2000
	s_delay_alu instid0(VALU_DEP_1) | instskip(NEXT) | instid1(VALU_DEP_1)
	v_and_or_b32 v0, 0x8000, v0, v6
	v_lshl_or_b32 v51, v0, 16, v1
.LBB300_216:                            ;   in Loop: Header=BB300_10 Depth=1
	s_or_b32 exec_lo, exec_lo, s17
.LBB300_217:                            ;   in Loop: Header=BB300_10 Depth=1
	s_delay_alu instid0(SALU_CYCLE_1)
	s_or_b32 exec_lo, exec_lo, s16
.LBB300_218:                            ;   in Loop: Header=BB300_10 Depth=1
	s_delay_alu instid0(SALU_CYCLE_1) | instskip(SKIP_2) | instid1(VALU_DEP_1)
	s_or_b32 exec_lo, exec_lo, s11
	v_lshrrev_b32_e32 v8, 16, v4
	s_mov_b32 s11, exec_lo
	v_and_b32_e32 v0, 0xff, v8
	s_delay_alu instid0(VALU_DEP_1)
	v_cmpx_ne_u16_e32 0, v0
	s_cbranch_execz .LBB300_226
; %bb.219:                              ;   in Loop: Header=BB300_10 Depth=1
	v_mov_b32_e32 v125, 0x8000
	s_mov_b32 s16, exec_lo
	v_cmpx_ne_u16_e32 0x80, v0
	s_cbranch_execz .LBB300_225
; %bb.220:                              ;   in Loop: Header=BB300_10 Depth=1
	v_bfe_u32 v6, v4, 16, 7
	v_mov_b32_e32 v125, 0x7c01
	s_mov_b32 s17, exec_lo
	s_delay_alu instid0(VALU_DEP_2)
	v_cmpx_ne_u32_e32 0x7f, v6
	s_cbranch_execz .LBB300_224
; %bb.221:                              ;   in Loop: Header=BB300_10 Depth=1
	v_dual_lshrrev_b32 v1, 3, v6 :: v_dual_bitop2_b32 v0, 7, v8 bitop3:0x40
	s_mov_b32 s18, exec_lo
	v_cmpx_gt_u32_e32 8, v6
; %bb.222:                              ;   in Loop: Header=BB300_10 Depth=1
	s_delay_alu instid0(VALU_DEP_2) | instskip(NEXT) | instid1(VALU_DEP_1)
	v_clz_i32_u32_e32 v0, v0
	v_min_u32_e32 v6, 32, v0
	s_delay_alu instid0(VALU_DEP_1) | instskip(NEXT) | instid1(VALU_DEP_1)
	v_subrev_nc_u32_e32 v0, 28, v6
	v_lshlrev_b64_e32 v[0:1], v0, v[8:9]
	s_delay_alu instid0(VALU_DEP_1)
	v_dual_sub_nc_u32 v1, 29, v6 :: v_dual_bitop2_b32 v0, 7, v0 bitop3:0x40
; %bb.223:                              ;   in Loop: Header=BB300_10 Depth=1
	s_or_b32 exec_lo, exec_lo, s18
	v_lshlrev_b32_e32 v6, 8, v8
	s_delay_alu instid0(VALU_DEP_2) | instskip(NEXT) | instid1(VALU_DEP_3)
	v_lshl_add_u32 v1, v1, 10, 0x2000
	v_lshlrev_b32_e32 v0, 7, v0
	s_delay_alu instid0(VALU_DEP_3) | instskip(NEXT) | instid1(VALU_DEP_3)
	v_and_b32_e32 v6, 0x8000, v6
	v_and_b32_e32 v1, 0xfc00, v1
	s_delay_alu instid0(VALU_DEP_1)
	v_or3_b32 v125, v6, v1, v0
.LBB300_224:                            ;   in Loop: Header=BB300_10 Depth=1
	s_or_b32 exec_lo, exec_lo, s17
.LBB300_225:                            ;   in Loop: Header=BB300_10 Depth=1
	s_delay_alu instid0(SALU_CYCLE_1)
	s_or_b32 exec_lo, exec_lo, s16
.LBB300_226:                            ;   in Loop: Header=BB300_10 Depth=1
	s_delay_alu instid0(SALU_CYCLE_1)
	s_or_b32 exec_lo, exec_lo, s11
	v_dual_mov_b32 v100, 0 :: v_dual_mov_b32 v114, 0
	s_mov_b32 s11, exec_lo
	v_cmpx_lt_u32_e32 0xffffff, v4
	s_cbranch_execz .LBB300_234
; %bb.227:                              ;   in Loop: Header=BB300_10 Depth=1
	v_lshrrev_b32_e32 v14, 24, v4
	v_bfrev_b32_e32 v114, 1
	s_mov_b32 s16, exec_lo
	s_delay_alu instid0(VALU_DEP_2)
	v_cmpx_ne_u32_e32 0x80, v14
	s_cbranch_execz .LBB300_233
; %bb.228:                              ;   in Loop: Header=BB300_10 Depth=1
	v_and_b32_e32 v6, 0x7f, v14
	v_mov_b32_e32 v114, 0x7c010000
	s_mov_b32 s17, exec_lo
	s_delay_alu instid0(VALU_DEP_2)
	v_cmpx_ne_u32_e32 0x7f, v6
	s_cbranch_execz .LBB300_232
; %bb.229:                              ;   in Loop: Header=BB300_10 Depth=1
	v_and_b32_e32 v0, 7, v14
	v_lshrrev_b32_e32 v1, 3, v6
	s_mov_b32 s18, exec_lo
	v_cmpx_gt_u32_e32 8, v6
; %bb.230:                              ;   in Loop: Header=BB300_10 Depth=1
	s_delay_alu instid0(VALU_DEP_3) | instskip(NEXT) | instid1(VALU_DEP_1)
	v_clz_i32_u32_e32 v0, v0
	v_min_u32_e32 v6, 32, v0
	s_delay_alu instid0(VALU_DEP_1) | instskip(NEXT) | instid1(VALU_DEP_1)
	v_subrev_nc_u32_e32 v0, 28, v6
	v_lshlrev_b64_e32 v[0:1], v0, v[14:15]
	s_delay_alu instid0(VALU_DEP_1)
	v_dual_sub_nc_u32 v1, 29, v6 :: v_dual_bitop2_b32 v0, 7, v0 bitop3:0x40
; %bb.231:                              ;   in Loop: Header=BB300_10 Depth=1
	s_or_b32 exec_lo, exec_lo, s18
	s_delay_alu instid0(VALU_DEP_1) | instskip(NEXT) | instid1(VALU_DEP_2)
	v_dual_lshlrev_b32 v6, 8, v14 :: v_dual_lshlrev_b32 v0, 23, v0
	v_lshl_add_u32 v1, v1, 10, 0x2000
	s_delay_alu instid0(VALU_DEP_1) | instskip(NEXT) | instid1(VALU_DEP_1)
	v_and_or_b32 v1, 0x8000, v6, v1
	v_lshl_or_b32 v114, v1, 16, v0
.LBB300_232:                            ;   in Loop: Header=BB300_10 Depth=1
	s_or_b32 exec_lo, exec_lo, s17
.LBB300_233:                            ;   in Loop: Header=BB300_10 Depth=1
	s_delay_alu instid0(SALU_CYCLE_1)
	s_or_b32 exec_lo, exec_lo, s16
.LBB300_234:                            ;   in Loop: Header=BB300_10 Depth=1
	s_delay_alu instid0(SALU_CYCLE_1) | instskip(SKIP_3) | instid1(VALU_DEP_2)
	s_or_b32 exec_lo, exec_lo, s11
	v_and_b32_e32 v0, 0xff, v5
	v_mov_b32_e32 v14, v5
	s_mov_b32 s11, exec_lo
	v_cmpx_ne_u16_e32 0, v0
	s_cbranch_execz .LBB300_242
; %bb.235:                              ;   in Loop: Header=BB300_10 Depth=1
	v_mov_b32_e32 v100, 0x8000
	s_mov_b32 s16, exec_lo
	v_cmpx_ne_u16_e32 0x80, v0
	s_cbranch_execz .LBB300_241
; %bb.236:                              ;   in Loop: Header=BB300_10 Depth=1
	v_and_b32_e32 v6, 0x7f, v5
	v_mov_b32_e32 v100, 0x7c01
	s_mov_b32 s17, exec_lo
	s_delay_alu instid0(VALU_DEP_2)
	v_cmpx_ne_u32_e32 0x7f, v6
	s_cbranch_execz .LBB300_240
; %bb.237:                              ;   in Loop: Header=BB300_10 Depth=1
	v_dual_lshrrev_b32 v1, 3, v6 :: v_dual_bitop2_b32 v0, 7, v5 bitop3:0x40
	s_mov_b32 s18, exec_lo
	v_cmpx_gt_u32_e32 8, v6
; %bb.238:                              ;   in Loop: Header=BB300_10 Depth=1
	s_delay_alu instid0(VALU_DEP_2) | instskip(NEXT) | instid1(VALU_DEP_1)
	v_clz_i32_u32_e32 v0, v0
	v_min_u32_e32 v6, 32, v0
	s_delay_alu instid0(VALU_DEP_1) | instskip(NEXT) | instid1(VALU_DEP_1)
	v_subrev_nc_u32_e32 v0, 28, v6
	v_lshlrev_b64_e32 v[0:1], v0, v[14:15]
	s_delay_alu instid0(VALU_DEP_1)
	v_dual_sub_nc_u32 v1, 29, v6 :: v_dual_bitop2_b32 v0, 7, v0 bitop3:0x40
; %bb.239:                              ;   in Loop: Header=BB300_10 Depth=1
	s_or_b32 exec_lo, exec_lo, s18
	s_delay_alu instid0(VALU_DEP_1) | instskip(NEXT) | instid1(VALU_DEP_2)
	v_dual_lshlrev_b32 v6, 8, v5 :: v_dual_lshlrev_b32 v0, 7, v0
	v_lshl_add_u32 v1, v1, 10, 0x2000
	s_delay_alu instid0(VALU_DEP_2) | instskip(NEXT) | instid1(VALU_DEP_2)
	v_and_b32_e32 v6, 0x8000, v6
	v_and_b32_e32 v1, 0xfc00, v1
	s_delay_alu instid0(VALU_DEP_1)
	v_or3_b32 v100, v6, v1, v0
.LBB300_240:                            ;   in Loop: Header=BB300_10 Depth=1
	s_or_b32 exec_lo, exec_lo, s17
.LBB300_241:                            ;   in Loop: Header=BB300_10 Depth=1
	s_delay_alu instid0(SALU_CYCLE_1)
	s_or_b32 exec_lo, exec_lo, s16
.LBB300_242:                            ;   in Loop: Header=BB300_10 Depth=1
	s_delay_alu instid0(SALU_CYCLE_1) | instskip(SKIP_3) | instid1(VALU_DEP_2)
	s_or_b32 exec_lo, exec_lo, s11
	v_lshrrev_b16 v14, 8, v14
	v_dual_mov_b32 v70, 0 :: v_dual_mov_b32 v45, 0
	s_mov_b32 s11, exec_lo
	v_cmpx_ne_u16_e32 0, v14
	s_cbranch_execz .LBB300_250
; %bb.243:                              ;   in Loop: Header=BB300_10 Depth=1
	v_bfrev_b32_e32 v45, 1
	s_mov_b32 s16, exec_lo
	v_cmpx_ne_u16_e32 0x80, v14
	s_cbranch_execz .LBB300_249
; %bb.244:                              ;   in Loop: Header=BB300_10 Depth=1
	v_and_b32_e32 v0, 0xffff, v14
	v_mov_b32_e32 v45, 0x7c010000
	s_mov_b32 s17, exec_lo
	s_delay_alu instid0(VALU_DEP_2) | instskip(NEXT) | instid1(VALU_DEP_1)
	v_and_b32_e32 v7, 0x7f, v0
	v_cmpx_ne_u32_e32 0x7f, v7
	s_cbranch_execz .LBB300_248
; %bb.245:                              ;   in Loop: Header=BB300_10 Depth=1
	v_dual_lshrrev_b32 v6, 3, v7 :: v_dual_bitop2_b32 v1, 7, v0 bitop3:0x40
	s_mov_b32 s18, exec_lo
	v_cmpx_gt_u32_e32 8, v7
; %bb.246:                              ;   in Loop: Header=BB300_10 Depth=1
	s_delay_alu instid0(VALU_DEP_2) | instskip(NEXT) | instid1(VALU_DEP_1)
	v_clz_i32_u32_e32 v1, v1
	v_min_u32_e32 v1, 32, v1
	s_delay_alu instid0(VALU_DEP_1) | instskip(NEXT) | instid1(VALU_DEP_1)
	v_subrev_nc_u32_e32 v6, 28, v1
	v_lshlrev_b64_e32 v[8:9], v6, v[14:15]
	s_delay_alu instid0(VALU_DEP_1)
	v_dual_sub_nc_u32 v6, 29, v1 :: v_dual_bitop2_b32 v1, 7, v8 bitop3:0x40
; %bb.247:                              ;   in Loop: Header=BB300_10 Depth=1
	s_or_b32 exec_lo, exec_lo, s18
	s_delay_alu instid0(VALU_DEP_1) | instskip(NEXT) | instid1(VALU_DEP_2)
	v_dual_lshlrev_b32 v0, 8, v0 :: v_dual_lshlrev_b32 v1, 23, v1
	v_lshl_add_u32 v6, v6, 10, 0x2000
	s_delay_alu instid0(VALU_DEP_1) | instskip(NEXT) | instid1(VALU_DEP_1)
	v_and_or_b32 v0, 0x8000, v0, v6
	v_lshl_or_b32 v45, v0, 16, v1
.LBB300_248:                            ;   in Loop: Header=BB300_10 Depth=1
	s_or_b32 exec_lo, exec_lo, s17
.LBB300_249:                            ;   in Loop: Header=BB300_10 Depth=1
	s_delay_alu instid0(SALU_CYCLE_1)
	s_or_b32 exec_lo, exec_lo, s16
.LBB300_250:                            ;   in Loop: Header=BB300_10 Depth=1
	s_delay_alu instid0(SALU_CYCLE_1) | instskip(SKIP_2) | instid1(VALU_DEP_1)
	s_or_b32 exec_lo, exec_lo, s11
	v_lshrrev_b32_e32 v8, 16, v5
	s_mov_b32 s11, exec_lo
	v_and_b32_e32 v0, 0xff, v8
	s_delay_alu instid0(VALU_DEP_1)
	v_cmpx_ne_u16_e32 0, v0
	s_cbranch_execz .LBB300_258
; %bb.251:                              ;   in Loop: Header=BB300_10 Depth=1
	v_mov_b32_e32 v70, 0x8000
	s_mov_b32 s16, exec_lo
	v_cmpx_ne_u16_e32 0x80, v0
	s_cbranch_execz .LBB300_257
; %bb.252:                              ;   in Loop: Header=BB300_10 Depth=1
	v_bfe_u32 v6, v5, 16, 7
	v_mov_b32_e32 v70, 0x7c01
	s_mov_b32 s17, exec_lo
	s_delay_alu instid0(VALU_DEP_2)
	v_cmpx_ne_u32_e32 0x7f, v6
	s_cbranch_execz .LBB300_256
; %bb.253:                              ;   in Loop: Header=BB300_10 Depth=1
	v_dual_lshrrev_b32 v1, 3, v6 :: v_dual_bitop2_b32 v0, 7, v8 bitop3:0x40
	s_mov_b32 s18, exec_lo
	v_cmpx_gt_u32_e32 8, v6
; %bb.254:                              ;   in Loop: Header=BB300_10 Depth=1
	s_delay_alu instid0(VALU_DEP_2) | instskip(NEXT) | instid1(VALU_DEP_1)
	v_clz_i32_u32_e32 v0, v0
	v_min_u32_e32 v6, 32, v0
	s_delay_alu instid0(VALU_DEP_1) | instskip(NEXT) | instid1(VALU_DEP_1)
	v_subrev_nc_u32_e32 v0, 28, v6
	v_lshlrev_b64_e32 v[0:1], v0, v[8:9]
	s_delay_alu instid0(VALU_DEP_1)
	v_dual_sub_nc_u32 v1, 29, v6 :: v_dual_bitop2_b32 v0, 7, v0 bitop3:0x40
; %bb.255:                              ;   in Loop: Header=BB300_10 Depth=1
	s_or_b32 exec_lo, exec_lo, s18
	v_lshlrev_b32_e32 v6, 8, v8
	s_delay_alu instid0(VALU_DEP_2) | instskip(NEXT) | instid1(VALU_DEP_3)
	v_lshl_add_u32 v1, v1, 10, 0x2000
	v_lshlrev_b32_e32 v0, 7, v0
	s_delay_alu instid0(VALU_DEP_3) | instskip(NEXT) | instid1(VALU_DEP_3)
	v_and_b32_e32 v6, 0x8000, v6
	v_and_b32_e32 v1, 0xfc00, v1
	s_delay_alu instid0(VALU_DEP_1)
	v_or3_b32 v70, v6, v1, v0
.LBB300_256:                            ;   in Loop: Header=BB300_10 Depth=1
	s_or_b32 exec_lo, exec_lo, s17
.LBB300_257:                            ;   in Loop: Header=BB300_10 Depth=1
	s_delay_alu instid0(SALU_CYCLE_1)
	s_or_b32 exec_lo, exec_lo, s16
.LBB300_258:                            ;   in Loop: Header=BB300_10 Depth=1
	s_delay_alu instid0(SALU_CYCLE_1)
	s_or_b32 exec_lo, exec_lo, s11
	v_dual_mov_b32 v66, 0 :: v_dual_mov_b32 v46, 0
	s_mov_b32 s11, exec_lo
	v_cmpx_lt_u64_e64 s[2:3], v[4:5]
	s_cbranch_execz .LBB300_266
; %bb.259:                              ;   in Loop: Header=BB300_10 Depth=1
	v_lshrrev_b32_e32 v14, 24, v5
	v_bfrev_b32_e32 v46, 1
	s_mov_b32 s16, exec_lo
	s_delay_alu instid0(VALU_DEP_2)
	v_cmpx_ne_u32_e32 0x80, v14
	s_cbranch_execz .LBB300_265
; %bb.260:                              ;   in Loop: Header=BB300_10 Depth=1
	v_and_b32_e32 v4, 0x7f, v14
	v_mov_b32_e32 v46, 0x7c010000
	s_mov_b32 s17, exec_lo
	s_delay_alu instid0(VALU_DEP_2)
	v_cmpx_ne_u32_e32 0x7f, v4
	s_cbranch_execz .LBB300_264
; %bb.261:                              ;   in Loop: Header=BB300_10 Depth=1
	v_dual_lshrrev_b32 v1, 3, v4 :: v_dual_bitop2_b32 v0, 7, v14 bitop3:0x40
	s_mov_b32 s18, exec_lo
	v_cmpx_gt_u32_e32 8, v4
; %bb.262:                              ;   in Loop: Header=BB300_10 Depth=1
	s_delay_alu instid0(VALU_DEP_2) | instskip(NEXT) | instid1(VALU_DEP_1)
	v_clz_i32_u32_e32 v0, v0
	v_min_u32_e32 v4, 32, v0
	s_delay_alu instid0(VALU_DEP_1) | instskip(NEXT) | instid1(VALU_DEP_1)
	v_subrev_nc_u32_e32 v0, 28, v4
	v_lshlrev_b64_e32 v[0:1], v0, v[14:15]
	v_sub_nc_u32_e32 v1, 29, v4
	s_delay_alu instid0(VALU_DEP_2)
	v_and_b32_e32 v0, 7, v0
; %bb.263:                              ;   in Loop: Header=BB300_10 Depth=1
	s_or_b32 exec_lo, exec_lo, s18
	s_delay_alu instid0(VALU_DEP_1) | instskip(NEXT) | instid1(VALU_DEP_3)
	v_dual_lshlrev_b32 v4, 8, v14 :: v_dual_lshlrev_b32 v0, 23, v0
	v_lshl_add_u32 v1, v1, 10, 0x2000
	s_delay_alu instid0(VALU_DEP_1) | instskip(NEXT) | instid1(VALU_DEP_1)
	v_and_or_b32 v1, 0x8000, v4, v1
	v_lshl_or_b32 v46, v1, 16, v0
.LBB300_264:                            ;   in Loop: Header=BB300_10 Depth=1
	s_or_b32 exec_lo, exec_lo, s17
.LBB300_265:                            ;   in Loop: Header=BB300_10 Depth=1
	s_delay_alu instid0(SALU_CYCLE_1)
	s_or_b32 exec_lo, exec_lo, s16
.LBB300_266:                            ;   in Loop: Header=BB300_10 Depth=1
	s_delay_alu instid0(SALU_CYCLE_1)
	s_or_b32 exec_lo, exec_lo, s11
	flat_load_b64 v[4:5], v[2:3] offset:1024
	s_mov_b32 s11, exec_lo
	s_wait_loadcnt_dscnt 0x0
	v_and_b32_e32 v0, 0xff, v4
	s_wait_xcnt 0x0
	s_delay_alu instid0(VALU_DEP_1)
	v_cmpx_ne_u16_e32 0, v0
	s_cbranch_execz .LBB300_274
; %bb.267:                              ;   in Loop: Header=BB300_10 Depth=1
	v_mov_b32_e32 v66, 0x8000
	s_mov_b32 s16, exec_lo
	v_cmpx_ne_u16_e32 0x80, v0
	s_cbranch_execz .LBB300_273
; %bb.268:                              ;   in Loop: Header=BB300_10 Depth=1
	v_and_b32_e32 v6, 0x7f, v4
	v_mov_b32_e32 v66, 0x7c01
	s_mov_b32 s17, exec_lo
	s_delay_alu instid0(VALU_DEP_2)
	v_cmpx_ne_u32_e32 0x7f, v6
	s_cbranch_execz .LBB300_272
; %bb.269:                              ;   in Loop: Header=BB300_10 Depth=1
	v_dual_lshrrev_b32 v1, 3, v6 :: v_dual_bitop2_b32 v0, 7, v4 bitop3:0x40
	s_mov_b32 s18, exec_lo
	v_cmpx_gt_u32_e32 8, v6
; %bb.270:                              ;   in Loop: Header=BB300_10 Depth=1
	s_delay_alu instid0(VALU_DEP_2) | instskip(NEXT) | instid1(VALU_DEP_1)
	v_clz_i32_u32_e32 v0, v0
	v_min_u32_e32 v6, 32, v0
	s_delay_alu instid0(VALU_DEP_1) | instskip(NEXT) | instid1(VALU_DEP_1)
	v_subrev_nc_u32_e32 v0, 28, v6
	v_lshlrev_b64_e32 v[0:1], v0, v[4:5]
	s_delay_alu instid0(VALU_DEP_1)
	v_dual_sub_nc_u32 v1, 29, v6 :: v_dual_bitop2_b32 v0, 7, v0 bitop3:0x40
; %bb.271:                              ;   in Loop: Header=BB300_10 Depth=1
	s_or_b32 exec_lo, exec_lo, s18
	v_lshlrev_b32_e32 v6, 8, v4
	s_delay_alu instid0(VALU_DEP_2) | instskip(NEXT) | instid1(VALU_DEP_3)
	v_lshl_add_u32 v1, v1, 10, 0x2000
	v_lshlrev_b32_e32 v0, 7, v0
	s_delay_alu instid0(VALU_DEP_3) | instskip(NEXT) | instid1(VALU_DEP_3)
	v_and_b32_e32 v6, 0x8000, v6
	v_and_b32_e32 v1, 0xfc00, v1
	s_delay_alu instid0(VALU_DEP_1)
	v_or3_b32 v66, v6, v1, v0
.LBB300_272:                            ;   in Loop: Header=BB300_10 Depth=1
	s_or_b32 exec_lo, exec_lo, s17
.LBB300_273:                            ;   in Loop: Header=BB300_10 Depth=1
	s_delay_alu instid0(SALU_CYCLE_1)
	s_or_b32 exec_lo, exec_lo, s16
.LBB300_274:                            ;   in Loop: Header=BB300_10 Depth=1
	s_delay_alu instid0(SALU_CYCLE_1) | instskip(SKIP_3) | instid1(VALU_DEP_2)
	s_or_b32 exec_lo, exec_lo, s11
	v_lshrrev_b16 v14, 8, v4
	v_dual_mov_b32 v69, 0 :: v_dual_mov_b32 v47, 0
	s_mov_b32 s11, exec_lo
	v_cmpx_ne_u16_e32 0, v14
	s_cbranch_execz .LBB300_282
; %bb.275:                              ;   in Loop: Header=BB300_10 Depth=1
	v_bfrev_b32_e32 v47, 1
	s_mov_b32 s16, exec_lo
	v_cmpx_ne_u16_e32 0x80, v14
	s_cbranch_execz .LBB300_281
; %bb.276:                              ;   in Loop: Header=BB300_10 Depth=1
	v_and_b32_e32 v0, 0xffff, v14
	v_mov_b32_e32 v47, 0x7c010000
	s_mov_b32 s17, exec_lo
	s_delay_alu instid0(VALU_DEP_2) | instskip(NEXT) | instid1(VALU_DEP_1)
	v_and_b32_e32 v7, 0x7f, v0
	v_cmpx_ne_u32_e32 0x7f, v7
	s_cbranch_execz .LBB300_280
; %bb.277:                              ;   in Loop: Header=BB300_10 Depth=1
	v_dual_lshrrev_b32 v6, 3, v7 :: v_dual_bitop2_b32 v1, 7, v0 bitop3:0x40
	s_mov_b32 s18, exec_lo
	v_cmpx_gt_u32_e32 8, v7
; %bb.278:                              ;   in Loop: Header=BB300_10 Depth=1
	s_delay_alu instid0(VALU_DEP_2) | instskip(NEXT) | instid1(VALU_DEP_1)
	v_clz_i32_u32_e32 v1, v1
	v_min_u32_e32 v1, 32, v1
	s_delay_alu instid0(VALU_DEP_1) | instskip(NEXT) | instid1(VALU_DEP_1)
	v_subrev_nc_u32_e32 v6, 28, v1
	v_lshlrev_b64_e32 v[8:9], v6, v[14:15]
	s_delay_alu instid0(VALU_DEP_1)
	v_dual_sub_nc_u32 v6, 29, v1 :: v_dual_bitop2_b32 v1, 7, v8 bitop3:0x40
; %bb.279:                              ;   in Loop: Header=BB300_10 Depth=1
	s_or_b32 exec_lo, exec_lo, s18
	s_delay_alu instid0(VALU_DEP_1) | instskip(NEXT) | instid1(VALU_DEP_2)
	v_dual_lshlrev_b32 v0, 8, v0 :: v_dual_lshlrev_b32 v1, 23, v1
	v_lshl_add_u32 v6, v6, 10, 0x2000
	s_delay_alu instid0(VALU_DEP_1) | instskip(NEXT) | instid1(VALU_DEP_1)
	v_and_or_b32 v0, 0x8000, v0, v6
	v_lshl_or_b32 v47, v0, 16, v1
.LBB300_280:                            ;   in Loop: Header=BB300_10 Depth=1
	s_or_b32 exec_lo, exec_lo, s17
.LBB300_281:                            ;   in Loop: Header=BB300_10 Depth=1
	s_delay_alu instid0(SALU_CYCLE_1)
	s_or_b32 exec_lo, exec_lo, s16
.LBB300_282:                            ;   in Loop: Header=BB300_10 Depth=1
	s_delay_alu instid0(SALU_CYCLE_1) | instskip(SKIP_2) | instid1(VALU_DEP_1)
	s_or_b32 exec_lo, exec_lo, s11
	v_lshrrev_b32_e32 v8, 16, v4
	s_mov_b32 s11, exec_lo
	v_and_b32_e32 v0, 0xff, v8
	s_delay_alu instid0(VALU_DEP_1)
	v_cmpx_ne_u16_e32 0, v0
	s_cbranch_execz .LBB300_290
; %bb.283:                              ;   in Loop: Header=BB300_10 Depth=1
	v_mov_b32_e32 v69, 0x8000
	s_mov_b32 s16, exec_lo
	v_cmpx_ne_u16_e32 0x80, v0
	s_cbranch_execz .LBB300_289
; %bb.284:                              ;   in Loop: Header=BB300_10 Depth=1
	v_bfe_u32 v6, v4, 16, 7
	v_mov_b32_e32 v69, 0x7c01
	s_mov_b32 s17, exec_lo
	s_delay_alu instid0(VALU_DEP_2)
	v_cmpx_ne_u32_e32 0x7f, v6
	s_cbranch_execz .LBB300_288
; %bb.285:                              ;   in Loop: Header=BB300_10 Depth=1
	v_dual_lshrrev_b32 v1, 3, v6 :: v_dual_bitop2_b32 v0, 7, v8 bitop3:0x40
	s_mov_b32 s18, exec_lo
	v_cmpx_gt_u32_e32 8, v6
; %bb.286:                              ;   in Loop: Header=BB300_10 Depth=1
	s_delay_alu instid0(VALU_DEP_2) | instskip(NEXT) | instid1(VALU_DEP_1)
	v_clz_i32_u32_e32 v0, v0
	v_min_u32_e32 v6, 32, v0
	s_delay_alu instid0(VALU_DEP_1) | instskip(NEXT) | instid1(VALU_DEP_1)
	v_subrev_nc_u32_e32 v0, 28, v6
	v_lshlrev_b64_e32 v[0:1], v0, v[8:9]
	s_delay_alu instid0(VALU_DEP_1)
	v_dual_sub_nc_u32 v1, 29, v6 :: v_dual_bitop2_b32 v0, 7, v0 bitop3:0x40
; %bb.287:                              ;   in Loop: Header=BB300_10 Depth=1
	s_or_b32 exec_lo, exec_lo, s18
	v_lshlrev_b32_e32 v6, 8, v8
	s_delay_alu instid0(VALU_DEP_2) | instskip(NEXT) | instid1(VALU_DEP_3)
	v_lshl_add_u32 v1, v1, 10, 0x2000
	v_lshlrev_b32_e32 v0, 7, v0
	s_delay_alu instid0(VALU_DEP_3) | instskip(NEXT) | instid1(VALU_DEP_3)
	v_and_b32_e32 v6, 0x8000, v6
	v_and_b32_e32 v1, 0xfc00, v1
	s_delay_alu instid0(VALU_DEP_1)
	v_or3_b32 v69, v6, v1, v0
.LBB300_288:                            ;   in Loop: Header=BB300_10 Depth=1
	s_or_b32 exec_lo, exec_lo, s17
.LBB300_289:                            ;   in Loop: Header=BB300_10 Depth=1
	s_delay_alu instid0(SALU_CYCLE_1)
	s_or_b32 exec_lo, exec_lo, s16
.LBB300_290:                            ;   in Loop: Header=BB300_10 Depth=1
	s_delay_alu instid0(SALU_CYCLE_1)
	s_or_b32 exec_lo, exec_lo, s11
	v_dual_mov_b32 v42, 0 :: v_dual_mov_b32 v98, 0
	s_mov_b32 s11, exec_lo
	v_cmpx_lt_u32_e32 0xffffff, v4
	s_cbranch_execz .LBB300_298
; %bb.291:                              ;   in Loop: Header=BB300_10 Depth=1
	v_lshrrev_b32_e32 v14, 24, v4
	v_bfrev_b32_e32 v98, 1
	s_mov_b32 s16, exec_lo
	s_delay_alu instid0(VALU_DEP_2)
	v_cmpx_ne_u32_e32 0x80, v14
	s_cbranch_execz .LBB300_297
; %bb.292:                              ;   in Loop: Header=BB300_10 Depth=1
	v_and_b32_e32 v6, 0x7f, v14
	v_mov_b32_e32 v98, 0x7c010000
	s_mov_b32 s17, exec_lo
	s_delay_alu instid0(VALU_DEP_2)
	v_cmpx_ne_u32_e32 0x7f, v6
	s_cbranch_execz .LBB300_296
; %bb.293:                              ;   in Loop: Header=BB300_10 Depth=1
	v_and_b32_e32 v0, 7, v14
	v_lshrrev_b32_e32 v1, 3, v6
	s_mov_b32 s18, exec_lo
	v_cmpx_gt_u32_e32 8, v6
; %bb.294:                              ;   in Loop: Header=BB300_10 Depth=1
	s_delay_alu instid0(VALU_DEP_3) | instskip(NEXT) | instid1(VALU_DEP_1)
	v_clz_i32_u32_e32 v0, v0
	v_min_u32_e32 v6, 32, v0
	s_delay_alu instid0(VALU_DEP_1) | instskip(NEXT) | instid1(VALU_DEP_1)
	v_subrev_nc_u32_e32 v0, 28, v6
	v_lshlrev_b64_e32 v[0:1], v0, v[14:15]
	s_delay_alu instid0(VALU_DEP_1)
	v_dual_sub_nc_u32 v1, 29, v6 :: v_dual_bitop2_b32 v0, 7, v0 bitop3:0x40
; %bb.295:                              ;   in Loop: Header=BB300_10 Depth=1
	s_or_b32 exec_lo, exec_lo, s18
	s_delay_alu instid0(VALU_DEP_1) | instskip(NEXT) | instid1(VALU_DEP_2)
	v_dual_lshlrev_b32 v6, 8, v14 :: v_dual_lshlrev_b32 v0, 23, v0
	v_lshl_add_u32 v1, v1, 10, 0x2000
	s_delay_alu instid0(VALU_DEP_1) | instskip(NEXT) | instid1(VALU_DEP_1)
	v_and_or_b32 v1, 0x8000, v6, v1
	v_lshl_or_b32 v98, v1, 16, v0
.LBB300_296:                            ;   in Loop: Header=BB300_10 Depth=1
	s_or_b32 exec_lo, exec_lo, s17
.LBB300_297:                            ;   in Loop: Header=BB300_10 Depth=1
	s_delay_alu instid0(SALU_CYCLE_1)
	s_or_b32 exec_lo, exec_lo, s16
.LBB300_298:                            ;   in Loop: Header=BB300_10 Depth=1
	s_delay_alu instid0(SALU_CYCLE_1) | instskip(SKIP_3) | instid1(VALU_DEP_2)
	s_or_b32 exec_lo, exec_lo, s11
	v_and_b32_e32 v0, 0xff, v5
	v_mov_b32_e32 v14, v5
	s_mov_b32 s11, exec_lo
	v_cmpx_ne_u16_e32 0, v0
	s_cbranch_execz .LBB300_306
; %bb.299:                              ;   in Loop: Header=BB300_10 Depth=1
	v_mov_b32_e32 v42, 0x8000
	s_mov_b32 s16, exec_lo
	v_cmpx_ne_u16_e32 0x80, v0
	s_cbranch_execz .LBB300_305
; %bb.300:                              ;   in Loop: Header=BB300_10 Depth=1
	v_and_b32_e32 v6, 0x7f, v5
	v_mov_b32_e32 v42, 0x7c01
	s_mov_b32 s17, exec_lo
	s_delay_alu instid0(VALU_DEP_2)
	v_cmpx_ne_u32_e32 0x7f, v6
	s_cbranch_execz .LBB300_304
; %bb.301:                              ;   in Loop: Header=BB300_10 Depth=1
	v_dual_lshrrev_b32 v1, 3, v6 :: v_dual_bitop2_b32 v0, 7, v5 bitop3:0x40
	s_mov_b32 s18, exec_lo
	v_cmpx_gt_u32_e32 8, v6
; %bb.302:                              ;   in Loop: Header=BB300_10 Depth=1
	s_delay_alu instid0(VALU_DEP_2) | instskip(NEXT) | instid1(VALU_DEP_1)
	v_clz_i32_u32_e32 v0, v0
	v_min_u32_e32 v6, 32, v0
	s_delay_alu instid0(VALU_DEP_1) | instskip(NEXT) | instid1(VALU_DEP_1)
	v_subrev_nc_u32_e32 v0, 28, v6
	v_lshlrev_b64_e32 v[0:1], v0, v[14:15]
	s_delay_alu instid0(VALU_DEP_1)
	v_dual_sub_nc_u32 v1, 29, v6 :: v_dual_bitop2_b32 v0, 7, v0 bitop3:0x40
; %bb.303:                              ;   in Loop: Header=BB300_10 Depth=1
	s_or_b32 exec_lo, exec_lo, s18
	s_delay_alu instid0(VALU_DEP_1) | instskip(NEXT) | instid1(VALU_DEP_2)
	v_dual_lshlrev_b32 v6, 8, v5 :: v_dual_lshlrev_b32 v0, 7, v0
	v_lshl_add_u32 v1, v1, 10, 0x2000
	s_delay_alu instid0(VALU_DEP_2) | instskip(NEXT) | instid1(VALU_DEP_2)
	v_and_b32_e32 v6, 0x8000, v6
	v_and_b32_e32 v1, 0xfc00, v1
	s_delay_alu instid0(VALU_DEP_1)
	v_or3_b32 v42, v6, v1, v0
.LBB300_304:                            ;   in Loop: Header=BB300_10 Depth=1
	s_or_b32 exec_lo, exec_lo, s17
.LBB300_305:                            ;   in Loop: Header=BB300_10 Depth=1
	s_delay_alu instid0(SALU_CYCLE_1)
	s_or_b32 exec_lo, exec_lo, s16
.LBB300_306:                            ;   in Loop: Header=BB300_10 Depth=1
	s_delay_alu instid0(SALU_CYCLE_1) | instskip(SKIP_3) | instid1(VALU_DEP_2)
	s_or_b32 exec_lo, exec_lo, s11
	v_lshrrev_b16 v14, 8, v14
	v_dual_mov_b32 v85, 0 :: v_dual_mov_b32 v96, 0
	s_mov_b32 s11, exec_lo
	v_cmpx_ne_u16_e32 0, v14
	s_cbranch_execz .LBB300_314
; %bb.307:                              ;   in Loop: Header=BB300_10 Depth=1
	v_bfrev_b32_e32 v96, 1
	s_mov_b32 s16, exec_lo
	v_cmpx_ne_u16_e32 0x80, v14
	s_cbranch_execz .LBB300_313
; %bb.308:                              ;   in Loop: Header=BB300_10 Depth=1
	v_and_b32_e32 v0, 0xffff, v14
	v_mov_b32_e32 v96, 0x7c010000
	s_mov_b32 s17, exec_lo
	s_delay_alu instid0(VALU_DEP_2) | instskip(NEXT) | instid1(VALU_DEP_1)
	v_and_b32_e32 v7, 0x7f, v0
	v_cmpx_ne_u32_e32 0x7f, v7
	s_cbranch_execz .LBB300_312
; %bb.309:                              ;   in Loop: Header=BB300_10 Depth=1
	v_dual_lshrrev_b32 v6, 3, v7 :: v_dual_bitop2_b32 v1, 7, v0 bitop3:0x40
	s_mov_b32 s18, exec_lo
	v_cmpx_gt_u32_e32 8, v7
; %bb.310:                              ;   in Loop: Header=BB300_10 Depth=1
	s_delay_alu instid0(VALU_DEP_2) | instskip(NEXT) | instid1(VALU_DEP_1)
	v_clz_i32_u32_e32 v1, v1
	v_min_u32_e32 v1, 32, v1
	s_delay_alu instid0(VALU_DEP_1) | instskip(NEXT) | instid1(VALU_DEP_1)
	v_subrev_nc_u32_e32 v6, 28, v1
	v_lshlrev_b64_e32 v[8:9], v6, v[14:15]
	s_delay_alu instid0(VALU_DEP_1)
	v_dual_sub_nc_u32 v6, 29, v1 :: v_dual_bitop2_b32 v1, 7, v8 bitop3:0x40
; %bb.311:                              ;   in Loop: Header=BB300_10 Depth=1
	s_or_b32 exec_lo, exec_lo, s18
	s_delay_alu instid0(VALU_DEP_1) | instskip(NEXT) | instid1(VALU_DEP_2)
	v_dual_lshlrev_b32 v0, 8, v0 :: v_dual_lshlrev_b32 v1, 23, v1
	v_lshl_add_u32 v6, v6, 10, 0x2000
	s_delay_alu instid0(VALU_DEP_1) | instskip(NEXT) | instid1(VALU_DEP_1)
	v_and_or_b32 v0, 0x8000, v0, v6
	v_lshl_or_b32 v96, v0, 16, v1
.LBB300_312:                            ;   in Loop: Header=BB300_10 Depth=1
	s_or_b32 exec_lo, exec_lo, s17
.LBB300_313:                            ;   in Loop: Header=BB300_10 Depth=1
	s_delay_alu instid0(SALU_CYCLE_1)
	s_or_b32 exec_lo, exec_lo, s16
.LBB300_314:                            ;   in Loop: Header=BB300_10 Depth=1
	s_delay_alu instid0(SALU_CYCLE_1) | instskip(SKIP_2) | instid1(VALU_DEP_1)
	s_or_b32 exec_lo, exec_lo, s11
	v_lshrrev_b32_e32 v8, 16, v5
	s_mov_b32 s11, exec_lo
	v_and_b32_e32 v0, 0xff, v8
	s_delay_alu instid0(VALU_DEP_1)
	v_cmpx_ne_u16_e32 0, v0
	s_cbranch_execz .LBB300_322
; %bb.315:                              ;   in Loop: Header=BB300_10 Depth=1
	v_mov_b32_e32 v85, 0x8000
	s_mov_b32 s16, exec_lo
	v_cmpx_ne_u16_e32 0x80, v0
	s_cbranch_execz .LBB300_321
; %bb.316:                              ;   in Loop: Header=BB300_10 Depth=1
	v_bfe_u32 v6, v5, 16, 7
	v_mov_b32_e32 v85, 0x7c01
	s_mov_b32 s17, exec_lo
	s_delay_alu instid0(VALU_DEP_2)
	v_cmpx_ne_u32_e32 0x7f, v6
	s_cbranch_execz .LBB300_320
; %bb.317:                              ;   in Loop: Header=BB300_10 Depth=1
	v_dual_lshrrev_b32 v1, 3, v6 :: v_dual_bitop2_b32 v0, 7, v8 bitop3:0x40
	s_mov_b32 s18, exec_lo
	v_cmpx_gt_u32_e32 8, v6
; %bb.318:                              ;   in Loop: Header=BB300_10 Depth=1
	s_delay_alu instid0(VALU_DEP_2) | instskip(NEXT) | instid1(VALU_DEP_1)
	v_clz_i32_u32_e32 v0, v0
	v_min_u32_e32 v6, 32, v0
	s_delay_alu instid0(VALU_DEP_1) | instskip(NEXT) | instid1(VALU_DEP_1)
	v_subrev_nc_u32_e32 v0, 28, v6
	v_lshlrev_b64_e32 v[0:1], v0, v[8:9]
	s_delay_alu instid0(VALU_DEP_1)
	v_dual_sub_nc_u32 v1, 29, v6 :: v_dual_bitop2_b32 v0, 7, v0 bitop3:0x40
; %bb.319:                              ;   in Loop: Header=BB300_10 Depth=1
	s_or_b32 exec_lo, exec_lo, s18
	v_lshlrev_b32_e32 v6, 8, v8
	s_delay_alu instid0(VALU_DEP_2) | instskip(NEXT) | instid1(VALU_DEP_3)
	v_lshl_add_u32 v1, v1, 10, 0x2000
	v_lshlrev_b32_e32 v0, 7, v0
	s_delay_alu instid0(VALU_DEP_3) | instskip(NEXT) | instid1(VALU_DEP_3)
	v_and_b32_e32 v6, 0x8000, v6
	v_and_b32_e32 v1, 0xfc00, v1
	s_delay_alu instid0(VALU_DEP_1)
	v_or3_b32 v85, v6, v1, v0
.LBB300_320:                            ;   in Loop: Header=BB300_10 Depth=1
	s_or_b32 exec_lo, exec_lo, s17
.LBB300_321:                            ;   in Loop: Header=BB300_10 Depth=1
	s_delay_alu instid0(SALU_CYCLE_1)
	s_or_b32 exec_lo, exec_lo, s16
.LBB300_322:                            ;   in Loop: Header=BB300_10 Depth=1
	s_delay_alu instid0(SALU_CYCLE_1)
	s_or_b32 exec_lo, exec_lo, s11
	v_dual_mov_b32 v86, 0 :: v_dual_mov_b32 v63, 0
	s_mov_b32 s11, exec_lo
	v_cmpx_lt_u64_e64 s[2:3], v[4:5]
	s_cbranch_execz .LBB300_330
; %bb.323:                              ;   in Loop: Header=BB300_10 Depth=1
	v_lshrrev_b32_e32 v14, 24, v5
	v_bfrev_b32_e32 v63, 1
	s_mov_b32 s16, exec_lo
	s_delay_alu instid0(VALU_DEP_2)
	v_cmpx_ne_u32_e32 0x80, v14
	s_cbranch_execz .LBB300_329
; %bb.324:                              ;   in Loop: Header=BB300_10 Depth=1
	v_and_b32_e32 v4, 0x7f, v14
	v_mov_b32_e32 v63, 0x7c010000
	s_mov_b32 s17, exec_lo
	s_delay_alu instid0(VALU_DEP_2)
	v_cmpx_ne_u32_e32 0x7f, v4
	s_cbranch_execz .LBB300_328
; %bb.325:                              ;   in Loop: Header=BB300_10 Depth=1
	v_dual_lshrrev_b32 v1, 3, v4 :: v_dual_bitop2_b32 v0, 7, v14 bitop3:0x40
	s_mov_b32 s18, exec_lo
	v_cmpx_gt_u32_e32 8, v4
; %bb.326:                              ;   in Loop: Header=BB300_10 Depth=1
	s_delay_alu instid0(VALU_DEP_2) | instskip(NEXT) | instid1(VALU_DEP_1)
	v_clz_i32_u32_e32 v0, v0
	v_min_u32_e32 v4, 32, v0
	s_delay_alu instid0(VALU_DEP_1) | instskip(NEXT) | instid1(VALU_DEP_1)
	v_subrev_nc_u32_e32 v0, 28, v4
	v_lshlrev_b64_e32 v[0:1], v0, v[14:15]
	v_sub_nc_u32_e32 v1, 29, v4
	s_delay_alu instid0(VALU_DEP_2)
	v_and_b32_e32 v0, 7, v0
; %bb.327:                              ;   in Loop: Header=BB300_10 Depth=1
	s_or_b32 exec_lo, exec_lo, s18
	s_delay_alu instid0(VALU_DEP_1) | instskip(NEXT) | instid1(VALU_DEP_3)
	v_dual_lshlrev_b32 v4, 8, v14 :: v_dual_lshlrev_b32 v0, 23, v0
	v_lshl_add_u32 v1, v1, 10, 0x2000
	s_delay_alu instid0(VALU_DEP_1) | instskip(NEXT) | instid1(VALU_DEP_1)
	v_and_or_b32 v1, 0x8000, v4, v1
	v_lshl_or_b32 v63, v1, 16, v0
.LBB300_328:                            ;   in Loop: Header=BB300_10 Depth=1
	s_or_b32 exec_lo, exec_lo, s17
.LBB300_329:                            ;   in Loop: Header=BB300_10 Depth=1
	s_delay_alu instid0(SALU_CYCLE_1)
	s_or_b32 exec_lo, exec_lo, s16
.LBB300_330:                            ;   in Loop: Header=BB300_10 Depth=1
	s_delay_alu instid0(SALU_CYCLE_1)
	s_or_b32 exec_lo, exec_lo, s11
	flat_load_b64 v[4:5], v[2:3] offset:1032
	s_mov_b32 s11, exec_lo
	s_wait_loadcnt_dscnt 0x0
	v_and_b32_e32 v0, 0xff, v4
	s_wait_xcnt 0x0
	s_delay_alu instid0(VALU_DEP_1)
	v_cmpx_ne_u16_e32 0, v0
	s_cbranch_execz .LBB300_338
; %bb.331:                              ;   in Loop: Header=BB300_10 Depth=1
	v_mov_b32_e32 v86, 0x8000
	s_mov_b32 s16, exec_lo
	v_cmpx_ne_u16_e32 0x80, v0
	s_cbranch_execz .LBB300_337
; %bb.332:                              ;   in Loop: Header=BB300_10 Depth=1
	v_and_b32_e32 v6, 0x7f, v4
	v_mov_b32_e32 v86, 0x7c01
	s_mov_b32 s17, exec_lo
	s_delay_alu instid0(VALU_DEP_2)
	v_cmpx_ne_u32_e32 0x7f, v6
	s_cbranch_execz .LBB300_336
; %bb.333:                              ;   in Loop: Header=BB300_10 Depth=1
	v_dual_lshrrev_b32 v1, 3, v6 :: v_dual_bitop2_b32 v0, 7, v4 bitop3:0x40
	s_mov_b32 s18, exec_lo
	v_cmpx_gt_u32_e32 8, v6
; %bb.334:                              ;   in Loop: Header=BB300_10 Depth=1
	s_delay_alu instid0(VALU_DEP_2) | instskip(NEXT) | instid1(VALU_DEP_1)
	v_clz_i32_u32_e32 v0, v0
	v_min_u32_e32 v6, 32, v0
	s_delay_alu instid0(VALU_DEP_1) | instskip(NEXT) | instid1(VALU_DEP_1)
	v_subrev_nc_u32_e32 v0, 28, v6
	v_lshlrev_b64_e32 v[0:1], v0, v[4:5]
	s_delay_alu instid0(VALU_DEP_1)
	v_dual_sub_nc_u32 v1, 29, v6 :: v_dual_bitop2_b32 v0, 7, v0 bitop3:0x40
; %bb.335:                              ;   in Loop: Header=BB300_10 Depth=1
	s_or_b32 exec_lo, exec_lo, s18
	v_lshlrev_b32_e32 v6, 8, v4
	s_delay_alu instid0(VALU_DEP_2) | instskip(NEXT) | instid1(VALU_DEP_3)
	v_lshl_add_u32 v1, v1, 10, 0x2000
	v_lshlrev_b32_e32 v0, 7, v0
	s_delay_alu instid0(VALU_DEP_3) | instskip(NEXT) | instid1(VALU_DEP_3)
	v_and_b32_e32 v6, 0x8000, v6
	v_and_b32_e32 v1, 0xfc00, v1
	s_delay_alu instid0(VALU_DEP_1)
	v_or3_b32 v86, v6, v1, v0
.LBB300_336:                            ;   in Loop: Header=BB300_10 Depth=1
	s_or_b32 exec_lo, exec_lo, s17
.LBB300_337:                            ;   in Loop: Header=BB300_10 Depth=1
	s_delay_alu instid0(SALU_CYCLE_1)
	s_or_b32 exec_lo, exec_lo, s16
.LBB300_338:                            ;   in Loop: Header=BB300_10 Depth=1
	s_delay_alu instid0(SALU_CYCLE_1) | instskip(SKIP_3) | instid1(VALU_DEP_2)
	s_or_b32 exec_lo, exec_lo, s11
	v_lshrrev_b16 v14, 8, v4
	v_dual_mov_b32 v80, 0 :: v_dual_mov_b32 v74, 0
	s_mov_b32 s11, exec_lo
	v_cmpx_ne_u16_e32 0, v14
	s_cbranch_execz .LBB300_346
; %bb.339:                              ;   in Loop: Header=BB300_10 Depth=1
	v_bfrev_b32_e32 v74, 1
	s_mov_b32 s16, exec_lo
	v_cmpx_ne_u16_e32 0x80, v14
	s_cbranch_execz .LBB300_345
; %bb.340:                              ;   in Loop: Header=BB300_10 Depth=1
	v_and_b32_e32 v0, 0xffff, v14
	v_mov_b32_e32 v74, 0x7c010000
	s_mov_b32 s17, exec_lo
	s_delay_alu instid0(VALU_DEP_2) | instskip(NEXT) | instid1(VALU_DEP_1)
	v_and_b32_e32 v7, 0x7f, v0
	v_cmpx_ne_u32_e32 0x7f, v7
	s_cbranch_execz .LBB300_344
; %bb.341:                              ;   in Loop: Header=BB300_10 Depth=1
	v_dual_lshrrev_b32 v6, 3, v7 :: v_dual_bitop2_b32 v1, 7, v0 bitop3:0x40
	s_mov_b32 s18, exec_lo
	v_cmpx_gt_u32_e32 8, v7
; %bb.342:                              ;   in Loop: Header=BB300_10 Depth=1
	s_delay_alu instid0(VALU_DEP_2) | instskip(NEXT) | instid1(VALU_DEP_1)
	v_clz_i32_u32_e32 v1, v1
	v_min_u32_e32 v1, 32, v1
	s_delay_alu instid0(VALU_DEP_1) | instskip(NEXT) | instid1(VALU_DEP_1)
	v_subrev_nc_u32_e32 v6, 28, v1
	v_lshlrev_b64_e32 v[8:9], v6, v[14:15]
	s_delay_alu instid0(VALU_DEP_1)
	v_dual_sub_nc_u32 v6, 29, v1 :: v_dual_bitop2_b32 v1, 7, v8 bitop3:0x40
; %bb.343:                              ;   in Loop: Header=BB300_10 Depth=1
	s_or_b32 exec_lo, exec_lo, s18
	s_delay_alu instid0(VALU_DEP_1) | instskip(NEXT) | instid1(VALU_DEP_2)
	v_dual_lshlrev_b32 v0, 8, v0 :: v_dual_lshlrev_b32 v1, 23, v1
	v_lshl_add_u32 v6, v6, 10, 0x2000
	s_delay_alu instid0(VALU_DEP_1) | instskip(NEXT) | instid1(VALU_DEP_1)
	v_and_or_b32 v0, 0x8000, v0, v6
	v_lshl_or_b32 v74, v0, 16, v1
.LBB300_344:                            ;   in Loop: Header=BB300_10 Depth=1
	s_or_b32 exec_lo, exec_lo, s17
.LBB300_345:                            ;   in Loop: Header=BB300_10 Depth=1
	s_delay_alu instid0(SALU_CYCLE_1)
	s_or_b32 exec_lo, exec_lo, s16
.LBB300_346:                            ;   in Loop: Header=BB300_10 Depth=1
	s_delay_alu instid0(SALU_CYCLE_1) | instskip(SKIP_2) | instid1(VALU_DEP_1)
	s_or_b32 exec_lo, exec_lo, s11
	v_lshrrev_b32_e32 v8, 16, v4
	s_mov_b32 s11, exec_lo
	v_and_b32_e32 v0, 0xff, v8
	s_delay_alu instid0(VALU_DEP_1)
	v_cmpx_ne_u16_e32 0, v0
	s_cbranch_execz .LBB300_354
; %bb.347:                              ;   in Loop: Header=BB300_10 Depth=1
	v_mov_b32_e32 v80, 0x8000
	s_mov_b32 s16, exec_lo
	v_cmpx_ne_u16_e32 0x80, v0
	s_cbranch_execz .LBB300_353
; %bb.348:                              ;   in Loop: Header=BB300_10 Depth=1
	v_bfe_u32 v6, v4, 16, 7
	v_mov_b32_e32 v80, 0x7c01
	s_mov_b32 s17, exec_lo
	s_delay_alu instid0(VALU_DEP_2)
	v_cmpx_ne_u32_e32 0x7f, v6
	s_cbranch_execz .LBB300_352
; %bb.349:                              ;   in Loop: Header=BB300_10 Depth=1
	v_dual_lshrrev_b32 v1, 3, v6 :: v_dual_bitop2_b32 v0, 7, v8 bitop3:0x40
	s_mov_b32 s18, exec_lo
	v_cmpx_gt_u32_e32 8, v6
; %bb.350:                              ;   in Loop: Header=BB300_10 Depth=1
	s_delay_alu instid0(VALU_DEP_2) | instskip(NEXT) | instid1(VALU_DEP_1)
	v_clz_i32_u32_e32 v0, v0
	v_min_u32_e32 v6, 32, v0
	s_delay_alu instid0(VALU_DEP_1) | instskip(NEXT) | instid1(VALU_DEP_1)
	v_subrev_nc_u32_e32 v0, 28, v6
	v_lshlrev_b64_e32 v[0:1], v0, v[8:9]
	s_delay_alu instid0(VALU_DEP_1)
	v_dual_sub_nc_u32 v1, 29, v6 :: v_dual_bitop2_b32 v0, 7, v0 bitop3:0x40
; %bb.351:                              ;   in Loop: Header=BB300_10 Depth=1
	s_or_b32 exec_lo, exec_lo, s18
	v_lshlrev_b32_e32 v6, 8, v8
	s_delay_alu instid0(VALU_DEP_2) | instskip(NEXT) | instid1(VALU_DEP_3)
	v_lshl_add_u32 v1, v1, 10, 0x2000
	v_lshlrev_b32_e32 v0, 7, v0
	s_delay_alu instid0(VALU_DEP_3) | instskip(NEXT) | instid1(VALU_DEP_3)
	v_and_b32_e32 v6, 0x8000, v6
	v_and_b32_e32 v1, 0xfc00, v1
	s_delay_alu instid0(VALU_DEP_1)
	v_or3_b32 v80, v6, v1, v0
.LBB300_352:                            ;   in Loop: Header=BB300_10 Depth=1
	s_or_b32 exec_lo, exec_lo, s17
.LBB300_353:                            ;   in Loop: Header=BB300_10 Depth=1
	s_delay_alu instid0(SALU_CYCLE_1)
	s_or_b32 exec_lo, exec_lo, s16
.LBB300_354:                            ;   in Loop: Header=BB300_10 Depth=1
	s_delay_alu instid0(SALU_CYCLE_1)
	s_or_b32 exec_lo, exec_lo, s11
	v_dual_mov_b32 v59, 0 :: v_dual_mov_b32 v57, 0
	s_mov_b32 s11, exec_lo
	v_cmpx_lt_u32_e32 0xffffff, v4
	s_cbranch_execz .LBB300_362
; %bb.355:                              ;   in Loop: Header=BB300_10 Depth=1
	v_lshrrev_b32_e32 v14, 24, v4
	v_bfrev_b32_e32 v57, 1
	s_mov_b32 s16, exec_lo
	s_delay_alu instid0(VALU_DEP_2)
	v_cmpx_ne_u32_e32 0x80, v14
	s_cbranch_execz .LBB300_361
; %bb.356:                              ;   in Loop: Header=BB300_10 Depth=1
	v_and_b32_e32 v6, 0x7f, v14
	v_mov_b32_e32 v57, 0x7c010000
	s_mov_b32 s17, exec_lo
	s_delay_alu instid0(VALU_DEP_2)
	v_cmpx_ne_u32_e32 0x7f, v6
	s_cbranch_execz .LBB300_360
; %bb.357:                              ;   in Loop: Header=BB300_10 Depth=1
	v_and_b32_e32 v0, 7, v14
	v_lshrrev_b32_e32 v1, 3, v6
	s_mov_b32 s18, exec_lo
	v_cmpx_gt_u32_e32 8, v6
; %bb.358:                              ;   in Loop: Header=BB300_10 Depth=1
	s_delay_alu instid0(VALU_DEP_3) | instskip(NEXT) | instid1(VALU_DEP_1)
	v_clz_i32_u32_e32 v0, v0
	v_min_u32_e32 v6, 32, v0
	s_delay_alu instid0(VALU_DEP_1) | instskip(NEXT) | instid1(VALU_DEP_1)
	v_subrev_nc_u32_e32 v0, 28, v6
	v_lshlrev_b64_e32 v[0:1], v0, v[14:15]
	s_delay_alu instid0(VALU_DEP_1)
	v_dual_sub_nc_u32 v1, 29, v6 :: v_dual_bitop2_b32 v0, 7, v0 bitop3:0x40
; %bb.359:                              ;   in Loop: Header=BB300_10 Depth=1
	s_or_b32 exec_lo, exec_lo, s18
	s_delay_alu instid0(VALU_DEP_1) | instskip(NEXT) | instid1(VALU_DEP_2)
	v_dual_lshlrev_b32 v6, 8, v14 :: v_dual_lshlrev_b32 v0, 23, v0
	v_lshl_add_u32 v1, v1, 10, 0x2000
	s_delay_alu instid0(VALU_DEP_1) | instskip(NEXT) | instid1(VALU_DEP_1)
	v_and_or_b32 v1, 0x8000, v6, v1
	v_lshl_or_b32 v57, v1, 16, v0
.LBB300_360:                            ;   in Loop: Header=BB300_10 Depth=1
	s_or_b32 exec_lo, exec_lo, s17
.LBB300_361:                            ;   in Loop: Header=BB300_10 Depth=1
	s_delay_alu instid0(SALU_CYCLE_1)
	s_or_b32 exec_lo, exec_lo, s16
.LBB300_362:                            ;   in Loop: Header=BB300_10 Depth=1
	s_delay_alu instid0(SALU_CYCLE_1) | instskip(SKIP_3) | instid1(VALU_DEP_2)
	s_or_b32 exec_lo, exec_lo, s11
	v_and_b32_e32 v0, 0xff, v5
	v_mov_b32_e32 v14, v5
	s_mov_b32 s11, exec_lo
	v_cmpx_ne_u16_e32 0, v0
	s_cbranch_execz .LBB300_370
; %bb.363:                              ;   in Loop: Header=BB300_10 Depth=1
	v_mov_b32_e32 v59, 0x8000
	s_mov_b32 s16, exec_lo
	v_cmpx_ne_u16_e32 0x80, v0
	s_cbranch_execz .LBB300_369
; %bb.364:                              ;   in Loop: Header=BB300_10 Depth=1
	v_and_b32_e32 v6, 0x7f, v5
	v_mov_b32_e32 v59, 0x7c01
	s_mov_b32 s17, exec_lo
	s_delay_alu instid0(VALU_DEP_2)
	v_cmpx_ne_u32_e32 0x7f, v6
	s_cbranch_execz .LBB300_368
; %bb.365:                              ;   in Loop: Header=BB300_10 Depth=1
	v_dual_lshrrev_b32 v1, 3, v6 :: v_dual_bitop2_b32 v0, 7, v5 bitop3:0x40
	s_mov_b32 s18, exec_lo
	v_cmpx_gt_u32_e32 8, v6
; %bb.366:                              ;   in Loop: Header=BB300_10 Depth=1
	s_delay_alu instid0(VALU_DEP_2) | instskip(NEXT) | instid1(VALU_DEP_1)
	v_clz_i32_u32_e32 v0, v0
	v_min_u32_e32 v6, 32, v0
	s_delay_alu instid0(VALU_DEP_1) | instskip(NEXT) | instid1(VALU_DEP_1)
	v_subrev_nc_u32_e32 v0, 28, v6
	v_lshlrev_b64_e32 v[0:1], v0, v[14:15]
	s_delay_alu instid0(VALU_DEP_1)
	v_dual_sub_nc_u32 v1, 29, v6 :: v_dual_bitop2_b32 v0, 7, v0 bitop3:0x40
; %bb.367:                              ;   in Loop: Header=BB300_10 Depth=1
	s_or_b32 exec_lo, exec_lo, s18
	s_delay_alu instid0(VALU_DEP_1) | instskip(NEXT) | instid1(VALU_DEP_2)
	v_dual_lshlrev_b32 v6, 8, v5 :: v_dual_lshlrev_b32 v0, 7, v0
	v_lshl_add_u32 v1, v1, 10, 0x2000
	s_delay_alu instid0(VALU_DEP_2) | instskip(NEXT) | instid1(VALU_DEP_2)
	v_and_b32_e32 v6, 0x8000, v6
	v_and_b32_e32 v1, 0xfc00, v1
	s_delay_alu instid0(VALU_DEP_1)
	v_or3_b32 v59, v6, v1, v0
.LBB300_368:                            ;   in Loop: Header=BB300_10 Depth=1
	s_or_b32 exec_lo, exec_lo, s17
.LBB300_369:                            ;   in Loop: Header=BB300_10 Depth=1
	s_delay_alu instid0(SALU_CYCLE_1)
	s_or_b32 exec_lo, exec_lo, s16
.LBB300_370:                            ;   in Loop: Header=BB300_10 Depth=1
	s_delay_alu instid0(SALU_CYCLE_1) | instskip(SKIP_3) | instid1(VALU_DEP_2)
	s_or_b32 exec_lo, exec_lo, s11
	v_lshrrev_b16 v14, 8, v14
	v_dual_mov_b32 v56, 0 :: v_dual_mov_b32 v67, 0
	s_mov_b32 s11, exec_lo
	v_cmpx_ne_u16_e32 0, v14
	s_cbranch_execz .LBB300_378
; %bb.371:                              ;   in Loop: Header=BB300_10 Depth=1
	v_bfrev_b32_e32 v67, 1
	s_mov_b32 s16, exec_lo
	v_cmpx_ne_u16_e32 0x80, v14
	s_cbranch_execz .LBB300_377
; %bb.372:                              ;   in Loop: Header=BB300_10 Depth=1
	v_and_b32_e32 v0, 0xffff, v14
	v_mov_b32_e32 v67, 0x7c010000
	s_mov_b32 s17, exec_lo
	s_delay_alu instid0(VALU_DEP_2) | instskip(NEXT) | instid1(VALU_DEP_1)
	v_and_b32_e32 v7, 0x7f, v0
	v_cmpx_ne_u32_e32 0x7f, v7
	s_cbranch_execz .LBB300_376
; %bb.373:                              ;   in Loop: Header=BB300_10 Depth=1
	v_dual_lshrrev_b32 v6, 3, v7 :: v_dual_bitop2_b32 v1, 7, v0 bitop3:0x40
	s_mov_b32 s18, exec_lo
	v_cmpx_gt_u32_e32 8, v7
; %bb.374:                              ;   in Loop: Header=BB300_10 Depth=1
	s_delay_alu instid0(VALU_DEP_2) | instskip(NEXT) | instid1(VALU_DEP_1)
	v_clz_i32_u32_e32 v1, v1
	v_min_u32_e32 v1, 32, v1
	s_delay_alu instid0(VALU_DEP_1) | instskip(NEXT) | instid1(VALU_DEP_1)
	v_subrev_nc_u32_e32 v6, 28, v1
	v_lshlrev_b64_e32 v[8:9], v6, v[14:15]
	s_delay_alu instid0(VALU_DEP_1)
	v_dual_sub_nc_u32 v6, 29, v1 :: v_dual_bitop2_b32 v1, 7, v8 bitop3:0x40
; %bb.375:                              ;   in Loop: Header=BB300_10 Depth=1
	s_or_b32 exec_lo, exec_lo, s18
	s_delay_alu instid0(VALU_DEP_1) | instskip(NEXT) | instid1(VALU_DEP_2)
	v_dual_lshlrev_b32 v0, 8, v0 :: v_dual_lshlrev_b32 v1, 23, v1
	v_lshl_add_u32 v6, v6, 10, 0x2000
	s_delay_alu instid0(VALU_DEP_1) | instskip(NEXT) | instid1(VALU_DEP_1)
	v_and_or_b32 v0, 0x8000, v0, v6
	v_lshl_or_b32 v67, v0, 16, v1
.LBB300_376:                            ;   in Loop: Header=BB300_10 Depth=1
	s_or_b32 exec_lo, exec_lo, s17
.LBB300_377:                            ;   in Loop: Header=BB300_10 Depth=1
	s_delay_alu instid0(SALU_CYCLE_1)
	s_or_b32 exec_lo, exec_lo, s16
.LBB300_378:                            ;   in Loop: Header=BB300_10 Depth=1
	s_delay_alu instid0(SALU_CYCLE_1) | instskip(SKIP_2) | instid1(VALU_DEP_1)
	s_or_b32 exec_lo, exec_lo, s11
	v_lshrrev_b32_e32 v8, 16, v5
	s_mov_b32 s11, exec_lo
	v_and_b32_e32 v0, 0xff, v8
	s_delay_alu instid0(VALU_DEP_1)
	v_cmpx_ne_u16_e32 0, v0
	s_cbranch_execz .LBB300_386
; %bb.379:                              ;   in Loop: Header=BB300_10 Depth=1
	v_mov_b32_e32 v56, 0x8000
	s_mov_b32 s16, exec_lo
	v_cmpx_ne_u16_e32 0x80, v0
	s_cbranch_execz .LBB300_385
; %bb.380:                              ;   in Loop: Header=BB300_10 Depth=1
	v_bfe_u32 v6, v5, 16, 7
	v_mov_b32_e32 v56, 0x7c01
	s_mov_b32 s17, exec_lo
	s_delay_alu instid0(VALU_DEP_2)
	v_cmpx_ne_u32_e32 0x7f, v6
	s_cbranch_execz .LBB300_384
; %bb.381:                              ;   in Loop: Header=BB300_10 Depth=1
	v_dual_lshrrev_b32 v1, 3, v6 :: v_dual_bitop2_b32 v0, 7, v8 bitop3:0x40
	s_mov_b32 s18, exec_lo
	v_cmpx_gt_u32_e32 8, v6
; %bb.382:                              ;   in Loop: Header=BB300_10 Depth=1
	s_delay_alu instid0(VALU_DEP_2) | instskip(NEXT) | instid1(VALU_DEP_1)
	v_clz_i32_u32_e32 v0, v0
	v_min_u32_e32 v6, 32, v0
	s_delay_alu instid0(VALU_DEP_1) | instskip(NEXT) | instid1(VALU_DEP_1)
	v_subrev_nc_u32_e32 v0, 28, v6
	v_lshlrev_b64_e32 v[0:1], v0, v[8:9]
	s_delay_alu instid0(VALU_DEP_1)
	v_dual_sub_nc_u32 v1, 29, v6 :: v_dual_bitop2_b32 v0, 7, v0 bitop3:0x40
; %bb.383:                              ;   in Loop: Header=BB300_10 Depth=1
	s_or_b32 exec_lo, exec_lo, s18
	v_lshlrev_b32_e32 v6, 8, v8
	s_delay_alu instid0(VALU_DEP_2) | instskip(NEXT) | instid1(VALU_DEP_3)
	v_lshl_add_u32 v1, v1, 10, 0x2000
	v_lshlrev_b32_e32 v0, 7, v0
	s_delay_alu instid0(VALU_DEP_3) | instskip(NEXT) | instid1(VALU_DEP_3)
	v_and_b32_e32 v6, 0x8000, v6
	v_and_b32_e32 v1, 0xfc00, v1
	s_delay_alu instid0(VALU_DEP_1)
	v_or3_b32 v56, v6, v1, v0
.LBB300_384:                            ;   in Loop: Header=BB300_10 Depth=1
	s_or_b32 exec_lo, exec_lo, s17
.LBB300_385:                            ;   in Loop: Header=BB300_10 Depth=1
	s_delay_alu instid0(SALU_CYCLE_1)
	s_or_b32 exec_lo, exec_lo, s16
.LBB300_386:                            ;   in Loop: Header=BB300_10 Depth=1
	s_delay_alu instid0(SALU_CYCLE_1)
	s_or_b32 exec_lo, exec_lo, s11
	v_dual_mov_b32 v119, 0 :: v_dual_mov_b32 v68, 0
	s_mov_b32 s11, exec_lo
	v_cmpx_lt_u64_e64 s[2:3], v[4:5]
	s_cbranch_execz .LBB300_394
; %bb.387:                              ;   in Loop: Header=BB300_10 Depth=1
	v_lshrrev_b32_e32 v14, 24, v5
	v_bfrev_b32_e32 v68, 1
	s_mov_b32 s16, exec_lo
	s_delay_alu instid0(VALU_DEP_2)
	v_cmpx_ne_u32_e32 0x80, v14
	s_cbranch_execz .LBB300_393
; %bb.388:                              ;   in Loop: Header=BB300_10 Depth=1
	v_and_b32_e32 v4, 0x7f, v14
	v_mov_b32_e32 v68, 0x7c010000
	s_mov_b32 s17, exec_lo
	s_delay_alu instid0(VALU_DEP_2)
	v_cmpx_ne_u32_e32 0x7f, v4
	s_cbranch_execz .LBB300_392
; %bb.389:                              ;   in Loop: Header=BB300_10 Depth=1
	v_dual_lshrrev_b32 v1, 3, v4 :: v_dual_bitop2_b32 v0, 7, v14 bitop3:0x40
	s_mov_b32 s18, exec_lo
	v_cmpx_gt_u32_e32 8, v4
; %bb.390:                              ;   in Loop: Header=BB300_10 Depth=1
	s_delay_alu instid0(VALU_DEP_2) | instskip(NEXT) | instid1(VALU_DEP_1)
	v_clz_i32_u32_e32 v0, v0
	v_min_u32_e32 v4, 32, v0
	s_delay_alu instid0(VALU_DEP_1) | instskip(NEXT) | instid1(VALU_DEP_1)
	v_subrev_nc_u32_e32 v0, 28, v4
	v_lshlrev_b64_e32 v[0:1], v0, v[14:15]
	v_sub_nc_u32_e32 v1, 29, v4
	s_delay_alu instid0(VALU_DEP_2)
	v_and_b32_e32 v0, 7, v0
; %bb.391:                              ;   in Loop: Header=BB300_10 Depth=1
	s_or_b32 exec_lo, exec_lo, s18
	s_delay_alu instid0(VALU_DEP_1) | instskip(NEXT) | instid1(VALU_DEP_3)
	v_dual_lshlrev_b32 v4, 8, v14 :: v_dual_lshlrev_b32 v0, 23, v0
	v_lshl_add_u32 v1, v1, 10, 0x2000
	s_delay_alu instid0(VALU_DEP_1) | instskip(NEXT) | instid1(VALU_DEP_1)
	v_and_or_b32 v1, 0x8000, v4, v1
	v_lshl_or_b32 v68, v1, 16, v0
.LBB300_392:                            ;   in Loop: Header=BB300_10 Depth=1
	s_or_b32 exec_lo, exec_lo, s17
.LBB300_393:                            ;   in Loop: Header=BB300_10 Depth=1
	s_delay_alu instid0(SALU_CYCLE_1)
	s_or_b32 exec_lo, exec_lo, s16
.LBB300_394:                            ;   in Loop: Header=BB300_10 Depth=1
	s_delay_alu instid0(SALU_CYCLE_1)
	s_or_b32 exec_lo, exec_lo, s11
	flat_load_b64 v[4:5], v[2:3] offset:1536
	s_mov_b32 s11, exec_lo
	s_wait_loadcnt_dscnt 0x0
	v_and_b32_e32 v0, 0xff, v4
	s_wait_xcnt 0x0
	s_delay_alu instid0(VALU_DEP_1)
	v_cmpx_ne_u16_e32 0, v0
	s_cbranch_execz .LBB300_402
; %bb.395:                              ;   in Loop: Header=BB300_10 Depth=1
	v_mov_b32_e32 v119, 0x8000
	s_mov_b32 s16, exec_lo
	v_cmpx_ne_u16_e32 0x80, v0
	s_cbranch_execz .LBB300_401
; %bb.396:                              ;   in Loop: Header=BB300_10 Depth=1
	v_and_b32_e32 v6, 0x7f, v4
	v_mov_b32_e32 v119, 0x7c01
	s_mov_b32 s17, exec_lo
	s_delay_alu instid0(VALU_DEP_2)
	v_cmpx_ne_u32_e32 0x7f, v6
	s_cbranch_execz .LBB300_400
; %bb.397:                              ;   in Loop: Header=BB300_10 Depth=1
	v_dual_lshrrev_b32 v1, 3, v6 :: v_dual_bitop2_b32 v0, 7, v4 bitop3:0x40
	s_mov_b32 s18, exec_lo
	v_cmpx_gt_u32_e32 8, v6
; %bb.398:                              ;   in Loop: Header=BB300_10 Depth=1
	s_delay_alu instid0(VALU_DEP_2) | instskip(NEXT) | instid1(VALU_DEP_1)
	v_clz_i32_u32_e32 v0, v0
	v_min_u32_e32 v6, 32, v0
	s_delay_alu instid0(VALU_DEP_1) | instskip(NEXT) | instid1(VALU_DEP_1)
	v_subrev_nc_u32_e32 v0, 28, v6
	v_lshlrev_b64_e32 v[0:1], v0, v[4:5]
	s_delay_alu instid0(VALU_DEP_1)
	v_dual_sub_nc_u32 v1, 29, v6 :: v_dual_bitop2_b32 v0, 7, v0 bitop3:0x40
; %bb.399:                              ;   in Loop: Header=BB300_10 Depth=1
	s_or_b32 exec_lo, exec_lo, s18
	v_lshlrev_b32_e32 v6, 8, v4
	s_delay_alu instid0(VALU_DEP_2) | instskip(NEXT) | instid1(VALU_DEP_3)
	v_lshl_add_u32 v1, v1, 10, 0x2000
	v_lshlrev_b32_e32 v0, 7, v0
	s_delay_alu instid0(VALU_DEP_3) | instskip(NEXT) | instid1(VALU_DEP_3)
	v_and_b32_e32 v6, 0x8000, v6
	v_and_b32_e32 v1, 0xfc00, v1
	s_delay_alu instid0(VALU_DEP_1)
	v_or3_b32 v119, v6, v1, v0
.LBB300_400:                            ;   in Loop: Header=BB300_10 Depth=1
	s_or_b32 exec_lo, exec_lo, s17
.LBB300_401:                            ;   in Loop: Header=BB300_10 Depth=1
	s_delay_alu instid0(SALU_CYCLE_1)
	s_or_b32 exec_lo, exec_lo, s16
.LBB300_402:                            ;   in Loop: Header=BB300_10 Depth=1
	s_delay_alu instid0(SALU_CYCLE_1) | instskip(SKIP_3) | instid1(VALU_DEP_2)
	s_or_b32 exec_lo, exec_lo, s11
	v_lshrrev_b16 v14, 8, v4
	v_dual_mov_b32 v81, 0 :: v_dual_mov_b32 v83, 0
	s_mov_b32 s11, exec_lo
	v_cmpx_ne_u16_e32 0, v14
	s_cbranch_execz .LBB300_410
; %bb.403:                              ;   in Loop: Header=BB300_10 Depth=1
	v_bfrev_b32_e32 v83, 1
	s_mov_b32 s16, exec_lo
	v_cmpx_ne_u16_e32 0x80, v14
	s_cbranch_execz .LBB300_409
; %bb.404:                              ;   in Loop: Header=BB300_10 Depth=1
	v_and_b32_e32 v0, 0xffff, v14
	v_mov_b32_e32 v83, 0x7c010000
	s_mov_b32 s17, exec_lo
	s_delay_alu instid0(VALU_DEP_2) | instskip(NEXT) | instid1(VALU_DEP_1)
	v_and_b32_e32 v7, 0x7f, v0
	v_cmpx_ne_u32_e32 0x7f, v7
	s_cbranch_execz .LBB300_408
; %bb.405:                              ;   in Loop: Header=BB300_10 Depth=1
	v_dual_lshrrev_b32 v6, 3, v7 :: v_dual_bitop2_b32 v1, 7, v0 bitop3:0x40
	s_mov_b32 s18, exec_lo
	v_cmpx_gt_u32_e32 8, v7
; %bb.406:                              ;   in Loop: Header=BB300_10 Depth=1
	s_delay_alu instid0(VALU_DEP_2) | instskip(NEXT) | instid1(VALU_DEP_1)
	v_clz_i32_u32_e32 v1, v1
	v_min_u32_e32 v1, 32, v1
	s_delay_alu instid0(VALU_DEP_1) | instskip(NEXT) | instid1(VALU_DEP_1)
	v_subrev_nc_u32_e32 v6, 28, v1
	v_lshlrev_b64_e32 v[8:9], v6, v[14:15]
	s_delay_alu instid0(VALU_DEP_1)
	v_dual_sub_nc_u32 v6, 29, v1 :: v_dual_bitop2_b32 v1, 7, v8 bitop3:0x40
; %bb.407:                              ;   in Loop: Header=BB300_10 Depth=1
	s_or_b32 exec_lo, exec_lo, s18
	s_delay_alu instid0(VALU_DEP_1) | instskip(NEXT) | instid1(VALU_DEP_2)
	v_dual_lshlrev_b32 v0, 8, v0 :: v_dual_lshlrev_b32 v1, 23, v1
	v_lshl_add_u32 v6, v6, 10, 0x2000
	s_delay_alu instid0(VALU_DEP_1) | instskip(NEXT) | instid1(VALU_DEP_1)
	v_and_or_b32 v0, 0x8000, v0, v6
	v_lshl_or_b32 v83, v0, 16, v1
.LBB300_408:                            ;   in Loop: Header=BB300_10 Depth=1
	s_or_b32 exec_lo, exec_lo, s17
.LBB300_409:                            ;   in Loop: Header=BB300_10 Depth=1
	s_delay_alu instid0(SALU_CYCLE_1)
	s_or_b32 exec_lo, exec_lo, s16
.LBB300_410:                            ;   in Loop: Header=BB300_10 Depth=1
	s_delay_alu instid0(SALU_CYCLE_1) | instskip(SKIP_2) | instid1(VALU_DEP_1)
	s_or_b32 exec_lo, exec_lo, s11
	v_lshrrev_b32_e32 v8, 16, v4
	s_mov_b32 s11, exec_lo
	v_and_b32_e32 v0, 0xff, v8
	s_delay_alu instid0(VALU_DEP_1)
	v_cmpx_ne_u16_e32 0, v0
	s_cbranch_execz .LBB300_418
; %bb.411:                              ;   in Loop: Header=BB300_10 Depth=1
	v_mov_b32_e32 v81, 0x8000
	s_mov_b32 s16, exec_lo
	v_cmpx_ne_u16_e32 0x80, v0
	s_cbranch_execz .LBB300_417
; %bb.412:                              ;   in Loop: Header=BB300_10 Depth=1
	v_bfe_u32 v6, v4, 16, 7
	v_mov_b32_e32 v81, 0x7c01
	s_mov_b32 s17, exec_lo
	s_delay_alu instid0(VALU_DEP_2)
	v_cmpx_ne_u32_e32 0x7f, v6
	s_cbranch_execz .LBB300_416
; %bb.413:                              ;   in Loop: Header=BB300_10 Depth=1
	v_dual_lshrrev_b32 v1, 3, v6 :: v_dual_bitop2_b32 v0, 7, v8 bitop3:0x40
	s_mov_b32 s18, exec_lo
	v_cmpx_gt_u32_e32 8, v6
; %bb.414:                              ;   in Loop: Header=BB300_10 Depth=1
	s_delay_alu instid0(VALU_DEP_2) | instskip(NEXT) | instid1(VALU_DEP_1)
	v_clz_i32_u32_e32 v0, v0
	v_min_u32_e32 v6, 32, v0
	s_delay_alu instid0(VALU_DEP_1) | instskip(NEXT) | instid1(VALU_DEP_1)
	v_subrev_nc_u32_e32 v0, 28, v6
	v_lshlrev_b64_e32 v[0:1], v0, v[8:9]
	s_delay_alu instid0(VALU_DEP_1)
	v_dual_sub_nc_u32 v1, 29, v6 :: v_dual_bitop2_b32 v0, 7, v0 bitop3:0x40
; %bb.415:                              ;   in Loop: Header=BB300_10 Depth=1
	s_or_b32 exec_lo, exec_lo, s18
	v_lshlrev_b32_e32 v6, 8, v8
	s_delay_alu instid0(VALU_DEP_2) | instskip(NEXT) | instid1(VALU_DEP_3)
	v_lshl_add_u32 v1, v1, 10, 0x2000
	v_lshlrev_b32_e32 v0, 7, v0
	s_delay_alu instid0(VALU_DEP_3) | instskip(NEXT) | instid1(VALU_DEP_3)
	v_and_b32_e32 v6, 0x8000, v6
	v_and_b32_e32 v1, 0xfc00, v1
	s_delay_alu instid0(VALU_DEP_1)
	v_or3_b32 v81, v6, v1, v0
.LBB300_416:                            ;   in Loop: Header=BB300_10 Depth=1
	s_or_b32 exec_lo, exec_lo, s17
.LBB300_417:                            ;   in Loop: Header=BB300_10 Depth=1
	s_delay_alu instid0(SALU_CYCLE_1)
	s_or_b32 exec_lo, exec_lo, s16
.LBB300_418:                            ;   in Loop: Header=BB300_10 Depth=1
	s_delay_alu instid0(SALU_CYCLE_1)
	s_or_b32 exec_lo, exec_lo, s11
	v_dual_mov_b32 v87, 0 :: v_dual_mov_b32 v99, 0
	s_mov_b32 s11, exec_lo
	v_cmpx_lt_u32_e32 0xffffff, v4
	s_cbranch_execz .LBB300_426
; %bb.419:                              ;   in Loop: Header=BB300_10 Depth=1
	v_lshrrev_b32_e32 v14, 24, v4
	v_bfrev_b32_e32 v99, 1
	s_mov_b32 s16, exec_lo
	s_delay_alu instid0(VALU_DEP_2)
	v_cmpx_ne_u32_e32 0x80, v14
	s_cbranch_execz .LBB300_425
; %bb.420:                              ;   in Loop: Header=BB300_10 Depth=1
	v_and_b32_e32 v6, 0x7f, v14
	v_mov_b32_e32 v99, 0x7c010000
	s_mov_b32 s17, exec_lo
	s_delay_alu instid0(VALU_DEP_2)
	v_cmpx_ne_u32_e32 0x7f, v6
	s_cbranch_execz .LBB300_424
; %bb.421:                              ;   in Loop: Header=BB300_10 Depth=1
	v_and_b32_e32 v0, 7, v14
	v_lshrrev_b32_e32 v1, 3, v6
	s_mov_b32 s18, exec_lo
	v_cmpx_gt_u32_e32 8, v6
; %bb.422:                              ;   in Loop: Header=BB300_10 Depth=1
	s_delay_alu instid0(VALU_DEP_3) | instskip(NEXT) | instid1(VALU_DEP_1)
	v_clz_i32_u32_e32 v0, v0
	v_min_u32_e32 v6, 32, v0
	s_delay_alu instid0(VALU_DEP_1) | instskip(NEXT) | instid1(VALU_DEP_1)
	v_subrev_nc_u32_e32 v0, 28, v6
	v_lshlrev_b64_e32 v[0:1], v0, v[14:15]
	s_delay_alu instid0(VALU_DEP_1)
	v_dual_sub_nc_u32 v1, 29, v6 :: v_dual_bitop2_b32 v0, 7, v0 bitop3:0x40
; %bb.423:                              ;   in Loop: Header=BB300_10 Depth=1
	s_or_b32 exec_lo, exec_lo, s18
	s_delay_alu instid0(VALU_DEP_1) | instskip(NEXT) | instid1(VALU_DEP_2)
	v_dual_lshlrev_b32 v6, 8, v14 :: v_dual_lshlrev_b32 v0, 23, v0
	v_lshl_add_u32 v1, v1, 10, 0x2000
	s_delay_alu instid0(VALU_DEP_1) | instskip(NEXT) | instid1(VALU_DEP_1)
	v_and_or_b32 v1, 0x8000, v6, v1
	v_lshl_or_b32 v99, v1, 16, v0
.LBB300_424:                            ;   in Loop: Header=BB300_10 Depth=1
	s_or_b32 exec_lo, exec_lo, s17
.LBB300_425:                            ;   in Loop: Header=BB300_10 Depth=1
	s_delay_alu instid0(SALU_CYCLE_1)
	s_or_b32 exec_lo, exec_lo, s16
.LBB300_426:                            ;   in Loop: Header=BB300_10 Depth=1
	s_delay_alu instid0(SALU_CYCLE_1) | instskip(SKIP_3) | instid1(VALU_DEP_2)
	s_or_b32 exec_lo, exec_lo, s11
	v_and_b32_e32 v0, 0xff, v5
	v_mov_b32_e32 v14, v5
	s_mov_b32 s11, exec_lo
	v_cmpx_ne_u16_e32 0, v0
	s_cbranch_execz .LBB300_434
; %bb.427:                              ;   in Loop: Header=BB300_10 Depth=1
	v_mov_b32_e32 v87, 0x8000
	s_mov_b32 s16, exec_lo
	v_cmpx_ne_u16_e32 0x80, v0
	s_cbranch_execz .LBB300_433
; %bb.428:                              ;   in Loop: Header=BB300_10 Depth=1
	v_and_b32_e32 v6, 0x7f, v5
	v_mov_b32_e32 v87, 0x7c01
	s_mov_b32 s17, exec_lo
	s_delay_alu instid0(VALU_DEP_2)
	v_cmpx_ne_u32_e32 0x7f, v6
	s_cbranch_execz .LBB300_432
; %bb.429:                              ;   in Loop: Header=BB300_10 Depth=1
	v_dual_lshrrev_b32 v1, 3, v6 :: v_dual_bitop2_b32 v0, 7, v5 bitop3:0x40
	s_mov_b32 s18, exec_lo
	v_cmpx_gt_u32_e32 8, v6
; %bb.430:                              ;   in Loop: Header=BB300_10 Depth=1
	s_delay_alu instid0(VALU_DEP_2) | instskip(NEXT) | instid1(VALU_DEP_1)
	v_clz_i32_u32_e32 v0, v0
	v_min_u32_e32 v6, 32, v0
	s_delay_alu instid0(VALU_DEP_1) | instskip(NEXT) | instid1(VALU_DEP_1)
	v_subrev_nc_u32_e32 v0, 28, v6
	v_lshlrev_b64_e32 v[0:1], v0, v[14:15]
	s_delay_alu instid0(VALU_DEP_1)
	v_dual_sub_nc_u32 v1, 29, v6 :: v_dual_bitop2_b32 v0, 7, v0 bitop3:0x40
; %bb.431:                              ;   in Loop: Header=BB300_10 Depth=1
	s_or_b32 exec_lo, exec_lo, s18
	s_delay_alu instid0(VALU_DEP_1) | instskip(NEXT) | instid1(VALU_DEP_2)
	v_dual_lshlrev_b32 v6, 8, v5 :: v_dual_lshlrev_b32 v0, 7, v0
	v_lshl_add_u32 v1, v1, 10, 0x2000
	s_delay_alu instid0(VALU_DEP_2) | instskip(NEXT) | instid1(VALU_DEP_2)
	v_and_b32_e32 v6, 0x8000, v6
	v_and_b32_e32 v1, 0xfc00, v1
	s_delay_alu instid0(VALU_DEP_1)
	v_or3_b32 v87, v6, v1, v0
.LBB300_432:                            ;   in Loop: Header=BB300_10 Depth=1
	s_or_b32 exec_lo, exec_lo, s17
.LBB300_433:                            ;   in Loop: Header=BB300_10 Depth=1
	s_delay_alu instid0(SALU_CYCLE_1)
	s_or_b32 exec_lo, exec_lo, s16
.LBB300_434:                            ;   in Loop: Header=BB300_10 Depth=1
	s_delay_alu instid0(SALU_CYCLE_1) | instskip(SKIP_3) | instid1(VALU_DEP_2)
	s_or_b32 exec_lo, exec_lo, s11
	v_lshrrev_b16 v14, 8, v14
	v_dual_mov_b32 v58, 0 :: v_dual_mov_b32 v43, 0
	s_mov_b32 s11, exec_lo
	v_cmpx_ne_u16_e32 0, v14
	s_cbranch_execz .LBB300_442
; %bb.435:                              ;   in Loop: Header=BB300_10 Depth=1
	v_bfrev_b32_e32 v43, 1
	s_mov_b32 s16, exec_lo
	v_cmpx_ne_u16_e32 0x80, v14
	s_cbranch_execz .LBB300_441
; %bb.436:                              ;   in Loop: Header=BB300_10 Depth=1
	v_and_b32_e32 v0, 0xffff, v14
	v_mov_b32_e32 v43, 0x7c010000
	s_mov_b32 s17, exec_lo
	s_delay_alu instid0(VALU_DEP_2) | instskip(NEXT) | instid1(VALU_DEP_1)
	v_and_b32_e32 v7, 0x7f, v0
	v_cmpx_ne_u32_e32 0x7f, v7
	s_cbranch_execz .LBB300_440
; %bb.437:                              ;   in Loop: Header=BB300_10 Depth=1
	v_dual_lshrrev_b32 v6, 3, v7 :: v_dual_bitop2_b32 v1, 7, v0 bitop3:0x40
	s_mov_b32 s18, exec_lo
	v_cmpx_gt_u32_e32 8, v7
; %bb.438:                              ;   in Loop: Header=BB300_10 Depth=1
	s_delay_alu instid0(VALU_DEP_2) | instskip(NEXT) | instid1(VALU_DEP_1)
	v_clz_i32_u32_e32 v1, v1
	v_min_u32_e32 v1, 32, v1
	s_delay_alu instid0(VALU_DEP_1) | instskip(NEXT) | instid1(VALU_DEP_1)
	v_subrev_nc_u32_e32 v6, 28, v1
	v_lshlrev_b64_e32 v[8:9], v6, v[14:15]
	s_delay_alu instid0(VALU_DEP_1)
	v_dual_sub_nc_u32 v6, 29, v1 :: v_dual_bitop2_b32 v1, 7, v8 bitop3:0x40
; %bb.439:                              ;   in Loop: Header=BB300_10 Depth=1
	s_or_b32 exec_lo, exec_lo, s18
	s_delay_alu instid0(VALU_DEP_1) | instskip(NEXT) | instid1(VALU_DEP_2)
	v_dual_lshlrev_b32 v0, 8, v0 :: v_dual_lshlrev_b32 v1, 23, v1
	v_lshl_add_u32 v6, v6, 10, 0x2000
	s_delay_alu instid0(VALU_DEP_1) | instskip(NEXT) | instid1(VALU_DEP_1)
	v_and_or_b32 v0, 0x8000, v0, v6
	v_lshl_or_b32 v43, v0, 16, v1
.LBB300_440:                            ;   in Loop: Header=BB300_10 Depth=1
	s_or_b32 exec_lo, exec_lo, s17
.LBB300_441:                            ;   in Loop: Header=BB300_10 Depth=1
	s_delay_alu instid0(SALU_CYCLE_1)
	s_or_b32 exec_lo, exec_lo, s16
.LBB300_442:                            ;   in Loop: Header=BB300_10 Depth=1
	s_delay_alu instid0(SALU_CYCLE_1) | instskip(SKIP_2) | instid1(VALU_DEP_1)
	s_or_b32 exec_lo, exec_lo, s11
	v_lshrrev_b32_e32 v8, 16, v5
	s_mov_b32 s11, exec_lo
	v_and_b32_e32 v0, 0xff, v8
	s_delay_alu instid0(VALU_DEP_1)
	v_cmpx_ne_u16_e32 0, v0
	s_cbranch_execz .LBB300_450
; %bb.443:                              ;   in Loop: Header=BB300_10 Depth=1
	v_mov_b32_e32 v58, 0x8000
	s_mov_b32 s16, exec_lo
	v_cmpx_ne_u16_e32 0x80, v0
	s_cbranch_execz .LBB300_449
; %bb.444:                              ;   in Loop: Header=BB300_10 Depth=1
	v_bfe_u32 v6, v5, 16, 7
	v_mov_b32_e32 v58, 0x7c01
	s_mov_b32 s17, exec_lo
	s_delay_alu instid0(VALU_DEP_2)
	v_cmpx_ne_u32_e32 0x7f, v6
	s_cbranch_execz .LBB300_448
; %bb.445:                              ;   in Loop: Header=BB300_10 Depth=1
	v_dual_lshrrev_b32 v1, 3, v6 :: v_dual_bitop2_b32 v0, 7, v8 bitop3:0x40
	s_mov_b32 s18, exec_lo
	v_cmpx_gt_u32_e32 8, v6
; %bb.446:                              ;   in Loop: Header=BB300_10 Depth=1
	s_delay_alu instid0(VALU_DEP_2) | instskip(NEXT) | instid1(VALU_DEP_1)
	v_clz_i32_u32_e32 v0, v0
	v_min_u32_e32 v6, 32, v0
	s_delay_alu instid0(VALU_DEP_1) | instskip(NEXT) | instid1(VALU_DEP_1)
	v_subrev_nc_u32_e32 v0, 28, v6
	v_lshlrev_b64_e32 v[0:1], v0, v[8:9]
	s_delay_alu instid0(VALU_DEP_1)
	v_dual_sub_nc_u32 v1, 29, v6 :: v_dual_bitop2_b32 v0, 7, v0 bitop3:0x40
; %bb.447:                              ;   in Loop: Header=BB300_10 Depth=1
	s_or_b32 exec_lo, exec_lo, s18
	v_lshlrev_b32_e32 v6, 8, v8
	s_delay_alu instid0(VALU_DEP_2) | instskip(NEXT) | instid1(VALU_DEP_3)
	v_lshl_add_u32 v1, v1, 10, 0x2000
	v_lshlrev_b32_e32 v0, 7, v0
	s_delay_alu instid0(VALU_DEP_3) | instskip(NEXT) | instid1(VALU_DEP_3)
	v_and_b32_e32 v6, 0x8000, v6
	v_and_b32_e32 v1, 0xfc00, v1
	s_delay_alu instid0(VALU_DEP_1)
	v_or3_b32 v58, v6, v1, v0
.LBB300_448:                            ;   in Loop: Header=BB300_10 Depth=1
	s_or_b32 exec_lo, exec_lo, s17
.LBB300_449:                            ;   in Loop: Header=BB300_10 Depth=1
	s_delay_alu instid0(SALU_CYCLE_1)
	s_or_b32 exec_lo, exec_lo, s16
.LBB300_450:                            ;   in Loop: Header=BB300_10 Depth=1
	s_delay_alu instid0(SALU_CYCLE_1)
	s_or_b32 exec_lo, exec_lo, s11
	v_dual_mov_b32 v62, 0 :: v_dual_mov_b32 v97, 0
	s_mov_b32 s11, exec_lo
	v_cmpx_lt_u64_e64 s[2:3], v[4:5]
	s_cbranch_execz .LBB300_458
; %bb.451:                              ;   in Loop: Header=BB300_10 Depth=1
	v_lshrrev_b32_e32 v14, 24, v5
	v_bfrev_b32_e32 v97, 1
	s_mov_b32 s16, exec_lo
	s_delay_alu instid0(VALU_DEP_2)
	v_cmpx_ne_u32_e32 0x80, v14
	s_cbranch_execz .LBB300_457
; %bb.452:                              ;   in Loop: Header=BB300_10 Depth=1
	v_and_b32_e32 v4, 0x7f, v14
	v_mov_b32_e32 v97, 0x7c010000
	s_mov_b32 s17, exec_lo
	s_delay_alu instid0(VALU_DEP_2)
	v_cmpx_ne_u32_e32 0x7f, v4
	s_cbranch_execz .LBB300_456
; %bb.453:                              ;   in Loop: Header=BB300_10 Depth=1
	v_dual_lshrrev_b32 v1, 3, v4 :: v_dual_bitop2_b32 v0, 7, v14 bitop3:0x40
	s_mov_b32 s18, exec_lo
	v_cmpx_gt_u32_e32 8, v4
; %bb.454:                              ;   in Loop: Header=BB300_10 Depth=1
	s_delay_alu instid0(VALU_DEP_2) | instskip(NEXT) | instid1(VALU_DEP_1)
	v_clz_i32_u32_e32 v0, v0
	v_min_u32_e32 v4, 32, v0
	s_delay_alu instid0(VALU_DEP_1) | instskip(NEXT) | instid1(VALU_DEP_1)
	v_subrev_nc_u32_e32 v0, 28, v4
	v_lshlrev_b64_e32 v[0:1], v0, v[14:15]
	v_sub_nc_u32_e32 v1, 29, v4
	s_delay_alu instid0(VALU_DEP_2)
	v_and_b32_e32 v0, 7, v0
; %bb.455:                              ;   in Loop: Header=BB300_10 Depth=1
	s_or_b32 exec_lo, exec_lo, s18
	s_delay_alu instid0(VALU_DEP_1) | instskip(NEXT) | instid1(VALU_DEP_3)
	v_dual_lshlrev_b32 v4, 8, v14 :: v_dual_lshlrev_b32 v0, 23, v0
	v_lshl_add_u32 v1, v1, 10, 0x2000
	s_delay_alu instid0(VALU_DEP_1) | instskip(NEXT) | instid1(VALU_DEP_1)
	v_and_or_b32 v1, 0x8000, v4, v1
	v_lshl_or_b32 v97, v1, 16, v0
.LBB300_456:                            ;   in Loop: Header=BB300_10 Depth=1
	s_or_b32 exec_lo, exec_lo, s17
.LBB300_457:                            ;   in Loop: Header=BB300_10 Depth=1
	s_delay_alu instid0(SALU_CYCLE_1)
	s_or_b32 exec_lo, exec_lo, s16
.LBB300_458:                            ;   in Loop: Header=BB300_10 Depth=1
	s_delay_alu instid0(SALU_CYCLE_1)
	s_or_b32 exec_lo, exec_lo, s11
	flat_load_b64 v[4:5], v[2:3] offset:1544
	s_mov_b32 s11, exec_lo
	s_wait_loadcnt_dscnt 0x0
	v_and_b32_e32 v0, 0xff, v4
	s_wait_xcnt 0x0
	s_delay_alu instid0(VALU_DEP_1)
	v_cmpx_ne_u16_e32 0, v0
	s_cbranch_execz .LBB300_466
; %bb.459:                              ;   in Loop: Header=BB300_10 Depth=1
	v_mov_b32_e32 v62, 0x8000
	s_mov_b32 s16, exec_lo
	v_cmpx_ne_u16_e32 0x80, v0
	s_cbranch_execz .LBB300_465
; %bb.460:                              ;   in Loop: Header=BB300_10 Depth=1
	v_and_b32_e32 v6, 0x7f, v4
	v_mov_b32_e32 v62, 0x7c01
	s_mov_b32 s17, exec_lo
	s_delay_alu instid0(VALU_DEP_2)
	v_cmpx_ne_u32_e32 0x7f, v6
	s_cbranch_execz .LBB300_464
; %bb.461:                              ;   in Loop: Header=BB300_10 Depth=1
	v_dual_lshrrev_b32 v1, 3, v6 :: v_dual_bitop2_b32 v0, 7, v4 bitop3:0x40
	s_mov_b32 s18, exec_lo
	v_cmpx_gt_u32_e32 8, v6
; %bb.462:                              ;   in Loop: Header=BB300_10 Depth=1
	s_delay_alu instid0(VALU_DEP_2) | instskip(NEXT) | instid1(VALU_DEP_1)
	v_clz_i32_u32_e32 v0, v0
	v_min_u32_e32 v6, 32, v0
	s_delay_alu instid0(VALU_DEP_1) | instskip(NEXT) | instid1(VALU_DEP_1)
	v_subrev_nc_u32_e32 v0, 28, v6
	v_lshlrev_b64_e32 v[0:1], v0, v[4:5]
	s_delay_alu instid0(VALU_DEP_1)
	v_dual_sub_nc_u32 v1, 29, v6 :: v_dual_bitop2_b32 v0, 7, v0 bitop3:0x40
; %bb.463:                              ;   in Loop: Header=BB300_10 Depth=1
	s_or_b32 exec_lo, exec_lo, s18
	v_lshlrev_b32_e32 v6, 8, v4
	s_delay_alu instid0(VALU_DEP_2) | instskip(NEXT) | instid1(VALU_DEP_3)
	v_lshl_add_u32 v1, v1, 10, 0x2000
	v_lshlrev_b32_e32 v0, 7, v0
	s_delay_alu instid0(VALU_DEP_3) | instskip(NEXT) | instid1(VALU_DEP_3)
	v_and_b32_e32 v6, 0x8000, v6
	v_and_b32_e32 v1, 0xfc00, v1
	s_delay_alu instid0(VALU_DEP_1)
	v_or3_b32 v62, v6, v1, v0
.LBB300_464:                            ;   in Loop: Header=BB300_10 Depth=1
	s_or_b32 exec_lo, exec_lo, s17
.LBB300_465:                            ;   in Loop: Header=BB300_10 Depth=1
	s_delay_alu instid0(SALU_CYCLE_1)
	s_or_b32 exec_lo, exec_lo, s16
.LBB300_466:                            ;   in Loop: Header=BB300_10 Depth=1
	s_delay_alu instid0(SALU_CYCLE_1) | instskip(SKIP_3) | instid1(VALU_DEP_2)
	s_or_b32 exec_lo, exec_lo, s11
	v_lshrrev_b16 v14, 8, v4
	v_dual_mov_b32 v73, 0 :: v_dual_mov_b32 v78, 0
	s_mov_b32 s11, exec_lo
	v_cmpx_ne_u16_e32 0, v14
	s_cbranch_execz .LBB300_474
; %bb.467:                              ;   in Loop: Header=BB300_10 Depth=1
	v_bfrev_b32_e32 v78, 1
	s_mov_b32 s16, exec_lo
	v_cmpx_ne_u16_e32 0x80, v14
	s_cbranch_execz .LBB300_473
; %bb.468:                              ;   in Loop: Header=BB300_10 Depth=1
	v_and_b32_e32 v0, 0xffff, v14
	v_mov_b32_e32 v78, 0x7c010000
	s_mov_b32 s17, exec_lo
	s_delay_alu instid0(VALU_DEP_2) | instskip(NEXT) | instid1(VALU_DEP_1)
	v_and_b32_e32 v7, 0x7f, v0
	v_cmpx_ne_u32_e32 0x7f, v7
	s_cbranch_execz .LBB300_472
; %bb.469:                              ;   in Loop: Header=BB300_10 Depth=1
	v_dual_lshrrev_b32 v6, 3, v7 :: v_dual_bitop2_b32 v1, 7, v0 bitop3:0x40
	s_mov_b32 s18, exec_lo
	v_cmpx_gt_u32_e32 8, v7
; %bb.470:                              ;   in Loop: Header=BB300_10 Depth=1
	s_delay_alu instid0(VALU_DEP_2) | instskip(NEXT) | instid1(VALU_DEP_1)
	v_clz_i32_u32_e32 v1, v1
	v_min_u32_e32 v1, 32, v1
	s_delay_alu instid0(VALU_DEP_1) | instskip(NEXT) | instid1(VALU_DEP_1)
	v_subrev_nc_u32_e32 v6, 28, v1
	v_lshlrev_b64_e32 v[8:9], v6, v[14:15]
	s_delay_alu instid0(VALU_DEP_1)
	v_dual_sub_nc_u32 v6, 29, v1 :: v_dual_bitop2_b32 v1, 7, v8 bitop3:0x40
; %bb.471:                              ;   in Loop: Header=BB300_10 Depth=1
	s_or_b32 exec_lo, exec_lo, s18
	s_delay_alu instid0(VALU_DEP_1) | instskip(NEXT) | instid1(VALU_DEP_2)
	v_dual_lshlrev_b32 v0, 8, v0 :: v_dual_lshlrev_b32 v1, 23, v1
	v_lshl_add_u32 v6, v6, 10, 0x2000
	s_delay_alu instid0(VALU_DEP_1) | instskip(NEXT) | instid1(VALU_DEP_1)
	v_and_or_b32 v0, 0x8000, v0, v6
	v_lshl_or_b32 v78, v0, 16, v1
.LBB300_472:                            ;   in Loop: Header=BB300_10 Depth=1
	s_or_b32 exec_lo, exec_lo, s17
.LBB300_473:                            ;   in Loop: Header=BB300_10 Depth=1
	s_delay_alu instid0(SALU_CYCLE_1)
	s_or_b32 exec_lo, exec_lo, s16
.LBB300_474:                            ;   in Loop: Header=BB300_10 Depth=1
	s_delay_alu instid0(SALU_CYCLE_1) | instskip(SKIP_2) | instid1(VALU_DEP_1)
	s_or_b32 exec_lo, exec_lo, s11
	v_lshrrev_b32_e32 v8, 16, v4
	s_mov_b32 s11, exec_lo
	v_and_b32_e32 v0, 0xff, v8
	s_delay_alu instid0(VALU_DEP_1)
	v_cmpx_ne_u16_e32 0, v0
	s_cbranch_execz .LBB300_482
; %bb.475:                              ;   in Loop: Header=BB300_10 Depth=1
	v_mov_b32_e32 v73, 0x8000
	s_mov_b32 s16, exec_lo
	v_cmpx_ne_u16_e32 0x80, v0
	s_cbranch_execz .LBB300_481
; %bb.476:                              ;   in Loop: Header=BB300_10 Depth=1
	v_bfe_u32 v6, v4, 16, 7
	v_mov_b32_e32 v73, 0x7c01
	s_mov_b32 s17, exec_lo
	s_delay_alu instid0(VALU_DEP_2)
	v_cmpx_ne_u32_e32 0x7f, v6
	s_cbranch_execz .LBB300_480
; %bb.477:                              ;   in Loop: Header=BB300_10 Depth=1
	v_dual_lshrrev_b32 v1, 3, v6 :: v_dual_bitop2_b32 v0, 7, v8 bitop3:0x40
	s_mov_b32 s18, exec_lo
	v_cmpx_gt_u32_e32 8, v6
; %bb.478:                              ;   in Loop: Header=BB300_10 Depth=1
	s_delay_alu instid0(VALU_DEP_2) | instskip(NEXT) | instid1(VALU_DEP_1)
	v_clz_i32_u32_e32 v0, v0
	v_min_u32_e32 v6, 32, v0
	s_delay_alu instid0(VALU_DEP_1) | instskip(NEXT) | instid1(VALU_DEP_1)
	v_subrev_nc_u32_e32 v0, 28, v6
	v_lshlrev_b64_e32 v[0:1], v0, v[8:9]
	s_delay_alu instid0(VALU_DEP_1)
	v_dual_sub_nc_u32 v1, 29, v6 :: v_dual_bitop2_b32 v0, 7, v0 bitop3:0x40
; %bb.479:                              ;   in Loop: Header=BB300_10 Depth=1
	s_or_b32 exec_lo, exec_lo, s18
	v_lshlrev_b32_e32 v6, 8, v8
	s_delay_alu instid0(VALU_DEP_2) | instskip(NEXT) | instid1(VALU_DEP_3)
	v_lshl_add_u32 v1, v1, 10, 0x2000
	v_lshlrev_b32_e32 v0, 7, v0
	s_delay_alu instid0(VALU_DEP_3) | instskip(NEXT) | instid1(VALU_DEP_3)
	v_and_b32_e32 v6, 0x8000, v6
	v_and_b32_e32 v1, 0xfc00, v1
	s_delay_alu instid0(VALU_DEP_1)
	v_or3_b32 v73, v6, v1, v0
.LBB300_480:                            ;   in Loop: Header=BB300_10 Depth=1
	s_or_b32 exec_lo, exec_lo, s17
.LBB300_481:                            ;   in Loop: Header=BB300_10 Depth=1
	s_delay_alu instid0(SALU_CYCLE_1)
	s_or_b32 exec_lo, exec_lo, s16
.LBB300_482:                            ;   in Loop: Header=BB300_10 Depth=1
	s_delay_alu instid0(SALU_CYCLE_1)
	s_or_b32 exec_lo, exec_lo, s11
	v_dual_mov_b32 v75, 0 :: v_dual_mov_b32 v79, 0
	s_mov_b32 s11, exec_lo
	v_cmpx_lt_u32_e32 0xffffff, v4
	s_cbranch_execz .LBB300_490
; %bb.483:                              ;   in Loop: Header=BB300_10 Depth=1
	v_lshrrev_b32_e32 v14, 24, v4
	v_bfrev_b32_e32 v79, 1
	s_mov_b32 s16, exec_lo
	s_delay_alu instid0(VALU_DEP_2)
	v_cmpx_ne_u32_e32 0x80, v14
	s_cbranch_execz .LBB300_489
; %bb.484:                              ;   in Loop: Header=BB300_10 Depth=1
	v_and_b32_e32 v6, 0x7f, v14
	v_mov_b32_e32 v79, 0x7c010000
	s_mov_b32 s17, exec_lo
	s_delay_alu instid0(VALU_DEP_2)
	v_cmpx_ne_u32_e32 0x7f, v6
	s_cbranch_execz .LBB300_488
; %bb.485:                              ;   in Loop: Header=BB300_10 Depth=1
	v_and_b32_e32 v0, 7, v14
	v_lshrrev_b32_e32 v1, 3, v6
	s_mov_b32 s18, exec_lo
	v_cmpx_gt_u32_e32 8, v6
; %bb.486:                              ;   in Loop: Header=BB300_10 Depth=1
	s_delay_alu instid0(VALU_DEP_3) | instskip(NEXT) | instid1(VALU_DEP_1)
	v_clz_i32_u32_e32 v0, v0
	v_min_u32_e32 v6, 32, v0
	s_delay_alu instid0(VALU_DEP_1) | instskip(NEXT) | instid1(VALU_DEP_1)
	v_subrev_nc_u32_e32 v0, 28, v6
	v_lshlrev_b64_e32 v[0:1], v0, v[14:15]
	s_delay_alu instid0(VALU_DEP_1)
	v_dual_sub_nc_u32 v1, 29, v6 :: v_dual_bitop2_b32 v0, 7, v0 bitop3:0x40
; %bb.487:                              ;   in Loop: Header=BB300_10 Depth=1
	s_or_b32 exec_lo, exec_lo, s18
	s_delay_alu instid0(VALU_DEP_1) | instskip(NEXT) | instid1(VALU_DEP_2)
	v_dual_lshlrev_b32 v6, 8, v14 :: v_dual_lshlrev_b32 v0, 23, v0
	v_lshl_add_u32 v1, v1, 10, 0x2000
	s_delay_alu instid0(VALU_DEP_1) | instskip(NEXT) | instid1(VALU_DEP_1)
	v_and_or_b32 v1, 0x8000, v6, v1
	v_lshl_or_b32 v79, v1, 16, v0
.LBB300_488:                            ;   in Loop: Header=BB300_10 Depth=1
	s_or_b32 exec_lo, exec_lo, s17
.LBB300_489:                            ;   in Loop: Header=BB300_10 Depth=1
	s_delay_alu instid0(SALU_CYCLE_1)
	s_or_b32 exec_lo, exec_lo, s16
.LBB300_490:                            ;   in Loop: Header=BB300_10 Depth=1
	s_delay_alu instid0(SALU_CYCLE_1) | instskip(SKIP_3) | instid1(VALU_DEP_2)
	s_or_b32 exec_lo, exec_lo, s11
	v_and_b32_e32 v0, 0xff, v5
	v_mov_b32_e32 v14, v5
	s_mov_b32 s11, exec_lo
	v_cmpx_ne_u16_e32 0, v0
	s_cbranch_execz .LBB300_498
; %bb.491:                              ;   in Loop: Header=BB300_10 Depth=1
	v_mov_b32_e32 v75, 0x8000
	s_mov_b32 s16, exec_lo
	v_cmpx_ne_u16_e32 0x80, v0
	s_cbranch_execz .LBB300_497
; %bb.492:                              ;   in Loop: Header=BB300_10 Depth=1
	v_and_b32_e32 v6, 0x7f, v5
	v_mov_b32_e32 v75, 0x7c01
	s_mov_b32 s17, exec_lo
	s_delay_alu instid0(VALU_DEP_2)
	v_cmpx_ne_u32_e32 0x7f, v6
	s_cbranch_execz .LBB300_496
; %bb.493:                              ;   in Loop: Header=BB300_10 Depth=1
	v_dual_lshrrev_b32 v1, 3, v6 :: v_dual_bitop2_b32 v0, 7, v5 bitop3:0x40
	s_mov_b32 s18, exec_lo
	v_cmpx_gt_u32_e32 8, v6
; %bb.494:                              ;   in Loop: Header=BB300_10 Depth=1
	s_delay_alu instid0(VALU_DEP_2) | instskip(NEXT) | instid1(VALU_DEP_1)
	v_clz_i32_u32_e32 v0, v0
	v_min_u32_e32 v6, 32, v0
	s_delay_alu instid0(VALU_DEP_1) | instskip(NEXT) | instid1(VALU_DEP_1)
	v_subrev_nc_u32_e32 v0, 28, v6
	v_lshlrev_b64_e32 v[0:1], v0, v[14:15]
	s_delay_alu instid0(VALU_DEP_1)
	v_dual_sub_nc_u32 v1, 29, v6 :: v_dual_bitop2_b32 v0, 7, v0 bitop3:0x40
; %bb.495:                              ;   in Loop: Header=BB300_10 Depth=1
	s_or_b32 exec_lo, exec_lo, s18
	s_delay_alu instid0(VALU_DEP_1) | instskip(NEXT) | instid1(VALU_DEP_2)
	v_dual_lshlrev_b32 v6, 8, v5 :: v_dual_lshlrev_b32 v0, 7, v0
	v_lshl_add_u32 v1, v1, 10, 0x2000
	s_delay_alu instid0(VALU_DEP_2) | instskip(NEXT) | instid1(VALU_DEP_2)
	v_and_b32_e32 v6, 0x8000, v6
	v_and_b32_e32 v1, 0xfc00, v1
	s_delay_alu instid0(VALU_DEP_1)
	v_or3_b32 v75, v6, v1, v0
.LBB300_496:                            ;   in Loop: Header=BB300_10 Depth=1
	s_or_b32 exec_lo, exec_lo, s17
.LBB300_497:                            ;   in Loop: Header=BB300_10 Depth=1
	s_delay_alu instid0(SALU_CYCLE_1)
	s_or_b32 exec_lo, exec_lo, s16
.LBB300_498:                            ;   in Loop: Header=BB300_10 Depth=1
	s_delay_alu instid0(SALU_CYCLE_1) | instskip(SKIP_3) | instid1(VALU_DEP_2)
	s_or_b32 exec_lo, exec_lo, s11
	v_lshrrev_b16 v14, 8, v14
	v_dual_mov_b32 v77, 0 :: v_dual_mov_b32 v90, 0
	s_mov_b32 s11, exec_lo
	v_cmpx_ne_u16_e32 0, v14
	s_cbranch_execz .LBB300_506
; %bb.499:                              ;   in Loop: Header=BB300_10 Depth=1
	v_bfrev_b32_e32 v90, 1
	s_mov_b32 s16, exec_lo
	v_cmpx_ne_u16_e32 0x80, v14
	s_cbranch_execz .LBB300_505
; %bb.500:                              ;   in Loop: Header=BB300_10 Depth=1
	v_and_b32_e32 v0, 0xffff, v14
	v_mov_b32_e32 v90, 0x7c010000
	s_mov_b32 s17, exec_lo
	s_delay_alu instid0(VALU_DEP_2) | instskip(NEXT) | instid1(VALU_DEP_1)
	v_and_b32_e32 v7, 0x7f, v0
	v_cmpx_ne_u32_e32 0x7f, v7
	s_cbranch_execz .LBB300_504
; %bb.501:                              ;   in Loop: Header=BB300_10 Depth=1
	v_dual_lshrrev_b32 v6, 3, v7 :: v_dual_bitop2_b32 v1, 7, v0 bitop3:0x40
	s_mov_b32 s18, exec_lo
	v_cmpx_gt_u32_e32 8, v7
; %bb.502:                              ;   in Loop: Header=BB300_10 Depth=1
	s_delay_alu instid0(VALU_DEP_2) | instskip(NEXT) | instid1(VALU_DEP_1)
	v_clz_i32_u32_e32 v1, v1
	v_min_u32_e32 v1, 32, v1
	s_delay_alu instid0(VALU_DEP_1) | instskip(NEXT) | instid1(VALU_DEP_1)
	v_subrev_nc_u32_e32 v6, 28, v1
	v_lshlrev_b64_e32 v[8:9], v6, v[14:15]
	s_delay_alu instid0(VALU_DEP_1)
	v_dual_sub_nc_u32 v6, 29, v1 :: v_dual_bitop2_b32 v1, 7, v8 bitop3:0x40
; %bb.503:                              ;   in Loop: Header=BB300_10 Depth=1
	s_or_b32 exec_lo, exec_lo, s18
	s_delay_alu instid0(VALU_DEP_1) | instskip(NEXT) | instid1(VALU_DEP_2)
	v_dual_lshlrev_b32 v0, 8, v0 :: v_dual_lshlrev_b32 v1, 23, v1
	v_lshl_add_u32 v6, v6, 10, 0x2000
	s_delay_alu instid0(VALU_DEP_1) | instskip(NEXT) | instid1(VALU_DEP_1)
	v_and_or_b32 v0, 0x8000, v0, v6
	v_lshl_or_b32 v90, v0, 16, v1
.LBB300_504:                            ;   in Loop: Header=BB300_10 Depth=1
	s_or_b32 exec_lo, exec_lo, s17
.LBB300_505:                            ;   in Loop: Header=BB300_10 Depth=1
	s_delay_alu instid0(SALU_CYCLE_1)
	s_or_b32 exec_lo, exec_lo, s16
.LBB300_506:                            ;   in Loop: Header=BB300_10 Depth=1
	s_delay_alu instid0(SALU_CYCLE_1) | instskip(SKIP_2) | instid1(VALU_DEP_1)
	s_or_b32 exec_lo, exec_lo, s11
	v_lshrrev_b32_e32 v8, 16, v5
	s_mov_b32 s11, exec_lo
	v_and_b32_e32 v0, 0xff, v8
	s_delay_alu instid0(VALU_DEP_1)
	v_cmpx_ne_u16_e32 0, v0
	s_cbranch_execz .LBB300_514
; %bb.507:                              ;   in Loop: Header=BB300_10 Depth=1
	v_mov_b32_e32 v77, 0x8000
	s_mov_b32 s16, exec_lo
	v_cmpx_ne_u16_e32 0x80, v0
	s_cbranch_execz .LBB300_513
; %bb.508:                              ;   in Loop: Header=BB300_10 Depth=1
	v_bfe_u32 v6, v5, 16, 7
	v_mov_b32_e32 v77, 0x7c01
	s_mov_b32 s17, exec_lo
	s_delay_alu instid0(VALU_DEP_2)
	v_cmpx_ne_u32_e32 0x7f, v6
	s_cbranch_execz .LBB300_512
; %bb.509:                              ;   in Loop: Header=BB300_10 Depth=1
	v_dual_lshrrev_b32 v1, 3, v6 :: v_dual_bitop2_b32 v0, 7, v8 bitop3:0x40
	s_mov_b32 s18, exec_lo
	v_cmpx_gt_u32_e32 8, v6
; %bb.510:                              ;   in Loop: Header=BB300_10 Depth=1
	s_delay_alu instid0(VALU_DEP_2) | instskip(NEXT) | instid1(VALU_DEP_1)
	v_clz_i32_u32_e32 v0, v0
	v_min_u32_e32 v6, 32, v0
	s_delay_alu instid0(VALU_DEP_1) | instskip(NEXT) | instid1(VALU_DEP_1)
	v_subrev_nc_u32_e32 v0, 28, v6
	v_lshlrev_b64_e32 v[0:1], v0, v[8:9]
	s_delay_alu instid0(VALU_DEP_1)
	v_dual_sub_nc_u32 v1, 29, v6 :: v_dual_bitop2_b32 v0, 7, v0 bitop3:0x40
; %bb.511:                              ;   in Loop: Header=BB300_10 Depth=1
	s_or_b32 exec_lo, exec_lo, s18
	v_lshlrev_b32_e32 v6, 8, v8
	s_delay_alu instid0(VALU_DEP_2) | instskip(NEXT) | instid1(VALU_DEP_3)
	v_lshl_add_u32 v1, v1, 10, 0x2000
	v_lshlrev_b32_e32 v0, 7, v0
	s_delay_alu instid0(VALU_DEP_3) | instskip(NEXT) | instid1(VALU_DEP_3)
	v_and_b32_e32 v6, 0x8000, v6
	v_and_b32_e32 v1, 0xfc00, v1
	s_delay_alu instid0(VALU_DEP_1)
	v_or3_b32 v77, v6, v1, v0
.LBB300_512:                            ;   in Loop: Header=BB300_10 Depth=1
	s_or_b32 exec_lo, exec_lo, s17
.LBB300_513:                            ;   in Loop: Header=BB300_10 Depth=1
	s_delay_alu instid0(SALU_CYCLE_1)
	s_or_b32 exec_lo, exec_lo, s16
.LBB300_514:                            ;   in Loop: Header=BB300_10 Depth=1
	s_delay_alu instid0(SALU_CYCLE_1)
	s_or_b32 exec_lo, exec_lo, s11
	v_dual_mov_b32 v123, 0 :: v_dual_mov_b32 v92, 0
	s_mov_b32 s11, exec_lo
	v_cmpx_lt_u64_e64 s[2:3], v[4:5]
	s_cbranch_execz .LBB300_522
; %bb.515:                              ;   in Loop: Header=BB300_10 Depth=1
	v_lshrrev_b32_e32 v14, 24, v5
	v_bfrev_b32_e32 v92, 1
	s_mov_b32 s16, exec_lo
	s_delay_alu instid0(VALU_DEP_2)
	v_cmpx_ne_u32_e32 0x80, v14
	s_cbranch_execz .LBB300_521
; %bb.516:                              ;   in Loop: Header=BB300_10 Depth=1
	v_and_b32_e32 v4, 0x7f, v14
	v_mov_b32_e32 v92, 0x7c010000
	s_mov_b32 s17, exec_lo
	s_delay_alu instid0(VALU_DEP_2)
	v_cmpx_ne_u32_e32 0x7f, v4
	s_cbranch_execz .LBB300_520
; %bb.517:                              ;   in Loop: Header=BB300_10 Depth=1
	v_dual_lshrrev_b32 v1, 3, v4 :: v_dual_bitop2_b32 v0, 7, v14 bitop3:0x40
	s_mov_b32 s18, exec_lo
	v_cmpx_gt_u32_e32 8, v4
; %bb.518:                              ;   in Loop: Header=BB300_10 Depth=1
	s_delay_alu instid0(VALU_DEP_2) | instskip(NEXT) | instid1(VALU_DEP_1)
	v_clz_i32_u32_e32 v0, v0
	v_min_u32_e32 v4, 32, v0
	s_delay_alu instid0(VALU_DEP_1) | instskip(NEXT) | instid1(VALU_DEP_1)
	v_subrev_nc_u32_e32 v0, 28, v4
	v_lshlrev_b64_e32 v[0:1], v0, v[14:15]
	v_sub_nc_u32_e32 v1, 29, v4
	s_delay_alu instid0(VALU_DEP_2)
	v_and_b32_e32 v0, 7, v0
; %bb.519:                              ;   in Loop: Header=BB300_10 Depth=1
	s_or_b32 exec_lo, exec_lo, s18
	s_delay_alu instid0(VALU_DEP_1) | instskip(NEXT) | instid1(VALU_DEP_3)
	v_dual_lshlrev_b32 v4, 8, v14 :: v_dual_lshlrev_b32 v0, 23, v0
	v_lshl_add_u32 v1, v1, 10, 0x2000
	s_delay_alu instid0(VALU_DEP_1) | instskip(NEXT) | instid1(VALU_DEP_1)
	v_and_or_b32 v1, 0x8000, v4, v1
	v_lshl_or_b32 v92, v1, 16, v0
.LBB300_520:                            ;   in Loop: Header=BB300_10 Depth=1
	s_or_b32 exec_lo, exec_lo, s17
.LBB300_521:                            ;   in Loop: Header=BB300_10 Depth=1
	s_delay_alu instid0(SALU_CYCLE_1)
	s_or_b32 exec_lo, exec_lo, s16
.LBB300_522:                            ;   in Loop: Header=BB300_10 Depth=1
	s_delay_alu instid0(SALU_CYCLE_1)
	s_or_b32 exec_lo, exec_lo, s11
	flat_load_b64 v[4:5], v[2:3] offset:2048
	s_mov_b32 s11, exec_lo
	s_wait_loadcnt_dscnt 0x0
	v_and_b32_e32 v0, 0xff, v4
	s_wait_xcnt 0x0
	s_delay_alu instid0(VALU_DEP_1)
	v_cmpx_ne_u16_e32 0, v0
	s_cbranch_execz .LBB300_530
; %bb.523:                              ;   in Loop: Header=BB300_10 Depth=1
	v_mov_b32_e32 v123, 0x8000
	s_mov_b32 s16, exec_lo
	v_cmpx_ne_u16_e32 0x80, v0
	s_cbranch_execz .LBB300_529
; %bb.524:                              ;   in Loop: Header=BB300_10 Depth=1
	v_and_b32_e32 v6, 0x7f, v4
	v_mov_b32_e32 v123, 0x7c01
	s_mov_b32 s17, exec_lo
	s_delay_alu instid0(VALU_DEP_2)
	v_cmpx_ne_u32_e32 0x7f, v6
	s_cbranch_execz .LBB300_528
; %bb.525:                              ;   in Loop: Header=BB300_10 Depth=1
	v_dual_lshrrev_b32 v1, 3, v6 :: v_dual_bitop2_b32 v0, 7, v4 bitop3:0x40
	s_mov_b32 s18, exec_lo
	v_cmpx_gt_u32_e32 8, v6
; %bb.526:                              ;   in Loop: Header=BB300_10 Depth=1
	s_delay_alu instid0(VALU_DEP_2) | instskip(NEXT) | instid1(VALU_DEP_1)
	v_clz_i32_u32_e32 v0, v0
	v_min_u32_e32 v6, 32, v0
	s_delay_alu instid0(VALU_DEP_1) | instskip(NEXT) | instid1(VALU_DEP_1)
	v_subrev_nc_u32_e32 v0, 28, v6
	v_lshlrev_b64_e32 v[0:1], v0, v[4:5]
	s_delay_alu instid0(VALU_DEP_1)
	v_dual_sub_nc_u32 v1, 29, v6 :: v_dual_bitop2_b32 v0, 7, v0 bitop3:0x40
; %bb.527:                              ;   in Loop: Header=BB300_10 Depth=1
	s_or_b32 exec_lo, exec_lo, s18
	v_lshlrev_b32_e32 v6, 8, v4
	s_delay_alu instid0(VALU_DEP_2) | instskip(NEXT) | instid1(VALU_DEP_3)
	v_lshl_add_u32 v1, v1, 10, 0x2000
	v_lshlrev_b32_e32 v0, 7, v0
	s_delay_alu instid0(VALU_DEP_3) | instskip(NEXT) | instid1(VALU_DEP_3)
	v_and_b32_e32 v6, 0x8000, v6
	v_and_b32_e32 v1, 0xfc00, v1
	s_delay_alu instid0(VALU_DEP_1)
	v_or3_b32 v123, v6, v1, v0
.LBB300_528:                            ;   in Loop: Header=BB300_10 Depth=1
	s_or_b32 exec_lo, exec_lo, s17
.LBB300_529:                            ;   in Loop: Header=BB300_10 Depth=1
	s_delay_alu instid0(SALU_CYCLE_1)
	s_or_b32 exec_lo, exec_lo, s16
.LBB300_530:                            ;   in Loop: Header=BB300_10 Depth=1
	s_delay_alu instid0(SALU_CYCLE_1) | instskip(SKIP_3) | instid1(VALU_DEP_2)
	s_or_b32 exec_lo, exec_lo, s11
	v_lshrrev_b16 v14, 8, v4
	v_dual_mov_b32 v71, 0 :: v_dual_mov_b32 v84, 0
	s_mov_b32 s11, exec_lo
	v_cmpx_ne_u16_e32 0, v14
	s_cbranch_execz .LBB300_538
; %bb.531:                              ;   in Loop: Header=BB300_10 Depth=1
	v_bfrev_b32_e32 v84, 1
	s_mov_b32 s16, exec_lo
	v_cmpx_ne_u16_e32 0x80, v14
	s_cbranch_execz .LBB300_537
; %bb.532:                              ;   in Loop: Header=BB300_10 Depth=1
	v_and_b32_e32 v0, 0xffff, v14
	v_mov_b32_e32 v84, 0x7c010000
	s_mov_b32 s17, exec_lo
	s_delay_alu instid0(VALU_DEP_2) | instskip(NEXT) | instid1(VALU_DEP_1)
	v_and_b32_e32 v7, 0x7f, v0
	v_cmpx_ne_u32_e32 0x7f, v7
	s_cbranch_execz .LBB300_536
; %bb.533:                              ;   in Loop: Header=BB300_10 Depth=1
	v_dual_lshrrev_b32 v6, 3, v7 :: v_dual_bitop2_b32 v1, 7, v0 bitop3:0x40
	s_mov_b32 s18, exec_lo
	v_cmpx_gt_u32_e32 8, v7
; %bb.534:                              ;   in Loop: Header=BB300_10 Depth=1
	s_delay_alu instid0(VALU_DEP_2) | instskip(NEXT) | instid1(VALU_DEP_1)
	v_clz_i32_u32_e32 v1, v1
	v_min_u32_e32 v1, 32, v1
	s_delay_alu instid0(VALU_DEP_1) | instskip(NEXT) | instid1(VALU_DEP_1)
	v_subrev_nc_u32_e32 v6, 28, v1
	v_lshlrev_b64_e32 v[8:9], v6, v[14:15]
	s_delay_alu instid0(VALU_DEP_1)
	v_dual_sub_nc_u32 v6, 29, v1 :: v_dual_bitop2_b32 v1, 7, v8 bitop3:0x40
; %bb.535:                              ;   in Loop: Header=BB300_10 Depth=1
	s_or_b32 exec_lo, exec_lo, s18
	s_delay_alu instid0(VALU_DEP_1) | instskip(NEXT) | instid1(VALU_DEP_2)
	v_dual_lshlrev_b32 v0, 8, v0 :: v_dual_lshlrev_b32 v1, 23, v1
	v_lshl_add_u32 v6, v6, 10, 0x2000
	s_delay_alu instid0(VALU_DEP_1) | instskip(NEXT) | instid1(VALU_DEP_1)
	v_and_or_b32 v0, 0x8000, v0, v6
	v_lshl_or_b32 v84, v0, 16, v1
.LBB300_536:                            ;   in Loop: Header=BB300_10 Depth=1
	s_or_b32 exec_lo, exec_lo, s17
.LBB300_537:                            ;   in Loop: Header=BB300_10 Depth=1
	s_delay_alu instid0(SALU_CYCLE_1)
	s_or_b32 exec_lo, exec_lo, s16
.LBB300_538:                            ;   in Loop: Header=BB300_10 Depth=1
	s_delay_alu instid0(SALU_CYCLE_1) | instskip(SKIP_2) | instid1(VALU_DEP_1)
	s_or_b32 exec_lo, exec_lo, s11
	v_lshrrev_b32_e32 v8, 16, v4
	s_mov_b32 s11, exec_lo
	v_and_b32_e32 v0, 0xff, v8
	s_delay_alu instid0(VALU_DEP_1)
	v_cmpx_ne_u16_e32 0, v0
	s_cbranch_execz .LBB300_546
; %bb.539:                              ;   in Loop: Header=BB300_10 Depth=1
	v_mov_b32_e32 v71, 0x8000
	s_mov_b32 s16, exec_lo
	v_cmpx_ne_u16_e32 0x80, v0
	s_cbranch_execz .LBB300_545
; %bb.540:                              ;   in Loop: Header=BB300_10 Depth=1
	v_bfe_u32 v6, v4, 16, 7
	v_mov_b32_e32 v71, 0x7c01
	s_mov_b32 s17, exec_lo
	s_delay_alu instid0(VALU_DEP_2)
	v_cmpx_ne_u32_e32 0x7f, v6
	s_cbranch_execz .LBB300_544
; %bb.541:                              ;   in Loop: Header=BB300_10 Depth=1
	v_dual_lshrrev_b32 v1, 3, v6 :: v_dual_bitop2_b32 v0, 7, v8 bitop3:0x40
	s_mov_b32 s18, exec_lo
	v_cmpx_gt_u32_e32 8, v6
; %bb.542:                              ;   in Loop: Header=BB300_10 Depth=1
	s_delay_alu instid0(VALU_DEP_2) | instskip(NEXT) | instid1(VALU_DEP_1)
	v_clz_i32_u32_e32 v0, v0
	v_min_u32_e32 v6, 32, v0
	s_delay_alu instid0(VALU_DEP_1) | instskip(NEXT) | instid1(VALU_DEP_1)
	v_subrev_nc_u32_e32 v0, 28, v6
	v_lshlrev_b64_e32 v[0:1], v0, v[8:9]
	s_delay_alu instid0(VALU_DEP_1)
	v_dual_sub_nc_u32 v1, 29, v6 :: v_dual_bitop2_b32 v0, 7, v0 bitop3:0x40
; %bb.543:                              ;   in Loop: Header=BB300_10 Depth=1
	s_or_b32 exec_lo, exec_lo, s18
	v_lshlrev_b32_e32 v6, 8, v8
	s_delay_alu instid0(VALU_DEP_2) | instskip(NEXT) | instid1(VALU_DEP_3)
	v_lshl_add_u32 v1, v1, 10, 0x2000
	v_lshlrev_b32_e32 v0, 7, v0
	s_delay_alu instid0(VALU_DEP_3) | instskip(NEXT) | instid1(VALU_DEP_3)
	v_and_b32_e32 v6, 0x8000, v6
	v_and_b32_e32 v1, 0xfc00, v1
	s_delay_alu instid0(VALU_DEP_1)
	v_or3_b32 v71, v6, v1, v0
.LBB300_544:                            ;   in Loop: Header=BB300_10 Depth=1
	s_or_b32 exec_lo, exec_lo, s17
.LBB300_545:                            ;   in Loop: Header=BB300_10 Depth=1
	s_delay_alu instid0(SALU_CYCLE_1)
	s_or_b32 exec_lo, exec_lo, s16
.LBB300_546:                            ;   in Loop: Header=BB300_10 Depth=1
	s_delay_alu instid0(SALU_CYCLE_1)
	s_or_b32 exec_lo, exec_lo, s11
	v_dual_mov_b32 v88, 0 :: v_dual_mov_b32 v93, 0
	s_mov_b32 s11, exec_lo
	v_cmpx_lt_u32_e32 0xffffff, v4
	s_cbranch_execz .LBB300_554
; %bb.547:                              ;   in Loop: Header=BB300_10 Depth=1
	v_lshrrev_b32_e32 v14, 24, v4
	v_bfrev_b32_e32 v93, 1
	s_mov_b32 s16, exec_lo
	s_delay_alu instid0(VALU_DEP_2)
	v_cmpx_ne_u32_e32 0x80, v14
	s_cbranch_execz .LBB300_553
; %bb.548:                              ;   in Loop: Header=BB300_10 Depth=1
	v_and_b32_e32 v6, 0x7f, v14
	v_mov_b32_e32 v93, 0x7c010000
	s_mov_b32 s17, exec_lo
	s_delay_alu instid0(VALU_DEP_2)
	v_cmpx_ne_u32_e32 0x7f, v6
	s_cbranch_execz .LBB300_552
; %bb.549:                              ;   in Loop: Header=BB300_10 Depth=1
	v_and_b32_e32 v0, 7, v14
	v_lshrrev_b32_e32 v1, 3, v6
	s_mov_b32 s18, exec_lo
	v_cmpx_gt_u32_e32 8, v6
; %bb.550:                              ;   in Loop: Header=BB300_10 Depth=1
	s_delay_alu instid0(VALU_DEP_3) | instskip(NEXT) | instid1(VALU_DEP_1)
	v_clz_i32_u32_e32 v0, v0
	v_min_u32_e32 v6, 32, v0
	s_delay_alu instid0(VALU_DEP_1) | instskip(NEXT) | instid1(VALU_DEP_1)
	v_subrev_nc_u32_e32 v0, 28, v6
	v_lshlrev_b64_e32 v[0:1], v0, v[14:15]
	s_delay_alu instid0(VALU_DEP_1)
	v_dual_sub_nc_u32 v1, 29, v6 :: v_dual_bitop2_b32 v0, 7, v0 bitop3:0x40
; %bb.551:                              ;   in Loop: Header=BB300_10 Depth=1
	s_or_b32 exec_lo, exec_lo, s18
	s_delay_alu instid0(VALU_DEP_1) | instskip(NEXT) | instid1(VALU_DEP_2)
	v_dual_lshlrev_b32 v6, 8, v14 :: v_dual_lshlrev_b32 v0, 23, v0
	v_lshl_add_u32 v1, v1, 10, 0x2000
	s_delay_alu instid0(VALU_DEP_1) | instskip(NEXT) | instid1(VALU_DEP_1)
	v_and_or_b32 v1, 0x8000, v6, v1
	v_lshl_or_b32 v93, v1, 16, v0
.LBB300_552:                            ;   in Loop: Header=BB300_10 Depth=1
	s_or_b32 exec_lo, exec_lo, s17
.LBB300_553:                            ;   in Loop: Header=BB300_10 Depth=1
	s_delay_alu instid0(SALU_CYCLE_1)
	s_or_b32 exec_lo, exec_lo, s16
.LBB300_554:                            ;   in Loop: Header=BB300_10 Depth=1
	s_delay_alu instid0(SALU_CYCLE_1) | instskip(SKIP_3) | instid1(VALU_DEP_2)
	s_or_b32 exec_lo, exec_lo, s11
	v_and_b32_e32 v0, 0xff, v5
	v_mov_b32_e32 v14, v5
	s_mov_b32 s11, exec_lo
	v_cmpx_ne_u16_e32 0, v0
	s_cbranch_execz .LBB300_562
; %bb.555:                              ;   in Loop: Header=BB300_10 Depth=1
	v_mov_b32_e32 v88, 0x8000
	s_mov_b32 s16, exec_lo
	v_cmpx_ne_u16_e32 0x80, v0
	s_cbranch_execz .LBB300_561
; %bb.556:                              ;   in Loop: Header=BB300_10 Depth=1
	v_and_b32_e32 v6, 0x7f, v5
	v_mov_b32_e32 v88, 0x7c01
	s_mov_b32 s17, exec_lo
	s_delay_alu instid0(VALU_DEP_2)
	v_cmpx_ne_u32_e32 0x7f, v6
	s_cbranch_execz .LBB300_560
; %bb.557:                              ;   in Loop: Header=BB300_10 Depth=1
	v_dual_lshrrev_b32 v1, 3, v6 :: v_dual_bitop2_b32 v0, 7, v5 bitop3:0x40
	s_mov_b32 s18, exec_lo
	v_cmpx_gt_u32_e32 8, v6
; %bb.558:                              ;   in Loop: Header=BB300_10 Depth=1
	s_delay_alu instid0(VALU_DEP_2) | instskip(NEXT) | instid1(VALU_DEP_1)
	v_clz_i32_u32_e32 v0, v0
	v_min_u32_e32 v6, 32, v0
	s_delay_alu instid0(VALU_DEP_1) | instskip(NEXT) | instid1(VALU_DEP_1)
	v_subrev_nc_u32_e32 v0, 28, v6
	v_lshlrev_b64_e32 v[0:1], v0, v[14:15]
	s_delay_alu instid0(VALU_DEP_1)
	v_dual_sub_nc_u32 v1, 29, v6 :: v_dual_bitop2_b32 v0, 7, v0 bitop3:0x40
; %bb.559:                              ;   in Loop: Header=BB300_10 Depth=1
	s_or_b32 exec_lo, exec_lo, s18
	s_delay_alu instid0(VALU_DEP_1) | instskip(NEXT) | instid1(VALU_DEP_2)
	v_dual_lshlrev_b32 v6, 8, v5 :: v_dual_lshlrev_b32 v0, 7, v0
	v_lshl_add_u32 v1, v1, 10, 0x2000
	s_delay_alu instid0(VALU_DEP_2) | instskip(NEXT) | instid1(VALU_DEP_2)
	v_and_b32_e32 v6, 0x8000, v6
	v_and_b32_e32 v1, 0xfc00, v1
	s_delay_alu instid0(VALU_DEP_1)
	v_or3_b32 v88, v6, v1, v0
.LBB300_560:                            ;   in Loop: Header=BB300_10 Depth=1
	s_or_b32 exec_lo, exec_lo, s17
.LBB300_561:                            ;   in Loop: Header=BB300_10 Depth=1
	s_delay_alu instid0(SALU_CYCLE_1)
	s_or_b32 exec_lo, exec_lo, s16
.LBB300_562:                            ;   in Loop: Header=BB300_10 Depth=1
	s_delay_alu instid0(SALU_CYCLE_1) | instskip(SKIP_3) | instid1(VALU_DEP_2)
	s_or_b32 exec_lo, exec_lo, s11
	v_lshrrev_b16 v14, 8, v14
	v_dual_mov_b32 v94, 0 :: v_dual_mov_b32 v112, 0
	s_mov_b32 s11, exec_lo
	v_cmpx_ne_u16_e32 0, v14
	s_cbranch_execz .LBB300_570
; %bb.563:                              ;   in Loop: Header=BB300_10 Depth=1
	v_bfrev_b32_e32 v112, 1
	s_mov_b32 s16, exec_lo
	v_cmpx_ne_u16_e32 0x80, v14
	s_cbranch_execz .LBB300_569
; %bb.564:                              ;   in Loop: Header=BB300_10 Depth=1
	v_and_b32_e32 v0, 0xffff, v14
	v_mov_b32_e32 v112, 0x7c010000
	s_mov_b32 s17, exec_lo
	s_delay_alu instid0(VALU_DEP_2) | instskip(NEXT) | instid1(VALU_DEP_1)
	v_and_b32_e32 v7, 0x7f, v0
	v_cmpx_ne_u32_e32 0x7f, v7
	s_cbranch_execz .LBB300_568
; %bb.565:                              ;   in Loop: Header=BB300_10 Depth=1
	v_dual_lshrrev_b32 v6, 3, v7 :: v_dual_bitop2_b32 v1, 7, v0 bitop3:0x40
	s_mov_b32 s18, exec_lo
	v_cmpx_gt_u32_e32 8, v7
; %bb.566:                              ;   in Loop: Header=BB300_10 Depth=1
	s_delay_alu instid0(VALU_DEP_2) | instskip(NEXT) | instid1(VALU_DEP_1)
	v_clz_i32_u32_e32 v1, v1
	v_min_u32_e32 v1, 32, v1
	s_delay_alu instid0(VALU_DEP_1) | instskip(NEXT) | instid1(VALU_DEP_1)
	v_subrev_nc_u32_e32 v6, 28, v1
	v_lshlrev_b64_e32 v[8:9], v6, v[14:15]
	s_delay_alu instid0(VALU_DEP_1)
	v_dual_sub_nc_u32 v6, 29, v1 :: v_dual_bitop2_b32 v1, 7, v8 bitop3:0x40
; %bb.567:                              ;   in Loop: Header=BB300_10 Depth=1
	s_or_b32 exec_lo, exec_lo, s18
	s_delay_alu instid0(VALU_DEP_1) | instskip(NEXT) | instid1(VALU_DEP_2)
	v_dual_lshlrev_b32 v0, 8, v0 :: v_dual_lshlrev_b32 v1, 23, v1
	v_lshl_add_u32 v6, v6, 10, 0x2000
	s_delay_alu instid0(VALU_DEP_1) | instskip(NEXT) | instid1(VALU_DEP_1)
	v_and_or_b32 v0, 0x8000, v0, v6
	v_lshl_or_b32 v112, v0, 16, v1
.LBB300_568:                            ;   in Loop: Header=BB300_10 Depth=1
	s_or_b32 exec_lo, exec_lo, s17
.LBB300_569:                            ;   in Loop: Header=BB300_10 Depth=1
	s_delay_alu instid0(SALU_CYCLE_1)
	s_or_b32 exec_lo, exec_lo, s16
.LBB300_570:                            ;   in Loop: Header=BB300_10 Depth=1
	s_delay_alu instid0(SALU_CYCLE_1) | instskip(SKIP_2) | instid1(VALU_DEP_1)
	s_or_b32 exec_lo, exec_lo, s11
	v_lshrrev_b32_e32 v8, 16, v5
	s_mov_b32 s11, exec_lo
	v_and_b32_e32 v0, 0xff, v8
	s_delay_alu instid0(VALU_DEP_1)
	v_cmpx_ne_u16_e32 0, v0
	s_cbranch_execz .LBB300_578
; %bb.571:                              ;   in Loop: Header=BB300_10 Depth=1
	v_mov_b32_e32 v94, 0x8000
	s_mov_b32 s16, exec_lo
	v_cmpx_ne_u16_e32 0x80, v0
	s_cbranch_execz .LBB300_577
; %bb.572:                              ;   in Loop: Header=BB300_10 Depth=1
	v_bfe_u32 v6, v5, 16, 7
	v_mov_b32_e32 v94, 0x7c01
	s_mov_b32 s17, exec_lo
	s_delay_alu instid0(VALU_DEP_2)
	v_cmpx_ne_u32_e32 0x7f, v6
	s_cbranch_execz .LBB300_576
; %bb.573:                              ;   in Loop: Header=BB300_10 Depth=1
	v_dual_lshrrev_b32 v1, 3, v6 :: v_dual_bitop2_b32 v0, 7, v8 bitop3:0x40
	s_mov_b32 s18, exec_lo
	v_cmpx_gt_u32_e32 8, v6
; %bb.574:                              ;   in Loop: Header=BB300_10 Depth=1
	s_delay_alu instid0(VALU_DEP_2) | instskip(NEXT) | instid1(VALU_DEP_1)
	v_clz_i32_u32_e32 v0, v0
	v_min_u32_e32 v6, 32, v0
	s_delay_alu instid0(VALU_DEP_1) | instskip(NEXT) | instid1(VALU_DEP_1)
	v_subrev_nc_u32_e32 v0, 28, v6
	v_lshlrev_b64_e32 v[0:1], v0, v[8:9]
	s_delay_alu instid0(VALU_DEP_1)
	v_dual_sub_nc_u32 v1, 29, v6 :: v_dual_bitop2_b32 v0, 7, v0 bitop3:0x40
; %bb.575:                              ;   in Loop: Header=BB300_10 Depth=1
	s_or_b32 exec_lo, exec_lo, s18
	v_lshlrev_b32_e32 v6, 8, v8
	s_delay_alu instid0(VALU_DEP_2) | instskip(NEXT) | instid1(VALU_DEP_3)
	v_lshl_add_u32 v1, v1, 10, 0x2000
	v_lshlrev_b32_e32 v0, 7, v0
	s_delay_alu instid0(VALU_DEP_3) | instskip(NEXT) | instid1(VALU_DEP_3)
	v_and_b32_e32 v6, 0x8000, v6
	v_and_b32_e32 v1, 0xfc00, v1
	s_delay_alu instid0(VALU_DEP_1)
	v_or3_b32 v94, v6, v1, v0
.LBB300_576:                            ;   in Loop: Header=BB300_10 Depth=1
	s_or_b32 exec_lo, exec_lo, s17
.LBB300_577:                            ;   in Loop: Header=BB300_10 Depth=1
	s_delay_alu instid0(SALU_CYCLE_1)
	s_or_b32 exec_lo, exec_lo, s16
.LBB300_578:                            ;   in Loop: Header=BB300_10 Depth=1
	s_delay_alu instid0(SALU_CYCLE_1)
	s_or_b32 exec_lo, exec_lo, s11
	v_dual_mov_b32 v82, 0 :: v_dual_mov_b32 v40, 0
	s_mov_b32 s11, exec_lo
	v_cmpx_lt_u64_e64 s[2:3], v[4:5]
	s_cbranch_execz .LBB300_586
; %bb.579:                              ;   in Loop: Header=BB300_10 Depth=1
	v_lshrrev_b32_e32 v14, 24, v5
	v_bfrev_b32_e32 v40, 1
	s_mov_b32 s16, exec_lo
	s_delay_alu instid0(VALU_DEP_2)
	v_cmpx_ne_u32_e32 0x80, v14
	s_cbranch_execz .LBB300_585
; %bb.580:                              ;   in Loop: Header=BB300_10 Depth=1
	v_and_b32_e32 v4, 0x7f, v14
	v_mov_b32_e32 v40, 0x7c010000
	s_mov_b32 s17, exec_lo
	s_delay_alu instid0(VALU_DEP_2)
	v_cmpx_ne_u32_e32 0x7f, v4
	s_cbranch_execz .LBB300_584
; %bb.581:                              ;   in Loop: Header=BB300_10 Depth=1
	v_dual_lshrrev_b32 v1, 3, v4 :: v_dual_bitop2_b32 v0, 7, v14 bitop3:0x40
	s_mov_b32 s18, exec_lo
	v_cmpx_gt_u32_e32 8, v4
; %bb.582:                              ;   in Loop: Header=BB300_10 Depth=1
	s_delay_alu instid0(VALU_DEP_2) | instskip(NEXT) | instid1(VALU_DEP_1)
	v_clz_i32_u32_e32 v0, v0
	v_min_u32_e32 v4, 32, v0
	s_delay_alu instid0(VALU_DEP_1) | instskip(NEXT) | instid1(VALU_DEP_1)
	v_subrev_nc_u32_e32 v0, 28, v4
	v_lshlrev_b64_e32 v[0:1], v0, v[14:15]
	v_sub_nc_u32_e32 v1, 29, v4
	s_delay_alu instid0(VALU_DEP_2)
	v_and_b32_e32 v0, 7, v0
; %bb.583:                              ;   in Loop: Header=BB300_10 Depth=1
	s_or_b32 exec_lo, exec_lo, s18
	s_delay_alu instid0(VALU_DEP_1) | instskip(NEXT) | instid1(VALU_DEP_3)
	v_dual_lshlrev_b32 v4, 8, v14 :: v_dual_lshlrev_b32 v0, 23, v0
	v_lshl_add_u32 v1, v1, 10, 0x2000
	s_delay_alu instid0(VALU_DEP_1) | instskip(NEXT) | instid1(VALU_DEP_1)
	v_and_or_b32 v1, 0x8000, v4, v1
	v_lshl_or_b32 v40, v1, 16, v0
.LBB300_584:                            ;   in Loop: Header=BB300_10 Depth=1
	s_or_b32 exec_lo, exec_lo, s17
.LBB300_585:                            ;   in Loop: Header=BB300_10 Depth=1
	s_delay_alu instid0(SALU_CYCLE_1)
	s_or_b32 exec_lo, exec_lo, s16
.LBB300_586:                            ;   in Loop: Header=BB300_10 Depth=1
	s_delay_alu instid0(SALU_CYCLE_1)
	s_or_b32 exec_lo, exec_lo, s11
	flat_load_b64 v[4:5], v[2:3] offset:2056
	s_mov_b32 s11, exec_lo
	s_wait_loadcnt_dscnt 0x0
	v_and_b32_e32 v0, 0xff, v4
	s_wait_xcnt 0x0
	s_delay_alu instid0(VALU_DEP_1)
	v_cmpx_ne_u16_e32 0, v0
	s_cbranch_execz .LBB300_594
; %bb.587:                              ;   in Loop: Header=BB300_10 Depth=1
	v_mov_b32_e32 v82, 0x8000
	s_mov_b32 s16, exec_lo
	v_cmpx_ne_u16_e32 0x80, v0
	s_cbranch_execz .LBB300_593
; %bb.588:                              ;   in Loop: Header=BB300_10 Depth=1
	v_and_b32_e32 v6, 0x7f, v4
	v_mov_b32_e32 v82, 0x7c01
	s_mov_b32 s17, exec_lo
	s_delay_alu instid0(VALU_DEP_2)
	v_cmpx_ne_u32_e32 0x7f, v6
	s_cbranch_execz .LBB300_592
; %bb.589:                              ;   in Loop: Header=BB300_10 Depth=1
	v_dual_lshrrev_b32 v1, 3, v6 :: v_dual_bitop2_b32 v0, 7, v4 bitop3:0x40
	s_mov_b32 s18, exec_lo
	v_cmpx_gt_u32_e32 8, v6
; %bb.590:                              ;   in Loop: Header=BB300_10 Depth=1
	s_delay_alu instid0(VALU_DEP_2) | instskip(NEXT) | instid1(VALU_DEP_1)
	v_clz_i32_u32_e32 v0, v0
	v_min_u32_e32 v6, 32, v0
	s_delay_alu instid0(VALU_DEP_1) | instskip(NEXT) | instid1(VALU_DEP_1)
	v_subrev_nc_u32_e32 v0, 28, v6
	v_lshlrev_b64_e32 v[0:1], v0, v[4:5]
	s_delay_alu instid0(VALU_DEP_1)
	v_dual_sub_nc_u32 v1, 29, v6 :: v_dual_bitop2_b32 v0, 7, v0 bitop3:0x40
; %bb.591:                              ;   in Loop: Header=BB300_10 Depth=1
	s_or_b32 exec_lo, exec_lo, s18
	v_lshlrev_b32_e32 v6, 8, v4
	s_delay_alu instid0(VALU_DEP_2) | instskip(NEXT) | instid1(VALU_DEP_3)
	v_lshl_add_u32 v1, v1, 10, 0x2000
	v_lshlrev_b32_e32 v0, 7, v0
	s_delay_alu instid0(VALU_DEP_3) | instskip(NEXT) | instid1(VALU_DEP_3)
	v_and_b32_e32 v6, 0x8000, v6
	v_and_b32_e32 v1, 0xfc00, v1
	s_delay_alu instid0(VALU_DEP_1)
	v_or3_b32 v82, v6, v1, v0
.LBB300_592:                            ;   in Loop: Header=BB300_10 Depth=1
	s_or_b32 exec_lo, exec_lo, s17
.LBB300_593:                            ;   in Loop: Header=BB300_10 Depth=1
	s_delay_alu instid0(SALU_CYCLE_1)
	s_or_b32 exec_lo, exec_lo, s16
.LBB300_594:                            ;   in Loop: Header=BB300_10 Depth=1
	s_delay_alu instid0(SALU_CYCLE_1) | instskip(SKIP_3) | instid1(VALU_DEP_2)
	s_or_b32 exec_lo, exec_lo, s11
	v_lshrrev_b16 v14, 8, v4
	v_dual_mov_b32 v89, 0 :: v_dual_mov_b32 v113, 0
	s_mov_b32 s11, exec_lo
	v_cmpx_ne_u16_e32 0, v14
	s_cbranch_execz .LBB300_602
; %bb.595:                              ;   in Loop: Header=BB300_10 Depth=1
	v_bfrev_b32_e32 v113, 1
	s_mov_b32 s16, exec_lo
	v_cmpx_ne_u16_e32 0x80, v14
	s_cbranch_execz .LBB300_601
; %bb.596:                              ;   in Loop: Header=BB300_10 Depth=1
	v_and_b32_e32 v0, 0xffff, v14
	v_mov_b32_e32 v113, 0x7c010000
	s_mov_b32 s17, exec_lo
	s_delay_alu instid0(VALU_DEP_2) | instskip(NEXT) | instid1(VALU_DEP_1)
	v_and_b32_e32 v7, 0x7f, v0
	v_cmpx_ne_u32_e32 0x7f, v7
	s_cbranch_execz .LBB300_600
; %bb.597:                              ;   in Loop: Header=BB300_10 Depth=1
	v_dual_lshrrev_b32 v6, 3, v7 :: v_dual_bitop2_b32 v1, 7, v0 bitop3:0x40
	s_mov_b32 s18, exec_lo
	v_cmpx_gt_u32_e32 8, v7
; %bb.598:                              ;   in Loop: Header=BB300_10 Depth=1
	s_delay_alu instid0(VALU_DEP_2) | instskip(NEXT) | instid1(VALU_DEP_1)
	v_clz_i32_u32_e32 v1, v1
	v_min_u32_e32 v1, 32, v1
	s_delay_alu instid0(VALU_DEP_1) | instskip(NEXT) | instid1(VALU_DEP_1)
	v_subrev_nc_u32_e32 v6, 28, v1
	v_lshlrev_b64_e32 v[8:9], v6, v[14:15]
	s_delay_alu instid0(VALU_DEP_1)
	v_dual_sub_nc_u32 v6, 29, v1 :: v_dual_bitop2_b32 v1, 7, v8 bitop3:0x40
; %bb.599:                              ;   in Loop: Header=BB300_10 Depth=1
	s_or_b32 exec_lo, exec_lo, s18
	s_delay_alu instid0(VALU_DEP_1) | instskip(NEXT) | instid1(VALU_DEP_2)
	v_dual_lshlrev_b32 v0, 8, v0 :: v_dual_lshlrev_b32 v1, 23, v1
	v_lshl_add_u32 v6, v6, 10, 0x2000
	s_delay_alu instid0(VALU_DEP_1) | instskip(NEXT) | instid1(VALU_DEP_1)
	v_and_or_b32 v0, 0x8000, v0, v6
	v_lshl_or_b32 v113, v0, 16, v1
.LBB300_600:                            ;   in Loop: Header=BB300_10 Depth=1
	s_or_b32 exec_lo, exec_lo, s17
.LBB300_601:                            ;   in Loop: Header=BB300_10 Depth=1
	s_delay_alu instid0(SALU_CYCLE_1)
	s_or_b32 exec_lo, exec_lo, s16
.LBB300_602:                            ;   in Loop: Header=BB300_10 Depth=1
	s_delay_alu instid0(SALU_CYCLE_1) | instskip(SKIP_2) | instid1(VALU_DEP_1)
	s_or_b32 exec_lo, exec_lo, s11
	v_lshrrev_b32_e32 v8, 16, v4
	s_mov_b32 s11, exec_lo
	v_and_b32_e32 v0, 0xff, v8
	s_delay_alu instid0(VALU_DEP_1)
	v_cmpx_ne_u16_e32 0, v0
	s_cbranch_execz .LBB300_610
; %bb.603:                              ;   in Loop: Header=BB300_10 Depth=1
	v_mov_b32_e32 v89, 0x8000
	s_mov_b32 s16, exec_lo
	v_cmpx_ne_u16_e32 0x80, v0
	s_cbranch_execz .LBB300_609
; %bb.604:                              ;   in Loop: Header=BB300_10 Depth=1
	v_bfe_u32 v6, v4, 16, 7
	v_mov_b32_e32 v89, 0x7c01
	s_mov_b32 s17, exec_lo
	s_delay_alu instid0(VALU_DEP_2)
	v_cmpx_ne_u32_e32 0x7f, v6
	s_cbranch_execz .LBB300_608
; %bb.605:                              ;   in Loop: Header=BB300_10 Depth=1
	v_dual_lshrrev_b32 v1, 3, v6 :: v_dual_bitop2_b32 v0, 7, v8 bitop3:0x40
	s_mov_b32 s18, exec_lo
	v_cmpx_gt_u32_e32 8, v6
; %bb.606:                              ;   in Loop: Header=BB300_10 Depth=1
	s_delay_alu instid0(VALU_DEP_2) | instskip(NEXT) | instid1(VALU_DEP_1)
	v_clz_i32_u32_e32 v0, v0
	v_min_u32_e32 v6, 32, v0
	s_delay_alu instid0(VALU_DEP_1) | instskip(NEXT) | instid1(VALU_DEP_1)
	v_subrev_nc_u32_e32 v0, 28, v6
	v_lshlrev_b64_e32 v[0:1], v0, v[8:9]
	s_delay_alu instid0(VALU_DEP_1)
	v_dual_sub_nc_u32 v1, 29, v6 :: v_dual_bitop2_b32 v0, 7, v0 bitop3:0x40
; %bb.607:                              ;   in Loop: Header=BB300_10 Depth=1
	s_or_b32 exec_lo, exec_lo, s18
	v_lshlrev_b32_e32 v6, 8, v8
	s_delay_alu instid0(VALU_DEP_2) | instskip(NEXT) | instid1(VALU_DEP_3)
	v_lshl_add_u32 v1, v1, 10, 0x2000
	v_lshlrev_b32_e32 v0, 7, v0
	s_delay_alu instid0(VALU_DEP_3) | instskip(NEXT) | instid1(VALU_DEP_3)
	v_and_b32_e32 v6, 0x8000, v6
	v_and_b32_e32 v1, 0xfc00, v1
	s_delay_alu instid0(VALU_DEP_1)
	v_or3_b32 v89, v6, v1, v0
.LBB300_608:                            ;   in Loop: Header=BB300_10 Depth=1
	s_or_b32 exec_lo, exec_lo, s17
.LBB300_609:                            ;   in Loop: Header=BB300_10 Depth=1
	s_delay_alu instid0(SALU_CYCLE_1)
	s_or_b32 exec_lo, exec_lo, s16
.LBB300_610:                            ;   in Loop: Header=BB300_10 Depth=1
	s_delay_alu instid0(SALU_CYCLE_1)
	s_or_b32 exec_lo, exec_lo, s11
	v_dual_mov_b32 v118, 0 :: v_dual_mov_b32 v41, 0
	s_mov_b32 s11, exec_lo
	v_cmpx_lt_u32_e32 0xffffff, v4
	s_cbranch_execz .LBB300_618
; %bb.611:                              ;   in Loop: Header=BB300_10 Depth=1
	v_lshrrev_b32_e32 v14, 24, v4
	v_bfrev_b32_e32 v41, 1
	s_mov_b32 s16, exec_lo
	s_delay_alu instid0(VALU_DEP_2)
	v_cmpx_ne_u32_e32 0x80, v14
	s_cbranch_execz .LBB300_617
; %bb.612:                              ;   in Loop: Header=BB300_10 Depth=1
	v_and_b32_e32 v6, 0x7f, v14
	v_mov_b32_e32 v41, 0x7c010000
	s_mov_b32 s17, exec_lo
	s_delay_alu instid0(VALU_DEP_2)
	v_cmpx_ne_u32_e32 0x7f, v6
	s_cbranch_execz .LBB300_616
; %bb.613:                              ;   in Loop: Header=BB300_10 Depth=1
	v_and_b32_e32 v0, 7, v14
	v_lshrrev_b32_e32 v1, 3, v6
	s_mov_b32 s18, exec_lo
	v_cmpx_gt_u32_e32 8, v6
; %bb.614:                              ;   in Loop: Header=BB300_10 Depth=1
	s_delay_alu instid0(VALU_DEP_3) | instskip(NEXT) | instid1(VALU_DEP_1)
	v_clz_i32_u32_e32 v0, v0
	v_min_u32_e32 v6, 32, v0
	s_delay_alu instid0(VALU_DEP_1) | instskip(NEXT) | instid1(VALU_DEP_1)
	v_subrev_nc_u32_e32 v0, 28, v6
	v_lshlrev_b64_e32 v[0:1], v0, v[14:15]
	s_delay_alu instid0(VALU_DEP_1)
	v_dual_sub_nc_u32 v1, 29, v6 :: v_dual_bitop2_b32 v0, 7, v0 bitop3:0x40
; %bb.615:                              ;   in Loop: Header=BB300_10 Depth=1
	s_or_b32 exec_lo, exec_lo, s18
	s_delay_alu instid0(VALU_DEP_1) | instskip(NEXT) | instid1(VALU_DEP_2)
	v_dual_lshlrev_b32 v6, 8, v14 :: v_dual_lshlrev_b32 v0, 23, v0
	v_lshl_add_u32 v1, v1, 10, 0x2000
	s_delay_alu instid0(VALU_DEP_1) | instskip(NEXT) | instid1(VALU_DEP_1)
	v_and_or_b32 v1, 0x8000, v6, v1
	v_lshl_or_b32 v41, v1, 16, v0
.LBB300_616:                            ;   in Loop: Header=BB300_10 Depth=1
	s_or_b32 exec_lo, exec_lo, s17
.LBB300_617:                            ;   in Loop: Header=BB300_10 Depth=1
	s_delay_alu instid0(SALU_CYCLE_1)
	s_or_b32 exec_lo, exec_lo, s16
.LBB300_618:                            ;   in Loop: Header=BB300_10 Depth=1
	s_delay_alu instid0(SALU_CYCLE_1) | instskip(SKIP_3) | instid1(VALU_DEP_2)
	s_or_b32 exec_lo, exec_lo, s11
	v_and_b32_e32 v0, 0xff, v5
	v_mov_b32_e32 v14, v5
	s_mov_b32 s11, exec_lo
	v_cmpx_ne_u16_e32 0, v0
	s_cbranch_execz .LBB300_626
; %bb.619:                              ;   in Loop: Header=BB300_10 Depth=1
	v_mov_b32_e32 v118, 0x8000
	s_mov_b32 s16, exec_lo
	v_cmpx_ne_u16_e32 0x80, v0
	s_cbranch_execz .LBB300_625
; %bb.620:                              ;   in Loop: Header=BB300_10 Depth=1
	v_and_b32_e32 v6, 0x7f, v5
	v_mov_b32_e32 v118, 0x7c01
	s_mov_b32 s17, exec_lo
	s_delay_alu instid0(VALU_DEP_2)
	v_cmpx_ne_u32_e32 0x7f, v6
	s_cbranch_execz .LBB300_624
; %bb.621:                              ;   in Loop: Header=BB300_10 Depth=1
	v_dual_lshrrev_b32 v1, 3, v6 :: v_dual_bitop2_b32 v0, 7, v5 bitop3:0x40
	s_mov_b32 s18, exec_lo
	v_cmpx_gt_u32_e32 8, v6
; %bb.622:                              ;   in Loop: Header=BB300_10 Depth=1
	s_delay_alu instid0(VALU_DEP_2) | instskip(NEXT) | instid1(VALU_DEP_1)
	v_clz_i32_u32_e32 v0, v0
	v_min_u32_e32 v6, 32, v0
	s_delay_alu instid0(VALU_DEP_1) | instskip(NEXT) | instid1(VALU_DEP_1)
	v_subrev_nc_u32_e32 v0, 28, v6
	v_lshlrev_b64_e32 v[0:1], v0, v[14:15]
	s_delay_alu instid0(VALU_DEP_1)
	v_dual_sub_nc_u32 v1, 29, v6 :: v_dual_bitop2_b32 v0, 7, v0 bitop3:0x40
; %bb.623:                              ;   in Loop: Header=BB300_10 Depth=1
	s_or_b32 exec_lo, exec_lo, s18
	s_delay_alu instid0(VALU_DEP_1) | instskip(NEXT) | instid1(VALU_DEP_2)
	v_dual_lshlrev_b32 v6, 8, v5 :: v_dual_lshlrev_b32 v0, 7, v0
	v_lshl_add_u32 v1, v1, 10, 0x2000
	s_delay_alu instid0(VALU_DEP_2) | instskip(NEXT) | instid1(VALU_DEP_2)
	v_and_b32_e32 v6, 0x8000, v6
	v_and_b32_e32 v1, 0xfc00, v1
	s_delay_alu instid0(VALU_DEP_1)
	v_or3_b32 v118, v6, v1, v0
.LBB300_624:                            ;   in Loop: Header=BB300_10 Depth=1
	s_or_b32 exec_lo, exec_lo, s17
.LBB300_625:                            ;   in Loop: Header=BB300_10 Depth=1
	s_delay_alu instid0(SALU_CYCLE_1)
	s_or_b32 exec_lo, exec_lo, s16
.LBB300_626:                            ;   in Loop: Header=BB300_10 Depth=1
	s_delay_alu instid0(SALU_CYCLE_1) | instskip(SKIP_3) | instid1(VALU_DEP_2)
	s_or_b32 exec_lo, exec_lo, s11
	v_lshrrev_b16 v14, 8, v14
	v_dual_mov_b32 v122, 0 :: v_dual_mov_b32 v76, 0
	s_mov_b32 s11, exec_lo
	v_cmpx_ne_u16_e32 0, v14
	s_cbranch_execz .LBB300_634
; %bb.627:                              ;   in Loop: Header=BB300_10 Depth=1
	v_bfrev_b32_e32 v76, 1
	s_mov_b32 s16, exec_lo
	v_cmpx_ne_u16_e32 0x80, v14
	s_cbranch_execz .LBB300_633
; %bb.628:                              ;   in Loop: Header=BB300_10 Depth=1
	v_and_b32_e32 v0, 0xffff, v14
	v_mov_b32_e32 v76, 0x7c010000
	s_mov_b32 s17, exec_lo
	s_delay_alu instid0(VALU_DEP_2) | instskip(NEXT) | instid1(VALU_DEP_1)
	v_and_b32_e32 v7, 0x7f, v0
	v_cmpx_ne_u32_e32 0x7f, v7
	s_cbranch_execz .LBB300_632
; %bb.629:                              ;   in Loop: Header=BB300_10 Depth=1
	v_dual_lshrrev_b32 v6, 3, v7 :: v_dual_bitop2_b32 v1, 7, v0 bitop3:0x40
	s_mov_b32 s18, exec_lo
	v_cmpx_gt_u32_e32 8, v7
; %bb.630:                              ;   in Loop: Header=BB300_10 Depth=1
	s_delay_alu instid0(VALU_DEP_2) | instskip(NEXT) | instid1(VALU_DEP_1)
	v_clz_i32_u32_e32 v1, v1
	v_min_u32_e32 v1, 32, v1
	s_delay_alu instid0(VALU_DEP_1) | instskip(NEXT) | instid1(VALU_DEP_1)
	v_subrev_nc_u32_e32 v6, 28, v1
	v_lshlrev_b64_e32 v[8:9], v6, v[14:15]
	s_delay_alu instid0(VALU_DEP_1)
	v_dual_sub_nc_u32 v6, 29, v1 :: v_dual_bitop2_b32 v1, 7, v8 bitop3:0x40
; %bb.631:                              ;   in Loop: Header=BB300_10 Depth=1
	s_or_b32 exec_lo, exec_lo, s18
	s_delay_alu instid0(VALU_DEP_1) | instskip(NEXT) | instid1(VALU_DEP_2)
	v_dual_lshlrev_b32 v0, 8, v0 :: v_dual_lshlrev_b32 v1, 23, v1
	v_lshl_add_u32 v6, v6, 10, 0x2000
	s_delay_alu instid0(VALU_DEP_1) | instskip(NEXT) | instid1(VALU_DEP_1)
	v_and_or_b32 v0, 0x8000, v0, v6
	v_lshl_or_b32 v76, v0, 16, v1
.LBB300_632:                            ;   in Loop: Header=BB300_10 Depth=1
	s_or_b32 exec_lo, exec_lo, s17
.LBB300_633:                            ;   in Loop: Header=BB300_10 Depth=1
	s_delay_alu instid0(SALU_CYCLE_1)
	s_or_b32 exec_lo, exec_lo, s16
.LBB300_634:                            ;   in Loop: Header=BB300_10 Depth=1
	s_delay_alu instid0(SALU_CYCLE_1) | instskip(SKIP_2) | instid1(VALU_DEP_1)
	s_or_b32 exec_lo, exec_lo, s11
	v_lshrrev_b32_e32 v8, 16, v5
	s_mov_b32 s11, exec_lo
	v_and_b32_e32 v0, 0xff, v8
	s_delay_alu instid0(VALU_DEP_1)
	v_cmpx_ne_u16_e32 0, v0
	s_cbranch_execz .LBB300_642
; %bb.635:                              ;   in Loop: Header=BB300_10 Depth=1
	v_mov_b32_e32 v122, 0x8000
	s_mov_b32 s16, exec_lo
	v_cmpx_ne_u16_e32 0x80, v0
	s_cbranch_execz .LBB300_641
; %bb.636:                              ;   in Loop: Header=BB300_10 Depth=1
	v_bfe_u32 v6, v5, 16, 7
	v_mov_b32_e32 v122, 0x7c01
	s_mov_b32 s17, exec_lo
	s_delay_alu instid0(VALU_DEP_2)
	v_cmpx_ne_u32_e32 0x7f, v6
	s_cbranch_execz .LBB300_640
; %bb.637:                              ;   in Loop: Header=BB300_10 Depth=1
	v_dual_lshrrev_b32 v1, 3, v6 :: v_dual_bitop2_b32 v0, 7, v8 bitop3:0x40
	s_mov_b32 s18, exec_lo
	v_cmpx_gt_u32_e32 8, v6
; %bb.638:                              ;   in Loop: Header=BB300_10 Depth=1
	s_delay_alu instid0(VALU_DEP_2) | instskip(NEXT) | instid1(VALU_DEP_1)
	v_clz_i32_u32_e32 v0, v0
	v_min_u32_e32 v6, 32, v0
	s_delay_alu instid0(VALU_DEP_1) | instskip(NEXT) | instid1(VALU_DEP_1)
	v_subrev_nc_u32_e32 v0, 28, v6
	v_lshlrev_b64_e32 v[0:1], v0, v[8:9]
	s_delay_alu instid0(VALU_DEP_1)
	v_dual_sub_nc_u32 v1, 29, v6 :: v_dual_bitop2_b32 v0, 7, v0 bitop3:0x40
; %bb.639:                              ;   in Loop: Header=BB300_10 Depth=1
	s_or_b32 exec_lo, exec_lo, s18
	v_lshlrev_b32_e32 v6, 8, v8
	s_delay_alu instid0(VALU_DEP_2) | instskip(NEXT) | instid1(VALU_DEP_3)
	v_lshl_add_u32 v1, v1, 10, 0x2000
	v_lshlrev_b32_e32 v0, 7, v0
	s_delay_alu instid0(VALU_DEP_3) | instskip(NEXT) | instid1(VALU_DEP_3)
	v_and_b32_e32 v6, 0x8000, v6
	v_and_b32_e32 v1, 0xfc00, v1
	s_delay_alu instid0(VALU_DEP_1)
	v_or3_b32 v122, v6, v1, v0
.LBB300_640:                            ;   in Loop: Header=BB300_10 Depth=1
	s_or_b32 exec_lo, exec_lo, s17
.LBB300_641:                            ;   in Loop: Header=BB300_10 Depth=1
	s_delay_alu instid0(SALU_CYCLE_1)
	s_or_b32 exec_lo, exec_lo, s16
.LBB300_642:                            ;   in Loop: Header=BB300_10 Depth=1
	s_delay_alu instid0(SALU_CYCLE_1)
	s_or_b32 exec_lo, exec_lo, s11
	v_dual_mov_b32 v95, 0 :: v_dual_mov_b32 v106, 0
	s_mov_b32 s11, exec_lo
	v_cmpx_lt_u64_e64 s[2:3], v[4:5]
	s_cbranch_execz .LBB300_650
; %bb.643:                              ;   in Loop: Header=BB300_10 Depth=1
	v_lshrrev_b32_e32 v14, 24, v5
	v_bfrev_b32_e32 v106, 1
	s_mov_b32 s16, exec_lo
	s_delay_alu instid0(VALU_DEP_2)
	v_cmpx_ne_u32_e32 0x80, v14
	s_cbranch_execz .LBB300_649
; %bb.644:                              ;   in Loop: Header=BB300_10 Depth=1
	v_and_b32_e32 v4, 0x7f, v14
	v_mov_b32_e32 v106, 0x7c010000
	s_mov_b32 s17, exec_lo
	s_delay_alu instid0(VALU_DEP_2)
	v_cmpx_ne_u32_e32 0x7f, v4
	s_cbranch_execz .LBB300_648
; %bb.645:                              ;   in Loop: Header=BB300_10 Depth=1
	v_dual_lshrrev_b32 v1, 3, v4 :: v_dual_bitop2_b32 v0, 7, v14 bitop3:0x40
	s_mov_b32 s18, exec_lo
	v_cmpx_gt_u32_e32 8, v4
; %bb.646:                              ;   in Loop: Header=BB300_10 Depth=1
	s_delay_alu instid0(VALU_DEP_2) | instskip(NEXT) | instid1(VALU_DEP_1)
	v_clz_i32_u32_e32 v0, v0
	v_min_u32_e32 v4, 32, v0
	s_delay_alu instid0(VALU_DEP_1) | instskip(NEXT) | instid1(VALU_DEP_1)
	v_subrev_nc_u32_e32 v0, 28, v4
	v_lshlrev_b64_e32 v[0:1], v0, v[14:15]
	v_sub_nc_u32_e32 v1, 29, v4
	s_delay_alu instid0(VALU_DEP_2)
	v_and_b32_e32 v0, 7, v0
; %bb.647:                              ;   in Loop: Header=BB300_10 Depth=1
	s_or_b32 exec_lo, exec_lo, s18
	s_delay_alu instid0(VALU_DEP_1) | instskip(NEXT) | instid1(VALU_DEP_3)
	v_dual_lshlrev_b32 v4, 8, v14 :: v_dual_lshlrev_b32 v0, 23, v0
	v_lshl_add_u32 v1, v1, 10, 0x2000
	s_delay_alu instid0(VALU_DEP_1) | instskip(NEXT) | instid1(VALU_DEP_1)
	v_and_or_b32 v1, 0x8000, v4, v1
	v_lshl_or_b32 v106, v1, 16, v0
.LBB300_648:                            ;   in Loop: Header=BB300_10 Depth=1
	s_or_b32 exec_lo, exec_lo, s17
.LBB300_649:                            ;   in Loop: Header=BB300_10 Depth=1
	s_delay_alu instid0(SALU_CYCLE_1)
	s_or_b32 exec_lo, exec_lo, s16
.LBB300_650:                            ;   in Loop: Header=BB300_10 Depth=1
	s_delay_alu instid0(SALU_CYCLE_1)
	s_or_b32 exec_lo, exec_lo, s11
	flat_load_b64 v[4:5], v[2:3] offset:2560
	s_mov_b32 s11, exec_lo
	s_wait_loadcnt_dscnt 0x0
	v_and_b32_e32 v0, 0xff, v4
	s_wait_xcnt 0x0
	s_delay_alu instid0(VALU_DEP_1)
	v_cmpx_ne_u16_e32 0, v0
	s_cbranch_execz .LBB300_658
; %bb.651:                              ;   in Loop: Header=BB300_10 Depth=1
	v_mov_b32_e32 v95, 0x8000
	s_mov_b32 s16, exec_lo
	v_cmpx_ne_u16_e32 0x80, v0
	s_cbranch_execz .LBB300_657
; %bb.652:                              ;   in Loop: Header=BB300_10 Depth=1
	v_and_b32_e32 v6, 0x7f, v4
	v_mov_b32_e32 v95, 0x7c01
	s_mov_b32 s17, exec_lo
	s_delay_alu instid0(VALU_DEP_2)
	v_cmpx_ne_u32_e32 0x7f, v6
	s_cbranch_execz .LBB300_656
; %bb.653:                              ;   in Loop: Header=BB300_10 Depth=1
	v_dual_lshrrev_b32 v1, 3, v6 :: v_dual_bitop2_b32 v0, 7, v4 bitop3:0x40
	s_mov_b32 s18, exec_lo
	v_cmpx_gt_u32_e32 8, v6
; %bb.654:                              ;   in Loop: Header=BB300_10 Depth=1
	s_delay_alu instid0(VALU_DEP_2) | instskip(NEXT) | instid1(VALU_DEP_1)
	v_clz_i32_u32_e32 v0, v0
	v_min_u32_e32 v6, 32, v0
	s_delay_alu instid0(VALU_DEP_1) | instskip(NEXT) | instid1(VALU_DEP_1)
	v_subrev_nc_u32_e32 v0, 28, v6
	v_lshlrev_b64_e32 v[0:1], v0, v[4:5]
	s_delay_alu instid0(VALU_DEP_1)
	v_dual_sub_nc_u32 v1, 29, v6 :: v_dual_bitop2_b32 v0, 7, v0 bitop3:0x40
; %bb.655:                              ;   in Loop: Header=BB300_10 Depth=1
	s_or_b32 exec_lo, exec_lo, s18
	v_lshlrev_b32_e32 v6, 8, v4
	s_delay_alu instid0(VALU_DEP_2) | instskip(NEXT) | instid1(VALU_DEP_3)
	v_lshl_add_u32 v1, v1, 10, 0x2000
	v_lshlrev_b32_e32 v0, 7, v0
	s_delay_alu instid0(VALU_DEP_3) | instskip(NEXT) | instid1(VALU_DEP_3)
	v_and_b32_e32 v6, 0x8000, v6
	v_and_b32_e32 v1, 0xfc00, v1
	s_delay_alu instid0(VALU_DEP_1)
	v_or3_b32 v95, v6, v1, v0
.LBB300_656:                            ;   in Loop: Header=BB300_10 Depth=1
	s_or_b32 exec_lo, exec_lo, s17
.LBB300_657:                            ;   in Loop: Header=BB300_10 Depth=1
	s_delay_alu instid0(SALU_CYCLE_1)
	s_or_b32 exec_lo, exec_lo, s16
.LBB300_658:                            ;   in Loop: Header=BB300_10 Depth=1
	s_delay_alu instid0(SALU_CYCLE_1) | instskip(SKIP_3) | instid1(VALU_DEP_2)
	s_or_b32 exec_lo, exec_lo, s11
	v_lshrrev_b16 v14, 8, v4
	v_dual_mov_b32 v124, 0 :: v_dual_mov_b32 v108, 0
	s_mov_b32 s11, exec_lo
	v_cmpx_ne_u16_e32 0, v14
	s_cbranch_execz .LBB300_666
; %bb.659:                              ;   in Loop: Header=BB300_10 Depth=1
	v_bfrev_b32_e32 v108, 1
	s_mov_b32 s16, exec_lo
	v_cmpx_ne_u16_e32 0x80, v14
	s_cbranch_execz .LBB300_665
; %bb.660:                              ;   in Loop: Header=BB300_10 Depth=1
	v_and_b32_e32 v0, 0xffff, v14
	v_mov_b32_e32 v108, 0x7c010000
	s_mov_b32 s17, exec_lo
	s_delay_alu instid0(VALU_DEP_2) | instskip(NEXT) | instid1(VALU_DEP_1)
	v_and_b32_e32 v7, 0x7f, v0
	v_cmpx_ne_u32_e32 0x7f, v7
	s_cbranch_execz .LBB300_664
; %bb.661:                              ;   in Loop: Header=BB300_10 Depth=1
	v_dual_lshrrev_b32 v6, 3, v7 :: v_dual_bitop2_b32 v1, 7, v0 bitop3:0x40
	s_mov_b32 s18, exec_lo
	v_cmpx_gt_u32_e32 8, v7
; %bb.662:                              ;   in Loop: Header=BB300_10 Depth=1
	s_delay_alu instid0(VALU_DEP_2) | instskip(NEXT) | instid1(VALU_DEP_1)
	v_clz_i32_u32_e32 v1, v1
	v_min_u32_e32 v1, 32, v1
	s_delay_alu instid0(VALU_DEP_1) | instskip(NEXT) | instid1(VALU_DEP_1)
	v_subrev_nc_u32_e32 v6, 28, v1
	v_lshlrev_b64_e32 v[8:9], v6, v[14:15]
	s_delay_alu instid0(VALU_DEP_1)
	v_dual_sub_nc_u32 v6, 29, v1 :: v_dual_bitop2_b32 v1, 7, v8 bitop3:0x40
; %bb.663:                              ;   in Loop: Header=BB300_10 Depth=1
	s_or_b32 exec_lo, exec_lo, s18
	s_delay_alu instid0(VALU_DEP_1) | instskip(NEXT) | instid1(VALU_DEP_2)
	v_dual_lshlrev_b32 v0, 8, v0 :: v_dual_lshlrev_b32 v1, 23, v1
	v_lshl_add_u32 v6, v6, 10, 0x2000
	s_delay_alu instid0(VALU_DEP_1) | instskip(NEXT) | instid1(VALU_DEP_1)
	v_and_or_b32 v0, 0x8000, v0, v6
	v_lshl_or_b32 v108, v0, 16, v1
.LBB300_664:                            ;   in Loop: Header=BB300_10 Depth=1
	s_or_b32 exec_lo, exec_lo, s17
.LBB300_665:                            ;   in Loop: Header=BB300_10 Depth=1
	s_delay_alu instid0(SALU_CYCLE_1)
	s_or_b32 exec_lo, exec_lo, s16
.LBB300_666:                            ;   in Loop: Header=BB300_10 Depth=1
	s_delay_alu instid0(SALU_CYCLE_1) | instskip(SKIP_2) | instid1(VALU_DEP_1)
	s_or_b32 exec_lo, exec_lo, s11
	v_lshrrev_b32_e32 v8, 16, v4
	s_mov_b32 s11, exec_lo
	v_and_b32_e32 v0, 0xff, v8
	s_delay_alu instid0(VALU_DEP_1)
	v_cmpx_ne_u16_e32 0, v0
	s_cbranch_execz .LBB300_674
; %bb.667:                              ;   in Loop: Header=BB300_10 Depth=1
	v_mov_b32_e32 v124, 0x8000
	s_mov_b32 s16, exec_lo
	v_cmpx_ne_u16_e32 0x80, v0
	s_cbranch_execz .LBB300_673
; %bb.668:                              ;   in Loop: Header=BB300_10 Depth=1
	v_bfe_u32 v6, v4, 16, 7
	v_mov_b32_e32 v124, 0x7c01
	s_mov_b32 s17, exec_lo
	s_delay_alu instid0(VALU_DEP_2)
	v_cmpx_ne_u32_e32 0x7f, v6
	s_cbranch_execz .LBB300_672
; %bb.669:                              ;   in Loop: Header=BB300_10 Depth=1
	v_dual_lshrrev_b32 v1, 3, v6 :: v_dual_bitop2_b32 v0, 7, v8 bitop3:0x40
	s_mov_b32 s18, exec_lo
	v_cmpx_gt_u32_e32 8, v6
; %bb.670:                              ;   in Loop: Header=BB300_10 Depth=1
	s_delay_alu instid0(VALU_DEP_2) | instskip(NEXT) | instid1(VALU_DEP_1)
	v_clz_i32_u32_e32 v0, v0
	v_min_u32_e32 v6, 32, v0
	s_delay_alu instid0(VALU_DEP_1) | instskip(NEXT) | instid1(VALU_DEP_1)
	v_subrev_nc_u32_e32 v0, 28, v6
	v_lshlrev_b64_e32 v[0:1], v0, v[8:9]
	s_delay_alu instid0(VALU_DEP_1)
	v_dual_sub_nc_u32 v1, 29, v6 :: v_dual_bitop2_b32 v0, 7, v0 bitop3:0x40
; %bb.671:                              ;   in Loop: Header=BB300_10 Depth=1
	s_or_b32 exec_lo, exec_lo, s18
	v_lshlrev_b32_e32 v6, 8, v8
	s_delay_alu instid0(VALU_DEP_2) | instskip(NEXT) | instid1(VALU_DEP_3)
	v_lshl_add_u32 v1, v1, 10, 0x2000
	v_lshlrev_b32_e32 v0, 7, v0
	s_delay_alu instid0(VALU_DEP_3) | instskip(NEXT) | instid1(VALU_DEP_3)
	v_and_b32_e32 v6, 0x8000, v6
	v_and_b32_e32 v1, 0xfc00, v1
	s_delay_alu instid0(VALU_DEP_1)
	v_or3_b32 v124, v6, v1, v0
.LBB300_672:                            ;   in Loop: Header=BB300_10 Depth=1
	s_or_b32 exec_lo, exec_lo, s17
.LBB300_673:                            ;   in Loop: Header=BB300_10 Depth=1
	s_delay_alu instid0(SALU_CYCLE_1)
	s_or_b32 exec_lo, exec_lo, s16
.LBB300_674:                            ;   in Loop: Header=BB300_10 Depth=1
	s_delay_alu instid0(SALU_CYCLE_1)
	s_or_b32 exec_lo, exec_lo, s11
	v_dual_mov_b32 v109, 0 :: v_dual_mov_b32 v10, 0
	s_mov_b32 s11, exec_lo
	v_cmpx_lt_u32_e32 0xffffff, v4
	s_cbranch_execz .LBB300_682
; %bb.675:                              ;   in Loop: Header=BB300_10 Depth=1
	v_lshrrev_b32_e32 v14, 24, v4
	v_bfrev_b32_e32 v10, 1
	s_mov_b32 s16, exec_lo
	s_delay_alu instid0(VALU_DEP_2)
	v_cmpx_ne_u32_e32 0x80, v14
	s_cbranch_execz .LBB300_681
; %bb.676:                              ;   in Loop: Header=BB300_10 Depth=1
	v_and_b32_e32 v6, 0x7f, v14
	v_mov_b32_e32 v10, 0x7c010000
	s_mov_b32 s17, exec_lo
	s_delay_alu instid0(VALU_DEP_2)
	v_cmpx_ne_u32_e32 0x7f, v6
	s_cbranch_execz .LBB300_680
; %bb.677:                              ;   in Loop: Header=BB300_10 Depth=1
	v_and_b32_e32 v0, 7, v14
	v_lshrrev_b32_e32 v1, 3, v6
	s_mov_b32 s18, exec_lo
	v_cmpx_gt_u32_e32 8, v6
; %bb.678:                              ;   in Loop: Header=BB300_10 Depth=1
	s_delay_alu instid0(VALU_DEP_3) | instskip(NEXT) | instid1(VALU_DEP_1)
	v_clz_i32_u32_e32 v0, v0
	v_min_u32_e32 v6, 32, v0
	s_delay_alu instid0(VALU_DEP_1) | instskip(NEXT) | instid1(VALU_DEP_1)
	v_subrev_nc_u32_e32 v0, 28, v6
	v_lshlrev_b64_e32 v[0:1], v0, v[14:15]
	s_delay_alu instid0(VALU_DEP_1)
	v_dual_sub_nc_u32 v1, 29, v6 :: v_dual_bitop2_b32 v0, 7, v0 bitop3:0x40
; %bb.679:                              ;   in Loop: Header=BB300_10 Depth=1
	s_or_b32 exec_lo, exec_lo, s18
	s_delay_alu instid0(VALU_DEP_1) | instskip(NEXT) | instid1(VALU_DEP_2)
	v_dual_lshlrev_b32 v6, 8, v14 :: v_dual_lshlrev_b32 v0, 23, v0
	v_lshl_add_u32 v1, v1, 10, 0x2000
	s_delay_alu instid0(VALU_DEP_1) | instskip(NEXT) | instid1(VALU_DEP_1)
	v_and_or_b32 v1, 0x8000, v6, v1
	v_lshl_or_b32 v10, v1, 16, v0
.LBB300_680:                            ;   in Loop: Header=BB300_10 Depth=1
	s_or_b32 exec_lo, exec_lo, s17
.LBB300_681:                            ;   in Loop: Header=BB300_10 Depth=1
	s_delay_alu instid0(SALU_CYCLE_1)
	s_or_b32 exec_lo, exec_lo, s16
.LBB300_682:                            ;   in Loop: Header=BB300_10 Depth=1
	s_delay_alu instid0(SALU_CYCLE_1) | instskip(SKIP_3) | instid1(VALU_DEP_2)
	s_or_b32 exec_lo, exec_lo, s11
	v_and_b32_e32 v0, 0xff, v5
	v_mov_b32_e32 v14, v5
	s_mov_b32 s11, exec_lo
	v_cmpx_ne_u16_e32 0, v0
	s_cbranch_execz .LBB300_690
; %bb.683:                              ;   in Loop: Header=BB300_10 Depth=1
	v_mov_b32_e32 v109, 0x8000
	s_mov_b32 s16, exec_lo
	v_cmpx_ne_u16_e32 0x80, v0
	s_cbranch_execz .LBB300_689
; %bb.684:                              ;   in Loop: Header=BB300_10 Depth=1
	v_and_b32_e32 v6, 0x7f, v5
	v_mov_b32_e32 v109, 0x7c01
	s_mov_b32 s17, exec_lo
	s_delay_alu instid0(VALU_DEP_2)
	v_cmpx_ne_u32_e32 0x7f, v6
	s_cbranch_execz .LBB300_688
; %bb.685:                              ;   in Loop: Header=BB300_10 Depth=1
	v_dual_lshrrev_b32 v1, 3, v6 :: v_dual_bitop2_b32 v0, 7, v5 bitop3:0x40
	s_mov_b32 s18, exec_lo
	v_cmpx_gt_u32_e32 8, v6
; %bb.686:                              ;   in Loop: Header=BB300_10 Depth=1
	s_delay_alu instid0(VALU_DEP_2) | instskip(NEXT) | instid1(VALU_DEP_1)
	v_clz_i32_u32_e32 v0, v0
	v_min_u32_e32 v6, 32, v0
	s_delay_alu instid0(VALU_DEP_1) | instskip(NEXT) | instid1(VALU_DEP_1)
	v_subrev_nc_u32_e32 v0, 28, v6
	v_lshlrev_b64_e32 v[0:1], v0, v[14:15]
	s_delay_alu instid0(VALU_DEP_1)
	v_dual_sub_nc_u32 v1, 29, v6 :: v_dual_bitop2_b32 v0, 7, v0 bitop3:0x40
; %bb.687:                              ;   in Loop: Header=BB300_10 Depth=1
	s_or_b32 exec_lo, exec_lo, s18
	s_delay_alu instid0(VALU_DEP_1) | instskip(NEXT) | instid1(VALU_DEP_2)
	v_dual_lshlrev_b32 v6, 8, v5 :: v_dual_lshlrev_b32 v0, 7, v0
	v_lshl_add_u32 v1, v1, 10, 0x2000
	s_delay_alu instid0(VALU_DEP_2) | instskip(NEXT) | instid1(VALU_DEP_2)
	v_and_b32_e32 v6, 0x8000, v6
	v_and_b32_e32 v1, 0xfc00, v1
	s_delay_alu instid0(VALU_DEP_1)
	v_or3_b32 v109, v6, v1, v0
.LBB300_688:                            ;   in Loop: Header=BB300_10 Depth=1
	s_or_b32 exec_lo, exec_lo, s17
.LBB300_689:                            ;   in Loop: Header=BB300_10 Depth=1
	s_delay_alu instid0(SALU_CYCLE_1)
	s_or_b32 exec_lo, exec_lo, s16
.LBB300_690:                            ;   in Loop: Header=BB300_10 Depth=1
	s_delay_alu instid0(SALU_CYCLE_1) | instskip(SKIP_3) | instid1(VALU_DEP_2)
	s_or_b32 exec_lo, exec_lo, s11
	v_lshrrev_b16 v14, 8, v14
	v_dual_mov_b32 v25, 0 :: v_dual_mov_b32 v110, 0
	s_mov_b32 s11, exec_lo
	v_cmpx_ne_u16_e32 0, v14
	s_cbranch_execz .LBB300_698
; %bb.691:                              ;   in Loop: Header=BB300_10 Depth=1
	v_bfrev_b32_e32 v110, 1
	s_mov_b32 s16, exec_lo
	v_cmpx_ne_u16_e32 0x80, v14
	s_cbranch_execz .LBB300_697
; %bb.692:                              ;   in Loop: Header=BB300_10 Depth=1
	v_and_b32_e32 v0, 0xffff, v14
	v_mov_b32_e32 v110, 0x7c010000
	s_mov_b32 s17, exec_lo
	s_delay_alu instid0(VALU_DEP_2) | instskip(NEXT) | instid1(VALU_DEP_1)
	v_and_b32_e32 v7, 0x7f, v0
	v_cmpx_ne_u32_e32 0x7f, v7
	s_cbranch_execz .LBB300_696
; %bb.693:                              ;   in Loop: Header=BB300_10 Depth=1
	v_dual_lshrrev_b32 v6, 3, v7 :: v_dual_bitop2_b32 v1, 7, v0 bitop3:0x40
	s_mov_b32 s18, exec_lo
	v_cmpx_gt_u32_e32 8, v7
; %bb.694:                              ;   in Loop: Header=BB300_10 Depth=1
	s_delay_alu instid0(VALU_DEP_2) | instskip(NEXT) | instid1(VALU_DEP_1)
	v_clz_i32_u32_e32 v1, v1
	v_min_u32_e32 v1, 32, v1
	s_delay_alu instid0(VALU_DEP_1) | instskip(NEXT) | instid1(VALU_DEP_1)
	v_subrev_nc_u32_e32 v6, 28, v1
	v_lshlrev_b64_e32 v[8:9], v6, v[14:15]
	s_delay_alu instid0(VALU_DEP_1)
	v_dual_sub_nc_u32 v6, 29, v1 :: v_dual_bitop2_b32 v1, 7, v8 bitop3:0x40
; %bb.695:                              ;   in Loop: Header=BB300_10 Depth=1
	s_or_b32 exec_lo, exec_lo, s18
	s_delay_alu instid0(VALU_DEP_1) | instskip(NEXT) | instid1(VALU_DEP_2)
	v_dual_lshlrev_b32 v0, 8, v0 :: v_dual_lshlrev_b32 v1, 23, v1
	v_lshl_add_u32 v6, v6, 10, 0x2000
	s_delay_alu instid0(VALU_DEP_1) | instskip(NEXT) | instid1(VALU_DEP_1)
	v_and_or_b32 v0, 0x8000, v0, v6
	v_lshl_or_b32 v110, v0, 16, v1
.LBB300_696:                            ;   in Loop: Header=BB300_10 Depth=1
	s_or_b32 exec_lo, exec_lo, s17
.LBB300_697:                            ;   in Loop: Header=BB300_10 Depth=1
	s_delay_alu instid0(SALU_CYCLE_1)
	s_or_b32 exec_lo, exec_lo, s16
.LBB300_698:                            ;   in Loop: Header=BB300_10 Depth=1
	s_delay_alu instid0(SALU_CYCLE_1) | instskip(SKIP_2) | instid1(VALU_DEP_1)
	s_or_b32 exec_lo, exec_lo, s11
	v_lshrrev_b32_e32 v8, 16, v5
	s_mov_b32 s11, exec_lo
	v_and_b32_e32 v0, 0xff, v8
	s_delay_alu instid0(VALU_DEP_1)
	v_cmpx_ne_u16_e32 0, v0
	s_cbranch_execz .LBB300_706
; %bb.699:                              ;   in Loop: Header=BB300_10 Depth=1
	v_mov_b32_e32 v25, 0x8000
	s_mov_b32 s16, exec_lo
	v_cmpx_ne_u16_e32 0x80, v0
	s_cbranch_execz .LBB300_705
; %bb.700:                              ;   in Loop: Header=BB300_10 Depth=1
	v_bfe_u32 v6, v5, 16, 7
	v_mov_b32_e32 v25, 0x7c01
	s_mov_b32 s17, exec_lo
	s_delay_alu instid0(VALU_DEP_2)
	v_cmpx_ne_u32_e32 0x7f, v6
	s_cbranch_execz .LBB300_704
; %bb.701:                              ;   in Loop: Header=BB300_10 Depth=1
	v_dual_lshrrev_b32 v1, 3, v6 :: v_dual_bitop2_b32 v0, 7, v8 bitop3:0x40
	s_mov_b32 s18, exec_lo
	v_cmpx_gt_u32_e32 8, v6
; %bb.702:                              ;   in Loop: Header=BB300_10 Depth=1
	s_delay_alu instid0(VALU_DEP_2) | instskip(NEXT) | instid1(VALU_DEP_1)
	v_clz_i32_u32_e32 v0, v0
	v_min_u32_e32 v6, 32, v0
	s_delay_alu instid0(VALU_DEP_1) | instskip(NEXT) | instid1(VALU_DEP_1)
	v_subrev_nc_u32_e32 v0, 28, v6
	v_lshlrev_b64_e32 v[0:1], v0, v[8:9]
	s_delay_alu instid0(VALU_DEP_1)
	v_dual_sub_nc_u32 v1, 29, v6 :: v_dual_bitop2_b32 v0, 7, v0 bitop3:0x40
; %bb.703:                              ;   in Loop: Header=BB300_10 Depth=1
	s_or_b32 exec_lo, exec_lo, s18
	v_lshlrev_b32_e32 v6, 8, v8
	s_delay_alu instid0(VALU_DEP_2) | instskip(NEXT) | instid1(VALU_DEP_3)
	v_lshl_add_u32 v1, v1, 10, 0x2000
	v_lshlrev_b32_e32 v0, 7, v0
	s_delay_alu instid0(VALU_DEP_3) | instskip(NEXT) | instid1(VALU_DEP_3)
	v_and_b32_e32 v6, 0x8000, v6
	v_and_b32_e32 v1, 0xfc00, v1
	s_delay_alu instid0(VALU_DEP_1)
	v_or3_b32 v25, v6, v1, v0
.LBB300_704:                            ;   in Loop: Header=BB300_10 Depth=1
	s_or_b32 exec_lo, exec_lo, s17
.LBB300_705:                            ;   in Loop: Header=BB300_10 Depth=1
	s_delay_alu instid0(SALU_CYCLE_1)
	s_or_b32 exec_lo, exec_lo, s16
.LBB300_706:                            ;   in Loop: Header=BB300_10 Depth=1
	s_delay_alu instid0(SALU_CYCLE_1)
	s_or_b32 exec_lo, exec_lo, s11
	v_dual_mov_b32 v111, 0 :: v_dual_mov_b32 v121, 0
	s_mov_b32 s11, exec_lo
	v_cmpx_lt_u64_e64 s[2:3], v[4:5]
	s_cbranch_execz .LBB300_714
; %bb.707:                              ;   in Loop: Header=BB300_10 Depth=1
	v_lshrrev_b32_e32 v14, 24, v5
	v_bfrev_b32_e32 v121, 1
	s_mov_b32 s16, exec_lo
	s_delay_alu instid0(VALU_DEP_2)
	v_cmpx_ne_u32_e32 0x80, v14
	s_cbranch_execz .LBB300_713
; %bb.708:                              ;   in Loop: Header=BB300_10 Depth=1
	v_and_b32_e32 v4, 0x7f, v14
	v_mov_b32_e32 v121, 0x7c010000
	s_mov_b32 s17, exec_lo
	s_delay_alu instid0(VALU_DEP_2)
	v_cmpx_ne_u32_e32 0x7f, v4
	s_cbranch_execz .LBB300_712
; %bb.709:                              ;   in Loop: Header=BB300_10 Depth=1
	v_dual_lshrrev_b32 v1, 3, v4 :: v_dual_bitop2_b32 v0, 7, v14 bitop3:0x40
	s_mov_b32 s18, exec_lo
	v_cmpx_gt_u32_e32 8, v4
; %bb.710:                              ;   in Loop: Header=BB300_10 Depth=1
	s_delay_alu instid0(VALU_DEP_2) | instskip(NEXT) | instid1(VALU_DEP_1)
	v_clz_i32_u32_e32 v0, v0
	v_min_u32_e32 v4, 32, v0
	s_delay_alu instid0(VALU_DEP_1) | instskip(NEXT) | instid1(VALU_DEP_1)
	v_subrev_nc_u32_e32 v0, 28, v4
	v_lshlrev_b64_e32 v[0:1], v0, v[14:15]
	v_sub_nc_u32_e32 v1, 29, v4
	s_delay_alu instid0(VALU_DEP_2)
	v_and_b32_e32 v0, 7, v0
; %bb.711:                              ;   in Loop: Header=BB300_10 Depth=1
	s_or_b32 exec_lo, exec_lo, s18
	s_delay_alu instid0(VALU_DEP_1) | instskip(NEXT) | instid1(VALU_DEP_3)
	v_dual_lshlrev_b32 v4, 8, v14 :: v_dual_lshlrev_b32 v0, 23, v0
	v_lshl_add_u32 v1, v1, 10, 0x2000
	s_delay_alu instid0(VALU_DEP_1) | instskip(NEXT) | instid1(VALU_DEP_1)
	v_and_or_b32 v1, 0x8000, v4, v1
	v_lshl_or_b32 v121, v1, 16, v0
.LBB300_712:                            ;   in Loop: Header=BB300_10 Depth=1
	s_or_b32 exec_lo, exec_lo, s17
.LBB300_713:                            ;   in Loop: Header=BB300_10 Depth=1
	s_delay_alu instid0(SALU_CYCLE_1)
	s_or_b32 exec_lo, exec_lo, s16
.LBB300_714:                            ;   in Loop: Header=BB300_10 Depth=1
	s_delay_alu instid0(SALU_CYCLE_1)
	s_or_b32 exec_lo, exec_lo, s11
	flat_load_b64 v[4:5], v[2:3] offset:2568
	s_mov_b32 s11, exec_lo
	s_wait_loadcnt_dscnt 0x0
	v_and_b32_e32 v0, 0xff, v4
	s_wait_xcnt 0x0
	s_delay_alu instid0(VALU_DEP_1)
	v_cmpx_ne_u16_e32 0, v0
	s_cbranch_execz .LBB300_722
; %bb.715:                              ;   in Loop: Header=BB300_10 Depth=1
	v_mov_b32_e32 v111, 0x8000
	s_mov_b32 s16, exec_lo
	v_cmpx_ne_u16_e32 0x80, v0
	s_cbranch_execz .LBB300_721
; %bb.716:                              ;   in Loop: Header=BB300_10 Depth=1
	v_and_b32_e32 v6, 0x7f, v4
	v_mov_b32_e32 v111, 0x7c01
	s_mov_b32 s17, exec_lo
	s_delay_alu instid0(VALU_DEP_2)
	v_cmpx_ne_u32_e32 0x7f, v6
	s_cbranch_execz .LBB300_720
; %bb.717:                              ;   in Loop: Header=BB300_10 Depth=1
	v_dual_lshrrev_b32 v1, 3, v6 :: v_dual_bitop2_b32 v0, 7, v4 bitop3:0x40
	s_mov_b32 s18, exec_lo
	v_cmpx_gt_u32_e32 8, v6
; %bb.718:                              ;   in Loop: Header=BB300_10 Depth=1
	s_delay_alu instid0(VALU_DEP_2) | instskip(NEXT) | instid1(VALU_DEP_1)
	v_clz_i32_u32_e32 v0, v0
	v_min_u32_e32 v6, 32, v0
	s_delay_alu instid0(VALU_DEP_1) | instskip(NEXT) | instid1(VALU_DEP_1)
	v_subrev_nc_u32_e32 v0, 28, v6
	v_lshlrev_b64_e32 v[0:1], v0, v[4:5]
	s_delay_alu instid0(VALU_DEP_1)
	v_dual_sub_nc_u32 v1, 29, v6 :: v_dual_bitop2_b32 v0, 7, v0 bitop3:0x40
; %bb.719:                              ;   in Loop: Header=BB300_10 Depth=1
	s_or_b32 exec_lo, exec_lo, s18
	v_lshlrev_b32_e32 v6, 8, v4
	s_delay_alu instid0(VALU_DEP_2) | instskip(NEXT) | instid1(VALU_DEP_3)
	v_lshl_add_u32 v1, v1, 10, 0x2000
	v_lshlrev_b32_e32 v0, 7, v0
	s_delay_alu instid0(VALU_DEP_3) | instskip(NEXT) | instid1(VALU_DEP_3)
	v_and_b32_e32 v6, 0x8000, v6
	v_and_b32_e32 v1, 0xfc00, v1
	s_delay_alu instid0(VALU_DEP_1)
	v_or3_b32 v111, v6, v1, v0
.LBB300_720:                            ;   in Loop: Header=BB300_10 Depth=1
	s_or_b32 exec_lo, exec_lo, s17
.LBB300_721:                            ;   in Loop: Header=BB300_10 Depth=1
	s_delay_alu instid0(SALU_CYCLE_1)
	s_or_b32 exec_lo, exec_lo, s16
.LBB300_722:                            ;   in Loop: Header=BB300_10 Depth=1
	s_delay_alu instid0(SALU_CYCLE_1) | instskip(SKIP_3) | instid1(VALU_DEP_2)
	s_or_b32 exec_lo, exec_lo, s11
	v_lshrrev_b16 v14, 8, v4
	v_dual_mov_b32 v16, 0 :: v_dual_mov_b32 v38, 0
	s_mov_b32 s11, exec_lo
	v_cmpx_ne_u16_e32 0, v14
	s_cbranch_execz .LBB300_730
; %bb.723:                              ;   in Loop: Header=BB300_10 Depth=1
	v_bfrev_b32_e32 v38, 1
	s_mov_b32 s16, exec_lo
	v_cmpx_ne_u16_e32 0x80, v14
	s_cbranch_execz .LBB300_729
; %bb.724:                              ;   in Loop: Header=BB300_10 Depth=1
	v_and_b32_e32 v0, 0xffff, v14
	v_mov_b32_e32 v38, 0x7c010000
	s_mov_b32 s17, exec_lo
	s_delay_alu instid0(VALU_DEP_2) | instskip(NEXT) | instid1(VALU_DEP_1)
	v_and_b32_e32 v7, 0x7f, v0
	v_cmpx_ne_u32_e32 0x7f, v7
	s_cbranch_execz .LBB300_728
; %bb.725:                              ;   in Loop: Header=BB300_10 Depth=1
	v_dual_lshrrev_b32 v6, 3, v7 :: v_dual_bitop2_b32 v1, 7, v0 bitop3:0x40
	s_mov_b32 s18, exec_lo
	v_cmpx_gt_u32_e32 8, v7
; %bb.726:                              ;   in Loop: Header=BB300_10 Depth=1
	s_delay_alu instid0(VALU_DEP_2) | instskip(NEXT) | instid1(VALU_DEP_1)
	v_clz_i32_u32_e32 v1, v1
	v_min_u32_e32 v1, 32, v1
	s_delay_alu instid0(VALU_DEP_1) | instskip(NEXT) | instid1(VALU_DEP_1)
	v_subrev_nc_u32_e32 v6, 28, v1
	v_lshlrev_b64_e32 v[8:9], v6, v[14:15]
	s_delay_alu instid0(VALU_DEP_1)
	v_dual_sub_nc_u32 v6, 29, v1 :: v_dual_bitop2_b32 v1, 7, v8 bitop3:0x40
; %bb.727:                              ;   in Loop: Header=BB300_10 Depth=1
	s_or_b32 exec_lo, exec_lo, s18
	s_delay_alu instid0(VALU_DEP_1) | instskip(NEXT) | instid1(VALU_DEP_2)
	v_dual_lshlrev_b32 v0, 8, v0 :: v_dual_lshlrev_b32 v1, 23, v1
	v_lshl_add_u32 v6, v6, 10, 0x2000
	s_delay_alu instid0(VALU_DEP_1) | instskip(NEXT) | instid1(VALU_DEP_1)
	v_and_or_b32 v0, 0x8000, v0, v6
	v_lshl_or_b32 v38, v0, 16, v1
.LBB300_728:                            ;   in Loop: Header=BB300_10 Depth=1
	s_or_b32 exec_lo, exec_lo, s17
.LBB300_729:                            ;   in Loop: Header=BB300_10 Depth=1
	s_delay_alu instid0(SALU_CYCLE_1)
	s_or_b32 exec_lo, exec_lo, s16
.LBB300_730:                            ;   in Loop: Header=BB300_10 Depth=1
	s_delay_alu instid0(SALU_CYCLE_1) | instskip(SKIP_2) | instid1(VALU_DEP_1)
	s_or_b32 exec_lo, exec_lo, s11
	v_lshrrev_b32_e32 v8, 16, v4
	s_mov_b32 s11, exec_lo
	v_and_b32_e32 v0, 0xff, v8
	s_delay_alu instid0(VALU_DEP_1)
	v_cmpx_ne_u16_e32 0, v0
	s_cbranch_execz .LBB300_738
; %bb.731:                              ;   in Loop: Header=BB300_10 Depth=1
	v_mov_b32_e32 v16, 0x8000
	s_mov_b32 s16, exec_lo
	v_cmpx_ne_u16_e32 0x80, v0
	s_cbranch_execz .LBB300_737
; %bb.732:                              ;   in Loop: Header=BB300_10 Depth=1
	v_bfe_u32 v6, v4, 16, 7
	v_mov_b32_e32 v16, 0x7c01
	s_mov_b32 s17, exec_lo
	s_delay_alu instid0(VALU_DEP_2)
	v_cmpx_ne_u32_e32 0x7f, v6
	s_cbranch_execz .LBB300_736
; %bb.733:                              ;   in Loop: Header=BB300_10 Depth=1
	v_dual_lshrrev_b32 v1, 3, v6 :: v_dual_bitop2_b32 v0, 7, v8 bitop3:0x40
	s_mov_b32 s18, exec_lo
	v_cmpx_gt_u32_e32 8, v6
; %bb.734:                              ;   in Loop: Header=BB300_10 Depth=1
	s_delay_alu instid0(VALU_DEP_2) | instskip(NEXT) | instid1(VALU_DEP_1)
	v_clz_i32_u32_e32 v0, v0
	v_min_u32_e32 v6, 32, v0
	s_delay_alu instid0(VALU_DEP_1) | instskip(NEXT) | instid1(VALU_DEP_1)
	v_subrev_nc_u32_e32 v0, 28, v6
	v_lshlrev_b64_e32 v[0:1], v0, v[8:9]
	s_delay_alu instid0(VALU_DEP_1)
	v_dual_sub_nc_u32 v1, 29, v6 :: v_dual_bitop2_b32 v0, 7, v0 bitop3:0x40
; %bb.735:                              ;   in Loop: Header=BB300_10 Depth=1
	s_or_b32 exec_lo, exec_lo, s18
	v_lshlrev_b32_e32 v6, 8, v8
	s_delay_alu instid0(VALU_DEP_2) | instskip(NEXT) | instid1(VALU_DEP_3)
	v_lshl_add_u32 v1, v1, 10, 0x2000
	v_lshlrev_b32_e32 v0, 7, v0
	s_delay_alu instid0(VALU_DEP_3) | instskip(NEXT) | instid1(VALU_DEP_3)
	v_and_b32_e32 v6, 0x8000, v6
	v_and_b32_e32 v1, 0xfc00, v1
	s_delay_alu instid0(VALU_DEP_1)
	v_or3_b32 v16, v6, v1, v0
.LBB300_736:                            ;   in Loop: Header=BB300_10 Depth=1
	s_or_b32 exec_lo, exec_lo, s17
.LBB300_737:                            ;   in Loop: Header=BB300_10 Depth=1
	s_delay_alu instid0(SALU_CYCLE_1)
	s_or_b32 exec_lo, exec_lo, s16
.LBB300_738:                            ;   in Loop: Header=BB300_10 Depth=1
	s_delay_alu instid0(SALU_CYCLE_1)
	s_or_b32 exec_lo, exec_lo, s11
	v_mov_b32_e32 v0, 0
	s_mov_b32 s11, exec_lo
	scratch_store_b32 off, v0, s32 offset:200 ; 4-byte Folded Spill
	s_wait_xcnt 0x0
	v_mov_b32_e32 v0, 0
	scratch_store_b32 off, v0, s32 offset:204 ; 4-byte Folded Spill
	s_wait_xcnt 0x0
	v_cmpx_lt_u32_e32 0xffffff, v4
	s_cbranch_execz .LBB300_746
; %bb.739:                              ;   in Loop: Header=BB300_10 Depth=1
	v_lshrrev_b32_e32 v14, 24, v4
	v_bfrev_b32_e32 v0, 1
	s_mov_b32 s16, exec_lo
	scratch_store_b32 off, v0, s32 offset:204 ; 4-byte Folded Spill
	s_wait_xcnt 0x0
	v_cmpx_ne_u32_e32 0x80, v14
	s_cbranch_execz .LBB300_745
; %bb.740:                              ;   in Loop: Header=BB300_10 Depth=1
	v_and_b32_e32 v6, 0x7f, v14
	v_mov_b32_e32 v0, 0x7c010000
	s_mov_b32 s17, exec_lo
	scratch_store_b32 off, v0, s32 offset:204 ; 4-byte Folded Spill
	s_wait_xcnt 0x0
	v_cmpx_ne_u32_e32 0x7f, v6
	s_cbranch_execz .LBB300_744
; %bb.741:                              ;   in Loop: Header=BB300_10 Depth=1
	v_and_b32_e32 v0, 7, v14
	v_lshrrev_b32_e32 v1, 3, v6
	s_mov_b32 s18, exec_lo
	v_cmpx_gt_u32_e32 8, v6
; %bb.742:                              ;   in Loop: Header=BB300_10 Depth=1
	s_delay_alu instid0(VALU_DEP_3) | instskip(NEXT) | instid1(VALU_DEP_1)
	v_clz_i32_u32_e32 v0, v0
	v_min_u32_e32 v6, 32, v0
	s_delay_alu instid0(VALU_DEP_1) | instskip(NEXT) | instid1(VALU_DEP_1)
	v_subrev_nc_u32_e32 v0, 28, v6
	v_lshlrev_b64_e32 v[0:1], v0, v[14:15]
	s_delay_alu instid0(VALU_DEP_1)
	v_dual_sub_nc_u32 v1, 29, v6 :: v_dual_bitop2_b32 v0, 7, v0 bitop3:0x40
; %bb.743:                              ;   in Loop: Header=BB300_10 Depth=1
	s_or_b32 exec_lo, exec_lo, s18
	s_delay_alu instid0(VALU_DEP_1) | instskip(NEXT) | instid1(VALU_DEP_2)
	v_dual_lshlrev_b32 v6, 8, v14 :: v_dual_lshlrev_b32 v0, 23, v0
	v_lshl_add_u32 v1, v1, 10, 0x2000
	s_delay_alu instid0(VALU_DEP_1) | instskip(NEXT) | instid1(VALU_DEP_1)
	v_and_or_b32 v1, 0x8000, v6, v1
	v_lshl_or_b32 v0, v1, 16, v0
	scratch_store_b32 off, v0, s32 offset:204 ; 4-byte Folded Spill
.LBB300_744:                            ;   in Loop: Header=BB300_10 Depth=1
	s_wait_xcnt 0x0
	s_or_b32 exec_lo, exec_lo, s17
.LBB300_745:                            ;   in Loop: Header=BB300_10 Depth=1
	s_delay_alu instid0(SALU_CYCLE_1)
	s_or_b32 exec_lo, exec_lo, s16
.LBB300_746:                            ;   in Loop: Header=BB300_10 Depth=1
	s_delay_alu instid0(SALU_CYCLE_1) | instskip(SKIP_3) | instid1(VALU_DEP_2)
	s_or_b32 exec_lo, exec_lo, s11
	v_and_b32_e32 v0, 0xff, v5
	v_mov_b32_e32 v14, v5
	s_mov_b32 s11, exec_lo
	v_cmpx_ne_u16_e32 0, v0
	s_cbranch_execz .LBB300_754
; %bb.747:                              ;   in Loop: Header=BB300_10 Depth=1
	v_cmp_ne_u16_e64 s1, 0x80, v0
	v_mov_b32_e32 v0, 0x8000
	scratch_store_b32 off, v0, s32 offset:200 ; 4-byte Folded Spill
	s_wait_xcnt 0x0
	s_and_saveexec_b32 s16, s1
	s_cbranch_execz .LBB300_753
; %bb.748:                              ;   in Loop: Header=BB300_10 Depth=1
	v_and_b32_e32 v6, 0x7f, v5
	v_mov_b32_e32 v0, 0x7c01
	s_mov_b32 s17, exec_lo
	scratch_store_b32 off, v0, s32 offset:200 ; 4-byte Folded Spill
	s_wait_xcnt 0x0
	v_cmpx_ne_u32_e32 0x7f, v6
	s_cbranch_execz .LBB300_752
; %bb.749:                              ;   in Loop: Header=BB300_10 Depth=1
	v_dual_lshrrev_b32 v1, 3, v6 :: v_dual_bitop2_b32 v0, 7, v5 bitop3:0x40
	s_mov_b32 s18, exec_lo
	v_cmpx_gt_u32_e32 8, v6
; %bb.750:                              ;   in Loop: Header=BB300_10 Depth=1
	s_delay_alu instid0(VALU_DEP_2) | instskip(NEXT) | instid1(VALU_DEP_1)
	v_clz_i32_u32_e32 v0, v0
	v_min_u32_e32 v6, 32, v0
	s_delay_alu instid0(VALU_DEP_1) | instskip(NEXT) | instid1(VALU_DEP_1)
	v_subrev_nc_u32_e32 v0, 28, v6
	v_lshlrev_b64_e32 v[0:1], v0, v[14:15]
	s_delay_alu instid0(VALU_DEP_1)
	v_dual_sub_nc_u32 v1, 29, v6 :: v_dual_bitop2_b32 v0, 7, v0 bitop3:0x40
; %bb.751:                              ;   in Loop: Header=BB300_10 Depth=1
	s_or_b32 exec_lo, exec_lo, s18
	s_delay_alu instid0(VALU_DEP_1) | instskip(NEXT) | instid1(VALU_DEP_2)
	v_dual_lshlrev_b32 v6, 8, v5 :: v_dual_lshlrev_b32 v0, 7, v0
	v_lshl_add_u32 v1, v1, 10, 0x2000
	s_delay_alu instid0(VALU_DEP_2) | instskip(NEXT) | instid1(VALU_DEP_2)
	v_and_b32_e32 v6, 0x8000, v6
	v_and_b32_e32 v1, 0xfc00, v1
	s_delay_alu instid0(VALU_DEP_1)
	v_or3_b32 v0, v6, v1, v0
	scratch_store_b32 off, v0, s32 offset:200 ; 4-byte Folded Spill
.LBB300_752:                            ;   in Loop: Header=BB300_10 Depth=1
	s_wait_xcnt 0x0
	s_or_b32 exec_lo, exec_lo, s17
.LBB300_753:                            ;   in Loop: Header=BB300_10 Depth=1
	s_delay_alu instid0(SALU_CYCLE_1)
	s_or_b32 exec_lo, exec_lo, s16
.LBB300_754:                            ;   in Loop: Header=BB300_10 Depth=1
	s_delay_alu instid0(SALU_CYCLE_1)
	s_or_b32 exec_lo, exec_lo, s11
	v_mov_b32_e32 v0, 0
	v_lshrrev_b16 v14, 8, v14
	s_mov_b32 s11, exec_lo
	scratch_store_b32 off, v0, s32 offset:216 ; 4-byte Folded Spill
	s_wait_xcnt 0x0
	v_mov_b32_e32 v0, 0
	scratch_store_b32 off, v0, s32 offset:220 ; 4-byte Folded Spill
	s_wait_xcnt 0x0
	v_cmpx_ne_u16_e32 0, v14
	s_cbranch_execz .LBB300_762
; %bb.755:                              ;   in Loop: Header=BB300_10 Depth=1
	v_bfrev_b32_e32 v0, 1
	s_mov_b32 s16, exec_lo
	scratch_store_b32 off, v0, s32 offset:220 ; 4-byte Folded Spill
	s_wait_xcnt 0x0
	v_cmpx_ne_u16_e32 0x80, v14
	s_cbranch_execz .LBB300_761
; %bb.756:                              ;   in Loop: Header=BB300_10 Depth=1
	v_and_b32_e32 v0, 0xffff, v14
	v_mov_b32_e32 v1, 0x7c010000
	s_mov_b32 s17, exec_lo
	s_delay_alu instid0(VALU_DEP_2)
	v_and_b32_e32 v7, 0x7f, v0
	scratch_store_b32 off, v1, s32 offset:220 ; 4-byte Folded Spill
	s_wait_xcnt 0x0
	v_cmpx_ne_u32_e32 0x7f, v7
	s_cbranch_execz .LBB300_760
; %bb.757:                              ;   in Loop: Header=BB300_10 Depth=1
	v_dual_lshrrev_b32 v6, 3, v7 :: v_dual_bitop2_b32 v1, 7, v0 bitop3:0x40
	s_mov_b32 s18, exec_lo
	v_cmpx_gt_u32_e32 8, v7
; %bb.758:                              ;   in Loop: Header=BB300_10 Depth=1
	s_delay_alu instid0(VALU_DEP_2) | instskip(NEXT) | instid1(VALU_DEP_1)
	v_clz_i32_u32_e32 v1, v1
	v_min_u32_e32 v1, 32, v1
	s_delay_alu instid0(VALU_DEP_1) | instskip(NEXT) | instid1(VALU_DEP_1)
	v_subrev_nc_u32_e32 v6, 28, v1
	v_lshlrev_b64_e32 v[8:9], v6, v[14:15]
	s_delay_alu instid0(VALU_DEP_1)
	v_dual_sub_nc_u32 v6, 29, v1 :: v_dual_bitop2_b32 v1, 7, v8 bitop3:0x40
; %bb.759:                              ;   in Loop: Header=BB300_10 Depth=1
	s_or_b32 exec_lo, exec_lo, s18
	s_delay_alu instid0(VALU_DEP_1) | instskip(NEXT) | instid1(VALU_DEP_2)
	v_dual_lshlrev_b32 v0, 8, v0 :: v_dual_lshlrev_b32 v1, 23, v1
	v_lshl_add_u32 v6, v6, 10, 0x2000
	s_delay_alu instid0(VALU_DEP_1) | instskip(NEXT) | instid1(VALU_DEP_1)
	v_and_or_b32 v0, 0x8000, v0, v6
	v_lshl_or_b32 v0, v0, 16, v1
	scratch_store_b32 off, v0, s32 offset:220 ; 4-byte Folded Spill
.LBB300_760:                            ;   in Loop: Header=BB300_10 Depth=1
	s_wait_xcnt 0x0
	s_or_b32 exec_lo, exec_lo, s17
.LBB300_761:                            ;   in Loop: Header=BB300_10 Depth=1
	s_delay_alu instid0(SALU_CYCLE_1)
	s_or_b32 exec_lo, exec_lo, s16
.LBB300_762:                            ;   in Loop: Header=BB300_10 Depth=1
	s_delay_alu instid0(SALU_CYCLE_1) | instskip(SKIP_2) | instid1(VALU_DEP_1)
	s_or_b32 exec_lo, exec_lo, s11
	v_lshrrev_b32_e32 v8, 16, v5
	s_mov_b32 s11, exec_lo
	v_and_b32_e32 v0, 0xff, v8
	s_delay_alu instid0(VALU_DEP_1)
	v_cmpx_ne_u16_e32 0, v0
	s_cbranch_execz .LBB300_770
; %bb.763:                              ;   in Loop: Header=BB300_10 Depth=1
	v_cmp_ne_u16_e64 s1, 0x80, v0
	v_mov_b32_e32 v0, 0x8000
	scratch_store_b32 off, v0, s32 offset:216 ; 4-byte Folded Spill
	s_wait_xcnt 0x0
	s_and_saveexec_b32 s16, s1
	s_cbranch_execz .LBB300_769
; %bb.764:                              ;   in Loop: Header=BB300_10 Depth=1
	v_bfe_u32 v6, v5, 16, 7
	v_mov_b32_e32 v0, 0x7c01
	s_mov_b32 s17, exec_lo
	scratch_store_b32 off, v0, s32 offset:216 ; 4-byte Folded Spill
	s_wait_xcnt 0x0
	v_cmpx_ne_u32_e32 0x7f, v6
	s_cbranch_execz .LBB300_768
; %bb.765:                              ;   in Loop: Header=BB300_10 Depth=1
	v_dual_lshrrev_b32 v1, 3, v6 :: v_dual_bitop2_b32 v0, 7, v8 bitop3:0x40
	s_mov_b32 s18, exec_lo
	v_cmpx_gt_u32_e32 8, v6
; %bb.766:                              ;   in Loop: Header=BB300_10 Depth=1
	s_delay_alu instid0(VALU_DEP_2) | instskip(NEXT) | instid1(VALU_DEP_1)
	v_clz_i32_u32_e32 v0, v0
	v_min_u32_e32 v6, 32, v0
	s_delay_alu instid0(VALU_DEP_1) | instskip(NEXT) | instid1(VALU_DEP_1)
	v_subrev_nc_u32_e32 v0, 28, v6
	v_lshlrev_b64_e32 v[0:1], v0, v[8:9]
	s_delay_alu instid0(VALU_DEP_1)
	v_dual_sub_nc_u32 v1, 29, v6 :: v_dual_bitop2_b32 v0, 7, v0 bitop3:0x40
; %bb.767:                              ;   in Loop: Header=BB300_10 Depth=1
	s_or_b32 exec_lo, exec_lo, s18
	v_lshlrev_b32_e32 v6, 8, v8
	s_delay_alu instid0(VALU_DEP_2) | instskip(NEXT) | instid1(VALU_DEP_3)
	v_lshl_add_u32 v1, v1, 10, 0x2000
	v_lshlrev_b32_e32 v0, 7, v0
	s_delay_alu instid0(VALU_DEP_3) | instskip(NEXT) | instid1(VALU_DEP_3)
	v_and_b32_e32 v6, 0x8000, v6
	v_and_b32_e32 v1, 0xfc00, v1
	s_delay_alu instid0(VALU_DEP_1)
	v_or3_b32 v0, v6, v1, v0
	scratch_store_b32 off, v0, s32 offset:216 ; 4-byte Folded Spill
.LBB300_768:                            ;   in Loop: Header=BB300_10 Depth=1
	s_wait_xcnt 0x0
	s_or_b32 exec_lo, exec_lo, s17
.LBB300_769:                            ;   in Loop: Header=BB300_10 Depth=1
	s_delay_alu instid0(SALU_CYCLE_1)
	s_or_b32 exec_lo, exec_lo, s16
.LBB300_770:                            ;   in Loop: Header=BB300_10 Depth=1
	s_delay_alu instid0(SALU_CYCLE_1)
	s_or_b32 exec_lo, exec_lo, s11
	v_mov_b32_e32 v0, 0
	s_mov_b32 s11, exec_lo
	scratch_store_b32 off, v0, s32 offset:232 ; 4-byte Folded Spill
	s_wait_xcnt 0x0
	v_mov_b32_e32 v0, 0
	scratch_store_b32 off, v0, s32 offset:516 ; 4-byte Folded Spill
	s_wait_xcnt 0x0
	v_cmpx_lt_u64_e64 s[2:3], v[4:5]
	s_cbranch_execz .LBB300_778
; %bb.771:                              ;   in Loop: Header=BB300_10 Depth=1
	v_lshrrev_b32_e32 v14, 24, v5
	v_bfrev_b32_e32 v0, 1
	s_mov_b32 s16, exec_lo
	s_delay_alu instid0(VALU_DEP_2)
	v_cmpx_ne_u32_e32 0x80, v14
	s_cbranch_execz .LBB300_777
; %bb.772:                              ;   in Loop: Header=BB300_10 Depth=1
	v_and_b32_e32 v4, 0x7f, v14
	v_mov_b32_e32 v0, 0x7c010000
	s_mov_b32 s17, exec_lo
	s_delay_alu instid0(VALU_DEP_2)
	v_cmpx_ne_u32_e32 0x7f, v4
	s_cbranch_execz .LBB300_776
; %bb.773:                              ;   in Loop: Header=BB300_10 Depth=1
	v_dual_lshrrev_b32 v1, 3, v4 :: v_dual_bitop2_b32 v0, 7, v14 bitop3:0x40
	s_mov_b32 s18, exec_lo
	v_cmpx_gt_u32_e32 8, v4
; %bb.774:                              ;   in Loop: Header=BB300_10 Depth=1
	s_delay_alu instid0(VALU_DEP_2) | instskip(NEXT) | instid1(VALU_DEP_1)
	v_clz_i32_u32_e32 v0, v0
	v_min_u32_e32 v4, 32, v0
	s_delay_alu instid0(VALU_DEP_1) | instskip(NEXT) | instid1(VALU_DEP_1)
	v_subrev_nc_u32_e32 v0, 28, v4
	v_lshlrev_b64_e32 v[0:1], v0, v[14:15]
	v_sub_nc_u32_e32 v1, 29, v4
	s_delay_alu instid0(VALU_DEP_2)
	v_and_b32_e32 v0, 7, v0
; %bb.775:                              ;   in Loop: Header=BB300_10 Depth=1
	s_or_b32 exec_lo, exec_lo, s18
	s_delay_alu instid0(VALU_DEP_1) | instskip(NEXT) | instid1(VALU_DEP_3)
	v_dual_lshlrev_b32 v4, 8, v14 :: v_dual_lshlrev_b32 v0, 23, v0
	v_lshl_add_u32 v1, v1, 10, 0x2000
	s_delay_alu instid0(VALU_DEP_1) | instskip(NEXT) | instid1(VALU_DEP_1)
	v_and_or_b32 v1, 0x8000, v4, v1
	v_lshl_or_b32 v0, v1, 16, v0
.LBB300_776:                            ;   in Loop: Header=BB300_10 Depth=1
	s_or_b32 exec_lo, exec_lo, s17
.LBB300_777:                            ;   in Loop: Header=BB300_10 Depth=1
	s_delay_alu instid0(SALU_CYCLE_1)
	s_or_b32 exec_lo, exec_lo, s16
	scratch_store_b32 off, v0, s32 offset:516 ; 4-byte Folded Spill
.LBB300_778:                            ;   in Loop: Header=BB300_10 Depth=1
	s_wait_xcnt 0x0
	s_or_b32 exec_lo, exec_lo, s11
	flat_load_b64 v[4:5], v[2:3] offset:3072
	s_mov_b32 s11, exec_lo
	s_wait_loadcnt_dscnt 0x0
	v_and_b32_e32 v0, 0xff, v4
	s_wait_xcnt 0x0
	s_delay_alu instid0(VALU_DEP_1)
	v_cmpx_ne_u16_e32 0, v0
	s_cbranch_execz .LBB300_786
; %bb.779:                              ;   in Loop: Header=BB300_10 Depth=1
	v_cmp_ne_u16_e64 s1, 0x80, v0
	v_mov_b32_e32 v0, 0x8000
	scratch_store_b32 off, v0, s32 offset:232 ; 4-byte Folded Spill
	s_wait_xcnt 0x0
	s_and_saveexec_b32 s16, s1
	s_cbranch_execz .LBB300_785
; %bb.780:                              ;   in Loop: Header=BB300_10 Depth=1
	v_and_b32_e32 v6, 0x7f, v4
	v_mov_b32_e32 v0, 0x7c01
	s_mov_b32 s17, exec_lo
	scratch_store_b32 off, v0, s32 offset:232 ; 4-byte Folded Spill
	s_wait_xcnt 0x0
	v_cmpx_ne_u32_e32 0x7f, v6
	s_cbranch_execz .LBB300_784
; %bb.781:                              ;   in Loop: Header=BB300_10 Depth=1
	v_dual_lshrrev_b32 v1, 3, v6 :: v_dual_bitop2_b32 v0, 7, v4 bitop3:0x40
	s_mov_b32 s18, exec_lo
	v_cmpx_gt_u32_e32 8, v6
; %bb.782:                              ;   in Loop: Header=BB300_10 Depth=1
	s_delay_alu instid0(VALU_DEP_2) | instskip(NEXT) | instid1(VALU_DEP_1)
	v_clz_i32_u32_e32 v0, v0
	v_min_u32_e32 v6, 32, v0
	s_delay_alu instid0(VALU_DEP_1) | instskip(NEXT) | instid1(VALU_DEP_1)
	v_subrev_nc_u32_e32 v0, 28, v6
	v_lshlrev_b64_e32 v[0:1], v0, v[4:5]
	s_delay_alu instid0(VALU_DEP_1)
	v_dual_sub_nc_u32 v1, 29, v6 :: v_dual_bitop2_b32 v0, 7, v0 bitop3:0x40
; %bb.783:                              ;   in Loop: Header=BB300_10 Depth=1
	s_or_b32 exec_lo, exec_lo, s18
	v_lshlrev_b32_e32 v6, 8, v4
	s_delay_alu instid0(VALU_DEP_2) | instskip(NEXT) | instid1(VALU_DEP_3)
	v_lshl_add_u32 v1, v1, 10, 0x2000
	v_lshlrev_b32_e32 v0, 7, v0
	s_delay_alu instid0(VALU_DEP_3) | instskip(NEXT) | instid1(VALU_DEP_3)
	v_and_b32_e32 v6, 0x8000, v6
	v_and_b32_e32 v1, 0xfc00, v1
	s_delay_alu instid0(VALU_DEP_1)
	v_or3_b32 v0, v6, v1, v0
	scratch_store_b32 off, v0, s32 offset:232 ; 4-byte Folded Spill
.LBB300_784:                            ;   in Loop: Header=BB300_10 Depth=1
	s_wait_xcnt 0x0
	s_or_b32 exec_lo, exec_lo, s17
.LBB300_785:                            ;   in Loop: Header=BB300_10 Depth=1
	s_delay_alu instid0(SALU_CYCLE_1)
	s_or_b32 exec_lo, exec_lo, s16
.LBB300_786:                            ;   in Loop: Header=BB300_10 Depth=1
	s_delay_alu instid0(SALU_CYCLE_1)
	s_or_b32 exec_lo, exec_lo, s11
	v_lshrrev_b16 v14, 8, v4
	v_dual_mov_b32 v35, 0 :: v_dual_mov_b32 v0, 0
	s_mov_b32 s11, exec_lo
	scratch_store_b32 off, v0, s32 offset:240 ; 4-byte Folded Spill
	s_wait_xcnt 0x0
	v_cmpx_ne_u16_e32 0, v14
	s_cbranch_execz .LBB300_794
; %bb.787:                              ;   in Loop: Header=BB300_10 Depth=1
	v_bfrev_b32_e32 v0, 1
	s_mov_b32 s16, exec_lo
	scratch_store_b32 off, v0, s32 offset:240 ; 4-byte Folded Spill
	s_wait_xcnt 0x0
	v_cmpx_ne_u16_e32 0x80, v14
	s_cbranch_execz .LBB300_793
; %bb.788:                              ;   in Loop: Header=BB300_10 Depth=1
	v_and_b32_e32 v0, 0xffff, v14
	v_mov_b32_e32 v1, 0x7c010000
	s_mov_b32 s17, exec_lo
	s_delay_alu instid0(VALU_DEP_2)
	v_and_b32_e32 v7, 0x7f, v0
	scratch_store_b32 off, v1, s32 offset:240 ; 4-byte Folded Spill
	s_wait_xcnt 0x0
	v_cmpx_ne_u32_e32 0x7f, v7
	s_cbranch_execz .LBB300_792
; %bb.789:                              ;   in Loop: Header=BB300_10 Depth=1
	v_dual_lshrrev_b32 v6, 3, v7 :: v_dual_bitop2_b32 v1, 7, v0 bitop3:0x40
	s_mov_b32 s18, exec_lo
	v_cmpx_gt_u32_e32 8, v7
; %bb.790:                              ;   in Loop: Header=BB300_10 Depth=1
	s_delay_alu instid0(VALU_DEP_2) | instskip(NEXT) | instid1(VALU_DEP_1)
	v_clz_i32_u32_e32 v1, v1
	v_min_u32_e32 v1, 32, v1
	s_delay_alu instid0(VALU_DEP_1) | instskip(NEXT) | instid1(VALU_DEP_1)
	v_subrev_nc_u32_e32 v6, 28, v1
	v_lshlrev_b64_e32 v[8:9], v6, v[14:15]
	s_delay_alu instid0(VALU_DEP_1)
	v_dual_sub_nc_u32 v6, 29, v1 :: v_dual_bitop2_b32 v1, 7, v8 bitop3:0x40
; %bb.791:                              ;   in Loop: Header=BB300_10 Depth=1
	s_or_b32 exec_lo, exec_lo, s18
	s_delay_alu instid0(VALU_DEP_1) | instskip(NEXT) | instid1(VALU_DEP_2)
	v_dual_lshlrev_b32 v0, 8, v0 :: v_dual_lshlrev_b32 v1, 23, v1
	v_lshl_add_u32 v6, v6, 10, 0x2000
	s_delay_alu instid0(VALU_DEP_1) | instskip(NEXT) | instid1(VALU_DEP_1)
	v_and_or_b32 v0, 0x8000, v0, v6
	v_lshl_or_b32 v0, v0, 16, v1
	scratch_store_b32 off, v0, s32 offset:240 ; 4-byte Folded Spill
.LBB300_792:                            ;   in Loop: Header=BB300_10 Depth=1
	s_wait_xcnt 0x0
	s_or_b32 exec_lo, exec_lo, s17
.LBB300_793:                            ;   in Loop: Header=BB300_10 Depth=1
	s_delay_alu instid0(SALU_CYCLE_1)
	s_or_b32 exec_lo, exec_lo, s16
.LBB300_794:                            ;   in Loop: Header=BB300_10 Depth=1
	s_delay_alu instid0(SALU_CYCLE_1) | instskip(SKIP_2) | instid1(VALU_DEP_1)
	s_or_b32 exec_lo, exec_lo, s11
	v_lshrrev_b32_e32 v8, 16, v4
	s_mov_b32 s11, exec_lo
	v_and_b32_e32 v0, 0xff, v8
	s_delay_alu instid0(VALU_DEP_1)
	v_cmpx_ne_u16_e32 0, v0
	s_cbranch_execz .LBB300_802
; %bb.795:                              ;   in Loop: Header=BB300_10 Depth=1
	v_mov_b32_e32 v35, 0x8000
	s_mov_b32 s16, exec_lo
	v_cmpx_ne_u16_e32 0x80, v0
	s_cbranch_execz .LBB300_801
; %bb.796:                              ;   in Loop: Header=BB300_10 Depth=1
	v_bfe_u32 v6, v4, 16, 7
	v_mov_b32_e32 v35, 0x7c01
	s_mov_b32 s17, exec_lo
	s_delay_alu instid0(VALU_DEP_2)
	v_cmpx_ne_u32_e32 0x7f, v6
	s_cbranch_execz .LBB300_800
; %bb.797:                              ;   in Loop: Header=BB300_10 Depth=1
	v_dual_lshrrev_b32 v1, 3, v6 :: v_dual_bitop2_b32 v0, 7, v8 bitop3:0x40
	s_mov_b32 s18, exec_lo
	v_cmpx_gt_u32_e32 8, v6
; %bb.798:                              ;   in Loop: Header=BB300_10 Depth=1
	s_delay_alu instid0(VALU_DEP_2) | instskip(NEXT) | instid1(VALU_DEP_1)
	v_clz_i32_u32_e32 v0, v0
	v_min_u32_e32 v6, 32, v0
	s_delay_alu instid0(VALU_DEP_1) | instskip(NEXT) | instid1(VALU_DEP_1)
	v_subrev_nc_u32_e32 v0, 28, v6
	v_lshlrev_b64_e32 v[0:1], v0, v[8:9]
	s_delay_alu instid0(VALU_DEP_1)
	v_dual_sub_nc_u32 v1, 29, v6 :: v_dual_bitop2_b32 v0, 7, v0 bitop3:0x40
; %bb.799:                              ;   in Loop: Header=BB300_10 Depth=1
	s_or_b32 exec_lo, exec_lo, s18
	v_lshlrev_b32_e32 v6, 8, v8
	s_delay_alu instid0(VALU_DEP_2) | instskip(NEXT) | instid1(VALU_DEP_3)
	v_lshl_add_u32 v1, v1, 10, 0x2000
	v_lshlrev_b32_e32 v0, 7, v0
	s_delay_alu instid0(VALU_DEP_3) | instskip(NEXT) | instid1(VALU_DEP_3)
	v_and_b32_e32 v6, 0x8000, v6
	v_and_b32_e32 v1, 0xfc00, v1
	s_delay_alu instid0(VALU_DEP_1)
	v_or3_b32 v35, v6, v1, v0
.LBB300_800:                            ;   in Loop: Header=BB300_10 Depth=1
	s_or_b32 exec_lo, exec_lo, s17
.LBB300_801:                            ;   in Loop: Header=BB300_10 Depth=1
	s_delay_alu instid0(SALU_CYCLE_1)
	s_or_b32 exec_lo, exec_lo, s16
.LBB300_802:                            ;   in Loop: Header=BB300_10 Depth=1
	s_delay_alu instid0(SALU_CYCLE_1)
	s_or_b32 exec_lo, exec_lo, s11
	v_mov_b32_e32 v0, 0
	s_mov_b32 s11, exec_lo
	scratch_store_b32 off, v0, s32 offset:208 ; 4-byte Folded Spill
	s_wait_xcnt 0x0
	v_mov_b32_e32 v0, 0
	scratch_store_b32 off, v0, s32 offset:212 ; 4-byte Folded Spill
	s_wait_xcnt 0x0
	v_cmpx_lt_u32_e32 0xffffff, v4
	s_cbranch_execz .LBB300_810
; %bb.803:                              ;   in Loop: Header=BB300_10 Depth=1
	v_lshrrev_b32_e32 v14, 24, v4
	v_bfrev_b32_e32 v0, 1
	s_mov_b32 s16, exec_lo
	scratch_store_b32 off, v0, s32 offset:212 ; 4-byte Folded Spill
	s_wait_xcnt 0x0
	v_cmpx_ne_u32_e32 0x80, v14
	s_cbranch_execz .LBB300_809
; %bb.804:                              ;   in Loop: Header=BB300_10 Depth=1
	v_and_b32_e32 v6, 0x7f, v14
	v_mov_b32_e32 v0, 0x7c010000
	s_mov_b32 s17, exec_lo
	scratch_store_b32 off, v0, s32 offset:212 ; 4-byte Folded Spill
	s_wait_xcnt 0x0
	v_cmpx_ne_u32_e32 0x7f, v6
	s_cbranch_execz .LBB300_808
; %bb.805:                              ;   in Loop: Header=BB300_10 Depth=1
	v_and_b32_e32 v0, 7, v14
	v_lshrrev_b32_e32 v1, 3, v6
	s_mov_b32 s18, exec_lo
	v_cmpx_gt_u32_e32 8, v6
; %bb.806:                              ;   in Loop: Header=BB300_10 Depth=1
	s_delay_alu instid0(VALU_DEP_3) | instskip(NEXT) | instid1(VALU_DEP_1)
	v_clz_i32_u32_e32 v0, v0
	v_min_u32_e32 v6, 32, v0
	s_delay_alu instid0(VALU_DEP_1) | instskip(NEXT) | instid1(VALU_DEP_1)
	v_subrev_nc_u32_e32 v0, 28, v6
	v_lshlrev_b64_e32 v[0:1], v0, v[14:15]
	s_delay_alu instid0(VALU_DEP_1)
	v_dual_sub_nc_u32 v1, 29, v6 :: v_dual_bitop2_b32 v0, 7, v0 bitop3:0x40
; %bb.807:                              ;   in Loop: Header=BB300_10 Depth=1
	s_or_b32 exec_lo, exec_lo, s18
	s_delay_alu instid0(VALU_DEP_1) | instskip(NEXT) | instid1(VALU_DEP_2)
	v_dual_lshlrev_b32 v6, 8, v14 :: v_dual_lshlrev_b32 v0, 23, v0
	v_lshl_add_u32 v1, v1, 10, 0x2000
	s_delay_alu instid0(VALU_DEP_1) | instskip(NEXT) | instid1(VALU_DEP_1)
	v_and_or_b32 v1, 0x8000, v6, v1
	v_lshl_or_b32 v0, v1, 16, v0
	scratch_store_b32 off, v0, s32 offset:212 ; 4-byte Folded Spill
.LBB300_808:                            ;   in Loop: Header=BB300_10 Depth=1
	s_wait_xcnt 0x0
	s_or_b32 exec_lo, exec_lo, s17
.LBB300_809:                            ;   in Loop: Header=BB300_10 Depth=1
	s_delay_alu instid0(SALU_CYCLE_1)
	s_or_b32 exec_lo, exec_lo, s16
.LBB300_810:                            ;   in Loop: Header=BB300_10 Depth=1
	s_delay_alu instid0(SALU_CYCLE_1) | instskip(SKIP_3) | instid1(VALU_DEP_2)
	s_or_b32 exec_lo, exec_lo, s11
	v_and_b32_e32 v0, 0xff, v5
	v_mov_b32_e32 v14, v5
	s_mov_b32 s11, exec_lo
	v_cmpx_ne_u16_e32 0, v0
	s_cbranch_execz .LBB300_818
; %bb.811:                              ;   in Loop: Header=BB300_10 Depth=1
	v_cmp_ne_u16_e64 s1, 0x80, v0
	v_mov_b32_e32 v0, 0x8000
	scratch_store_b32 off, v0, s32 offset:208 ; 4-byte Folded Spill
	s_wait_xcnt 0x0
	s_and_saveexec_b32 s16, s1
	s_cbranch_execz .LBB300_817
; %bb.812:                              ;   in Loop: Header=BB300_10 Depth=1
	v_and_b32_e32 v6, 0x7f, v5
	v_mov_b32_e32 v0, 0x7c01
	s_mov_b32 s17, exec_lo
	scratch_store_b32 off, v0, s32 offset:208 ; 4-byte Folded Spill
	s_wait_xcnt 0x0
	v_cmpx_ne_u32_e32 0x7f, v6
	s_cbranch_execz .LBB300_816
; %bb.813:                              ;   in Loop: Header=BB300_10 Depth=1
	v_dual_lshrrev_b32 v1, 3, v6 :: v_dual_bitop2_b32 v0, 7, v5 bitop3:0x40
	s_mov_b32 s18, exec_lo
	v_cmpx_gt_u32_e32 8, v6
; %bb.814:                              ;   in Loop: Header=BB300_10 Depth=1
	s_delay_alu instid0(VALU_DEP_2) | instskip(NEXT) | instid1(VALU_DEP_1)
	v_clz_i32_u32_e32 v0, v0
	v_min_u32_e32 v6, 32, v0
	s_delay_alu instid0(VALU_DEP_1) | instskip(NEXT) | instid1(VALU_DEP_1)
	v_subrev_nc_u32_e32 v0, 28, v6
	v_lshlrev_b64_e32 v[0:1], v0, v[14:15]
	s_delay_alu instid0(VALU_DEP_1)
	v_dual_sub_nc_u32 v1, 29, v6 :: v_dual_bitop2_b32 v0, 7, v0 bitop3:0x40
; %bb.815:                              ;   in Loop: Header=BB300_10 Depth=1
	s_or_b32 exec_lo, exec_lo, s18
	s_delay_alu instid0(VALU_DEP_1) | instskip(NEXT) | instid1(VALU_DEP_2)
	v_dual_lshlrev_b32 v6, 8, v5 :: v_dual_lshlrev_b32 v0, 7, v0
	v_lshl_add_u32 v1, v1, 10, 0x2000
	s_delay_alu instid0(VALU_DEP_2) | instskip(NEXT) | instid1(VALU_DEP_2)
	v_and_b32_e32 v6, 0x8000, v6
	v_and_b32_e32 v1, 0xfc00, v1
	s_delay_alu instid0(VALU_DEP_1)
	v_or3_b32 v0, v6, v1, v0
	scratch_store_b32 off, v0, s32 offset:208 ; 4-byte Folded Spill
.LBB300_816:                            ;   in Loop: Header=BB300_10 Depth=1
	s_wait_xcnt 0x0
	s_or_b32 exec_lo, exec_lo, s17
.LBB300_817:                            ;   in Loop: Header=BB300_10 Depth=1
	s_delay_alu instid0(SALU_CYCLE_1)
	s_or_b32 exec_lo, exec_lo, s16
.LBB300_818:                            ;   in Loop: Header=BB300_10 Depth=1
	s_delay_alu instid0(SALU_CYCLE_1)
	s_or_b32 exec_lo, exec_lo, s11
	v_mov_b32_e32 v0, 0
	v_lshrrev_b16 v14, 8, v14
	s_mov_b32 s11, exec_lo
	scratch_store_b32 off, v0, s32 offset:228 ; 4-byte Folded Spill
	s_wait_xcnt 0x0
	v_mov_b32_e32 v0, 0
	scratch_store_b32 off, v0, s32 offset:224 ; 4-byte Folded Spill
	s_wait_xcnt 0x0
	v_cmpx_ne_u16_e32 0, v14
	s_cbranch_execz .LBB300_826
; %bb.819:                              ;   in Loop: Header=BB300_10 Depth=1
	v_bfrev_b32_e32 v0, 1
	s_mov_b32 s16, exec_lo
	scratch_store_b32 off, v0, s32 offset:224 ; 4-byte Folded Spill
	s_wait_xcnt 0x0
	v_cmpx_ne_u16_e32 0x80, v14
	s_cbranch_execz .LBB300_825
; %bb.820:                              ;   in Loop: Header=BB300_10 Depth=1
	v_and_b32_e32 v0, 0xffff, v14
	v_mov_b32_e32 v1, 0x7c010000
	s_mov_b32 s17, exec_lo
	s_delay_alu instid0(VALU_DEP_2)
	v_and_b32_e32 v7, 0x7f, v0
	scratch_store_b32 off, v1, s32 offset:224 ; 4-byte Folded Spill
	s_wait_xcnt 0x0
	v_cmpx_ne_u32_e32 0x7f, v7
	s_cbranch_execz .LBB300_824
; %bb.821:                              ;   in Loop: Header=BB300_10 Depth=1
	v_dual_lshrrev_b32 v6, 3, v7 :: v_dual_bitop2_b32 v1, 7, v0 bitop3:0x40
	s_mov_b32 s18, exec_lo
	v_cmpx_gt_u32_e32 8, v7
; %bb.822:                              ;   in Loop: Header=BB300_10 Depth=1
	s_delay_alu instid0(VALU_DEP_2) | instskip(NEXT) | instid1(VALU_DEP_1)
	v_clz_i32_u32_e32 v1, v1
	v_min_u32_e32 v1, 32, v1
	s_delay_alu instid0(VALU_DEP_1) | instskip(NEXT) | instid1(VALU_DEP_1)
	v_subrev_nc_u32_e32 v6, 28, v1
	v_lshlrev_b64_e32 v[8:9], v6, v[14:15]
	s_delay_alu instid0(VALU_DEP_1)
	v_dual_sub_nc_u32 v6, 29, v1 :: v_dual_bitop2_b32 v1, 7, v8 bitop3:0x40
; %bb.823:                              ;   in Loop: Header=BB300_10 Depth=1
	s_or_b32 exec_lo, exec_lo, s18
	s_delay_alu instid0(VALU_DEP_1) | instskip(NEXT) | instid1(VALU_DEP_2)
	v_dual_lshlrev_b32 v0, 8, v0 :: v_dual_lshlrev_b32 v1, 23, v1
	v_lshl_add_u32 v6, v6, 10, 0x2000
	s_delay_alu instid0(VALU_DEP_1) | instskip(NEXT) | instid1(VALU_DEP_1)
	v_and_or_b32 v0, 0x8000, v0, v6
	v_lshl_or_b32 v0, v0, 16, v1
	scratch_store_b32 off, v0, s32 offset:224 ; 4-byte Folded Spill
.LBB300_824:                            ;   in Loop: Header=BB300_10 Depth=1
	s_wait_xcnt 0x0
	s_or_b32 exec_lo, exec_lo, s17
.LBB300_825:                            ;   in Loop: Header=BB300_10 Depth=1
	s_delay_alu instid0(SALU_CYCLE_1)
	s_or_b32 exec_lo, exec_lo, s16
.LBB300_826:                            ;   in Loop: Header=BB300_10 Depth=1
	s_delay_alu instid0(SALU_CYCLE_1) | instskip(SKIP_2) | instid1(VALU_DEP_1)
	s_or_b32 exec_lo, exec_lo, s11
	v_lshrrev_b32_e32 v8, 16, v5
	s_mov_b32 s11, exec_lo
	v_and_b32_e32 v0, 0xff, v8
	s_delay_alu instid0(VALU_DEP_1)
	v_cmpx_ne_u16_e32 0, v0
	s_cbranch_execz .LBB300_834
; %bb.827:                              ;   in Loop: Header=BB300_10 Depth=1
	v_cmp_ne_u16_e64 s1, 0x80, v0
	v_mov_b32_e32 v0, 0x8000
	scratch_store_b32 off, v0, s32 offset:228 ; 4-byte Folded Spill
	s_wait_xcnt 0x0
	s_and_saveexec_b32 s16, s1
	s_cbranch_execz .LBB300_833
; %bb.828:                              ;   in Loop: Header=BB300_10 Depth=1
	v_bfe_u32 v6, v5, 16, 7
	v_mov_b32_e32 v0, 0x7c01
	s_mov_b32 s17, exec_lo
	scratch_store_b32 off, v0, s32 offset:228 ; 4-byte Folded Spill
	s_wait_xcnt 0x0
	v_cmpx_ne_u32_e32 0x7f, v6
	s_cbranch_execz .LBB300_832
; %bb.829:                              ;   in Loop: Header=BB300_10 Depth=1
	v_dual_lshrrev_b32 v1, 3, v6 :: v_dual_bitop2_b32 v0, 7, v8 bitop3:0x40
	s_mov_b32 s18, exec_lo
	v_cmpx_gt_u32_e32 8, v6
; %bb.830:                              ;   in Loop: Header=BB300_10 Depth=1
	s_delay_alu instid0(VALU_DEP_2) | instskip(NEXT) | instid1(VALU_DEP_1)
	v_clz_i32_u32_e32 v0, v0
	v_min_u32_e32 v6, 32, v0
	s_delay_alu instid0(VALU_DEP_1) | instskip(NEXT) | instid1(VALU_DEP_1)
	v_subrev_nc_u32_e32 v0, 28, v6
	v_lshlrev_b64_e32 v[0:1], v0, v[8:9]
	s_delay_alu instid0(VALU_DEP_1)
	v_dual_sub_nc_u32 v1, 29, v6 :: v_dual_bitop2_b32 v0, 7, v0 bitop3:0x40
; %bb.831:                              ;   in Loop: Header=BB300_10 Depth=1
	s_or_b32 exec_lo, exec_lo, s18
	v_lshlrev_b32_e32 v6, 8, v8
	s_delay_alu instid0(VALU_DEP_2) | instskip(NEXT) | instid1(VALU_DEP_3)
	v_lshl_add_u32 v1, v1, 10, 0x2000
	v_lshlrev_b32_e32 v0, 7, v0
	s_delay_alu instid0(VALU_DEP_3) | instskip(NEXT) | instid1(VALU_DEP_3)
	v_and_b32_e32 v6, 0x8000, v6
	v_and_b32_e32 v1, 0xfc00, v1
	s_delay_alu instid0(VALU_DEP_1)
	v_or3_b32 v0, v6, v1, v0
	scratch_store_b32 off, v0, s32 offset:228 ; 4-byte Folded Spill
.LBB300_832:                            ;   in Loop: Header=BB300_10 Depth=1
	s_wait_xcnt 0x0
	s_or_b32 exec_lo, exec_lo, s17
.LBB300_833:                            ;   in Loop: Header=BB300_10 Depth=1
	s_delay_alu instid0(SALU_CYCLE_1)
	s_or_b32 exec_lo, exec_lo, s16
.LBB300_834:                            ;   in Loop: Header=BB300_10 Depth=1
	s_delay_alu instid0(SALU_CYCLE_1)
	s_or_b32 exec_lo, exec_lo, s11
	v_mov_b32_e32 v0, 0
	s_mov_b32 s11, exec_lo
	scratch_store_b32 off, v0, s32 offset:236 ; 4-byte Folded Spill
	s_wait_xcnt 0x0
	v_mov_b32_e32 v0, 0
	scratch_store_b32 off, v0, s32 offset:520 ; 4-byte Folded Spill
	s_wait_xcnt 0x0
	v_cmpx_lt_u64_e64 s[2:3], v[4:5]
	s_cbranch_execz .LBB300_842
; %bb.835:                              ;   in Loop: Header=BB300_10 Depth=1
	v_lshrrev_b32_e32 v14, 24, v5
	v_bfrev_b32_e32 v0, 1
	s_mov_b32 s16, exec_lo
	s_delay_alu instid0(VALU_DEP_2)
	v_cmpx_ne_u32_e32 0x80, v14
	s_cbranch_execz .LBB300_841
; %bb.836:                              ;   in Loop: Header=BB300_10 Depth=1
	v_and_b32_e32 v4, 0x7f, v14
	v_mov_b32_e32 v0, 0x7c010000
	s_mov_b32 s17, exec_lo
	s_delay_alu instid0(VALU_DEP_2)
	v_cmpx_ne_u32_e32 0x7f, v4
	s_cbranch_execz .LBB300_840
; %bb.837:                              ;   in Loop: Header=BB300_10 Depth=1
	v_dual_lshrrev_b32 v1, 3, v4 :: v_dual_bitop2_b32 v0, 7, v14 bitop3:0x40
	s_mov_b32 s18, exec_lo
	v_cmpx_gt_u32_e32 8, v4
; %bb.838:                              ;   in Loop: Header=BB300_10 Depth=1
	s_delay_alu instid0(VALU_DEP_2) | instskip(NEXT) | instid1(VALU_DEP_1)
	v_clz_i32_u32_e32 v0, v0
	v_min_u32_e32 v4, 32, v0
	s_delay_alu instid0(VALU_DEP_1) | instskip(NEXT) | instid1(VALU_DEP_1)
	v_subrev_nc_u32_e32 v0, 28, v4
	v_lshlrev_b64_e32 v[0:1], v0, v[14:15]
	v_sub_nc_u32_e32 v1, 29, v4
	s_delay_alu instid0(VALU_DEP_2)
	v_and_b32_e32 v0, 7, v0
; %bb.839:                              ;   in Loop: Header=BB300_10 Depth=1
	s_or_b32 exec_lo, exec_lo, s18
	s_delay_alu instid0(VALU_DEP_1) | instskip(NEXT) | instid1(VALU_DEP_3)
	v_dual_lshlrev_b32 v4, 8, v14 :: v_dual_lshlrev_b32 v0, 23, v0
	v_lshl_add_u32 v1, v1, 10, 0x2000
	s_delay_alu instid0(VALU_DEP_1) | instskip(NEXT) | instid1(VALU_DEP_1)
	v_and_or_b32 v1, 0x8000, v4, v1
	v_lshl_or_b32 v0, v1, 16, v0
.LBB300_840:                            ;   in Loop: Header=BB300_10 Depth=1
	s_or_b32 exec_lo, exec_lo, s17
.LBB300_841:                            ;   in Loop: Header=BB300_10 Depth=1
	s_delay_alu instid0(SALU_CYCLE_1)
	s_or_b32 exec_lo, exec_lo, s16
	scratch_store_b32 off, v0, s32 offset:520 ; 4-byte Folded Spill
.LBB300_842:                            ;   in Loop: Header=BB300_10 Depth=1
	s_wait_xcnt 0x0
	s_or_b32 exec_lo, exec_lo, s11
	flat_load_b64 v[4:5], v[2:3] offset:3080
	s_mov_b32 s11, exec_lo
	s_wait_loadcnt_dscnt 0x0
	v_and_b32_e32 v0, 0xff, v4
	s_wait_xcnt 0x0
	s_delay_alu instid0(VALU_DEP_1)
	v_cmpx_ne_u16_e32 0, v0
	s_cbranch_execz .LBB300_850
; %bb.843:                              ;   in Loop: Header=BB300_10 Depth=1
	v_cmp_ne_u16_e64 s1, 0x80, v0
	v_mov_b32_e32 v0, 0x8000
	scratch_store_b32 off, v0, s32 offset:236 ; 4-byte Folded Spill
	s_wait_xcnt 0x0
	s_and_saveexec_b32 s16, s1
	s_cbranch_execz .LBB300_849
; %bb.844:                              ;   in Loop: Header=BB300_10 Depth=1
	v_and_b32_e32 v6, 0x7f, v4
	v_mov_b32_e32 v0, 0x7c01
	s_mov_b32 s17, exec_lo
	scratch_store_b32 off, v0, s32 offset:236 ; 4-byte Folded Spill
	s_wait_xcnt 0x0
	v_cmpx_ne_u32_e32 0x7f, v6
	s_cbranch_execz .LBB300_848
; %bb.845:                              ;   in Loop: Header=BB300_10 Depth=1
	v_dual_lshrrev_b32 v1, 3, v6 :: v_dual_bitop2_b32 v0, 7, v4 bitop3:0x40
	s_mov_b32 s18, exec_lo
	v_cmpx_gt_u32_e32 8, v6
; %bb.846:                              ;   in Loop: Header=BB300_10 Depth=1
	s_delay_alu instid0(VALU_DEP_2) | instskip(NEXT) | instid1(VALU_DEP_1)
	v_clz_i32_u32_e32 v0, v0
	v_min_u32_e32 v6, 32, v0
	s_delay_alu instid0(VALU_DEP_1) | instskip(NEXT) | instid1(VALU_DEP_1)
	v_subrev_nc_u32_e32 v0, 28, v6
	v_lshlrev_b64_e32 v[0:1], v0, v[4:5]
	s_delay_alu instid0(VALU_DEP_1)
	v_dual_sub_nc_u32 v1, 29, v6 :: v_dual_bitop2_b32 v0, 7, v0 bitop3:0x40
; %bb.847:                              ;   in Loop: Header=BB300_10 Depth=1
	s_or_b32 exec_lo, exec_lo, s18
	v_lshlrev_b32_e32 v6, 8, v4
	s_delay_alu instid0(VALU_DEP_2) | instskip(NEXT) | instid1(VALU_DEP_3)
	v_lshl_add_u32 v1, v1, 10, 0x2000
	v_lshlrev_b32_e32 v0, 7, v0
	s_delay_alu instid0(VALU_DEP_3) | instskip(NEXT) | instid1(VALU_DEP_3)
	v_and_b32_e32 v6, 0x8000, v6
	v_and_b32_e32 v1, 0xfc00, v1
	s_delay_alu instid0(VALU_DEP_1)
	v_or3_b32 v0, v6, v1, v0
	scratch_store_b32 off, v0, s32 offset:236 ; 4-byte Folded Spill
.LBB300_848:                            ;   in Loop: Header=BB300_10 Depth=1
	s_wait_xcnt 0x0
	s_or_b32 exec_lo, exec_lo, s17
.LBB300_849:                            ;   in Loop: Header=BB300_10 Depth=1
	s_delay_alu instid0(SALU_CYCLE_1)
	s_or_b32 exec_lo, exec_lo, s16
.LBB300_850:                            ;   in Loop: Header=BB300_10 Depth=1
	s_delay_alu instid0(SALU_CYCLE_1)
	s_or_b32 exec_lo, exec_lo, s11
	v_mov_b32_e32 v0, 0
	v_lshrrev_b16 v14, 8, v4
	s_mov_b32 s11, exec_lo
	scratch_store_b32 off, v0, s32 offset:244 ; 4-byte Folded Spill
	s_wait_xcnt 0x0
	v_mov_b32_e32 v0, 0
	scratch_store_b32 off, v0, s32 offset:248 ; 4-byte Folded Spill
	s_wait_xcnt 0x0
	v_cmpx_ne_u16_e32 0, v14
	s_cbranch_execz .LBB300_858
; %bb.851:                              ;   in Loop: Header=BB300_10 Depth=1
	v_bfrev_b32_e32 v0, 1
	s_mov_b32 s16, exec_lo
	scratch_store_b32 off, v0, s32 offset:248 ; 4-byte Folded Spill
	s_wait_xcnt 0x0
	v_cmpx_ne_u16_e32 0x80, v14
	s_cbranch_execz .LBB300_857
; %bb.852:                              ;   in Loop: Header=BB300_10 Depth=1
	v_and_b32_e32 v0, 0xffff, v14
	v_mov_b32_e32 v1, 0x7c010000
	s_mov_b32 s17, exec_lo
	s_delay_alu instid0(VALU_DEP_2)
	v_and_b32_e32 v7, 0x7f, v0
	scratch_store_b32 off, v1, s32 offset:248 ; 4-byte Folded Spill
	s_wait_xcnt 0x0
	v_cmpx_ne_u32_e32 0x7f, v7
	s_cbranch_execz .LBB300_856
; %bb.853:                              ;   in Loop: Header=BB300_10 Depth=1
	v_dual_lshrrev_b32 v6, 3, v7 :: v_dual_bitop2_b32 v1, 7, v0 bitop3:0x40
	s_mov_b32 s18, exec_lo
	v_cmpx_gt_u32_e32 8, v7
; %bb.854:                              ;   in Loop: Header=BB300_10 Depth=1
	s_delay_alu instid0(VALU_DEP_2) | instskip(NEXT) | instid1(VALU_DEP_1)
	v_clz_i32_u32_e32 v1, v1
	v_min_u32_e32 v1, 32, v1
	s_delay_alu instid0(VALU_DEP_1) | instskip(NEXT) | instid1(VALU_DEP_1)
	v_subrev_nc_u32_e32 v6, 28, v1
	v_lshlrev_b64_e32 v[8:9], v6, v[14:15]
	s_delay_alu instid0(VALU_DEP_1)
	v_dual_sub_nc_u32 v6, 29, v1 :: v_dual_bitop2_b32 v1, 7, v8 bitop3:0x40
; %bb.855:                              ;   in Loop: Header=BB300_10 Depth=1
	s_or_b32 exec_lo, exec_lo, s18
	s_delay_alu instid0(VALU_DEP_1) | instskip(NEXT) | instid1(VALU_DEP_2)
	v_dual_lshlrev_b32 v0, 8, v0 :: v_dual_lshlrev_b32 v1, 23, v1
	v_lshl_add_u32 v6, v6, 10, 0x2000
	s_delay_alu instid0(VALU_DEP_1) | instskip(NEXT) | instid1(VALU_DEP_1)
	v_and_or_b32 v0, 0x8000, v0, v6
	v_lshl_or_b32 v0, v0, 16, v1
	scratch_store_b32 off, v0, s32 offset:248 ; 4-byte Folded Spill
.LBB300_856:                            ;   in Loop: Header=BB300_10 Depth=1
	s_wait_xcnt 0x0
	s_or_b32 exec_lo, exec_lo, s17
.LBB300_857:                            ;   in Loop: Header=BB300_10 Depth=1
	s_delay_alu instid0(SALU_CYCLE_1)
	s_or_b32 exec_lo, exec_lo, s16
.LBB300_858:                            ;   in Loop: Header=BB300_10 Depth=1
	s_delay_alu instid0(SALU_CYCLE_1) | instskip(SKIP_2) | instid1(VALU_DEP_1)
	s_or_b32 exec_lo, exec_lo, s11
	v_lshrrev_b32_e32 v8, 16, v4
	s_mov_b32 s11, exec_lo
	v_and_b32_e32 v0, 0xff, v8
	s_delay_alu instid0(VALU_DEP_1)
	v_cmpx_ne_u16_e32 0, v0
	s_cbranch_execz .LBB300_866
; %bb.859:                              ;   in Loop: Header=BB300_10 Depth=1
	v_cmp_ne_u16_e64 s1, 0x80, v0
	v_mov_b32_e32 v0, 0x8000
	scratch_store_b32 off, v0, s32 offset:244 ; 4-byte Folded Spill
	s_wait_xcnt 0x0
	s_and_saveexec_b32 s16, s1
	s_cbranch_execz .LBB300_865
; %bb.860:                              ;   in Loop: Header=BB300_10 Depth=1
	v_bfe_u32 v6, v4, 16, 7
	v_mov_b32_e32 v0, 0x7c01
	s_mov_b32 s17, exec_lo
	scratch_store_b32 off, v0, s32 offset:244 ; 4-byte Folded Spill
	s_wait_xcnt 0x0
	v_cmpx_ne_u32_e32 0x7f, v6
	s_cbranch_execz .LBB300_864
; %bb.861:                              ;   in Loop: Header=BB300_10 Depth=1
	v_dual_lshrrev_b32 v1, 3, v6 :: v_dual_bitop2_b32 v0, 7, v8 bitop3:0x40
	s_mov_b32 s18, exec_lo
	v_cmpx_gt_u32_e32 8, v6
; %bb.862:                              ;   in Loop: Header=BB300_10 Depth=1
	s_delay_alu instid0(VALU_DEP_2) | instskip(NEXT) | instid1(VALU_DEP_1)
	v_clz_i32_u32_e32 v0, v0
	v_min_u32_e32 v6, 32, v0
	s_delay_alu instid0(VALU_DEP_1) | instskip(NEXT) | instid1(VALU_DEP_1)
	v_subrev_nc_u32_e32 v0, 28, v6
	v_lshlrev_b64_e32 v[0:1], v0, v[8:9]
	s_delay_alu instid0(VALU_DEP_1)
	v_dual_sub_nc_u32 v1, 29, v6 :: v_dual_bitop2_b32 v0, 7, v0 bitop3:0x40
; %bb.863:                              ;   in Loop: Header=BB300_10 Depth=1
	s_or_b32 exec_lo, exec_lo, s18
	v_lshlrev_b32_e32 v6, 8, v8
	s_delay_alu instid0(VALU_DEP_2) | instskip(NEXT) | instid1(VALU_DEP_3)
	v_lshl_add_u32 v1, v1, 10, 0x2000
	v_lshlrev_b32_e32 v0, 7, v0
	s_delay_alu instid0(VALU_DEP_3) | instskip(NEXT) | instid1(VALU_DEP_3)
	v_and_b32_e32 v6, 0x8000, v6
	v_and_b32_e32 v1, 0xfc00, v1
	s_delay_alu instid0(VALU_DEP_1)
	v_or3_b32 v0, v6, v1, v0
	scratch_store_b32 off, v0, s32 offset:244 ; 4-byte Folded Spill
.LBB300_864:                            ;   in Loop: Header=BB300_10 Depth=1
	s_wait_xcnt 0x0
	s_or_b32 exec_lo, exec_lo, s17
.LBB300_865:                            ;   in Loop: Header=BB300_10 Depth=1
	s_delay_alu instid0(SALU_CYCLE_1)
	s_or_b32 exec_lo, exec_lo, s16
.LBB300_866:                            ;   in Loop: Header=BB300_10 Depth=1
	s_delay_alu instid0(SALU_CYCLE_1)
	s_or_b32 exec_lo, exec_lo, s11
	v_mov_b32_e32 v0, 0
	s_mov_b32 s11, exec_lo
	scratch_store_b32 off, v0, s32 offset:252 ; 4-byte Folded Spill
	s_wait_xcnt 0x0
	v_mov_b32_e32 v0, 0
	scratch_store_b32 off, v0, s32 offset:256 ; 4-byte Folded Spill
	s_wait_xcnt 0x0
	v_cmpx_lt_u32_e32 0xffffff, v4
	s_cbranch_execz .LBB300_874
; %bb.867:                              ;   in Loop: Header=BB300_10 Depth=1
	v_lshrrev_b32_e32 v14, 24, v4
	v_bfrev_b32_e32 v0, 1
	s_mov_b32 s16, exec_lo
	scratch_store_b32 off, v0, s32 offset:256 ; 4-byte Folded Spill
	s_wait_xcnt 0x0
	v_cmpx_ne_u32_e32 0x80, v14
	s_cbranch_execz .LBB300_873
; %bb.868:                              ;   in Loop: Header=BB300_10 Depth=1
	v_and_b32_e32 v6, 0x7f, v14
	v_mov_b32_e32 v0, 0x7c010000
	s_mov_b32 s17, exec_lo
	scratch_store_b32 off, v0, s32 offset:256 ; 4-byte Folded Spill
	s_wait_xcnt 0x0
	v_cmpx_ne_u32_e32 0x7f, v6
	s_cbranch_execz .LBB300_872
; %bb.869:                              ;   in Loop: Header=BB300_10 Depth=1
	v_and_b32_e32 v0, 7, v14
	v_lshrrev_b32_e32 v1, 3, v6
	s_mov_b32 s18, exec_lo
	v_cmpx_gt_u32_e32 8, v6
; %bb.870:                              ;   in Loop: Header=BB300_10 Depth=1
	s_delay_alu instid0(VALU_DEP_3) | instskip(NEXT) | instid1(VALU_DEP_1)
	v_clz_i32_u32_e32 v0, v0
	v_min_u32_e32 v6, 32, v0
	s_delay_alu instid0(VALU_DEP_1) | instskip(NEXT) | instid1(VALU_DEP_1)
	v_subrev_nc_u32_e32 v0, 28, v6
	v_lshlrev_b64_e32 v[0:1], v0, v[14:15]
	s_delay_alu instid0(VALU_DEP_1)
	v_dual_sub_nc_u32 v1, 29, v6 :: v_dual_bitop2_b32 v0, 7, v0 bitop3:0x40
; %bb.871:                              ;   in Loop: Header=BB300_10 Depth=1
	s_or_b32 exec_lo, exec_lo, s18
	s_delay_alu instid0(VALU_DEP_1) | instskip(NEXT) | instid1(VALU_DEP_2)
	v_dual_lshlrev_b32 v6, 8, v14 :: v_dual_lshlrev_b32 v0, 23, v0
	v_lshl_add_u32 v1, v1, 10, 0x2000
	s_delay_alu instid0(VALU_DEP_1) | instskip(NEXT) | instid1(VALU_DEP_1)
	v_and_or_b32 v1, 0x8000, v6, v1
	v_lshl_or_b32 v0, v1, 16, v0
	scratch_store_b32 off, v0, s32 offset:256 ; 4-byte Folded Spill
.LBB300_872:                            ;   in Loop: Header=BB300_10 Depth=1
	s_wait_xcnt 0x0
	s_or_b32 exec_lo, exec_lo, s17
.LBB300_873:                            ;   in Loop: Header=BB300_10 Depth=1
	s_delay_alu instid0(SALU_CYCLE_1)
	s_or_b32 exec_lo, exec_lo, s16
.LBB300_874:                            ;   in Loop: Header=BB300_10 Depth=1
	s_delay_alu instid0(SALU_CYCLE_1) | instskip(SKIP_3) | instid1(VALU_DEP_2)
	s_or_b32 exec_lo, exec_lo, s11
	v_and_b32_e32 v0, 0xff, v5
	v_mov_b32_e32 v14, v5
	s_mov_b32 s11, exec_lo
	v_cmpx_ne_u16_e32 0, v0
	s_cbranch_execz .LBB300_882
; %bb.875:                              ;   in Loop: Header=BB300_10 Depth=1
	v_cmp_ne_u16_e64 s1, 0x80, v0
	v_mov_b32_e32 v0, 0x8000
	scratch_store_b32 off, v0, s32 offset:252 ; 4-byte Folded Spill
	s_wait_xcnt 0x0
	s_and_saveexec_b32 s16, s1
	s_cbranch_execz .LBB300_881
; %bb.876:                              ;   in Loop: Header=BB300_10 Depth=1
	v_and_b32_e32 v6, 0x7f, v5
	v_mov_b32_e32 v0, 0x7c01
	s_mov_b32 s17, exec_lo
	scratch_store_b32 off, v0, s32 offset:252 ; 4-byte Folded Spill
	s_wait_xcnt 0x0
	v_cmpx_ne_u32_e32 0x7f, v6
	s_cbranch_execz .LBB300_880
; %bb.877:                              ;   in Loop: Header=BB300_10 Depth=1
	v_dual_lshrrev_b32 v1, 3, v6 :: v_dual_bitop2_b32 v0, 7, v5 bitop3:0x40
	s_mov_b32 s18, exec_lo
	v_cmpx_gt_u32_e32 8, v6
; %bb.878:                              ;   in Loop: Header=BB300_10 Depth=1
	s_delay_alu instid0(VALU_DEP_2) | instskip(NEXT) | instid1(VALU_DEP_1)
	v_clz_i32_u32_e32 v0, v0
	v_min_u32_e32 v6, 32, v0
	s_delay_alu instid0(VALU_DEP_1) | instskip(NEXT) | instid1(VALU_DEP_1)
	v_subrev_nc_u32_e32 v0, 28, v6
	v_lshlrev_b64_e32 v[0:1], v0, v[14:15]
	s_delay_alu instid0(VALU_DEP_1)
	v_dual_sub_nc_u32 v1, 29, v6 :: v_dual_bitop2_b32 v0, 7, v0 bitop3:0x40
; %bb.879:                              ;   in Loop: Header=BB300_10 Depth=1
	s_or_b32 exec_lo, exec_lo, s18
	s_delay_alu instid0(VALU_DEP_1) | instskip(NEXT) | instid1(VALU_DEP_2)
	v_dual_lshlrev_b32 v6, 8, v5 :: v_dual_lshlrev_b32 v0, 7, v0
	v_lshl_add_u32 v1, v1, 10, 0x2000
	s_delay_alu instid0(VALU_DEP_2) | instskip(NEXT) | instid1(VALU_DEP_2)
	v_and_b32_e32 v6, 0x8000, v6
	v_and_b32_e32 v1, 0xfc00, v1
	s_delay_alu instid0(VALU_DEP_1)
	v_or3_b32 v0, v6, v1, v0
	scratch_store_b32 off, v0, s32 offset:252 ; 4-byte Folded Spill
.LBB300_880:                            ;   in Loop: Header=BB300_10 Depth=1
	s_wait_xcnt 0x0
	s_or_b32 exec_lo, exec_lo, s17
.LBB300_881:                            ;   in Loop: Header=BB300_10 Depth=1
	s_delay_alu instid0(SALU_CYCLE_1)
	s_or_b32 exec_lo, exec_lo, s16
.LBB300_882:                            ;   in Loop: Header=BB300_10 Depth=1
	s_delay_alu instid0(SALU_CYCLE_1)
	s_or_b32 exec_lo, exec_lo, s11
	v_mov_b32_e32 v0, 0
	v_lshrrev_b16 v14, 8, v14
	s_mov_b32 s11, exec_lo
	scratch_store_b32 off, v0, s32 offset:260 ; 4-byte Folded Spill
	s_wait_xcnt 0x0
	v_mov_b32_e32 v0, 0
	scratch_store_b32 off, v0, s32 offset:264 ; 4-byte Folded Spill
	s_wait_xcnt 0x0
	v_cmpx_ne_u16_e32 0, v14
	s_cbranch_execz .LBB300_890
; %bb.883:                              ;   in Loop: Header=BB300_10 Depth=1
	v_bfrev_b32_e32 v0, 1
	s_mov_b32 s16, exec_lo
	scratch_store_b32 off, v0, s32 offset:264 ; 4-byte Folded Spill
	s_wait_xcnt 0x0
	v_cmpx_ne_u16_e32 0x80, v14
	s_cbranch_execz .LBB300_889
; %bb.884:                              ;   in Loop: Header=BB300_10 Depth=1
	v_and_b32_e32 v0, 0xffff, v14
	v_mov_b32_e32 v1, 0x7c010000
	s_mov_b32 s17, exec_lo
	s_delay_alu instid0(VALU_DEP_2)
	v_and_b32_e32 v7, 0x7f, v0
	scratch_store_b32 off, v1, s32 offset:264 ; 4-byte Folded Spill
	s_wait_xcnt 0x0
	v_cmpx_ne_u32_e32 0x7f, v7
	s_cbranch_execz .LBB300_888
; %bb.885:                              ;   in Loop: Header=BB300_10 Depth=1
	v_dual_lshrrev_b32 v6, 3, v7 :: v_dual_bitop2_b32 v1, 7, v0 bitop3:0x40
	s_mov_b32 s18, exec_lo
	v_cmpx_gt_u32_e32 8, v7
; %bb.886:                              ;   in Loop: Header=BB300_10 Depth=1
	s_delay_alu instid0(VALU_DEP_2) | instskip(NEXT) | instid1(VALU_DEP_1)
	v_clz_i32_u32_e32 v1, v1
	v_min_u32_e32 v1, 32, v1
	s_delay_alu instid0(VALU_DEP_1) | instskip(NEXT) | instid1(VALU_DEP_1)
	v_subrev_nc_u32_e32 v6, 28, v1
	v_lshlrev_b64_e32 v[8:9], v6, v[14:15]
	s_delay_alu instid0(VALU_DEP_1)
	v_dual_sub_nc_u32 v6, 29, v1 :: v_dual_bitop2_b32 v1, 7, v8 bitop3:0x40
; %bb.887:                              ;   in Loop: Header=BB300_10 Depth=1
	s_or_b32 exec_lo, exec_lo, s18
	s_delay_alu instid0(VALU_DEP_1) | instskip(NEXT) | instid1(VALU_DEP_2)
	v_dual_lshlrev_b32 v0, 8, v0 :: v_dual_lshlrev_b32 v1, 23, v1
	v_lshl_add_u32 v6, v6, 10, 0x2000
	s_delay_alu instid0(VALU_DEP_1) | instskip(NEXT) | instid1(VALU_DEP_1)
	v_and_or_b32 v0, 0x8000, v0, v6
	v_lshl_or_b32 v0, v0, 16, v1
	scratch_store_b32 off, v0, s32 offset:264 ; 4-byte Folded Spill
.LBB300_888:                            ;   in Loop: Header=BB300_10 Depth=1
	s_wait_xcnt 0x0
	s_or_b32 exec_lo, exec_lo, s17
.LBB300_889:                            ;   in Loop: Header=BB300_10 Depth=1
	s_delay_alu instid0(SALU_CYCLE_1)
	s_or_b32 exec_lo, exec_lo, s16
.LBB300_890:                            ;   in Loop: Header=BB300_10 Depth=1
	s_delay_alu instid0(SALU_CYCLE_1) | instskip(SKIP_2) | instid1(VALU_DEP_1)
	s_or_b32 exec_lo, exec_lo, s11
	v_lshrrev_b32_e32 v8, 16, v5
	s_mov_b32 s11, exec_lo
	v_and_b32_e32 v0, 0xff, v8
	s_delay_alu instid0(VALU_DEP_1)
	v_cmpx_ne_u16_e32 0, v0
	s_cbranch_execz .LBB300_898
; %bb.891:                              ;   in Loop: Header=BB300_10 Depth=1
	v_cmp_ne_u16_e64 s1, 0x80, v0
	v_mov_b32_e32 v0, 0x8000
	scratch_store_b32 off, v0, s32 offset:260 ; 4-byte Folded Spill
	s_wait_xcnt 0x0
	s_and_saveexec_b32 s16, s1
	s_cbranch_execz .LBB300_897
; %bb.892:                              ;   in Loop: Header=BB300_10 Depth=1
	v_bfe_u32 v6, v5, 16, 7
	v_mov_b32_e32 v0, 0x7c01
	s_mov_b32 s17, exec_lo
	scratch_store_b32 off, v0, s32 offset:260 ; 4-byte Folded Spill
	s_wait_xcnt 0x0
	v_cmpx_ne_u32_e32 0x7f, v6
	s_cbranch_execz .LBB300_896
; %bb.893:                              ;   in Loop: Header=BB300_10 Depth=1
	v_dual_lshrrev_b32 v1, 3, v6 :: v_dual_bitop2_b32 v0, 7, v8 bitop3:0x40
	s_mov_b32 s18, exec_lo
	v_cmpx_gt_u32_e32 8, v6
; %bb.894:                              ;   in Loop: Header=BB300_10 Depth=1
	s_delay_alu instid0(VALU_DEP_2) | instskip(NEXT) | instid1(VALU_DEP_1)
	v_clz_i32_u32_e32 v0, v0
	v_min_u32_e32 v6, 32, v0
	s_delay_alu instid0(VALU_DEP_1) | instskip(NEXT) | instid1(VALU_DEP_1)
	v_subrev_nc_u32_e32 v0, 28, v6
	v_lshlrev_b64_e32 v[0:1], v0, v[8:9]
	s_delay_alu instid0(VALU_DEP_1)
	v_dual_sub_nc_u32 v1, 29, v6 :: v_dual_bitop2_b32 v0, 7, v0 bitop3:0x40
; %bb.895:                              ;   in Loop: Header=BB300_10 Depth=1
	s_or_b32 exec_lo, exec_lo, s18
	v_lshlrev_b32_e32 v6, 8, v8
	s_delay_alu instid0(VALU_DEP_2) | instskip(NEXT) | instid1(VALU_DEP_3)
	v_lshl_add_u32 v1, v1, 10, 0x2000
	v_lshlrev_b32_e32 v0, 7, v0
	s_delay_alu instid0(VALU_DEP_3) | instskip(NEXT) | instid1(VALU_DEP_3)
	v_and_b32_e32 v6, 0x8000, v6
	v_and_b32_e32 v1, 0xfc00, v1
	s_delay_alu instid0(VALU_DEP_1)
	v_or3_b32 v0, v6, v1, v0
	scratch_store_b32 off, v0, s32 offset:260 ; 4-byte Folded Spill
.LBB300_896:                            ;   in Loop: Header=BB300_10 Depth=1
	s_wait_xcnt 0x0
	s_or_b32 exec_lo, exec_lo, s17
.LBB300_897:                            ;   in Loop: Header=BB300_10 Depth=1
	s_delay_alu instid0(SALU_CYCLE_1)
	s_or_b32 exec_lo, exec_lo, s16
.LBB300_898:                            ;   in Loop: Header=BB300_10 Depth=1
	s_delay_alu instid0(SALU_CYCLE_1)
	s_or_b32 exec_lo, exec_lo, s11
	v_mov_b32_e32 v0, 0
	s_mov_b32 s11, exec_lo
	scratch_store_b32 off, v0, s32 offset:268 ; 4-byte Folded Spill
	s_wait_xcnt 0x0
	v_mov_b32_e32 v0, 0
	scratch_store_b32 off, v0, s32 offset:524 ; 4-byte Folded Spill
	s_wait_xcnt 0x0
	v_cmpx_lt_u64_e64 s[2:3], v[4:5]
	s_cbranch_execz .LBB300_906
; %bb.899:                              ;   in Loop: Header=BB300_10 Depth=1
	v_lshrrev_b32_e32 v14, 24, v5
	v_bfrev_b32_e32 v0, 1
	s_mov_b32 s16, exec_lo
	s_delay_alu instid0(VALU_DEP_2)
	v_cmpx_ne_u32_e32 0x80, v14
	s_cbranch_execz .LBB300_905
; %bb.900:                              ;   in Loop: Header=BB300_10 Depth=1
	v_and_b32_e32 v4, 0x7f, v14
	v_mov_b32_e32 v0, 0x7c010000
	s_mov_b32 s17, exec_lo
	s_delay_alu instid0(VALU_DEP_2)
	v_cmpx_ne_u32_e32 0x7f, v4
	s_cbranch_execz .LBB300_904
; %bb.901:                              ;   in Loop: Header=BB300_10 Depth=1
	v_dual_lshrrev_b32 v1, 3, v4 :: v_dual_bitop2_b32 v0, 7, v14 bitop3:0x40
	s_mov_b32 s18, exec_lo
	v_cmpx_gt_u32_e32 8, v4
; %bb.902:                              ;   in Loop: Header=BB300_10 Depth=1
	s_delay_alu instid0(VALU_DEP_2) | instskip(NEXT) | instid1(VALU_DEP_1)
	v_clz_i32_u32_e32 v0, v0
	v_min_u32_e32 v4, 32, v0
	s_delay_alu instid0(VALU_DEP_1) | instskip(NEXT) | instid1(VALU_DEP_1)
	v_subrev_nc_u32_e32 v0, 28, v4
	v_lshlrev_b64_e32 v[0:1], v0, v[14:15]
	v_sub_nc_u32_e32 v1, 29, v4
	s_delay_alu instid0(VALU_DEP_2)
	v_and_b32_e32 v0, 7, v0
; %bb.903:                              ;   in Loop: Header=BB300_10 Depth=1
	s_or_b32 exec_lo, exec_lo, s18
	s_delay_alu instid0(VALU_DEP_1) | instskip(NEXT) | instid1(VALU_DEP_3)
	v_dual_lshlrev_b32 v4, 8, v14 :: v_dual_lshlrev_b32 v0, 23, v0
	v_lshl_add_u32 v1, v1, 10, 0x2000
	s_delay_alu instid0(VALU_DEP_1) | instskip(NEXT) | instid1(VALU_DEP_1)
	v_and_or_b32 v1, 0x8000, v4, v1
	v_lshl_or_b32 v0, v1, 16, v0
.LBB300_904:                            ;   in Loop: Header=BB300_10 Depth=1
	s_or_b32 exec_lo, exec_lo, s17
.LBB300_905:                            ;   in Loop: Header=BB300_10 Depth=1
	s_delay_alu instid0(SALU_CYCLE_1)
	s_or_b32 exec_lo, exec_lo, s16
	scratch_store_b32 off, v0, s32 offset:524 ; 4-byte Folded Spill
.LBB300_906:                            ;   in Loop: Header=BB300_10 Depth=1
	s_wait_xcnt 0x0
	s_or_b32 exec_lo, exec_lo, s11
	flat_load_b64 v[4:5], v[2:3] offset:3584
	s_mov_b32 s11, exec_lo
	s_wait_loadcnt_dscnt 0x0
	v_and_b32_e32 v0, 0xff, v4
	s_wait_xcnt 0x0
	s_delay_alu instid0(VALU_DEP_1)
	v_cmpx_ne_u16_e32 0, v0
	s_cbranch_execz .LBB300_914
; %bb.907:                              ;   in Loop: Header=BB300_10 Depth=1
	v_cmp_ne_u16_e64 s1, 0x80, v0
	v_mov_b32_e32 v0, 0x8000
	scratch_store_b32 off, v0, s32 offset:268 ; 4-byte Folded Spill
	s_wait_xcnt 0x0
	s_and_saveexec_b32 s16, s1
	s_cbranch_execz .LBB300_913
; %bb.908:                              ;   in Loop: Header=BB300_10 Depth=1
	v_and_b32_e32 v6, 0x7f, v4
	v_mov_b32_e32 v0, 0x7c01
	s_mov_b32 s17, exec_lo
	scratch_store_b32 off, v0, s32 offset:268 ; 4-byte Folded Spill
	s_wait_xcnt 0x0
	v_cmpx_ne_u32_e32 0x7f, v6
	s_cbranch_execz .LBB300_912
; %bb.909:                              ;   in Loop: Header=BB300_10 Depth=1
	v_dual_lshrrev_b32 v1, 3, v6 :: v_dual_bitop2_b32 v0, 7, v4 bitop3:0x40
	s_mov_b32 s18, exec_lo
	v_cmpx_gt_u32_e32 8, v6
; %bb.910:                              ;   in Loop: Header=BB300_10 Depth=1
	s_delay_alu instid0(VALU_DEP_2) | instskip(NEXT) | instid1(VALU_DEP_1)
	v_clz_i32_u32_e32 v0, v0
	v_min_u32_e32 v6, 32, v0
	s_delay_alu instid0(VALU_DEP_1) | instskip(NEXT) | instid1(VALU_DEP_1)
	v_subrev_nc_u32_e32 v0, 28, v6
	v_lshlrev_b64_e32 v[0:1], v0, v[4:5]
	s_delay_alu instid0(VALU_DEP_1)
	v_dual_sub_nc_u32 v1, 29, v6 :: v_dual_bitop2_b32 v0, 7, v0 bitop3:0x40
; %bb.911:                              ;   in Loop: Header=BB300_10 Depth=1
	s_or_b32 exec_lo, exec_lo, s18
	v_lshlrev_b32_e32 v6, 8, v4
	s_delay_alu instid0(VALU_DEP_2) | instskip(NEXT) | instid1(VALU_DEP_3)
	v_lshl_add_u32 v1, v1, 10, 0x2000
	v_lshlrev_b32_e32 v0, 7, v0
	s_delay_alu instid0(VALU_DEP_3) | instskip(NEXT) | instid1(VALU_DEP_3)
	v_and_b32_e32 v6, 0x8000, v6
	v_and_b32_e32 v1, 0xfc00, v1
	s_delay_alu instid0(VALU_DEP_1)
	v_or3_b32 v0, v6, v1, v0
	scratch_store_b32 off, v0, s32 offset:268 ; 4-byte Folded Spill
.LBB300_912:                            ;   in Loop: Header=BB300_10 Depth=1
	s_wait_xcnt 0x0
	s_or_b32 exec_lo, exec_lo, s17
.LBB300_913:                            ;   in Loop: Header=BB300_10 Depth=1
	s_delay_alu instid0(SALU_CYCLE_1)
	s_or_b32 exec_lo, exec_lo, s16
.LBB300_914:                            ;   in Loop: Header=BB300_10 Depth=1
	s_delay_alu instid0(SALU_CYCLE_1)
	s_or_b32 exec_lo, exec_lo, s11
	v_mov_b32_e32 v0, 0
	v_lshrrev_b16 v14, 8, v4
	s_mov_b32 s11, exec_lo
	scratch_store_b32 off, v0, s32 offset:272 ; 4-byte Folded Spill
	s_wait_xcnt 0x0
	v_mov_b32_e32 v0, 0
	scratch_store_b32 off, v0, s32 offset:276 ; 4-byte Folded Spill
	s_wait_xcnt 0x0
	v_cmpx_ne_u16_e32 0, v14
	s_cbranch_execz .LBB300_922
; %bb.915:                              ;   in Loop: Header=BB300_10 Depth=1
	v_bfrev_b32_e32 v0, 1
	s_mov_b32 s16, exec_lo
	scratch_store_b32 off, v0, s32 offset:276 ; 4-byte Folded Spill
	s_wait_xcnt 0x0
	v_cmpx_ne_u16_e32 0x80, v14
	s_cbranch_execz .LBB300_921
; %bb.916:                              ;   in Loop: Header=BB300_10 Depth=1
	v_and_b32_e32 v0, 0xffff, v14
	v_mov_b32_e32 v1, 0x7c010000
	s_mov_b32 s17, exec_lo
	s_delay_alu instid0(VALU_DEP_2)
	v_and_b32_e32 v7, 0x7f, v0
	scratch_store_b32 off, v1, s32 offset:276 ; 4-byte Folded Spill
	s_wait_xcnt 0x0
	v_cmpx_ne_u32_e32 0x7f, v7
	s_cbranch_execz .LBB300_920
; %bb.917:                              ;   in Loop: Header=BB300_10 Depth=1
	v_dual_lshrrev_b32 v6, 3, v7 :: v_dual_bitop2_b32 v1, 7, v0 bitop3:0x40
	s_mov_b32 s18, exec_lo
	v_cmpx_gt_u32_e32 8, v7
; %bb.918:                              ;   in Loop: Header=BB300_10 Depth=1
	s_delay_alu instid0(VALU_DEP_2) | instskip(NEXT) | instid1(VALU_DEP_1)
	v_clz_i32_u32_e32 v1, v1
	v_min_u32_e32 v1, 32, v1
	s_delay_alu instid0(VALU_DEP_1) | instskip(NEXT) | instid1(VALU_DEP_1)
	v_subrev_nc_u32_e32 v6, 28, v1
	v_lshlrev_b64_e32 v[8:9], v6, v[14:15]
	s_delay_alu instid0(VALU_DEP_1)
	v_dual_sub_nc_u32 v6, 29, v1 :: v_dual_bitop2_b32 v1, 7, v8 bitop3:0x40
; %bb.919:                              ;   in Loop: Header=BB300_10 Depth=1
	s_or_b32 exec_lo, exec_lo, s18
	s_delay_alu instid0(VALU_DEP_1) | instskip(NEXT) | instid1(VALU_DEP_2)
	v_dual_lshlrev_b32 v0, 8, v0 :: v_dual_lshlrev_b32 v1, 23, v1
	v_lshl_add_u32 v6, v6, 10, 0x2000
	s_delay_alu instid0(VALU_DEP_1) | instskip(NEXT) | instid1(VALU_DEP_1)
	v_and_or_b32 v0, 0x8000, v0, v6
	v_lshl_or_b32 v0, v0, 16, v1
	scratch_store_b32 off, v0, s32 offset:276 ; 4-byte Folded Spill
.LBB300_920:                            ;   in Loop: Header=BB300_10 Depth=1
	s_wait_xcnt 0x0
	s_or_b32 exec_lo, exec_lo, s17
.LBB300_921:                            ;   in Loop: Header=BB300_10 Depth=1
	s_delay_alu instid0(SALU_CYCLE_1)
	s_or_b32 exec_lo, exec_lo, s16
.LBB300_922:                            ;   in Loop: Header=BB300_10 Depth=1
	s_delay_alu instid0(SALU_CYCLE_1) | instskip(SKIP_2) | instid1(VALU_DEP_1)
	s_or_b32 exec_lo, exec_lo, s11
	v_lshrrev_b32_e32 v8, 16, v4
	s_mov_b32 s11, exec_lo
	v_and_b32_e32 v0, 0xff, v8
	s_delay_alu instid0(VALU_DEP_1)
	v_cmpx_ne_u16_e32 0, v0
	s_cbranch_execz .LBB300_930
; %bb.923:                              ;   in Loop: Header=BB300_10 Depth=1
	v_cmp_ne_u16_e64 s1, 0x80, v0
	v_mov_b32_e32 v0, 0x8000
	scratch_store_b32 off, v0, s32 offset:272 ; 4-byte Folded Spill
	s_wait_xcnt 0x0
	s_and_saveexec_b32 s16, s1
	s_cbranch_execz .LBB300_929
; %bb.924:                              ;   in Loop: Header=BB300_10 Depth=1
	v_bfe_u32 v6, v4, 16, 7
	v_mov_b32_e32 v0, 0x7c01
	s_mov_b32 s17, exec_lo
	scratch_store_b32 off, v0, s32 offset:272 ; 4-byte Folded Spill
	s_wait_xcnt 0x0
	v_cmpx_ne_u32_e32 0x7f, v6
	s_cbranch_execz .LBB300_928
; %bb.925:                              ;   in Loop: Header=BB300_10 Depth=1
	v_dual_lshrrev_b32 v1, 3, v6 :: v_dual_bitop2_b32 v0, 7, v8 bitop3:0x40
	s_mov_b32 s18, exec_lo
	v_cmpx_gt_u32_e32 8, v6
; %bb.926:                              ;   in Loop: Header=BB300_10 Depth=1
	s_delay_alu instid0(VALU_DEP_2) | instskip(NEXT) | instid1(VALU_DEP_1)
	v_clz_i32_u32_e32 v0, v0
	v_min_u32_e32 v6, 32, v0
	s_delay_alu instid0(VALU_DEP_1) | instskip(NEXT) | instid1(VALU_DEP_1)
	v_subrev_nc_u32_e32 v0, 28, v6
	v_lshlrev_b64_e32 v[0:1], v0, v[8:9]
	s_delay_alu instid0(VALU_DEP_1)
	v_dual_sub_nc_u32 v1, 29, v6 :: v_dual_bitop2_b32 v0, 7, v0 bitop3:0x40
; %bb.927:                              ;   in Loop: Header=BB300_10 Depth=1
	s_or_b32 exec_lo, exec_lo, s18
	v_lshlrev_b32_e32 v6, 8, v8
	s_delay_alu instid0(VALU_DEP_2) | instskip(NEXT) | instid1(VALU_DEP_3)
	v_lshl_add_u32 v1, v1, 10, 0x2000
	v_lshlrev_b32_e32 v0, 7, v0
	s_delay_alu instid0(VALU_DEP_3) | instskip(NEXT) | instid1(VALU_DEP_3)
	v_and_b32_e32 v6, 0x8000, v6
	v_and_b32_e32 v1, 0xfc00, v1
	s_delay_alu instid0(VALU_DEP_1)
	v_or3_b32 v0, v6, v1, v0
	scratch_store_b32 off, v0, s32 offset:272 ; 4-byte Folded Spill
.LBB300_928:                            ;   in Loop: Header=BB300_10 Depth=1
	s_wait_xcnt 0x0
	s_or_b32 exec_lo, exec_lo, s17
.LBB300_929:                            ;   in Loop: Header=BB300_10 Depth=1
	s_delay_alu instid0(SALU_CYCLE_1)
	s_or_b32 exec_lo, exec_lo, s16
.LBB300_930:                            ;   in Loop: Header=BB300_10 Depth=1
	s_delay_alu instid0(SALU_CYCLE_1)
	s_or_b32 exec_lo, exec_lo, s11
	v_mov_b32_e32 v0, 0
	s_mov_b32 s11, exec_lo
	scratch_store_b32 off, v0, s32 offset:280 ; 4-byte Folded Spill
	s_wait_xcnt 0x0
	v_mov_b32_e32 v0, 0
	scratch_store_b32 off, v0, s32 offset:284 ; 4-byte Folded Spill
	s_wait_xcnt 0x0
	v_cmpx_lt_u32_e32 0xffffff, v4
	s_cbranch_execz .LBB300_938
; %bb.931:                              ;   in Loop: Header=BB300_10 Depth=1
	v_lshrrev_b32_e32 v14, 24, v4
	v_bfrev_b32_e32 v0, 1
	s_mov_b32 s16, exec_lo
	scratch_store_b32 off, v0, s32 offset:284 ; 4-byte Folded Spill
	s_wait_xcnt 0x0
	v_cmpx_ne_u32_e32 0x80, v14
	s_cbranch_execz .LBB300_937
; %bb.932:                              ;   in Loop: Header=BB300_10 Depth=1
	v_and_b32_e32 v6, 0x7f, v14
	v_mov_b32_e32 v0, 0x7c010000
	s_mov_b32 s17, exec_lo
	scratch_store_b32 off, v0, s32 offset:284 ; 4-byte Folded Spill
	s_wait_xcnt 0x0
	v_cmpx_ne_u32_e32 0x7f, v6
	s_cbranch_execz .LBB300_936
; %bb.933:                              ;   in Loop: Header=BB300_10 Depth=1
	v_and_b32_e32 v0, 7, v14
	v_lshrrev_b32_e32 v1, 3, v6
	s_mov_b32 s18, exec_lo
	v_cmpx_gt_u32_e32 8, v6
; %bb.934:                              ;   in Loop: Header=BB300_10 Depth=1
	s_delay_alu instid0(VALU_DEP_3) | instskip(NEXT) | instid1(VALU_DEP_1)
	v_clz_i32_u32_e32 v0, v0
	v_min_u32_e32 v6, 32, v0
	s_delay_alu instid0(VALU_DEP_1) | instskip(NEXT) | instid1(VALU_DEP_1)
	v_subrev_nc_u32_e32 v0, 28, v6
	v_lshlrev_b64_e32 v[0:1], v0, v[14:15]
	s_delay_alu instid0(VALU_DEP_1)
	v_dual_sub_nc_u32 v1, 29, v6 :: v_dual_bitop2_b32 v0, 7, v0 bitop3:0x40
; %bb.935:                              ;   in Loop: Header=BB300_10 Depth=1
	s_or_b32 exec_lo, exec_lo, s18
	s_delay_alu instid0(VALU_DEP_1) | instskip(NEXT) | instid1(VALU_DEP_2)
	v_dual_lshlrev_b32 v6, 8, v14 :: v_dual_lshlrev_b32 v0, 23, v0
	v_lshl_add_u32 v1, v1, 10, 0x2000
	s_delay_alu instid0(VALU_DEP_1) | instskip(NEXT) | instid1(VALU_DEP_1)
	v_and_or_b32 v1, 0x8000, v6, v1
	v_lshl_or_b32 v0, v1, 16, v0
	scratch_store_b32 off, v0, s32 offset:284 ; 4-byte Folded Spill
.LBB300_936:                            ;   in Loop: Header=BB300_10 Depth=1
	s_wait_xcnt 0x0
	s_or_b32 exec_lo, exec_lo, s17
.LBB300_937:                            ;   in Loop: Header=BB300_10 Depth=1
	s_delay_alu instid0(SALU_CYCLE_1)
	s_or_b32 exec_lo, exec_lo, s16
.LBB300_938:                            ;   in Loop: Header=BB300_10 Depth=1
	s_delay_alu instid0(SALU_CYCLE_1) | instskip(SKIP_3) | instid1(VALU_DEP_2)
	s_or_b32 exec_lo, exec_lo, s11
	v_and_b32_e32 v0, 0xff, v5
	v_mov_b32_e32 v14, v5
	s_mov_b32 s11, exec_lo
	v_cmpx_ne_u16_e32 0, v0
	s_cbranch_execz .LBB300_946
; %bb.939:                              ;   in Loop: Header=BB300_10 Depth=1
	v_cmp_ne_u16_e64 s1, 0x80, v0
	v_mov_b32_e32 v0, 0x8000
	scratch_store_b32 off, v0, s32 offset:280 ; 4-byte Folded Spill
	s_wait_xcnt 0x0
	s_and_saveexec_b32 s16, s1
	s_cbranch_execz .LBB300_945
; %bb.940:                              ;   in Loop: Header=BB300_10 Depth=1
	v_and_b32_e32 v6, 0x7f, v5
	v_mov_b32_e32 v0, 0x7c01
	s_mov_b32 s17, exec_lo
	scratch_store_b32 off, v0, s32 offset:280 ; 4-byte Folded Spill
	s_wait_xcnt 0x0
	v_cmpx_ne_u32_e32 0x7f, v6
	s_cbranch_execz .LBB300_944
; %bb.941:                              ;   in Loop: Header=BB300_10 Depth=1
	v_dual_lshrrev_b32 v1, 3, v6 :: v_dual_bitop2_b32 v0, 7, v5 bitop3:0x40
	s_mov_b32 s18, exec_lo
	v_cmpx_gt_u32_e32 8, v6
; %bb.942:                              ;   in Loop: Header=BB300_10 Depth=1
	s_delay_alu instid0(VALU_DEP_2) | instskip(NEXT) | instid1(VALU_DEP_1)
	v_clz_i32_u32_e32 v0, v0
	v_min_u32_e32 v6, 32, v0
	s_delay_alu instid0(VALU_DEP_1) | instskip(NEXT) | instid1(VALU_DEP_1)
	v_subrev_nc_u32_e32 v0, 28, v6
	v_lshlrev_b64_e32 v[0:1], v0, v[14:15]
	s_delay_alu instid0(VALU_DEP_1)
	v_dual_sub_nc_u32 v1, 29, v6 :: v_dual_bitop2_b32 v0, 7, v0 bitop3:0x40
; %bb.943:                              ;   in Loop: Header=BB300_10 Depth=1
	s_or_b32 exec_lo, exec_lo, s18
	s_delay_alu instid0(VALU_DEP_1) | instskip(NEXT) | instid1(VALU_DEP_2)
	v_dual_lshlrev_b32 v6, 8, v5 :: v_dual_lshlrev_b32 v0, 7, v0
	v_lshl_add_u32 v1, v1, 10, 0x2000
	s_delay_alu instid0(VALU_DEP_2) | instskip(NEXT) | instid1(VALU_DEP_2)
	v_and_b32_e32 v6, 0x8000, v6
	v_and_b32_e32 v1, 0xfc00, v1
	s_delay_alu instid0(VALU_DEP_1)
	v_or3_b32 v0, v6, v1, v0
	scratch_store_b32 off, v0, s32 offset:280 ; 4-byte Folded Spill
.LBB300_944:                            ;   in Loop: Header=BB300_10 Depth=1
	s_wait_xcnt 0x0
	s_or_b32 exec_lo, exec_lo, s17
.LBB300_945:                            ;   in Loop: Header=BB300_10 Depth=1
	s_delay_alu instid0(SALU_CYCLE_1)
	s_or_b32 exec_lo, exec_lo, s16
.LBB300_946:                            ;   in Loop: Header=BB300_10 Depth=1
	s_delay_alu instid0(SALU_CYCLE_1)
	s_or_b32 exec_lo, exec_lo, s11
	v_mov_b32_e32 v0, 0
	v_lshrrev_b16 v14, 8, v14
	s_mov_b32 s11, exec_lo
	scratch_store_b32 off, v0, s32 offset:288 ; 4-byte Folded Spill
	s_wait_xcnt 0x0
	v_mov_b32_e32 v0, 0
	scratch_store_b32 off, v0, s32 offset:292 ; 4-byte Folded Spill
	s_wait_xcnt 0x0
	v_cmpx_ne_u16_e32 0, v14
	s_cbranch_execz .LBB300_954
; %bb.947:                              ;   in Loop: Header=BB300_10 Depth=1
	v_bfrev_b32_e32 v0, 1
	s_mov_b32 s16, exec_lo
	scratch_store_b32 off, v0, s32 offset:292 ; 4-byte Folded Spill
	s_wait_xcnt 0x0
	v_cmpx_ne_u16_e32 0x80, v14
	s_cbranch_execz .LBB300_953
; %bb.948:                              ;   in Loop: Header=BB300_10 Depth=1
	v_and_b32_e32 v0, 0xffff, v14
	v_mov_b32_e32 v1, 0x7c010000
	s_mov_b32 s17, exec_lo
	s_delay_alu instid0(VALU_DEP_2)
	v_and_b32_e32 v7, 0x7f, v0
	scratch_store_b32 off, v1, s32 offset:292 ; 4-byte Folded Spill
	s_wait_xcnt 0x0
	v_cmpx_ne_u32_e32 0x7f, v7
	s_cbranch_execz .LBB300_952
; %bb.949:                              ;   in Loop: Header=BB300_10 Depth=1
	v_dual_lshrrev_b32 v6, 3, v7 :: v_dual_bitop2_b32 v1, 7, v0 bitop3:0x40
	s_mov_b32 s18, exec_lo
	v_cmpx_gt_u32_e32 8, v7
; %bb.950:                              ;   in Loop: Header=BB300_10 Depth=1
	s_delay_alu instid0(VALU_DEP_2) | instskip(NEXT) | instid1(VALU_DEP_1)
	v_clz_i32_u32_e32 v1, v1
	v_min_u32_e32 v1, 32, v1
	s_delay_alu instid0(VALU_DEP_1) | instskip(NEXT) | instid1(VALU_DEP_1)
	v_subrev_nc_u32_e32 v6, 28, v1
	v_lshlrev_b64_e32 v[8:9], v6, v[14:15]
	s_delay_alu instid0(VALU_DEP_1)
	v_dual_sub_nc_u32 v6, 29, v1 :: v_dual_bitop2_b32 v1, 7, v8 bitop3:0x40
; %bb.951:                              ;   in Loop: Header=BB300_10 Depth=1
	s_or_b32 exec_lo, exec_lo, s18
	s_delay_alu instid0(VALU_DEP_1) | instskip(NEXT) | instid1(VALU_DEP_2)
	v_dual_lshlrev_b32 v0, 8, v0 :: v_dual_lshlrev_b32 v1, 23, v1
	v_lshl_add_u32 v6, v6, 10, 0x2000
	s_delay_alu instid0(VALU_DEP_1) | instskip(NEXT) | instid1(VALU_DEP_1)
	v_and_or_b32 v0, 0x8000, v0, v6
	v_lshl_or_b32 v0, v0, 16, v1
	scratch_store_b32 off, v0, s32 offset:292 ; 4-byte Folded Spill
.LBB300_952:                            ;   in Loop: Header=BB300_10 Depth=1
	s_wait_xcnt 0x0
	s_or_b32 exec_lo, exec_lo, s17
.LBB300_953:                            ;   in Loop: Header=BB300_10 Depth=1
	s_delay_alu instid0(SALU_CYCLE_1)
	s_or_b32 exec_lo, exec_lo, s16
.LBB300_954:                            ;   in Loop: Header=BB300_10 Depth=1
	s_delay_alu instid0(SALU_CYCLE_1) | instskip(SKIP_2) | instid1(VALU_DEP_1)
	s_or_b32 exec_lo, exec_lo, s11
	v_lshrrev_b32_e32 v8, 16, v5
	s_mov_b32 s11, exec_lo
	v_and_b32_e32 v0, 0xff, v8
	s_delay_alu instid0(VALU_DEP_1)
	v_cmpx_ne_u16_e32 0, v0
	s_cbranch_execz .LBB300_962
; %bb.955:                              ;   in Loop: Header=BB300_10 Depth=1
	v_cmp_ne_u16_e64 s1, 0x80, v0
	v_mov_b32_e32 v0, 0x8000
	scratch_store_b32 off, v0, s32 offset:288 ; 4-byte Folded Spill
	s_wait_xcnt 0x0
	s_and_saveexec_b32 s16, s1
	s_cbranch_execz .LBB300_961
; %bb.956:                              ;   in Loop: Header=BB300_10 Depth=1
	v_bfe_u32 v6, v5, 16, 7
	v_mov_b32_e32 v0, 0x7c01
	s_mov_b32 s17, exec_lo
	scratch_store_b32 off, v0, s32 offset:288 ; 4-byte Folded Spill
	s_wait_xcnt 0x0
	v_cmpx_ne_u32_e32 0x7f, v6
	s_cbranch_execz .LBB300_960
; %bb.957:                              ;   in Loop: Header=BB300_10 Depth=1
	v_dual_lshrrev_b32 v1, 3, v6 :: v_dual_bitop2_b32 v0, 7, v8 bitop3:0x40
	s_mov_b32 s18, exec_lo
	v_cmpx_gt_u32_e32 8, v6
; %bb.958:                              ;   in Loop: Header=BB300_10 Depth=1
	s_delay_alu instid0(VALU_DEP_2) | instskip(NEXT) | instid1(VALU_DEP_1)
	v_clz_i32_u32_e32 v0, v0
	v_min_u32_e32 v6, 32, v0
	s_delay_alu instid0(VALU_DEP_1) | instskip(NEXT) | instid1(VALU_DEP_1)
	v_subrev_nc_u32_e32 v0, 28, v6
	v_lshlrev_b64_e32 v[0:1], v0, v[8:9]
	s_delay_alu instid0(VALU_DEP_1)
	v_dual_sub_nc_u32 v1, 29, v6 :: v_dual_bitop2_b32 v0, 7, v0 bitop3:0x40
; %bb.959:                              ;   in Loop: Header=BB300_10 Depth=1
	s_or_b32 exec_lo, exec_lo, s18
	v_lshlrev_b32_e32 v6, 8, v8
	s_delay_alu instid0(VALU_DEP_2) | instskip(NEXT) | instid1(VALU_DEP_3)
	v_lshl_add_u32 v1, v1, 10, 0x2000
	v_lshlrev_b32_e32 v0, 7, v0
	s_delay_alu instid0(VALU_DEP_3) | instskip(NEXT) | instid1(VALU_DEP_3)
	v_and_b32_e32 v6, 0x8000, v6
	v_and_b32_e32 v1, 0xfc00, v1
	s_delay_alu instid0(VALU_DEP_1)
	v_or3_b32 v0, v6, v1, v0
	scratch_store_b32 off, v0, s32 offset:288 ; 4-byte Folded Spill
.LBB300_960:                            ;   in Loop: Header=BB300_10 Depth=1
	s_wait_xcnt 0x0
	s_or_b32 exec_lo, exec_lo, s17
.LBB300_961:                            ;   in Loop: Header=BB300_10 Depth=1
	s_delay_alu instid0(SALU_CYCLE_1)
	s_or_b32 exec_lo, exec_lo, s16
.LBB300_962:                            ;   in Loop: Header=BB300_10 Depth=1
	s_delay_alu instid0(SALU_CYCLE_1)
	s_or_b32 exec_lo, exec_lo, s11
	v_mov_b32_e32 v0, 0
	s_mov_b32 s11, exec_lo
	scratch_store_b32 off, v0, s32 offset:296 ; 4-byte Folded Spill
	s_wait_xcnt 0x0
	v_mov_b32_e32 v0, 0
	scratch_store_b32 off, v0, s32 offset:528 ; 4-byte Folded Spill
	s_wait_xcnt 0x0
	v_cmpx_lt_u64_e64 s[2:3], v[4:5]
	s_cbranch_execz .LBB300_970
; %bb.963:                              ;   in Loop: Header=BB300_10 Depth=1
	v_lshrrev_b32_e32 v14, 24, v5
	v_bfrev_b32_e32 v0, 1
	s_mov_b32 s16, exec_lo
	s_delay_alu instid0(VALU_DEP_2)
	v_cmpx_ne_u32_e32 0x80, v14
	s_cbranch_execz .LBB300_969
; %bb.964:                              ;   in Loop: Header=BB300_10 Depth=1
	v_and_b32_e32 v4, 0x7f, v14
	v_mov_b32_e32 v0, 0x7c010000
	s_mov_b32 s17, exec_lo
	s_delay_alu instid0(VALU_DEP_2)
	v_cmpx_ne_u32_e32 0x7f, v4
	s_cbranch_execz .LBB300_968
; %bb.965:                              ;   in Loop: Header=BB300_10 Depth=1
	v_dual_lshrrev_b32 v1, 3, v4 :: v_dual_bitop2_b32 v0, 7, v14 bitop3:0x40
	s_mov_b32 s18, exec_lo
	v_cmpx_gt_u32_e32 8, v4
; %bb.966:                              ;   in Loop: Header=BB300_10 Depth=1
	s_delay_alu instid0(VALU_DEP_2) | instskip(NEXT) | instid1(VALU_DEP_1)
	v_clz_i32_u32_e32 v0, v0
	v_min_u32_e32 v4, 32, v0
	s_delay_alu instid0(VALU_DEP_1) | instskip(NEXT) | instid1(VALU_DEP_1)
	v_subrev_nc_u32_e32 v0, 28, v4
	v_lshlrev_b64_e32 v[0:1], v0, v[14:15]
	v_sub_nc_u32_e32 v1, 29, v4
	s_delay_alu instid0(VALU_DEP_2)
	v_and_b32_e32 v0, 7, v0
; %bb.967:                              ;   in Loop: Header=BB300_10 Depth=1
	s_or_b32 exec_lo, exec_lo, s18
	s_delay_alu instid0(VALU_DEP_1) | instskip(NEXT) | instid1(VALU_DEP_3)
	v_dual_lshlrev_b32 v4, 8, v14 :: v_dual_lshlrev_b32 v0, 23, v0
	v_lshl_add_u32 v1, v1, 10, 0x2000
	s_delay_alu instid0(VALU_DEP_1) | instskip(NEXT) | instid1(VALU_DEP_1)
	v_and_or_b32 v1, 0x8000, v4, v1
	v_lshl_or_b32 v0, v1, 16, v0
.LBB300_968:                            ;   in Loop: Header=BB300_10 Depth=1
	s_or_b32 exec_lo, exec_lo, s17
.LBB300_969:                            ;   in Loop: Header=BB300_10 Depth=1
	s_delay_alu instid0(SALU_CYCLE_1)
	s_or_b32 exec_lo, exec_lo, s16
	scratch_store_b32 off, v0, s32 offset:528 ; 4-byte Folded Spill
.LBB300_970:                            ;   in Loop: Header=BB300_10 Depth=1
	s_wait_xcnt 0x0
	s_or_b32 exec_lo, exec_lo, s11
	flat_load_b64 v[4:5], v[2:3] offset:3592
	s_mov_b32 s11, exec_lo
	s_wait_loadcnt_dscnt 0x0
	v_and_b32_e32 v0, 0xff, v4
	s_wait_xcnt 0x0
	s_delay_alu instid0(VALU_DEP_1)
	v_cmpx_ne_u16_e32 0, v0
	s_cbranch_execz .LBB300_978
; %bb.971:                              ;   in Loop: Header=BB300_10 Depth=1
	v_cmp_ne_u16_e64 s1, 0x80, v0
	v_mov_b32_e32 v0, 0x8000
	scratch_store_b32 off, v0, s32 offset:296 ; 4-byte Folded Spill
	s_wait_xcnt 0x0
	s_and_saveexec_b32 s16, s1
	s_cbranch_execz .LBB300_977
; %bb.972:                              ;   in Loop: Header=BB300_10 Depth=1
	v_and_b32_e32 v6, 0x7f, v4
	v_mov_b32_e32 v0, 0x7c01
	s_mov_b32 s17, exec_lo
	scratch_store_b32 off, v0, s32 offset:296 ; 4-byte Folded Spill
	s_wait_xcnt 0x0
	v_cmpx_ne_u32_e32 0x7f, v6
	s_cbranch_execz .LBB300_976
; %bb.973:                              ;   in Loop: Header=BB300_10 Depth=1
	v_dual_lshrrev_b32 v1, 3, v6 :: v_dual_bitop2_b32 v0, 7, v4 bitop3:0x40
	s_mov_b32 s18, exec_lo
	v_cmpx_gt_u32_e32 8, v6
; %bb.974:                              ;   in Loop: Header=BB300_10 Depth=1
	s_delay_alu instid0(VALU_DEP_2) | instskip(NEXT) | instid1(VALU_DEP_1)
	v_clz_i32_u32_e32 v0, v0
	v_min_u32_e32 v6, 32, v0
	s_delay_alu instid0(VALU_DEP_1) | instskip(NEXT) | instid1(VALU_DEP_1)
	v_subrev_nc_u32_e32 v0, 28, v6
	v_lshlrev_b64_e32 v[0:1], v0, v[4:5]
	s_delay_alu instid0(VALU_DEP_1)
	v_dual_sub_nc_u32 v1, 29, v6 :: v_dual_bitop2_b32 v0, 7, v0 bitop3:0x40
; %bb.975:                              ;   in Loop: Header=BB300_10 Depth=1
	s_or_b32 exec_lo, exec_lo, s18
	v_lshlrev_b32_e32 v6, 8, v4
	s_delay_alu instid0(VALU_DEP_2) | instskip(NEXT) | instid1(VALU_DEP_3)
	v_lshl_add_u32 v1, v1, 10, 0x2000
	v_lshlrev_b32_e32 v0, 7, v0
	s_delay_alu instid0(VALU_DEP_3) | instskip(NEXT) | instid1(VALU_DEP_3)
	v_and_b32_e32 v6, 0x8000, v6
	v_and_b32_e32 v1, 0xfc00, v1
	s_delay_alu instid0(VALU_DEP_1)
	v_or3_b32 v0, v6, v1, v0
	scratch_store_b32 off, v0, s32 offset:296 ; 4-byte Folded Spill
.LBB300_976:                            ;   in Loop: Header=BB300_10 Depth=1
	s_wait_xcnt 0x0
	s_or_b32 exec_lo, exec_lo, s17
.LBB300_977:                            ;   in Loop: Header=BB300_10 Depth=1
	s_delay_alu instid0(SALU_CYCLE_1)
	s_or_b32 exec_lo, exec_lo, s16
.LBB300_978:                            ;   in Loop: Header=BB300_10 Depth=1
	s_delay_alu instid0(SALU_CYCLE_1)
	s_or_b32 exec_lo, exec_lo, s11
	v_mov_b32_e32 v0, 0
	v_lshrrev_b16 v14, 8, v4
	s_mov_b32 s11, exec_lo
	scratch_store_b32 off, v0, s32 offset:300 ; 4-byte Folded Spill
	s_wait_xcnt 0x0
	v_mov_b32_e32 v0, 0
	scratch_store_b32 off, v0, s32 offset:304 ; 4-byte Folded Spill
	s_wait_xcnt 0x0
	v_cmpx_ne_u16_e32 0, v14
	s_cbranch_execz .LBB300_986
; %bb.979:                              ;   in Loop: Header=BB300_10 Depth=1
	v_bfrev_b32_e32 v0, 1
	s_mov_b32 s16, exec_lo
	scratch_store_b32 off, v0, s32 offset:304 ; 4-byte Folded Spill
	s_wait_xcnt 0x0
	v_cmpx_ne_u16_e32 0x80, v14
	s_cbranch_execz .LBB300_985
; %bb.980:                              ;   in Loop: Header=BB300_10 Depth=1
	v_and_b32_e32 v0, 0xffff, v14
	v_mov_b32_e32 v1, 0x7c010000
	s_mov_b32 s17, exec_lo
	s_delay_alu instid0(VALU_DEP_2)
	v_and_b32_e32 v7, 0x7f, v0
	scratch_store_b32 off, v1, s32 offset:304 ; 4-byte Folded Spill
	s_wait_xcnt 0x0
	v_cmpx_ne_u32_e32 0x7f, v7
	s_cbranch_execz .LBB300_984
; %bb.981:                              ;   in Loop: Header=BB300_10 Depth=1
	v_dual_lshrrev_b32 v6, 3, v7 :: v_dual_bitop2_b32 v1, 7, v0 bitop3:0x40
	s_mov_b32 s18, exec_lo
	v_cmpx_gt_u32_e32 8, v7
; %bb.982:                              ;   in Loop: Header=BB300_10 Depth=1
	s_delay_alu instid0(VALU_DEP_2) | instskip(NEXT) | instid1(VALU_DEP_1)
	v_clz_i32_u32_e32 v1, v1
	v_min_u32_e32 v1, 32, v1
	s_delay_alu instid0(VALU_DEP_1) | instskip(NEXT) | instid1(VALU_DEP_1)
	v_subrev_nc_u32_e32 v6, 28, v1
	v_lshlrev_b64_e32 v[8:9], v6, v[14:15]
	s_delay_alu instid0(VALU_DEP_1)
	v_dual_sub_nc_u32 v6, 29, v1 :: v_dual_bitop2_b32 v1, 7, v8 bitop3:0x40
; %bb.983:                              ;   in Loop: Header=BB300_10 Depth=1
	s_or_b32 exec_lo, exec_lo, s18
	s_delay_alu instid0(VALU_DEP_1) | instskip(NEXT) | instid1(VALU_DEP_2)
	v_dual_lshlrev_b32 v0, 8, v0 :: v_dual_lshlrev_b32 v1, 23, v1
	v_lshl_add_u32 v6, v6, 10, 0x2000
	s_delay_alu instid0(VALU_DEP_1) | instskip(NEXT) | instid1(VALU_DEP_1)
	v_and_or_b32 v0, 0x8000, v0, v6
	v_lshl_or_b32 v0, v0, 16, v1
	scratch_store_b32 off, v0, s32 offset:304 ; 4-byte Folded Spill
.LBB300_984:                            ;   in Loop: Header=BB300_10 Depth=1
	s_wait_xcnt 0x0
	s_or_b32 exec_lo, exec_lo, s17
.LBB300_985:                            ;   in Loop: Header=BB300_10 Depth=1
	s_delay_alu instid0(SALU_CYCLE_1)
	s_or_b32 exec_lo, exec_lo, s16
.LBB300_986:                            ;   in Loop: Header=BB300_10 Depth=1
	s_delay_alu instid0(SALU_CYCLE_1) | instskip(SKIP_2) | instid1(VALU_DEP_1)
	s_or_b32 exec_lo, exec_lo, s11
	v_lshrrev_b32_e32 v8, 16, v4
	s_mov_b32 s11, exec_lo
	v_and_b32_e32 v0, 0xff, v8
	s_delay_alu instid0(VALU_DEP_1)
	v_cmpx_ne_u16_e32 0, v0
	s_cbranch_execz .LBB300_994
; %bb.987:                              ;   in Loop: Header=BB300_10 Depth=1
	v_cmp_ne_u16_e64 s1, 0x80, v0
	v_mov_b32_e32 v0, 0x8000
	scratch_store_b32 off, v0, s32 offset:300 ; 4-byte Folded Spill
	s_wait_xcnt 0x0
	s_and_saveexec_b32 s16, s1
	s_cbranch_execz .LBB300_993
; %bb.988:                              ;   in Loop: Header=BB300_10 Depth=1
	v_bfe_u32 v6, v4, 16, 7
	v_mov_b32_e32 v0, 0x7c01
	s_mov_b32 s17, exec_lo
	scratch_store_b32 off, v0, s32 offset:300 ; 4-byte Folded Spill
	s_wait_xcnt 0x0
	v_cmpx_ne_u32_e32 0x7f, v6
	s_cbranch_execz .LBB300_992
; %bb.989:                              ;   in Loop: Header=BB300_10 Depth=1
	v_dual_lshrrev_b32 v1, 3, v6 :: v_dual_bitop2_b32 v0, 7, v8 bitop3:0x40
	s_mov_b32 s18, exec_lo
	v_cmpx_gt_u32_e32 8, v6
; %bb.990:                              ;   in Loop: Header=BB300_10 Depth=1
	s_delay_alu instid0(VALU_DEP_2) | instskip(NEXT) | instid1(VALU_DEP_1)
	v_clz_i32_u32_e32 v0, v0
	v_min_u32_e32 v6, 32, v0
	s_delay_alu instid0(VALU_DEP_1) | instskip(NEXT) | instid1(VALU_DEP_1)
	v_subrev_nc_u32_e32 v0, 28, v6
	v_lshlrev_b64_e32 v[0:1], v0, v[8:9]
	s_delay_alu instid0(VALU_DEP_1)
	v_dual_sub_nc_u32 v1, 29, v6 :: v_dual_bitop2_b32 v0, 7, v0 bitop3:0x40
; %bb.991:                              ;   in Loop: Header=BB300_10 Depth=1
	s_or_b32 exec_lo, exec_lo, s18
	v_lshlrev_b32_e32 v6, 8, v8
	s_delay_alu instid0(VALU_DEP_2) | instskip(NEXT) | instid1(VALU_DEP_3)
	v_lshl_add_u32 v1, v1, 10, 0x2000
	v_lshlrev_b32_e32 v0, 7, v0
	s_delay_alu instid0(VALU_DEP_3) | instskip(NEXT) | instid1(VALU_DEP_3)
	v_and_b32_e32 v6, 0x8000, v6
	v_and_b32_e32 v1, 0xfc00, v1
	s_delay_alu instid0(VALU_DEP_1)
	v_or3_b32 v0, v6, v1, v0
	scratch_store_b32 off, v0, s32 offset:300 ; 4-byte Folded Spill
.LBB300_992:                            ;   in Loop: Header=BB300_10 Depth=1
	s_wait_xcnt 0x0
	s_or_b32 exec_lo, exec_lo, s17
.LBB300_993:                            ;   in Loop: Header=BB300_10 Depth=1
	s_delay_alu instid0(SALU_CYCLE_1)
	s_or_b32 exec_lo, exec_lo, s16
.LBB300_994:                            ;   in Loop: Header=BB300_10 Depth=1
	s_delay_alu instid0(SALU_CYCLE_1)
	s_or_b32 exec_lo, exec_lo, s11
	v_mov_b32_e32 v0, 0
	s_mov_b32 s11, exec_lo
	scratch_store_b32 off, v0, s32 offset:308 ; 4-byte Folded Spill
	s_wait_xcnt 0x0
	v_mov_b32_e32 v0, 0
	scratch_store_b32 off, v0, s32 offset:312 ; 4-byte Folded Spill
	s_wait_xcnt 0x0
	v_cmpx_lt_u32_e32 0xffffff, v4
	s_cbranch_execz .LBB300_1002
; %bb.995:                              ;   in Loop: Header=BB300_10 Depth=1
	v_lshrrev_b32_e32 v14, 24, v4
	v_bfrev_b32_e32 v0, 1
	s_mov_b32 s16, exec_lo
	scratch_store_b32 off, v0, s32 offset:312 ; 4-byte Folded Spill
	s_wait_xcnt 0x0
	v_cmpx_ne_u32_e32 0x80, v14
	s_cbranch_execz .LBB300_1001
; %bb.996:                              ;   in Loop: Header=BB300_10 Depth=1
	v_and_b32_e32 v6, 0x7f, v14
	v_mov_b32_e32 v0, 0x7c010000
	s_mov_b32 s17, exec_lo
	scratch_store_b32 off, v0, s32 offset:312 ; 4-byte Folded Spill
	s_wait_xcnt 0x0
	v_cmpx_ne_u32_e32 0x7f, v6
	s_cbranch_execz .LBB300_1000
; %bb.997:                              ;   in Loop: Header=BB300_10 Depth=1
	v_and_b32_e32 v0, 7, v14
	v_lshrrev_b32_e32 v1, 3, v6
	s_mov_b32 s18, exec_lo
	v_cmpx_gt_u32_e32 8, v6
; %bb.998:                              ;   in Loop: Header=BB300_10 Depth=1
	s_delay_alu instid0(VALU_DEP_3) | instskip(NEXT) | instid1(VALU_DEP_1)
	v_clz_i32_u32_e32 v0, v0
	v_min_u32_e32 v6, 32, v0
	s_delay_alu instid0(VALU_DEP_1) | instskip(NEXT) | instid1(VALU_DEP_1)
	v_subrev_nc_u32_e32 v0, 28, v6
	v_lshlrev_b64_e32 v[0:1], v0, v[14:15]
	s_delay_alu instid0(VALU_DEP_1)
	v_dual_sub_nc_u32 v1, 29, v6 :: v_dual_bitop2_b32 v0, 7, v0 bitop3:0x40
; %bb.999:                              ;   in Loop: Header=BB300_10 Depth=1
	s_or_b32 exec_lo, exec_lo, s18
	s_delay_alu instid0(VALU_DEP_1) | instskip(NEXT) | instid1(VALU_DEP_2)
	v_dual_lshlrev_b32 v6, 8, v14 :: v_dual_lshlrev_b32 v0, 23, v0
	v_lshl_add_u32 v1, v1, 10, 0x2000
	s_delay_alu instid0(VALU_DEP_1) | instskip(NEXT) | instid1(VALU_DEP_1)
	v_and_or_b32 v1, 0x8000, v6, v1
	v_lshl_or_b32 v0, v1, 16, v0
	scratch_store_b32 off, v0, s32 offset:312 ; 4-byte Folded Spill
.LBB300_1000:                           ;   in Loop: Header=BB300_10 Depth=1
	s_wait_xcnt 0x0
	s_or_b32 exec_lo, exec_lo, s17
.LBB300_1001:                           ;   in Loop: Header=BB300_10 Depth=1
	s_delay_alu instid0(SALU_CYCLE_1)
	s_or_b32 exec_lo, exec_lo, s16
.LBB300_1002:                           ;   in Loop: Header=BB300_10 Depth=1
	s_delay_alu instid0(SALU_CYCLE_1) | instskip(SKIP_3) | instid1(VALU_DEP_2)
	s_or_b32 exec_lo, exec_lo, s11
	v_and_b32_e32 v0, 0xff, v5
	v_mov_b32_e32 v14, v5
	s_mov_b32 s11, exec_lo
	v_cmpx_ne_u16_e32 0, v0
	s_cbranch_execz .LBB300_1010
; %bb.1003:                             ;   in Loop: Header=BB300_10 Depth=1
	v_cmp_ne_u16_e64 s1, 0x80, v0
	v_mov_b32_e32 v0, 0x8000
	scratch_store_b32 off, v0, s32 offset:308 ; 4-byte Folded Spill
	s_wait_xcnt 0x0
	s_and_saveexec_b32 s16, s1
	s_cbranch_execz .LBB300_1009
; %bb.1004:                             ;   in Loop: Header=BB300_10 Depth=1
	v_and_b32_e32 v6, 0x7f, v5
	v_mov_b32_e32 v0, 0x7c01
	s_mov_b32 s17, exec_lo
	scratch_store_b32 off, v0, s32 offset:308 ; 4-byte Folded Spill
	s_wait_xcnt 0x0
	v_cmpx_ne_u32_e32 0x7f, v6
	s_cbranch_execz .LBB300_1008
; %bb.1005:                             ;   in Loop: Header=BB300_10 Depth=1
	v_dual_lshrrev_b32 v1, 3, v6 :: v_dual_bitop2_b32 v0, 7, v5 bitop3:0x40
	s_mov_b32 s18, exec_lo
	v_cmpx_gt_u32_e32 8, v6
; %bb.1006:                             ;   in Loop: Header=BB300_10 Depth=1
	s_delay_alu instid0(VALU_DEP_2) | instskip(NEXT) | instid1(VALU_DEP_1)
	v_clz_i32_u32_e32 v0, v0
	v_min_u32_e32 v6, 32, v0
	s_delay_alu instid0(VALU_DEP_1) | instskip(NEXT) | instid1(VALU_DEP_1)
	v_subrev_nc_u32_e32 v0, 28, v6
	v_lshlrev_b64_e32 v[0:1], v0, v[14:15]
	s_delay_alu instid0(VALU_DEP_1)
	v_dual_sub_nc_u32 v1, 29, v6 :: v_dual_bitop2_b32 v0, 7, v0 bitop3:0x40
; %bb.1007:                             ;   in Loop: Header=BB300_10 Depth=1
	s_or_b32 exec_lo, exec_lo, s18
	s_delay_alu instid0(VALU_DEP_1) | instskip(NEXT) | instid1(VALU_DEP_2)
	v_dual_lshlrev_b32 v6, 8, v5 :: v_dual_lshlrev_b32 v0, 7, v0
	v_lshl_add_u32 v1, v1, 10, 0x2000
	s_delay_alu instid0(VALU_DEP_2) | instskip(NEXT) | instid1(VALU_DEP_2)
	v_and_b32_e32 v6, 0x8000, v6
	v_and_b32_e32 v1, 0xfc00, v1
	s_delay_alu instid0(VALU_DEP_1)
	v_or3_b32 v0, v6, v1, v0
	scratch_store_b32 off, v0, s32 offset:308 ; 4-byte Folded Spill
.LBB300_1008:                           ;   in Loop: Header=BB300_10 Depth=1
	s_wait_xcnt 0x0
	s_or_b32 exec_lo, exec_lo, s17
.LBB300_1009:                           ;   in Loop: Header=BB300_10 Depth=1
	s_delay_alu instid0(SALU_CYCLE_1)
	s_or_b32 exec_lo, exec_lo, s16
.LBB300_1010:                           ;   in Loop: Header=BB300_10 Depth=1
	s_delay_alu instid0(SALU_CYCLE_1)
	s_or_b32 exec_lo, exec_lo, s11
	v_mov_b32_e32 v0, 0
	v_lshrrev_b16 v14, 8, v14
	s_mov_b32 s11, exec_lo
	scratch_store_b32 off, v0, s32 offset:316 ; 4-byte Folded Spill
	s_wait_xcnt 0x0
	v_mov_b32_e32 v0, 0
	scratch_store_b32 off, v0, s32 offset:320 ; 4-byte Folded Spill
	s_wait_xcnt 0x0
	v_cmpx_ne_u16_e32 0, v14
	s_cbranch_execz .LBB300_1018
; %bb.1011:                             ;   in Loop: Header=BB300_10 Depth=1
	v_bfrev_b32_e32 v0, 1
	s_mov_b32 s16, exec_lo
	scratch_store_b32 off, v0, s32 offset:320 ; 4-byte Folded Spill
	s_wait_xcnt 0x0
	v_cmpx_ne_u16_e32 0x80, v14
	s_cbranch_execz .LBB300_1017
; %bb.1012:                             ;   in Loop: Header=BB300_10 Depth=1
	v_and_b32_e32 v0, 0xffff, v14
	v_mov_b32_e32 v1, 0x7c010000
	s_mov_b32 s17, exec_lo
	s_delay_alu instid0(VALU_DEP_2)
	v_and_b32_e32 v7, 0x7f, v0
	scratch_store_b32 off, v1, s32 offset:320 ; 4-byte Folded Spill
	s_wait_xcnt 0x0
	v_cmpx_ne_u32_e32 0x7f, v7
	s_cbranch_execz .LBB300_1016
; %bb.1013:                             ;   in Loop: Header=BB300_10 Depth=1
	v_dual_lshrrev_b32 v6, 3, v7 :: v_dual_bitop2_b32 v1, 7, v0 bitop3:0x40
	s_mov_b32 s18, exec_lo
	v_cmpx_gt_u32_e32 8, v7
; %bb.1014:                             ;   in Loop: Header=BB300_10 Depth=1
	s_delay_alu instid0(VALU_DEP_2) | instskip(NEXT) | instid1(VALU_DEP_1)
	v_clz_i32_u32_e32 v1, v1
	v_min_u32_e32 v1, 32, v1
	s_delay_alu instid0(VALU_DEP_1) | instskip(NEXT) | instid1(VALU_DEP_1)
	v_subrev_nc_u32_e32 v6, 28, v1
	v_lshlrev_b64_e32 v[8:9], v6, v[14:15]
	s_delay_alu instid0(VALU_DEP_1)
	v_dual_sub_nc_u32 v6, 29, v1 :: v_dual_bitop2_b32 v1, 7, v8 bitop3:0x40
; %bb.1015:                             ;   in Loop: Header=BB300_10 Depth=1
	s_or_b32 exec_lo, exec_lo, s18
	s_delay_alu instid0(VALU_DEP_1) | instskip(NEXT) | instid1(VALU_DEP_2)
	v_dual_lshlrev_b32 v0, 8, v0 :: v_dual_lshlrev_b32 v1, 23, v1
	v_lshl_add_u32 v6, v6, 10, 0x2000
	s_delay_alu instid0(VALU_DEP_1) | instskip(NEXT) | instid1(VALU_DEP_1)
	v_and_or_b32 v0, 0x8000, v0, v6
	v_lshl_or_b32 v0, v0, 16, v1
	scratch_store_b32 off, v0, s32 offset:320 ; 4-byte Folded Spill
.LBB300_1016:                           ;   in Loop: Header=BB300_10 Depth=1
	s_wait_xcnt 0x0
	s_or_b32 exec_lo, exec_lo, s17
.LBB300_1017:                           ;   in Loop: Header=BB300_10 Depth=1
	s_delay_alu instid0(SALU_CYCLE_1)
	s_or_b32 exec_lo, exec_lo, s16
.LBB300_1018:                           ;   in Loop: Header=BB300_10 Depth=1
	s_delay_alu instid0(SALU_CYCLE_1) | instskip(SKIP_2) | instid1(VALU_DEP_1)
	s_or_b32 exec_lo, exec_lo, s11
	v_lshrrev_b32_e32 v8, 16, v5
	s_mov_b32 s11, exec_lo
	v_and_b32_e32 v0, 0xff, v8
	s_delay_alu instid0(VALU_DEP_1)
	v_cmpx_ne_u16_e32 0, v0
	s_cbranch_execz .LBB300_1026
; %bb.1019:                             ;   in Loop: Header=BB300_10 Depth=1
	v_cmp_ne_u16_e64 s1, 0x80, v0
	v_mov_b32_e32 v0, 0x8000
	scratch_store_b32 off, v0, s32 offset:316 ; 4-byte Folded Spill
	s_wait_xcnt 0x0
	s_and_saveexec_b32 s16, s1
	s_cbranch_execz .LBB300_1025
; %bb.1020:                             ;   in Loop: Header=BB300_10 Depth=1
	v_bfe_u32 v6, v5, 16, 7
	v_mov_b32_e32 v0, 0x7c01
	s_mov_b32 s17, exec_lo
	scratch_store_b32 off, v0, s32 offset:316 ; 4-byte Folded Spill
	s_wait_xcnt 0x0
	v_cmpx_ne_u32_e32 0x7f, v6
	s_cbranch_execz .LBB300_1024
; %bb.1021:                             ;   in Loop: Header=BB300_10 Depth=1
	v_dual_lshrrev_b32 v1, 3, v6 :: v_dual_bitop2_b32 v0, 7, v8 bitop3:0x40
	s_mov_b32 s18, exec_lo
	v_cmpx_gt_u32_e32 8, v6
; %bb.1022:                             ;   in Loop: Header=BB300_10 Depth=1
	s_delay_alu instid0(VALU_DEP_2) | instskip(NEXT) | instid1(VALU_DEP_1)
	v_clz_i32_u32_e32 v0, v0
	v_min_u32_e32 v6, 32, v0
	s_delay_alu instid0(VALU_DEP_1) | instskip(NEXT) | instid1(VALU_DEP_1)
	v_subrev_nc_u32_e32 v0, 28, v6
	v_lshlrev_b64_e32 v[0:1], v0, v[8:9]
	s_delay_alu instid0(VALU_DEP_1)
	v_dual_sub_nc_u32 v1, 29, v6 :: v_dual_bitop2_b32 v0, 7, v0 bitop3:0x40
; %bb.1023:                             ;   in Loop: Header=BB300_10 Depth=1
	s_or_b32 exec_lo, exec_lo, s18
	v_lshlrev_b32_e32 v6, 8, v8
	s_delay_alu instid0(VALU_DEP_2) | instskip(NEXT) | instid1(VALU_DEP_3)
	v_lshl_add_u32 v1, v1, 10, 0x2000
	v_lshlrev_b32_e32 v0, 7, v0
	s_delay_alu instid0(VALU_DEP_3) | instskip(NEXT) | instid1(VALU_DEP_3)
	v_and_b32_e32 v6, 0x8000, v6
	v_and_b32_e32 v1, 0xfc00, v1
	s_delay_alu instid0(VALU_DEP_1)
	v_or3_b32 v0, v6, v1, v0
	scratch_store_b32 off, v0, s32 offset:316 ; 4-byte Folded Spill
.LBB300_1024:                           ;   in Loop: Header=BB300_10 Depth=1
	s_wait_xcnt 0x0
	s_or_b32 exec_lo, exec_lo, s17
.LBB300_1025:                           ;   in Loop: Header=BB300_10 Depth=1
	s_delay_alu instid0(SALU_CYCLE_1)
	s_or_b32 exec_lo, exec_lo, s16
.LBB300_1026:                           ;   in Loop: Header=BB300_10 Depth=1
	s_delay_alu instid0(SALU_CYCLE_1)
	s_or_b32 exec_lo, exec_lo, s11
	v_mov_b32_e32 v0, 0
	s_mov_b32 s11, exec_lo
	scratch_store_b32 off, v0, s32 offset:324 ; 4-byte Folded Spill
	s_wait_xcnt 0x0
	v_mov_b32_e32 v0, 0
	scratch_store_b32 off, v0, s32 offset:532 ; 4-byte Folded Spill
	s_wait_xcnt 0x0
	v_cmpx_lt_u64_e64 s[2:3], v[4:5]
	s_cbranch_execz .LBB300_1034
; %bb.1027:                             ;   in Loop: Header=BB300_10 Depth=1
	v_lshrrev_b32_e32 v14, 24, v5
	v_bfrev_b32_e32 v0, 1
	s_mov_b32 s16, exec_lo
	s_delay_alu instid0(VALU_DEP_2)
	v_cmpx_ne_u32_e32 0x80, v14
	s_cbranch_execz .LBB300_1033
; %bb.1028:                             ;   in Loop: Header=BB300_10 Depth=1
	v_and_b32_e32 v4, 0x7f, v14
	v_mov_b32_e32 v0, 0x7c010000
	s_mov_b32 s17, exec_lo
	s_delay_alu instid0(VALU_DEP_2)
	v_cmpx_ne_u32_e32 0x7f, v4
	s_cbranch_execz .LBB300_1032
; %bb.1029:                             ;   in Loop: Header=BB300_10 Depth=1
	v_dual_lshrrev_b32 v1, 3, v4 :: v_dual_bitop2_b32 v0, 7, v14 bitop3:0x40
	s_mov_b32 s18, exec_lo
	v_cmpx_gt_u32_e32 8, v4
; %bb.1030:                             ;   in Loop: Header=BB300_10 Depth=1
	s_delay_alu instid0(VALU_DEP_2) | instskip(NEXT) | instid1(VALU_DEP_1)
	v_clz_i32_u32_e32 v0, v0
	v_min_u32_e32 v4, 32, v0
	s_delay_alu instid0(VALU_DEP_1) | instskip(NEXT) | instid1(VALU_DEP_1)
	v_subrev_nc_u32_e32 v0, 28, v4
	v_lshlrev_b64_e32 v[0:1], v0, v[14:15]
	v_sub_nc_u32_e32 v1, 29, v4
	s_delay_alu instid0(VALU_DEP_2)
	v_and_b32_e32 v0, 7, v0
; %bb.1031:                             ;   in Loop: Header=BB300_10 Depth=1
	s_or_b32 exec_lo, exec_lo, s18
	s_delay_alu instid0(VALU_DEP_1) | instskip(NEXT) | instid1(VALU_DEP_3)
	v_dual_lshlrev_b32 v4, 8, v14 :: v_dual_lshlrev_b32 v0, 23, v0
	v_lshl_add_u32 v1, v1, 10, 0x2000
	s_delay_alu instid0(VALU_DEP_1) | instskip(NEXT) | instid1(VALU_DEP_1)
	v_and_or_b32 v1, 0x8000, v4, v1
	v_lshl_or_b32 v0, v1, 16, v0
.LBB300_1032:                           ;   in Loop: Header=BB300_10 Depth=1
	s_or_b32 exec_lo, exec_lo, s17
.LBB300_1033:                           ;   in Loop: Header=BB300_10 Depth=1
	s_delay_alu instid0(SALU_CYCLE_1)
	s_or_b32 exec_lo, exec_lo, s16
	scratch_store_b32 off, v0, s32 offset:532 ; 4-byte Folded Spill
.LBB300_1034:                           ;   in Loop: Header=BB300_10 Depth=1
	s_wait_xcnt 0x0
	s_or_b32 exec_lo, exec_lo, s11
	flat_load_b64 v[4:5], v[2:3] offset:4096
	s_mov_b32 s11, exec_lo
	s_wait_loadcnt_dscnt 0x0
	v_and_b32_e32 v0, 0xff, v4
	s_wait_xcnt 0x0
	s_delay_alu instid0(VALU_DEP_1)
	v_cmpx_ne_u16_e32 0, v0
	s_cbranch_execz .LBB300_1042
; %bb.1035:                             ;   in Loop: Header=BB300_10 Depth=1
	v_cmp_ne_u16_e64 s1, 0x80, v0
	v_mov_b32_e32 v0, 0x8000
	scratch_store_b32 off, v0, s32 offset:324 ; 4-byte Folded Spill
	s_wait_xcnt 0x0
	s_and_saveexec_b32 s16, s1
	s_cbranch_execz .LBB300_1041
; %bb.1036:                             ;   in Loop: Header=BB300_10 Depth=1
	v_and_b32_e32 v6, 0x7f, v4
	v_mov_b32_e32 v0, 0x7c01
	s_mov_b32 s17, exec_lo
	scratch_store_b32 off, v0, s32 offset:324 ; 4-byte Folded Spill
	s_wait_xcnt 0x0
	v_cmpx_ne_u32_e32 0x7f, v6
	s_cbranch_execz .LBB300_1040
; %bb.1037:                             ;   in Loop: Header=BB300_10 Depth=1
	v_dual_lshrrev_b32 v1, 3, v6 :: v_dual_bitop2_b32 v0, 7, v4 bitop3:0x40
	s_mov_b32 s18, exec_lo
	v_cmpx_gt_u32_e32 8, v6
; %bb.1038:                             ;   in Loop: Header=BB300_10 Depth=1
	s_delay_alu instid0(VALU_DEP_2) | instskip(NEXT) | instid1(VALU_DEP_1)
	v_clz_i32_u32_e32 v0, v0
	v_min_u32_e32 v6, 32, v0
	s_delay_alu instid0(VALU_DEP_1) | instskip(NEXT) | instid1(VALU_DEP_1)
	v_subrev_nc_u32_e32 v0, 28, v6
	v_lshlrev_b64_e32 v[0:1], v0, v[4:5]
	s_delay_alu instid0(VALU_DEP_1)
	v_dual_sub_nc_u32 v1, 29, v6 :: v_dual_bitop2_b32 v0, 7, v0 bitop3:0x40
; %bb.1039:                             ;   in Loop: Header=BB300_10 Depth=1
	s_or_b32 exec_lo, exec_lo, s18
	v_lshlrev_b32_e32 v6, 8, v4
	s_delay_alu instid0(VALU_DEP_2) | instskip(NEXT) | instid1(VALU_DEP_3)
	v_lshl_add_u32 v1, v1, 10, 0x2000
	v_lshlrev_b32_e32 v0, 7, v0
	s_delay_alu instid0(VALU_DEP_3) | instskip(NEXT) | instid1(VALU_DEP_3)
	v_and_b32_e32 v6, 0x8000, v6
	v_and_b32_e32 v1, 0xfc00, v1
	s_delay_alu instid0(VALU_DEP_1)
	v_or3_b32 v0, v6, v1, v0
	scratch_store_b32 off, v0, s32 offset:324 ; 4-byte Folded Spill
.LBB300_1040:                           ;   in Loop: Header=BB300_10 Depth=1
	s_wait_xcnt 0x0
	s_or_b32 exec_lo, exec_lo, s17
.LBB300_1041:                           ;   in Loop: Header=BB300_10 Depth=1
	s_delay_alu instid0(SALU_CYCLE_1)
	s_or_b32 exec_lo, exec_lo, s16
.LBB300_1042:                           ;   in Loop: Header=BB300_10 Depth=1
	s_delay_alu instid0(SALU_CYCLE_1)
	s_or_b32 exec_lo, exec_lo, s11
	v_mov_b32_e32 v0, 0
	v_lshrrev_b16 v14, 8, v4
	s_mov_b32 s11, exec_lo
	scratch_store_b32 off, v0, s32 offset:328 ; 4-byte Folded Spill
	s_wait_xcnt 0x0
	v_mov_b32_e32 v0, 0
	scratch_store_b32 off, v0, s32 offset:332 ; 4-byte Folded Spill
	s_wait_xcnt 0x0
	v_cmpx_ne_u16_e32 0, v14
	s_cbranch_execz .LBB300_1050
; %bb.1043:                             ;   in Loop: Header=BB300_10 Depth=1
	v_bfrev_b32_e32 v0, 1
	s_mov_b32 s16, exec_lo
	scratch_store_b32 off, v0, s32 offset:332 ; 4-byte Folded Spill
	s_wait_xcnt 0x0
	v_cmpx_ne_u16_e32 0x80, v14
	s_cbranch_execz .LBB300_1049
; %bb.1044:                             ;   in Loop: Header=BB300_10 Depth=1
	v_and_b32_e32 v0, 0xffff, v14
	v_mov_b32_e32 v1, 0x7c010000
	s_mov_b32 s17, exec_lo
	s_delay_alu instid0(VALU_DEP_2)
	v_and_b32_e32 v7, 0x7f, v0
	scratch_store_b32 off, v1, s32 offset:332 ; 4-byte Folded Spill
	s_wait_xcnt 0x0
	v_cmpx_ne_u32_e32 0x7f, v7
	s_cbranch_execz .LBB300_1048
; %bb.1045:                             ;   in Loop: Header=BB300_10 Depth=1
	v_dual_lshrrev_b32 v6, 3, v7 :: v_dual_bitop2_b32 v1, 7, v0 bitop3:0x40
	s_mov_b32 s18, exec_lo
	v_cmpx_gt_u32_e32 8, v7
; %bb.1046:                             ;   in Loop: Header=BB300_10 Depth=1
	s_delay_alu instid0(VALU_DEP_2) | instskip(NEXT) | instid1(VALU_DEP_1)
	v_clz_i32_u32_e32 v1, v1
	v_min_u32_e32 v1, 32, v1
	s_delay_alu instid0(VALU_DEP_1) | instskip(NEXT) | instid1(VALU_DEP_1)
	v_subrev_nc_u32_e32 v6, 28, v1
	v_lshlrev_b64_e32 v[8:9], v6, v[14:15]
	s_delay_alu instid0(VALU_DEP_1)
	v_dual_sub_nc_u32 v6, 29, v1 :: v_dual_bitop2_b32 v1, 7, v8 bitop3:0x40
; %bb.1047:                             ;   in Loop: Header=BB300_10 Depth=1
	s_or_b32 exec_lo, exec_lo, s18
	s_delay_alu instid0(VALU_DEP_1) | instskip(NEXT) | instid1(VALU_DEP_2)
	v_dual_lshlrev_b32 v0, 8, v0 :: v_dual_lshlrev_b32 v1, 23, v1
	v_lshl_add_u32 v6, v6, 10, 0x2000
	s_delay_alu instid0(VALU_DEP_1) | instskip(NEXT) | instid1(VALU_DEP_1)
	v_and_or_b32 v0, 0x8000, v0, v6
	v_lshl_or_b32 v0, v0, 16, v1
	scratch_store_b32 off, v0, s32 offset:332 ; 4-byte Folded Spill
.LBB300_1048:                           ;   in Loop: Header=BB300_10 Depth=1
	s_wait_xcnt 0x0
	s_or_b32 exec_lo, exec_lo, s17
.LBB300_1049:                           ;   in Loop: Header=BB300_10 Depth=1
	s_delay_alu instid0(SALU_CYCLE_1)
	s_or_b32 exec_lo, exec_lo, s16
.LBB300_1050:                           ;   in Loop: Header=BB300_10 Depth=1
	s_delay_alu instid0(SALU_CYCLE_1) | instskip(SKIP_2) | instid1(VALU_DEP_1)
	s_or_b32 exec_lo, exec_lo, s11
	v_lshrrev_b32_e32 v8, 16, v4
	s_mov_b32 s11, exec_lo
	v_and_b32_e32 v0, 0xff, v8
	s_delay_alu instid0(VALU_DEP_1)
	v_cmpx_ne_u16_e32 0, v0
	s_cbranch_execz .LBB300_1058
; %bb.1051:                             ;   in Loop: Header=BB300_10 Depth=1
	v_cmp_ne_u16_e64 s1, 0x80, v0
	v_mov_b32_e32 v0, 0x8000
	scratch_store_b32 off, v0, s32 offset:328 ; 4-byte Folded Spill
	s_wait_xcnt 0x0
	s_and_saveexec_b32 s16, s1
	s_cbranch_execz .LBB300_1057
; %bb.1052:                             ;   in Loop: Header=BB300_10 Depth=1
	v_bfe_u32 v6, v4, 16, 7
	v_mov_b32_e32 v0, 0x7c01
	s_mov_b32 s17, exec_lo
	scratch_store_b32 off, v0, s32 offset:328 ; 4-byte Folded Spill
	s_wait_xcnt 0x0
	v_cmpx_ne_u32_e32 0x7f, v6
	s_cbranch_execz .LBB300_1056
; %bb.1053:                             ;   in Loop: Header=BB300_10 Depth=1
	v_dual_lshrrev_b32 v1, 3, v6 :: v_dual_bitop2_b32 v0, 7, v8 bitop3:0x40
	s_mov_b32 s18, exec_lo
	v_cmpx_gt_u32_e32 8, v6
; %bb.1054:                             ;   in Loop: Header=BB300_10 Depth=1
	s_delay_alu instid0(VALU_DEP_2) | instskip(NEXT) | instid1(VALU_DEP_1)
	v_clz_i32_u32_e32 v0, v0
	v_min_u32_e32 v6, 32, v0
	s_delay_alu instid0(VALU_DEP_1) | instskip(NEXT) | instid1(VALU_DEP_1)
	v_subrev_nc_u32_e32 v0, 28, v6
	v_lshlrev_b64_e32 v[0:1], v0, v[8:9]
	s_delay_alu instid0(VALU_DEP_1)
	v_dual_sub_nc_u32 v1, 29, v6 :: v_dual_bitop2_b32 v0, 7, v0 bitop3:0x40
; %bb.1055:                             ;   in Loop: Header=BB300_10 Depth=1
	s_or_b32 exec_lo, exec_lo, s18
	v_lshlrev_b32_e32 v6, 8, v8
	s_delay_alu instid0(VALU_DEP_2) | instskip(NEXT) | instid1(VALU_DEP_3)
	v_lshl_add_u32 v1, v1, 10, 0x2000
	v_lshlrev_b32_e32 v0, 7, v0
	s_delay_alu instid0(VALU_DEP_3) | instskip(NEXT) | instid1(VALU_DEP_3)
	v_and_b32_e32 v6, 0x8000, v6
	v_and_b32_e32 v1, 0xfc00, v1
	s_delay_alu instid0(VALU_DEP_1)
	v_or3_b32 v0, v6, v1, v0
	scratch_store_b32 off, v0, s32 offset:328 ; 4-byte Folded Spill
.LBB300_1056:                           ;   in Loop: Header=BB300_10 Depth=1
	s_wait_xcnt 0x0
	s_or_b32 exec_lo, exec_lo, s17
.LBB300_1057:                           ;   in Loop: Header=BB300_10 Depth=1
	s_delay_alu instid0(SALU_CYCLE_1)
	s_or_b32 exec_lo, exec_lo, s16
.LBB300_1058:                           ;   in Loop: Header=BB300_10 Depth=1
	s_delay_alu instid0(SALU_CYCLE_1)
	s_or_b32 exec_lo, exec_lo, s11
	v_mov_b32_e32 v0, 0
	s_mov_b32 s11, exec_lo
	scratch_store_b32 off, v0, s32 offset:336 ; 4-byte Folded Spill
	s_wait_xcnt 0x0
	v_mov_b32_e32 v0, 0
	scratch_store_b32 off, v0, s32 offset:340 ; 4-byte Folded Spill
	s_wait_xcnt 0x0
	v_cmpx_lt_u32_e32 0xffffff, v4
	s_cbranch_execz .LBB300_1066
; %bb.1059:                             ;   in Loop: Header=BB300_10 Depth=1
	v_lshrrev_b32_e32 v14, 24, v4
	v_bfrev_b32_e32 v0, 1
	s_mov_b32 s16, exec_lo
	scratch_store_b32 off, v0, s32 offset:340 ; 4-byte Folded Spill
	s_wait_xcnt 0x0
	v_cmpx_ne_u32_e32 0x80, v14
	s_cbranch_execz .LBB300_1065
; %bb.1060:                             ;   in Loop: Header=BB300_10 Depth=1
	v_and_b32_e32 v6, 0x7f, v14
	v_mov_b32_e32 v0, 0x7c010000
	s_mov_b32 s17, exec_lo
	scratch_store_b32 off, v0, s32 offset:340 ; 4-byte Folded Spill
	s_wait_xcnt 0x0
	v_cmpx_ne_u32_e32 0x7f, v6
	s_cbranch_execz .LBB300_1064
; %bb.1061:                             ;   in Loop: Header=BB300_10 Depth=1
	v_and_b32_e32 v0, 7, v14
	v_lshrrev_b32_e32 v1, 3, v6
	s_mov_b32 s18, exec_lo
	v_cmpx_gt_u32_e32 8, v6
; %bb.1062:                             ;   in Loop: Header=BB300_10 Depth=1
	s_delay_alu instid0(VALU_DEP_3) | instskip(NEXT) | instid1(VALU_DEP_1)
	v_clz_i32_u32_e32 v0, v0
	v_min_u32_e32 v6, 32, v0
	s_delay_alu instid0(VALU_DEP_1) | instskip(NEXT) | instid1(VALU_DEP_1)
	v_subrev_nc_u32_e32 v0, 28, v6
	v_lshlrev_b64_e32 v[0:1], v0, v[14:15]
	s_delay_alu instid0(VALU_DEP_1)
	v_dual_sub_nc_u32 v1, 29, v6 :: v_dual_bitop2_b32 v0, 7, v0 bitop3:0x40
; %bb.1063:                             ;   in Loop: Header=BB300_10 Depth=1
	s_or_b32 exec_lo, exec_lo, s18
	s_delay_alu instid0(VALU_DEP_1) | instskip(NEXT) | instid1(VALU_DEP_2)
	v_dual_lshlrev_b32 v6, 8, v14 :: v_dual_lshlrev_b32 v0, 23, v0
	v_lshl_add_u32 v1, v1, 10, 0x2000
	s_delay_alu instid0(VALU_DEP_1) | instskip(NEXT) | instid1(VALU_DEP_1)
	v_and_or_b32 v1, 0x8000, v6, v1
	v_lshl_or_b32 v0, v1, 16, v0
	scratch_store_b32 off, v0, s32 offset:340 ; 4-byte Folded Spill
.LBB300_1064:                           ;   in Loop: Header=BB300_10 Depth=1
	s_wait_xcnt 0x0
	s_or_b32 exec_lo, exec_lo, s17
.LBB300_1065:                           ;   in Loop: Header=BB300_10 Depth=1
	s_delay_alu instid0(SALU_CYCLE_1)
	s_or_b32 exec_lo, exec_lo, s16
.LBB300_1066:                           ;   in Loop: Header=BB300_10 Depth=1
	s_delay_alu instid0(SALU_CYCLE_1) | instskip(SKIP_3) | instid1(VALU_DEP_2)
	s_or_b32 exec_lo, exec_lo, s11
	v_and_b32_e32 v0, 0xff, v5
	v_mov_b32_e32 v14, v5
	s_mov_b32 s11, exec_lo
	v_cmpx_ne_u16_e32 0, v0
	s_cbranch_execz .LBB300_1074
; %bb.1067:                             ;   in Loop: Header=BB300_10 Depth=1
	v_cmp_ne_u16_e64 s1, 0x80, v0
	v_mov_b32_e32 v0, 0x8000
	scratch_store_b32 off, v0, s32 offset:336 ; 4-byte Folded Spill
	s_wait_xcnt 0x0
	s_and_saveexec_b32 s16, s1
	s_cbranch_execz .LBB300_1073
; %bb.1068:                             ;   in Loop: Header=BB300_10 Depth=1
	v_and_b32_e32 v6, 0x7f, v5
	v_mov_b32_e32 v0, 0x7c01
	s_mov_b32 s17, exec_lo
	scratch_store_b32 off, v0, s32 offset:336 ; 4-byte Folded Spill
	s_wait_xcnt 0x0
	v_cmpx_ne_u32_e32 0x7f, v6
	s_cbranch_execz .LBB300_1072
; %bb.1069:                             ;   in Loop: Header=BB300_10 Depth=1
	v_dual_lshrrev_b32 v1, 3, v6 :: v_dual_bitop2_b32 v0, 7, v5 bitop3:0x40
	s_mov_b32 s18, exec_lo
	v_cmpx_gt_u32_e32 8, v6
; %bb.1070:                             ;   in Loop: Header=BB300_10 Depth=1
	s_delay_alu instid0(VALU_DEP_2) | instskip(NEXT) | instid1(VALU_DEP_1)
	v_clz_i32_u32_e32 v0, v0
	v_min_u32_e32 v6, 32, v0
	s_delay_alu instid0(VALU_DEP_1) | instskip(NEXT) | instid1(VALU_DEP_1)
	v_subrev_nc_u32_e32 v0, 28, v6
	v_lshlrev_b64_e32 v[0:1], v0, v[14:15]
	s_delay_alu instid0(VALU_DEP_1)
	v_dual_sub_nc_u32 v1, 29, v6 :: v_dual_bitop2_b32 v0, 7, v0 bitop3:0x40
; %bb.1071:                             ;   in Loop: Header=BB300_10 Depth=1
	s_or_b32 exec_lo, exec_lo, s18
	s_delay_alu instid0(VALU_DEP_1) | instskip(NEXT) | instid1(VALU_DEP_2)
	v_dual_lshlrev_b32 v6, 8, v5 :: v_dual_lshlrev_b32 v0, 7, v0
	v_lshl_add_u32 v1, v1, 10, 0x2000
	s_delay_alu instid0(VALU_DEP_2) | instskip(NEXT) | instid1(VALU_DEP_2)
	v_and_b32_e32 v6, 0x8000, v6
	v_and_b32_e32 v1, 0xfc00, v1
	s_delay_alu instid0(VALU_DEP_1)
	v_or3_b32 v0, v6, v1, v0
	scratch_store_b32 off, v0, s32 offset:336 ; 4-byte Folded Spill
.LBB300_1072:                           ;   in Loop: Header=BB300_10 Depth=1
	s_wait_xcnt 0x0
	s_or_b32 exec_lo, exec_lo, s17
.LBB300_1073:                           ;   in Loop: Header=BB300_10 Depth=1
	s_delay_alu instid0(SALU_CYCLE_1)
	s_or_b32 exec_lo, exec_lo, s16
.LBB300_1074:                           ;   in Loop: Header=BB300_10 Depth=1
	s_delay_alu instid0(SALU_CYCLE_1)
	s_or_b32 exec_lo, exec_lo, s11
	v_mov_b32_e32 v0, 0
	v_lshrrev_b16 v14, 8, v14
	s_mov_b32 s11, exec_lo
	scratch_store_b32 off, v0, s32 offset:344 ; 4-byte Folded Spill
	s_wait_xcnt 0x0
	v_mov_b32_e32 v0, 0
	scratch_store_b32 off, v0, s32 offset:348 ; 4-byte Folded Spill
	s_wait_xcnt 0x0
	v_cmpx_ne_u16_e32 0, v14
	s_cbranch_execz .LBB300_1082
; %bb.1075:                             ;   in Loop: Header=BB300_10 Depth=1
	v_bfrev_b32_e32 v0, 1
	s_mov_b32 s16, exec_lo
	scratch_store_b32 off, v0, s32 offset:348 ; 4-byte Folded Spill
	s_wait_xcnt 0x0
	v_cmpx_ne_u16_e32 0x80, v14
	s_cbranch_execz .LBB300_1081
; %bb.1076:                             ;   in Loop: Header=BB300_10 Depth=1
	v_and_b32_e32 v0, 0xffff, v14
	v_mov_b32_e32 v1, 0x7c010000
	s_mov_b32 s17, exec_lo
	s_delay_alu instid0(VALU_DEP_2)
	v_and_b32_e32 v7, 0x7f, v0
	scratch_store_b32 off, v1, s32 offset:348 ; 4-byte Folded Spill
	s_wait_xcnt 0x0
	v_cmpx_ne_u32_e32 0x7f, v7
	s_cbranch_execz .LBB300_1080
; %bb.1077:                             ;   in Loop: Header=BB300_10 Depth=1
	v_dual_lshrrev_b32 v6, 3, v7 :: v_dual_bitop2_b32 v1, 7, v0 bitop3:0x40
	s_mov_b32 s18, exec_lo
	v_cmpx_gt_u32_e32 8, v7
; %bb.1078:                             ;   in Loop: Header=BB300_10 Depth=1
	s_delay_alu instid0(VALU_DEP_2) | instskip(NEXT) | instid1(VALU_DEP_1)
	v_clz_i32_u32_e32 v1, v1
	v_min_u32_e32 v1, 32, v1
	s_delay_alu instid0(VALU_DEP_1) | instskip(NEXT) | instid1(VALU_DEP_1)
	v_subrev_nc_u32_e32 v6, 28, v1
	v_lshlrev_b64_e32 v[8:9], v6, v[14:15]
	s_delay_alu instid0(VALU_DEP_1)
	v_dual_sub_nc_u32 v6, 29, v1 :: v_dual_bitop2_b32 v1, 7, v8 bitop3:0x40
; %bb.1079:                             ;   in Loop: Header=BB300_10 Depth=1
	s_or_b32 exec_lo, exec_lo, s18
	s_delay_alu instid0(VALU_DEP_1) | instskip(NEXT) | instid1(VALU_DEP_2)
	v_dual_lshlrev_b32 v0, 8, v0 :: v_dual_lshlrev_b32 v1, 23, v1
	v_lshl_add_u32 v6, v6, 10, 0x2000
	s_delay_alu instid0(VALU_DEP_1) | instskip(NEXT) | instid1(VALU_DEP_1)
	v_and_or_b32 v0, 0x8000, v0, v6
	v_lshl_or_b32 v0, v0, 16, v1
	scratch_store_b32 off, v0, s32 offset:348 ; 4-byte Folded Spill
.LBB300_1080:                           ;   in Loop: Header=BB300_10 Depth=1
	s_wait_xcnt 0x0
	s_or_b32 exec_lo, exec_lo, s17
.LBB300_1081:                           ;   in Loop: Header=BB300_10 Depth=1
	s_delay_alu instid0(SALU_CYCLE_1)
	s_or_b32 exec_lo, exec_lo, s16
.LBB300_1082:                           ;   in Loop: Header=BB300_10 Depth=1
	s_delay_alu instid0(SALU_CYCLE_1) | instskip(SKIP_2) | instid1(VALU_DEP_1)
	s_or_b32 exec_lo, exec_lo, s11
	v_lshrrev_b32_e32 v8, 16, v5
	s_mov_b32 s11, exec_lo
	v_and_b32_e32 v0, 0xff, v8
	s_delay_alu instid0(VALU_DEP_1)
	v_cmpx_ne_u16_e32 0, v0
	s_cbranch_execz .LBB300_1090
; %bb.1083:                             ;   in Loop: Header=BB300_10 Depth=1
	v_cmp_ne_u16_e64 s1, 0x80, v0
	v_mov_b32_e32 v0, 0x8000
	scratch_store_b32 off, v0, s32 offset:344 ; 4-byte Folded Spill
	s_wait_xcnt 0x0
	s_and_saveexec_b32 s16, s1
	s_cbranch_execz .LBB300_1089
; %bb.1084:                             ;   in Loop: Header=BB300_10 Depth=1
	v_bfe_u32 v6, v5, 16, 7
	v_mov_b32_e32 v0, 0x7c01
	s_mov_b32 s17, exec_lo
	scratch_store_b32 off, v0, s32 offset:344 ; 4-byte Folded Spill
	s_wait_xcnt 0x0
	v_cmpx_ne_u32_e32 0x7f, v6
	s_cbranch_execz .LBB300_1088
; %bb.1085:                             ;   in Loop: Header=BB300_10 Depth=1
	v_dual_lshrrev_b32 v1, 3, v6 :: v_dual_bitop2_b32 v0, 7, v8 bitop3:0x40
	s_mov_b32 s18, exec_lo
	v_cmpx_gt_u32_e32 8, v6
; %bb.1086:                             ;   in Loop: Header=BB300_10 Depth=1
	s_delay_alu instid0(VALU_DEP_2) | instskip(NEXT) | instid1(VALU_DEP_1)
	v_clz_i32_u32_e32 v0, v0
	v_min_u32_e32 v6, 32, v0
	s_delay_alu instid0(VALU_DEP_1) | instskip(NEXT) | instid1(VALU_DEP_1)
	v_subrev_nc_u32_e32 v0, 28, v6
	v_lshlrev_b64_e32 v[0:1], v0, v[8:9]
	s_delay_alu instid0(VALU_DEP_1)
	v_dual_sub_nc_u32 v1, 29, v6 :: v_dual_bitop2_b32 v0, 7, v0 bitop3:0x40
; %bb.1087:                             ;   in Loop: Header=BB300_10 Depth=1
	s_or_b32 exec_lo, exec_lo, s18
	v_lshlrev_b32_e32 v6, 8, v8
	s_delay_alu instid0(VALU_DEP_2) | instskip(NEXT) | instid1(VALU_DEP_3)
	v_lshl_add_u32 v1, v1, 10, 0x2000
	v_lshlrev_b32_e32 v0, 7, v0
	s_delay_alu instid0(VALU_DEP_3) | instskip(NEXT) | instid1(VALU_DEP_3)
	v_and_b32_e32 v6, 0x8000, v6
	v_and_b32_e32 v1, 0xfc00, v1
	s_delay_alu instid0(VALU_DEP_1)
	v_or3_b32 v0, v6, v1, v0
	scratch_store_b32 off, v0, s32 offset:344 ; 4-byte Folded Spill
.LBB300_1088:                           ;   in Loop: Header=BB300_10 Depth=1
	s_wait_xcnt 0x0
	s_or_b32 exec_lo, exec_lo, s17
.LBB300_1089:                           ;   in Loop: Header=BB300_10 Depth=1
	s_delay_alu instid0(SALU_CYCLE_1)
	s_or_b32 exec_lo, exec_lo, s16
.LBB300_1090:                           ;   in Loop: Header=BB300_10 Depth=1
	s_delay_alu instid0(SALU_CYCLE_1)
	s_or_b32 exec_lo, exec_lo, s11
	v_mov_b32_e32 v0, 0
	s_mov_b32 s11, exec_lo
	scratch_store_b32 off, v0, s32 offset:352 ; 4-byte Folded Spill
	s_wait_xcnt 0x0
	v_mov_b32_e32 v0, 0
	scratch_store_b32 off, v0, s32 offset:536 ; 4-byte Folded Spill
	s_wait_xcnt 0x0
	v_cmpx_lt_u64_e64 s[2:3], v[4:5]
	s_cbranch_execz .LBB300_1098
; %bb.1091:                             ;   in Loop: Header=BB300_10 Depth=1
	v_lshrrev_b32_e32 v14, 24, v5
	v_bfrev_b32_e32 v0, 1
	s_mov_b32 s16, exec_lo
	s_delay_alu instid0(VALU_DEP_2)
	v_cmpx_ne_u32_e32 0x80, v14
	s_cbranch_execz .LBB300_1097
; %bb.1092:                             ;   in Loop: Header=BB300_10 Depth=1
	v_and_b32_e32 v4, 0x7f, v14
	v_mov_b32_e32 v0, 0x7c010000
	s_mov_b32 s17, exec_lo
	s_delay_alu instid0(VALU_DEP_2)
	v_cmpx_ne_u32_e32 0x7f, v4
	s_cbranch_execz .LBB300_1096
; %bb.1093:                             ;   in Loop: Header=BB300_10 Depth=1
	v_dual_lshrrev_b32 v1, 3, v4 :: v_dual_bitop2_b32 v0, 7, v14 bitop3:0x40
	s_mov_b32 s18, exec_lo
	v_cmpx_gt_u32_e32 8, v4
; %bb.1094:                             ;   in Loop: Header=BB300_10 Depth=1
	s_delay_alu instid0(VALU_DEP_2) | instskip(NEXT) | instid1(VALU_DEP_1)
	v_clz_i32_u32_e32 v0, v0
	v_min_u32_e32 v4, 32, v0
	s_delay_alu instid0(VALU_DEP_1) | instskip(NEXT) | instid1(VALU_DEP_1)
	v_subrev_nc_u32_e32 v0, 28, v4
	v_lshlrev_b64_e32 v[0:1], v0, v[14:15]
	v_sub_nc_u32_e32 v1, 29, v4
	s_delay_alu instid0(VALU_DEP_2)
	v_and_b32_e32 v0, 7, v0
; %bb.1095:                             ;   in Loop: Header=BB300_10 Depth=1
	s_or_b32 exec_lo, exec_lo, s18
	s_delay_alu instid0(VALU_DEP_1) | instskip(NEXT) | instid1(VALU_DEP_3)
	v_dual_lshlrev_b32 v4, 8, v14 :: v_dual_lshlrev_b32 v0, 23, v0
	v_lshl_add_u32 v1, v1, 10, 0x2000
	s_delay_alu instid0(VALU_DEP_1) | instskip(NEXT) | instid1(VALU_DEP_1)
	v_and_or_b32 v1, 0x8000, v4, v1
	v_lshl_or_b32 v0, v1, 16, v0
.LBB300_1096:                           ;   in Loop: Header=BB300_10 Depth=1
	s_or_b32 exec_lo, exec_lo, s17
.LBB300_1097:                           ;   in Loop: Header=BB300_10 Depth=1
	s_delay_alu instid0(SALU_CYCLE_1)
	s_or_b32 exec_lo, exec_lo, s16
	scratch_store_b32 off, v0, s32 offset:536 ; 4-byte Folded Spill
.LBB300_1098:                           ;   in Loop: Header=BB300_10 Depth=1
	s_wait_xcnt 0x0
	s_or_b32 exec_lo, exec_lo, s11
	flat_load_b64 v[4:5], v[2:3] offset:4104
	s_mov_b32 s11, exec_lo
	s_wait_loadcnt_dscnt 0x0
	v_and_b32_e32 v0, 0xff, v4
	s_wait_xcnt 0x0
	s_delay_alu instid0(VALU_DEP_1)
	v_cmpx_ne_u16_e32 0, v0
	s_cbranch_execz .LBB300_1106
; %bb.1099:                             ;   in Loop: Header=BB300_10 Depth=1
	v_cmp_ne_u16_e64 s1, 0x80, v0
	v_mov_b32_e32 v0, 0x8000
	scratch_store_b32 off, v0, s32 offset:352 ; 4-byte Folded Spill
	s_wait_xcnt 0x0
	s_and_saveexec_b32 s16, s1
	s_cbranch_execz .LBB300_1105
; %bb.1100:                             ;   in Loop: Header=BB300_10 Depth=1
	v_and_b32_e32 v6, 0x7f, v4
	v_mov_b32_e32 v0, 0x7c01
	s_mov_b32 s17, exec_lo
	scratch_store_b32 off, v0, s32 offset:352 ; 4-byte Folded Spill
	s_wait_xcnt 0x0
	v_cmpx_ne_u32_e32 0x7f, v6
	s_cbranch_execz .LBB300_1104
; %bb.1101:                             ;   in Loop: Header=BB300_10 Depth=1
	v_dual_lshrrev_b32 v1, 3, v6 :: v_dual_bitop2_b32 v0, 7, v4 bitop3:0x40
	s_mov_b32 s18, exec_lo
	v_cmpx_gt_u32_e32 8, v6
; %bb.1102:                             ;   in Loop: Header=BB300_10 Depth=1
	s_delay_alu instid0(VALU_DEP_2) | instskip(NEXT) | instid1(VALU_DEP_1)
	v_clz_i32_u32_e32 v0, v0
	v_min_u32_e32 v6, 32, v0
	s_delay_alu instid0(VALU_DEP_1) | instskip(NEXT) | instid1(VALU_DEP_1)
	v_subrev_nc_u32_e32 v0, 28, v6
	v_lshlrev_b64_e32 v[0:1], v0, v[4:5]
	s_delay_alu instid0(VALU_DEP_1)
	v_dual_sub_nc_u32 v1, 29, v6 :: v_dual_bitop2_b32 v0, 7, v0 bitop3:0x40
; %bb.1103:                             ;   in Loop: Header=BB300_10 Depth=1
	s_or_b32 exec_lo, exec_lo, s18
	v_lshlrev_b32_e32 v6, 8, v4
	s_delay_alu instid0(VALU_DEP_2) | instskip(NEXT) | instid1(VALU_DEP_3)
	v_lshl_add_u32 v1, v1, 10, 0x2000
	v_lshlrev_b32_e32 v0, 7, v0
	s_delay_alu instid0(VALU_DEP_3) | instskip(NEXT) | instid1(VALU_DEP_3)
	v_and_b32_e32 v6, 0x8000, v6
	v_and_b32_e32 v1, 0xfc00, v1
	s_delay_alu instid0(VALU_DEP_1)
	v_or3_b32 v0, v6, v1, v0
	scratch_store_b32 off, v0, s32 offset:352 ; 4-byte Folded Spill
.LBB300_1104:                           ;   in Loop: Header=BB300_10 Depth=1
	s_wait_xcnt 0x0
	s_or_b32 exec_lo, exec_lo, s17
.LBB300_1105:                           ;   in Loop: Header=BB300_10 Depth=1
	s_delay_alu instid0(SALU_CYCLE_1)
	s_or_b32 exec_lo, exec_lo, s16
.LBB300_1106:                           ;   in Loop: Header=BB300_10 Depth=1
	s_delay_alu instid0(SALU_CYCLE_1)
	s_or_b32 exec_lo, exec_lo, s11
	v_mov_b32_e32 v0, 0
	v_lshrrev_b16 v14, 8, v4
	s_mov_b32 s11, exec_lo
	scratch_store_b32 off, v0, s32 offset:356 ; 4-byte Folded Spill
	s_wait_xcnt 0x0
	v_mov_b32_e32 v0, 0
	scratch_store_b32 off, v0, s32 offset:360 ; 4-byte Folded Spill
	s_wait_xcnt 0x0
	v_cmpx_ne_u16_e32 0, v14
	s_cbranch_execz .LBB300_1114
; %bb.1107:                             ;   in Loop: Header=BB300_10 Depth=1
	v_bfrev_b32_e32 v0, 1
	s_mov_b32 s16, exec_lo
	scratch_store_b32 off, v0, s32 offset:360 ; 4-byte Folded Spill
	s_wait_xcnt 0x0
	v_cmpx_ne_u16_e32 0x80, v14
	s_cbranch_execz .LBB300_1113
; %bb.1108:                             ;   in Loop: Header=BB300_10 Depth=1
	v_and_b32_e32 v0, 0xffff, v14
	v_mov_b32_e32 v1, 0x7c010000
	s_mov_b32 s17, exec_lo
	s_delay_alu instid0(VALU_DEP_2)
	v_and_b32_e32 v7, 0x7f, v0
	scratch_store_b32 off, v1, s32 offset:360 ; 4-byte Folded Spill
	s_wait_xcnt 0x0
	v_cmpx_ne_u32_e32 0x7f, v7
	s_cbranch_execz .LBB300_1112
; %bb.1109:                             ;   in Loop: Header=BB300_10 Depth=1
	v_dual_lshrrev_b32 v6, 3, v7 :: v_dual_bitop2_b32 v1, 7, v0 bitop3:0x40
	s_mov_b32 s18, exec_lo
	v_cmpx_gt_u32_e32 8, v7
; %bb.1110:                             ;   in Loop: Header=BB300_10 Depth=1
	s_delay_alu instid0(VALU_DEP_2) | instskip(NEXT) | instid1(VALU_DEP_1)
	v_clz_i32_u32_e32 v1, v1
	v_min_u32_e32 v1, 32, v1
	s_delay_alu instid0(VALU_DEP_1) | instskip(NEXT) | instid1(VALU_DEP_1)
	v_subrev_nc_u32_e32 v6, 28, v1
	v_lshlrev_b64_e32 v[8:9], v6, v[14:15]
	s_delay_alu instid0(VALU_DEP_1)
	v_dual_sub_nc_u32 v6, 29, v1 :: v_dual_bitop2_b32 v1, 7, v8 bitop3:0x40
; %bb.1111:                             ;   in Loop: Header=BB300_10 Depth=1
	s_or_b32 exec_lo, exec_lo, s18
	s_delay_alu instid0(VALU_DEP_1) | instskip(NEXT) | instid1(VALU_DEP_2)
	v_dual_lshlrev_b32 v0, 8, v0 :: v_dual_lshlrev_b32 v1, 23, v1
	v_lshl_add_u32 v6, v6, 10, 0x2000
	s_delay_alu instid0(VALU_DEP_1) | instskip(NEXT) | instid1(VALU_DEP_1)
	v_and_or_b32 v0, 0x8000, v0, v6
	v_lshl_or_b32 v0, v0, 16, v1
	scratch_store_b32 off, v0, s32 offset:360 ; 4-byte Folded Spill
.LBB300_1112:                           ;   in Loop: Header=BB300_10 Depth=1
	s_wait_xcnt 0x0
	s_or_b32 exec_lo, exec_lo, s17
.LBB300_1113:                           ;   in Loop: Header=BB300_10 Depth=1
	s_delay_alu instid0(SALU_CYCLE_1)
	s_or_b32 exec_lo, exec_lo, s16
.LBB300_1114:                           ;   in Loop: Header=BB300_10 Depth=1
	s_delay_alu instid0(SALU_CYCLE_1) | instskip(SKIP_2) | instid1(VALU_DEP_1)
	s_or_b32 exec_lo, exec_lo, s11
	v_lshrrev_b32_e32 v8, 16, v4
	s_mov_b32 s11, exec_lo
	v_and_b32_e32 v0, 0xff, v8
	s_delay_alu instid0(VALU_DEP_1)
	v_cmpx_ne_u16_e32 0, v0
	s_cbranch_execz .LBB300_1122
; %bb.1115:                             ;   in Loop: Header=BB300_10 Depth=1
	v_cmp_ne_u16_e64 s1, 0x80, v0
	v_mov_b32_e32 v0, 0x8000
	scratch_store_b32 off, v0, s32 offset:356 ; 4-byte Folded Spill
	s_wait_xcnt 0x0
	s_and_saveexec_b32 s16, s1
	s_cbranch_execz .LBB300_1121
; %bb.1116:                             ;   in Loop: Header=BB300_10 Depth=1
	v_bfe_u32 v6, v4, 16, 7
	v_mov_b32_e32 v0, 0x7c01
	s_mov_b32 s17, exec_lo
	scratch_store_b32 off, v0, s32 offset:356 ; 4-byte Folded Spill
	s_wait_xcnt 0x0
	v_cmpx_ne_u32_e32 0x7f, v6
	s_cbranch_execz .LBB300_1120
; %bb.1117:                             ;   in Loop: Header=BB300_10 Depth=1
	v_dual_lshrrev_b32 v1, 3, v6 :: v_dual_bitop2_b32 v0, 7, v8 bitop3:0x40
	s_mov_b32 s18, exec_lo
	v_cmpx_gt_u32_e32 8, v6
; %bb.1118:                             ;   in Loop: Header=BB300_10 Depth=1
	s_delay_alu instid0(VALU_DEP_2) | instskip(NEXT) | instid1(VALU_DEP_1)
	v_clz_i32_u32_e32 v0, v0
	v_min_u32_e32 v6, 32, v0
	s_delay_alu instid0(VALU_DEP_1) | instskip(NEXT) | instid1(VALU_DEP_1)
	v_subrev_nc_u32_e32 v0, 28, v6
	v_lshlrev_b64_e32 v[0:1], v0, v[8:9]
	s_delay_alu instid0(VALU_DEP_1)
	v_dual_sub_nc_u32 v1, 29, v6 :: v_dual_bitop2_b32 v0, 7, v0 bitop3:0x40
; %bb.1119:                             ;   in Loop: Header=BB300_10 Depth=1
	s_or_b32 exec_lo, exec_lo, s18
	v_lshlrev_b32_e32 v6, 8, v8
	s_delay_alu instid0(VALU_DEP_2) | instskip(NEXT) | instid1(VALU_DEP_3)
	v_lshl_add_u32 v1, v1, 10, 0x2000
	v_lshlrev_b32_e32 v0, 7, v0
	s_delay_alu instid0(VALU_DEP_3) | instskip(NEXT) | instid1(VALU_DEP_3)
	v_and_b32_e32 v6, 0x8000, v6
	v_and_b32_e32 v1, 0xfc00, v1
	s_delay_alu instid0(VALU_DEP_1)
	v_or3_b32 v0, v6, v1, v0
	scratch_store_b32 off, v0, s32 offset:356 ; 4-byte Folded Spill
.LBB300_1120:                           ;   in Loop: Header=BB300_10 Depth=1
	s_wait_xcnt 0x0
	s_or_b32 exec_lo, exec_lo, s17
.LBB300_1121:                           ;   in Loop: Header=BB300_10 Depth=1
	s_delay_alu instid0(SALU_CYCLE_1)
	s_or_b32 exec_lo, exec_lo, s16
.LBB300_1122:                           ;   in Loop: Header=BB300_10 Depth=1
	s_delay_alu instid0(SALU_CYCLE_1)
	s_or_b32 exec_lo, exec_lo, s11
	v_mov_b32_e32 v0, 0
	s_mov_b32 s11, exec_lo
	scratch_store_b32 off, v0, s32 offset:364 ; 4-byte Folded Spill
	s_wait_xcnt 0x0
	v_mov_b32_e32 v0, 0
	scratch_store_b32 off, v0, s32 offset:368 ; 4-byte Folded Spill
	s_wait_xcnt 0x0
	v_cmpx_lt_u32_e32 0xffffff, v4
	s_cbranch_execz .LBB300_1130
; %bb.1123:                             ;   in Loop: Header=BB300_10 Depth=1
	v_lshrrev_b32_e32 v14, 24, v4
	v_bfrev_b32_e32 v0, 1
	s_mov_b32 s16, exec_lo
	scratch_store_b32 off, v0, s32 offset:368 ; 4-byte Folded Spill
	s_wait_xcnt 0x0
	v_cmpx_ne_u32_e32 0x80, v14
	s_cbranch_execz .LBB300_1129
; %bb.1124:                             ;   in Loop: Header=BB300_10 Depth=1
	v_and_b32_e32 v6, 0x7f, v14
	v_mov_b32_e32 v0, 0x7c010000
	s_mov_b32 s17, exec_lo
	scratch_store_b32 off, v0, s32 offset:368 ; 4-byte Folded Spill
	s_wait_xcnt 0x0
	v_cmpx_ne_u32_e32 0x7f, v6
	s_cbranch_execz .LBB300_1128
; %bb.1125:                             ;   in Loop: Header=BB300_10 Depth=1
	v_and_b32_e32 v0, 7, v14
	v_lshrrev_b32_e32 v1, 3, v6
	s_mov_b32 s18, exec_lo
	v_cmpx_gt_u32_e32 8, v6
; %bb.1126:                             ;   in Loop: Header=BB300_10 Depth=1
	s_delay_alu instid0(VALU_DEP_3) | instskip(NEXT) | instid1(VALU_DEP_1)
	v_clz_i32_u32_e32 v0, v0
	v_min_u32_e32 v6, 32, v0
	s_delay_alu instid0(VALU_DEP_1) | instskip(NEXT) | instid1(VALU_DEP_1)
	v_subrev_nc_u32_e32 v0, 28, v6
	v_lshlrev_b64_e32 v[0:1], v0, v[14:15]
	s_delay_alu instid0(VALU_DEP_1)
	v_dual_sub_nc_u32 v1, 29, v6 :: v_dual_bitop2_b32 v0, 7, v0 bitop3:0x40
; %bb.1127:                             ;   in Loop: Header=BB300_10 Depth=1
	s_or_b32 exec_lo, exec_lo, s18
	s_delay_alu instid0(VALU_DEP_1) | instskip(NEXT) | instid1(VALU_DEP_2)
	v_dual_lshlrev_b32 v6, 8, v14 :: v_dual_lshlrev_b32 v0, 23, v0
	v_lshl_add_u32 v1, v1, 10, 0x2000
	s_delay_alu instid0(VALU_DEP_1) | instskip(NEXT) | instid1(VALU_DEP_1)
	v_and_or_b32 v1, 0x8000, v6, v1
	v_lshl_or_b32 v0, v1, 16, v0
	scratch_store_b32 off, v0, s32 offset:368 ; 4-byte Folded Spill
.LBB300_1128:                           ;   in Loop: Header=BB300_10 Depth=1
	s_wait_xcnt 0x0
	s_or_b32 exec_lo, exec_lo, s17
.LBB300_1129:                           ;   in Loop: Header=BB300_10 Depth=1
	s_delay_alu instid0(SALU_CYCLE_1)
	s_or_b32 exec_lo, exec_lo, s16
.LBB300_1130:                           ;   in Loop: Header=BB300_10 Depth=1
	s_delay_alu instid0(SALU_CYCLE_1) | instskip(SKIP_3) | instid1(VALU_DEP_2)
	s_or_b32 exec_lo, exec_lo, s11
	v_and_b32_e32 v0, 0xff, v5
	v_mov_b32_e32 v14, v5
	s_mov_b32 s11, exec_lo
	v_cmpx_ne_u16_e32 0, v0
	s_cbranch_execz .LBB300_1138
; %bb.1131:                             ;   in Loop: Header=BB300_10 Depth=1
	v_cmp_ne_u16_e64 s1, 0x80, v0
	v_mov_b32_e32 v0, 0x8000
	scratch_store_b32 off, v0, s32 offset:364 ; 4-byte Folded Spill
	s_wait_xcnt 0x0
	s_and_saveexec_b32 s16, s1
	s_cbranch_execz .LBB300_1137
; %bb.1132:                             ;   in Loop: Header=BB300_10 Depth=1
	v_and_b32_e32 v6, 0x7f, v5
	v_mov_b32_e32 v0, 0x7c01
	s_mov_b32 s17, exec_lo
	scratch_store_b32 off, v0, s32 offset:364 ; 4-byte Folded Spill
	s_wait_xcnt 0x0
	v_cmpx_ne_u32_e32 0x7f, v6
	s_cbranch_execz .LBB300_1136
; %bb.1133:                             ;   in Loop: Header=BB300_10 Depth=1
	v_dual_lshrrev_b32 v1, 3, v6 :: v_dual_bitop2_b32 v0, 7, v5 bitop3:0x40
	s_mov_b32 s18, exec_lo
	v_cmpx_gt_u32_e32 8, v6
; %bb.1134:                             ;   in Loop: Header=BB300_10 Depth=1
	s_delay_alu instid0(VALU_DEP_2) | instskip(NEXT) | instid1(VALU_DEP_1)
	v_clz_i32_u32_e32 v0, v0
	v_min_u32_e32 v6, 32, v0
	s_delay_alu instid0(VALU_DEP_1) | instskip(NEXT) | instid1(VALU_DEP_1)
	v_subrev_nc_u32_e32 v0, 28, v6
	v_lshlrev_b64_e32 v[0:1], v0, v[14:15]
	s_delay_alu instid0(VALU_DEP_1)
	v_dual_sub_nc_u32 v1, 29, v6 :: v_dual_bitop2_b32 v0, 7, v0 bitop3:0x40
; %bb.1135:                             ;   in Loop: Header=BB300_10 Depth=1
	s_or_b32 exec_lo, exec_lo, s18
	s_delay_alu instid0(VALU_DEP_1) | instskip(NEXT) | instid1(VALU_DEP_2)
	v_dual_lshlrev_b32 v6, 8, v5 :: v_dual_lshlrev_b32 v0, 7, v0
	v_lshl_add_u32 v1, v1, 10, 0x2000
	s_delay_alu instid0(VALU_DEP_2) | instskip(NEXT) | instid1(VALU_DEP_2)
	v_and_b32_e32 v6, 0x8000, v6
	v_and_b32_e32 v1, 0xfc00, v1
	s_delay_alu instid0(VALU_DEP_1)
	v_or3_b32 v0, v6, v1, v0
	scratch_store_b32 off, v0, s32 offset:364 ; 4-byte Folded Spill
.LBB300_1136:                           ;   in Loop: Header=BB300_10 Depth=1
	s_wait_xcnt 0x0
	s_or_b32 exec_lo, exec_lo, s17
.LBB300_1137:                           ;   in Loop: Header=BB300_10 Depth=1
	s_delay_alu instid0(SALU_CYCLE_1)
	s_or_b32 exec_lo, exec_lo, s16
.LBB300_1138:                           ;   in Loop: Header=BB300_10 Depth=1
	s_delay_alu instid0(SALU_CYCLE_1)
	s_or_b32 exec_lo, exec_lo, s11
	v_mov_b32_e32 v0, 0
	v_lshrrev_b16 v14, 8, v14
	s_mov_b32 s11, exec_lo
	scratch_store_b32 off, v0, s32 offset:372 ; 4-byte Folded Spill
	s_wait_xcnt 0x0
	v_mov_b32_e32 v0, 0
	scratch_store_b32 off, v0, s32 offset:376 ; 4-byte Folded Spill
	s_wait_xcnt 0x0
	v_cmpx_ne_u16_e32 0, v14
	s_cbranch_execz .LBB300_1146
; %bb.1139:                             ;   in Loop: Header=BB300_10 Depth=1
	v_bfrev_b32_e32 v0, 1
	s_mov_b32 s16, exec_lo
	scratch_store_b32 off, v0, s32 offset:376 ; 4-byte Folded Spill
	s_wait_xcnt 0x0
	v_cmpx_ne_u16_e32 0x80, v14
	s_cbranch_execz .LBB300_1145
; %bb.1140:                             ;   in Loop: Header=BB300_10 Depth=1
	v_and_b32_e32 v0, 0xffff, v14
	v_mov_b32_e32 v1, 0x7c010000
	s_mov_b32 s17, exec_lo
	s_delay_alu instid0(VALU_DEP_2)
	v_and_b32_e32 v7, 0x7f, v0
	scratch_store_b32 off, v1, s32 offset:376 ; 4-byte Folded Spill
	s_wait_xcnt 0x0
	v_cmpx_ne_u32_e32 0x7f, v7
	s_cbranch_execz .LBB300_1144
; %bb.1141:                             ;   in Loop: Header=BB300_10 Depth=1
	v_dual_lshrrev_b32 v6, 3, v7 :: v_dual_bitop2_b32 v1, 7, v0 bitop3:0x40
	s_mov_b32 s18, exec_lo
	v_cmpx_gt_u32_e32 8, v7
; %bb.1142:                             ;   in Loop: Header=BB300_10 Depth=1
	s_delay_alu instid0(VALU_DEP_2) | instskip(NEXT) | instid1(VALU_DEP_1)
	v_clz_i32_u32_e32 v1, v1
	v_min_u32_e32 v1, 32, v1
	s_delay_alu instid0(VALU_DEP_1) | instskip(NEXT) | instid1(VALU_DEP_1)
	v_subrev_nc_u32_e32 v6, 28, v1
	v_lshlrev_b64_e32 v[8:9], v6, v[14:15]
	s_delay_alu instid0(VALU_DEP_1)
	v_dual_sub_nc_u32 v6, 29, v1 :: v_dual_bitop2_b32 v1, 7, v8 bitop3:0x40
; %bb.1143:                             ;   in Loop: Header=BB300_10 Depth=1
	s_or_b32 exec_lo, exec_lo, s18
	s_delay_alu instid0(VALU_DEP_1) | instskip(NEXT) | instid1(VALU_DEP_2)
	v_dual_lshlrev_b32 v0, 8, v0 :: v_dual_lshlrev_b32 v1, 23, v1
	v_lshl_add_u32 v6, v6, 10, 0x2000
	s_delay_alu instid0(VALU_DEP_1) | instskip(NEXT) | instid1(VALU_DEP_1)
	v_and_or_b32 v0, 0x8000, v0, v6
	v_lshl_or_b32 v0, v0, 16, v1
	scratch_store_b32 off, v0, s32 offset:376 ; 4-byte Folded Spill
.LBB300_1144:                           ;   in Loop: Header=BB300_10 Depth=1
	s_wait_xcnt 0x0
	s_or_b32 exec_lo, exec_lo, s17
.LBB300_1145:                           ;   in Loop: Header=BB300_10 Depth=1
	s_delay_alu instid0(SALU_CYCLE_1)
	s_or_b32 exec_lo, exec_lo, s16
.LBB300_1146:                           ;   in Loop: Header=BB300_10 Depth=1
	s_delay_alu instid0(SALU_CYCLE_1) | instskip(SKIP_2) | instid1(VALU_DEP_1)
	s_or_b32 exec_lo, exec_lo, s11
	v_lshrrev_b32_e32 v8, 16, v5
	s_mov_b32 s11, exec_lo
	v_and_b32_e32 v0, 0xff, v8
	s_delay_alu instid0(VALU_DEP_1)
	v_cmpx_ne_u16_e32 0, v0
	s_cbranch_execz .LBB300_1154
; %bb.1147:                             ;   in Loop: Header=BB300_10 Depth=1
	v_cmp_ne_u16_e64 s1, 0x80, v0
	v_mov_b32_e32 v0, 0x8000
	scratch_store_b32 off, v0, s32 offset:372 ; 4-byte Folded Spill
	s_wait_xcnt 0x0
	s_and_saveexec_b32 s16, s1
	s_cbranch_execz .LBB300_1153
; %bb.1148:                             ;   in Loop: Header=BB300_10 Depth=1
	v_bfe_u32 v6, v5, 16, 7
	v_mov_b32_e32 v0, 0x7c01
	s_mov_b32 s17, exec_lo
	scratch_store_b32 off, v0, s32 offset:372 ; 4-byte Folded Spill
	s_wait_xcnt 0x0
	v_cmpx_ne_u32_e32 0x7f, v6
	s_cbranch_execz .LBB300_1152
; %bb.1149:                             ;   in Loop: Header=BB300_10 Depth=1
	v_dual_lshrrev_b32 v1, 3, v6 :: v_dual_bitop2_b32 v0, 7, v8 bitop3:0x40
	s_mov_b32 s18, exec_lo
	v_cmpx_gt_u32_e32 8, v6
; %bb.1150:                             ;   in Loop: Header=BB300_10 Depth=1
	s_delay_alu instid0(VALU_DEP_2) | instskip(NEXT) | instid1(VALU_DEP_1)
	v_clz_i32_u32_e32 v0, v0
	v_min_u32_e32 v6, 32, v0
	s_delay_alu instid0(VALU_DEP_1) | instskip(NEXT) | instid1(VALU_DEP_1)
	v_subrev_nc_u32_e32 v0, 28, v6
	v_lshlrev_b64_e32 v[0:1], v0, v[8:9]
	s_delay_alu instid0(VALU_DEP_1)
	v_dual_sub_nc_u32 v1, 29, v6 :: v_dual_bitop2_b32 v0, 7, v0 bitop3:0x40
; %bb.1151:                             ;   in Loop: Header=BB300_10 Depth=1
	s_or_b32 exec_lo, exec_lo, s18
	v_lshlrev_b32_e32 v6, 8, v8
	s_delay_alu instid0(VALU_DEP_2) | instskip(NEXT) | instid1(VALU_DEP_3)
	v_lshl_add_u32 v1, v1, 10, 0x2000
	v_lshlrev_b32_e32 v0, 7, v0
	s_delay_alu instid0(VALU_DEP_3) | instskip(NEXT) | instid1(VALU_DEP_3)
	v_and_b32_e32 v6, 0x8000, v6
	v_and_b32_e32 v1, 0xfc00, v1
	s_delay_alu instid0(VALU_DEP_1)
	v_or3_b32 v0, v6, v1, v0
	scratch_store_b32 off, v0, s32 offset:372 ; 4-byte Folded Spill
.LBB300_1152:                           ;   in Loop: Header=BB300_10 Depth=1
	s_wait_xcnt 0x0
	s_or_b32 exec_lo, exec_lo, s17
.LBB300_1153:                           ;   in Loop: Header=BB300_10 Depth=1
	s_delay_alu instid0(SALU_CYCLE_1)
	s_or_b32 exec_lo, exec_lo, s16
.LBB300_1154:                           ;   in Loop: Header=BB300_10 Depth=1
	s_delay_alu instid0(SALU_CYCLE_1)
	s_or_b32 exec_lo, exec_lo, s11
	v_mov_b32_e32 v0, 0
	s_mov_b32 s11, exec_lo
	scratch_store_b32 off, v0, s32 offset:380 ; 4-byte Folded Spill
	s_wait_xcnt 0x0
	v_mov_b32_e32 v0, 0
	scratch_store_b32 off, v0, s32 offset:540 ; 4-byte Folded Spill
	s_wait_xcnt 0x0
	v_cmpx_lt_u64_e64 s[2:3], v[4:5]
	s_cbranch_execz .LBB300_1162
; %bb.1155:                             ;   in Loop: Header=BB300_10 Depth=1
	v_lshrrev_b32_e32 v14, 24, v5
	v_bfrev_b32_e32 v0, 1
	s_mov_b32 s16, exec_lo
	s_delay_alu instid0(VALU_DEP_2)
	v_cmpx_ne_u32_e32 0x80, v14
	s_cbranch_execz .LBB300_1161
; %bb.1156:                             ;   in Loop: Header=BB300_10 Depth=1
	v_and_b32_e32 v4, 0x7f, v14
	v_mov_b32_e32 v0, 0x7c010000
	s_mov_b32 s17, exec_lo
	s_delay_alu instid0(VALU_DEP_2)
	v_cmpx_ne_u32_e32 0x7f, v4
	s_cbranch_execz .LBB300_1160
; %bb.1157:                             ;   in Loop: Header=BB300_10 Depth=1
	v_dual_lshrrev_b32 v1, 3, v4 :: v_dual_bitop2_b32 v0, 7, v14 bitop3:0x40
	s_mov_b32 s18, exec_lo
	v_cmpx_gt_u32_e32 8, v4
; %bb.1158:                             ;   in Loop: Header=BB300_10 Depth=1
	s_delay_alu instid0(VALU_DEP_2) | instskip(NEXT) | instid1(VALU_DEP_1)
	v_clz_i32_u32_e32 v0, v0
	v_min_u32_e32 v4, 32, v0
	s_delay_alu instid0(VALU_DEP_1) | instskip(NEXT) | instid1(VALU_DEP_1)
	v_subrev_nc_u32_e32 v0, 28, v4
	v_lshlrev_b64_e32 v[0:1], v0, v[14:15]
	v_sub_nc_u32_e32 v1, 29, v4
	s_delay_alu instid0(VALU_DEP_2)
	v_and_b32_e32 v0, 7, v0
; %bb.1159:                             ;   in Loop: Header=BB300_10 Depth=1
	s_or_b32 exec_lo, exec_lo, s18
	s_delay_alu instid0(VALU_DEP_1) | instskip(NEXT) | instid1(VALU_DEP_3)
	v_dual_lshlrev_b32 v4, 8, v14 :: v_dual_lshlrev_b32 v0, 23, v0
	v_lshl_add_u32 v1, v1, 10, 0x2000
	s_delay_alu instid0(VALU_DEP_1) | instskip(NEXT) | instid1(VALU_DEP_1)
	v_and_or_b32 v1, 0x8000, v4, v1
	v_lshl_or_b32 v0, v1, 16, v0
.LBB300_1160:                           ;   in Loop: Header=BB300_10 Depth=1
	s_or_b32 exec_lo, exec_lo, s17
.LBB300_1161:                           ;   in Loop: Header=BB300_10 Depth=1
	s_delay_alu instid0(SALU_CYCLE_1)
	s_or_b32 exec_lo, exec_lo, s16
	scratch_store_b32 off, v0, s32 offset:540 ; 4-byte Folded Spill
.LBB300_1162:                           ;   in Loop: Header=BB300_10 Depth=1
	s_wait_xcnt 0x0
	s_or_b32 exec_lo, exec_lo, s11
	flat_load_b64 v[4:5], v[2:3] offset:4608
	s_mov_b32 s11, exec_lo
	s_wait_loadcnt_dscnt 0x0
	v_and_b32_e32 v0, 0xff, v4
	s_wait_xcnt 0x0
	s_delay_alu instid0(VALU_DEP_1)
	v_cmpx_ne_u16_e32 0, v0
	s_cbranch_execz .LBB300_1170
; %bb.1163:                             ;   in Loop: Header=BB300_10 Depth=1
	v_cmp_ne_u16_e64 s1, 0x80, v0
	v_mov_b32_e32 v0, 0x8000
	scratch_store_b32 off, v0, s32 offset:380 ; 4-byte Folded Spill
	s_wait_xcnt 0x0
	s_and_saveexec_b32 s16, s1
	s_cbranch_execz .LBB300_1169
; %bb.1164:                             ;   in Loop: Header=BB300_10 Depth=1
	v_and_b32_e32 v6, 0x7f, v4
	v_mov_b32_e32 v0, 0x7c01
	s_mov_b32 s17, exec_lo
	scratch_store_b32 off, v0, s32 offset:380 ; 4-byte Folded Spill
	s_wait_xcnt 0x0
	v_cmpx_ne_u32_e32 0x7f, v6
	s_cbranch_execz .LBB300_1168
; %bb.1165:                             ;   in Loop: Header=BB300_10 Depth=1
	v_dual_lshrrev_b32 v1, 3, v6 :: v_dual_bitop2_b32 v0, 7, v4 bitop3:0x40
	s_mov_b32 s18, exec_lo
	v_cmpx_gt_u32_e32 8, v6
; %bb.1166:                             ;   in Loop: Header=BB300_10 Depth=1
	s_delay_alu instid0(VALU_DEP_2) | instskip(NEXT) | instid1(VALU_DEP_1)
	v_clz_i32_u32_e32 v0, v0
	v_min_u32_e32 v6, 32, v0
	s_delay_alu instid0(VALU_DEP_1) | instskip(NEXT) | instid1(VALU_DEP_1)
	v_subrev_nc_u32_e32 v0, 28, v6
	v_lshlrev_b64_e32 v[0:1], v0, v[4:5]
	s_delay_alu instid0(VALU_DEP_1)
	v_dual_sub_nc_u32 v1, 29, v6 :: v_dual_bitop2_b32 v0, 7, v0 bitop3:0x40
; %bb.1167:                             ;   in Loop: Header=BB300_10 Depth=1
	s_or_b32 exec_lo, exec_lo, s18
	v_lshlrev_b32_e32 v6, 8, v4
	s_delay_alu instid0(VALU_DEP_2) | instskip(NEXT) | instid1(VALU_DEP_3)
	v_lshl_add_u32 v1, v1, 10, 0x2000
	v_lshlrev_b32_e32 v0, 7, v0
	s_delay_alu instid0(VALU_DEP_3) | instskip(NEXT) | instid1(VALU_DEP_3)
	v_and_b32_e32 v6, 0x8000, v6
	v_and_b32_e32 v1, 0xfc00, v1
	s_delay_alu instid0(VALU_DEP_1)
	v_or3_b32 v0, v6, v1, v0
	scratch_store_b32 off, v0, s32 offset:380 ; 4-byte Folded Spill
.LBB300_1168:                           ;   in Loop: Header=BB300_10 Depth=1
	s_wait_xcnt 0x0
	s_or_b32 exec_lo, exec_lo, s17
.LBB300_1169:                           ;   in Loop: Header=BB300_10 Depth=1
	s_delay_alu instid0(SALU_CYCLE_1)
	s_or_b32 exec_lo, exec_lo, s16
.LBB300_1170:                           ;   in Loop: Header=BB300_10 Depth=1
	s_delay_alu instid0(SALU_CYCLE_1)
	s_or_b32 exec_lo, exec_lo, s11
	v_mov_b32_e32 v0, 0
	v_lshrrev_b16 v14, 8, v4
	s_mov_b32 s11, exec_lo
	scratch_store_b32 off, v0, s32 offset:384 ; 4-byte Folded Spill
	s_wait_xcnt 0x0
	v_mov_b32_e32 v0, 0
	scratch_store_b32 off, v0, s32 offset:388 ; 4-byte Folded Spill
	s_wait_xcnt 0x0
	v_cmpx_ne_u16_e32 0, v14
	s_cbranch_execz .LBB300_1178
; %bb.1171:                             ;   in Loop: Header=BB300_10 Depth=1
	v_bfrev_b32_e32 v0, 1
	s_mov_b32 s16, exec_lo
	scratch_store_b32 off, v0, s32 offset:388 ; 4-byte Folded Spill
	s_wait_xcnt 0x0
	v_cmpx_ne_u16_e32 0x80, v14
	s_cbranch_execz .LBB300_1177
; %bb.1172:                             ;   in Loop: Header=BB300_10 Depth=1
	v_and_b32_e32 v0, 0xffff, v14
	v_mov_b32_e32 v1, 0x7c010000
	s_mov_b32 s17, exec_lo
	s_delay_alu instid0(VALU_DEP_2)
	v_and_b32_e32 v7, 0x7f, v0
	scratch_store_b32 off, v1, s32 offset:388 ; 4-byte Folded Spill
	s_wait_xcnt 0x0
	v_cmpx_ne_u32_e32 0x7f, v7
	s_cbranch_execz .LBB300_1176
; %bb.1173:                             ;   in Loop: Header=BB300_10 Depth=1
	v_dual_lshrrev_b32 v6, 3, v7 :: v_dual_bitop2_b32 v1, 7, v0 bitop3:0x40
	s_mov_b32 s18, exec_lo
	v_cmpx_gt_u32_e32 8, v7
; %bb.1174:                             ;   in Loop: Header=BB300_10 Depth=1
	s_delay_alu instid0(VALU_DEP_2) | instskip(NEXT) | instid1(VALU_DEP_1)
	v_clz_i32_u32_e32 v1, v1
	v_min_u32_e32 v1, 32, v1
	s_delay_alu instid0(VALU_DEP_1) | instskip(NEXT) | instid1(VALU_DEP_1)
	v_subrev_nc_u32_e32 v6, 28, v1
	v_lshlrev_b64_e32 v[8:9], v6, v[14:15]
	s_delay_alu instid0(VALU_DEP_1)
	v_dual_sub_nc_u32 v6, 29, v1 :: v_dual_bitop2_b32 v1, 7, v8 bitop3:0x40
; %bb.1175:                             ;   in Loop: Header=BB300_10 Depth=1
	s_or_b32 exec_lo, exec_lo, s18
	s_delay_alu instid0(VALU_DEP_1) | instskip(NEXT) | instid1(VALU_DEP_2)
	v_dual_lshlrev_b32 v0, 8, v0 :: v_dual_lshlrev_b32 v1, 23, v1
	v_lshl_add_u32 v6, v6, 10, 0x2000
	s_delay_alu instid0(VALU_DEP_1) | instskip(NEXT) | instid1(VALU_DEP_1)
	v_and_or_b32 v0, 0x8000, v0, v6
	v_lshl_or_b32 v0, v0, 16, v1
	scratch_store_b32 off, v0, s32 offset:388 ; 4-byte Folded Spill
.LBB300_1176:                           ;   in Loop: Header=BB300_10 Depth=1
	s_wait_xcnt 0x0
	s_or_b32 exec_lo, exec_lo, s17
.LBB300_1177:                           ;   in Loop: Header=BB300_10 Depth=1
	s_delay_alu instid0(SALU_CYCLE_1)
	s_or_b32 exec_lo, exec_lo, s16
.LBB300_1178:                           ;   in Loop: Header=BB300_10 Depth=1
	s_delay_alu instid0(SALU_CYCLE_1) | instskip(SKIP_2) | instid1(VALU_DEP_1)
	s_or_b32 exec_lo, exec_lo, s11
	v_lshrrev_b32_e32 v8, 16, v4
	s_mov_b32 s11, exec_lo
	v_and_b32_e32 v0, 0xff, v8
	s_delay_alu instid0(VALU_DEP_1)
	v_cmpx_ne_u16_e32 0, v0
	s_cbranch_execz .LBB300_1186
; %bb.1179:                             ;   in Loop: Header=BB300_10 Depth=1
	v_cmp_ne_u16_e64 s1, 0x80, v0
	v_mov_b32_e32 v0, 0x8000
	scratch_store_b32 off, v0, s32 offset:384 ; 4-byte Folded Spill
	s_wait_xcnt 0x0
	s_and_saveexec_b32 s16, s1
	s_cbranch_execz .LBB300_1185
; %bb.1180:                             ;   in Loop: Header=BB300_10 Depth=1
	v_bfe_u32 v6, v4, 16, 7
	v_mov_b32_e32 v0, 0x7c01
	s_mov_b32 s17, exec_lo
	scratch_store_b32 off, v0, s32 offset:384 ; 4-byte Folded Spill
	s_wait_xcnt 0x0
	v_cmpx_ne_u32_e32 0x7f, v6
	s_cbranch_execz .LBB300_1184
; %bb.1181:                             ;   in Loop: Header=BB300_10 Depth=1
	v_dual_lshrrev_b32 v1, 3, v6 :: v_dual_bitop2_b32 v0, 7, v8 bitop3:0x40
	s_mov_b32 s18, exec_lo
	v_cmpx_gt_u32_e32 8, v6
; %bb.1182:                             ;   in Loop: Header=BB300_10 Depth=1
	s_delay_alu instid0(VALU_DEP_2) | instskip(NEXT) | instid1(VALU_DEP_1)
	v_clz_i32_u32_e32 v0, v0
	v_min_u32_e32 v6, 32, v0
	s_delay_alu instid0(VALU_DEP_1) | instskip(NEXT) | instid1(VALU_DEP_1)
	v_subrev_nc_u32_e32 v0, 28, v6
	v_lshlrev_b64_e32 v[0:1], v0, v[8:9]
	s_delay_alu instid0(VALU_DEP_1)
	v_dual_sub_nc_u32 v1, 29, v6 :: v_dual_bitop2_b32 v0, 7, v0 bitop3:0x40
; %bb.1183:                             ;   in Loop: Header=BB300_10 Depth=1
	s_or_b32 exec_lo, exec_lo, s18
	v_lshlrev_b32_e32 v6, 8, v8
	s_delay_alu instid0(VALU_DEP_2) | instskip(NEXT) | instid1(VALU_DEP_3)
	v_lshl_add_u32 v1, v1, 10, 0x2000
	v_lshlrev_b32_e32 v0, 7, v0
	s_delay_alu instid0(VALU_DEP_3) | instskip(NEXT) | instid1(VALU_DEP_3)
	v_and_b32_e32 v6, 0x8000, v6
	v_and_b32_e32 v1, 0xfc00, v1
	s_delay_alu instid0(VALU_DEP_1)
	v_or3_b32 v0, v6, v1, v0
	scratch_store_b32 off, v0, s32 offset:384 ; 4-byte Folded Spill
.LBB300_1184:                           ;   in Loop: Header=BB300_10 Depth=1
	s_wait_xcnt 0x0
	s_or_b32 exec_lo, exec_lo, s17
.LBB300_1185:                           ;   in Loop: Header=BB300_10 Depth=1
	s_delay_alu instid0(SALU_CYCLE_1)
	s_or_b32 exec_lo, exec_lo, s16
.LBB300_1186:                           ;   in Loop: Header=BB300_10 Depth=1
	s_delay_alu instid0(SALU_CYCLE_1)
	s_or_b32 exec_lo, exec_lo, s11
	v_mov_b32_e32 v0, 0
	s_mov_b32 s11, exec_lo
	scratch_store_b32 off, v0, s32 offset:392 ; 4-byte Folded Spill
	s_wait_xcnt 0x0
	v_mov_b32_e32 v0, 0
	scratch_store_b32 off, v0, s32 offset:396 ; 4-byte Folded Spill
	s_wait_xcnt 0x0
	v_cmpx_lt_u32_e32 0xffffff, v4
	s_cbranch_execz .LBB300_1194
; %bb.1187:                             ;   in Loop: Header=BB300_10 Depth=1
	v_lshrrev_b32_e32 v14, 24, v4
	v_bfrev_b32_e32 v0, 1
	s_mov_b32 s16, exec_lo
	scratch_store_b32 off, v0, s32 offset:396 ; 4-byte Folded Spill
	s_wait_xcnt 0x0
	v_cmpx_ne_u32_e32 0x80, v14
	s_cbranch_execz .LBB300_1193
; %bb.1188:                             ;   in Loop: Header=BB300_10 Depth=1
	v_and_b32_e32 v6, 0x7f, v14
	v_mov_b32_e32 v0, 0x7c010000
	s_mov_b32 s17, exec_lo
	scratch_store_b32 off, v0, s32 offset:396 ; 4-byte Folded Spill
	s_wait_xcnt 0x0
	v_cmpx_ne_u32_e32 0x7f, v6
	s_cbranch_execz .LBB300_1192
; %bb.1189:                             ;   in Loop: Header=BB300_10 Depth=1
	v_and_b32_e32 v0, 7, v14
	v_lshrrev_b32_e32 v1, 3, v6
	s_mov_b32 s18, exec_lo
	v_cmpx_gt_u32_e32 8, v6
; %bb.1190:                             ;   in Loop: Header=BB300_10 Depth=1
	s_delay_alu instid0(VALU_DEP_3) | instskip(NEXT) | instid1(VALU_DEP_1)
	v_clz_i32_u32_e32 v0, v0
	v_min_u32_e32 v6, 32, v0
	s_delay_alu instid0(VALU_DEP_1) | instskip(NEXT) | instid1(VALU_DEP_1)
	v_subrev_nc_u32_e32 v0, 28, v6
	v_lshlrev_b64_e32 v[0:1], v0, v[14:15]
	s_delay_alu instid0(VALU_DEP_1)
	v_dual_sub_nc_u32 v1, 29, v6 :: v_dual_bitop2_b32 v0, 7, v0 bitop3:0x40
; %bb.1191:                             ;   in Loop: Header=BB300_10 Depth=1
	s_or_b32 exec_lo, exec_lo, s18
	s_delay_alu instid0(VALU_DEP_1) | instskip(NEXT) | instid1(VALU_DEP_2)
	v_dual_lshlrev_b32 v6, 8, v14 :: v_dual_lshlrev_b32 v0, 23, v0
	v_lshl_add_u32 v1, v1, 10, 0x2000
	s_delay_alu instid0(VALU_DEP_1) | instskip(NEXT) | instid1(VALU_DEP_1)
	v_and_or_b32 v1, 0x8000, v6, v1
	v_lshl_or_b32 v0, v1, 16, v0
	scratch_store_b32 off, v0, s32 offset:396 ; 4-byte Folded Spill
.LBB300_1192:                           ;   in Loop: Header=BB300_10 Depth=1
	s_wait_xcnt 0x0
	s_or_b32 exec_lo, exec_lo, s17
.LBB300_1193:                           ;   in Loop: Header=BB300_10 Depth=1
	s_delay_alu instid0(SALU_CYCLE_1)
	s_or_b32 exec_lo, exec_lo, s16
.LBB300_1194:                           ;   in Loop: Header=BB300_10 Depth=1
	s_delay_alu instid0(SALU_CYCLE_1) | instskip(SKIP_3) | instid1(VALU_DEP_2)
	s_or_b32 exec_lo, exec_lo, s11
	v_and_b32_e32 v0, 0xff, v5
	v_mov_b32_e32 v14, v5
	s_mov_b32 s11, exec_lo
	v_cmpx_ne_u16_e32 0, v0
	s_cbranch_execz .LBB300_1202
; %bb.1195:                             ;   in Loop: Header=BB300_10 Depth=1
	v_cmp_ne_u16_e64 s1, 0x80, v0
	v_mov_b32_e32 v0, 0x8000
	scratch_store_b32 off, v0, s32 offset:392 ; 4-byte Folded Spill
	s_wait_xcnt 0x0
	s_and_saveexec_b32 s16, s1
	s_cbranch_execz .LBB300_1201
; %bb.1196:                             ;   in Loop: Header=BB300_10 Depth=1
	v_and_b32_e32 v6, 0x7f, v5
	v_mov_b32_e32 v0, 0x7c01
	s_mov_b32 s17, exec_lo
	scratch_store_b32 off, v0, s32 offset:392 ; 4-byte Folded Spill
	s_wait_xcnt 0x0
	v_cmpx_ne_u32_e32 0x7f, v6
	s_cbranch_execz .LBB300_1200
; %bb.1197:                             ;   in Loop: Header=BB300_10 Depth=1
	v_dual_lshrrev_b32 v1, 3, v6 :: v_dual_bitop2_b32 v0, 7, v5 bitop3:0x40
	s_mov_b32 s18, exec_lo
	v_cmpx_gt_u32_e32 8, v6
; %bb.1198:                             ;   in Loop: Header=BB300_10 Depth=1
	s_delay_alu instid0(VALU_DEP_2) | instskip(NEXT) | instid1(VALU_DEP_1)
	v_clz_i32_u32_e32 v0, v0
	v_min_u32_e32 v6, 32, v0
	s_delay_alu instid0(VALU_DEP_1) | instskip(NEXT) | instid1(VALU_DEP_1)
	v_subrev_nc_u32_e32 v0, 28, v6
	v_lshlrev_b64_e32 v[0:1], v0, v[14:15]
	s_delay_alu instid0(VALU_DEP_1)
	v_dual_sub_nc_u32 v1, 29, v6 :: v_dual_bitop2_b32 v0, 7, v0 bitop3:0x40
; %bb.1199:                             ;   in Loop: Header=BB300_10 Depth=1
	s_or_b32 exec_lo, exec_lo, s18
	s_delay_alu instid0(VALU_DEP_1) | instskip(NEXT) | instid1(VALU_DEP_2)
	v_dual_lshlrev_b32 v6, 8, v5 :: v_dual_lshlrev_b32 v0, 7, v0
	v_lshl_add_u32 v1, v1, 10, 0x2000
	s_delay_alu instid0(VALU_DEP_2) | instskip(NEXT) | instid1(VALU_DEP_2)
	v_and_b32_e32 v6, 0x8000, v6
	v_and_b32_e32 v1, 0xfc00, v1
	s_delay_alu instid0(VALU_DEP_1)
	v_or3_b32 v0, v6, v1, v0
	scratch_store_b32 off, v0, s32 offset:392 ; 4-byte Folded Spill
.LBB300_1200:                           ;   in Loop: Header=BB300_10 Depth=1
	s_wait_xcnt 0x0
	s_or_b32 exec_lo, exec_lo, s17
.LBB300_1201:                           ;   in Loop: Header=BB300_10 Depth=1
	s_delay_alu instid0(SALU_CYCLE_1)
	s_or_b32 exec_lo, exec_lo, s16
.LBB300_1202:                           ;   in Loop: Header=BB300_10 Depth=1
	s_delay_alu instid0(SALU_CYCLE_1)
	s_or_b32 exec_lo, exec_lo, s11
	v_mov_b32_e32 v0, 0
	v_lshrrev_b16 v14, 8, v14
	s_mov_b32 s11, exec_lo
	scratch_store_b32 off, v0, s32 offset:400 ; 4-byte Folded Spill
	s_wait_xcnt 0x0
	v_mov_b32_e32 v0, 0
	scratch_store_b32 off, v0, s32 offset:404 ; 4-byte Folded Spill
	s_wait_xcnt 0x0
	v_cmpx_ne_u16_e32 0, v14
	s_cbranch_execz .LBB300_1210
; %bb.1203:                             ;   in Loop: Header=BB300_10 Depth=1
	v_bfrev_b32_e32 v0, 1
	s_mov_b32 s16, exec_lo
	scratch_store_b32 off, v0, s32 offset:404 ; 4-byte Folded Spill
	s_wait_xcnt 0x0
	v_cmpx_ne_u16_e32 0x80, v14
	s_cbranch_execz .LBB300_1209
; %bb.1204:                             ;   in Loop: Header=BB300_10 Depth=1
	v_and_b32_e32 v0, 0xffff, v14
	v_mov_b32_e32 v1, 0x7c010000
	s_mov_b32 s17, exec_lo
	s_delay_alu instid0(VALU_DEP_2)
	v_and_b32_e32 v7, 0x7f, v0
	scratch_store_b32 off, v1, s32 offset:404 ; 4-byte Folded Spill
	s_wait_xcnt 0x0
	v_cmpx_ne_u32_e32 0x7f, v7
	s_cbranch_execz .LBB300_1208
; %bb.1205:                             ;   in Loop: Header=BB300_10 Depth=1
	v_dual_lshrrev_b32 v6, 3, v7 :: v_dual_bitop2_b32 v1, 7, v0 bitop3:0x40
	s_mov_b32 s18, exec_lo
	v_cmpx_gt_u32_e32 8, v7
; %bb.1206:                             ;   in Loop: Header=BB300_10 Depth=1
	s_delay_alu instid0(VALU_DEP_2) | instskip(NEXT) | instid1(VALU_DEP_1)
	v_clz_i32_u32_e32 v1, v1
	v_min_u32_e32 v1, 32, v1
	s_delay_alu instid0(VALU_DEP_1) | instskip(NEXT) | instid1(VALU_DEP_1)
	v_subrev_nc_u32_e32 v6, 28, v1
	v_lshlrev_b64_e32 v[8:9], v6, v[14:15]
	s_delay_alu instid0(VALU_DEP_1)
	v_dual_sub_nc_u32 v6, 29, v1 :: v_dual_bitop2_b32 v1, 7, v8 bitop3:0x40
; %bb.1207:                             ;   in Loop: Header=BB300_10 Depth=1
	s_or_b32 exec_lo, exec_lo, s18
	s_delay_alu instid0(VALU_DEP_1) | instskip(NEXT) | instid1(VALU_DEP_2)
	v_dual_lshlrev_b32 v0, 8, v0 :: v_dual_lshlrev_b32 v1, 23, v1
	v_lshl_add_u32 v6, v6, 10, 0x2000
	s_delay_alu instid0(VALU_DEP_1) | instskip(NEXT) | instid1(VALU_DEP_1)
	v_and_or_b32 v0, 0x8000, v0, v6
	v_lshl_or_b32 v0, v0, 16, v1
	scratch_store_b32 off, v0, s32 offset:404 ; 4-byte Folded Spill
.LBB300_1208:                           ;   in Loop: Header=BB300_10 Depth=1
	s_wait_xcnt 0x0
	s_or_b32 exec_lo, exec_lo, s17
.LBB300_1209:                           ;   in Loop: Header=BB300_10 Depth=1
	s_delay_alu instid0(SALU_CYCLE_1)
	s_or_b32 exec_lo, exec_lo, s16
.LBB300_1210:                           ;   in Loop: Header=BB300_10 Depth=1
	s_delay_alu instid0(SALU_CYCLE_1) | instskip(SKIP_2) | instid1(VALU_DEP_1)
	s_or_b32 exec_lo, exec_lo, s11
	v_lshrrev_b32_e32 v8, 16, v5
	s_mov_b32 s11, exec_lo
	v_and_b32_e32 v0, 0xff, v8
	s_delay_alu instid0(VALU_DEP_1)
	v_cmpx_ne_u16_e32 0, v0
	s_cbranch_execz .LBB300_1218
; %bb.1211:                             ;   in Loop: Header=BB300_10 Depth=1
	v_cmp_ne_u16_e64 s1, 0x80, v0
	v_mov_b32_e32 v0, 0x8000
	scratch_store_b32 off, v0, s32 offset:400 ; 4-byte Folded Spill
	s_wait_xcnt 0x0
	s_and_saveexec_b32 s16, s1
	s_cbranch_execz .LBB300_1217
; %bb.1212:                             ;   in Loop: Header=BB300_10 Depth=1
	v_bfe_u32 v6, v5, 16, 7
	v_mov_b32_e32 v0, 0x7c01
	s_mov_b32 s17, exec_lo
	scratch_store_b32 off, v0, s32 offset:400 ; 4-byte Folded Spill
	s_wait_xcnt 0x0
	v_cmpx_ne_u32_e32 0x7f, v6
	s_cbranch_execz .LBB300_1216
; %bb.1213:                             ;   in Loop: Header=BB300_10 Depth=1
	v_dual_lshrrev_b32 v1, 3, v6 :: v_dual_bitop2_b32 v0, 7, v8 bitop3:0x40
	s_mov_b32 s18, exec_lo
	v_cmpx_gt_u32_e32 8, v6
; %bb.1214:                             ;   in Loop: Header=BB300_10 Depth=1
	s_delay_alu instid0(VALU_DEP_2) | instskip(NEXT) | instid1(VALU_DEP_1)
	v_clz_i32_u32_e32 v0, v0
	v_min_u32_e32 v6, 32, v0
	s_delay_alu instid0(VALU_DEP_1) | instskip(NEXT) | instid1(VALU_DEP_1)
	v_subrev_nc_u32_e32 v0, 28, v6
	v_lshlrev_b64_e32 v[0:1], v0, v[8:9]
	s_delay_alu instid0(VALU_DEP_1)
	v_dual_sub_nc_u32 v1, 29, v6 :: v_dual_bitop2_b32 v0, 7, v0 bitop3:0x40
; %bb.1215:                             ;   in Loop: Header=BB300_10 Depth=1
	s_or_b32 exec_lo, exec_lo, s18
	v_lshlrev_b32_e32 v6, 8, v8
	s_delay_alu instid0(VALU_DEP_2) | instskip(NEXT) | instid1(VALU_DEP_3)
	v_lshl_add_u32 v1, v1, 10, 0x2000
	v_lshlrev_b32_e32 v0, 7, v0
	s_delay_alu instid0(VALU_DEP_3) | instskip(NEXT) | instid1(VALU_DEP_3)
	v_and_b32_e32 v6, 0x8000, v6
	v_and_b32_e32 v1, 0xfc00, v1
	s_delay_alu instid0(VALU_DEP_1)
	v_or3_b32 v0, v6, v1, v0
	scratch_store_b32 off, v0, s32 offset:400 ; 4-byte Folded Spill
.LBB300_1216:                           ;   in Loop: Header=BB300_10 Depth=1
	s_wait_xcnt 0x0
	s_or_b32 exec_lo, exec_lo, s17
.LBB300_1217:                           ;   in Loop: Header=BB300_10 Depth=1
	s_delay_alu instid0(SALU_CYCLE_1)
	s_or_b32 exec_lo, exec_lo, s16
.LBB300_1218:                           ;   in Loop: Header=BB300_10 Depth=1
	s_delay_alu instid0(SALU_CYCLE_1)
	s_or_b32 exec_lo, exec_lo, s11
	v_mov_b32_e32 v0, 0
	s_mov_b32 s11, exec_lo
	scratch_store_b32 off, v0, s32 offset:408 ; 4-byte Folded Spill
	s_wait_xcnt 0x0
	v_mov_b32_e32 v0, 0
	scratch_store_b32 off, v0, s32 offset:544 ; 4-byte Folded Spill
	s_wait_xcnt 0x0
	v_cmpx_lt_u64_e64 s[2:3], v[4:5]
	s_cbranch_execz .LBB300_1226
; %bb.1219:                             ;   in Loop: Header=BB300_10 Depth=1
	v_lshrrev_b32_e32 v14, 24, v5
	v_bfrev_b32_e32 v0, 1
	s_mov_b32 s16, exec_lo
	s_delay_alu instid0(VALU_DEP_2)
	v_cmpx_ne_u32_e32 0x80, v14
	s_cbranch_execz .LBB300_1225
; %bb.1220:                             ;   in Loop: Header=BB300_10 Depth=1
	v_and_b32_e32 v4, 0x7f, v14
	v_mov_b32_e32 v0, 0x7c010000
	s_mov_b32 s17, exec_lo
	s_delay_alu instid0(VALU_DEP_2)
	v_cmpx_ne_u32_e32 0x7f, v4
	s_cbranch_execz .LBB300_1224
; %bb.1221:                             ;   in Loop: Header=BB300_10 Depth=1
	v_dual_lshrrev_b32 v1, 3, v4 :: v_dual_bitop2_b32 v0, 7, v14 bitop3:0x40
	s_mov_b32 s18, exec_lo
	v_cmpx_gt_u32_e32 8, v4
; %bb.1222:                             ;   in Loop: Header=BB300_10 Depth=1
	s_delay_alu instid0(VALU_DEP_2) | instskip(NEXT) | instid1(VALU_DEP_1)
	v_clz_i32_u32_e32 v0, v0
	v_min_u32_e32 v4, 32, v0
	s_delay_alu instid0(VALU_DEP_1) | instskip(NEXT) | instid1(VALU_DEP_1)
	v_subrev_nc_u32_e32 v0, 28, v4
	v_lshlrev_b64_e32 v[0:1], v0, v[14:15]
	v_sub_nc_u32_e32 v1, 29, v4
	s_delay_alu instid0(VALU_DEP_2)
	v_and_b32_e32 v0, 7, v0
; %bb.1223:                             ;   in Loop: Header=BB300_10 Depth=1
	s_or_b32 exec_lo, exec_lo, s18
	s_delay_alu instid0(VALU_DEP_1) | instskip(NEXT) | instid1(VALU_DEP_3)
	v_dual_lshlrev_b32 v4, 8, v14 :: v_dual_lshlrev_b32 v0, 23, v0
	v_lshl_add_u32 v1, v1, 10, 0x2000
	s_delay_alu instid0(VALU_DEP_1) | instskip(NEXT) | instid1(VALU_DEP_1)
	v_and_or_b32 v1, 0x8000, v4, v1
	v_lshl_or_b32 v0, v1, 16, v0
.LBB300_1224:                           ;   in Loop: Header=BB300_10 Depth=1
	s_or_b32 exec_lo, exec_lo, s17
.LBB300_1225:                           ;   in Loop: Header=BB300_10 Depth=1
	s_delay_alu instid0(SALU_CYCLE_1)
	s_or_b32 exec_lo, exec_lo, s16
	scratch_store_b32 off, v0, s32 offset:544 ; 4-byte Folded Spill
.LBB300_1226:                           ;   in Loop: Header=BB300_10 Depth=1
	s_wait_xcnt 0x0
	s_or_b32 exec_lo, exec_lo, s11
	flat_load_b64 v[4:5], v[2:3] offset:4616
	s_mov_b32 s11, exec_lo
	s_wait_loadcnt_dscnt 0x0
	v_and_b32_e32 v0, 0xff, v4
	s_wait_xcnt 0x0
	s_delay_alu instid0(VALU_DEP_1)
	v_cmpx_ne_u16_e32 0, v0
	s_cbranch_execz .LBB300_1234
; %bb.1227:                             ;   in Loop: Header=BB300_10 Depth=1
	v_cmp_ne_u16_e64 s1, 0x80, v0
	v_mov_b32_e32 v0, 0x8000
	scratch_store_b32 off, v0, s32 offset:408 ; 4-byte Folded Spill
	s_wait_xcnt 0x0
	s_and_saveexec_b32 s16, s1
	s_cbranch_execz .LBB300_1233
; %bb.1228:                             ;   in Loop: Header=BB300_10 Depth=1
	v_and_b32_e32 v6, 0x7f, v4
	v_mov_b32_e32 v0, 0x7c01
	s_mov_b32 s17, exec_lo
	scratch_store_b32 off, v0, s32 offset:408 ; 4-byte Folded Spill
	s_wait_xcnt 0x0
	v_cmpx_ne_u32_e32 0x7f, v6
	s_cbranch_execz .LBB300_1232
; %bb.1229:                             ;   in Loop: Header=BB300_10 Depth=1
	v_dual_lshrrev_b32 v1, 3, v6 :: v_dual_bitop2_b32 v0, 7, v4 bitop3:0x40
	s_mov_b32 s18, exec_lo
	v_cmpx_gt_u32_e32 8, v6
; %bb.1230:                             ;   in Loop: Header=BB300_10 Depth=1
	s_delay_alu instid0(VALU_DEP_2) | instskip(NEXT) | instid1(VALU_DEP_1)
	v_clz_i32_u32_e32 v0, v0
	v_min_u32_e32 v6, 32, v0
	s_delay_alu instid0(VALU_DEP_1) | instskip(NEXT) | instid1(VALU_DEP_1)
	v_subrev_nc_u32_e32 v0, 28, v6
	v_lshlrev_b64_e32 v[0:1], v0, v[4:5]
	s_delay_alu instid0(VALU_DEP_1)
	v_dual_sub_nc_u32 v1, 29, v6 :: v_dual_bitop2_b32 v0, 7, v0 bitop3:0x40
; %bb.1231:                             ;   in Loop: Header=BB300_10 Depth=1
	s_or_b32 exec_lo, exec_lo, s18
	v_lshlrev_b32_e32 v6, 8, v4
	s_delay_alu instid0(VALU_DEP_2) | instskip(NEXT) | instid1(VALU_DEP_3)
	v_lshl_add_u32 v1, v1, 10, 0x2000
	v_lshlrev_b32_e32 v0, 7, v0
	s_delay_alu instid0(VALU_DEP_3) | instskip(NEXT) | instid1(VALU_DEP_3)
	v_and_b32_e32 v6, 0x8000, v6
	v_and_b32_e32 v1, 0xfc00, v1
	s_delay_alu instid0(VALU_DEP_1)
	v_or3_b32 v0, v6, v1, v0
	scratch_store_b32 off, v0, s32 offset:408 ; 4-byte Folded Spill
.LBB300_1232:                           ;   in Loop: Header=BB300_10 Depth=1
	s_wait_xcnt 0x0
	s_or_b32 exec_lo, exec_lo, s17
.LBB300_1233:                           ;   in Loop: Header=BB300_10 Depth=1
	s_delay_alu instid0(SALU_CYCLE_1)
	s_or_b32 exec_lo, exec_lo, s16
.LBB300_1234:                           ;   in Loop: Header=BB300_10 Depth=1
	s_delay_alu instid0(SALU_CYCLE_1)
	s_or_b32 exec_lo, exec_lo, s11
	v_mov_b32_e32 v0, 0
	v_lshrrev_b16 v14, 8, v4
	s_mov_b32 s11, exec_lo
	scratch_store_b32 off, v0, s32 offset:412 ; 4-byte Folded Spill
	s_wait_xcnt 0x0
	v_mov_b32_e32 v0, 0
	scratch_store_b32 off, v0, s32 offset:416 ; 4-byte Folded Spill
	s_wait_xcnt 0x0
	v_cmpx_ne_u16_e32 0, v14
	s_cbranch_execz .LBB300_1242
; %bb.1235:                             ;   in Loop: Header=BB300_10 Depth=1
	v_bfrev_b32_e32 v0, 1
	s_mov_b32 s16, exec_lo
	scratch_store_b32 off, v0, s32 offset:416 ; 4-byte Folded Spill
	s_wait_xcnt 0x0
	v_cmpx_ne_u16_e32 0x80, v14
	s_cbranch_execz .LBB300_1241
; %bb.1236:                             ;   in Loop: Header=BB300_10 Depth=1
	v_and_b32_e32 v0, 0xffff, v14
	v_mov_b32_e32 v1, 0x7c010000
	s_mov_b32 s17, exec_lo
	s_delay_alu instid0(VALU_DEP_2)
	v_and_b32_e32 v7, 0x7f, v0
	scratch_store_b32 off, v1, s32 offset:416 ; 4-byte Folded Spill
	s_wait_xcnt 0x0
	v_cmpx_ne_u32_e32 0x7f, v7
	s_cbranch_execz .LBB300_1240
; %bb.1237:                             ;   in Loop: Header=BB300_10 Depth=1
	v_dual_lshrrev_b32 v6, 3, v7 :: v_dual_bitop2_b32 v1, 7, v0 bitop3:0x40
	s_mov_b32 s18, exec_lo
	v_cmpx_gt_u32_e32 8, v7
; %bb.1238:                             ;   in Loop: Header=BB300_10 Depth=1
	s_delay_alu instid0(VALU_DEP_2) | instskip(NEXT) | instid1(VALU_DEP_1)
	v_clz_i32_u32_e32 v1, v1
	v_min_u32_e32 v1, 32, v1
	s_delay_alu instid0(VALU_DEP_1) | instskip(NEXT) | instid1(VALU_DEP_1)
	v_subrev_nc_u32_e32 v6, 28, v1
	v_lshlrev_b64_e32 v[8:9], v6, v[14:15]
	s_delay_alu instid0(VALU_DEP_1)
	v_dual_sub_nc_u32 v6, 29, v1 :: v_dual_bitop2_b32 v1, 7, v8 bitop3:0x40
; %bb.1239:                             ;   in Loop: Header=BB300_10 Depth=1
	s_or_b32 exec_lo, exec_lo, s18
	s_delay_alu instid0(VALU_DEP_1) | instskip(NEXT) | instid1(VALU_DEP_2)
	v_dual_lshlrev_b32 v0, 8, v0 :: v_dual_lshlrev_b32 v1, 23, v1
	v_lshl_add_u32 v6, v6, 10, 0x2000
	s_delay_alu instid0(VALU_DEP_1) | instskip(NEXT) | instid1(VALU_DEP_1)
	v_and_or_b32 v0, 0x8000, v0, v6
	v_lshl_or_b32 v0, v0, 16, v1
	scratch_store_b32 off, v0, s32 offset:416 ; 4-byte Folded Spill
.LBB300_1240:                           ;   in Loop: Header=BB300_10 Depth=1
	s_wait_xcnt 0x0
	s_or_b32 exec_lo, exec_lo, s17
.LBB300_1241:                           ;   in Loop: Header=BB300_10 Depth=1
	s_delay_alu instid0(SALU_CYCLE_1)
	s_or_b32 exec_lo, exec_lo, s16
.LBB300_1242:                           ;   in Loop: Header=BB300_10 Depth=1
	s_delay_alu instid0(SALU_CYCLE_1) | instskip(SKIP_2) | instid1(VALU_DEP_1)
	s_or_b32 exec_lo, exec_lo, s11
	v_lshrrev_b32_e32 v8, 16, v4
	s_mov_b32 s11, exec_lo
	v_and_b32_e32 v0, 0xff, v8
	s_delay_alu instid0(VALU_DEP_1)
	v_cmpx_ne_u16_e32 0, v0
	s_cbranch_execz .LBB300_1250
; %bb.1243:                             ;   in Loop: Header=BB300_10 Depth=1
	v_cmp_ne_u16_e64 s1, 0x80, v0
	v_mov_b32_e32 v0, 0x8000
	scratch_store_b32 off, v0, s32 offset:412 ; 4-byte Folded Spill
	s_wait_xcnt 0x0
	s_and_saveexec_b32 s16, s1
	s_cbranch_execz .LBB300_1249
; %bb.1244:                             ;   in Loop: Header=BB300_10 Depth=1
	v_bfe_u32 v6, v4, 16, 7
	v_mov_b32_e32 v0, 0x7c01
	s_mov_b32 s17, exec_lo
	scratch_store_b32 off, v0, s32 offset:412 ; 4-byte Folded Spill
	s_wait_xcnt 0x0
	v_cmpx_ne_u32_e32 0x7f, v6
	s_cbranch_execz .LBB300_1248
; %bb.1245:                             ;   in Loop: Header=BB300_10 Depth=1
	v_dual_lshrrev_b32 v1, 3, v6 :: v_dual_bitop2_b32 v0, 7, v8 bitop3:0x40
	s_mov_b32 s18, exec_lo
	v_cmpx_gt_u32_e32 8, v6
; %bb.1246:                             ;   in Loop: Header=BB300_10 Depth=1
	s_delay_alu instid0(VALU_DEP_2) | instskip(NEXT) | instid1(VALU_DEP_1)
	v_clz_i32_u32_e32 v0, v0
	v_min_u32_e32 v6, 32, v0
	s_delay_alu instid0(VALU_DEP_1) | instskip(NEXT) | instid1(VALU_DEP_1)
	v_subrev_nc_u32_e32 v0, 28, v6
	v_lshlrev_b64_e32 v[0:1], v0, v[8:9]
	s_delay_alu instid0(VALU_DEP_1)
	v_dual_sub_nc_u32 v1, 29, v6 :: v_dual_bitop2_b32 v0, 7, v0 bitop3:0x40
; %bb.1247:                             ;   in Loop: Header=BB300_10 Depth=1
	s_or_b32 exec_lo, exec_lo, s18
	v_lshlrev_b32_e32 v6, 8, v8
	s_delay_alu instid0(VALU_DEP_2) | instskip(NEXT) | instid1(VALU_DEP_3)
	v_lshl_add_u32 v1, v1, 10, 0x2000
	v_lshlrev_b32_e32 v0, 7, v0
	s_delay_alu instid0(VALU_DEP_3) | instskip(NEXT) | instid1(VALU_DEP_3)
	v_and_b32_e32 v6, 0x8000, v6
	v_and_b32_e32 v1, 0xfc00, v1
	s_delay_alu instid0(VALU_DEP_1)
	v_or3_b32 v0, v6, v1, v0
	scratch_store_b32 off, v0, s32 offset:412 ; 4-byte Folded Spill
.LBB300_1248:                           ;   in Loop: Header=BB300_10 Depth=1
	s_wait_xcnt 0x0
	s_or_b32 exec_lo, exec_lo, s17
.LBB300_1249:                           ;   in Loop: Header=BB300_10 Depth=1
	s_delay_alu instid0(SALU_CYCLE_1)
	s_or_b32 exec_lo, exec_lo, s16
.LBB300_1250:                           ;   in Loop: Header=BB300_10 Depth=1
	s_delay_alu instid0(SALU_CYCLE_1)
	s_or_b32 exec_lo, exec_lo, s11
	v_mov_b32_e32 v0, 0
	s_mov_b32 s11, exec_lo
	scratch_store_b32 off, v0, s32 offset:420 ; 4-byte Folded Spill
	s_wait_xcnt 0x0
	v_mov_b32_e32 v0, 0
	scratch_store_b32 off, v0, s32 offset:424 ; 4-byte Folded Spill
	s_wait_xcnt 0x0
	v_cmpx_lt_u32_e32 0xffffff, v4
	s_cbranch_execz .LBB300_1258
; %bb.1251:                             ;   in Loop: Header=BB300_10 Depth=1
	v_lshrrev_b32_e32 v14, 24, v4
	v_bfrev_b32_e32 v0, 1
	s_mov_b32 s16, exec_lo
	scratch_store_b32 off, v0, s32 offset:424 ; 4-byte Folded Spill
	s_wait_xcnt 0x0
	v_cmpx_ne_u32_e32 0x80, v14
	s_cbranch_execz .LBB300_1257
; %bb.1252:                             ;   in Loop: Header=BB300_10 Depth=1
	v_and_b32_e32 v6, 0x7f, v14
	v_mov_b32_e32 v0, 0x7c010000
	s_mov_b32 s17, exec_lo
	scratch_store_b32 off, v0, s32 offset:424 ; 4-byte Folded Spill
	s_wait_xcnt 0x0
	v_cmpx_ne_u32_e32 0x7f, v6
	s_cbranch_execz .LBB300_1256
; %bb.1253:                             ;   in Loop: Header=BB300_10 Depth=1
	v_and_b32_e32 v0, 7, v14
	v_lshrrev_b32_e32 v1, 3, v6
	s_mov_b32 s18, exec_lo
	v_cmpx_gt_u32_e32 8, v6
; %bb.1254:                             ;   in Loop: Header=BB300_10 Depth=1
	s_delay_alu instid0(VALU_DEP_3) | instskip(NEXT) | instid1(VALU_DEP_1)
	v_clz_i32_u32_e32 v0, v0
	v_min_u32_e32 v6, 32, v0
	s_delay_alu instid0(VALU_DEP_1) | instskip(NEXT) | instid1(VALU_DEP_1)
	v_subrev_nc_u32_e32 v0, 28, v6
	v_lshlrev_b64_e32 v[0:1], v0, v[14:15]
	s_delay_alu instid0(VALU_DEP_1)
	v_dual_sub_nc_u32 v1, 29, v6 :: v_dual_bitop2_b32 v0, 7, v0 bitop3:0x40
; %bb.1255:                             ;   in Loop: Header=BB300_10 Depth=1
	s_or_b32 exec_lo, exec_lo, s18
	s_delay_alu instid0(VALU_DEP_1) | instskip(NEXT) | instid1(VALU_DEP_2)
	v_dual_lshlrev_b32 v6, 8, v14 :: v_dual_lshlrev_b32 v0, 23, v0
	v_lshl_add_u32 v1, v1, 10, 0x2000
	s_delay_alu instid0(VALU_DEP_1) | instskip(NEXT) | instid1(VALU_DEP_1)
	v_and_or_b32 v1, 0x8000, v6, v1
	v_lshl_or_b32 v0, v1, 16, v0
	scratch_store_b32 off, v0, s32 offset:424 ; 4-byte Folded Spill
.LBB300_1256:                           ;   in Loop: Header=BB300_10 Depth=1
	s_wait_xcnt 0x0
	s_or_b32 exec_lo, exec_lo, s17
.LBB300_1257:                           ;   in Loop: Header=BB300_10 Depth=1
	s_delay_alu instid0(SALU_CYCLE_1)
	s_or_b32 exec_lo, exec_lo, s16
.LBB300_1258:                           ;   in Loop: Header=BB300_10 Depth=1
	s_delay_alu instid0(SALU_CYCLE_1) | instskip(SKIP_3) | instid1(VALU_DEP_2)
	s_or_b32 exec_lo, exec_lo, s11
	v_and_b32_e32 v0, 0xff, v5
	v_mov_b32_e32 v14, v5
	s_mov_b32 s11, exec_lo
	v_cmpx_ne_u16_e32 0, v0
	s_cbranch_execz .LBB300_1266
; %bb.1259:                             ;   in Loop: Header=BB300_10 Depth=1
	v_cmp_ne_u16_e64 s1, 0x80, v0
	v_mov_b32_e32 v0, 0x8000
	scratch_store_b32 off, v0, s32 offset:420 ; 4-byte Folded Spill
	s_wait_xcnt 0x0
	s_and_saveexec_b32 s16, s1
	s_cbranch_execz .LBB300_1265
; %bb.1260:                             ;   in Loop: Header=BB300_10 Depth=1
	v_and_b32_e32 v6, 0x7f, v5
	v_mov_b32_e32 v0, 0x7c01
	s_mov_b32 s17, exec_lo
	scratch_store_b32 off, v0, s32 offset:420 ; 4-byte Folded Spill
	s_wait_xcnt 0x0
	v_cmpx_ne_u32_e32 0x7f, v6
	s_cbranch_execz .LBB300_1264
; %bb.1261:                             ;   in Loop: Header=BB300_10 Depth=1
	v_dual_lshrrev_b32 v1, 3, v6 :: v_dual_bitop2_b32 v0, 7, v5 bitop3:0x40
	s_mov_b32 s18, exec_lo
	v_cmpx_gt_u32_e32 8, v6
; %bb.1262:                             ;   in Loop: Header=BB300_10 Depth=1
	s_delay_alu instid0(VALU_DEP_2) | instskip(NEXT) | instid1(VALU_DEP_1)
	v_clz_i32_u32_e32 v0, v0
	v_min_u32_e32 v6, 32, v0
	s_delay_alu instid0(VALU_DEP_1) | instskip(NEXT) | instid1(VALU_DEP_1)
	v_subrev_nc_u32_e32 v0, 28, v6
	v_lshlrev_b64_e32 v[0:1], v0, v[14:15]
	s_delay_alu instid0(VALU_DEP_1)
	v_dual_sub_nc_u32 v1, 29, v6 :: v_dual_bitop2_b32 v0, 7, v0 bitop3:0x40
; %bb.1263:                             ;   in Loop: Header=BB300_10 Depth=1
	s_or_b32 exec_lo, exec_lo, s18
	s_delay_alu instid0(VALU_DEP_1) | instskip(NEXT) | instid1(VALU_DEP_2)
	v_dual_lshlrev_b32 v6, 8, v5 :: v_dual_lshlrev_b32 v0, 7, v0
	v_lshl_add_u32 v1, v1, 10, 0x2000
	s_delay_alu instid0(VALU_DEP_2) | instskip(NEXT) | instid1(VALU_DEP_2)
	v_and_b32_e32 v6, 0x8000, v6
	v_and_b32_e32 v1, 0xfc00, v1
	s_delay_alu instid0(VALU_DEP_1)
	v_or3_b32 v0, v6, v1, v0
	scratch_store_b32 off, v0, s32 offset:420 ; 4-byte Folded Spill
.LBB300_1264:                           ;   in Loop: Header=BB300_10 Depth=1
	s_wait_xcnt 0x0
	s_or_b32 exec_lo, exec_lo, s17
.LBB300_1265:                           ;   in Loop: Header=BB300_10 Depth=1
	s_delay_alu instid0(SALU_CYCLE_1)
	s_or_b32 exec_lo, exec_lo, s16
.LBB300_1266:                           ;   in Loop: Header=BB300_10 Depth=1
	s_delay_alu instid0(SALU_CYCLE_1)
	s_or_b32 exec_lo, exec_lo, s11
	v_mov_b32_e32 v0, 0
	v_lshrrev_b16 v14, 8, v14
	s_mov_b32 s11, exec_lo
	scratch_store_b32 off, v0, s32 offset:428 ; 4-byte Folded Spill
	s_wait_xcnt 0x0
	v_mov_b32_e32 v0, 0
	scratch_store_b32 off, v0, s32 offset:432 ; 4-byte Folded Spill
	s_wait_xcnt 0x0
	v_cmpx_ne_u16_e32 0, v14
	s_cbranch_execz .LBB300_1274
; %bb.1267:                             ;   in Loop: Header=BB300_10 Depth=1
	v_bfrev_b32_e32 v0, 1
	s_mov_b32 s16, exec_lo
	scratch_store_b32 off, v0, s32 offset:432 ; 4-byte Folded Spill
	s_wait_xcnt 0x0
	v_cmpx_ne_u16_e32 0x80, v14
	s_cbranch_execz .LBB300_1273
; %bb.1268:                             ;   in Loop: Header=BB300_10 Depth=1
	v_and_b32_e32 v0, 0xffff, v14
	v_mov_b32_e32 v1, 0x7c010000
	s_mov_b32 s17, exec_lo
	s_delay_alu instid0(VALU_DEP_2)
	v_and_b32_e32 v7, 0x7f, v0
	scratch_store_b32 off, v1, s32 offset:432 ; 4-byte Folded Spill
	s_wait_xcnt 0x0
	v_cmpx_ne_u32_e32 0x7f, v7
	s_cbranch_execz .LBB300_1272
; %bb.1269:                             ;   in Loop: Header=BB300_10 Depth=1
	v_dual_lshrrev_b32 v6, 3, v7 :: v_dual_bitop2_b32 v1, 7, v0 bitop3:0x40
	s_mov_b32 s18, exec_lo
	v_cmpx_gt_u32_e32 8, v7
; %bb.1270:                             ;   in Loop: Header=BB300_10 Depth=1
	s_delay_alu instid0(VALU_DEP_2) | instskip(NEXT) | instid1(VALU_DEP_1)
	v_clz_i32_u32_e32 v1, v1
	v_min_u32_e32 v1, 32, v1
	s_delay_alu instid0(VALU_DEP_1) | instskip(NEXT) | instid1(VALU_DEP_1)
	v_subrev_nc_u32_e32 v6, 28, v1
	v_lshlrev_b64_e32 v[8:9], v6, v[14:15]
	s_delay_alu instid0(VALU_DEP_1)
	v_dual_sub_nc_u32 v6, 29, v1 :: v_dual_bitop2_b32 v1, 7, v8 bitop3:0x40
; %bb.1271:                             ;   in Loop: Header=BB300_10 Depth=1
	s_or_b32 exec_lo, exec_lo, s18
	s_delay_alu instid0(VALU_DEP_1) | instskip(NEXT) | instid1(VALU_DEP_2)
	v_dual_lshlrev_b32 v0, 8, v0 :: v_dual_lshlrev_b32 v1, 23, v1
	v_lshl_add_u32 v6, v6, 10, 0x2000
	s_delay_alu instid0(VALU_DEP_1) | instskip(NEXT) | instid1(VALU_DEP_1)
	v_and_or_b32 v0, 0x8000, v0, v6
	v_lshl_or_b32 v0, v0, 16, v1
	scratch_store_b32 off, v0, s32 offset:432 ; 4-byte Folded Spill
.LBB300_1272:                           ;   in Loop: Header=BB300_10 Depth=1
	s_wait_xcnt 0x0
	s_or_b32 exec_lo, exec_lo, s17
.LBB300_1273:                           ;   in Loop: Header=BB300_10 Depth=1
	s_delay_alu instid0(SALU_CYCLE_1)
	s_or_b32 exec_lo, exec_lo, s16
.LBB300_1274:                           ;   in Loop: Header=BB300_10 Depth=1
	s_delay_alu instid0(SALU_CYCLE_1) | instskip(SKIP_2) | instid1(VALU_DEP_1)
	s_or_b32 exec_lo, exec_lo, s11
	v_lshrrev_b32_e32 v8, 16, v5
	s_mov_b32 s11, exec_lo
	v_and_b32_e32 v0, 0xff, v8
	s_delay_alu instid0(VALU_DEP_1)
	v_cmpx_ne_u16_e32 0, v0
	s_cbranch_execz .LBB300_1282
; %bb.1275:                             ;   in Loop: Header=BB300_10 Depth=1
	v_cmp_ne_u16_e64 s1, 0x80, v0
	v_mov_b32_e32 v0, 0x8000
	scratch_store_b32 off, v0, s32 offset:428 ; 4-byte Folded Spill
	s_wait_xcnt 0x0
	s_and_saveexec_b32 s16, s1
	s_cbranch_execz .LBB300_1281
; %bb.1276:                             ;   in Loop: Header=BB300_10 Depth=1
	v_bfe_u32 v6, v5, 16, 7
	v_mov_b32_e32 v0, 0x7c01
	s_mov_b32 s17, exec_lo
	scratch_store_b32 off, v0, s32 offset:428 ; 4-byte Folded Spill
	s_wait_xcnt 0x0
	v_cmpx_ne_u32_e32 0x7f, v6
	s_cbranch_execz .LBB300_1280
; %bb.1277:                             ;   in Loop: Header=BB300_10 Depth=1
	v_dual_lshrrev_b32 v1, 3, v6 :: v_dual_bitop2_b32 v0, 7, v8 bitop3:0x40
	s_mov_b32 s18, exec_lo
	v_cmpx_gt_u32_e32 8, v6
; %bb.1278:                             ;   in Loop: Header=BB300_10 Depth=1
	s_delay_alu instid0(VALU_DEP_2) | instskip(NEXT) | instid1(VALU_DEP_1)
	v_clz_i32_u32_e32 v0, v0
	v_min_u32_e32 v6, 32, v0
	s_delay_alu instid0(VALU_DEP_1) | instskip(NEXT) | instid1(VALU_DEP_1)
	v_subrev_nc_u32_e32 v0, 28, v6
	v_lshlrev_b64_e32 v[0:1], v0, v[8:9]
	s_delay_alu instid0(VALU_DEP_1)
	v_dual_sub_nc_u32 v1, 29, v6 :: v_dual_bitop2_b32 v0, 7, v0 bitop3:0x40
; %bb.1279:                             ;   in Loop: Header=BB300_10 Depth=1
	s_or_b32 exec_lo, exec_lo, s18
	v_lshlrev_b32_e32 v6, 8, v8
	s_delay_alu instid0(VALU_DEP_2) | instskip(NEXT) | instid1(VALU_DEP_3)
	v_lshl_add_u32 v1, v1, 10, 0x2000
	v_lshlrev_b32_e32 v0, 7, v0
	s_delay_alu instid0(VALU_DEP_3) | instskip(NEXT) | instid1(VALU_DEP_3)
	v_and_b32_e32 v6, 0x8000, v6
	v_and_b32_e32 v1, 0xfc00, v1
	s_delay_alu instid0(VALU_DEP_1)
	v_or3_b32 v0, v6, v1, v0
	scratch_store_b32 off, v0, s32 offset:428 ; 4-byte Folded Spill
.LBB300_1280:                           ;   in Loop: Header=BB300_10 Depth=1
	s_wait_xcnt 0x0
	s_or_b32 exec_lo, exec_lo, s17
.LBB300_1281:                           ;   in Loop: Header=BB300_10 Depth=1
	s_delay_alu instid0(SALU_CYCLE_1)
	s_or_b32 exec_lo, exec_lo, s16
.LBB300_1282:                           ;   in Loop: Header=BB300_10 Depth=1
	s_delay_alu instid0(SALU_CYCLE_1)
	s_or_b32 exec_lo, exec_lo, s11
	v_mov_b32_e32 v0, 0
	s_mov_b32 s11, exec_lo
	scratch_store_b32 off, v0, s32 offset:436 ; 4-byte Folded Spill
	s_wait_xcnt 0x0
	v_mov_b32_e32 v0, 0
	scratch_store_b32 off, v0, s32 offset:548 ; 4-byte Folded Spill
	s_wait_xcnt 0x0
	v_cmpx_lt_u64_e64 s[2:3], v[4:5]
	s_cbranch_execz .LBB300_1290
; %bb.1283:                             ;   in Loop: Header=BB300_10 Depth=1
	v_lshrrev_b32_e32 v14, 24, v5
	v_bfrev_b32_e32 v0, 1
	s_mov_b32 s16, exec_lo
	s_delay_alu instid0(VALU_DEP_2)
	v_cmpx_ne_u32_e32 0x80, v14
	s_cbranch_execz .LBB300_1289
; %bb.1284:                             ;   in Loop: Header=BB300_10 Depth=1
	v_and_b32_e32 v4, 0x7f, v14
	v_mov_b32_e32 v0, 0x7c010000
	s_mov_b32 s17, exec_lo
	s_delay_alu instid0(VALU_DEP_2)
	v_cmpx_ne_u32_e32 0x7f, v4
	s_cbranch_execz .LBB300_1288
; %bb.1285:                             ;   in Loop: Header=BB300_10 Depth=1
	v_dual_lshrrev_b32 v1, 3, v4 :: v_dual_bitop2_b32 v0, 7, v14 bitop3:0x40
	s_mov_b32 s18, exec_lo
	v_cmpx_gt_u32_e32 8, v4
; %bb.1286:                             ;   in Loop: Header=BB300_10 Depth=1
	s_delay_alu instid0(VALU_DEP_2) | instskip(NEXT) | instid1(VALU_DEP_1)
	v_clz_i32_u32_e32 v0, v0
	v_min_u32_e32 v4, 32, v0
	s_delay_alu instid0(VALU_DEP_1) | instskip(NEXT) | instid1(VALU_DEP_1)
	v_subrev_nc_u32_e32 v0, 28, v4
	v_lshlrev_b64_e32 v[0:1], v0, v[14:15]
	v_sub_nc_u32_e32 v1, 29, v4
	s_delay_alu instid0(VALU_DEP_2)
	v_and_b32_e32 v0, 7, v0
; %bb.1287:                             ;   in Loop: Header=BB300_10 Depth=1
	s_or_b32 exec_lo, exec_lo, s18
	s_delay_alu instid0(VALU_DEP_1) | instskip(NEXT) | instid1(VALU_DEP_3)
	v_dual_lshlrev_b32 v4, 8, v14 :: v_dual_lshlrev_b32 v0, 23, v0
	v_lshl_add_u32 v1, v1, 10, 0x2000
	s_delay_alu instid0(VALU_DEP_1) | instskip(NEXT) | instid1(VALU_DEP_1)
	v_and_or_b32 v1, 0x8000, v4, v1
	v_lshl_or_b32 v0, v1, 16, v0
.LBB300_1288:                           ;   in Loop: Header=BB300_10 Depth=1
	s_or_b32 exec_lo, exec_lo, s17
.LBB300_1289:                           ;   in Loop: Header=BB300_10 Depth=1
	s_delay_alu instid0(SALU_CYCLE_1)
	s_or_b32 exec_lo, exec_lo, s16
	scratch_store_b32 off, v0, s32 offset:548 ; 4-byte Folded Spill
.LBB300_1290:                           ;   in Loop: Header=BB300_10 Depth=1
	s_wait_xcnt 0x0
	s_or_b32 exec_lo, exec_lo, s11
	flat_load_b64 v[4:5], v[2:3] offset:5120
	s_mov_b32 s11, exec_lo
	s_wait_loadcnt_dscnt 0x0
	v_and_b32_e32 v0, 0xff, v4
	s_wait_xcnt 0x0
	s_delay_alu instid0(VALU_DEP_1)
	v_cmpx_ne_u16_e32 0, v0
	s_cbranch_execz .LBB300_1298
; %bb.1291:                             ;   in Loop: Header=BB300_10 Depth=1
	v_cmp_ne_u16_e64 s1, 0x80, v0
	v_mov_b32_e32 v0, 0x8000
	scratch_store_b32 off, v0, s32 offset:436 ; 4-byte Folded Spill
	s_wait_xcnt 0x0
	s_and_saveexec_b32 s16, s1
	s_cbranch_execz .LBB300_1297
; %bb.1292:                             ;   in Loop: Header=BB300_10 Depth=1
	v_and_b32_e32 v6, 0x7f, v4
	v_mov_b32_e32 v0, 0x7c01
	s_mov_b32 s17, exec_lo
	scratch_store_b32 off, v0, s32 offset:436 ; 4-byte Folded Spill
	s_wait_xcnt 0x0
	v_cmpx_ne_u32_e32 0x7f, v6
	s_cbranch_execz .LBB300_1296
; %bb.1293:                             ;   in Loop: Header=BB300_10 Depth=1
	v_dual_lshrrev_b32 v1, 3, v6 :: v_dual_bitop2_b32 v0, 7, v4 bitop3:0x40
	s_mov_b32 s18, exec_lo
	v_cmpx_gt_u32_e32 8, v6
; %bb.1294:                             ;   in Loop: Header=BB300_10 Depth=1
	s_delay_alu instid0(VALU_DEP_2) | instskip(NEXT) | instid1(VALU_DEP_1)
	v_clz_i32_u32_e32 v0, v0
	v_min_u32_e32 v6, 32, v0
	s_delay_alu instid0(VALU_DEP_1) | instskip(NEXT) | instid1(VALU_DEP_1)
	v_subrev_nc_u32_e32 v0, 28, v6
	v_lshlrev_b64_e32 v[0:1], v0, v[4:5]
	s_delay_alu instid0(VALU_DEP_1)
	v_dual_sub_nc_u32 v1, 29, v6 :: v_dual_bitop2_b32 v0, 7, v0 bitop3:0x40
; %bb.1295:                             ;   in Loop: Header=BB300_10 Depth=1
	s_or_b32 exec_lo, exec_lo, s18
	v_lshlrev_b32_e32 v6, 8, v4
	s_delay_alu instid0(VALU_DEP_2) | instskip(NEXT) | instid1(VALU_DEP_3)
	v_lshl_add_u32 v1, v1, 10, 0x2000
	v_lshlrev_b32_e32 v0, 7, v0
	s_delay_alu instid0(VALU_DEP_3) | instskip(NEXT) | instid1(VALU_DEP_3)
	v_and_b32_e32 v6, 0x8000, v6
	v_and_b32_e32 v1, 0xfc00, v1
	s_delay_alu instid0(VALU_DEP_1)
	v_or3_b32 v0, v6, v1, v0
	scratch_store_b32 off, v0, s32 offset:436 ; 4-byte Folded Spill
.LBB300_1296:                           ;   in Loop: Header=BB300_10 Depth=1
	s_wait_xcnt 0x0
	s_or_b32 exec_lo, exec_lo, s17
.LBB300_1297:                           ;   in Loop: Header=BB300_10 Depth=1
	s_delay_alu instid0(SALU_CYCLE_1)
	s_or_b32 exec_lo, exec_lo, s16
.LBB300_1298:                           ;   in Loop: Header=BB300_10 Depth=1
	s_delay_alu instid0(SALU_CYCLE_1)
	s_or_b32 exec_lo, exec_lo, s11
	v_mov_b32_e32 v0, 0
	v_lshrrev_b16 v14, 8, v4
	s_mov_b32 s11, exec_lo
	scratch_store_b32 off, v0, s32 offset:440 ; 4-byte Folded Spill
	s_wait_xcnt 0x0
	v_mov_b32_e32 v0, 0
	scratch_store_b32 off, v0, s32 offset:444 ; 4-byte Folded Spill
	s_wait_xcnt 0x0
	v_cmpx_ne_u16_e32 0, v14
	s_cbranch_execz .LBB300_1306
; %bb.1299:                             ;   in Loop: Header=BB300_10 Depth=1
	v_bfrev_b32_e32 v0, 1
	s_mov_b32 s16, exec_lo
	scratch_store_b32 off, v0, s32 offset:444 ; 4-byte Folded Spill
	s_wait_xcnt 0x0
	v_cmpx_ne_u16_e32 0x80, v14
	s_cbranch_execz .LBB300_1305
; %bb.1300:                             ;   in Loop: Header=BB300_10 Depth=1
	v_and_b32_e32 v0, 0xffff, v14
	v_mov_b32_e32 v1, 0x7c010000
	s_mov_b32 s17, exec_lo
	s_delay_alu instid0(VALU_DEP_2)
	v_and_b32_e32 v7, 0x7f, v0
	scratch_store_b32 off, v1, s32 offset:444 ; 4-byte Folded Spill
	s_wait_xcnt 0x0
	v_cmpx_ne_u32_e32 0x7f, v7
	s_cbranch_execz .LBB300_1304
; %bb.1301:                             ;   in Loop: Header=BB300_10 Depth=1
	v_dual_lshrrev_b32 v6, 3, v7 :: v_dual_bitop2_b32 v1, 7, v0 bitop3:0x40
	s_mov_b32 s18, exec_lo
	v_cmpx_gt_u32_e32 8, v7
; %bb.1302:                             ;   in Loop: Header=BB300_10 Depth=1
	s_delay_alu instid0(VALU_DEP_2) | instskip(NEXT) | instid1(VALU_DEP_1)
	v_clz_i32_u32_e32 v1, v1
	v_min_u32_e32 v1, 32, v1
	s_delay_alu instid0(VALU_DEP_1) | instskip(NEXT) | instid1(VALU_DEP_1)
	v_subrev_nc_u32_e32 v6, 28, v1
	v_lshlrev_b64_e32 v[8:9], v6, v[14:15]
	s_delay_alu instid0(VALU_DEP_1)
	v_dual_sub_nc_u32 v6, 29, v1 :: v_dual_bitop2_b32 v1, 7, v8 bitop3:0x40
; %bb.1303:                             ;   in Loop: Header=BB300_10 Depth=1
	s_or_b32 exec_lo, exec_lo, s18
	s_delay_alu instid0(VALU_DEP_1) | instskip(NEXT) | instid1(VALU_DEP_2)
	v_dual_lshlrev_b32 v0, 8, v0 :: v_dual_lshlrev_b32 v1, 23, v1
	v_lshl_add_u32 v6, v6, 10, 0x2000
	s_delay_alu instid0(VALU_DEP_1) | instskip(NEXT) | instid1(VALU_DEP_1)
	v_and_or_b32 v0, 0x8000, v0, v6
	v_lshl_or_b32 v0, v0, 16, v1
	scratch_store_b32 off, v0, s32 offset:444 ; 4-byte Folded Spill
.LBB300_1304:                           ;   in Loop: Header=BB300_10 Depth=1
	s_wait_xcnt 0x0
	s_or_b32 exec_lo, exec_lo, s17
.LBB300_1305:                           ;   in Loop: Header=BB300_10 Depth=1
	s_delay_alu instid0(SALU_CYCLE_1)
	s_or_b32 exec_lo, exec_lo, s16
.LBB300_1306:                           ;   in Loop: Header=BB300_10 Depth=1
	s_delay_alu instid0(SALU_CYCLE_1) | instskip(SKIP_2) | instid1(VALU_DEP_1)
	s_or_b32 exec_lo, exec_lo, s11
	v_lshrrev_b32_e32 v8, 16, v4
	s_mov_b32 s11, exec_lo
	v_and_b32_e32 v0, 0xff, v8
	s_delay_alu instid0(VALU_DEP_1)
	v_cmpx_ne_u16_e32 0, v0
	s_cbranch_execz .LBB300_1314
; %bb.1307:                             ;   in Loop: Header=BB300_10 Depth=1
	v_cmp_ne_u16_e64 s1, 0x80, v0
	v_mov_b32_e32 v0, 0x8000
	scratch_store_b32 off, v0, s32 offset:440 ; 4-byte Folded Spill
	s_wait_xcnt 0x0
	s_and_saveexec_b32 s16, s1
	s_cbranch_execz .LBB300_1313
; %bb.1308:                             ;   in Loop: Header=BB300_10 Depth=1
	v_bfe_u32 v6, v4, 16, 7
	v_mov_b32_e32 v0, 0x7c01
	s_mov_b32 s17, exec_lo
	scratch_store_b32 off, v0, s32 offset:440 ; 4-byte Folded Spill
	s_wait_xcnt 0x0
	v_cmpx_ne_u32_e32 0x7f, v6
	s_cbranch_execz .LBB300_1312
; %bb.1309:                             ;   in Loop: Header=BB300_10 Depth=1
	v_dual_lshrrev_b32 v1, 3, v6 :: v_dual_bitop2_b32 v0, 7, v8 bitop3:0x40
	s_mov_b32 s18, exec_lo
	v_cmpx_gt_u32_e32 8, v6
; %bb.1310:                             ;   in Loop: Header=BB300_10 Depth=1
	s_delay_alu instid0(VALU_DEP_2) | instskip(NEXT) | instid1(VALU_DEP_1)
	v_clz_i32_u32_e32 v0, v0
	v_min_u32_e32 v6, 32, v0
	s_delay_alu instid0(VALU_DEP_1) | instskip(NEXT) | instid1(VALU_DEP_1)
	v_subrev_nc_u32_e32 v0, 28, v6
	v_lshlrev_b64_e32 v[0:1], v0, v[8:9]
	s_delay_alu instid0(VALU_DEP_1)
	v_dual_sub_nc_u32 v1, 29, v6 :: v_dual_bitop2_b32 v0, 7, v0 bitop3:0x40
; %bb.1311:                             ;   in Loop: Header=BB300_10 Depth=1
	s_or_b32 exec_lo, exec_lo, s18
	v_lshlrev_b32_e32 v6, 8, v8
	s_delay_alu instid0(VALU_DEP_2) | instskip(NEXT) | instid1(VALU_DEP_3)
	v_lshl_add_u32 v1, v1, 10, 0x2000
	v_lshlrev_b32_e32 v0, 7, v0
	s_delay_alu instid0(VALU_DEP_3) | instskip(NEXT) | instid1(VALU_DEP_3)
	v_and_b32_e32 v6, 0x8000, v6
	v_and_b32_e32 v1, 0xfc00, v1
	s_delay_alu instid0(VALU_DEP_1)
	v_or3_b32 v0, v6, v1, v0
	scratch_store_b32 off, v0, s32 offset:440 ; 4-byte Folded Spill
.LBB300_1312:                           ;   in Loop: Header=BB300_10 Depth=1
	s_wait_xcnt 0x0
	s_or_b32 exec_lo, exec_lo, s17
.LBB300_1313:                           ;   in Loop: Header=BB300_10 Depth=1
	s_delay_alu instid0(SALU_CYCLE_1)
	s_or_b32 exec_lo, exec_lo, s16
.LBB300_1314:                           ;   in Loop: Header=BB300_10 Depth=1
	s_delay_alu instid0(SALU_CYCLE_1)
	s_or_b32 exec_lo, exec_lo, s11
	v_mov_b32_e32 v0, 0
	s_mov_b32 s11, exec_lo
	scratch_store_b32 off, v0, s32 offset:448 ; 4-byte Folded Spill
	s_wait_xcnt 0x0
	v_mov_b32_e32 v0, 0
	scratch_store_b32 off, v0, s32 offset:452 ; 4-byte Folded Spill
	s_wait_xcnt 0x0
	v_cmpx_lt_u32_e32 0xffffff, v4
	s_cbranch_execz .LBB300_1322
; %bb.1315:                             ;   in Loop: Header=BB300_10 Depth=1
	v_lshrrev_b32_e32 v14, 24, v4
	v_bfrev_b32_e32 v0, 1
	s_mov_b32 s16, exec_lo
	scratch_store_b32 off, v0, s32 offset:452 ; 4-byte Folded Spill
	s_wait_xcnt 0x0
	v_cmpx_ne_u32_e32 0x80, v14
	s_cbranch_execz .LBB300_1321
; %bb.1316:                             ;   in Loop: Header=BB300_10 Depth=1
	v_and_b32_e32 v6, 0x7f, v14
	v_mov_b32_e32 v0, 0x7c010000
	s_mov_b32 s17, exec_lo
	scratch_store_b32 off, v0, s32 offset:452 ; 4-byte Folded Spill
	s_wait_xcnt 0x0
	v_cmpx_ne_u32_e32 0x7f, v6
	s_cbranch_execz .LBB300_1320
; %bb.1317:                             ;   in Loop: Header=BB300_10 Depth=1
	v_and_b32_e32 v0, 7, v14
	v_lshrrev_b32_e32 v1, 3, v6
	s_mov_b32 s18, exec_lo
	v_cmpx_gt_u32_e32 8, v6
; %bb.1318:                             ;   in Loop: Header=BB300_10 Depth=1
	s_delay_alu instid0(VALU_DEP_3) | instskip(NEXT) | instid1(VALU_DEP_1)
	v_clz_i32_u32_e32 v0, v0
	v_min_u32_e32 v6, 32, v0
	s_delay_alu instid0(VALU_DEP_1) | instskip(NEXT) | instid1(VALU_DEP_1)
	v_subrev_nc_u32_e32 v0, 28, v6
	v_lshlrev_b64_e32 v[0:1], v0, v[14:15]
	s_delay_alu instid0(VALU_DEP_1)
	v_dual_sub_nc_u32 v1, 29, v6 :: v_dual_bitop2_b32 v0, 7, v0 bitop3:0x40
; %bb.1319:                             ;   in Loop: Header=BB300_10 Depth=1
	s_or_b32 exec_lo, exec_lo, s18
	s_delay_alu instid0(VALU_DEP_1) | instskip(NEXT) | instid1(VALU_DEP_2)
	v_dual_lshlrev_b32 v6, 8, v14 :: v_dual_lshlrev_b32 v0, 23, v0
	v_lshl_add_u32 v1, v1, 10, 0x2000
	s_delay_alu instid0(VALU_DEP_1) | instskip(NEXT) | instid1(VALU_DEP_1)
	v_and_or_b32 v1, 0x8000, v6, v1
	v_lshl_or_b32 v0, v1, 16, v0
	scratch_store_b32 off, v0, s32 offset:452 ; 4-byte Folded Spill
.LBB300_1320:                           ;   in Loop: Header=BB300_10 Depth=1
	s_wait_xcnt 0x0
	s_or_b32 exec_lo, exec_lo, s17
.LBB300_1321:                           ;   in Loop: Header=BB300_10 Depth=1
	s_delay_alu instid0(SALU_CYCLE_1)
	s_or_b32 exec_lo, exec_lo, s16
.LBB300_1322:                           ;   in Loop: Header=BB300_10 Depth=1
	s_delay_alu instid0(SALU_CYCLE_1) | instskip(SKIP_3) | instid1(VALU_DEP_2)
	s_or_b32 exec_lo, exec_lo, s11
	v_and_b32_e32 v0, 0xff, v5
	v_mov_b32_e32 v14, v5
	s_mov_b32 s11, exec_lo
	v_cmpx_ne_u16_e32 0, v0
	s_cbranch_execz .LBB300_1330
; %bb.1323:                             ;   in Loop: Header=BB300_10 Depth=1
	v_cmp_ne_u16_e64 s1, 0x80, v0
	v_mov_b32_e32 v0, 0x8000
	scratch_store_b32 off, v0, s32 offset:448 ; 4-byte Folded Spill
	s_wait_xcnt 0x0
	s_and_saveexec_b32 s16, s1
	s_cbranch_execz .LBB300_1329
; %bb.1324:                             ;   in Loop: Header=BB300_10 Depth=1
	v_and_b32_e32 v6, 0x7f, v5
	v_mov_b32_e32 v0, 0x7c01
	s_mov_b32 s17, exec_lo
	scratch_store_b32 off, v0, s32 offset:448 ; 4-byte Folded Spill
	s_wait_xcnt 0x0
	v_cmpx_ne_u32_e32 0x7f, v6
	s_cbranch_execz .LBB300_1328
; %bb.1325:                             ;   in Loop: Header=BB300_10 Depth=1
	v_dual_lshrrev_b32 v1, 3, v6 :: v_dual_bitop2_b32 v0, 7, v5 bitop3:0x40
	s_mov_b32 s18, exec_lo
	v_cmpx_gt_u32_e32 8, v6
; %bb.1326:                             ;   in Loop: Header=BB300_10 Depth=1
	s_delay_alu instid0(VALU_DEP_2) | instskip(NEXT) | instid1(VALU_DEP_1)
	v_clz_i32_u32_e32 v0, v0
	v_min_u32_e32 v6, 32, v0
	s_delay_alu instid0(VALU_DEP_1) | instskip(NEXT) | instid1(VALU_DEP_1)
	v_subrev_nc_u32_e32 v0, 28, v6
	v_lshlrev_b64_e32 v[0:1], v0, v[14:15]
	s_delay_alu instid0(VALU_DEP_1)
	v_dual_sub_nc_u32 v1, 29, v6 :: v_dual_bitop2_b32 v0, 7, v0 bitop3:0x40
; %bb.1327:                             ;   in Loop: Header=BB300_10 Depth=1
	s_or_b32 exec_lo, exec_lo, s18
	s_delay_alu instid0(VALU_DEP_1) | instskip(NEXT) | instid1(VALU_DEP_2)
	v_dual_lshlrev_b32 v6, 8, v5 :: v_dual_lshlrev_b32 v0, 7, v0
	v_lshl_add_u32 v1, v1, 10, 0x2000
	s_delay_alu instid0(VALU_DEP_2) | instskip(NEXT) | instid1(VALU_DEP_2)
	v_and_b32_e32 v6, 0x8000, v6
	v_and_b32_e32 v1, 0xfc00, v1
	s_delay_alu instid0(VALU_DEP_1)
	v_or3_b32 v0, v6, v1, v0
	scratch_store_b32 off, v0, s32 offset:448 ; 4-byte Folded Spill
.LBB300_1328:                           ;   in Loop: Header=BB300_10 Depth=1
	s_wait_xcnt 0x0
	s_or_b32 exec_lo, exec_lo, s17
.LBB300_1329:                           ;   in Loop: Header=BB300_10 Depth=1
	s_delay_alu instid0(SALU_CYCLE_1)
	s_or_b32 exec_lo, exec_lo, s16
.LBB300_1330:                           ;   in Loop: Header=BB300_10 Depth=1
	s_delay_alu instid0(SALU_CYCLE_1)
	s_or_b32 exec_lo, exec_lo, s11
	v_mov_b32_e32 v0, 0
	v_lshrrev_b16 v14, 8, v14
	s_mov_b32 s11, exec_lo
	scratch_store_b32 off, v0, s32 offset:456 ; 4-byte Folded Spill
	s_wait_xcnt 0x0
	v_mov_b32_e32 v0, 0
	scratch_store_b32 off, v0, s32 offset:460 ; 4-byte Folded Spill
	s_wait_xcnt 0x0
	v_cmpx_ne_u16_e32 0, v14
	s_cbranch_execz .LBB300_1338
; %bb.1331:                             ;   in Loop: Header=BB300_10 Depth=1
	v_bfrev_b32_e32 v0, 1
	s_mov_b32 s16, exec_lo
	scratch_store_b32 off, v0, s32 offset:460 ; 4-byte Folded Spill
	s_wait_xcnt 0x0
	v_cmpx_ne_u16_e32 0x80, v14
	s_cbranch_execz .LBB300_1337
; %bb.1332:                             ;   in Loop: Header=BB300_10 Depth=1
	v_and_b32_e32 v0, 0xffff, v14
	v_mov_b32_e32 v1, 0x7c010000
	s_mov_b32 s17, exec_lo
	s_delay_alu instid0(VALU_DEP_2)
	v_and_b32_e32 v7, 0x7f, v0
	scratch_store_b32 off, v1, s32 offset:460 ; 4-byte Folded Spill
	s_wait_xcnt 0x0
	v_cmpx_ne_u32_e32 0x7f, v7
	s_cbranch_execz .LBB300_1336
; %bb.1333:                             ;   in Loop: Header=BB300_10 Depth=1
	v_dual_lshrrev_b32 v6, 3, v7 :: v_dual_bitop2_b32 v1, 7, v0 bitop3:0x40
	s_mov_b32 s18, exec_lo
	v_cmpx_gt_u32_e32 8, v7
; %bb.1334:                             ;   in Loop: Header=BB300_10 Depth=1
	s_delay_alu instid0(VALU_DEP_2) | instskip(NEXT) | instid1(VALU_DEP_1)
	v_clz_i32_u32_e32 v1, v1
	v_min_u32_e32 v1, 32, v1
	s_delay_alu instid0(VALU_DEP_1) | instskip(NEXT) | instid1(VALU_DEP_1)
	v_subrev_nc_u32_e32 v6, 28, v1
	v_lshlrev_b64_e32 v[8:9], v6, v[14:15]
	s_delay_alu instid0(VALU_DEP_1)
	v_dual_sub_nc_u32 v6, 29, v1 :: v_dual_bitop2_b32 v1, 7, v8 bitop3:0x40
; %bb.1335:                             ;   in Loop: Header=BB300_10 Depth=1
	s_or_b32 exec_lo, exec_lo, s18
	s_delay_alu instid0(VALU_DEP_1) | instskip(NEXT) | instid1(VALU_DEP_2)
	v_dual_lshlrev_b32 v0, 8, v0 :: v_dual_lshlrev_b32 v1, 23, v1
	v_lshl_add_u32 v6, v6, 10, 0x2000
	s_delay_alu instid0(VALU_DEP_1) | instskip(NEXT) | instid1(VALU_DEP_1)
	v_and_or_b32 v0, 0x8000, v0, v6
	v_lshl_or_b32 v0, v0, 16, v1
	scratch_store_b32 off, v0, s32 offset:460 ; 4-byte Folded Spill
.LBB300_1336:                           ;   in Loop: Header=BB300_10 Depth=1
	s_wait_xcnt 0x0
	s_or_b32 exec_lo, exec_lo, s17
.LBB300_1337:                           ;   in Loop: Header=BB300_10 Depth=1
	s_delay_alu instid0(SALU_CYCLE_1)
	s_or_b32 exec_lo, exec_lo, s16
.LBB300_1338:                           ;   in Loop: Header=BB300_10 Depth=1
	s_delay_alu instid0(SALU_CYCLE_1) | instskip(SKIP_2) | instid1(VALU_DEP_1)
	s_or_b32 exec_lo, exec_lo, s11
	v_lshrrev_b32_e32 v8, 16, v5
	s_mov_b32 s11, exec_lo
	v_and_b32_e32 v0, 0xff, v8
	s_delay_alu instid0(VALU_DEP_1)
	v_cmpx_ne_u16_e32 0, v0
	s_cbranch_execz .LBB300_1346
; %bb.1339:                             ;   in Loop: Header=BB300_10 Depth=1
	v_cmp_ne_u16_e64 s1, 0x80, v0
	v_mov_b32_e32 v0, 0x8000
	scratch_store_b32 off, v0, s32 offset:456 ; 4-byte Folded Spill
	s_wait_xcnt 0x0
	s_and_saveexec_b32 s16, s1
	s_cbranch_execz .LBB300_1345
; %bb.1340:                             ;   in Loop: Header=BB300_10 Depth=1
	v_bfe_u32 v6, v5, 16, 7
	v_mov_b32_e32 v0, 0x7c01
	s_mov_b32 s17, exec_lo
	scratch_store_b32 off, v0, s32 offset:456 ; 4-byte Folded Spill
	s_wait_xcnt 0x0
	v_cmpx_ne_u32_e32 0x7f, v6
	s_cbranch_execz .LBB300_1344
; %bb.1341:                             ;   in Loop: Header=BB300_10 Depth=1
	v_dual_lshrrev_b32 v1, 3, v6 :: v_dual_bitop2_b32 v0, 7, v8 bitop3:0x40
	s_mov_b32 s18, exec_lo
	v_cmpx_gt_u32_e32 8, v6
; %bb.1342:                             ;   in Loop: Header=BB300_10 Depth=1
	s_delay_alu instid0(VALU_DEP_2) | instskip(NEXT) | instid1(VALU_DEP_1)
	v_clz_i32_u32_e32 v0, v0
	v_min_u32_e32 v6, 32, v0
	s_delay_alu instid0(VALU_DEP_1) | instskip(NEXT) | instid1(VALU_DEP_1)
	v_subrev_nc_u32_e32 v0, 28, v6
	v_lshlrev_b64_e32 v[0:1], v0, v[8:9]
	s_delay_alu instid0(VALU_DEP_1)
	v_dual_sub_nc_u32 v1, 29, v6 :: v_dual_bitop2_b32 v0, 7, v0 bitop3:0x40
; %bb.1343:                             ;   in Loop: Header=BB300_10 Depth=1
	s_or_b32 exec_lo, exec_lo, s18
	v_lshlrev_b32_e32 v6, 8, v8
	s_delay_alu instid0(VALU_DEP_2) | instskip(NEXT) | instid1(VALU_DEP_3)
	v_lshl_add_u32 v1, v1, 10, 0x2000
	v_lshlrev_b32_e32 v0, 7, v0
	s_delay_alu instid0(VALU_DEP_3) | instskip(NEXT) | instid1(VALU_DEP_3)
	v_and_b32_e32 v6, 0x8000, v6
	v_and_b32_e32 v1, 0xfc00, v1
	s_delay_alu instid0(VALU_DEP_1)
	v_or3_b32 v0, v6, v1, v0
	scratch_store_b32 off, v0, s32 offset:456 ; 4-byte Folded Spill
.LBB300_1344:                           ;   in Loop: Header=BB300_10 Depth=1
	s_wait_xcnt 0x0
	s_or_b32 exec_lo, exec_lo, s17
.LBB300_1345:                           ;   in Loop: Header=BB300_10 Depth=1
	s_delay_alu instid0(SALU_CYCLE_1)
	s_or_b32 exec_lo, exec_lo, s16
.LBB300_1346:                           ;   in Loop: Header=BB300_10 Depth=1
	s_delay_alu instid0(SALU_CYCLE_1)
	s_or_b32 exec_lo, exec_lo, s11
	v_mov_b32_e32 v0, 0
	s_mov_b32 s11, exec_lo
	scratch_store_b32 off, v0, s32 offset:464 ; 4-byte Folded Spill
	s_wait_xcnt 0x0
	v_mov_b32_e32 v0, 0
	scratch_store_b32 off, v0, s32 offset:552 ; 4-byte Folded Spill
	s_wait_xcnt 0x0
	v_cmpx_lt_u64_e64 s[2:3], v[4:5]
	s_cbranch_execz .LBB300_1354
; %bb.1347:                             ;   in Loop: Header=BB300_10 Depth=1
	v_lshrrev_b32_e32 v14, 24, v5
	v_bfrev_b32_e32 v0, 1
	s_mov_b32 s16, exec_lo
	s_delay_alu instid0(VALU_DEP_2)
	v_cmpx_ne_u32_e32 0x80, v14
	s_cbranch_execz .LBB300_1353
; %bb.1348:                             ;   in Loop: Header=BB300_10 Depth=1
	v_and_b32_e32 v4, 0x7f, v14
	v_mov_b32_e32 v0, 0x7c010000
	s_mov_b32 s17, exec_lo
	s_delay_alu instid0(VALU_DEP_2)
	v_cmpx_ne_u32_e32 0x7f, v4
	s_cbranch_execz .LBB300_1352
; %bb.1349:                             ;   in Loop: Header=BB300_10 Depth=1
	v_dual_lshrrev_b32 v1, 3, v4 :: v_dual_bitop2_b32 v0, 7, v14 bitop3:0x40
	s_mov_b32 s18, exec_lo
	v_cmpx_gt_u32_e32 8, v4
; %bb.1350:                             ;   in Loop: Header=BB300_10 Depth=1
	s_delay_alu instid0(VALU_DEP_2) | instskip(NEXT) | instid1(VALU_DEP_1)
	v_clz_i32_u32_e32 v0, v0
	v_min_u32_e32 v4, 32, v0
	s_delay_alu instid0(VALU_DEP_1) | instskip(NEXT) | instid1(VALU_DEP_1)
	v_subrev_nc_u32_e32 v0, 28, v4
	v_lshlrev_b64_e32 v[0:1], v0, v[14:15]
	v_sub_nc_u32_e32 v1, 29, v4
	s_delay_alu instid0(VALU_DEP_2)
	v_and_b32_e32 v0, 7, v0
; %bb.1351:                             ;   in Loop: Header=BB300_10 Depth=1
	s_or_b32 exec_lo, exec_lo, s18
	s_delay_alu instid0(VALU_DEP_1) | instskip(NEXT) | instid1(VALU_DEP_3)
	v_dual_lshlrev_b32 v4, 8, v14 :: v_dual_lshlrev_b32 v0, 23, v0
	v_lshl_add_u32 v1, v1, 10, 0x2000
	s_delay_alu instid0(VALU_DEP_1) | instskip(NEXT) | instid1(VALU_DEP_1)
	v_and_or_b32 v1, 0x8000, v4, v1
	v_lshl_or_b32 v0, v1, 16, v0
.LBB300_1352:                           ;   in Loop: Header=BB300_10 Depth=1
	s_or_b32 exec_lo, exec_lo, s17
.LBB300_1353:                           ;   in Loop: Header=BB300_10 Depth=1
	s_delay_alu instid0(SALU_CYCLE_1)
	s_or_b32 exec_lo, exec_lo, s16
	scratch_store_b32 off, v0, s32 offset:552 ; 4-byte Folded Spill
.LBB300_1354:                           ;   in Loop: Header=BB300_10 Depth=1
	s_wait_xcnt 0x0
	s_or_b32 exec_lo, exec_lo, s11
	flat_load_b64 v[4:5], v[2:3] offset:5128
	s_mov_b32 s11, exec_lo
	s_wait_loadcnt_dscnt 0x0
	v_and_b32_e32 v0, 0xff, v4
	s_wait_xcnt 0x0
	s_delay_alu instid0(VALU_DEP_1)
	v_cmpx_ne_u16_e32 0, v0
	s_cbranch_execz .LBB300_1362
; %bb.1355:                             ;   in Loop: Header=BB300_10 Depth=1
	v_cmp_ne_u16_e64 s1, 0x80, v0
	v_mov_b32_e32 v0, 0x8000
	scratch_store_b32 off, v0, s32 offset:464 ; 4-byte Folded Spill
	s_wait_xcnt 0x0
	s_and_saveexec_b32 s16, s1
	s_cbranch_execz .LBB300_1361
; %bb.1356:                             ;   in Loop: Header=BB300_10 Depth=1
	v_and_b32_e32 v7, 0x7f, v4
	v_mov_b32_e32 v0, 0x7c01
	s_mov_b32 s17, exec_lo
	scratch_store_b32 off, v0, s32 offset:464 ; 4-byte Folded Spill
	s_wait_xcnt 0x0
	v_cmpx_ne_u32_e32 0x7f, v7
	s_cbranch_execz .LBB300_1360
; %bb.1357:                             ;   in Loop: Header=BB300_10 Depth=1
	v_dual_lshrrev_b32 v6, 3, v7 :: v_dual_bitop2_b32 v0, 7, v4 bitop3:0x40
	s_mov_b32 s18, exec_lo
	v_cmpx_gt_u32_e32 8, v7
; %bb.1358:                             ;   in Loop: Header=BB300_10 Depth=1
	s_delay_alu instid0(VALU_DEP_2) | instskip(NEXT) | instid1(VALU_DEP_1)
	v_clz_i32_u32_e32 v0, v0
	v_min_u32_e32 v0, 32, v0
	s_delay_alu instid0(VALU_DEP_1) | instskip(NEXT) | instid1(VALU_DEP_1)
	v_subrev_nc_u32_e32 v6, 28, v0
	v_lshlrev_b64_e32 v[8:9], v6, v[4:5]
	v_sub_nc_u32_e32 v6, 29, v0
	s_delay_alu instid0(VALU_DEP_2)
	v_and_b32_e32 v0, 7, v8
; %bb.1359:                             ;   in Loop: Header=BB300_10 Depth=1
	s_or_b32 exec_lo, exec_lo, s18
	v_lshlrev_b32_e32 v7, 8, v4
	s_delay_alu instid0(VALU_DEP_3) | instskip(NEXT) | instid1(VALU_DEP_3)
	v_lshl_add_u32 v6, v6, 10, 0x2000
	v_lshlrev_b32_e32 v0, 7, v0
	s_delay_alu instid0(VALU_DEP_3) | instskip(NEXT) | instid1(VALU_DEP_3)
	v_and_b32_e32 v7, 0x8000, v7
	v_and_b32_e32 v6, 0xfc00, v6
	s_delay_alu instid0(VALU_DEP_1)
	v_or3_b32 v0, v7, v6, v0
	scratch_store_b32 off, v0, s32 offset:464 ; 4-byte Folded Spill
.LBB300_1360:                           ;   in Loop: Header=BB300_10 Depth=1
	s_wait_xcnt 0x0
	s_or_b32 exec_lo, exec_lo, s17
.LBB300_1361:                           ;   in Loop: Header=BB300_10 Depth=1
	s_delay_alu instid0(SALU_CYCLE_1)
	s_or_b32 exec_lo, exec_lo, s16
.LBB300_1362:                           ;   in Loop: Header=BB300_10 Depth=1
	s_delay_alu instid0(SALU_CYCLE_1)
	s_or_b32 exec_lo, exec_lo, s11
	v_mov_b32_e32 v0, 0
	v_lshrrev_b16 v14, 8, v4
	s_mov_b32 s11, exec_lo
	scratch_store_b32 off, v0, s32 offset:468 ; 4-byte Folded Spill
	s_wait_xcnt 0x0
	v_mov_b32_e32 v0, 0
	scratch_store_b32 off, v0, s32 offset:472 ; 4-byte Folded Spill
	s_wait_xcnt 0x0
	v_cmpx_ne_u16_e32 0, v14
	s_cbranch_execz .LBB300_1370
; %bb.1363:                             ;   in Loop: Header=BB300_10 Depth=1
	v_bfrev_b32_e32 v0, 1
	s_mov_b32 s16, exec_lo
	scratch_store_b32 off, v0, s32 offset:472 ; 4-byte Folded Spill
	s_wait_xcnt 0x0
	v_cmpx_ne_u16_e32 0x80, v14
	s_cbranch_execz .LBB300_1369
; %bb.1364:                             ;   in Loop: Header=BB300_10 Depth=1
	v_and_b32_e32 v0, 0xffff, v14
	v_mov_b32_e32 v1, 0x7c010000
	s_mov_b32 s17, exec_lo
	s_delay_alu instid0(VALU_DEP_2)
	v_and_b32_e32 v8, 0x7f, v0
	scratch_store_b32 off, v1, s32 offset:472 ; 4-byte Folded Spill
	s_wait_xcnt 0x0
	v_cmpx_ne_u32_e32 0x7f, v8
	s_cbranch_execz .LBB300_1368
; %bb.1365:                             ;   in Loop: Header=BB300_10 Depth=1
	v_and_b32_e32 v6, 7, v0
	v_lshrrev_b32_e32 v7, 3, v8
	s_mov_b32 s18, exec_lo
	v_cmpx_gt_u32_e32 8, v8
; %bb.1366:                             ;   in Loop: Header=BB300_10 Depth=1
	s_delay_alu instid0(VALU_DEP_3) | instskip(NEXT) | instid1(VALU_DEP_1)
	v_clz_i32_u32_e32 v6, v6
	v_min_u32_e32 v8, 32, v6
	s_delay_alu instid0(VALU_DEP_1) | instskip(NEXT) | instid1(VALU_DEP_1)
	v_subrev_nc_u32_e32 v6, 28, v8
	v_lshlrev_b64_e32 v[6:7], v6, v[14:15]
	s_delay_alu instid0(VALU_DEP_1)
	v_dual_sub_nc_u32 v7, 29, v8 :: v_dual_bitop2_b32 v6, 7, v6 bitop3:0x40
; %bb.1367:                             ;   in Loop: Header=BB300_10 Depth=1
	s_or_b32 exec_lo, exec_lo, s18
	s_delay_alu instid0(VALU_DEP_1) | instskip(NEXT) | instid1(VALU_DEP_2)
	v_dual_lshlrev_b32 v0, 8, v0 :: v_dual_lshlrev_b32 v6, 23, v6
	v_lshl_add_u32 v7, v7, 10, 0x2000
	s_delay_alu instid0(VALU_DEP_1) | instskip(NEXT) | instid1(VALU_DEP_1)
	v_and_or_b32 v0, 0x8000, v0, v7
	v_lshl_or_b32 v0, v0, 16, v6
	scratch_store_b32 off, v0, s32 offset:472 ; 4-byte Folded Spill
.LBB300_1368:                           ;   in Loop: Header=BB300_10 Depth=1
	s_wait_xcnt 0x0
	s_or_b32 exec_lo, exec_lo, s17
.LBB300_1369:                           ;   in Loop: Header=BB300_10 Depth=1
	s_delay_alu instid0(SALU_CYCLE_1)
	s_or_b32 exec_lo, exec_lo, s16
.LBB300_1370:                           ;   in Loop: Header=BB300_10 Depth=1
	s_delay_alu instid0(SALU_CYCLE_1) | instskip(SKIP_2) | instid1(VALU_DEP_1)
	s_or_b32 exec_lo, exec_lo, s11
	v_lshrrev_b32_e32 v8, 16, v4
	s_mov_b32 s11, exec_lo
	v_and_b32_e32 v0, 0xff, v8
	s_delay_alu instid0(VALU_DEP_1)
	v_cmpx_ne_u16_e32 0, v0
	s_cbranch_execz .LBB300_1378
; %bb.1371:                             ;   in Loop: Header=BB300_10 Depth=1
	v_cmp_ne_u16_e64 s1, 0x80, v0
	v_mov_b32_e32 v0, 0x8000
	scratch_store_b32 off, v0, s32 offset:468 ; 4-byte Folded Spill
	s_wait_xcnt 0x0
	s_and_saveexec_b32 s16, s1
	s_cbranch_execz .LBB300_1377
; %bb.1372:                             ;   in Loop: Header=BB300_10 Depth=1
	v_bfe_u32 v7, v4, 16, 7
	v_mov_b32_e32 v0, 0x7c01
	s_mov_b32 s17, exec_lo
	scratch_store_b32 off, v0, s32 offset:468 ; 4-byte Folded Spill
	s_wait_xcnt 0x0
	v_cmpx_ne_u32_e32 0x7f, v7
	s_cbranch_execz .LBB300_1376
; %bb.1373:                             ;   in Loop: Header=BB300_10 Depth=1
	v_dual_lshrrev_b32 v6, 3, v7 :: v_dual_bitop2_b32 v0, 7, v8 bitop3:0x40
	s_mov_b32 s18, exec_lo
	v_cmpx_gt_u32_e32 8, v7
; %bb.1374:                             ;   in Loop: Header=BB300_10 Depth=1
	s_delay_alu instid0(VALU_DEP_2) | instskip(NEXT) | instid1(VALU_DEP_1)
	v_clz_i32_u32_e32 v0, v0
	v_min_u32_e32 v0, 32, v0
	s_delay_alu instid0(VALU_DEP_1) | instskip(NEXT) | instid1(VALU_DEP_1)
	v_subrev_nc_u32_e32 v6, 28, v0
	v_lshlrev_b64_e32 v[18:19], v6, v[8:9]
	s_delay_alu instid0(VALU_DEP_1)
	v_dual_sub_nc_u32 v6, 29, v0 :: v_dual_bitop2_b32 v0, 7, v18 bitop3:0x40
; %bb.1375:                             ;   in Loop: Header=BB300_10 Depth=1
	s_or_b32 exec_lo, exec_lo, s18
	v_lshlrev_b32_e32 v7, 8, v8
	s_delay_alu instid0(VALU_DEP_2) | instskip(NEXT) | instid1(VALU_DEP_3)
	v_lshl_add_u32 v6, v6, 10, 0x2000
	v_lshlrev_b32_e32 v0, 7, v0
	s_delay_alu instid0(VALU_DEP_3) | instskip(NEXT) | instid1(VALU_DEP_3)
	v_and_b32_e32 v7, 0x8000, v7
	v_and_b32_e32 v6, 0xfc00, v6
	s_delay_alu instid0(VALU_DEP_1)
	v_or3_b32 v0, v7, v6, v0
	scratch_store_b32 off, v0, s32 offset:468 ; 4-byte Folded Spill
.LBB300_1376:                           ;   in Loop: Header=BB300_10 Depth=1
	s_wait_xcnt 0x0
	s_or_b32 exec_lo, exec_lo, s17
.LBB300_1377:                           ;   in Loop: Header=BB300_10 Depth=1
	s_delay_alu instid0(SALU_CYCLE_1)
	s_or_b32 exec_lo, exec_lo, s16
.LBB300_1378:                           ;   in Loop: Header=BB300_10 Depth=1
	s_delay_alu instid0(SALU_CYCLE_1)
	s_or_b32 exec_lo, exec_lo, s11
	v_mov_b32_e32 v0, 0
	s_mov_b32 s11, exec_lo
	scratch_store_b32 off, v0, s32 offset:476 ; 4-byte Folded Spill
	s_wait_xcnt 0x0
	v_mov_b32_e32 v0, 0
	scratch_store_b32 off, v0, s32 offset:480 ; 4-byte Folded Spill
	s_wait_xcnt 0x0
	v_cmpx_lt_u32_e32 0xffffff, v4
	s_cbranch_execz .LBB300_1386
; %bb.1379:                             ;   in Loop: Header=BB300_10 Depth=1
	v_lshrrev_b32_e32 v14, 24, v4
	v_bfrev_b32_e32 v0, 1
	s_mov_b32 s16, exec_lo
	scratch_store_b32 off, v0, s32 offset:480 ; 4-byte Folded Spill
	s_wait_xcnt 0x0
	v_cmpx_ne_u32_e32 0x80, v14
	s_cbranch_execz .LBB300_1385
; %bb.1380:                             ;   in Loop: Header=BB300_10 Depth=1
	v_and_b32_e32 v7, 0x7f, v14
	v_mov_b32_e32 v0, 0x7c010000
	s_mov_b32 s17, exec_lo
	scratch_store_b32 off, v0, s32 offset:480 ; 4-byte Folded Spill
	s_wait_xcnt 0x0
	v_cmpx_ne_u32_e32 0x7f, v7
	s_cbranch_execz .LBB300_1384
; %bb.1381:                             ;   in Loop: Header=BB300_10 Depth=1
	v_dual_lshrrev_b32 v6, 3, v7 :: v_dual_bitop2_b32 v0, 7, v14 bitop3:0x40
	s_mov_b32 s18, exec_lo
	v_cmpx_gt_u32_e32 8, v7
; %bb.1382:                             ;   in Loop: Header=BB300_10 Depth=1
	s_delay_alu instid0(VALU_DEP_2) | instskip(NEXT) | instid1(VALU_DEP_1)
	v_clz_i32_u32_e32 v0, v0
	v_min_u32_e32 v0, 32, v0
	s_delay_alu instid0(VALU_DEP_1) | instskip(NEXT) | instid1(VALU_DEP_1)
	v_subrev_nc_u32_e32 v6, 28, v0
	v_lshlrev_b64_e32 v[18:19], v6, v[14:15]
	s_delay_alu instid0(VALU_DEP_1)
	v_dual_sub_nc_u32 v6, 29, v0 :: v_dual_bitop2_b32 v0, 7, v18 bitop3:0x40
; %bb.1383:                             ;   in Loop: Header=BB300_10 Depth=1
	s_or_b32 exec_lo, exec_lo, s18
	s_delay_alu instid0(VALU_DEP_1) | instskip(NEXT) | instid1(VALU_DEP_2)
	v_dual_lshlrev_b32 v7, 8, v14 :: v_dual_lshlrev_b32 v0, 23, v0
	v_lshl_add_u32 v6, v6, 10, 0x2000
	s_delay_alu instid0(VALU_DEP_1) | instskip(NEXT) | instid1(VALU_DEP_1)
	v_and_or_b32 v6, 0x8000, v7, v6
	v_lshl_or_b32 v0, v6, 16, v0
	scratch_store_b32 off, v0, s32 offset:480 ; 4-byte Folded Spill
.LBB300_1384:                           ;   in Loop: Header=BB300_10 Depth=1
	s_wait_xcnt 0x0
	s_or_b32 exec_lo, exec_lo, s17
.LBB300_1385:                           ;   in Loop: Header=BB300_10 Depth=1
	s_delay_alu instid0(SALU_CYCLE_1)
	s_or_b32 exec_lo, exec_lo, s16
.LBB300_1386:                           ;   in Loop: Header=BB300_10 Depth=1
	s_delay_alu instid0(SALU_CYCLE_1) | instskip(SKIP_3) | instid1(VALU_DEP_2)
	s_or_b32 exec_lo, exec_lo, s11
	v_and_b32_e32 v0, 0xff, v5
	v_mov_b32_e32 v14, v5
	s_mov_b32 s11, exec_lo
	v_cmpx_ne_u16_e32 0, v0
	s_cbranch_execz .LBB300_1394
; %bb.1387:                             ;   in Loop: Header=BB300_10 Depth=1
	v_cmp_ne_u16_e64 s1, 0x80, v0
	v_mov_b32_e32 v0, 0x8000
	scratch_store_b32 off, v0, s32 offset:476 ; 4-byte Folded Spill
	s_wait_xcnt 0x0
	s_and_saveexec_b32 s16, s1
	s_cbranch_execz .LBB300_1393
; %bb.1388:                             ;   in Loop: Header=BB300_10 Depth=1
	v_and_b32_e32 v7, 0x7f, v5
	v_mov_b32_e32 v0, 0x7c01
	s_mov_b32 s17, exec_lo
	scratch_store_b32 off, v0, s32 offset:476 ; 4-byte Folded Spill
	s_wait_xcnt 0x0
	v_cmpx_ne_u32_e32 0x7f, v7
	s_cbranch_execz .LBB300_1392
; %bb.1389:                             ;   in Loop: Header=BB300_10 Depth=1
	v_dual_lshrrev_b32 v6, 3, v7 :: v_dual_bitop2_b32 v0, 7, v5 bitop3:0x40
	s_mov_b32 s18, exec_lo
	v_cmpx_gt_u32_e32 8, v7
; %bb.1390:                             ;   in Loop: Header=BB300_10 Depth=1
	s_delay_alu instid0(VALU_DEP_2) | instskip(NEXT) | instid1(VALU_DEP_1)
	v_clz_i32_u32_e32 v0, v0
	v_min_u32_e32 v0, 32, v0
	s_delay_alu instid0(VALU_DEP_1) | instskip(NEXT) | instid1(VALU_DEP_1)
	v_subrev_nc_u32_e32 v6, 28, v0
	v_lshlrev_b64_e32 v[18:19], v6, v[14:15]
	s_delay_alu instid0(VALU_DEP_1)
	v_dual_sub_nc_u32 v6, 29, v0 :: v_dual_bitop2_b32 v0, 7, v18 bitop3:0x40
; %bb.1391:                             ;   in Loop: Header=BB300_10 Depth=1
	s_or_b32 exec_lo, exec_lo, s18
	s_delay_alu instid0(VALU_DEP_1) | instskip(NEXT) | instid1(VALU_DEP_2)
	v_dual_lshlrev_b32 v7, 8, v5 :: v_dual_lshlrev_b32 v0, 7, v0
	v_lshl_add_u32 v6, v6, 10, 0x2000
	s_delay_alu instid0(VALU_DEP_2) | instskip(NEXT) | instid1(VALU_DEP_2)
	v_and_b32_e32 v7, 0x8000, v7
	v_and_b32_e32 v6, 0xfc00, v6
	s_delay_alu instid0(VALU_DEP_1)
	v_or3_b32 v0, v7, v6, v0
	scratch_store_b32 off, v0, s32 offset:476 ; 4-byte Folded Spill
.LBB300_1392:                           ;   in Loop: Header=BB300_10 Depth=1
	s_wait_xcnt 0x0
	s_or_b32 exec_lo, exec_lo, s17
.LBB300_1393:                           ;   in Loop: Header=BB300_10 Depth=1
	s_delay_alu instid0(SALU_CYCLE_1)
	s_or_b32 exec_lo, exec_lo, s16
.LBB300_1394:                           ;   in Loop: Header=BB300_10 Depth=1
	s_delay_alu instid0(SALU_CYCLE_1)
	s_or_b32 exec_lo, exec_lo, s11
	v_mov_b32_e32 v0, 0
	v_lshrrev_b16 v14, 8, v14
	s_mov_b32 s11, exec_lo
	scratch_store_b32 off, v0, s32 offset:484 ; 4-byte Folded Spill
	s_wait_xcnt 0x0
	v_mov_b32_e32 v0, 0
	scratch_store_b32 off, v0, s32 offset:488 ; 4-byte Folded Spill
	s_wait_xcnt 0x0
	v_cmpx_ne_u16_e32 0, v14
	s_cbranch_execz .LBB300_1402
; %bb.1395:                             ;   in Loop: Header=BB300_10 Depth=1
	v_bfrev_b32_e32 v0, 1
	s_mov_b32 s16, exec_lo
	scratch_store_b32 off, v0, s32 offset:488 ; 4-byte Folded Spill
	s_wait_xcnt 0x0
	v_cmpx_ne_u16_e32 0x80, v14
	s_cbranch_execz .LBB300_1401
; %bb.1396:                             ;   in Loop: Header=BB300_10 Depth=1
	v_and_b32_e32 v0, 0xffff, v14
	v_mov_b32_e32 v1, 0x7c010000
	s_mov_b32 s17, exec_lo
	s_delay_alu instid0(VALU_DEP_2)
	v_and_b32_e32 v8, 0x7f, v0
	scratch_store_b32 off, v1, s32 offset:488 ; 4-byte Folded Spill
	s_wait_xcnt 0x0
	v_cmpx_ne_u32_e32 0x7f, v8
	s_cbranch_execz .LBB300_1400
; %bb.1397:                             ;   in Loop: Header=BB300_10 Depth=1
	v_and_b32_e32 v6, 7, v0
	v_lshrrev_b32_e32 v7, 3, v8
	s_mov_b32 s18, exec_lo
	v_cmpx_gt_u32_e32 8, v8
; %bb.1398:                             ;   in Loop: Header=BB300_10 Depth=1
	s_delay_alu instid0(VALU_DEP_3) | instskip(NEXT) | instid1(VALU_DEP_1)
	v_clz_i32_u32_e32 v6, v6
	v_min_u32_e32 v8, 32, v6
	s_delay_alu instid0(VALU_DEP_1) | instskip(NEXT) | instid1(VALU_DEP_1)
	v_subrev_nc_u32_e32 v6, 28, v8
	v_lshlrev_b64_e32 v[6:7], v6, v[14:15]
	s_delay_alu instid0(VALU_DEP_1)
	v_dual_sub_nc_u32 v7, 29, v8 :: v_dual_bitop2_b32 v6, 7, v6 bitop3:0x40
; %bb.1399:                             ;   in Loop: Header=BB300_10 Depth=1
	s_or_b32 exec_lo, exec_lo, s18
	s_delay_alu instid0(VALU_DEP_1) | instskip(NEXT) | instid1(VALU_DEP_2)
	v_dual_lshlrev_b32 v0, 8, v0 :: v_dual_lshlrev_b32 v6, 23, v6
	v_lshl_add_u32 v7, v7, 10, 0x2000
	s_delay_alu instid0(VALU_DEP_1) | instskip(NEXT) | instid1(VALU_DEP_1)
	v_and_or_b32 v0, 0x8000, v0, v7
	v_lshl_or_b32 v0, v0, 16, v6
	scratch_store_b32 off, v0, s32 offset:488 ; 4-byte Folded Spill
.LBB300_1400:                           ;   in Loop: Header=BB300_10 Depth=1
	s_wait_xcnt 0x0
	s_or_b32 exec_lo, exec_lo, s17
.LBB300_1401:                           ;   in Loop: Header=BB300_10 Depth=1
	s_delay_alu instid0(SALU_CYCLE_1)
	s_or_b32 exec_lo, exec_lo, s16
.LBB300_1402:                           ;   in Loop: Header=BB300_10 Depth=1
	s_delay_alu instid0(SALU_CYCLE_1) | instskip(SKIP_2) | instid1(VALU_DEP_1)
	s_or_b32 exec_lo, exec_lo, s11
	v_lshrrev_b32_e32 v8, 16, v5
	s_mov_b32 s11, exec_lo
	v_and_b32_e32 v0, 0xff, v8
	s_delay_alu instid0(VALU_DEP_1)
	v_cmpx_ne_u16_e32 0, v0
	s_cbranch_execz .LBB300_1410
; %bb.1403:                             ;   in Loop: Header=BB300_10 Depth=1
	v_cmp_ne_u16_e64 s1, 0x80, v0
	v_mov_b32_e32 v0, 0x8000
	scratch_store_b32 off, v0, s32 offset:484 ; 4-byte Folded Spill
	s_wait_xcnt 0x0
	s_and_saveexec_b32 s16, s1
	s_cbranch_execz .LBB300_1409
; %bb.1404:                             ;   in Loop: Header=BB300_10 Depth=1
	v_bfe_u32 v7, v5, 16, 7
	v_mov_b32_e32 v0, 0x7c01
	s_mov_b32 s17, exec_lo
	scratch_store_b32 off, v0, s32 offset:484 ; 4-byte Folded Spill
	s_wait_xcnt 0x0
	v_cmpx_ne_u32_e32 0x7f, v7
	s_cbranch_execz .LBB300_1408
; %bb.1405:                             ;   in Loop: Header=BB300_10 Depth=1
	v_dual_lshrrev_b32 v6, 3, v7 :: v_dual_bitop2_b32 v0, 7, v8 bitop3:0x40
	s_mov_b32 s18, exec_lo
	v_cmpx_gt_u32_e32 8, v7
; %bb.1406:                             ;   in Loop: Header=BB300_10 Depth=1
	s_delay_alu instid0(VALU_DEP_2) | instskip(NEXT) | instid1(VALU_DEP_1)
	v_clz_i32_u32_e32 v0, v0
	v_min_u32_e32 v0, 32, v0
	s_delay_alu instid0(VALU_DEP_1) | instskip(NEXT) | instid1(VALU_DEP_1)
	v_subrev_nc_u32_e32 v6, 28, v0
	v_lshlrev_b64_e32 v[18:19], v6, v[8:9]
	s_delay_alu instid0(VALU_DEP_1)
	v_dual_sub_nc_u32 v6, 29, v0 :: v_dual_bitop2_b32 v0, 7, v18 bitop3:0x40
; %bb.1407:                             ;   in Loop: Header=BB300_10 Depth=1
	s_or_b32 exec_lo, exec_lo, s18
	v_lshlrev_b32_e32 v7, 8, v8
	s_delay_alu instid0(VALU_DEP_2) | instskip(NEXT) | instid1(VALU_DEP_3)
	v_lshl_add_u32 v6, v6, 10, 0x2000
	v_lshlrev_b32_e32 v0, 7, v0
	s_delay_alu instid0(VALU_DEP_3) | instskip(NEXT) | instid1(VALU_DEP_3)
	v_and_b32_e32 v7, 0x8000, v7
	v_and_b32_e32 v6, 0xfc00, v6
	s_delay_alu instid0(VALU_DEP_1)
	v_or3_b32 v0, v7, v6, v0
	scratch_store_b32 off, v0, s32 offset:484 ; 4-byte Folded Spill
.LBB300_1408:                           ;   in Loop: Header=BB300_10 Depth=1
	s_wait_xcnt 0x0
	s_or_b32 exec_lo, exec_lo, s17
.LBB300_1409:                           ;   in Loop: Header=BB300_10 Depth=1
	s_delay_alu instid0(SALU_CYCLE_1)
	s_or_b32 exec_lo, exec_lo, s16
.LBB300_1410:                           ;   in Loop: Header=BB300_10 Depth=1
	s_delay_alu instid0(SALU_CYCLE_1)
	s_or_b32 exec_lo, exec_lo, s11
	v_dual_mov_b32 v0, 0 :: v_dual_mov_b32 v17, 0
	s_mov_b32 s11, exec_lo
	scratch_store_b32 off, v0, s32 offset:492 ; 4-byte Folded Spill
	s_wait_xcnt 0x0
	v_cmpx_lt_u64_e64 s[2:3], v[4:5]
	s_cbranch_execz .LBB300_1418
; %bb.1411:                             ;   in Loop: Header=BB300_10 Depth=1
	v_lshrrev_b32_e32 v14, 24, v5
	v_bfrev_b32_e32 v17, 1
	s_mov_b32 s16, exec_lo
	s_delay_alu instid0(VALU_DEP_2)
	v_cmpx_ne_u32_e32 0x80, v14
	s_cbranch_execz .LBB300_1417
; %bb.1412:                             ;   in Loop: Header=BB300_10 Depth=1
	v_and_b32_e32 v5, 0x7f, v14
	v_mov_b32_e32 v17, 0x7c010000
	s_mov_b32 s17, exec_lo
	s_delay_alu instid0(VALU_DEP_2)
	v_cmpx_ne_u32_e32 0x7f, v5
	s_cbranch_execz .LBB300_1416
; %bb.1413:                             ;   in Loop: Header=BB300_10 Depth=1
	v_dual_lshrrev_b32 v4, 3, v5 :: v_dual_bitop2_b32 v0, 7, v14 bitop3:0x40
	s_mov_b32 s18, exec_lo
	v_cmpx_gt_u32_e32 8, v5
; %bb.1414:                             ;   in Loop: Header=BB300_10 Depth=1
	s_delay_alu instid0(VALU_DEP_2) | instskip(NEXT) | instid1(VALU_DEP_1)
	v_clz_i32_u32_e32 v0, v0
	v_min_u32_e32 v0, 32, v0
	s_delay_alu instid0(VALU_DEP_1) | instskip(NEXT) | instid1(VALU_DEP_1)
	v_subrev_nc_u32_e32 v4, 28, v0
	v_lshlrev_b64_e32 v[6:7], v4, v[14:15]
	s_delay_alu instid0(VALU_DEP_1)
	v_dual_sub_nc_u32 v4, 29, v0 :: v_dual_bitop2_b32 v0, 7, v6 bitop3:0x40
; %bb.1415:                             ;   in Loop: Header=BB300_10 Depth=1
	s_or_b32 exec_lo, exec_lo, s18
	s_delay_alu instid0(VALU_DEP_1) | instskip(NEXT) | instid1(VALU_DEP_2)
	v_dual_lshlrev_b32 v5, 8, v14 :: v_dual_lshlrev_b32 v0, 23, v0
	v_lshl_add_u32 v4, v4, 10, 0x2000
	s_delay_alu instid0(VALU_DEP_1) | instskip(NEXT) | instid1(VALU_DEP_1)
	v_and_or_b32 v4, 0x8000, v5, v4
	v_lshl_or_b32 v17, v4, 16, v0
.LBB300_1416:                           ;   in Loop: Header=BB300_10 Depth=1
	s_or_b32 exec_lo, exec_lo, s17
.LBB300_1417:                           ;   in Loop: Header=BB300_10 Depth=1
	s_delay_alu instid0(SALU_CYCLE_1)
	s_or_b32 exec_lo, exec_lo, s16
.LBB300_1418:                           ;   in Loop: Header=BB300_10 Depth=1
	s_delay_alu instid0(SALU_CYCLE_1)
	s_or_b32 exec_lo, exec_lo, s11
	flat_load_b64 v[4:5], v[2:3] offset:5632
	s_mov_b32 s11, exec_lo
	s_wait_loadcnt_dscnt 0x0
	v_and_b32_e32 v0, 0xff, v4
	s_wait_xcnt 0x0
	s_delay_alu instid0(VALU_DEP_1)
	v_cmpx_ne_u16_e32 0, v0
	s_cbranch_execz .LBB300_1426
; %bb.1419:                             ;   in Loop: Header=BB300_10 Depth=1
	v_cmp_ne_u16_e64 s1, 0x80, v0
	v_mov_b32_e32 v0, 0x8000
	scratch_store_b32 off, v0, s32 offset:492 ; 4-byte Folded Spill
	s_wait_xcnt 0x0
	s_and_saveexec_b32 s16, s1
	s_cbranch_execz .LBB300_1425
; %bb.1420:                             ;   in Loop: Header=BB300_10 Depth=1
	v_and_b32_e32 v7, 0x7f, v4
	v_mov_b32_e32 v0, 0x7c01
	s_mov_b32 s17, exec_lo
	scratch_store_b32 off, v0, s32 offset:492 ; 4-byte Folded Spill
	s_wait_xcnt 0x0
	v_cmpx_ne_u32_e32 0x7f, v7
	s_cbranch_execz .LBB300_1424
; %bb.1421:                             ;   in Loop: Header=BB300_10 Depth=1
	v_dual_lshrrev_b32 v6, 3, v7 :: v_dual_bitop2_b32 v0, 7, v4 bitop3:0x40
	s_mov_b32 s18, exec_lo
	v_cmpx_gt_u32_e32 8, v7
; %bb.1422:                             ;   in Loop: Header=BB300_10 Depth=1
	s_delay_alu instid0(VALU_DEP_2) | instskip(NEXT) | instid1(VALU_DEP_1)
	v_clz_i32_u32_e32 v0, v0
	v_min_u32_e32 v0, 32, v0
	s_delay_alu instid0(VALU_DEP_1) | instskip(NEXT) | instid1(VALU_DEP_1)
	v_subrev_nc_u32_e32 v6, 28, v0
	v_lshlrev_b64_e32 v[18:19], v6, v[4:5]
	s_delay_alu instid0(VALU_DEP_1)
	v_dual_sub_nc_u32 v6, 29, v0 :: v_dual_bitop2_b32 v0, 7, v18 bitop3:0x40
; %bb.1423:                             ;   in Loop: Header=BB300_10 Depth=1
	s_or_b32 exec_lo, exec_lo, s18
	v_lshlrev_b32_e32 v7, 8, v4
	s_delay_alu instid0(VALU_DEP_2) | instskip(NEXT) | instid1(VALU_DEP_3)
	v_lshl_add_u32 v6, v6, 10, 0x2000
	v_lshlrev_b32_e32 v0, 7, v0
	s_delay_alu instid0(VALU_DEP_3) | instskip(NEXT) | instid1(VALU_DEP_3)
	v_and_b32_e32 v7, 0x8000, v7
	v_and_b32_e32 v6, 0xfc00, v6
	s_delay_alu instid0(VALU_DEP_1)
	v_or3_b32 v0, v7, v6, v0
	scratch_store_b32 off, v0, s32 offset:492 ; 4-byte Folded Spill
.LBB300_1424:                           ;   in Loop: Header=BB300_10 Depth=1
	s_wait_xcnt 0x0
	s_or_b32 exec_lo, exec_lo, s17
.LBB300_1425:                           ;   in Loop: Header=BB300_10 Depth=1
	s_delay_alu instid0(SALU_CYCLE_1)
	s_or_b32 exec_lo, exec_lo, s16
.LBB300_1426:                           ;   in Loop: Header=BB300_10 Depth=1
	s_delay_alu instid0(SALU_CYCLE_1)
	s_or_b32 exec_lo, exec_lo, s11
	v_lshrrev_b16 v14, 8, v4
	v_dual_mov_b32 v0, 0 :: v_dual_mov_b32 v19, 0
	s_mov_b32 s11, exec_lo
	scratch_store_b32 off, v0, s32 offset:496 ; 4-byte Folded Spill
	s_wait_xcnt 0x0
	v_cmpx_ne_u16_e32 0, v14
	s_cbranch_execz .LBB300_1434
; %bb.1427:                             ;   in Loop: Header=BB300_10 Depth=1
	v_bfrev_b32_e32 v19, 1
	s_mov_b32 s16, exec_lo
	v_cmpx_ne_u16_e32 0x80, v14
	s_cbranch_execz .LBB300_1433
; %bb.1428:                             ;   in Loop: Header=BB300_10 Depth=1
	v_and_b32_e32 v0, 0xffff, v14
	v_mov_b32_e32 v19, 0x7c010000
	s_mov_b32 s17, exec_lo
	s_delay_alu instid0(VALU_DEP_2) | instskip(NEXT) | instid1(VALU_DEP_1)
	v_and_b32_e32 v8, 0x7f, v0
	v_cmpx_ne_u32_e32 0x7f, v8
	s_cbranch_execz .LBB300_1432
; %bb.1429:                             ;   in Loop: Header=BB300_10 Depth=1
	v_and_b32_e32 v6, 7, v0
	v_lshrrev_b32_e32 v7, 3, v8
	s_mov_b32 s18, exec_lo
	v_cmpx_gt_u32_e32 8, v8
; %bb.1430:                             ;   in Loop: Header=BB300_10 Depth=1
	s_delay_alu instid0(VALU_DEP_3) | instskip(NEXT) | instid1(VALU_DEP_1)
	v_clz_i32_u32_e32 v6, v6
	v_min_u32_e32 v8, 32, v6
	s_delay_alu instid0(VALU_DEP_1) | instskip(NEXT) | instid1(VALU_DEP_1)
	v_subrev_nc_u32_e32 v6, 28, v8
	v_lshlrev_b64_e32 v[6:7], v6, v[14:15]
	s_delay_alu instid0(VALU_DEP_1)
	v_dual_sub_nc_u32 v7, 29, v8 :: v_dual_bitop2_b32 v6, 7, v6 bitop3:0x40
; %bb.1431:                             ;   in Loop: Header=BB300_10 Depth=1
	s_or_b32 exec_lo, exec_lo, s18
	s_delay_alu instid0(VALU_DEP_1) | instskip(NEXT) | instid1(VALU_DEP_2)
	v_dual_lshlrev_b32 v0, 8, v0 :: v_dual_lshlrev_b32 v6, 23, v6
	v_lshl_add_u32 v7, v7, 10, 0x2000
	s_delay_alu instid0(VALU_DEP_1) | instskip(NEXT) | instid1(VALU_DEP_1)
	v_and_or_b32 v0, 0x8000, v0, v7
	v_lshl_or_b32 v19, v0, 16, v6
.LBB300_1432:                           ;   in Loop: Header=BB300_10 Depth=1
	s_or_b32 exec_lo, exec_lo, s17
.LBB300_1433:                           ;   in Loop: Header=BB300_10 Depth=1
	s_delay_alu instid0(SALU_CYCLE_1)
	s_or_b32 exec_lo, exec_lo, s16
.LBB300_1434:                           ;   in Loop: Header=BB300_10 Depth=1
	s_delay_alu instid0(SALU_CYCLE_1) | instskip(SKIP_2) | instid1(VALU_DEP_1)
	s_or_b32 exec_lo, exec_lo, s11
	v_lshrrev_b32_e32 v8, 16, v4
	s_mov_b32 s11, exec_lo
	v_and_b32_e32 v0, 0xff, v8
	s_delay_alu instid0(VALU_DEP_1)
	v_cmpx_ne_u16_e32 0, v0
	s_cbranch_execz .LBB300_1442
; %bb.1435:                             ;   in Loop: Header=BB300_10 Depth=1
	v_cmp_ne_u16_e64 s1, 0x80, v0
	v_mov_b32_e32 v0, 0x8000
	scratch_store_b32 off, v0, s32 offset:496 ; 4-byte Folded Spill
	s_wait_xcnt 0x0
	s_and_saveexec_b32 s16, s1
	s_cbranch_execz .LBB300_1441
; %bb.1436:                             ;   in Loop: Header=BB300_10 Depth=1
	v_bfe_u32 v7, v4, 16, 7
	v_mov_b32_e32 v0, 0x7c01
	s_mov_b32 s17, exec_lo
	scratch_store_b32 off, v0, s32 offset:496 ; 4-byte Folded Spill
	s_wait_xcnt 0x0
	v_cmpx_ne_u32_e32 0x7f, v7
	s_cbranch_execz .LBB300_1440
; %bb.1437:                             ;   in Loop: Header=BB300_10 Depth=1
	v_dual_lshrrev_b32 v6, 3, v7 :: v_dual_bitop2_b32 v0, 7, v8 bitop3:0x40
	s_mov_b32 s18, exec_lo
	v_cmpx_gt_u32_e32 8, v7
; %bb.1438:                             ;   in Loop: Header=BB300_10 Depth=1
	s_delay_alu instid0(VALU_DEP_2) | instskip(NEXT) | instid1(VALU_DEP_1)
	v_clz_i32_u32_e32 v0, v0
	v_min_u32_e32 v0, 32, v0
	s_delay_alu instid0(VALU_DEP_1) | instskip(NEXT) | instid1(VALU_DEP_1)
	v_subrev_nc_u32_e32 v6, 28, v0
	v_lshlrev_b64_e32 v[20:21], v6, v[8:9]
	v_sub_nc_u32_e32 v6, 29, v0
	s_delay_alu instid0(VALU_DEP_2)
	v_and_b32_e32 v0, 7, v20
; %bb.1439:                             ;   in Loop: Header=BB300_10 Depth=1
	s_or_b32 exec_lo, exec_lo, s18
	v_lshlrev_b32_e32 v7, 8, v8
	s_delay_alu instid0(VALU_DEP_3) | instskip(NEXT) | instid1(VALU_DEP_3)
	v_lshl_add_u32 v6, v6, 10, 0x2000
	v_lshlrev_b32_e32 v0, 7, v0
	s_delay_alu instid0(VALU_DEP_3) | instskip(NEXT) | instid1(VALU_DEP_3)
	v_and_b32_e32 v7, 0x8000, v7
	v_and_b32_e32 v6, 0xfc00, v6
	s_delay_alu instid0(VALU_DEP_1)
	v_or3_b32 v0, v7, v6, v0
	scratch_store_b32 off, v0, s32 offset:496 ; 4-byte Folded Spill
.LBB300_1440:                           ;   in Loop: Header=BB300_10 Depth=1
	s_wait_xcnt 0x0
	s_or_b32 exec_lo, exec_lo, s17
.LBB300_1441:                           ;   in Loop: Header=BB300_10 Depth=1
	s_delay_alu instid0(SALU_CYCLE_1)
	s_or_b32 exec_lo, exec_lo, s16
.LBB300_1442:                           ;   in Loop: Header=BB300_10 Depth=1
	s_delay_alu instid0(SALU_CYCLE_1)
	s_or_b32 exec_lo, exec_lo, s11
	v_mov_b32_e32 v0, 0
	s_mov_b32 s11, exec_lo
	scratch_store_b32 off, v0, s32 offset:500 ; 4-byte Folded Spill
	s_wait_xcnt 0x0
	v_mov_b32_e32 v0, 0
	v_cmpx_lt_u32_e32 0xffffff, v4
	s_cbranch_execz .LBB300_1450
; %bb.1443:                             ;   in Loop: Header=BB300_10 Depth=1
	v_lshrrev_b32_e32 v14, 24, v4
	v_bfrev_b32_e32 v0, 1
	s_mov_b32 s16, exec_lo
	s_delay_alu instid0(VALU_DEP_2)
	v_cmpx_ne_u32_e32 0x80, v14
	s_cbranch_execz .LBB300_1449
; %bb.1444:                             ;   in Loop: Header=BB300_10 Depth=1
	v_and_b32_e32 v7, 0x7f, v14
	v_mov_b32_e32 v0, 0x7c010000
	s_mov_b32 s17, exec_lo
	s_delay_alu instid0(VALU_DEP_2)
	v_cmpx_ne_u32_e32 0x7f, v7
	s_cbranch_execz .LBB300_1448
; %bb.1445:                             ;   in Loop: Header=BB300_10 Depth=1
	v_dual_lshrrev_b32 v6, 3, v7 :: v_dual_bitop2_b32 v0, 7, v14 bitop3:0x40
	s_mov_b32 s18, exec_lo
	v_cmpx_gt_u32_e32 8, v7
; %bb.1446:                             ;   in Loop: Header=BB300_10 Depth=1
	s_delay_alu instid0(VALU_DEP_2) | instskip(NEXT) | instid1(VALU_DEP_1)
	v_clz_i32_u32_e32 v0, v0
	v_min_u32_e32 v0, 32, v0
	s_delay_alu instid0(VALU_DEP_1) | instskip(NEXT) | instid1(VALU_DEP_1)
	v_subrev_nc_u32_e32 v6, 28, v0
	v_lshlrev_b64_e32 v[20:21], v6, v[14:15]
	v_sub_nc_u32_e32 v6, 29, v0
	s_delay_alu instid0(VALU_DEP_2)
	v_and_b32_e32 v0, 7, v20
; %bb.1447:                             ;   in Loop: Header=BB300_10 Depth=1
	s_or_b32 exec_lo, exec_lo, s18
	s_delay_alu instid0(VALU_DEP_1) | instskip(NEXT) | instid1(VALU_DEP_3)
	v_dual_lshlrev_b32 v7, 8, v14 :: v_dual_lshlrev_b32 v0, 23, v0
	v_lshl_add_u32 v6, v6, 10, 0x2000
	s_delay_alu instid0(VALU_DEP_1) | instskip(NEXT) | instid1(VALU_DEP_1)
	v_and_or_b32 v6, 0x8000, v7, v6
	v_lshl_or_b32 v0, v6, 16, v0
.LBB300_1448:                           ;   in Loop: Header=BB300_10 Depth=1
	s_or_b32 exec_lo, exec_lo, s17
.LBB300_1449:                           ;   in Loop: Header=BB300_10 Depth=1
	s_delay_alu instid0(SALU_CYCLE_1)
	s_or_b32 exec_lo, exec_lo, s16
.LBB300_1450:                           ;   in Loop: Header=BB300_10 Depth=1
	s_delay_alu instid0(SALU_CYCLE_1) | instskip(SKIP_3) | instid1(VALU_DEP_2)
	s_or_b32 exec_lo, exec_lo, s11
	v_and_b32_e32 v6, 0xff, v5
	v_mov_b32_e32 v14, v5
	s_mov_b32 s11, exec_lo
	v_cmpx_ne_u16_e32 0, v6
	s_cbranch_execz .LBB300_1458
; %bb.1451:                             ;   in Loop: Header=BB300_10 Depth=1
	v_mov_b32_e32 v1, 0x8000
	s_mov_b32 s16, exec_lo
	scratch_store_b32 off, v1, s32 offset:500 ; 4-byte Folded Spill
	s_wait_xcnt 0x0
	v_cmpx_ne_u16_e32 0x80, v6
	s_cbranch_execz .LBB300_1457
; %bb.1452:                             ;   in Loop: Header=BB300_10 Depth=1
	v_and_b32_e32 v8, 0x7f, v5
	v_mov_b32_e32 v1, 0x7c01
	s_mov_b32 s17, exec_lo
	scratch_store_b32 off, v1, s32 offset:500 ; 4-byte Folded Spill
	s_wait_xcnt 0x0
	v_cmpx_ne_u32_e32 0x7f, v8
	s_cbranch_execz .LBB300_1456
; %bb.1453:                             ;   in Loop: Header=BB300_10 Depth=1
	v_dual_lshrrev_b32 v7, 3, v8 :: v_dual_bitop2_b32 v6, 7, v5 bitop3:0x40
	s_mov_b32 s18, exec_lo
	v_cmpx_gt_u32_e32 8, v8
; %bb.1454:                             ;   in Loop: Header=BB300_10 Depth=1
	s_delay_alu instid0(VALU_DEP_2) | instskip(NEXT) | instid1(VALU_DEP_1)
	v_clz_i32_u32_e32 v6, v6
	v_min_u32_e32 v8, 32, v6
	s_delay_alu instid0(VALU_DEP_1) | instskip(NEXT) | instid1(VALU_DEP_1)
	v_subrev_nc_u32_e32 v6, 28, v8
	v_lshlrev_b64_e32 v[6:7], v6, v[14:15]
	s_delay_alu instid0(VALU_DEP_1)
	v_dual_sub_nc_u32 v7, 29, v8 :: v_dual_bitop2_b32 v6, 7, v6 bitop3:0x40
; %bb.1455:                             ;   in Loop: Header=BB300_10 Depth=1
	s_or_b32 exec_lo, exec_lo, s18
	s_delay_alu instid0(VALU_DEP_1) | instskip(NEXT) | instid1(VALU_DEP_2)
	v_dual_lshlrev_b32 v8, 8, v5 :: v_dual_lshlrev_b32 v6, 7, v6
	v_lshl_add_u32 v7, v7, 10, 0x2000
	s_delay_alu instid0(VALU_DEP_2) | instskip(NEXT) | instid1(VALU_DEP_2)
	v_and_b32_e32 v8, 0x8000, v8
	v_and_b32_e32 v7, 0xfc00, v7
	s_delay_alu instid0(VALU_DEP_1)
	v_or3_b32 v1, v8, v7, v6
	scratch_store_b32 off, v1, s32 offset:500 ; 4-byte Folded Spill
.LBB300_1456:                           ;   in Loop: Header=BB300_10 Depth=1
	s_wait_xcnt 0x0
	s_or_b32 exec_lo, exec_lo, s17
.LBB300_1457:                           ;   in Loop: Header=BB300_10 Depth=1
	s_delay_alu instid0(SALU_CYCLE_1)
	s_or_b32 exec_lo, exec_lo, s16
.LBB300_1458:                           ;   in Loop: Header=BB300_10 Depth=1
	s_delay_alu instid0(SALU_CYCLE_1)
	s_or_b32 exec_lo, exec_lo, s11
	v_lshrrev_b16 v14, 8, v14
	v_dual_mov_b32 v1, 0 :: v_dual_mov_b32 v39, 0
	s_mov_b32 s11, exec_lo
	scratch_store_b32 off, v1, s32 offset:504 ; 4-byte Folded Spill
	s_wait_xcnt 0x0
	v_cmpx_ne_u16_e32 0, v14
	s_cbranch_execz .LBB300_1466
; %bb.1459:                             ;   in Loop: Header=BB300_10 Depth=1
	v_bfrev_b32_e32 v39, 1
	s_mov_b32 s16, exec_lo
	v_cmpx_ne_u16_e32 0x80, v14
	s_cbranch_execz .LBB300_1465
; %bb.1460:                             ;   in Loop: Header=BB300_10 Depth=1
	v_and_b32_e32 v7, 0xffff, v14
	v_mov_b32_e32 v39, 0x7c010000
	s_mov_b32 s17, exec_lo
	s_delay_alu instid0(VALU_DEP_2) | instskip(NEXT) | instid1(VALU_DEP_1)
	v_and_b32_e32 v13, 0x7f, v7
	v_cmpx_ne_u32_e32 0x7f, v13
	s_cbranch_execz .LBB300_1464
; %bb.1461:                             ;   in Loop: Header=BB300_10 Depth=1
	v_dual_lshrrev_b32 v11, 3, v13 :: v_dual_bitop2_b32 v8, 7, v7 bitop3:0x40
	s_mov_b32 s18, exec_lo
	v_cmpx_gt_u32_e32 8, v13
; %bb.1462:                             ;   in Loop: Header=BB300_10 Depth=1
	s_delay_alu instid0(VALU_DEP_2) | instskip(NEXT) | instid1(VALU_DEP_1)
	v_clz_i32_u32_e32 v6, v8
	v_min_u32_e32 v6, 32, v6
	s_delay_alu instid0(VALU_DEP_1) | instskip(NEXT) | instid1(VALU_DEP_1)
	v_subrev_nc_u32_e32 v8, 28, v6
	v_lshlrev_b64_e32 v[20:21], v8, v[14:15]
	s_delay_alu instid0(VALU_DEP_1)
	v_dual_sub_nc_u32 v11, 29, v6 :: v_dual_bitop2_b32 v8, 7, v20 bitop3:0x40
; %bb.1463:                             ;   in Loop: Header=BB300_10 Depth=1
	s_or_b32 exec_lo, exec_lo, s18
	v_lshlrev_b32_e32 v6, 8, v7
	s_delay_alu instid0(VALU_DEP_2) | instskip(NEXT) | instid1(VALU_DEP_1)
	v_lshl_add_u32 v7, v11, 10, 0x2000
	v_and_or_b32 v6, 0x8000, v6, v7
	v_lshlrev_b32_e32 v7, 23, v8
	s_delay_alu instid0(VALU_DEP_1)
	v_lshl_or_b32 v39, v6, 16, v7
.LBB300_1464:                           ;   in Loop: Header=BB300_10 Depth=1
	s_or_b32 exec_lo, exec_lo, s17
.LBB300_1465:                           ;   in Loop: Header=BB300_10 Depth=1
	s_delay_alu instid0(SALU_CYCLE_1)
	s_or_b32 exec_lo, exec_lo, s16
.LBB300_1466:                           ;   in Loop: Header=BB300_10 Depth=1
	s_delay_alu instid0(SALU_CYCLE_1) | instskip(SKIP_2) | instid1(VALU_DEP_1)
	s_or_b32 exec_lo, exec_lo, s11
	v_lshrrev_b32_e32 v8, 16, v5
	s_mov_b32 s11, exec_lo
	v_and_b32_e32 v7, 0xff, v8
	s_delay_alu instid0(VALU_DEP_1)
	v_cmpx_ne_u16_e32 0, v7
	s_cbranch_execz .LBB300_1474
; %bb.1467:                             ;   in Loop: Header=BB300_10 Depth=1
	v_mov_b32_e32 v1, 0x8000
	s_mov_b32 s16, exec_lo
	scratch_store_b32 off, v1, s32 offset:504 ; 4-byte Folded Spill
	s_wait_xcnt 0x0
	v_cmpx_ne_u16_e32 0x80, v7
	s_cbranch_execz .LBB300_1473
; %bb.1468:                             ;   in Loop: Header=BB300_10 Depth=1
	v_bfe_u32 v11, v5, 16, 7
	v_mov_b32_e32 v1, 0x7c01
	s_mov_b32 s17, exec_lo
	scratch_store_b32 off, v1, s32 offset:504 ; 4-byte Folded Spill
	s_wait_xcnt 0x0
	v_cmpx_ne_u32_e32 0x7f, v11
	s_cbranch_execz .LBB300_1472
; %bb.1469:                             ;   in Loop: Header=BB300_10 Depth=1
	v_dual_lshrrev_b32 v7, 3, v11 :: v_dual_bitop2_b32 v6, 7, v8 bitop3:0x40
	s_mov_b32 s18, exec_lo
	v_cmpx_gt_u32_e32 8, v11
; %bb.1470:                             ;   in Loop: Header=BB300_10 Depth=1
	s_delay_alu instid0(VALU_DEP_2) | instskip(NEXT) | instid1(VALU_DEP_1)
	v_clz_i32_u32_e32 v6, v6
	v_min_u32_e32 v11, 32, v6
	s_delay_alu instid0(VALU_DEP_1) | instskip(NEXT) | instid1(VALU_DEP_1)
	v_subrev_nc_u32_e32 v6, 28, v11
	v_lshlrev_b64_e32 v[6:7], v6, v[8:9]
	s_delay_alu instid0(VALU_DEP_1)
	v_dual_sub_nc_u32 v7, 29, v11 :: v_dual_bitop2_b32 v6, 7, v6 bitop3:0x40
; %bb.1471:                             ;   in Loop: Header=BB300_10 Depth=1
	s_or_b32 exec_lo, exec_lo, s18
	s_delay_alu instid0(VALU_DEP_1) | instskip(NEXT) | instid1(VALU_DEP_2)
	v_dual_lshlrev_b32 v8, 8, v8 :: v_dual_lshlrev_b32 v6, 7, v6
	v_lshl_add_u32 v7, v7, 10, 0x2000
	s_delay_alu instid0(VALU_DEP_2) | instskip(NEXT) | instid1(VALU_DEP_2)
	v_and_b32_e32 v8, 0x8000, v8
	v_and_b32_e32 v7, 0xfc00, v7
	s_delay_alu instid0(VALU_DEP_1)
	v_or3_b32 v1, v8, v7, v6
	scratch_store_b32 off, v1, s32 offset:504 ; 4-byte Folded Spill
.LBB300_1472:                           ;   in Loop: Header=BB300_10 Depth=1
	s_wait_xcnt 0x0
	s_or_b32 exec_lo, exec_lo, s17
.LBB300_1473:                           ;   in Loop: Header=BB300_10 Depth=1
	s_delay_alu instid0(SALU_CYCLE_1)
	s_or_b32 exec_lo, exec_lo, s16
.LBB300_1474:                           ;   in Loop: Header=BB300_10 Depth=1
	s_delay_alu instid0(SALU_CYCLE_1)
	s_or_b32 exec_lo, exec_lo, s11
	v_dual_mov_b32 v8, 0 :: v_dual_mov_b32 v22, 0
	s_mov_b32 s11, exec_lo
	v_cmpx_lt_u64_e64 s[2:3], v[4:5]
	s_cbranch_execz .LBB300_1482
; %bb.1475:                             ;   in Loop: Header=BB300_10 Depth=1
	v_lshrrev_b32_e32 v14, 24, v5
	v_bfrev_b32_e32 v22, 1
	s_mov_b32 s16, exec_lo
	s_delay_alu instid0(VALU_DEP_2)
	v_cmpx_ne_u32_e32 0x80, v14
	s_cbranch_execz .LBB300_1481
; %bb.1476:                             ;   in Loop: Header=BB300_10 Depth=1
	v_and_b32_e32 v7, 0x7f, v14
	v_mov_b32_e32 v22, 0x7c010000
	s_mov_b32 s17, exec_lo
	s_delay_alu instid0(VALU_DEP_2)
	v_cmpx_ne_u32_e32 0x7f, v7
	s_cbranch_execz .LBB300_1480
; %bb.1477:                             ;   in Loop: Header=BB300_10 Depth=1
	v_dual_lshrrev_b32 v5, 3, v7 :: v_dual_bitop2_b32 v4, 7, v14 bitop3:0x40
	s_mov_b32 s18, exec_lo
	v_cmpx_gt_u32_e32 8, v7
; %bb.1478:                             ;   in Loop: Header=BB300_10 Depth=1
	s_delay_alu instid0(VALU_DEP_2) | instskip(NEXT) | instid1(VALU_DEP_1)
	v_clz_i32_u32_e32 v4, v4
	v_min_u32_e32 v6, 32, v4
	s_delay_alu instid0(VALU_DEP_1) | instskip(NEXT) | instid1(VALU_DEP_1)
	v_subrev_nc_u32_e32 v4, 28, v6
	v_lshlrev_b64_e32 v[4:5], v4, v[14:15]
	s_delay_alu instid0(VALU_DEP_1)
	v_dual_sub_nc_u32 v5, 29, v6 :: v_dual_bitop2_b32 v4, 7, v4 bitop3:0x40
; %bb.1479:                             ;   in Loop: Header=BB300_10 Depth=1
	s_or_b32 exec_lo, exec_lo, s18
	s_delay_alu instid0(VALU_DEP_1) | instskip(NEXT) | instid1(VALU_DEP_2)
	v_dual_lshlrev_b32 v6, 8, v14 :: v_dual_lshlrev_b32 v4, 23, v4
	v_lshl_add_u32 v5, v5, 10, 0x2000
	s_delay_alu instid0(VALU_DEP_1) | instskip(NEXT) | instid1(VALU_DEP_1)
	v_and_or_b32 v5, 0x8000, v6, v5
	v_lshl_or_b32 v22, v5, 16, v4
.LBB300_1480:                           ;   in Loop: Header=BB300_10 Depth=1
	s_or_b32 exec_lo, exec_lo, s17
.LBB300_1481:                           ;   in Loop: Header=BB300_10 Depth=1
	s_delay_alu instid0(SALU_CYCLE_1)
	s_or_b32 exec_lo, exec_lo, s16
.LBB300_1482:                           ;   in Loop: Header=BB300_10 Depth=1
	s_delay_alu instid0(SALU_CYCLE_1)
	s_or_b32 exec_lo, exec_lo, s11
	flat_load_b64 v[2:3], v[2:3] offset:5640
	s_mov_b32 s11, exec_lo
	s_wait_loadcnt_dscnt 0x0
	v_and_b32_e32 v4, 0xff, v2
	s_wait_xcnt 0x0
	s_delay_alu instid0(VALU_DEP_1)
	v_cmpx_ne_u16_e32 0, v4
	s_cbranch_execz .LBB300_1490
; %bb.1483:                             ;   in Loop: Header=BB300_10 Depth=1
	v_mov_b32_e32 v8, 0x8000
	s_mov_b32 s16, exec_lo
	v_cmpx_ne_u16_e32 0x80, v4
	s_cbranch_execz .LBB300_1489
; %bb.1484:                             ;   in Loop: Header=BB300_10 Depth=1
	v_and_b32_e32 v7, 0x7f, v2
	v_mov_b32_e32 v8, 0x7c01
	s_mov_b32 s17, exec_lo
	s_delay_alu instid0(VALU_DEP_2)
	v_cmpx_ne_u32_e32 0x7f, v7
	s_cbranch_execz .LBB300_1488
; %bb.1485:                             ;   in Loop: Header=BB300_10 Depth=1
	v_dual_lshrrev_b32 v5, 3, v7 :: v_dual_bitop2_b32 v4, 7, v2 bitop3:0x40
	s_mov_b32 s18, exec_lo
	v_cmpx_gt_u32_e32 8, v7
; %bb.1486:                             ;   in Loop: Header=BB300_10 Depth=1
	s_delay_alu instid0(VALU_DEP_2) | instskip(NEXT) | instid1(VALU_DEP_1)
	v_clz_i32_u32_e32 v4, v4
	v_min_u32_e32 v6, 32, v4
	s_delay_alu instid0(VALU_DEP_1) | instskip(NEXT) | instid1(VALU_DEP_1)
	v_subrev_nc_u32_e32 v4, 28, v6
	v_lshlrev_b64_e32 v[4:5], v4, v[2:3]
	s_delay_alu instid0(VALU_DEP_1)
	v_dual_sub_nc_u32 v5, 29, v6 :: v_dual_bitop2_b32 v4, 7, v4 bitop3:0x40
; %bb.1487:                             ;   in Loop: Header=BB300_10 Depth=1
	s_or_b32 exec_lo, exec_lo, s18
	s_delay_alu instid0(VALU_DEP_1) | instskip(NEXT) | instid1(VALU_DEP_2)
	v_dual_lshlrev_b32 v6, 8, v2 :: v_dual_lshlrev_b32 v4, 7, v4
	v_lshl_add_u32 v5, v5, 10, 0x2000
	s_delay_alu instid0(VALU_DEP_2) | instskip(NEXT) | instid1(VALU_DEP_2)
	v_and_b32_e32 v6, 0x8000, v6
	v_and_b32_e32 v5, 0xfc00, v5
	s_delay_alu instid0(VALU_DEP_1)
	v_or3_b32 v8, v6, v5, v4
.LBB300_1488:                           ;   in Loop: Header=BB300_10 Depth=1
	s_or_b32 exec_lo, exec_lo, s17
.LBB300_1489:                           ;   in Loop: Header=BB300_10 Depth=1
	s_delay_alu instid0(SALU_CYCLE_1)
	s_or_b32 exec_lo, exec_lo, s16
.LBB300_1490:                           ;   in Loop: Header=BB300_10 Depth=1
	s_delay_alu instid0(SALU_CYCLE_1)
	s_or_b32 exec_lo, exec_lo, s11
	v_lshrrev_b16 v14, 8, v2
	v_dual_mov_b32 v1, 0 :: v_dual_mov_b32 v13, 0
	s_mov_b32 s11, exec_lo
	scratch_store_b32 off, v1, s32 offset:508 ; 4-byte Folded Spill
	s_wait_xcnt 0x0
	v_cmpx_ne_u16_e32 0, v14
	s_cbranch_execz .LBB300_1498
; %bb.1491:                             ;   in Loop: Header=BB300_10 Depth=1
	v_bfrev_b32_e32 v13, 1
	s_mov_b32 s16, exec_lo
	v_cmpx_ne_u16_e32 0x80, v14
	s_cbranch_execz .LBB300_1497
; %bb.1492:                             ;   in Loop: Header=BB300_10 Depth=1
	v_and_b32_e32 v4, 0xffff, v14
	v_mov_b32_e32 v13, 0x7c010000
	s_mov_b32 s17, exec_lo
	s_delay_alu instid0(VALU_DEP_2) | instskip(NEXT) | instid1(VALU_DEP_1)
	v_and_b32_e32 v11, 0x7f, v4
	v_cmpx_ne_u32_e32 0x7f, v11
	s_cbranch_execz .LBB300_1496
; %bb.1493:                             ;   in Loop: Header=BB300_10 Depth=1
	v_dual_lshrrev_b32 v7, 3, v11 :: v_dual_bitop2_b32 v5, 7, v4 bitop3:0x40
	s_mov_b32 s18, exec_lo
	v_cmpx_gt_u32_e32 8, v11
; %bb.1494:                             ;   in Loop: Header=BB300_10 Depth=1
	s_delay_alu instid0(VALU_DEP_2) | instskip(NEXT) | instid1(VALU_DEP_1)
	v_clz_i32_u32_e32 v5, v5
	v_min_u32_e32 v5, 32, v5
	s_delay_alu instid0(VALU_DEP_1) | instskip(NEXT) | instid1(VALU_DEP_1)
	v_subrev_nc_u32_e32 v6, 28, v5
	v_lshlrev_b64_e32 v[20:21], v6, v[14:15]
	s_delay_alu instid0(VALU_DEP_1)
	v_dual_sub_nc_u32 v7, 29, v5 :: v_dual_bitop2_b32 v5, 7, v20 bitop3:0x40
; %bb.1495:                             ;   in Loop: Header=BB300_10 Depth=1
	s_or_b32 exec_lo, exec_lo, s18
	s_delay_alu instid0(VALU_DEP_1) | instskip(NEXT) | instid1(VALU_DEP_2)
	v_dual_lshlrev_b32 v4, 8, v4 :: v_dual_lshlrev_b32 v5, 23, v5
	v_lshl_add_u32 v6, v7, 10, 0x2000
	s_delay_alu instid0(VALU_DEP_1) | instskip(NEXT) | instid1(VALU_DEP_1)
	v_and_or_b32 v4, 0x8000, v4, v6
	v_lshl_or_b32 v13, v4, 16, v5
.LBB300_1496:                           ;   in Loop: Header=BB300_10 Depth=1
	s_or_b32 exec_lo, exec_lo, s17
.LBB300_1497:                           ;   in Loop: Header=BB300_10 Depth=1
	s_delay_alu instid0(SALU_CYCLE_1)
	s_or_b32 exec_lo, exec_lo, s16
.LBB300_1498:                           ;   in Loop: Header=BB300_10 Depth=1
	s_delay_alu instid0(SALU_CYCLE_1) | instskip(SKIP_2) | instid1(VALU_DEP_1)
	s_or_b32 exec_lo, exec_lo, s11
	v_lshrrev_b32_e32 v4, 16, v2
	s_mov_b32 s11, exec_lo
	v_and_b32_e32 v5, 0xff, v4
	s_delay_alu instid0(VALU_DEP_1)
	v_cmpx_ne_u16_e32 0, v5
	s_cbranch_execz .LBB300_1506
; %bb.1499:                             ;   in Loop: Header=BB300_10 Depth=1
	v_mov_b32_e32 v1, 0x8000
	s_mov_b32 s16, exec_lo
	scratch_store_b32 off, v1, s32 offset:508 ; 4-byte Folded Spill
	s_wait_xcnt 0x0
	v_cmpx_ne_u16_e32 0x80, v5
	s_cbranch_execz .LBB300_1505
; %bb.1500:                             ;   in Loop: Header=BB300_10 Depth=1
	v_bfe_u32 v11, v2, 16, 7
	v_mov_b32_e32 v1, 0x7c01
	s_mov_b32 s17, exec_lo
	scratch_store_b32 off, v1, s32 offset:508 ; 4-byte Folded Spill
	s_wait_xcnt 0x0
	v_cmpx_ne_u32_e32 0x7f, v11
	s_cbranch_execz .LBB300_1504
; %bb.1501:                             ;   in Loop: Header=BB300_10 Depth=1
	v_dual_lshrrev_b32 v7, 3, v11 :: v_dual_bitop2_b32 v5, 7, v4 bitop3:0x40
	s_mov_b32 s18, exec_lo
	v_cmpx_gt_u32_e32 8, v11
; %bb.1502:                             ;   in Loop: Header=BB300_10 Depth=1
	s_delay_alu instid0(VALU_DEP_2) | instskip(NEXT) | instid1(VALU_DEP_1)
	v_clz_i32_u32_e32 v5, v5
	v_min_u32_e32 v5, 32, v5
	s_delay_alu instid0(VALU_DEP_1) | instskip(NEXT) | instid1(VALU_DEP_1)
	v_subrev_nc_u32_e32 v6, 28, v5
	v_lshlrev_b64_e32 v[20:21], v6, v[4:5]
	s_delay_alu instid0(VALU_DEP_1)
	v_dual_sub_nc_u32 v7, 29, v5 :: v_dual_bitop2_b32 v5, 7, v20 bitop3:0x40
; %bb.1503:                             ;   in Loop: Header=BB300_10 Depth=1
	s_or_b32 exec_lo, exec_lo, s18
	s_delay_alu instid0(VALU_DEP_1) | instskip(NEXT) | instid1(VALU_DEP_2)
	v_dual_lshlrev_b32 v4, 8, v4 :: v_dual_lshlrev_b32 v5, 7, v5
	v_lshl_add_u32 v6, v7, 10, 0x2000
	s_delay_alu instid0(VALU_DEP_2) | instskip(NEXT) | instid1(VALU_DEP_2)
	v_and_b32_e32 v4, 0x8000, v4
	v_and_b32_e32 v6, 0xfc00, v6
	s_delay_alu instid0(VALU_DEP_1)
	v_or3_b32 v1, v4, v6, v5
	scratch_store_b32 off, v1, s32 offset:508 ; 4-byte Folded Spill
.LBB300_1504:                           ;   in Loop: Header=BB300_10 Depth=1
	s_wait_xcnt 0x0
	s_or_b32 exec_lo, exec_lo, s17
.LBB300_1505:                           ;   in Loop: Header=BB300_10 Depth=1
	s_delay_alu instid0(SALU_CYCLE_1)
	s_or_b32 exec_lo, exec_lo, s16
.LBB300_1506:                           ;   in Loop: Header=BB300_10 Depth=1
	s_delay_alu instid0(SALU_CYCLE_1)
	s_or_b32 exec_lo, exec_lo, s11
	v_dual_mov_b32 v1, 0 :: v_dual_mov_b32 v21, 0
	s_mov_b32 s11, exec_lo
	scratch_store_b32 off, v1, s32 offset:512 ; 4-byte Folded Spill
	s_wait_xcnt 0x0
	v_cmpx_lt_u32_e32 0xffffff, v2
	s_cbranch_execz .LBB300_1514
; %bb.1507:                             ;   in Loop: Header=BB300_10 Depth=1
	v_lshrrev_b32_e32 v14, 24, v2
	v_bfrev_b32_e32 v21, 1
	s_mov_b32 s16, exec_lo
	s_delay_alu instid0(VALU_DEP_2)
	v_cmpx_ne_u32_e32 0x80, v14
	s_cbranch_execz .LBB300_1513
; %bb.1508:                             ;   in Loop: Header=BB300_10 Depth=1
	v_and_b32_e32 v7, 0x7f, v14
	v_mov_b32_e32 v21, 0x7c010000
	s_mov_b32 s17, exec_lo
	s_delay_alu instid0(VALU_DEP_2)
	v_cmpx_ne_u32_e32 0x7f, v7
	s_cbranch_execz .LBB300_1512
; %bb.1509:                             ;   in Loop: Header=BB300_10 Depth=1
	v_dual_lshrrev_b32 v5, 3, v7 :: v_dual_bitop2_b32 v4, 7, v14 bitop3:0x40
	s_mov_b32 s18, exec_lo
	v_cmpx_gt_u32_e32 8, v7
; %bb.1510:                             ;   in Loop: Header=BB300_10 Depth=1
	s_delay_alu instid0(VALU_DEP_2) | instskip(NEXT) | instid1(VALU_DEP_1)
	v_clz_i32_u32_e32 v4, v4
	v_min_u32_e32 v6, 32, v4
	s_delay_alu instid0(VALU_DEP_1) | instskip(NEXT) | instid1(VALU_DEP_1)
	v_subrev_nc_u32_e32 v4, 28, v6
	v_lshlrev_b64_e32 v[4:5], v4, v[14:15]
	s_delay_alu instid0(VALU_DEP_1)
	v_dual_sub_nc_u32 v5, 29, v6 :: v_dual_bitop2_b32 v4, 7, v4 bitop3:0x40
; %bb.1511:                             ;   in Loop: Header=BB300_10 Depth=1
	s_or_b32 exec_lo, exec_lo, s18
	s_delay_alu instid0(VALU_DEP_1) | instskip(NEXT) | instid1(VALU_DEP_2)
	v_dual_lshlrev_b32 v6, 8, v14 :: v_dual_lshlrev_b32 v4, 23, v4
	v_lshl_add_u32 v5, v5, 10, 0x2000
	s_delay_alu instid0(VALU_DEP_1) | instskip(NEXT) | instid1(VALU_DEP_1)
	v_and_or_b32 v5, 0x8000, v6, v5
	v_lshl_or_b32 v21, v5, 16, v4
.LBB300_1512:                           ;   in Loop: Header=BB300_10 Depth=1
	s_or_b32 exec_lo, exec_lo, s17
.LBB300_1513:                           ;   in Loop: Header=BB300_10 Depth=1
	s_delay_alu instid0(SALU_CYCLE_1)
	s_or_b32 exec_lo, exec_lo, s16
.LBB300_1514:                           ;   in Loop: Header=BB300_10 Depth=1
	s_delay_alu instid0(SALU_CYCLE_1) | instskip(SKIP_3) | instid1(VALU_DEP_2)
	s_or_b32 exec_lo, exec_lo, s11
	v_and_b32_e32 v4, 0xff, v3
	v_mov_b32_e32 v14, v3
	s_mov_b32 s11, exec_lo
	v_cmpx_ne_u16_e32 0, v4
	s_cbranch_execz .LBB300_1522
; %bb.1515:                             ;   in Loop: Header=BB300_10 Depth=1
	v_mov_b32_e32 v1, 0x8000
	s_mov_b32 s16, exec_lo
	scratch_store_b32 off, v1, s32 offset:512 ; 4-byte Folded Spill
	s_wait_xcnt 0x0
	v_cmpx_ne_u16_e32 0x80, v4
	s_cbranch_execz .LBB300_1521
; %bb.1516:                             ;   in Loop: Header=BB300_10 Depth=1
	v_and_b32_e32 v7, 0x7f, v3
	v_mov_b32_e32 v1, 0x7c01
	s_mov_b32 s17, exec_lo
	scratch_store_b32 off, v1, s32 offset:512 ; 4-byte Folded Spill
	s_wait_xcnt 0x0
	v_cmpx_ne_u32_e32 0x7f, v7
	s_cbranch_execz .LBB300_1520
; %bb.1517:                             ;   in Loop: Header=BB300_10 Depth=1
	v_and_b32_e32 v4, 7, v3
	v_lshrrev_b32_e32 v5, 3, v7
	s_mov_b32 s18, exec_lo
	v_cmpx_gt_u32_e32 8, v7
; %bb.1518:                             ;   in Loop: Header=BB300_10 Depth=1
	s_delay_alu instid0(VALU_DEP_3) | instskip(NEXT) | instid1(VALU_DEP_1)
	v_clz_i32_u32_e32 v4, v4
	v_min_u32_e32 v6, 32, v4
	s_delay_alu instid0(VALU_DEP_1) | instskip(NEXT) | instid1(VALU_DEP_1)
	v_subrev_nc_u32_e32 v4, 28, v6
	v_lshlrev_b64_e32 v[4:5], v4, v[14:15]
	s_delay_alu instid0(VALU_DEP_1)
	v_dual_sub_nc_u32 v5, 29, v6 :: v_dual_bitop2_b32 v4, 7, v4 bitop3:0x40
; %bb.1519:                             ;   in Loop: Header=BB300_10 Depth=1
	s_or_b32 exec_lo, exec_lo, s18
	s_delay_alu instid0(VALU_DEP_1) | instskip(NEXT) | instid1(VALU_DEP_2)
	v_dual_lshlrev_b32 v6, 8, v3 :: v_dual_lshlrev_b32 v4, 7, v4
	v_lshl_add_u32 v5, v5, 10, 0x2000
	s_delay_alu instid0(VALU_DEP_2) | instskip(NEXT) | instid1(VALU_DEP_2)
	v_and_b32_e32 v6, 0x8000, v6
	v_and_b32_e32 v5, 0xfc00, v5
	s_delay_alu instid0(VALU_DEP_1)
	v_or3_b32 v1, v6, v5, v4
	scratch_store_b32 off, v1, s32 offset:512 ; 4-byte Folded Spill
.LBB300_1520:                           ;   in Loop: Header=BB300_10 Depth=1
	s_wait_xcnt 0x0
	s_or_b32 exec_lo, exec_lo, s17
.LBB300_1521:                           ;   in Loop: Header=BB300_10 Depth=1
	s_delay_alu instid0(SALU_CYCLE_1)
	s_or_b32 exec_lo, exec_lo, s16
.LBB300_1522:                           ;   in Loop: Header=BB300_10 Depth=1
	s_delay_alu instid0(SALU_CYCLE_1) | instskip(SKIP_3) | instid1(VALU_DEP_2)
	s_or_b32 exec_lo, exec_lo, s11
	v_lshrrev_b16 v14, 8, v14
	v_dual_mov_b32 v7, 0 :: v_dual_mov_b32 v11, 0
	s_mov_b32 s11, exec_lo
	v_cmpx_ne_u16_e32 0, v14
	s_cbranch_execz .LBB300_1530
; %bb.1523:                             ;   in Loop: Header=BB300_10 Depth=1
	v_bfrev_b32_e32 v11, 1
	s_mov_b32 s16, exec_lo
	v_cmpx_ne_u16_e32 0x80, v14
	s_cbranch_execz .LBB300_1529
; %bb.1524:                             ;   in Loop: Header=BB300_10 Depth=1
	v_and_b32_e32 v4, 0xffff, v14
	v_mov_b32_e32 v11, 0x7c010000
	s_mov_b32 s17, exec_lo
	s_delay_alu instid0(VALU_DEP_2) | instskip(NEXT) | instid1(VALU_DEP_1)
	v_and_b32_e32 v23, 0x7f, v4
	v_cmpx_ne_u32_e32 0x7f, v23
	s_cbranch_execz .LBB300_1528
; %bb.1525:                             ;   in Loop: Header=BB300_10 Depth=1
	v_dual_lshrrev_b32 v11, 3, v23 :: v_dual_bitop2_b32 v5, 7, v4 bitop3:0x40
	s_mov_b32 s18, exec_lo
	v_cmpx_gt_u32_e32 8, v23
	s_cbranch_execz .LBB300_1527
; %bb.1526:                             ;   in Loop: Header=BB300_10 Depth=1
	s_delay_alu instid0(VALU_DEP_2) | instskip(NEXT) | instid1(VALU_DEP_1)
	v_clz_i32_u32_e32 v5, v5
	v_min_u32_e32 v5, 32, v5
	s_delay_alu instid0(VALU_DEP_1) | instskip(SKIP_1) | instid1(VALU_DEP_1)
	v_dual_mov_b32 v7, v35 :: v_dual_sub_nc_u32 v11, 29, v5
	v_subrev_nc_u32_e32 v6, 28, v5
	v_lshlrev_b64_e32 v[34:35], v6, v[14:15]
	s_delay_alu instid0(VALU_DEP_3) | instskip(NEXT) | instid1(VALU_DEP_2)
	v_dual_mov_b32 v35, v7 :: v_dual_mov_b32 v7, 0
	v_and_b32_e32 v5, 7, v34
.LBB300_1527:                           ;   in Loop: Header=BB300_10 Depth=1
	s_or_b32 exec_lo, exec_lo, s18
	s_delay_alu instid0(VALU_DEP_1) | instskip(SKIP_1) | instid1(VALU_DEP_1)
	v_dual_lshlrev_b32 v4, 8, v4 :: v_dual_lshlrev_b32 v5, 23, v5
	v_lshl_add_u32 v6, v11, 10, 0x2000
	v_and_or_b32 v4, 0x8000, v4, v6
	s_delay_alu instid0(VALU_DEP_1)
	v_lshl_or_b32 v11, v4, 16, v5
.LBB300_1528:                           ;   in Loop: Header=BB300_10 Depth=1
	s_or_b32 exec_lo, exec_lo, s17
.LBB300_1529:                           ;   in Loop: Header=BB300_10 Depth=1
	s_delay_alu instid0(SALU_CYCLE_1)
	s_or_b32 exec_lo, exec_lo, s16
.LBB300_1530:                           ;   in Loop: Header=BB300_10 Depth=1
	s_delay_alu instid0(SALU_CYCLE_1) | instskip(SKIP_2) | instid1(VALU_DEP_1)
	s_or_b32 exec_lo, exec_lo, s11
	v_lshrrev_b32_e32 v4, 16, v3
	s_mov_b32 s11, exec_lo
	v_and_b32_e32 v5, 0xff, v4
	s_delay_alu instid0(VALU_DEP_1)
	v_cmpx_ne_u16_e32 0, v5
	s_cbranch_execz .LBB300_1538
; %bb.1531:                             ;   in Loop: Header=BB300_10 Depth=1
	v_mov_b32_e32 v7, 0x8000
	s_mov_b32 s16, exec_lo
	v_cmpx_ne_u16_e32 0x80, v5
	s_cbranch_execz .LBB300_1537
; %bb.1532:                             ;   in Loop: Header=BB300_10 Depth=1
	v_bfe_u32 v14, v3, 16, 7
	v_mov_b32_e32 v7, 0x7c01
	s_mov_b32 s17, exec_lo
	s_delay_alu instid0(VALU_DEP_2)
	v_cmpx_ne_u32_e32 0x7f, v14
	s_cbranch_execz .LBB300_1536
; %bb.1533:                             ;   in Loop: Header=BB300_10 Depth=1
	v_dual_lshrrev_b32 v7, 3, v14 :: v_dual_bitop2_b32 v5, 7, v4 bitop3:0x40
	s_mov_b32 s18, exec_lo
	v_cmpx_gt_u32_e32 8, v14
	s_cbranch_execz .LBB300_1535
; %bb.1534:                             ;   in Loop: Header=BB300_10 Depth=1
	s_delay_alu instid0(VALU_DEP_2) | instskip(SKIP_1) | instid1(VALU_DEP_2)
	v_clz_i32_u32_e32 v5, v5
	v_mov_b32_e32 v7, v35
	v_min_u32_e32 v5, 32, v5
	s_delay_alu instid0(VALU_DEP_1) | instskip(NEXT) | instid1(VALU_DEP_1)
	v_subrev_nc_u32_e32 v6, 28, v5
	v_lshlrev_b64_e32 v[34:35], v6, v[4:5]
	s_delay_alu instid0(VALU_DEP_4) | instskip(NEXT) | instid1(VALU_DEP_2)
	v_dual_mov_b32 v35, v7 :: v_dual_sub_nc_u32 v7, 29, v5
	v_and_b32_e32 v5, 7, v34
.LBB300_1535:                           ;   in Loop: Header=BB300_10 Depth=1
	s_or_b32 exec_lo, exec_lo, s18
	s_delay_alu instid0(VALU_DEP_1) | instskip(NEXT) | instid1(VALU_DEP_3)
	v_dual_lshlrev_b32 v4, 8, v4 :: v_dual_lshlrev_b32 v5, 7, v5
	v_lshl_add_u32 v6, v7, 10, 0x2000
	s_delay_alu instid0(VALU_DEP_2) | instskip(NEXT) | instid1(VALU_DEP_2)
	v_and_b32_e32 v4, 0x8000, v4
	v_and_b32_e32 v6, 0xfc00, v6
	s_delay_alu instid0(VALU_DEP_1)
	v_or3_b32 v7, v4, v6, v5
.LBB300_1536:                           ;   in Loop: Header=BB300_10 Depth=1
	s_or_b32 exec_lo, exec_lo, s17
.LBB300_1537:                           ;   in Loop: Header=BB300_10 Depth=1
	s_delay_alu instid0(SALU_CYCLE_1)
	s_or_b32 exec_lo, exec_lo, s16
.LBB300_1538:                           ;   in Loop: Header=BB300_10 Depth=1
	s_delay_alu instid0(SALU_CYCLE_1)
	s_or_b32 exec_lo, exec_lo, s11
	v_dual_mov_b32 v18, v16 :: v_dual_mov_b32 v16, v121
	v_dual_mov_b32 v9, v111 :: v_dual_mov_b32 v20, v110
	;; [unrolled: 1-line block ×24, first 2 shown]
	s_clause 0x3
	scratch_store_b32 off, v7, s32 offset:584
	scratch_store_b32 off, v8, s32 offset:580
	;; [unrolled: 1-line block ×4, first 2 shown]
	v_cmp_lt_u64_e64 s1, s[2:3], v[2:3]
	s_wait_xcnt 0x0
	s_mov_b32 s11, exec_lo
	v_dual_mov_b32 v36, v31 :: v_dual_mov_b32 v127, v48
	v_mov_b32_e32 v126, v49
	s_and_b32 s1, s11, s1
	s_delay_alu instid0(SALU_CYCLE_1)
	s_mov_b32 exec_lo, s1
	s_cbranch_execz .LBB300_9
; %bb.1539:                             ;   in Loop: Header=BB300_10 Depth=1
	v_lshrrev_b32_e32 v14, 24, v3
	v_bfrev_b32_e32 v23, 1
	s_mov_b32 s16, exec_lo
	s_delay_alu instid0(VALU_DEP_2)
	v_cmpx_ne_u32_e32 0x80, v14
	s_cbranch_execz .LBB300_8
; %bb.1540:                             ;   in Loop: Header=BB300_10 Depth=1
	v_and_b32_e32 v4, 0x7f, v14
	v_mov_b32_e32 v23, 0x7c010000
	s_mov_b32 s17, exec_lo
	s_delay_alu instid0(VALU_DEP_2)
	v_cmpx_ne_u32_e32 0x7f, v4
	s_cbranch_execz .LBB300_7
; %bb.1541:                             ;   in Loop: Header=BB300_10 Depth=1
	v_dual_lshrrev_b32 v3, 3, v4 :: v_dual_bitop2_b32 v2, 7, v14 bitop3:0x40
	s_mov_b32 s18, exec_lo
	v_cmpx_gt_u32_e32 8, v4
	s_cbranch_execz .LBB300_6
; %bb.1542:                             ;   in Loop: Header=BB300_10 Depth=1
	s_delay_alu instid0(VALU_DEP_2) | instskip(NEXT) | instid1(VALU_DEP_1)
	v_clz_i32_u32_e32 v2, v2
	v_min_u32_e32 v4, 32, v2
	s_delay_alu instid0(VALU_DEP_1) | instskip(NEXT) | instid1(VALU_DEP_1)
	v_subrev_nc_u32_e32 v2, 28, v4
	v_lshlrev_b64_e32 v[2:3], v2, v[14:15]
	s_delay_alu instid0(VALU_DEP_1)
	v_dual_sub_nc_u32 v3, 29, v4 :: v_dual_bitop2_b32 v2, 7, v2 bitop3:0x40
	s_branch .LBB300_6
.LBB300_1543:
	s_or_b32 exec_lo, exec_lo, s9
	s_clause 0x1
	scratch_load_b32 v13, off, s32 offset:616
	scratch_load_b32 v10, off, s32 offset:672
.LBB300_1544:
	s_wait_xcnt 0x0
	s_or_b32 exec_lo, exec_lo, s8
	v_mbcnt_lo_u32_b32 v0, -1, 0
	v_max_num_f32_e32 v4, v24, v24
	s_delay_alu instid0(VALU_DEP_2) | instskip(SKIP_1) | instid1(VALU_DEP_1)
	v_xor_b32_e32 v3, 8, v0
	v_xor_b32_e32 v1, 16, v0
	v_cmp_gt_i32_e32 vcc_lo, 32, v1
	v_cndmask_b32_e32 v1, v0, v1, vcc_lo
	s_delay_alu instid0(VALU_DEP_1) | instskip(SKIP_3) | instid1(VALU_DEP_1)
	v_lshlrev_b32_e32 v1, 2, v1
	ds_bpermute_b32 v2, v1, v24
	s_wait_dscnt 0x0
	v_max_num_f32_e32 v5, v2, v2
	v_max_num_f32_e32 v4, v4, v5
	v_cmp_gt_i32_e32 vcc_lo, 32, v3
	v_dual_cndmask_b32 v3, v0, v3, vcc_lo :: v_dual_bitop2_b32 v5, 4, v0 bitop3:0x14
	s_delay_alu instid0(VALU_DEP_1) | instskip(NEXT) | instid1(VALU_DEP_2)
	v_cmp_gt_i32_e32 vcc_lo, 32, v5
	v_lshlrev_b32_e32 v2, 2, v3
	ds_bpermute_b32 v3, v2, v4
	s_wait_dscnt 0x0
	v_dual_cndmask_b32 v5, v0, v5 :: v_dual_max_num_f32 v6, v3, v3
	s_delay_alu instid0(VALU_DEP_1) | instskip(SKIP_3) | instid1(VALU_DEP_1)
	v_dual_max_num_f32 v4, v4, v6 :: v_dual_lshlrev_b32 v3, 2, v5
	ds_bpermute_b32 v5, v3, v4
	s_wait_dscnt 0x0
	v_dual_max_num_f32 v5, v5, v5 :: v_dual_bitop2_b32 v6, 2, v0 bitop3:0x14
	v_cmp_gt_i32_e32 vcc_lo, 32, v6
	s_delay_alu instid0(VALU_DEP_2) | instskip(SKIP_1) | instid1(VALU_DEP_1)
	v_max_num_f32_e32 v4, v4, v5
	v_cndmask_b32_e32 v6, v0, v6, vcc_lo
	v_lshlrev_b32_e32 v67, 2, v6
	ds_bpermute_b32 v5, v67, v4
	s_wait_dscnt 0x0
	v_dual_max_num_f32 v5, v5, v5 :: v_dual_bitop2_b32 v6, 1, v0 bitop3:0x14
	s_delay_alu instid0(VALU_DEP_1) | instskip(SKIP_1) | instid1(VALU_DEP_3)
	v_cmp_gt_i32_e32 vcc_lo, 32, v6
	v_cndmask_b32_e32 v6, v0, v6, vcc_lo
	v_max_num_f32_e32 v0, v4, v5
	scratch_load_b32 v4, off, s32 offset:620 ; 4-byte Folded Reload
	s_wait_loadcnt 0x0
	v_cmp_eq_u32_e32 vcc_lo, 0, v4
	scratch_load_b32 v4, off, s32 offset:624 ; 4-byte Folded Reload
	s_wait_loadcnt 0x0
	v_dual_lshlrev_b32 v4, 2, v4 :: v_dual_lshlrev_b32 v66, 2, v6
	ds_bpermute_b32 v5, v66, v0
	s_wait_xcnt 0x0
	s_and_saveexec_b32 s1, vcc_lo
	s_cbranch_execz .LBB300_1546
; %bb.1545:
	s_wait_dscnt 0x0
	v_dual_max_num_f32 v5, v5, v5 :: v_dual_max_num_f32 v0, v0, v0
	s_delay_alu instid0(VALU_DEP_1)
	v_max_num_f32_e32 v0, v0, v5
	ds_store_b32 v4, v0 offset:384
.LBB300_1546:
	s_or_b32 exec_lo, exec_lo, s1
	scratch_load_b32 v0, off, s32 offset:620 ; 4-byte Folded Reload
	s_wait_storecnt 0x0
	s_wait_loadcnt_dscnt 0x0
	s_barrier_signal -1
	s_barrier_wait -1
	v_cmp_gt_u32_e64 s1, 4, v0
	v_mov_b32_e32 v0, 0xff7fffff
	s_and_saveexec_b32 s2, s1
; %bb.1547:
	ds_load_b32 v0, v10 offset:384
; %bb.1548:
	s_or_b32 exec_lo, exec_lo, s2
	s_wait_dscnt 0x0
	ds_bpermute_b32 v5, v67, v0
	s_wait_dscnt 0x0
	v_dual_max_num_f32 v0, v0, v0 :: v_dual_max_num_f32 v5, v5, v5
	s_delay_alu instid0(VALU_DEP_1) | instskip(SKIP_3) | instid1(VALU_DEP_1)
	v_max_num_f32_e32 v0, v0, v5
	ds_bpermute_b32 v5, v66, v0
	s_wait_dscnt 0x0
	v_max_num_f32_e32 v5, v5, v5
	v_dual_max_num_f32 v0, v0, v5 :: v_dual_mov_b32 v5, 0
	ds_bpermute_b32 v6, v5, v0
	v_lshlrev_b32_e32 v0, 5, v104
	s_delay_alu instid0(VALU_DEP_1) | instskip(NEXT) | instid1(VALU_DEP_1)
	v_min_i32_e32 v0, v0, v12
	v_cmp_lt_i32_e64 s2, v13, v0
	s_and_saveexec_b32 s8, s2
	s_cbranch_execz .LBB300_1552
; %bb.1549:
	s_ashr_i32 s11, s10, 31
	v_dual_mov_b32 v5, 0 :: v_dual_mov_b32 v8, v13
	s_lshl_b64 s[16:17], s[10:11], 2
	s_mov_b32 s9, 0
	s_add_nc_u64 s[16:17], s[6:7], s[16:17]
	s_load_b32 s3, s[16:17], 0x0
	s_wait_kmcnt 0x0
	v_lshl_add_u32 v7, v13, 2, s3
.LBB300_1550:                           ; =>This Inner Loop Header: Depth=1
	ds_load_b32 v9, v7
	v_add_nc_u32_e32 v8, 0x80, v8
	s_delay_alu instid0(VALU_DEP_1) | instskip(SKIP_3) | instid1(VALU_DEP_1)
	v_cmp_ge_i32_e64 s3, v8, v0
	s_or_b32 s9, s3, s9
	s_wait_dscnt 0x0
	v_sub_f32_e32 v9, v9, v6
	v_mul_f32_e32 v9, 0x3fb8aa3b, v9
	s_delay_alu instid0(VALU_DEP_1)
	v_exp_f32_e32 v9, v9
	ds_store_b32 v7, v9
	v_nop
	v_add_f32_e32 v5, v5, v9
	v_add_nc_u32_e32 v7, 0x200, v7
	s_and_not1_b32 exec_lo, exec_lo, s9
	s_cbranch_execnz .LBB300_1550
; %bb.1551:
	s_or_b32 exec_lo, exec_lo, s9
.LBB300_1552:
	s_delay_alu instid0(SALU_CYCLE_1)
	s_or_b32 exec_lo, exec_lo, s8
	ds_bpermute_b32 v1, v1, v5
	s_wait_dscnt 0x0
	v_add_f32_e32 v1, v5, v1
	ds_bpermute_b32 v2, v2, v1
	s_wait_dscnt 0x0
	v_add_f32_e32 v1, v1, v2
	;; [unrolled: 3-line block ×5, first 2 shown]
	s_and_saveexec_b32 s3, vcc_lo
; %bb.1553:
	ds_store_b32 v4, v1 offset:400
; %bb.1554:
	s_or_b32 exec_lo, exec_lo, s3
	s_wait_dscnt 0x0
	s_barrier_signal -1
	s_barrier_wait -1
	s_and_saveexec_b32 s3, s1
; %bb.1555:
	ds_load_b32 v1, v10 offset:400
; %bb.1556:
	s_or_b32 exec_lo, exec_lo, s3
	s_wait_dscnt 0x0
	ds_bpermute_b32 v2, v67, v1
	s_wait_dscnt 0x0
	v_add_f32_e32 v1, v1, v2
	ds_bpermute_b32 v2, v66, v1
	s_wait_dscnt 0x0
	v_dual_add_f32 v1, v1, v2 :: v_dual_mov_b32 v2, 0
	ds_bpermute_b32 v1, v2, v1
	s_and_saveexec_b32 s1, s2
	s_cbranch_execz .LBB300_1569
; %bb.1557:
	s_wait_dscnt 0x0
	v_add_f32_e32 v1, 0x358637bd, v1
	s_mov_b32 s3, -1
	s_mov_b32 s2, exec_lo
	s_delay_alu instid0(VALU_DEP_1) | instskip(NEXT) | instid1(VALU_DEP_1)
	v_div_scale_f32 v2, null, v1, v1, 1.0
	v_rcp_f32_e32 v4, v2
	v_nop
	s_delay_alu instid0(TRANS32_DEP_1) | instskip(NEXT) | instid1(VALU_DEP_1)
	v_fma_f32 v3, -v2, v4, 1.0
	v_fmac_f32_e32 v4, v3, v4
	v_div_scale_f32 v5, vcc_lo, 1.0, v1, 1.0
	s_delay_alu instid0(VALU_DEP_1) | instskip(NEXT) | instid1(VALU_DEP_1)
	v_mul_f32_e32 v6, v5, v4
	v_fma_f32 v3, -v2, v6, v5
	s_delay_alu instid0(VALU_DEP_1) | instskip(SKIP_1) | instid1(VALU_DEP_2)
	v_fmac_f32_e32 v6, v3, v4
	v_xad_u32 v3, v13, -1, v0
	v_fma_f32 v2, -v2, v6, v5
	s_delay_alu instid0(VALU_DEP_1) | instskip(NEXT) | instid1(VALU_DEP_1)
	v_div_fmas_f32 v2, v2, v4, v6
	v_div_fixup_f32 v2, v2, v1, 1.0
	v_mov_b32_e32 v1, v13
	v_cmpx_lt_u32_e32 0x7f, v3
	s_cbranch_execz .LBB300_1566
; %bb.1558:
	s_delay_alu instid0(VALU_DEP_3) | instskip(NEXT) | instid1(VALU_DEP_1)
	v_dual_lshrrev_b32 v1, 7, v3 :: v_dual_mov_b32 v3, v2
	v_dual_mov_b32 v7, 0 :: v_dual_add_nc_u32 v4, -1, v1
	s_delay_alu instid0(VALU_DEP_1) | instskip(SKIP_1) | instid1(VALU_DEP_2)
	v_lshrrev_b32_e32 v5, 1, v4
	v_cmp_lt_u32_e32 vcc_lo, 13, v4
	v_add_nc_u32_e32 v4, 1, v5
	s_and_saveexec_b32 s3, vcc_lo
	s_cbranch_execz .LBB300_1562
; %bb.1559:
	s_ashr_i32 s11, s10, 31
	s_delay_alu instid0(VALU_DEP_1) | instskip(SKIP_1) | instid1(SALU_CYCLE_1)
	v_and_b32_e32 v5, -8, v4
	s_lshl_b64 s[8:9], s[10:11], 2
	s_add_nc_u64 s[8:9], s[6:7], s[8:9]
	s_load_b32 s8, s[8:9], 0x0
	s_wait_xcnt 0x0
	s_mov_b32 s9, 0
	s_wait_kmcnt 0x0
	v_lshl_add_u32 v6, v13, 2, s8
	s_mov_b32 s8, 0
.LBB300_1560:                           ; =>This Inner Loop Header: Depth=1
	ds_load_2addr_stride64_b32 v[8:9], v6 offset1:2
	ds_load_2addr_stride64_b32 v[10:11], v6 offset0:4 offset1:6
	ds_load_2addr_stride64_b32 v[14:15], v6 offset0:8 offset1:10
	;; [unrolled: 1-line block ×7, first 2 shown]
	s_add_co_i32 s9, s9, 16
	s_delay_alu instid0(SALU_CYCLE_1) | instskip(NEXT) | instid1(VALU_DEP_1)
	v_dual_add_nc_u32 v5, -8, v5 :: v_dual_mov_b32 v7, s9
	v_cmp_eq_u32_e32 vcc_lo, 0, v5
	s_or_b32 s8, vcc_lo, s8
	s_wait_dscnt 0x7
	v_pk_mul_f32 v[8:9], v[2:3], v[8:9]
	s_wait_dscnt 0x6
	v_pk_mul_f32 v[10:11], v[2:3], v[10:11]
	;; [unrolled: 2-line block ×8, first 2 shown]
	ds_store_2addr_stride64_b32 v6, v8, v9 offset1:2
	ds_store_2addr_stride64_b32 v6, v10, v11 offset0:4 offset1:6
	ds_store_2addr_stride64_b32 v6, v14, v15 offset0:8 offset1:10
	;; [unrolled: 1-line block ×7, first 2 shown]
	v_add_nc_u32_e32 v6, 0x2000, v6
	s_and_not1_b32 exec_lo, exec_lo, s8
	s_cbranch_execnz .LBB300_1560
; %bb.1561:
	s_or_b32 exec_lo, exec_lo, s8
	scratch_load_b32 v13, off, s32 offset:616 ; 4-byte Folded Reload
.LBB300_1562:
	s_wait_xcnt 0x0
	s_or_b32 exec_lo, exec_lo, s3
	v_and_b32_e32 v4, 7, v4
	s_mov_b32 s8, 0
	s_mov_b32 s3, exec_lo
	s_delay_alu instid0(VALU_DEP_1)
	v_cmpx_ne_u32_e32 0, v4
	s_cbranch_execz .LBB300_1565
; %bb.1563:
	s_ashr_i32 s11, s10, 31
	s_wait_loadcnt 0x0
	v_dual_lshlrev_b32 v5, 9, v7 :: v_dual_lshlrev_b32 v6, 2, v13
	s_lshl_b64 s[16:17], s[10:11], 2
	s_delay_alu instid0(SALU_CYCLE_1)
	s_add_nc_u64 s[16:17], s[6:7], s[16:17]
	s_load_b32 s9, s[16:17], 0x0
	s_wait_kmcnt 0x0
	v_add3_u32 v5, v5, v6, s9
.LBB300_1564:                           ; =>This Inner Loop Header: Depth=1
	ds_load_2addr_stride64_b32 v[6:7], v5 offset1:2
	v_add_nc_u32_e32 v4, -1, v4
	s_delay_alu instid0(VALU_DEP_1)
	v_cmp_eq_u32_e32 vcc_lo, 0, v4
	s_or_b32 s8, vcc_lo, s8
	s_wait_dscnt 0x0
	v_pk_mul_f32 v[6:7], v[2:3], v[6:7]
	ds_store_2addr_stride64_b32 v5, v6, v7 offset1:2
	v_add_nc_u32_e32 v5, 0x400, v5
	s_and_not1_b32 exec_lo, exec_lo, s8
	s_cbranch_execnz .LBB300_1564
.LBB300_1565:
	s_or_b32 exec_lo, exec_lo, s3
	v_add_nc_u32_e32 v1, 1, v1
	s_delay_alu instid0(VALU_DEP_1) | instskip(NEXT) | instid1(VALU_DEP_1)
	v_and_b32_e32 v3, 0x3fffffe, v1
	v_cmp_ne_u32_e32 vcc_lo, v1, v3
	s_wait_loadcnt 0x0
	v_lshl_add_u32 v1, v3, 7, v13
	s_or_not1_b32 s3, vcc_lo, exec_lo
.LBB300_1566:
	s_or_b32 exec_lo, exec_lo, s2
	s_delay_alu instid0(SALU_CYCLE_1)
	s_and_b32 exec_lo, exec_lo, s3
	s_cbranch_execz .LBB300_1569
; %bb.1567:
	s_ashr_i32 s11, s10, 31
	s_delay_alu instid0(SALU_CYCLE_1) | instskip(NEXT) | instid1(SALU_CYCLE_1)
	s_lshl_b64 s[2:3], s[10:11], 2
	s_add_nc_u64 s[2:3], s[6:7], s[2:3]
	s_load_b32 s2, s[2:3], 0x0
	s_wait_kmcnt 0x0
	v_lshl_add_u32 v3, v1, 2, s2
	s_mov_b32 s2, 0
.LBB300_1568:                           ; =>This Inner Loop Header: Depth=1
	ds_load_b32 v4, v3
	s_wait_dscnt 0x0
	v_dual_mul_f32 v4, v2, v4 :: v_dual_add_nc_u32 v1, 0x80, v1
	s_delay_alu instid0(VALU_DEP_1) | instskip(SKIP_3) | instid1(SALU_CYCLE_1)
	v_cmp_ge_i32_e32 vcc_lo, v1, v0
	ds_store_b32 v3, v4
	v_add_nc_u32_e32 v3, 0x200, v3
	s_or_b32 s2, vcc_lo, s2
	s_and_not1_b32 exec_lo, exec_lo, s2
	s_cbranch_execnz .LBB300_1568
.LBB300_1569:
	s_or_b32 exec_lo, exec_lo, s1
	s_wait_dscnt 0x0
	s_barrier_signal -1
	s_barrier_wait -1
	s_and_saveexec_b32 s1, s0
	s_delay_alu instid0(SALU_CYCLE_1)
	s_xor_b32 s0, exec_lo, s1
	s_cbranch_execz .LBB300_1571
; %bb.1570:
	s_ashr_i32 s11, s10, 31
                                        ; implicit-def: $vgpr0
	s_clause 0x1
	scratch_store_b64 off, v[0:1], s32 offset:556
	; meta instruction
	; meta instruction
	;; [unrolled: 1-line block ×9, first 2 shown]
	scratch_store_b64 off, v[0:1], s32 offset:628
                                        ; implicit-def: $vgpr12
                                        ; implicit-def: $vgpr104
                                        ; implicit-def: $vgpr0
                                        ; kill: killed $vgpr0
.LBB300_1571:
	s_wait_xcnt 0x0
	s_or_saveexec_b32 s1, s0
	v_mov_b64_e32 v[48:49], s[10:11]
	v_dual_mov_b32 v3, 0 :: v_dual_bitop2_b32 v68, 3, v13 bitop3:0x40
	v_dual_mov_b32 v2, 0 :: v_dual_mov_b32 v5, 0
	v_dual_mov_b32 v4, 0 :: v_dual_mov_b32 v9, 0
	;; [unrolled: 1-line block ×11, first 2 shown]
	v_mov_b32_e32 v34, 0
	s_xor_b32 exec_lo, exec_lo, s1
	s_cbranch_execz .LBB300_3159
; %bb.1572:
	scratch_load_b32 v0, off, s32 offset:616 ; 4-byte Folded Reload
	s_ashr_i32 s11, s10, 31
	v_lshlrev_b32_e32 v9, 5, v68
	s_lshl_b64 s[2:3], s[10:11], 2
	v_dual_add_nc_u32 v69, -1, v104 :: v_dual_mov_b32 v13, v12
	s_add_nc_u64 s[2:3], s[6:7], s[2:3]
	v_dual_mov_b32 v14, 0 :: v_dual_mov_b32 v17, 0
	v_dual_mov_b32 v16, 0 :: v_dual_mov_b32 v21, 0
	;; [unrolled: 1-line block ×8, first 2 shown]
	v_mov_b32_e32 v34, 0
	s_mov_b32 s8, 0
	v_dual_mov_b32 v7, 0 :: v_dual_mov_b32 v5, 0
	s_wait_loadcnt 0x0
	v_dual_mov_b32 v15, 0 :: v_dual_lshlrev_b32 v8, 3, v0
	s_clause 0x2
	scratch_load_b64 v[0:1], off, s32 offset:664 th:TH_LOAD_LU
	scratch_load_b64 v[2:3], off, s32 offset:628 th:TH_LOAD_LU
	scratch_load_b32 v80, off, s32 offset:624
	v_mov_b32_e32 v4, 0
	s_load_b32 s0, s[2:3], 0x0
	v_and_b32_e32 v6, 0xf8, v8
	v_dual_mov_b32 v8, 0 :: v_dual_bitop2_b32 v10, 24, v8 bitop3:0x40
	s_wait_xcnt 0x0
	s_mov_b64 s[2:3], 0xffffffffffffff
	s_wait_loadcnt 0x1
	v_add_nc_u64_e32 v[0:1], v[0:1], v[2:3]
	s_wait_loadcnt 0x0
	v_lshl_or_b32 v70, v80, 5, v10
	scratch_load_b64 v[10:11], off, s32 offset:636 th:TH_LOAD_LU ; 8-byte Folded Reload
	v_dual_mov_b32 v3, 0 :: v_dual_mov_b32 v2, 0
	v_add_nc_u64_e32 v[38:39], v[0:1], v[6:7]
	scratch_load_b32 v0, off, s32 offset:652 th:TH_LOAD_LU ; 4-byte Folded Reload
	s_wait_loadcnt 0x0
	v_and_b32_e32 v6, 0x7c, v0
	scratch_load_b64 v[0:1], off, s32 offset:644 th:TH_LOAD_LU ; 8-byte Folded Reload
	s_wait_loadcnt 0x0
	v_lshl_add_u64 v[0:1], v[0:1], 2, v[6:7]
	v_lshl_or_b32 v6, v80, 7, v9
	v_mov_b32_e32 v9, 0
	s_delay_alu instid0(VALU_DEP_3) | instskip(SKIP_1) | instid1(VALU_DEP_3)
	v_add_nc_u64_e32 v[10:11], v[10:11], v[0:1]
	s_wait_kmcnt 0x0
	v_add_nc_u32_e32 v71, s0, v6
	s_branch .LBB300_1574
.LBB300_1573:                           ;   in Loop: Header=BB300_1574 Depth=1
	s_or_b32 exec_lo, exec_lo, s0
	v_dual_add_f32 v0, v64, v65 :: v_dual_add_f32 v1, v93, v94
	v_dual_add_f32 v18, v91, v92 :: v_dual_add_f32 v22, v89, v90
	v_add_f32_e32 v23, v79, v88
	s_delay_alu instid0(VALU_DEP_3) | instskip(NEXT) | instid1(VALU_DEP_3)
	v_dual_add_f32 v2, v2, v0 :: v_dual_add_f32 v0, v77, v78
	v_dual_add_f32 v5, v5, v1 :: v_dual_add_f32 v4, v4, v18
	;; [unrolled: 1-line block ×3, first 2 shown]
	s_delay_alu instid0(VALU_DEP_4) | instskip(SKIP_2) | instid1(VALU_DEP_4)
	v_dual_add_f32 v9, v9, v22 :: v_dual_add_f32 v8, v8, v23
	v_dual_add_f32 v22, v63, v72 :: v_dual_add_f32 v23, v61, v62
	v_add_f32_e32 v15, v15, v0
	v_dual_add_f32 v0, v59, v60 :: v_dual_add_f32 v14, v14, v1
	v_add_f32_e32 v17, v17, v18
	v_dual_add_f32 v1, v57, v58 :: v_dual_add_f32 v18, v47, v56
	v_dual_add_f32 v16, v16, v22 :: v_dual_add_f32 v21, v21, v23
	s_delay_alu instid0(VALU_DEP_4) | instskip(SKIP_1) | instid1(VALU_DEP_4)
	v_dual_add_f32 v22, v45, v46 :: v_dual_add_f32 v20, v20, v0
	v_dual_add_f32 v0, v41, v42 :: v_dual_add_f32 v23, v43, v44
	;; [unrolled: 1-line block ×4, first 2 shown]
	s_delay_alu instid0(VALU_DEP_4)
	v_add_f32_e32 v27, v27, v22
	v_add_f32_e32 v22, v115, v116
	;; [unrolled: 1-line block ×3, first 2 shown]
	;;#ASMSTART
	v_pk_mul_f16 v0, v98, v37;

	;;#ASMEND
	v_dual_add_f32 v26, v26, v23 :: v_dual_add_f32 v23, v113, v114
	v_dual_add_f32 v28, v28, v1 :: v_dual_add_f32 v31, v31, v18
	;;#ASMSTART
	v_pk_mul_f16 v1, v97, v36;

	;;#ASMEND
	;;#ASMSTART
	v_pk_mul_f16 v18, v96, v19;

	;;#ASMEND
	;; [unrolled: 4-line block ×3, first 2 shown]
	;;#ASMSTART
	v_pk_add_f16 v0, v0, v1;

	;;#ASMEND
	;;#ASMSTART
	v_pk_add_f16 v0, v0, v18;

	;;#ASMEND
	;; [unrolled: 4-line block ×3, first 2 shown]
	v_and_b32_e32 v18, 0xffff, v0
	v_dual_lshrrev_b32 v19, 16, v0 :: v_dual_add_f32 v1, v101, v102
	v_add_nc_u32_e32 v80, 4, v80
	;;#ASMSTART
	v_cvt_f32_f16 v18, v18;
	;;#ASMEND
	v_dual_add_f32 v6, v99, v100 :: v_dual_add_nc_u32 v71, 0x200, v71
	;;#ASMSTART
	v_cvt_f32_f16 v19, v19;
	;;#ASMEND
	v_dual_add_f32 v0, v103, v112 :: v_dual_add_f32 v18, v18, v19
	v_add_f32_e32 v35, v35, v1
	v_cmp_ge_i32_e32 vcc_lo, v80, v104
	v_add_nc_u64_e32 v[10:11], 16, v[10:11]
	v_dual_add_f32 v30, v30, v22 :: v_dual_add_f32 v33, v33, v23
	v_dual_add_f32 v32, v32, v0 :: v_dual_add_f32 v34, v34, v6
	v_add_f32_e32 v3, v3, v18
	v_add_nc_u32_e32 v70, 0x80, v70
	s_or_b32 s8, vcc_lo, s8
	s_delay_alu instid0(SALU_CYCLE_1)
	s_and_not1_b32 exec_lo, exec_lo, s8
	s_cbranch_execz .LBB300_3158
.LBB300_1574:                           ; =>This Inner Loop Header: Depth=1
	flat_load_b32 v0, v[10:11]
	ds_load_2addr_b64 v[48:51], v71 offset1:1
	ds_load_2addr_b64 v[52:55], v71 offset0:2 offset1:3
	scratch_load_b64 v[18:19], off, s32 offset:556 ; 8-byte Folded Reload
	s_mov_b32 s0, exec_lo
	s_wait_dscnt 0x1
	;;#ASMSTART
	v_cvt_f16_f32 v97, v48;

	;;#ASMEND
	;;#ASMSTART
	v_cvt_f16_f32 v87, v49;

	;;#ASMEND
	;; [unrolled: 4-line block ×4, first 2 shown]
	s_wait_dscnt 0x0
	;;#ASMSTART
	v_cvt_f16_f32 v101, v52;

	;;#ASMEND
	;;#ASMSTART
	v_cvt_f16_f32 v99, v53;

	;;#ASMEND
	;; [unrolled: 4-line block ×4, first 2 shown]
	s_wait_loadcnt 0x0
	v_mad_nc_i64_i32 v[36:37], v0, v18, v[38:39]
	flat_load_b64 v[50:51], v[36:37]
	scratch_load_b64 v[0:1], off, s32 offset:192 ; 8-byte Folded Reload
	s_wait_loadcnt 0x0
	flat_load_b32 v48, v[0:1]
	s_wait_dscnt 0x1
	s_wait_xcnt 0x0
	v_and_b32_e32 v1, 0xff, v50
	v_mov_b32_e32 v0, 0
	s_delay_alu instid0(VALU_DEP_2)
	v_cmpx_ne_u16_e32 0, v1
	s_cbranch_execz .LBB300_1582
; %bb.1575:                             ;   in Loop: Header=BB300_1574 Depth=1
	v_mov_b32_e32 v0, 0x8000
	s_mov_b32 s9, exec_lo
	v_cmpx_ne_u16_e32 0x80, v1
	s_cbranch_execz .LBB300_1581
; %bb.1576:                             ;   in Loop: Header=BB300_1574 Depth=1
	v_and_b32_e32 v6, 0x7f, v50
	v_mov_b32_e32 v0, 0x7c01
	s_mov_b32 s16, exec_lo
	s_delay_alu instid0(VALU_DEP_2)
	v_cmpx_ne_u32_e32 0x7f, v6
	s_cbranch_execz .LBB300_1580
; %bb.1577:                             ;   in Loop: Header=BB300_1574 Depth=1
	v_and_b32_e32 v0, 7, v50
	v_lshrrev_b32_e32 v1, 3, v6
	s_mov_b32 s17, exec_lo
	v_cmpx_gt_u32_e32 8, v6
; %bb.1578:                             ;   in Loop: Header=BB300_1574 Depth=1
	s_delay_alu instid0(VALU_DEP_3) | instskip(NEXT) | instid1(VALU_DEP_1)
	v_clz_i32_u32_e32 v0, v0
	v_min_u32_e32 v6, 32, v0
	s_delay_alu instid0(VALU_DEP_1) | instskip(NEXT) | instid1(VALU_DEP_1)
	v_subrev_nc_u32_e32 v0, 28, v6
	v_lshlrev_b64_e32 v[0:1], v0, v[50:51]
	s_delay_alu instid0(VALU_DEP_1)
	v_dual_sub_nc_u32 v1, 29, v6 :: v_dual_bitop2_b32 v0, 7, v0 bitop3:0x40
; %bb.1579:                             ;   in Loop: Header=BB300_1574 Depth=1
	s_or_b32 exec_lo, exec_lo, s17
	s_delay_alu instid0(VALU_DEP_1) | instskip(NEXT) | instid1(VALU_DEP_2)
	v_dual_lshlrev_b32 v6, 8, v50 :: v_dual_lshlrev_b32 v0, 7, v0
	v_lshl_add_u32 v1, v1, 10, 0x2000
	s_delay_alu instid0(VALU_DEP_2) | instskip(NEXT) | instid1(VALU_DEP_2)
	v_and_b32_e32 v6, 0x8000, v6
	v_and_b32_e32 v1, 0xfc00, v1
	s_delay_alu instid0(VALU_DEP_1)
	v_or3_b32 v0, v6, v1, v0
.LBB300_1580:                           ;   in Loop: Header=BB300_1574 Depth=1
	s_or_b32 exec_lo, exec_lo, s16
.LBB300_1581:                           ;   in Loop: Header=BB300_1574 Depth=1
	s_delay_alu instid0(SALU_CYCLE_1)
	s_or_b32 exec_lo, exec_lo, s9
.LBB300_1582:                           ;   in Loop: Header=BB300_1574 Depth=1
	s_delay_alu instid0(SALU_CYCLE_1) | instskip(SKIP_3) | instid1(VALU_DEP_2)
	s_or_b32 exec_lo, exec_lo, s0
	v_lshrrev_b16 v6, 8, v50
	v_dual_mov_b32 v1, 0 :: v_dual_mov_b32 v18, 0
	s_mov_b32 s0, exec_lo
	v_cmpx_ne_u16_e32 0, v6
	s_cbranch_execz .LBB300_1590
; %bb.1583:                             ;   in Loop: Header=BB300_1574 Depth=1
	v_bfrev_b32_e32 v18, 1
	s_mov_b32 s9, exec_lo
	v_cmpx_ne_u16_e32 0x80, v6
	s_cbranch_execz .LBB300_1589
; %bb.1584:                             ;   in Loop: Header=BB300_1574 Depth=1
	v_and_b32_e32 v19, 0xffff, v6
	v_mov_b32_e32 v18, 0x7c010000
	s_mov_b32 s16, exec_lo
	s_delay_alu instid0(VALU_DEP_2) | instskip(NEXT) | instid1(VALU_DEP_1)
	v_and_b32_e32 v23, 0x7f, v19
	v_cmpx_ne_u32_e32 0x7f, v23
	s_cbranch_execz .LBB300_1588
; %bb.1585:                             ;   in Loop: Header=BB300_1574 Depth=1
	v_and_b32_e32 v18, 7, v19
	v_lshrrev_b32_e32 v22, 3, v23
	s_mov_b32 s17, exec_lo
	v_cmpx_gt_u32_e32 8, v23
; %bb.1586:                             ;   in Loop: Header=BB300_1574 Depth=1
	s_delay_alu instid0(VALU_DEP_3) | instskip(NEXT) | instid1(VALU_DEP_1)
	v_clz_i32_u32_e32 v18, v18
	v_min_u32_e32 v18, 32, v18
	s_delay_alu instid0(VALU_DEP_1) | instskip(NEXT) | instid1(VALU_DEP_1)
	v_subrev_nc_u32_e32 v22, 28, v18
	v_lshlrev_b64_e32 v[52:53], v22, v[6:7]
	s_delay_alu instid0(VALU_DEP_1)
	v_dual_sub_nc_u32 v22, 29, v18 :: v_dual_bitop2_b32 v18, 7, v52 bitop3:0x40
; %bb.1587:                             ;   in Loop: Header=BB300_1574 Depth=1
	s_or_b32 exec_lo, exec_lo, s17
	s_delay_alu instid0(VALU_DEP_1) | instskip(NEXT) | instid1(VALU_DEP_2)
	v_dual_lshlrev_b32 v6, 8, v19 :: v_dual_lshlrev_b32 v18, 23, v18
	v_lshl_add_u32 v19, v22, 10, 0x2000
	s_delay_alu instid0(VALU_DEP_1) | instskip(NEXT) | instid1(VALU_DEP_1)
	v_and_or_b32 v6, 0x8000, v6, v19
	v_lshl_or_b32 v18, v6, 16, v18
.LBB300_1588:                           ;   in Loop: Header=BB300_1574 Depth=1
	s_or_b32 exec_lo, exec_lo, s16
.LBB300_1589:                           ;   in Loop: Header=BB300_1574 Depth=1
	s_delay_alu instid0(SALU_CYCLE_1)
	s_or_b32 exec_lo, exec_lo, s9
.LBB300_1590:                           ;   in Loop: Header=BB300_1574 Depth=1
	s_delay_alu instid0(SALU_CYCLE_1) | instskip(SKIP_2) | instid1(VALU_DEP_1)
	s_or_b32 exec_lo, exec_lo, s0
	v_lshrrev_b32_e32 v6, 16, v50
	s_mov_b32 s0, exec_lo
	v_and_b32_e32 v19, 0xff, v6
	s_delay_alu instid0(VALU_DEP_1)
	v_cmpx_ne_u16_e32 0, v19
	s_cbranch_execz .LBB300_1598
; %bb.1591:                             ;   in Loop: Header=BB300_1574 Depth=1
	v_mov_b32_e32 v1, 0x8000
	s_mov_b32 s9, exec_lo
	v_cmpx_ne_u16_e32 0x80, v19
	s_cbranch_execz .LBB300_1597
; %bb.1592:                             ;   in Loop: Header=BB300_1574 Depth=1
	v_bfe_u32 v22, v50, 16, 7
	v_mov_b32_e32 v1, 0x7c01
	s_mov_b32 s16, exec_lo
	s_delay_alu instid0(VALU_DEP_2)
	v_cmpx_ne_u32_e32 0x7f, v22
	s_cbranch_execz .LBB300_1596
; %bb.1593:                             ;   in Loop: Header=BB300_1574 Depth=1
	v_and_b32_e32 v1, 7, v6
	v_lshrrev_b32_e32 v19, 3, v22
	s_mov_b32 s17, exec_lo
	v_cmpx_gt_u32_e32 8, v22
; %bb.1594:                             ;   in Loop: Header=BB300_1574 Depth=1
	s_delay_alu instid0(VALU_DEP_3) | instskip(NEXT) | instid1(VALU_DEP_1)
	v_clz_i32_u32_e32 v1, v1
	v_min_u32_e32 v1, 32, v1
	s_delay_alu instid0(VALU_DEP_1) | instskip(NEXT) | instid1(VALU_DEP_1)
	v_subrev_nc_u32_e32 v19, 28, v1
	v_lshlrev_b64_e32 v[22:23], v19, v[6:7]
	s_delay_alu instid0(VALU_DEP_1)
	v_dual_sub_nc_u32 v19, 29, v1 :: v_dual_bitop2_b32 v1, 7, v22 bitop3:0x40
; %bb.1595:                             ;   in Loop: Header=BB300_1574 Depth=1
	s_or_b32 exec_lo, exec_lo, s17
	s_delay_alu instid0(VALU_DEP_1) | instskip(NEXT) | instid1(VALU_DEP_2)
	v_dual_lshlrev_b32 v6, 8, v6 :: v_dual_lshlrev_b32 v1, 7, v1
	v_lshl_add_u32 v19, v19, 10, 0x2000
	s_delay_alu instid0(VALU_DEP_2) | instskip(NEXT) | instid1(VALU_DEP_2)
	v_and_b32_e32 v6, 0x8000, v6
	v_and_b32_e32 v19, 0xfc00, v19
	s_delay_alu instid0(VALU_DEP_1)
	v_or3_b32 v1, v6, v19, v1
.LBB300_1596:                           ;   in Loop: Header=BB300_1574 Depth=1
	s_or_b32 exec_lo, exec_lo, s16
.LBB300_1597:                           ;   in Loop: Header=BB300_1574 Depth=1
	s_delay_alu instid0(SALU_CYCLE_1)
	s_or_b32 exec_lo, exec_lo, s9
.LBB300_1598:                           ;   in Loop: Header=BB300_1574 Depth=1
	s_delay_alu instid0(SALU_CYCLE_1)
	s_or_b32 exec_lo, exec_lo, s0
	v_dual_mov_b32 v19, 0 :: v_dual_mov_b32 v22, 0
	s_mov_b32 s0, exec_lo
	v_cmpx_lt_u32_e32 0xffffff, v50
	s_cbranch_execz .LBB300_1606
; %bb.1599:                             ;   in Loop: Header=BB300_1574 Depth=1
	v_lshrrev_b32_e32 v6, 24, v50
	v_bfrev_b32_e32 v22, 1
	s_mov_b32 s9, exec_lo
	s_delay_alu instid0(VALU_DEP_2)
	v_cmpx_ne_u32_e32 0x80, v6
	s_cbranch_execz .LBB300_1605
; %bb.1600:                             ;   in Loop: Header=BB300_1574 Depth=1
	v_and_b32_e32 v49, 0x7f, v6
	v_mov_b32_e32 v22, 0x7c010000
	s_mov_b32 s16, exec_lo
	s_delay_alu instid0(VALU_DEP_2)
	v_cmpx_ne_u32_e32 0x7f, v49
	s_cbranch_execz .LBB300_1604
; %bb.1601:                             ;   in Loop: Header=BB300_1574 Depth=1
	v_dual_lshrrev_b32 v23, 3, v49 :: v_dual_bitop2_b32 v22, 7, v6 bitop3:0x40
	s_mov_b32 s17, exec_lo
	v_cmpx_gt_u32_e32 8, v49
; %bb.1602:                             ;   in Loop: Header=BB300_1574 Depth=1
	s_delay_alu instid0(VALU_DEP_2) | instskip(NEXT) | instid1(VALU_DEP_1)
	v_clz_i32_u32_e32 v22, v22
	v_min_u32_e32 v49, 32, v22
	s_delay_alu instid0(VALU_DEP_1) | instskip(NEXT) | instid1(VALU_DEP_1)
	v_subrev_nc_u32_e32 v22, 28, v49
	v_lshlrev_b64_e32 v[22:23], v22, v[6:7]
	s_delay_alu instid0(VALU_DEP_1)
	v_dual_sub_nc_u32 v23, 29, v49 :: v_dual_bitop2_b32 v22, 7, v22 bitop3:0x40
; %bb.1603:                             ;   in Loop: Header=BB300_1574 Depth=1
	s_or_b32 exec_lo, exec_lo, s17
	v_lshlrev_b32_e32 v6, 8, v6
	s_delay_alu instid0(VALU_DEP_2) | instskip(NEXT) | instid1(VALU_DEP_3)
	v_lshl_add_u32 v23, v23, 10, 0x2000
	v_lshlrev_b32_e32 v22, 23, v22
	s_delay_alu instid0(VALU_DEP_2) | instskip(NEXT) | instid1(VALU_DEP_1)
	v_and_or_b32 v6, 0x8000, v6, v23
	v_lshl_or_b32 v22, v6, 16, v22
.LBB300_1604:                           ;   in Loop: Header=BB300_1574 Depth=1
	s_or_b32 exec_lo, exec_lo, s16
.LBB300_1605:                           ;   in Loop: Header=BB300_1574 Depth=1
	s_delay_alu instid0(SALU_CYCLE_1)
	s_or_b32 exec_lo, exec_lo, s9
.LBB300_1606:                           ;   in Loop: Header=BB300_1574 Depth=1
	s_delay_alu instid0(SALU_CYCLE_1) | instskip(SKIP_3) | instid1(VALU_DEP_2)
	s_or_b32 exec_lo, exec_lo, s0
	v_and_b32_e32 v23, 0xff, v51
	v_mov_b32_e32 v6, v51
	s_mov_b32 s0, exec_lo
	v_cmpx_ne_u16_e32 0, v23
	s_cbranch_execz .LBB300_1614
; %bb.1607:                             ;   in Loop: Header=BB300_1574 Depth=1
	v_mov_b32_e32 v19, 0x8000
	s_mov_b32 s9, exec_lo
	v_cmpx_ne_u16_e32 0x80, v23
	s_cbranch_execz .LBB300_1613
; %bb.1608:                             ;   in Loop: Header=BB300_1574 Depth=1
	v_and_b32_e32 v49, 0x7f, v51
	v_mov_b32_e32 v19, 0x7c01
	s_mov_b32 s16, exec_lo
	s_delay_alu instid0(VALU_DEP_2)
	v_cmpx_ne_u32_e32 0x7f, v49
	s_cbranch_execz .LBB300_1612
; %bb.1609:                             ;   in Loop: Header=BB300_1574 Depth=1
	v_dual_lshrrev_b32 v23, 3, v49 :: v_dual_bitop2_b32 v19, 7, v51 bitop3:0x40
	s_mov_b32 s17, exec_lo
	v_cmpx_gt_u32_e32 8, v49
; %bb.1610:                             ;   in Loop: Header=BB300_1574 Depth=1
	s_delay_alu instid0(VALU_DEP_2) | instskip(NEXT) | instid1(VALU_DEP_1)
	v_clz_i32_u32_e32 v19, v19
	v_min_u32_e32 v19, 32, v19
	s_delay_alu instid0(VALU_DEP_1) | instskip(NEXT) | instid1(VALU_DEP_1)
	v_subrev_nc_u32_e32 v23, 28, v19
	v_lshlrev_b64_e32 v[52:53], v23, v[6:7]
	s_delay_alu instid0(VALU_DEP_1)
	v_dual_sub_nc_u32 v23, 29, v19 :: v_dual_bitop2_b32 v19, 7, v52 bitop3:0x40
; %bb.1611:                             ;   in Loop: Header=BB300_1574 Depth=1
	s_or_b32 exec_lo, exec_lo, s17
	v_lshlrev_b32_e32 v49, 8, v51
	s_delay_alu instid0(VALU_DEP_2) | instskip(NEXT) | instid1(VALU_DEP_3)
	v_lshl_add_u32 v23, v23, 10, 0x2000
	v_lshlrev_b32_e32 v19, 7, v19
	s_delay_alu instid0(VALU_DEP_3) | instskip(NEXT) | instid1(VALU_DEP_3)
	v_and_b32_e32 v49, 0x8000, v49
	v_and_b32_e32 v23, 0xfc00, v23
	s_delay_alu instid0(VALU_DEP_1)
	v_or3_b32 v19, v49, v23, v19
.LBB300_1612:                           ;   in Loop: Header=BB300_1574 Depth=1
	s_or_b32 exec_lo, exec_lo, s16
.LBB300_1613:                           ;   in Loop: Header=BB300_1574 Depth=1
	s_delay_alu instid0(SALU_CYCLE_1)
	s_or_b32 exec_lo, exec_lo, s9
.LBB300_1614:                           ;   in Loop: Header=BB300_1574 Depth=1
	s_delay_alu instid0(SALU_CYCLE_1) | instskip(SKIP_3) | instid1(VALU_DEP_2)
	s_or_b32 exec_lo, exec_lo, s0
	v_lshrrev_b16 v6, 8, v6
	v_dual_mov_b32 v49, 0 :: v_dual_mov_b32 v23, 0
	s_mov_b32 s0, exec_lo
	v_cmpx_ne_u16_e32 0, v6
	s_cbranch_execz .LBB300_1622
; %bb.1615:                             ;   in Loop: Header=BB300_1574 Depth=1
	v_bfrev_b32_e32 v23, 1
	s_mov_b32 s9, exec_lo
	v_cmpx_ne_u16_e32 0x80, v6
	s_cbranch_execz .LBB300_1621
; %bb.1616:                             ;   in Loop: Header=BB300_1574 Depth=1
	v_and_b32_e32 v52, 0xffff, v6
	v_mov_b32_e32 v23, 0x7c010000
	s_mov_b32 s16, exec_lo
	s_delay_alu instid0(VALU_DEP_2) | instskip(NEXT) | instid1(VALU_DEP_1)
	v_and_b32_e32 v54, 0x7f, v52
	v_cmpx_ne_u32_e32 0x7f, v54
	s_cbranch_execz .LBB300_1620
; %bb.1617:                             ;   in Loop: Header=BB300_1574 Depth=1
	v_dual_lshrrev_b32 v53, 3, v54 :: v_dual_bitop2_b32 v23, 7, v52 bitop3:0x40
	s_mov_b32 s17, exec_lo
	v_cmpx_gt_u32_e32 8, v54
; %bb.1618:                             ;   in Loop: Header=BB300_1574 Depth=1
	s_delay_alu instid0(VALU_DEP_2) | instskip(NEXT) | instid1(VALU_DEP_1)
	v_clz_i32_u32_e32 v23, v23
	v_min_u32_e32 v23, 32, v23
	s_delay_alu instid0(VALU_DEP_1) | instskip(NEXT) | instid1(VALU_DEP_1)
	v_subrev_nc_u32_e32 v53, 28, v23
	v_lshlrev_b64_e32 v[54:55], v53, v[6:7]
	s_delay_alu instid0(VALU_DEP_1)
	v_dual_sub_nc_u32 v53, 29, v23 :: v_dual_bitop2_b32 v23, 7, v54 bitop3:0x40
; %bb.1619:                             ;   in Loop: Header=BB300_1574 Depth=1
	s_or_b32 exec_lo, exec_lo, s17
	s_delay_alu instid0(VALU_DEP_1) | instskip(NEXT) | instid1(VALU_DEP_2)
	v_dual_lshlrev_b32 v6, 8, v52 :: v_dual_lshlrev_b32 v23, 23, v23
	v_lshl_add_u32 v52, v53, 10, 0x2000
	s_delay_alu instid0(VALU_DEP_1) | instskip(NEXT) | instid1(VALU_DEP_1)
	v_and_or_b32 v6, 0x8000, v6, v52
	v_lshl_or_b32 v23, v6, 16, v23
.LBB300_1620:                           ;   in Loop: Header=BB300_1574 Depth=1
	s_or_b32 exec_lo, exec_lo, s16
.LBB300_1621:                           ;   in Loop: Header=BB300_1574 Depth=1
	s_delay_alu instid0(SALU_CYCLE_1)
	s_or_b32 exec_lo, exec_lo, s9
.LBB300_1622:                           ;   in Loop: Header=BB300_1574 Depth=1
	s_delay_alu instid0(SALU_CYCLE_1) | instskip(SKIP_2) | instid1(VALU_DEP_1)
	s_or_b32 exec_lo, exec_lo, s0
	v_lshrrev_b32_e32 v6, 16, v51
	s_mov_b32 s0, exec_lo
	v_and_b32_e32 v52, 0xff, v6
	s_delay_alu instid0(VALU_DEP_1)
	v_cmpx_ne_u16_e32 0, v52
	s_cbranch_execz .LBB300_1630
; %bb.1623:                             ;   in Loop: Header=BB300_1574 Depth=1
	v_mov_b32_e32 v49, 0x8000
	s_mov_b32 s9, exec_lo
	v_cmpx_ne_u16_e32 0x80, v52
	s_cbranch_execz .LBB300_1629
; %bb.1624:                             ;   in Loop: Header=BB300_1574 Depth=1
	v_bfe_u32 v53, v51, 16, 7
	v_mov_b32_e32 v49, 0x7c01
	s_mov_b32 s16, exec_lo
	s_delay_alu instid0(VALU_DEP_2)
	v_cmpx_ne_u32_e32 0x7f, v53
	s_cbranch_execz .LBB300_1628
; %bb.1625:                             ;   in Loop: Header=BB300_1574 Depth=1
	v_dual_lshrrev_b32 v52, 3, v53 :: v_dual_bitop2_b32 v49, 7, v6 bitop3:0x40
	s_mov_b32 s17, exec_lo
	v_cmpx_gt_u32_e32 8, v53
; %bb.1626:                             ;   in Loop: Header=BB300_1574 Depth=1
	s_delay_alu instid0(VALU_DEP_2) | instskip(NEXT) | instid1(VALU_DEP_1)
	v_clz_i32_u32_e32 v49, v49
	v_min_u32_e32 v49, 32, v49
	s_delay_alu instid0(VALU_DEP_1) | instskip(NEXT) | instid1(VALU_DEP_1)
	v_subrev_nc_u32_e32 v52, 28, v49
	v_lshlrev_b64_e32 v[54:55], v52, v[6:7]
	s_delay_alu instid0(VALU_DEP_1)
	v_dual_sub_nc_u32 v52, 29, v49 :: v_dual_bitop2_b32 v49, 7, v54 bitop3:0x40
; %bb.1627:                             ;   in Loop: Header=BB300_1574 Depth=1
	s_or_b32 exec_lo, exec_lo, s17
	s_delay_alu instid0(VALU_DEP_1) | instskip(NEXT) | instid1(VALU_DEP_2)
	v_dual_lshlrev_b32 v6, 8, v6 :: v_dual_lshlrev_b32 v49, 7, v49
	v_lshl_add_u32 v52, v52, 10, 0x2000
	s_delay_alu instid0(VALU_DEP_2) | instskip(NEXT) | instid1(VALU_DEP_2)
	v_and_b32_e32 v6, 0x8000, v6
	v_and_b32_e32 v52, 0xfc00, v52
	s_delay_alu instid0(VALU_DEP_1)
	v_or3_b32 v49, v6, v52, v49
.LBB300_1628:                           ;   in Loop: Header=BB300_1574 Depth=1
	s_or_b32 exec_lo, exec_lo, s16
.LBB300_1629:                           ;   in Loop: Header=BB300_1574 Depth=1
	s_delay_alu instid0(SALU_CYCLE_1)
	s_or_b32 exec_lo, exec_lo, s9
.LBB300_1630:                           ;   in Loop: Header=BB300_1574 Depth=1
	s_delay_alu instid0(SALU_CYCLE_1)
	s_or_b32 exec_lo, exec_lo, s0
	v_cmp_lt_u64_e32 vcc_lo, s[2:3], v[50:51]
	v_mov_b32_e32 v50, 0
	s_and_saveexec_b32 s0, vcc_lo
	s_cbranch_execz .LBB300_1638
; %bb.1631:                             ;   in Loop: Header=BB300_1574 Depth=1
	v_lshrrev_b32_e32 v6, 24, v51
	v_bfrev_b32_e32 v50, 1
	s_mov_b32 s9, exec_lo
	s_delay_alu instid0(VALU_DEP_2)
	v_cmpx_ne_u32_e32 0x80, v6
	s_cbranch_execz .LBB300_1637
; %bb.1632:                             ;   in Loop: Header=BB300_1574 Depth=1
	v_and_b32_e32 v52, 0x7f, v6
	v_mov_b32_e32 v50, 0x7c010000
	s_mov_b32 s16, exec_lo
	s_delay_alu instid0(VALU_DEP_2)
	v_cmpx_ne_u32_e32 0x7f, v52
	s_cbranch_execz .LBB300_1636
; %bb.1633:                             ;   in Loop: Header=BB300_1574 Depth=1
	v_dual_lshrrev_b32 v51, 3, v52 :: v_dual_bitop2_b32 v50, 7, v6 bitop3:0x40
	s_mov_b32 s17, exec_lo
	v_cmpx_gt_u32_e32 8, v52
; %bb.1634:                             ;   in Loop: Header=BB300_1574 Depth=1
	s_delay_alu instid0(VALU_DEP_2) | instskip(NEXT) | instid1(VALU_DEP_1)
	v_clz_i32_u32_e32 v50, v50
	v_min_u32_e32 v52, 32, v50
	s_delay_alu instid0(VALU_DEP_1) | instskip(NEXT) | instid1(VALU_DEP_1)
	v_subrev_nc_u32_e32 v50, 28, v52
	v_lshlrev_b64_e32 v[50:51], v50, v[6:7]
	s_delay_alu instid0(VALU_DEP_1)
	v_dual_sub_nc_u32 v51, 29, v52 :: v_dual_bitop2_b32 v50, 7, v50 bitop3:0x40
; %bb.1635:                             ;   in Loop: Header=BB300_1574 Depth=1
	s_or_b32 exec_lo, exec_lo, s17
	v_lshlrev_b32_e32 v6, 8, v6
	s_delay_alu instid0(VALU_DEP_2) | instskip(NEXT) | instid1(VALU_DEP_3)
	v_lshl_add_u32 v51, v51, 10, 0x2000
	v_lshlrev_b32_e32 v50, 23, v50
	s_delay_alu instid0(VALU_DEP_2) | instskip(NEXT) | instid1(VALU_DEP_1)
	v_and_or_b32 v6, 0x8000, v6, v51
	v_lshl_or_b32 v50, v6, 16, v50
.LBB300_1636:                           ;   in Loop: Header=BB300_1574 Depth=1
	s_or_b32 exec_lo, exec_lo, s16
.LBB300_1637:                           ;   in Loop: Header=BB300_1574 Depth=1
	s_delay_alu instid0(SALU_CYCLE_1)
	s_or_b32 exec_lo, exec_lo, s9
.LBB300_1638:                           ;   in Loop: Header=BB300_1574 Depth=1
	s_delay_alu instid0(SALU_CYCLE_1) | instskip(SKIP_3) | instid1(VALU_DEP_3)
	s_or_b32 exec_lo, exec_lo, s0
	v_dual_lshrrev_b32 v6, 16, v18 :: v_dual_bitop2_b32 v52, v18, v0 bitop3:0x54
	v_dual_lshrrev_b32 v51, 16, v22 :: v_dual_bitop2_b32 v18, v22, v1 bitop3:0x54
	v_cmp_eq_u32_e32 vcc_lo, v69, v80
	v_cvt_f32_f16_e32 v1, v6
	v_dual_lshrrev_b32 v22, 16, v23 :: v_dual_bitop2_b32 v6, v50, v49 bitop3:0x54
	s_delay_alu instid0(VALU_DEP_4)
	v_cvt_f32_f16_e32 v0, v51
	v_dual_lshrrev_b32 v49, 16, v50 :: v_dual_bitop2_b32 v51, v23, v19 bitop3:0x54
	v_cvt_f32_f16_e32 v18, v18
	v_cvt_f32_f16_e32 v19, v52
	;; [unrolled: 1-line block ×3, first 2 shown]
	s_wait_loadcnt_dscnt 0x0
	v_pk_mul_f32 v[0:1], v[48:49], v[0:1] op_sel_hi:[0,1]
	v_cvt_f32_f16_e32 v22, v49
	v_cvt_f32_f16_e32 v50, v6
	;; [unrolled: 1-line block ×3, first 2 shown]
	v_pk_mul_f32 v[18:19], v[48:49], v[18:19] op_sel_hi:[0,1]
	v_cvt_pk_f16_f32 v6, v0, v1
	v_pk_mul_f32 v[0:1], v[48:49], v[22:23] op_sel_hi:[0,1]
	v_or_b32_e32 v85, 1, v70
	v_pk_mul_f32 v[22:23], v[48:49], v[50:51] op_sel_hi:[0,1]
	v_cvt_pk_f16_f32 v18, v18, v19
	v_and_b32_e32 v55, 0xffff0000, v6
	v_cvt_pk_f16_f32 v0, v0, v1
	v_lshlrev_b32_e32 v54, 16, v6
	v_cvt_pk_f16_f32 v1, v22, v23
	v_lshrrev_b32_e32 v65, 16, v18
	v_and_b32_e32 v64, 0xffff, v18
	v_and_b32_e32 v19, 0xffff0000, v0
	s_delay_alu instid0(VALU_DEP_4) | instskip(SKIP_3) | instid1(VALU_DEP_4)
	v_dual_lshlrev_b32 v6, 16, v0 :: v_dual_lshrrev_b32 v53, 16, v1
	v_and_b32_e32 v52, 0xffff, v1
	v_dual_add_nc_u32 v86, 2, v70 :: v_dual_bitop2_b32 v51, v55, v65 bitop3:0x54
	v_or_b32_e32 v50, v54, v64
	v_or_b32_e32 v49, v19, v53
	s_delay_alu instid0(VALU_DEP_4)
	v_or_b32_e32 v48, v6, v52
	v_or_b32_e32 v84, 3, v70
	;; [unrolled: 1-line block ×6, first 2 shown]
	s_and_saveexec_b32 s9, vcc_lo
	s_cbranch_execz .LBB300_1640
; %bb.1639:                             ;   in Loop: Header=BB300_1574 Depth=1
	v_cmp_lt_i32_e64 s0, v70, v13
	s_delay_alu instid0(VALU_DEP_1) | instskip(SKIP_1) | instid1(VALU_DEP_1)
	v_cndmask_b32_e64 v1, 0, v65, s0
	v_cmp_lt_i32_e64 s0, v86, v12
	v_cndmask_b32_e64 v18, 0, v64, s0
	v_cmp_lt_i32_e64 s0, v85, v13
	s_delay_alu instid0(VALU_DEP_1) | instskip(SKIP_1) | instid1(VALU_DEP_1)
	v_cndmask_b32_e64 v22, 0, v55, s0
	v_cmp_lt_i32_e64 s0, v84, v12
	v_cndmask_b32_e64 v23, 0, v54, s0
	v_cmp_lt_i32_e64 s0, v83, v13
	s_delay_alu instid0(VALU_DEP_4) | instskip(NEXT) | instid1(VALU_DEP_2)
	v_or_b32_e32 v51, v1, v22
	v_dual_cndmask_b32 v48, 0, v53, s0 :: v_dual_bitop2_b32 v50, v18, v23 bitop3:0x54
	v_cmp_lt_i32_e64 s0, v82, v12
	s_delay_alu instid0(VALU_DEP_1) | instskip(SKIP_1) | instid1(VALU_DEP_1)
	v_cndmask_b32_e64 v52, 0, v52, s0
	v_cmp_lt_i32_e64 s0, v81, v13
	v_cndmask_b32_e64 v19, 0, v19, s0
	v_cmp_lt_i32_e64 s0, v0, v12
	s_delay_alu instid0(VALU_DEP_1) | instskip(NEXT) | instid1(VALU_DEP_1)
	v_dual_cndmask_b32 v6, 0, v6, s0 :: v_dual_bitop2_b32 v49, v48, v19 bitop3:0x54
	v_or_b32_e32 v48, v52, v6
.LBB300_1640:                           ;   in Loop: Header=BB300_1574 Depth=1
	s_or_b32 exec_lo, exec_lo, s9
	v_and_b32_e32 v1, 0xffff, v97
	v_and_b32_e32 v6, 0xffff, v98
	v_and_b32_e32 v18, 0xffff, v101
	v_and_b32_e32 v19, 0xffff, v102
	s_mov_b32 s9, exec_lo
	v_lshl_or_b32 v98, v87, 16, v1
	;;#ASMSTART
	v_pk_mul_f16 v1, v98, v51;

	;;#ASMEND
	v_lshl_or_b32 v97, v96, 16, v6
	v_lshl_or_b32 v96, v99, 16, v18
	;; [unrolled: 1-line block ×3, first 2 shown]
	;;#ASMSTART
	v_pk_mul_f16 v6, v97, v50;

	;;#ASMEND
	;;#ASMSTART
	v_pk_mul_f16 v18, v96, v49;

	;;#ASMEND
	;; [unrolled: 4-line block ×3, first 2 shown]
	;;#ASMSTART
	v_pk_add_f16 v1, v1, v6;

	;;#ASMEND
	;;#ASMSTART
	v_pk_add_f16 v1, v1, v18;

	;;#ASMEND
	;;#ASMSTART
	v_pk_add_f16 v1, v1, v19;

	;;#ASMEND
	v_and_b32_e32 v6, 0xffff, v1
	v_lshrrev_b32_e32 v1, 16, v1
	;;#ASMSTART
	v_cvt_f32_f16 v99, v6;
	;;#ASMEND
	;;#ASMSTART
	v_cvt_f32_f16 v100, v1;
	;;#ASMEND
	flat_load_b64 v[50:51], v[36:37] offset:256
	scratch_load_b64 v[18:19], off, s32 offset:192 ; 8-byte Folded Reload
	v_mov_b32_e32 v1, 0
	s_wait_loadcnt_dscnt 0x100
	v_and_b32_e32 v6, 0xff, v50
	s_wait_loadcnt 0x0
	flat_load_b32 v48, v[18:19]
	s_wait_xcnt 0x0
	v_mov_b32_e32 v18, 0
	v_cmpx_ne_u16_e32 0, v6
	s_cbranch_execz .LBB300_1648
; %bb.1641:                             ;   in Loop: Header=BB300_1574 Depth=1
	v_mov_b32_e32 v18, 0x8000
	s_mov_b32 s16, exec_lo
	v_cmpx_ne_u16_e32 0x80, v6
	s_cbranch_execz .LBB300_1647
; %bb.1642:                             ;   in Loop: Header=BB300_1574 Depth=1
	v_and_b32_e32 v19, 0x7f, v50
	v_mov_b32_e32 v18, 0x7c01
	s_mov_b32 s17, exec_lo
	s_delay_alu instid0(VALU_DEP_2)
	v_cmpx_ne_u32_e32 0x7f, v19
	s_cbranch_execz .LBB300_1646
; %bb.1643:                             ;   in Loop: Header=BB300_1574 Depth=1
	v_dual_lshrrev_b32 v18, 3, v19 :: v_dual_bitop2_b32 v6, 7, v50 bitop3:0x40
	s_mov_b32 s18, exec_lo
	v_cmpx_gt_u32_e32 8, v19
; %bb.1644:                             ;   in Loop: Header=BB300_1574 Depth=1
	s_delay_alu instid0(VALU_DEP_2) | instskip(NEXT) | instid1(VALU_DEP_1)
	v_clz_i32_u32_e32 v6, v6
	v_min_u32_e32 v6, 32, v6
	s_delay_alu instid0(VALU_DEP_1) | instskip(NEXT) | instid1(VALU_DEP_1)
	v_subrev_nc_u32_e32 v18, 28, v6
	v_lshlrev_b64_e32 v[22:23], v18, v[50:51]
	v_sub_nc_u32_e32 v18, 29, v6
	s_delay_alu instid0(VALU_DEP_2)
	v_and_b32_e32 v6, 7, v22
; %bb.1645:                             ;   in Loop: Header=BB300_1574 Depth=1
	s_or_b32 exec_lo, exec_lo, s18
	v_lshlrev_b32_e32 v19, 8, v50
	s_delay_alu instid0(VALU_DEP_3) | instskip(NEXT) | instid1(VALU_DEP_3)
	v_lshl_add_u32 v18, v18, 10, 0x2000
	v_lshlrev_b32_e32 v6, 7, v6
	s_delay_alu instid0(VALU_DEP_3) | instskip(NEXT) | instid1(VALU_DEP_3)
	v_and_b32_e32 v19, 0x8000, v19
	v_and_b32_e32 v18, 0xfc00, v18
	s_delay_alu instid0(VALU_DEP_1)
	v_or3_b32 v18, v19, v18, v6
.LBB300_1646:                           ;   in Loop: Header=BB300_1574 Depth=1
	s_or_b32 exec_lo, exec_lo, s17
.LBB300_1647:                           ;   in Loop: Header=BB300_1574 Depth=1
	s_delay_alu instid0(SALU_CYCLE_1)
	s_or_b32 exec_lo, exec_lo, s16
.LBB300_1648:                           ;   in Loop: Header=BB300_1574 Depth=1
	s_delay_alu instid0(SALU_CYCLE_1) | instskip(SKIP_2) | instid1(VALU_DEP_1)
	s_or_b32 exec_lo, exec_lo, s9
	v_lshrrev_b16 v6, 8, v50
	s_mov_b32 s9, exec_lo
	v_cmpx_ne_u16_e32 0, v6
	s_cbranch_execz .LBB300_1656
; %bb.1649:                             ;   in Loop: Header=BB300_1574 Depth=1
	v_bfrev_b32_e32 v1, 1
	s_mov_b32 s16, exec_lo
	v_cmpx_ne_u16_e32 0x80, v6
	s_cbranch_execz .LBB300_1655
; %bb.1650:                             ;   in Loop: Header=BB300_1574 Depth=1
	v_and_b32_e32 v19, 0xffff, v6
	v_mov_b32_e32 v1, 0x7c010000
	s_mov_b32 s17, exec_lo
	s_delay_alu instid0(VALU_DEP_2) | instskip(NEXT) | instid1(VALU_DEP_1)
	v_and_b32_e32 v23, 0x7f, v19
	v_cmpx_ne_u32_e32 0x7f, v23
	s_cbranch_execz .LBB300_1654
; %bb.1651:                             ;   in Loop: Header=BB300_1574 Depth=1
	v_and_b32_e32 v1, 7, v19
	v_lshrrev_b32_e32 v22, 3, v23
	s_mov_b32 s18, exec_lo
	v_cmpx_gt_u32_e32 8, v23
; %bb.1652:                             ;   in Loop: Header=BB300_1574 Depth=1
	s_delay_alu instid0(VALU_DEP_3) | instskip(NEXT) | instid1(VALU_DEP_1)
	v_clz_i32_u32_e32 v1, v1
	v_min_u32_e32 v1, 32, v1
	s_delay_alu instid0(VALU_DEP_1) | instskip(NEXT) | instid1(VALU_DEP_1)
	v_subrev_nc_u32_e32 v22, 28, v1
	v_lshlrev_b64_e32 v[52:53], v22, v[6:7]
	s_delay_alu instid0(VALU_DEP_1)
	v_dual_sub_nc_u32 v22, 29, v1 :: v_dual_bitop2_b32 v1, 7, v52 bitop3:0x40
; %bb.1653:                             ;   in Loop: Header=BB300_1574 Depth=1
	s_or_b32 exec_lo, exec_lo, s18
	s_delay_alu instid0(VALU_DEP_1) | instskip(NEXT) | instid1(VALU_DEP_2)
	v_dual_lshlrev_b32 v6, 8, v19 :: v_dual_lshlrev_b32 v1, 23, v1
	v_lshl_add_u32 v19, v22, 10, 0x2000
	s_delay_alu instid0(VALU_DEP_1) | instskip(NEXT) | instid1(VALU_DEP_1)
	v_and_or_b32 v6, 0x8000, v6, v19
	v_lshl_or_b32 v1, v6, 16, v1
.LBB300_1654:                           ;   in Loop: Header=BB300_1574 Depth=1
	s_or_b32 exec_lo, exec_lo, s17
.LBB300_1655:                           ;   in Loop: Header=BB300_1574 Depth=1
	s_delay_alu instid0(SALU_CYCLE_1)
	s_or_b32 exec_lo, exec_lo, s16
.LBB300_1656:                           ;   in Loop: Header=BB300_1574 Depth=1
	s_delay_alu instid0(SALU_CYCLE_1) | instskip(SKIP_3) | instid1(VALU_DEP_2)
	s_or_b32 exec_lo, exec_lo, s9
	v_dual_mov_b32 v19, 0 :: v_dual_lshrrev_b32 v6, 16, v50
	v_mov_b32_e32 v22, 0
	s_mov_b32 s9, exec_lo
	v_and_b32_e32 v23, 0xff, v6
	s_delay_alu instid0(VALU_DEP_1)
	v_cmpx_ne_u16_e32 0, v23
	s_cbranch_execz .LBB300_1664
; %bb.1657:                             ;   in Loop: Header=BB300_1574 Depth=1
	v_mov_b32_e32 v22, 0x8000
	s_mov_b32 s16, exec_lo
	v_cmpx_ne_u16_e32 0x80, v23
	s_cbranch_execz .LBB300_1663
; %bb.1658:                             ;   in Loop: Header=BB300_1574 Depth=1
	v_bfe_u32 v49, v50, 16, 7
	v_mov_b32_e32 v22, 0x7c01
	s_mov_b32 s17, exec_lo
	s_delay_alu instid0(VALU_DEP_2)
	v_cmpx_ne_u32_e32 0x7f, v49
	s_cbranch_execz .LBB300_1662
; %bb.1659:                             ;   in Loop: Header=BB300_1574 Depth=1
	v_dual_lshrrev_b32 v23, 3, v49 :: v_dual_bitop2_b32 v22, 7, v6 bitop3:0x40
	s_mov_b32 s18, exec_lo
	v_cmpx_gt_u32_e32 8, v49
; %bb.1660:                             ;   in Loop: Header=BB300_1574 Depth=1
	s_delay_alu instid0(VALU_DEP_2) | instskip(NEXT) | instid1(VALU_DEP_1)
	v_clz_i32_u32_e32 v22, v22
	v_min_u32_e32 v49, 32, v22
	s_delay_alu instid0(VALU_DEP_1) | instskip(NEXT) | instid1(VALU_DEP_1)
	v_subrev_nc_u32_e32 v22, 28, v49
	v_lshlrev_b64_e32 v[22:23], v22, v[6:7]
	s_delay_alu instid0(VALU_DEP_1)
	v_dual_sub_nc_u32 v23, 29, v49 :: v_dual_bitop2_b32 v22, 7, v22 bitop3:0x40
; %bb.1661:                             ;   in Loop: Header=BB300_1574 Depth=1
	s_or_b32 exec_lo, exec_lo, s18
	v_lshlrev_b32_e32 v6, 8, v6
	s_delay_alu instid0(VALU_DEP_2) | instskip(NEXT) | instid1(VALU_DEP_3)
	v_lshl_add_u32 v23, v23, 10, 0x2000
	v_lshlrev_b32_e32 v22, 7, v22
	s_delay_alu instid0(VALU_DEP_3) | instskip(NEXT) | instid1(VALU_DEP_3)
	v_and_b32_e32 v6, 0x8000, v6
	v_and_b32_e32 v23, 0xfc00, v23
	s_delay_alu instid0(VALU_DEP_1)
	v_or3_b32 v22, v6, v23, v22
.LBB300_1662:                           ;   in Loop: Header=BB300_1574 Depth=1
	s_or_b32 exec_lo, exec_lo, s17
.LBB300_1663:                           ;   in Loop: Header=BB300_1574 Depth=1
	s_delay_alu instid0(SALU_CYCLE_1)
	s_or_b32 exec_lo, exec_lo, s16
.LBB300_1664:                           ;   in Loop: Header=BB300_1574 Depth=1
	s_delay_alu instid0(SALU_CYCLE_1) | instskip(NEXT) | instid1(SALU_CYCLE_1)
	s_or_b32 exec_lo, exec_lo, s9
	s_mov_b32 s9, exec_lo
	v_cmpx_lt_u32_e32 0xffffff, v50
	s_cbranch_execz .LBB300_1672
; %bb.1665:                             ;   in Loop: Header=BB300_1574 Depth=1
	v_lshrrev_b32_e32 v6, 24, v50
	v_bfrev_b32_e32 v19, 1
	s_mov_b32 s16, exec_lo
	s_delay_alu instid0(VALU_DEP_2)
	v_cmpx_ne_u32_e32 0x80, v6
	s_cbranch_execz .LBB300_1671
; %bb.1666:                             ;   in Loop: Header=BB300_1574 Depth=1
	v_and_b32_e32 v49, 0x7f, v6
	v_mov_b32_e32 v19, 0x7c010000
	s_mov_b32 s17, exec_lo
	s_delay_alu instid0(VALU_DEP_2)
	v_cmpx_ne_u32_e32 0x7f, v49
	s_cbranch_execz .LBB300_1670
; %bb.1667:                             ;   in Loop: Header=BB300_1574 Depth=1
	v_dual_lshrrev_b32 v23, 3, v49 :: v_dual_bitop2_b32 v19, 7, v6 bitop3:0x40
	s_mov_b32 s18, exec_lo
	v_cmpx_gt_u32_e32 8, v49
; %bb.1668:                             ;   in Loop: Header=BB300_1574 Depth=1
	s_delay_alu instid0(VALU_DEP_2) | instskip(NEXT) | instid1(VALU_DEP_1)
	v_clz_i32_u32_e32 v19, v19
	v_min_u32_e32 v19, 32, v19
	s_delay_alu instid0(VALU_DEP_1) | instskip(NEXT) | instid1(VALU_DEP_1)
	v_subrev_nc_u32_e32 v23, 28, v19
	v_lshlrev_b64_e32 v[52:53], v23, v[6:7]
	s_delay_alu instid0(VALU_DEP_1)
	v_dual_sub_nc_u32 v23, 29, v19 :: v_dual_bitop2_b32 v19, 7, v52 bitop3:0x40
; %bb.1669:                             ;   in Loop: Header=BB300_1574 Depth=1
	s_or_b32 exec_lo, exec_lo, s18
	s_delay_alu instid0(VALU_DEP_1) | instskip(NEXT) | instid1(VALU_DEP_2)
	v_dual_lshlrev_b32 v6, 8, v6 :: v_dual_lshlrev_b32 v19, 23, v19
	v_lshl_add_u32 v23, v23, 10, 0x2000
	s_delay_alu instid0(VALU_DEP_1) | instskip(NEXT) | instid1(VALU_DEP_1)
	v_and_or_b32 v6, 0x8000, v6, v23
	v_lshl_or_b32 v19, v6, 16, v19
.LBB300_1670:                           ;   in Loop: Header=BB300_1574 Depth=1
	s_or_b32 exec_lo, exec_lo, s17
.LBB300_1671:                           ;   in Loop: Header=BB300_1574 Depth=1
	s_delay_alu instid0(SALU_CYCLE_1)
	s_or_b32 exec_lo, exec_lo, s16
.LBB300_1672:                           ;   in Loop: Header=BB300_1574 Depth=1
	s_delay_alu instid0(SALU_CYCLE_1) | instskip(SKIP_4) | instid1(VALU_DEP_3)
	s_or_b32 exec_lo, exec_lo, s9
	v_and_b32_e32 v52, 0xff, v51
	v_dual_mov_b32 v6, v51 :: v_dual_mov_b32 v49, 0
	v_mov_b32_e32 v23, 0
	s_mov_b32 s9, exec_lo
	v_cmpx_ne_u16_e32 0, v52
	s_cbranch_execz .LBB300_1680
; %bb.1673:                             ;   in Loop: Header=BB300_1574 Depth=1
	v_mov_b32_e32 v23, 0x8000
	s_mov_b32 s16, exec_lo
	v_cmpx_ne_u16_e32 0x80, v52
	s_cbranch_execz .LBB300_1679
; %bb.1674:                             ;   in Loop: Header=BB300_1574 Depth=1
	v_and_b32_e32 v53, 0x7f, v51
	v_mov_b32_e32 v23, 0x7c01
	s_mov_b32 s17, exec_lo
	s_delay_alu instid0(VALU_DEP_2)
	v_cmpx_ne_u32_e32 0x7f, v53
	s_cbranch_execz .LBB300_1678
; %bb.1675:                             ;   in Loop: Header=BB300_1574 Depth=1
	v_dual_lshrrev_b32 v52, 3, v53 :: v_dual_bitop2_b32 v23, 7, v51 bitop3:0x40
	s_mov_b32 s18, exec_lo
	v_cmpx_gt_u32_e32 8, v53
; %bb.1676:                             ;   in Loop: Header=BB300_1574 Depth=1
	s_delay_alu instid0(VALU_DEP_2) | instskip(NEXT) | instid1(VALU_DEP_1)
	v_clz_i32_u32_e32 v23, v23
	v_min_u32_e32 v23, 32, v23
	s_delay_alu instid0(VALU_DEP_1) | instskip(NEXT) | instid1(VALU_DEP_1)
	v_subrev_nc_u32_e32 v52, 28, v23
	v_lshlrev_b64_e32 v[54:55], v52, v[6:7]
	s_delay_alu instid0(VALU_DEP_1)
	v_dual_sub_nc_u32 v52, 29, v23 :: v_dual_bitop2_b32 v23, 7, v54 bitop3:0x40
; %bb.1677:                             ;   in Loop: Header=BB300_1574 Depth=1
	s_or_b32 exec_lo, exec_lo, s18
	v_lshlrev_b32_e32 v53, 8, v51
	s_delay_alu instid0(VALU_DEP_2) | instskip(NEXT) | instid1(VALU_DEP_3)
	v_lshl_add_u32 v52, v52, 10, 0x2000
	v_lshlrev_b32_e32 v23, 7, v23
	s_delay_alu instid0(VALU_DEP_3) | instskip(NEXT) | instid1(VALU_DEP_3)
	v_and_b32_e32 v53, 0x8000, v53
	v_and_b32_e32 v52, 0xfc00, v52
	s_delay_alu instid0(VALU_DEP_1)
	v_or3_b32 v23, v53, v52, v23
.LBB300_1678:                           ;   in Loop: Header=BB300_1574 Depth=1
	s_or_b32 exec_lo, exec_lo, s17
.LBB300_1679:                           ;   in Loop: Header=BB300_1574 Depth=1
	s_delay_alu instid0(SALU_CYCLE_1)
	s_or_b32 exec_lo, exec_lo, s16
.LBB300_1680:                           ;   in Loop: Header=BB300_1574 Depth=1
	s_delay_alu instid0(SALU_CYCLE_1) | instskip(SKIP_3) | instid1(VALU_DEP_2)
	s_or_b32 exec_lo, exec_lo, s9
	v_lshrrev_b16 v6, 8, v6
	v_mov_b32_e32 v52, 0
	s_mov_b32 s9, exec_lo
	v_cmpx_ne_u16_e32 0, v6
	s_cbranch_execz .LBB300_1688
; %bb.1681:                             ;   in Loop: Header=BB300_1574 Depth=1
	v_bfrev_b32_e32 v52, 1
	s_mov_b32 s16, exec_lo
	v_cmpx_ne_u16_e32 0x80, v6
	s_cbranch_execz .LBB300_1687
; %bb.1682:                             ;   in Loop: Header=BB300_1574 Depth=1
	v_and_b32_e32 v53, 0xffff, v6
	v_mov_b32_e32 v52, 0x7c010000
	s_mov_b32 s17, exec_lo
	s_delay_alu instid0(VALU_DEP_2) | instskip(NEXT) | instid1(VALU_DEP_1)
	v_and_b32_e32 v55, 0x7f, v53
	v_cmpx_ne_u32_e32 0x7f, v55
	s_cbranch_execz .LBB300_1686
; %bb.1683:                             ;   in Loop: Header=BB300_1574 Depth=1
	v_dual_lshrrev_b32 v54, 3, v55 :: v_dual_bitop2_b32 v52, 7, v53 bitop3:0x40
	s_mov_b32 s18, exec_lo
	v_cmpx_gt_u32_e32 8, v55
; %bb.1684:                             ;   in Loop: Header=BB300_1574 Depth=1
	s_delay_alu instid0(VALU_DEP_2) | instskip(NEXT) | instid1(VALU_DEP_1)
	v_clz_i32_u32_e32 v52, v52
	v_min_u32_e32 v52, 32, v52
	s_delay_alu instid0(VALU_DEP_1) | instskip(NEXT) | instid1(VALU_DEP_1)
	v_subrev_nc_u32_e32 v54, 28, v52
	v_lshlrev_b64_e32 v[64:65], v54, v[6:7]
	v_sub_nc_u32_e32 v54, 29, v52
	s_delay_alu instid0(VALU_DEP_2)
	v_and_b32_e32 v52, 7, v64
; %bb.1685:                             ;   in Loop: Header=BB300_1574 Depth=1
	s_or_b32 exec_lo, exec_lo, s18
	s_delay_alu instid0(VALU_DEP_1) | instskip(NEXT) | instid1(VALU_DEP_3)
	v_dual_lshlrev_b32 v6, 8, v53 :: v_dual_lshlrev_b32 v52, 23, v52
	v_lshl_add_u32 v53, v54, 10, 0x2000
	s_delay_alu instid0(VALU_DEP_1) | instskip(NEXT) | instid1(VALU_DEP_1)
	v_and_or_b32 v6, 0x8000, v6, v53
	v_lshl_or_b32 v52, v6, 16, v52
.LBB300_1686:                           ;   in Loop: Header=BB300_1574 Depth=1
	s_or_b32 exec_lo, exec_lo, s17
.LBB300_1687:                           ;   in Loop: Header=BB300_1574 Depth=1
	s_delay_alu instid0(SALU_CYCLE_1)
	s_or_b32 exec_lo, exec_lo, s16
.LBB300_1688:                           ;   in Loop: Header=BB300_1574 Depth=1
	s_delay_alu instid0(SALU_CYCLE_1) | instskip(SKIP_2) | instid1(VALU_DEP_1)
	s_or_b32 exec_lo, exec_lo, s9
	v_lshrrev_b32_e32 v6, 16, v51
	s_mov_b32 s9, exec_lo
	v_and_b32_e32 v53, 0xff, v6
	s_delay_alu instid0(VALU_DEP_1)
	v_cmpx_ne_u16_e32 0, v53
	s_cbranch_execz .LBB300_1696
; %bb.1689:                             ;   in Loop: Header=BB300_1574 Depth=1
	v_mov_b32_e32 v49, 0x8000
	s_mov_b32 s16, exec_lo
	v_cmpx_ne_u16_e32 0x80, v53
	s_cbranch_execz .LBB300_1695
; %bb.1690:                             ;   in Loop: Header=BB300_1574 Depth=1
	v_bfe_u32 v54, v51, 16, 7
	v_mov_b32_e32 v49, 0x7c01
	s_mov_b32 s17, exec_lo
	s_delay_alu instid0(VALU_DEP_2)
	v_cmpx_ne_u32_e32 0x7f, v54
	s_cbranch_execz .LBB300_1694
; %bb.1691:                             ;   in Loop: Header=BB300_1574 Depth=1
	v_and_b32_e32 v49, 7, v6
	v_lshrrev_b32_e32 v53, 3, v54
	s_mov_b32 s18, exec_lo
	v_cmpx_gt_u32_e32 8, v54
; %bb.1692:                             ;   in Loop: Header=BB300_1574 Depth=1
	s_delay_alu instid0(VALU_DEP_3) | instskip(NEXT) | instid1(VALU_DEP_1)
	v_clz_i32_u32_e32 v49, v49
	v_min_u32_e32 v49, 32, v49
	s_delay_alu instid0(VALU_DEP_1) | instskip(NEXT) | instid1(VALU_DEP_1)
	v_subrev_nc_u32_e32 v53, 28, v49
	v_lshlrev_b64_e32 v[54:55], v53, v[6:7]
	s_delay_alu instid0(VALU_DEP_1)
	v_dual_sub_nc_u32 v53, 29, v49 :: v_dual_bitop2_b32 v49, 7, v54 bitop3:0x40
; %bb.1693:                             ;   in Loop: Header=BB300_1574 Depth=1
	s_or_b32 exec_lo, exec_lo, s18
	s_delay_alu instid0(VALU_DEP_1) | instskip(NEXT) | instid1(VALU_DEP_2)
	v_dual_lshlrev_b32 v6, 8, v6 :: v_dual_lshlrev_b32 v49, 7, v49
	v_lshl_add_u32 v53, v53, 10, 0x2000
	s_delay_alu instid0(VALU_DEP_2) | instskip(NEXT) | instid1(VALU_DEP_2)
	v_and_b32_e32 v6, 0x8000, v6
	v_and_b32_e32 v53, 0xfc00, v53
	s_delay_alu instid0(VALU_DEP_1)
	v_or3_b32 v49, v6, v53, v49
.LBB300_1694:                           ;   in Loop: Header=BB300_1574 Depth=1
	s_or_b32 exec_lo, exec_lo, s17
.LBB300_1695:                           ;   in Loop: Header=BB300_1574 Depth=1
	s_delay_alu instid0(SALU_CYCLE_1)
	s_or_b32 exec_lo, exec_lo, s16
.LBB300_1696:                           ;   in Loop: Header=BB300_1574 Depth=1
	s_delay_alu instid0(SALU_CYCLE_1)
	s_or_b32 exec_lo, exec_lo, s9
	v_cmp_lt_u64_e64 s0, s[2:3], v[50:51]
	v_mov_b32_e32 v50, 0
	s_and_saveexec_b32 s9, s0
	s_cbranch_execz .LBB300_1704
; %bb.1697:                             ;   in Loop: Header=BB300_1574 Depth=1
	v_lshrrev_b32_e32 v6, 24, v51
	v_bfrev_b32_e32 v50, 1
	s_mov_b32 s16, exec_lo
	s_delay_alu instid0(VALU_DEP_2)
	v_cmpx_ne_u32_e32 0x80, v6
	s_cbranch_execz .LBB300_1703
; %bb.1698:                             ;   in Loop: Header=BB300_1574 Depth=1
	v_and_b32_e32 v53, 0x7f, v6
	v_mov_b32_e32 v50, 0x7c010000
	s_mov_b32 s17, exec_lo
	s_delay_alu instid0(VALU_DEP_2)
	v_cmpx_ne_u32_e32 0x7f, v53
	s_cbranch_execz .LBB300_1702
; %bb.1699:                             ;   in Loop: Header=BB300_1574 Depth=1
	v_dual_lshrrev_b32 v51, 3, v53 :: v_dual_bitop2_b32 v50, 7, v6 bitop3:0x40
	s_mov_b32 s18, exec_lo
	v_cmpx_gt_u32_e32 8, v53
; %bb.1700:                             ;   in Loop: Header=BB300_1574 Depth=1
	s_delay_alu instid0(VALU_DEP_2) | instskip(NEXT) | instid1(VALU_DEP_1)
	v_clz_i32_u32_e32 v50, v50
	v_min_u32_e32 v53, 32, v50
	s_delay_alu instid0(VALU_DEP_1) | instskip(NEXT) | instid1(VALU_DEP_1)
	v_subrev_nc_u32_e32 v50, 28, v53
	v_lshlrev_b64_e32 v[50:51], v50, v[6:7]
	s_delay_alu instid0(VALU_DEP_1)
	v_dual_sub_nc_u32 v51, 29, v53 :: v_dual_bitop2_b32 v50, 7, v50 bitop3:0x40
; %bb.1701:                             ;   in Loop: Header=BB300_1574 Depth=1
	s_or_b32 exec_lo, exec_lo, s18
	v_lshlrev_b32_e32 v6, 8, v6
	s_delay_alu instid0(VALU_DEP_2) | instskip(NEXT) | instid1(VALU_DEP_3)
	v_lshl_add_u32 v51, v51, 10, 0x2000
	v_lshlrev_b32_e32 v50, 23, v50
	s_delay_alu instid0(VALU_DEP_2) | instskip(NEXT) | instid1(VALU_DEP_1)
	v_and_or_b32 v6, 0x8000, v6, v51
	v_lshl_or_b32 v50, v6, 16, v50
.LBB300_1702:                           ;   in Loop: Header=BB300_1574 Depth=1
	s_or_b32 exec_lo, exec_lo, s17
.LBB300_1703:                           ;   in Loop: Header=BB300_1574 Depth=1
	s_delay_alu instid0(SALU_CYCLE_1)
	s_or_b32 exec_lo, exec_lo, s16
.LBB300_1704:                           ;   in Loop: Header=BB300_1574 Depth=1
	s_delay_alu instid0(SALU_CYCLE_1) | instskip(SKIP_4) | instid1(VALU_DEP_4)
	s_or_b32 exec_lo, exec_lo, s9
	v_dual_lshrrev_b32 v6, 16, v1 :: v_dual_lshrrev_b32 v51, 16, v19
	v_or_b32_e32 v1, v1, v18
	v_or_b32_e32 v22, v19, v22
	;; [unrolled: 1-line block ×3, first 2 shown]
	v_cvt_f32_f16_e32 v19, v6
	v_cvt_f32_f16_e32 v18, v51
	v_dual_lshrrev_b32 v50, 16, v50 :: v_dual_bitop2_b32 v6, v50, v49 bitop3:0x54
	v_lshrrev_b32_e32 v49, 16, v52
	v_cvt_f32_f16_e32 v23, v1
	s_delay_alu instid0(VALU_DEP_3) | instskip(NEXT) | instid1(VALU_DEP_4)
	v_cvt_f32_f16_e32 v52, v6
	v_cvt_f32_f16_e32 v50, v50
	s_wait_loadcnt_dscnt 0x0
	v_pk_mul_f32 v[18:19], v[48:49], v[18:19] op_sel_hi:[0,1]
	v_cvt_f32_f16_e32 v51, v49
	s_delay_alu instid0(VALU_DEP_2) | instskip(NEXT) | instid1(VALU_DEP_2)
	v_cvt_pk_f16_f32 v1, v18, v19
	v_pk_mul_f32 v[18:19], v[48:49], v[50:51] op_sel_hi:[0,1]
	s_delay_alu instid0(VALU_DEP_2) | instskip(SKIP_2) | instid1(VALU_DEP_4)
	v_lshlrev_b32_e32 v50, 16, v1
	v_cvt_f32_f16_e32 v22, v22
	v_and_b32_e32 v51, 0xffff0000, v1
	v_cvt_pk_f16_f32 v18, v18, v19
	s_delay_alu instid0(VALU_DEP_3) | instskip(NEXT) | instid1(VALU_DEP_2)
	v_pk_mul_f32 v[22:23], v[48:49], v[22:23] op_sel_hi:[0,1]
	v_and_b32_e32 v19, 0xffff0000, v18
	s_delay_alu instid0(VALU_DEP_2) | instskip(NEXT) | instid1(VALU_DEP_1)
	v_cvt_pk_f16_f32 v6, v22, v23
	v_lshrrev_b32_e32 v65, 16, v6
	v_cvt_f32_f16_e32 v53, v53
	v_and_b32_e32 v64, 0xffff, v6
	s_delay_alu instid0(VALU_DEP_3) | instskip(NEXT) | instid1(VALU_DEP_3)
	v_or_b32_e32 v55, v51, v65
	v_pk_mul_f32 v[48:49], v[48:49], v[52:53] op_sel_hi:[0,1]
	s_delay_alu instid0(VALU_DEP_3) | instskip(NEXT) | instid1(VALU_DEP_2)
	v_or_b32_e32 v54, v50, v64
	v_cvt_pk_f16_f32 v1, v48, v49
	s_delay_alu instid0(VALU_DEP_1) | instskip(SKIP_1) | instid1(VALU_DEP_2)
	v_dual_lshlrev_b32 v6, 16, v18 :: v_dual_lshrrev_b32 v49, 16, v1
	v_and_b32_e32 v48, 0xffff, v1
	v_or_b32_e32 v53, v19, v49
	s_delay_alu instid0(VALU_DEP_2)
	v_or_b32_e32 v52, v6, v48
	s_and_saveexec_b32 s9, vcc_lo
	s_cbranch_execz .LBB300_1706
; %bb.1705:                             ;   in Loop: Header=BB300_1574 Depth=1
	v_cmp_lt_i32_e64 s0, v70, v13
	s_delay_alu instid0(VALU_DEP_1) | instskip(SKIP_1) | instid1(VALU_DEP_1)
	v_cndmask_b32_e64 v1, 0, v65, s0
	v_cmp_lt_i32_e64 s0, v86, v12
	v_cndmask_b32_e64 v18, 0, v64, s0
	v_cmp_lt_i32_e64 s0, v85, v13
	s_delay_alu instid0(VALU_DEP_1) | instskip(SKIP_1) | instid1(VALU_DEP_1)
	v_cndmask_b32_e64 v22, 0, v51, s0
	v_cmp_lt_i32_e64 s0, v84, v12
	v_cndmask_b32_e64 v23, 0, v50, s0
	v_cmp_lt_i32_e64 s0, v83, v13
	s_delay_alu instid0(VALU_DEP_4) | instskip(NEXT) | instid1(VALU_DEP_2)
	v_or_b32_e32 v55, v1, v22
	v_dual_cndmask_b32 v49, 0, v49, s0 :: v_dual_bitop2_b32 v54, v18, v23 bitop3:0x54
	v_cmp_lt_i32_e64 s0, v82, v12
	s_delay_alu instid0(VALU_DEP_1) | instskip(SKIP_1) | instid1(VALU_DEP_1)
	v_cndmask_b32_e64 v48, 0, v48, s0
	v_cmp_lt_i32_e64 s0, v81, v13
	v_cndmask_b32_e64 v19, 0, v19, s0
	v_cmp_lt_i32_e64 s0, v0, v12
	s_delay_alu instid0(VALU_DEP_1) | instskip(NEXT) | instid1(VALU_DEP_1)
	v_dual_cndmask_b32 v6, 0, v6, s0 :: v_dual_bitop2_b32 v53, v49, v19 bitop3:0x54
	v_or_b32_e32 v52, v48, v6
.LBB300_1706:                           ;   in Loop: Header=BB300_1574 Depth=1
	s_or_b32 exec_lo, exec_lo, s9
	;;#ASMSTART
	v_pk_mul_f16 v1, v98, v55;

	;;#ASMEND
	;;#ASMSTART
	v_pk_mul_f16 v6, v97, v54;

	;;#ASMEND
	;; [unrolled: 4-line block ×4, first 2 shown]
	;;#ASMSTART
	v_pk_add_f16 v1, v1, v6;

	;;#ASMEND
	;;#ASMSTART
	v_pk_add_f16 v1, v1, v18;

	;;#ASMEND
	;; [unrolled: 4-line block ×3, first 2 shown]
	v_and_b32_e32 v6, 0xffff, v1
	v_lshrrev_b32_e32 v1, 16, v1
	;;#ASMSTART
	v_cvt_f32_f16 v101, v6;
	;;#ASMEND
	;;#ASMSTART
	v_cvt_f32_f16 v102, v1;
	;;#ASMEND
	flat_load_b64 v[50:51], v[36:37] offset:512
	scratch_load_b64 v[18:19], off, s32 offset:192 ; 8-byte Folded Reload
	v_mov_b32_e32 v1, 0
	s_mov_b32 s9, exec_lo
	s_wait_loadcnt_dscnt 0x100
	v_and_b32_e32 v6, 0xff, v50
	s_wait_loadcnt 0x0
	flat_load_b32 v48, v[18:19]
	s_wait_xcnt 0x0
	v_mov_b32_e32 v18, 0
	v_cmpx_ne_u16_e32 0, v6
	s_cbranch_execz .LBB300_1714
; %bb.1707:                             ;   in Loop: Header=BB300_1574 Depth=1
	v_mov_b32_e32 v18, 0x8000
	s_mov_b32 s16, exec_lo
	v_cmpx_ne_u16_e32 0x80, v6
	s_cbranch_execz .LBB300_1713
; %bb.1708:                             ;   in Loop: Header=BB300_1574 Depth=1
	v_and_b32_e32 v19, 0x7f, v50
	v_mov_b32_e32 v18, 0x7c01
	s_mov_b32 s17, exec_lo
	s_delay_alu instid0(VALU_DEP_2)
	v_cmpx_ne_u32_e32 0x7f, v19
	s_cbranch_execz .LBB300_1712
; %bb.1709:                             ;   in Loop: Header=BB300_1574 Depth=1
	v_dual_lshrrev_b32 v18, 3, v19 :: v_dual_bitop2_b32 v6, 7, v50 bitop3:0x40
	s_mov_b32 s18, exec_lo
	v_cmpx_gt_u32_e32 8, v19
; %bb.1710:                             ;   in Loop: Header=BB300_1574 Depth=1
	s_delay_alu instid0(VALU_DEP_2) | instskip(NEXT) | instid1(VALU_DEP_1)
	v_clz_i32_u32_e32 v6, v6
	v_min_u32_e32 v6, 32, v6
	s_delay_alu instid0(VALU_DEP_1) | instskip(NEXT) | instid1(VALU_DEP_1)
	v_subrev_nc_u32_e32 v18, 28, v6
	v_lshlrev_b64_e32 v[22:23], v18, v[50:51]
	v_sub_nc_u32_e32 v18, 29, v6
	s_delay_alu instid0(VALU_DEP_2)
	v_and_b32_e32 v6, 7, v22
; %bb.1711:                             ;   in Loop: Header=BB300_1574 Depth=1
	s_or_b32 exec_lo, exec_lo, s18
	v_lshlrev_b32_e32 v19, 8, v50
	s_delay_alu instid0(VALU_DEP_3) | instskip(NEXT) | instid1(VALU_DEP_3)
	v_lshl_add_u32 v18, v18, 10, 0x2000
	v_lshlrev_b32_e32 v6, 7, v6
	s_delay_alu instid0(VALU_DEP_3) | instskip(NEXT) | instid1(VALU_DEP_3)
	v_and_b32_e32 v19, 0x8000, v19
	v_and_b32_e32 v18, 0xfc00, v18
	s_delay_alu instid0(VALU_DEP_1)
	v_or3_b32 v18, v19, v18, v6
.LBB300_1712:                           ;   in Loop: Header=BB300_1574 Depth=1
	s_or_b32 exec_lo, exec_lo, s17
.LBB300_1713:                           ;   in Loop: Header=BB300_1574 Depth=1
	s_delay_alu instid0(SALU_CYCLE_1)
	s_or_b32 exec_lo, exec_lo, s16
.LBB300_1714:                           ;   in Loop: Header=BB300_1574 Depth=1
	s_delay_alu instid0(SALU_CYCLE_1) | instskip(SKIP_2) | instid1(VALU_DEP_1)
	s_or_b32 exec_lo, exec_lo, s9
	v_lshrrev_b16 v6, 8, v50
	s_mov_b32 s9, exec_lo
	v_cmpx_ne_u16_e32 0, v6
	s_cbranch_execz .LBB300_1722
; %bb.1715:                             ;   in Loop: Header=BB300_1574 Depth=1
	v_bfrev_b32_e32 v1, 1
	s_mov_b32 s16, exec_lo
	v_cmpx_ne_u16_e32 0x80, v6
	s_cbranch_execz .LBB300_1721
; %bb.1716:                             ;   in Loop: Header=BB300_1574 Depth=1
	v_and_b32_e32 v19, 0xffff, v6
	v_mov_b32_e32 v1, 0x7c010000
	s_mov_b32 s17, exec_lo
	s_delay_alu instid0(VALU_DEP_2) | instskip(NEXT) | instid1(VALU_DEP_1)
	v_and_b32_e32 v23, 0x7f, v19
	v_cmpx_ne_u32_e32 0x7f, v23
	s_cbranch_execz .LBB300_1720
; %bb.1717:                             ;   in Loop: Header=BB300_1574 Depth=1
	v_and_b32_e32 v1, 7, v19
	v_lshrrev_b32_e32 v22, 3, v23
	s_mov_b32 s18, exec_lo
	v_cmpx_gt_u32_e32 8, v23
; %bb.1718:                             ;   in Loop: Header=BB300_1574 Depth=1
	s_delay_alu instid0(VALU_DEP_3) | instskip(NEXT) | instid1(VALU_DEP_1)
	v_clz_i32_u32_e32 v1, v1
	v_min_u32_e32 v1, 32, v1
	s_delay_alu instid0(VALU_DEP_1) | instskip(NEXT) | instid1(VALU_DEP_1)
	v_subrev_nc_u32_e32 v22, 28, v1
	v_lshlrev_b64_e32 v[52:53], v22, v[6:7]
	s_delay_alu instid0(VALU_DEP_1)
	v_dual_sub_nc_u32 v22, 29, v1 :: v_dual_bitop2_b32 v1, 7, v52 bitop3:0x40
; %bb.1719:                             ;   in Loop: Header=BB300_1574 Depth=1
	s_or_b32 exec_lo, exec_lo, s18
	s_delay_alu instid0(VALU_DEP_1) | instskip(NEXT) | instid1(VALU_DEP_2)
	v_dual_lshlrev_b32 v6, 8, v19 :: v_dual_lshlrev_b32 v1, 23, v1
	v_lshl_add_u32 v19, v22, 10, 0x2000
	s_delay_alu instid0(VALU_DEP_1) | instskip(NEXT) | instid1(VALU_DEP_1)
	v_and_or_b32 v6, 0x8000, v6, v19
	v_lshl_or_b32 v1, v6, 16, v1
.LBB300_1720:                           ;   in Loop: Header=BB300_1574 Depth=1
	s_or_b32 exec_lo, exec_lo, s17
.LBB300_1721:                           ;   in Loop: Header=BB300_1574 Depth=1
	s_delay_alu instid0(SALU_CYCLE_1)
	s_or_b32 exec_lo, exec_lo, s16
.LBB300_1722:                           ;   in Loop: Header=BB300_1574 Depth=1
	s_delay_alu instid0(SALU_CYCLE_1) | instskip(SKIP_3) | instid1(VALU_DEP_2)
	s_or_b32 exec_lo, exec_lo, s9
	v_dual_mov_b32 v19, 0 :: v_dual_lshrrev_b32 v6, 16, v50
	v_mov_b32_e32 v22, 0
	s_mov_b32 s9, exec_lo
	v_and_b32_e32 v23, 0xff, v6
	s_delay_alu instid0(VALU_DEP_1)
	v_cmpx_ne_u16_e32 0, v23
	s_cbranch_execz .LBB300_1730
; %bb.1723:                             ;   in Loop: Header=BB300_1574 Depth=1
	v_mov_b32_e32 v22, 0x8000
	s_mov_b32 s16, exec_lo
	v_cmpx_ne_u16_e32 0x80, v23
	s_cbranch_execz .LBB300_1729
; %bb.1724:                             ;   in Loop: Header=BB300_1574 Depth=1
	v_bfe_u32 v49, v50, 16, 7
	v_mov_b32_e32 v22, 0x7c01
	s_mov_b32 s17, exec_lo
	s_delay_alu instid0(VALU_DEP_2)
	v_cmpx_ne_u32_e32 0x7f, v49
	s_cbranch_execz .LBB300_1728
; %bb.1725:                             ;   in Loop: Header=BB300_1574 Depth=1
	v_dual_lshrrev_b32 v23, 3, v49 :: v_dual_bitop2_b32 v22, 7, v6 bitop3:0x40
	s_mov_b32 s18, exec_lo
	v_cmpx_gt_u32_e32 8, v49
; %bb.1726:                             ;   in Loop: Header=BB300_1574 Depth=1
	s_delay_alu instid0(VALU_DEP_2) | instskip(NEXT) | instid1(VALU_DEP_1)
	v_clz_i32_u32_e32 v22, v22
	v_min_u32_e32 v49, 32, v22
	s_delay_alu instid0(VALU_DEP_1) | instskip(NEXT) | instid1(VALU_DEP_1)
	v_subrev_nc_u32_e32 v22, 28, v49
	v_lshlrev_b64_e32 v[22:23], v22, v[6:7]
	s_delay_alu instid0(VALU_DEP_1)
	v_dual_sub_nc_u32 v23, 29, v49 :: v_dual_bitop2_b32 v22, 7, v22 bitop3:0x40
; %bb.1727:                             ;   in Loop: Header=BB300_1574 Depth=1
	s_or_b32 exec_lo, exec_lo, s18
	v_lshlrev_b32_e32 v6, 8, v6
	s_delay_alu instid0(VALU_DEP_2) | instskip(NEXT) | instid1(VALU_DEP_3)
	v_lshl_add_u32 v23, v23, 10, 0x2000
	v_lshlrev_b32_e32 v22, 7, v22
	s_delay_alu instid0(VALU_DEP_3) | instskip(NEXT) | instid1(VALU_DEP_3)
	v_and_b32_e32 v6, 0x8000, v6
	v_and_b32_e32 v23, 0xfc00, v23
	s_delay_alu instid0(VALU_DEP_1)
	v_or3_b32 v22, v6, v23, v22
.LBB300_1728:                           ;   in Loop: Header=BB300_1574 Depth=1
	s_or_b32 exec_lo, exec_lo, s17
.LBB300_1729:                           ;   in Loop: Header=BB300_1574 Depth=1
	s_delay_alu instid0(SALU_CYCLE_1)
	s_or_b32 exec_lo, exec_lo, s16
.LBB300_1730:                           ;   in Loop: Header=BB300_1574 Depth=1
	s_delay_alu instid0(SALU_CYCLE_1) | instskip(NEXT) | instid1(SALU_CYCLE_1)
	s_or_b32 exec_lo, exec_lo, s9
	s_mov_b32 s9, exec_lo
	v_cmpx_lt_u32_e32 0xffffff, v50
	s_cbranch_execz .LBB300_1738
; %bb.1731:                             ;   in Loop: Header=BB300_1574 Depth=1
	v_lshrrev_b32_e32 v6, 24, v50
	v_bfrev_b32_e32 v19, 1
	s_mov_b32 s16, exec_lo
	s_delay_alu instid0(VALU_DEP_2)
	v_cmpx_ne_u32_e32 0x80, v6
	s_cbranch_execz .LBB300_1737
; %bb.1732:                             ;   in Loop: Header=BB300_1574 Depth=1
	v_and_b32_e32 v49, 0x7f, v6
	v_mov_b32_e32 v19, 0x7c010000
	s_mov_b32 s17, exec_lo
	s_delay_alu instid0(VALU_DEP_2)
	v_cmpx_ne_u32_e32 0x7f, v49
	s_cbranch_execz .LBB300_1736
; %bb.1733:                             ;   in Loop: Header=BB300_1574 Depth=1
	v_dual_lshrrev_b32 v23, 3, v49 :: v_dual_bitop2_b32 v19, 7, v6 bitop3:0x40
	s_mov_b32 s18, exec_lo
	v_cmpx_gt_u32_e32 8, v49
; %bb.1734:                             ;   in Loop: Header=BB300_1574 Depth=1
	s_delay_alu instid0(VALU_DEP_2) | instskip(NEXT) | instid1(VALU_DEP_1)
	v_clz_i32_u32_e32 v19, v19
	v_min_u32_e32 v19, 32, v19
	s_delay_alu instid0(VALU_DEP_1) | instskip(NEXT) | instid1(VALU_DEP_1)
	v_subrev_nc_u32_e32 v23, 28, v19
	v_lshlrev_b64_e32 v[52:53], v23, v[6:7]
	s_delay_alu instid0(VALU_DEP_1)
	v_dual_sub_nc_u32 v23, 29, v19 :: v_dual_bitop2_b32 v19, 7, v52 bitop3:0x40
; %bb.1735:                             ;   in Loop: Header=BB300_1574 Depth=1
	s_or_b32 exec_lo, exec_lo, s18
	s_delay_alu instid0(VALU_DEP_1) | instskip(NEXT) | instid1(VALU_DEP_2)
	v_dual_lshlrev_b32 v6, 8, v6 :: v_dual_lshlrev_b32 v19, 23, v19
	v_lshl_add_u32 v23, v23, 10, 0x2000
	s_delay_alu instid0(VALU_DEP_1) | instskip(NEXT) | instid1(VALU_DEP_1)
	v_and_or_b32 v6, 0x8000, v6, v23
	v_lshl_or_b32 v19, v6, 16, v19
.LBB300_1736:                           ;   in Loop: Header=BB300_1574 Depth=1
	s_or_b32 exec_lo, exec_lo, s17
.LBB300_1737:                           ;   in Loop: Header=BB300_1574 Depth=1
	s_delay_alu instid0(SALU_CYCLE_1)
	s_or_b32 exec_lo, exec_lo, s16
.LBB300_1738:                           ;   in Loop: Header=BB300_1574 Depth=1
	s_delay_alu instid0(SALU_CYCLE_1) | instskip(SKIP_4) | instid1(VALU_DEP_3)
	s_or_b32 exec_lo, exec_lo, s9
	v_and_b32_e32 v52, 0xff, v51
	v_dual_mov_b32 v6, v51 :: v_dual_mov_b32 v49, 0
	v_mov_b32_e32 v23, 0
	s_mov_b32 s9, exec_lo
	v_cmpx_ne_u16_e32 0, v52
	s_cbranch_execz .LBB300_1746
; %bb.1739:                             ;   in Loop: Header=BB300_1574 Depth=1
	v_mov_b32_e32 v23, 0x8000
	s_mov_b32 s16, exec_lo
	v_cmpx_ne_u16_e32 0x80, v52
	s_cbranch_execz .LBB300_1745
; %bb.1740:                             ;   in Loop: Header=BB300_1574 Depth=1
	v_and_b32_e32 v53, 0x7f, v51
	v_mov_b32_e32 v23, 0x7c01
	s_mov_b32 s17, exec_lo
	s_delay_alu instid0(VALU_DEP_2)
	v_cmpx_ne_u32_e32 0x7f, v53
	s_cbranch_execz .LBB300_1744
; %bb.1741:                             ;   in Loop: Header=BB300_1574 Depth=1
	v_dual_lshrrev_b32 v52, 3, v53 :: v_dual_bitop2_b32 v23, 7, v51 bitop3:0x40
	s_mov_b32 s18, exec_lo
	v_cmpx_gt_u32_e32 8, v53
; %bb.1742:                             ;   in Loop: Header=BB300_1574 Depth=1
	s_delay_alu instid0(VALU_DEP_2) | instskip(NEXT) | instid1(VALU_DEP_1)
	v_clz_i32_u32_e32 v23, v23
	v_min_u32_e32 v23, 32, v23
	s_delay_alu instid0(VALU_DEP_1) | instskip(NEXT) | instid1(VALU_DEP_1)
	v_subrev_nc_u32_e32 v52, 28, v23
	v_lshlrev_b64_e32 v[54:55], v52, v[6:7]
	s_delay_alu instid0(VALU_DEP_1)
	v_dual_sub_nc_u32 v52, 29, v23 :: v_dual_bitop2_b32 v23, 7, v54 bitop3:0x40
; %bb.1743:                             ;   in Loop: Header=BB300_1574 Depth=1
	s_or_b32 exec_lo, exec_lo, s18
	v_lshlrev_b32_e32 v53, 8, v51
	s_delay_alu instid0(VALU_DEP_2) | instskip(NEXT) | instid1(VALU_DEP_3)
	v_lshl_add_u32 v52, v52, 10, 0x2000
	v_lshlrev_b32_e32 v23, 7, v23
	s_delay_alu instid0(VALU_DEP_3) | instskip(NEXT) | instid1(VALU_DEP_3)
	v_and_b32_e32 v53, 0x8000, v53
	v_and_b32_e32 v52, 0xfc00, v52
	s_delay_alu instid0(VALU_DEP_1)
	v_or3_b32 v23, v53, v52, v23
.LBB300_1744:                           ;   in Loop: Header=BB300_1574 Depth=1
	s_or_b32 exec_lo, exec_lo, s17
.LBB300_1745:                           ;   in Loop: Header=BB300_1574 Depth=1
	s_delay_alu instid0(SALU_CYCLE_1)
	s_or_b32 exec_lo, exec_lo, s16
.LBB300_1746:                           ;   in Loop: Header=BB300_1574 Depth=1
	s_delay_alu instid0(SALU_CYCLE_1) | instskip(SKIP_3) | instid1(VALU_DEP_2)
	s_or_b32 exec_lo, exec_lo, s9
	v_lshrrev_b16 v6, 8, v6
	v_mov_b32_e32 v52, 0
	s_mov_b32 s9, exec_lo
	v_cmpx_ne_u16_e32 0, v6
	s_cbranch_execz .LBB300_1754
; %bb.1747:                             ;   in Loop: Header=BB300_1574 Depth=1
	v_bfrev_b32_e32 v52, 1
	s_mov_b32 s16, exec_lo
	v_cmpx_ne_u16_e32 0x80, v6
	s_cbranch_execz .LBB300_1753
; %bb.1748:                             ;   in Loop: Header=BB300_1574 Depth=1
	v_and_b32_e32 v53, 0xffff, v6
	v_mov_b32_e32 v52, 0x7c010000
	s_mov_b32 s17, exec_lo
	s_delay_alu instid0(VALU_DEP_2) | instskip(NEXT) | instid1(VALU_DEP_1)
	v_and_b32_e32 v55, 0x7f, v53
	v_cmpx_ne_u32_e32 0x7f, v55
	s_cbranch_execz .LBB300_1752
; %bb.1749:                             ;   in Loop: Header=BB300_1574 Depth=1
	v_dual_lshrrev_b32 v54, 3, v55 :: v_dual_bitop2_b32 v52, 7, v53 bitop3:0x40
	s_mov_b32 s18, exec_lo
	v_cmpx_gt_u32_e32 8, v55
; %bb.1750:                             ;   in Loop: Header=BB300_1574 Depth=1
	s_delay_alu instid0(VALU_DEP_2) | instskip(NEXT) | instid1(VALU_DEP_1)
	v_clz_i32_u32_e32 v52, v52
	v_min_u32_e32 v52, 32, v52
	s_delay_alu instid0(VALU_DEP_1) | instskip(NEXT) | instid1(VALU_DEP_1)
	v_subrev_nc_u32_e32 v54, 28, v52
	v_lshlrev_b64_e32 v[64:65], v54, v[6:7]
	v_sub_nc_u32_e32 v54, 29, v52
	s_delay_alu instid0(VALU_DEP_2)
	v_and_b32_e32 v52, 7, v64
; %bb.1751:                             ;   in Loop: Header=BB300_1574 Depth=1
	s_or_b32 exec_lo, exec_lo, s18
	s_delay_alu instid0(VALU_DEP_1) | instskip(NEXT) | instid1(VALU_DEP_3)
	v_dual_lshlrev_b32 v6, 8, v53 :: v_dual_lshlrev_b32 v52, 23, v52
	v_lshl_add_u32 v53, v54, 10, 0x2000
	s_delay_alu instid0(VALU_DEP_1) | instskip(NEXT) | instid1(VALU_DEP_1)
	v_and_or_b32 v6, 0x8000, v6, v53
	v_lshl_or_b32 v52, v6, 16, v52
.LBB300_1752:                           ;   in Loop: Header=BB300_1574 Depth=1
	s_or_b32 exec_lo, exec_lo, s17
.LBB300_1753:                           ;   in Loop: Header=BB300_1574 Depth=1
	s_delay_alu instid0(SALU_CYCLE_1)
	s_or_b32 exec_lo, exec_lo, s16
.LBB300_1754:                           ;   in Loop: Header=BB300_1574 Depth=1
	s_delay_alu instid0(SALU_CYCLE_1) | instskip(SKIP_2) | instid1(VALU_DEP_1)
	s_or_b32 exec_lo, exec_lo, s9
	v_lshrrev_b32_e32 v6, 16, v51
	s_mov_b32 s9, exec_lo
	v_and_b32_e32 v53, 0xff, v6
	s_delay_alu instid0(VALU_DEP_1)
	v_cmpx_ne_u16_e32 0, v53
	s_cbranch_execz .LBB300_1762
; %bb.1755:                             ;   in Loop: Header=BB300_1574 Depth=1
	v_mov_b32_e32 v49, 0x8000
	s_mov_b32 s16, exec_lo
	v_cmpx_ne_u16_e32 0x80, v53
	s_cbranch_execz .LBB300_1761
; %bb.1756:                             ;   in Loop: Header=BB300_1574 Depth=1
	v_bfe_u32 v54, v51, 16, 7
	v_mov_b32_e32 v49, 0x7c01
	s_mov_b32 s17, exec_lo
	s_delay_alu instid0(VALU_DEP_2)
	v_cmpx_ne_u32_e32 0x7f, v54
	s_cbranch_execz .LBB300_1760
; %bb.1757:                             ;   in Loop: Header=BB300_1574 Depth=1
	v_and_b32_e32 v49, 7, v6
	v_lshrrev_b32_e32 v53, 3, v54
	s_mov_b32 s18, exec_lo
	v_cmpx_gt_u32_e32 8, v54
; %bb.1758:                             ;   in Loop: Header=BB300_1574 Depth=1
	s_delay_alu instid0(VALU_DEP_3) | instskip(NEXT) | instid1(VALU_DEP_1)
	v_clz_i32_u32_e32 v49, v49
	v_min_u32_e32 v49, 32, v49
	s_delay_alu instid0(VALU_DEP_1) | instskip(NEXT) | instid1(VALU_DEP_1)
	v_subrev_nc_u32_e32 v53, 28, v49
	v_lshlrev_b64_e32 v[54:55], v53, v[6:7]
	s_delay_alu instid0(VALU_DEP_1)
	v_dual_sub_nc_u32 v53, 29, v49 :: v_dual_bitop2_b32 v49, 7, v54 bitop3:0x40
; %bb.1759:                             ;   in Loop: Header=BB300_1574 Depth=1
	s_or_b32 exec_lo, exec_lo, s18
	s_delay_alu instid0(VALU_DEP_1) | instskip(NEXT) | instid1(VALU_DEP_2)
	v_dual_lshlrev_b32 v6, 8, v6 :: v_dual_lshlrev_b32 v49, 7, v49
	v_lshl_add_u32 v53, v53, 10, 0x2000
	s_delay_alu instid0(VALU_DEP_2) | instskip(NEXT) | instid1(VALU_DEP_2)
	v_and_b32_e32 v6, 0x8000, v6
	v_and_b32_e32 v53, 0xfc00, v53
	s_delay_alu instid0(VALU_DEP_1)
	v_or3_b32 v49, v6, v53, v49
.LBB300_1760:                           ;   in Loop: Header=BB300_1574 Depth=1
	s_or_b32 exec_lo, exec_lo, s17
.LBB300_1761:                           ;   in Loop: Header=BB300_1574 Depth=1
	s_delay_alu instid0(SALU_CYCLE_1)
	s_or_b32 exec_lo, exec_lo, s16
.LBB300_1762:                           ;   in Loop: Header=BB300_1574 Depth=1
	s_delay_alu instid0(SALU_CYCLE_1)
	s_or_b32 exec_lo, exec_lo, s9
	v_cmp_lt_u64_e64 s0, s[2:3], v[50:51]
	v_mov_b32_e32 v50, 0
	s_and_saveexec_b32 s9, s0
	s_cbranch_execz .LBB300_1770
; %bb.1763:                             ;   in Loop: Header=BB300_1574 Depth=1
	v_lshrrev_b32_e32 v6, 24, v51
	v_bfrev_b32_e32 v50, 1
	s_mov_b32 s16, exec_lo
	s_delay_alu instid0(VALU_DEP_2)
	v_cmpx_ne_u32_e32 0x80, v6
	s_cbranch_execz .LBB300_1769
; %bb.1764:                             ;   in Loop: Header=BB300_1574 Depth=1
	v_and_b32_e32 v53, 0x7f, v6
	v_mov_b32_e32 v50, 0x7c010000
	s_mov_b32 s17, exec_lo
	s_delay_alu instid0(VALU_DEP_2)
	v_cmpx_ne_u32_e32 0x7f, v53
	s_cbranch_execz .LBB300_1768
; %bb.1765:                             ;   in Loop: Header=BB300_1574 Depth=1
	v_dual_lshrrev_b32 v51, 3, v53 :: v_dual_bitop2_b32 v50, 7, v6 bitop3:0x40
	s_mov_b32 s18, exec_lo
	v_cmpx_gt_u32_e32 8, v53
; %bb.1766:                             ;   in Loop: Header=BB300_1574 Depth=1
	s_delay_alu instid0(VALU_DEP_2) | instskip(NEXT) | instid1(VALU_DEP_1)
	v_clz_i32_u32_e32 v50, v50
	v_min_u32_e32 v53, 32, v50
	s_delay_alu instid0(VALU_DEP_1) | instskip(NEXT) | instid1(VALU_DEP_1)
	v_subrev_nc_u32_e32 v50, 28, v53
	v_lshlrev_b64_e32 v[50:51], v50, v[6:7]
	s_delay_alu instid0(VALU_DEP_1)
	v_dual_sub_nc_u32 v51, 29, v53 :: v_dual_bitop2_b32 v50, 7, v50 bitop3:0x40
; %bb.1767:                             ;   in Loop: Header=BB300_1574 Depth=1
	s_or_b32 exec_lo, exec_lo, s18
	v_lshlrev_b32_e32 v6, 8, v6
	s_delay_alu instid0(VALU_DEP_2) | instskip(NEXT) | instid1(VALU_DEP_3)
	v_lshl_add_u32 v51, v51, 10, 0x2000
	v_lshlrev_b32_e32 v50, 23, v50
	s_delay_alu instid0(VALU_DEP_2) | instskip(NEXT) | instid1(VALU_DEP_1)
	v_and_or_b32 v6, 0x8000, v6, v51
	v_lshl_or_b32 v50, v6, 16, v50
.LBB300_1768:                           ;   in Loop: Header=BB300_1574 Depth=1
	s_or_b32 exec_lo, exec_lo, s17
.LBB300_1769:                           ;   in Loop: Header=BB300_1574 Depth=1
	s_delay_alu instid0(SALU_CYCLE_1)
	s_or_b32 exec_lo, exec_lo, s16
.LBB300_1770:                           ;   in Loop: Header=BB300_1574 Depth=1
	s_delay_alu instid0(SALU_CYCLE_1) | instskip(SKIP_4) | instid1(VALU_DEP_4)
	s_or_b32 exec_lo, exec_lo, s9
	v_dual_lshrrev_b32 v6, 16, v1 :: v_dual_lshrrev_b32 v51, 16, v19
	v_or_b32_e32 v1, v1, v18
	v_or_b32_e32 v22, v19, v22
	;; [unrolled: 1-line block ×3, first 2 shown]
	v_cvt_f32_f16_e32 v19, v6
	v_cvt_f32_f16_e32 v18, v51
	v_dual_lshrrev_b32 v50, 16, v50 :: v_dual_bitop2_b32 v6, v50, v49 bitop3:0x54
	v_lshrrev_b32_e32 v49, 16, v52
	v_cvt_f32_f16_e32 v23, v1
	s_delay_alu instid0(VALU_DEP_3) | instskip(NEXT) | instid1(VALU_DEP_4)
	v_cvt_f32_f16_e32 v52, v6
	v_cvt_f32_f16_e32 v50, v50
	s_wait_loadcnt_dscnt 0x0
	v_pk_mul_f32 v[18:19], v[48:49], v[18:19] op_sel_hi:[0,1]
	v_cvt_f32_f16_e32 v51, v49
	s_delay_alu instid0(VALU_DEP_2) | instskip(NEXT) | instid1(VALU_DEP_2)
	v_cvt_pk_f16_f32 v1, v18, v19
	v_pk_mul_f32 v[18:19], v[48:49], v[50:51] op_sel_hi:[0,1]
	s_delay_alu instid0(VALU_DEP_2) | instskip(SKIP_2) | instid1(VALU_DEP_4)
	v_lshlrev_b32_e32 v50, 16, v1
	v_cvt_f32_f16_e32 v22, v22
	v_and_b32_e32 v51, 0xffff0000, v1
	v_cvt_pk_f16_f32 v18, v18, v19
	s_delay_alu instid0(VALU_DEP_3) | instskip(NEXT) | instid1(VALU_DEP_2)
	v_pk_mul_f32 v[22:23], v[48:49], v[22:23] op_sel_hi:[0,1]
	v_and_b32_e32 v19, 0xffff0000, v18
	s_delay_alu instid0(VALU_DEP_2) | instskip(NEXT) | instid1(VALU_DEP_1)
	v_cvt_pk_f16_f32 v6, v22, v23
	v_lshrrev_b32_e32 v65, 16, v6
	v_cvt_f32_f16_e32 v53, v53
	v_and_b32_e32 v64, 0xffff, v6
	s_delay_alu instid0(VALU_DEP_3) | instskip(NEXT) | instid1(VALU_DEP_3)
	v_or_b32_e32 v55, v51, v65
	v_pk_mul_f32 v[48:49], v[48:49], v[52:53] op_sel_hi:[0,1]
	s_delay_alu instid0(VALU_DEP_3) | instskip(NEXT) | instid1(VALU_DEP_2)
	v_or_b32_e32 v54, v50, v64
	v_cvt_pk_f16_f32 v1, v48, v49
	s_delay_alu instid0(VALU_DEP_1) | instskip(SKIP_1) | instid1(VALU_DEP_2)
	v_dual_lshlrev_b32 v6, 16, v18 :: v_dual_lshrrev_b32 v49, 16, v1
	v_and_b32_e32 v48, 0xffff, v1
	v_or_b32_e32 v53, v19, v49
	s_delay_alu instid0(VALU_DEP_2)
	v_or_b32_e32 v52, v6, v48
	s_and_saveexec_b32 s9, vcc_lo
	s_cbranch_execz .LBB300_1772
; %bb.1771:                             ;   in Loop: Header=BB300_1574 Depth=1
	v_cmp_lt_i32_e64 s0, v70, v13
	s_delay_alu instid0(VALU_DEP_1) | instskip(SKIP_1) | instid1(VALU_DEP_1)
	v_cndmask_b32_e64 v1, 0, v65, s0
	v_cmp_lt_i32_e64 s0, v86, v12
	v_cndmask_b32_e64 v18, 0, v64, s0
	v_cmp_lt_i32_e64 s0, v85, v13
	s_delay_alu instid0(VALU_DEP_1) | instskip(SKIP_1) | instid1(VALU_DEP_1)
	v_cndmask_b32_e64 v22, 0, v51, s0
	v_cmp_lt_i32_e64 s0, v84, v12
	v_cndmask_b32_e64 v23, 0, v50, s0
	v_cmp_lt_i32_e64 s0, v83, v13
	s_delay_alu instid0(VALU_DEP_4) | instskip(NEXT) | instid1(VALU_DEP_2)
	v_or_b32_e32 v55, v1, v22
	v_dual_cndmask_b32 v49, 0, v49, s0 :: v_dual_bitop2_b32 v54, v18, v23 bitop3:0x54
	v_cmp_lt_i32_e64 s0, v82, v12
	s_delay_alu instid0(VALU_DEP_1) | instskip(SKIP_1) | instid1(VALU_DEP_1)
	v_cndmask_b32_e64 v48, 0, v48, s0
	v_cmp_lt_i32_e64 s0, v81, v13
	v_cndmask_b32_e64 v19, 0, v19, s0
	v_cmp_lt_i32_e64 s0, v0, v12
	s_delay_alu instid0(VALU_DEP_1) | instskip(NEXT) | instid1(VALU_DEP_1)
	v_dual_cndmask_b32 v6, 0, v6, s0 :: v_dual_bitop2_b32 v53, v49, v19 bitop3:0x54
	v_or_b32_e32 v52, v48, v6
.LBB300_1772:                           ;   in Loop: Header=BB300_1574 Depth=1
	s_or_b32 exec_lo, exec_lo, s9
	;;#ASMSTART
	v_pk_mul_f16 v1, v98, v55;

	;;#ASMEND
	;;#ASMSTART
	v_pk_mul_f16 v6, v97, v54;

	;;#ASMEND
	;; [unrolled: 4-line block ×4, first 2 shown]
	;;#ASMSTART
	v_pk_add_f16 v1, v1, v6;

	;;#ASMEND
	;;#ASMSTART
	v_pk_add_f16 v1, v1, v18;

	;;#ASMEND
	;; [unrolled: 4-line block ×3, first 2 shown]
	v_and_b32_e32 v6, 0xffff, v1
	v_lshrrev_b32_e32 v1, 16, v1
	;;#ASMSTART
	v_cvt_f32_f16 v103, v6;
	;;#ASMEND
	;;#ASMSTART
	v_cvt_f32_f16 v112, v1;
	;;#ASMEND
	flat_load_b64 v[50:51], v[36:37] offset:768
	scratch_load_b64 v[18:19], off, s32 offset:192 ; 8-byte Folded Reload
	v_mov_b32_e32 v1, 0
	s_mov_b32 s9, exec_lo
	s_wait_loadcnt_dscnt 0x100
	v_and_b32_e32 v6, 0xff, v50
	s_wait_loadcnt 0x0
	flat_load_b32 v48, v[18:19]
	s_wait_xcnt 0x0
	v_mov_b32_e32 v18, 0
	v_cmpx_ne_u16_e32 0, v6
	s_cbranch_execz .LBB300_1780
; %bb.1773:                             ;   in Loop: Header=BB300_1574 Depth=1
	v_mov_b32_e32 v18, 0x8000
	s_mov_b32 s16, exec_lo
	v_cmpx_ne_u16_e32 0x80, v6
	s_cbranch_execz .LBB300_1779
; %bb.1774:                             ;   in Loop: Header=BB300_1574 Depth=1
	v_and_b32_e32 v19, 0x7f, v50
	v_mov_b32_e32 v18, 0x7c01
	s_mov_b32 s17, exec_lo
	s_delay_alu instid0(VALU_DEP_2)
	v_cmpx_ne_u32_e32 0x7f, v19
	s_cbranch_execz .LBB300_1778
; %bb.1775:                             ;   in Loop: Header=BB300_1574 Depth=1
	v_dual_lshrrev_b32 v18, 3, v19 :: v_dual_bitop2_b32 v6, 7, v50 bitop3:0x40
	s_mov_b32 s18, exec_lo
	v_cmpx_gt_u32_e32 8, v19
; %bb.1776:                             ;   in Loop: Header=BB300_1574 Depth=1
	s_delay_alu instid0(VALU_DEP_2) | instskip(NEXT) | instid1(VALU_DEP_1)
	v_clz_i32_u32_e32 v6, v6
	v_min_u32_e32 v6, 32, v6
	s_delay_alu instid0(VALU_DEP_1) | instskip(NEXT) | instid1(VALU_DEP_1)
	v_subrev_nc_u32_e32 v18, 28, v6
	v_lshlrev_b64_e32 v[22:23], v18, v[50:51]
	v_sub_nc_u32_e32 v18, 29, v6
	s_delay_alu instid0(VALU_DEP_2)
	v_and_b32_e32 v6, 7, v22
; %bb.1777:                             ;   in Loop: Header=BB300_1574 Depth=1
	s_or_b32 exec_lo, exec_lo, s18
	v_lshlrev_b32_e32 v19, 8, v50
	s_delay_alu instid0(VALU_DEP_3) | instskip(NEXT) | instid1(VALU_DEP_3)
	v_lshl_add_u32 v18, v18, 10, 0x2000
	v_lshlrev_b32_e32 v6, 7, v6
	s_delay_alu instid0(VALU_DEP_3) | instskip(NEXT) | instid1(VALU_DEP_3)
	v_and_b32_e32 v19, 0x8000, v19
	v_and_b32_e32 v18, 0xfc00, v18
	s_delay_alu instid0(VALU_DEP_1)
	v_or3_b32 v18, v19, v18, v6
.LBB300_1778:                           ;   in Loop: Header=BB300_1574 Depth=1
	s_or_b32 exec_lo, exec_lo, s17
.LBB300_1779:                           ;   in Loop: Header=BB300_1574 Depth=1
	s_delay_alu instid0(SALU_CYCLE_1)
	s_or_b32 exec_lo, exec_lo, s16
.LBB300_1780:                           ;   in Loop: Header=BB300_1574 Depth=1
	s_delay_alu instid0(SALU_CYCLE_1) | instskip(SKIP_2) | instid1(VALU_DEP_1)
	s_or_b32 exec_lo, exec_lo, s9
	v_lshrrev_b16 v6, 8, v50
	s_mov_b32 s9, exec_lo
	v_cmpx_ne_u16_e32 0, v6
	s_cbranch_execz .LBB300_1788
; %bb.1781:                             ;   in Loop: Header=BB300_1574 Depth=1
	v_bfrev_b32_e32 v1, 1
	s_mov_b32 s16, exec_lo
	v_cmpx_ne_u16_e32 0x80, v6
	s_cbranch_execz .LBB300_1787
; %bb.1782:                             ;   in Loop: Header=BB300_1574 Depth=1
	v_and_b32_e32 v19, 0xffff, v6
	v_mov_b32_e32 v1, 0x7c010000
	s_mov_b32 s17, exec_lo
	s_delay_alu instid0(VALU_DEP_2) | instskip(NEXT) | instid1(VALU_DEP_1)
	v_and_b32_e32 v23, 0x7f, v19
	v_cmpx_ne_u32_e32 0x7f, v23
	s_cbranch_execz .LBB300_1786
; %bb.1783:                             ;   in Loop: Header=BB300_1574 Depth=1
	v_and_b32_e32 v1, 7, v19
	v_lshrrev_b32_e32 v22, 3, v23
	s_mov_b32 s18, exec_lo
	v_cmpx_gt_u32_e32 8, v23
; %bb.1784:                             ;   in Loop: Header=BB300_1574 Depth=1
	s_delay_alu instid0(VALU_DEP_3) | instskip(NEXT) | instid1(VALU_DEP_1)
	v_clz_i32_u32_e32 v1, v1
	v_min_u32_e32 v1, 32, v1
	s_delay_alu instid0(VALU_DEP_1) | instskip(NEXT) | instid1(VALU_DEP_1)
	v_subrev_nc_u32_e32 v22, 28, v1
	v_lshlrev_b64_e32 v[52:53], v22, v[6:7]
	s_delay_alu instid0(VALU_DEP_1)
	v_dual_sub_nc_u32 v22, 29, v1 :: v_dual_bitop2_b32 v1, 7, v52 bitop3:0x40
; %bb.1785:                             ;   in Loop: Header=BB300_1574 Depth=1
	s_or_b32 exec_lo, exec_lo, s18
	s_delay_alu instid0(VALU_DEP_1) | instskip(NEXT) | instid1(VALU_DEP_2)
	v_dual_lshlrev_b32 v6, 8, v19 :: v_dual_lshlrev_b32 v1, 23, v1
	v_lshl_add_u32 v19, v22, 10, 0x2000
	s_delay_alu instid0(VALU_DEP_1) | instskip(NEXT) | instid1(VALU_DEP_1)
	v_and_or_b32 v6, 0x8000, v6, v19
	v_lshl_or_b32 v1, v6, 16, v1
.LBB300_1786:                           ;   in Loop: Header=BB300_1574 Depth=1
	s_or_b32 exec_lo, exec_lo, s17
.LBB300_1787:                           ;   in Loop: Header=BB300_1574 Depth=1
	s_delay_alu instid0(SALU_CYCLE_1)
	s_or_b32 exec_lo, exec_lo, s16
.LBB300_1788:                           ;   in Loop: Header=BB300_1574 Depth=1
	s_delay_alu instid0(SALU_CYCLE_1) | instskip(SKIP_3) | instid1(VALU_DEP_2)
	s_or_b32 exec_lo, exec_lo, s9
	v_dual_mov_b32 v19, 0 :: v_dual_lshrrev_b32 v6, 16, v50
	v_mov_b32_e32 v22, 0
	s_mov_b32 s9, exec_lo
	v_and_b32_e32 v23, 0xff, v6
	s_delay_alu instid0(VALU_DEP_1)
	v_cmpx_ne_u16_e32 0, v23
	s_cbranch_execz .LBB300_1796
; %bb.1789:                             ;   in Loop: Header=BB300_1574 Depth=1
	v_mov_b32_e32 v22, 0x8000
	s_mov_b32 s16, exec_lo
	v_cmpx_ne_u16_e32 0x80, v23
	s_cbranch_execz .LBB300_1795
; %bb.1790:                             ;   in Loop: Header=BB300_1574 Depth=1
	v_bfe_u32 v49, v50, 16, 7
	v_mov_b32_e32 v22, 0x7c01
	s_mov_b32 s17, exec_lo
	s_delay_alu instid0(VALU_DEP_2)
	v_cmpx_ne_u32_e32 0x7f, v49
	s_cbranch_execz .LBB300_1794
; %bb.1791:                             ;   in Loop: Header=BB300_1574 Depth=1
	v_dual_lshrrev_b32 v23, 3, v49 :: v_dual_bitop2_b32 v22, 7, v6 bitop3:0x40
	s_mov_b32 s18, exec_lo
	v_cmpx_gt_u32_e32 8, v49
; %bb.1792:                             ;   in Loop: Header=BB300_1574 Depth=1
	s_delay_alu instid0(VALU_DEP_2) | instskip(NEXT) | instid1(VALU_DEP_1)
	v_clz_i32_u32_e32 v22, v22
	v_min_u32_e32 v49, 32, v22
	s_delay_alu instid0(VALU_DEP_1) | instskip(NEXT) | instid1(VALU_DEP_1)
	v_subrev_nc_u32_e32 v22, 28, v49
	v_lshlrev_b64_e32 v[22:23], v22, v[6:7]
	s_delay_alu instid0(VALU_DEP_1)
	v_dual_sub_nc_u32 v23, 29, v49 :: v_dual_bitop2_b32 v22, 7, v22 bitop3:0x40
; %bb.1793:                             ;   in Loop: Header=BB300_1574 Depth=1
	s_or_b32 exec_lo, exec_lo, s18
	v_lshlrev_b32_e32 v6, 8, v6
	s_delay_alu instid0(VALU_DEP_2) | instskip(NEXT) | instid1(VALU_DEP_3)
	v_lshl_add_u32 v23, v23, 10, 0x2000
	v_lshlrev_b32_e32 v22, 7, v22
	s_delay_alu instid0(VALU_DEP_3) | instskip(NEXT) | instid1(VALU_DEP_3)
	v_and_b32_e32 v6, 0x8000, v6
	v_and_b32_e32 v23, 0xfc00, v23
	s_delay_alu instid0(VALU_DEP_1)
	v_or3_b32 v22, v6, v23, v22
.LBB300_1794:                           ;   in Loop: Header=BB300_1574 Depth=1
	s_or_b32 exec_lo, exec_lo, s17
.LBB300_1795:                           ;   in Loop: Header=BB300_1574 Depth=1
	s_delay_alu instid0(SALU_CYCLE_1)
	s_or_b32 exec_lo, exec_lo, s16
.LBB300_1796:                           ;   in Loop: Header=BB300_1574 Depth=1
	s_delay_alu instid0(SALU_CYCLE_1) | instskip(NEXT) | instid1(SALU_CYCLE_1)
	s_or_b32 exec_lo, exec_lo, s9
	s_mov_b32 s9, exec_lo
	v_cmpx_lt_u32_e32 0xffffff, v50
	s_cbranch_execz .LBB300_1804
; %bb.1797:                             ;   in Loop: Header=BB300_1574 Depth=1
	v_lshrrev_b32_e32 v6, 24, v50
	v_bfrev_b32_e32 v19, 1
	s_mov_b32 s16, exec_lo
	s_delay_alu instid0(VALU_DEP_2)
	v_cmpx_ne_u32_e32 0x80, v6
	s_cbranch_execz .LBB300_1803
; %bb.1798:                             ;   in Loop: Header=BB300_1574 Depth=1
	v_and_b32_e32 v49, 0x7f, v6
	v_mov_b32_e32 v19, 0x7c010000
	s_mov_b32 s17, exec_lo
	s_delay_alu instid0(VALU_DEP_2)
	v_cmpx_ne_u32_e32 0x7f, v49
	s_cbranch_execz .LBB300_1802
; %bb.1799:                             ;   in Loop: Header=BB300_1574 Depth=1
	v_dual_lshrrev_b32 v23, 3, v49 :: v_dual_bitop2_b32 v19, 7, v6 bitop3:0x40
	s_mov_b32 s18, exec_lo
	v_cmpx_gt_u32_e32 8, v49
; %bb.1800:                             ;   in Loop: Header=BB300_1574 Depth=1
	s_delay_alu instid0(VALU_DEP_2) | instskip(NEXT) | instid1(VALU_DEP_1)
	v_clz_i32_u32_e32 v19, v19
	v_min_u32_e32 v19, 32, v19
	s_delay_alu instid0(VALU_DEP_1) | instskip(NEXT) | instid1(VALU_DEP_1)
	v_subrev_nc_u32_e32 v23, 28, v19
	v_lshlrev_b64_e32 v[52:53], v23, v[6:7]
	s_delay_alu instid0(VALU_DEP_1)
	v_dual_sub_nc_u32 v23, 29, v19 :: v_dual_bitop2_b32 v19, 7, v52 bitop3:0x40
; %bb.1801:                             ;   in Loop: Header=BB300_1574 Depth=1
	s_or_b32 exec_lo, exec_lo, s18
	s_delay_alu instid0(VALU_DEP_1) | instskip(NEXT) | instid1(VALU_DEP_2)
	v_dual_lshlrev_b32 v6, 8, v6 :: v_dual_lshlrev_b32 v19, 23, v19
	v_lshl_add_u32 v23, v23, 10, 0x2000
	s_delay_alu instid0(VALU_DEP_1) | instskip(NEXT) | instid1(VALU_DEP_1)
	v_and_or_b32 v6, 0x8000, v6, v23
	v_lshl_or_b32 v19, v6, 16, v19
.LBB300_1802:                           ;   in Loop: Header=BB300_1574 Depth=1
	s_or_b32 exec_lo, exec_lo, s17
.LBB300_1803:                           ;   in Loop: Header=BB300_1574 Depth=1
	s_delay_alu instid0(SALU_CYCLE_1)
	s_or_b32 exec_lo, exec_lo, s16
.LBB300_1804:                           ;   in Loop: Header=BB300_1574 Depth=1
	s_delay_alu instid0(SALU_CYCLE_1) | instskip(SKIP_4) | instid1(VALU_DEP_3)
	s_or_b32 exec_lo, exec_lo, s9
	v_and_b32_e32 v52, 0xff, v51
	v_dual_mov_b32 v6, v51 :: v_dual_mov_b32 v49, 0
	v_mov_b32_e32 v23, 0
	s_mov_b32 s9, exec_lo
	v_cmpx_ne_u16_e32 0, v52
	s_cbranch_execz .LBB300_1812
; %bb.1805:                             ;   in Loop: Header=BB300_1574 Depth=1
	v_mov_b32_e32 v23, 0x8000
	s_mov_b32 s16, exec_lo
	v_cmpx_ne_u16_e32 0x80, v52
	s_cbranch_execz .LBB300_1811
; %bb.1806:                             ;   in Loop: Header=BB300_1574 Depth=1
	v_and_b32_e32 v53, 0x7f, v51
	v_mov_b32_e32 v23, 0x7c01
	s_mov_b32 s17, exec_lo
	s_delay_alu instid0(VALU_DEP_2)
	v_cmpx_ne_u32_e32 0x7f, v53
	s_cbranch_execz .LBB300_1810
; %bb.1807:                             ;   in Loop: Header=BB300_1574 Depth=1
	v_dual_lshrrev_b32 v52, 3, v53 :: v_dual_bitop2_b32 v23, 7, v51 bitop3:0x40
	s_mov_b32 s18, exec_lo
	v_cmpx_gt_u32_e32 8, v53
; %bb.1808:                             ;   in Loop: Header=BB300_1574 Depth=1
	s_delay_alu instid0(VALU_DEP_2) | instskip(NEXT) | instid1(VALU_DEP_1)
	v_clz_i32_u32_e32 v23, v23
	v_min_u32_e32 v23, 32, v23
	s_delay_alu instid0(VALU_DEP_1) | instskip(NEXT) | instid1(VALU_DEP_1)
	v_subrev_nc_u32_e32 v52, 28, v23
	v_lshlrev_b64_e32 v[54:55], v52, v[6:7]
	s_delay_alu instid0(VALU_DEP_1)
	v_dual_sub_nc_u32 v52, 29, v23 :: v_dual_bitop2_b32 v23, 7, v54 bitop3:0x40
; %bb.1809:                             ;   in Loop: Header=BB300_1574 Depth=1
	s_or_b32 exec_lo, exec_lo, s18
	v_lshlrev_b32_e32 v53, 8, v51
	s_delay_alu instid0(VALU_DEP_2) | instskip(NEXT) | instid1(VALU_DEP_3)
	v_lshl_add_u32 v52, v52, 10, 0x2000
	v_lshlrev_b32_e32 v23, 7, v23
	s_delay_alu instid0(VALU_DEP_3) | instskip(NEXT) | instid1(VALU_DEP_3)
	v_and_b32_e32 v53, 0x8000, v53
	v_and_b32_e32 v52, 0xfc00, v52
	s_delay_alu instid0(VALU_DEP_1)
	v_or3_b32 v23, v53, v52, v23
.LBB300_1810:                           ;   in Loop: Header=BB300_1574 Depth=1
	s_or_b32 exec_lo, exec_lo, s17
.LBB300_1811:                           ;   in Loop: Header=BB300_1574 Depth=1
	s_delay_alu instid0(SALU_CYCLE_1)
	s_or_b32 exec_lo, exec_lo, s16
.LBB300_1812:                           ;   in Loop: Header=BB300_1574 Depth=1
	s_delay_alu instid0(SALU_CYCLE_1) | instskip(SKIP_3) | instid1(VALU_DEP_2)
	s_or_b32 exec_lo, exec_lo, s9
	v_lshrrev_b16 v6, 8, v6
	v_mov_b32_e32 v52, 0
	s_mov_b32 s9, exec_lo
	v_cmpx_ne_u16_e32 0, v6
	s_cbranch_execz .LBB300_1820
; %bb.1813:                             ;   in Loop: Header=BB300_1574 Depth=1
	v_bfrev_b32_e32 v52, 1
	s_mov_b32 s16, exec_lo
	v_cmpx_ne_u16_e32 0x80, v6
	s_cbranch_execz .LBB300_1819
; %bb.1814:                             ;   in Loop: Header=BB300_1574 Depth=1
	v_and_b32_e32 v53, 0xffff, v6
	v_mov_b32_e32 v52, 0x7c010000
	s_mov_b32 s17, exec_lo
	s_delay_alu instid0(VALU_DEP_2) | instskip(NEXT) | instid1(VALU_DEP_1)
	v_and_b32_e32 v55, 0x7f, v53
	v_cmpx_ne_u32_e32 0x7f, v55
	s_cbranch_execz .LBB300_1818
; %bb.1815:                             ;   in Loop: Header=BB300_1574 Depth=1
	v_dual_lshrrev_b32 v54, 3, v55 :: v_dual_bitop2_b32 v52, 7, v53 bitop3:0x40
	s_mov_b32 s18, exec_lo
	v_cmpx_gt_u32_e32 8, v55
; %bb.1816:                             ;   in Loop: Header=BB300_1574 Depth=1
	s_delay_alu instid0(VALU_DEP_2) | instskip(NEXT) | instid1(VALU_DEP_1)
	v_clz_i32_u32_e32 v52, v52
	v_min_u32_e32 v52, 32, v52
	s_delay_alu instid0(VALU_DEP_1) | instskip(NEXT) | instid1(VALU_DEP_1)
	v_subrev_nc_u32_e32 v54, 28, v52
	v_lshlrev_b64_e32 v[64:65], v54, v[6:7]
	v_sub_nc_u32_e32 v54, 29, v52
	s_delay_alu instid0(VALU_DEP_2)
	v_and_b32_e32 v52, 7, v64
; %bb.1817:                             ;   in Loop: Header=BB300_1574 Depth=1
	s_or_b32 exec_lo, exec_lo, s18
	s_delay_alu instid0(VALU_DEP_1) | instskip(NEXT) | instid1(VALU_DEP_3)
	v_dual_lshlrev_b32 v6, 8, v53 :: v_dual_lshlrev_b32 v52, 23, v52
	v_lshl_add_u32 v53, v54, 10, 0x2000
	s_delay_alu instid0(VALU_DEP_1) | instskip(NEXT) | instid1(VALU_DEP_1)
	v_and_or_b32 v6, 0x8000, v6, v53
	v_lshl_or_b32 v52, v6, 16, v52
.LBB300_1818:                           ;   in Loop: Header=BB300_1574 Depth=1
	s_or_b32 exec_lo, exec_lo, s17
.LBB300_1819:                           ;   in Loop: Header=BB300_1574 Depth=1
	s_delay_alu instid0(SALU_CYCLE_1)
	s_or_b32 exec_lo, exec_lo, s16
.LBB300_1820:                           ;   in Loop: Header=BB300_1574 Depth=1
	s_delay_alu instid0(SALU_CYCLE_1) | instskip(SKIP_2) | instid1(VALU_DEP_1)
	s_or_b32 exec_lo, exec_lo, s9
	v_lshrrev_b32_e32 v6, 16, v51
	s_mov_b32 s9, exec_lo
	v_and_b32_e32 v53, 0xff, v6
	s_delay_alu instid0(VALU_DEP_1)
	v_cmpx_ne_u16_e32 0, v53
	s_cbranch_execz .LBB300_1828
; %bb.1821:                             ;   in Loop: Header=BB300_1574 Depth=1
	v_mov_b32_e32 v49, 0x8000
	s_mov_b32 s16, exec_lo
	v_cmpx_ne_u16_e32 0x80, v53
	s_cbranch_execz .LBB300_1827
; %bb.1822:                             ;   in Loop: Header=BB300_1574 Depth=1
	v_bfe_u32 v54, v51, 16, 7
	v_mov_b32_e32 v49, 0x7c01
	s_mov_b32 s17, exec_lo
	s_delay_alu instid0(VALU_DEP_2)
	v_cmpx_ne_u32_e32 0x7f, v54
	s_cbranch_execz .LBB300_1826
; %bb.1823:                             ;   in Loop: Header=BB300_1574 Depth=1
	v_and_b32_e32 v49, 7, v6
	v_lshrrev_b32_e32 v53, 3, v54
	s_mov_b32 s18, exec_lo
	v_cmpx_gt_u32_e32 8, v54
; %bb.1824:                             ;   in Loop: Header=BB300_1574 Depth=1
	s_delay_alu instid0(VALU_DEP_3) | instskip(NEXT) | instid1(VALU_DEP_1)
	v_clz_i32_u32_e32 v49, v49
	v_min_u32_e32 v49, 32, v49
	s_delay_alu instid0(VALU_DEP_1) | instskip(NEXT) | instid1(VALU_DEP_1)
	v_subrev_nc_u32_e32 v53, 28, v49
	v_lshlrev_b64_e32 v[54:55], v53, v[6:7]
	s_delay_alu instid0(VALU_DEP_1)
	v_dual_sub_nc_u32 v53, 29, v49 :: v_dual_bitop2_b32 v49, 7, v54 bitop3:0x40
; %bb.1825:                             ;   in Loop: Header=BB300_1574 Depth=1
	s_or_b32 exec_lo, exec_lo, s18
	s_delay_alu instid0(VALU_DEP_1) | instskip(NEXT) | instid1(VALU_DEP_2)
	v_dual_lshlrev_b32 v6, 8, v6 :: v_dual_lshlrev_b32 v49, 7, v49
	v_lshl_add_u32 v53, v53, 10, 0x2000
	s_delay_alu instid0(VALU_DEP_2) | instskip(NEXT) | instid1(VALU_DEP_2)
	v_and_b32_e32 v6, 0x8000, v6
	v_and_b32_e32 v53, 0xfc00, v53
	s_delay_alu instid0(VALU_DEP_1)
	v_or3_b32 v49, v6, v53, v49
.LBB300_1826:                           ;   in Loop: Header=BB300_1574 Depth=1
	s_or_b32 exec_lo, exec_lo, s17
.LBB300_1827:                           ;   in Loop: Header=BB300_1574 Depth=1
	s_delay_alu instid0(SALU_CYCLE_1)
	s_or_b32 exec_lo, exec_lo, s16
.LBB300_1828:                           ;   in Loop: Header=BB300_1574 Depth=1
	s_delay_alu instid0(SALU_CYCLE_1)
	s_or_b32 exec_lo, exec_lo, s9
	v_cmp_lt_u64_e64 s0, s[2:3], v[50:51]
	v_mov_b32_e32 v50, 0
	s_and_saveexec_b32 s9, s0
	s_cbranch_execz .LBB300_1836
; %bb.1829:                             ;   in Loop: Header=BB300_1574 Depth=1
	v_lshrrev_b32_e32 v6, 24, v51
	v_bfrev_b32_e32 v50, 1
	s_mov_b32 s16, exec_lo
	s_delay_alu instid0(VALU_DEP_2)
	v_cmpx_ne_u32_e32 0x80, v6
	s_cbranch_execz .LBB300_1835
; %bb.1830:                             ;   in Loop: Header=BB300_1574 Depth=1
	v_and_b32_e32 v53, 0x7f, v6
	v_mov_b32_e32 v50, 0x7c010000
	s_mov_b32 s17, exec_lo
	s_delay_alu instid0(VALU_DEP_2)
	v_cmpx_ne_u32_e32 0x7f, v53
	s_cbranch_execz .LBB300_1834
; %bb.1831:                             ;   in Loop: Header=BB300_1574 Depth=1
	v_dual_lshrrev_b32 v51, 3, v53 :: v_dual_bitop2_b32 v50, 7, v6 bitop3:0x40
	s_mov_b32 s18, exec_lo
	v_cmpx_gt_u32_e32 8, v53
; %bb.1832:                             ;   in Loop: Header=BB300_1574 Depth=1
	s_delay_alu instid0(VALU_DEP_2) | instskip(NEXT) | instid1(VALU_DEP_1)
	v_clz_i32_u32_e32 v50, v50
	v_min_u32_e32 v53, 32, v50
	s_delay_alu instid0(VALU_DEP_1) | instskip(NEXT) | instid1(VALU_DEP_1)
	v_subrev_nc_u32_e32 v50, 28, v53
	v_lshlrev_b64_e32 v[50:51], v50, v[6:7]
	s_delay_alu instid0(VALU_DEP_1)
	v_dual_sub_nc_u32 v51, 29, v53 :: v_dual_bitop2_b32 v50, 7, v50 bitop3:0x40
; %bb.1833:                             ;   in Loop: Header=BB300_1574 Depth=1
	s_or_b32 exec_lo, exec_lo, s18
	v_lshlrev_b32_e32 v6, 8, v6
	s_delay_alu instid0(VALU_DEP_2) | instskip(NEXT) | instid1(VALU_DEP_3)
	v_lshl_add_u32 v51, v51, 10, 0x2000
	v_lshlrev_b32_e32 v50, 23, v50
	s_delay_alu instid0(VALU_DEP_2) | instskip(NEXT) | instid1(VALU_DEP_1)
	v_and_or_b32 v6, 0x8000, v6, v51
	v_lshl_or_b32 v50, v6, 16, v50
.LBB300_1834:                           ;   in Loop: Header=BB300_1574 Depth=1
	s_or_b32 exec_lo, exec_lo, s17
.LBB300_1835:                           ;   in Loop: Header=BB300_1574 Depth=1
	s_delay_alu instid0(SALU_CYCLE_1)
	s_or_b32 exec_lo, exec_lo, s16
.LBB300_1836:                           ;   in Loop: Header=BB300_1574 Depth=1
	s_delay_alu instid0(SALU_CYCLE_1) | instskip(SKIP_4) | instid1(VALU_DEP_4)
	s_or_b32 exec_lo, exec_lo, s9
	v_dual_lshrrev_b32 v6, 16, v1 :: v_dual_lshrrev_b32 v51, 16, v19
	v_or_b32_e32 v1, v1, v18
	v_or_b32_e32 v22, v19, v22
	;; [unrolled: 1-line block ×3, first 2 shown]
	v_cvt_f32_f16_e32 v19, v6
	v_cvt_f32_f16_e32 v18, v51
	v_dual_lshrrev_b32 v50, 16, v50 :: v_dual_bitop2_b32 v6, v50, v49 bitop3:0x54
	v_lshrrev_b32_e32 v49, 16, v52
	v_cvt_f32_f16_e32 v23, v1
	s_delay_alu instid0(VALU_DEP_3) | instskip(NEXT) | instid1(VALU_DEP_4)
	v_cvt_f32_f16_e32 v52, v6
	v_cvt_f32_f16_e32 v50, v50
	s_wait_loadcnt_dscnt 0x0
	v_pk_mul_f32 v[18:19], v[48:49], v[18:19] op_sel_hi:[0,1]
	v_cvt_f32_f16_e32 v51, v49
	s_delay_alu instid0(VALU_DEP_2) | instskip(NEXT) | instid1(VALU_DEP_2)
	v_cvt_pk_f16_f32 v1, v18, v19
	v_pk_mul_f32 v[18:19], v[48:49], v[50:51] op_sel_hi:[0,1]
	s_delay_alu instid0(VALU_DEP_2) | instskip(SKIP_2) | instid1(VALU_DEP_4)
	v_lshlrev_b32_e32 v50, 16, v1
	v_cvt_f32_f16_e32 v22, v22
	v_and_b32_e32 v51, 0xffff0000, v1
	v_cvt_pk_f16_f32 v18, v18, v19
	s_delay_alu instid0(VALU_DEP_3) | instskip(NEXT) | instid1(VALU_DEP_2)
	v_pk_mul_f32 v[22:23], v[48:49], v[22:23] op_sel_hi:[0,1]
	v_and_b32_e32 v19, 0xffff0000, v18
	s_delay_alu instid0(VALU_DEP_2) | instskip(NEXT) | instid1(VALU_DEP_1)
	v_cvt_pk_f16_f32 v6, v22, v23
	v_lshrrev_b32_e32 v65, 16, v6
	v_cvt_f32_f16_e32 v53, v53
	v_and_b32_e32 v64, 0xffff, v6
	s_delay_alu instid0(VALU_DEP_3) | instskip(NEXT) | instid1(VALU_DEP_3)
	v_or_b32_e32 v55, v51, v65
	v_pk_mul_f32 v[48:49], v[48:49], v[52:53] op_sel_hi:[0,1]
	s_delay_alu instid0(VALU_DEP_3) | instskip(NEXT) | instid1(VALU_DEP_2)
	v_or_b32_e32 v54, v50, v64
	v_cvt_pk_f16_f32 v1, v48, v49
	s_delay_alu instid0(VALU_DEP_1) | instskip(SKIP_1) | instid1(VALU_DEP_2)
	v_dual_lshlrev_b32 v6, 16, v18 :: v_dual_lshrrev_b32 v49, 16, v1
	v_and_b32_e32 v48, 0xffff, v1
	v_or_b32_e32 v53, v19, v49
	s_delay_alu instid0(VALU_DEP_2)
	v_or_b32_e32 v52, v6, v48
	s_and_saveexec_b32 s9, vcc_lo
	s_cbranch_execz .LBB300_1838
; %bb.1837:                             ;   in Loop: Header=BB300_1574 Depth=1
	v_cmp_lt_i32_e64 s0, v70, v13
	s_delay_alu instid0(VALU_DEP_1) | instskip(SKIP_1) | instid1(VALU_DEP_1)
	v_cndmask_b32_e64 v1, 0, v65, s0
	v_cmp_lt_i32_e64 s0, v86, v12
	v_cndmask_b32_e64 v18, 0, v64, s0
	v_cmp_lt_i32_e64 s0, v85, v13
	s_delay_alu instid0(VALU_DEP_1) | instskip(SKIP_1) | instid1(VALU_DEP_1)
	v_cndmask_b32_e64 v22, 0, v51, s0
	v_cmp_lt_i32_e64 s0, v84, v12
	v_cndmask_b32_e64 v23, 0, v50, s0
	v_cmp_lt_i32_e64 s0, v83, v13
	s_delay_alu instid0(VALU_DEP_4) | instskip(NEXT) | instid1(VALU_DEP_2)
	v_or_b32_e32 v55, v1, v22
	v_dual_cndmask_b32 v49, 0, v49, s0 :: v_dual_bitop2_b32 v54, v18, v23 bitop3:0x54
	v_cmp_lt_i32_e64 s0, v82, v12
	s_delay_alu instid0(VALU_DEP_1) | instskip(SKIP_1) | instid1(VALU_DEP_1)
	v_cndmask_b32_e64 v48, 0, v48, s0
	v_cmp_lt_i32_e64 s0, v81, v13
	v_cndmask_b32_e64 v19, 0, v19, s0
	v_cmp_lt_i32_e64 s0, v0, v12
	s_delay_alu instid0(VALU_DEP_1) | instskip(NEXT) | instid1(VALU_DEP_1)
	v_dual_cndmask_b32 v6, 0, v6, s0 :: v_dual_bitop2_b32 v53, v49, v19 bitop3:0x54
	v_or_b32_e32 v52, v48, v6
.LBB300_1838:                           ;   in Loop: Header=BB300_1574 Depth=1
	s_or_b32 exec_lo, exec_lo, s9
	;;#ASMSTART
	v_pk_mul_f16 v1, v98, v55;

	;;#ASMEND
	;;#ASMSTART
	v_pk_mul_f16 v6, v97, v54;

	;;#ASMEND
	;; [unrolled: 4-line block ×4, first 2 shown]
	;;#ASMSTART
	v_pk_add_f16 v1, v1, v6;

	;;#ASMEND
	;;#ASMSTART
	v_pk_add_f16 v1, v1, v18;

	;;#ASMEND
	;; [unrolled: 4-line block ×3, first 2 shown]
	v_and_b32_e32 v6, 0xffff, v1
	v_lshrrev_b32_e32 v1, 16, v1
	;;#ASMSTART
	v_cvt_f32_f16 v113, v6;
	;;#ASMEND
	;;#ASMSTART
	v_cvt_f32_f16 v114, v1;
	;;#ASMEND
	flat_load_b64 v[50:51], v[36:37] offset:1024
	scratch_load_b64 v[18:19], off, s32 offset:192 ; 8-byte Folded Reload
	v_mov_b32_e32 v1, 0
	s_mov_b32 s9, exec_lo
	s_wait_loadcnt_dscnt 0x100
	v_and_b32_e32 v6, 0xff, v50
	s_wait_loadcnt 0x0
	flat_load_b32 v48, v[18:19]
	s_wait_xcnt 0x0
	v_mov_b32_e32 v18, 0
	v_cmpx_ne_u16_e32 0, v6
	s_cbranch_execz .LBB300_1846
; %bb.1839:                             ;   in Loop: Header=BB300_1574 Depth=1
	v_mov_b32_e32 v18, 0x8000
	s_mov_b32 s16, exec_lo
	v_cmpx_ne_u16_e32 0x80, v6
	s_cbranch_execz .LBB300_1845
; %bb.1840:                             ;   in Loop: Header=BB300_1574 Depth=1
	v_and_b32_e32 v19, 0x7f, v50
	v_mov_b32_e32 v18, 0x7c01
	s_mov_b32 s17, exec_lo
	s_delay_alu instid0(VALU_DEP_2)
	v_cmpx_ne_u32_e32 0x7f, v19
	s_cbranch_execz .LBB300_1844
; %bb.1841:                             ;   in Loop: Header=BB300_1574 Depth=1
	v_dual_lshrrev_b32 v18, 3, v19 :: v_dual_bitop2_b32 v6, 7, v50 bitop3:0x40
	s_mov_b32 s18, exec_lo
	v_cmpx_gt_u32_e32 8, v19
; %bb.1842:                             ;   in Loop: Header=BB300_1574 Depth=1
	s_delay_alu instid0(VALU_DEP_2) | instskip(NEXT) | instid1(VALU_DEP_1)
	v_clz_i32_u32_e32 v6, v6
	v_min_u32_e32 v6, 32, v6
	s_delay_alu instid0(VALU_DEP_1) | instskip(NEXT) | instid1(VALU_DEP_1)
	v_subrev_nc_u32_e32 v18, 28, v6
	v_lshlrev_b64_e32 v[22:23], v18, v[50:51]
	v_sub_nc_u32_e32 v18, 29, v6
	s_delay_alu instid0(VALU_DEP_2)
	v_and_b32_e32 v6, 7, v22
; %bb.1843:                             ;   in Loop: Header=BB300_1574 Depth=1
	s_or_b32 exec_lo, exec_lo, s18
	v_lshlrev_b32_e32 v19, 8, v50
	s_delay_alu instid0(VALU_DEP_3) | instskip(NEXT) | instid1(VALU_DEP_3)
	v_lshl_add_u32 v18, v18, 10, 0x2000
	v_lshlrev_b32_e32 v6, 7, v6
	s_delay_alu instid0(VALU_DEP_3) | instskip(NEXT) | instid1(VALU_DEP_3)
	v_and_b32_e32 v19, 0x8000, v19
	v_and_b32_e32 v18, 0xfc00, v18
	s_delay_alu instid0(VALU_DEP_1)
	v_or3_b32 v18, v19, v18, v6
.LBB300_1844:                           ;   in Loop: Header=BB300_1574 Depth=1
	s_or_b32 exec_lo, exec_lo, s17
.LBB300_1845:                           ;   in Loop: Header=BB300_1574 Depth=1
	s_delay_alu instid0(SALU_CYCLE_1)
	s_or_b32 exec_lo, exec_lo, s16
.LBB300_1846:                           ;   in Loop: Header=BB300_1574 Depth=1
	s_delay_alu instid0(SALU_CYCLE_1) | instskip(SKIP_2) | instid1(VALU_DEP_1)
	s_or_b32 exec_lo, exec_lo, s9
	v_lshrrev_b16 v6, 8, v50
	s_mov_b32 s9, exec_lo
	v_cmpx_ne_u16_e32 0, v6
	s_cbranch_execz .LBB300_1854
; %bb.1847:                             ;   in Loop: Header=BB300_1574 Depth=1
	v_bfrev_b32_e32 v1, 1
	s_mov_b32 s16, exec_lo
	v_cmpx_ne_u16_e32 0x80, v6
	s_cbranch_execz .LBB300_1853
; %bb.1848:                             ;   in Loop: Header=BB300_1574 Depth=1
	v_and_b32_e32 v19, 0xffff, v6
	v_mov_b32_e32 v1, 0x7c010000
	s_mov_b32 s17, exec_lo
	s_delay_alu instid0(VALU_DEP_2) | instskip(NEXT) | instid1(VALU_DEP_1)
	v_and_b32_e32 v23, 0x7f, v19
	v_cmpx_ne_u32_e32 0x7f, v23
	s_cbranch_execz .LBB300_1852
; %bb.1849:                             ;   in Loop: Header=BB300_1574 Depth=1
	v_and_b32_e32 v1, 7, v19
	v_lshrrev_b32_e32 v22, 3, v23
	s_mov_b32 s18, exec_lo
	v_cmpx_gt_u32_e32 8, v23
; %bb.1850:                             ;   in Loop: Header=BB300_1574 Depth=1
	s_delay_alu instid0(VALU_DEP_3) | instskip(NEXT) | instid1(VALU_DEP_1)
	v_clz_i32_u32_e32 v1, v1
	v_min_u32_e32 v1, 32, v1
	s_delay_alu instid0(VALU_DEP_1) | instskip(NEXT) | instid1(VALU_DEP_1)
	v_subrev_nc_u32_e32 v22, 28, v1
	v_lshlrev_b64_e32 v[52:53], v22, v[6:7]
	s_delay_alu instid0(VALU_DEP_1)
	v_dual_sub_nc_u32 v22, 29, v1 :: v_dual_bitop2_b32 v1, 7, v52 bitop3:0x40
; %bb.1851:                             ;   in Loop: Header=BB300_1574 Depth=1
	s_or_b32 exec_lo, exec_lo, s18
	s_delay_alu instid0(VALU_DEP_1) | instskip(NEXT) | instid1(VALU_DEP_2)
	v_dual_lshlrev_b32 v6, 8, v19 :: v_dual_lshlrev_b32 v1, 23, v1
	v_lshl_add_u32 v19, v22, 10, 0x2000
	s_delay_alu instid0(VALU_DEP_1) | instskip(NEXT) | instid1(VALU_DEP_1)
	v_and_or_b32 v6, 0x8000, v6, v19
	v_lshl_or_b32 v1, v6, 16, v1
.LBB300_1852:                           ;   in Loop: Header=BB300_1574 Depth=1
	s_or_b32 exec_lo, exec_lo, s17
.LBB300_1853:                           ;   in Loop: Header=BB300_1574 Depth=1
	s_delay_alu instid0(SALU_CYCLE_1)
	s_or_b32 exec_lo, exec_lo, s16
.LBB300_1854:                           ;   in Loop: Header=BB300_1574 Depth=1
	s_delay_alu instid0(SALU_CYCLE_1) | instskip(SKIP_3) | instid1(VALU_DEP_2)
	s_or_b32 exec_lo, exec_lo, s9
	v_dual_mov_b32 v19, 0 :: v_dual_lshrrev_b32 v6, 16, v50
	v_mov_b32_e32 v22, 0
	s_mov_b32 s9, exec_lo
	v_and_b32_e32 v23, 0xff, v6
	s_delay_alu instid0(VALU_DEP_1)
	v_cmpx_ne_u16_e32 0, v23
	s_cbranch_execz .LBB300_1862
; %bb.1855:                             ;   in Loop: Header=BB300_1574 Depth=1
	v_mov_b32_e32 v22, 0x8000
	s_mov_b32 s16, exec_lo
	v_cmpx_ne_u16_e32 0x80, v23
	s_cbranch_execz .LBB300_1861
; %bb.1856:                             ;   in Loop: Header=BB300_1574 Depth=1
	v_bfe_u32 v49, v50, 16, 7
	v_mov_b32_e32 v22, 0x7c01
	s_mov_b32 s17, exec_lo
	s_delay_alu instid0(VALU_DEP_2)
	v_cmpx_ne_u32_e32 0x7f, v49
	s_cbranch_execz .LBB300_1860
; %bb.1857:                             ;   in Loop: Header=BB300_1574 Depth=1
	v_dual_lshrrev_b32 v23, 3, v49 :: v_dual_bitop2_b32 v22, 7, v6 bitop3:0x40
	s_mov_b32 s18, exec_lo
	v_cmpx_gt_u32_e32 8, v49
; %bb.1858:                             ;   in Loop: Header=BB300_1574 Depth=1
	s_delay_alu instid0(VALU_DEP_2) | instskip(NEXT) | instid1(VALU_DEP_1)
	v_clz_i32_u32_e32 v22, v22
	v_min_u32_e32 v49, 32, v22
	s_delay_alu instid0(VALU_DEP_1) | instskip(NEXT) | instid1(VALU_DEP_1)
	v_subrev_nc_u32_e32 v22, 28, v49
	v_lshlrev_b64_e32 v[22:23], v22, v[6:7]
	s_delay_alu instid0(VALU_DEP_1)
	v_dual_sub_nc_u32 v23, 29, v49 :: v_dual_bitop2_b32 v22, 7, v22 bitop3:0x40
; %bb.1859:                             ;   in Loop: Header=BB300_1574 Depth=1
	s_or_b32 exec_lo, exec_lo, s18
	v_lshlrev_b32_e32 v6, 8, v6
	s_delay_alu instid0(VALU_DEP_2) | instskip(NEXT) | instid1(VALU_DEP_3)
	v_lshl_add_u32 v23, v23, 10, 0x2000
	v_lshlrev_b32_e32 v22, 7, v22
	s_delay_alu instid0(VALU_DEP_3) | instskip(NEXT) | instid1(VALU_DEP_3)
	v_and_b32_e32 v6, 0x8000, v6
	v_and_b32_e32 v23, 0xfc00, v23
	s_delay_alu instid0(VALU_DEP_1)
	v_or3_b32 v22, v6, v23, v22
.LBB300_1860:                           ;   in Loop: Header=BB300_1574 Depth=1
	s_or_b32 exec_lo, exec_lo, s17
.LBB300_1861:                           ;   in Loop: Header=BB300_1574 Depth=1
	s_delay_alu instid0(SALU_CYCLE_1)
	s_or_b32 exec_lo, exec_lo, s16
.LBB300_1862:                           ;   in Loop: Header=BB300_1574 Depth=1
	s_delay_alu instid0(SALU_CYCLE_1) | instskip(NEXT) | instid1(SALU_CYCLE_1)
	s_or_b32 exec_lo, exec_lo, s9
	s_mov_b32 s9, exec_lo
	v_cmpx_lt_u32_e32 0xffffff, v50
	s_cbranch_execz .LBB300_1870
; %bb.1863:                             ;   in Loop: Header=BB300_1574 Depth=1
	v_lshrrev_b32_e32 v6, 24, v50
	v_bfrev_b32_e32 v19, 1
	s_mov_b32 s16, exec_lo
	s_delay_alu instid0(VALU_DEP_2)
	v_cmpx_ne_u32_e32 0x80, v6
	s_cbranch_execz .LBB300_1869
; %bb.1864:                             ;   in Loop: Header=BB300_1574 Depth=1
	v_and_b32_e32 v49, 0x7f, v6
	v_mov_b32_e32 v19, 0x7c010000
	s_mov_b32 s17, exec_lo
	s_delay_alu instid0(VALU_DEP_2)
	v_cmpx_ne_u32_e32 0x7f, v49
	s_cbranch_execz .LBB300_1868
; %bb.1865:                             ;   in Loop: Header=BB300_1574 Depth=1
	v_dual_lshrrev_b32 v23, 3, v49 :: v_dual_bitop2_b32 v19, 7, v6 bitop3:0x40
	s_mov_b32 s18, exec_lo
	v_cmpx_gt_u32_e32 8, v49
; %bb.1866:                             ;   in Loop: Header=BB300_1574 Depth=1
	s_delay_alu instid0(VALU_DEP_2) | instskip(NEXT) | instid1(VALU_DEP_1)
	v_clz_i32_u32_e32 v19, v19
	v_min_u32_e32 v19, 32, v19
	s_delay_alu instid0(VALU_DEP_1) | instskip(NEXT) | instid1(VALU_DEP_1)
	v_subrev_nc_u32_e32 v23, 28, v19
	v_lshlrev_b64_e32 v[52:53], v23, v[6:7]
	s_delay_alu instid0(VALU_DEP_1)
	v_dual_sub_nc_u32 v23, 29, v19 :: v_dual_bitop2_b32 v19, 7, v52 bitop3:0x40
; %bb.1867:                             ;   in Loop: Header=BB300_1574 Depth=1
	s_or_b32 exec_lo, exec_lo, s18
	s_delay_alu instid0(VALU_DEP_1) | instskip(NEXT) | instid1(VALU_DEP_2)
	v_dual_lshlrev_b32 v6, 8, v6 :: v_dual_lshlrev_b32 v19, 23, v19
	v_lshl_add_u32 v23, v23, 10, 0x2000
	s_delay_alu instid0(VALU_DEP_1) | instskip(NEXT) | instid1(VALU_DEP_1)
	v_and_or_b32 v6, 0x8000, v6, v23
	v_lshl_or_b32 v19, v6, 16, v19
.LBB300_1868:                           ;   in Loop: Header=BB300_1574 Depth=1
	s_or_b32 exec_lo, exec_lo, s17
.LBB300_1869:                           ;   in Loop: Header=BB300_1574 Depth=1
	s_delay_alu instid0(SALU_CYCLE_1)
	s_or_b32 exec_lo, exec_lo, s16
.LBB300_1870:                           ;   in Loop: Header=BB300_1574 Depth=1
	s_delay_alu instid0(SALU_CYCLE_1) | instskip(SKIP_4) | instid1(VALU_DEP_3)
	s_or_b32 exec_lo, exec_lo, s9
	v_and_b32_e32 v52, 0xff, v51
	v_dual_mov_b32 v6, v51 :: v_dual_mov_b32 v49, 0
	v_mov_b32_e32 v23, 0
	s_mov_b32 s9, exec_lo
	v_cmpx_ne_u16_e32 0, v52
	s_cbranch_execz .LBB300_1878
; %bb.1871:                             ;   in Loop: Header=BB300_1574 Depth=1
	v_mov_b32_e32 v23, 0x8000
	s_mov_b32 s16, exec_lo
	v_cmpx_ne_u16_e32 0x80, v52
	s_cbranch_execz .LBB300_1877
; %bb.1872:                             ;   in Loop: Header=BB300_1574 Depth=1
	v_and_b32_e32 v53, 0x7f, v51
	v_mov_b32_e32 v23, 0x7c01
	s_mov_b32 s17, exec_lo
	s_delay_alu instid0(VALU_DEP_2)
	v_cmpx_ne_u32_e32 0x7f, v53
	s_cbranch_execz .LBB300_1876
; %bb.1873:                             ;   in Loop: Header=BB300_1574 Depth=1
	v_dual_lshrrev_b32 v52, 3, v53 :: v_dual_bitop2_b32 v23, 7, v51 bitop3:0x40
	s_mov_b32 s18, exec_lo
	v_cmpx_gt_u32_e32 8, v53
; %bb.1874:                             ;   in Loop: Header=BB300_1574 Depth=1
	s_delay_alu instid0(VALU_DEP_2) | instskip(NEXT) | instid1(VALU_DEP_1)
	v_clz_i32_u32_e32 v23, v23
	v_min_u32_e32 v23, 32, v23
	s_delay_alu instid0(VALU_DEP_1) | instskip(NEXT) | instid1(VALU_DEP_1)
	v_subrev_nc_u32_e32 v52, 28, v23
	v_lshlrev_b64_e32 v[54:55], v52, v[6:7]
	s_delay_alu instid0(VALU_DEP_1)
	v_dual_sub_nc_u32 v52, 29, v23 :: v_dual_bitop2_b32 v23, 7, v54 bitop3:0x40
; %bb.1875:                             ;   in Loop: Header=BB300_1574 Depth=1
	s_or_b32 exec_lo, exec_lo, s18
	v_lshlrev_b32_e32 v53, 8, v51
	s_delay_alu instid0(VALU_DEP_2) | instskip(NEXT) | instid1(VALU_DEP_3)
	v_lshl_add_u32 v52, v52, 10, 0x2000
	v_lshlrev_b32_e32 v23, 7, v23
	s_delay_alu instid0(VALU_DEP_3) | instskip(NEXT) | instid1(VALU_DEP_3)
	v_and_b32_e32 v53, 0x8000, v53
	v_and_b32_e32 v52, 0xfc00, v52
	s_delay_alu instid0(VALU_DEP_1)
	v_or3_b32 v23, v53, v52, v23
.LBB300_1876:                           ;   in Loop: Header=BB300_1574 Depth=1
	s_or_b32 exec_lo, exec_lo, s17
.LBB300_1877:                           ;   in Loop: Header=BB300_1574 Depth=1
	s_delay_alu instid0(SALU_CYCLE_1)
	s_or_b32 exec_lo, exec_lo, s16
.LBB300_1878:                           ;   in Loop: Header=BB300_1574 Depth=1
	s_delay_alu instid0(SALU_CYCLE_1) | instskip(SKIP_3) | instid1(VALU_DEP_2)
	s_or_b32 exec_lo, exec_lo, s9
	v_lshrrev_b16 v6, 8, v6
	v_mov_b32_e32 v52, 0
	s_mov_b32 s9, exec_lo
	v_cmpx_ne_u16_e32 0, v6
	s_cbranch_execz .LBB300_1886
; %bb.1879:                             ;   in Loop: Header=BB300_1574 Depth=1
	v_bfrev_b32_e32 v52, 1
	s_mov_b32 s16, exec_lo
	v_cmpx_ne_u16_e32 0x80, v6
	s_cbranch_execz .LBB300_1885
; %bb.1880:                             ;   in Loop: Header=BB300_1574 Depth=1
	v_and_b32_e32 v53, 0xffff, v6
	v_mov_b32_e32 v52, 0x7c010000
	s_mov_b32 s17, exec_lo
	s_delay_alu instid0(VALU_DEP_2) | instskip(NEXT) | instid1(VALU_DEP_1)
	v_and_b32_e32 v55, 0x7f, v53
	v_cmpx_ne_u32_e32 0x7f, v55
	s_cbranch_execz .LBB300_1884
; %bb.1881:                             ;   in Loop: Header=BB300_1574 Depth=1
	v_dual_lshrrev_b32 v54, 3, v55 :: v_dual_bitop2_b32 v52, 7, v53 bitop3:0x40
	s_mov_b32 s18, exec_lo
	v_cmpx_gt_u32_e32 8, v55
; %bb.1882:                             ;   in Loop: Header=BB300_1574 Depth=1
	s_delay_alu instid0(VALU_DEP_2) | instskip(NEXT) | instid1(VALU_DEP_1)
	v_clz_i32_u32_e32 v52, v52
	v_min_u32_e32 v52, 32, v52
	s_delay_alu instid0(VALU_DEP_1) | instskip(NEXT) | instid1(VALU_DEP_1)
	v_subrev_nc_u32_e32 v54, 28, v52
	v_lshlrev_b64_e32 v[64:65], v54, v[6:7]
	v_sub_nc_u32_e32 v54, 29, v52
	s_delay_alu instid0(VALU_DEP_2)
	v_and_b32_e32 v52, 7, v64
; %bb.1883:                             ;   in Loop: Header=BB300_1574 Depth=1
	s_or_b32 exec_lo, exec_lo, s18
	s_delay_alu instid0(VALU_DEP_1) | instskip(NEXT) | instid1(VALU_DEP_3)
	v_dual_lshlrev_b32 v6, 8, v53 :: v_dual_lshlrev_b32 v52, 23, v52
	v_lshl_add_u32 v53, v54, 10, 0x2000
	s_delay_alu instid0(VALU_DEP_1) | instskip(NEXT) | instid1(VALU_DEP_1)
	v_and_or_b32 v6, 0x8000, v6, v53
	v_lshl_or_b32 v52, v6, 16, v52
.LBB300_1884:                           ;   in Loop: Header=BB300_1574 Depth=1
	s_or_b32 exec_lo, exec_lo, s17
.LBB300_1885:                           ;   in Loop: Header=BB300_1574 Depth=1
	s_delay_alu instid0(SALU_CYCLE_1)
	s_or_b32 exec_lo, exec_lo, s16
.LBB300_1886:                           ;   in Loop: Header=BB300_1574 Depth=1
	s_delay_alu instid0(SALU_CYCLE_1) | instskip(SKIP_2) | instid1(VALU_DEP_1)
	s_or_b32 exec_lo, exec_lo, s9
	v_lshrrev_b32_e32 v6, 16, v51
	s_mov_b32 s9, exec_lo
	v_and_b32_e32 v53, 0xff, v6
	s_delay_alu instid0(VALU_DEP_1)
	v_cmpx_ne_u16_e32 0, v53
	s_cbranch_execz .LBB300_1894
; %bb.1887:                             ;   in Loop: Header=BB300_1574 Depth=1
	v_mov_b32_e32 v49, 0x8000
	s_mov_b32 s16, exec_lo
	v_cmpx_ne_u16_e32 0x80, v53
	s_cbranch_execz .LBB300_1893
; %bb.1888:                             ;   in Loop: Header=BB300_1574 Depth=1
	v_bfe_u32 v54, v51, 16, 7
	v_mov_b32_e32 v49, 0x7c01
	s_mov_b32 s17, exec_lo
	s_delay_alu instid0(VALU_DEP_2)
	v_cmpx_ne_u32_e32 0x7f, v54
	s_cbranch_execz .LBB300_1892
; %bb.1889:                             ;   in Loop: Header=BB300_1574 Depth=1
	v_and_b32_e32 v49, 7, v6
	v_lshrrev_b32_e32 v53, 3, v54
	s_mov_b32 s18, exec_lo
	v_cmpx_gt_u32_e32 8, v54
; %bb.1890:                             ;   in Loop: Header=BB300_1574 Depth=1
	s_delay_alu instid0(VALU_DEP_3) | instskip(NEXT) | instid1(VALU_DEP_1)
	v_clz_i32_u32_e32 v49, v49
	v_min_u32_e32 v49, 32, v49
	s_delay_alu instid0(VALU_DEP_1) | instskip(NEXT) | instid1(VALU_DEP_1)
	v_subrev_nc_u32_e32 v53, 28, v49
	v_lshlrev_b64_e32 v[54:55], v53, v[6:7]
	s_delay_alu instid0(VALU_DEP_1)
	v_dual_sub_nc_u32 v53, 29, v49 :: v_dual_bitop2_b32 v49, 7, v54 bitop3:0x40
; %bb.1891:                             ;   in Loop: Header=BB300_1574 Depth=1
	s_or_b32 exec_lo, exec_lo, s18
	s_delay_alu instid0(VALU_DEP_1) | instskip(NEXT) | instid1(VALU_DEP_2)
	v_dual_lshlrev_b32 v6, 8, v6 :: v_dual_lshlrev_b32 v49, 7, v49
	v_lshl_add_u32 v53, v53, 10, 0x2000
	s_delay_alu instid0(VALU_DEP_2) | instskip(NEXT) | instid1(VALU_DEP_2)
	v_and_b32_e32 v6, 0x8000, v6
	v_and_b32_e32 v53, 0xfc00, v53
	s_delay_alu instid0(VALU_DEP_1)
	v_or3_b32 v49, v6, v53, v49
.LBB300_1892:                           ;   in Loop: Header=BB300_1574 Depth=1
	s_or_b32 exec_lo, exec_lo, s17
.LBB300_1893:                           ;   in Loop: Header=BB300_1574 Depth=1
	s_delay_alu instid0(SALU_CYCLE_1)
	s_or_b32 exec_lo, exec_lo, s16
.LBB300_1894:                           ;   in Loop: Header=BB300_1574 Depth=1
	s_delay_alu instid0(SALU_CYCLE_1)
	s_or_b32 exec_lo, exec_lo, s9
	v_cmp_lt_u64_e64 s0, s[2:3], v[50:51]
	v_mov_b32_e32 v50, 0
	s_and_saveexec_b32 s9, s0
	s_cbranch_execz .LBB300_1902
; %bb.1895:                             ;   in Loop: Header=BB300_1574 Depth=1
	v_lshrrev_b32_e32 v6, 24, v51
	v_bfrev_b32_e32 v50, 1
	s_mov_b32 s16, exec_lo
	s_delay_alu instid0(VALU_DEP_2)
	v_cmpx_ne_u32_e32 0x80, v6
	s_cbranch_execz .LBB300_1901
; %bb.1896:                             ;   in Loop: Header=BB300_1574 Depth=1
	v_and_b32_e32 v53, 0x7f, v6
	v_mov_b32_e32 v50, 0x7c010000
	s_mov_b32 s17, exec_lo
	s_delay_alu instid0(VALU_DEP_2)
	v_cmpx_ne_u32_e32 0x7f, v53
	s_cbranch_execz .LBB300_1900
; %bb.1897:                             ;   in Loop: Header=BB300_1574 Depth=1
	v_dual_lshrrev_b32 v51, 3, v53 :: v_dual_bitop2_b32 v50, 7, v6 bitop3:0x40
	s_mov_b32 s18, exec_lo
	v_cmpx_gt_u32_e32 8, v53
; %bb.1898:                             ;   in Loop: Header=BB300_1574 Depth=1
	s_delay_alu instid0(VALU_DEP_2) | instskip(NEXT) | instid1(VALU_DEP_1)
	v_clz_i32_u32_e32 v50, v50
	v_min_u32_e32 v53, 32, v50
	s_delay_alu instid0(VALU_DEP_1) | instskip(NEXT) | instid1(VALU_DEP_1)
	v_subrev_nc_u32_e32 v50, 28, v53
	v_lshlrev_b64_e32 v[50:51], v50, v[6:7]
	s_delay_alu instid0(VALU_DEP_1)
	v_dual_sub_nc_u32 v51, 29, v53 :: v_dual_bitop2_b32 v50, 7, v50 bitop3:0x40
; %bb.1899:                             ;   in Loop: Header=BB300_1574 Depth=1
	s_or_b32 exec_lo, exec_lo, s18
	v_lshlrev_b32_e32 v6, 8, v6
	s_delay_alu instid0(VALU_DEP_2) | instskip(NEXT) | instid1(VALU_DEP_3)
	v_lshl_add_u32 v51, v51, 10, 0x2000
	v_lshlrev_b32_e32 v50, 23, v50
	s_delay_alu instid0(VALU_DEP_2) | instskip(NEXT) | instid1(VALU_DEP_1)
	v_and_or_b32 v6, 0x8000, v6, v51
	v_lshl_or_b32 v50, v6, 16, v50
.LBB300_1900:                           ;   in Loop: Header=BB300_1574 Depth=1
	s_or_b32 exec_lo, exec_lo, s17
.LBB300_1901:                           ;   in Loop: Header=BB300_1574 Depth=1
	s_delay_alu instid0(SALU_CYCLE_1)
	s_or_b32 exec_lo, exec_lo, s16
.LBB300_1902:                           ;   in Loop: Header=BB300_1574 Depth=1
	s_delay_alu instid0(SALU_CYCLE_1) | instskip(SKIP_4) | instid1(VALU_DEP_4)
	s_or_b32 exec_lo, exec_lo, s9
	v_dual_lshrrev_b32 v6, 16, v1 :: v_dual_lshrrev_b32 v51, 16, v19
	v_or_b32_e32 v1, v1, v18
	v_or_b32_e32 v22, v19, v22
	;; [unrolled: 1-line block ×3, first 2 shown]
	v_cvt_f32_f16_e32 v19, v6
	v_cvt_f32_f16_e32 v18, v51
	v_dual_lshrrev_b32 v50, 16, v50 :: v_dual_bitop2_b32 v6, v50, v49 bitop3:0x54
	v_lshrrev_b32_e32 v49, 16, v52
	v_cvt_f32_f16_e32 v23, v1
	s_delay_alu instid0(VALU_DEP_3) | instskip(NEXT) | instid1(VALU_DEP_4)
	v_cvt_f32_f16_e32 v52, v6
	v_cvt_f32_f16_e32 v50, v50
	s_wait_loadcnt_dscnt 0x0
	v_pk_mul_f32 v[18:19], v[48:49], v[18:19] op_sel_hi:[0,1]
	v_cvt_f32_f16_e32 v51, v49
	s_delay_alu instid0(VALU_DEP_2) | instskip(NEXT) | instid1(VALU_DEP_2)
	v_cvt_pk_f16_f32 v1, v18, v19
	v_pk_mul_f32 v[18:19], v[48:49], v[50:51] op_sel_hi:[0,1]
	s_delay_alu instid0(VALU_DEP_2) | instskip(SKIP_2) | instid1(VALU_DEP_4)
	v_lshlrev_b32_e32 v50, 16, v1
	v_cvt_f32_f16_e32 v22, v22
	v_and_b32_e32 v51, 0xffff0000, v1
	v_cvt_pk_f16_f32 v18, v18, v19
	s_delay_alu instid0(VALU_DEP_3) | instskip(NEXT) | instid1(VALU_DEP_2)
	v_pk_mul_f32 v[22:23], v[48:49], v[22:23] op_sel_hi:[0,1]
	v_and_b32_e32 v19, 0xffff0000, v18
	s_delay_alu instid0(VALU_DEP_2) | instskip(NEXT) | instid1(VALU_DEP_1)
	v_cvt_pk_f16_f32 v6, v22, v23
	v_lshrrev_b32_e32 v65, 16, v6
	v_cvt_f32_f16_e32 v53, v53
	v_and_b32_e32 v64, 0xffff, v6
	s_delay_alu instid0(VALU_DEP_3) | instskip(NEXT) | instid1(VALU_DEP_3)
	v_or_b32_e32 v55, v51, v65
	v_pk_mul_f32 v[48:49], v[48:49], v[52:53] op_sel_hi:[0,1]
	s_delay_alu instid0(VALU_DEP_3) | instskip(NEXT) | instid1(VALU_DEP_2)
	v_or_b32_e32 v54, v50, v64
	v_cvt_pk_f16_f32 v1, v48, v49
	s_delay_alu instid0(VALU_DEP_1) | instskip(SKIP_1) | instid1(VALU_DEP_2)
	v_dual_lshlrev_b32 v6, 16, v18 :: v_dual_lshrrev_b32 v49, 16, v1
	v_and_b32_e32 v48, 0xffff, v1
	v_or_b32_e32 v53, v19, v49
	s_delay_alu instid0(VALU_DEP_2)
	v_or_b32_e32 v52, v6, v48
	s_and_saveexec_b32 s9, vcc_lo
	s_cbranch_execz .LBB300_1904
; %bb.1903:                             ;   in Loop: Header=BB300_1574 Depth=1
	v_cmp_lt_i32_e64 s0, v70, v13
	s_delay_alu instid0(VALU_DEP_1) | instskip(SKIP_1) | instid1(VALU_DEP_1)
	v_cndmask_b32_e64 v1, 0, v65, s0
	v_cmp_lt_i32_e64 s0, v86, v12
	v_cndmask_b32_e64 v18, 0, v64, s0
	v_cmp_lt_i32_e64 s0, v85, v13
	s_delay_alu instid0(VALU_DEP_1) | instskip(SKIP_1) | instid1(VALU_DEP_1)
	v_cndmask_b32_e64 v22, 0, v51, s0
	v_cmp_lt_i32_e64 s0, v84, v12
	v_cndmask_b32_e64 v23, 0, v50, s0
	v_cmp_lt_i32_e64 s0, v83, v13
	s_delay_alu instid0(VALU_DEP_4) | instskip(NEXT) | instid1(VALU_DEP_2)
	v_or_b32_e32 v55, v1, v22
	v_dual_cndmask_b32 v49, 0, v49, s0 :: v_dual_bitop2_b32 v54, v18, v23 bitop3:0x54
	v_cmp_lt_i32_e64 s0, v82, v12
	s_delay_alu instid0(VALU_DEP_1) | instskip(SKIP_1) | instid1(VALU_DEP_1)
	v_cndmask_b32_e64 v48, 0, v48, s0
	v_cmp_lt_i32_e64 s0, v81, v13
	v_cndmask_b32_e64 v19, 0, v19, s0
	v_cmp_lt_i32_e64 s0, v0, v12
	s_delay_alu instid0(VALU_DEP_1) | instskip(NEXT) | instid1(VALU_DEP_1)
	v_dual_cndmask_b32 v6, 0, v6, s0 :: v_dual_bitop2_b32 v53, v49, v19 bitop3:0x54
	v_or_b32_e32 v52, v48, v6
.LBB300_1904:                           ;   in Loop: Header=BB300_1574 Depth=1
	s_or_b32 exec_lo, exec_lo, s9
	;;#ASMSTART
	v_pk_mul_f16 v1, v98, v55;

	;;#ASMEND
	;;#ASMSTART
	v_pk_mul_f16 v6, v97, v54;

	;;#ASMEND
	;;#ASMSTART
	v_pk_mul_f16 v18, v96, v53;

	;;#ASMEND
	;;#ASMSTART
	v_pk_mul_f16 v19, v87, v52;

	;;#ASMEND
	;;#ASMSTART
	v_pk_add_f16 v1, v1, v6;

	;;#ASMEND
	;;#ASMSTART
	v_pk_add_f16 v1, v1, v18;

	;;#ASMEND
	;; [unrolled: 4-line block ×3, first 2 shown]
	v_and_b32_e32 v6, 0xffff, v1
	v_lshrrev_b32_e32 v1, 16, v1
	;;#ASMSTART
	v_cvt_f32_f16 v115, v6;
	;;#ASMEND
	;;#ASMSTART
	v_cvt_f32_f16 v116, v1;
	;;#ASMEND
	flat_load_b64 v[50:51], v[36:37] offset:1280
	scratch_load_b64 v[18:19], off, s32 offset:192 ; 8-byte Folded Reload
	v_mov_b32_e32 v1, 0
	s_mov_b32 s9, exec_lo
	s_wait_loadcnt_dscnt 0x100
	v_and_b32_e32 v6, 0xff, v50
	s_wait_loadcnt 0x0
	flat_load_b32 v48, v[18:19]
	s_wait_xcnt 0x0
	v_mov_b32_e32 v18, 0
	v_cmpx_ne_u16_e32 0, v6
	s_cbranch_execz .LBB300_1912
; %bb.1905:                             ;   in Loop: Header=BB300_1574 Depth=1
	v_mov_b32_e32 v18, 0x8000
	s_mov_b32 s16, exec_lo
	v_cmpx_ne_u16_e32 0x80, v6
	s_cbranch_execz .LBB300_1911
; %bb.1906:                             ;   in Loop: Header=BB300_1574 Depth=1
	v_and_b32_e32 v19, 0x7f, v50
	v_mov_b32_e32 v18, 0x7c01
	s_mov_b32 s17, exec_lo
	s_delay_alu instid0(VALU_DEP_2)
	v_cmpx_ne_u32_e32 0x7f, v19
	s_cbranch_execz .LBB300_1910
; %bb.1907:                             ;   in Loop: Header=BB300_1574 Depth=1
	v_dual_lshrrev_b32 v18, 3, v19 :: v_dual_bitop2_b32 v6, 7, v50 bitop3:0x40
	s_mov_b32 s18, exec_lo
	v_cmpx_gt_u32_e32 8, v19
; %bb.1908:                             ;   in Loop: Header=BB300_1574 Depth=1
	s_delay_alu instid0(VALU_DEP_2) | instskip(NEXT) | instid1(VALU_DEP_1)
	v_clz_i32_u32_e32 v6, v6
	v_min_u32_e32 v6, 32, v6
	s_delay_alu instid0(VALU_DEP_1) | instskip(NEXT) | instid1(VALU_DEP_1)
	v_subrev_nc_u32_e32 v18, 28, v6
	v_lshlrev_b64_e32 v[22:23], v18, v[50:51]
	v_sub_nc_u32_e32 v18, 29, v6
	s_delay_alu instid0(VALU_DEP_2)
	v_and_b32_e32 v6, 7, v22
; %bb.1909:                             ;   in Loop: Header=BB300_1574 Depth=1
	s_or_b32 exec_lo, exec_lo, s18
	v_lshlrev_b32_e32 v19, 8, v50
	s_delay_alu instid0(VALU_DEP_3) | instskip(NEXT) | instid1(VALU_DEP_3)
	v_lshl_add_u32 v18, v18, 10, 0x2000
	v_lshlrev_b32_e32 v6, 7, v6
	s_delay_alu instid0(VALU_DEP_3) | instskip(NEXT) | instid1(VALU_DEP_3)
	v_and_b32_e32 v19, 0x8000, v19
	v_and_b32_e32 v18, 0xfc00, v18
	s_delay_alu instid0(VALU_DEP_1)
	v_or3_b32 v18, v19, v18, v6
.LBB300_1910:                           ;   in Loop: Header=BB300_1574 Depth=1
	s_or_b32 exec_lo, exec_lo, s17
.LBB300_1911:                           ;   in Loop: Header=BB300_1574 Depth=1
	s_delay_alu instid0(SALU_CYCLE_1)
	s_or_b32 exec_lo, exec_lo, s16
.LBB300_1912:                           ;   in Loop: Header=BB300_1574 Depth=1
	s_delay_alu instid0(SALU_CYCLE_1) | instskip(SKIP_2) | instid1(VALU_DEP_1)
	s_or_b32 exec_lo, exec_lo, s9
	v_lshrrev_b16 v6, 8, v50
	s_mov_b32 s9, exec_lo
	v_cmpx_ne_u16_e32 0, v6
	s_cbranch_execz .LBB300_1920
; %bb.1913:                             ;   in Loop: Header=BB300_1574 Depth=1
	v_bfrev_b32_e32 v1, 1
	s_mov_b32 s16, exec_lo
	v_cmpx_ne_u16_e32 0x80, v6
	s_cbranch_execz .LBB300_1919
; %bb.1914:                             ;   in Loop: Header=BB300_1574 Depth=1
	v_and_b32_e32 v19, 0xffff, v6
	v_mov_b32_e32 v1, 0x7c010000
	s_mov_b32 s17, exec_lo
	s_delay_alu instid0(VALU_DEP_2) | instskip(NEXT) | instid1(VALU_DEP_1)
	v_and_b32_e32 v23, 0x7f, v19
	v_cmpx_ne_u32_e32 0x7f, v23
	s_cbranch_execz .LBB300_1918
; %bb.1915:                             ;   in Loop: Header=BB300_1574 Depth=1
	v_and_b32_e32 v1, 7, v19
	v_lshrrev_b32_e32 v22, 3, v23
	s_mov_b32 s18, exec_lo
	v_cmpx_gt_u32_e32 8, v23
; %bb.1916:                             ;   in Loop: Header=BB300_1574 Depth=1
	s_delay_alu instid0(VALU_DEP_3) | instskip(NEXT) | instid1(VALU_DEP_1)
	v_clz_i32_u32_e32 v1, v1
	v_min_u32_e32 v1, 32, v1
	s_delay_alu instid0(VALU_DEP_1) | instskip(NEXT) | instid1(VALU_DEP_1)
	v_subrev_nc_u32_e32 v22, 28, v1
	v_lshlrev_b64_e32 v[52:53], v22, v[6:7]
	s_delay_alu instid0(VALU_DEP_1)
	v_dual_sub_nc_u32 v22, 29, v1 :: v_dual_bitop2_b32 v1, 7, v52 bitop3:0x40
; %bb.1917:                             ;   in Loop: Header=BB300_1574 Depth=1
	s_or_b32 exec_lo, exec_lo, s18
	s_delay_alu instid0(VALU_DEP_1) | instskip(NEXT) | instid1(VALU_DEP_2)
	v_dual_lshlrev_b32 v6, 8, v19 :: v_dual_lshlrev_b32 v1, 23, v1
	v_lshl_add_u32 v19, v22, 10, 0x2000
	s_delay_alu instid0(VALU_DEP_1) | instskip(NEXT) | instid1(VALU_DEP_1)
	v_and_or_b32 v6, 0x8000, v6, v19
	v_lshl_or_b32 v1, v6, 16, v1
.LBB300_1918:                           ;   in Loop: Header=BB300_1574 Depth=1
	s_or_b32 exec_lo, exec_lo, s17
.LBB300_1919:                           ;   in Loop: Header=BB300_1574 Depth=1
	s_delay_alu instid0(SALU_CYCLE_1)
	s_or_b32 exec_lo, exec_lo, s16
.LBB300_1920:                           ;   in Loop: Header=BB300_1574 Depth=1
	s_delay_alu instid0(SALU_CYCLE_1) | instskip(SKIP_3) | instid1(VALU_DEP_2)
	s_or_b32 exec_lo, exec_lo, s9
	v_dual_mov_b32 v19, 0 :: v_dual_lshrrev_b32 v6, 16, v50
	v_mov_b32_e32 v22, 0
	s_mov_b32 s9, exec_lo
	v_and_b32_e32 v23, 0xff, v6
	s_delay_alu instid0(VALU_DEP_1)
	v_cmpx_ne_u16_e32 0, v23
	s_cbranch_execz .LBB300_1928
; %bb.1921:                             ;   in Loop: Header=BB300_1574 Depth=1
	v_mov_b32_e32 v22, 0x8000
	s_mov_b32 s16, exec_lo
	v_cmpx_ne_u16_e32 0x80, v23
	s_cbranch_execz .LBB300_1927
; %bb.1922:                             ;   in Loop: Header=BB300_1574 Depth=1
	v_bfe_u32 v49, v50, 16, 7
	v_mov_b32_e32 v22, 0x7c01
	s_mov_b32 s17, exec_lo
	s_delay_alu instid0(VALU_DEP_2)
	v_cmpx_ne_u32_e32 0x7f, v49
	s_cbranch_execz .LBB300_1926
; %bb.1923:                             ;   in Loop: Header=BB300_1574 Depth=1
	v_dual_lshrrev_b32 v23, 3, v49 :: v_dual_bitop2_b32 v22, 7, v6 bitop3:0x40
	s_mov_b32 s18, exec_lo
	v_cmpx_gt_u32_e32 8, v49
; %bb.1924:                             ;   in Loop: Header=BB300_1574 Depth=1
	s_delay_alu instid0(VALU_DEP_2) | instskip(NEXT) | instid1(VALU_DEP_1)
	v_clz_i32_u32_e32 v22, v22
	v_min_u32_e32 v49, 32, v22
	s_delay_alu instid0(VALU_DEP_1) | instskip(NEXT) | instid1(VALU_DEP_1)
	v_subrev_nc_u32_e32 v22, 28, v49
	v_lshlrev_b64_e32 v[22:23], v22, v[6:7]
	s_delay_alu instid0(VALU_DEP_1)
	v_dual_sub_nc_u32 v23, 29, v49 :: v_dual_bitop2_b32 v22, 7, v22 bitop3:0x40
; %bb.1925:                             ;   in Loop: Header=BB300_1574 Depth=1
	s_or_b32 exec_lo, exec_lo, s18
	v_lshlrev_b32_e32 v6, 8, v6
	s_delay_alu instid0(VALU_DEP_2) | instskip(NEXT) | instid1(VALU_DEP_3)
	v_lshl_add_u32 v23, v23, 10, 0x2000
	v_lshlrev_b32_e32 v22, 7, v22
	s_delay_alu instid0(VALU_DEP_3) | instskip(NEXT) | instid1(VALU_DEP_3)
	v_and_b32_e32 v6, 0x8000, v6
	v_and_b32_e32 v23, 0xfc00, v23
	s_delay_alu instid0(VALU_DEP_1)
	v_or3_b32 v22, v6, v23, v22
.LBB300_1926:                           ;   in Loop: Header=BB300_1574 Depth=1
	s_or_b32 exec_lo, exec_lo, s17
.LBB300_1927:                           ;   in Loop: Header=BB300_1574 Depth=1
	s_delay_alu instid0(SALU_CYCLE_1)
	s_or_b32 exec_lo, exec_lo, s16
.LBB300_1928:                           ;   in Loop: Header=BB300_1574 Depth=1
	s_delay_alu instid0(SALU_CYCLE_1) | instskip(NEXT) | instid1(SALU_CYCLE_1)
	s_or_b32 exec_lo, exec_lo, s9
	s_mov_b32 s9, exec_lo
	v_cmpx_lt_u32_e32 0xffffff, v50
	s_cbranch_execz .LBB300_1936
; %bb.1929:                             ;   in Loop: Header=BB300_1574 Depth=1
	v_lshrrev_b32_e32 v6, 24, v50
	v_bfrev_b32_e32 v19, 1
	s_mov_b32 s16, exec_lo
	s_delay_alu instid0(VALU_DEP_2)
	v_cmpx_ne_u32_e32 0x80, v6
	s_cbranch_execz .LBB300_1935
; %bb.1930:                             ;   in Loop: Header=BB300_1574 Depth=1
	v_and_b32_e32 v49, 0x7f, v6
	v_mov_b32_e32 v19, 0x7c010000
	s_mov_b32 s17, exec_lo
	s_delay_alu instid0(VALU_DEP_2)
	v_cmpx_ne_u32_e32 0x7f, v49
	s_cbranch_execz .LBB300_1934
; %bb.1931:                             ;   in Loop: Header=BB300_1574 Depth=1
	v_dual_lshrrev_b32 v23, 3, v49 :: v_dual_bitop2_b32 v19, 7, v6 bitop3:0x40
	s_mov_b32 s18, exec_lo
	v_cmpx_gt_u32_e32 8, v49
; %bb.1932:                             ;   in Loop: Header=BB300_1574 Depth=1
	s_delay_alu instid0(VALU_DEP_2) | instskip(NEXT) | instid1(VALU_DEP_1)
	v_clz_i32_u32_e32 v19, v19
	v_min_u32_e32 v19, 32, v19
	s_delay_alu instid0(VALU_DEP_1) | instskip(NEXT) | instid1(VALU_DEP_1)
	v_subrev_nc_u32_e32 v23, 28, v19
	v_lshlrev_b64_e32 v[52:53], v23, v[6:7]
	s_delay_alu instid0(VALU_DEP_1)
	v_dual_sub_nc_u32 v23, 29, v19 :: v_dual_bitop2_b32 v19, 7, v52 bitop3:0x40
; %bb.1933:                             ;   in Loop: Header=BB300_1574 Depth=1
	s_or_b32 exec_lo, exec_lo, s18
	s_delay_alu instid0(VALU_DEP_1) | instskip(NEXT) | instid1(VALU_DEP_2)
	v_dual_lshlrev_b32 v6, 8, v6 :: v_dual_lshlrev_b32 v19, 23, v19
	v_lshl_add_u32 v23, v23, 10, 0x2000
	s_delay_alu instid0(VALU_DEP_1) | instskip(NEXT) | instid1(VALU_DEP_1)
	v_and_or_b32 v6, 0x8000, v6, v23
	v_lshl_or_b32 v19, v6, 16, v19
.LBB300_1934:                           ;   in Loop: Header=BB300_1574 Depth=1
	s_or_b32 exec_lo, exec_lo, s17
.LBB300_1935:                           ;   in Loop: Header=BB300_1574 Depth=1
	s_delay_alu instid0(SALU_CYCLE_1)
	s_or_b32 exec_lo, exec_lo, s16
.LBB300_1936:                           ;   in Loop: Header=BB300_1574 Depth=1
	s_delay_alu instid0(SALU_CYCLE_1) | instskip(SKIP_4) | instid1(VALU_DEP_3)
	s_or_b32 exec_lo, exec_lo, s9
	v_and_b32_e32 v52, 0xff, v51
	v_dual_mov_b32 v6, v51 :: v_dual_mov_b32 v49, 0
	v_mov_b32_e32 v23, 0
	s_mov_b32 s9, exec_lo
	v_cmpx_ne_u16_e32 0, v52
	s_cbranch_execz .LBB300_1944
; %bb.1937:                             ;   in Loop: Header=BB300_1574 Depth=1
	v_mov_b32_e32 v23, 0x8000
	s_mov_b32 s16, exec_lo
	v_cmpx_ne_u16_e32 0x80, v52
	s_cbranch_execz .LBB300_1943
; %bb.1938:                             ;   in Loop: Header=BB300_1574 Depth=1
	v_and_b32_e32 v53, 0x7f, v51
	v_mov_b32_e32 v23, 0x7c01
	s_mov_b32 s17, exec_lo
	s_delay_alu instid0(VALU_DEP_2)
	v_cmpx_ne_u32_e32 0x7f, v53
	s_cbranch_execz .LBB300_1942
; %bb.1939:                             ;   in Loop: Header=BB300_1574 Depth=1
	v_dual_lshrrev_b32 v52, 3, v53 :: v_dual_bitop2_b32 v23, 7, v51 bitop3:0x40
	s_mov_b32 s18, exec_lo
	v_cmpx_gt_u32_e32 8, v53
; %bb.1940:                             ;   in Loop: Header=BB300_1574 Depth=1
	s_delay_alu instid0(VALU_DEP_2) | instskip(NEXT) | instid1(VALU_DEP_1)
	v_clz_i32_u32_e32 v23, v23
	v_min_u32_e32 v23, 32, v23
	s_delay_alu instid0(VALU_DEP_1) | instskip(NEXT) | instid1(VALU_DEP_1)
	v_subrev_nc_u32_e32 v52, 28, v23
	v_lshlrev_b64_e32 v[54:55], v52, v[6:7]
	s_delay_alu instid0(VALU_DEP_1)
	v_dual_sub_nc_u32 v52, 29, v23 :: v_dual_bitop2_b32 v23, 7, v54 bitop3:0x40
; %bb.1941:                             ;   in Loop: Header=BB300_1574 Depth=1
	s_or_b32 exec_lo, exec_lo, s18
	v_lshlrev_b32_e32 v53, 8, v51
	s_delay_alu instid0(VALU_DEP_2) | instskip(NEXT) | instid1(VALU_DEP_3)
	v_lshl_add_u32 v52, v52, 10, 0x2000
	v_lshlrev_b32_e32 v23, 7, v23
	s_delay_alu instid0(VALU_DEP_3) | instskip(NEXT) | instid1(VALU_DEP_3)
	v_and_b32_e32 v53, 0x8000, v53
	v_and_b32_e32 v52, 0xfc00, v52
	s_delay_alu instid0(VALU_DEP_1)
	v_or3_b32 v23, v53, v52, v23
.LBB300_1942:                           ;   in Loop: Header=BB300_1574 Depth=1
	s_or_b32 exec_lo, exec_lo, s17
.LBB300_1943:                           ;   in Loop: Header=BB300_1574 Depth=1
	s_delay_alu instid0(SALU_CYCLE_1)
	s_or_b32 exec_lo, exec_lo, s16
.LBB300_1944:                           ;   in Loop: Header=BB300_1574 Depth=1
	s_delay_alu instid0(SALU_CYCLE_1) | instskip(SKIP_3) | instid1(VALU_DEP_2)
	s_or_b32 exec_lo, exec_lo, s9
	v_lshrrev_b16 v6, 8, v6
	v_mov_b32_e32 v52, 0
	s_mov_b32 s9, exec_lo
	v_cmpx_ne_u16_e32 0, v6
	s_cbranch_execz .LBB300_1952
; %bb.1945:                             ;   in Loop: Header=BB300_1574 Depth=1
	v_bfrev_b32_e32 v52, 1
	s_mov_b32 s16, exec_lo
	v_cmpx_ne_u16_e32 0x80, v6
	s_cbranch_execz .LBB300_1951
; %bb.1946:                             ;   in Loop: Header=BB300_1574 Depth=1
	v_and_b32_e32 v53, 0xffff, v6
	v_mov_b32_e32 v52, 0x7c010000
	s_mov_b32 s17, exec_lo
	s_delay_alu instid0(VALU_DEP_2) | instskip(NEXT) | instid1(VALU_DEP_1)
	v_and_b32_e32 v55, 0x7f, v53
	v_cmpx_ne_u32_e32 0x7f, v55
	s_cbranch_execz .LBB300_1950
; %bb.1947:                             ;   in Loop: Header=BB300_1574 Depth=1
	v_dual_lshrrev_b32 v54, 3, v55 :: v_dual_bitop2_b32 v52, 7, v53 bitop3:0x40
	s_mov_b32 s18, exec_lo
	v_cmpx_gt_u32_e32 8, v55
; %bb.1948:                             ;   in Loop: Header=BB300_1574 Depth=1
	s_delay_alu instid0(VALU_DEP_2) | instskip(NEXT) | instid1(VALU_DEP_1)
	v_clz_i32_u32_e32 v52, v52
	v_min_u32_e32 v52, 32, v52
	s_delay_alu instid0(VALU_DEP_1) | instskip(NEXT) | instid1(VALU_DEP_1)
	v_subrev_nc_u32_e32 v54, 28, v52
	v_lshlrev_b64_e32 v[64:65], v54, v[6:7]
	v_sub_nc_u32_e32 v54, 29, v52
	s_delay_alu instid0(VALU_DEP_2)
	v_and_b32_e32 v52, 7, v64
; %bb.1949:                             ;   in Loop: Header=BB300_1574 Depth=1
	s_or_b32 exec_lo, exec_lo, s18
	s_delay_alu instid0(VALU_DEP_1) | instskip(NEXT) | instid1(VALU_DEP_3)
	v_dual_lshlrev_b32 v6, 8, v53 :: v_dual_lshlrev_b32 v52, 23, v52
	v_lshl_add_u32 v53, v54, 10, 0x2000
	s_delay_alu instid0(VALU_DEP_1) | instskip(NEXT) | instid1(VALU_DEP_1)
	v_and_or_b32 v6, 0x8000, v6, v53
	v_lshl_or_b32 v52, v6, 16, v52
.LBB300_1950:                           ;   in Loop: Header=BB300_1574 Depth=1
	s_or_b32 exec_lo, exec_lo, s17
.LBB300_1951:                           ;   in Loop: Header=BB300_1574 Depth=1
	s_delay_alu instid0(SALU_CYCLE_1)
	s_or_b32 exec_lo, exec_lo, s16
.LBB300_1952:                           ;   in Loop: Header=BB300_1574 Depth=1
	s_delay_alu instid0(SALU_CYCLE_1) | instskip(SKIP_2) | instid1(VALU_DEP_1)
	s_or_b32 exec_lo, exec_lo, s9
	v_lshrrev_b32_e32 v6, 16, v51
	s_mov_b32 s9, exec_lo
	v_and_b32_e32 v53, 0xff, v6
	s_delay_alu instid0(VALU_DEP_1)
	v_cmpx_ne_u16_e32 0, v53
	s_cbranch_execz .LBB300_1960
; %bb.1953:                             ;   in Loop: Header=BB300_1574 Depth=1
	v_mov_b32_e32 v49, 0x8000
	s_mov_b32 s16, exec_lo
	v_cmpx_ne_u16_e32 0x80, v53
	s_cbranch_execz .LBB300_1959
; %bb.1954:                             ;   in Loop: Header=BB300_1574 Depth=1
	v_bfe_u32 v54, v51, 16, 7
	v_mov_b32_e32 v49, 0x7c01
	s_mov_b32 s17, exec_lo
	s_delay_alu instid0(VALU_DEP_2)
	v_cmpx_ne_u32_e32 0x7f, v54
	s_cbranch_execz .LBB300_1958
; %bb.1955:                             ;   in Loop: Header=BB300_1574 Depth=1
	v_and_b32_e32 v49, 7, v6
	v_lshrrev_b32_e32 v53, 3, v54
	s_mov_b32 s18, exec_lo
	v_cmpx_gt_u32_e32 8, v54
; %bb.1956:                             ;   in Loop: Header=BB300_1574 Depth=1
	s_delay_alu instid0(VALU_DEP_3) | instskip(NEXT) | instid1(VALU_DEP_1)
	v_clz_i32_u32_e32 v49, v49
	v_min_u32_e32 v49, 32, v49
	s_delay_alu instid0(VALU_DEP_1) | instskip(NEXT) | instid1(VALU_DEP_1)
	v_subrev_nc_u32_e32 v53, 28, v49
	v_lshlrev_b64_e32 v[54:55], v53, v[6:7]
	s_delay_alu instid0(VALU_DEP_1)
	v_dual_sub_nc_u32 v53, 29, v49 :: v_dual_bitop2_b32 v49, 7, v54 bitop3:0x40
; %bb.1957:                             ;   in Loop: Header=BB300_1574 Depth=1
	s_or_b32 exec_lo, exec_lo, s18
	s_delay_alu instid0(VALU_DEP_1) | instskip(NEXT) | instid1(VALU_DEP_2)
	v_dual_lshlrev_b32 v6, 8, v6 :: v_dual_lshlrev_b32 v49, 7, v49
	v_lshl_add_u32 v53, v53, 10, 0x2000
	s_delay_alu instid0(VALU_DEP_2) | instskip(NEXT) | instid1(VALU_DEP_2)
	v_and_b32_e32 v6, 0x8000, v6
	v_and_b32_e32 v53, 0xfc00, v53
	s_delay_alu instid0(VALU_DEP_1)
	v_or3_b32 v49, v6, v53, v49
.LBB300_1958:                           ;   in Loop: Header=BB300_1574 Depth=1
	s_or_b32 exec_lo, exec_lo, s17
.LBB300_1959:                           ;   in Loop: Header=BB300_1574 Depth=1
	s_delay_alu instid0(SALU_CYCLE_1)
	s_or_b32 exec_lo, exec_lo, s16
.LBB300_1960:                           ;   in Loop: Header=BB300_1574 Depth=1
	s_delay_alu instid0(SALU_CYCLE_1)
	s_or_b32 exec_lo, exec_lo, s9
	v_cmp_lt_u64_e64 s0, s[2:3], v[50:51]
	v_mov_b32_e32 v50, 0
	s_and_saveexec_b32 s9, s0
	s_cbranch_execz .LBB300_1968
; %bb.1961:                             ;   in Loop: Header=BB300_1574 Depth=1
	v_lshrrev_b32_e32 v6, 24, v51
	v_bfrev_b32_e32 v50, 1
	s_mov_b32 s16, exec_lo
	s_delay_alu instid0(VALU_DEP_2)
	v_cmpx_ne_u32_e32 0x80, v6
	s_cbranch_execz .LBB300_1967
; %bb.1962:                             ;   in Loop: Header=BB300_1574 Depth=1
	v_and_b32_e32 v53, 0x7f, v6
	v_mov_b32_e32 v50, 0x7c010000
	s_mov_b32 s17, exec_lo
	s_delay_alu instid0(VALU_DEP_2)
	v_cmpx_ne_u32_e32 0x7f, v53
	s_cbranch_execz .LBB300_1966
; %bb.1963:                             ;   in Loop: Header=BB300_1574 Depth=1
	v_dual_lshrrev_b32 v51, 3, v53 :: v_dual_bitop2_b32 v50, 7, v6 bitop3:0x40
	s_mov_b32 s18, exec_lo
	v_cmpx_gt_u32_e32 8, v53
; %bb.1964:                             ;   in Loop: Header=BB300_1574 Depth=1
	s_delay_alu instid0(VALU_DEP_2) | instskip(NEXT) | instid1(VALU_DEP_1)
	v_clz_i32_u32_e32 v50, v50
	v_min_u32_e32 v53, 32, v50
	s_delay_alu instid0(VALU_DEP_1) | instskip(NEXT) | instid1(VALU_DEP_1)
	v_subrev_nc_u32_e32 v50, 28, v53
	v_lshlrev_b64_e32 v[50:51], v50, v[6:7]
	s_delay_alu instid0(VALU_DEP_1)
	v_dual_sub_nc_u32 v51, 29, v53 :: v_dual_bitop2_b32 v50, 7, v50 bitop3:0x40
; %bb.1965:                             ;   in Loop: Header=BB300_1574 Depth=1
	s_or_b32 exec_lo, exec_lo, s18
	v_lshlrev_b32_e32 v6, 8, v6
	s_delay_alu instid0(VALU_DEP_2) | instskip(NEXT) | instid1(VALU_DEP_3)
	v_lshl_add_u32 v51, v51, 10, 0x2000
	v_lshlrev_b32_e32 v50, 23, v50
	s_delay_alu instid0(VALU_DEP_2) | instskip(NEXT) | instid1(VALU_DEP_1)
	v_and_or_b32 v6, 0x8000, v6, v51
	v_lshl_or_b32 v50, v6, 16, v50
.LBB300_1966:                           ;   in Loop: Header=BB300_1574 Depth=1
	s_or_b32 exec_lo, exec_lo, s17
.LBB300_1967:                           ;   in Loop: Header=BB300_1574 Depth=1
	s_delay_alu instid0(SALU_CYCLE_1)
	s_or_b32 exec_lo, exec_lo, s16
.LBB300_1968:                           ;   in Loop: Header=BB300_1574 Depth=1
	s_delay_alu instid0(SALU_CYCLE_1) | instskip(SKIP_4) | instid1(VALU_DEP_4)
	s_or_b32 exec_lo, exec_lo, s9
	v_dual_lshrrev_b32 v6, 16, v1 :: v_dual_lshrrev_b32 v51, 16, v19
	v_or_b32_e32 v1, v1, v18
	v_or_b32_e32 v22, v19, v22
	;; [unrolled: 1-line block ×3, first 2 shown]
	v_cvt_f32_f16_e32 v19, v6
	v_cvt_f32_f16_e32 v18, v51
	v_dual_lshrrev_b32 v50, 16, v50 :: v_dual_bitop2_b32 v6, v50, v49 bitop3:0x54
	v_lshrrev_b32_e32 v49, 16, v52
	v_cvt_f32_f16_e32 v23, v1
	s_delay_alu instid0(VALU_DEP_3) | instskip(NEXT) | instid1(VALU_DEP_4)
	v_cvt_f32_f16_e32 v52, v6
	v_cvt_f32_f16_e32 v50, v50
	s_wait_loadcnt_dscnt 0x0
	v_pk_mul_f32 v[18:19], v[48:49], v[18:19] op_sel_hi:[0,1]
	v_cvt_f32_f16_e32 v51, v49
	s_delay_alu instid0(VALU_DEP_2) | instskip(NEXT) | instid1(VALU_DEP_2)
	v_cvt_pk_f16_f32 v1, v18, v19
	v_pk_mul_f32 v[18:19], v[48:49], v[50:51] op_sel_hi:[0,1]
	s_delay_alu instid0(VALU_DEP_2) | instskip(SKIP_2) | instid1(VALU_DEP_4)
	v_lshlrev_b32_e32 v50, 16, v1
	v_cvt_f32_f16_e32 v22, v22
	v_and_b32_e32 v51, 0xffff0000, v1
	v_cvt_pk_f16_f32 v18, v18, v19
	s_delay_alu instid0(VALU_DEP_3) | instskip(NEXT) | instid1(VALU_DEP_2)
	v_pk_mul_f32 v[22:23], v[48:49], v[22:23] op_sel_hi:[0,1]
	v_and_b32_e32 v19, 0xffff0000, v18
	s_delay_alu instid0(VALU_DEP_2) | instskip(NEXT) | instid1(VALU_DEP_1)
	v_cvt_pk_f16_f32 v6, v22, v23
	v_lshrrev_b32_e32 v65, 16, v6
	v_cvt_f32_f16_e32 v53, v53
	v_and_b32_e32 v64, 0xffff, v6
	s_delay_alu instid0(VALU_DEP_3) | instskip(NEXT) | instid1(VALU_DEP_3)
	v_or_b32_e32 v55, v51, v65
	v_pk_mul_f32 v[48:49], v[48:49], v[52:53] op_sel_hi:[0,1]
	s_delay_alu instid0(VALU_DEP_3) | instskip(NEXT) | instid1(VALU_DEP_2)
	v_or_b32_e32 v54, v50, v64
	v_cvt_pk_f16_f32 v1, v48, v49
	s_delay_alu instid0(VALU_DEP_1) | instskip(SKIP_1) | instid1(VALU_DEP_2)
	v_dual_lshlrev_b32 v6, 16, v18 :: v_dual_lshrrev_b32 v49, 16, v1
	v_and_b32_e32 v48, 0xffff, v1
	v_or_b32_e32 v53, v19, v49
	s_delay_alu instid0(VALU_DEP_2)
	v_or_b32_e32 v52, v6, v48
	s_and_saveexec_b32 s9, vcc_lo
	s_cbranch_execz .LBB300_1970
; %bb.1969:                             ;   in Loop: Header=BB300_1574 Depth=1
	v_cmp_lt_i32_e64 s0, v70, v13
	s_delay_alu instid0(VALU_DEP_1) | instskip(SKIP_1) | instid1(VALU_DEP_1)
	v_cndmask_b32_e64 v1, 0, v65, s0
	v_cmp_lt_i32_e64 s0, v86, v12
	v_cndmask_b32_e64 v18, 0, v64, s0
	v_cmp_lt_i32_e64 s0, v85, v13
	s_delay_alu instid0(VALU_DEP_1) | instskip(SKIP_1) | instid1(VALU_DEP_1)
	v_cndmask_b32_e64 v22, 0, v51, s0
	v_cmp_lt_i32_e64 s0, v84, v12
	v_cndmask_b32_e64 v23, 0, v50, s0
	v_cmp_lt_i32_e64 s0, v83, v13
	s_delay_alu instid0(VALU_DEP_4) | instskip(NEXT) | instid1(VALU_DEP_2)
	v_or_b32_e32 v55, v1, v22
	v_dual_cndmask_b32 v49, 0, v49, s0 :: v_dual_bitop2_b32 v54, v18, v23 bitop3:0x54
	v_cmp_lt_i32_e64 s0, v82, v12
	s_delay_alu instid0(VALU_DEP_1) | instskip(SKIP_1) | instid1(VALU_DEP_1)
	v_cndmask_b32_e64 v48, 0, v48, s0
	v_cmp_lt_i32_e64 s0, v81, v13
	v_cndmask_b32_e64 v19, 0, v19, s0
	v_cmp_lt_i32_e64 s0, v0, v12
	s_delay_alu instid0(VALU_DEP_1) | instskip(NEXT) | instid1(VALU_DEP_1)
	v_dual_cndmask_b32 v6, 0, v6, s0 :: v_dual_bitop2_b32 v53, v49, v19 bitop3:0x54
	v_or_b32_e32 v52, v48, v6
.LBB300_1970:                           ;   in Loop: Header=BB300_1574 Depth=1
	s_or_b32 exec_lo, exec_lo, s9
	;;#ASMSTART
	v_pk_mul_f16 v1, v98, v55;

	;;#ASMEND
	;;#ASMSTART
	v_pk_mul_f16 v6, v97, v54;

	;;#ASMEND
	;; [unrolled: 4-line block ×4, first 2 shown]
	;;#ASMSTART
	v_pk_add_f16 v1, v1, v6;

	;;#ASMEND
	;;#ASMSTART
	v_pk_add_f16 v1, v1, v18;

	;;#ASMEND
	;; [unrolled: 4-line block ×3, first 2 shown]
	v_and_b32_e32 v6, 0xffff, v1
	v_lshrrev_b32_e32 v1, 16, v1
	;;#ASMSTART
	v_cvt_f32_f16 v117, v6;
	;;#ASMEND
	;;#ASMSTART
	v_cvt_f32_f16 v118, v1;
	;;#ASMEND
	flat_load_b64 v[50:51], v[36:37] offset:1536
	scratch_load_b64 v[18:19], off, s32 offset:192 ; 8-byte Folded Reload
	v_mov_b32_e32 v1, 0
	s_mov_b32 s9, exec_lo
	s_wait_loadcnt_dscnt 0x100
	v_and_b32_e32 v6, 0xff, v50
	s_wait_loadcnt 0x0
	flat_load_b32 v48, v[18:19]
	s_wait_xcnt 0x0
	v_mov_b32_e32 v18, 0
	v_cmpx_ne_u16_e32 0, v6
	s_cbranch_execz .LBB300_1978
; %bb.1971:                             ;   in Loop: Header=BB300_1574 Depth=1
	v_mov_b32_e32 v18, 0x8000
	s_mov_b32 s16, exec_lo
	v_cmpx_ne_u16_e32 0x80, v6
	s_cbranch_execz .LBB300_1977
; %bb.1972:                             ;   in Loop: Header=BB300_1574 Depth=1
	v_and_b32_e32 v19, 0x7f, v50
	v_mov_b32_e32 v18, 0x7c01
	s_mov_b32 s17, exec_lo
	s_delay_alu instid0(VALU_DEP_2)
	v_cmpx_ne_u32_e32 0x7f, v19
	s_cbranch_execz .LBB300_1976
; %bb.1973:                             ;   in Loop: Header=BB300_1574 Depth=1
	v_dual_lshrrev_b32 v18, 3, v19 :: v_dual_bitop2_b32 v6, 7, v50 bitop3:0x40
	s_mov_b32 s18, exec_lo
	v_cmpx_gt_u32_e32 8, v19
; %bb.1974:                             ;   in Loop: Header=BB300_1574 Depth=1
	s_delay_alu instid0(VALU_DEP_2) | instskip(NEXT) | instid1(VALU_DEP_1)
	v_clz_i32_u32_e32 v6, v6
	v_min_u32_e32 v6, 32, v6
	s_delay_alu instid0(VALU_DEP_1) | instskip(NEXT) | instid1(VALU_DEP_1)
	v_subrev_nc_u32_e32 v18, 28, v6
	v_lshlrev_b64_e32 v[22:23], v18, v[50:51]
	v_sub_nc_u32_e32 v18, 29, v6
	s_delay_alu instid0(VALU_DEP_2)
	v_and_b32_e32 v6, 7, v22
; %bb.1975:                             ;   in Loop: Header=BB300_1574 Depth=1
	s_or_b32 exec_lo, exec_lo, s18
	v_lshlrev_b32_e32 v19, 8, v50
	s_delay_alu instid0(VALU_DEP_3) | instskip(NEXT) | instid1(VALU_DEP_3)
	v_lshl_add_u32 v18, v18, 10, 0x2000
	v_lshlrev_b32_e32 v6, 7, v6
	s_delay_alu instid0(VALU_DEP_3) | instskip(NEXT) | instid1(VALU_DEP_3)
	v_and_b32_e32 v19, 0x8000, v19
	v_and_b32_e32 v18, 0xfc00, v18
	s_delay_alu instid0(VALU_DEP_1)
	v_or3_b32 v18, v19, v18, v6
.LBB300_1976:                           ;   in Loop: Header=BB300_1574 Depth=1
	s_or_b32 exec_lo, exec_lo, s17
.LBB300_1977:                           ;   in Loop: Header=BB300_1574 Depth=1
	s_delay_alu instid0(SALU_CYCLE_1)
	s_or_b32 exec_lo, exec_lo, s16
.LBB300_1978:                           ;   in Loop: Header=BB300_1574 Depth=1
	s_delay_alu instid0(SALU_CYCLE_1) | instskip(SKIP_2) | instid1(VALU_DEP_1)
	s_or_b32 exec_lo, exec_lo, s9
	v_lshrrev_b16 v6, 8, v50
	s_mov_b32 s9, exec_lo
	v_cmpx_ne_u16_e32 0, v6
	s_cbranch_execz .LBB300_1986
; %bb.1979:                             ;   in Loop: Header=BB300_1574 Depth=1
	v_bfrev_b32_e32 v1, 1
	s_mov_b32 s16, exec_lo
	v_cmpx_ne_u16_e32 0x80, v6
	s_cbranch_execz .LBB300_1985
; %bb.1980:                             ;   in Loop: Header=BB300_1574 Depth=1
	v_and_b32_e32 v19, 0xffff, v6
	v_mov_b32_e32 v1, 0x7c010000
	s_mov_b32 s17, exec_lo
	s_delay_alu instid0(VALU_DEP_2) | instskip(NEXT) | instid1(VALU_DEP_1)
	v_and_b32_e32 v23, 0x7f, v19
	v_cmpx_ne_u32_e32 0x7f, v23
	s_cbranch_execz .LBB300_1984
; %bb.1981:                             ;   in Loop: Header=BB300_1574 Depth=1
	v_and_b32_e32 v1, 7, v19
	v_lshrrev_b32_e32 v22, 3, v23
	s_mov_b32 s18, exec_lo
	v_cmpx_gt_u32_e32 8, v23
; %bb.1982:                             ;   in Loop: Header=BB300_1574 Depth=1
	s_delay_alu instid0(VALU_DEP_3) | instskip(NEXT) | instid1(VALU_DEP_1)
	v_clz_i32_u32_e32 v1, v1
	v_min_u32_e32 v1, 32, v1
	s_delay_alu instid0(VALU_DEP_1) | instskip(NEXT) | instid1(VALU_DEP_1)
	v_subrev_nc_u32_e32 v22, 28, v1
	v_lshlrev_b64_e32 v[52:53], v22, v[6:7]
	s_delay_alu instid0(VALU_DEP_1)
	v_dual_sub_nc_u32 v22, 29, v1 :: v_dual_bitop2_b32 v1, 7, v52 bitop3:0x40
; %bb.1983:                             ;   in Loop: Header=BB300_1574 Depth=1
	s_or_b32 exec_lo, exec_lo, s18
	s_delay_alu instid0(VALU_DEP_1) | instskip(NEXT) | instid1(VALU_DEP_2)
	v_dual_lshlrev_b32 v6, 8, v19 :: v_dual_lshlrev_b32 v1, 23, v1
	v_lshl_add_u32 v19, v22, 10, 0x2000
	s_delay_alu instid0(VALU_DEP_1) | instskip(NEXT) | instid1(VALU_DEP_1)
	v_and_or_b32 v6, 0x8000, v6, v19
	v_lshl_or_b32 v1, v6, 16, v1
.LBB300_1984:                           ;   in Loop: Header=BB300_1574 Depth=1
	s_or_b32 exec_lo, exec_lo, s17
.LBB300_1985:                           ;   in Loop: Header=BB300_1574 Depth=1
	s_delay_alu instid0(SALU_CYCLE_1)
	s_or_b32 exec_lo, exec_lo, s16
.LBB300_1986:                           ;   in Loop: Header=BB300_1574 Depth=1
	s_delay_alu instid0(SALU_CYCLE_1) | instskip(SKIP_3) | instid1(VALU_DEP_2)
	s_or_b32 exec_lo, exec_lo, s9
	v_dual_mov_b32 v19, 0 :: v_dual_lshrrev_b32 v6, 16, v50
	v_mov_b32_e32 v22, 0
	s_mov_b32 s9, exec_lo
	v_and_b32_e32 v23, 0xff, v6
	s_delay_alu instid0(VALU_DEP_1)
	v_cmpx_ne_u16_e32 0, v23
	s_cbranch_execz .LBB300_1994
; %bb.1987:                             ;   in Loop: Header=BB300_1574 Depth=1
	v_mov_b32_e32 v22, 0x8000
	s_mov_b32 s16, exec_lo
	v_cmpx_ne_u16_e32 0x80, v23
	s_cbranch_execz .LBB300_1993
; %bb.1988:                             ;   in Loop: Header=BB300_1574 Depth=1
	v_bfe_u32 v49, v50, 16, 7
	v_mov_b32_e32 v22, 0x7c01
	s_mov_b32 s17, exec_lo
	s_delay_alu instid0(VALU_DEP_2)
	v_cmpx_ne_u32_e32 0x7f, v49
	s_cbranch_execz .LBB300_1992
; %bb.1989:                             ;   in Loop: Header=BB300_1574 Depth=1
	v_dual_lshrrev_b32 v23, 3, v49 :: v_dual_bitop2_b32 v22, 7, v6 bitop3:0x40
	s_mov_b32 s18, exec_lo
	v_cmpx_gt_u32_e32 8, v49
; %bb.1990:                             ;   in Loop: Header=BB300_1574 Depth=1
	s_delay_alu instid0(VALU_DEP_2) | instskip(NEXT) | instid1(VALU_DEP_1)
	v_clz_i32_u32_e32 v22, v22
	v_min_u32_e32 v49, 32, v22
	s_delay_alu instid0(VALU_DEP_1) | instskip(NEXT) | instid1(VALU_DEP_1)
	v_subrev_nc_u32_e32 v22, 28, v49
	v_lshlrev_b64_e32 v[22:23], v22, v[6:7]
	s_delay_alu instid0(VALU_DEP_1)
	v_dual_sub_nc_u32 v23, 29, v49 :: v_dual_bitop2_b32 v22, 7, v22 bitop3:0x40
; %bb.1991:                             ;   in Loop: Header=BB300_1574 Depth=1
	s_or_b32 exec_lo, exec_lo, s18
	v_lshlrev_b32_e32 v6, 8, v6
	s_delay_alu instid0(VALU_DEP_2) | instskip(NEXT) | instid1(VALU_DEP_3)
	v_lshl_add_u32 v23, v23, 10, 0x2000
	v_lshlrev_b32_e32 v22, 7, v22
	s_delay_alu instid0(VALU_DEP_3) | instskip(NEXT) | instid1(VALU_DEP_3)
	v_and_b32_e32 v6, 0x8000, v6
	v_and_b32_e32 v23, 0xfc00, v23
	s_delay_alu instid0(VALU_DEP_1)
	v_or3_b32 v22, v6, v23, v22
.LBB300_1992:                           ;   in Loop: Header=BB300_1574 Depth=1
	s_or_b32 exec_lo, exec_lo, s17
.LBB300_1993:                           ;   in Loop: Header=BB300_1574 Depth=1
	s_delay_alu instid0(SALU_CYCLE_1)
	s_or_b32 exec_lo, exec_lo, s16
.LBB300_1994:                           ;   in Loop: Header=BB300_1574 Depth=1
	s_delay_alu instid0(SALU_CYCLE_1) | instskip(NEXT) | instid1(SALU_CYCLE_1)
	s_or_b32 exec_lo, exec_lo, s9
	s_mov_b32 s9, exec_lo
	v_cmpx_lt_u32_e32 0xffffff, v50
	s_cbranch_execz .LBB300_2002
; %bb.1995:                             ;   in Loop: Header=BB300_1574 Depth=1
	v_lshrrev_b32_e32 v6, 24, v50
	v_bfrev_b32_e32 v19, 1
	s_mov_b32 s16, exec_lo
	s_delay_alu instid0(VALU_DEP_2)
	v_cmpx_ne_u32_e32 0x80, v6
	s_cbranch_execz .LBB300_2001
; %bb.1996:                             ;   in Loop: Header=BB300_1574 Depth=1
	v_and_b32_e32 v49, 0x7f, v6
	v_mov_b32_e32 v19, 0x7c010000
	s_mov_b32 s17, exec_lo
	s_delay_alu instid0(VALU_DEP_2)
	v_cmpx_ne_u32_e32 0x7f, v49
	s_cbranch_execz .LBB300_2000
; %bb.1997:                             ;   in Loop: Header=BB300_1574 Depth=1
	v_dual_lshrrev_b32 v23, 3, v49 :: v_dual_bitop2_b32 v19, 7, v6 bitop3:0x40
	s_mov_b32 s18, exec_lo
	v_cmpx_gt_u32_e32 8, v49
; %bb.1998:                             ;   in Loop: Header=BB300_1574 Depth=1
	s_delay_alu instid0(VALU_DEP_2) | instskip(NEXT) | instid1(VALU_DEP_1)
	v_clz_i32_u32_e32 v19, v19
	v_min_u32_e32 v19, 32, v19
	s_delay_alu instid0(VALU_DEP_1) | instskip(NEXT) | instid1(VALU_DEP_1)
	v_subrev_nc_u32_e32 v23, 28, v19
	v_lshlrev_b64_e32 v[52:53], v23, v[6:7]
	s_delay_alu instid0(VALU_DEP_1)
	v_dual_sub_nc_u32 v23, 29, v19 :: v_dual_bitop2_b32 v19, 7, v52 bitop3:0x40
; %bb.1999:                             ;   in Loop: Header=BB300_1574 Depth=1
	s_or_b32 exec_lo, exec_lo, s18
	s_delay_alu instid0(VALU_DEP_1) | instskip(NEXT) | instid1(VALU_DEP_2)
	v_dual_lshlrev_b32 v6, 8, v6 :: v_dual_lshlrev_b32 v19, 23, v19
	v_lshl_add_u32 v23, v23, 10, 0x2000
	s_delay_alu instid0(VALU_DEP_1) | instskip(NEXT) | instid1(VALU_DEP_1)
	v_and_or_b32 v6, 0x8000, v6, v23
	v_lshl_or_b32 v19, v6, 16, v19
.LBB300_2000:                           ;   in Loop: Header=BB300_1574 Depth=1
	s_or_b32 exec_lo, exec_lo, s17
.LBB300_2001:                           ;   in Loop: Header=BB300_1574 Depth=1
	s_delay_alu instid0(SALU_CYCLE_1)
	s_or_b32 exec_lo, exec_lo, s16
.LBB300_2002:                           ;   in Loop: Header=BB300_1574 Depth=1
	s_delay_alu instid0(SALU_CYCLE_1) | instskip(SKIP_4) | instid1(VALU_DEP_3)
	s_or_b32 exec_lo, exec_lo, s9
	v_and_b32_e32 v52, 0xff, v51
	v_dual_mov_b32 v6, v51 :: v_dual_mov_b32 v49, 0
	v_mov_b32_e32 v23, 0
	s_mov_b32 s9, exec_lo
	v_cmpx_ne_u16_e32 0, v52
	s_cbranch_execz .LBB300_2010
; %bb.2003:                             ;   in Loop: Header=BB300_1574 Depth=1
	v_mov_b32_e32 v23, 0x8000
	s_mov_b32 s16, exec_lo
	v_cmpx_ne_u16_e32 0x80, v52
	s_cbranch_execz .LBB300_2009
; %bb.2004:                             ;   in Loop: Header=BB300_1574 Depth=1
	v_and_b32_e32 v53, 0x7f, v51
	v_mov_b32_e32 v23, 0x7c01
	s_mov_b32 s17, exec_lo
	s_delay_alu instid0(VALU_DEP_2)
	v_cmpx_ne_u32_e32 0x7f, v53
	s_cbranch_execz .LBB300_2008
; %bb.2005:                             ;   in Loop: Header=BB300_1574 Depth=1
	v_dual_lshrrev_b32 v52, 3, v53 :: v_dual_bitop2_b32 v23, 7, v51 bitop3:0x40
	s_mov_b32 s18, exec_lo
	v_cmpx_gt_u32_e32 8, v53
; %bb.2006:                             ;   in Loop: Header=BB300_1574 Depth=1
	s_delay_alu instid0(VALU_DEP_2) | instskip(NEXT) | instid1(VALU_DEP_1)
	v_clz_i32_u32_e32 v23, v23
	v_min_u32_e32 v23, 32, v23
	s_delay_alu instid0(VALU_DEP_1) | instskip(NEXT) | instid1(VALU_DEP_1)
	v_subrev_nc_u32_e32 v52, 28, v23
	v_lshlrev_b64_e32 v[54:55], v52, v[6:7]
	s_delay_alu instid0(VALU_DEP_1)
	v_dual_sub_nc_u32 v52, 29, v23 :: v_dual_bitop2_b32 v23, 7, v54 bitop3:0x40
; %bb.2007:                             ;   in Loop: Header=BB300_1574 Depth=1
	s_or_b32 exec_lo, exec_lo, s18
	v_lshlrev_b32_e32 v53, 8, v51
	s_delay_alu instid0(VALU_DEP_2) | instskip(NEXT) | instid1(VALU_DEP_3)
	v_lshl_add_u32 v52, v52, 10, 0x2000
	v_lshlrev_b32_e32 v23, 7, v23
	s_delay_alu instid0(VALU_DEP_3) | instskip(NEXT) | instid1(VALU_DEP_3)
	v_and_b32_e32 v53, 0x8000, v53
	v_and_b32_e32 v52, 0xfc00, v52
	s_delay_alu instid0(VALU_DEP_1)
	v_or3_b32 v23, v53, v52, v23
.LBB300_2008:                           ;   in Loop: Header=BB300_1574 Depth=1
	s_or_b32 exec_lo, exec_lo, s17
.LBB300_2009:                           ;   in Loop: Header=BB300_1574 Depth=1
	s_delay_alu instid0(SALU_CYCLE_1)
	s_or_b32 exec_lo, exec_lo, s16
.LBB300_2010:                           ;   in Loop: Header=BB300_1574 Depth=1
	s_delay_alu instid0(SALU_CYCLE_1) | instskip(SKIP_3) | instid1(VALU_DEP_2)
	s_or_b32 exec_lo, exec_lo, s9
	v_lshrrev_b16 v6, 8, v6
	v_mov_b32_e32 v52, 0
	s_mov_b32 s9, exec_lo
	v_cmpx_ne_u16_e32 0, v6
	s_cbranch_execz .LBB300_2018
; %bb.2011:                             ;   in Loop: Header=BB300_1574 Depth=1
	v_bfrev_b32_e32 v52, 1
	s_mov_b32 s16, exec_lo
	v_cmpx_ne_u16_e32 0x80, v6
	s_cbranch_execz .LBB300_2017
; %bb.2012:                             ;   in Loop: Header=BB300_1574 Depth=1
	v_and_b32_e32 v53, 0xffff, v6
	v_mov_b32_e32 v52, 0x7c010000
	s_mov_b32 s17, exec_lo
	s_delay_alu instid0(VALU_DEP_2) | instskip(NEXT) | instid1(VALU_DEP_1)
	v_and_b32_e32 v55, 0x7f, v53
	v_cmpx_ne_u32_e32 0x7f, v55
	s_cbranch_execz .LBB300_2016
; %bb.2013:                             ;   in Loop: Header=BB300_1574 Depth=1
	v_dual_lshrrev_b32 v54, 3, v55 :: v_dual_bitop2_b32 v52, 7, v53 bitop3:0x40
	s_mov_b32 s18, exec_lo
	v_cmpx_gt_u32_e32 8, v55
; %bb.2014:                             ;   in Loop: Header=BB300_1574 Depth=1
	s_delay_alu instid0(VALU_DEP_2) | instskip(NEXT) | instid1(VALU_DEP_1)
	v_clz_i32_u32_e32 v52, v52
	v_min_u32_e32 v52, 32, v52
	s_delay_alu instid0(VALU_DEP_1) | instskip(NEXT) | instid1(VALU_DEP_1)
	v_subrev_nc_u32_e32 v54, 28, v52
	v_lshlrev_b64_e32 v[64:65], v54, v[6:7]
	v_sub_nc_u32_e32 v54, 29, v52
	s_delay_alu instid0(VALU_DEP_2)
	v_and_b32_e32 v52, 7, v64
; %bb.2015:                             ;   in Loop: Header=BB300_1574 Depth=1
	s_or_b32 exec_lo, exec_lo, s18
	s_delay_alu instid0(VALU_DEP_1) | instskip(NEXT) | instid1(VALU_DEP_3)
	v_dual_lshlrev_b32 v6, 8, v53 :: v_dual_lshlrev_b32 v52, 23, v52
	v_lshl_add_u32 v53, v54, 10, 0x2000
	s_delay_alu instid0(VALU_DEP_1) | instskip(NEXT) | instid1(VALU_DEP_1)
	v_and_or_b32 v6, 0x8000, v6, v53
	v_lshl_or_b32 v52, v6, 16, v52
.LBB300_2016:                           ;   in Loop: Header=BB300_1574 Depth=1
	s_or_b32 exec_lo, exec_lo, s17
.LBB300_2017:                           ;   in Loop: Header=BB300_1574 Depth=1
	s_delay_alu instid0(SALU_CYCLE_1)
	s_or_b32 exec_lo, exec_lo, s16
.LBB300_2018:                           ;   in Loop: Header=BB300_1574 Depth=1
	s_delay_alu instid0(SALU_CYCLE_1) | instskip(SKIP_2) | instid1(VALU_DEP_1)
	s_or_b32 exec_lo, exec_lo, s9
	v_lshrrev_b32_e32 v6, 16, v51
	s_mov_b32 s9, exec_lo
	v_and_b32_e32 v53, 0xff, v6
	s_delay_alu instid0(VALU_DEP_1)
	v_cmpx_ne_u16_e32 0, v53
	s_cbranch_execz .LBB300_2026
; %bb.2019:                             ;   in Loop: Header=BB300_1574 Depth=1
	v_mov_b32_e32 v49, 0x8000
	s_mov_b32 s16, exec_lo
	v_cmpx_ne_u16_e32 0x80, v53
	s_cbranch_execz .LBB300_2025
; %bb.2020:                             ;   in Loop: Header=BB300_1574 Depth=1
	v_bfe_u32 v54, v51, 16, 7
	v_mov_b32_e32 v49, 0x7c01
	s_mov_b32 s17, exec_lo
	s_delay_alu instid0(VALU_DEP_2)
	v_cmpx_ne_u32_e32 0x7f, v54
	s_cbranch_execz .LBB300_2024
; %bb.2021:                             ;   in Loop: Header=BB300_1574 Depth=1
	v_and_b32_e32 v49, 7, v6
	v_lshrrev_b32_e32 v53, 3, v54
	s_mov_b32 s18, exec_lo
	v_cmpx_gt_u32_e32 8, v54
; %bb.2022:                             ;   in Loop: Header=BB300_1574 Depth=1
	s_delay_alu instid0(VALU_DEP_3) | instskip(NEXT) | instid1(VALU_DEP_1)
	v_clz_i32_u32_e32 v49, v49
	v_min_u32_e32 v49, 32, v49
	s_delay_alu instid0(VALU_DEP_1) | instskip(NEXT) | instid1(VALU_DEP_1)
	v_subrev_nc_u32_e32 v53, 28, v49
	v_lshlrev_b64_e32 v[54:55], v53, v[6:7]
	s_delay_alu instid0(VALU_DEP_1)
	v_dual_sub_nc_u32 v53, 29, v49 :: v_dual_bitop2_b32 v49, 7, v54 bitop3:0x40
; %bb.2023:                             ;   in Loop: Header=BB300_1574 Depth=1
	s_or_b32 exec_lo, exec_lo, s18
	s_delay_alu instid0(VALU_DEP_1) | instskip(NEXT) | instid1(VALU_DEP_2)
	v_dual_lshlrev_b32 v6, 8, v6 :: v_dual_lshlrev_b32 v49, 7, v49
	v_lshl_add_u32 v53, v53, 10, 0x2000
	s_delay_alu instid0(VALU_DEP_2) | instskip(NEXT) | instid1(VALU_DEP_2)
	v_and_b32_e32 v6, 0x8000, v6
	v_and_b32_e32 v53, 0xfc00, v53
	s_delay_alu instid0(VALU_DEP_1)
	v_or3_b32 v49, v6, v53, v49
.LBB300_2024:                           ;   in Loop: Header=BB300_1574 Depth=1
	s_or_b32 exec_lo, exec_lo, s17
.LBB300_2025:                           ;   in Loop: Header=BB300_1574 Depth=1
	s_delay_alu instid0(SALU_CYCLE_1)
	s_or_b32 exec_lo, exec_lo, s16
.LBB300_2026:                           ;   in Loop: Header=BB300_1574 Depth=1
	s_delay_alu instid0(SALU_CYCLE_1)
	s_or_b32 exec_lo, exec_lo, s9
	v_cmp_lt_u64_e64 s0, s[2:3], v[50:51]
	v_mov_b32_e32 v50, 0
	s_and_saveexec_b32 s9, s0
	s_cbranch_execz .LBB300_2034
; %bb.2027:                             ;   in Loop: Header=BB300_1574 Depth=1
	v_lshrrev_b32_e32 v6, 24, v51
	v_bfrev_b32_e32 v50, 1
	s_mov_b32 s16, exec_lo
	s_delay_alu instid0(VALU_DEP_2)
	v_cmpx_ne_u32_e32 0x80, v6
	s_cbranch_execz .LBB300_2033
; %bb.2028:                             ;   in Loop: Header=BB300_1574 Depth=1
	v_and_b32_e32 v53, 0x7f, v6
	v_mov_b32_e32 v50, 0x7c010000
	s_mov_b32 s17, exec_lo
	s_delay_alu instid0(VALU_DEP_2)
	v_cmpx_ne_u32_e32 0x7f, v53
	s_cbranch_execz .LBB300_2032
; %bb.2029:                             ;   in Loop: Header=BB300_1574 Depth=1
	v_dual_lshrrev_b32 v51, 3, v53 :: v_dual_bitop2_b32 v50, 7, v6 bitop3:0x40
	s_mov_b32 s18, exec_lo
	v_cmpx_gt_u32_e32 8, v53
; %bb.2030:                             ;   in Loop: Header=BB300_1574 Depth=1
	s_delay_alu instid0(VALU_DEP_2) | instskip(NEXT) | instid1(VALU_DEP_1)
	v_clz_i32_u32_e32 v50, v50
	v_min_u32_e32 v53, 32, v50
	s_delay_alu instid0(VALU_DEP_1) | instskip(NEXT) | instid1(VALU_DEP_1)
	v_subrev_nc_u32_e32 v50, 28, v53
	v_lshlrev_b64_e32 v[50:51], v50, v[6:7]
	s_delay_alu instid0(VALU_DEP_1)
	v_dual_sub_nc_u32 v51, 29, v53 :: v_dual_bitop2_b32 v50, 7, v50 bitop3:0x40
; %bb.2031:                             ;   in Loop: Header=BB300_1574 Depth=1
	s_or_b32 exec_lo, exec_lo, s18
	v_lshlrev_b32_e32 v6, 8, v6
	s_delay_alu instid0(VALU_DEP_2) | instskip(NEXT) | instid1(VALU_DEP_3)
	v_lshl_add_u32 v51, v51, 10, 0x2000
	v_lshlrev_b32_e32 v50, 23, v50
	s_delay_alu instid0(VALU_DEP_2) | instskip(NEXT) | instid1(VALU_DEP_1)
	v_and_or_b32 v6, 0x8000, v6, v51
	v_lshl_or_b32 v50, v6, 16, v50
.LBB300_2032:                           ;   in Loop: Header=BB300_1574 Depth=1
	s_or_b32 exec_lo, exec_lo, s17
.LBB300_2033:                           ;   in Loop: Header=BB300_1574 Depth=1
	s_delay_alu instid0(SALU_CYCLE_1)
	s_or_b32 exec_lo, exec_lo, s16
.LBB300_2034:                           ;   in Loop: Header=BB300_1574 Depth=1
	s_delay_alu instid0(SALU_CYCLE_1) | instskip(SKIP_4) | instid1(VALU_DEP_4)
	s_or_b32 exec_lo, exec_lo, s9
	v_dual_lshrrev_b32 v6, 16, v1 :: v_dual_lshrrev_b32 v51, 16, v19
	v_or_b32_e32 v1, v1, v18
	v_or_b32_e32 v22, v19, v22
	;; [unrolled: 1-line block ×3, first 2 shown]
	v_cvt_f32_f16_e32 v19, v6
	v_cvt_f32_f16_e32 v18, v51
	v_dual_lshrrev_b32 v50, 16, v50 :: v_dual_bitop2_b32 v6, v50, v49 bitop3:0x54
	v_lshrrev_b32_e32 v49, 16, v52
	v_cvt_f32_f16_e32 v23, v1
	s_delay_alu instid0(VALU_DEP_3) | instskip(NEXT) | instid1(VALU_DEP_4)
	v_cvt_f32_f16_e32 v52, v6
	v_cvt_f32_f16_e32 v50, v50
	s_wait_loadcnt_dscnt 0x0
	v_pk_mul_f32 v[18:19], v[48:49], v[18:19] op_sel_hi:[0,1]
	v_cvt_f32_f16_e32 v51, v49
	s_delay_alu instid0(VALU_DEP_2) | instskip(NEXT) | instid1(VALU_DEP_2)
	v_cvt_pk_f16_f32 v1, v18, v19
	v_pk_mul_f32 v[18:19], v[48:49], v[50:51] op_sel_hi:[0,1]
	s_delay_alu instid0(VALU_DEP_2) | instskip(SKIP_2) | instid1(VALU_DEP_4)
	v_lshlrev_b32_e32 v50, 16, v1
	v_cvt_f32_f16_e32 v22, v22
	v_and_b32_e32 v51, 0xffff0000, v1
	v_cvt_pk_f16_f32 v18, v18, v19
	s_delay_alu instid0(VALU_DEP_3) | instskip(NEXT) | instid1(VALU_DEP_2)
	v_pk_mul_f32 v[22:23], v[48:49], v[22:23] op_sel_hi:[0,1]
	v_and_b32_e32 v19, 0xffff0000, v18
	s_delay_alu instid0(VALU_DEP_2) | instskip(NEXT) | instid1(VALU_DEP_1)
	v_cvt_pk_f16_f32 v6, v22, v23
	v_lshrrev_b32_e32 v65, 16, v6
	v_cvt_f32_f16_e32 v53, v53
	v_and_b32_e32 v64, 0xffff, v6
	s_delay_alu instid0(VALU_DEP_3) | instskip(NEXT) | instid1(VALU_DEP_3)
	v_or_b32_e32 v55, v51, v65
	v_pk_mul_f32 v[48:49], v[48:49], v[52:53] op_sel_hi:[0,1]
	s_delay_alu instid0(VALU_DEP_3) | instskip(NEXT) | instid1(VALU_DEP_2)
	v_or_b32_e32 v54, v50, v64
	v_cvt_pk_f16_f32 v1, v48, v49
	s_delay_alu instid0(VALU_DEP_1) | instskip(SKIP_1) | instid1(VALU_DEP_2)
	v_dual_lshlrev_b32 v6, 16, v18 :: v_dual_lshrrev_b32 v49, 16, v1
	v_and_b32_e32 v48, 0xffff, v1
	v_or_b32_e32 v53, v19, v49
	s_delay_alu instid0(VALU_DEP_2)
	v_or_b32_e32 v52, v6, v48
	s_and_saveexec_b32 s9, vcc_lo
	s_cbranch_execz .LBB300_2036
; %bb.2035:                             ;   in Loop: Header=BB300_1574 Depth=1
	v_cmp_lt_i32_e64 s0, v70, v13
	s_delay_alu instid0(VALU_DEP_1) | instskip(SKIP_1) | instid1(VALU_DEP_1)
	v_cndmask_b32_e64 v1, 0, v65, s0
	v_cmp_lt_i32_e64 s0, v86, v12
	v_cndmask_b32_e64 v18, 0, v64, s0
	v_cmp_lt_i32_e64 s0, v85, v13
	s_delay_alu instid0(VALU_DEP_1) | instskip(SKIP_1) | instid1(VALU_DEP_1)
	v_cndmask_b32_e64 v22, 0, v51, s0
	v_cmp_lt_i32_e64 s0, v84, v12
	v_cndmask_b32_e64 v23, 0, v50, s0
	v_cmp_lt_i32_e64 s0, v83, v13
	s_delay_alu instid0(VALU_DEP_4) | instskip(NEXT) | instid1(VALU_DEP_2)
	v_or_b32_e32 v55, v1, v22
	v_dual_cndmask_b32 v49, 0, v49, s0 :: v_dual_bitop2_b32 v54, v18, v23 bitop3:0x54
	v_cmp_lt_i32_e64 s0, v82, v12
	s_delay_alu instid0(VALU_DEP_1) | instskip(SKIP_1) | instid1(VALU_DEP_1)
	v_cndmask_b32_e64 v48, 0, v48, s0
	v_cmp_lt_i32_e64 s0, v81, v13
	v_cndmask_b32_e64 v19, 0, v19, s0
	v_cmp_lt_i32_e64 s0, v0, v12
	s_delay_alu instid0(VALU_DEP_1) | instskip(NEXT) | instid1(VALU_DEP_1)
	v_dual_cndmask_b32 v6, 0, v6, s0 :: v_dual_bitop2_b32 v53, v49, v19 bitop3:0x54
	v_or_b32_e32 v52, v48, v6
.LBB300_2036:                           ;   in Loop: Header=BB300_1574 Depth=1
	s_or_b32 exec_lo, exec_lo, s9
	;;#ASMSTART
	v_pk_mul_f16 v1, v98, v55;

	;;#ASMEND
	;;#ASMSTART
	v_pk_mul_f16 v6, v97, v54;

	;;#ASMEND
	;; [unrolled: 4-line block ×4, first 2 shown]
	;;#ASMSTART
	v_pk_add_f16 v1, v1, v6;

	;;#ASMEND
	;;#ASMSTART
	v_pk_add_f16 v1, v1, v18;

	;;#ASMEND
	;; [unrolled: 4-line block ×3, first 2 shown]
	v_and_b32_e32 v6, 0xffff, v1
	v_lshrrev_b32_e32 v1, 16, v1
	;;#ASMSTART
	v_cvt_f32_f16 v119, v6;
	;;#ASMEND
	;;#ASMSTART
	v_cvt_f32_f16 v40, v1;
	;;#ASMEND
	flat_load_b64 v[50:51], v[36:37] offset:1792
	scratch_load_b64 v[18:19], off, s32 offset:192 ; 8-byte Folded Reload
	v_mov_b32_e32 v1, 0
	s_mov_b32 s9, exec_lo
	s_wait_loadcnt_dscnt 0x100
	v_and_b32_e32 v6, 0xff, v50
	s_wait_loadcnt 0x0
	flat_load_b32 v48, v[18:19]
	s_wait_xcnt 0x0
	v_mov_b32_e32 v18, 0
	v_cmpx_ne_u16_e32 0, v6
	s_cbranch_execz .LBB300_2044
; %bb.2037:                             ;   in Loop: Header=BB300_1574 Depth=1
	v_mov_b32_e32 v18, 0x8000
	s_mov_b32 s16, exec_lo
	v_cmpx_ne_u16_e32 0x80, v6
	s_cbranch_execz .LBB300_2043
; %bb.2038:                             ;   in Loop: Header=BB300_1574 Depth=1
	v_and_b32_e32 v19, 0x7f, v50
	v_mov_b32_e32 v18, 0x7c01
	s_mov_b32 s17, exec_lo
	s_delay_alu instid0(VALU_DEP_2)
	v_cmpx_ne_u32_e32 0x7f, v19
	s_cbranch_execz .LBB300_2042
; %bb.2039:                             ;   in Loop: Header=BB300_1574 Depth=1
	v_dual_lshrrev_b32 v18, 3, v19 :: v_dual_bitop2_b32 v6, 7, v50 bitop3:0x40
	s_mov_b32 s18, exec_lo
	v_cmpx_gt_u32_e32 8, v19
; %bb.2040:                             ;   in Loop: Header=BB300_1574 Depth=1
	s_delay_alu instid0(VALU_DEP_2) | instskip(NEXT) | instid1(VALU_DEP_1)
	v_clz_i32_u32_e32 v6, v6
	v_min_u32_e32 v6, 32, v6
	s_delay_alu instid0(VALU_DEP_1) | instskip(NEXT) | instid1(VALU_DEP_1)
	v_subrev_nc_u32_e32 v18, 28, v6
	v_lshlrev_b64_e32 v[22:23], v18, v[50:51]
	v_sub_nc_u32_e32 v18, 29, v6
	s_delay_alu instid0(VALU_DEP_2)
	v_and_b32_e32 v6, 7, v22
; %bb.2041:                             ;   in Loop: Header=BB300_1574 Depth=1
	s_or_b32 exec_lo, exec_lo, s18
	v_lshlrev_b32_e32 v19, 8, v50
	s_delay_alu instid0(VALU_DEP_3) | instskip(NEXT) | instid1(VALU_DEP_3)
	v_lshl_add_u32 v18, v18, 10, 0x2000
	v_lshlrev_b32_e32 v6, 7, v6
	s_delay_alu instid0(VALU_DEP_3) | instskip(NEXT) | instid1(VALU_DEP_3)
	v_and_b32_e32 v19, 0x8000, v19
	v_and_b32_e32 v18, 0xfc00, v18
	s_delay_alu instid0(VALU_DEP_1)
	v_or3_b32 v18, v19, v18, v6
.LBB300_2042:                           ;   in Loop: Header=BB300_1574 Depth=1
	s_or_b32 exec_lo, exec_lo, s17
.LBB300_2043:                           ;   in Loop: Header=BB300_1574 Depth=1
	s_delay_alu instid0(SALU_CYCLE_1)
	s_or_b32 exec_lo, exec_lo, s16
.LBB300_2044:                           ;   in Loop: Header=BB300_1574 Depth=1
	s_delay_alu instid0(SALU_CYCLE_1) | instskip(SKIP_2) | instid1(VALU_DEP_1)
	s_or_b32 exec_lo, exec_lo, s9
	v_lshrrev_b16 v6, 8, v50
	s_mov_b32 s9, exec_lo
	v_cmpx_ne_u16_e32 0, v6
	s_cbranch_execz .LBB300_2052
; %bb.2045:                             ;   in Loop: Header=BB300_1574 Depth=1
	v_bfrev_b32_e32 v1, 1
	s_mov_b32 s16, exec_lo
	v_cmpx_ne_u16_e32 0x80, v6
	s_cbranch_execz .LBB300_2051
; %bb.2046:                             ;   in Loop: Header=BB300_1574 Depth=1
	v_and_b32_e32 v19, 0xffff, v6
	v_mov_b32_e32 v1, 0x7c010000
	s_mov_b32 s17, exec_lo
	s_delay_alu instid0(VALU_DEP_2) | instskip(NEXT) | instid1(VALU_DEP_1)
	v_and_b32_e32 v23, 0x7f, v19
	v_cmpx_ne_u32_e32 0x7f, v23
	s_cbranch_execz .LBB300_2050
; %bb.2047:                             ;   in Loop: Header=BB300_1574 Depth=1
	v_and_b32_e32 v1, 7, v19
	v_lshrrev_b32_e32 v22, 3, v23
	s_mov_b32 s18, exec_lo
	v_cmpx_gt_u32_e32 8, v23
; %bb.2048:                             ;   in Loop: Header=BB300_1574 Depth=1
	s_delay_alu instid0(VALU_DEP_3) | instskip(NEXT) | instid1(VALU_DEP_1)
	v_clz_i32_u32_e32 v1, v1
	v_min_u32_e32 v1, 32, v1
	s_delay_alu instid0(VALU_DEP_1) | instskip(NEXT) | instid1(VALU_DEP_1)
	v_subrev_nc_u32_e32 v22, 28, v1
	v_lshlrev_b64_e32 v[52:53], v22, v[6:7]
	s_delay_alu instid0(VALU_DEP_1)
	v_dual_sub_nc_u32 v22, 29, v1 :: v_dual_bitop2_b32 v1, 7, v52 bitop3:0x40
; %bb.2049:                             ;   in Loop: Header=BB300_1574 Depth=1
	s_or_b32 exec_lo, exec_lo, s18
	s_delay_alu instid0(VALU_DEP_1) | instskip(NEXT) | instid1(VALU_DEP_2)
	v_dual_lshlrev_b32 v6, 8, v19 :: v_dual_lshlrev_b32 v1, 23, v1
	v_lshl_add_u32 v19, v22, 10, 0x2000
	s_delay_alu instid0(VALU_DEP_1) | instskip(NEXT) | instid1(VALU_DEP_1)
	v_and_or_b32 v6, 0x8000, v6, v19
	v_lshl_or_b32 v1, v6, 16, v1
.LBB300_2050:                           ;   in Loop: Header=BB300_1574 Depth=1
	s_or_b32 exec_lo, exec_lo, s17
.LBB300_2051:                           ;   in Loop: Header=BB300_1574 Depth=1
	s_delay_alu instid0(SALU_CYCLE_1)
	s_or_b32 exec_lo, exec_lo, s16
.LBB300_2052:                           ;   in Loop: Header=BB300_1574 Depth=1
	s_delay_alu instid0(SALU_CYCLE_1) | instskip(SKIP_3) | instid1(VALU_DEP_2)
	s_or_b32 exec_lo, exec_lo, s9
	v_dual_mov_b32 v19, 0 :: v_dual_lshrrev_b32 v6, 16, v50
	v_mov_b32_e32 v22, 0
	s_mov_b32 s9, exec_lo
	v_and_b32_e32 v23, 0xff, v6
	s_delay_alu instid0(VALU_DEP_1)
	v_cmpx_ne_u16_e32 0, v23
	s_cbranch_execz .LBB300_2060
; %bb.2053:                             ;   in Loop: Header=BB300_1574 Depth=1
	v_mov_b32_e32 v22, 0x8000
	s_mov_b32 s16, exec_lo
	v_cmpx_ne_u16_e32 0x80, v23
	s_cbranch_execz .LBB300_2059
; %bb.2054:                             ;   in Loop: Header=BB300_1574 Depth=1
	v_bfe_u32 v49, v50, 16, 7
	v_mov_b32_e32 v22, 0x7c01
	s_mov_b32 s17, exec_lo
	s_delay_alu instid0(VALU_DEP_2)
	v_cmpx_ne_u32_e32 0x7f, v49
	s_cbranch_execz .LBB300_2058
; %bb.2055:                             ;   in Loop: Header=BB300_1574 Depth=1
	v_dual_lshrrev_b32 v23, 3, v49 :: v_dual_bitop2_b32 v22, 7, v6 bitop3:0x40
	s_mov_b32 s18, exec_lo
	v_cmpx_gt_u32_e32 8, v49
; %bb.2056:                             ;   in Loop: Header=BB300_1574 Depth=1
	s_delay_alu instid0(VALU_DEP_2) | instskip(NEXT) | instid1(VALU_DEP_1)
	v_clz_i32_u32_e32 v22, v22
	v_min_u32_e32 v49, 32, v22
	s_delay_alu instid0(VALU_DEP_1) | instskip(NEXT) | instid1(VALU_DEP_1)
	v_subrev_nc_u32_e32 v22, 28, v49
	v_lshlrev_b64_e32 v[22:23], v22, v[6:7]
	s_delay_alu instid0(VALU_DEP_1)
	v_dual_sub_nc_u32 v23, 29, v49 :: v_dual_bitop2_b32 v22, 7, v22 bitop3:0x40
; %bb.2057:                             ;   in Loop: Header=BB300_1574 Depth=1
	s_or_b32 exec_lo, exec_lo, s18
	v_lshlrev_b32_e32 v6, 8, v6
	s_delay_alu instid0(VALU_DEP_2) | instskip(NEXT) | instid1(VALU_DEP_3)
	v_lshl_add_u32 v23, v23, 10, 0x2000
	v_lshlrev_b32_e32 v22, 7, v22
	s_delay_alu instid0(VALU_DEP_3) | instskip(NEXT) | instid1(VALU_DEP_3)
	v_and_b32_e32 v6, 0x8000, v6
	v_and_b32_e32 v23, 0xfc00, v23
	s_delay_alu instid0(VALU_DEP_1)
	v_or3_b32 v22, v6, v23, v22
.LBB300_2058:                           ;   in Loop: Header=BB300_1574 Depth=1
	s_or_b32 exec_lo, exec_lo, s17
.LBB300_2059:                           ;   in Loop: Header=BB300_1574 Depth=1
	s_delay_alu instid0(SALU_CYCLE_1)
	s_or_b32 exec_lo, exec_lo, s16
.LBB300_2060:                           ;   in Loop: Header=BB300_1574 Depth=1
	s_delay_alu instid0(SALU_CYCLE_1) | instskip(NEXT) | instid1(SALU_CYCLE_1)
	s_or_b32 exec_lo, exec_lo, s9
	s_mov_b32 s9, exec_lo
	v_cmpx_lt_u32_e32 0xffffff, v50
	s_cbranch_execz .LBB300_2068
; %bb.2061:                             ;   in Loop: Header=BB300_1574 Depth=1
	v_lshrrev_b32_e32 v6, 24, v50
	v_bfrev_b32_e32 v19, 1
	s_mov_b32 s16, exec_lo
	s_delay_alu instid0(VALU_DEP_2)
	v_cmpx_ne_u32_e32 0x80, v6
	s_cbranch_execz .LBB300_2067
; %bb.2062:                             ;   in Loop: Header=BB300_1574 Depth=1
	v_and_b32_e32 v49, 0x7f, v6
	v_mov_b32_e32 v19, 0x7c010000
	s_mov_b32 s17, exec_lo
	s_delay_alu instid0(VALU_DEP_2)
	v_cmpx_ne_u32_e32 0x7f, v49
	s_cbranch_execz .LBB300_2066
; %bb.2063:                             ;   in Loop: Header=BB300_1574 Depth=1
	v_dual_lshrrev_b32 v23, 3, v49 :: v_dual_bitop2_b32 v19, 7, v6 bitop3:0x40
	s_mov_b32 s18, exec_lo
	v_cmpx_gt_u32_e32 8, v49
; %bb.2064:                             ;   in Loop: Header=BB300_1574 Depth=1
	s_delay_alu instid0(VALU_DEP_2) | instskip(NEXT) | instid1(VALU_DEP_1)
	v_clz_i32_u32_e32 v19, v19
	v_min_u32_e32 v19, 32, v19
	s_delay_alu instid0(VALU_DEP_1) | instskip(NEXT) | instid1(VALU_DEP_1)
	v_subrev_nc_u32_e32 v23, 28, v19
	v_lshlrev_b64_e32 v[52:53], v23, v[6:7]
	s_delay_alu instid0(VALU_DEP_1)
	v_dual_sub_nc_u32 v23, 29, v19 :: v_dual_bitop2_b32 v19, 7, v52 bitop3:0x40
; %bb.2065:                             ;   in Loop: Header=BB300_1574 Depth=1
	s_or_b32 exec_lo, exec_lo, s18
	s_delay_alu instid0(VALU_DEP_1) | instskip(NEXT) | instid1(VALU_DEP_2)
	v_dual_lshlrev_b32 v6, 8, v6 :: v_dual_lshlrev_b32 v19, 23, v19
	v_lshl_add_u32 v23, v23, 10, 0x2000
	s_delay_alu instid0(VALU_DEP_1) | instskip(NEXT) | instid1(VALU_DEP_1)
	v_and_or_b32 v6, 0x8000, v6, v23
	v_lshl_or_b32 v19, v6, 16, v19
.LBB300_2066:                           ;   in Loop: Header=BB300_1574 Depth=1
	s_or_b32 exec_lo, exec_lo, s17
.LBB300_2067:                           ;   in Loop: Header=BB300_1574 Depth=1
	s_delay_alu instid0(SALU_CYCLE_1)
	s_or_b32 exec_lo, exec_lo, s16
.LBB300_2068:                           ;   in Loop: Header=BB300_1574 Depth=1
	s_delay_alu instid0(SALU_CYCLE_1) | instskip(SKIP_4) | instid1(VALU_DEP_3)
	s_or_b32 exec_lo, exec_lo, s9
	v_and_b32_e32 v52, 0xff, v51
	v_dual_mov_b32 v6, v51 :: v_dual_mov_b32 v49, 0
	v_mov_b32_e32 v23, 0
	s_mov_b32 s9, exec_lo
	v_cmpx_ne_u16_e32 0, v52
	s_cbranch_execz .LBB300_2076
; %bb.2069:                             ;   in Loop: Header=BB300_1574 Depth=1
	v_mov_b32_e32 v23, 0x8000
	s_mov_b32 s16, exec_lo
	v_cmpx_ne_u16_e32 0x80, v52
	s_cbranch_execz .LBB300_2075
; %bb.2070:                             ;   in Loop: Header=BB300_1574 Depth=1
	v_and_b32_e32 v53, 0x7f, v51
	v_mov_b32_e32 v23, 0x7c01
	s_mov_b32 s17, exec_lo
	s_delay_alu instid0(VALU_DEP_2)
	v_cmpx_ne_u32_e32 0x7f, v53
	s_cbranch_execz .LBB300_2074
; %bb.2071:                             ;   in Loop: Header=BB300_1574 Depth=1
	v_dual_lshrrev_b32 v52, 3, v53 :: v_dual_bitop2_b32 v23, 7, v51 bitop3:0x40
	s_mov_b32 s18, exec_lo
	v_cmpx_gt_u32_e32 8, v53
; %bb.2072:                             ;   in Loop: Header=BB300_1574 Depth=1
	s_delay_alu instid0(VALU_DEP_2) | instskip(NEXT) | instid1(VALU_DEP_1)
	v_clz_i32_u32_e32 v23, v23
	v_min_u32_e32 v23, 32, v23
	s_delay_alu instid0(VALU_DEP_1) | instskip(NEXT) | instid1(VALU_DEP_1)
	v_subrev_nc_u32_e32 v52, 28, v23
	v_lshlrev_b64_e32 v[54:55], v52, v[6:7]
	s_delay_alu instid0(VALU_DEP_1)
	v_dual_sub_nc_u32 v52, 29, v23 :: v_dual_bitop2_b32 v23, 7, v54 bitop3:0x40
; %bb.2073:                             ;   in Loop: Header=BB300_1574 Depth=1
	s_or_b32 exec_lo, exec_lo, s18
	v_lshlrev_b32_e32 v53, 8, v51
	s_delay_alu instid0(VALU_DEP_2) | instskip(NEXT) | instid1(VALU_DEP_3)
	v_lshl_add_u32 v52, v52, 10, 0x2000
	v_lshlrev_b32_e32 v23, 7, v23
	s_delay_alu instid0(VALU_DEP_3) | instskip(NEXT) | instid1(VALU_DEP_3)
	v_and_b32_e32 v53, 0x8000, v53
	v_and_b32_e32 v52, 0xfc00, v52
	s_delay_alu instid0(VALU_DEP_1)
	v_or3_b32 v23, v53, v52, v23
.LBB300_2074:                           ;   in Loop: Header=BB300_1574 Depth=1
	s_or_b32 exec_lo, exec_lo, s17
.LBB300_2075:                           ;   in Loop: Header=BB300_1574 Depth=1
	s_delay_alu instid0(SALU_CYCLE_1)
	s_or_b32 exec_lo, exec_lo, s16
.LBB300_2076:                           ;   in Loop: Header=BB300_1574 Depth=1
	s_delay_alu instid0(SALU_CYCLE_1) | instskip(SKIP_3) | instid1(VALU_DEP_2)
	s_or_b32 exec_lo, exec_lo, s9
	v_lshrrev_b16 v6, 8, v6
	v_mov_b32_e32 v52, 0
	s_mov_b32 s9, exec_lo
	v_cmpx_ne_u16_e32 0, v6
	s_cbranch_execz .LBB300_2084
; %bb.2077:                             ;   in Loop: Header=BB300_1574 Depth=1
	v_bfrev_b32_e32 v52, 1
	s_mov_b32 s16, exec_lo
	v_cmpx_ne_u16_e32 0x80, v6
	s_cbranch_execz .LBB300_2083
; %bb.2078:                             ;   in Loop: Header=BB300_1574 Depth=1
	v_and_b32_e32 v53, 0xffff, v6
	v_mov_b32_e32 v52, 0x7c010000
	s_mov_b32 s17, exec_lo
	s_delay_alu instid0(VALU_DEP_2) | instskip(NEXT) | instid1(VALU_DEP_1)
	v_and_b32_e32 v55, 0x7f, v53
	v_cmpx_ne_u32_e32 0x7f, v55
	s_cbranch_execz .LBB300_2082
; %bb.2079:                             ;   in Loop: Header=BB300_1574 Depth=1
	v_dual_lshrrev_b32 v54, 3, v55 :: v_dual_bitop2_b32 v52, 7, v53 bitop3:0x40
	s_mov_b32 s18, exec_lo
	v_cmpx_gt_u32_e32 8, v55
; %bb.2080:                             ;   in Loop: Header=BB300_1574 Depth=1
	s_delay_alu instid0(VALU_DEP_2) | instskip(NEXT) | instid1(VALU_DEP_1)
	v_clz_i32_u32_e32 v52, v52
	v_min_u32_e32 v52, 32, v52
	s_delay_alu instid0(VALU_DEP_1) | instskip(NEXT) | instid1(VALU_DEP_1)
	v_subrev_nc_u32_e32 v54, 28, v52
	v_lshlrev_b64_e32 v[64:65], v54, v[6:7]
	v_sub_nc_u32_e32 v54, 29, v52
	s_delay_alu instid0(VALU_DEP_2)
	v_and_b32_e32 v52, 7, v64
; %bb.2081:                             ;   in Loop: Header=BB300_1574 Depth=1
	s_or_b32 exec_lo, exec_lo, s18
	s_delay_alu instid0(VALU_DEP_1) | instskip(NEXT) | instid1(VALU_DEP_3)
	v_dual_lshlrev_b32 v6, 8, v53 :: v_dual_lshlrev_b32 v52, 23, v52
	v_lshl_add_u32 v53, v54, 10, 0x2000
	s_delay_alu instid0(VALU_DEP_1) | instskip(NEXT) | instid1(VALU_DEP_1)
	v_and_or_b32 v6, 0x8000, v6, v53
	v_lshl_or_b32 v52, v6, 16, v52
.LBB300_2082:                           ;   in Loop: Header=BB300_1574 Depth=1
	s_or_b32 exec_lo, exec_lo, s17
.LBB300_2083:                           ;   in Loop: Header=BB300_1574 Depth=1
	s_delay_alu instid0(SALU_CYCLE_1)
	s_or_b32 exec_lo, exec_lo, s16
.LBB300_2084:                           ;   in Loop: Header=BB300_1574 Depth=1
	s_delay_alu instid0(SALU_CYCLE_1) | instskip(SKIP_2) | instid1(VALU_DEP_1)
	s_or_b32 exec_lo, exec_lo, s9
	v_lshrrev_b32_e32 v6, 16, v51
	s_mov_b32 s9, exec_lo
	v_and_b32_e32 v53, 0xff, v6
	s_delay_alu instid0(VALU_DEP_1)
	v_cmpx_ne_u16_e32 0, v53
	s_cbranch_execz .LBB300_2092
; %bb.2085:                             ;   in Loop: Header=BB300_1574 Depth=1
	v_mov_b32_e32 v49, 0x8000
	s_mov_b32 s16, exec_lo
	v_cmpx_ne_u16_e32 0x80, v53
	s_cbranch_execz .LBB300_2091
; %bb.2086:                             ;   in Loop: Header=BB300_1574 Depth=1
	v_bfe_u32 v54, v51, 16, 7
	v_mov_b32_e32 v49, 0x7c01
	s_mov_b32 s17, exec_lo
	s_delay_alu instid0(VALU_DEP_2)
	v_cmpx_ne_u32_e32 0x7f, v54
	s_cbranch_execz .LBB300_2090
; %bb.2087:                             ;   in Loop: Header=BB300_1574 Depth=1
	v_and_b32_e32 v49, 7, v6
	v_lshrrev_b32_e32 v53, 3, v54
	s_mov_b32 s18, exec_lo
	v_cmpx_gt_u32_e32 8, v54
; %bb.2088:                             ;   in Loop: Header=BB300_1574 Depth=1
	s_delay_alu instid0(VALU_DEP_3) | instskip(NEXT) | instid1(VALU_DEP_1)
	v_clz_i32_u32_e32 v49, v49
	v_min_u32_e32 v49, 32, v49
	s_delay_alu instid0(VALU_DEP_1) | instskip(NEXT) | instid1(VALU_DEP_1)
	v_subrev_nc_u32_e32 v53, 28, v49
	v_lshlrev_b64_e32 v[54:55], v53, v[6:7]
	s_delay_alu instid0(VALU_DEP_1)
	v_dual_sub_nc_u32 v53, 29, v49 :: v_dual_bitop2_b32 v49, 7, v54 bitop3:0x40
; %bb.2089:                             ;   in Loop: Header=BB300_1574 Depth=1
	s_or_b32 exec_lo, exec_lo, s18
	s_delay_alu instid0(VALU_DEP_1) | instskip(NEXT) | instid1(VALU_DEP_2)
	v_dual_lshlrev_b32 v6, 8, v6 :: v_dual_lshlrev_b32 v49, 7, v49
	v_lshl_add_u32 v53, v53, 10, 0x2000
	s_delay_alu instid0(VALU_DEP_2) | instskip(NEXT) | instid1(VALU_DEP_2)
	v_and_b32_e32 v6, 0x8000, v6
	v_and_b32_e32 v53, 0xfc00, v53
	s_delay_alu instid0(VALU_DEP_1)
	v_or3_b32 v49, v6, v53, v49
.LBB300_2090:                           ;   in Loop: Header=BB300_1574 Depth=1
	s_or_b32 exec_lo, exec_lo, s17
.LBB300_2091:                           ;   in Loop: Header=BB300_1574 Depth=1
	s_delay_alu instid0(SALU_CYCLE_1)
	s_or_b32 exec_lo, exec_lo, s16
.LBB300_2092:                           ;   in Loop: Header=BB300_1574 Depth=1
	s_delay_alu instid0(SALU_CYCLE_1)
	s_or_b32 exec_lo, exec_lo, s9
	v_cmp_lt_u64_e64 s0, s[2:3], v[50:51]
	v_mov_b32_e32 v50, 0
	s_and_saveexec_b32 s9, s0
	s_cbranch_execz .LBB300_2100
; %bb.2093:                             ;   in Loop: Header=BB300_1574 Depth=1
	v_lshrrev_b32_e32 v6, 24, v51
	v_bfrev_b32_e32 v50, 1
	s_mov_b32 s16, exec_lo
	s_delay_alu instid0(VALU_DEP_2)
	v_cmpx_ne_u32_e32 0x80, v6
	s_cbranch_execz .LBB300_2099
; %bb.2094:                             ;   in Loop: Header=BB300_1574 Depth=1
	v_and_b32_e32 v53, 0x7f, v6
	v_mov_b32_e32 v50, 0x7c010000
	s_mov_b32 s17, exec_lo
	s_delay_alu instid0(VALU_DEP_2)
	v_cmpx_ne_u32_e32 0x7f, v53
	s_cbranch_execz .LBB300_2098
; %bb.2095:                             ;   in Loop: Header=BB300_1574 Depth=1
	v_dual_lshrrev_b32 v51, 3, v53 :: v_dual_bitop2_b32 v50, 7, v6 bitop3:0x40
	s_mov_b32 s18, exec_lo
	v_cmpx_gt_u32_e32 8, v53
; %bb.2096:                             ;   in Loop: Header=BB300_1574 Depth=1
	s_delay_alu instid0(VALU_DEP_2) | instskip(NEXT) | instid1(VALU_DEP_1)
	v_clz_i32_u32_e32 v50, v50
	v_min_u32_e32 v53, 32, v50
	s_delay_alu instid0(VALU_DEP_1) | instskip(NEXT) | instid1(VALU_DEP_1)
	v_subrev_nc_u32_e32 v50, 28, v53
	v_lshlrev_b64_e32 v[50:51], v50, v[6:7]
	s_delay_alu instid0(VALU_DEP_1)
	v_dual_sub_nc_u32 v51, 29, v53 :: v_dual_bitop2_b32 v50, 7, v50 bitop3:0x40
; %bb.2097:                             ;   in Loop: Header=BB300_1574 Depth=1
	s_or_b32 exec_lo, exec_lo, s18
	v_lshlrev_b32_e32 v6, 8, v6
	s_delay_alu instid0(VALU_DEP_2) | instskip(NEXT) | instid1(VALU_DEP_3)
	v_lshl_add_u32 v51, v51, 10, 0x2000
	v_lshlrev_b32_e32 v50, 23, v50
	s_delay_alu instid0(VALU_DEP_2) | instskip(NEXT) | instid1(VALU_DEP_1)
	v_and_or_b32 v6, 0x8000, v6, v51
	v_lshl_or_b32 v50, v6, 16, v50
.LBB300_2098:                           ;   in Loop: Header=BB300_1574 Depth=1
	s_or_b32 exec_lo, exec_lo, s17
.LBB300_2099:                           ;   in Loop: Header=BB300_1574 Depth=1
	s_delay_alu instid0(SALU_CYCLE_1)
	s_or_b32 exec_lo, exec_lo, s16
.LBB300_2100:                           ;   in Loop: Header=BB300_1574 Depth=1
	s_delay_alu instid0(SALU_CYCLE_1) | instskip(SKIP_4) | instid1(VALU_DEP_4)
	s_or_b32 exec_lo, exec_lo, s9
	v_dual_lshrrev_b32 v6, 16, v1 :: v_dual_lshrrev_b32 v51, 16, v19
	v_or_b32_e32 v1, v1, v18
	v_or_b32_e32 v22, v19, v22
	;; [unrolled: 1-line block ×3, first 2 shown]
	v_cvt_f32_f16_e32 v19, v6
	v_cvt_f32_f16_e32 v18, v51
	v_dual_lshrrev_b32 v50, 16, v50 :: v_dual_bitop2_b32 v6, v50, v49 bitop3:0x54
	v_lshrrev_b32_e32 v49, 16, v52
	v_cvt_f32_f16_e32 v23, v1
	s_delay_alu instid0(VALU_DEP_3) | instskip(NEXT) | instid1(VALU_DEP_4)
	v_cvt_f32_f16_e32 v52, v6
	v_cvt_f32_f16_e32 v50, v50
	s_wait_loadcnt_dscnt 0x0
	v_pk_mul_f32 v[18:19], v[48:49], v[18:19] op_sel_hi:[0,1]
	v_cvt_f32_f16_e32 v51, v49
	s_delay_alu instid0(VALU_DEP_2) | instskip(NEXT) | instid1(VALU_DEP_2)
	v_cvt_pk_f16_f32 v1, v18, v19
	v_pk_mul_f32 v[18:19], v[48:49], v[50:51] op_sel_hi:[0,1]
	s_delay_alu instid0(VALU_DEP_2) | instskip(SKIP_2) | instid1(VALU_DEP_4)
	v_lshlrev_b32_e32 v50, 16, v1
	v_cvt_f32_f16_e32 v22, v22
	v_and_b32_e32 v51, 0xffff0000, v1
	v_cvt_pk_f16_f32 v18, v18, v19
	s_delay_alu instid0(VALU_DEP_3) | instskip(NEXT) | instid1(VALU_DEP_2)
	v_pk_mul_f32 v[22:23], v[48:49], v[22:23] op_sel_hi:[0,1]
	v_and_b32_e32 v19, 0xffff0000, v18
	s_delay_alu instid0(VALU_DEP_2) | instskip(NEXT) | instid1(VALU_DEP_1)
	v_cvt_pk_f16_f32 v6, v22, v23
	v_lshrrev_b32_e32 v65, 16, v6
	v_cvt_f32_f16_e32 v53, v53
	v_and_b32_e32 v64, 0xffff, v6
	s_delay_alu instid0(VALU_DEP_3) | instskip(NEXT) | instid1(VALU_DEP_3)
	v_or_b32_e32 v55, v51, v65
	v_pk_mul_f32 v[48:49], v[48:49], v[52:53] op_sel_hi:[0,1]
	s_delay_alu instid0(VALU_DEP_3) | instskip(NEXT) | instid1(VALU_DEP_2)
	v_or_b32_e32 v54, v50, v64
	v_cvt_pk_f16_f32 v1, v48, v49
	s_delay_alu instid0(VALU_DEP_1) | instskip(SKIP_1) | instid1(VALU_DEP_2)
	v_dual_lshlrev_b32 v6, 16, v18 :: v_dual_lshrrev_b32 v49, 16, v1
	v_and_b32_e32 v48, 0xffff, v1
	v_or_b32_e32 v53, v19, v49
	s_delay_alu instid0(VALU_DEP_2)
	v_or_b32_e32 v52, v6, v48
	s_and_saveexec_b32 s9, vcc_lo
	s_cbranch_execz .LBB300_2102
; %bb.2101:                             ;   in Loop: Header=BB300_1574 Depth=1
	v_cmp_lt_i32_e64 s0, v70, v13
	s_delay_alu instid0(VALU_DEP_1) | instskip(SKIP_1) | instid1(VALU_DEP_1)
	v_cndmask_b32_e64 v1, 0, v65, s0
	v_cmp_lt_i32_e64 s0, v86, v12
	v_cndmask_b32_e64 v18, 0, v64, s0
	v_cmp_lt_i32_e64 s0, v85, v13
	s_delay_alu instid0(VALU_DEP_1) | instskip(SKIP_1) | instid1(VALU_DEP_1)
	v_cndmask_b32_e64 v22, 0, v51, s0
	v_cmp_lt_i32_e64 s0, v84, v12
	v_cndmask_b32_e64 v23, 0, v50, s0
	v_cmp_lt_i32_e64 s0, v83, v13
	s_delay_alu instid0(VALU_DEP_4) | instskip(NEXT) | instid1(VALU_DEP_2)
	v_or_b32_e32 v55, v1, v22
	v_dual_cndmask_b32 v49, 0, v49, s0 :: v_dual_bitop2_b32 v54, v18, v23 bitop3:0x54
	v_cmp_lt_i32_e64 s0, v82, v12
	s_delay_alu instid0(VALU_DEP_1) | instskip(SKIP_1) | instid1(VALU_DEP_1)
	v_cndmask_b32_e64 v48, 0, v48, s0
	v_cmp_lt_i32_e64 s0, v81, v13
	v_cndmask_b32_e64 v19, 0, v19, s0
	v_cmp_lt_i32_e64 s0, v0, v12
	s_delay_alu instid0(VALU_DEP_1) | instskip(NEXT) | instid1(VALU_DEP_1)
	v_dual_cndmask_b32 v6, 0, v6, s0 :: v_dual_bitop2_b32 v53, v49, v19 bitop3:0x54
	v_or_b32_e32 v52, v48, v6
.LBB300_2102:                           ;   in Loop: Header=BB300_1574 Depth=1
	s_or_b32 exec_lo, exec_lo, s9
	;;#ASMSTART
	v_pk_mul_f16 v1, v98, v55;

	;;#ASMEND
	;;#ASMSTART
	v_pk_mul_f16 v6, v97, v54;

	;;#ASMEND
	;; [unrolled: 4-line block ×4, first 2 shown]
	;;#ASMSTART
	v_pk_add_f16 v1, v1, v6;

	;;#ASMEND
	;;#ASMSTART
	v_pk_add_f16 v1, v1, v18;

	;;#ASMEND
	;; [unrolled: 4-line block ×3, first 2 shown]
	v_and_b32_e32 v6, 0xffff, v1
	v_lshrrev_b32_e32 v1, 16, v1
	;;#ASMSTART
	v_cvt_f32_f16 v41, v6;
	;;#ASMEND
	;;#ASMSTART
	v_cvt_f32_f16 v42, v1;
	;;#ASMEND
	flat_load_b64 v[50:51], v[36:37] offset:2048
	scratch_load_b64 v[18:19], off, s32 offset:192 ; 8-byte Folded Reload
	v_mov_b32_e32 v1, 0
	s_mov_b32 s9, exec_lo
	s_wait_loadcnt_dscnt 0x100
	v_and_b32_e32 v6, 0xff, v50
	s_wait_loadcnt 0x0
	flat_load_b32 v48, v[18:19]
	s_wait_xcnt 0x0
	v_mov_b32_e32 v18, 0
	v_cmpx_ne_u16_e32 0, v6
	s_cbranch_execz .LBB300_2110
; %bb.2103:                             ;   in Loop: Header=BB300_1574 Depth=1
	v_mov_b32_e32 v18, 0x8000
	s_mov_b32 s16, exec_lo
	v_cmpx_ne_u16_e32 0x80, v6
	s_cbranch_execz .LBB300_2109
; %bb.2104:                             ;   in Loop: Header=BB300_1574 Depth=1
	v_and_b32_e32 v19, 0x7f, v50
	v_mov_b32_e32 v18, 0x7c01
	s_mov_b32 s17, exec_lo
	s_delay_alu instid0(VALU_DEP_2)
	v_cmpx_ne_u32_e32 0x7f, v19
	s_cbranch_execz .LBB300_2108
; %bb.2105:                             ;   in Loop: Header=BB300_1574 Depth=1
	v_dual_lshrrev_b32 v18, 3, v19 :: v_dual_bitop2_b32 v6, 7, v50 bitop3:0x40
	s_mov_b32 s18, exec_lo
	v_cmpx_gt_u32_e32 8, v19
; %bb.2106:                             ;   in Loop: Header=BB300_1574 Depth=1
	s_delay_alu instid0(VALU_DEP_2) | instskip(NEXT) | instid1(VALU_DEP_1)
	v_clz_i32_u32_e32 v6, v6
	v_min_u32_e32 v6, 32, v6
	s_delay_alu instid0(VALU_DEP_1) | instskip(NEXT) | instid1(VALU_DEP_1)
	v_subrev_nc_u32_e32 v18, 28, v6
	v_lshlrev_b64_e32 v[22:23], v18, v[50:51]
	v_sub_nc_u32_e32 v18, 29, v6
	s_delay_alu instid0(VALU_DEP_2)
	v_and_b32_e32 v6, 7, v22
; %bb.2107:                             ;   in Loop: Header=BB300_1574 Depth=1
	s_or_b32 exec_lo, exec_lo, s18
	v_lshlrev_b32_e32 v19, 8, v50
	s_delay_alu instid0(VALU_DEP_3) | instskip(NEXT) | instid1(VALU_DEP_3)
	v_lshl_add_u32 v18, v18, 10, 0x2000
	v_lshlrev_b32_e32 v6, 7, v6
	s_delay_alu instid0(VALU_DEP_3) | instskip(NEXT) | instid1(VALU_DEP_3)
	v_and_b32_e32 v19, 0x8000, v19
	v_and_b32_e32 v18, 0xfc00, v18
	s_delay_alu instid0(VALU_DEP_1)
	v_or3_b32 v18, v19, v18, v6
.LBB300_2108:                           ;   in Loop: Header=BB300_1574 Depth=1
	s_or_b32 exec_lo, exec_lo, s17
.LBB300_2109:                           ;   in Loop: Header=BB300_1574 Depth=1
	s_delay_alu instid0(SALU_CYCLE_1)
	s_or_b32 exec_lo, exec_lo, s16
.LBB300_2110:                           ;   in Loop: Header=BB300_1574 Depth=1
	s_delay_alu instid0(SALU_CYCLE_1) | instskip(SKIP_2) | instid1(VALU_DEP_1)
	s_or_b32 exec_lo, exec_lo, s9
	v_lshrrev_b16 v6, 8, v50
	s_mov_b32 s9, exec_lo
	v_cmpx_ne_u16_e32 0, v6
	s_cbranch_execz .LBB300_2118
; %bb.2111:                             ;   in Loop: Header=BB300_1574 Depth=1
	v_bfrev_b32_e32 v1, 1
	s_mov_b32 s16, exec_lo
	v_cmpx_ne_u16_e32 0x80, v6
	s_cbranch_execz .LBB300_2117
; %bb.2112:                             ;   in Loop: Header=BB300_1574 Depth=1
	v_and_b32_e32 v19, 0xffff, v6
	v_mov_b32_e32 v1, 0x7c010000
	s_mov_b32 s17, exec_lo
	s_delay_alu instid0(VALU_DEP_2) | instskip(NEXT) | instid1(VALU_DEP_1)
	v_and_b32_e32 v23, 0x7f, v19
	v_cmpx_ne_u32_e32 0x7f, v23
	s_cbranch_execz .LBB300_2116
; %bb.2113:                             ;   in Loop: Header=BB300_1574 Depth=1
	v_and_b32_e32 v1, 7, v19
	v_lshrrev_b32_e32 v22, 3, v23
	s_mov_b32 s18, exec_lo
	v_cmpx_gt_u32_e32 8, v23
; %bb.2114:                             ;   in Loop: Header=BB300_1574 Depth=1
	s_delay_alu instid0(VALU_DEP_3) | instskip(NEXT) | instid1(VALU_DEP_1)
	v_clz_i32_u32_e32 v1, v1
	v_min_u32_e32 v1, 32, v1
	s_delay_alu instid0(VALU_DEP_1) | instskip(NEXT) | instid1(VALU_DEP_1)
	v_subrev_nc_u32_e32 v22, 28, v1
	v_lshlrev_b64_e32 v[52:53], v22, v[6:7]
	s_delay_alu instid0(VALU_DEP_1)
	v_dual_sub_nc_u32 v22, 29, v1 :: v_dual_bitop2_b32 v1, 7, v52 bitop3:0x40
; %bb.2115:                             ;   in Loop: Header=BB300_1574 Depth=1
	s_or_b32 exec_lo, exec_lo, s18
	s_delay_alu instid0(VALU_DEP_1) | instskip(NEXT) | instid1(VALU_DEP_2)
	v_dual_lshlrev_b32 v6, 8, v19 :: v_dual_lshlrev_b32 v1, 23, v1
	v_lshl_add_u32 v19, v22, 10, 0x2000
	s_delay_alu instid0(VALU_DEP_1) | instskip(NEXT) | instid1(VALU_DEP_1)
	v_and_or_b32 v6, 0x8000, v6, v19
	v_lshl_or_b32 v1, v6, 16, v1
.LBB300_2116:                           ;   in Loop: Header=BB300_1574 Depth=1
	s_or_b32 exec_lo, exec_lo, s17
.LBB300_2117:                           ;   in Loop: Header=BB300_1574 Depth=1
	s_delay_alu instid0(SALU_CYCLE_1)
	s_or_b32 exec_lo, exec_lo, s16
.LBB300_2118:                           ;   in Loop: Header=BB300_1574 Depth=1
	s_delay_alu instid0(SALU_CYCLE_1) | instskip(SKIP_3) | instid1(VALU_DEP_2)
	s_or_b32 exec_lo, exec_lo, s9
	v_dual_mov_b32 v19, 0 :: v_dual_lshrrev_b32 v6, 16, v50
	v_mov_b32_e32 v22, 0
	s_mov_b32 s9, exec_lo
	v_and_b32_e32 v23, 0xff, v6
	s_delay_alu instid0(VALU_DEP_1)
	v_cmpx_ne_u16_e32 0, v23
	s_cbranch_execz .LBB300_2126
; %bb.2119:                             ;   in Loop: Header=BB300_1574 Depth=1
	v_mov_b32_e32 v22, 0x8000
	s_mov_b32 s16, exec_lo
	v_cmpx_ne_u16_e32 0x80, v23
	s_cbranch_execz .LBB300_2125
; %bb.2120:                             ;   in Loop: Header=BB300_1574 Depth=1
	v_bfe_u32 v49, v50, 16, 7
	v_mov_b32_e32 v22, 0x7c01
	s_mov_b32 s17, exec_lo
	s_delay_alu instid0(VALU_DEP_2)
	v_cmpx_ne_u32_e32 0x7f, v49
	s_cbranch_execz .LBB300_2124
; %bb.2121:                             ;   in Loop: Header=BB300_1574 Depth=1
	v_dual_lshrrev_b32 v23, 3, v49 :: v_dual_bitop2_b32 v22, 7, v6 bitop3:0x40
	s_mov_b32 s18, exec_lo
	v_cmpx_gt_u32_e32 8, v49
; %bb.2122:                             ;   in Loop: Header=BB300_1574 Depth=1
	s_delay_alu instid0(VALU_DEP_2) | instskip(NEXT) | instid1(VALU_DEP_1)
	v_clz_i32_u32_e32 v22, v22
	v_min_u32_e32 v49, 32, v22
	s_delay_alu instid0(VALU_DEP_1) | instskip(NEXT) | instid1(VALU_DEP_1)
	v_subrev_nc_u32_e32 v22, 28, v49
	v_lshlrev_b64_e32 v[22:23], v22, v[6:7]
	s_delay_alu instid0(VALU_DEP_1)
	v_dual_sub_nc_u32 v23, 29, v49 :: v_dual_bitop2_b32 v22, 7, v22 bitop3:0x40
; %bb.2123:                             ;   in Loop: Header=BB300_1574 Depth=1
	s_or_b32 exec_lo, exec_lo, s18
	v_lshlrev_b32_e32 v6, 8, v6
	s_delay_alu instid0(VALU_DEP_2) | instskip(NEXT) | instid1(VALU_DEP_3)
	v_lshl_add_u32 v23, v23, 10, 0x2000
	v_lshlrev_b32_e32 v22, 7, v22
	s_delay_alu instid0(VALU_DEP_3) | instskip(NEXT) | instid1(VALU_DEP_3)
	v_and_b32_e32 v6, 0x8000, v6
	v_and_b32_e32 v23, 0xfc00, v23
	s_delay_alu instid0(VALU_DEP_1)
	v_or3_b32 v22, v6, v23, v22
.LBB300_2124:                           ;   in Loop: Header=BB300_1574 Depth=1
	s_or_b32 exec_lo, exec_lo, s17
.LBB300_2125:                           ;   in Loop: Header=BB300_1574 Depth=1
	s_delay_alu instid0(SALU_CYCLE_1)
	s_or_b32 exec_lo, exec_lo, s16
.LBB300_2126:                           ;   in Loop: Header=BB300_1574 Depth=1
	s_delay_alu instid0(SALU_CYCLE_1) | instskip(NEXT) | instid1(SALU_CYCLE_1)
	s_or_b32 exec_lo, exec_lo, s9
	s_mov_b32 s9, exec_lo
	v_cmpx_lt_u32_e32 0xffffff, v50
	s_cbranch_execz .LBB300_2134
; %bb.2127:                             ;   in Loop: Header=BB300_1574 Depth=1
	v_lshrrev_b32_e32 v6, 24, v50
	v_bfrev_b32_e32 v19, 1
	s_mov_b32 s16, exec_lo
	s_delay_alu instid0(VALU_DEP_2)
	v_cmpx_ne_u32_e32 0x80, v6
	s_cbranch_execz .LBB300_2133
; %bb.2128:                             ;   in Loop: Header=BB300_1574 Depth=1
	v_and_b32_e32 v49, 0x7f, v6
	v_mov_b32_e32 v19, 0x7c010000
	s_mov_b32 s17, exec_lo
	s_delay_alu instid0(VALU_DEP_2)
	v_cmpx_ne_u32_e32 0x7f, v49
	s_cbranch_execz .LBB300_2132
; %bb.2129:                             ;   in Loop: Header=BB300_1574 Depth=1
	v_dual_lshrrev_b32 v23, 3, v49 :: v_dual_bitop2_b32 v19, 7, v6 bitop3:0x40
	s_mov_b32 s18, exec_lo
	v_cmpx_gt_u32_e32 8, v49
; %bb.2130:                             ;   in Loop: Header=BB300_1574 Depth=1
	s_delay_alu instid0(VALU_DEP_2) | instskip(NEXT) | instid1(VALU_DEP_1)
	v_clz_i32_u32_e32 v19, v19
	v_min_u32_e32 v19, 32, v19
	s_delay_alu instid0(VALU_DEP_1) | instskip(NEXT) | instid1(VALU_DEP_1)
	v_subrev_nc_u32_e32 v23, 28, v19
	v_lshlrev_b64_e32 v[52:53], v23, v[6:7]
	s_delay_alu instid0(VALU_DEP_1)
	v_dual_sub_nc_u32 v23, 29, v19 :: v_dual_bitop2_b32 v19, 7, v52 bitop3:0x40
; %bb.2131:                             ;   in Loop: Header=BB300_1574 Depth=1
	s_or_b32 exec_lo, exec_lo, s18
	s_delay_alu instid0(VALU_DEP_1) | instskip(NEXT) | instid1(VALU_DEP_2)
	v_dual_lshlrev_b32 v6, 8, v6 :: v_dual_lshlrev_b32 v19, 23, v19
	v_lshl_add_u32 v23, v23, 10, 0x2000
	s_delay_alu instid0(VALU_DEP_1) | instskip(NEXT) | instid1(VALU_DEP_1)
	v_and_or_b32 v6, 0x8000, v6, v23
	v_lshl_or_b32 v19, v6, 16, v19
.LBB300_2132:                           ;   in Loop: Header=BB300_1574 Depth=1
	s_or_b32 exec_lo, exec_lo, s17
.LBB300_2133:                           ;   in Loop: Header=BB300_1574 Depth=1
	s_delay_alu instid0(SALU_CYCLE_1)
	s_or_b32 exec_lo, exec_lo, s16
.LBB300_2134:                           ;   in Loop: Header=BB300_1574 Depth=1
	s_delay_alu instid0(SALU_CYCLE_1) | instskip(SKIP_4) | instid1(VALU_DEP_3)
	s_or_b32 exec_lo, exec_lo, s9
	v_and_b32_e32 v52, 0xff, v51
	v_dual_mov_b32 v6, v51 :: v_dual_mov_b32 v49, 0
	v_mov_b32_e32 v23, 0
	s_mov_b32 s9, exec_lo
	v_cmpx_ne_u16_e32 0, v52
	s_cbranch_execz .LBB300_2142
; %bb.2135:                             ;   in Loop: Header=BB300_1574 Depth=1
	v_mov_b32_e32 v23, 0x8000
	s_mov_b32 s16, exec_lo
	v_cmpx_ne_u16_e32 0x80, v52
	s_cbranch_execz .LBB300_2141
; %bb.2136:                             ;   in Loop: Header=BB300_1574 Depth=1
	v_and_b32_e32 v53, 0x7f, v51
	v_mov_b32_e32 v23, 0x7c01
	s_mov_b32 s17, exec_lo
	s_delay_alu instid0(VALU_DEP_2)
	v_cmpx_ne_u32_e32 0x7f, v53
	s_cbranch_execz .LBB300_2140
; %bb.2137:                             ;   in Loop: Header=BB300_1574 Depth=1
	v_dual_lshrrev_b32 v52, 3, v53 :: v_dual_bitop2_b32 v23, 7, v51 bitop3:0x40
	s_mov_b32 s18, exec_lo
	v_cmpx_gt_u32_e32 8, v53
; %bb.2138:                             ;   in Loop: Header=BB300_1574 Depth=1
	s_delay_alu instid0(VALU_DEP_2) | instskip(NEXT) | instid1(VALU_DEP_1)
	v_clz_i32_u32_e32 v23, v23
	v_min_u32_e32 v23, 32, v23
	s_delay_alu instid0(VALU_DEP_1) | instskip(NEXT) | instid1(VALU_DEP_1)
	v_subrev_nc_u32_e32 v52, 28, v23
	v_lshlrev_b64_e32 v[54:55], v52, v[6:7]
	s_delay_alu instid0(VALU_DEP_1)
	v_dual_sub_nc_u32 v52, 29, v23 :: v_dual_bitop2_b32 v23, 7, v54 bitop3:0x40
; %bb.2139:                             ;   in Loop: Header=BB300_1574 Depth=1
	s_or_b32 exec_lo, exec_lo, s18
	v_lshlrev_b32_e32 v53, 8, v51
	s_delay_alu instid0(VALU_DEP_2) | instskip(NEXT) | instid1(VALU_DEP_3)
	v_lshl_add_u32 v52, v52, 10, 0x2000
	v_lshlrev_b32_e32 v23, 7, v23
	s_delay_alu instid0(VALU_DEP_3) | instskip(NEXT) | instid1(VALU_DEP_3)
	v_and_b32_e32 v53, 0x8000, v53
	v_and_b32_e32 v52, 0xfc00, v52
	s_delay_alu instid0(VALU_DEP_1)
	v_or3_b32 v23, v53, v52, v23
.LBB300_2140:                           ;   in Loop: Header=BB300_1574 Depth=1
	s_or_b32 exec_lo, exec_lo, s17
.LBB300_2141:                           ;   in Loop: Header=BB300_1574 Depth=1
	s_delay_alu instid0(SALU_CYCLE_1)
	s_or_b32 exec_lo, exec_lo, s16
.LBB300_2142:                           ;   in Loop: Header=BB300_1574 Depth=1
	s_delay_alu instid0(SALU_CYCLE_1) | instskip(SKIP_3) | instid1(VALU_DEP_2)
	s_or_b32 exec_lo, exec_lo, s9
	v_lshrrev_b16 v6, 8, v6
	v_mov_b32_e32 v52, 0
	s_mov_b32 s9, exec_lo
	v_cmpx_ne_u16_e32 0, v6
	s_cbranch_execz .LBB300_2150
; %bb.2143:                             ;   in Loop: Header=BB300_1574 Depth=1
	v_bfrev_b32_e32 v52, 1
	s_mov_b32 s16, exec_lo
	v_cmpx_ne_u16_e32 0x80, v6
	s_cbranch_execz .LBB300_2149
; %bb.2144:                             ;   in Loop: Header=BB300_1574 Depth=1
	v_and_b32_e32 v53, 0xffff, v6
	v_mov_b32_e32 v52, 0x7c010000
	s_mov_b32 s17, exec_lo
	s_delay_alu instid0(VALU_DEP_2) | instskip(NEXT) | instid1(VALU_DEP_1)
	v_and_b32_e32 v55, 0x7f, v53
	v_cmpx_ne_u32_e32 0x7f, v55
	s_cbranch_execz .LBB300_2148
; %bb.2145:                             ;   in Loop: Header=BB300_1574 Depth=1
	v_dual_lshrrev_b32 v54, 3, v55 :: v_dual_bitop2_b32 v52, 7, v53 bitop3:0x40
	s_mov_b32 s18, exec_lo
	v_cmpx_gt_u32_e32 8, v55
; %bb.2146:                             ;   in Loop: Header=BB300_1574 Depth=1
	s_delay_alu instid0(VALU_DEP_2) | instskip(NEXT) | instid1(VALU_DEP_1)
	v_clz_i32_u32_e32 v52, v52
	v_min_u32_e32 v52, 32, v52
	s_delay_alu instid0(VALU_DEP_1) | instskip(NEXT) | instid1(VALU_DEP_1)
	v_subrev_nc_u32_e32 v54, 28, v52
	v_lshlrev_b64_e32 v[64:65], v54, v[6:7]
	v_sub_nc_u32_e32 v54, 29, v52
	s_delay_alu instid0(VALU_DEP_2)
	v_and_b32_e32 v52, 7, v64
; %bb.2147:                             ;   in Loop: Header=BB300_1574 Depth=1
	s_or_b32 exec_lo, exec_lo, s18
	s_delay_alu instid0(VALU_DEP_1) | instskip(NEXT) | instid1(VALU_DEP_3)
	v_dual_lshlrev_b32 v6, 8, v53 :: v_dual_lshlrev_b32 v52, 23, v52
	v_lshl_add_u32 v53, v54, 10, 0x2000
	s_delay_alu instid0(VALU_DEP_1) | instskip(NEXT) | instid1(VALU_DEP_1)
	v_and_or_b32 v6, 0x8000, v6, v53
	v_lshl_or_b32 v52, v6, 16, v52
.LBB300_2148:                           ;   in Loop: Header=BB300_1574 Depth=1
	s_or_b32 exec_lo, exec_lo, s17
.LBB300_2149:                           ;   in Loop: Header=BB300_1574 Depth=1
	s_delay_alu instid0(SALU_CYCLE_1)
	s_or_b32 exec_lo, exec_lo, s16
.LBB300_2150:                           ;   in Loop: Header=BB300_1574 Depth=1
	s_delay_alu instid0(SALU_CYCLE_1) | instskip(SKIP_2) | instid1(VALU_DEP_1)
	s_or_b32 exec_lo, exec_lo, s9
	v_lshrrev_b32_e32 v6, 16, v51
	s_mov_b32 s9, exec_lo
	v_and_b32_e32 v53, 0xff, v6
	s_delay_alu instid0(VALU_DEP_1)
	v_cmpx_ne_u16_e32 0, v53
	s_cbranch_execz .LBB300_2158
; %bb.2151:                             ;   in Loop: Header=BB300_1574 Depth=1
	v_mov_b32_e32 v49, 0x8000
	s_mov_b32 s16, exec_lo
	v_cmpx_ne_u16_e32 0x80, v53
	s_cbranch_execz .LBB300_2157
; %bb.2152:                             ;   in Loop: Header=BB300_1574 Depth=1
	v_bfe_u32 v54, v51, 16, 7
	v_mov_b32_e32 v49, 0x7c01
	s_mov_b32 s17, exec_lo
	s_delay_alu instid0(VALU_DEP_2)
	v_cmpx_ne_u32_e32 0x7f, v54
	s_cbranch_execz .LBB300_2156
; %bb.2153:                             ;   in Loop: Header=BB300_1574 Depth=1
	v_and_b32_e32 v49, 7, v6
	v_lshrrev_b32_e32 v53, 3, v54
	s_mov_b32 s18, exec_lo
	v_cmpx_gt_u32_e32 8, v54
; %bb.2154:                             ;   in Loop: Header=BB300_1574 Depth=1
	s_delay_alu instid0(VALU_DEP_3) | instskip(NEXT) | instid1(VALU_DEP_1)
	v_clz_i32_u32_e32 v49, v49
	v_min_u32_e32 v49, 32, v49
	s_delay_alu instid0(VALU_DEP_1) | instskip(NEXT) | instid1(VALU_DEP_1)
	v_subrev_nc_u32_e32 v53, 28, v49
	v_lshlrev_b64_e32 v[54:55], v53, v[6:7]
	s_delay_alu instid0(VALU_DEP_1)
	v_dual_sub_nc_u32 v53, 29, v49 :: v_dual_bitop2_b32 v49, 7, v54 bitop3:0x40
; %bb.2155:                             ;   in Loop: Header=BB300_1574 Depth=1
	s_or_b32 exec_lo, exec_lo, s18
	s_delay_alu instid0(VALU_DEP_1) | instskip(NEXT) | instid1(VALU_DEP_2)
	v_dual_lshlrev_b32 v6, 8, v6 :: v_dual_lshlrev_b32 v49, 7, v49
	v_lshl_add_u32 v53, v53, 10, 0x2000
	s_delay_alu instid0(VALU_DEP_2) | instskip(NEXT) | instid1(VALU_DEP_2)
	v_and_b32_e32 v6, 0x8000, v6
	v_and_b32_e32 v53, 0xfc00, v53
	s_delay_alu instid0(VALU_DEP_1)
	v_or3_b32 v49, v6, v53, v49
.LBB300_2156:                           ;   in Loop: Header=BB300_1574 Depth=1
	s_or_b32 exec_lo, exec_lo, s17
.LBB300_2157:                           ;   in Loop: Header=BB300_1574 Depth=1
	s_delay_alu instid0(SALU_CYCLE_1)
	s_or_b32 exec_lo, exec_lo, s16
.LBB300_2158:                           ;   in Loop: Header=BB300_1574 Depth=1
	s_delay_alu instid0(SALU_CYCLE_1)
	s_or_b32 exec_lo, exec_lo, s9
	v_cmp_lt_u64_e64 s0, s[2:3], v[50:51]
	v_mov_b32_e32 v50, 0
	s_and_saveexec_b32 s9, s0
	s_cbranch_execz .LBB300_2166
; %bb.2159:                             ;   in Loop: Header=BB300_1574 Depth=1
	v_lshrrev_b32_e32 v6, 24, v51
	v_bfrev_b32_e32 v50, 1
	s_mov_b32 s16, exec_lo
	s_delay_alu instid0(VALU_DEP_2)
	v_cmpx_ne_u32_e32 0x80, v6
	s_cbranch_execz .LBB300_2165
; %bb.2160:                             ;   in Loop: Header=BB300_1574 Depth=1
	v_and_b32_e32 v53, 0x7f, v6
	v_mov_b32_e32 v50, 0x7c010000
	s_mov_b32 s17, exec_lo
	s_delay_alu instid0(VALU_DEP_2)
	v_cmpx_ne_u32_e32 0x7f, v53
	s_cbranch_execz .LBB300_2164
; %bb.2161:                             ;   in Loop: Header=BB300_1574 Depth=1
	v_dual_lshrrev_b32 v51, 3, v53 :: v_dual_bitop2_b32 v50, 7, v6 bitop3:0x40
	s_mov_b32 s18, exec_lo
	v_cmpx_gt_u32_e32 8, v53
; %bb.2162:                             ;   in Loop: Header=BB300_1574 Depth=1
	s_delay_alu instid0(VALU_DEP_2) | instskip(NEXT) | instid1(VALU_DEP_1)
	v_clz_i32_u32_e32 v50, v50
	v_min_u32_e32 v53, 32, v50
	s_delay_alu instid0(VALU_DEP_1) | instskip(NEXT) | instid1(VALU_DEP_1)
	v_subrev_nc_u32_e32 v50, 28, v53
	v_lshlrev_b64_e32 v[50:51], v50, v[6:7]
	s_delay_alu instid0(VALU_DEP_1)
	v_dual_sub_nc_u32 v51, 29, v53 :: v_dual_bitop2_b32 v50, 7, v50 bitop3:0x40
; %bb.2163:                             ;   in Loop: Header=BB300_1574 Depth=1
	s_or_b32 exec_lo, exec_lo, s18
	v_lshlrev_b32_e32 v6, 8, v6
	s_delay_alu instid0(VALU_DEP_2) | instskip(NEXT) | instid1(VALU_DEP_3)
	v_lshl_add_u32 v51, v51, 10, 0x2000
	v_lshlrev_b32_e32 v50, 23, v50
	s_delay_alu instid0(VALU_DEP_2) | instskip(NEXT) | instid1(VALU_DEP_1)
	v_and_or_b32 v6, 0x8000, v6, v51
	v_lshl_or_b32 v50, v6, 16, v50
.LBB300_2164:                           ;   in Loop: Header=BB300_1574 Depth=1
	s_or_b32 exec_lo, exec_lo, s17
.LBB300_2165:                           ;   in Loop: Header=BB300_1574 Depth=1
	s_delay_alu instid0(SALU_CYCLE_1)
	s_or_b32 exec_lo, exec_lo, s16
.LBB300_2166:                           ;   in Loop: Header=BB300_1574 Depth=1
	s_delay_alu instid0(SALU_CYCLE_1) | instskip(SKIP_4) | instid1(VALU_DEP_4)
	s_or_b32 exec_lo, exec_lo, s9
	v_dual_lshrrev_b32 v6, 16, v1 :: v_dual_lshrrev_b32 v51, 16, v19
	v_or_b32_e32 v1, v1, v18
	v_or_b32_e32 v22, v19, v22
	v_or_b32_e32 v53, v52, v23
	v_cvt_f32_f16_e32 v19, v6
	v_cvt_f32_f16_e32 v18, v51
	v_dual_lshrrev_b32 v50, 16, v50 :: v_dual_bitop2_b32 v6, v50, v49 bitop3:0x54
	v_lshrrev_b32_e32 v49, 16, v52
	v_cvt_f32_f16_e32 v23, v1
	s_delay_alu instid0(VALU_DEP_3) | instskip(NEXT) | instid1(VALU_DEP_4)
	v_cvt_f32_f16_e32 v52, v6
	v_cvt_f32_f16_e32 v50, v50
	s_wait_loadcnt_dscnt 0x0
	v_pk_mul_f32 v[18:19], v[48:49], v[18:19] op_sel_hi:[0,1]
	v_cvt_f32_f16_e32 v51, v49
	s_delay_alu instid0(VALU_DEP_2) | instskip(NEXT) | instid1(VALU_DEP_2)
	v_cvt_pk_f16_f32 v1, v18, v19
	v_pk_mul_f32 v[18:19], v[48:49], v[50:51] op_sel_hi:[0,1]
	s_delay_alu instid0(VALU_DEP_2) | instskip(SKIP_2) | instid1(VALU_DEP_4)
	v_lshlrev_b32_e32 v50, 16, v1
	v_cvt_f32_f16_e32 v22, v22
	v_and_b32_e32 v51, 0xffff0000, v1
	v_cvt_pk_f16_f32 v18, v18, v19
	s_delay_alu instid0(VALU_DEP_3) | instskip(NEXT) | instid1(VALU_DEP_2)
	v_pk_mul_f32 v[22:23], v[48:49], v[22:23] op_sel_hi:[0,1]
	v_and_b32_e32 v19, 0xffff0000, v18
	s_delay_alu instid0(VALU_DEP_2) | instskip(NEXT) | instid1(VALU_DEP_1)
	v_cvt_pk_f16_f32 v6, v22, v23
	v_lshrrev_b32_e32 v65, 16, v6
	v_cvt_f32_f16_e32 v53, v53
	v_and_b32_e32 v64, 0xffff, v6
	s_delay_alu instid0(VALU_DEP_3) | instskip(NEXT) | instid1(VALU_DEP_3)
	v_or_b32_e32 v55, v51, v65
	v_pk_mul_f32 v[48:49], v[48:49], v[52:53] op_sel_hi:[0,1]
	s_delay_alu instid0(VALU_DEP_3) | instskip(NEXT) | instid1(VALU_DEP_2)
	v_or_b32_e32 v54, v50, v64
	v_cvt_pk_f16_f32 v1, v48, v49
	s_delay_alu instid0(VALU_DEP_1) | instskip(SKIP_1) | instid1(VALU_DEP_2)
	v_dual_lshlrev_b32 v6, 16, v18 :: v_dual_lshrrev_b32 v49, 16, v1
	v_and_b32_e32 v48, 0xffff, v1
	v_or_b32_e32 v53, v19, v49
	s_delay_alu instid0(VALU_DEP_2)
	v_or_b32_e32 v52, v6, v48
	s_and_saveexec_b32 s9, vcc_lo
	s_cbranch_execz .LBB300_2168
; %bb.2167:                             ;   in Loop: Header=BB300_1574 Depth=1
	v_cmp_lt_i32_e64 s0, v70, v13
	s_delay_alu instid0(VALU_DEP_1) | instskip(SKIP_1) | instid1(VALU_DEP_1)
	v_cndmask_b32_e64 v1, 0, v65, s0
	v_cmp_lt_i32_e64 s0, v86, v12
	v_cndmask_b32_e64 v18, 0, v64, s0
	v_cmp_lt_i32_e64 s0, v85, v13
	s_delay_alu instid0(VALU_DEP_1) | instskip(SKIP_1) | instid1(VALU_DEP_1)
	v_cndmask_b32_e64 v22, 0, v51, s0
	v_cmp_lt_i32_e64 s0, v84, v12
	v_cndmask_b32_e64 v23, 0, v50, s0
	v_cmp_lt_i32_e64 s0, v83, v13
	s_delay_alu instid0(VALU_DEP_4) | instskip(NEXT) | instid1(VALU_DEP_2)
	v_or_b32_e32 v55, v1, v22
	v_dual_cndmask_b32 v49, 0, v49, s0 :: v_dual_bitop2_b32 v54, v18, v23 bitop3:0x54
	v_cmp_lt_i32_e64 s0, v82, v12
	s_delay_alu instid0(VALU_DEP_1) | instskip(SKIP_1) | instid1(VALU_DEP_1)
	v_cndmask_b32_e64 v48, 0, v48, s0
	v_cmp_lt_i32_e64 s0, v81, v13
	v_cndmask_b32_e64 v19, 0, v19, s0
	v_cmp_lt_i32_e64 s0, v0, v12
	s_delay_alu instid0(VALU_DEP_1) | instskip(NEXT) | instid1(VALU_DEP_1)
	v_dual_cndmask_b32 v6, 0, v6, s0 :: v_dual_bitop2_b32 v53, v49, v19 bitop3:0x54
	v_or_b32_e32 v52, v48, v6
.LBB300_2168:                           ;   in Loop: Header=BB300_1574 Depth=1
	s_or_b32 exec_lo, exec_lo, s9
	;;#ASMSTART
	v_pk_mul_f16 v1, v98, v55;

	;;#ASMEND
	;;#ASMSTART
	v_pk_mul_f16 v6, v97, v54;

	;;#ASMEND
	;; [unrolled: 4-line block ×4, first 2 shown]
	;;#ASMSTART
	v_pk_add_f16 v1, v1, v6;

	;;#ASMEND
	;;#ASMSTART
	v_pk_add_f16 v1, v1, v18;

	;;#ASMEND
	;; [unrolled: 4-line block ×3, first 2 shown]
	v_and_b32_e32 v6, 0xffff, v1
	v_lshrrev_b32_e32 v1, 16, v1
	;;#ASMSTART
	v_cvt_f32_f16 v43, v6;
	;;#ASMEND
	;;#ASMSTART
	v_cvt_f32_f16 v44, v1;
	;;#ASMEND
	flat_load_b64 v[50:51], v[36:37] offset:2304
	scratch_load_b64 v[18:19], off, s32 offset:192 ; 8-byte Folded Reload
	v_mov_b32_e32 v1, 0
	s_mov_b32 s9, exec_lo
	s_wait_loadcnt_dscnt 0x100
	v_and_b32_e32 v6, 0xff, v50
	s_wait_loadcnt 0x0
	flat_load_b32 v48, v[18:19]
	s_wait_xcnt 0x0
	v_mov_b32_e32 v18, 0
	v_cmpx_ne_u16_e32 0, v6
	s_cbranch_execz .LBB300_2176
; %bb.2169:                             ;   in Loop: Header=BB300_1574 Depth=1
	v_mov_b32_e32 v18, 0x8000
	s_mov_b32 s16, exec_lo
	v_cmpx_ne_u16_e32 0x80, v6
	s_cbranch_execz .LBB300_2175
; %bb.2170:                             ;   in Loop: Header=BB300_1574 Depth=1
	v_and_b32_e32 v19, 0x7f, v50
	v_mov_b32_e32 v18, 0x7c01
	s_mov_b32 s17, exec_lo
	s_delay_alu instid0(VALU_DEP_2)
	v_cmpx_ne_u32_e32 0x7f, v19
	s_cbranch_execz .LBB300_2174
; %bb.2171:                             ;   in Loop: Header=BB300_1574 Depth=1
	v_dual_lshrrev_b32 v18, 3, v19 :: v_dual_bitop2_b32 v6, 7, v50 bitop3:0x40
	s_mov_b32 s18, exec_lo
	v_cmpx_gt_u32_e32 8, v19
; %bb.2172:                             ;   in Loop: Header=BB300_1574 Depth=1
	s_delay_alu instid0(VALU_DEP_2) | instskip(NEXT) | instid1(VALU_DEP_1)
	v_clz_i32_u32_e32 v6, v6
	v_min_u32_e32 v6, 32, v6
	s_delay_alu instid0(VALU_DEP_1) | instskip(NEXT) | instid1(VALU_DEP_1)
	v_subrev_nc_u32_e32 v18, 28, v6
	v_lshlrev_b64_e32 v[22:23], v18, v[50:51]
	v_sub_nc_u32_e32 v18, 29, v6
	s_delay_alu instid0(VALU_DEP_2)
	v_and_b32_e32 v6, 7, v22
; %bb.2173:                             ;   in Loop: Header=BB300_1574 Depth=1
	s_or_b32 exec_lo, exec_lo, s18
	v_lshlrev_b32_e32 v19, 8, v50
	s_delay_alu instid0(VALU_DEP_3) | instskip(NEXT) | instid1(VALU_DEP_3)
	v_lshl_add_u32 v18, v18, 10, 0x2000
	v_lshlrev_b32_e32 v6, 7, v6
	s_delay_alu instid0(VALU_DEP_3) | instskip(NEXT) | instid1(VALU_DEP_3)
	v_and_b32_e32 v19, 0x8000, v19
	v_and_b32_e32 v18, 0xfc00, v18
	s_delay_alu instid0(VALU_DEP_1)
	v_or3_b32 v18, v19, v18, v6
.LBB300_2174:                           ;   in Loop: Header=BB300_1574 Depth=1
	s_or_b32 exec_lo, exec_lo, s17
.LBB300_2175:                           ;   in Loop: Header=BB300_1574 Depth=1
	s_delay_alu instid0(SALU_CYCLE_1)
	s_or_b32 exec_lo, exec_lo, s16
.LBB300_2176:                           ;   in Loop: Header=BB300_1574 Depth=1
	s_delay_alu instid0(SALU_CYCLE_1) | instskip(SKIP_2) | instid1(VALU_DEP_1)
	s_or_b32 exec_lo, exec_lo, s9
	v_lshrrev_b16 v6, 8, v50
	s_mov_b32 s9, exec_lo
	v_cmpx_ne_u16_e32 0, v6
	s_cbranch_execz .LBB300_2184
; %bb.2177:                             ;   in Loop: Header=BB300_1574 Depth=1
	v_bfrev_b32_e32 v1, 1
	s_mov_b32 s16, exec_lo
	v_cmpx_ne_u16_e32 0x80, v6
	s_cbranch_execz .LBB300_2183
; %bb.2178:                             ;   in Loop: Header=BB300_1574 Depth=1
	v_and_b32_e32 v19, 0xffff, v6
	v_mov_b32_e32 v1, 0x7c010000
	s_mov_b32 s17, exec_lo
	s_delay_alu instid0(VALU_DEP_2) | instskip(NEXT) | instid1(VALU_DEP_1)
	v_and_b32_e32 v23, 0x7f, v19
	v_cmpx_ne_u32_e32 0x7f, v23
	s_cbranch_execz .LBB300_2182
; %bb.2179:                             ;   in Loop: Header=BB300_1574 Depth=1
	v_and_b32_e32 v1, 7, v19
	v_lshrrev_b32_e32 v22, 3, v23
	s_mov_b32 s18, exec_lo
	v_cmpx_gt_u32_e32 8, v23
; %bb.2180:                             ;   in Loop: Header=BB300_1574 Depth=1
	s_delay_alu instid0(VALU_DEP_3) | instskip(NEXT) | instid1(VALU_DEP_1)
	v_clz_i32_u32_e32 v1, v1
	v_min_u32_e32 v1, 32, v1
	s_delay_alu instid0(VALU_DEP_1) | instskip(NEXT) | instid1(VALU_DEP_1)
	v_subrev_nc_u32_e32 v22, 28, v1
	v_lshlrev_b64_e32 v[52:53], v22, v[6:7]
	s_delay_alu instid0(VALU_DEP_1)
	v_dual_sub_nc_u32 v22, 29, v1 :: v_dual_bitop2_b32 v1, 7, v52 bitop3:0x40
; %bb.2181:                             ;   in Loop: Header=BB300_1574 Depth=1
	s_or_b32 exec_lo, exec_lo, s18
	s_delay_alu instid0(VALU_DEP_1) | instskip(NEXT) | instid1(VALU_DEP_2)
	v_dual_lshlrev_b32 v6, 8, v19 :: v_dual_lshlrev_b32 v1, 23, v1
	v_lshl_add_u32 v19, v22, 10, 0x2000
	s_delay_alu instid0(VALU_DEP_1) | instskip(NEXT) | instid1(VALU_DEP_1)
	v_and_or_b32 v6, 0x8000, v6, v19
	v_lshl_or_b32 v1, v6, 16, v1
.LBB300_2182:                           ;   in Loop: Header=BB300_1574 Depth=1
	s_or_b32 exec_lo, exec_lo, s17
.LBB300_2183:                           ;   in Loop: Header=BB300_1574 Depth=1
	s_delay_alu instid0(SALU_CYCLE_1)
	s_or_b32 exec_lo, exec_lo, s16
.LBB300_2184:                           ;   in Loop: Header=BB300_1574 Depth=1
	s_delay_alu instid0(SALU_CYCLE_1) | instskip(SKIP_3) | instid1(VALU_DEP_2)
	s_or_b32 exec_lo, exec_lo, s9
	v_dual_mov_b32 v19, 0 :: v_dual_lshrrev_b32 v6, 16, v50
	v_mov_b32_e32 v22, 0
	s_mov_b32 s9, exec_lo
	v_and_b32_e32 v23, 0xff, v6
	s_delay_alu instid0(VALU_DEP_1)
	v_cmpx_ne_u16_e32 0, v23
	s_cbranch_execz .LBB300_2192
; %bb.2185:                             ;   in Loop: Header=BB300_1574 Depth=1
	v_mov_b32_e32 v22, 0x8000
	s_mov_b32 s16, exec_lo
	v_cmpx_ne_u16_e32 0x80, v23
	s_cbranch_execz .LBB300_2191
; %bb.2186:                             ;   in Loop: Header=BB300_1574 Depth=1
	v_bfe_u32 v49, v50, 16, 7
	v_mov_b32_e32 v22, 0x7c01
	s_mov_b32 s17, exec_lo
	s_delay_alu instid0(VALU_DEP_2)
	v_cmpx_ne_u32_e32 0x7f, v49
	s_cbranch_execz .LBB300_2190
; %bb.2187:                             ;   in Loop: Header=BB300_1574 Depth=1
	v_dual_lshrrev_b32 v23, 3, v49 :: v_dual_bitop2_b32 v22, 7, v6 bitop3:0x40
	s_mov_b32 s18, exec_lo
	v_cmpx_gt_u32_e32 8, v49
; %bb.2188:                             ;   in Loop: Header=BB300_1574 Depth=1
	s_delay_alu instid0(VALU_DEP_2) | instskip(NEXT) | instid1(VALU_DEP_1)
	v_clz_i32_u32_e32 v22, v22
	v_min_u32_e32 v49, 32, v22
	s_delay_alu instid0(VALU_DEP_1) | instskip(NEXT) | instid1(VALU_DEP_1)
	v_subrev_nc_u32_e32 v22, 28, v49
	v_lshlrev_b64_e32 v[22:23], v22, v[6:7]
	s_delay_alu instid0(VALU_DEP_1)
	v_dual_sub_nc_u32 v23, 29, v49 :: v_dual_bitop2_b32 v22, 7, v22 bitop3:0x40
; %bb.2189:                             ;   in Loop: Header=BB300_1574 Depth=1
	s_or_b32 exec_lo, exec_lo, s18
	v_lshlrev_b32_e32 v6, 8, v6
	s_delay_alu instid0(VALU_DEP_2) | instskip(NEXT) | instid1(VALU_DEP_3)
	v_lshl_add_u32 v23, v23, 10, 0x2000
	v_lshlrev_b32_e32 v22, 7, v22
	s_delay_alu instid0(VALU_DEP_3) | instskip(NEXT) | instid1(VALU_DEP_3)
	v_and_b32_e32 v6, 0x8000, v6
	v_and_b32_e32 v23, 0xfc00, v23
	s_delay_alu instid0(VALU_DEP_1)
	v_or3_b32 v22, v6, v23, v22
.LBB300_2190:                           ;   in Loop: Header=BB300_1574 Depth=1
	s_or_b32 exec_lo, exec_lo, s17
.LBB300_2191:                           ;   in Loop: Header=BB300_1574 Depth=1
	s_delay_alu instid0(SALU_CYCLE_1)
	s_or_b32 exec_lo, exec_lo, s16
.LBB300_2192:                           ;   in Loop: Header=BB300_1574 Depth=1
	s_delay_alu instid0(SALU_CYCLE_1) | instskip(NEXT) | instid1(SALU_CYCLE_1)
	s_or_b32 exec_lo, exec_lo, s9
	s_mov_b32 s9, exec_lo
	v_cmpx_lt_u32_e32 0xffffff, v50
	s_cbranch_execz .LBB300_2200
; %bb.2193:                             ;   in Loop: Header=BB300_1574 Depth=1
	v_lshrrev_b32_e32 v6, 24, v50
	v_bfrev_b32_e32 v19, 1
	s_mov_b32 s16, exec_lo
	s_delay_alu instid0(VALU_DEP_2)
	v_cmpx_ne_u32_e32 0x80, v6
	s_cbranch_execz .LBB300_2199
; %bb.2194:                             ;   in Loop: Header=BB300_1574 Depth=1
	v_and_b32_e32 v49, 0x7f, v6
	v_mov_b32_e32 v19, 0x7c010000
	s_mov_b32 s17, exec_lo
	s_delay_alu instid0(VALU_DEP_2)
	v_cmpx_ne_u32_e32 0x7f, v49
	s_cbranch_execz .LBB300_2198
; %bb.2195:                             ;   in Loop: Header=BB300_1574 Depth=1
	v_dual_lshrrev_b32 v23, 3, v49 :: v_dual_bitop2_b32 v19, 7, v6 bitop3:0x40
	s_mov_b32 s18, exec_lo
	v_cmpx_gt_u32_e32 8, v49
; %bb.2196:                             ;   in Loop: Header=BB300_1574 Depth=1
	s_delay_alu instid0(VALU_DEP_2) | instskip(NEXT) | instid1(VALU_DEP_1)
	v_clz_i32_u32_e32 v19, v19
	v_min_u32_e32 v19, 32, v19
	s_delay_alu instid0(VALU_DEP_1) | instskip(NEXT) | instid1(VALU_DEP_1)
	v_subrev_nc_u32_e32 v23, 28, v19
	v_lshlrev_b64_e32 v[52:53], v23, v[6:7]
	s_delay_alu instid0(VALU_DEP_1)
	v_dual_sub_nc_u32 v23, 29, v19 :: v_dual_bitop2_b32 v19, 7, v52 bitop3:0x40
; %bb.2197:                             ;   in Loop: Header=BB300_1574 Depth=1
	s_or_b32 exec_lo, exec_lo, s18
	s_delay_alu instid0(VALU_DEP_1) | instskip(NEXT) | instid1(VALU_DEP_2)
	v_dual_lshlrev_b32 v6, 8, v6 :: v_dual_lshlrev_b32 v19, 23, v19
	v_lshl_add_u32 v23, v23, 10, 0x2000
	s_delay_alu instid0(VALU_DEP_1) | instskip(NEXT) | instid1(VALU_DEP_1)
	v_and_or_b32 v6, 0x8000, v6, v23
	v_lshl_or_b32 v19, v6, 16, v19
.LBB300_2198:                           ;   in Loop: Header=BB300_1574 Depth=1
	s_or_b32 exec_lo, exec_lo, s17
.LBB300_2199:                           ;   in Loop: Header=BB300_1574 Depth=1
	s_delay_alu instid0(SALU_CYCLE_1)
	s_or_b32 exec_lo, exec_lo, s16
.LBB300_2200:                           ;   in Loop: Header=BB300_1574 Depth=1
	s_delay_alu instid0(SALU_CYCLE_1) | instskip(SKIP_4) | instid1(VALU_DEP_3)
	s_or_b32 exec_lo, exec_lo, s9
	v_and_b32_e32 v52, 0xff, v51
	v_dual_mov_b32 v6, v51 :: v_dual_mov_b32 v49, 0
	v_mov_b32_e32 v23, 0
	s_mov_b32 s9, exec_lo
	v_cmpx_ne_u16_e32 0, v52
	s_cbranch_execz .LBB300_2208
; %bb.2201:                             ;   in Loop: Header=BB300_1574 Depth=1
	v_mov_b32_e32 v23, 0x8000
	s_mov_b32 s16, exec_lo
	v_cmpx_ne_u16_e32 0x80, v52
	s_cbranch_execz .LBB300_2207
; %bb.2202:                             ;   in Loop: Header=BB300_1574 Depth=1
	v_and_b32_e32 v53, 0x7f, v51
	v_mov_b32_e32 v23, 0x7c01
	s_mov_b32 s17, exec_lo
	s_delay_alu instid0(VALU_DEP_2)
	v_cmpx_ne_u32_e32 0x7f, v53
	s_cbranch_execz .LBB300_2206
; %bb.2203:                             ;   in Loop: Header=BB300_1574 Depth=1
	v_dual_lshrrev_b32 v52, 3, v53 :: v_dual_bitop2_b32 v23, 7, v51 bitop3:0x40
	s_mov_b32 s18, exec_lo
	v_cmpx_gt_u32_e32 8, v53
; %bb.2204:                             ;   in Loop: Header=BB300_1574 Depth=1
	s_delay_alu instid0(VALU_DEP_2) | instskip(NEXT) | instid1(VALU_DEP_1)
	v_clz_i32_u32_e32 v23, v23
	v_min_u32_e32 v23, 32, v23
	s_delay_alu instid0(VALU_DEP_1) | instskip(NEXT) | instid1(VALU_DEP_1)
	v_subrev_nc_u32_e32 v52, 28, v23
	v_lshlrev_b64_e32 v[54:55], v52, v[6:7]
	s_delay_alu instid0(VALU_DEP_1)
	v_dual_sub_nc_u32 v52, 29, v23 :: v_dual_bitop2_b32 v23, 7, v54 bitop3:0x40
; %bb.2205:                             ;   in Loop: Header=BB300_1574 Depth=1
	s_or_b32 exec_lo, exec_lo, s18
	v_lshlrev_b32_e32 v53, 8, v51
	s_delay_alu instid0(VALU_DEP_2) | instskip(NEXT) | instid1(VALU_DEP_3)
	v_lshl_add_u32 v52, v52, 10, 0x2000
	v_lshlrev_b32_e32 v23, 7, v23
	s_delay_alu instid0(VALU_DEP_3) | instskip(NEXT) | instid1(VALU_DEP_3)
	v_and_b32_e32 v53, 0x8000, v53
	v_and_b32_e32 v52, 0xfc00, v52
	s_delay_alu instid0(VALU_DEP_1)
	v_or3_b32 v23, v53, v52, v23
.LBB300_2206:                           ;   in Loop: Header=BB300_1574 Depth=1
	s_or_b32 exec_lo, exec_lo, s17
.LBB300_2207:                           ;   in Loop: Header=BB300_1574 Depth=1
	s_delay_alu instid0(SALU_CYCLE_1)
	s_or_b32 exec_lo, exec_lo, s16
.LBB300_2208:                           ;   in Loop: Header=BB300_1574 Depth=1
	s_delay_alu instid0(SALU_CYCLE_1) | instskip(SKIP_3) | instid1(VALU_DEP_2)
	s_or_b32 exec_lo, exec_lo, s9
	v_lshrrev_b16 v6, 8, v6
	v_mov_b32_e32 v52, 0
	s_mov_b32 s9, exec_lo
	v_cmpx_ne_u16_e32 0, v6
	s_cbranch_execz .LBB300_2216
; %bb.2209:                             ;   in Loop: Header=BB300_1574 Depth=1
	v_bfrev_b32_e32 v52, 1
	s_mov_b32 s16, exec_lo
	v_cmpx_ne_u16_e32 0x80, v6
	s_cbranch_execz .LBB300_2215
; %bb.2210:                             ;   in Loop: Header=BB300_1574 Depth=1
	v_and_b32_e32 v53, 0xffff, v6
	v_mov_b32_e32 v52, 0x7c010000
	s_mov_b32 s17, exec_lo
	s_delay_alu instid0(VALU_DEP_2) | instskip(NEXT) | instid1(VALU_DEP_1)
	v_and_b32_e32 v55, 0x7f, v53
	v_cmpx_ne_u32_e32 0x7f, v55
	s_cbranch_execz .LBB300_2214
; %bb.2211:                             ;   in Loop: Header=BB300_1574 Depth=1
	v_dual_lshrrev_b32 v54, 3, v55 :: v_dual_bitop2_b32 v52, 7, v53 bitop3:0x40
	s_mov_b32 s18, exec_lo
	v_cmpx_gt_u32_e32 8, v55
; %bb.2212:                             ;   in Loop: Header=BB300_1574 Depth=1
	s_delay_alu instid0(VALU_DEP_2) | instskip(NEXT) | instid1(VALU_DEP_1)
	v_clz_i32_u32_e32 v52, v52
	v_min_u32_e32 v52, 32, v52
	s_delay_alu instid0(VALU_DEP_1) | instskip(NEXT) | instid1(VALU_DEP_1)
	v_subrev_nc_u32_e32 v54, 28, v52
	v_lshlrev_b64_e32 v[64:65], v54, v[6:7]
	v_sub_nc_u32_e32 v54, 29, v52
	s_delay_alu instid0(VALU_DEP_2)
	v_and_b32_e32 v52, 7, v64
; %bb.2213:                             ;   in Loop: Header=BB300_1574 Depth=1
	s_or_b32 exec_lo, exec_lo, s18
	s_delay_alu instid0(VALU_DEP_1) | instskip(NEXT) | instid1(VALU_DEP_3)
	v_dual_lshlrev_b32 v6, 8, v53 :: v_dual_lshlrev_b32 v52, 23, v52
	v_lshl_add_u32 v53, v54, 10, 0x2000
	s_delay_alu instid0(VALU_DEP_1) | instskip(NEXT) | instid1(VALU_DEP_1)
	v_and_or_b32 v6, 0x8000, v6, v53
	v_lshl_or_b32 v52, v6, 16, v52
.LBB300_2214:                           ;   in Loop: Header=BB300_1574 Depth=1
	s_or_b32 exec_lo, exec_lo, s17
.LBB300_2215:                           ;   in Loop: Header=BB300_1574 Depth=1
	s_delay_alu instid0(SALU_CYCLE_1)
	s_or_b32 exec_lo, exec_lo, s16
.LBB300_2216:                           ;   in Loop: Header=BB300_1574 Depth=1
	s_delay_alu instid0(SALU_CYCLE_1) | instskip(SKIP_2) | instid1(VALU_DEP_1)
	s_or_b32 exec_lo, exec_lo, s9
	v_lshrrev_b32_e32 v6, 16, v51
	s_mov_b32 s9, exec_lo
	v_and_b32_e32 v53, 0xff, v6
	s_delay_alu instid0(VALU_DEP_1)
	v_cmpx_ne_u16_e32 0, v53
	s_cbranch_execz .LBB300_2224
; %bb.2217:                             ;   in Loop: Header=BB300_1574 Depth=1
	v_mov_b32_e32 v49, 0x8000
	s_mov_b32 s16, exec_lo
	v_cmpx_ne_u16_e32 0x80, v53
	s_cbranch_execz .LBB300_2223
; %bb.2218:                             ;   in Loop: Header=BB300_1574 Depth=1
	v_bfe_u32 v54, v51, 16, 7
	v_mov_b32_e32 v49, 0x7c01
	s_mov_b32 s17, exec_lo
	s_delay_alu instid0(VALU_DEP_2)
	v_cmpx_ne_u32_e32 0x7f, v54
	s_cbranch_execz .LBB300_2222
; %bb.2219:                             ;   in Loop: Header=BB300_1574 Depth=1
	v_and_b32_e32 v49, 7, v6
	v_lshrrev_b32_e32 v53, 3, v54
	s_mov_b32 s18, exec_lo
	v_cmpx_gt_u32_e32 8, v54
; %bb.2220:                             ;   in Loop: Header=BB300_1574 Depth=1
	s_delay_alu instid0(VALU_DEP_3) | instskip(NEXT) | instid1(VALU_DEP_1)
	v_clz_i32_u32_e32 v49, v49
	v_min_u32_e32 v49, 32, v49
	s_delay_alu instid0(VALU_DEP_1) | instskip(NEXT) | instid1(VALU_DEP_1)
	v_subrev_nc_u32_e32 v53, 28, v49
	v_lshlrev_b64_e32 v[54:55], v53, v[6:7]
	s_delay_alu instid0(VALU_DEP_1)
	v_dual_sub_nc_u32 v53, 29, v49 :: v_dual_bitop2_b32 v49, 7, v54 bitop3:0x40
; %bb.2221:                             ;   in Loop: Header=BB300_1574 Depth=1
	s_or_b32 exec_lo, exec_lo, s18
	s_delay_alu instid0(VALU_DEP_1) | instskip(NEXT) | instid1(VALU_DEP_2)
	v_dual_lshlrev_b32 v6, 8, v6 :: v_dual_lshlrev_b32 v49, 7, v49
	v_lshl_add_u32 v53, v53, 10, 0x2000
	s_delay_alu instid0(VALU_DEP_2) | instskip(NEXT) | instid1(VALU_DEP_2)
	v_and_b32_e32 v6, 0x8000, v6
	v_and_b32_e32 v53, 0xfc00, v53
	s_delay_alu instid0(VALU_DEP_1)
	v_or3_b32 v49, v6, v53, v49
.LBB300_2222:                           ;   in Loop: Header=BB300_1574 Depth=1
	s_or_b32 exec_lo, exec_lo, s17
.LBB300_2223:                           ;   in Loop: Header=BB300_1574 Depth=1
	s_delay_alu instid0(SALU_CYCLE_1)
	s_or_b32 exec_lo, exec_lo, s16
.LBB300_2224:                           ;   in Loop: Header=BB300_1574 Depth=1
	s_delay_alu instid0(SALU_CYCLE_1)
	s_or_b32 exec_lo, exec_lo, s9
	v_cmp_lt_u64_e64 s0, s[2:3], v[50:51]
	v_mov_b32_e32 v50, 0
	s_and_saveexec_b32 s9, s0
	s_cbranch_execz .LBB300_2232
; %bb.2225:                             ;   in Loop: Header=BB300_1574 Depth=1
	v_lshrrev_b32_e32 v6, 24, v51
	v_bfrev_b32_e32 v50, 1
	s_mov_b32 s16, exec_lo
	s_delay_alu instid0(VALU_DEP_2)
	v_cmpx_ne_u32_e32 0x80, v6
	s_cbranch_execz .LBB300_2231
; %bb.2226:                             ;   in Loop: Header=BB300_1574 Depth=1
	v_and_b32_e32 v53, 0x7f, v6
	v_mov_b32_e32 v50, 0x7c010000
	s_mov_b32 s17, exec_lo
	s_delay_alu instid0(VALU_DEP_2)
	v_cmpx_ne_u32_e32 0x7f, v53
	s_cbranch_execz .LBB300_2230
; %bb.2227:                             ;   in Loop: Header=BB300_1574 Depth=1
	v_dual_lshrrev_b32 v51, 3, v53 :: v_dual_bitop2_b32 v50, 7, v6 bitop3:0x40
	s_mov_b32 s18, exec_lo
	v_cmpx_gt_u32_e32 8, v53
; %bb.2228:                             ;   in Loop: Header=BB300_1574 Depth=1
	s_delay_alu instid0(VALU_DEP_2) | instskip(NEXT) | instid1(VALU_DEP_1)
	v_clz_i32_u32_e32 v50, v50
	v_min_u32_e32 v53, 32, v50
	s_delay_alu instid0(VALU_DEP_1) | instskip(NEXT) | instid1(VALU_DEP_1)
	v_subrev_nc_u32_e32 v50, 28, v53
	v_lshlrev_b64_e32 v[50:51], v50, v[6:7]
	s_delay_alu instid0(VALU_DEP_1)
	v_dual_sub_nc_u32 v51, 29, v53 :: v_dual_bitop2_b32 v50, 7, v50 bitop3:0x40
; %bb.2229:                             ;   in Loop: Header=BB300_1574 Depth=1
	s_or_b32 exec_lo, exec_lo, s18
	v_lshlrev_b32_e32 v6, 8, v6
	s_delay_alu instid0(VALU_DEP_2) | instskip(NEXT) | instid1(VALU_DEP_3)
	v_lshl_add_u32 v51, v51, 10, 0x2000
	v_lshlrev_b32_e32 v50, 23, v50
	s_delay_alu instid0(VALU_DEP_2) | instskip(NEXT) | instid1(VALU_DEP_1)
	v_and_or_b32 v6, 0x8000, v6, v51
	v_lshl_or_b32 v50, v6, 16, v50
.LBB300_2230:                           ;   in Loop: Header=BB300_1574 Depth=1
	s_or_b32 exec_lo, exec_lo, s17
.LBB300_2231:                           ;   in Loop: Header=BB300_1574 Depth=1
	s_delay_alu instid0(SALU_CYCLE_1)
	s_or_b32 exec_lo, exec_lo, s16
.LBB300_2232:                           ;   in Loop: Header=BB300_1574 Depth=1
	s_delay_alu instid0(SALU_CYCLE_1) | instskip(SKIP_4) | instid1(VALU_DEP_4)
	s_or_b32 exec_lo, exec_lo, s9
	v_dual_lshrrev_b32 v6, 16, v1 :: v_dual_lshrrev_b32 v51, 16, v19
	v_or_b32_e32 v1, v1, v18
	v_or_b32_e32 v22, v19, v22
	;; [unrolled: 1-line block ×3, first 2 shown]
	v_cvt_f32_f16_e32 v19, v6
	v_cvt_f32_f16_e32 v18, v51
	v_dual_lshrrev_b32 v50, 16, v50 :: v_dual_bitop2_b32 v6, v50, v49 bitop3:0x54
	v_lshrrev_b32_e32 v49, 16, v52
	v_cvt_f32_f16_e32 v23, v1
	s_delay_alu instid0(VALU_DEP_3) | instskip(NEXT) | instid1(VALU_DEP_4)
	v_cvt_f32_f16_e32 v52, v6
	v_cvt_f32_f16_e32 v50, v50
	s_wait_loadcnt_dscnt 0x0
	v_pk_mul_f32 v[18:19], v[48:49], v[18:19] op_sel_hi:[0,1]
	v_cvt_f32_f16_e32 v51, v49
	s_delay_alu instid0(VALU_DEP_2) | instskip(NEXT) | instid1(VALU_DEP_2)
	v_cvt_pk_f16_f32 v1, v18, v19
	v_pk_mul_f32 v[18:19], v[48:49], v[50:51] op_sel_hi:[0,1]
	s_delay_alu instid0(VALU_DEP_2) | instskip(SKIP_2) | instid1(VALU_DEP_4)
	v_lshlrev_b32_e32 v50, 16, v1
	v_cvt_f32_f16_e32 v22, v22
	v_and_b32_e32 v51, 0xffff0000, v1
	v_cvt_pk_f16_f32 v18, v18, v19
	s_delay_alu instid0(VALU_DEP_3) | instskip(NEXT) | instid1(VALU_DEP_2)
	v_pk_mul_f32 v[22:23], v[48:49], v[22:23] op_sel_hi:[0,1]
	v_and_b32_e32 v19, 0xffff0000, v18
	s_delay_alu instid0(VALU_DEP_2) | instskip(NEXT) | instid1(VALU_DEP_1)
	v_cvt_pk_f16_f32 v6, v22, v23
	v_lshrrev_b32_e32 v65, 16, v6
	v_cvt_f32_f16_e32 v53, v53
	v_and_b32_e32 v64, 0xffff, v6
	s_delay_alu instid0(VALU_DEP_3) | instskip(NEXT) | instid1(VALU_DEP_3)
	v_or_b32_e32 v55, v51, v65
	v_pk_mul_f32 v[48:49], v[48:49], v[52:53] op_sel_hi:[0,1]
	s_delay_alu instid0(VALU_DEP_3) | instskip(NEXT) | instid1(VALU_DEP_2)
	v_or_b32_e32 v54, v50, v64
	v_cvt_pk_f16_f32 v1, v48, v49
	s_delay_alu instid0(VALU_DEP_1) | instskip(SKIP_1) | instid1(VALU_DEP_2)
	v_dual_lshlrev_b32 v6, 16, v18 :: v_dual_lshrrev_b32 v49, 16, v1
	v_and_b32_e32 v48, 0xffff, v1
	v_or_b32_e32 v53, v19, v49
	s_delay_alu instid0(VALU_DEP_2)
	v_or_b32_e32 v52, v6, v48
	s_and_saveexec_b32 s9, vcc_lo
	s_cbranch_execz .LBB300_2234
; %bb.2233:                             ;   in Loop: Header=BB300_1574 Depth=1
	v_cmp_lt_i32_e64 s0, v70, v13
	s_delay_alu instid0(VALU_DEP_1) | instskip(SKIP_1) | instid1(VALU_DEP_1)
	v_cndmask_b32_e64 v1, 0, v65, s0
	v_cmp_lt_i32_e64 s0, v86, v12
	v_cndmask_b32_e64 v18, 0, v64, s0
	v_cmp_lt_i32_e64 s0, v85, v13
	s_delay_alu instid0(VALU_DEP_1) | instskip(SKIP_1) | instid1(VALU_DEP_1)
	v_cndmask_b32_e64 v22, 0, v51, s0
	v_cmp_lt_i32_e64 s0, v84, v12
	v_cndmask_b32_e64 v23, 0, v50, s0
	v_cmp_lt_i32_e64 s0, v83, v13
	s_delay_alu instid0(VALU_DEP_4) | instskip(NEXT) | instid1(VALU_DEP_2)
	v_or_b32_e32 v55, v1, v22
	v_dual_cndmask_b32 v49, 0, v49, s0 :: v_dual_bitop2_b32 v54, v18, v23 bitop3:0x54
	v_cmp_lt_i32_e64 s0, v82, v12
	s_delay_alu instid0(VALU_DEP_1) | instskip(SKIP_1) | instid1(VALU_DEP_1)
	v_cndmask_b32_e64 v48, 0, v48, s0
	v_cmp_lt_i32_e64 s0, v81, v13
	v_cndmask_b32_e64 v19, 0, v19, s0
	v_cmp_lt_i32_e64 s0, v0, v12
	s_delay_alu instid0(VALU_DEP_1) | instskip(NEXT) | instid1(VALU_DEP_1)
	v_dual_cndmask_b32 v6, 0, v6, s0 :: v_dual_bitop2_b32 v53, v49, v19 bitop3:0x54
	v_or_b32_e32 v52, v48, v6
.LBB300_2234:                           ;   in Loop: Header=BB300_1574 Depth=1
	s_or_b32 exec_lo, exec_lo, s9
	;;#ASMSTART
	v_pk_mul_f16 v1, v98, v55;

	;;#ASMEND
	;;#ASMSTART
	v_pk_mul_f16 v6, v97, v54;

	;;#ASMEND
	;; [unrolled: 4-line block ×4, first 2 shown]
	;;#ASMSTART
	v_pk_add_f16 v1, v1, v6;

	;;#ASMEND
	;;#ASMSTART
	v_pk_add_f16 v1, v1, v18;

	;;#ASMEND
	;; [unrolled: 4-line block ×3, first 2 shown]
	v_and_b32_e32 v6, 0xffff, v1
	v_lshrrev_b32_e32 v1, 16, v1
	;;#ASMSTART
	v_cvt_f32_f16 v45, v6;
	;;#ASMEND
	;;#ASMSTART
	v_cvt_f32_f16 v46, v1;
	;;#ASMEND
	flat_load_b64 v[50:51], v[36:37] offset:2560
	scratch_load_b64 v[18:19], off, s32 offset:192 ; 8-byte Folded Reload
	v_mov_b32_e32 v1, 0
	s_mov_b32 s9, exec_lo
	s_wait_loadcnt_dscnt 0x100
	v_and_b32_e32 v6, 0xff, v50
	s_wait_loadcnt 0x0
	flat_load_b32 v48, v[18:19]
	s_wait_xcnt 0x0
	v_mov_b32_e32 v18, 0
	v_cmpx_ne_u16_e32 0, v6
	s_cbranch_execz .LBB300_2242
; %bb.2235:                             ;   in Loop: Header=BB300_1574 Depth=1
	v_mov_b32_e32 v18, 0x8000
	s_mov_b32 s16, exec_lo
	v_cmpx_ne_u16_e32 0x80, v6
	s_cbranch_execz .LBB300_2241
; %bb.2236:                             ;   in Loop: Header=BB300_1574 Depth=1
	v_and_b32_e32 v19, 0x7f, v50
	v_mov_b32_e32 v18, 0x7c01
	s_mov_b32 s17, exec_lo
	s_delay_alu instid0(VALU_DEP_2)
	v_cmpx_ne_u32_e32 0x7f, v19
	s_cbranch_execz .LBB300_2240
; %bb.2237:                             ;   in Loop: Header=BB300_1574 Depth=1
	v_dual_lshrrev_b32 v18, 3, v19 :: v_dual_bitop2_b32 v6, 7, v50 bitop3:0x40
	s_mov_b32 s18, exec_lo
	v_cmpx_gt_u32_e32 8, v19
; %bb.2238:                             ;   in Loop: Header=BB300_1574 Depth=1
	s_delay_alu instid0(VALU_DEP_2) | instskip(NEXT) | instid1(VALU_DEP_1)
	v_clz_i32_u32_e32 v6, v6
	v_min_u32_e32 v6, 32, v6
	s_delay_alu instid0(VALU_DEP_1) | instskip(NEXT) | instid1(VALU_DEP_1)
	v_subrev_nc_u32_e32 v18, 28, v6
	v_lshlrev_b64_e32 v[22:23], v18, v[50:51]
	v_sub_nc_u32_e32 v18, 29, v6
	s_delay_alu instid0(VALU_DEP_2)
	v_and_b32_e32 v6, 7, v22
; %bb.2239:                             ;   in Loop: Header=BB300_1574 Depth=1
	s_or_b32 exec_lo, exec_lo, s18
	v_lshlrev_b32_e32 v19, 8, v50
	s_delay_alu instid0(VALU_DEP_3) | instskip(NEXT) | instid1(VALU_DEP_3)
	v_lshl_add_u32 v18, v18, 10, 0x2000
	v_lshlrev_b32_e32 v6, 7, v6
	s_delay_alu instid0(VALU_DEP_3) | instskip(NEXT) | instid1(VALU_DEP_3)
	v_and_b32_e32 v19, 0x8000, v19
	v_and_b32_e32 v18, 0xfc00, v18
	s_delay_alu instid0(VALU_DEP_1)
	v_or3_b32 v18, v19, v18, v6
.LBB300_2240:                           ;   in Loop: Header=BB300_1574 Depth=1
	s_or_b32 exec_lo, exec_lo, s17
.LBB300_2241:                           ;   in Loop: Header=BB300_1574 Depth=1
	s_delay_alu instid0(SALU_CYCLE_1)
	s_or_b32 exec_lo, exec_lo, s16
.LBB300_2242:                           ;   in Loop: Header=BB300_1574 Depth=1
	s_delay_alu instid0(SALU_CYCLE_1) | instskip(SKIP_2) | instid1(VALU_DEP_1)
	s_or_b32 exec_lo, exec_lo, s9
	v_lshrrev_b16 v6, 8, v50
	s_mov_b32 s9, exec_lo
	v_cmpx_ne_u16_e32 0, v6
	s_cbranch_execz .LBB300_2250
; %bb.2243:                             ;   in Loop: Header=BB300_1574 Depth=1
	v_bfrev_b32_e32 v1, 1
	s_mov_b32 s16, exec_lo
	v_cmpx_ne_u16_e32 0x80, v6
	s_cbranch_execz .LBB300_2249
; %bb.2244:                             ;   in Loop: Header=BB300_1574 Depth=1
	v_and_b32_e32 v19, 0xffff, v6
	v_mov_b32_e32 v1, 0x7c010000
	s_mov_b32 s17, exec_lo
	s_delay_alu instid0(VALU_DEP_2) | instskip(NEXT) | instid1(VALU_DEP_1)
	v_and_b32_e32 v23, 0x7f, v19
	v_cmpx_ne_u32_e32 0x7f, v23
	s_cbranch_execz .LBB300_2248
; %bb.2245:                             ;   in Loop: Header=BB300_1574 Depth=1
	v_and_b32_e32 v1, 7, v19
	v_lshrrev_b32_e32 v22, 3, v23
	s_mov_b32 s18, exec_lo
	v_cmpx_gt_u32_e32 8, v23
; %bb.2246:                             ;   in Loop: Header=BB300_1574 Depth=1
	s_delay_alu instid0(VALU_DEP_3) | instskip(NEXT) | instid1(VALU_DEP_1)
	v_clz_i32_u32_e32 v1, v1
	v_min_u32_e32 v1, 32, v1
	s_delay_alu instid0(VALU_DEP_1) | instskip(NEXT) | instid1(VALU_DEP_1)
	v_subrev_nc_u32_e32 v22, 28, v1
	v_lshlrev_b64_e32 v[52:53], v22, v[6:7]
	s_delay_alu instid0(VALU_DEP_1)
	v_dual_sub_nc_u32 v22, 29, v1 :: v_dual_bitop2_b32 v1, 7, v52 bitop3:0x40
; %bb.2247:                             ;   in Loop: Header=BB300_1574 Depth=1
	s_or_b32 exec_lo, exec_lo, s18
	s_delay_alu instid0(VALU_DEP_1) | instskip(NEXT) | instid1(VALU_DEP_2)
	v_dual_lshlrev_b32 v6, 8, v19 :: v_dual_lshlrev_b32 v1, 23, v1
	v_lshl_add_u32 v19, v22, 10, 0x2000
	s_delay_alu instid0(VALU_DEP_1) | instskip(NEXT) | instid1(VALU_DEP_1)
	v_and_or_b32 v6, 0x8000, v6, v19
	v_lshl_or_b32 v1, v6, 16, v1
.LBB300_2248:                           ;   in Loop: Header=BB300_1574 Depth=1
	s_or_b32 exec_lo, exec_lo, s17
.LBB300_2249:                           ;   in Loop: Header=BB300_1574 Depth=1
	s_delay_alu instid0(SALU_CYCLE_1)
	s_or_b32 exec_lo, exec_lo, s16
.LBB300_2250:                           ;   in Loop: Header=BB300_1574 Depth=1
	s_delay_alu instid0(SALU_CYCLE_1) | instskip(SKIP_3) | instid1(VALU_DEP_2)
	s_or_b32 exec_lo, exec_lo, s9
	v_dual_mov_b32 v19, 0 :: v_dual_lshrrev_b32 v6, 16, v50
	v_mov_b32_e32 v22, 0
	s_mov_b32 s9, exec_lo
	v_and_b32_e32 v23, 0xff, v6
	s_delay_alu instid0(VALU_DEP_1)
	v_cmpx_ne_u16_e32 0, v23
	s_cbranch_execz .LBB300_2258
; %bb.2251:                             ;   in Loop: Header=BB300_1574 Depth=1
	v_mov_b32_e32 v22, 0x8000
	s_mov_b32 s16, exec_lo
	v_cmpx_ne_u16_e32 0x80, v23
	s_cbranch_execz .LBB300_2257
; %bb.2252:                             ;   in Loop: Header=BB300_1574 Depth=1
	v_bfe_u32 v49, v50, 16, 7
	v_mov_b32_e32 v22, 0x7c01
	s_mov_b32 s17, exec_lo
	s_delay_alu instid0(VALU_DEP_2)
	v_cmpx_ne_u32_e32 0x7f, v49
	s_cbranch_execz .LBB300_2256
; %bb.2253:                             ;   in Loop: Header=BB300_1574 Depth=1
	v_dual_lshrrev_b32 v23, 3, v49 :: v_dual_bitop2_b32 v22, 7, v6 bitop3:0x40
	s_mov_b32 s18, exec_lo
	v_cmpx_gt_u32_e32 8, v49
; %bb.2254:                             ;   in Loop: Header=BB300_1574 Depth=1
	s_delay_alu instid0(VALU_DEP_2) | instskip(NEXT) | instid1(VALU_DEP_1)
	v_clz_i32_u32_e32 v22, v22
	v_min_u32_e32 v49, 32, v22
	s_delay_alu instid0(VALU_DEP_1) | instskip(NEXT) | instid1(VALU_DEP_1)
	v_subrev_nc_u32_e32 v22, 28, v49
	v_lshlrev_b64_e32 v[22:23], v22, v[6:7]
	s_delay_alu instid0(VALU_DEP_1)
	v_dual_sub_nc_u32 v23, 29, v49 :: v_dual_bitop2_b32 v22, 7, v22 bitop3:0x40
; %bb.2255:                             ;   in Loop: Header=BB300_1574 Depth=1
	s_or_b32 exec_lo, exec_lo, s18
	v_lshlrev_b32_e32 v6, 8, v6
	s_delay_alu instid0(VALU_DEP_2) | instskip(NEXT) | instid1(VALU_DEP_3)
	v_lshl_add_u32 v23, v23, 10, 0x2000
	v_lshlrev_b32_e32 v22, 7, v22
	s_delay_alu instid0(VALU_DEP_3) | instskip(NEXT) | instid1(VALU_DEP_3)
	v_and_b32_e32 v6, 0x8000, v6
	v_and_b32_e32 v23, 0xfc00, v23
	s_delay_alu instid0(VALU_DEP_1)
	v_or3_b32 v22, v6, v23, v22
.LBB300_2256:                           ;   in Loop: Header=BB300_1574 Depth=1
	s_or_b32 exec_lo, exec_lo, s17
.LBB300_2257:                           ;   in Loop: Header=BB300_1574 Depth=1
	s_delay_alu instid0(SALU_CYCLE_1)
	s_or_b32 exec_lo, exec_lo, s16
.LBB300_2258:                           ;   in Loop: Header=BB300_1574 Depth=1
	s_delay_alu instid0(SALU_CYCLE_1) | instskip(NEXT) | instid1(SALU_CYCLE_1)
	s_or_b32 exec_lo, exec_lo, s9
	s_mov_b32 s9, exec_lo
	v_cmpx_lt_u32_e32 0xffffff, v50
	s_cbranch_execz .LBB300_2266
; %bb.2259:                             ;   in Loop: Header=BB300_1574 Depth=1
	v_lshrrev_b32_e32 v6, 24, v50
	v_bfrev_b32_e32 v19, 1
	s_mov_b32 s16, exec_lo
	s_delay_alu instid0(VALU_DEP_2)
	v_cmpx_ne_u32_e32 0x80, v6
	s_cbranch_execz .LBB300_2265
; %bb.2260:                             ;   in Loop: Header=BB300_1574 Depth=1
	v_and_b32_e32 v49, 0x7f, v6
	v_mov_b32_e32 v19, 0x7c010000
	s_mov_b32 s17, exec_lo
	s_delay_alu instid0(VALU_DEP_2)
	v_cmpx_ne_u32_e32 0x7f, v49
	s_cbranch_execz .LBB300_2264
; %bb.2261:                             ;   in Loop: Header=BB300_1574 Depth=1
	v_dual_lshrrev_b32 v23, 3, v49 :: v_dual_bitop2_b32 v19, 7, v6 bitop3:0x40
	s_mov_b32 s18, exec_lo
	v_cmpx_gt_u32_e32 8, v49
; %bb.2262:                             ;   in Loop: Header=BB300_1574 Depth=1
	s_delay_alu instid0(VALU_DEP_2) | instskip(NEXT) | instid1(VALU_DEP_1)
	v_clz_i32_u32_e32 v19, v19
	v_min_u32_e32 v19, 32, v19
	s_delay_alu instid0(VALU_DEP_1) | instskip(NEXT) | instid1(VALU_DEP_1)
	v_subrev_nc_u32_e32 v23, 28, v19
	v_lshlrev_b64_e32 v[52:53], v23, v[6:7]
	s_delay_alu instid0(VALU_DEP_1)
	v_dual_sub_nc_u32 v23, 29, v19 :: v_dual_bitop2_b32 v19, 7, v52 bitop3:0x40
; %bb.2263:                             ;   in Loop: Header=BB300_1574 Depth=1
	s_or_b32 exec_lo, exec_lo, s18
	s_delay_alu instid0(VALU_DEP_1) | instskip(NEXT) | instid1(VALU_DEP_2)
	v_dual_lshlrev_b32 v6, 8, v6 :: v_dual_lshlrev_b32 v19, 23, v19
	v_lshl_add_u32 v23, v23, 10, 0x2000
	s_delay_alu instid0(VALU_DEP_1) | instskip(NEXT) | instid1(VALU_DEP_1)
	v_and_or_b32 v6, 0x8000, v6, v23
	v_lshl_or_b32 v19, v6, 16, v19
.LBB300_2264:                           ;   in Loop: Header=BB300_1574 Depth=1
	s_or_b32 exec_lo, exec_lo, s17
.LBB300_2265:                           ;   in Loop: Header=BB300_1574 Depth=1
	s_delay_alu instid0(SALU_CYCLE_1)
	s_or_b32 exec_lo, exec_lo, s16
.LBB300_2266:                           ;   in Loop: Header=BB300_1574 Depth=1
	s_delay_alu instid0(SALU_CYCLE_1) | instskip(SKIP_4) | instid1(VALU_DEP_3)
	s_or_b32 exec_lo, exec_lo, s9
	v_and_b32_e32 v52, 0xff, v51
	v_dual_mov_b32 v6, v51 :: v_dual_mov_b32 v49, 0
	v_mov_b32_e32 v23, 0
	s_mov_b32 s9, exec_lo
	v_cmpx_ne_u16_e32 0, v52
	s_cbranch_execz .LBB300_2274
; %bb.2267:                             ;   in Loop: Header=BB300_1574 Depth=1
	v_mov_b32_e32 v23, 0x8000
	s_mov_b32 s16, exec_lo
	v_cmpx_ne_u16_e32 0x80, v52
	s_cbranch_execz .LBB300_2273
; %bb.2268:                             ;   in Loop: Header=BB300_1574 Depth=1
	v_and_b32_e32 v53, 0x7f, v51
	v_mov_b32_e32 v23, 0x7c01
	s_mov_b32 s17, exec_lo
	s_delay_alu instid0(VALU_DEP_2)
	v_cmpx_ne_u32_e32 0x7f, v53
	s_cbranch_execz .LBB300_2272
; %bb.2269:                             ;   in Loop: Header=BB300_1574 Depth=1
	v_dual_lshrrev_b32 v52, 3, v53 :: v_dual_bitop2_b32 v23, 7, v51 bitop3:0x40
	s_mov_b32 s18, exec_lo
	v_cmpx_gt_u32_e32 8, v53
; %bb.2270:                             ;   in Loop: Header=BB300_1574 Depth=1
	s_delay_alu instid0(VALU_DEP_2) | instskip(NEXT) | instid1(VALU_DEP_1)
	v_clz_i32_u32_e32 v23, v23
	v_min_u32_e32 v23, 32, v23
	s_delay_alu instid0(VALU_DEP_1) | instskip(NEXT) | instid1(VALU_DEP_1)
	v_subrev_nc_u32_e32 v52, 28, v23
	v_lshlrev_b64_e32 v[54:55], v52, v[6:7]
	s_delay_alu instid0(VALU_DEP_1)
	v_dual_sub_nc_u32 v52, 29, v23 :: v_dual_bitop2_b32 v23, 7, v54 bitop3:0x40
; %bb.2271:                             ;   in Loop: Header=BB300_1574 Depth=1
	s_or_b32 exec_lo, exec_lo, s18
	v_lshlrev_b32_e32 v53, 8, v51
	s_delay_alu instid0(VALU_DEP_2) | instskip(NEXT) | instid1(VALU_DEP_3)
	v_lshl_add_u32 v52, v52, 10, 0x2000
	v_lshlrev_b32_e32 v23, 7, v23
	s_delay_alu instid0(VALU_DEP_3) | instskip(NEXT) | instid1(VALU_DEP_3)
	v_and_b32_e32 v53, 0x8000, v53
	v_and_b32_e32 v52, 0xfc00, v52
	s_delay_alu instid0(VALU_DEP_1)
	v_or3_b32 v23, v53, v52, v23
.LBB300_2272:                           ;   in Loop: Header=BB300_1574 Depth=1
	s_or_b32 exec_lo, exec_lo, s17
.LBB300_2273:                           ;   in Loop: Header=BB300_1574 Depth=1
	s_delay_alu instid0(SALU_CYCLE_1)
	s_or_b32 exec_lo, exec_lo, s16
.LBB300_2274:                           ;   in Loop: Header=BB300_1574 Depth=1
	s_delay_alu instid0(SALU_CYCLE_1) | instskip(SKIP_3) | instid1(VALU_DEP_2)
	s_or_b32 exec_lo, exec_lo, s9
	v_lshrrev_b16 v6, 8, v6
	v_mov_b32_e32 v52, 0
	s_mov_b32 s9, exec_lo
	v_cmpx_ne_u16_e32 0, v6
	s_cbranch_execz .LBB300_2282
; %bb.2275:                             ;   in Loop: Header=BB300_1574 Depth=1
	v_bfrev_b32_e32 v52, 1
	s_mov_b32 s16, exec_lo
	v_cmpx_ne_u16_e32 0x80, v6
	s_cbranch_execz .LBB300_2281
; %bb.2276:                             ;   in Loop: Header=BB300_1574 Depth=1
	v_and_b32_e32 v53, 0xffff, v6
	v_mov_b32_e32 v52, 0x7c010000
	s_mov_b32 s17, exec_lo
	s_delay_alu instid0(VALU_DEP_2) | instskip(NEXT) | instid1(VALU_DEP_1)
	v_and_b32_e32 v55, 0x7f, v53
	v_cmpx_ne_u32_e32 0x7f, v55
	s_cbranch_execz .LBB300_2280
; %bb.2277:                             ;   in Loop: Header=BB300_1574 Depth=1
	v_dual_lshrrev_b32 v54, 3, v55 :: v_dual_bitop2_b32 v52, 7, v53 bitop3:0x40
	s_mov_b32 s18, exec_lo
	v_cmpx_gt_u32_e32 8, v55
; %bb.2278:                             ;   in Loop: Header=BB300_1574 Depth=1
	s_delay_alu instid0(VALU_DEP_2) | instskip(NEXT) | instid1(VALU_DEP_1)
	v_clz_i32_u32_e32 v52, v52
	v_min_u32_e32 v52, 32, v52
	s_delay_alu instid0(VALU_DEP_1) | instskip(NEXT) | instid1(VALU_DEP_1)
	v_subrev_nc_u32_e32 v54, 28, v52
	v_lshlrev_b64_e32 v[64:65], v54, v[6:7]
	v_sub_nc_u32_e32 v54, 29, v52
	s_delay_alu instid0(VALU_DEP_2)
	v_and_b32_e32 v52, 7, v64
; %bb.2279:                             ;   in Loop: Header=BB300_1574 Depth=1
	s_or_b32 exec_lo, exec_lo, s18
	s_delay_alu instid0(VALU_DEP_1) | instskip(NEXT) | instid1(VALU_DEP_3)
	v_dual_lshlrev_b32 v6, 8, v53 :: v_dual_lshlrev_b32 v52, 23, v52
	v_lshl_add_u32 v53, v54, 10, 0x2000
	s_delay_alu instid0(VALU_DEP_1) | instskip(NEXT) | instid1(VALU_DEP_1)
	v_and_or_b32 v6, 0x8000, v6, v53
	v_lshl_or_b32 v52, v6, 16, v52
.LBB300_2280:                           ;   in Loop: Header=BB300_1574 Depth=1
	s_or_b32 exec_lo, exec_lo, s17
.LBB300_2281:                           ;   in Loop: Header=BB300_1574 Depth=1
	s_delay_alu instid0(SALU_CYCLE_1)
	s_or_b32 exec_lo, exec_lo, s16
.LBB300_2282:                           ;   in Loop: Header=BB300_1574 Depth=1
	s_delay_alu instid0(SALU_CYCLE_1) | instskip(SKIP_2) | instid1(VALU_DEP_1)
	s_or_b32 exec_lo, exec_lo, s9
	v_lshrrev_b32_e32 v6, 16, v51
	s_mov_b32 s9, exec_lo
	v_and_b32_e32 v53, 0xff, v6
	s_delay_alu instid0(VALU_DEP_1)
	v_cmpx_ne_u16_e32 0, v53
	s_cbranch_execz .LBB300_2290
; %bb.2283:                             ;   in Loop: Header=BB300_1574 Depth=1
	v_mov_b32_e32 v49, 0x8000
	s_mov_b32 s16, exec_lo
	v_cmpx_ne_u16_e32 0x80, v53
	s_cbranch_execz .LBB300_2289
; %bb.2284:                             ;   in Loop: Header=BB300_1574 Depth=1
	v_bfe_u32 v54, v51, 16, 7
	v_mov_b32_e32 v49, 0x7c01
	s_mov_b32 s17, exec_lo
	s_delay_alu instid0(VALU_DEP_2)
	v_cmpx_ne_u32_e32 0x7f, v54
	s_cbranch_execz .LBB300_2288
; %bb.2285:                             ;   in Loop: Header=BB300_1574 Depth=1
	v_and_b32_e32 v49, 7, v6
	v_lshrrev_b32_e32 v53, 3, v54
	s_mov_b32 s18, exec_lo
	v_cmpx_gt_u32_e32 8, v54
; %bb.2286:                             ;   in Loop: Header=BB300_1574 Depth=1
	s_delay_alu instid0(VALU_DEP_3) | instskip(NEXT) | instid1(VALU_DEP_1)
	v_clz_i32_u32_e32 v49, v49
	v_min_u32_e32 v49, 32, v49
	s_delay_alu instid0(VALU_DEP_1) | instskip(NEXT) | instid1(VALU_DEP_1)
	v_subrev_nc_u32_e32 v53, 28, v49
	v_lshlrev_b64_e32 v[54:55], v53, v[6:7]
	s_delay_alu instid0(VALU_DEP_1)
	v_dual_sub_nc_u32 v53, 29, v49 :: v_dual_bitop2_b32 v49, 7, v54 bitop3:0x40
; %bb.2287:                             ;   in Loop: Header=BB300_1574 Depth=1
	s_or_b32 exec_lo, exec_lo, s18
	s_delay_alu instid0(VALU_DEP_1) | instskip(NEXT) | instid1(VALU_DEP_2)
	v_dual_lshlrev_b32 v6, 8, v6 :: v_dual_lshlrev_b32 v49, 7, v49
	v_lshl_add_u32 v53, v53, 10, 0x2000
	s_delay_alu instid0(VALU_DEP_2) | instskip(NEXT) | instid1(VALU_DEP_2)
	v_and_b32_e32 v6, 0x8000, v6
	v_and_b32_e32 v53, 0xfc00, v53
	s_delay_alu instid0(VALU_DEP_1)
	v_or3_b32 v49, v6, v53, v49
.LBB300_2288:                           ;   in Loop: Header=BB300_1574 Depth=1
	s_or_b32 exec_lo, exec_lo, s17
.LBB300_2289:                           ;   in Loop: Header=BB300_1574 Depth=1
	s_delay_alu instid0(SALU_CYCLE_1)
	s_or_b32 exec_lo, exec_lo, s16
.LBB300_2290:                           ;   in Loop: Header=BB300_1574 Depth=1
	s_delay_alu instid0(SALU_CYCLE_1)
	s_or_b32 exec_lo, exec_lo, s9
	v_cmp_lt_u64_e64 s0, s[2:3], v[50:51]
	v_mov_b32_e32 v50, 0
	s_and_saveexec_b32 s9, s0
	s_cbranch_execz .LBB300_2298
; %bb.2291:                             ;   in Loop: Header=BB300_1574 Depth=1
	v_lshrrev_b32_e32 v6, 24, v51
	v_bfrev_b32_e32 v50, 1
	s_mov_b32 s16, exec_lo
	s_delay_alu instid0(VALU_DEP_2)
	v_cmpx_ne_u32_e32 0x80, v6
	s_cbranch_execz .LBB300_2297
; %bb.2292:                             ;   in Loop: Header=BB300_1574 Depth=1
	v_and_b32_e32 v53, 0x7f, v6
	v_mov_b32_e32 v50, 0x7c010000
	s_mov_b32 s17, exec_lo
	s_delay_alu instid0(VALU_DEP_2)
	v_cmpx_ne_u32_e32 0x7f, v53
	s_cbranch_execz .LBB300_2296
; %bb.2293:                             ;   in Loop: Header=BB300_1574 Depth=1
	v_dual_lshrrev_b32 v51, 3, v53 :: v_dual_bitop2_b32 v50, 7, v6 bitop3:0x40
	s_mov_b32 s18, exec_lo
	v_cmpx_gt_u32_e32 8, v53
; %bb.2294:                             ;   in Loop: Header=BB300_1574 Depth=1
	s_delay_alu instid0(VALU_DEP_2) | instskip(NEXT) | instid1(VALU_DEP_1)
	v_clz_i32_u32_e32 v50, v50
	v_min_u32_e32 v53, 32, v50
	s_delay_alu instid0(VALU_DEP_1) | instskip(NEXT) | instid1(VALU_DEP_1)
	v_subrev_nc_u32_e32 v50, 28, v53
	v_lshlrev_b64_e32 v[50:51], v50, v[6:7]
	s_delay_alu instid0(VALU_DEP_1)
	v_dual_sub_nc_u32 v51, 29, v53 :: v_dual_bitop2_b32 v50, 7, v50 bitop3:0x40
; %bb.2295:                             ;   in Loop: Header=BB300_1574 Depth=1
	s_or_b32 exec_lo, exec_lo, s18
	v_lshlrev_b32_e32 v6, 8, v6
	s_delay_alu instid0(VALU_DEP_2) | instskip(NEXT) | instid1(VALU_DEP_3)
	v_lshl_add_u32 v51, v51, 10, 0x2000
	v_lshlrev_b32_e32 v50, 23, v50
	s_delay_alu instid0(VALU_DEP_2) | instskip(NEXT) | instid1(VALU_DEP_1)
	v_and_or_b32 v6, 0x8000, v6, v51
	v_lshl_or_b32 v50, v6, 16, v50
.LBB300_2296:                           ;   in Loop: Header=BB300_1574 Depth=1
	s_or_b32 exec_lo, exec_lo, s17
.LBB300_2297:                           ;   in Loop: Header=BB300_1574 Depth=1
	s_delay_alu instid0(SALU_CYCLE_1)
	s_or_b32 exec_lo, exec_lo, s16
.LBB300_2298:                           ;   in Loop: Header=BB300_1574 Depth=1
	s_delay_alu instid0(SALU_CYCLE_1) | instskip(SKIP_4) | instid1(VALU_DEP_4)
	s_or_b32 exec_lo, exec_lo, s9
	v_dual_lshrrev_b32 v6, 16, v1 :: v_dual_lshrrev_b32 v51, 16, v19
	v_or_b32_e32 v1, v1, v18
	v_or_b32_e32 v22, v19, v22
	;; [unrolled: 1-line block ×3, first 2 shown]
	v_cvt_f32_f16_e32 v19, v6
	v_cvt_f32_f16_e32 v18, v51
	v_dual_lshrrev_b32 v50, 16, v50 :: v_dual_bitop2_b32 v6, v50, v49 bitop3:0x54
	v_lshrrev_b32_e32 v49, 16, v52
	v_cvt_f32_f16_e32 v23, v1
	s_delay_alu instid0(VALU_DEP_3) | instskip(NEXT) | instid1(VALU_DEP_4)
	v_cvt_f32_f16_e32 v52, v6
	v_cvt_f32_f16_e32 v50, v50
	s_wait_loadcnt_dscnt 0x0
	v_pk_mul_f32 v[18:19], v[48:49], v[18:19] op_sel_hi:[0,1]
	v_cvt_f32_f16_e32 v51, v49
	s_delay_alu instid0(VALU_DEP_2) | instskip(NEXT) | instid1(VALU_DEP_2)
	v_cvt_pk_f16_f32 v1, v18, v19
	v_pk_mul_f32 v[18:19], v[48:49], v[50:51] op_sel_hi:[0,1]
	s_delay_alu instid0(VALU_DEP_2) | instskip(SKIP_2) | instid1(VALU_DEP_4)
	v_lshlrev_b32_e32 v50, 16, v1
	v_cvt_f32_f16_e32 v22, v22
	v_and_b32_e32 v51, 0xffff0000, v1
	v_cvt_pk_f16_f32 v18, v18, v19
	s_delay_alu instid0(VALU_DEP_3) | instskip(NEXT) | instid1(VALU_DEP_2)
	v_pk_mul_f32 v[22:23], v[48:49], v[22:23] op_sel_hi:[0,1]
	v_and_b32_e32 v19, 0xffff0000, v18
	s_delay_alu instid0(VALU_DEP_2) | instskip(NEXT) | instid1(VALU_DEP_1)
	v_cvt_pk_f16_f32 v6, v22, v23
	v_lshrrev_b32_e32 v65, 16, v6
	v_cvt_f32_f16_e32 v53, v53
	v_and_b32_e32 v64, 0xffff, v6
	s_delay_alu instid0(VALU_DEP_3) | instskip(NEXT) | instid1(VALU_DEP_3)
	v_or_b32_e32 v55, v51, v65
	v_pk_mul_f32 v[48:49], v[48:49], v[52:53] op_sel_hi:[0,1]
	s_delay_alu instid0(VALU_DEP_3) | instskip(NEXT) | instid1(VALU_DEP_2)
	v_or_b32_e32 v54, v50, v64
	v_cvt_pk_f16_f32 v1, v48, v49
	s_delay_alu instid0(VALU_DEP_1) | instskip(SKIP_1) | instid1(VALU_DEP_2)
	v_dual_lshlrev_b32 v6, 16, v18 :: v_dual_lshrrev_b32 v49, 16, v1
	v_and_b32_e32 v48, 0xffff, v1
	v_or_b32_e32 v53, v19, v49
	s_delay_alu instid0(VALU_DEP_2)
	v_or_b32_e32 v52, v6, v48
	s_and_saveexec_b32 s9, vcc_lo
	s_cbranch_execz .LBB300_2300
; %bb.2299:                             ;   in Loop: Header=BB300_1574 Depth=1
	v_cmp_lt_i32_e64 s0, v70, v13
	s_delay_alu instid0(VALU_DEP_1) | instskip(SKIP_1) | instid1(VALU_DEP_1)
	v_cndmask_b32_e64 v1, 0, v65, s0
	v_cmp_lt_i32_e64 s0, v86, v12
	v_cndmask_b32_e64 v18, 0, v64, s0
	v_cmp_lt_i32_e64 s0, v85, v13
	s_delay_alu instid0(VALU_DEP_1) | instskip(SKIP_1) | instid1(VALU_DEP_1)
	v_cndmask_b32_e64 v22, 0, v51, s0
	v_cmp_lt_i32_e64 s0, v84, v12
	v_cndmask_b32_e64 v23, 0, v50, s0
	v_cmp_lt_i32_e64 s0, v83, v13
	s_delay_alu instid0(VALU_DEP_4) | instskip(NEXT) | instid1(VALU_DEP_2)
	v_or_b32_e32 v55, v1, v22
	v_dual_cndmask_b32 v49, 0, v49, s0 :: v_dual_bitop2_b32 v54, v18, v23 bitop3:0x54
	v_cmp_lt_i32_e64 s0, v82, v12
	s_delay_alu instid0(VALU_DEP_1) | instskip(SKIP_1) | instid1(VALU_DEP_1)
	v_cndmask_b32_e64 v48, 0, v48, s0
	v_cmp_lt_i32_e64 s0, v81, v13
	v_cndmask_b32_e64 v19, 0, v19, s0
	v_cmp_lt_i32_e64 s0, v0, v12
	s_delay_alu instid0(VALU_DEP_1) | instskip(NEXT) | instid1(VALU_DEP_1)
	v_dual_cndmask_b32 v6, 0, v6, s0 :: v_dual_bitop2_b32 v53, v49, v19 bitop3:0x54
	v_or_b32_e32 v52, v48, v6
.LBB300_2300:                           ;   in Loop: Header=BB300_1574 Depth=1
	s_or_b32 exec_lo, exec_lo, s9
	;;#ASMSTART
	v_pk_mul_f16 v1, v98, v55;

	;;#ASMEND
	;;#ASMSTART
	v_pk_mul_f16 v6, v97, v54;

	;;#ASMEND
	;; [unrolled: 4-line block ×4, first 2 shown]
	;;#ASMSTART
	v_pk_add_f16 v1, v1, v6;

	;;#ASMEND
	;;#ASMSTART
	v_pk_add_f16 v1, v1, v18;

	;;#ASMEND
	;; [unrolled: 4-line block ×3, first 2 shown]
	v_and_b32_e32 v6, 0xffff, v1
	v_lshrrev_b32_e32 v1, 16, v1
	;;#ASMSTART
	v_cvt_f32_f16 v47, v6;
	;;#ASMEND
	;;#ASMSTART
	v_cvt_f32_f16 v56, v1;
	;;#ASMEND
	flat_load_b64 v[50:51], v[36:37] offset:2816
	scratch_load_b64 v[18:19], off, s32 offset:192 ; 8-byte Folded Reload
	v_mov_b32_e32 v1, 0
	s_mov_b32 s9, exec_lo
	s_wait_loadcnt_dscnt 0x100
	v_and_b32_e32 v6, 0xff, v50
	s_wait_loadcnt 0x0
	flat_load_b32 v48, v[18:19]
	s_wait_xcnt 0x0
	v_mov_b32_e32 v18, 0
	v_cmpx_ne_u16_e32 0, v6
	s_cbranch_execz .LBB300_2308
; %bb.2301:                             ;   in Loop: Header=BB300_1574 Depth=1
	v_mov_b32_e32 v18, 0x8000
	s_mov_b32 s16, exec_lo
	v_cmpx_ne_u16_e32 0x80, v6
	s_cbranch_execz .LBB300_2307
; %bb.2302:                             ;   in Loop: Header=BB300_1574 Depth=1
	v_and_b32_e32 v19, 0x7f, v50
	v_mov_b32_e32 v18, 0x7c01
	s_mov_b32 s17, exec_lo
	s_delay_alu instid0(VALU_DEP_2)
	v_cmpx_ne_u32_e32 0x7f, v19
	s_cbranch_execz .LBB300_2306
; %bb.2303:                             ;   in Loop: Header=BB300_1574 Depth=1
	v_dual_lshrrev_b32 v18, 3, v19 :: v_dual_bitop2_b32 v6, 7, v50 bitop3:0x40
	s_mov_b32 s18, exec_lo
	v_cmpx_gt_u32_e32 8, v19
; %bb.2304:                             ;   in Loop: Header=BB300_1574 Depth=1
	s_delay_alu instid0(VALU_DEP_2) | instskip(NEXT) | instid1(VALU_DEP_1)
	v_clz_i32_u32_e32 v6, v6
	v_min_u32_e32 v6, 32, v6
	s_delay_alu instid0(VALU_DEP_1) | instskip(NEXT) | instid1(VALU_DEP_1)
	v_subrev_nc_u32_e32 v18, 28, v6
	v_lshlrev_b64_e32 v[22:23], v18, v[50:51]
	v_sub_nc_u32_e32 v18, 29, v6
	s_delay_alu instid0(VALU_DEP_2)
	v_and_b32_e32 v6, 7, v22
; %bb.2305:                             ;   in Loop: Header=BB300_1574 Depth=1
	s_or_b32 exec_lo, exec_lo, s18
	v_lshlrev_b32_e32 v19, 8, v50
	s_delay_alu instid0(VALU_DEP_3) | instskip(NEXT) | instid1(VALU_DEP_3)
	v_lshl_add_u32 v18, v18, 10, 0x2000
	v_lshlrev_b32_e32 v6, 7, v6
	s_delay_alu instid0(VALU_DEP_3) | instskip(NEXT) | instid1(VALU_DEP_3)
	v_and_b32_e32 v19, 0x8000, v19
	v_and_b32_e32 v18, 0xfc00, v18
	s_delay_alu instid0(VALU_DEP_1)
	v_or3_b32 v18, v19, v18, v6
.LBB300_2306:                           ;   in Loop: Header=BB300_1574 Depth=1
	s_or_b32 exec_lo, exec_lo, s17
.LBB300_2307:                           ;   in Loop: Header=BB300_1574 Depth=1
	s_delay_alu instid0(SALU_CYCLE_1)
	s_or_b32 exec_lo, exec_lo, s16
.LBB300_2308:                           ;   in Loop: Header=BB300_1574 Depth=1
	s_delay_alu instid0(SALU_CYCLE_1) | instskip(SKIP_2) | instid1(VALU_DEP_1)
	s_or_b32 exec_lo, exec_lo, s9
	v_lshrrev_b16 v6, 8, v50
	s_mov_b32 s9, exec_lo
	v_cmpx_ne_u16_e32 0, v6
	s_cbranch_execz .LBB300_2316
; %bb.2309:                             ;   in Loop: Header=BB300_1574 Depth=1
	v_bfrev_b32_e32 v1, 1
	s_mov_b32 s16, exec_lo
	v_cmpx_ne_u16_e32 0x80, v6
	s_cbranch_execz .LBB300_2315
; %bb.2310:                             ;   in Loop: Header=BB300_1574 Depth=1
	v_and_b32_e32 v19, 0xffff, v6
	v_mov_b32_e32 v1, 0x7c010000
	s_mov_b32 s17, exec_lo
	s_delay_alu instid0(VALU_DEP_2) | instskip(NEXT) | instid1(VALU_DEP_1)
	v_and_b32_e32 v23, 0x7f, v19
	v_cmpx_ne_u32_e32 0x7f, v23
	s_cbranch_execz .LBB300_2314
; %bb.2311:                             ;   in Loop: Header=BB300_1574 Depth=1
	v_and_b32_e32 v1, 7, v19
	v_lshrrev_b32_e32 v22, 3, v23
	s_mov_b32 s18, exec_lo
	v_cmpx_gt_u32_e32 8, v23
; %bb.2312:                             ;   in Loop: Header=BB300_1574 Depth=1
	s_delay_alu instid0(VALU_DEP_3) | instskip(NEXT) | instid1(VALU_DEP_1)
	v_clz_i32_u32_e32 v1, v1
	v_min_u32_e32 v1, 32, v1
	s_delay_alu instid0(VALU_DEP_1) | instskip(NEXT) | instid1(VALU_DEP_1)
	v_subrev_nc_u32_e32 v22, 28, v1
	v_lshlrev_b64_e32 v[52:53], v22, v[6:7]
	s_delay_alu instid0(VALU_DEP_1)
	v_dual_sub_nc_u32 v22, 29, v1 :: v_dual_bitop2_b32 v1, 7, v52 bitop3:0x40
; %bb.2313:                             ;   in Loop: Header=BB300_1574 Depth=1
	s_or_b32 exec_lo, exec_lo, s18
	s_delay_alu instid0(VALU_DEP_1) | instskip(NEXT) | instid1(VALU_DEP_2)
	v_dual_lshlrev_b32 v6, 8, v19 :: v_dual_lshlrev_b32 v1, 23, v1
	v_lshl_add_u32 v19, v22, 10, 0x2000
	s_delay_alu instid0(VALU_DEP_1) | instskip(NEXT) | instid1(VALU_DEP_1)
	v_and_or_b32 v6, 0x8000, v6, v19
	v_lshl_or_b32 v1, v6, 16, v1
.LBB300_2314:                           ;   in Loop: Header=BB300_1574 Depth=1
	s_or_b32 exec_lo, exec_lo, s17
.LBB300_2315:                           ;   in Loop: Header=BB300_1574 Depth=1
	s_delay_alu instid0(SALU_CYCLE_1)
	s_or_b32 exec_lo, exec_lo, s16
.LBB300_2316:                           ;   in Loop: Header=BB300_1574 Depth=1
	s_delay_alu instid0(SALU_CYCLE_1) | instskip(SKIP_3) | instid1(VALU_DEP_2)
	s_or_b32 exec_lo, exec_lo, s9
	v_dual_mov_b32 v19, 0 :: v_dual_lshrrev_b32 v6, 16, v50
	v_mov_b32_e32 v22, 0
	s_mov_b32 s9, exec_lo
	v_and_b32_e32 v23, 0xff, v6
	s_delay_alu instid0(VALU_DEP_1)
	v_cmpx_ne_u16_e32 0, v23
	s_cbranch_execz .LBB300_2324
; %bb.2317:                             ;   in Loop: Header=BB300_1574 Depth=1
	v_mov_b32_e32 v22, 0x8000
	s_mov_b32 s16, exec_lo
	v_cmpx_ne_u16_e32 0x80, v23
	s_cbranch_execz .LBB300_2323
; %bb.2318:                             ;   in Loop: Header=BB300_1574 Depth=1
	v_bfe_u32 v49, v50, 16, 7
	v_mov_b32_e32 v22, 0x7c01
	s_mov_b32 s17, exec_lo
	s_delay_alu instid0(VALU_DEP_2)
	v_cmpx_ne_u32_e32 0x7f, v49
	s_cbranch_execz .LBB300_2322
; %bb.2319:                             ;   in Loop: Header=BB300_1574 Depth=1
	v_dual_lshrrev_b32 v23, 3, v49 :: v_dual_bitop2_b32 v22, 7, v6 bitop3:0x40
	s_mov_b32 s18, exec_lo
	v_cmpx_gt_u32_e32 8, v49
; %bb.2320:                             ;   in Loop: Header=BB300_1574 Depth=1
	s_delay_alu instid0(VALU_DEP_2) | instskip(NEXT) | instid1(VALU_DEP_1)
	v_clz_i32_u32_e32 v22, v22
	v_min_u32_e32 v49, 32, v22
	s_delay_alu instid0(VALU_DEP_1) | instskip(NEXT) | instid1(VALU_DEP_1)
	v_subrev_nc_u32_e32 v22, 28, v49
	v_lshlrev_b64_e32 v[22:23], v22, v[6:7]
	s_delay_alu instid0(VALU_DEP_1)
	v_dual_sub_nc_u32 v23, 29, v49 :: v_dual_bitop2_b32 v22, 7, v22 bitop3:0x40
; %bb.2321:                             ;   in Loop: Header=BB300_1574 Depth=1
	s_or_b32 exec_lo, exec_lo, s18
	v_lshlrev_b32_e32 v6, 8, v6
	s_delay_alu instid0(VALU_DEP_2) | instskip(NEXT) | instid1(VALU_DEP_3)
	v_lshl_add_u32 v23, v23, 10, 0x2000
	v_lshlrev_b32_e32 v22, 7, v22
	s_delay_alu instid0(VALU_DEP_3) | instskip(NEXT) | instid1(VALU_DEP_3)
	v_and_b32_e32 v6, 0x8000, v6
	v_and_b32_e32 v23, 0xfc00, v23
	s_delay_alu instid0(VALU_DEP_1)
	v_or3_b32 v22, v6, v23, v22
.LBB300_2322:                           ;   in Loop: Header=BB300_1574 Depth=1
	s_or_b32 exec_lo, exec_lo, s17
.LBB300_2323:                           ;   in Loop: Header=BB300_1574 Depth=1
	s_delay_alu instid0(SALU_CYCLE_1)
	s_or_b32 exec_lo, exec_lo, s16
.LBB300_2324:                           ;   in Loop: Header=BB300_1574 Depth=1
	s_delay_alu instid0(SALU_CYCLE_1) | instskip(NEXT) | instid1(SALU_CYCLE_1)
	s_or_b32 exec_lo, exec_lo, s9
	s_mov_b32 s9, exec_lo
	v_cmpx_lt_u32_e32 0xffffff, v50
	s_cbranch_execz .LBB300_2332
; %bb.2325:                             ;   in Loop: Header=BB300_1574 Depth=1
	v_lshrrev_b32_e32 v6, 24, v50
	v_bfrev_b32_e32 v19, 1
	s_mov_b32 s16, exec_lo
	s_delay_alu instid0(VALU_DEP_2)
	v_cmpx_ne_u32_e32 0x80, v6
	s_cbranch_execz .LBB300_2331
; %bb.2326:                             ;   in Loop: Header=BB300_1574 Depth=1
	v_and_b32_e32 v49, 0x7f, v6
	v_mov_b32_e32 v19, 0x7c010000
	s_mov_b32 s17, exec_lo
	s_delay_alu instid0(VALU_DEP_2)
	v_cmpx_ne_u32_e32 0x7f, v49
	s_cbranch_execz .LBB300_2330
; %bb.2327:                             ;   in Loop: Header=BB300_1574 Depth=1
	v_dual_lshrrev_b32 v23, 3, v49 :: v_dual_bitop2_b32 v19, 7, v6 bitop3:0x40
	s_mov_b32 s18, exec_lo
	v_cmpx_gt_u32_e32 8, v49
; %bb.2328:                             ;   in Loop: Header=BB300_1574 Depth=1
	s_delay_alu instid0(VALU_DEP_2) | instskip(NEXT) | instid1(VALU_DEP_1)
	v_clz_i32_u32_e32 v19, v19
	v_min_u32_e32 v19, 32, v19
	s_delay_alu instid0(VALU_DEP_1) | instskip(NEXT) | instid1(VALU_DEP_1)
	v_subrev_nc_u32_e32 v23, 28, v19
	v_lshlrev_b64_e32 v[52:53], v23, v[6:7]
	s_delay_alu instid0(VALU_DEP_1)
	v_dual_sub_nc_u32 v23, 29, v19 :: v_dual_bitop2_b32 v19, 7, v52 bitop3:0x40
; %bb.2329:                             ;   in Loop: Header=BB300_1574 Depth=1
	s_or_b32 exec_lo, exec_lo, s18
	s_delay_alu instid0(VALU_DEP_1) | instskip(NEXT) | instid1(VALU_DEP_2)
	v_dual_lshlrev_b32 v6, 8, v6 :: v_dual_lshlrev_b32 v19, 23, v19
	v_lshl_add_u32 v23, v23, 10, 0x2000
	s_delay_alu instid0(VALU_DEP_1) | instskip(NEXT) | instid1(VALU_DEP_1)
	v_and_or_b32 v6, 0x8000, v6, v23
	v_lshl_or_b32 v19, v6, 16, v19
.LBB300_2330:                           ;   in Loop: Header=BB300_1574 Depth=1
	s_or_b32 exec_lo, exec_lo, s17
.LBB300_2331:                           ;   in Loop: Header=BB300_1574 Depth=1
	s_delay_alu instid0(SALU_CYCLE_1)
	s_or_b32 exec_lo, exec_lo, s16
.LBB300_2332:                           ;   in Loop: Header=BB300_1574 Depth=1
	s_delay_alu instid0(SALU_CYCLE_1) | instskip(SKIP_4) | instid1(VALU_DEP_3)
	s_or_b32 exec_lo, exec_lo, s9
	v_and_b32_e32 v52, 0xff, v51
	v_dual_mov_b32 v6, v51 :: v_dual_mov_b32 v49, 0
	v_mov_b32_e32 v23, 0
	s_mov_b32 s9, exec_lo
	v_cmpx_ne_u16_e32 0, v52
	s_cbranch_execz .LBB300_2340
; %bb.2333:                             ;   in Loop: Header=BB300_1574 Depth=1
	v_mov_b32_e32 v23, 0x8000
	s_mov_b32 s16, exec_lo
	v_cmpx_ne_u16_e32 0x80, v52
	s_cbranch_execz .LBB300_2339
; %bb.2334:                             ;   in Loop: Header=BB300_1574 Depth=1
	v_and_b32_e32 v53, 0x7f, v51
	v_mov_b32_e32 v23, 0x7c01
	s_mov_b32 s17, exec_lo
	s_delay_alu instid0(VALU_DEP_2)
	v_cmpx_ne_u32_e32 0x7f, v53
	s_cbranch_execz .LBB300_2338
; %bb.2335:                             ;   in Loop: Header=BB300_1574 Depth=1
	v_dual_lshrrev_b32 v52, 3, v53 :: v_dual_bitop2_b32 v23, 7, v51 bitop3:0x40
	s_mov_b32 s18, exec_lo
	v_cmpx_gt_u32_e32 8, v53
; %bb.2336:                             ;   in Loop: Header=BB300_1574 Depth=1
	s_delay_alu instid0(VALU_DEP_2) | instskip(NEXT) | instid1(VALU_DEP_1)
	v_clz_i32_u32_e32 v23, v23
	v_min_u32_e32 v23, 32, v23
	s_delay_alu instid0(VALU_DEP_1) | instskip(NEXT) | instid1(VALU_DEP_1)
	v_subrev_nc_u32_e32 v52, 28, v23
	v_lshlrev_b64_e32 v[54:55], v52, v[6:7]
	s_delay_alu instid0(VALU_DEP_1)
	v_dual_sub_nc_u32 v52, 29, v23 :: v_dual_bitop2_b32 v23, 7, v54 bitop3:0x40
; %bb.2337:                             ;   in Loop: Header=BB300_1574 Depth=1
	s_or_b32 exec_lo, exec_lo, s18
	v_lshlrev_b32_e32 v53, 8, v51
	s_delay_alu instid0(VALU_DEP_2) | instskip(NEXT) | instid1(VALU_DEP_3)
	v_lshl_add_u32 v52, v52, 10, 0x2000
	v_lshlrev_b32_e32 v23, 7, v23
	s_delay_alu instid0(VALU_DEP_3) | instskip(NEXT) | instid1(VALU_DEP_3)
	v_and_b32_e32 v53, 0x8000, v53
	v_and_b32_e32 v52, 0xfc00, v52
	s_delay_alu instid0(VALU_DEP_1)
	v_or3_b32 v23, v53, v52, v23
.LBB300_2338:                           ;   in Loop: Header=BB300_1574 Depth=1
	s_or_b32 exec_lo, exec_lo, s17
.LBB300_2339:                           ;   in Loop: Header=BB300_1574 Depth=1
	s_delay_alu instid0(SALU_CYCLE_1)
	s_or_b32 exec_lo, exec_lo, s16
.LBB300_2340:                           ;   in Loop: Header=BB300_1574 Depth=1
	s_delay_alu instid0(SALU_CYCLE_1) | instskip(SKIP_3) | instid1(VALU_DEP_2)
	s_or_b32 exec_lo, exec_lo, s9
	v_lshrrev_b16 v6, 8, v6
	v_mov_b32_e32 v52, 0
	s_mov_b32 s9, exec_lo
	v_cmpx_ne_u16_e32 0, v6
	s_cbranch_execz .LBB300_2348
; %bb.2341:                             ;   in Loop: Header=BB300_1574 Depth=1
	v_bfrev_b32_e32 v52, 1
	s_mov_b32 s16, exec_lo
	v_cmpx_ne_u16_e32 0x80, v6
	s_cbranch_execz .LBB300_2347
; %bb.2342:                             ;   in Loop: Header=BB300_1574 Depth=1
	v_and_b32_e32 v53, 0xffff, v6
	v_mov_b32_e32 v52, 0x7c010000
	s_mov_b32 s17, exec_lo
	s_delay_alu instid0(VALU_DEP_2) | instskip(NEXT) | instid1(VALU_DEP_1)
	v_and_b32_e32 v55, 0x7f, v53
	v_cmpx_ne_u32_e32 0x7f, v55
	s_cbranch_execz .LBB300_2346
; %bb.2343:                             ;   in Loop: Header=BB300_1574 Depth=1
	v_dual_lshrrev_b32 v54, 3, v55 :: v_dual_bitop2_b32 v52, 7, v53 bitop3:0x40
	s_mov_b32 s18, exec_lo
	v_cmpx_gt_u32_e32 8, v55
; %bb.2344:                             ;   in Loop: Header=BB300_1574 Depth=1
	s_delay_alu instid0(VALU_DEP_2) | instskip(NEXT) | instid1(VALU_DEP_1)
	v_clz_i32_u32_e32 v52, v52
	v_min_u32_e32 v52, 32, v52
	s_delay_alu instid0(VALU_DEP_1) | instskip(NEXT) | instid1(VALU_DEP_1)
	v_subrev_nc_u32_e32 v54, 28, v52
	v_lshlrev_b64_e32 v[64:65], v54, v[6:7]
	v_sub_nc_u32_e32 v54, 29, v52
	s_delay_alu instid0(VALU_DEP_2)
	v_and_b32_e32 v52, 7, v64
; %bb.2345:                             ;   in Loop: Header=BB300_1574 Depth=1
	s_or_b32 exec_lo, exec_lo, s18
	s_delay_alu instid0(VALU_DEP_1) | instskip(NEXT) | instid1(VALU_DEP_3)
	v_dual_lshlrev_b32 v6, 8, v53 :: v_dual_lshlrev_b32 v52, 23, v52
	v_lshl_add_u32 v53, v54, 10, 0x2000
	s_delay_alu instid0(VALU_DEP_1) | instskip(NEXT) | instid1(VALU_DEP_1)
	v_and_or_b32 v6, 0x8000, v6, v53
	v_lshl_or_b32 v52, v6, 16, v52
.LBB300_2346:                           ;   in Loop: Header=BB300_1574 Depth=1
	s_or_b32 exec_lo, exec_lo, s17
.LBB300_2347:                           ;   in Loop: Header=BB300_1574 Depth=1
	s_delay_alu instid0(SALU_CYCLE_1)
	s_or_b32 exec_lo, exec_lo, s16
.LBB300_2348:                           ;   in Loop: Header=BB300_1574 Depth=1
	s_delay_alu instid0(SALU_CYCLE_1) | instskip(SKIP_2) | instid1(VALU_DEP_1)
	s_or_b32 exec_lo, exec_lo, s9
	v_lshrrev_b32_e32 v6, 16, v51
	s_mov_b32 s9, exec_lo
	v_and_b32_e32 v53, 0xff, v6
	s_delay_alu instid0(VALU_DEP_1)
	v_cmpx_ne_u16_e32 0, v53
	s_cbranch_execz .LBB300_2356
; %bb.2349:                             ;   in Loop: Header=BB300_1574 Depth=1
	v_mov_b32_e32 v49, 0x8000
	s_mov_b32 s16, exec_lo
	v_cmpx_ne_u16_e32 0x80, v53
	s_cbranch_execz .LBB300_2355
; %bb.2350:                             ;   in Loop: Header=BB300_1574 Depth=1
	v_bfe_u32 v54, v51, 16, 7
	v_mov_b32_e32 v49, 0x7c01
	s_mov_b32 s17, exec_lo
	s_delay_alu instid0(VALU_DEP_2)
	v_cmpx_ne_u32_e32 0x7f, v54
	s_cbranch_execz .LBB300_2354
; %bb.2351:                             ;   in Loop: Header=BB300_1574 Depth=1
	v_and_b32_e32 v49, 7, v6
	v_lshrrev_b32_e32 v53, 3, v54
	s_mov_b32 s18, exec_lo
	v_cmpx_gt_u32_e32 8, v54
; %bb.2352:                             ;   in Loop: Header=BB300_1574 Depth=1
	s_delay_alu instid0(VALU_DEP_3) | instskip(NEXT) | instid1(VALU_DEP_1)
	v_clz_i32_u32_e32 v49, v49
	v_min_u32_e32 v49, 32, v49
	s_delay_alu instid0(VALU_DEP_1) | instskip(NEXT) | instid1(VALU_DEP_1)
	v_subrev_nc_u32_e32 v53, 28, v49
	v_lshlrev_b64_e32 v[54:55], v53, v[6:7]
	s_delay_alu instid0(VALU_DEP_1)
	v_dual_sub_nc_u32 v53, 29, v49 :: v_dual_bitop2_b32 v49, 7, v54 bitop3:0x40
; %bb.2353:                             ;   in Loop: Header=BB300_1574 Depth=1
	s_or_b32 exec_lo, exec_lo, s18
	s_delay_alu instid0(VALU_DEP_1) | instskip(NEXT) | instid1(VALU_DEP_2)
	v_dual_lshlrev_b32 v6, 8, v6 :: v_dual_lshlrev_b32 v49, 7, v49
	v_lshl_add_u32 v53, v53, 10, 0x2000
	s_delay_alu instid0(VALU_DEP_2) | instskip(NEXT) | instid1(VALU_DEP_2)
	v_and_b32_e32 v6, 0x8000, v6
	v_and_b32_e32 v53, 0xfc00, v53
	s_delay_alu instid0(VALU_DEP_1)
	v_or3_b32 v49, v6, v53, v49
.LBB300_2354:                           ;   in Loop: Header=BB300_1574 Depth=1
	s_or_b32 exec_lo, exec_lo, s17
.LBB300_2355:                           ;   in Loop: Header=BB300_1574 Depth=1
	s_delay_alu instid0(SALU_CYCLE_1)
	s_or_b32 exec_lo, exec_lo, s16
.LBB300_2356:                           ;   in Loop: Header=BB300_1574 Depth=1
	s_delay_alu instid0(SALU_CYCLE_1)
	s_or_b32 exec_lo, exec_lo, s9
	v_cmp_lt_u64_e64 s0, s[2:3], v[50:51]
	v_mov_b32_e32 v50, 0
	s_and_saveexec_b32 s9, s0
	s_cbranch_execz .LBB300_2364
; %bb.2357:                             ;   in Loop: Header=BB300_1574 Depth=1
	v_lshrrev_b32_e32 v6, 24, v51
	v_bfrev_b32_e32 v50, 1
	s_mov_b32 s16, exec_lo
	s_delay_alu instid0(VALU_DEP_2)
	v_cmpx_ne_u32_e32 0x80, v6
	s_cbranch_execz .LBB300_2363
; %bb.2358:                             ;   in Loop: Header=BB300_1574 Depth=1
	v_and_b32_e32 v53, 0x7f, v6
	v_mov_b32_e32 v50, 0x7c010000
	s_mov_b32 s17, exec_lo
	s_delay_alu instid0(VALU_DEP_2)
	v_cmpx_ne_u32_e32 0x7f, v53
	s_cbranch_execz .LBB300_2362
; %bb.2359:                             ;   in Loop: Header=BB300_1574 Depth=1
	v_dual_lshrrev_b32 v51, 3, v53 :: v_dual_bitop2_b32 v50, 7, v6 bitop3:0x40
	s_mov_b32 s18, exec_lo
	v_cmpx_gt_u32_e32 8, v53
; %bb.2360:                             ;   in Loop: Header=BB300_1574 Depth=1
	s_delay_alu instid0(VALU_DEP_2) | instskip(NEXT) | instid1(VALU_DEP_1)
	v_clz_i32_u32_e32 v50, v50
	v_min_u32_e32 v53, 32, v50
	s_delay_alu instid0(VALU_DEP_1) | instskip(NEXT) | instid1(VALU_DEP_1)
	v_subrev_nc_u32_e32 v50, 28, v53
	v_lshlrev_b64_e32 v[50:51], v50, v[6:7]
	s_delay_alu instid0(VALU_DEP_1)
	v_dual_sub_nc_u32 v51, 29, v53 :: v_dual_bitop2_b32 v50, 7, v50 bitop3:0x40
; %bb.2361:                             ;   in Loop: Header=BB300_1574 Depth=1
	s_or_b32 exec_lo, exec_lo, s18
	v_lshlrev_b32_e32 v6, 8, v6
	s_delay_alu instid0(VALU_DEP_2) | instskip(NEXT) | instid1(VALU_DEP_3)
	v_lshl_add_u32 v51, v51, 10, 0x2000
	v_lshlrev_b32_e32 v50, 23, v50
	s_delay_alu instid0(VALU_DEP_2) | instskip(NEXT) | instid1(VALU_DEP_1)
	v_and_or_b32 v6, 0x8000, v6, v51
	v_lshl_or_b32 v50, v6, 16, v50
.LBB300_2362:                           ;   in Loop: Header=BB300_1574 Depth=1
	s_or_b32 exec_lo, exec_lo, s17
.LBB300_2363:                           ;   in Loop: Header=BB300_1574 Depth=1
	s_delay_alu instid0(SALU_CYCLE_1)
	s_or_b32 exec_lo, exec_lo, s16
.LBB300_2364:                           ;   in Loop: Header=BB300_1574 Depth=1
	s_delay_alu instid0(SALU_CYCLE_1) | instskip(SKIP_4) | instid1(VALU_DEP_4)
	s_or_b32 exec_lo, exec_lo, s9
	v_dual_lshrrev_b32 v6, 16, v1 :: v_dual_lshrrev_b32 v51, 16, v19
	v_or_b32_e32 v1, v1, v18
	v_or_b32_e32 v22, v19, v22
	;; [unrolled: 1-line block ×3, first 2 shown]
	v_cvt_f32_f16_e32 v19, v6
	v_cvt_f32_f16_e32 v18, v51
	v_dual_lshrrev_b32 v50, 16, v50 :: v_dual_bitop2_b32 v6, v50, v49 bitop3:0x54
	v_lshrrev_b32_e32 v49, 16, v52
	v_cvt_f32_f16_e32 v23, v1
	s_delay_alu instid0(VALU_DEP_3) | instskip(NEXT) | instid1(VALU_DEP_4)
	v_cvt_f32_f16_e32 v52, v6
	v_cvt_f32_f16_e32 v50, v50
	s_wait_loadcnt_dscnt 0x0
	v_pk_mul_f32 v[18:19], v[48:49], v[18:19] op_sel_hi:[0,1]
	v_cvt_f32_f16_e32 v51, v49
	s_delay_alu instid0(VALU_DEP_2) | instskip(NEXT) | instid1(VALU_DEP_2)
	v_cvt_pk_f16_f32 v1, v18, v19
	v_pk_mul_f32 v[18:19], v[48:49], v[50:51] op_sel_hi:[0,1]
	s_delay_alu instid0(VALU_DEP_2) | instskip(SKIP_2) | instid1(VALU_DEP_4)
	v_lshlrev_b32_e32 v50, 16, v1
	v_cvt_f32_f16_e32 v22, v22
	v_and_b32_e32 v51, 0xffff0000, v1
	v_cvt_pk_f16_f32 v18, v18, v19
	s_delay_alu instid0(VALU_DEP_3) | instskip(NEXT) | instid1(VALU_DEP_2)
	v_pk_mul_f32 v[22:23], v[48:49], v[22:23] op_sel_hi:[0,1]
	v_and_b32_e32 v19, 0xffff0000, v18
	s_delay_alu instid0(VALU_DEP_2) | instskip(NEXT) | instid1(VALU_DEP_1)
	v_cvt_pk_f16_f32 v6, v22, v23
	v_lshrrev_b32_e32 v65, 16, v6
	v_cvt_f32_f16_e32 v53, v53
	v_and_b32_e32 v64, 0xffff, v6
	s_delay_alu instid0(VALU_DEP_3) | instskip(NEXT) | instid1(VALU_DEP_3)
	v_or_b32_e32 v55, v51, v65
	v_pk_mul_f32 v[48:49], v[48:49], v[52:53] op_sel_hi:[0,1]
	s_delay_alu instid0(VALU_DEP_3) | instskip(NEXT) | instid1(VALU_DEP_2)
	v_or_b32_e32 v54, v50, v64
	v_cvt_pk_f16_f32 v1, v48, v49
	s_delay_alu instid0(VALU_DEP_1) | instskip(SKIP_1) | instid1(VALU_DEP_2)
	v_dual_lshlrev_b32 v6, 16, v18 :: v_dual_lshrrev_b32 v49, 16, v1
	v_and_b32_e32 v48, 0xffff, v1
	v_or_b32_e32 v53, v19, v49
	s_delay_alu instid0(VALU_DEP_2)
	v_or_b32_e32 v52, v6, v48
	s_and_saveexec_b32 s9, vcc_lo
	s_cbranch_execz .LBB300_2366
; %bb.2365:                             ;   in Loop: Header=BB300_1574 Depth=1
	v_cmp_lt_i32_e64 s0, v70, v13
	s_delay_alu instid0(VALU_DEP_1) | instskip(SKIP_1) | instid1(VALU_DEP_1)
	v_cndmask_b32_e64 v1, 0, v65, s0
	v_cmp_lt_i32_e64 s0, v86, v12
	v_cndmask_b32_e64 v18, 0, v64, s0
	v_cmp_lt_i32_e64 s0, v85, v13
	s_delay_alu instid0(VALU_DEP_1) | instskip(SKIP_1) | instid1(VALU_DEP_1)
	v_cndmask_b32_e64 v22, 0, v51, s0
	v_cmp_lt_i32_e64 s0, v84, v12
	v_cndmask_b32_e64 v23, 0, v50, s0
	v_cmp_lt_i32_e64 s0, v83, v13
	s_delay_alu instid0(VALU_DEP_4) | instskip(NEXT) | instid1(VALU_DEP_2)
	v_or_b32_e32 v55, v1, v22
	v_dual_cndmask_b32 v49, 0, v49, s0 :: v_dual_bitop2_b32 v54, v18, v23 bitop3:0x54
	v_cmp_lt_i32_e64 s0, v82, v12
	s_delay_alu instid0(VALU_DEP_1) | instskip(SKIP_1) | instid1(VALU_DEP_1)
	v_cndmask_b32_e64 v48, 0, v48, s0
	v_cmp_lt_i32_e64 s0, v81, v13
	v_cndmask_b32_e64 v19, 0, v19, s0
	v_cmp_lt_i32_e64 s0, v0, v12
	s_delay_alu instid0(VALU_DEP_1) | instskip(NEXT) | instid1(VALU_DEP_1)
	v_dual_cndmask_b32 v6, 0, v6, s0 :: v_dual_bitop2_b32 v53, v49, v19 bitop3:0x54
	v_or_b32_e32 v52, v48, v6
.LBB300_2366:                           ;   in Loop: Header=BB300_1574 Depth=1
	s_or_b32 exec_lo, exec_lo, s9
	;;#ASMSTART
	v_pk_mul_f16 v1, v98, v55;

	;;#ASMEND
	;;#ASMSTART
	v_pk_mul_f16 v6, v97, v54;

	;;#ASMEND
	;; [unrolled: 4-line block ×4, first 2 shown]
	;;#ASMSTART
	v_pk_add_f16 v1, v1, v6;

	;;#ASMEND
	;;#ASMSTART
	v_pk_add_f16 v1, v1, v18;

	;;#ASMEND
	;; [unrolled: 4-line block ×3, first 2 shown]
	v_and_b32_e32 v6, 0xffff, v1
	v_lshrrev_b32_e32 v1, 16, v1
	;;#ASMSTART
	v_cvt_f32_f16 v57, v6;
	;;#ASMEND
	;;#ASMSTART
	v_cvt_f32_f16 v58, v1;
	;;#ASMEND
	flat_load_b64 v[50:51], v[36:37] offset:3072
	scratch_load_b64 v[18:19], off, s32 offset:192 ; 8-byte Folded Reload
	v_mov_b32_e32 v1, 0
	s_mov_b32 s9, exec_lo
	s_wait_loadcnt_dscnt 0x100
	v_and_b32_e32 v6, 0xff, v50
	s_wait_loadcnt 0x0
	flat_load_b32 v48, v[18:19]
	s_wait_xcnt 0x0
	v_mov_b32_e32 v18, 0
	v_cmpx_ne_u16_e32 0, v6
	s_cbranch_execz .LBB300_2374
; %bb.2367:                             ;   in Loop: Header=BB300_1574 Depth=1
	v_mov_b32_e32 v18, 0x8000
	s_mov_b32 s16, exec_lo
	v_cmpx_ne_u16_e32 0x80, v6
	s_cbranch_execz .LBB300_2373
; %bb.2368:                             ;   in Loop: Header=BB300_1574 Depth=1
	v_and_b32_e32 v19, 0x7f, v50
	v_mov_b32_e32 v18, 0x7c01
	s_mov_b32 s17, exec_lo
	s_delay_alu instid0(VALU_DEP_2)
	v_cmpx_ne_u32_e32 0x7f, v19
	s_cbranch_execz .LBB300_2372
; %bb.2369:                             ;   in Loop: Header=BB300_1574 Depth=1
	v_dual_lshrrev_b32 v18, 3, v19 :: v_dual_bitop2_b32 v6, 7, v50 bitop3:0x40
	s_mov_b32 s18, exec_lo
	v_cmpx_gt_u32_e32 8, v19
; %bb.2370:                             ;   in Loop: Header=BB300_1574 Depth=1
	s_delay_alu instid0(VALU_DEP_2) | instskip(NEXT) | instid1(VALU_DEP_1)
	v_clz_i32_u32_e32 v6, v6
	v_min_u32_e32 v6, 32, v6
	s_delay_alu instid0(VALU_DEP_1) | instskip(NEXT) | instid1(VALU_DEP_1)
	v_subrev_nc_u32_e32 v18, 28, v6
	v_lshlrev_b64_e32 v[22:23], v18, v[50:51]
	v_sub_nc_u32_e32 v18, 29, v6
	s_delay_alu instid0(VALU_DEP_2)
	v_and_b32_e32 v6, 7, v22
; %bb.2371:                             ;   in Loop: Header=BB300_1574 Depth=1
	s_or_b32 exec_lo, exec_lo, s18
	v_lshlrev_b32_e32 v19, 8, v50
	s_delay_alu instid0(VALU_DEP_3) | instskip(NEXT) | instid1(VALU_DEP_3)
	v_lshl_add_u32 v18, v18, 10, 0x2000
	v_lshlrev_b32_e32 v6, 7, v6
	s_delay_alu instid0(VALU_DEP_3) | instskip(NEXT) | instid1(VALU_DEP_3)
	v_and_b32_e32 v19, 0x8000, v19
	v_and_b32_e32 v18, 0xfc00, v18
	s_delay_alu instid0(VALU_DEP_1)
	v_or3_b32 v18, v19, v18, v6
.LBB300_2372:                           ;   in Loop: Header=BB300_1574 Depth=1
	s_or_b32 exec_lo, exec_lo, s17
.LBB300_2373:                           ;   in Loop: Header=BB300_1574 Depth=1
	s_delay_alu instid0(SALU_CYCLE_1)
	s_or_b32 exec_lo, exec_lo, s16
.LBB300_2374:                           ;   in Loop: Header=BB300_1574 Depth=1
	s_delay_alu instid0(SALU_CYCLE_1) | instskip(SKIP_2) | instid1(VALU_DEP_1)
	s_or_b32 exec_lo, exec_lo, s9
	v_lshrrev_b16 v6, 8, v50
	s_mov_b32 s9, exec_lo
	v_cmpx_ne_u16_e32 0, v6
	s_cbranch_execz .LBB300_2382
; %bb.2375:                             ;   in Loop: Header=BB300_1574 Depth=1
	v_bfrev_b32_e32 v1, 1
	s_mov_b32 s16, exec_lo
	v_cmpx_ne_u16_e32 0x80, v6
	s_cbranch_execz .LBB300_2381
; %bb.2376:                             ;   in Loop: Header=BB300_1574 Depth=1
	v_and_b32_e32 v19, 0xffff, v6
	v_mov_b32_e32 v1, 0x7c010000
	s_mov_b32 s17, exec_lo
	s_delay_alu instid0(VALU_DEP_2) | instskip(NEXT) | instid1(VALU_DEP_1)
	v_and_b32_e32 v23, 0x7f, v19
	v_cmpx_ne_u32_e32 0x7f, v23
	s_cbranch_execz .LBB300_2380
; %bb.2377:                             ;   in Loop: Header=BB300_1574 Depth=1
	v_and_b32_e32 v1, 7, v19
	v_lshrrev_b32_e32 v22, 3, v23
	s_mov_b32 s18, exec_lo
	v_cmpx_gt_u32_e32 8, v23
; %bb.2378:                             ;   in Loop: Header=BB300_1574 Depth=1
	s_delay_alu instid0(VALU_DEP_3) | instskip(NEXT) | instid1(VALU_DEP_1)
	v_clz_i32_u32_e32 v1, v1
	v_min_u32_e32 v1, 32, v1
	s_delay_alu instid0(VALU_DEP_1) | instskip(NEXT) | instid1(VALU_DEP_1)
	v_subrev_nc_u32_e32 v22, 28, v1
	v_lshlrev_b64_e32 v[52:53], v22, v[6:7]
	s_delay_alu instid0(VALU_DEP_1)
	v_dual_sub_nc_u32 v22, 29, v1 :: v_dual_bitop2_b32 v1, 7, v52 bitop3:0x40
; %bb.2379:                             ;   in Loop: Header=BB300_1574 Depth=1
	s_or_b32 exec_lo, exec_lo, s18
	s_delay_alu instid0(VALU_DEP_1) | instskip(NEXT) | instid1(VALU_DEP_2)
	v_dual_lshlrev_b32 v6, 8, v19 :: v_dual_lshlrev_b32 v1, 23, v1
	v_lshl_add_u32 v19, v22, 10, 0x2000
	s_delay_alu instid0(VALU_DEP_1) | instskip(NEXT) | instid1(VALU_DEP_1)
	v_and_or_b32 v6, 0x8000, v6, v19
	v_lshl_or_b32 v1, v6, 16, v1
.LBB300_2380:                           ;   in Loop: Header=BB300_1574 Depth=1
	s_or_b32 exec_lo, exec_lo, s17
.LBB300_2381:                           ;   in Loop: Header=BB300_1574 Depth=1
	s_delay_alu instid0(SALU_CYCLE_1)
	s_or_b32 exec_lo, exec_lo, s16
.LBB300_2382:                           ;   in Loop: Header=BB300_1574 Depth=1
	s_delay_alu instid0(SALU_CYCLE_1) | instskip(SKIP_3) | instid1(VALU_DEP_2)
	s_or_b32 exec_lo, exec_lo, s9
	v_dual_mov_b32 v19, 0 :: v_dual_lshrrev_b32 v6, 16, v50
	v_mov_b32_e32 v22, 0
	s_mov_b32 s9, exec_lo
	v_and_b32_e32 v23, 0xff, v6
	s_delay_alu instid0(VALU_DEP_1)
	v_cmpx_ne_u16_e32 0, v23
	s_cbranch_execz .LBB300_2390
; %bb.2383:                             ;   in Loop: Header=BB300_1574 Depth=1
	v_mov_b32_e32 v22, 0x8000
	s_mov_b32 s16, exec_lo
	v_cmpx_ne_u16_e32 0x80, v23
	s_cbranch_execz .LBB300_2389
; %bb.2384:                             ;   in Loop: Header=BB300_1574 Depth=1
	v_bfe_u32 v49, v50, 16, 7
	v_mov_b32_e32 v22, 0x7c01
	s_mov_b32 s17, exec_lo
	s_delay_alu instid0(VALU_DEP_2)
	v_cmpx_ne_u32_e32 0x7f, v49
	s_cbranch_execz .LBB300_2388
; %bb.2385:                             ;   in Loop: Header=BB300_1574 Depth=1
	v_dual_lshrrev_b32 v23, 3, v49 :: v_dual_bitop2_b32 v22, 7, v6 bitop3:0x40
	s_mov_b32 s18, exec_lo
	v_cmpx_gt_u32_e32 8, v49
; %bb.2386:                             ;   in Loop: Header=BB300_1574 Depth=1
	s_delay_alu instid0(VALU_DEP_2) | instskip(NEXT) | instid1(VALU_DEP_1)
	v_clz_i32_u32_e32 v22, v22
	v_min_u32_e32 v49, 32, v22
	s_delay_alu instid0(VALU_DEP_1) | instskip(NEXT) | instid1(VALU_DEP_1)
	v_subrev_nc_u32_e32 v22, 28, v49
	v_lshlrev_b64_e32 v[22:23], v22, v[6:7]
	s_delay_alu instid0(VALU_DEP_1)
	v_dual_sub_nc_u32 v23, 29, v49 :: v_dual_bitop2_b32 v22, 7, v22 bitop3:0x40
; %bb.2387:                             ;   in Loop: Header=BB300_1574 Depth=1
	s_or_b32 exec_lo, exec_lo, s18
	v_lshlrev_b32_e32 v6, 8, v6
	s_delay_alu instid0(VALU_DEP_2) | instskip(NEXT) | instid1(VALU_DEP_3)
	v_lshl_add_u32 v23, v23, 10, 0x2000
	v_lshlrev_b32_e32 v22, 7, v22
	s_delay_alu instid0(VALU_DEP_3) | instskip(NEXT) | instid1(VALU_DEP_3)
	v_and_b32_e32 v6, 0x8000, v6
	v_and_b32_e32 v23, 0xfc00, v23
	s_delay_alu instid0(VALU_DEP_1)
	v_or3_b32 v22, v6, v23, v22
.LBB300_2388:                           ;   in Loop: Header=BB300_1574 Depth=1
	s_or_b32 exec_lo, exec_lo, s17
.LBB300_2389:                           ;   in Loop: Header=BB300_1574 Depth=1
	s_delay_alu instid0(SALU_CYCLE_1)
	s_or_b32 exec_lo, exec_lo, s16
.LBB300_2390:                           ;   in Loop: Header=BB300_1574 Depth=1
	s_delay_alu instid0(SALU_CYCLE_1) | instskip(NEXT) | instid1(SALU_CYCLE_1)
	s_or_b32 exec_lo, exec_lo, s9
	s_mov_b32 s9, exec_lo
	v_cmpx_lt_u32_e32 0xffffff, v50
	s_cbranch_execz .LBB300_2398
; %bb.2391:                             ;   in Loop: Header=BB300_1574 Depth=1
	v_lshrrev_b32_e32 v6, 24, v50
	v_bfrev_b32_e32 v19, 1
	s_mov_b32 s16, exec_lo
	s_delay_alu instid0(VALU_DEP_2)
	v_cmpx_ne_u32_e32 0x80, v6
	s_cbranch_execz .LBB300_2397
; %bb.2392:                             ;   in Loop: Header=BB300_1574 Depth=1
	v_and_b32_e32 v49, 0x7f, v6
	v_mov_b32_e32 v19, 0x7c010000
	s_mov_b32 s17, exec_lo
	s_delay_alu instid0(VALU_DEP_2)
	v_cmpx_ne_u32_e32 0x7f, v49
	s_cbranch_execz .LBB300_2396
; %bb.2393:                             ;   in Loop: Header=BB300_1574 Depth=1
	v_dual_lshrrev_b32 v23, 3, v49 :: v_dual_bitop2_b32 v19, 7, v6 bitop3:0x40
	s_mov_b32 s18, exec_lo
	v_cmpx_gt_u32_e32 8, v49
; %bb.2394:                             ;   in Loop: Header=BB300_1574 Depth=1
	s_delay_alu instid0(VALU_DEP_2) | instskip(NEXT) | instid1(VALU_DEP_1)
	v_clz_i32_u32_e32 v19, v19
	v_min_u32_e32 v19, 32, v19
	s_delay_alu instid0(VALU_DEP_1) | instskip(NEXT) | instid1(VALU_DEP_1)
	v_subrev_nc_u32_e32 v23, 28, v19
	v_lshlrev_b64_e32 v[52:53], v23, v[6:7]
	s_delay_alu instid0(VALU_DEP_1)
	v_dual_sub_nc_u32 v23, 29, v19 :: v_dual_bitop2_b32 v19, 7, v52 bitop3:0x40
; %bb.2395:                             ;   in Loop: Header=BB300_1574 Depth=1
	s_or_b32 exec_lo, exec_lo, s18
	s_delay_alu instid0(VALU_DEP_1) | instskip(NEXT) | instid1(VALU_DEP_2)
	v_dual_lshlrev_b32 v6, 8, v6 :: v_dual_lshlrev_b32 v19, 23, v19
	v_lshl_add_u32 v23, v23, 10, 0x2000
	s_delay_alu instid0(VALU_DEP_1) | instskip(NEXT) | instid1(VALU_DEP_1)
	v_and_or_b32 v6, 0x8000, v6, v23
	v_lshl_or_b32 v19, v6, 16, v19
.LBB300_2396:                           ;   in Loop: Header=BB300_1574 Depth=1
	s_or_b32 exec_lo, exec_lo, s17
.LBB300_2397:                           ;   in Loop: Header=BB300_1574 Depth=1
	s_delay_alu instid0(SALU_CYCLE_1)
	s_or_b32 exec_lo, exec_lo, s16
.LBB300_2398:                           ;   in Loop: Header=BB300_1574 Depth=1
	s_delay_alu instid0(SALU_CYCLE_1) | instskip(SKIP_4) | instid1(VALU_DEP_3)
	s_or_b32 exec_lo, exec_lo, s9
	v_and_b32_e32 v52, 0xff, v51
	v_dual_mov_b32 v6, v51 :: v_dual_mov_b32 v49, 0
	v_mov_b32_e32 v23, 0
	s_mov_b32 s9, exec_lo
	v_cmpx_ne_u16_e32 0, v52
	s_cbranch_execz .LBB300_2406
; %bb.2399:                             ;   in Loop: Header=BB300_1574 Depth=1
	v_mov_b32_e32 v23, 0x8000
	s_mov_b32 s16, exec_lo
	v_cmpx_ne_u16_e32 0x80, v52
	s_cbranch_execz .LBB300_2405
; %bb.2400:                             ;   in Loop: Header=BB300_1574 Depth=1
	v_and_b32_e32 v53, 0x7f, v51
	v_mov_b32_e32 v23, 0x7c01
	s_mov_b32 s17, exec_lo
	s_delay_alu instid0(VALU_DEP_2)
	v_cmpx_ne_u32_e32 0x7f, v53
	s_cbranch_execz .LBB300_2404
; %bb.2401:                             ;   in Loop: Header=BB300_1574 Depth=1
	v_dual_lshrrev_b32 v52, 3, v53 :: v_dual_bitop2_b32 v23, 7, v51 bitop3:0x40
	s_mov_b32 s18, exec_lo
	v_cmpx_gt_u32_e32 8, v53
; %bb.2402:                             ;   in Loop: Header=BB300_1574 Depth=1
	s_delay_alu instid0(VALU_DEP_2) | instskip(NEXT) | instid1(VALU_DEP_1)
	v_clz_i32_u32_e32 v23, v23
	v_min_u32_e32 v23, 32, v23
	s_delay_alu instid0(VALU_DEP_1) | instskip(NEXT) | instid1(VALU_DEP_1)
	v_subrev_nc_u32_e32 v52, 28, v23
	v_lshlrev_b64_e32 v[54:55], v52, v[6:7]
	s_delay_alu instid0(VALU_DEP_1)
	v_dual_sub_nc_u32 v52, 29, v23 :: v_dual_bitop2_b32 v23, 7, v54 bitop3:0x40
; %bb.2403:                             ;   in Loop: Header=BB300_1574 Depth=1
	s_or_b32 exec_lo, exec_lo, s18
	v_lshlrev_b32_e32 v53, 8, v51
	s_delay_alu instid0(VALU_DEP_2) | instskip(NEXT) | instid1(VALU_DEP_3)
	v_lshl_add_u32 v52, v52, 10, 0x2000
	v_lshlrev_b32_e32 v23, 7, v23
	s_delay_alu instid0(VALU_DEP_3) | instskip(NEXT) | instid1(VALU_DEP_3)
	v_and_b32_e32 v53, 0x8000, v53
	v_and_b32_e32 v52, 0xfc00, v52
	s_delay_alu instid0(VALU_DEP_1)
	v_or3_b32 v23, v53, v52, v23
.LBB300_2404:                           ;   in Loop: Header=BB300_1574 Depth=1
	s_or_b32 exec_lo, exec_lo, s17
.LBB300_2405:                           ;   in Loop: Header=BB300_1574 Depth=1
	s_delay_alu instid0(SALU_CYCLE_1)
	s_or_b32 exec_lo, exec_lo, s16
.LBB300_2406:                           ;   in Loop: Header=BB300_1574 Depth=1
	s_delay_alu instid0(SALU_CYCLE_1) | instskip(SKIP_3) | instid1(VALU_DEP_2)
	s_or_b32 exec_lo, exec_lo, s9
	v_lshrrev_b16 v6, 8, v6
	v_mov_b32_e32 v52, 0
	s_mov_b32 s9, exec_lo
	v_cmpx_ne_u16_e32 0, v6
	s_cbranch_execz .LBB300_2414
; %bb.2407:                             ;   in Loop: Header=BB300_1574 Depth=1
	v_bfrev_b32_e32 v52, 1
	s_mov_b32 s16, exec_lo
	v_cmpx_ne_u16_e32 0x80, v6
	s_cbranch_execz .LBB300_2413
; %bb.2408:                             ;   in Loop: Header=BB300_1574 Depth=1
	v_and_b32_e32 v53, 0xffff, v6
	v_mov_b32_e32 v52, 0x7c010000
	s_mov_b32 s17, exec_lo
	s_delay_alu instid0(VALU_DEP_2) | instskip(NEXT) | instid1(VALU_DEP_1)
	v_and_b32_e32 v55, 0x7f, v53
	v_cmpx_ne_u32_e32 0x7f, v55
	s_cbranch_execz .LBB300_2412
; %bb.2409:                             ;   in Loop: Header=BB300_1574 Depth=1
	v_dual_lshrrev_b32 v54, 3, v55 :: v_dual_bitop2_b32 v52, 7, v53 bitop3:0x40
	s_mov_b32 s18, exec_lo
	v_cmpx_gt_u32_e32 8, v55
; %bb.2410:                             ;   in Loop: Header=BB300_1574 Depth=1
	s_delay_alu instid0(VALU_DEP_2) | instskip(NEXT) | instid1(VALU_DEP_1)
	v_clz_i32_u32_e32 v52, v52
	v_min_u32_e32 v52, 32, v52
	s_delay_alu instid0(VALU_DEP_1) | instskip(NEXT) | instid1(VALU_DEP_1)
	v_subrev_nc_u32_e32 v54, 28, v52
	v_lshlrev_b64_e32 v[64:65], v54, v[6:7]
	v_sub_nc_u32_e32 v54, 29, v52
	s_delay_alu instid0(VALU_DEP_2)
	v_and_b32_e32 v52, 7, v64
; %bb.2411:                             ;   in Loop: Header=BB300_1574 Depth=1
	s_or_b32 exec_lo, exec_lo, s18
	s_delay_alu instid0(VALU_DEP_1) | instskip(NEXT) | instid1(VALU_DEP_3)
	v_dual_lshlrev_b32 v6, 8, v53 :: v_dual_lshlrev_b32 v52, 23, v52
	v_lshl_add_u32 v53, v54, 10, 0x2000
	s_delay_alu instid0(VALU_DEP_1) | instskip(NEXT) | instid1(VALU_DEP_1)
	v_and_or_b32 v6, 0x8000, v6, v53
	v_lshl_or_b32 v52, v6, 16, v52
.LBB300_2412:                           ;   in Loop: Header=BB300_1574 Depth=1
	s_or_b32 exec_lo, exec_lo, s17
.LBB300_2413:                           ;   in Loop: Header=BB300_1574 Depth=1
	s_delay_alu instid0(SALU_CYCLE_1)
	s_or_b32 exec_lo, exec_lo, s16
.LBB300_2414:                           ;   in Loop: Header=BB300_1574 Depth=1
	s_delay_alu instid0(SALU_CYCLE_1) | instskip(SKIP_2) | instid1(VALU_DEP_1)
	s_or_b32 exec_lo, exec_lo, s9
	v_lshrrev_b32_e32 v6, 16, v51
	s_mov_b32 s9, exec_lo
	v_and_b32_e32 v53, 0xff, v6
	s_delay_alu instid0(VALU_DEP_1)
	v_cmpx_ne_u16_e32 0, v53
	s_cbranch_execz .LBB300_2422
; %bb.2415:                             ;   in Loop: Header=BB300_1574 Depth=1
	v_mov_b32_e32 v49, 0x8000
	s_mov_b32 s16, exec_lo
	v_cmpx_ne_u16_e32 0x80, v53
	s_cbranch_execz .LBB300_2421
; %bb.2416:                             ;   in Loop: Header=BB300_1574 Depth=1
	v_bfe_u32 v54, v51, 16, 7
	v_mov_b32_e32 v49, 0x7c01
	s_mov_b32 s17, exec_lo
	s_delay_alu instid0(VALU_DEP_2)
	v_cmpx_ne_u32_e32 0x7f, v54
	s_cbranch_execz .LBB300_2420
; %bb.2417:                             ;   in Loop: Header=BB300_1574 Depth=1
	v_and_b32_e32 v49, 7, v6
	v_lshrrev_b32_e32 v53, 3, v54
	s_mov_b32 s18, exec_lo
	v_cmpx_gt_u32_e32 8, v54
; %bb.2418:                             ;   in Loop: Header=BB300_1574 Depth=1
	s_delay_alu instid0(VALU_DEP_3) | instskip(NEXT) | instid1(VALU_DEP_1)
	v_clz_i32_u32_e32 v49, v49
	v_min_u32_e32 v49, 32, v49
	s_delay_alu instid0(VALU_DEP_1) | instskip(NEXT) | instid1(VALU_DEP_1)
	v_subrev_nc_u32_e32 v53, 28, v49
	v_lshlrev_b64_e32 v[54:55], v53, v[6:7]
	s_delay_alu instid0(VALU_DEP_1)
	v_dual_sub_nc_u32 v53, 29, v49 :: v_dual_bitop2_b32 v49, 7, v54 bitop3:0x40
; %bb.2419:                             ;   in Loop: Header=BB300_1574 Depth=1
	s_or_b32 exec_lo, exec_lo, s18
	s_delay_alu instid0(VALU_DEP_1) | instskip(NEXT) | instid1(VALU_DEP_2)
	v_dual_lshlrev_b32 v6, 8, v6 :: v_dual_lshlrev_b32 v49, 7, v49
	v_lshl_add_u32 v53, v53, 10, 0x2000
	s_delay_alu instid0(VALU_DEP_2) | instskip(NEXT) | instid1(VALU_DEP_2)
	v_and_b32_e32 v6, 0x8000, v6
	v_and_b32_e32 v53, 0xfc00, v53
	s_delay_alu instid0(VALU_DEP_1)
	v_or3_b32 v49, v6, v53, v49
.LBB300_2420:                           ;   in Loop: Header=BB300_1574 Depth=1
	s_or_b32 exec_lo, exec_lo, s17
.LBB300_2421:                           ;   in Loop: Header=BB300_1574 Depth=1
	s_delay_alu instid0(SALU_CYCLE_1)
	s_or_b32 exec_lo, exec_lo, s16
.LBB300_2422:                           ;   in Loop: Header=BB300_1574 Depth=1
	s_delay_alu instid0(SALU_CYCLE_1)
	s_or_b32 exec_lo, exec_lo, s9
	v_cmp_lt_u64_e64 s0, s[2:3], v[50:51]
	v_mov_b32_e32 v50, 0
	s_and_saveexec_b32 s9, s0
	s_cbranch_execz .LBB300_2430
; %bb.2423:                             ;   in Loop: Header=BB300_1574 Depth=1
	v_lshrrev_b32_e32 v6, 24, v51
	v_bfrev_b32_e32 v50, 1
	s_mov_b32 s16, exec_lo
	s_delay_alu instid0(VALU_DEP_2)
	v_cmpx_ne_u32_e32 0x80, v6
	s_cbranch_execz .LBB300_2429
; %bb.2424:                             ;   in Loop: Header=BB300_1574 Depth=1
	v_and_b32_e32 v53, 0x7f, v6
	v_mov_b32_e32 v50, 0x7c010000
	s_mov_b32 s17, exec_lo
	s_delay_alu instid0(VALU_DEP_2)
	v_cmpx_ne_u32_e32 0x7f, v53
	s_cbranch_execz .LBB300_2428
; %bb.2425:                             ;   in Loop: Header=BB300_1574 Depth=1
	v_dual_lshrrev_b32 v51, 3, v53 :: v_dual_bitop2_b32 v50, 7, v6 bitop3:0x40
	s_mov_b32 s18, exec_lo
	v_cmpx_gt_u32_e32 8, v53
; %bb.2426:                             ;   in Loop: Header=BB300_1574 Depth=1
	s_delay_alu instid0(VALU_DEP_2) | instskip(NEXT) | instid1(VALU_DEP_1)
	v_clz_i32_u32_e32 v50, v50
	v_min_u32_e32 v53, 32, v50
	s_delay_alu instid0(VALU_DEP_1) | instskip(NEXT) | instid1(VALU_DEP_1)
	v_subrev_nc_u32_e32 v50, 28, v53
	v_lshlrev_b64_e32 v[50:51], v50, v[6:7]
	s_delay_alu instid0(VALU_DEP_1)
	v_dual_sub_nc_u32 v51, 29, v53 :: v_dual_bitop2_b32 v50, 7, v50 bitop3:0x40
; %bb.2427:                             ;   in Loop: Header=BB300_1574 Depth=1
	s_or_b32 exec_lo, exec_lo, s18
	v_lshlrev_b32_e32 v6, 8, v6
	s_delay_alu instid0(VALU_DEP_2) | instskip(NEXT) | instid1(VALU_DEP_3)
	v_lshl_add_u32 v51, v51, 10, 0x2000
	v_lshlrev_b32_e32 v50, 23, v50
	s_delay_alu instid0(VALU_DEP_2) | instskip(NEXT) | instid1(VALU_DEP_1)
	v_and_or_b32 v6, 0x8000, v6, v51
	v_lshl_or_b32 v50, v6, 16, v50
.LBB300_2428:                           ;   in Loop: Header=BB300_1574 Depth=1
	s_or_b32 exec_lo, exec_lo, s17
.LBB300_2429:                           ;   in Loop: Header=BB300_1574 Depth=1
	s_delay_alu instid0(SALU_CYCLE_1)
	s_or_b32 exec_lo, exec_lo, s16
.LBB300_2430:                           ;   in Loop: Header=BB300_1574 Depth=1
	s_delay_alu instid0(SALU_CYCLE_1) | instskip(SKIP_4) | instid1(VALU_DEP_4)
	s_or_b32 exec_lo, exec_lo, s9
	v_dual_lshrrev_b32 v6, 16, v1 :: v_dual_lshrrev_b32 v51, 16, v19
	v_or_b32_e32 v1, v1, v18
	v_or_b32_e32 v22, v19, v22
	;; [unrolled: 1-line block ×3, first 2 shown]
	v_cvt_f32_f16_e32 v19, v6
	v_cvt_f32_f16_e32 v18, v51
	v_dual_lshrrev_b32 v50, 16, v50 :: v_dual_bitop2_b32 v6, v50, v49 bitop3:0x54
	v_lshrrev_b32_e32 v49, 16, v52
	v_cvt_f32_f16_e32 v23, v1
	s_delay_alu instid0(VALU_DEP_3) | instskip(NEXT) | instid1(VALU_DEP_4)
	v_cvt_f32_f16_e32 v52, v6
	v_cvt_f32_f16_e32 v50, v50
	s_wait_loadcnt_dscnt 0x0
	v_pk_mul_f32 v[18:19], v[48:49], v[18:19] op_sel_hi:[0,1]
	v_cvt_f32_f16_e32 v51, v49
	s_delay_alu instid0(VALU_DEP_2) | instskip(NEXT) | instid1(VALU_DEP_2)
	v_cvt_pk_f16_f32 v1, v18, v19
	v_pk_mul_f32 v[18:19], v[48:49], v[50:51] op_sel_hi:[0,1]
	s_delay_alu instid0(VALU_DEP_2) | instskip(SKIP_2) | instid1(VALU_DEP_4)
	v_lshlrev_b32_e32 v50, 16, v1
	v_cvt_f32_f16_e32 v22, v22
	v_and_b32_e32 v51, 0xffff0000, v1
	v_cvt_pk_f16_f32 v18, v18, v19
	s_delay_alu instid0(VALU_DEP_3) | instskip(NEXT) | instid1(VALU_DEP_2)
	v_pk_mul_f32 v[22:23], v[48:49], v[22:23] op_sel_hi:[0,1]
	v_and_b32_e32 v19, 0xffff0000, v18
	s_delay_alu instid0(VALU_DEP_2) | instskip(NEXT) | instid1(VALU_DEP_1)
	v_cvt_pk_f16_f32 v6, v22, v23
	v_lshrrev_b32_e32 v65, 16, v6
	v_cvt_f32_f16_e32 v53, v53
	v_and_b32_e32 v64, 0xffff, v6
	s_delay_alu instid0(VALU_DEP_3) | instskip(NEXT) | instid1(VALU_DEP_3)
	v_or_b32_e32 v55, v51, v65
	v_pk_mul_f32 v[48:49], v[48:49], v[52:53] op_sel_hi:[0,1]
	s_delay_alu instid0(VALU_DEP_3) | instskip(NEXT) | instid1(VALU_DEP_2)
	v_or_b32_e32 v54, v50, v64
	v_cvt_pk_f16_f32 v1, v48, v49
	s_delay_alu instid0(VALU_DEP_1) | instskip(SKIP_1) | instid1(VALU_DEP_2)
	v_dual_lshlrev_b32 v6, 16, v18 :: v_dual_lshrrev_b32 v49, 16, v1
	v_and_b32_e32 v48, 0xffff, v1
	v_or_b32_e32 v53, v19, v49
	s_delay_alu instid0(VALU_DEP_2)
	v_or_b32_e32 v52, v6, v48
	s_and_saveexec_b32 s9, vcc_lo
	s_cbranch_execz .LBB300_2432
; %bb.2431:                             ;   in Loop: Header=BB300_1574 Depth=1
	v_cmp_lt_i32_e64 s0, v70, v13
	s_delay_alu instid0(VALU_DEP_1) | instskip(SKIP_1) | instid1(VALU_DEP_1)
	v_cndmask_b32_e64 v1, 0, v65, s0
	v_cmp_lt_i32_e64 s0, v86, v12
	v_cndmask_b32_e64 v18, 0, v64, s0
	v_cmp_lt_i32_e64 s0, v85, v13
	s_delay_alu instid0(VALU_DEP_1) | instskip(SKIP_1) | instid1(VALU_DEP_1)
	v_cndmask_b32_e64 v22, 0, v51, s0
	v_cmp_lt_i32_e64 s0, v84, v12
	v_cndmask_b32_e64 v23, 0, v50, s0
	v_cmp_lt_i32_e64 s0, v83, v13
	s_delay_alu instid0(VALU_DEP_4) | instskip(NEXT) | instid1(VALU_DEP_2)
	v_or_b32_e32 v55, v1, v22
	v_dual_cndmask_b32 v49, 0, v49, s0 :: v_dual_bitop2_b32 v54, v18, v23 bitop3:0x54
	v_cmp_lt_i32_e64 s0, v82, v12
	s_delay_alu instid0(VALU_DEP_1) | instskip(SKIP_1) | instid1(VALU_DEP_1)
	v_cndmask_b32_e64 v48, 0, v48, s0
	v_cmp_lt_i32_e64 s0, v81, v13
	v_cndmask_b32_e64 v19, 0, v19, s0
	v_cmp_lt_i32_e64 s0, v0, v12
	s_delay_alu instid0(VALU_DEP_1) | instskip(NEXT) | instid1(VALU_DEP_1)
	v_dual_cndmask_b32 v6, 0, v6, s0 :: v_dual_bitop2_b32 v53, v49, v19 bitop3:0x54
	v_or_b32_e32 v52, v48, v6
.LBB300_2432:                           ;   in Loop: Header=BB300_1574 Depth=1
	s_or_b32 exec_lo, exec_lo, s9
	;;#ASMSTART
	v_pk_mul_f16 v1, v98, v55;

	;;#ASMEND
	;;#ASMSTART
	v_pk_mul_f16 v6, v97, v54;

	;;#ASMEND
	;; [unrolled: 4-line block ×4, first 2 shown]
	;;#ASMSTART
	v_pk_add_f16 v1, v1, v6;

	;;#ASMEND
	;;#ASMSTART
	v_pk_add_f16 v1, v1, v18;

	;;#ASMEND
	;; [unrolled: 4-line block ×3, first 2 shown]
	v_and_b32_e32 v6, 0xffff, v1
	v_lshrrev_b32_e32 v1, 16, v1
	;;#ASMSTART
	v_cvt_f32_f16 v59, v6;
	;;#ASMEND
	;;#ASMSTART
	v_cvt_f32_f16 v60, v1;
	;;#ASMEND
	flat_load_b64 v[50:51], v[36:37] offset:3328
	scratch_load_b64 v[18:19], off, s32 offset:192 ; 8-byte Folded Reload
	v_mov_b32_e32 v1, 0
	s_mov_b32 s9, exec_lo
	s_wait_loadcnt_dscnt 0x100
	v_and_b32_e32 v6, 0xff, v50
	s_wait_loadcnt 0x0
	flat_load_b32 v48, v[18:19]
	s_wait_xcnt 0x0
	v_mov_b32_e32 v18, 0
	v_cmpx_ne_u16_e32 0, v6
	s_cbranch_execz .LBB300_2440
; %bb.2433:                             ;   in Loop: Header=BB300_1574 Depth=1
	v_mov_b32_e32 v18, 0x8000
	s_mov_b32 s16, exec_lo
	v_cmpx_ne_u16_e32 0x80, v6
	s_cbranch_execz .LBB300_2439
; %bb.2434:                             ;   in Loop: Header=BB300_1574 Depth=1
	v_and_b32_e32 v19, 0x7f, v50
	v_mov_b32_e32 v18, 0x7c01
	s_mov_b32 s17, exec_lo
	s_delay_alu instid0(VALU_DEP_2)
	v_cmpx_ne_u32_e32 0x7f, v19
	s_cbranch_execz .LBB300_2438
; %bb.2435:                             ;   in Loop: Header=BB300_1574 Depth=1
	v_dual_lshrrev_b32 v18, 3, v19 :: v_dual_bitop2_b32 v6, 7, v50 bitop3:0x40
	s_mov_b32 s18, exec_lo
	v_cmpx_gt_u32_e32 8, v19
; %bb.2436:                             ;   in Loop: Header=BB300_1574 Depth=1
	s_delay_alu instid0(VALU_DEP_2) | instskip(NEXT) | instid1(VALU_DEP_1)
	v_clz_i32_u32_e32 v6, v6
	v_min_u32_e32 v6, 32, v6
	s_delay_alu instid0(VALU_DEP_1) | instskip(NEXT) | instid1(VALU_DEP_1)
	v_subrev_nc_u32_e32 v18, 28, v6
	v_lshlrev_b64_e32 v[22:23], v18, v[50:51]
	v_sub_nc_u32_e32 v18, 29, v6
	s_delay_alu instid0(VALU_DEP_2)
	v_and_b32_e32 v6, 7, v22
; %bb.2437:                             ;   in Loop: Header=BB300_1574 Depth=1
	s_or_b32 exec_lo, exec_lo, s18
	v_lshlrev_b32_e32 v19, 8, v50
	s_delay_alu instid0(VALU_DEP_3) | instskip(NEXT) | instid1(VALU_DEP_3)
	v_lshl_add_u32 v18, v18, 10, 0x2000
	v_lshlrev_b32_e32 v6, 7, v6
	s_delay_alu instid0(VALU_DEP_3) | instskip(NEXT) | instid1(VALU_DEP_3)
	v_and_b32_e32 v19, 0x8000, v19
	v_and_b32_e32 v18, 0xfc00, v18
	s_delay_alu instid0(VALU_DEP_1)
	v_or3_b32 v18, v19, v18, v6
.LBB300_2438:                           ;   in Loop: Header=BB300_1574 Depth=1
	s_or_b32 exec_lo, exec_lo, s17
.LBB300_2439:                           ;   in Loop: Header=BB300_1574 Depth=1
	s_delay_alu instid0(SALU_CYCLE_1)
	s_or_b32 exec_lo, exec_lo, s16
.LBB300_2440:                           ;   in Loop: Header=BB300_1574 Depth=1
	s_delay_alu instid0(SALU_CYCLE_1) | instskip(SKIP_2) | instid1(VALU_DEP_1)
	s_or_b32 exec_lo, exec_lo, s9
	v_lshrrev_b16 v6, 8, v50
	s_mov_b32 s9, exec_lo
	v_cmpx_ne_u16_e32 0, v6
	s_cbranch_execz .LBB300_2448
; %bb.2441:                             ;   in Loop: Header=BB300_1574 Depth=1
	v_bfrev_b32_e32 v1, 1
	s_mov_b32 s16, exec_lo
	v_cmpx_ne_u16_e32 0x80, v6
	s_cbranch_execz .LBB300_2447
; %bb.2442:                             ;   in Loop: Header=BB300_1574 Depth=1
	v_and_b32_e32 v19, 0xffff, v6
	v_mov_b32_e32 v1, 0x7c010000
	s_mov_b32 s17, exec_lo
	s_delay_alu instid0(VALU_DEP_2) | instskip(NEXT) | instid1(VALU_DEP_1)
	v_and_b32_e32 v23, 0x7f, v19
	v_cmpx_ne_u32_e32 0x7f, v23
	s_cbranch_execz .LBB300_2446
; %bb.2443:                             ;   in Loop: Header=BB300_1574 Depth=1
	v_and_b32_e32 v1, 7, v19
	v_lshrrev_b32_e32 v22, 3, v23
	s_mov_b32 s18, exec_lo
	v_cmpx_gt_u32_e32 8, v23
; %bb.2444:                             ;   in Loop: Header=BB300_1574 Depth=1
	s_delay_alu instid0(VALU_DEP_3) | instskip(NEXT) | instid1(VALU_DEP_1)
	v_clz_i32_u32_e32 v1, v1
	v_min_u32_e32 v1, 32, v1
	s_delay_alu instid0(VALU_DEP_1) | instskip(NEXT) | instid1(VALU_DEP_1)
	v_subrev_nc_u32_e32 v22, 28, v1
	v_lshlrev_b64_e32 v[52:53], v22, v[6:7]
	s_delay_alu instid0(VALU_DEP_1)
	v_dual_sub_nc_u32 v22, 29, v1 :: v_dual_bitop2_b32 v1, 7, v52 bitop3:0x40
; %bb.2445:                             ;   in Loop: Header=BB300_1574 Depth=1
	s_or_b32 exec_lo, exec_lo, s18
	s_delay_alu instid0(VALU_DEP_1) | instskip(NEXT) | instid1(VALU_DEP_2)
	v_dual_lshlrev_b32 v6, 8, v19 :: v_dual_lshlrev_b32 v1, 23, v1
	v_lshl_add_u32 v19, v22, 10, 0x2000
	s_delay_alu instid0(VALU_DEP_1) | instskip(NEXT) | instid1(VALU_DEP_1)
	v_and_or_b32 v6, 0x8000, v6, v19
	v_lshl_or_b32 v1, v6, 16, v1
.LBB300_2446:                           ;   in Loop: Header=BB300_1574 Depth=1
	s_or_b32 exec_lo, exec_lo, s17
.LBB300_2447:                           ;   in Loop: Header=BB300_1574 Depth=1
	s_delay_alu instid0(SALU_CYCLE_1)
	s_or_b32 exec_lo, exec_lo, s16
.LBB300_2448:                           ;   in Loop: Header=BB300_1574 Depth=1
	s_delay_alu instid0(SALU_CYCLE_1) | instskip(SKIP_3) | instid1(VALU_DEP_2)
	s_or_b32 exec_lo, exec_lo, s9
	v_dual_mov_b32 v19, 0 :: v_dual_lshrrev_b32 v6, 16, v50
	v_mov_b32_e32 v22, 0
	s_mov_b32 s9, exec_lo
	v_and_b32_e32 v23, 0xff, v6
	s_delay_alu instid0(VALU_DEP_1)
	v_cmpx_ne_u16_e32 0, v23
	s_cbranch_execz .LBB300_2456
; %bb.2449:                             ;   in Loop: Header=BB300_1574 Depth=1
	v_mov_b32_e32 v22, 0x8000
	s_mov_b32 s16, exec_lo
	v_cmpx_ne_u16_e32 0x80, v23
	s_cbranch_execz .LBB300_2455
; %bb.2450:                             ;   in Loop: Header=BB300_1574 Depth=1
	v_bfe_u32 v49, v50, 16, 7
	v_mov_b32_e32 v22, 0x7c01
	s_mov_b32 s17, exec_lo
	s_delay_alu instid0(VALU_DEP_2)
	v_cmpx_ne_u32_e32 0x7f, v49
	s_cbranch_execz .LBB300_2454
; %bb.2451:                             ;   in Loop: Header=BB300_1574 Depth=1
	v_dual_lshrrev_b32 v23, 3, v49 :: v_dual_bitop2_b32 v22, 7, v6 bitop3:0x40
	s_mov_b32 s18, exec_lo
	v_cmpx_gt_u32_e32 8, v49
; %bb.2452:                             ;   in Loop: Header=BB300_1574 Depth=1
	s_delay_alu instid0(VALU_DEP_2) | instskip(NEXT) | instid1(VALU_DEP_1)
	v_clz_i32_u32_e32 v22, v22
	v_min_u32_e32 v49, 32, v22
	s_delay_alu instid0(VALU_DEP_1) | instskip(NEXT) | instid1(VALU_DEP_1)
	v_subrev_nc_u32_e32 v22, 28, v49
	v_lshlrev_b64_e32 v[22:23], v22, v[6:7]
	s_delay_alu instid0(VALU_DEP_1)
	v_dual_sub_nc_u32 v23, 29, v49 :: v_dual_bitop2_b32 v22, 7, v22 bitop3:0x40
; %bb.2453:                             ;   in Loop: Header=BB300_1574 Depth=1
	s_or_b32 exec_lo, exec_lo, s18
	v_lshlrev_b32_e32 v6, 8, v6
	s_delay_alu instid0(VALU_DEP_2) | instskip(NEXT) | instid1(VALU_DEP_3)
	v_lshl_add_u32 v23, v23, 10, 0x2000
	v_lshlrev_b32_e32 v22, 7, v22
	s_delay_alu instid0(VALU_DEP_3) | instskip(NEXT) | instid1(VALU_DEP_3)
	v_and_b32_e32 v6, 0x8000, v6
	v_and_b32_e32 v23, 0xfc00, v23
	s_delay_alu instid0(VALU_DEP_1)
	v_or3_b32 v22, v6, v23, v22
.LBB300_2454:                           ;   in Loop: Header=BB300_1574 Depth=1
	s_or_b32 exec_lo, exec_lo, s17
.LBB300_2455:                           ;   in Loop: Header=BB300_1574 Depth=1
	s_delay_alu instid0(SALU_CYCLE_1)
	s_or_b32 exec_lo, exec_lo, s16
.LBB300_2456:                           ;   in Loop: Header=BB300_1574 Depth=1
	s_delay_alu instid0(SALU_CYCLE_1) | instskip(NEXT) | instid1(SALU_CYCLE_1)
	s_or_b32 exec_lo, exec_lo, s9
	s_mov_b32 s9, exec_lo
	v_cmpx_lt_u32_e32 0xffffff, v50
	s_cbranch_execz .LBB300_2464
; %bb.2457:                             ;   in Loop: Header=BB300_1574 Depth=1
	v_lshrrev_b32_e32 v6, 24, v50
	v_bfrev_b32_e32 v19, 1
	s_mov_b32 s16, exec_lo
	s_delay_alu instid0(VALU_DEP_2)
	v_cmpx_ne_u32_e32 0x80, v6
	s_cbranch_execz .LBB300_2463
; %bb.2458:                             ;   in Loop: Header=BB300_1574 Depth=1
	v_and_b32_e32 v49, 0x7f, v6
	v_mov_b32_e32 v19, 0x7c010000
	s_mov_b32 s17, exec_lo
	s_delay_alu instid0(VALU_DEP_2)
	v_cmpx_ne_u32_e32 0x7f, v49
	s_cbranch_execz .LBB300_2462
; %bb.2459:                             ;   in Loop: Header=BB300_1574 Depth=1
	v_dual_lshrrev_b32 v23, 3, v49 :: v_dual_bitop2_b32 v19, 7, v6 bitop3:0x40
	s_mov_b32 s18, exec_lo
	v_cmpx_gt_u32_e32 8, v49
; %bb.2460:                             ;   in Loop: Header=BB300_1574 Depth=1
	s_delay_alu instid0(VALU_DEP_2) | instskip(NEXT) | instid1(VALU_DEP_1)
	v_clz_i32_u32_e32 v19, v19
	v_min_u32_e32 v19, 32, v19
	s_delay_alu instid0(VALU_DEP_1) | instskip(NEXT) | instid1(VALU_DEP_1)
	v_subrev_nc_u32_e32 v23, 28, v19
	v_lshlrev_b64_e32 v[52:53], v23, v[6:7]
	s_delay_alu instid0(VALU_DEP_1)
	v_dual_sub_nc_u32 v23, 29, v19 :: v_dual_bitop2_b32 v19, 7, v52 bitop3:0x40
; %bb.2461:                             ;   in Loop: Header=BB300_1574 Depth=1
	s_or_b32 exec_lo, exec_lo, s18
	s_delay_alu instid0(VALU_DEP_1) | instskip(NEXT) | instid1(VALU_DEP_2)
	v_dual_lshlrev_b32 v6, 8, v6 :: v_dual_lshlrev_b32 v19, 23, v19
	v_lshl_add_u32 v23, v23, 10, 0x2000
	s_delay_alu instid0(VALU_DEP_1) | instskip(NEXT) | instid1(VALU_DEP_1)
	v_and_or_b32 v6, 0x8000, v6, v23
	v_lshl_or_b32 v19, v6, 16, v19
.LBB300_2462:                           ;   in Loop: Header=BB300_1574 Depth=1
	s_or_b32 exec_lo, exec_lo, s17
.LBB300_2463:                           ;   in Loop: Header=BB300_1574 Depth=1
	s_delay_alu instid0(SALU_CYCLE_1)
	s_or_b32 exec_lo, exec_lo, s16
.LBB300_2464:                           ;   in Loop: Header=BB300_1574 Depth=1
	s_delay_alu instid0(SALU_CYCLE_1) | instskip(SKIP_4) | instid1(VALU_DEP_3)
	s_or_b32 exec_lo, exec_lo, s9
	v_and_b32_e32 v52, 0xff, v51
	v_dual_mov_b32 v6, v51 :: v_dual_mov_b32 v49, 0
	v_mov_b32_e32 v23, 0
	s_mov_b32 s9, exec_lo
	v_cmpx_ne_u16_e32 0, v52
	s_cbranch_execz .LBB300_2472
; %bb.2465:                             ;   in Loop: Header=BB300_1574 Depth=1
	v_mov_b32_e32 v23, 0x8000
	s_mov_b32 s16, exec_lo
	v_cmpx_ne_u16_e32 0x80, v52
	s_cbranch_execz .LBB300_2471
; %bb.2466:                             ;   in Loop: Header=BB300_1574 Depth=1
	v_and_b32_e32 v53, 0x7f, v51
	v_mov_b32_e32 v23, 0x7c01
	s_mov_b32 s17, exec_lo
	s_delay_alu instid0(VALU_DEP_2)
	v_cmpx_ne_u32_e32 0x7f, v53
	s_cbranch_execz .LBB300_2470
; %bb.2467:                             ;   in Loop: Header=BB300_1574 Depth=1
	v_dual_lshrrev_b32 v52, 3, v53 :: v_dual_bitop2_b32 v23, 7, v51 bitop3:0x40
	s_mov_b32 s18, exec_lo
	v_cmpx_gt_u32_e32 8, v53
; %bb.2468:                             ;   in Loop: Header=BB300_1574 Depth=1
	s_delay_alu instid0(VALU_DEP_2) | instskip(NEXT) | instid1(VALU_DEP_1)
	v_clz_i32_u32_e32 v23, v23
	v_min_u32_e32 v23, 32, v23
	s_delay_alu instid0(VALU_DEP_1) | instskip(NEXT) | instid1(VALU_DEP_1)
	v_subrev_nc_u32_e32 v52, 28, v23
	v_lshlrev_b64_e32 v[54:55], v52, v[6:7]
	s_delay_alu instid0(VALU_DEP_1)
	v_dual_sub_nc_u32 v52, 29, v23 :: v_dual_bitop2_b32 v23, 7, v54 bitop3:0x40
; %bb.2469:                             ;   in Loop: Header=BB300_1574 Depth=1
	s_or_b32 exec_lo, exec_lo, s18
	v_lshlrev_b32_e32 v53, 8, v51
	s_delay_alu instid0(VALU_DEP_2) | instskip(NEXT) | instid1(VALU_DEP_3)
	v_lshl_add_u32 v52, v52, 10, 0x2000
	v_lshlrev_b32_e32 v23, 7, v23
	s_delay_alu instid0(VALU_DEP_3) | instskip(NEXT) | instid1(VALU_DEP_3)
	v_and_b32_e32 v53, 0x8000, v53
	v_and_b32_e32 v52, 0xfc00, v52
	s_delay_alu instid0(VALU_DEP_1)
	v_or3_b32 v23, v53, v52, v23
.LBB300_2470:                           ;   in Loop: Header=BB300_1574 Depth=1
	s_or_b32 exec_lo, exec_lo, s17
.LBB300_2471:                           ;   in Loop: Header=BB300_1574 Depth=1
	s_delay_alu instid0(SALU_CYCLE_1)
	s_or_b32 exec_lo, exec_lo, s16
.LBB300_2472:                           ;   in Loop: Header=BB300_1574 Depth=1
	s_delay_alu instid0(SALU_CYCLE_1) | instskip(SKIP_3) | instid1(VALU_DEP_2)
	s_or_b32 exec_lo, exec_lo, s9
	v_lshrrev_b16 v6, 8, v6
	v_mov_b32_e32 v52, 0
	s_mov_b32 s9, exec_lo
	v_cmpx_ne_u16_e32 0, v6
	s_cbranch_execz .LBB300_2480
; %bb.2473:                             ;   in Loop: Header=BB300_1574 Depth=1
	v_bfrev_b32_e32 v52, 1
	s_mov_b32 s16, exec_lo
	v_cmpx_ne_u16_e32 0x80, v6
	s_cbranch_execz .LBB300_2479
; %bb.2474:                             ;   in Loop: Header=BB300_1574 Depth=1
	v_and_b32_e32 v53, 0xffff, v6
	v_mov_b32_e32 v52, 0x7c010000
	s_mov_b32 s17, exec_lo
	s_delay_alu instid0(VALU_DEP_2) | instskip(NEXT) | instid1(VALU_DEP_1)
	v_and_b32_e32 v55, 0x7f, v53
	v_cmpx_ne_u32_e32 0x7f, v55
	s_cbranch_execz .LBB300_2478
; %bb.2475:                             ;   in Loop: Header=BB300_1574 Depth=1
	v_dual_lshrrev_b32 v54, 3, v55 :: v_dual_bitop2_b32 v52, 7, v53 bitop3:0x40
	s_mov_b32 s18, exec_lo
	v_cmpx_gt_u32_e32 8, v55
; %bb.2476:                             ;   in Loop: Header=BB300_1574 Depth=1
	s_delay_alu instid0(VALU_DEP_2) | instskip(NEXT) | instid1(VALU_DEP_1)
	v_clz_i32_u32_e32 v52, v52
	v_min_u32_e32 v52, 32, v52
	s_delay_alu instid0(VALU_DEP_1) | instskip(NEXT) | instid1(VALU_DEP_1)
	v_subrev_nc_u32_e32 v54, 28, v52
	v_lshlrev_b64_e32 v[64:65], v54, v[6:7]
	v_sub_nc_u32_e32 v54, 29, v52
	s_delay_alu instid0(VALU_DEP_2)
	v_and_b32_e32 v52, 7, v64
; %bb.2477:                             ;   in Loop: Header=BB300_1574 Depth=1
	s_or_b32 exec_lo, exec_lo, s18
	s_delay_alu instid0(VALU_DEP_1) | instskip(NEXT) | instid1(VALU_DEP_3)
	v_dual_lshlrev_b32 v6, 8, v53 :: v_dual_lshlrev_b32 v52, 23, v52
	v_lshl_add_u32 v53, v54, 10, 0x2000
	s_delay_alu instid0(VALU_DEP_1) | instskip(NEXT) | instid1(VALU_DEP_1)
	v_and_or_b32 v6, 0x8000, v6, v53
	v_lshl_or_b32 v52, v6, 16, v52
.LBB300_2478:                           ;   in Loop: Header=BB300_1574 Depth=1
	s_or_b32 exec_lo, exec_lo, s17
.LBB300_2479:                           ;   in Loop: Header=BB300_1574 Depth=1
	s_delay_alu instid0(SALU_CYCLE_1)
	s_or_b32 exec_lo, exec_lo, s16
.LBB300_2480:                           ;   in Loop: Header=BB300_1574 Depth=1
	s_delay_alu instid0(SALU_CYCLE_1) | instskip(SKIP_2) | instid1(VALU_DEP_1)
	s_or_b32 exec_lo, exec_lo, s9
	v_lshrrev_b32_e32 v6, 16, v51
	s_mov_b32 s9, exec_lo
	v_and_b32_e32 v53, 0xff, v6
	s_delay_alu instid0(VALU_DEP_1)
	v_cmpx_ne_u16_e32 0, v53
	s_cbranch_execz .LBB300_2488
; %bb.2481:                             ;   in Loop: Header=BB300_1574 Depth=1
	v_mov_b32_e32 v49, 0x8000
	s_mov_b32 s16, exec_lo
	v_cmpx_ne_u16_e32 0x80, v53
	s_cbranch_execz .LBB300_2487
; %bb.2482:                             ;   in Loop: Header=BB300_1574 Depth=1
	v_bfe_u32 v54, v51, 16, 7
	v_mov_b32_e32 v49, 0x7c01
	s_mov_b32 s17, exec_lo
	s_delay_alu instid0(VALU_DEP_2)
	v_cmpx_ne_u32_e32 0x7f, v54
	s_cbranch_execz .LBB300_2486
; %bb.2483:                             ;   in Loop: Header=BB300_1574 Depth=1
	v_and_b32_e32 v49, 7, v6
	v_lshrrev_b32_e32 v53, 3, v54
	s_mov_b32 s18, exec_lo
	v_cmpx_gt_u32_e32 8, v54
; %bb.2484:                             ;   in Loop: Header=BB300_1574 Depth=1
	s_delay_alu instid0(VALU_DEP_3) | instskip(NEXT) | instid1(VALU_DEP_1)
	v_clz_i32_u32_e32 v49, v49
	v_min_u32_e32 v49, 32, v49
	s_delay_alu instid0(VALU_DEP_1) | instskip(NEXT) | instid1(VALU_DEP_1)
	v_subrev_nc_u32_e32 v53, 28, v49
	v_lshlrev_b64_e32 v[54:55], v53, v[6:7]
	s_delay_alu instid0(VALU_DEP_1)
	v_dual_sub_nc_u32 v53, 29, v49 :: v_dual_bitop2_b32 v49, 7, v54 bitop3:0x40
; %bb.2485:                             ;   in Loop: Header=BB300_1574 Depth=1
	s_or_b32 exec_lo, exec_lo, s18
	s_delay_alu instid0(VALU_DEP_1) | instskip(NEXT) | instid1(VALU_DEP_2)
	v_dual_lshlrev_b32 v6, 8, v6 :: v_dual_lshlrev_b32 v49, 7, v49
	v_lshl_add_u32 v53, v53, 10, 0x2000
	s_delay_alu instid0(VALU_DEP_2) | instskip(NEXT) | instid1(VALU_DEP_2)
	v_and_b32_e32 v6, 0x8000, v6
	v_and_b32_e32 v53, 0xfc00, v53
	s_delay_alu instid0(VALU_DEP_1)
	v_or3_b32 v49, v6, v53, v49
.LBB300_2486:                           ;   in Loop: Header=BB300_1574 Depth=1
	s_or_b32 exec_lo, exec_lo, s17
.LBB300_2487:                           ;   in Loop: Header=BB300_1574 Depth=1
	s_delay_alu instid0(SALU_CYCLE_1)
	s_or_b32 exec_lo, exec_lo, s16
.LBB300_2488:                           ;   in Loop: Header=BB300_1574 Depth=1
	s_delay_alu instid0(SALU_CYCLE_1)
	s_or_b32 exec_lo, exec_lo, s9
	v_cmp_lt_u64_e64 s0, s[2:3], v[50:51]
	v_mov_b32_e32 v50, 0
	s_and_saveexec_b32 s9, s0
	s_cbranch_execz .LBB300_2496
; %bb.2489:                             ;   in Loop: Header=BB300_1574 Depth=1
	v_lshrrev_b32_e32 v6, 24, v51
	v_bfrev_b32_e32 v50, 1
	s_mov_b32 s16, exec_lo
	s_delay_alu instid0(VALU_DEP_2)
	v_cmpx_ne_u32_e32 0x80, v6
	s_cbranch_execz .LBB300_2495
; %bb.2490:                             ;   in Loop: Header=BB300_1574 Depth=1
	v_and_b32_e32 v53, 0x7f, v6
	v_mov_b32_e32 v50, 0x7c010000
	s_mov_b32 s17, exec_lo
	s_delay_alu instid0(VALU_DEP_2)
	v_cmpx_ne_u32_e32 0x7f, v53
	s_cbranch_execz .LBB300_2494
; %bb.2491:                             ;   in Loop: Header=BB300_1574 Depth=1
	v_dual_lshrrev_b32 v51, 3, v53 :: v_dual_bitop2_b32 v50, 7, v6 bitop3:0x40
	s_mov_b32 s18, exec_lo
	v_cmpx_gt_u32_e32 8, v53
; %bb.2492:                             ;   in Loop: Header=BB300_1574 Depth=1
	s_delay_alu instid0(VALU_DEP_2) | instskip(NEXT) | instid1(VALU_DEP_1)
	v_clz_i32_u32_e32 v50, v50
	v_min_u32_e32 v53, 32, v50
	s_delay_alu instid0(VALU_DEP_1) | instskip(NEXT) | instid1(VALU_DEP_1)
	v_subrev_nc_u32_e32 v50, 28, v53
	v_lshlrev_b64_e32 v[50:51], v50, v[6:7]
	s_delay_alu instid0(VALU_DEP_1)
	v_dual_sub_nc_u32 v51, 29, v53 :: v_dual_bitop2_b32 v50, 7, v50 bitop3:0x40
; %bb.2493:                             ;   in Loop: Header=BB300_1574 Depth=1
	s_or_b32 exec_lo, exec_lo, s18
	v_lshlrev_b32_e32 v6, 8, v6
	s_delay_alu instid0(VALU_DEP_2) | instskip(NEXT) | instid1(VALU_DEP_3)
	v_lshl_add_u32 v51, v51, 10, 0x2000
	v_lshlrev_b32_e32 v50, 23, v50
	s_delay_alu instid0(VALU_DEP_2) | instskip(NEXT) | instid1(VALU_DEP_1)
	v_and_or_b32 v6, 0x8000, v6, v51
	v_lshl_or_b32 v50, v6, 16, v50
.LBB300_2494:                           ;   in Loop: Header=BB300_1574 Depth=1
	s_or_b32 exec_lo, exec_lo, s17
.LBB300_2495:                           ;   in Loop: Header=BB300_1574 Depth=1
	s_delay_alu instid0(SALU_CYCLE_1)
	s_or_b32 exec_lo, exec_lo, s16
.LBB300_2496:                           ;   in Loop: Header=BB300_1574 Depth=1
	s_delay_alu instid0(SALU_CYCLE_1) | instskip(SKIP_4) | instid1(VALU_DEP_4)
	s_or_b32 exec_lo, exec_lo, s9
	v_dual_lshrrev_b32 v6, 16, v1 :: v_dual_lshrrev_b32 v51, 16, v19
	v_or_b32_e32 v1, v1, v18
	v_or_b32_e32 v22, v19, v22
	;; [unrolled: 1-line block ×3, first 2 shown]
	v_cvt_f32_f16_e32 v19, v6
	v_cvt_f32_f16_e32 v18, v51
	v_dual_lshrrev_b32 v50, 16, v50 :: v_dual_bitop2_b32 v6, v50, v49 bitop3:0x54
	v_lshrrev_b32_e32 v49, 16, v52
	v_cvt_f32_f16_e32 v23, v1
	s_delay_alu instid0(VALU_DEP_3) | instskip(NEXT) | instid1(VALU_DEP_4)
	v_cvt_f32_f16_e32 v52, v6
	v_cvt_f32_f16_e32 v50, v50
	s_wait_loadcnt_dscnt 0x0
	v_pk_mul_f32 v[18:19], v[48:49], v[18:19] op_sel_hi:[0,1]
	v_cvt_f32_f16_e32 v51, v49
	s_delay_alu instid0(VALU_DEP_2) | instskip(NEXT) | instid1(VALU_DEP_2)
	v_cvt_pk_f16_f32 v1, v18, v19
	v_pk_mul_f32 v[18:19], v[48:49], v[50:51] op_sel_hi:[0,1]
	s_delay_alu instid0(VALU_DEP_2) | instskip(SKIP_2) | instid1(VALU_DEP_4)
	v_lshlrev_b32_e32 v50, 16, v1
	v_cvt_f32_f16_e32 v22, v22
	v_and_b32_e32 v51, 0xffff0000, v1
	v_cvt_pk_f16_f32 v18, v18, v19
	s_delay_alu instid0(VALU_DEP_3) | instskip(NEXT) | instid1(VALU_DEP_2)
	v_pk_mul_f32 v[22:23], v[48:49], v[22:23] op_sel_hi:[0,1]
	v_and_b32_e32 v19, 0xffff0000, v18
	s_delay_alu instid0(VALU_DEP_2) | instskip(NEXT) | instid1(VALU_DEP_1)
	v_cvt_pk_f16_f32 v6, v22, v23
	v_lshrrev_b32_e32 v65, 16, v6
	v_cvt_f32_f16_e32 v53, v53
	v_and_b32_e32 v64, 0xffff, v6
	s_delay_alu instid0(VALU_DEP_3) | instskip(NEXT) | instid1(VALU_DEP_3)
	v_or_b32_e32 v55, v51, v65
	v_pk_mul_f32 v[48:49], v[48:49], v[52:53] op_sel_hi:[0,1]
	s_delay_alu instid0(VALU_DEP_3) | instskip(NEXT) | instid1(VALU_DEP_2)
	v_or_b32_e32 v54, v50, v64
	v_cvt_pk_f16_f32 v1, v48, v49
	s_delay_alu instid0(VALU_DEP_1) | instskip(SKIP_1) | instid1(VALU_DEP_2)
	v_dual_lshlrev_b32 v6, 16, v18 :: v_dual_lshrrev_b32 v49, 16, v1
	v_and_b32_e32 v48, 0xffff, v1
	v_or_b32_e32 v53, v19, v49
	s_delay_alu instid0(VALU_DEP_2)
	v_or_b32_e32 v52, v6, v48
	s_and_saveexec_b32 s9, vcc_lo
	s_cbranch_execz .LBB300_2498
; %bb.2497:                             ;   in Loop: Header=BB300_1574 Depth=1
	v_cmp_lt_i32_e64 s0, v70, v13
	s_delay_alu instid0(VALU_DEP_1) | instskip(SKIP_1) | instid1(VALU_DEP_1)
	v_cndmask_b32_e64 v1, 0, v65, s0
	v_cmp_lt_i32_e64 s0, v86, v12
	v_cndmask_b32_e64 v18, 0, v64, s0
	v_cmp_lt_i32_e64 s0, v85, v13
	s_delay_alu instid0(VALU_DEP_1) | instskip(SKIP_1) | instid1(VALU_DEP_1)
	v_cndmask_b32_e64 v22, 0, v51, s0
	v_cmp_lt_i32_e64 s0, v84, v12
	v_cndmask_b32_e64 v23, 0, v50, s0
	v_cmp_lt_i32_e64 s0, v83, v13
	s_delay_alu instid0(VALU_DEP_4) | instskip(NEXT) | instid1(VALU_DEP_2)
	v_or_b32_e32 v55, v1, v22
	v_dual_cndmask_b32 v49, 0, v49, s0 :: v_dual_bitop2_b32 v54, v18, v23 bitop3:0x54
	v_cmp_lt_i32_e64 s0, v82, v12
	s_delay_alu instid0(VALU_DEP_1) | instskip(SKIP_1) | instid1(VALU_DEP_1)
	v_cndmask_b32_e64 v48, 0, v48, s0
	v_cmp_lt_i32_e64 s0, v81, v13
	v_cndmask_b32_e64 v19, 0, v19, s0
	v_cmp_lt_i32_e64 s0, v0, v12
	s_delay_alu instid0(VALU_DEP_1) | instskip(NEXT) | instid1(VALU_DEP_1)
	v_dual_cndmask_b32 v6, 0, v6, s0 :: v_dual_bitop2_b32 v53, v49, v19 bitop3:0x54
	v_or_b32_e32 v52, v48, v6
.LBB300_2498:                           ;   in Loop: Header=BB300_1574 Depth=1
	s_or_b32 exec_lo, exec_lo, s9
	;;#ASMSTART
	v_pk_mul_f16 v1, v98, v55;

	;;#ASMEND
	;;#ASMSTART
	v_pk_mul_f16 v6, v97, v54;

	;;#ASMEND
	;; [unrolled: 4-line block ×4, first 2 shown]
	;;#ASMSTART
	v_pk_add_f16 v1, v1, v6;

	;;#ASMEND
	;;#ASMSTART
	v_pk_add_f16 v1, v1, v18;

	;;#ASMEND
	;; [unrolled: 4-line block ×3, first 2 shown]
	v_and_b32_e32 v6, 0xffff, v1
	v_lshrrev_b32_e32 v1, 16, v1
	;;#ASMSTART
	v_cvt_f32_f16 v61, v6;
	;;#ASMEND
	;;#ASMSTART
	v_cvt_f32_f16 v62, v1;
	;;#ASMEND
	flat_load_b64 v[50:51], v[36:37] offset:3584
	scratch_load_b64 v[18:19], off, s32 offset:192 ; 8-byte Folded Reload
	v_mov_b32_e32 v1, 0
	s_mov_b32 s9, exec_lo
	s_wait_loadcnt_dscnt 0x100
	v_and_b32_e32 v6, 0xff, v50
	s_wait_loadcnt 0x0
	flat_load_b32 v48, v[18:19]
	s_wait_xcnt 0x0
	v_mov_b32_e32 v18, 0
	v_cmpx_ne_u16_e32 0, v6
	s_cbranch_execz .LBB300_2506
; %bb.2499:                             ;   in Loop: Header=BB300_1574 Depth=1
	v_mov_b32_e32 v18, 0x8000
	s_mov_b32 s16, exec_lo
	v_cmpx_ne_u16_e32 0x80, v6
	s_cbranch_execz .LBB300_2505
; %bb.2500:                             ;   in Loop: Header=BB300_1574 Depth=1
	v_and_b32_e32 v19, 0x7f, v50
	v_mov_b32_e32 v18, 0x7c01
	s_mov_b32 s17, exec_lo
	s_delay_alu instid0(VALU_DEP_2)
	v_cmpx_ne_u32_e32 0x7f, v19
	s_cbranch_execz .LBB300_2504
; %bb.2501:                             ;   in Loop: Header=BB300_1574 Depth=1
	v_dual_lshrrev_b32 v18, 3, v19 :: v_dual_bitop2_b32 v6, 7, v50 bitop3:0x40
	s_mov_b32 s18, exec_lo
	v_cmpx_gt_u32_e32 8, v19
; %bb.2502:                             ;   in Loop: Header=BB300_1574 Depth=1
	s_delay_alu instid0(VALU_DEP_2) | instskip(NEXT) | instid1(VALU_DEP_1)
	v_clz_i32_u32_e32 v6, v6
	v_min_u32_e32 v6, 32, v6
	s_delay_alu instid0(VALU_DEP_1) | instskip(NEXT) | instid1(VALU_DEP_1)
	v_subrev_nc_u32_e32 v18, 28, v6
	v_lshlrev_b64_e32 v[22:23], v18, v[50:51]
	v_sub_nc_u32_e32 v18, 29, v6
	s_delay_alu instid0(VALU_DEP_2)
	v_and_b32_e32 v6, 7, v22
; %bb.2503:                             ;   in Loop: Header=BB300_1574 Depth=1
	s_or_b32 exec_lo, exec_lo, s18
	v_lshlrev_b32_e32 v19, 8, v50
	s_delay_alu instid0(VALU_DEP_3) | instskip(NEXT) | instid1(VALU_DEP_3)
	v_lshl_add_u32 v18, v18, 10, 0x2000
	v_lshlrev_b32_e32 v6, 7, v6
	s_delay_alu instid0(VALU_DEP_3) | instskip(NEXT) | instid1(VALU_DEP_3)
	v_and_b32_e32 v19, 0x8000, v19
	v_and_b32_e32 v18, 0xfc00, v18
	s_delay_alu instid0(VALU_DEP_1)
	v_or3_b32 v18, v19, v18, v6
.LBB300_2504:                           ;   in Loop: Header=BB300_1574 Depth=1
	s_or_b32 exec_lo, exec_lo, s17
.LBB300_2505:                           ;   in Loop: Header=BB300_1574 Depth=1
	s_delay_alu instid0(SALU_CYCLE_1)
	s_or_b32 exec_lo, exec_lo, s16
.LBB300_2506:                           ;   in Loop: Header=BB300_1574 Depth=1
	s_delay_alu instid0(SALU_CYCLE_1) | instskip(SKIP_2) | instid1(VALU_DEP_1)
	s_or_b32 exec_lo, exec_lo, s9
	v_lshrrev_b16 v6, 8, v50
	s_mov_b32 s9, exec_lo
	v_cmpx_ne_u16_e32 0, v6
	s_cbranch_execz .LBB300_2514
; %bb.2507:                             ;   in Loop: Header=BB300_1574 Depth=1
	v_bfrev_b32_e32 v1, 1
	s_mov_b32 s16, exec_lo
	v_cmpx_ne_u16_e32 0x80, v6
	s_cbranch_execz .LBB300_2513
; %bb.2508:                             ;   in Loop: Header=BB300_1574 Depth=1
	v_and_b32_e32 v19, 0xffff, v6
	v_mov_b32_e32 v1, 0x7c010000
	s_mov_b32 s17, exec_lo
	s_delay_alu instid0(VALU_DEP_2) | instskip(NEXT) | instid1(VALU_DEP_1)
	v_and_b32_e32 v23, 0x7f, v19
	v_cmpx_ne_u32_e32 0x7f, v23
	s_cbranch_execz .LBB300_2512
; %bb.2509:                             ;   in Loop: Header=BB300_1574 Depth=1
	v_and_b32_e32 v1, 7, v19
	v_lshrrev_b32_e32 v22, 3, v23
	s_mov_b32 s18, exec_lo
	v_cmpx_gt_u32_e32 8, v23
; %bb.2510:                             ;   in Loop: Header=BB300_1574 Depth=1
	s_delay_alu instid0(VALU_DEP_3) | instskip(NEXT) | instid1(VALU_DEP_1)
	v_clz_i32_u32_e32 v1, v1
	v_min_u32_e32 v1, 32, v1
	s_delay_alu instid0(VALU_DEP_1) | instskip(NEXT) | instid1(VALU_DEP_1)
	v_subrev_nc_u32_e32 v22, 28, v1
	v_lshlrev_b64_e32 v[52:53], v22, v[6:7]
	s_delay_alu instid0(VALU_DEP_1)
	v_dual_sub_nc_u32 v22, 29, v1 :: v_dual_bitop2_b32 v1, 7, v52 bitop3:0x40
; %bb.2511:                             ;   in Loop: Header=BB300_1574 Depth=1
	s_or_b32 exec_lo, exec_lo, s18
	s_delay_alu instid0(VALU_DEP_1) | instskip(NEXT) | instid1(VALU_DEP_2)
	v_dual_lshlrev_b32 v6, 8, v19 :: v_dual_lshlrev_b32 v1, 23, v1
	v_lshl_add_u32 v19, v22, 10, 0x2000
	s_delay_alu instid0(VALU_DEP_1) | instskip(NEXT) | instid1(VALU_DEP_1)
	v_and_or_b32 v6, 0x8000, v6, v19
	v_lshl_or_b32 v1, v6, 16, v1
.LBB300_2512:                           ;   in Loop: Header=BB300_1574 Depth=1
	s_or_b32 exec_lo, exec_lo, s17
.LBB300_2513:                           ;   in Loop: Header=BB300_1574 Depth=1
	s_delay_alu instid0(SALU_CYCLE_1)
	s_or_b32 exec_lo, exec_lo, s16
.LBB300_2514:                           ;   in Loop: Header=BB300_1574 Depth=1
	s_delay_alu instid0(SALU_CYCLE_1) | instskip(SKIP_3) | instid1(VALU_DEP_2)
	s_or_b32 exec_lo, exec_lo, s9
	v_dual_mov_b32 v19, 0 :: v_dual_lshrrev_b32 v6, 16, v50
	v_mov_b32_e32 v22, 0
	s_mov_b32 s9, exec_lo
	v_and_b32_e32 v23, 0xff, v6
	s_delay_alu instid0(VALU_DEP_1)
	v_cmpx_ne_u16_e32 0, v23
	s_cbranch_execz .LBB300_2522
; %bb.2515:                             ;   in Loop: Header=BB300_1574 Depth=1
	v_mov_b32_e32 v22, 0x8000
	s_mov_b32 s16, exec_lo
	v_cmpx_ne_u16_e32 0x80, v23
	s_cbranch_execz .LBB300_2521
; %bb.2516:                             ;   in Loop: Header=BB300_1574 Depth=1
	v_bfe_u32 v49, v50, 16, 7
	v_mov_b32_e32 v22, 0x7c01
	s_mov_b32 s17, exec_lo
	s_delay_alu instid0(VALU_DEP_2)
	v_cmpx_ne_u32_e32 0x7f, v49
	s_cbranch_execz .LBB300_2520
; %bb.2517:                             ;   in Loop: Header=BB300_1574 Depth=1
	v_dual_lshrrev_b32 v23, 3, v49 :: v_dual_bitop2_b32 v22, 7, v6 bitop3:0x40
	s_mov_b32 s18, exec_lo
	v_cmpx_gt_u32_e32 8, v49
; %bb.2518:                             ;   in Loop: Header=BB300_1574 Depth=1
	s_delay_alu instid0(VALU_DEP_2) | instskip(NEXT) | instid1(VALU_DEP_1)
	v_clz_i32_u32_e32 v22, v22
	v_min_u32_e32 v49, 32, v22
	s_delay_alu instid0(VALU_DEP_1) | instskip(NEXT) | instid1(VALU_DEP_1)
	v_subrev_nc_u32_e32 v22, 28, v49
	v_lshlrev_b64_e32 v[22:23], v22, v[6:7]
	s_delay_alu instid0(VALU_DEP_1)
	v_dual_sub_nc_u32 v23, 29, v49 :: v_dual_bitop2_b32 v22, 7, v22 bitop3:0x40
; %bb.2519:                             ;   in Loop: Header=BB300_1574 Depth=1
	s_or_b32 exec_lo, exec_lo, s18
	v_lshlrev_b32_e32 v6, 8, v6
	s_delay_alu instid0(VALU_DEP_2) | instskip(NEXT) | instid1(VALU_DEP_3)
	v_lshl_add_u32 v23, v23, 10, 0x2000
	v_lshlrev_b32_e32 v22, 7, v22
	s_delay_alu instid0(VALU_DEP_3) | instskip(NEXT) | instid1(VALU_DEP_3)
	v_and_b32_e32 v6, 0x8000, v6
	v_and_b32_e32 v23, 0xfc00, v23
	s_delay_alu instid0(VALU_DEP_1)
	v_or3_b32 v22, v6, v23, v22
.LBB300_2520:                           ;   in Loop: Header=BB300_1574 Depth=1
	s_or_b32 exec_lo, exec_lo, s17
.LBB300_2521:                           ;   in Loop: Header=BB300_1574 Depth=1
	s_delay_alu instid0(SALU_CYCLE_1)
	s_or_b32 exec_lo, exec_lo, s16
.LBB300_2522:                           ;   in Loop: Header=BB300_1574 Depth=1
	s_delay_alu instid0(SALU_CYCLE_1) | instskip(NEXT) | instid1(SALU_CYCLE_1)
	s_or_b32 exec_lo, exec_lo, s9
	s_mov_b32 s9, exec_lo
	v_cmpx_lt_u32_e32 0xffffff, v50
	s_cbranch_execz .LBB300_2530
; %bb.2523:                             ;   in Loop: Header=BB300_1574 Depth=1
	v_lshrrev_b32_e32 v6, 24, v50
	v_bfrev_b32_e32 v19, 1
	s_mov_b32 s16, exec_lo
	s_delay_alu instid0(VALU_DEP_2)
	v_cmpx_ne_u32_e32 0x80, v6
	s_cbranch_execz .LBB300_2529
; %bb.2524:                             ;   in Loop: Header=BB300_1574 Depth=1
	v_and_b32_e32 v49, 0x7f, v6
	v_mov_b32_e32 v19, 0x7c010000
	s_mov_b32 s17, exec_lo
	s_delay_alu instid0(VALU_DEP_2)
	v_cmpx_ne_u32_e32 0x7f, v49
	s_cbranch_execz .LBB300_2528
; %bb.2525:                             ;   in Loop: Header=BB300_1574 Depth=1
	v_dual_lshrrev_b32 v23, 3, v49 :: v_dual_bitop2_b32 v19, 7, v6 bitop3:0x40
	s_mov_b32 s18, exec_lo
	v_cmpx_gt_u32_e32 8, v49
; %bb.2526:                             ;   in Loop: Header=BB300_1574 Depth=1
	s_delay_alu instid0(VALU_DEP_2) | instskip(NEXT) | instid1(VALU_DEP_1)
	v_clz_i32_u32_e32 v19, v19
	v_min_u32_e32 v19, 32, v19
	s_delay_alu instid0(VALU_DEP_1) | instskip(NEXT) | instid1(VALU_DEP_1)
	v_subrev_nc_u32_e32 v23, 28, v19
	v_lshlrev_b64_e32 v[52:53], v23, v[6:7]
	s_delay_alu instid0(VALU_DEP_1)
	v_dual_sub_nc_u32 v23, 29, v19 :: v_dual_bitop2_b32 v19, 7, v52 bitop3:0x40
; %bb.2527:                             ;   in Loop: Header=BB300_1574 Depth=1
	s_or_b32 exec_lo, exec_lo, s18
	s_delay_alu instid0(VALU_DEP_1) | instskip(NEXT) | instid1(VALU_DEP_2)
	v_dual_lshlrev_b32 v6, 8, v6 :: v_dual_lshlrev_b32 v19, 23, v19
	v_lshl_add_u32 v23, v23, 10, 0x2000
	s_delay_alu instid0(VALU_DEP_1) | instskip(NEXT) | instid1(VALU_DEP_1)
	v_and_or_b32 v6, 0x8000, v6, v23
	v_lshl_or_b32 v19, v6, 16, v19
.LBB300_2528:                           ;   in Loop: Header=BB300_1574 Depth=1
	s_or_b32 exec_lo, exec_lo, s17
.LBB300_2529:                           ;   in Loop: Header=BB300_1574 Depth=1
	s_delay_alu instid0(SALU_CYCLE_1)
	s_or_b32 exec_lo, exec_lo, s16
.LBB300_2530:                           ;   in Loop: Header=BB300_1574 Depth=1
	s_delay_alu instid0(SALU_CYCLE_1) | instskip(SKIP_4) | instid1(VALU_DEP_3)
	s_or_b32 exec_lo, exec_lo, s9
	v_and_b32_e32 v52, 0xff, v51
	v_dual_mov_b32 v6, v51 :: v_dual_mov_b32 v49, 0
	v_mov_b32_e32 v23, 0
	s_mov_b32 s9, exec_lo
	v_cmpx_ne_u16_e32 0, v52
	s_cbranch_execz .LBB300_2538
; %bb.2531:                             ;   in Loop: Header=BB300_1574 Depth=1
	v_mov_b32_e32 v23, 0x8000
	s_mov_b32 s16, exec_lo
	v_cmpx_ne_u16_e32 0x80, v52
	s_cbranch_execz .LBB300_2537
; %bb.2532:                             ;   in Loop: Header=BB300_1574 Depth=1
	v_and_b32_e32 v53, 0x7f, v51
	v_mov_b32_e32 v23, 0x7c01
	s_mov_b32 s17, exec_lo
	s_delay_alu instid0(VALU_DEP_2)
	v_cmpx_ne_u32_e32 0x7f, v53
	s_cbranch_execz .LBB300_2536
; %bb.2533:                             ;   in Loop: Header=BB300_1574 Depth=1
	v_dual_lshrrev_b32 v52, 3, v53 :: v_dual_bitop2_b32 v23, 7, v51 bitop3:0x40
	s_mov_b32 s18, exec_lo
	v_cmpx_gt_u32_e32 8, v53
; %bb.2534:                             ;   in Loop: Header=BB300_1574 Depth=1
	s_delay_alu instid0(VALU_DEP_2) | instskip(NEXT) | instid1(VALU_DEP_1)
	v_clz_i32_u32_e32 v23, v23
	v_min_u32_e32 v23, 32, v23
	s_delay_alu instid0(VALU_DEP_1) | instskip(NEXT) | instid1(VALU_DEP_1)
	v_subrev_nc_u32_e32 v52, 28, v23
	v_lshlrev_b64_e32 v[54:55], v52, v[6:7]
	s_delay_alu instid0(VALU_DEP_1)
	v_dual_sub_nc_u32 v52, 29, v23 :: v_dual_bitop2_b32 v23, 7, v54 bitop3:0x40
; %bb.2535:                             ;   in Loop: Header=BB300_1574 Depth=1
	s_or_b32 exec_lo, exec_lo, s18
	v_lshlrev_b32_e32 v53, 8, v51
	s_delay_alu instid0(VALU_DEP_2) | instskip(NEXT) | instid1(VALU_DEP_3)
	v_lshl_add_u32 v52, v52, 10, 0x2000
	v_lshlrev_b32_e32 v23, 7, v23
	s_delay_alu instid0(VALU_DEP_3) | instskip(NEXT) | instid1(VALU_DEP_3)
	v_and_b32_e32 v53, 0x8000, v53
	v_and_b32_e32 v52, 0xfc00, v52
	s_delay_alu instid0(VALU_DEP_1)
	v_or3_b32 v23, v53, v52, v23
.LBB300_2536:                           ;   in Loop: Header=BB300_1574 Depth=1
	s_or_b32 exec_lo, exec_lo, s17
.LBB300_2537:                           ;   in Loop: Header=BB300_1574 Depth=1
	s_delay_alu instid0(SALU_CYCLE_1)
	s_or_b32 exec_lo, exec_lo, s16
.LBB300_2538:                           ;   in Loop: Header=BB300_1574 Depth=1
	s_delay_alu instid0(SALU_CYCLE_1) | instskip(SKIP_3) | instid1(VALU_DEP_2)
	s_or_b32 exec_lo, exec_lo, s9
	v_lshrrev_b16 v6, 8, v6
	v_mov_b32_e32 v52, 0
	s_mov_b32 s9, exec_lo
	v_cmpx_ne_u16_e32 0, v6
	s_cbranch_execz .LBB300_2546
; %bb.2539:                             ;   in Loop: Header=BB300_1574 Depth=1
	v_bfrev_b32_e32 v52, 1
	s_mov_b32 s16, exec_lo
	v_cmpx_ne_u16_e32 0x80, v6
	s_cbranch_execz .LBB300_2545
; %bb.2540:                             ;   in Loop: Header=BB300_1574 Depth=1
	v_and_b32_e32 v53, 0xffff, v6
	v_mov_b32_e32 v52, 0x7c010000
	s_mov_b32 s17, exec_lo
	s_delay_alu instid0(VALU_DEP_2) | instskip(NEXT) | instid1(VALU_DEP_1)
	v_and_b32_e32 v55, 0x7f, v53
	v_cmpx_ne_u32_e32 0x7f, v55
	s_cbranch_execz .LBB300_2544
; %bb.2541:                             ;   in Loop: Header=BB300_1574 Depth=1
	v_dual_lshrrev_b32 v54, 3, v55 :: v_dual_bitop2_b32 v52, 7, v53 bitop3:0x40
	s_mov_b32 s18, exec_lo
	v_cmpx_gt_u32_e32 8, v55
; %bb.2542:                             ;   in Loop: Header=BB300_1574 Depth=1
	s_delay_alu instid0(VALU_DEP_2) | instskip(NEXT) | instid1(VALU_DEP_1)
	v_clz_i32_u32_e32 v52, v52
	v_min_u32_e32 v52, 32, v52
	s_delay_alu instid0(VALU_DEP_1) | instskip(NEXT) | instid1(VALU_DEP_1)
	v_subrev_nc_u32_e32 v54, 28, v52
	v_lshlrev_b64_e32 v[64:65], v54, v[6:7]
	v_sub_nc_u32_e32 v54, 29, v52
	s_delay_alu instid0(VALU_DEP_2)
	v_and_b32_e32 v52, 7, v64
; %bb.2543:                             ;   in Loop: Header=BB300_1574 Depth=1
	s_or_b32 exec_lo, exec_lo, s18
	s_delay_alu instid0(VALU_DEP_1) | instskip(NEXT) | instid1(VALU_DEP_3)
	v_dual_lshlrev_b32 v6, 8, v53 :: v_dual_lshlrev_b32 v52, 23, v52
	v_lshl_add_u32 v53, v54, 10, 0x2000
	s_delay_alu instid0(VALU_DEP_1) | instskip(NEXT) | instid1(VALU_DEP_1)
	v_and_or_b32 v6, 0x8000, v6, v53
	v_lshl_or_b32 v52, v6, 16, v52
.LBB300_2544:                           ;   in Loop: Header=BB300_1574 Depth=1
	s_or_b32 exec_lo, exec_lo, s17
.LBB300_2545:                           ;   in Loop: Header=BB300_1574 Depth=1
	s_delay_alu instid0(SALU_CYCLE_1)
	s_or_b32 exec_lo, exec_lo, s16
.LBB300_2546:                           ;   in Loop: Header=BB300_1574 Depth=1
	s_delay_alu instid0(SALU_CYCLE_1) | instskip(SKIP_2) | instid1(VALU_DEP_1)
	s_or_b32 exec_lo, exec_lo, s9
	v_lshrrev_b32_e32 v6, 16, v51
	s_mov_b32 s9, exec_lo
	v_and_b32_e32 v53, 0xff, v6
	s_delay_alu instid0(VALU_DEP_1)
	v_cmpx_ne_u16_e32 0, v53
	s_cbranch_execz .LBB300_2554
; %bb.2547:                             ;   in Loop: Header=BB300_1574 Depth=1
	v_mov_b32_e32 v49, 0x8000
	s_mov_b32 s16, exec_lo
	v_cmpx_ne_u16_e32 0x80, v53
	s_cbranch_execz .LBB300_2553
; %bb.2548:                             ;   in Loop: Header=BB300_1574 Depth=1
	v_bfe_u32 v54, v51, 16, 7
	v_mov_b32_e32 v49, 0x7c01
	s_mov_b32 s17, exec_lo
	s_delay_alu instid0(VALU_DEP_2)
	v_cmpx_ne_u32_e32 0x7f, v54
	s_cbranch_execz .LBB300_2552
; %bb.2549:                             ;   in Loop: Header=BB300_1574 Depth=1
	v_and_b32_e32 v49, 7, v6
	v_lshrrev_b32_e32 v53, 3, v54
	s_mov_b32 s18, exec_lo
	v_cmpx_gt_u32_e32 8, v54
; %bb.2550:                             ;   in Loop: Header=BB300_1574 Depth=1
	s_delay_alu instid0(VALU_DEP_3) | instskip(NEXT) | instid1(VALU_DEP_1)
	v_clz_i32_u32_e32 v49, v49
	v_min_u32_e32 v49, 32, v49
	s_delay_alu instid0(VALU_DEP_1) | instskip(NEXT) | instid1(VALU_DEP_1)
	v_subrev_nc_u32_e32 v53, 28, v49
	v_lshlrev_b64_e32 v[54:55], v53, v[6:7]
	s_delay_alu instid0(VALU_DEP_1)
	v_dual_sub_nc_u32 v53, 29, v49 :: v_dual_bitop2_b32 v49, 7, v54 bitop3:0x40
; %bb.2551:                             ;   in Loop: Header=BB300_1574 Depth=1
	s_or_b32 exec_lo, exec_lo, s18
	s_delay_alu instid0(VALU_DEP_1) | instskip(NEXT) | instid1(VALU_DEP_2)
	v_dual_lshlrev_b32 v6, 8, v6 :: v_dual_lshlrev_b32 v49, 7, v49
	v_lshl_add_u32 v53, v53, 10, 0x2000
	s_delay_alu instid0(VALU_DEP_2) | instskip(NEXT) | instid1(VALU_DEP_2)
	v_and_b32_e32 v6, 0x8000, v6
	v_and_b32_e32 v53, 0xfc00, v53
	s_delay_alu instid0(VALU_DEP_1)
	v_or3_b32 v49, v6, v53, v49
.LBB300_2552:                           ;   in Loop: Header=BB300_1574 Depth=1
	s_or_b32 exec_lo, exec_lo, s17
.LBB300_2553:                           ;   in Loop: Header=BB300_1574 Depth=1
	s_delay_alu instid0(SALU_CYCLE_1)
	s_or_b32 exec_lo, exec_lo, s16
.LBB300_2554:                           ;   in Loop: Header=BB300_1574 Depth=1
	s_delay_alu instid0(SALU_CYCLE_1)
	s_or_b32 exec_lo, exec_lo, s9
	v_cmp_lt_u64_e64 s0, s[2:3], v[50:51]
	v_mov_b32_e32 v50, 0
	s_and_saveexec_b32 s9, s0
	s_cbranch_execz .LBB300_2562
; %bb.2555:                             ;   in Loop: Header=BB300_1574 Depth=1
	v_lshrrev_b32_e32 v6, 24, v51
	v_bfrev_b32_e32 v50, 1
	s_mov_b32 s16, exec_lo
	s_delay_alu instid0(VALU_DEP_2)
	v_cmpx_ne_u32_e32 0x80, v6
	s_cbranch_execz .LBB300_2561
; %bb.2556:                             ;   in Loop: Header=BB300_1574 Depth=1
	v_and_b32_e32 v53, 0x7f, v6
	v_mov_b32_e32 v50, 0x7c010000
	s_mov_b32 s17, exec_lo
	s_delay_alu instid0(VALU_DEP_2)
	v_cmpx_ne_u32_e32 0x7f, v53
	s_cbranch_execz .LBB300_2560
; %bb.2557:                             ;   in Loop: Header=BB300_1574 Depth=1
	v_dual_lshrrev_b32 v51, 3, v53 :: v_dual_bitop2_b32 v50, 7, v6 bitop3:0x40
	s_mov_b32 s18, exec_lo
	v_cmpx_gt_u32_e32 8, v53
; %bb.2558:                             ;   in Loop: Header=BB300_1574 Depth=1
	s_delay_alu instid0(VALU_DEP_2) | instskip(NEXT) | instid1(VALU_DEP_1)
	v_clz_i32_u32_e32 v50, v50
	v_min_u32_e32 v53, 32, v50
	s_delay_alu instid0(VALU_DEP_1) | instskip(NEXT) | instid1(VALU_DEP_1)
	v_subrev_nc_u32_e32 v50, 28, v53
	v_lshlrev_b64_e32 v[50:51], v50, v[6:7]
	s_delay_alu instid0(VALU_DEP_1)
	v_dual_sub_nc_u32 v51, 29, v53 :: v_dual_bitop2_b32 v50, 7, v50 bitop3:0x40
; %bb.2559:                             ;   in Loop: Header=BB300_1574 Depth=1
	s_or_b32 exec_lo, exec_lo, s18
	v_lshlrev_b32_e32 v6, 8, v6
	s_delay_alu instid0(VALU_DEP_2) | instskip(NEXT) | instid1(VALU_DEP_3)
	v_lshl_add_u32 v51, v51, 10, 0x2000
	v_lshlrev_b32_e32 v50, 23, v50
	s_delay_alu instid0(VALU_DEP_2) | instskip(NEXT) | instid1(VALU_DEP_1)
	v_and_or_b32 v6, 0x8000, v6, v51
	v_lshl_or_b32 v50, v6, 16, v50
.LBB300_2560:                           ;   in Loop: Header=BB300_1574 Depth=1
	s_or_b32 exec_lo, exec_lo, s17
.LBB300_2561:                           ;   in Loop: Header=BB300_1574 Depth=1
	s_delay_alu instid0(SALU_CYCLE_1)
	s_or_b32 exec_lo, exec_lo, s16
.LBB300_2562:                           ;   in Loop: Header=BB300_1574 Depth=1
	s_delay_alu instid0(SALU_CYCLE_1) | instskip(SKIP_4) | instid1(VALU_DEP_4)
	s_or_b32 exec_lo, exec_lo, s9
	v_dual_lshrrev_b32 v6, 16, v1 :: v_dual_lshrrev_b32 v51, 16, v19
	v_or_b32_e32 v1, v1, v18
	v_or_b32_e32 v22, v19, v22
	;; [unrolled: 1-line block ×3, first 2 shown]
	v_cvt_f32_f16_e32 v19, v6
	v_cvt_f32_f16_e32 v18, v51
	v_dual_lshrrev_b32 v50, 16, v50 :: v_dual_bitop2_b32 v6, v50, v49 bitop3:0x54
	v_lshrrev_b32_e32 v49, 16, v52
	v_cvt_f32_f16_e32 v23, v1
	s_delay_alu instid0(VALU_DEP_3) | instskip(NEXT) | instid1(VALU_DEP_4)
	v_cvt_f32_f16_e32 v52, v6
	v_cvt_f32_f16_e32 v50, v50
	s_wait_loadcnt_dscnt 0x0
	v_pk_mul_f32 v[18:19], v[48:49], v[18:19] op_sel_hi:[0,1]
	v_cvt_f32_f16_e32 v51, v49
	s_delay_alu instid0(VALU_DEP_2) | instskip(NEXT) | instid1(VALU_DEP_2)
	v_cvt_pk_f16_f32 v1, v18, v19
	v_pk_mul_f32 v[18:19], v[48:49], v[50:51] op_sel_hi:[0,1]
	s_delay_alu instid0(VALU_DEP_2) | instskip(SKIP_2) | instid1(VALU_DEP_4)
	v_lshlrev_b32_e32 v50, 16, v1
	v_cvt_f32_f16_e32 v22, v22
	v_and_b32_e32 v51, 0xffff0000, v1
	v_cvt_pk_f16_f32 v18, v18, v19
	s_delay_alu instid0(VALU_DEP_3) | instskip(NEXT) | instid1(VALU_DEP_2)
	v_pk_mul_f32 v[22:23], v[48:49], v[22:23] op_sel_hi:[0,1]
	v_and_b32_e32 v19, 0xffff0000, v18
	s_delay_alu instid0(VALU_DEP_2) | instskip(NEXT) | instid1(VALU_DEP_1)
	v_cvt_pk_f16_f32 v6, v22, v23
	v_lshrrev_b32_e32 v65, 16, v6
	v_cvt_f32_f16_e32 v53, v53
	v_and_b32_e32 v64, 0xffff, v6
	s_delay_alu instid0(VALU_DEP_3) | instskip(NEXT) | instid1(VALU_DEP_3)
	v_or_b32_e32 v55, v51, v65
	v_pk_mul_f32 v[48:49], v[48:49], v[52:53] op_sel_hi:[0,1]
	s_delay_alu instid0(VALU_DEP_3) | instskip(NEXT) | instid1(VALU_DEP_2)
	v_or_b32_e32 v54, v50, v64
	v_cvt_pk_f16_f32 v1, v48, v49
	s_delay_alu instid0(VALU_DEP_1) | instskip(SKIP_1) | instid1(VALU_DEP_2)
	v_dual_lshlrev_b32 v6, 16, v18 :: v_dual_lshrrev_b32 v49, 16, v1
	v_and_b32_e32 v48, 0xffff, v1
	v_or_b32_e32 v53, v19, v49
	s_delay_alu instid0(VALU_DEP_2)
	v_or_b32_e32 v52, v6, v48
	s_and_saveexec_b32 s9, vcc_lo
	s_cbranch_execz .LBB300_2564
; %bb.2563:                             ;   in Loop: Header=BB300_1574 Depth=1
	v_cmp_lt_i32_e64 s0, v70, v13
	s_delay_alu instid0(VALU_DEP_1) | instskip(SKIP_1) | instid1(VALU_DEP_1)
	v_cndmask_b32_e64 v1, 0, v65, s0
	v_cmp_lt_i32_e64 s0, v86, v12
	v_cndmask_b32_e64 v18, 0, v64, s0
	v_cmp_lt_i32_e64 s0, v85, v13
	s_delay_alu instid0(VALU_DEP_1) | instskip(SKIP_1) | instid1(VALU_DEP_1)
	v_cndmask_b32_e64 v22, 0, v51, s0
	v_cmp_lt_i32_e64 s0, v84, v12
	v_cndmask_b32_e64 v23, 0, v50, s0
	v_cmp_lt_i32_e64 s0, v83, v13
	s_delay_alu instid0(VALU_DEP_4) | instskip(NEXT) | instid1(VALU_DEP_2)
	v_or_b32_e32 v55, v1, v22
	v_dual_cndmask_b32 v49, 0, v49, s0 :: v_dual_bitop2_b32 v54, v18, v23 bitop3:0x54
	v_cmp_lt_i32_e64 s0, v82, v12
	s_delay_alu instid0(VALU_DEP_1) | instskip(SKIP_1) | instid1(VALU_DEP_1)
	v_cndmask_b32_e64 v48, 0, v48, s0
	v_cmp_lt_i32_e64 s0, v81, v13
	v_cndmask_b32_e64 v19, 0, v19, s0
	v_cmp_lt_i32_e64 s0, v0, v12
	s_delay_alu instid0(VALU_DEP_1) | instskip(NEXT) | instid1(VALU_DEP_1)
	v_dual_cndmask_b32 v6, 0, v6, s0 :: v_dual_bitop2_b32 v53, v49, v19 bitop3:0x54
	v_or_b32_e32 v52, v48, v6
.LBB300_2564:                           ;   in Loop: Header=BB300_1574 Depth=1
	s_or_b32 exec_lo, exec_lo, s9
	;;#ASMSTART
	v_pk_mul_f16 v1, v98, v55;

	;;#ASMEND
	;;#ASMSTART
	v_pk_mul_f16 v6, v97, v54;

	;;#ASMEND
	;; [unrolled: 4-line block ×4, first 2 shown]
	;;#ASMSTART
	v_pk_add_f16 v1, v1, v6;

	;;#ASMEND
	;;#ASMSTART
	v_pk_add_f16 v1, v1, v18;

	;;#ASMEND
	;; [unrolled: 4-line block ×3, first 2 shown]
	v_and_b32_e32 v6, 0xffff, v1
	v_lshrrev_b32_e32 v1, 16, v1
	;;#ASMSTART
	v_cvt_f32_f16 v63, v6;
	;;#ASMEND
	;;#ASMSTART
	v_cvt_f32_f16 v72, v1;
	;;#ASMEND
	flat_load_b64 v[50:51], v[36:37] offset:3840
	scratch_load_b64 v[18:19], off, s32 offset:192 ; 8-byte Folded Reload
	v_mov_b32_e32 v1, 0
	s_mov_b32 s9, exec_lo
	s_wait_loadcnt_dscnt 0x100
	v_and_b32_e32 v6, 0xff, v50
	s_wait_loadcnt 0x0
	flat_load_b32 v48, v[18:19]
	s_wait_xcnt 0x0
	v_mov_b32_e32 v18, 0
	v_cmpx_ne_u16_e32 0, v6
	s_cbranch_execz .LBB300_2572
; %bb.2565:                             ;   in Loop: Header=BB300_1574 Depth=1
	v_mov_b32_e32 v18, 0x8000
	s_mov_b32 s16, exec_lo
	v_cmpx_ne_u16_e32 0x80, v6
	s_cbranch_execz .LBB300_2571
; %bb.2566:                             ;   in Loop: Header=BB300_1574 Depth=1
	v_and_b32_e32 v19, 0x7f, v50
	v_mov_b32_e32 v18, 0x7c01
	s_mov_b32 s17, exec_lo
	s_delay_alu instid0(VALU_DEP_2)
	v_cmpx_ne_u32_e32 0x7f, v19
	s_cbranch_execz .LBB300_2570
; %bb.2567:                             ;   in Loop: Header=BB300_1574 Depth=1
	v_dual_lshrrev_b32 v18, 3, v19 :: v_dual_bitop2_b32 v6, 7, v50 bitop3:0x40
	s_mov_b32 s18, exec_lo
	v_cmpx_gt_u32_e32 8, v19
; %bb.2568:                             ;   in Loop: Header=BB300_1574 Depth=1
	s_delay_alu instid0(VALU_DEP_2) | instskip(NEXT) | instid1(VALU_DEP_1)
	v_clz_i32_u32_e32 v6, v6
	v_min_u32_e32 v6, 32, v6
	s_delay_alu instid0(VALU_DEP_1) | instskip(NEXT) | instid1(VALU_DEP_1)
	v_subrev_nc_u32_e32 v18, 28, v6
	v_lshlrev_b64_e32 v[22:23], v18, v[50:51]
	v_sub_nc_u32_e32 v18, 29, v6
	s_delay_alu instid0(VALU_DEP_2)
	v_and_b32_e32 v6, 7, v22
; %bb.2569:                             ;   in Loop: Header=BB300_1574 Depth=1
	s_or_b32 exec_lo, exec_lo, s18
	v_lshlrev_b32_e32 v19, 8, v50
	s_delay_alu instid0(VALU_DEP_3) | instskip(NEXT) | instid1(VALU_DEP_3)
	v_lshl_add_u32 v18, v18, 10, 0x2000
	v_lshlrev_b32_e32 v6, 7, v6
	s_delay_alu instid0(VALU_DEP_3) | instskip(NEXT) | instid1(VALU_DEP_3)
	v_and_b32_e32 v19, 0x8000, v19
	v_and_b32_e32 v18, 0xfc00, v18
	s_delay_alu instid0(VALU_DEP_1)
	v_or3_b32 v18, v19, v18, v6
.LBB300_2570:                           ;   in Loop: Header=BB300_1574 Depth=1
	s_or_b32 exec_lo, exec_lo, s17
.LBB300_2571:                           ;   in Loop: Header=BB300_1574 Depth=1
	s_delay_alu instid0(SALU_CYCLE_1)
	s_or_b32 exec_lo, exec_lo, s16
.LBB300_2572:                           ;   in Loop: Header=BB300_1574 Depth=1
	s_delay_alu instid0(SALU_CYCLE_1) | instskip(SKIP_2) | instid1(VALU_DEP_1)
	s_or_b32 exec_lo, exec_lo, s9
	v_lshrrev_b16 v6, 8, v50
	s_mov_b32 s9, exec_lo
	v_cmpx_ne_u16_e32 0, v6
	s_cbranch_execz .LBB300_2580
; %bb.2573:                             ;   in Loop: Header=BB300_1574 Depth=1
	v_bfrev_b32_e32 v1, 1
	s_mov_b32 s16, exec_lo
	v_cmpx_ne_u16_e32 0x80, v6
	s_cbranch_execz .LBB300_2579
; %bb.2574:                             ;   in Loop: Header=BB300_1574 Depth=1
	v_and_b32_e32 v19, 0xffff, v6
	v_mov_b32_e32 v1, 0x7c010000
	s_mov_b32 s17, exec_lo
	s_delay_alu instid0(VALU_DEP_2) | instskip(NEXT) | instid1(VALU_DEP_1)
	v_and_b32_e32 v23, 0x7f, v19
	v_cmpx_ne_u32_e32 0x7f, v23
	s_cbranch_execz .LBB300_2578
; %bb.2575:                             ;   in Loop: Header=BB300_1574 Depth=1
	v_and_b32_e32 v1, 7, v19
	v_lshrrev_b32_e32 v22, 3, v23
	s_mov_b32 s18, exec_lo
	v_cmpx_gt_u32_e32 8, v23
; %bb.2576:                             ;   in Loop: Header=BB300_1574 Depth=1
	s_delay_alu instid0(VALU_DEP_3) | instskip(NEXT) | instid1(VALU_DEP_1)
	v_clz_i32_u32_e32 v1, v1
	v_min_u32_e32 v1, 32, v1
	s_delay_alu instid0(VALU_DEP_1) | instskip(NEXT) | instid1(VALU_DEP_1)
	v_subrev_nc_u32_e32 v22, 28, v1
	v_lshlrev_b64_e32 v[52:53], v22, v[6:7]
	s_delay_alu instid0(VALU_DEP_1)
	v_dual_sub_nc_u32 v22, 29, v1 :: v_dual_bitop2_b32 v1, 7, v52 bitop3:0x40
; %bb.2577:                             ;   in Loop: Header=BB300_1574 Depth=1
	s_or_b32 exec_lo, exec_lo, s18
	s_delay_alu instid0(VALU_DEP_1) | instskip(NEXT) | instid1(VALU_DEP_2)
	v_dual_lshlrev_b32 v6, 8, v19 :: v_dual_lshlrev_b32 v1, 23, v1
	v_lshl_add_u32 v19, v22, 10, 0x2000
	s_delay_alu instid0(VALU_DEP_1) | instskip(NEXT) | instid1(VALU_DEP_1)
	v_and_or_b32 v6, 0x8000, v6, v19
	v_lshl_or_b32 v1, v6, 16, v1
.LBB300_2578:                           ;   in Loop: Header=BB300_1574 Depth=1
	s_or_b32 exec_lo, exec_lo, s17
.LBB300_2579:                           ;   in Loop: Header=BB300_1574 Depth=1
	s_delay_alu instid0(SALU_CYCLE_1)
	s_or_b32 exec_lo, exec_lo, s16
.LBB300_2580:                           ;   in Loop: Header=BB300_1574 Depth=1
	s_delay_alu instid0(SALU_CYCLE_1) | instskip(SKIP_3) | instid1(VALU_DEP_2)
	s_or_b32 exec_lo, exec_lo, s9
	v_dual_mov_b32 v19, 0 :: v_dual_lshrrev_b32 v6, 16, v50
	v_mov_b32_e32 v22, 0
	s_mov_b32 s9, exec_lo
	v_and_b32_e32 v23, 0xff, v6
	s_delay_alu instid0(VALU_DEP_1)
	v_cmpx_ne_u16_e32 0, v23
	s_cbranch_execz .LBB300_2588
; %bb.2581:                             ;   in Loop: Header=BB300_1574 Depth=1
	v_mov_b32_e32 v22, 0x8000
	s_mov_b32 s16, exec_lo
	v_cmpx_ne_u16_e32 0x80, v23
	s_cbranch_execz .LBB300_2587
; %bb.2582:                             ;   in Loop: Header=BB300_1574 Depth=1
	v_bfe_u32 v49, v50, 16, 7
	v_mov_b32_e32 v22, 0x7c01
	s_mov_b32 s17, exec_lo
	s_delay_alu instid0(VALU_DEP_2)
	v_cmpx_ne_u32_e32 0x7f, v49
	s_cbranch_execz .LBB300_2586
; %bb.2583:                             ;   in Loop: Header=BB300_1574 Depth=1
	v_dual_lshrrev_b32 v23, 3, v49 :: v_dual_bitop2_b32 v22, 7, v6 bitop3:0x40
	s_mov_b32 s18, exec_lo
	v_cmpx_gt_u32_e32 8, v49
; %bb.2584:                             ;   in Loop: Header=BB300_1574 Depth=1
	s_delay_alu instid0(VALU_DEP_2) | instskip(NEXT) | instid1(VALU_DEP_1)
	v_clz_i32_u32_e32 v22, v22
	v_min_u32_e32 v49, 32, v22
	s_delay_alu instid0(VALU_DEP_1) | instskip(NEXT) | instid1(VALU_DEP_1)
	v_subrev_nc_u32_e32 v22, 28, v49
	v_lshlrev_b64_e32 v[22:23], v22, v[6:7]
	s_delay_alu instid0(VALU_DEP_1)
	v_dual_sub_nc_u32 v23, 29, v49 :: v_dual_bitop2_b32 v22, 7, v22 bitop3:0x40
; %bb.2585:                             ;   in Loop: Header=BB300_1574 Depth=1
	s_or_b32 exec_lo, exec_lo, s18
	v_lshlrev_b32_e32 v6, 8, v6
	s_delay_alu instid0(VALU_DEP_2) | instskip(NEXT) | instid1(VALU_DEP_3)
	v_lshl_add_u32 v23, v23, 10, 0x2000
	v_lshlrev_b32_e32 v22, 7, v22
	s_delay_alu instid0(VALU_DEP_3) | instskip(NEXT) | instid1(VALU_DEP_3)
	v_and_b32_e32 v6, 0x8000, v6
	v_and_b32_e32 v23, 0xfc00, v23
	s_delay_alu instid0(VALU_DEP_1)
	v_or3_b32 v22, v6, v23, v22
.LBB300_2586:                           ;   in Loop: Header=BB300_1574 Depth=1
	s_or_b32 exec_lo, exec_lo, s17
.LBB300_2587:                           ;   in Loop: Header=BB300_1574 Depth=1
	s_delay_alu instid0(SALU_CYCLE_1)
	s_or_b32 exec_lo, exec_lo, s16
.LBB300_2588:                           ;   in Loop: Header=BB300_1574 Depth=1
	s_delay_alu instid0(SALU_CYCLE_1) | instskip(NEXT) | instid1(SALU_CYCLE_1)
	s_or_b32 exec_lo, exec_lo, s9
	s_mov_b32 s9, exec_lo
	v_cmpx_lt_u32_e32 0xffffff, v50
	s_cbranch_execz .LBB300_2596
; %bb.2589:                             ;   in Loop: Header=BB300_1574 Depth=1
	v_lshrrev_b32_e32 v6, 24, v50
	v_bfrev_b32_e32 v19, 1
	s_mov_b32 s16, exec_lo
	s_delay_alu instid0(VALU_DEP_2)
	v_cmpx_ne_u32_e32 0x80, v6
	s_cbranch_execz .LBB300_2595
; %bb.2590:                             ;   in Loop: Header=BB300_1574 Depth=1
	v_and_b32_e32 v49, 0x7f, v6
	v_mov_b32_e32 v19, 0x7c010000
	s_mov_b32 s17, exec_lo
	s_delay_alu instid0(VALU_DEP_2)
	v_cmpx_ne_u32_e32 0x7f, v49
	s_cbranch_execz .LBB300_2594
; %bb.2591:                             ;   in Loop: Header=BB300_1574 Depth=1
	v_dual_lshrrev_b32 v23, 3, v49 :: v_dual_bitop2_b32 v19, 7, v6 bitop3:0x40
	s_mov_b32 s18, exec_lo
	v_cmpx_gt_u32_e32 8, v49
; %bb.2592:                             ;   in Loop: Header=BB300_1574 Depth=1
	s_delay_alu instid0(VALU_DEP_2) | instskip(NEXT) | instid1(VALU_DEP_1)
	v_clz_i32_u32_e32 v19, v19
	v_min_u32_e32 v19, 32, v19
	s_delay_alu instid0(VALU_DEP_1) | instskip(NEXT) | instid1(VALU_DEP_1)
	v_subrev_nc_u32_e32 v23, 28, v19
	v_lshlrev_b64_e32 v[52:53], v23, v[6:7]
	s_delay_alu instid0(VALU_DEP_1)
	v_dual_sub_nc_u32 v23, 29, v19 :: v_dual_bitop2_b32 v19, 7, v52 bitop3:0x40
; %bb.2593:                             ;   in Loop: Header=BB300_1574 Depth=1
	s_or_b32 exec_lo, exec_lo, s18
	s_delay_alu instid0(VALU_DEP_1) | instskip(NEXT) | instid1(VALU_DEP_2)
	v_dual_lshlrev_b32 v6, 8, v6 :: v_dual_lshlrev_b32 v19, 23, v19
	v_lshl_add_u32 v23, v23, 10, 0x2000
	s_delay_alu instid0(VALU_DEP_1) | instskip(NEXT) | instid1(VALU_DEP_1)
	v_and_or_b32 v6, 0x8000, v6, v23
	v_lshl_or_b32 v19, v6, 16, v19
.LBB300_2594:                           ;   in Loop: Header=BB300_1574 Depth=1
	s_or_b32 exec_lo, exec_lo, s17
.LBB300_2595:                           ;   in Loop: Header=BB300_1574 Depth=1
	s_delay_alu instid0(SALU_CYCLE_1)
	s_or_b32 exec_lo, exec_lo, s16
.LBB300_2596:                           ;   in Loop: Header=BB300_1574 Depth=1
	s_delay_alu instid0(SALU_CYCLE_1) | instskip(SKIP_4) | instid1(VALU_DEP_3)
	s_or_b32 exec_lo, exec_lo, s9
	v_and_b32_e32 v52, 0xff, v51
	v_dual_mov_b32 v6, v51 :: v_dual_mov_b32 v49, 0
	v_mov_b32_e32 v23, 0
	s_mov_b32 s9, exec_lo
	v_cmpx_ne_u16_e32 0, v52
	s_cbranch_execz .LBB300_2604
; %bb.2597:                             ;   in Loop: Header=BB300_1574 Depth=1
	v_mov_b32_e32 v23, 0x8000
	s_mov_b32 s16, exec_lo
	v_cmpx_ne_u16_e32 0x80, v52
	s_cbranch_execz .LBB300_2603
; %bb.2598:                             ;   in Loop: Header=BB300_1574 Depth=1
	v_and_b32_e32 v53, 0x7f, v51
	v_mov_b32_e32 v23, 0x7c01
	s_mov_b32 s17, exec_lo
	s_delay_alu instid0(VALU_DEP_2)
	v_cmpx_ne_u32_e32 0x7f, v53
	s_cbranch_execz .LBB300_2602
; %bb.2599:                             ;   in Loop: Header=BB300_1574 Depth=1
	v_dual_lshrrev_b32 v52, 3, v53 :: v_dual_bitop2_b32 v23, 7, v51 bitop3:0x40
	s_mov_b32 s18, exec_lo
	v_cmpx_gt_u32_e32 8, v53
; %bb.2600:                             ;   in Loop: Header=BB300_1574 Depth=1
	s_delay_alu instid0(VALU_DEP_2) | instskip(NEXT) | instid1(VALU_DEP_1)
	v_clz_i32_u32_e32 v23, v23
	v_min_u32_e32 v23, 32, v23
	s_delay_alu instid0(VALU_DEP_1) | instskip(NEXT) | instid1(VALU_DEP_1)
	v_subrev_nc_u32_e32 v52, 28, v23
	v_lshlrev_b64_e32 v[54:55], v52, v[6:7]
	s_delay_alu instid0(VALU_DEP_1)
	v_dual_sub_nc_u32 v52, 29, v23 :: v_dual_bitop2_b32 v23, 7, v54 bitop3:0x40
; %bb.2601:                             ;   in Loop: Header=BB300_1574 Depth=1
	s_or_b32 exec_lo, exec_lo, s18
	v_lshlrev_b32_e32 v53, 8, v51
	s_delay_alu instid0(VALU_DEP_2) | instskip(NEXT) | instid1(VALU_DEP_3)
	v_lshl_add_u32 v52, v52, 10, 0x2000
	v_lshlrev_b32_e32 v23, 7, v23
	s_delay_alu instid0(VALU_DEP_3) | instskip(NEXT) | instid1(VALU_DEP_3)
	v_and_b32_e32 v53, 0x8000, v53
	v_and_b32_e32 v52, 0xfc00, v52
	s_delay_alu instid0(VALU_DEP_1)
	v_or3_b32 v23, v53, v52, v23
.LBB300_2602:                           ;   in Loop: Header=BB300_1574 Depth=1
	s_or_b32 exec_lo, exec_lo, s17
.LBB300_2603:                           ;   in Loop: Header=BB300_1574 Depth=1
	s_delay_alu instid0(SALU_CYCLE_1)
	s_or_b32 exec_lo, exec_lo, s16
.LBB300_2604:                           ;   in Loop: Header=BB300_1574 Depth=1
	s_delay_alu instid0(SALU_CYCLE_1) | instskip(SKIP_3) | instid1(VALU_DEP_2)
	s_or_b32 exec_lo, exec_lo, s9
	v_lshrrev_b16 v6, 8, v6
	v_mov_b32_e32 v52, 0
	s_mov_b32 s9, exec_lo
	v_cmpx_ne_u16_e32 0, v6
	s_cbranch_execz .LBB300_2612
; %bb.2605:                             ;   in Loop: Header=BB300_1574 Depth=1
	v_bfrev_b32_e32 v52, 1
	s_mov_b32 s16, exec_lo
	v_cmpx_ne_u16_e32 0x80, v6
	s_cbranch_execz .LBB300_2611
; %bb.2606:                             ;   in Loop: Header=BB300_1574 Depth=1
	v_and_b32_e32 v53, 0xffff, v6
	v_mov_b32_e32 v52, 0x7c010000
	s_mov_b32 s17, exec_lo
	s_delay_alu instid0(VALU_DEP_2) | instskip(NEXT) | instid1(VALU_DEP_1)
	v_and_b32_e32 v55, 0x7f, v53
	v_cmpx_ne_u32_e32 0x7f, v55
	s_cbranch_execz .LBB300_2610
; %bb.2607:                             ;   in Loop: Header=BB300_1574 Depth=1
	v_dual_lshrrev_b32 v54, 3, v55 :: v_dual_bitop2_b32 v52, 7, v53 bitop3:0x40
	s_mov_b32 s18, exec_lo
	v_cmpx_gt_u32_e32 8, v55
; %bb.2608:                             ;   in Loop: Header=BB300_1574 Depth=1
	s_delay_alu instid0(VALU_DEP_2) | instskip(NEXT) | instid1(VALU_DEP_1)
	v_clz_i32_u32_e32 v52, v52
	v_min_u32_e32 v52, 32, v52
	s_delay_alu instid0(VALU_DEP_1) | instskip(NEXT) | instid1(VALU_DEP_1)
	v_subrev_nc_u32_e32 v54, 28, v52
	v_lshlrev_b64_e32 v[64:65], v54, v[6:7]
	v_sub_nc_u32_e32 v54, 29, v52
	s_delay_alu instid0(VALU_DEP_2)
	v_and_b32_e32 v52, 7, v64
; %bb.2609:                             ;   in Loop: Header=BB300_1574 Depth=1
	s_or_b32 exec_lo, exec_lo, s18
	s_delay_alu instid0(VALU_DEP_1) | instskip(NEXT) | instid1(VALU_DEP_3)
	v_dual_lshlrev_b32 v6, 8, v53 :: v_dual_lshlrev_b32 v52, 23, v52
	v_lshl_add_u32 v53, v54, 10, 0x2000
	s_delay_alu instid0(VALU_DEP_1) | instskip(NEXT) | instid1(VALU_DEP_1)
	v_and_or_b32 v6, 0x8000, v6, v53
	v_lshl_or_b32 v52, v6, 16, v52
.LBB300_2610:                           ;   in Loop: Header=BB300_1574 Depth=1
	s_or_b32 exec_lo, exec_lo, s17
.LBB300_2611:                           ;   in Loop: Header=BB300_1574 Depth=1
	s_delay_alu instid0(SALU_CYCLE_1)
	s_or_b32 exec_lo, exec_lo, s16
.LBB300_2612:                           ;   in Loop: Header=BB300_1574 Depth=1
	s_delay_alu instid0(SALU_CYCLE_1) | instskip(SKIP_2) | instid1(VALU_DEP_1)
	s_or_b32 exec_lo, exec_lo, s9
	v_lshrrev_b32_e32 v6, 16, v51
	s_mov_b32 s9, exec_lo
	v_and_b32_e32 v53, 0xff, v6
	s_delay_alu instid0(VALU_DEP_1)
	v_cmpx_ne_u16_e32 0, v53
	s_cbranch_execz .LBB300_2620
; %bb.2613:                             ;   in Loop: Header=BB300_1574 Depth=1
	v_mov_b32_e32 v49, 0x8000
	s_mov_b32 s16, exec_lo
	v_cmpx_ne_u16_e32 0x80, v53
	s_cbranch_execz .LBB300_2619
; %bb.2614:                             ;   in Loop: Header=BB300_1574 Depth=1
	v_bfe_u32 v54, v51, 16, 7
	v_mov_b32_e32 v49, 0x7c01
	s_mov_b32 s17, exec_lo
	s_delay_alu instid0(VALU_DEP_2)
	v_cmpx_ne_u32_e32 0x7f, v54
	s_cbranch_execz .LBB300_2618
; %bb.2615:                             ;   in Loop: Header=BB300_1574 Depth=1
	v_and_b32_e32 v49, 7, v6
	v_lshrrev_b32_e32 v53, 3, v54
	s_mov_b32 s18, exec_lo
	v_cmpx_gt_u32_e32 8, v54
; %bb.2616:                             ;   in Loop: Header=BB300_1574 Depth=1
	s_delay_alu instid0(VALU_DEP_3) | instskip(NEXT) | instid1(VALU_DEP_1)
	v_clz_i32_u32_e32 v49, v49
	v_min_u32_e32 v49, 32, v49
	s_delay_alu instid0(VALU_DEP_1) | instskip(NEXT) | instid1(VALU_DEP_1)
	v_subrev_nc_u32_e32 v53, 28, v49
	v_lshlrev_b64_e32 v[54:55], v53, v[6:7]
	s_delay_alu instid0(VALU_DEP_1)
	v_dual_sub_nc_u32 v53, 29, v49 :: v_dual_bitop2_b32 v49, 7, v54 bitop3:0x40
; %bb.2617:                             ;   in Loop: Header=BB300_1574 Depth=1
	s_or_b32 exec_lo, exec_lo, s18
	s_delay_alu instid0(VALU_DEP_1) | instskip(NEXT) | instid1(VALU_DEP_2)
	v_dual_lshlrev_b32 v6, 8, v6 :: v_dual_lshlrev_b32 v49, 7, v49
	v_lshl_add_u32 v53, v53, 10, 0x2000
	s_delay_alu instid0(VALU_DEP_2) | instskip(NEXT) | instid1(VALU_DEP_2)
	v_and_b32_e32 v6, 0x8000, v6
	v_and_b32_e32 v53, 0xfc00, v53
	s_delay_alu instid0(VALU_DEP_1)
	v_or3_b32 v49, v6, v53, v49
.LBB300_2618:                           ;   in Loop: Header=BB300_1574 Depth=1
	s_or_b32 exec_lo, exec_lo, s17
.LBB300_2619:                           ;   in Loop: Header=BB300_1574 Depth=1
	s_delay_alu instid0(SALU_CYCLE_1)
	s_or_b32 exec_lo, exec_lo, s16
.LBB300_2620:                           ;   in Loop: Header=BB300_1574 Depth=1
	s_delay_alu instid0(SALU_CYCLE_1)
	s_or_b32 exec_lo, exec_lo, s9
	v_cmp_lt_u64_e64 s0, s[2:3], v[50:51]
	v_mov_b32_e32 v50, 0
	s_and_saveexec_b32 s9, s0
	s_cbranch_execz .LBB300_2628
; %bb.2621:                             ;   in Loop: Header=BB300_1574 Depth=1
	v_lshrrev_b32_e32 v6, 24, v51
	v_bfrev_b32_e32 v50, 1
	s_mov_b32 s16, exec_lo
	s_delay_alu instid0(VALU_DEP_2)
	v_cmpx_ne_u32_e32 0x80, v6
	s_cbranch_execz .LBB300_2627
; %bb.2622:                             ;   in Loop: Header=BB300_1574 Depth=1
	v_and_b32_e32 v53, 0x7f, v6
	v_mov_b32_e32 v50, 0x7c010000
	s_mov_b32 s17, exec_lo
	s_delay_alu instid0(VALU_DEP_2)
	v_cmpx_ne_u32_e32 0x7f, v53
	s_cbranch_execz .LBB300_2626
; %bb.2623:                             ;   in Loop: Header=BB300_1574 Depth=1
	v_dual_lshrrev_b32 v51, 3, v53 :: v_dual_bitop2_b32 v50, 7, v6 bitop3:0x40
	s_mov_b32 s18, exec_lo
	v_cmpx_gt_u32_e32 8, v53
; %bb.2624:                             ;   in Loop: Header=BB300_1574 Depth=1
	s_delay_alu instid0(VALU_DEP_2) | instskip(NEXT) | instid1(VALU_DEP_1)
	v_clz_i32_u32_e32 v50, v50
	v_min_u32_e32 v53, 32, v50
	s_delay_alu instid0(VALU_DEP_1) | instskip(NEXT) | instid1(VALU_DEP_1)
	v_subrev_nc_u32_e32 v50, 28, v53
	v_lshlrev_b64_e32 v[50:51], v50, v[6:7]
	s_delay_alu instid0(VALU_DEP_1)
	v_dual_sub_nc_u32 v51, 29, v53 :: v_dual_bitop2_b32 v50, 7, v50 bitop3:0x40
; %bb.2625:                             ;   in Loop: Header=BB300_1574 Depth=1
	s_or_b32 exec_lo, exec_lo, s18
	v_lshlrev_b32_e32 v6, 8, v6
	s_delay_alu instid0(VALU_DEP_2) | instskip(NEXT) | instid1(VALU_DEP_3)
	v_lshl_add_u32 v51, v51, 10, 0x2000
	v_lshlrev_b32_e32 v50, 23, v50
	s_delay_alu instid0(VALU_DEP_2) | instskip(NEXT) | instid1(VALU_DEP_1)
	v_and_or_b32 v6, 0x8000, v6, v51
	v_lshl_or_b32 v50, v6, 16, v50
.LBB300_2626:                           ;   in Loop: Header=BB300_1574 Depth=1
	s_or_b32 exec_lo, exec_lo, s17
.LBB300_2627:                           ;   in Loop: Header=BB300_1574 Depth=1
	s_delay_alu instid0(SALU_CYCLE_1)
	s_or_b32 exec_lo, exec_lo, s16
.LBB300_2628:                           ;   in Loop: Header=BB300_1574 Depth=1
	s_delay_alu instid0(SALU_CYCLE_1) | instskip(SKIP_4) | instid1(VALU_DEP_4)
	s_or_b32 exec_lo, exec_lo, s9
	v_dual_lshrrev_b32 v6, 16, v1 :: v_dual_lshrrev_b32 v51, 16, v19
	v_or_b32_e32 v1, v1, v18
	v_or_b32_e32 v22, v19, v22
	;; [unrolled: 1-line block ×3, first 2 shown]
	v_cvt_f32_f16_e32 v19, v6
	v_cvt_f32_f16_e32 v18, v51
	v_dual_lshrrev_b32 v50, 16, v50 :: v_dual_bitop2_b32 v6, v50, v49 bitop3:0x54
	v_lshrrev_b32_e32 v49, 16, v52
	v_cvt_f32_f16_e32 v23, v1
	s_delay_alu instid0(VALU_DEP_3) | instskip(NEXT) | instid1(VALU_DEP_4)
	v_cvt_f32_f16_e32 v52, v6
	v_cvt_f32_f16_e32 v50, v50
	s_wait_loadcnt_dscnt 0x0
	v_pk_mul_f32 v[18:19], v[48:49], v[18:19] op_sel_hi:[0,1]
	v_cvt_f32_f16_e32 v51, v49
	s_delay_alu instid0(VALU_DEP_2) | instskip(NEXT) | instid1(VALU_DEP_2)
	v_cvt_pk_f16_f32 v1, v18, v19
	v_pk_mul_f32 v[18:19], v[48:49], v[50:51] op_sel_hi:[0,1]
	s_delay_alu instid0(VALU_DEP_2) | instskip(SKIP_2) | instid1(VALU_DEP_4)
	v_lshlrev_b32_e32 v50, 16, v1
	v_cvt_f32_f16_e32 v22, v22
	v_and_b32_e32 v51, 0xffff0000, v1
	v_cvt_pk_f16_f32 v18, v18, v19
	s_delay_alu instid0(VALU_DEP_3) | instskip(NEXT) | instid1(VALU_DEP_2)
	v_pk_mul_f32 v[22:23], v[48:49], v[22:23] op_sel_hi:[0,1]
	v_and_b32_e32 v19, 0xffff0000, v18
	s_delay_alu instid0(VALU_DEP_2) | instskip(NEXT) | instid1(VALU_DEP_1)
	v_cvt_pk_f16_f32 v6, v22, v23
	v_lshrrev_b32_e32 v65, 16, v6
	v_cvt_f32_f16_e32 v53, v53
	v_and_b32_e32 v64, 0xffff, v6
	s_delay_alu instid0(VALU_DEP_3) | instskip(NEXT) | instid1(VALU_DEP_3)
	v_or_b32_e32 v55, v51, v65
	v_pk_mul_f32 v[48:49], v[48:49], v[52:53] op_sel_hi:[0,1]
	s_delay_alu instid0(VALU_DEP_3) | instskip(NEXT) | instid1(VALU_DEP_2)
	v_or_b32_e32 v54, v50, v64
	v_cvt_pk_f16_f32 v1, v48, v49
	s_delay_alu instid0(VALU_DEP_1) | instskip(SKIP_1) | instid1(VALU_DEP_2)
	v_dual_lshlrev_b32 v6, 16, v18 :: v_dual_lshrrev_b32 v49, 16, v1
	v_and_b32_e32 v48, 0xffff, v1
	v_or_b32_e32 v53, v19, v49
	s_delay_alu instid0(VALU_DEP_2)
	v_or_b32_e32 v52, v6, v48
	s_and_saveexec_b32 s9, vcc_lo
	s_cbranch_execz .LBB300_2630
; %bb.2629:                             ;   in Loop: Header=BB300_1574 Depth=1
	v_cmp_lt_i32_e64 s0, v70, v13
	s_delay_alu instid0(VALU_DEP_1) | instskip(SKIP_1) | instid1(VALU_DEP_1)
	v_cndmask_b32_e64 v1, 0, v65, s0
	v_cmp_lt_i32_e64 s0, v86, v12
	v_cndmask_b32_e64 v18, 0, v64, s0
	v_cmp_lt_i32_e64 s0, v85, v13
	s_delay_alu instid0(VALU_DEP_1) | instskip(SKIP_1) | instid1(VALU_DEP_1)
	v_cndmask_b32_e64 v22, 0, v51, s0
	v_cmp_lt_i32_e64 s0, v84, v12
	v_cndmask_b32_e64 v23, 0, v50, s0
	v_cmp_lt_i32_e64 s0, v83, v13
	s_delay_alu instid0(VALU_DEP_4) | instskip(NEXT) | instid1(VALU_DEP_2)
	v_or_b32_e32 v55, v1, v22
	v_dual_cndmask_b32 v49, 0, v49, s0 :: v_dual_bitop2_b32 v54, v18, v23 bitop3:0x54
	v_cmp_lt_i32_e64 s0, v82, v12
	s_delay_alu instid0(VALU_DEP_1) | instskip(SKIP_1) | instid1(VALU_DEP_1)
	v_cndmask_b32_e64 v48, 0, v48, s0
	v_cmp_lt_i32_e64 s0, v81, v13
	v_cndmask_b32_e64 v19, 0, v19, s0
	v_cmp_lt_i32_e64 s0, v0, v12
	s_delay_alu instid0(VALU_DEP_1) | instskip(NEXT) | instid1(VALU_DEP_1)
	v_dual_cndmask_b32 v6, 0, v6, s0 :: v_dual_bitop2_b32 v53, v49, v19 bitop3:0x54
	v_or_b32_e32 v52, v48, v6
.LBB300_2630:                           ;   in Loop: Header=BB300_1574 Depth=1
	s_or_b32 exec_lo, exec_lo, s9
	;;#ASMSTART
	v_pk_mul_f16 v1, v98, v55;

	;;#ASMEND
	;;#ASMSTART
	v_pk_mul_f16 v6, v97, v54;

	;;#ASMEND
	;; [unrolled: 4-line block ×4, first 2 shown]
	;;#ASMSTART
	v_pk_add_f16 v1, v1, v6;

	;;#ASMEND
	;;#ASMSTART
	v_pk_add_f16 v1, v1, v18;

	;;#ASMEND
	;; [unrolled: 4-line block ×3, first 2 shown]
	v_and_b32_e32 v6, 0xffff, v1
	v_lshrrev_b32_e32 v1, 16, v1
	;;#ASMSTART
	v_cvt_f32_f16 v73, v6;
	;;#ASMEND
	;;#ASMSTART
	v_cvt_f32_f16 v74, v1;
	;;#ASMEND
	flat_load_b64 v[50:51], v[36:37] offset:4096
	scratch_load_b64 v[18:19], off, s32 offset:192 ; 8-byte Folded Reload
	v_mov_b32_e32 v1, 0
	s_mov_b32 s9, exec_lo
	s_wait_loadcnt_dscnt 0x100
	v_and_b32_e32 v6, 0xff, v50
	s_wait_loadcnt 0x0
	flat_load_b32 v48, v[18:19]
	s_wait_xcnt 0x0
	v_mov_b32_e32 v18, 0
	v_cmpx_ne_u16_e32 0, v6
	s_cbranch_execz .LBB300_2638
; %bb.2631:                             ;   in Loop: Header=BB300_1574 Depth=1
	v_mov_b32_e32 v18, 0x8000
	s_mov_b32 s16, exec_lo
	v_cmpx_ne_u16_e32 0x80, v6
	s_cbranch_execz .LBB300_2637
; %bb.2632:                             ;   in Loop: Header=BB300_1574 Depth=1
	v_and_b32_e32 v19, 0x7f, v50
	v_mov_b32_e32 v18, 0x7c01
	s_mov_b32 s17, exec_lo
	s_delay_alu instid0(VALU_DEP_2)
	v_cmpx_ne_u32_e32 0x7f, v19
	s_cbranch_execz .LBB300_2636
; %bb.2633:                             ;   in Loop: Header=BB300_1574 Depth=1
	v_dual_lshrrev_b32 v18, 3, v19 :: v_dual_bitop2_b32 v6, 7, v50 bitop3:0x40
	s_mov_b32 s18, exec_lo
	v_cmpx_gt_u32_e32 8, v19
; %bb.2634:                             ;   in Loop: Header=BB300_1574 Depth=1
	s_delay_alu instid0(VALU_DEP_2) | instskip(NEXT) | instid1(VALU_DEP_1)
	v_clz_i32_u32_e32 v6, v6
	v_min_u32_e32 v6, 32, v6
	s_delay_alu instid0(VALU_DEP_1) | instskip(NEXT) | instid1(VALU_DEP_1)
	v_subrev_nc_u32_e32 v18, 28, v6
	v_lshlrev_b64_e32 v[22:23], v18, v[50:51]
	v_sub_nc_u32_e32 v18, 29, v6
	s_delay_alu instid0(VALU_DEP_2)
	v_and_b32_e32 v6, 7, v22
; %bb.2635:                             ;   in Loop: Header=BB300_1574 Depth=1
	s_or_b32 exec_lo, exec_lo, s18
	v_lshlrev_b32_e32 v19, 8, v50
	s_delay_alu instid0(VALU_DEP_3) | instskip(NEXT) | instid1(VALU_DEP_3)
	v_lshl_add_u32 v18, v18, 10, 0x2000
	v_lshlrev_b32_e32 v6, 7, v6
	s_delay_alu instid0(VALU_DEP_3) | instskip(NEXT) | instid1(VALU_DEP_3)
	v_and_b32_e32 v19, 0x8000, v19
	v_and_b32_e32 v18, 0xfc00, v18
	s_delay_alu instid0(VALU_DEP_1)
	v_or3_b32 v18, v19, v18, v6
.LBB300_2636:                           ;   in Loop: Header=BB300_1574 Depth=1
	s_or_b32 exec_lo, exec_lo, s17
.LBB300_2637:                           ;   in Loop: Header=BB300_1574 Depth=1
	s_delay_alu instid0(SALU_CYCLE_1)
	s_or_b32 exec_lo, exec_lo, s16
.LBB300_2638:                           ;   in Loop: Header=BB300_1574 Depth=1
	s_delay_alu instid0(SALU_CYCLE_1) | instskip(SKIP_2) | instid1(VALU_DEP_1)
	s_or_b32 exec_lo, exec_lo, s9
	v_lshrrev_b16 v6, 8, v50
	s_mov_b32 s9, exec_lo
	v_cmpx_ne_u16_e32 0, v6
	s_cbranch_execz .LBB300_2646
; %bb.2639:                             ;   in Loop: Header=BB300_1574 Depth=1
	v_bfrev_b32_e32 v1, 1
	s_mov_b32 s16, exec_lo
	v_cmpx_ne_u16_e32 0x80, v6
	s_cbranch_execz .LBB300_2645
; %bb.2640:                             ;   in Loop: Header=BB300_1574 Depth=1
	v_and_b32_e32 v19, 0xffff, v6
	v_mov_b32_e32 v1, 0x7c010000
	s_mov_b32 s17, exec_lo
	s_delay_alu instid0(VALU_DEP_2) | instskip(NEXT) | instid1(VALU_DEP_1)
	v_and_b32_e32 v23, 0x7f, v19
	v_cmpx_ne_u32_e32 0x7f, v23
	s_cbranch_execz .LBB300_2644
; %bb.2641:                             ;   in Loop: Header=BB300_1574 Depth=1
	v_and_b32_e32 v1, 7, v19
	v_lshrrev_b32_e32 v22, 3, v23
	s_mov_b32 s18, exec_lo
	v_cmpx_gt_u32_e32 8, v23
; %bb.2642:                             ;   in Loop: Header=BB300_1574 Depth=1
	s_delay_alu instid0(VALU_DEP_3) | instskip(NEXT) | instid1(VALU_DEP_1)
	v_clz_i32_u32_e32 v1, v1
	v_min_u32_e32 v1, 32, v1
	s_delay_alu instid0(VALU_DEP_1) | instskip(NEXT) | instid1(VALU_DEP_1)
	v_subrev_nc_u32_e32 v22, 28, v1
	v_lshlrev_b64_e32 v[52:53], v22, v[6:7]
	s_delay_alu instid0(VALU_DEP_1)
	v_dual_sub_nc_u32 v22, 29, v1 :: v_dual_bitop2_b32 v1, 7, v52 bitop3:0x40
; %bb.2643:                             ;   in Loop: Header=BB300_1574 Depth=1
	s_or_b32 exec_lo, exec_lo, s18
	s_delay_alu instid0(VALU_DEP_1) | instskip(NEXT) | instid1(VALU_DEP_2)
	v_dual_lshlrev_b32 v6, 8, v19 :: v_dual_lshlrev_b32 v1, 23, v1
	v_lshl_add_u32 v19, v22, 10, 0x2000
	s_delay_alu instid0(VALU_DEP_1) | instskip(NEXT) | instid1(VALU_DEP_1)
	v_and_or_b32 v6, 0x8000, v6, v19
	v_lshl_or_b32 v1, v6, 16, v1
.LBB300_2644:                           ;   in Loop: Header=BB300_1574 Depth=1
	s_or_b32 exec_lo, exec_lo, s17
.LBB300_2645:                           ;   in Loop: Header=BB300_1574 Depth=1
	s_delay_alu instid0(SALU_CYCLE_1)
	s_or_b32 exec_lo, exec_lo, s16
.LBB300_2646:                           ;   in Loop: Header=BB300_1574 Depth=1
	s_delay_alu instid0(SALU_CYCLE_1) | instskip(SKIP_3) | instid1(VALU_DEP_2)
	s_or_b32 exec_lo, exec_lo, s9
	v_dual_mov_b32 v19, 0 :: v_dual_lshrrev_b32 v6, 16, v50
	v_mov_b32_e32 v22, 0
	s_mov_b32 s9, exec_lo
	v_and_b32_e32 v23, 0xff, v6
	s_delay_alu instid0(VALU_DEP_1)
	v_cmpx_ne_u16_e32 0, v23
	s_cbranch_execz .LBB300_2654
; %bb.2647:                             ;   in Loop: Header=BB300_1574 Depth=1
	v_mov_b32_e32 v22, 0x8000
	s_mov_b32 s16, exec_lo
	v_cmpx_ne_u16_e32 0x80, v23
	s_cbranch_execz .LBB300_2653
; %bb.2648:                             ;   in Loop: Header=BB300_1574 Depth=1
	v_bfe_u32 v49, v50, 16, 7
	v_mov_b32_e32 v22, 0x7c01
	s_mov_b32 s17, exec_lo
	s_delay_alu instid0(VALU_DEP_2)
	v_cmpx_ne_u32_e32 0x7f, v49
	s_cbranch_execz .LBB300_2652
; %bb.2649:                             ;   in Loop: Header=BB300_1574 Depth=1
	v_dual_lshrrev_b32 v23, 3, v49 :: v_dual_bitop2_b32 v22, 7, v6 bitop3:0x40
	s_mov_b32 s18, exec_lo
	v_cmpx_gt_u32_e32 8, v49
; %bb.2650:                             ;   in Loop: Header=BB300_1574 Depth=1
	s_delay_alu instid0(VALU_DEP_2) | instskip(NEXT) | instid1(VALU_DEP_1)
	v_clz_i32_u32_e32 v22, v22
	v_min_u32_e32 v49, 32, v22
	s_delay_alu instid0(VALU_DEP_1) | instskip(NEXT) | instid1(VALU_DEP_1)
	v_subrev_nc_u32_e32 v22, 28, v49
	v_lshlrev_b64_e32 v[22:23], v22, v[6:7]
	s_delay_alu instid0(VALU_DEP_1)
	v_dual_sub_nc_u32 v23, 29, v49 :: v_dual_bitop2_b32 v22, 7, v22 bitop3:0x40
; %bb.2651:                             ;   in Loop: Header=BB300_1574 Depth=1
	s_or_b32 exec_lo, exec_lo, s18
	v_lshlrev_b32_e32 v6, 8, v6
	s_delay_alu instid0(VALU_DEP_2) | instskip(NEXT) | instid1(VALU_DEP_3)
	v_lshl_add_u32 v23, v23, 10, 0x2000
	v_lshlrev_b32_e32 v22, 7, v22
	s_delay_alu instid0(VALU_DEP_3) | instskip(NEXT) | instid1(VALU_DEP_3)
	v_and_b32_e32 v6, 0x8000, v6
	v_and_b32_e32 v23, 0xfc00, v23
	s_delay_alu instid0(VALU_DEP_1)
	v_or3_b32 v22, v6, v23, v22
.LBB300_2652:                           ;   in Loop: Header=BB300_1574 Depth=1
	s_or_b32 exec_lo, exec_lo, s17
.LBB300_2653:                           ;   in Loop: Header=BB300_1574 Depth=1
	s_delay_alu instid0(SALU_CYCLE_1)
	s_or_b32 exec_lo, exec_lo, s16
.LBB300_2654:                           ;   in Loop: Header=BB300_1574 Depth=1
	s_delay_alu instid0(SALU_CYCLE_1) | instskip(NEXT) | instid1(SALU_CYCLE_1)
	s_or_b32 exec_lo, exec_lo, s9
	s_mov_b32 s9, exec_lo
	v_cmpx_lt_u32_e32 0xffffff, v50
	s_cbranch_execz .LBB300_2662
; %bb.2655:                             ;   in Loop: Header=BB300_1574 Depth=1
	v_lshrrev_b32_e32 v6, 24, v50
	v_bfrev_b32_e32 v19, 1
	s_mov_b32 s16, exec_lo
	s_delay_alu instid0(VALU_DEP_2)
	v_cmpx_ne_u32_e32 0x80, v6
	s_cbranch_execz .LBB300_2661
; %bb.2656:                             ;   in Loop: Header=BB300_1574 Depth=1
	v_and_b32_e32 v49, 0x7f, v6
	v_mov_b32_e32 v19, 0x7c010000
	s_mov_b32 s17, exec_lo
	s_delay_alu instid0(VALU_DEP_2)
	v_cmpx_ne_u32_e32 0x7f, v49
	s_cbranch_execz .LBB300_2660
; %bb.2657:                             ;   in Loop: Header=BB300_1574 Depth=1
	v_dual_lshrrev_b32 v23, 3, v49 :: v_dual_bitop2_b32 v19, 7, v6 bitop3:0x40
	s_mov_b32 s18, exec_lo
	v_cmpx_gt_u32_e32 8, v49
; %bb.2658:                             ;   in Loop: Header=BB300_1574 Depth=1
	s_delay_alu instid0(VALU_DEP_2) | instskip(NEXT) | instid1(VALU_DEP_1)
	v_clz_i32_u32_e32 v19, v19
	v_min_u32_e32 v19, 32, v19
	s_delay_alu instid0(VALU_DEP_1) | instskip(NEXT) | instid1(VALU_DEP_1)
	v_subrev_nc_u32_e32 v23, 28, v19
	v_lshlrev_b64_e32 v[52:53], v23, v[6:7]
	s_delay_alu instid0(VALU_DEP_1)
	v_dual_sub_nc_u32 v23, 29, v19 :: v_dual_bitop2_b32 v19, 7, v52 bitop3:0x40
; %bb.2659:                             ;   in Loop: Header=BB300_1574 Depth=1
	s_or_b32 exec_lo, exec_lo, s18
	s_delay_alu instid0(VALU_DEP_1) | instskip(NEXT) | instid1(VALU_DEP_2)
	v_dual_lshlrev_b32 v6, 8, v6 :: v_dual_lshlrev_b32 v19, 23, v19
	v_lshl_add_u32 v23, v23, 10, 0x2000
	s_delay_alu instid0(VALU_DEP_1) | instskip(NEXT) | instid1(VALU_DEP_1)
	v_and_or_b32 v6, 0x8000, v6, v23
	v_lshl_or_b32 v19, v6, 16, v19
.LBB300_2660:                           ;   in Loop: Header=BB300_1574 Depth=1
	s_or_b32 exec_lo, exec_lo, s17
.LBB300_2661:                           ;   in Loop: Header=BB300_1574 Depth=1
	s_delay_alu instid0(SALU_CYCLE_1)
	s_or_b32 exec_lo, exec_lo, s16
.LBB300_2662:                           ;   in Loop: Header=BB300_1574 Depth=1
	s_delay_alu instid0(SALU_CYCLE_1) | instskip(SKIP_4) | instid1(VALU_DEP_3)
	s_or_b32 exec_lo, exec_lo, s9
	v_and_b32_e32 v52, 0xff, v51
	v_dual_mov_b32 v6, v51 :: v_dual_mov_b32 v49, 0
	v_mov_b32_e32 v23, 0
	s_mov_b32 s9, exec_lo
	v_cmpx_ne_u16_e32 0, v52
	s_cbranch_execz .LBB300_2670
; %bb.2663:                             ;   in Loop: Header=BB300_1574 Depth=1
	v_mov_b32_e32 v23, 0x8000
	s_mov_b32 s16, exec_lo
	v_cmpx_ne_u16_e32 0x80, v52
	s_cbranch_execz .LBB300_2669
; %bb.2664:                             ;   in Loop: Header=BB300_1574 Depth=1
	v_and_b32_e32 v53, 0x7f, v51
	v_mov_b32_e32 v23, 0x7c01
	s_mov_b32 s17, exec_lo
	s_delay_alu instid0(VALU_DEP_2)
	v_cmpx_ne_u32_e32 0x7f, v53
	s_cbranch_execz .LBB300_2668
; %bb.2665:                             ;   in Loop: Header=BB300_1574 Depth=1
	v_dual_lshrrev_b32 v52, 3, v53 :: v_dual_bitop2_b32 v23, 7, v51 bitop3:0x40
	s_mov_b32 s18, exec_lo
	v_cmpx_gt_u32_e32 8, v53
; %bb.2666:                             ;   in Loop: Header=BB300_1574 Depth=1
	s_delay_alu instid0(VALU_DEP_2) | instskip(NEXT) | instid1(VALU_DEP_1)
	v_clz_i32_u32_e32 v23, v23
	v_min_u32_e32 v23, 32, v23
	s_delay_alu instid0(VALU_DEP_1) | instskip(NEXT) | instid1(VALU_DEP_1)
	v_subrev_nc_u32_e32 v52, 28, v23
	v_lshlrev_b64_e32 v[54:55], v52, v[6:7]
	s_delay_alu instid0(VALU_DEP_1)
	v_dual_sub_nc_u32 v52, 29, v23 :: v_dual_bitop2_b32 v23, 7, v54 bitop3:0x40
; %bb.2667:                             ;   in Loop: Header=BB300_1574 Depth=1
	s_or_b32 exec_lo, exec_lo, s18
	v_lshlrev_b32_e32 v53, 8, v51
	s_delay_alu instid0(VALU_DEP_2) | instskip(NEXT) | instid1(VALU_DEP_3)
	v_lshl_add_u32 v52, v52, 10, 0x2000
	v_lshlrev_b32_e32 v23, 7, v23
	s_delay_alu instid0(VALU_DEP_3) | instskip(NEXT) | instid1(VALU_DEP_3)
	v_and_b32_e32 v53, 0x8000, v53
	v_and_b32_e32 v52, 0xfc00, v52
	s_delay_alu instid0(VALU_DEP_1)
	v_or3_b32 v23, v53, v52, v23
.LBB300_2668:                           ;   in Loop: Header=BB300_1574 Depth=1
	s_or_b32 exec_lo, exec_lo, s17
.LBB300_2669:                           ;   in Loop: Header=BB300_1574 Depth=1
	s_delay_alu instid0(SALU_CYCLE_1)
	s_or_b32 exec_lo, exec_lo, s16
.LBB300_2670:                           ;   in Loop: Header=BB300_1574 Depth=1
	s_delay_alu instid0(SALU_CYCLE_1) | instskip(SKIP_3) | instid1(VALU_DEP_2)
	s_or_b32 exec_lo, exec_lo, s9
	v_lshrrev_b16 v6, 8, v6
	v_mov_b32_e32 v52, 0
	s_mov_b32 s9, exec_lo
	v_cmpx_ne_u16_e32 0, v6
	s_cbranch_execz .LBB300_2678
; %bb.2671:                             ;   in Loop: Header=BB300_1574 Depth=1
	v_bfrev_b32_e32 v52, 1
	s_mov_b32 s16, exec_lo
	v_cmpx_ne_u16_e32 0x80, v6
	s_cbranch_execz .LBB300_2677
; %bb.2672:                             ;   in Loop: Header=BB300_1574 Depth=1
	v_and_b32_e32 v53, 0xffff, v6
	v_mov_b32_e32 v52, 0x7c010000
	s_mov_b32 s17, exec_lo
	s_delay_alu instid0(VALU_DEP_2) | instskip(NEXT) | instid1(VALU_DEP_1)
	v_and_b32_e32 v55, 0x7f, v53
	v_cmpx_ne_u32_e32 0x7f, v55
	s_cbranch_execz .LBB300_2676
; %bb.2673:                             ;   in Loop: Header=BB300_1574 Depth=1
	v_dual_lshrrev_b32 v54, 3, v55 :: v_dual_bitop2_b32 v52, 7, v53 bitop3:0x40
	s_mov_b32 s18, exec_lo
	v_cmpx_gt_u32_e32 8, v55
; %bb.2674:                             ;   in Loop: Header=BB300_1574 Depth=1
	s_delay_alu instid0(VALU_DEP_2) | instskip(NEXT) | instid1(VALU_DEP_1)
	v_clz_i32_u32_e32 v52, v52
	v_min_u32_e32 v52, 32, v52
	s_delay_alu instid0(VALU_DEP_1) | instskip(NEXT) | instid1(VALU_DEP_1)
	v_subrev_nc_u32_e32 v54, 28, v52
	v_lshlrev_b64_e32 v[64:65], v54, v[6:7]
	v_sub_nc_u32_e32 v54, 29, v52
	s_delay_alu instid0(VALU_DEP_2)
	v_and_b32_e32 v52, 7, v64
; %bb.2675:                             ;   in Loop: Header=BB300_1574 Depth=1
	s_or_b32 exec_lo, exec_lo, s18
	s_delay_alu instid0(VALU_DEP_1) | instskip(NEXT) | instid1(VALU_DEP_3)
	v_dual_lshlrev_b32 v6, 8, v53 :: v_dual_lshlrev_b32 v52, 23, v52
	v_lshl_add_u32 v53, v54, 10, 0x2000
	s_delay_alu instid0(VALU_DEP_1) | instskip(NEXT) | instid1(VALU_DEP_1)
	v_and_or_b32 v6, 0x8000, v6, v53
	v_lshl_or_b32 v52, v6, 16, v52
.LBB300_2676:                           ;   in Loop: Header=BB300_1574 Depth=1
	s_or_b32 exec_lo, exec_lo, s17
.LBB300_2677:                           ;   in Loop: Header=BB300_1574 Depth=1
	s_delay_alu instid0(SALU_CYCLE_1)
	s_or_b32 exec_lo, exec_lo, s16
.LBB300_2678:                           ;   in Loop: Header=BB300_1574 Depth=1
	s_delay_alu instid0(SALU_CYCLE_1) | instskip(SKIP_2) | instid1(VALU_DEP_1)
	s_or_b32 exec_lo, exec_lo, s9
	v_lshrrev_b32_e32 v6, 16, v51
	s_mov_b32 s9, exec_lo
	v_and_b32_e32 v53, 0xff, v6
	s_delay_alu instid0(VALU_DEP_1)
	v_cmpx_ne_u16_e32 0, v53
	s_cbranch_execz .LBB300_2686
; %bb.2679:                             ;   in Loop: Header=BB300_1574 Depth=1
	v_mov_b32_e32 v49, 0x8000
	s_mov_b32 s16, exec_lo
	v_cmpx_ne_u16_e32 0x80, v53
	s_cbranch_execz .LBB300_2685
; %bb.2680:                             ;   in Loop: Header=BB300_1574 Depth=1
	v_bfe_u32 v54, v51, 16, 7
	v_mov_b32_e32 v49, 0x7c01
	s_mov_b32 s17, exec_lo
	s_delay_alu instid0(VALU_DEP_2)
	v_cmpx_ne_u32_e32 0x7f, v54
	s_cbranch_execz .LBB300_2684
; %bb.2681:                             ;   in Loop: Header=BB300_1574 Depth=1
	v_and_b32_e32 v49, 7, v6
	v_lshrrev_b32_e32 v53, 3, v54
	s_mov_b32 s18, exec_lo
	v_cmpx_gt_u32_e32 8, v54
; %bb.2682:                             ;   in Loop: Header=BB300_1574 Depth=1
	s_delay_alu instid0(VALU_DEP_3) | instskip(NEXT) | instid1(VALU_DEP_1)
	v_clz_i32_u32_e32 v49, v49
	v_min_u32_e32 v49, 32, v49
	s_delay_alu instid0(VALU_DEP_1) | instskip(NEXT) | instid1(VALU_DEP_1)
	v_subrev_nc_u32_e32 v53, 28, v49
	v_lshlrev_b64_e32 v[54:55], v53, v[6:7]
	s_delay_alu instid0(VALU_DEP_1)
	v_dual_sub_nc_u32 v53, 29, v49 :: v_dual_bitop2_b32 v49, 7, v54 bitop3:0x40
; %bb.2683:                             ;   in Loop: Header=BB300_1574 Depth=1
	s_or_b32 exec_lo, exec_lo, s18
	s_delay_alu instid0(VALU_DEP_1) | instskip(NEXT) | instid1(VALU_DEP_2)
	v_dual_lshlrev_b32 v6, 8, v6 :: v_dual_lshlrev_b32 v49, 7, v49
	v_lshl_add_u32 v53, v53, 10, 0x2000
	s_delay_alu instid0(VALU_DEP_2) | instskip(NEXT) | instid1(VALU_DEP_2)
	v_and_b32_e32 v6, 0x8000, v6
	v_and_b32_e32 v53, 0xfc00, v53
	s_delay_alu instid0(VALU_DEP_1)
	v_or3_b32 v49, v6, v53, v49
.LBB300_2684:                           ;   in Loop: Header=BB300_1574 Depth=1
	s_or_b32 exec_lo, exec_lo, s17
.LBB300_2685:                           ;   in Loop: Header=BB300_1574 Depth=1
	s_delay_alu instid0(SALU_CYCLE_1)
	s_or_b32 exec_lo, exec_lo, s16
.LBB300_2686:                           ;   in Loop: Header=BB300_1574 Depth=1
	s_delay_alu instid0(SALU_CYCLE_1)
	s_or_b32 exec_lo, exec_lo, s9
	v_cmp_lt_u64_e64 s0, s[2:3], v[50:51]
	v_mov_b32_e32 v50, 0
	s_and_saveexec_b32 s9, s0
	s_cbranch_execz .LBB300_2694
; %bb.2687:                             ;   in Loop: Header=BB300_1574 Depth=1
	v_lshrrev_b32_e32 v6, 24, v51
	v_bfrev_b32_e32 v50, 1
	s_mov_b32 s16, exec_lo
	s_delay_alu instid0(VALU_DEP_2)
	v_cmpx_ne_u32_e32 0x80, v6
	s_cbranch_execz .LBB300_2693
; %bb.2688:                             ;   in Loop: Header=BB300_1574 Depth=1
	v_and_b32_e32 v53, 0x7f, v6
	v_mov_b32_e32 v50, 0x7c010000
	s_mov_b32 s17, exec_lo
	s_delay_alu instid0(VALU_DEP_2)
	v_cmpx_ne_u32_e32 0x7f, v53
	s_cbranch_execz .LBB300_2692
; %bb.2689:                             ;   in Loop: Header=BB300_1574 Depth=1
	v_dual_lshrrev_b32 v51, 3, v53 :: v_dual_bitop2_b32 v50, 7, v6 bitop3:0x40
	s_mov_b32 s18, exec_lo
	v_cmpx_gt_u32_e32 8, v53
; %bb.2690:                             ;   in Loop: Header=BB300_1574 Depth=1
	s_delay_alu instid0(VALU_DEP_2) | instskip(NEXT) | instid1(VALU_DEP_1)
	v_clz_i32_u32_e32 v50, v50
	v_min_u32_e32 v53, 32, v50
	s_delay_alu instid0(VALU_DEP_1) | instskip(NEXT) | instid1(VALU_DEP_1)
	v_subrev_nc_u32_e32 v50, 28, v53
	v_lshlrev_b64_e32 v[50:51], v50, v[6:7]
	s_delay_alu instid0(VALU_DEP_1)
	v_dual_sub_nc_u32 v51, 29, v53 :: v_dual_bitop2_b32 v50, 7, v50 bitop3:0x40
; %bb.2691:                             ;   in Loop: Header=BB300_1574 Depth=1
	s_or_b32 exec_lo, exec_lo, s18
	v_lshlrev_b32_e32 v6, 8, v6
	s_delay_alu instid0(VALU_DEP_2) | instskip(NEXT) | instid1(VALU_DEP_3)
	v_lshl_add_u32 v51, v51, 10, 0x2000
	v_lshlrev_b32_e32 v50, 23, v50
	s_delay_alu instid0(VALU_DEP_2) | instskip(NEXT) | instid1(VALU_DEP_1)
	v_and_or_b32 v6, 0x8000, v6, v51
	v_lshl_or_b32 v50, v6, 16, v50
.LBB300_2692:                           ;   in Loop: Header=BB300_1574 Depth=1
	s_or_b32 exec_lo, exec_lo, s17
.LBB300_2693:                           ;   in Loop: Header=BB300_1574 Depth=1
	s_delay_alu instid0(SALU_CYCLE_1)
	s_or_b32 exec_lo, exec_lo, s16
.LBB300_2694:                           ;   in Loop: Header=BB300_1574 Depth=1
	s_delay_alu instid0(SALU_CYCLE_1) | instskip(SKIP_4) | instid1(VALU_DEP_4)
	s_or_b32 exec_lo, exec_lo, s9
	v_dual_lshrrev_b32 v6, 16, v1 :: v_dual_lshrrev_b32 v51, 16, v19
	v_or_b32_e32 v1, v1, v18
	v_or_b32_e32 v22, v19, v22
	;; [unrolled: 1-line block ×3, first 2 shown]
	v_cvt_f32_f16_e32 v19, v6
	v_cvt_f32_f16_e32 v18, v51
	v_dual_lshrrev_b32 v50, 16, v50 :: v_dual_bitop2_b32 v6, v50, v49 bitop3:0x54
	v_lshrrev_b32_e32 v49, 16, v52
	v_cvt_f32_f16_e32 v23, v1
	s_delay_alu instid0(VALU_DEP_3) | instskip(NEXT) | instid1(VALU_DEP_4)
	v_cvt_f32_f16_e32 v52, v6
	v_cvt_f32_f16_e32 v50, v50
	s_wait_loadcnt_dscnt 0x0
	v_pk_mul_f32 v[18:19], v[48:49], v[18:19] op_sel_hi:[0,1]
	v_cvt_f32_f16_e32 v51, v49
	s_delay_alu instid0(VALU_DEP_2) | instskip(NEXT) | instid1(VALU_DEP_2)
	v_cvt_pk_f16_f32 v1, v18, v19
	v_pk_mul_f32 v[18:19], v[48:49], v[50:51] op_sel_hi:[0,1]
	s_delay_alu instid0(VALU_DEP_2) | instskip(SKIP_2) | instid1(VALU_DEP_4)
	v_lshlrev_b32_e32 v50, 16, v1
	v_cvt_f32_f16_e32 v22, v22
	v_and_b32_e32 v51, 0xffff0000, v1
	v_cvt_pk_f16_f32 v18, v18, v19
	s_delay_alu instid0(VALU_DEP_3) | instskip(NEXT) | instid1(VALU_DEP_2)
	v_pk_mul_f32 v[22:23], v[48:49], v[22:23] op_sel_hi:[0,1]
	v_and_b32_e32 v19, 0xffff0000, v18
	s_delay_alu instid0(VALU_DEP_2) | instskip(NEXT) | instid1(VALU_DEP_1)
	v_cvt_pk_f16_f32 v6, v22, v23
	v_lshrrev_b32_e32 v65, 16, v6
	v_cvt_f32_f16_e32 v53, v53
	v_and_b32_e32 v64, 0xffff, v6
	s_delay_alu instid0(VALU_DEP_3) | instskip(NEXT) | instid1(VALU_DEP_3)
	v_or_b32_e32 v55, v51, v65
	v_pk_mul_f32 v[48:49], v[48:49], v[52:53] op_sel_hi:[0,1]
	s_delay_alu instid0(VALU_DEP_3) | instskip(NEXT) | instid1(VALU_DEP_2)
	v_or_b32_e32 v54, v50, v64
	v_cvt_pk_f16_f32 v1, v48, v49
	s_delay_alu instid0(VALU_DEP_1) | instskip(SKIP_1) | instid1(VALU_DEP_2)
	v_dual_lshlrev_b32 v6, 16, v18 :: v_dual_lshrrev_b32 v49, 16, v1
	v_and_b32_e32 v48, 0xffff, v1
	v_or_b32_e32 v53, v19, v49
	s_delay_alu instid0(VALU_DEP_2)
	v_or_b32_e32 v52, v6, v48
	s_and_saveexec_b32 s9, vcc_lo
	s_cbranch_execz .LBB300_2696
; %bb.2695:                             ;   in Loop: Header=BB300_1574 Depth=1
	v_cmp_lt_i32_e64 s0, v70, v13
	s_delay_alu instid0(VALU_DEP_1) | instskip(SKIP_1) | instid1(VALU_DEP_1)
	v_cndmask_b32_e64 v1, 0, v65, s0
	v_cmp_lt_i32_e64 s0, v86, v12
	v_cndmask_b32_e64 v18, 0, v64, s0
	v_cmp_lt_i32_e64 s0, v85, v13
	s_delay_alu instid0(VALU_DEP_1) | instskip(SKIP_1) | instid1(VALU_DEP_1)
	v_cndmask_b32_e64 v22, 0, v51, s0
	v_cmp_lt_i32_e64 s0, v84, v12
	v_cndmask_b32_e64 v23, 0, v50, s0
	v_cmp_lt_i32_e64 s0, v83, v13
	s_delay_alu instid0(VALU_DEP_4) | instskip(NEXT) | instid1(VALU_DEP_2)
	v_or_b32_e32 v55, v1, v22
	v_dual_cndmask_b32 v49, 0, v49, s0 :: v_dual_bitop2_b32 v54, v18, v23 bitop3:0x54
	v_cmp_lt_i32_e64 s0, v82, v12
	s_delay_alu instid0(VALU_DEP_1) | instskip(SKIP_1) | instid1(VALU_DEP_1)
	v_cndmask_b32_e64 v48, 0, v48, s0
	v_cmp_lt_i32_e64 s0, v81, v13
	v_cndmask_b32_e64 v19, 0, v19, s0
	v_cmp_lt_i32_e64 s0, v0, v12
	s_delay_alu instid0(VALU_DEP_1) | instskip(NEXT) | instid1(VALU_DEP_1)
	v_dual_cndmask_b32 v6, 0, v6, s0 :: v_dual_bitop2_b32 v53, v49, v19 bitop3:0x54
	v_or_b32_e32 v52, v48, v6
.LBB300_2696:                           ;   in Loop: Header=BB300_1574 Depth=1
	s_or_b32 exec_lo, exec_lo, s9
	;;#ASMSTART
	v_pk_mul_f16 v1, v98, v55;

	;;#ASMEND
	;;#ASMSTART
	v_pk_mul_f16 v6, v97, v54;

	;;#ASMEND
	;; [unrolled: 4-line block ×4, first 2 shown]
	;;#ASMSTART
	v_pk_add_f16 v1, v1, v6;

	;;#ASMEND
	;;#ASMSTART
	v_pk_add_f16 v1, v1, v18;

	;;#ASMEND
	;; [unrolled: 4-line block ×3, first 2 shown]
	v_and_b32_e32 v6, 0xffff, v1
	v_lshrrev_b32_e32 v1, 16, v1
	;;#ASMSTART
	v_cvt_f32_f16 v75, v6;
	;;#ASMEND
	;;#ASMSTART
	v_cvt_f32_f16 v76, v1;
	;;#ASMEND
	flat_load_b64 v[50:51], v[36:37] offset:4352
	scratch_load_b64 v[18:19], off, s32 offset:192 ; 8-byte Folded Reload
	v_mov_b32_e32 v1, 0
	s_mov_b32 s9, exec_lo
	s_wait_loadcnt_dscnt 0x100
	v_and_b32_e32 v6, 0xff, v50
	s_wait_loadcnt 0x0
	flat_load_b32 v48, v[18:19]
	s_wait_xcnt 0x0
	v_mov_b32_e32 v18, 0
	v_cmpx_ne_u16_e32 0, v6
	s_cbranch_execz .LBB300_2704
; %bb.2697:                             ;   in Loop: Header=BB300_1574 Depth=1
	v_mov_b32_e32 v18, 0x8000
	s_mov_b32 s16, exec_lo
	v_cmpx_ne_u16_e32 0x80, v6
	s_cbranch_execz .LBB300_2703
; %bb.2698:                             ;   in Loop: Header=BB300_1574 Depth=1
	v_and_b32_e32 v19, 0x7f, v50
	v_mov_b32_e32 v18, 0x7c01
	s_mov_b32 s17, exec_lo
	s_delay_alu instid0(VALU_DEP_2)
	v_cmpx_ne_u32_e32 0x7f, v19
	s_cbranch_execz .LBB300_2702
; %bb.2699:                             ;   in Loop: Header=BB300_1574 Depth=1
	v_dual_lshrrev_b32 v18, 3, v19 :: v_dual_bitop2_b32 v6, 7, v50 bitop3:0x40
	s_mov_b32 s18, exec_lo
	v_cmpx_gt_u32_e32 8, v19
; %bb.2700:                             ;   in Loop: Header=BB300_1574 Depth=1
	s_delay_alu instid0(VALU_DEP_2) | instskip(NEXT) | instid1(VALU_DEP_1)
	v_clz_i32_u32_e32 v6, v6
	v_min_u32_e32 v6, 32, v6
	s_delay_alu instid0(VALU_DEP_1) | instskip(NEXT) | instid1(VALU_DEP_1)
	v_subrev_nc_u32_e32 v18, 28, v6
	v_lshlrev_b64_e32 v[22:23], v18, v[50:51]
	v_sub_nc_u32_e32 v18, 29, v6
	s_delay_alu instid0(VALU_DEP_2)
	v_and_b32_e32 v6, 7, v22
; %bb.2701:                             ;   in Loop: Header=BB300_1574 Depth=1
	s_or_b32 exec_lo, exec_lo, s18
	v_lshlrev_b32_e32 v19, 8, v50
	s_delay_alu instid0(VALU_DEP_3) | instskip(NEXT) | instid1(VALU_DEP_3)
	v_lshl_add_u32 v18, v18, 10, 0x2000
	v_lshlrev_b32_e32 v6, 7, v6
	s_delay_alu instid0(VALU_DEP_3) | instskip(NEXT) | instid1(VALU_DEP_3)
	v_and_b32_e32 v19, 0x8000, v19
	v_and_b32_e32 v18, 0xfc00, v18
	s_delay_alu instid0(VALU_DEP_1)
	v_or3_b32 v18, v19, v18, v6
.LBB300_2702:                           ;   in Loop: Header=BB300_1574 Depth=1
	s_or_b32 exec_lo, exec_lo, s17
.LBB300_2703:                           ;   in Loop: Header=BB300_1574 Depth=1
	s_delay_alu instid0(SALU_CYCLE_1)
	s_or_b32 exec_lo, exec_lo, s16
.LBB300_2704:                           ;   in Loop: Header=BB300_1574 Depth=1
	s_delay_alu instid0(SALU_CYCLE_1) | instskip(SKIP_2) | instid1(VALU_DEP_1)
	s_or_b32 exec_lo, exec_lo, s9
	v_lshrrev_b16 v6, 8, v50
	s_mov_b32 s9, exec_lo
	v_cmpx_ne_u16_e32 0, v6
	s_cbranch_execz .LBB300_2712
; %bb.2705:                             ;   in Loop: Header=BB300_1574 Depth=1
	v_bfrev_b32_e32 v1, 1
	s_mov_b32 s16, exec_lo
	v_cmpx_ne_u16_e32 0x80, v6
	s_cbranch_execz .LBB300_2711
; %bb.2706:                             ;   in Loop: Header=BB300_1574 Depth=1
	v_and_b32_e32 v19, 0xffff, v6
	v_mov_b32_e32 v1, 0x7c010000
	s_mov_b32 s17, exec_lo
	s_delay_alu instid0(VALU_DEP_2) | instskip(NEXT) | instid1(VALU_DEP_1)
	v_and_b32_e32 v23, 0x7f, v19
	v_cmpx_ne_u32_e32 0x7f, v23
	s_cbranch_execz .LBB300_2710
; %bb.2707:                             ;   in Loop: Header=BB300_1574 Depth=1
	v_and_b32_e32 v1, 7, v19
	v_lshrrev_b32_e32 v22, 3, v23
	s_mov_b32 s18, exec_lo
	v_cmpx_gt_u32_e32 8, v23
; %bb.2708:                             ;   in Loop: Header=BB300_1574 Depth=1
	s_delay_alu instid0(VALU_DEP_3) | instskip(NEXT) | instid1(VALU_DEP_1)
	v_clz_i32_u32_e32 v1, v1
	v_min_u32_e32 v1, 32, v1
	s_delay_alu instid0(VALU_DEP_1) | instskip(NEXT) | instid1(VALU_DEP_1)
	v_subrev_nc_u32_e32 v22, 28, v1
	v_lshlrev_b64_e32 v[52:53], v22, v[6:7]
	s_delay_alu instid0(VALU_DEP_1)
	v_dual_sub_nc_u32 v22, 29, v1 :: v_dual_bitop2_b32 v1, 7, v52 bitop3:0x40
; %bb.2709:                             ;   in Loop: Header=BB300_1574 Depth=1
	s_or_b32 exec_lo, exec_lo, s18
	s_delay_alu instid0(VALU_DEP_1) | instskip(NEXT) | instid1(VALU_DEP_2)
	v_dual_lshlrev_b32 v6, 8, v19 :: v_dual_lshlrev_b32 v1, 23, v1
	v_lshl_add_u32 v19, v22, 10, 0x2000
	s_delay_alu instid0(VALU_DEP_1) | instskip(NEXT) | instid1(VALU_DEP_1)
	v_and_or_b32 v6, 0x8000, v6, v19
	v_lshl_or_b32 v1, v6, 16, v1
.LBB300_2710:                           ;   in Loop: Header=BB300_1574 Depth=1
	s_or_b32 exec_lo, exec_lo, s17
.LBB300_2711:                           ;   in Loop: Header=BB300_1574 Depth=1
	s_delay_alu instid0(SALU_CYCLE_1)
	s_or_b32 exec_lo, exec_lo, s16
.LBB300_2712:                           ;   in Loop: Header=BB300_1574 Depth=1
	s_delay_alu instid0(SALU_CYCLE_1) | instskip(SKIP_3) | instid1(VALU_DEP_2)
	s_or_b32 exec_lo, exec_lo, s9
	v_dual_mov_b32 v19, 0 :: v_dual_lshrrev_b32 v6, 16, v50
	v_mov_b32_e32 v22, 0
	s_mov_b32 s9, exec_lo
	v_and_b32_e32 v23, 0xff, v6
	s_delay_alu instid0(VALU_DEP_1)
	v_cmpx_ne_u16_e32 0, v23
	s_cbranch_execz .LBB300_2720
; %bb.2713:                             ;   in Loop: Header=BB300_1574 Depth=1
	v_mov_b32_e32 v22, 0x8000
	s_mov_b32 s16, exec_lo
	v_cmpx_ne_u16_e32 0x80, v23
	s_cbranch_execz .LBB300_2719
; %bb.2714:                             ;   in Loop: Header=BB300_1574 Depth=1
	v_bfe_u32 v49, v50, 16, 7
	v_mov_b32_e32 v22, 0x7c01
	s_mov_b32 s17, exec_lo
	s_delay_alu instid0(VALU_DEP_2)
	v_cmpx_ne_u32_e32 0x7f, v49
	s_cbranch_execz .LBB300_2718
; %bb.2715:                             ;   in Loop: Header=BB300_1574 Depth=1
	v_dual_lshrrev_b32 v23, 3, v49 :: v_dual_bitop2_b32 v22, 7, v6 bitop3:0x40
	s_mov_b32 s18, exec_lo
	v_cmpx_gt_u32_e32 8, v49
; %bb.2716:                             ;   in Loop: Header=BB300_1574 Depth=1
	s_delay_alu instid0(VALU_DEP_2) | instskip(NEXT) | instid1(VALU_DEP_1)
	v_clz_i32_u32_e32 v22, v22
	v_min_u32_e32 v49, 32, v22
	s_delay_alu instid0(VALU_DEP_1) | instskip(NEXT) | instid1(VALU_DEP_1)
	v_subrev_nc_u32_e32 v22, 28, v49
	v_lshlrev_b64_e32 v[22:23], v22, v[6:7]
	s_delay_alu instid0(VALU_DEP_1)
	v_dual_sub_nc_u32 v23, 29, v49 :: v_dual_bitop2_b32 v22, 7, v22 bitop3:0x40
; %bb.2717:                             ;   in Loop: Header=BB300_1574 Depth=1
	s_or_b32 exec_lo, exec_lo, s18
	v_lshlrev_b32_e32 v6, 8, v6
	s_delay_alu instid0(VALU_DEP_2) | instskip(NEXT) | instid1(VALU_DEP_3)
	v_lshl_add_u32 v23, v23, 10, 0x2000
	v_lshlrev_b32_e32 v22, 7, v22
	s_delay_alu instid0(VALU_DEP_3) | instskip(NEXT) | instid1(VALU_DEP_3)
	v_and_b32_e32 v6, 0x8000, v6
	v_and_b32_e32 v23, 0xfc00, v23
	s_delay_alu instid0(VALU_DEP_1)
	v_or3_b32 v22, v6, v23, v22
.LBB300_2718:                           ;   in Loop: Header=BB300_1574 Depth=1
	s_or_b32 exec_lo, exec_lo, s17
.LBB300_2719:                           ;   in Loop: Header=BB300_1574 Depth=1
	s_delay_alu instid0(SALU_CYCLE_1)
	s_or_b32 exec_lo, exec_lo, s16
.LBB300_2720:                           ;   in Loop: Header=BB300_1574 Depth=1
	s_delay_alu instid0(SALU_CYCLE_1) | instskip(NEXT) | instid1(SALU_CYCLE_1)
	s_or_b32 exec_lo, exec_lo, s9
	s_mov_b32 s9, exec_lo
	v_cmpx_lt_u32_e32 0xffffff, v50
	s_cbranch_execz .LBB300_2728
; %bb.2721:                             ;   in Loop: Header=BB300_1574 Depth=1
	v_lshrrev_b32_e32 v6, 24, v50
	v_bfrev_b32_e32 v19, 1
	s_mov_b32 s16, exec_lo
	s_delay_alu instid0(VALU_DEP_2)
	v_cmpx_ne_u32_e32 0x80, v6
	s_cbranch_execz .LBB300_2727
; %bb.2722:                             ;   in Loop: Header=BB300_1574 Depth=1
	v_and_b32_e32 v49, 0x7f, v6
	v_mov_b32_e32 v19, 0x7c010000
	s_mov_b32 s17, exec_lo
	s_delay_alu instid0(VALU_DEP_2)
	v_cmpx_ne_u32_e32 0x7f, v49
	s_cbranch_execz .LBB300_2726
; %bb.2723:                             ;   in Loop: Header=BB300_1574 Depth=1
	v_dual_lshrrev_b32 v23, 3, v49 :: v_dual_bitop2_b32 v19, 7, v6 bitop3:0x40
	s_mov_b32 s18, exec_lo
	v_cmpx_gt_u32_e32 8, v49
; %bb.2724:                             ;   in Loop: Header=BB300_1574 Depth=1
	s_delay_alu instid0(VALU_DEP_2) | instskip(NEXT) | instid1(VALU_DEP_1)
	v_clz_i32_u32_e32 v19, v19
	v_min_u32_e32 v19, 32, v19
	s_delay_alu instid0(VALU_DEP_1) | instskip(NEXT) | instid1(VALU_DEP_1)
	v_subrev_nc_u32_e32 v23, 28, v19
	v_lshlrev_b64_e32 v[52:53], v23, v[6:7]
	s_delay_alu instid0(VALU_DEP_1)
	v_dual_sub_nc_u32 v23, 29, v19 :: v_dual_bitop2_b32 v19, 7, v52 bitop3:0x40
; %bb.2725:                             ;   in Loop: Header=BB300_1574 Depth=1
	s_or_b32 exec_lo, exec_lo, s18
	s_delay_alu instid0(VALU_DEP_1) | instskip(NEXT) | instid1(VALU_DEP_2)
	v_dual_lshlrev_b32 v6, 8, v6 :: v_dual_lshlrev_b32 v19, 23, v19
	v_lshl_add_u32 v23, v23, 10, 0x2000
	s_delay_alu instid0(VALU_DEP_1) | instskip(NEXT) | instid1(VALU_DEP_1)
	v_and_or_b32 v6, 0x8000, v6, v23
	v_lshl_or_b32 v19, v6, 16, v19
.LBB300_2726:                           ;   in Loop: Header=BB300_1574 Depth=1
	s_or_b32 exec_lo, exec_lo, s17
.LBB300_2727:                           ;   in Loop: Header=BB300_1574 Depth=1
	s_delay_alu instid0(SALU_CYCLE_1)
	s_or_b32 exec_lo, exec_lo, s16
.LBB300_2728:                           ;   in Loop: Header=BB300_1574 Depth=1
	s_delay_alu instid0(SALU_CYCLE_1) | instskip(SKIP_4) | instid1(VALU_DEP_3)
	s_or_b32 exec_lo, exec_lo, s9
	v_and_b32_e32 v52, 0xff, v51
	v_dual_mov_b32 v6, v51 :: v_dual_mov_b32 v49, 0
	v_mov_b32_e32 v23, 0
	s_mov_b32 s9, exec_lo
	v_cmpx_ne_u16_e32 0, v52
	s_cbranch_execz .LBB300_2736
; %bb.2729:                             ;   in Loop: Header=BB300_1574 Depth=1
	v_mov_b32_e32 v23, 0x8000
	s_mov_b32 s16, exec_lo
	v_cmpx_ne_u16_e32 0x80, v52
	s_cbranch_execz .LBB300_2735
; %bb.2730:                             ;   in Loop: Header=BB300_1574 Depth=1
	v_and_b32_e32 v53, 0x7f, v51
	v_mov_b32_e32 v23, 0x7c01
	s_mov_b32 s17, exec_lo
	s_delay_alu instid0(VALU_DEP_2)
	v_cmpx_ne_u32_e32 0x7f, v53
	s_cbranch_execz .LBB300_2734
; %bb.2731:                             ;   in Loop: Header=BB300_1574 Depth=1
	v_dual_lshrrev_b32 v52, 3, v53 :: v_dual_bitop2_b32 v23, 7, v51 bitop3:0x40
	s_mov_b32 s18, exec_lo
	v_cmpx_gt_u32_e32 8, v53
; %bb.2732:                             ;   in Loop: Header=BB300_1574 Depth=1
	s_delay_alu instid0(VALU_DEP_2) | instskip(NEXT) | instid1(VALU_DEP_1)
	v_clz_i32_u32_e32 v23, v23
	v_min_u32_e32 v23, 32, v23
	s_delay_alu instid0(VALU_DEP_1) | instskip(NEXT) | instid1(VALU_DEP_1)
	v_subrev_nc_u32_e32 v52, 28, v23
	v_lshlrev_b64_e32 v[54:55], v52, v[6:7]
	s_delay_alu instid0(VALU_DEP_1)
	v_dual_sub_nc_u32 v52, 29, v23 :: v_dual_bitop2_b32 v23, 7, v54 bitop3:0x40
; %bb.2733:                             ;   in Loop: Header=BB300_1574 Depth=1
	s_or_b32 exec_lo, exec_lo, s18
	v_lshlrev_b32_e32 v53, 8, v51
	s_delay_alu instid0(VALU_DEP_2) | instskip(NEXT) | instid1(VALU_DEP_3)
	v_lshl_add_u32 v52, v52, 10, 0x2000
	v_lshlrev_b32_e32 v23, 7, v23
	s_delay_alu instid0(VALU_DEP_3) | instskip(NEXT) | instid1(VALU_DEP_3)
	v_and_b32_e32 v53, 0x8000, v53
	v_and_b32_e32 v52, 0xfc00, v52
	s_delay_alu instid0(VALU_DEP_1)
	v_or3_b32 v23, v53, v52, v23
.LBB300_2734:                           ;   in Loop: Header=BB300_1574 Depth=1
	s_or_b32 exec_lo, exec_lo, s17
.LBB300_2735:                           ;   in Loop: Header=BB300_1574 Depth=1
	s_delay_alu instid0(SALU_CYCLE_1)
	s_or_b32 exec_lo, exec_lo, s16
.LBB300_2736:                           ;   in Loop: Header=BB300_1574 Depth=1
	s_delay_alu instid0(SALU_CYCLE_1) | instskip(SKIP_3) | instid1(VALU_DEP_2)
	s_or_b32 exec_lo, exec_lo, s9
	v_lshrrev_b16 v6, 8, v6
	v_mov_b32_e32 v52, 0
	s_mov_b32 s9, exec_lo
	v_cmpx_ne_u16_e32 0, v6
	s_cbranch_execz .LBB300_2744
; %bb.2737:                             ;   in Loop: Header=BB300_1574 Depth=1
	v_bfrev_b32_e32 v52, 1
	s_mov_b32 s16, exec_lo
	v_cmpx_ne_u16_e32 0x80, v6
	s_cbranch_execz .LBB300_2743
; %bb.2738:                             ;   in Loop: Header=BB300_1574 Depth=1
	v_and_b32_e32 v53, 0xffff, v6
	v_mov_b32_e32 v52, 0x7c010000
	s_mov_b32 s17, exec_lo
	s_delay_alu instid0(VALU_DEP_2) | instskip(NEXT) | instid1(VALU_DEP_1)
	v_and_b32_e32 v55, 0x7f, v53
	v_cmpx_ne_u32_e32 0x7f, v55
	s_cbranch_execz .LBB300_2742
; %bb.2739:                             ;   in Loop: Header=BB300_1574 Depth=1
	v_dual_lshrrev_b32 v54, 3, v55 :: v_dual_bitop2_b32 v52, 7, v53 bitop3:0x40
	s_mov_b32 s18, exec_lo
	v_cmpx_gt_u32_e32 8, v55
; %bb.2740:                             ;   in Loop: Header=BB300_1574 Depth=1
	s_delay_alu instid0(VALU_DEP_2) | instskip(NEXT) | instid1(VALU_DEP_1)
	v_clz_i32_u32_e32 v52, v52
	v_min_u32_e32 v52, 32, v52
	s_delay_alu instid0(VALU_DEP_1) | instskip(NEXT) | instid1(VALU_DEP_1)
	v_subrev_nc_u32_e32 v54, 28, v52
	v_lshlrev_b64_e32 v[64:65], v54, v[6:7]
	v_sub_nc_u32_e32 v54, 29, v52
	s_delay_alu instid0(VALU_DEP_2)
	v_and_b32_e32 v52, 7, v64
; %bb.2741:                             ;   in Loop: Header=BB300_1574 Depth=1
	s_or_b32 exec_lo, exec_lo, s18
	s_delay_alu instid0(VALU_DEP_1) | instskip(NEXT) | instid1(VALU_DEP_3)
	v_dual_lshlrev_b32 v6, 8, v53 :: v_dual_lshlrev_b32 v52, 23, v52
	v_lshl_add_u32 v53, v54, 10, 0x2000
	s_delay_alu instid0(VALU_DEP_1) | instskip(NEXT) | instid1(VALU_DEP_1)
	v_and_or_b32 v6, 0x8000, v6, v53
	v_lshl_or_b32 v52, v6, 16, v52
.LBB300_2742:                           ;   in Loop: Header=BB300_1574 Depth=1
	s_or_b32 exec_lo, exec_lo, s17
.LBB300_2743:                           ;   in Loop: Header=BB300_1574 Depth=1
	s_delay_alu instid0(SALU_CYCLE_1)
	s_or_b32 exec_lo, exec_lo, s16
.LBB300_2744:                           ;   in Loop: Header=BB300_1574 Depth=1
	s_delay_alu instid0(SALU_CYCLE_1) | instskip(SKIP_2) | instid1(VALU_DEP_1)
	s_or_b32 exec_lo, exec_lo, s9
	v_lshrrev_b32_e32 v6, 16, v51
	s_mov_b32 s9, exec_lo
	v_and_b32_e32 v53, 0xff, v6
	s_delay_alu instid0(VALU_DEP_1)
	v_cmpx_ne_u16_e32 0, v53
	s_cbranch_execz .LBB300_2752
; %bb.2745:                             ;   in Loop: Header=BB300_1574 Depth=1
	v_mov_b32_e32 v49, 0x8000
	s_mov_b32 s16, exec_lo
	v_cmpx_ne_u16_e32 0x80, v53
	s_cbranch_execz .LBB300_2751
; %bb.2746:                             ;   in Loop: Header=BB300_1574 Depth=1
	v_bfe_u32 v54, v51, 16, 7
	v_mov_b32_e32 v49, 0x7c01
	s_mov_b32 s17, exec_lo
	s_delay_alu instid0(VALU_DEP_2)
	v_cmpx_ne_u32_e32 0x7f, v54
	s_cbranch_execz .LBB300_2750
; %bb.2747:                             ;   in Loop: Header=BB300_1574 Depth=1
	v_and_b32_e32 v49, 7, v6
	v_lshrrev_b32_e32 v53, 3, v54
	s_mov_b32 s18, exec_lo
	v_cmpx_gt_u32_e32 8, v54
; %bb.2748:                             ;   in Loop: Header=BB300_1574 Depth=1
	s_delay_alu instid0(VALU_DEP_3) | instskip(NEXT) | instid1(VALU_DEP_1)
	v_clz_i32_u32_e32 v49, v49
	v_min_u32_e32 v49, 32, v49
	s_delay_alu instid0(VALU_DEP_1) | instskip(NEXT) | instid1(VALU_DEP_1)
	v_subrev_nc_u32_e32 v53, 28, v49
	v_lshlrev_b64_e32 v[54:55], v53, v[6:7]
	s_delay_alu instid0(VALU_DEP_1)
	v_dual_sub_nc_u32 v53, 29, v49 :: v_dual_bitop2_b32 v49, 7, v54 bitop3:0x40
; %bb.2749:                             ;   in Loop: Header=BB300_1574 Depth=1
	s_or_b32 exec_lo, exec_lo, s18
	s_delay_alu instid0(VALU_DEP_1) | instskip(NEXT) | instid1(VALU_DEP_2)
	v_dual_lshlrev_b32 v6, 8, v6 :: v_dual_lshlrev_b32 v49, 7, v49
	v_lshl_add_u32 v53, v53, 10, 0x2000
	s_delay_alu instid0(VALU_DEP_2) | instskip(NEXT) | instid1(VALU_DEP_2)
	v_and_b32_e32 v6, 0x8000, v6
	v_and_b32_e32 v53, 0xfc00, v53
	s_delay_alu instid0(VALU_DEP_1)
	v_or3_b32 v49, v6, v53, v49
.LBB300_2750:                           ;   in Loop: Header=BB300_1574 Depth=1
	s_or_b32 exec_lo, exec_lo, s17
.LBB300_2751:                           ;   in Loop: Header=BB300_1574 Depth=1
	s_delay_alu instid0(SALU_CYCLE_1)
	s_or_b32 exec_lo, exec_lo, s16
.LBB300_2752:                           ;   in Loop: Header=BB300_1574 Depth=1
	s_delay_alu instid0(SALU_CYCLE_1)
	s_or_b32 exec_lo, exec_lo, s9
	v_cmp_lt_u64_e64 s0, s[2:3], v[50:51]
	v_mov_b32_e32 v50, 0
	s_and_saveexec_b32 s9, s0
	s_cbranch_execz .LBB300_2760
; %bb.2753:                             ;   in Loop: Header=BB300_1574 Depth=1
	v_lshrrev_b32_e32 v6, 24, v51
	v_bfrev_b32_e32 v50, 1
	s_mov_b32 s16, exec_lo
	s_delay_alu instid0(VALU_DEP_2)
	v_cmpx_ne_u32_e32 0x80, v6
	s_cbranch_execz .LBB300_2759
; %bb.2754:                             ;   in Loop: Header=BB300_1574 Depth=1
	v_and_b32_e32 v53, 0x7f, v6
	v_mov_b32_e32 v50, 0x7c010000
	s_mov_b32 s17, exec_lo
	s_delay_alu instid0(VALU_DEP_2)
	v_cmpx_ne_u32_e32 0x7f, v53
	s_cbranch_execz .LBB300_2758
; %bb.2755:                             ;   in Loop: Header=BB300_1574 Depth=1
	v_dual_lshrrev_b32 v51, 3, v53 :: v_dual_bitop2_b32 v50, 7, v6 bitop3:0x40
	s_mov_b32 s18, exec_lo
	v_cmpx_gt_u32_e32 8, v53
; %bb.2756:                             ;   in Loop: Header=BB300_1574 Depth=1
	s_delay_alu instid0(VALU_DEP_2) | instskip(NEXT) | instid1(VALU_DEP_1)
	v_clz_i32_u32_e32 v50, v50
	v_min_u32_e32 v53, 32, v50
	s_delay_alu instid0(VALU_DEP_1) | instskip(NEXT) | instid1(VALU_DEP_1)
	v_subrev_nc_u32_e32 v50, 28, v53
	v_lshlrev_b64_e32 v[50:51], v50, v[6:7]
	s_delay_alu instid0(VALU_DEP_1)
	v_dual_sub_nc_u32 v51, 29, v53 :: v_dual_bitop2_b32 v50, 7, v50 bitop3:0x40
; %bb.2757:                             ;   in Loop: Header=BB300_1574 Depth=1
	s_or_b32 exec_lo, exec_lo, s18
	v_lshlrev_b32_e32 v6, 8, v6
	s_delay_alu instid0(VALU_DEP_2) | instskip(NEXT) | instid1(VALU_DEP_3)
	v_lshl_add_u32 v51, v51, 10, 0x2000
	v_lshlrev_b32_e32 v50, 23, v50
	s_delay_alu instid0(VALU_DEP_2) | instskip(NEXT) | instid1(VALU_DEP_1)
	v_and_or_b32 v6, 0x8000, v6, v51
	v_lshl_or_b32 v50, v6, 16, v50
.LBB300_2758:                           ;   in Loop: Header=BB300_1574 Depth=1
	s_or_b32 exec_lo, exec_lo, s17
.LBB300_2759:                           ;   in Loop: Header=BB300_1574 Depth=1
	s_delay_alu instid0(SALU_CYCLE_1)
	s_or_b32 exec_lo, exec_lo, s16
.LBB300_2760:                           ;   in Loop: Header=BB300_1574 Depth=1
	s_delay_alu instid0(SALU_CYCLE_1) | instskip(SKIP_4) | instid1(VALU_DEP_4)
	s_or_b32 exec_lo, exec_lo, s9
	v_dual_lshrrev_b32 v6, 16, v1 :: v_dual_lshrrev_b32 v51, 16, v19
	v_or_b32_e32 v1, v1, v18
	v_or_b32_e32 v22, v19, v22
	v_or_b32_e32 v53, v52, v23
	v_cvt_f32_f16_e32 v19, v6
	v_cvt_f32_f16_e32 v18, v51
	v_dual_lshrrev_b32 v50, 16, v50 :: v_dual_bitop2_b32 v6, v50, v49 bitop3:0x54
	v_lshrrev_b32_e32 v49, 16, v52
	v_cvt_f32_f16_e32 v23, v1
	s_delay_alu instid0(VALU_DEP_3) | instskip(NEXT) | instid1(VALU_DEP_4)
	v_cvt_f32_f16_e32 v52, v6
	v_cvt_f32_f16_e32 v50, v50
	s_wait_loadcnt_dscnt 0x0
	v_pk_mul_f32 v[18:19], v[48:49], v[18:19] op_sel_hi:[0,1]
	v_cvt_f32_f16_e32 v51, v49
	s_delay_alu instid0(VALU_DEP_2) | instskip(NEXT) | instid1(VALU_DEP_2)
	v_cvt_pk_f16_f32 v1, v18, v19
	v_pk_mul_f32 v[18:19], v[48:49], v[50:51] op_sel_hi:[0,1]
	s_delay_alu instid0(VALU_DEP_2) | instskip(SKIP_2) | instid1(VALU_DEP_4)
	v_lshlrev_b32_e32 v50, 16, v1
	v_cvt_f32_f16_e32 v22, v22
	v_and_b32_e32 v51, 0xffff0000, v1
	v_cvt_pk_f16_f32 v18, v18, v19
	s_delay_alu instid0(VALU_DEP_3) | instskip(NEXT) | instid1(VALU_DEP_2)
	v_pk_mul_f32 v[22:23], v[48:49], v[22:23] op_sel_hi:[0,1]
	v_and_b32_e32 v19, 0xffff0000, v18
	s_delay_alu instid0(VALU_DEP_2) | instskip(NEXT) | instid1(VALU_DEP_1)
	v_cvt_pk_f16_f32 v6, v22, v23
	v_lshrrev_b32_e32 v65, 16, v6
	v_cvt_f32_f16_e32 v53, v53
	v_and_b32_e32 v64, 0xffff, v6
	s_delay_alu instid0(VALU_DEP_3) | instskip(NEXT) | instid1(VALU_DEP_3)
	v_or_b32_e32 v55, v51, v65
	v_pk_mul_f32 v[48:49], v[48:49], v[52:53] op_sel_hi:[0,1]
	s_delay_alu instid0(VALU_DEP_3) | instskip(NEXT) | instid1(VALU_DEP_2)
	v_or_b32_e32 v54, v50, v64
	v_cvt_pk_f16_f32 v1, v48, v49
	s_delay_alu instid0(VALU_DEP_1) | instskip(SKIP_1) | instid1(VALU_DEP_2)
	v_dual_lshlrev_b32 v6, 16, v18 :: v_dual_lshrrev_b32 v49, 16, v1
	v_and_b32_e32 v48, 0xffff, v1
	v_or_b32_e32 v53, v19, v49
	s_delay_alu instid0(VALU_DEP_2)
	v_or_b32_e32 v52, v6, v48
	s_and_saveexec_b32 s9, vcc_lo
	s_cbranch_execz .LBB300_2762
; %bb.2761:                             ;   in Loop: Header=BB300_1574 Depth=1
	v_cmp_lt_i32_e64 s0, v70, v13
	s_delay_alu instid0(VALU_DEP_1) | instskip(SKIP_1) | instid1(VALU_DEP_1)
	v_cndmask_b32_e64 v1, 0, v65, s0
	v_cmp_lt_i32_e64 s0, v86, v12
	v_cndmask_b32_e64 v18, 0, v64, s0
	v_cmp_lt_i32_e64 s0, v85, v13
	s_delay_alu instid0(VALU_DEP_1) | instskip(SKIP_1) | instid1(VALU_DEP_1)
	v_cndmask_b32_e64 v22, 0, v51, s0
	v_cmp_lt_i32_e64 s0, v84, v12
	v_cndmask_b32_e64 v23, 0, v50, s0
	v_cmp_lt_i32_e64 s0, v83, v13
	s_delay_alu instid0(VALU_DEP_4) | instskip(NEXT) | instid1(VALU_DEP_2)
	v_or_b32_e32 v55, v1, v22
	v_dual_cndmask_b32 v49, 0, v49, s0 :: v_dual_bitop2_b32 v54, v18, v23 bitop3:0x54
	v_cmp_lt_i32_e64 s0, v82, v12
	s_delay_alu instid0(VALU_DEP_1) | instskip(SKIP_1) | instid1(VALU_DEP_1)
	v_cndmask_b32_e64 v48, 0, v48, s0
	v_cmp_lt_i32_e64 s0, v81, v13
	v_cndmask_b32_e64 v19, 0, v19, s0
	v_cmp_lt_i32_e64 s0, v0, v12
	s_delay_alu instid0(VALU_DEP_1) | instskip(NEXT) | instid1(VALU_DEP_1)
	v_dual_cndmask_b32 v6, 0, v6, s0 :: v_dual_bitop2_b32 v53, v49, v19 bitop3:0x54
	v_or_b32_e32 v52, v48, v6
.LBB300_2762:                           ;   in Loop: Header=BB300_1574 Depth=1
	s_or_b32 exec_lo, exec_lo, s9
	;;#ASMSTART
	v_pk_mul_f16 v1, v98, v55;

	;;#ASMEND
	;;#ASMSTART
	v_pk_mul_f16 v6, v97, v54;

	;;#ASMEND
	;; [unrolled: 4-line block ×4, first 2 shown]
	;;#ASMSTART
	v_pk_add_f16 v1, v1, v6;

	;;#ASMEND
	;;#ASMSTART
	v_pk_add_f16 v1, v1, v18;

	;;#ASMEND
	;; [unrolled: 4-line block ×3, first 2 shown]
	v_and_b32_e32 v6, 0xffff, v1
	v_lshrrev_b32_e32 v1, 16, v1
	;;#ASMSTART
	v_cvt_f32_f16 v77, v6;
	;;#ASMEND
	;;#ASMSTART
	v_cvt_f32_f16 v78, v1;
	;;#ASMEND
	flat_load_b64 v[50:51], v[36:37] offset:4608
	scratch_load_b64 v[18:19], off, s32 offset:192 ; 8-byte Folded Reload
	v_mov_b32_e32 v1, 0
	s_mov_b32 s9, exec_lo
	s_wait_loadcnt_dscnt 0x100
	v_and_b32_e32 v6, 0xff, v50
	s_wait_loadcnt 0x0
	flat_load_b32 v48, v[18:19]
	s_wait_xcnt 0x0
	v_mov_b32_e32 v18, 0
	v_cmpx_ne_u16_e32 0, v6
	s_cbranch_execz .LBB300_2770
; %bb.2763:                             ;   in Loop: Header=BB300_1574 Depth=1
	v_mov_b32_e32 v18, 0x8000
	s_mov_b32 s16, exec_lo
	v_cmpx_ne_u16_e32 0x80, v6
	s_cbranch_execz .LBB300_2769
; %bb.2764:                             ;   in Loop: Header=BB300_1574 Depth=1
	v_and_b32_e32 v19, 0x7f, v50
	v_mov_b32_e32 v18, 0x7c01
	s_mov_b32 s17, exec_lo
	s_delay_alu instid0(VALU_DEP_2)
	v_cmpx_ne_u32_e32 0x7f, v19
	s_cbranch_execz .LBB300_2768
; %bb.2765:                             ;   in Loop: Header=BB300_1574 Depth=1
	v_dual_lshrrev_b32 v18, 3, v19 :: v_dual_bitop2_b32 v6, 7, v50 bitop3:0x40
	s_mov_b32 s18, exec_lo
	v_cmpx_gt_u32_e32 8, v19
; %bb.2766:                             ;   in Loop: Header=BB300_1574 Depth=1
	s_delay_alu instid0(VALU_DEP_2) | instskip(NEXT) | instid1(VALU_DEP_1)
	v_clz_i32_u32_e32 v6, v6
	v_min_u32_e32 v6, 32, v6
	s_delay_alu instid0(VALU_DEP_1) | instskip(NEXT) | instid1(VALU_DEP_1)
	v_subrev_nc_u32_e32 v18, 28, v6
	v_lshlrev_b64_e32 v[22:23], v18, v[50:51]
	v_sub_nc_u32_e32 v18, 29, v6
	s_delay_alu instid0(VALU_DEP_2)
	v_and_b32_e32 v6, 7, v22
; %bb.2767:                             ;   in Loop: Header=BB300_1574 Depth=1
	s_or_b32 exec_lo, exec_lo, s18
	v_lshlrev_b32_e32 v19, 8, v50
	s_delay_alu instid0(VALU_DEP_3) | instskip(NEXT) | instid1(VALU_DEP_3)
	v_lshl_add_u32 v18, v18, 10, 0x2000
	v_lshlrev_b32_e32 v6, 7, v6
	s_delay_alu instid0(VALU_DEP_3) | instskip(NEXT) | instid1(VALU_DEP_3)
	v_and_b32_e32 v19, 0x8000, v19
	v_and_b32_e32 v18, 0xfc00, v18
	s_delay_alu instid0(VALU_DEP_1)
	v_or3_b32 v18, v19, v18, v6
.LBB300_2768:                           ;   in Loop: Header=BB300_1574 Depth=1
	s_or_b32 exec_lo, exec_lo, s17
.LBB300_2769:                           ;   in Loop: Header=BB300_1574 Depth=1
	s_delay_alu instid0(SALU_CYCLE_1)
	s_or_b32 exec_lo, exec_lo, s16
.LBB300_2770:                           ;   in Loop: Header=BB300_1574 Depth=1
	s_delay_alu instid0(SALU_CYCLE_1) | instskip(SKIP_2) | instid1(VALU_DEP_1)
	s_or_b32 exec_lo, exec_lo, s9
	v_lshrrev_b16 v6, 8, v50
	s_mov_b32 s9, exec_lo
	v_cmpx_ne_u16_e32 0, v6
	s_cbranch_execz .LBB300_2778
; %bb.2771:                             ;   in Loop: Header=BB300_1574 Depth=1
	v_bfrev_b32_e32 v1, 1
	s_mov_b32 s16, exec_lo
	v_cmpx_ne_u16_e32 0x80, v6
	s_cbranch_execz .LBB300_2777
; %bb.2772:                             ;   in Loop: Header=BB300_1574 Depth=1
	v_and_b32_e32 v19, 0xffff, v6
	v_mov_b32_e32 v1, 0x7c010000
	s_mov_b32 s17, exec_lo
	s_delay_alu instid0(VALU_DEP_2) | instskip(NEXT) | instid1(VALU_DEP_1)
	v_and_b32_e32 v23, 0x7f, v19
	v_cmpx_ne_u32_e32 0x7f, v23
	s_cbranch_execz .LBB300_2776
; %bb.2773:                             ;   in Loop: Header=BB300_1574 Depth=1
	v_and_b32_e32 v1, 7, v19
	v_lshrrev_b32_e32 v22, 3, v23
	s_mov_b32 s18, exec_lo
	v_cmpx_gt_u32_e32 8, v23
; %bb.2774:                             ;   in Loop: Header=BB300_1574 Depth=1
	s_delay_alu instid0(VALU_DEP_3) | instskip(NEXT) | instid1(VALU_DEP_1)
	v_clz_i32_u32_e32 v1, v1
	v_min_u32_e32 v1, 32, v1
	s_delay_alu instid0(VALU_DEP_1) | instskip(NEXT) | instid1(VALU_DEP_1)
	v_subrev_nc_u32_e32 v22, 28, v1
	v_lshlrev_b64_e32 v[52:53], v22, v[6:7]
	s_delay_alu instid0(VALU_DEP_1)
	v_dual_sub_nc_u32 v22, 29, v1 :: v_dual_bitop2_b32 v1, 7, v52 bitop3:0x40
; %bb.2775:                             ;   in Loop: Header=BB300_1574 Depth=1
	s_or_b32 exec_lo, exec_lo, s18
	s_delay_alu instid0(VALU_DEP_1) | instskip(NEXT) | instid1(VALU_DEP_2)
	v_dual_lshlrev_b32 v6, 8, v19 :: v_dual_lshlrev_b32 v1, 23, v1
	v_lshl_add_u32 v19, v22, 10, 0x2000
	s_delay_alu instid0(VALU_DEP_1) | instskip(NEXT) | instid1(VALU_DEP_1)
	v_and_or_b32 v6, 0x8000, v6, v19
	v_lshl_or_b32 v1, v6, 16, v1
.LBB300_2776:                           ;   in Loop: Header=BB300_1574 Depth=1
	s_or_b32 exec_lo, exec_lo, s17
.LBB300_2777:                           ;   in Loop: Header=BB300_1574 Depth=1
	s_delay_alu instid0(SALU_CYCLE_1)
	s_or_b32 exec_lo, exec_lo, s16
.LBB300_2778:                           ;   in Loop: Header=BB300_1574 Depth=1
	s_delay_alu instid0(SALU_CYCLE_1) | instskip(SKIP_3) | instid1(VALU_DEP_2)
	s_or_b32 exec_lo, exec_lo, s9
	v_dual_mov_b32 v19, 0 :: v_dual_lshrrev_b32 v6, 16, v50
	v_mov_b32_e32 v22, 0
	s_mov_b32 s9, exec_lo
	v_and_b32_e32 v23, 0xff, v6
	s_delay_alu instid0(VALU_DEP_1)
	v_cmpx_ne_u16_e32 0, v23
	s_cbranch_execz .LBB300_2786
; %bb.2779:                             ;   in Loop: Header=BB300_1574 Depth=1
	v_mov_b32_e32 v22, 0x8000
	s_mov_b32 s16, exec_lo
	v_cmpx_ne_u16_e32 0x80, v23
	s_cbranch_execz .LBB300_2785
; %bb.2780:                             ;   in Loop: Header=BB300_1574 Depth=1
	v_bfe_u32 v49, v50, 16, 7
	v_mov_b32_e32 v22, 0x7c01
	s_mov_b32 s17, exec_lo
	s_delay_alu instid0(VALU_DEP_2)
	v_cmpx_ne_u32_e32 0x7f, v49
	s_cbranch_execz .LBB300_2784
; %bb.2781:                             ;   in Loop: Header=BB300_1574 Depth=1
	v_dual_lshrrev_b32 v23, 3, v49 :: v_dual_bitop2_b32 v22, 7, v6 bitop3:0x40
	s_mov_b32 s18, exec_lo
	v_cmpx_gt_u32_e32 8, v49
; %bb.2782:                             ;   in Loop: Header=BB300_1574 Depth=1
	s_delay_alu instid0(VALU_DEP_2) | instskip(NEXT) | instid1(VALU_DEP_1)
	v_clz_i32_u32_e32 v22, v22
	v_min_u32_e32 v49, 32, v22
	s_delay_alu instid0(VALU_DEP_1) | instskip(NEXT) | instid1(VALU_DEP_1)
	v_subrev_nc_u32_e32 v22, 28, v49
	v_lshlrev_b64_e32 v[22:23], v22, v[6:7]
	s_delay_alu instid0(VALU_DEP_1)
	v_dual_sub_nc_u32 v23, 29, v49 :: v_dual_bitop2_b32 v22, 7, v22 bitop3:0x40
; %bb.2783:                             ;   in Loop: Header=BB300_1574 Depth=1
	s_or_b32 exec_lo, exec_lo, s18
	v_lshlrev_b32_e32 v6, 8, v6
	s_delay_alu instid0(VALU_DEP_2) | instskip(NEXT) | instid1(VALU_DEP_3)
	v_lshl_add_u32 v23, v23, 10, 0x2000
	v_lshlrev_b32_e32 v22, 7, v22
	s_delay_alu instid0(VALU_DEP_3) | instskip(NEXT) | instid1(VALU_DEP_3)
	v_and_b32_e32 v6, 0x8000, v6
	v_and_b32_e32 v23, 0xfc00, v23
	s_delay_alu instid0(VALU_DEP_1)
	v_or3_b32 v22, v6, v23, v22
.LBB300_2784:                           ;   in Loop: Header=BB300_1574 Depth=1
	s_or_b32 exec_lo, exec_lo, s17
.LBB300_2785:                           ;   in Loop: Header=BB300_1574 Depth=1
	s_delay_alu instid0(SALU_CYCLE_1)
	s_or_b32 exec_lo, exec_lo, s16
.LBB300_2786:                           ;   in Loop: Header=BB300_1574 Depth=1
	s_delay_alu instid0(SALU_CYCLE_1) | instskip(NEXT) | instid1(SALU_CYCLE_1)
	s_or_b32 exec_lo, exec_lo, s9
	s_mov_b32 s9, exec_lo
	v_cmpx_lt_u32_e32 0xffffff, v50
	s_cbranch_execz .LBB300_2794
; %bb.2787:                             ;   in Loop: Header=BB300_1574 Depth=1
	v_lshrrev_b32_e32 v6, 24, v50
	v_bfrev_b32_e32 v19, 1
	s_mov_b32 s16, exec_lo
	s_delay_alu instid0(VALU_DEP_2)
	v_cmpx_ne_u32_e32 0x80, v6
	s_cbranch_execz .LBB300_2793
; %bb.2788:                             ;   in Loop: Header=BB300_1574 Depth=1
	v_and_b32_e32 v49, 0x7f, v6
	v_mov_b32_e32 v19, 0x7c010000
	s_mov_b32 s17, exec_lo
	s_delay_alu instid0(VALU_DEP_2)
	v_cmpx_ne_u32_e32 0x7f, v49
	s_cbranch_execz .LBB300_2792
; %bb.2789:                             ;   in Loop: Header=BB300_1574 Depth=1
	v_dual_lshrrev_b32 v23, 3, v49 :: v_dual_bitop2_b32 v19, 7, v6 bitop3:0x40
	s_mov_b32 s18, exec_lo
	v_cmpx_gt_u32_e32 8, v49
; %bb.2790:                             ;   in Loop: Header=BB300_1574 Depth=1
	s_delay_alu instid0(VALU_DEP_2) | instskip(NEXT) | instid1(VALU_DEP_1)
	v_clz_i32_u32_e32 v19, v19
	v_min_u32_e32 v19, 32, v19
	s_delay_alu instid0(VALU_DEP_1) | instskip(NEXT) | instid1(VALU_DEP_1)
	v_subrev_nc_u32_e32 v23, 28, v19
	v_lshlrev_b64_e32 v[52:53], v23, v[6:7]
	s_delay_alu instid0(VALU_DEP_1)
	v_dual_sub_nc_u32 v23, 29, v19 :: v_dual_bitop2_b32 v19, 7, v52 bitop3:0x40
; %bb.2791:                             ;   in Loop: Header=BB300_1574 Depth=1
	s_or_b32 exec_lo, exec_lo, s18
	s_delay_alu instid0(VALU_DEP_1) | instskip(NEXT) | instid1(VALU_DEP_2)
	v_dual_lshlrev_b32 v6, 8, v6 :: v_dual_lshlrev_b32 v19, 23, v19
	v_lshl_add_u32 v23, v23, 10, 0x2000
	s_delay_alu instid0(VALU_DEP_1) | instskip(NEXT) | instid1(VALU_DEP_1)
	v_and_or_b32 v6, 0x8000, v6, v23
	v_lshl_or_b32 v19, v6, 16, v19
.LBB300_2792:                           ;   in Loop: Header=BB300_1574 Depth=1
	s_or_b32 exec_lo, exec_lo, s17
.LBB300_2793:                           ;   in Loop: Header=BB300_1574 Depth=1
	s_delay_alu instid0(SALU_CYCLE_1)
	s_or_b32 exec_lo, exec_lo, s16
.LBB300_2794:                           ;   in Loop: Header=BB300_1574 Depth=1
	s_delay_alu instid0(SALU_CYCLE_1) | instskip(SKIP_4) | instid1(VALU_DEP_3)
	s_or_b32 exec_lo, exec_lo, s9
	v_and_b32_e32 v52, 0xff, v51
	v_dual_mov_b32 v6, v51 :: v_dual_mov_b32 v49, 0
	v_mov_b32_e32 v23, 0
	s_mov_b32 s9, exec_lo
	v_cmpx_ne_u16_e32 0, v52
	s_cbranch_execz .LBB300_2802
; %bb.2795:                             ;   in Loop: Header=BB300_1574 Depth=1
	v_mov_b32_e32 v23, 0x8000
	s_mov_b32 s16, exec_lo
	v_cmpx_ne_u16_e32 0x80, v52
	s_cbranch_execz .LBB300_2801
; %bb.2796:                             ;   in Loop: Header=BB300_1574 Depth=1
	v_and_b32_e32 v53, 0x7f, v51
	v_mov_b32_e32 v23, 0x7c01
	s_mov_b32 s17, exec_lo
	s_delay_alu instid0(VALU_DEP_2)
	v_cmpx_ne_u32_e32 0x7f, v53
	s_cbranch_execz .LBB300_2800
; %bb.2797:                             ;   in Loop: Header=BB300_1574 Depth=1
	v_dual_lshrrev_b32 v52, 3, v53 :: v_dual_bitop2_b32 v23, 7, v51 bitop3:0x40
	s_mov_b32 s18, exec_lo
	v_cmpx_gt_u32_e32 8, v53
; %bb.2798:                             ;   in Loop: Header=BB300_1574 Depth=1
	s_delay_alu instid0(VALU_DEP_2) | instskip(NEXT) | instid1(VALU_DEP_1)
	v_clz_i32_u32_e32 v23, v23
	v_min_u32_e32 v23, 32, v23
	s_delay_alu instid0(VALU_DEP_1) | instskip(NEXT) | instid1(VALU_DEP_1)
	v_subrev_nc_u32_e32 v52, 28, v23
	v_lshlrev_b64_e32 v[54:55], v52, v[6:7]
	s_delay_alu instid0(VALU_DEP_1)
	v_dual_sub_nc_u32 v52, 29, v23 :: v_dual_bitop2_b32 v23, 7, v54 bitop3:0x40
; %bb.2799:                             ;   in Loop: Header=BB300_1574 Depth=1
	s_or_b32 exec_lo, exec_lo, s18
	v_lshlrev_b32_e32 v53, 8, v51
	s_delay_alu instid0(VALU_DEP_2) | instskip(NEXT) | instid1(VALU_DEP_3)
	v_lshl_add_u32 v52, v52, 10, 0x2000
	v_lshlrev_b32_e32 v23, 7, v23
	s_delay_alu instid0(VALU_DEP_3) | instskip(NEXT) | instid1(VALU_DEP_3)
	v_and_b32_e32 v53, 0x8000, v53
	v_and_b32_e32 v52, 0xfc00, v52
	s_delay_alu instid0(VALU_DEP_1)
	v_or3_b32 v23, v53, v52, v23
.LBB300_2800:                           ;   in Loop: Header=BB300_1574 Depth=1
	s_or_b32 exec_lo, exec_lo, s17
.LBB300_2801:                           ;   in Loop: Header=BB300_1574 Depth=1
	s_delay_alu instid0(SALU_CYCLE_1)
	s_or_b32 exec_lo, exec_lo, s16
.LBB300_2802:                           ;   in Loop: Header=BB300_1574 Depth=1
	s_delay_alu instid0(SALU_CYCLE_1) | instskip(SKIP_3) | instid1(VALU_DEP_2)
	s_or_b32 exec_lo, exec_lo, s9
	v_lshrrev_b16 v6, 8, v6
	v_mov_b32_e32 v52, 0
	s_mov_b32 s9, exec_lo
	v_cmpx_ne_u16_e32 0, v6
	s_cbranch_execz .LBB300_2810
; %bb.2803:                             ;   in Loop: Header=BB300_1574 Depth=1
	v_bfrev_b32_e32 v52, 1
	s_mov_b32 s16, exec_lo
	v_cmpx_ne_u16_e32 0x80, v6
	s_cbranch_execz .LBB300_2809
; %bb.2804:                             ;   in Loop: Header=BB300_1574 Depth=1
	v_and_b32_e32 v53, 0xffff, v6
	v_mov_b32_e32 v52, 0x7c010000
	s_mov_b32 s17, exec_lo
	s_delay_alu instid0(VALU_DEP_2) | instskip(NEXT) | instid1(VALU_DEP_1)
	v_and_b32_e32 v55, 0x7f, v53
	v_cmpx_ne_u32_e32 0x7f, v55
	s_cbranch_execz .LBB300_2808
; %bb.2805:                             ;   in Loop: Header=BB300_1574 Depth=1
	v_dual_lshrrev_b32 v54, 3, v55 :: v_dual_bitop2_b32 v52, 7, v53 bitop3:0x40
	s_mov_b32 s18, exec_lo
	v_cmpx_gt_u32_e32 8, v55
; %bb.2806:                             ;   in Loop: Header=BB300_1574 Depth=1
	s_delay_alu instid0(VALU_DEP_2) | instskip(NEXT) | instid1(VALU_DEP_1)
	v_clz_i32_u32_e32 v52, v52
	v_min_u32_e32 v52, 32, v52
	s_delay_alu instid0(VALU_DEP_1) | instskip(NEXT) | instid1(VALU_DEP_1)
	v_subrev_nc_u32_e32 v54, 28, v52
	v_lshlrev_b64_e32 v[64:65], v54, v[6:7]
	v_sub_nc_u32_e32 v54, 29, v52
	s_delay_alu instid0(VALU_DEP_2)
	v_and_b32_e32 v52, 7, v64
; %bb.2807:                             ;   in Loop: Header=BB300_1574 Depth=1
	s_or_b32 exec_lo, exec_lo, s18
	s_delay_alu instid0(VALU_DEP_1) | instskip(NEXT) | instid1(VALU_DEP_3)
	v_dual_lshlrev_b32 v6, 8, v53 :: v_dual_lshlrev_b32 v52, 23, v52
	v_lshl_add_u32 v53, v54, 10, 0x2000
	s_delay_alu instid0(VALU_DEP_1) | instskip(NEXT) | instid1(VALU_DEP_1)
	v_and_or_b32 v6, 0x8000, v6, v53
	v_lshl_or_b32 v52, v6, 16, v52
.LBB300_2808:                           ;   in Loop: Header=BB300_1574 Depth=1
	s_or_b32 exec_lo, exec_lo, s17
.LBB300_2809:                           ;   in Loop: Header=BB300_1574 Depth=1
	s_delay_alu instid0(SALU_CYCLE_1)
	s_or_b32 exec_lo, exec_lo, s16
.LBB300_2810:                           ;   in Loop: Header=BB300_1574 Depth=1
	s_delay_alu instid0(SALU_CYCLE_1) | instskip(SKIP_2) | instid1(VALU_DEP_1)
	s_or_b32 exec_lo, exec_lo, s9
	v_lshrrev_b32_e32 v6, 16, v51
	s_mov_b32 s9, exec_lo
	v_and_b32_e32 v53, 0xff, v6
	s_delay_alu instid0(VALU_DEP_1)
	v_cmpx_ne_u16_e32 0, v53
	s_cbranch_execz .LBB300_2818
; %bb.2811:                             ;   in Loop: Header=BB300_1574 Depth=1
	v_mov_b32_e32 v49, 0x8000
	s_mov_b32 s16, exec_lo
	v_cmpx_ne_u16_e32 0x80, v53
	s_cbranch_execz .LBB300_2817
; %bb.2812:                             ;   in Loop: Header=BB300_1574 Depth=1
	v_bfe_u32 v54, v51, 16, 7
	v_mov_b32_e32 v49, 0x7c01
	s_mov_b32 s17, exec_lo
	s_delay_alu instid0(VALU_DEP_2)
	v_cmpx_ne_u32_e32 0x7f, v54
	s_cbranch_execz .LBB300_2816
; %bb.2813:                             ;   in Loop: Header=BB300_1574 Depth=1
	v_and_b32_e32 v49, 7, v6
	v_lshrrev_b32_e32 v53, 3, v54
	s_mov_b32 s18, exec_lo
	v_cmpx_gt_u32_e32 8, v54
; %bb.2814:                             ;   in Loop: Header=BB300_1574 Depth=1
	s_delay_alu instid0(VALU_DEP_3) | instskip(NEXT) | instid1(VALU_DEP_1)
	v_clz_i32_u32_e32 v49, v49
	v_min_u32_e32 v49, 32, v49
	s_delay_alu instid0(VALU_DEP_1) | instskip(NEXT) | instid1(VALU_DEP_1)
	v_subrev_nc_u32_e32 v53, 28, v49
	v_lshlrev_b64_e32 v[54:55], v53, v[6:7]
	s_delay_alu instid0(VALU_DEP_1)
	v_dual_sub_nc_u32 v53, 29, v49 :: v_dual_bitop2_b32 v49, 7, v54 bitop3:0x40
; %bb.2815:                             ;   in Loop: Header=BB300_1574 Depth=1
	s_or_b32 exec_lo, exec_lo, s18
	s_delay_alu instid0(VALU_DEP_1) | instskip(NEXT) | instid1(VALU_DEP_2)
	v_dual_lshlrev_b32 v6, 8, v6 :: v_dual_lshlrev_b32 v49, 7, v49
	v_lshl_add_u32 v53, v53, 10, 0x2000
	s_delay_alu instid0(VALU_DEP_2) | instskip(NEXT) | instid1(VALU_DEP_2)
	v_and_b32_e32 v6, 0x8000, v6
	v_and_b32_e32 v53, 0xfc00, v53
	s_delay_alu instid0(VALU_DEP_1)
	v_or3_b32 v49, v6, v53, v49
.LBB300_2816:                           ;   in Loop: Header=BB300_1574 Depth=1
	s_or_b32 exec_lo, exec_lo, s17
.LBB300_2817:                           ;   in Loop: Header=BB300_1574 Depth=1
	s_delay_alu instid0(SALU_CYCLE_1)
	s_or_b32 exec_lo, exec_lo, s16
.LBB300_2818:                           ;   in Loop: Header=BB300_1574 Depth=1
	s_delay_alu instid0(SALU_CYCLE_1)
	s_or_b32 exec_lo, exec_lo, s9
	v_cmp_lt_u64_e64 s0, s[2:3], v[50:51]
	v_mov_b32_e32 v50, 0
	s_and_saveexec_b32 s9, s0
	s_cbranch_execz .LBB300_2826
; %bb.2819:                             ;   in Loop: Header=BB300_1574 Depth=1
	v_lshrrev_b32_e32 v6, 24, v51
	v_bfrev_b32_e32 v50, 1
	s_mov_b32 s16, exec_lo
	s_delay_alu instid0(VALU_DEP_2)
	v_cmpx_ne_u32_e32 0x80, v6
	s_cbranch_execz .LBB300_2825
; %bb.2820:                             ;   in Loop: Header=BB300_1574 Depth=1
	v_and_b32_e32 v53, 0x7f, v6
	v_mov_b32_e32 v50, 0x7c010000
	s_mov_b32 s17, exec_lo
	s_delay_alu instid0(VALU_DEP_2)
	v_cmpx_ne_u32_e32 0x7f, v53
	s_cbranch_execz .LBB300_2824
; %bb.2821:                             ;   in Loop: Header=BB300_1574 Depth=1
	v_dual_lshrrev_b32 v51, 3, v53 :: v_dual_bitop2_b32 v50, 7, v6 bitop3:0x40
	s_mov_b32 s18, exec_lo
	v_cmpx_gt_u32_e32 8, v53
; %bb.2822:                             ;   in Loop: Header=BB300_1574 Depth=1
	s_delay_alu instid0(VALU_DEP_2) | instskip(NEXT) | instid1(VALU_DEP_1)
	v_clz_i32_u32_e32 v50, v50
	v_min_u32_e32 v53, 32, v50
	s_delay_alu instid0(VALU_DEP_1) | instskip(NEXT) | instid1(VALU_DEP_1)
	v_subrev_nc_u32_e32 v50, 28, v53
	v_lshlrev_b64_e32 v[50:51], v50, v[6:7]
	s_delay_alu instid0(VALU_DEP_1)
	v_dual_sub_nc_u32 v51, 29, v53 :: v_dual_bitop2_b32 v50, 7, v50 bitop3:0x40
; %bb.2823:                             ;   in Loop: Header=BB300_1574 Depth=1
	s_or_b32 exec_lo, exec_lo, s18
	v_lshlrev_b32_e32 v6, 8, v6
	s_delay_alu instid0(VALU_DEP_2) | instskip(NEXT) | instid1(VALU_DEP_3)
	v_lshl_add_u32 v51, v51, 10, 0x2000
	v_lshlrev_b32_e32 v50, 23, v50
	s_delay_alu instid0(VALU_DEP_2) | instskip(NEXT) | instid1(VALU_DEP_1)
	v_and_or_b32 v6, 0x8000, v6, v51
	v_lshl_or_b32 v50, v6, 16, v50
.LBB300_2824:                           ;   in Loop: Header=BB300_1574 Depth=1
	s_or_b32 exec_lo, exec_lo, s17
.LBB300_2825:                           ;   in Loop: Header=BB300_1574 Depth=1
	s_delay_alu instid0(SALU_CYCLE_1)
	s_or_b32 exec_lo, exec_lo, s16
.LBB300_2826:                           ;   in Loop: Header=BB300_1574 Depth=1
	s_delay_alu instid0(SALU_CYCLE_1) | instskip(SKIP_4) | instid1(VALU_DEP_4)
	s_or_b32 exec_lo, exec_lo, s9
	v_dual_lshrrev_b32 v6, 16, v1 :: v_dual_lshrrev_b32 v51, 16, v19
	v_or_b32_e32 v1, v1, v18
	v_or_b32_e32 v22, v19, v22
	;; [unrolled: 1-line block ×3, first 2 shown]
	v_cvt_f32_f16_e32 v19, v6
	v_cvt_f32_f16_e32 v18, v51
	v_dual_lshrrev_b32 v50, 16, v50 :: v_dual_bitop2_b32 v6, v50, v49 bitop3:0x54
	v_lshrrev_b32_e32 v49, 16, v52
	v_cvt_f32_f16_e32 v23, v1
	s_delay_alu instid0(VALU_DEP_3) | instskip(NEXT) | instid1(VALU_DEP_4)
	v_cvt_f32_f16_e32 v52, v6
	v_cvt_f32_f16_e32 v50, v50
	s_wait_loadcnt_dscnt 0x0
	v_pk_mul_f32 v[18:19], v[48:49], v[18:19] op_sel_hi:[0,1]
	v_cvt_f32_f16_e32 v51, v49
	s_delay_alu instid0(VALU_DEP_2) | instskip(NEXT) | instid1(VALU_DEP_2)
	v_cvt_pk_f16_f32 v1, v18, v19
	v_pk_mul_f32 v[18:19], v[48:49], v[50:51] op_sel_hi:[0,1]
	s_delay_alu instid0(VALU_DEP_2) | instskip(SKIP_2) | instid1(VALU_DEP_4)
	v_lshlrev_b32_e32 v50, 16, v1
	v_cvt_f32_f16_e32 v22, v22
	v_and_b32_e32 v51, 0xffff0000, v1
	v_cvt_pk_f16_f32 v18, v18, v19
	s_delay_alu instid0(VALU_DEP_3) | instskip(NEXT) | instid1(VALU_DEP_2)
	v_pk_mul_f32 v[22:23], v[48:49], v[22:23] op_sel_hi:[0,1]
	v_and_b32_e32 v19, 0xffff0000, v18
	s_delay_alu instid0(VALU_DEP_2) | instskip(NEXT) | instid1(VALU_DEP_1)
	v_cvt_pk_f16_f32 v6, v22, v23
	v_lshrrev_b32_e32 v65, 16, v6
	v_cvt_f32_f16_e32 v53, v53
	v_and_b32_e32 v64, 0xffff, v6
	s_delay_alu instid0(VALU_DEP_3) | instskip(NEXT) | instid1(VALU_DEP_3)
	v_or_b32_e32 v55, v51, v65
	v_pk_mul_f32 v[48:49], v[48:49], v[52:53] op_sel_hi:[0,1]
	s_delay_alu instid0(VALU_DEP_3) | instskip(NEXT) | instid1(VALU_DEP_2)
	v_or_b32_e32 v54, v50, v64
	v_cvt_pk_f16_f32 v1, v48, v49
	s_delay_alu instid0(VALU_DEP_1) | instskip(SKIP_1) | instid1(VALU_DEP_2)
	v_dual_lshlrev_b32 v6, 16, v18 :: v_dual_lshrrev_b32 v49, 16, v1
	v_and_b32_e32 v48, 0xffff, v1
	v_or_b32_e32 v53, v19, v49
	s_delay_alu instid0(VALU_DEP_2)
	v_or_b32_e32 v52, v6, v48
	s_and_saveexec_b32 s9, vcc_lo
	s_cbranch_execz .LBB300_2828
; %bb.2827:                             ;   in Loop: Header=BB300_1574 Depth=1
	v_cmp_lt_i32_e64 s0, v70, v13
	s_delay_alu instid0(VALU_DEP_1) | instskip(SKIP_1) | instid1(VALU_DEP_1)
	v_cndmask_b32_e64 v1, 0, v65, s0
	v_cmp_lt_i32_e64 s0, v86, v12
	v_cndmask_b32_e64 v18, 0, v64, s0
	v_cmp_lt_i32_e64 s0, v85, v13
	s_delay_alu instid0(VALU_DEP_1) | instskip(SKIP_1) | instid1(VALU_DEP_1)
	v_cndmask_b32_e64 v22, 0, v51, s0
	v_cmp_lt_i32_e64 s0, v84, v12
	v_cndmask_b32_e64 v23, 0, v50, s0
	v_cmp_lt_i32_e64 s0, v83, v13
	s_delay_alu instid0(VALU_DEP_4) | instskip(NEXT) | instid1(VALU_DEP_2)
	v_or_b32_e32 v55, v1, v22
	v_dual_cndmask_b32 v49, 0, v49, s0 :: v_dual_bitop2_b32 v54, v18, v23 bitop3:0x54
	v_cmp_lt_i32_e64 s0, v82, v12
	s_delay_alu instid0(VALU_DEP_1) | instskip(SKIP_1) | instid1(VALU_DEP_1)
	v_cndmask_b32_e64 v48, 0, v48, s0
	v_cmp_lt_i32_e64 s0, v81, v13
	v_cndmask_b32_e64 v19, 0, v19, s0
	v_cmp_lt_i32_e64 s0, v0, v12
	s_delay_alu instid0(VALU_DEP_1) | instskip(NEXT) | instid1(VALU_DEP_1)
	v_dual_cndmask_b32 v6, 0, v6, s0 :: v_dual_bitop2_b32 v53, v49, v19 bitop3:0x54
	v_or_b32_e32 v52, v48, v6
.LBB300_2828:                           ;   in Loop: Header=BB300_1574 Depth=1
	s_or_b32 exec_lo, exec_lo, s9
	;;#ASMSTART
	v_pk_mul_f16 v1, v98, v55;

	;;#ASMEND
	;;#ASMSTART
	v_pk_mul_f16 v6, v97, v54;

	;;#ASMEND
	;; [unrolled: 4-line block ×4, first 2 shown]
	;;#ASMSTART
	v_pk_add_f16 v1, v1, v6;

	;;#ASMEND
	;;#ASMSTART
	v_pk_add_f16 v1, v1, v18;

	;;#ASMEND
	;; [unrolled: 4-line block ×3, first 2 shown]
	v_and_b32_e32 v6, 0xffff, v1
	v_lshrrev_b32_e32 v1, 16, v1
	;;#ASMSTART
	v_cvt_f32_f16 v79, v6;
	;;#ASMEND
	;;#ASMSTART
	v_cvt_f32_f16 v88, v1;
	;;#ASMEND
	flat_load_b64 v[50:51], v[36:37] offset:4864
	scratch_load_b64 v[18:19], off, s32 offset:192 ; 8-byte Folded Reload
	v_mov_b32_e32 v1, 0
	s_mov_b32 s9, exec_lo
	s_wait_loadcnt_dscnt 0x100
	v_and_b32_e32 v6, 0xff, v50
	s_wait_loadcnt 0x0
	flat_load_b32 v48, v[18:19]
	s_wait_xcnt 0x0
	v_mov_b32_e32 v18, 0
	v_cmpx_ne_u16_e32 0, v6
	s_cbranch_execz .LBB300_2836
; %bb.2829:                             ;   in Loop: Header=BB300_1574 Depth=1
	v_mov_b32_e32 v18, 0x8000
	s_mov_b32 s16, exec_lo
	v_cmpx_ne_u16_e32 0x80, v6
	s_cbranch_execz .LBB300_2835
; %bb.2830:                             ;   in Loop: Header=BB300_1574 Depth=1
	v_and_b32_e32 v19, 0x7f, v50
	v_mov_b32_e32 v18, 0x7c01
	s_mov_b32 s17, exec_lo
	s_delay_alu instid0(VALU_DEP_2)
	v_cmpx_ne_u32_e32 0x7f, v19
	s_cbranch_execz .LBB300_2834
; %bb.2831:                             ;   in Loop: Header=BB300_1574 Depth=1
	v_dual_lshrrev_b32 v18, 3, v19 :: v_dual_bitop2_b32 v6, 7, v50 bitop3:0x40
	s_mov_b32 s18, exec_lo
	v_cmpx_gt_u32_e32 8, v19
; %bb.2832:                             ;   in Loop: Header=BB300_1574 Depth=1
	s_delay_alu instid0(VALU_DEP_2) | instskip(NEXT) | instid1(VALU_DEP_1)
	v_clz_i32_u32_e32 v6, v6
	v_min_u32_e32 v6, 32, v6
	s_delay_alu instid0(VALU_DEP_1) | instskip(NEXT) | instid1(VALU_DEP_1)
	v_subrev_nc_u32_e32 v18, 28, v6
	v_lshlrev_b64_e32 v[22:23], v18, v[50:51]
	v_sub_nc_u32_e32 v18, 29, v6
	s_delay_alu instid0(VALU_DEP_2)
	v_and_b32_e32 v6, 7, v22
; %bb.2833:                             ;   in Loop: Header=BB300_1574 Depth=1
	s_or_b32 exec_lo, exec_lo, s18
	v_lshlrev_b32_e32 v19, 8, v50
	s_delay_alu instid0(VALU_DEP_3) | instskip(NEXT) | instid1(VALU_DEP_3)
	v_lshl_add_u32 v18, v18, 10, 0x2000
	v_lshlrev_b32_e32 v6, 7, v6
	s_delay_alu instid0(VALU_DEP_3) | instskip(NEXT) | instid1(VALU_DEP_3)
	v_and_b32_e32 v19, 0x8000, v19
	v_and_b32_e32 v18, 0xfc00, v18
	s_delay_alu instid0(VALU_DEP_1)
	v_or3_b32 v18, v19, v18, v6
.LBB300_2834:                           ;   in Loop: Header=BB300_1574 Depth=1
	s_or_b32 exec_lo, exec_lo, s17
.LBB300_2835:                           ;   in Loop: Header=BB300_1574 Depth=1
	s_delay_alu instid0(SALU_CYCLE_1)
	s_or_b32 exec_lo, exec_lo, s16
.LBB300_2836:                           ;   in Loop: Header=BB300_1574 Depth=1
	s_delay_alu instid0(SALU_CYCLE_1) | instskip(SKIP_2) | instid1(VALU_DEP_1)
	s_or_b32 exec_lo, exec_lo, s9
	v_lshrrev_b16 v6, 8, v50
	s_mov_b32 s9, exec_lo
	v_cmpx_ne_u16_e32 0, v6
	s_cbranch_execz .LBB300_2844
; %bb.2837:                             ;   in Loop: Header=BB300_1574 Depth=1
	v_bfrev_b32_e32 v1, 1
	s_mov_b32 s16, exec_lo
	v_cmpx_ne_u16_e32 0x80, v6
	s_cbranch_execz .LBB300_2843
; %bb.2838:                             ;   in Loop: Header=BB300_1574 Depth=1
	v_and_b32_e32 v19, 0xffff, v6
	v_mov_b32_e32 v1, 0x7c010000
	s_mov_b32 s17, exec_lo
	s_delay_alu instid0(VALU_DEP_2) | instskip(NEXT) | instid1(VALU_DEP_1)
	v_and_b32_e32 v23, 0x7f, v19
	v_cmpx_ne_u32_e32 0x7f, v23
	s_cbranch_execz .LBB300_2842
; %bb.2839:                             ;   in Loop: Header=BB300_1574 Depth=1
	v_and_b32_e32 v1, 7, v19
	v_lshrrev_b32_e32 v22, 3, v23
	s_mov_b32 s18, exec_lo
	v_cmpx_gt_u32_e32 8, v23
; %bb.2840:                             ;   in Loop: Header=BB300_1574 Depth=1
	s_delay_alu instid0(VALU_DEP_3) | instskip(NEXT) | instid1(VALU_DEP_1)
	v_clz_i32_u32_e32 v1, v1
	v_min_u32_e32 v1, 32, v1
	s_delay_alu instid0(VALU_DEP_1) | instskip(NEXT) | instid1(VALU_DEP_1)
	v_subrev_nc_u32_e32 v22, 28, v1
	v_lshlrev_b64_e32 v[52:53], v22, v[6:7]
	s_delay_alu instid0(VALU_DEP_1)
	v_dual_sub_nc_u32 v22, 29, v1 :: v_dual_bitop2_b32 v1, 7, v52 bitop3:0x40
; %bb.2841:                             ;   in Loop: Header=BB300_1574 Depth=1
	s_or_b32 exec_lo, exec_lo, s18
	s_delay_alu instid0(VALU_DEP_1) | instskip(NEXT) | instid1(VALU_DEP_2)
	v_dual_lshlrev_b32 v6, 8, v19 :: v_dual_lshlrev_b32 v1, 23, v1
	v_lshl_add_u32 v19, v22, 10, 0x2000
	s_delay_alu instid0(VALU_DEP_1) | instskip(NEXT) | instid1(VALU_DEP_1)
	v_and_or_b32 v6, 0x8000, v6, v19
	v_lshl_or_b32 v1, v6, 16, v1
.LBB300_2842:                           ;   in Loop: Header=BB300_1574 Depth=1
	s_or_b32 exec_lo, exec_lo, s17
.LBB300_2843:                           ;   in Loop: Header=BB300_1574 Depth=1
	s_delay_alu instid0(SALU_CYCLE_1)
	s_or_b32 exec_lo, exec_lo, s16
.LBB300_2844:                           ;   in Loop: Header=BB300_1574 Depth=1
	s_delay_alu instid0(SALU_CYCLE_1) | instskip(SKIP_3) | instid1(VALU_DEP_2)
	s_or_b32 exec_lo, exec_lo, s9
	v_dual_mov_b32 v19, 0 :: v_dual_lshrrev_b32 v6, 16, v50
	v_mov_b32_e32 v22, 0
	s_mov_b32 s9, exec_lo
	v_and_b32_e32 v23, 0xff, v6
	s_delay_alu instid0(VALU_DEP_1)
	v_cmpx_ne_u16_e32 0, v23
	s_cbranch_execz .LBB300_2852
; %bb.2845:                             ;   in Loop: Header=BB300_1574 Depth=1
	v_mov_b32_e32 v22, 0x8000
	s_mov_b32 s16, exec_lo
	v_cmpx_ne_u16_e32 0x80, v23
	s_cbranch_execz .LBB300_2851
; %bb.2846:                             ;   in Loop: Header=BB300_1574 Depth=1
	v_bfe_u32 v49, v50, 16, 7
	v_mov_b32_e32 v22, 0x7c01
	s_mov_b32 s17, exec_lo
	s_delay_alu instid0(VALU_DEP_2)
	v_cmpx_ne_u32_e32 0x7f, v49
	s_cbranch_execz .LBB300_2850
; %bb.2847:                             ;   in Loop: Header=BB300_1574 Depth=1
	v_dual_lshrrev_b32 v23, 3, v49 :: v_dual_bitop2_b32 v22, 7, v6 bitop3:0x40
	s_mov_b32 s18, exec_lo
	v_cmpx_gt_u32_e32 8, v49
; %bb.2848:                             ;   in Loop: Header=BB300_1574 Depth=1
	s_delay_alu instid0(VALU_DEP_2) | instskip(NEXT) | instid1(VALU_DEP_1)
	v_clz_i32_u32_e32 v22, v22
	v_min_u32_e32 v49, 32, v22
	s_delay_alu instid0(VALU_DEP_1) | instskip(NEXT) | instid1(VALU_DEP_1)
	v_subrev_nc_u32_e32 v22, 28, v49
	v_lshlrev_b64_e32 v[22:23], v22, v[6:7]
	s_delay_alu instid0(VALU_DEP_1)
	v_dual_sub_nc_u32 v23, 29, v49 :: v_dual_bitop2_b32 v22, 7, v22 bitop3:0x40
; %bb.2849:                             ;   in Loop: Header=BB300_1574 Depth=1
	s_or_b32 exec_lo, exec_lo, s18
	v_lshlrev_b32_e32 v6, 8, v6
	s_delay_alu instid0(VALU_DEP_2) | instskip(NEXT) | instid1(VALU_DEP_3)
	v_lshl_add_u32 v23, v23, 10, 0x2000
	v_lshlrev_b32_e32 v22, 7, v22
	s_delay_alu instid0(VALU_DEP_3) | instskip(NEXT) | instid1(VALU_DEP_3)
	v_and_b32_e32 v6, 0x8000, v6
	v_and_b32_e32 v23, 0xfc00, v23
	s_delay_alu instid0(VALU_DEP_1)
	v_or3_b32 v22, v6, v23, v22
.LBB300_2850:                           ;   in Loop: Header=BB300_1574 Depth=1
	s_or_b32 exec_lo, exec_lo, s17
.LBB300_2851:                           ;   in Loop: Header=BB300_1574 Depth=1
	s_delay_alu instid0(SALU_CYCLE_1)
	s_or_b32 exec_lo, exec_lo, s16
.LBB300_2852:                           ;   in Loop: Header=BB300_1574 Depth=1
	s_delay_alu instid0(SALU_CYCLE_1) | instskip(NEXT) | instid1(SALU_CYCLE_1)
	s_or_b32 exec_lo, exec_lo, s9
	s_mov_b32 s9, exec_lo
	v_cmpx_lt_u32_e32 0xffffff, v50
	s_cbranch_execz .LBB300_2860
; %bb.2853:                             ;   in Loop: Header=BB300_1574 Depth=1
	v_lshrrev_b32_e32 v6, 24, v50
	v_bfrev_b32_e32 v19, 1
	s_mov_b32 s16, exec_lo
	s_delay_alu instid0(VALU_DEP_2)
	v_cmpx_ne_u32_e32 0x80, v6
	s_cbranch_execz .LBB300_2859
; %bb.2854:                             ;   in Loop: Header=BB300_1574 Depth=1
	v_and_b32_e32 v49, 0x7f, v6
	v_mov_b32_e32 v19, 0x7c010000
	s_mov_b32 s17, exec_lo
	s_delay_alu instid0(VALU_DEP_2)
	v_cmpx_ne_u32_e32 0x7f, v49
	s_cbranch_execz .LBB300_2858
; %bb.2855:                             ;   in Loop: Header=BB300_1574 Depth=1
	v_dual_lshrrev_b32 v23, 3, v49 :: v_dual_bitop2_b32 v19, 7, v6 bitop3:0x40
	s_mov_b32 s18, exec_lo
	v_cmpx_gt_u32_e32 8, v49
; %bb.2856:                             ;   in Loop: Header=BB300_1574 Depth=1
	s_delay_alu instid0(VALU_DEP_2) | instskip(NEXT) | instid1(VALU_DEP_1)
	v_clz_i32_u32_e32 v19, v19
	v_min_u32_e32 v19, 32, v19
	s_delay_alu instid0(VALU_DEP_1) | instskip(NEXT) | instid1(VALU_DEP_1)
	v_subrev_nc_u32_e32 v23, 28, v19
	v_lshlrev_b64_e32 v[52:53], v23, v[6:7]
	s_delay_alu instid0(VALU_DEP_1)
	v_dual_sub_nc_u32 v23, 29, v19 :: v_dual_bitop2_b32 v19, 7, v52 bitop3:0x40
; %bb.2857:                             ;   in Loop: Header=BB300_1574 Depth=1
	s_or_b32 exec_lo, exec_lo, s18
	s_delay_alu instid0(VALU_DEP_1) | instskip(NEXT) | instid1(VALU_DEP_2)
	v_dual_lshlrev_b32 v6, 8, v6 :: v_dual_lshlrev_b32 v19, 23, v19
	v_lshl_add_u32 v23, v23, 10, 0x2000
	s_delay_alu instid0(VALU_DEP_1) | instskip(NEXT) | instid1(VALU_DEP_1)
	v_and_or_b32 v6, 0x8000, v6, v23
	v_lshl_or_b32 v19, v6, 16, v19
.LBB300_2858:                           ;   in Loop: Header=BB300_1574 Depth=1
	s_or_b32 exec_lo, exec_lo, s17
.LBB300_2859:                           ;   in Loop: Header=BB300_1574 Depth=1
	s_delay_alu instid0(SALU_CYCLE_1)
	s_or_b32 exec_lo, exec_lo, s16
.LBB300_2860:                           ;   in Loop: Header=BB300_1574 Depth=1
	s_delay_alu instid0(SALU_CYCLE_1) | instskip(SKIP_4) | instid1(VALU_DEP_3)
	s_or_b32 exec_lo, exec_lo, s9
	v_and_b32_e32 v52, 0xff, v51
	v_dual_mov_b32 v6, v51 :: v_dual_mov_b32 v49, 0
	v_mov_b32_e32 v23, 0
	s_mov_b32 s9, exec_lo
	v_cmpx_ne_u16_e32 0, v52
	s_cbranch_execz .LBB300_2868
; %bb.2861:                             ;   in Loop: Header=BB300_1574 Depth=1
	v_mov_b32_e32 v23, 0x8000
	s_mov_b32 s16, exec_lo
	v_cmpx_ne_u16_e32 0x80, v52
	s_cbranch_execz .LBB300_2867
; %bb.2862:                             ;   in Loop: Header=BB300_1574 Depth=1
	v_and_b32_e32 v53, 0x7f, v51
	v_mov_b32_e32 v23, 0x7c01
	s_mov_b32 s17, exec_lo
	s_delay_alu instid0(VALU_DEP_2)
	v_cmpx_ne_u32_e32 0x7f, v53
	s_cbranch_execz .LBB300_2866
; %bb.2863:                             ;   in Loop: Header=BB300_1574 Depth=1
	v_dual_lshrrev_b32 v52, 3, v53 :: v_dual_bitop2_b32 v23, 7, v51 bitop3:0x40
	s_mov_b32 s18, exec_lo
	v_cmpx_gt_u32_e32 8, v53
; %bb.2864:                             ;   in Loop: Header=BB300_1574 Depth=1
	s_delay_alu instid0(VALU_DEP_2) | instskip(NEXT) | instid1(VALU_DEP_1)
	v_clz_i32_u32_e32 v23, v23
	v_min_u32_e32 v23, 32, v23
	s_delay_alu instid0(VALU_DEP_1) | instskip(NEXT) | instid1(VALU_DEP_1)
	v_subrev_nc_u32_e32 v52, 28, v23
	v_lshlrev_b64_e32 v[54:55], v52, v[6:7]
	s_delay_alu instid0(VALU_DEP_1)
	v_dual_sub_nc_u32 v52, 29, v23 :: v_dual_bitop2_b32 v23, 7, v54 bitop3:0x40
; %bb.2865:                             ;   in Loop: Header=BB300_1574 Depth=1
	s_or_b32 exec_lo, exec_lo, s18
	v_lshlrev_b32_e32 v53, 8, v51
	s_delay_alu instid0(VALU_DEP_2) | instskip(NEXT) | instid1(VALU_DEP_3)
	v_lshl_add_u32 v52, v52, 10, 0x2000
	v_lshlrev_b32_e32 v23, 7, v23
	s_delay_alu instid0(VALU_DEP_3) | instskip(NEXT) | instid1(VALU_DEP_3)
	v_and_b32_e32 v53, 0x8000, v53
	v_and_b32_e32 v52, 0xfc00, v52
	s_delay_alu instid0(VALU_DEP_1)
	v_or3_b32 v23, v53, v52, v23
.LBB300_2866:                           ;   in Loop: Header=BB300_1574 Depth=1
	s_or_b32 exec_lo, exec_lo, s17
.LBB300_2867:                           ;   in Loop: Header=BB300_1574 Depth=1
	s_delay_alu instid0(SALU_CYCLE_1)
	s_or_b32 exec_lo, exec_lo, s16
.LBB300_2868:                           ;   in Loop: Header=BB300_1574 Depth=1
	s_delay_alu instid0(SALU_CYCLE_1) | instskip(SKIP_3) | instid1(VALU_DEP_2)
	s_or_b32 exec_lo, exec_lo, s9
	v_lshrrev_b16 v6, 8, v6
	v_mov_b32_e32 v52, 0
	s_mov_b32 s9, exec_lo
	v_cmpx_ne_u16_e32 0, v6
	s_cbranch_execz .LBB300_2876
; %bb.2869:                             ;   in Loop: Header=BB300_1574 Depth=1
	v_bfrev_b32_e32 v52, 1
	s_mov_b32 s16, exec_lo
	v_cmpx_ne_u16_e32 0x80, v6
	s_cbranch_execz .LBB300_2875
; %bb.2870:                             ;   in Loop: Header=BB300_1574 Depth=1
	v_and_b32_e32 v53, 0xffff, v6
	v_mov_b32_e32 v52, 0x7c010000
	s_mov_b32 s17, exec_lo
	s_delay_alu instid0(VALU_DEP_2) | instskip(NEXT) | instid1(VALU_DEP_1)
	v_and_b32_e32 v55, 0x7f, v53
	v_cmpx_ne_u32_e32 0x7f, v55
	s_cbranch_execz .LBB300_2874
; %bb.2871:                             ;   in Loop: Header=BB300_1574 Depth=1
	v_dual_lshrrev_b32 v54, 3, v55 :: v_dual_bitop2_b32 v52, 7, v53 bitop3:0x40
	s_mov_b32 s18, exec_lo
	v_cmpx_gt_u32_e32 8, v55
; %bb.2872:                             ;   in Loop: Header=BB300_1574 Depth=1
	s_delay_alu instid0(VALU_DEP_2) | instskip(NEXT) | instid1(VALU_DEP_1)
	v_clz_i32_u32_e32 v52, v52
	v_min_u32_e32 v52, 32, v52
	s_delay_alu instid0(VALU_DEP_1) | instskip(NEXT) | instid1(VALU_DEP_1)
	v_subrev_nc_u32_e32 v54, 28, v52
	v_lshlrev_b64_e32 v[64:65], v54, v[6:7]
	v_sub_nc_u32_e32 v54, 29, v52
	s_delay_alu instid0(VALU_DEP_2)
	v_and_b32_e32 v52, 7, v64
; %bb.2873:                             ;   in Loop: Header=BB300_1574 Depth=1
	s_or_b32 exec_lo, exec_lo, s18
	s_delay_alu instid0(VALU_DEP_1) | instskip(NEXT) | instid1(VALU_DEP_3)
	v_dual_lshlrev_b32 v6, 8, v53 :: v_dual_lshlrev_b32 v52, 23, v52
	v_lshl_add_u32 v53, v54, 10, 0x2000
	s_delay_alu instid0(VALU_DEP_1) | instskip(NEXT) | instid1(VALU_DEP_1)
	v_and_or_b32 v6, 0x8000, v6, v53
	v_lshl_or_b32 v52, v6, 16, v52
.LBB300_2874:                           ;   in Loop: Header=BB300_1574 Depth=1
	s_or_b32 exec_lo, exec_lo, s17
.LBB300_2875:                           ;   in Loop: Header=BB300_1574 Depth=1
	s_delay_alu instid0(SALU_CYCLE_1)
	s_or_b32 exec_lo, exec_lo, s16
.LBB300_2876:                           ;   in Loop: Header=BB300_1574 Depth=1
	s_delay_alu instid0(SALU_CYCLE_1) | instskip(SKIP_2) | instid1(VALU_DEP_1)
	s_or_b32 exec_lo, exec_lo, s9
	v_lshrrev_b32_e32 v6, 16, v51
	s_mov_b32 s9, exec_lo
	v_and_b32_e32 v53, 0xff, v6
	s_delay_alu instid0(VALU_DEP_1)
	v_cmpx_ne_u16_e32 0, v53
	s_cbranch_execz .LBB300_2884
; %bb.2877:                             ;   in Loop: Header=BB300_1574 Depth=1
	v_mov_b32_e32 v49, 0x8000
	s_mov_b32 s16, exec_lo
	v_cmpx_ne_u16_e32 0x80, v53
	s_cbranch_execz .LBB300_2883
; %bb.2878:                             ;   in Loop: Header=BB300_1574 Depth=1
	v_bfe_u32 v54, v51, 16, 7
	v_mov_b32_e32 v49, 0x7c01
	s_mov_b32 s17, exec_lo
	s_delay_alu instid0(VALU_DEP_2)
	v_cmpx_ne_u32_e32 0x7f, v54
	s_cbranch_execz .LBB300_2882
; %bb.2879:                             ;   in Loop: Header=BB300_1574 Depth=1
	v_and_b32_e32 v49, 7, v6
	v_lshrrev_b32_e32 v53, 3, v54
	s_mov_b32 s18, exec_lo
	v_cmpx_gt_u32_e32 8, v54
; %bb.2880:                             ;   in Loop: Header=BB300_1574 Depth=1
	s_delay_alu instid0(VALU_DEP_3) | instskip(NEXT) | instid1(VALU_DEP_1)
	v_clz_i32_u32_e32 v49, v49
	v_min_u32_e32 v49, 32, v49
	s_delay_alu instid0(VALU_DEP_1) | instskip(NEXT) | instid1(VALU_DEP_1)
	v_subrev_nc_u32_e32 v53, 28, v49
	v_lshlrev_b64_e32 v[54:55], v53, v[6:7]
	s_delay_alu instid0(VALU_DEP_1)
	v_dual_sub_nc_u32 v53, 29, v49 :: v_dual_bitop2_b32 v49, 7, v54 bitop3:0x40
; %bb.2881:                             ;   in Loop: Header=BB300_1574 Depth=1
	s_or_b32 exec_lo, exec_lo, s18
	s_delay_alu instid0(VALU_DEP_1) | instskip(NEXT) | instid1(VALU_DEP_2)
	v_dual_lshlrev_b32 v6, 8, v6 :: v_dual_lshlrev_b32 v49, 7, v49
	v_lshl_add_u32 v53, v53, 10, 0x2000
	s_delay_alu instid0(VALU_DEP_2) | instskip(NEXT) | instid1(VALU_DEP_2)
	v_and_b32_e32 v6, 0x8000, v6
	v_and_b32_e32 v53, 0xfc00, v53
	s_delay_alu instid0(VALU_DEP_1)
	v_or3_b32 v49, v6, v53, v49
.LBB300_2882:                           ;   in Loop: Header=BB300_1574 Depth=1
	s_or_b32 exec_lo, exec_lo, s17
.LBB300_2883:                           ;   in Loop: Header=BB300_1574 Depth=1
	s_delay_alu instid0(SALU_CYCLE_1)
	s_or_b32 exec_lo, exec_lo, s16
.LBB300_2884:                           ;   in Loop: Header=BB300_1574 Depth=1
	s_delay_alu instid0(SALU_CYCLE_1)
	s_or_b32 exec_lo, exec_lo, s9
	v_cmp_lt_u64_e64 s0, s[2:3], v[50:51]
	v_mov_b32_e32 v50, 0
	s_and_saveexec_b32 s9, s0
	s_cbranch_execz .LBB300_2892
; %bb.2885:                             ;   in Loop: Header=BB300_1574 Depth=1
	v_lshrrev_b32_e32 v6, 24, v51
	v_bfrev_b32_e32 v50, 1
	s_mov_b32 s16, exec_lo
	s_delay_alu instid0(VALU_DEP_2)
	v_cmpx_ne_u32_e32 0x80, v6
	s_cbranch_execz .LBB300_2891
; %bb.2886:                             ;   in Loop: Header=BB300_1574 Depth=1
	v_and_b32_e32 v53, 0x7f, v6
	v_mov_b32_e32 v50, 0x7c010000
	s_mov_b32 s17, exec_lo
	s_delay_alu instid0(VALU_DEP_2)
	v_cmpx_ne_u32_e32 0x7f, v53
	s_cbranch_execz .LBB300_2890
; %bb.2887:                             ;   in Loop: Header=BB300_1574 Depth=1
	v_dual_lshrrev_b32 v51, 3, v53 :: v_dual_bitop2_b32 v50, 7, v6 bitop3:0x40
	s_mov_b32 s18, exec_lo
	v_cmpx_gt_u32_e32 8, v53
; %bb.2888:                             ;   in Loop: Header=BB300_1574 Depth=1
	s_delay_alu instid0(VALU_DEP_2) | instskip(NEXT) | instid1(VALU_DEP_1)
	v_clz_i32_u32_e32 v50, v50
	v_min_u32_e32 v53, 32, v50
	s_delay_alu instid0(VALU_DEP_1) | instskip(NEXT) | instid1(VALU_DEP_1)
	v_subrev_nc_u32_e32 v50, 28, v53
	v_lshlrev_b64_e32 v[50:51], v50, v[6:7]
	s_delay_alu instid0(VALU_DEP_1)
	v_dual_sub_nc_u32 v51, 29, v53 :: v_dual_bitop2_b32 v50, 7, v50 bitop3:0x40
; %bb.2889:                             ;   in Loop: Header=BB300_1574 Depth=1
	s_or_b32 exec_lo, exec_lo, s18
	v_lshlrev_b32_e32 v6, 8, v6
	s_delay_alu instid0(VALU_DEP_2) | instskip(NEXT) | instid1(VALU_DEP_3)
	v_lshl_add_u32 v51, v51, 10, 0x2000
	v_lshlrev_b32_e32 v50, 23, v50
	s_delay_alu instid0(VALU_DEP_2) | instskip(NEXT) | instid1(VALU_DEP_1)
	v_and_or_b32 v6, 0x8000, v6, v51
	v_lshl_or_b32 v50, v6, 16, v50
.LBB300_2890:                           ;   in Loop: Header=BB300_1574 Depth=1
	s_or_b32 exec_lo, exec_lo, s17
.LBB300_2891:                           ;   in Loop: Header=BB300_1574 Depth=1
	s_delay_alu instid0(SALU_CYCLE_1)
	s_or_b32 exec_lo, exec_lo, s16
.LBB300_2892:                           ;   in Loop: Header=BB300_1574 Depth=1
	s_delay_alu instid0(SALU_CYCLE_1) | instskip(SKIP_4) | instid1(VALU_DEP_4)
	s_or_b32 exec_lo, exec_lo, s9
	v_dual_lshrrev_b32 v6, 16, v1 :: v_dual_lshrrev_b32 v51, 16, v19
	v_or_b32_e32 v1, v1, v18
	v_or_b32_e32 v22, v19, v22
	;; [unrolled: 1-line block ×3, first 2 shown]
	v_cvt_f32_f16_e32 v19, v6
	v_cvt_f32_f16_e32 v18, v51
	v_dual_lshrrev_b32 v50, 16, v50 :: v_dual_bitop2_b32 v6, v50, v49 bitop3:0x54
	v_lshrrev_b32_e32 v49, 16, v52
	v_cvt_f32_f16_e32 v23, v1
	s_delay_alu instid0(VALU_DEP_3) | instskip(NEXT) | instid1(VALU_DEP_4)
	v_cvt_f32_f16_e32 v52, v6
	v_cvt_f32_f16_e32 v50, v50
	s_wait_loadcnt_dscnt 0x0
	v_pk_mul_f32 v[18:19], v[48:49], v[18:19] op_sel_hi:[0,1]
	v_cvt_f32_f16_e32 v51, v49
	s_delay_alu instid0(VALU_DEP_2) | instskip(NEXT) | instid1(VALU_DEP_2)
	v_cvt_pk_f16_f32 v1, v18, v19
	v_pk_mul_f32 v[18:19], v[48:49], v[50:51] op_sel_hi:[0,1]
	s_delay_alu instid0(VALU_DEP_2) | instskip(SKIP_2) | instid1(VALU_DEP_4)
	v_lshlrev_b32_e32 v50, 16, v1
	v_cvt_f32_f16_e32 v22, v22
	v_and_b32_e32 v51, 0xffff0000, v1
	v_cvt_pk_f16_f32 v18, v18, v19
	s_delay_alu instid0(VALU_DEP_3) | instskip(NEXT) | instid1(VALU_DEP_2)
	v_pk_mul_f32 v[22:23], v[48:49], v[22:23] op_sel_hi:[0,1]
	v_and_b32_e32 v19, 0xffff0000, v18
	s_delay_alu instid0(VALU_DEP_2) | instskip(NEXT) | instid1(VALU_DEP_1)
	v_cvt_pk_f16_f32 v6, v22, v23
	v_lshrrev_b32_e32 v65, 16, v6
	v_cvt_f32_f16_e32 v53, v53
	v_and_b32_e32 v64, 0xffff, v6
	s_delay_alu instid0(VALU_DEP_3) | instskip(NEXT) | instid1(VALU_DEP_3)
	v_or_b32_e32 v55, v51, v65
	v_pk_mul_f32 v[48:49], v[48:49], v[52:53] op_sel_hi:[0,1]
	s_delay_alu instid0(VALU_DEP_3) | instskip(NEXT) | instid1(VALU_DEP_2)
	v_or_b32_e32 v54, v50, v64
	v_cvt_pk_f16_f32 v1, v48, v49
	s_delay_alu instid0(VALU_DEP_1) | instskip(SKIP_1) | instid1(VALU_DEP_2)
	v_dual_lshlrev_b32 v6, 16, v18 :: v_dual_lshrrev_b32 v49, 16, v1
	v_and_b32_e32 v48, 0xffff, v1
	v_or_b32_e32 v53, v19, v49
	s_delay_alu instid0(VALU_DEP_2)
	v_or_b32_e32 v52, v6, v48
	s_and_saveexec_b32 s9, vcc_lo
	s_cbranch_execz .LBB300_2894
; %bb.2893:                             ;   in Loop: Header=BB300_1574 Depth=1
	v_cmp_lt_i32_e64 s0, v70, v13
	s_delay_alu instid0(VALU_DEP_1) | instskip(SKIP_1) | instid1(VALU_DEP_1)
	v_cndmask_b32_e64 v1, 0, v65, s0
	v_cmp_lt_i32_e64 s0, v86, v12
	v_cndmask_b32_e64 v18, 0, v64, s0
	v_cmp_lt_i32_e64 s0, v85, v13
	s_delay_alu instid0(VALU_DEP_1) | instskip(SKIP_1) | instid1(VALU_DEP_1)
	v_cndmask_b32_e64 v22, 0, v51, s0
	v_cmp_lt_i32_e64 s0, v84, v12
	v_cndmask_b32_e64 v23, 0, v50, s0
	v_cmp_lt_i32_e64 s0, v83, v13
	s_delay_alu instid0(VALU_DEP_4) | instskip(NEXT) | instid1(VALU_DEP_2)
	v_or_b32_e32 v55, v1, v22
	v_dual_cndmask_b32 v49, 0, v49, s0 :: v_dual_bitop2_b32 v54, v18, v23 bitop3:0x54
	v_cmp_lt_i32_e64 s0, v82, v12
	s_delay_alu instid0(VALU_DEP_1) | instskip(SKIP_1) | instid1(VALU_DEP_1)
	v_cndmask_b32_e64 v48, 0, v48, s0
	v_cmp_lt_i32_e64 s0, v81, v13
	v_cndmask_b32_e64 v19, 0, v19, s0
	v_cmp_lt_i32_e64 s0, v0, v12
	s_delay_alu instid0(VALU_DEP_1) | instskip(NEXT) | instid1(VALU_DEP_1)
	v_dual_cndmask_b32 v6, 0, v6, s0 :: v_dual_bitop2_b32 v53, v49, v19 bitop3:0x54
	v_or_b32_e32 v52, v48, v6
.LBB300_2894:                           ;   in Loop: Header=BB300_1574 Depth=1
	s_or_b32 exec_lo, exec_lo, s9
	;;#ASMSTART
	v_pk_mul_f16 v1, v98, v55;

	;;#ASMEND
	;;#ASMSTART
	v_pk_mul_f16 v6, v97, v54;

	;;#ASMEND
	;; [unrolled: 4-line block ×4, first 2 shown]
	;;#ASMSTART
	v_pk_add_f16 v1, v1, v6;

	;;#ASMEND
	;;#ASMSTART
	v_pk_add_f16 v1, v1, v18;

	;;#ASMEND
	;; [unrolled: 4-line block ×3, first 2 shown]
	v_and_b32_e32 v6, 0xffff, v1
	v_lshrrev_b32_e32 v1, 16, v1
	;;#ASMSTART
	v_cvt_f32_f16 v89, v6;
	;;#ASMEND
	;;#ASMSTART
	v_cvt_f32_f16 v90, v1;
	;;#ASMEND
	flat_load_b64 v[50:51], v[36:37] offset:5120
	scratch_load_b64 v[18:19], off, s32 offset:192 ; 8-byte Folded Reload
	v_mov_b32_e32 v1, 0
	s_mov_b32 s9, exec_lo
	s_wait_loadcnt_dscnt 0x100
	v_and_b32_e32 v6, 0xff, v50
	s_wait_loadcnt 0x0
	flat_load_b32 v48, v[18:19]
	s_wait_xcnt 0x0
	v_mov_b32_e32 v18, 0
	v_cmpx_ne_u16_e32 0, v6
	s_cbranch_execz .LBB300_2902
; %bb.2895:                             ;   in Loop: Header=BB300_1574 Depth=1
	v_mov_b32_e32 v18, 0x8000
	s_mov_b32 s16, exec_lo
	v_cmpx_ne_u16_e32 0x80, v6
	s_cbranch_execz .LBB300_2901
; %bb.2896:                             ;   in Loop: Header=BB300_1574 Depth=1
	v_and_b32_e32 v19, 0x7f, v50
	v_mov_b32_e32 v18, 0x7c01
	s_mov_b32 s17, exec_lo
	s_delay_alu instid0(VALU_DEP_2)
	v_cmpx_ne_u32_e32 0x7f, v19
	s_cbranch_execz .LBB300_2900
; %bb.2897:                             ;   in Loop: Header=BB300_1574 Depth=1
	v_dual_lshrrev_b32 v18, 3, v19 :: v_dual_bitop2_b32 v6, 7, v50 bitop3:0x40
	s_mov_b32 s18, exec_lo
	v_cmpx_gt_u32_e32 8, v19
; %bb.2898:                             ;   in Loop: Header=BB300_1574 Depth=1
	s_delay_alu instid0(VALU_DEP_2) | instskip(NEXT) | instid1(VALU_DEP_1)
	v_clz_i32_u32_e32 v6, v6
	v_min_u32_e32 v6, 32, v6
	s_delay_alu instid0(VALU_DEP_1) | instskip(NEXT) | instid1(VALU_DEP_1)
	v_subrev_nc_u32_e32 v18, 28, v6
	v_lshlrev_b64_e32 v[22:23], v18, v[50:51]
	v_sub_nc_u32_e32 v18, 29, v6
	s_delay_alu instid0(VALU_DEP_2)
	v_and_b32_e32 v6, 7, v22
; %bb.2899:                             ;   in Loop: Header=BB300_1574 Depth=1
	s_or_b32 exec_lo, exec_lo, s18
	v_lshlrev_b32_e32 v19, 8, v50
	s_delay_alu instid0(VALU_DEP_3) | instskip(NEXT) | instid1(VALU_DEP_3)
	v_lshl_add_u32 v18, v18, 10, 0x2000
	v_lshlrev_b32_e32 v6, 7, v6
	s_delay_alu instid0(VALU_DEP_3) | instskip(NEXT) | instid1(VALU_DEP_3)
	v_and_b32_e32 v19, 0x8000, v19
	v_and_b32_e32 v18, 0xfc00, v18
	s_delay_alu instid0(VALU_DEP_1)
	v_or3_b32 v18, v19, v18, v6
.LBB300_2900:                           ;   in Loop: Header=BB300_1574 Depth=1
	s_or_b32 exec_lo, exec_lo, s17
.LBB300_2901:                           ;   in Loop: Header=BB300_1574 Depth=1
	s_delay_alu instid0(SALU_CYCLE_1)
	s_or_b32 exec_lo, exec_lo, s16
.LBB300_2902:                           ;   in Loop: Header=BB300_1574 Depth=1
	s_delay_alu instid0(SALU_CYCLE_1) | instskip(SKIP_2) | instid1(VALU_DEP_1)
	s_or_b32 exec_lo, exec_lo, s9
	v_lshrrev_b16 v6, 8, v50
	s_mov_b32 s9, exec_lo
	v_cmpx_ne_u16_e32 0, v6
	s_cbranch_execz .LBB300_2910
; %bb.2903:                             ;   in Loop: Header=BB300_1574 Depth=1
	v_bfrev_b32_e32 v1, 1
	s_mov_b32 s16, exec_lo
	v_cmpx_ne_u16_e32 0x80, v6
	s_cbranch_execz .LBB300_2909
; %bb.2904:                             ;   in Loop: Header=BB300_1574 Depth=1
	v_and_b32_e32 v19, 0xffff, v6
	v_mov_b32_e32 v1, 0x7c010000
	s_mov_b32 s17, exec_lo
	s_delay_alu instid0(VALU_DEP_2) | instskip(NEXT) | instid1(VALU_DEP_1)
	v_and_b32_e32 v23, 0x7f, v19
	v_cmpx_ne_u32_e32 0x7f, v23
	s_cbranch_execz .LBB300_2908
; %bb.2905:                             ;   in Loop: Header=BB300_1574 Depth=1
	v_and_b32_e32 v1, 7, v19
	v_lshrrev_b32_e32 v22, 3, v23
	s_mov_b32 s18, exec_lo
	v_cmpx_gt_u32_e32 8, v23
; %bb.2906:                             ;   in Loop: Header=BB300_1574 Depth=1
	s_delay_alu instid0(VALU_DEP_3) | instskip(NEXT) | instid1(VALU_DEP_1)
	v_clz_i32_u32_e32 v1, v1
	v_min_u32_e32 v1, 32, v1
	s_delay_alu instid0(VALU_DEP_1) | instskip(NEXT) | instid1(VALU_DEP_1)
	v_subrev_nc_u32_e32 v22, 28, v1
	v_lshlrev_b64_e32 v[52:53], v22, v[6:7]
	s_delay_alu instid0(VALU_DEP_1)
	v_dual_sub_nc_u32 v22, 29, v1 :: v_dual_bitop2_b32 v1, 7, v52 bitop3:0x40
; %bb.2907:                             ;   in Loop: Header=BB300_1574 Depth=1
	s_or_b32 exec_lo, exec_lo, s18
	s_delay_alu instid0(VALU_DEP_1) | instskip(NEXT) | instid1(VALU_DEP_2)
	v_dual_lshlrev_b32 v6, 8, v19 :: v_dual_lshlrev_b32 v1, 23, v1
	v_lshl_add_u32 v19, v22, 10, 0x2000
	s_delay_alu instid0(VALU_DEP_1) | instskip(NEXT) | instid1(VALU_DEP_1)
	v_and_or_b32 v6, 0x8000, v6, v19
	v_lshl_or_b32 v1, v6, 16, v1
.LBB300_2908:                           ;   in Loop: Header=BB300_1574 Depth=1
	s_or_b32 exec_lo, exec_lo, s17
.LBB300_2909:                           ;   in Loop: Header=BB300_1574 Depth=1
	s_delay_alu instid0(SALU_CYCLE_1)
	s_or_b32 exec_lo, exec_lo, s16
.LBB300_2910:                           ;   in Loop: Header=BB300_1574 Depth=1
	s_delay_alu instid0(SALU_CYCLE_1) | instskip(SKIP_3) | instid1(VALU_DEP_2)
	s_or_b32 exec_lo, exec_lo, s9
	v_dual_mov_b32 v19, 0 :: v_dual_lshrrev_b32 v6, 16, v50
	v_mov_b32_e32 v22, 0
	s_mov_b32 s9, exec_lo
	v_and_b32_e32 v23, 0xff, v6
	s_delay_alu instid0(VALU_DEP_1)
	v_cmpx_ne_u16_e32 0, v23
	s_cbranch_execz .LBB300_2918
; %bb.2911:                             ;   in Loop: Header=BB300_1574 Depth=1
	v_mov_b32_e32 v22, 0x8000
	s_mov_b32 s16, exec_lo
	v_cmpx_ne_u16_e32 0x80, v23
	s_cbranch_execz .LBB300_2917
; %bb.2912:                             ;   in Loop: Header=BB300_1574 Depth=1
	v_bfe_u32 v49, v50, 16, 7
	v_mov_b32_e32 v22, 0x7c01
	s_mov_b32 s17, exec_lo
	s_delay_alu instid0(VALU_DEP_2)
	v_cmpx_ne_u32_e32 0x7f, v49
	s_cbranch_execz .LBB300_2916
; %bb.2913:                             ;   in Loop: Header=BB300_1574 Depth=1
	v_dual_lshrrev_b32 v23, 3, v49 :: v_dual_bitop2_b32 v22, 7, v6 bitop3:0x40
	s_mov_b32 s18, exec_lo
	v_cmpx_gt_u32_e32 8, v49
; %bb.2914:                             ;   in Loop: Header=BB300_1574 Depth=1
	s_delay_alu instid0(VALU_DEP_2) | instskip(NEXT) | instid1(VALU_DEP_1)
	v_clz_i32_u32_e32 v22, v22
	v_min_u32_e32 v49, 32, v22
	s_delay_alu instid0(VALU_DEP_1) | instskip(NEXT) | instid1(VALU_DEP_1)
	v_subrev_nc_u32_e32 v22, 28, v49
	v_lshlrev_b64_e32 v[22:23], v22, v[6:7]
	s_delay_alu instid0(VALU_DEP_1)
	v_dual_sub_nc_u32 v23, 29, v49 :: v_dual_bitop2_b32 v22, 7, v22 bitop3:0x40
; %bb.2915:                             ;   in Loop: Header=BB300_1574 Depth=1
	s_or_b32 exec_lo, exec_lo, s18
	v_lshlrev_b32_e32 v6, 8, v6
	s_delay_alu instid0(VALU_DEP_2) | instskip(NEXT) | instid1(VALU_DEP_3)
	v_lshl_add_u32 v23, v23, 10, 0x2000
	v_lshlrev_b32_e32 v22, 7, v22
	s_delay_alu instid0(VALU_DEP_3) | instskip(NEXT) | instid1(VALU_DEP_3)
	v_and_b32_e32 v6, 0x8000, v6
	v_and_b32_e32 v23, 0xfc00, v23
	s_delay_alu instid0(VALU_DEP_1)
	v_or3_b32 v22, v6, v23, v22
.LBB300_2916:                           ;   in Loop: Header=BB300_1574 Depth=1
	s_or_b32 exec_lo, exec_lo, s17
.LBB300_2917:                           ;   in Loop: Header=BB300_1574 Depth=1
	s_delay_alu instid0(SALU_CYCLE_1)
	s_or_b32 exec_lo, exec_lo, s16
.LBB300_2918:                           ;   in Loop: Header=BB300_1574 Depth=1
	s_delay_alu instid0(SALU_CYCLE_1) | instskip(NEXT) | instid1(SALU_CYCLE_1)
	s_or_b32 exec_lo, exec_lo, s9
	s_mov_b32 s9, exec_lo
	v_cmpx_lt_u32_e32 0xffffff, v50
	s_cbranch_execz .LBB300_2926
; %bb.2919:                             ;   in Loop: Header=BB300_1574 Depth=1
	v_lshrrev_b32_e32 v6, 24, v50
	v_bfrev_b32_e32 v19, 1
	s_mov_b32 s16, exec_lo
	s_delay_alu instid0(VALU_DEP_2)
	v_cmpx_ne_u32_e32 0x80, v6
	s_cbranch_execz .LBB300_2925
; %bb.2920:                             ;   in Loop: Header=BB300_1574 Depth=1
	v_and_b32_e32 v49, 0x7f, v6
	v_mov_b32_e32 v19, 0x7c010000
	s_mov_b32 s17, exec_lo
	s_delay_alu instid0(VALU_DEP_2)
	v_cmpx_ne_u32_e32 0x7f, v49
	s_cbranch_execz .LBB300_2924
; %bb.2921:                             ;   in Loop: Header=BB300_1574 Depth=1
	v_dual_lshrrev_b32 v23, 3, v49 :: v_dual_bitop2_b32 v19, 7, v6 bitop3:0x40
	s_mov_b32 s18, exec_lo
	v_cmpx_gt_u32_e32 8, v49
; %bb.2922:                             ;   in Loop: Header=BB300_1574 Depth=1
	s_delay_alu instid0(VALU_DEP_2) | instskip(NEXT) | instid1(VALU_DEP_1)
	v_clz_i32_u32_e32 v19, v19
	v_min_u32_e32 v19, 32, v19
	s_delay_alu instid0(VALU_DEP_1) | instskip(NEXT) | instid1(VALU_DEP_1)
	v_subrev_nc_u32_e32 v23, 28, v19
	v_lshlrev_b64_e32 v[52:53], v23, v[6:7]
	s_delay_alu instid0(VALU_DEP_1)
	v_dual_sub_nc_u32 v23, 29, v19 :: v_dual_bitop2_b32 v19, 7, v52 bitop3:0x40
; %bb.2923:                             ;   in Loop: Header=BB300_1574 Depth=1
	s_or_b32 exec_lo, exec_lo, s18
	s_delay_alu instid0(VALU_DEP_1) | instskip(NEXT) | instid1(VALU_DEP_2)
	v_dual_lshlrev_b32 v6, 8, v6 :: v_dual_lshlrev_b32 v19, 23, v19
	v_lshl_add_u32 v23, v23, 10, 0x2000
	s_delay_alu instid0(VALU_DEP_1) | instskip(NEXT) | instid1(VALU_DEP_1)
	v_and_or_b32 v6, 0x8000, v6, v23
	v_lshl_or_b32 v19, v6, 16, v19
.LBB300_2924:                           ;   in Loop: Header=BB300_1574 Depth=1
	s_or_b32 exec_lo, exec_lo, s17
.LBB300_2925:                           ;   in Loop: Header=BB300_1574 Depth=1
	s_delay_alu instid0(SALU_CYCLE_1)
	s_or_b32 exec_lo, exec_lo, s16
.LBB300_2926:                           ;   in Loop: Header=BB300_1574 Depth=1
	s_delay_alu instid0(SALU_CYCLE_1) | instskip(SKIP_4) | instid1(VALU_DEP_3)
	s_or_b32 exec_lo, exec_lo, s9
	v_and_b32_e32 v52, 0xff, v51
	v_dual_mov_b32 v6, v51 :: v_dual_mov_b32 v49, 0
	v_mov_b32_e32 v23, 0
	s_mov_b32 s9, exec_lo
	v_cmpx_ne_u16_e32 0, v52
	s_cbranch_execz .LBB300_2934
; %bb.2927:                             ;   in Loop: Header=BB300_1574 Depth=1
	v_mov_b32_e32 v23, 0x8000
	s_mov_b32 s16, exec_lo
	v_cmpx_ne_u16_e32 0x80, v52
	s_cbranch_execz .LBB300_2933
; %bb.2928:                             ;   in Loop: Header=BB300_1574 Depth=1
	v_and_b32_e32 v53, 0x7f, v51
	v_mov_b32_e32 v23, 0x7c01
	s_mov_b32 s17, exec_lo
	s_delay_alu instid0(VALU_DEP_2)
	v_cmpx_ne_u32_e32 0x7f, v53
	s_cbranch_execz .LBB300_2932
; %bb.2929:                             ;   in Loop: Header=BB300_1574 Depth=1
	v_dual_lshrrev_b32 v52, 3, v53 :: v_dual_bitop2_b32 v23, 7, v51 bitop3:0x40
	s_mov_b32 s18, exec_lo
	v_cmpx_gt_u32_e32 8, v53
; %bb.2930:                             ;   in Loop: Header=BB300_1574 Depth=1
	s_delay_alu instid0(VALU_DEP_2) | instskip(NEXT) | instid1(VALU_DEP_1)
	v_clz_i32_u32_e32 v23, v23
	v_min_u32_e32 v23, 32, v23
	s_delay_alu instid0(VALU_DEP_1) | instskip(NEXT) | instid1(VALU_DEP_1)
	v_subrev_nc_u32_e32 v52, 28, v23
	v_lshlrev_b64_e32 v[54:55], v52, v[6:7]
	s_delay_alu instid0(VALU_DEP_1)
	v_dual_sub_nc_u32 v52, 29, v23 :: v_dual_bitop2_b32 v23, 7, v54 bitop3:0x40
; %bb.2931:                             ;   in Loop: Header=BB300_1574 Depth=1
	s_or_b32 exec_lo, exec_lo, s18
	v_lshlrev_b32_e32 v53, 8, v51
	s_delay_alu instid0(VALU_DEP_2) | instskip(NEXT) | instid1(VALU_DEP_3)
	v_lshl_add_u32 v52, v52, 10, 0x2000
	v_lshlrev_b32_e32 v23, 7, v23
	s_delay_alu instid0(VALU_DEP_3) | instskip(NEXT) | instid1(VALU_DEP_3)
	v_and_b32_e32 v53, 0x8000, v53
	v_and_b32_e32 v52, 0xfc00, v52
	s_delay_alu instid0(VALU_DEP_1)
	v_or3_b32 v23, v53, v52, v23
.LBB300_2932:                           ;   in Loop: Header=BB300_1574 Depth=1
	s_or_b32 exec_lo, exec_lo, s17
.LBB300_2933:                           ;   in Loop: Header=BB300_1574 Depth=1
	s_delay_alu instid0(SALU_CYCLE_1)
	s_or_b32 exec_lo, exec_lo, s16
.LBB300_2934:                           ;   in Loop: Header=BB300_1574 Depth=1
	s_delay_alu instid0(SALU_CYCLE_1) | instskip(SKIP_3) | instid1(VALU_DEP_2)
	s_or_b32 exec_lo, exec_lo, s9
	v_lshrrev_b16 v6, 8, v6
	v_mov_b32_e32 v52, 0
	s_mov_b32 s9, exec_lo
	v_cmpx_ne_u16_e32 0, v6
	s_cbranch_execz .LBB300_2942
; %bb.2935:                             ;   in Loop: Header=BB300_1574 Depth=1
	v_bfrev_b32_e32 v52, 1
	s_mov_b32 s16, exec_lo
	v_cmpx_ne_u16_e32 0x80, v6
	s_cbranch_execz .LBB300_2941
; %bb.2936:                             ;   in Loop: Header=BB300_1574 Depth=1
	v_and_b32_e32 v53, 0xffff, v6
	v_mov_b32_e32 v52, 0x7c010000
	s_mov_b32 s17, exec_lo
	s_delay_alu instid0(VALU_DEP_2) | instskip(NEXT) | instid1(VALU_DEP_1)
	v_and_b32_e32 v55, 0x7f, v53
	v_cmpx_ne_u32_e32 0x7f, v55
	s_cbranch_execz .LBB300_2940
; %bb.2937:                             ;   in Loop: Header=BB300_1574 Depth=1
	v_dual_lshrrev_b32 v54, 3, v55 :: v_dual_bitop2_b32 v52, 7, v53 bitop3:0x40
	s_mov_b32 s18, exec_lo
	v_cmpx_gt_u32_e32 8, v55
; %bb.2938:                             ;   in Loop: Header=BB300_1574 Depth=1
	s_delay_alu instid0(VALU_DEP_2) | instskip(NEXT) | instid1(VALU_DEP_1)
	v_clz_i32_u32_e32 v52, v52
	v_min_u32_e32 v52, 32, v52
	s_delay_alu instid0(VALU_DEP_1) | instskip(NEXT) | instid1(VALU_DEP_1)
	v_subrev_nc_u32_e32 v54, 28, v52
	v_lshlrev_b64_e32 v[64:65], v54, v[6:7]
	v_sub_nc_u32_e32 v54, 29, v52
	s_delay_alu instid0(VALU_DEP_2)
	v_and_b32_e32 v52, 7, v64
; %bb.2939:                             ;   in Loop: Header=BB300_1574 Depth=1
	s_or_b32 exec_lo, exec_lo, s18
	s_delay_alu instid0(VALU_DEP_1) | instskip(NEXT) | instid1(VALU_DEP_3)
	v_dual_lshlrev_b32 v6, 8, v53 :: v_dual_lshlrev_b32 v52, 23, v52
	v_lshl_add_u32 v53, v54, 10, 0x2000
	s_delay_alu instid0(VALU_DEP_1) | instskip(NEXT) | instid1(VALU_DEP_1)
	v_and_or_b32 v6, 0x8000, v6, v53
	v_lshl_or_b32 v52, v6, 16, v52
.LBB300_2940:                           ;   in Loop: Header=BB300_1574 Depth=1
	s_or_b32 exec_lo, exec_lo, s17
.LBB300_2941:                           ;   in Loop: Header=BB300_1574 Depth=1
	s_delay_alu instid0(SALU_CYCLE_1)
	s_or_b32 exec_lo, exec_lo, s16
.LBB300_2942:                           ;   in Loop: Header=BB300_1574 Depth=1
	s_delay_alu instid0(SALU_CYCLE_1) | instskip(SKIP_2) | instid1(VALU_DEP_1)
	s_or_b32 exec_lo, exec_lo, s9
	v_lshrrev_b32_e32 v6, 16, v51
	s_mov_b32 s9, exec_lo
	v_and_b32_e32 v53, 0xff, v6
	s_delay_alu instid0(VALU_DEP_1)
	v_cmpx_ne_u16_e32 0, v53
	s_cbranch_execz .LBB300_2950
; %bb.2943:                             ;   in Loop: Header=BB300_1574 Depth=1
	v_mov_b32_e32 v49, 0x8000
	s_mov_b32 s16, exec_lo
	v_cmpx_ne_u16_e32 0x80, v53
	s_cbranch_execz .LBB300_2949
; %bb.2944:                             ;   in Loop: Header=BB300_1574 Depth=1
	v_bfe_u32 v54, v51, 16, 7
	v_mov_b32_e32 v49, 0x7c01
	s_mov_b32 s17, exec_lo
	s_delay_alu instid0(VALU_DEP_2)
	v_cmpx_ne_u32_e32 0x7f, v54
	s_cbranch_execz .LBB300_2948
; %bb.2945:                             ;   in Loop: Header=BB300_1574 Depth=1
	v_and_b32_e32 v49, 7, v6
	v_lshrrev_b32_e32 v53, 3, v54
	s_mov_b32 s18, exec_lo
	v_cmpx_gt_u32_e32 8, v54
; %bb.2946:                             ;   in Loop: Header=BB300_1574 Depth=1
	s_delay_alu instid0(VALU_DEP_3) | instskip(NEXT) | instid1(VALU_DEP_1)
	v_clz_i32_u32_e32 v49, v49
	v_min_u32_e32 v49, 32, v49
	s_delay_alu instid0(VALU_DEP_1) | instskip(NEXT) | instid1(VALU_DEP_1)
	v_subrev_nc_u32_e32 v53, 28, v49
	v_lshlrev_b64_e32 v[54:55], v53, v[6:7]
	s_delay_alu instid0(VALU_DEP_1)
	v_dual_sub_nc_u32 v53, 29, v49 :: v_dual_bitop2_b32 v49, 7, v54 bitop3:0x40
; %bb.2947:                             ;   in Loop: Header=BB300_1574 Depth=1
	s_or_b32 exec_lo, exec_lo, s18
	s_delay_alu instid0(VALU_DEP_1) | instskip(NEXT) | instid1(VALU_DEP_2)
	v_dual_lshlrev_b32 v6, 8, v6 :: v_dual_lshlrev_b32 v49, 7, v49
	v_lshl_add_u32 v53, v53, 10, 0x2000
	s_delay_alu instid0(VALU_DEP_2) | instskip(NEXT) | instid1(VALU_DEP_2)
	v_and_b32_e32 v6, 0x8000, v6
	v_and_b32_e32 v53, 0xfc00, v53
	s_delay_alu instid0(VALU_DEP_1)
	v_or3_b32 v49, v6, v53, v49
.LBB300_2948:                           ;   in Loop: Header=BB300_1574 Depth=1
	s_or_b32 exec_lo, exec_lo, s17
.LBB300_2949:                           ;   in Loop: Header=BB300_1574 Depth=1
	s_delay_alu instid0(SALU_CYCLE_1)
	s_or_b32 exec_lo, exec_lo, s16
.LBB300_2950:                           ;   in Loop: Header=BB300_1574 Depth=1
	s_delay_alu instid0(SALU_CYCLE_1)
	s_or_b32 exec_lo, exec_lo, s9
	v_cmp_lt_u64_e64 s0, s[2:3], v[50:51]
	v_mov_b32_e32 v50, 0
	s_and_saveexec_b32 s9, s0
	s_cbranch_execz .LBB300_2958
; %bb.2951:                             ;   in Loop: Header=BB300_1574 Depth=1
	v_lshrrev_b32_e32 v6, 24, v51
	v_bfrev_b32_e32 v50, 1
	s_mov_b32 s16, exec_lo
	s_delay_alu instid0(VALU_DEP_2)
	v_cmpx_ne_u32_e32 0x80, v6
	s_cbranch_execz .LBB300_2957
; %bb.2952:                             ;   in Loop: Header=BB300_1574 Depth=1
	v_and_b32_e32 v53, 0x7f, v6
	v_mov_b32_e32 v50, 0x7c010000
	s_mov_b32 s17, exec_lo
	s_delay_alu instid0(VALU_DEP_2)
	v_cmpx_ne_u32_e32 0x7f, v53
	s_cbranch_execz .LBB300_2956
; %bb.2953:                             ;   in Loop: Header=BB300_1574 Depth=1
	v_dual_lshrrev_b32 v51, 3, v53 :: v_dual_bitop2_b32 v50, 7, v6 bitop3:0x40
	s_mov_b32 s18, exec_lo
	v_cmpx_gt_u32_e32 8, v53
; %bb.2954:                             ;   in Loop: Header=BB300_1574 Depth=1
	s_delay_alu instid0(VALU_DEP_2) | instskip(NEXT) | instid1(VALU_DEP_1)
	v_clz_i32_u32_e32 v50, v50
	v_min_u32_e32 v53, 32, v50
	s_delay_alu instid0(VALU_DEP_1) | instskip(NEXT) | instid1(VALU_DEP_1)
	v_subrev_nc_u32_e32 v50, 28, v53
	v_lshlrev_b64_e32 v[50:51], v50, v[6:7]
	s_delay_alu instid0(VALU_DEP_1)
	v_dual_sub_nc_u32 v51, 29, v53 :: v_dual_bitop2_b32 v50, 7, v50 bitop3:0x40
; %bb.2955:                             ;   in Loop: Header=BB300_1574 Depth=1
	s_or_b32 exec_lo, exec_lo, s18
	v_lshlrev_b32_e32 v6, 8, v6
	s_delay_alu instid0(VALU_DEP_2) | instskip(NEXT) | instid1(VALU_DEP_3)
	v_lshl_add_u32 v51, v51, 10, 0x2000
	v_lshlrev_b32_e32 v50, 23, v50
	s_delay_alu instid0(VALU_DEP_2) | instskip(NEXT) | instid1(VALU_DEP_1)
	v_and_or_b32 v6, 0x8000, v6, v51
	v_lshl_or_b32 v50, v6, 16, v50
.LBB300_2956:                           ;   in Loop: Header=BB300_1574 Depth=1
	s_or_b32 exec_lo, exec_lo, s17
.LBB300_2957:                           ;   in Loop: Header=BB300_1574 Depth=1
	s_delay_alu instid0(SALU_CYCLE_1)
	s_or_b32 exec_lo, exec_lo, s16
.LBB300_2958:                           ;   in Loop: Header=BB300_1574 Depth=1
	s_delay_alu instid0(SALU_CYCLE_1) | instskip(SKIP_4) | instid1(VALU_DEP_4)
	s_or_b32 exec_lo, exec_lo, s9
	v_dual_lshrrev_b32 v6, 16, v1 :: v_dual_lshrrev_b32 v51, 16, v19
	v_or_b32_e32 v1, v1, v18
	v_or_b32_e32 v22, v19, v22
	;; [unrolled: 1-line block ×3, first 2 shown]
	v_cvt_f32_f16_e32 v19, v6
	v_cvt_f32_f16_e32 v18, v51
	v_dual_lshrrev_b32 v50, 16, v50 :: v_dual_bitop2_b32 v6, v50, v49 bitop3:0x54
	v_lshrrev_b32_e32 v49, 16, v52
	v_cvt_f32_f16_e32 v23, v1
	s_delay_alu instid0(VALU_DEP_3) | instskip(NEXT) | instid1(VALU_DEP_4)
	v_cvt_f32_f16_e32 v52, v6
	v_cvt_f32_f16_e32 v50, v50
	s_wait_loadcnt_dscnt 0x0
	v_pk_mul_f32 v[18:19], v[48:49], v[18:19] op_sel_hi:[0,1]
	v_cvt_f32_f16_e32 v51, v49
	s_delay_alu instid0(VALU_DEP_2) | instskip(NEXT) | instid1(VALU_DEP_2)
	v_cvt_pk_f16_f32 v1, v18, v19
	v_pk_mul_f32 v[18:19], v[48:49], v[50:51] op_sel_hi:[0,1]
	s_delay_alu instid0(VALU_DEP_2) | instskip(SKIP_2) | instid1(VALU_DEP_4)
	v_lshlrev_b32_e32 v50, 16, v1
	v_cvt_f32_f16_e32 v22, v22
	v_and_b32_e32 v51, 0xffff0000, v1
	v_cvt_pk_f16_f32 v18, v18, v19
	s_delay_alu instid0(VALU_DEP_3) | instskip(NEXT) | instid1(VALU_DEP_2)
	v_pk_mul_f32 v[22:23], v[48:49], v[22:23] op_sel_hi:[0,1]
	v_and_b32_e32 v19, 0xffff0000, v18
	s_delay_alu instid0(VALU_DEP_2) | instskip(NEXT) | instid1(VALU_DEP_1)
	v_cvt_pk_f16_f32 v6, v22, v23
	v_lshrrev_b32_e32 v65, 16, v6
	v_cvt_f32_f16_e32 v53, v53
	v_and_b32_e32 v64, 0xffff, v6
	s_delay_alu instid0(VALU_DEP_3) | instskip(NEXT) | instid1(VALU_DEP_3)
	v_or_b32_e32 v55, v51, v65
	v_pk_mul_f32 v[48:49], v[48:49], v[52:53] op_sel_hi:[0,1]
	s_delay_alu instid0(VALU_DEP_3) | instskip(NEXT) | instid1(VALU_DEP_2)
	v_or_b32_e32 v54, v50, v64
	v_cvt_pk_f16_f32 v1, v48, v49
	s_delay_alu instid0(VALU_DEP_1) | instskip(SKIP_1) | instid1(VALU_DEP_2)
	v_dual_lshlrev_b32 v6, 16, v18 :: v_dual_lshrrev_b32 v49, 16, v1
	v_and_b32_e32 v48, 0xffff, v1
	v_or_b32_e32 v53, v19, v49
	s_delay_alu instid0(VALU_DEP_2)
	v_or_b32_e32 v52, v6, v48
	s_and_saveexec_b32 s9, vcc_lo
	s_cbranch_execz .LBB300_2960
; %bb.2959:                             ;   in Loop: Header=BB300_1574 Depth=1
	v_cmp_lt_i32_e64 s0, v70, v13
	s_delay_alu instid0(VALU_DEP_1) | instskip(SKIP_1) | instid1(VALU_DEP_1)
	v_cndmask_b32_e64 v1, 0, v65, s0
	v_cmp_lt_i32_e64 s0, v86, v12
	v_cndmask_b32_e64 v18, 0, v64, s0
	v_cmp_lt_i32_e64 s0, v85, v13
	s_delay_alu instid0(VALU_DEP_1) | instskip(SKIP_1) | instid1(VALU_DEP_1)
	v_cndmask_b32_e64 v22, 0, v51, s0
	v_cmp_lt_i32_e64 s0, v84, v12
	v_cndmask_b32_e64 v23, 0, v50, s0
	v_cmp_lt_i32_e64 s0, v83, v13
	s_delay_alu instid0(VALU_DEP_4) | instskip(NEXT) | instid1(VALU_DEP_2)
	v_or_b32_e32 v55, v1, v22
	v_dual_cndmask_b32 v49, 0, v49, s0 :: v_dual_bitop2_b32 v54, v18, v23 bitop3:0x54
	v_cmp_lt_i32_e64 s0, v82, v12
	s_delay_alu instid0(VALU_DEP_1) | instskip(SKIP_1) | instid1(VALU_DEP_1)
	v_cndmask_b32_e64 v48, 0, v48, s0
	v_cmp_lt_i32_e64 s0, v81, v13
	v_cndmask_b32_e64 v19, 0, v19, s0
	v_cmp_lt_i32_e64 s0, v0, v12
	s_delay_alu instid0(VALU_DEP_1) | instskip(NEXT) | instid1(VALU_DEP_1)
	v_dual_cndmask_b32 v6, 0, v6, s0 :: v_dual_bitop2_b32 v53, v49, v19 bitop3:0x54
	v_or_b32_e32 v52, v48, v6
.LBB300_2960:                           ;   in Loop: Header=BB300_1574 Depth=1
	s_or_b32 exec_lo, exec_lo, s9
	;;#ASMSTART
	v_pk_mul_f16 v1, v98, v55;

	;;#ASMEND
	;;#ASMSTART
	v_pk_mul_f16 v6, v97, v54;

	;;#ASMEND
	;; [unrolled: 4-line block ×4, first 2 shown]
	;;#ASMSTART
	v_pk_add_f16 v1, v1, v6;

	;;#ASMEND
	;;#ASMSTART
	v_pk_add_f16 v1, v1, v18;

	;;#ASMEND
	;; [unrolled: 4-line block ×3, first 2 shown]
	v_and_b32_e32 v6, 0xffff, v1
	v_lshrrev_b32_e32 v1, 16, v1
	;;#ASMSTART
	v_cvt_f32_f16 v91, v6;
	;;#ASMEND
	;;#ASMSTART
	v_cvt_f32_f16 v92, v1;
	;;#ASMEND
	flat_load_b64 v[50:51], v[36:37] offset:5376
	scratch_load_b64 v[18:19], off, s32 offset:192 ; 8-byte Folded Reload
	v_mov_b32_e32 v1, 0
	s_mov_b32 s9, exec_lo
	s_wait_loadcnt_dscnt 0x100
	v_and_b32_e32 v6, 0xff, v50
	s_wait_loadcnt 0x0
	flat_load_b32 v48, v[18:19]
	s_wait_xcnt 0x0
	v_mov_b32_e32 v18, 0
	v_cmpx_ne_u16_e32 0, v6
	s_cbranch_execz .LBB300_2968
; %bb.2961:                             ;   in Loop: Header=BB300_1574 Depth=1
	v_mov_b32_e32 v18, 0x8000
	s_mov_b32 s16, exec_lo
	v_cmpx_ne_u16_e32 0x80, v6
	s_cbranch_execz .LBB300_2967
; %bb.2962:                             ;   in Loop: Header=BB300_1574 Depth=1
	v_and_b32_e32 v19, 0x7f, v50
	v_mov_b32_e32 v18, 0x7c01
	s_mov_b32 s17, exec_lo
	s_delay_alu instid0(VALU_DEP_2)
	v_cmpx_ne_u32_e32 0x7f, v19
	s_cbranch_execz .LBB300_2966
; %bb.2963:                             ;   in Loop: Header=BB300_1574 Depth=1
	v_dual_lshrrev_b32 v18, 3, v19 :: v_dual_bitop2_b32 v6, 7, v50 bitop3:0x40
	s_mov_b32 s18, exec_lo
	v_cmpx_gt_u32_e32 8, v19
; %bb.2964:                             ;   in Loop: Header=BB300_1574 Depth=1
	s_delay_alu instid0(VALU_DEP_2) | instskip(NEXT) | instid1(VALU_DEP_1)
	v_clz_i32_u32_e32 v6, v6
	v_min_u32_e32 v6, 32, v6
	s_delay_alu instid0(VALU_DEP_1) | instskip(NEXT) | instid1(VALU_DEP_1)
	v_subrev_nc_u32_e32 v18, 28, v6
	v_lshlrev_b64_e32 v[22:23], v18, v[50:51]
	v_sub_nc_u32_e32 v18, 29, v6
	s_delay_alu instid0(VALU_DEP_2)
	v_and_b32_e32 v6, 7, v22
; %bb.2965:                             ;   in Loop: Header=BB300_1574 Depth=1
	s_or_b32 exec_lo, exec_lo, s18
	v_lshlrev_b32_e32 v19, 8, v50
	s_delay_alu instid0(VALU_DEP_3) | instskip(NEXT) | instid1(VALU_DEP_3)
	v_lshl_add_u32 v18, v18, 10, 0x2000
	v_lshlrev_b32_e32 v6, 7, v6
	s_delay_alu instid0(VALU_DEP_3) | instskip(NEXT) | instid1(VALU_DEP_3)
	v_and_b32_e32 v19, 0x8000, v19
	v_and_b32_e32 v18, 0xfc00, v18
	s_delay_alu instid0(VALU_DEP_1)
	v_or3_b32 v18, v19, v18, v6
.LBB300_2966:                           ;   in Loop: Header=BB300_1574 Depth=1
	s_or_b32 exec_lo, exec_lo, s17
.LBB300_2967:                           ;   in Loop: Header=BB300_1574 Depth=1
	s_delay_alu instid0(SALU_CYCLE_1)
	s_or_b32 exec_lo, exec_lo, s16
.LBB300_2968:                           ;   in Loop: Header=BB300_1574 Depth=1
	s_delay_alu instid0(SALU_CYCLE_1) | instskip(SKIP_2) | instid1(VALU_DEP_1)
	s_or_b32 exec_lo, exec_lo, s9
	v_lshrrev_b16 v6, 8, v50
	s_mov_b32 s9, exec_lo
	v_cmpx_ne_u16_e32 0, v6
	s_cbranch_execz .LBB300_2976
; %bb.2969:                             ;   in Loop: Header=BB300_1574 Depth=1
	v_bfrev_b32_e32 v1, 1
	s_mov_b32 s16, exec_lo
	v_cmpx_ne_u16_e32 0x80, v6
	s_cbranch_execz .LBB300_2975
; %bb.2970:                             ;   in Loop: Header=BB300_1574 Depth=1
	v_and_b32_e32 v19, 0xffff, v6
	v_mov_b32_e32 v1, 0x7c010000
	s_mov_b32 s17, exec_lo
	s_delay_alu instid0(VALU_DEP_2) | instskip(NEXT) | instid1(VALU_DEP_1)
	v_and_b32_e32 v23, 0x7f, v19
	v_cmpx_ne_u32_e32 0x7f, v23
	s_cbranch_execz .LBB300_2974
; %bb.2971:                             ;   in Loop: Header=BB300_1574 Depth=1
	v_and_b32_e32 v1, 7, v19
	v_lshrrev_b32_e32 v22, 3, v23
	s_mov_b32 s18, exec_lo
	v_cmpx_gt_u32_e32 8, v23
; %bb.2972:                             ;   in Loop: Header=BB300_1574 Depth=1
	s_delay_alu instid0(VALU_DEP_3) | instskip(NEXT) | instid1(VALU_DEP_1)
	v_clz_i32_u32_e32 v1, v1
	v_min_u32_e32 v1, 32, v1
	s_delay_alu instid0(VALU_DEP_1) | instskip(NEXT) | instid1(VALU_DEP_1)
	v_subrev_nc_u32_e32 v22, 28, v1
	v_lshlrev_b64_e32 v[52:53], v22, v[6:7]
	s_delay_alu instid0(VALU_DEP_1)
	v_dual_sub_nc_u32 v22, 29, v1 :: v_dual_bitop2_b32 v1, 7, v52 bitop3:0x40
; %bb.2973:                             ;   in Loop: Header=BB300_1574 Depth=1
	s_or_b32 exec_lo, exec_lo, s18
	s_delay_alu instid0(VALU_DEP_1) | instskip(NEXT) | instid1(VALU_DEP_2)
	v_dual_lshlrev_b32 v6, 8, v19 :: v_dual_lshlrev_b32 v1, 23, v1
	v_lshl_add_u32 v19, v22, 10, 0x2000
	s_delay_alu instid0(VALU_DEP_1) | instskip(NEXT) | instid1(VALU_DEP_1)
	v_and_or_b32 v6, 0x8000, v6, v19
	v_lshl_or_b32 v1, v6, 16, v1
.LBB300_2974:                           ;   in Loop: Header=BB300_1574 Depth=1
	s_or_b32 exec_lo, exec_lo, s17
.LBB300_2975:                           ;   in Loop: Header=BB300_1574 Depth=1
	s_delay_alu instid0(SALU_CYCLE_1)
	s_or_b32 exec_lo, exec_lo, s16
.LBB300_2976:                           ;   in Loop: Header=BB300_1574 Depth=1
	s_delay_alu instid0(SALU_CYCLE_1) | instskip(SKIP_3) | instid1(VALU_DEP_2)
	s_or_b32 exec_lo, exec_lo, s9
	v_dual_mov_b32 v19, 0 :: v_dual_lshrrev_b32 v6, 16, v50
	v_mov_b32_e32 v22, 0
	s_mov_b32 s9, exec_lo
	v_and_b32_e32 v23, 0xff, v6
	s_delay_alu instid0(VALU_DEP_1)
	v_cmpx_ne_u16_e32 0, v23
	s_cbranch_execz .LBB300_2984
; %bb.2977:                             ;   in Loop: Header=BB300_1574 Depth=1
	v_mov_b32_e32 v22, 0x8000
	s_mov_b32 s16, exec_lo
	v_cmpx_ne_u16_e32 0x80, v23
	s_cbranch_execz .LBB300_2983
; %bb.2978:                             ;   in Loop: Header=BB300_1574 Depth=1
	v_bfe_u32 v49, v50, 16, 7
	v_mov_b32_e32 v22, 0x7c01
	s_mov_b32 s17, exec_lo
	s_delay_alu instid0(VALU_DEP_2)
	v_cmpx_ne_u32_e32 0x7f, v49
	s_cbranch_execz .LBB300_2982
; %bb.2979:                             ;   in Loop: Header=BB300_1574 Depth=1
	v_dual_lshrrev_b32 v23, 3, v49 :: v_dual_bitop2_b32 v22, 7, v6 bitop3:0x40
	s_mov_b32 s18, exec_lo
	v_cmpx_gt_u32_e32 8, v49
; %bb.2980:                             ;   in Loop: Header=BB300_1574 Depth=1
	s_delay_alu instid0(VALU_DEP_2) | instskip(NEXT) | instid1(VALU_DEP_1)
	v_clz_i32_u32_e32 v22, v22
	v_min_u32_e32 v49, 32, v22
	s_delay_alu instid0(VALU_DEP_1) | instskip(NEXT) | instid1(VALU_DEP_1)
	v_subrev_nc_u32_e32 v22, 28, v49
	v_lshlrev_b64_e32 v[22:23], v22, v[6:7]
	s_delay_alu instid0(VALU_DEP_1)
	v_dual_sub_nc_u32 v23, 29, v49 :: v_dual_bitop2_b32 v22, 7, v22 bitop3:0x40
; %bb.2981:                             ;   in Loop: Header=BB300_1574 Depth=1
	s_or_b32 exec_lo, exec_lo, s18
	v_lshlrev_b32_e32 v6, 8, v6
	s_delay_alu instid0(VALU_DEP_2) | instskip(NEXT) | instid1(VALU_DEP_3)
	v_lshl_add_u32 v23, v23, 10, 0x2000
	v_lshlrev_b32_e32 v22, 7, v22
	s_delay_alu instid0(VALU_DEP_3) | instskip(NEXT) | instid1(VALU_DEP_3)
	v_and_b32_e32 v6, 0x8000, v6
	v_and_b32_e32 v23, 0xfc00, v23
	s_delay_alu instid0(VALU_DEP_1)
	v_or3_b32 v22, v6, v23, v22
.LBB300_2982:                           ;   in Loop: Header=BB300_1574 Depth=1
	s_or_b32 exec_lo, exec_lo, s17
.LBB300_2983:                           ;   in Loop: Header=BB300_1574 Depth=1
	s_delay_alu instid0(SALU_CYCLE_1)
	s_or_b32 exec_lo, exec_lo, s16
.LBB300_2984:                           ;   in Loop: Header=BB300_1574 Depth=1
	s_delay_alu instid0(SALU_CYCLE_1) | instskip(NEXT) | instid1(SALU_CYCLE_1)
	s_or_b32 exec_lo, exec_lo, s9
	s_mov_b32 s9, exec_lo
	v_cmpx_lt_u32_e32 0xffffff, v50
	s_cbranch_execz .LBB300_2992
; %bb.2985:                             ;   in Loop: Header=BB300_1574 Depth=1
	v_lshrrev_b32_e32 v6, 24, v50
	v_bfrev_b32_e32 v19, 1
	s_mov_b32 s16, exec_lo
	s_delay_alu instid0(VALU_DEP_2)
	v_cmpx_ne_u32_e32 0x80, v6
	s_cbranch_execz .LBB300_2991
; %bb.2986:                             ;   in Loop: Header=BB300_1574 Depth=1
	v_and_b32_e32 v49, 0x7f, v6
	v_mov_b32_e32 v19, 0x7c010000
	s_mov_b32 s17, exec_lo
	s_delay_alu instid0(VALU_DEP_2)
	v_cmpx_ne_u32_e32 0x7f, v49
	s_cbranch_execz .LBB300_2990
; %bb.2987:                             ;   in Loop: Header=BB300_1574 Depth=1
	v_dual_lshrrev_b32 v23, 3, v49 :: v_dual_bitop2_b32 v19, 7, v6 bitop3:0x40
	s_mov_b32 s18, exec_lo
	v_cmpx_gt_u32_e32 8, v49
; %bb.2988:                             ;   in Loop: Header=BB300_1574 Depth=1
	s_delay_alu instid0(VALU_DEP_2) | instskip(NEXT) | instid1(VALU_DEP_1)
	v_clz_i32_u32_e32 v19, v19
	v_min_u32_e32 v19, 32, v19
	s_delay_alu instid0(VALU_DEP_1) | instskip(NEXT) | instid1(VALU_DEP_1)
	v_subrev_nc_u32_e32 v23, 28, v19
	v_lshlrev_b64_e32 v[52:53], v23, v[6:7]
	s_delay_alu instid0(VALU_DEP_1)
	v_dual_sub_nc_u32 v23, 29, v19 :: v_dual_bitop2_b32 v19, 7, v52 bitop3:0x40
; %bb.2989:                             ;   in Loop: Header=BB300_1574 Depth=1
	s_or_b32 exec_lo, exec_lo, s18
	s_delay_alu instid0(VALU_DEP_1) | instskip(NEXT) | instid1(VALU_DEP_2)
	v_dual_lshlrev_b32 v6, 8, v6 :: v_dual_lshlrev_b32 v19, 23, v19
	v_lshl_add_u32 v23, v23, 10, 0x2000
	s_delay_alu instid0(VALU_DEP_1) | instskip(NEXT) | instid1(VALU_DEP_1)
	v_and_or_b32 v6, 0x8000, v6, v23
	v_lshl_or_b32 v19, v6, 16, v19
.LBB300_2990:                           ;   in Loop: Header=BB300_1574 Depth=1
	s_or_b32 exec_lo, exec_lo, s17
.LBB300_2991:                           ;   in Loop: Header=BB300_1574 Depth=1
	s_delay_alu instid0(SALU_CYCLE_1)
	s_or_b32 exec_lo, exec_lo, s16
.LBB300_2992:                           ;   in Loop: Header=BB300_1574 Depth=1
	s_delay_alu instid0(SALU_CYCLE_1) | instskip(SKIP_4) | instid1(VALU_DEP_3)
	s_or_b32 exec_lo, exec_lo, s9
	v_and_b32_e32 v52, 0xff, v51
	v_dual_mov_b32 v6, v51 :: v_dual_mov_b32 v49, 0
	v_mov_b32_e32 v23, 0
	s_mov_b32 s9, exec_lo
	v_cmpx_ne_u16_e32 0, v52
	s_cbranch_execz .LBB300_3000
; %bb.2993:                             ;   in Loop: Header=BB300_1574 Depth=1
	v_mov_b32_e32 v23, 0x8000
	s_mov_b32 s16, exec_lo
	v_cmpx_ne_u16_e32 0x80, v52
	s_cbranch_execz .LBB300_2999
; %bb.2994:                             ;   in Loop: Header=BB300_1574 Depth=1
	v_and_b32_e32 v53, 0x7f, v51
	v_mov_b32_e32 v23, 0x7c01
	s_mov_b32 s17, exec_lo
	s_delay_alu instid0(VALU_DEP_2)
	v_cmpx_ne_u32_e32 0x7f, v53
	s_cbranch_execz .LBB300_2998
; %bb.2995:                             ;   in Loop: Header=BB300_1574 Depth=1
	v_dual_lshrrev_b32 v52, 3, v53 :: v_dual_bitop2_b32 v23, 7, v51 bitop3:0x40
	s_mov_b32 s18, exec_lo
	v_cmpx_gt_u32_e32 8, v53
; %bb.2996:                             ;   in Loop: Header=BB300_1574 Depth=1
	s_delay_alu instid0(VALU_DEP_2) | instskip(NEXT) | instid1(VALU_DEP_1)
	v_clz_i32_u32_e32 v23, v23
	v_min_u32_e32 v23, 32, v23
	s_delay_alu instid0(VALU_DEP_1) | instskip(NEXT) | instid1(VALU_DEP_1)
	v_subrev_nc_u32_e32 v52, 28, v23
	v_lshlrev_b64_e32 v[54:55], v52, v[6:7]
	s_delay_alu instid0(VALU_DEP_1)
	v_dual_sub_nc_u32 v52, 29, v23 :: v_dual_bitop2_b32 v23, 7, v54 bitop3:0x40
; %bb.2997:                             ;   in Loop: Header=BB300_1574 Depth=1
	s_or_b32 exec_lo, exec_lo, s18
	v_lshlrev_b32_e32 v53, 8, v51
	s_delay_alu instid0(VALU_DEP_2) | instskip(NEXT) | instid1(VALU_DEP_3)
	v_lshl_add_u32 v52, v52, 10, 0x2000
	v_lshlrev_b32_e32 v23, 7, v23
	s_delay_alu instid0(VALU_DEP_3) | instskip(NEXT) | instid1(VALU_DEP_3)
	v_and_b32_e32 v53, 0x8000, v53
	v_and_b32_e32 v52, 0xfc00, v52
	s_delay_alu instid0(VALU_DEP_1)
	v_or3_b32 v23, v53, v52, v23
.LBB300_2998:                           ;   in Loop: Header=BB300_1574 Depth=1
	s_or_b32 exec_lo, exec_lo, s17
.LBB300_2999:                           ;   in Loop: Header=BB300_1574 Depth=1
	s_delay_alu instid0(SALU_CYCLE_1)
	s_or_b32 exec_lo, exec_lo, s16
.LBB300_3000:                           ;   in Loop: Header=BB300_1574 Depth=1
	s_delay_alu instid0(SALU_CYCLE_1) | instskip(SKIP_3) | instid1(VALU_DEP_2)
	s_or_b32 exec_lo, exec_lo, s9
	v_lshrrev_b16 v6, 8, v6
	v_mov_b32_e32 v52, 0
	s_mov_b32 s9, exec_lo
	v_cmpx_ne_u16_e32 0, v6
	s_cbranch_execz .LBB300_3008
; %bb.3001:                             ;   in Loop: Header=BB300_1574 Depth=1
	v_bfrev_b32_e32 v52, 1
	s_mov_b32 s16, exec_lo
	v_cmpx_ne_u16_e32 0x80, v6
	s_cbranch_execz .LBB300_3007
; %bb.3002:                             ;   in Loop: Header=BB300_1574 Depth=1
	v_and_b32_e32 v53, 0xffff, v6
	v_mov_b32_e32 v52, 0x7c010000
	s_mov_b32 s17, exec_lo
	s_delay_alu instid0(VALU_DEP_2) | instskip(NEXT) | instid1(VALU_DEP_1)
	v_and_b32_e32 v55, 0x7f, v53
	v_cmpx_ne_u32_e32 0x7f, v55
	s_cbranch_execz .LBB300_3006
; %bb.3003:                             ;   in Loop: Header=BB300_1574 Depth=1
	v_dual_lshrrev_b32 v54, 3, v55 :: v_dual_bitop2_b32 v52, 7, v53 bitop3:0x40
	s_mov_b32 s18, exec_lo
	v_cmpx_gt_u32_e32 8, v55
; %bb.3004:                             ;   in Loop: Header=BB300_1574 Depth=1
	s_delay_alu instid0(VALU_DEP_2) | instskip(NEXT) | instid1(VALU_DEP_1)
	v_clz_i32_u32_e32 v52, v52
	v_min_u32_e32 v52, 32, v52
	s_delay_alu instid0(VALU_DEP_1) | instskip(NEXT) | instid1(VALU_DEP_1)
	v_subrev_nc_u32_e32 v54, 28, v52
	v_lshlrev_b64_e32 v[64:65], v54, v[6:7]
	v_sub_nc_u32_e32 v54, 29, v52
	s_delay_alu instid0(VALU_DEP_2)
	v_and_b32_e32 v52, 7, v64
; %bb.3005:                             ;   in Loop: Header=BB300_1574 Depth=1
	s_or_b32 exec_lo, exec_lo, s18
	s_delay_alu instid0(VALU_DEP_1) | instskip(NEXT) | instid1(VALU_DEP_3)
	v_dual_lshlrev_b32 v6, 8, v53 :: v_dual_lshlrev_b32 v52, 23, v52
	v_lshl_add_u32 v53, v54, 10, 0x2000
	s_delay_alu instid0(VALU_DEP_1) | instskip(NEXT) | instid1(VALU_DEP_1)
	v_and_or_b32 v6, 0x8000, v6, v53
	v_lshl_or_b32 v52, v6, 16, v52
.LBB300_3006:                           ;   in Loop: Header=BB300_1574 Depth=1
	s_or_b32 exec_lo, exec_lo, s17
.LBB300_3007:                           ;   in Loop: Header=BB300_1574 Depth=1
	s_delay_alu instid0(SALU_CYCLE_1)
	s_or_b32 exec_lo, exec_lo, s16
.LBB300_3008:                           ;   in Loop: Header=BB300_1574 Depth=1
	s_delay_alu instid0(SALU_CYCLE_1) | instskip(SKIP_2) | instid1(VALU_DEP_1)
	s_or_b32 exec_lo, exec_lo, s9
	v_lshrrev_b32_e32 v6, 16, v51
	s_mov_b32 s9, exec_lo
	v_and_b32_e32 v53, 0xff, v6
	s_delay_alu instid0(VALU_DEP_1)
	v_cmpx_ne_u16_e32 0, v53
	s_cbranch_execz .LBB300_3016
; %bb.3009:                             ;   in Loop: Header=BB300_1574 Depth=1
	v_mov_b32_e32 v49, 0x8000
	s_mov_b32 s16, exec_lo
	v_cmpx_ne_u16_e32 0x80, v53
	s_cbranch_execz .LBB300_3015
; %bb.3010:                             ;   in Loop: Header=BB300_1574 Depth=1
	v_bfe_u32 v54, v51, 16, 7
	v_mov_b32_e32 v49, 0x7c01
	s_mov_b32 s17, exec_lo
	s_delay_alu instid0(VALU_DEP_2)
	v_cmpx_ne_u32_e32 0x7f, v54
	s_cbranch_execz .LBB300_3014
; %bb.3011:                             ;   in Loop: Header=BB300_1574 Depth=1
	v_and_b32_e32 v49, 7, v6
	v_lshrrev_b32_e32 v53, 3, v54
	s_mov_b32 s18, exec_lo
	v_cmpx_gt_u32_e32 8, v54
; %bb.3012:                             ;   in Loop: Header=BB300_1574 Depth=1
	s_delay_alu instid0(VALU_DEP_3) | instskip(NEXT) | instid1(VALU_DEP_1)
	v_clz_i32_u32_e32 v49, v49
	v_min_u32_e32 v49, 32, v49
	s_delay_alu instid0(VALU_DEP_1) | instskip(NEXT) | instid1(VALU_DEP_1)
	v_subrev_nc_u32_e32 v53, 28, v49
	v_lshlrev_b64_e32 v[54:55], v53, v[6:7]
	s_delay_alu instid0(VALU_DEP_1)
	v_dual_sub_nc_u32 v53, 29, v49 :: v_dual_bitop2_b32 v49, 7, v54 bitop3:0x40
; %bb.3013:                             ;   in Loop: Header=BB300_1574 Depth=1
	s_or_b32 exec_lo, exec_lo, s18
	s_delay_alu instid0(VALU_DEP_1) | instskip(NEXT) | instid1(VALU_DEP_2)
	v_dual_lshlrev_b32 v6, 8, v6 :: v_dual_lshlrev_b32 v49, 7, v49
	v_lshl_add_u32 v53, v53, 10, 0x2000
	s_delay_alu instid0(VALU_DEP_2) | instskip(NEXT) | instid1(VALU_DEP_2)
	v_and_b32_e32 v6, 0x8000, v6
	v_and_b32_e32 v53, 0xfc00, v53
	s_delay_alu instid0(VALU_DEP_1)
	v_or3_b32 v49, v6, v53, v49
.LBB300_3014:                           ;   in Loop: Header=BB300_1574 Depth=1
	s_or_b32 exec_lo, exec_lo, s17
.LBB300_3015:                           ;   in Loop: Header=BB300_1574 Depth=1
	s_delay_alu instid0(SALU_CYCLE_1)
	s_or_b32 exec_lo, exec_lo, s16
.LBB300_3016:                           ;   in Loop: Header=BB300_1574 Depth=1
	s_delay_alu instid0(SALU_CYCLE_1)
	s_or_b32 exec_lo, exec_lo, s9
	v_cmp_lt_u64_e64 s0, s[2:3], v[50:51]
	v_mov_b32_e32 v50, 0
	s_and_saveexec_b32 s9, s0
	s_cbranch_execz .LBB300_3024
; %bb.3017:                             ;   in Loop: Header=BB300_1574 Depth=1
	v_lshrrev_b32_e32 v6, 24, v51
	v_bfrev_b32_e32 v50, 1
	s_mov_b32 s16, exec_lo
	s_delay_alu instid0(VALU_DEP_2)
	v_cmpx_ne_u32_e32 0x80, v6
	s_cbranch_execz .LBB300_3023
; %bb.3018:                             ;   in Loop: Header=BB300_1574 Depth=1
	v_and_b32_e32 v53, 0x7f, v6
	v_mov_b32_e32 v50, 0x7c010000
	s_mov_b32 s17, exec_lo
	s_delay_alu instid0(VALU_DEP_2)
	v_cmpx_ne_u32_e32 0x7f, v53
	s_cbranch_execz .LBB300_3022
; %bb.3019:                             ;   in Loop: Header=BB300_1574 Depth=1
	v_dual_lshrrev_b32 v51, 3, v53 :: v_dual_bitop2_b32 v50, 7, v6 bitop3:0x40
	s_mov_b32 s18, exec_lo
	v_cmpx_gt_u32_e32 8, v53
; %bb.3020:                             ;   in Loop: Header=BB300_1574 Depth=1
	s_delay_alu instid0(VALU_DEP_2) | instskip(NEXT) | instid1(VALU_DEP_1)
	v_clz_i32_u32_e32 v50, v50
	v_min_u32_e32 v53, 32, v50
	s_delay_alu instid0(VALU_DEP_1) | instskip(NEXT) | instid1(VALU_DEP_1)
	v_subrev_nc_u32_e32 v50, 28, v53
	v_lshlrev_b64_e32 v[50:51], v50, v[6:7]
	s_delay_alu instid0(VALU_DEP_1)
	v_dual_sub_nc_u32 v51, 29, v53 :: v_dual_bitop2_b32 v50, 7, v50 bitop3:0x40
; %bb.3021:                             ;   in Loop: Header=BB300_1574 Depth=1
	s_or_b32 exec_lo, exec_lo, s18
	v_lshlrev_b32_e32 v6, 8, v6
	s_delay_alu instid0(VALU_DEP_2) | instskip(NEXT) | instid1(VALU_DEP_3)
	v_lshl_add_u32 v51, v51, 10, 0x2000
	v_lshlrev_b32_e32 v50, 23, v50
	s_delay_alu instid0(VALU_DEP_2) | instskip(NEXT) | instid1(VALU_DEP_1)
	v_and_or_b32 v6, 0x8000, v6, v51
	v_lshl_or_b32 v50, v6, 16, v50
.LBB300_3022:                           ;   in Loop: Header=BB300_1574 Depth=1
	s_or_b32 exec_lo, exec_lo, s17
.LBB300_3023:                           ;   in Loop: Header=BB300_1574 Depth=1
	s_delay_alu instid0(SALU_CYCLE_1)
	s_or_b32 exec_lo, exec_lo, s16
.LBB300_3024:                           ;   in Loop: Header=BB300_1574 Depth=1
	s_delay_alu instid0(SALU_CYCLE_1) | instskip(SKIP_4) | instid1(VALU_DEP_4)
	s_or_b32 exec_lo, exec_lo, s9
	v_dual_lshrrev_b32 v6, 16, v1 :: v_dual_lshrrev_b32 v51, 16, v19
	v_or_b32_e32 v1, v1, v18
	v_or_b32_e32 v22, v19, v22
	;; [unrolled: 1-line block ×3, first 2 shown]
	v_cvt_f32_f16_e32 v19, v6
	v_cvt_f32_f16_e32 v18, v51
	v_dual_lshrrev_b32 v50, 16, v50 :: v_dual_bitop2_b32 v6, v50, v49 bitop3:0x54
	v_lshrrev_b32_e32 v49, 16, v52
	v_cvt_f32_f16_e32 v23, v1
	s_delay_alu instid0(VALU_DEP_3) | instskip(NEXT) | instid1(VALU_DEP_4)
	v_cvt_f32_f16_e32 v52, v6
	v_cvt_f32_f16_e32 v50, v50
	s_wait_loadcnt_dscnt 0x0
	v_pk_mul_f32 v[18:19], v[48:49], v[18:19] op_sel_hi:[0,1]
	v_cvt_f32_f16_e32 v51, v49
	s_delay_alu instid0(VALU_DEP_2) | instskip(NEXT) | instid1(VALU_DEP_2)
	v_cvt_pk_f16_f32 v1, v18, v19
	v_pk_mul_f32 v[18:19], v[48:49], v[50:51] op_sel_hi:[0,1]
	s_delay_alu instid0(VALU_DEP_2) | instskip(SKIP_2) | instid1(VALU_DEP_4)
	v_lshlrev_b32_e32 v50, 16, v1
	v_cvt_f32_f16_e32 v22, v22
	v_and_b32_e32 v51, 0xffff0000, v1
	v_cvt_pk_f16_f32 v18, v18, v19
	s_delay_alu instid0(VALU_DEP_3) | instskip(NEXT) | instid1(VALU_DEP_2)
	v_pk_mul_f32 v[22:23], v[48:49], v[22:23] op_sel_hi:[0,1]
	v_and_b32_e32 v19, 0xffff0000, v18
	s_delay_alu instid0(VALU_DEP_2) | instskip(NEXT) | instid1(VALU_DEP_1)
	v_cvt_pk_f16_f32 v6, v22, v23
	v_lshrrev_b32_e32 v65, 16, v6
	v_cvt_f32_f16_e32 v53, v53
	v_and_b32_e32 v64, 0xffff, v6
	s_delay_alu instid0(VALU_DEP_3) | instskip(NEXT) | instid1(VALU_DEP_3)
	v_or_b32_e32 v55, v51, v65
	v_pk_mul_f32 v[48:49], v[48:49], v[52:53] op_sel_hi:[0,1]
	s_delay_alu instid0(VALU_DEP_3) | instskip(NEXT) | instid1(VALU_DEP_2)
	v_or_b32_e32 v54, v50, v64
	v_cvt_pk_f16_f32 v1, v48, v49
	s_delay_alu instid0(VALU_DEP_1) | instskip(SKIP_1) | instid1(VALU_DEP_2)
	v_dual_lshlrev_b32 v6, 16, v18 :: v_dual_lshrrev_b32 v49, 16, v1
	v_and_b32_e32 v48, 0xffff, v1
	v_or_b32_e32 v53, v19, v49
	s_delay_alu instid0(VALU_DEP_2)
	v_or_b32_e32 v52, v6, v48
	s_and_saveexec_b32 s9, vcc_lo
	s_cbranch_execz .LBB300_3026
; %bb.3025:                             ;   in Loop: Header=BB300_1574 Depth=1
	v_cmp_lt_i32_e64 s0, v70, v13
	s_delay_alu instid0(VALU_DEP_1) | instskip(SKIP_1) | instid1(VALU_DEP_1)
	v_cndmask_b32_e64 v1, 0, v65, s0
	v_cmp_lt_i32_e64 s0, v86, v12
	v_cndmask_b32_e64 v18, 0, v64, s0
	v_cmp_lt_i32_e64 s0, v85, v13
	s_delay_alu instid0(VALU_DEP_1) | instskip(SKIP_1) | instid1(VALU_DEP_1)
	v_cndmask_b32_e64 v22, 0, v51, s0
	v_cmp_lt_i32_e64 s0, v84, v12
	v_cndmask_b32_e64 v23, 0, v50, s0
	v_cmp_lt_i32_e64 s0, v83, v13
	s_delay_alu instid0(VALU_DEP_4) | instskip(NEXT) | instid1(VALU_DEP_2)
	v_or_b32_e32 v55, v1, v22
	v_dual_cndmask_b32 v49, 0, v49, s0 :: v_dual_bitop2_b32 v54, v18, v23 bitop3:0x54
	v_cmp_lt_i32_e64 s0, v82, v12
	s_delay_alu instid0(VALU_DEP_1) | instskip(SKIP_1) | instid1(VALU_DEP_1)
	v_cndmask_b32_e64 v48, 0, v48, s0
	v_cmp_lt_i32_e64 s0, v81, v13
	v_cndmask_b32_e64 v19, 0, v19, s0
	v_cmp_lt_i32_e64 s0, v0, v12
	s_delay_alu instid0(VALU_DEP_1) | instskip(NEXT) | instid1(VALU_DEP_1)
	v_dual_cndmask_b32 v6, 0, v6, s0 :: v_dual_bitop2_b32 v53, v49, v19 bitop3:0x54
	v_or_b32_e32 v52, v48, v6
.LBB300_3026:                           ;   in Loop: Header=BB300_1574 Depth=1
	s_or_b32 exec_lo, exec_lo, s9
	;;#ASMSTART
	v_pk_mul_f16 v1, v98, v55;

	;;#ASMEND
	;;#ASMSTART
	v_pk_mul_f16 v6, v97, v54;

	;;#ASMEND
	;; [unrolled: 4-line block ×4, first 2 shown]
	;;#ASMSTART
	v_pk_add_f16 v1, v1, v6;

	;;#ASMEND
	;;#ASMSTART
	v_pk_add_f16 v1, v1, v18;

	;;#ASMEND
	;; [unrolled: 4-line block ×3, first 2 shown]
	v_and_b32_e32 v6, 0xffff, v1
	v_lshrrev_b32_e32 v1, 16, v1
	;;#ASMSTART
	v_cvt_f32_f16 v93, v6;
	;;#ASMEND
	;;#ASMSTART
	v_cvt_f32_f16 v94, v1;
	;;#ASMEND
	flat_load_b64 v[50:51], v[36:37] offset:5632
	scratch_load_b64 v[18:19], off, s32 offset:192 ; 8-byte Folded Reload
	v_mov_b32_e32 v1, 0
	s_mov_b32 s9, exec_lo
	s_wait_loadcnt_dscnt 0x100
	v_and_b32_e32 v6, 0xff, v50
	s_wait_loadcnt 0x0
	flat_load_b32 v48, v[18:19]
	s_wait_xcnt 0x0
	v_mov_b32_e32 v18, 0
	v_cmpx_ne_u16_e32 0, v6
	s_cbranch_execz .LBB300_3034
; %bb.3027:                             ;   in Loop: Header=BB300_1574 Depth=1
	v_mov_b32_e32 v18, 0x8000
	s_mov_b32 s16, exec_lo
	v_cmpx_ne_u16_e32 0x80, v6
	s_cbranch_execz .LBB300_3033
; %bb.3028:                             ;   in Loop: Header=BB300_1574 Depth=1
	v_and_b32_e32 v19, 0x7f, v50
	v_mov_b32_e32 v18, 0x7c01
	s_mov_b32 s17, exec_lo
	s_delay_alu instid0(VALU_DEP_2)
	v_cmpx_ne_u32_e32 0x7f, v19
	s_cbranch_execz .LBB300_3032
; %bb.3029:                             ;   in Loop: Header=BB300_1574 Depth=1
	v_dual_lshrrev_b32 v18, 3, v19 :: v_dual_bitop2_b32 v6, 7, v50 bitop3:0x40
	s_mov_b32 s18, exec_lo
	v_cmpx_gt_u32_e32 8, v19
; %bb.3030:                             ;   in Loop: Header=BB300_1574 Depth=1
	s_delay_alu instid0(VALU_DEP_2) | instskip(NEXT) | instid1(VALU_DEP_1)
	v_clz_i32_u32_e32 v6, v6
	v_min_u32_e32 v6, 32, v6
	s_delay_alu instid0(VALU_DEP_1) | instskip(NEXT) | instid1(VALU_DEP_1)
	v_subrev_nc_u32_e32 v18, 28, v6
	v_lshlrev_b64_e32 v[22:23], v18, v[50:51]
	v_sub_nc_u32_e32 v18, 29, v6
	s_delay_alu instid0(VALU_DEP_2)
	v_and_b32_e32 v6, 7, v22
; %bb.3031:                             ;   in Loop: Header=BB300_1574 Depth=1
	s_or_b32 exec_lo, exec_lo, s18
	v_lshlrev_b32_e32 v19, 8, v50
	s_delay_alu instid0(VALU_DEP_3) | instskip(NEXT) | instid1(VALU_DEP_3)
	v_lshl_add_u32 v18, v18, 10, 0x2000
	v_lshlrev_b32_e32 v6, 7, v6
	s_delay_alu instid0(VALU_DEP_3) | instskip(NEXT) | instid1(VALU_DEP_3)
	v_and_b32_e32 v19, 0x8000, v19
	v_and_b32_e32 v18, 0xfc00, v18
	s_delay_alu instid0(VALU_DEP_1)
	v_or3_b32 v18, v19, v18, v6
.LBB300_3032:                           ;   in Loop: Header=BB300_1574 Depth=1
	s_or_b32 exec_lo, exec_lo, s17
.LBB300_3033:                           ;   in Loop: Header=BB300_1574 Depth=1
	s_delay_alu instid0(SALU_CYCLE_1)
	s_or_b32 exec_lo, exec_lo, s16
.LBB300_3034:                           ;   in Loop: Header=BB300_1574 Depth=1
	s_delay_alu instid0(SALU_CYCLE_1) | instskip(SKIP_2) | instid1(VALU_DEP_1)
	s_or_b32 exec_lo, exec_lo, s9
	v_lshrrev_b16 v6, 8, v50
	s_mov_b32 s9, exec_lo
	v_cmpx_ne_u16_e32 0, v6
	s_cbranch_execz .LBB300_3042
; %bb.3035:                             ;   in Loop: Header=BB300_1574 Depth=1
	v_bfrev_b32_e32 v1, 1
	s_mov_b32 s16, exec_lo
	v_cmpx_ne_u16_e32 0x80, v6
	s_cbranch_execz .LBB300_3041
; %bb.3036:                             ;   in Loop: Header=BB300_1574 Depth=1
	v_and_b32_e32 v19, 0xffff, v6
	v_mov_b32_e32 v1, 0x7c010000
	s_mov_b32 s17, exec_lo
	s_delay_alu instid0(VALU_DEP_2) | instskip(NEXT) | instid1(VALU_DEP_1)
	v_and_b32_e32 v23, 0x7f, v19
	v_cmpx_ne_u32_e32 0x7f, v23
	s_cbranch_execz .LBB300_3040
; %bb.3037:                             ;   in Loop: Header=BB300_1574 Depth=1
	v_and_b32_e32 v1, 7, v19
	v_lshrrev_b32_e32 v22, 3, v23
	s_mov_b32 s18, exec_lo
	v_cmpx_gt_u32_e32 8, v23
; %bb.3038:                             ;   in Loop: Header=BB300_1574 Depth=1
	s_delay_alu instid0(VALU_DEP_3) | instskip(NEXT) | instid1(VALU_DEP_1)
	v_clz_i32_u32_e32 v1, v1
	v_min_u32_e32 v1, 32, v1
	s_delay_alu instid0(VALU_DEP_1) | instskip(NEXT) | instid1(VALU_DEP_1)
	v_subrev_nc_u32_e32 v22, 28, v1
	v_lshlrev_b64_e32 v[52:53], v22, v[6:7]
	s_delay_alu instid0(VALU_DEP_1)
	v_dual_sub_nc_u32 v22, 29, v1 :: v_dual_bitop2_b32 v1, 7, v52 bitop3:0x40
; %bb.3039:                             ;   in Loop: Header=BB300_1574 Depth=1
	s_or_b32 exec_lo, exec_lo, s18
	s_delay_alu instid0(VALU_DEP_1) | instskip(NEXT) | instid1(VALU_DEP_2)
	v_dual_lshlrev_b32 v6, 8, v19 :: v_dual_lshlrev_b32 v1, 23, v1
	v_lshl_add_u32 v19, v22, 10, 0x2000
	s_delay_alu instid0(VALU_DEP_1) | instskip(NEXT) | instid1(VALU_DEP_1)
	v_and_or_b32 v6, 0x8000, v6, v19
	v_lshl_or_b32 v1, v6, 16, v1
.LBB300_3040:                           ;   in Loop: Header=BB300_1574 Depth=1
	s_or_b32 exec_lo, exec_lo, s17
.LBB300_3041:                           ;   in Loop: Header=BB300_1574 Depth=1
	s_delay_alu instid0(SALU_CYCLE_1)
	s_or_b32 exec_lo, exec_lo, s16
.LBB300_3042:                           ;   in Loop: Header=BB300_1574 Depth=1
	s_delay_alu instid0(SALU_CYCLE_1) | instskip(SKIP_3) | instid1(VALU_DEP_2)
	s_or_b32 exec_lo, exec_lo, s9
	v_dual_mov_b32 v19, 0 :: v_dual_lshrrev_b32 v6, 16, v50
	v_mov_b32_e32 v22, 0
	s_mov_b32 s9, exec_lo
	v_and_b32_e32 v23, 0xff, v6
	s_delay_alu instid0(VALU_DEP_1)
	v_cmpx_ne_u16_e32 0, v23
	s_cbranch_execz .LBB300_3050
; %bb.3043:                             ;   in Loop: Header=BB300_1574 Depth=1
	v_mov_b32_e32 v22, 0x8000
	s_mov_b32 s16, exec_lo
	v_cmpx_ne_u16_e32 0x80, v23
	s_cbranch_execz .LBB300_3049
; %bb.3044:                             ;   in Loop: Header=BB300_1574 Depth=1
	v_bfe_u32 v49, v50, 16, 7
	v_mov_b32_e32 v22, 0x7c01
	s_mov_b32 s17, exec_lo
	s_delay_alu instid0(VALU_DEP_2)
	v_cmpx_ne_u32_e32 0x7f, v49
	s_cbranch_execz .LBB300_3048
; %bb.3045:                             ;   in Loop: Header=BB300_1574 Depth=1
	v_dual_lshrrev_b32 v23, 3, v49 :: v_dual_bitop2_b32 v22, 7, v6 bitop3:0x40
	s_mov_b32 s18, exec_lo
	v_cmpx_gt_u32_e32 8, v49
; %bb.3046:                             ;   in Loop: Header=BB300_1574 Depth=1
	s_delay_alu instid0(VALU_DEP_2) | instskip(NEXT) | instid1(VALU_DEP_1)
	v_clz_i32_u32_e32 v22, v22
	v_min_u32_e32 v49, 32, v22
	s_delay_alu instid0(VALU_DEP_1) | instskip(NEXT) | instid1(VALU_DEP_1)
	v_subrev_nc_u32_e32 v22, 28, v49
	v_lshlrev_b64_e32 v[22:23], v22, v[6:7]
	s_delay_alu instid0(VALU_DEP_1)
	v_dual_sub_nc_u32 v23, 29, v49 :: v_dual_bitop2_b32 v22, 7, v22 bitop3:0x40
; %bb.3047:                             ;   in Loop: Header=BB300_1574 Depth=1
	s_or_b32 exec_lo, exec_lo, s18
	v_lshlrev_b32_e32 v6, 8, v6
	s_delay_alu instid0(VALU_DEP_2) | instskip(NEXT) | instid1(VALU_DEP_3)
	v_lshl_add_u32 v23, v23, 10, 0x2000
	v_lshlrev_b32_e32 v22, 7, v22
	s_delay_alu instid0(VALU_DEP_3) | instskip(NEXT) | instid1(VALU_DEP_3)
	v_and_b32_e32 v6, 0x8000, v6
	v_and_b32_e32 v23, 0xfc00, v23
	s_delay_alu instid0(VALU_DEP_1)
	v_or3_b32 v22, v6, v23, v22
.LBB300_3048:                           ;   in Loop: Header=BB300_1574 Depth=1
	s_or_b32 exec_lo, exec_lo, s17
.LBB300_3049:                           ;   in Loop: Header=BB300_1574 Depth=1
	s_delay_alu instid0(SALU_CYCLE_1)
	s_or_b32 exec_lo, exec_lo, s16
.LBB300_3050:                           ;   in Loop: Header=BB300_1574 Depth=1
	s_delay_alu instid0(SALU_CYCLE_1) | instskip(NEXT) | instid1(SALU_CYCLE_1)
	s_or_b32 exec_lo, exec_lo, s9
	s_mov_b32 s9, exec_lo
	v_cmpx_lt_u32_e32 0xffffff, v50
	s_cbranch_execz .LBB300_3058
; %bb.3051:                             ;   in Loop: Header=BB300_1574 Depth=1
	v_lshrrev_b32_e32 v6, 24, v50
	v_bfrev_b32_e32 v19, 1
	s_mov_b32 s16, exec_lo
	s_delay_alu instid0(VALU_DEP_2)
	v_cmpx_ne_u32_e32 0x80, v6
	s_cbranch_execz .LBB300_3057
; %bb.3052:                             ;   in Loop: Header=BB300_1574 Depth=1
	v_and_b32_e32 v49, 0x7f, v6
	v_mov_b32_e32 v19, 0x7c010000
	s_mov_b32 s17, exec_lo
	s_delay_alu instid0(VALU_DEP_2)
	v_cmpx_ne_u32_e32 0x7f, v49
	s_cbranch_execz .LBB300_3056
; %bb.3053:                             ;   in Loop: Header=BB300_1574 Depth=1
	v_dual_lshrrev_b32 v23, 3, v49 :: v_dual_bitop2_b32 v19, 7, v6 bitop3:0x40
	s_mov_b32 s18, exec_lo
	v_cmpx_gt_u32_e32 8, v49
; %bb.3054:                             ;   in Loop: Header=BB300_1574 Depth=1
	s_delay_alu instid0(VALU_DEP_2) | instskip(NEXT) | instid1(VALU_DEP_1)
	v_clz_i32_u32_e32 v19, v19
	v_min_u32_e32 v19, 32, v19
	s_delay_alu instid0(VALU_DEP_1) | instskip(NEXT) | instid1(VALU_DEP_1)
	v_subrev_nc_u32_e32 v23, 28, v19
	v_lshlrev_b64_e32 v[52:53], v23, v[6:7]
	s_delay_alu instid0(VALU_DEP_1)
	v_dual_sub_nc_u32 v23, 29, v19 :: v_dual_bitop2_b32 v19, 7, v52 bitop3:0x40
; %bb.3055:                             ;   in Loop: Header=BB300_1574 Depth=1
	s_or_b32 exec_lo, exec_lo, s18
	s_delay_alu instid0(VALU_DEP_1) | instskip(NEXT) | instid1(VALU_DEP_2)
	v_dual_lshlrev_b32 v6, 8, v6 :: v_dual_lshlrev_b32 v19, 23, v19
	v_lshl_add_u32 v23, v23, 10, 0x2000
	s_delay_alu instid0(VALU_DEP_1) | instskip(NEXT) | instid1(VALU_DEP_1)
	v_and_or_b32 v6, 0x8000, v6, v23
	v_lshl_or_b32 v19, v6, 16, v19
.LBB300_3056:                           ;   in Loop: Header=BB300_1574 Depth=1
	s_or_b32 exec_lo, exec_lo, s17
.LBB300_3057:                           ;   in Loop: Header=BB300_1574 Depth=1
	s_delay_alu instid0(SALU_CYCLE_1)
	s_or_b32 exec_lo, exec_lo, s16
.LBB300_3058:                           ;   in Loop: Header=BB300_1574 Depth=1
	s_delay_alu instid0(SALU_CYCLE_1) | instskip(SKIP_4) | instid1(VALU_DEP_3)
	s_or_b32 exec_lo, exec_lo, s9
	v_and_b32_e32 v52, 0xff, v51
	v_dual_mov_b32 v6, v51 :: v_dual_mov_b32 v49, 0
	v_mov_b32_e32 v23, 0
	s_mov_b32 s9, exec_lo
	v_cmpx_ne_u16_e32 0, v52
	s_cbranch_execz .LBB300_3066
; %bb.3059:                             ;   in Loop: Header=BB300_1574 Depth=1
	v_mov_b32_e32 v23, 0x8000
	s_mov_b32 s16, exec_lo
	v_cmpx_ne_u16_e32 0x80, v52
	s_cbranch_execz .LBB300_3065
; %bb.3060:                             ;   in Loop: Header=BB300_1574 Depth=1
	v_and_b32_e32 v53, 0x7f, v51
	v_mov_b32_e32 v23, 0x7c01
	s_mov_b32 s17, exec_lo
	s_delay_alu instid0(VALU_DEP_2)
	v_cmpx_ne_u32_e32 0x7f, v53
	s_cbranch_execz .LBB300_3064
; %bb.3061:                             ;   in Loop: Header=BB300_1574 Depth=1
	v_dual_lshrrev_b32 v52, 3, v53 :: v_dual_bitop2_b32 v23, 7, v51 bitop3:0x40
	s_mov_b32 s18, exec_lo
	v_cmpx_gt_u32_e32 8, v53
; %bb.3062:                             ;   in Loop: Header=BB300_1574 Depth=1
	s_delay_alu instid0(VALU_DEP_2) | instskip(NEXT) | instid1(VALU_DEP_1)
	v_clz_i32_u32_e32 v23, v23
	v_min_u32_e32 v23, 32, v23
	s_delay_alu instid0(VALU_DEP_1) | instskip(NEXT) | instid1(VALU_DEP_1)
	v_subrev_nc_u32_e32 v52, 28, v23
	v_lshlrev_b64_e32 v[54:55], v52, v[6:7]
	s_delay_alu instid0(VALU_DEP_1)
	v_dual_sub_nc_u32 v52, 29, v23 :: v_dual_bitop2_b32 v23, 7, v54 bitop3:0x40
; %bb.3063:                             ;   in Loop: Header=BB300_1574 Depth=1
	s_or_b32 exec_lo, exec_lo, s18
	v_lshlrev_b32_e32 v53, 8, v51
	s_delay_alu instid0(VALU_DEP_2) | instskip(NEXT) | instid1(VALU_DEP_3)
	v_lshl_add_u32 v52, v52, 10, 0x2000
	v_lshlrev_b32_e32 v23, 7, v23
	s_delay_alu instid0(VALU_DEP_3) | instskip(NEXT) | instid1(VALU_DEP_3)
	v_and_b32_e32 v53, 0x8000, v53
	v_and_b32_e32 v52, 0xfc00, v52
	s_delay_alu instid0(VALU_DEP_1)
	v_or3_b32 v23, v53, v52, v23
.LBB300_3064:                           ;   in Loop: Header=BB300_1574 Depth=1
	s_or_b32 exec_lo, exec_lo, s17
.LBB300_3065:                           ;   in Loop: Header=BB300_1574 Depth=1
	s_delay_alu instid0(SALU_CYCLE_1)
	s_or_b32 exec_lo, exec_lo, s16
.LBB300_3066:                           ;   in Loop: Header=BB300_1574 Depth=1
	s_delay_alu instid0(SALU_CYCLE_1) | instskip(SKIP_3) | instid1(VALU_DEP_2)
	s_or_b32 exec_lo, exec_lo, s9
	v_lshrrev_b16 v6, 8, v6
	v_mov_b32_e32 v52, 0
	s_mov_b32 s9, exec_lo
	v_cmpx_ne_u16_e32 0, v6
	s_cbranch_execz .LBB300_3074
; %bb.3067:                             ;   in Loop: Header=BB300_1574 Depth=1
	v_bfrev_b32_e32 v52, 1
	s_mov_b32 s16, exec_lo
	v_cmpx_ne_u16_e32 0x80, v6
	s_cbranch_execz .LBB300_3073
; %bb.3068:                             ;   in Loop: Header=BB300_1574 Depth=1
	v_and_b32_e32 v53, 0xffff, v6
	v_mov_b32_e32 v52, 0x7c010000
	s_mov_b32 s17, exec_lo
	s_delay_alu instid0(VALU_DEP_2) | instskip(NEXT) | instid1(VALU_DEP_1)
	v_and_b32_e32 v55, 0x7f, v53
	v_cmpx_ne_u32_e32 0x7f, v55
	s_cbranch_execz .LBB300_3072
; %bb.3069:                             ;   in Loop: Header=BB300_1574 Depth=1
	v_dual_lshrrev_b32 v54, 3, v55 :: v_dual_bitop2_b32 v52, 7, v53 bitop3:0x40
	s_mov_b32 s18, exec_lo
	v_cmpx_gt_u32_e32 8, v55
; %bb.3070:                             ;   in Loop: Header=BB300_1574 Depth=1
	s_delay_alu instid0(VALU_DEP_2) | instskip(NEXT) | instid1(VALU_DEP_1)
	v_clz_i32_u32_e32 v52, v52
	v_min_u32_e32 v52, 32, v52
	s_delay_alu instid0(VALU_DEP_1) | instskip(NEXT) | instid1(VALU_DEP_1)
	v_subrev_nc_u32_e32 v54, 28, v52
	v_lshlrev_b64_e32 v[64:65], v54, v[6:7]
	v_sub_nc_u32_e32 v54, 29, v52
	s_delay_alu instid0(VALU_DEP_2)
	v_and_b32_e32 v52, 7, v64
; %bb.3071:                             ;   in Loop: Header=BB300_1574 Depth=1
	s_or_b32 exec_lo, exec_lo, s18
	s_delay_alu instid0(VALU_DEP_1) | instskip(NEXT) | instid1(VALU_DEP_3)
	v_dual_lshlrev_b32 v6, 8, v53 :: v_dual_lshlrev_b32 v52, 23, v52
	v_lshl_add_u32 v53, v54, 10, 0x2000
	s_delay_alu instid0(VALU_DEP_1) | instskip(NEXT) | instid1(VALU_DEP_1)
	v_and_or_b32 v6, 0x8000, v6, v53
	v_lshl_or_b32 v52, v6, 16, v52
.LBB300_3072:                           ;   in Loop: Header=BB300_1574 Depth=1
	s_or_b32 exec_lo, exec_lo, s17
.LBB300_3073:                           ;   in Loop: Header=BB300_1574 Depth=1
	s_delay_alu instid0(SALU_CYCLE_1)
	s_or_b32 exec_lo, exec_lo, s16
.LBB300_3074:                           ;   in Loop: Header=BB300_1574 Depth=1
	s_delay_alu instid0(SALU_CYCLE_1) | instskip(SKIP_2) | instid1(VALU_DEP_1)
	s_or_b32 exec_lo, exec_lo, s9
	v_lshrrev_b32_e32 v6, 16, v51
	s_mov_b32 s9, exec_lo
	v_and_b32_e32 v53, 0xff, v6
	s_delay_alu instid0(VALU_DEP_1)
	v_cmpx_ne_u16_e32 0, v53
	s_cbranch_execz .LBB300_3082
; %bb.3075:                             ;   in Loop: Header=BB300_1574 Depth=1
	v_mov_b32_e32 v49, 0x8000
	s_mov_b32 s16, exec_lo
	v_cmpx_ne_u16_e32 0x80, v53
	s_cbranch_execz .LBB300_3081
; %bb.3076:                             ;   in Loop: Header=BB300_1574 Depth=1
	v_bfe_u32 v54, v51, 16, 7
	v_mov_b32_e32 v49, 0x7c01
	s_mov_b32 s17, exec_lo
	s_delay_alu instid0(VALU_DEP_2)
	v_cmpx_ne_u32_e32 0x7f, v54
	s_cbranch_execz .LBB300_3080
; %bb.3077:                             ;   in Loop: Header=BB300_1574 Depth=1
	v_and_b32_e32 v49, 7, v6
	v_lshrrev_b32_e32 v53, 3, v54
	s_mov_b32 s18, exec_lo
	v_cmpx_gt_u32_e32 8, v54
; %bb.3078:                             ;   in Loop: Header=BB300_1574 Depth=1
	s_delay_alu instid0(VALU_DEP_3) | instskip(NEXT) | instid1(VALU_DEP_1)
	v_clz_i32_u32_e32 v49, v49
	v_min_u32_e32 v49, 32, v49
	s_delay_alu instid0(VALU_DEP_1) | instskip(NEXT) | instid1(VALU_DEP_1)
	v_subrev_nc_u32_e32 v53, 28, v49
	v_lshlrev_b64_e32 v[54:55], v53, v[6:7]
	s_delay_alu instid0(VALU_DEP_1)
	v_dual_sub_nc_u32 v53, 29, v49 :: v_dual_bitop2_b32 v49, 7, v54 bitop3:0x40
; %bb.3079:                             ;   in Loop: Header=BB300_1574 Depth=1
	s_or_b32 exec_lo, exec_lo, s18
	s_delay_alu instid0(VALU_DEP_1) | instskip(NEXT) | instid1(VALU_DEP_2)
	v_dual_lshlrev_b32 v6, 8, v6 :: v_dual_lshlrev_b32 v49, 7, v49
	v_lshl_add_u32 v53, v53, 10, 0x2000
	s_delay_alu instid0(VALU_DEP_2) | instskip(NEXT) | instid1(VALU_DEP_2)
	v_and_b32_e32 v6, 0x8000, v6
	v_and_b32_e32 v53, 0xfc00, v53
	s_delay_alu instid0(VALU_DEP_1)
	v_or3_b32 v49, v6, v53, v49
.LBB300_3080:                           ;   in Loop: Header=BB300_1574 Depth=1
	s_or_b32 exec_lo, exec_lo, s17
.LBB300_3081:                           ;   in Loop: Header=BB300_1574 Depth=1
	s_delay_alu instid0(SALU_CYCLE_1)
	s_or_b32 exec_lo, exec_lo, s16
.LBB300_3082:                           ;   in Loop: Header=BB300_1574 Depth=1
	s_delay_alu instid0(SALU_CYCLE_1)
	s_or_b32 exec_lo, exec_lo, s9
	v_cmp_lt_u64_e64 s0, s[2:3], v[50:51]
	v_mov_b32_e32 v50, 0
	s_and_saveexec_b32 s9, s0
	s_cbranch_execz .LBB300_3090
; %bb.3083:                             ;   in Loop: Header=BB300_1574 Depth=1
	v_lshrrev_b32_e32 v6, 24, v51
	v_bfrev_b32_e32 v50, 1
	s_mov_b32 s16, exec_lo
	s_delay_alu instid0(VALU_DEP_2)
	v_cmpx_ne_u32_e32 0x80, v6
	s_cbranch_execz .LBB300_3089
; %bb.3084:                             ;   in Loop: Header=BB300_1574 Depth=1
	v_and_b32_e32 v53, 0x7f, v6
	v_mov_b32_e32 v50, 0x7c010000
	s_mov_b32 s17, exec_lo
	s_delay_alu instid0(VALU_DEP_2)
	v_cmpx_ne_u32_e32 0x7f, v53
	s_cbranch_execz .LBB300_3088
; %bb.3085:                             ;   in Loop: Header=BB300_1574 Depth=1
	v_dual_lshrrev_b32 v51, 3, v53 :: v_dual_bitop2_b32 v50, 7, v6 bitop3:0x40
	s_mov_b32 s18, exec_lo
	v_cmpx_gt_u32_e32 8, v53
; %bb.3086:                             ;   in Loop: Header=BB300_1574 Depth=1
	s_delay_alu instid0(VALU_DEP_2) | instskip(NEXT) | instid1(VALU_DEP_1)
	v_clz_i32_u32_e32 v50, v50
	v_min_u32_e32 v53, 32, v50
	s_delay_alu instid0(VALU_DEP_1) | instskip(NEXT) | instid1(VALU_DEP_1)
	v_subrev_nc_u32_e32 v50, 28, v53
	v_lshlrev_b64_e32 v[50:51], v50, v[6:7]
	s_delay_alu instid0(VALU_DEP_1)
	v_dual_sub_nc_u32 v51, 29, v53 :: v_dual_bitop2_b32 v50, 7, v50 bitop3:0x40
; %bb.3087:                             ;   in Loop: Header=BB300_1574 Depth=1
	s_or_b32 exec_lo, exec_lo, s18
	v_lshlrev_b32_e32 v6, 8, v6
	s_delay_alu instid0(VALU_DEP_2) | instskip(NEXT) | instid1(VALU_DEP_3)
	v_lshl_add_u32 v51, v51, 10, 0x2000
	v_lshlrev_b32_e32 v50, 23, v50
	s_delay_alu instid0(VALU_DEP_2) | instskip(NEXT) | instid1(VALU_DEP_1)
	v_and_or_b32 v6, 0x8000, v6, v51
	v_lshl_or_b32 v50, v6, 16, v50
.LBB300_3088:                           ;   in Loop: Header=BB300_1574 Depth=1
	s_or_b32 exec_lo, exec_lo, s17
.LBB300_3089:                           ;   in Loop: Header=BB300_1574 Depth=1
	s_delay_alu instid0(SALU_CYCLE_1)
	s_or_b32 exec_lo, exec_lo, s16
.LBB300_3090:                           ;   in Loop: Header=BB300_1574 Depth=1
	s_delay_alu instid0(SALU_CYCLE_1) | instskip(SKIP_4) | instid1(VALU_DEP_4)
	s_or_b32 exec_lo, exec_lo, s9
	v_dual_lshrrev_b32 v6, 16, v1 :: v_dual_lshrrev_b32 v51, 16, v19
	v_or_b32_e32 v1, v1, v18
	v_or_b32_e32 v22, v19, v22
	;; [unrolled: 1-line block ×3, first 2 shown]
	v_cvt_f32_f16_e32 v19, v6
	v_cvt_f32_f16_e32 v18, v51
	v_dual_lshrrev_b32 v50, 16, v50 :: v_dual_bitop2_b32 v6, v50, v49 bitop3:0x54
	v_lshrrev_b32_e32 v49, 16, v52
	v_cvt_f32_f16_e32 v23, v1
	s_delay_alu instid0(VALU_DEP_3) | instskip(NEXT) | instid1(VALU_DEP_4)
	v_cvt_f32_f16_e32 v52, v6
	v_cvt_f32_f16_e32 v50, v50
	s_wait_loadcnt_dscnt 0x0
	v_pk_mul_f32 v[18:19], v[48:49], v[18:19] op_sel_hi:[0,1]
	v_cvt_f32_f16_e32 v51, v49
	s_delay_alu instid0(VALU_DEP_2) | instskip(NEXT) | instid1(VALU_DEP_2)
	v_cvt_pk_f16_f32 v1, v18, v19
	v_pk_mul_f32 v[18:19], v[48:49], v[50:51] op_sel_hi:[0,1]
	s_delay_alu instid0(VALU_DEP_2) | instskip(SKIP_2) | instid1(VALU_DEP_4)
	v_lshlrev_b32_e32 v50, 16, v1
	v_cvt_f32_f16_e32 v22, v22
	v_and_b32_e32 v51, 0xffff0000, v1
	v_cvt_pk_f16_f32 v18, v18, v19
	s_delay_alu instid0(VALU_DEP_3) | instskip(NEXT) | instid1(VALU_DEP_2)
	v_pk_mul_f32 v[22:23], v[48:49], v[22:23] op_sel_hi:[0,1]
	v_and_b32_e32 v19, 0xffff0000, v18
	s_delay_alu instid0(VALU_DEP_2) | instskip(NEXT) | instid1(VALU_DEP_1)
	v_cvt_pk_f16_f32 v6, v22, v23
	v_lshrrev_b32_e32 v65, 16, v6
	v_cvt_f32_f16_e32 v53, v53
	v_and_b32_e32 v64, 0xffff, v6
	s_delay_alu instid0(VALU_DEP_3) | instskip(NEXT) | instid1(VALU_DEP_3)
	v_or_b32_e32 v55, v51, v65
	v_pk_mul_f32 v[48:49], v[48:49], v[52:53] op_sel_hi:[0,1]
	s_delay_alu instid0(VALU_DEP_3) | instskip(NEXT) | instid1(VALU_DEP_2)
	v_or_b32_e32 v54, v50, v64
	v_cvt_pk_f16_f32 v1, v48, v49
	s_delay_alu instid0(VALU_DEP_1) | instskip(SKIP_1) | instid1(VALU_DEP_2)
	v_dual_lshlrev_b32 v6, 16, v18 :: v_dual_lshrrev_b32 v49, 16, v1
	v_and_b32_e32 v48, 0xffff, v1
	v_or_b32_e32 v53, v19, v49
	s_delay_alu instid0(VALU_DEP_2)
	v_or_b32_e32 v52, v6, v48
	s_and_saveexec_b32 s9, vcc_lo
	s_cbranch_execz .LBB300_3092
; %bb.3091:                             ;   in Loop: Header=BB300_1574 Depth=1
	v_cmp_lt_i32_e64 s0, v70, v13
	s_delay_alu instid0(VALU_DEP_1) | instskip(SKIP_1) | instid1(VALU_DEP_1)
	v_cndmask_b32_e64 v1, 0, v65, s0
	v_cmp_lt_i32_e64 s0, v86, v12
	v_cndmask_b32_e64 v18, 0, v64, s0
	v_cmp_lt_i32_e64 s0, v85, v13
	s_delay_alu instid0(VALU_DEP_1) | instskip(SKIP_1) | instid1(VALU_DEP_1)
	v_cndmask_b32_e64 v22, 0, v51, s0
	v_cmp_lt_i32_e64 s0, v84, v12
	v_cndmask_b32_e64 v23, 0, v50, s0
	v_cmp_lt_i32_e64 s0, v83, v13
	s_delay_alu instid0(VALU_DEP_4) | instskip(NEXT) | instid1(VALU_DEP_2)
	v_or_b32_e32 v55, v1, v22
	v_dual_cndmask_b32 v49, 0, v49, s0 :: v_dual_bitop2_b32 v54, v18, v23 bitop3:0x54
	v_cmp_lt_i32_e64 s0, v82, v12
	s_delay_alu instid0(VALU_DEP_1) | instskip(SKIP_1) | instid1(VALU_DEP_1)
	v_cndmask_b32_e64 v48, 0, v48, s0
	v_cmp_lt_i32_e64 s0, v81, v13
	v_cndmask_b32_e64 v19, 0, v19, s0
	v_cmp_lt_i32_e64 s0, v0, v12
	s_delay_alu instid0(VALU_DEP_1) | instskip(NEXT) | instid1(VALU_DEP_1)
	v_dual_cndmask_b32 v6, 0, v6, s0 :: v_dual_bitop2_b32 v53, v49, v19 bitop3:0x54
	v_or_b32_e32 v52, v48, v6
.LBB300_3092:                           ;   in Loop: Header=BB300_1574 Depth=1
	s_or_b32 exec_lo, exec_lo, s9
	;;#ASMSTART
	v_pk_mul_f16 v1, v98, v55;

	;;#ASMEND
	;;#ASMSTART
	v_pk_mul_f16 v6, v97, v54;

	;;#ASMEND
	;; [unrolled: 4-line block ×4, first 2 shown]
	;;#ASMSTART
	v_pk_add_f16 v1, v1, v6;

	;;#ASMEND
	;;#ASMSTART
	v_pk_add_f16 v1, v1, v18;

	;;#ASMEND
	;; [unrolled: 4-line block ×3, first 2 shown]
	v_and_b32_e32 v6, 0xffff, v1
	v_lshrrev_b32_e32 v1, 16, v1
	;;#ASMSTART
	v_cvt_f32_f16 v64, v6;
	;;#ASMEND
	;;#ASMSTART
	v_cvt_f32_f16 v65, v1;
	;;#ASMEND
	flat_load_b64 v[48:49], v[36:37] offset:5888
	scratch_load_b64 v[18:19], off, s32 offset:192 ; 8-byte Folded Reload
	v_mov_b32_e32 v1, 0
	s_mov_b32 s9, exec_lo
	s_wait_loadcnt_dscnt 0x100
	v_and_b32_e32 v6, 0xff, v48
	s_wait_loadcnt 0x0
	flat_load_b32 v36, v[18:19]
	s_wait_xcnt 0x0
	v_mov_b32_e32 v18, 0
	v_cmpx_ne_u16_e32 0, v6
	s_cbranch_execz .LBB300_3100
; %bb.3093:                             ;   in Loop: Header=BB300_1574 Depth=1
	v_mov_b32_e32 v18, 0x8000
	s_mov_b32 s16, exec_lo
	v_cmpx_ne_u16_e32 0x80, v6
	s_cbranch_execz .LBB300_3099
; %bb.3094:                             ;   in Loop: Header=BB300_1574 Depth=1
	v_and_b32_e32 v19, 0x7f, v48
	v_mov_b32_e32 v18, 0x7c01
	s_mov_b32 s17, exec_lo
	s_delay_alu instid0(VALU_DEP_2)
	v_cmpx_ne_u32_e32 0x7f, v19
	s_cbranch_execz .LBB300_3098
; %bb.3095:                             ;   in Loop: Header=BB300_1574 Depth=1
	v_dual_lshrrev_b32 v18, 3, v19 :: v_dual_bitop2_b32 v6, 7, v48 bitop3:0x40
	s_mov_b32 s18, exec_lo
	v_cmpx_gt_u32_e32 8, v19
; %bb.3096:                             ;   in Loop: Header=BB300_1574 Depth=1
	s_delay_alu instid0(VALU_DEP_2) | instskip(NEXT) | instid1(VALU_DEP_1)
	v_clz_i32_u32_e32 v6, v6
	v_min_u32_e32 v6, 32, v6
	s_delay_alu instid0(VALU_DEP_1) | instskip(NEXT) | instid1(VALU_DEP_1)
	v_subrev_nc_u32_e32 v18, 28, v6
	v_lshlrev_b64_e32 v[22:23], v18, v[48:49]
	v_sub_nc_u32_e32 v18, 29, v6
	s_delay_alu instid0(VALU_DEP_2)
	v_and_b32_e32 v6, 7, v22
; %bb.3097:                             ;   in Loop: Header=BB300_1574 Depth=1
	s_or_b32 exec_lo, exec_lo, s18
	s_delay_alu instid0(VALU_DEP_1) | instskip(NEXT) | instid1(VALU_DEP_3)
	v_dual_lshlrev_b32 v19, 8, v48 :: v_dual_lshlrev_b32 v6, 7, v6
	v_lshl_add_u32 v18, v18, 10, 0x2000
	s_delay_alu instid0(VALU_DEP_2) | instskip(NEXT) | instid1(VALU_DEP_2)
	v_and_b32_e32 v19, 0x8000, v19
	v_and_b32_e32 v18, 0xfc00, v18
	s_delay_alu instid0(VALU_DEP_1)
	v_or3_b32 v18, v19, v18, v6
.LBB300_3098:                           ;   in Loop: Header=BB300_1574 Depth=1
	s_or_b32 exec_lo, exec_lo, s17
.LBB300_3099:                           ;   in Loop: Header=BB300_1574 Depth=1
	s_delay_alu instid0(SALU_CYCLE_1)
	s_or_b32 exec_lo, exec_lo, s16
.LBB300_3100:                           ;   in Loop: Header=BB300_1574 Depth=1
	s_delay_alu instid0(SALU_CYCLE_1) | instskip(SKIP_2) | instid1(VALU_DEP_1)
	s_or_b32 exec_lo, exec_lo, s9
	v_lshrrev_b16 v6, 8, v48
	s_mov_b32 s9, exec_lo
	v_cmpx_ne_u16_e32 0, v6
	s_cbranch_execz .LBB300_3108
; %bb.3101:                             ;   in Loop: Header=BB300_1574 Depth=1
	v_bfrev_b32_e32 v1, 1
	s_mov_b32 s16, exec_lo
	v_cmpx_ne_u16_e32 0x80, v6
	s_cbranch_execz .LBB300_3107
; %bb.3102:                             ;   in Loop: Header=BB300_1574 Depth=1
	v_and_b32_e32 v19, 0xffff, v6
	v_mov_b32_e32 v1, 0x7c010000
	s_mov_b32 s17, exec_lo
	s_delay_alu instid0(VALU_DEP_2) | instskip(NEXT) | instid1(VALU_DEP_1)
	v_and_b32_e32 v23, 0x7f, v19
	v_cmpx_ne_u32_e32 0x7f, v23
	s_cbranch_execz .LBB300_3106
; %bb.3103:                             ;   in Loop: Header=BB300_1574 Depth=1
	v_and_b32_e32 v1, 7, v19
	v_lshrrev_b32_e32 v22, 3, v23
	s_mov_b32 s18, exec_lo
	v_cmpx_gt_u32_e32 8, v23
; %bb.3104:                             ;   in Loop: Header=BB300_1574 Depth=1
	s_delay_alu instid0(VALU_DEP_3) | instskip(NEXT) | instid1(VALU_DEP_1)
	v_clz_i32_u32_e32 v1, v1
	v_min_u32_e32 v1, 32, v1
	s_delay_alu instid0(VALU_DEP_1) | instskip(NEXT) | instid1(VALU_DEP_1)
	v_subrev_nc_u32_e32 v22, 28, v1
	v_lshlrev_b64_e32 v[50:51], v22, v[6:7]
	s_delay_alu instid0(VALU_DEP_1)
	v_dual_sub_nc_u32 v22, 29, v1 :: v_dual_bitop2_b32 v1, 7, v50 bitop3:0x40
; %bb.3105:                             ;   in Loop: Header=BB300_1574 Depth=1
	s_or_b32 exec_lo, exec_lo, s18
	s_delay_alu instid0(VALU_DEP_1) | instskip(NEXT) | instid1(VALU_DEP_2)
	v_dual_lshlrev_b32 v6, 8, v19 :: v_dual_lshlrev_b32 v1, 23, v1
	v_lshl_add_u32 v19, v22, 10, 0x2000
	s_delay_alu instid0(VALU_DEP_1) | instskip(NEXT) | instid1(VALU_DEP_1)
	v_and_or_b32 v6, 0x8000, v6, v19
	v_lshl_or_b32 v1, v6, 16, v1
.LBB300_3106:                           ;   in Loop: Header=BB300_1574 Depth=1
	s_or_b32 exec_lo, exec_lo, s17
.LBB300_3107:                           ;   in Loop: Header=BB300_1574 Depth=1
	s_delay_alu instid0(SALU_CYCLE_1)
	s_or_b32 exec_lo, exec_lo, s16
.LBB300_3108:                           ;   in Loop: Header=BB300_1574 Depth=1
	s_delay_alu instid0(SALU_CYCLE_1) | instskip(SKIP_3) | instid1(VALU_DEP_2)
	s_or_b32 exec_lo, exec_lo, s9
	v_dual_mov_b32 v19, 0 :: v_dual_lshrrev_b32 v6, 16, v48
	v_mov_b32_e32 v22, 0
	s_mov_b32 s9, exec_lo
	v_and_b32_e32 v23, 0xff, v6
	s_delay_alu instid0(VALU_DEP_1)
	v_cmpx_ne_u16_e32 0, v23
	s_cbranch_execz .LBB300_3116
; %bb.3109:                             ;   in Loop: Header=BB300_1574 Depth=1
	v_mov_b32_e32 v22, 0x8000
	s_mov_b32 s16, exec_lo
	v_cmpx_ne_u16_e32 0x80, v23
	s_cbranch_execz .LBB300_3115
; %bb.3110:                             ;   in Loop: Header=BB300_1574 Depth=1
	v_bfe_u32 v37, v48, 16, 7
	v_mov_b32_e32 v22, 0x7c01
	s_mov_b32 s17, exec_lo
	s_delay_alu instid0(VALU_DEP_2)
	v_cmpx_ne_u32_e32 0x7f, v37
	s_cbranch_execz .LBB300_3114
; %bb.3111:                             ;   in Loop: Header=BB300_1574 Depth=1
	v_dual_lshrrev_b32 v23, 3, v37 :: v_dual_bitop2_b32 v22, 7, v6 bitop3:0x40
	s_mov_b32 s18, exec_lo
	v_cmpx_gt_u32_e32 8, v37
; %bb.3112:                             ;   in Loop: Header=BB300_1574 Depth=1
	s_delay_alu instid0(VALU_DEP_2) | instskip(NEXT) | instid1(VALU_DEP_1)
	v_clz_i32_u32_e32 v22, v22
	v_min_u32_e32 v37, 32, v22
	s_delay_alu instid0(VALU_DEP_1) | instskip(NEXT) | instid1(VALU_DEP_1)
	v_subrev_nc_u32_e32 v22, 28, v37
	v_lshlrev_b64_e32 v[22:23], v22, v[6:7]
	s_delay_alu instid0(VALU_DEP_1)
	v_dual_sub_nc_u32 v23, 29, v37 :: v_dual_bitop2_b32 v22, 7, v22 bitop3:0x40
; %bb.3113:                             ;   in Loop: Header=BB300_1574 Depth=1
	s_or_b32 exec_lo, exec_lo, s18
	v_lshlrev_b32_e32 v6, 8, v6
	s_delay_alu instid0(VALU_DEP_2) | instskip(NEXT) | instid1(VALU_DEP_3)
	v_lshl_add_u32 v23, v23, 10, 0x2000
	v_lshlrev_b32_e32 v22, 7, v22
	s_delay_alu instid0(VALU_DEP_3) | instskip(NEXT) | instid1(VALU_DEP_3)
	v_and_b32_e32 v6, 0x8000, v6
	v_and_b32_e32 v23, 0xfc00, v23
	s_delay_alu instid0(VALU_DEP_1)
	v_or3_b32 v22, v6, v23, v22
.LBB300_3114:                           ;   in Loop: Header=BB300_1574 Depth=1
	s_or_b32 exec_lo, exec_lo, s17
.LBB300_3115:                           ;   in Loop: Header=BB300_1574 Depth=1
	s_delay_alu instid0(SALU_CYCLE_1)
	s_or_b32 exec_lo, exec_lo, s16
.LBB300_3116:                           ;   in Loop: Header=BB300_1574 Depth=1
	s_delay_alu instid0(SALU_CYCLE_1) | instskip(NEXT) | instid1(SALU_CYCLE_1)
	s_or_b32 exec_lo, exec_lo, s9
	s_mov_b32 s9, exec_lo
	v_cmpx_lt_u32_e32 0xffffff, v48
	s_cbranch_execz .LBB300_3124
; %bb.3117:                             ;   in Loop: Header=BB300_1574 Depth=1
	v_lshrrev_b32_e32 v6, 24, v48
	v_bfrev_b32_e32 v19, 1
	s_mov_b32 s16, exec_lo
	s_delay_alu instid0(VALU_DEP_2)
	v_cmpx_ne_u32_e32 0x80, v6
	s_cbranch_execz .LBB300_3123
; %bb.3118:                             ;   in Loop: Header=BB300_1574 Depth=1
	v_and_b32_e32 v37, 0x7f, v6
	v_mov_b32_e32 v19, 0x7c010000
	s_mov_b32 s17, exec_lo
	s_delay_alu instid0(VALU_DEP_2)
	v_cmpx_ne_u32_e32 0x7f, v37
	s_cbranch_execz .LBB300_3122
; %bb.3119:                             ;   in Loop: Header=BB300_1574 Depth=1
	v_dual_lshrrev_b32 v23, 3, v37 :: v_dual_bitop2_b32 v19, 7, v6 bitop3:0x40
	s_mov_b32 s18, exec_lo
	v_cmpx_gt_u32_e32 8, v37
; %bb.3120:                             ;   in Loop: Header=BB300_1574 Depth=1
	s_delay_alu instid0(VALU_DEP_2) | instskip(NEXT) | instid1(VALU_DEP_1)
	v_clz_i32_u32_e32 v19, v19
	v_min_u32_e32 v19, 32, v19
	s_delay_alu instid0(VALU_DEP_1) | instskip(NEXT) | instid1(VALU_DEP_1)
	v_subrev_nc_u32_e32 v23, 28, v19
	v_lshlrev_b64_e32 v[50:51], v23, v[6:7]
	s_delay_alu instid0(VALU_DEP_1)
	v_dual_sub_nc_u32 v23, 29, v19 :: v_dual_bitop2_b32 v19, 7, v50 bitop3:0x40
; %bb.3121:                             ;   in Loop: Header=BB300_1574 Depth=1
	s_or_b32 exec_lo, exec_lo, s18
	s_delay_alu instid0(VALU_DEP_1) | instskip(NEXT) | instid1(VALU_DEP_2)
	v_dual_lshlrev_b32 v6, 8, v6 :: v_dual_lshlrev_b32 v19, 23, v19
	v_lshl_add_u32 v23, v23, 10, 0x2000
	s_delay_alu instid0(VALU_DEP_1) | instskip(NEXT) | instid1(VALU_DEP_1)
	v_and_or_b32 v6, 0x8000, v6, v23
	v_lshl_or_b32 v19, v6, 16, v19
.LBB300_3122:                           ;   in Loop: Header=BB300_1574 Depth=1
	s_or_b32 exec_lo, exec_lo, s17
.LBB300_3123:                           ;   in Loop: Header=BB300_1574 Depth=1
	s_delay_alu instid0(SALU_CYCLE_1)
	s_or_b32 exec_lo, exec_lo, s16
.LBB300_3124:                           ;   in Loop: Header=BB300_1574 Depth=1
	s_delay_alu instid0(SALU_CYCLE_1) | instskip(SKIP_4) | instid1(VALU_DEP_3)
	s_or_b32 exec_lo, exec_lo, s9
	v_and_b32_e32 v50, 0xff, v49
	v_dual_mov_b32 v6, v49 :: v_dual_mov_b32 v37, 0
	v_mov_b32_e32 v23, 0
	s_mov_b32 s9, exec_lo
	v_cmpx_ne_u16_e32 0, v50
	s_cbranch_execz .LBB300_3132
; %bb.3125:                             ;   in Loop: Header=BB300_1574 Depth=1
	v_mov_b32_e32 v23, 0x8000
	s_mov_b32 s16, exec_lo
	v_cmpx_ne_u16_e32 0x80, v50
	s_cbranch_execz .LBB300_3131
; %bb.3126:                             ;   in Loop: Header=BB300_1574 Depth=1
	v_and_b32_e32 v51, 0x7f, v49
	v_mov_b32_e32 v23, 0x7c01
	s_mov_b32 s17, exec_lo
	s_delay_alu instid0(VALU_DEP_2)
	v_cmpx_ne_u32_e32 0x7f, v51
	s_cbranch_execz .LBB300_3130
; %bb.3127:                             ;   in Loop: Header=BB300_1574 Depth=1
	v_dual_lshrrev_b32 v50, 3, v51 :: v_dual_bitop2_b32 v23, 7, v49 bitop3:0x40
	s_mov_b32 s18, exec_lo
	v_cmpx_gt_u32_e32 8, v51
; %bb.3128:                             ;   in Loop: Header=BB300_1574 Depth=1
	s_delay_alu instid0(VALU_DEP_2) | instskip(NEXT) | instid1(VALU_DEP_1)
	v_clz_i32_u32_e32 v23, v23
	v_min_u32_e32 v23, 32, v23
	s_delay_alu instid0(VALU_DEP_1) | instskip(NEXT) | instid1(VALU_DEP_1)
	v_subrev_nc_u32_e32 v50, 28, v23
	v_lshlrev_b64_e32 v[52:53], v50, v[6:7]
	s_delay_alu instid0(VALU_DEP_1)
	v_dual_sub_nc_u32 v50, 29, v23 :: v_dual_bitop2_b32 v23, 7, v52 bitop3:0x40
; %bb.3129:                             ;   in Loop: Header=BB300_1574 Depth=1
	s_or_b32 exec_lo, exec_lo, s18
	s_delay_alu instid0(VALU_DEP_1) | instskip(NEXT) | instid1(VALU_DEP_2)
	v_dual_lshlrev_b32 v51, 8, v49 :: v_dual_lshlrev_b32 v23, 7, v23
	v_lshl_add_u32 v50, v50, 10, 0x2000
	s_delay_alu instid0(VALU_DEP_2) | instskip(NEXT) | instid1(VALU_DEP_2)
	v_and_b32_e32 v51, 0x8000, v51
	v_and_b32_e32 v50, 0xfc00, v50
	s_delay_alu instid0(VALU_DEP_1)
	v_or3_b32 v23, v51, v50, v23
.LBB300_3130:                           ;   in Loop: Header=BB300_1574 Depth=1
	s_or_b32 exec_lo, exec_lo, s17
.LBB300_3131:                           ;   in Loop: Header=BB300_1574 Depth=1
	s_delay_alu instid0(SALU_CYCLE_1)
	s_or_b32 exec_lo, exec_lo, s16
.LBB300_3132:                           ;   in Loop: Header=BB300_1574 Depth=1
	s_delay_alu instid0(SALU_CYCLE_1) | instskip(SKIP_3) | instid1(VALU_DEP_2)
	s_or_b32 exec_lo, exec_lo, s9
	v_lshrrev_b16 v6, 8, v6
	v_mov_b32_e32 v50, 0
	s_mov_b32 s9, exec_lo
	v_cmpx_ne_u16_e32 0, v6
	s_cbranch_execz .LBB300_3140
; %bb.3133:                             ;   in Loop: Header=BB300_1574 Depth=1
	v_bfrev_b32_e32 v50, 1
	s_mov_b32 s16, exec_lo
	v_cmpx_ne_u16_e32 0x80, v6
	s_cbranch_execz .LBB300_3139
; %bb.3134:                             ;   in Loop: Header=BB300_1574 Depth=1
	v_and_b32_e32 v51, 0xffff, v6
	v_mov_b32_e32 v50, 0x7c010000
	s_mov_b32 s17, exec_lo
	s_delay_alu instid0(VALU_DEP_2) | instskip(NEXT) | instid1(VALU_DEP_1)
	v_and_b32_e32 v53, 0x7f, v51
	v_cmpx_ne_u32_e32 0x7f, v53
	s_cbranch_execz .LBB300_3138
; %bb.3135:                             ;   in Loop: Header=BB300_1574 Depth=1
	v_dual_lshrrev_b32 v52, 3, v53 :: v_dual_bitop2_b32 v50, 7, v51 bitop3:0x40
	s_mov_b32 s18, exec_lo
	v_cmpx_gt_u32_e32 8, v53
; %bb.3136:                             ;   in Loop: Header=BB300_1574 Depth=1
	s_delay_alu instid0(VALU_DEP_2) | instskip(NEXT) | instid1(VALU_DEP_1)
	v_clz_i32_u32_e32 v50, v50
	v_min_u32_e32 v50, 32, v50
	s_delay_alu instid0(VALU_DEP_1) | instskip(NEXT) | instid1(VALU_DEP_1)
	v_subrev_nc_u32_e32 v52, 28, v50
	v_lshlrev_b64_e32 v[54:55], v52, v[6:7]
	v_sub_nc_u32_e32 v52, 29, v50
	s_delay_alu instid0(VALU_DEP_2)
	v_and_b32_e32 v50, 7, v54
; %bb.3137:                             ;   in Loop: Header=BB300_1574 Depth=1
	s_or_b32 exec_lo, exec_lo, s18
	s_delay_alu instid0(VALU_DEP_1) | instskip(NEXT) | instid1(VALU_DEP_3)
	v_dual_lshlrev_b32 v6, 8, v51 :: v_dual_lshlrev_b32 v50, 23, v50
	v_lshl_add_u32 v51, v52, 10, 0x2000
	s_delay_alu instid0(VALU_DEP_1) | instskip(NEXT) | instid1(VALU_DEP_1)
	v_and_or_b32 v6, 0x8000, v6, v51
	v_lshl_or_b32 v50, v6, 16, v50
.LBB300_3138:                           ;   in Loop: Header=BB300_1574 Depth=1
	s_or_b32 exec_lo, exec_lo, s17
.LBB300_3139:                           ;   in Loop: Header=BB300_1574 Depth=1
	s_delay_alu instid0(SALU_CYCLE_1)
	s_or_b32 exec_lo, exec_lo, s16
.LBB300_3140:                           ;   in Loop: Header=BB300_1574 Depth=1
	s_delay_alu instid0(SALU_CYCLE_1) | instskip(SKIP_2) | instid1(VALU_DEP_1)
	s_or_b32 exec_lo, exec_lo, s9
	v_lshrrev_b32_e32 v6, 16, v49
	s_mov_b32 s9, exec_lo
	v_and_b32_e32 v51, 0xff, v6
	s_delay_alu instid0(VALU_DEP_1)
	v_cmpx_ne_u16_e32 0, v51
	s_cbranch_execz .LBB300_3148
; %bb.3141:                             ;   in Loop: Header=BB300_1574 Depth=1
	v_mov_b32_e32 v37, 0x8000
	s_mov_b32 s16, exec_lo
	v_cmpx_ne_u16_e32 0x80, v51
	s_cbranch_execz .LBB300_3147
; %bb.3142:                             ;   in Loop: Header=BB300_1574 Depth=1
	v_bfe_u32 v52, v49, 16, 7
	v_mov_b32_e32 v37, 0x7c01
	s_mov_b32 s17, exec_lo
	s_delay_alu instid0(VALU_DEP_2)
	v_cmpx_ne_u32_e32 0x7f, v52
	s_cbranch_execz .LBB300_3146
; %bb.3143:                             ;   in Loop: Header=BB300_1574 Depth=1
	v_dual_lshrrev_b32 v51, 3, v52 :: v_dual_bitop2_b32 v37, 7, v6 bitop3:0x40
	s_mov_b32 s18, exec_lo
	v_cmpx_gt_u32_e32 8, v52
; %bb.3144:                             ;   in Loop: Header=BB300_1574 Depth=1
	s_delay_alu instid0(VALU_DEP_2) | instskip(NEXT) | instid1(VALU_DEP_1)
	v_clz_i32_u32_e32 v37, v37
	v_min_u32_e32 v37, 32, v37
	s_delay_alu instid0(VALU_DEP_1) | instskip(NEXT) | instid1(VALU_DEP_1)
	v_subrev_nc_u32_e32 v51, 28, v37
	v_lshlrev_b64_e32 v[52:53], v51, v[6:7]
	s_delay_alu instid0(VALU_DEP_1)
	v_dual_sub_nc_u32 v51, 29, v37 :: v_dual_bitop2_b32 v37, 7, v52 bitop3:0x40
; %bb.3145:                             ;   in Loop: Header=BB300_1574 Depth=1
	s_or_b32 exec_lo, exec_lo, s18
	s_delay_alu instid0(VALU_DEP_1) | instskip(NEXT) | instid1(VALU_DEP_2)
	v_dual_lshlrev_b32 v6, 8, v6 :: v_dual_lshlrev_b32 v37, 7, v37
	v_lshl_add_u32 v51, v51, 10, 0x2000
	s_delay_alu instid0(VALU_DEP_2) | instskip(NEXT) | instid1(VALU_DEP_2)
	v_and_b32_e32 v6, 0x8000, v6
	v_and_b32_e32 v51, 0xfc00, v51
	s_delay_alu instid0(VALU_DEP_1)
	v_or3_b32 v37, v6, v51, v37
.LBB300_3146:                           ;   in Loop: Header=BB300_1574 Depth=1
	s_or_b32 exec_lo, exec_lo, s17
.LBB300_3147:                           ;   in Loop: Header=BB300_1574 Depth=1
	s_delay_alu instid0(SALU_CYCLE_1)
	s_or_b32 exec_lo, exec_lo, s16
.LBB300_3148:                           ;   in Loop: Header=BB300_1574 Depth=1
	s_delay_alu instid0(SALU_CYCLE_1)
	s_or_b32 exec_lo, exec_lo, s9
	v_cmp_lt_u64_e64 s0, s[2:3], v[48:49]
	v_mov_b32_e32 v48, 0
	s_and_saveexec_b32 s9, s0
	s_cbranch_execz .LBB300_3156
; %bb.3149:                             ;   in Loop: Header=BB300_1574 Depth=1
	v_lshrrev_b32_e32 v6, 24, v49
	v_bfrev_b32_e32 v48, 1
	s_mov_b32 s16, exec_lo
	s_delay_alu instid0(VALU_DEP_2)
	v_cmpx_ne_u32_e32 0x80, v6
	s_cbranch_execz .LBB300_3155
; %bb.3150:                             ;   in Loop: Header=BB300_1574 Depth=1
	v_and_b32_e32 v51, 0x7f, v6
	v_mov_b32_e32 v48, 0x7c010000
	s_mov_b32 s17, exec_lo
	s_delay_alu instid0(VALU_DEP_2)
	v_cmpx_ne_u32_e32 0x7f, v51
	s_cbranch_execz .LBB300_3154
; %bb.3151:                             ;   in Loop: Header=BB300_1574 Depth=1
	v_dual_lshrrev_b32 v49, 3, v51 :: v_dual_bitop2_b32 v48, 7, v6 bitop3:0x40
	s_mov_b32 s18, exec_lo
	v_cmpx_gt_u32_e32 8, v51
; %bb.3152:                             ;   in Loop: Header=BB300_1574 Depth=1
	s_delay_alu instid0(VALU_DEP_2) | instskip(NEXT) | instid1(VALU_DEP_1)
	v_clz_i32_u32_e32 v48, v48
	v_min_u32_e32 v51, 32, v48
	s_delay_alu instid0(VALU_DEP_1) | instskip(NEXT) | instid1(VALU_DEP_1)
	v_subrev_nc_u32_e32 v48, 28, v51
	v_lshlrev_b64_e32 v[48:49], v48, v[6:7]
	s_delay_alu instid0(VALU_DEP_1)
	v_dual_sub_nc_u32 v49, 29, v51 :: v_dual_bitop2_b32 v48, 7, v48 bitop3:0x40
; %bb.3153:                             ;   in Loop: Header=BB300_1574 Depth=1
	s_or_b32 exec_lo, exec_lo, s18
	s_delay_alu instid0(VALU_DEP_1) | instskip(NEXT) | instid1(VALU_DEP_2)
	v_dual_lshlrev_b32 v6, 8, v6 :: v_dual_lshlrev_b32 v48, 23, v48
	v_lshl_add_u32 v49, v49, 10, 0x2000
	s_delay_alu instid0(VALU_DEP_1) | instskip(NEXT) | instid1(VALU_DEP_1)
	v_and_or_b32 v6, 0x8000, v6, v49
	v_lshl_or_b32 v48, v6, 16, v48
.LBB300_3154:                           ;   in Loop: Header=BB300_1574 Depth=1
	s_or_b32 exec_lo, exec_lo, s17
.LBB300_3155:                           ;   in Loop: Header=BB300_1574 Depth=1
	s_delay_alu instid0(SALU_CYCLE_1)
	s_or_b32 exec_lo, exec_lo, s16
.LBB300_3156:                           ;   in Loop: Header=BB300_1574 Depth=1
	s_delay_alu instid0(SALU_CYCLE_1) | instskip(SKIP_4) | instid1(VALU_DEP_4)
	s_or_b32 exec_lo, exec_lo, s9
	v_dual_lshrrev_b32 v6, 16, v1 :: v_dual_lshrrev_b32 v49, 16, v19
	v_or_b32_e32 v1, v1, v18
	v_or_b32_e32 v22, v19, v22
	;; [unrolled: 1-line block ×3, first 2 shown]
	v_cvt_f32_f16_e32 v19, v6
	v_cvt_f32_f16_e32 v18, v49
	v_dual_lshrrev_b32 v37, 16, v50 :: v_dual_bitop2_b32 v6, v48, v37 bitop3:0x54
	v_lshrrev_b32_e32 v48, 16, v48
	v_cvt_f32_f16_e32 v23, v1
	s_delay_alu instid0(VALU_DEP_3) | instskip(SKIP_4) | instid1(VALU_DEP_3)
	v_cvt_f32_f16_e32 v50, v6
	s_wait_loadcnt_dscnt 0x0
	v_pk_mul_f32 v[18:19], v[36:37], v[18:19] op_sel_hi:[0,1]
	v_cvt_f32_f16_e32 v49, v37
	v_cvt_f32_f16_e32 v48, v48
	v_cvt_pk_f16_f32 v1, v18, v19
	s_delay_alu instid0(VALU_DEP_2) | instskip(NEXT) | instid1(VALU_DEP_2)
	v_pk_mul_f32 v[18:19], v[36:37], v[48:49] op_sel_hi:[0,1]
	v_lshlrev_b32_e32 v52, 16, v1
	v_cvt_f32_f16_e32 v22, v22
	v_and_b32_e32 v53, 0xffff0000, v1
	s_delay_alu instid0(VALU_DEP_4) | instskip(NEXT) | instid1(VALU_DEP_3)
	v_cvt_pk_f16_f32 v18, v18, v19
	v_pk_mul_f32 v[22:23], v[36:37], v[22:23] op_sel_hi:[0,1]
	s_delay_alu instid0(VALU_DEP_2) | instskip(NEXT) | instid1(VALU_DEP_2)
	v_and_b32_e32 v49, 0xffff0000, v18
	v_cvt_pk_f16_f32 v6, v22, v23
	s_delay_alu instid0(VALU_DEP_1) | instskip(SKIP_2) | instid1(VALU_DEP_2)
	v_lshrrev_b32_e32 v55, 16, v6
	v_cvt_f32_f16_e32 v51, v51
	v_and_b32_e32 v54, 0xffff, v6
	v_pk_mul_f32 v[36:37], v[36:37], v[50:51] op_sel_hi:[0,1]
	s_delay_alu instid0(VALU_DEP_1) | instskip(SKIP_1) | instid1(VALU_DEP_2)
	v_cvt_pk_f16_f32 v1, v36, v37
	v_dual_lshlrev_b32 v48, 16, v18 :: v_dual_bitop2_b32 v37, v53, v55 bitop3:0x54
	v_dual_lshrrev_b32 v51, 16, v1 :: v_dual_bitop2_b32 v36, v52, v54 bitop3:0x54
	v_and_b32_e32 v50, 0xffff, v1
	s_delay_alu instid0(VALU_DEP_2) | instskip(NEXT) | instid1(VALU_DEP_2)
	v_or_b32_e32 v19, v49, v51
	v_or_b32_e32 v6, v48, v50
	s_and_saveexec_b32 s0, vcc_lo
	s_cbranch_execz .LBB300_1573
; %bb.3157:                             ;   in Loop: Header=BB300_1574 Depth=1
	v_cmp_lt_i32_e32 vcc_lo, v70, v13
	v_cndmask_b32_e32 v1, 0, v55, vcc_lo
	v_cmp_lt_i32_e32 vcc_lo, v86, v12
	v_cndmask_b32_e32 v6, 0, v54, vcc_lo
	;; [unrolled: 2-line block ×4, first 2 shown]
	v_cmp_lt_i32_e32 vcc_lo, v83, v13
	s_delay_alu instid0(VALU_DEP_4) | instskip(NEXT) | instid1(VALU_DEP_3)
	v_or_b32_e32 v37, v1, v18
	v_or_b32_e32 v36, v6, v19
	v_cndmask_b32_e32 v22, 0, v51, vcc_lo
	v_cmp_lt_i32_e32 vcc_lo, v82, v12
	v_cndmask_b32_e32 v23, 0, v50, vcc_lo
	v_cmp_lt_i32_e32 vcc_lo, v81, v13
	;; [unrolled: 2-line block ×3, first 2 shown]
	s_delay_alu instid0(VALU_DEP_2) | instskip(NEXT) | instid1(VALU_DEP_1)
	v_dual_cndmask_b32 v0, 0, v48, vcc_lo :: v_dual_bitop2_b32 v19, v22, v49 bitop3:0x54
	v_or_b32_e32 v6, v23, v0
	s_branch .LBB300_1573
.LBB300_3158:
	s_or_b32 exec_lo, exec_lo, s8
	v_mov_b64_e32 v[48:49], s[10:11]
.LBB300_3159:
	s_or_b32 exec_lo, exec_lo, s1
	s_delay_alu instid0(VALU_DEP_1)
	v_lshl_add_u64 v[0:1], v[48:49], 2, s[6:7]
	s_wait_storecnt 0x0
	s_barrier_signal -1
	s_barrier_wait -1
	global_load_b32 v0, v[0:1], off
	scratch_load_b32 v1, off, s32 offset:616 ; 4-byte Folded Reload
	ds_bpermute_b32 v18, v67, v28
	ds_bpermute_b32 v19, v67, v29
	;; [unrolled: 1-line block ×14, first 2 shown]
	s_mov_b32 s0, exec_lo
	s_wait_dscnt 0xc
	v_pk_add_f32 v[28:29], v[28:29], v[18:19]
	ds_bpermute_b32 v18, v67, v14
	s_wait_dscnt 0xb
	v_pk_add_f32 v[38:39], v[16:17], v[38:39]
	ds_bpermute_b32 v19, v67, v15
	;; [unrolled: 3-line block ×3, first 2 shown]
	ds_bpermute_b32 v55, v66, v29
	ds_bpermute_b32 v34, v67, v24
	;; [unrolled: 1-line block ×3, first 2 shown]
	s_wait_dscnt 0xc
	v_pk_add_f32 v[10:11], v[32:33], v[10:11]
	ds_bpermute_b32 v32, v67, v26
	ds_bpermute_b32 v33, v67, v27
	s_wait_dscnt 0xc
	v_pk_add_f32 v[12:13], v[30:31], v[12:13]
	ds_bpermute_b32 v30, v67, v20
	ds_bpermute_b32 v31, v67, v21
	s_wait_dscnt 0xc
	v_pk_add_f32 v[50:51], v[8:9], v[50:51]
	s_wait_dscnt 0xa
	v_pk_add_f32 v[52:53], v[4:5], v[52:53]
	ds_bpermute_b32 v22, v66, v6
	ds_bpermute_b32 v23, v66, v7
	;; [unrolled: 1-line block ×6, first 2 shown]
	s_wait_dscnt 0xe
	v_pk_add_f32 v[82:83], v[14:15], v[18:19]
	ds_bpermute_b32 v84, v66, v38
	ds_bpermute_b32 v85, v66, v39
	s_wait_dscnt 0xe
	v_pk_add_f32 v[16:17], v[28:29], v[54:55]
	ds_bpermute_b32 v86, v66, v50
	s_wait_dscnt 0xd
	v_pk_add_f32 v[34:35], v[24:25], v[34:35]
	ds_bpermute_b32 v24, v67, v2
	ds_bpermute_b32 v25, v67, v3
	s_wait_dscnt 0xd
	v_pk_add_f32 v[32:33], v[26:27], v[32:33]
	ds_bpermute_b32 v4, v66, v82
	;; [unrolled: 4-line block ×3, first 2 shown]
	ds_bpermute_b32 v64, v66, v32
	ds_bpermute_b32 v65, v66, v33
	;; [unrolled: 1-line block ×8, first 2 shown]
	s_wait_dscnt 0x14
	v_pk_add_f32 v[22:23], v[6:7], v[22:23]
	s_wait_dscnt 0x12
	v_pk_add_f32 v[20:21], v[10:11], v[36:37]
	s_wait_dscnt 0x10
	v_pk_add_f32 v[18:19], v[12:13], v[48:49]
	s_wait_dscnt 0xe
	v_pk_add_f32 v[8:9], v[38:39], v[84:85]
	s_wait_dscnt 0xb
	v_pk_add_f32 v[24:25], v[2:3], v[24:25]
	ds_bpermute_b32 v26, v66, v24
	ds_bpermute_b32 v27, v66, v25
	s_wait_dscnt 0x8
	v_pk_add_f32 v[14:15], v[32:33], v[64:65]
	v_pk_add_f32 v[12:13], v[34:35], v[70:71]
	s_wait_dscnt 0x7
	v_pk_add_f32 v[6:7], v[82:83], v[4:5]
	s_wait_dscnt 0x5
	;; [unrolled: 2-line block ×4, first 2 shown]
	v_pk_add_f32 v[2:3], v[52:53], v[96:97]
	s_wait_loadcnt 0x0
	v_and_b32_e32 v28, 0x3c3, v1
	scratch_load_b32 v1, off, s32 offset:620 ; 4-byte Folded Reload
	s_wait_loadcnt 0x0
	v_and_b32_e32 v1, 28, v1
	v_cmpx_ne_u32_e32 64, v28
	s_xor_b32 s0, exec_lo, s0
	s_delay_alu instid0(SALU_CYCLE_1)
	s_or_saveexec_b32 s0, s0
	s_wait_dscnt 0x0
	v_pk_add_f32 v[24:25], v[24:25], v[26:27]
	s_clause 0x1
	scratch_load_b32 v26, off, s32 offset:620 th:TH_LOAD_LU
	scratch_load_b32 v27, off, s32 offset:624 th:TH_LOAD_LU
	s_wait_loadcnt 0x1
	v_dual_add_nc_u32 v1, v0, v1 :: v_dual_lshrrev_b32 v26, 2, v26
	s_wait_loadcnt 0x0
	v_mul_u32_u24_e32 v27, 0x300, v27
	s_xor_b32 exec_lo, exec_lo, s0
	s_cbranch_execz .LBB300_3161
; %bb.3160:
	s_delay_alu instid0(VALU_DEP_1) | instskip(NEXT) | instid1(VALU_DEP_1)
	v_add_nc_u32_e32 v28, v1, v27
	v_add_nc_u32_e32 v29, 0xfffffa00, v28
	;; [unrolled: 1-line block ×9, first 2 shown]
	ds_store_b32 v29, v22
	ds_store_b32 v30, v23
	;; [unrolled: 1-line block ×8, first 2 shown]
	v_add_nc_u32_e32 v29, 0xfffffb00, v28
	v_add_nc_u32_e32 v30, 0xfffffb20, v28
	;; [unrolled: 1-line block ×8, first 2 shown]
	ds_store_b32 v29, v14
	ds_store_b32 v30, v15
	ds_store_b32 v31, v12
	ds_store_b32 v32, v13
	ds_store_b32 v33, v10
	ds_store_b32 v34, v11
	ds_store_b32 v35, v8
	ds_store_b32 v36, v9
	v_add_nc_u32_e32 v29, 0xfffffc00, v28
	v_add_nc_u32_e32 v30, 0xfffffc20, v28
	;; [unrolled: 1-line block ×8, first 2 shown]
	ds_store_b32 v29, v6
	ds_store_b32 v30, v7
	;; [unrolled: 1-line block ×8, first 2 shown]
.LBB300_3161:
	s_or_b32 exec_lo, exec_lo, s0
	v_lshlrev_b32_e32 v26, 2, v26
	s_mov_b32 s1, exec_lo
	v_cmp_eq_u32_e32 vcc_lo, 0, v68
	s_delay_alu instid0(VALU_DEP_2)
	v_add3_u32 v0, v0, v27, v26
	scratch_load_b32 v26, off, s32 offset:616 ; 4-byte Folded Reload
	s_wait_loadcnt_dscnt 0x0
	s_barrier_signal -1
	s_barrier_wait -1
	v_cmpx_gt_u32_e32 64, v26
	s_cbranch_execz .LBB300_3188
; %bb.3162:
	s_and_saveexec_b32 s0, vcc_lo
	s_cbranch_execnz .LBB300_3220
; %bb.3163:
	s_or_b32 exec_lo, exec_lo, s0
	s_and_saveexec_b32 s0, vcc_lo
	s_cbranch_execnz .LBB300_3221
.LBB300_3164:
	s_or_b32 exec_lo, exec_lo, s0
	s_and_saveexec_b32 s0, vcc_lo
	s_cbranch_execnz .LBB300_3222
.LBB300_3165:
	s_or_b32 exec_lo, exec_lo, s0
	s_and_saveexec_b32 s0, vcc_lo
	s_cbranch_execnz .LBB300_3223
.LBB300_3166:
	s_or_b32 exec_lo, exec_lo, s0
	s_and_saveexec_b32 s0, vcc_lo
	s_cbranch_execnz .LBB300_3224
.LBB300_3167:
	s_or_b32 exec_lo, exec_lo, s0
	s_and_saveexec_b32 s0, vcc_lo
	s_cbranch_execnz .LBB300_3225
.LBB300_3168:
	s_or_b32 exec_lo, exec_lo, s0
	s_and_saveexec_b32 s0, vcc_lo
	s_cbranch_execnz .LBB300_3226
.LBB300_3169:
	s_or_b32 exec_lo, exec_lo, s0
	s_and_saveexec_b32 s0, vcc_lo
	s_cbranch_execnz .LBB300_3227
.LBB300_3170:
	s_or_b32 exec_lo, exec_lo, s0
	s_and_saveexec_b32 s0, vcc_lo
	s_cbranch_execnz .LBB300_3228
.LBB300_3171:
	s_or_b32 exec_lo, exec_lo, s0
	s_and_saveexec_b32 s0, vcc_lo
	s_cbranch_execnz .LBB300_3229
.LBB300_3172:
	s_or_b32 exec_lo, exec_lo, s0
	s_and_saveexec_b32 s0, vcc_lo
	s_cbranch_execnz .LBB300_3230
.LBB300_3173:
	s_or_b32 exec_lo, exec_lo, s0
	s_and_saveexec_b32 s0, vcc_lo
	s_cbranch_execnz .LBB300_3231
.LBB300_3174:
	s_or_b32 exec_lo, exec_lo, s0
	s_and_saveexec_b32 s0, vcc_lo
	s_cbranch_execnz .LBB300_3232
.LBB300_3175:
	s_or_b32 exec_lo, exec_lo, s0
	s_and_saveexec_b32 s0, vcc_lo
	s_cbranch_execnz .LBB300_3233
.LBB300_3176:
	s_or_b32 exec_lo, exec_lo, s0
	s_and_saveexec_b32 s0, vcc_lo
	s_cbranch_execnz .LBB300_3234
.LBB300_3177:
	s_or_b32 exec_lo, exec_lo, s0
	s_and_saveexec_b32 s0, vcc_lo
	s_cbranch_execnz .LBB300_3235
.LBB300_3178:
	s_or_b32 exec_lo, exec_lo, s0
	s_and_saveexec_b32 s0, vcc_lo
	s_cbranch_execnz .LBB300_3236
.LBB300_3179:
	s_or_b32 exec_lo, exec_lo, s0
	s_and_saveexec_b32 s0, vcc_lo
	s_cbranch_execnz .LBB300_3237
.LBB300_3180:
	s_or_b32 exec_lo, exec_lo, s0
	s_and_saveexec_b32 s0, vcc_lo
	s_cbranch_execnz .LBB300_3238
.LBB300_3181:
	s_or_b32 exec_lo, exec_lo, s0
	s_and_saveexec_b32 s0, vcc_lo
	s_cbranch_execnz .LBB300_3239
.LBB300_3182:
	s_or_b32 exec_lo, exec_lo, s0
	s_and_saveexec_b32 s0, vcc_lo
	s_cbranch_execnz .LBB300_3240
.LBB300_3183:
	s_or_b32 exec_lo, exec_lo, s0
	s_and_saveexec_b32 s0, vcc_lo
	s_cbranch_execnz .LBB300_3241
.LBB300_3184:
	s_or_b32 exec_lo, exec_lo, s0
	s_and_saveexec_b32 s0, vcc_lo
	s_cbranch_execnz .LBB300_3242
.LBB300_3185:
	s_or_b32 exec_lo, exec_lo, s0
	s_and_saveexec_b32 s0, vcc_lo
	s_cbranch_execz .LBB300_3187
.LBB300_3186:
	ds_load_b32 v26, v0 offset:736
	s_wait_dscnt 0x0
	v_add_f32_e32 v25, v26, v25
.LBB300_3187:
	s_or_b32 exec_lo, exec_lo, s0
.LBB300_3188:
	s_delay_alu instid0(SALU_CYCLE_1)
	s_or_b32 exec_lo, exec_lo, s1
	scratch_load_b32 v26, off, s32 offset:616 ; 4-byte Folded Reload
	s_mov_b32 s1, exec_lo
	s_wait_loadcnt 0x0
	s_barrier_signal -1
	s_barrier_wait -1
	v_and_b32_e32 v26, 0x3e3, v26
	s_wait_xcnt 0x0
	s_delay_alu instid0(VALU_DEP_1)
	v_cmpx_eq_u32_e32 32, v26
	s_cbranch_execz .LBB300_3190
; %bb.3189:
	ds_store_2addr_b32 v1, v22, v23 offset1:8
	ds_store_2addr_b32 v1, v20, v21 offset0:16 offset1:24
	ds_store_2addr_b32 v1, v18, v19 offset0:32 offset1:40
	;; [unrolled: 1-line block ×11, first 2 shown]
.LBB300_3190:
	s_or_b32 exec_lo, exec_lo, s1
	scratch_load_b32 v1, off, s32 offset:616 ; 4-byte Folded Reload
	s_mov_b32 s1, exec_lo
	s_wait_loadcnt_dscnt 0x0
	s_barrier_signal -1
	s_barrier_wait -1
	v_cmpx_gt_u32_e32 32, v1
	s_cbranch_execz .LBB300_3217
; %bb.3191:
	s_and_saveexec_b32 s0, vcc_lo
	s_cbranch_execnz .LBB300_3243
; %bb.3192:
	s_or_b32 exec_lo, exec_lo, s0
	s_and_saveexec_b32 s0, vcc_lo
	s_cbranch_execnz .LBB300_3244
.LBB300_3193:
	s_or_b32 exec_lo, exec_lo, s0
	s_and_saveexec_b32 s0, vcc_lo
	s_cbranch_execnz .LBB300_3245
.LBB300_3194:
	s_or_b32 exec_lo, exec_lo, s0
	s_and_saveexec_b32 s0, vcc_lo
	s_cbranch_execnz .LBB300_3246
.LBB300_3195:
	s_or_b32 exec_lo, exec_lo, s0
	s_and_saveexec_b32 s0, vcc_lo
	s_cbranch_execnz .LBB300_3247
.LBB300_3196:
	s_or_b32 exec_lo, exec_lo, s0
	s_and_saveexec_b32 s0, vcc_lo
	s_cbranch_execnz .LBB300_3248
.LBB300_3197:
	s_or_b32 exec_lo, exec_lo, s0
	s_and_saveexec_b32 s0, vcc_lo
	s_cbranch_execnz .LBB300_3249
.LBB300_3198:
	s_or_b32 exec_lo, exec_lo, s0
	s_and_saveexec_b32 s0, vcc_lo
	s_cbranch_execnz .LBB300_3250
.LBB300_3199:
	s_or_b32 exec_lo, exec_lo, s0
	s_and_saveexec_b32 s0, vcc_lo
	s_cbranch_execnz .LBB300_3251
.LBB300_3200:
	s_or_b32 exec_lo, exec_lo, s0
	s_and_saveexec_b32 s0, vcc_lo
	s_cbranch_execnz .LBB300_3252
.LBB300_3201:
	s_or_b32 exec_lo, exec_lo, s0
	s_and_saveexec_b32 s0, vcc_lo
	s_cbranch_execnz .LBB300_3253
.LBB300_3202:
	s_or_b32 exec_lo, exec_lo, s0
	s_and_saveexec_b32 s0, vcc_lo
	s_cbranch_execnz .LBB300_3254
.LBB300_3203:
	s_or_b32 exec_lo, exec_lo, s0
	s_and_saveexec_b32 s0, vcc_lo
	s_cbranch_execnz .LBB300_3255
.LBB300_3204:
	s_or_b32 exec_lo, exec_lo, s0
	s_and_saveexec_b32 s0, vcc_lo
	s_cbranch_execnz .LBB300_3256
.LBB300_3205:
	s_or_b32 exec_lo, exec_lo, s0
	s_and_saveexec_b32 s0, vcc_lo
	s_cbranch_execnz .LBB300_3257
.LBB300_3206:
	s_or_b32 exec_lo, exec_lo, s0
	s_and_saveexec_b32 s0, vcc_lo
	s_cbranch_execnz .LBB300_3258
.LBB300_3207:
	s_or_b32 exec_lo, exec_lo, s0
	s_and_saveexec_b32 s0, vcc_lo
	s_cbranch_execnz .LBB300_3259
.LBB300_3208:
	s_or_b32 exec_lo, exec_lo, s0
	s_and_saveexec_b32 s0, vcc_lo
	s_cbranch_execnz .LBB300_3260
.LBB300_3209:
	s_or_b32 exec_lo, exec_lo, s0
	s_and_saveexec_b32 s0, vcc_lo
	s_cbranch_execnz .LBB300_3261
.LBB300_3210:
	s_or_b32 exec_lo, exec_lo, s0
	s_and_saveexec_b32 s0, vcc_lo
	s_cbranch_execnz .LBB300_3262
.LBB300_3211:
	s_or_b32 exec_lo, exec_lo, s0
	s_and_saveexec_b32 s0, vcc_lo
	s_cbranch_execnz .LBB300_3263
.LBB300_3212:
	s_or_b32 exec_lo, exec_lo, s0
	s_and_saveexec_b32 s0, vcc_lo
	s_cbranch_execnz .LBB300_3264
.LBB300_3213:
	s_or_b32 exec_lo, exec_lo, s0
	s_and_saveexec_b32 s0, vcc_lo
	s_cbranch_execnz .LBB300_3265
.LBB300_3214:
	s_or_b32 exec_lo, exec_lo, s0
	s_and_saveexec_b32 s0, vcc_lo
	s_cbranch_execz .LBB300_3216
.LBB300_3215:
	ds_load_b32 v0, v0 offset:736
	s_wait_dscnt 0x0
	v_add_f32_e32 v25, v0, v25
.LBB300_3216:
	s_or_b32 exec_lo, exec_lo, s0
.LBB300_3217:
	s_delay_alu instid0(SALU_CYCLE_1)
	s_or_b32 exec_lo, exec_lo, s1
	s_mov_b32 s1, 0
	s_mov_b32 s2, exec_lo
	s_barrier_signal -1
	s_barrier_wait -1
	v_cmpx_eq_u32_e32 0, v26
	s_cbranch_execz .LBB300_3219
; %bb.3218:
	s_clause 0x1
	scratch_load_b64 v[0:1], off, s32 offset:656 th:TH_LOAD_LU
	scratch_load_b32 v26, off, s32 offset:616 th:TH_LOAD_LU
	s_and_b32 s0, 0xffff, s15
	;;#ASMSTART
	v_cvt_f16_f32 v22, v22;

	;;#ASMEND
	s_cmp_lg_u32 s0, 0
	v_mov_b32_e32 v27, 0
	s_cselect_b32 s0, -1, 0
	s_delay_alu instid0(SALU_CYCLE_1)
	s_cmp_lg_u32 s0, 0
	s_wait_kmcnt 0x0
	s_add_co_ci_u32 s0, s5, 0
	s_bfe_u32 s8, ttmp6, 0x40014
	s_mul_i32 s5, s0, s13
	s_lshr_b32 s3, ttmp7, 16
	s_mul_i32 s5, s5, s14
	s_add_co_i32 s8, s8, 1
	s_mul_i32 s6, s5, 0xc0
	s_bfe_u32 s9, ttmp6, 0x40008
	s_ashr_i32 s7, s6, 31
	s_mul_i32 s4, s4, s0
	s_mul_i32 s0, s3, s8
	s_ashr_i32 s5, s4, 31
	s_add_co_i32 s9, s9, s0
	s_cmp_eq_u32 s12, 0
	s_cselect_b32 s0, s3, s9
	s_delay_alu instid0(SALU_CYCLE_1) | instskip(SKIP_4) | instid1(VALU_DEP_2)
	s_mulk_i32 s0, 0x180
	s_wait_loadcnt 0x1
	v_lshl_add_u64 v[0:1], s[6:7], 1, v[0:1]
	s_wait_loadcnt 0x0
	v_lshrrev_b32_e32 v26, 1, v26
	v_lshl_add_u64 v[0:1], s[4:5], 1, v[0:1]
	s_delay_alu instid0(VALU_DEP_1) | instskip(NEXT) | instid1(VALU_DEP_1)
	v_add_nc_u64_e32 v[0:1], s[0:1], v[0:1]
	v_add_nc_u64_e32 v[0:1], v[0:1], v[26:27]
	flat_store_b16 v[0:1], v22
	s_wait_xcnt 0x0
	;;#ASMSTART
	v_cvt_f16_f32 v22, v23;

	;;#ASMEND
	flat_store_b16 v[0:1], v22 offset:16
	;;#ASMSTART
	v_cvt_f16_f32 v20, v20;

	;;#ASMEND
	flat_store_b16 v[0:1], v20 offset:32
	s_wait_xcnt 0x0
	;;#ASMSTART
	v_cvt_f16_f32 v20, v21;

	;;#ASMEND
	flat_store_b16 v[0:1], v20 offset:48
	;;#ASMSTART
	v_cvt_f16_f32 v18, v18;

	;;#ASMEND
	flat_store_b16 v[0:1], v18 offset:64
	;; [unrolled: 11-line block ×10, first 2 shown]
	s_wait_xcnt 0x0
	;;#ASMSTART
	v_cvt_f16_f32 v2, v3;

	;;#ASMEND
	flat_store_b16 v[0:1], v2 offset:336
	s_wait_xcnt 0x0
	;;#ASMSTART
	v_cvt_f16_f32 v2, v24;

	;;#ASMEND
	flat_store_b16 v[0:1], v2 offset:352
	;; [unrolled: 6-line block ×3, first 2 shown]
.LBB300_3219:
	s_wait_xcnt 0x0
	s_or_b32 exec_lo, exec_lo, s2
	s_clause 0x2f
	scratch_load_b32 v127, off, s32
	scratch_load_b32 v126, off, s32 offset:4
	scratch_load_b32 v125, off, s32 offset:8
	;; [unrolled: 1-line block ×47, first 2 shown]
	s_wait_loadcnt_dscnt 0x0
	s_wait_kmcnt 0x0
	s_set_pc_i64 s[30:31]
.LBB300_3220:
	ds_load_b32 v26, v0
	s_wait_dscnt 0x0
	v_add_f32_e32 v22, v26, v22
	s_or_b32 exec_lo, exec_lo, s0
	s_and_saveexec_b32 s0, vcc_lo
	s_cbranch_execz .LBB300_3164
.LBB300_3221:
	ds_load_b32 v26, v0 offset:32
	s_wait_dscnt 0x0
	v_add_f32_e32 v23, v26, v23
	s_or_b32 exec_lo, exec_lo, s0
	s_and_saveexec_b32 s0, vcc_lo
	s_cbranch_execz .LBB300_3165
.LBB300_3222:
	ds_load_b32 v26, v0 offset:64
	s_wait_dscnt 0x0
	v_add_f32_e32 v20, v26, v20
	s_or_b32 exec_lo, exec_lo, s0
	s_and_saveexec_b32 s0, vcc_lo
	s_cbranch_execz .LBB300_3166
.LBB300_3223:
	ds_load_b32 v26, v0 offset:96
	s_wait_dscnt 0x0
	v_add_f32_e32 v21, v26, v21
	s_or_b32 exec_lo, exec_lo, s0
	s_and_saveexec_b32 s0, vcc_lo
	s_cbranch_execz .LBB300_3167
.LBB300_3224:
	ds_load_b32 v26, v0 offset:128
	s_wait_dscnt 0x0
	v_add_f32_e32 v18, v26, v18
	s_or_b32 exec_lo, exec_lo, s0
	s_and_saveexec_b32 s0, vcc_lo
	s_cbranch_execz .LBB300_3168
.LBB300_3225:
	ds_load_b32 v26, v0 offset:160
	s_wait_dscnt 0x0
	v_add_f32_e32 v19, v26, v19
	s_or_b32 exec_lo, exec_lo, s0
	s_and_saveexec_b32 s0, vcc_lo
	s_cbranch_execz .LBB300_3169
.LBB300_3226:
	ds_load_b32 v26, v0 offset:192
	s_wait_dscnt 0x0
	v_add_f32_e32 v16, v26, v16
	s_or_b32 exec_lo, exec_lo, s0
	s_and_saveexec_b32 s0, vcc_lo
	s_cbranch_execz .LBB300_3170
.LBB300_3227:
	ds_load_b32 v26, v0 offset:224
	s_wait_dscnt 0x0
	v_add_f32_e32 v17, v26, v17
	s_or_b32 exec_lo, exec_lo, s0
	s_and_saveexec_b32 s0, vcc_lo
	s_cbranch_execz .LBB300_3171
.LBB300_3228:
	ds_load_b32 v26, v0 offset:256
	s_wait_dscnt 0x0
	v_add_f32_e32 v14, v26, v14
	s_or_b32 exec_lo, exec_lo, s0
	s_and_saveexec_b32 s0, vcc_lo
	s_cbranch_execz .LBB300_3172
.LBB300_3229:
	ds_load_b32 v26, v0 offset:288
	s_wait_dscnt 0x0
	v_add_f32_e32 v15, v26, v15
	s_or_b32 exec_lo, exec_lo, s0
	s_and_saveexec_b32 s0, vcc_lo
	s_cbranch_execz .LBB300_3173
.LBB300_3230:
	ds_load_b32 v26, v0 offset:320
	s_wait_dscnt 0x0
	v_add_f32_e32 v12, v26, v12
	s_or_b32 exec_lo, exec_lo, s0
	s_and_saveexec_b32 s0, vcc_lo
	s_cbranch_execz .LBB300_3174
.LBB300_3231:
	ds_load_b32 v26, v0 offset:352
	s_wait_dscnt 0x0
	v_add_f32_e32 v13, v26, v13
	s_or_b32 exec_lo, exec_lo, s0
	s_and_saveexec_b32 s0, vcc_lo
	s_cbranch_execz .LBB300_3175
.LBB300_3232:
	ds_load_b32 v26, v0 offset:384
	s_wait_dscnt 0x0
	v_add_f32_e32 v10, v26, v10
	s_or_b32 exec_lo, exec_lo, s0
	s_and_saveexec_b32 s0, vcc_lo
	s_cbranch_execz .LBB300_3176
.LBB300_3233:
	ds_load_b32 v26, v0 offset:416
	s_wait_dscnt 0x0
	v_add_f32_e32 v11, v26, v11
	s_or_b32 exec_lo, exec_lo, s0
	s_and_saveexec_b32 s0, vcc_lo
	s_cbranch_execz .LBB300_3177
.LBB300_3234:
	ds_load_b32 v26, v0 offset:448
	s_wait_dscnt 0x0
	v_add_f32_e32 v8, v26, v8
	s_or_b32 exec_lo, exec_lo, s0
	s_and_saveexec_b32 s0, vcc_lo
	s_cbranch_execz .LBB300_3178
.LBB300_3235:
	ds_load_b32 v26, v0 offset:480
	s_wait_dscnt 0x0
	v_add_f32_e32 v9, v26, v9
	s_or_b32 exec_lo, exec_lo, s0
	s_and_saveexec_b32 s0, vcc_lo
	s_cbranch_execz .LBB300_3179
.LBB300_3236:
	ds_load_b32 v26, v0 offset:512
	s_wait_dscnt 0x0
	v_add_f32_e32 v6, v26, v6
	s_or_b32 exec_lo, exec_lo, s0
	s_and_saveexec_b32 s0, vcc_lo
	s_cbranch_execz .LBB300_3180
.LBB300_3237:
	ds_load_b32 v26, v0 offset:544
	s_wait_dscnt 0x0
	v_add_f32_e32 v7, v26, v7
	s_or_b32 exec_lo, exec_lo, s0
	s_and_saveexec_b32 s0, vcc_lo
	s_cbranch_execz .LBB300_3181
.LBB300_3238:
	ds_load_b32 v26, v0 offset:576
	s_wait_dscnt 0x0
	v_add_f32_e32 v4, v26, v4
	s_or_b32 exec_lo, exec_lo, s0
	s_and_saveexec_b32 s0, vcc_lo
	s_cbranch_execz .LBB300_3182
.LBB300_3239:
	ds_load_b32 v26, v0 offset:608
	s_wait_dscnt 0x0
	v_add_f32_e32 v5, v26, v5
	s_or_b32 exec_lo, exec_lo, s0
	s_and_saveexec_b32 s0, vcc_lo
	s_cbranch_execz .LBB300_3183
.LBB300_3240:
	ds_load_b32 v26, v0 offset:640
	s_wait_dscnt 0x0
	v_add_f32_e32 v2, v26, v2
	s_or_b32 exec_lo, exec_lo, s0
	s_and_saveexec_b32 s0, vcc_lo
	s_cbranch_execz .LBB300_3184
.LBB300_3241:
	ds_load_b32 v26, v0 offset:672
	s_wait_dscnt 0x0
	v_add_f32_e32 v3, v26, v3
	s_or_b32 exec_lo, exec_lo, s0
	s_and_saveexec_b32 s0, vcc_lo
	s_cbranch_execz .LBB300_3185
.LBB300_3242:
	ds_load_b32 v26, v0 offset:704
	s_wait_dscnt 0x0
	v_add_f32_e32 v24, v26, v24
	s_or_b32 exec_lo, exec_lo, s0
	s_and_saveexec_b32 s0, vcc_lo
	s_cbranch_execnz .LBB300_3186
	s_branch .LBB300_3187
.LBB300_3243:
	ds_load_b32 v1, v0
	s_wait_dscnt 0x0
	v_add_f32_e32 v22, v1, v22
	s_or_b32 exec_lo, exec_lo, s0
	s_and_saveexec_b32 s0, vcc_lo
	s_cbranch_execz .LBB300_3193
.LBB300_3244:
	ds_load_b32 v1, v0 offset:32
	s_wait_dscnt 0x0
	v_add_f32_e32 v23, v1, v23
	s_or_b32 exec_lo, exec_lo, s0
	s_and_saveexec_b32 s0, vcc_lo
	s_cbranch_execz .LBB300_3194
.LBB300_3245:
	ds_load_b32 v1, v0 offset:64
	s_wait_dscnt 0x0
	v_add_f32_e32 v20, v1, v20
	s_or_b32 exec_lo, exec_lo, s0
	s_and_saveexec_b32 s0, vcc_lo
	s_cbranch_execz .LBB300_3195
.LBB300_3246:
	ds_load_b32 v1, v0 offset:96
	s_wait_dscnt 0x0
	v_add_f32_e32 v21, v1, v21
	s_or_b32 exec_lo, exec_lo, s0
	s_and_saveexec_b32 s0, vcc_lo
	s_cbranch_execz .LBB300_3196
.LBB300_3247:
	ds_load_b32 v1, v0 offset:128
	s_wait_dscnt 0x0
	v_add_f32_e32 v18, v1, v18
	s_or_b32 exec_lo, exec_lo, s0
	s_and_saveexec_b32 s0, vcc_lo
	s_cbranch_execz .LBB300_3197
.LBB300_3248:
	ds_load_b32 v1, v0 offset:160
	s_wait_dscnt 0x0
	v_add_f32_e32 v19, v1, v19
	s_or_b32 exec_lo, exec_lo, s0
	s_and_saveexec_b32 s0, vcc_lo
	s_cbranch_execz .LBB300_3198
.LBB300_3249:
	ds_load_b32 v1, v0 offset:192
	s_wait_dscnt 0x0
	v_add_f32_e32 v16, v1, v16
	s_or_b32 exec_lo, exec_lo, s0
	s_and_saveexec_b32 s0, vcc_lo
	s_cbranch_execz .LBB300_3199
.LBB300_3250:
	ds_load_b32 v1, v0 offset:224
	s_wait_dscnt 0x0
	v_add_f32_e32 v17, v1, v17
	s_or_b32 exec_lo, exec_lo, s0
	s_and_saveexec_b32 s0, vcc_lo
	s_cbranch_execz .LBB300_3200
.LBB300_3251:
	ds_load_b32 v1, v0 offset:256
	s_wait_dscnt 0x0
	v_add_f32_e32 v14, v1, v14
	s_or_b32 exec_lo, exec_lo, s0
	s_and_saveexec_b32 s0, vcc_lo
	s_cbranch_execz .LBB300_3201
.LBB300_3252:
	ds_load_b32 v1, v0 offset:288
	s_wait_dscnt 0x0
	v_add_f32_e32 v15, v1, v15
	s_or_b32 exec_lo, exec_lo, s0
	s_and_saveexec_b32 s0, vcc_lo
	s_cbranch_execz .LBB300_3202
.LBB300_3253:
	ds_load_b32 v1, v0 offset:320
	s_wait_dscnt 0x0
	v_add_f32_e32 v12, v1, v12
	s_or_b32 exec_lo, exec_lo, s0
	s_and_saveexec_b32 s0, vcc_lo
	s_cbranch_execz .LBB300_3203
.LBB300_3254:
	ds_load_b32 v1, v0 offset:352
	s_wait_dscnt 0x0
	v_add_f32_e32 v13, v1, v13
	s_or_b32 exec_lo, exec_lo, s0
	s_and_saveexec_b32 s0, vcc_lo
	s_cbranch_execz .LBB300_3204
.LBB300_3255:
	ds_load_b32 v1, v0 offset:384
	s_wait_dscnt 0x0
	v_add_f32_e32 v10, v1, v10
	s_or_b32 exec_lo, exec_lo, s0
	s_and_saveexec_b32 s0, vcc_lo
	s_cbranch_execz .LBB300_3205
.LBB300_3256:
	ds_load_b32 v1, v0 offset:416
	s_wait_dscnt 0x0
	v_add_f32_e32 v11, v1, v11
	s_or_b32 exec_lo, exec_lo, s0
	s_and_saveexec_b32 s0, vcc_lo
	s_cbranch_execz .LBB300_3206
.LBB300_3257:
	ds_load_b32 v1, v0 offset:448
	s_wait_dscnt 0x0
	v_add_f32_e32 v8, v1, v8
	s_or_b32 exec_lo, exec_lo, s0
	s_and_saveexec_b32 s0, vcc_lo
	s_cbranch_execz .LBB300_3207
.LBB300_3258:
	ds_load_b32 v1, v0 offset:480
	s_wait_dscnt 0x0
	v_add_f32_e32 v9, v1, v9
	s_or_b32 exec_lo, exec_lo, s0
	s_and_saveexec_b32 s0, vcc_lo
	s_cbranch_execz .LBB300_3208
.LBB300_3259:
	ds_load_b32 v1, v0 offset:512
	s_wait_dscnt 0x0
	v_add_f32_e32 v6, v1, v6
	s_or_b32 exec_lo, exec_lo, s0
	s_and_saveexec_b32 s0, vcc_lo
	s_cbranch_execz .LBB300_3209
.LBB300_3260:
	ds_load_b32 v1, v0 offset:544
	s_wait_dscnt 0x0
	v_add_f32_e32 v7, v1, v7
	s_or_b32 exec_lo, exec_lo, s0
	s_and_saveexec_b32 s0, vcc_lo
	s_cbranch_execz .LBB300_3210
.LBB300_3261:
	ds_load_b32 v1, v0 offset:576
	s_wait_dscnt 0x0
	v_add_f32_e32 v4, v1, v4
	s_or_b32 exec_lo, exec_lo, s0
	s_and_saveexec_b32 s0, vcc_lo
	s_cbranch_execz .LBB300_3211
.LBB300_3262:
	ds_load_b32 v1, v0 offset:608
	s_wait_dscnt 0x0
	v_add_f32_e32 v5, v1, v5
	s_or_b32 exec_lo, exec_lo, s0
	s_and_saveexec_b32 s0, vcc_lo
	s_cbranch_execz .LBB300_3212
.LBB300_3263:
	ds_load_b32 v1, v0 offset:640
	s_wait_dscnt 0x0
	v_add_f32_e32 v2, v1, v2
	s_or_b32 exec_lo, exec_lo, s0
	s_and_saveexec_b32 s0, vcc_lo
	s_cbranch_execz .LBB300_3213
.LBB300_3264:
	ds_load_b32 v1, v0 offset:672
	s_wait_dscnt 0x0
	v_add_f32_e32 v3, v1, v3
	s_or_b32 exec_lo, exec_lo, s0
	s_and_saveexec_b32 s0, vcc_lo
	s_cbranch_execz .LBB300_3214
.LBB300_3265:
	ds_load_b32 v1, v0 offset:704
	s_wait_dscnt 0x0
	v_add_f32_e32 v24, v1, v24
	s_or_b32 exec_lo, exec_lo, s0
	s_and_saveexec_b32 s0, vcc_lo
	s_cbranch_execnz .LBB300_3215
	s_branch .LBB300_3216
.Lfunc_end300:
	.size	_ZN4vllm22paged_attention_kernelIthLi192ELi32ELi128ELNS_18Fp8KVCacheDataTypeE1ELb0ELi0EEEvPfS2_PT_PKS3_PKT0_S9_ifPKiSB_iPKfiiiSD_SD_iiiii, .Lfunc_end300-_ZN4vllm22paged_attention_kernelIthLi192ELi32ELi128ELNS_18Fp8KVCacheDataTypeE1ELb0ELi0EEEvPfS2_PT_PKS3_PKT0_S9_ifPKiSB_iPKfiiiSD_SD_iiiii
                                        ; -- End function
	.set .L_ZN4vllm22paged_attention_kernelIthLi192ELi32ELi128ELNS_18Fp8KVCacheDataTypeE1ELb0ELi0EEEvPfS2_PT_PKS3_PKT0_S9_ifPKiSB_iPKfiiiSD_SD_iiiii.num_vgpr, 128
	.set .L_ZN4vllm22paged_attention_kernelIthLi192ELi32ELi128ELNS_18Fp8KVCacheDataTypeE1ELb0ELi0EEEvPfS2_PT_PKS3_PKT0_S9_ifPKiSB_iPKfiiiSD_SD_iiiii.num_agpr, 0
	.set .L_ZN4vllm22paged_attention_kernelIthLi192ELi32ELi128ELNS_18Fp8KVCacheDataTypeE1ELb0ELi0EEEvPfS2_PT_PKS3_PKT0_S9_ifPKiSB_iPKfiiiSD_SD_iiiii.numbered_sgpr, 33
	.set .L_ZN4vllm22paged_attention_kernelIthLi192ELi32ELi128ELNS_18Fp8KVCacheDataTypeE1ELb0ELi0EEEvPfS2_PT_PKS3_PKT0_S9_ifPKiSB_iPKfiiiSD_SD_iiiii.num_named_barrier, 0
	.set .L_ZN4vllm22paged_attention_kernelIthLi192ELi32ELi128ELNS_18Fp8KVCacheDataTypeE1ELb0ELi0EEEvPfS2_PT_PKS3_PKT0_S9_ifPKiSB_iPKfiiiSD_SD_iiiii.private_seg_size, 680
	.set .L_ZN4vllm22paged_attention_kernelIthLi192ELi32ELi128ELNS_18Fp8KVCacheDataTypeE1ELb0ELi0EEEvPfS2_PT_PKS3_PKT0_S9_ifPKiSB_iPKfiiiSD_SD_iiiii.uses_vcc, 1
	.set .L_ZN4vllm22paged_attention_kernelIthLi192ELi32ELi128ELNS_18Fp8KVCacheDataTypeE1ELb0ELi0EEEvPfS2_PT_PKS3_PKT0_S9_ifPKiSB_iPKfiiiSD_SD_iiiii.uses_flat_scratch, 1
	.set .L_ZN4vllm22paged_attention_kernelIthLi192ELi32ELi128ELNS_18Fp8KVCacheDataTypeE1ELb0ELi0EEEvPfS2_PT_PKS3_PKT0_S9_ifPKiSB_iPKfiiiSD_SD_iiiii.has_dyn_sized_stack, 0
	.set .L_ZN4vllm22paged_attention_kernelIthLi192ELi32ELi128ELNS_18Fp8KVCacheDataTypeE1ELb0ELi0EEEvPfS2_PT_PKS3_PKT0_S9_ifPKiSB_iPKfiiiSD_SD_iiiii.has_recursion, 0
	.set .L_ZN4vllm22paged_attention_kernelIthLi192ELi32ELi128ELNS_18Fp8KVCacheDataTypeE1ELb0ELi0EEEvPfS2_PT_PKS3_PKT0_S9_ifPKiSB_iPKfiiiSD_SD_iiiii.has_indirect_call, 0
	.section	.AMDGPU.csdata,"",@progbits
; Function info:
; codeLenInByte = 131192
; TotalNumSgprs: 35
; NumVgprs: 128
; ScratchSize: 680
; MemoryBound: 0
	.section	.text._ZN4vllm25paged_attention_v1_kernelIthLi192ELi32ELi128ELNS_18Fp8KVCacheDataTypeE1ELb0EEEvPT_PKS2_PKT0_S8_ifPKiSA_iPKfiiiSC_SC_iiiii,"axG",@progbits,_ZN4vllm25paged_attention_v1_kernelIthLi192ELi32ELi128ELNS_18Fp8KVCacheDataTypeE1ELb0EEEvPT_PKS2_PKT0_S8_ifPKiSA_iPKfiiiSC_SC_iiiii,comdat
	.protected	_ZN4vllm25paged_attention_v1_kernelIthLi192ELi32ELi128ELNS_18Fp8KVCacheDataTypeE1ELb0EEEvPT_PKS2_PKT0_S8_ifPKiSA_iPKfiiiSC_SC_iiiii ; -- Begin function _ZN4vllm25paged_attention_v1_kernelIthLi192ELi32ELi128ELNS_18Fp8KVCacheDataTypeE1ELb0EEEvPT_PKS2_PKT0_S8_ifPKiSA_iPKfiiiSC_SC_iiiii
	.globl	_ZN4vllm25paged_attention_v1_kernelIthLi192ELi32ELi128ELNS_18Fp8KVCacheDataTypeE1ELb0EEEvPT_PKS2_PKT0_S8_ifPKiSA_iPKfiiiSC_SC_iiiii
	.p2align	8
	.type	_ZN4vllm25paged_attention_v1_kernelIthLi192ELi32ELi128ELNS_18Fp8KVCacheDataTypeE1ELb0EEEvPT_PKS2_PKT0_S8_ifPKiSA_iPKfiiiSC_SC_iiiii,@function
_ZN4vllm25paged_attention_v1_kernelIthLi192ELi32ELi128ELNS_18Fp8KVCacheDataTypeE1ELb0EEEvPT_PKS2_PKT0_S8_ifPKiSA_iPKfiiiSC_SC_iiiii: ; @_ZN4vllm25paged_attention_v1_kernelIthLi192ELi32ELi128ELNS_18Fp8KVCacheDataTypeE1ELb0EEEvPT_PKS2_PKT0_S8_ifPKiSA_iPKfiiiSC_SC_iiiii
; %bb.0:
	s_clause 0x5
	s_load_b256 s[12:19], s[0:1], 0x0
	s_load_b128 s[4:7], s[0:1], 0x20
	s_load_b96 s[20:22], s[0:1], 0x30
	s_load_b64 s[10:11], s[0:1], 0x40
	s_load_b96 s[28:30], s[0:1], 0x48
	s_load_b128 s[24:27], s[0:1], 0x58
	v_mov_b32_e32 v31, v0
	s_get_pc_i64 s[2:3]
	s_add_nc_u64 s[2:3], s[2:3], _ZN4vllm22paged_attention_kernelIthLi192ELi32ELi128ELNS_18Fp8KVCacheDataTypeE1ELb0ELi0EEEvPfS2_PT_PKS3_PKT0_S9_ifPKiSB_iPKfiiiSD_SD_iiiii@rel64+4
	s_add_nc_u64 s[8:9], s[0:1], 0x80
	s_mov_b32 s32, 0
	s_wait_kmcnt 0x0
	v_dual_mov_b32 v0, s12 :: v_dual_mov_b32 v1, s13
	v_dual_mov_b32 v2, s14 :: v_dual_mov_b32 v3, s15
	;; [unrolled: 1-line block ×12, first 2 shown]
	s_mov_b32 s15, 42
	s_swap_pc_i64 s[30:31], s[2:3]
	s_endpgm
	.section	.rodata,"a",@progbits
	.p2align	6, 0x0
	.amdhsa_kernel _ZN4vllm25paged_attention_v1_kernelIthLi192ELi32ELi128ELNS_18Fp8KVCacheDataTypeE1ELb0EEEvPT_PKS2_PKT0_S8_ifPKiSA_iPKfiiiSC_SC_iiiii
		.amdhsa_group_segment_fixed_size 416
		.amdhsa_private_segment_fixed_size 680
		.amdhsa_kernarg_size 384
		.amdhsa_user_sgpr_count 2
		.amdhsa_user_sgpr_dispatch_ptr 0
		.amdhsa_user_sgpr_queue_ptr 0
		.amdhsa_user_sgpr_kernarg_segment_ptr 1
		.amdhsa_user_sgpr_dispatch_id 0
		.amdhsa_user_sgpr_kernarg_preload_length 0
		.amdhsa_user_sgpr_kernarg_preload_offset 0
		.amdhsa_user_sgpr_private_segment_size 0
		.amdhsa_wavefront_size32 1
		.amdhsa_uses_dynamic_stack 0
		.amdhsa_enable_private_segment 1
		.amdhsa_system_sgpr_workgroup_id_x 1
		.amdhsa_system_sgpr_workgroup_id_y 1
		.amdhsa_system_sgpr_workgroup_id_z 1
		.amdhsa_system_sgpr_workgroup_info 0
		.amdhsa_system_vgpr_workitem_id 0
		.amdhsa_next_free_vgpr 128
		.amdhsa_next_free_sgpr 33
		.amdhsa_named_barrier_count 0
		.amdhsa_reserve_vcc 1
		.amdhsa_float_round_mode_32 0
		.amdhsa_float_round_mode_16_64 0
		.amdhsa_float_denorm_mode_32 3
		.amdhsa_float_denorm_mode_16_64 3
		.amdhsa_fp16_overflow 0
		.amdhsa_memory_ordered 1
		.amdhsa_forward_progress 1
		.amdhsa_inst_pref_size 2
		.amdhsa_round_robin_scheduling 0
		.amdhsa_exception_fp_ieee_invalid_op 0
		.amdhsa_exception_fp_denorm_src 0
		.amdhsa_exception_fp_ieee_div_zero 0
		.amdhsa_exception_fp_ieee_overflow 0
		.amdhsa_exception_fp_ieee_underflow 0
		.amdhsa_exception_fp_ieee_inexact 0
		.amdhsa_exception_int_div_zero 0
	.end_amdhsa_kernel
	.section	.text._ZN4vllm25paged_attention_v1_kernelIthLi192ELi32ELi128ELNS_18Fp8KVCacheDataTypeE1ELb0EEEvPT_PKS2_PKT0_S8_ifPKiSA_iPKfiiiSC_SC_iiiii,"axG",@progbits,_ZN4vllm25paged_attention_v1_kernelIthLi192ELi32ELi128ELNS_18Fp8KVCacheDataTypeE1ELb0EEEvPT_PKS2_PKT0_S8_ifPKiSA_iPKfiiiSC_SC_iiiii,comdat
.Lfunc_end301:
	.size	_ZN4vllm25paged_attention_v1_kernelIthLi192ELi32ELi128ELNS_18Fp8KVCacheDataTypeE1ELb0EEEvPT_PKS2_PKT0_S8_ifPKiSA_iPKfiiiSC_SC_iiiii, .Lfunc_end301-_ZN4vllm25paged_attention_v1_kernelIthLi192ELi32ELi128ELNS_18Fp8KVCacheDataTypeE1ELb0EEEvPT_PKS2_PKT0_S8_ifPKiSA_iPKfiiiSC_SC_iiiii
                                        ; -- End function
	.set _ZN4vllm25paged_attention_v1_kernelIthLi192ELi32ELi128ELNS_18Fp8KVCacheDataTypeE1ELb0EEEvPT_PKS2_PKT0_S8_ifPKiSA_iPKfiiiSC_SC_iiiii.num_vgpr, max(32, .L_ZN4vllm22paged_attention_kernelIthLi192ELi32ELi128ELNS_18Fp8KVCacheDataTypeE1ELb0ELi0EEEvPfS2_PT_PKS3_PKT0_S9_ifPKiSB_iPKfiiiSD_SD_iiiii.num_vgpr)
	.set _ZN4vllm25paged_attention_v1_kernelIthLi192ELi32ELi128ELNS_18Fp8KVCacheDataTypeE1ELb0EEEvPT_PKS2_PKT0_S8_ifPKiSA_iPKfiiiSC_SC_iiiii.num_agpr, max(0, .L_ZN4vllm22paged_attention_kernelIthLi192ELi32ELi128ELNS_18Fp8KVCacheDataTypeE1ELb0ELi0EEEvPfS2_PT_PKS3_PKT0_S9_ifPKiSB_iPKfiiiSD_SD_iiiii.num_agpr)
	.set _ZN4vllm25paged_attention_v1_kernelIthLi192ELi32ELi128ELNS_18Fp8KVCacheDataTypeE1ELb0EEEvPT_PKS2_PKT0_S8_ifPKiSA_iPKfiiiSC_SC_iiiii.numbered_sgpr, max(33, .L_ZN4vllm22paged_attention_kernelIthLi192ELi32ELi128ELNS_18Fp8KVCacheDataTypeE1ELb0ELi0EEEvPfS2_PT_PKS3_PKT0_S9_ifPKiSB_iPKfiiiSD_SD_iiiii.numbered_sgpr)
	.set _ZN4vllm25paged_attention_v1_kernelIthLi192ELi32ELi128ELNS_18Fp8KVCacheDataTypeE1ELb0EEEvPT_PKS2_PKT0_S8_ifPKiSA_iPKfiiiSC_SC_iiiii.num_named_barrier, max(0, .L_ZN4vllm22paged_attention_kernelIthLi192ELi32ELi128ELNS_18Fp8KVCacheDataTypeE1ELb0ELi0EEEvPfS2_PT_PKS3_PKT0_S9_ifPKiSB_iPKfiiiSD_SD_iiiii.num_named_barrier)
	.set _ZN4vllm25paged_attention_v1_kernelIthLi192ELi32ELi128ELNS_18Fp8KVCacheDataTypeE1ELb0EEEvPT_PKS2_PKT0_S8_ifPKiSA_iPKfiiiSC_SC_iiiii.private_seg_size, 0+max(.L_ZN4vllm22paged_attention_kernelIthLi192ELi32ELi128ELNS_18Fp8KVCacheDataTypeE1ELb0ELi0EEEvPfS2_PT_PKS3_PKT0_S9_ifPKiSB_iPKfiiiSD_SD_iiiii.private_seg_size)
	.set _ZN4vllm25paged_attention_v1_kernelIthLi192ELi32ELi128ELNS_18Fp8KVCacheDataTypeE1ELb0EEEvPT_PKS2_PKT0_S8_ifPKiSA_iPKfiiiSC_SC_iiiii.uses_vcc, or(1, .L_ZN4vllm22paged_attention_kernelIthLi192ELi32ELi128ELNS_18Fp8KVCacheDataTypeE1ELb0ELi0EEEvPfS2_PT_PKS3_PKT0_S9_ifPKiSB_iPKfiiiSD_SD_iiiii.uses_vcc)
	.set _ZN4vllm25paged_attention_v1_kernelIthLi192ELi32ELi128ELNS_18Fp8KVCacheDataTypeE1ELb0EEEvPT_PKS2_PKT0_S8_ifPKiSA_iPKfiiiSC_SC_iiiii.uses_flat_scratch, or(0, .L_ZN4vllm22paged_attention_kernelIthLi192ELi32ELi128ELNS_18Fp8KVCacheDataTypeE1ELb0ELi0EEEvPfS2_PT_PKS3_PKT0_S9_ifPKiSB_iPKfiiiSD_SD_iiiii.uses_flat_scratch)
	.set _ZN4vllm25paged_attention_v1_kernelIthLi192ELi32ELi128ELNS_18Fp8KVCacheDataTypeE1ELb0EEEvPT_PKS2_PKT0_S8_ifPKiSA_iPKfiiiSC_SC_iiiii.has_dyn_sized_stack, or(0, .L_ZN4vllm22paged_attention_kernelIthLi192ELi32ELi128ELNS_18Fp8KVCacheDataTypeE1ELb0ELi0EEEvPfS2_PT_PKS3_PKT0_S9_ifPKiSB_iPKfiiiSD_SD_iiiii.has_dyn_sized_stack)
	.set _ZN4vllm25paged_attention_v1_kernelIthLi192ELi32ELi128ELNS_18Fp8KVCacheDataTypeE1ELb0EEEvPT_PKS2_PKT0_S8_ifPKiSA_iPKfiiiSC_SC_iiiii.has_recursion, or(0, .L_ZN4vllm22paged_attention_kernelIthLi192ELi32ELi128ELNS_18Fp8KVCacheDataTypeE1ELb0ELi0EEEvPfS2_PT_PKS3_PKT0_S9_ifPKiSB_iPKfiiiSD_SD_iiiii.has_recursion)
	.set _ZN4vllm25paged_attention_v1_kernelIthLi192ELi32ELi128ELNS_18Fp8KVCacheDataTypeE1ELb0EEEvPT_PKS2_PKT0_S8_ifPKiSA_iPKfiiiSC_SC_iiiii.has_indirect_call, or(0, .L_ZN4vllm22paged_attention_kernelIthLi192ELi32ELi128ELNS_18Fp8KVCacheDataTypeE1ELb0ELi0EEEvPfS2_PT_PKS3_PKT0_S9_ifPKiSB_iPKfiiiSD_SD_iiiii.has_indirect_call)
	.section	.AMDGPU.csdata,"",@progbits
; Kernel info:
; codeLenInByte = 196
; TotalNumSgprs: 35
; NumVgprs: 128
; ScratchSize: 680
; MemoryBound: 0
; FloatMode: 240
; IeeeMode: 1
; LDSByteSize: 416 bytes/workgroup (compile time only)
; SGPRBlocks: 0
; VGPRBlocks: 7
; NumSGPRsForWavesPerEU: 35
; NumVGPRsForWavesPerEU: 128
; NamedBarCnt: 0
; Occupancy: 8
; WaveLimiterHint : 1
; COMPUTE_PGM_RSRC2:SCRATCH_EN: 1
; COMPUTE_PGM_RSRC2:USER_SGPR: 2
; COMPUTE_PGM_RSRC2:TRAP_HANDLER: 0
; COMPUTE_PGM_RSRC2:TGID_X_EN: 1
; COMPUTE_PGM_RSRC2:TGID_Y_EN: 1
; COMPUTE_PGM_RSRC2:TGID_Z_EN: 1
; COMPUTE_PGM_RSRC2:TIDIG_COMP_CNT: 0
	.text
	.p2align	2                               ; -- Begin function _ZN4vllm22paged_attention_kernelIthLi256ELi32ELi128ELNS_18Fp8KVCacheDataTypeE1ELb0ELi0EEEvPfS2_PT_PKS3_PKT0_S9_ifPKiSB_iPKfiiiSD_SD_iiiii
	.type	_ZN4vllm22paged_attention_kernelIthLi256ELi32ELi128ELNS_18Fp8KVCacheDataTypeE1ELb0ELi0EEEvPfS2_PT_PKS3_PKT0_S9_ifPKiSB_iPKfiiiSD_SD_iiiii,@function
_ZN4vllm22paged_attention_kernelIthLi256ELi32ELi128ELNS_18Fp8KVCacheDataTypeE1ELb0ELi0EEEvPfS2_PT_PKS3_PKT0_S9_ifPKiSB_iPKfiiiSD_SD_iiiii: ; @_ZN4vllm22paged_attention_kernelIthLi256ELi32ELi128ELNS_18Fp8KVCacheDataTypeE1ELb0ELi0EEEvPfS2_PT_PKS3_PKT0_S9_ifPKiSB_iPKfiiiSD_SD_iiiii
; %bb.0:
	s_wait_loadcnt_dscnt 0x0
	s_wait_kmcnt 0x0
	s_clause 0x2f
	scratch_store_b32 off, v40, s32 offset:188
	; meta instruction
	scratch_store_b32 off, v41, s32 offset:184
	; meta instruction
	;; [unrolled: 2-line block ×47, first 2 shown]
	scratch_store_b32 off, v127, s32
	s_bfe_u32 s0, ttmp6, 0x4000c
	s_bfe_u32 s2, ttmp6, 0x40010
	s_add_co_i32 s0, s0, 1
	s_and_b32 s1, ttmp6, 15
	s_mul_i32 s0, ttmp9, s0
	s_and_b32 s3, ttmp7, 0xffff
	s_add_co_i32 s2, s2, 1
	s_add_co_i32 s0, s1, s0
	s_mul_i32 s1, s3, s2
	s_bfe_u32 s2, ttmp6, 0x40004
	s_getreg_b32 s18, hwreg(HW_REG_IB_STS2, 6, 4)
	s_add_co_i32 s2, s2, s1
	s_cmp_eq_u32 s18, 0
	s_mov_b32 s1, 0
	s_cselect_b32 s19, s3, s2
	s_cselect_b32 s2, ttmp9, s0
	s_lshl_b32 s0, s19, 2
	s_clause 0x5
	scratch_store_b64 off, v[20:21], s32 offset:848
	scratch_store_b64 off, v[18:19], s32 offset:816
	;; [unrolled: 1-line block ×3, first 2 shown]
	scratch_store_b32 off, v9, s32 offset:856
	scratch_store_b64 off, v[6:7], s32 offset:916
	scratch_store_b64 off, v[0:1], s32 offset:908
	s_wait_xcnt 0x0
	v_add_nc_u64_e32 v[0:1], s[0:1], v[12:13]
	v_mov_b32_e32 v27, 0
	s_clause 0x1
	s_load_u16 s0, s[8:9], 0x12
	s_load_b32 s3, s[8:9], 0x0
	v_dual_mov_b32 v25, v16 :: v_dual_mov_b32 v24, v15
	global_load_u16 v6, v27, s[8:9] offset:22
	flat_load_b32 v0, v[0:1]
	s_mov_b32 s14, s15
	s_mov_b32 s4, exec_lo
	s_wait_kmcnt 0x0
	s_cmp_lg_u32 s0, 0
	s_cselect_b32 s0, -1, 0
	s_delay_alu instid0(SALU_CYCLE_1) | instskip(SKIP_1) | instid1(SALU_CYCLE_1)
	s_cmp_lg_u32 s0, 0
	s_add_co_ci_u32 s20, s3, 0
	s_abs_i32 s0, s20
	s_wait_loadcnt 0x1
	v_readfirstlane_b32 s21, v6
	v_mov_b32_e32 v6, v27
	s_wait_loadcnt_dscnt 0x0
	scratch_store_b64 off, v[0:1], s32 offset:808 ; 8-byte Folded Spill
	s_wait_xcnt 0x0
	v_sub_nc_u32_e32 v0, 0, v8
	scratch_store_b32 off, v6, s32 offset:844 ; 4-byte Folded Spill
	v_max_i32_e32 v0, v8, v0
	s_delay_alu instid0(VALU_DEP_1) | instskip(NEXT) | instid1(VALU_DEP_1)
	v_cvt_f32_u32_e32 v1, v0
	v_rcp_iflag_f32_e32 v1, v1
	v_nop
	s_delay_alu instid0(TRANS32_DEP_1) | instskip(SKIP_1) | instid1(VALU_DEP_2)
	v_mul_f32_e32 v1, 0x4f7ffffe, v1
	v_sub_nc_u32_e32 v7, 0, v0
	v_cvt_u32_f32_e32 v1, v1
	s_delay_alu instid0(VALU_DEP_1) | instskip(NEXT) | instid1(VALU_DEP_1)
	v_mul_lo_u32 v7, v7, v1
	v_mul_hi_u32 v7, v1, v7
	s_delay_alu instid0(VALU_DEP_1) | instskip(NEXT) | instid1(VALU_DEP_1)
	v_add_nc_u32_e32 v1, v1, v7
	v_mul_hi_u32 v1, s0, v1
	s_delay_alu instid0(VALU_DEP_1) | instskip(NEXT) | instid1(VALU_DEP_1)
	v_mul_lo_u32 v7, v1, v0
	v_dual_add_nc_u32 v9, 1, v1 :: v_dual_sub_nc_u32 v7, s0, v7
	s_abs_i32 s0, s2
	s_delay_alu instid0(VALU_DEP_1) | instskip(NEXT) | instid1(VALU_DEP_2)
	v_cmp_ge_u32_e32 vcc_lo, v7, v0
	v_dual_cndmask_b32 v1, v1, v9 :: v_dual_sub_nc_u32 v10, v7, v0
	s_delay_alu instid0(VALU_DEP_1) | instskip(NEXT) | instid1(VALU_DEP_1)
	v_dual_cndmask_b32 v7, v7, v10, vcc_lo :: v_dual_bitop2_b32 v8, s20, v8 bitop3:0x14
	v_dual_add_nc_u32 v9, 1, v1 :: v_dual_ashrrev_i32 v8, 31, v8
	s_delay_alu instid0(VALU_DEP_2) | instskip(NEXT) | instid1(VALU_DEP_2)
	v_cmp_ge_u32_e32 vcc_lo, v7, v0
	v_cndmask_b32_e32 v0, v1, v9, vcc_lo
	s_delay_alu instid0(VALU_DEP_1) | instskip(NEXT) | instid1(VALU_DEP_1)
	v_xor_b32_e32 v0, v0, v8
	v_sub_nc_u32_e32 v1, v0, v8
	s_delay_alu instid0(VALU_DEP_1) | instskip(NEXT) | instid1(VALU_DEP_1)
	v_sub_nc_u32_e32 v0, 0, v1
	v_max_i32_e32 v0, v1, v0
	s_delay_alu instid0(VALU_DEP_1) | instskip(SKIP_1) | instid1(VALU_DEP_2)
	v_cvt_f32_u32_e32 v7, v0
	v_sub_nc_u32_e32 v8, 0, v0
	v_rcp_iflag_f32_e32 v7, v7
	v_nop
	s_delay_alu instid0(TRANS32_DEP_1) | instskip(NEXT) | instid1(VALU_DEP_1)
	v_mul_f32_e32 v7, 0x4f7ffffe, v7
	v_cvt_u32_f32_e32 v7, v7
	s_delay_alu instid0(VALU_DEP_1) | instskip(NEXT) | instid1(VALU_DEP_1)
	v_mul_lo_u32 v8, v8, v7
	v_mul_hi_u32 v8, v7, v8
	s_delay_alu instid0(VALU_DEP_1)
	v_add_nc_u32_e32 v26, v7, v8
	s_wait_xcnt 0x0
	v_cmpx_ne_u64_e32 0, v[24:25]
	s_cbranch_execz .LBB302_2
; %bb.1:
	s_ashr_i32 s3, s2, 31
	s_delay_alu instid0(SALU_CYCLE_1)
	v_lshl_add_u64 v[6:7], s[2:3], 2, v[24:25]
	flat_load_b32 v6, v[6:7]
	s_wait_loadcnt_dscnt 0x0
	scratch_store_b32 off, v6, s32 offset:844 ; 4-byte Folded Spill
.LBB302_2:
	s_wait_xcnt 0x0
	s_or_b32 exec_lo, exec_lo, s4
	v_mul_u64_e32 v[24:25], s[0:1], v[26:27]
	v_and_b32_e32 v12, 0x3ff, v31
	v_ashrrev_i32_e32 v1, 31, v1
	s_ashr_i32 s1, s2, 31
	s_lshl_b32 s10, s2, 8
	s_mov_b32 s2, exec_lo
	v_cmpx_gt_u32_e32 32, v12
	s_cbranch_execz .LBB302_4
; %bb.3:
	v_mul_lo_u32 v6, v17, s19
	s_ashr_i32 s11, s10, 31
	v_dual_mov_b32 v11, 0 :: v_dual_lshlrev_b32 v10, 4, v12
	s_delay_alu instid0(VALU_DEP_2) | instskip(NEXT) | instid1(VALU_DEP_1)
	v_ashrrev_i32_e32 v7, 31, v6
	v_lshl_add_u64 v[2:3], v[6:7], 1, v[2:3]
	s_delay_alu instid0(VALU_DEP_1) | instskip(NEXT) | instid1(VALU_DEP_1)
	v_lshl_add_u64 v[2:3], s[10:11], 1, v[2:3]
	v_add_nc_u64_e32 v[2:3], v[2:3], v[10:11]
	flat_load_b128 v[6:9], v[2:3]
	s_wait_loadcnt_dscnt 0x0
	ds_store_b128 v10, v[6:9]
.LBB302_4:
	s_wait_xcnt 0x0
	s_or_b32 exec_lo, exec_lo, s2
	scratch_load_b64 v[8:9], off, s32 offset:808 ; 8-byte Folded Reload
	v_mul_lo_u32 v2, v25, v0
	s_load_b32 s9, s[8:9], 0x8
	s_get_pc_i64 s[12:13]
	s_add_nc_u64 s[12:13], s[12:13], llvm.amdgcn.dynlds.offset.table@rel64+4
	v_add_nc_u32_e32 v3, 1, v25
	s_delay_alu instid0(VALU_DEP_2) | instskip(NEXT) | instid1(VALU_DEP_1)
	v_dual_sub_nc_u32 v2, s0, v2 :: v_dual_bitop2_b32 v1, s1, v1 bitop3:0x14
	v_cmp_ge_u32_e32 vcc_lo, v2, v0
	s_delay_alu instid0(VALU_DEP_3) | instskip(NEXT) | instid1(VALU_DEP_1)
	v_dual_cndmask_b32 v3, v25, v3 :: v_dual_sub_nc_u32 v6, v2, v0
	v_dual_cndmask_b32 v2, v2, v6, vcc_lo :: v_dual_add_nc_u32 v6, 1, v3
	s_delay_alu instid0(VALU_DEP_1) | instskip(SKIP_1) | instid1(VALU_DEP_2)
	v_cmp_ge_u32_e32 vcc_lo, v2, v0
	s_wait_loadcnt 0x0
	v_dual_cndmask_b32 v0, v3, v6 :: v_dual_add_nc_u32 v7, 31, v8
	v_mul_lo_u32 v6, v14, s19
	s_delay_alu instid0(VALU_DEP_2) | instskip(NEXT) | instid1(VALU_DEP_1)
	v_dual_lshrrev_b32 v3, 3, v12 :: v_dual_ashrrev_i32 v2, 31, v7
	v_dual_lshrrev_b32 v2, 27, v2 :: v_dual_bitop2_b32 v0, v0, v1 bitop3:0x14
	s_delay_alu instid0(VALU_DEP_1) | instskip(NEXT) | instid1(VALU_DEP_1)
	v_dual_sub_nc_u32 v0, v0, v1 :: v_dual_add_nc_u32 v1, v7, v2
	v_mul_lo_u32 v8, v0, v19
	v_dual_lshrrev_b32 v0, 5, v12 :: v_dual_bitop2_b32 v2, 31, v12 bitop3:0x40
	v_mov_b32_e32 v11, 0xff7fffff
	s_delay_alu instid0(VALU_DEP_4) | instskip(NEXT) | instid1(VALU_DEP_3)
	v_dual_ashrrev_i32 v1, 5, v1 :: v_dual_ashrrev_i32 v7, 31, v6
	v_lshlrev_b32_e32 v10, 2, v2
	s_delay_alu instid0(VALU_DEP_2)
	v_cmp_ge_i32_e64 s0, v0, v1
	v_cmp_lt_i32_e32 vcc_lo, v0, v1
	v_ashrrev_i32_e32 v9, 31, v8
	s_clause 0x5
	scratch_store_b32 off, v3, s32 offset:904
	scratch_store_b64 off, v[6:7], s32 offset:896
	scratch_store_b32 off, v0, s32 offset:876
	scratch_store_b32 off, v1, s32 offset:192
	scratch_store_b64 off, v[8:9], s32 offset:880
	scratch_store_b32 off, v2, s32 offset:872
	s_wait_storecnt_dscnt 0x0
	s_barrier_signal -1
	s_barrier_wait -1
	s_wait_xcnt 0x0
	s_mov_b32 s4, exec_lo
	s_delay_alu instid0(SALU_CYCLE_1)
	s_and_b32 s1, s4, vcc_lo
	scratch_store_b32 off, v12, s32 offset:868 ; 4-byte Folded Spill
	s_wait_xcnt 0x0
	s_mov_b32 exec_lo, s1
	s_cbranch_execz .LBB302_2056
; %bb.5:
	s_clause 0x1
	scratch_load_b64 v[0:1], off, s32 offset:880
	scratch_load_b32 v2, off, s32 offset:872
	s_ashr_i32 s15, s14, 31
	s_mov_b32 s5, 0
	s_lshl_b64 s[2:3], s[14:15], 2
	v_mov_b32_e32 v15, 0
	s_add_nc_u64 s[2:3], s[12:13], s[2:3]
	scratch_store_b32 off, v10, s32 offset:924 ; 4-byte Folded Spill
	s_load_b32 s1, s[2:3], 0x0
	s_wait_xcnt 0x0
	s_mov_b64 s[2:3], 0xffffffffffffff
	scratch_load_b32 v3, off, s32 offset:876 ; 4-byte Folded Reload
	s_wait_loadcnt 0x2
	v_add_nc_u64_e32 v[0:1], v[4:5], v[0:1]
	s_wait_loadcnt 0x1
	v_lshlrev_b32_e32 v14, 4, v2
	scratch_load_b64 v[4:5], off, s32 offset:888 ; 8-byte Folded Reload
	v_add_nc_u64_e32 v[0:1], v[0:1], v[14:15]
	s_wait_loadcnt 0x1
	v_lshl_or_b32 v33, v3, 5, v2
	v_lshl_or_b32 v2, v3, 7, v10
	v_mov_b32_e32 v11, 0xff7fffff
	s_clause 0x2
	scratch_store_b64 off, v[0:1], s32 offset:860
	scratch_store_b64 off, v[22:23], s32 offset:928
	scratch_load_b32 v0, off, s32 offset:904
	s_wait_kmcnt 0x0
	v_dual_mov_b32 v23, v3 :: v_dual_add_nc_u32 v22, s1, v2
	s_wait_loadcnt 0x0
	v_and_b32_e32 v14, 0x7c, v0
	scratch_load_b32 v0, off, s32 offset:844 ; 4-byte Folded Reload
	s_wait_loadcnt 0x0
	v_cmp_neq_f32_e32 vcc_lo, 0, v0
	scratch_load_b64 v[0:1], off, s32 offset:896 ; 8-byte Folded Reload
	s_wait_loadcnt 0x0
	v_lshl_add_u64 v[0:1], v[0:1], 2, v[14:15]
	s_delay_alu instid0(VALU_DEP_1)
	v_add_nc_u64_e32 v[0:1], v[4:5], v[0:1]
	s_branch .LBB302_10
.LBB302_6:                              ;   in Loop: Header=BB302_10 Depth=1
	s_or_b32 exec_lo, exec_lo, s11
	v_lshlrev_b32_e32 v0, 8, v14
	s_delay_alu instid0(VALU_DEP_2) | instskip(NEXT) | instid1(VALU_DEP_1)
	v_lshl_add_u32 v1, v3, 10, 0x2000
	v_and_or_b32 v0, 0x8000, v0, v1
	v_lshlrev_b32_e32 v1, 23, v2
	s_delay_alu instid0(VALU_DEP_1)
	v_lshl_or_b32 v9, v0, 16, v1
.LBB302_7:                              ;   in Loop: Header=BB302_10 Depth=1
	s_or_b32 exec_lo, exec_lo, s8
.LBB302_8:                              ;   in Loop: Header=BB302_10 Depth=1
	s_delay_alu instid0(SALU_CYCLE_1)
	s_or_b32 exec_lo, exec_lo, s7
	v_dual_mov_b32 v0, v36 :: v_dual_mov_b32 v1, v37
.LBB302_9:                              ;   in Loop: Header=BB302_10 Depth=1
	s_or_b32 exec_lo, exec_lo, s6
	s_clause 0x1
	scratch_store_b32 off, v1, s32 offset:840
	scratch_store_b32 off, v0, s32 offset:836
	ds_load_b128 v[2:5], v15
	s_wait_dscnt 0x0
	s_wait_xcnt 0x0
	v_lshrrev_b32_e32 v0, 16, v2
	v_and_b32_e32 v1, 0xffff, v2
	v_lshrrev_b32_e32 v2, 16, v3
	;;#ASMSTART
	v_cvt_f32_f16 v38, v1;
	;;#ASMEND
	;;#ASMSTART
	v_cvt_f32_f16 v39, v0;
	;;#ASMEND
	v_or_b32_e32 v0, v28, v26
	v_fma_mixlo_f16 v1, v53, v28, 0 op_sel:[0,1,0] op_sel_hi:[0,1,0]
	v_and_b32_e32 v3, 0xffff, v3
	v_dual_lshrrev_b32 v14, 16, v4 :: v_dual_lshrrev_b32 v66, 16, v5
	s_delay_alu instid0(VALU_DEP_4) | instskip(NEXT) | instid1(VALU_DEP_4)
	v_fma_mixlo_f16 v0, v53, v0, 0 op_sel_hi:[0,1,0]
	v_and_b32_e32 v1, 0xffff, v1
	v_and_b32_e32 v4, 0xffff, v4
	;; [unrolled: 1-line block ×3, first 2 shown]
	s_delay_alu instid0(VALU_DEP_4)
	v_and_b32_e32 v0, 0xffff, v0
	;;#ASMSTART
	v_cvt_f32_f16 v48, v0;
	;;#ASMEND
	v_or_b32_e32 v0, v30, v27
	;;#ASMSTART
	v_cvt_f32_f16 v49, v1;
	;;#ASMEND
	v_fma_mixlo_f16 v1, v53, v30, 0 op_sel:[0,1,0] op_sel_hi:[0,1,0]
	;;#ASMSTART
	v_cvt_f32_f16 v35, v3;
	;;#ASMEND
	;;#ASMSTART
	v_cvt_f32_f16 v34, v2;
	;;#ASMEND
	v_fma_mixlo_f16 v0, v53, v0, 0 op_sel_hi:[0,1,0]
	s_delay_alu instid0(VALU_DEP_2) | instskip(NEXT) | instid1(VALU_DEP_2)
	v_and_b32_e32 v1, 0xffff, v1
	v_and_b32_e32 v0, 0xffff, v0
	;;#ASMSTART
	v_cvt_f32_f16 v37, v0;
	;;#ASMEND
	v_or_b32_e32 v0, v32, v29
	;;#ASMSTART
	v_cvt_f32_f16 v36, v1;
	;;#ASMEND
	v_fma_mixlo_f16 v1, v53, v32, 0 op_sel:[0,1,0] op_sel_hi:[0,1,0]
	;;#ASMSTART
	v_cvt_f32_f16 v31, v4;
	;;#ASMEND
	;;#ASMSTART
	v_cvt_f32_f16 v30, v14;
	;;#ASMEND
	v_fma_mixlo_f16 v0, v53, v0, 0 op_sel_hi:[0,1,0]
	s_delay_alu instid0(VALU_DEP_2) | instskip(NEXT) | instid1(VALU_DEP_2)
	v_and_b32_e32 v1, 0xffff, v1
	;; [unrolled: 18-line block ×3, first 2 shown]
	v_and_b32_e32 v0, 0xffff, v0
	;;#ASMSTART
	v_cvt_f32_f16 v29, v0;
	;;#ASMEND
	;;#ASMSTART
	v_cvt_f32_f16 v28, v1;
	;;#ASMEND
	ds_load_b128 v[2:5], v15 offset:16
	s_wait_dscnt 0x0
	v_and_b32_e32 v0, 0xffff, v2
	;;#ASMSTART
	v_cvt_f32_f16 v50, v0;
	;;#ASMEND
	v_dual_lshrrev_b32 v1, 16, v2 :: v_dual_bitop2_b32 v0, v65, v64 bitop3:0x54
	;;#ASMSTART
	v_cvt_f32_f16 v51, v1;
	;;#ASMEND
	v_lshrrev_b32_e32 v2, 16, v4
	s_delay_alu instid0(VALU_DEP_2) | instskip(NEXT) | instid1(VALU_DEP_3)
	v_fma_mixlo_f16 v0, v53, v0, 0 op_sel_hi:[0,1,0]
	v_fma_mixlo_f16 v1, v53, v65, 0 op_sel:[0,1,0] op_sel_hi:[0,1,0]
	s_delay_alu instid0(VALU_DEP_2) | instskip(NEXT) | instid1(VALU_DEP_2)
	v_and_b32_e32 v0, 0xffff, v0
	v_and_b32_e32 v1, 0xffff, v1
	;;#ASMSTART
	v_cvt_f32_f16 v64, v0;
	;;#ASMEND
	v_lshrrev_b32_e32 v0, 16, v3
	;;#ASMSTART
	v_cvt_f32_f16 v65, v1;
	;;#ASMEND
	v_and_b32_e32 v1, 0xffff, v3
	;;#ASMSTART
	v_cvt_f32_f16 v69, v1;
	;;#ASMEND
	;;#ASMSTART
	v_cvt_f32_f16 v68, v0;
	;;#ASMEND
	v_or_b32_e32 v0, v120, v121
	v_pk_mul_f32 v[50:51], v[50:51], v[64:65]
	v_fma_mixlo_f16 v1, v53, v120, 0 op_sel:[0,1,0] op_sel_hi:[0,1,0]
	v_and_b32_e32 v3, 0xffff, v4
	v_lshrrev_b32_e32 v4, 16, v5
	v_fma_mixlo_f16 v0, v53, v0, 0 op_sel_hi:[0,1,0]
	v_pk_fma_f32 v[50:51], v[38:39], v[48:49], v[50:51]
	v_and_b32_e32 v1, 0xffff, v1
	v_and_b32_e32 v5, 0xffff, v5
	s_delay_alu instid0(VALU_DEP_4)
	v_and_b32_e32 v0, 0xffff, v0
	;;#ASMSTART
	v_cvt_f32_f16 v121, v0;
	;;#ASMEND
	v_or_b32_e32 v0, v67, v123
	;;#ASMSTART
	v_cvt_f32_f16 v120, v1;
	;;#ASMEND
	v_fma_mixlo_f16 v1, v53, v67, 0 op_sel:[0,1,0] op_sel_hi:[0,1,0]
	;;#ASMSTART
	v_cvt_f32_f16 v39, v3;
	;;#ASMEND
	;;#ASMSTART
	v_cvt_f32_f16 v38, v2;
	;;#ASMEND
	v_fma_mixlo_f16 v0, v53, v0, 0 op_sel_hi:[0,1,0]
	s_delay_alu instid0(VALU_DEP_2) | instskip(NEXT) | instid1(VALU_DEP_2)
	v_and_b32_e32 v1, 0xffff, v1
	v_and_b32_e32 v0, 0xffff, v0
	;;#ASMSTART
	v_cvt_f32_f16 v49, v0;
	;;#ASMEND
	v_or_b32_e32 v0, v45, v122
	;;#ASMSTART
	v_cvt_f32_f16 v48, v1;
	;;#ASMEND
	v_fma_mixlo_f16 v1, v53, v45, 0 op_sel:[0,1,0] op_sel_hi:[0,1,0]
	;;#ASMSTART
	v_cvt_f32_f16 v3, v5;
	;;#ASMEND
	;;#ASMSTART
	v_cvt_f32_f16 v2, v4;
	;;#ASMEND
	v_fma_mixlo_f16 v0, v53, v0, 0 op_sel_hi:[0,1,0]
	v_pk_mul_f32 v[38:39], v[38:39], v[48:49]
	v_and_b32_e32 v1, 0xffff, v1
	s_delay_alu instid0(VALU_DEP_3)
	v_and_b32_e32 v0, 0xffff, v0
	;;#ASMSTART
	v_cvt_f32_f16 v5, v0;
	;;#ASMEND
	;;#ASMSTART
	v_cvt_f32_f16 v4, v1;
	;;#ASMEND
	ds_load_b128 v[64:67], v15 offset:32
	v_pk_fma_f32 v[48:49], v[30:31], v[32:33], v[38:39]
	v_pk_mul_f32 v[2:3], v[2:3], v[4:5]
	s_delay_alu instid0(VALU_DEP_1)
	v_pk_fma_f32 v[2:3], v[26:27], v[28:29], v[2:3]
	s_wait_dscnt 0x0
	v_and_b32_e32 v0, 0xffff, v64
	;;#ASMSTART
	v_cvt_f32_f16 v122, v0;
	;;#ASMEND
	v_or_b32_e32 v0, v90, v44
	v_lshrrev_b32_e32 v1, 16, v64
	;;#ASMSTART
	v_cvt_f32_f16 v123, v1;
	;;#ASMEND
	v_lshrrev_b32_e32 v14, 16, v66
	s_delay_alu instid0(VALU_DEP_3) | instskip(NEXT) | instid1(VALU_DEP_3)
	v_fma_mixlo_f16 v0, v53, v0, 0 op_sel_hi:[0,1,0]
	v_fma_mixlo_f16 v1, v53, v90, 0 op_sel:[0,1,0] op_sel_hi:[0,1,0]
	s_delay_alu instid0(VALU_DEP_2) | instskip(NEXT) | instid1(VALU_DEP_2)
	v_and_b32_e32 v0, 0xffff, v0
	v_and_b32_e32 v1, 0xffff, v1
	;;#ASMSTART
	v_cvt_f32_f16 v44, v0;
	;;#ASMEND
	;;#ASMSTART
	v_cvt_f32_f16 v45, v1;
	;;#ASMEND
	v_lshrrev_b32_e32 v0, 16, v65
	v_pk_fma_f32 v[44:45], v[122:123], v[44:45], v[50:51]
	v_and_b32_e32 v1, 0xffff, v65
	;;#ASMSTART
	v_cvt_f32_f16 v123, v1;
	;;#ASMEND
	;;#ASMSTART
	v_cvt_f32_f16 v122, v0;
	;;#ASMEND
	v_or_b32_e32 v0, v91, v104
	v_pk_mul_f32 v[50:51], v[68:69], v[120:121]
	v_fma_mixlo_f16 v1, v53, v91, 0 op_sel:[0,1,0] op_sel_hi:[0,1,0]
	s_delay_alu instid0(VALU_DEP_3) | instskip(NEXT) | instid1(VALU_DEP_3)
	v_fma_mixlo_f16 v0, v53, v0, 0 op_sel_hi:[0,1,0]
	v_pk_fma_f32 v[120:121], v[34:35], v[36:37], v[50:51]
	s_delay_alu instid0(VALU_DEP_3)
	v_and_b32_e32 v1, 0xffff, v1
	v_and_b32_e32 v34, 0xffff, v66
	v_lshrrev_b32_e32 v36, 16, v67
	v_and_b32_e32 v0, 0xffff, v0
	;;#ASMSTART
	v_cvt_f32_f16 v91, v0;
	;;#ASMEND
	v_or_b32_e32 v0, v56, v105
	;;#ASMSTART
	v_cvt_f32_f16 v90, v1;
	;;#ASMEND
	v_fma_mixlo_f16 v1, v53, v56, 0 op_sel:[0,1,0] op_sel_hi:[0,1,0]
	;;#ASMSTART
	v_cvt_f32_f16 v51, v34;
	;;#ASMEND
	;;#ASMSTART
	v_cvt_f32_f16 v50, v14;
	;;#ASMEND
	v_fma_mixlo_f16 v0, v53, v0, 0 op_sel_hi:[0,1,0]
	v_and_b32_e32 v35, 0xffff, v67
	v_and_b32_e32 v1, 0xffff, v1
	s_delay_alu instid0(VALU_DEP_3)
	v_and_b32_e32 v0, 0xffff, v0
	;;#ASMSTART
	v_cvt_f32_f16 v65, v0;
	;;#ASMEND
	v_or_b32_e32 v0, v23, v71
	;;#ASMSTART
	v_cvt_f32_f16 v64, v1;
	;;#ASMEND
	v_fma_mixlo_f16 v1, v53, v23, 0 op_sel:[0,1,0] op_sel_hi:[0,1,0]
	;;#ASMSTART
	v_cvt_f32_f16 v35, v35;
	;;#ASMEND
	;;#ASMSTART
	v_cvt_f32_f16 v34, v36;
	;;#ASMEND
	v_fma_mixlo_f16 v0, v53, v0, 0 op_sel_hi:[0,1,0]
	v_pk_fma_f32 v[48:49], v[50:51], v[64:65], v[48:49]
	v_and_b32_e32 v1, 0xffff, v1
	s_delay_alu instid0(VALU_DEP_3)
	v_and_b32_e32 v0, 0xffff, v0
	;;#ASMSTART
	v_cvt_f32_f16 v37, v0;
	;;#ASMEND
	;;#ASMSTART
	v_cvt_f32_f16 v36, v1;
	;;#ASMEND
	ds_load_b128 v[66:69], v15 offset:48
	v_pk_fma_f32 v[34:35], v[34:35], v[36:37], v[2:3]
	s_wait_dscnt 0x0
	v_and_b32_e32 v0, 0xffff, v66
	;;#ASMSTART
	v_cvt_f32_f16 v104, v0;
	;;#ASMEND
	v_or_b32_e32 v0, v70, v22
	v_lshrrev_b32_e32 v1, 16, v66
	;;#ASMSTART
	v_cvt_f32_f16 v105, v1;
	;;#ASMEND
	v_and_b32_e32 v30, 0xffff, v68
	v_and_b32_e32 v31, 0xffff, v69
	v_fma_mixlo_f16 v0, v53, v0, 0 op_sel_hi:[0,1,0]
	v_fma_mixlo_f16 v1, v53, v70, 0 op_sel:[0,1,0] op_sel_hi:[0,1,0]
	v_dual_lshrrev_b32 v14, 16, v68 :: v_dual_lshrrev_b32 v32, 16, v69
	s_delay_alu instid0(VALU_DEP_3) | instskip(NEXT) | instid1(VALU_DEP_3)
	v_and_b32_e32 v0, 0xffff, v0
	v_and_b32_e32 v1, 0xffff, v1
	;;#ASMSTART
	v_cvt_f32_f16 v70, v0;
	;;#ASMEND
	;;#ASMSTART
	v_cvt_f32_f16 v71, v1;
	;;#ASMEND
	v_lshrrev_b32_e32 v0, 16, v67
	v_pk_fma_f32 v[70:71], v[104:105], v[70:71], v[44:45]
	v_pk_fma_f32 v[44:45], v[122:123], v[90:91], v[120:121]
	v_and_b32_e32 v1, 0xffff, v67
	;;#ASMSTART
	v_cvt_f32_f16 v91, v1;
	;;#ASMEND
	;;#ASMSTART
	v_cvt_f32_f16 v90, v0;
	;;#ASMEND
	v_or_b32_e32 v0, v85, v84
	s_delay_alu instid0(VALU_DEP_2) | instskip(NEXT) | instid1(VALU_DEP_2)
	v_fma_mixlo_f16 v1, v53, v85, 0 op_sel:[0,1,0] op_sel_hi:[0,1,0]
	v_fma_mixlo_f16 v0, v53, v0, 0 op_sel_hi:[0,1,0]
	s_delay_alu instid0(VALU_DEP_2) | instskip(NEXT) | instid1(VALU_DEP_2)
	v_and_b32_e32 v1, 0xffff, v1
	v_and_b32_e32 v0, 0xffff, v0
	;;#ASMSTART
	v_cvt_f32_f16 v105, v0;
	;;#ASMEND
	v_or_b32_e32 v0, v87, v60
	;;#ASMSTART
	v_cvt_f32_f16 v104, v1;
	;;#ASMEND
	v_fma_mixlo_f16 v1, v53, v87, 0 op_sel:[0,1,0] op_sel_hi:[0,1,0]
	;;#ASMSTART
	v_cvt_f32_f16 v39, v30;
	;;#ASMEND
	;;#ASMSTART
	v_cvt_f32_f16 v38, v14;
	;;#ASMEND
	v_fma_mixlo_f16 v0, v53, v0, 0 op_sel_hi:[0,1,0]
	s_delay_alu instid0(VALU_DEP_2) | instskip(NEXT) | instid1(VALU_DEP_2)
	v_and_b32_e32 v1, 0xffff, v1
	v_and_b32_e32 v0, 0xffff, v0
	;;#ASMSTART
	v_cvt_f32_f16 v121, v0;
	;;#ASMEND
	;;#ASMSTART
	v_cvt_f32_f16 v120, v1;
	;;#ASMEND
	;; [unrolled: 3-line block ×4, first 2 shown]
	scratch_load_b32 v1, off, s32 offset:752 th:TH_LOAD_LU ; 4-byte Folded Reload
	v_pk_fma_f32 v[38:39], v[38:39], v[120:121], v[48:49]
	s_wait_loadcnt 0x0
	v_or_b32_e32 v0, v1, v126
	v_fma_mixlo_f16 v1, v53, v1, 0 op_sel:[0,1,0] op_sel_hi:[0,1,0]
	s_delay_alu instid0(VALU_DEP_2) | instskip(NEXT) | instid1(VALU_DEP_2)
	v_fma_mixlo_f16 v0, v53, v0, 0 op_sel_hi:[0,1,0]
	v_and_b32_e32 v1, 0xffff, v1
	s_delay_alu instid0(VALU_DEP_2)
	v_and_b32_e32 v0, 0xffff, v0
	;;#ASMSTART
	v_cvt_f32_f16 v33, v0;
	;;#ASMEND
	;;#ASMSTART
	v_cvt_f32_f16 v32, v1;
	;;#ASMEND
	ds_load_b128 v[66:69], v15 offset:64
	v_pk_fma_f32 v[30:31], v[30:31], v[32:33], v[34:35]
	s_wait_dscnt 0x0
	v_and_b32_e32 v0, 0xffff, v66
	v_lshrrev_b32_e32 v1, 16, v66
	;;#ASMSTART
	v_cvt_f32_f16 v122, v0;
	;;#ASMEND
	;;#ASMSTART
	v_cvt_f32_f16 v123, v1;
	;;#ASMEND
	s_clause 0x1
	scratch_load_b32 v0, off, s32 offset:196 th:TH_LOAD_LU
	scratch_load_b32 v1, off, s32 offset:212 th:TH_LOAD_LU
	v_lshrrev_b32_e32 v4, 16, v68
	v_and_b32_e32 v5, 0xffff, v68
	v_lshrrev_b32_e32 v14, 16, v69
	v_and_b32_e32 v26, 0xffff, v69
	s_wait_loadcnt 0x0
	v_or_b32_e32 v0, v1, v0
	v_fma_mixlo_f16 v1, v53, v1, 0 op_sel:[0,1,0] op_sel_hi:[0,1,0]
	s_delay_alu instid0(VALU_DEP_2) | instskip(NEXT) | instid1(VALU_DEP_2)
	v_fma_mixlo_f16 v0, v53, v0, 0 op_sel_hi:[0,1,0]
	v_and_b32_e32 v1, 0xffff, v1
	s_delay_alu instid0(VALU_DEP_2)
	v_and_b32_e32 v0, 0xffff, v0
	;;#ASMSTART
	v_cvt_f32_f16 v84, v0;
	;;#ASMEND
	;;#ASMSTART
	v_cvt_f32_f16 v85, v1;
	;;#ASMEND
	v_lshrrev_b32_e32 v0, 16, v67
	v_and_b32_e32 v1, 0xffff, v67
	;;#ASMSTART
	v_cvt_f32_f16 v51, v1;
	;;#ASMEND
	;;#ASMSTART
	v_cvt_f32_f16 v50, v0;
	;;#ASMEND
	s_clause 0x1
	scratch_load_b32 v0, off, s32 offset:204 th:TH_LOAD_LU
	scratch_load_b32 v1, off, s32 offset:220 th:TH_LOAD_LU
	v_pk_fma_f32 v[70:71], v[122:123], v[84:85], v[70:71]
	v_pk_fma_f32 v[84:85], v[90:91], v[104:105], v[44:45]
	s_wait_loadcnt 0x0
	v_or_b32_e32 v0, v1, v0
	v_fma_mixlo_f16 v1, v53, v1, 0 op_sel:[0,1,0] op_sel_hi:[0,1,0]
	s_delay_alu instid0(VALU_DEP_2) | instskip(NEXT) | instid1(VALU_DEP_2)
	v_fma_mixlo_f16 v0, v53, v0, 0 op_sel_hi:[0,1,0]
	v_and_b32_e32 v1, 0xffff, v1
	s_delay_alu instid0(VALU_DEP_2)
	v_and_b32_e32 v0, 0xffff, v0
	;;#ASMSTART
	v_cvt_f32_f16 v65, v0;
	;;#ASMEND
	;;#ASMSTART
	v_cvt_f32_f16 v64, v1;
	;;#ASMEND
	;; [unrolled: 3-line block ×4, first 2 shown]
	s_clause 0x1
	scratch_load_b32 v0, off, s32 offset:216 th:TH_LOAD_LU
	scratch_load_b32 v1, off, s32 offset:228 th:TH_LOAD_LU
	v_pk_fma_f32 v[50:51], v[50:51], v[64:65], v[84:85]
	s_wait_loadcnt 0x0
	v_or_b32_e32 v0, v1, v0
	v_fma_mixlo_f16 v1, v53, v1, 0 op_sel:[0,1,0] op_sel_hi:[0,1,0]
	s_delay_alu instid0(VALU_DEP_2) | instskip(NEXT) | instid1(VALU_DEP_2)
	v_fma_mixlo_f16 v0, v53, v0, 0 op_sel_hi:[0,1,0]
	v_and_b32_e32 v1, 0xffff, v1
	s_delay_alu instid0(VALU_DEP_2)
	v_and_b32_e32 v0, 0xffff, v0
	;;#ASMSTART
	v_cvt_f32_f16 v69, v0;
	;;#ASMEND
	;;#ASMSTART
	v_cvt_f32_f16 v68, v1;
	;;#ASMEND
	;; [unrolled: 3-line block ×4, first 2 shown]
	s_clause 0x1
	scratch_load_b32 v0, off, s32 offset:224 th:TH_LOAD_LU
	scratch_load_b32 v1, off, s32 offset:756 th:TH_LOAD_LU
	v_pk_fma_f32 v[38:39], v[66:67], v[68:69], v[38:39]
	s_wait_loadcnt 0x0
	v_or_b32_e32 v0, v1, v0
	v_fma_mixlo_f16 v1, v53, v1, 0 op_sel:[0,1,0] op_sel_hi:[0,1,0]
	s_delay_alu instid0(VALU_DEP_2) | instskip(NEXT) | instid1(VALU_DEP_2)
	v_fma_mixlo_f16 v0, v53, v0, 0 op_sel_hi:[0,1,0]
	v_and_b32_e32 v1, 0xffff, v1
	s_delay_alu instid0(VALU_DEP_2)
	v_and_b32_e32 v0, 0xffff, v0
	;;#ASMSTART
	v_cvt_f32_f16 v45, v0;
	;;#ASMEND
	;;#ASMSTART
	v_cvt_f32_f16 v44, v1;
	;;#ASMEND
	ds_load_b128 v[26:29], v15 offset:80
	v_pk_fma_f32 v[4:5], v[4:5], v[44:45], v[30:31]
	s_wait_dscnt 0x0
	v_and_b32_e32 v0, 0xffff, v26
	v_lshrrev_b32_e32 v1, 16, v26
	;;#ASMSTART
	v_cvt_f32_f16 v90, v0;
	;;#ASMEND
	;;#ASMSTART
	v_cvt_f32_f16 v91, v1;
	;;#ASMEND
	s_clause 0x1
	scratch_load_b32 v0, off, s32 offset:232 th:TH_LOAD_LU
	scratch_load_b32 v1, off, s32 offset:240 th:TH_LOAD_LU
	v_lshrrev_b32_e32 v2, 16, v28
	v_and_b32_e32 v3, 0xffff, v28
	v_lshrrev_b32_e32 v14, 16, v29
	v_and_b32_e32 v26, 0xffff, v29
	s_wait_loadcnt 0x0
	v_or_b32_e32 v0, v1, v0
	v_fma_mixlo_f16 v1, v53, v1, 0 op_sel:[0,1,0] op_sel_hi:[0,1,0]
	s_delay_alu instid0(VALU_DEP_2) | instskip(NEXT) | instid1(VALU_DEP_2)
	v_fma_mixlo_f16 v0, v53, v0, 0 op_sel_hi:[0,1,0]
	v_and_b32_e32 v1, 0xffff, v1
	s_delay_alu instid0(VALU_DEP_2)
	v_and_b32_e32 v0, 0xffff, v0
	;;#ASMSTART
	v_cvt_f32_f16 v104, v0;
	;;#ASMEND
	;;#ASMSTART
	v_cvt_f32_f16 v105, v1;
	;;#ASMEND
	v_lshrrev_b32_e32 v0, 16, v27
	v_and_b32_e32 v1, 0xffff, v27
	;;#ASMSTART
	v_cvt_f32_f16 v37, v1;
	;;#ASMEND
	;;#ASMSTART
	v_cvt_f32_f16 v36, v0;
	;;#ASMEND
	s_clause 0x1
	scratch_load_b32 v0, off, s32 offset:236 th:TH_LOAD_LU
	scratch_load_b32 v1, off, s32 offset:248 th:TH_LOAD_LU
	v_pk_fma_f32 v[70:71], v[90:91], v[104:105], v[70:71]
	s_wait_loadcnt 0x0
	v_or_b32_e32 v0, v1, v0
	v_fma_mixlo_f16 v1, v53, v1, 0 op_sel:[0,1,0] op_sel_hi:[0,1,0]
	s_delay_alu instid0(VALU_DEP_2) | instskip(NEXT) | instid1(VALU_DEP_2)
	v_fma_mixlo_f16 v0, v53, v0, 0 op_sel_hi:[0,1,0]
	v_and_b32_e32 v1, 0xffff, v1
	s_delay_alu instid0(VALU_DEP_2)
	v_and_b32_e32 v0, 0xffff, v0
	;;#ASMSTART
	v_cvt_f32_f16 v49, v0;
	;;#ASMEND
	;;#ASMSTART
	v_cvt_f32_f16 v48, v1;
	;;#ASMEND
	;;#ASMSTART
	v_cvt_f32_f16 v65, v3;
	;;#ASMEND
	;;#ASMSTART
	v_cvt_f32_f16 v64, v2;
	;;#ASMEND
	s_clause 0x1
	scratch_load_b32 v0, off, s32 offset:244 th:TH_LOAD_LU
	scratch_load_b32 v1, off, s32 offset:256 th:TH_LOAD_LU
	v_pk_fma_f32 v[36:37], v[36:37], v[48:49], v[50:51]
	s_wait_loadcnt 0x0
	v_or_b32_e32 v0, v1, v0
	v_fma_mixlo_f16 v1, v53, v1, 0 op_sel:[0,1,0] op_sel_hi:[0,1,0]
	s_delay_alu instid0(VALU_DEP_2) | instskip(NEXT) | instid1(VALU_DEP_2)
	v_fma_mixlo_f16 v0, v53, v0, 0 op_sel_hi:[0,1,0]
	v_and_b32_e32 v1, 0xffff, v1
	s_delay_alu instid0(VALU_DEP_2)
	v_and_b32_e32 v0, 0xffff, v0
	;;#ASMSTART
	v_cvt_f32_f16 v85, v0;
	;;#ASMEND
	;;#ASMSTART
	v_cvt_f32_f16 v84, v1;
	;;#ASMEND
	;;#ASMSTART
	v_cvt_f32_f16 v3, v26;
	;;#ASMEND
	;;#ASMSTART
	v_cvt_f32_f16 v2, v14;
	;;#ASMEND
	s_clause 0x1
	scratch_load_b32 v0, off, s32 offset:252 th:TH_LOAD_LU
	scratch_load_b32 v1, off, s32 offset:760 th:TH_LOAD_LU
	v_pk_fma_f32 v[38:39], v[64:65], v[84:85], v[38:39]
	s_wait_loadcnt 0x0
	v_or_b32_e32 v0, v1, v0
	v_fma_mixlo_f16 v1, v53, v1, 0 op_sel:[0,1,0] op_sel_hi:[0,1,0]
	s_delay_alu instid0(VALU_DEP_2) | instskip(NEXT) | instid1(VALU_DEP_2)
	v_fma_mixlo_f16 v0, v53, v0, 0 op_sel_hi:[0,1,0]
	v_and_b32_e32 v1, 0xffff, v1
	s_delay_alu instid0(VALU_DEP_2)
	v_and_b32_e32 v0, 0xffff, v0
	;;#ASMSTART
	v_cvt_f32_f16 v91, v0;
	;;#ASMEND
	;;#ASMSTART
	v_cvt_f32_f16 v90, v1;
	;;#ASMEND
	ds_load_b128 v[26:29], v15 offset:96
	v_pk_fma_f32 v[2:3], v[2:3], v[90:91], v[4:5]
	s_wait_dscnt 0x0
	v_and_b32_e32 v0, 0xffff, v26
	v_lshrrev_b32_e32 v1, 16, v26
	;;#ASMSTART
	v_cvt_f32_f16 v104, v0;
	;;#ASMEND
	;;#ASMSTART
	v_cvt_f32_f16 v105, v1;
	;;#ASMEND
	s_clause 0x1
	scratch_load_b32 v0, off, s32 offset:260 th:TH_LOAD_LU
	scratch_load_b32 v1, off, s32 offset:268 th:TH_LOAD_LU
	v_lshrrev_b32_e32 v14, 16, v28
	v_and_b32_e32 v26, 0xffff, v28
	v_and_b32_e32 v28, 0xffff, v29
	s_wait_loadcnt 0x0
	v_or_b32_e32 v0, v1, v0
	v_fma_mixlo_f16 v1, v53, v1, 0 op_sel:[0,1,0] op_sel_hi:[0,1,0]
	s_delay_alu instid0(VALU_DEP_2) | instskip(NEXT) | instid1(VALU_DEP_2)
	v_fma_mixlo_f16 v0, v53, v0, 0 op_sel_hi:[0,1,0]
	v_and_b32_e32 v1, 0xffff, v1
	s_delay_alu instid0(VALU_DEP_2)
	v_and_b32_e32 v0, 0xffff, v0
	;;#ASMSTART
	v_cvt_f32_f16 v120, v0;
	;;#ASMEND
	;;#ASMSTART
	v_cvt_f32_f16 v121, v1;
	;;#ASMEND
	v_lshrrev_b32_e32 v0, 16, v27
	v_and_b32_e32 v1, 0xffff, v27
	;;#ASMSTART
	v_cvt_f32_f16 v33, v1;
	;;#ASMEND
	;;#ASMSTART
	v_cvt_f32_f16 v32, v0;
	;;#ASMEND
	s_clause 0x1
	scratch_load_b32 v0, off, s32 offset:264 th:TH_LOAD_LU
	scratch_load_b32 v1, off, s32 offset:276 th:TH_LOAD_LU
	v_lshrrev_b32_e32 v27, 16, v29
	v_pk_fma_f32 v[70:71], v[104:105], v[120:121], v[70:71]
	s_wait_loadcnt 0x0
	v_or_b32_e32 v0, v1, v0
	v_fma_mixlo_f16 v1, v53, v1, 0 op_sel:[0,1,0] op_sel_hi:[0,1,0]
	s_delay_alu instid0(VALU_DEP_2) | instskip(NEXT) | instid1(VALU_DEP_2)
	v_fma_mixlo_f16 v0, v53, v0, 0 op_sel_hi:[0,1,0]
	v_and_b32_e32 v1, 0xffff, v1
	s_delay_alu instid0(VALU_DEP_2)
	v_and_b32_e32 v0, 0xffff, v0
	;;#ASMSTART
	v_cvt_f32_f16 v35, v0;
	;;#ASMEND
	;;#ASMSTART
	v_cvt_f32_f16 v34, v1;
	;;#ASMEND
	;; [unrolled: 3-line block ×4, first 2 shown]
	s_clause 0x1
	scratch_load_b32 v0, off, s32 offset:272 th:TH_LOAD_LU
	scratch_load_b32 v1, off, s32 offset:284 th:TH_LOAD_LU
	s_wait_loadcnt 0x0
	v_or_b32_e32 v0, v1, v0
	v_fma_mixlo_f16 v1, v53, v1, 0 op_sel:[0,1,0] op_sel_hi:[0,1,0]
	s_delay_alu instid0(VALU_DEP_2) | instskip(NEXT) | instid1(VALU_DEP_2)
	v_fma_mixlo_f16 v0, v53, v0, 0 op_sel_hi:[0,1,0]
	v_and_b32_e32 v1, 0xffff, v1
	s_delay_alu instid0(VALU_DEP_2)
	v_and_b32_e32 v0, 0xffff, v0
	;;#ASMSTART
	v_cvt_f32_f16 v51, v0;
	;;#ASMEND
	;;#ASMSTART
	v_cvt_f32_f16 v50, v1;
	;;#ASMEND
	;; [unrolled: 3-line block ×4, first 2 shown]
	s_clause 0x1
	scratch_load_b32 v0, off, s32 offset:280 th:TH_LOAD_LU
	scratch_load_b32 v1, off, s32 offset:764 th:TH_LOAD_LU
	s_wait_loadcnt 0x0
	v_or_b32_e32 v0, v1, v0
	v_fma_mixlo_f16 v1, v53, v1, 0 op_sel:[0,1,0] op_sel_hi:[0,1,0]
	s_delay_alu instid0(VALU_DEP_2) | instskip(NEXT) | instid1(VALU_DEP_2)
	v_fma_mixlo_f16 v0, v53, v0, 0 op_sel_hi:[0,1,0]
	v_and_b32_e32 v1, 0xffff, v1
	s_delay_alu instid0(VALU_DEP_2)
	v_and_b32_e32 v0, 0xffff, v0
	;;#ASMSTART
	v_cvt_f32_f16 v69, v0;
	;;#ASMEND
	;;#ASMSTART
	v_cvt_f32_f16 v68, v1;
	;;#ASMEND
	ds_load_b128 v[26:29], v15 offset:112
	v_pk_fma_f32 v[2:3], v[66:67], v[68:69], v[2:3]
	s_wait_dscnt 0x0
	v_and_b32_e32 v0, 0xffff, v26
	v_lshrrev_b32_e32 v1, 16, v26
	;;#ASMSTART
	v_cvt_f32_f16 v104, v0;
	;;#ASMEND
	;;#ASMSTART
	v_cvt_f32_f16 v105, v1;
	;;#ASMEND
	s_clause 0x1
	scratch_load_b32 v0, off, s32 offset:288 th:TH_LOAD_LU
	scratch_load_b32 v1, off, s32 offset:296 th:TH_LOAD_LU
	v_lshrrev_b32_e32 v14, 16, v28
	v_and_b32_e32 v30, 0xffff, v28
	s_wait_loadcnt 0x0
	v_dual_lshrrev_b32 v31, 16, v29 :: v_dual_bitop2_b32 v0, v1, v0 bitop3:0x54
	v_fma_mixlo_f16 v1, v53, v1, 0 op_sel:[0,1,0] op_sel_hi:[0,1,0]
	s_delay_alu instid0(VALU_DEP_2) | instskip(NEXT) | instid1(VALU_DEP_2)
	v_fma_mixlo_f16 v0, v53, v0, 0 op_sel_hi:[0,1,0]
	v_and_b32_e32 v1, 0xffff, v1
	s_delay_alu instid0(VALU_DEP_2)
	v_and_b32_e32 v0, 0xffff, v0
	;;#ASMSTART
	v_cvt_f32_f16 v120, v0;
	;;#ASMEND
	;;#ASMSTART
	v_cvt_f32_f16 v121, v1;
	;;#ASMEND
	v_lshrrev_b32_e32 v0, 16, v27
	v_and_b32_e32 v1, 0xffff, v27
	;;#ASMSTART
	v_cvt_f32_f16 v27, v1;
	;;#ASMEND
	;;#ASMSTART
	v_cvt_f32_f16 v26, v0;
	;;#ASMEND
	s_clause 0x1
	scratch_load_b32 v0, off, s32 offset:292 th:TH_LOAD_LU
	scratch_load_b32 v1, off, s32 offset:304 th:TH_LOAD_LU
	v_pk_fma_f32 v[70:71], v[104:105], v[120:121], v[70:71]
	v_pk_fma_f32 v[104:105], v[32:33], v[34:35], v[36:37]
	v_and_b32_e32 v32, 0xffff, v29
	s_wait_loadcnt 0x0
	v_or_b32_e32 v0, v1, v0
	v_fma_mixlo_f16 v1, v53, v1, 0 op_sel:[0,1,0] op_sel_hi:[0,1,0]
	s_delay_alu instid0(VALU_DEP_2) | instskip(NEXT) | instid1(VALU_DEP_2)
	v_fma_mixlo_f16 v0, v53, v0, 0 op_sel_hi:[0,1,0]
	v_and_b32_e32 v1, 0xffff, v1
	s_delay_alu instid0(VALU_DEP_2)
	v_and_b32_e32 v0, 0xffff, v0
	;;#ASMSTART
	v_cvt_f32_f16 v29, v0;
	;;#ASMEND
	;;#ASMSTART
	v_cvt_f32_f16 v28, v1;
	;;#ASMEND
	;; [unrolled: 3-line block ×4, first 2 shown]
	s_clause 0x1
	scratch_load_b32 v0, off, s32 offset:300 th:TH_LOAD_LU
	scratch_load_b32 v1, off, s32 offset:312 th:TH_LOAD_LU
	v_pk_fma_f32 v[26:27], v[26:27], v[28:29], v[104:105]
	v_pk_fma_f32 v[28:29], v[48:49], v[50:51], v[38:39]
	s_wait_loadcnt 0x0
	v_or_b32_e32 v0, v1, v0
	v_fma_mixlo_f16 v1, v53, v1, 0 op_sel:[0,1,0] op_sel_hi:[0,1,0]
	s_delay_alu instid0(VALU_DEP_2) | instskip(NEXT) | instid1(VALU_DEP_2)
	v_fma_mixlo_f16 v0, v53, v0, 0 op_sel_hi:[0,1,0]
	v_and_b32_e32 v1, 0xffff, v1
	s_delay_alu instid0(VALU_DEP_2)
	v_and_b32_e32 v0, 0xffff, v0
	;;#ASMSTART
	v_cvt_f32_f16 v85, v0;
	;;#ASMEND
	;;#ASMSTART
	v_cvt_f32_f16 v84, v1;
	;;#ASMEND
	;; [unrolled: 3-line block ×4, first 2 shown]
	s_clause 0x1
	scratch_load_b32 v0, off, s32 offset:308 th:TH_LOAD_LU
	scratch_load_b32 v1, off, s32 offset:768 th:TH_LOAD_LU
	s_wait_loadcnt 0x0
	v_or_b32_e32 v0, v1, v0
	v_fma_mixlo_f16 v1, v53, v1, 0 op_sel:[0,1,0] op_sel_hi:[0,1,0]
	s_delay_alu instid0(VALU_DEP_2) | instskip(NEXT) | instid1(VALU_DEP_2)
	v_fma_mixlo_f16 v0, v53, v0, 0 op_sel_hi:[0,1,0]
	v_and_b32_e32 v1, 0xffff, v1
	s_delay_alu instid0(VALU_DEP_2)
	v_and_b32_e32 v0, 0xffff, v0
	;;#ASMSTART
	v_cvt_f32_f16 v121, v0;
	;;#ASMEND
	;;#ASMSTART
	v_cvt_f32_f16 v120, v1;
	;;#ASMEND
	ds_load_b128 v[34:37], v15 offset:128
	v_pk_fma_f32 v[2:3], v[44:45], v[120:121], v[2:3]
	s_wait_dscnt 0x0
	v_and_b32_e32 v0, 0xffff, v34
	v_lshrrev_b32_e32 v1, 16, v34
	;;#ASMSTART
	v_cvt_f32_f16 v30, v0;
	;;#ASMEND
	;;#ASMSTART
	v_cvt_f32_f16 v31, v1;
	;;#ASMEND
	s_clause 0x1
	scratch_load_b32 v0, off, s32 offset:316 th:TH_LOAD_LU
	scratch_load_b32 v1, off, s32 offset:324 th:TH_LOAD_LU
	s_wait_loadcnt 0x0
	v_or_b32_e32 v0, v1, v0
	v_fma_mixlo_f16 v1, v53, v1, 0 op_sel:[0,1,0] op_sel_hi:[0,1,0]
	s_delay_alu instid0(VALU_DEP_2) | instskip(NEXT) | instid1(VALU_DEP_2)
	v_fma_mixlo_f16 v0, v53, v0, 0 op_sel_hi:[0,1,0]
	v_and_b32_e32 v1, 0xffff, v1
	s_delay_alu instid0(VALU_DEP_2)
	v_and_b32_e32 v0, 0xffff, v0
	;;#ASMSTART
	v_cvt_f32_f16 v32, v0;
	;;#ASMEND
	;;#ASMSTART
	v_cvt_f32_f16 v33, v1;
	;;#ASMEND
	v_and_b32_e32 v0, 0xffff, v35
	v_lshrrev_b32_e32 v1, 16, v35
	;;#ASMSTART
	v_cvt_f32_f16 v5, v0;
	;;#ASMEND
	;;#ASMSTART
	v_cvt_f32_f16 v4, v1;
	;;#ASMEND
	s_clause 0x1
	scratch_load_b32 v0, off, s32 offset:320 th:TH_LOAD_LU
	scratch_load_b32 v1, off, s32 offset:336 th:TH_LOAD_LU
	v_pk_fma_f32 v[32:33], v[30:31], v[32:33], v[70:71]
	s_wait_loadcnt 0x0
	v_or_b32_e32 v0, v1, v0
	v_fma_mixlo_f16 v1, v53, v1, 0 op_sel:[0,1,0] op_sel_hi:[0,1,0]
	s_delay_alu instid0(VALU_DEP_2) | instskip(NEXT) | instid1(VALU_DEP_2)
	v_fma_mixlo_f16 v0, v53, v0, 0 op_sel_hi:[0,1,0]
	v_and_b32_e32 v1, 0xffff, v1
	s_delay_alu instid0(VALU_DEP_2)
	v_and_b32_e32 v0, 0xffff, v0
	;;#ASMSTART
	v_cvt_f32_f16 v31, v0;
	;;#ASMEND
	;;#ASMSTART
	v_cvt_f32_f16 v30, v1;
	;;#ASMEND
	v_and_b32_e32 v0, 0xffff, v36
	v_lshrrev_b32_e32 v1, 16, v36
	v_pk_fma_f32 v[30:31], v[4:5], v[30:31], v[26:27]
	;;#ASMSTART
	v_cvt_f32_f16 v27, v0;
	;;#ASMEND
	;;#ASMSTART
	v_cvt_f32_f16 v26, v1;
	;;#ASMEND
	s_clause 0x1
	scratch_load_b32 v0, off, s32 offset:332 th:TH_LOAD_LU
	scratch_load_b32 v1, off, s32 offset:352 th:TH_LOAD_LU
	v_pk_fma_f32 v[4:5], v[64:65], v[84:85], v[28:29]
	s_wait_loadcnt 0x0
	v_or_b32_e32 v0, v1, v0
	v_fma_mixlo_f16 v1, v53, v1, 0 op_sel:[0,1,0] op_sel_hi:[0,1,0]
	s_delay_alu instid0(VALU_DEP_2) | instskip(NEXT) | instid1(VALU_DEP_2)
	v_fma_mixlo_f16 v0, v53, v0, 0 op_sel_hi:[0,1,0]
	v_and_b32_e32 v1, 0xffff, v1
	s_delay_alu instid0(VALU_DEP_2)
	v_and_b32_e32 v0, 0xffff, v0
	;;#ASMSTART
	v_cvt_f32_f16 v29, v0;
	;;#ASMEND
	;;#ASMSTART
	v_cvt_f32_f16 v28, v1;
	;;#ASMEND
	v_and_b32_e32 v0, 0xffff, v37
	v_lshrrev_b32_e32 v1, 16, v37
	v_pk_fma_f32 v[28:29], v[26:27], v[28:29], v[4:5]
	;;#ASMSTART
	v_cvt_f32_f16 v5, v0;
	;;#ASMEND
	;;#ASMSTART
	v_cvt_f32_f16 v4, v1;
	;;#ASMEND
	s_clause 0x1
	scratch_load_b32 v0, off, s32 offset:348 th:TH_LOAD_LU
	scratch_load_b32 v1, off, s32 offset:772 th:TH_LOAD_LU
	s_wait_loadcnt 0x0
	v_or_b32_e32 v0, v1, v0
	v_fma_mixlo_f16 v1, v53, v1, 0 op_sel:[0,1,0] op_sel_hi:[0,1,0]
	s_delay_alu instid0(VALU_DEP_2) | instskip(NEXT) | instid1(VALU_DEP_2)
	v_fma_mixlo_f16 v0, v53, v0, 0 op_sel_hi:[0,1,0]
	v_and_b32_e32 v1, 0xffff, v1
	s_delay_alu instid0(VALU_DEP_2)
	v_and_b32_e32 v0, 0xffff, v0
	;;#ASMSTART
	v_cvt_f32_f16 v27, v0;
	;;#ASMEND
	;;#ASMSTART
	v_cvt_f32_f16 v26, v1;
	;;#ASMEND
	v_pk_fma_f32 v[26:27], v[4:5], v[26:27], v[2:3]
	ds_load_b128 v[2:5], v15 offset:144
	s_wait_dscnt 0x0
	v_and_b32_e32 v0, 0xffff, v2
	v_lshrrev_b32_e32 v1, 16, v2
	;;#ASMSTART
	v_cvt_f32_f16 v34, v0;
	;;#ASMEND
	;;#ASMSTART
	v_cvt_f32_f16 v35, v1;
	;;#ASMEND
	s_clause 0x1
	scratch_load_b32 v0, off, s32 offset:364 th:TH_LOAD_LU
	scratch_load_b32 v1, off, s32 offset:372 th:TH_LOAD_LU
	v_lshrrev_b32_e32 v2, 16, v4
	s_wait_loadcnt 0x0
	v_or_b32_e32 v0, v1, v0
	v_fma_mixlo_f16 v1, v53, v1, 0 op_sel:[0,1,0] op_sel_hi:[0,1,0]
	s_delay_alu instid0(VALU_DEP_2) | instskip(NEXT) | instid1(VALU_DEP_2)
	v_fma_mixlo_f16 v0, v53, v0, 0 op_sel_hi:[0,1,0]
	v_and_b32_e32 v1, 0xffff, v1
	s_delay_alu instid0(VALU_DEP_2)
	v_and_b32_e32 v0, 0xffff, v0
	;;#ASMSTART
	v_cvt_f32_f16 v36, v0;
	;;#ASMEND
	;;#ASMSTART
	v_cvt_f32_f16 v37, v1;
	;;#ASMEND
	v_lshrrev_b32_e32 v0, 16, v3
	v_and_b32_e32 v1, 0xffff, v3
	;;#ASMSTART
	v_cvt_f32_f16 v39, v1;
	;;#ASMEND
	;;#ASMSTART
	v_cvt_f32_f16 v38, v0;
	;;#ASMEND
	s_clause 0x1
	scratch_load_b32 v0, off, s32 offset:328 th:TH_LOAD_LU
	scratch_load_b32 v1, off, s32 offset:344 th:TH_LOAD_LU
	v_pk_fma_f32 v[32:33], v[34:35], v[36:37], v[32:33]
	v_and_b32_e32 v3, 0xffff, v4
	v_lshrrev_b32_e32 v4, 16, v5
	v_and_b32_e32 v5, 0xffff, v5
	s_wait_loadcnt 0x0
	v_or_b32_e32 v0, v1, v0
	v_fma_mixlo_f16 v1, v53, v1, 0 op_sel:[0,1,0] op_sel_hi:[0,1,0]
	s_delay_alu instid0(VALU_DEP_2) | instskip(NEXT) | instid1(VALU_DEP_2)
	v_fma_mixlo_f16 v0, v53, v0, 0 op_sel_hi:[0,1,0]
	v_and_b32_e32 v1, 0xffff, v1
	s_delay_alu instid0(VALU_DEP_2)
	v_and_b32_e32 v0, 0xffff, v0
	;;#ASMSTART
	v_cvt_f32_f16 v65, v0;
	;;#ASMEND
	;;#ASMSTART
	v_cvt_f32_f16 v64, v1;
	;;#ASMEND
	;; [unrolled: 3-line block ×4, first 2 shown]
	s_clause 0x1
	scratch_load_b32 v0, off, s32 offset:340 th:TH_LOAD_LU
	scratch_load_b32 v1, off, s32 offset:360 th:TH_LOAD_LU
	v_pk_fma_f32 v[70:71], v[38:39], v[64:65], v[30:31]
	s_wait_loadcnt 0x0
	v_or_b32_e32 v0, v1, v0
	v_fma_mixlo_f16 v1, v53, v1, 0 op_sel:[0,1,0] op_sel_hi:[0,1,0]
	s_delay_alu instid0(VALU_DEP_2) | instskip(NEXT) | instid1(VALU_DEP_2)
	v_fma_mixlo_f16 v0, v53, v0, 0 op_sel_hi:[0,1,0]
	v_and_b32_e32 v1, 0xffff, v1
	s_delay_alu instid0(VALU_DEP_2)
	v_and_b32_e32 v0, 0xffff, v0
	;;#ASMSTART
	v_cvt_f32_f16 v37, v0;
	;;#ASMEND
	;;#ASMSTART
	v_cvt_f32_f16 v36, v1;
	;;#ASMEND
	;; [unrolled: 3-line block ×4, first 2 shown]
	s_clause 0x1
	scratch_load_b32 v0, off, s32 offset:356 th:TH_LOAD_LU
	scratch_load_b32 v1, off, s32 offset:776 th:TH_LOAD_LU
	s_wait_loadcnt 0x0
	v_or_b32_e32 v0, v1, v0
	v_fma_mixlo_f16 v1, v53, v1, 0 op_sel:[0,1,0] op_sel_hi:[0,1,0]
	s_delay_alu instid0(VALU_DEP_2) | instskip(NEXT) | instid1(VALU_DEP_2)
	v_fma_mixlo_f16 v0, v53, v0, 0 op_sel_hi:[0,1,0]
	v_and_b32_e32 v1, 0xffff, v1
	s_delay_alu instid0(VALU_DEP_2)
	v_and_b32_e32 v0, 0xffff, v0
	;;#ASMSTART
	v_cvt_f32_f16 v5, v0;
	;;#ASMEND
	;;#ASMSTART
	v_cvt_f32_f16 v4, v1;
	;;#ASMEND
	ds_load_b128 v[48:51], v15 offset:160
	v_pk_fma_f32 v[2:3], v[2:3], v[4:5], v[26:27]
	s_wait_dscnt 0x0
	v_and_b32_e32 v0, 0xffff, v48
	v_lshrrev_b32_e32 v1, 16, v48
	;;#ASMSTART
	v_cvt_f32_f16 v66, v0;
	;;#ASMEND
	;;#ASMSTART
	v_cvt_f32_f16 v67, v1;
	;;#ASMEND
	s_clause 0x1
	scratch_load_b32 v0, off, s32 offset:368 th:TH_LOAD_LU
	scratch_load_b32 v1, off, s32 offset:380 th:TH_LOAD_LU
	v_lshrrev_b32_e32 v14, 16, v50
	v_and_b32_e32 v30, 0xffff, v50
	v_and_b32_e32 v31, 0xffff, v51
	s_wait_loadcnt 0x0
	v_or_b32_e32 v0, v1, v0
	v_fma_mixlo_f16 v1, v53, v1, 0 op_sel:[0,1,0] op_sel_hi:[0,1,0]
	s_delay_alu instid0(VALU_DEP_2) | instskip(NEXT) | instid1(VALU_DEP_2)
	v_fma_mixlo_f16 v0, v53, v0, 0 op_sel_hi:[0,1,0]
	v_and_b32_e32 v1, 0xffff, v1
	s_delay_alu instid0(VALU_DEP_2)
	v_and_b32_e32 v0, 0xffff, v0
	;;#ASMSTART
	v_cvt_f32_f16 v68, v0;
	;;#ASMEND
	;;#ASMSTART
	v_cvt_f32_f16 v69, v1;
	;;#ASMEND
	v_lshrrev_b32_e32 v0, 16, v49
	v_and_b32_e32 v1, 0xffff, v49
	v_pk_fma_f32 v[68:69], v[66:67], v[68:69], v[32:33]
	v_lshrrev_b32_e32 v32, 16, v51
	;;#ASMSTART
	v_cvt_f32_f16 v51, v1;
	;;#ASMEND
	;;#ASMSTART
	v_cvt_f32_f16 v50, v0;
	;;#ASMEND
	s_clause 0x1
	scratch_load_b32 v0, off, s32 offset:376 th:TH_LOAD_LU
	scratch_load_b32 v1, off, s32 offset:388 th:TH_LOAD_LU
	s_wait_loadcnt 0x0
	v_or_b32_e32 v0, v1, v0
	v_fma_mixlo_f16 v1, v53, v1, 0 op_sel:[0,1,0] op_sel_hi:[0,1,0]
	s_delay_alu instid0(VALU_DEP_2) | instskip(NEXT) | instid1(VALU_DEP_2)
	v_fma_mixlo_f16 v0, v53, v0, 0 op_sel_hi:[0,1,0]
	v_and_b32_e32 v1, 0xffff, v1
	s_delay_alu instid0(VALU_DEP_2)
	v_and_b32_e32 v0, 0xffff, v0
	;;#ASMSTART
	v_cvt_f32_f16 v85, v0;
	;;#ASMEND
	;;#ASMSTART
	v_cvt_f32_f16 v84, v1;
	;;#ASMEND
	;; [unrolled: 3-line block ×4, first 2 shown]
	s_clause 0x1
	scratch_load_b32 v0, off, s32 offset:384 th:TH_LOAD_LU
	scratch_load_b32 v1, off, s32 offset:396 th:TH_LOAD_LU
	v_pk_fma_f32 v[70:71], v[50:51], v[84:85], v[70:71]
	v_pk_fma_f32 v[84:85], v[34:35], v[36:37], v[28:29]
	s_wait_loadcnt 0x0
	v_or_b32_e32 v0, v1, v0
	v_fma_mixlo_f16 v1, v53, v1, 0 op_sel:[0,1,0] op_sel_hi:[0,1,0]
	s_delay_alu instid0(VALU_DEP_2) | instskip(NEXT) | instid1(VALU_DEP_2)
	v_fma_mixlo_f16 v0, v53, v0, 0 op_sel_hi:[0,1,0]
	v_and_b32_e32 v1, 0xffff, v1
	s_delay_alu instid0(VALU_DEP_2)
	v_and_b32_e32 v0, 0xffff, v0
	;;#ASMSTART
	v_cvt_f32_f16 v49, v0;
	;;#ASMEND
	;;#ASMSTART
	v_cvt_f32_f16 v48, v1;
	;;#ASMEND
	;; [unrolled: 3-line block ×4, first 2 shown]
	s_clause 0x1
	scratch_load_b32 v0, off, s32 offset:392 th:TH_LOAD_LU
	scratch_load_b32 v1, off, s32 offset:780 th:TH_LOAD_LU
	v_pk_fma_f32 v[38:39], v[38:39], v[48:49], v[84:85]
	s_wait_loadcnt 0x0
	v_or_b32_e32 v0, v1, v0
	v_fma_mixlo_f16 v1, v53, v1, 0 op_sel:[0,1,0] op_sel_hi:[0,1,0]
	s_delay_alu instid0(VALU_DEP_2) | instskip(NEXT) | instid1(VALU_DEP_2)
	v_fma_mixlo_f16 v0, v53, v0, 0 op_sel_hi:[0,1,0]
	v_and_b32_e32 v1, 0xffff, v1
	s_delay_alu instid0(VALU_DEP_2)
	v_and_b32_e32 v0, 0xffff, v0
	;;#ASMSTART
	v_cvt_f32_f16 v33, v0;
	;;#ASMEND
	;;#ASMSTART
	v_cvt_f32_f16 v32, v1;
	;;#ASMEND
	ds_load_b128 v[64:67], v15 offset:176
	s_wait_dscnt 0x0
	v_and_b32_e32 v0, 0xffff, v64
	v_lshrrev_b32_e32 v1, 16, v64
	;;#ASMSTART
	v_cvt_f32_f16 v44, v0;
	;;#ASMEND
	;;#ASMSTART
	v_cvt_f32_f16 v45, v1;
	;;#ASMEND
	s_clause 0x1
	scratch_load_b32 v0, off, s32 offset:400 th:TH_LOAD_LU
	scratch_load_b32 v1, off, s32 offset:408 th:TH_LOAD_LU
	v_lshrrev_b32_e32 v14, 16, v66
	v_and_b32_e32 v28, 0xffff, v66
	v_and_b32_e32 v29, 0xffff, v67
	s_wait_loadcnt 0x0
	v_dual_lshrrev_b32 v34, 16, v67 :: v_dual_bitop2_b32 v0, v1, v0 bitop3:0x54
	v_fma_mixlo_f16 v1, v53, v1, 0 op_sel:[0,1,0] op_sel_hi:[0,1,0]
	s_delay_alu instid0(VALU_DEP_2) | instskip(NEXT) | instid1(VALU_DEP_2)
	v_fma_mixlo_f16 v0, v53, v0, 0 op_sel_hi:[0,1,0]
	v_and_b32_e32 v1, 0xffff, v1
	s_delay_alu instid0(VALU_DEP_2)
	v_and_b32_e32 v0, 0xffff, v0
	;;#ASMSTART
	v_cvt_f32_f16 v90, v0;
	;;#ASMEND
	;;#ASMSTART
	v_cvt_f32_f16 v91, v1;
	;;#ASMEND
	v_lshrrev_b32_e32 v0, 16, v65
	v_and_b32_e32 v1, 0xffff, v65
	v_pk_fma_f32 v[68:69], v[44:45], v[90:91], v[68:69]
	;;#ASMSTART
	v_cvt_f32_f16 v45, v1;
	;;#ASMEND
	;;#ASMSTART
	v_cvt_f32_f16 v44, v0;
	;;#ASMEND
	s_clause 0x1
	scratch_load_b32 v0, off, s32 offset:404 th:TH_LOAD_LU
	scratch_load_b32 v1, off, s32 offset:416 th:TH_LOAD_LU
	s_wait_loadcnt 0x0
	v_or_b32_e32 v0, v1, v0
	v_fma_mixlo_f16 v1, v53, v1, 0 op_sel:[0,1,0] op_sel_hi:[0,1,0]
	s_delay_alu instid0(VALU_DEP_2) | instskip(NEXT) | instid1(VALU_DEP_2)
	v_fma_mixlo_f16 v0, v53, v0, 0 op_sel_hi:[0,1,0]
	v_and_b32_e32 v1, 0xffff, v1
	s_delay_alu instid0(VALU_DEP_2)
	v_and_b32_e32 v0, 0xffff, v0
	;;#ASMSTART
	v_cvt_f32_f16 v91, v0;
	;;#ASMEND
	;;#ASMSTART
	v_cvt_f32_f16 v90, v1;
	;;#ASMEND
	;; [unrolled: 3-line block ×4, first 2 shown]
	s_clause 0x1
	scratch_load_b32 v0, off, s32 offset:412 th:TH_LOAD_LU
	scratch_load_b32 v1, off, s32 offset:424 th:TH_LOAD_LU
	v_pk_fma_f32 v[70:71], v[44:45], v[90:91], v[70:71]
	s_wait_loadcnt 0x0
	v_or_b32_e32 v0, v1, v0
	v_fma_mixlo_f16 v1, v53, v1, 0 op_sel:[0,1,0] op_sel_hi:[0,1,0]
	s_delay_alu instid0(VALU_DEP_2) | instskip(NEXT) | instid1(VALU_DEP_2)
	v_fma_mixlo_f16 v0, v53, v0, 0 op_sel_hi:[0,1,0]
	v_and_b32_e32 v1, 0xffff, v1
	s_delay_alu instid0(VALU_DEP_2)
	v_and_b32_e32 v0, 0xffff, v0
	;;#ASMSTART
	v_cvt_f32_f16 v51, v0;
	;;#ASMEND
	;;#ASMSTART
	v_cvt_f32_f16 v50, v1;
	;;#ASMEND
	;; [unrolled: 3-line block ×4, first 2 shown]
	s_clause 0x1
	scratch_load_b32 v0, off, s32 offset:420 th:TH_LOAD_LU
	scratch_load_b32 v1, off, s32 offset:784 th:TH_LOAD_LU
	v_pk_fma_f32 v[36:37], v[36:37], v[50:51], v[38:39]
	v_pk_fma_f32 v[38:39], v[30:31], v[32:33], v[2:3]
	s_wait_loadcnt 0x0
	v_or_b32_e32 v0, v1, v0
	v_fma_mixlo_f16 v1, v53, v1, 0 op_sel:[0,1,0] op_sel_hi:[0,1,0]
	s_delay_alu instid0(VALU_DEP_2) | instskip(NEXT) | instid1(VALU_DEP_2)
	v_fma_mixlo_f16 v0, v53, v0, 0 op_sel_hi:[0,1,0]
	v_and_b32_e32 v1, 0xffff, v1
	s_delay_alu instid0(VALU_DEP_2)
	v_and_b32_e32 v0, 0xffff, v0
	;;#ASMSTART
	v_cvt_f32_f16 v35, v0;
	;;#ASMEND
	;;#ASMSTART
	v_cvt_f32_f16 v34, v1;
	;;#ASMEND
	ds_load_b128 v[64:67], v15 offset:192
	v_pk_fma_f32 v[34:35], v[28:29], v[34:35], v[38:39]
	s_wait_dscnt 0x0
	v_and_b32_e32 v0, 0xffff, v64
	v_lshrrev_b32_e32 v1, 16, v64
	;;#ASMSTART
	v_cvt_f32_f16 v104, v0;
	;;#ASMEND
	;;#ASMSTART
	v_cvt_f32_f16 v105, v1;
	;;#ASMEND
	s_clause 0x1
	scratch_load_b32 v0, off, s32 offset:428 th:TH_LOAD_LU
	scratch_load_b32 v1, off, s32 offset:436 th:TH_LOAD_LU
	v_lshrrev_b32_e32 v4, 16, v66
	v_and_b32_e32 v5, 0xffff, v66
	v_lshrrev_b32_e32 v14, 16, v67
	v_and_b32_e32 v64, 0xffff, v67
	s_wait_loadcnt 0x0
	v_or_b32_e32 v0, v1, v0
	v_fma_mixlo_f16 v1, v53, v1, 0 op_sel:[0,1,0] op_sel_hi:[0,1,0]
	s_delay_alu instid0(VALU_DEP_2) | instskip(NEXT) | instid1(VALU_DEP_2)
	v_fma_mixlo_f16 v0, v53, v0, 0 op_sel_hi:[0,1,0]
	v_and_b32_e32 v1, 0xffff, v1
	s_delay_alu instid0(VALU_DEP_2)
	v_and_b32_e32 v0, 0xffff, v0
	;;#ASMSTART
	v_cvt_f32_f16 v120, v0;
	;;#ASMEND
	;;#ASMSTART
	v_cvt_f32_f16 v121, v1;
	;;#ASMEND
	v_lshrrev_b32_e32 v0, 16, v65
	v_and_b32_e32 v1, 0xffff, v65
	;;#ASMSTART
	v_cvt_f32_f16 v27, v1;
	;;#ASMEND
	;;#ASMSTART
	v_cvt_f32_f16 v26, v0;
	;;#ASMEND
	s_clause 0x1
	scratch_load_b32 v0, off, s32 offset:432 th:TH_LOAD_LU
	scratch_load_b32 v1, off, s32 offset:444 th:TH_LOAD_LU
	v_pk_fma_f32 v[68:69], v[104:105], v[120:121], v[68:69]
	s_wait_loadcnt 0x0
	v_or_b32_e32 v0, v1, v0
	v_fma_mixlo_f16 v1, v53, v1, 0 op_sel:[0,1,0] op_sel_hi:[0,1,0]
	s_delay_alu instid0(VALU_DEP_2) | instskip(NEXT) | instid1(VALU_DEP_2)
	v_fma_mixlo_f16 v0, v53, v0, 0 op_sel_hi:[0,1,0]
	v_and_b32_e32 v1, 0xffff, v1
	s_delay_alu instid0(VALU_DEP_2)
	v_and_b32_e32 v0, 0xffff, v0
	;;#ASMSTART
	v_cvt_f32_f16 v49, v0;
	;;#ASMEND
	;;#ASMSTART
	v_cvt_f32_f16 v48, v1;
	;;#ASMEND
	;;#ASMSTART
	v_cvt_f32_f16 v85, v5;
	;;#ASMEND
	;;#ASMSTART
	v_cvt_f32_f16 v84, v4;
	;;#ASMEND
	s_clause 0x1
	scratch_load_b32 v0, off, s32 offset:440 th:TH_LOAD_LU
	scratch_load_b32 v1, off, s32 offset:452 th:TH_LOAD_LU
	v_pk_fma_f32 v[26:27], v[26:27], v[48:49], v[70:71]
	s_wait_loadcnt 0x0
	v_or_b32_e32 v0, v1, v0
	v_fma_mixlo_f16 v1, v53, v1, 0 op_sel:[0,1,0] op_sel_hi:[0,1,0]
	s_delay_alu instid0(VALU_DEP_2) | instskip(NEXT) | instid1(VALU_DEP_2)
	v_fma_mixlo_f16 v0, v53, v0, 0 op_sel_hi:[0,1,0]
	v_and_b32_e32 v1, 0xffff, v1
	s_delay_alu instid0(VALU_DEP_2)
	v_and_b32_e32 v0, 0xffff, v0
	;;#ASMSTART
	v_cvt_f32_f16 v45, v0;
	;;#ASMEND
	;;#ASMSTART
	v_cvt_f32_f16 v44, v1;
	;;#ASMEND
	;; [unrolled: 24-line block ×3, first 2 shown]
	ds_load_b128 v[64:67], v15 offset:208
	v_pk_fma_f32 v[34:35], v[4:5], v[90:91], v[34:35]
	s_wait_dscnt 0x0
	v_and_b32_e32 v0, 0xffff, v64
	v_lshrrev_b32_e32 v1, 16, v64
	;;#ASMSTART
	v_cvt_f32_f16 v104, v0;
	;;#ASMEND
	;;#ASMSTART
	v_cvt_f32_f16 v105, v1;
	;;#ASMEND
	s_clause 0x1
	scratch_load_b32 v0, off, s32 offset:456 th:TH_LOAD_LU
	scratch_load_b32 v1, off, s32 offset:464 th:TH_LOAD_LU
	v_lshrrev_b32_e32 v2, 16, v66
	v_and_b32_e32 v3, 0xffff, v66
	v_lshrrev_b32_e32 v14, 16, v67
	v_and_b32_e32 v30, 0xffff, v67
	s_wait_loadcnt 0x0
	v_or_b32_e32 v0, v1, v0
	v_fma_mixlo_f16 v1, v53, v1, 0 op_sel:[0,1,0] op_sel_hi:[0,1,0]
	s_delay_alu instid0(VALU_DEP_2) | instskip(NEXT) | instid1(VALU_DEP_2)
	v_fma_mixlo_f16 v0, v53, v0, 0 op_sel_hi:[0,1,0]
	v_and_b32_e32 v1, 0xffff, v1
	s_delay_alu instid0(VALU_DEP_2)
	v_and_b32_e32 v0, 0xffff, v0
	;;#ASMSTART
	v_cvt_f32_f16 v120, v0;
	;;#ASMEND
	;;#ASMSTART
	v_cvt_f32_f16 v121, v1;
	;;#ASMEND
	v_lshrrev_b32_e32 v0, 16, v65
	v_and_b32_e32 v1, 0xffff, v65
	;;#ASMSTART
	v_cvt_f32_f16 v49, v1;
	;;#ASMEND
	;;#ASMSTART
	v_cvt_f32_f16 v48, v0;
	;;#ASMEND
	s_clause 0x1
	scratch_load_b32 v0, off, s32 offset:460 th:TH_LOAD_LU
	scratch_load_b32 v1, off, s32 offset:472 th:TH_LOAD_LU
	v_pk_fma_f32 v[68:69], v[104:105], v[120:121], v[68:69]
	s_wait_loadcnt 0x0
	v_or_b32_e32 v0, v1, v0
	v_fma_mixlo_f16 v1, v53, v1, 0 op_sel:[0,1,0] op_sel_hi:[0,1,0]
	s_delay_alu instid0(VALU_DEP_2) | instskip(NEXT) | instid1(VALU_DEP_2)
	v_fma_mixlo_f16 v0, v53, v0, 0 op_sel_hi:[0,1,0]
	v_and_b32_e32 v1, 0xffff, v1
	s_delay_alu instid0(VALU_DEP_2)
	v_and_b32_e32 v0, 0xffff, v0
	;;#ASMSTART
	v_cvt_f32_f16 v51, v0;
	;;#ASMEND
	;;#ASMSTART
	v_cvt_f32_f16 v50, v1;
	;;#ASMEND
	;;#ASMSTART
	v_cvt_f32_f16 v65, v3;
	;;#ASMEND
	;;#ASMSTART
	v_cvt_f32_f16 v64, v2;
	;;#ASMEND
	s_clause 0x1
	scratch_load_b32 v0, off, s32 offset:468 th:TH_LOAD_LU
	scratch_load_b32 v1, off, s32 offset:480 th:TH_LOAD_LU
	v_pk_fma_f32 v[48:49], v[48:49], v[50:51], v[26:27]
	s_wait_loadcnt 0x0
	v_or_b32_e32 v0, v1, v0
	v_fma_mixlo_f16 v1, v53, v1, 0 op_sel:[0,1,0] op_sel_hi:[0,1,0]
	s_delay_alu instid0(VALU_DEP_2) | instskip(NEXT) | instid1(VALU_DEP_2)
	v_fma_mixlo_f16 v0, v53, v0, 0 op_sel_hi:[0,1,0]
	v_and_b32_e32 v1, 0xffff, v1
	s_delay_alu instid0(VALU_DEP_2)
	v_and_b32_e32 v0, 0xffff, v0
	;;#ASMSTART
	v_cvt_f32_f16 v67, v0;
	;;#ASMEND
	;;#ASMSTART
	v_cvt_f32_f16 v66, v1;
	;;#ASMEND
	;; [unrolled: 24-line block ×3, first 2 shown]
	ds_load_b128 v[30:33], v15 offset:224
	v_pk_fma_f32 v[34:35], v[2:3], v[70:71], v[34:35]
	s_wait_dscnt 0x0
	v_and_b32_e32 v0, 0xffff, v30
	v_lshrrev_b32_e32 v1, 16, v30
	;;#ASMSTART
	v_cvt_f32_f16 v104, v0;
	;;#ASMEND
	;;#ASMSTART
	v_cvt_f32_f16 v105, v1;
	;;#ASMEND
	s_clause 0x1
	scratch_load_b32 v0, off, s32 offset:484 th:TH_LOAD_LU
	scratch_load_b32 v1, off, s32 offset:492 th:TH_LOAD_LU
	v_lshrrev_b32_e32 v14, 16, v32
	v_and_b32_e32 v26, 0xffff, v32
	v_lshrrev_b32_e32 v28, 16, v33
	v_and_b32_e32 v27, 0xffff, v33
	s_wait_loadcnt 0x0
	v_or_b32_e32 v0, v1, v0
	v_fma_mixlo_f16 v1, v53, v1, 0 op_sel:[0,1,0] op_sel_hi:[0,1,0]
	s_delay_alu instid0(VALU_DEP_2) | instskip(NEXT) | instid1(VALU_DEP_2)
	v_fma_mixlo_f16 v0, v53, v0, 0 op_sel_hi:[0,1,0]
	v_and_b32_e32 v1, 0xffff, v1
	s_delay_alu instid0(VALU_DEP_2)
	v_and_b32_e32 v0, 0xffff, v0
	;;#ASMSTART
	v_cvt_f32_f16 v120, v0;
	;;#ASMEND
	;;#ASMSTART
	v_cvt_f32_f16 v121, v1;
	;;#ASMEND
	v_lshrrev_b32_e32 v0, 16, v31
	v_and_b32_e32 v1, 0xffff, v31
	;;#ASMSTART
	v_cvt_f32_f16 v33, v1;
	;;#ASMEND
	;;#ASMSTART
	v_cvt_f32_f16 v32, v0;
	;;#ASMEND
	s_clause 0x1
	scratch_load_b32 v0, off, s32 offset:488 th:TH_LOAD_LU
	scratch_load_b32 v1, off, s32 offset:500 th:TH_LOAD_LU
	v_pk_fma_f32 v[68:69], v[104:105], v[120:121], v[68:69]
	s_wait_loadcnt 0x0
	v_or_b32_e32 v0, v1, v0
	v_fma_mixlo_f16 v1, v53, v1, 0 op_sel:[0,1,0] op_sel_hi:[0,1,0]
	s_delay_alu instid0(VALU_DEP_2) | instskip(NEXT) | instid1(VALU_DEP_2)
	v_fma_mixlo_f16 v0, v53, v0, 0 op_sel_hi:[0,1,0]
	v_and_b32_e32 v1, 0xffff, v1
	s_delay_alu instid0(VALU_DEP_2)
	v_and_b32_e32 v0, 0xffff, v0
	;;#ASMSTART
	v_cvt_f32_f16 v39, v0;
	;;#ASMEND
	;;#ASMSTART
	v_cvt_f32_f16 v38, v1;
	;;#ASMEND
	;;#ASMSTART
	v_cvt_f32_f16 v51, v26;
	;;#ASMEND
	;;#ASMSTART
	v_cvt_f32_f16 v50, v14;
	;;#ASMEND
	s_clause 0x1
	scratch_load_b32 v0, off, s32 offset:496 th:TH_LOAD_LU
	scratch_load_b32 v1, off, s32 offset:508 th:TH_LOAD_LU
	v_pk_fma_f32 v[32:33], v[32:33], v[38:39], v[48:49]
	s_wait_loadcnt 0x0
	v_or_b32_e32 v0, v1, v0
	v_fma_mixlo_f16 v1, v53, v1, 0 op_sel:[0,1,0] op_sel_hi:[0,1,0]
	s_delay_alu instid0(VALU_DEP_2) | instskip(NEXT) | instid1(VALU_DEP_2)
	v_fma_mixlo_f16 v0, v53, v0, 0 op_sel_hi:[0,1,0]
	v_and_b32_e32 v1, 0xffff, v1
	s_delay_alu instid0(VALU_DEP_2)
	v_and_b32_e32 v0, 0xffff, v0
	;;#ASMSTART
	v_cvt_f32_f16 v85, v0;
	;;#ASMEND
	;;#ASMSTART
	v_cvt_f32_f16 v84, v1;
	;;#ASMEND
	;; [unrolled: 24-line block ×3, first 2 shown]
	ds_load_b128 v[28:31], v15 offset:240
	v_pk_fma_f32 v[34:35], v[26:27], v[44:45], v[34:35]
	s_wait_dscnt 0x0
	v_and_b32_e32 v0, 0xffff, v28
	v_lshrrev_b32_e32 v1, 16, v28
	;;#ASMSTART
	v_cvt_f32_f16 v104, v0;
	;;#ASMEND
	;;#ASMSTART
	v_cvt_f32_f16 v105, v1;
	;;#ASMEND
	s_clause 0x1
	scratch_load_b32 v0, off, s32 offset:512 th:TH_LOAD_LU
	scratch_load_b32 v1, off, s32 offset:520 th:TH_LOAD_LU
	v_lshrrev_b32_e32 v4, 16, v30
	v_and_b32_e32 v5, 0xffff, v30
	v_lshrrev_b32_e32 v14, 16, v31
	v_and_b32_e32 v28, 0xffff, v31
	s_wait_loadcnt 0x0
	v_or_b32_e32 v0, v1, v0
	v_fma_mixlo_f16 v1, v53, v1, 0 op_sel:[0,1,0] op_sel_hi:[0,1,0]
	s_delay_alu instid0(VALU_DEP_2) | instskip(NEXT) | instid1(VALU_DEP_2)
	v_fma_mixlo_f16 v0, v53, v0, 0 op_sel_hi:[0,1,0]
	v_and_b32_e32 v1, 0xffff, v1
	s_delay_alu instid0(VALU_DEP_2)
	v_and_b32_e32 v0, 0xffff, v0
	;;#ASMSTART
	v_cvt_f32_f16 v120, v0;
	;;#ASMEND
	;;#ASMSTART
	v_cvt_f32_f16 v121, v1;
	;;#ASMEND
	v_lshrrev_b32_e32 v0, 16, v29
	v_and_b32_e32 v1, 0xffff, v29
	;;#ASMSTART
	v_cvt_f32_f16 v39, v1;
	;;#ASMEND
	;;#ASMSTART
	v_cvt_f32_f16 v38, v0;
	;;#ASMEND
	s_clause 0x1
	scratch_load_b32 v0, off, s32 offset:516 th:TH_LOAD_LU
	scratch_load_b32 v1, off, s32 offset:528 th:TH_LOAD_LU
	v_pk_fma_f32 v[68:69], v[104:105], v[120:121], v[68:69]
	s_wait_loadcnt 0x0
	v_or_b32_e32 v0, v1, v0
	v_fma_mixlo_f16 v1, v53, v1, 0 op_sel:[0,1,0] op_sel_hi:[0,1,0]
	s_delay_alu instid0(VALU_DEP_2) | instskip(NEXT) | instid1(VALU_DEP_2)
	v_fma_mixlo_f16 v0, v53, v0, 0 op_sel_hi:[0,1,0]
	v_and_b32_e32 v1, 0xffff, v1
	s_delay_alu instid0(VALU_DEP_2)
	v_and_b32_e32 v0, 0xffff, v0
	;;#ASMSTART
	v_cvt_f32_f16 v49, v0;
	;;#ASMEND
	;;#ASMSTART
	v_cvt_f32_f16 v48, v1;
	;;#ASMEND
	;;#ASMSTART
	v_cvt_f32_f16 v65, v5;
	;;#ASMEND
	;;#ASMSTART
	v_cvt_f32_f16 v64, v4;
	;;#ASMEND
	s_clause 0x1
	scratch_load_b32 v0, off, s32 offset:524 th:TH_LOAD_LU
	scratch_load_b32 v1, off, s32 offset:536 th:TH_LOAD_LU
	v_pk_fma_f32 v[32:33], v[38:39], v[48:49], v[32:33]
	s_wait_loadcnt 0x0
	v_or_b32_e32 v0, v1, v0
	v_fma_mixlo_f16 v1, v53, v1, 0 op_sel:[0,1,0] op_sel_hi:[0,1,0]
	s_delay_alu instid0(VALU_DEP_2) | instskip(NEXT) | instid1(VALU_DEP_2)
	v_fma_mixlo_f16 v0, v53, v0, 0 op_sel_hi:[0,1,0]
	v_and_b32_e32 v1, 0xffff, v1
	s_delay_alu instid0(VALU_DEP_2)
	v_and_b32_e32 v0, 0xffff, v0
	;;#ASMSTART
	v_cvt_f32_f16 v67, v0;
	;;#ASMEND
	;;#ASMSTART
	v_cvt_f32_f16 v66, v1;
	;;#ASMEND
	;; [unrolled: 24-line block ×3, first 2 shown]
	ds_load_b128 v[28:31], v15 offset:256
	v_pk_fma_f32 v[4:5], v[4:5], v[90:91], v[34:35]
	s_wait_dscnt 0x0
	v_and_b32_e32 v0, 0xffff, v28
	v_lshrrev_b32_e32 v1, 16, v28
	;;#ASMSTART
	v_cvt_f32_f16 v104, v0;
	;;#ASMEND
	;;#ASMSTART
	v_cvt_f32_f16 v105, v1;
	;;#ASMEND
	s_clause 0x1
	scratch_load_b32 v0, off, s32 offset:540 th:TH_LOAD_LU
	scratch_load_b32 v1, off, s32 offset:548 th:TH_LOAD_LU
	v_lshrrev_b32_e32 v2, 16, v30
	v_and_b32_e32 v3, 0xffff, v30
	v_lshrrev_b32_e32 v14, 16, v31
	v_and_b32_e32 v28, 0xffff, v31
	s_wait_loadcnt 0x0
	v_or_b32_e32 v0, v1, v0
	v_fma_mixlo_f16 v1, v53, v1, 0 op_sel:[0,1,0] op_sel_hi:[0,1,0]
	s_delay_alu instid0(VALU_DEP_2) | instskip(NEXT) | instid1(VALU_DEP_2)
	v_fma_mixlo_f16 v0, v53, v0, 0 op_sel_hi:[0,1,0]
	v_and_b32_e32 v1, 0xffff, v1
	s_delay_alu instid0(VALU_DEP_2)
	v_and_b32_e32 v0, 0xffff, v0
	;;#ASMSTART
	v_cvt_f32_f16 v120, v0;
	;;#ASMEND
	;;#ASMSTART
	v_cvt_f32_f16 v121, v1;
	;;#ASMEND
	v_lshrrev_b32_e32 v0, 16, v29
	v_and_b32_e32 v1, 0xffff, v29
	;;#ASMSTART
	v_cvt_f32_f16 v39, v1;
	;;#ASMEND
	;;#ASMSTART
	v_cvt_f32_f16 v38, v0;
	;;#ASMEND
	s_clause 0x1
	scratch_load_b32 v0, off, s32 offset:544 th:TH_LOAD_LU
	scratch_load_b32 v1, off, s32 offset:556 th:TH_LOAD_LU
	v_pk_fma_f32 v[68:69], v[104:105], v[120:121], v[68:69]
	s_wait_loadcnt 0x0
	v_or_b32_e32 v0, v1, v0
	v_fma_mixlo_f16 v1, v53, v1, 0 op_sel:[0,1,0] op_sel_hi:[0,1,0]
	s_delay_alu instid0(VALU_DEP_2) | instskip(NEXT) | instid1(VALU_DEP_2)
	v_fma_mixlo_f16 v0, v53, v0, 0 op_sel_hi:[0,1,0]
	v_and_b32_e32 v1, 0xffff, v1
	s_delay_alu instid0(VALU_DEP_2)
	v_and_b32_e32 v0, 0xffff, v0
	;;#ASMSTART
	v_cvt_f32_f16 v49, v0;
	;;#ASMEND
	;;#ASMSTART
	v_cvt_f32_f16 v48, v1;
	;;#ASMEND
	;; [unrolled: 3-line block ×4, first 2 shown]
	s_clause 0x1
	scratch_load_b32 v0, off, s32 offset:552 th:TH_LOAD_LU
	scratch_load_b32 v1, off, s32 offset:564 th:TH_LOAD_LU
	v_pk_fma_f32 v[32:33], v[38:39], v[48:49], v[32:33]
	s_wait_loadcnt 0x0
	v_or_b32_e32 v0, v1, v0
	v_fma_mixlo_f16 v1, v53, v1, 0 op_sel:[0,1,0] op_sel_hi:[0,1,0]
	s_delay_alu instid0(VALU_DEP_2) | instskip(NEXT) | instid1(VALU_DEP_2)
	v_fma_mixlo_f16 v0, v53, v0, 0 op_sel_hi:[0,1,0]
	v_and_b32_e32 v1, 0xffff, v1
	s_delay_alu instid0(VALU_DEP_2)
	v_and_b32_e32 v0, 0xffff, v0
	;;#ASMSTART
	v_cvt_f32_f16 v71, v0;
	;;#ASMEND
	;;#ASMSTART
	v_cvt_f32_f16 v70, v1;
	;;#ASMEND
	;; [unrolled: 3-line block ×4, first 2 shown]
	s_clause 0x1
	scratch_load_b32 v0, off, s32 offset:560 th:TH_LOAD_LU
	scratch_load_b32 v1, off, s32 offset:804 th:TH_LOAD_LU
	s_wait_loadcnt 0x0
	v_or_b32_e32 v0, v1, v0
	v_fma_mixlo_f16 v1, v53, v1, 0 op_sel:[0,1,0] op_sel_hi:[0,1,0]
	s_delay_alu instid0(VALU_DEP_2) | instskip(NEXT) | instid1(VALU_DEP_2)
	v_fma_mixlo_f16 v0, v53, v0, 0 op_sel_hi:[0,1,0]
	v_and_b32_e32 v1, 0xffff, v1
	s_delay_alu instid0(VALU_DEP_2)
	v_and_b32_e32 v0, 0xffff, v0
	;;#ASMSTART
	v_cvt_f32_f16 v85, v0;
	;;#ASMEND
	;;#ASMSTART
	v_cvt_f32_f16 v84, v1;
	;;#ASMEND
	ds_load_b128 v[28:31], v15 offset:272
	v_pk_fma_f32 v[2:3], v[2:3], v[84:85], v[4:5]
	s_wait_dscnt 0x0
	v_and_b32_e32 v0, 0xffff, v28
	v_lshrrev_b32_e32 v1, 16, v28
	;;#ASMSTART
	v_cvt_f32_f16 v104, v0;
	;;#ASMEND
	;;#ASMSTART
	v_cvt_f32_f16 v105, v1;
	;;#ASMEND
	scratch_load_b32 v0, off, s32 offset:568 th:TH_LOAD_LU ; 4-byte Folded Reload
	v_lshrrev_b32_e32 v14, 16, v30
	v_fma_mixlo_f16 v1, v53, v46, 0 op_sel:[0,1,0] op_sel_hi:[0,1,0]
	v_and_b32_e32 v26, 0xffff, v30
	v_lshrrev_b32_e32 v27, 16, v31
	v_and_b32_e32 v28, 0xffff, v31
	s_delay_alu instid0(VALU_DEP_4) | instskip(SKIP_2) | instid1(VALU_DEP_1)
	v_and_b32_e32 v1, 0xffff, v1
	s_wait_loadcnt 0x0
	v_or_b32_e32 v0, v46, v0
	v_fma_mixlo_f16 v0, v53, v0, 0 op_sel_hi:[0,1,0]
	s_delay_alu instid0(VALU_DEP_1)
	v_and_b32_e32 v0, 0xffff, v0
	;;#ASMSTART
	v_cvt_f32_f16 v120, v0;
	;;#ASMEND
	v_lshrrev_b32_e32 v0, 16, v29
	;;#ASMSTART
	v_cvt_f32_f16 v121, v1;
	;;#ASMEND
	v_and_b32_e32 v1, 0xffff, v29
	;;#ASMSTART
	v_cvt_f32_f16 v31, v1;
	;;#ASMEND
	;;#ASMSTART
	v_cvt_f32_f16 v30, v0;
	;;#ASMEND
	scratch_load_b32 v0, off, s32 offset:572 th:TH_LOAD_LU ; 4-byte Folded Reload
	v_pk_fma_f32 v[68:69], v[104:105], v[120:121], v[68:69]
	v_fma_mixlo_f16 v1, v53, v99, 0 op_sel:[0,1,0] op_sel_hi:[0,1,0]
	s_delay_alu instid0(VALU_DEP_1) | instskip(SKIP_2) | instid1(VALU_DEP_1)
	v_and_b32_e32 v1, 0xffff, v1
	s_wait_loadcnt 0x0
	v_or_b32_e32 v0, v99, v0
	v_fma_mixlo_f16 v0, v53, v0, 0 op_sel_hi:[0,1,0]
	s_delay_alu instid0(VALU_DEP_1)
	v_and_b32_e32 v0, 0xffff, v0
	;;#ASMSTART
	v_cvt_f32_f16 v39, v0;
	;;#ASMEND
	;;#ASMSTART
	v_cvt_f32_f16 v38, v1;
	;;#ASMEND
	;; [unrolled: 3-line block ×4, first 2 shown]
	scratch_load_b32 v0, off, s32 offset:576 th:TH_LOAD_LU ; 4-byte Folded Reload
	v_fma_mixlo_f16 v1, v53, v102, 0 op_sel:[0,1,0] op_sel_hi:[0,1,0]
	v_pk_fma_f32 v[30:31], v[30:31], v[38:39], v[32:33]
	v_pk_fma_f32 v[38:39], v[50:51], v[70:71], v[36:37]
	s_delay_alu instid0(VALU_DEP_3) | instskip(SKIP_2) | instid1(VALU_DEP_1)
	v_and_b32_e32 v1, 0xffff, v1
	s_wait_loadcnt 0x0
	v_or_b32_e32 v0, v102, v0
	v_fma_mixlo_f16 v0, v53, v0, 0 op_sel_hi:[0,1,0]
	s_delay_alu instid0(VALU_DEP_1)
	v_and_b32_e32 v0, 0xffff, v0
	;;#ASMSTART
	v_cvt_f32_f16 v65, v0;
	;;#ASMEND
	;;#ASMSTART
	v_cvt_f32_f16 v64, v1;
	;;#ASMEND
	;; [unrolled: 3-line block ×4, first 2 shown]
	scratch_load_b32 v0, off, s32 offset:580 th:TH_LOAD_LU ; 4-byte Folded Reload
	v_fma_mixlo_f16 v1, v53, v101, 0 op_sel:[0,1,0] op_sel_hi:[0,1,0]
	s_delay_alu instid0(VALU_DEP_1) | instskip(SKIP_2) | instid1(VALU_DEP_1)
	v_and_b32_e32 v1, 0xffff, v1
	s_wait_loadcnt 0x0
	v_or_b32_e32 v0, v101, v0
	v_fma_mixlo_f16 v0, v53, v0, 0 op_sel_hi:[0,1,0]
	s_delay_alu instid0(VALU_DEP_1)
	v_and_b32_e32 v0, 0xffff, v0
	;;#ASMSTART
	v_cvt_f32_f16 v45, v0;
	;;#ASMEND
	;;#ASMSTART
	v_cvt_f32_f16 v44, v1;
	;;#ASMEND
	ds_load_b128 v[26:29], v15 offset:288
	v_pk_fma_f32 v[2:3], v[66:67], v[44:45], v[2:3]
	s_wait_dscnt 0x0
	v_and_b32_e32 v0, 0xffff, v26
	v_lshrrev_b32_e32 v1, 16, v26
	;;#ASMSTART
	v_cvt_f32_f16 v104, v0;
	;;#ASMEND
	;;#ASMSTART
	v_cvt_f32_f16 v105, v1;
	;;#ASMEND
	scratch_load_b32 v0, off, s32 offset:584 th:TH_LOAD_LU ; 4-byte Folded Reload
	v_lshrrev_b32_e32 v14, 16, v28
	v_fma_mixlo_f16 v1, v53, v114, 0 op_sel:[0,1,0] op_sel_hi:[0,1,0]
	v_and_b32_e32 v32, 0xffff, v28
	v_lshrrev_b32_e32 v33, 16, v29
	v_and_b32_e32 v34, 0xffff, v29
	s_delay_alu instid0(VALU_DEP_4) | instskip(SKIP_2) | instid1(VALU_DEP_1)
	v_and_b32_e32 v1, 0xffff, v1
	s_wait_loadcnt 0x0
	v_or_b32_e32 v0, v114, v0
	v_fma_mixlo_f16 v0, v53, v0, 0 op_sel_hi:[0,1,0]
	s_delay_alu instid0(VALU_DEP_1)
	v_and_b32_e32 v0, 0xffff, v0
	;;#ASMSTART
	v_cvt_f32_f16 v120, v0;
	;;#ASMEND
	v_lshrrev_b32_e32 v0, 16, v27
	;;#ASMSTART
	v_cvt_f32_f16 v121, v1;
	;;#ASMEND
	v_and_b32_e32 v1, 0xffff, v27
	;;#ASMSTART
	v_cvt_f32_f16 v27, v1;
	;;#ASMEND
	;;#ASMSTART
	v_cvt_f32_f16 v26, v0;
	;;#ASMEND
	scratch_load_b32 v0, off, s32 offset:588 th:TH_LOAD_LU ; 4-byte Folded Reload
	v_pk_fma_f32 v[68:69], v[104:105], v[120:121], v[68:69]
	v_fma_mixlo_f16 v1, v53, v96, 0 op_sel:[0,1,0] op_sel_hi:[0,1,0]
	s_delay_alu instid0(VALU_DEP_1) | instskip(SKIP_2) | instid1(VALU_DEP_1)
	v_and_b32_e32 v1, 0xffff, v1
	s_wait_loadcnt 0x0
	v_or_b32_e32 v0, v96, v0
	v_fma_mixlo_f16 v0, v53, v0, 0 op_sel_hi:[0,1,0]
	s_delay_alu instid0(VALU_DEP_1)
	v_and_b32_e32 v0, 0xffff, v0
	;;#ASMSTART
	v_cvt_f32_f16 v29, v0;
	;;#ASMEND
	;;#ASMSTART
	v_cvt_f32_f16 v28, v1;
	;;#ASMEND
	;; [unrolled: 3-line block ×4, first 2 shown]
	scratch_load_b32 v0, off, s32 offset:592 th:TH_LOAD_LU ; 4-byte Folded Reload
	v_fma_mixlo_f16 v1, v53, v117, 0 op_sel:[0,1,0] op_sel_hi:[0,1,0]
	v_pk_fma_f32 v[26:27], v[26:27], v[28:29], v[30:31]
	v_pk_fma_f32 v[28:29], v[48:49], v[64:65], v[38:39]
	s_delay_alu instid0(VALU_DEP_3) | instskip(SKIP_2) | instid1(VALU_DEP_1)
	v_and_b32_e32 v1, 0xffff, v1
	s_wait_loadcnt 0x0
	v_or_b32_e32 v0, v117, v0
	v_fma_mixlo_f16 v0, v53, v0, 0 op_sel_hi:[0,1,0]
	s_delay_alu instid0(VALU_DEP_1)
	v_and_b32_e32 v0, 0xffff, v0
	;;#ASMSTART
	v_cvt_f32_f16 v71, v0;
	;;#ASMEND
	;;#ASMSTART
	v_cvt_f32_f16 v70, v1;
	;;#ASMEND
	;; [unrolled: 3-line block ×4, first 2 shown]
	scratch_load_b32 v0, off, s32 offset:596 th:TH_LOAD_LU ; 4-byte Folded Reload
	v_fma_mixlo_f16 v1, v53, v94, 0 op_sel:[0,1,0] op_sel_hi:[0,1,0]
	s_delay_alu instid0(VALU_DEP_1) | instskip(SKIP_2) | instid1(VALU_DEP_1)
	v_and_b32_e32 v1, 0xffff, v1
	s_wait_loadcnt 0x0
	v_or_b32_e32 v0, v94, v0
	v_fma_mixlo_f16 v0, v53, v0, 0 op_sel_hi:[0,1,0]
	s_delay_alu instid0(VALU_DEP_1)
	v_and_b32_e32 v0, 0xffff, v0
	;;#ASMSTART
	v_cvt_f32_f16 v105, v0;
	;;#ASMEND
	;;#ASMSTART
	v_cvt_f32_f16 v104, v1;
	;;#ASMEND
	ds_load_b128 v[34:37], v15 offset:304
	v_pk_fma_f32 v[2:3], v[90:91], v[104:105], v[2:3]
	s_wait_dscnt 0x0
	v_and_b32_e32 v0, 0xffff, v34
	v_lshrrev_b32_e32 v1, 16, v34
	;;#ASMSTART
	v_cvt_f32_f16 v32, v0;
	;;#ASMEND
	;;#ASMSTART
	v_cvt_f32_f16 v33, v1;
	;;#ASMEND
	scratch_load_b32 v0, off, s32 offset:600 th:TH_LOAD_LU ; 4-byte Folded Reload
	v_lshrrev_b32_e32 v14, 16, v37
	v_fma_mixlo_f16 v1, v53, v86, 0 op_sel:[0,1,0] op_sel_hi:[0,1,0]
	s_delay_alu instid0(VALU_DEP_1) | instskip(SKIP_2) | instid1(VALU_DEP_1)
	v_and_b32_e32 v1, 0xffff, v1
	s_wait_loadcnt 0x0
	v_or_b32_e32 v0, v86, v0
	v_fma_mixlo_f16 v0, v53, v0, 0 op_sel_hi:[0,1,0]
	s_delay_alu instid0(VALU_DEP_1)
	v_and_b32_e32 v0, 0xffff, v0
	;;#ASMSTART
	v_cvt_f32_f16 v120, v0;
	;;#ASMEND
	v_and_b32_e32 v0, 0xffff, v35
	;;#ASMSTART
	v_cvt_f32_f16 v121, v1;
	;;#ASMEND
	v_lshrrev_b32_e32 v1, 16, v35
	;;#ASMSTART
	v_cvt_f32_f16 v5, v0;
	;;#ASMEND
	;;#ASMSTART
	v_cvt_f32_f16 v4, v1;
	;;#ASMEND
	scratch_load_b32 v0, off, s32 offset:604 th:TH_LOAD_LU ; 4-byte Folded Reload
	v_pk_fma_f32 v[32:33], v[32:33], v[120:121], v[68:69]
	v_fma_mixlo_f16 v1, v53, v98, 0 op_sel:[0,1,0] op_sel_hi:[0,1,0]
	s_delay_alu instid0(VALU_DEP_1) | instskip(SKIP_2) | instid1(VALU_DEP_1)
	v_and_b32_e32 v1, 0xffff, v1
	s_wait_loadcnt 0x0
	v_or_b32_e32 v0, v98, v0
	v_fma_mixlo_f16 v0, v53, v0, 0 op_sel_hi:[0,1,0]
	s_delay_alu instid0(VALU_DEP_1)
	v_and_b32_e32 v0, 0xffff, v0
	;;#ASMSTART
	v_cvt_f32_f16 v31, v0;
	;;#ASMEND
	;;#ASMSTART
	v_cvt_f32_f16 v30, v1;
	;;#ASMEND
	v_and_b32_e32 v0, 0xffff, v36
	v_pk_fma_f32 v[30:31], v[4:5], v[30:31], v[26:27]
	v_lshrrev_b32_e32 v1, 16, v36
	;;#ASMSTART
	v_cvt_f32_f16 v27, v0;
	;;#ASMEND
	;;#ASMSTART
	v_cvt_f32_f16 v26, v1;
	;;#ASMEND
	scratch_load_b32 v0, off, s32 offset:612 th:TH_LOAD_LU ; 4-byte Folded Reload
	v_pk_fma_f32 v[4:5], v[50:51], v[70:71], v[28:29]
	v_fma_mixlo_f16 v1, v53, v83, 0 op_sel:[0,1,0] op_sel_hi:[0,1,0]
	s_delay_alu instid0(VALU_DEP_1) | instskip(SKIP_2) | instid1(VALU_DEP_1)
	v_and_b32_e32 v1, 0xffff, v1
	s_wait_loadcnt 0x0
	v_or_b32_e32 v0, v83, v0
	v_fma_mixlo_f16 v0, v53, v0, 0 op_sel_hi:[0,1,0]
	s_delay_alu instid0(VALU_DEP_1)
	v_and_b32_e32 v0, 0xffff, v0
	;;#ASMSTART
	v_cvt_f32_f16 v29, v0;
	;;#ASMEND
	;;#ASMSTART
	v_cvt_f32_f16 v28, v1;
	;;#ASMEND
	scratch_load_b32 v0, off, s32 offset:620 th:TH_LOAD_LU ; 4-byte Folded Reload
	v_fma_mixlo_f16 v1, v53, v116, 0 op_sel:[0,1,0] op_sel_hi:[0,1,0]
	v_pk_fma_f32 v[28:29], v[26:27], v[28:29], v[4:5]
	v_and_b32_e32 v4, 0xffff, v37
	;;#ASMSTART
	v_cvt_f32_f16 v5, v4;
	;;#ASMEND
	;;#ASMSTART
	v_cvt_f32_f16 v4, v14;
	;;#ASMEND
	v_and_b32_e32 v1, 0xffff, v1
	s_wait_loadcnt 0x0
	v_or_b32_e32 v0, v116, v0
	s_delay_alu instid0(VALU_DEP_1) | instskip(NEXT) | instid1(VALU_DEP_1)
	v_fma_mixlo_f16 v0, v53, v0, 0 op_sel_hi:[0,1,0]
	v_and_b32_e32 v0, 0xffff, v0
	;;#ASMSTART
	v_cvt_f32_f16 v27, v0;
	;;#ASMEND
	;;#ASMSTART
	v_cvt_f32_f16 v26, v1;
	;;#ASMEND
	v_pk_fma_f32 v[26:27], v[4:5], v[26:27], v[2:3]
	ds_load_b128 v[2:5], v15 offset:320
	s_wait_dscnt 0x0
	v_and_b32_e32 v0, 0xffff, v2
	v_lshrrev_b32_e32 v1, 16, v2
	;;#ASMSTART
	v_cvt_f32_f16 v34, v0;
	;;#ASMEND
	;;#ASMSTART
	v_cvt_f32_f16 v35, v1;
	;;#ASMEND
	scratch_load_b32 v0, off, s32 offset:628 th:TH_LOAD_LU ; 4-byte Folded Reload
	v_lshrrev_b32_e32 v2, 16, v3
	v_fma_mixlo_f16 v1, v53, v103, 0 op_sel:[0,1,0] op_sel_hi:[0,1,0]
	v_and_b32_e32 v3, 0xffff, v3
	v_lshrrev_b32_e32 v14, 16, v4
	v_and_b32_e32 v4, 0xffff, v4
	s_delay_alu instid0(VALU_DEP_4) | instskip(SKIP_2) | instid1(VALU_DEP_1)
	v_and_b32_e32 v1, 0xffff, v1
	s_wait_loadcnt 0x0
	v_or_b32_e32 v0, v103, v0
	v_fma_mixlo_f16 v0, v53, v0, 0 op_sel_hi:[0,1,0]
	s_delay_alu instid0(VALU_DEP_1)
	v_and_b32_e32 v0, 0xffff, v0
	;;#ASMSTART
	v_cvt_f32_f16 v36, v0;
	;;#ASMEND
	;;#ASMSTART
	v_cvt_f32_f16 v37, v1;
	;;#ASMEND
	scratch_load_b32 v0, off, s32 offset:608 th:TH_LOAD_LU ; 4-byte Folded Reload
	v_pk_fma_f32 v[32:33], v[34:35], v[36:37], v[32:33]
	v_fma_mixlo_f16 v1, v53, v100, 0 op_sel:[0,1,0] op_sel_hi:[0,1,0]
	v_lshrrev_b32_e32 v34, 16, v5
	v_and_b32_e32 v5, 0xffff, v5
	s_wait_loadcnt 0x0
	v_or_b32_e32 v0, v100, v0
	s_delay_alu instid0(VALU_DEP_1) | instskip(NEXT) | instid1(VALU_DEP_1)
	v_fma_mixlo_f16 v0, v53, v0, 0 op_sel_hi:[0,1,0]
	v_and_b32_e32 v35, 0xffff, v0
	scratch_load_b32 v0, off, s32 offset:616 th:TH_LOAD_LU ; 4-byte Folded Reload
	;;#ASMSTART
	v_cvt_f32_f16 v101, v3;
	;;#ASMEND
	v_and_b32_e32 v3, 0xffff, v1
	;;#ASMSTART
	v_cvt_f32_f16 v100, v2;
	;;#ASMEND
	;;#ASMSTART
	v_cvt_f32_f16 v103, v35;
	;;#ASMEND
	scratch_load_b32 v1, off, s32 offset:624 th:TH_LOAD_LU ; 4-byte Folded Reload
	v_fma_mixlo_f16 v2, v53, v47, 0 op_sel:[0,1,0] op_sel_hi:[0,1,0]
	;;#ASMSTART
	v_cvt_f32_f16 v102, v3;
	;;#ASMEND
	;;#ASMSTART
	v_cvt_f32_f16 v45, v4;
	;;#ASMEND
	;; [unrolled: 3-line block ×3, first 2 shown]
	v_pk_fma_f32 v[122:123], v[100:101], v[102:103], v[30:31]
	v_and_b32_e32 v2, 0xffff, v2
	s_wait_loadcnt 0x1
	v_or_b32_e32 v0, v47, v0
	s_delay_alu instid0(VALU_DEP_1) | instskip(SKIP_2) | instid1(VALU_DEP_2)
	v_fma_mixlo_f16 v0, v53, v0, 0 op_sel_hi:[0,1,0]
	s_wait_loadcnt 0x0
	v_or_b32_e32 v1, v57, v1
	v_and_b32_e32 v3, 0xffff, v0
	s_delay_alu instid0(VALU_DEP_2)
	v_fma_mixlo_f16 v0, v53, v1, 0 op_sel_hi:[0,1,0]
	v_fma_mixlo_f16 v1, v53, v57, 0 op_sel:[0,1,0] op_sel_hi:[0,1,0]
	;;#ASMSTART
	v_cvt_f32_f16 v57, v3;
	;;#ASMEND
	;;#ASMSTART
	v_cvt_f32_f16 v56, v2;
	;;#ASMEND
	;; [unrolled: 3-line block ×3, first 2 shown]
	v_and_b32_e32 v0, 0xffff, v0
	v_and_b32_e32 v1, 0xffff, v1
	;;#ASMSTART
	v_cvt_f32_f16 v48, v34;
	;;#ASMEND
	;;#ASMSTART
	v_cvt_f32_f16 v51, v0;
	;;#ASMEND
	;; [unrolled: 3-line block ×3, first 2 shown]
	ds_load_b128 v[2:5], v15 offset:336
	s_wait_dscnt 0x0
	v_and_b32_e32 v0, 0xffff, v2
	v_lshrrev_b32_e32 v1, 16, v2
	;;#ASMSTART
	v_cvt_f32_f16 v34, v0;
	;;#ASMEND
	;;#ASMSTART
	v_cvt_f32_f16 v35, v1;
	;;#ASMEND
	scratch_load_b32 v0, off, s32 offset:632 th:TH_LOAD_LU ; 4-byte Folded Reload
	v_lshrrev_b32_e32 v2, 16, v4
	v_fma_mixlo_f16 v1, v53, v115, 0 op_sel:[0,1,0] op_sel_hi:[0,1,0]
	v_lshrrev_b32_e32 v14, 16, v5
	s_delay_alu instid0(VALU_DEP_2) | instskip(SKIP_2) | instid1(VALU_DEP_1)
	v_and_b32_e32 v1, 0xffff, v1
	s_wait_loadcnt 0x0
	v_or_b32_e32 v0, v115, v0
	v_fma_mixlo_f16 v0, v53, v0, 0 op_sel_hi:[0,1,0]
	s_delay_alu instid0(VALU_DEP_1)
	v_and_b32_e32 v0, 0xffff, v0
	;;#ASMSTART
	v_cvt_f32_f16 v36, v0;
	;;#ASMEND
	v_lshrrev_b32_e32 v0, 16, v3
	;;#ASMSTART
	v_cvt_f32_f16 v37, v1;
	;;#ASMEND
	v_and_b32_e32 v1, 0xffff, v3
	;;#ASMSTART
	v_cvt_f32_f16 v115, v1;
	;;#ASMEND
	;;#ASMSTART
	v_cvt_f32_f16 v114, v0;
	;;#ASMEND
	scratch_load_b32 v0, off, s32 offset:636 th:TH_LOAD_LU ; 4-byte Folded Reload
	v_and_b32_e32 v3, 0xffff, v4
	v_fma_mixlo_f16 v1, v53, v119, 0 op_sel:[0,1,0] op_sel_hi:[0,1,0]
	v_pk_fma_f32 v[64:65], v[34:35], v[36:37], v[32:33]
	v_and_b32_e32 v32, 0xffff, v5
	s_delay_alu instid0(VALU_DEP_3) | instskip(SKIP_2) | instid1(VALU_DEP_1)
	v_and_b32_e32 v1, 0xffff, v1
	s_wait_loadcnt 0x0
	v_or_b32_e32 v0, v119, v0
	v_fma_mixlo_f16 v0, v53, v0, 0 op_sel_hi:[0,1,0]
	s_delay_alu instid0(VALU_DEP_1)
	v_and_b32_e32 v0, 0xffff, v0
	;;#ASMSTART
	v_cvt_f32_f16 v117, v0;
	;;#ASMEND
	;;#ASMSTART
	v_cvt_f32_f16 v116, v1;
	;;#ASMEND
	;; [unrolled: 3-line block ×4, first 2 shown]
	scratch_load_b32 v0, off, s32 offset:640 th:TH_LOAD_LU ; 4-byte Folded Reload
	v_fma_mixlo_f16 v1, v53, v43, 0 op_sel:[0,1,0] op_sel_hi:[0,1,0]
	v_pk_fma_f32 v[122:123], v[114:115], v[116:117], v[122:123]
	s_delay_alu instid0(VALU_DEP_2) | instskip(SKIP_2) | instid1(VALU_DEP_1)
	v_and_b32_e32 v1, 0xffff, v1
	s_wait_loadcnt 0x0
	v_or_b32_e32 v0, v43, v0
	v_fma_mixlo_f16 v0, v53, v0, 0 op_sel_hi:[0,1,0]
	s_delay_alu instid0(VALU_DEP_1)
	v_and_b32_e32 v0, 0xffff, v0
	;;#ASMSTART
	v_cvt_f32_f16 v5, v0;
	;;#ASMEND
	;;#ASMSTART
	v_cvt_f32_f16 v4, v1;
	;;#ASMEND
	;; [unrolled: 3-line block ×4, first 2 shown]
	scratch_load_b32 v0, off, s32 offset:644 th:TH_LOAD_LU ; 4-byte Folded Reload
	v_fma_mixlo_f16 v1, v53, v97, 0 op_sel:[0,1,0] op_sel_hi:[0,1,0]
	s_delay_alu instid0(VALU_DEP_1) | instskip(SKIP_2) | instid1(VALU_DEP_1)
	v_and_b32_e32 v1, 0xffff, v1
	s_wait_loadcnt 0x0
	v_or_b32_e32 v0, v97, v0
	v_fma_mixlo_f16 v0, v53, v0, 0 op_sel_hi:[0,1,0]
	s_delay_alu instid0(VALU_DEP_1)
	v_and_b32_e32 v0, 0xffff, v0
	;;#ASMSTART
	v_cvt_f32_f16 v35, v0;
	;;#ASMEND
	;;#ASMSTART
	v_cvt_f32_f16 v34, v1;
	;;#ASMEND
	ds_load_b128 v[36:39], v15 offset:352
	s_wait_dscnt 0x0
	v_and_b32_e32 v0, 0xffff, v36
	v_lshrrev_b32_e32 v1, 16, v36
	;;#ASMSTART
	v_cvt_f32_f16 v66, v0;
	;;#ASMEND
	;;#ASMSTART
	v_cvt_f32_f16 v67, v1;
	;;#ASMEND
	scratch_load_b32 v0, off, s32 offset:648 th:TH_LOAD_LU ; 4-byte Folded Reload
	v_lshrrev_b32_e32 v14, 16, v38
	v_fma_mixlo_f16 v1, v53, v42, 0 op_sel:[0,1,0] op_sel_hi:[0,1,0]
	v_and_b32_e32 v36, 0xffff, v38
	v_lshrrev_b32_e32 v38, 16, v39
	s_delay_alu instid0(VALU_DEP_3) | instskip(SKIP_2) | instid1(VALU_DEP_1)
	v_and_b32_e32 v1, 0xffff, v1
	s_wait_loadcnt 0x0
	v_or_b32_e32 v0, v42, v0
	v_fma_mixlo_f16 v0, v53, v0, 0 op_sel_hi:[0,1,0]
	s_delay_alu instid0(VALU_DEP_1)
	v_and_b32_e32 v0, 0xffff, v0
	;;#ASMSTART
	v_cvt_f32_f16 v68, v0;
	;;#ASMEND
	v_lshrrev_b32_e32 v0, 16, v37
	;;#ASMSTART
	v_cvt_f32_f16 v69, v1;
	;;#ASMEND
	v_and_b32_e32 v1, 0xffff, v37
	;;#ASMSTART
	v_cvt_f32_f16 v43, v1;
	;;#ASMEND
	;;#ASMSTART
	v_cvt_f32_f16 v42, v0;
	;;#ASMEND
	scratch_load_b32 v0, off, s32 offset:652 th:TH_LOAD_LU ; 4-byte Folded Reload
	v_and_b32_e32 v37, 0xffff, v39
	v_fma_mixlo_f16 v1, v53, v95, 0 op_sel:[0,1,0] op_sel_hi:[0,1,0]
	v_pk_fma_f32 v[68:69], v[66:67], v[68:69], v[64:65]
	s_delay_alu instid0(VALU_DEP_2) | instskip(SKIP_2) | instid1(VALU_DEP_1)
	v_and_b32_e32 v1, 0xffff, v1
	s_wait_loadcnt 0x0
	v_or_b32_e32 v0, v95, v0
	v_fma_mixlo_f16 v0, v53, v0, 0 op_sel_hi:[0,1,0]
	s_delay_alu instid0(VALU_DEP_1)
	v_and_b32_e32 v0, 0xffff, v0
	;;#ASMSTART
	v_cvt_f32_f16 v47, v0;
	;;#ASMEND
	;;#ASMSTART
	v_cvt_f32_f16 v46, v1;
	;;#ASMEND
	;; [unrolled: 3-line block ×4, first 2 shown]
	scratch_load_b32 v0, off, s32 offset:656 th:TH_LOAD_LU ; 4-byte Folded Reload
	v_fma_mixlo_f16 v1, v53, v74, 0 op_sel:[0,1,0] op_sel_hi:[0,1,0]
	s_delay_alu instid0(VALU_DEP_1) | instskip(SKIP_2) | instid1(VALU_DEP_1)
	v_and_b32_e32 v1, 0xffff, v1
	s_wait_loadcnt 0x0
	v_or_b32_e32 v0, v74, v0
	v_fma_mixlo_f16 v0, v53, v0, 0 op_sel_hi:[0,1,0]
	s_delay_alu instid0(VALU_DEP_1)
	v_and_b32_e32 v0, 0xffff, v0
	;;#ASMSTART
	v_cvt_f32_f16 v99, v0;
	;;#ASMEND
	;;#ASMSTART
	v_cvt_f32_f16 v98, v1;
	;;#ASMEND
	;; [unrolled: 3-line block ×4, first 2 shown]
	scratch_load_b32 v0, off, s32 offset:660 th:TH_LOAD_LU ; 4-byte Folded Reload
	v_fma_mixlo_f16 v1, v53, v59, 0 op_sel:[0,1,0] op_sel_hi:[0,1,0]
	s_delay_alu instid0(VALU_DEP_1) | instskip(SKIP_2) | instid1(VALU_DEP_1)
	v_and_b32_e32 v1, 0xffff, v1
	s_wait_loadcnt 0x0
	v_or_b32_e32 v0, v59, v0
	v_fma_mixlo_f16 v0, v53, v0, 0 op_sel_hi:[0,1,0]
	s_delay_alu instid0(VALU_DEP_1)
	v_and_b32_e32 v0, 0xffff, v0
	;;#ASMSTART
	v_cvt_f32_f16 v39, v0;
	;;#ASMEND
	;;#ASMSTART
	v_cvt_f32_f16 v38, v1;
	;;#ASMEND
	ds_load_b128 v[64:67], v15 offset:368
	s_wait_dscnt 0x0
	v_and_b32_e32 v0, 0xffff, v64
	v_lshrrev_b32_e32 v1, 16, v64
	;;#ASMSTART
	v_cvt_f32_f16 v70, v0;
	;;#ASMEND
	;;#ASMSTART
	v_cvt_f32_f16 v71, v1;
	;;#ASMEND
	scratch_load_b32 v0, off, s32 offset:664 th:TH_LOAD_LU ; 4-byte Folded Reload
	v_lshrrev_b32_e32 v14, 16, v66
	v_fma_mixlo_f16 v1, v53, v78, 0 op_sel:[0,1,0] op_sel_hi:[0,1,0]
	v_and_b32_e32 v64, 0xffff, v66
	v_lshrrev_b32_e32 v66, 16, v67
	s_delay_alu instid0(VALU_DEP_3) | instskip(SKIP_2) | instid1(VALU_DEP_1)
	v_and_b32_e32 v1, 0xffff, v1
	s_wait_loadcnt 0x0
	v_or_b32_e32 v0, v78, v0
	v_fma_mixlo_f16 v0, v53, v0, 0 op_sel_hi:[0,1,0]
	s_delay_alu instid0(VALU_DEP_1)
	v_and_b32_e32 v0, 0xffff, v0
	;;#ASMSTART
	v_cvt_f32_f16 v84, v0;
	;;#ASMEND
	v_lshrrev_b32_e32 v0, 16, v65
	;;#ASMSTART
	v_cvt_f32_f16 v85, v1;
	;;#ASMEND
	v_and_b32_e32 v1, 0xffff, v65
	;;#ASMSTART
	v_cvt_f32_f16 v95, v1;
	;;#ASMEND
	;;#ASMSTART
	v_cvt_f32_f16 v94, v0;
	;;#ASMEND
	scratch_load_b32 v0, off, s32 offset:668 th:TH_LOAD_LU ; 4-byte Folded Reload
	v_pk_fma_f32 v[90:91], v[70:71], v[84:85], v[68:69]
	v_fma_mixlo_f16 v1, v53, v88, 0 op_sel:[0,1,0] op_sel_hi:[0,1,0]
	v_and_b32_e32 v65, 0xffff, v67
	s_delay_alu instid0(VALU_DEP_2) | instskip(SKIP_2) | instid1(VALU_DEP_1)
	v_and_b32_e32 v1, 0xffff, v1
	s_wait_loadcnt 0x0
	v_or_b32_e32 v0, v88, v0
	v_fma_mixlo_f16 v0, v53, v0, 0 op_sel_hi:[0,1,0]
	s_delay_alu instid0(VALU_DEP_1)
	v_and_b32_e32 v0, 0xffff, v0
	;;#ASMSTART
	v_cvt_f32_f16 v105, v0;
	;;#ASMEND
	;;#ASMSTART
	v_cvt_f32_f16 v104, v1;
	;;#ASMEND
	;; [unrolled: 3-line block ×4, first 2 shown]
	scratch_load_b32 v0, off, s32 offset:672 th:TH_LOAD_LU ; 4-byte Folded Reload
	v_fma_mixlo_f16 v1, v53, v93, 0 op_sel:[0,1,0] op_sel_hi:[0,1,0]
	s_delay_alu instid0(VALU_DEP_1) | instskip(SKIP_2) | instid1(VALU_DEP_1)
	v_and_b32_e32 v1, 0xffff, v1
	s_wait_loadcnt 0x0
	v_or_b32_e32 v0, v93, v0
	v_fma_mixlo_f16 v0, v53, v0, 0 op_sel_hi:[0,1,0]
	s_delay_alu instid0(VALU_DEP_1)
	v_and_b32_e32 v0, 0xffff, v0
	;;#ASMSTART
	v_cvt_f32_f16 v71, v0;
	;;#ASMEND
	v_or_b32_e32 v0, v110, v111
	;;#ASMSTART
	v_cvt_f32_f16 v70, v1;
	;;#ASMEND
	v_fma_mixlo_f16 v1, v53, v110, 0 op_sel:[0,1,0] op_sel_hi:[0,1,0]
	;;#ASMSTART
	v_cvt_f32_f16 v65, v65;
	;;#ASMEND
	;;#ASMSTART
	v_cvt_f32_f16 v64, v66;
	;;#ASMEND
	v_fma_mixlo_f16 v0, v53, v0, 0 op_sel_hi:[0,1,0]
	s_delay_alu instid0(VALU_DEP_2) | instskip(NEXT) | instid1(VALU_DEP_2)
	v_and_b32_e32 v1, 0xffff, v1
	v_and_b32_e32 v0, 0xffff, v0
	;;#ASMSTART
	v_cvt_f32_f16 v67, v0;
	;;#ASMEND
	;;#ASMSTART
	v_cvt_f32_f16 v66, v1;
	;;#ASMEND
	ds_load_b128 v[84:87], v15 offset:384
	s_wait_dscnt 0x0
	v_and_b32_e32 v0, 0xffff, v84
	;;#ASMSTART
	v_cvt_f32_f16 v110, v0;
	;;#ASMEND
	v_or_b32_e32 v0, v109, v108
	v_lshrrev_b32_e32 v1, 16, v84
	;;#ASMSTART
	v_cvt_f32_f16 v111, v1;
	;;#ASMEND
	v_lshrrev_b32_e32 v14, 16, v86
	v_and_b32_e32 v83, 0xffff, v86
	v_fma_mixlo_f16 v0, v53, v0, 0 op_sel_hi:[0,1,0]
	v_lshrrev_b32_e32 v119, 16, v87
	v_and_b32_e32 v59, 0xffff, v87
	s_delay_alu instid0(VALU_DEP_3) | instskip(SKIP_3) | instid1(VALU_DEP_1)
	v_and_b32_e32 v0, 0xffff, v0
	;;#ASMSTART
	v_cvt_f32_f16 v108, v0;
	;;#ASMEND
	v_lshrrev_b32_e32 v0, 16, v85
	v_fma_mixlo_f16 v1, v53, v109, 0 op_sel:[0,1,0] op_sel_hi:[0,1,0]
	v_and_b32_e32 v1, 0xffff, v1
	;;#ASMSTART
	v_cvt_f32_f16 v109, v1;
	;;#ASMEND
	v_pk_fma_f32 v[120:121], v[110:111], v[108:109], v[90:91]
	v_and_b32_e32 v1, 0xffff, v85
	;;#ASMSTART
	v_cvt_f32_f16 v91, v1;
	;;#ASMEND
	;;#ASMSTART
	v_cvt_f32_f16 v90, v0;
	;;#ASMEND
	v_or_b32_e32 v0, v92, v81
	s_delay_alu instid0(VALU_DEP_2) | instskip(NEXT) | instid1(VALU_DEP_2)
	v_fma_mixlo_f16 v1, v53, v92, 0 op_sel:[0,1,0] op_sel_hi:[0,1,0]
	v_fma_mixlo_f16 v0, v53, v0, 0 op_sel_hi:[0,1,0]
	s_delay_alu instid0(VALU_DEP_2) | instskip(NEXT) | instid1(VALU_DEP_2)
	v_and_b32_e32 v1, 0xffff, v1
	v_and_b32_e32 v0, 0xffff, v0
	;;#ASMSTART
	v_cvt_f32_f16 v93, v0;
	;;#ASMEND
	;;#ASMSTART
	v_cvt_f32_f16 v92, v1;
	;;#ASMEND
	;; [unrolled: 3-line block ×4, first 2 shown]
	scratch_load_b32 v0, off, s32 offset:676 th:TH_LOAD_LU ; 4-byte Folded Reload
	v_fma_mixlo_f16 v1, v53, v80, 0 op_sel:[0,1,0] op_sel_hi:[0,1,0]
	s_delay_alu instid0(VALU_DEP_1) | instskip(SKIP_2) | instid1(VALU_DEP_1)
	v_and_b32_e32 v1, 0xffff, v1
	s_wait_loadcnt 0x0
	v_or_b32_e32 v0, v80, v0
	v_fma_mixlo_f16 v0, v53, v0, 0 op_sel_hi:[0,1,0]
	s_delay_alu instid0(VALU_DEP_1)
	v_and_b32_e32 v0, 0xffff, v0
	;;#ASMSTART
	v_cvt_f32_f16 v87, v0;
	;;#ASMEND
	v_or_b32_e32 v0, v79, v82
	;;#ASMSTART
	v_cvt_f32_f16 v86, v1;
	;;#ASMEND
	v_fma_mixlo_f16 v1, v53, v79, 0 op_sel:[0,1,0] op_sel_hi:[0,1,0]
	;;#ASMSTART
	v_cvt_f32_f16 v81, v59;
	;;#ASMEND
	;;#ASMSTART
	v_cvt_f32_f16 v80, v119;
	;;#ASMEND
	v_fma_mixlo_f16 v0, v53, v0, 0 op_sel_hi:[0,1,0]
	s_delay_alu instid0(VALU_DEP_2) | instskip(NEXT) | instid1(VALU_DEP_2)
	v_and_b32_e32 v1, 0xffff, v1
	v_and_b32_e32 v0, 0xffff, v0
	;;#ASMSTART
	v_cvt_f32_f16 v83, v0;
	;;#ASMEND
	;;#ASMSTART
	v_cvt_f32_f16 v82, v1;
	;;#ASMEND
	ds_load_b128 v[108:111], v15 offset:400
	s_wait_dscnt 0x0
	v_and_b32_e32 v0, 0xffff, v108
	v_lshrrev_b32_e32 v1, 16, v108
	;;#ASMSTART
	v_cvt_f32_f16 v78, v0;
	;;#ASMEND
	;;#ASMSTART
	v_cvt_f32_f16 v79, v1;
	;;#ASMEND
	scratch_load_b32 v0, off, s32 offset:680 th:TH_LOAD_LU ; 4-byte Folded Reload
	v_and_b32_e32 v30, 0xffff, v110
	v_fma_mixlo_f16 v1, v53, v89, 0 op_sel:[0,1,0] op_sel_hi:[0,1,0]
	v_and_b32_e32 v31, 0xffff, v111
	v_dual_lshrrev_b32 v14, 16, v110 :: v_dual_lshrrev_b32 v100, 16, v111
	s_delay_alu instid0(VALU_DEP_3) | instskip(SKIP_2) | instid1(VALU_DEP_1)
	v_and_b32_e32 v1, 0xffff, v1
	s_wait_loadcnt 0x0
	v_or_b32_e32 v0, v89, v0
	v_fma_mixlo_f16 v0, v53, v0, 0 op_sel_hi:[0,1,0]
	s_delay_alu instid0(VALU_DEP_1)
	v_and_b32_e32 v0, 0xffff, v0
	;;#ASMSTART
	v_cvt_f32_f16 v88, v0;
	;;#ASMEND
	v_lshrrev_b32_e32 v0, 16, v109
	;;#ASMSTART
	v_cvt_f32_f16 v89, v1;
	;;#ASMEND
	v_pk_fma_f32 v[120:121], v[78:79], v[88:89], v[120:121]
	v_and_b32_e32 v1, 0xffff, v109
	;;#ASMSTART
	v_cvt_f32_f16 v79, v1;
	;;#ASMEND
	;;#ASMSTART
	v_cvt_f32_f16 v78, v0;
	;;#ASMEND
	scratch_load_b32 v0, off, s32 offset:684 th:TH_LOAD_LU ; 4-byte Folded Reload
	v_fma_mixlo_f16 v1, v53, v113, 0 op_sel:[0,1,0] op_sel_hi:[0,1,0]
	s_delay_alu instid0(VALU_DEP_1) | instskip(SKIP_2) | instid1(VALU_DEP_1)
	v_and_b32_e32 v1, 0xffff, v1
	s_wait_loadcnt 0x0
	v_or_b32_e32 v0, v113, v0
	v_fma_mixlo_f16 v0, v53, v0, 0 op_sel_hi:[0,1,0]
	s_delay_alu instid0(VALU_DEP_1)
	v_and_b32_e32 v0, 0xffff, v0
	;;#ASMSTART
	v_cvt_f32_f16 v89, v0;
	;;#ASMEND
	v_or_b32_e32 v0, v41, v112
	;;#ASMSTART
	v_cvt_f32_f16 v88, v1;
	;;#ASMEND
	v_fma_mixlo_f16 v1, v53, v41, 0 op_sel:[0,1,0] op_sel_hi:[0,1,0]
	;;#ASMSTART
	v_cvt_f32_f16 v103, v30;
	;;#ASMEND
	;;#ASMSTART
	v_cvt_f32_f16 v102, v14;
	;;#ASMEND
	v_fma_mixlo_f16 v0, v53, v0, 0 op_sel_hi:[0,1,0]
	s_delay_alu instid0(VALU_DEP_2) | instskip(NEXT) | instid1(VALU_DEP_2)
	v_and_b32_e32 v1, 0xffff, v1
	v_and_b32_e32 v0, 0xffff, v0
	;;#ASMSTART
	v_cvt_f32_f16 v113, v0;
	;;#ASMEND
	;;#ASMSTART
	v_cvt_f32_f16 v112, v1;
	;;#ASMEND
	;; [unrolled: 3-line block ×4, first 2 shown]
	scratch_load_b32 v0, off, s32 offset:688 th:TH_LOAD_LU ; 4-byte Folded Reload
	v_fma_mixlo_f16 v1, v53, v61, 0 op_sel:[0,1,0] op_sel_hi:[0,1,0]
	s_delay_alu instid0(VALU_DEP_1) | instskip(SKIP_2) | instid1(VALU_DEP_1)
	v_and_b32_e32 v1, 0xffff, v1
	s_wait_loadcnt 0x0
	v_or_b32_e32 v0, v61, v0
	v_fma_mixlo_f16 v0, v53, v0, 0 op_sel_hi:[0,1,0]
	s_delay_alu instid0(VALU_DEP_1)
	v_and_b32_e32 v0, 0xffff, v0
	;;#ASMSTART
	v_cvt_f32_f16 v101, v0;
	;;#ASMEND
	;;#ASMSTART
	v_cvt_f32_f16 v100, v1;
	;;#ASMEND
	ds_load_b128 v[108:111], v15 offset:416
	s_wait_dscnt 0x0
	v_and_b32_e32 v0, 0xffff, v108
	v_lshrrev_b32_e32 v1, 16, v108
	;;#ASMSTART
	v_cvt_f32_f16 v60, v0;
	;;#ASMEND
	;;#ASMSTART
	v_cvt_f32_f16 v61, v1;
	;;#ASMEND
	scratch_load_b32 v0, off, s32 offset:692 th:TH_LOAD_LU ; 4-byte Folded Reload
	v_lshrrev_b32_e32 v14, 16, v110
	v_fma_mixlo_f16 v1, v53, v118, 0 op_sel:[0,1,0] op_sel_hi:[0,1,0]
	v_and_b32_e32 v114, 0xffff, v110
	v_lshrrev_b32_e32 v116, 16, v111
	v_and_b32_e32 v115, 0xffff, v111
	s_delay_alu instid0(VALU_DEP_4) | instskip(SKIP_2) | instid1(VALU_DEP_1)
	v_and_b32_e32 v1, 0xffff, v1
	s_wait_loadcnt 0x0
	v_or_b32_e32 v0, v118, v0
	v_fma_mixlo_f16 v0, v53, v0, 0 op_sel_hi:[0,1,0]
	s_delay_alu instid0(VALU_DEP_1)
	v_and_b32_e32 v0, 0xffff, v0
	;;#ASMSTART
	v_cvt_f32_f16 v118, v0;
	;;#ASMEND
	v_lshrrev_b32_e32 v0, 16, v109
	;;#ASMSTART
	v_cvt_f32_f16 v119, v1;
	;;#ASMEND
	v_pk_fma_f32 v[120:121], v[60:61], v[118:119], v[120:121]
	v_and_b32_e32 v1, 0xffff, v109
	;;#ASMSTART
	v_cvt_f32_f16 v61, v1;
	;;#ASMEND
	;;#ASMSTART
	v_cvt_f32_f16 v60, v0;
	;;#ASMEND
	v_or_b32_e32 v0, v73, v72
	s_delay_alu instid0(VALU_DEP_2) | instskip(NEXT) | instid1(VALU_DEP_2)
	v_fma_mixlo_f16 v1, v53, v73, 0 op_sel:[0,1,0] op_sel_hi:[0,1,0]
	v_fma_mixlo_f16 v0, v53, v0, 0 op_sel_hi:[0,1,0]
	s_delay_alu instid0(VALU_DEP_2) | instskip(NEXT) | instid1(VALU_DEP_2)
	v_and_b32_e32 v1, 0xffff, v1
	v_and_b32_e32 v0, 0xffff, v0
	;;#ASMSTART
	v_cvt_f32_f16 v73, v0;
	;;#ASMEND
	v_or_b32_e32 v0, v106, v40
	;;#ASMSTART
	v_cvt_f32_f16 v72, v1;
	;;#ASMEND
	v_fma_mixlo_f16 v1, v53, v106, 0 op_sel:[0,1,0] op_sel_hi:[0,1,0]
	;;#ASMSTART
	v_cvt_f32_f16 v119, v114;
	;;#ASMEND
	;;#ASMSTART
	v_cvt_f32_f16 v118, v14;
	;;#ASMEND
	v_fma_mixlo_f16 v0, v53, v0, 0 op_sel_hi:[0,1,0]
	s_delay_alu instid0(VALU_DEP_2) | instskip(NEXT) | instid1(VALU_DEP_2)
	v_and_b32_e32 v1, 0xffff, v1
	v_and_b32_e32 v0, 0xffff, v0
	;;#ASMSTART
	v_cvt_f32_f16 v41, v0;
	;;#ASMEND
	v_or_b32_e32 v0, v107, v75
	;;#ASMSTART
	v_cvt_f32_f16 v40, v1;
	;;#ASMEND
	v_fma_mixlo_f16 v1, v53, v107, 0 op_sel:[0,1,0] op_sel_hi:[0,1,0]
	;;#ASMSTART
	v_cvt_f32_f16 v115, v115;
	;;#ASMEND
	;;#ASMSTART
	v_cvt_f32_f16 v114, v116;
	;;#ASMEND
	v_fma_mixlo_f16 v0, v53, v0, 0 op_sel_hi:[0,1,0]
	s_delay_alu instid0(VALU_DEP_2) | instskip(NEXT) | instid1(VALU_DEP_2)
	v_and_b32_e32 v1, 0xffff, v1
	v_and_b32_e32 v0, 0xffff, v0
	;;#ASMSTART
	v_cvt_f32_f16 v117, v0;
	;;#ASMEND
	;;#ASMSTART
	v_cvt_f32_f16 v116, v1;
	;;#ASMEND
	ds_load_b128 v[108:111], v15 offset:432
	s_wait_dscnt 0x0
	v_and_b32_e32 v0, 0xffff, v108
	v_lshrrev_b32_e32 v1, 16, v108
	;;#ASMSTART
	v_cvt_f32_f16 v74, v0;
	;;#ASMEND
	v_or_b32_e32 v0, v62, v58
	;;#ASMSTART
	v_cvt_f32_f16 v75, v1;
	;;#ASMEND
	v_lshrrev_b32_e32 v14, 16, v109
	v_fma_mixlo_f16 v1, v53, v62, 0 op_sel:[0,1,0] op_sel_hi:[0,1,0]
	v_and_b32_e32 v108, 0xffff, v111
	v_fma_mixlo_f16 v0, v53, v0, 0 op_sel_hi:[0,1,0]
	s_delay_alu instid0(VALU_DEP_3) | instskip(NEXT) | instid1(VALU_DEP_2)
	v_and_b32_e32 v1, 0xffff, v1
	v_and_b32_e32 v0, 0xffff, v0
	;;#ASMSTART
	v_cvt_f32_f16 v58, v0;
	;;#ASMEND
	;;#ASMSTART
	v_cvt_f32_f16 v59, v1;
	;;#ASMEND
	v_pk_fma_f32 v[106:107], v[74:75], v[58:59], v[120:121]
	v_pk_fma_f32 v[0:1], v[42:43], v[46:47], v[122:123]
	v_and_b32_e32 v42, 0xffff, v109
	;;#ASMSTART
	v_cvt_f32_f16 v75, v42;
	;;#ASMEND
	;;#ASMSTART
	v_cvt_f32_f16 v74, v14;
	;;#ASMEND
	v_dual_lshrrev_b32 v43, 16, v110 :: v_dual_bitop2_b32 v14, v77, v76 bitop3:0x54
	s_delay_alu instid0(VALU_DEP_2) | instskip(SKIP_2) | instid1(VALU_DEP_4)
	v_fma_mixlo_f16 v42, v53, v77, 0 op_sel:[0,1,0] op_sel_hi:[0,1,0]
	v_and_b32_e32 v46, 0xffff, v110
	v_lshrrev_b32_e32 v47, 16, v111
	v_fma_mixlo_f16 v14, v53, v14, 0 op_sel_hi:[0,1,0]
	s_delay_alu instid0(VALU_DEP_4) | instskip(NEXT) | instid1(VALU_DEP_2)
	v_and_b32_e32 v42, 0xffff, v42
	v_and_b32_e32 v14, 0xffff, v14
	;;#ASMSTART
	v_cvt_f32_f16 v77, v14;
	;;#ASMEND
	v_or_b32_e32 v14, v19, v63
	v_fma_mixlo_f16 v19, v53, v19, 0 op_sel:[0,1,0] op_sel_hi:[0,1,0]
	;;#ASMSTART
	v_cvt_f32_f16 v76, v42;
	;;#ASMEND
	;;#ASMSTART
	v_cvt_f32_f16 v59, v46;
	;;#ASMEND
	;; [unrolled: 3-line block ×3, first 2 shown]
	v_fma_mixlo_f16 v14, v53, v14, 0 op_sel_hi:[0,1,0]
	v_and_b32_e32 v19, 0xffff, v19
	s_delay_alu instid0(VALU_DEP_2)
	v_and_b32_e32 v14, 0xffff, v14
	;;#ASMSTART
	v_cvt_f32_f16 v63, v14;
	;;#ASMEND
	;;#ASMSTART
	v_cvt_f32_f16 v62, v19;
	;;#ASMEND
	;; [unrolled: 3-line block ×4, first 2 shown]
	scratch_load_b32 v14, off, s32 offset:696 th:TH_LOAD_LU ; 4-byte Folded Reload
	s_wait_loadcnt 0x0
	v_or_b32_e32 v14, v7, v14
	v_fma_mixlo_f16 v7, v53, v7, 0 op_sel:[0,1,0] op_sel_hi:[0,1,0]
	s_delay_alu instid0(VALU_DEP_2) | instskip(NEXT) | instid1(VALU_DEP_2)
	v_fma_mixlo_f16 v14, v53, v14, 0 op_sel_hi:[0,1,0]
	v_and_b32_e32 v7, 0xffff, v7
	s_delay_alu instid0(VALU_DEP_2)
	v_and_b32_e32 v14, 0xffff, v14
	;;#ASMSTART
	v_cvt_f32_f16 v47, v14;
	;;#ASMEND
	;;#ASMSTART
	v_cvt_f32_f16 v46, v7;
	;;#ASMEND
	ds_load_b128 v[120:123], v15 offset:448
	s_wait_dscnt 0x0
	v_and_b32_e32 v7, 0xffff, v120
	v_lshrrev_b32_e32 v14, 16, v120
	;;#ASMSTART
	v_cvt_f32_f16 v108, v7;
	;;#ASMEND
	;;#ASMSTART
	v_cvt_f32_f16 v109, v14;
	;;#ASMEND
	scratch_load_b32 v7, off, s32 offset:700 th:TH_LOAD_LU ; 4-byte Folded Reload
	v_and_b32_e32 v19, 0xffff, v122
	v_fma_mixlo_f16 v14, v53, v16, 0 op_sel:[0,1,0] op_sel_hi:[0,1,0]
	s_delay_alu instid0(VALU_DEP_1) | instskip(SKIP_2) | instid1(VALU_DEP_1)
	v_and_b32_e32 v14, 0xffff, v14
	s_wait_loadcnt 0x0
	v_dual_lshrrev_b32 v16, 16, v122 :: v_dual_bitop2_b32 v7, v16, v7 bitop3:0x54
	v_fma_mixlo_f16 v7, v53, v7, 0 op_sel_hi:[0,1,0]
	s_delay_alu instid0(VALU_DEP_1)
	v_and_b32_e32 v7, 0xffff, v7
	;;#ASMSTART
	v_cvt_f32_f16 v110, v7;
	;;#ASMEND
	;;#ASMSTART
	v_cvt_f32_f16 v111, v14;
	;;#ASMEND
	v_lshrrev_b32_e32 v7, 16, v121
	v_pk_fma_f32 v[108:109], v[108:109], v[110:111], v[106:107]
	v_pk_fma_f32 v[110:111], v[94:95], v[104:105], v[0:1]
	v_and_b32_e32 v14, 0xffff, v121
	;;#ASMSTART
	v_cvt_f32_f16 v105, v14;
	;;#ASMEND
	;;#ASMSTART
	v_cvt_f32_f16 v104, v7;
	;;#ASMEND
	scratch_load_b32 v7, off, s32 offset:704 th:TH_LOAD_LU ; 4-byte Folded Reload
	v_pk_fma_f32 v[0:1], v[44:45], v[56:57], v[28:29]
	v_fma_mixlo_f16 v14, v53, v25, 0 op_sel:[0,1,0] op_sel_hi:[0,1,0]
	v_lshrrev_b32_e32 v28, 16, v123
	v_and_b32_e32 v29, 0xffff, v123
	s_delay_alu instid0(VALU_DEP_4) | instskip(NEXT) | instid1(VALU_DEP_4)
	v_pk_fma_f32 v[0:1], v[2:3], v[4:5], v[0:1]
	v_and_b32_e32 v14, 0xffff, v14
	s_delay_alu instid0(VALU_DEP_2) | instskip(SKIP_1) | instid1(VALU_DEP_2)
	v_pk_fma_f32 v[96:97], v[96:97], v[98:99], v[0:1]
	v_pk_fma_f32 v[0:1], v[48:49], v[50:51], v[26:27]
	;; [unrolled: 1-line block ×3, first 2 shown]
	s_delay_alu instid0(VALU_DEP_2) | instskip(SKIP_1) | instid1(VALU_DEP_2)
	v_pk_fma_f32 v[0:1], v[32:33], v[34:35], v[0:1]
	v_add_nc_u32_e32 v33, 0x80, v52
	v_pk_fma_f32 v[0:1], v[36:37], v[38:39], v[0:1]
	s_delay_alu instid0(VALU_DEP_1) | instskip(NEXT) | instid1(VALU_DEP_1)
	v_pk_fma_f32 v[0:1], v[64:65], v[66:67], v[0:1]
	v_pk_fma_f32 v[0:1], v[80:81], v[82:83], v[0:1]
	s_delay_alu instid0(VALU_DEP_1) | instskip(NEXT) | instid1(VALU_DEP_1)
	v_pk_fma_f32 v[0:1], v[30:31], v[100:101], v[0:1]
	v_pk_fma_f32 v[0:1], v[114:115], v[116:117], v[0:1]
	s_delay_alu instid0(VALU_DEP_1) | instskip(SKIP_3) | instid1(VALU_DEP_2)
	v_pk_fma_f32 v[0:1], v[42:43], v[46:47], v[0:1]
	s_wait_loadcnt 0x0
	v_or_b32_e32 v7, v25, v7
	v_fma_mixlo_f16 v25, v53, v9, 0 op_sel:[0,1,0] op_sel_hi:[0,1,0]
	v_fma_mixlo_f16 v7, v53, v7, 0 op_sel_hi:[0,1,0]
	s_delay_alu instid0(VALU_DEP_1)
	v_and_b32_e32 v7, 0xffff, v7
	;;#ASMSTART
	v_cvt_f32_f16 v107, v7;
	;;#ASMEND
	;;#ASMSTART
	v_cvt_f32_f16 v106, v14;
	;;#ASMEND
	;; [unrolled: 3-line block ×4, first 2 shown]
	scratch_load_b32 v7, off, s32 offset:708 th:TH_LOAD_LU ; 4-byte Folded Reload
	v_fma_mixlo_f16 v14, v53, v124, 0 op_sel:[0,1,0] op_sel_hi:[0,1,0]
	v_fma_mixlo_f16 v16, v53, v17, 0 op_sel:[0,1,0] op_sel_hi:[0,1,0]
	s_delay_alu instid0(VALU_DEP_2) | instskip(SKIP_2) | instid1(VALU_DEP_1)
	v_and_b32_e32 v14, 0xffff, v14
	s_wait_loadcnt 0x0
	v_or_b32_e32 v7, v124, v7
	v_fma_mixlo_f16 v7, v53, v7, 0 op_sel_hi:[0,1,0]
	s_delay_alu instid0(VALU_DEP_1)
	v_and_b32_e32 v7, 0xffff, v7
	;;#ASMSTART
	v_cvt_f32_f16 v95, v7;
	;;#ASMEND
	;;#ASMSTART
	v_cvt_f32_f16 v94, v14;
	;;#ASMEND
	;; [unrolled: 3-line block ×4, first 2 shown]
	scratch_load_b32 v7, off, s32 offset:712 th:TH_LOAD_LU ; 4-byte Folded Reload
	s_wait_loadcnt 0x0
	v_or_b32_e32 v7, v6, v7
	v_fma_mixlo_f16 v6, v53, v6, 0 op_sel:[0,1,0] op_sel_hi:[0,1,0]
	s_delay_alu instid0(VALU_DEP_2) | instskip(NEXT) | instid1(VALU_DEP_2)
	v_fma_mixlo_f16 v7, v53, v7, 0 op_sel_hi:[0,1,0]
	v_and_b32_e32 v6, 0xffff, v6
	s_delay_alu instid0(VALU_DEP_2)
	v_and_b32_e32 v7, 0xffff, v7
	;;#ASMSTART
	v_cvt_f32_f16 v45, v7;
	;;#ASMEND
	;;#ASMSTART
	v_cvt_f32_f16 v44, v6;
	;;#ASMEND
	ds_load_b128 v[120:123], v15 offset:464
	v_pk_fma_f32 v[0:1], v[28:29], v[44:45], v[0:1]
	s_wait_dscnt 0x0
	v_and_b32_e32 v6, 0xffff, v120
	v_lshrrev_b32_e32 v7, 16, v120
	;;#ASMSTART
	v_cvt_f32_f16 v6, v6;
	;;#ASMEND
	;;#ASMSTART
	v_cvt_f32_f16 v7, v7;
	;;#ASMEND
	scratch_load_b32 v14, off, s32 offset:716 th:TH_LOAD_LU ; 4-byte Folded Reload
	v_lshrrev_b32_e32 v2, 16, v121
	v_and_b32_e32 v3, 0xffff, v121
	v_lshrrev_b32_e32 v4, 16, v122
	v_and_b32_e32 v5, 0xffff, v122
	v_and_b32_e32 v19, 0xffff, v123
	s_wait_loadcnt 0x0
	v_or_b32_e32 v14, v17, v14
	v_and_b32_e32 v17, 0xffff, v16
	s_delay_alu instid0(VALU_DEP_2) | instskip(NEXT) | instid1(VALU_DEP_1)
	v_fma_mixlo_f16 v14, v53, v14, 0 op_sel_hi:[0,1,0]
	v_and_b32_e32 v14, 0xffff, v14
	;;#ASMSTART
	v_cvt_f32_f16 v16, v14;
	;;#ASMEND
	;;#ASMSTART
	v_cvt_f32_f16 v17, v17;
	;;#ASMEND
	;; [unrolled: 3-line block ×4, first 2 shown]
	scratch_load_b32 v2, off, s32 offset:720 th:TH_LOAD_LU ; 4-byte Folded Reload
	v_fma_mixlo_f16 v3, v53, v21, 0 op_sel:[0,1,0] op_sel_hi:[0,1,0]
	v_pk_fma_f32 v[6:7], v[6:7], v[16:17], v[108:109]
	v_lshrrev_b32_e32 v14, 16, v123
	v_pk_fma_f32 v[16:17], v[90:91], v[92:93], v[110:111]
	s_delay_alu instid0(VALU_DEP_4) | instskip(NEXT) | instid1(VALU_DEP_2)
	v_and_b32_e32 v3, 0xffff, v3
	v_pk_fma_f32 v[78:79], v[78:79], v[88:89], v[16:17]
	s_wait_loadcnt 0x0
	v_or_b32_e32 v2, v21, v2
	s_delay_alu instid0(VALU_DEP_1) | instskip(NEXT) | instid1(VALU_DEP_1)
	v_fma_mixlo_f16 v2, v53, v2, 0 op_sel_hi:[0,1,0]
	v_and_b32_e32 v2, 0xffff, v2
	;;#ASMSTART
	v_cvt_f32_f16 v123, v2;
	;;#ASMEND
	;;#ASMSTART
	v_cvt_f32_f16 v122, v3;
	;;#ASMEND
	;; [unrolled: 3-line block ×4, first 2 shown]
	scratch_load_b32 v2, off, s32 offset:724 th:TH_LOAD_LU ; 4-byte Folded Reload
	v_fma_mixlo_f16 v3, v53, v127, 0 op_sel:[0,1,0] op_sel_hi:[0,1,0]
	s_delay_alu instid0(VALU_DEP_1) | instskip(SKIP_2) | instid1(VALU_DEP_1)
	v_and_b32_e32 v3, 0xffff, v3
	s_wait_loadcnt 0x0
	v_or_b32_e32 v2, v127, v2
	v_fma_mixlo_f16 v2, v53, v2, 0 op_sel_hi:[0,1,0]
	s_delay_alu instid0(VALU_DEP_1)
	v_and_b32_e32 v2, 0xffff, v2
	;;#ASMSTART
	v_cvt_f32_f16 v111, v2;
	;;#ASMEND
	;;#ASMSTART
	v_cvt_f32_f16 v110, v3;
	;;#ASMEND
	;; [unrolled: 3-line block ×4, first 2 shown]
	scratch_load_b32 v2, off, s32 offset:728 th:TH_LOAD_LU ; 4-byte Folded Reload
	v_fma_mixlo_f16 v3, v53, v125, 0 op_sel:[0,1,0] op_sel_hi:[0,1,0]
	s_delay_alu instid0(VALU_DEP_1) | instskip(SKIP_2) | instid1(VALU_DEP_1)
	v_and_b32_e32 v3, 0xffff, v3
	s_wait_loadcnt 0x0
	v_or_b32_e32 v2, v125, v2
	v_fma_mixlo_f16 v2, v53, v2, 0 op_sel_hi:[0,1,0]
	s_delay_alu instid0(VALU_DEP_1)
	v_and_b32_e32 v2, 0xffff, v2
	;;#ASMSTART
	v_cvt_f32_f16 v93, v2;
	;;#ASMEND
	;;#ASMSTART
	v_cvt_f32_f16 v92, v3;
	;;#ASMEND
	ds_load_b128 v[2:5], v15 offset:480
	v_pk_fma_f32 v[0:1], v[90:91], v[92:93], v[0:1]
	s_wait_dscnt 0x0
	v_and_b32_e32 v14, 0xffff, v2
	v_lshrrev_b32_e32 v2, 16, v2
	;;#ASMSTART
	v_cvt_f32_f16 v124, v14;
	;;#ASMEND
	;;#ASMSTART
	v_cvt_f32_f16 v125, v2;
	;;#ASMEND
	scratch_load_b32 v2, off, s32 offset:732 th:TH_LOAD_LU ; 4-byte Folded Reload
	v_fma_mixlo_f16 v14, v53, v55, 0 op_sel:[0,1,0] op_sel_hi:[0,1,0]
	v_and_b32_e32 v19, 0xffff, v4
	v_lshrrev_b32_e32 v21, 16, v5
	v_and_b32_e32 v5, 0xffff, v5
	s_delay_alu instid0(VALU_DEP_4) | instskip(SKIP_2) | instid1(VALU_DEP_1)
	v_and_b32_e32 v14, 0xffff, v14
	s_wait_loadcnt 0x0
	v_or_b32_e32 v2, v55, v2
	v_fma_mixlo_f16 v2, v53, v2, 0 op_sel_hi:[0,1,0]
	s_delay_alu instid0(VALU_DEP_1)
	v_and_b32_e32 v2, 0xffff, v2
	;;#ASMSTART
	v_cvt_f32_f16 v126, v2;
	;;#ASMEND
	;;#ASMSTART
	v_cvt_f32_f16 v127, v14;
	;;#ASMEND
	scratch_load_b32 v2, off, s32 offset:736 th:TH_LOAD_LU ; 4-byte Folded Reload
	v_pk_fma_f32 v[124:125], v[124:125], v[126:127], v[6:7]
	v_lshrrev_b32_e32 v6, 16, v3
	v_and_b32_e32 v7, 0xffff, v3
	v_lshrrev_b32_e32 v14, 16, v4
	v_fma_mixlo_f16 v3, v53, v54, 0 op_sel:[0,1,0] op_sel_hi:[0,1,0]
	s_delay_alu instid0(VALU_DEP_1) | instskip(SKIP_2) | instid1(VALU_DEP_1)
	v_and_b32_e32 v16, 0xffff, v3
	s_wait_loadcnt 0x0
	v_or_b32_e32 v2, v54, v2
	v_fma_mixlo_f16 v2, v53, v2, 0 op_sel_hi:[0,1,0]
	s_delay_alu instid0(VALU_DEP_1)
	v_and_b32_e32 v4, 0xffff, v2
	scratch_load_b32 v2, off, s32 offset:740 th:TH_LOAD_LU ; 4-byte Folded Reload
	;;#ASMSTART
	v_cvt_f32_f16 v7, v7;
	;;#ASMEND
	;;#ASMSTART
	v_cvt_f32_f16 v6, v6;
	;;#ASMEND
	;; [unrolled: 3-line block ×3, first 2 shown]
	scratch_load_b32 v3, off, s32 offset:744 th:TH_LOAD_LU ; 4-byte Folded Reload
	v_fma_mixlo_f16 v4, v53, v10, 0 op_sel:[0,1,0] op_sel_hi:[0,1,0]
	;;#ASMSTART
	v_cvt_f32_f16 v16, v16;
	;;#ASMEND
	;;#ASMSTART
	v_cvt_f32_f16 v51, v19;
	;;#ASMEND
	;; [unrolled: 3-line block ×3, first 2 shown]
	s_delay_alu instid0(VALU_DEP_1) | instskip(SKIP_4) | instid1(VALU_DEP_2)
	v_and_b32_e32 v4, 0xffff, v4
	s_wait_loadcnt 0x1
	v_or_b32_e32 v2, v10, v2
	s_wait_loadcnt 0x0
	v_or_b32_e32 v3, v13, v3
	v_fma_mixlo_f16 v2, v53, v2, 0 op_sel_hi:[0,1,0]
	s_delay_alu instid0(VALU_DEP_1) | instskip(NEXT) | instid1(VALU_DEP_3)
	v_and_b32_e32 v10, 0xffff, v2
	v_fma_mixlo_f16 v2, v53, v3, 0 op_sel_hi:[0,1,0]
	v_fma_mixlo_f16 v3, v53, v13, 0 op_sel:[0,1,0] op_sel_hi:[0,1,0]
	;;#ASMSTART
	v_cvt_f32_f16 v99, v10;
	;;#ASMEND
	;;#ASMSTART
	v_cvt_f32_f16 v98, v4;
	;;#ASMEND
	;; [unrolled: 3-line block ×3, first 2 shown]
	v_and_b32_e32 v2, 0xffff, v2
	v_and_b32_e32 v3, 0xffff, v3
	;;#ASMSTART
	v_cvt_f32_f16 v26, v21;
	;;#ASMEND
	;;#ASMSTART
	v_cvt_f32_f16 v49, v2;
	;;#ASMEND
	;; [unrolled: 3-line block ×3, first 2 shown]
	ds_load_b128 v[2:5], v15 offset:496
	v_pk_fma_f32 v[0:1], v[26:27], v[48:49], v[0:1]
	s_wait_dscnt 0x0
	v_and_b32_e32 v10, 0xffff, v2
	v_lshrrev_b32_e32 v2, 16, v2
	;;#ASMSTART
	v_cvt_f32_f16 v54, v10;
	;;#ASMEND
	;;#ASMSTART
	v_cvt_f32_f16 v55, v2;
	;;#ASMEND
	v_or_b32_e32 v2, v18, v8
	v_fma_mixlo_f16 v8, v53, v18, 0 op_sel:[0,1,0] op_sel_hi:[0,1,0]
	v_or_b32_e32 v10, v9, v11
	v_lshrrev_b32_e32 v32, 16, v3
	s_delay_alu instid0(VALU_DEP_4) | instskip(NEXT) | instid1(VALU_DEP_4)
	v_fma_mixlo_f16 v2, v53, v2, 0 op_sel_hi:[0,1,0]
	v_and_b32_e32 v8, 0xffff, v8
	s_delay_alu instid0(VALU_DEP_2)
	v_and_b32_e32 v2, 0xffff, v2
	;;#ASMSTART
	v_cvt_f32_f16 v18, v2;
	;;#ASMEND
	;;#ASMSTART
	v_cvt_f32_f16 v19, v8;
	;;#ASMEND
	v_pk_fma_f32 v[18:19], v[54:55], v[18:19], v[124:125]
	v_pk_fma_f32 v[54:55], v[60:61], v[72:73], v[78:79]
	s_clause 0x1
	scratch_load_b64 v[60:61], off, s32 offset:808
	scratch_load_b32 v8, off, s32 offset:748 th:TH_LOAD_LU
	s_wait_loadcnt 0x1
	v_sub_nc_u32_e32 v2, 1, v60
	s_wait_loadcnt 0x0
	v_or_b32_e32 v8, v24, v8
	v_cmp_lt_i32_e64 s1, v52, v60
	s_delay_alu instid0(VALU_DEP_3) | instskip(NEXT) | instid1(VALU_DEP_3)
	v_add_nc_u32_e32 v2, v2, v52
	v_fma_mixlo_f16 v13, v53, v8, 0 op_sel_hi:[0,1,0]
	v_pk_fma_f32 v[8:9], v[84:85], v[86:87], v[68:69]
	s_delay_alu instid0(VALU_DEP_3)
	v_cvt_f32_i32_e32 v14, v2
	v_or_b32_e32 v2, v20, v12
	v_fma_mixlo_f16 v12, v53, v24, 0 op_sel:[0,1,0] op_sel_hi:[0,1,0]
	v_fma_mixlo_f16 v24, v53, v10, 0 op_sel_hi:[0,1,0]
	v_and_b32_e32 v10, 0xffff, v3
	v_pk_fma_f32 v[8:9], v[102:103], v[112:113], v[8:9]
	v_fma_mixlo_f16 v21, v53, v2, 0 op_sel_hi:[0,1,0]
	v_pk_fma_f32 v[2:3], v[74:75], v[76:77], v[54:55]
	v_and_b32_e32 v13, 0xffff, v13
	v_and_b32_e32 v12, 0xffff, v12
	v_pk_fma_f32 v[8:9], v[118:119], v[40:41], v[8:9]
	;;#ASMSTART
	v_cvt_f32_f16 v11, v10;
	;;#ASMEND
	v_pk_fma_f32 v[2:3], v[104:105], v[106:107], v[2:3]
	;;#ASMSTART
	v_cvt_f32_f16 v10, v32;
	;;#ASMEND
	;;#ASMSTART
	v_cvt_f32_f16 v13, v13;
	;;#ASMEND
	;; [unrolled: 3-line block ×3, first 2 shown]
	v_fma_mixlo_f16 v20, v53, v20, 0 op_sel:[0,1,0] op_sel_hi:[0,1,0]
	v_pk_fma_f32 v[2:3], v[120:121], v[122:123], v[2:3]
	s_delay_alu instid0(VALU_DEP_1)
	v_pk_fma_f32 v[2:3], v[6:7], v[16:17], v[2:3]
	v_pk_fma_f32 v[6:7], v[58:59], v[62:63], v[8:9]
	v_and_b32_e32 v8, 0xffff, v4
	v_lshrrev_b32_e32 v4, 16, v4
	;;#ASMSTART
	v_cvt_f32_f16 v9, v8;
	;;#ASMEND
	v_pk_fma_f32 v[2:3], v[10:11], v[12:13], v[2:3]
	v_pk_fma_f32 v[6:7], v[56:57], v[94:95], v[6:7]
	;;#ASMSTART
	v_cvt_f32_f16 v8, v4;
	;;#ASMEND
	v_add_f32_e32 v4, v18, v19
	v_and_b32_e32 v10, 0xffff, v21
	v_and_b32_e32 v12, 0xffff, v20
	v_pk_fma_f32 v[6:7], v[108:109], v[110:111], v[6:7]
	;;#ASMSTART
	v_cvt_f32_f16 v11, v10;
	;;#ASMEND
	v_add_f32_e32 v3, v4, v3
	;;#ASMSTART
	v_cvt_f32_f16 v10, v12;
	;;#ASMEND
	v_and_b32_e32 v4, 0xffff, v5
	v_pk_fma_f32 v[6:7], v[50:51], v[98:99], v[6:7]
	s_delay_alu instid0(VALU_DEP_3) | instskip(SKIP_2) | instid1(VALU_DEP_3)
	v_dual_add_f32 v2, v2, v3 :: v_dual_lshrrev_b32 v5, 16, v5
	;;#ASMSTART
	v_cvt_f32_f16 v3, v4;
	;;#ASMEND
	v_and_b32_e32 v4, 0xffff, v24
	v_pk_fma_f32 v[6:7], v[8:9], v[10:11], v[6:7]
	v_and_b32_e32 v8, 0xffff, v25
	s_delay_alu instid0(VALU_DEP_2)
	v_add_f32_e32 v7, v2, v7
	;;#ASMSTART
	v_cvt_f32_f16 v2, v5;
	;;#ASMEND
	;;#ASMSTART
	v_cvt_f32_f16 v5, v4;
	;;#ASMEND
	;; [unrolled: 3-line block ×3, first 2 shown]
	v_pk_fma_f32 v[0:1], v[2:3], v[4:5], v[0:1]
	v_add_f32_e32 v2, v6, v7
	s_clause 0x3
	scratch_load_b32 v3, off, s32 offset:844
	scratch_load_b32 v22, off, s32 offset:836 th:TH_LOAD_LU
	scratch_load_b32 v11, off, s32 offset:824 th:TH_LOAD_LU
	;; [unrolled: 1-line block ×3, first 2 shown]
	v_add_f32_e32 v1, v2, v1
	s_delay_alu instid0(VALU_DEP_1) | instskip(SKIP_3) | instid1(VALU_DEP_1)
	v_add_f32_e32 v0, v0, v1
	scratch_load_b32 v1, off, s32 offset:856 ; 4-byte Folded Reload
	s_wait_loadcnt 0x1
	v_dual_mul_f32 v3, v3, v14 :: v_dual_add_nc_u32 v23, 4, v23
	v_cndmask_b32_e32 v2, 0, v3, vcc_lo
	s_wait_loadcnt 0x0
	s_delay_alu instid0(VALU_DEP_1) | instskip(NEXT) | instid1(VALU_DEP_1)
	v_dual_fmac_f32 v2, v1, v0 :: v_dual_max_num_f32 v0, v11, v11
	v_dual_cndmask_b32 v1, 0, v2, s1 :: v_dual_max_num_f32 v0, v0, v2
	s_delay_alu instid0(VALU_DEP_1)
	v_cndmask_b32_e64 v11, v11, v0, s1
	scratch_load_b32 v0, off, s32 offset:192 ; 4-byte Folded Reload
	ds_store_b32 v22, v1
	v_add_nc_u32_e32 v22, 0x200, v22
	s_wait_loadcnt 0x0
	v_cmp_ge_i32_e64 s1, v23, v0
	scratch_load_b64 v[0:1], off, s32 offset:828 th:TH_LOAD_LU ; 8-byte Folded Reload
	s_or_b32 s5, s1, s5
	s_wait_loadcnt 0x0
	v_add_nc_u64_e32 v[0:1], 16, v[0:1]
	s_wait_xcnt 0x0
	s_and_not1_b32 exec_lo, exec_lo, s5
	s_cbranch_execz .LBB302_2055
.LBB302_10:                             ; =>This Inner Loop Header: Depth=1
	s_clause 0x1
	scratch_store_b32 off, v11, s32 offset:824
	scratch_store_b64 off, v[0:1], s32 offset:828
	flat_load_b32 v0, v[0:1]
	s_clause 0x1
	scratch_load_b64 v[2:3], off, s32 offset:816
	scratch_load_b64 v[4:5], off, s32 offset:860
	v_dual_mov_b32 v37, v23 :: v_dual_mov_b32 v36, v22
	v_mov_b32_e32 v26, 0
	s_mov_b32 s6, exec_lo
	s_wait_loadcnt_dscnt 0x0
	v_mad_nc_i64_i32 v[2:3], v0, v2, v[4:5]
	flat_load_b64 v[4:5], v[2:3]
	scratch_load_b64 v[0:1], off, s32 offset:848 ; 8-byte Folded Reload
	s_wait_loadcnt 0x0
	flat_load_b32 v53, v[0:1]
	s_wait_dscnt 0x1
	s_wait_xcnt 0x0
	v_and_b32_e32 v0, 0xff, v4
	s_delay_alu instid0(VALU_DEP_1)
	v_cmpx_ne_u16_e32 0, v0
	s_cbranch_execz .LBB302_18
; %bb.11:                               ;   in Loop: Header=BB302_10 Depth=1
	v_mov_b32_e32 v26, 0x8000
	s_mov_b32 s7, exec_lo
	v_cmpx_ne_u16_e32 0x80, v0
	s_cbranch_execz .LBB302_17
; %bb.12:                               ;   in Loop: Header=BB302_10 Depth=1
	v_and_b32_e32 v6, 0x7f, v4
	v_mov_b32_e32 v26, 0x7c01
	s_mov_b32 s8, exec_lo
	s_delay_alu instid0(VALU_DEP_2)
	v_cmpx_ne_u32_e32 0x7f, v6
	s_cbranch_execz .LBB302_16
; %bb.13:                               ;   in Loop: Header=BB302_10 Depth=1
	v_dual_lshrrev_b32 v1, 3, v6 :: v_dual_bitop2_b32 v0, 7, v4 bitop3:0x40
	s_mov_b32 s11, exec_lo
	v_cmpx_gt_u32_e32 8, v6
; %bb.14:                               ;   in Loop: Header=BB302_10 Depth=1
	s_delay_alu instid0(VALU_DEP_2) | instskip(NEXT) | instid1(VALU_DEP_1)
	v_clz_i32_u32_e32 v0, v0
	v_min_u32_e32 v6, 32, v0
	s_delay_alu instid0(VALU_DEP_1) | instskip(NEXT) | instid1(VALU_DEP_1)
	v_subrev_nc_u32_e32 v0, 28, v6
	v_lshlrev_b64_e32 v[0:1], v0, v[4:5]
	s_delay_alu instid0(VALU_DEP_1)
	v_dual_sub_nc_u32 v1, 29, v6 :: v_dual_bitop2_b32 v0, 7, v0 bitop3:0x40
; %bb.15:                               ;   in Loop: Header=BB302_10 Depth=1
	s_or_b32 exec_lo, exec_lo, s11
	v_lshlrev_b32_e32 v6, 8, v4
	s_delay_alu instid0(VALU_DEP_2) | instskip(NEXT) | instid1(VALU_DEP_3)
	v_lshl_add_u32 v1, v1, 10, 0x2000
	v_lshlrev_b32_e32 v0, 7, v0
	s_delay_alu instid0(VALU_DEP_3) | instskip(NEXT) | instid1(VALU_DEP_3)
	v_and_b32_e32 v6, 0x8000, v6
	v_and_b32_e32 v1, 0xfc00, v1
	s_delay_alu instid0(VALU_DEP_1)
	v_or3_b32 v26, v6, v1, v0
.LBB302_16:                             ;   in Loop: Header=BB302_10 Depth=1
	s_or_b32 exec_lo, exec_lo, s8
.LBB302_17:                             ;   in Loop: Header=BB302_10 Depth=1
	s_delay_alu instid0(SALU_CYCLE_1)
	s_or_b32 exec_lo, exec_lo, s7
.LBB302_18:                             ;   in Loop: Header=BB302_10 Depth=1
	s_delay_alu instid0(SALU_CYCLE_1) | instskip(SKIP_3) | instid1(VALU_DEP_2)
	s_or_b32 exec_lo, exec_lo, s6
	v_lshrrev_b16 v14, 8, v4
	v_dual_mov_b32 v27, 0 :: v_dual_mov_b32 v28, 0
	s_mov_b32 s6, exec_lo
	v_cmpx_ne_u16_e32 0, v14
	s_cbranch_execz .LBB302_26
; %bb.19:                               ;   in Loop: Header=BB302_10 Depth=1
	v_bfrev_b32_e32 v28, 1
	s_mov_b32 s7, exec_lo
	v_cmpx_ne_u16_e32 0x80, v14
	s_cbranch_execz .LBB302_25
; %bb.20:                               ;   in Loop: Header=BB302_10 Depth=1
	v_and_b32_e32 v0, 0xffff, v14
	v_mov_b32_e32 v28, 0x7c010000
	s_mov_b32 s8, exec_lo
	s_delay_alu instid0(VALU_DEP_2) | instskip(NEXT) | instid1(VALU_DEP_1)
	v_and_b32_e32 v7, 0x7f, v0
	v_cmpx_ne_u32_e32 0x7f, v7
	s_cbranch_execz .LBB302_24
; %bb.21:                               ;   in Loop: Header=BB302_10 Depth=1
	v_dual_lshrrev_b32 v6, 3, v7 :: v_dual_bitop2_b32 v1, 7, v0 bitop3:0x40
	s_mov_b32 s11, exec_lo
	v_cmpx_gt_u32_e32 8, v7
; %bb.22:                               ;   in Loop: Header=BB302_10 Depth=1
	s_delay_alu instid0(VALU_DEP_2) | instskip(NEXT) | instid1(VALU_DEP_1)
	v_clz_i32_u32_e32 v1, v1
	v_min_u32_e32 v1, 32, v1
	s_delay_alu instid0(VALU_DEP_1) | instskip(NEXT) | instid1(VALU_DEP_1)
	v_subrev_nc_u32_e32 v6, 28, v1
	v_lshlrev_b64_e32 v[8:9], v6, v[14:15]
	s_delay_alu instid0(VALU_DEP_1)
	v_dual_sub_nc_u32 v6, 29, v1 :: v_dual_bitop2_b32 v1, 7, v8 bitop3:0x40
; %bb.23:                               ;   in Loop: Header=BB302_10 Depth=1
	s_or_b32 exec_lo, exec_lo, s11
	s_delay_alu instid0(VALU_DEP_1) | instskip(NEXT) | instid1(VALU_DEP_2)
	v_dual_lshlrev_b32 v0, 8, v0 :: v_dual_lshlrev_b32 v1, 23, v1
	v_lshl_add_u32 v6, v6, 10, 0x2000
	s_delay_alu instid0(VALU_DEP_1) | instskip(NEXT) | instid1(VALU_DEP_1)
	v_and_or_b32 v0, 0x8000, v0, v6
	v_lshl_or_b32 v28, v0, 16, v1
.LBB302_24:                             ;   in Loop: Header=BB302_10 Depth=1
	s_or_b32 exec_lo, exec_lo, s8
.LBB302_25:                             ;   in Loop: Header=BB302_10 Depth=1
	s_delay_alu instid0(SALU_CYCLE_1)
	s_or_b32 exec_lo, exec_lo, s7
.LBB302_26:                             ;   in Loop: Header=BB302_10 Depth=1
	s_delay_alu instid0(SALU_CYCLE_1) | instskip(SKIP_2) | instid1(VALU_DEP_1)
	s_or_b32 exec_lo, exec_lo, s6
	v_lshrrev_b32_e32 v8, 16, v4
	s_mov_b32 s6, exec_lo
	v_and_b32_e32 v0, 0xff, v8
	s_delay_alu instid0(VALU_DEP_1)
	v_cmpx_ne_u16_e32 0, v0
	s_cbranch_execz .LBB302_34
; %bb.27:                               ;   in Loop: Header=BB302_10 Depth=1
	v_mov_b32_e32 v27, 0x8000
	s_mov_b32 s7, exec_lo
	v_cmpx_ne_u16_e32 0x80, v0
	s_cbranch_execz .LBB302_33
; %bb.28:                               ;   in Loop: Header=BB302_10 Depth=1
	v_bfe_u32 v6, v4, 16, 7
	v_mov_b32_e32 v27, 0x7c01
	s_mov_b32 s8, exec_lo
	s_delay_alu instid0(VALU_DEP_2)
	v_cmpx_ne_u32_e32 0x7f, v6
	s_cbranch_execz .LBB302_32
; %bb.29:                               ;   in Loop: Header=BB302_10 Depth=1
	v_dual_lshrrev_b32 v1, 3, v6 :: v_dual_bitop2_b32 v0, 7, v8 bitop3:0x40
	s_mov_b32 s11, exec_lo
	v_cmpx_gt_u32_e32 8, v6
; %bb.30:                               ;   in Loop: Header=BB302_10 Depth=1
	s_delay_alu instid0(VALU_DEP_2) | instskip(NEXT) | instid1(VALU_DEP_1)
	v_clz_i32_u32_e32 v0, v0
	v_min_u32_e32 v6, 32, v0
	s_delay_alu instid0(VALU_DEP_1) | instskip(NEXT) | instid1(VALU_DEP_1)
	v_subrev_nc_u32_e32 v0, 28, v6
	v_lshlrev_b64_e32 v[0:1], v0, v[8:9]
	s_delay_alu instid0(VALU_DEP_1)
	v_dual_sub_nc_u32 v1, 29, v6 :: v_dual_bitop2_b32 v0, 7, v0 bitop3:0x40
; %bb.31:                               ;   in Loop: Header=BB302_10 Depth=1
	s_or_b32 exec_lo, exec_lo, s11
	v_lshlrev_b32_e32 v6, 8, v8
	s_delay_alu instid0(VALU_DEP_2) | instskip(NEXT) | instid1(VALU_DEP_3)
	v_lshl_add_u32 v1, v1, 10, 0x2000
	v_lshlrev_b32_e32 v0, 7, v0
	s_delay_alu instid0(VALU_DEP_3) | instskip(NEXT) | instid1(VALU_DEP_3)
	v_and_b32_e32 v6, 0x8000, v6
	v_and_b32_e32 v1, 0xfc00, v1
	s_delay_alu instid0(VALU_DEP_1)
	v_or3_b32 v27, v6, v1, v0
.LBB302_32:                             ;   in Loop: Header=BB302_10 Depth=1
	s_or_b32 exec_lo, exec_lo, s8
.LBB302_33:                             ;   in Loop: Header=BB302_10 Depth=1
	s_delay_alu instid0(SALU_CYCLE_1)
	s_or_b32 exec_lo, exec_lo, s7
.LBB302_34:                             ;   in Loop: Header=BB302_10 Depth=1
	s_delay_alu instid0(SALU_CYCLE_1)
	s_or_b32 exec_lo, exec_lo, s6
	v_dual_mov_b32 v29, 0 :: v_dual_mov_b32 v30, 0
	s_mov_b32 s6, exec_lo
	v_cmpx_lt_u32_e32 0xffffff, v4
	s_cbranch_execz .LBB302_42
; %bb.35:                               ;   in Loop: Header=BB302_10 Depth=1
	v_lshrrev_b32_e32 v14, 24, v4
	v_bfrev_b32_e32 v30, 1
	s_mov_b32 s7, exec_lo
	s_delay_alu instid0(VALU_DEP_2)
	v_cmpx_ne_u32_e32 0x80, v14
	s_cbranch_execz .LBB302_41
; %bb.36:                               ;   in Loop: Header=BB302_10 Depth=1
	v_and_b32_e32 v6, 0x7f, v14
	v_mov_b32_e32 v30, 0x7c010000
	s_mov_b32 s8, exec_lo
	s_delay_alu instid0(VALU_DEP_2)
	v_cmpx_ne_u32_e32 0x7f, v6
	s_cbranch_execz .LBB302_40
; %bb.37:                               ;   in Loop: Header=BB302_10 Depth=1
	v_and_b32_e32 v0, 7, v14
	v_lshrrev_b32_e32 v1, 3, v6
	s_mov_b32 s11, exec_lo
	v_cmpx_gt_u32_e32 8, v6
; %bb.38:                               ;   in Loop: Header=BB302_10 Depth=1
	s_delay_alu instid0(VALU_DEP_3) | instskip(NEXT) | instid1(VALU_DEP_1)
	v_clz_i32_u32_e32 v0, v0
	v_min_u32_e32 v6, 32, v0
	s_delay_alu instid0(VALU_DEP_1) | instskip(NEXT) | instid1(VALU_DEP_1)
	v_subrev_nc_u32_e32 v0, 28, v6
	v_lshlrev_b64_e32 v[0:1], v0, v[14:15]
	s_delay_alu instid0(VALU_DEP_1)
	v_dual_sub_nc_u32 v1, 29, v6 :: v_dual_bitop2_b32 v0, 7, v0 bitop3:0x40
; %bb.39:                               ;   in Loop: Header=BB302_10 Depth=1
	s_or_b32 exec_lo, exec_lo, s11
	s_delay_alu instid0(VALU_DEP_1) | instskip(NEXT) | instid1(VALU_DEP_2)
	v_dual_lshlrev_b32 v6, 8, v14 :: v_dual_lshlrev_b32 v0, 23, v0
	v_lshl_add_u32 v1, v1, 10, 0x2000
	s_delay_alu instid0(VALU_DEP_1) | instskip(NEXT) | instid1(VALU_DEP_1)
	v_and_or_b32 v1, 0x8000, v6, v1
	v_lshl_or_b32 v30, v1, 16, v0
.LBB302_40:                             ;   in Loop: Header=BB302_10 Depth=1
	s_or_b32 exec_lo, exec_lo, s8
.LBB302_41:                             ;   in Loop: Header=BB302_10 Depth=1
	s_delay_alu instid0(SALU_CYCLE_1)
	s_or_b32 exec_lo, exec_lo, s7
.LBB302_42:                             ;   in Loop: Header=BB302_10 Depth=1
	s_delay_alu instid0(SALU_CYCLE_1) | instskip(SKIP_3) | instid1(VALU_DEP_2)
	s_or_b32 exec_lo, exec_lo, s6
	v_and_b32_e32 v0, 0xff, v5
	v_mov_b32_e32 v14, v5
	s_mov_b32 s6, exec_lo
	v_cmpx_ne_u16_e32 0, v0
	s_cbranch_execz .LBB302_50
; %bb.43:                               ;   in Loop: Header=BB302_10 Depth=1
	v_mov_b32_e32 v29, 0x8000
	s_mov_b32 s7, exec_lo
	v_cmpx_ne_u16_e32 0x80, v0
	s_cbranch_execz .LBB302_49
; %bb.44:                               ;   in Loop: Header=BB302_10 Depth=1
	v_and_b32_e32 v6, 0x7f, v5
	v_mov_b32_e32 v29, 0x7c01
	s_mov_b32 s8, exec_lo
	s_delay_alu instid0(VALU_DEP_2)
	v_cmpx_ne_u32_e32 0x7f, v6
	s_cbranch_execz .LBB302_48
; %bb.45:                               ;   in Loop: Header=BB302_10 Depth=1
	v_dual_lshrrev_b32 v1, 3, v6 :: v_dual_bitop2_b32 v0, 7, v5 bitop3:0x40
	s_mov_b32 s11, exec_lo
	v_cmpx_gt_u32_e32 8, v6
; %bb.46:                               ;   in Loop: Header=BB302_10 Depth=1
	s_delay_alu instid0(VALU_DEP_2) | instskip(NEXT) | instid1(VALU_DEP_1)
	v_clz_i32_u32_e32 v0, v0
	v_min_u32_e32 v6, 32, v0
	s_delay_alu instid0(VALU_DEP_1) | instskip(NEXT) | instid1(VALU_DEP_1)
	v_subrev_nc_u32_e32 v0, 28, v6
	v_lshlrev_b64_e32 v[0:1], v0, v[14:15]
	s_delay_alu instid0(VALU_DEP_1)
	v_dual_sub_nc_u32 v1, 29, v6 :: v_dual_bitop2_b32 v0, 7, v0 bitop3:0x40
; %bb.47:                               ;   in Loop: Header=BB302_10 Depth=1
	s_or_b32 exec_lo, exec_lo, s11
	s_delay_alu instid0(VALU_DEP_1) | instskip(NEXT) | instid1(VALU_DEP_2)
	v_dual_lshlrev_b32 v6, 8, v5 :: v_dual_lshlrev_b32 v0, 7, v0
	v_lshl_add_u32 v1, v1, 10, 0x2000
	s_delay_alu instid0(VALU_DEP_2) | instskip(NEXT) | instid1(VALU_DEP_2)
	v_and_b32_e32 v6, 0x8000, v6
	v_and_b32_e32 v1, 0xfc00, v1
	s_delay_alu instid0(VALU_DEP_1)
	v_or3_b32 v29, v6, v1, v0
.LBB302_48:                             ;   in Loop: Header=BB302_10 Depth=1
	s_or_b32 exec_lo, exec_lo, s8
.LBB302_49:                             ;   in Loop: Header=BB302_10 Depth=1
	s_delay_alu instid0(SALU_CYCLE_1)
	s_or_b32 exec_lo, exec_lo, s7
.LBB302_50:                             ;   in Loop: Header=BB302_10 Depth=1
	s_delay_alu instid0(SALU_CYCLE_1) | instskip(SKIP_3) | instid1(VALU_DEP_2)
	s_or_b32 exec_lo, exec_lo, s6
	v_lshrrev_b16 v14, 8, v14
	v_dual_mov_b32 v50, 0 :: v_dual_mov_b32 v32, 0
	s_mov_b32 s6, exec_lo
	v_cmpx_ne_u16_e32 0, v14
	s_cbranch_execz .LBB302_58
; %bb.51:                               ;   in Loop: Header=BB302_10 Depth=1
	v_bfrev_b32_e32 v32, 1
	s_mov_b32 s7, exec_lo
	v_cmpx_ne_u16_e32 0x80, v14
	s_cbranch_execz .LBB302_57
; %bb.52:                               ;   in Loop: Header=BB302_10 Depth=1
	v_and_b32_e32 v0, 0xffff, v14
	v_mov_b32_e32 v32, 0x7c010000
	s_mov_b32 s8, exec_lo
	s_delay_alu instid0(VALU_DEP_2) | instskip(NEXT) | instid1(VALU_DEP_1)
	v_and_b32_e32 v7, 0x7f, v0
	v_cmpx_ne_u32_e32 0x7f, v7
	s_cbranch_execz .LBB302_56
; %bb.53:                               ;   in Loop: Header=BB302_10 Depth=1
	v_dual_lshrrev_b32 v6, 3, v7 :: v_dual_bitop2_b32 v1, 7, v0 bitop3:0x40
	s_mov_b32 s11, exec_lo
	v_cmpx_gt_u32_e32 8, v7
; %bb.54:                               ;   in Loop: Header=BB302_10 Depth=1
	s_delay_alu instid0(VALU_DEP_2) | instskip(NEXT) | instid1(VALU_DEP_1)
	v_clz_i32_u32_e32 v1, v1
	v_min_u32_e32 v1, 32, v1
	s_delay_alu instid0(VALU_DEP_1) | instskip(NEXT) | instid1(VALU_DEP_1)
	v_subrev_nc_u32_e32 v6, 28, v1
	v_lshlrev_b64_e32 v[8:9], v6, v[14:15]
	s_delay_alu instid0(VALU_DEP_1)
	v_dual_sub_nc_u32 v6, 29, v1 :: v_dual_bitop2_b32 v1, 7, v8 bitop3:0x40
; %bb.55:                               ;   in Loop: Header=BB302_10 Depth=1
	s_or_b32 exec_lo, exec_lo, s11
	s_delay_alu instid0(VALU_DEP_1) | instskip(NEXT) | instid1(VALU_DEP_2)
	v_dual_lshlrev_b32 v0, 8, v0 :: v_dual_lshlrev_b32 v1, 23, v1
	v_lshl_add_u32 v6, v6, 10, 0x2000
	s_delay_alu instid0(VALU_DEP_1) | instskip(NEXT) | instid1(VALU_DEP_1)
	v_and_or_b32 v0, 0x8000, v0, v6
	v_lshl_or_b32 v32, v0, 16, v1
.LBB302_56:                             ;   in Loop: Header=BB302_10 Depth=1
	s_or_b32 exec_lo, exec_lo, s8
.LBB302_57:                             ;   in Loop: Header=BB302_10 Depth=1
	s_delay_alu instid0(SALU_CYCLE_1)
	s_or_b32 exec_lo, exec_lo, s7
.LBB302_58:                             ;   in Loop: Header=BB302_10 Depth=1
	s_delay_alu instid0(SALU_CYCLE_1) | instskip(SKIP_2) | instid1(VALU_DEP_1)
	s_or_b32 exec_lo, exec_lo, s6
	v_lshrrev_b32_e32 v8, 16, v5
	s_mov_b32 s6, exec_lo
	v_and_b32_e32 v0, 0xff, v8
	s_delay_alu instid0(VALU_DEP_1)
	v_cmpx_ne_u16_e32 0, v0
	s_cbranch_execz .LBB302_66
; %bb.59:                               ;   in Loop: Header=BB302_10 Depth=1
	v_mov_b32_e32 v50, 0x8000
	s_mov_b32 s7, exec_lo
	v_cmpx_ne_u16_e32 0x80, v0
	s_cbranch_execz .LBB302_65
; %bb.60:                               ;   in Loop: Header=BB302_10 Depth=1
	v_bfe_u32 v6, v5, 16, 7
	v_mov_b32_e32 v50, 0x7c01
	s_mov_b32 s8, exec_lo
	s_delay_alu instid0(VALU_DEP_2)
	v_cmpx_ne_u32_e32 0x7f, v6
	s_cbranch_execz .LBB302_64
; %bb.61:                               ;   in Loop: Header=BB302_10 Depth=1
	v_dual_lshrrev_b32 v1, 3, v6 :: v_dual_bitop2_b32 v0, 7, v8 bitop3:0x40
	s_mov_b32 s11, exec_lo
	v_cmpx_gt_u32_e32 8, v6
; %bb.62:                               ;   in Loop: Header=BB302_10 Depth=1
	s_delay_alu instid0(VALU_DEP_2) | instskip(NEXT) | instid1(VALU_DEP_1)
	v_clz_i32_u32_e32 v0, v0
	v_min_u32_e32 v6, 32, v0
	s_delay_alu instid0(VALU_DEP_1) | instskip(NEXT) | instid1(VALU_DEP_1)
	v_subrev_nc_u32_e32 v0, 28, v6
	v_lshlrev_b64_e32 v[0:1], v0, v[8:9]
	s_delay_alu instid0(VALU_DEP_1)
	v_dual_sub_nc_u32 v1, 29, v6 :: v_dual_bitop2_b32 v0, 7, v0 bitop3:0x40
; %bb.63:                               ;   in Loop: Header=BB302_10 Depth=1
	s_or_b32 exec_lo, exec_lo, s11
	v_lshlrev_b32_e32 v6, 8, v8
	s_delay_alu instid0(VALU_DEP_2) | instskip(NEXT) | instid1(VALU_DEP_3)
	v_lshl_add_u32 v1, v1, 10, 0x2000
	v_lshlrev_b32_e32 v0, 7, v0
	s_delay_alu instid0(VALU_DEP_3) | instskip(NEXT) | instid1(VALU_DEP_3)
	v_and_b32_e32 v6, 0x8000, v6
	v_and_b32_e32 v1, 0xfc00, v1
	s_delay_alu instid0(VALU_DEP_1)
	v_or3_b32 v50, v6, v1, v0
.LBB302_64:                             ;   in Loop: Header=BB302_10 Depth=1
	s_or_b32 exec_lo, exec_lo, s8
.LBB302_65:                             ;   in Loop: Header=BB302_10 Depth=1
	s_delay_alu instid0(SALU_CYCLE_1)
	s_or_b32 exec_lo, exec_lo, s7
.LBB302_66:                             ;   in Loop: Header=BB302_10 Depth=1
	s_delay_alu instid0(SALU_CYCLE_1)
	s_or_b32 exec_lo, exec_lo, s6
	v_dual_mov_b32 v64, 0 :: v_dual_mov_b32 v51, 0
	s_mov_b32 s6, exec_lo
	v_cmpx_lt_u64_e64 s[2:3], v[4:5]
	s_cbranch_execz .LBB302_74
; %bb.67:                               ;   in Loop: Header=BB302_10 Depth=1
	v_lshrrev_b32_e32 v14, 24, v5
	v_bfrev_b32_e32 v51, 1
	s_mov_b32 s7, exec_lo
	s_delay_alu instid0(VALU_DEP_2)
	v_cmpx_ne_u32_e32 0x80, v14
	s_cbranch_execz .LBB302_73
; %bb.68:                               ;   in Loop: Header=BB302_10 Depth=1
	v_and_b32_e32 v4, 0x7f, v14
	v_mov_b32_e32 v51, 0x7c010000
	s_mov_b32 s8, exec_lo
	s_delay_alu instid0(VALU_DEP_2)
	v_cmpx_ne_u32_e32 0x7f, v4
	s_cbranch_execz .LBB302_72
; %bb.69:                               ;   in Loop: Header=BB302_10 Depth=1
	v_dual_lshrrev_b32 v1, 3, v4 :: v_dual_bitop2_b32 v0, 7, v14 bitop3:0x40
	s_mov_b32 s11, exec_lo
	v_cmpx_gt_u32_e32 8, v4
; %bb.70:                               ;   in Loop: Header=BB302_10 Depth=1
	s_delay_alu instid0(VALU_DEP_2) | instskip(NEXT) | instid1(VALU_DEP_1)
	v_clz_i32_u32_e32 v0, v0
	v_min_u32_e32 v4, 32, v0
	s_delay_alu instid0(VALU_DEP_1) | instskip(NEXT) | instid1(VALU_DEP_1)
	v_subrev_nc_u32_e32 v0, 28, v4
	v_lshlrev_b64_e32 v[0:1], v0, v[14:15]
	v_sub_nc_u32_e32 v1, 29, v4
	s_delay_alu instid0(VALU_DEP_2)
	v_and_b32_e32 v0, 7, v0
; %bb.71:                               ;   in Loop: Header=BB302_10 Depth=1
	s_or_b32 exec_lo, exec_lo, s11
	s_delay_alu instid0(VALU_DEP_1) | instskip(NEXT) | instid1(VALU_DEP_3)
	v_dual_lshlrev_b32 v4, 8, v14 :: v_dual_lshlrev_b32 v0, 23, v0
	v_lshl_add_u32 v1, v1, 10, 0x2000
	s_delay_alu instid0(VALU_DEP_1) | instskip(NEXT) | instid1(VALU_DEP_1)
	v_and_or_b32 v1, 0x8000, v4, v1
	v_lshl_or_b32 v51, v1, 16, v0
.LBB302_72:                             ;   in Loop: Header=BB302_10 Depth=1
	s_or_b32 exec_lo, exec_lo, s8
.LBB302_73:                             ;   in Loop: Header=BB302_10 Depth=1
	s_delay_alu instid0(SALU_CYCLE_1)
	s_or_b32 exec_lo, exec_lo, s7
.LBB302_74:                             ;   in Loop: Header=BB302_10 Depth=1
	s_delay_alu instid0(SALU_CYCLE_1)
	s_or_b32 exec_lo, exec_lo, s6
	flat_load_b64 v[4:5], v[2:3] offset:8
	s_mov_b32 s6, exec_lo
	s_wait_loadcnt_dscnt 0x0
	v_and_b32_e32 v0, 0xff, v4
	s_wait_xcnt 0x0
	s_delay_alu instid0(VALU_DEP_1)
	v_cmpx_ne_u16_e32 0, v0
	s_cbranch_execz .LBB302_82
; %bb.75:                               ;   in Loop: Header=BB302_10 Depth=1
	v_mov_b32_e32 v64, 0x8000
	s_mov_b32 s7, exec_lo
	v_cmpx_ne_u16_e32 0x80, v0
	s_cbranch_execz .LBB302_81
; %bb.76:                               ;   in Loop: Header=BB302_10 Depth=1
	v_and_b32_e32 v6, 0x7f, v4
	v_mov_b32_e32 v64, 0x7c01
	s_mov_b32 s8, exec_lo
	s_delay_alu instid0(VALU_DEP_2)
	v_cmpx_ne_u32_e32 0x7f, v6
	s_cbranch_execz .LBB302_80
; %bb.77:                               ;   in Loop: Header=BB302_10 Depth=1
	v_dual_lshrrev_b32 v1, 3, v6 :: v_dual_bitop2_b32 v0, 7, v4 bitop3:0x40
	s_mov_b32 s11, exec_lo
	v_cmpx_gt_u32_e32 8, v6
; %bb.78:                               ;   in Loop: Header=BB302_10 Depth=1
	s_delay_alu instid0(VALU_DEP_2) | instskip(NEXT) | instid1(VALU_DEP_1)
	v_clz_i32_u32_e32 v0, v0
	v_min_u32_e32 v6, 32, v0
	s_delay_alu instid0(VALU_DEP_1) | instskip(NEXT) | instid1(VALU_DEP_1)
	v_subrev_nc_u32_e32 v0, 28, v6
	v_lshlrev_b64_e32 v[0:1], v0, v[4:5]
	s_delay_alu instid0(VALU_DEP_1)
	v_dual_sub_nc_u32 v1, 29, v6 :: v_dual_bitop2_b32 v0, 7, v0 bitop3:0x40
; %bb.79:                               ;   in Loop: Header=BB302_10 Depth=1
	s_or_b32 exec_lo, exec_lo, s11
	v_lshlrev_b32_e32 v6, 8, v4
	s_delay_alu instid0(VALU_DEP_2) | instskip(NEXT) | instid1(VALU_DEP_3)
	v_lshl_add_u32 v1, v1, 10, 0x2000
	v_lshlrev_b32_e32 v0, 7, v0
	s_delay_alu instid0(VALU_DEP_3) | instskip(NEXT) | instid1(VALU_DEP_3)
	v_and_b32_e32 v6, 0x8000, v6
	v_and_b32_e32 v1, 0xfc00, v1
	s_delay_alu instid0(VALU_DEP_1)
	v_or3_b32 v64, v6, v1, v0
.LBB302_80:                             ;   in Loop: Header=BB302_10 Depth=1
	s_or_b32 exec_lo, exec_lo, s8
.LBB302_81:                             ;   in Loop: Header=BB302_10 Depth=1
	s_delay_alu instid0(SALU_CYCLE_1)
	s_or_b32 exec_lo, exec_lo, s7
.LBB302_82:                             ;   in Loop: Header=BB302_10 Depth=1
	s_delay_alu instid0(SALU_CYCLE_1) | instskip(SKIP_3) | instid1(VALU_DEP_2)
	s_or_b32 exec_lo, exec_lo, s6
	v_lshrrev_b16 v14, 8, v4
	v_dual_mov_b32 v121, 0 :: v_dual_mov_b32 v65, 0
	s_mov_b32 s6, exec_lo
	v_cmpx_ne_u16_e32 0, v14
	s_cbranch_execz .LBB302_90
; %bb.83:                               ;   in Loop: Header=BB302_10 Depth=1
	v_bfrev_b32_e32 v65, 1
	s_mov_b32 s7, exec_lo
	v_cmpx_ne_u16_e32 0x80, v14
	s_cbranch_execz .LBB302_89
; %bb.84:                               ;   in Loop: Header=BB302_10 Depth=1
	v_and_b32_e32 v0, 0xffff, v14
	v_mov_b32_e32 v65, 0x7c010000
	s_mov_b32 s8, exec_lo
	s_delay_alu instid0(VALU_DEP_2) | instskip(NEXT) | instid1(VALU_DEP_1)
	v_and_b32_e32 v7, 0x7f, v0
	v_cmpx_ne_u32_e32 0x7f, v7
	s_cbranch_execz .LBB302_88
; %bb.85:                               ;   in Loop: Header=BB302_10 Depth=1
	v_dual_lshrrev_b32 v6, 3, v7 :: v_dual_bitop2_b32 v1, 7, v0 bitop3:0x40
	s_mov_b32 s11, exec_lo
	v_cmpx_gt_u32_e32 8, v7
; %bb.86:                               ;   in Loop: Header=BB302_10 Depth=1
	s_delay_alu instid0(VALU_DEP_2) | instskip(NEXT) | instid1(VALU_DEP_1)
	v_clz_i32_u32_e32 v1, v1
	v_min_u32_e32 v1, 32, v1
	s_delay_alu instid0(VALU_DEP_1) | instskip(NEXT) | instid1(VALU_DEP_1)
	v_subrev_nc_u32_e32 v6, 28, v1
	v_lshlrev_b64_e32 v[8:9], v6, v[14:15]
	s_delay_alu instid0(VALU_DEP_1)
	v_dual_sub_nc_u32 v6, 29, v1 :: v_dual_bitop2_b32 v1, 7, v8 bitop3:0x40
; %bb.87:                               ;   in Loop: Header=BB302_10 Depth=1
	s_or_b32 exec_lo, exec_lo, s11
	s_delay_alu instid0(VALU_DEP_1) | instskip(NEXT) | instid1(VALU_DEP_2)
	v_dual_lshlrev_b32 v0, 8, v0 :: v_dual_lshlrev_b32 v1, 23, v1
	v_lshl_add_u32 v6, v6, 10, 0x2000
	s_delay_alu instid0(VALU_DEP_1) | instskip(NEXT) | instid1(VALU_DEP_1)
	v_and_or_b32 v0, 0x8000, v0, v6
	v_lshl_or_b32 v65, v0, 16, v1
.LBB302_88:                             ;   in Loop: Header=BB302_10 Depth=1
	s_or_b32 exec_lo, exec_lo, s8
.LBB302_89:                             ;   in Loop: Header=BB302_10 Depth=1
	s_delay_alu instid0(SALU_CYCLE_1)
	s_or_b32 exec_lo, exec_lo, s7
.LBB302_90:                             ;   in Loop: Header=BB302_10 Depth=1
	s_delay_alu instid0(SALU_CYCLE_1) | instskip(SKIP_2) | instid1(VALU_DEP_1)
	s_or_b32 exec_lo, exec_lo, s6
	v_lshrrev_b32_e32 v8, 16, v4
	s_mov_b32 s6, exec_lo
	v_and_b32_e32 v0, 0xff, v8
	s_delay_alu instid0(VALU_DEP_1)
	v_cmpx_ne_u16_e32 0, v0
	s_cbranch_execz .LBB302_98
; %bb.91:                               ;   in Loop: Header=BB302_10 Depth=1
	v_mov_b32_e32 v121, 0x8000
	s_mov_b32 s7, exec_lo
	v_cmpx_ne_u16_e32 0x80, v0
	s_cbranch_execz .LBB302_97
; %bb.92:                               ;   in Loop: Header=BB302_10 Depth=1
	v_bfe_u32 v6, v4, 16, 7
	v_mov_b32_e32 v121, 0x7c01
	s_mov_b32 s8, exec_lo
	s_delay_alu instid0(VALU_DEP_2)
	v_cmpx_ne_u32_e32 0x7f, v6
	s_cbranch_execz .LBB302_96
; %bb.93:                               ;   in Loop: Header=BB302_10 Depth=1
	v_dual_lshrrev_b32 v1, 3, v6 :: v_dual_bitop2_b32 v0, 7, v8 bitop3:0x40
	s_mov_b32 s11, exec_lo
	v_cmpx_gt_u32_e32 8, v6
; %bb.94:                               ;   in Loop: Header=BB302_10 Depth=1
	s_delay_alu instid0(VALU_DEP_2) | instskip(NEXT) | instid1(VALU_DEP_1)
	v_clz_i32_u32_e32 v0, v0
	v_min_u32_e32 v6, 32, v0
	s_delay_alu instid0(VALU_DEP_1) | instskip(NEXT) | instid1(VALU_DEP_1)
	v_subrev_nc_u32_e32 v0, 28, v6
	v_lshlrev_b64_e32 v[0:1], v0, v[8:9]
	s_delay_alu instid0(VALU_DEP_1)
	v_dual_sub_nc_u32 v1, 29, v6 :: v_dual_bitop2_b32 v0, 7, v0 bitop3:0x40
; %bb.95:                               ;   in Loop: Header=BB302_10 Depth=1
	s_or_b32 exec_lo, exec_lo, s11
	v_lshlrev_b32_e32 v6, 8, v8
	s_delay_alu instid0(VALU_DEP_2) | instskip(NEXT) | instid1(VALU_DEP_3)
	v_lshl_add_u32 v1, v1, 10, 0x2000
	v_lshlrev_b32_e32 v0, 7, v0
	s_delay_alu instid0(VALU_DEP_3) | instskip(NEXT) | instid1(VALU_DEP_3)
	v_and_b32_e32 v6, 0x8000, v6
	v_and_b32_e32 v1, 0xfc00, v1
	s_delay_alu instid0(VALU_DEP_1)
	v_or3_b32 v121, v6, v1, v0
.LBB302_96:                             ;   in Loop: Header=BB302_10 Depth=1
	s_or_b32 exec_lo, exec_lo, s8
.LBB302_97:                             ;   in Loop: Header=BB302_10 Depth=1
	s_delay_alu instid0(SALU_CYCLE_1)
	s_or_b32 exec_lo, exec_lo, s7
.LBB302_98:                             ;   in Loop: Header=BB302_10 Depth=1
	s_delay_alu instid0(SALU_CYCLE_1)
	s_or_b32 exec_lo, exec_lo, s6
	v_dual_mov_b32 v123, 0 :: v_dual_mov_b32 v120, 0
	s_mov_b32 s6, exec_lo
	v_cmpx_lt_u32_e32 0xffffff, v4
	s_cbranch_execz .LBB302_106
; %bb.99:                               ;   in Loop: Header=BB302_10 Depth=1
	v_lshrrev_b32_e32 v14, 24, v4
	v_bfrev_b32_e32 v120, 1
	s_mov_b32 s7, exec_lo
	s_delay_alu instid0(VALU_DEP_2)
	v_cmpx_ne_u32_e32 0x80, v14
	s_cbranch_execz .LBB302_105
; %bb.100:                              ;   in Loop: Header=BB302_10 Depth=1
	v_and_b32_e32 v6, 0x7f, v14
	v_mov_b32_e32 v120, 0x7c010000
	s_mov_b32 s8, exec_lo
	s_delay_alu instid0(VALU_DEP_2)
	v_cmpx_ne_u32_e32 0x7f, v6
	s_cbranch_execz .LBB302_104
; %bb.101:                              ;   in Loop: Header=BB302_10 Depth=1
	v_and_b32_e32 v0, 7, v14
	v_lshrrev_b32_e32 v1, 3, v6
	s_mov_b32 s11, exec_lo
	v_cmpx_gt_u32_e32 8, v6
; %bb.102:                              ;   in Loop: Header=BB302_10 Depth=1
	s_delay_alu instid0(VALU_DEP_3) | instskip(NEXT) | instid1(VALU_DEP_1)
	v_clz_i32_u32_e32 v0, v0
	v_min_u32_e32 v6, 32, v0
	s_delay_alu instid0(VALU_DEP_1) | instskip(NEXT) | instid1(VALU_DEP_1)
	v_subrev_nc_u32_e32 v0, 28, v6
	v_lshlrev_b64_e32 v[0:1], v0, v[14:15]
	s_delay_alu instid0(VALU_DEP_1)
	v_dual_sub_nc_u32 v1, 29, v6 :: v_dual_bitop2_b32 v0, 7, v0 bitop3:0x40
; %bb.103:                              ;   in Loop: Header=BB302_10 Depth=1
	s_or_b32 exec_lo, exec_lo, s11
	s_delay_alu instid0(VALU_DEP_1) | instskip(NEXT) | instid1(VALU_DEP_2)
	v_dual_lshlrev_b32 v6, 8, v14 :: v_dual_lshlrev_b32 v0, 23, v0
	v_lshl_add_u32 v1, v1, 10, 0x2000
	s_delay_alu instid0(VALU_DEP_1) | instskip(NEXT) | instid1(VALU_DEP_1)
	v_and_or_b32 v1, 0x8000, v6, v1
	v_lshl_or_b32 v120, v1, 16, v0
.LBB302_104:                            ;   in Loop: Header=BB302_10 Depth=1
	s_or_b32 exec_lo, exec_lo, s8
.LBB302_105:                            ;   in Loop: Header=BB302_10 Depth=1
	s_delay_alu instid0(SALU_CYCLE_1)
	s_or_b32 exec_lo, exec_lo, s7
.LBB302_106:                            ;   in Loop: Header=BB302_10 Depth=1
	s_delay_alu instid0(SALU_CYCLE_1) | instskip(SKIP_3) | instid1(VALU_DEP_2)
	s_or_b32 exec_lo, exec_lo, s6
	v_and_b32_e32 v0, 0xff, v5
	v_mov_b32_e32 v14, v5
	s_mov_b32 s6, exec_lo
	v_cmpx_ne_u16_e32 0, v0
	s_cbranch_execz .LBB302_114
; %bb.107:                              ;   in Loop: Header=BB302_10 Depth=1
	v_mov_b32_e32 v123, 0x8000
	s_mov_b32 s7, exec_lo
	v_cmpx_ne_u16_e32 0x80, v0
	s_cbranch_execz .LBB302_113
; %bb.108:                              ;   in Loop: Header=BB302_10 Depth=1
	v_and_b32_e32 v6, 0x7f, v5
	v_mov_b32_e32 v123, 0x7c01
	s_mov_b32 s8, exec_lo
	s_delay_alu instid0(VALU_DEP_2)
	v_cmpx_ne_u32_e32 0x7f, v6
	s_cbranch_execz .LBB302_112
; %bb.109:                              ;   in Loop: Header=BB302_10 Depth=1
	v_dual_lshrrev_b32 v1, 3, v6 :: v_dual_bitop2_b32 v0, 7, v5 bitop3:0x40
	s_mov_b32 s11, exec_lo
	v_cmpx_gt_u32_e32 8, v6
; %bb.110:                              ;   in Loop: Header=BB302_10 Depth=1
	s_delay_alu instid0(VALU_DEP_2) | instskip(NEXT) | instid1(VALU_DEP_1)
	v_clz_i32_u32_e32 v0, v0
	v_min_u32_e32 v6, 32, v0
	s_delay_alu instid0(VALU_DEP_1) | instskip(NEXT) | instid1(VALU_DEP_1)
	v_subrev_nc_u32_e32 v0, 28, v6
	v_lshlrev_b64_e32 v[0:1], v0, v[14:15]
	s_delay_alu instid0(VALU_DEP_1)
	v_dual_sub_nc_u32 v1, 29, v6 :: v_dual_bitop2_b32 v0, 7, v0 bitop3:0x40
; %bb.111:                              ;   in Loop: Header=BB302_10 Depth=1
	s_or_b32 exec_lo, exec_lo, s11
	s_delay_alu instid0(VALU_DEP_1) | instskip(NEXT) | instid1(VALU_DEP_2)
	v_dual_lshlrev_b32 v6, 8, v5 :: v_dual_lshlrev_b32 v0, 7, v0
	v_lshl_add_u32 v1, v1, 10, 0x2000
	s_delay_alu instid0(VALU_DEP_2) | instskip(NEXT) | instid1(VALU_DEP_2)
	v_and_b32_e32 v6, 0x8000, v6
	v_and_b32_e32 v1, 0xfc00, v1
	s_delay_alu instid0(VALU_DEP_1)
	v_or3_b32 v123, v6, v1, v0
.LBB302_112:                            ;   in Loop: Header=BB302_10 Depth=1
	s_or_b32 exec_lo, exec_lo, s8
.LBB302_113:                            ;   in Loop: Header=BB302_10 Depth=1
	s_delay_alu instid0(SALU_CYCLE_1)
	s_or_b32 exec_lo, exec_lo, s7
.LBB302_114:                            ;   in Loop: Header=BB302_10 Depth=1
	s_delay_alu instid0(SALU_CYCLE_1) | instskip(SKIP_3) | instid1(VALU_DEP_2)
	s_or_b32 exec_lo, exec_lo, s6
	v_lshrrev_b16 v14, 8, v14
	v_dual_mov_b32 v122, 0 :: v_dual_mov_b32 v69, 0
	s_mov_b32 s6, exec_lo
	v_cmpx_ne_u16_e32 0, v14
	s_cbranch_execz .LBB302_122
; %bb.115:                              ;   in Loop: Header=BB302_10 Depth=1
	v_bfrev_b32_e32 v69, 1
	s_mov_b32 s7, exec_lo
	v_cmpx_ne_u16_e32 0x80, v14
	s_cbranch_execz .LBB302_121
; %bb.116:                              ;   in Loop: Header=BB302_10 Depth=1
	v_and_b32_e32 v0, 0xffff, v14
	v_mov_b32_e32 v69, 0x7c010000
	s_mov_b32 s8, exec_lo
	s_delay_alu instid0(VALU_DEP_2) | instskip(NEXT) | instid1(VALU_DEP_1)
	v_and_b32_e32 v7, 0x7f, v0
	v_cmpx_ne_u32_e32 0x7f, v7
	s_cbranch_execz .LBB302_120
; %bb.117:                              ;   in Loop: Header=BB302_10 Depth=1
	v_dual_lshrrev_b32 v6, 3, v7 :: v_dual_bitop2_b32 v1, 7, v0 bitop3:0x40
	s_mov_b32 s11, exec_lo
	v_cmpx_gt_u32_e32 8, v7
; %bb.118:                              ;   in Loop: Header=BB302_10 Depth=1
	s_delay_alu instid0(VALU_DEP_2) | instskip(NEXT) | instid1(VALU_DEP_1)
	v_clz_i32_u32_e32 v1, v1
	v_min_u32_e32 v1, 32, v1
	s_delay_alu instid0(VALU_DEP_1) | instskip(NEXT) | instid1(VALU_DEP_1)
	v_subrev_nc_u32_e32 v6, 28, v1
	v_lshlrev_b64_e32 v[8:9], v6, v[14:15]
	s_delay_alu instid0(VALU_DEP_1)
	v_dual_sub_nc_u32 v6, 29, v1 :: v_dual_bitop2_b32 v1, 7, v8 bitop3:0x40
; %bb.119:                              ;   in Loop: Header=BB302_10 Depth=1
	s_or_b32 exec_lo, exec_lo, s11
	s_delay_alu instid0(VALU_DEP_1) | instskip(NEXT) | instid1(VALU_DEP_2)
	v_dual_lshlrev_b32 v0, 8, v0 :: v_dual_lshlrev_b32 v1, 23, v1
	v_lshl_add_u32 v6, v6, 10, 0x2000
	s_delay_alu instid0(VALU_DEP_1) | instskip(NEXT) | instid1(VALU_DEP_1)
	v_and_or_b32 v0, 0x8000, v0, v6
	v_lshl_or_b32 v69, v0, 16, v1
.LBB302_120:                            ;   in Loop: Header=BB302_10 Depth=1
	s_or_b32 exec_lo, exec_lo, s8
.LBB302_121:                            ;   in Loop: Header=BB302_10 Depth=1
	s_delay_alu instid0(SALU_CYCLE_1)
	s_or_b32 exec_lo, exec_lo, s7
.LBB302_122:                            ;   in Loop: Header=BB302_10 Depth=1
	s_delay_alu instid0(SALU_CYCLE_1) | instskip(SKIP_2) | instid1(VALU_DEP_1)
	s_or_b32 exec_lo, exec_lo, s6
	v_lshrrev_b32_e32 v8, 16, v5
	s_mov_b32 s6, exec_lo
	v_and_b32_e32 v0, 0xff, v8
	s_delay_alu instid0(VALU_DEP_1)
	v_cmpx_ne_u16_e32 0, v0
	s_cbranch_execz .LBB302_130
; %bb.123:                              ;   in Loop: Header=BB302_10 Depth=1
	v_mov_b32_e32 v122, 0x8000
	s_mov_b32 s7, exec_lo
	v_cmpx_ne_u16_e32 0x80, v0
	s_cbranch_execz .LBB302_129
; %bb.124:                              ;   in Loop: Header=BB302_10 Depth=1
	v_bfe_u32 v6, v5, 16, 7
	v_mov_b32_e32 v122, 0x7c01
	s_mov_b32 s8, exec_lo
	s_delay_alu instid0(VALU_DEP_2)
	v_cmpx_ne_u32_e32 0x7f, v6
	s_cbranch_execz .LBB302_128
; %bb.125:                              ;   in Loop: Header=BB302_10 Depth=1
	v_dual_lshrrev_b32 v1, 3, v6 :: v_dual_bitop2_b32 v0, 7, v8 bitop3:0x40
	s_mov_b32 s11, exec_lo
	v_cmpx_gt_u32_e32 8, v6
; %bb.126:                              ;   in Loop: Header=BB302_10 Depth=1
	s_delay_alu instid0(VALU_DEP_2) | instskip(NEXT) | instid1(VALU_DEP_1)
	v_clz_i32_u32_e32 v0, v0
	v_min_u32_e32 v6, 32, v0
	s_delay_alu instid0(VALU_DEP_1) | instskip(NEXT) | instid1(VALU_DEP_1)
	v_subrev_nc_u32_e32 v0, 28, v6
	v_lshlrev_b64_e32 v[0:1], v0, v[8:9]
	s_delay_alu instid0(VALU_DEP_1)
	v_dual_sub_nc_u32 v1, 29, v6 :: v_dual_bitop2_b32 v0, 7, v0 bitop3:0x40
; %bb.127:                              ;   in Loop: Header=BB302_10 Depth=1
	s_or_b32 exec_lo, exec_lo, s11
	v_lshlrev_b32_e32 v6, 8, v8
	s_delay_alu instid0(VALU_DEP_2) | instskip(NEXT) | instid1(VALU_DEP_3)
	v_lshl_add_u32 v1, v1, 10, 0x2000
	v_lshlrev_b32_e32 v0, 7, v0
	s_delay_alu instid0(VALU_DEP_3) | instskip(NEXT) | instid1(VALU_DEP_3)
	v_and_b32_e32 v6, 0x8000, v6
	v_and_b32_e32 v1, 0xfc00, v1
	s_delay_alu instid0(VALU_DEP_1)
	v_or3_b32 v122, v6, v1, v0
.LBB302_128:                            ;   in Loop: Header=BB302_10 Depth=1
	s_or_b32 exec_lo, exec_lo, s8
.LBB302_129:                            ;   in Loop: Header=BB302_10 Depth=1
	s_delay_alu instid0(SALU_CYCLE_1)
	s_or_b32 exec_lo, exec_lo, s7
.LBB302_130:                            ;   in Loop: Header=BB302_10 Depth=1
	s_delay_alu instid0(SALU_CYCLE_1)
	s_or_b32 exec_lo, exec_lo, s6
	v_dual_mov_b32 v44, 0 :: v_dual_mov_b32 v45, 0
	s_mov_b32 s6, exec_lo
	v_cmpx_lt_u64_e64 s[2:3], v[4:5]
	s_cbranch_execz .LBB302_138
; %bb.131:                              ;   in Loop: Header=BB302_10 Depth=1
	v_lshrrev_b32_e32 v14, 24, v5
	v_bfrev_b32_e32 v45, 1
	s_mov_b32 s7, exec_lo
	s_delay_alu instid0(VALU_DEP_2)
	v_cmpx_ne_u32_e32 0x80, v14
	s_cbranch_execz .LBB302_137
; %bb.132:                              ;   in Loop: Header=BB302_10 Depth=1
	v_and_b32_e32 v4, 0x7f, v14
	v_mov_b32_e32 v45, 0x7c010000
	s_mov_b32 s8, exec_lo
	s_delay_alu instid0(VALU_DEP_2)
	v_cmpx_ne_u32_e32 0x7f, v4
	s_cbranch_execz .LBB302_136
; %bb.133:                              ;   in Loop: Header=BB302_10 Depth=1
	v_dual_lshrrev_b32 v1, 3, v4 :: v_dual_bitop2_b32 v0, 7, v14 bitop3:0x40
	s_mov_b32 s11, exec_lo
	v_cmpx_gt_u32_e32 8, v4
; %bb.134:                              ;   in Loop: Header=BB302_10 Depth=1
	s_delay_alu instid0(VALU_DEP_2) | instskip(NEXT) | instid1(VALU_DEP_1)
	v_clz_i32_u32_e32 v0, v0
	v_min_u32_e32 v4, 32, v0
	s_delay_alu instid0(VALU_DEP_1) | instskip(NEXT) | instid1(VALU_DEP_1)
	v_subrev_nc_u32_e32 v0, 28, v4
	v_lshlrev_b64_e32 v[0:1], v0, v[14:15]
	v_sub_nc_u32_e32 v1, 29, v4
	s_delay_alu instid0(VALU_DEP_2)
	v_and_b32_e32 v0, 7, v0
; %bb.135:                              ;   in Loop: Header=BB302_10 Depth=1
	s_or_b32 exec_lo, exec_lo, s11
	s_delay_alu instid0(VALU_DEP_1) | instskip(NEXT) | instid1(VALU_DEP_3)
	v_dual_lshlrev_b32 v4, 8, v14 :: v_dual_lshlrev_b32 v0, 23, v0
	v_lshl_add_u32 v1, v1, 10, 0x2000
	s_delay_alu instid0(VALU_DEP_1) | instskip(NEXT) | instid1(VALU_DEP_1)
	v_and_or_b32 v1, 0x8000, v4, v1
	v_lshl_or_b32 v45, v1, 16, v0
.LBB302_136:                            ;   in Loop: Header=BB302_10 Depth=1
	s_or_b32 exec_lo, exec_lo, s8
.LBB302_137:                            ;   in Loop: Header=BB302_10 Depth=1
	s_delay_alu instid0(SALU_CYCLE_1)
	s_or_b32 exec_lo, exec_lo, s7
.LBB302_138:                            ;   in Loop: Header=BB302_10 Depth=1
	s_delay_alu instid0(SALU_CYCLE_1)
	s_or_b32 exec_lo, exec_lo, s6
	flat_load_b64 v[4:5], v[2:3] offset:512
	s_mov_b32 s6, exec_lo
	s_wait_loadcnt_dscnt 0x0
	v_and_b32_e32 v0, 0xff, v4
	s_wait_xcnt 0x0
	s_delay_alu instid0(VALU_DEP_1)
	v_cmpx_ne_u16_e32 0, v0
	s_cbranch_execz .LBB302_146
; %bb.139:                              ;   in Loop: Header=BB302_10 Depth=1
	v_mov_b32_e32 v44, 0x8000
	s_mov_b32 s7, exec_lo
	v_cmpx_ne_u16_e32 0x80, v0
	s_cbranch_execz .LBB302_145
; %bb.140:                              ;   in Loop: Header=BB302_10 Depth=1
	v_and_b32_e32 v6, 0x7f, v4
	v_mov_b32_e32 v44, 0x7c01
	s_mov_b32 s8, exec_lo
	s_delay_alu instid0(VALU_DEP_2)
	v_cmpx_ne_u32_e32 0x7f, v6
	s_cbranch_execz .LBB302_144
; %bb.141:                              ;   in Loop: Header=BB302_10 Depth=1
	v_dual_lshrrev_b32 v1, 3, v6 :: v_dual_bitop2_b32 v0, 7, v4 bitop3:0x40
	s_mov_b32 s11, exec_lo
	v_cmpx_gt_u32_e32 8, v6
; %bb.142:                              ;   in Loop: Header=BB302_10 Depth=1
	s_delay_alu instid0(VALU_DEP_2) | instskip(NEXT) | instid1(VALU_DEP_1)
	v_clz_i32_u32_e32 v0, v0
	v_min_u32_e32 v6, 32, v0
	s_delay_alu instid0(VALU_DEP_1) | instskip(NEXT) | instid1(VALU_DEP_1)
	v_subrev_nc_u32_e32 v0, 28, v6
	v_lshlrev_b64_e32 v[0:1], v0, v[4:5]
	s_delay_alu instid0(VALU_DEP_1)
	v_dual_sub_nc_u32 v1, 29, v6 :: v_dual_bitop2_b32 v0, 7, v0 bitop3:0x40
; %bb.143:                              ;   in Loop: Header=BB302_10 Depth=1
	s_or_b32 exec_lo, exec_lo, s11
	v_lshlrev_b32_e32 v6, 8, v4
	s_delay_alu instid0(VALU_DEP_2) | instskip(NEXT) | instid1(VALU_DEP_3)
	v_lshl_add_u32 v1, v1, 10, 0x2000
	v_lshlrev_b32_e32 v0, 7, v0
	s_delay_alu instid0(VALU_DEP_3) | instskip(NEXT) | instid1(VALU_DEP_3)
	v_and_b32_e32 v6, 0x8000, v6
	v_and_b32_e32 v1, 0xfc00, v1
	s_delay_alu instid0(VALU_DEP_1)
	v_or3_b32 v44, v6, v1, v0
.LBB302_144:                            ;   in Loop: Header=BB302_10 Depth=1
	s_or_b32 exec_lo, exec_lo, s8
.LBB302_145:                            ;   in Loop: Header=BB302_10 Depth=1
	s_delay_alu instid0(SALU_CYCLE_1)
	s_or_b32 exec_lo, exec_lo, s7
.LBB302_146:                            ;   in Loop: Header=BB302_10 Depth=1
	s_delay_alu instid0(SALU_CYCLE_1) | instskip(SKIP_3) | instid1(VALU_DEP_2)
	s_or_b32 exec_lo, exec_lo, s6
	v_lshrrev_b16 v14, 8, v4
	v_dual_mov_b32 v104, 0 :: v_dual_mov_b32 v90, 0
	s_mov_b32 s6, exec_lo
	v_cmpx_ne_u16_e32 0, v14
	s_cbranch_execz .LBB302_154
; %bb.147:                              ;   in Loop: Header=BB302_10 Depth=1
	v_bfrev_b32_e32 v90, 1
	s_mov_b32 s7, exec_lo
	v_cmpx_ne_u16_e32 0x80, v14
	s_cbranch_execz .LBB302_153
; %bb.148:                              ;   in Loop: Header=BB302_10 Depth=1
	v_and_b32_e32 v0, 0xffff, v14
	v_mov_b32_e32 v90, 0x7c010000
	s_mov_b32 s8, exec_lo
	s_delay_alu instid0(VALU_DEP_2) | instskip(NEXT) | instid1(VALU_DEP_1)
	v_and_b32_e32 v7, 0x7f, v0
	v_cmpx_ne_u32_e32 0x7f, v7
	s_cbranch_execz .LBB302_152
; %bb.149:                              ;   in Loop: Header=BB302_10 Depth=1
	v_dual_lshrrev_b32 v6, 3, v7 :: v_dual_bitop2_b32 v1, 7, v0 bitop3:0x40
	s_mov_b32 s11, exec_lo
	v_cmpx_gt_u32_e32 8, v7
; %bb.150:                              ;   in Loop: Header=BB302_10 Depth=1
	s_delay_alu instid0(VALU_DEP_2) | instskip(NEXT) | instid1(VALU_DEP_1)
	v_clz_i32_u32_e32 v1, v1
	v_min_u32_e32 v1, 32, v1
	s_delay_alu instid0(VALU_DEP_1) | instskip(NEXT) | instid1(VALU_DEP_1)
	v_subrev_nc_u32_e32 v6, 28, v1
	v_lshlrev_b64_e32 v[8:9], v6, v[14:15]
	s_delay_alu instid0(VALU_DEP_1)
	v_dual_sub_nc_u32 v6, 29, v1 :: v_dual_bitop2_b32 v1, 7, v8 bitop3:0x40
; %bb.151:                              ;   in Loop: Header=BB302_10 Depth=1
	s_or_b32 exec_lo, exec_lo, s11
	s_delay_alu instid0(VALU_DEP_1) | instskip(NEXT) | instid1(VALU_DEP_2)
	v_dual_lshlrev_b32 v0, 8, v0 :: v_dual_lshlrev_b32 v1, 23, v1
	v_lshl_add_u32 v6, v6, 10, 0x2000
	s_delay_alu instid0(VALU_DEP_1) | instskip(NEXT) | instid1(VALU_DEP_1)
	v_and_or_b32 v0, 0x8000, v0, v6
	v_lshl_or_b32 v90, v0, 16, v1
.LBB302_152:                            ;   in Loop: Header=BB302_10 Depth=1
	s_or_b32 exec_lo, exec_lo, s8
.LBB302_153:                            ;   in Loop: Header=BB302_10 Depth=1
	s_delay_alu instid0(SALU_CYCLE_1)
	s_or_b32 exec_lo, exec_lo, s7
.LBB302_154:                            ;   in Loop: Header=BB302_10 Depth=1
	s_delay_alu instid0(SALU_CYCLE_1) | instskip(SKIP_2) | instid1(VALU_DEP_1)
	s_or_b32 exec_lo, exec_lo, s6
	v_lshrrev_b32_e32 v8, 16, v4
	s_mov_b32 s6, exec_lo
	v_and_b32_e32 v0, 0xff, v8
	s_delay_alu instid0(VALU_DEP_1)
	v_cmpx_ne_u16_e32 0, v0
	s_cbranch_execz .LBB302_162
; %bb.155:                              ;   in Loop: Header=BB302_10 Depth=1
	v_mov_b32_e32 v104, 0x8000
	s_mov_b32 s7, exec_lo
	v_cmpx_ne_u16_e32 0x80, v0
	s_cbranch_execz .LBB302_161
; %bb.156:                              ;   in Loop: Header=BB302_10 Depth=1
	v_bfe_u32 v6, v4, 16, 7
	v_mov_b32_e32 v104, 0x7c01
	s_mov_b32 s8, exec_lo
	s_delay_alu instid0(VALU_DEP_2)
	v_cmpx_ne_u32_e32 0x7f, v6
	s_cbranch_execz .LBB302_160
; %bb.157:                              ;   in Loop: Header=BB302_10 Depth=1
	v_dual_lshrrev_b32 v1, 3, v6 :: v_dual_bitop2_b32 v0, 7, v8 bitop3:0x40
	s_mov_b32 s11, exec_lo
	v_cmpx_gt_u32_e32 8, v6
; %bb.158:                              ;   in Loop: Header=BB302_10 Depth=1
	s_delay_alu instid0(VALU_DEP_2) | instskip(NEXT) | instid1(VALU_DEP_1)
	v_clz_i32_u32_e32 v0, v0
	v_min_u32_e32 v6, 32, v0
	s_delay_alu instid0(VALU_DEP_1) | instskip(NEXT) | instid1(VALU_DEP_1)
	v_subrev_nc_u32_e32 v0, 28, v6
	v_lshlrev_b64_e32 v[0:1], v0, v[8:9]
	s_delay_alu instid0(VALU_DEP_1)
	v_dual_sub_nc_u32 v1, 29, v6 :: v_dual_bitop2_b32 v0, 7, v0 bitop3:0x40
; %bb.159:                              ;   in Loop: Header=BB302_10 Depth=1
	s_or_b32 exec_lo, exec_lo, s11
	v_lshlrev_b32_e32 v6, 8, v8
	s_delay_alu instid0(VALU_DEP_2) | instskip(NEXT) | instid1(VALU_DEP_3)
	v_lshl_add_u32 v1, v1, 10, 0x2000
	v_lshlrev_b32_e32 v0, 7, v0
	s_delay_alu instid0(VALU_DEP_3) | instskip(NEXT) | instid1(VALU_DEP_3)
	v_and_b32_e32 v6, 0x8000, v6
	v_and_b32_e32 v1, 0xfc00, v1
	s_delay_alu instid0(VALU_DEP_1)
	v_or3_b32 v104, v6, v1, v0
.LBB302_160:                            ;   in Loop: Header=BB302_10 Depth=1
	s_or_b32 exec_lo, exec_lo, s8
.LBB302_161:                            ;   in Loop: Header=BB302_10 Depth=1
	s_delay_alu instid0(SALU_CYCLE_1)
	s_or_b32 exec_lo, exec_lo, s7
.LBB302_162:                            ;   in Loop: Header=BB302_10 Depth=1
	s_delay_alu instid0(SALU_CYCLE_1)
	s_or_b32 exec_lo, exec_lo, s6
	v_dual_mov_b32 v105, 0 :: v_dual_mov_b32 v91, 0
	s_mov_b32 s6, exec_lo
	v_cmpx_lt_u32_e32 0xffffff, v4
	s_cbranch_execz .LBB302_170
; %bb.163:                              ;   in Loop: Header=BB302_10 Depth=1
	v_lshrrev_b32_e32 v14, 24, v4
	v_bfrev_b32_e32 v91, 1
	s_mov_b32 s7, exec_lo
	s_delay_alu instid0(VALU_DEP_2)
	v_cmpx_ne_u32_e32 0x80, v14
	s_cbranch_execz .LBB302_169
; %bb.164:                              ;   in Loop: Header=BB302_10 Depth=1
	v_and_b32_e32 v6, 0x7f, v14
	v_mov_b32_e32 v91, 0x7c010000
	s_mov_b32 s8, exec_lo
	s_delay_alu instid0(VALU_DEP_2)
	v_cmpx_ne_u32_e32 0x7f, v6
	s_cbranch_execz .LBB302_168
; %bb.165:                              ;   in Loop: Header=BB302_10 Depth=1
	v_and_b32_e32 v0, 7, v14
	v_lshrrev_b32_e32 v1, 3, v6
	s_mov_b32 s11, exec_lo
	v_cmpx_gt_u32_e32 8, v6
; %bb.166:                              ;   in Loop: Header=BB302_10 Depth=1
	s_delay_alu instid0(VALU_DEP_3) | instskip(NEXT) | instid1(VALU_DEP_1)
	v_clz_i32_u32_e32 v0, v0
	v_min_u32_e32 v6, 32, v0
	s_delay_alu instid0(VALU_DEP_1) | instskip(NEXT) | instid1(VALU_DEP_1)
	v_subrev_nc_u32_e32 v0, 28, v6
	v_lshlrev_b64_e32 v[0:1], v0, v[14:15]
	s_delay_alu instid0(VALU_DEP_1)
	v_dual_sub_nc_u32 v1, 29, v6 :: v_dual_bitop2_b32 v0, 7, v0 bitop3:0x40
; %bb.167:                              ;   in Loop: Header=BB302_10 Depth=1
	s_or_b32 exec_lo, exec_lo, s11
	s_delay_alu instid0(VALU_DEP_1) | instskip(NEXT) | instid1(VALU_DEP_2)
	v_dual_lshlrev_b32 v6, 8, v14 :: v_dual_lshlrev_b32 v0, 23, v0
	v_lshl_add_u32 v1, v1, 10, 0x2000
	s_delay_alu instid0(VALU_DEP_1) | instskip(NEXT) | instid1(VALU_DEP_1)
	v_and_or_b32 v1, 0x8000, v6, v1
	v_lshl_or_b32 v91, v1, 16, v0
.LBB302_168:                            ;   in Loop: Header=BB302_10 Depth=1
	s_or_b32 exec_lo, exec_lo, s8
.LBB302_169:                            ;   in Loop: Header=BB302_10 Depth=1
	s_delay_alu instid0(SALU_CYCLE_1)
	s_or_b32 exec_lo, exec_lo, s7
.LBB302_170:                            ;   in Loop: Header=BB302_10 Depth=1
	s_delay_alu instid0(SALU_CYCLE_1) | instskip(SKIP_3) | instid1(VALU_DEP_2)
	s_or_b32 exec_lo, exec_lo, s6
	v_and_b32_e32 v0, 0xff, v5
	v_mov_b32_e32 v14, v5
	s_mov_b32 s6, exec_lo
	v_cmpx_ne_u16_e32 0, v0
	s_cbranch_execz .LBB302_178
; %bb.171:                              ;   in Loop: Header=BB302_10 Depth=1
	v_mov_b32_e32 v105, 0x8000
	s_mov_b32 s7, exec_lo
	v_cmpx_ne_u16_e32 0x80, v0
	s_cbranch_execz .LBB302_177
; %bb.172:                              ;   in Loop: Header=BB302_10 Depth=1
	v_and_b32_e32 v6, 0x7f, v5
	v_mov_b32_e32 v105, 0x7c01
	s_mov_b32 s8, exec_lo
	s_delay_alu instid0(VALU_DEP_2)
	v_cmpx_ne_u32_e32 0x7f, v6
	s_cbranch_execz .LBB302_176
; %bb.173:                              ;   in Loop: Header=BB302_10 Depth=1
	v_dual_lshrrev_b32 v1, 3, v6 :: v_dual_bitop2_b32 v0, 7, v5 bitop3:0x40
	s_mov_b32 s11, exec_lo
	v_cmpx_gt_u32_e32 8, v6
; %bb.174:                              ;   in Loop: Header=BB302_10 Depth=1
	s_delay_alu instid0(VALU_DEP_2) | instskip(NEXT) | instid1(VALU_DEP_1)
	v_clz_i32_u32_e32 v0, v0
	v_min_u32_e32 v6, 32, v0
	s_delay_alu instid0(VALU_DEP_1) | instskip(NEXT) | instid1(VALU_DEP_1)
	v_subrev_nc_u32_e32 v0, 28, v6
	v_lshlrev_b64_e32 v[0:1], v0, v[14:15]
	s_delay_alu instid0(VALU_DEP_1)
	v_dual_sub_nc_u32 v1, 29, v6 :: v_dual_bitop2_b32 v0, 7, v0 bitop3:0x40
; %bb.175:                              ;   in Loop: Header=BB302_10 Depth=1
	s_or_b32 exec_lo, exec_lo, s11
	s_delay_alu instid0(VALU_DEP_1) | instskip(NEXT) | instid1(VALU_DEP_2)
	v_dual_lshlrev_b32 v6, 8, v5 :: v_dual_lshlrev_b32 v0, 7, v0
	v_lshl_add_u32 v1, v1, 10, 0x2000
	s_delay_alu instid0(VALU_DEP_2) | instskip(NEXT) | instid1(VALU_DEP_2)
	v_and_b32_e32 v6, 0x8000, v6
	v_and_b32_e32 v1, 0xfc00, v1
	s_delay_alu instid0(VALU_DEP_1)
	v_or3_b32 v105, v6, v1, v0
.LBB302_176:                            ;   in Loop: Header=BB302_10 Depth=1
	s_or_b32 exec_lo, exec_lo, s8
.LBB302_177:                            ;   in Loop: Header=BB302_10 Depth=1
	s_delay_alu instid0(SALU_CYCLE_1)
	s_or_b32 exec_lo, exec_lo, s7
.LBB302_178:                            ;   in Loop: Header=BB302_10 Depth=1
	s_delay_alu instid0(SALU_CYCLE_1) | instskip(SKIP_3) | instid1(VALU_DEP_2)
	s_or_b32 exec_lo, exec_lo, s6
	v_lshrrev_b16 v14, 8, v14
	v_dual_mov_b32 v71, 0 :: v_dual_mov_b32 v56, 0
	s_mov_b32 s6, exec_lo
	v_cmpx_ne_u16_e32 0, v14
	s_cbranch_execz .LBB302_186
; %bb.179:                              ;   in Loop: Header=BB302_10 Depth=1
	v_bfrev_b32_e32 v56, 1
	s_mov_b32 s7, exec_lo
	v_cmpx_ne_u16_e32 0x80, v14
	s_cbranch_execz .LBB302_185
; %bb.180:                              ;   in Loop: Header=BB302_10 Depth=1
	v_and_b32_e32 v0, 0xffff, v14
	v_mov_b32_e32 v56, 0x7c010000
	s_mov_b32 s8, exec_lo
	s_delay_alu instid0(VALU_DEP_2) | instskip(NEXT) | instid1(VALU_DEP_1)
	v_and_b32_e32 v7, 0x7f, v0
	v_cmpx_ne_u32_e32 0x7f, v7
	s_cbranch_execz .LBB302_184
; %bb.181:                              ;   in Loop: Header=BB302_10 Depth=1
	v_dual_lshrrev_b32 v6, 3, v7 :: v_dual_bitop2_b32 v1, 7, v0 bitop3:0x40
	s_mov_b32 s11, exec_lo
	v_cmpx_gt_u32_e32 8, v7
; %bb.182:                              ;   in Loop: Header=BB302_10 Depth=1
	s_delay_alu instid0(VALU_DEP_2) | instskip(NEXT) | instid1(VALU_DEP_1)
	v_clz_i32_u32_e32 v1, v1
	v_min_u32_e32 v1, 32, v1
	s_delay_alu instid0(VALU_DEP_1) | instskip(NEXT) | instid1(VALU_DEP_1)
	v_subrev_nc_u32_e32 v6, 28, v1
	v_lshlrev_b64_e32 v[8:9], v6, v[14:15]
	s_delay_alu instid0(VALU_DEP_1)
	v_dual_sub_nc_u32 v6, 29, v1 :: v_dual_bitop2_b32 v1, 7, v8 bitop3:0x40
; %bb.183:                              ;   in Loop: Header=BB302_10 Depth=1
	s_or_b32 exec_lo, exec_lo, s11
	s_delay_alu instid0(VALU_DEP_1) | instskip(NEXT) | instid1(VALU_DEP_2)
	v_dual_lshlrev_b32 v0, 8, v0 :: v_dual_lshlrev_b32 v1, 23, v1
	v_lshl_add_u32 v6, v6, 10, 0x2000
	s_delay_alu instid0(VALU_DEP_1) | instskip(NEXT) | instid1(VALU_DEP_1)
	v_and_or_b32 v0, 0x8000, v0, v6
	v_lshl_or_b32 v56, v0, 16, v1
.LBB302_184:                            ;   in Loop: Header=BB302_10 Depth=1
	s_or_b32 exec_lo, exec_lo, s8
.LBB302_185:                            ;   in Loop: Header=BB302_10 Depth=1
	s_delay_alu instid0(SALU_CYCLE_1)
	s_or_b32 exec_lo, exec_lo, s7
.LBB302_186:                            ;   in Loop: Header=BB302_10 Depth=1
	s_delay_alu instid0(SALU_CYCLE_1) | instskip(SKIP_2) | instid1(VALU_DEP_1)
	s_or_b32 exec_lo, exec_lo, s6
	v_lshrrev_b32_e32 v8, 16, v5
	s_mov_b32 s6, exec_lo
	v_and_b32_e32 v0, 0xff, v8
	s_delay_alu instid0(VALU_DEP_1)
	v_cmpx_ne_u16_e32 0, v0
	s_cbranch_execz .LBB302_194
; %bb.187:                              ;   in Loop: Header=BB302_10 Depth=1
	v_mov_b32_e32 v71, 0x8000
	s_mov_b32 s7, exec_lo
	v_cmpx_ne_u16_e32 0x80, v0
	s_cbranch_execz .LBB302_193
; %bb.188:                              ;   in Loop: Header=BB302_10 Depth=1
	v_bfe_u32 v6, v5, 16, 7
	v_mov_b32_e32 v71, 0x7c01
	s_mov_b32 s8, exec_lo
	s_delay_alu instid0(VALU_DEP_2)
	v_cmpx_ne_u32_e32 0x7f, v6
	s_cbranch_execz .LBB302_192
; %bb.189:                              ;   in Loop: Header=BB302_10 Depth=1
	v_dual_lshrrev_b32 v1, 3, v6 :: v_dual_bitop2_b32 v0, 7, v8 bitop3:0x40
	s_mov_b32 s11, exec_lo
	v_cmpx_gt_u32_e32 8, v6
; %bb.190:                              ;   in Loop: Header=BB302_10 Depth=1
	s_delay_alu instid0(VALU_DEP_2) | instskip(NEXT) | instid1(VALU_DEP_1)
	v_clz_i32_u32_e32 v0, v0
	v_min_u32_e32 v6, 32, v0
	s_delay_alu instid0(VALU_DEP_1) | instskip(NEXT) | instid1(VALU_DEP_1)
	v_subrev_nc_u32_e32 v0, 28, v6
	v_lshlrev_b64_e32 v[0:1], v0, v[8:9]
	s_delay_alu instid0(VALU_DEP_1)
	v_dual_sub_nc_u32 v1, 29, v6 :: v_dual_bitop2_b32 v0, 7, v0 bitop3:0x40
; %bb.191:                              ;   in Loop: Header=BB302_10 Depth=1
	s_or_b32 exec_lo, exec_lo, s11
	v_lshlrev_b32_e32 v6, 8, v8
	s_delay_alu instid0(VALU_DEP_2) | instskip(NEXT) | instid1(VALU_DEP_3)
	v_lshl_add_u32 v1, v1, 10, 0x2000
	v_lshlrev_b32_e32 v0, 7, v0
	s_delay_alu instid0(VALU_DEP_3) | instskip(NEXT) | instid1(VALU_DEP_3)
	v_and_b32_e32 v6, 0x8000, v6
	v_and_b32_e32 v1, 0xfc00, v1
	s_delay_alu instid0(VALU_DEP_1)
	v_or3_b32 v71, v6, v1, v0
.LBB302_192:                            ;   in Loop: Header=BB302_10 Depth=1
	s_or_b32 exec_lo, exec_lo, s8
.LBB302_193:                            ;   in Loop: Header=BB302_10 Depth=1
	s_delay_alu instid0(SALU_CYCLE_1)
	s_or_b32 exec_lo, exec_lo, s7
.LBB302_194:                            ;   in Loop: Header=BB302_10 Depth=1
	s_delay_alu instid0(SALU_CYCLE_1)
	s_or_b32 exec_lo, exec_lo, s6
	v_dual_mov_b32 v22, 0 :: v_dual_mov_b32 v23, 0
	s_mov_b32 s6, exec_lo
	v_cmpx_lt_u64_e64 s[2:3], v[4:5]
	s_cbranch_execz .LBB302_202
; %bb.195:                              ;   in Loop: Header=BB302_10 Depth=1
	v_lshrrev_b32_e32 v14, 24, v5
	v_bfrev_b32_e32 v23, 1
	s_mov_b32 s7, exec_lo
	s_delay_alu instid0(VALU_DEP_2)
	v_cmpx_ne_u32_e32 0x80, v14
	s_cbranch_execz .LBB302_201
; %bb.196:                              ;   in Loop: Header=BB302_10 Depth=1
	v_and_b32_e32 v4, 0x7f, v14
	v_mov_b32_e32 v23, 0x7c010000
	s_mov_b32 s8, exec_lo
	s_delay_alu instid0(VALU_DEP_2)
	v_cmpx_ne_u32_e32 0x7f, v4
	s_cbranch_execz .LBB302_200
; %bb.197:                              ;   in Loop: Header=BB302_10 Depth=1
	v_dual_lshrrev_b32 v1, 3, v4 :: v_dual_bitop2_b32 v0, 7, v14 bitop3:0x40
	s_mov_b32 s11, exec_lo
	v_cmpx_gt_u32_e32 8, v4
; %bb.198:                              ;   in Loop: Header=BB302_10 Depth=1
	s_delay_alu instid0(VALU_DEP_2) | instskip(NEXT) | instid1(VALU_DEP_1)
	v_clz_i32_u32_e32 v0, v0
	v_min_u32_e32 v4, 32, v0
	s_delay_alu instid0(VALU_DEP_1) | instskip(NEXT) | instid1(VALU_DEP_1)
	v_subrev_nc_u32_e32 v0, 28, v4
	v_lshlrev_b64_e32 v[0:1], v0, v[14:15]
	v_sub_nc_u32_e32 v1, 29, v4
	s_delay_alu instid0(VALU_DEP_2)
	v_and_b32_e32 v0, 7, v0
; %bb.199:                              ;   in Loop: Header=BB302_10 Depth=1
	s_or_b32 exec_lo, exec_lo, s11
	s_delay_alu instid0(VALU_DEP_1) | instskip(NEXT) | instid1(VALU_DEP_3)
	v_dual_lshlrev_b32 v4, 8, v14 :: v_dual_lshlrev_b32 v0, 23, v0
	v_lshl_add_u32 v1, v1, 10, 0x2000
	s_delay_alu instid0(VALU_DEP_1) | instskip(NEXT) | instid1(VALU_DEP_1)
	v_and_or_b32 v1, 0x8000, v4, v1
	v_lshl_or_b32 v23, v1, 16, v0
.LBB302_200:                            ;   in Loop: Header=BB302_10 Depth=1
	s_or_b32 exec_lo, exec_lo, s8
.LBB302_201:                            ;   in Loop: Header=BB302_10 Depth=1
	s_delay_alu instid0(SALU_CYCLE_1)
	s_or_b32 exec_lo, exec_lo, s7
.LBB302_202:                            ;   in Loop: Header=BB302_10 Depth=1
	s_delay_alu instid0(SALU_CYCLE_1)
	s_or_b32 exec_lo, exec_lo, s6
	flat_load_b64 v[4:5], v[2:3] offset:520
	s_mov_b32 s6, exec_lo
	s_wait_loadcnt_dscnt 0x0
	v_and_b32_e32 v0, 0xff, v4
	s_wait_xcnt 0x0
	s_delay_alu instid0(VALU_DEP_1)
	v_cmpx_ne_u16_e32 0, v0
	s_cbranch_execz .LBB302_210
; %bb.203:                              ;   in Loop: Header=BB302_10 Depth=1
	v_mov_b32_e32 v22, 0x8000
	s_mov_b32 s7, exec_lo
	v_cmpx_ne_u16_e32 0x80, v0
	s_cbranch_execz .LBB302_209
; %bb.204:                              ;   in Loop: Header=BB302_10 Depth=1
	v_and_b32_e32 v6, 0x7f, v4
	v_mov_b32_e32 v22, 0x7c01
	s_mov_b32 s8, exec_lo
	s_delay_alu instid0(VALU_DEP_2)
	v_cmpx_ne_u32_e32 0x7f, v6
	s_cbranch_execz .LBB302_208
; %bb.205:                              ;   in Loop: Header=BB302_10 Depth=1
	v_dual_lshrrev_b32 v1, 3, v6 :: v_dual_bitop2_b32 v0, 7, v4 bitop3:0x40
	s_mov_b32 s11, exec_lo
	v_cmpx_gt_u32_e32 8, v6
; %bb.206:                              ;   in Loop: Header=BB302_10 Depth=1
	s_delay_alu instid0(VALU_DEP_2) | instskip(NEXT) | instid1(VALU_DEP_1)
	v_clz_i32_u32_e32 v0, v0
	v_min_u32_e32 v6, 32, v0
	s_delay_alu instid0(VALU_DEP_1) | instskip(NEXT) | instid1(VALU_DEP_1)
	v_subrev_nc_u32_e32 v0, 28, v6
	v_lshlrev_b64_e32 v[0:1], v0, v[4:5]
	s_delay_alu instid0(VALU_DEP_1)
	v_dual_sub_nc_u32 v1, 29, v6 :: v_dual_bitop2_b32 v0, 7, v0 bitop3:0x40
; %bb.207:                              ;   in Loop: Header=BB302_10 Depth=1
	s_or_b32 exec_lo, exec_lo, s11
	v_lshlrev_b32_e32 v6, 8, v4
	s_delay_alu instid0(VALU_DEP_2) | instskip(NEXT) | instid1(VALU_DEP_3)
	v_lshl_add_u32 v1, v1, 10, 0x2000
	v_lshlrev_b32_e32 v0, 7, v0
	s_delay_alu instid0(VALU_DEP_3) | instskip(NEXT) | instid1(VALU_DEP_3)
	v_and_b32_e32 v6, 0x8000, v6
	v_and_b32_e32 v1, 0xfc00, v1
	s_delay_alu instid0(VALU_DEP_1)
	v_or3_b32 v22, v6, v1, v0
.LBB302_208:                            ;   in Loop: Header=BB302_10 Depth=1
	s_or_b32 exec_lo, exec_lo, s8
.LBB302_209:                            ;   in Loop: Header=BB302_10 Depth=1
	s_delay_alu instid0(SALU_CYCLE_1)
	s_or_b32 exec_lo, exec_lo, s7
.LBB302_210:                            ;   in Loop: Header=BB302_10 Depth=1
	s_delay_alu instid0(SALU_CYCLE_1) | instskip(SKIP_3) | instid1(VALU_DEP_2)
	s_or_b32 exec_lo, exec_lo, s6
	v_lshrrev_b16 v14, 8, v4
	v_dual_mov_b32 v84, 0 :: v_dual_mov_b32 v70, 0
	s_mov_b32 s6, exec_lo
	v_cmpx_ne_u16_e32 0, v14
	s_cbranch_execz .LBB302_218
; %bb.211:                              ;   in Loop: Header=BB302_10 Depth=1
	v_bfrev_b32_e32 v70, 1
	s_mov_b32 s7, exec_lo
	v_cmpx_ne_u16_e32 0x80, v14
	s_cbranch_execz .LBB302_217
; %bb.212:                              ;   in Loop: Header=BB302_10 Depth=1
	v_and_b32_e32 v0, 0xffff, v14
	v_mov_b32_e32 v70, 0x7c010000
	s_mov_b32 s8, exec_lo
	s_delay_alu instid0(VALU_DEP_2) | instskip(NEXT) | instid1(VALU_DEP_1)
	v_and_b32_e32 v7, 0x7f, v0
	v_cmpx_ne_u32_e32 0x7f, v7
	s_cbranch_execz .LBB302_216
; %bb.213:                              ;   in Loop: Header=BB302_10 Depth=1
	v_dual_lshrrev_b32 v6, 3, v7 :: v_dual_bitop2_b32 v1, 7, v0 bitop3:0x40
	s_mov_b32 s11, exec_lo
	v_cmpx_gt_u32_e32 8, v7
; %bb.214:                              ;   in Loop: Header=BB302_10 Depth=1
	s_delay_alu instid0(VALU_DEP_2) | instskip(NEXT) | instid1(VALU_DEP_1)
	v_clz_i32_u32_e32 v1, v1
	v_min_u32_e32 v1, 32, v1
	s_delay_alu instid0(VALU_DEP_1) | instskip(NEXT) | instid1(VALU_DEP_1)
	v_subrev_nc_u32_e32 v6, 28, v1
	v_lshlrev_b64_e32 v[8:9], v6, v[14:15]
	s_delay_alu instid0(VALU_DEP_1)
	v_dual_sub_nc_u32 v6, 29, v1 :: v_dual_bitop2_b32 v1, 7, v8 bitop3:0x40
; %bb.215:                              ;   in Loop: Header=BB302_10 Depth=1
	s_or_b32 exec_lo, exec_lo, s11
	s_delay_alu instid0(VALU_DEP_1) | instskip(NEXT) | instid1(VALU_DEP_2)
	v_dual_lshlrev_b32 v0, 8, v0 :: v_dual_lshlrev_b32 v1, 23, v1
	v_lshl_add_u32 v6, v6, 10, 0x2000
	s_delay_alu instid0(VALU_DEP_1) | instskip(NEXT) | instid1(VALU_DEP_1)
	v_and_or_b32 v0, 0x8000, v0, v6
	v_lshl_or_b32 v70, v0, 16, v1
.LBB302_216:                            ;   in Loop: Header=BB302_10 Depth=1
	s_or_b32 exec_lo, exec_lo, s8
.LBB302_217:                            ;   in Loop: Header=BB302_10 Depth=1
	s_delay_alu instid0(SALU_CYCLE_1)
	s_or_b32 exec_lo, exec_lo, s7
.LBB302_218:                            ;   in Loop: Header=BB302_10 Depth=1
	s_delay_alu instid0(SALU_CYCLE_1) | instskip(SKIP_2) | instid1(VALU_DEP_1)
	s_or_b32 exec_lo, exec_lo, s6
	v_lshrrev_b32_e32 v8, 16, v4
	s_mov_b32 s6, exec_lo
	v_and_b32_e32 v0, 0xff, v8
	s_delay_alu instid0(VALU_DEP_1)
	v_cmpx_ne_u16_e32 0, v0
	s_cbranch_execz .LBB302_226
; %bb.219:                              ;   in Loop: Header=BB302_10 Depth=1
	v_mov_b32_e32 v84, 0x8000
	s_mov_b32 s7, exec_lo
	v_cmpx_ne_u16_e32 0x80, v0
	s_cbranch_execz .LBB302_225
; %bb.220:                              ;   in Loop: Header=BB302_10 Depth=1
	v_bfe_u32 v6, v4, 16, 7
	v_mov_b32_e32 v84, 0x7c01
	s_mov_b32 s8, exec_lo
	s_delay_alu instid0(VALU_DEP_2)
	v_cmpx_ne_u32_e32 0x7f, v6
	s_cbranch_execz .LBB302_224
; %bb.221:                              ;   in Loop: Header=BB302_10 Depth=1
	v_dual_lshrrev_b32 v1, 3, v6 :: v_dual_bitop2_b32 v0, 7, v8 bitop3:0x40
	s_mov_b32 s11, exec_lo
	v_cmpx_gt_u32_e32 8, v6
; %bb.222:                              ;   in Loop: Header=BB302_10 Depth=1
	s_delay_alu instid0(VALU_DEP_2) | instskip(NEXT) | instid1(VALU_DEP_1)
	v_clz_i32_u32_e32 v0, v0
	v_min_u32_e32 v6, 32, v0
	s_delay_alu instid0(VALU_DEP_1) | instskip(NEXT) | instid1(VALU_DEP_1)
	v_subrev_nc_u32_e32 v0, 28, v6
	v_lshlrev_b64_e32 v[0:1], v0, v[8:9]
	s_delay_alu instid0(VALU_DEP_1)
	v_dual_sub_nc_u32 v1, 29, v6 :: v_dual_bitop2_b32 v0, 7, v0 bitop3:0x40
; %bb.223:                              ;   in Loop: Header=BB302_10 Depth=1
	s_or_b32 exec_lo, exec_lo, s11
	v_lshlrev_b32_e32 v6, 8, v8
	s_delay_alu instid0(VALU_DEP_2) | instskip(NEXT) | instid1(VALU_DEP_3)
	v_lshl_add_u32 v1, v1, 10, 0x2000
	v_lshlrev_b32_e32 v0, 7, v0
	s_delay_alu instid0(VALU_DEP_3) | instskip(NEXT) | instid1(VALU_DEP_3)
	v_and_b32_e32 v6, 0x8000, v6
	v_and_b32_e32 v1, 0xfc00, v1
	s_delay_alu instid0(VALU_DEP_1)
	v_or3_b32 v84, v6, v1, v0
.LBB302_224:                            ;   in Loop: Header=BB302_10 Depth=1
	s_or_b32 exec_lo, exec_lo, s8
.LBB302_225:                            ;   in Loop: Header=BB302_10 Depth=1
	s_delay_alu instid0(SALU_CYCLE_1)
	s_or_b32 exec_lo, exec_lo, s7
.LBB302_226:                            ;   in Loop: Header=BB302_10 Depth=1
	s_delay_alu instid0(SALU_CYCLE_1)
	s_or_b32 exec_lo, exec_lo, s6
	v_dual_mov_b32 v60, 0 :: v_dual_mov_b32 v85, 0
	s_mov_b32 s6, exec_lo
	v_cmpx_lt_u32_e32 0xffffff, v4
	s_cbranch_execz .LBB302_234
; %bb.227:                              ;   in Loop: Header=BB302_10 Depth=1
	v_lshrrev_b32_e32 v14, 24, v4
	v_bfrev_b32_e32 v85, 1
	s_mov_b32 s7, exec_lo
	s_delay_alu instid0(VALU_DEP_2)
	v_cmpx_ne_u32_e32 0x80, v14
	s_cbranch_execz .LBB302_233
; %bb.228:                              ;   in Loop: Header=BB302_10 Depth=1
	v_and_b32_e32 v6, 0x7f, v14
	v_mov_b32_e32 v85, 0x7c010000
	s_mov_b32 s8, exec_lo
	s_delay_alu instid0(VALU_DEP_2)
	v_cmpx_ne_u32_e32 0x7f, v6
	s_cbranch_execz .LBB302_232
; %bb.229:                              ;   in Loop: Header=BB302_10 Depth=1
	v_and_b32_e32 v0, 7, v14
	v_lshrrev_b32_e32 v1, 3, v6
	s_mov_b32 s11, exec_lo
	v_cmpx_gt_u32_e32 8, v6
; %bb.230:                              ;   in Loop: Header=BB302_10 Depth=1
	s_delay_alu instid0(VALU_DEP_3) | instskip(NEXT) | instid1(VALU_DEP_1)
	v_clz_i32_u32_e32 v0, v0
	v_min_u32_e32 v6, 32, v0
	s_delay_alu instid0(VALU_DEP_1) | instskip(NEXT) | instid1(VALU_DEP_1)
	v_subrev_nc_u32_e32 v0, 28, v6
	v_lshlrev_b64_e32 v[0:1], v0, v[14:15]
	s_delay_alu instid0(VALU_DEP_1)
	v_dual_sub_nc_u32 v1, 29, v6 :: v_dual_bitop2_b32 v0, 7, v0 bitop3:0x40
; %bb.231:                              ;   in Loop: Header=BB302_10 Depth=1
	s_or_b32 exec_lo, exec_lo, s11
	s_delay_alu instid0(VALU_DEP_1) | instskip(NEXT) | instid1(VALU_DEP_2)
	v_dual_lshlrev_b32 v6, 8, v14 :: v_dual_lshlrev_b32 v0, 23, v0
	v_lshl_add_u32 v1, v1, 10, 0x2000
	s_delay_alu instid0(VALU_DEP_1) | instskip(NEXT) | instid1(VALU_DEP_1)
	v_and_or_b32 v1, 0x8000, v6, v1
	v_lshl_or_b32 v85, v1, 16, v0
.LBB302_232:                            ;   in Loop: Header=BB302_10 Depth=1
	s_or_b32 exec_lo, exec_lo, s8
.LBB302_233:                            ;   in Loop: Header=BB302_10 Depth=1
	s_delay_alu instid0(SALU_CYCLE_1)
	s_or_b32 exec_lo, exec_lo, s7
.LBB302_234:                            ;   in Loop: Header=BB302_10 Depth=1
	s_delay_alu instid0(SALU_CYCLE_1) | instskip(SKIP_3) | instid1(VALU_DEP_2)
	s_or_b32 exec_lo, exec_lo, s6
	v_and_b32_e32 v0, 0xff, v5
	v_mov_b32_e32 v14, v5
	s_mov_b32 s6, exec_lo
	v_cmpx_ne_u16_e32 0, v0
	s_cbranch_execz .LBB302_242
; %bb.235:                              ;   in Loop: Header=BB302_10 Depth=1
	v_mov_b32_e32 v60, 0x8000
	s_mov_b32 s7, exec_lo
	v_cmpx_ne_u16_e32 0x80, v0
	s_cbranch_execz .LBB302_241
; %bb.236:                              ;   in Loop: Header=BB302_10 Depth=1
	v_and_b32_e32 v6, 0x7f, v5
	v_mov_b32_e32 v60, 0x7c01
	s_mov_b32 s8, exec_lo
	s_delay_alu instid0(VALU_DEP_2)
	v_cmpx_ne_u32_e32 0x7f, v6
	s_cbranch_execz .LBB302_240
; %bb.237:                              ;   in Loop: Header=BB302_10 Depth=1
	v_dual_lshrrev_b32 v1, 3, v6 :: v_dual_bitop2_b32 v0, 7, v5 bitop3:0x40
	s_mov_b32 s11, exec_lo
	v_cmpx_gt_u32_e32 8, v6
; %bb.238:                              ;   in Loop: Header=BB302_10 Depth=1
	s_delay_alu instid0(VALU_DEP_2) | instskip(NEXT) | instid1(VALU_DEP_1)
	v_clz_i32_u32_e32 v0, v0
	v_min_u32_e32 v6, 32, v0
	s_delay_alu instid0(VALU_DEP_1) | instskip(NEXT) | instid1(VALU_DEP_1)
	v_subrev_nc_u32_e32 v0, 28, v6
	v_lshlrev_b64_e32 v[0:1], v0, v[14:15]
	s_delay_alu instid0(VALU_DEP_1)
	v_dual_sub_nc_u32 v1, 29, v6 :: v_dual_bitop2_b32 v0, 7, v0 bitop3:0x40
; %bb.239:                              ;   in Loop: Header=BB302_10 Depth=1
	s_or_b32 exec_lo, exec_lo, s11
	s_delay_alu instid0(VALU_DEP_1) | instskip(NEXT) | instid1(VALU_DEP_2)
	v_dual_lshlrev_b32 v6, 8, v5 :: v_dual_lshlrev_b32 v0, 7, v0
	v_lshl_add_u32 v1, v1, 10, 0x2000
	s_delay_alu instid0(VALU_DEP_2) | instskip(NEXT) | instid1(VALU_DEP_2)
	v_and_b32_e32 v6, 0x8000, v6
	v_and_b32_e32 v1, 0xfc00, v1
	s_delay_alu instid0(VALU_DEP_1)
	v_or3_b32 v60, v6, v1, v0
.LBB302_240:                            ;   in Loop: Header=BB302_10 Depth=1
	s_or_b32 exec_lo, exec_lo, s8
.LBB302_241:                            ;   in Loop: Header=BB302_10 Depth=1
	s_delay_alu instid0(SALU_CYCLE_1)
	s_or_b32 exec_lo, exec_lo, s7
.LBB302_242:                            ;   in Loop: Header=BB302_10 Depth=1
	s_delay_alu instid0(SALU_CYCLE_1) | instskip(SKIP_3) | instid1(VALU_DEP_2)
	s_or_b32 exec_lo, exec_lo, s6
	v_lshrrev_b16 v14, 8, v14
	v_dual_mov_b32 v126, 0 :: v_dual_mov_b32 v87, 0
	s_mov_b32 s6, exec_lo
	v_cmpx_ne_u16_e32 0, v14
	s_cbranch_execz .LBB302_250
; %bb.243:                              ;   in Loop: Header=BB302_10 Depth=1
	v_bfrev_b32_e32 v87, 1
	s_mov_b32 s7, exec_lo
	v_cmpx_ne_u16_e32 0x80, v14
	s_cbranch_execz .LBB302_249
; %bb.244:                              ;   in Loop: Header=BB302_10 Depth=1
	v_and_b32_e32 v0, 0xffff, v14
	v_mov_b32_e32 v87, 0x7c010000
	s_mov_b32 s8, exec_lo
	s_delay_alu instid0(VALU_DEP_2) | instskip(NEXT) | instid1(VALU_DEP_1)
	v_and_b32_e32 v7, 0x7f, v0
	v_cmpx_ne_u32_e32 0x7f, v7
	s_cbranch_execz .LBB302_248
; %bb.245:                              ;   in Loop: Header=BB302_10 Depth=1
	v_dual_lshrrev_b32 v6, 3, v7 :: v_dual_bitop2_b32 v1, 7, v0 bitop3:0x40
	s_mov_b32 s11, exec_lo
	v_cmpx_gt_u32_e32 8, v7
; %bb.246:                              ;   in Loop: Header=BB302_10 Depth=1
	s_delay_alu instid0(VALU_DEP_2) | instskip(NEXT) | instid1(VALU_DEP_1)
	v_clz_i32_u32_e32 v1, v1
	v_min_u32_e32 v1, 32, v1
	s_delay_alu instid0(VALU_DEP_1) | instskip(NEXT) | instid1(VALU_DEP_1)
	v_subrev_nc_u32_e32 v6, 28, v1
	v_lshlrev_b64_e32 v[8:9], v6, v[14:15]
	s_delay_alu instid0(VALU_DEP_1)
	v_dual_sub_nc_u32 v6, 29, v1 :: v_dual_bitop2_b32 v1, 7, v8 bitop3:0x40
; %bb.247:                              ;   in Loop: Header=BB302_10 Depth=1
	s_or_b32 exec_lo, exec_lo, s11
	s_delay_alu instid0(VALU_DEP_1) | instskip(NEXT) | instid1(VALU_DEP_2)
	v_dual_lshlrev_b32 v0, 8, v0 :: v_dual_lshlrev_b32 v1, 23, v1
	v_lshl_add_u32 v6, v6, 10, 0x2000
	s_delay_alu instid0(VALU_DEP_1) | instskip(NEXT) | instid1(VALU_DEP_1)
	v_and_or_b32 v0, 0x8000, v0, v6
	v_lshl_or_b32 v87, v0, 16, v1
.LBB302_248:                            ;   in Loop: Header=BB302_10 Depth=1
	s_or_b32 exec_lo, exec_lo, s8
.LBB302_249:                            ;   in Loop: Header=BB302_10 Depth=1
	s_delay_alu instid0(SALU_CYCLE_1)
	s_or_b32 exec_lo, exec_lo, s7
.LBB302_250:                            ;   in Loop: Header=BB302_10 Depth=1
	s_delay_alu instid0(SALU_CYCLE_1) | instskip(SKIP_2) | instid1(VALU_DEP_1)
	s_or_b32 exec_lo, exec_lo, s6
	v_lshrrev_b32_e32 v8, 16, v5
	s_mov_b32 s6, exec_lo
	v_and_b32_e32 v0, 0xff, v8
	s_delay_alu instid0(VALU_DEP_1)
	v_cmpx_ne_u16_e32 0, v0
	s_cbranch_execz .LBB302_258
; %bb.251:                              ;   in Loop: Header=BB302_10 Depth=1
	v_mov_b32_e32 v126, 0x8000
	s_mov_b32 s7, exec_lo
	v_cmpx_ne_u16_e32 0x80, v0
	s_cbranch_execz .LBB302_257
; %bb.252:                              ;   in Loop: Header=BB302_10 Depth=1
	v_bfe_u32 v6, v5, 16, 7
	v_mov_b32_e32 v126, 0x7c01
	s_mov_b32 s8, exec_lo
	s_delay_alu instid0(VALU_DEP_2)
	v_cmpx_ne_u32_e32 0x7f, v6
	s_cbranch_execz .LBB302_256
; %bb.253:                              ;   in Loop: Header=BB302_10 Depth=1
	v_dual_lshrrev_b32 v1, 3, v6 :: v_dual_bitop2_b32 v0, 7, v8 bitop3:0x40
	s_mov_b32 s11, exec_lo
	v_cmpx_gt_u32_e32 8, v6
; %bb.254:                              ;   in Loop: Header=BB302_10 Depth=1
	s_delay_alu instid0(VALU_DEP_2) | instskip(NEXT) | instid1(VALU_DEP_1)
	v_clz_i32_u32_e32 v0, v0
	v_min_u32_e32 v6, 32, v0
	s_delay_alu instid0(VALU_DEP_1) | instskip(NEXT) | instid1(VALU_DEP_1)
	v_subrev_nc_u32_e32 v0, 28, v6
	v_lshlrev_b64_e32 v[0:1], v0, v[8:9]
	s_delay_alu instid0(VALU_DEP_1)
	v_dual_sub_nc_u32 v1, 29, v6 :: v_dual_bitop2_b32 v0, 7, v0 bitop3:0x40
; %bb.255:                              ;   in Loop: Header=BB302_10 Depth=1
	s_or_b32 exec_lo, exec_lo, s11
	v_lshlrev_b32_e32 v6, 8, v8
	s_delay_alu instid0(VALU_DEP_2) | instskip(NEXT) | instid1(VALU_DEP_3)
	v_lshl_add_u32 v1, v1, 10, 0x2000
	v_lshlrev_b32_e32 v0, 7, v0
	s_delay_alu instid0(VALU_DEP_3) | instskip(NEXT) | instid1(VALU_DEP_3)
	v_and_b32_e32 v6, 0x8000, v6
	v_and_b32_e32 v1, 0xfc00, v1
	s_delay_alu instid0(VALU_DEP_1)
	v_or3_b32 v126, v6, v1, v0
.LBB302_256:                            ;   in Loop: Header=BB302_10 Depth=1
	s_or_b32 exec_lo, exec_lo, s8
.LBB302_257:                            ;   in Loop: Header=BB302_10 Depth=1
	s_delay_alu instid0(SALU_CYCLE_1)
	s_or_b32 exec_lo, exec_lo, s7
.LBB302_258:                            ;   in Loop: Header=BB302_10 Depth=1
	s_delay_alu instid0(SALU_CYCLE_1)
	s_or_b32 exec_lo, exec_lo, s6
	v_mov_b32_e32 v0, 0
	s_mov_b32 s6, exec_lo
	scratch_store_b32 off, v0, s32 offset:196 ; 4-byte Folded Spill
	s_wait_xcnt 0x0
	v_mov_b32_e32 v0, 0
	scratch_store_b32 off, v0, s32 offset:752 ; 4-byte Folded Spill
	s_wait_xcnt 0x0
	v_cmpx_lt_u64_e64 s[2:3], v[4:5]
	s_cbranch_execz .LBB302_266
; %bb.259:                              ;   in Loop: Header=BB302_10 Depth=1
	v_lshrrev_b32_e32 v14, 24, v5
	v_bfrev_b32_e32 v0, 1
	s_mov_b32 s7, exec_lo
	s_delay_alu instid0(VALU_DEP_2)
	v_cmpx_ne_u32_e32 0x80, v14
	s_cbranch_execz .LBB302_265
; %bb.260:                              ;   in Loop: Header=BB302_10 Depth=1
	v_and_b32_e32 v4, 0x7f, v14
	v_mov_b32_e32 v0, 0x7c010000
	s_mov_b32 s8, exec_lo
	s_delay_alu instid0(VALU_DEP_2)
	v_cmpx_ne_u32_e32 0x7f, v4
	s_cbranch_execz .LBB302_264
; %bb.261:                              ;   in Loop: Header=BB302_10 Depth=1
	v_dual_lshrrev_b32 v1, 3, v4 :: v_dual_bitop2_b32 v0, 7, v14 bitop3:0x40
	s_mov_b32 s11, exec_lo
	v_cmpx_gt_u32_e32 8, v4
; %bb.262:                              ;   in Loop: Header=BB302_10 Depth=1
	s_delay_alu instid0(VALU_DEP_2) | instskip(NEXT) | instid1(VALU_DEP_1)
	v_clz_i32_u32_e32 v0, v0
	v_min_u32_e32 v4, 32, v0
	s_delay_alu instid0(VALU_DEP_1) | instskip(NEXT) | instid1(VALU_DEP_1)
	v_subrev_nc_u32_e32 v0, 28, v4
	v_lshlrev_b64_e32 v[0:1], v0, v[14:15]
	v_sub_nc_u32_e32 v1, 29, v4
	s_delay_alu instid0(VALU_DEP_2)
	v_and_b32_e32 v0, 7, v0
; %bb.263:                              ;   in Loop: Header=BB302_10 Depth=1
	s_or_b32 exec_lo, exec_lo, s11
	s_delay_alu instid0(VALU_DEP_1) | instskip(NEXT) | instid1(VALU_DEP_3)
	v_dual_lshlrev_b32 v4, 8, v14 :: v_dual_lshlrev_b32 v0, 23, v0
	v_lshl_add_u32 v1, v1, 10, 0x2000
	s_delay_alu instid0(VALU_DEP_1) | instskip(NEXT) | instid1(VALU_DEP_1)
	v_and_or_b32 v1, 0x8000, v4, v1
	v_lshl_or_b32 v0, v1, 16, v0
.LBB302_264:                            ;   in Loop: Header=BB302_10 Depth=1
	s_or_b32 exec_lo, exec_lo, s8
.LBB302_265:                            ;   in Loop: Header=BB302_10 Depth=1
	s_delay_alu instid0(SALU_CYCLE_1)
	s_or_b32 exec_lo, exec_lo, s7
	scratch_store_b32 off, v0, s32 offset:752 ; 4-byte Folded Spill
.LBB302_266:                            ;   in Loop: Header=BB302_10 Depth=1
	s_wait_xcnt 0x0
	s_or_b32 exec_lo, exec_lo, s6
	flat_load_b64 v[4:5], v[2:3] offset:1024
	s_mov_b32 s6, exec_lo
	s_wait_loadcnt_dscnt 0x0
	v_and_b32_e32 v0, 0xff, v4
	s_wait_xcnt 0x0
	s_delay_alu instid0(VALU_DEP_1)
	v_cmpx_ne_u16_e32 0, v0
	s_cbranch_execz .LBB302_274
; %bb.267:                              ;   in Loop: Header=BB302_10 Depth=1
	v_cmp_ne_u16_e64 s1, 0x80, v0
	v_mov_b32_e32 v0, 0x8000
	scratch_store_b32 off, v0, s32 offset:196 ; 4-byte Folded Spill
	s_wait_xcnt 0x0
	s_and_saveexec_b32 s7, s1
	s_cbranch_execz .LBB302_273
; %bb.268:                              ;   in Loop: Header=BB302_10 Depth=1
	v_and_b32_e32 v6, 0x7f, v4
	v_mov_b32_e32 v0, 0x7c01
	s_mov_b32 s8, exec_lo
	scratch_store_b32 off, v0, s32 offset:196 ; 4-byte Folded Spill
	s_wait_xcnt 0x0
	v_cmpx_ne_u32_e32 0x7f, v6
	s_cbranch_execz .LBB302_272
; %bb.269:                              ;   in Loop: Header=BB302_10 Depth=1
	v_dual_lshrrev_b32 v1, 3, v6 :: v_dual_bitop2_b32 v0, 7, v4 bitop3:0x40
	s_mov_b32 s11, exec_lo
	v_cmpx_gt_u32_e32 8, v6
; %bb.270:                              ;   in Loop: Header=BB302_10 Depth=1
	s_delay_alu instid0(VALU_DEP_2) | instskip(NEXT) | instid1(VALU_DEP_1)
	v_clz_i32_u32_e32 v0, v0
	v_min_u32_e32 v6, 32, v0
	s_delay_alu instid0(VALU_DEP_1) | instskip(NEXT) | instid1(VALU_DEP_1)
	v_subrev_nc_u32_e32 v0, 28, v6
	v_lshlrev_b64_e32 v[0:1], v0, v[4:5]
	s_delay_alu instid0(VALU_DEP_1)
	v_dual_sub_nc_u32 v1, 29, v6 :: v_dual_bitop2_b32 v0, 7, v0 bitop3:0x40
; %bb.271:                              ;   in Loop: Header=BB302_10 Depth=1
	s_or_b32 exec_lo, exec_lo, s11
	v_lshlrev_b32_e32 v6, 8, v4
	s_delay_alu instid0(VALU_DEP_2) | instskip(NEXT) | instid1(VALU_DEP_3)
	v_lshl_add_u32 v1, v1, 10, 0x2000
	v_lshlrev_b32_e32 v0, 7, v0
	s_delay_alu instid0(VALU_DEP_3) | instskip(NEXT) | instid1(VALU_DEP_3)
	v_and_b32_e32 v6, 0x8000, v6
	v_and_b32_e32 v1, 0xfc00, v1
	s_delay_alu instid0(VALU_DEP_1)
	v_or3_b32 v0, v6, v1, v0
	scratch_store_b32 off, v0, s32 offset:196 ; 4-byte Folded Spill
.LBB302_272:                            ;   in Loop: Header=BB302_10 Depth=1
	s_wait_xcnt 0x0
	s_or_b32 exec_lo, exec_lo, s8
.LBB302_273:                            ;   in Loop: Header=BB302_10 Depth=1
	s_delay_alu instid0(SALU_CYCLE_1)
	s_or_b32 exec_lo, exec_lo, s7
.LBB302_274:                            ;   in Loop: Header=BB302_10 Depth=1
	s_delay_alu instid0(SALU_CYCLE_1)
	s_or_b32 exec_lo, exec_lo, s6
	v_mov_b32_e32 v0, 0
	v_lshrrev_b16 v14, 8, v4
	s_mov_b32 s6, exec_lo
	scratch_store_b32 off, v0, s32 offset:204 ; 4-byte Folded Spill
	s_wait_xcnt 0x0
	v_mov_b32_e32 v0, 0
	scratch_store_b32 off, v0, s32 offset:212 ; 4-byte Folded Spill
	s_wait_xcnt 0x0
	v_cmpx_ne_u16_e32 0, v14
	s_cbranch_execz .LBB302_282
; %bb.275:                              ;   in Loop: Header=BB302_10 Depth=1
	v_bfrev_b32_e32 v0, 1
	s_mov_b32 s7, exec_lo
	scratch_store_b32 off, v0, s32 offset:212 ; 4-byte Folded Spill
	s_wait_xcnt 0x0
	v_cmpx_ne_u16_e32 0x80, v14
	s_cbranch_execz .LBB302_281
; %bb.276:                              ;   in Loop: Header=BB302_10 Depth=1
	v_and_b32_e32 v0, 0xffff, v14
	v_mov_b32_e32 v1, 0x7c010000
	s_mov_b32 s8, exec_lo
	s_delay_alu instid0(VALU_DEP_2)
	v_and_b32_e32 v7, 0x7f, v0
	scratch_store_b32 off, v1, s32 offset:212 ; 4-byte Folded Spill
	s_wait_xcnt 0x0
	v_cmpx_ne_u32_e32 0x7f, v7
	s_cbranch_execz .LBB302_280
; %bb.277:                              ;   in Loop: Header=BB302_10 Depth=1
	v_dual_lshrrev_b32 v6, 3, v7 :: v_dual_bitop2_b32 v1, 7, v0 bitop3:0x40
	s_mov_b32 s11, exec_lo
	v_cmpx_gt_u32_e32 8, v7
; %bb.278:                              ;   in Loop: Header=BB302_10 Depth=1
	s_delay_alu instid0(VALU_DEP_2) | instskip(NEXT) | instid1(VALU_DEP_1)
	v_clz_i32_u32_e32 v1, v1
	v_min_u32_e32 v1, 32, v1
	s_delay_alu instid0(VALU_DEP_1) | instskip(NEXT) | instid1(VALU_DEP_1)
	v_subrev_nc_u32_e32 v6, 28, v1
	v_lshlrev_b64_e32 v[8:9], v6, v[14:15]
	s_delay_alu instid0(VALU_DEP_1)
	v_dual_sub_nc_u32 v6, 29, v1 :: v_dual_bitop2_b32 v1, 7, v8 bitop3:0x40
; %bb.279:                              ;   in Loop: Header=BB302_10 Depth=1
	s_or_b32 exec_lo, exec_lo, s11
	s_delay_alu instid0(VALU_DEP_1) | instskip(NEXT) | instid1(VALU_DEP_2)
	v_dual_lshlrev_b32 v0, 8, v0 :: v_dual_lshlrev_b32 v1, 23, v1
	v_lshl_add_u32 v6, v6, 10, 0x2000
	s_delay_alu instid0(VALU_DEP_1) | instskip(NEXT) | instid1(VALU_DEP_1)
	v_and_or_b32 v0, 0x8000, v0, v6
	v_lshl_or_b32 v0, v0, 16, v1
	scratch_store_b32 off, v0, s32 offset:212 ; 4-byte Folded Spill
.LBB302_280:                            ;   in Loop: Header=BB302_10 Depth=1
	s_wait_xcnt 0x0
	s_or_b32 exec_lo, exec_lo, s8
.LBB302_281:                            ;   in Loop: Header=BB302_10 Depth=1
	s_delay_alu instid0(SALU_CYCLE_1)
	s_or_b32 exec_lo, exec_lo, s7
.LBB302_282:                            ;   in Loop: Header=BB302_10 Depth=1
	s_delay_alu instid0(SALU_CYCLE_1) | instskip(SKIP_2) | instid1(VALU_DEP_1)
	s_or_b32 exec_lo, exec_lo, s6
	v_lshrrev_b32_e32 v8, 16, v4
	s_mov_b32 s6, exec_lo
	v_and_b32_e32 v0, 0xff, v8
	s_delay_alu instid0(VALU_DEP_1)
	v_cmpx_ne_u16_e32 0, v0
	s_cbranch_execz .LBB302_290
; %bb.283:                              ;   in Loop: Header=BB302_10 Depth=1
	v_cmp_ne_u16_e64 s1, 0x80, v0
	v_mov_b32_e32 v0, 0x8000
	scratch_store_b32 off, v0, s32 offset:204 ; 4-byte Folded Spill
	s_wait_xcnt 0x0
	s_and_saveexec_b32 s7, s1
	s_cbranch_execz .LBB302_289
; %bb.284:                              ;   in Loop: Header=BB302_10 Depth=1
	v_bfe_u32 v6, v4, 16, 7
	v_mov_b32_e32 v0, 0x7c01
	s_mov_b32 s8, exec_lo
	scratch_store_b32 off, v0, s32 offset:204 ; 4-byte Folded Spill
	s_wait_xcnt 0x0
	v_cmpx_ne_u32_e32 0x7f, v6
	s_cbranch_execz .LBB302_288
; %bb.285:                              ;   in Loop: Header=BB302_10 Depth=1
	v_dual_lshrrev_b32 v1, 3, v6 :: v_dual_bitop2_b32 v0, 7, v8 bitop3:0x40
	s_mov_b32 s11, exec_lo
	v_cmpx_gt_u32_e32 8, v6
; %bb.286:                              ;   in Loop: Header=BB302_10 Depth=1
	s_delay_alu instid0(VALU_DEP_2) | instskip(NEXT) | instid1(VALU_DEP_1)
	v_clz_i32_u32_e32 v0, v0
	v_min_u32_e32 v6, 32, v0
	s_delay_alu instid0(VALU_DEP_1) | instskip(NEXT) | instid1(VALU_DEP_1)
	v_subrev_nc_u32_e32 v0, 28, v6
	v_lshlrev_b64_e32 v[0:1], v0, v[8:9]
	s_delay_alu instid0(VALU_DEP_1)
	v_dual_sub_nc_u32 v1, 29, v6 :: v_dual_bitop2_b32 v0, 7, v0 bitop3:0x40
; %bb.287:                              ;   in Loop: Header=BB302_10 Depth=1
	s_or_b32 exec_lo, exec_lo, s11
	v_lshlrev_b32_e32 v6, 8, v8
	s_delay_alu instid0(VALU_DEP_2) | instskip(NEXT) | instid1(VALU_DEP_3)
	v_lshl_add_u32 v1, v1, 10, 0x2000
	v_lshlrev_b32_e32 v0, 7, v0
	s_delay_alu instid0(VALU_DEP_3) | instskip(NEXT) | instid1(VALU_DEP_3)
	v_and_b32_e32 v6, 0x8000, v6
	v_and_b32_e32 v1, 0xfc00, v1
	s_delay_alu instid0(VALU_DEP_1)
	v_or3_b32 v0, v6, v1, v0
	scratch_store_b32 off, v0, s32 offset:204 ; 4-byte Folded Spill
.LBB302_288:                            ;   in Loop: Header=BB302_10 Depth=1
	s_wait_xcnt 0x0
	s_or_b32 exec_lo, exec_lo, s8
.LBB302_289:                            ;   in Loop: Header=BB302_10 Depth=1
	s_delay_alu instid0(SALU_CYCLE_1)
	s_or_b32 exec_lo, exec_lo, s7
.LBB302_290:                            ;   in Loop: Header=BB302_10 Depth=1
	s_delay_alu instid0(SALU_CYCLE_1)
	s_or_b32 exec_lo, exec_lo, s6
	v_mov_b32_e32 v0, 0
	s_mov_b32 s6, exec_lo
	scratch_store_b32 off, v0, s32 offset:216 ; 4-byte Folded Spill
	s_wait_xcnt 0x0
	v_mov_b32_e32 v0, 0
	scratch_store_b32 off, v0, s32 offset:220 ; 4-byte Folded Spill
	s_wait_xcnt 0x0
	v_cmpx_lt_u32_e32 0xffffff, v4
	s_cbranch_execz .LBB302_298
; %bb.291:                              ;   in Loop: Header=BB302_10 Depth=1
	v_lshrrev_b32_e32 v14, 24, v4
	v_bfrev_b32_e32 v0, 1
	s_mov_b32 s7, exec_lo
	scratch_store_b32 off, v0, s32 offset:220 ; 4-byte Folded Spill
	s_wait_xcnt 0x0
	v_cmpx_ne_u32_e32 0x80, v14
	s_cbranch_execz .LBB302_297
; %bb.292:                              ;   in Loop: Header=BB302_10 Depth=1
	v_and_b32_e32 v6, 0x7f, v14
	v_mov_b32_e32 v0, 0x7c010000
	s_mov_b32 s8, exec_lo
	scratch_store_b32 off, v0, s32 offset:220 ; 4-byte Folded Spill
	s_wait_xcnt 0x0
	v_cmpx_ne_u32_e32 0x7f, v6
	s_cbranch_execz .LBB302_296
; %bb.293:                              ;   in Loop: Header=BB302_10 Depth=1
	v_and_b32_e32 v0, 7, v14
	v_lshrrev_b32_e32 v1, 3, v6
	s_mov_b32 s11, exec_lo
	v_cmpx_gt_u32_e32 8, v6
; %bb.294:                              ;   in Loop: Header=BB302_10 Depth=1
	s_delay_alu instid0(VALU_DEP_3) | instskip(NEXT) | instid1(VALU_DEP_1)
	v_clz_i32_u32_e32 v0, v0
	v_min_u32_e32 v6, 32, v0
	s_delay_alu instid0(VALU_DEP_1) | instskip(NEXT) | instid1(VALU_DEP_1)
	v_subrev_nc_u32_e32 v0, 28, v6
	v_lshlrev_b64_e32 v[0:1], v0, v[14:15]
	s_delay_alu instid0(VALU_DEP_1)
	v_dual_sub_nc_u32 v1, 29, v6 :: v_dual_bitop2_b32 v0, 7, v0 bitop3:0x40
; %bb.295:                              ;   in Loop: Header=BB302_10 Depth=1
	s_or_b32 exec_lo, exec_lo, s11
	s_delay_alu instid0(VALU_DEP_1) | instskip(NEXT) | instid1(VALU_DEP_2)
	v_dual_lshlrev_b32 v6, 8, v14 :: v_dual_lshlrev_b32 v0, 23, v0
	v_lshl_add_u32 v1, v1, 10, 0x2000
	s_delay_alu instid0(VALU_DEP_1) | instskip(NEXT) | instid1(VALU_DEP_1)
	v_and_or_b32 v1, 0x8000, v6, v1
	v_lshl_or_b32 v0, v1, 16, v0
	scratch_store_b32 off, v0, s32 offset:220 ; 4-byte Folded Spill
.LBB302_296:                            ;   in Loop: Header=BB302_10 Depth=1
	s_wait_xcnt 0x0
	s_or_b32 exec_lo, exec_lo, s8
.LBB302_297:                            ;   in Loop: Header=BB302_10 Depth=1
	s_delay_alu instid0(SALU_CYCLE_1)
	s_or_b32 exec_lo, exec_lo, s7
.LBB302_298:                            ;   in Loop: Header=BB302_10 Depth=1
	s_delay_alu instid0(SALU_CYCLE_1) | instskip(SKIP_3) | instid1(VALU_DEP_2)
	s_or_b32 exec_lo, exec_lo, s6
	v_and_b32_e32 v0, 0xff, v5
	v_mov_b32_e32 v14, v5
	s_mov_b32 s6, exec_lo
	v_cmpx_ne_u16_e32 0, v0
	s_cbranch_execz .LBB302_306
; %bb.299:                              ;   in Loop: Header=BB302_10 Depth=1
	v_cmp_ne_u16_e64 s1, 0x80, v0
	v_mov_b32_e32 v0, 0x8000
	scratch_store_b32 off, v0, s32 offset:216 ; 4-byte Folded Spill
	s_wait_xcnt 0x0
	s_and_saveexec_b32 s7, s1
	s_cbranch_execz .LBB302_305
; %bb.300:                              ;   in Loop: Header=BB302_10 Depth=1
	v_and_b32_e32 v6, 0x7f, v5
	v_mov_b32_e32 v0, 0x7c01
	s_mov_b32 s8, exec_lo
	scratch_store_b32 off, v0, s32 offset:216 ; 4-byte Folded Spill
	s_wait_xcnt 0x0
	v_cmpx_ne_u32_e32 0x7f, v6
	s_cbranch_execz .LBB302_304
; %bb.301:                              ;   in Loop: Header=BB302_10 Depth=1
	v_dual_lshrrev_b32 v1, 3, v6 :: v_dual_bitop2_b32 v0, 7, v5 bitop3:0x40
	s_mov_b32 s11, exec_lo
	v_cmpx_gt_u32_e32 8, v6
; %bb.302:                              ;   in Loop: Header=BB302_10 Depth=1
	s_delay_alu instid0(VALU_DEP_2) | instskip(NEXT) | instid1(VALU_DEP_1)
	v_clz_i32_u32_e32 v0, v0
	v_min_u32_e32 v6, 32, v0
	s_delay_alu instid0(VALU_DEP_1) | instskip(NEXT) | instid1(VALU_DEP_1)
	v_subrev_nc_u32_e32 v0, 28, v6
	v_lshlrev_b64_e32 v[0:1], v0, v[14:15]
	s_delay_alu instid0(VALU_DEP_1)
	v_dual_sub_nc_u32 v1, 29, v6 :: v_dual_bitop2_b32 v0, 7, v0 bitop3:0x40
; %bb.303:                              ;   in Loop: Header=BB302_10 Depth=1
	s_or_b32 exec_lo, exec_lo, s11
	s_delay_alu instid0(VALU_DEP_1) | instskip(NEXT) | instid1(VALU_DEP_2)
	v_dual_lshlrev_b32 v6, 8, v5 :: v_dual_lshlrev_b32 v0, 7, v0
	v_lshl_add_u32 v1, v1, 10, 0x2000
	s_delay_alu instid0(VALU_DEP_2) | instskip(NEXT) | instid1(VALU_DEP_2)
	v_and_b32_e32 v6, 0x8000, v6
	v_and_b32_e32 v1, 0xfc00, v1
	s_delay_alu instid0(VALU_DEP_1)
	v_or3_b32 v0, v6, v1, v0
	scratch_store_b32 off, v0, s32 offset:216 ; 4-byte Folded Spill
.LBB302_304:                            ;   in Loop: Header=BB302_10 Depth=1
	s_wait_xcnt 0x0
	s_or_b32 exec_lo, exec_lo, s8
.LBB302_305:                            ;   in Loop: Header=BB302_10 Depth=1
	s_delay_alu instid0(SALU_CYCLE_1)
	s_or_b32 exec_lo, exec_lo, s7
.LBB302_306:                            ;   in Loop: Header=BB302_10 Depth=1
	s_delay_alu instid0(SALU_CYCLE_1)
	s_or_b32 exec_lo, exec_lo, s6
	v_mov_b32_e32 v0, 0
	v_lshrrev_b16 v14, 8, v14
	s_mov_b32 s6, exec_lo
	scratch_store_b32 off, v0, s32 offset:224 ; 4-byte Folded Spill
	s_wait_xcnt 0x0
	v_mov_b32_e32 v0, 0
	scratch_store_b32 off, v0, s32 offset:228 ; 4-byte Folded Spill
	s_wait_xcnt 0x0
	v_cmpx_ne_u16_e32 0, v14
	s_cbranch_execz .LBB302_314
; %bb.307:                              ;   in Loop: Header=BB302_10 Depth=1
	v_bfrev_b32_e32 v0, 1
	s_mov_b32 s7, exec_lo
	scratch_store_b32 off, v0, s32 offset:228 ; 4-byte Folded Spill
	s_wait_xcnt 0x0
	v_cmpx_ne_u16_e32 0x80, v14
	s_cbranch_execz .LBB302_313
; %bb.308:                              ;   in Loop: Header=BB302_10 Depth=1
	v_and_b32_e32 v0, 0xffff, v14
	v_mov_b32_e32 v1, 0x7c010000
	s_mov_b32 s8, exec_lo
	s_delay_alu instid0(VALU_DEP_2)
	v_and_b32_e32 v7, 0x7f, v0
	scratch_store_b32 off, v1, s32 offset:228 ; 4-byte Folded Spill
	s_wait_xcnt 0x0
	v_cmpx_ne_u32_e32 0x7f, v7
	s_cbranch_execz .LBB302_312
; %bb.309:                              ;   in Loop: Header=BB302_10 Depth=1
	v_dual_lshrrev_b32 v6, 3, v7 :: v_dual_bitop2_b32 v1, 7, v0 bitop3:0x40
	s_mov_b32 s11, exec_lo
	v_cmpx_gt_u32_e32 8, v7
; %bb.310:                              ;   in Loop: Header=BB302_10 Depth=1
	s_delay_alu instid0(VALU_DEP_2) | instskip(NEXT) | instid1(VALU_DEP_1)
	v_clz_i32_u32_e32 v1, v1
	v_min_u32_e32 v1, 32, v1
	s_delay_alu instid0(VALU_DEP_1) | instskip(NEXT) | instid1(VALU_DEP_1)
	v_subrev_nc_u32_e32 v6, 28, v1
	v_lshlrev_b64_e32 v[8:9], v6, v[14:15]
	s_delay_alu instid0(VALU_DEP_1)
	v_dual_sub_nc_u32 v6, 29, v1 :: v_dual_bitop2_b32 v1, 7, v8 bitop3:0x40
; %bb.311:                              ;   in Loop: Header=BB302_10 Depth=1
	s_or_b32 exec_lo, exec_lo, s11
	s_delay_alu instid0(VALU_DEP_1) | instskip(NEXT) | instid1(VALU_DEP_2)
	v_dual_lshlrev_b32 v0, 8, v0 :: v_dual_lshlrev_b32 v1, 23, v1
	v_lshl_add_u32 v6, v6, 10, 0x2000
	s_delay_alu instid0(VALU_DEP_1) | instskip(NEXT) | instid1(VALU_DEP_1)
	v_and_or_b32 v0, 0x8000, v0, v6
	v_lshl_or_b32 v0, v0, 16, v1
	scratch_store_b32 off, v0, s32 offset:228 ; 4-byte Folded Spill
.LBB302_312:                            ;   in Loop: Header=BB302_10 Depth=1
	s_wait_xcnt 0x0
	s_or_b32 exec_lo, exec_lo, s8
.LBB302_313:                            ;   in Loop: Header=BB302_10 Depth=1
	s_delay_alu instid0(SALU_CYCLE_1)
	s_or_b32 exec_lo, exec_lo, s7
.LBB302_314:                            ;   in Loop: Header=BB302_10 Depth=1
	s_delay_alu instid0(SALU_CYCLE_1) | instskip(SKIP_2) | instid1(VALU_DEP_1)
	s_or_b32 exec_lo, exec_lo, s6
	v_lshrrev_b32_e32 v8, 16, v5
	s_mov_b32 s6, exec_lo
	v_and_b32_e32 v0, 0xff, v8
	s_delay_alu instid0(VALU_DEP_1)
	v_cmpx_ne_u16_e32 0, v0
	s_cbranch_execz .LBB302_322
; %bb.315:                              ;   in Loop: Header=BB302_10 Depth=1
	v_cmp_ne_u16_e64 s1, 0x80, v0
	v_mov_b32_e32 v0, 0x8000
	scratch_store_b32 off, v0, s32 offset:224 ; 4-byte Folded Spill
	s_wait_xcnt 0x0
	s_and_saveexec_b32 s7, s1
	s_cbranch_execz .LBB302_321
; %bb.316:                              ;   in Loop: Header=BB302_10 Depth=1
	v_bfe_u32 v6, v5, 16, 7
	v_mov_b32_e32 v0, 0x7c01
	s_mov_b32 s8, exec_lo
	scratch_store_b32 off, v0, s32 offset:224 ; 4-byte Folded Spill
	s_wait_xcnt 0x0
	v_cmpx_ne_u32_e32 0x7f, v6
	s_cbranch_execz .LBB302_320
; %bb.317:                              ;   in Loop: Header=BB302_10 Depth=1
	v_dual_lshrrev_b32 v1, 3, v6 :: v_dual_bitop2_b32 v0, 7, v8 bitop3:0x40
	s_mov_b32 s11, exec_lo
	v_cmpx_gt_u32_e32 8, v6
; %bb.318:                              ;   in Loop: Header=BB302_10 Depth=1
	s_delay_alu instid0(VALU_DEP_2) | instskip(NEXT) | instid1(VALU_DEP_1)
	v_clz_i32_u32_e32 v0, v0
	v_min_u32_e32 v6, 32, v0
	s_delay_alu instid0(VALU_DEP_1) | instskip(NEXT) | instid1(VALU_DEP_1)
	v_subrev_nc_u32_e32 v0, 28, v6
	v_lshlrev_b64_e32 v[0:1], v0, v[8:9]
	s_delay_alu instid0(VALU_DEP_1)
	v_dual_sub_nc_u32 v1, 29, v6 :: v_dual_bitop2_b32 v0, 7, v0 bitop3:0x40
; %bb.319:                              ;   in Loop: Header=BB302_10 Depth=1
	s_or_b32 exec_lo, exec_lo, s11
	v_lshlrev_b32_e32 v6, 8, v8
	s_delay_alu instid0(VALU_DEP_2) | instskip(NEXT) | instid1(VALU_DEP_3)
	v_lshl_add_u32 v1, v1, 10, 0x2000
	v_lshlrev_b32_e32 v0, 7, v0
	s_delay_alu instid0(VALU_DEP_3) | instskip(NEXT) | instid1(VALU_DEP_3)
	v_and_b32_e32 v6, 0x8000, v6
	v_and_b32_e32 v1, 0xfc00, v1
	s_delay_alu instid0(VALU_DEP_1)
	v_or3_b32 v0, v6, v1, v0
	scratch_store_b32 off, v0, s32 offset:224 ; 4-byte Folded Spill
.LBB302_320:                            ;   in Loop: Header=BB302_10 Depth=1
	s_wait_xcnt 0x0
	s_or_b32 exec_lo, exec_lo, s8
.LBB302_321:                            ;   in Loop: Header=BB302_10 Depth=1
	s_delay_alu instid0(SALU_CYCLE_1)
	s_or_b32 exec_lo, exec_lo, s7
.LBB302_322:                            ;   in Loop: Header=BB302_10 Depth=1
	s_delay_alu instid0(SALU_CYCLE_1)
	s_or_b32 exec_lo, exec_lo, s6
	v_mov_b32_e32 v0, 0
	s_mov_b32 s6, exec_lo
	scratch_store_b32 off, v0, s32 offset:232 ; 4-byte Folded Spill
	s_wait_xcnt 0x0
	v_mov_b32_e32 v0, 0
	scratch_store_b32 off, v0, s32 offset:756 ; 4-byte Folded Spill
	s_wait_xcnt 0x0
	v_cmpx_lt_u64_e64 s[2:3], v[4:5]
	s_cbranch_execz .LBB302_330
; %bb.323:                              ;   in Loop: Header=BB302_10 Depth=1
	v_lshrrev_b32_e32 v14, 24, v5
	v_bfrev_b32_e32 v0, 1
	s_mov_b32 s7, exec_lo
	s_delay_alu instid0(VALU_DEP_2)
	v_cmpx_ne_u32_e32 0x80, v14
	s_cbranch_execz .LBB302_329
; %bb.324:                              ;   in Loop: Header=BB302_10 Depth=1
	v_and_b32_e32 v4, 0x7f, v14
	v_mov_b32_e32 v0, 0x7c010000
	s_mov_b32 s8, exec_lo
	s_delay_alu instid0(VALU_DEP_2)
	v_cmpx_ne_u32_e32 0x7f, v4
	s_cbranch_execz .LBB302_328
; %bb.325:                              ;   in Loop: Header=BB302_10 Depth=1
	v_dual_lshrrev_b32 v1, 3, v4 :: v_dual_bitop2_b32 v0, 7, v14 bitop3:0x40
	s_mov_b32 s11, exec_lo
	v_cmpx_gt_u32_e32 8, v4
; %bb.326:                              ;   in Loop: Header=BB302_10 Depth=1
	s_delay_alu instid0(VALU_DEP_2) | instskip(NEXT) | instid1(VALU_DEP_1)
	v_clz_i32_u32_e32 v0, v0
	v_min_u32_e32 v4, 32, v0
	s_delay_alu instid0(VALU_DEP_1) | instskip(NEXT) | instid1(VALU_DEP_1)
	v_subrev_nc_u32_e32 v0, 28, v4
	v_lshlrev_b64_e32 v[0:1], v0, v[14:15]
	v_sub_nc_u32_e32 v1, 29, v4
	s_delay_alu instid0(VALU_DEP_2)
	v_and_b32_e32 v0, 7, v0
; %bb.327:                              ;   in Loop: Header=BB302_10 Depth=1
	s_or_b32 exec_lo, exec_lo, s11
	s_delay_alu instid0(VALU_DEP_1) | instskip(NEXT) | instid1(VALU_DEP_3)
	v_dual_lshlrev_b32 v4, 8, v14 :: v_dual_lshlrev_b32 v0, 23, v0
	v_lshl_add_u32 v1, v1, 10, 0x2000
	s_delay_alu instid0(VALU_DEP_1) | instskip(NEXT) | instid1(VALU_DEP_1)
	v_and_or_b32 v1, 0x8000, v4, v1
	v_lshl_or_b32 v0, v1, 16, v0
.LBB302_328:                            ;   in Loop: Header=BB302_10 Depth=1
	s_or_b32 exec_lo, exec_lo, s8
.LBB302_329:                            ;   in Loop: Header=BB302_10 Depth=1
	s_delay_alu instid0(SALU_CYCLE_1)
	s_or_b32 exec_lo, exec_lo, s7
	scratch_store_b32 off, v0, s32 offset:756 ; 4-byte Folded Spill
.LBB302_330:                            ;   in Loop: Header=BB302_10 Depth=1
	s_wait_xcnt 0x0
	s_or_b32 exec_lo, exec_lo, s6
	flat_load_b64 v[4:5], v[2:3] offset:1032
	s_mov_b32 s6, exec_lo
	s_wait_loadcnt_dscnt 0x0
	v_and_b32_e32 v0, 0xff, v4
	s_wait_xcnt 0x0
	s_delay_alu instid0(VALU_DEP_1)
	v_cmpx_ne_u16_e32 0, v0
	s_cbranch_execz .LBB302_338
; %bb.331:                              ;   in Loop: Header=BB302_10 Depth=1
	v_cmp_ne_u16_e64 s1, 0x80, v0
	v_mov_b32_e32 v0, 0x8000
	scratch_store_b32 off, v0, s32 offset:232 ; 4-byte Folded Spill
	s_wait_xcnt 0x0
	s_and_saveexec_b32 s7, s1
	s_cbranch_execz .LBB302_337
; %bb.332:                              ;   in Loop: Header=BB302_10 Depth=1
	v_and_b32_e32 v6, 0x7f, v4
	v_mov_b32_e32 v0, 0x7c01
	s_mov_b32 s8, exec_lo
	scratch_store_b32 off, v0, s32 offset:232 ; 4-byte Folded Spill
	s_wait_xcnt 0x0
	v_cmpx_ne_u32_e32 0x7f, v6
	s_cbranch_execz .LBB302_336
; %bb.333:                              ;   in Loop: Header=BB302_10 Depth=1
	v_dual_lshrrev_b32 v1, 3, v6 :: v_dual_bitop2_b32 v0, 7, v4 bitop3:0x40
	s_mov_b32 s11, exec_lo
	v_cmpx_gt_u32_e32 8, v6
; %bb.334:                              ;   in Loop: Header=BB302_10 Depth=1
	s_delay_alu instid0(VALU_DEP_2) | instskip(NEXT) | instid1(VALU_DEP_1)
	v_clz_i32_u32_e32 v0, v0
	v_min_u32_e32 v6, 32, v0
	s_delay_alu instid0(VALU_DEP_1) | instskip(NEXT) | instid1(VALU_DEP_1)
	v_subrev_nc_u32_e32 v0, 28, v6
	v_lshlrev_b64_e32 v[0:1], v0, v[4:5]
	s_delay_alu instid0(VALU_DEP_1)
	v_dual_sub_nc_u32 v1, 29, v6 :: v_dual_bitop2_b32 v0, 7, v0 bitop3:0x40
; %bb.335:                              ;   in Loop: Header=BB302_10 Depth=1
	s_or_b32 exec_lo, exec_lo, s11
	v_lshlrev_b32_e32 v6, 8, v4
	s_delay_alu instid0(VALU_DEP_2) | instskip(NEXT) | instid1(VALU_DEP_3)
	v_lshl_add_u32 v1, v1, 10, 0x2000
	v_lshlrev_b32_e32 v0, 7, v0
	s_delay_alu instid0(VALU_DEP_3) | instskip(NEXT) | instid1(VALU_DEP_3)
	v_and_b32_e32 v6, 0x8000, v6
	v_and_b32_e32 v1, 0xfc00, v1
	s_delay_alu instid0(VALU_DEP_1)
	v_or3_b32 v0, v6, v1, v0
	scratch_store_b32 off, v0, s32 offset:232 ; 4-byte Folded Spill
.LBB302_336:                            ;   in Loop: Header=BB302_10 Depth=1
	s_wait_xcnt 0x0
	s_or_b32 exec_lo, exec_lo, s8
.LBB302_337:                            ;   in Loop: Header=BB302_10 Depth=1
	s_delay_alu instid0(SALU_CYCLE_1)
	s_or_b32 exec_lo, exec_lo, s7
.LBB302_338:                            ;   in Loop: Header=BB302_10 Depth=1
	s_delay_alu instid0(SALU_CYCLE_1)
	s_or_b32 exec_lo, exec_lo, s6
	v_mov_b32_e32 v0, 0
	v_lshrrev_b16 v14, 8, v4
	s_mov_b32 s6, exec_lo
	scratch_store_b32 off, v0, s32 offset:236 ; 4-byte Folded Spill
	s_wait_xcnt 0x0
	v_mov_b32_e32 v0, 0
	scratch_store_b32 off, v0, s32 offset:240 ; 4-byte Folded Spill
	s_wait_xcnt 0x0
	v_cmpx_ne_u16_e32 0, v14
	s_cbranch_execz .LBB302_346
; %bb.339:                              ;   in Loop: Header=BB302_10 Depth=1
	v_bfrev_b32_e32 v0, 1
	s_mov_b32 s7, exec_lo
	scratch_store_b32 off, v0, s32 offset:240 ; 4-byte Folded Spill
	s_wait_xcnt 0x0
	v_cmpx_ne_u16_e32 0x80, v14
	s_cbranch_execz .LBB302_345
; %bb.340:                              ;   in Loop: Header=BB302_10 Depth=1
	v_and_b32_e32 v0, 0xffff, v14
	v_mov_b32_e32 v1, 0x7c010000
	s_mov_b32 s8, exec_lo
	s_delay_alu instid0(VALU_DEP_2)
	v_and_b32_e32 v7, 0x7f, v0
	scratch_store_b32 off, v1, s32 offset:240 ; 4-byte Folded Spill
	s_wait_xcnt 0x0
	v_cmpx_ne_u32_e32 0x7f, v7
	s_cbranch_execz .LBB302_344
; %bb.341:                              ;   in Loop: Header=BB302_10 Depth=1
	v_dual_lshrrev_b32 v6, 3, v7 :: v_dual_bitop2_b32 v1, 7, v0 bitop3:0x40
	s_mov_b32 s11, exec_lo
	v_cmpx_gt_u32_e32 8, v7
; %bb.342:                              ;   in Loop: Header=BB302_10 Depth=1
	s_delay_alu instid0(VALU_DEP_2) | instskip(NEXT) | instid1(VALU_DEP_1)
	v_clz_i32_u32_e32 v1, v1
	v_min_u32_e32 v1, 32, v1
	s_delay_alu instid0(VALU_DEP_1) | instskip(NEXT) | instid1(VALU_DEP_1)
	v_subrev_nc_u32_e32 v6, 28, v1
	v_lshlrev_b64_e32 v[8:9], v6, v[14:15]
	s_delay_alu instid0(VALU_DEP_1)
	v_dual_sub_nc_u32 v6, 29, v1 :: v_dual_bitop2_b32 v1, 7, v8 bitop3:0x40
; %bb.343:                              ;   in Loop: Header=BB302_10 Depth=1
	s_or_b32 exec_lo, exec_lo, s11
	s_delay_alu instid0(VALU_DEP_1) | instskip(NEXT) | instid1(VALU_DEP_2)
	v_dual_lshlrev_b32 v0, 8, v0 :: v_dual_lshlrev_b32 v1, 23, v1
	v_lshl_add_u32 v6, v6, 10, 0x2000
	s_delay_alu instid0(VALU_DEP_1) | instskip(NEXT) | instid1(VALU_DEP_1)
	v_and_or_b32 v0, 0x8000, v0, v6
	v_lshl_or_b32 v0, v0, 16, v1
	scratch_store_b32 off, v0, s32 offset:240 ; 4-byte Folded Spill
.LBB302_344:                            ;   in Loop: Header=BB302_10 Depth=1
	s_wait_xcnt 0x0
	s_or_b32 exec_lo, exec_lo, s8
.LBB302_345:                            ;   in Loop: Header=BB302_10 Depth=1
	s_delay_alu instid0(SALU_CYCLE_1)
	s_or_b32 exec_lo, exec_lo, s7
.LBB302_346:                            ;   in Loop: Header=BB302_10 Depth=1
	s_delay_alu instid0(SALU_CYCLE_1) | instskip(SKIP_2) | instid1(VALU_DEP_1)
	s_or_b32 exec_lo, exec_lo, s6
	v_lshrrev_b32_e32 v8, 16, v4
	s_mov_b32 s6, exec_lo
	v_and_b32_e32 v0, 0xff, v8
	s_delay_alu instid0(VALU_DEP_1)
	v_cmpx_ne_u16_e32 0, v0
	s_cbranch_execz .LBB302_354
; %bb.347:                              ;   in Loop: Header=BB302_10 Depth=1
	v_cmp_ne_u16_e64 s1, 0x80, v0
	v_mov_b32_e32 v0, 0x8000
	scratch_store_b32 off, v0, s32 offset:236 ; 4-byte Folded Spill
	s_wait_xcnt 0x0
	s_and_saveexec_b32 s7, s1
	s_cbranch_execz .LBB302_353
; %bb.348:                              ;   in Loop: Header=BB302_10 Depth=1
	v_bfe_u32 v6, v4, 16, 7
	v_mov_b32_e32 v0, 0x7c01
	s_mov_b32 s8, exec_lo
	scratch_store_b32 off, v0, s32 offset:236 ; 4-byte Folded Spill
	s_wait_xcnt 0x0
	v_cmpx_ne_u32_e32 0x7f, v6
	s_cbranch_execz .LBB302_352
; %bb.349:                              ;   in Loop: Header=BB302_10 Depth=1
	v_dual_lshrrev_b32 v1, 3, v6 :: v_dual_bitop2_b32 v0, 7, v8 bitop3:0x40
	s_mov_b32 s11, exec_lo
	v_cmpx_gt_u32_e32 8, v6
; %bb.350:                              ;   in Loop: Header=BB302_10 Depth=1
	s_delay_alu instid0(VALU_DEP_2) | instskip(NEXT) | instid1(VALU_DEP_1)
	v_clz_i32_u32_e32 v0, v0
	v_min_u32_e32 v6, 32, v0
	s_delay_alu instid0(VALU_DEP_1) | instskip(NEXT) | instid1(VALU_DEP_1)
	v_subrev_nc_u32_e32 v0, 28, v6
	v_lshlrev_b64_e32 v[0:1], v0, v[8:9]
	s_delay_alu instid0(VALU_DEP_1)
	v_dual_sub_nc_u32 v1, 29, v6 :: v_dual_bitop2_b32 v0, 7, v0 bitop3:0x40
; %bb.351:                              ;   in Loop: Header=BB302_10 Depth=1
	s_or_b32 exec_lo, exec_lo, s11
	v_lshlrev_b32_e32 v6, 8, v8
	s_delay_alu instid0(VALU_DEP_2) | instskip(NEXT) | instid1(VALU_DEP_3)
	v_lshl_add_u32 v1, v1, 10, 0x2000
	v_lshlrev_b32_e32 v0, 7, v0
	s_delay_alu instid0(VALU_DEP_3) | instskip(NEXT) | instid1(VALU_DEP_3)
	v_and_b32_e32 v6, 0x8000, v6
	v_and_b32_e32 v1, 0xfc00, v1
	s_delay_alu instid0(VALU_DEP_1)
	v_or3_b32 v0, v6, v1, v0
	scratch_store_b32 off, v0, s32 offset:236 ; 4-byte Folded Spill
.LBB302_352:                            ;   in Loop: Header=BB302_10 Depth=1
	s_wait_xcnt 0x0
	s_or_b32 exec_lo, exec_lo, s8
.LBB302_353:                            ;   in Loop: Header=BB302_10 Depth=1
	s_delay_alu instid0(SALU_CYCLE_1)
	s_or_b32 exec_lo, exec_lo, s7
.LBB302_354:                            ;   in Loop: Header=BB302_10 Depth=1
	s_delay_alu instid0(SALU_CYCLE_1)
	s_or_b32 exec_lo, exec_lo, s6
	v_mov_b32_e32 v0, 0
	s_mov_b32 s6, exec_lo
	scratch_store_b32 off, v0, s32 offset:244 ; 4-byte Folded Spill
	s_wait_xcnt 0x0
	v_mov_b32_e32 v0, 0
	scratch_store_b32 off, v0, s32 offset:248 ; 4-byte Folded Spill
	s_wait_xcnt 0x0
	v_cmpx_lt_u32_e32 0xffffff, v4
	s_cbranch_execz .LBB302_362
; %bb.355:                              ;   in Loop: Header=BB302_10 Depth=1
	v_lshrrev_b32_e32 v14, 24, v4
	v_bfrev_b32_e32 v0, 1
	s_mov_b32 s7, exec_lo
	scratch_store_b32 off, v0, s32 offset:248 ; 4-byte Folded Spill
	s_wait_xcnt 0x0
	v_cmpx_ne_u32_e32 0x80, v14
	s_cbranch_execz .LBB302_361
; %bb.356:                              ;   in Loop: Header=BB302_10 Depth=1
	v_and_b32_e32 v6, 0x7f, v14
	v_mov_b32_e32 v0, 0x7c010000
	s_mov_b32 s8, exec_lo
	scratch_store_b32 off, v0, s32 offset:248 ; 4-byte Folded Spill
	s_wait_xcnt 0x0
	v_cmpx_ne_u32_e32 0x7f, v6
	s_cbranch_execz .LBB302_360
; %bb.357:                              ;   in Loop: Header=BB302_10 Depth=1
	v_and_b32_e32 v0, 7, v14
	v_lshrrev_b32_e32 v1, 3, v6
	s_mov_b32 s11, exec_lo
	v_cmpx_gt_u32_e32 8, v6
; %bb.358:                              ;   in Loop: Header=BB302_10 Depth=1
	s_delay_alu instid0(VALU_DEP_3) | instskip(NEXT) | instid1(VALU_DEP_1)
	v_clz_i32_u32_e32 v0, v0
	v_min_u32_e32 v6, 32, v0
	s_delay_alu instid0(VALU_DEP_1) | instskip(NEXT) | instid1(VALU_DEP_1)
	v_subrev_nc_u32_e32 v0, 28, v6
	v_lshlrev_b64_e32 v[0:1], v0, v[14:15]
	s_delay_alu instid0(VALU_DEP_1)
	v_dual_sub_nc_u32 v1, 29, v6 :: v_dual_bitop2_b32 v0, 7, v0 bitop3:0x40
; %bb.359:                              ;   in Loop: Header=BB302_10 Depth=1
	s_or_b32 exec_lo, exec_lo, s11
	s_delay_alu instid0(VALU_DEP_1) | instskip(NEXT) | instid1(VALU_DEP_2)
	v_dual_lshlrev_b32 v6, 8, v14 :: v_dual_lshlrev_b32 v0, 23, v0
	v_lshl_add_u32 v1, v1, 10, 0x2000
	s_delay_alu instid0(VALU_DEP_1) | instskip(NEXT) | instid1(VALU_DEP_1)
	v_and_or_b32 v1, 0x8000, v6, v1
	v_lshl_or_b32 v0, v1, 16, v0
	scratch_store_b32 off, v0, s32 offset:248 ; 4-byte Folded Spill
.LBB302_360:                            ;   in Loop: Header=BB302_10 Depth=1
	s_wait_xcnt 0x0
	s_or_b32 exec_lo, exec_lo, s8
.LBB302_361:                            ;   in Loop: Header=BB302_10 Depth=1
	s_delay_alu instid0(SALU_CYCLE_1)
	s_or_b32 exec_lo, exec_lo, s7
.LBB302_362:                            ;   in Loop: Header=BB302_10 Depth=1
	s_delay_alu instid0(SALU_CYCLE_1) | instskip(SKIP_3) | instid1(VALU_DEP_2)
	s_or_b32 exec_lo, exec_lo, s6
	v_and_b32_e32 v0, 0xff, v5
	v_mov_b32_e32 v14, v5
	s_mov_b32 s6, exec_lo
	v_cmpx_ne_u16_e32 0, v0
	s_cbranch_execz .LBB302_370
; %bb.363:                              ;   in Loop: Header=BB302_10 Depth=1
	v_cmp_ne_u16_e64 s1, 0x80, v0
	v_mov_b32_e32 v0, 0x8000
	scratch_store_b32 off, v0, s32 offset:244 ; 4-byte Folded Spill
	s_wait_xcnt 0x0
	s_and_saveexec_b32 s7, s1
	s_cbranch_execz .LBB302_369
; %bb.364:                              ;   in Loop: Header=BB302_10 Depth=1
	v_and_b32_e32 v6, 0x7f, v5
	v_mov_b32_e32 v0, 0x7c01
	s_mov_b32 s8, exec_lo
	scratch_store_b32 off, v0, s32 offset:244 ; 4-byte Folded Spill
	s_wait_xcnt 0x0
	v_cmpx_ne_u32_e32 0x7f, v6
	s_cbranch_execz .LBB302_368
; %bb.365:                              ;   in Loop: Header=BB302_10 Depth=1
	v_dual_lshrrev_b32 v1, 3, v6 :: v_dual_bitop2_b32 v0, 7, v5 bitop3:0x40
	s_mov_b32 s11, exec_lo
	v_cmpx_gt_u32_e32 8, v6
; %bb.366:                              ;   in Loop: Header=BB302_10 Depth=1
	s_delay_alu instid0(VALU_DEP_2) | instskip(NEXT) | instid1(VALU_DEP_1)
	v_clz_i32_u32_e32 v0, v0
	v_min_u32_e32 v6, 32, v0
	s_delay_alu instid0(VALU_DEP_1) | instskip(NEXT) | instid1(VALU_DEP_1)
	v_subrev_nc_u32_e32 v0, 28, v6
	v_lshlrev_b64_e32 v[0:1], v0, v[14:15]
	s_delay_alu instid0(VALU_DEP_1)
	v_dual_sub_nc_u32 v1, 29, v6 :: v_dual_bitop2_b32 v0, 7, v0 bitop3:0x40
; %bb.367:                              ;   in Loop: Header=BB302_10 Depth=1
	s_or_b32 exec_lo, exec_lo, s11
	s_delay_alu instid0(VALU_DEP_1) | instskip(NEXT) | instid1(VALU_DEP_2)
	v_dual_lshlrev_b32 v6, 8, v5 :: v_dual_lshlrev_b32 v0, 7, v0
	v_lshl_add_u32 v1, v1, 10, 0x2000
	s_delay_alu instid0(VALU_DEP_2) | instskip(NEXT) | instid1(VALU_DEP_2)
	v_and_b32_e32 v6, 0x8000, v6
	v_and_b32_e32 v1, 0xfc00, v1
	s_delay_alu instid0(VALU_DEP_1)
	v_or3_b32 v0, v6, v1, v0
	scratch_store_b32 off, v0, s32 offset:244 ; 4-byte Folded Spill
.LBB302_368:                            ;   in Loop: Header=BB302_10 Depth=1
	s_wait_xcnt 0x0
	s_or_b32 exec_lo, exec_lo, s8
.LBB302_369:                            ;   in Loop: Header=BB302_10 Depth=1
	s_delay_alu instid0(SALU_CYCLE_1)
	s_or_b32 exec_lo, exec_lo, s7
.LBB302_370:                            ;   in Loop: Header=BB302_10 Depth=1
	s_delay_alu instid0(SALU_CYCLE_1)
	s_or_b32 exec_lo, exec_lo, s6
	v_mov_b32_e32 v0, 0
	v_lshrrev_b16 v14, 8, v14
	s_mov_b32 s6, exec_lo
	scratch_store_b32 off, v0, s32 offset:252 ; 4-byte Folded Spill
	s_wait_xcnt 0x0
	v_mov_b32_e32 v0, 0
	scratch_store_b32 off, v0, s32 offset:256 ; 4-byte Folded Spill
	s_wait_xcnt 0x0
	v_cmpx_ne_u16_e32 0, v14
	s_cbranch_execz .LBB302_378
; %bb.371:                              ;   in Loop: Header=BB302_10 Depth=1
	v_bfrev_b32_e32 v0, 1
	s_mov_b32 s7, exec_lo
	scratch_store_b32 off, v0, s32 offset:256 ; 4-byte Folded Spill
	s_wait_xcnt 0x0
	v_cmpx_ne_u16_e32 0x80, v14
	s_cbranch_execz .LBB302_377
; %bb.372:                              ;   in Loop: Header=BB302_10 Depth=1
	v_and_b32_e32 v0, 0xffff, v14
	v_mov_b32_e32 v1, 0x7c010000
	s_mov_b32 s8, exec_lo
	s_delay_alu instid0(VALU_DEP_2)
	v_and_b32_e32 v7, 0x7f, v0
	scratch_store_b32 off, v1, s32 offset:256 ; 4-byte Folded Spill
	s_wait_xcnt 0x0
	v_cmpx_ne_u32_e32 0x7f, v7
	s_cbranch_execz .LBB302_376
; %bb.373:                              ;   in Loop: Header=BB302_10 Depth=1
	v_dual_lshrrev_b32 v6, 3, v7 :: v_dual_bitop2_b32 v1, 7, v0 bitop3:0x40
	s_mov_b32 s11, exec_lo
	v_cmpx_gt_u32_e32 8, v7
; %bb.374:                              ;   in Loop: Header=BB302_10 Depth=1
	s_delay_alu instid0(VALU_DEP_2) | instskip(NEXT) | instid1(VALU_DEP_1)
	v_clz_i32_u32_e32 v1, v1
	v_min_u32_e32 v1, 32, v1
	s_delay_alu instid0(VALU_DEP_1) | instskip(NEXT) | instid1(VALU_DEP_1)
	v_subrev_nc_u32_e32 v6, 28, v1
	v_lshlrev_b64_e32 v[8:9], v6, v[14:15]
	s_delay_alu instid0(VALU_DEP_1)
	v_dual_sub_nc_u32 v6, 29, v1 :: v_dual_bitop2_b32 v1, 7, v8 bitop3:0x40
; %bb.375:                              ;   in Loop: Header=BB302_10 Depth=1
	s_or_b32 exec_lo, exec_lo, s11
	s_delay_alu instid0(VALU_DEP_1) | instskip(NEXT) | instid1(VALU_DEP_2)
	v_dual_lshlrev_b32 v0, 8, v0 :: v_dual_lshlrev_b32 v1, 23, v1
	v_lshl_add_u32 v6, v6, 10, 0x2000
	s_delay_alu instid0(VALU_DEP_1) | instskip(NEXT) | instid1(VALU_DEP_1)
	v_and_or_b32 v0, 0x8000, v0, v6
	v_lshl_or_b32 v0, v0, 16, v1
	scratch_store_b32 off, v0, s32 offset:256 ; 4-byte Folded Spill
.LBB302_376:                            ;   in Loop: Header=BB302_10 Depth=1
	s_wait_xcnt 0x0
	s_or_b32 exec_lo, exec_lo, s8
.LBB302_377:                            ;   in Loop: Header=BB302_10 Depth=1
	s_delay_alu instid0(SALU_CYCLE_1)
	s_or_b32 exec_lo, exec_lo, s7
.LBB302_378:                            ;   in Loop: Header=BB302_10 Depth=1
	s_delay_alu instid0(SALU_CYCLE_1) | instskip(SKIP_2) | instid1(VALU_DEP_1)
	s_or_b32 exec_lo, exec_lo, s6
	v_lshrrev_b32_e32 v8, 16, v5
	s_mov_b32 s6, exec_lo
	v_and_b32_e32 v0, 0xff, v8
	s_delay_alu instid0(VALU_DEP_1)
	v_cmpx_ne_u16_e32 0, v0
	s_cbranch_execz .LBB302_386
; %bb.379:                              ;   in Loop: Header=BB302_10 Depth=1
	v_cmp_ne_u16_e64 s1, 0x80, v0
	v_mov_b32_e32 v0, 0x8000
	scratch_store_b32 off, v0, s32 offset:252 ; 4-byte Folded Spill
	s_wait_xcnt 0x0
	s_and_saveexec_b32 s7, s1
	s_cbranch_execz .LBB302_385
; %bb.380:                              ;   in Loop: Header=BB302_10 Depth=1
	v_bfe_u32 v6, v5, 16, 7
	v_mov_b32_e32 v0, 0x7c01
	s_mov_b32 s8, exec_lo
	scratch_store_b32 off, v0, s32 offset:252 ; 4-byte Folded Spill
	s_wait_xcnt 0x0
	v_cmpx_ne_u32_e32 0x7f, v6
	s_cbranch_execz .LBB302_384
; %bb.381:                              ;   in Loop: Header=BB302_10 Depth=1
	v_dual_lshrrev_b32 v1, 3, v6 :: v_dual_bitop2_b32 v0, 7, v8 bitop3:0x40
	s_mov_b32 s11, exec_lo
	v_cmpx_gt_u32_e32 8, v6
; %bb.382:                              ;   in Loop: Header=BB302_10 Depth=1
	s_delay_alu instid0(VALU_DEP_2) | instskip(NEXT) | instid1(VALU_DEP_1)
	v_clz_i32_u32_e32 v0, v0
	v_min_u32_e32 v6, 32, v0
	s_delay_alu instid0(VALU_DEP_1) | instskip(NEXT) | instid1(VALU_DEP_1)
	v_subrev_nc_u32_e32 v0, 28, v6
	v_lshlrev_b64_e32 v[0:1], v0, v[8:9]
	s_delay_alu instid0(VALU_DEP_1)
	v_dual_sub_nc_u32 v1, 29, v6 :: v_dual_bitop2_b32 v0, 7, v0 bitop3:0x40
; %bb.383:                              ;   in Loop: Header=BB302_10 Depth=1
	s_or_b32 exec_lo, exec_lo, s11
	v_lshlrev_b32_e32 v6, 8, v8
	s_delay_alu instid0(VALU_DEP_2) | instskip(NEXT) | instid1(VALU_DEP_3)
	v_lshl_add_u32 v1, v1, 10, 0x2000
	v_lshlrev_b32_e32 v0, 7, v0
	s_delay_alu instid0(VALU_DEP_3) | instskip(NEXT) | instid1(VALU_DEP_3)
	v_and_b32_e32 v6, 0x8000, v6
	v_and_b32_e32 v1, 0xfc00, v1
	s_delay_alu instid0(VALU_DEP_1)
	v_or3_b32 v0, v6, v1, v0
	scratch_store_b32 off, v0, s32 offset:252 ; 4-byte Folded Spill
.LBB302_384:                            ;   in Loop: Header=BB302_10 Depth=1
	s_wait_xcnt 0x0
	s_or_b32 exec_lo, exec_lo, s8
.LBB302_385:                            ;   in Loop: Header=BB302_10 Depth=1
	s_delay_alu instid0(SALU_CYCLE_1)
	s_or_b32 exec_lo, exec_lo, s7
.LBB302_386:                            ;   in Loop: Header=BB302_10 Depth=1
	s_delay_alu instid0(SALU_CYCLE_1)
	s_or_b32 exec_lo, exec_lo, s6
	v_mov_b32_e32 v0, 0
	s_mov_b32 s6, exec_lo
	scratch_store_b32 off, v0, s32 offset:260 ; 4-byte Folded Spill
	s_wait_xcnt 0x0
	v_mov_b32_e32 v0, 0
	scratch_store_b32 off, v0, s32 offset:760 ; 4-byte Folded Spill
	s_wait_xcnt 0x0
	v_cmpx_lt_u64_e64 s[2:3], v[4:5]
	s_cbranch_execz .LBB302_394
; %bb.387:                              ;   in Loop: Header=BB302_10 Depth=1
	v_lshrrev_b32_e32 v14, 24, v5
	v_bfrev_b32_e32 v0, 1
	s_mov_b32 s7, exec_lo
	s_delay_alu instid0(VALU_DEP_2)
	v_cmpx_ne_u32_e32 0x80, v14
	s_cbranch_execz .LBB302_393
; %bb.388:                              ;   in Loop: Header=BB302_10 Depth=1
	v_and_b32_e32 v4, 0x7f, v14
	v_mov_b32_e32 v0, 0x7c010000
	s_mov_b32 s8, exec_lo
	s_delay_alu instid0(VALU_DEP_2)
	v_cmpx_ne_u32_e32 0x7f, v4
	s_cbranch_execz .LBB302_392
; %bb.389:                              ;   in Loop: Header=BB302_10 Depth=1
	v_dual_lshrrev_b32 v1, 3, v4 :: v_dual_bitop2_b32 v0, 7, v14 bitop3:0x40
	s_mov_b32 s11, exec_lo
	v_cmpx_gt_u32_e32 8, v4
; %bb.390:                              ;   in Loop: Header=BB302_10 Depth=1
	s_delay_alu instid0(VALU_DEP_2) | instskip(NEXT) | instid1(VALU_DEP_1)
	v_clz_i32_u32_e32 v0, v0
	v_min_u32_e32 v4, 32, v0
	s_delay_alu instid0(VALU_DEP_1) | instskip(NEXT) | instid1(VALU_DEP_1)
	v_subrev_nc_u32_e32 v0, 28, v4
	v_lshlrev_b64_e32 v[0:1], v0, v[14:15]
	v_sub_nc_u32_e32 v1, 29, v4
	s_delay_alu instid0(VALU_DEP_2)
	v_and_b32_e32 v0, 7, v0
; %bb.391:                              ;   in Loop: Header=BB302_10 Depth=1
	s_or_b32 exec_lo, exec_lo, s11
	s_delay_alu instid0(VALU_DEP_1) | instskip(NEXT) | instid1(VALU_DEP_3)
	v_dual_lshlrev_b32 v4, 8, v14 :: v_dual_lshlrev_b32 v0, 23, v0
	v_lshl_add_u32 v1, v1, 10, 0x2000
	s_delay_alu instid0(VALU_DEP_1) | instskip(NEXT) | instid1(VALU_DEP_1)
	v_and_or_b32 v1, 0x8000, v4, v1
	v_lshl_or_b32 v0, v1, 16, v0
.LBB302_392:                            ;   in Loop: Header=BB302_10 Depth=1
	s_or_b32 exec_lo, exec_lo, s8
.LBB302_393:                            ;   in Loop: Header=BB302_10 Depth=1
	s_delay_alu instid0(SALU_CYCLE_1)
	s_or_b32 exec_lo, exec_lo, s7
	scratch_store_b32 off, v0, s32 offset:760 ; 4-byte Folded Spill
.LBB302_394:                            ;   in Loop: Header=BB302_10 Depth=1
	s_wait_xcnt 0x0
	s_or_b32 exec_lo, exec_lo, s6
	flat_load_b64 v[4:5], v[2:3] offset:1536
	s_mov_b32 s6, exec_lo
	s_wait_loadcnt_dscnt 0x0
	v_and_b32_e32 v0, 0xff, v4
	s_wait_xcnt 0x0
	s_delay_alu instid0(VALU_DEP_1)
	v_cmpx_ne_u16_e32 0, v0
	s_cbranch_execz .LBB302_402
; %bb.395:                              ;   in Loop: Header=BB302_10 Depth=1
	v_cmp_ne_u16_e64 s1, 0x80, v0
	v_mov_b32_e32 v0, 0x8000
	scratch_store_b32 off, v0, s32 offset:260 ; 4-byte Folded Spill
	s_wait_xcnt 0x0
	s_and_saveexec_b32 s7, s1
	s_cbranch_execz .LBB302_401
; %bb.396:                              ;   in Loop: Header=BB302_10 Depth=1
	v_and_b32_e32 v6, 0x7f, v4
	v_mov_b32_e32 v0, 0x7c01
	s_mov_b32 s8, exec_lo
	scratch_store_b32 off, v0, s32 offset:260 ; 4-byte Folded Spill
	s_wait_xcnt 0x0
	v_cmpx_ne_u32_e32 0x7f, v6
	s_cbranch_execz .LBB302_400
; %bb.397:                              ;   in Loop: Header=BB302_10 Depth=1
	v_dual_lshrrev_b32 v1, 3, v6 :: v_dual_bitop2_b32 v0, 7, v4 bitop3:0x40
	s_mov_b32 s11, exec_lo
	v_cmpx_gt_u32_e32 8, v6
; %bb.398:                              ;   in Loop: Header=BB302_10 Depth=1
	s_delay_alu instid0(VALU_DEP_2) | instskip(NEXT) | instid1(VALU_DEP_1)
	v_clz_i32_u32_e32 v0, v0
	v_min_u32_e32 v6, 32, v0
	s_delay_alu instid0(VALU_DEP_1) | instskip(NEXT) | instid1(VALU_DEP_1)
	v_subrev_nc_u32_e32 v0, 28, v6
	v_lshlrev_b64_e32 v[0:1], v0, v[4:5]
	s_delay_alu instid0(VALU_DEP_1)
	v_dual_sub_nc_u32 v1, 29, v6 :: v_dual_bitop2_b32 v0, 7, v0 bitop3:0x40
; %bb.399:                              ;   in Loop: Header=BB302_10 Depth=1
	s_or_b32 exec_lo, exec_lo, s11
	v_lshlrev_b32_e32 v6, 8, v4
	s_delay_alu instid0(VALU_DEP_2) | instskip(NEXT) | instid1(VALU_DEP_3)
	v_lshl_add_u32 v1, v1, 10, 0x2000
	v_lshlrev_b32_e32 v0, 7, v0
	s_delay_alu instid0(VALU_DEP_3) | instskip(NEXT) | instid1(VALU_DEP_3)
	v_and_b32_e32 v6, 0x8000, v6
	v_and_b32_e32 v1, 0xfc00, v1
	s_delay_alu instid0(VALU_DEP_1)
	v_or3_b32 v0, v6, v1, v0
	scratch_store_b32 off, v0, s32 offset:260 ; 4-byte Folded Spill
.LBB302_400:                            ;   in Loop: Header=BB302_10 Depth=1
	s_wait_xcnt 0x0
	s_or_b32 exec_lo, exec_lo, s8
.LBB302_401:                            ;   in Loop: Header=BB302_10 Depth=1
	s_delay_alu instid0(SALU_CYCLE_1)
	s_or_b32 exec_lo, exec_lo, s7
.LBB302_402:                            ;   in Loop: Header=BB302_10 Depth=1
	s_delay_alu instid0(SALU_CYCLE_1)
	s_or_b32 exec_lo, exec_lo, s6
	v_mov_b32_e32 v0, 0
	v_lshrrev_b16 v14, 8, v4
	s_mov_b32 s6, exec_lo
	scratch_store_b32 off, v0, s32 offset:264 ; 4-byte Folded Spill
	s_wait_xcnt 0x0
	v_mov_b32_e32 v0, 0
	scratch_store_b32 off, v0, s32 offset:268 ; 4-byte Folded Spill
	s_wait_xcnt 0x0
	v_cmpx_ne_u16_e32 0, v14
	s_cbranch_execz .LBB302_410
; %bb.403:                              ;   in Loop: Header=BB302_10 Depth=1
	v_bfrev_b32_e32 v0, 1
	s_mov_b32 s7, exec_lo
	scratch_store_b32 off, v0, s32 offset:268 ; 4-byte Folded Spill
	s_wait_xcnt 0x0
	v_cmpx_ne_u16_e32 0x80, v14
	s_cbranch_execz .LBB302_409
; %bb.404:                              ;   in Loop: Header=BB302_10 Depth=1
	v_and_b32_e32 v0, 0xffff, v14
	v_mov_b32_e32 v1, 0x7c010000
	s_mov_b32 s8, exec_lo
	s_delay_alu instid0(VALU_DEP_2)
	v_and_b32_e32 v7, 0x7f, v0
	scratch_store_b32 off, v1, s32 offset:268 ; 4-byte Folded Spill
	s_wait_xcnt 0x0
	v_cmpx_ne_u32_e32 0x7f, v7
	s_cbranch_execz .LBB302_408
; %bb.405:                              ;   in Loop: Header=BB302_10 Depth=1
	v_dual_lshrrev_b32 v6, 3, v7 :: v_dual_bitop2_b32 v1, 7, v0 bitop3:0x40
	s_mov_b32 s11, exec_lo
	v_cmpx_gt_u32_e32 8, v7
; %bb.406:                              ;   in Loop: Header=BB302_10 Depth=1
	s_delay_alu instid0(VALU_DEP_2) | instskip(NEXT) | instid1(VALU_DEP_1)
	v_clz_i32_u32_e32 v1, v1
	v_min_u32_e32 v1, 32, v1
	s_delay_alu instid0(VALU_DEP_1) | instskip(NEXT) | instid1(VALU_DEP_1)
	v_subrev_nc_u32_e32 v6, 28, v1
	v_lshlrev_b64_e32 v[8:9], v6, v[14:15]
	s_delay_alu instid0(VALU_DEP_1)
	v_dual_sub_nc_u32 v6, 29, v1 :: v_dual_bitop2_b32 v1, 7, v8 bitop3:0x40
; %bb.407:                              ;   in Loop: Header=BB302_10 Depth=1
	s_or_b32 exec_lo, exec_lo, s11
	s_delay_alu instid0(VALU_DEP_1) | instskip(NEXT) | instid1(VALU_DEP_2)
	v_dual_lshlrev_b32 v0, 8, v0 :: v_dual_lshlrev_b32 v1, 23, v1
	v_lshl_add_u32 v6, v6, 10, 0x2000
	s_delay_alu instid0(VALU_DEP_1) | instskip(NEXT) | instid1(VALU_DEP_1)
	v_and_or_b32 v0, 0x8000, v0, v6
	v_lshl_or_b32 v0, v0, 16, v1
	scratch_store_b32 off, v0, s32 offset:268 ; 4-byte Folded Spill
.LBB302_408:                            ;   in Loop: Header=BB302_10 Depth=1
	s_wait_xcnt 0x0
	s_or_b32 exec_lo, exec_lo, s8
.LBB302_409:                            ;   in Loop: Header=BB302_10 Depth=1
	s_delay_alu instid0(SALU_CYCLE_1)
	s_or_b32 exec_lo, exec_lo, s7
.LBB302_410:                            ;   in Loop: Header=BB302_10 Depth=1
	s_delay_alu instid0(SALU_CYCLE_1) | instskip(SKIP_2) | instid1(VALU_DEP_1)
	s_or_b32 exec_lo, exec_lo, s6
	v_lshrrev_b32_e32 v8, 16, v4
	s_mov_b32 s6, exec_lo
	v_and_b32_e32 v0, 0xff, v8
	s_delay_alu instid0(VALU_DEP_1)
	v_cmpx_ne_u16_e32 0, v0
	s_cbranch_execz .LBB302_418
; %bb.411:                              ;   in Loop: Header=BB302_10 Depth=1
	v_cmp_ne_u16_e64 s1, 0x80, v0
	v_mov_b32_e32 v0, 0x8000
	scratch_store_b32 off, v0, s32 offset:264 ; 4-byte Folded Spill
	s_wait_xcnt 0x0
	s_and_saveexec_b32 s7, s1
	s_cbranch_execz .LBB302_417
; %bb.412:                              ;   in Loop: Header=BB302_10 Depth=1
	v_bfe_u32 v6, v4, 16, 7
	v_mov_b32_e32 v0, 0x7c01
	s_mov_b32 s8, exec_lo
	scratch_store_b32 off, v0, s32 offset:264 ; 4-byte Folded Spill
	s_wait_xcnt 0x0
	v_cmpx_ne_u32_e32 0x7f, v6
	s_cbranch_execz .LBB302_416
; %bb.413:                              ;   in Loop: Header=BB302_10 Depth=1
	v_dual_lshrrev_b32 v1, 3, v6 :: v_dual_bitop2_b32 v0, 7, v8 bitop3:0x40
	s_mov_b32 s11, exec_lo
	v_cmpx_gt_u32_e32 8, v6
; %bb.414:                              ;   in Loop: Header=BB302_10 Depth=1
	s_delay_alu instid0(VALU_DEP_2) | instskip(NEXT) | instid1(VALU_DEP_1)
	v_clz_i32_u32_e32 v0, v0
	v_min_u32_e32 v6, 32, v0
	s_delay_alu instid0(VALU_DEP_1) | instskip(NEXT) | instid1(VALU_DEP_1)
	v_subrev_nc_u32_e32 v0, 28, v6
	v_lshlrev_b64_e32 v[0:1], v0, v[8:9]
	s_delay_alu instid0(VALU_DEP_1)
	v_dual_sub_nc_u32 v1, 29, v6 :: v_dual_bitop2_b32 v0, 7, v0 bitop3:0x40
; %bb.415:                              ;   in Loop: Header=BB302_10 Depth=1
	s_or_b32 exec_lo, exec_lo, s11
	v_lshlrev_b32_e32 v6, 8, v8
	s_delay_alu instid0(VALU_DEP_2) | instskip(NEXT) | instid1(VALU_DEP_3)
	v_lshl_add_u32 v1, v1, 10, 0x2000
	v_lshlrev_b32_e32 v0, 7, v0
	s_delay_alu instid0(VALU_DEP_3) | instskip(NEXT) | instid1(VALU_DEP_3)
	v_and_b32_e32 v6, 0x8000, v6
	v_and_b32_e32 v1, 0xfc00, v1
	s_delay_alu instid0(VALU_DEP_1)
	v_or3_b32 v0, v6, v1, v0
	scratch_store_b32 off, v0, s32 offset:264 ; 4-byte Folded Spill
.LBB302_416:                            ;   in Loop: Header=BB302_10 Depth=1
	s_wait_xcnt 0x0
	s_or_b32 exec_lo, exec_lo, s8
.LBB302_417:                            ;   in Loop: Header=BB302_10 Depth=1
	s_delay_alu instid0(SALU_CYCLE_1)
	s_or_b32 exec_lo, exec_lo, s7
.LBB302_418:                            ;   in Loop: Header=BB302_10 Depth=1
	s_delay_alu instid0(SALU_CYCLE_1)
	s_or_b32 exec_lo, exec_lo, s6
	v_mov_b32_e32 v0, 0
	s_mov_b32 s6, exec_lo
	scratch_store_b32 off, v0, s32 offset:272 ; 4-byte Folded Spill
	s_wait_xcnt 0x0
	v_mov_b32_e32 v0, 0
	scratch_store_b32 off, v0, s32 offset:276 ; 4-byte Folded Spill
	s_wait_xcnt 0x0
	v_cmpx_lt_u32_e32 0xffffff, v4
	s_cbranch_execz .LBB302_426
; %bb.419:                              ;   in Loop: Header=BB302_10 Depth=1
	v_lshrrev_b32_e32 v14, 24, v4
	v_bfrev_b32_e32 v0, 1
	s_mov_b32 s7, exec_lo
	scratch_store_b32 off, v0, s32 offset:276 ; 4-byte Folded Spill
	s_wait_xcnt 0x0
	v_cmpx_ne_u32_e32 0x80, v14
	s_cbranch_execz .LBB302_425
; %bb.420:                              ;   in Loop: Header=BB302_10 Depth=1
	v_and_b32_e32 v6, 0x7f, v14
	v_mov_b32_e32 v0, 0x7c010000
	s_mov_b32 s8, exec_lo
	scratch_store_b32 off, v0, s32 offset:276 ; 4-byte Folded Spill
	s_wait_xcnt 0x0
	v_cmpx_ne_u32_e32 0x7f, v6
	s_cbranch_execz .LBB302_424
; %bb.421:                              ;   in Loop: Header=BB302_10 Depth=1
	v_and_b32_e32 v0, 7, v14
	v_lshrrev_b32_e32 v1, 3, v6
	s_mov_b32 s11, exec_lo
	v_cmpx_gt_u32_e32 8, v6
; %bb.422:                              ;   in Loop: Header=BB302_10 Depth=1
	s_delay_alu instid0(VALU_DEP_3) | instskip(NEXT) | instid1(VALU_DEP_1)
	v_clz_i32_u32_e32 v0, v0
	v_min_u32_e32 v6, 32, v0
	s_delay_alu instid0(VALU_DEP_1) | instskip(NEXT) | instid1(VALU_DEP_1)
	v_subrev_nc_u32_e32 v0, 28, v6
	v_lshlrev_b64_e32 v[0:1], v0, v[14:15]
	s_delay_alu instid0(VALU_DEP_1)
	v_dual_sub_nc_u32 v1, 29, v6 :: v_dual_bitop2_b32 v0, 7, v0 bitop3:0x40
; %bb.423:                              ;   in Loop: Header=BB302_10 Depth=1
	s_or_b32 exec_lo, exec_lo, s11
	s_delay_alu instid0(VALU_DEP_1) | instskip(NEXT) | instid1(VALU_DEP_2)
	v_dual_lshlrev_b32 v6, 8, v14 :: v_dual_lshlrev_b32 v0, 23, v0
	v_lshl_add_u32 v1, v1, 10, 0x2000
	s_delay_alu instid0(VALU_DEP_1) | instskip(NEXT) | instid1(VALU_DEP_1)
	v_and_or_b32 v1, 0x8000, v6, v1
	v_lshl_or_b32 v0, v1, 16, v0
	scratch_store_b32 off, v0, s32 offset:276 ; 4-byte Folded Spill
.LBB302_424:                            ;   in Loop: Header=BB302_10 Depth=1
	s_wait_xcnt 0x0
	s_or_b32 exec_lo, exec_lo, s8
.LBB302_425:                            ;   in Loop: Header=BB302_10 Depth=1
	s_delay_alu instid0(SALU_CYCLE_1)
	s_or_b32 exec_lo, exec_lo, s7
.LBB302_426:                            ;   in Loop: Header=BB302_10 Depth=1
	s_delay_alu instid0(SALU_CYCLE_1) | instskip(SKIP_3) | instid1(VALU_DEP_2)
	s_or_b32 exec_lo, exec_lo, s6
	v_and_b32_e32 v0, 0xff, v5
	v_mov_b32_e32 v14, v5
	s_mov_b32 s6, exec_lo
	v_cmpx_ne_u16_e32 0, v0
	s_cbranch_execz .LBB302_434
; %bb.427:                              ;   in Loop: Header=BB302_10 Depth=1
	v_cmp_ne_u16_e64 s1, 0x80, v0
	v_mov_b32_e32 v0, 0x8000
	scratch_store_b32 off, v0, s32 offset:272 ; 4-byte Folded Spill
	s_wait_xcnt 0x0
	s_and_saveexec_b32 s7, s1
	s_cbranch_execz .LBB302_433
; %bb.428:                              ;   in Loop: Header=BB302_10 Depth=1
	v_and_b32_e32 v6, 0x7f, v5
	v_mov_b32_e32 v0, 0x7c01
	s_mov_b32 s8, exec_lo
	scratch_store_b32 off, v0, s32 offset:272 ; 4-byte Folded Spill
	s_wait_xcnt 0x0
	v_cmpx_ne_u32_e32 0x7f, v6
	s_cbranch_execz .LBB302_432
; %bb.429:                              ;   in Loop: Header=BB302_10 Depth=1
	v_dual_lshrrev_b32 v1, 3, v6 :: v_dual_bitop2_b32 v0, 7, v5 bitop3:0x40
	s_mov_b32 s11, exec_lo
	v_cmpx_gt_u32_e32 8, v6
; %bb.430:                              ;   in Loop: Header=BB302_10 Depth=1
	s_delay_alu instid0(VALU_DEP_2) | instskip(NEXT) | instid1(VALU_DEP_1)
	v_clz_i32_u32_e32 v0, v0
	v_min_u32_e32 v6, 32, v0
	s_delay_alu instid0(VALU_DEP_1) | instskip(NEXT) | instid1(VALU_DEP_1)
	v_subrev_nc_u32_e32 v0, 28, v6
	v_lshlrev_b64_e32 v[0:1], v0, v[14:15]
	s_delay_alu instid0(VALU_DEP_1)
	v_dual_sub_nc_u32 v1, 29, v6 :: v_dual_bitop2_b32 v0, 7, v0 bitop3:0x40
; %bb.431:                              ;   in Loop: Header=BB302_10 Depth=1
	s_or_b32 exec_lo, exec_lo, s11
	s_delay_alu instid0(VALU_DEP_1) | instskip(NEXT) | instid1(VALU_DEP_2)
	v_dual_lshlrev_b32 v6, 8, v5 :: v_dual_lshlrev_b32 v0, 7, v0
	v_lshl_add_u32 v1, v1, 10, 0x2000
	s_delay_alu instid0(VALU_DEP_2) | instskip(NEXT) | instid1(VALU_DEP_2)
	v_and_b32_e32 v6, 0x8000, v6
	v_and_b32_e32 v1, 0xfc00, v1
	s_delay_alu instid0(VALU_DEP_1)
	v_or3_b32 v0, v6, v1, v0
	scratch_store_b32 off, v0, s32 offset:272 ; 4-byte Folded Spill
.LBB302_432:                            ;   in Loop: Header=BB302_10 Depth=1
	s_wait_xcnt 0x0
	s_or_b32 exec_lo, exec_lo, s8
.LBB302_433:                            ;   in Loop: Header=BB302_10 Depth=1
	s_delay_alu instid0(SALU_CYCLE_1)
	s_or_b32 exec_lo, exec_lo, s7
.LBB302_434:                            ;   in Loop: Header=BB302_10 Depth=1
	s_delay_alu instid0(SALU_CYCLE_1)
	s_or_b32 exec_lo, exec_lo, s6
	v_mov_b32_e32 v0, 0
	v_lshrrev_b16 v14, 8, v14
	s_mov_b32 s6, exec_lo
	scratch_store_b32 off, v0, s32 offset:280 ; 4-byte Folded Spill
	s_wait_xcnt 0x0
	v_mov_b32_e32 v0, 0
	scratch_store_b32 off, v0, s32 offset:284 ; 4-byte Folded Spill
	s_wait_xcnt 0x0
	v_cmpx_ne_u16_e32 0, v14
	s_cbranch_execz .LBB302_442
; %bb.435:                              ;   in Loop: Header=BB302_10 Depth=1
	v_bfrev_b32_e32 v0, 1
	s_mov_b32 s7, exec_lo
	scratch_store_b32 off, v0, s32 offset:284 ; 4-byte Folded Spill
	s_wait_xcnt 0x0
	v_cmpx_ne_u16_e32 0x80, v14
	s_cbranch_execz .LBB302_441
; %bb.436:                              ;   in Loop: Header=BB302_10 Depth=1
	v_and_b32_e32 v0, 0xffff, v14
	v_mov_b32_e32 v1, 0x7c010000
	s_mov_b32 s8, exec_lo
	s_delay_alu instid0(VALU_DEP_2)
	v_and_b32_e32 v7, 0x7f, v0
	scratch_store_b32 off, v1, s32 offset:284 ; 4-byte Folded Spill
	s_wait_xcnt 0x0
	v_cmpx_ne_u32_e32 0x7f, v7
	s_cbranch_execz .LBB302_440
; %bb.437:                              ;   in Loop: Header=BB302_10 Depth=1
	v_dual_lshrrev_b32 v6, 3, v7 :: v_dual_bitop2_b32 v1, 7, v0 bitop3:0x40
	s_mov_b32 s11, exec_lo
	v_cmpx_gt_u32_e32 8, v7
; %bb.438:                              ;   in Loop: Header=BB302_10 Depth=1
	s_delay_alu instid0(VALU_DEP_2) | instskip(NEXT) | instid1(VALU_DEP_1)
	v_clz_i32_u32_e32 v1, v1
	v_min_u32_e32 v1, 32, v1
	s_delay_alu instid0(VALU_DEP_1) | instskip(NEXT) | instid1(VALU_DEP_1)
	v_subrev_nc_u32_e32 v6, 28, v1
	v_lshlrev_b64_e32 v[8:9], v6, v[14:15]
	s_delay_alu instid0(VALU_DEP_1)
	v_dual_sub_nc_u32 v6, 29, v1 :: v_dual_bitop2_b32 v1, 7, v8 bitop3:0x40
; %bb.439:                              ;   in Loop: Header=BB302_10 Depth=1
	s_or_b32 exec_lo, exec_lo, s11
	s_delay_alu instid0(VALU_DEP_1) | instskip(NEXT) | instid1(VALU_DEP_2)
	v_dual_lshlrev_b32 v0, 8, v0 :: v_dual_lshlrev_b32 v1, 23, v1
	v_lshl_add_u32 v6, v6, 10, 0x2000
	s_delay_alu instid0(VALU_DEP_1) | instskip(NEXT) | instid1(VALU_DEP_1)
	v_and_or_b32 v0, 0x8000, v0, v6
	v_lshl_or_b32 v0, v0, 16, v1
	scratch_store_b32 off, v0, s32 offset:284 ; 4-byte Folded Spill
.LBB302_440:                            ;   in Loop: Header=BB302_10 Depth=1
	s_wait_xcnt 0x0
	s_or_b32 exec_lo, exec_lo, s8
.LBB302_441:                            ;   in Loop: Header=BB302_10 Depth=1
	s_delay_alu instid0(SALU_CYCLE_1)
	s_or_b32 exec_lo, exec_lo, s7
.LBB302_442:                            ;   in Loop: Header=BB302_10 Depth=1
	s_delay_alu instid0(SALU_CYCLE_1) | instskip(SKIP_2) | instid1(VALU_DEP_1)
	s_or_b32 exec_lo, exec_lo, s6
	v_lshrrev_b32_e32 v8, 16, v5
	s_mov_b32 s6, exec_lo
	v_and_b32_e32 v0, 0xff, v8
	s_delay_alu instid0(VALU_DEP_1)
	v_cmpx_ne_u16_e32 0, v0
	s_cbranch_execz .LBB302_450
; %bb.443:                              ;   in Loop: Header=BB302_10 Depth=1
	v_cmp_ne_u16_e64 s1, 0x80, v0
	v_mov_b32_e32 v0, 0x8000
	scratch_store_b32 off, v0, s32 offset:280 ; 4-byte Folded Spill
	s_wait_xcnt 0x0
	s_and_saveexec_b32 s7, s1
	s_cbranch_execz .LBB302_449
; %bb.444:                              ;   in Loop: Header=BB302_10 Depth=1
	v_bfe_u32 v6, v5, 16, 7
	v_mov_b32_e32 v0, 0x7c01
	s_mov_b32 s8, exec_lo
	scratch_store_b32 off, v0, s32 offset:280 ; 4-byte Folded Spill
	s_wait_xcnt 0x0
	v_cmpx_ne_u32_e32 0x7f, v6
	s_cbranch_execz .LBB302_448
; %bb.445:                              ;   in Loop: Header=BB302_10 Depth=1
	v_dual_lshrrev_b32 v1, 3, v6 :: v_dual_bitop2_b32 v0, 7, v8 bitop3:0x40
	s_mov_b32 s11, exec_lo
	v_cmpx_gt_u32_e32 8, v6
; %bb.446:                              ;   in Loop: Header=BB302_10 Depth=1
	s_delay_alu instid0(VALU_DEP_2) | instskip(NEXT) | instid1(VALU_DEP_1)
	v_clz_i32_u32_e32 v0, v0
	v_min_u32_e32 v6, 32, v0
	s_delay_alu instid0(VALU_DEP_1) | instskip(NEXT) | instid1(VALU_DEP_1)
	v_subrev_nc_u32_e32 v0, 28, v6
	v_lshlrev_b64_e32 v[0:1], v0, v[8:9]
	s_delay_alu instid0(VALU_DEP_1)
	v_dual_sub_nc_u32 v1, 29, v6 :: v_dual_bitop2_b32 v0, 7, v0 bitop3:0x40
; %bb.447:                              ;   in Loop: Header=BB302_10 Depth=1
	s_or_b32 exec_lo, exec_lo, s11
	v_lshlrev_b32_e32 v6, 8, v8
	s_delay_alu instid0(VALU_DEP_2) | instskip(NEXT) | instid1(VALU_DEP_3)
	v_lshl_add_u32 v1, v1, 10, 0x2000
	v_lshlrev_b32_e32 v0, 7, v0
	s_delay_alu instid0(VALU_DEP_3) | instskip(NEXT) | instid1(VALU_DEP_3)
	v_and_b32_e32 v6, 0x8000, v6
	v_and_b32_e32 v1, 0xfc00, v1
	s_delay_alu instid0(VALU_DEP_1)
	v_or3_b32 v0, v6, v1, v0
	scratch_store_b32 off, v0, s32 offset:280 ; 4-byte Folded Spill
.LBB302_448:                            ;   in Loop: Header=BB302_10 Depth=1
	s_wait_xcnt 0x0
	s_or_b32 exec_lo, exec_lo, s8
.LBB302_449:                            ;   in Loop: Header=BB302_10 Depth=1
	s_delay_alu instid0(SALU_CYCLE_1)
	s_or_b32 exec_lo, exec_lo, s7
.LBB302_450:                            ;   in Loop: Header=BB302_10 Depth=1
	s_delay_alu instid0(SALU_CYCLE_1)
	s_or_b32 exec_lo, exec_lo, s6
	v_mov_b32_e32 v0, 0
	s_mov_b32 s6, exec_lo
	scratch_store_b32 off, v0, s32 offset:288 ; 4-byte Folded Spill
	s_wait_xcnt 0x0
	v_mov_b32_e32 v0, 0
	scratch_store_b32 off, v0, s32 offset:764 ; 4-byte Folded Spill
	s_wait_xcnt 0x0
	v_cmpx_lt_u64_e64 s[2:3], v[4:5]
	s_cbranch_execz .LBB302_458
; %bb.451:                              ;   in Loop: Header=BB302_10 Depth=1
	v_lshrrev_b32_e32 v14, 24, v5
	v_bfrev_b32_e32 v0, 1
	s_mov_b32 s7, exec_lo
	s_delay_alu instid0(VALU_DEP_2)
	v_cmpx_ne_u32_e32 0x80, v14
	s_cbranch_execz .LBB302_457
; %bb.452:                              ;   in Loop: Header=BB302_10 Depth=1
	v_and_b32_e32 v4, 0x7f, v14
	v_mov_b32_e32 v0, 0x7c010000
	s_mov_b32 s8, exec_lo
	s_delay_alu instid0(VALU_DEP_2)
	v_cmpx_ne_u32_e32 0x7f, v4
	s_cbranch_execz .LBB302_456
; %bb.453:                              ;   in Loop: Header=BB302_10 Depth=1
	v_dual_lshrrev_b32 v1, 3, v4 :: v_dual_bitop2_b32 v0, 7, v14 bitop3:0x40
	s_mov_b32 s11, exec_lo
	v_cmpx_gt_u32_e32 8, v4
; %bb.454:                              ;   in Loop: Header=BB302_10 Depth=1
	s_delay_alu instid0(VALU_DEP_2) | instskip(NEXT) | instid1(VALU_DEP_1)
	v_clz_i32_u32_e32 v0, v0
	v_min_u32_e32 v4, 32, v0
	s_delay_alu instid0(VALU_DEP_1) | instskip(NEXT) | instid1(VALU_DEP_1)
	v_subrev_nc_u32_e32 v0, 28, v4
	v_lshlrev_b64_e32 v[0:1], v0, v[14:15]
	v_sub_nc_u32_e32 v1, 29, v4
	s_delay_alu instid0(VALU_DEP_2)
	v_and_b32_e32 v0, 7, v0
; %bb.455:                              ;   in Loop: Header=BB302_10 Depth=1
	s_or_b32 exec_lo, exec_lo, s11
	s_delay_alu instid0(VALU_DEP_1) | instskip(NEXT) | instid1(VALU_DEP_3)
	v_dual_lshlrev_b32 v4, 8, v14 :: v_dual_lshlrev_b32 v0, 23, v0
	v_lshl_add_u32 v1, v1, 10, 0x2000
	s_delay_alu instid0(VALU_DEP_1) | instskip(NEXT) | instid1(VALU_DEP_1)
	v_and_or_b32 v1, 0x8000, v4, v1
	v_lshl_or_b32 v0, v1, 16, v0
.LBB302_456:                            ;   in Loop: Header=BB302_10 Depth=1
	s_or_b32 exec_lo, exec_lo, s8
.LBB302_457:                            ;   in Loop: Header=BB302_10 Depth=1
	s_delay_alu instid0(SALU_CYCLE_1)
	s_or_b32 exec_lo, exec_lo, s7
	scratch_store_b32 off, v0, s32 offset:764 ; 4-byte Folded Spill
.LBB302_458:                            ;   in Loop: Header=BB302_10 Depth=1
	s_wait_xcnt 0x0
	s_or_b32 exec_lo, exec_lo, s6
	flat_load_b64 v[4:5], v[2:3] offset:1544
	s_mov_b32 s6, exec_lo
	s_wait_loadcnt_dscnt 0x0
	v_and_b32_e32 v0, 0xff, v4
	s_wait_xcnt 0x0
	s_delay_alu instid0(VALU_DEP_1)
	v_cmpx_ne_u16_e32 0, v0
	s_cbranch_execz .LBB302_466
; %bb.459:                              ;   in Loop: Header=BB302_10 Depth=1
	v_cmp_ne_u16_e64 s1, 0x80, v0
	v_mov_b32_e32 v0, 0x8000
	scratch_store_b32 off, v0, s32 offset:288 ; 4-byte Folded Spill
	s_wait_xcnt 0x0
	s_and_saveexec_b32 s7, s1
	s_cbranch_execz .LBB302_465
; %bb.460:                              ;   in Loop: Header=BB302_10 Depth=1
	v_and_b32_e32 v6, 0x7f, v4
	v_mov_b32_e32 v0, 0x7c01
	s_mov_b32 s8, exec_lo
	scratch_store_b32 off, v0, s32 offset:288 ; 4-byte Folded Spill
	s_wait_xcnt 0x0
	v_cmpx_ne_u32_e32 0x7f, v6
	s_cbranch_execz .LBB302_464
; %bb.461:                              ;   in Loop: Header=BB302_10 Depth=1
	v_dual_lshrrev_b32 v1, 3, v6 :: v_dual_bitop2_b32 v0, 7, v4 bitop3:0x40
	s_mov_b32 s11, exec_lo
	v_cmpx_gt_u32_e32 8, v6
; %bb.462:                              ;   in Loop: Header=BB302_10 Depth=1
	s_delay_alu instid0(VALU_DEP_2) | instskip(NEXT) | instid1(VALU_DEP_1)
	v_clz_i32_u32_e32 v0, v0
	v_min_u32_e32 v6, 32, v0
	s_delay_alu instid0(VALU_DEP_1) | instskip(NEXT) | instid1(VALU_DEP_1)
	v_subrev_nc_u32_e32 v0, 28, v6
	v_lshlrev_b64_e32 v[0:1], v0, v[4:5]
	s_delay_alu instid0(VALU_DEP_1)
	v_dual_sub_nc_u32 v1, 29, v6 :: v_dual_bitop2_b32 v0, 7, v0 bitop3:0x40
; %bb.463:                              ;   in Loop: Header=BB302_10 Depth=1
	s_or_b32 exec_lo, exec_lo, s11
	v_lshlrev_b32_e32 v6, 8, v4
	s_delay_alu instid0(VALU_DEP_2) | instskip(NEXT) | instid1(VALU_DEP_3)
	v_lshl_add_u32 v1, v1, 10, 0x2000
	v_lshlrev_b32_e32 v0, 7, v0
	s_delay_alu instid0(VALU_DEP_3) | instskip(NEXT) | instid1(VALU_DEP_3)
	v_and_b32_e32 v6, 0x8000, v6
	v_and_b32_e32 v1, 0xfc00, v1
	s_delay_alu instid0(VALU_DEP_1)
	v_or3_b32 v0, v6, v1, v0
	scratch_store_b32 off, v0, s32 offset:288 ; 4-byte Folded Spill
.LBB302_464:                            ;   in Loop: Header=BB302_10 Depth=1
	s_wait_xcnt 0x0
	s_or_b32 exec_lo, exec_lo, s8
.LBB302_465:                            ;   in Loop: Header=BB302_10 Depth=1
	s_delay_alu instid0(SALU_CYCLE_1)
	s_or_b32 exec_lo, exec_lo, s7
.LBB302_466:                            ;   in Loop: Header=BB302_10 Depth=1
	s_delay_alu instid0(SALU_CYCLE_1)
	s_or_b32 exec_lo, exec_lo, s6
	v_mov_b32_e32 v0, 0
	v_lshrrev_b16 v14, 8, v4
	s_mov_b32 s6, exec_lo
	scratch_store_b32 off, v0, s32 offset:292 ; 4-byte Folded Spill
	s_wait_xcnt 0x0
	v_mov_b32_e32 v0, 0
	scratch_store_b32 off, v0, s32 offset:296 ; 4-byte Folded Spill
	s_wait_xcnt 0x0
	v_cmpx_ne_u16_e32 0, v14
	s_cbranch_execz .LBB302_474
; %bb.467:                              ;   in Loop: Header=BB302_10 Depth=1
	v_bfrev_b32_e32 v0, 1
	s_mov_b32 s7, exec_lo
	scratch_store_b32 off, v0, s32 offset:296 ; 4-byte Folded Spill
	s_wait_xcnt 0x0
	v_cmpx_ne_u16_e32 0x80, v14
	s_cbranch_execz .LBB302_473
; %bb.468:                              ;   in Loop: Header=BB302_10 Depth=1
	v_and_b32_e32 v0, 0xffff, v14
	v_mov_b32_e32 v1, 0x7c010000
	s_mov_b32 s8, exec_lo
	s_delay_alu instid0(VALU_DEP_2)
	v_and_b32_e32 v7, 0x7f, v0
	scratch_store_b32 off, v1, s32 offset:296 ; 4-byte Folded Spill
	s_wait_xcnt 0x0
	v_cmpx_ne_u32_e32 0x7f, v7
	s_cbranch_execz .LBB302_472
; %bb.469:                              ;   in Loop: Header=BB302_10 Depth=1
	v_dual_lshrrev_b32 v6, 3, v7 :: v_dual_bitop2_b32 v1, 7, v0 bitop3:0x40
	s_mov_b32 s11, exec_lo
	v_cmpx_gt_u32_e32 8, v7
; %bb.470:                              ;   in Loop: Header=BB302_10 Depth=1
	s_delay_alu instid0(VALU_DEP_2) | instskip(NEXT) | instid1(VALU_DEP_1)
	v_clz_i32_u32_e32 v1, v1
	v_min_u32_e32 v1, 32, v1
	s_delay_alu instid0(VALU_DEP_1) | instskip(NEXT) | instid1(VALU_DEP_1)
	v_subrev_nc_u32_e32 v6, 28, v1
	v_lshlrev_b64_e32 v[8:9], v6, v[14:15]
	s_delay_alu instid0(VALU_DEP_1)
	v_dual_sub_nc_u32 v6, 29, v1 :: v_dual_bitop2_b32 v1, 7, v8 bitop3:0x40
; %bb.471:                              ;   in Loop: Header=BB302_10 Depth=1
	s_or_b32 exec_lo, exec_lo, s11
	s_delay_alu instid0(VALU_DEP_1) | instskip(NEXT) | instid1(VALU_DEP_2)
	v_dual_lshlrev_b32 v0, 8, v0 :: v_dual_lshlrev_b32 v1, 23, v1
	v_lshl_add_u32 v6, v6, 10, 0x2000
	s_delay_alu instid0(VALU_DEP_1) | instskip(NEXT) | instid1(VALU_DEP_1)
	v_and_or_b32 v0, 0x8000, v0, v6
	v_lshl_or_b32 v0, v0, 16, v1
	scratch_store_b32 off, v0, s32 offset:296 ; 4-byte Folded Spill
.LBB302_472:                            ;   in Loop: Header=BB302_10 Depth=1
	s_wait_xcnt 0x0
	s_or_b32 exec_lo, exec_lo, s8
.LBB302_473:                            ;   in Loop: Header=BB302_10 Depth=1
	s_delay_alu instid0(SALU_CYCLE_1)
	s_or_b32 exec_lo, exec_lo, s7
.LBB302_474:                            ;   in Loop: Header=BB302_10 Depth=1
	s_delay_alu instid0(SALU_CYCLE_1) | instskip(SKIP_2) | instid1(VALU_DEP_1)
	s_or_b32 exec_lo, exec_lo, s6
	v_lshrrev_b32_e32 v8, 16, v4
	s_mov_b32 s6, exec_lo
	v_and_b32_e32 v0, 0xff, v8
	s_delay_alu instid0(VALU_DEP_1)
	v_cmpx_ne_u16_e32 0, v0
	s_cbranch_execz .LBB302_482
; %bb.475:                              ;   in Loop: Header=BB302_10 Depth=1
	v_cmp_ne_u16_e64 s1, 0x80, v0
	v_mov_b32_e32 v0, 0x8000
	scratch_store_b32 off, v0, s32 offset:292 ; 4-byte Folded Spill
	s_wait_xcnt 0x0
	s_and_saveexec_b32 s7, s1
	s_cbranch_execz .LBB302_481
; %bb.476:                              ;   in Loop: Header=BB302_10 Depth=1
	v_bfe_u32 v6, v4, 16, 7
	v_mov_b32_e32 v0, 0x7c01
	s_mov_b32 s8, exec_lo
	scratch_store_b32 off, v0, s32 offset:292 ; 4-byte Folded Spill
	s_wait_xcnt 0x0
	v_cmpx_ne_u32_e32 0x7f, v6
	s_cbranch_execz .LBB302_480
; %bb.477:                              ;   in Loop: Header=BB302_10 Depth=1
	v_dual_lshrrev_b32 v1, 3, v6 :: v_dual_bitop2_b32 v0, 7, v8 bitop3:0x40
	s_mov_b32 s11, exec_lo
	v_cmpx_gt_u32_e32 8, v6
; %bb.478:                              ;   in Loop: Header=BB302_10 Depth=1
	s_delay_alu instid0(VALU_DEP_2) | instskip(NEXT) | instid1(VALU_DEP_1)
	v_clz_i32_u32_e32 v0, v0
	v_min_u32_e32 v6, 32, v0
	s_delay_alu instid0(VALU_DEP_1) | instskip(NEXT) | instid1(VALU_DEP_1)
	v_subrev_nc_u32_e32 v0, 28, v6
	v_lshlrev_b64_e32 v[0:1], v0, v[8:9]
	s_delay_alu instid0(VALU_DEP_1)
	v_dual_sub_nc_u32 v1, 29, v6 :: v_dual_bitop2_b32 v0, 7, v0 bitop3:0x40
; %bb.479:                              ;   in Loop: Header=BB302_10 Depth=1
	s_or_b32 exec_lo, exec_lo, s11
	v_lshlrev_b32_e32 v6, 8, v8
	s_delay_alu instid0(VALU_DEP_2) | instskip(NEXT) | instid1(VALU_DEP_3)
	v_lshl_add_u32 v1, v1, 10, 0x2000
	v_lshlrev_b32_e32 v0, 7, v0
	s_delay_alu instid0(VALU_DEP_3) | instskip(NEXT) | instid1(VALU_DEP_3)
	v_and_b32_e32 v6, 0x8000, v6
	v_and_b32_e32 v1, 0xfc00, v1
	s_delay_alu instid0(VALU_DEP_1)
	v_or3_b32 v0, v6, v1, v0
	scratch_store_b32 off, v0, s32 offset:292 ; 4-byte Folded Spill
.LBB302_480:                            ;   in Loop: Header=BB302_10 Depth=1
	s_wait_xcnt 0x0
	s_or_b32 exec_lo, exec_lo, s8
.LBB302_481:                            ;   in Loop: Header=BB302_10 Depth=1
	s_delay_alu instid0(SALU_CYCLE_1)
	s_or_b32 exec_lo, exec_lo, s7
.LBB302_482:                            ;   in Loop: Header=BB302_10 Depth=1
	s_delay_alu instid0(SALU_CYCLE_1)
	s_or_b32 exec_lo, exec_lo, s6
	v_mov_b32_e32 v0, 0
	s_mov_b32 s6, exec_lo
	scratch_store_b32 off, v0, s32 offset:300 ; 4-byte Folded Spill
	s_wait_xcnt 0x0
	v_mov_b32_e32 v0, 0
	scratch_store_b32 off, v0, s32 offset:304 ; 4-byte Folded Spill
	s_wait_xcnt 0x0
	v_cmpx_lt_u32_e32 0xffffff, v4
	s_cbranch_execz .LBB302_490
; %bb.483:                              ;   in Loop: Header=BB302_10 Depth=1
	v_lshrrev_b32_e32 v14, 24, v4
	v_bfrev_b32_e32 v0, 1
	s_mov_b32 s7, exec_lo
	scratch_store_b32 off, v0, s32 offset:304 ; 4-byte Folded Spill
	s_wait_xcnt 0x0
	v_cmpx_ne_u32_e32 0x80, v14
	s_cbranch_execz .LBB302_489
; %bb.484:                              ;   in Loop: Header=BB302_10 Depth=1
	v_and_b32_e32 v6, 0x7f, v14
	v_mov_b32_e32 v0, 0x7c010000
	s_mov_b32 s8, exec_lo
	scratch_store_b32 off, v0, s32 offset:304 ; 4-byte Folded Spill
	s_wait_xcnt 0x0
	v_cmpx_ne_u32_e32 0x7f, v6
	s_cbranch_execz .LBB302_488
; %bb.485:                              ;   in Loop: Header=BB302_10 Depth=1
	v_and_b32_e32 v0, 7, v14
	v_lshrrev_b32_e32 v1, 3, v6
	s_mov_b32 s11, exec_lo
	v_cmpx_gt_u32_e32 8, v6
; %bb.486:                              ;   in Loop: Header=BB302_10 Depth=1
	s_delay_alu instid0(VALU_DEP_3) | instskip(NEXT) | instid1(VALU_DEP_1)
	v_clz_i32_u32_e32 v0, v0
	v_min_u32_e32 v6, 32, v0
	s_delay_alu instid0(VALU_DEP_1) | instskip(NEXT) | instid1(VALU_DEP_1)
	v_subrev_nc_u32_e32 v0, 28, v6
	v_lshlrev_b64_e32 v[0:1], v0, v[14:15]
	s_delay_alu instid0(VALU_DEP_1)
	v_dual_sub_nc_u32 v1, 29, v6 :: v_dual_bitop2_b32 v0, 7, v0 bitop3:0x40
; %bb.487:                              ;   in Loop: Header=BB302_10 Depth=1
	s_or_b32 exec_lo, exec_lo, s11
	s_delay_alu instid0(VALU_DEP_1) | instskip(NEXT) | instid1(VALU_DEP_2)
	v_dual_lshlrev_b32 v6, 8, v14 :: v_dual_lshlrev_b32 v0, 23, v0
	v_lshl_add_u32 v1, v1, 10, 0x2000
	s_delay_alu instid0(VALU_DEP_1) | instskip(NEXT) | instid1(VALU_DEP_1)
	v_and_or_b32 v1, 0x8000, v6, v1
	v_lshl_or_b32 v0, v1, 16, v0
	scratch_store_b32 off, v0, s32 offset:304 ; 4-byte Folded Spill
.LBB302_488:                            ;   in Loop: Header=BB302_10 Depth=1
	s_wait_xcnt 0x0
	s_or_b32 exec_lo, exec_lo, s8
.LBB302_489:                            ;   in Loop: Header=BB302_10 Depth=1
	s_delay_alu instid0(SALU_CYCLE_1)
	s_or_b32 exec_lo, exec_lo, s7
.LBB302_490:                            ;   in Loop: Header=BB302_10 Depth=1
	s_delay_alu instid0(SALU_CYCLE_1) | instskip(SKIP_3) | instid1(VALU_DEP_2)
	s_or_b32 exec_lo, exec_lo, s6
	v_and_b32_e32 v0, 0xff, v5
	v_mov_b32_e32 v14, v5
	s_mov_b32 s6, exec_lo
	v_cmpx_ne_u16_e32 0, v0
	s_cbranch_execz .LBB302_498
; %bb.491:                              ;   in Loop: Header=BB302_10 Depth=1
	v_cmp_ne_u16_e64 s1, 0x80, v0
	v_mov_b32_e32 v0, 0x8000
	scratch_store_b32 off, v0, s32 offset:300 ; 4-byte Folded Spill
	s_wait_xcnt 0x0
	s_and_saveexec_b32 s7, s1
	s_cbranch_execz .LBB302_497
; %bb.492:                              ;   in Loop: Header=BB302_10 Depth=1
	v_and_b32_e32 v6, 0x7f, v5
	v_mov_b32_e32 v0, 0x7c01
	s_mov_b32 s8, exec_lo
	scratch_store_b32 off, v0, s32 offset:300 ; 4-byte Folded Spill
	s_wait_xcnt 0x0
	v_cmpx_ne_u32_e32 0x7f, v6
	s_cbranch_execz .LBB302_496
; %bb.493:                              ;   in Loop: Header=BB302_10 Depth=1
	v_dual_lshrrev_b32 v1, 3, v6 :: v_dual_bitop2_b32 v0, 7, v5 bitop3:0x40
	s_mov_b32 s11, exec_lo
	v_cmpx_gt_u32_e32 8, v6
; %bb.494:                              ;   in Loop: Header=BB302_10 Depth=1
	s_delay_alu instid0(VALU_DEP_2) | instskip(NEXT) | instid1(VALU_DEP_1)
	v_clz_i32_u32_e32 v0, v0
	v_min_u32_e32 v6, 32, v0
	s_delay_alu instid0(VALU_DEP_1) | instskip(NEXT) | instid1(VALU_DEP_1)
	v_subrev_nc_u32_e32 v0, 28, v6
	v_lshlrev_b64_e32 v[0:1], v0, v[14:15]
	s_delay_alu instid0(VALU_DEP_1)
	v_dual_sub_nc_u32 v1, 29, v6 :: v_dual_bitop2_b32 v0, 7, v0 bitop3:0x40
; %bb.495:                              ;   in Loop: Header=BB302_10 Depth=1
	s_or_b32 exec_lo, exec_lo, s11
	s_delay_alu instid0(VALU_DEP_1) | instskip(NEXT) | instid1(VALU_DEP_2)
	v_dual_lshlrev_b32 v6, 8, v5 :: v_dual_lshlrev_b32 v0, 7, v0
	v_lshl_add_u32 v1, v1, 10, 0x2000
	s_delay_alu instid0(VALU_DEP_2) | instskip(NEXT) | instid1(VALU_DEP_2)
	v_and_b32_e32 v6, 0x8000, v6
	v_and_b32_e32 v1, 0xfc00, v1
	s_delay_alu instid0(VALU_DEP_1)
	v_or3_b32 v0, v6, v1, v0
	scratch_store_b32 off, v0, s32 offset:300 ; 4-byte Folded Spill
.LBB302_496:                            ;   in Loop: Header=BB302_10 Depth=1
	s_wait_xcnt 0x0
	s_or_b32 exec_lo, exec_lo, s8
.LBB302_497:                            ;   in Loop: Header=BB302_10 Depth=1
	s_delay_alu instid0(SALU_CYCLE_1)
	s_or_b32 exec_lo, exec_lo, s7
.LBB302_498:                            ;   in Loop: Header=BB302_10 Depth=1
	s_delay_alu instid0(SALU_CYCLE_1)
	s_or_b32 exec_lo, exec_lo, s6
	v_mov_b32_e32 v0, 0
	v_lshrrev_b16 v14, 8, v14
	s_mov_b32 s6, exec_lo
	scratch_store_b32 off, v0, s32 offset:308 ; 4-byte Folded Spill
	s_wait_xcnt 0x0
	v_mov_b32_e32 v0, 0
	scratch_store_b32 off, v0, s32 offset:312 ; 4-byte Folded Spill
	s_wait_xcnt 0x0
	v_cmpx_ne_u16_e32 0, v14
	s_cbranch_execz .LBB302_506
; %bb.499:                              ;   in Loop: Header=BB302_10 Depth=1
	v_bfrev_b32_e32 v0, 1
	s_mov_b32 s7, exec_lo
	scratch_store_b32 off, v0, s32 offset:312 ; 4-byte Folded Spill
	s_wait_xcnt 0x0
	v_cmpx_ne_u16_e32 0x80, v14
	s_cbranch_execz .LBB302_505
; %bb.500:                              ;   in Loop: Header=BB302_10 Depth=1
	v_and_b32_e32 v0, 0xffff, v14
	v_mov_b32_e32 v1, 0x7c010000
	s_mov_b32 s8, exec_lo
	s_delay_alu instid0(VALU_DEP_2)
	v_and_b32_e32 v7, 0x7f, v0
	scratch_store_b32 off, v1, s32 offset:312 ; 4-byte Folded Spill
	s_wait_xcnt 0x0
	v_cmpx_ne_u32_e32 0x7f, v7
	s_cbranch_execz .LBB302_504
; %bb.501:                              ;   in Loop: Header=BB302_10 Depth=1
	v_dual_lshrrev_b32 v6, 3, v7 :: v_dual_bitop2_b32 v1, 7, v0 bitop3:0x40
	s_mov_b32 s11, exec_lo
	v_cmpx_gt_u32_e32 8, v7
; %bb.502:                              ;   in Loop: Header=BB302_10 Depth=1
	s_delay_alu instid0(VALU_DEP_2) | instskip(NEXT) | instid1(VALU_DEP_1)
	v_clz_i32_u32_e32 v1, v1
	v_min_u32_e32 v1, 32, v1
	s_delay_alu instid0(VALU_DEP_1) | instskip(NEXT) | instid1(VALU_DEP_1)
	v_subrev_nc_u32_e32 v6, 28, v1
	v_lshlrev_b64_e32 v[8:9], v6, v[14:15]
	s_delay_alu instid0(VALU_DEP_1)
	v_dual_sub_nc_u32 v6, 29, v1 :: v_dual_bitop2_b32 v1, 7, v8 bitop3:0x40
; %bb.503:                              ;   in Loop: Header=BB302_10 Depth=1
	s_or_b32 exec_lo, exec_lo, s11
	s_delay_alu instid0(VALU_DEP_1) | instskip(NEXT) | instid1(VALU_DEP_2)
	v_dual_lshlrev_b32 v0, 8, v0 :: v_dual_lshlrev_b32 v1, 23, v1
	v_lshl_add_u32 v6, v6, 10, 0x2000
	s_delay_alu instid0(VALU_DEP_1) | instskip(NEXT) | instid1(VALU_DEP_1)
	v_and_or_b32 v0, 0x8000, v0, v6
	v_lshl_or_b32 v0, v0, 16, v1
	scratch_store_b32 off, v0, s32 offset:312 ; 4-byte Folded Spill
.LBB302_504:                            ;   in Loop: Header=BB302_10 Depth=1
	s_wait_xcnt 0x0
	s_or_b32 exec_lo, exec_lo, s8
.LBB302_505:                            ;   in Loop: Header=BB302_10 Depth=1
	s_delay_alu instid0(SALU_CYCLE_1)
	s_or_b32 exec_lo, exec_lo, s7
.LBB302_506:                            ;   in Loop: Header=BB302_10 Depth=1
	s_delay_alu instid0(SALU_CYCLE_1) | instskip(SKIP_2) | instid1(VALU_DEP_1)
	s_or_b32 exec_lo, exec_lo, s6
	v_lshrrev_b32_e32 v8, 16, v5
	s_mov_b32 s6, exec_lo
	v_and_b32_e32 v0, 0xff, v8
	s_delay_alu instid0(VALU_DEP_1)
	v_cmpx_ne_u16_e32 0, v0
	s_cbranch_execz .LBB302_514
; %bb.507:                              ;   in Loop: Header=BB302_10 Depth=1
	v_cmp_ne_u16_e64 s1, 0x80, v0
	v_mov_b32_e32 v0, 0x8000
	scratch_store_b32 off, v0, s32 offset:308 ; 4-byte Folded Spill
	s_wait_xcnt 0x0
	s_and_saveexec_b32 s7, s1
	s_cbranch_execz .LBB302_513
; %bb.508:                              ;   in Loop: Header=BB302_10 Depth=1
	v_bfe_u32 v6, v5, 16, 7
	v_mov_b32_e32 v0, 0x7c01
	s_mov_b32 s8, exec_lo
	scratch_store_b32 off, v0, s32 offset:308 ; 4-byte Folded Spill
	s_wait_xcnt 0x0
	v_cmpx_ne_u32_e32 0x7f, v6
	s_cbranch_execz .LBB302_512
; %bb.509:                              ;   in Loop: Header=BB302_10 Depth=1
	v_dual_lshrrev_b32 v1, 3, v6 :: v_dual_bitop2_b32 v0, 7, v8 bitop3:0x40
	s_mov_b32 s11, exec_lo
	v_cmpx_gt_u32_e32 8, v6
; %bb.510:                              ;   in Loop: Header=BB302_10 Depth=1
	s_delay_alu instid0(VALU_DEP_2) | instskip(NEXT) | instid1(VALU_DEP_1)
	v_clz_i32_u32_e32 v0, v0
	v_min_u32_e32 v6, 32, v0
	s_delay_alu instid0(VALU_DEP_1) | instskip(NEXT) | instid1(VALU_DEP_1)
	v_subrev_nc_u32_e32 v0, 28, v6
	v_lshlrev_b64_e32 v[0:1], v0, v[8:9]
	s_delay_alu instid0(VALU_DEP_1)
	v_dual_sub_nc_u32 v1, 29, v6 :: v_dual_bitop2_b32 v0, 7, v0 bitop3:0x40
; %bb.511:                              ;   in Loop: Header=BB302_10 Depth=1
	s_or_b32 exec_lo, exec_lo, s11
	v_lshlrev_b32_e32 v6, 8, v8
	s_delay_alu instid0(VALU_DEP_2) | instskip(NEXT) | instid1(VALU_DEP_3)
	v_lshl_add_u32 v1, v1, 10, 0x2000
	v_lshlrev_b32_e32 v0, 7, v0
	s_delay_alu instid0(VALU_DEP_3) | instskip(NEXT) | instid1(VALU_DEP_3)
	v_and_b32_e32 v6, 0x8000, v6
	v_and_b32_e32 v1, 0xfc00, v1
	s_delay_alu instid0(VALU_DEP_1)
	v_or3_b32 v0, v6, v1, v0
	scratch_store_b32 off, v0, s32 offset:308 ; 4-byte Folded Spill
.LBB302_512:                            ;   in Loop: Header=BB302_10 Depth=1
	s_wait_xcnt 0x0
	s_or_b32 exec_lo, exec_lo, s8
.LBB302_513:                            ;   in Loop: Header=BB302_10 Depth=1
	s_delay_alu instid0(SALU_CYCLE_1)
	s_or_b32 exec_lo, exec_lo, s7
.LBB302_514:                            ;   in Loop: Header=BB302_10 Depth=1
	s_delay_alu instid0(SALU_CYCLE_1)
	s_or_b32 exec_lo, exec_lo, s6
	v_mov_b32_e32 v0, 0
	s_mov_b32 s6, exec_lo
	scratch_store_b32 off, v0, s32 offset:316 ; 4-byte Folded Spill
	s_wait_xcnt 0x0
	v_mov_b32_e32 v0, 0
	scratch_store_b32 off, v0, s32 offset:768 ; 4-byte Folded Spill
	s_wait_xcnt 0x0
	v_cmpx_lt_u64_e64 s[2:3], v[4:5]
	s_cbranch_execz .LBB302_522
; %bb.515:                              ;   in Loop: Header=BB302_10 Depth=1
	v_lshrrev_b32_e32 v14, 24, v5
	v_bfrev_b32_e32 v0, 1
	s_mov_b32 s7, exec_lo
	s_delay_alu instid0(VALU_DEP_2)
	v_cmpx_ne_u32_e32 0x80, v14
	s_cbranch_execz .LBB302_521
; %bb.516:                              ;   in Loop: Header=BB302_10 Depth=1
	v_and_b32_e32 v4, 0x7f, v14
	v_mov_b32_e32 v0, 0x7c010000
	s_mov_b32 s8, exec_lo
	s_delay_alu instid0(VALU_DEP_2)
	v_cmpx_ne_u32_e32 0x7f, v4
	s_cbranch_execz .LBB302_520
; %bb.517:                              ;   in Loop: Header=BB302_10 Depth=1
	v_dual_lshrrev_b32 v1, 3, v4 :: v_dual_bitop2_b32 v0, 7, v14 bitop3:0x40
	s_mov_b32 s11, exec_lo
	v_cmpx_gt_u32_e32 8, v4
; %bb.518:                              ;   in Loop: Header=BB302_10 Depth=1
	s_delay_alu instid0(VALU_DEP_2) | instskip(NEXT) | instid1(VALU_DEP_1)
	v_clz_i32_u32_e32 v0, v0
	v_min_u32_e32 v4, 32, v0
	s_delay_alu instid0(VALU_DEP_1) | instskip(NEXT) | instid1(VALU_DEP_1)
	v_subrev_nc_u32_e32 v0, 28, v4
	v_lshlrev_b64_e32 v[0:1], v0, v[14:15]
	v_sub_nc_u32_e32 v1, 29, v4
	s_delay_alu instid0(VALU_DEP_2)
	v_and_b32_e32 v0, 7, v0
; %bb.519:                              ;   in Loop: Header=BB302_10 Depth=1
	s_or_b32 exec_lo, exec_lo, s11
	s_delay_alu instid0(VALU_DEP_1) | instskip(NEXT) | instid1(VALU_DEP_3)
	v_dual_lshlrev_b32 v4, 8, v14 :: v_dual_lshlrev_b32 v0, 23, v0
	v_lshl_add_u32 v1, v1, 10, 0x2000
	s_delay_alu instid0(VALU_DEP_1) | instskip(NEXT) | instid1(VALU_DEP_1)
	v_and_or_b32 v1, 0x8000, v4, v1
	v_lshl_or_b32 v0, v1, 16, v0
.LBB302_520:                            ;   in Loop: Header=BB302_10 Depth=1
	s_or_b32 exec_lo, exec_lo, s8
.LBB302_521:                            ;   in Loop: Header=BB302_10 Depth=1
	s_delay_alu instid0(SALU_CYCLE_1)
	s_or_b32 exec_lo, exec_lo, s7
	scratch_store_b32 off, v0, s32 offset:768 ; 4-byte Folded Spill
.LBB302_522:                            ;   in Loop: Header=BB302_10 Depth=1
	s_wait_xcnt 0x0
	s_or_b32 exec_lo, exec_lo, s6
	flat_load_b64 v[4:5], v[2:3] offset:2048
	s_mov_b32 s6, exec_lo
	s_wait_loadcnt_dscnt 0x0
	v_and_b32_e32 v0, 0xff, v4
	s_wait_xcnt 0x0
	s_delay_alu instid0(VALU_DEP_1)
	v_cmpx_ne_u16_e32 0, v0
	s_cbranch_execz .LBB302_530
; %bb.523:                              ;   in Loop: Header=BB302_10 Depth=1
	v_cmp_ne_u16_e64 s1, 0x80, v0
	v_mov_b32_e32 v0, 0x8000
	scratch_store_b32 off, v0, s32 offset:316 ; 4-byte Folded Spill
	s_wait_xcnt 0x0
	s_and_saveexec_b32 s7, s1
	s_cbranch_execz .LBB302_529
; %bb.524:                              ;   in Loop: Header=BB302_10 Depth=1
	v_and_b32_e32 v6, 0x7f, v4
	v_mov_b32_e32 v0, 0x7c01
	s_mov_b32 s8, exec_lo
	scratch_store_b32 off, v0, s32 offset:316 ; 4-byte Folded Spill
	s_wait_xcnt 0x0
	v_cmpx_ne_u32_e32 0x7f, v6
	s_cbranch_execz .LBB302_528
; %bb.525:                              ;   in Loop: Header=BB302_10 Depth=1
	v_dual_lshrrev_b32 v1, 3, v6 :: v_dual_bitop2_b32 v0, 7, v4 bitop3:0x40
	s_mov_b32 s11, exec_lo
	v_cmpx_gt_u32_e32 8, v6
; %bb.526:                              ;   in Loop: Header=BB302_10 Depth=1
	s_delay_alu instid0(VALU_DEP_2) | instskip(NEXT) | instid1(VALU_DEP_1)
	v_clz_i32_u32_e32 v0, v0
	v_min_u32_e32 v6, 32, v0
	s_delay_alu instid0(VALU_DEP_1) | instskip(NEXT) | instid1(VALU_DEP_1)
	v_subrev_nc_u32_e32 v0, 28, v6
	v_lshlrev_b64_e32 v[0:1], v0, v[4:5]
	s_delay_alu instid0(VALU_DEP_1)
	v_dual_sub_nc_u32 v1, 29, v6 :: v_dual_bitop2_b32 v0, 7, v0 bitop3:0x40
; %bb.527:                              ;   in Loop: Header=BB302_10 Depth=1
	s_or_b32 exec_lo, exec_lo, s11
	v_lshlrev_b32_e32 v6, 8, v4
	s_delay_alu instid0(VALU_DEP_2) | instskip(NEXT) | instid1(VALU_DEP_3)
	v_lshl_add_u32 v1, v1, 10, 0x2000
	v_lshlrev_b32_e32 v0, 7, v0
	s_delay_alu instid0(VALU_DEP_3) | instskip(NEXT) | instid1(VALU_DEP_3)
	v_and_b32_e32 v6, 0x8000, v6
	v_and_b32_e32 v1, 0xfc00, v1
	s_delay_alu instid0(VALU_DEP_1)
	v_or3_b32 v0, v6, v1, v0
	scratch_store_b32 off, v0, s32 offset:316 ; 4-byte Folded Spill
.LBB302_528:                            ;   in Loop: Header=BB302_10 Depth=1
	s_wait_xcnt 0x0
	s_or_b32 exec_lo, exec_lo, s8
.LBB302_529:                            ;   in Loop: Header=BB302_10 Depth=1
	s_delay_alu instid0(SALU_CYCLE_1)
	s_or_b32 exec_lo, exec_lo, s7
.LBB302_530:                            ;   in Loop: Header=BB302_10 Depth=1
	s_delay_alu instid0(SALU_CYCLE_1)
	s_or_b32 exec_lo, exec_lo, s6
	v_mov_b32_e32 v0, 0
	v_lshrrev_b16 v14, 8, v4
	s_mov_b32 s6, exec_lo
	scratch_store_b32 off, v0, s32 offset:320 ; 4-byte Folded Spill
	s_wait_xcnt 0x0
	v_mov_b32_e32 v0, 0
	scratch_store_b32 off, v0, s32 offset:324 ; 4-byte Folded Spill
	s_wait_xcnt 0x0
	v_cmpx_ne_u16_e32 0, v14
	s_cbranch_execz .LBB302_538
; %bb.531:                              ;   in Loop: Header=BB302_10 Depth=1
	v_bfrev_b32_e32 v0, 1
	s_mov_b32 s7, exec_lo
	scratch_store_b32 off, v0, s32 offset:324 ; 4-byte Folded Spill
	s_wait_xcnt 0x0
	v_cmpx_ne_u16_e32 0x80, v14
	s_cbranch_execz .LBB302_537
; %bb.532:                              ;   in Loop: Header=BB302_10 Depth=1
	v_and_b32_e32 v0, 0xffff, v14
	v_mov_b32_e32 v1, 0x7c010000
	s_mov_b32 s8, exec_lo
	s_delay_alu instid0(VALU_DEP_2)
	v_and_b32_e32 v7, 0x7f, v0
	scratch_store_b32 off, v1, s32 offset:324 ; 4-byte Folded Spill
	s_wait_xcnt 0x0
	v_cmpx_ne_u32_e32 0x7f, v7
	s_cbranch_execz .LBB302_536
; %bb.533:                              ;   in Loop: Header=BB302_10 Depth=1
	v_dual_lshrrev_b32 v6, 3, v7 :: v_dual_bitop2_b32 v1, 7, v0 bitop3:0x40
	s_mov_b32 s11, exec_lo
	v_cmpx_gt_u32_e32 8, v7
; %bb.534:                              ;   in Loop: Header=BB302_10 Depth=1
	s_delay_alu instid0(VALU_DEP_2) | instskip(NEXT) | instid1(VALU_DEP_1)
	v_clz_i32_u32_e32 v1, v1
	v_min_u32_e32 v1, 32, v1
	s_delay_alu instid0(VALU_DEP_1) | instskip(NEXT) | instid1(VALU_DEP_1)
	v_subrev_nc_u32_e32 v6, 28, v1
	v_lshlrev_b64_e32 v[8:9], v6, v[14:15]
	s_delay_alu instid0(VALU_DEP_1)
	v_dual_sub_nc_u32 v6, 29, v1 :: v_dual_bitop2_b32 v1, 7, v8 bitop3:0x40
; %bb.535:                              ;   in Loop: Header=BB302_10 Depth=1
	s_or_b32 exec_lo, exec_lo, s11
	s_delay_alu instid0(VALU_DEP_1) | instskip(NEXT) | instid1(VALU_DEP_2)
	v_dual_lshlrev_b32 v0, 8, v0 :: v_dual_lshlrev_b32 v1, 23, v1
	v_lshl_add_u32 v6, v6, 10, 0x2000
	s_delay_alu instid0(VALU_DEP_1) | instskip(NEXT) | instid1(VALU_DEP_1)
	v_and_or_b32 v0, 0x8000, v0, v6
	v_lshl_or_b32 v0, v0, 16, v1
	scratch_store_b32 off, v0, s32 offset:324 ; 4-byte Folded Spill
.LBB302_536:                            ;   in Loop: Header=BB302_10 Depth=1
	s_wait_xcnt 0x0
	s_or_b32 exec_lo, exec_lo, s8
.LBB302_537:                            ;   in Loop: Header=BB302_10 Depth=1
	s_delay_alu instid0(SALU_CYCLE_1)
	s_or_b32 exec_lo, exec_lo, s7
.LBB302_538:                            ;   in Loop: Header=BB302_10 Depth=1
	s_delay_alu instid0(SALU_CYCLE_1) | instskip(SKIP_2) | instid1(VALU_DEP_1)
	s_or_b32 exec_lo, exec_lo, s6
	v_lshrrev_b32_e32 v8, 16, v4
	s_mov_b32 s6, exec_lo
	v_and_b32_e32 v0, 0xff, v8
	s_delay_alu instid0(VALU_DEP_1)
	v_cmpx_ne_u16_e32 0, v0
	s_cbranch_execz .LBB302_546
; %bb.539:                              ;   in Loop: Header=BB302_10 Depth=1
	v_cmp_ne_u16_e64 s1, 0x80, v0
	v_mov_b32_e32 v0, 0x8000
	scratch_store_b32 off, v0, s32 offset:320 ; 4-byte Folded Spill
	s_wait_xcnt 0x0
	s_and_saveexec_b32 s7, s1
	s_cbranch_execz .LBB302_545
; %bb.540:                              ;   in Loop: Header=BB302_10 Depth=1
	v_bfe_u32 v6, v4, 16, 7
	v_mov_b32_e32 v0, 0x7c01
	s_mov_b32 s8, exec_lo
	scratch_store_b32 off, v0, s32 offset:320 ; 4-byte Folded Spill
	s_wait_xcnt 0x0
	v_cmpx_ne_u32_e32 0x7f, v6
	s_cbranch_execz .LBB302_544
; %bb.541:                              ;   in Loop: Header=BB302_10 Depth=1
	v_dual_lshrrev_b32 v1, 3, v6 :: v_dual_bitop2_b32 v0, 7, v8 bitop3:0x40
	s_mov_b32 s11, exec_lo
	v_cmpx_gt_u32_e32 8, v6
; %bb.542:                              ;   in Loop: Header=BB302_10 Depth=1
	s_delay_alu instid0(VALU_DEP_2) | instskip(NEXT) | instid1(VALU_DEP_1)
	v_clz_i32_u32_e32 v0, v0
	v_min_u32_e32 v6, 32, v0
	s_delay_alu instid0(VALU_DEP_1) | instskip(NEXT) | instid1(VALU_DEP_1)
	v_subrev_nc_u32_e32 v0, 28, v6
	v_lshlrev_b64_e32 v[0:1], v0, v[8:9]
	s_delay_alu instid0(VALU_DEP_1)
	v_dual_sub_nc_u32 v1, 29, v6 :: v_dual_bitop2_b32 v0, 7, v0 bitop3:0x40
; %bb.543:                              ;   in Loop: Header=BB302_10 Depth=1
	s_or_b32 exec_lo, exec_lo, s11
	v_lshlrev_b32_e32 v6, 8, v8
	s_delay_alu instid0(VALU_DEP_2) | instskip(NEXT) | instid1(VALU_DEP_3)
	v_lshl_add_u32 v1, v1, 10, 0x2000
	v_lshlrev_b32_e32 v0, 7, v0
	s_delay_alu instid0(VALU_DEP_3) | instskip(NEXT) | instid1(VALU_DEP_3)
	v_and_b32_e32 v6, 0x8000, v6
	v_and_b32_e32 v1, 0xfc00, v1
	s_delay_alu instid0(VALU_DEP_1)
	v_or3_b32 v0, v6, v1, v0
	scratch_store_b32 off, v0, s32 offset:320 ; 4-byte Folded Spill
.LBB302_544:                            ;   in Loop: Header=BB302_10 Depth=1
	s_wait_xcnt 0x0
	s_or_b32 exec_lo, exec_lo, s8
.LBB302_545:                            ;   in Loop: Header=BB302_10 Depth=1
	s_delay_alu instid0(SALU_CYCLE_1)
	s_or_b32 exec_lo, exec_lo, s7
.LBB302_546:                            ;   in Loop: Header=BB302_10 Depth=1
	s_delay_alu instid0(SALU_CYCLE_1)
	s_or_b32 exec_lo, exec_lo, s6
	v_mov_b32_e32 v0, 0
	s_mov_b32 s6, exec_lo
	scratch_store_b32 off, v0, s32 offset:332 ; 4-byte Folded Spill
	s_wait_xcnt 0x0
	v_mov_b32_e32 v0, 0
	scratch_store_b32 off, v0, s32 offset:336 ; 4-byte Folded Spill
	s_wait_xcnt 0x0
	v_cmpx_lt_u32_e32 0xffffff, v4
	s_cbranch_execz .LBB302_554
; %bb.547:                              ;   in Loop: Header=BB302_10 Depth=1
	v_lshrrev_b32_e32 v14, 24, v4
	v_bfrev_b32_e32 v0, 1
	s_mov_b32 s7, exec_lo
	scratch_store_b32 off, v0, s32 offset:336 ; 4-byte Folded Spill
	s_wait_xcnt 0x0
	v_cmpx_ne_u32_e32 0x80, v14
	s_cbranch_execz .LBB302_553
; %bb.548:                              ;   in Loop: Header=BB302_10 Depth=1
	v_and_b32_e32 v6, 0x7f, v14
	v_mov_b32_e32 v0, 0x7c010000
	s_mov_b32 s8, exec_lo
	scratch_store_b32 off, v0, s32 offset:336 ; 4-byte Folded Spill
	s_wait_xcnt 0x0
	v_cmpx_ne_u32_e32 0x7f, v6
	s_cbranch_execz .LBB302_552
; %bb.549:                              ;   in Loop: Header=BB302_10 Depth=1
	v_and_b32_e32 v0, 7, v14
	v_lshrrev_b32_e32 v1, 3, v6
	s_mov_b32 s11, exec_lo
	v_cmpx_gt_u32_e32 8, v6
; %bb.550:                              ;   in Loop: Header=BB302_10 Depth=1
	s_delay_alu instid0(VALU_DEP_3) | instskip(NEXT) | instid1(VALU_DEP_1)
	v_clz_i32_u32_e32 v0, v0
	v_min_u32_e32 v6, 32, v0
	s_delay_alu instid0(VALU_DEP_1) | instskip(NEXT) | instid1(VALU_DEP_1)
	v_subrev_nc_u32_e32 v0, 28, v6
	v_lshlrev_b64_e32 v[0:1], v0, v[14:15]
	s_delay_alu instid0(VALU_DEP_1)
	v_dual_sub_nc_u32 v1, 29, v6 :: v_dual_bitop2_b32 v0, 7, v0 bitop3:0x40
; %bb.551:                              ;   in Loop: Header=BB302_10 Depth=1
	s_or_b32 exec_lo, exec_lo, s11
	s_delay_alu instid0(VALU_DEP_1) | instskip(NEXT) | instid1(VALU_DEP_2)
	v_dual_lshlrev_b32 v6, 8, v14 :: v_dual_lshlrev_b32 v0, 23, v0
	v_lshl_add_u32 v1, v1, 10, 0x2000
	s_delay_alu instid0(VALU_DEP_1) | instskip(NEXT) | instid1(VALU_DEP_1)
	v_and_or_b32 v1, 0x8000, v6, v1
	v_lshl_or_b32 v0, v1, 16, v0
	scratch_store_b32 off, v0, s32 offset:336 ; 4-byte Folded Spill
.LBB302_552:                            ;   in Loop: Header=BB302_10 Depth=1
	s_wait_xcnt 0x0
	s_or_b32 exec_lo, exec_lo, s8
.LBB302_553:                            ;   in Loop: Header=BB302_10 Depth=1
	s_delay_alu instid0(SALU_CYCLE_1)
	s_or_b32 exec_lo, exec_lo, s7
.LBB302_554:                            ;   in Loop: Header=BB302_10 Depth=1
	s_delay_alu instid0(SALU_CYCLE_1) | instskip(SKIP_3) | instid1(VALU_DEP_2)
	s_or_b32 exec_lo, exec_lo, s6
	v_and_b32_e32 v0, 0xff, v5
	v_mov_b32_e32 v14, v5
	s_mov_b32 s6, exec_lo
	v_cmpx_ne_u16_e32 0, v0
	s_cbranch_execz .LBB302_562
; %bb.555:                              ;   in Loop: Header=BB302_10 Depth=1
	v_cmp_ne_u16_e64 s1, 0x80, v0
	v_mov_b32_e32 v0, 0x8000
	scratch_store_b32 off, v0, s32 offset:332 ; 4-byte Folded Spill
	s_wait_xcnt 0x0
	s_and_saveexec_b32 s7, s1
	s_cbranch_execz .LBB302_561
; %bb.556:                              ;   in Loop: Header=BB302_10 Depth=1
	v_and_b32_e32 v6, 0x7f, v5
	v_mov_b32_e32 v0, 0x7c01
	s_mov_b32 s8, exec_lo
	scratch_store_b32 off, v0, s32 offset:332 ; 4-byte Folded Spill
	s_wait_xcnt 0x0
	v_cmpx_ne_u32_e32 0x7f, v6
	s_cbranch_execz .LBB302_560
; %bb.557:                              ;   in Loop: Header=BB302_10 Depth=1
	v_dual_lshrrev_b32 v1, 3, v6 :: v_dual_bitop2_b32 v0, 7, v5 bitop3:0x40
	s_mov_b32 s11, exec_lo
	v_cmpx_gt_u32_e32 8, v6
; %bb.558:                              ;   in Loop: Header=BB302_10 Depth=1
	s_delay_alu instid0(VALU_DEP_2) | instskip(NEXT) | instid1(VALU_DEP_1)
	v_clz_i32_u32_e32 v0, v0
	v_min_u32_e32 v6, 32, v0
	s_delay_alu instid0(VALU_DEP_1) | instskip(NEXT) | instid1(VALU_DEP_1)
	v_subrev_nc_u32_e32 v0, 28, v6
	v_lshlrev_b64_e32 v[0:1], v0, v[14:15]
	s_delay_alu instid0(VALU_DEP_1)
	v_dual_sub_nc_u32 v1, 29, v6 :: v_dual_bitop2_b32 v0, 7, v0 bitop3:0x40
; %bb.559:                              ;   in Loop: Header=BB302_10 Depth=1
	s_or_b32 exec_lo, exec_lo, s11
	s_delay_alu instid0(VALU_DEP_1) | instskip(NEXT) | instid1(VALU_DEP_2)
	v_dual_lshlrev_b32 v6, 8, v5 :: v_dual_lshlrev_b32 v0, 7, v0
	v_lshl_add_u32 v1, v1, 10, 0x2000
	s_delay_alu instid0(VALU_DEP_2) | instskip(NEXT) | instid1(VALU_DEP_2)
	v_and_b32_e32 v6, 0x8000, v6
	v_and_b32_e32 v1, 0xfc00, v1
	s_delay_alu instid0(VALU_DEP_1)
	v_or3_b32 v0, v6, v1, v0
	scratch_store_b32 off, v0, s32 offset:332 ; 4-byte Folded Spill
.LBB302_560:                            ;   in Loop: Header=BB302_10 Depth=1
	s_wait_xcnt 0x0
	s_or_b32 exec_lo, exec_lo, s8
.LBB302_561:                            ;   in Loop: Header=BB302_10 Depth=1
	s_delay_alu instid0(SALU_CYCLE_1)
	s_or_b32 exec_lo, exec_lo, s7
.LBB302_562:                            ;   in Loop: Header=BB302_10 Depth=1
	s_delay_alu instid0(SALU_CYCLE_1)
	s_or_b32 exec_lo, exec_lo, s6
	v_mov_b32_e32 v0, 0
	v_lshrrev_b16 v14, 8, v14
	s_mov_b32 s6, exec_lo
	scratch_store_b32 off, v0, s32 offset:348 ; 4-byte Folded Spill
	s_wait_xcnt 0x0
	v_mov_b32_e32 v0, 0
	scratch_store_b32 off, v0, s32 offset:352 ; 4-byte Folded Spill
	s_wait_xcnt 0x0
	v_cmpx_ne_u16_e32 0, v14
	s_cbranch_execz .LBB302_570
; %bb.563:                              ;   in Loop: Header=BB302_10 Depth=1
	v_bfrev_b32_e32 v0, 1
	s_mov_b32 s7, exec_lo
	scratch_store_b32 off, v0, s32 offset:352 ; 4-byte Folded Spill
	s_wait_xcnt 0x0
	v_cmpx_ne_u16_e32 0x80, v14
	s_cbranch_execz .LBB302_569
; %bb.564:                              ;   in Loop: Header=BB302_10 Depth=1
	v_and_b32_e32 v0, 0xffff, v14
	v_mov_b32_e32 v1, 0x7c010000
	s_mov_b32 s8, exec_lo
	s_delay_alu instid0(VALU_DEP_2)
	v_and_b32_e32 v7, 0x7f, v0
	scratch_store_b32 off, v1, s32 offset:352 ; 4-byte Folded Spill
	s_wait_xcnt 0x0
	v_cmpx_ne_u32_e32 0x7f, v7
	s_cbranch_execz .LBB302_568
; %bb.565:                              ;   in Loop: Header=BB302_10 Depth=1
	v_dual_lshrrev_b32 v6, 3, v7 :: v_dual_bitop2_b32 v1, 7, v0 bitop3:0x40
	s_mov_b32 s11, exec_lo
	v_cmpx_gt_u32_e32 8, v7
; %bb.566:                              ;   in Loop: Header=BB302_10 Depth=1
	s_delay_alu instid0(VALU_DEP_2) | instskip(NEXT) | instid1(VALU_DEP_1)
	v_clz_i32_u32_e32 v1, v1
	v_min_u32_e32 v1, 32, v1
	s_delay_alu instid0(VALU_DEP_1) | instskip(NEXT) | instid1(VALU_DEP_1)
	v_subrev_nc_u32_e32 v6, 28, v1
	v_lshlrev_b64_e32 v[8:9], v6, v[14:15]
	s_delay_alu instid0(VALU_DEP_1)
	v_dual_sub_nc_u32 v6, 29, v1 :: v_dual_bitop2_b32 v1, 7, v8 bitop3:0x40
; %bb.567:                              ;   in Loop: Header=BB302_10 Depth=1
	s_or_b32 exec_lo, exec_lo, s11
	s_delay_alu instid0(VALU_DEP_1) | instskip(NEXT) | instid1(VALU_DEP_2)
	v_dual_lshlrev_b32 v0, 8, v0 :: v_dual_lshlrev_b32 v1, 23, v1
	v_lshl_add_u32 v6, v6, 10, 0x2000
	s_delay_alu instid0(VALU_DEP_1) | instskip(NEXT) | instid1(VALU_DEP_1)
	v_and_or_b32 v0, 0x8000, v0, v6
	v_lshl_or_b32 v0, v0, 16, v1
	scratch_store_b32 off, v0, s32 offset:352 ; 4-byte Folded Spill
.LBB302_568:                            ;   in Loop: Header=BB302_10 Depth=1
	s_wait_xcnt 0x0
	s_or_b32 exec_lo, exec_lo, s8
.LBB302_569:                            ;   in Loop: Header=BB302_10 Depth=1
	s_delay_alu instid0(SALU_CYCLE_1)
	s_or_b32 exec_lo, exec_lo, s7
.LBB302_570:                            ;   in Loop: Header=BB302_10 Depth=1
	s_delay_alu instid0(SALU_CYCLE_1) | instskip(SKIP_2) | instid1(VALU_DEP_1)
	s_or_b32 exec_lo, exec_lo, s6
	v_lshrrev_b32_e32 v8, 16, v5
	s_mov_b32 s6, exec_lo
	v_and_b32_e32 v0, 0xff, v8
	s_delay_alu instid0(VALU_DEP_1)
	v_cmpx_ne_u16_e32 0, v0
	s_cbranch_execz .LBB302_578
; %bb.571:                              ;   in Loop: Header=BB302_10 Depth=1
	v_cmp_ne_u16_e64 s1, 0x80, v0
	v_mov_b32_e32 v0, 0x8000
	scratch_store_b32 off, v0, s32 offset:348 ; 4-byte Folded Spill
	s_wait_xcnt 0x0
	s_and_saveexec_b32 s7, s1
	s_cbranch_execz .LBB302_577
; %bb.572:                              ;   in Loop: Header=BB302_10 Depth=1
	v_bfe_u32 v6, v5, 16, 7
	v_mov_b32_e32 v0, 0x7c01
	s_mov_b32 s8, exec_lo
	scratch_store_b32 off, v0, s32 offset:348 ; 4-byte Folded Spill
	s_wait_xcnt 0x0
	v_cmpx_ne_u32_e32 0x7f, v6
	s_cbranch_execz .LBB302_576
; %bb.573:                              ;   in Loop: Header=BB302_10 Depth=1
	v_dual_lshrrev_b32 v1, 3, v6 :: v_dual_bitop2_b32 v0, 7, v8 bitop3:0x40
	s_mov_b32 s11, exec_lo
	v_cmpx_gt_u32_e32 8, v6
; %bb.574:                              ;   in Loop: Header=BB302_10 Depth=1
	s_delay_alu instid0(VALU_DEP_2) | instskip(NEXT) | instid1(VALU_DEP_1)
	v_clz_i32_u32_e32 v0, v0
	v_min_u32_e32 v6, 32, v0
	s_delay_alu instid0(VALU_DEP_1) | instskip(NEXT) | instid1(VALU_DEP_1)
	v_subrev_nc_u32_e32 v0, 28, v6
	v_lshlrev_b64_e32 v[0:1], v0, v[8:9]
	s_delay_alu instid0(VALU_DEP_1)
	v_dual_sub_nc_u32 v1, 29, v6 :: v_dual_bitop2_b32 v0, 7, v0 bitop3:0x40
; %bb.575:                              ;   in Loop: Header=BB302_10 Depth=1
	s_or_b32 exec_lo, exec_lo, s11
	v_lshlrev_b32_e32 v6, 8, v8
	s_delay_alu instid0(VALU_DEP_2) | instskip(NEXT) | instid1(VALU_DEP_3)
	v_lshl_add_u32 v1, v1, 10, 0x2000
	v_lshlrev_b32_e32 v0, 7, v0
	s_delay_alu instid0(VALU_DEP_3) | instskip(NEXT) | instid1(VALU_DEP_3)
	v_and_b32_e32 v6, 0x8000, v6
	v_and_b32_e32 v1, 0xfc00, v1
	s_delay_alu instid0(VALU_DEP_1)
	v_or3_b32 v0, v6, v1, v0
	scratch_store_b32 off, v0, s32 offset:348 ; 4-byte Folded Spill
.LBB302_576:                            ;   in Loop: Header=BB302_10 Depth=1
	s_wait_xcnt 0x0
	s_or_b32 exec_lo, exec_lo, s8
.LBB302_577:                            ;   in Loop: Header=BB302_10 Depth=1
	s_delay_alu instid0(SALU_CYCLE_1)
	s_or_b32 exec_lo, exec_lo, s7
.LBB302_578:                            ;   in Loop: Header=BB302_10 Depth=1
	s_delay_alu instid0(SALU_CYCLE_1)
	s_or_b32 exec_lo, exec_lo, s6
	v_mov_b32_e32 v0, 0
	s_mov_b32 s6, exec_lo
	scratch_store_b32 off, v0, s32 offset:364 ; 4-byte Folded Spill
	s_wait_xcnt 0x0
	v_mov_b32_e32 v0, 0
	scratch_store_b32 off, v0, s32 offset:772 ; 4-byte Folded Spill
	s_wait_xcnt 0x0
	v_cmpx_lt_u64_e64 s[2:3], v[4:5]
	s_cbranch_execz .LBB302_586
; %bb.579:                              ;   in Loop: Header=BB302_10 Depth=1
	v_lshrrev_b32_e32 v14, 24, v5
	v_bfrev_b32_e32 v0, 1
	s_mov_b32 s7, exec_lo
	s_delay_alu instid0(VALU_DEP_2)
	v_cmpx_ne_u32_e32 0x80, v14
	s_cbranch_execz .LBB302_585
; %bb.580:                              ;   in Loop: Header=BB302_10 Depth=1
	v_and_b32_e32 v4, 0x7f, v14
	v_mov_b32_e32 v0, 0x7c010000
	s_mov_b32 s8, exec_lo
	s_delay_alu instid0(VALU_DEP_2)
	v_cmpx_ne_u32_e32 0x7f, v4
	s_cbranch_execz .LBB302_584
; %bb.581:                              ;   in Loop: Header=BB302_10 Depth=1
	v_dual_lshrrev_b32 v1, 3, v4 :: v_dual_bitop2_b32 v0, 7, v14 bitop3:0x40
	s_mov_b32 s11, exec_lo
	v_cmpx_gt_u32_e32 8, v4
; %bb.582:                              ;   in Loop: Header=BB302_10 Depth=1
	s_delay_alu instid0(VALU_DEP_2) | instskip(NEXT) | instid1(VALU_DEP_1)
	v_clz_i32_u32_e32 v0, v0
	v_min_u32_e32 v4, 32, v0
	s_delay_alu instid0(VALU_DEP_1) | instskip(NEXT) | instid1(VALU_DEP_1)
	v_subrev_nc_u32_e32 v0, 28, v4
	v_lshlrev_b64_e32 v[0:1], v0, v[14:15]
	v_sub_nc_u32_e32 v1, 29, v4
	s_delay_alu instid0(VALU_DEP_2)
	v_and_b32_e32 v0, 7, v0
; %bb.583:                              ;   in Loop: Header=BB302_10 Depth=1
	s_or_b32 exec_lo, exec_lo, s11
	s_delay_alu instid0(VALU_DEP_1) | instskip(NEXT) | instid1(VALU_DEP_3)
	v_dual_lshlrev_b32 v4, 8, v14 :: v_dual_lshlrev_b32 v0, 23, v0
	v_lshl_add_u32 v1, v1, 10, 0x2000
	s_delay_alu instid0(VALU_DEP_1) | instskip(NEXT) | instid1(VALU_DEP_1)
	v_and_or_b32 v1, 0x8000, v4, v1
	v_lshl_or_b32 v0, v1, 16, v0
.LBB302_584:                            ;   in Loop: Header=BB302_10 Depth=1
	s_or_b32 exec_lo, exec_lo, s8
.LBB302_585:                            ;   in Loop: Header=BB302_10 Depth=1
	s_delay_alu instid0(SALU_CYCLE_1)
	s_or_b32 exec_lo, exec_lo, s7
	scratch_store_b32 off, v0, s32 offset:772 ; 4-byte Folded Spill
.LBB302_586:                            ;   in Loop: Header=BB302_10 Depth=1
	s_wait_xcnt 0x0
	s_or_b32 exec_lo, exec_lo, s6
	flat_load_b64 v[4:5], v[2:3] offset:2056
	s_mov_b32 s6, exec_lo
	s_wait_loadcnt_dscnt 0x0
	v_and_b32_e32 v0, 0xff, v4
	s_wait_xcnt 0x0
	s_delay_alu instid0(VALU_DEP_1)
	v_cmpx_ne_u16_e32 0, v0
	s_cbranch_execz .LBB302_594
; %bb.587:                              ;   in Loop: Header=BB302_10 Depth=1
	v_cmp_ne_u16_e64 s1, 0x80, v0
	v_mov_b32_e32 v0, 0x8000
	scratch_store_b32 off, v0, s32 offset:364 ; 4-byte Folded Spill
	s_wait_xcnt 0x0
	s_and_saveexec_b32 s7, s1
	s_cbranch_execz .LBB302_593
; %bb.588:                              ;   in Loop: Header=BB302_10 Depth=1
	v_and_b32_e32 v6, 0x7f, v4
	v_mov_b32_e32 v0, 0x7c01
	s_mov_b32 s8, exec_lo
	scratch_store_b32 off, v0, s32 offset:364 ; 4-byte Folded Spill
	s_wait_xcnt 0x0
	v_cmpx_ne_u32_e32 0x7f, v6
	s_cbranch_execz .LBB302_592
; %bb.589:                              ;   in Loop: Header=BB302_10 Depth=1
	v_dual_lshrrev_b32 v1, 3, v6 :: v_dual_bitop2_b32 v0, 7, v4 bitop3:0x40
	s_mov_b32 s11, exec_lo
	v_cmpx_gt_u32_e32 8, v6
; %bb.590:                              ;   in Loop: Header=BB302_10 Depth=1
	s_delay_alu instid0(VALU_DEP_2) | instskip(NEXT) | instid1(VALU_DEP_1)
	v_clz_i32_u32_e32 v0, v0
	v_min_u32_e32 v6, 32, v0
	s_delay_alu instid0(VALU_DEP_1) | instskip(NEXT) | instid1(VALU_DEP_1)
	v_subrev_nc_u32_e32 v0, 28, v6
	v_lshlrev_b64_e32 v[0:1], v0, v[4:5]
	s_delay_alu instid0(VALU_DEP_1)
	v_dual_sub_nc_u32 v1, 29, v6 :: v_dual_bitop2_b32 v0, 7, v0 bitop3:0x40
; %bb.591:                              ;   in Loop: Header=BB302_10 Depth=1
	s_or_b32 exec_lo, exec_lo, s11
	v_lshlrev_b32_e32 v6, 8, v4
	s_delay_alu instid0(VALU_DEP_2) | instskip(NEXT) | instid1(VALU_DEP_3)
	v_lshl_add_u32 v1, v1, 10, 0x2000
	v_lshlrev_b32_e32 v0, 7, v0
	s_delay_alu instid0(VALU_DEP_3) | instskip(NEXT) | instid1(VALU_DEP_3)
	v_and_b32_e32 v6, 0x8000, v6
	v_and_b32_e32 v1, 0xfc00, v1
	s_delay_alu instid0(VALU_DEP_1)
	v_or3_b32 v0, v6, v1, v0
	scratch_store_b32 off, v0, s32 offset:364 ; 4-byte Folded Spill
.LBB302_592:                            ;   in Loop: Header=BB302_10 Depth=1
	s_wait_xcnt 0x0
	s_or_b32 exec_lo, exec_lo, s8
.LBB302_593:                            ;   in Loop: Header=BB302_10 Depth=1
	s_delay_alu instid0(SALU_CYCLE_1)
	s_or_b32 exec_lo, exec_lo, s7
.LBB302_594:                            ;   in Loop: Header=BB302_10 Depth=1
	s_delay_alu instid0(SALU_CYCLE_1)
	s_or_b32 exec_lo, exec_lo, s6
	v_mov_b32_e32 v0, 0
	v_lshrrev_b16 v14, 8, v4
	s_mov_b32 s6, exec_lo
	scratch_store_b32 off, v0, s32 offset:328 ; 4-byte Folded Spill
	s_wait_xcnt 0x0
	v_mov_b32_e32 v0, 0
	scratch_store_b32 off, v0, s32 offset:372 ; 4-byte Folded Spill
	s_wait_xcnt 0x0
	v_cmpx_ne_u16_e32 0, v14
	s_cbranch_execz .LBB302_602
; %bb.595:                              ;   in Loop: Header=BB302_10 Depth=1
	v_bfrev_b32_e32 v0, 1
	s_mov_b32 s7, exec_lo
	scratch_store_b32 off, v0, s32 offset:372 ; 4-byte Folded Spill
	s_wait_xcnt 0x0
	v_cmpx_ne_u16_e32 0x80, v14
	s_cbranch_execz .LBB302_601
; %bb.596:                              ;   in Loop: Header=BB302_10 Depth=1
	v_and_b32_e32 v0, 0xffff, v14
	v_mov_b32_e32 v1, 0x7c010000
	s_mov_b32 s8, exec_lo
	s_delay_alu instid0(VALU_DEP_2)
	v_and_b32_e32 v7, 0x7f, v0
	scratch_store_b32 off, v1, s32 offset:372 ; 4-byte Folded Spill
	s_wait_xcnt 0x0
	v_cmpx_ne_u32_e32 0x7f, v7
	s_cbranch_execz .LBB302_600
; %bb.597:                              ;   in Loop: Header=BB302_10 Depth=1
	v_dual_lshrrev_b32 v6, 3, v7 :: v_dual_bitop2_b32 v1, 7, v0 bitop3:0x40
	s_mov_b32 s11, exec_lo
	v_cmpx_gt_u32_e32 8, v7
; %bb.598:                              ;   in Loop: Header=BB302_10 Depth=1
	s_delay_alu instid0(VALU_DEP_2) | instskip(NEXT) | instid1(VALU_DEP_1)
	v_clz_i32_u32_e32 v1, v1
	v_min_u32_e32 v1, 32, v1
	s_delay_alu instid0(VALU_DEP_1) | instskip(NEXT) | instid1(VALU_DEP_1)
	v_subrev_nc_u32_e32 v6, 28, v1
	v_lshlrev_b64_e32 v[8:9], v6, v[14:15]
	s_delay_alu instid0(VALU_DEP_1)
	v_dual_sub_nc_u32 v6, 29, v1 :: v_dual_bitop2_b32 v1, 7, v8 bitop3:0x40
; %bb.599:                              ;   in Loop: Header=BB302_10 Depth=1
	s_or_b32 exec_lo, exec_lo, s11
	s_delay_alu instid0(VALU_DEP_1) | instskip(NEXT) | instid1(VALU_DEP_2)
	v_dual_lshlrev_b32 v0, 8, v0 :: v_dual_lshlrev_b32 v1, 23, v1
	v_lshl_add_u32 v6, v6, 10, 0x2000
	s_delay_alu instid0(VALU_DEP_1) | instskip(NEXT) | instid1(VALU_DEP_1)
	v_and_or_b32 v0, 0x8000, v0, v6
	v_lshl_or_b32 v0, v0, 16, v1
	scratch_store_b32 off, v0, s32 offset:372 ; 4-byte Folded Spill
.LBB302_600:                            ;   in Loop: Header=BB302_10 Depth=1
	s_wait_xcnt 0x0
	s_or_b32 exec_lo, exec_lo, s8
.LBB302_601:                            ;   in Loop: Header=BB302_10 Depth=1
	s_delay_alu instid0(SALU_CYCLE_1)
	s_or_b32 exec_lo, exec_lo, s7
.LBB302_602:                            ;   in Loop: Header=BB302_10 Depth=1
	s_delay_alu instid0(SALU_CYCLE_1) | instskip(SKIP_2) | instid1(VALU_DEP_1)
	s_or_b32 exec_lo, exec_lo, s6
	v_lshrrev_b32_e32 v8, 16, v4
	s_mov_b32 s6, exec_lo
	v_and_b32_e32 v0, 0xff, v8
	s_delay_alu instid0(VALU_DEP_1)
	v_cmpx_ne_u16_e32 0, v0
	s_cbranch_execz .LBB302_610
; %bb.603:                              ;   in Loop: Header=BB302_10 Depth=1
	v_cmp_ne_u16_e64 s1, 0x80, v0
	v_mov_b32_e32 v0, 0x8000
	scratch_store_b32 off, v0, s32 offset:328 ; 4-byte Folded Spill
	s_wait_xcnt 0x0
	s_and_saveexec_b32 s7, s1
	s_cbranch_execz .LBB302_609
; %bb.604:                              ;   in Loop: Header=BB302_10 Depth=1
	v_bfe_u32 v6, v4, 16, 7
	v_mov_b32_e32 v0, 0x7c01
	s_mov_b32 s8, exec_lo
	scratch_store_b32 off, v0, s32 offset:328 ; 4-byte Folded Spill
	s_wait_xcnt 0x0
	v_cmpx_ne_u32_e32 0x7f, v6
	s_cbranch_execz .LBB302_608
; %bb.605:                              ;   in Loop: Header=BB302_10 Depth=1
	v_dual_lshrrev_b32 v1, 3, v6 :: v_dual_bitop2_b32 v0, 7, v8 bitop3:0x40
	s_mov_b32 s11, exec_lo
	v_cmpx_gt_u32_e32 8, v6
; %bb.606:                              ;   in Loop: Header=BB302_10 Depth=1
	s_delay_alu instid0(VALU_DEP_2) | instskip(NEXT) | instid1(VALU_DEP_1)
	v_clz_i32_u32_e32 v0, v0
	v_min_u32_e32 v6, 32, v0
	s_delay_alu instid0(VALU_DEP_1) | instskip(NEXT) | instid1(VALU_DEP_1)
	v_subrev_nc_u32_e32 v0, 28, v6
	v_lshlrev_b64_e32 v[0:1], v0, v[8:9]
	s_delay_alu instid0(VALU_DEP_1)
	v_dual_sub_nc_u32 v1, 29, v6 :: v_dual_bitop2_b32 v0, 7, v0 bitop3:0x40
; %bb.607:                              ;   in Loop: Header=BB302_10 Depth=1
	s_or_b32 exec_lo, exec_lo, s11
	v_lshlrev_b32_e32 v6, 8, v8
	s_delay_alu instid0(VALU_DEP_2) | instskip(NEXT) | instid1(VALU_DEP_3)
	v_lshl_add_u32 v1, v1, 10, 0x2000
	v_lshlrev_b32_e32 v0, 7, v0
	s_delay_alu instid0(VALU_DEP_3) | instskip(NEXT) | instid1(VALU_DEP_3)
	v_and_b32_e32 v6, 0x8000, v6
	v_and_b32_e32 v1, 0xfc00, v1
	s_delay_alu instid0(VALU_DEP_1)
	v_or3_b32 v0, v6, v1, v0
	scratch_store_b32 off, v0, s32 offset:328 ; 4-byte Folded Spill
.LBB302_608:                            ;   in Loop: Header=BB302_10 Depth=1
	s_wait_xcnt 0x0
	s_or_b32 exec_lo, exec_lo, s8
.LBB302_609:                            ;   in Loop: Header=BB302_10 Depth=1
	s_delay_alu instid0(SALU_CYCLE_1)
	s_or_b32 exec_lo, exec_lo, s7
.LBB302_610:                            ;   in Loop: Header=BB302_10 Depth=1
	s_delay_alu instid0(SALU_CYCLE_1)
	s_or_b32 exec_lo, exec_lo, s6
	v_mov_b32_e32 v0, 0
	s_mov_b32 s6, exec_lo
	scratch_store_b32 off, v0, s32 offset:340 ; 4-byte Folded Spill
	s_wait_xcnt 0x0
	v_mov_b32_e32 v0, 0
	scratch_store_b32 off, v0, s32 offset:344 ; 4-byte Folded Spill
	s_wait_xcnt 0x0
	v_cmpx_lt_u32_e32 0xffffff, v4
	s_cbranch_execz .LBB302_618
; %bb.611:                              ;   in Loop: Header=BB302_10 Depth=1
	v_lshrrev_b32_e32 v14, 24, v4
	v_bfrev_b32_e32 v0, 1
	s_mov_b32 s7, exec_lo
	scratch_store_b32 off, v0, s32 offset:344 ; 4-byte Folded Spill
	s_wait_xcnt 0x0
	v_cmpx_ne_u32_e32 0x80, v14
	s_cbranch_execz .LBB302_617
; %bb.612:                              ;   in Loop: Header=BB302_10 Depth=1
	v_and_b32_e32 v6, 0x7f, v14
	v_mov_b32_e32 v0, 0x7c010000
	s_mov_b32 s8, exec_lo
	scratch_store_b32 off, v0, s32 offset:344 ; 4-byte Folded Spill
	s_wait_xcnt 0x0
	v_cmpx_ne_u32_e32 0x7f, v6
	s_cbranch_execz .LBB302_616
; %bb.613:                              ;   in Loop: Header=BB302_10 Depth=1
	v_and_b32_e32 v0, 7, v14
	v_lshrrev_b32_e32 v1, 3, v6
	s_mov_b32 s11, exec_lo
	v_cmpx_gt_u32_e32 8, v6
; %bb.614:                              ;   in Loop: Header=BB302_10 Depth=1
	s_delay_alu instid0(VALU_DEP_3) | instskip(NEXT) | instid1(VALU_DEP_1)
	v_clz_i32_u32_e32 v0, v0
	v_min_u32_e32 v6, 32, v0
	s_delay_alu instid0(VALU_DEP_1) | instskip(NEXT) | instid1(VALU_DEP_1)
	v_subrev_nc_u32_e32 v0, 28, v6
	v_lshlrev_b64_e32 v[0:1], v0, v[14:15]
	s_delay_alu instid0(VALU_DEP_1)
	v_dual_sub_nc_u32 v1, 29, v6 :: v_dual_bitop2_b32 v0, 7, v0 bitop3:0x40
; %bb.615:                              ;   in Loop: Header=BB302_10 Depth=1
	s_or_b32 exec_lo, exec_lo, s11
	s_delay_alu instid0(VALU_DEP_1) | instskip(NEXT) | instid1(VALU_DEP_2)
	v_dual_lshlrev_b32 v6, 8, v14 :: v_dual_lshlrev_b32 v0, 23, v0
	v_lshl_add_u32 v1, v1, 10, 0x2000
	s_delay_alu instid0(VALU_DEP_1) | instskip(NEXT) | instid1(VALU_DEP_1)
	v_and_or_b32 v1, 0x8000, v6, v1
	v_lshl_or_b32 v0, v1, 16, v0
	scratch_store_b32 off, v0, s32 offset:344 ; 4-byte Folded Spill
.LBB302_616:                            ;   in Loop: Header=BB302_10 Depth=1
	s_wait_xcnt 0x0
	s_or_b32 exec_lo, exec_lo, s8
.LBB302_617:                            ;   in Loop: Header=BB302_10 Depth=1
	s_delay_alu instid0(SALU_CYCLE_1)
	s_or_b32 exec_lo, exec_lo, s7
.LBB302_618:                            ;   in Loop: Header=BB302_10 Depth=1
	s_delay_alu instid0(SALU_CYCLE_1) | instskip(SKIP_3) | instid1(VALU_DEP_2)
	s_or_b32 exec_lo, exec_lo, s6
	v_and_b32_e32 v0, 0xff, v5
	v_mov_b32_e32 v14, v5
	s_mov_b32 s6, exec_lo
	v_cmpx_ne_u16_e32 0, v0
	s_cbranch_execz .LBB302_626
; %bb.619:                              ;   in Loop: Header=BB302_10 Depth=1
	v_cmp_ne_u16_e64 s1, 0x80, v0
	v_mov_b32_e32 v0, 0x8000
	scratch_store_b32 off, v0, s32 offset:340 ; 4-byte Folded Spill
	s_wait_xcnt 0x0
	s_and_saveexec_b32 s7, s1
	s_cbranch_execz .LBB302_625
; %bb.620:                              ;   in Loop: Header=BB302_10 Depth=1
	v_and_b32_e32 v6, 0x7f, v5
	v_mov_b32_e32 v0, 0x7c01
	s_mov_b32 s8, exec_lo
	scratch_store_b32 off, v0, s32 offset:340 ; 4-byte Folded Spill
	s_wait_xcnt 0x0
	v_cmpx_ne_u32_e32 0x7f, v6
	s_cbranch_execz .LBB302_624
; %bb.621:                              ;   in Loop: Header=BB302_10 Depth=1
	v_dual_lshrrev_b32 v1, 3, v6 :: v_dual_bitop2_b32 v0, 7, v5 bitop3:0x40
	s_mov_b32 s11, exec_lo
	v_cmpx_gt_u32_e32 8, v6
; %bb.622:                              ;   in Loop: Header=BB302_10 Depth=1
	s_delay_alu instid0(VALU_DEP_2) | instskip(NEXT) | instid1(VALU_DEP_1)
	v_clz_i32_u32_e32 v0, v0
	v_min_u32_e32 v6, 32, v0
	s_delay_alu instid0(VALU_DEP_1) | instskip(NEXT) | instid1(VALU_DEP_1)
	v_subrev_nc_u32_e32 v0, 28, v6
	v_lshlrev_b64_e32 v[0:1], v0, v[14:15]
	s_delay_alu instid0(VALU_DEP_1)
	v_dual_sub_nc_u32 v1, 29, v6 :: v_dual_bitop2_b32 v0, 7, v0 bitop3:0x40
; %bb.623:                              ;   in Loop: Header=BB302_10 Depth=1
	s_or_b32 exec_lo, exec_lo, s11
	s_delay_alu instid0(VALU_DEP_1) | instskip(NEXT) | instid1(VALU_DEP_2)
	v_dual_lshlrev_b32 v6, 8, v5 :: v_dual_lshlrev_b32 v0, 7, v0
	v_lshl_add_u32 v1, v1, 10, 0x2000
	s_delay_alu instid0(VALU_DEP_2) | instskip(NEXT) | instid1(VALU_DEP_2)
	v_and_b32_e32 v6, 0x8000, v6
	v_and_b32_e32 v1, 0xfc00, v1
	s_delay_alu instid0(VALU_DEP_1)
	v_or3_b32 v0, v6, v1, v0
	scratch_store_b32 off, v0, s32 offset:340 ; 4-byte Folded Spill
.LBB302_624:                            ;   in Loop: Header=BB302_10 Depth=1
	s_wait_xcnt 0x0
	s_or_b32 exec_lo, exec_lo, s8
.LBB302_625:                            ;   in Loop: Header=BB302_10 Depth=1
	s_delay_alu instid0(SALU_CYCLE_1)
	s_or_b32 exec_lo, exec_lo, s7
.LBB302_626:                            ;   in Loop: Header=BB302_10 Depth=1
	s_delay_alu instid0(SALU_CYCLE_1)
	s_or_b32 exec_lo, exec_lo, s6
	v_mov_b32_e32 v0, 0
	v_lshrrev_b16 v14, 8, v14
	s_mov_b32 s6, exec_lo
	scratch_store_b32 off, v0, s32 offset:356 ; 4-byte Folded Spill
	s_wait_xcnt 0x0
	v_mov_b32_e32 v0, 0
	scratch_store_b32 off, v0, s32 offset:360 ; 4-byte Folded Spill
	s_wait_xcnt 0x0
	v_cmpx_ne_u16_e32 0, v14
	s_cbranch_execz .LBB302_634
; %bb.627:                              ;   in Loop: Header=BB302_10 Depth=1
	v_bfrev_b32_e32 v0, 1
	s_mov_b32 s7, exec_lo
	scratch_store_b32 off, v0, s32 offset:360 ; 4-byte Folded Spill
	s_wait_xcnt 0x0
	v_cmpx_ne_u16_e32 0x80, v14
	s_cbranch_execz .LBB302_633
; %bb.628:                              ;   in Loop: Header=BB302_10 Depth=1
	v_and_b32_e32 v0, 0xffff, v14
	v_mov_b32_e32 v1, 0x7c010000
	s_mov_b32 s8, exec_lo
	s_delay_alu instid0(VALU_DEP_2)
	v_and_b32_e32 v7, 0x7f, v0
	scratch_store_b32 off, v1, s32 offset:360 ; 4-byte Folded Spill
	s_wait_xcnt 0x0
	v_cmpx_ne_u32_e32 0x7f, v7
	s_cbranch_execz .LBB302_632
; %bb.629:                              ;   in Loop: Header=BB302_10 Depth=1
	v_dual_lshrrev_b32 v6, 3, v7 :: v_dual_bitop2_b32 v1, 7, v0 bitop3:0x40
	s_mov_b32 s11, exec_lo
	v_cmpx_gt_u32_e32 8, v7
; %bb.630:                              ;   in Loop: Header=BB302_10 Depth=1
	s_delay_alu instid0(VALU_DEP_2) | instskip(NEXT) | instid1(VALU_DEP_1)
	v_clz_i32_u32_e32 v1, v1
	v_min_u32_e32 v1, 32, v1
	s_delay_alu instid0(VALU_DEP_1) | instskip(NEXT) | instid1(VALU_DEP_1)
	v_subrev_nc_u32_e32 v6, 28, v1
	v_lshlrev_b64_e32 v[8:9], v6, v[14:15]
	s_delay_alu instid0(VALU_DEP_1)
	v_dual_sub_nc_u32 v6, 29, v1 :: v_dual_bitop2_b32 v1, 7, v8 bitop3:0x40
; %bb.631:                              ;   in Loop: Header=BB302_10 Depth=1
	s_or_b32 exec_lo, exec_lo, s11
	s_delay_alu instid0(VALU_DEP_1) | instskip(NEXT) | instid1(VALU_DEP_2)
	v_dual_lshlrev_b32 v0, 8, v0 :: v_dual_lshlrev_b32 v1, 23, v1
	v_lshl_add_u32 v6, v6, 10, 0x2000
	s_delay_alu instid0(VALU_DEP_1) | instskip(NEXT) | instid1(VALU_DEP_1)
	v_and_or_b32 v0, 0x8000, v0, v6
	v_lshl_or_b32 v0, v0, 16, v1
	scratch_store_b32 off, v0, s32 offset:360 ; 4-byte Folded Spill
.LBB302_632:                            ;   in Loop: Header=BB302_10 Depth=1
	s_wait_xcnt 0x0
	s_or_b32 exec_lo, exec_lo, s8
.LBB302_633:                            ;   in Loop: Header=BB302_10 Depth=1
	s_delay_alu instid0(SALU_CYCLE_1)
	s_or_b32 exec_lo, exec_lo, s7
.LBB302_634:                            ;   in Loop: Header=BB302_10 Depth=1
	s_delay_alu instid0(SALU_CYCLE_1) | instskip(SKIP_2) | instid1(VALU_DEP_1)
	s_or_b32 exec_lo, exec_lo, s6
	v_lshrrev_b32_e32 v8, 16, v5
	s_mov_b32 s6, exec_lo
	v_and_b32_e32 v0, 0xff, v8
	s_delay_alu instid0(VALU_DEP_1)
	v_cmpx_ne_u16_e32 0, v0
	s_cbranch_execz .LBB302_642
; %bb.635:                              ;   in Loop: Header=BB302_10 Depth=1
	v_cmp_ne_u16_e64 s1, 0x80, v0
	v_mov_b32_e32 v0, 0x8000
	scratch_store_b32 off, v0, s32 offset:356 ; 4-byte Folded Spill
	s_wait_xcnt 0x0
	s_and_saveexec_b32 s7, s1
	s_cbranch_execz .LBB302_641
; %bb.636:                              ;   in Loop: Header=BB302_10 Depth=1
	v_bfe_u32 v6, v5, 16, 7
	v_mov_b32_e32 v0, 0x7c01
	s_mov_b32 s8, exec_lo
	scratch_store_b32 off, v0, s32 offset:356 ; 4-byte Folded Spill
	s_wait_xcnt 0x0
	v_cmpx_ne_u32_e32 0x7f, v6
	s_cbranch_execz .LBB302_640
; %bb.637:                              ;   in Loop: Header=BB302_10 Depth=1
	v_dual_lshrrev_b32 v1, 3, v6 :: v_dual_bitop2_b32 v0, 7, v8 bitop3:0x40
	s_mov_b32 s11, exec_lo
	v_cmpx_gt_u32_e32 8, v6
; %bb.638:                              ;   in Loop: Header=BB302_10 Depth=1
	s_delay_alu instid0(VALU_DEP_2) | instskip(NEXT) | instid1(VALU_DEP_1)
	v_clz_i32_u32_e32 v0, v0
	v_min_u32_e32 v6, 32, v0
	s_delay_alu instid0(VALU_DEP_1) | instskip(NEXT) | instid1(VALU_DEP_1)
	v_subrev_nc_u32_e32 v0, 28, v6
	v_lshlrev_b64_e32 v[0:1], v0, v[8:9]
	s_delay_alu instid0(VALU_DEP_1)
	v_dual_sub_nc_u32 v1, 29, v6 :: v_dual_bitop2_b32 v0, 7, v0 bitop3:0x40
; %bb.639:                              ;   in Loop: Header=BB302_10 Depth=1
	s_or_b32 exec_lo, exec_lo, s11
	v_lshlrev_b32_e32 v6, 8, v8
	s_delay_alu instid0(VALU_DEP_2) | instskip(NEXT) | instid1(VALU_DEP_3)
	v_lshl_add_u32 v1, v1, 10, 0x2000
	v_lshlrev_b32_e32 v0, 7, v0
	s_delay_alu instid0(VALU_DEP_3) | instskip(NEXT) | instid1(VALU_DEP_3)
	v_and_b32_e32 v6, 0x8000, v6
	v_and_b32_e32 v1, 0xfc00, v1
	s_delay_alu instid0(VALU_DEP_1)
	v_or3_b32 v0, v6, v1, v0
	scratch_store_b32 off, v0, s32 offset:356 ; 4-byte Folded Spill
.LBB302_640:                            ;   in Loop: Header=BB302_10 Depth=1
	s_wait_xcnt 0x0
	s_or_b32 exec_lo, exec_lo, s8
.LBB302_641:                            ;   in Loop: Header=BB302_10 Depth=1
	s_delay_alu instid0(SALU_CYCLE_1)
	s_or_b32 exec_lo, exec_lo, s7
.LBB302_642:                            ;   in Loop: Header=BB302_10 Depth=1
	s_delay_alu instid0(SALU_CYCLE_1)
	s_or_b32 exec_lo, exec_lo, s6
	v_mov_b32_e32 v0, 0
	s_mov_b32 s6, exec_lo
	scratch_store_b32 off, v0, s32 offset:368 ; 4-byte Folded Spill
	s_wait_xcnt 0x0
	v_mov_b32_e32 v0, 0
	scratch_store_b32 off, v0, s32 offset:776 ; 4-byte Folded Spill
	s_wait_xcnt 0x0
	v_cmpx_lt_u64_e64 s[2:3], v[4:5]
	s_cbranch_execz .LBB302_650
; %bb.643:                              ;   in Loop: Header=BB302_10 Depth=1
	v_lshrrev_b32_e32 v14, 24, v5
	v_bfrev_b32_e32 v0, 1
	s_mov_b32 s7, exec_lo
	s_delay_alu instid0(VALU_DEP_2)
	v_cmpx_ne_u32_e32 0x80, v14
	s_cbranch_execz .LBB302_649
; %bb.644:                              ;   in Loop: Header=BB302_10 Depth=1
	v_and_b32_e32 v4, 0x7f, v14
	v_mov_b32_e32 v0, 0x7c010000
	s_mov_b32 s8, exec_lo
	s_delay_alu instid0(VALU_DEP_2)
	v_cmpx_ne_u32_e32 0x7f, v4
	s_cbranch_execz .LBB302_648
; %bb.645:                              ;   in Loop: Header=BB302_10 Depth=1
	v_dual_lshrrev_b32 v1, 3, v4 :: v_dual_bitop2_b32 v0, 7, v14 bitop3:0x40
	s_mov_b32 s11, exec_lo
	v_cmpx_gt_u32_e32 8, v4
; %bb.646:                              ;   in Loop: Header=BB302_10 Depth=1
	s_delay_alu instid0(VALU_DEP_2) | instskip(NEXT) | instid1(VALU_DEP_1)
	v_clz_i32_u32_e32 v0, v0
	v_min_u32_e32 v4, 32, v0
	s_delay_alu instid0(VALU_DEP_1) | instskip(NEXT) | instid1(VALU_DEP_1)
	v_subrev_nc_u32_e32 v0, 28, v4
	v_lshlrev_b64_e32 v[0:1], v0, v[14:15]
	v_sub_nc_u32_e32 v1, 29, v4
	s_delay_alu instid0(VALU_DEP_2)
	v_and_b32_e32 v0, 7, v0
; %bb.647:                              ;   in Loop: Header=BB302_10 Depth=1
	s_or_b32 exec_lo, exec_lo, s11
	s_delay_alu instid0(VALU_DEP_1) | instskip(NEXT) | instid1(VALU_DEP_3)
	v_dual_lshlrev_b32 v4, 8, v14 :: v_dual_lshlrev_b32 v0, 23, v0
	v_lshl_add_u32 v1, v1, 10, 0x2000
	s_delay_alu instid0(VALU_DEP_1) | instskip(NEXT) | instid1(VALU_DEP_1)
	v_and_or_b32 v1, 0x8000, v4, v1
	v_lshl_or_b32 v0, v1, 16, v0
.LBB302_648:                            ;   in Loop: Header=BB302_10 Depth=1
	s_or_b32 exec_lo, exec_lo, s8
.LBB302_649:                            ;   in Loop: Header=BB302_10 Depth=1
	s_delay_alu instid0(SALU_CYCLE_1)
	s_or_b32 exec_lo, exec_lo, s7
	scratch_store_b32 off, v0, s32 offset:776 ; 4-byte Folded Spill
.LBB302_650:                            ;   in Loop: Header=BB302_10 Depth=1
	s_wait_xcnt 0x0
	s_or_b32 exec_lo, exec_lo, s6
	flat_load_b64 v[4:5], v[2:3] offset:2560
	s_mov_b32 s6, exec_lo
	s_wait_loadcnt_dscnt 0x0
	v_and_b32_e32 v0, 0xff, v4
	s_wait_xcnt 0x0
	s_delay_alu instid0(VALU_DEP_1)
	v_cmpx_ne_u16_e32 0, v0
	s_cbranch_execz .LBB302_658
; %bb.651:                              ;   in Loop: Header=BB302_10 Depth=1
	v_cmp_ne_u16_e64 s1, 0x80, v0
	v_mov_b32_e32 v0, 0x8000
	scratch_store_b32 off, v0, s32 offset:368 ; 4-byte Folded Spill
	s_wait_xcnt 0x0
	s_and_saveexec_b32 s7, s1
	s_cbranch_execz .LBB302_657
; %bb.652:                              ;   in Loop: Header=BB302_10 Depth=1
	v_and_b32_e32 v6, 0x7f, v4
	v_mov_b32_e32 v0, 0x7c01
	s_mov_b32 s8, exec_lo
	scratch_store_b32 off, v0, s32 offset:368 ; 4-byte Folded Spill
	s_wait_xcnt 0x0
	v_cmpx_ne_u32_e32 0x7f, v6
	s_cbranch_execz .LBB302_656
; %bb.653:                              ;   in Loop: Header=BB302_10 Depth=1
	v_dual_lshrrev_b32 v1, 3, v6 :: v_dual_bitop2_b32 v0, 7, v4 bitop3:0x40
	s_mov_b32 s11, exec_lo
	v_cmpx_gt_u32_e32 8, v6
; %bb.654:                              ;   in Loop: Header=BB302_10 Depth=1
	s_delay_alu instid0(VALU_DEP_2) | instskip(NEXT) | instid1(VALU_DEP_1)
	v_clz_i32_u32_e32 v0, v0
	v_min_u32_e32 v6, 32, v0
	s_delay_alu instid0(VALU_DEP_1) | instskip(NEXT) | instid1(VALU_DEP_1)
	v_subrev_nc_u32_e32 v0, 28, v6
	v_lshlrev_b64_e32 v[0:1], v0, v[4:5]
	s_delay_alu instid0(VALU_DEP_1)
	v_dual_sub_nc_u32 v1, 29, v6 :: v_dual_bitop2_b32 v0, 7, v0 bitop3:0x40
; %bb.655:                              ;   in Loop: Header=BB302_10 Depth=1
	s_or_b32 exec_lo, exec_lo, s11
	v_lshlrev_b32_e32 v6, 8, v4
	s_delay_alu instid0(VALU_DEP_2) | instskip(NEXT) | instid1(VALU_DEP_3)
	v_lshl_add_u32 v1, v1, 10, 0x2000
	v_lshlrev_b32_e32 v0, 7, v0
	s_delay_alu instid0(VALU_DEP_3) | instskip(NEXT) | instid1(VALU_DEP_3)
	v_and_b32_e32 v6, 0x8000, v6
	v_and_b32_e32 v1, 0xfc00, v1
	s_delay_alu instid0(VALU_DEP_1)
	v_or3_b32 v0, v6, v1, v0
	scratch_store_b32 off, v0, s32 offset:368 ; 4-byte Folded Spill
.LBB302_656:                            ;   in Loop: Header=BB302_10 Depth=1
	s_wait_xcnt 0x0
	s_or_b32 exec_lo, exec_lo, s8
.LBB302_657:                            ;   in Loop: Header=BB302_10 Depth=1
	s_delay_alu instid0(SALU_CYCLE_1)
	s_or_b32 exec_lo, exec_lo, s7
.LBB302_658:                            ;   in Loop: Header=BB302_10 Depth=1
	s_delay_alu instid0(SALU_CYCLE_1)
	s_or_b32 exec_lo, exec_lo, s6
	v_mov_b32_e32 v0, 0
	v_lshrrev_b16 v14, 8, v4
	s_mov_b32 s6, exec_lo
	scratch_store_b32 off, v0, s32 offset:376 ; 4-byte Folded Spill
	s_wait_xcnt 0x0
	v_mov_b32_e32 v0, 0
	scratch_store_b32 off, v0, s32 offset:380 ; 4-byte Folded Spill
	s_wait_xcnt 0x0
	v_cmpx_ne_u16_e32 0, v14
	s_cbranch_execz .LBB302_666
; %bb.659:                              ;   in Loop: Header=BB302_10 Depth=1
	v_bfrev_b32_e32 v0, 1
	s_mov_b32 s7, exec_lo
	scratch_store_b32 off, v0, s32 offset:380 ; 4-byte Folded Spill
	s_wait_xcnt 0x0
	v_cmpx_ne_u16_e32 0x80, v14
	s_cbranch_execz .LBB302_665
; %bb.660:                              ;   in Loop: Header=BB302_10 Depth=1
	v_and_b32_e32 v0, 0xffff, v14
	v_mov_b32_e32 v1, 0x7c010000
	s_mov_b32 s8, exec_lo
	s_delay_alu instid0(VALU_DEP_2)
	v_and_b32_e32 v7, 0x7f, v0
	scratch_store_b32 off, v1, s32 offset:380 ; 4-byte Folded Spill
	s_wait_xcnt 0x0
	v_cmpx_ne_u32_e32 0x7f, v7
	s_cbranch_execz .LBB302_664
; %bb.661:                              ;   in Loop: Header=BB302_10 Depth=1
	v_dual_lshrrev_b32 v6, 3, v7 :: v_dual_bitop2_b32 v1, 7, v0 bitop3:0x40
	s_mov_b32 s11, exec_lo
	v_cmpx_gt_u32_e32 8, v7
; %bb.662:                              ;   in Loop: Header=BB302_10 Depth=1
	s_delay_alu instid0(VALU_DEP_2) | instskip(NEXT) | instid1(VALU_DEP_1)
	v_clz_i32_u32_e32 v1, v1
	v_min_u32_e32 v1, 32, v1
	s_delay_alu instid0(VALU_DEP_1) | instskip(NEXT) | instid1(VALU_DEP_1)
	v_subrev_nc_u32_e32 v6, 28, v1
	v_lshlrev_b64_e32 v[8:9], v6, v[14:15]
	s_delay_alu instid0(VALU_DEP_1)
	v_dual_sub_nc_u32 v6, 29, v1 :: v_dual_bitop2_b32 v1, 7, v8 bitop3:0x40
; %bb.663:                              ;   in Loop: Header=BB302_10 Depth=1
	s_or_b32 exec_lo, exec_lo, s11
	s_delay_alu instid0(VALU_DEP_1) | instskip(NEXT) | instid1(VALU_DEP_2)
	v_dual_lshlrev_b32 v0, 8, v0 :: v_dual_lshlrev_b32 v1, 23, v1
	v_lshl_add_u32 v6, v6, 10, 0x2000
	s_delay_alu instid0(VALU_DEP_1) | instskip(NEXT) | instid1(VALU_DEP_1)
	v_and_or_b32 v0, 0x8000, v0, v6
	v_lshl_or_b32 v0, v0, 16, v1
	scratch_store_b32 off, v0, s32 offset:380 ; 4-byte Folded Spill
.LBB302_664:                            ;   in Loop: Header=BB302_10 Depth=1
	s_wait_xcnt 0x0
	s_or_b32 exec_lo, exec_lo, s8
.LBB302_665:                            ;   in Loop: Header=BB302_10 Depth=1
	s_delay_alu instid0(SALU_CYCLE_1)
	s_or_b32 exec_lo, exec_lo, s7
.LBB302_666:                            ;   in Loop: Header=BB302_10 Depth=1
	s_delay_alu instid0(SALU_CYCLE_1) | instskip(SKIP_2) | instid1(VALU_DEP_1)
	s_or_b32 exec_lo, exec_lo, s6
	v_lshrrev_b32_e32 v8, 16, v4
	s_mov_b32 s6, exec_lo
	v_and_b32_e32 v0, 0xff, v8
	s_delay_alu instid0(VALU_DEP_1)
	v_cmpx_ne_u16_e32 0, v0
	s_cbranch_execz .LBB302_674
; %bb.667:                              ;   in Loop: Header=BB302_10 Depth=1
	v_cmp_ne_u16_e64 s1, 0x80, v0
	v_mov_b32_e32 v0, 0x8000
	scratch_store_b32 off, v0, s32 offset:376 ; 4-byte Folded Spill
	s_wait_xcnt 0x0
	s_and_saveexec_b32 s7, s1
	s_cbranch_execz .LBB302_673
; %bb.668:                              ;   in Loop: Header=BB302_10 Depth=1
	v_bfe_u32 v6, v4, 16, 7
	v_mov_b32_e32 v0, 0x7c01
	s_mov_b32 s8, exec_lo
	scratch_store_b32 off, v0, s32 offset:376 ; 4-byte Folded Spill
	s_wait_xcnt 0x0
	v_cmpx_ne_u32_e32 0x7f, v6
	s_cbranch_execz .LBB302_672
; %bb.669:                              ;   in Loop: Header=BB302_10 Depth=1
	v_dual_lshrrev_b32 v1, 3, v6 :: v_dual_bitop2_b32 v0, 7, v8 bitop3:0x40
	s_mov_b32 s11, exec_lo
	v_cmpx_gt_u32_e32 8, v6
; %bb.670:                              ;   in Loop: Header=BB302_10 Depth=1
	s_delay_alu instid0(VALU_DEP_2) | instskip(NEXT) | instid1(VALU_DEP_1)
	v_clz_i32_u32_e32 v0, v0
	v_min_u32_e32 v6, 32, v0
	s_delay_alu instid0(VALU_DEP_1) | instskip(NEXT) | instid1(VALU_DEP_1)
	v_subrev_nc_u32_e32 v0, 28, v6
	v_lshlrev_b64_e32 v[0:1], v0, v[8:9]
	s_delay_alu instid0(VALU_DEP_1)
	v_dual_sub_nc_u32 v1, 29, v6 :: v_dual_bitop2_b32 v0, 7, v0 bitop3:0x40
; %bb.671:                              ;   in Loop: Header=BB302_10 Depth=1
	s_or_b32 exec_lo, exec_lo, s11
	v_lshlrev_b32_e32 v6, 8, v8
	s_delay_alu instid0(VALU_DEP_2) | instskip(NEXT) | instid1(VALU_DEP_3)
	v_lshl_add_u32 v1, v1, 10, 0x2000
	v_lshlrev_b32_e32 v0, 7, v0
	s_delay_alu instid0(VALU_DEP_3) | instskip(NEXT) | instid1(VALU_DEP_3)
	v_and_b32_e32 v6, 0x8000, v6
	v_and_b32_e32 v1, 0xfc00, v1
	s_delay_alu instid0(VALU_DEP_1)
	v_or3_b32 v0, v6, v1, v0
	scratch_store_b32 off, v0, s32 offset:376 ; 4-byte Folded Spill
.LBB302_672:                            ;   in Loop: Header=BB302_10 Depth=1
	s_wait_xcnt 0x0
	s_or_b32 exec_lo, exec_lo, s8
.LBB302_673:                            ;   in Loop: Header=BB302_10 Depth=1
	s_delay_alu instid0(SALU_CYCLE_1)
	s_or_b32 exec_lo, exec_lo, s7
.LBB302_674:                            ;   in Loop: Header=BB302_10 Depth=1
	s_delay_alu instid0(SALU_CYCLE_1)
	s_or_b32 exec_lo, exec_lo, s6
	v_mov_b32_e32 v0, 0
	s_mov_b32 s6, exec_lo
	scratch_store_b32 off, v0, s32 offset:384 ; 4-byte Folded Spill
	s_wait_xcnt 0x0
	v_mov_b32_e32 v0, 0
	scratch_store_b32 off, v0, s32 offset:388 ; 4-byte Folded Spill
	s_wait_xcnt 0x0
	v_cmpx_lt_u32_e32 0xffffff, v4
	s_cbranch_execz .LBB302_682
; %bb.675:                              ;   in Loop: Header=BB302_10 Depth=1
	v_lshrrev_b32_e32 v14, 24, v4
	v_bfrev_b32_e32 v0, 1
	s_mov_b32 s7, exec_lo
	scratch_store_b32 off, v0, s32 offset:388 ; 4-byte Folded Spill
	s_wait_xcnt 0x0
	v_cmpx_ne_u32_e32 0x80, v14
	s_cbranch_execz .LBB302_681
; %bb.676:                              ;   in Loop: Header=BB302_10 Depth=1
	v_and_b32_e32 v6, 0x7f, v14
	v_mov_b32_e32 v0, 0x7c010000
	s_mov_b32 s8, exec_lo
	scratch_store_b32 off, v0, s32 offset:388 ; 4-byte Folded Spill
	s_wait_xcnt 0x0
	v_cmpx_ne_u32_e32 0x7f, v6
	s_cbranch_execz .LBB302_680
; %bb.677:                              ;   in Loop: Header=BB302_10 Depth=1
	v_and_b32_e32 v0, 7, v14
	v_lshrrev_b32_e32 v1, 3, v6
	s_mov_b32 s11, exec_lo
	v_cmpx_gt_u32_e32 8, v6
; %bb.678:                              ;   in Loop: Header=BB302_10 Depth=1
	s_delay_alu instid0(VALU_DEP_3) | instskip(NEXT) | instid1(VALU_DEP_1)
	v_clz_i32_u32_e32 v0, v0
	v_min_u32_e32 v6, 32, v0
	s_delay_alu instid0(VALU_DEP_1) | instskip(NEXT) | instid1(VALU_DEP_1)
	v_subrev_nc_u32_e32 v0, 28, v6
	v_lshlrev_b64_e32 v[0:1], v0, v[14:15]
	s_delay_alu instid0(VALU_DEP_1)
	v_dual_sub_nc_u32 v1, 29, v6 :: v_dual_bitop2_b32 v0, 7, v0 bitop3:0x40
; %bb.679:                              ;   in Loop: Header=BB302_10 Depth=1
	s_or_b32 exec_lo, exec_lo, s11
	s_delay_alu instid0(VALU_DEP_1) | instskip(NEXT) | instid1(VALU_DEP_2)
	v_dual_lshlrev_b32 v6, 8, v14 :: v_dual_lshlrev_b32 v0, 23, v0
	v_lshl_add_u32 v1, v1, 10, 0x2000
	s_delay_alu instid0(VALU_DEP_1) | instskip(NEXT) | instid1(VALU_DEP_1)
	v_and_or_b32 v1, 0x8000, v6, v1
	v_lshl_or_b32 v0, v1, 16, v0
	scratch_store_b32 off, v0, s32 offset:388 ; 4-byte Folded Spill
.LBB302_680:                            ;   in Loop: Header=BB302_10 Depth=1
	s_wait_xcnt 0x0
	s_or_b32 exec_lo, exec_lo, s8
.LBB302_681:                            ;   in Loop: Header=BB302_10 Depth=1
	s_delay_alu instid0(SALU_CYCLE_1)
	s_or_b32 exec_lo, exec_lo, s7
.LBB302_682:                            ;   in Loop: Header=BB302_10 Depth=1
	s_delay_alu instid0(SALU_CYCLE_1) | instskip(SKIP_3) | instid1(VALU_DEP_2)
	s_or_b32 exec_lo, exec_lo, s6
	v_and_b32_e32 v0, 0xff, v5
	v_mov_b32_e32 v14, v5
	s_mov_b32 s6, exec_lo
	v_cmpx_ne_u16_e32 0, v0
	s_cbranch_execz .LBB302_690
; %bb.683:                              ;   in Loop: Header=BB302_10 Depth=1
	v_cmp_ne_u16_e64 s1, 0x80, v0
	v_mov_b32_e32 v0, 0x8000
	scratch_store_b32 off, v0, s32 offset:384 ; 4-byte Folded Spill
	s_wait_xcnt 0x0
	s_and_saveexec_b32 s7, s1
	s_cbranch_execz .LBB302_689
; %bb.684:                              ;   in Loop: Header=BB302_10 Depth=1
	v_and_b32_e32 v6, 0x7f, v5
	v_mov_b32_e32 v0, 0x7c01
	s_mov_b32 s8, exec_lo
	scratch_store_b32 off, v0, s32 offset:384 ; 4-byte Folded Spill
	s_wait_xcnt 0x0
	v_cmpx_ne_u32_e32 0x7f, v6
	s_cbranch_execz .LBB302_688
; %bb.685:                              ;   in Loop: Header=BB302_10 Depth=1
	v_dual_lshrrev_b32 v1, 3, v6 :: v_dual_bitop2_b32 v0, 7, v5 bitop3:0x40
	s_mov_b32 s11, exec_lo
	v_cmpx_gt_u32_e32 8, v6
; %bb.686:                              ;   in Loop: Header=BB302_10 Depth=1
	s_delay_alu instid0(VALU_DEP_2) | instskip(NEXT) | instid1(VALU_DEP_1)
	v_clz_i32_u32_e32 v0, v0
	v_min_u32_e32 v6, 32, v0
	s_delay_alu instid0(VALU_DEP_1) | instskip(NEXT) | instid1(VALU_DEP_1)
	v_subrev_nc_u32_e32 v0, 28, v6
	v_lshlrev_b64_e32 v[0:1], v0, v[14:15]
	s_delay_alu instid0(VALU_DEP_1)
	v_dual_sub_nc_u32 v1, 29, v6 :: v_dual_bitop2_b32 v0, 7, v0 bitop3:0x40
; %bb.687:                              ;   in Loop: Header=BB302_10 Depth=1
	s_or_b32 exec_lo, exec_lo, s11
	s_delay_alu instid0(VALU_DEP_1) | instskip(NEXT) | instid1(VALU_DEP_2)
	v_dual_lshlrev_b32 v6, 8, v5 :: v_dual_lshlrev_b32 v0, 7, v0
	v_lshl_add_u32 v1, v1, 10, 0x2000
	s_delay_alu instid0(VALU_DEP_2) | instskip(NEXT) | instid1(VALU_DEP_2)
	v_and_b32_e32 v6, 0x8000, v6
	v_and_b32_e32 v1, 0xfc00, v1
	s_delay_alu instid0(VALU_DEP_1)
	v_or3_b32 v0, v6, v1, v0
	scratch_store_b32 off, v0, s32 offset:384 ; 4-byte Folded Spill
.LBB302_688:                            ;   in Loop: Header=BB302_10 Depth=1
	s_wait_xcnt 0x0
	s_or_b32 exec_lo, exec_lo, s8
.LBB302_689:                            ;   in Loop: Header=BB302_10 Depth=1
	s_delay_alu instid0(SALU_CYCLE_1)
	s_or_b32 exec_lo, exec_lo, s7
.LBB302_690:                            ;   in Loop: Header=BB302_10 Depth=1
	s_delay_alu instid0(SALU_CYCLE_1)
	s_or_b32 exec_lo, exec_lo, s6
	v_mov_b32_e32 v0, 0
	v_lshrrev_b16 v14, 8, v14
	s_mov_b32 s6, exec_lo
	scratch_store_b32 off, v0, s32 offset:392 ; 4-byte Folded Spill
	s_wait_xcnt 0x0
	v_mov_b32_e32 v0, 0
	scratch_store_b32 off, v0, s32 offset:396 ; 4-byte Folded Spill
	s_wait_xcnt 0x0
	v_cmpx_ne_u16_e32 0, v14
	s_cbranch_execz .LBB302_698
; %bb.691:                              ;   in Loop: Header=BB302_10 Depth=1
	v_bfrev_b32_e32 v0, 1
	s_mov_b32 s7, exec_lo
	scratch_store_b32 off, v0, s32 offset:396 ; 4-byte Folded Spill
	s_wait_xcnt 0x0
	v_cmpx_ne_u16_e32 0x80, v14
	s_cbranch_execz .LBB302_697
; %bb.692:                              ;   in Loop: Header=BB302_10 Depth=1
	v_and_b32_e32 v0, 0xffff, v14
	v_mov_b32_e32 v1, 0x7c010000
	s_mov_b32 s8, exec_lo
	s_delay_alu instid0(VALU_DEP_2)
	v_and_b32_e32 v7, 0x7f, v0
	scratch_store_b32 off, v1, s32 offset:396 ; 4-byte Folded Spill
	s_wait_xcnt 0x0
	v_cmpx_ne_u32_e32 0x7f, v7
	s_cbranch_execz .LBB302_696
; %bb.693:                              ;   in Loop: Header=BB302_10 Depth=1
	v_dual_lshrrev_b32 v6, 3, v7 :: v_dual_bitop2_b32 v1, 7, v0 bitop3:0x40
	s_mov_b32 s11, exec_lo
	v_cmpx_gt_u32_e32 8, v7
; %bb.694:                              ;   in Loop: Header=BB302_10 Depth=1
	s_delay_alu instid0(VALU_DEP_2) | instskip(NEXT) | instid1(VALU_DEP_1)
	v_clz_i32_u32_e32 v1, v1
	v_min_u32_e32 v1, 32, v1
	s_delay_alu instid0(VALU_DEP_1) | instskip(NEXT) | instid1(VALU_DEP_1)
	v_subrev_nc_u32_e32 v6, 28, v1
	v_lshlrev_b64_e32 v[8:9], v6, v[14:15]
	s_delay_alu instid0(VALU_DEP_1)
	v_dual_sub_nc_u32 v6, 29, v1 :: v_dual_bitop2_b32 v1, 7, v8 bitop3:0x40
; %bb.695:                              ;   in Loop: Header=BB302_10 Depth=1
	s_or_b32 exec_lo, exec_lo, s11
	s_delay_alu instid0(VALU_DEP_1) | instskip(NEXT) | instid1(VALU_DEP_2)
	v_dual_lshlrev_b32 v0, 8, v0 :: v_dual_lshlrev_b32 v1, 23, v1
	v_lshl_add_u32 v6, v6, 10, 0x2000
	s_delay_alu instid0(VALU_DEP_1) | instskip(NEXT) | instid1(VALU_DEP_1)
	v_and_or_b32 v0, 0x8000, v0, v6
	v_lshl_or_b32 v0, v0, 16, v1
	scratch_store_b32 off, v0, s32 offset:396 ; 4-byte Folded Spill
.LBB302_696:                            ;   in Loop: Header=BB302_10 Depth=1
	s_wait_xcnt 0x0
	s_or_b32 exec_lo, exec_lo, s8
.LBB302_697:                            ;   in Loop: Header=BB302_10 Depth=1
	s_delay_alu instid0(SALU_CYCLE_1)
	s_or_b32 exec_lo, exec_lo, s7
.LBB302_698:                            ;   in Loop: Header=BB302_10 Depth=1
	s_delay_alu instid0(SALU_CYCLE_1) | instskip(SKIP_2) | instid1(VALU_DEP_1)
	s_or_b32 exec_lo, exec_lo, s6
	v_lshrrev_b32_e32 v8, 16, v5
	s_mov_b32 s6, exec_lo
	v_and_b32_e32 v0, 0xff, v8
	s_delay_alu instid0(VALU_DEP_1)
	v_cmpx_ne_u16_e32 0, v0
	s_cbranch_execz .LBB302_706
; %bb.699:                              ;   in Loop: Header=BB302_10 Depth=1
	v_cmp_ne_u16_e64 s1, 0x80, v0
	v_mov_b32_e32 v0, 0x8000
	scratch_store_b32 off, v0, s32 offset:392 ; 4-byte Folded Spill
	s_wait_xcnt 0x0
	s_and_saveexec_b32 s7, s1
	s_cbranch_execz .LBB302_705
; %bb.700:                              ;   in Loop: Header=BB302_10 Depth=1
	v_bfe_u32 v6, v5, 16, 7
	v_mov_b32_e32 v0, 0x7c01
	s_mov_b32 s8, exec_lo
	scratch_store_b32 off, v0, s32 offset:392 ; 4-byte Folded Spill
	s_wait_xcnt 0x0
	v_cmpx_ne_u32_e32 0x7f, v6
	s_cbranch_execz .LBB302_704
; %bb.701:                              ;   in Loop: Header=BB302_10 Depth=1
	v_dual_lshrrev_b32 v1, 3, v6 :: v_dual_bitop2_b32 v0, 7, v8 bitop3:0x40
	s_mov_b32 s11, exec_lo
	v_cmpx_gt_u32_e32 8, v6
; %bb.702:                              ;   in Loop: Header=BB302_10 Depth=1
	s_delay_alu instid0(VALU_DEP_2) | instskip(NEXT) | instid1(VALU_DEP_1)
	v_clz_i32_u32_e32 v0, v0
	v_min_u32_e32 v6, 32, v0
	s_delay_alu instid0(VALU_DEP_1) | instskip(NEXT) | instid1(VALU_DEP_1)
	v_subrev_nc_u32_e32 v0, 28, v6
	v_lshlrev_b64_e32 v[0:1], v0, v[8:9]
	s_delay_alu instid0(VALU_DEP_1)
	v_dual_sub_nc_u32 v1, 29, v6 :: v_dual_bitop2_b32 v0, 7, v0 bitop3:0x40
; %bb.703:                              ;   in Loop: Header=BB302_10 Depth=1
	s_or_b32 exec_lo, exec_lo, s11
	v_lshlrev_b32_e32 v6, 8, v8
	s_delay_alu instid0(VALU_DEP_2) | instskip(NEXT) | instid1(VALU_DEP_3)
	v_lshl_add_u32 v1, v1, 10, 0x2000
	v_lshlrev_b32_e32 v0, 7, v0
	s_delay_alu instid0(VALU_DEP_3) | instskip(NEXT) | instid1(VALU_DEP_3)
	v_and_b32_e32 v6, 0x8000, v6
	v_and_b32_e32 v1, 0xfc00, v1
	s_delay_alu instid0(VALU_DEP_1)
	v_or3_b32 v0, v6, v1, v0
	scratch_store_b32 off, v0, s32 offset:392 ; 4-byte Folded Spill
.LBB302_704:                            ;   in Loop: Header=BB302_10 Depth=1
	s_wait_xcnt 0x0
	s_or_b32 exec_lo, exec_lo, s8
.LBB302_705:                            ;   in Loop: Header=BB302_10 Depth=1
	s_delay_alu instid0(SALU_CYCLE_1)
	s_or_b32 exec_lo, exec_lo, s7
.LBB302_706:                            ;   in Loop: Header=BB302_10 Depth=1
	s_delay_alu instid0(SALU_CYCLE_1)
	s_or_b32 exec_lo, exec_lo, s6
	v_mov_b32_e32 v0, 0
	s_mov_b32 s6, exec_lo
	scratch_store_b32 off, v0, s32 offset:400 ; 4-byte Folded Spill
	s_wait_xcnt 0x0
	v_mov_b32_e32 v0, 0
	scratch_store_b32 off, v0, s32 offset:780 ; 4-byte Folded Spill
	s_wait_xcnt 0x0
	v_cmpx_lt_u64_e64 s[2:3], v[4:5]
	s_cbranch_execz .LBB302_714
; %bb.707:                              ;   in Loop: Header=BB302_10 Depth=1
	v_lshrrev_b32_e32 v14, 24, v5
	v_bfrev_b32_e32 v0, 1
	s_mov_b32 s7, exec_lo
	s_delay_alu instid0(VALU_DEP_2)
	v_cmpx_ne_u32_e32 0x80, v14
	s_cbranch_execz .LBB302_713
; %bb.708:                              ;   in Loop: Header=BB302_10 Depth=1
	v_and_b32_e32 v4, 0x7f, v14
	v_mov_b32_e32 v0, 0x7c010000
	s_mov_b32 s8, exec_lo
	s_delay_alu instid0(VALU_DEP_2)
	v_cmpx_ne_u32_e32 0x7f, v4
	s_cbranch_execz .LBB302_712
; %bb.709:                              ;   in Loop: Header=BB302_10 Depth=1
	v_dual_lshrrev_b32 v1, 3, v4 :: v_dual_bitop2_b32 v0, 7, v14 bitop3:0x40
	s_mov_b32 s11, exec_lo
	v_cmpx_gt_u32_e32 8, v4
; %bb.710:                              ;   in Loop: Header=BB302_10 Depth=1
	s_delay_alu instid0(VALU_DEP_2) | instskip(NEXT) | instid1(VALU_DEP_1)
	v_clz_i32_u32_e32 v0, v0
	v_min_u32_e32 v4, 32, v0
	s_delay_alu instid0(VALU_DEP_1) | instskip(NEXT) | instid1(VALU_DEP_1)
	v_subrev_nc_u32_e32 v0, 28, v4
	v_lshlrev_b64_e32 v[0:1], v0, v[14:15]
	v_sub_nc_u32_e32 v1, 29, v4
	s_delay_alu instid0(VALU_DEP_2)
	v_and_b32_e32 v0, 7, v0
; %bb.711:                              ;   in Loop: Header=BB302_10 Depth=1
	s_or_b32 exec_lo, exec_lo, s11
	s_delay_alu instid0(VALU_DEP_1) | instskip(NEXT) | instid1(VALU_DEP_3)
	v_dual_lshlrev_b32 v4, 8, v14 :: v_dual_lshlrev_b32 v0, 23, v0
	v_lshl_add_u32 v1, v1, 10, 0x2000
	s_delay_alu instid0(VALU_DEP_1) | instskip(NEXT) | instid1(VALU_DEP_1)
	v_and_or_b32 v1, 0x8000, v4, v1
	v_lshl_or_b32 v0, v1, 16, v0
.LBB302_712:                            ;   in Loop: Header=BB302_10 Depth=1
	s_or_b32 exec_lo, exec_lo, s8
.LBB302_713:                            ;   in Loop: Header=BB302_10 Depth=1
	s_delay_alu instid0(SALU_CYCLE_1)
	s_or_b32 exec_lo, exec_lo, s7
	scratch_store_b32 off, v0, s32 offset:780 ; 4-byte Folded Spill
.LBB302_714:                            ;   in Loop: Header=BB302_10 Depth=1
	s_wait_xcnt 0x0
	s_or_b32 exec_lo, exec_lo, s6
	flat_load_b64 v[4:5], v[2:3] offset:2568
	s_mov_b32 s6, exec_lo
	s_wait_loadcnt_dscnt 0x0
	v_and_b32_e32 v0, 0xff, v4
	s_wait_xcnt 0x0
	s_delay_alu instid0(VALU_DEP_1)
	v_cmpx_ne_u16_e32 0, v0
	s_cbranch_execz .LBB302_722
; %bb.715:                              ;   in Loop: Header=BB302_10 Depth=1
	v_cmp_ne_u16_e64 s1, 0x80, v0
	v_mov_b32_e32 v0, 0x8000
	scratch_store_b32 off, v0, s32 offset:400 ; 4-byte Folded Spill
	s_wait_xcnt 0x0
	s_and_saveexec_b32 s7, s1
	s_cbranch_execz .LBB302_721
; %bb.716:                              ;   in Loop: Header=BB302_10 Depth=1
	v_and_b32_e32 v6, 0x7f, v4
	v_mov_b32_e32 v0, 0x7c01
	s_mov_b32 s8, exec_lo
	scratch_store_b32 off, v0, s32 offset:400 ; 4-byte Folded Spill
	s_wait_xcnt 0x0
	v_cmpx_ne_u32_e32 0x7f, v6
	s_cbranch_execz .LBB302_720
; %bb.717:                              ;   in Loop: Header=BB302_10 Depth=1
	v_dual_lshrrev_b32 v1, 3, v6 :: v_dual_bitop2_b32 v0, 7, v4 bitop3:0x40
	s_mov_b32 s11, exec_lo
	v_cmpx_gt_u32_e32 8, v6
; %bb.718:                              ;   in Loop: Header=BB302_10 Depth=1
	s_delay_alu instid0(VALU_DEP_2) | instskip(NEXT) | instid1(VALU_DEP_1)
	v_clz_i32_u32_e32 v0, v0
	v_min_u32_e32 v6, 32, v0
	s_delay_alu instid0(VALU_DEP_1) | instskip(NEXT) | instid1(VALU_DEP_1)
	v_subrev_nc_u32_e32 v0, 28, v6
	v_lshlrev_b64_e32 v[0:1], v0, v[4:5]
	s_delay_alu instid0(VALU_DEP_1)
	v_dual_sub_nc_u32 v1, 29, v6 :: v_dual_bitop2_b32 v0, 7, v0 bitop3:0x40
; %bb.719:                              ;   in Loop: Header=BB302_10 Depth=1
	s_or_b32 exec_lo, exec_lo, s11
	v_lshlrev_b32_e32 v6, 8, v4
	s_delay_alu instid0(VALU_DEP_2) | instskip(NEXT) | instid1(VALU_DEP_3)
	v_lshl_add_u32 v1, v1, 10, 0x2000
	v_lshlrev_b32_e32 v0, 7, v0
	s_delay_alu instid0(VALU_DEP_3) | instskip(NEXT) | instid1(VALU_DEP_3)
	v_and_b32_e32 v6, 0x8000, v6
	v_and_b32_e32 v1, 0xfc00, v1
	s_delay_alu instid0(VALU_DEP_1)
	v_or3_b32 v0, v6, v1, v0
	scratch_store_b32 off, v0, s32 offset:400 ; 4-byte Folded Spill
.LBB302_720:                            ;   in Loop: Header=BB302_10 Depth=1
	s_wait_xcnt 0x0
	s_or_b32 exec_lo, exec_lo, s8
.LBB302_721:                            ;   in Loop: Header=BB302_10 Depth=1
	s_delay_alu instid0(SALU_CYCLE_1)
	s_or_b32 exec_lo, exec_lo, s7
.LBB302_722:                            ;   in Loop: Header=BB302_10 Depth=1
	s_delay_alu instid0(SALU_CYCLE_1)
	s_or_b32 exec_lo, exec_lo, s6
	v_mov_b32_e32 v0, 0
	v_lshrrev_b16 v14, 8, v4
	s_mov_b32 s6, exec_lo
	scratch_store_b32 off, v0, s32 offset:404 ; 4-byte Folded Spill
	s_wait_xcnt 0x0
	v_mov_b32_e32 v0, 0
	scratch_store_b32 off, v0, s32 offset:408 ; 4-byte Folded Spill
	s_wait_xcnt 0x0
	v_cmpx_ne_u16_e32 0, v14
	s_cbranch_execz .LBB302_730
; %bb.723:                              ;   in Loop: Header=BB302_10 Depth=1
	v_bfrev_b32_e32 v0, 1
	s_mov_b32 s7, exec_lo
	scratch_store_b32 off, v0, s32 offset:408 ; 4-byte Folded Spill
	s_wait_xcnt 0x0
	v_cmpx_ne_u16_e32 0x80, v14
	s_cbranch_execz .LBB302_729
; %bb.724:                              ;   in Loop: Header=BB302_10 Depth=1
	v_and_b32_e32 v0, 0xffff, v14
	v_mov_b32_e32 v1, 0x7c010000
	s_mov_b32 s8, exec_lo
	s_delay_alu instid0(VALU_DEP_2)
	v_and_b32_e32 v7, 0x7f, v0
	scratch_store_b32 off, v1, s32 offset:408 ; 4-byte Folded Spill
	s_wait_xcnt 0x0
	v_cmpx_ne_u32_e32 0x7f, v7
	s_cbranch_execz .LBB302_728
; %bb.725:                              ;   in Loop: Header=BB302_10 Depth=1
	v_dual_lshrrev_b32 v6, 3, v7 :: v_dual_bitop2_b32 v1, 7, v0 bitop3:0x40
	s_mov_b32 s11, exec_lo
	v_cmpx_gt_u32_e32 8, v7
; %bb.726:                              ;   in Loop: Header=BB302_10 Depth=1
	s_delay_alu instid0(VALU_DEP_2) | instskip(NEXT) | instid1(VALU_DEP_1)
	v_clz_i32_u32_e32 v1, v1
	v_min_u32_e32 v1, 32, v1
	s_delay_alu instid0(VALU_DEP_1) | instskip(NEXT) | instid1(VALU_DEP_1)
	v_subrev_nc_u32_e32 v6, 28, v1
	v_lshlrev_b64_e32 v[8:9], v6, v[14:15]
	s_delay_alu instid0(VALU_DEP_1)
	v_dual_sub_nc_u32 v6, 29, v1 :: v_dual_bitop2_b32 v1, 7, v8 bitop3:0x40
; %bb.727:                              ;   in Loop: Header=BB302_10 Depth=1
	s_or_b32 exec_lo, exec_lo, s11
	s_delay_alu instid0(VALU_DEP_1) | instskip(NEXT) | instid1(VALU_DEP_2)
	v_dual_lshlrev_b32 v0, 8, v0 :: v_dual_lshlrev_b32 v1, 23, v1
	v_lshl_add_u32 v6, v6, 10, 0x2000
	s_delay_alu instid0(VALU_DEP_1) | instskip(NEXT) | instid1(VALU_DEP_1)
	v_and_or_b32 v0, 0x8000, v0, v6
	v_lshl_or_b32 v0, v0, 16, v1
	scratch_store_b32 off, v0, s32 offset:408 ; 4-byte Folded Spill
.LBB302_728:                            ;   in Loop: Header=BB302_10 Depth=1
	s_wait_xcnt 0x0
	s_or_b32 exec_lo, exec_lo, s8
.LBB302_729:                            ;   in Loop: Header=BB302_10 Depth=1
	s_delay_alu instid0(SALU_CYCLE_1)
	s_or_b32 exec_lo, exec_lo, s7
.LBB302_730:                            ;   in Loop: Header=BB302_10 Depth=1
	s_delay_alu instid0(SALU_CYCLE_1) | instskip(SKIP_2) | instid1(VALU_DEP_1)
	s_or_b32 exec_lo, exec_lo, s6
	v_lshrrev_b32_e32 v8, 16, v4
	s_mov_b32 s6, exec_lo
	v_and_b32_e32 v0, 0xff, v8
	s_delay_alu instid0(VALU_DEP_1)
	v_cmpx_ne_u16_e32 0, v0
	s_cbranch_execz .LBB302_738
; %bb.731:                              ;   in Loop: Header=BB302_10 Depth=1
	v_cmp_ne_u16_e64 s1, 0x80, v0
	v_mov_b32_e32 v0, 0x8000
	scratch_store_b32 off, v0, s32 offset:404 ; 4-byte Folded Spill
	s_wait_xcnt 0x0
	s_and_saveexec_b32 s7, s1
	s_cbranch_execz .LBB302_737
; %bb.732:                              ;   in Loop: Header=BB302_10 Depth=1
	v_bfe_u32 v6, v4, 16, 7
	v_mov_b32_e32 v0, 0x7c01
	s_mov_b32 s8, exec_lo
	scratch_store_b32 off, v0, s32 offset:404 ; 4-byte Folded Spill
	s_wait_xcnt 0x0
	v_cmpx_ne_u32_e32 0x7f, v6
	s_cbranch_execz .LBB302_736
; %bb.733:                              ;   in Loop: Header=BB302_10 Depth=1
	v_dual_lshrrev_b32 v1, 3, v6 :: v_dual_bitop2_b32 v0, 7, v8 bitop3:0x40
	s_mov_b32 s11, exec_lo
	v_cmpx_gt_u32_e32 8, v6
; %bb.734:                              ;   in Loop: Header=BB302_10 Depth=1
	s_delay_alu instid0(VALU_DEP_2) | instskip(NEXT) | instid1(VALU_DEP_1)
	v_clz_i32_u32_e32 v0, v0
	v_min_u32_e32 v6, 32, v0
	s_delay_alu instid0(VALU_DEP_1) | instskip(NEXT) | instid1(VALU_DEP_1)
	v_subrev_nc_u32_e32 v0, 28, v6
	v_lshlrev_b64_e32 v[0:1], v0, v[8:9]
	s_delay_alu instid0(VALU_DEP_1)
	v_dual_sub_nc_u32 v1, 29, v6 :: v_dual_bitop2_b32 v0, 7, v0 bitop3:0x40
; %bb.735:                              ;   in Loop: Header=BB302_10 Depth=1
	s_or_b32 exec_lo, exec_lo, s11
	v_lshlrev_b32_e32 v6, 8, v8
	s_delay_alu instid0(VALU_DEP_2) | instskip(NEXT) | instid1(VALU_DEP_3)
	v_lshl_add_u32 v1, v1, 10, 0x2000
	v_lshlrev_b32_e32 v0, 7, v0
	s_delay_alu instid0(VALU_DEP_3) | instskip(NEXT) | instid1(VALU_DEP_3)
	v_and_b32_e32 v6, 0x8000, v6
	v_and_b32_e32 v1, 0xfc00, v1
	s_delay_alu instid0(VALU_DEP_1)
	v_or3_b32 v0, v6, v1, v0
	scratch_store_b32 off, v0, s32 offset:404 ; 4-byte Folded Spill
.LBB302_736:                            ;   in Loop: Header=BB302_10 Depth=1
	s_wait_xcnt 0x0
	s_or_b32 exec_lo, exec_lo, s8
.LBB302_737:                            ;   in Loop: Header=BB302_10 Depth=1
	s_delay_alu instid0(SALU_CYCLE_1)
	s_or_b32 exec_lo, exec_lo, s7
.LBB302_738:                            ;   in Loop: Header=BB302_10 Depth=1
	s_delay_alu instid0(SALU_CYCLE_1)
	s_or_b32 exec_lo, exec_lo, s6
	v_mov_b32_e32 v0, 0
	s_mov_b32 s6, exec_lo
	scratch_store_b32 off, v0, s32 offset:412 ; 4-byte Folded Spill
	s_wait_xcnt 0x0
	v_mov_b32_e32 v0, 0
	scratch_store_b32 off, v0, s32 offset:416 ; 4-byte Folded Spill
	s_wait_xcnt 0x0
	v_cmpx_lt_u32_e32 0xffffff, v4
	s_cbranch_execz .LBB302_746
; %bb.739:                              ;   in Loop: Header=BB302_10 Depth=1
	v_lshrrev_b32_e32 v14, 24, v4
	v_bfrev_b32_e32 v0, 1
	s_mov_b32 s7, exec_lo
	scratch_store_b32 off, v0, s32 offset:416 ; 4-byte Folded Spill
	s_wait_xcnt 0x0
	v_cmpx_ne_u32_e32 0x80, v14
	s_cbranch_execz .LBB302_745
; %bb.740:                              ;   in Loop: Header=BB302_10 Depth=1
	v_and_b32_e32 v6, 0x7f, v14
	v_mov_b32_e32 v0, 0x7c010000
	s_mov_b32 s8, exec_lo
	scratch_store_b32 off, v0, s32 offset:416 ; 4-byte Folded Spill
	s_wait_xcnt 0x0
	v_cmpx_ne_u32_e32 0x7f, v6
	s_cbranch_execz .LBB302_744
; %bb.741:                              ;   in Loop: Header=BB302_10 Depth=1
	v_and_b32_e32 v0, 7, v14
	v_lshrrev_b32_e32 v1, 3, v6
	s_mov_b32 s11, exec_lo
	v_cmpx_gt_u32_e32 8, v6
; %bb.742:                              ;   in Loop: Header=BB302_10 Depth=1
	s_delay_alu instid0(VALU_DEP_3) | instskip(NEXT) | instid1(VALU_DEP_1)
	v_clz_i32_u32_e32 v0, v0
	v_min_u32_e32 v6, 32, v0
	s_delay_alu instid0(VALU_DEP_1) | instskip(NEXT) | instid1(VALU_DEP_1)
	v_subrev_nc_u32_e32 v0, 28, v6
	v_lshlrev_b64_e32 v[0:1], v0, v[14:15]
	s_delay_alu instid0(VALU_DEP_1)
	v_dual_sub_nc_u32 v1, 29, v6 :: v_dual_bitop2_b32 v0, 7, v0 bitop3:0x40
; %bb.743:                              ;   in Loop: Header=BB302_10 Depth=1
	s_or_b32 exec_lo, exec_lo, s11
	s_delay_alu instid0(VALU_DEP_1) | instskip(NEXT) | instid1(VALU_DEP_2)
	v_dual_lshlrev_b32 v6, 8, v14 :: v_dual_lshlrev_b32 v0, 23, v0
	v_lshl_add_u32 v1, v1, 10, 0x2000
	s_delay_alu instid0(VALU_DEP_1) | instskip(NEXT) | instid1(VALU_DEP_1)
	v_and_or_b32 v1, 0x8000, v6, v1
	v_lshl_or_b32 v0, v1, 16, v0
	scratch_store_b32 off, v0, s32 offset:416 ; 4-byte Folded Spill
.LBB302_744:                            ;   in Loop: Header=BB302_10 Depth=1
	s_wait_xcnt 0x0
	s_or_b32 exec_lo, exec_lo, s8
.LBB302_745:                            ;   in Loop: Header=BB302_10 Depth=1
	s_delay_alu instid0(SALU_CYCLE_1)
	s_or_b32 exec_lo, exec_lo, s7
.LBB302_746:                            ;   in Loop: Header=BB302_10 Depth=1
	s_delay_alu instid0(SALU_CYCLE_1) | instskip(SKIP_3) | instid1(VALU_DEP_2)
	s_or_b32 exec_lo, exec_lo, s6
	v_and_b32_e32 v0, 0xff, v5
	v_mov_b32_e32 v14, v5
	s_mov_b32 s6, exec_lo
	v_cmpx_ne_u16_e32 0, v0
	s_cbranch_execz .LBB302_754
; %bb.747:                              ;   in Loop: Header=BB302_10 Depth=1
	v_cmp_ne_u16_e64 s1, 0x80, v0
	v_mov_b32_e32 v0, 0x8000
	scratch_store_b32 off, v0, s32 offset:412 ; 4-byte Folded Spill
	s_wait_xcnt 0x0
	s_and_saveexec_b32 s7, s1
	s_cbranch_execz .LBB302_753
; %bb.748:                              ;   in Loop: Header=BB302_10 Depth=1
	v_and_b32_e32 v6, 0x7f, v5
	v_mov_b32_e32 v0, 0x7c01
	s_mov_b32 s8, exec_lo
	scratch_store_b32 off, v0, s32 offset:412 ; 4-byte Folded Spill
	s_wait_xcnt 0x0
	v_cmpx_ne_u32_e32 0x7f, v6
	s_cbranch_execz .LBB302_752
; %bb.749:                              ;   in Loop: Header=BB302_10 Depth=1
	v_dual_lshrrev_b32 v1, 3, v6 :: v_dual_bitop2_b32 v0, 7, v5 bitop3:0x40
	s_mov_b32 s11, exec_lo
	v_cmpx_gt_u32_e32 8, v6
; %bb.750:                              ;   in Loop: Header=BB302_10 Depth=1
	s_delay_alu instid0(VALU_DEP_2) | instskip(NEXT) | instid1(VALU_DEP_1)
	v_clz_i32_u32_e32 v0, v0
	v_min_u32_e32 v6, 32, v0
	s_delay_alu instid0(VALU_DEP_1) | instskip(NEXT) | instid1(VALU_DEP_1)
	v_subrev_nc_u32_e32 v0, 28, v6
	v_lshlrev_b64_e32 v[0:1], v0, v[14:15]
	s_delay_alu instid0(VALU_DEP_1)
	v_dual_sub_nc_u32 v1, 29, v6 :: v_dual_bitop2_b32 v0, 7, v0 bitop3:0x40
; %bb.751:                              ;   in Loop: Header=BB302_10 Depth=1
	s_or_b32 exec_lo, exec_lo, s11
	s_delay_alu instid0(VALU_DEP_1) | instskip(NEXT) | instid1(VALU_DEP_2)
	v_dual_lshlrev_b32 v6, 8, v5 :: v_dual_lshlrev_b32 v0, 7, v0
	v_lshl_add_u32 v1, v1, 10, 0x2000
	s_delay_alu instid0(VALU_DEP_2) | instskip(NEXT) | instid1(VALU_DEP_2)
	v_and_b32_e32 v6, 0x8000, v6
	v_and_b32_e32 v1, 0xfc00, v1
	s_delay_alu instid0(VALU_DEP_1)
	v_or3_b32 v0, v6, v1, v0
	scratch_store_b32 off, v0, s32 offset:412 ; 4-byte Folded Spill
.LBB302_752:                            ;   in Loop: Header=BB302_10 Depth=1
	s_wait_xcnt 0x0
	s_or_b32 exec_lo, exec_lo, s8
.LBB302_753:                            ;   in Loop: Header=BB302_10 Depth=1
	s_delay_alu instid0(SALU_CYCLE_1)
	s_or_b32 exec_lo, exec_lo, s7
.LBB302_754:                            ;   in Loop: Header=BB302_10 Depth=1
	s_delay_alu instid0(SALU_CYCLE_1)
	s_or_b32 exec_lo, exec_lo, s6
	v_mov_b32_e32 v0, 0
	v_lshrrev_b16 v14, 8, v14
	s_mov_b32 s6, exec_lo
	scratch_store_b32 off, v0, s32 offset:420 ; 4-byte Folded Spill
	s_wait_xcnt 0x0
	v_mov_b32_e32 v0, 0
	scratch_store_b32 off, v0, s32 offset:424 ; 4-byte Folded Spill
	s_wait_xcnt 0x0
	v_cmpx_ne_u16_e32 0, v14
	s_cbranch_execz .LBB302_762
; %bb.755:                              ;   in Loop: Header=BB302_10 Depth=1
	v_bfrev_b32_e32 v0, 1
	s_mov_b32 s7, exec_lo
	scratch_store_b32 off, v0, s32 offset:424 ; 4-byte Folded Spill
	s_wait_xcnt 0x0
	v_cmpx_ne_u16_e32 0x80, v14
	s_cbranch_execz .LBB302_761
; %bb.756:                              ;   in Loop: Header=BB302_10 Depth=1
	v_and_b32_e32 v0, 0xffff, v14
	v_mov_b32_e32 v1, 0x7c010000
	s_mov_b32 s8, exec_lo
	s_delay_alu instid0(VALU_DEP_2)
	v_and_b32_e32 v7, 0x7f, v0
	scratch_store_b32 off, v1, s32 offset:424 ; 4-byte Folded Spill
	s_wait_xcnt 0x0
	v_cmpx_ne_u32_e32 0x7f, v7
	s_cbranch_execz .LBB302_760
; %bb.757:                              ;   in Loop: Header=BB302_10 Depth=1
	v_dual_lshrrev_b32 v6, 3, v7 :: v_dual_bitop2_b32 v1, 7, v0 bitop3:0x40
	s_mov_b32 s11, exec_lo
	v_cmpx_gt_u32_e32 8, v7
; %bb.758:                              ;   in Loop: Header=BB302_10 Depth=1
	s_delay_alu instid0(VALU_DEP_2) | instskip(NEXT) | instid1(VALU_DEP_1)
	v_clz_i32_u32_e32 v1, v1
	v_min_u32_e32 v1, 32, v1
	s_delay_alu instid0(VALU_DEP_1) | instskip(NEXT) | instid1(VALU_DEP_1)
	v_subrev_nc_u32_e32 v6, 28, v1
	v_lshlrev_b64_e32 v[8:9], v6, v[14:15]
	s_delay_alu instid0(VALU_DEP_1)
	v_dual_sub_nc_u32 v6, 29, v1 :: v_dual_bitop2_b32 v1, 7, v8 bitop3:0x40
; %bb.759:                              ;   in Loop: Header=BB302_10 Depth=1
	s_or_b32 exec_lo, exec_lo, s11
	s_delay_alu instid0(VALU_DEP_1) | instskip(NEXT) | instid1(VALU_DEP_2)
	v_dual_lshlrev_b32 v0, 8, v0 :: v_dual_lshlrev_b32 v1, 23, v1
	v_lshl_add_u32 v6, v6, 10, 0x2000
	s_delay_alu instid0(VALU_DEP_1) | instskip(NEXT) | instid1(VALU_DEP_1)
	v_and_or_b32 v0, 0x8000, v0, v6
	v_lshl_or_b32 v0, v0, 16, v1
	scratch_store_b32 off, v0, s32 offset:424 ; 4-byte Folded Spill
.LBB302_760:                            ;   in Loop: Header=BB302_10 Depth=1
	s_wait_xcnt 0x0
	s_or_b32 exec_lo, exec_lo, s8
.LBB302_761:                            ;   in Loop: Header=BB302_10 Depth=1
	s_delay_alu instid0(SALU_CYCLE_1)
	s_or_b32 exec_lo, exec_lo, s7
.LBB302_762:                            ;   in Loop: Header=BB302_10 Depth=1
	s_delay_alu instid0(SALU_CYCLE_1) | instskip(SKIP_2) | instid1(VALU_DEP_1)
	s_or_b32 exec_lo, exec_lo, s6
	v_lshrrev_b32_e32 v8, 16, v5
	s_mov_b32 s6, exec_lo
	v_and_b32_e32 v0, 0xff, v8
	s_delay_alu instid0(VALU_DEP_1)
	v_cmpx_ne_u16_e32 0, v0
	s_cbranch_execz .LBB302_770
; %bb.763:                              ;   in Loop: Header=BB302_10 Depth=1
	v_cmp_ne_u16_e64 s1, 0x80, v0
	v_mov_b32_e32 v0, 0x8000
	scratch_store_b32 off, v0, s32 offset:420 ; 4-byte Folded Spill
	s_wait_xcnt 0x0
	s_and_saveexec_b32 s7, s1
	s_cbranch_execz .LBB302_769
; %bb.764:                              ;   in Loop: Header=BB302_10 Depth=1
	v_bfe_u32 v6, v5, 16, 7
	v_mov_b32_e32 v0, 0x7c01
	s_mov_b32 s8, exec_lo
	scratch_store_b32 off, v0, s32 offset:420 ; 4-byte Folded Spill
	s_wait_xcnt 0x0
	v_cmpx_ne_u32_e32 0x7f, v6
	s_cbranch_execz .LBB302_768
; %bb.765:                              ;   in Loop: Header=BB302_10 Depth=1
	v_dual_lshrrev_b32 v1, 3, v6 :: v_dual_bitop2_b32 v0, 7, v8 bitop3:0x40
	s_mov_b32 s11, exec_lo
	v_cmpx_gt_u32_e32 8, v6
; %bb.766:                              ;   in Loop: Header=BB302_10 Depth=1
	s_delay_alu instid0(VALU_DEP_2) | instskip(NEXT) | instid1(VALU_DEP_1)
	v_clz_i32_u32_e32 v0, v0
	v_min_u32_e32 v6, 32, v0
	s_delay_alu instid0(VALU_DEP_1) | instskip(NEXT) | instid1(VALU_DEP_1)
	v_subrev_nc_u32_e32 v0, 28, v6
	v_lshlrev_b64_e32 v[0:1], v0, v[8:9]
	s_delay_alu instid0(VALU_DEP_1)
	v_dual_sub_nc_u32 v1, 29, v6 :: v_dual_bitop2_b32 v0, 7, v0 bitop3:0x40
; %bb.767:                              ;   in Loop: Header=BB302_10 Depth=1
	s_or_b32 exec_lo, exec_lo, s11
	v_lshlrev_b32_e32 v6, 8, v8
	s_delay_alu instid0(VALU_DEP_2) | instskip(NEXT) | instid1(VALU_DEP_3)
	v_lshl_add_u32 v1, v1, 10, 0x2000
	v_lshlrev_b32_e32 v0, 7, v0
	s_delay_alu instid0(VALU_DEP_3) | instskip(NEXT) | instid1(VALU_DEP_3)
	v_and_b32_e32 v6, 0x8000, v6
	v_and_b32_e32 v1, 0xfc00, v1
	s_delay_alu instid0(VALU_DEP_1)
	v_or3_b32 v0, v6, v1, v0
	scratch_store_b32 off, v0, s32 offset:420 ; 4-byte Folded Spill
.LBB302_768:                            ;   in Loop: Header=BB302_10 Depth=1
	s_wait_xcnt 0x0
	s_or_b32 exec_lo, exec_lo, s8
.LBB302_769:                            ;   in Loop: Header=BB302_10 Depth=1
	s_delay_alu instid0(SALU_CYCLE_1)
	s_or_b32 exec_lo, exec_lo, s7
.LBB302_770:                            ;   in Loop: Header=BB302_10 Depth=1
	s_delay_alu instid0(SALU_CYCLE_1)
	s_or_b32 exec_lo, exec_lo, s6
	v_mov_b32_e32 v0, 0
	s_mov_b32 s6, exec_lo
	scratch_store_b32 off, v0, s32 offset:428 ; 4-byte Folded Spill
	s_wait_xcnt 0x0
	v_mov_b32_e32 v0, 0
	scratch_store_b32 off, v0, s32 offset:784 ; 4-byte Folded Spill
	s_wait_xcnt 0x0
	v_cmpx_lt_u64_e64 s[2:3], v[4:5]
	s_cbranch_execz .LBB302_778
; %bb.771:                              ;   in Loop: Header=BB302_10 Depth=1
	v_lshrrev_b32_e32 v14, 24, v5
	v_bfrev_b32_e32 v0, 1
	s_mov_b32 s7, exec_lo
	s_delay_alu instid0(VALU_DEP_2)
	v_cmpx_ne_u32_e32 0x80, v14
	s_cbranch_execz .LBB302_777
; %bb.772:                              ;   in Loop: Header=BB302_10 Depth=1
	v_and_b32_e32 v4, 0x7f, v14
	v_mov_b32_e32 v0, 0x7c010000
	s_mov_b32 s8, exec_lo
	s_delay_alu instid0(VALU_DEP_2)
	v_cmpx_ne_u32_e32 0x7f, v4
	s_cbranch_execz .LBB302_776
; %bb.773:                              ;   in Loop: Header=BB302_10 Depth=1
	v_dual_lshrrev_b32 v1, 3, v4 :: v_dual_bitop2_b32 v0, 7, v14 bitop3:0x40
	s_mov_b32 s11, exec_lo
	v_cmpx_gt_u32_e32 8, v4
; %bb.774:                              ;   in Loop: Header=BB302_10 Depth=1
	s_delay_alu instid0(VALU_DEP_2) | instskip(NEXT) | instid1(VALU_DEP_1)
	v_clz_i32_u32_e32 v0, v0
	v_min_u32_e32 v4, 32, v0
	s_delay_alu instid0(VALU_DEP_1) | instskip(NEXT) | instid1(VALU_DEP_1)
	v_subrev_nc_u32_e32 v0, 28, v4
	v_lshlrev_b64_e32 v[0:1], v0, v[14:15]
	v_sub_nc_u32_e32 v1, 29, v4
	s_delay_alu instid0(VALU_DEP_2)
	v_and_b32_e32 v0, 7, v0
; %bb.775:                              ;   in Loop: Header=BB302_10 Depth=1
	s_or_b32 exec_lo, exec_lo, s11
	s_delay_alu instid0(VALU_DEP_1) | instskip(NEXT) | instid1(VALU_DEP_3)
	v_dual_lshlrev_b32 v4, 8, v14 :: v_dual_lshlrev_b32 v0, 23, v0
	v_lshl_add_u32 v1, v1, 10, 0x2000
	s_delay_alu instid0(VALU_DEP_1) | instskip(NEXT) | instid1(VALU_DEP_1)
	v_and_or_b32 v1, 0x8000, v4, v1
	v_lshl_or_b32 v0, v1, 16, v0
.LBB302_776:                            ;   in Loop: Header=BB302_10 Depth=1
	s_or_b32 exec_lo, exec_lo, s8
.LBB302_777:                            ;   in Loop: Header=BB302_10 Depth=1
	s_delay_alu instid0(SALU_CYCLE_1)
	s_or_b32 exec_lo, exec_lo, s7
	scratch_store_b32 off, v0, s32 offset:784 ; 4-byte Folded Spill
.LBB302_778:                            ;   in Loop: Header=BB302_10 Depth=1
	s_wait_xcnt 0x0
	s_or_b32 exec_lo, exec_lo, s6
	flat_load_b64 v[4:5], v[2:3] offset:3072
	s_mov_b32 s6, exec_lo
	s_wait_loadcnt_dscnt 0x0
	v_and_b32_e32 v0, 0xff, v4
	s_wait_xcnt 0x0
	s_delay_alu instid0(VALU_DEP_1)
	v_cmpx_ne_u16_e32 0, v0
	s_cbranch_execz .LBB302_786
; %bb.779:                              ;   in Loop: Header=BB302_10 Depth=1
	v_cmp_ne_u16_e64 s1, 0x80, v0
	v_mov_b32_e32 v0, 0x8000
	scratch_store_b32 off, v0, s32 offset:428 ; 4-byte Folded Spill
	s_wait_xcnt 0x0
	s_and_saveexec_b32 s7, s1
	s_cbranch_execz .LBB302_785
; %bb.780:                              ;   in Loop: Header=BB302_10 Depth=1
	v_and_b32_e32 v6, 0x7f, v4
	v_mov_b32_e32 v0, 0x7c01
	s_mov_b32 s8, exec_lo
	scratch_store_b32 off, v0, s32 offset:428 ; 4-byte Folded Spill
	s_wait_xcnt 0x0
	v_cmpx_ne_u32_e32 0x7f, v6
	s_cbranch_execz .LBB302_784
; %bb.781:                              ;   in Loop: Header=BB302_10 Depth=1
	v_dual_lshrrev_b32 v1, 3, v6 :: v_dual_bitop2_b32 v0, 7, v4 bitop3:0x40
	s_mov_b32 s11, exec_lo
	v_cmpx_gt_u32_e32 8, v6
; %bb.782:                              ;   in Loop: Header=BB302_10 Depth=1
	s_delay_alu instid0(VALU_DEP_2) | instskip(NEXT) | instid1(VALU_DEP_1)
	v_clz_i32_u32_e32 v0, v0
	v_min_u32_e32 v6, 32, v0
	s_delay_alu instid0(VALU_DEP_1) | instskip(NEXT) | instid1(VALU_DEP_1)
	v_subrev_nc_u32_e32 v0, 28, v6
	v_lshlrev_b64_e32 v[0:1], v0, v[4:5]
	s_delay_alu instid0(VALU_DEP_1)
	v_dual_sub_nc_u32 v1, 29, v6 :: v_dual_bitop2_b32 v0, 7, v0 bitop3:0x40
; %bb.783:                              ;   in Loop: Header=BB302_10 Depth=1
	s_or_b32 exec_lo, exec_lo, s11
	v_lshlrev_b32_e32 v6, 8, v4
	s_delay_alu instid0(VALU_DEP_2) | instskip(NEXT) | instid1(VALU_DEP_3)
	v_lshl_add_u32 v1, v1, 10, 0x2000
	v_lshlrev_b32_e32 v0, 7, v0
	s_delay_alu instid0(VALU_DEP_3) | instskip(NEXT) | instid1(VALU_DEP_3)
	v_and_b32_e32 v6, 0x8000, v6
	v_and_b32_e32 v1, 0xfc00, v1
	s_delay_alu instid0(VALU_DEP_1)
	v_or3_b32 v0, v6, v1, v0
	scratch_store_b32 off, v0, s32 offset:428 ; 4-byte Folded Spill
.LBB302_784:                            ;   in Loop: Header=BB302_10 Depth=1
	s_wait_xcnt 0x0
	s_or_b32 exec_lo, exec_lo, s8
.LBB302_785:                            ;   in Loop: Header=BB302_10 Depth=1
	s_delay_alu instid0(SALU_CYCLE_1)
	s_or_b32 exec_lo, exec_lo, s7
.LBB302_786:                            ;   in Loop: Header=BB302_10 Depth=1
	s_delay_alu instid0(SALU_CYCLE_1)
	s_or_b32 exec_lo, exec_lo, s6
	v_mov_b32_e32 v0, 0
	v_lshrrev_b16 v14, 8, v4
	s_mov_b32 s6, exec_lo
	scratch_store_b32 off, v0, s32 offset:432 ; 4-byte Folded Spill
	s_wait_xcnt 0x0
	v_mov_b32_e32 v0, 0
	scratch_store_b32 off, v0, s32 offset:436 ; 4-byte Folded Spill
	s_wait_xcnt 0x0
	v_cmpx_ne_u16_e32 0, v14
	s_cbranch_execz .LBB302_794
; %bb.787:                              ;   in Loop: Header=BB302_10 Depth=1
	v_bfrev_b32_e32 v0, 1
	s_mov_b32 s7, exec_lo
	scratch_store_b32 off, v0, s32 offset:436 ; 4-byte Folded Spill
	s_wait_xcnt 0x0
	v_cmpx_ne_u16_e32 0x80, v14
	s_cbranch_execz .LBB302_793
; %bb.788:                              ;   in Loop: Header=BB302_10 Depth=1
	v_and_b32_e32 v0, 0xffff, v14
	v_mov_b32_e32 v1, 0x7c010000
	s_mov_b32 s8, exec_lo
	s_delay_alu instid0(VALU_DEP_2)
	v_and_b32_e32 v7, 0x7f, v0
	scratch_store_b32 off, v1, s32 offset:436 ; 4-byte Folded Spill
	s_wait_xcnt 0x0
	v_cmpx_ne_u32_e32 0x7f, v7
	s_cbranch_execz .LBB302_792
; %bb.789:                              ;   in Loop: Header=BB302_10 Depth=1
	v_dual_lshrrev_b32 v6, 3, v7 :: v_dual_bitop2_b32 v1, 7, v0 bitop3:0x40
	s_mov_b32 s11, exec_lo
	v_cmpx_gt_u32_e32 8, v7
; %bb.790:                              ;   in Loop: Header=BB302_10 Depth=1
	s_delay_alu instid0(VALU_DEP_2) | instskip(NEXT) | instid1(VALU_DEP_1)
	v_clz_i32_u32_e32 v1, v1
	v_min_u32_e32 v1, 32, v1
	s_delay_alu instid0(VALU_DEP_1) | instskip(NEXT) | instid1(VALU_DEP_1)
	v_subrev_nc_u32_e32 v6, 28, v1
	v_lshlrev_b64_e32 v[8:9], v6, v[14:15]
	s_delay_alu instid0(VALU_DEP_1)
	v_dual_sub_nc_u32 v6, 29, v1 :: v_dual_bitop2_b32 v1, 7, v8 bitop3:0x40
; %bb.791:                              ;   in Loop: Header=BB302_10 Depth=1
	s_or_b32 exec_lo, exec_lo, s11
	s_delay_alu instid0(VALU_DEP_1) | instskip(NEXT) | instid1(VALU_DEP_2)
	v_dual_lshlrev_b32 v0, 8, v0 :: v_dual_lshlrev_b32 v1, 23, v1
	v_lshl_add_u32 v6, v6, 10, 0x2000
	s_delay_alu instid0(VALU_DEP_1) | instskip(NEXT) | instid1(VALU_DEP_1)
	v_and_or_b32 v0, 0x8000, v0, v6
	v_lshl_or_b32 v0, v0, 16, v1
	scratch_store_b32 off, v0, s32 offset:436 ; 4-byte Folded Spill
.LBB302_792:                            ;   in Loop: Header=BB302_10 Depth=1
	s_wait_xcnt 0x0
	s_or_b32 exec_lo, exec_lo, s8
.LBB302_793:                            ;   in Loop: Header=BB302_10 Depth=1
	s_delay_alu instid0(SALU_CYCLE_1)
	s_or_b32 exec_lo, exec_lo, s7
.LBB302_794:                            ;   in Loop: Header=BB302_10 Depth=1
	s_delay_alu instid0(SALU_CYCLE_1) | instskip(SKIP_2) | instid1(VALU_DEP_1)
	s_or_b32 exec_lo, exec_lo, s6
	v_lshrrev_b32_e32 v8, 16, v4
	s_mov_b32 s6, exec_lo
	v_and_b32_e32 v0, 0xff, v8
	s_delay_alu instid0(VALU_DEP_1)
	v_cmpx_ne_u16_e32 0, v0
	s_cbranch_execz .LBB302_802
; %bb.795:                              ;   in Loop: Header=BB302_10 Depth=1
	v_cmp_ne_u16_e64 s1, 0x80, v0
	v_mov_b32_e32 v0, 0x8000
	scratch_store_b32 off, v0, s32 offset:432 ; 4-byte Folded Spill
	s_wait_xcnt 0x0
	s_and_saveexec_b32 s7, s1
	s_cbranch_execz .LBB302_801
; %bb.796:                              ;   in Loop: Header=BB302_10 Depth=1
	v_bfe_u32 v6, v4, 16, 7
	v_mov_b32_e32 v0, 0x7c01
	s_mov_b32 s8, exec_lo
	scratch_store_b32 off, v0, s32 offset:432 ; 4-byte Folded Spill
	s_wait_xcnt 0x0
	v_cmpx_ne_u32_e32 0x7f, v6
	s_cbranch_execz .LBB302_800
; %bb.797:                              ;   in Loop: Header=BB302_10 Depth=1
	v_dual_lshrrev_b32 v1, 3, v6 :: v_dual_bitop2_b32 v0, 7, v8 bitop3:0x40
	s_mov_b32 s11, exec_lo
	v_cmpx_gt_u32_e32 8, v6
; %bb.798:                              ;   in Loop: Header=BB302_10 Depth=1
	s_delay_alu instid0(VALU_DEP_2) | instskip(NEXT) | instid1(VALU_DEP_1)
	v_clz_i32_u32_e32 v0, v0
	v_min_u32_e32 v6, 32, v0
	s_delay_alu instid0(VALU_DEP_1) | instskip(NEXT) | instid1(VALU_DEP_1)
	v_subrev_nc_u32_e32 v0, 28, v6
	v_lshlrev_b64_e32 v[0:1], v0, v[8:9]
	s_delay_alu instid0(VALU_DEP_1)
	v_dual_sub_nc_u32 v1, 29, v6 :: v_dual_bitop2_b32 v0, 7, v0 bitop3:0x40
; %bb.799:                              ;   in Loop: Header=BB302_10 Depth=1
	s_or_b32 exec_lo, exec_lo, s11
	v_lshlrev_b32_e32 v6, 8, v8
	s_delay_alu instid0(VALU_DEP_2) | instskip(NEXT) | instid1(VALU_DEP_3)
	v_lshl_add_u32 v1, v1, 10, 0x2000
	v_lshlrev_b32_e32 v0, 7, v0
	s_delay_alu instid0(VALU_DEP_3) | instskip(NEXT) | instid1(VALU_DEP_3)
	v_and_b32_e32 v6, 0x8000, v6
	v_and_b32_e32 v1, 0xfc00, v1
	s_delay_alu instid0(VALU_DEP_1)
	v_or3_b32 v0, v6, v1, v0
	scratch_store_b32 off, v0, s32 offset:432 ; 4-byte Folded Spill
.LBB302_800:                            ;   in Loop: Header=BB302_10 Depth=1
	s_wait_xcnt 0x0
	s_or_b32 exec_lo, exec_lo, s8
.LBB302_801:                            ;   in Loop: Header=BB302_10 Depth=1
	s_delay_alu instid0(SALU_CYCLE_1)
	s_or_b32 exec_lo, exec_lo, s7
.LBB302_802:                            ;   in Loop: Header=BB302_10 Depth=1
	s_delay_alu instid0(SALU_CYCLE_1)
	s_or_b32 exec_lo, exec_lo, s6
	v_mov_b32_e32 v0, 0
	s_mov_b32 s6, exec_lo
	scratch_store_b32 off, v0, s32 offset:440 ; 4-byte Folded Spill
	s_wait_xcnt 0x0
	v_mov_b32_e32 v0, 0
	scratch_store_b32 off, v0, s32 offset:444 ; 4-byte Folded Spill
	s_wait_xcnt 0x0
	v_cmpx_lt_u32_e32 0xffffff, v4
	s_cbranch_execz .LBB302_810
; %bb.803:                              ;   in Loop: Header=BB302_10 Depth=1
	v_lshrrev_b32_e32 v14, 24, v4
	v_bfrev_b32_e32 v0, 1
	s_mov_b32 s7, exec_lo
	scratch_store_b32 off, v0, s32 offset:444 ; 4-byte Folded Spill
	s_wait_xcnt 0x0
	v_cmpx_ne_u32_e32 0x80, v14
	s_cbranch_execz .LBB302_809
; %bb.804:                              ;   in Loop: Header=BB302_10 Depth=1
	v_and_b32_e32 v6, 0x7f, v14
	v_mov_b32_e32 v0, 0x7c010000
	s_mov_b32 s8, exec_lo
	scratch_store_b32 off, v0, s32 offset:444 ; 4-byte Folded Spill
	s_wait_xcnt 0x0
	v_cmpx_ne_u32_e32 0x7f, v6
	s_cbranch_execz .LBB302_808
; %bb.805:                              ;   in Loop: Header=BB302_10 Depth=1
	v_and_b32_e32 v0, 7, v14
	v_lshrrev_b32_e32 v1, 3, v6
	s_mov_b32 s11, exec_lo
	v_cmpx_gt_u32_e32 8, v6
; %bb.806:                              ;   in Loop: Header=BB302_10 Depth=1
	s_delay_alu instid0(VALU_DEP_3) | instskip(NEXT) | instid1(VALU_DEP_1)
	v_clz_i32_u32_e32 v0, v0
	v_min_u32_e32 v6, 32, v0
	s_delay_alu instid0(VALU_DEP_1) | instskip(NEXT) | instid1(VALU_DEP_1)
	v_subrev_nc_u32_e32 v0, 28, v6
	v_lshlrev_b64_e32 v[0:1], v0, v[14:15]
	s_delay_alu instid0(VALU_DEP_1)
	v_dual_sub_nc_u32 v1, 29, v6 :: v_dual_bitop2_b32 v0, 7, v0 bitop3:0x40
; %bb.807:                              ;   in Loop: Header=BB302_10 Depth=1
	s_or_b32 exec_lo, exec_lo, s11
	s_delay_alu instid0(VALU_DEP_1) | instskip(NEXT) | instid1(VALU_DEP_2)
	v_dual_lshlrev_b32 v6, 8, v14 :: v_dual_lshlrev_b32 v0, 23, v0
	v_lshl_add_u32 v1, v1, 10, 0x2000
	s_delay_alu instid0(VALU_DEP_1) | instskip(NEXT) | instid1(VALU_DEP_1)
	v_and_or_b32 v1, 0x8000, v6, v1
	v_lshl_or_b32 v0, v1, 16, v0
	scratch_store_b32 off, v0, s32 offset:444 ; 4-byte Folded Spill
.LBB302_808:                            ;   in Loop: Header=BB302_10 Depth=1
	s_wait_xcnt 0x0
	s_or_b32 exec_lo, exec_lo, s8
.LBB302_809:                            ;   in Loop: Header=BB302_10 Depth=1
	s_delay_alu instid0(SALU_CYCLE_1)
	s_or_b32 exec_lo, exec_lo, s7
.LBB302_810:                            ;   in Loop: Header=BB302_10 Depth=1
	s_delay_alu instid0(SALU_CYCLE_1) | instskip(SKIP_3) | instid1(VALU_DEP_2)
	s_or_b32 exec_lo, exec_lo, s6
	v_and_b32_e32 v0, 0xff, v5
	v_mov_b32_e32 v14, v5
	s_mov_b32 s6, exec_lo
	v_cmpx_ne_u16_e32 0, v0
	s_cbranch_execz .LBB302_818
; %bb.811:                              ;   in Loop: Header=BB302_10 Depth=1
	v_cmp_ne_u16_e64 s1, 0x80, v0
	v_mov_b32_e32 v0, 0x8000
	scratch_store_b32 off, v0, s32 offset:440 ; 4-byte Folded Spill
	s_wait_xcnt 0x0
	s_and_saveexec_b32 s7, s1
	s_cbranch_execz .LBB302_817
; %bb.812:                              ;   in Loop: Header=BB302_10 Depth=1
	v_and_b32_e32 v6, 0x7f, v5
	v_mov_b32_e32 v0, 0x7c01
	s_mov_b32 s8, exec_lo
	scratch_store_b32 off, v0, s32 offset:440 ; 4-byte Folded Spill
	s_wait_xcnt 0x0
	v_cmpx_ne_u32_e32 0x7f, v6
	s_cbranch_execz .LBB302_816
; %bb.813:                              ;   in Loop: Header=BB302_10 Depth=1
	v_dual_lshrrev_b32 v1, 3, v6 :: v_dual_bitop2_b32 v0, 7, v5 bitop3:0x40
	s_mov_b32 s11, exec_lo
	v_cmpx_gt_u32_e32 8, v6
; %bb.814:                              ;   in Loop: Header=BB302_10 Depth=1
	s_delay_alu instid0(VALU_DEP_2) | instskip(NEXT) | instid1(VALU_DEP_1)
	v_clz_i32_u32_e32 v0, v0
	v_min_u32_e32 v6, 32, v0
	s_delay_alu instid0(VALU_DEP_1) | instskip(NEXT) | instid1(VALU_DEP_1)
	v_subrev_nc_u32_e32 v0, 28, v6
	v_lshlrev_b64_e32 v[0:1], v0, v[14:15]
	s_delay_alu instid0(VALU_DEP_1)
	v_dual_sub_nc_u32 v1, 29, v6 :: v_dual_bitop2_b32 v0, 7, v0 bitop3:0x40
; %bb.815:                              ;   in Loop: Header=BB302_10 Depth=1
	s_or_b32 exec_lo, exec_lo, s11
	s_delay_alu instid0(VALU_DEP_1) | instskip(NEXT) | instid1(VALU_DEP_2)
	v_dual_lshlrev_b32 v6, 8, v5 :: v_dual_lshlrev_b32 v0, 7, v0
	v_lshl_add_u32 v1, v1, 10, 0x2000
	s_delay_alu instid0(VALU_DEP_2) | instskip(NEXT) | instid1(VALU_DEP_2)
	v_and_b32_e32 v6, 0x8000, v6
	v_and_b32_e32 v1, 0xfc00, v1
	s_delay_alu instid0(VALU_DEP_1)
	v_or3_b32 v0, v6, v1, v0
	scratch_store_b32 off, v0, s32 offset:440 ; 4-byte Folded Spill
.LBB302_816:                            ;   in Loop: Header=BB302_10 Depth=1
	s_wait_xcnt 0x0
	s_or_b32 exec_lo, exec_lo, s8
.LBB302_817:                            ;   in Loop: Header=BB302_10 Depth=1
	s_delay_alu instid0(SALU_CYCLE_1)
	s_or_b32 exec_lo, exec_lo, s7
.LBB302_818:                            ;   in Loop: Header=BB302_10 Depth=1
	s_delay_alu instid0(SALU_CYCLE_1)
	s_or_b32 exec_lo, exec_lo, s6
	v_mov_b32_e32 v0, 0
	v_lshrrev_b16 v14, 8, v14
	s_mov_b32 s6, exec_lo
	scratch_store_b32 off, v0, s32 offset:448 ; 4-byte Folded Spill
	s_wait_xcnt 0x0
	v_mov_b32_e32 v0, 0
	scratch_store_b32 off, v0, s32 offset:452 ; 4-byte Folded Spill
	s_wait_xcnt 0x0
	v_cmpx_ne_u16_e32 0, v14
	s_cbranch_execz .LBB302_826
; %bb.819:                              ;   in Loop: Header=BB302_10 Depth=1
	v_bfrev_b32_e32 v0, 1
	s_mov_b32 s7, exec_lo
	scratch_store_b32 off, v0, s32 offset:452 ; 4-byte Folded Spill
	s_wait_xcnt 0x0
	v_cmpx_ne_u16_e32 0x80, v14
	s_cbranch_execz .LBB302_825
; %bb.820:                              ;   in Loop: Header=BB302_10 Depth=1
	v_and_b32_e32 v0, 0xffff, v14
	v_mov_b32_e32 v1, 0x7c010000
	s_mov_b32 s8, exec_lo
	s_delay_alu instid0(VALU_DEP_2)
	v_and_b32_e32 v7, 0x7f, v0
	scratch_store_b32 off, v1, s32 offset:452 ; 4-byte Folded Spill
	s_wait_xcnt 0x0
	v_cmpx_ne_u32_e32 0x7f, v7
	s_cbranch_execz .LBB302_824
; %bb.821:                              ;   in Loop: Header=BB302_10 Depth=1
	v_dual_lshrrev_b32 v6, 3, v7 :: v_dual_bitop2_b32 v1, 7, v0 bitop3:0x40
	s_mov_b32 s11, exec_lo
	v_cmpx_gt_u32_e32 8, v7
; %bb.822:                              ;   in Loop: Header=BB302_10 Depth=1
	s_delay_alu instid0(VALU_DEP_2) | instskip(NEXT) | instid1(VALU_DEP_1)
	v_clz_i32_u32_e32 v1, v1
	v_min_u32_e32 v1, 32, v1
	s_delay_alu instid0(VALU_DEP_1) | instskip(NEXT) | instid1(VALU_DEP_1)
	v_subrev_nc_u32_e32 v6, 28, v1
	v_lshlrev_b64_e32 v[8:9], v6, v[14:15]
	s_delay_alu instid0(VALU_DEP_1)
	v_dual_sub_nc_u32 v6, 29, v1 :: v_dual_bitop2_b32 v1, 7, v8 bitop3:0x40
; %bb.823:                              ;   in Loop: Header=BB302_10 Depth=1
	s_or_b32 exec_lo, exec_lo, s11
	s_delay_alu instid0(VALU_DEP_1) | instskip(NEXT) | instid1(VALU_DEP_2)
	v_dual_lshlrev_b32 v0, 8, v0 :: v_dual_lshlrev_b32 v1, 23, v1
	v_lshl_add_u32 v6, v6, 10, 0x2000
	s_delay_alu instid0(VALU_DEP_1) | instskip(NEXT) | instid1(VALU_DEP_1)
	v_and_or_b32 v0, 0x8000, v0, v6
	v_lshl_or_b32 v0, v0, 16, v1
	scratch_store_b32 off, v0, s32 offset:452 ; 4-byte Folded Spill
.LBB302_824:                            ;   in Loop: Header=BB302_10 Depth=1
	s_wait_xcnt 0x0
	s_or_b32 exec_lo, exec_lo, s8
.LBB302_825:                            ;   in Loop: Header=BB302_10 Depth=1
	s_delay_alu instid0(SALU_CYCLE_1)
	s_or_b32 exec_lo, exec_lo, s7
.LBB302_826:                            ;   in Loop: Header=BB302_10 Depth=1
	s_delay_alu instid0(SALU_CYCLE_1) | instskip(SKIP_2) | instid1(VALU_DEP_1)
	s_or_b32 exec_lo, exec_lo, s6
	v_lshrrev_b32_e32 v8, 16, v5
	s_mov_b32 s6, exec_lo
	v_and_b32_e32 v0, 0xff, v8
	s_delay_alu instid0(VALU_DEP_1)
	v_cmpx_ne_u16_e32 0, v0
	s_cbranch_execz .LBB302_834
; %bb.827:                              ;   in Loop: Header=BB302_10 Depth=1
	v_cmp_ne_u16_e64 s1, 0x80, v0
	v_mov_b32_e32 v0, 0x8000
	scratch_store_b32 off, v0, s32 offset:448 ; 4-byte Folded Spill
	s_wait_xcnt 0x0
	s_and_saveexec_b32 s7, s1
	s_cbranch_execz .LBB302_833
; %bb.828:                              ;   in Loop: Header=BB302_10 Depth=1
	v_bfe_u32 v6, v5, 16, 7
	v_mov_b32_e32 v0, 0x7c01
	s_mov_b32 s8, exec_lo
	scratch_store_b32 off, v0, s32 offset:448 ; 4-byte Folded Spill
	s_wait_xcnt 0x0
	v_cmpx_ne_u32_e32 0x7f, v6
	s_cbranch_execz .LBB302_832
; %bb.829:                              ;   in Loop: Header=BB302_10 Depth=1
	v_dual_lshrrev_b32 v1, 3, v6 :: v_dual_bitop2_b32 v0, 7, v8 bitop3:0x40
	s_mov_b32 s11, exec_lo
	v_cmpx_gt_u32_e32 8, v6
; %bb.830:                              ;   in Loop: Header=BB302_10 Depth=1
	s_delay_alu instid0(VALU_DEP_2) | instskip(NEXT) | instid1(VALU_DEP_1)
	v_clz_i32_u32_e32 v0, v0
	v_min_u32_e32 v6, 32, v0
	s_delay_alu instid0(VALU_DEP_1) | instskip(NEXT) | instid1(VALU_DEP_1)
	v_subrev_nc_u32_e32 v0, 28, v6
	v_lshlrev_b64_e32 v[0:1], v0, v[8:9]
	s_delay_alu instid0(VALU_DEP_1)
	v_dual_sub_nc_u32 v1, 29, v6 :: v_dual_bitop2_b32 v0, 7, v0 bitop3:0x40
; %bb.831:                              ;   in Loop: Header=BB302_10 Depth=1
	s_or_b32 exec_lo, exec_lo, s11
	v_lshlrev_b32_e32 v6, 8, v8
	s_delay_alu instid0(VALU_DEP_2) | instskip(NEXT) | instid1(VALU_DEP_3)
	v_lshl_add_u32 v1, v1, 10, 0x2000
	v_lshlrev_b32_e32 v0, 7, v0
	s_delay_alu instid0(VALU_DEP_3) | instskip(NEXT) | instid1(VALU_DEP_3)
	v_and_b32_e32 v6, 0x8000, v6
	v_and_b32_e32 v1, 0xfc00, v1
	s_delay_alu instid0(VALU_DEP_1)
	v_or3_b32 v0, v6, v1, v0
	scratch_store_b32 off, v0, s32 offset:448 ; 4-byte Folded Spill
.LBB302_832:                            ;   in Loop: Header=BB302_10 Depth=1
	s_wait_xcnt 0x0
	s_or_b32 exec_lo, exec_lo, s8
.LBB302_833:                            ;   in Loop: Header=BB302_10 Depth=1
	s_delay_alu instid0(SALU_CYCLE_1)
	s_or_b32 exec_lo, exec_lo, s7
.LBB302_834:                            ;   in Loop: Header=BB302_10 Depth=1
	s_delay_alu instid0(SALU_CYCLE_1)
	s_or_b32 exec_lo, exec_lo, s6
	v_mov_b32_e32 v0, 0
	s_mov_b32 s6, exec_lo
	scratch_store_b32 off, v0, s32 offset:456 ; 4-byte Folded Spill
	s_wait_xcnt 0x0
	v_mov_b32_e32 v0, 0
	scratch_store_b32 off, v0, s32 offset:788 ; 4-byte Folded Spill
	s_wait_xcnt 0x0
	v_cmpx_lt_u64_e64 s[2:3], v[4:5]
	s_cbranch_execz .LBB302_842
; %bb.835:                              ;   in Loop: Header=BB302_10 Depth=1
	v_lshrrev_b32_e32 v14, 24, v5
	v_bfrev_b32_e32 v0, 1
	s_mov_b32 s7, exec_lo
	s_delay_alu instid0(VALU_DEP_2)
	v_cmpx_ne_u32_e32 0x80, v14
	s_cbranch_execz .LBB302_841
; %bb.836:                              ;   in Loop: Header=BB302_10 Depth=1
	v_and_b32_e32 v4, 0x7f, v14
	v_mov_b32_e32 v0, 0x7c010000
	s_mov_b32 s8, exec_lo
	s_delay_alu instid0(VALU_DEP_2)
	v_cmpx_ne_u32_e32 0x7f, v4
	s_cbranch_execz .LBB302_840
; %bb.837:                              ;   in Loop: Header=BB302_10 Depth=1
	v_dual_lshrrev_b32 v1, 3, v4 :: v_dual_bitop2_b32 v0, 7, v14 bitop3:0x40
	s_mov_b32 s11, exec_lo
	v_cmpx_gt_u32_e32 8, v4
; %bb.838:                              ;   in Loop: Header=BB302_10 Depth=1
	s_delay_alu instid0(VALU_DEP_2) | instskip(NEXT) | instid1(VALU_DEP_1)
	v_clz_i32_u32_e32 v0, v0
	v_min_u32_e32 v4, 32, v0
	s_delay_alu instid0(VALU_DEP_1) | instskip(NEXT) | instid1(VALU_DEP_1)
	v_subrev_nc_u32_e32 v0, 28, v4
	v_lshlrev_b64_e32 v[0:1], v0, v[14:15]
	v_sub_nc_u32_e32 v1, 29, v4
	s_delay_alu instid0(VALU_DEP_2)
	v_and_b32_e32 v0, 7, v0
; %bb.839:                              ;   in Loop: Header=BB302_10 Depth=1
	s_or_b32 exec_lo, exec_lo, s11
	s_delay_alu instid0(VALU_DEP_1) | instskip(NEXT) | instid1(VALU_DEP_3)
	v_dual_lshlrev_b32 v4, 8, v14 :: v_dual_lshlrev_b32 v0, 23, v0
	v_lshl_add_u32 v1, v1, 10, 0x2000
	s_delay_alu instid0(VALU_DEP_1) | instskip(NEXT) | instid1(VALU_DEP_1)
	v_and_or_b32 v1, 0x8000, v4, v1
	v_lshl_or_b32 v0, v1, 16, v0
.LBB302_840:                            ;   in Loop: Header=BB302_10 Depth=1
	s_or_b32 exec_lo, exec_lo, s8
.LBB302_841:                            ;   in Loop: Header=BB302_10 Depth=1
	s_delay_alu instid0(SALU_CYCLE_1)
	s_or_b32 exec_lo, exec_lo, s7
	scratch_store_b32 off, v0, s32 offset:788 ; 4-byte Folded Spill
.LBB302_842:                            ;   in Loop: Header=BB302_10 Depth=1
	s_wait_xcnt 0x0
	s_or_b32 exec_lo, exec_lo, s6
	flat_load_b64 v[4:5], v[2:3] offset:3080
	s_mov_b32 s6, exec_lo
	s_wait_loadcnt_dscnt 0x0
	v_and_b32_e32 v0, 0xff, v4
	s_wait_xcnt 0x0
	s_delay_alu instid0(VALU_DEP_1)
	v_cmpx_ne_u16_e32 0, v0
	s_cbranch_execz .LBB302_850
; %bb.843:                              ;   in Loop: Header=BB302_10 Depth=1
	v_cmp_ne_u16_e64 s1, 0x80, v0
	v_mov_b32_e32 v0, 0x8000
	scratch_store_b32 off, v0, s32 offset:456 ; 4-byte Folded Spill
	s_wait_xcnt 0x0
	s_and_saveexec_b32 s7, s1
	s_cbranch_execz .LBB302_849
; %bb.844:                              ;   in Loop: Header=BB302_10 Depth=1
	v_and_b32_e32 v6, 0x7f, v4
	v_mov_b32_e32 v0, 0x7c01
	s_mov_b32 s8, exec_lo
	scratch_store_b32 off, v0, s32 offset:456 ; 4-byte Folded Spill
	s_wait_xcnt 0x0
	v_cmpx_ne_u32_e32 0x7f, v6
	s_cbranch_execz .LBB302_848
; %bb.845:                              ;   in Loop: Header=BB302_10 Depth=1
	v_dual_lshrrev_b32 v1, 3, v6 :: v_dual_bitop2_b32 v0, 7, v4 bitop3:0x40
	s_mov_b32 s11, exec_lo
	v_cmpx_gt_u32_e32 8, v6
; %bb.846:                              ;   in Loop: Header=BB302_10 Depth=1
	s_delay_alu instid0(VALU_DEP_2) | instskip(NEXT) | instid1(VALU_DEP_1)
	v_clz_i32_u32_e32 v0, v0
	v_min_u32_e32 v6, 32, v0
	s_delay_alu instid0(VALU_DEP_1) | instskip(NEXT) | instid1(VALU_DEP_1)
	v_subrev_nc_u32_e32 v0, 28, v6
	v_lshlrev_b64_e32 v[0:1], v0, v[4:5]
	s_delay_alu instid0(VALU_DEP_1)
	v_dual_sub_nc_u32 v1, 29, v6 :: v_dual_bitop2_b32 v0, 7, v0 bitop3:0x40
; %bb.847:                              ;   in Loop: Header=BB302_10 Depth=1
	s_or_b32 exec_lo, exec_lo, s11
	v_lshlrev_b32_e32 v6, 8, v4
	s_delay_alu instid0(VALU_DEP_2) | instskip(NEXT) | instid1(VALU_DEP_3)
	v_lshl_add_u32 v1, v1, 10, 0x2000
	v_lshlrev_b32_e32 v0, 7, v0
	s_delay_alu instid0(VALU_DEP_3) | instskip(NEXT) | instid1(VALU_DEP_3)
	v_and_b32_e32 v6, 0x8000, v6
	v_and_b32_e32 v1, 0xfc00, v1
	s_delay_alu instid0(VALU_DEP_1)
	v_or3_b32 v0, v6, v1, v0
	scratch_store_b32 off, v0, s32 offset:456 ; 4-byte Folded Spill
.LBB302_848:                            ;   in Loop: Header=BB302_10 Depth=1
	s_wait_xcnt 0x0
	s_or_b32 exec_lo, exec_lo, s8
.LBB302_849:                            ;   in Loop: Header=BB302_10 Depth=1
	s_delay_alu instid0(SALU_CYCLE_1)
	s_or_b32 exec_lo, exec_lo, s7
.LBB302_850:                            ;   in Loop: Header=BB302_10 Depth=1
	s_delay_alu instid0(SALU_CYCLE_1)
	s_or_b32 exec_lo, exec_lo, s6
	v_mov_b32_e32 v0, 0
	v_lshrrev_b16 v14, 8, v4
	s_mov_b32 s6, exec_lo
	scratch_store_b32 off, v0, s32 offset:460 ; 4-byte Folded Spill
	s_wait_xcnt 0x0
	v_mov_b32_e32 v0, 0
	scratch_store_b32 off, v0, s32 offset:464 ; 4-byte Folded Spill
	s_wait_xcnt 0x0
	v_cmpx_ne_u16_e32 0, v14
	s_cbranch_execz .LBB302_858
; %bb.851:                              ;   in Loop: Header=BB302_10 Depth=1
	v_bfrev_b32_e32 v0, 1
	s_mov_b32 s7, exec_lo
	scratch_store_b32 off, v0, s32 offset:464 ; 4-byte Folded Spill
	s_wait_xcnt 0x0
	v_cmpx_ne_u16_e32 0x80, v14
	s_cbranch_execz .LBB302_857
; %bb.852:                              ;   in Loop: Header=BB302_10 Depth=1
	v_and_b32_e32 v0, 0xffff, v14
	v_mov_b32_e32 v1, 0x7c010000
	s_mov_b32 s8, exec_lo
	s_delay_alu instid0(VALU_DEP_2)
	v_and_b32_e32 v7, 0x7f, v0
	scratch_store_b32 off, v1, s32 offset:464 ; 4-byte Folded Spill
	s_wait_xcnt 0x0
	v_cmpx_ne_u32_e32 0x7f, v7
	s_cbranch_execz .LBB302_856
; %bb.853:                              ;   in Loop: Header=BB302_10 Depth=1
	v_dual_lshrrev_b32 v6, 3, v7 :: v_dual_bitop2_b32 v1, 7, v0 bitop3:0x40
	s_mov_b32 s11, exec_lo
	v_cmpx_gt_u32_e32 8, v7
; %bb.854:                              ;   in Loop: Header=BB302_10 Depth=1
	s_delay_alu instid0(VALU_DEP_2) | instskip(NEXT) | instid1(VALU_DEP_1)
	v_clz_i32_u32_e32 v1, v1
	v_min_u32_e32 v1, 32, v1
	s_delay_alu instid0(VALU_DEP_1) | instskip(NEXT) | instid1(VALU_DEP_1)
	v_subrev_nc_u32_e32 v6, 28, v1
	v_lshlrev_b64_e32 v[8:9], v6, v[14:15]
	s_delay_alu instid0(VALU_DEP_1)
	v_dual_sub_nc_u32 v6, 29, v1 :: v_dual_bitop2_b32 v1, 7, v8 bitop3:0x40
; %bb.855:                              ;   in Loop: Header=BB302_10 Depth=1
	s_or_b32 exec_lo, exec_lo, s11
	s_delay_alu instid0(VALU_DEP_1) | instskip(NEXT) | instid1(VALU_DEP_2)
	v_dual_lshlrev_b32 v0, 8, v0 :: v_dual_lshlrev_b32 v1, 23, v1
	v_lshl_add_u32 v6, v6, 10, 0x2000
	s_delay_alu instid0(VALU_DEP_1) | instskip(NEXT) | instid1(VALU_DEP_1)
	v_and_or_b32 v0, 0x8000, v0, v6
	v_lshl_or_b32 v0, v0, 16, v1
	scratch_store_b32 off, v0, s32 offset:464 ; 4-byte Folded Spill
.LBB302_856:                            ;   in Loop: Header=BB302_10 Depth=1
	s_wait_xcnt 0x0
	s_or_b32 exec_lo, exec_lo, s8
.LBB302_857:                            ;   in Loop: Header=BB302_10 Depth=1
	s_delay_alu instid0(SALU_CYCLE_1)
	s_or_b32 exec_lo, exec_lo, s7
.LBB302_858:                            ;   in Loop: Header=BB302_10 Depth=1
	s_delay_alu instid0(SALU_CYCLE_1) | instskip(SKIP_2) | instid1(VALU_DEP_1)
	s_or_b32 exec_lo, exec_lo, s6
	v_lshrrev_b32_e32 v8, 16, v4
	s_mov_b32 s6, exec_lo
	v_and_b32_e32 v0, 0xff, v8
	s_delay_alu instid0(VALU_DEP_1)
	v_cmpx_ne_u16_e32 0, v0
	s_cbranch_execz .LBB302_866
; %bb.859:                              ;   in Loop: Header=BB302_10 Depth=1
	v_cmp_ne_u16_e64 s1, 0x80, v0
	v_mov_b32_e32 v0, 0x8000
	scratch_store_b32 off, v0, s32 offset:460 ; 4-byte Folded Spill
	s_wait_xcnt 0x0
	s_and_saveexec_b32 s7, s1
	s_cbranch_execz .LBB302_865
; %bb.860:                              ;   in Loop: Header=BB302_10 Depth=1
	v_bfe_u32 v6, v4, 16, 7
	v_mov_b32_e32 v0, 0x7c01
	s_mov_b32 s8, exec_lo
	scratch_store_b32 off, v0, s32 offset:460 ; 4-byte Folded Spill
	s_wait_xcnt 0x0
	v_cmpx_ne_u32_e32 0x7f, v6
	s_cbranch_execz .LBB302_864
; %bb.861:                              ;   in Loop: Header=BB302_10 Depth=1
	v_dual_lshrrev_b32 v1, 3, v6 :: v_dual_bitop2_b32 v0, 7, v8 bitop3:0x40
	s_mov_b32 s11, exec_lo
	v_cmpx_gt_u32_e32 8, v6
; %bb.862:                              ;   in Loop: Header=BB302_10 Depth=1
	s_delay_alu instid0(VALU_DEP_2) | instskip(NEXT) | instid1(VALU_DEP_1)
	v_clz_i32_u32_e32 v0, v0
	v_min_u32_e32 v6, 32, v0
	s_delay_alu instid0(VALU_DEP_1) | instskip(NEXT) | instid1(VALU_DEP_1)
	v_subrev_nc_u32_e32 v0, 28, v6
	v_lshlrev_b64_e32 v[0:1], v0, v[8:9]
	s_delay_alu instid0(VALU_DEP_1)
	v_dual_sub_nc_u32 v1, 29, v6 :: v_dual_bitop2_b32 v0, 7, v0 bitop3:0x40
; %bb.863:                              ;   in Loop: Header=BB302_10 Depth=1
	s_or_b32 exec_lo, exec_lo, s11
	v_lshlrev_b32_e32 v6, 8, v8
	s_delay_alu instid0(VALU_DEP_2) | instskip(NEXT) | instid1(VALU_DEP_3)
	v_lshl_add_u32 v1, v1, 10, 0x2000
	v_lshlrev_b32_e32 v0, 7, v0
	s_delay_alu instid0(VALU_DEP_3) | instskip(NEXT) | instid1(VALU_DEP_3)
	v_and_b32_e32 v6, 0x8000, v6
	v_and_b32_e32 v1, 0xfc00, v1
	s_delay_alu instid0(VALU_DEP_1)
	v_or3_b32 v0, v6, v1, v0
	scratch_store_b32 off, v0, s32 offset:460 ; 4-byte Folded Spill
.LBB302_864:                            ;   in Loop: Header=BB302_10 Depth=1
	s_wait_xcnt 0x0
	s_or_b32 exec_lo, exec_lo, s8
.LBB302_865:                            ;   in Loop: Header=BB302_10 Depth=1
	s_delay_alu instid0(SALU_CYCLE_1)
	s_or_b32 exec_lo, exec_lo, s7
.LBB302_866:                            ;   in Loop: Header=BB302_10 Depth=1
	s_delay_alu instid0(SALU_CYCLE_1)
	s_or_b32 exec_lo, exec_lo, s6
	v_mov_b32_e32 v0, 0
	s_mov_b32 s6, exec_lo
	scratch_store_b32 off, v0, s32 offset:468 ; 4-byte Folded Spill
	s_wait_xcnt 0x0
	v_mov_b32_e32 v0, 0
	scratch_store_b32 off, v0, s32 offset:472 ; 4-byte Folded Spill
	s_wait_xcnt 0x0
	v_cmpx_lt_u32_e32 0xffffff, v4
	s_cbranch_execz .LBB302_874
; %bb.867:                              ;   in Loop: Header=BB302_10 Depth=1
	v_lshrrev_b32_e32 v14, 24, v4
	v_bfrev_b32_e32 v0, 1
	s_mov_b32 s7, exec_lo
	scratch_store_b32 off, v0, s32 offset:472 ; 4-byte Folded Spill
	s_wait_xcnt 0x0
	v_cmpx_ne_u32_e32 0x80, v14
	s_cbranch_execz .LBB302_873
; %bb.868:                              ;   in Loop: Header=BB302_10 Depth=1
	v_and_b32_e32 v6, 0x7f, v14
	v_mov_b32_e32 v0, 0x7c010000
	s_mov_b32 s8, exec_lo
	scratch_store_b32 off, v0, s32 offset:472 ; 4-byte Folded Spill
	s_wait_xcnt 0x0
	v_cmpx_ne_u32_e32 0x7f, v6
	s_cbranch_execz .LBB302_872
; %bb.869:                              ;   in Loop: Header=BB302_10 Depth=1
	v_and_b32_e32 v0, 7, v14
	v_lshrrev_b32_e32 v1, 3, v6
	s_mov_b32 s11, exec_lo
	v_cmpx_gt_u32_e32 8, v6
; %bb.870:                              ;   in Loop: Header=BB302_10 Depth=1
	s_delay_alu instid0(VALU_DEP_3) | instskip(NEXT) | instid1(VALU_DEP_1)
	v_clz_i32_u32_e32 v0, v0
	v_min_u32_e32 v6, 32, v0
	s_delay_alu instid0(VALU_DEP_1) | instskip(NEXT) | instid1(VALU_DEP_1)
	v_subrev_nc_u32_e32 v0, 28, v6
	v_lshlrev_b64_e32 v[0:1], v0, v[14:15]
	s_delay_alu instid0(VALU_DEP_1)
	v_dual_sub_nc_u32 v1, 29, v6 :: v_dual_bitop2_b32 v0, 7, v0 bitop3:0x40
; %bb.871:                              ;   in Loop: Header=BB302_10 Depth=1
	s_or_b32 exec_lo, exec_lo, s11
	s_delay_alu instid0(VALU_DEP_1) | instskip(NEXT) | instid1(VALU_DEP_2)
	v_dual_lshlrev_b32 v6, 8, v14 :: v_dual_lshlrev_b32 v0, 23, v0
	v_lshl_add_u32 v1, v1, 10, 0x2000
	s_delay_alu instid0(VALU_DEP_1) | instskip(NEXT) | instid1(VALU_DEP_1)
	v_and_or_b32 v1, 0x8000, v6, v1
	v_lshl_or_b32 v0, v1, 16, v0
	scratch_store_b32 off, v0, s32 offset:472 ; 4-byte Folded Spill
.LBB302_872:                            ;   in Loop: Header=BB302_10 Depth=1
	s_wait_xcnt 0x0
	s_or_b32 exec_lo, exec_lo, s8
.LBB302_873:                            ;   in Loop: Header=BB302_10 Depth=1
	s_delay_alu instid0(SALU_CYCLE_1)
	s_or_b32 exec_lo, exec_lo, s7
.LBB302_874:                            ;   in Loop: Header=BB302_10 Depth=1
	s_delay_alu instid0(SALU_CYCLE_1) | instskip(SKIP_3) | instid1(VALU_DEP_2)
	s_or_b32 exec_lo, exec_lo, s6
	v_and_b32_e32 v0, 0xff, v5
	v_mov_b32_e32 v14, v5
	s_mov_b32 s6, exec_lo
	v_cmpx_ne_u16_e32 0, v0
	s_cbranch_execz .LBB302_882
; %bb.875:                              ;   in Loop: Header=BB302_10 Depth=1
	v_cmp_ne_u16_e64 s1, 0x80, v0
	v_mov_b32_e32 v0, 0x8000
	scratch_store_b32 off, v0, s32 offset:468 ; 4-byte Folded Spill
	s_wait_xcnt 0x0
	s_and_saveexec_b32 s7, s1
	s_cbranch_execz .LBB302_881
; %bb.876:                              ;   in Loop: Header=BB302_10 Depth=1
	v_and_b32_e32 v6, 0x7f, v5
	v_mov_b32_e32 v0, 0x7c01
	s_mov_b32 s8, exec_lo
	scratch_store_b32 off, v0, s32 offset:468 ; 4-byte Folded Spill
	s_wait_xcnt 0x0
	v_cmpx_ne_u32_e32 0x7f, v6
	s_cbranch_execz .LBB302_880
; %bb.877:                              ;   in Loop: Header=BB302_10 Depth=1
	v_dual_lshrrev_b32 v1, 3, v6 :: v_dual_bitop2_b32 v0, 7, v5 bitop3:0x40
	s_mov_b32 s11, exec_lo
	v_cmpx_gt_u32_e32 8, v6
; %bb.878:                              ;   in Loop: Header=BB302_10 Depth=1
	s_delay_alu instid0(VALU_DEP_2) | instskip(NEXT) | instid1(VALU_DEP_1)
	v_clz_i32_u32_e32 v0, v0
	v_min_u32_e32 v6, 32, v0
	s_delay_alu instid0(VALU_DEP_1) | instskip(NEXT) | instid1(VALU_DEP_1)
	v_subrev_nc_u32_e32 v0, 28, v6
	v_lshlrev_b64_e32 v[0:1], v0, v[14:15]
	s_delay_alu instid0(VALU_DEP_1)
	v_dual_sub_nc_u32 v1, 29, v6 :: v_dual_bitop2_b32 v0, 7, v0 bitop3:0x40
; %bb.879:                              ;   in Loop: Header=BB302_10 Depth=1
	s_or_b32 exec_lo, exec_lo, s11
	s_delay_alu instid0(VALU_DEP_1) | instskip(NEXT) | instid1(VALU_DEP_2)
	v_dual_lshlrev_b32 v6, 8, v5 :: v_dual_lshlrev_b32 v0, 7, v0
	v_lshl_add_u32 v1, v1, 10, 0x2000
	s_delay_alu instid0(VALU_DEP_2) | instskip(NEXT) | instid1(VALU_DEP_2)
	v_and_b32_e32 v6, 0x8000, v6
	v_and_b32_e32 v1, 0xfc00, v1
	s_delay_alu instid0(VALU_DEP_1)
	v_or3_b32 v0, v6, v1, v0
	scratch_store_b32 off, v0, s32 offset:468 ; 4-byte Folded Spill
.LBB302_880:                            ;   in Loop: Header=BB302_10 Depth=1
	s_wait_xcnt 0x0
	s_or_b32 exec_lo, exec_lo, s8
.LBB302_881:                            ;   in Loop: Header=BB302_10 Depth=1
	s_delay_alu instid0(SALU_CYCLE_1)
	s_or_b32 exec_lo, exec_lo, s7
.LBB302_882:                            ;   in Loop: Header=BB302_10 Depth=1
	s_delay_alu instid0(SALU_CYCLE_1)
	s_or_b32 exec_lo, exec_lo, s6
	v_mov_b32_e32 v0, 0
	v_lshrrev_b16 v14, 8, v14
	s_mov_b32 s6, exec_lo
	scratch_store_b32 off, v0, s32 offset:476 ; 4-byte Folded Spill
	s_wait_xcnt 0x0
	v_mov_b32_e32 v0, 0
	scratch_store_b32 off, v0, s32 offset:480 ; 4-byte Folded Spill
	s_wait_xcnt 0x0
	v_cmpx_ne_u16_e32 0, v14
	s_cbranch_execz .LBB302_890
; %bb.883:                              ;   in Loop: Header=BB302_10 Depth=1
	v_bfrev_b32_e32 v0, 1
	s_mov_b32 s7, exec_lo
	scratch_store_b32 off, v0, s32 offset:480 ; 4-byte Folded Spill
	s_wait_xcnt 0x0
	v_cmpx_ne_u16_e32 0x80, v14
	s_cbranch_execz .LBB302_889
; %bb.884:                              ;   in Loop: Header=BB302_10 Depth=1
	v_and_b32_e32 v0, 0xffff, v14
	v_mov_b32_e32 v1, 0x7c010000
	s_mov_b32 s8, exec_lo
	s_delay_alu instid0(VALU_DEP_2)
	v_and_b32_e32 v7, 0x7f, v0
	scratch_store_b32 off, v1, s32 offset:480 ; 4-byte Folded Spill
	s_wait_xcnt 0x0
	v_cmpx_ne_u32_e32 0x7f, v7
	s_cbranch_execz .LBB302_888
; %bb.885:                              ;   in Loop: Header=BB302_10 Depth=1
	v_dual_lshrrev_b32 v6, 3, v7 :: v_dual_bitop2_b32 v1, 7, v0 bitop3:0x40
	s_mov_b32 s11, exec_lo
	v_cmpx_gt_u32_e32 8, v7
; %bb.886:                              ;   in Loop: Header=BB302_10 Depth=1
	s_delay_alu instid0(VALU_DEP_2) | instskip(NEXT) | instid1(VALU_DEP_1)
	v_clz_i32_u32_e32 v1, v1
	v_min_u32_e32 v1, 32, v1
	s_delay_alu instid0(VALU_DEP_1) | instskip(NEXT) | instid1(VALU_DEP_1)
	v_subrev_nc_u32_e32 v6, 28, v1
	v_lshlrev_b64_e32 v[8:9], v6, v[14:15]
	s_delay_alu instid0(VALU_DEP_1)
	v_dual_sub_nc_u32 v6, 29, v1 :: v_dual_bitop2_b32 v1, 7, v8 bitop3:0x40
; %bb.887:                              ;   in Loop: Header=BB302_10 Depth=1
	s_or_b32 exec_lo, exec_lo, s11
	s_delay_alu instid0(VALU_DEP_1) | instskip(NEXT) | instid1(VALU_DEP_2)
	v_dual_lshlrev_b32 v0, 8, v0 :: v_dual_lshlrev_b32 v1, 23, v1
	v_lshl_add_u32 v6, v6, 10, 0x2000
	s_delay_alu instid0(VALU_DEP_1) | instskip(NEXT) | instid1(VALU_DEP_1)
	v_and_or_b32 v0, 0x8000, v0, v6
	v_lshl_or_b32 v0, v0, 16, v1
	scratch_store_b32 off, v0, s32 offset:480 ; 4-byte Folded Spill
.LBB302_888:                            ;   in Loop: Header=BB302_10 Depth=1
	s_wait_xcnt 0x0
	s_or_b32 exec_lo, exec_lo, s8
.LBB302_889:                            ;   in Loop: Header=BB302_10 Depth=1
	s_delay_alu instid0(SALU_CYCLE_1)
	s_or_b32 exec_lo, exec_lo, s7
.LBB302_890:                            ;   in Loop: Header=BB302_10 Depth=1
	s_delay_alu instid0(SALU_CYCLE_1) | instskip(SKIP_2) | instid1(VALU_DEP_1)
	s_or_b32 exec_lo, exec_lo, s6
	v_lshrrev_b32_e32 v8, 16, v5
	s_mov_b32 s6, exec_lo
	v_and_b32_e32 v0, 0xff, v8
	s_delay_alu instid0(VALU_DEP_1)
	v_cmpx_ne_u16_e32 0, v0
	s_cbranch_execz .LBB302_898
; %bb.891:                              ;   in Loop: Header=BB302_10 Depth=1
	v_cmp_ne_u16_e64 s1, 0x80, v0
	v_mov_b32_e32 v0, 0x8000
	scratch_store_b32 off, v0, s32 offset:476 ; 4-byte Folded Spill
	s_wait_xcnt 0x0
	s_and_saveexec_b32 s7, s1
	s_cbranch_execz .LBB302_897
; %bb.892:                              ;   in Loop: Header=BB302_10 Depth=1
	v_bfe_u32 v6, v5, 16, 7
	v_mov_b32_e32 v0, 0x7c01
	s_mov_b32 s8, exec_lo
	scratch_store_b32 off, v0, s32 offset:476 ; 4-byte Folded Spill
	s_wait_xcnt 0x0
	v_cmpx_ne_u32_e32 0x7f, v6
	s_cbranch_execz .LBB302_896
; %bb.893:                              ;   in Loop: Header=BB302_10 Depth=1
	v_dual_lshrrev_b32 v1, 3, v6 :: v_dual_bitop2_b32 v0, 7, v8 bitop3:0x40
	s_mov_b32 s11, exec_lo
	v_cmpx_gt_u32_e32 8, v6
; %bb.894:                              ;   in Loop: Header=BB302_10 Depth=1
	s_delay_alu instid0(VALU_DEP_2) | instskip(NEXT) | instid1(VALU_DEP_1)
	v_clz_i32_u32_e32 v0, v0
	v_min_u32_e32 v6, 32, v0
	s_delay_alu instid0(VALU_DEP_1) | instskip(NEXT) | instid1(VALU_DEP_1)
	v_subrev_nc_u32_e32 v0, 28, v6
	v_lshlrev_b64_e32 v[0:1], v0, v[8:9]
	s_delay_alu instid0(VALU_DEP_1)
	v_dual_sub_nc_u32 v1, 29, v6 :: v_dual_bitop2_b32 v0, 7, v0 bitop3:0x40
; %bb.895:                              ;   in Loop: Header=BB302_10 Depth=1
	s_or_b32 exec_lo, exec_lo, s11
	v_lshlrev_b32_e32 v6, 8, v8
	s_delay_alu instid0(VALU_DEP_2) | instskip(NEXT) | instid1(VALU_DEP_3)
	v_lshl_add_u32 v1, v1, 10, 0x2000
	v_lshlrev_b32_e32 v0, 7, v0
	s_delay_alu instid0(VALU_DEP_3) | instskip(NEXT) | instid1(VALU_DEP_3)
	v_and_b32_e32 v6, 0x8000, v6
	v_and_b32_e32 v1, 0xfc00, v1
	s_delay_alu instid0(VALU_DEP_1)
	v_or3_b32 v0, v6, v1, v0
	scratch_store_b32 off, v0, s32 offset:476 ; 4-byte Folded Spill
.LBB302_896:                            ;   in Loop: Header=BB302_10 Depth=1
	s_wait_xcnt 0x0
	s_or_b32 exec_lo, exec_lo, s8
.LBB302_897:                            ;   in Loop: Header=BB302_10 Depth=1
	s_delay_alu instid0(SALU_CYCLE_1)
	s_or_b32 exec_lo, exec_lo, s7
.LBB302_898:                            ;   in Loop: Header=BB302_10 Depth=1
	s_delay_alu instid0(SALU_CYCLE_1)
	s_or_b32 exec_lo, exec_lo, s6
	v_mov_b32_e32 v0, 0
	s_mov_b32 s6, exec_lo
	scratch_store_b32 off, v0, s32 offset:484 ; 4-byte Folded Spill
	s_wait_xcnt 0x0
	v_mov_b32_e32 v0, 0
	scratch_store_b32 off, v0, s32 offset:792 ; 4-byte Folded Spill
	s_wait_xcnt 0x0
	v_cmpx_lt_u64_e64 s[2:3], v[4:5]
	s_cbranch_execz .LBB302_906
; %bb.899:                              ;   in Loop: Header=BB302_10 Depth=1
	v_lshrrev_b32_e32 v14, 24, v5
	v_bfrev_b32_e32 v0, 1
	s_mov_b32 s7, exec_lo
	s_delay_alu instid0(VALU_DEP_2)
	v_cmpx_ne_u32_e32 0x80, v14
	s_cbranch_execz .LBB302_905
; %bb.900:                              ;   in Loop: Header=BB302_10 Depth=1
	v_and_b32_e32 v4, 0x7f, v14
	v_mov_b32_e32 v0, 0x7c010000
	s_mov_b32 s8, exec_lo
	s_delay_alu instid0(VALU_DEP_2)
	v_cmpx_ne_u32_e32 0x7f, v4
	s_cbranch_execz .LBB302_904
; %bb.901:                              ;   in Loop: Header=BB302_10 Depth=1
	v_dual_lshrrev_b32 v1, 3, v4 :: v_dual_bitop2_b32 v0, 7, v14 bitop3:0x40
	s_mov_b32 s11, exec_lo
	v_cmpx_gt_u32_e32 8, v4
; %bb.902:                              ;   in Loop: Header=BB302_10 Depth=1
	s_delay_alu instid0(VALU_DEP_2) | instskip(NEXT) | instid1(VALU_DEP_1)
	v_clz_i32_u32_e32 v0, v0
	v_min_u32_e32 v4, 32, v0
	s_delay_alu instid0(VALU_DEP_1) | instskip(NEXT) | instid1(VALU_DEP_1)
	v_subrev_nc_u32_e32 v0, 28, v4
	v_lshlrev_b64_e32 v[0:1], v0, v[14:15]
	v_sub_nc_u32_e32 v1, 29, v4
	s_delay_alu instid0(VALU_DEP_2)
	v_and_b32_e32 v0, 7, v0
; %bb.903:                              ;   in Loop: Header=BB302_10 Depth=1
	s_or_b32 exec_lo, exec_lo, s11
	s_delay_alu instid0(VALU_DEP_1) | instskip(NEXT) | instid1(VALU_DEP_3)
	v_dual_lshlrev_b32 v4, 8, v14 :: v_dual_lshlrev_b32 v0, 23, v0
	v_lshl_add_u32 v1, v1, 10, 0x2000
	s_delay_alu instid0(VALU_DEP_1) | instskip(NEXT) | instid1(VALU_DEP_1)
	v_and_or_b32 v1, 0x8000, v4, v1
	v_lshl_or_b32 v0, v1, 16, v0
.LBB302_904:                            ;   in Loop: Header=BB302_10 Depth=1
	s_or_b32 exec_lo, exec_lo, s8
.LBB302_905:                            ;   in Loop: Header=BB302_10 Depth=1
	s_delay_alu instid0(SALU_CYCLE_1)
	s_or_b32 exec_lo, exec_lo, s7
	scratch_store_b32 off, v0, s32 offset:792 ; 4-byte Folded Spill
.LBB302_906:                            ;   in Loop: Header=BB302_10 Depth=1
	s_wait_xcnt 0x0
	s_or_b32 exec_lo, exec_lo, s6
	flat_load_b64 v[4:5], v[2:3] offset:3584
	s_mov_b32 s6, exec_lo
	s_wait_loadcnt_dscnt 0x0
	v_and_b32_e32 v0, 0xff, v4
	s_wait_xcnt 0x0
	s_delay_alu instid0(VALU_DEP_1)
	v_cmpx_ne_u16_e32 0, v0
	s_cbranch_execz .LBB302_914
; %bb.907:                              ;   in Loop: Header=BB302_10 Depth=1
	v_cmp_ne_u16_e64 s1, 0x80, v0
	v_mov_b32_e32 v0, 0x8000
	scratch_store_b32 off, v0, s32 offset:484 ; 4-byte Folded Spill
	s_wait_xcnt 0x0
	s_and_saveexec_b32 s7, s1
	s_cbranch_execz .LBB302_913
; %bb.908:                              ;   in Loop: Header=BB302_10 Depth=1
	v_and_b32_e32 v6, 0x7f, v4
	v_mov_b32_e32 v0, 0x7c01
	s_mov_b32 s8, exec_lo
	scratch_store_b32 off, v0, s32 offset:484 ; 4-byte Folded Spill
	s_wait_xcnt 0x0
	v_cmpx_ne_u32_e32 0x7f, v6
	s_cbranch_execz .LBB302_912
; %bb.909:                              ;   in Loop: Header=BB302_10 Depth=1
	v_dual_lshrrev_b32 v1, 3, v6 :: v_dual_bitop2_b32 v0, 7, v4 bitop3:0x40
	s_mov_b32 s11, exec_lo
	v_cmpx_gt_u32_e32 8, v6
; %bb.910:                              ;   in Loop: Header=BB302_10 Depth=1
	s_delay_alu instid0(VALU_DEP_2) | instskip(NEXT) | instid1(VALU_DEP_1)
	v_clz_i32_u32_e32 v0, v0
	v_min_u32_e32 v6, 32, v0
	s_delay_alu instid0(VALU_DEP_1) | instskip(NEXT) | instid1(VALU_DEP_1)
	v_subrev_nc_u32_e32 v0, 28, v6
	v_lshlrev_b64_e32 v[0:1], v0, v[4:5]
	s_delay_alu instid0(VALU_DEP_1)
	v_dual_sub_nc_u32 v1, 29, v6 :: v_dual_bitop2_b32 v0, 7, v0 bitop3:0x40
; %bb.911:                              ;   in Loop: Header=BB302_10 Depth=1
	s_or_b32 exec_lo, exec_lo, s11
	v_lshlrev_b32_e32 v6, 8, v4
	s_delay_alu instid0(VALU_DEP_2) | instskip(NEXT) | instid1(VALU_DEP_3)
	v_lshl_add_u32 v1, v1, 10, 0x2000
	v_lshlrev_b32_e32 v0, 7, v0
	s_delay_alu instid0(VALU_DEP_3) | instskip(NEXT) | instid1(VALU_DEP_3)
	v_and_b32_e32 v6, 0x8000, v6
	v_and_b32_e32 v1, 0xfc00, v1
	s_delay_alu instid0(VALU_DEP_1)
	v_or3_b32 v0, v6, v1, v0
	scratch_store_b32 off, v0, s32 offset:484 ; 4-byte Folded Spill
.LBB302_912:                            ;   in Loop: Header=BB302_10 Depth=1
	s_wait_xcnt 0x0
	s_or_b32 exec_lo, exec_lo, s8
.LBB302_913:                            ;   in Loop: Header=BB302_10 Depth=1
	s_delay_alu instid0(SALU_CYCLE_1)
	s_or_b32 exec_lo, exec_lo, s7
.LBB302_914:                            ;   in Loop: Header=BB302_10 Depth=1
	s_delay_alu instid0(SALU_CYCLE_1)
	s_or_b32 exec_lo, exec_lo, s6
	v_mov_b32_e32 v0, 0
	v_lshrrev_b16 v14, 8, v4
	s_mov_b32 s6, exec_lo
	scratch_store_b32 off, v0, s32 offset:488 ; 4-byte Folded Spill
	s_wait_xcnt 0x0
	v_mov_b32_e32 v0, 0
	scratch_store_b32 off, v0, s32 offset:492 ; 4-byte Folded Spill
	s_wait_xcnt 0x0
	v_cmpx_ne_u16_e32 0, v14
	s_cbranch_execz .LBB302_922
; %bb.915:                              ;   in Loop: Header=BB302_10 Depth=1
	v_bfrev_b32_e32 v0, 1
	s_mov_b32 s7, exec_lo
	scratch_store_b32 off, v0, s32 offset:492 ; 4-byte Folded Spill
	s_wait_xcnt 0x0
	v_cmpx_ne_u16_e32 0x80, v14
	s_cbranch_execz .LBB302_921
; %bb.916:                              ;   in Loop: Header=BB302_10 Depth=1
	v_and_b32_e32 v0, 0xffff, v14
	v_mov_b32_e32 v1, 0x7c010000
	s_mov_b32 s8, exec_lo
	s_delay_alu instid0(VALU_DEP_2)
	v_and_b32_e32 v7, 0x7f, v0
	scratch_store_b32 off, v1, s32 offset:492 ; 4-byte Folded Spill
	s_wait_xcnt 0x0
	v_cmpx_ne_u32_e32 0x7f, v7
	s_cbranch_execz .LBB302_920
; %bb.917:                              ;   in Loop: Header=BB302_10 Depth=1
	v_dual_lshrrev_b32 v6, 3, v7 :: v_dual_bitop2_b32 v1, 7, v0 bitop3:0x40
	s_mov_b32 s11, exec_lo
	v_cmpx_gt_u32_e32 8, v7
; %bb.918:                              ;   in Loop: Header=BB302_10 Depth=1
	s_delay_alu instid0(VALU_DEP_2) | instskip(NEXT) | instid1(VALU_DEP_1)
	v_clz_i32_u32_e32 v1, v1
	v_min_u32_e32 v1, 32, v1
	s_delay_alu instid0(VALU_DEP_1) | instskip(NEXT) | instid1(VALU_DEP_1)
	v_subrev_nc_u32_e32 v6, 28, v1
	v_lshlrev_b64_e32 v[8:9], v6, v[14:15]
	s_delay_alu instid0(VALU_DEP_1)
	v_dual_sub_nc_u32 v6, 29, v1 :: v_dual_bitop2_b32 v1, 7, v8 bitop3:0x40
; %bb.919:                              ;   in Loop: Header=BB302_10 Depth=1
	s_or_b32 exec_lo, exec_lo, s11
	s_delay_alu instid0(VALU_DEP_1) | instskip(NEXT) | instid1(VALU_DEP_2)
	v_dual_lshlrev_b32 v0, 8, v0 :: v_dual_lshlrev_b32 v1, 23, v1
	v_lshl_add_u32 v6, v6, 10, 0x2000
	s_delay_alu instid0(VALU_DEP_1) | instskip(NEXT) | instid1(VALU_DEP_1)
	v_and_or_b32 v0, 0x8000, v0, v6
	v_lshl_or_b32 v0, v0, 16, v1
	scratch_store_b32 off, v0, s32 offset:492 ; 4-byte Folded Spill
.LBB302_920:                            ;   in Loop: Header=BB302_10 Depth=1
	s_wait_xcnt 0x0
	s_or_b32 exec_lo, exec_lo, s8
.LBB302_921:                            ;   in Loop: Header=BB302_10 Depth=1
	s_delay_alu instid0(SALU_CYCLE_1)
	s_or_b32 exec_lo, exec_lo, s7
.LBB302_922:                            ;   in Loop: Header=BB302_10 Depth=1
	s_delay_alu instid0(SALU_CYCLE_1) | instskip(SKIP_2) | instid1(VALU_DEP_1)
	s_or_b32 exec_lo, exec_lo, s6
	v_lshrrev_b32_e32 v8, 16, v4
	s_mov_b32 s6, exec_lo
	v_and_b32_e32 v0, 0xff, v8
	s_delay_alu instid0(VALU_DEP_1)
	v_cmpx_ne_u16_e32 0, v0
	s_cbranch_execz .LBB302_930
; %bb.923:                              ;   in Loop: Header=BB302_10 Depth=1
	v_cmp_ne_u16_e64 s1, 0x80, v0
	v_mov_b32_e32 v0, 0x8000
	scratch_store_b32 off, v0, s32 offset:488 ; 4-byte Folded Spill
	s_wait_xcnt 0x0
	s_and_saveexec_b32 s7, s1
	s_cbranch_execz .LBB302_929
; %bb.924:                              ;   in Loop: Header=BB302_10 Depth=1
	v_bfe_u32 v6, v4, 16, 7
	v_mov_b32_e32 v0, 0x7c01
	s_mov_b32 s8, exec_lo
	scratch_store_b32 off, v0, s32 offset:488 ; 4-byte Folded Spill
	s_wait_xcnt 0x0
	v_cmpx_ne_u32_e32 0x7f, v6
	s_cbranch_execz .LBB302_928
; %bb.925:                              ;   in Loop: Header=BB302_10 Depth=1
	v_dual_lshrrev_b32 v1, 3, v6 :: v_dual_bitop2_b32 v0, 7, v8 bitop3:0x40
	s_mov_b32 s11, exec_lo
	v_cmpx_gt_u32_e32 8, v6
; %bb.926:                              ;   in Loop: Header=BB302_10 Depth=1
	s_delay_alu instid0(VALU_DEP_2) | instskip(NEXT) | instid1(VALU_DEP_1)
	v_clz_i32_u32_e32 v0, v0
	v_min_u32_e32 v6, 32, v0
	s_delay_alu instid0(VALU_DEP_1) | instskip(NEXT) | instid1(VALU_DEP_1)
	v_subrev_nc_u32_e32 v0, 28, v6
	v_lshlrev_b64_e32 v[0:1], v0, v[8:9]
	s_delay_alu instid0(VALU_DEP_1)
	v_dual_sub_nc_u32 v1, 29, v6 :: v_dual_bitop2_b32 v0, 7, v0 bitop3:0x40
; %bb.927:                              ;   in Loop: Header=BB302_10 Depth=1
	s_or_b32 exec_lo, exec_lo, s11
	v_lshlrev_b32_e32 v6, 8, v8
	s_delay_alu instid0(VALU_DEP_2) | instskip(NEXT) | instid1(VALU_DEP_3)
	v_lshl_add_u32 v1, v1, 10, 0x2000
	v_lshlrev_b32_e32 v0, 7, v0
	s_delay_alu instid0(VALU_DEP_3) | instskip(NEXT) | instid1(VALU_DEP_3)
	v_and_b32_e32 v6, 0x8000, v6
	v_and_b32_e32 v1, 0xfc00, v1
	s_delay_alu instid0(VALU_DEP_1)
	v_or3_b32 v0, v6, v1, v0
	scratch_store_b32 off, v0, s32 offset:488 ; 4-byte Folded Spill
.LBB302_928:                            ;   in Loop: Header=BB302_10 Depth=1
	s_wait_xcnt 0x0
	s_or_b32 exec_lo, exec_lo, s8
.LBB302_929:                            ;   in Loop: Header=BB302_10 Depth=1
	s_delay_alu instid0(SALU_CYCLE_1)
	s_or_b32 exec_lo, exec_lo, s7
.LBB302_930:                            ;   in Loop: Header=BB302_10 Depth=1
	s_delay_alu instid0(SALU_CYCLE_1)
	s_or_b32 exec_lo, exec_lo, s6
	v_mov_b32_e32 v0, 0
	s_mov_b32 s6, exec_lo
	scratch_store_b32 off, v0, s32 offset:496 ; 4-byte Folded Spill
	s_wait_xcnt 0x0
	v_mov_b32_e32 v0, 0
	scratch_store_b32 off, v0, s32 offset:500 ; 4-byte Folded Spill
	s_wait_xcnt 0x0
	v_cmpx_lt_u32_e32 0xffffff, v4
	s_cbranch_execz .LBB302_938
; %bb.931:                              ;   in Loop: Header=BB302_10 Depth=1
	v_lshrrev_b32_e32 v14, 24, v4
	v_bfrev_b32_e32 v0, 1
	s_mov_b32 s7, exec_lo
	scratch_store_b32 off, v0, s32 offset:500 ; 4-byte Folded Spill
	s_wait_xcnt 0x0
	v_cmpx_ne_u32_e32 0x80, v14
	s_cbranch_execz .LBB302_937
; %bb.932:                              ;   in Loop: Header=BB302_10 Depth=1
	v_and_b32_e32 v6, 0x7f, v14
	v_mov_b32_e32 v0, 0x7c010000
	s_mov_b32 s8, exec_lo
	scratch_store_b32 off, v0, s32 offset:500 ; 4-byte Folded Spill
	s_wait_xcnt 0x0
	v_cmpx_ne_u32_e32 0x7f, v6
	s_cbranch_execz .LBB302_936
; %bb.933:                              ;   in Loop: Header=BB302_10 Depth=1
	v_and_b32_e32 v0, 7, v14
	v_lshrrev_b32_e32 v1, 3, v6
	s_mov_b32 s11, exec_lo
	v_cmpx_gt_u32_e32 8, v6
; %bb.934:                              ;   in Loop: Header=BB302_10 Depth=1
	s_delay_alu instid0(VALU_DEP_3) | instskip(NEXT) | instid1(VALU_DEP_1)
	v_clz_i32_u32_e32 v0, v0
	v_min_u32_e32 v6, 32, v0
	s_delay_alu instid0(VALU_DEP_1) | instskip(NEXT) | instid1(VALU_DEP_1)
	v_subrev_nc_u32_e32 v0, 28, v6
	v_lshlrev_b64_e32 v[0:1], v0, v[14:15]
	s_delay_alu instid0(VALU_DEP_1)
	v_dual_sub_nc_u32 v1, 29, v6 :: v_dual_bitop2_b32 v0, 7, v0 bitop3:0x40
; %bb.935:                              ;   in Loop: Header=BB302_10 Depth=1
	s_or_b32 exec_lo, exec_lo, s11
	s_delay_alu instid0(VALU_DEP_1) | instskip(NEXT) | instid1(VALU_DEP_2)
	v_dual_lshlrev_b32 v6, 8, v14 :: v_dual_lshlrev_b32 v0, 23, v0
	v_lshl_add_u32 v1, v1, 10, 0x2000
	s_delay_alu instid0(VALU_DEP_1) | instskip(NEXT) | instid1(VALU_DEP_1)
	v_and_or_b32 v1, 0x8000, v6, v1
	v_lshl_or_b32 v0, v1, 16, v0
	scratch_store_b32 off, v0, s32 offset:500 ; 4-byte Folded Spill
.LBB302_936:                            ;   in Loop: Header=BB302_10 Depth=1
	s_wait_xcnt 0x0
	s_or_b32 exec_lo, exec_lo, s8
.LBB302_937:                            ;   in Loop: Header=BB302_10 Depth=1
	s_delay_alu instid0(SALU_CYCLE_1)
	s_or_b32 exec_lo, exec_lo, s7
.LBB302_938:                            ;   in Loop: Header=BB302_10 Depth=1
	s_delay_alu instid0(SALU_CYCLE_1) | instskip(SKIP_3) | instid1(VALU_DEP_2)
	s_or_b32 exec_lo, exec_lo, s6
	v_and_b32_e32 v0, 0xff, v5
	v_mov_b32_e32 v14, v5
	s_mov_b32 s6, exec_lo
	v_cmpx_ne_u16_e32 0, v0
	s_cbranch_execz .LBB302_946
; %bb.939:                              ;   in Loop: Header=BB302_10 Depth=1
	v_cmp_ne_u16_e64 s1, 0x80, v0
	v_mov_b32_e32 v0, 0x8000
	scratch_store_b32 off, v0, s32 offset:496 ; 4-byte Folded Spill
	s_wait_xcnt 0x0
	s_and_saveexec_b32 s7, s1
	s_cbranch_execz .LBB302_945
; %bb.940:                              ;   in Loop: Header=BB302_10 Depth=1
	v_and_b32_e32 v6, 0x7f, v5
	v_mov_b32_e32 v0, 0x7c01
	s_mov_b32 s8, exec_lo
	scratch_store_b32 off, v0, s32 offset:496 ; 4-byte Folded Spill
	s_wait_xcnt 0x0
	v_cmpx_ne_u32_e32 0x7f, v6
	s_cbranch_execz .LBB302_944
; %bb.941:                              ;   in Loop: Header=BB302_10 Depth=1
	v_dual_lshrrev_b32 v1, 3, v6 :: v_dual_bitop2_b32 v0, 7, v5 bitop3:0x40
	s_mov_b32 s11, exec_lo
	v_cmpx_gt_u32_e32 8, v6
; %bb.942:                              ;   in Loop: Header=BB302_10 Depth=1
	s_delay_alu instid0(VALU_DEP_2) | instskip(NEXT) | instid1(VALU_DEP_1)
	v_clz_i32_u32_e32 v0, v0
	v_min_u32_e32 v6, 32, v0
	s_delay_alu instid0(VALU_DEP_1) | instskip(NEXT) | instid1(VALU_DEP_1)
	v_subrev_nc_u32_e32 v0, 28, v6
	v_lshlrev_b64_e32 v[0:1], v0, v[14:15]
	s_delay_alu instid0(VALU_DEP_1)
	v_dual_sub_nc_u32 v1, 29, v6 :: v_dual_bitop2_b32 v0, 7, v0 bitop3:0x40
; %bb.943:                              ;   in Loop: Header=BB302_10 Depth=1
	s_or_b32 exec_lo, exec_lo, s11
	s_delay_alu instid0(VALU_DEP_1) | instskip(NEXT) | instid1(VALU_DEP_2)
	v_dual_lshlrev_b32 v6, 8, v5 :: v_dual_lshlrev_b32 v0, 7, v0
	v_lshl_add_u32 v1, v1, 10, 0x2000
	s_delay_alu instid0(VALU_DEP_2) | instskip(NEXT) | instid1(VALU_DEP_2)
	v_and_b32_e32 v6, 0x8000, v6
	v_and_b32_e32 v1, 0xfc00, v1
	s_delay_alu instid0(VALU_DEP_1)
	v_or3_b32 v0, v6, v1, v0
	scratch_store_b32 off, v0, s32 offset:496 ; 4-byte Folded Spill
.LBB302_944:                            ;   in Loop: Header=BB302_10 Depth=1
	s_wait_xcnt 0x0
	s_or_b32 exec_lo, exec_lo, s8
.LBB302_945:                            ;   in Loop: Header=BB302_10 Depth=1
	s_delay_alu instid0(SALU_CYCLE_1)
	s_or_b32 exec_lo, exec_lo, s7
.LBB302_946:                            ;   in Loop: Header=BB302_10 Depth=1
	s_delay_alu instid0(SALU_CYCLE_1)
	s_or_b32 exec_lo, exec_lo, s6
	v_mov_b32_e32 v0, 0
	v_lshrrev_b16 v14, 8, v14
	s_mov_b32 s6, exec_lo
	scratch_store_b32 off, v0, s32 offset:504 ; 4-byte Folded Spill
	s_wait_xcnt 0x0
	v_mov_b32_e32 v0, 0
	scratch_store_b32 off, v0, s32 offset:508 ; 4-byte Folded Spill
	s_wait_xcnt 0x0
	v_cmpx_ne_u16_e32 0, v14
	s_cbranch_execz .LBB302_954
; %bb.947:                              ;   in Loop: Header=BB302_10 Depth=1
	v_bfrev_b32_e32 v0, 1
	s_mov_b32 s7, exec_lo
	scratch_store_b32 off, v0, s32 offset:508 ; 4-byte Folded Spill
	s_wait_xcnt 0x0
	v_cmpx_ne_u16_e32 0x80, v14
	s_cbranch_execz .LBB302_953
; %bb.948:                              ;   in Loop: Header=BB302_10 Depth=1
	v_and_b32_e32 v0, 0xffff, v14
	v_mov_b32_e32 v1, 0x7c010000
	s_mov_b32 s8, exec_lo
	s_delay_alu instid0(VALU_DEP_2)
	v_and_b32_e32 v7, 0x7f, v0
	scratch_store_b32 off, v1, s32 offset:508 ; 4-byte Folded Spill
	s_wait_xcnt 0x0
	v_cmpx_ne_u32_e32 0x7f, v7
	s_cbranch_execz .LBB302_952
; %bb.949:                              ;   in Loop: Header=BB302_10 Depth=1
	v_dual_lshrrev_b32 v6, 3, v7 :: v_dual_bitop2_b32 v1, 7, v0 bitop3:0x40
	s_mov_b32 s11, exec_lo
	v_cmpx_gt_u32_e32 8, v7
; %bb.950:                              ;   in Loop: Header=BB302_10 Depth=1
	s_delay_alu instid0(VALU_DEP_2) | instskip(NEXT) | instid1(VALU_DEP_1)
	v_clz_i32_u32_e32 v1, v1
	v_min_u32_e32 v1, 32, v1
	s_delay_alu instid0(VALU_DEP_1) | instskip(NEXT) | instid1(VALU_DEP_1)
	v_subrev_nc_u32_e32 v6, 28, v1
	v_lshlrev_b64_e32 v[8:9], v6, v[14:15]
	s_delay_alu instid0(VALU_DEP_1)
	v_dual_sub_nc_u32 v6, 29, v1 :: v_dual_bitop2_b32 v1, 7, v8 bitop3:0x40
; %bb.951:                              ;   in Loop: Header=BB302_10 Depth=1
	s_or_b32 exec_lo, exec_lo, s11
	s_delay_alu instid0(VALU_DEP_1) | instskip(NEXT) | instid1(VALU_DEP_2)
	v_dual_lshlrev_b32 v0, 8, v0 :: v_dual_lshlrev_b32 v1, 23, v1
	v_lshl_add_u32 v6, v6, 10, 0x2000
	s_delay_alu instid0(VALU_DEP_1) | instskip(NEXT) | instid1(VALU_DEP_1)
	v_and_or_b32 v0, 0x8000, v0, v6
	v_lshl_or_b32 v0, v0, 16, v1
	scratch_store_b32 off, v0, s32 offset:508 ; 4-byte Folded Spill
.LBB302_952:                            ;   in Loop: Header=BB302_10 Depth=1
	s_wait_xcnt 0x0
	s_or_b32 exec_lo, exec_lo, s8
.LBB302_953:                            ;   in Loop: Header=BB302_10 Depth=1
	s_delay_alu instid0(SALU_CYCLE_1)
	s_or_b32 exec_lo, exec_lo, s7
.LBB302_954:                            ;   in Loop: Header=BB302_10 Depth=1
	s_delay_alu instid0(SALU_CYCLE_1) | instskip(SKIP_2) | instid1(VALU_DEP_1)
	s_or_b32 exec_lo, exec_lo, s6
	v_lshrrev_b32_e32 v8, 16, v5
	s_mov_b32 s6, exec_lo
	v_and_b32_e32 v0, 0xff, v8
	s_delay_alu instid0(VALU_DEP_1)
	v_cmpx_ne_u16_e32 0, v0
	s_cbranch_execz .LBB302_962
; %bb.955:                              ;   in Loop: Header=BB302_10 Depth=1
	v_cmp_ne_u16_e64 s1, 0x80, v0
	v_mov_b32_e32 v0, 0x8000
	scratch_store_b32 off, v0, s32 offset:504 ; 4-byte Folded Spill
	s_wait_xcnt 0x0
	s_and_saveexec_b32 s7, s1
	s_cbranch_execz .LBB302_961
; %bb.956:                              ;   in Loop: Header=BB302_10 Depth=1
	v_bfe_u32 v6, v5, 16, 7
	v_mov_b32_e32 v0, 0x7c01
	s_mov_b32 s8, exec_lo
	scratch_store_b32 off, v0, s32 offset:504 ; 4-byte Folded Spill
	s_wait_xcnt 0x0
	v_cmpx_ne_u32_e32 0x7f, v6
	s_cbranch_execz .LBB302_960
; %bb.957:                              ;   in Loop: Header=BB302_10 Depth=1
	v_dual_lshrrev_b32 v1, 3, v6 :: v_dual_bitop2_b32 v0, 7, v8 bitop3:0x40
	s_mov_b32 s11, exec_lo
	v_cmpx_gt_u32_e32 8, v6
; %bb.958:                              ;   in Loop: Header=BB302_10 Depth=1
	s_delay_alu instid0(VALU_DEP_2) | instskip(NEXT) | instid1(VALU_DEP_1)
	v_clz_i32_u32_e32 v0, v0
	v_min_u32_e32 v6, 32, v0
	s_delay_alu instid0(VALU_DEP_1) | instskip(NEXT) | instid1(VALU_DEP_1)
	v_subrev_nc_u32_e32 v0, 28, v6
	v_lshlrev_b64_e32 v[0:1], v0, v[8:9]
	s_delay_alu instid0(VALU_DEP_1)
	v_dual_sub_nc_u32 v1, 29, v6 :: v_dual_bitop2_b32 v0, 7, v0 bitop3:0x40
; %bb.959:                              ;   in Loop: Header=BB302_10 Depth=1
	s_or_b32 exec_lo, exec_lo, s11
	v_lshlrev_b32_e32 v6, 8, v8
	s_delay_alu instid0(VALU_DEP_2) | instskip(NEXT) | instid1(VALU_DEP_3)
	v_lshl_add_u32 v1, v1, 10, 0x2000
	v_lshlrev_b32_e32 v0, 7, v0
	s_delay_alu instid0(VALU_DEP_3) | instskip(NEXT) | instid1(VALU_DEP_3)
	v_and_b32_e32 v6, 0x8000, v6
	v_and_b32_e32 v1, 0xfc00, v1
	s_delay_alu instid0(VALU_DEP_1)
	v_or3_b32 v0, v6, v1, v0
	scratch_store_b32 off, v0, s32 offset:504 ; 4-byte Folded Spill
.LBB302_960:                            ;   in Loop: Header=BB302_10 Depth=1
	s_wait_xcnt 0x0
	s_or_b32 exec_lo, exec_lo, s8
.LBB302_961:                            ;   in Loop: Header=BB302_10 Depth=1
	s_delay_alu instid0(SALU_CYCLE_1)
	s_or_b32 exec_lo, exec_lo, s7
.LBB302_962:                            ;   in Loop: Header=BB302_10 Depth=1
	s_delay_alu instid0(SALU_CYCLE_1)
	s_or_b32 exec_lo, exec_lo, s6
	v_mov_b32_e32 v0, 0
	s_mov_b32 s6, exec_lo
	scratch_store_b32 off, v0, s32 offset:512 ; 4-byte Folded Spill
	s_wait_xcnt 0x0
	v_mov_b32_e32 v0, 0
	scratch_store_b32 off, v0, s32 offset:796 ; 4-byte Folded Spill
	s_wait_xcnt 0x0
	v_cmpx_lt_u64_e64 s[2:3], v[4:5]
	s_cbranch_execz .LBB302_970
; %bb.963:                              ;   in Loop: Header=BB302_10 Depth=1
	v_lshrrev_b32_e32 v14, 24, v5
	v_bfrev_b32_e32 v0, 1
	s_mov_b32 s7, exec_lo
	s_delay_alu instid0(VALU_DEP_2)
	v_cmpx_ne_u32_e32 0x80, v14
	s_cbranch_execz .LBB302_969
; %bb.964:                              ;   in Loop: Header=BB302_10 Depth=1
	v_and_b32_e32 v4, 0x7f, v14
	v_mov_b32_e32 v0, 0x7c010000
	s_mov_b32 s8, exec_lo
	s_delay_alu instid0(VALU_DEP_2)
	v_cmpx_ne_u32_e32 0x7f, v4
	s_cbranch_execz .LBB302_968
; %bb.965:                              ;   in Loop: Header=BB302_10 Depth=1
	v_dual_lshrrev_b32 v1, 3, v4 :: v_dual_bitop2_b32 v0, 7, v14 bitop3:0x40
	s_mov_b32 s11, exec_lo
	v_cmpx_gt_u32_e32 8, v4
; %bb.966:                              ;   in Loop: Header=BB302_10 Depth=1
	s_delay_alu instid0(VALU_DEP_2) | instskip(NEXT) | instid1(VALU_DEP_1)
	v_clz_i32_u32_e32 v0, v0
	v_min_u32_e32 v4, 32, v0
	s_delay_alu instid0(VALU_DEP_1) | instskip(NEXT) | instid1(VALU_DEP_1)
	v_subrev_nc_u32_e32 v0, 28, v4
	v_lshlrev_b64_e32 v[0:1], v0, v[14:15]
	v_sub_nc_u32_e32 v1, 29, v4
	s_delay_alu instid0(VALU_DEP_2)
	v_and_b32_e32 v0, 7, v0
; %bb.967:                              ;   in Loop: Header=BB302_10 Depth=1
	s_or_b32 exec_lo, exec_lo, s11
	s_delay_alu instid0(VALU_DEP_1) | instskip(NEXT) | instid1(VALU_DEP_3)
	v_dual_lshlrev_b32 v4, 8, v14 :: v_dual_lshlrev_b32 v0, 23, v0
	v_lshl_add_u32 v1, v1, 10, 0x2000
	s_delay_alu instid0(VALU_DEP_1) | instskip(NEXT) | instid1(VALU_DEP_1)
	v_and_or_b32 v1, 0x8000, v4, v1
	v_lshl_or_b32 v0, v1, 16, v0
.LBB302_968:                            ;   in Loop: Header=BB302_10 Depth=1
	s_or_b32 exec_lo, exec_lo, s8
.LBB302_969:                            ;   in Loop: Header=BB302_10 Depth=1
	s_delay_alu instid0(SALU_CYCLE_1)
	s_or_b32 exec_lo, exec_lo, s7
	scratch_store_b32 off, v0, s32 offset:796 ; 4-byte Folded Spill
.LBB302_970:                            ;   in Loop: Header=BB302_10 Depth=1
	s_wait_xcnt 0x0
	s_or_b32 exec_lo, exec_lo, s6
	flat_load_b64 v[4:5], v[2:3] offset:3592
	s_mov_b32 s6, exec_lo
	s_wait_loadcnt_dscnt 0x0
	v_and_b32_e32 v0, 0xff, v4
	s_wait_xcnt 0x0
	s_delay_alu instid0(VALU_DEP_1)
	v_cmpx_ne_u16_e32 0, v0
	s_cbranch_execz .LBB302_978
; %bb.971:                              ;   in Loop: Header=BB302_10 Depth=1
	v_cmp_ne_u16_e64 s1, 0x80, v0
	v_mov_b32_e32 v0, 0x8000
	scratch_store_b32 off, v0, s32 offset:512 ; 4-byte Folded Spill
	s_wait_xcnt 0x0
	s_and_saveexec_b32 s7, s1
	s_cbranch_execz .LBB302_977
; %bb.972:                              ;   in Loop: Header=BB302_10 Depth=1
	v_and_b32_e32 v6, 0x7f, v4
	v_mov_b32_e32 v0, 0x7c01
	s_mov_b32 s8, exec_lo
	scratch_store_b32 off, v0, s32 offset:512 ; 4-byte Folded Spill
	s_wait_xcnt 0x0
	v_cmpx_ne_u32_e32 0x7f, v6
	s_cbranch_execz .LBB302_976
; %bb.973:                              ;   in Loop: Header=BB302_10 Depth=1
	v_dual_lshrrev_b32 v1, 3, v6 :: v_dual_bitop2_b32 v0, 7, v4 bitop3:0x40
	s_mov_b32 s11, exec_lo
	v_cmpx_gt_u32_e32 8, v6
; %bb.974:                              ;   in Loop: Header=BB302_10 Depth=1
	s_delay_alu instid0(VALU_DEP_2) | instskip(NEXT) | instid1(VALU_DEP_1)
	v_clz_i32_u32_e32 v0, v0
	v_min_u32_e32 v6, 32, v0
	s_delay_alu instid0(VALU_DEP_1) | instskip(NEXT) | instid1(VALU_DEP_1)
	v_subrev_nc_u32_e32 v0, 28, v6
	v_lshlrev_b64_e32 v[0:1], v0, v[4:5]
	s_delay_alu instid0(VALU_DEP_1)
	v_dual_sub_nc_u32 v1, 29, v6 :: v_dual_bitop2_b32 v0, 7, v0 bitop3:0x40
; %bb.975:                              ;   in Loop: Header=BB302_10 Depth=1
	s_or_b32 exec_lo, exec_lo, s11
	v_lshlrev_b32_e32 v6, 8, v4
	s_delay_alu instid0(VALU_DEP_2) | instskip(NEXT) | instid1(VALU_DEP_3)
	v_lshl_add_u32 v1, v1, 10, 0x2000
	v_lshlrev_b32_e32 v0, 7, v0
	s_delay_alu instid0(VALU_DEP_3) | instskip(NEXT) | instid1(VALU_DEP_3)
	v_and_b32_e32 v6, 0x8000, v6
	v_and_b32_e32 v1, 0xfc00, v1
	s_delay_alu instid0(VALU_DEP_1)
	v_or3_b32 v0, v6, v1, v0
	scratch_store_b32 off, v0, s32 offset:512 ; 4-byte Folded Spill
.LBB302_976:                            ;   in Loop: Header=BB302_10 Depth=1
	s_wait_xcnt 0x0
	s_or_b32 exec_lo, exec_lo, s8
.LBB302_977:                            ;   in Loop: Header=BB302_10 Depth=1
	s_delay_alu instid0(SALU_CYCLE_1)
	s_or_b32 exec_lo, exec_lo, s7
.LBB302_978:                            ;   in Loop: Header=BB302_10 Depth=1
	s_delay_alu instid0(SALU_CYCLE_1)
	s_or_b32 exec_lo, exec_lo, s6
	v_mov_b32_e32 v0, 0
	v_lshrrev_b16 v14, 8, v4
	s_mov_b32 s6, exec_lo
	scratch_store_b32 off, v0, s32 offset:516 ; 4-byte Folded Spill
	s_wait_xcnt 0x0
	v_mov_b32_e32 v0, 0
	scratch_store_b32 off, v0, s32 offset:520 ; 4-byte Folded Spill
	s_wait_xcnt 0x0
	v_cmpx_ne_u16_e32 0, v14
	s_cbranch_execz .LBB302_986
; %bb.979:                              ;   in Loop: Header=BB302_10 Depth=1
	v_bfrev_b32_e32 v0, 1
	s_mov_b32 s7, exec_lo
	scratch_store_b32 off, v0, s32 offset:520 ; 4-byte Folded Spill
	s_wait_xcnt 0x0
	v_cmpx_ne_u16_e32 0x80, v14
	s_cbranch_execz .LBB302_985
; %bb.980:                              ;   in Loop: Header=BB302_10 Depth=1
	v_and_b32_e32 v0, 0xffff, v14
	v_mov_b32_e32 v1, 0x7c010000
	s_mov_b32 s8, exec_lo
	s_delay_alu instid0(VALU_DEP_2)
	v_and_b32_e32 v7, 0x7f, v0
	scratch_store_b32 off, v1, s32 offset:520 ; 4-byte Folded Spill
	s_wait_xcnt 0x0
	v_cmpx_ne_u32_e32 0x7f, v7
	s_cbranch_execz .LBB302_984
; %bb.981:                              ;   in Loop: Header=BB302_10 Depth=1
	v_dual_lshrrev_b32 v6, 3, v7 :: v_dual_bitop2_b32 v1, 7, v0 bitop3:0x40
	s_mov_b32 s11, exec_lo
	v_cmpx_gt_u32_e32 8, v7
; %bb.982:                              ;   in Loop: Header=BB302_10 Depth=1
	s_delay_alu instid0(VALU_DEP_2) | instskip(NEXT) | instid1(VALU_DEP_1)
	v_clz_i32_u32_e32 v1, v1
	v_min_u32_e32 v1, 32, v1
	s_delay_alu instid0(VALU_DEP_1) | instskip(NEXT) | instid1(VALU_DEP_1)
	v_subrev_nc_u32_e32 v6, 28, v1
	v_lshlrev_b64_e32 v[8:9], v6, v[14:15]
	s_delay_alu instid0(VALU_DEP_1)
	v_dual_sub_nc_u32 v6, 29, v1 :: v_dual_bitop2_b32 v1, 7, v8 bitop3:0x40
; %bb.983:                              ;   in Loop: Header=BB302_10 Depth=1
	s_or_b32 exec_lo, exec_lo, s11
	s_delay_alu instid0(VALU_DEP_1) | instskip(NEXT) | instid1(VALU_DEP_2)
	v_dual_lshlrev_b32 v0, 8, v0 :: v_dual_lshlrev_b32 v1, 23, v1
	v_lshl_add_u32 v6, v6, 10, 0x2000
	s_delay_alu instid0(VALU_DEP_1) | instskip(NEXT) | instid1(VALU_DEP_1)
	v_and_or_b32 v0, 0x8000, v0, v6
	v_lshl_or_b32 v0, v0, 16, v1
	scratch_store_b32 off, v0, s32 offset:520 ; 4-byte Folded Spill
.LBB302_984:                            ;   in Loop: Header=BB302_10 Depth=1
	s_wait_xcnt 0x0
	s_or_b32 exec_lo, exec_lo, s8
.LBB302_985:                            ;   in Loop: Header=BB302_10 Depth=1
	s_delay_alu instid0(SALU_CYCLE_1)
	s_or_b32 exec_lo, exec_lo, s7
.LBB302_986:                            ;   in Loop: Header=BB302_10 Depth=1
	s_delay_alu instid0(SALU_CYCLE_1) | instskip(SKIP_2) | instid1(VALU_DEP_1)
	s_or_b32 exec_lo, exec_lo, s6
	v_lshrrev_b32_e32 v8, 16, v4
	s_mov_b32 s6, exec_lo
	v_and_b32_e32 v0, 0xff, v8
	s_delay_alu instid0(VALU_DEP_1)
	v_cmpx_ne_u16_e32 0, v0
	s_cbranch_execz .LBB302_994
; %bb.987:                              ;   in Loop: Header=BB302_10 Depth=1
	v_cmp_ne_u16_e64 s1, 0x80, v0
	v_mov_b32_e32 v0, 0x8000
	scratch_store_b32 off, v0, s32 offset:516 ; 4-byte Folded Spill
	s_wait_xcnt 0x0
	s_and_saveexec_b32 s7, s1
	s_cbranch_execz .LBB302_993
; %bb.988:                              ;   in Loop: Header=BB302_10 Depth=1
	v_bfe_u32 v6, v4, 16, 7
	v_mov_b32_e32 v0, 0x7c01
	s_mov_b32 s8, exec_lo
	scratch_store_b32 off, v0, s32 offset:516 ; 4-byte Folded Spill
	s_wait_xcnt 0x0
	v_cmpx_ne_u32_e32 0x7f, v6
	s_cbranch_execz .LBB302_992
; %bb.989:                              ;   in Loop: Header=BB302_10 Depth=1
	v_dual_lshrrev_b32 v1, 3, v6 :: v_dual_bitop2_b32 v0, 7, v8 bitop3:0x40
	s_mov_b32 s11, exec_lo
	v_cmpx_gt_u32_e32 8, v6
; %bb.990:                              ;   in Loop: Header=BB302_10 Depth=1
	s_delay_alu instid0(VALU_DEP_2) | instskip(NEXT) | instid1(VALU_DEP_1)
	v_clz_i32_u32_e32 v0, v0
	v_min_u32_e32 v6, 32, v0
	s_delay_alu instid0(VALU_DEP_1) | instskip(NEXT) | instid1(VALU_DEP_1)
	v_subrev_nc_u32_e32 v0, 28, v6
	v_lshlrev_b64_e32 v[0:1], v0, v[8:9]
	s_delay_alu instid0(VALU_DEP_1)
	v_dual_sub_nc_u32 v1, 29, v6 :: v_dual_bitop2_b32 v0, 7, v0 bitop3:0x40
; %bb.991:                              ;   in Loop: Header=BB302_10 Depth=1
	s_or_b32 exec_lo, exec_lo, s11
	v_lshlrev_b32_e32 v6, 8, v8
	s_delay_alu instid0(VALU_DEP_2) | instskip(NEXT) | instid1(VALU_DEP_3)
	v_lshl_add_u32 v1, v1, 10, 0x2000
	v_lshlrev_b32_e32 v0, 7, v0
	s_delay_alu instid0(VALU_DEP_3) | instskip(NEXT) | instid1(VALU_DEP_3)
	v_and_b32_e32 v6, 0x8000, v6
	v_and_b32_e32 v1, 0xfc00, v1
	s_delay_alu instid0(VALU_DEP_1)
	v_or3_b32 v0, v6, v1, v0
	scratch_store_b32 off, v0, s32 offset:516 ; 4-byte Folded Spill
.LBB302_992:                            ;   in Loop: Header=BB302_10 Depth=1
	s_wait_xcnt 0x0
	s_or_b32 exec_lo, exec_lo, s8
.LBB302_993:                            ;   in Loop: Header=BB302_10 Depth=1
	s_delay_alu instid0(SALU_CYCLE_1)
	s_or_b32 exec_lo, exec_lo, s7
.LBB302_994:                            ;   in Loop: Header=BB302_10 Depth=1
	s_delay_alu instid0(SALU_CYCLE_1)
	s_or_b32 exec_lo, exec_lo, s6
	v_mov_b32_e32 v0, 0
	s_mov_b32 s6, exec_lo
	scratch_store_b32 off, v0, s32 offset:524 ; 4-byte Folded Spill
	s_wait_xcnt 0x0
	v_mov_b32_e32 v0, 0
	scratch_store_b32 off, v0, s32 offset:528 ; 4-byte Folded Spill
	s_wait_xcnt 0x0
	v_cmpx_lt_u32_e32 0xffffff, v4
	s_cbranch_execz .LBB302_1002
; %bb.995:                              ;   in Loop: Header=BB302_10 Depth=1
	v_lshrrev_b32_e32 v14, 24, v4
	v_bfrev_b32_e32 v0, 1
	s_mov_b32 s7, exec_lo
	scratch_store_b32 off, v0, s32 offset:528 ; 4-byte Folded Spill
	s_wait_xcnt 0x0
	v_cmpx_ne_u32_e32 0x80, v14
	s_cbranch_execz .LBB302_1001
; %bb.996:                              ;   in Loop: Header=BB302_10 Depth=1
	v_and_b32_e32 v6, 0x7f, v14
	v_mov_b32_e32 v0, 0x7c010000
	s_mov_b32 s8, exec_lo
	scratch_store_b32 off, v0, s32 offset:528 ; 4-byte Folded Spill
	s_wait_xcnt 0x0
	v_cmpx_ne_u32_e32 0x7f, v6
	s_cbranch_execz .LBB302_1000
; %bb.997:                              ;   in Loop: Header=BB302_10 Depth=1
	v_and_b32_e32 v0, 7, v14
	v_lshrrev_b32_e32 v1, 3, v6
	s_mov_b32 s11, exec_lo
	v_cmpx_gt_u32_e32 8, v6
; %bb.998:                              ;   in Loop: Header=BB302_10 Depth=1
	s_delay_alu instid0(VALU_DEP_3) | instskip(NEXT) | instid1(VALU_DEP_1)
	v_clz_i32_u32_e32 v0, v0
	v_min_u32_e32 v6, 32, v0
	s_delay_alu instid0(VALU_DEP_1) | instskip(NEXT) | instid1(VALU_DEP_1)
	v_subrev_nc_u32_e32 v0, 28, v6
	v_lshlrev_b64_e32 v[0:1], v0, v[14:15]
	s_delay_alu instid0(VALU_DEP_1)
	v_dual_sub_nc_u32 v1, 29, v6 :: v_dual_bitop2_b32 v0, 7, v0 bitop3:0x40
; %bb.999:                              ;   in Loop: Header=BB302_10 Depth=1
	s_or_b32 exec_lo, exec_lo, s11
	s_delay_alu instid0(VALU_DEP_1) | instskip(NEXT) | instid1(VALU_DEP_2)
	v_dual_lshlrev_b32 v6, 8, v14 :: v_dual_lshlrev_b32 v0, 23, v0
	v_lshl_add_u32 v1, v1, 10, 0x2000
	s_delay_alu instid0(VALU_DEP_1) | instskip(NEXT) | instid1(VALU_DEP_1)
	v_and_or_b32 v1, 0x8000, v6, v1
	v_lshl_or_b32 v0, v1, 16, v0
	scratch_store_b32 off, v0, s32 offset:528 ; 4-byte Folded Spill
.LBB302_1000:                           ;   in Loop: Header=BB302_10 Depth=1
	s_wait_xcnt 0x0
	s_or_b32 exec_lo, exec_lo, s8
.LBB302_1001:                           ;   in Loop: Header=BB302_10 Depth=1
	s_delay_alu instid0(SALU_CYCLE_1)
	s_or_b32 exec_lo, exec_lo, s7
.LBB302_1002:                           ;   in Loop: Header=BB302_10 Depth=1
	s_delay_alu instid0(SALU_CYCLE_1) | instskip(SKIP_3) | instid1(VALU_DEP_2)
	s_or_b32 exec_lo, exec_lo, s6
	v_and_b32_e32 v0, 0xff, v5
	v_mov_b32_e32 v14, v5
	s_mov_b32 s6, exec_lo
	v_cmpx_ne_u16_e32 0, v0
	s_cbranch_execz .LBB302_1010
; %bb.1003:                             ;   in Loop: Header=BB302_10 Depth=1
	v_cmp_ne_u16_e64 s1, 0x80, v0
	v_mov_b32_e32 v0, 0x8000
	scratch_store_b32 off, v0, s32 offset:524 ; 4-byte Folded Spill
	s_wait_xcnt 0x0
	s_and_saveexec_b32 s7, s1
	s_cbranch_execz .LBB302_1009
; %bb.1004:                             ;   in Loop: Header=BB302_10 Depth=1
	v_and_b32_e32 v6, 0x7f, v5
	v_mov_b32_e32 v0, 0x7c01
	s_mov_b32 s8, exec_lo
	scratch_store_b32 off, v0, s32 offset:524 ; 4-byte Folded Spill
	s_wait_xcnt 0x0
	v_cmpx_ne_u32_e32 0x7f, v6
	s_cbranch_execz .LBB302_1008
; %bb.1005:                             ;   in Loop: Header=BB302_10 Depth=1
	v_dual_lshrrev_b32 v1, 3, v6 :: v_dual_bitop2_b32 v0, 7, v5 bitop3:0x40
	s_mov_b32 s11, exec_lo
	v_cmpx_gt_u32_e32 8, v6
; %bb.1006:                             ;   in Loop: Header=BB302_10 Depth=1
	s_delay_alu instid0(VALU_DEP_2) | instskip(NEXT) | instid1(VALU_DEP_1)
	v_clz_i32_u32_e32 v0, v0
	v_min_u32_e32 v6, 32, v0
	s_delay_alu instid0(VALU_DEP_1) | instskip(NEXT) | instid1(VALU_DEP_1)
	v_subrev_nc_u32_e32 v0, 28, v6
	v_lshlrev_b64_e32 v[0:1], v0, v[14:15]
	s_delay_alu instid0(VALU_DEP_1)
	v_dual_sub_nc_u32 v1, 29, v6 :: v_dual_bitop2_b32 v0, 7, v0 bitop3:0x40
; %bb.1007:                             ;   in Loop: Header=BB302_10 Depth=1
	s_or_b32 exec_lo, exec_lo, s11
	s_delay_alu instid0(VALU_DEP_1) | instskip(NEXT) | instid1(VALU_DEP_2)
	v_dual_lshlrev_b32 v6, 8, v5 :: v_dual_lshlrev_b32 v0, 7, v0
	v_lshl_add_u32 v1, v1, 10, 0x2000
	s_delay_alu instid0(VALU_DEP_2) | instskip(NEXT) | instid1(VALU_DEP_2)
	v_and_b32_e32 v6, 0x8000, v6
	v_and_b32_e32 v1, 0xfc00, v1
	s_delay_alu instid0(VALU_DEP_1)
	v_or3_b32 v0, v6, v1, v0
	scratch_store_b32 off, v0, s32 offset:524 ; 4-byte Folded Spill
.LBB302_1008:                           ;   in Loop: Header=BB302_10 Depth=1
	s_wait_xcnt 0x0
	s_or_b32 exec_lo, exec_lo, s8
.LBB302_1009:                           ;   in Loop: Header=BB302_10 Depth=1
	s_delay_alu instid0(SALU_CYCLE_1)
	s_or_b32 exec_lo, exec_lo, s7
.LBB302_1010:                           ;   in Loop: Header=BB302_10 Depth=1
	s_delay_alu instid0(SALU_CYCLE_1)
	s_or_b32 exec_lo, exec_lo, s6
	v_mov_b32_e32 v0, 0
	v_lshrrev_b16 v14, 8, v14
	s_mov_b32 s6, exec_lo
	scratch_store_b32 off, v0, s32 offset:532 ; 4-byte Folded Spill
	s_wait_xcnt 0x0
	v_mov_b32_e32 v0, 0
	scratch_store_b32 off, v0, s32 offset:536 ; 4-byte Folded Spill
	s_wait_xcnt 0x0
	v_cmpx_ne_u16_e32 0, v14
	s_cbranch_execz .LBB302_1018
; %bb.1011:                             ;   in Loop: Header=BB302_10 Depth=1
	v_bfrev_b32_e32 v0, 1
	s_mov_b32 s7, exec_lo
	scratch_store_b32 off, v0, s32 offset:536 ; 4-byte Folded Spill
	s_wait_xcnt 0x0
	v_cmpx_ne_u16_e32 0x80, v14
	s_cbranch_execz .LBB302_1017
; %bb.1012:                             ;   in Loop: Header=BB302_10 Depth=1
	v_and_b32_e32 v0, 0xffff, v14
	v_mov_b32_e32 v1, 0x7c010000
	s_mov_b32 s8, exec_lo
	s_delay_alu instid0(VALU_DEP_2)
	v_and_b32_e32 v7, 0x7f, v0
	scratch_store_b32 off, v1, s32 offset:536 ; 4-byte Folded Spill
	s_wait_xcnt 0x0
	v_cmpx_ne_u32_e32 0x7f, v7
	s_cbranch_execz .LBB302_1016
; %bb.1013:                             ;   in Loop: Header=BB302_10 Depth=1
	v_dual_lshrrev_b32 v6, 3, v7 :: v_dual_bitop2_b32 v1, 7, v0 bitop3:0x40
	s_mov_b32 s11, exec_lo
	v_cmpx_gt_u32_e32 8, v7
; %bb.1014:                             ;   in Loop: Header=BB302_10 Depth=1
	s_delay_alu instid0(VALU_DEP_2) | instskip(NEXT) | instid1(VALU_DEP_1)
	v_clz_i32_u32_e32 v1, v1
	v_min_u32_e32 v1, 32, v1
	s_delay_alu instid0(VALU_DEP_1) | instskip(NEXT) | instid1(VALU_DEP_1)
	v_subrev_nc_u32_e32 v6, 28, v1
	v_lshlrev_b64_e32 v[8:9], v6, v[14:15]
	s_delay_alu instid0(VALU_DEP_1)
	v_dual_sub_nc_u32 v6, 29, v1 :: v_dual_bitop2_b32 v1, 7, v8 bitop3:0x40
; %bb.1015:                             ;   in Loop: Header=BB302_10 Depth=1
	s_or_b32 exec_lo, exec_lo, s11
	s_delay_alu instid0(VALU_DEP_1) | instskip(NEXT) | instid1(VALU_DEP_2)
	v_dual_lshlrev_b32 v0, 8, v0 :: v_dual_lshlrev_b32 v1, 23, v1
	v_lshl_add_u32 v6, v6, 10, 0x2000
	s_delay_alu instid0(VALU_DEP_1) | instskip(NEXT) | instid1(VALU_DEP_1)
	v_and_or_b32 v0, 0x8000, v0, v6
	v_lshl_or_b32 v0, v0, 16, v1
	scratch_store_b32 off, v0, s32 offset:536 ; 4-byte Folded Spill
.LBB302_1016:                           ;   in Loop: Header=BB302_10 Depth=1
	s_wait_xcnt 0x0
	s_or_b32 exec_lo, exec_lo, s8
.LBB302_1017:                           ;   in Loop: Header=BB302_10 Depth=1
	s_delay_alu instid0(SALU_CYCLE_1)
	s_or_b32 exec_lo, exec_lo, s7
.LBB302_1018:                           ;   in Loop: Header=BB302_10 Depth=1
	s_delay_alu instid0(SALU_CYCLE_1) | instskip(SKIP_2) | instid1(VALU_DEP_1)
	s_or_b32 exec_lo, exec_lo, s6
	v_lshrrev_b32_e32 v8, 16, v5
	s_mov_b32 s6, exec_lo
	v_and_b32_e32 v0, 0xff, v8
	s_delay_alu instid0(VALU_DEP_1)
	v_cmpx_ne_u16_e32 0, v0
	s_cbranch_execz .LBB302_1026
; %bb.1019:                             ;   in Loop: Header=BB302_10 Depth=1
	v_cmp_ne_u16_e64 s1, 0x80, v0
	v_mov_b32_e32 v0, 0x8000
	scratch_store_b32 off, v0, s32 offset:532 ; 4-byte Folded Spill
	s_wait_xcnt 0x0
	s_and_saveexec_b32 s7, s1
	s_cbranch_execz .LBB302_1025
; %bb.1020:                             ;   in Loop: Header=BB302_10 Depth=1
	v_bfe_u32 v6, v5, 16, 7
	v_mov_b32_e32 v0, 0x7c01
	s_mov_b32 s8, exec_lo
	scratch_store_b32 off, v0, s32 offset:532 ; 4-byte Folded Spill
	s_wait_xcnt 0x0
	v_cmpx_ne_u32_e32 0x7f, v6
	s_cbranch_execz .LBB302_1024
; %bb.1021:                             ;   in Loop: Header=BB302_10 Depth=1
	v_dual_lshrrev_b32 v1, 3, v6 :: v_dual_bitop2_b32 v0, 7, v8 bitop3:0x40
	s_mov_b32 s11, exec_lo
	v_cmpx_gt_u32_e32 8, v6
; %bb.1022:                             ;   in Loop: Header=BB302_10 Depth=1
	s_delay_alu instid0(VALU_DEP_2) | instskip(NEXT) | instid1(VALU_DEP_1)
	v_clz_i32_u32_e32 v0, v0
	v_min_u32_e32 v6, 32, v0
	s_delay_alu instid0(VALU_DEP_1) | instskip(NEXT) | instid1(VALU_DEP_1)
	v_subrev_nc_u32_e32 v0, 28, v6
	v_lshlrev_b64_e32 v[0:1], v0, v[8:9]
	s_delay_alu instid0(VALU_DEP_1)
	v_dual_sub_nc_u32 v1, 29, v6 :: v_dual_bitop2_b32 v0, 7, v0 bitop3:0x40
; %bb.1023:                             ;   in Loop: Header=BB302_10 Depth=1
	s_or_b32 exec_lo, exec_lo, s11
	v_lshlrev_b32_e32 v6, 8, v8
	s_delay_alu instid0(VALU_DEP_2) | instskip(NEXT) | instid1(VALU_DEP_3)
	v_lshl_add_u32 v1, v1, 10, 0x2000
	v_lshlrev_b32_e32 v0, 7, v0
	s_delay_alu instid0(VALU_DEP_3) | instskip(NEXT) | instid1(VALU_DEP_3)
	v_and_b32_e32 v6, 0x8000, v6
	v_and_b32_e32 v1, 0xfc00, v1
	s_delay_alu instid0(VALU_DEP_1)
	v_or3_b32 v0, v6, v1, v0
	scratch_store_b32 off, v0, s32 offset:532 ; 4-byte Folded Spill
.LBB302_1024:                           ;   in Loop: Header=BB302_10 Depth=1
	s_wait_xcnt 0x0
	s_or_b32 exec_lo, exec_lo, s8
.LBB302_1025:                           ;   in Loop: Header=BB302_10 Depth=1
	s_delay_alu instid0(SALU_CYCLE_1)
	s_or_b32 exec_lo, exec_lo, s7
.LBB302_1026:                           ;   in Loop: Header=BB302_10 Depth=1
	s_delay_alu instid0(SALU_CYCLE_1)
	s_or_b32 exec_lo, exec_lo, s6
	v_mov_b32_e32 v0, 0
	s_mov_b32 s6, exec_lo
	scratch_store_b32 off, v0, s32 offset:540 ; 4-byte Folded Spill
	s_wait_xcnt 0x0
	v_mov_b32_e32 v0, 0
	scratch_store_b32 off, v0, s32 offset:800 ; 4-byte Folded Spill
	s_wait_xcnt 0x0
	v_cmpx_lt_u64_e64 s[2:3], v[4:5]
	s_cbranch_execz .LBB302_1034
; %bb.1027:                             ;   in Loop: Header=BB302_10 Depth=1
	v_lshrrev_b32_e32 v14, 24, v5
	v_bfrev_b32_e32 v0, 1
	s_mov_b32 s7, exec_lo
	s_delay_alu instid0(VALU_DEP_2)
	v_cmpx_ne_u32_e32 0x80, v14
	s_cbranch_execz .LBB302_1033
; %bb.1028:                             ;   in Loop: Header=BB302_10 Depth=1
	v_and_b32_e32 v4, 0x7f, v14
	v_mov_b32_e32 v0, 0x7c010000
	s_mov_b32 s8, exec_lo
	s_delay_alu instid0(VALU_DEP_2)
	v_cmpx_ne_u32_e32 0x7f, v4
	s_cbranch_execz .LBB302_1032
; %bb.1029:                             ;   in Loop: Header=BB302_10 Depth=1
	v_dual_lshrrev_b32 v1, 3, v4 :: v_dual_bitop2_b32 v0, 7, v14 bitop3:0x40
	s_mov_b32 s11, exec_lo
	v_cmpx_gt_u32_e32 8, v4
; %bb.1030:                             ;   in Loop: Header=BB302_10 Depth=1
	s_delay_alu instid0(VALU_DEP_2) | instskip(NEXT) | instid1(VALU_DEP_1)
	v_clz_i32_u32_e32 v0, v0
	v_min_u32_e32 v4, 32, v0
	s_delay_alu instid0(VALU_DEP_1) | instskip(NEXT) | instid1(VALU_DEP_1)
	v_subrev_nc_u32_e32 v0, 28, v4
	v_lshlrev_b64_e32 v[0:1], v0, v[14:15]
	v_sub_nc_u32_e32 v1, 29, v4
	s_delay_alu instid0(VALU_DEP_2)
	v_and_b32_e32 v0, 7, v0
; %bb.1031:                             ;   in Loop: Header=BB302_10 Depth=1
	s_or_b32 exec_lo, exec_lo, s11
	s_delay_alu instid0(VALU_DEP_1) | instskip(NEXT) | instid1(VALU_DEP_3)
	v_dual_lshlrev_b32 v4, 8, v14 :: v_dual_lshlrev_b32 v0, 23, v0
	v_lshl_add_u32 v1, v1, 10, 0x2000
	s_delay_alu instid0(VALU_DEP_1) | instskip(NEXT) | instid1(VALU_DEP_1)
	v_and_or_b32 v1, 0x8000, v4, v1
	v_lshl_or_b32 v0, v1, 16, v0
.LBB302_1032:                           ;   in Loop: Header=BB302_10 Depth=1
	s_or_b32 exec_lo, exec_lo, s8
.LBB302_1033:                           ;   in Loop: Header=BB302_10 Depth=1
	s_delay_alu instid0(SALU_CYCLE_1)
	s_or_b32 exec_lo, exec_lo, s7
	scratch_store_b32 off, v0, s32 offset:800 ; 4-byte Folded Spill
.LBB302_1034:                           ;   in Loop: Header=BB302_10 Depth=1
	s_wait_xcnt 0x0
	s_or_b32 exec_lo, exec_lo, s6
	flat_load_b64 v[4:5], v[2:3] offset:4096
	s_mov_b32 s6, exec_lo
	s_wait_loadcnt_dscnt 0x0
	v_and_b32_e32 v0, 0xff, v4
	s_wait_xcnt 0x0
	s_delay_alu instid0(VALU_DEP_1)
	v_cmpx_ne_u16_e32 0, v0
	s_cbranch_execz .LBB302_1042
; %bb.1035:                             ;   in Loop: Header=BB302_10 Depth=1
	v_cmp_ne_u16_e64 s1, 0x80, v0
	v_mov_b32_e32 v0, 0x8000
	scratch_store_b32 off, v0, s32 offset:540 ; 4-byte Folded Spill
	s_wait_xcnt 0x0
	s_and_saveexec_b32 s7, s1
	s_cbranch_execz .LBB302_1041
; %bb.1036:                             ;   in Loop: Header=BB302_10 Depth=1
	v_and_b32_e32 v6, 0x7f, v4
	v_mov_b32_e32 v0, 0x7c01
	s_mov_b32 s8, exec_lo
	scratch_store_b32 off, v0, s32 offset:540 ; 4-byte Folded Spill
	s_wait_xcnt 0x0
	v_cmpx_ne_u32_e32 0x7f, v6
	s_cbranch_execz .LBB302_1040
; %bb.1037:                             ;   in Loop: Header=BB302_10 Depth=1
	v_dual_lshrrev_b32 v1, 3, v6 :: v_dual_bitop2_b32 v0, 7, v4 bitop3:0x40
	s_mov_b32 s11, exec_lo
	v_cmpx_gt_u32_e32 8, v6
; %bb.1038:                             ;   in Loop: Header=BB302_10 Depth=1
	s_delay_alu instid0(VALU_DEP_2) | instskip(NEXT) | instid1(VALU_DEP_1)
	v_clz_i32_u32_e32 v0, v0
	v_min_u32_e32 v6, 32, v0
	s_delay_alu instid0(VALU_DEP_1) | instskip(NEXT) | instid1(VALU_DEP_1)
	v_subrev_nc_u32_e32 v0, 28, v6
	v_lshlrev_b64_e32 v[0:1], v0, v[4:5]
	s_delay_alu instid0(VALU_DEP_1)
	v_dual_sub_nc_u32 v1, 29, v6 :: v_dual_bitop2_b32 v0, 7, v0 bitop3:0x40
; %bb.1039:                             ;   in Loop: Header=BB302_10 Depth=1
	s_or_b32 exec_lo, exec_lo, s11
	v_lshlrev_b32_e32 v6, 8, v4
	s_delay_alu instid0(VALU_DEP_2) | instskip(NEXT) | instid1(VALU_DEP_3)
	v_lshl_add_u32 v1, v1, 10, 0x2000
	v_lshlrev_b32_e32 v0, 7, v0
	s_delay_alu instid0(VALU_DEP_3) | instskip(NEXT) | instid1(VALU_DEP_3)
	v_and_b32_e32 v6, 0x8000, v6
	v_and_b32_e32 v1, 0xfc00, v1
	s_delay_alu instid0(VALU_DEP_1)
	v_or3_b32 v0, v6, v1, v0
	scratch_store_b32 off, v0, s32 offset:540 ; 4-byte Folded Spill
.LBB302_1040:                           ;   in Loop: Header=BB302_10 Depth=1
	s_wait_xcnt 0x0
	s_or_b32 exec_lo, exec_lo, s8
.LBB302_1041:                           ;   in Loop: Header=BB302_10 Depth=1
	s_delay_alu instid0(SALU_CYCLE_1)
	s_or_b32 exec_lo, exec_lo, s7
.LBB302_1042:                           ;   in Loop: Header=BB302_10 Depth=1
	s_delay_alu instid0(SALU_CYCLE_1)
	s_or_b32 exec_lo, exec_lo, s6
	v_mov_b32_e32 v0, 0
	v_lshrrev_b16 v14, 8, v4
	s_mov_b32 s6, exec_lo
	scratch_store_b32 off, v0, s32 offset:544 ; 4-byte Folded Spill
	s_wait_xcnt 0x0
	v_mov_b32_e32 v0, 0
	scratch_store_b32 off, v0, s32 offset:548 ; 4-byte Folded Spill
	s_wait_xcnt 0x0
	v_cmpx_ne_u16_e32 0, v14
	s_cbranch_execz .LBB302_1050
; %bb.1043:                             ;   in Loop: Header=BB302_10 Depth=1
	v_bfrev_b32_e32 v0, 1
	s_mov_b32 s7, exec_lo
	scratch_store_b32 off, v0, s32 offset:548 ; 4-byte Folded Spill
	s_wait_xcnt 0x0
	v_cmpx_ne_u16_e32 0x80, v14
	s_cbranch_execz .LBB302_1049
; %bb.1044:                             ;   in Loop: Header=BB302_10 Depth=1
	v_and_b32_e32 v0, 0xffff, v14
	v_mov_b32_e32 v1, 0x7c010000
	s_mov_b32 s8, exec_lo
	s_delay_alu instid0(VALU_DEP_2)
	v_and_b32_e32 v7, 0x7f, v0
	scratch_store_b32 off, v1, s32 offset:548 ; 4-byte Folded Spill
	s_wait_xcnt 0x0
	v_cmpx_ne_u32_e32 0x7f, v7
	s_cbranch_execz .LBB302_1048
; %bb.1045:                             ;   in Loop: Header=BB302_10 Depth=1
	v_dual_lshrrev_b32 v6, 3, v7 :: v_dual_bitop2_b32 v1, 7, v0 bitop3:0x40
	s_mov_b32 s11, exec_lo
	v_cmpx_gt_u32_e32 8, v7
; %bb.1046:                             ;   in Loop: Header=BB302_10 Depth=1
	s_delay_alu instid0(VALU_DEP_2) | instskip(NEXT) | instid1(VALU_DEP_1)
	v_clz_i32_u32_e32 v1, v1
	v_min_u32_e32 v1, 32, v1
	s_delay_alu instid0(VALU_DEP_1) | instskip(NEXT) | instid1(VALU_DEP_1)
	v_subrev_nc_u32_e32 v6, 28, v1
	v_lshlrev_b64_e32 v[8:9], v6, v[14:15]
	s_delay_alu instid0(VALU_DEP_1)
	v_dual_sub_nc_u32 v6, 29, v1 :: v_dual_bitop2_b32 v1, 7, v8 bitop3:0x40
; %bb.1047:                             ;   in Loop: Header=BB302_10 Depth=1
	s_or_b32 exec_lo, exec_lo, s11
	s_delay_alu instid0(VALU_DEP_1) | instskip(NEXT) | instid1(VALU_DEP_2)
	v_dual_lshlrev_b32 v0, 8, v0 :: v_dual_lshlrev_b32 v1, 23, v1
	v_lshl_add_u32 v6, v6, 10, 0x2000
	s_delay_alu instid0(VALU_DEP_1) | instskip(NEXT) | instid1(VALU_DEP_1)
	v_and_or_b32 v0, 0x8000, v0, v6
	v_lshl_or_b32 v0, v0, 16, v1
	scratch_store_b32 off, v0, s32 offset:548 ; 4-byte Folded Spill
.LBB302_1048:                           ;   in Loop: Header=BB302_10 Depth=1
	s_wait_xcnt 0x0
	s_or_b32 exec_lo, exec_lo, s8
.LBB302_1049:                           ;   in Loop: Header=BB302_10 Depth=1
	s_delay_alu instid0(SALU_CYCLE_1)
	s_or_b32 exec_lo, exec_lo, s7
.LBB302_1050:                           ;   in Loop: Header=BB302_10 Depth=1
	s_delay_alu instid0(SALU_CYCLE_1) | instskip(SKIP_2) | instid1(VALU_DEP_1)
	s_or_b32 exec_lo, exec_lo, s6
	v_lshrrev_b32_e32 v8, 16, v4
	s_mov_b32 s6, exec_lo
	v_and_b32_e32 v0, 0xff, v8
	s_delay_alu instid0(VALU_DEP_1)
	v_cmpx_ne_u16_e32 0, v0
	s_cbranch_execz .LBB302_1058
; %bb.1051:                             ;   in Loop: Header=BB302_10 Depth=1
	v_cmp_ne_u16_e64 s1, 0x80, v0
	v_mov_b32_e32 v0, 0x8000
	scratch_store_b32 off, v0, s32 offset:544 ; 4-byte Folded Spill
	s_wait_xcnt 0x0
	s_and_saveexec_b32 s7, s1
	s_cbranch_execz .LBB302_1057
; %bb.1052:                             ;   in Loop: Header=BB302_10 Depth=1
	v_bfe_u32 v6, v4, 16, 7
	v_mov_b32_e32 v0, 0x7c01
	s_mov_b32 s8, exec_lo
	scratch_store_b32 off, v0, s32 offset:544 ; 4-byte Folded Spill
	s_wait_xcnt 0x0
	v_cmpx_ne_u32_e32 0x7f, v6
	s_cbranch_execz .LBB302_1056
; %bb.1053:                             ;   in Loop: Header=BB302_10 Depth=1
	v_dual_lshrrev_b32 v1, 3, v6 :: v_dual_bitop2_b32 v0, 7, v8 bitop3:0x40
	s_mov_b32 s11, exec_lo
	v_cmpx_gt_u32_e32 8, v6
; %bb.1054:                             ;   in Loop: Header=BB302_10 Depth=1
	s_delay_alu instid0(VALU_DEP_2) | instskip(NEXT) | instid1(VALU_DEP_1)
	v_clz_i32_u32_e32 v0, v0
	v_min_u32_e32 v6, 32, v0
	s_delay_alu instid0(VALU_DEP_1) | instskip(NEXT) | instid1(VALU_DEP_1)
	v_subrev_nc_u32_e32 v0, 28, v6
	v_lshlrev_b64_e32 v[0:1], v0, v[8:9]
	s_delay_alu instid0(VALU_DEP_1)
	v_dual_sub_nc_u32 v1, 29, v6 :: v_dual_bitop2_b32 v0, 7, v0 bitop3:0x40
; %bb.1055:                             ;   in Loop: Header=BB302_10 Depth=1
	s_or_b32 exec_lo, exec_lo, s11
	v_lshlrev_b32_e32 v6, 8, v8
	s_delay_alu instid0(VALU_DEP_2) | instskip(NEXT) | instid1(VALU_DEP_3)
	v_lshl_add_u32 v1, v1, 10, 0x2000
	v_lshlrev_b32_e32 v0, 7, v0
	s_delay_alu instid0(VALU_DEP_3) | instskip(NEXT) | instid1(VALU_DEP_3)
	v_and_b32_e32 v6, 0x8000, v6
	v_and_b32_e32 v1, 0xfc00, v1
	s_delay_alu instid0(VALU_DEP_1)
	v_or3_b32 v0, v6, v1, v0
	scratch_store_b32 off, v0, s32 offset:544 ; 4-byte Folded Spill
.LBB302_1056:                           ;   in Loop: Header=BB302_10 Depth=1
	s_wait_xcnt 0x0
	s_or_b32 exec_lo, exec_lo, s8
.LBB302_1057:                           ;   in Loop: Header=BB302_10 Depth=1
	s_delay_alu instid0(SALU_CYCLE_1)
	s_or_b32 exec_lo, exec_lo, s7
.LBB302_1058:                           ;   in Loop: Header=BB302_10 Depth=1
	s_delay_alu instid0(SALU_CYCLE_1)
	s_or_b32 exec_lo, exec_lo, s6
	v_mov_b32_e32 v0, 0
	s_mov_b32 s6, exec_lo
	scratch_store_b32 off, v0, s32 offset:552 ; 4-byte Folded Spill
	s_wait_xcnt 0x0
	v_mov_b32_e32 v0, 0
	scratch_store_b32 off, v0, s32 offset:556 ; 4-byte Folded Spill
	s_wait_xcnt 0x0
	v_cmpx_lt_u32_e32 0xffffff, v4
	s_cbranch_execz .LBB302_1066
; %bb.1059:                             ;   in Loop: Header=BB302_10 Depth=1
	v_lshrrev_b32_e32 v14, 24, v4
	v_bfrev_b32_e32 v0, 1
	s_mov_b32 s7, exec_lo
	scratch_store_b32 off, v0, s32 offset:556 ; 4-byte Folded Spill
	s_wait_xcnt 0x0
	v_cmpx_ne_u32_e32 0x80, v14
	s_cbranch_execz .LBB302_1065
; %bb.1060:                             ;   in Loop: Header=BB302_10 Depth=1
	v_and_b32_e32 v6, 0x7f, v14
	v_mov_b32_e32 v0, 0x7c010000
	s_mov_b32 s8, exec_lo
	scratch_store_b32 off, v0, s32 offset:556 ; 4-byte Folded Spill
	s_wait_xcnt 0x0
	v_cmpx_ne_u32_e32 0x7f, v6
	s_cbranch_execz .LBB302_1064
; %bb.1061:                             ;   in Loop: Header=BB302_10 Depth=1
	v_and_b32_e32 v0, 7, v14
	v_lshrrev_b32_e32 v1, 3, v6
	s_mov_b32 s11, exec_lo
	v_cmpx_gt_u32_e32 8, v6
; %bb.1062:                             ;   in Loop: Header=BB302_10 Depth=1
	s_delay_alu instid0(VALU_DEP_3) | instskip(NEXT) | instid1(VALU_DEP_1)
	v_clz_i32_u32_e32 v0, v0
	v_min_u32_e32 v6, 32, v0
	s_delay_alu instid0(VALU_DEP_1) | instskip(NEXT) | instid1(VALU_DEP_1)
	v_subrev_nc_u32_e32 v0, 28, v6
	v_lshlrev_b64_e32 v[0:1], v0, v[14:15]
	s_delay_alu instid0(VALU_DEP_1)
	v_dual_sub_nc_u32 v1, 29, v6 :: v_dual_bitop2_b32 v0, 7, v0 bitop3:0x40
; %bb.1063:                             ;   in Loop: Header=BB302_10 Depth=1
	s_or_b32 exec_lo, exec_lo, s11
	s_delay_alu instid0(VALU_DEP_1) | instskip(NEXT) | instid1(VALU_DEP_2)
	v_dual_lshlrev_b32 v6, 8, v14 :: v_dual_lshlrev_b32 v0, 23, v0
	v_lshl_add_u32 v1, v1, 10, 0x2000
	s_delay_alu instid0(VALU_DEP_1) | instskip(NEXT) | instid1(VALU_DEP_1)
	v_and_or_b32 v1, 0x8000, v6, v1
	v_lshl_or_b32 v0, v1, 16, v0
	scratch_store_b32 off, v0, s32 offset:556 ; 4-byte Folded Spill
.LBB302_1064:                           ;   in Loop: Header=BB302_10 Depth=1
	s_wait_xcnt 0x0
	s_or_b32 exec_lo, exec_lo, s8
.LBB302_1065:                           ;   in Loop: Header=BB302_10 Depth=1
	s_delay_alu instid0(SALU_CYCLE_1)
	s_or_b32 exec_lo, exec_lo, s7
.LBB302_1066:                           ;   in Loop: Header=BB302_10 Depth=1
	s_delay_alu instid0(SALU_CYCLE_1) | instskip(SKIP_3) | instid1(VALU_DEP_2)
	s_or_b32 exec_lo, exec_lo, s6
	v_and_b32_e32 v0, 0xff, v5
	v_mov_b32_e32 v14, v5
	s_mov_b32 s6, exec_lo
	v_cmpx_ne_u16_e32 0, v0
	s_cbranch_execz .LBB302_1074
; %bb.1067:                             ;   in Loop: Header=BB302_10 Depth=1
	v_cmp_ne_u16_e64 s1, 0x80, v0
	v_mov_b32_e32 v0, 0x8000
	scratch_store_b32 off, v0, s32 offset:552 ; 4-byte Folded Spill
	s_wait_xcnt 0x0
	s_and_saveexec_b32 s7, s1
	s_cbranch_execz .LBB302_1073
; %bb.1068:                             ;   in Loop: Header=BB302_10 Depth=1
	v_and_b32_e32 v6, 0x7f, v5
	v_mov_b32_e32 v0, 0x7c01
	s_mov_b32 s8, exec_lo
	scratch_store_b32 off, v0, s32 offset:552 ; 4-byte Folded Spill
	s_wait_xcnt 0x0
	v_cmpx_ne_u32_e32 0x7f, v6
	s_cbranch_execz .LBB302_1072
; %bb.1069:                             ;   in Loop: Header=BB302_10 Depth=1
	v_dual_lshrrev_b32 v1, 3, v6 :: v_dual_bitop2_b32 v0, 7, v5 bitop3:0x40
	s_mov_b32 s11, exec_lo
	v_cmpx_gt_u32_e32 8, v6
; %bb.1070:                             ;   in Loop: Header=BB302_10 Depth=1
	s_delay_alu instid0(VALU_DEP_2) | instskip(NEXT) | instid1(VALU_DEP_1)
	v_clz_i32_u32_e32 v0, v0
	v_min_u32_e32 v6, 32, v0
	s_delay_alu instid0(VALU_DEP_1) | instskip(NEXT) | instid1(VALU_DEP_1)
	v_subrev_nc_u32_e32 v0, 28, v6
	v_lshlrev_b64_e32 v[0:1], v0, v[14:15]
	s_delay_alu instid0(VALU_DEP_1)
	v_dual_sub_nc_u32 v1, 29, v6 :: v_dual_bitop2_b32 v0, 7, v0 bitop3:0x40
; %bb.1071:                             ;   in Loop: Header=BB302_10 Depth=1
	s_or_b32 exec_lo, exec_lo, s11
	s_delay_alu instid0(VALU_DEP_1) | instskip(NEXT) | instid1(VALU_DEP_2)
	v_dual_lshlrev_b32 v6, 8, v5 :: v_dual_lshlrev_b32 v0, 7, v0
	v_lshl_add_u32 v1, v1, 10, 0x2000
	s_delay_alu instid0(VALU_DEP_2) | instskip(NEXT) | instid1(VALU_DEP_2)
	v_and_b32_e32 v6, 0x8000, v6
	v_and_b32_e32 v1, 0xfc00, v1
	s_delay_alu instid0(VALU_DEP_1)
	v_or3_b32 v0, v6, v1, v0
	scratch_store_b32 off, v0, s32 offset:552 ; 4-byte Folded Spill
.LBB302_1072:                           ;   in Loop: Header=BB302_10 Depth=1
	s_wait_xcnt 0x0
	s_or_b32 exec_lo, exec_lo, s8
.LBB302_1073:                           ;   in Loop: Header=BB302_10 Depth=1
	s_delay_alu instid0(SALU_CYCLE_1)
	s_or_b32 exec_lo, exec_lo, s7
.LBB302_1074:                           ;   in Loop: Header=BB302_10 Depth=1
	s_delay_alu instid0(SALU_CYCLE_1)
	s_or_b32 exec_lo, exec_lo, s6
	v_mov_b32_e32 v0, 0
	v_lshrrev_b16 v14, 8, v14
	s_mov_b32 s6, exec_lo
	scratch_store_b32 off, v0, s32 offset:560 ; 4-byte Folded Spill
	s_wait_xcnt 0x0
	v_mov_b32_e32 v0, 0
	scratch_store_b32 off, v0, s32 offset:564 ; 4-byte Folded Spill
	s_wait_xcnt 0x0
	v_cmpx_ne_u16_e32 0, v14
	s_cbranch_execz .LBB302_1082
; %bb.1075:                             ;   in Loop: Header=BB302_10 Depth=1
	v_bfrev_b32_e32 v0, 1
	s_mov_b32 s7, exec_lo
	scratch_store_b32 off, v0, s32 offset:564 ; 4-byte Folded Spill
	s_wait_xcnt 0x0
	v_cmpx_ne_u16_e32 0x80, v14
	s_cbranch_execz .LBB302_1081
; %bb.1076:                             ;   in Loop: Header=BB302_10 Depth=1
	v_and_b32_e32 v0, 0xffff, v14
	v_mov_b32_e32 v1, 0x7c010000
	s_mov_b32 s8, exec_lo
	s_delay_alu instid0(VALU_DEP_2)
	v_and_b32_e32 v7, 0x7f, v0
	scratch_store_b32 off, v1, s32 offset:564 ; 4-byte Folded Spill
	s_wait_xcnt 0x0
	v_cmpx_ne_u32_e32 0x7f, v7
	s_cbranch_execz .LBB302_1080
; %bb.1077:                             ;   in Loop: Header=BB302_10 Depth=1
	v_dual_lshrrev_b32 v6, 3, v7 :: v_dual_bitop2_b32 v1, 7, v0 bitop3:0x40
	s_mov_b32 s11, exec_lo
	v_cmpx_gt_u32_e32 8, v7
; %bb.1078:                             ;   in Loop: Header=BB302_10 Depth=1
	s_delay_alu instid0(VALU_DEP_2) | instskip(NEXT) | instid1(VALU_DEP_1)
	v_clz_i32_u32_e32 v1, v1
	v_min_u32_e32 v1, 32, v1
	s_delay_alu instid0(VALU_DEP_1) | instskip(NEXT) | instid1(VALU_DEP_1)
	v_subrev_nc_u32_e32 v6, 28, v1
	v_lshlrev_b64_e32 v[8:9], v6, v[14:15]
	s_delay_alu instid0(VALU_DEP_1)
	v_dual_sub_nc_u32 v6, 29, v1 :: v_dual_bitop2_b32 v1, 7, v8 bitop3:0x40
; %bb.1079:                             ;   in Loop: Header=BB302_10 Depth=1
	s_or_b32 exec_lo, exec_lo, s11
	s_delay_alu instid0(VALU_DEP_1) | instskip(NEXT) | instid1(VALU_DEP_2)
	v_dual_lshlrev_b32 v0, 8, v0 :: v_dual_lshlrev_b32 v1, 23, v1
	v_lshl_add_u32 v6, v6, 10, 0x2000
	s_delay_alu instid0(VALU_DEP_1) | instskip(NEXT) | instid1(VALU_DEP_1)
	v_and_or_b32 v0, 0x8000, v0, v6
	v_lshl_or_b32 v0, v0, 16, v1
	scratch_store_b32 off, v0, s32 offset:564 ; 4-byte Folded Spill
.LBB302_1080:                           ;   in Loop: Header=BB302_10 Depth=1
	s_wait_xcnt 0x0
	s_or_b32 exec_lo, exec_lo, s8
.LBB302_1081:                           ;   in Loop: Header=BB302_10 Depth=1
	s_delay_alu instid0(SALU_CYCLE_1)
	s_or_b32 exec_lo, exec_lo, s7
.LBB302_1082:                           ;   in Loop: Header=BB302_10 Depth=1
	s_delay_alu instid0(SALU_CYCLE_1) | instskip(SKIP_2) | instid1(VALU_DEP_1)
	s_or_b32 exec_lo, exec_lo, s6
	v_lshrrev_b32_e32 v8, 16, v5
	s_mov_b32 s6, exec_lo
	v_and_b32_e32 v0, 0xff, v8
	s_delay_alu instid0(VALU_DEP_1)
	v_cmpx_ne_u16_e32 0, v0
	s_cbranch_execz .LBB302_1090
; %bb.1083:                             ;   in Loop: Header=BB302_10 Depth=1
	v_cmp_ne_u16_e64 s1, 0x80, v0
	v_mov_b32_e32 v0, 0x8000
	scratch_store_b32 off, v0, s32 offset:560 ; 4-byte Folded Spill
	s_wait_xcnt 0x0
	s_and_saveexec_b32 s7, s1
	s_cbranch_execz .LBB302_1089
; %bb.1084:                             ;   in Loop: Header=BB302_10 Depth=1
	v_bfe_u32 v6, v5, 16, 7
	v_mov_b32_e32 v0, 0x7c01
	s_mov_b32 s8, exec_lo
	scratch_store_b32 off, v0, s32 offset:560 ; 4-byte Folded Spill
	s_wait_xcnt 0x0
	v_cmpx_ne_u32_e32 0x7f, v6
	s_cbranch_execz .LBB302_1088
; %bb.1085:                             ;   in Loop: Header=BB302_10 Depth=1
	v_dual_lshrrev_b32 v1, 3, v6 :: v_dual_bitop2_b32 v0, 7, v8 bitop3:0x40
	s_mov_b32 s11, exec_lo
	v_cmpx_gt_u32_e32 8, v6
; %bb.1086:                             ;   in Loop: Header=BB302_10 Depth=1
	s_delay_alu instid0(VALU_DEP_2) | instskip(NEXT) | instid1(VALU_DEP_1)
	v_clz_i32_u32_e32 v0, v0
	v_min_u32_e32 v6, 32, v0
	s_delay_alu instid0(VALU_DEP_1) | instskip(NEXT) | instid1(VALU_DEP_1)
	v_subrev_nc_u32_e32 v0, 28, v6
	v_lshlrev_b64_e32 v[0:1], v0, v[8:9]
	s_delay_alu instid0(VALU_DEP_1)
	v_dual_sub_nc_u32 v1, 29, v6 :: v_dual_bitop2_b32 v0, 7, v0 bitop3:0x40
; %bb.1087:                             ;   in Loop: Header=BB302_10 Depth=1
	s_or_b32 exec_lo, exec_lo, s11
	v_lshlrev_b32_e32 v6, 8, v8
	s_delay_alu instid0(VALU_DEP_2) | instskip(NEXT) | instid1(VALU_DEP_3)
	v_lshl_add_u32 v1, v1, 10, 0x2000
	v_lshlrev_b32_e32 v0, 7, v0
	s_delay_alu instid0(VALU_DEP_3) | instskip(NEXT) | instid1(VALU_DEP_3)
	v_and_b32_e32 v6, 0x8000, v6
	v_and_b32_e32 v1, 0xfc00, v1
	s_delay_alu instid0(VALU_DEP_1)
	v_or3_b32 v0, v6, v1, v0
	scratch_store_b32 off, v0, s32 offset:560 ; 4-byte Folded Spill
.LBB302_1088:                           ;   in Loop: Header=BB302_10 Depth=1
	s_wait_xcnt 0x0
	s_or_b32 exec_lo, exec_lo, s8
.LBB302_1089:                           ;   in Loop: Header=BB302_10 Depth=1
	s_delay_alu instid0(SALU_CYCLE_1)
	s_or_b32 exec_lo, exec_lo, s7
.LBB302_1090:                           ;   in Loop: Header=BB302_10 Depth=1
	s_delay_alu instid0(SALU_CYCLE_1)
	s_or_b32 exec_lo, exec_lo, s6
	v_mov_b32_e32 v0, 0
	s_mov_b32 s6, exec_lo
	scratch_store_b32 off, v0, s32 offset:568 ; 4-byte Folded Spill
	s_wait_xcnt 0x0
	v_mov_b32_e32 v0, 0
	scratch_store_b32 off, v0, s32 offset:804 ; 4-byte Folded Spill
	s_wait_xcnt 0x0
	v_cmpx_lt_u64_e64 s[2:3], v[4:5]
	s_cbranch_execz .LBB302_1098
; %bb.1091:                             ;   in Loop: Header=BB302_10 Depth=1
	v_lshrrev_b32_e32 v14, 24, v5
	v_bfrev_b32_e32 v0, 1
	s_mov_b32 s7, exec_lo
	s_delay_alu instid0(VALU_DEP_2)
	v_cmpx_ne_u32_e32 0x80, v14
	s_cbranch_execz .LBB302_1097
; %bb.1092:                             ;   in Loop: Header=BB302_10 Depth=1
	v_and_b32_e32 v4, 0x7f, v14
	v_mov_b32_e32 v0, 0x7c010000
	s_mov_b32 s8, exec_lo
	s_delay_alu instid0(VALU_DEP_2)
	v_cmpx_ne_u32_e32 0x7f, v4
	s_cbranch_execz .LBB302_1096
; %bb.1093:                             ;   in Loop: Header=BB302_10 Depth=1
	v_dual_lshrrev_b32 v1, 3, v4 :: v_dual_bitop2_b32 v0, 7, v14 bitop3:0x40
	s_mov_b32 s11, exec_lo
	v_cmpx_gt_u32_e32 8, v4
; %bb.1094:                             ;   in Loop: Header=BB302_10 Depth=1
	s_delay_alu instid0(VALU_DEP_2) | instskip(NEXT) | instid1(VALU_DEP_1)
	v_clz_i32_u32_e32 v0, v0
	v_min_u32_e32 v4, 32, v0
	s_delay_alu instid0(VALU_DEP_1) | instskip(NEXT) | instid1(VALU_DEP_1)
	v_subrev_nc_u32_e32 v0, 28, v4
	v_lshlrev_b64_e32 v[0:1], v0, v[14:15]
	v_sub_nc_u32_e32 v1, 29, v4
	s_delay_alu instid0(VALU_DEP_2)
	v_and_b32_e32 v0, 7, v0
; %bb.1095:                             ;   in Loop: Header=BB302_10 Depth=1
	s_or_b32 exec_lo, exec_lo, s11
	s_delay_alu instid0(VALU_DEP_1) | instskip(NEXT) | instid1(VALU_DEP_3)
	v_dual_lshlrev_b32 v4, 8, v14 :: v_dual_lshlrev_b32 v0, 23, v0
	v_lshl_add_u32 v1, v1, 10, 0x2000
	s_delay_alu instid0(VALU_DEP_1) | instskip(NEXT) | instid1(VALU_DEP_1)
	v_and_or_b32 v1, 0x8000, v4, v1
	v_lshl_or_b32 v0, v1, 16, v0
.LBB302_1096:                           ;   in Loop: Header=BB302_10 Depth=1
	s_or_b32 exec_lo, exec_lo, s8
.LBB302_1097:                           ;   in Loop: Header=BB302_10 Depth=1
	s_delay_alu instid0(SALU_CYCLE_1)
	s_or_b32 exec_lo, exec_lo, s7
	scratch_store_b32 off, v0, s32 offset:804 ; 4-byte Folded Spill
.LBB302_1098:                           ;   in Loop: Header=BB302_10 Depth=1
	s_wait_xcnt 0x0
	s_or_b32 exec_lo, exec_lo, s6
	flat_load_b64 v[4:5], v[2:3] offset:4104
	s_mov_b32 s6, exec_lo
	s_wait_loadcnt_dscnt 0x0
	v_and_b32_e32 v0, 0xff, v4
	s_wait_xcnt 0x0
	s_delay_alu instid0(VALU_DEP_1)
	v_cmpx_ne_u16_e32 0, v0
	s_cbranch_execz .LBB302_1106
; %bb.1099:                             ;   in Loop: Header=BB302_10 Depth=1
	v_cmp_ne_u16_e64 s1, 0x80, v0
	v_mov_b32_e32 v0, 0x8000
	scratch_store_b32 off, v0, s32 offset:568 ; 4-byte Folded Spill
	s_wait_xcnt 0x0
	s_and_saveexec_b32 s7, s1
	s_cbranch_execz .LBB302_1105
; %bb.1100:                             ;   in Loop: Header=BB302_10 Depth=1
	v_and_b32_e32 v6, 0x7f, v4
	v_mov_b32_e32 v0, 0x7c01
	s_mov_b32 s8, exec_lo
	scratch_store_b32 off, v0, s32 offset:568 ; 4-byte Folded Spill
	s_wait_xcnt 0x0
	v_cmpx_ne_u32_e32 0x7f, v6
	s_cbranch_execz .LBB302_1104
; %bb.1101:                             ;   in Loop: Header=BB302_10 Depth=1
	v_dual_lshrrev_b32 v1, 3, v6 :: v_dual_bitop2_b32 v0, 7, v4 bitop3:0x40
	s_mov_b32 s11, exec_lo
	v_cmpx_gt_u32_e32 8, v6
; %bb.1102:                             ;   in Loop: Header=BB302_10 Depth=1
	s_delay_alu instid0(VALU_DEP_2) | instskip(NEXT) | instid1(VALU_DEP_1)
	v_clz_i32_u32_e32 v0, v0
	v_min_u32_e32 v6, 32, v0
	s_delay_alu instid0(VALU_DEP_1) | instskip(NEXT) | instid1(VALU_DEP_1)
	v_subrev_nc_u32_e32 v0, 28, v6
	v_lshlrev_b64_e32 v[0:1], v0, v[4:5]
	s_delay_alu instid0(VALU_DEP_1)
	v_dual_sub_nc_u32 v1, 29, v6 :: v_dual_bitop2_b32 v0, 7, v0 bitop3:0x40
; %bb.1103:                             ;   in Loop: Header=BB302_10 Depth=1
	s_or_b32 exec_lo, exec_lo, s11
	v_lshlrev_b32_e32 v6, 8, v4
	s_delay_alu instid0(VALU_DEP_2) | instskip(NEXT) | instid1(VALU_DEP_3)
	v_lshl_add_u32 v1, v1, 10, 0x2000
	v_lshlrev_b32_e32 v0, 7, v0
	s_delay_alu instid0(VALU_DEP_3) | instskip(NEXT) | instid1(VALU_DEP_3)
	v_and_b32_e32 v6, 0x8000, v6
	v_and_b32_e32 v1, 0xfc00, v1
	s_delay_alu instid0(VALU_DEP_1)
	v_or3_b32 v0, v6, v1, v0
	scratch_store_b32 off, v0, s32 offset:568 ; 4-byte Folded Spill
.LBB302_1104:                           ;   in Loop: Header=BB302_10 Depth=1
	s_wait_xcnt 0x0
	s_or_b32 exec_lo, exec_lo, s8
.LBB302_1105:                           ;   in Loop: Header=BB302_10 Depth=1
	s_delay_alu instid0(SALU_CYCLE_1)
	s_or_b32 exec_lo, exec_lo, s7
.LBB302_1106:                           ;   in Loop: Header=BB302_10 Depth=1
	s_delay_alu instid0(SALU_CYCLE_1)
	s_or_b32 exec_lo, exec_lo, s6
	v_lshrrev_b16 v14, 8, v4
	v_dual_mov_b32 v0, 0 :: v_dual_mov_b32 v46, 0
	s_mov_b32 s6, exec_lo
	scratch_store_b32 off, v0, s32 offset:572 ; 4-byte Folded Spill
	s_wait_xcnt 0x0
	v_cmpx_ne_u16_e32 0, v14
	s_cbranch_execz .LBB302_1114
; %bb.1107:                             ;   in Loop: Header=BB302_10 Depth=1
	v_bfrev_b32_e32 v46, 1
	s_mov_b32 s7, exec_lo
	v_cmpx_ne_u16_e32 0x80, v14
	s_cbranch_execz .LBB302_1113
; %bb.1108:                             ;   in Loop: Header=BB302_10 Depth=1
	v_and_b32_e32 v0, 0xffff, v14
	v_mov_b32_e32 v46, 0x7c010000
	s_mov_b32 s8, exec_lo
	s_delay_alu instid0(VALU_DEP_2) | instskip(NEXT) | instid1(VALU_DEP_1)
	v_and_b32_e32 v7, 0x7f, v0
	v_cmpx_ne_u32_e32 0x7f, v7
	s_cbranch_execz .LBB302_1112
; %bb.1109:                             ;   in Loop: Header=BB302_10 Depth=1
	v_dual_lshrrev_b32 v6, 3, v7 :: v_dual_bitop2_b32 v1, 7, v0 bitop3:0x40
	s_mov_b32 s11, exec_lo
	v_cmpx_gt_u32_e32 8, v7
; %bb.1110:                             ;   in Loop: Header=BB302_10 Depth=1
	s_delay_alu instid0(VALU_DEP_2) | instskip(NEXT) | instid1(VALU_DEP_1)
	v_clz_i32_u32_e32 v1, v1
	v_min_u32_e32 v1, 32, v1
	s_delay_alu instid0(VALU_DEP_1) | instskip(NEXT) | instid1(VALU_DEP_1)
	v_subrev_nc_u32_e32 v6, 28, v1
	v_lshlrev_b64_e32 v[8:9], v6, v[14:15]
	s_delay_alu instid0(VALU_DEP_1)
	v_dual_sub_nc_u32 v6, 29, v1 :: v_dual_bitop2_b32 v1, 7, v8 bitop3:0x40
; %bb.1111:                             ;   in Loop: Header=BB302_10 Depth=1
	s_or_b32 exec_lo, exec_lo, s11
	s_delay_alu instid0(VALU_DEP_1) | instskip(NEXT) | instid1(VALU_DEP_2)
	v_dual_lshlrev_b32 v0, 8, v0 :: v_dual_lshlrev_b32 v1, 23, v1
	v_lshl_add_u32 v6, v6, 10, 0x2000
	s_delay_alu instid0(VALU_DEP_1) | instskip(NEXT) | instid1(VALU_DEP_1)
	v_and_or_b32 v0, 0x8000, v0, v6
	v_lshl_or_b32 v46, v0, 16, v1
.LBB302_1112:                           ;   in Loop: Header=BB302_10 Depth=1
	s_or_b32 exec_lo, exec_lo, s8
.LBB302_1113:                           ;   in Loop: Header=BB302_10 Depth=1
	s_delay_alu instid0(SALU_CYCLE_1)
	s_or_b32 exec_lo, exec_lo, s7
.LBB302_1114:                           ;   in Loop: Header=BB302_10 Depth=1
	s_delay_alu instid0(SALU_CYCLE_1) | instskip(SKIP_2) | instid1(VALU_DEP_1)
	s_or_b32 exec_lo, exec_lo, s6
	v_lshrrev_b32_e32 v8, 16, v4
	s_mov_b32 s6, exec_lo
	v_and_b32_e32 v0, 0xff, v8
	s_delay_alu instid0(VALU_DEP_1)
	v_cmpx_ne_u16_e32 0, v0
	s_cbranch_execz .LBB302_1122
; %bb.1115:                             ;   in Loop: Header=BB302_10 Depth=1
	v_cmp_ne_u16_e64 s1, 0x80, v0
	v_mov_b32_e32 v0, 0x8000
	scratch_store_b32 off, v0, s32 offset:572 ; 4-byte Folded Spill
	s_wait_xcnt 0x0
	s_and_saveexec_b32 s7, s1
	s_cbranch_execz .LBB302_1121
; %bb.1116:                             ;   in Loop: Header=BB302_10 Depth=1
	v_bfe_u32 v6, v4, 16, 7
	v_mov_b32_e32 v0, 0x7c01
	s_mov_b32 s8, exec_lo
	scratch_store_b32 off, v0, s32 offset:572 ; 4-byte Folded Spill
	s_wait_xcnt 0x0
	v_cmpx_ne_u32_e32 0x7f, v6
	s_cbranch_execz .LBB302_1120
; %bb.1117:                             ;   in Loop: Header=BB302_10 Depth=1
	v_dual_lshrrev_b32 v1, 3, v6 :: v_dual_bitop2_b32 v0, 7, v8 bitop3:0x40
	s_mov_b32 s11, exec_lo
	v_cmpx_gt_u32_e32 8, v6
; %bb.1118:                             ;   in Loop: Header=BB302_10 Depth=1
	s_delay_alu instid0(VALU_DEP_2) | instskip(NEXT) | instid1(VALU_DEP_1)
	v_clz_i32_u32_e32 v0, v0
	v_min_u32_e32 v6, 32, v0
	s_delay_alu instid0(VALU_DEP_1) | instskip(NEXT) | instid1(VALU_DEP_1)
	v_subrev_nc_u32_e32 v0, 28, v6
	v_lshlrev_b64_e32 v[0:1], v0, v[8:9]
	s_delay_alu instid0(VALU_DEP_1)
	v_dual_sub_nc_u32 v1, 29, v6 :: v_dual_bitop2_b32 v0, 7, v0 bitop3:0x40
; %bb.1119:                             ;   in Loop: Header=BB302_10 Depth=1
	s_or_b32 exec_lo, exec_lo, s11
	v_lshlrev_b32_e32 v6, 8, v8
	s_delay_alu instid0(VALU_DEP_2) | instskip(NEXT) | instid1(VALU_DEP_3)
	v_lshl_add_u32 v1, v1, 10, 0x2000
	v_lshlrev_b32_e32 v0, 7, v0
	s_delay_alu instid0(VALU_DEP_3) | instskip(NEXT) | instid1(VALU_DEP_3)
	v_and_b32_e32 v6, 0x8000, v6
	v_and_b32_e32 v1, 0xfc00, v1
	s_delay_alu instid0(VALU_DEP_1)
	v_or3_b32 v0, v6, v1, v0
	scratch_store_b32 off, v0, s32 offset:572 ; 4-byte Folded Spill
.LBB302_1120:                           ;   in Loop: Header=BB302_10 Depth=1
	s_wait_xcnt 0x0
	s_or_b32 exec_lo, exec_lo, s8
.LBB302_1121:                           ;   in Loop: Header=BB302_10 Depth=1
	s_delay_alu instid0(SALU_CYCLE_1)
	s_or_b32 exec_lo, exec_lo, s7
.LBB302_1122:                           ;   in Loop: Header=BB302_10 Depth=1
	s_delay_alu instid0(SALU_CYCLE_1)
	s_or_b32 exec_lo, exec_lo, s6
	v_dual_mov_b32 v0, 0 :: v_dual_mov_b32 v99, 0
	s_mov_b32 s6, exec_lo
	scratch_store_b32 off, v0, s32 offset:576 ; 4-byte Folded Spill
	s_wait_xcnt 0x0
	v_cmpx_lt_u32_e32 0xffffff, v4
	s_cbranch_execz .LBB302_1130
; %bb.1123:                             ;   in Loop: Header=BB302_10 Depth=1
	v_lshrrev_b32_e32 v14, 24, v4
	v_bfrev_b32_e32 v99, 1
	s_mov_b32 s7, exec_lo
	s_delay_alu instid0(VALU_DEP_2)
	v_cmpx_ne_u32_e32 0x80, v14
	s_cbranch_execz .LBB302_1129
; %bb.1124:                             ;   in Loop: Header=BB302_10 Depth=1
	v_and_b32_e32 v6, 0x7f, v14
	v_mov_b32_e32 v99, 0x7c010000
	s_mov_b32 s8, exec_lo
	s_delay_alu instid0(VALU_DEP_2)
	v_cmpx_ne_u32_e32 0x7f, v6
	s_cbranch_execz .LBB302_1128
; %bb.1125:                             ;   in Loop: Header=BB302_10 Depth=1
	v_and_b32_e32 v0, 7, v14
	v_lshrrev_b32_e32 v1, 3, v6
	s_mov_b32 s11, exec_lo
	v_cmpx_gt_u32_e32 8, v6
; %bb.1126:                             ;   in Loop: Header=BB302_10 Depth=1
	s_delay_alu instid0(VALU_DEP_3) | instskip(NEXT) | instid1(VALU_DEP_1)
	v_clz_i32_u32_e32 v0, v0
	v_min_u32_e32 v6, 32, v0
	s_delay_alu instid0(VALU_DEP_1) | instskip(NEXT) | instid1(VALU_DEP_1)
	v_subrev_nc_u32_e32 v0, 28, v6
	v_lshlrev_b64_e32 v[0:1], v0, v[14:15]
	s_delay_alu instid0(VALU_DEP_1)
	v_dual_sub_nc_u32 v1, 29, v6 :: v_dual_bitop2_b32 v0, 7, v0 bitop3:0x40
; %bb.1127:                             ;   in Loop: Header=BB302_10 Depth=1
	s_or_b32 exec_lo, exec_lo, s11
	s_delay_alu instid0(VALU_DEP_1) | instskip(NEXT) | instid1(VALU_DEP_2)
	v_dual_lshlrev_b32 v6, 8, v14 :: v_dual_lshlrev_b32 v0, 23, v0
	v_lshl_add_u32 v1, v1, 10, 0x2000
	s_delay_alu instid0(VALU_DEP_1) | instskip(NEXT) | instid1(VALU_DEP_1)
	v_and_or_b32 v1, 0x8000, v6, v1
	v_lshl_or_b32 v99, v1, 16, v0
.LBB302_1128:                           ;   in Loop: Header=BB302_10 Depth=1
	s_or_b32 exec_lo, exec_lo, s8
.LBB302_1129:                           ;   in Loop: Header=BB302_10 Depth=1
	s_delay_alu instid0(SALU_CYCLE_1)
	s_or_b32 exec_lo, exec_lo, s7
.LBB302_1130:                           ;   in Loop: Header=BB302_10 Depth=1
	s_delay_alu instid0(SALU_CYCLE_1) | instskip(SKIP_3) | instid1(VALU_DEP_2)
	s_or_b32 exec_lo, exec_lo, s6
	v_and_b32_e32 v0, 0xff, v5
	v_mov_b32_e32 v14, v5
	s_mov_b32 s6, exec_lo
	v_cmpx_ne_u16_e32 0, v0
	s_cbranch_execz .LBB302_1138
; %bb.1131:                             ;   in Loop: Header=BB302_10 Depth=1
	v_cmp_ne_u16_e64 s1, 0x80, v0
	v_mov_b32_e32 v0, 0x8000
	scratch_store_b32 off, v0, s32 offset:576 ; 4-byte Folded Spill
	s_wait_xcnt 0x0
	s_and_saveexec_b32 s7, s1
	s_cbranch_execz .LBB302_1137
; %bb.1132:                             ;   in Loop: Header=BB302_10 Depth=1
	v_and_b32_e32 v6, 0x7f, v5
	v_mov_b32_e32 v0, 0x7c01
	s_mov_b32 s8, exec_lo
	scratch_store_b32 off, v0, s32 offset:576 ; 4-byte Folded Spill
	s_wait_xcnt 0x0
	v_cmpx_ne_u32_e32 0x7f, v6
	s_cbranch_execz .LBB302_1136
; %bb.1133:                             ;   in Loop: Header=BB302_10 Depth=1
	v_dual_lshrrev_b32 v1, 3, v6 :: v_dual_bitop2_b32 v0, 7, v5 bitop3:0x40
	s_mov_b32 s11, exec_lo
	v_cmpx_gt_u32_e32 8, v6
; %bb.1134:                             ;   in Loop: Header=BB302_10 Depth=1
	s_delay_alu instid0(VALU_DEP_2) | instskip(NEXT) | instid1(VALU_DEP_1)
	v_clz_i32_u32_e32 v0, v0
	v_min_u32_e32 v6, 32, v0
	s_delay_alu instid0(VALU_DEP_1) | instskip(NEXT) | instid1(VALU_DEP_1)
	v_subrev_nc_u32_e32 v0, 28, v6
	v_lshlrev_b64_e32 v[0:1], v0, v[14:15]
	s_delay_alu instid0(VALU_DEP_1)
	v_dual_sub_nc_u32 v1, 29, v6 :: v_dual_bitop2_b32 v0, 7, v0 bitop3:0x40
; %bb.1135:                             ;   in Loop: Header=BB302_10 Depth=1
	s_or_b32 exec_lo, exec_lo, s11
	s_delay_alu instid0(VALU_DEP_1) | instskip(NEXT) | instid1(VALU_DEP_2)
	v_dual_lshlrev_b32 v6, 8, v5 :: v_dual_lshlrev_b32 v0, 7, v0
	v_lshl_add_u32 v1, v1, 10, 0x2000
	s_delay_alu instid0(VALU_DEP_2) | instskip(NEXT) | instid1(VALU_DEP_2)
	v_and_b32_e32 v6, 0x8000, v6
	v_and_b32_e32 v1, 0xfc00, v1
	s_delay_alu instid0(VALU_DEP_1)
	v_or3_b32 v0, v6, v1, v0
	scratch_store_b32 off, v0, s32 offset:576 ; 4-byte Folded Spill
.LBB302_1136:                           ;   in Loop: Header=BB302_10 Depth=1
	s_wait_xcnt 0x0
	s_or_b32 exec_lo, exec_lo, s8
.LBB302_1137:                           ;   in Loop: Header=BB302_10 Depth=1
	s_delay_alu instid0(SALU_CYCLE_1)
	s_or_b32 exec_lo, exec_lo, s7
.LBB302_1138:                           ;   in Loop: Header=BB302_10 Depth=1
	s_delay_alu instid0(SALU_CYCLE_1)
	s_or_b32 exec_lo, exec_lo, s6
	v_lshrrev_b16 v14, 8, v14
	v_dual_mov_b32 v0, 0 :: v_dual_mov_b32 v102, 0
	s_mov_b32 s6, exec_lo
	scratch_store_b32 off, v0, s32 offset:580 ; 4-byte Folded Spill
	s_wait_xcnt 0x0
	v_cmpx_ne_u16_e32 0, v14
	s_cbranch_execz .LBB302_1146
; %bb.1139:                             ;   in Loop: Header=BB302_10 Depth=1
	v_bfrev_b32_e32 v102, 1
	s_mov_b32 s7, exec_lo
	v_cmpx_ne_u16_e32 0x80, v14
	s_cbranch_execz .LBB302_1145
; %bb.1140:                             ;   in Loop: Header=BB302_10 Depth=1
	v_and_b32_e32 v0, 0xffff, v14
	v_mov_b32_e32 v102, 0x7c010000
	s_mov_b32 s8, exec_lo
	s_delay_alu instid0(VALU_DEP_2) | instskip(NEXT) | instid1(VALU_DEP_1)
	v_and_b32_e32 v7, 0x7f, v0
	v_cmpx_ne_u32_e32 0x7f, v7
	s_cbranch_execz .LBB302_1144
; %bb.1141:                             ;   in Loop: Header=BB302_10 Depth=1
	v_dual_lshrrev_b32 v6, 3, v7 :: v_dual_bitop2_b32 v1, 7, v0 bitop3:0x40
	s_mov_b32 s11, exec_lo
	v_cmpx_gt_u32_e32 8, v7
; %bb.1142:                             ;   in Loop: Header=BB302_10 Depth=1
	s_delay_alu instid0(VALU_DEP_2) | instskip(NEXT) | instid1(VALU_DEP_1)
	v_clz_i32_u32_e32 v1, v1
	v_min_u32_e32 v1, 32, v1
	s_delay_alu instid0(VALU_DEP_1) | instskip(NEXT) | instid1(VALU_DEP_1)
	v_subrev_nc_u32_e32 v6, 28, v1
	v_lshlrev_b64_e32 v[8:9], v6, v[14:15]
	s_delay_alu instid0(VALU_DEP_1)
	v_dual_sub_nc_u32 v6, 29, v1 :: v_dual_bitop2_b32 v1, 7, v8 bitop3:0x40
; %bb.1143:                             ;   in Loop: Header=BB302_10 Depth=1
	s_or_b32 exec_lo, exec_lo, s11
	s_delay_alu instid0(VALU_DEP_1) | instskip(NEXT) | instid1(VALU_DEP_2)
	v_dual_lshlrev_b32 v0, 8, v0 :: v_dual_lshlrev_b32 v1, 23, v1
	v_lshl_add_u32 v6, v6, 10, 0x2000
	s_delay_alu instid0(VALU_DEP_1) | instskip(NEXT) | instid1(VALU_DEP_1)
	v_and_or_b32 v0, 0x8000, v0, v6
	v_lshl_or_b32 v102, v0, 16, v1
.LBB302_1144:                           ;   in Loop: Header=BB302_10 Depth=1
	s_or_b32 exec_lo, exec_lo, s8
.LBB302_1145:                           ;   in Loop: Header=BB302_10 Depth=1
	s_delay_alu instid0(SALU_CYCLE_1)
	s_or_b32 exec_lo, exec_lo, s7
.LBB302_1146:                           ;   in Loop: Header=BB302_10 Depth=1
	s_delay_alu instid0(SALU_CYCLE_1) | instskip(SKIP_2) | instid1(VALU_DEP_1)
	s_or_b32 exec_lo, exec_lo, s6
	v_lshrrev_b32_e32 v8, 16, v5
	s_mov_b32 s6, exec_lo
	v_and_b32_e32 v0, 0xff, v8
	s_delay_alu instid0(VALU_DEP_1)
	v_cmpx_ne_u16_e32 0, v0
	s_cbranch_execz .LBB302_1154
; %bb.1147:                             ;   in Loop: Header=BB302_10 Depth=1
	v_cmp_ne_u16_e64 s1, 0x80, v0
	v_mov_b32_e32 v0, 0x8000
	scratch_store_b32 off, v0, s32 offset:580 ; 4-byte Folded Spill
	s_wait_xcnt 0x0
	s_and_saveexec_b32 s7, s1
	s_cbranch_execz .LBB302_1153
; %bb.1148:                             ;   in Loop: Header=BB302_10 Depth=1
	v_bfe_u32 v6, v5, 16, 7
	v_mov_b32_e32 v0, 0x7c01
	s_mov_b32 s8, exec_lo
	scratch_store_b32 off, v0, s32 offset:580 ; 4-byte Folded Spill
	s_wait_xcnt 0x0
	v_cmpx_ne_u32_e32 0x7f, v6
	s_cbranch_execz .LBB302_1152
; %bb.1149:                             ;   in Loop: Header=BB302_10 Depth=1
	v_dual_lshrrev_b32 v1, 3, v6 :: v_dual_bitop2_b32 v0, 7, v8 bitop3:0x40
	s_mov_b32 s11, exec_lo
	v_cmpx_gt_u32_e32 8, v6
; %bb.1150:                             ;   in Loop: Header=BB302_10 Depth=1
	s_delay_alu instid0(VALU_DEP_2) | instskip(NEXT) | instid1(VALU_DEP_1)
	v_clz_i32_u32_e32 v0, v0
	v_min_u32_e32 v6, 32, v0
	s_delay_alu instid0(VALU_DEP_1) | instskip(NEXT) | instid1(VALU_DEP_1)
	v_subrev_nc_u32_e32 v0, 28, v6
	v_lshlrev_b64_e32 v[0:1], v0, v[8:9]
	s_delay_alu instid0(VALU_DEP_1)
	v_dual_sub_nc_u32 v1, 29, v6 :: v_dual_bitop2_b32 v0, 7, v0 bitop3:0x40
; %bb.1151:                             ;   in Loop: Header=BB302_10 Depth=1
	s_or_b32 exec_lo, exec_lo, s11
	v_lshlrev_b32_e32 v6, 8, v8
	s_delay_alu instid0(VALU_DEP_2) | instskip(NEXT) | instid1(VALU_DEP_3)
	v_lshl_add_u32 v1, v1, 10, 0x2000
	v_lshlrev_b32_e32 v0, 7, v0
	s_delay_alu instid0(VALU_DEP_3) | instskip(NEXT) | instid1(VALU_DEP_3)
	v_and_b32_e32 v6, 0x8000, v6
	v_and_b32_e32 v1, 0xfc00, v1
	s_delay_alu instid0(VALU_DEP_1)
	v_or3_b32 v0, v6, v1, v0
	scratch_store_b32 off, v0, s32 offset:580 ; 4-byte Folded Spill
.LBB302_1152:                           ;   in Loop: Header=BB302_10 Depth=1
	s_wait_xcnt 0x0
	s_or_b32 exec_lo, exec_lo, s8
.LBB302_1153:                           ;   in Loop: Header=BB302_10 Depth=1
	s_delay_alu instid0(SALU_CYCLE_1)
	s_or_b32 exec_lo, exec_lo, s7
.LBB302_1154:                           ;   in Loop: Header=BB302_10 Depth=1
	s_delay_alu instid0(SALU_CYCLE_1)
	s_or_b32 exec_lo, exec_lo, s6
	v_dual_mov_b32 v0, 0 :: v_dual_mov_b32 v101, 0
	s_mov_b32 s6, exec_lo
	scratch_store_b32 off, v0, s32 offset:584 ; 4-byte Folded Spill
	s_wait_xcnt 0x0
	v_cmpx_lt_u64_e64 s[2:3], v[4:5]
	s_cbranch_execz .LBB302_1162
; %bb.1155:                             ;   in Loop: Header=BB302_10 Depth=1
	v_lshrrev_b32_e32 v14, 24, v5
	v_bfrev_b32_e32 v101, 1
	s_mov_b32 s7, exec_lo
	s_delay_alu instid0(VALU_DEP_2)
	v_cmpx_ne_u32_e32 0x80, v14
	s_cbranch_execz .LBB302_1161
; %bb.1156:                             ;   in Loop: Header=BB302_10 Depth=1
	v_and_b32_e32 v4, 0x7f, v14
	v_mov_b32_e32 v101, 0x7c010000
	s_mov_b32 s8, exec_lo
	s_delay_alu instid0(VALU_DEP_2)
	v_cmpx_ne_u32_e32 0x7f, v4
	s_cbranch_execz .LBB302_1160
; %bb.1157:                             ;   in Loop: Header=BB302_10 Depth=1
	v_dual_lshrrev_b32 v1, 3, v4 :: v_dual_bitop2_b32 v0, 7, v14 bitop3:0x40
	s_mov_b32 s11, exec_lo
	v_cmpx_gt_u32_e32 8, v4
; %bb.1158:                             ;   in Loop: Header=BB302_10 Depth=1
	s_delay_alu instid0(VALU_DEP_2) | instskip(NEXT) | instid1(VALU_DEP_1)
	v_clz_i32_u32_e32 v0, v0
	v_min_u32_e32 v4, 32, v0
	s_delay_alu instid0(VALU_DEP_1) | instskip(NEXT) | instid1(VALU_DEP_1)
	v_subrev_nc_u32_e32 v0, 28, v4
	v_lshlrev_b64_e32 v[0:1], v0, v[14:15]
	v_sub_nc_u32_e32 v1, 29, v4
	s_delay_alu instid0(VALU_DEP_2)
	v_and_b32_e32 v0, 7, v0
; %bb.1159:                             ;   in Loop: Header=BB302_10 Depth=1
	s_or_b32 exec_lo, exec_lo, s11
	s_delay_alu instid0(VALU_DEP_1) | instskip(NEXT) | instid1(VALU_DEP_3)
	v_dual_lshlrev_b32 v4, 8, v14 :: v_dual_lshlrev_b32 v0, 23, v0
	v_lshl_add_u32 v1, v1, 10, 0x2000
	s_delay_alu instid0(VALU_DEP_1) | instskip(NEXT) | instid1(VALU_DEP_1)
	v_and_or_b32 v1, 0x8000, v4, v1
	v_lshl_or_b32 v101, v1, 16, v0
.LBB302_1160:                           ;   in Loop: Header=BB302_10 Depth=1
	s_or_b32 exec_lo, exec_lo, s8
.LBB302_1161:                           ;   in Loop: Header=BB302_10 Depth=1
	s_delay_alu instid0(SALU_CYCLE_1)
	s_or_b32 exec_lo, exec_lo, s7
.LBB302_1162:                           ;   in Loop: Header=BB302_10 Depth=1
	s_delay_alu instid0(SALU_CYCLE_1)
	s_or_b32 exec_lo, exec_lo, s6
	flat_load_b64 v[4:5], v[2:3] offset:4608
	s_mov_b32 s6, exec_lo
	s_wait_loadcnt_dscnt 0x0
	v_and_b32_e32 v0, 0xff, v4
	s_wait_xcnt 0x0
	s_delay_alu instid0(VALU_DEP_1)
	v_cmpx_ne_u16_e32 0, v0
	s_cbranch_execz .LBB302_1170
; %bb.1163:                             ;   in Loop: Header=BB302_10 Depth=1
	v_cmp_ne_u16_e64 s1, 0x80, v0
	v_mov_b32_e32 v0, 0x8000
	scratch_store_b32 off, v0, s32 offset:584 ; 4-byte Folded Spill
	s_wait_xcnt 0x0
	s_and_saveexec_b32 s7, s1
	s_cbranch_execz .LBB302_1169
; %bb.1164:                             ;   in Loop: Header=BB302_10 Depth=1
	v_and_b32_e32 v6, 0x7f, v4
	v_mov_b32_e32 v0, 0x7c01
	s_mov_b32 s8, exec_lo
	scratch_store_b32 off, v0, s32 offset:584 ; 4-byte Folded Spill
	s_wait_xcnt 0x0
	v_cmpx_ne_u32_e32 0x7f, v6
	s_cbranch_execz .LBB302_1168
; %bb.1165:                             ;   in Loop: Header=BB302_10 Depth=1
	v_dual_lshrrev_b32 v1, 3, v6 :: v_dual_bitop2_b32 v0, 7, v4 bitop3:0x40
	s_mov_b32 s11, exec_lo
	v_cmpx_gt_u32_e32 8, v6
; %bb.1166:                             ;   in Loop: Header=BB302_10 Depth=1
	s_delay_alu instid0(VALU_DEP_2) | instskip(NEXT) | instid1(VALU_DEP_1)
	v_clz_i32_u32_e32 v0, v0
	v_min_u32_e32 v6, 32, v0
	s_delay_alu instid0(VALU_DEP_1) | instskip(NEXT) | instid1(VALU_DEP_1)
	v_subrev_nc_u32_e32 v0, 28, v6
	v_lshlrev_b64_e32 v[0:1], v0, v[4:5]
	s_delay_alu instid0(VALU_DEP_1)
	v_dual_sub_nc_u32 v1, 29, v6 :: v_dual_bitop2_b32 v0, 7, v0 bitop3:0x40
; %bb.1167:                             ;   in Loop: Header=BB302_10 Depth=1
	s_or_b32 exec_lo, exec_lo, s11
	v_lshlrev_b32_e32 v6, 8, v4
	s_delay_alu instid0(VALU_DEP_2) | instskip(NEXT) | instid1(VALU_DEP_3)
	v_lshl_add_u32 v1, v1, 10, 0x2000
	v_lshlrev_b32_e32 v0, 7, v0
	s_delay_alu instid0(VALU_DEP_3) | instskip(NEXT) | instid1(VALU_DEP_3)
	v_and_b32_e32 v6, 0x8000, v6
	v_and_b32_e32 v1, 0xfc00, v1
	s_delay_alu instid0(VALU_DEP_1)
	v_or3_b32 v0, v6, v1, v0
	scratch_store_b32 off, v0, s32 offset:584 ; 4-byte Folded Spill
.LBB302_1168:                           ;   in Loop: Header=BB302_10 Depth=1
	s_wait_xcnt 0x0
	s_or_b32 exec_lo, exec_lo, s8
.LBB302_1169:                           ;   in Loop: Header=BB302_10 Depth=1
	s_delay_alu instid0(SALU_CYCLE_1)
	s_or_b32 exec_lo, exec_lo, s7
.LBB302_1170:                           ;   in Loop: Header=BB302_10 Depth=1
	s_delay_alu instid0(SALU_CYCLE_1)
	s_or_b32 exec_lo, exec_lo, s6
	v_lshrrev_b16 v14, 8, v4
	v_dual_mov_b32 v0, 0 :: v_dual_mov_b32 v114, 0
	s_mov_b32 s6, exec_lo
	scratch_store_b32 off, v0, s32 offset:588 ; 4-byte Folded Spill
	s_wait_xcnt 0x0
	v_cmpx_ne_u16_e32 0, v14
	s_cbranch_execz .LBB302_1178
; %bb.1171:                             ;   in Loop: Header=BB302_10 Depth=1
	v_bfrev_b32_e32 v114, 1
	s_mov_b32 s7, exec_lo
	v_cmpx_ne_u16_e32 0x80, v14
	s_cbranch_execz .LBB302_1177
; %bb.1172:                             ;   in Loop: Header=BB302_10 Depth=1
	v_and_b32_e32 v0, 0xffff, v14
	v_mov_b32_e32 v114, 0x7c010000
	s_mov_b32 s8, exec_lo
	s_delay_alu instid0(VALU_DEP_2) | instskip(NEXT) | instid1(VALU_DEP_1)
	v_and_b32_e32 v7, 0x7f, v0
	v_cmpx_ne_u32_e32 0x7f, v7
	s_cbranch_execz .LBB302_1176
; %bb.1173:                             ;   in Loop: Header=BB302_10 Depth=1
	v_dual_lshrrev_b32 v6, 3, v7 :: v_dual_bitop2_b32 v1, 7, v0 bitop3:0x40
	s_mov_b32 s11, exec_lo
	v_cmpx_gt_u32_e32 8, v7
; %bb.1174:                             ;   in Loop: Header=BB302_10 Depth=1
	s_delay_alu instid0(VALU_DEP_2) | instskip(NEXT) | instid1(VALU_DEP_1)
	v_clz_i32_u32_e32 v1, v1
	v_min_u32_e32 v1, 32, v1
	s_delay_alu instid0(VALU_DEP_1) | instskip(NEXT) | instid1(VALU_DEP_1)
	v_subrev_nc_u32_e32 v6, 28, v1
	v_lshlrev_b64_e32 v[8:9], v6, v[14:15]
	s_delay_alu instid0(VALU_DEP_1)
	v_dual_sub_nc_u32 v6, 29, v1 :: v_dual_bitop2_b32 v1, 7, v8 bitop3:0x40
; %bb.1175:                             ;   in Loop: Header=BB302_10 Depth=1
	s_or_b32 exec_lo, exec_lo, s11
	s_delay_alu instid0(VALU_DEP_1) | instskip(NEXT) | instid1(VALU_DEP_2)
	v_dual_lshlrev_b32 v0, 8, v0 :: v_dual_lshlrev_b32 v1, 23, v1
	v_lshl_add_u32 v6, v6, 10, 0x2000
	s_delay_alu instid0(VALU_DEP_1) | instskip(NEXT) | instid1(VALU_DEP_1)
	v_and_or_b32 v0, 0x8000, v0, v6
	v_lshl_or_b32 v114, v0, 16, v1
.LBB302_1176:                           ;   in Loop: Header=BB302_10 Depth=1
	s_or_b32 exec_lo, exec_lo, s8
.LBB302_1177:                           ;   in Loop: Header=BB302_10 Depth=1
	s_delay_alu instid0(SALU_CYCLE_1)
	s_or_b32 exec_lo, exec_lo, s7
.LBB302_1178:                           ;   in Loop: Header=BB302_10 Depth=1
	s_delay_alu instid0(SALU_CYCLE_1) | instskip(SKIP_2) | instid1(VALU_DEP_1)
	s_or_b32 exec_lo, exec_lo, s6
	v_lshrrev_b32_e32 v8, 16, v4
	s_mov_b32 s6, exec_lo
	v_and_b32_e32 v0, 0xff, v8
	s_delay_alu instid0(VALU_DEP_1)
	v_cmpx_ne_u16_e32 0, v0
	s_cbranch_execz .LBB302_1186
; %bb.1179:                             ;   in Loop: Header=BB302_10 Depth=1
	v_cmp_ne_u16_e64 s1, 0x80, v0
	v_mov_b32_e32 v0, 0x8000
	scratch_store_b32 off, v0, s32 offset:588 ; 4-byte Folded Spill
	s_wait_xcnt 0x0
	s_and_saveexec_b32 s7, s1
	s_cbranch_execz .LBB302_1185
; %bb.1180:                             ;   in Loop: Header=BB302_10 Depth=1
	v_bfe_u32 v6, v4, 16, 7
	v_mov_b32_e32 v0, 0x7c01
	s_mov_b32 s8, exec_lo
	scratch_store_b32 off, v0, s32 offset:588 ; 4-byte Folded Spill
	s_wait_xcnt 0x0
	v_cmpx_ne_u32_e32 0x7f, v6
	s_cbranch_execz .LBB302_1184
; %bb.1181:                             ;   in Loop: Header=BB302_10 Depth=1
	v_dual_lshrrev_b32 v1, 3, v6 :: v_dual_bitop2_b32 v0, 7, v8 bitop3:0x40
	s_mov_b32 s11, exec_lo
	v_cmpx_gt_u32_e32 8, v6
; %bb.1182:                             ;   in Loop: Header=BB302_10 Depth=1
	s_delay_alu instid0(VALU_DEP_2) | instskip(NEXT) | instid1(VALU_DEP_1)
	v_clz_i32_u32_e32 v0, v0
	v_min_u32_e32 v6, 32, v0
	s_delay_alu instid0(VALU_DEP_1) | instskip(NEXT) | instid1(VALU_DEP_1)
	v_subrev_nc_u32_e32 v0, 28, v6
	v_lshlrev_b64_e32 v[0:1], v0, v[8:9]
	s_delay_alu instid0(VALU_DEP_1)
	v_dual_sub_nc_u32 v1, 29, v6 :: v_dual_bitop2_b32 v0, 7, v0 bitop3:0x40
; %bb.1183:                             ;   in Loop: Header=BB302_10 Depth=1
	s_or_b32 exec_lo, exec_lo, s11
	v_lshlrev_b32_e32 v6, 8, v8
	s_delay_alu instid0(VALU_DEP_2) | instskip(NEXT) | instid1(VALU_DEP_3)
	v_lshl_add_u32 v1, v1, 10, 0x2000
	v_lshlrev_b32_e32 v0, 7, v0
	s_delay_alu instid0(VALU_DEP_3) | instskip(NEXT) | instid1(VALU_DEP_3)
	v_and_b32_e32 v6, 0x8000, v6
	v_and_b32_e32 v1, 0xfc00, v1
	s_delay_alu instid0(VALU_DEP_1)
	v_or3_b32 v0, v6, v1, v0
	scratch_store_b32 off, v0, s32 offset:588 ; 4-byte Folded Spill
.LBB302_1184:                           ;   in Loop: Header=BB302_10 Depth=1
	s_wait_xcnt 0x0
	s_or_b32 exec_lo, exec_lo, s8
.LBB302_1185:                           ;   in Loop: Header=BB302_10 Depth=1
	s_delay_alu instid0(SALU_CYCLE_1)
	s_or_b32 exec_lo, exec_lo, s7
.LBB302_1186:                           ;   in Loop: Header=BB302_10 Depth=1
	s_delay_alu instid0(SALU_CYCLE_1)
	s_or_b32 exec_lo, exec_lo, s6
	v_dual_mov_b32 v0, 0 :: v_dual_mov_b32 v96, 0
	s_mov_b32 s6, exec_lo
	scratch_store_b32 off, v0, s32 offset:592 ; 4-byte Folded Spill
	s_wait_xcnt 0x0
	v_cmpx_lt_u32_e32 0xffffff, v4
	s_cbranch_execz .LBB302_1194
; %bb.1187:                             ;   in Loop: Header=BB302_10 Depth=1
	v_lshrrev_b32_e32 v14, 24, v4
	v_bfrev_b32_e32 v96, 1
	s_mov_b32 s7, exec_lo
	s_delay_alu instid0(VALU_DEP_2)
	v_cmpx_ne_u32_e32 0x80, v14
	s_cbranch_execz .LBB302_1193
; %bb.1188:                             ;   in Loop: Header=BB302_10 Depth=1
	v_and_b32_e32 v6, 0x7f, v14
	v_mov_b32_e32 v96, 0x7c010000
	s_mov_b32 s8, exec_lo
	s_delay_alu instid0(VALU_DEP_2)
	v_cmpx_ne_u32_e32 0x7f, v6
	s_cbranch_execz .LBB302_1192
; %bb.1189:                             ;   in Loop: Header=BB302_10 Depth=1
	v_and_b32_e32 v0, 7, v14
	v_lshrrev_b32_e32 v1, 3, v6
	s_mov_b32 s11, exec_lo
	v_cmpx_gt_u32_e32 8, v6
; %bb.1190:                             ;   in Loop: Header=BB302_10 Depth=1
	s_delay_alu instid0(VALU_DEP_3) | instskip(NEXT) | instid1(VALU_DEP_1)
	v_clz_i32_u32_e32 v0, v0
	v_min_u32_e32 v6, 32, v0
	s_delay_alu instid0(VALU_DEP_1) | instskip(NEXT) | instid1(VALU_DEP_1)
	v_subrev_nc_u32_e32 v0, 28, v6
	v_lshlrev_b64_e32 v[0:1], v0, v[14:15]
	s_delay_alu instid0(VALU_DEP_1)
	v_dual_sub_nc_u32 v1, 29, v6 :: v_dual_bitop2_b32 v0, 7, v0 bitop3:0x40
; %bb.1191:                             ;   in Loop: Header=BB302_10 Depth=1
	s_or_b32 exec_lo, exec_lo, s11
	s_delay_alu instid0(VALU_DEP_1) | instskip(NEXT) | instid1(VALU_DEP_2)
	v_dual_lshlrev_b32 v6, 8, v14 :: v_dual_lshlrev_b32 v0, 23, v0
	v_lshl_add_u32 v1, v1, 10, 0x2000
	s_delay_alu instid0(VALU_DEP_1) | instskip(NEXT) | instid1(VALU_DEP_1)
	v_and_or_b32 v1, 0x8000, v6, v1
	v_lshl_or_b32 v96, v1, 16, v0
.LBB302_1192:                           ;   in Loop: Header=BB302_10 Depth=1
	s_or_b32 exec_lo, exec_lo, s8
.LBB302_1193:                           ;   in Loop: Header=BB302_10 Depth=1
	s_delay_alu instid0(SALU_CYCLE_1)
	s_or_b32 exec_lo, exec_lo, s7
.LBB302_1194:                           ;   in Loop: Header=BB302_10 Depth=1
	s_delay_alu instid0(SALU_CYCLE_1) | instskip(SKIP_3) | instid1(VALU_DEP_2)
	s_or_b32 exec_lo, exec_lo, s6
	v_and_b32_e32 v0, 0xff, v5
	v_mov_b32_e32 v14, v5
	s_mov_b32 s6, exec_lo
	v_cmpx_ne_u16_e32 0, v0
	s_cbranch_execz .LBB302_1202
; %bb.1195:                             ;   in Loop: Header=BB302_10 Depth=1
	v_cmp_ne_u16_e64 s1, 0x80, v0
	v_mov_b32_e32 v0, 0x8000
	scratch_store_b32 off, v0, s32 offset:592 ; 4-byte Folded Spill
	s_wait_xcnt 0x0
	s_and_saveexec_b32 s7, s1
	s_cbranch_execz .LBB302_1201
; %bb.1196:                             ;   in Loop: Header=BB302_10 Depth=1
	v_and_b32_e32 v6, 0x7f, v5
	v_mov_b32_e32 v0, 0x7c01
	s_mov_b32 s8, exec_lo
	scratch_store_b32 off, v0, s32 offset:592 ; 4-byte Folded Spill
	s_wait_xcnt 0x0
	v_cmpx_ne_u32_e32 0x7f, v6
	s_cbranch_execz .LBB302_1200
; %bb.1197:                             ;   in Loop: Header=BB302_10 Depth=1
	v_dual_lshrrev_b32 v1, 3, v6 :: v_dual_bitop2_b32 v0, 7, v5 bitop3:0x40
	s_mov_b32 s11, exec_lo
	v_cmpx_gt_u32_e32 8, v6
; %bb.1198:                             ;   in Loop: Header=BB302_10 Depth=1
	s_delay_alu instid0(VALU_DEP_2) | instskip(NEXT) | instid1(VALU_DEP_1)
	v_clz_i32_u32_e32 v0, v0
	v_min_u32_e32 v6, 32, v0
	s_delay_alu instid0(VALU_DEP_1) | instskip(NEXT) | instid1(VALU_DEP_1)
	v_subrev_nc_u32_e32 v0, 28, v6
	v_lshlrev_b64_e32 v[0:1], v0, v[14:15]
	s_delay_alu instid0(VALU_DEP_1)
	v_dual_sub_nc_u32 v1, 29, v6 :: v_dual_bitop2_b32 v0, 7, v0 bitop3:0x40
; %bb.1199:                             ;   in Loop: Header=BB302_10 Depth=1
	s_or_b32 exec_lo, exec_lo, s11
	s_delay_alu instid0(VALU_DEP_1) | instskip(NEXT) | instid1(VALU_DEP_2)
	v_dual_lshlrev_b32 v6, 8, v5 :: v_dual_lshlrev_b32 v0, 7, v0
	v_lshl_add_u32 v1, v1, 10, 0x2000
	s_delay_alu instid0(VALU_DEP_2) | instskip(NEXT) | instid1(VALU_DEP_2)
	v_and_b32_e32 v6, 0x8000, v6
	v_and_b32_e32 v1, 0xfc00, v1
	s_delay_alu instid0(VALU_DEP_1)
	v_or3_b32 v0, v6, v1, v0
	scratch_store_b32 off, v0, s32 offset:592 ; 4-byte Folded Spill
.LBB302_1200:                           ;   in Loop: Header=BB302_10 Depth=1
	s_wait_xcnt 0x0
	s_or_b32 exec_lo, exec_lo, s8
.LBB302_1201:                           ;   in Loop: Header=BB302_10 Depth=1
	s_delay_alu instid0(SALU_CYCLE_1)
	s_or_b32 exec_lo, exec_lo, s7
.LBB302_1202:                           ;   in Loop: Header=BB302_10 Depth=1
	s_delay_alu instid0(SALU_CYCLE_1)
	s_or_b32 exec_lo, exec_lo, s6
	v_lshrrev_b16 v14, 8, v14
	v_dual_mov_b32 v0, 0 :: v_dual_mov_b32 v117, 0
	s_mov_b32 s6, exec_lo
	scratch_store_b32 off, v0, s32 offset:596 ; 4-byte Folded Spill
	s_wait_xcnt 0x0
	v_cmpx_ne_u16_e32 0, v14
	s_cbranch_execz .LBB302_1210
; %bb.1203:                             ;   in Loop: Header=BB302_10 Depth=1
	v_bfrev_b32_e32 v117, 1
	s_mov_b32 s7, exec_lo
	v_cmpx_ne_u16_e32 0x80, v14
	s_cbranch_execz .LBB302_1209
; %bb.1204:                             ;   in Loop: Header=BB302_10 Depth=1
	v_and_b32_e32 v0, 0xffff, v14
	v_mov_b32_e32 v117, 0x7c010000
	s_mov_b32 s8, exec_lo
	s_delay_alu instid0(VALU_DEP_2) | instskip(NEXT) | instid1(VALU_DEP_1)
	v_and_b32_e32 v7, 0x7f, v0
	v_cmpx_ne_u32_e32 0x7f, v7
	s_cbranch_execz .LBB302_1208
; %bb.1205:                             ;   in Loop: Header=BB302_10 Depth=1
	v_dual_lshrrev_b32 v6, 3, v7 :: v_dual_bitop2_b32 v1, 7, v0 bitop3:0x40
	s_mov_b32 s11, exec_lo
	v_cmpx_gt_u32_e32 8, v7
; %bb.1206:                             ;   in Loop: Header=BB302_10 Depth=1
	s_delay_alu instid0(VALU_DEP_2) | instskip(NEXT) | instid1(VALU_DEP_1)
	v_clz_i32_u32_e32 v1, v1
	v_min_u32_e32 v1, 32, v1
	s_delay_alu instid0(VALU_DEP_1) | instskip(NEXT) | instid1(VALU_DEP_1)
	v_subrev_nc_u32_e32 v6, 28, v1
	v_lshlrev_b64_e32 v[8:9], v6, v[14:15]
	s_delay_alu instid0(VALU_DEP_1)
	v_dual_sub_nc_u32 v6, 29, v1 :: v_dual_bitop2_b32 v1, 7, v8 bitop3:0x40
; %bb.1207:                             ;   in Loop: Header=BB302_10 Depth=1
	s_or_b32 exec_lo, exec_lo, s11
	s_delay_alu instid0(VALU_DEP_1) | instskip(NEXT) | instid1(VALU_DEP_2)
	v_dual_lshlrev_b32 v0, 8, v0 :: v_dual_lshlrev_b32 v1, 23, v1
	v_lshl_add_u32 v6, v6, 10, 0x2000
	s_delay_alu instid0(VALU_DEP_1) | instskip(NEXT) | instid1(VALU_DEP_1)
	v_and_or_b32 v0, 0x8000, v0, v6
	v_lshl_or_b32 v117, v0, 16, v1
.LBB302_1208:                           ;   in Loop: Header=BB302_10 Depth=1
	s_or_b32 exec_lo, exec_lo, s8
.LBB302_1209:                           ;   in Loop: Header=BB302_10 Depth=1
	s_delay_alu instid0(SALU_CYCLE_1)
	s_or_b32 exec_lo, exec_lo, s7
.LBB302_1210:                           ;   in Loop: Header=BB302_10 Depth=1
	s_delay_alu instid0(SALU_CYCLE_1) | instskip(SKIP_2) | instid1(VALU_DEP_1)
	s_or_b32 exec_lo, exec_lo, s6
	v_lshrrev_b32_e32 v8, 16, v5
	s_mov_b32 s6, exec_lo
	v_and_b32_e32 v0, 0xff, v8
	s_delay_alu instid0(VALU_DEP_1)
	v_cmpx_ne_u16_e32 0, v0
	s_cbranch_execz .LBB302_1218
; %bb.1211:                             ;   in Loop: Header=BB302_10 Depth=1
	v_cmp_ne_u16_e64 s1, 0x80, v0
	v_mov_b32_e32 v0, 0x8000
	scratch_store_b32 off, v0, s32 offset:596 ; 4-byte Folded Spill
	s_wait_xcnt 0x0
	s_and_saveexec_b32 s7, s1
	s_cbranch_execz .LBB302_1217
; %bb.1212:                             ;   in Loop: Header=BB302_10 Depth=1
	v_bfe_u32 v6, v5, 16, 7
	v_mov_b32_e32 v0, 0x7c01
	s_mov_b32 s8, exec_lo
	scratch_store_b32 off, v0, s32 offset:596 ; 4-byte Folded Spill
	s_wait_xcnt 0x0
	v_cmpx_ne_u32_e32 0x7f, v6
	s_cbranch_execz .LBB302_1216
; %bb.1213:                             ;   in Loop: Header=BB302_10 Depth=1
	v_dual_lshrrev_b32 v1, 3, v6 :: v_dual_bitop2_b32 v0, 7, v8 bitop3:0x40
	s_mov_b32 s11, exec_lo
	v_cmpx_gt_u32_e32 8, v6
; %bb.1214:                             ;   in Loop: Header=BB302_10 Depth=1
	s_delay_alu instid0(VALU_DEP_2) | instskip(NEXT) | instid1(VALU_DEP_1)
	v_clz_i32_u32_e32 v0, v0
	v_min_u32_e32 v6, 32, v0
	s_delay_alu instid0(VALU_DEP_1) | instskip(NEXT) | instid1(VALU_DEP_1)
	v_subrev_nc_u32_e32 v0, 28, v6
	v_lshlrev_b64_e32 v[0:1], v0, v[8:9]
	s_delay_alu instid0(VALU_DEP_1)
	v_dual_sub_nc_u32 v1, 29, v6 :: v_dual_bitop2_b32 v0, 7, v0 bitop3:0x40
; %bb.1215:                             ;   in Loop: Header=BB302_10 Depth=1
	s_or_b32 exec_lo, exec_lo, s11
	v_lshlrev_b32_e32 v6, 8, v8
	s_delay_alu instid0(VALU_DEP_2) | instskip(NEXT) | instid1(VALU_DEP_3)
	v_lshl_add_u32 v1, v1, 10, 0x2000
	v_lshlrev_b32_e32 v0, 7, v0
	s_delay_alu instid0(VALU_DEP_3) | instskip(NEXT) | instid1(VALU_DEP_3)
	v_and_b32_e32 v6, 0x8000, v6
	v_and_b32_e32 v1, 0xfc00, v1
	s_delay_alu instid0(VALU_DEP_1)
	v_or3_b32 v0, v6, v1, v0
	scratch_store_b32 off, v0, s32 offset:596 ; 4-byte Folded Spill
.LBB302_1216:                           ;   in Loop: Header=BB302_10 Depth=1
	s_wait_xcnt 0x0
	s_or_b32 exec_lo, exec_lo, s8
.LBB302_1217:                           ;   in Loop: Header=BB302_10 Depth=1
	s_delay_alu instid0(SALU_CYCLE_1)
	s_or_b32 exec_lo, exec_lo, s7
.LBB302_1218:                           ;   in Loop: Header=BB302_10 Depth=1
	s_delay_alu instid0(SALU_CYCLE_1)
	s_or_b32 exec_lo, exec_lo, s6
	v_dual_mov_b32 v0, 0 :: v_dual_mov_b32 v94, 0
	s_mov_b32 s6, exec_lo
	scratch_store_b32 off, v0, s32 offset:600 ; 4-byte Folded Spill
	s_wait_xcnt 0x0
	v_cmpx_lt_u64_e64 s[2:3], v[4:5]
	s_cbranch_execz .LBB302_1226
; %bb.1219:                             ;   in Loop: Header=BB302_10 Depth=1
	v_lshrrev_b32_e32 v14, 24, v5
	v_bfrev_b32_e32 v94, 1
	s_mov_b32 s7, exec_lo
	s_delay_alu instid0(VALU_DEP_2)
	v_cmpx_ne_u32_e32 0x80, v14
	s_cbranch_execz .LBB302_1225
; %bb.1220:                             ;   in Loop: Header=BB302_10 Depth=1
	v_and_b32_e32 v4, 0x7f, v14
	v_mov_b32_e32 v94, 0x7c010000
	s_mov_b32 s8, exec_lo
	s_delay_alu instid0(VALU_DEP_2)
	v_cmpx_ne_u32_e32 0x7f, v4
	s_cbranch_execz .LBB302_1224
; %bb.1221:                             ;   in Loop: Header=BB302_10 Depth=1
	v_dual_lshrrev_b32 v1, 3, v4 :: v_dual_bitop2_b32 v0, 7, v14 bitop3:0x40
	s_mov_b32 s11, exec_lo
	v_cmpx_gt_u32_e32 8, v4
; %bb.1222:                             ;   in Loop: Header=BB302_10 Depth=1
	s_delay_alu instid0(VALU_DEP_2) | instskip(NEXT) | instid1(VALU_DEP_1)
	v_clz_i32_u32_e32 v0, v0
	v_min_u32_e32 v4, 32, v0
	s_delay_alu instid0(VALU_DEP_1) | instskip(NEXT) | instid1(VALU_DEP_1)
	v_subrev_nc_u32_e32 v0, 28, v4
	v_lshlrev_b64_e32 v[0:1], v0, v[14:15]
	v_sub_nc_u32_e32 v1, 29, v4
	s_delay_alu instid0(VALU_DEP_2)
	v_and_b32_e32 v0, 7, v0
; %bb.1223:                             ;   in Loop: Header=BB302_10 Depth=1
	s_or_b32 exec_lo, exec_lo, s11
	s_delay_alu instid0(VALU_DEP_1) | instskip(NEXT) | instid1(VALU_DEP_3)
	v_dual_lshlrev_b32 v4, 8, v14 :: v_dual_lshlrev_b32 v0, 23, v0
	v_lshl_add_u32 v1, v1, 10, 0x2000
	s_delay_alu instid0(VALU_DEP_1) | instskip(NEXT) | instid1(VALU_DEP_1)
	v_and_or_b32 v1, 0x8000, v4, v1
	v_lshl_or_b32 v94, v1, 16, v0
.LBB302_1224:                           ;   in Loop: Header=BB302_10 Depth=1
	s_or_b32 exec_lo, exec_lo, s8
.LBB302_1225:                           ;   in Loop: Header=BB302_10 Depth=1
	s_delay_alu instid0(SALU_CYCLE_1)
	s_or_b32 exec_lo, exec_lo, s7
.LBB302_1226:                           ;   in Loop: Header=BB302_10 Depth=1
	s_delay_alu instid0(SALU_CYCLE_1)
	s_or_b32 exec_lo, exec_lo, s6
	flat_load_b64 v[4:5], v[2:3] offset:4616
	s_mov_b32 s6, exec_lo
	s_wait_loadcnt_dscnt 0x0
	v_and_b32_e32 v0, 0xff, v4
	s_wait_xcnt 0x0
	s_delay_alu instid0(VALU_DEP_1)
	v_cmpx_ne_u16_e32 0, v0
	s_cbranch_execz .LBB302_1234
; %bb.1227:                             ;   in Loop: Header=BB302_10 Depth=1
	v_cmp_ne_u16_e64 s1, 0x80, v0
	v_mov_b32_e32 v0, 0x8000
	scratch_store_b32 off, v0, s32 offset:600 ; 4-byte Folded Spill
	s_wait_xcnt 0x0
	s_and_saveexec_b32 s7, s1
	s_cbranch_execz .LBB302_1233
; %bb.1228:                             ;   in Loop: Header=BB302_10 Depth=1
	v_and_b32_e32 v6, 0x7f, v4
	v_mov_b32_e32 v0, 0x7c01
	s_mov_b32 s8, exec_lo
	scratch_store_b32 off, v0, s32 offset:600 ; 4-byte Folded Spill
	s_wait_xcnt 0x0
	v_cmpx_ne_u32_e32 0x7f, v6
	s_cbranch_execz .LBB302_1232
; %bb.1229:                             ;   in Loop: Header=BB302_10 Depth=1
	v_dual_lshrrev_b32 v1, 3, v6 :: v_dual_bitop2_b32 v0, 7, v4 bitop3:0x40
	s_mov_b32 s11, exec_lo
	v_cmpx_gt_u32_e32 8, v6
; %bb.1230:                             ;   in Loop: Header=BB302_10 Depth=1
	s_delay_alu instid0(VALU_DEP_2) | instskip(NEXT) | instid1(VALU_DEP_1)
	v_clz_i32_u32_e32 v0, v0
	v_min_u32_e32 v6, 32, v0
	s_delay_alu instid0(VALU_DEP_1) | instskip(NEXT) | instid1(VALU_DEP_1)
	v_subrev_nc_u32_e32 v0, 28, v6
	v_lshlrev_b64_e32 v[0:1], v0, v[4:5]
	s_delay_alu instid0(VALU_DEP_1)
	v_dual_sub_nc_u32 v1, 29, v6 :: v_dual_bitop2_b32 v0, 7, v0 bitop3:0x40
; %bb.1231:                             ;   in Loop: Header=BB302_10 Depth=1
	s_or_b32 exec_lo, exec_lo, s11
	v_lshlrev_b32_e32 v6, 8, v4
	s_delay_alu instid0(VALU_DEP_2) | instskip(NEXT) | instid1(VALU_DEP_3)
	v_lshl_add_u32 v1, v1, 10, 0x2000
	v_lshlrev_b32_e32 v0, 7, v0
	s_delay_alu instid0(VALU_DEP_3) | instskip(NEXT) | instid1(VALU_DEP_3)
	v_and_b32_e32 v6, 0x8000, v6
	v_and_b32_e32 v1, 0xfc00, v1
	s_delay_alu instid0(VALU_DEP_1)
	v_or3_b32 v0, v6, v1, v0
	scratch_store_b32 off, v0, s32 offset:600 ; 4-byte Folded Spill
.LBB302_1232:                           ;   in Loop: Header=BB302_10 Depth=1
	s_wait_xcnt 0x0
	s_or_b32 exec_lo, exec_lo, s8
.LBB302_1233:                           ;   in Loop: Header=BB302_10 Depth=1
	s_delay_alu instid0(SALU_CYCLE_1)
	s_or_b32 exec_lo, exec_lo, s7
.LBB302_1234:                           ;   in Loop: Header=BB302_10 Depth=1
	s_delay_alu instid0(SALU_CYCLE_1)
	s_or_b32 exec_lo, exec_lo, s6
	v_lshrrev_b16 v14, 8, v4
	v_dual_mov_b32 v0, 0 :: v_dual_mov_b32 v86, 0
	s_mov_b32 s6, exec_lo
	scratch_store_b32 off, v0, s32 offset:604 ; 4-byte Folded Spill
	s_wait_xcnt 0x0
	v_cmpx_ne_u16_e32 0, v14
	s_cbranch_execz .LBB302_1242
; %bb.1235:                             ;   in Loop: Header=BB302_10 Depth=1
	v_bfrev_b32_e32 v86, 1
	s_mov_b32 s7, exec_lo
	v_cmpx_ne_u16_e32 0x80, v14
	s_cbranch_execz .LBB302_1241
; %bb.1236:                             ;   in Loop: Header=BB302_10 Depth=1
	v_and_b32_e32 v0, 0xffff, v14
	v_mov_b32_e32 v86, 0x7c010000
	s_mov_b32 s8, exec_lo
	s_delay_alu instid0(VALU_DEP_2) | instskip(NEXT) | instid1(VALU_DEP_1)
	v_and_b32_e32 v7, 0x7f, v0
	v_cmpx_ne_u32_e32 0x7f, v7
	s_cbranch_execz .LBB302_1240
; %bb.1237:                             ;   in Loop: Header=BB302_10 Depth=1
	v_dual_lshrrev_b32 v6, 3, v7 :: v_dual_bitop2_b32 v1, 7, v0 bitop3:0x40
	s_mov_b32 s11, exec_lo
	v_cmpx_gt_u32_e32 8, v7
; %bb.1238:                             ;   in Loop: Header=BB302_10 Depth=1
	s_delay_alu instid0(VALU_DEP_2) | instskip(NEXT) | instid1(VALU_DEP_1)
	v_clz_i32_u32_e32 v1, v1
	v_min_u32_e32 v1, 32, v1
	s_delay_alu instid0(VALU_DEP_1) | instskip(NEXT) | instid1(VALU_DEP_1)
	v_subrev_nc_u32_e32 v6, 28, v1
	v_lshlrev_b64_e32 v[8:9], v6, v[14:15]
	s_delay_alu instid0(VALU_DEP_1)
	v_dual_sub_nc_u32 v6, 29, v1 :: v_dual_bitop2_b32 v1, 7, v8 bitop3:0x40
; %bb.1239:                             ;   in Loop: Header=BB302_10 Depth=1
	s_or_b32 exec_lo, exec_lo, s11
	s_delay_alu instid0(VALU_DEP_1) | instskip(NEXT) | instid1(VALU_DEP_2)
	v_dual_lshlrev_b32 v0, 8, v0 :: v_dual_lshlrev_b32 v1, 23, v1
	v_lshl_add_u32 v6, v6, 10, 0x2000
	s_delay_alu instid0(VALU_DEP_1) | instskip(NEXT) | instid1(VALU_DEP_1)
	v_and_or_b32 v0, 0x8000, v0, v6
	v_lshl_or_b32 v86, v0, 16, v1
.LBB302_1240:                           ;   in Loop: Header=BB302_10 Depth=1
	s_or_b32 exec_lo, exec_lo, s8
.LBB302_1241:                           ;   in Loop: Header=BB302_10 Depth=1
	s_delay_alu instid0(SALU_CYCLE_1)
	s_or_b32 exec_lo, exec_lo, s7
.LBB302_1242:                           ;   in Loop: Header=BB302_10 Depth=1
	s_delay_alu instid0(SALU_CYCLE_1) | instskip(SKIP_2) | instid1(VALU_DEP_1)
	s_or_b32 exec_lo, exec_lo, s6
	v_lshrrev_b32_e32 v8, 16, v4
	s_mov_b32 s6, exec_lo
	v_and_b32_e32 v0, 0xff, v8
	s_delay_alu instid0(VALU_DEP_1)
	v_cmpx_ne_u16_e32 0, v0
	s_cbranch_execz .LBB302_1250
; %bb.1243:                             ;   in Loop: Header=BB302_10 Depth=1
	v_cmp_ne_u16_e64 s1, 0x80, v0
	v_mov_b32_e32 v0, 0x8000
	scratch_store_b32 off, v0, s32 offset:604 ; 4-byte Folded Spill
	s_wait_xcnt 0x0
	s_and_saveexec_b32 s7, s1
	s_cbranch_execz .LBB302_1249
; %bb.1244:                             ;   in Loop: Header=BB302_10 Depth=1
	v_bfe_u32 v6, v4, 16, 7
	v_mov_b32_e32 v0, 0x7c01
	s_mov_b32 s8, exec_lo
	scratch_store_b32 off, v0, s32 offset:604 ; 4-byte Folded Spill
	s_wait_xcnt 0x0
	v_cmpx_ne_u32_e32 0x7f, v6
	s_cbranch_execz .LBB302_1248
; %bb.1245:                             ;   in Loop: Header=BB302_10 Depth=1
	v_dual_lshrrev_b32 v1, 3, v6 :: v_dual_bitop2_b32 v0, 7, v8 bitop3:0x40
	s_mov_b32 s11, exec_lo
	v_cmpx_gt_u32_e32 8, v6
; %bb.1246:                             ;   in Loop: Header=BB302_10 Depth=1
	s_delay_alu instid0(VALU_DEP_2) | instskip(NEXT) | instid1(VALU_DEP_1)
	v_clz_i32_u32_e32 v0, v0
	v_min_u32_e32 v6, 32, v0
	s_delay_alu instid0(VALU_DEP_1) | instskip(NEXT) | instid1(VALU_DEP_1)
	v_subrev_nc_u32_e32 v0, 28, v6
	v_lshlrev_b64_e32 v[0:1], v0, v[8:9]
	s_delay_alu instid0(VALU_DEP_1)
	v_dual_sub_nc_u32 v1, 29, v6 :: v_dual_bitop2_b32 v0, 7, v0 bitop3:0x40
; %bb.1247:                             ;   in Loop: Header=BB302_10 Depth=1
	s_or_b32 exec_lo, exec_lo, s11
	v_lshlrev_b32_e32 v6, 8, v8
	s_delay_alu instid0(VALU_DEP_2) | instskip(NEXT) | instid1(VALU_DEP_3)
	v_lshl_add_u32 v1, v1, 10, 0x2000
	v_lshlrev_b32_e32 v0, 7, v0
	s_delay_alu instid0(VALU_DEP_3) | instskip(NEXT) | instid1(VALU_DEP_3)
	v_and_b32_e32 v6, 0x8000, v6
	v_and_b32_e32 v1, 0xfc00, v1
	s_delay_alu instid0(VALU_DEP_1)
	v_or3_b32 v0, v6, v1, v0
	scratch_store_b32 off, v0, s32 offset:604 ; 4-byte Folded Spill
.LBB302_1248:                           ;   in Loop: Header=BB302_10 Depth=1
	s_wait_xcnt 0x0
	s_or_b32 exec_lo, exec_lo, s8
.LBB302_1249:                           ;   in Loop: Header=BB302_10 Depth=1
	s_delay_alu instid0(SALU_CYCLE_1)
	s_or_b32 exec_lo, exec_lo, s7
.LBB302_1250:                           ;   in Loop: Header=BB302_10 Depth=1
	s_delay_alu instid0(SALU_CYCLE_1)
	s_or_b32 exec_lo, exec_lo, s6
	v_dual_mov_b32 v0, 0 :: v_dual_mov_b32 v98, 0
	s_mov_b32 s6, exec_lo
	scratch_store_b32 off, v0, s32 offset:612 ; 4-byte Folded Spill
	s_wait_xcnt 0x0
	v_cmpx_lt_u32_e32 0xffffff, v4
	s_cbranch_execz .LBB302_1258
; %bb.1251:                             ;   in Loop: Header=BB302_10 Depth=1
	v_lshrrev_b32_e32 v14, 24, v4
	v_bfrev_b32_e32 v98, 1
	s_mov_b32 s7, exec_lo
	s_delay_alu instid0(VALU_DEP_2)
	v_cmpx_ne_u32_e32 0x80, v14
	s_cbranch_execz .LBB302_1257
; %bb.1252:                             ;   in Loop: Header=BB302_10 Depth=1
	v_and_b32_e32 v6, 0x7f, v14
	v_mov_b32_e32 v98, 0x7c010000
	s_mov_b32 s8, exec_lo
	s_delay_alu instid0(VALU_DEP_2)
	v_cmpx_ne_u32_e32 0x7f, v6
	s_cbranch_execz .LBB302_1256
; %bb.1253:                             ;   in Loop: Header=BB302_10 Depth=1
	v_and_b32_e32 v0, 7, v14
	v_lshrrev_b32_e32 v1, 3, v6
	s_mov_b32 s11, exec_lo
	v_cmpx_gt_u32_e32 8, v6
; %bb.1254:                             ;   in Loop: Header=BB302_10 Depth=1
	s_delay_alu instid0(VALU_DEP_3) | instskip(NEXT) | instid1(VALU_DEP_1)
	v_clz_i32_u32_e32 v0, v0
	v_min_u32_e32 v6, 32, v0
	s_delay_alu instid0(VALU_DEP_1) | instskip(NEXT) | instid1(VALU_DEP_1)
	v_subrev_nc_u32_e32 v0, 28, v6
	v_lshlrev_b64_e32 v[0:1], v0, v[14:15]
	s_delay_alu instid0(VALU_DEP_1)
	v_dual_sub_nc_u32 v1, 29, v6 :: v_dual_bitop2_b32 v0, 7, v0 bitop3:0x40
; %bb.1255:                             ;   in Loop: Header=BB302_10 Depth=1
	s_or_b32 exec_lo, exec_lo, s11
	s_delay_alu instid0(VALU_DEP_1) | instskip(NEXT) | instid1(VALU_DEP_2)
	v_dual_lshlrev_b32 v6, 8, v14 :: v_dual_lshlrev_b32 v0, 23, v0
	v_lshl_add_u32 v1, v1, 10, 0x2000
	s_delay_alu instid0(VALU_DEP_1) | instskip(NEXT) | instid1(VALU_DEP_1)
	v_and_or_b32 v1, 0x8000, v6, v1
	v_lshl_or_b32 v98, v1, 16, v0
.LBB302_1256:                           ;   in Loop: Header=BB302_10 Depth=1
	s_or_b32 exec_lo, exec_lo, s8
.LBB302_1257:                           ;   in Loop: Header=BB302_10 Depth=1
	s_delay_alu instid0(SALU_CYCLE_1)
	s_or_b32 exec_lo, exec_lo, s7
.LBB302_1258:                           ;   in Loop: Header=BB302_10 Depth=1
	s_delay_alu instid0(SALU_CYCLE_1) | instskip(SKIP_3) | instid1(VALU_DEP_2)
	s_or_b32 exec_lo, exec_lo, s6
	v_and_b32_e32 v0, 0xff, v5
	v_mov_b32_e32 v14, v5
	s_mov_b32 s6, exec_lo
	v_cmpx_ne_u16_e32 0, v0
	s_cbranch_execz .LBB302_1266
; %bb.1259:                             ;   in Loop: Header=BB302_10 Depth=1
	v_cmp_ne_u16_e64 s1, 0x80, v0
	v_mov_b32_e32 v0, 0x8000
	scratch_store_b32 off, v0, s32 offset:612 ; 4-byte Folded Spill
	s_wait_xcnt 0x0
	s_and_saveexec_b32 s7, s1
	s_cbranch_execz .LBB302_1265
; %bb.1260:                             ;   in Loop: Header=BB302_10 Depth=1
	v_and_b32_e32 v6, 0x7f, v5
	v_mov_b32_e32 v0, 0x7c01
	s_mov_b32 s8, exec_lo
	scratch_store_b32 off, v0, s32 offset:612 ; 4-byte Folded Spill
	s_wait_xcnt 0x0
	v_cmpx_ne_u32_e32 0x7f, v6
	s_cbranch_execz .LBB302_1264
; %bb.1261:                             ;   in Loop: Header=BB302_10 Depth=1
	v_dual_lshrrev_b32 v1, 3, v6 :: v_dual_bitop2_b32 v0, 7, v5 bitop3:0x40
	s_mov_b32 s11, exec_lo
	v_cmpx_gt_u32_e32 8, v6
; %bb.1262:                             ;   in Loop: Header=BB302_10 Depth=1
	s_delay_alu instid0(VALU_DEP_2) | instskip(NEXT) | instid1(VALU_DEP_1)
	v_clz_i32_u32_e32 v0, v0
	v_min_u32_e32 v6, 32, v0
	s_delay_alu instid0(VALU_DEP_1) | instskip(NEXT) | instid1(VALU_DEP_1)
	v_subrev_nc_u32_e32 v0, 28, v6
	v_lshlrev_b64_e32 v[0:1], v0, v[14:15]
	s_delay_alu instid0(VALU_DEP_1)
	v_dual_sub_nc_u32 v1, 29, v6 :: v_dual_bitop2_b32 v0, 7, v0 bitop3:0x40
; %bb.1263:                             ;   in Loop: Header=BB302_10 Depth=1
	s_or_b32 exec_lo, exec_lo, s11
	s_delay_alu instid0(VALU_DEP_1) | instskip(NEXT) | instid1(VALU_DEP_2)
	v_dual_lshlrev_b32 v6, 8, v5 :: v_dual_lshlrev_b32 v0, 7, v0
	v_lshl_add_u32 v1, v1, 10, 0x2000
	s_delay_alu instid0(VALU_DEP_2) | instskip(NEXT) | instid1(VALU_DEP_2)
	v_and_b32_e32 v6, 0x8000, v6
	v_and_b32_e32 v1, 0xfc00, v1
	s_delay_alu instid0(VALU_DEP_1)
	v_or3_b32 v0, v6, v1, v0
	scratch_store_b32 off, v0, s32 offset:612 ; 4-byte Folded Spill
.LBB302_1264:                           ;   in Loop: Header=BB302_10 Depth=1
	s_wait_xcnt 0x0
	s_or_b32 exec_lo, exec_lo, s8
.LBB302_1265:                           ;   in Loop: Header=BB302_10 Depth=1
	s_delay_alu instid0(SALU_CYCLE_1)
	s_or_b32 exec_lo, exec_lo, s7
.LBB302_1266:                           ;   in Loop: Header=BB302_10 Depth=1
	s_delay_alu instid0(SALU_CYCLE_1)
	s_or_b32 exec_lo, exec_lo, s6
	v_lshrrev_b16 v14, 8, v14
	v_dual_mov_b32 v0, 0 :: v_dual_mov_b32 v83, 0
	s_mov_b32 s6, exec_lo
	scratch_store_b32 off, v0, s32 offset:620 ; 4-byte Folded Spill
	s_wait_xcnt 0x0
	v_cmpx_ne_u16_e32 0, v14
	s_cbranch_execz .LBB302_1274
; %bb.1267:                             ;   in Loop: Header=BB302_10 Depth=1
	v_bfrev_b32_e32 v83, 1
	s_mov_b32 s7, exec_lo
	v_cmpx_ne_u16_e32 0x80, v14
	s_cbranch_execz .LBB302_1273
; %bb.1268:                             ;   in Loop: Header=BB302_10 Depth=1
	v_and_b32_e32 v0, 0xffff, v14
	v_mov_b32_e32 v83, 0x7c010000
	s_mov_b32 s8, exec_lo
	s_delay_alu instid0(VALU_DEP_2) | instskip(NEXT) | instid1(VALU_DEP_1)
	v_and_b32_e32 v7, 0x7f, v0
	v_cmpx_ne_u32_e32 0x7f, v7
	s_cbranch_execz .LBB302_1272
; %bb.1269:                             ;   in Loop: Header=BB302_10 Depth=1
	v_dual_lshrrev_b32 v6, 3, v7 :: v_dual_bitop2_b32 v1, 7, v0 bitop3:0x40
	s_mov_b32 s11, exec_lo
	v_cmpx_gt_u32_e32 8, v7
; %bb.1270:                             ;   in Loop: Header=BB302_10 Depth=1
	s_delay_alu instid0(VALU_DEP_2) | instskip(NEXT) | instid1(VALU_DEP_1)
	v_clz_i32_u32_e32 v1, v1
	v_min_u32_e32 v1, 32, v1
	s_delay_alu instid0(VALU_DEP_1) | instskip(NEXT) | instid1(VALU_DEP_1)
	v_subrev_nc_u32_e32 v6, 28, v1
	v_lshlrev_b64_e32 v[8:9], v6, v[14:15]
	s_delay_alu instid0(VALU_DEP_1)
	v_dual_sub_nc_u32 v6, 29, v1 :: v_dual_bitop2_b32 v1, 7, v8 bitop3:0x40
; %bb.1271:                             ;   in Loop: Header=BB302_10 Depth=1
	s_or_b32 exec_lo, exec_lo, s11
	s_delay_alu instid0(VALU_DEP_1) | instskip(NEXT) | instid1(VALU_DEP_2)
	v_dual_lshlrev_b32 v0, 8, v0 :: v_dual_lshlrev_b32 v1, 23, v1
	v_lshl_add_u32 v6, v6, 10, 0x2000
	s_delay_alu instid0(VALU_DEP_1) | instskip(NEXT) | instid1(VALU_DEP_1)
	v_and_or_b32 v0, 0x8000, v0, v6
	v_lshl_or_b32 v83, v0, 16, v1
.LBB302_1272:                           ;   in Loop: Header=BB302_10 Depth=1
	s_or_b32 exec_lo, exec_lo, s8
.LBB302_1273:                           ;   in Loop: Header=BB302_10 Depth=1
	s_delay_alu instid0(SALU_CYCLE_1)
	s_or_b32 exec_lo, exec_lo, s7
.LBB302_1274:                           ;   in Loop: Header=BB302_10 Depth=1
	s_delay_alu instid0(SALU_CYCLE_1) | instskip(SKIP_2) | instid1(VALU_DEP_1)
	s_or_b32 exec_lo, exec_lo, s6
	v_lshrrev_b32_e32 v8, 16, v5
	s_mov_b32 s6, exec_lo
	v_and_b32_e32 v0, 0xff, v8
	s_delay_alu instid0(VALU_DEP_1)
	v_cmpx_ne_u16_e32 0, v0
	s_cbranch_execz .LBB302_1282
; %bb.1275:                             ;   in Loop: Header=BB302_10 Depth=1
	v_cmp_ne_u16_e64 s1, 0x80, v0
	v_mov_b32_e32 v0, 0x8000
	scratch_store_b32 off, v0, s32 offset:620 ; 4-byte Folded Spill
	s_wait_xcnt 0x0
	s_and_saveexec_b32 s7, s1
	s_cbranch_execz .LBB302_1281
; %bb.1276:                             ;   in Loop: Header=BB302_10 Depth=1
	v_bfe_u32 v6, v5, 16, 7
	v_mov_b32_e32 v0, 0x7c01
	s_mov_b32 s8, exec_lo
	scratch_store_b32 off, v0, s32 offset:620 ; 4-byte Folded Spill
	s_wait_xcnt 0x0
	v_cmpx_ne_u32_e32 0x7f, v6
	s_cbranch_execz .LBB302_1280
; %bb.1277:                             ;   in Loop: Header=BB302_10 Depth=1
	v_dual_lshrrev_b32 v1, 3, v6 :: v_dual_bitop2_b32 v0, 7, v8 bitop3:0x40
	s_mov_b32 s11, exec_lo
	v_cmpx_gt_u32_e32 8, v6
; %bb.1278:                             ;   in Loop: Header=BB302_10 Depth=1
	s_delay_alu instid0(VALU_DEP_2) | instskip(NEXT) | instid1(VALU_DEP_1)
	v_clz_i32_u32_e32 v0, v0
	v_min_u32_e32 v6, 32, v0
	s_delay_alu instid0(VALU_DEP_1) | instskip(NEXT) | instid1(VALU_DEP_1)
	v_subrev_nc_u32_e32 v0, 28, v6
	v_lshlrev_b64_e32 v[0:1], v0, v[8:9]
	s_delay_alu instid0(VALU_DEP_1)
	v_dual_sub_nc_u32 v1, 29, v6 :: v_dual_bitop2_b32 v0, 7, v0 bitop3:0x40
; %bb.1279:                             ;   in Loop: Header=BB302_10 Depth=1
	s_or_b32 exec_lo, exec_lo, s11
	v_lshlrev_b32_e32 v6, 8, v8
	s_delay_alu instid0(VALU_DEP_2) | instskip(NEXT) | instid1(VALU_DEP_3)
	v_lshl_add_u32 v1, v1, 10, 0x2000
	v_lshlrev_b32_e32 v0, 7, v0
	s_delay_alu instid0(VALU_DEP_3) | instskip(NEXT) | instid1(VALU_DEP_3)
	v_and_b32_e32 v6, 0x8000, v6
	v_and_b32_e32 v1, 0xfc00, v1
	s_delay_alu instid0(VALU_DEP_1)
	v_or3_b32 v0, v6, v1, v0
	scratch_store_b32 off, v0, s32 offset:620 ; 4-byte Folded Spill
.LBB302_1280:                           ;   in Loop: Header=BB302_10 Depth=1
	s_wait_xcnt 0x0
	s_or_b32 exec_lo, exec_lo, s8
.LBB302_1281:                           ;   in Loop: Header=BB302_10 Depth=1
	s_delay_alu instid0(SALU_CYCLE_1)
	s_or_b32 exec_lo, exec_lo, s7
.LBB302_1282:                           ;   in Loop: Header=BB302_10 Depth=1
	s_delay_alu instid0(SALU_CYCLE_1)
	s_or_b32 exec_lo, exec_lo, s6
	v_dual_mov_b32 v0, 0 :: v_dual_mov_b32 v116, 0
	s_mov_b32 s6, exec_lo
	scratch_store_b32 off, v0, s32 offset:628 ; 4-byte Folded Spill
	s_wait_xcnt 0x0
	v_cmpx_lt_u64_e64 s[2:3], v[4:5]
	s_cbranch_execz .LBB302_1290
; %bb.1283:                             ;   in Loop: Header=BB302_10 Depth=1
	v_lshrrev_b32_e32 v14, 24, v5
	v_bfrev_b32_e32 v116, 1
	s_mov_b32 s7, exec_lo
	s_delay_alu instid0(VALU_DEP_2)
	v_cmpx_ne_u32_e32 0x80, v14
	s_cbranch_execz .LBB302_1289
; %bb.1284:                             ;   in Loop: Header=BB302_10 Depth=1
	v_and_b32_e32 v4, 0x7f, v14
	v_mov_b32_e32 v116, 0x7c010000
	s_mov_b32 s8, exec_lo
	s_delay_alu instid0(VALU_DEP_2)
	v_cmpx_ne_u32_e32 0x7f, v4
	s_cbranch_execz .LBB302_1288
; %bb.1285:                             ;   in Loop: Header=BB302_10 Depth=1
	v_dual_lshrrev_b32 v1, 3, v4 :: v_dual_bitop2_b32 v0, 7, v14 bitop3:0x40
	s_mov_b32 s11, exec_lo
	v_cmpx_gt_u32_e32 8, v4
; %bb.1286:                             ;   in Loop: Header=BB302_10 Depth=1
	s_delay_alu instid0(VALU_DEP_2) | instskip(NEXT) | instid1(VALU_DEP_1)
	v_clz_i32_u32_e32 v0, v0
	v_min_u32_e32 v4, 32, v0
	s_delay_alu instid0(VALU_DEP_1) | instskip(NEXT) | instid1(VALU_DEP_1)
	v_subrev_nc_u32_e32 v0, 28, v4
	v_lshlrev_b64_e32 v[0:1], v0, v[14:15]
	v_sub_nc_u32_e32 v1, 29, v4
	s_delay_alu instid0(VALU_DEP_2)
	v_and_b32_e32 v0, 7, v0
; %bb.1287:                             ;   in Loop: Header=BB302_10 Depth=1
	s_or_b32 exec_lo, exec_lo, s11
	s_delay_alu instid0(VALU_DEP_1) | instskip(NEXT) | instid1(VALU_DEP_3)
	v_dual_lshlrev_b32 v4, 8, v14 :: v_dual_lshlrev_b32 v0, 23, v0
	v_lshl_add_u32 v1, v1, 10, 0x2000
	s_delay_alu instid0(VALU_DEP_1) | instskip(NEXT) | instid1(VALU_DEP_1)
	v_and_or_b32 v1, 0x8000, v4, v1
	v_lshl_or_b32 v116, v1, 16, v0
.LBB302_1288:                           ;   in Loop: Header=BB302_10 Depth=1
	s_or_b32 exec_lo, exec_lo, s8
.LBB302_1289:                           ;   in Loop: Header=BB302_10 Depth=1
	s_delay_alu instid0(SALU_CYCLE_1)
	s_or_b32 exec_lo, exec_lo, s7
.LBB302_1290:                           ;   in Loop: Header=BB302_10 Depth=1
	s_delay_alu instid0(SALU_CYCLE_1)
	s_or_b32 exec_lo, exec_lo, s6
	flat_load_b64 v[4:5], v[2:3] offset:5120
	s_mov_b32 s6, exec_lo
	s_wait_loadcnt_dscnt 0x0
	v_and_b32_e32 v0, 0xff, v4
	s_wait_xcnt 0x0
	s_delay_alu instid0(VALU_DEP_1)
	v_cmpx_ne_u16_e32 0, v0
	s_cbranch_execz .LBB302_1298
; %bb.1291:                             ;   in Loop: Header=BB302_10 Depth=1
	v_cmp_ne_u16_e64 s1, 0x80, v0
	v_mov_b32_e32 v0, 0x8000
	scratch_store_b32 off, v0, s32 offset:628 ; 4-byte Folded Spill
	s_wait_xcnt 0x0
	s_and_saveexec_b32 s7, s1
	s_cbranch_execz .LBB302_1297
; %bb.1292:                             ;   in Loop: Header=BB302_10 Depth=1
	v_and_b32_e32 v6, 0x7f, v4
	v_mov_b32_e32 v0, 0x7c01
	s_mov_b32 s8, exec_lo
	scratch_store_b32 off, v0, s32 offset:628 ; 4-byte Folded Spill
	s_wait_xcnt 0x0
	v_cmpx_ne_u32_e32 0x7f, v6
	s_cbranch_execz .LBB302_1296
; %bb.1293:                             ;   in Loop: Header=BB302_10 Depth=1
	v_dual_lshrrev_b32 v1, 3, v6 :: v_dual_bitop2_b32 v0, 7, v4 bitop3:0x40
	s_mov_b32 s11, exec_lo
	v_cmpx_gt_u32_e32 8, v6
; %bb.1294:                             ;   in Loop: Header=BB302_10 Depth=1
	s_delay_alu instid0(VALU_DEP_2) | instskip(NEXT) | instid1(VALU_DEP_1)
	v_clz_i32_u32_e32 v0, v0
	v_min_u32_e32 v6, 32, v0
	s_delay_alu instid0(VALU_DEP_1) | instskip(NEXT) | instid1(VALU_DEP_1)
	v_subrev_nc_u32_e32 v0, 28, v6
	v_lshlrev_b64_e32 v[0:1], v0, v[4:5]
	s_delay_alu instid0(VALU_DEP_1)
	v_dual_sub_nc_u32 v1, 29, v6 :: v_dual_bitop2_b32 v0, 7, v0 bitop3:0x40
; %bb.1295:                             ;   in Loop: Header=BB302_10 Depth=1
	s_or_b32 exec_lo, exec_lo, s11
	v_lshlrev_b32_e32 v6, 8, v4
	s_delay_alu instid0(VALU_DEP_2) | instskip(NEXT) | instid1(VALU_DEP_3)
	v_lshl_add_u32 v1, v1, 10, 0x2000
	v_lshlrev_b32_e32 v0, 7, v0
	s_delay_alu instid0(VALU_DEP_3) | instskip(NEXT) | instid1(VALU_DEP_3)
	v_and_b32_e32 v6, 0x8000, v6
	v_and_b32_e32 v1, 0xfc00, v1
	s_delay_alu instid0(VALU_DEP_1)
	v_or3_b32 v0, v6, v1, v0
	scratch_store_b32 off, v0, s32 offset:628 ; 4-byte Folded Spill
.LBB302_1296:                           ;   in Loop: Header=BB302_10 Depth=1
	s_wait_xcnt 0x0
	s_or_b32 exec_lo, exec_lo, s8
.LBB302_1297:                           ;   in Loop: Header=BB302_10 Depth=1
	s_delay_alu instid0(SALU_CYCLE_1)
	s_or_b32 exec_lo, exec_lo, s7
.LBB302_1298:                           ;   in Loop: Header=BB302_10 Depth=1
	s_delay_alu instid0(SALU_CYCLE_1)
	s_or_b32 exec_lo, exec_lo, s6
	v_lshrrev_b16 v14, 8, v4
	v_dual_mov_b32 v0, 0 :: v_dual_mov_b32 v103, 0
	s_mov_b32 s6, exec_lo
	scratch_store_b32 off, v0, s32 offset:608 ; 4-byte Folded Spill
	s_wait_xcnt 0x0
	v_cmpx_ne_u16_e32 0, v14
	s_cbranch_execz .LBB302_1306
; %bb.1299:                             ;   in Loop: Header=BB302_10 Depth=1
	v_bfrev_b32_e32 v103, 1
	s_mov_b32 s7, exec_lo
	v_cmpx_ne_u16_e32 0x80, v14
	s_cbranch_execz .LBB302_1305
; %bb.1300:                             ;   in Loop: Header=BB302_10 Depth=1
	v_and_b32_e32 v0, 0xffff, v14
	v_mov_b32_e32 v103, 0x7c010000
	s_mov_b32 s8, exec_lo
	s_delay_alu instid0(VALU_DEP_2) | instskip(NEXT) | instid1(VALU_DEP_1)
	v_and_b32_e32 v7, 0x7f, v0
	v_cmpx_ne_u32_e32 0x7f, v7
	s_cbranch_execz .LBB302_1304
; %bb.1301:                             ;   in Loop: Header=BB302_10 Depth=1
	v_dual_lshrrev_b32 v6, 3, v7 :: v_dual_bitop2_b32 v1, 7, v0 bitop3:0x40
	s_mov_b32 s11, exec_lo
	v_cmpx_gt_u32_e32 8, v7
; %bb.1302:                             ;   in Loop: Header=BB302_10 Depth=1
	s_delay_alu instid0(VALU_DEP_2) | instskip(NEXT) | instid1(VALU_DEP_1)
	v_clz_i32_u32_e32 v1, v1
	v_min_u32_e32 v1, 32, v1
	s_delay_alu instid0(VALU_DEP_1) | instskip(NEXT) | instid1(VALU_DEP_1)
	v_subrev_nc_u32_e32 v6, 28, v1
	v_lshlrev_b64_e32 v[8:9], v6, v[14:15]
	s_delay_alu instid0(VALU_DEP_1)
	v_dual_sub_nc_u32 v6, 29, v1 :: v_dual_bitop2_b32 v1, 7, v8 bitop3:0x40
; %bb.1303:                             ;   in Loop: Header=BB302_10 Depth=1
	s_or_b32 exec_lo, exec_lo, s11
	s_delay_alu instid0(VALU_DEP_1) | instskip(NEXT) | instid1(VALU_DEP_2)
	v_dual_lshlrev_b32 v0, 8, v0 :: v_dual_lshlrev_b32 v1, 23, v1
	v_lshl_add_u32 v6, v6, 10, 0x2000
	s_delay_alu instid0(VALU_DEP_1) | instskip(NEXT) | instid1(VALU_DEP_1)
	v_and_or_b32 v0, 0x8000, v0, v6
	v_lshl_or_b32 v103, v0, 16, v1
.LBB302_1304:                           ;   in Loop: Header=BB302_10 Depth=1
	s_or_b32 exec_lo, exec_lo, s8
.LBB302_1305:                           ;   in Loop: Header=BB302_10 Depth=1
	s_delay_alu instid0(SALU_CYCLE_1)
	s_or_b32 exec_lo, exec_lo, s7
.LBB302_1306:                           ;   in Loop: Header=BB302_10 Depth=1
	s_delay_alu instid0(SALU_CYCLE_1) | instskip(SKIP_2) | instid1(VALU_DEP_1)
	s_or_b32 exec_lo, exec_lo, s6
	v_lshrrev_b32_e32 v8, 16, v4
	s_mov_b32 s6, exec_lo
	v_and_b32_e32 v0, 0xff, v8
	s_delay_alu instid0(VALU_DEP_1)
	v_cmpx_ne_u16_e32 0, v0
	s_cbranch_execz .LBB302_1314
; %bb.1307:                             ;   in Loop: Header=BB302_10 Depth=1
	v_cmp_ne_u16_e64 s1, 0x80, v0
	v_mov_b32_e32 v0, 0x8000
	scratch_store_b32 off, v0, s32 offset:608 ; 4-byte Folded Spill
	s_wait_xcnt 0x0
	s_and_saveexec_b32 s7, s1
	s_cbranch_execz .LBB302_1313
; %bb.1308:                             ;   in Loop: Header=BB302_10 Depth=1
	v_bfe_u32 v6, v4, 16, 7
	v_mov_b32_e32 v0, 0x7c01
	s_mov_b32 s8, exec_lo
	scratch_store_b32 off, v0, s32 offset:608 ; 4-byte Folded Spill
	s_wait_xcnt 0x0
	v_cmpx_ne_u32_e32 0x7f, v6
	s_cbranch_execz .LBB302_1312
; %bb.1309:                             ;   in Loop: Header=BB302_10 Depth=1
	v_dual_lshrrev_b32 v1, 3, v6 :: v_dual_bitop2_b32 v0, 7, v8 bitop3:0x40
	s_mov_b32 s11, exec_lo
	v_cmpx_gt_u32_e32 8, v6
; %bb.1310:                             ;   in Loop: Header=BB302_10 Depth=1
	s_delay_alu instid0(VALU_DEP_2) | instskip(NEXT) | instid1(VALU_DEP_1)
	v_clz_i32_u32_e32 v0, v0
	v_min_u32_e32 v6, 32, v0
	s_delay_alu instid0(VALU_DEP_1) | instskip(NEXT) | instid1(VALU_DEP_1)
	v_subrev_nc_u32_e32 v0, 28, v6
	v_lshlrev_b64_e32 v[0:1], v0, v[8:9]
	s_delay_alu instid0(VALU_DEP_1)
	v_dual_sub_nc_u32 v1, 29, v6 :: v_dual_bitop2_b32 v0, 7, v0 bitop3:0x40
; %bb.1311:                             ;   in Loop: Header=BB302_10 Depth=1
	s_or_b32 exec_lo, exec_lo, s11
	v_lshlrev_b32_e32 v6, 8, v8
	s_delay_alu instid0(VALU_DEP_2) | instskip(NEXT) | instid1(VALU_DEP_3)
	v_lshl_add_u32 v1, v1, 10, 0x2000
	v_lshlrev_b32_e32 v0, 7, v0
	s_delay_alu instid0(VALU_DEP_3) | instskip(NEXT) | instid1(VALU_DEP_3)
	v_and_b32_e32 v6, 0x8000, v6
	v_and_b32_e32 v1, 0xfc00, v1
	s_delay_alu instid0(VALU_DEP_1)
	v_or3_b32 v0, v6, v1, v0
	scratch_store_b32 off, v0, s32 offset:608 ; 4-byte Folded Spill
.LBB302_1312:                           ;   in Loop: Header=BB302_10 Depth=1
	s_wait_xcnt 0x0
	s_or_b32 exec_lo, exec_lo, s8
.LBB302_1313:                           ;   in Loop: Header=BB302_10 Depth=1
	s_delay_alu instid0(SALU_CYCLE_1)
	s_or_b32 exec_lo, exec_lo, s7
.LBB302_1314:                           ;   in Loop: Header=BB302_10 Depth=1
	s_delay_alu instid0(SALU_CYCLE_1)
	s_or_b32 exec_lo, exec_lo, s6
	v_dual_mov_b32 v0, 0 :: v_dual_mov_b32 v100, 0
	s_mov_b32 s6, exec_lo
	scratch_store_b32 off, v0, s32 offset:616 ; 4-byte Folded Spill
	s_wait_xcnt 0x0
	v_cmpx_lt_u32_e32 0xffffff, v4
	s_cbranch_execz .LBB302_1322
; %bb.1315:                             ;   in Loop: Header=BB302_10 Depth=1
	v_lshrrev_b32_e32 v14, 24, v4
	v_bfrev_b32_e32 v100, 1
	s_mov_b32 s7, exec_lo
	s_delay_alu instid0(VALU_DEP_2)
	v_cmpx_ne_u32_e32 0x80, v14
	s_cbranch_execz .LBB302_1321
; %bb.1316:                             ;   in Loop: Header=BB302_10 Depth=1
	v_and_b32_e32 v6, 0x7f, v14
	v_mov_b32_e32 v100, 0x7c010000
	s_mov_b32 s8, exec_lo
	s_delay_alu instid0(VALU_DEP_2)
	v_cmpx_ne_u32_e32 0x7f, v6
	s_cbranch_execz .LBB302_1320
; %bb.1317:                             ;   in Loop: Header=BB302_10 Depth=1
	v_and_b32_e32 v0, 7, v14
	v_lshrrev_b32_e32 v1, 3, v6
	s_mov_b32 s11, exec_lo
	v_cmpx_gt_u32_e32 8, v6
; %bb.1318:                             ;   in Loop: Header=BB302_10 Depth=1
	s_delay_alu instid0(VALU_DEP_3) | instskip(NEXT) | instid1(VALU_DEP_1)
	v_clz_i32_u32_e32 v0, v0
	v_min_u32_e32 v6, 32, v0
	s_delay_alu instid0(VALU_DEP_1) | instskip(NEXT) | instid1(VALU_DEP_1)
	v_subrev_nc_u32_e32 v0, 28, v6
	v_lshlrev_b64_e32 v[0:1], v0, v[14:15]
	s_delay_alu instid0(VALU_DEP_1)
	v_dual_sub_nc_u32 v1, 29, v6 :: v_dual_bitop2_b32 v0, 7, v0 bitop3:0x40
; %bb.1319:                             ;   in Loop: Header=BB302_10 Depth=1
	s_or_b32 exec_lo, exec_lo, s11
	s_delay_alu instid0(VALU_DEP_1) | instskip(NEXT) | instid1(VALU_DEP_2)
	v_dual_lshlrev_b32 v6, 8, v14 :: v_dual_lshlrev_b32 v0, 23, v0
	v_lshl_add_u32 v1, v1, 10, 0x2000
	s_delay_alu instid0(VALU_DEP_1) | instskip(NEXT) | instid1(VALU_DEP_1)
	v_and_or_b32 v1, 0x8000, v6, v1
	v_lshl_or_b32 v100, v1, 16, v0
.LBB302_1320:                           ;   in Loop: Header=BB302_10 Depth=1
	s_or_b32 exec_lo, exec_lo, s8
.LBB302_1321:                           ;   in Loop: Header=BB302_10 Depth=1
	s_delay_alu instid0(SALU_CYCLE_1)
	s_or_b32 exec_lo, exec_lo, s7
.LBB302_1322:                           ;   in Loop: Header=BB302_10 Depth=1
	s_delay_alu instid0(SALU_CYCLE_1) | instskip(SKIP_3) | instid1(VALU_DEP_2)
	s_or_b32 exec_lo, exec_lo, s6
	v_and_b32_e32 v0, 0xff, v5
	v_mov_b32_e32 v14, v5
	s_mov_b32 s6, exec_lo
	v_cmpx_ne_u16_e32 0, v0
	s_cbranch_execz .LBB302_1330
; %bb.1323:                             ;   in Loop: Header=BB302_10 Depth=1
	v_cmp_ne_u16_e64 s1, 0x80, v0
	v_mov_b32_e32 v0, 0x8000
	scratch_store_b32 off, v0, s32 offset:616 ; 4-byte Folded Spill
	s_wait_xcnt 0x0
	s_and_saveexec_b32 s7, s1
	s_cbranch_execz .LBB302_1329
; %bb.1324:                             ;   in Loop: Header=BB302_10 Depth=1
	v_and_b32_e32 v6, 0x7f, v5
	v_mov_b32_e32 v0, 0x7c01
	s_mov_b32 s8, exec_lo
	scratch_store_b32 off, v0, s32 offset:616 ; 4-byte Folded Spill
	s_wait_xcnt 0x0
	v_cmpx_ne_u32_e32 0x7f, v6
	s_cbranch_execz .LBB302_1328
; %bb.1325:                             ;   in Loop: Header=BB302_10 Depth=1
	v_dual_lshrrev_b32 v1, 3, v6 :: v_dual_bitop2_b32 v0, 7, v5 bitop3:0x40
	s_mov_b32 s11, exec_lo
	v_cmpx_gt_u32_e32 8, v6
; %bb.1326:                             ;   in Loop: Header=BB302_10 Depth=1
	s_delay_alu instid0(VALU_DEP_2) | instskip(NEXT) | instid1(VALU_DEP_1)
	v_clz_i32_u32_e32 v0, v0
	v_min_u32_e32 v6, 32, v0
	s_delay_alu instid0(VALU_DEP_1) | instskip(NEXT) | instid1(VALU_DEP_1)
	v_subrev_nc_u32_e32 v0, 28, v6
	v_lshlrev_b64_e32 v[0:1], v0, v[14:15]
	s_delay_alu instid0(VALU_DEP_1)
	v_dual_sub_nc_u32 v1, 29, v6 :: v_dual_bitop2_b32 v0, 7, v0 bitop3:0x40
; %bb.1327:                             ;   in Loop: Header=BB302_10 Depth=1
	s_or_b32 exec_lo, exec_lo, s11
	s_delay_alu instid0(VALU_DEP_1) | instskip(NEXT) | instid1(VALU_DEP_2)
	v_dual_lshlrev_b32 v6, 8, v5 :: v_dual_lshlrev_b32 v0, 7, v0
	v_lshl_add_u32 v1, v1, 10, 0x2000
	s_delay_alu instid0(VALU_DEP_2) | instskip(NEXT) | instid1(VALU_DEP_2)
	v_and_b32_e32 v6, 0x8000, v6
	v_and_b32_e32 v1, 0xfc00, v1
	s_delay_alu instid0(VALU_DEP_1)
	v_or3_b32 v0, v6, v1, v0
	scratch_store_b32 off, v0, s32 offset:616 ; 4-byte Folded Spill
.LBB302_1328:                           ;   in Loop: Header=BB302_10 Depth=1
	s_wait_xcnt 0x0
	s_or_b32 exec_lo, exec_lo, s8
.LBB302_1329:                           ;   in Loop: Header=BB302_10 Depth=1
	s_delay_alu instid0(SALU_CYCLE_1)
	s_or_b32 exec_lo, exec_lo, s7
.LBB302_1330:                           ;   in Loop: Header=BB302_10 Depth=1
	s_delay_alu instid0(SALU_CYCLE_1)
	s_or_b32 exec_lo, exec_lo, s6
	v_lshrrev_b16 v14, 8, v14
	v_dual_mov_b32 v0, 0 :: v_dual_mov_b32 v47, 0
	s_mov_b32 s6, exec_lo
	scratch_store_b32 off, v0, s32 offset:624 ; 4-byte Folded Spill
	s_wait_xcnt 0x0
	v_cmpx_ne_u16_e32 0, v14
	s_cbranch_execz .LBB302_1338
; %bb.1331:                             ;   in Loop: Header=BB302_10 Depth=1
	v_bfrev_b32_e32 v47, 1
	s_mov_b32 s7, exec_lo
	v_cmpx_ne_u16_e32 0x80, v14
	s_cbranch_execz .LBB302_1337
; %bb.1332:                             ;   in Loop: Header=BB302_10 Depth=1
	v_and_b32_e32 v0, 0xffff, v14
	v_mov_b32_e32 v47, 0x7c010000
	s_mov_b32 s8, exec_lo
	s_delay_alu instid0(VALU_DEP_2) | instskip(NEXT) | instid1(VALU_DEP_1)
	v_and_b32_e32 v7, 0x7f, v0
	v_cmpx_ne_u32_e32 0x7f, v7
	s_cbranch_execz .LBB302_1336
; %bb.1333:                             ;   in Loop: Header=BB302_10 Depth=1
	v_dual_lshrrev_b32 v6, 3, v7 :: v_dual_bitop2_b32 v1, 7, v0 bitop3:0x40
	s_mov_b32 s11, exec_lo
	v_cmpx_gt_u32_e32 8, v7
; %bb.1334:                             ;   in Loop: Header=BB302_10 Depth=1
	s_delay_alu instid0(VALU_DEP_2) | instskip(NEXT) | instid1(VALU_DEP_1)
	v_clz_i32_u32_e32 v1, v1
	v_min_u32_e32 v1, 32, v1
	s_delay_alu instid0(VALU_DEP_1) | instskip(NEXT) | instid1(VALU_DEP_1)
	v_subrev_nc_u32_e32 v6, 28, v1
	v_lshlrev_b64_e32 v[8:9], v6, v[14:15]
	s_delay_alu instid0(VALU_DEP_1)
	v_dual_sub_nc_u32 v6, 29, v1 :: v_dual_bitop2_b32 v1, 7, v8 bitop3:0x40
; %bb.1335:                             ;   in Loop: Header=BB302_10 Depth=1
	s_or_b32 exec_lo, exec_lo, s11
	s_delay_alu instid0(VALU_DEP_1) | instskip(NEXT) | instid1(VALU_DEP_2)
	v_dual_lshlrev_b32 v0, 8, v0 :: v_dual_lshlrev_b32 v1, 23, v1
	v_lshl_add_u32 v6, v6, 10, 0x2000
	s_delay_alu instid0(VALU_DEP_1) | instskip(NEXT) | instid1(VALU_DEP_1)
	v_and_or_b32 v0, 0x8000, v0, v6
	v_lshl_or_b32 v47, v0, 16, v1
.LBB302_1336:                           ;   in Loop: Header=BB302_10 Depth=1
	s_or_b32 exec_lo, exec_lo, s8
.LBB302_1337:                           ;   in Loop: Header=BB302_10 Depth=1
	s_delay_alu instid0(SALU_CYCLE_1)
	s_or_b32 exec_lo, exec_lo, s7
.LBB302_1338:                           ;   in Loop: Header=BB302_10 Depth=1
	s_delay_alu instid0(SALU_CYCLE_1) | instskip(SKIP_2) | instid1(VALU_DEP_1)
	s_or_b32 exec_lo, exec_lo, s6
	v_lshrrev_b32_e32 v8, 16, v5
	s_mov_b32 s6, exec_lo
	v_and_b32_e32 v0, 0xff, v8
	s_delay_alu instid0(VALU_DEP_1)
	v_cmpx_ne_u16_e32 0, v0
	s_cbranch_execz .LBB302_1346
; %bb.1339:                             ;   in Loop: Header=BB302_10 Depth=1
	v_cmp_ne_u16_e64 s1, 0x80, v0
	v_mov_b32_e32 v0, 0x8000
	scratch_store_b32 off, v0, s32 offset:624 ; 4-byte Folded Spill
	s_wait_xcnt 0x0
	s_and_saveexec_b32 s7, s1
	s_cbranch_execz .LBB302_1345
; %bb.1340:                             ;   in Loop: Header=BB302_10 Depth=1
	v_bfe_u32 v6, v5, 16, 7
	v_mov_b32_e32 v0, 0x7c01
	s_mov_b32 s8, exec_lo
	scratch_store_b32 off, v0, s32 offset:624 ; 4-byte Folded Spill
	s_wait_xcnt 0x0
	v_cmpx_ne_u32_e32 0x7f, v6
	s_cbranch_execz .LBB302_1344
; %bb.1341:                             ;   in Loop: Header=BB302_10 Depth=1
	v_dual_lshrrev_b32 v1, 3, v6 :: v_dual_bitop2_b32 v0, 7, v8 bitop3:0x40
	s_mov_b32 s11, exec_lo
	v_cmpx_gt_u32_e32 8, v6
; %bb.1342:                             ;   in Loop: Header=BB302_10 Depth=1
	s_delay_alu instid0(VALU_DEP_2) | instskip(NEXT) | instid1(VALU_DEP_1)
	v_clz_i32_u32_e32 v0, v0
	v_min_u32_e32 v6, 32, v0
	s_delay_alu instid0(VALU_DEP_1) | instskip(NEXT) | instid1(VALU_DEP_1)
	v_subrev_nc_u32_e32 v0, 28, v6
	v_lshlrev_b64_e32 v[0:1], v0, v[8:9]
	s_delay_alu instid0(VALU_DEP_1)
	v_dual_sub_nc_u32 v1, 29, v6 :: v_dual_bitop2_b32 v0, 7, v0 bitop3:0x40
; %bb.1343:                             ;   in Loop: Header=BB302_10 Depth=1
	s_or_b32 exec_lo, exec_lo, s11
	v_lshlrev_b32_e32 v6, 8, v8
	s_delay_alu instid0(VALU_DEP_2) | instskip(NEXT) | instid1(VALU_DEP_3)
	v_lshl_add_u32 v1, v1, 10, 0x2000
	v_lshlrev_b32_e32 v0, 7, v0
	s_delay_alu instid0(VALU_DEP_3) | instskip(NEXT) | instid1(VALU_DEP_3)
	v_and_b32_e32 v6, 0x8000, v6
	v_and_b32_e32 v1, 0xfc00, v1
	s_delay_alu instid0(VALU_DEP_1)
	v_or3_b32 v0, v6, v1, v0
	scratch_store_b32 off, v0, s32 offset:624 ; 4-byte Folded Spill
.LBB302_1344:                           ;   in Loop: Header=BB302_10 Depth=1
	s_wait_xcnt 0x0
	s_or_b32 exec_lo, exec_lo, s8
.LBB302_1345:                           ;   in Loop: Header=BB302_10 Depth=1
	s_delay_alu instid0(SALU_CYCLE_1)
	s_or_b32 exec_lo, exec_lo, s7
.LBB302_1346:                           ;   in Loop: Header=BB302_10 Depth=1
	s_delay_alu instid0(SALU_CYCLE_1)
	s_or_b32 exec_lo, exec_lo, s6
	v_dual_mov_b32 v0, 0 :: v_dual_mov_b32 v57, 0
	s_mov_b32 s6, exec_lo
	scratch_store_b32 off, v0, s32 offset:632 ; 4-byte Folded Spill
	s_wait_xcnt 0x0
	v_cmpx_lt_u64_e64 s[2:3], v[4:5]
	s_cbranch_execz .LBB302_1354
; %bb.1347:                             ;   in Loop: Header=BB302_10 Depth=1
	v_lshrrev_b32_e32 v14, 24, v5
	v_bfrev_b32_e32 v57, 1
	s_mov_b32 s7, exec_lo
	s_delay_alu instid0(VALU_DEP_2)
	v_cmpx_ne_u32_e32 0x80, v14
	s_cbranch_execz .LBB302_1353
; %bb.1348:                             ;   in Loop: Header=BB302_10 Depth=1
	v_and_b32_e32 v4, 0x7f, v14
	v_mov_b32_e32 v57, 0x7c010000
	s_mov_b32 s8, exec_lo
	s_delay_alu instid0(VALU_DEP_2)
	v_cmpx_ne_u32_e32 0x7f, v4
	s_cbranch_execz .LBB302_1352
; %bb.1349:                             ;   in Loop: Header=BB302_10 Depth=1
	v_dual_lshrrev_b32 v1, 3, v4 :: v_dual_bitop2_b32 v0, 7, v14 bitop3:0x40
	s_mov_b32 s11, exec_lo
	v_cmpx_gt_u32_e32 8, v4
; %bb.1350:                             ;   in Loop: Header=BB302_10 Depth=1
	s_delay_alu instid0(VALU_DEP_2) | instskip(NEXT) | instid1(VALU_DEP_1)
	v_clz_i32_u32_e32 v0, v0
	v_min_u32_e32 v4, 32, v0
	s_delay_alu instid0(VALU_DEP_1) | instskip(NEXT) | instid1(VALU_DEP_1)
	v_subrev_nc_u32_e32 v0, 28, v4
	v_lshlrev_b64_e32 v[0:1], v0, v[14:15]
	v_sub_nc_u32_e32 v1, 29, v4
	s_delay_alu instid0(VALU_DEP_2)
	v_and_b32_e32 v0, 7, v0
; %bb.1351:                             ;   in Loop: Header=BB302_10 Depth=1
	s_or_b32 exec_lo, exec_lo, s11
	s_delay_alu instid0(VALU_DEP_1) | instskip(NEXT) | instid1(VALU_DEP_3)
	v_dual_lshlrev_b32 v4, 8, v14 :: v_dual_lshlrev_b32 v0, 23, v0
	v_lshl_add_u32 v1, v1, 10, 0x2000
	s_delay_alu instid0(VALU_DEP_1) | instskip(NEXT) | instid1(VALU_DEP_1)
	v_and_or_b32 v1, 0x8000, v4, v1
	v_lshl_or_b32 v57, v1, 16, v0
.LBB302_1352:                           ;   in Loop: Header=BB302_10 Depth=1
	s_or_b32 exec_lo, exec_lo, s8
.LBB302_1353:                           ;   in Loop: Header=BB302_10 Depth=1
	s_delay_alu instid0(SALU_CYCLE_1)
	s_or_b32 exec_lo, exec_lo, s7
.LBB302_1354:                           ;   in Loop: Header=BB302_10 Depth=1
	s_delay_alu instid0(SALU_CYCLE_1)
	s_or_b32 exec_lo, exec_lo, s6
	flat_load_b64 v[4:5], v[2:3] offset:5128
	s_mov_b32 s6, exec_lo
	s_wait_loadcnt_dscnt 0x0
	v_and_b32_e32 v0, 0xff, v4
	s_wait_xcnt 0x0
	s_delay_alu instid0(VALU_DEP_1)
	v_cmpx_ne_u16_e32 0, v0
	s_cbranch_execz .LBB302_1362
; %bb.1355:                             ;   in Loop: Header=BB302_10 Depth=1
	v_cmp_ne_u16_e64 s1, 0x80, v0
	v_mov_b32_e32 v0, 0x8000
	scratch_store_b32 off, v0, s32 offset:632 ; 4-byte Folded Spill
	s_wait_xcnt 0x0
	s_and_saveexec_b32 s7, s1
	s_cbranch_execz .LBB302_1361
; %bb.1356:                             ;   in Loop: Header=BB302_10 Depth=1
	v_and_b32_e32 v6, 0x7f, v4
	v_mov_b32_e32 v0, 0x7c01
	s_mov_b32 s8, exec_lo
	scratch_store_b32 off, v0, s32 offset:632 ; 4-byte Folded Spill
	s_wait_xcnt 0x0
	v_cmpx_ne_u32_e32 0x7f, v6
	s_cbranch_execz .LBB302_1360
; %bb.1357:                             ;   in Loop: Header=BB302_10 Depth=1
	v_dual_lshrrev_b32 v1, 3, v6 :: v_dual_bitop2_b32 v0, 7, v4 bitop3:0x40
	s_mov_b32 s11, exec_lo
	v_cmpx_gt_u32_e32 8, v6
; %bb.1358:                             ;   in Loop: Header=BB302_10 Depth=1
	s_delay_alu instid0(VALU_DEP_2) | instskip(NEXT) | instid1(VALU_DEP_1)
	v_clz_i32_u32_e32 v0, v0
	v_min_u32_e32 v6, 32, v0
	s_delay_alu instid0(VALU_DEP_1) | instskip(NEXT) | instid1(VALU_DEP_1)
	v_subrev_nc_u32_e32 v0, 28, v6
	v_lshlrev_b64_e32 v[0:1], v0, v[4:5]
	s_delay_alu instid0(VALU_DEP_1)
	v_dual_sub_nc_u32 v1, 29, v6 :: v_dual_bitop2_b32 v0, 7, v0 bitop3:0x40
; %bb.1359:                             ;   in Loop: Header=BB302_10 Depth=1
	s_or_b32 exec_lo, exec_lo, s11
	v_lshlrev_b32_e32 v6, 8, v4
	s_delay_alu instid0(VALU_DEP_2) | instskip(NEXT) | instid1(VALU_DEP_3)
	v_lshl_add_u32 v1, v1, 10, 0x2000
	v_lshlrev_b32_e32 v0, 7, v0
	s_delay_alu instid0(VALU_DEP_3) | instskip(NEXT) | instid1(VALU_DEP_3)
	v_and_b32_e32 v6, 0x8000, v6
	v_and_b32_e32 v1, 0xfc00, v1
	s_delay_alu instid0(VALU_DEP_1)
	v_or3_b32 v0, v6, v1, v0
	scratch_store_b32 off, v0, s32 offset:632 ; 4-byte Folded Spill
.LBB302_1360:                           ;   in Loop: Header=BB302_10 Depth=1
	s_wait_xcnt 0x0
	s_or_b32 exec_lo, exec_lo, s8
.LBB302_1361:                           ;   in Loop: Header=BB302_10 Depth=1
	s_delay_alu instid0(SALU_CYCLE_1)
	s_or_b32 exec_lo, exec_lo, s7
.LBB302_1362:                           ;   in Loop: Header=BB302_10 Depth=1
	s_delay_alu instid0(SALU_CYCLE_1)
	s_or_b32 exec_lo, exec_lo, s6
	v_lshrrev_b16 v14, 8, v4
	v_dual_mov_b32 v0, 0 :: v_dual_mov_b32 v115, 0
	s_mov_b32 s6, exec_lo
	scratch_store_b32 off, v0, s32 offset:636 ; 4-byte Folded Spill
	s_wait_xcnt 0x0
	v_cmpx_ne_u16_e32 0, v14
	s_cbranch_execz .LBB302_1370
; %bb.1363:                             ;   in Loop: Header=BB302_10 Depth=1
	v_bfrev_b32_e32 v115, 1
	s_mov_b32 s7, exec_lo
	v_cmpx_ne_u16_e32 0x80, v14
	s_cbranch_execz .LBB302_1369
; %bb.1364:                             ;   in Loop: Header=BB302_10 Depth=1
	v_and_b32_e32 v0, 0xffff, v14
	v_mov_b32_e32 v115, 0x7c010000
	s_mov_b32 s8, exec_lo
	s_delay_alu instid0(VALU_DEP_2) | instskip(NEXT) | instid1(VALU_DEP_1)
	v_and_b32_e32 v7, 0x7f, v0
	v_cmpx_ne_u32_e32 0x7f, v7
	s_cbranch_execz .LBB302_1368
; %bb.1365:                             ;   in Loop: Header=BB302_10 Depth=1
	v_dual_lshrrev_b32 v6, 3, v7 :: v_dual_bitop2_b32 v1, 7, v0 bitop3:0x40
	s_mov_b32 s11, exec_lo
	v_cmpx_gt_u32_e32 8, v7
; %bb.1366:                             ;   in Loop: Header=BB302_10 Depth=1
	s_delay_alu instid0(VALU_DEP_2) | instskip(NEXT) | instid1(VALU_DEP_1)
	v_clz_i32_u32_e32 v1, v1
	v_min_u32_e32 v1, 32, v1
	s_delay_alu instid0(VALU_DEP_1) | instskip(NEXT) | instid1(VALU_DEP_1)
	v_subrev_nc_u32_e32 v6, 28, v1
	v_lshlrev_b64_e32 v[8:9], v6, v[14:15]
	s_delay_alu instid0(VALU_DEP_1)
	v_dual_sub_nc_u32 v6, 29, v1 :: v_dual_bitop2_b32 v1, 7, v8 bitop3:0x40
; %bb.1367:                             ;   in Loop: Header=BB302_10 Depth=1
	s_or_b32 exec_lo, exec_lo, s11
	s_delay_alu instid0(VALU_DEP_1) | instskip(NEXT) | instid1(VALU_DEP_2)
	v_dual_lshlrev_b32 v0, 8, v0 :: v_dual_lshlrev_b32 v1, 23, v1
	v_lshl_add_u32 v6, v6, 10, 0x2000
	s_delay_alu instid0(VALU_DEP_1) | instskip(NEXT) | instid1(VALU_DEP_1)
	v_and_or_b32 v0, 0x8000, v0, v6
	v_lshl_or_b32 v115, v0, 16, v1
.LBB302_1368:                           ;   in Loop: Header=BB302_10 Depth=1
	s_or_b32 exec_lo, exec_lo, s8
.LBB302_1369:                           ;   in Loop: Header=BB302_10 Depth=1
	s_delay_alu instid0(SALU_CYCLE_1)
	s_or_b32 exec_lo, exec_lo, s7
.LBB302_1370:                           ;   in Loop: Header=BB302_10 Depth=1
	s_delay_alu instid0(SALU_CYCLE_1) | instskip(SKIP_2) | instid1(VALU_DEP_1)
	s_or_b32 exec_lo, exec_lo, s6
	v_lshrrev_b32_e32 v8, 16, v4
	s_mov_b32 s6, exec_lo
	v_and_b32_e32 v0, 0xff, v8
	s_delay_alu instid0(VALU_DEP_1)
	v_cmpx_ne_u16_e32 0, v0
	s_cbranch_execz .LBB302_1378
; %bb.1371:                             ;   in Loop: Header=BB302_10 Depth=1
	v_cmp_ne_u16_e64 s1, 0x80, v0
	v_mov_b32_e32 v0, 0x8000
	scratch_store_b32 off, v0, s32 offset:636 ; 4-byte Folded Spill
	s_wait_xcnt 0x0
	s_and_saveexec_b32 s7, s1
	s_cbranch_execz .LBB302_1377
; %bb.1372:                             ;   in Loop: Header=BB302_10 Depth=1
	v_bfe_u32 v6, v4, 16, 7
	v_mov_b32_e32 v0, 0x7c01
	s_mov_b32 s8, exec_lo
	scratch_store_b32 off, v0, s32 offset:636 ; 4-byte Folded Spill
	s_wait_xcnt 0x0
	v_cmpx_ne_u32_e32 0x7f, v6
	s_cbranch_execz .LBB302_1376
; %bb.1373:                             ;   in Loop: Header=BB302_10 Depth=1
	v_dual_lshrrev_b32 v1, 3, v6 :: v_dual_bitop2_b32 v0, 7, v8 bitop3:0x40
	s_mov_b32 s11, exec_lo
	v_cmpx_gt_u32_e32 8, v6
; %bb.1374:                             ;   in Loop: Header=BB302_10 Depth=1
	s_delay_alu instid0(VALU_DEP_2) | instskip(NEXT) | instid1(VALU_DEP_1)
	v_clz_i32_u32_e32 v0, v0
	v_min_u32_e32 v6, 32, v0
	s_delay_alu instid0(VALU_DEP_1) | instskip(NEXT) | instid1(VALU_DEP_1)
	v_subrev_nc_u32_e32 v0, 28, v6
	v_lshlrev_b64_e32 v[0:1], v0, v[8:9]
	s_delay_alu instid0(VALU_DEP_1)
	v_dual_sub_nc_u32 v1, 29, v6 :: v_dual_bitop2_b32 v0, 7, v0 bitop3:0x40
; %bb.1375:                             ;   in Loop: Header=BB302_10 Depth=1
	s_or_b32 exec_lo, exec_lo, s11
	v_lshlrev_b32_e32 v6, 8, v8
	s_delay_alu instid0(VALU_DEP_2) | instskip(NEXT) | instid1(VALU_DEP_3)
	v_lshl_add_u32 v1, v1, 10, 0x2000
	v_lshlrev_b32_e32 v0, 7, v0
	s_delay_alu instid0(VALU_DEP_3) | instskip(NEXT) | instid1(VALU_DEP_3)
	v_and_b32_e32 v6, 0x8000, v6
	v_and_b32_e32 v1, 0xfc00, v1
	s_delay_alu instid0(VALU_DEP_1)
	v_or3_b32 v0, v6, v1, v0
	scratch_store_b32 off, v0, s32 offset:636 ; 4-byte Folded Spill
.LBB302_1376:                           ;   in Loop: Header=BB302_10 Depth=1
	s_wait_xcnt 0x0
	s_or_b32 exec_lo, exec_lo, s8
.LBB302_1377:                           ;   in Loop: Header=BB302_10 Depth=1
	s_delay_alu instid0(SALU_CYCLE_1)
	s_or_b32 exec_lo, exec_lo, s7
.LBB302_1378:                           ;   in Loop: Header=BB302_10 Depth=1
	s_delay_alu instid0(SALU_CYCLE_1)
	s_or_b32 exec_lo, exec_lo, s6
	v_dual_mov_b32 v0, 0 :: v_dual_mov_b32 v119, 0
	s_mov_b32 s6, exec_lo
	scratch_store_b32 off, v0, s32 offset:640 ; 4-byte Folded Spill
	s_wait_xcnt 0x0
	v_cmpx_lt_u32_e32 0xffffff, v4
	s_cbranch_execz .LBB302_1386
; %bb.1379:                             ;   in Loop: Header=BB302_10 Depth=1
	v_lshrrev_b32_e32 v14, 24, v4
	v_bfrev_b32_e32 v119, 1
	s_mov_b32 s7, exec_lo
	s_delay_alu instid0(VALU_DEP_2)
	v_cmpx_ne_u32_e32 0x80, v14
	s_cbranch_execz .LBB302_1385
; %bb.1380:                             ;   in Loop: Header=BB302_10 Depth=1
	v_and_b32_e32 v6, 0x7f, v14
	v_mov_b32_e32 v119, 0x7c010000
	s_mov_b32 s8, exec_lo
	s_delay_alu instid0(VALU_DEP_2)
	v_cmpx_ne_u32_e32 0x7f, v6
	s_cbranch_execz .LBB302_1384
; %bb.1381:                             ;   in Loop: Header=BB302_10 Depth=1
	v_and_b32_e32 v0, 7, v14
	v_lshrrev_b32_e32 v1, 3, v6
	s_mov_b32 s11, exec_lo
	v_cmpx_gt_u32_e32 8, v6
; %bb.1382:                             ;   in Loop: Header=BB302_10 Depth=1
	s_delay_alu instid0(VALU_DEP_3) | instskip(NEXT) | instid1(VALU_DEP_1)
	v_clz_i32_u32_e32 v0, v0
	v_min_u32_e32 v6, 32, v0
	s_delay_alu instid0(VALU_DEP_1) | instskip(NEXT) | instid1(VALU_DEP_1)
	v_subrev_nc_u32_e32 v0, 28, v6
	v_lshlrev_b64_e32 v[0:1], v0, v[14:15]
	s_delay_alu instid0(VALU_DEP_1)
	v_dual_sub_nc_u32 v1, 29, v6 :: v_dual_bitop2_b32 v0, 7, v0 bitop3:0x40
; %bb.1383:                             ;   in Loop: Header=BB302_10 Depth=1
	s_or_b32 exec_lo, exec_lo, s11
	s_delay_alu instid0(VALU_DEP_1) | instskip(NEXT) | instid1(VALU_DEP_2)
	v_dual_lshlrev_b32 v6, 8, v14 :: v_dual_lshlrev_b32 v0, 23, v0
	v_lshl_add_u32 v1, v1, 10, 0x2000
	s_delay_alu instid0(VALU_DEP_1) | instskip(NEXT) | instid1(VALU_DEP_1)
	v_and_or_b32 v1, 0x8000, v6, v1
	v_lshl_or_b32 v119, v1, 16, v0
.LBB302_1384:                           ;   in Loop: Header=BB302_10 Depth=1
	s_or_b32 exec_lo, exec_lo, s8
.LBB302_1385:                           ;   in Loop: Header=BB302_10 Depth=1
	s_delay_alu instid0(SALU_CYCLE_1)
	s_or_b32 exec_lo, exec_lo, s7
.LBB302_1386:                           ;   in Loop: Header=BB302_10 Depth=1
	s_delay_alu instid0(SALU_CYCLE_1) | instskip(SKIP_3) | instid1(VALU_DEP_2)
	s_or_b32 exec_lo, exec_lo, s6
	v_and_b32_e32 v0, 0xff, v5
	v_mov_b32_e32 v14, v5
	s_mov_b32 s6, exec_lo
	v_cmpx_ne_u16_e32 0, v0
	s_cbranch_execz .LBB302_1394
; %bb.1387:                             ;   in Loop: Header=BB302_10 Depth=1
	v_cmp_ne_u16_e64 s1, 0x80, v0
	v_mov_b32_e32 v0, 0x8000
	scratch_store_b32 off, v0, s32 offset:640 ; 4-byte Folded Spill
	s_wait_xcnt 0x0
	s_and_saveexec_b32 s7, s1
	s_cbranch_execz .LBB302_1393
; %bb.1388:                             ;   in Loop: Header=BB302_10 Depth=1
	v_and_b32_e32 v6, 0x7f, v5
	v_mov_b32_e32 v0, 0x7c01
	s_mov_b32 s8, exec_lo
	scratch_store_b32 off, v0, s32 offset:640 ; 4-byte Folded Spill
	s_wait_xcnt 0x0
	v_cmpx_ne_u32_e32 0x7f, v6
	s_cbranch_execz .LBB302_1392
; %bb.1389:                             ;   in Loop: Header=BB302_10 Depth=1
	v_dual_lshrrev_b32 v1, 3, v6 :: v_dual_bitop2_b32 v0, 7, v5 bitop3:0x40
	s_mov_b32 s11, exec_lo
	v_cmpx_gt_u32_e32 8, v6
; %bb.1390:                             ;   in Loop: Header=BB302_10 Depth=1
	s_delay_alu instid0(VALU_DEP_2) | instskip(NEXT) | instid1(VALU_DEP_1)
	v_clz_i32_u32_e32 v0, v0
	v_min_u32_e32 v6, 32, v0
	s_delay_alu instid0(VALU_DEP_1) | instskip(NEXT) | instid1(VALU_DEP_1)
	v_subrev_nc_u32_e32 v0, 28, v6
	v_lshlrev_b64_e32 v[0:1], v0, v[14:15]
	s_delay_alu instid0(VALU_DEP_1)
	v_dual_sub_nc_u32 v1, 29, v6 :: v_dual_bitop2_b32 v0, 7, v0 bitop3:0x40
; %bb.1391:                             ;   in Loop: Header=BB302_10 Depth=1
	s_or_b32 exec_lo, exec_lo, s11
	s_delay_alu instid0(VALU_DEP_1) | instskip(NEXT) | instid1(VALU_DEP_2)
	v_dual_lshlrev_b32 v6, 8, v5 :: v_dual_lshlrev_b32 v0, 7, v0
	v_lshl_add_u32 v1, v1, 10, 0x2000
	s_delay_alu instid0(VALU_DEP_2) | instskip(NEXT) | instid1(VALU_DEP_2)
	v_and_b32_e32 v6, 0x8000, v6
	v_and_b32_e32 v1, 0xfc00, v1
	s_delay_alu instid0(VALU_DEP_1)
	v_or3_b32 v0, v6, v1, v0
	scratch_store_b32 off, v0, s32 offset:640 ; 4-byte Folded Spill
.LBB302_1392:                           ;   in Loop: Header=BB302_10 Depth=1
	s_wait_xcnt 0x0
	s_or_b32 exec_lo, exec_lo, s8
.LBB302_1393:                           ;   in Loop: Header=BB302_10 Depth=1
	s_delay_alu instid0(SALU_CYCLE_1)
	s_or_b32 exec_lo, exec_lo, s7
.LBB302_1394:                           ;   in Loop: Header=BB302_10 Depth=1
	s_delay_alu instid0(SALU_CYCLE_1)
	s_or_b32 exec_lo, exec_lo, s6
	v_lshrrev_b16 v14, 8, v14
	v_dual_mov_b32 v0, 0 :: v_dual_mov_b32 v43, 0
	s_mov_b32 s6, exec_lo
	scratch_store_b32 off, v0, s32 offset:644 ; 4-byte Folded Spill
	s_wait_xcnt 0x0
	v_cmpx_ne_u16_e32 0, v14
	s_cbranch_execz .LBB302_1402
; %bb.1395:                             ;   in Loop: Header=BB302_10 Depth=1
	v_bfrev_b32_e32 v43, 1
	s_mov_b32 s7, exec_lo
	v_cmpx_ne_u16_e32 0x80, v14
	s_cbranch_execz .LBB302_1401
; %bb.1396:                             ;   in Loop: Header=BB302_10 Depth=1
	v_and_b32_e32 v0, 0xffff, v14
	v_mov_b32_e32 v43, 0x7c010000
	s_mov_b32 s8, exec_lo
	s_delay_alu instid0(VALU_DEP_2) | instskip(NEXT) | instid1(VALU_DEP_1)
	v_and_b32_e32 v7, 0x7f, v0
	v_cmpx_ne_u32_e32 0x7f, v7
	s_cbranch_execz .LBB302_1400
; %bb.1397:                             ;   in Loop: Header=BB302_10 Depth=1
	v_dual_lshrrev_b32 v6, 3, v7 :: v_dual_bitop2_b32 v1, 7, v0 bitop3:0x40
	s_mov_b32 s11, exec_lo
	v_cmpx_gt_u32_e32 8, v7
; %bb.1398:                             ;   in Loop: Header=BB302_10 Depth=1
	s_delay_alu instid0(VALU_DEP_2) | instskip(NEXT) | instid1(VALU_DEP_1)
	v_clz_i32_u32_e32 v1, v1
	v_min_u32_e32 v1, 32, v1
	s_delay_alu instid0(VALU_DEP_1) | instskip(NEXT) | instid1(VALU_DEP_1)
	v_subrev_nc_u32_e32 v6, 28, v1
	v_lshlrev_b64_e32 v[8:9], v6, v[14:15]
	s_delay_alu instid0(VALU_DEP_1)
	v_dual_sub_nc_u32 v6, 29, v1 :: v_dual_bitop2_b32 v1, 7, v8 bitop3:0x40
; %bb.1399:                             ;   in Loop: Header=BB302_10 Depth=1
	s_or_b32 exec_lo, exec_lo, s11
	s_delay_alu instid0(VALU_DEP_1) | instskip(NEXT) | instid1(VALU_DEP_2)
	v_dual_lshlrev_b32 v0, 8, v0 :: v_dual_lshlrev_b32 v1, 23, v1
	v_lshl_add_u32 v6, v6, 10, 0x2000
	s_delay_alu instid0(VALU_DEP_1) | instskip(NEXT) | instid1(VALU_DEP_1)
	v_and_or_b32 v0, 0x8000, v0, v6
	v_lshl_or_b32 v43, v0, 16, v1
.LBB302_1400:                           ;   in Loop: Header=BB302_10 Depth=1
	s_or_b32 exec_lo, exec_lo, s8
.LBB302_1401:                           ;   in Loop: Header=BB302_10 Depth=1
	s_delay_alu instid0(SALU_CYCLE_1)
	s_or_b32 exec_lo, exec_lo, s7
.LBB302_1402:                           ;   in Loop: Header=BB302_10 Depth=1
	s_delay_alu instid0(SALU_CYCLE_1) | instskip(SKIP_2) | instid1(VALU_DEP_1)
	s_or_b32 exec_lo, exec_lo, s6
	v_lshrrev_b32_e32 v8, 16, v5
	s_mov_b32 s6, exec_lo
	v_and_b32_e32 v0, 0xff, v8
	s_delay_alu instid0(VALU_DEP_1)
	v_cmpx_ne_u16_e32 0, v0
	s_cbranch_execz .LBB302_1410
; %bb.1403:                             ;   in Loop: Header=BB302_10 Depth=1
	v_cmp_ne_u16_e64 s1, 0x80, v0
	v_mov_b32_e32 v0, 0x8000
	scratch_store_b32 off, v0, s32 offset:644 ; 4-byte Folded Spill
	s_wait_xcnt 0x0
	s_and_saveexec_b32 s7, s1
	s_cbranch_execz .LBB302_1409
; %bb.1404:                             ;   in Loop: Header=BB302_10 Depth=1
	v_bfe_u32 v6, v5, 16, 7
	v_mov_b32_e32 v0, 0x7c01
	s_mov_b32 s8, exec_lo
	scratch_store_b32 off, v0, s32 offset:644 ; 4-byte Folded Spill
	s_wait_xcnt 0x0
	v_cmpx_ne_u32_e32 0x7f, v6
	s_cbranch_execz .LBB302_1408
; %bb.1405:                             ;   in Loop: Header=BB302_10 Depth=1
	v_dual_lshrrev_b32 v1, 3, v6 :: v_dual_bitop2_b32 v0, 7, v8 bitop3:0x40
	s_mov_b32 s11, exec_lo
	v_cmpx_gt_u32_e32 8, v6
; %bb.1406:                             ;   in Loop: Header=BB302_10 Depth=1
	s_delay_alu instid0(VALU_DEP_2) | instskip(NEXT) | instid1(VALU_DEP_1)
	v_clz_i32_u32_e32 v0, v0
	v_min_u32_e32 v6, 32, v0
	s_delay_alu instid0(VALU_DEP_1) | instskip(NEXT) | instid1(VALU_DEP_1)
	v_subrev_nc_u32_e32 v0, 28, v6
	v_lshlrev_b64_e32 v[0:1], v0, v[8:9]
	s_delay_alu instid0(VALU_DEP_1)
	v_dual_sub_nc_u32 v1, 29, v6 :: v_dual_bitop2_b32 v0, 7, v0 bitop3:0x40
; %bb.1407:                             ;   in Loop: Header=BB302_10 Depth=1
	s_or_b32 exec_lo, exec_lo, s11
	v_lshlrev_b32_e32 v6, 8, v8
	s_delay_alu instid0(VALU_DEP_2) | instskip(NEXT) | instid1(VALU_DEP_3)
	v_lshl_add_u32 v1, v1, 10, 0x2000
	v_lshlrev_b32_e32 v0, 7, v0
	s_delay_alu instid0(VALU_DEP_3) | instskip(NEXT) | instid1(VALU_DEP_3)
	v_and_b32_e32 v6, 0x8000, v6
	v_and_b32_e32 v1, 0xfc00, v1
	s_delay_alu instid0(VALU_DEP_1)
	v_or3_b32 v0, v6, v1, v0
	scratch_store_b32 off, v0, s32 offset:644 ; 4-byte Folded Spill
.LBB302_1408:                           ;   in Loop: Header=BB302_10 Depth=1
	s_wait_xcnt 0x0
	s_or_b32 exec_lo, exec_lo, s8
.LBB302_1409:                           ;   in Loop: Header=BB302_10 Depth=1
	s_delay_alu instid0(SALU_CYCLE_1)
	s_or_b32 exec_lo, exec_lo, s7
.LBB302_1410:                           ;   in Loop: Header=BB302_10 Depth=1
	s_delay_alu instid0(SALU_CYCLE_1)
	s_or_b32 exec_lo, exec_lo, s6
	v_dual_mov_b32 v0, 0 :: v_dual_mov_b32 v97, 0
	s_mov_b32 s6, exec_lo
	scratch_store_b32 off, v0, s32 offset:648 ; 4-byte Folded Spill
	s_wait_xcnt 0x0
	v_cmpx_lt_u64_e64 s[2:3], v[4:5]
	s_cbranch_execz .LBB302_1418
; %bb.1411:                             ;   in Loop: Header=BB302_10 Depth=1
	v_lshrrev_b32_e32 v14, 24, v5
	v_bfrev_b32_e32 v97, 1
	s_mov_b32 s7, exec_lo
	s_delay_alu instid0(VALU_DEP_2)
	v_cmpx_ne_u32_e32 0x80, v14
	s_cbranch_execz .LBB302_1417
; %bb.1412:                             ;   in Loop: Header=BB302_10 Depth=1
	v_and_b32_e32 v4, 0x7f, v14
	v_mov_b32_e32 v97, 0x7c010000
	s_mov_b32 s8, exec_lo
	s_delay_alu instid0(VALU_DEP_2)
	v_cmpx_ne_u32_e32 0x7f, v4
	s_cbranch_execz .LBB302_1416
; %bb.1413:                             ;   in Loop: Header=BB302_10 Depth=1
	v_dual_lshrrev_b32 v1, 3, v4 :: v_dual_bitop2_b32 v0, 7, v14 bitop3:0x40
	s_mov_b32 s11, exec_lo
	v_cmpx_gt_u32_e32 8, v4
; %bb.1414:                             ;   in Loop: Header=BB302_10 Depth=1
	s_delay_alu instid0(VALU_DEP_2) | instskip(NEXT) | instid1(VALU_DEP_1)
	v_clz_i32_u32_e32 v0, v0
	v_min_u32_e32 v4, 32, v0
	s_delay_alu instid0(VALU_DEP_1) | instskip(NEXT) | instid1(VALU_DEP_1)
	v_subrev_nc_u32_e32 v0, 28, v4
	v_lshlrev_b64_e32 v[0:1], v0, v[14:15]
	v_sub_nc_u32_e32 v1, 29, v4
	s_delay_alu instid0(VALU_DEP_2)
	v_and_b32_e32 v0, 7, v0
; %bb.1415:                             ;   in Loop: Header=BB302_10 Depth=1
	s_or_b32 exec_lo, exec_lo, s11
	s_delay_alu instid0(VALU_DEP_1) | instskip(NEXT) | instid1(VALU_DEP_3)
	v_dual_lshlrev_b32 v4, 8, v14 :: v_dual_lshlrev_b32 v0, 23, v0
	v_lshl_add_u32 v1, v1, 10, 0x2000
	s_delay_alu instid0(VALU_DEP_1) | instskip(NEXT) | instid1(VALU_DEP_1)
	v_and_or_b32 v1, 0x8000, v4, v1
	v_lshl_or_b32 v97, v1, 16, v0
.LBB302_1416:                           ;   in Loop: Header=BB302_10 Depth=1
	s_or_b32 exec_lo, exec_lo, s8
.LBB302_1417:                           ;   in Loop: Header=BB302_10 Depth=1
	s_delay_alu instid0(SALU_CYCLE_1)
	s_or_b32 exec_lo, exec_lo, s7
.LBB302_1418:                           ;   in Loop: Header=BB302_10 Depth=1
	s_delay_alu instid0(SALU_CYCLE_1)
	s_or_b32 exec_lo, exec_lo, s6
	flat_load_b64 v[4:5], v[2:3] offset:5632
	s_mov_b32 s6, exec_lo
	s_wait_loadcnt_dscnt 0x0
	v_and_b32_e32 v0, 0xff, v4
	s_wait_xcnt 0x0
	s_delay_alu instid0(VALU_DEP_1)
	v_cmpx_ne_u16_e32 0, v0
	s_cbranch_execz .LBB302_1426
; %bb.1419:                             ;   in Loop: Header=BB302_10 Depth=1
	v_cmp_ne_u16_e64 s1, 0x80, v0
	v_mov_b32_e32 v0, 0x8000
	scratch_store_b32 off, v0, s32 offset:648 ; 4-byte Folded Spill
	s_wait_xcnt 0x0
	s_and_saveexec_b32 s7, s1
	s_cbranch_execz .LBB302_1425
; %bb.1420:                             ;   in Loop: Header=BB302_10 Depth=1
	v_and_b32_e32 v6, 0x7f, v4
	v_mov_b32_e32 v0, 0x7c01
	s_mov_b32 s8, exec_lo
	scratch_store_b32 off, v0, s32 offset:648 ; 4-byte Folded Spill
	s_wait_xcnt 0x0
	v_cmpx_ne_u32_e32 0x7f, v6
	s_cbranch_execz .LBB302_1424
; %bb.1421:                             ;   in Loop: Header=BB302_10 Depth=1
	v_dual_lshrrev_b32 v1, 3, v6 :: v_dual_bitop2_b32 v0, 7, v4 bitop3:0x40
	s_mov_b32 s11, exec_lo
	v_cmpx_gt_u32_e32 8, v6
; %bb.1422:                             ;   in Loop: Header=BB302_10 Depth=1
	s_delay_alu instid0(VALU_DEP_2) | instskip(NEXT) | instid1(VALU_DEP_1)
	v_clz_i32_u32_e32 v0, v0
	v_min_u32_e32 v6, 32, v0
	s_delay_alu instid0(VALU_DEP_1) | instskip(NEXT) | instid1(VALU_DEP_1)
	v_subrev_nc_u32_e32 v0, 28, v6
	v_lshlrev_b64_e32 v[0:1], v0, v[4:5]
	s_delay_alu instid0(VALU_DEP_1)
	v_dual_sub_nc_u32 v1, 29, v6 :: v_dual_bitop2_b32 v0, 7, v0 bitop3:0x40
; %bb.1423:                             ;   in Loop: Header=BB302_10 Depth=1
	s_or_b32 exec_lo, exec_lo, s11
	v_lshlrev_b32_e32 v6, 8, v4
	s_delay_alu instid0(VALU_DEP_2) | instskip(NEXT) | instid1(VALU_DEP_3)
	v_lshl_add_u32 v1, v1, 10, 0x2000
	v_lshlrev_b32_e32 v0, 7, v0
	s_delay_alu instid0(VALU_DEP_3) | instskip(NEXT) | instid1(VALU_DEP_3)
	v_and_b32_e32 v6, 0x8000, v6
	v_and_b32_e32 v1, 0xfc00, v1
	s_delay_alu instid0(VALU_DEP_1)
	v_or3_b32 v0, v6, v1, v0
	scratch_store_b32 off, v0, s32 offset:648 ; 4-byte Folded Spill
.LBB302_1424:                           ;   in Loop: Header=BB302_10 Depth=1
	s_wait_xcnt 0x0
	s_or_b32 exec_lo, exec_lo, s8
.LBB302_1425:                           ;   in Loop: Header=BB302_10 Depth=1
	s_delay_alu instid0(SALU_CYCLE_1)
	s_or_b32 exec_lo, exec_lo, s7
.LBB302_1426:                           ;   in Loop: Header=BB302_10 Depth=1
	s_delay_alu instid0(SALU_CYCLE_1)
	s_or_b32 exec_lo, exec_lo, s6
	v_lshrrev_b16 v14, 8, v4
	v_dual_mov_b32 v0, 0 :: v_dual_mov_b32 v42, 0
	s_mov_b32 s6, exec_lo
	scratch_store_b32 off, v0, s32 offset:652 ; 4-byte Folded Spill
	s_wait_xcnt 0x0
	v_cmpx_ne_u16_e32 0, v14
	s_cbranch_execz .LBB302_1434
; %bb.1427:                             ;   in Loop: Header=BB302_10 Depth=1
	v_bfrev_b32_e32 v42, 1
	s_mov_b32 s7, exec_lo
	v_cmpx_ne_u16_e32 0x80, v14
	s_cbranch_execz .LBB302_1433
; %bb.1428:                             ;   in Loop: Header=BB302_10 Depth=1
	v_and_b32_e32 v0, 0xffff, v14
	v_mov_b32_e32 v42, 0x7c010000
	s_mov_b32 s8, exec_lo
	s_delay_alu instid0(VALU_DEP_2) | instskip(NEXT) | instid1(VALU_DEP_1)
	v_and_b32_e32 v7, 0x7f, v0
	v_cmpx_ne_u32_e32 0x7f, v7
	s_cbranch_execz .LBB302_1432
; %bb.1429:                             ;   in Loop: Header=BB302_10 Depth=1
	v_dual_lshrrev_b32 v6, 3, v7 :: v_dual_bitop2_b32 v1, 7, v0 bitop3:0x40
	s_mov_b32 s11, exec_lo
	v_cmpx_gt_u32_e32 8, v7
; %bb.1430:                             ;   in Loop: Header=BB302_10 Depth=1
	s_delay_alu instid0(VALU_DEP_2) | instskip(NEXT) | instid1(VALU_DEP_1)
	v_clz_i32_u32_e32 v1, v1
	v_min_u32_e32 v1, 32, v1
	s_delay_alu instid0(VALU_DEP_1) | instskip(NEXT) | instid1(VALU_DEP_1)
	v_subrev_nc_u32_e32 v6, 28, v1
	v_lshlrev_b64_e32 v[8:9], v6, v[14:15]
	s_delay_alu instid0(VALU_DEP_1)
	v_dual_sub_nc_u32 v6, 29, v1 :: v_dual_bitop2_b32 v1, 7, v8 bitop3:0x40
; %bb.1431:                             ;   in Loop: Header=BB302_10 Depth=1
	s_or_b32 exec_lo, exec_lo, s11
	s_delay_alu instid0(VALU_DEP_1) | instskip(NEXT) | instid1(VALU_DEP_2)
	v_dual_lshlrev_b32 v0, 8, v0 :: v_dual_lshlrev_b32 v1, 23, v1
	v_lshl_add_u32 v6, v6, 10, 0x2000
	s_delay_alu instid0(VALU_DEP_1) | instskip(NEXT) | instid1(VALU_DEP_1)
	v_and_or_b32 v0, 0x8000, v0, v6
	v_lshl_or_b32 v42, v0, 16, v1
.LBB302_1432:                           ;   in Loop: Header=BB302_10 Depth=1
	s_or_b32 exec_lo, exec_lo, s8
.LBB302_1433:                           ;   in Loop: Header=BB302_10 Depth=1
	s_delay_alu instid0(SALU_CYCLE_1)
	s_or_b32 exec_lo, exec_lo, s7
.LBB302_1434:                           ;   in Loop: Header=BB302_10 Depth=1
	s_delay_alu instid0(SALU_CYCLE_1) | instskip(SKIP_2) | instid1(VALU_DEP_1)
	s_or_b32 exec_lo, exec_lo, s6
	v_lshrrev_b32_e32 v8, 16, v4
	s_mov_b32 s6, exec_lo
	v_and_b32_e32 v0, 0xff, v8
	s_delay_alu instid0(VALU_DEP_1)
	v_cmpx_ne_u16_e32 0, v0
	s_cbranch_execz .LBB302_1442
; %bb.1435:                             ;   in Loop: Header=BB302_10 Depth=1
	v_cmp_ne_u16_e64 s1, 0x80, v0
	v_mov_b32_e32 v0, 0x8000
	scratch_store_b32 off, v0, s32 offset:652 ; 4-byte Folded Spill
	s_wait_xcnt 0x0
	s_and_saveexec_b32 s7, s1
	s_cbranch_execz .LBB302_1441
; %bb.1436:                             ;   in Loop: Header=BB302_10 Depth=1
	v_bfe_u32 v6, v4, 16, 7
	v_mov_b32_e32 v0, 0x7c01
	s_mov_b32 s8, exec_lo
	scratch_store_b32 off, v0, s32 offset:652 ; 4-byte Folded Spill
	s_wait_xcnt 0x0
	v_cmpx_ne_u32_e32 0x7f, v6
	s_cbranch_execz .LBB302_1440
; %bb.1437:                             ;   in Loop: Header=BB302_10 Depth=1
	v_dual_lshrrev_b32 v1, 3, v6 :: v_dual_bitop2_b32 v0, 7, v8 bitop3:0x40
	s_mov_b32 s11, exec_lo
	v_cmpx_gt_u32_e32 8, v6
; %bb.1438:                             ;   in Loop: Header=BB302_10 Depth=1
	s_delay_alu instid0(VALU_DEP_2) | instskip(NEXT) | instid1(VALU_DEP_1)
	v_clz_i32_u32_e32 v0, v0
	v_min_u32_e32 v6, 32, v0
	s_delay_alu instid0(VALU_DEP_1) | instskip(NEXT) | instid1(VALU_DEP_1)
	v_subrev_nc_u32_e32 v0, 28, v6
	v_lshlrev_b64_e32 v[0:1], v0, v[8:9]
	s_delay_alu instid0(VALU_DEP_1)
	v_dual_sub_nc_u32 v1, 29, v6 :: v_dual_bitop2_b32 v0, 7, v0 bitop3:0x40
; %bb.1439:                             ;   in Loop: Header=BB302_10 Depth=1
	s_or_b32 exec_lo, exec_lo, s11
	v_lshlrev_b32_e32 v6, 8, v8
	s_delay_alu instid0(VALU_DEP_2) | instskip(NEXT) | instid1(VALU_DEP_3)
	v_lshl_add_u32 v1, v1, 10, 0x2000
	v_lshlrev_b32_e32 v0, 7, v0
	s_delay_alu instid0(VALU_DEP_3) | instskip(NEXT) | instid1(VALU_DEP_3)
	v_and_b32_e32 v6, 0x8000, v6
	v_and_b32_e32 v1, 0xfc00, v1
	s_delay_alu instid0(VALU_DEP_1)
	v_or3_b32 v0, v6, v1, v0
	scratch_store_b32 off, v0, s32 offset:652 ; 4-byte Folded Spill
.LBB302_1440:                           ;   in Loop: Header=BB302_10 Depth=1
	s_wait_xcnt 0x0
	s_or_b32 exec_lo, exec_lo, s8
.LBB302_1441:                           ;   in Loop: Header=BB302_10 Depth=1
	s_delay_alu instid0(SALU_CYCLE_1)
	s_or_b32 exec_lo, exec_lo, s7
.LBB302_1442:                           ;   in Loop: Header=BB302_10 Depth=1
	s_delay_alu instid0(SALU_CYCLE_1)
	s_or_b32 exec_lo, exec_lo, s6
	v_dual_mov_b32 v0, 0 :: v_dual_mov_b32 v95, 0
	s_mov_b32 s6, exec_lo
	scratch_store_b32 off, v0, s32 offset:656 ; 4-byte Folded Spill
	s_wait_xcnt 0x0
	v_cmpx_lt_u32_e32 0xffffff, v4
	s_cbranch_execz .LBB302_1450
; %bb.1443:                             ;   in Loop: Header=BB302_10 Depth=1
	v_lshrrev_b32_e32 v14, 24, v4
	v_bfrev_b32_e32 v95, 1
	s_mov_b32 s7, exec_lo
	s_delay_alu instid0(VALU_DEP_2)
	v_cmpx_ne_u32_e32 0x80, v14
	s_cbranch_execz .LBB302_1449
; %bb.1444:                             ;   in Loop: Header=BB302_10 Depth=1
	v_and_b32_e32 v6, 0x7f, v14
	v_mov_b32_e32 v95, 0x7c010000
	s_mov_b32 s8, exec_lo
	s_delay_alu instid0(VALU_DEP_2)
	v_cmpx_ne_u32_e32 0x7f, v6
	s_cbranch_execz .LBB302_1448
; %bb.1445:                             ;   in Loop: Header=BB302_10 Depth=1
	v_and_b32_e32 v0, 7, v14
	v_lshrrev_b32_e32 v1, 3, v6
	s_mov_b32 s11, exec_lo
	v_cmpx_gt_u32_e32 8, v6
; %bb.1446:                             ;   in Loop: Header=BB302_10 Depth=1
	s_delay_alu instid0(VALU_DEP_3) | instskip(NEXT) | instid1(VALU_DEP_1)
	v_clz_i32_u32_e32 v0, v0
	v_min_u32_e32 v6, 32, v0
	s_delay_alu instid0(VALU_DEP_1) | instskip(NEXT) | instid1(VALU_DEP_1)
	v_subrev_nc_u32_e32 v0, 28, v6
	v_lshlrev_b64_e32 v[0:1], v0, v[14:15]
	s_delay_alu instid0(VALU_DEP_1)
	v_dual_sub_nc_u32 v1, 29, v6 :: v_dual_bitop2_b32 v0, 7, v0 bitop3:0x40
; %bb.1447:                             ;   in Loop: Header=BB302_10 Depth=1
	s_or_b32 exec_lo, exec_lo, s11
	s_delay_alu instid0(VALU_DEP_1) | instskip(NEXT) | instid1(VALU_DEP_2)
	v_dual_lshlrev_b32 v6, 8, v14 :: v_dual_lshlrev_b32 v0, 23, v0
	v_lshl_add_u32 v1, v1, 10, 0x2000
	s_delay_alu instid0(VALU_DEP_1) | instskip(NEXT) | instid1(VALU_DEP_1)
	v_and_or_b32 v1, 0x8000, v6, v1
	v_lshl_or_b32 v95, v1, 16, v0
.LBB302_1448:                           ;   in Loop: Header=BB302_10 Depth=1
	s_or_b32 exec_lo, exec_lo, s8
.LBB302_1449:                           ;   in Loop: Header=BB302_10 Depth=1
	s_delay_alu instid0(SALU_CYCLE_1)
	s_or_b32 exec_lo, exec_lo, s7
.LBB302_1450:                           ;   in Loop: Header=BB302_10 Depth=1
	s_delay_alu instid0(SALU_CYCLE_1) | instskip(SKIP_3) | instid1(VALU_DEP_2)
	s_or_b32 exec_lo, exec_lo, s6
	v_and_b32_e32 v0, 0xff, v5
	v_mov_b32_e32 v14, v5
	s_mov_b32 s6, exec_lo
	v_cmpx_ne_u16_e32 0, v0
	s_cbranch_execz .LBB302_1458
; %bb.1451:                             ;   in Loop: Header=BB302_10 Depth=1
	v_cmp_ne_u16_e64 s1, 0x80, v0
	v_mov_b32_e32 v0, 0x8000
	scratch_store_b32 off, v0, s32 offset:656 ; 4-byte Folded Spill
	s_wait_xcnt 0x0
	s_and_saveexec_b32 s7, s1
	s_cbranch_execz .LBB302_1457
; %bb.1452:                             ;   in Loop: Header=BB302_10 Depth=1
	v_and_b32_e32 v6, 0x7f, v5
	v_mov_b32_e32 v0, 0x7c01
	s_mov_b32 s8, exec_lo
	scratch_store_b32 off, v0, s32 offset:656 ; 4-byte Folded Spill
	s_wait_xcnt 0x0
	v_cmpx_ne_u32_e32 0x7f, v6
	s_cbranch_execz .LBB302_1456
; %bb.1453:                             ;   in Loop: Header=BB302_10 Depth=1
	v_dual_lshrrev_b32 v1, 3, v6 :: v_dual_bitop2_b32 v0, 7, v5 bitop3:0x40
	s_mov_b32 s11, exec_lo
	v_cmpx_gt_u32_e32 8, v6
; %bb.1454:                             ;   in Loop: Header=BB302_10 Depth=1
	s_delay_alu instid0(VALU_DEP_2) | instskip(NEXT) | instid1(VALU_DEP_1)
	v_clz_i32_u32_e32 v0, v0
	v_min_u32_e32 v6, 32, v0
	s_delay_alu instid0(VALU_DEP_1) | instskip(NEXT) | instid1(VALU_DEP_1)
	v_subrev_nc_u32_e32 v0, 28, v6
	v_lshlrev_b64_e32 v[0:1], v0, v[14:15]
	s_delay_alu instid0(VALU_DEP_1)
	v_dual_sub_nc_u32 v1, 29, v6 :: v_dual_bitop2_b32 v0, 7, v0 bitop3:0x40
; %bb.1455:                             ;   in Loop: Header=BB302_10 Depth=1
	s_or_b32 exec_lo, exec_lo, s11
	s_delay_alu instid0(VALU_DEP_1) | instskip(NEXT) | instid1(VALU_DEP_2)
	v_dual_lshlrev_b32 v6, 8, v5 :: v_dual_lshlrev_b32 v0, 7, v0
	v_lshl_add_u32 v1, v1, 10, 0x2000
	s_delay_alu instid0(VALU_DEP_2) | instskip(NEXT) | instid1(VALU_DEP_2)
	v_and_b32_e32 v6, 0x8000, v6
	v_and_b32_e32 v1, 0xfc00, v1
	s_delay_alu instid0(VALU_DEP_1)
	v_or3_b32 v0, v6, v1, v0
	scratch_store_b32 off, v0, s32 offset:656 ; 4-byte Folded Spill
.LBB302_1456:                           ;   in Loop: Header=BB302_10 Depth=1
	s_wait_xcnt 0x0
	s_or_b32 exec_lo, exec_lo, s8
.LBB302_1457:                           ;   in Loop: Header=BB302_10 Depth=1
	s_delay_alu instid0(SALU_CYCLE_1)
	s_or_b32 exec_lo, exec_lo, s7
.LBB302_1458:                           ;   in Loop: Header=BB302_10 Depth=1
	s_delay_alu instid0(SALU_CYCLE_1)
	s_or_b32 exec_lo, exec_lo, s6
	v_lshrrev_b16 v14, 8, v14
	v_dual_mov_b32 v0, 0 :: v_dual_mov_b32 v74, 0
	s_mov_b32 s6, exec_lo
	scratch_store_b32 off, v0, s32 offset:660 ; 4-byte Folded Spill
	s_wait_xcnt 0x0
	v_cmpx_ne_u16_e32 0, v14
	s_cbranch_execz .LBB302_1466
; %bb.1459:                             ;   in Loop: Header=BB302_10 Depth=1
	v_bfrev_b32_e32 v74, 1
	s_mov_b32 s7, exec_lo
	v_cmpx_ne_u16_e32 0x80, v14
	s_cbranch_execz .LBB302_1465
; %bb.1460:                             ;   in Loop: Header=BB302_10 Depth=1
	v_and_b32_e32 v0, 0xffff, v14
	v_mov_b32_e32 v74, 0x7c010000
	s_mov_b32 s8, exec_lo
	s_delay_alu instid0(VALU_DEP_2) | instskip(NEXT) | instid1(VALU_DEP_1)
	v_and_b32_e32 v7, 0x7f, v0
	v_cmpx_ne_u32_e32 0x7f, v7
	s_cbranch_execz .LBB302_1464
; %bb.1461:                             ;   in Loop: Header=BB302_10 Depth=1
	v_dual_lshrrev_b32 v6, 3, v7 :: v_dual_bitop2_b32 v1, 7, v0 bitop3:0x40
	s_mov_b32 s11, exec_lo
	v_cmpx_gt_u32_e32 8, v7
; %bb.1462:                             ;   in Loop: Header=BB302_10 Depth=1
	s_delay_alu instid0(VALU_DEP_2) | instskip(NEXT) | instid1(VALU_DEP_1)
	v_clz_i32_u32_e32 v1, v1
	v_min_u32_e32 v1, 32, v1
	s_delay_alu instid0(VALU_DEP_1) | instskip(NEXT) | instid1(VALU_DEP_1)
	v_subrev_nc_u32_e32 v6, 28, v1
	v_lshlrev_b64_e32 v[8:9], v6, v[14:15]
	s_delay_alu instid0(VALU_DEP_1)
	v_dual_sub_nc_u32 v6, 29, v1 :: v_dual_bitop2_b32 v1, 7, v8 bitop3:0x40
; %bb.1463:                             ;   in Loop: Header=BB302_10 Depth=1
	s_or_b32 exec_lo, exec_lo, s11
	s_delay_alu instid0(VALU_DEP_1) | instskip(NEXT) | instid1(VALU_DEP_2)
	v_dual_lshlrev_b32 v0, 8, v0 :: v_dual_lshlrev_b32 v1, 23, v1
	v_lshl_add_u32 v6, v6, 10, 0x2000
	s_delay_alu instid0(VALU_DEP_1) | instskip(NEXT) | instid1(VALU_DEP_1)
	v_and_or_b32 v0, 0x8000, v0, v6
	v_lshl_or_b32 v74, v0, 16, v1
.LBB302_1464:                           ;   in Loop: Header=BB302_10 Depth=1
	s_or_b32 exec_lo, exec_lo, s8
.LBB302_1465:                           ;   in Loop: Header=BB302_10 Depth=1
	s_delay_alu instid0(SALU_CYCLE_1)
	s_or_b32 exec_lo, exec_lo, s7
.LBB302_1466:                           ;   in Loop: Header=BB302_10 Depth=1
	s_delay_alu instid0(SALU_CYCLE_1) | instskip(SKIP_2) | instid1(VALU_DEP_1)
	s_or_b32 exec_lo, exec_lo, s6
	v_lshrrev_b32_e32 v8, 16, v5
	s_mov_b32 s6, exec_lo
	v_and_b32_e32 v0, 0xff, v8
	s_delay_alu instid0(VALU_DEP_1)
	v_cmpx_ne_u16_e32 0, v0
	s_cbranch_execz .LBB302_1474
; %bb.1467:                             ;   in Loop: Header=BB302_10 Depth=1
	v_cmp_ne_u16_e64 s1, 0x80, v0
	v_mov_b32_e32 v0, 0x8000
	scratch_store_b32 off, v0, s32 offset:660 ; 4-byte Folded Spill
	s_wait_xcnt 0x0
	s_and_saveexec_b32 s7, s1
	s_cbranch_execz .LBB302_1473
; %bb.1468:                             ;   in Loop: Header=BB302_10 Depth=1
	v_bfe_u32 v6, v5, 16, 7
	v_mov_b32_e32 v0, 0x7c01
	s_mov_b32 s8, exec_lo
	scratch_store_b32 off, v0, s32 offset:660 ; 4-byte Folded Spill
	s_wait_xcnt 0x0
	v_cmpx_ne_u32_e32 0x7f, v6
	s_cbranch_execz .LBB302_1472
; %bb.1469:                             ;   in Loop: Header=BB302_10 Depth=1
	v_dual_lshrrev_b32 v1, 3, v6 :: v_dual_bitop2_b32 v0, 7, v8 bitop3:0x40
	s_mov_b32 s11, exec_lo
	v_cmpx_gt_u32_e32 8, v6
; %bb.1470:                             ;   in Loop: Header=BB302_10 Depth=1
	s_delay_alu instid0(VALU_DEP_2) | instskip(NEXT) | instid1(VALU_DEP_1)
	v_clz_i32_u32_e32 v0, v0
	v_min_u32_e32 v6, 32, v0
	s_delay_alu instid0(VALU_DEP_1) | instskip(NEXT) | instid1(VALU_DEP_1)
	v_subrev_nc_u32_e32 v0, 28, v6
	v_lshlrev_b64_e32 v[0:1], v0, v[8:9]
	s_delay_alu instid0(VALU_DEP_1)
	v_dual_sub_nc_u32 v1, 29, v6 :: v_dual_bitop2_b32 v0, 7, v0 bitop3:0x40
; %bb.1471:                             ;   in Loop: Header=BB302_10 Depth=1
	s_or_b32 exec_lo, exec_lo, s11
	v_lshlrev_b32_e32 v6, 8, v8
	s_delay_alu instid0(VALU_DEP_2) | instskip(NEXT) | instid1(VALU_DEP_3)
	v_lshl_add_u32 v1, v1, 10, 0x2000
	v_lshlrev_b32_e32 v0, 7, v0
	s_delay_alu instid0(VALU_DEP_3) | instskip(NEXT) | instid1(VALU_DEP_3)
	v_and_b32_e32 v6, 0x8000, v6
	v_and_b32_e32 v1, 0xfc00, v1
	s_delay_alu instid0(VALU_DEP_1)
	v_or3_b32 v0, v6, v1, v0
	scratch_store_b32 off, v0, s32 offset:660 ; 4-byte Folded Spill
.LBB302_1472:                           ;   in Loop: Header=BB302_10 Depth=1
	s_wait_xcnt 0x0
	s_or_b32 exec_lo, exec_lo, s8
.LBB302_1473:                           ;   in Loop: Header=BB302_10 Depth=1
	s_delay_alu instid0(SALU_CYCLE_1)
	s_or_b32 exec_lo, exec_lo, s7
.LBB302_1474:                           ;   in Loop: Header=BB302_10 Depth=1
	s_delay_alu instid0(SALU_CYCLE_1)
	s_or_b32 exec_lo, exec_lo, s6
	v_dual_mov_b32 v0, 0 :: v_dual_mov_b32 v59, 0
	s_mov_b32 s6, exec_lo
	scratch_store_b32 off, v0, s32 offset:664 ; 4-byte Folded Spill
	s_wait_xcnt 0x0
	v_cmpx_lt_u64_e64 s[2:3], v[4:5]
	s_cbranch_execz .LBB302_1482
; %bb.1475:                             ;   in Loop: Header=BB302_10 Depth=1
	v_lshrrev_b32_e32 v14, 24, v5
	v_bfrev_b32_e32 v59, 1
	s_mov_b32 s7, exec_lo
	s_delay_alu instid0(VALU_DEP_2)
	v_cmpx_ne_u32_e32 0x80, v14
	s_cbranch_execz .LBB302_1481
; %bb.1476:                             ;   in Loop: Header=BB302_10 Depth=1
	v_and_b32_e32 v4, 0x7f, v14
	v_mov_b32_e32 v59, 0x7c010000
	s_mov_b32 s8, exec_lo
	s_delay_alu instid0(VALU_DEP_2)
	v_cmpx_ne_u32_e32 0x7f, v4
	s_cbranch_execz .LBB302_1480
; %bb.1477:                             ;   in Loop: Header=BB302_10 Depth=1
	v_dual_lshrrev_b32 v1, 3, v4 :: v_dual_bitop2_b32 v0, 7, v14 bitop3:0x40
	s_mov_b32 s11, exec_lo
	v_cmpx_gt_u32_e32 8, v4
; %bb.1478:                             ;   in Loop: Header=BB302_10 Depth=1
	s_delay_alu instid0(VALU_DEP_2) | instskip(NEXT) | instid1(VALU_DEP_1)
	v_clz_i32_u32_e32 v0, v0
	v_min_u32_e32 v4, 32, v0
	s_delay_alu instid0(VALU_DEP_1) | instskip(NEXT) | instid1(VALU_DEP_1)
	v_subrev_nc_u32_e32 v0, 28, v4
	v_lshlrev_b64_e32 v[0:1], v0, v[14:15]
	v_sub_nc_u32_e32 v1, 29, v4
	s_delay_alu instid0(VALU_DEP_2)
	v_and_b32_e32 v0, 7, v0
; %bb.1479:                             ;   in Loop: Header=BB302_10 Depth=1
	s_or_b32 exec_lo, exec_lo, s11
	s_delay_alu instid0(VALU_DEP_1) | instskip(NEXT) | instid1(VALU_DEP_3)
	v_dual_lshlrev_b32 v4, 8, v14 :: v_dual_lshlrev_b32 v0, 23, v0
	v_lshl_add_u32 v1, v1, 10, 0x2000
	s_delay_alu instid0(VALU_DEP_1) | instskip(NEXT) | instid1(VALU_DEP_1)
	v_and_or_b32 v1, 0x8000, v4, v1
	v_lshl_or_b32 v59, v1, 16, v0
.LBB302_1480:                           ;   in Loop: Header=BB302_10 Depth=1
	s_or_b32 exec_lo, exec_lo, s8
.LBB302_1481:                           ;   in Loop: Header=BB302_10 Depth=1
	s_delay_alu instid0(SALU_CYCLE_1)
	s_or_b32 exec_lo, exec_lo, s7
.LBB302_1482:                           ;   in Loop: Header=BB302_10 Depth=1
	s_delay_alu instid0(SALU_CYCLE_1)
	s_or_b32 exec_lo, exec_lo, s6
	flat_load_b64 v[4:5], v[2:3] offset:5640
	s_mov_b32 s6, exec_lo
	s_wait_loadcnt_dscnt 0x0
	v_and_b32_e32 v0, 0xff, v4
	s_wait_xcnt 0x0
	s_delay_alu instid0(VALU_DEP_1)
	v_cmpx_ne_u16_e32 0, v0
	s_cbranch_execz .LBB302_1490
; %bb.1483:                             ;   in Loop: Header=BB302_10 Depth=1
	v_cmp_ne_u16_e64 s1, 0x80, v0
	v_mov_b32_e32 v0, 0x8000
	scratch_store_b32 off, v0, s32 offset:664 ; 4-byte Folded Spill
	s_wait_xcnt 0x0
	s_and_saveexec_b32 s7, s1
	s_cbranch_execz .LBB302_1489
; %bb.1484:                             ;   in Loop: Header=BB302_10 Depth=1
	v_and_b32_e32 v6, 0x7f, v4
	v_mov_b32_e32 v0, 0x7c01
	s_mov_b32 s8, exec_lo
	scratch_store_b32 off, v0, s32 offset:664 ; 4-byte Folded Spill
	s_wait_xcnt 0x0
	v_cmpx_ne_u32_e32 0x7f, v6
	s_cbranch_execz .LBB302_1488
; %bb.1485:                             ;   in Loop: Header=BB302_10 Depth=1
	v_dual_lshrrev_b32 v1, 3, v6 :: v_dual_bitop2_b32 v0, 7, v4 bitop3:0x40
	s_mov_b32 s11, exec_lo
	v_cmpx_gt_u32_e32 8, v6
; %bb.1486:                             ;   in Loop: Header=BB302_10 Depth=1
	s_delay_alu instid0(VALU_DEP_2) | instskip(NEXT) | instid1(VALU_DEP_1)
	v_clz_i32_u32_e32 v0, v0
	v_min_u32_e32 v6, 32, v0
	s_delay_alu instid0(VALU_DEP_1) | instskip(NEXT) | instid1(VALU_DEP_1)
	v_subrev_nc_u32_e32 v0, 28, v6
	v_lshlrev_b64_e32 v[0:1], v0, v[4:5]
	s_delay_alu instid0(VALU_DEP_1)
	v_dual_sub_nc_u32 v1, 29, v6 :: v_dual_bitop2_b32 v0, 7, v0 bitop3:0x40
; %bb.1487:                             ;   in Loop: Header=BB302_10 Depth=1
	s_or_b32 exec_lo, exec_lo, s11
	v_lshlrev_b32_e32 v6, 8, v4
	s_delay_alu instid0(VALU_DEP_2) | instskip(NEXT) | instid1(VALU_DEP_3)
	v_lshl_add_u32 v1, v1, 10, 0x2000
	v_lshlrev_b32_e32 v0, 7, v0
	s_delay_alu instid0(VALU_DEP_3) | instskip(NEXT) | instid1(VALU_DEP_3)
	v_and_b32_e32 v6, 0x8000, v6
	v_and_b32_e32 v1, 0xfc00, v1
	s_delay_alu instid0(VALU_DEP_1)
	v_or3_b32 v0, v6, v1, v0
	scratch_store_b32 off, v0, s32 offset:664 ; 4-byte Folded Spill
.LBB302_1488:                           ;   in Loop: Header=BB302_10 Depth=1
	s_wait_xcnt 0x0
	s_or_b32 exec_lo, exec_lo, s8
.LBB302_1489:                           ;   in Loop: Header=BB302_10 Depth=1
	s_delay_alu instid0(SALU_CYCLE_1)
	s_or_b32 exec_lo, exec_lo, s7
.LBB302_1490:                           ;   in Loop: Header=BB302_10 Depth=1
	s_delay_alu instid0(SALU_CYCLE_1)
	s_or_b32 exec_lo, exec_lo, s6
	v_lshrrev_b16 v14, 8, v4
	v_dual_mov_b32 v0, 0 :: v_dual_mov_b32 v78, 0
	s_mov_b32 s6, exec_lo
	scratch_store_b32 off, v0, s32 offset:668 ; 4-byte Folded Spill
	s_wait_xcnt 0x0
	v_cmpx_ne_u16_e32 0, v14
	s_cbranch_execz .LBB302_1498
; %bb.1491:                             ;   in Loop: Header=BB302_10 Depth=1
	v_bfrev_b32_e32 v78, 1
	s_mov_b32 s7, exec_lo
	v_cmpx_ne_u16_e32 0x80, v14
	s_cbranch_execz .LBB302_1497
; %bb.1492:                             ;   in Loop: Header=BB302_10 Depth=1
	v_and_b32_e32 v0, 0xffff, v14
	v_mov_b32_e32 v78, 0x7c010000
	s_mov_b32 s8, exec_lo
	s_delay_alu instid0(VALU_DEP_2) | instskip(NEXT) | instid1(VALU_DEP_1)
	v_and_b32_e32 v7, 0x7f, v0
	v_cmpx_ne_u32_e32 0x7f, v7
	s_cbranch_execz .LBB302_1496
; %bb.1493:                             ;   in Loop: Header=BB302_10 Depth=1
	v_dual_lshrrev_b32 v6, 3, v7 :: v_dual_bitop2_b32 v1, 7, v0 bitop3:0x40
	s_mov_b32 s11, exec_lo
	v_cmpx_gt_u32_e32 8, v7
; %bb.1494:                             ;   in Loop: Header=BB302_10 Depth=1
	s_delay_alu instid0(VALU_DEP_2) | instskip(NEXT) | instid1(VALU_DEP_1)
	v_clz_i32_u32_e32 v1, v1
	v_min_u32_e32 v1, 32, v1
	s_delay_alu instid0(VALU_DEP_1) | instskip(NEXT) | instid1(VALU_DEP_1)
	v_subrev_nc_u32_e32 v6, 28, v1
	v_lshlrev_b64_e32 v[8:9], v6, v[14:15]
	s_delay_alu instid0(VALU_DEP_1)
	v_dual_sub_nc_u32 v6, 29, v1 :: v_dual_bitop2_b32 v1, 7, v8 bitop3:0x40
; %bb.1495:                             ;   in Loop: Header=BB302_10 Depth=1
	s_or_b32 exec_lo, exec_lo, s11
	s_delay_alu instid0(VALU_DEP_1) | instskip(NEXT) | instid1(VALU_DEP_2)
	v_dual_lshlrev_b32 v0, 8, v0 :: v_dual_lshlrev_b32 v1, 23, v1
	v_lshl_add_u32 v6, v6, 10, 0x2000
	s_delay_alu instid0(VALU_DEP_1) | instskip(NEXT) | instid1(VALU_DEP_1)
	v_and_or_b32 v0, 0x8000, v0, v6
	v_lshl_or_b32 v78, v0, 16, v1
.LBB302_1496:                           ;   in Loop: Header=BB302_10 Depth=1
	s_or_b32 exec_lo, exec_lo, s8
.LBB302_1497:                           ;   in Loop: Header=BB302_10 Depth=1
	s_delay_alu instid0(SALU_CYCLE_1)
	s_or_b32 exec_lo, exec_lo, s7
.LBB302_1498:                           ;   in Loop: Header=BB302_10 Depth=1
	s_delay_alu instid0(SALU_CYCLE_1) | instskip(SKIP_2) | instid1(VALU_DEP_1)
	s_or_b32 exec_lo, exec_lo, s6
	v_lshrrev_b32_e32 v8, 16, v4
	s_mov_b32 s6, exec_lo
	v_and_b32_e32 v0, 0xff, v8
	s_delay_alu instid0(VALU_DEP_1)
	v_cmpx_ne_u16_e32 0, v0
	s_cbranch_execz .LBB302_1506
; %bb.1499:                             ;   in Loop: Header=BB302_10 Depth=1
	v_cmp_ne_u16_e64 s1, 0x80, v0
	v_mov_b32_e32 v0, 0x8000
	scratch_store_b32 off, v0, s32 offset:668 ; 4-byte Folded Spill
	s_wait_xcnt 0x0
	s_and_saveexec_b32 s7, s1
	s_cbranch_execz .LBB302_1505
; %bb.1500:                             ;   in Loop: Header=BB302_10 Depth=1
	v_bfe_u32 v6, v4, 16, 7
	v_mov_b32_e32 v0, 0x7c01
	s_mov_b32 s8, exec_lo
	scratch_store_b32 off, v0, s32 offset:668 ; 4-byte Folded Spill
	s_wait_xcnt 0x0
	v_cmpx_ne_u32_e32 0x7f, v6
	s_cbranch_execz .LBB302_1504
; %bb.1501:                             ;   in Loop: Header=BB302_10 Depth=1
	v_dual_lshrrev_b32 v1, 3, v6 :: v_dual_bitop2_b32 v0, 7, v8 bitop3:0x40
	s_mov_b32 s11, exec_lo
	v_cmpx_gt_u32_e32 8, v6
; %bb.1502:                             ;   in Loop: Header=BB302_10 Depth=1
	s_delay_alu instid0(VALU_DEP_2) | instskip(NEXT) | instid1(VALU_DEP_1)
	v_clz_i32_u32_e32 v0, v0
	v_min_u32_e32 v6, 32, v0
	s_delay_alu instid0(VALU_DEP_1) | instskip(NEXT) | instid1(VALU_DEP_1)
	v_subrev_nc_u32_e32 v0, 28, v6
	v_lshlrev_b64_e32 v[0:1], v0, v[8:9]
	s_delay_alu instid0(VALU_DEP_1)
	v_dual_sub_nc_u32 v1, 29, v6 :: v_dual_bitop2_b32 v0, 7, v0 bitop3:0x40
; %bb.1503:                             ;   in Loop: Header=BB302_10 Depth=1
	s_or_b32 exec_lo, exec_lo, s11
	v_lshlrev_b32_e32 v6, 8, v8
	s_delay_alu instid0(VALU_DEP_2) | instskip(NEXT) | instid1(VALU_DEP_3)
	v_lshl_add_u32 v1, v1, 10, 0x2000
	v_lshlrev_b32_e32 v0, 7, v0
	s_delay_alu instid0(VALU_DEP_3) | instskip(NEXT) | instid1(VALU_DEP_3)
	v_and_b32_e32 v6, 0x8000, v6
	v_and_b32_e32 v1, 0xfc00, v1
	s_delay_alu instid0(VALU_DEP_1)
	v_or3_b32 v0, v6, v1, v0
	scratch_store_b32 off, v0, s32 offset:668 ; 4-byte Folded Spill
.LBB302_1504:                           ;   in Loop: Header=BB302_10 Depth=1
	s_wait_xcnt 0x0
	s_or_b32 exec_lo, exec_lo, s8
.LBB302_1505:                           ;   in Loop: Header=BB302_10 Depth=1
	s_delay_alu instid0(SALU_CYCLE_1)
	s_or_b32 exec_lo, exec_lo, s7
.LBB302_1506:                           ;   in Loop: Header=BB302_10 Depth=1
	s_delay_alu instid0(SALU_CYCLE_1)
	s_or_b32 exec_lo, exec_lo, s6
	v_dual_mov_b32 v0, 0 :: v_dual_mov_b32 v88, 0
	s_mov_b32 s6, exec_lo
	scratch_store_b32 off, v0, s32 offset:672 ; 4-byte Folded Spill
	s_wait_xcnt 0x0
	v_cmpx_lt_u32_e32 0xffffff, v4
	s_cbranch_execz .LBB302_1514
; %bb.1507:                             ;   in Loop: Header=BB302_10 Depth=1
	v_lshrrev_b32_e32 v14, 24, v4
	v_bfrev_b32_e32 v88, 1
	s_mov_b32 s7, exec_lo
	s_delay_alu instid0(VALU_DEP_2)
	v_cmpx_ne_u32_e32 0x80, v14
	s_cbranch_execz .LBB302_1513
; %bb.1508:                             ;   in Loop: Header=BB302_10 Depth=1
	v_and_b32_e32 v6, 0x7f, v14
	v_mov_b32_e32 v88, 0x7c010000
	s_mov_b32 s8, exec_lo
	s_delay_alu instid0(VALU_DEP_2)
	v_cmpx_ne_u32_e32 0x7f, v6
	s_cbranch_execz .LBB302_1512
; %bb.1509:                             ;   in Loop: Header=BB302_10 Depth=1
	v_and_b32_e32 v0, 7, v14
	v_lshrrev_b32_e32 v1, 3, v6
	s_mov_b32 s11, exec_lo
	v_cmpx_gt_u32_e32 8, v6
; %bb.1510:                             ;   in Loop: Header=BB302_10 Depth=1
	s_delay_alu instid0(VALU_DEP_3) | instskip(NEXT) | instid1(VALU_DEP_1)
	v_clz_i32_u32_e32 v0, v0
	v_min_u32_e32 v6, 32, v0
	s_delay_alu instid0(VALU_DEP_1) | instskip(NEXT) | instid1(VALU_DEP_1)
	v_subrev_nc_u32_e32 v0, 28, v6
	v_lshlrev_b64_e32 v[0:1], v0, v[14:15]
	s_delay_alu instid0(VALU_DEP_1)
	v_dual_sub_nc_u32 v1, 29, v6 :: v_dual_bitop2_b32 v0, 7, v0 bitop3:0x40
; %bb.1511:                             ;   in Loop: Header=BB302_10 Depth=1
	s_or_b32 exec_lo, exec_lo, s11
	s_delay_alu instid0(VALU_DEP_1) | instskip(NEXT) | instid1(VALU_DEP_2)
	v_dual_lshlrev_b32 v6, 8, v14 :: v_dual_lshlrev_b32 v0, 23, v0
	v_lshl_add_u32 v1, v1, 10, 0x2000
	s_delay_alu instid0(VALU_DEP_1) | instskip(NEXT) | instid1(VALU_DEP_1)
	v_and_or_b32 v1, 0x8000, v6, v1
	v_lshl_or_b32 v88, v1, 16, v0
.LBB302_1512:                           ;   in Loop: Header=BB302_10 Depth=1
	s_or_b32 exec_lo, exec_lo, s8
.LBB302_1513:                           ;   in Loop: Header=BB302_10 Depth=1
	s_delay_alu instid0(SALU_CYCLE_1)
	s_or_b32 exec_lo, exec_lo, s7
.LBB302_1514:                           ;   in Loop: Header=BB302_10 Depth=1
	s_delay_alu instid0(SALU_CYCLE_1) | instskip(SKIP_3) | instid1(VALU_DEP_2)
	s_or_b32 exec_lo, exec_lo, s6
	v_and_b32_e32 v0, 0xff, v5
	v_mov_b32_e32 v14, v5
	s_mov_b32 s6, exec_lo
	v_cmpx_ne_u16_e32 0, v0
	s_cbranch_execz .LBB302_1522
; %bb.1515:                             ;   in Loop: Header=BB302_10 Depth=1
	v_cmp_ne_u16_e64 s1, 0x80, v0
	v_mov_b32_e32 v0, 0x8000
	scratch_store_b32 off, v0, s32 offset:672 ; 4-byte Folded Spill
	s_wait_xcnt 0x0
	s_and_saveexec_b32 s7, s1
	s_cbranch_execz .LBB302_1521
; %bb.1516:                             ;   in Loop: Header=BB302_10 Depth=1
	v_and_b32_e32 v6, 0x7f, v5
	v_mov_b32_e32 v0, 0x7c01
	s_mov_b32 s8, exec_lo
	scratch_store_b32 off, v0, s32 offset:672 ; 4-byte Folded Spill
	s_wait_xcnt 0x0
	v_cmpx_ne_u32_e32 0x7f, v6
	s_cbranch_execz .LBB302_1520
; %bb.1517:                             ;   in Loop: Header=BB302_10 Depth=1
	v_dual_lshrrev_b32 v1, 3, v6 :: v_dual_bitop2_b32 v0, 7, v5 bitop3:0x40
	s_mov_b32 s11, exec_lo
	v_cmpx_gt_u32_e32 8, v6
; %bb.1518:                             ;   in Loop: Header=BB302_10 Depth=1
	s_delay_alu instid0(VALU_DEP_2) | instskip(NEXT) | instid1(VALU_DEP_1)
	v_clz_i32_u32_e32 v0, v0
	v_min_u32_e32 v6, 32, v0
	s_delay_alu instid0(VALU_DEP_1) | instskip(NEXT) | instid1(VALU_DEP_1)
	v_subrev_nc_u32_e32 v0, 28, v6
	v_lshlrev_b64_e32 v[0:1], v0, v[14:15]
	s_delay_alu instid0(VALU_DEP_1)
	v_dual_sub_nc_u32 v1, 29, v6 :: v_dual_bitop2_b32 v0, 7, v0 bitop3:0x40
; %bb.1519:                             ;   in Loop: Header=BB302_10 Depth=1
	s_or_b32 exec_lo, exec_lo, s11
	s_delay_alu instid0(VALU_DEP_1) | instskip(NEXT) | instid1(VALU_DEP_2)
	v_dual_lshlrev_b32 v6, 8, v5 :: v_dual_lshlrev_b32 v0, 7, v0
	v_lshl_add_u32 v1, v1, 10, 0x2000
	s_delay_alu instid0(VALU_DEP_2) | instskip(NEXT) | instid1(VALU_DEP_2)
	v_and_b32_e32 v6, 0x8000, v6
	v_and_b32_e32 v1, 0xfc00, v1
	s_delay_alu instid0(VALU_DEP_1)
	v_or3_b32 v0, v6, v1, v0
	scratch_store_b32 off, v0, s32 offset:672 ; 4-byte Folded Spill
.LBB302_1520:                           ;   in Loop: Header=BB302_10 Depth=1
	s_wait_xcnt 0x0
	s_or_b32 exec_lo, exec_lo, s8
.LBB302_1521:                           ;   in Loop: Header=BB302_10 Depth=1
	s_delay_alu instid0(SALU_CYCLE_1)
	s_or_b32 exec_lo, exec_lo, s7
.LBB302_1522:                           ;   in Loop: Header=BB302_10 Depth=1
	s_delay_alu instid0(SALU_CYCLE_1) | instskip(SKIP_3) | instid1(VALU_DEP_2)
	s_or_b32 exec_lo, exec_lo, s6
	v_lshrrev_b16 v14, 8, v14
	v_dual_mov_b32 v111, 0 :: v_dual_mov_b32 v93, 0
	s_mov_b32 s6, exec_lo
	v_cmpx_ne_u16_e32 0, v14
	s_cbranch_execz .LBB302_1530
; %bb.1523:                             ;   in Loop: Header=BB302_10 Depth=1
	v_bfrev_b32_e32 v93, 1
	s_mov_b32 s7, exec_lo
	v_cmpx_ne_u16_e32 0x80, v14
	s_cbranch_execz .LBB302_1529
; %bb.1524:                             ;   in Loop: Header=BB302_10 Depth=1
	v_and_b32_e32 v0, 0xffff, v14
	v_mov_b32_e32 v93, 0x7c010000
	s_mov_b32 s8, exec_lo
	s_delay_alu instid0(VALU_DEP_2) | instskip(NEXT) | instid1(VALU_DEP_1)
	v_and_b32_e32 v7, 0x7f, v0
	v_cmpx_ne_u32_e32 0x7f, v7
	s_cbranch_execz .LBB302_1528
; %bb.1525:                             ;   in Loop: Header=BB302_10 Depth=1
	v_dual_lshrrev_b32 v6, 3, v7 :: v_dual_bitop2_b32 v1, 7, v0 bitop3:0x40
	s_mov_b32 s11, exec_lo
	v_cmpx_gt_u32_e32 8, v7
; %bb.1526:                             ;   in Loop: Header=BB302_10 Depth=1
	s_delay_alu instid0(VALU_DEP_2) | instskip(NEXT) | instid1(VALU_DEP_1)
	v_clz_i32_u32_e32 v1, v1
	v_min_u32_e32 v1, 32, v1
	s_delay_alu instid0(VALU_DEP_1) | instskip(NEXT) | instid1(VALU_DEP_1)
	v_subrev_nc_u32_e32 v6, 28, v1
	v_lshlrev_b64_e32 v[8:9], v6, v[14:15]
	s_delay_alu instid0(VALU_DEP_1)
	v_dual_sub_nc_u32 v6, 29, v1 :: v_dual_bitop2_b32 v1, 7, v8 bitop3:0x40
; %bb.1527:                             ;   in Loop: Header=BB302_10 Depth=1
	s_or_b32 exec_lo, exec_lo, s11
	s_delay_alu instid0(VALU_DEP_1) | instskip(NEXT) | instid1(VALU_DEP_2)
	v_dual_lshlrev_b32 v0, 8, v0 :: v_dual_lshlrev_b32 v1, 23, v1
	v_lshl_add_u32 v6, v6, 10, 0x2000
	s_delay_alu instid0(VALU_DEP_1) | instskip(NEXT) | instid1(VALU_DEP_1)
	v_and_or_b32 v0, 0x8000, v0, v6
	v_lshl_or_b32 v93, v0, 16, v1
.LBB302_1528:                           ;   in Loop: Header=BB302_10 Depth=1
	s_or_b32 exec_lo, exec_lo, s8
.LBB302_1529:                           ;   in Loop: Header=BB302_10 Depth=1
	s_delay_alu instid0(SALU_CYCLE_1)
	s_or_b32 exec_lo, exec_lo, s7
.LBB302_1530:                           ;   in Loop: Header=BB302_10 Depth=1
	s_delay_alu instid0(SALU_CYCLE_1) | instskip(SKIP_2) | instid1(VALU_DEP_1)
	s_or_b32 exec_lo, exec_lo, s6
	v_lshrrev_b32_e32 v8, 16, v5
	s_mov_b32 s6, exec_lo
	v_and_b32_e32 v0, 0xff, v8
	s_delay_alu instid0(VALU_DEP_1)
	v_cmpx_ne_u16_e32 0, v0
	s_cbranch_execz .LBB302_1538
; %bb.1531:                             ;   in Loop: Header=BB302_10 Depth=1
	v_mov_b32_e32 v111, 0x8000
	s_mov_b32 s7, exec_lo
	v_cmpx_ne_u16_e32 0x80, v0
	s_cbranch_execz .LBB302_1537
; %bb.1532:                             ;   in Loop: Header=BB302_10 Depth=1
	v_bfe_u32 v6, v5, 16, 7
	v_mov_b32_e32 v111, 0x7c01
	s_mov_b32 s8, exec_lo
	s_delay_alu instid0(VALU_DEP_2)
	v_cmpx_ne_u32_e32 0x7f, v6
	s_cbranch_execz .LBB302_1536
; %bb.1533:                             ;   in Loop: Header=BB302_10 Depth=1
	v_dual_lshrrev_b32 v1, 3, v6 :: v_dual_bitop2_b32 v0, 7, v8 bitop3:0x40
	s_mov_b32 s11, exec_lo
	v_cmpx_gt_u32_e32 8, v6
; %bb.1534:                             ;   in Loop: Header=BB302_10 Depth=1
	s_delay_alu instid0(VALU_DEP_2) | instskip(NEXT) | instid1(VALU_DEP_1)
	v_clz_i32_u32_e32 v0, v0
	v_min_u32_e32 v6, 32, v0
	s_delay_alu instid0(VALU_DEP_1) | instskip(NEXT) | instid1(VALU_DEP_1)
	v_subrev_nc_u32_e32 v0, 28, v6
	v_lshlrev_b64_e32 v[0:1], v0, v[8:9]
	s_delay_alu instid0(VALU_DEP_1)
	v_dual_sub_nc_u32 v1, 29, v6 :: v_dual_bitop2_b32 v0, 7, v0 bitop3:0x40
; %bb.1535:                             ;   in Loop: Header=BB302_10 Depth=1
	s_or_b32 exec_lo, exec_lo, s11
	v_lshlrev_b32_e32 v6, 8, v8
	s_delay_alu instid0(VALU_DEP_2) | instskip(NEXT) | instid1(VALU_DEP_3)
	v_lshl_add_u32 v1, v1, 10, 0x2000
	v_lshlrev_b32_e32 v0, 7, v0
	s_delay_alu instid0(VALU_DEP_3) | instskip(NEXT) | instid1(VALU_DEP_3)
	v_and_b32_e32 v6, 0x8000, v6
	v_and_b32_e32 v1, 0xfc00, v1
	s_delay_alu instid0(VALU_DEP_1)
	v_or3_b32 v111, v6, v1, v0
.LBB302_1536:                           ;   in Loop: Header=BB302_10 Depth=1
	s_or_b32 exec_lo, exec_lo, s8
.LBB302_1537:                           ;   in Loop: Header=BB302_10 Depth=1
	s_delay_alu instid0(SALU_CYCLE_1)
	s_or_b32 exec_lo, exec_lo, s7
.LBB302_1538:                           ;   in Loop: Header=BB302_10 Depth=1
	s_delay_alu instid0(SALU_CYCLE_1)
	s_or_b32 exec_lo, exec_lo, s6
	v_dual_mov_b32 v108, 0 :: v_dual_mov_b32 v110, 0
	s_mov_b32 s6, exec_lo
	v_cmpx_lt_u64_e64 s[2:3], v[4:5]
	s_cbranch_execz .LBB302_1546
; %bb.1539:                             ;   in Loop: Header=BB302_10 Depth=1
	v_lshrrev_b32_e32 v14, 24, v5
	v_bfrev_b32_e32 v110, 1
	s_mov_b32 s7, exec_lo
	s_delay_alu instid0(VALU_DEP_2)
	v_cmpx_ne_u32_e32 0x80, v14
	s_cbranch_execz .LBB302_1545
; %bb.1540:                             ;   in Loop: Header=BB302_10 Depth=1
	v_and_b32_e32 v4, 0x7f, v14
	v_mov_b32_e32 v110, 0x7c010000
	s_mov_b32 s8, exec_lo
	s_delay_alu instid0(VALU_DEP_2)
	v_cmpx_ne_u32_e32 0x7f, v4
	s_cbranch_execz .LBB302_1544
; %bb.1541:                             ;   in Loop: Header=BB302_10 Depth=1
	v_dual_lshrrev_b32 v1, 3, v4 :: v_dual_bitop2_b32 v0, 7, v14 bitop3:0x40
	s_mov_b32 s11, exec_lo
	v_cmpx_gt_u32_e32 8, v4
; %bb.1542:                             ;   in Loop: Header=BB302_10 Depth=1
	s_delay_alu instid0(VALU_DEP_2) | instskip(NEXT) | instid1(VALU_DEP_1)
	v_clz_i32_u32_e32 v0, v0
	v_min_u32_e32 v4, 32, v0
	s_delay_alu instid0(VALU_DEP_1) | instskip(NEXT) | instid1(VALU_DEP_1)
	v_subrev_nc_u32_e32 v0, 28, v4
	v_lshlrev_b64_e32 v[0:1], v0, v[14:15]
	v_sub_nc_u32_e32 v1, 29, v4
	s_delay_alu instid0(VALU_DEP_2)
	v_and_b32_e32 v0, 7, v0
; %bb.1543:                             ;   in Loop: Header=BB302_10 Depth=1
	s_or_b32 exec_lo, exec_lo, s11
	s_delay_alu instid0(VALU_DEP_1) | instskip(NEXT) | instid1(VALU_DEP_3)
	v_dual_lshlrev_b32 v4, 8, v14 :: v_dual_lshlrev_b32 v0, 23, v0
	v_lshl_add_u32 v1, v1, 10, 0x2000
	s_delay_alu instid0(VALU_DEP_1) | instskip(NEXT) | instid1(VALU_DEP_1)
	v_and_or_b32 v1, 0x8000, v4, v1
	v_lshl_or_b32 v110, v1, 16, v0
.LBB302_1544:                           ;   in Loop: Header=BB302_10 Depth=1
	s_or_b32 exec_lo, exec_lo, s8
.LBB302_1545:                           ;   in Loop: Header=BB302_10 Depth=1
	s_delay_alu instid0(SALU_CYCLE_1)
	s_or_b32 exec_lo, exec_lo, s7
.LBB302_1546:                           ;   in Loop: Header=BB302_10 Depth=1
	s_delay_alu instid0(SALU_CYCLE_1)
	s_or_b32 exec_lo, exec_lo, s6
	flat_load_b64 v[4:5], v[2:3] offset:6144
	s_mov_b32 s6, exec_lo
	s_wait_loadcnt_dscnt 0x0
	v_and_b32_e32 v0, 0xff, v4
	s_wait_xcnt 0x0
	s_delay_alu instid0(VALU_DEP_1)
	v_cmpx_ne_u16_e32 0, v0
	s_cbranch_execz .LBB302_1554
; %bb.1547:                             ;   in Loop: Header=BB302_10 Depth=1
	v_mov_b32_e32 v108, 0x8000
	s_mov_b32 s7, exec_lo
	v_cmpx_ne_u16_e32 0x80, v0
	s_cbranch_execz .LBB302_1553
; %bb.1548:                             ;   in Loop: Header=BB302_10 Depth=1
	v_and_b32_e32 v6, 0x7f, v4
	v_mov_b32_e32 v108, 0x7c01
	s_mov_b32 s8, exec_lo
	s_delay_alu instid0(VALU_DEP_2)
	v_cmpx_ne_u32_e32 0x7f, v6
	s_cbranch_execz .LBB302_1552
; %bb.1549:                             ;   in Loop: Header=BB302_10 Depth=1
	v_dual_lshrrev_b32 v1, 3, v6 :: v_dual_bitop2_b32 v0, 7, v4 bitop3:0x40
	s_mov_b32 s11, exec_lo
	v_cmpx_gt_u32_e32 8, v6
; %bb.1550:                             ;   in Loop: Header=BB302_10 Depth=1
	s_delay_alu instid0(VALU_DEP_2) | instskip(NEXT) | instid1(VALU_DEP_1)
	v_clz_i32_u32_e32 v0, v0
	v_min_u32_e32 v6, 32, v0
	s_delay_alu instid0(VALU_DEP_1) | instskip(NEXT) | instid1(VALU_DEP_1)
	v_subrev_nc_u32_e32 v0, 28, v6
	v_lshlrev_b64_e32 v[0:1], v0, v[4:5]
	s_delay_alu instid0(VALU_DEP_1)
	v_dual_sub_nc_u32 v1, 29, v6 :: v_dual_bitop2_b32 v0, 7, v0 bitop3:0x40
; %bb.1551:                             ;   in Loop: Header=BB302_10 Depth=1
	s_or_b32 exec_lo, exec_lo, s11
	v_lshlrev_b32_e32 v6, 8, v4
	s_delay_alu instid0(VALU_DEP_2) | instskip(NEXT) | instid1(VALU_DEP_3)
	v_lshl_add_u32 v1, v1, 10, 0x2000
	v_lshlrev_b32_e32 v0, 7, v0
	s_delay_alu instid0(VALU_DEP_3) | instskip(NEXT) | instid1(VALU_DEP_3)
	v_and_b32_e32 v6, 0x8000, v6
	v_and_b32_e32 v1, 0xfc00, v1
	s_delay_alu instid0(VALU_DEP_1)
	v_or3_b32 v108, v6, v1, v0
.LBB302_1552:                           ;   in Loop: Header=BB302_10 Depth=1
	s_or_b32 exec_lo, exec_lo, s8
.LBB302_1553:                           ;   in Loop: Header=BB302_10 Depth=1
	s_delay_alu instid0(SALU_CYCLE_1)
	s_or_b32 exec_lo, exec_lo, s7
.LBB302_1554:                           ;   in Loop: Header=BB302_10 Depth=1
	s_delay_alu instid0(SALU_CYCLE_1) | instskip(SKIP_3) | instid1(VALU_DEP_2)
	s_or_b32 exec_lo, exec_lo, s6
	v_lshrrev_b16 v14, 8, v4
	v_dual_mov_b32 v81, 0 :: v_dual_mov_b32 v109, 0
	s_mov_b32 s6, exec_lo
	v_cmpx_ne_u16_e32 0, v14
	s_cbranch_execz .LBB302_1562
; %bb.1555:                             ;   in Loop: Header=BB302_10 Depth=1
	v_bfrev_b32_e32 v109, 1
	s_mov_b32 s7, exec_lo
	v_cmpx_ne_u16_e32 0x80, v14
	s_cbranch_execz .LBB302_1561
; %bb.1556:                             ;   in Loop: Header=BB302_10 Depth=1
	v_and_b32_e32 v0, 0xffff, v14
	v_mov_b32_e32 v109, 0x7c010000
	s_mov_b32 s8, exec_lo
	s_delay_alu instid0(VALU_DEP_2) | instskip(NEXT) | instid1(VALU_DEP_1)
	v_and_b32_e32 v7, 0x7f, v0
	v_cmpx_ne_u32_e32 0x7f, v7
	s_cbranch_execz .LBB302_1560
; %bb.1557:                             ;   in Loop: Header=BB302_10 Depth=1
	v_dual_lshrrev_b32 v6, 3, v7 :: v_dual_bitop2_b32 v1, 7, v0 bitop3:0x40
	s_mov_b32 s11, exec_lo
	v_cmpx_gt_u32_e32 8, v7
; %bb.1558:                             ;   in Loop: Header=BB302_10 Depth=1
	s_delay_alu instid0(VALU_DEP_2) | instskip(NEXT) | instid1(VALU_DEP_1)
	v_clz_i32_u32_e32 v1, v1
	v_min_u32_e32 v1, 32, v1
	s_delay_alu instid0(VALU_DEP_1) | instskip(NEXT) | instid1(VALU_DEP_1)
	v_subrev_nc_u32_e32 v6, 28, v1
	v_lshlrev_b64_e32 v[8:9], v6, v[14:15]
	s_delay_alu instid0(VALU_DEP_1)
	v_dual_sub_nc_u32 v6, 29, v1 :: v_dual_bitop2_b32 v1, 7, v8 bitop3:0x40
; %bb.1559:                             ;   in Loop: Header=BB302_10 Depth=1
	s_or_b32 exec_lo, exec_lo, s11
	s_delay_alu instid0(VALU_DEP_1) | instskip(NEXT) | instid1(VALU_DEP_2)
	v_dual_lshlrev_b32 v0, 8, v0 :: v_dual_lshlrev_b32 v1, 23, v1
	v_lshl_add_u32 v6, v6, 10, 0x2000
	s_delay_alu instid0(VALU_DEP_1) | instskip(NEXT) | instid1(VALU_DEP_1)
	v_and_or_b32 v0, 0x8000, v0, v6
	v_lshl_or_b32 v109, v0, 16, v1
.LBB302_1560:                           ;   in Loop: Header=BB302_10 Depth=1
	s_or_b32 exec_lo, exec_lo, s8
.LBB302_1561:                           ;   in Loop: Header=BB302_10 Depth=1
	s_delay_alu instid0(SALU_CYCLE_1)
	s_or_b32 exec_lo, exec_lo, s7
.LBB302_1562:                           ;   in Loop: Header=BB302_10 Depth=1
	s_delay_alu instid0(SALU_CYCLE_1) | instskip(SKIP_2) | instid1(VALU_DEP_1)
	s_or_b32 exec_lo, exec_lo, s6
	v_lshrrev_b32_e32 v8, 16, v4
	s_mov_b32 s6, exec_lo
	v_and_b32_e32 v0, 0xff, v8
	s_delay_alu instid0(VALU_DEP_1)
	v_cmpx_ne_u16_e32 0, v0
	s_cbranch_execz .LBB302_1570
; %bb.1563:                             ;   in Loop: Header=BB302_10 Depth=1
	v_mov_b32_e32 v81, 0x8000
	s_mov_b32 s7, exec_lo
	v_cmpx_ne_u16_e32 0x80, v0
	s_cbranch_execz .LBB302_1569
; %bb.1564:                             ;   in Loop: Header=BB302_10 Depth=1
	v_bfe_u32 v6, v4, 16, 7
	v_mov_b32_e32 v81, 0x7c01
	s_mov_b32 s8, exec_lo
	s_delay_alu instid0(VALU_DEP_2)
	v_cmpx_ne_u32_e32 0x7f, v6
	s_cbranch_execz .LBB302_1568
; %bb.1565:                             ;   in Loop: Header=BB302_10 Depth=1
	v_dual_lshrrev_b32 v1, 3, v6 :: v_dual_bitop2_b32 v0, 7, v8 bitop3:0x40
	s_mov_b32 s11, exec_lo
	v_cmpx_gt_u32_e32 8, v6
; %bb.1566:                             ;   in Loop: Header=BB302_10 Depth=1
	s_delay_alu instid0(VALU_DEP_2) | instskip(NEXT) | instid1(VALU_DEP_1)
	v_clz_i32_u32_e32 v0, v0
	v_min_u32_e32 v6, 32, v0
	s_delay_alu instid0(VALU_DEP_1) | instskip(NEXT) | instid1(VALU_DEP_1)
	v_subrev_nc_u32_e32 v0, 28, v6
	v_lshlrev_b64_e32 v[0:1], v0, v[8:9]
	s_delay_alu instid0(VALU_DEP_1)
	v_dual_sub_nc_u32 v1, 29, v6 :: v_dual_bitop2_b32 v0, 7, v0 bitop3:0x40
; %bb.1567:                             ;   in Loop: Header=BB302_10 Depth=1
	s_or_b32 exec_lo, exec_lo, s11
	v_lshlrev_b32_e32 v6, 8, v8
	s_delay_alu instid0(VALU_DEP_2) | instskip(NEXT) | instid1(VALU_DEP_3)
	v_lshl_add_u32 v1, v1, 10, 0x2000
	v_lshlrev_b32_e32 v0, 7, v0
	s_delay_alu instid0(VALU_DEP_3) | instskip(NEXT) | instid1(VALU_DEP_3)
	v_and_b32_e32 v6, 0x8000, v6
	v_and_b32_e32 v1, 0xfc00, v1
	s_delay_alu instid0(VALU_DEP_1)
	v_or3_b32 v81, v6, v1, v0
.LBB302_1568:                           ;   in Loop: Header=BB302_10 Depth=1
	s_or_b32 exec_lo, exec_lo, s8
.LBB302_1569:                           ;   in Loop: Header=BB302_10 Depth=1
	s_delay_alu instid0(SALU_CYCLE_1)
	s_or_b32 exec_lo, exec_lo, s7
.LBB302_1570:                           ;   in Loop: Header=BB302_10 Depth=1
	s_delay_alu instid0(SALU_CYCLE_1)
	s_or_b32 exec_lo, exec_lo, s6
	v_dual_mov_b32 v0, 0 :: v_dual_mov_b32 v92, 0
	s_mov_b32 s6, exec_lo
	scratch_store_b32 off, v0, s32 offset:676 ; 4-byte Folded Spill
	s_wait_xcnt 0x0
	v_cmpx_lt_u32_e32 0xffffff, v4
	s_cbranch_execz .LBB302_1578
; %bb.1571:                             ;   in Loop: Header=BB302_10 Depth=1
	v_lshrrev_b32_e32 v14, 24, v4
	v_bfrev_b32_e32 v92, 1
	s_mov_b32 s7, exec_lo
	s_delay_alu instid0(VALU_DEP_2)
	v_cmpx_ne_u32_e32 0x80, v14
	s_cbranch_execz .LBB302_1577
; %bb.1572:                             ;   in Loop: Header=BB302_10 Depth=1
	v_and_b32_e32 v6, 0x7f, v14
	v_mov_b32_e32 v92, 0x7c010000
	s_mov_b32 s8, exec_lo
	s_delay_alu instid0(VALU_DEP_2)
	v_cmpx_ne_u32_e32 0x7f, v6
	s_cbranch_execz .LBB302_1576
; %bb.1573:                             ;   in Loop: Header=BB302_10 Depth=1
	v_and_b32_e32 v0, 7, v14
	v_lshrrev_b32_e32 v1, 3, v6
	s_mov_b32 s11, exec_lo
	v_cmpx_gt_u32_e32 8, v6
; %bb.1574:                             ;   in Loop: Header=BB302_10 Depth=1
	s_delay_alu instid0(VALU_DEP_3) | instskip(NEXT) | instid1(VALU_DEP_1)
	v_clz_i32_u32_e32 v0, v0
	v_min_u32_e32 v6, 32, v0
	s_delay_alu instid0(VALU_DEP_1) | instskip(NEXT) | instid1(VALU_DEP_1)
	v_subrev_nc_u32_e32 v0, 28, v6
	v_lshlrev_b64_e32 v[0:1], v0, v[14:15]
	s_delay_alu instid0(VALU_DEP_1)
	v_dual_sub_nc_u32 v1, 29, v6 :: v_dual_bitop2_b32 v0, 7, v0 bitop3:0x40
; %bb.1575:                             ;   in Loop: Header=BB302_10 Depth=1
	s_or_b32 exec_lo, exec_lo, s11
	s_delay_alu instid0(VALU_DEP_1) | instskip(NEXT) | instid1(VALU_DEP_2)
	v_dual_lshlrev_b32 v6, 8, v14 :: v_dual_lshlrev_b32 v0, 23, v0
	v_lshl_add_u32 v1, v1, 10, 0x2000
	s_delay_alu instid0(VALU_DEP_1) | instskip(NEXT) | instid1(VALU_DEP_1)
	v_and_or_b32 v1, 0x8000, v6, v1
	v_lshl_or_b32 v92, v1, 16, v0
.LBB302_1576:                           ;   in Loop: Header=BB302_10 Depth=1
	s_or_b32 exec_lo, exec_lo, s8
.LBB302_1577:                           ;   in Loop: Header=BB302_10 Depth=1
	s_delay_alu instid0(SALU_CYCLE_1)
	s_or_b32 exec_lo, exec_lo, s7
.LBB302_1578:                           ;   in Loop: Header=BB302_10 Depth=1
	s_delay_alu instid0(SALU_CYCLE_1) | instskip(SKIP_3) | instid1(VALU_DEP_2)
	s_or_b32 exec_lo, exec_lo, s6
	v_and_b32_e32 v0, 0xff, v5
	v_mov_b32_e32 v14, v5
	s_mov_b32 s6, exec_lo
	v_cmpx_ne_u16_e32 0, v0
	s_cbranch_execz .LBB302_1586
; %bb.1579:                             ;   in Loop: Header=BB302_10 Depth=1
	v_cmp_ne_u16_e64 s1, 0x80, v0
	v_mov_b32_e32 v0, 0x8000
	scratch_store_b32 off, v0, s32 offset:676 ; 4-byte Folded Spill
	s_wait_xcnt 0x0
	s_and_saveexec_b32 s7, s1
	s_cbranch_execz .LBB302_1585
; %bb.1580:                             ;   in Loop: Header=BB302_10 Depth=1
	v_and_b32_e32 v6, 0x7f, v5
	v_mov_b32_e32 v0, 0x7c01
	s_mov_b32 s8, exec_lo
	scratch_store_b32 off, v0, s32 offset:676 ; 4-byte Folded Spill
	s_wait_xcnt 0x0
	v_cmpx_ne_u32_e32 0x7f, v6
	s_cbranch_execz .LBB302_1584
; %bb.1581:                             ;   in Loop: Header=BB302_10 Depth=1
	v_dual_lshrrev_b32 v1, 3, v6 :: v_dual_bitop2_b32 v0, 7, v5 bitop3:0x40
	s_mov_b32 s11, exec_lo
	v_cmpx_gt_u32_e32 8, v6
; %bb.1582:                             ;   in Loop: Header=BB302_10 Depth=1
	s_delay_alu instid0(VALU_DEP_2) | instskip(NEXT) | instid1(VALU_DEP_1)
	v_clz_i32_u32_e32 v0, v0
	v_min_u32_e32 v6, 32, v0
	s_delay_alu instid0(VALU_DEP_1) | instskip(NEXT) | instid1(VALU_DEP_1)
	v_subrev_nc_u32_e32 v0, 28, v6
	v_lshlrev_b64_e32 v[0:1], v0, v[14:15]
	s_delay_alu instid0(VALU_DEP_1)
	v_dual_sub_nc_u32 v1, 29, v6 :: v_dual_bitop2_b32 v0, 7, v0 bitop3:0x40
; %bb.1583:                             ;   in Loop: Header=BB302_10 Depth=1
	s_or_b32 exec_lo, exec_lo, s11
	s_delay_alu instid0(VALU_DEP_1) | instskip(NEXT) | instid1(VALU_DEP_2)
	v_dual_lshlrev_b32 v6, 8, v5 :: v_dual_lshlrev_b32 v0, 7, v0
	v_lshl_add_u32 v1, v1, 10, 0x2000
	s_delay_alu instid0(VALU_DEP_2) | instskip(NEXT) | instid1(VALU_DEP_2)
	v_and_b32_e32 v6, 0x8000, v6
	v_and_b32_e32 v1, 0xfc00, v1
	s_delay_alu instid0(VALU_DEP_1)
	v_or3_b32 v0, v6, v1, v0
	scratch_store_b32 off, v0, s32 offset:676 ; 4-byte Folded Spill
.LBB302_1584:                           ;   in Loop: Header=BB302_10 Depth=1
	s_wait_xcnt 0x0
	s_or_b32 exec_lo, exec_lo, s8
.LBB302_1585:                           ;   in Loop: Header=BB302_10 Depth=1
	s_delay_alu instid0(SALU_CYCLE_1)
	s_or_b32 exec_lo, exec_lo, s7
.LBB302_1586:                           ;   in Loop: Header=BB302_10 Depth=1
	s_delay_alu instid0(SALU_CYCLE_1) | instskip(SKIP_3) | instid1(VALU_DEP_2)
	s_or_b32 exec_lo, exec_lo, s6
	v_lshrrev_b16 v14, 8, v14
	v_dual_mov_b32 v82, 0 :: v_dual_mov_b32 v80, 0
	s_mov_b32 s6, exec_lo
	v_cmpx_ne_u16_e32 0, v14
	s_cbranch_execz .LBB302_1594
; %bb.1587:                             ;   in Loop: Header=BB302_10 Depth=1
	v_bfrev_b32_e32 v80, 1
	s_mov_b32 s7, exec_lo
	v_cmpx_ne_u16_e32 0x80, v14
	s_cbranch_execz .LBB302_1593
; %bb.1588:                             ;   in Loop: Header=BB302_10 Depth=1
	v_and_b32_e32 v0, 0xffff, v14
	v_mov_b32_e32 v80, 0x7c010000
	s_mov_b32 s8, exec_lo
	s_delay_alu instid0(VALU_DEP_2) | instskip(NEXT) | instid1(VALU_DEP_1)
	v_and_b32_e32 v7, 0x7f, v0
	v_cmpx_ne_u32_e32 0x7f, v7
	s_cbranch_execz .LBB302_1592
; %bb.1589:                             ;   in Loop: Header=BB302_10 Depth=1
	v_dual_lshrrev_b32 v6, 3, v7 :: v_dual_bitop2_b32 v1, 7, v0 bitop3:0x40
	s_mov_b32 s11, exec_lo
	v_cmpx_gt_u32_e32 8, v7
; %bb.1590:                             ;   in Loop: Header=BB302_10 Depth=1
	s_delay_alu instid0(VALU_DEP_2) | instskip(NEXT) | instid1(VALU_DEP_1)
	v_clz_i32_u32_e32 v1, v1
	v_min_u32_e32 v1, 32, v1
	s_delay_alu instid0(VALU_DEP_1) | instskip(NEXT) | instid1(VALU_DEP_1)
	v_subrev_nc_u32_e32 v6, 28, v1
	v_lshlrev_b64_e32 v[8:9], v6, v[14:15]
	s_delay_alu instid0(VALU_DEP_1)
	v_dual_sub_nc_u32 v6, 29, v1 :: v_dual_bitop2_b32 v1, 7, v8 bitop3:0x40
; %bb.1591:                             ;   in Loop: Header=BB302_10 Depth=1
	s_or_b32 exec_lo, exec_lo, s11
	s_delay_alu instid0(VALU_DEP_1) | instskip(NEXT) | instid1(VALU_DEP_2)
	v_dual_lshlrev_b32 v0, 8, v0 :: v_dual_lshlrev_b32 v1, 23, v1
	v_lshl_add_u32 v6, v6, 10, 0x2000
	s_delay_alu instid0(VALU_DEP_1) | instskip(NEXT) | instid1(VALU_DEP_1)
	v_and_or_b32 v0, 0x8000, v0, v6
	v_lshl_or_b32 v80, v0, 16, v1
.LBB302_1592:                           ;   in Loop: Header=BB302_10 Depth=1
	s_or_b32 exec_lo, exec_lo, s8
.LBB302_1593:                           ;   in Loop: Header=BB302_10 Depth=1
	s_delay_alu instid0(SALU_CYCLE_1)
	s_or_b32 exec_lo, exec_lo, s7
.LBB302_1594:                           ;   in Loop: Header=BB302_10 Depth=1
	s_delay_alu instid0(SALU_CYCLE_1) | instskip(SKIP_2) | instid1(VALU_DEP_1)
	s_or_b32 exec_lo, exec_lo, s6
	v_lshrrev_b32_e32 v8, 16, v5
	s_mov_b32 s6, exec_lo
	v_and_b32_e32 v0, 0xff, v8
	s_delay_alu instid0(VALU_DEP_1)
	v_cmpx_ne_u16_e32 0, v0
	s_cbranch_execz .LBB302_1602
; %bb.1595:                             ;   in Loop: Header=BB302_10 Depth=1
	v_mov_b32_e32 v82, 0x8000
	s_mov_b32 s7, exec_lo
	v_cmpx_ne_u16_e32 0x80, v0
	s_cbranch_execz .LBB302_1601
; %bb.1596:                             ;   in Loop: Header=BB302_10 Depth=1
	v_bfe_u32 v6, v5, 16, 7
	v_mov_b32_e32 v82, 0x7c01
	s_mov_b32 s8, exec_lo
	s_delay_alu instid0(VALU_DEP_2)
	v_cmpx_ne_u32_e32 0x7f, v6
	s_cbranch_execz .LBB302_1600
; %bb.1597:                             ;   in Loop: Header=BB302_10 Depth=1
	v_dual_lshrrev_b32 v1, 3, v6 :: v_dual_bitop2_b32 v0, 7, v8 bitop3:0x40
	s_mov_b32 s11, exec_lo
	v_cmpx_gt_u32_e32 8, v6
; %bb.1598:                             ;   in Loop: Header=BB302_10 Depth=1
	s_delay_alu instid0(VALU_DEP_2) | instskip(NEXT) | instid1(VALU_DEP_1)
	v_clz_i32_u32_e32 v0, v0
	v_min_u32_e32 v6, 32, v0
	s_delay_alu instid0(VALU_DEP_1) | instskip(NEXT) | instid1(VALU_DEP_1)
	v_subrev_nc_u32_e32 v0, 28, v6
	v_lshlrev_b64_e32 v[0:1], v0, v[8:9]
	s_delay_alu instid0(VALU_DEP_1)
	v_dual_sub_nc_u32 v1, 29, v6 :: v_dual_bitop2_b32 v0, 7, v0 bitop3:0x40
; %bb.1599:                             ;   in Loop: Header=BB302_10 Depth=1
	s_or_b32 exec_lo, exec_lo, s11
	v_lshlrev_b32_e32 v6, 8, v8
	s_delay_alu instid0(VALU_DEP_2) | instskip(NEXT) | instid1(VALU_DEP_3)
	v_lshl_add_u32 v1, v1, 10, 0x2000
	v_lshlrev_b32_e32 v0, 7, v0
	s_delay_alu instid0(VALU_DEP_3) | instskip(NEXT) | instid1(VALU_DEP_3)
	v_and_b32_e32 v6, 0x8000, v6
	v_and_b32_e32 v1, 0xfc00, v1
	s_delay_alu instid0(VALU_DEP_1)
	v_or3_b32 v82, v6, v1, v0
.LBB302_1600:                           ;   in Loop: Header=BB302_10 Depth=1
	s_or_b32 exec_lo, exec_lo, s8
.LBB302_1601:                           ;   in Loop: Header=BB302_10 Depth=1
	s_delay_alu instid0(SALU_CYCLE_1)
	s_or_b32 exec_lo, exec_lo, s7
.LBB302_1602:                           ;   in Loop: Header=BB302_10 Depth=1
	s_delay_alu instid0(SALU_CYCLE_1)
	s_or_b32 exec_lo, exec_lo, s6
	v_dual_mov_b32 v0, 0 :: v_dual_mov_b32 v79, 0
	s_mov_b32 s6, exec_lo
	scratch_store_b32 off, v0, s32 offset:680 ; 4-byte Folded Spill
	s_wait_xcnt 0x0
	v_cmpx_lt_u64_e64 s[2:3], v[4:5]
	s_cbranch_execz .LBB302_1610
; %bb.1603:                             ;   in Loop: Header=BB302_10 Depth=1
	v_lshrrev_b32_e32 v14, 24, v5
	v_bfrev_b32_e32 v79, 1
	s_mov_b32 s7, exec_lo
	s_delay_alu instid0(VALU_DEP_2)
	v_cmpx_ne_u32_e32 0x80, v14
	s_cbranch_execz .LBB302_1609
; %bb.1604:                             ;   in Loop: Header=BB302_10 Depth=1
	v_and_b32_e32 v4, 0x7f, v14
	v_mov_b32_e32 v79, 0x7c010000
	s_mov_b32 s8, exec_lo
	s_delay_alu instid0(VALU_DEP_2)
	v_cmpx_ne_u32_e32 0x7f, v4
	s_cbranch_execz .LBB302_1608
; %bb.1605:                             ;   in Loop: Header=BB302_10 Depth=1
	v_dual_lshrrev_b32 v1, 3, v4 :: v_dual_bitop2_b32 v0, 7, v14 bitop3:0x40
	s_mov_b32 s11, exec_lo
	v_cmpx_gt_u32_e32 8, v4
; %bb.1606:                             ;   in Loop: Header=BB302_10 Depth=1
	s_delay_alu instid0(VALU_DEP_2) | instskip(NEXT) | instid1(VALU_DEP_1)
	v_clz_i32_u32_e32 v0, v0
	v_min_u32_e32 v4, 32, v0
	s_delay_alu instid0(VALU_DEP_1) | instskip(NEXT) | instid1(VALU_DEP_1)
	v_subrev_nc_u32_e32 v0, 28, v4
	v_lshlrev_b64_e32 v[0:1], v0, v[14:15]
	v_sub_nc_u32_e32 v1, 29, v4
	s_delay_alu instid0(VALU_DEP_2)
	v_and_b32_e32 v0, 7, v0
; %bb.1607:                             ;   in Loop: Header=BB302_10 Depth=1
	s_or_b32 exec_lo, exec_lo, s11
	s_delay_alu instid0(VALU_DEP_1) | instskip(NEXT) | instid1(VALU_DEP_3)
	v_dual_lshlrev_b32 v4, 8, v14 :: v_dual_lshlrev_b32 v0, 23, v0
	v_lshl_add_u32 v1, v1, 10, 0x2000
	s_delay_alu instid0(VALU_DEP_1) | instskip(NEXT) | instid1(VALU_DEP_1)
	v_and_or_b32 v1, 0x8000, v4, v1
	v_lshl_or_b32 v79, v1, 16, v0
.LBB302_1608:                           ;   in Loop: Header=BB302_10 Depth=1
	s_or_b32 exec_lo, exec_lo, s8
.LBB302_1609:                           ;   in Loop: Header=BB302_10 Depth=1
	s_delay_alu instid0(SALU_CYCLE_1)
	s_or_b32 exec_lo, exec_lo, s7
.LBB302_1610:                           ;   in Loop: Header=BB302_10 Depth=1
	s_delay_alu instid0(SALU_CYCLE_1)
	s_or_b32 exec_lo, exec_lo, s6
	flat_load_b64 v[4:5], v[2:3] offset:6152
	s_mov_b32 s6, exec_lo
	s_wait_loadcnt_dscnt 0x0
	v_and_b32_e32 v0, 0xff, v4
	s_wait_xcnt 0x0
	s_delay_alu instid0(VALU_DEP_1)
	v_cmpx_ne_u16_e32 0, v0
	s_cbranch_execz .LBB302_1618
; %bb.1611:                             ;   in Loop: Header=BB302_10 Depth=1
	v_cmp_ne_u16_e64 s1, 0x80, v0
	v_mov_b32_e32 v0, 0x8000
	scratch_store_b32 off, v0, s32 offset:680 ; 4-byte Folded Spill
	s_wait_xcnt 0x0
	s_and_saveexec_b32 s7, s1
	s_cbranch_execz .LBB302_1617
; %bb.1612:                             ;   in Loop: Header=BB302_10 Depth=1
	v_and_b32_e32 v6, 0x7f, v4
	v_mov_b32_e32 v0, 0x7c01
	s_mov_b32 s8, exec_lo
	scratch_store_b32 off, v0, s32 offset:680 ; 4-byte Folded Spill
	s_wait_xcnt 0x0
	v_cmpx_ne_u32_e32 0x7f, v6
	s_cbranch_execz .LBB302_1616
; %bb.1613:                             ;   in Loop: Header=BB302_10 Depth=1
	v_dual_lshrrev_b32 v1, 3, v6 :: v_dual_bitop2_b32 v0, 7, v4 bitop3:0x40
	s_mov_b32 s11, exec_lo
	v_cmpx_gt_u32_e32 8, v6
; %bb.1614:                             ;   in Loop: Header=BB302_10 Depth=1
	s_delay_alu instid0(VALU_DEP_2) | instskip(NEXT) | instid1(VALU_DEP_1)
	v_clz_i32_u32_e32 v0, v0
	v_min_u32_e32 v6, 32, v0
	s_delay_alu instid0(VALU_DEP_1) | instskip(NEXT) | instid1(VALU_DEP_1)
	v_subrev_nc_u32_e32 v0, 28, v6
	v_lshlrev_b64_e32 v[0:1], v0, v[4:5]
	s_delay_alu instid0(VALU_DEP_1)
	v_dual_sub_nc_u32 v1, 29, v6 :: v_dual_bitop2_b32 v0, 7, v0 bitop3:0x40
; %bb.1615:                             ;   in Loop: Header=BB302_10 Depth=1
	s_or_b32 exec_lo, exec_lo, s11
	v_lshlrev_b32_e32 v6, 8, v4
	s_delay_alu instid0(VALU_DEP_2) | instskip(NEXT) | instid1(VALU_DEP_3)
	v_lshl_add_u32 v1, v1, 10, 0x2000
	v_lshlrev_b32_e32 v0, 7, v0
	s_delay_alu instid0(VALU_DEP_3) | instskip(NEXT) | instid1(VALU_DEP_3)
	v_and_b32_e32 v6, 0x8000, v6
	v_and_b32_e32 v1, 0xfc00, v1
	s_delay_alu instid0(VALU_DEP_1)
	v_or3_b32 v0, v6, v1, v0
	scratch_store_b32 off, v0, s32 offset:680 ; 4-byte Folded Spill
.LBB302_1616:                           ;   in Loop: Header=BB302_10 Depth=1
	s_wait_xcnt 0x0
	s_or_b32 exec_lo, exec_lo, s8
.LBB302_1617:                           ;   in Loop: Header=BB302_10 Depth=1
	s_delay_alu instid0(SALU_CYCLE_1)
	s_or_b32 exec_lo, exec_lo, s7
.LBB302_1618:                           ;   in Loop: Header=BB302_10 Depth=1
	s_delay_alu instid0(SALU_CYCLE_1)
	s_or_b32 exec_lo, exec_lo, s6
	v_lshrrev_b16 v14, 8, v4
	v_dual_mov_b32 v0, 0 :: v_dual_mov_b32 v89, 0
	s_mov_b32 s6, exec_lo
	scratch_store_b32 off, v0, s32 offset:684 ; 4-byte Folded Spill
	s_wait_xcnt 0x0
	v_cmpx_ne_u16_e32 0, v14
	s_cbranch_execz .LBB302_1626
; %bb.1619:                             ;   in Loop: Header=BB302_10 Depth=1
	v_bfrev_b32_e32 v89, 1
	s_mov_b32 s7, exec_lo
	v_cmpx_ne_u16_e32 0x80, v14
	s_cbranch_execz .LBB302_1625
; %bb.1620:                             ;   in Loop: Header=BB302_10 Depth=1
	v_and_b32_e32 v0, 0xffff, v14
	v_mov_b32_e32 v89, 0x7c010000
	s_mov_b32 s8, exec_lo
	s_delay_alu instid0(VALU_DEP_2) | instskip(NEXT) | instid1(VALU_DEP_1)
	v_and_b32_e32 v7, 0x7f, v0
	v_cmpx_ne_u32_e32 0x7f, v7
	s_cbranch_execz .LBB302_1624
; %bb.1621:                             ;   in Loop: Header=BB302_10 Depth=1
	v_dual_lshrrev_b32 v6, 3, v7 :: v_dual_bitop2_b32 v1, 7, v0 bitop3:0x40
	s_mov_b32 s11, exec_lo
	v_cmpx_gt_u32_e32 8, v7
; %bb.1622:                             ;   in Loop: Header=BB302_10 Depth=1
	s_delay_alu instid0(VALU_DEP_2) | instskip(NEXT) | instid1(VALU_DEP_1)
	v_clz_i32_u32_e32 v1, v1
	v_min_u32_e32 v1, 32, v1
	s_delay_alu instid0(VALU_DEP_1) | instskip(NEXT) | instid1(VALU_DEP_1)
	v_subrev_nc_u32_e32 v6, 28, v1
	v_lshlrev_b64_e32 v[8:9], v6, v[14:15]
	s_delay_alu instid0(VALU_DEP_1)
	v_dual_sub_nc_u32 v6, 29, v1 :: v_dual_bitop2_b32 v1, 7, v8 bitop3:0x40
; %bb.1623:                             ;   in Loop: Header=BB302_10 Depth=1
	s_or_b32 exec_lo, exec_lo, s11
	s_delay_alu instid0(VALU_DEP_1) | instskip(NEXT) | instid1(VALU_DEP_2)
	v_dual_lshlrev_b32 v0, 8, v0 :: v_dual_lshlrev_b32 v1, 23, v1
	v_lshl_add_u32 v6, v6, 10, 0x2000
	s_delay_alu instid0(VALU_DEP_1) | instskip(NEXT) | instid1(VALU_DEP_1)
	v_and_or_b32 v0, 0x8000, v0, v6
	v_lshl_or_b32 v89, v0, 16, v1
.LBB302_1624:                           ;   in Loop: Header=BB302_10 Depth=1
	s_or_b32 exec_lo, exec_lo, s8
.LBB302_1625:                           ;   in Loop: Header=BB302_10 Depth=1
	s_delay_alu instid0(SALU_CYCLE_1)
	s_or_b32 exec_lo, exec_lo, s7
.LBB302_1626:                           ;   in Loop: Header=BB302_10 Depth=1
	s_delay_alu instid0(SALU_CYCLE_1) | instskip(SKIP_2) | instid1(VALU_DEP_1)
	s_or_b32 exec_lo, exec_lo, s6
	v_lshrrev_b32_e32 v8, 16, v4
	s_mov_b32 s6, exec_lo
	v_and_b32_e32 v0, 0xff, v8
	s_delay_alu instid0(VALU_DEP_1)
	v_cmpx_ne_u16_e32 0, v0
	s_cbranch_execz .LBB302_1634
; %bb.1627:                             ;   in Loop: Header=BB302_10 Depth=1
	v_cmp_ne_u16_e64 s1, 0x80, v0
	v_mov_b32_e32 v0, 0x8000
	scratch_store_b32 off, v0, s32 offset:684 ; 4-byte Folded Spill
	s_wait_xcnt 0x0
	s_and_saveexec_b32 s7, s1
	s_cbranch_execz .LBB302_1633
; %bb.1628:                             ;   in Loop: Header=BB302_10 Depth=1
	v_bfe_u32 v6, v4, 16, 7
	v_mov_b32_e32 v0, 0x7c01
	s_mov_b32 s8, exec_lo
	scratch_store_b32 off, v0, s32 offset:684 ; 4-byte Folded Spill
	s_wait_xcnt 0x0
	v_cmpx_ne_u32_e32 0x7f, v6
	s_cbranch_execz .LBB302_1632
; %bb.1629:                             ;   in Loop: Header=BB302_10 Depth=1
	v_dual_lshrrev_b32 v1, 3, v6 :: v_dual_bitop2_b32 v0, 7, v8 bitop3:0x40
	s_mov_b32 s11, exec_lo
	v_cmpx_gt_u32_e32 8, v6
; %bb.1630:                             ;   in Loop: Header=BB302_10 Depth=1
	s_delay_alu instid0(VALU_DEP_2) | instskip(NEXT) | instid1(VALU_DEP_1)
	v_clz_i32_u32_e32 v0, v0
	v_min_u32_e32 v6, 32, v0
	s_delay_alu instid0(VALU_DEP_1) | instskip(NEXT) | instid1(VALU_DEP_1)
	v_subrev_nc_u32_e32 v0, 28, v6
	v_lshlrev_b64_e32 v[0:1], v0, v[8:9]
	s_delay_alu instid0(VALU_DEP_1)
	v_dual_sub_nc_u32 v1, 29, v6 :: v_dual_bitop2_b32 v0, 7, v0 bitop3:0x40
; %bb.1631:                             ;   in Loop: Header=BB302_10 Depth=1
	s_or_b32 exec_lo, exec_lo, s11
	v_lshlrev_b32_e32 v6, 8, v8
	s_delay_alu instid0(VALU_DEP_2) | instskip(NEXT) | instid1(VALU_DEP_3)
	v_lshl_add_u32 v1, v1, 10, 0x2000
	v_lshlrev_b32_e32 v0, 7, v0
	s_delay_alu instid0(VALU_DEP_3) | instskip(NEXT) | instid1(VALU_DEP_3)
	v_and_b32_e32 v6, 0x8000, v6
	v_and_b32_e32 v1, 0xfc00, v1
	s_delay_alu instid0(VALU_DEP_1)
	v_or3_b32 v0, v6, v1, v0
	scratch_store_b32 off, v0, s32 offset:684 ; 4-byte Folded Spill
.LBB302_1632:                           ;   in Loop: Header=BB302_10 Depth=1
	s_wait_xcnt 0x0
	s_or_b32 exec_lo, exec_lo, s8
.LBB302_1633:                           ;   in Loop: Header=BB302_10 Depth=1
	s_delay_alu instid0(SALU_CYCLE_1)
	s_or_b32 exec_lo, exec_lo, s7
.LBB302_1634:                           ;   in Loop: Header=BB302_10 Depth=1
	s_delay_alu instid0(SALU_CYCLE_1)
	s_or_b32 exec_lo, exec_lo, s6
	v_dual_mov_b32 v112, 0 :: v_dual_mov_b32 v113, 0
	s_mov_b32 s6, exec_lo
	v_cmpx_lt_u32_e32 0xffffff, v4
	s_cbranch_execz .LBB302_1642
; %bb.1635:                             ;   in Loop: Header=BB302_10 Depth=1
	v_lshrrev_b32_e32 v14, 24, v4
	v_bfrev_b32_e32 v113, 1
	s_mov_b32 s7, exec_lo
	s_delay_alu instid0(VALU_DEP_2)
	v_cmpx_ne_u32_e32 0x80, v14
	s_cbranch_execz .LBB302_1641
; %bb.1636:                             ;   in Loop: Header=BB302_10 Depth=1
	v_and_b32_e32 v6, 0x7f, v14
	v_mov_b32_e32 v113, 0x7c010000
	s_mov_b32 s8, exec_lo
	s_delay_alu instid0(VALU_DEP_2)
	v_cmpx_ne_u32_e32 0x7f, v6
	s_cbranch_execz .LBB302_1640
; %bb.1637:                             ;   in Loop: Header=BB302_10 Depth=1
	v_and_b32_e32 v0, 7, v14
	v_lshrrev_b32_e32 v1, 3, v6
	s_mov_b32 s11, exec_lo
	v_cmpx_gt_u32_e32 8, v6
; %bb.1638:                             ;   in Loop: Header=BB302_10 Depth=1
	s_delay_alu instid0(VALU_DEP_3) | instskip(NEXT) | instid1(VALU_DEP_1)
	v_clz_i32_u32_e32 v0, v0
	v_min_u32_e32 v6, 32, v0
	s_delay_alu instid0(VALU_DEP_1) | instskip(NEXT) | instid1(VALU_DEP_1)
	v_subrev_nc_u32_e32 v0, 28, v6
	v_lshlrev_b64_e32 v[0:1], v0, v[14:15]
	s_delay_alu instid0(VALU_DEP_1)
	v_dual_sub_nc_u32 v1, 29, v6 :: v_dual_bitop2_b32 v0, 7, v0 bitop3:0x40
; %bb.1639:                             ;   in Loop: Header=BB302_10 Depth=1
	s_or_b32 exec_lo, exec_lo, s11
	s_delay_alu instid0(VALU_DEP_1) | instskip(NEXT) | instid1(VALU_DEP_2)
	v_dual_lshlrev_b32 v6, 8, v14 :: v_dual_lshlrev_b32 v0, 23, v0
	v_lshl_add_u32 v1, v1, 10, 0x2000
	s_delay_alu instid0(VALU_DEP_1) | instskip(NEXT) | instid1(VALU_DEP_1)
	v_and_or_b32 v1, 0x8000, v6, v1
	v_lshl_or_b32 v113, v1, 16, v0
.LBB302_1640:                           ;   in Loop: Header=BB302_10 Depth=1
	s_or_b32 exec_lo, exec_lo, s8
.LBB302_1641:                           ;   in Loop: Header=BB302_10 Depth=1
	s_delay_alu instid0(SALU_CYCLE_1)
	s_or_b32 exec_lo, exec_lo, s7
.LBB302_1642:                           ;   in Loop: Header=BB302_10 Depth=1
	s_delay_alu instid0(SALU_CYCLE_1) | instskip(SKIP_3) | instid1(VALU_DEP_2)
	s_or_b32 exec_lo, exec_lo, s6
	v_and_b32_e32 v0, 0xff, v5
	v_mov_b32_e32 v14, v5
	s_mov_b32 s6, exec_lo
	v_cmpx_ne_u16_e32 0, v0
	s_cbranch_execz .LBB302_1650
; %bb.1643:                             ;   in Loop: Header=BB302_10 Depth=1
	v_mov_b32_e32 v112, 0x8000
	s_mov_b32 s7, exec_lo
	v_cmpx_ne_u16_e32 0x80, v0
	s_cbranch_execz .LBB302_1649
; %bb.1644:                             ;   in Loop: Header=BB302_10 Depth=1
	v_and_b32_e32 v6, 0x7f, v5
	v_mov_b32_e32 v112, 0x7c01
	s_mov_b32 s8, exec_lo
	s_delay_alu instid0(VALU_DEP_2)
	v_cmpx_ne_u32_e32 0x7f, v6
	s_cbranch_execz .LBB302_1648
; %bb.1645:                             ;   in Loop: Header=BB302_10 Depth=1
	v_dual_lshrrev_b32 v1, 3, v6 :: v_dual_bitop2_b32 v0, 7, v5 bitop3:0x40
	s_mov_b32 s11, exec_lo
	v_cmpx_gt_u32_e32 8, v6
; %bb.1646:                             ;   in Loop: Header=BB302_10 Depth=1
	s_delay_alu instid0(VALU_DEP_2) | instskip(NEXT) | instid1(VALU_DEP_1)
	v_clz_i32_u32_e32 v0, v0
	v_min_u32_e32 v6, 32, v0
	s_delay_alu instid0(VALU_DEP_1) | instskip(NEXT) | instid1(VALU_DEP_1)
	v_subrev_nc_u32_e32 v0, 28, v6
	v_lshlrev_b64_e32 v[0:1], v0, v[14:15]
	s_delay_alu instid0(VALU_DEP_1)
	v_dual_sub_nc_u32 v1, 29, v6 :: v_dual_bitop2_b32 v0, 7, v0 bitop3:0x40
; %bb.1647:                             ;   in Loop: Header=BB302_10 Depth=1
	s_or_b32 exec_lo, exec_lo, s11
	s_delay_alu instid0(VALU_DEP_1) | instskip(NEXT) | instid1(VALU_DEP_2)
	v_dual_lshlrev_b32 v6, 8, v5 :: v_dual_lshlrev_b32 v0, 7, v0
	v_lshl_add_u32 v1, v1, 10, 0x2000
	s_delay_alu instid0(VALU_DEP_2) | instskip(NEXT) | instid1(VALU_DEP_2)
	v_and_b32_e32 v6, 0x8000, v6
	v_and_b32_e32 v1, 0xfc00, v1
	s_delay_alu instid0(VALU_DEP_1)
	v_or3_b32 v112, v6, v1, v0
.LBB302_1648:                           ;   in Loop: Header=BB302_10 Depth=1
	s_or_b32 exec_lo, exec_lo, s8
.LBB302_1649:                           ;   in Loop: Header=BB302_10 Depth=1
	s_delay_alu instid0(SALU_CYCLE_1)
	s_or_b32 exec_lo, exec_lo, s7
.LBB302_1650:                           ;   in Loop: Header=BB302_10 Depth=1
	s_delay_alu instid0(SALU_CYCLE_1)
	s_or_b32 exec_lo, exec_lo, s6
	v_lshrrev_b16 v14, 8, v14
	v_dual_mov_b32 v0, 0 :: v_dual_mov_b32 v41, 0
	s_mov_b32 s6, exec_lo
	scratch_store_b32 off, v0, s32 offset:688 ; 4-byte Folded Spill
	s_wait_xcnt 0x0
	v_cmpx_ne_u16_e32 0, v14
	s_cbranch_execz .LBB302_1658
; %bb.1651:                             ;   in Loop: Header=BB302_10 Depth=1
	v_bfrev_b32_e32 v41, 1
	s_mov_b32 s7, exec_lo
	v_cmpx_ne_u16_e32 0x80, v14
	s_cbranch_execz .LBB302_1657
; %bb.1652:                             ;   in Loop: Header=BB302_10 Depth=1
	v_and_b32_e32 v0, 0xffff, v14
	v_mov_b32_e32 v41, 0x7c010000
	s_mov_b32 s8, exec_lo
	s_delay_alu instid0(VALU_DEP_2) | instskip(NEXT) | instid1(VALU_DEP_1)
	v_and_b32_e32 v7, 0x7f, v0
	v_cmpx_ne_u32_e32 0x7f, v7
	s_cbranch_execz .LBB302_1656
; %bb.1653:                             ;   in Loop: Header=BB302_10 Depth=1
	v_dual_lshrrev_b32 v6, 3, v7 :: v_dual_bitop2_b32 v1, 7, v0 bitop3:0x40
	s_mov_b32 s11, exec_lo
	v_cmpx_gt_u32_e32 8, v7
; %bb.1654:                             ;   in Loop: Header=BB302_10 Depth=1
	s_delay_alu instid0(VALU_DEP_2) | instskip(NEXT) | instid1(VALU_DEP_1)
	v_clz_i32_u32_e32 v1, v1
	v_min_u32_e32 v1, 32, v1
	s_delay_alu instid0(VALU_DEP_1) | instskip(NEXT) | instid1(VALU_DEP_1)
	v_subrev_nc_u32_e32 v6, 28, v1
	v_lshlrev_b64_e32 v[8:9], v6, v[14:15]
	s_delay_alu instid0(VALU_DEP_1)
	v_dual_sub_nc_u32 v6, 29, v1 :: v_dual_bitop2_b32 v1, 7, v8 bitop3:0x40
; %bb.1655:                             ;   in Loop: Header=BB302_10 Depth=1
	s_or_b32 exec_lo, exec_lo, s11
	s_delay_alu instid0(VALU_DEP_1) | instskip(NEXT) | instid1(VALU_DEP_2)
	v_dual_lshlrev_b32 v0, 8, v0 :: v_dual_lshlrev_b32 v1, 23, v1
	v_lshl_add_u32 v6, v6, 10, 0x2000
	s_delay_alu instid0(VALU_DEP_1) | instskip(NEXT) | instid1(VALU_DEP_1)
	v_and_or_b32 v0, 0x8000, v0, v6
	v_lshl_or_b32 v41, v0, 16, v1
.LBB302_1656:                           ;   in Loop: Header=BB302_10 Depth=1
	s_or_b32 exec_lo, exec_lo, s8
.LBB302_1657:                           ;   in Loop: Header=BB302_10 Depth=1
	s_delay_alu instid0(SALU_CYCLE_1)
	s_or_b32 exec_lo, exec_lo, s7
.LBB302_1658:                           ;   in Loop: Header=BB302_10 Depth=1
	s_delay_alu instid0(SALU_CYCLE_1) | instskip(SKIP_2) | instid1(VALU_DEP_1)
	s_or_b32 exec_lo, exec_lo, s6
	v_lshrrev_b32_e32 v8, 16, v5
	s_mov_b32 s6, exec_lo
	v_and_b32_e32 v0, 0xff, v8
	s_delay_alu instid0(VALU_DEP_1)
	v_cmpx_ne_u16_e32 0, v0
	s_cbranch_execz .LBB302_1666
; %bb.1659:                             ;   in Loop: Header=BB302_10 Depth=1
	v_cmp_ne_u16_e64 s1, 0x80, v0
	v_mov_b32_e32 v0, 0x8000
	scratch_store_b32 off, v0, s32 offset:688 ; 4-byte Folded Spill
	s_wait_xcnt 0x0
	s_and_saveexec_b32 s7, s1
	s_cbranch_execz .LBB302_1665
; %bb.1660:                             ;   in Loop: Header=BB302_10 Depth=1
	v_bfe_u32 v6, v5, 16, 7
	v_mov_b32_e32 v0, 0x7c01
	s_mov_b32 s8, exec_lo
	scratch_store_b32 off, v0, s32 offset:688 ; 4-byte Folded Spill
	s_wait_xcnt 0x0
	v_cmpx_ne_u32_e32 0x7f, v6
	s_cbranch_execz .LBB302_1664
; %bb.1661:                             ;   in Loop: Header=BB302_10 Depth=1
	v_dual_lshrrev_b32 v1, 3, v6 :: v_dual_bitop2_b32 v0, 7, v8 bitop3:0x40
	s_mov_b32 s11, exec_lo
	v_cmpx_gt_u32_e32 8, v6
; %bb.1662:                             ;   in Loop: Header=BB302_10 Depth=1
	s_delay_alu instid0(VALU_DEP_2) | instskip(NEXT) | instid1(VALU_DEP_1)
	v_clz_i32_u32_e32 v0, v0
	v_min_u32_e32 v6, 32, v0
	s_delay_alu instid0(VALU_DEP_1) | instskip(NEXT) | instid1(VALU_DEP_1)
	v_subrev_nc_u32_e32 v0, 28, v6
	v_lshlrev_b64_e32 v[0:1], v0, v[8:9]
	s_delay_alu instid0(VALU_DEP_1)
	v_dual_sub_nc_u32 v1, 29, v6 :: v_dual_bitop2_b32 v0, 7, v0 bitop3:0x40
; %bb.1663:                             ;   in Loop: Header=BB302_10 Depth=1
	s_or_b32 exec_lo, exec_lo, s11
	v_lshlrev_b32_e32 v6, 8, v8
	s_delay_alu instid0(VALU_DEP_2) | instskip(NEXT) | instid1(VALU_DEP_3)
	v_lshl_add_u32 v1, v1, 10, 0x2000
	v_lshlrev_b32_e32 v0, 7, v0
	s_delay_alu instid0(VALU_DEP_3) | instskip(NEXT) | instid1(VALU_DEP_3)
	v_and_b32_e32 v6, 0x8000, v6
	v_and_b32_e32 v1, 0xfc00, v1
	s_delay_alu instid0(VALU_DEP_1)
	v_or3_b32 v0, v6, v1, v0
	scratch_store_b32 off, v0, s32 offset:688 ; 4-byte Folded Spill
.LBB302_1664:                           ;   in Loop: Header=BB302_10 Depth=1
	s_wait_xcnt 0x0
	s_or_b32 exec_lo, exec_lo, s8
.LBB302_1665:                           ;   in Loop: Header=BB302_10 Depth=1
	s_delay_alu instid0(SALU_CYCLE_1)
	s_or_b32 exec_lo, exec_lo, s7
.LBB302_1666:                           ;   in Loop: Header=BB302_10 Depth=1
	s_delay_alu instid0(SALU_CYCLE_1)
	s_or_b32 exec_lo, exec_lo, s6
	v_dual_mov_b32 v0, 0 :: v_dual_mov_b32 v61, 0
	s_mov_b32 s6, exec_lo
	scratch_store_b32 off, v0, s32 offset:692 ; 4-byte Folded Spill
	s_wait_xcnt 0x0
	v_cmpx_lt_u64_e64 s[2:3], v[4:5]
	s_cbranch_execz .LBB302_1674
; %bb.1667:                             ;   in Loop: Header=BB302_10 Depth=1
	v_lshrrev_b32_e32 v14, 24, v5
	v_bfrev_b32_e32 v61, 1
	s_mov_b32 s7, exec_lo
	s_delay_alu instid0(VALU_DEP_2)
	v_cmpx_ne_u32_e32 0x80, v14
	s_cbranch_execz .LBB302_1673
; %bb.1668:                             ;   in Loop: Header=BB302_10 Depth=1
	v_and_b32_e32 v4, 0x7f, v14
	v_mov_b32_e32 v61, 0x7c010000
	s_mov_b32 s8, exec_lo
	s_delay_alu instid0(VALU_DEP_2)
	v_cmpx_ne_u32_e32 0x7f, v4
	s_cbranch_execz .LBB302_1672
; %bb.1669:                             ;   in Loop: Header=BB302_10 Depth=1
	v_dual_lshrrev_b32 v1, 3, v4 :: v_dual_bitop2_b32 v0, 7, v14 bitop3:0x40
	s_mov_b32 s11, exec_lo
	v_cmpx_gt_u32_e32 8, v4
; %bb.1670:                             ;   in Loop: Header=BB302_10 Depth=1
	s_delay_alu instid0(VALU_DEP_2) | instskip(NEXT) | instid1(VALU_DEP_1)
	v_clz_i32_u32_e32 v0, v0
	v_min_u32_e32 v4, 32, v0
	s_delay_alu instid0(VALU_DEP_1) | instskip(NEXT) | instid1(VALU_DEP_1)
	v_subrev_nc_u32_e32 v0, 28, v4
	v_lshlrev_b64_e32 v[0:1], v0, v[14:15]
	v_sub_nc_u32_e32 v1, 29, v4
	s_delay_alu instid0(VALU_DEP_2)
	v_and_b32_e32 v0, 7, v0
; %bb.1671:                             ;   in Loop: Header=BB302_10 Depth=1
	s_or_b32 exec_lo, exec_lo, s11
	s_delay_alu instid0(VALU_DEP_1) | instskip(NEXT) | instid1(VALU_DEP_3)
	v_dual_lshlrev_b32 v4, 8, v14 :: v_dual_lshlrev_b32 v0, 23, v0
	v_lshl_add_u32 v1, v1, 10, 0x2000
	s_delay_alu instid0(VALU_DEP_1) | instskip(NEXT) | instid1(VALU_DEP_1)
	v_and_or_b32 v1, 0x8000, v4, v1
	v_lshl_or_b32 v61, v1, 16, v0
.LBB302_1672:                           ;   in Loop: Header=BB302_10 Depth=1
	s_or_b32 exec_lo, exec_lo, s8
.LBB302_1673:                           ;   in Loop: Header=BB302_10 Depth=1
	s_delay_alu instid0(SALU_CYCLE_1)
	s_or_b32 exec_lo, exec_lo, s7
.LBB302_1674:                           ;   in Loop: Header=BB302_10 Depth=1
	s_delay_alu instid0(SALU_CYCLE_1)
	s_or_b32 exec_lo, exec_lo, s6
	flat_load_b64 v[4:5], v[2:3] offset:6656
	s_mov_b32 s6, exec_lo
	s_wait_loadcnt_dscnt 0x0
	v_and_b32_e32 v0, 0xff, v4
	s_wait_xcnt 0x0
	s_delay_alu instid0(VALU_DEP_1)
	v_cmpx_ne_u16_e32 0, v0
	s_cbranch_execz .LBB302_1682
; %bb.1675:                             ;   in Loop: Header=BB302_10 Depth=1
	v_cmp_ne_u16_e64 s1, 0x80, v0
	v_mov_b32_e32 v0, 0x8000
	scratch_store_b32 off, v0, s32 offset:692 ; 4-byte Folded Spill
	s_wait_xcnt 0x0
	s_and_saveexec_b32 s7, s1
	s_cbranch_execz .LBB302_1681
; %bb.1676:                             ;   in Loop: Header=BB302_10 Depth=1
	v_and_b32_e32 v6, 0x7f, v4
	v_mov_b32_e32 v0, 0x7c01
	s_mov_b32 s8, exec_lo
	scratch_store_b32 off, v0, s32 offset:692 ; 4-byte Folded Spill
	s_wait_xcnt 0x0
	v_cmpx_ne_u32_e32 0x7f, v6
	s_cbranch_execz .LBB302_1680
; %bb.1677:                             ;   in Loop: Header=BB302_10 Depth=1
	v_dual_lshrrev_b32 v1, 3, v6 :: v_dual_bitop2_b32 v0, 7, v4 bitop3:0x40
	s_mov_b32 s11, exec_lo
	v_cmpx_gt_u32_e32 8, v6
; %bb.1678:                             ;   in Loop: Header=BB302_10 Depth=1
	s_delay_alu instid0(VALU_DEP_2) | instskip(NEXT) | instid1(VALU_DEP_1)
	v_clz_i32_u32_e32 v0, v0
	v_min_u32_e32 v6, 32, v0
	s_delay_alu instid0(VALU_DEP_1) | instskip(NEXT) | instid1(VALU_DEP_1)
	v_subrev_nc_u32_e32 v0, 28, v6
	v_lshlrev_b64_e32 v[0:1], v0, v[4:5]
	s_delay_alu instid0(VALU_DEP_1)
	v_dual_sub_nc_u32 v1, 29, v6 :: v_dual_bitop2_b32 v0, 7, v0 bitop3:0x40
; %bb.1679:                             ;   in Loop: Header=BB302_10 Depth=1
	s_or_b32 exec_lo, exec_lo, s11
	v_lshlrev_b32_e32 v6, 8, v4
	s_delay_alu instid0(VALU_DEP_2) | instskip(NEXT) | instid1(VALU_DEP_3)
	v_lshl_add_u32 v1, v1, 10, 0x2000
	v_lshlrev_b32_e32 v0, 7, v0
	s_delay_alu instid0(VALU_DEP_3) | instskip(NEXT) | instid1(VALU_DEP_3)
	v_and_b32_e32 v6, 0x8000, v6
	v_and_b32_e32 v1, 0xfc00, v1
	s_delay_alu instid0(VALU_DEP_1)
	v_or3_b32 v0, v6, v1, v0
	scratch_store_b32 off, v0, s32 offset:692 ; 4-byte Folded Spill
.LBB302_1680:                           ;   in Loop: Header=BB302_10 Depth=1
	s_wait_xcnt 0x0
	s_or_b32 exec_lo, exec_lo, s8
.LBB302_1681:                           ;   in Loop: Header=BB302_10 Depth=1
	s_delay_alu instid0(SALU_CYCLE_1)
	s_or_b32 exec_lo, exec_lo, s7
.LBB302_1682:                           ;   in Loop: Header=BB302_10 Depth=1
	s_delay_alu instid0(SALU_CYCLE_1) | instskip(SKIP_3) | instid1(VALU_DEP_2)
	s_or_b32 exec_lo, exec_lo, s6
	v_lshrrev_b16 v14, 8, v4
	v_dual_mov_b32 v72, 0 :: v_dual_mov_b32 v118, 0
	s_mov_b32 s6, exec_lo
	v_cmpx_ne_u16_e32 0, v14
	s_cbranch_execz .LBB302_1690
; %bb.1683:                             ;   in Loop: Header=BB302_10 Depth=1
	v_bfrev_b32_e32 v118, 1
	s_mov_b32 s7, exec_lo
	v_cmpx_ne_u16_e32 0x80, v14
	s_cbranch_execz .LBB302_1689
; %bb.1684:                             ;   in Loop: Header=BB302_10 Depth=1
	v_and_b32_e32 v0, 0xffff, v14
	v_mov_b32_e32 v118, 0x7c010000
	s_mov_b32 s8, exec_lo
	s_delay_alu instid0(VALU_DEP_2) | instskip(NEXT) | instid1(VALU_DEP_1)
	v_and_b32_e32 v7, 0x7f, v0
	v_cmpx_ne_u32_e32 0x7f, v7
	s_cbranch_execz .LBB302_1688
; %bb.1685:                             ;   in Loop: Header=BB302_10 Depth=1
	v_dual_lshrrev_b32 v6, 3, v7 :: v_dual_bitop2_b32 v1, 7, v0 bitop3:0x40
	s_mov_b32 s11, exec_lo
	v_cmpx_gt_u32_e32 8, v7
; %bb.1686:                             ;   in Loop: Header=BB302_10 Depth=1
	s_delay_alu instid0(VALU_DEP_2) | instskip(NEXT) | instid1(VALU_DEP_1)
	v_clz_i32_u32_e32 v1, v1
	v_min_u32_e32 v1, 32, v1
	s_delay_alu instid0(VALU_DEP_1) | instskip(NEXT) | instid1(VALU_DEP_1)
	v_subrev_nc_u32_e32 v6, 28, v1
	v_lshlrev_b64_e32 v[8:9], v6, v[14:15]
	s_delay_alu instid0(VALU_DEP_1)
	v_dual_sub_nc_u32 v6, 29, v1 :: v_dual_bitop2_b32 v1, 7, v8 bitop3:0x40
; %bb.1687:                             ;   in Loop: Header=BB302_10 Depth=1
	s_or_b32 exec_lo, exec_lo, s11
	s_delay_alu instid0(VALU_DEP_1) | instskip(NEXT) | instid1(VALU_DEP_2)
	v_dual_lshlrev_b32 v0, 8, v0 :: v_dual_lshlrev_b32 v1, 23, v1
	v_lshl_add_u32 v6, v6, 10, 0x2000
	s_delay_alu instid0(VALU_DEP_1) | instskip(NEXT) | instid1(VALU_DEP_1)
	v_and_or_b32 v0, 0x8000, v0, v6
	v_lshl_or_b32 v118, v0, 16, v1
.LBB302_1688:                           ;   in Loop: Header=BB302_10 Depth=1
	s_or_b32 exec_lo, exec_lo, s8
.LBB302_1689:                           ;   in Loop: Header=BB302_10 Depth=1
	s_delay_alu instid0(SALU_CYCLE_1)
	s_or_b32 exec_lo, exec_lo, s7
.LBB302_1690:                           ;   in Loop: Header=BB302_10 Depth=1
	s_delay_alu instid0(SALU_CYCLE_1) | instskip(SKIP_2) | instid1(VALU_DEP_1)
	s_or_b32 exec_lo, exec_lo, s6
	v_lshrrev_b32_e32 v8, 16, v4
	s_mov_b32 s6, exec_lo
	v_and_b32_e32 v0, 0xff, v8
	s_delay_alu instid0(VALU_DEP_1)
	v_cmpx_ne_u16_e32 0, v0
	s_cbranch_execz .LBB302_1698
; %bb.1691:                             ;   in Loop: Header=BB302_10 Depth=1
	v_mov_b32_e32 v72, 0x8000
	s_mov_b32 s7, exec_lo
	v_cmpx_ne_u16_e32 0x80, v0
	s_cbranch_execz .LBB302_1697
; %bb.1692:                             ;   in Loop: Header=BB302_10 Depth=1
	v_bfe_u32 v6, v4, 16, 7
	v_mov_b32_e32 v72, 0x7c01
	s_mov_b32 s8, exec_lo
	s_delay_alu instid0(VALU_DEP_2)
	v_cmpx_ne_u32_e32 0x7f, v6
	s_cbranch_execz .LBB302_1696
; %bb.1693:                             ;   in Loop: Header=BB302_10 Depth=1
	v_dual_lshrrev_b32 v1, 3, v6 :: v_dual_bitop2_b32 v0, 7, v8 bitop3:0x40
	s_mov_b32 s11, exec_lo
	v_cmpx_gt_u32_e32 8, v6
; %bb.1694:                             ;   in Loop: Header=BB302_10 Depth=1
	s_delay_alu instid0(VALU_DEP_2) | instskip(NEXT) | instid1(VALU_DEP_1)
	v_clz_i32_u32_e32 v0, v0
	v_min_u32_e32 v6, 32, v0
	s_delay_alu instid0(VALU_DEP_1) | instskip(NEXT) | instid1(VALU_DEP_1)
	v_subrev_nc_u32_e32 v0, 28, v6
	v_lshlrev_b64_e32 v[0:1], v0, v[8:9]
	s_delay_alu instid0(VALU_DEP_1)
	v_dual_sub_nc_u32 v1, 29, v6 :: v_dual_bitop2_b32 v0, 7, v0 bitop3:0x40
; %bb.1695:                             ;   in Loop: Header=BB302_10 Depth=1
	s_or_b32 exec_lo, exec_lo, s11
	v_lshlrev_b32_e32 v6, 8, v8
	s_delay_alu instid0(VALU_DEP_2) | instskip(NEXT) | instid1(VALU_DEP_3)
	v_lshl_add_u32 v1, v1, 10, 0x2000
	v_lshlrev_b32_e32 v0, 7, v0
	s_delay_alu instid0(VALU_DEP_3) | instskip(NEXT) | instid1(VALU_DEP_3)
	v_and_b32_e32 v6, 0x8000, v6
	v_and_b32_e32 v1, 0xfc00, v1
	s_delay_alu instid0(VALU_DEP_1)
	v_or3_b32 v72, v6, v1, v0
.LBB302_1696:                           ;   in Loop: Header=BB302_10 Depth=1
	s_or_b32 exec_lo, exec_lo, s8
.LBB302_1697:                           ;   in Loop: Header=BB302_10 Depth=1
	s_delay_alu instid0(SALU_CYCLE_1)
	s_or_b32 exec_lo, exec_lo, s7
.LBB302_1698:                           ;   in Loop: Header=BB302_10 Depth=1
	s_delay_alu instid0(SALU_CYCLE_1)
	s_or_b32 exec_lo, exec_lo, s6
	v_dual_mov_b32 v40, 0 :: v_dual_mov_b32 v73, 0
	s_mov_b32 s6, exec_lo
	v_cmpx_lt_u32_e32 0xffffff, v4
	s_cbranch_execz .LBB302_1706
; %bb.1699:                             ;   in Loop: Header=BB302_10 Depth=1
	v_lshrrev_b32_e32 v14, 24, v4
	v_bfrev_b32_e32 v73, 1
	s_mov_b32 s7, exec_lo
	s_delay_alu instid0(VALU_DEP_2)
	v_cmpx_ne_u32_e32 0x80, v14
	s_cbranch_execz .LBB302_1705
; %bb.1700:                             ;   in Loop: Header=BB302_10 Depth=1
	v_and_b32_e32 v6, 0x7f, v14
	v_mov_b32_e32 v73, 0x7c010000
	s_mov_b32 s8, exec_lo
	s_delay_alu instid0(VALU_DEP_2)
	v_cmpx_ne_u32_e32 0x7f, v6
	s_cbranch_execz .LBB302_1704
; %bb.1701:                             ;   in Loop: Header=BB302_10 Depth=1
	v_and_b32_e32 v0, 7, v14
	v_lshrrev_b32_e32 v1, 3, v6
	s_mov_b32 s11, exec_lo
	v_cmpx_gt_u32_e32 8, v6
; %bb.1702:                             ;   in Loop: Header=BB302_10 Depth=1
	s_delay_alu instid0(VALU_DEP_3) | instskip(NEXT) | instid1(VALU_DEP_1)
	v_clz_i32_u32_e32 v0, v0
	v_min_u32_e32 v6, 32, v0
	s_delay_alu instid0(VALU_DEP_1) | instskip(NEXT) | instid1(VALU_DEP_1)
	v_subrev_nc_u32_e32 v0, 28, v6
	v_lshlrev_b64_e32 v[0:1], v0, v[14:15]
	s_delay_alu instid0(VALU_DEP_1)
	v_dual_sub_nc_u32 v1, 29, v6 :: v_dual_bitop2_b32 v0, 7, v0 bitop3:0x40
; %bb.1703:                             ;   in Loop: Header=BB302_10 Depth=1
	s_or_b32 exec_lo, exec_lo, s11
	s_delay_alu instid0(VALU_DEP_1) | instskip(NEXT) | instid1(VALU_DEP_2)
	v_dual_lshlrev_b32 v6, 8, v14 :: v_dual_lshlrev_b32 v0, 23, v0
	v_lshl_add_u32 v1, v1, 10, 0x2000
	s_delay_alu instid0(VALU_DEP_1) | instskip(NEXT) | instid1(VALU_DEP_1)
	v_and_or_b32 v1, 0x8000, v6, v1
	v_lshl_or_b32 v73, v1, 16, v0
.LBB302_1704:                           ;   in Loop: Header=BB302_10 Depth=1
	s_or_b32 exec_lo, exec_lo, s8
.LBB302_1705:                           ;   in Loop: Header=BB302_10 Depth=1
	s_delay_alu instid0(SALU_CYCLE_1)
	s_or_b32 exec_lo, exec_lo, s7
.LBB302_1706:                           ;   in Loop: Header=BB302_10 Depth=1
	s_delay_alu instid0(SALU_CYCLE_1) | instskip(SKIP_3) | instid1(VALU_DEP_2)
	s_or_b32 exec_lo, exec_lo, s6
	v_and_b32_e32 v0, 0xff, v5
	v_mov_b32_e32 v14, v5
	s_mov_b32 s6, exec_lo
	v_cmpx_ne_u16_e32 0, v0
	s_cbranch_execz .LBB302_1714
; %bb.1707:                             ;   in Loop: Header=BB302_10 Depth=1
	v_mov_b32_e32 v40, 0x8000
	s_mov_b32 s7, exec_lo
	v_cmpx_ne_u16_e32 0x80, v0
	s_cbranch_execz .LBB302_1713
; %bb.1708:                             ;   in Loop: Header=BB302_10 Depth=1
	v_and_b32_e32 v6, 0x7f, v5
	v_mov_b32_e32 v40, 0x7c01
	s_mov_b32 s8, exec_lo
	s_delay_alu instid0(VALU_DEP_2)
	v_cmpx_ne_u32_e32 0x7f, v6
	s_cbranch_execz .LBB302_1712
; %bb.1709:                             ;   in Loop: Header=BB302_10 Depth=1
	v_dual_lshrrev_b32 v1, 3, v6 :: v_dual_bitop2_b32 v0, 7, v5 bitop3:0x40
	s_mov_b32 s11, exec_lo
	v_cmpx_gt_u32_e32 8, v6
; %bb.1710:                             ;   in Loop: Header=BB302_10 Depth=1
	s_delay_alu instid0(VALU_DEP_2) | instskip(NEXT) | instid1(VALU_DEP_1)
	v_clz_i32_u32_e32 v0, v0
	v_min_u32_e32 v6, 32, v0
	s_delay_alu instid0(VALU_DEP_1) | instskip(NEXT) | instid1(VALU_DEP_1)
	v_subrev_nc_u32_e32 v0, 28, v6
	v_lshlrev_b64_e32 v[0:1], v0, v[14:15]
	s_delay_alu instid0(VALU_DEP_1)
	v_dual_sub_nc_u32 v1, 29, v6 :: v_dual_bitop2_b32 v0, 7, v0 bitop3:0x40
; %bb.1711:                             ;   in Loop: Header=BB302_10 Depth=1
	s_or_b32 exec_lo, exec_lo, s11
	s_delay_alu instid0(VALU_DEP_1) | instskip(NEXT) | instid1(VALU_DEP_2)
	v_dual_lshlrev_b32 v6, 8, v5 :: v_dual_lshlrev_b32 v0, 7, v0
	v_lshl_add_u32 v1, v1, 10, 0x2000
	s_delay_alu instid0(VALU_DEP_2) | instskip(NEXT) | instid1(VALU_DEP_2)
	v_and_b32_e32 v6, 0x8000, v6
	v_and_b32_e32 v1, 0xfc00, v1
	s_delay_alu instid0(VALU_DEP_1)
	v_or3_b32 v40, v6, v1, v0
.LBB302_1712:                           ;   in Loop: Header=BB302_10 Depth=1
	s_or_b32 exec_lo, exec_lo, s8
.LBB302_1713:                           ;   in Loop: Header=BB302_10 Depth=1
	s_delay_alu instid0(SALU_CYCLE_1)
	s_or_b32 exec_lo, exec_lo, s7
.LBB302_1714:                           ;   in Loop: Header=BB302_10 Depth=1
	s_delay_alu instid0(SALU_CYCLE_1) | instskip(SKIP_3) | instid1(VALU_DEP_2)
	s_or_b32 exec_lo, exec_lo, s6
	v_lshrrev_b16 v14, 8, v14
	v_dual_mov_b32 v75, 0 :: v_dual_mov_b32 v106, 0
	s_mov_b32 s6, exec_lo
	v_cmpx_ne_u16_e32 0, v14
	s_cbranch_execz .LBB302_1722
; %bb.1715:                             ;   in Loop: Header=BB302_10 Depth=1
	v_bfrev_b32_e32 v106, 1
	s_mov_b32 s7, exec_lo
	v_cmpx_ne_u16_e32 0x80, v14
	s_cbranch_execz .LBB302_1721
; %bb.1716:                             ;   in Loop: Header=BB302_10 Depth=1
	v_and_b32_e32 v0, 0xffff, v14
	v_mov_b32_e32 v106, 0x7c010000
	s_mov_b32 s8, exec_lo
	s_delay_alu instid0(VALU_DEP_2) | instskip(NEXT) | instid1(VALU_DEP_1)
	v_and_b32_e32 v7, 0x7f, v0
	v_cmpx_ne_u32_e32 0x7f, v7
	s_cbranch_execz .LBB302_1720
; %bb.1717:                             ;   in Loop: Header=BB302_10 Depth=1
	v_dual_lshrrev_b32 v6, 3, v7 :: v_dual_bitop2_b32 v1, 7, v0 bitop3:0x40
	s_mov_b32 s11, exec_lo
	v_cmpx_gt_u32_e32 8, v7
; %bb.1718:                             ;   in Loop: Header=BB302_10 Depth=1
	s_delay_alu instid0(VALU_DEP_2) | instskip(NEXT) | instid1(VALU_DEP_1)
	v_clz_i32_u32_e32 v1, v1
	v_min_u32_e32 v1, 32, v1
	s_delay_alu instid0(VALU_DEP_1) | instskip(NEXT) | instid1(VALU_DEP_1)
	v_subrev_nc_u32_e32 v6, 28, v1
	v_lshlrev_b64_e32 v[8:9], v6, v[14:15]
	s_delay_alu instid0(VALU_DEP_1)
	v_dual_sub_nc_u32 v6, 29, v1 :: v_dual_bitop2_b32 v1, 7, v8 bitop3:0x40
; %bb.1719:                             ;   in Loop: Header=BB302_10 Depth=1
	s_or_b32 exec_lo, exec_lo, s11
	s_delay_alu instid0(VALU_DEP_1) | instskip(NEXT) | instid1(VALU_DEP_2)
	v_dual_lshlrev_b32 v0, 8, v0 :: v_dual_lshlrev_b32 v1, 23, v1
	v_lshl_add_u32 v6, v6, 10, 0x2000
	s_delay_alu instid0(VALU_DEP_1) | instskip(NEXT) | instid1(VALU_DEP_1)
	v_and_or_b32 v0, 0x8000, v0, v6
	v_lshl_or_b32 v106, v0, 16, v1
.LBB302_1720:                           ;   in Loop: Header=BB302_10 Depth=1
	s_or_b32 exec_lo, exec_lo, s8
.LBB302_1721:                           ;   in Loop: Header=BB302_10 Depth=1
	s_delay_alu instid0(SALU_CYCLE_1)
	s_or_b32 exec_lo, exec_lo, s7
.LBB302_1722:                           ;   in Loop: Header=BB302_10 Depth=1
	s_delay_alu instid0(SALU_CYCLE_1) | instskip(SKIP_2) | instid1(VALU_DEP_1)
	s_or_b32 exec_lo, exec_lo, s6
	v_lshrrev_b32_e32 v8, 16, v5
	s_mov_b32 s6, exec_lo
	v_and_b32_e32 v0, 0xff, v8
	s_delay_alu instid0(VALU_DEP_1)
	v_cmpx_ne_u16_e32 0, v0
	s_cbranch_execz .LBB302_1730
; %bb.1723:                             ;   in Loop: Header=BB302_10 Depth=1
	v_mov_b32_e32 v75, 0x8000
	s_mov_b32 s7, exec_lo
	v_cmpx_ne_u16_e32 0x80, v0
	s_cbranch_execz .LBB302_1729
; %bb.1724:                             ;   in Loop: Header=BB302_10 Depth=1
	v_bfe_u32 v6, v5, 16, 7
	v_mov_b32_e32 v75, 0x7c01
	s_mov_b32 s8, exec_lo
	s_delay_alu instid0(VALU_DEP_2)
	v_cmpx_ne_u32_e32 0x7f, v6
	s_cbranch_execz .LBB302_1728
; %bb.1725:                             ;   in Loop: Header=BB302_10 Depth=1
	v_dual_lshrrev_b32 v1, 3, v6 :: v_dual_bitop2_b32 v0, 7, v8 bitop3:0x40
	s_mov_b32 s11, exec_lo
	v_cmpx_gt_u32_e32 8, v6
; %bb.1726:                             ;   in Loop: Header=BB302_10 Depth=1
	s_delay_alu instid0(VALU_DEP_2) | instskip(NEXT) | instid1(VALU_DEP_1)
	v_clz_i32_u32_e32 v0, v0
	v_min_u32_e32 v6, 32, v0
	s_delay_alu instid0(VALU_DEP_1) | instskip(NEXT) | instid1(VALU_DEP_1)
	v_subrev_nc_u32_e32 v0, 28, v6
	v_lshlrev_b64_e32 v[0:1], v0, v[8:9]
	s_delay_alu instid0(VALU_DEP_1)
	v_dual_sub_nc_u32 v1, 29, v6 :: v_dual_bitop2_b32 v0, 7, v0 bitop3:0x40
; %bb.1727:                             ;   in Loop: Header=BB302_10 Depth=1
	s_or_b32 exec_lo, exec_lo, s11
	v_lshlrev_b32_e32 v6, 8, v8
	s_delay_alu instid0(VALU_DEP_2) | instskip(NEXT) | instid1(VALU_DEP_3)
	v_lshl_add_u32 v1, v1, 10, 0x2000
	v_lshlrev_b32_e32 v0, 7, v0
	s_delay_alu instid0(VALU_DEP_3) | instskip(NEXT) | instid1(VALU_DEP_3)
	v_and_b32_e32 v6, 0x8000, v6
	v_and_b32_e32 v1, 0xfc00, v1
	s_delay_alu instid0(VALU_DEP_1)
	v_or3_b32 v75, v6, v1, v0
.LBB302_1728:                           ;   in Loop: Header=BB302_10 Depth=1
	s_or_b32 exec_lo, exec_lo, s8
.LBB302_1729:                           ;   in Loop: Header=BB302_10 Depth=1
	s_delay_alu instid0(SALU_CYCLE_1)
	s_or_b32 exec_lo, exec_lo, s7
.LBB302_1730:                           ;   in Loop: Header=BB302_10 Depth=1
	s_delay_alu instid0(SALU_CYCLE_1)
	s_or_b32 exec_lo, exec_lo, s6
	v_dual_mov_b32 v58, 0 :: v_dual_mov_b32 v107, 0
	s_mov_b32 s6, exec_lo
	v_cmpx_lt_u64_e64 s[2:3], v[4:5]
	s_cbranch_execz .LBB302_1738
; %bb.1731:                             ;   in Loop: Header=BB302_10 Depth=1
	v_lshrrev_b32_e32 v14, 24, v5
	v_bfrev_b32_e32 v107, 1
	s_mov_b32 s7, exec_lo
	s_delay_alu instid0(VALU_DEP_2)
	v_cmpx_ne_u32_e32 0x80, v14
	s_cbranch_execz .LBB302_1737
; %bb.1732:                             ;   in Loop: Header=BB302_10 Depth=1
	v_and_b32_e32 v4, 0x7f, v14
	v_mov_b32_e32 v107, 0x7c010000
	s_mov_b32 s8, exec_lo
	s_delay_alu instid0(VALU_DEP_2)
	v_cmpx_ne_u32_e32 0x7f, v4
	s_cbranch_execz .LBB302_1736
; %bb.1733:                             ;   in Loop: Header=BB302_10 Depth=1
	v_dual_lshrrev_b32 v1, 3, v4 :: v_dual_bitop2_b32 v0, 7, v14 bitop3:0x40
	s_mov_b32 s11, exec_lo
	v_cmpx_gt_u32_e32 8, v4
; %bb.1734:                             ;   in Loop: Header=BB302_10 Depth=1
	s_delay_alu instid0(VALU_DEP_2) | instskip(NEXT) | instid1(VALU_DEP_1)
	v_clz_i32_u32_e32 v0, v0
	v_min_u32_e32 v4, 32, v0
	s_delay_alu instid0(VALU_DEP_1) | instskip(NEXT) | instid1(VALU_DEP_1)
	v_subrev_nc_u32_e32 v0, 28, v4
	v_lshlrev_b64_e32 v[0:1], v0, v[14:15]
	v_sub_nc_u32_e32 v1, 29, v4
	s_delay_alu instid0(VALU_DEP_2)
	v_and_b32_e32 v0, 7, v0
; %bb.1735:                             ;   in Loop: Header=BB302_10 Depth=1
	s_or_b32 exec_lo, exec_lo, s11
	s_delay_alu instid0(VALU_DEP_1) | instskip(NEXT) | instid1(VALU_DEP_3)
	v_dual_lshlrev_b32 v4, 8, v14 :: v_dual_lshlrev_b32 v0, 23, v0
	v_lshl_add_u32 v1, v1, 10, 0x2000
	s_delay_alu instid0(VALU_DEP_1) | instskip(NEXT) | instid1(VALU_DEP_1)
	v_and_or_b32 v1, 0x8000, v4, v1
	v_lshl_or_b32 v107, v1, 16, v0
.LBB302_1736:                           ;   in Loop: Header=BB302_10 Depth=1
	s_or_b32 exec_lo, exec_lo, s8
.LBB302_1737:                           ;   in Loop: Header=BB302_10 Depth=1
	s_delay_alu instid0(SALU_CYCLE_1)
	s_or_b32 exec_lo, exec_lo, s7
.LBB302_1738:                           ;   in Loop: Header=BB302_10 Depth=1
	s_delay_alu instid0(SALU_CYCLE_1)
	s_or_b32 exec_lo, exec_lo, s6
	flat_load_b64 v[4:5], v[2:3] offset:6664
	s_mov_b32 s6, exec_lo
	s_wait_loadcnt_dscnt 0x0
	v_and_b32_e32 v0, 0xff, v4
	s_wait_xcnt 0x0
	s_delay_alu instid0(VALU_DEP_1)
	v_cmpx_ne_u16_e32 0, v0
	s_cbranch_execz .LBB302_1746
; %bb.1739:                             ;   in Loop: Header=BB302_10 Depth=1
	v_mov_b32_e32 v58, 0x8000
	s_mov_b32 s7, exec_lo
	v_cmpx_ne_u16_e32 0x80, v0
	s_cbranch_execz .LBB302_1745
; %bb.1740:                             ;   in Loop: Header=BB302_10 Depth=1
	v_and_b32_e32 v6, 0x7f, v4
	v_mov_b32_e32 v58, 0x7c01
	s_mov_b32 s8, exec_lo
	s_delay_alu instid0(VALU_DEP_2)
	v_cmpx_ne_u32_e32 0x7f, v6
	s_cbranch_execz .LBB302_1744
; %bb.1741:                             ;   in Loop: Header=BB302_10 Depth=1
	v_dual_lshrrev_b32 v1, 3, v6 :: v_dual_bitop2_b32 v0, 7, v4 bitop3:0x40
	s_mov_b32 s11, exec_lo
	v_cmpx_gt_u32_e32 8, v6
; %bb.1742:                             ;   in Loop: Header=BB302_10 Depth=1
	s_delay_alu instid0(VALU_DEP_2) | instskip(NEXT) | instid1(VALU_DEP_1)
	v_clz_i32_u32_e32 v0, v0
	v_min_u32_e32 v6, 32, v0
	s_delay_alu instid0(VALU_DEP_1) | instskip(NEXT) | instid1(VALU_DEP_1)
	v_subrev_nc_u32_e32 v0, 28, v6
	v_lshlrev_b64_e32 v[0:1], v0, v[4:5]
	s_delay_alu instid0(VALU_DEP_1)
	v_dual_sub_nc_u32 v1, 29, v6 :: v_dual_bitop2_b32 v0, 7, v0 bitop3:0x40
; %bb.1743:                             ;   in Loop: Header=BB302_10 Depth=1
	s_or_b32 exec_lo, exec_lo, s11
	v_lshlrev_b32_e32 v6, 8, v4
	s_delay_alu instid0(VALU_DEP_2) | instskip(NEXT) | instid1(VALU_DEP_3)
	v_lshl_add_u32 v1, v1, 10, 0x2000
	v_lshlrev_b32_e32 v0, 7, v0
	s_delay_alu instid0(VALU_DEP_3) | instskip(NEXT) | instid1(VALU_DEP_3)
	v_and_b32_e32 v6, 0x8000, v6
	v_and_b32_e32 v1, 0xfc00, v1
	s_delay_alu instid0(VALU_DEP_1)
	v_or3_b32 v58, v6, v1, v0
.LBB302_1744:                           ;   in Loop: Header=BB302_10 Depth=1
	s_or_b32 exec_lo, exec_lo, s8
.LBB302_1745:                           ;   in Loop: Header=BB302_10 Depth=1
	s_delay_alu instid0(SALU_CYCLE_1)
	s_or_b32 exec_lo, exec_lo, s7
.LBB302_1746:                           ;   in Loop: Header=BB302_10 Depth=1
	s_delay_alu instid0(SALU_CYCLE_1) | instskip(SKIP_3) | instid1(VALU_DEP_2)
	s_or_b32 exec_lo, exec_lo, s6
	v_lshrrev_b16 v14, 8, v4
	v_dual_mov_b32 v76, 0 :: v_dual_mov_b32 v62, 0
	s_mov_b32 s6, exec_lo
	v_cmpx_ne_u16_e32 0, v14
	s_cbranch_execz .LBB302_1754
; %bb.1747:                             ;   in Loop: Header=BB302_10 Depth=1
	v_bfrev_b32_e32 v62, 1
	s_mov_b32 s7, exec_lo
	v_cmpx_ne_u16_e32 0x80, v14
	s_cbranch_execz .LBB302_1753
; %bb.1748:                             ;   in Loop: Header=BB302_10 Depth=1
	v_and_b32_e32 v0, 0xffff, v14
	v_mov_b32_e32 v62, 0x7c010000
	s_mov_b32 s8, exec_lo
	s_delay_alu instid0(VALU_DEP_2) | instskip(NEXT) | instid1(VALU_DEP_1)
	v_and_b32_e32 v7, 0x7f, v0
	v_cmpx_ne_u32_e32 0x7f, v7
	s_cbranch_execz .LBB302_1752
; %bb.1749:                             ;   in Loop: Header=BB302_10 Depth=1
	v_dual_lshrrev_b32 v6, 3, v7 :: v_dual_bitop2_b32 v1, 7, v0 bitop3:0x40
	s_mov_b32 s11, exec_lo
	v_cmpx_gt_u32_e32 8, v7
; %bb.1750:                             ;   in Loop: Header=BB302_10 Depth=1
	s_delay_alu instid0(VALU_DEP_2) | instskip(NEXT) | instid1(VALU_DEP_1)
	v_clz_i32_u32_e32 v1, v1
	v_min_u32_e32 v1, 32, v1
	s_delay_alu instid0(VALU_DEP_1) | instskip(NEXT) | instid1(VALU_DEP_1)
	v_subrev_nc_u32_e32 v6, 28, v1
	v_lshlrev_b64_e32 v[8:9], v6, v[14:15]
	s_delay_alu instid0(VALU_DEP_1)
	v_dual_sub_nc_u32 v6, 29, v1 :: v_dual_bitop2_b32 v1, 7, v8 bitop3:0x40
; %bb.1751:                             ;   in Loop: Header=BB302_10 Depth=1
	s_or_b32 exec_lo, exec_lo, s11
	s_delay_alu instid0(VALU_DEP_1) | instskip(NEXT) | instid1(VALU_DEP_2)
	v_dual_lshlrev_b32 v0, 8, v0 :: v_dual_lshlrev_b32 v1, 23, v1
	v_lshl_add_u32 v6, v6, 10, 0x2000
	s_delay_alu instid0(VALU_DEP_1) | instskip(NEXT) | instid1(VALU_DEP_1)
	v_and_or_b32 v0, 0x8000, v0, v6
	v_lshl_or_b32 v62, v0, 16, v1
.LBB302_1752:                           ;   in Loop: Header=BB302_10 Depth=1
	s_or_b32 exec_lo, exec_lo, s8
.LBB302_1753:                           ;   in Loop: Header=BB302_10 Depth=1
	s_delay_alu instid0(SALU_CYCLE_1)
	s_or_b32 exec_lo, exec_lo, s7
.LBB302_1754:                           ;   in Loop: Header=BB302_10 Depth=1
	s_delay_alu instid0(SALU_CYCLE_1) | instskip(SKIP_2) | instid1(VALU_DEP_1)
	s_or_b32 exec_lo, exec_lo, s6
	v_lshrrev_b32_e32 v8, 16, v4
	s_mov_b32 s6, exec_lo
	v_and_b32_e32 v0, 0xff, v8
	s_delay_alu instid0(VALU_DEP_1)
	v_cmpx_ne_u16_e32 0, v0
	s_cbranch_execz .LBB302_1762
; %bb.1755:                             ;   in Loop: Header=BB302_10 Depth=1
	v_mov_b32_e32 v76, 0x8000
	s_mov_b32 s7, exec_lo
	v_cmpx_ne_u16_e32 0x80, v0
	s_cbranch_execz .LBB302_1761
; %bb.1756:                             ;   in Loop: Header=BB302_10 Depth=1
	v_bfe_u32 v6, v4, 16, 7
	v_mov_b32_e32 v76, 0x7c01
	s_mov_b32 s8, exec_lo
	s_delay_alu instid0(VALU_DEP_2)
	v_cmpx_ne_u32_e32 0x7f, v6
	s_cbranch_execz .LBB302_1760
; %bb.1757:                             ;   in Loop: Header=BB302_10 Depth=1
	v_dual_lshrrev_b32 v1, 3, v6 :: v_dual_bitop2_b32 v0, 7, v8 bitop3:0x40
	s_mov_b32 s11, exec_lo
	v_cmpx_gt_u32_e32 8, v6
; %bb.1758:                             ;   in Loop: Header=BB302_10 Depth=1
	s_delay_alu instid0(VALU_DEP_2) | instskip(NEXT) | instid1(VALU_DEP_1)
	v_clz_i32_u32_e32 v0, v0
	v_min_u32_e32 v6, 32, v0
	s_delay_alu instid0(VALU_DEP_1) | instskip(NEXT) | instid1(VALU_DEP_1)
	v_subrev_nc_u32_e32 v0, 28, v6
	v_lshlrev_b64_e32 v[0:1], v0, v[8:9]
	s_delay_alu instid0(VALU_DEP_1)
	v_dual_sub_nc_u32 v1, 29, v6 :: v_dual_bitop2_b32 v0, 7, v0 bitop3:0x40
; %bb.1759:                             ;   in Loop: Header=BB302_10 Depth=1
	s_or_b32 exec_lo, exec_lo, s11
	v_lshlrev_b32_e32 v6, 8, v8
	s_delay_alu instid0(VALU_DEP_2) | instskip(NEXT) | instid1(VALU_DEP_3)
	v_lshl_add_u32 v1, v1, 10, 0x2000
	v_lshlrev_b32_e32 v0, 7, v0
	s_delay_alu instid0(VALU_DEP_3) | instskip(NEXT) | instid1(VALU_DEP_3)
	v_and_b32_e32 v6, 0x8000, v6
	v_and_b32_e32 v1, 0xfc00, v1
	s_delay_alu instid0(VALU_DEP_1)
	v_or3_b32 v76, v6, v1, v0
.LBB302_1760:                           ;   in Loop: Header=BB302_10 Depth=1
	s_or_b32 exec_lo, exec_lo, s8
.LBB302_1761:                           ;   in Loop: Header=BB302_10 Depth=1
	s_delay_alu instid0(SALU_CYCLE_1)
	s_or_b32 exec_lo, exec_lo, s7
.LBB302_1762:                           ;   in Loop: Header=BB302_10 Depth=1
	s_delay_alu instid0(SALU_CYCLE_1)
	s_or_b32 exec_lo, exec_lo, s6
	v_dual_mov_b32 v63, 0 :: v_dual_mov_b32 v77, 0
	s_mov_b32 s6, exec_lo
	v_cmpx_lt_u32_e32 0xffffff, v4
	s_cbranch_execz .LBB302_1770
; %bb.1763:                             ;   in Loop: Header=BB302_10 Depth=1
	v_lshrrev_b32_e32 v14, 24, v4
	v_bfrev_b32_e32 v77, 1
	s_mov_b32 s7, exec_lo
	s_delay_alu instid0(VALU_DEP_2)
	v_cmpx_ne_u32_e32 0x80, v14
	s_cbranch_execz .LBB302_1769
; %bb.1764:                             ;   in Loop: Header=BB302_10 Depth=1
	v_and_b32_e32 v6, 0x7f, v14
	v_mov_b32_e32 v77, 0x7c010000
	s_mov_b32 s8, exec_lo
	s_delay_alu instid0(VALU_DEP_2)
	v_cmpx_ne_u32_e32 0x7f, v6
	s_cbranch_execz .LBB302_1768
; %bb.1765:                             ;   in Loop: Header=BB302_10 Depth=1
	v_and_b32_e32 v0, 7, v14
	v_lshrrev_b32_e32 v1, 3, v6
	s_mov_b32 s11, exec_lo
	v_cmpx_gt_u32_e32 8, v6
; %bb.1766:                             ;   in Loop: Header=BB302_10 Depth=1
	s_delay_alu instid0(VALU_DEP_3) | instskip(NEXT) | instid1(VALU_DEP_1)
	v_clz_i32_u32_e32 v0, v0
	v_min_u32_e32 v6, 32, v0
	s_delay_alu instid0(VALU_DEP_1) | instskip(NEXT) | instid1(VALU_DEP_1)
	v_subrev_nc_u32_e32 v0, 28, v6
	v_lshlrev_b64_e32 v[0:1], v0, v[14:15]
	s_delay_alu instid0(VALU_DEP_1)
	v_dual_sub_nc_u32 v1, 29, v6 :: v_dual_bitop2_b32 v0, 7, v0 bitop3:0x40
; %bb.1767:                             ;   in Loop: Header=BB302_10 Depth=1
	s_or_b32 exec_lo, exec_lo, s11
	s_delay_alu instid0(VALU_DEP_1) | instskip(NEXT) | instid1(VALU_DEP_2)
	v_dual_lshlrev_b32 v6, 8, v14 :: v_dual_lshlrev_b32 v0, 23, v0
	v_lshl_add_u32 v1, v1, 10, 0x2000
	s_delay_alu instid0(VALU_DEP_1) | instskip(NEXT) | instid1(VALU_DEP_1)
	v_and_or_b32 v1, 0x8000, v6, v1
	v_lshl_or_b32 v77, v1, 16, v0
.LBB302_1768:                           ;   in Loop: Header=BB302_10 Depth=1
	s_or_b32 exec_lo, exec_lo, s8
.LBB302_1769:                           ;   in Loop: Header=BB302_10 Depth=1
	s_delay_alu instid0(SALU_CYCLE_1)
	s_or_b32 exec_lo, exec_lo, s7
.LBB302_1770:                           ;   in Loop: Header=BB302_10 Depth=1
	s_delay_alu instid0(SALU_CYCLE_1) | instskip(SKIP_3) | instid1(VALU_DEP_2)
	s_or_b32 exec_lo, exec_lo, s6
	v_and_b32_e32 v0, 0xff, v5
	v_mov_b32_e32 v14, v5
	s_mov_b32 s6, exec_lo
	v_cmpx_ne_u16_e32 0, v0
	s_cbranch_execz .LBB302_1778
; %bb.1771:                             ;   in Loop: Header=BB302_10 Depth=1
	v_mov_b32_e32 v63, 0x8000
	s_mov_b32 s7, exec_lo
	v_cmpx_ne_u16_e32 0x80, v0
	s_cbranch_execz .LBB302_1777
; %bb.1772:                             ;   in Loop: Header=BB302_10 Depth=1
	v_and_b32_e32 v6, 0x7f, v5
	v_mov_b32_e32 v63, 0x7c01
	s_mov_b32 s8, exec_lo
	s_delay_alu instid0(VALU_DEP_2)
	v_cmpx_ne_u32_e32 0x7f, v6
	s_cbranch_execz .LBB302_1776
; %bb.1773:                             ;   in Loop: Header=BB302_10 Depth=1
	v_dual_lshrrev_b32 v1, 3, v6 :: v_dual_bitop2_b32 v0, 7, v5 bitop3:0x40
	s_mov_b32 s11, exec_lo
	v_cmpx_gt_u32_e32 8, v6
; %bb.1774:                             ;   in Loop: Header=BB302_10 Depth=1
	s_delay_alu instid0(VALU_DEP_2) | instskip(NEXT) | instid1(VALU_DEP_1)
	v_clz_i32_u32_e32 v0, v0
	v_min_u32_e32 v6, 32, v0
	s_delay_alu instid0(VALU_DEP_1) | instskip(NEXT) | instid1(VALU_DEP_1)
	v_subrev_nc_u32_e32 v0, 28, v6
	v_lshlrev_b64_e32 v[0:1], v0, v[14:15]
	s_delay_alu instid0(VALU_DEP_1)
	v_dual_sub_nc_u32 v1, 29, v6 :: v_dual_bitop2_b32 v0, 7, v0 bitop3:0x40
; %bb.1775:                             ;   in Loop: Header=BB302_10 Depth=1
	s_or_b32 exec_lo, exec_lo, s11
	s_delay_alu instid0(VALU_DEP_1) | instskip(NEXT) | instid1(VALU_DEP_2)
	v_dual_lshlrev_b32 v6, 8, v5 :: v_dual_lshlrev_b32 v0, 7, v0
	v_lshl_add_u32 v1, v1, 10, 0x2000
	s_delay_alu instid0(VALU_DEP_2) | instskip(NEXT) | instid1(VALU_DEP_2)
	v_and_b32_e32 v6, 0x8000, v6
	v_and_b32_e32 v1, 0xfc00, v1
	s_delay_alu instid0(VALU_DEP_1)
	v_or3_b32 v63, v6, v1, v0
.LBB302_1776:                           ;   in Loop: Header=BB302_10 Depth=1
	s_or_b32 exec_lo, exec_lo, s8
.LBB302_1777:                           ;   in Loop: Header=BB302_10 Depth=1
	s_delay_alu instid0(SALU_CYCLE_1)
	s_or_b32 exec_lo, exec_lo, s7
.LBB302_1778:                           ;   in Loop: Header=BB302_10 Depth=1
	s_delay_alu instid0(SALU_CYCLE_1)
	s_or_b32 exec_lo, exec_lo, s6
	v_lshrrev_b16 v14, 8, v14
	v_dual_mov_b32 v0, 0 :: v_dual_mov_b32 v19, 0
	s_mov_b32 s6, exec_lo
	scratch_store_b32 off, v0, s32 offset:696 ; 4-byte Folded Spill
	s_wait_xcnt 0x0
	v_cmpx_ne_u16_e32 0, v14
	s_cbranch_execz .LBB302_1786
; %bb.1779:                             ;   in Loop: Header=BB302_10 Depth=1
	v_bfrev_b32_e32 v19, 1
	s_mov_b32 s7, exec_lo
	v_cmpx_ne_u16_e32 0x80, v14
	s_cbranch_execz .LBB302_1785
; %bb.1780:                             ;   in Loop: Header=BB302_10 Depth=1
	v_and_b32_e32 v0, 0xffff, v14
	v_mov_b32_e32 v19, 0x7c010000
	s_mov_b32 s8, exec_lo
	s_delay_alu instid0(VALU_DEP_2) | instskip(NEXT) | instid1(VALU_DEP_1)
	v_and_b32_e32 v7, 0x7f, v0
	v_cmpx_ne_u32_e32 0x7f, v7
	s_cbranch_execz .LBB302_1784
; %bb.1781:                             ;   in Loop: Header=BB302_10 Depth=1
	v_dual_lshrrev_b32 v6, 3, v7 :: v_dual_bitop2_b32 v1, 7, v0 bitop3:0x40
	s_mov_b32 s11, exec_lo
	v_cmpx_gt_u32_e32 8, v7
; %bb.1782:                             ;   in Loop: Header=BB302_10 Depth=1
	s_delay_alu instid0(VALU_DEP_2) | instskip(NEXT) | instid1(VALU_DEP_1)
	v_clz_i32_u32_e32 v1, v1
	v_min_u32_e32 v1, 32, v1
	s_delay_alu instid0(VALU_DEP_1) | instskip(NEXT) | instid1(VALU_DEP_1)
	v_subrev_nc_u32_e32 v6, 28, v1
	v_lshlrev_b64_e32 v[8:9], v6, v[14:15]
	s_delay_alu instid0(VALU_DEP_1)
	v_dual_sub_nc_u32 v6, 29, v1 :: v_dual_bitop2_b32 v1, 7, v8 bitop3:0x40
; %bb.1783:                             ;   in Loop: Header=BB302_10 Depth=1
	s_or_b32 exec_lo, exec_lo, s11
	s_delay_alu instid0(VALU_DEP_1) | instskip(NEXT) | instid1(VALU_DEP_2)
	v_dual_lshlrev_b32 v0, 8, v0 :: v_dual_lshlrev_b32 v1, 23, v1
	v_lshl_add_u32 v6, v6, 10, 0x2000
	s_delay_alu instid0(VALU_DEP_1) | instskip(NEXT) | instid1(VALU_DEP_1)
	v_and_or_b32 v0, 0x8000, v0, v6
	v_lshl_or_b32 v19, v0, 16, v1
.LBB302_1784:                           ;   in Loop: Header=BB302_10 Depth=1
	s_or_b32 exec_lo, exec_lo, s8
.LBB302_1785:                           ;   in Loop: Header=BB302_10 Depth=1
	s_delay_alu instid0(SALU_CYCLE_1)
	s_or_b32 exec_lo, exec_lo, s7
.LBB302_1786:                           ;   in Loop: Header=BB302_10 Depth=1
	s_delay_alu instid0(SALU_CYCLE_1) | instskip(SKIP_2) | instid1(VALU_DEP_1)
	s_or_b32 exec_lo, exec_lo, s6
	v_lshrrev_b32_e32 v8, 16, v5
	s_mov_b32 s6, exec_lo
	v_and_b32_e32 v0, 0xff, v8
	s_delay_alu instid0(VALU_DEP_1)
	v_cmpx_ne_u16_e32 0, v0
	s_cbranch_execz .LBB302_1794
; %bb.1787:                             ;   in Loop: Header=BB302_10 Depth=1
	v_cmp_ne_u16_e64 s1, 0x80, v0
	v_mov_b32_e32 v0, 0x8000
	scratch_store_b32 off, v0, s32 offset:696 ; 4-byte Folded Spill
	s_wait_xcnt 0x0
	s_and_saveexec_b32 s7, s1
	s_cbranch_execz .LBB302_1793
; %bb.1788:                             ;   in Loop: Header=BB302_10 Depth=1
	v_bfe_u32 v6, v5, 16, 7
	v_mov_b32_e32 v0, 0x7c01
	s_mov_b32 s8, exec_lo
	scratch_store_b32 off, v0, s32 offset:696 ; 4-byte Folded Spill
	s_wait_xcnt 0x0
	v_cmpx_ne_u32_e32 0x7f, v6
	s_cbranch_execz .LBB302_1792
; %bb.1789:                             ;   in Loop: Header=BB302_10 Depth=1
	v_dual_lshrrev_b32 v1, 3, v6 :: v_dual_bitop2_b32 v0, 7, v8 bitop3:0x40
	s_mov_b32 s11, exec_lo
	v_cmpx_gt_u32_e32 8, v6
; %bb.1790:                             ;   in Loop: Header=BB302_10 Depth=1
	s_delay_alu instid0(VALU_DEP_2) | instskip(NEXT) | instid1(VALU_DEP_1)
	v_clz_i32_u32_e32 v0, v0
	v_min_u32_e32 v6, 32, v0
	s_delay_alu instid0(VALU_DEP_1) | instskip(NEXT) | instid1(VALU_DEP_1)
	v_subrev_nc_u32_e32 v0, 28, v6
	v_lshlrev_b64_e32 v[0:1], v0, v[8:9]
	s_delay_alu instid0(VALU_DEP_1)
	v_dual_sub_nc_u32 v1, 29, v6 :: v_dual_bitop2_b32 v0, 7, v0 bitop3:0x40
; %bb.1791:                             ;   in Loop: Header=BB302_10 Depth=1
	s_or_b32 exec_lo, exec_lo, s11
	v_lshlrev_b32_e32 v6, 8, v8
	s_delay_alu instid0(VALU_DEP_2) | instskip(NEXT) | instid1(VALU_DEP_3)
	v_lshl_add_u32 v1, v1, 10, 0x2000
	v_lshlrev_b32_e32 v0, 7, v0
	s_delay_alu instid0(VALU_DEP_3) | instskip(NEXT) | instid1(VALU_DEP_3)
	v_and_b32_e32 v6, 0x8000, v6
	v_and_b32_e32 v1, 0xfc00, v1
	s_delay_alu instid0(VALU_DEP_1)
	v_or3_b32 v0, v6, v1, v0
	scratch_store_b32 off, v0, s32 offset:696 ; 4-byte Folded Spill
.LBB302_1792:                           ;   in Loop: Header=BB302_10 Depth=1
	s_wait_xcnt 0x0
	s_or_b32 exec_lo, exec_lo, s8
.LBB302_1793:                           ;   in Loop: Header=BB302_10 Depth=1
	s_delay_alu instid0(SALU_CYCLE_1)
	s_or_b32 exec_lo, exec_lo, s7
.LBB302_1794:                           ;   in Loop: Header=BB302_10 Depth=1
	s_delay_alu instid0(SALU_CYCLE_1)
	s_or_b32 exec_lo, exec_lo, s6
	v_dual_mov_b32 v0, 0 :: v_dual_mov_b32 v7, 0
	s_mov_b32 s6, exec_lo
	scratch_store_b32 off, v0, s32 offset:700 ; 4-byte Folded Spill
	s_wait_xcnt 0x0
	v_cmpx_lt_u64_e64 s[2:3], v[4:5]
	s_cbranch_execz .LBB302_1802
; %bb.1795:                             ;   in Loop: Header=BB302_10 Depth=1
	v_lshrrev_b32_e32 v14, 24, v5
	v_bfrev_b32_e32 v7, 1
	s_mov_b32 s7, exec_lo
	s_delay_alu instid0(VALU_DEP_2)
	v_cmpx_ne_u32_e32 0x80, v14
	s_cbranch_execz .LBB302_1801
; %bb.1796:                             ;   in Loop: Header=BB302_10 Depth=1
	v_and_b32_e32 v4, 0x7f, v14
	v_mov_b32_e32 v7, 0x7c010000
	s_mov_b32 s8, exec_lo
	s_delay_alu instid0(VALU_DEP_2)
	v_cmpx_ne_u32_e32 0x7f, v4
	s_cbranch_execz .LBB302_1800
; %bb.1797:                             ;   in Loop: Header=BB302_10 Depth=1
	v_dual_lshrrev_b32 v1, 3, v4 :: v_dual_bitop2_b32 v0, 7, v14 bitop3:0x40
	s_mov_b32 s11, exec_lo
	v_cmpx_gt_u32_e32 8, v4
; %bb.1798:                             ;   in Loop: Header=BB302_10 Depth=1
	s_delay_alu instid0(VALU_DEP_2) | instskip(NEXT) | instid1(VALU_DEP_1)
	v_clz_i32_u32_e32 v0, v0
	v_min_u32_e32 v4, 32, v0
	s_delay_alu instid0(VALU_DEP_1) | instskip(NEXT) | instid1(VALU_DEP_1)
	v_subrev_nc_u32_e32 v0, 28, v4
	v_lshlrev_b64_e32 v[0:1], v0, v[14:15]
	v_sub_nc_u32_e32 v1, 29, v4
	s_delay_alu instid0(VALU_DEP_2)
	v_and_b32_e32 v0, 7, v0
; %bb.1799:                             ;   in Loop: Header=BB302_10 Depth=1
	s_or_b32 exec_lo, exec_lo, s11
	s_delay_alu instid0(VALU_DEP_1) | instskip(NEXT) | instid1(VALU_DEP_3)
	v_dual_lshlrev_b32 v4, 8, v14 :: v_dual_lshlrev_b32 v0, 23, v0
	v_lshl_add_u32 v1, v1, 10, 0x2000
	s_delay_alu instid0(VALU_DEP_1) | instskip(NEXT) | instid1(VALU_DEP_1)
	v_and_or_b32 v1, 0x8000, v4, v1
	v_lshl_or_b32 v7, v1, 16, v0
.LBB302_1800:                           ;   in Loop: Header=BB302_10 Depth=1
	s_or_b32 exec_lo, exec_lo, s8
.LBB302_1801:                           ;   in Loop: Header=BB302_10 Depth=1
	s_delay_alu instid0(SALU_CYCLE_1)
	s_or_b32 exec_lo, exec_lo, s7
.LBB302_1802:                           ;   in Loop: Header=BB302_10 Depth=1
	s_delay_alu instid0(SALU_CYCLE_1)
	s_or_b32 exec_lo, exec_lo, s6
	flat_load_b64 v[4:5], v[2:3] offset:7168
	s_mov_b32 s6, exec_lo
	s_wait_loadcnt_dscnt 0x0
	v_and_b32_e32 v0, 0xff, v4
	s_wait_xcnt 0x0
	s_delay_alu instid0(VALU_DEP_1)
	v_cmpx_ne_u16_e32 0, v0
	s_cbranch_execz .LBB302_1810
; %bb.1803:                             ;   in Loop: Header=BB302_10 Depth=1
	v_cmp_ne_u16_e64 s1, 0x80, v0
	v_mov_b32_e32 v0, 0x8000
	scratch_store_b32 off, v0, s32 offset:700 ; 4-byte Folded Spill
	s_wait_xcnt 0x0
	s_and_saveexec_b32 s7, s1
	s_cbranch_execz .LBB302_1809
; %bb.1804:                             ;   in Loop: Header=BB302_10 Depth=1
	v_and_b32_e32 v6, 0x7f, v4
	v_mov_b32_e32 v0, 0x7c01
	s_mov_b32 s8, exec_lo
	scratch_store_b32 off, v0, s32 offset:700 ; 4-byte Folded Spill
	s_wait_xcnt 0x0
	v_cmpx_ne_u32_e32 0x7f, v6
	s_cbranch_execz .LBB302_1808
; %bb.1805:                             ;   in Loop: Header=BB302_10 Depth=1
	v_dual_lshrrev_b32 v1, 3, v6 :: v_dual_bitop2_b32 v0, 7, v4 bitop3:0x40
	s_mov_b32 s11, exec_lo
	v_cmpx_gt_u32_e32 8, v6
; %bb.1806:                             ;   in Loop: Header=BB302_10 Depth=1
	s_delay_alu instid0(VALU_DEP_2) | instskip(NEXT) | instid1(VALU_DEP_1)
	v_clz_i32_u32_e32 v0, v0
	v_min_u32_e32 v6, 32, v0
	s_delay_alu instid0(VALU_DEP_1) | instskip(NEXT) | instid1(VALU_DEP_1)
	v_subrev_nc_u32_e32 v0, 28, v6
	v_lshlrev_b64_e32 v[0:1], v0, v[4:5]
	s_delay_alu instid0(VALU_DEP_1)
	v_dual_sub_nc_u32 v1, 29, v6 :: v_dual_bitop2_b32 v0, 7, v0 bitop3:0x40
; %bb.1807:                             ;   in Loop: Header=BB302_10 Depth=1
	s_or_b32 exec_lo, exec_lo, s11
	v_lshlrev_b32_e32 v6, 8, v4
	s_delay_alu instid0(VALU_DEP_2) | instskip(NEXT) | instid1(VALU_DEP_3)
	v_lshl_add_u32 v1, v1, 10, 0x2000
	v_lshlrev_b32_e32 v0, 7, v0
	s_delay_alu instid0(VALU_DEP_3) | instskip(NEXT) | instid1(VALU_DEP_3)
	v_and_b32_e32 v6, 0x8000, v6
	v_and_b32_e32 v1, 0xfc00, v1
	s_delay_alu instid0(VALU_DEP_1)
	v_or3_b32 v0, v6, v1, v0
	scratch_store_b32 off, v0, s32 offset:700 ; 4-byte Folded Spill
.LBB302_1808:                           ;   in Loop: Header=BB302_10 Depth=1
	s_wait_xcnt 0x0
	s_or_b32 exec_lo, exec_lo, s8
.LBB302_1809:                           ;   in Loop: Header=BB302_10 Depth=1
	s_delay_alu instid0(SALU_CYCLE_1)
	s_or_b32 exec_lo, exec_lo, s7
.LBB302_1810:                           ;   in Loop: Header=BB302_10 Depth=1
	s_delay_alu instid0(SALU_CYCLE_1)
	s_or_b32 exec_lo, exec_lo, s6
	v_lshrrev_b16 v14, 8, v4
	v_dual_mov_b32 v0, 0 :: v_dual_mov_b32 v16, 0
	s_mov_b32 s6, exec_lo
	scratch_store_b32 off, v0, s32 offset:704 ; 4-byte Folded Spill
	s_wait_xcnt 0x0
	v_cmpx_ne_u16_e32 0, v14
	s_cbranch_execz .LBB302_1818
; %bb.1811:                             ;   in Loop: Header=BB302_10 Depth=1
	v_bfrev_b32_e32 v16, 1
	s_mov_b32 s7, exec_lo
	v_cmpx_ne_u16_e32 0x80, v14
	s_cbranch_execz .LBB302_1817
; %bb.1812:                             ;   in Loop: Header=BB302_10 Depth=1
	v_and_b32_e32 v0, 0xffff, v14
	v_mov_b32_e32 v16, 0x7c010000
	s_mov_b32 s8, exec_lo
	s_delay_alu instid0(VALU_DEP_2) | instskip(NEXT) | instid1(VALU_DEP_1)
	v_and_b32_e32 v8, 0x7f, v0
	v_cmpx_ne_u32_e32 0x7f, v8
	s_cbranch_execz .LBB302_1816
; %bb.1813:                             ;   in Loop: Header=BB302_10 Depth=1
	v_and_b32_e32 v1, 7, v0
	v_lshrrev_b32_e32 v6, 3, v8
	s_mov_b32 s11, exec_lo
	v_cmpx_gt_u32_e32 8, v8
; %bb.1814:                             ;   in Loop: Header=BB302_10 Depth=1
	s_delay_alu instid0(VALU_DEP_3) | instskip(NEXT) | instid1(VALU_DEP_1)
	v_clz_i32_u32_e32 v1, v1
	v_min_u32_e32 v1, 32, v1
	s_delay_alu instid0(VALU_DEP_1) | instskip(NEXT) | instid1(VALU_DEP_1)
	v_subrev_nc_u32_e32 v6, 28, v1
	v_lshlrev_b64_e32 v[8:9], v6, v[14:15]
	s_delay_alu instid0(VALU_DEP_1)
	v_dual_sub_nc_u32 v6, 29, v1 :: v_dual_bitop2_b32 v1, 7, v8 bitop3:0x40
; %bb.1815:                             ;   in Loop: Header=BB302_10 Depth=1
	s_or_b32 exec_lo, exec_lo, s11
	s_delay_alu instid0(VALU_DEP_1) | instskip(NEXT) | instid1(VALU_DEP_2)
	v_dual_lshlrev_b32 v0, 8, v0 :: v_dual_lshlrev_b32 v1, 23, v1
	v_lshl_add_u32 v6, v6, 10, 0x2000
	s_delay_alu instid0(VALU_DEP_1) | instskip(NEXT) | instid1(VALU_DEP_1)
	v_and_or_b32 v0, 0x8000, v0, v6
	v_lshl_or_b32 v16, v0, 16, v1
.LBB302_1816:                           ;   in Loop: Header=BB302_10 Depth=1
	s_or_b32 exec_lo, exec_lo, s8
.LBB302_1817:                           ;   in Loop: Header=BB302_10 Depth=1
	s_delay_alu instid0(SALU_CYCLE_1)
	s_or_b32 exec_lo, exec_lo, s7
.LBB302_1818:                           ;   in Loop: Header=BB302_10 Depth=1
	s_delay_alu instid0(SALU_CYCLE_1) | instskip(SKIP_2) | instid1(VALU_DEP_1)
	s_or_b32 exec_lo, exec_lo, s6
	v_lshrrev_b32_e32 v8, 16, v4
	s_mov_b32 s6, exec_lo
	v_and_b32_e32 v0, 0xff, v8
	s_delay_alu instid0(VALU_DEP_1)
	v_cmpx_ne_u16_e32 0, v0
	s_cbranch_execz .LBB302_1826
; %bb.1819:                             ;   in Loop: Header=BB302_10 Depth=1
	v_cmp_ne_u16_e64 s1, 0x80, v0
	v_mov_b32_e32 v0, 0x8000
	scratch_store_b32 off, v0, s32 offset:704 ; 4-byte Folded Spill
	s_wait_xcnt 0x0
	s_and_saveexec_b32 s7, s1
	s_cbranch_execz .LBB302_1825
; %bb.1820:                             ;   in Loop: Header=BB302_10 Depth=1
	v_bfe_u32 v6, v4, 16, 7
	v_mov_b32_e32 v0, 0x7c01
	s_mov_b32 s8, exec_lo
	scratch_store_b32 off, v0, s32 offset:704 ; 4-byte Folded Spill
	s_wait_xcnt 0x0
	v_cmpx_ne_u32_e32 0x7f, v6
	s_cbranch_execz .LBB302_1824
; %bb.1821:                             ;   in Loop: Header=BB302_10 Depth=1
	v_dual_lshrrev_b32 v1, 3, v6 :: v_dual_bitop2_b32 v0, 7, v8 bitop3:0x40
	s_mov_b32 s11, exec_lo
	v_cmpx_gt_u32_e32 8, v6
; %bb.1822:                             ;   in Loop: Header=BB302_10 Depth=1
	s_delay_alu instid0(VALU_DEP_2) | instskip(NEXT) | instid1(VALU_DEP_1)
	v_clz_i32_u32_e32 v0, v0
	v_min_u32_e32 v6, 32, v0
	s_delay_alu instid0(VALU_DEP_1) | instskip(NEXT) | instid1(VALU_DEP_1)
	v_subrev_nc_u32_e32 v0, 28, v6
	v_lshlrev_b64_e32 v[0:1], v0, v[8:9]
	s_delay_alu instid0(VALU_DEP_1)
	v_dual_sub_nc_u32 v1, 29, v6 :: v_dual_bitop2_b32 v0, 7, v0 bitop3:0x40
; %bb.1823:                             ;   in Loop: Header=BB302_10 Depth=1
	s_or_b32 exec_lo, exec_lo, s11
	v_lshlrev_b32_e32 v6, 8, v8
	s_delay_alu instid0(VALU_DEP_2) | instskip(NEXT) | instid1(VALU_DEP_3)
	v_lshl_add_u32 v1, v1, 10, 0x2000
	v_lshlrev_b32_e32 v0, 7, v0
	s_delay_alu instid0(VALU_DEP_3) | instskip(NEXT) | instid1(VALU_DEP_3)
	v_and_b32_e32 v6, 0x8000, v6
	v_and_b32_e32 v1, 0xfc00, v1
	s_delay_alu instid0(VALU_DEP_1)
	v_or3_b32 v0, v6, v1, v0
	scratch_store_b32 off, v0, s32 offset:704 ; 4-byte Folded Spill
.LBB302_1824:                           ;   in Loop: Header=BB302_10 Depth=1
	s_wait_xcnt 0x0
	s_or_b32 exec_lo, exec_lo, s8
.LBB302_1825:                           ;   in Loop: Header=BB302_10 Depth=1
	s_delay_alu instid0(SALU_CYCLE_1)
	s_or_b32 exec_lo, exec_lo, s7
.LBB302_1826:                           ;   in Loop: Header=BB302_10 Depth=1
	s_delay_alu instid0(SALU_CYCLE_1)
	s_or_b32 exec_lo, exec_lo, s6
	v_dual_mov_b32 v0, 0 :: v_dual_mov_b32 v25, 0
	s_mov_b32 s6, exec_lo
	scratch_store_b32 off, v0, s32 offset:708 ; 4-byte Folded Spill
	s_wait_xcnt 0x0
	v_cmpx_lt_u32_e32 0xffffff, v4
	s_cbranch_execz .LBB302_1834
; %bb.1827:                             ;   in Loop: Header=BB302_10 Depth=1
	v_lshrrev_b32_e32 v14, 24, v4
	v_bfrev_b32_e32 v25, 1
	s_mov_b32 s7, exec_lo
	s_delay_alu instid0(VALU_DEP_2)
	v_cmpx_ne_u32_e32 0x80, v14
	s_cbranch_execz .LBB302_1833
; %bb.1828:                             ;   in Loop: Header=BB302_10 Depth=1
	v_and_b32_e32 v6, 0x7f, v14
	v_mov_b32_e32 v25, 0x7c010000
	s_mov_b32 s8, exec_lo
	s_delay_alu instid0(VALU_DEP_2)
	v_cmpx_ne_u32_e32 0x7f, v6
	s_cbranch_execz .LBB302_1832
; %bb.1829:                             ;   in Loop: Header=BB302_10 Depth=1
	v_and_b32_e32 v0, 7, v14
	v_lshrrev_b32_e32 v1, 3, v6
	s_mov_b32 s11, exec_lo
	v_cmpx_gt_u32_e32 8, v6
; %bb.1830:                             ;   in Loop: Header=BB302_10 Depth=1
	s_delay_alu instid0(VALU_DEP_3) | instskip(NEXT) | instid1(VALU_DEP_1)
	v_clz_i32_u32_e32 v0, v0
	v_min_u32_e32 v6, 32, v0
	s_delay_alu instid0(VALU_DEP_1) | instskip(NEXT) | instid1(VALU_DEP_1)
	v_subrev_nc_u32_e32 v0, 28, v6
	v_lshlrev_b64_e32 v[0:1], v0, v[14:15]
	s_delay_alu instid0(VALU_DEP_1)
	v_dual_sub_nc_u32 v1, 29, v6 :: v_dual_bitop2_b32 v0, 7, v0 bitop3:0x40
; %bb.1831:                             ;   in Loop: Header=BB302_10 Depth=1
	s_or_b32 exec_lo, exec_lo, s11
	s_delay_alu instid0(VALU_DEP_1) | instskip(NEXT) | instid1(VALU_DEP_2)
	v_dual_lshlrev_b32 v6, 8, v14 :: v_dual_lshlrev_b32 v0, 23, v0
	v_lshl_add_u32 v1, v1, 10, 0x2000
	s_delay_alu instid0(VALU_DEP_1) | instskip(NEXT) | instid1(VALU_DEP_1)
	v_and_or_b32 v1, 0x8000, v6, v1
	v_lshl_or_b32 v25, v1, 16, v0
.LBB302_1832:                           ;   in Loop: Header=BB302_10 Depth=1
	s_or_b32 exec_lo, exec_lo, s8
.LBB302_1833:                           ;   in Loop: Header=BB302_10 Depth=1
	s_delay_alu instid0(SALU_CYCLE_1)
	s_or_b32 exec_lo, exec_lo, s7
.LBB302_1834:                           ;   in Loop: Header=BB302_10 Depth=1
	s_delay_alu instid0(SALU_CYCLE_1) | instskip(SKIP_3) | instid1(VALU_DEP_2)
	s_or_b32 exec_lo, exec_lo, s6
	v_and_b32_e32 v0, 0xff, v5
	v_mov_b32_e32 v14, v5
	s_mov_b32 s6, exec_lo
	v_cmpx_ne_u16_e32 0, v0
	s_cbranch_execz .LBB302_1842
; %bb.1835:                             ;   in Loop: Header=BB302_10 Depth=1
	v_cmp_ne_u16_e64 s1, 0x80, v0
	v_mov_b32_e32 v0, 0x8000
	scratch_store_b32 off, v0, s32 offset:708 ; 4-byte Folded Spill
	s_wait_xcnt 0x0
	s_and_saveexec_b32 s7, s1
	s_cbranch_execz .LBB302_1841
; %bb.1836:                             ;   in Loop: Header=BB302_10 Depth=1
	v_and_b32_e32 v6, 0x7f, v5
	v_mov_b32_e32 v0, 0x7c01
	s_mov_b32 s8, exec_lo
	scratch_store_b32 off, v0, s32 offset:708 ; 4-byte Folded Spill
	s_wait_xcnt 0x0
	v_cmpx_ne_u32_e32 0x7f, v6
	s_cbranch_execz .LBB302_1840
; %bb.1837:                             ;   in Loop: Header=BB302_10 Depth=1
	v_dual_lshrrev_b32 v1, 3, v6 :: v_dual_bitop2_b32 v0, 7, v5 bitop3:0x40
	s_mov_b32 s11, exec_lo
	v_cmpx_gt_u32_e32 8, v6
; %bb.1838:                             ;   in Loop: Header=BB302_10 Depth=1
	s_delay_alu instid0(VALU_DEP_2) | instskip(NEXT) | instid1(VALU_DEP_1)
	v_clz_i32_u32_e32 v0, v0
	v_min_u32_e32 v6, 32, v0
	s_delay_alu instid0(VALU_DEP_1) | instskip(NEXT) | instid1(VALU_DEP_1)
	v_subrev_nc_u32_e32 v0, 28, v6
	v_lshlrev_b64_e32 v[0:1], v0, v[14:15]
	s_delay_alu instid0(VALU_DEP_1)
	v_dual_sub_nc_u32 v1, 29, v6 :: v_dual_bitop2_b32 v0, 7, v0 bitop3:0x40
; %bb.1839:                             ;   in Loop: Header=BB302_10 Depth=1
	s_or_b32 exec_lo, exec_lo, s11
	s_delay_alu instid0(VALU_DEP_1) | instskip(NEXT) | instid1(VALU_DEP_2)
	v_dual_lshlrev_b32 v6, 8, v5 :: v_dual_lshlrev_b32 v0, 7, v0
	v_lshl_add_u32 v1, v1, 10, 0x2000
	s_delay_alu instid0(VALU_DEP_2) | instskip(NEXT) | instid1(VALU_DEP_2)
	v_and_b32_e32 v6, 0x8000, v6
	v_and_b32_e32 v1, 0xfc00, v1
	s_delay_alu instid0(VALU_DEP_1)
	v_or3_b32 v0, v6, v1, v0
	scratch_store_b32 off, v0, s32 offset:708 ; 4-byte Folded Spill
.LBB302_1840:                           ;   in Loop: Header=BB302_10 Depth=1
	s_wait_xcnt 0x0
	s_or_b32 exec_lo, exec_lo, s8
.LBB302_1841:                           ;   in Loop: Header=BB302_10 Depth=1
	s_delay_alu instid0(SALU_CYCLE_1)
	s_or_b32 exec_lo, exec_lo, s7
.LBB302_1842:                           ;   in Loop: Header=BB302_10 Depth=1
	s_delay_alu instid0(SALU_CYCLE_1)
	s_or_b32 exec_lo, exec_lo, s6
	v_lshrrev_b16 v14, 8, v14
	v_dual_mov_b32 v0, 0 :: v_dual_mov_b32 v124, 0
	s_mov_b32 s6, exec_lo
	scratch_store_b32 off, v0, s32 offset:712 ; 4-byte Folded Spill
	s_wait_xcnt 0x0
	v_cmpx_ne_u16_e32 0, v14
	s_cbranch_execz .LBB302_1850
; %bb.1843:                             ;   in Loop: Header=BB302_10 Depth=1
	v_bfrev_b32_e32 v124, 1
	s_mov_b32 s7, exec_lo
	v_cmpx_ne_u16_e32 0x80, v14
	s_cbranch_execz .LBB302_1849
; %bb.1844:                             ;   in Loop: Header=BB302_10 Depth=1
	v_and_b32_e32 v0, 0xffff, v14
	v_mov_b32_e32 v124, 0x7c010000
	s_mov_b32 s8, exec_lo
	s_delay_alu instid0(VALU_DEP_2) | instskip(NEXT) | instid1(VALU_DEP_1)
	v_and_b32_e32 v8, 0x7f, v0
	v_cmpx_ne_u32_e32 0x7f, v8
	s_cbranch_execz .LBB302_1848
; %bb.1845:                             ;   in Loop: Header=BB302_10 Depth=1
	v_and_b32_e32 v1, 7, v0
	v_lshrrev_b32_e32 v6, 3, v8
	s_mov_b32 s11, exec_lo
	v_cmpx_gt_u32_e32 8, v8
; %bb.1846:                             ;   in Loop: Header=BB302_10 Depth=1
	s_delay_alu instid0(VALU_DEP_3) | instskip(NEXT) | instid1(VALU_DEP_1)
	v_clz_i32_u32_e32 v1, v1
	v_min_u32_e32 v1, 32, v1
	s_delay_alu instid0(VALU_DEP_1) | instskip(NEXT) | instid1(VALU_DEP_1)
	v_subrev_nc_u32_e32 v6, 28, v1
	v_lshlrev_b64_e32 v[8:9], v6, v[14:15]
	s_delay_alu instid0(VALU_DEP_1)
	v_dual_sub_nc_u32 v6, 29, v1 :: v_dual_bitop2_b32 v1, 7, v8 bitop3:0x40
; %bb.1847:                             ;   in Loop: Header=BB302_10 Depth=1
	s_or_b32 exec_lo, exec_lo, s11
	s_delay_alu instid0(VALU_DEP_1) | instskip(NEXT) | instid1(VALU_DEP_2)
	v_dual_lshlrev_b32 v0, 8, v0 :: v_dual_lshlrev_b32 v1, 23, v1
	v_lshl_add_u32 v6, v6, 10, 0x2000
	s_delay_alu instid0(VALU_DEP_1) | instskip(NEXT) | instid1(VALU_DEP_1)
	v_and_or_b32 v0, 0x8000, v0, v6
	v_lshl_or_b32 v124, v0, 16, v1
.LBB302_1848:                           ;   in Loop: Header=BB302_10 Depth=1
	s_or_b32 exec_lo, exec_lo, s8
.LBB302_1849:                           ;   in Loop: Header=BB302_10 Depth=1
	s_delay_alu instid0(SALU_CYCLE_1)
	s_or_b32 exec_lo, exec_lo, s7
.LBB302_1850:                           ;   in Loop: Header=BB302_10 Depth=1
	s_delay_alu instid0(SALU_CYCLE_1) | instskip(SKIP_2) | instid1(VALU_DEP_1)
	s_or_b32 exec_lo, exec_lo, s6
	v_lshrrev_b32_e32 v8, 16, v5
	s_mov_b32 s6, exec_lo
	v_and_b32_e32 v0, 0xff, v8
	s_delay_alu instid0(VALU_DEP_1)
	v_cmpx_ne_u16_e32 0, v0
	s_cbranch_execz .LBB302_1858
; %bb.1851:                             ;   in Loop: Header=BB302_10 Depth=1
	v_cmp_ne_u16_e64 s1, 0x80, v0
	v_mov_b32_e32 v0, 0x8000
	scratch_store_b32 off, v0, s32 offset:712 ; 4-byte Folded Spill
	s_wait_xcnt 0x0
	s_and_saveexec_b32 s7, s1
	s_cbranch_execz .LBB302_1857
; %bb.1852:                             ;   in Loop: Header=BB302_10 Depth=1
	v_bfe_u32 v6, v5, 16, 7
	v_mov_b32_e32 v0, 0x7c01
	s_mov_b32 s8, exec_lo
	scratch_store_b32 off, v0, s32 offset:712 ; 4-byte Folded Spill
	s_wait_xcnt 0x0
	v_cmpx_ne_u32_e32 0x7f, v6
	s_cbranch_execz .LBB302_1856
; %bb.1853:                             ;   in Loop: Header=BB302_10 Depth=1
	v_dual_lshrrev_b32 v1, 3, v6 :: v_dual_bitop2_b32 v0, 7, v8 bitop3:0x40
	s_mov_b32 s11, exec_lo
	v_cmpx_gt_u32_e32 8, v6
; %bb.1854:                             ;   in Loop: Header=BB302_10 Depth=1
	s_delay_alu instid0(VALU_DEP_2) | instskip(NEXT) | instid1(VALU_DEP_1)
	v_clz_i32_u32_e32 v0, v0
	v_min_u32_e32 v6, 32, v0
	s_delay_alu instid0(VALU_DEP_1) | instskip(NEXT) | instid1(VALU_DEP_1)
	v_subrev_nc_u32_e32 v0, 28, v6
	v_lshlrev_b64_e32 v[0:1], v0, v[8:9]
	s_delay_alu instid0(VALU_DEP_1)
	v_dual_sub_nc_u32 v1, 29, v6 :: v_dual_bitop2_b32 v0, 7, v0 bitop3:0x40
; %bb.1855:                             ;   in Loop: Header=BB302_10 Depth=1
	s_or_b32 exec_lo, exec_lo, s11
	v_lshlrev_b32_e32 v6, 8, v8
	s_delay_alu instid0(VALU_DEP_2) | instskip(NEXT) | instid1(VALU_DEP_3)
	v_lshl_add_u32 v1, v1, 10, 0x2000
	v_lshlrev_b32_e32 v0, 7, v0
	s_delay_alu instid0(VALU_DEP_3) | instskip(NEXT) | instid1(VALU_DEP_3)
	v_and_b32_e32 v6, 0x8000, v6
	v_and_b32_e32 v1, 0xfc00, v1
	s_delay_alu instid0(VALU_DEP_1)
	v_or3_b32 v0, v6, v1, v0
	scratch_store_b32 off, v0, s32 offset:712 ; 4-byte Folded Spill
.LBB302_1856:                           ;   in Loop: Header=BB302_10 Depth=1
	s_wait_xcnt 0x0
	s_or_b32 exec_lo, exec_lo, s8
.LBB302_1857:                           ;   in Loop: Header=BB302_10 Depth=1
	s_delay_alu instid0(SALU_CYCLE_1)
	s_or_b32 exec_lo, exec_lo, s7
.LBB302_1858:                           ;   in Loop: Header=BB302_10 Depth=1
	s_delay_alu instid0(SALU_CYCLE_1)
	s_or_b32 exec_lo, exec_lo, s6
	v_dual_mov_b32 v0, 0 :: v_dual_mov_b32 v6, 0
	s_mov_b32 s6, exec_lo
	scratch_store_b32 off, v0, s32 offset:716 ; 4-byte Folded Spill
	s_wait_xcnt 0x0
	v_cmpx_lt_u64_e64 s[2:3], v[4:5]
	s_cbranch_execz .LBB302_1866
; %bb.1859:                             ;   in Loop: Header=BB302_10 Depth=1
	v_lshrrev_b32_e32 v14, 24, v5
	v_bfrev_b32_e32 v6, 1
	s_mov_b32 s7, exec_lo
	s_delay_alu instid0(VALU_DEP_2)
	v_cmpx_ne_u32_e32 0x80, v14
	s_cbranch_execz .LBB302_1865
; %bb.1860:                             ;   in Loop: Header=BB302_10 Depth=1
	v_and_b32_e32 v4, 0x7f, v14
	v_mov_b32_e32 v6, 0x7c010000
	s_mov_b32 s8, exec_lo
	s_delay_alu instid0(VALU_DEP_2)
	v_cmpx_ne_u32_e32 0x7f, v4
	s_cbranch_execz .LBB302_1864
; %bb.1861:                             ;   in Loop: Header=BB302_10 Depth=1
	v_dual_lshrrev_b32 v1, 3, v4 :: v_dual_bitop2_b32 v0, 7, v14 bitop3:0x40
	s_mov_b32 s11, exec_lo
	v_cmpx_gt_u32_e32 8, v4
; %bb.1862:                             ;   in Loop: Header=BB302_10 Depth=1
	s_delay_alu instid0(VALU_DEP_2) | instskip(NEXT) | instid1(VALU_DEP_1)
	v_clz_i32_u32_e32 v0, v0
	v_min_u32_e32 v4, 32, v0
	s_delay_alu instid0(VALU_DEP_1) | instskip(NEXT) | instid1(VALU_DEP_1)
	v_subrev_nc_u32_e32 v0, 28, v4
	v_lshlrev_b64_e32 v[0:1], v0, v[14:15]
	v_sub_nc_u32_e32 v1, 29, v4
	s_delay_alu instid0(VALU_DEP_2)
	v_and_b32_e32 v0, 7, v0
; %bb.1863:                             ;   in Loop: Header=BB302_10 Depth=1
	s_or_b32 exec_lo, exec_lo, s11
	s_delay_alu instid0(VALU_DEP_1) | instskip(NEXT) | instid1(VALU_DEP_3)
	v_dual_lshlrev_b32 v4, 8, v14 :: v_dual_lshlrev_b32 v0, 23, v0
	v_lshl_add_u32 v1, v1, 10, 0x2000
	s_delay_alu instid0(VALU_DEP_1) | instskip(NEXT) | instid1(VALU_DEP_1)
	v_and_or_b32 v1, 0x8000, v4, v1
	v_lshl_or_b32 v6, v1, 16, v0
.LBB302_1864:                           ;   in Loop: Header=BB302_10 Depth=1
	s_or_b32 exec_lo, exec_lo, s8
.LBB302_1865:                           ;   in Loop: Header=BB302_10 Depth=1
	s_delay_alu instid0(SALU_CYCLE_1)
	s_or_b32 exec_lo, exec_lo, s7
.LBB302_1866:                           ;   in Loop: Header=BB302_10 Depth=1
	s_delay_alu instid0(SALU_CYCLE_1)
	s_or_b32 exec_lo, exec_lo, s6
	flat_load_b64 v[4:5], v[2:3] offset:7176
	s_mov_b32 s6, exec_lo
	s_wait_loadcnt_dscnt 0x0
	v_and_b32_e32 v0, 0xff, v4
	s_wait_xcnt 0x0
	s_delay_alu instid0(VALU_DEP_1)
	v_cmpx_ne_u16_e32 0, v0
	s_cbranch_execz .LBB302_1874
; %bb.1867:                             ;   in Loop: Header=BB302_10 Depth=1
	v_cmp_ne_u16_e64 s1, 0x80, v0
	v_mov_b32_e32 v0, 0x8000
	scratch_store_b32 off, v0, s32 offset:716 ; 4-byte Folded Spill
	s_wait_xcnt 0x0
	s_and_saveexec_b32 s7, s1
	s_cbranch_execz .LBB302_1873
; %bb.1868:                             ;   in Loop: Header=BB302_10 Depth=1
	v_and_b32_e32 v8, 0x7f, v4
	v_mov_b32_e32 v0, 0x7c01
	s_mov_b32 s8, exec_lo
	scratch_store_b32 off, v0, s32 offset:716 ; 4-byte Folded Spill
	s_wait_xcnt 0x0
	v_cmpx_ne_u32_e32 0x7f, v8
	s_cbranch_execz .LBB302_1872
; %bb.1869:                             ;   in Loop: Header=BB302_10 Depth=1
	v_and_b32_e32 v0, 7, v4
	v_lshrrev_b32_e32 v1, 3, v8
	s_mov_b32 s11, exec_lo
	v_cmpx_gt_u32_e32 8, v8
; %bb.1870:                             ;   in Loop: Header=BB302_10 Depth=1
	s_delay_alu instid0(VALU_DEP_3) | instskip(NEXT) | instid1(VALU_DEP_1)
	v_clz_i32_u32_e32 v0, v0
	v_min_u32_e32 v8, 32, v0
	s_delay_alu instid0(VALU_DEP_1) | instskip(NEXT) | instid1(VALU_DEP_1)
	v_subrev_nc_u32_e32 v0, 28, v8
	v_lshlrev_b64_e32 v[0:1], v0, v[4:5]
	v_sub_nc_u32_e32 v1, 29, v8
	s_delay_alu instid0(VALU_DEP_2)
	v_and_b32_e32 v0, 7, v0
; %bb.1871:                             ;   in Loop: Header=BB302_10 Depth=1
	s_or_b32 exec_lo, exec_lo, s11
	v_lshlrev_b32_e32 v8, 8, v4
	s_delay_alu instid0(VALU_DEP_3) | instskip(NEXT) | instid1(VALU_DEP_3)
	v_lshl_add_u32 v1, v1, 10, 0x2000
	v_lshlrev_b32_e32 v0, 7, v0
	s_delay_alu instid0(VALU_DEP_3) | instskip(NEXT) | instid1(VALU_DEP_3)
	v_and_b32_e32 v8, 0x8000, v8
	v_and_b32_e32 v1, 0xfc00, v1
	s_delay_alu instid0(VALU_DEP_1)
	v_or3_b32 v0, v8, v1, v0
	scratch_store_b32 off, v0, s32 offset:716 ; 4-byte Folded Spill
.LBB302_1872:                           ;   in Loop: Header=BB302_10 Depth=1
	s_wait_xcnt 0x0
	s_or_b32 exec_lo, exec_lo, s8
.LBB302_1873:                           ;   in Loop: Header=BB302_10 Depth=1
	s_delay_alu instid0(SALU_CYCLE_1)
	s_or_b32 exec_lo, exec_lo, s7
.LBB302_1874:                           ;   in Loop: Header=BB302_10 Depth=1
	s_delay_alu instid0(SALU_CYCLE_1)
	s_or_b32 exec_lo, exec_lo, s6
	v_lshrrev_b16 v14, 8, v4
	v_dual_mov_b32 v0, 0 :: v_dual_mov_b32 v17, 0
	s_mov_b32 s6, exec_lo
	scratch_store_b32 off, v0, s32 offset:720 ; 4-byte Folded Spill
	s_wait_xcnt 0x0
	v_cmpx_ne_u16_e32 0, v14
	s_cbranch_execz .LBB302_1882
; %bb.1875:                             ;   in Loop: Header=BB302_10 Depth=1
	v_bfrev_b32_e32 v17, 1
	s_mov_b32 s7, exec_lo
	v_cmpx_ne_u16_e32 0x80, v14
	s_cbranch_execz .LBB302_1881
; %bb.1876:                             ;   in Loop: Header=BB302_10 Depth=1
	v_and_b32_e32 v0, 0xffff, v14
	v_mov_b32_e32 v17, 0x7c010000
	s_mov_b32 s8, exec_lo
	s_delay_alu instid0(VALU_DEP_2) | instskip(NEXT) | instid1(VALU_DEP_1)
	v_and_b32_e32 v9, 0x7f, v0
	v_cmpx_ne_u32_e32 0x7f, v9
	s_cbranch_execz .LBB302_1880
; %bb.1877:                             ;   in Loop: Header=BB302_10 Depth=1
	v_dual_lshrrev_b32 v8, 3, v9 :: v_dual_bitop2_b32 v1, 7, v0 bitop3:0x40
	s_mov_b32 s11, exec_lo
	v_cmpx_gt_u32_e32 8, v9
; %bb.1878:                             ;   in Loop: Header=BB302_10 Depth=1
	s_delay_alu instid0(VALU_DEP_2) | instskip(NEXT) | instid1(VALU_DEP_1)
	v_clz_i32_u32_e32 v1, v1
	v_min_u32_e32 v1, 32, v1
	s_delay_alu instid0(VALU_DEP_1) | instskip(NEXT) | instid1(VALU_DEP_1)
	v_subrev_nc_u32_e32 v8, 28, v1
	v_lshlrev_b64_e32 v[10:11], v8, v[14:15]
	s_delay_alu instid0(VALU_DEP_1)
	v_dual_sub_nc_u32 v8, 29, v1 :: v_dual_bitop2_b32 v1, 7, v10 bitop3:0x40
; %bb.1879:                             ;   in Loop: Header=BB302_10 Depth=1
	s_or_b32 exec_lo, exec_lo, s11
	s_delay_alu instid0(VALU_DEP_1) | instskip(NEXT) | instid1(VALU_DEP_2)
	v_dual_lshlrev_b32 v0, 8, v0 :: v_dual_lshlrev_b32 v1, 23, v1
	v_lshl_add_u32 v8, v8, 10, 0x2000
	s_delay_alu instid0(VALU_DEP_1) | instskip(NEXT) | instid1(VALU_DEP_1)
	v_and_or_b32 v0, 0x8000, v0, v8
	v_lshl_or_b32 v17, v0, 16, v1
.LBB302_1880:                           ;   in Loop: Header=BB302_10 Depth=1
	s_or_b32 exec_lo, exec_lo, s8
.LBB302_1881:                           ;   in Loop: Header=BB302_10 Depth=1
	s_delay_alu instid0(SALU_CYCLE_1)
	s_or_b32 exec_lo, exec_lo, s7
.LBB302_1882:                           ;   in Loop: Header=BB302_10 Depth=1
	s_delay_alu instid0(SALU_CYCLE_1) | instskip(SKIP_2) | instid1(VALU_DEP_1)
	s_or_b32 exec_lo, exec_lo, s6
	v_lshrrev_b32_e32 v8, 16, v4
	s_mov_b32 s6, exec_lo
	v_and_b32_e32 v0, 0xff, v8
	s_delay_alu instid0(VALU_DEP_1)
	v_cmpx_ne_u16_e32 0, v0
	s_cbranch_execz .LBB302_1890
; %bb.1883:                             ;   in Loop: Header=BB302_10 Depth=1
	v_cmp_ne_u16_e64 s1, 0x80, v0
	v_mov_b32_e32 v0, 0x8000
	scratch_store_b32 off, v0, s32 offset:720 ; 4-byte Folded Spill
	s_wait_xcnt 0x0
	s_and_saveexec_b32 s7, s1
	s_cbranch_execz .LBB302_1889
; %bb.1884:                             ;   in Loop: Header=BB302_10 Depth=1
	v_bfe_u32 v9, v4, 16, 7
	v_mov_b32_e32 v0, 0x7c01
	s_mov_b32 s8, exec_lo
	scratch_store_b32 off, v0, s32 offset:720 ; 4-byte Folded Spill
	s_wait_xcnt 0x0
	v_cmpx_ne_u32_e32 0x7f, v9
	s_cbranch_execz .LBB302_1888
; %bb.1885:                             ;   in Loop: Header=BB302_10 Depth=1
	v_dual_lshrrev_b32 v1, 3, v9 :: v_dual_bitop2_b32 v0, 7, v8 bitop3:0x40
	s_mov_b32 s11, exec_lo
	v_cmpx_gt_u32_e32 8, v9
; %bb.1886:                             ;   in Loop: Header=BB302_10 Depth=1
	s_delay_alu instid0(VALU_DEP_2) | instskip(NEXT) | instid1(VALU_DEP_1)
	v_clz_i32_u32_e32 v0, v0
	v_min_u32_e32 v9, 32, v0
	s_delay_alu instid0(VALU_DEP_1) | instskip(NEXT) | instid1(VALU_DEP_1)
	v_subrev_nc_u32_e32 v0, 28, v9
	v_lshlrev_b64_e32 v[0:1], v0, v[8:9]
	s_delay_alu instid0(VALU_DEP_1)
	v_dual_sub_nc_u32 v1, 29, v9 :: v_dual_bitop2_b32 v0, 7, v0 bitop3:0x40
; %bb.1887:                             ;   in Loop: Header=BB302_10 Depth=1
	s_or_b32 exec_lo, exec_lo, s11
	v_lshlrev_b32_e32 v8, 8, v8
	s_delay_alu instid0(VALU_DEP_2) | instskip(NEXT) | instid1(VALU_DEP_3)
	v_lshl_add_u32 v1, v1, 10, 0x2000
	v_lshlrev_b32_e32 v0, 7, v0
	s_delay_alu instid0(VALU_DEP_3) | instskip(NEXT) | instid1(VALU_DEP_3)
	v_and_b32_e32 v8, 0x8000, v8
	v_and_b32_e32 v1, 0xfc00, v1
	s_delay_alu instid0(VALU_DEP_1)
	v_or3_b32 v0, v8, v1, v0
	scratch_store_b32 off, v0, s32 offset:720 ; 4-byte Folded Spill
.LBB302_1888:                           ;   in Loop: Header=BB302_10 Depth=1
	s_wait_xcnt 0x0
	s_or_b32 exec_lo, exec_lo, s8
.LBB302_1889:                           ;   in Loop: Header=BB302_10 Depth=1
	s_delay_alu instid0(SALU_CYCLE_1)
	s_or_b32 exec_lo, exec_lo, s7
.LBB302_1890:                           ;   in Loop: Header=BB302_10 Depth=1
	s_delay_alu instid0(SALU_CYCLE_1)
	s_or_b32 exec_lo, exec_lo, s6
	v_dual_mov_b32 v0, 0 :: v_dual_mov_b32 v21, 0
	s_mov_b32 s6, exec_lo
	scratch_store_b32 off, v0, s32 offset:724 ; 4-byte Folded Spill
	s_wait_xcnt 0x0
	v_cmpx_lt_u32_e32 0xffffff, v4
	s_cbranch_execz .LBB302_1898
; %bb.1891:                             ;   in Loop: Header=BB302_10 Depth=1
	v_lshrrev_b32_e32 v14, 24, v4
	v_bfrev_b32_e32 v21, 1
	s_mov_b32 s7, exec_lo
	s_delay_alu instid0(VALU_DEP_2)
	v_cmpx_ne_u32_e32 0x80, v14
	s_cbranch_execz .LBB302_1897
; %bb.1892:                             ;   in Loop: Header=BB302_10 Depth=1
	v_and_b32_e32 v8, 0x7f, v14
	v_mov_b32_e32 v21, 0x7c010000
	s_mov_b32 s8, exec_lo
	s_delay_alu instid0(VALU_DEP_2)
	v_cmpx_ne_u32_e32 0x7f, v8
	s_cbranch_execz .LBB302_1896
; %bb.1893:                             ;   in Loop: Header=BB302_10 Depth=1
	v_dual_lshrrev_b32 v1, 3, v8 :: v_dual_bitop2_b32 v0, 7, v14 bitop3:0x40
	s_mov_b32 s11, exec_lo
	v_cmpx_gt_u32_e32 8, v8
; %bb.1894:                             ;   in Loop: Header=BB302_10 Depth=1
	s_delay_alu instid0(VALU_DEP_2) | instskip(NEXT) | instid1(VALU_DEP_1)
	v_clz_i32_u32_e32 v0, v0
	v_min_u32_e32 v8, 32, v0
	s_delay_alu instid0(VALU_DEP_1) | instskip(NEXT) | instid1(VALU_DEP_1)
	v_subrev_nc_u32_e32 v0, 28, v8
	v_lshlrev_b64_e32 v[0:1], v0, v[14:15]
	v_sub_nc_u32_e32 v1, 29, v8
	s_delay_alu instid0(VALU_DEP_2)
	v_and_b32_e32 v0, 7, v0
; %bb.1895:                             ;   in Loop: Header=BB302_10 Depth=1
	s_or_b32 exec_lo, exec_lo, s11
	s_delay_alu instid0(VALU_DEP_1) | instskip(NEXT) | instid1(VALU_DEP_3)
	v_dual_lshlrev_b32 v8, 8, v14 :: v_dual_lshlrev_b32 v0, 23, v0
	v_lshl_add_u32 v1, v1, 10, 0x2000
	s_delay_alu instid0(VALU_DEP_1) | instskip(NEXT) | instid1(VALU_DEP_1)
	v_and_or_b32 v1, 0x8000, v8, v1
	v_lshl_or_b32 v21, v1, 16, v0
.LBB302_1896:                           ;   in Loop: Header=BB302_10 Depth=1
	s_or_b32 exec_lo, exec_lo, s8
.LBB302_1897:                           ;   in Loop: Header=BB302_10 Depth=1
	s_delay_alu instid0(SALU_CYCLE_1)
	s_or_b32 exec_lo, exec_lo, s7
.LBB302_1898:                           ;   in Loop: Header=BB302_10 Depth=1
	s_delay_alu instid0(SALU_CYCLE_1) | instskip(SKIP_3) | instid1(VALU_DEP_2)
	s_or_b32 exec_lo, exec_lo, s6
	v_and_b32_e32 v0, 0xff, v5
	v_mov_b32_e32 v14, v5
	s_mov_b32 s6, exec_lo
	v_cmpx_ne_u16_e32 0, v0
	s_cbranch_execz .LBB302_1906
; %bb.1899:                             ;   in Loop: Header=BB302_10 Depth=1
	v_cmp_ne_u16_e64 s1, 0x80, v0
	v_mov_b32_e32 v0, 0x8000
	scratch_store_b32 off, v0, s32 offset:724 ; 4-byte Folded Spill
	s_wait_xcnt 0x0
	s_and_saveexec_b32 s7, s1
	s_cbranch_execz .LBB302_1905
; %bb.1900:                             ;   in Loop: Header=BB302_10 Depth=1
	v_and_b32_e32 v8, 0x7f, v5
	v_mov_b32_e32 v0, 0x7c01
	s_mov_b32 s8, exec_lo
	scratch_store_b32 off, v0, s32 offset:724 ; 4-byte Folded Spill
	s_wait_xcnt 0x0
	v_cmpx_ne_u32_e32 0x7f, v8
	s_cbranch_execz .LBB302_1904
; %bb.1901:                             ;   in Loop: Header=BB302_10 Depth=1
	v_dual_lshrrev_b32 v1, 3, v8 :: v_dual_bitop2_b32 v0, 7, v5 bitop3:0x40
	s_mov_b32 s11, exec_lo
	v_cmpx_gt_u32_e32 8, v8
; %bb.1902:                             ;   in Loop: Header=BB302_10 Depth=1
	s_delay_alu instid0(VALU_DEP_2) | instskip(NEXT) | instid1(VALU_DEP_1)
	v_clz_i32_u32_e32 v0, v0
	v_min_u32_e32 v8, 32, v0
	s_delay_alu instid0(VALU_DEP_1) | instskip(NEXT) | instid1(VALU_DEP_1)
	v_subrev_nc_u32_e32 v0, 28, v8
	v_lshlrev_b64_e32 v[0:1], v0, v[14:15]
	v_sub_nc_u32_e32 v1, 29, v8
	s_delay_alu instid0(VALU_DEP_2)
	v_and_b32_e32 v0, 7, v0
; %bb.1903:                             ;   in Loop: Header=BB302_10 Depth=1
	s_or_b32 exec_lo, exec_lo, s11
	s_delay_alu instid0(VALU_DEP_1) | instskip(NEXT) | instid1(VALU_DEP_3)
	v_dual_lshlrev_b32 v8, 8, v5 :: v_dual_lshlrev_b32 v0, 7, v0
	v_lshl_add_u32 v1, v1, 10, 0x2000
	s_delay_alu instid0(VALU_DEP_2) | instskip(NEXT) | instid1(VALU_DEP_2)
	v_and_b32_e32 v8, 0x8000, v8
	v_and_b32_e32 v1, 0xfc00, v1
	s_delay_alu instid0(VALU_DEP_1)
	v_or3_b32 v0, v8, v1, v0
	scratch_store_b32 off, v0, s32 offset:724 ; 4-byte Folded Spill
.LBB302_1904:                           ;   in Loop: Header=BB302_10 Depth=1
	s_wait_xcnt 0x0
	s_or_b32 exec_lo, exec_lo, s8
.LBB302_1905:                           ;   in Loop: Header=BB302_10 Depth=1
	s_delay_alu instid0(SALU_CYCLE_1)
	s_or_b32 exec_lo, exec_lo, s7
.LBB302_1906:                           ;   in Loop: Header=BB302_10 Depth=1
	s_delay_alu instid0(SALU_CYCLE_1)
	s_or_b32 exec_lo, exec_lo, s6
	v_lshrrev_b16 v14, 8, v14
	v_dual_mov_b32 v0, 0 :: v_dual_mov_b32 v127, 0
	s_mov_b32 s6, exec_lo
	scratch_store_b32 off, v0, s32 offset:728 ; 4-byte Folded Spill
	s_wait_xcnt 0x0
	v_cmpx_ne_u16_e32 0, v14
	s_cbranch_execz .LBB302_1914
; %bb.1907:                             ;   in Loop: Header=BB302_10 Depth=1
	v_bfrev_b32_e32 v127, 1
	s_mov_b32 s7, exec_lo
	v_cmpx_ne_u16_e32 0x80, v14
	s_cbranch_execz .LBB302_1913
; %bb.1908:                             ;   in Loop: Header=BB302_10 Depth=1
	v_and_b32_e32 v0, 0xffff, v14
	v_mov_b32_e32 v127, 0x7c010000
	s_mov_b32 s8, exec_lo
	s_delay_alu instid0(VALU_DEP_2) | instskip(NEXT) | instid1(VALU_DEP_1)
	v_and_b32_e32 v9, 0x7f, v0
	v_cmpx_ne_u32_e32 0x7f, v9
	s_cbranch_execz .LBB302_1912
; %bb.1909:                             ;   in Loop: Header=BB302_10 Depth=1
	v_dual_lshrrev_b32 v8, 3, v9 :: v_dual_bitop2_b32 v1, 7, v0 bitop3:0x40
	s_mov_b32 s11, exec_lo
	v_cmpx_gt_u32_e32 8, v9
; %bb.1910:                             ;   in Loop: Header=BB302_10 Depth=1
	s_delay_alu instid0(VALU_DEP_2) | instskip(NEXT) | instid1(VALU_DEP_1)
	v_clz_i32_u32_e32 v1, v1
	v_min_u32_e32 v1, 32, v1
	s_delay_alu instid0(VALU_DEP_1) | instskip(NEXT) | instid1(VALU_DEP_1)
	v_subrev_nc_u32_e32 v8, 28, v1
	v_lshlrev_b64_e32 v[10:11], v8, v[14:15]
	s_delay_alu instid0(VALU_DEP_1)
	v_dual_sub_nc_u32 v8, 29, v1 :: v_dual_bitop2_b32 v1, 7, v10 bitop3:0x40
; %bb.1911:                             ;   in Loop: Header=BB302_10 Depth=1
	s_or_b32 exec_lo, exec_lo, s11
	s_delay_alu instid0(VALU_DEP_1) | instskip(NEXT) | instid1(VALU_DEP_2)
	v_dual_lshlrev_b32 v0, 8, v0 :: v_dual_lshlrev_b32 v1, 23, v1
	v_lshl_add_u32 v8, v8, 10, 0x2000
	s_delay_alu instid0(VALU_DEP_1) | instskip(NEXT) | instid1(VALU_DEP_1)
	v_and_or_b32 v0, 0x8000, v0, v8
	v_lshl_or_b32 v127, v0, 16, v1
.LBB302_1912:                           ;   in Loop: Header=BB302_10 Depth=1
	s_or_b32 exec_lo, exec_lo, s8
.LBB302_1913:                           ;   in Loop: Header=BB302_10 Depth=1
	s_delay_alu instid0(SALU_CYCLE_1)
	s_or_b32 exec_lo, exec_lo, s7
.LBB302_1914:                           ;   in Loop: Header=BB302_10 Depth=1
	s_delay_alu instid0(SALU_CYCLE_1) | instskip(SKIP_2) | instid1(VALU_DEP_1)
	s_or_b32 exec_lo, exec_lo, s6
	v_lshrrev_b32_e32 v8, 16, v5
	s_mov_b32 s6, exec_lo
	v_and_b32_e32 v0, 0xff, v8
	s_delay_alu instid0(VALU_DEP_1)
	v_cmpx_ne_u16_e32 0, v0
	s_cbranch_execz .LBB302_1922
; %bb.1915:                             ;   in Loop: Header=BB302_10 Depth=1
	v_cmp_ne_u16_e64 s1, 0x80, v0
	v_mov_b32_e32 v0, 0x8000
	scratch_store_b32 off, v0, s32 offset:728 ; 4-byte Folded Spill
	s_wait_xcnt 0x0
	s_and_saveexec_b32 s7, s1
	s_cbranch_execz .LBB302_1921
; %bb.1916:                             ;   in Loop: Header=BB302_10 Depth=1
	v_bfe_u32 v9, v5, 16, 7
	v_mov_b32_e32 v0, 0x7c01
	s_mov_b32 s8, exec_lo
	scratch_store_b32 off, v0, s32 offset:728 ; 4-byte Folded Spill
	s_wait_xcnt 0x0
	v_cmpx_ne_u32_e32 0x7f, v9
	s_cbranch_execz .LBB302_1920
; %bb.1917:                             ;   in Loop: Header=BB302_10 Depth=1
	v_dual_lshrrev_b32 v1, 3, v9 :: v_dual_bitop2_b32 v0, 7, v8 bitop3:0x40
	s_mov_b32 s11, exec_lo
	v_cmpx_gt_u32_e32 8, v9
; %bb.1918:                             ;   in Loop: Header=BB302_10 Depth=1
	s_delay_alu instid0(VALU_DEP_2) | instskip(NEXT) | instid1(VALU_DEP_1)
	v_clz_i32_u32_e32 v0, v0
	v_min_u32_e32 v9, 32, v0
	s_delay_alu instid0(VALU_DEP_1) | instskip(NEXT) | instid1(VALU_DEP_1)
	v_subrev_nc_u32_e32 v0, 28, v9
	v_lshlrev_b64_e32 v[0:1], v0, v[8:9]
	s_delay_alu instid0(VALU_DEP_1)
	v_dual_sub_nc_u32 v1, 29, v9 :: v_dual_bitop2_b32 v0, 7, v0 bitop3:0x40
; %bb.1919:                             ;   in Loop: Header=BB302_10 Depth=1
	s_or_b32 exec_lo, exec_lo, s11
	v_lshlrev_b32_e32 v8, 8, v8
	s_delay_alu instid0(VALU_DEP_2) | instskip(NEXT) | instid1(VALU_DEP_3)
	v_lshl_add_u32 v1, v1, 10, 0x2000
	v_lshlrev_b32_e32 v0, 7, v0
	s_delay_alu instid0(VALU_DEP_3) | instskip(NEXT) | instid1(VALU_DEP_3)
	v_and_b32_e32 v8, 0x8000, v8
	v_and_b32_e32 v1, 0xfc00, v1
	s_delay_alu instid0(VALU_DEP_1)
	v_or3_b32 v0, v8, v1, v0
	scratch_store_b32 off, v0, s32 offset:728 ; 4-byte Folded Spill
.LBB302_1920:                           ;   in Loop: Header=BB302_10 Depth=1
	s_wait_xcnt 0x0
	s_or_b32 exec_lo, exec_lo, s8
.LBB302_1921:                           ;   in Loop: Header=BB302_10 Depth=1
	s_delay_alu instid0(SALU_CYCLE_1)
	s_or_b32 exec_lo, exec_lo, s7
.LBB302_1922:                           ;   in Loop: Header=BB302_10 Depth=1
	s_delay_alu instid0(SALU_CYCLE_1)
	s_or_b32 exec_lo, exec_lo, s6
	v_dual_mov_b32 v0, 0 :: v_dual_mov_b32 v125, 0
	s_mov_b32 s6, exec_lo
	scratch_store_b32 off, v0, s32 offset:732 ; 4-byte Folded Spill
	s_wait_xcnt 0x0
	v_cmpx_lt_u64_e64 s[2:3], v[4:5]
	s_cbranch_execz .LBB302_1930
; %bb.1923:                             ;   in Loop: Header=BB302_10 Depth=1
	v_lshrrev_b32_e32 v14, 24, v5
	v_bfrev_b32_e32 v125, 1
	s_mov_b32 s7, exec_lo
	s_delay_alu instid0(VALU_DEP_2)
	v_cmpx_ne_u32_e32 0x80, v14
	s_cbranch_execz .LBB302_1929
; %bb.1924:                             ;   in Loop: Header=BB302_10 Depth=1
	v_and_b32_e32 v4, 0x7f, v14
	v_mov_b32_e32 v125, 0x7c010000
	s_mov_b32 s8, exec_lo
	s_delay_alu instid0(VALU_DEP_2)
	v_cmpx_ne_u32_e32 0x7f, v4
	s_cbranch_execz .LBB302_1928
; %bb.1925:                             ;   in Loop: Header=BB302_10 Depth=1
	v_dual_lshrrev_b32 v1, 3, v4 :: v_dual_bitop2_b32 v0, 7, v14 bitop3:0x40
	s_mov_b32 s11, exec_lo
	v_cmpx_gt_u32_e32 8, v4
; %bb.1926:                             ;   in Loop: Header=BB302_10 Depth=1
	s_delay_alu instid0(VALU_DEP_2) | instskip(NEXT) | instid1(VALU_DEP_1)
	v_clz_i32_u32_e32 v0, v0
	v_min_u32_e32 v4, 32, v0
	s_delay_alu instid0(VALU_DEP_1) | instskip(NEXT) | instid1(VALU_DEP_1)
	v_subrev_nc_u32_e32 v0, 28, v4
	v_lshlrev_b64_e32 v[0:1], v0, v[14:15]
	v_sub_nc_u32_e32 v1, 29, v4
	s_delay_alu instid0(VALU_DEP_2)
	v_and_b32_e32 v0, 7, v0
; %bb.1927:                             ;   in Loop: Header=BB302_10 Depth=1
	s_or_b32 exec_lo, exec_lo, s11
	s_delay_alu instid0(VALU_DEP_1) | instskip(NEXT) | instid1(VALU_DEP_3)
	v_dual_lshlrev_b32 v4, 8, v14 :: v_dual_lshlrev_b32 v0, 23, v0
	v_lshl_add_u32 v1, v1, 10, 0x2000
	s_delay_alu instid0(VALU_DEP_1) | instskip(NEXT) | instid1(VALU_DEP_1)
	v_and_or_b32 v1, 0x8000, v4, v1
	v_lshl_or_b32 v125, v1, 16, v0
.LBB302_1928:                           ;   in Loop: Header=BB302_10 Depth=1
	s_or_b32 exec_lo, exec_lo, s8
.LBB302_1929:                           ;   in Loop: Header=BB302_10 Depth=1
	s_delay_alu instid0(SALU_CYCLE_1)
	s_or_b32 exec_lo, exec_lo, s7
.LBB302_1930:                           ;   in Loop: Header=BB302_10 Depth=1
	s_delay_alu instid0(SALU_CYCLE_1)
	s_or_b32 exec_lo, exec_lo, s6
	flat_load_b64 v[4:5], v[2:3] offset:7680
	s_mov_b32 s6, exec_lo
	s_wait_loadcnt_dscnt 0x0
	v_and_b32_e32 v0, 0xff, v4
	s_wait_xcnt 0x0
	s_delay_alu instid0(VALU_DEP_1)
	v_cmpx_ne_u16_e32 0, v0
	s_cbranch_execz .LBB302_1938
; %bb.1931:                             ;   in Loop: Header=BB302_10 Depth=1
	v_cmp_ne_u16_e64 s1, 0x80, v0
	v_mov_b32_e32 v0, 0x8000
	scratch_store_b32 off, v0, s32 offset:732 ; 4-byte Folded Spill
	s_wait_xcnt 0x0
	s_and_saveexec_b32 s7, s1
	s_cbranch_execz .LBB302_1937
; %bb.1932:                             ;   in Loop: Header=BB302_10 Depth=1
	v_and_b32_e32 v8, 0x7f, v4
	v_mov_b32_e32 v0, 0x7c01
	s_mov_b32 s8, exec_lo
	scratch_store_b32 off, v0, s32 offset:732 ; 4-byte Folded Spill
	s_wait_xcnt 0x0
	v_cmpx_ne_u32_e32 0x7f, v8
	s_cbranch_execz .LBB302_1936
; %bb.1933:                             ;   in Loop: Header=BB302_10 Depth=1
	v_and_b32_e32 v0, 7, v4
	v_lshrrev_b32_e32 v1, 3, v8
	s_mov_b32 s11, exec_lo
	v_cmpx_gt_u32_e32 8, v8
; %bb.1934:                             ;   in Loop: Header=BB302_10 Depth=1
	s_delay_alu instid0(VALU_DEP_3) | instskip(NEXT) | instid1(VALU_DEP_1)
	v_clz_i32_u32_e32 v0, v0
	v_min_u32_e32 v8, 32, v0
	s_delay_alu instid0(VALU_DEP_1) | instskip(NEXT) | instid1(VALU_DEP_1)
	v_subrev_nc_u32_e32 v0, 28, v8
	v_lshlrev_b64_e32 v[0:1], v0, v[4:5]
	v_sub_nc_u32_e32 v1, 29, v8
	s_delay_alu instid0(VALU_DEP_2)
	v_and_b32_e32 v0, 7, v0
; %bb.1935:                             ;   in Loop: Header=BB302_10 Depth=1
	s_or_b32 exec_lo, exec_lo, s11
	v_lshlrev_b32_e32 v8, 8, v4
	s_delay_alu instid0(VALU_DEP_3) | instskip(NEXT) | instid1(VALU_DEP_3)
	v_lshl_add_u32 v1, v1, 10, 0x2000
	v_lshlrev_b32_e32 v0, 7, v0
	s_delay_alu instid0(VALU_DEP_3) | instskip(NEXT) | instid1(VALU_DEP_3)
	v_and_b32_e32 v8, 0x8000, v8
	v_and_b32_e32 v1, 0xfc00, v1
	s_delay_alu instid0(VALU_DEP_1)
	v_or3_b32 v0, v8, v1, v0
	scratch_store_b32 off, v0, s32 offset:732 ; 4-byte Folded Spill
.LBB302_1936:                           ;   in Loop: Header=BB302_10 Depth=1
	s_wait_xcnt 0x0
	s_or_b32 exec_lo, exec_lo, s8
.LBB302_1937:                           ;   in Loop: Header=BB302_10 Depth=1
	s_delay_alu instid0(SALU_CYCLE_1)
	s_or_b32 exec_lo, exec_lo, s7
.LBB302_1938:                           ;   in Loop: Header=BB302_10 Depth=1
	s_delay_alu instid0(SALU_CYCLE_1)
	s_or_b32 exec_lo, exec_lo, s6
	v_lshrrev_b16 v14, 8, v4
	v_dual_mov_b32 v0, 0 :: v_dual_mov_b32 v55, 0
	s_mov_b32 s6, exec_lo
	scratch_store_b32 off, v0, s32 offset:736 ; 4-byte Folded Spill
	s_wait_xcnt 0x0
	v_cmpx_ne_u16_e32 0, v14
	s_cbranch_execz .LBB302_1946
; %bb.1939:                             ;   in Loop: Header=BB302_10 Depth=1
	v_bfrev_b32_e32 v55, 1
	s_mov_b32 s7, exec_lo
	v_cmpx_ne_u16_e32 0x80, v14
	s_cbranch_execz .LBB302_1945
; %bb.1940:                             ;   in Loop: Header=BB302_10 Depth=1
	v_and_b32_e32 v0, 0xffff, v14
	v_mov_b32_e32 v55, 0x7c010000
	s_mov_b32 s8, exec_lo
	s_delay_alu instid0(VALU_DEP_2) | instskip(NEXT) | instid1(VALU_DEP_1)
	v_and_b32_e32 v9, 0x7f, v0
	v_cmpx_ne_u32_e32 0x7f, v9
	s_cbranch_execz .LBB302_1944
; %bb.1941:                             ;   in Loop: Header=BB302_10 Depth=1
	v_dual_lshrrev_b32 v8, 3, v9 :: v_dual_bitop2_b32 v1, 7, v0 bitop3:0x40
	s_mov_b32 s11, exec_lo
	v_cmpx_gt_u32_e32 8, v9
; %bb.1942:                             ;   in Loop: Header=BB302_10 Depth=1
	s_delay_alu instid0(VALU_DEP_2) | instskip(NEXT) | instid1(VALU_DEP_1)
	v_clz_i32_u32_e32 v1, v1
	v_min_u32_e32 v1, 32, v1
	s_delay_alu instid0(VALU_DEP_1) | instskip(NEXT) | instid1(VALU_DEP_1)
	v_subrev_nc_u32_e32 v8, 28, v1
	v_lshlrev_b64_e32 v[10:11], v8, v[14:15]
	s_delay_alu instid0(VALU_DEP_1)
	v_dual_sub_nc_u32 v8, 29, v1 :: v_dual_bitop2_b32 v1, 7, v10 bitop3:0x40
; %bb.1943:                             ;   in Loop: Header=BB302_10 Depth=1
	s_or_b32 exec_lo, exec_lo, s11
	s_delay_alu instid0(VALU_DEP_1) | instskip(NEXT) | instid1(VALU_DEP_2)
	v_dual_lshlrev_b32 v0, 8, v0 :: v_dual_lshlrev_b32 v1, 23, v1
	v_lshl_add_u32 v8, v8, 10, 0x2000
	s_delay_alu instid0(VALU_DEP_1) | instskip(NEXT) | instid1(VALU_DEP_1)
	v_and_or_b32 v0, 0x8000, v0, v8
	v_lshl_or_b32 v55, v0, 16, v1
.LBB302_1944:                           ;   in Loop: Header=BB302_10 Depth=1
	s_or_b32 exec_lo, exec_lo, s8
.LBB302_1945:                           ;   in Loop: Header=BB302_10 Depth=1
	s_delay_alu instid0(SALU_CYCLE_1)
	s_or_b32 exec_lo, exec_lo, s7
.LBB302_1946:                           ;   in Loop: Header=BB302_10 Depth=1
	s_delay_alu instid0(SALU_CYCLE_1) | instskip(SKIP_2) | instid1(VALU_DEP_1)
	s_or_b32 exec_lo, exec_lo, s6
	v_lshrrev_b32_e32 v8, 16, v4
	s_mov_b32 s6, exec_lo
	v_and_b32_e32 v0, 0xff, v8
	s_delay_alu instid0(VALU_DEP_1)
	v_cmpx_ne_u16_e32 0, v0
	s_cbranch_execz .LBB302_1954
; %bb.1947:                             ;   in Loop: Header=BB302_10 Depth=1
	v_cmp_ne_u16_e64 s1, 0x80, v0
	v_mov_b32_e32 v0, 0x8000
	scratch_store_b32 off, v0, s32 offset:736 ; 4-byte Folded Spill
	s_wait_xcnt 0x0
	s_and_saveexec_b32 s7, s1
	s_cbranch_execz .LBB302_1953
; %bb.1948:                             ;   in Loop: Header=BB302_10 Depth=1
	v_bfe_u32 v9, v4, 16, 7
	v_mov_b32_e32 v0, 0x7c01
	s_mov_b32 s8, exec_lo
	scratch_store_b32 off, v0, s32 offset:736 ; 4-byte Folded Spill
	s_wait_xcnt 0x0
	v_cmpx_ne_u32_e32 0x7f, v9
	s_cbranch_execz .LBB302_1952
; %bb.1949:                             ;   in Loop: Header=BB302_10 Depth=1
	v_dual_lshrrev_b32 v1, 3, v9 :: v_dual_bitop2_b32 v0, 7, v8 bitop3:0x40
	s_mov_b32 s11, exec_lo
	v_cmpx_gt_u32_e32 8, v9
; %bb.1950:                             ;   in Loop: Header=BB302_10 Depth=1
	s_delay_alu instid0(VALU_DEP_2) | instskip(NEXT) | instid1(VALU_DEP_1)
	v_clz_i32_u32_e32 v0, v0
	v_min_u32_e32 v9, 32, v0
	s_delay_alu instid0(VALU_DEP_1) | instskip(NEXT) | instid1(VALU_DEP_1)
	v_subrev_nc_u32_e32 v0, 28, v9
	v_lshlrev_b64_e32 v[0:1], v0, v[8:9]
	s_delay_alu instid0(VALU_DEP_1)
	v_dual_sub_nc_u32 v1, 29, v9 :: v_dual_bitop2_b32 v0, 7, v0 bitop3:0x40
; %bb.1951:                             ;   in Loop: Header=BB302_10 Depth=1
	s_or_b32 exec_lo, exec_lo, s11
	v_lshlrev_b32_e32 v8, 8, v8
	s_delay_alu instid0(VALU_DEP_2) | instskip(NEXT) | instid1(VALU_DEP_3)
	v_lshl_add_u32 v1, v1, 10, 0x2000
	v_lshlrev_b32_e32 v0, 7, v0
	s_delay_alu instid0(VALU_DEP_3) | instskip(NEXT) | instid1(VALU_DEP_3)
	v_and_b32_e32 v8, 0x8000, v8
	v_and_b32_e32 v1, 0xfc00, v1
	s_delay_alu instid0(VALU_DEP_1)
	v_or3_b32 v0, v8, v1, v0
	scratch_store_b32 off, v0, s32 offset:736 ; 4-byte Folded Spill
.LBB302_1952:                           ;   in Loop: Header=BB302_10 Depth=1
	s_wait_xcnt 0x0
	s_or_b32 exec_lo, exec_lo, s8
.LBB302_1953:                           ;   in Loop: Header=BB302_10 Depth=1
	s_delay_alu instid0(SALU_CYCLE_1)
	s_or_b32 exec_lo, exec_lo, s7
.LBB302_1954:                           ;   in Loop: Header=BB302_10 Depth=1
	s_delay_alu instid0(SALU_CYCLE_1)
	s_or_b32 exec_lo, exec_lo, s6
	v_dual_mov_b32 v0, 0 :: v_dual_mov_b32 v54, 0
	s_mov_b32 s6, exec_lo
	scratch_store_b32 off, v0, s32 offset:740 ; 4-byte Folded Spill
	s_wait_xcnt 0x0
	v_cmpx_lt_u32_e32 0xffffff, v4
	s_cbranch_execz .LBB302_1962
; %bb.1955:                             ;   in Loop: Header=BB302_10 Depth=1
	v_lshrrev_b32_e32 v14, 24, v4
	v_bfrev_b32_e32 v54, 1
	s_mov_b32 s7, exec_lo
	s_delay_alu instid0(VALU_DEP_2)
	v_cmpx_ne_u32_e32 0x80, v14
	s_cbranch_execz .LBB302_1961
; %bb.1956:                             ;   in Loop: Header=BB302_10 Depth=1
	v_and_b32_e32 v8, 0x7f, v14
	v_mov_b32_e32 v54, 0x7c010000
	s_mov_b32 s8, exec_lo
	s_delay_alu instid0(VALU_DEP_2)
	v_cmpx_ne_u32_e32 0x7f, v8
	s_cbranch_execz .LBB302_1960
; %bb.1957:                             ;   in Loop: Header=BB302_10 Depth=1
	v_dual_lshrrev_b32 v1, 3, v8 :: v_dual_bitop2_b32 v0, 7, v14 bitop3:0x40
	s_mov_b32 s11, exec_lo
	v_cmpx_gt_u32_e32 8, v8
; %bb.1958:                             ;   in Loop: Header=BB302_10 Depth=1
	s_delay_alu instid0(VALU_DEP_2) | instskip(NEXT) | instid1(VALU_DEP_1)
	v_clz_i32_u32_e32 v0, v0
	v_min_u32_e32 v8, 32, v0
	s_delay_alu instid0(VALU_DEP_1) | instskip(NEXT) | instid1(VALU_DEP_1)
	v_subrev_nc_u32_e32 v0, 28, v8
	v_lshlrev_b64_e32 v[0:1], v0, v[14:15]
	v_sub_nc_u32_e32 v1, 29, v8
	s_delay_alu instid0(VALU_DEP_2)
	v_and_b32_e32 v0, 7, v0
; %bb.1959:                             ;   in Loop: Header=BB302_10 Depth=1
	s_or_b32 exec_lo, exec_lo, s11
	s_delay_alu instid0(VALU_DEP_1) | instskip(NEXT) | instid1(VALU_DEP_3)
	v_dual_lshlrev_b32 v8, 8, v14 :: v_dual_lshlrev_b32 v0, 23, v0
	v_lshl_add_u32 v1, v1, 10, 0x2000
	s_delay_alu instid0(VALU_DEP_1) | instskip(NEXT) | instid1(VALU_DEP_1)
	v_and_or_b32 v1, 0x8000, v8, v1
	v_lshl_or_b32 v54, v1, 16, v0
.LBB302_1960:                           ;   in Loop: Header=BB302_10 Depth=1
	s_or_b32 exec_lo, exec_lo, s8
.LBB302_1961:                           ;   in Loop: Header=BB302_10 Depth=1
	s_delay_alu instid0(SALU_CYCLE_1)
	s_or_b32 exec_lo, exec_lo, s7
.LBB302_1962:                           ;   in Loop: Header=BB302_10 Depth=1
	s_delay_alu instid0(SALU_CYCLE_1) | instskip(SKIP_3) | instid1(VALU_DEP_2)
	s_or_b32 exec_lo, exec_lo, s6
	v_and_b32_e32 v0, 0xff, v5
	v_mov_b32_e32 v14, v5
	s_mov_b32 s6, exec_lo
	v_cmpx_ne_u16_e32 0, v0
	s_cbranch_execz .LBB302_1970
; %bb.1963:                             ;   in Loop: Header=BB302_10 Depth=1
	v_cmp_ne_u16_e64 s1, 0x80, v0
	v_mov_b32_e32 v0, 0x8000
	scratch_store_b32 off, v0, s32 offset:740 ; 4-byte Folded Spill
	s_wait_xcnt 0x0
	s_and_saveexec_b32 s7, s1
	s_cbranch_execz .LBB302_1969
; %bb.1964:                             ;   in Loop: Header=BB302_10 Depth=1
	v_and_b32_e32 v8, 0x7f, v5
	v_mov_b32_e32 v0, 0x7c01
	s_mov_b32 s8, exec_lo
	scratch_store_b32 off, v0, s32 offset:740 ; 4-byte Folded Spill
	s_wait_xcnt 0x0
	v_cmpx_ne_u32_e32 0x7f, v8
	s_cbranch_execz .LBB302_1968
; %bb.1965:                             ;   in Loop: Header=BB302_10 Depth=1
	v_dual_lshrrev_b32 v1, 3, v8 :: v_dual_bitop2_b32 v0, 7, v5 bitop3:0x40
	s_mov_b32 s11, exec_lo
	v_cmpx_gt_u32_e32 8, v8
; %bb.1966:                             ;   in Loop: Header=BB302_10 Depth=1
	s_delay_alu instid0(VALU_DEP_2) | instskip(NEXT) | instid1(VALU_DEP_1)
	v_clz_i32_u32_e32 v0, v0
	v_min_u32_e32 v8, 32, v0
	s_delay_alu instid0(VALU_DEP_1) | instskip(NEXT) | instid1(VALU_DEP_1)
	v_subrev_nc_u32_e32 v0, 28, v8
	v_lshlrev_b64_e32 v[0:1], v0, v[14:15]
	v_sub_nc_u32_e32 v1, 29, v8
	s_delay_alu instid0(VALU_DEP_2)
	v_and_b32_e32 v0, 7, v0
; %bb.1967:                             ;   in Loop: Header=BB302_10 Depth=1
	s_or_b32 exec_lo, exec_lo, s11
	s_delay_alu instid0(VALU_DEP_1) | instskip(NEXT) | instid1(VALU_DEP_3)
	v_dual_lshlrev_b32 v8, 8, v5 :: v_dual_lshlrev_b32 v0, 7, v0
	v_lshl_add_u32 v1, v1, 10, 0x2000
	s_delay_alu instid0(VALU_DEP_2) | instskip(NEXT) | instid1(VALU_DEP_2)
	v_and_b32_e32 v8, 0x8000, v8
	v_and_b32_e32 v1, 0xfc00, v1
	s_delay_alu instid0(VALU_DEP_1)
	v_or3_b32 v0, v8, v1, v0
	scratch_store_b32 off, v0, s32 offset:740 ; 4-byte Folded Spill
.LBB302_1968:                           ;   in Loop: Header=BB302_10 Depth=1
	s_wait_xcnt 0x0
	s_or_b32 exec_lo, exec_lo, s8
.LBB302_1969:                           ;   in Loop: Header=BB302_10 Depth=1
	s_delay_alu instid0(SALU_CYCLE_1)
	s_or_b32 exec_lo, exec_lo, s7
.LBB302_1970:                           ;   in Loop: Header=BB302_10 Depth=1
	s_delay_alu instid0(SALU_CYCLE_1)
	s_or_b32 exec_lo, exec_lo, s6
	v_lshrrev_b16 v14, 8, v14
	v_dual_mov_b32 v0, 0 :: v_dual_mov_b32 v10, 0
	s_mov_b32 s6, exec_lo
	scratch_store_b32 off, v0, s32 offset:744 ; 4-byte Folded Spill
	s_wait_xcnt 0x0
	v_cmpx_ne_u16_e32 0, v14
	s_cbranch_execz .LBB302_1978
; %bb.1971:                             ;   in Loop: Header=BB302_10 Depth=1
	v_bfrev_b32_e32 v10, 1
	s_mov_b32 s7, exec_lo
	v_cmpx_ne_u16_e32 0x80, v14
	s_cbranch_execz .LBB302_1977
; %bb.1972:                             ;   in Loop: Header=BB302_10 Depth=1
	v_and_b32_e32 v0, 0xffff, v14
	v_mov_b32_e32 v10, 0x7c010000
	s_mov_b32 s8, exec_lo
	s_delay_alu instid0(VALU_DEP_2) | instskip(NEXT) | instid1(VALU_DEP_1)
	v_and_b32_e32 v9, 0x7f, v0
	v_cmpx_ne_u32_e32 0x7f, v9
	s_cbranch_execz .LBB302_1976
; %bb.1973:                             ;   in Loop: Header=BB302_10 Depth=1
	v_dual_lshrrev_b32 v8, 3, v9 :: v_dual_bitop2_b32 v1, 7, v0 bitop3:0x40
	s_mov_b32 s11, exec_lo
	v_cmpx_gt_u32_e32 8, v9
; %bb.1974:                             ;   in Loop: Header=BB302_10 Depth=1
	s_delay_alu instid0(VALU_DEP_2) | instskip(NEXT) | instid1(VALU_DEP_1)
	v_clz_i32_u32_e32 v1, v1
	v_min_u32_e32 v1, 32, v1
	s_delay_alu instid0(VALU_DEP_1) | instskip(NEXT) | instid1(VALU_DEP_1)
	v_subrev_nc_u32_e32 v8, 28, v1
	v_lshlrev_b64_e32 v[12:13], v8, v[14:15]
	s_delay_alu instid0(VALU_DEP_1)
	v_dual_sub_nc_u32 v8, 29, v1 :: v_dual_bitop2_b32 v1, 7, v12 bitop3:0x40
; %bb.1975:                             ;   in Loop: Header=BB302_10 Depth=1
	s_or_b32 exec_lo, exec_lo, s11
	s_delay_alu instid0(VALU_DEP_1) | instskip(NEXT) | instid1(VALU_DEP_2)
	v_dual_lshlrev_b32 v0, 8, v0 :: v_dual_lshlrev_b32 v1, 23, v1
	v_lshl_add_u32 v8, v8, 10, 0x2000
	s_delay_alu instid0(VALU_DEP_1) | instskip(NEXT) | instid1(VALU_DEP_1)
	v_and_or_b32 v0, 0x8000, v0, v8
	v_lshl_or_b32 v10, v0, 16, v1
.LBB302_1976:                           ;   in Loop: Header=BB302_10 Depth=1
	s_or_b32 exec_lo, exec_lo, s8
.LBB302_1977:                           ;   in Loop: Header=BB302_10 Depth=1
	s_delay_alu instid0(SALU_CYCLE_1)
	s_or_b32 exec_lo, exec_lo, s7
.LBB302_1978:                           ;   in Loop: Header=BB302_10 Depth=1
	s_delay_alu instid0(SALU_CYCLE_1) | instskip(SKIP_2) | instid1(VALU_DEP_1)
	s_or_b32 exec_lo, exec_lo, s6
	v_lshrrev_b32_e32 v8, 16, v5
	s_mov_b32 s6, exec_lo
	v_and_b32_e32 v0, 0xff, v8
	s_delay_alu instid0(VALU_DEP_1)
	v_cmpx_ne_u16_e32 0, v0
	s_cbranch_execz .LBB302_1986
; %bb.1979:                             ;   in Loop: Header=BB302_10 Depth=1
	v_cmp_ne_u16_e64 s1, 0x80, v0
	v_mov_b32_e32 v0, 0x8000
	scratch_store_b32 off, v0, s32 offset:744 ; 4-byte Folded Spill
	s_wait_xcnt 0x0
	s_and_saveexec_b32 s7, s1
	s_cbranch_execz .LBB302_1985
; %bb.1980:                             ;   in Loop: Header=BB302_10 Depth=1
	v_bfe_u32 v9, v5, 16, 7
	v_mov_b32_e32 v0, 0x7c01
	s_mov_b32 s8, exec_lo
	scratch_store_b32 off, v0, s32 offset:744 ; 4-byte Folded Spill
	s_wait_xcnt 0x0
	v_cmpx_ne_u32_e32 0x7f, v9
	s_cbranch_execz .LBB302_1984
; %bb.1981:                             ;   in Loop: Header=BB302_10 Depth=1
	v_dual_lshrrev_b32 v1, 3, v9 :: v_dual_bitop2_b32 v0, 7, v8 bitop3:0x40
	s_mov_b32 s11, exec_lo
	v_cmpx_gt_u32_e32 8, v9
; %bb.1982:                             ;   in Loop: Header=BB302_10 Depth=1
	s_delay_alu instid0(VALU_DEP_2) | instskip(NEXT) | instid1(VALU_DEP_1)
	v_clz_i32_u32_e32 v0, v0
	v_min_u32_e32 v9, 32, v0
	s_delay_alu instid0(VALU_DEP_1) | instskip(NEXT) | instid1(VALU_DEP_1)
	v_subrev_nc_u32_e32 v0, 28, v9
	v_lshlrev_b64_e32 v[0:1], v0, v[8:9]
	s_delay_alu instid0(VALU_DEP_1)
	v_dual_sub_nc_u32 v1, 29, v9 :: v_dual_bitop2_b32 v0, 7, v0 bitop3:0x40
; %bb.1983:                             ;   in Loop: Header=BB302_10 Depth=1
	s_or_b32 exec_lo, exec_lo, s11
	v_lshlrev_b32_e32 v8, 8, v8
	s_delay_alu instid0(VALU_DEP_2) | instskip(NEXT) | instid1(VALU_DEP_3)
	v_lshl_add_u32 v1, v1, 10, 0x2000
	v_lshlrev_b32_e32 v0, 7, v0
	s_delay_alu instid0(VALU_DEP_3) | instskip(NEXT) | instid1(VALU_DEP_3)
	v_and_b32_e32 v8, 0x8000, v8
	v_and_b32_e32 v1, 0xfc00, v1
	s_delay_alu instid0(VALU_DEP_1)
	v_or3_b32 v0, v8, v1, v0
	scratch_store_b32 off, v0, s32 offset:744 ; 4-byte Folded Spill
.LBB302_1984:                           ;   in Loop: Header=BB302_10 Depth=1
	s_wait_xcnt 0x0
	s_or_b32 exec_lo, exec_lo, s8
.LBB302_1985:                           ;   in Loop: Header=BB302_10 Depth=1
	s_delay_alu instid0(SALU_CYCLE_1)
	s_or_b32 exec_lo, exec_lo, s7
.LBB302_1986:                           ;   in Loop: Header=BB302_10 Depth=1
	s_delay_alu instid0(SALU_CYCLE_1)
	s_or_b32 exec_lo, exec_lo, s6
	v_dual_mov_b32 v8, 0 :: v_dual_mov_b32 v13, 0
	s_mov_b32 s6, exec_lo
	v_cmpx_lt_u64_e64 s[2:3], v[4:5]
	s_cbranch_execz .LBB302_1994
; %bb.1987:                             ;   in Loop: Header=BB302_10 Depth=1
	v_lshrrev_b32_e32 v14, 24, v5
	v_bfrev_b32_e32 v13, 1
	s_mov_b32 s7, exec_lo
	s_delay_alu instid0(VALU_DEP_2)
	v_cmpx_ne_u32_e32 0x80, v14
	s_cbranch_execz .LBB302_1993
; %bb.1988:                             ;   in Loop: Header=BB302_10 Depth=1
	v_and_b32_e32 v4, 0x7f, v14
	v_mov_b32_e32 v13, 0x7c010000
	s_mov_b32 s8, exec_lo
	s_delay_alu instid0(VALU_DEP_2)
	v_cmpx_ne_u32_e32 0x7f, v4
	s_cbranch_execz .LBB302_1992
; %bb.1989:                             ;   in Loop: Header=BB302_10 Depth=1
	v_dual_lshrrev_b32 v1, 3, v4 :: v_dual_bitop2_b32 v0, 7, v14 bitop3:0x40
	s_mov_b32 s11, exec_lo
	v_cmpx_gt_u32_e32 8, v4
; %bb.1990:                             ;   in Loop: Header=BB302_10 Depth=1
	s_delay_alu instid0(VALU_DEP_2) | instskip(NEXT) | instid1(VALU_DEP_1)
	v_clz_i32_u32_e32 v0, v0
	v_min_u32_e32 v4, 32, v0
	s_delay_alu instid0(VALU_DEP_1) | instskip(NEXT) | instid1(VALU_DEP_1)
	v_subrev_nc_u32_e32 v0, 28, v4
	v_lshlrev_b64_e32 v[0:1], v0, v[14:15]
	v_sub_nc_u32_e32 v1, 29, v4
	s_delay_alu instid0(VALU_DEP_2)
	v_and_b32_e32 v0, 7, v0
; %bb.1991:                             ;   in Loop: Header=BB302_10 Depth=1
	s_or_b32 exec_lo, exec_lo, s11
	s_delay_alu instid0(VALU_DEP_1) | instskip(NEXT) | instid1(VALU_DEP_3)
	v_dual_lshlrev_b32 v4, 8, v14 :: v_dual_lshlrev_b32 v0, 23, v0
	v_lshl_add_u32 v1, v1, 10, 0x2000
	s_delay_alu instid0(VALU_DEP_1) | instskip(NEXT) | instid1(VALU_DEP_1)
	v_and_or_b32 v1, 0x8000, v4, v1
	v_lshl_or_b32 v13, v1, 16, v0
.LBB302_1992:                           ;   in Loop: Header=BB302_10 Depth=1
	s_or_b32 exec_lo, exec_lo, s8
.LBB302_1993:                           ;   in Loop: Header=BB302_10 Depth=1
	s_delay_alu instid0(SALU_CYCLE_1)
	s_or_b32 exec_lo, exec_lo, s7
.LBB302_1994:                           ;   in Loop: Header=BB302_10 Depth=1
	s_delay_alu instid0(SALU_CYCLE_1)
	s_or_b32 exec_lo, exec_lo, s6
	flat_load_b64 v[2:3], v[2:3] offset:7688
	s_mov_b32 s6, exec_lo
	s_wait_loadcnt_dscnt 0x0
	v_and_b32_e32 v0, 0xff, v2
	s_wait_xcnt 0x0
	s_delay_alu instid0(VALU_DEP_1)
	v_cmpx_ne_u16_e32 0, v0
	s_cbranch_execz .LBB302_2002
; %bb.1995:                             ;   in Loop: Header=BB302_10 Depth=1
	v_mov_b32_e32 v8, 0x8000
	s_mov_b32 s7, exec_lo
	v_cmpx_ne_u16_e32 0x80, v0
	s_cbranch_execz .LBB302_2001
; %bb.1996:                             ;   in Loop: Header=BB302_10 Depth=1
	v_and_b32_e32 v4, 0x7f, v2
	v_mov_b32_e32 v8, 0x7c01
	s_mov_b32 s8, exec_lo
	s_delay_alu instid0(VALU_DEP_2)
	v_cmpx_ne_u32_e32 0x7f, v4
	s_cbranch_execz .LBB302_2000
; %bb.1997:                             ;   in Loop: Header=BB302_10 Depth=1
	v_dual_lshrrev_b32 v1, 3, v4 :: v_dual_bitop2_b32 v0, 7, v2 bitop3:0x40
	s_mov_b32 s11, exec_lo
	v_cmpx_gt_u32_e32 8, v4
; %bb.1998:                             ;   in Loop: Header=BB302_10 Depth=1
	s_delay_alu instid0(VALU_DEP_2) | instskip(NEXT) | instid1(VALU_DEP_1)
	v_clz_i32_u32_e32 v0, v0
	v_min_u32_e32 v4, 32, v0
	s_delay_alu instid0(VALU_DEP_1) | instskip(NEXT) | instid1(VALU_DEP_1)
	v_subrev_nc_u32_e32 v0, 28, v4
	v_lshlrev_b64_e32 v[0:1], v0, v[2:3]
	v_sub_nc_u32_e32 v1, 29, v4
	s_delay_alu instid0(VALU_DEP_2)
	v_and_b32_e32 v0, 7, v0
; %bb.1999:                             ;   in Loop: Header=BB302_10 Depth=1
	s_or_b32 exec_lo, exec_lo, s11
	s_delay_alu instid0(VALU_DEP_1) | instskip(NEXT) | instid1(VALU_DEP_3)
	v_dual_lshlrev_b32 v4, 8, v2 :: v_dual_lshlrev_b32 v0, 7, v0
	v_lshl_add_u32 v1, v1, 10, 0x2000
	s_delay_alu instid0(VALU_DEP_2) | instskip(NEXT) | instid1(VALU_DEP_2)
	v_and_b32_e32 v4, 0x8000, v4
	v_and_b32_e32 v1, 0xfc00, v1
	s_delay_alu instid0(VALU_DEP_1)
	v_or3_b32 v8, v4, v1, v0
.LBB302_2000:                           ;   in Loop: Header=BB302_10 Depth=1
	s_or_b32 exec_lo, exec_lo, s8
.LBB302_2001:                           ;   in Loop: Header=BB302_10 Depth=1
	s_delay_alu instid0(SALU_CYCLE_1)
	s_or_b32 exec_lo, exec_lo, s7
.LBB302_2002:                           ;   in Loop: Header=BB302_10 Depth=1
	s_delay_alu instid0(SALU_CYCLE_1)
	s_or_b32 exec_lo, exec_lo, s6
	v_lshrrev_b16 v14, 8, v2
	v_dual_mov_b32 v0, 0 :: v_dual_mov_b32 v18, 0
	s_mov_b32 s6, exec_lo
	scratch_store_b32 off, v0, s32 offset:748 ; 4-byte Folded Spill
	s_wait_xcnt 0x0
	v_cmpx_ne_u16_e32 0, v14
	s_cbranch_execz .LBB302_2010
; %bb.2003:                             ;   in Loop: Header=BB302_10 Depth=1
	v_bfrev_b32_e32 v18, 1
	s_mov_b32 s7, exec_lo
	v_cmpx_ne_u16_e32 0x80, v14
	s_cbranch_execz .LBB302_2009
; %bb.2004:                             ;   in Loop: Header=BB302_10 Depth=1
	v_and_b32_e32 v0, 0xffff, v14
	v_mov_b32_e32 v18, 0x7c010000
	s_mov_b32 s8, exec_lo
	s_delay_alu instid0(VALU_DEP_2) | instskip(NEXT) | instid1(VALU_DEP_1)
	v_and_b32_e32 v9, 0x7f, v0
	v_cmpx_ne_u32_e32 0x7f, v9
	s_cbranch_execz .LBB302_2008
; %bb.2005:                             ;   in Loop: Header=BB302_10 Depth=1
	v_dual_lshrrev_b32 v5, 3, v9 :: v_dual_bitop2_b32 v4, 7, v0 bitop3:0x40
	s_mov_b32 s11, exec_lo
	v_cmpx_gt_u32_e32 8, v9
; %bb.2006:                             ;   in Loop: Header=BB302_10 Depth=1
	s_delay_alu instid0(VALU_DEP_2) | instskip(NEXT) | instid1(VALU_DEP_1)
	v_clz_i32_u32_e32 v1, v4
	v_min_u32_e32 v1, 32, v1
	s_delay_alu instid0(VALU_DEP_1) | instskip(NEXT) | instid1(VALU_DEP_1)
	v_subrev_nc_u32_e32 v4, 28, v1
	v_lshlrev_b64_e32 v[4:5], v4, v[14:15]
	s_delay_alu instid0(VALU_DEP_1)
	v_dual_sub_nc_u32 v5, 29, v1 :: v_dual_bitop2_b32 v4, 7, v4 bitop3:0x40
; %bb.2007:                             ;   in Loop: Header=BB302_10 Depth=1
	s_or_b32 exec_lo, exec_lo, s11
	v_lshlrev_b32_e32 v0, 8, v0
	s_delay_alu instid0(VALU_DEP_2) | instskip(NEXT) | instid1(VALU_DEP_1)
	v_lshl_add_u32 v1, v5, 10, 0x2000
	v_and_or_b32 v0, 0x8000, v0, v1
	v_lshlrev_b32_e32 v1, 23, v4
	s_delay_alu instid0(VALU_DEP_1)
	v_lshl_or_b32 v18, v0, 16, v1
.LBB302_2008:                           ;   in Loop: Header=BB302_10 Depth=1
	s_or_b32 exec_lo, exec_lo, s8
.LBB302_2009:                           ;   in Loop: Header=BB302_10 Depth=1
	s_delay_alu instid0(SALU_CYCLE_1)
	s_or_b32 exec_lo, exec_lo, s7
.LBB302_2010:                           ;   in Loop: Header=BB302_10 Depth=1
	s_delay_alu instid0(SALU_CYCLE_1) | instskip(SKIP_2) | instid1(VALU_DEP_1)
	s_or_b32 exec_lo, exec_lo, s6
	v_lshrrev_b32_e32 v4, 16, v2
	s_mov_b32 s6, exec_lo
	v_and_b32_e32 v0, 0xff, v4
	s_delay_alu instid0(VALU_DEP_1)
	v_cmpx_ne_u16_e32 0, v0
	s_cbranch_execz .LBB302_2018
; %bb.2011:                             ;   in Loop: Header=BB302_10 Depth=1
	v_cmp_ne_u16_e64 s1, 0x80, v0
	v_mov_b32_e32 v0, 0x8000
	scratch_store_b32 off, v0, s32 offset:748 ; 4-byte Folded Spill
	s_wait_xcnt 0x0
	s_and_saveexec_b32 s7, s1
	s_cbranch_execz .LBB302_2017
; %bb.2012:                             ;   in Loop: Header=BB302_10 Depth=1
	v_bfe_u32 v5, v2, 16, 7
	v_mov_b32_e32 v0, 0x7c01
	s_mov_b32 s8, exec_lo
	scratch_store_b32 off, v0, s32 offset:748 ; 4-byte Folded Spill
	s_wait_xcnt 0x0
	v_cmpx_ne_u32_e32 0x7f, v5
	s_cbranch_execz .LBB302_2016
; %bb.2013:                             ;   in Loop: Header=BB302_10 Depth=1
	v_dual_lshrrev_b32 v1, 3, v5 :: v_dual_bitop2_b32 v0, 7, v4 bitop3:0x40
	s_mov_b32 s11, exec_lo
	v_cmpx_gt_u32_e32 8, v5
; %bb.2014:                             ;   in Loop: Header=BB302_10 Depth=1
	s_delay_alu instid0(VALU_DEP_2) | instskip(NEXT) | instid1(VALU_DEP_1)
	v_clz_i32_u32_e32 v0, v0
	v_min_u32_e32 v5, 32, v0
	s_delay_alu instid0(VALU_DEP_1) | instskip(NEXT) | instid1(VALU_DEP_1)
	v_subrev_nc_u32_e32 v0, 28, v5
	v_lshlrev_b64_e32 v[0:1], v0, v[4:5]
	s_delay_alu instid0(VALU_DEP_1)
	v_dual_sub_nc_u32 v1, 29, v5 :: v_dual_bitop2_b32 v0, 7, v0 bitop3:0x40
; %bb.2015:                             ;   in Loop: Header=BB302_10 Depth=1
	s_or_b32 exec_lo, exec_lo, s11
	v_lshlrev_b32_e32 v4, 8, v4
	s_delay_alu instid0(VALU_DEP_2) | instskip(NEXT) | instid1(VALU_DEP_3)
	v_lshl_add_u32 v1, v1, 10, 0x2000
	v_lshlrev_b32_e32 v0, 7, v0
	s_delay_alu instid0(VALU_DEP_3) | instskip(NEXT) | instid1(VALU_DEP_3)
	v_and_b32_e32 v4, 0x8000, v4
	v_and_b32_e32 v1, 0xfc00, v1
	s_delay_alu instid0(VALU_DEP_1)
	v_or3_b32 v0, v4, v1, v0
	scratch_store_b32 off, v0, s32 offset:748 ; 4-byte Folded Spill
.LBB302_2016:                           ;   in Loop: Header=BB302_10 Depth=1
	s_wait_xcnt 0x0
	s_or_b32 exec_lo, exec_lo, s8
.LBB302_2017:                           ;   in Loop: Header=BB302_10 Depth=1
	s_delay_alu instid0(SALU_CYCLE_1)
	s_or_b32 exec_lo, exec_lo, s7
.LBB302_2018:                           ;   in Loop: Header=BB302_10 Depth=1
	s_delay_alu instid0(SALU_CYCLE_1)
	s_or_b32 exec_lo, exec_lo, s6
	v_dual_mov_b32 v12, 0 :: v_dual_mov_b32 v24, 0
	s_mov_b32 s6, exec_lo
	v_cmpx_lt_u32_e32 0xffffff, v2
	s_cbranch_execz .LBB302_2026
; %bb.2019:                             ;   in Loop: Header=BB302_10 Depth=1
	v_lshrrev_b32_e32 v14, 24, v2
	v_bfrev_b32_e32 v24, 1
	s_mov_b32 s7, exec_lo
	s_delay_alu instid0(VALU_DEP_2)
	v_cmpx_ne_u32_e32 0x80, v14
	s_cbranch_execz .LBB302_2025
; %bb.2020:                             ;   in Loop: Header=BB302_10 Depth=1
	v_and_b32_e32 v5, 0x7f, v14
	v_mov_b32_e32 v24, 0x7c010000
	s_mov_b32 s8, exec_lo
	s_delay_alu instid0(VALU_DEP_2)
	v_cmpx_ne_u32_e32 0x7f, v5
	s_cbranch_execz .LBB302_2024
; %bb.2021:                             ;   in Loop: Header=BB302_10 Depth=1
	v_dual_lshrrev_b32 v4, 3, v5 :: v_dual_bitop2_b32 v0, 7, v14 bitop3:0x40
	s_mov_b32 s11, exec_lo
	v_cmpx_gt_u32_e32 8, v5
; %bb.2022:                             ;   in Loop: Header=BB302_10 Depth=1
	s_delay_alu instid0(VALU_DEP_2) | instskip(NEXT) | instid1(VALU_DEP_1)
	v_clz_i32_u32_e32 v0, v0
	v_min_u32_e32 v0, 32, v0
	s_delay_alu instid0(VALU_DEP_1) | instskip(NEXT) | instid1(VALU_DEP_1)
	v_subrev_nc_u32_e32 v1, 28, v0
	v_lshlrev_b64_e32 v[34:35], v1, v[14:15]
	s_delay_alu instid0(VALU_DEP_1)
	v_dual_sub_nc_u32 v4, 29, v0 :: v_dual_bitop2_b32 v0, 7, v34 bitop3:0x40
; %bb.2023:                             ;   in Loop: Header=BB302_10 Depth=1
	s_or_b32 exec_lo, exec_lo, s11
	s_delay_alu instid0(VALU_DEP_1) | instskip(NEXT) | instid1(VALU_DEP_2)
	v_dual_lshlrev_b32 v1, 8, v14 :: v_dual_lshlrev_b32 v0, 23, v0
	v_lshl_add_u32 v4, v4, 10, 0x2000
	s_delay_alu instid0(VALU_DEP_1) | instskip(NEXT) | instid1(VALU_DEP_1)
	v_and_or_b32 v1, 0x8000, v1, v4
	v_lshl_or_b32 v24, v1, 16, v0
.LBB302_2024:                           ;   in Loop: Header=BB302_10 Depth=1
	s_or_b32 exec_lo, exec_lo, s8
.LBB302_2025:                           ;   in Loop: Header=BB302_10 Depth=1
	s_delay_alu instid0(SALU_CYCLE_1)
	s_or_b32 exec_lo, exec_lo, s7
.LBB302_2026:                           ;   in Loop: Header=BB302_10 Depth=1
	s_delay_alu instid0(SALU_CYCLE_1) | instskip(SKIP_3) | instid1(VALU_DEP_2)
	s_or_b32 exec_lo, exec_lo, s6
	v_and_b32_e32 v0, 0xff, v3
	v_mov_b32_e32 v14, v3
	s_mov_b32 s6, exec_lo
	v_cmpx_ne_u16_e32 0, v0
	s_cbranch_execz .LBB302_2034
; %bb.2027:                             ;   in Loop: Header=BB302_10 Depth=1
	v_mov_b32_e32 v12, 0x8000
	s_mov_b32 s7, exec_lo
	v_cmpx_ne_u16_e32 0x80, v0
	s_cbranch_execz .LBB302_2033
; %bb.2028:                             ;   in Loop: Header=BB302_10 Depth=1
	v_and_b32_e32 v5, 0x7f, v3
	v_mov_b32_e32 v12, 0x7c01
	s_mov_b32 s8, exec_lo
	s_delay_alu instid0(VALU_DEP_2)
	v_cmpx_ne_u32_e32 0x7f, v5
	s_cbranch_execz .LBB302_2032
; %bb.2029:                             ;   in Loop: Header=BB302_10 Depth=1
	v_dual_lshrrev_b32 v4, 3, v5 :: v_dual_bitop2_b32 v0, 7, v3 bitop3:0x40
	s_mov_b32 s11, exec_lo
	v_cmpx_gt_u32_e32 8, v5
; %bb.2030:                             ;   in Loop: Header=BB302_10 Depth=1
	s_delay_alu instid0(VALU_DEP_2) | instskip(NEXT) | instid1(VALU_DEP_1)
	v_clz_i32_u32_e32 v0, v0
	v_min_u32_e32 v0, 32, v0
	s_delay_alu instid0(VALU_DEP_1) | instskip(NEXT) | instid1(VALU_DEP_1)
	v_subrev_nc_u32_e32 v1, 28, v0
	v_lshlrev_b64_e32 v[34:35], v1, v[14:15]
	s_delay_alu instid0(VALU_DEP_1)
	v_dual_sub_nc_u32 v4, 29, v0 :: v_dual_bitop2_b32 v0, 7, v34 bitop3:0x40
; %bb.2031:                             ;   in Loop: Header=BB302_10 Depth=1
	s_or_b32 exec_lo, exec_lo, s11
	s_delay_alu instid0(VALU_DEP_1) | instskip(NEXT) | instid1(VALU_DEP_2)
	v_dual_lshlrev_b32 v1, 8, v3 :: v_dual_lshlrev_b32 v0, 7, v0
	v_lshl_add_u32 v4, v4, 10, 0x2000
	s_delay_alu instid0(VALU_DEP_2) | instskip(NEXT) | instid1(VALU_DEP_2)
	v_and_b32_e32 v1, 0x8000, v1
	v_and_b32_e32 v4, 0xfc00, v4
	s_delay_alu instid0(VALU_DEP_1)
	v_or3_b32 v12, v1, v4, v0
.LBB302_2032:                           ;   in Loop: Header=BB302_10 Depth=1
	s_or_b32 exec_lo, exec_lo, s8
.LBB302_2033:                           ;   in Loop: Header=BB302_10 Depth=1
	s_delay_alu instid0(SALU_CYCLE_1)
	s_or_b32 exec_lo, exec_lo, s7
.LBB302_2034:                           ;   in Loop: Header=BB302_10 Depth=1
	s_delay_alu instid0(SALU_CYCLE_1) | instskip(SKIP_3) | instid1(VALU_DEP_2)
	s_or_b32 exec_lo, exec_lo, s6
	v_lshrrev_b16 v14, 8, v14
	v_dual_mov_b32 v11, 0 :: v_dual_mov_b32 v20, 0
	s_mov_b32 s6, exec_lo
	v_cmpx_ne_u16_e32 0, v14
	s_cbranch_execz .LBB302_2042
; %bb.2035:                             ;   in Loop: Header=BB302_10 Depth=1
	v_bfrev_b32_e32 v20, 1
	s_mov_b32 s7, exec_lo
	v_cmpx_ne_u16_e32 0x80, v14
	s_cbranch_execz .LBB302_2041
; %bb.2036:                             ;   in Loop: Header=BB302_10 Depth=1
	v_and_b32_e32 v4, 0xffff, v14
	v_mov_b32_e32 v20, 0x7c010000
	s_mov_b32 s8, exec_lo
	s_delay_alu instid0(VALU_DEP_2) | instskip(NEXT) | instid1(VALU_DEP_1)
	v_and_b32_e32 v31, 0x7f, v4
	v_cmpx_ne_u32_e32 0x7f, v31
	s_cbranch_execz .LBB302_2040
; %bb.2037:                             ;   in Loop: Header=BB302_10 Depth=1
	v_dual_lshrrev_b32 v9, 3, v31 :: v_dual_bitop2_b32 v5, 7, v4 bitop3:0x40
	s_mov_b32 s11, exec_lo
	v_cmpx_gt_u32_e32 8, v31
; %bb.2038:                             ;   in Loop: Header=BB302_10 Depth=1
	s_delay_alu instid0(VALU_DEP_2) | instskip(NEXT) | instid1(VALU_DEP_1)
	v_clz_i32_u32_e32 v0, v5
	v_min_u32_e32 v0, 32, v0
	s_delay_alu instid0(VALU_DEP_1) | instskip(NEXT) | instid1(VALU_DEP_1)
	v_subrev_nc_u32_e32 v1, 28, v0
	v_lshlrev_b64_e32 v[34:35], v1, v[14:15]
	s_delay_alu instid0(VALU_DEP_1)
	v_dual_sub_nc_u32 v9, 29, v0 :: v_dual_bitop2_b32 v5, 7, v34 bitop3:0x40
; %bb.2039:                             ;   in Loop: Header=BB302_10 Depth=1
	s_or_b32 exec_lo, exec_lo, s11
	v_lshlrev_b32_e32 v0, 8, v4
	s_delay_alu instid0(VALU_DEP_2) | instskip(NEXT) | instid1(VALU_DEP_1)
	v_lshl_add_u32 v1, v9, 10, 0x2000
	v_and_or_b32 v0, 0x8000, v0, v1
	v_lshlrev_b32_e32 v1, 23, v5
	s_delay_alu instid0(VALU_DEP_1)
	v_lshl_or_b32 v20, v0, 16, v1
.LBB302_2040:                           ;   in Loop: Header=BB302_10 Depth=1
	s_or_b32 exec_lo, exec_lo, s8
.LBB302_2041:                           ;   in Loop: Header=BB302_10 Depth=1
	s_delay_alu instid0(SALU_CYCLE_1)
	s_or_b32 exec_lo, exec_lo, s7
.LBB302_2042:                           ;   in Loop: Header=BB302_10 Depth=1
	s_delay_alu instid0(SALU_CYCLE_1) | instskip(SKIP_2) | instid1(VALU_DEP_1)
	s_or_b32 exec_lo, exec_lo, s6
	v_lshrrev_b32_e32 v4, 16, v3
	s_mov_b32 s6, exec_lo
	v_and_b32_e32 v5, 0xff, v4
	s_delay_alu instid0(VALU_DEP_1)
	v_cmpx_ne_u16_e32 0, v5
	s_cbranch_execz .LBB302_2050
; %bb.2043:                             ;   in Loop: Header=BB302_10 Depth=1
	v_mov_b32_e32 v11, 0x8000
	s_mov_b32 s7, exec_lo
	v_cmpx_ne_u16_e32 0x80, v5
	s_cbranch_execz .LBB302_2049
; %bb.2044:                             ;   in Loop: Header=BB302_10 Depth=1
	v_bfe_u32 v9, v3, 16, 7
	v_mov_b32_e32 v11, 0x7c01
	s_mov_b32 s8, exec_lo
	s_delay_alu instid0(VALU_DEP_2)
	v_cmpx_ne_u32_e32 0x7f, v9
	s_cbranch_execz .LBB302_2048
; %bb.2045:                             ;   in Loop: Header=BB302_10 Depth=1
	v_dual_lshrrev_b32 v5, 3, v9 :: v_dual_bitop2_b32 v0, 7, v4 bitop3:0x40
	s_mov_b32 s11, exec_lo
	v_cmpx_gt_u32_e32 8, v9
; %bb.2046:                             ;   in Loop: Header=BB302_10 Depth=1
	s_delay_alu instid0(VALU_DEP_2) | instskip(NEXT) | instid1(VALU_DEP_1)
	v_clz_i32_u32_e32 v0, v0
	v_min_u32_e32 v0, 32, v0
	s_delay_alu instid0(VALU_DEP_1) | instskip(NEXT) | instid1(VALU_DEP_1)
	v_subrev_nc_u32_e32 v1, 28, v0
	v_lshlrev_b64_e32 v[34:35], v1, v[4:5]
	s_delay_alu instid0(VALU_DEP_1)
	v_dual_sub_nc_u32 v5, 29, v0 :: v_dual_bitop2_b32 v0, 7, v34 bitop3:0x40
; %bb.2047:                             ;   in Loop: Header=BB302_10 Depth=1
	s_or_b32 exec_lo, exec_lo, s11
	v_lshlrev_b32_e32 v1, 8, v4
	s_delay_alu instid0(VALU_DEP_2) | instskip(NEXT) | instid1(VALU_DEP_3)
	v_lshl_add_u32 v4, v5, 10, 0x2000
	v_lshlrev_b32_e32 v0, 7, v0
	s_delay_alu instid0(VALU_DEP_3) | instskip(NEXT) | instid1(VALU_DEP_3)
	v_and_b32_e32 v1, 0x8000, v1
	v_and_b32_e32 v4, 0xfc00, v4
	s_delay_alu instid0(VALU_DEP_1)
	v_or3_b32 v11, v1, v4, v0
.LBB302_2048:                           ;   in Loop: Header=BB302_10 Depth=1
	s_or_b32 exec_lo, exec_lo, s8
.LBB302_2049:                           ;   in Loop: Header=BB302_10 Depth=1
	s_delay_alu instid0(SALU_CYCLE_1)
	s_or_b32 exec_lo, exec_lo, s7
.LBB302_2050:                           ;   in Loop: Header=BB302_10 Depth=1
	s_delay_alu instid0(SALU_CYCLE_1)
	s_or_b32 exec_lo, exec_lo, s6
	v_dual_mov_b32 v67, v69 :: v_dual_mov_b32 v9, 0
	v_cmp_lt_u64_e64 s1, s[2:3], v[2:3]
	s_mov_b32 s6, exec_lo
	v_dual_mov_b32 v52, v33 :: v_dual_mov_b32 v0, v36
	v_mov_b32_e32 v1, v37
	s_and_b32 s1, s6, s1
	s_delay_alu instid0(SALU_CYCLE_1)
	s_mov_b32 exec_lo, s1
	s_cbranch_execz .LBB302_9
; %bb.2051:                             ;   in Loop: Header=BB302_10 Depth=1
	v_lshrrev_b32_e32 v14, 24, v3
	v_bfrev_b32_e32 v9, 1
	s_mov_b32 s7, exec_lo
	s_delay_alu instid0(VALU_DEP_2)
	v_cmpx_ne_u32_e32 0x80, v14
	s_cbranch_execz .LBB302_8
; %bb.2052:                             ;   in Loop: Header=BB302_10 Depth=1
	v_and_b32_e32 v4, 0x7f, v14
	v_mov_b32_e32 v9, 0x7c010000
	s_mov_b32 s8, exec_lo
	s_delay_alu instid0(VALU_DEP_2)
	v_cmpx_ne_u32_e32 0x7f, v4
	s_cbranch_execz .LBB302_7
; %bb.2053:                             ;   in Loop: Header=BB302_10 Depth=1
	v_dual_lshrrev_b32 v3, 3, v4 :: v_dual_bitop2_b32 v2, 7, v14 bitop3:0x40
	s_mov_b32 s11, exec_lo
	v_cmpx_gt_u32_e32 8, v4
	s_cbranch_execz .LBB302_6
; %bb.2054:                             ;   in Loop: Header=BB302_10 Depth=1
	s_delay_alu instid0(VALU_DEP_2) | instskip(NEXT) | instid1(VALU_DEP_1)
	v_clz_i32_u32_e32 v0, v2
	v_min_u32_e32 v0, 32, v0
	s_delay_alu instid0(VALU_DEP_1) | instskip(NEXT) | instid1(VALU_DEP_1)
	v_subrev_nc_u32_e32 v1, 28, v0
	v_lshlrev_b64_e32 v[2:3], v1, v[14:15]
	s_delay_alu instid0(VALU_DEP_1)
	v_dual_sub_nc_u32 v3, 29, v0 :: v_dual_bitop2_b32 v2, 7, v2 bitop3:0x40
	s_branch .LBB302_6
.LBB302_2055:
	s_or_b32 exec_lo, exec_lo, s5
	s_clause 0x1
	scratch_load_b32 v10, off, s32 offset:924
	scratch_load_b64 v[22:23], off, s32 offset:928
.LBB302_2056:
	s_wait_xcnt 0x0
	s_or_b32 exec_lo, exec_lo, s4
	v_mbcnt_lo_u32_b32 v0, -1, 0
	s_delay_alu instid0(VALU_DEP_1) | instskip(SKIP_1) | instid1(VALU_DEP_2)
	v_dual_max_num_f32 v4, v11, v11 :: v_dual_bitop2_b32 v1, 16, v0 bitop3:0x14
	v_xor_b32_e32 v3, 8, v0
	v_cmp_gt_i32_e32 vcc_lo, 32, v1
	v_cndmask_b32_e32 v1, v0, v1, vcc_lo
	s_delay_alu instid0(VALU_DEP_3) | instskip(NEXT) | instid1(VALU_DEP_2)
	v_cmp_gt_i32_e32 vcc_lo, 32, v3
	v_dual_lshlrev_b32 v1, 2, v1 :: v_dual_cndmask_b32 v3, v0, v3, vcc_lo
	ds_bpermute_b32 v2, v1, v11
	s_wait_dscnt 0x0
	v_dual_max_num_f32 v5, v2, v2 :: v_dual_lshlrev_b32 v2, 2, v3
	s_delay_alu instid0(VALU_DEP_1) | instskip(SKIP_4) | instid1(VALU_DEP_1)
	v_dual_max_num_f32 v4, v4, v5 :: v_dual_bitop2_b32 v5, 4, v0 bitop3:0x14
	ds_bpermute_b32 v3, v2, v4
	v_cmp_gt_i32_e32 vcc_lo, 32, v5
	s_wait_dscnt 0x0
	v_dual_cndmask_b32 v5, v0, v5 :: v_dual_max_num_f32 v6, v3, v3
	v_dual_max_num_f32 v4, v4, v6 :: v_dual_lshlrev_b32 v3, 2, v5
	ds_bpermute_b32 v5, v3, v4
	s_wait_dscnt 0x0
	v_dual_max_num_f32 v5, v5, v5 :: v_dual_bitop2_b32 v6, 2, v0 bitop3:0x14
	s_delay_alu instid0(VALU_DEP_1) | instskip(NEXT) | instid1(VALU_DEP_2)
	v_cmp_gt_i32_e32 vcc_lo, 32, v6
	v_max_num_f32_e32 v4, v4, v5
	v_cndmask_b32_e32 v6, v0, v6, vcc_lo
	s_delay_alu instid0(VALU_DEP_1) | instskip(SKIP_3) | instid1(VALU_DEP_1)
	v_lshlrev_b32_e32 v97, 2, v6
	ds_bpermute_b32 v5, v97, v4
	s_wait_dscnt 0x0
	v_dual_max_num_f32 v5, v5, v5 :: v_dual_bitop2_b32 v6, 1, v0 bitop3:0x14
	v_cmp_gt_i32_e32 vcc_lo, 32, v6
	v_cndmask_b32_e32 v6, v0, v6, vcc_lo
	s_delay_alu instid0(VALU_DEP_3)
	v_max_num_f32_e32 v0, v4, v5
	scratch_load_b32 v4, off, s32 offset:872 ; 4-byte Folded Reload
	s_wait_loadcnt 0x0
	v_cmp_eq_u32_e32 vcc_lo, 0, v4
	scratch_load_b32 v4, off, s32 offset:876 ; 4-byte Folded Reload
	s_wait_loadcnt 0x0
	v_dual_lshlrev_b32 v4, 2, v4 :: v_dual_lshlrev_b32 v96, 2, v6
	ds_bpermute_b32 v5, v96, v0
	s_wait_xcnt 0x0
	s_and_saveexec_b32 s1, vcc_lo
	s_cbranch_execz .LBB302_2058
; %bb.2057:
	s_wait_dscnt 0x0
	v_dual_max_num_f32 v5, v5, v5 :: v_dual_max_num_f32 v0, v0, v0
	s_delay_alu instid0(VALU_DEP_1)
	v_max_num_f32_e32 v0, v0, v5
	ds_store_b32 v4, v0 offset:512
.LBB302_2058:
	s_or_b32 exec_lo, exec_lo, s1
	scratch_load_b32 v0, off, s32 offset:872 ; 4-byte Folded Reload
	s_wait_storecnt 0x0
	s_wait_loadcnt_dscnt 0x0
	s_barrier_signal -1
	s_barrier_wait -1
	v_cmp_gt_u32_e64 s1, 4, v0
	v_mov_b32_e32 v0, 0xff7fffff
	s_and_saveexec_b32 s2, s1
; %bb.2059:
	ds_load_b32 v0, v10 offset:512
; %bb.2060:
	s_or_b32 exec_lo, exec_lo, s2
	s_wait_dscnt 0x0
	ds_bpermute_b32 v5, v97, v0
	v_max_num_f32_e32 v0, v0, v0
	s_clause 0x1
	scratch_load_b64 v[8:9], off, s32 offset:808
	scratch_load_b32 v7, off, s32 offset:868
	s_wait_dscnt 0x0
	v_max_num_f32_e32 v5, v5, v5
	s_delay_alu instid0(VALU_DEP_1) | instskip(SKIP_3) | instid1(VALU_DEP_1)
	v_max_num_f32_e32 v0, v0, v5
	ds_bpermute_b32 v5, v96, v0
	s_wait_dscnt 0x0
	v_max_num_f32_e32 v5, v5, v5
	v_dual_max_num_f32 v0, v0, v5 :: v_dual_mov_b32 v5, 0
	ds_bpermute_b32 v6, v5, v0
	scratch_load_b32 v0, off, s32 offset:192 ; 4-byte Folded Reload
	s_wait_loadcnt 0x0
	v_lshlrev_b32_e32 v0, 5, v0
	s_delay_alu instid0(VALU_DEP_1) | instskip(NEXT) | instid1(VALU_DEP_1)
	v_min_i32_e32 v0, v0, v8
	v_cmp_lt_i32_e64 s2, v7, v0
	s_and_saveexec_b32 s4, s2
	s_cbranch_execz .LBB302_2064
; %bb.2061:
	scratch_load_b32 v8, off, s32 offset:868 ; 4-byte Folded Reload
	s_ashr_i32 s15, s14, 31
	v_mov_b32_e32 v5, 0
	s_lshl_b64 s[6:7], s[14:15], 2
	s_mov_b32 s5, 0
	s_add_nc_u64 s[6:7], s[12:13], s[6:7]
	s_load_b32 s3, s[6:7], 0x0
	s_wait_loadcnt 0x0
	s_wait_kmcnt 0x0
	v_lshl_add_u32 v7, v8, 2, s3
.LBB302_2062:                           ; =>This Inner Loop Header: Depth=1
	ds_load_b32 v9, v7
	v_add_nc_u32_e32 v8, 0x80, v8
	s_delay_alu instid0(VALU_DEP_1) | instskip(SKIP_3) | instid1(VALU_DEP_1)
	v_cmp_ge_i32_e64 s3, v8, v0
	s_or_b32 s5, s3, s5
	s_wait_dscnt 0x0
	v_sub_f32_e32 v9, v9, v6
	v_mul_f32_e32 v9, 0x3fb8aa3b, v9
	s_delay_alu instid0(VALU_DEP_1)
	v_exp_f32_e32 v9, v9
	ds_store_b32 v7, v9
	v_nop
	v_add_f32_e32 v5, v5, v9
	v_add_nc_u32_e32 v7, 0x200, v7
	s_and_not1_b32 exec_lo, exec_lo, s5
	s_cbranch_execnz .LBB302_2062
; %bb.2063:
	s_or_b32 exec_lo, exec_lo, s5
.LBB302_2064:
	s_delay_alu instid0(SALU_CYCLE_1)
	s_or_b32 exec_lo, exec_lo, s4
	ds_bpermute_b32 v1, v1, v5
	s_wait_dscnt 0x0
	v_add_f32_e32 v1, v5, v1
	ds_bpermute_b32 v2, v2, v1
	s_wait_dscnt 0x0
	v_add_f32_e32 v1, v1, v2
	;; [unrolled: 3-line block ×5, first 2 shown]
	s_and_saveexec_b32 s3, vcc_lo
; %bb.2065:
	ds_store_b32 v4, v1 offset:528
; %bb.2066:
	s_or_b32 exec_lo, exec_lo, s3
	s_wait_dscnt 0x0
	s_barrier_signal -1
	s_barrier_wait -1
	s_and_saveexec_b32 s3, s1
; %bb.2067:
	ds_load_b32 v1, v10 offset:528
; %bb.2068:
	s_or_b32 exec_lo, exec_lo, s3
	s_wait_dscnt 0x0
	ds_bpermute_b32 v2, v97, v1
	s_wait_dscnt 0x0
	v_add_f32_e32 v1, v1, v2
	ds_bpermute_b32 v2, v96, v1
	s_wait_dscnt 0x0
	v_dual_add_f32 v1, v1, v2 :: v_dual_mov_b32 v2, 0
	ds_bpermute_b32 v1, v2, v1
	s_and_saveexec_b32 s1, s2
	s_cbranch_execz .LBB302_2081
; %bb.2069:
	s_wait_dscnt 0x0
	v_add_f32_e32 v1, 0x358637bd, v1
	s_mov_b32 s3, -1
	s_mov_b32 s2, exec_lo
	s_delay_alu instid0(VALU_DEP_1) | instskip(NEXT) | instid1(VALU_DEP_1)
	v_div_scale_f32 v2, null, v1, v1, 1.0
	v_rcp_f32_e32 v4, v2
	v_nop
	s_delay_alu instid0(TRANS32_DEP_1) | instskip(NEXT) | instid1(VALU_DEP_1)
	v_fma_f32 v3, -v2, v4, 1.0
	v_fmac_f32_e32 v4, v3, v4
	v_div_scale_f32 v5, vcc_lo, 1.0, v1, 1.0
	s_delay_alu instid0(VALU_DEP_1) | instskip(NEXT) | instid1(VALU_DEP_1)
	v_mul_f32_e32 v6, v5, v4
	v_fma_f32 v3, -v2, v6, v5
	s_delay_alu instid0(VALU_DEP_1) | instskip(NEXT) | instid1(VALU_DEP_1)
	v_fmac_f32_e32 v6, v3, v4
	v_fma_f32 v2, -v2, v6, v5
	scratch_load_b32 v5, off, s32 offset:868 ; 4-byte Folded Reload
	v_div_fmas_f32 v2, v2, v4, v6
	s_delay_alu instid0(VALU_DEP_1) | instskip(SKIP_3) | instid1(VALU_DEP_2)
	v_div_fixup_f32 v2, v2, v1, 1.0
	s_wait_loadcnt 0x0
	v_xad_u32 v3, v5, -1, v0
	v_mov_b32_e32 v1, v5
	v_cmpx_lt_u32_e32 0x7f, v3
	s_cbranch_execz .LBB302_2078
; %bb.2070:
	v_dual_lshrrev_b32 v1, 7, v3 :: v_dual_mov_b32 v3, v2
	s_delay_alu instid0(VALU_DEP_1) | instskip(NEXT) | instid1(VALU_DEP_1)
	v_dual_mov_b32 v7, 0 :: v_dual_add_nc_u32 v4, -1, v1
	v_lshrrev_b32_e32 v5, 1, v4
	v_cmp_lt_u32_e32 vcc_lo, 13, v4
	s_delay_alu instid0(VALU_DEP_2)
	v_add_nc_u32_e32 v4, 1, v5
	s_and_saveexec_b32 s3, vcc_lo
	s_cbranch_execz .LBB302_2074
; %bb.2071:
	scratch_load_b32 v6, off, s32 offset:868 ; 4-byte Folded Reload
	s_ashr_i32 s15, s14, 31
	v_and_b32_e32 v5, -8, v4
	s_lshl_b64 s[4:5], s[14:15], 2
	s_delay_alu instid0(SALU_CYCLE_1)
	s_add_nc_u64 s[4:5], s[12:13], s[4:5]
	s_load_b32 s4, s[4:5], 0x0
	s_wait_xcnt 0x0
	s_mov_b32 s5, 0
	s_wait_loadcnt 0x0
	s_wait_kmcnt 0x0
	v_lshl_add_u32 v6, v6, 2, s4
	s_mov_b32 s4, 0
.LBB302_2072:                           ; =>This Inner Loop Header: Depth=1
	ds_load_2addr_stride64_b32 v[8:9], v6 offset1:2
	ds_load_2addr_stride64_b32 v[10:11], v6 offset0:4 offset1:6
	ds_load_2addr_stride64_b32 v[12:13], v6 offset0:8 offset1:10
	;; [unrolled: 1-line block ×7, first 2 shown]
	s_add_co_i32 s5, s5, 16
	s_delay_alu instid0(SALU_CYCLE_1) | instskip(NEXT) | instid1(VALU_DEP_1)
	v_dual_add_nc_u32 v5, -8, v5 :: v_dual_mov_b32 v7, s5
	v_cmp_eq_u32_e32 vcc_lo, 0, v5
	s_or_b32 s4, vcc_lo, s4
	s_wait_dscnt 0x7
	v_pk_mul_f32 v[8:9], v[2:3], v[8:9]
	s_wait_dscnt 0x6
	v_pk_mul_f32 v[10:11], v[2:3], v[10:11]
	;; [unrolled: 2-line block ×8, first 2 shown]
	ds_store_2addr_stride64_b32 v6, v8, v9 offset1:2
	ds_store_2addr_stride64_b32 v6, v10, v11 offset0:4 offset1:6
	ds_store_2addr_stride64_b32 v6, v12, v13 offset0:8 offset1:10
	;; [unrolled: 1-line block ×7, first 2 shown]
	v_add_nc_u32_e32 v6, 0x2000, v6
	s_and_not1_b32 exec_lo, exec_lo, s4
	s_cbranch_execnz .LBB302_2072
; %bb.2073:
	s_or_b32 exec_lo, exec_lo, s4
.LBB302_2074:
	s_delay_alu instid0(SALU_CYCLE_1) | instskip(NEXT) | instid1(VALU_DEP_1)
	s_or_b32 exec_lo, exec_lo, s3
	v_and_b32_e32 v4, 7, v4
	s_mov_b32 s4, 0
	s_mov_b32 s3, exec_lo
	s_delay_alu instid0(VALU_DEP_1)
	v_cmpx_ne_u32_e32 0, v4
	s_cbranch_execz .LBB302_2077
; %bb.2075:
	scratch_load_b32 v6, off, s32 offset:868 ; 4-byte Folded Reload
	s_ashr_i32 s15, s14, 31
	v_lshlrev_b32_e32 v5, 9, v7
	s_lshl_b64 s[6:7], s[14:15], 2
	s_delay_alu instid0(SALU_CYCLE_1) | instskip(SKIP_4) | instid1(VALU_DEP_1)
	s_add_nc_u64 s[6:7], s[12:13], s[6:7]
	s_load_b32 s5, s[6:7], 0x0
	s_wait_loadcnt 0x0
	v_lshlrev_b32_e32 v6, 2, v6
	s_wait_kmcnt 0x0
	v_add3_u32 v5, v5, v6, s5
.LBB302_2076:                           ; =>This Inner Loop Header: Depth=1
	ds_load_2addr_stride64_b32 v[6:7], v5 offset1:2
	v_add_nc_u32_e32 v4, -1, v4
	s_delay_alu instid0(VALU_DEP_1)
	v_cmp_eq_u32_e32 vcc_lo, 0, v4
	s_or_b32 s4, vcc_lo, s4
	s_wait_dscnt 0x0
	v_pk_mul_f32 v[6:7], v[2:3], v[6:7]
	ds_store_2addr_stride64_b32 v5, v6, v7 offset1:2
	v_add_nc_u32_e32 v5, 0x400, v5
	s_and_not1_b32 exec_lo, exec_lo, s4
	s_cbranch_execnz .LBB302_2076
.LBB302_2077:
	s_or_b32 exec_lo, exec_lo, s3
	v_add_nc_u32_e32 v1, 1, v1
	s_delay_alu instid0(VALU_DEP_1) | instskip(NEXT) | instid1(VALU_DEP_1)
	v_and_b32_e32 v3, 0x3fffffe, v1
	v_cmp_ne_u32_e32 vcc_lo, v1, v3
	scratch_load_b32 v1, off, s32 offset:868 ; 4-byte Folded Reload
	s_or_not1_b32 s3, vcc_lo, exec_lo
	s_wait_loadcnt 0x0
	v_lshl_add_u32 v1, v3, 7, v1
.LBB302_2078:
	s_or_b32 exec_lo, exec_lo, s2
	s_delay_alu instid0(SALU_CYCLE_1)
	s_and_b32 exec_lo, exec_lo, s3
	s_cbranch_execz .LBB302_2081
; %bb.2079:
	s_ashr_i32 s15, s14, 31
	s_delay_alu instid0(SALU_CYCLE_1) | instskip(NEXT) | instid1(SALU_CYCLE_1)
	s_lshl_b64 s[2:3], s[14:15], 2
	s_add_nc_u64 s[2:3], s[12:13], s[2:3]
	s_load_b32 s2, s[2:3], 0x0
	s_wait_kmcnt 0x0
	v_lshl_add_u32 v3, v1, 2, s2
	s_mov_b32 s2, 0
.LBB302_2080:                           ; =>This Inner Loop Header: Depth=1
	ds_load_b32 v4, v3
	s_wait_dscnt 0x0
	v_dual_mul_f32 v4, v2, v4 :: v_dual_add_nc_u32 v1, 0x80, v1
	s_delay_alu instid0(VALU_DEP_1) | instskip(SKIP_3) | instid1(SALU_CYCLE_1)
	v_cmp_ge_i32_e32 vcc_lo, v1, v0
	ds_store_b32 v3, v4
	v_add_nc_u32_e32 v3, 0x200, v3
	s_or_b32 s2, vcc_lo, s2
	s_and_not1_b32 exec_lo, exec_lo, s2
	s_cbranch_execnz .LBB302_2080
.LBB302_2081:
	s_or_b32 exec_lo, exec_lo, s1
	s_wait_dscnt 0x0
	s_barrier_signal -1
	s_barrier_wait -1
	s_and_saveexec_b32 s1, s0
	s_delay_alu instid0(SALU_CYCLE_1)
	s_xor_b32 s0, exec_lo, s1
	s_cbranch_execz .LBB302_2083
; %bb.2082:
	s_ashr_i32 s15, s14, 31
                                        ; implicit-def: $vgpr0
	s_clause 0x2
	scratch_store_b64 off, v[0:1], s32 offset:808
	; meta instruction
	; meta instruction
	;; [unrolled: 1-line block ×3, first 2 shown]
	scratch_store_b64 off, v[0:1], s32 offset:816
	; meta instruction
	; meta instruction
	;; [unrolled: 1-line block ×8, first 2 shown]
	scratch_store_b64 off, v[0:1], s32 offset:880
                                        ; implicit-def: $vgpr0
                                        ; kill: killed $vgpr0
.LBB302_2083:
	s_wait_xcnt 0x0
	s_or_saveexec_b32 s11, s0
	scratch_load_b32 v0, off, s32 offset:868 ; 4-byte Folded Reload
	v_mov_b64_e32 v[64:65], s[14:15]
	v_dual_mov_b32 v9, 0 :: v_dual_mov_b32 v8, 0
	v_dual_mov_b32 v33, 0 :: v_dual_mov_b32 v32, 0
	;; [unrolled: 1-line block ×16, first 2 shown]
	s_wait_xcnt 0x0
	s_xor_b32 exec_lo, exec_lo, s11
	s_cbranch_execz .LBB302_4199
; %bb.2084:
	s_clause 0x2
	scratch_load_b64 v[2:3], off, s32 offset:916 th:TH_LOAD_LU
	scratch_load_b64 v[6:7], off, s32 offset:880 th:TH_LOAD_LU
	scratch_load_b32 v1, off, s32 offset:904 th:TH_LOAD_LU
	s_wait_loadcnt 0x3
	v_dual_lshlrev_b32 v5, 3, v0 :: v_dual_mov_b32 v55, 0
	v_and_b32_e32 v0, 3, v0
	s_ashr_i32 s15, s14, 31
	v_dual_mov_b32 v14, 0 :: v_dual_mov_b32 v15, 0
	s_delay_alu instid0(VALU_DEP_3)
	v_and_b32_e32 v10, 0xf8, v5
	v_dual_mov_b32 v11, v55 :: v_dual_mov_b32 v53, v55
	s_lshl_b64 s[0:1], s[14:15], 2
	v_dual_mov_b32 v16, 0 :: v_dual_mov_b32 v17, 0
	s_add_nc_u64 s[0:1], s[12:13], s[0:1]
	v_dual_mov_b32 v20, 0 :: v_dual_mov_b32 v21, 0
	s_load_b32 s0, s[0:1], 0x0
	v_dual_mov_b32 v24, 0 :: v_dual_mov_b32 v25, 0
	v_dual_mov_b32 v26, 0 :: v_dual_mov_b32 v27, 0
	;; [unrolled: 1-line block ×10, first 2 shown]
	s_mov_b64 s[16:17], 0xffffffffffffff
	s_mov_b32 s22, 0
	s_clause 0x2
	scratch_load_b32 v8, off, s32 offset:876
	scratch_store_b64 off, v[10:11], s32 offset:204
	scratch_load_b64 v[10:11], off, s32 offset:888 th:TH_LOAD_LU
	v_dual_mov_b32 v4, 0 :: v_dual_mov_b32 v9, 0
	s_wait_loadcnt 0x3
	v_add_nc_u64_e32 v[2:3], v[2:3], v[6:7]
	s_wait_loadcnt 0x2
	v_and_b32_e32 v54, 0x7c, v1
	v_lshlrev_b32_e32 v6, 5, v0
	s_clause 0x2
	scratch_load_b64 v[0:1], off, s32 offset:896 th:TH_LOAD_LU
	scratch_store_b64 off, v[2:3], s32 offset:196
	scratch_load_b64 v[2:3], off, s32 offset:808
	s_wait_loadcnt 0x0
	v_dual_mov_b32 v3, 0 :: v_dual_mov_b32 v98, v8
	v_lshl_add_u64 v[0:1], v[0:1], 2, v[54:55]
	v_dual_mov_b32 v13, v2 :: v_dual_bitop2_b32 v7, 24, v5 bitop3:0x40
	v_lshl_or_b32 v6, v8, 7, v6
	s_delay_alu instid0(VALU_DEP_3)
	v_add_nc_u64_e32 v[10:11], v[10:11], v[0:1]
	v_mov_b32_e32 v2, 0
	v_or_b32_e32 v52, 0x1f00, v5
	v_lshl_or_b32 v99, v8, 5, v7
	s_wait_kmcnt 0x0
	v_dual_mov_b32 v5, 0 :: v_dual_add_nc_u32 v100, s0, v6
	v_mov_b32_e32 v8, 0
	s_branch .LBB302_2086
.LBB302_2085:                           ;   in Loop: Header=BB302_2086 Depth=1
	s_or_b32 exec_lo, exec_lo, s8
	v_dual_add_f32 v0, v113, v114 :: v_dual_add_f32 v1, v115, v116
	v_add_f32_e32 v12, v117, v118
	v_add_nc_u64_e32 v[10:11], 16, v[10:11]
	s_delay_alu instid0(VALU_DEP_3) | instskip(NEXT) | instid1(VALU_DEP_3)
	v_dual_add_f32 v50, v50, v0 :: v_dual_add_nc_u32 v99, 0x80, v99
	v_dual_add_f32 v51, v51, v1 :: v_dual_add_f32 v48, v48, v12
	v_dual_add_f32 v0, v119, v40 :: v_dual_add_f32 v1, v41, v42
	;; [unrolled: 1-line block ×3, first 2 shown]
	v_add_f32_e32 v68, v47, v56
	s_delay_alu instid0(VALU_DEP_3) | instskip(NEXT) | instid1(VALU_DEP_3)
	v_dual_add_f32 v49, v49, v0 :: v_dual_add_f32 v38, v38, v1
	v_dual_add_f32 v39, v39, v12 :: v_dual_add_f32 v0, v57, v58
	;; [unrolled: 1-line block ×3, first 2 shown]
	s_delay_alu instid0(VALU_DEP_4) | instskip(SKIP_1) | instid1(VALU_DEP_3)
	v_dual_add_f32 v32, v32, v18 :: v_dual_add_f32 v33, v33, v68
	v_dual_add_f32 v18, v63, v72 :: v_dual_add_f32 v68, v73, v74
	;; [unrolled: 1-line block ×3, first 2 shown]
	s_delay_alu instid0(VALU_DEP_2) | instskip(SKIP_3) | instid1(VALU_DEP_3)
	v_dual_add_f32 v36, v36, v12 :: v_dual_add_f32 v37, v37, v18
	v_dual_add_f32 v0, v75, v76 :: v_dual_add_f32 v1, v77, v78
	;; [unrolled: 1-line block ×3, first 2 shown]
	v_add_f32_e32 v34, v34, v68
	v_dual_add_f32 v68, v91, v92 :: v_dual_add_f32 v30, v30, v1
	s_delay_alu instid0(VALU_DEP_3) | instskip(SKIP_3) | instid1(VALU_DEP_3)
	v_add_f32_e32 v31, v31, v12
	v_dual_add_f32 v1, v95, v104 :: v_dual_add_f32 v12, v105, v106
	v_dual_add_f32 v35, v35, v0 :: v_dual_add_f32 v28, v28, v18
	v_add_f32_e32 v0, v93, v94
	v_dual_add_f32 v29, v29, v68 :: v_dual_add_f32 v27, v27, v1
	v_dual_add_f32 v18, v107, v108 :: v_dual_add_f32 v68, v109, v110
	;; [unrolled: 1-line block ×3, first 2 shown]
	s_delay_alu instid0(VALU_DEP_2) | instskip(SKIP_1) | instid1(VALU_DEP_4)
	v_dual_add_f32 v26, v26, v0 :: v_dual_add_f32 v25, v25, v18
	v_add_f32_e32 v0, v111, v120
	v_dual_add_f32 v20, v20, v68 :: v_dual_add_f32 v18, v125, v126
	s_delay_alu instid0(VALU_DEP_4) | instskip(NEXT) | instid1(VALU_DEP_3)
	v_dual_add_f32 v12, v123, v124 :: v_dual_add_f32 v16, v16, v1
	v_dual_add_f32 v6, v127, v6 :: v_dual_add_f32 v21, v21, v0
	;;#ASMSTART
	v_pk_mul_f16 v0, v112, v67;

	;;#ASMEND
	s_delay_alu instid0(VALU_DEP_2) | instskip(NEXT) | instid1(VALU_DEP_2)
	v_dual_add_f32 v14, v14, v18 :: v_dual_add_f32 v17, v17, v12
	v_add_f32_e32 v15, v15, v6
	;;#ASMSTART
	v_pk_mul_f16 v1, v103, v66;

	;;#ASMEND
	;;#ASMSTART
	v_pk_mul_f16 v6, v102, v19;

	;;#ASMEND
	;; [unrolled: 4-line block ×3, first 2 shown]
	;;#ASMSTART
	v_pk_add_f16 v0, v0, v1;

	;;#ASMEND
	;;#ASMSTART
	v_pk_add_f16 v0, v0, v6;

	;;#ASMEND
	;; [unrolled: 4-line block ×3, first 2 shown]
	v_and_b32_e32 v12, 0xffff, v0
	v_dual_add_f32 v1, v65, v86 :: v_dual_lshrrev_b32 v18, 16, v0
	v_dual_add_f32 v0, v7, v64 :: v_dual_add_f32 v6, v84, v85
	;;#ASMSTART
	v_cvt_f32_f16 v7, v12;
	;;#ASMEND
	;;#ASMSTART
	v_cvt_f32_f16 v12, v18;
	;;#ASMEND
	v_dual_add_f32 v7, v7, v12 :: v_dual_add_nc_u32 v98, 4, v98
	s_delay_alu instid0(VALU_DEP_2)
	v_dual_add_f32 v4, v4, v0 :: v_dual_add_f32 v5, v5, v1
	scratch_load_b32 v0, off, s32 offset:192 ; 4-byte Folded Reload
	v_dual_add_f32 v2, v2, v6 :: v_dual_add_f32 v3, v3, v7
	v_add_nc_u32_e32 v100, 0x200, v100
	s_wait_loadcnt 0x0
	v_cmp_ge_i32_e32 vcc_lo, v98, v0
	s_or_b32 s22, vcc_lo, s22
	s_wait_xcnt 0x0
	s_and_not1_b32 exec_lo, exec_lo, s22
	s_cbranch_execz .LBB302_4198
.LBB302_2086:                           ; =>This Inner Loop Header: Depth=1
	flat_load_b32 v0, v[10:11]
	ds_load_2addr_b64 v[68:71], v100 offset1:1
	ds_load_2addr_b64 v[80:83], v100 offset0:2 offset1:3
	s_clause 0x1
	scratch_load_b64 v[6:7], off, s32 offset:816
	scratch_load_b64 v[18:19], off, s32 offset:196
	s_mov_b32 s0, exec_lo
	s_wait_dscnt 0x1
	;;#ASMSTART
	v_cvt_f16_f32 v101, v68;

	;;#ASMEND
	s_wait_loadcnt 0x0
	v_mad_nc_i64_i32 v[66:67], v0, v6, v[18:19]
	;;#ASMSTART
	v_cvt_f16_f32 v6, v69;

	;;#ASMEND
	scratch_load_b64 v[0:1], off, s32 offset:204 ; 8-byte Folded Reload
	;;#ASMSTART
	v_cvt_f16_f32 v102, v70;

	;;#ASMEND
	;;#ASMSTART
	v_cvt_f16_f32 v7, v71;

	;;#ASMEND
	s_wait_dscnt 0x0
	;;#ASMSTART
	v_cvt_f16_f32 v103, v80;

	;;#ASMEND
	;;#ASMSTART
	v_cvt_f16_f32 v64, v81;

	;;#ASMEND
	;; [unrolled: 4-line block ×4, first 2 shown]
	s_wait_loadcnt 0x0
	v_add_nc_u64_e32 v[68:69], v[66:67], v[0:1]
	v_mov_b32_e32 v0, 0
	flat_load_b64 v[80:81], v[68:69]
	flat_load_b32 v70, v[22:23]
	s_wait_loadcnt_dscnt 0x101
	v_and_b32_e32 v1, 0xff, v80
	s_wait_xcnt 0x0
	s_delay_alu instid0(VALU_DEP_1)
	v_cmpx_ne_u16_e32 0, v1
	s_cbranch_execz .LBB302_2094
; %bb.2087:                             ;   in Loop: Header=BB302_2086 Depth=1
	v_mov_b32_e32 v0, 0x8000
	s_mov_b32 s1, exec_lo
	v_cmpx_ne_u16_e32 0x80, v1
	s_cbranch_execz .LBB302_2093
; %bb.2088:                             ;   in Loop: Header=BB302_2086 Depth=1
	v_and_b32_e32 v12, 0x7f, v80
	v_mov_b32_e32 v0, 0x7c01
	s_mov_b32 s2, exec_lo
	s_delay_alu instid0(VALU_DEP_2)
	v_cmpx_ne_u32_e32 0x7f, v12
	s_cbranch_execz .LBB302_2092
; %bb.2089:                             ;   in Loop: Header=BB302_2086 Depth=1
	v_and_b32_e32 v0, 7, v80
	v_lshrrev_b32_e32 v1, 3, v12
	s_mov_b32 s3, exec_lo
	v_cmpx_gt_u32_e32 8, v12
; %bb.2090:                             ;   in Loop: Header=BB302_2086 Depth=1
	s_delay_alu instid0(VALU_DEP_3) | instskip(NEXT) | instid1(VALU_DEP_1)
	v_clz_i32_u32_e32 v0, v0
	v_min_u32_e32 v12, 32, v0
	s_delay_alu instid0(VALU_DEP_1) | instskip(NEXT) | instid1(VALU_DEP_1)
	v_subrev_nc_u32_e32 v0, 28, v12
	v_lshlrev_b64_e32 v[0:1], v0, v[80:81]
	v_sub_nc_u32_e32 v1, 29, v12
	s_delay_alu instid0(VALU_DEP_2)
	v_and_b32_e32 v0, 7, v0
; %bb.2091:                             ;   in Loop: Header=BB302_2086 Depth=1
	s_or_b32 exec_lo, exec_lo, s3
	v_lshlrev_b32_e32 v12, 8, v80
	s_delay_alu instid0(VALU_DEP_3) | instskip(NEXT) | instid1(VALU_DEP_3)
	v_lshl_add_u32 v1, v1, 10, 0x2000
	v_lshlrev_b32_e32 v0, 7, v0
	s_delay_alu instid0(VALU_DEP_3) | instskip(NEXT) | instid1(VALU_DEP_3)
	v_and_b32_e32 v12, 0x8000, v12
	v_and_b32_e32 v1, 0xfc00, v1
	s_delay_alu instid0(VALU_DEP_1)
	v_or3_b32 v0, v12, v1, v0
.LBB302_2092:                           ;   in Loop: Header=BB302_2086 Depth=1
	s_or_b32 exec_lo, exec_lo, s2
.LBB302_2093:                           ;   in Loop: Header=BB302_2086 Depth=1
	s_delay_alu instid0(SALU_CYCLE_1)
	s_or_b32 exec_lo, exec_lo, s1
.LBB302_2094:                           ;   in Loop: Header=BB302_2086 Depth=1
	s_delay_alu instid0(SALU_CYCLE_1) | instskip(SKIP_3) | instid1(VALU_DEP_2)
	s_or_b32 exec_lo, exec_lo, s0
	v_lshrrev_b16 v54, 8, v80
	v_dual_mov_b32 v12, 0 :: v_dual_mov_b32 v1, 0
	s_mov_b32 s0, exec_lo
	v_cmpx_ne_u16_e32 0, v54
	s_cbranch_execz .LBB302_2102
; %bb.2095:                             ;   in Loop: Header=BB302_2086 Depth=1
	v_bfrev_b32_e32 v1, 1
	s_mov_b32 s1, exec_lo
	v_cmpx_ne_u16_e32 0x80, v54
	s_cbranch_execz .LBB302_2101
; %bb.2096:                             ;   in Loop: Header=BB302_2086 Depth=1
	v_and_b32_e32 v18, 0xffff, v54
	v_mov_b32_e32 v1, 0x7c010000
	s_mov_b32 s2, exec_lo
	s_delay_alu instid0(VALU_DEP_2) | instskip(NEXT) | instid1(VALU_DEP_1)
	v_and_b32_e32 v71, 0x7f, v18
	v_cmpx_ne_u32_e32 0x7f, v71
	s_cbranch_execz .LBB302_2100
; %bb.2097:                             ;   in Loop: Header=BB302_2086 Depth=1
	v_dual_lshrrev_b32 v19, 3, v71 :: v_dual_bitop2_b32 v1, 7, v18 bitop3:0x40
	s_mov_b32 s3, exec_lo
	v_cmpx_gt_u32_e32 8, v71
; %bb.2098:                             ;   in Loop: Header=BB302_2086 Depth=1
	s_delay_alu instid0(VALU_DEP_2) | instskip(NEXT) | instid1(VALU_DEP_1)
	v_clz_i32_u32_e32 v1, v1
	v_min_u32_e32 v1, 32, v1
	s_delay_alu instid0(VALU_DEP_1) | instskip(NEXT) | instid1(VALU_DEP_1)
	v_subrev_nc_u32_e32 v19, 28, v1
	v_lshlrev_b64_e32 v[82:83], v19, v[54:55]
	s_delay_alu instid0(VALU_DEP_1)
	v_dual_sub_nc_u32 v19, 29, v1 :: v_dual_bitop2_b32 v1, 7, v82 bitop3:0x40
; %bb.2099:                             ;   in Loop: Header=BB302_2086 Depth=1
	s_or_b32 exec_lo, exec_lo, s3
	s_delay_alu instid0(VALU_DEP_1) | instskip(NEXT) | instid1(VALU_DEP_2)
	v_dual_lshlrev_b32 v18, 8, v18 :: v_dual_lshlrev_b32 v1, 23, v1
	v_lshl_add_u32 v19, v19, 10, 0x2000
	s_delay_alu instid0(VALU_DEP_1) | instskip(NEXT) | instid1(VALU_DEP_1)
	v_and_or_b32 v18, 0x8000, v18, v19
	v_lshl_or_b32 v1, v18, 16, v1
.LBB302_2100:                           ;   in Loop: Header=BB302_2086 Depth=1
	s_or_b32 exec_lo, exec_lo, s2
.LBB302_2101:                           ;   in Loop: Header=BB302_2086 Depth=1
	s_delay_alu instid0(SALU_CYCLE_1)
	s_or_b32 exec_lo, exec_lo, s1
.LBB302_2102:                           ;   in Loop: Header=BB302_2086 Depth=1
	s_delay_alu instid0(SALU_CYCLE_1) | instskip(SKIP_2) | instid1(VALU_DEP_1)
	s_or_b32 exec_lo, exec_lo, s0
	v_lshrrev_b32_e32 v54, 16, v80
	s_mov_b32 s0, exec_lo
	v_and_b32_e32 v18, 0xff, v54
	s_delay_alu instid0(VALU_DEP_1)
	v_cmpx_ne_u16_e32 0, v18
	s_cbranch_execz .LBB302_2110
; %bb.2103:                             ;   in Loop: Header=BB302_2086 Depth=1
	v_mov_b32_e32 v12, 0x8000
	s_mov_b32 s1, exec_lo
	v_cmpx_ne_u16_e32 0x80, v18
	s_cbranch_execz .LBB302_2109
; %bb.2104:                             ;   in Loop: Header=BB302_2086 Depth=1
	v_bfe_u32 v19, v80, 16, 7
	v_mov_b32_e32 v12, 0x7c01
	s_mov_b32 s2, exec_lo
	s_delay_alu instid0(VALU_DEP_2)
	v_cmpx_ne_u32_e32 0x7f, v19
	s_cbranch_execz .LBB302_2108
; %bb.2105:                             ;   in Loop: Header=BB302_2086 Depth=1
	v_dual_lshrrev_b32 v18, 3, v19 :: v_dual_bitop2_b32 v12, 7, v54 bitop3:0x40
	s_mov_b32 s3, exec_lo
	v_cmpx_gt_u32_e32 8, v19
; %bb.2106:                             ;   in Loop: Header=BB302_2086 Depth=1
	s_delay_alu instid0(VALU_DEP_2) | instskip(NEXT) | instid1(VALU_DEP_1)
	v_clz_i32_u32_e32 v12, v12
	v_min_u32_e32 v12, 32, v12
	s_delay_alu instid0(VALU_DEP_1) | instskip(NEXT) | instid1(VALU_DEP_1)
	v_subrev_nc_u32_e32 v18, 28, v12
	v_lshlrev_b64_e32 v[82:83], v18, v[54:55]
	s_delay_alu instid0(VALU_DEP_1)
	v_dual_sub_nc_u32 v18, 29, v12 :: v_dual_bitop2_b32 v12, 7, v82 bitop3:0x40
; %bb.2107:                             ;   in Loop: Header=BB302_2086 Depth=1
	s_or_b32 exec_lo, exec_lo, s3
	s_delay_alu instid0(VALU_DEP_1) | instskip(NEXT) | instid1(VALU_DEP_2)
	v_dual_lshlrev_b32 v19, 8, v54 :: v_dual_lshlrev_b32 v12, 7, v12
	v_lshl_add_u32 v18, v18, 10, 0x2000
	s_delay_alu instid0(VALU_DEP_2) | instskip(NEXT) | instid1(VALU_DEP_2)
	v_and_b32_e32 v19, 0x8000, v19
	v_and_b32_e32 v18, 0xfc00, v18
	s_delay_alu instid0(VALU_DEP_1)
	v_or3_b32 v12, v19, v18, v12
.LBB302_2108:                           ;   in Loop: Header=BB302_2086 Depth=1
	s_or_b32 exec_lo, exec_lo, s2
.LBB302_2109:                           ;   in Loop: Header=BB302_2086 Depth=1
	s_delay_alu instid0(SALU_CYCLE_1)
	s_or_b32 exec_lo, exec_lo, s1
.LBB302_2110:                           ;   in Loop: Header=BB302_2086 Depth=1
	s_delay_alu instid0(SALU_CYCLE_1)
	s_or_b32 exec_lo, exec_lo, s0
	v_dual_mov_b32 v18, 0 :: v_dual_mov_b32 v19, 0
	s_mov_b32 s0, exec_lo
	v_cmpx_lt_u32_e32 0xffffff, v80
	s_cbranch_execz .LBB302_2118
; %bb.2111:                             ;   in Loop: Header=BB302_2086 Depth=1
	v_lshrrev_b32_e32 v54, 24, v80
	v_bfrev_b32_e32 v19, 1
	s_mov_b32 s1, exec_lo
	s_delay_alu instid0(VALU_DEP_2)
	v_cmpx_ne_u32_e32 0x80, v54
	s_cbranch_execz .LBB302_2117
; %bb.2112:                             ;   in Loop: Header=BB302_2086 Depth=1
	v_and_b32_e32 v82, 0x7f, v54
	v_mov_b32_e32 v19, 0x7c010000
	s_mov_b32 s2, exec_lo
	s_delay_alu instid0(VALU_DEP_2)
	v_cmpx_ne_u32_e32 0x7f, v82
	s_cbranch_execz .LBB302_2116
; %bb.2113:                             ;   in Loop: Header=BB302_2086 Depth=1
	v_and_b32_e32 v19, 7, v54
	v_lshrrev_b32_e32 v71, 3, v82
	s_mov_b32 s3, exec_lo
	v_cmpx_gt_u32_e32 8, v82
; %bb.2114:                             ;   in Loop: Header=BB302_2086 Depth=1
	s_delay_alu instid0(VALU_DEP_3) | instskip(NEXT) | instid1(VALU_DEP_1)
	v_clz_i32_u32_e32 v19, v19
	v_min_u32_e32 v19, 32, v19
	s_delay_alu instid0(VALU_DEP_1) | instskip(NEXT) | instid1(VALU_DEP_1)
	v_subrev_nc_u32_e32 v71, 28, v19
	v_lshlrev_b64_e32 v[82:83], v71, v[54:55]
	s_delay_alu instid0(VALU_DEP_1)
	v_dual_sub_nc_u32 v71, 29, v19 :: v_dual_bitop2_b32 v19, 7, v82 bitop3:0x40
; %bb.2115:                             ;   in Loop: Header=BB302_2086 Depth=1
	s_or_b32 exec_lo, exec_lo, s3
	s_delay_alu instid0(VALU_DEP_1) | instskip(NEXT) | instid1(VALU_DEP_2)
	v_dual_lshlrev_b32 v54, 8, v54 :: v_dual_lshlrev_b32 v19, 23, v19
	v_lshl_add_u32 v71, v71, 10, 0x2000
	s_delay_alu instid0(VALU_DEP_1) | instskip(NEXT) | instid1(VALU_DEP_1)
	v_and_or_b32 v54, 0x8000, v54, v71
	v_lshl_or_b32 v19, v54, 16, v19
.LBB302_2116:                           ;   in Loop: Header=BB302_2086 Depth=1
	s_or_b32 exec_lo, exec_lo, s2
.LBB302_2117:                           ;   in Loop: Header=BB302_2086 Depth=1
	s_delay_alu instid0(SALU_CYCLE_1)
	s_or_b32 exec_lo, exec_lo, s1
.LBB302_2118:                           ;   in Loop: Header=BB302_2086 Depth=1
	s_delay_alu instid0(SALU_CYCLE_1) | instskip(SKIP_3) | instid1(VALU_DEP_2)
	s_or_b32 exec_lo, exec_lo, s0
	v_and_b32_e32 v71, 0xff, v81
	v_mov_b32_e32 v54, v81
	s_mov_b32 s0, exec_lo
	v_cmpx_ne_u16_e32 0, v71
	s_cbranch_execz .LBB302_2126
; %bb.2119:                             ;   in Loop: Header=BB302_2086 Depth=1
	v_mov_b32_e32 v18, 0x8000
	s_mov_b32 s1, exec_lo
	v_cmpx_ne_u16_e32 0x80, v71
	s_cbranch_execz .LBB302_2125
; %bb.2120:                             ;   in Loop: Header=BB302_2086 Depth=1
	v_and_b32_e32 v82, 0x7f, v81
	v_mov_b32_e32 v18, 0x7c01
	s_mov_b32 s2, exec_lo
	s_delay_alu instid0(VALU_DEP_2)
	v_cmpx_ne_u32_e32 0x7f, v82
	s_cbranch_execz .LBB302_2124
; %bb.2121:                             ;   in Loop: Header=BB302_2086 Depth=1
	v_dual_lshrrev_b32 v71, 3, v82 :: v_dual_bitop2_b32 v18, 7, v81 bitop3:0x40
	s_mov_b32 s3, exec_lo
	v_cmpx_gt_u32_e32 8, v82
; %bb.2122:                             ;   in Loop: Header=BB302_2086 Depth=1
	s_delay_alu instid0(VALU_DEP_2) | instskip(NEXT) | instid1(VALU_DEP_1)
	v_clz_i32_u32_e32 v18, v18
	v_min_u32_e32 v18, 32, v18
	s_delay_alu instid0(VALU_DEP_1) | instskip(NEXT) | instid1(VALU_DEP_1)
	v_subrev_nc_u32_e32 v71, 28, v18
	v_lshlrev_b64_e32 v[82:83], v71, v[54:55]
	v_sub_nc_u32_e32 v71, 29, v18
	s_delay_alu instid0(VALU_DEP_2)
	v_and_b32_e32 v18, 7, v82
; %bb.2123:                             ;   in Loop: Header=BB302_2086 Depth=1
	s_or_b32 exec_lo, exec_lo, s3
	s_delay_alu instid0(VALU_DEP_1) | instskip(NEXT) | instid1(VALU_DEP_3)
	v_dual_lshlrev_b32 v82, 8, v81 :: v_dual_lshlrev_b32 v18, 7, v18
	v_lshl_add_u32 v71, v71, 10, 0x2000
	s_delay_alu instid0(VALU_DEP_2) | instskip(NEXT) | instid1(VALU_DEP_2)
	v_and_b32_e32 v82, 0x8000, v82
	v_and_b32_e32 v71, 0xfc00, v71
	s_delay_alu instid0(VALU_DEP_1)
	v_or3_b32 v18, v82, v71, v18
.LBB302_2124:                           ;   in Loop: Header=BB302_2086 Depth=1
	s_or_b32 exec_lo, exec_lo, s2
.LBB302_2125:                           ;   in Loop: Header=BB302_2086 Depth=1
	s_delay_alu instid0(SALU_CYCLE_1)
	s_or_b32 exec_lo, exec_lo, s1
.LBB302_2126:                           ;   in Loop: Header=BB302_2086 Depth=1
	s_delay_alu instid0(SALU_CYCLE_1) | instskip(SKIP_3) | instid1(VALU_DEP_2)
	s_or_b32 exec_lo, exec_lo, s0
	v_lshrrev_b16 v54, 8, v54
	v_dual_mov_b32 v71, 0 :: v_dual_mov_b32 v82, 0
	s_mov_b32 s0, exec_lo
	v_cmpx_ne_u16_e32 0, v54
	s_cbranch_execz .LBB302_2134
; %bb.2127:                             ;   in Loop: Header=BB302_2086 Depth=1
	v_bfrev_b32_e32 v82, 1
	s_mov_b32 s1, exec_lo
	v_cmpx_ne_u16_e32 0x80, v54
	s_cbranch_execz .LBB302_2133
; %bb.2128:                             ;   in Loop: Header=BB302_2086 Depth=1
	v_and_b32_e32 v83, 0xffff, v54
	v_mov_b32_e32 v82, 0x7c010000
	s_mov_b32 s2, exec_lo
	s_delay_alu instid0(VALU_DEP_2) | instskip(NEXT) | instid1(VALU_DEP_1)
	v_and_b32_e32 v85, 0x7f, v83
	v_cmpx_ne_u32_e32 0x7f, v85
	s_cbranch_execz .LBB302_2132
; %bb.2129:                             ;   in Loop: Header=BB302_2086 Depth=1
	v_dual_lshrrev_b32 v84, 3, v85 :: v_dual_bitop2_b32 v82, 7, v83 bitop3:0x40
	s_mov_b32 s3, exec_lo
	v_cmpx_gt_u32_e32 8, v85
; %bb.2130:                             ;   in Loop: Header=BB302_2086 Depth=1
	s_delay_alu instid0(VALU_DEP_2) | instskip(NEXT) | instid1(VALU_DEP_1)
	v_clz_i32_u32_e32 v82, v82
	v_min_u32_e32 v82, 32, v82
	s_delay_alu instid0(VALU_DEP_1) | instskip(NEXT) | instid1(VALU_DEP_1)
	v_subrev_nc_u32_e32 v84, 28, v82
	v_lshlrev_b64_e32 v[86:87], v84, v[54:55]
	v_sub_nc_u32_e32 v84, 29, v82
	s_delay_alu instid0(VALU_DEP_2)
	v_and_b32_e32 v82, 7, v86
; %bb.2131:                             ;   in Loop: Header=BB302_2086 Depth=1
	s_or_b32 exec_lo, exec_lo, s3
	s_delay_alu instid0(VALU_DEP_1) | instskip(NEXT) | instid1(VALU_DEP_3)
	v_dual_lshlrev_b32 v54, 8, v83 :: v_dual_lshlrev_b32 v82, 23, v82
	v_lshl_add_u32 v83, v84, 10, 0x2000
	s_delay_alu instid0(VALU_DEP_1) | instskip(NEXT) | instid1(VALU_DEP_1)
	v_and_or_b32 v54, 0x8000, v54, v83
	v_lshl_or_b32 v82, v54, 16, v82
.LBB302_2132:                           ;   in Loop: Header=BB302_2086 Depth=1
	s_or_b32 exec_lo, exec_lo, s2
.LBB302_2133:                           ;   in Loop: Header=BB302_2086 Depth=1
	s_delay_alu instid0(SALU_CYCLE_1)
	s_or_b32 exec_lo, exec_lo, s1
.LBB302_2134:                           ;   in Loop: Header=BB302_2086 Depth=1
	s_delay_alu instid0(SALU_CYCLE_1) | instskip(SKIP_2) | instid1(VALU_DEP_1)
	s_or_b32 exec_lo, exec_lo, s0
	v_lshrrev_b32_e32 v54, 16, v81
	s_mov_b32 s0, exec_lo
	v_and_b32_e32 v83, 0xff, v54
	s_delay_alu instid0(VALU_DEP_1)
	v_cmpx_ne_u16_e32 0, v83
	s_cbranch_execz .LBB302_2142
; %bb.2135:                             ;   in Loop: Header=BB302_2086 Depth=1
	v_mov_b32_e32 v71, 0x8000
	s_mov_b32 s1, exec_lo
	v_cmpx_ne_u16_e32 0x80, v83
	s_cbranch_execz .LBB302_2141
; %bb.2136:                             ;   in Loop: Header=BB302_2086 Depth=1
	v_bfe_u32 v84, v81, 16, 7
	v_mov_b32_e32 v71, 0x7c01
	s_mov_b32 s2, exec_lo
	s_delay_alu instid0(VALU_DEP_2)
	v_cmpx_ne_u32_e32 0x7f, v84
	s_cbranch_execz .LBB302_2140
; %bb.2137:                             ;   in Loop: Header=BB302_2086 Depth=1
	v_dual_lshrrev_b32 v83, 3, v84 :: v_dual_bitop2_b32 v71, 7, v54 bitop3:0x40
	s_mov_b32 s3, exec_lo
	v_cmpx_gt_u32_e32 8, v84
; %bb.2138:                             ;   in Loop: Header=BB302_2086 Depth=1
	s_delay_alu instid0(VALU_DEP_2) | instskip(NEXT) | instid1(VALU_DEP_1)
	v_clz_i32_u32_e32 v71, v71
	v_min_u32_e32 v71, 32, v71
	s_delay_alu instid0(VALU_DEP_1) | instskip(NEXT) | instid1(VALU_DEP_1)
	v_subrev_nc_u32_e32 v83, 28, v71
	v_lshlrev_b64_e32 v[84:85], v83, v[54:55]
	s_delay_alu instid0(VALU_DEP_1)
	v_dual_sub_nc_u32 v83, 29, v71 :: v_dual_bitop2_b32 v71, 7, v84 bitop3:0x40
; %bb.2139:                             ;   in Loop: Header=BB302_2086 Depth=1
	s_or_b32 exec_lo, exec_lo, s3
	s_delay_alu instid0(VALU_DEP_1) | instskip(NEXT) | instid1(VALU_DEP_2)
	v_dual_lshlrev_b32 v54, 8, v54 :: v_dual_lshlrev_b32 v71, 7, v71
	v_lshl_add_u32 v83, v83, 10, 0x2000
	s_delay_alu instid0(VALU_DEP_2) | instskip(NEXT) | instid1(VALU_DEP_2)
	v_and_b32_e32 v54, 0x8000, v54
	v_and_b32_e32 v83, 0xfc00, v83
	s_delay_alu instid0(VALU_DEP_1)
	v_or3_b32 v71, v54, v83, v71
.LBB302_2140:                           ;   in Loop: Header=BB302_2086 Depth=1
	s_or_b32 exec_lo, exec_lo, s2
.LBB302_2141:                           ;   in Loop: Header=BB302_2086 Depth=1
	s_delay_alu instid0(SALU_CYCLE_1)
	s_or_b32 exec_lo, exec_lo, s1
.LBB302_2142:                           ;   in Loop: Header=BB302_2086 Depth=1
	s_delay_alu instid0(SALU_CYCLE_1)
	s_or_b32 exec_lo, exec_lo, s0
	v_cmp_lt_u64_e32 vcc_lo, s[16:17], v[80:81]
	v_mov_b32_e32 v80, 0
	s_and_saveexec_b32 s0, vcc_lo
	s_cbranch_execz .LBB302_2150
; %bb.2143:                             ;   in Loop: Header=BB302_2086 Depth=1
	v_lshrrev_b32_e32 v54, 24, v81
	v_bfrev_b32_e32 v80, 1
	s_mov_b32 s1, exec_lo
	s_delay_alu instid0(VALU_DEP_2)
	v_cmpx_ne_u32_e32 0x80, v54
	s_cbranch_execz .LBB302_2149
; %bb.2144:                             ;   in Loop: Header=BB302_2086 Depth=1
	v_and_b32_e32 v83, 0x7f, v54
	v_mov_b32_e32 v80, 0x7c010000
	s_mov_b32 s2, exec_lo
	s_delay_alu instid0(VALU_DEP_2)
	v_cmpx_ne_u32_e32 0x7f, v83
	s_cbranch_execz .LBB302_2148
; %bb.2145:                             ;   in Loop: Header=BB302_2086 Depth=1
	v_dual_lshrrev_b32 v81, 3, v83 :: v_dual_bitop2_b32 v80, 7, v54 bitop3:0x40
	s_mov_b32 s3, exec_lo
	v_cmpx_gt_u32_e32 8, v83
; %bb.2146:                             ;   in Loop: Header=BB302_2086 Depth=1
	s_delay_alu instid0(VALU_DEP_2) | instskip(NEXT) | instid1(VALU_DEP_1)
	v_clz_i32_u32_e32 v80, v80
	v_min_u32_e32 v83, 32, v80
	s_delay_alu instid0(VALU_DEP_1) | instskip(NEXT) | instid1(VALU_DEP_1)
	v_subrev_nc_u32_e32 v80, 28, v83
	v_lshlrev_b64_e32 v[80:81], v80, v[54:55]
	s_delay_alu instid0(VALU_DEP_1)
	v_dual_sub_nc_u32 v81, 29, v83 :: v_dual_bitop2_b32 v80, 7, v80 bitop3:0x40
; %bb.2147:                             ;   in Loop: Header=BB302_2086 Depth=1
	s_or_b32 exec_lo, exec_lo, s3
	s_delay_alu instid0(VALU_DEP_1) | instskip(NEXT) | instid1(VALU_DEP_2)
	v_dual_lshlrev_b32 v54, 8, v54 :: v_dual_lshlrev_b32 v80, 23, v80
	v_lshl_add_u32 v81, v81, 10, 0x2000
	s_delay_alu instid0(VALU_DEP_1) | instskip(NEXT) | instid1(VALU_DEP_1)
	v_and_or_b32 v54, 0x8000, v54, v81
	v_lshl_or_b32 v80, v54, 16, v80
.LBB302_2148:                           ;   in Loop: Header=BB302_2086 Depth=1
	s_or_b32 exec_lo, exec_lo, s2
.LBB302_2149:                           ;   in Loop: Header=BB302_2086 Depth=1
	s_delay_alu instid0(SALU_CYCLE_1)
	s_or_b32 exec_lo, exec_lo, s1
.LBB302_2150:                           ;   in Loop: Header=BB302_2086 Depth=1
	s_delay_alu instid0(SALU_CYCLE_1)
	s_or_b32 exec_lo, exec_lo, s0
	s_clause 0x1
	scratch_load_b32 v54, off, s32 offset:192
	scratch_load_b64 v[86:87], off, s32 offset:808
	v_or_b32_e32 v83, 1, v99
	v_or_b32_e32 v84, 3, v99
	v_cmp_lt_i32_e32 vcc_lo, v99, v13
	v_dual_add_nc_u32 v81, 2, v99 :: v_dual_bitop2_b32 v12, v19, v12 bitop3:0x54
	s_wait_loadcnt 0x0
	v_dual_add_nc_u32 v54, -1, v54 :: v_dual_mov_b32 v114, v86
	v_cmp_lt_i32_e64 s1, v83, v13
	v_lshrrev_b32_e32 v83, 16, v19
	v_or_b32_e32 v86, 6, v99
	s_delay_alu instid0(VALU_DEP_4)
	v_cmp_eq_u32_e64 s3, v54, v98
	v_cmp_lt_i32_e64 s0, v81, v114
	v_lshrrev_b32_e32 v81, 16, v1
	v_cmp_lt_i32_e64 s2, v84, v114
	v_or_b32_e32 v54, 4, v99
	v_cvt_f32_f16_e32 v84, v83
	v_or_b32_e32 v19, v1, v0
	v_cvt_f32_f16_e32 v85, v81
	v_or_b32_e32 v81, v82, v18
	s_wait_dscnt 0x0
	s_delay_alu instid0(VALU_DEP_2)
	v_pk_mul_f32 v[0:1], v[70:71], v[84:85] op_sel_hi:[0,1]
	v_cvt_f32_f16_e32 v84, v12
	v_lshrrev_b32_e32 v12, 16, v82
	v_cmp_lt_i32_e64 s4, v54, v13
	v_dual_lshrrev_b32 v54, 16, v80 :: v_dual_bitop2_b32 v71, v80, v71 bitop3:0x54
	v_cvt_f32_f16_e32 v85, v19
	s_delay_alu instid0(VALU_DEP_4) | instskip(SKIP_1) | instid1(VALU_DEP_4)
	v_cvt_f32_f16_e32 v19, v12
	v_cvt_f32_f16_e32 v81, v81
	;; [unrolled: 1-line block ×4, first 2 shown]
	v_pk_mul_f32 v[82:83], v[70:71], v[84:85] op_sel_hi:[0,1]
	v_cvt_pk_f16_f32 v12, v0, v1
	v_or_b32_e32 v87, 5, v99
	v_pk_mul_f32 v[0:1], v[70:71], v[18:19] op_sel_hi:[0,1]
	v_pk_mul_f32 v[18:19], v[70:71], v[80:81] op_sel_hi:[0,1]
	v_cvt_pk_f16_f32 v54, v82, v83
	v_or_b32_e32 v113, 7, v99
	v_cmp_lt_i32_e64 s5, v86, v114
	v_cvt_pk_f16_f32 v0, v0, v1
	v_cvt_pk_f16_f32 v1, v18, v19
	v_and_b32_e32 v83, 0xffff0000, v12
	v_lshlrev_b32_e32 v82, 16, v12
	v_cmp_lt_i32_e64 s6, v87, v13
	v_lshrrev_b32_e32 v87, 16, v54
	v_and_b32_e32 v86, 0xffff, v54
	v_and_b32_e32 v81, 0xffff0000, v0
	v_dual_lshlrev_b32 v80, 16, v0 :: v_dual_lshrrev_b32 v85, 16, v1
	v_and_b32_e32 v84, 0xffff, v1
	v_cmp_lt_i32_e64 s7, v113, v114
	v_or_b32_e32 v71, v83, v87
	v_or_b32_e32 v70, v82, v86
	;; [unrolled: 1-line block ×4, first 2 shown]
	s_wait_xcnt 0x0
	s_and_saveexec_b32 s8, s3
	s_cbranch_execz .LBB302_2152
; %bb.2151:                             ;   in Loop: Header=BB302_2086 Depth=1
	v_dual_cndmask_b32 v0, 0, v87, vcc_lo :: v_dual_cndmask_b32 v1, 0, v86, s0
	v_dual_cndmask_b32 v12, 0, v83, s1 :: v_dual_cndmask_b32 v18, 0, v82, s2
	v_dual_cndmask_b32 v19, 0, v85, s4 :: v_dual_cndmask_b32 v54, 0, v84, s5
	;; [unrolled: 1-line block ×3, first 2 shown]
	s_delay_alu instid0(VALU_DEP_3) | instskip(NEXT) | instid1(VALU_DEP_4)
	v_or_b32_e32 v71, v0, v12
	v_or_b32_e32 v70, v1, v18
	s_delay_alu instid0(VALU_DEP_3) | instskip(NEXT) | instid1(VALU_DEP_4)
	v_or_b32_e32 v19, v19, v81
	v_or_b32_e32 v54, v54, v80
.LBB302_2152:                           ;   in Loop: Header=BB302_2086 Depth=1
	s_or_b32 exec_lo, exec_lo, s8
	v_and_b32_e32 v0, 0xffff, v101
	v_and_b32_e32 v1, 0xffff, v102
	;; [unrolled: 1-line block ×4, first 2 shown]
	s_mov_b32 s23, exec_lo
	v_lshl_or_b32 v112, v6, 16, v0
	;;#ASMSTART
	v_pk_mul_f16 v0, v112, v71;

	;;#ASMEND
	v_lshl_or_b32 v103, v7, 16, v1
	v_lshl_or_b32 v102, v64, 16, v12
	;; [unrolled: 1-line block ×3, first 2 shown]
	;;#ASMSTART
	v_pk_mul_f16 v1, v103, v70;

	;;#ASMEND
	;;#ASMSTART
	v_pk_mul_f16 v6, v102, v19;

	;;#ASMEND
	;; [unrolled: 4-line block ×3, first 2 shown]
	;;#ASMSTART
	v_pk_add_f16 v0, v0, v1;

	;;#ASMEND
	;;#ASMSTART
	v_pk_add_f16 v0, v0, v6;

	;;#ASMEND
	;; [unrolled: 4-line block ×3, first 2 shown]
	v_and_b32_e32 v1, 0xffff, v0
	v_lshrrev_b32_e32 v0, 16, v0
	;;#ASMSTART
	v_cvt_f32_f16 v113, v1;
	;;#ASMEND
	v_mov_b32_e32 v1, 0
	;;#ASMSTART
	v_cvt_f32_f16 v114, v0;
	;;#ASMEND
	flat_load_b64 v[80:81], v[68:69] offset:256
	flat_load_b32 v70, v[22:23]
	v_mov_b32_e32 v0, 0
	s_wait_loadcnt_dscnt 0x101
	v_and_b32_e32 v12, 0xff, v80
	s_wait_xcnt 0x0
	s_delay_alu instid0(VALU_DEP_1)
	v_cmpx_ne_u16_e32 0, v12
	s_cbranch_execz .LBB302_2160
; %bb.2153:                             ;   in Loop: Header=BB302_2086 Depth=1
	v_mov_b32_e32 v1, 0x8000
	s_mov_b32 s24, exec_lo
	v_cmpx_ne_u16_e32 0x80, v12
	s_cbranch_execz .LBB302_2159
; %bb.2154:                             ;   in Loop: Header=BB302_2086 Depth=1
	v_and_b32_e32 v18, 0x7f, v80
	v_mov_b32_e32 v1, 0x7c01
	s_mov_b32 s25, exec_lo
	s_delay_alu instid0(VALU_DEP_2)
	v_cmpx_ne_u32_e32 0x7f, v18
	s_cbranch_execz .LBB302_2158
; %bb.2155:                             ;   in Loop: Header=BB302_2086 Depth=1
	v_dual_lshrrev_b32 v12, 3, v18 :: v_dual_bitop2_b32 v1, 7, v80 bitop3:0x40
	s_mov_b32 s26, exec_lo
	v_cmpx_gt_u32_e32 8, v18
; %bb.2156:                             ;   in Loop: Header=BB302_2086 Depth=1
	s_delay_alu instid0(VALU_DEP_2) | instskip(NEXT) | instid1(VALU_DEP_1)
	v_clz_i32_u32_e32 v1, v1
	v_min_u32_e32 v1, 32, v1
	s_delay_alu instid0(VALU_DEP_1) | instskip(NEXT) | instid1(VALU_DEP_1)
	v_subrev_nc_u32_e32 v6, 28, v1
	v_lshlrev_b64_e32 v[6:7], v6, v[80:81]
	s_delay_alu instid0(VALU_DEP_1)
	v_dual_sub_nc_u32 v12, 29, v1 :: v_dual_bitop2_b32 v1, 7, v6 bitop3:0x40
; %bb.2157:                             ;   in Loop: Header=BB302_2086 Depth=1
	s_or_b32 exec_lo, exec_lo, s26
	s_delay_alu instid0(VALU_DEP_1) | instskip(NEXT) | instid1(VALU_DEP_2)
	v_dual_lshlrev_b32 v6, 8, v80 :: v_dual_lshlrev_b32 v1, 7, v1
	v_lshl_add_u32 v7, v12, 10, 0x2000
	s_delay_alu instid0(VALU_DEP_2) | instskip(NEXT) | instid1(VALU_DEP_2)
	v_and_b32_e32 v6, 0x8000, v6
	v_and_b32_e32 v7, 0xfc00, v7
	s_delay_alu instid0(VALU_DEP_1)
	v_or3_b32 v1, v6, v7, v1
.LBB302_2158:                           ;   in Loop: Header=BB302_2086 Depth=1
	s_or_b32 exec_lo, exec_lo, s25
.LBB302_2159:                           ;   in Loop: Header=BB302_2086 Depth=1
	s_delay_alu instid0(SALU_CYCLE_1)
	s_or_b32 exec_lo, exec_lo, s24
.LBB302_2160:                           ;   in Loop: Header=BB302_2086 Depth=1
	s_delay_alu instid0(SALU_CYCLE_1) | instskip(SKIP_2) | instid1(VALU_DEP_1)
	s_or_b32 exec_lo, exec_lo, s23
	v_lshrrev_b16 v54, 8, v80
	s_mov_b32 s23, exec_lo
	v_cmpx_ne_u16_e32 0, v54
	s_cbranch_execz .LBB302_2168
; %bb.2161:                             ;   in Loop: Header=BB302_2086 Depth=1
	v_bfrev_b32_e32 v0, 1
	s_mov_b32 s24, exec_lo
	v_cmpx_ne_u16_e32 0x80, v54
	s_cbranch_execz .LBB302_2167
; %bb.2162:                             ;   in Loop: Header=BB302_2086 Depth=1
	v_and_b32_e32 v12, 0xffff, v54
	v_mov_b32_e32 v0, 0x7c010000
	s_mov_b32 s25, exec_lo
	s_delay_alu instid0(VALU_DEP_2) | instskip(NEXT) | instid1(VALU_DEP_1)
	v_and_b32_e32 v19, 0x7f, v12
	v_cmpx_ne_u32_e32 0x7f, v19
	s_cbranch_execz .LBB302_2166
; %bb.2163:                             ;   in Loop: Header=BB302_2086 Depth=1
	v_dual_lshrrev_b32 v18, 3, v19 :: v_dual_bitop2_b32 v0, 7, v12 bitop3:0x40
	s_mov_b32 s26, exec_lo
	v_cmpx_gt_u32_e32 8, v19
; %bb.2164:                             ;   in Loop: Header=BB302_2086 Depth=1
	s_delay_alu instid0(VALU_DEP_2) | instskip(NEXT) | instid1(VALU_DEP_1)
	v_clz_i32_u32_e32 v0, v0
	v_min_u32_e32 v0, 32, v0
	s_delay_alu instid0(VALU_DEP_1) | instskip(NEXT) | instid1(VALU_DEP_1)
	v_subrev_nc_u32_e32 v6, 28, v0
	v_lshlrev_b64_e32 v[6:7], v6, v[54:55]
	s_delay_alu instid0(VALU_DEP_1)
	v_dual_sub_nc_u32 v18, 29, v0 :: v_dual_bitop2_b32 v0, 7, v6 bitop3:0x40
; %bb.2165:                             ;   in Loop: Header=BB302_2086 Depth=1
	s_or_b32 exec_lo, exec_lo, s26
	v_lshlrev_b32_e32 v6, 8, v12
	s_delay_alu instid0(VALU_DEP_2) | instskip(NEXT) | instid1(VALU_DEP_3)
	v_lshl_add_u32 v7, v18, 10, 0x2000
	v_lshlrev_b32_e32 v0, 23, v0
	s_delay_alu instid0(VALU_DEP_2) | instskip(NEXT) | instid1(VALU_DEP_1)
	v_and_or_b32 v6, 0x8000, v6, v7
	v_lshl_or_b32 v0, v6, 16, v0
.LBB302_2166:                           ;   in Loop: Header=BB302_2086 Depth=1
	s_or_b32 exec_lo, exec_lo, s25
.LBB302_2167:                           ;   in Loop: Header=BB302_2086 Depth=1
	s_delay_alu instid0(SALU_CYCLE_1)
	s_or_b32 exec_lo, exec_lo, s24
.LBB302_2168:                           ;   in Loop: Header=BB302_2086 Depth=1
	s_delay_alu instid0(SALU_CYCLE_1) | instskip(SKIP_3) | instid1(VALU_DEP_2)
	s_or_b32 exec_lo, exec_lo, s23
	v_dual_lshrrev_b32 v54, 16, v80 :: v_dual_mov_b32 v12, 0
	v_mov_b32_e32 v18, 0
	s_mov_b32 s23, exec_lo
	v_and_b32_e32 v19, 0xff, v54
	s_delay_alu instid0(VALU_DEP_1)
	v_cmpx_ne_u16_e32 0, v19
	s_cbranch_execz .LBB302_2176
; %bb.2169:                             ;   in Loop: Header=BB302_2086 Depth=1
	v_mov_b32_e32 v18, 0x8000
	s_mov_b32 s24, exec_lo
	v_cmpx_ne_u16_e32 0x80, v19
	s_cbranch_execz .LBB302_2175
; %bb.2170:                             ;   in Loop: Header=BB302_2086 Depth=1
	v_bfe_u32 v71, v80, 16, 7
	v_mov_b32_e32 v18, 0x7c01
	s_mov_b32 s25, exec_lo
	s_delay_alu instid0(VALU_DEP_2)
	v_cmpx_ne_u32_e32 0x7f, v71
	s_cbranch_execz .LBB302_2174
; %bb.2171:                             ;   in Loop: Header=BB302_2086 Depth=1
	v_dual_lshrrev_b32 v19, 3, v71 :: v_dual_bitop2_b32 v18, 7, v54 bitop3:0x40
	s_mov_b32 s26, exec_lo
	v_cmpx_gt_u32_e32 8, v71
; %bb.2172:                             ;   in Loop: Header=BB302_2086 Depth=1
	s_delay_alu instid0(VALU_DEP_2) | instskip(NEXT) | instid1(VALU_DEP_1)
	v_clz_i32_u32_e32 v6, v18
	v_min_u32_e32 v18, 32, v6
	s_delay_alu instid0(VALU_DEP_1) | instskip(SKIP_1) | instid1(VALU_DEP_2)
	v_subrev_nc_u32_e32 v6, 28, v18
	v_sub_nc_u32_e32 v19, 29, v18
	v_lshlrev_b64_e32 v[6:7], v6, v[54:55]
	s_delay_alu instid0(VALU_DEP_1)
	v_and_b32_e32 v18, 7, v6
; %bb.2173:                             ;   in Loop: Header=BB302_2086 Depth=1
	s_or_b32 exec_lo, exec_lo, s26
	v_lshlrev_b32_e32 v6, 8, v54
	v_lshl_add_u32 v7, v19, 10, 0x2000
	s_delay_alu instid0(VALU_DEP_3) | instskip(NEXT) | instid1(VALU_DEP_3)
	v_lshlrev_b32_e32 v18, 7, v18
	v_and_b32_e32 v6, 0x8000, v6
	s_delay_alu instid0(VALU_DEP_3) | instskip(NEXT) | instid1(VALU_DEP_1)
	v_and_b32_e32 v7, 0xfc00, v7
	v_or3_b32 v18, v6, v7, v18
.LBB302_2174:                           ;   in Loop: Header=BB302_2086 Depth=1
	s_or_b32 exec_lo, exec_lo, s25
.LBB302_2175:                           ;   in Loop: Header=BB302_2086 Depth=1
	s_delay_alu instid0(SALU_CYCLE_1)
	s_or_b32 exec_lo, exec_lo, s24
.LBB302_2176:                           ;   in Loop: Header=BB302_2086 Depth=1
	s_delay_alu instid0(SALU_CYCLE_1) | instskip(NEXT) | instid1(SALU_CYCLE_1)
	s_or_b32 exec_lo, exec_lo, s23
	s_mov_b32 s23, exec_lo
	v_cmpx_lt_u32_e32 0xffffff, v80
	s_cbranch_execz .LBB302_2184
; %bb.2177:                             ;   in Loop: Header=BB302_2086 Depth=1
	v_lshrrev_b32_e32 v54, 24, v80
	v_bfrev_b32_e32 v12, 1
	s_mov_b32 s24, exec_lo
	s_delay_alu instid0(VALU_DEP_2)
	v_cmpx_ne_u32_e32 0x80, v54
	s_cbranch_execz .LBB302_2183
; %bb.2178:                             ;   in Loop: Header=BB302_2086 Depth=1
	v_and_b32_e32 v71, 0x7f, v54
	v_mov_b32_e32 v12, 0x7c010000
	s_mov_b32 s25, exec_lo
	s_delay_alu instid0(VALU_DEP_2)
	v_cmpx_ne_u32_e32 0x7f, v71
	s_cbranch_execz .LBB302_2182
; %bb.2179:                             ;   in Loop: Header=BB302_2086 Depth=1
	v_dual_lshrrev_b32 v19, 3, v71 :: v_dual_bitop2_b32 v12, 7, v54 bitop3:0x40
	s_mov_b32 s26, exec_lo
	v_cmpx_gt_u32_e32 8, v71
; %bb.2180:                             ;   in Loop: Header=BB302_2086 Depth=1
	s_delay_alu instid0(VALU_DEP_2) | instskip(NEXT) | instid1(VALU_DEP_1)
	v_clz_i32_u32_e32 v6, v12
	v_min_u32_e32 v12, 32, v6
	s_delay_alu instid0(VALU_DEP_1) | instskip(NEXT) | instid1(VALU_DEP_1)
	v_subrev_nc_u32_e32 v6, 28, v12
	v_lshlrev_b64_e32 v[6:7], v6, v[54:55]
	s_delay_alu instid0(VALU_DEP_1)
	v_dual_sub_nc_u32 v19, 29, v12 :: v_dual_bitop2_b32 v12, 7, v6 bitop3:0x40
; %bb.2181:                             ;   in Loop: Header=BB302_2086 Depth=1
	s_or_b32 exec_lo, exec_lo, s26
	v_lshlrev_b32_e32 v6, 8, v54
	s_delay_alu instid0(VALU_DEP_2) | instskip(NEXT) | instid1(VALU_DEP_1)
	v_lshl_add_u32 v7, v19, 10, 0x2000
	v_and_or_b32 v6, 0x8000, v6, v7
	v_lshlrev_b32_e32 v7, 23, v12
	s_delay_alu instid0(VALU_DEP_1)
	v_lshl_or_b32 v12, v6, 16, v7
.LBB302_2182:                           ;   in Loop: Header=BB302_2086 Depth=1
	s_or_b32 exec_lo, exec_lo, s25
.LBB302_2183:                           ;   in Loop: Header=BB302_2086 Depth=1
	s_delay_alu instid0(SALU_CYCLE_1)
	s_or_b32 exec_lo, exec_lo, s24
.LBB302_2184:                           ;   in Loop: Header=BB302_2086 Depth=1
	s_delay_alu instid0(SALU_CYCLE_1) | instskip(SKIP_4) | instid1(VALU_DEP_3)
	s_or_b32 exec_lo, exec_lo, s23
	v_and_b32_e32 v82, 0xff, v81
	v_dual_mov_b32 v54, v81 :: v_dual_mov_b32 v71, 0
	v_mov_b32_e32 v19, 0
	s_mov_b32 s23, exec_lo
	v_cmpx_ne_u16_e32 0, v82
	s_cbranch_execz .LBB302_2192
; %bb.2185:                             ;   in Loop: Header=BB302_2086 Depth=1
	v_mov_b32_e32 v19, 0x8000
	s_mov_b32 s24, exec_lo
	v_cmpx_ne_u16_e32 0x80, v82
	s_cbranch_execz .LBB302_2191
; %bb.2186:                             ;   in Loop: Header=BB302_2086 Depth=1
	v_and_b32_e32 v83, 0x7f, v81
	v_mov_b32_e32 v19, 0x7c01
	s_mov_b32 s25, exec_lo
	s_delay_alu instid0(VALU_DEP_2)
	v_cmpx_ne_u32_e32 0x7f, v83
	s_cbranch_execz .LBB302_2190
; %bb.2187:                             ;   in Loop: Header=BB302_2086 Depth=1
	v_dual_lshrrev_b32 v82, 3, v83 :: v_dual_bitop2_b32 v19, 7, v81 bitop3:0x40
	s_mov_b32 s26, exec_lo
	v_cmpx_gt_u32_e32 8, v83
; %bb.2188:                             ;   in Loop: Header=BB302_2086 Depth=1
	s_delay_alu instid0(VALU_DEP_2) | instskip(NEXT) | instid1(VALU_DEP_1)
	v_clz_i32_u32_e32 v6, v19
	v_min_u32_e32 v19, 32, v6
	s_delay_alu instid0(VALU_DEP_1) | instskip(NEXT) | instid1(VALU_DEP_1)
	v_subrev_nc_u32_e32 v6, 28, v19
	v_lshlrev_b64_e32 v[6:7], v6, v[54:55]
	s_delay_alu instid0(VALU_DEP_1)
	v_dual_sub_nc_u32 v82, 29, v19 :: v_dual_bitop2_b32 v19, 7, v6 bitop3:0x40
; %bb.2189:                             ;   in Loop: Header=BB302_2086 Depth=1
	s_or_b32 exec_lo, exec_lo, s26
	s_delay_alu instid0(VALU_DEP_1) | instskip(NEXT) | instid1(VALU_DEP_2)
	v_dual_lshlrev_b32 v6, 8, v81 :: v_dual_lshlrev_b32 v19, 7, v19
	v_lshl_add_u32 v7, v82, 10, 0x2000
	s_delay_alu instid0(VALU_DEP_2) | instskip(NEXT) | instid1(VALU_DEP_2)
	v_and_b32_e32 v6, 0x8000, v6
	v_and_b32_e32 v7, 0xfc00, v7
	s_delay_alu instid0(VALU_DEP_1)
	v_or3_b32 v19, v6, v7, v19
.LBB302_2190:                           ;   in Loop: Header=BB302_2086 Depth=1
	s_or_b32 exec_lo, exec_lo, s25
.LBB302_2191:                           ;   in Loop: Header=BB302_2086 Depth=1
	s_delay_alu instid0(SALU_CYCLE_1)
	s_or_b32 exec_lo, exec_lo, s24
.LBB302_2192:                           ;   in Loop: Header=BB302_2086 Depth=1
	s_delay_alu instid0(SALU_CYCLE_1) | instskip(SKIP_3) | instid1(VALU_DEP_2)
	s_or_b32 exec_lo, exec_lo, s23
	v_lshrrev_b16 v54, 8, v54
	v_mov_b32_e32 v82, 0
	s_mov_b32 s23, exec_lo
	v_cmpx_ne_u16_e32 0, v54
	s_cbranch_execz .LBB302_2200
; %bb.2193:                             ;   in Loop: Header=BB302_2086 Depth=1
	v_bfrev_b32_e32 v82, 1
	s_mov_b32 s24, exec_lo
	v_cmpx_ne_u16_e32 0x80, v54
	s_cbranch_execz .LBB302_2199
; %bb.2194:                             ;   in Loop: Header=BB302_2086 Depth=1
	v_and_b32_e32 v83, 0xffff, v54
	v_mov_b32_e32 v82, 0x7c010000
	s_mov_b32 s25, exec_lo
	s_delay_alu instid0(VALU_DEP_2) | instskip(NEXT) | instid1(VALU_DEP_1)
	v_and_b32_e32 v85, 0x7f, v83
	v_cmpx_ne_u32_e32 0x7f, v85
	s_cbranch_execz .LBB302_2198
; %bb.2195:                             ;   in Loop: Header=BB302_2086 Depth=1
	v_dual_lshrrev_b32 v84, 3, v85 :: v_dual_bitop2_b32 v82, 7, v83 bitop3:0x40
	s_mov_b32 s26, exec_lo
	v_cmpx_gt_u32_e32 8, v85
; %bb.2196:                             ;   in Loop: Header=BB302_2086 Depth=1
	s_delay_alu instid0(VALU_DEP_2) | instskip(NEXT) | instid1(VALU_DEP_1)
	v_clz_i32_u32_e32 v6, v82
	v_min_u32_e32 v64, 32, v6
	s_delay_alu instid0(VALU_DEP_1) | instskip(NEXT) | instid1(VALU_DEP_1)
	v_subrev_nc_u32_e32 v6, 28, v64
	v_lshlrev_b64_e32 v[6:7], v6, v[54:55]
	s_delay_alu instid0(VALU_DEP_1)
	v_dual_sub_nc_u32 v84, 29, v64 :: v_dual_bitop2_b32 v82, 7, v6 bitop3:0x40
; %bb.2197:                             ;   in Loop: Header=BB302_2086 Depth=1
	s_or_b32 exec_lo, exec_lo, s26
	v_lshlrev_b32_e32 v6, 8, v83
	s_delay_alu instid0(VALU_DEP_2) | instskip(NEXT) | instid1(VALU_DEP_1)
	v_lshl_add_u32 v7, v84, 10, 0x2000
	v_and_or_b32 v6, 0x8000, v6, v7
	v_lshlrev_b32_e32 v7, 23, v82
	s_delay_alu instid0(VALU_DEP_1)
	v_lshl_or_b32 v82, v6, 16, v7
.LBB302_2198:                           ;   in Loop: Header=BB302_2086 Depth=1
	s_or_b32 exec_lo, exec_lo, s25
.LBB302_2199:                           ;   in Loop: Header=BB302_2086 Depth=1
	s_delay_alu instid0(SALU_CYCLE_1)
	s_or_b32 exec_lo, exec_lo, s24
.LBB302_2200:                           ;   in Loop: Header=BB302_2086 Depth=1
	s_delay_alu instid0(SALU_CYCLE_1) | instskip(SKIP_2) | instid1(VALU_DEP_1)
	s_or_b32 exec_lo, exec_lo, s23
	v_lshrrev_b32_e32 v54, 16, v81
	s_mov_b32 s23, exec_lo
	v_and_b32_e32 v83, 0xff, v54
	s_delay_alu instid0(VALU_DEP_1)
	v_cmpx_ne_u16_e32 0, v83
	s_cbranch_execz .LBB302_2208
; %bb.2201:                             ;   in Loop: Header=BB302_2086 Depth=1
	v_mov_b32_e32 v71, 0x8000
	s_mov_b32 s24, exec_lo
	v_cmpx_ne_u16_e32 0x80, v83
	s_cbranch_execz .LBB302_2207
; %bb.2202:                             ;   in Loop: Header=BB302_2086 Depth=1
	v_bfe_u32 v84, v81, 16, 7
	v_mov_b32_e32 v71, 0x7c01
	s_mov_b32 s25, exec_lo
	s_delay_alu instid0(VALU_DEP_2)
	v_cmpx_ne_u32_e32 0x7f, v84
	s_cbranch_execz .LBB302_2206
; %bb.2203:                             ;   in Loop: Header=BB302_2086 Depth=1
	v_dual_lshrrev_b32 v83, 3, v84 :: v_dual_bitop2_b32 v71, 7, v54 bitop3:0x40
	s_mov_b32 s26, exec_lo
	v_cmpx_gt_u32_e32 8, v84
; %bb.2204:                             ;   in Loop: Header=BB302_2086 Depth=1
	s_delay_alu instid0(VALU_DEP_2) | instskip(NEXT) | instid1(VALU_DEP_1)
	v_clz_i32_u32_e32 v6, v71
	v_min_u32_e32 v64, 32, v6
	s_delay_alu instid0(VALU_DEP_1) | instskip(NEXT) | instid1(VALU_DEP_1)
	v_subrev_nc_u32_e32 v6, 28, v64
	v_lshlrev_b64_e32 v[6:7], v6, v[54:55]
	s_delay_alu instid0(VALU_DEP_1)
	v_dual_sub_nc_u32 v83, 29, v64 :: v_dual_bitop2_b32 v71, 7, v6 bitop3:0x40
; %bb.2205:                             ;   in Loop: Header=BB302_2086 Depth=1
	s_or_b32 exec_lo, exec_lo, s26
	s_delay_alu instid0(VALU_DEP_1) | instskip(NEXT) | instid1(VALU_DEP_2)
	v_dual_lshlrev_b32 v6, 8, v54 :: v_dual_lshlrev_b32 v54, 7, v71
	v_lshl_add_u32 v7, v83, 10, 0x2000
	s_delay_alu instid0(VALU_DEP_2) | instskip(NEXT) | instid1(VALU_DEP_2)
	v_and_b32_e32 v6, 0x8000, v6
	v_and_b32_e32 v7, 0xfc00, v7
	s_delay_alu instid0(VALU_DEP_1)
	v_or3_b32 v71, v6, v7, v54
.LBB302_2206:                           ;   in Loop: Header=BB302_2086 Depth=1
	s_or_b32 exec_lo, exec_lo, s25
.LBB302_2207:                           ;   in Loop: Header=BB302_2086 Depth=1
	s_delay_alu instid0(SALU_CYCLE_1)
	s_or_b32 exec_lo, exec_lo, s24
.LBB302_2208:                           ;   in Loop: Header=BB302_2086 Depth=1
	s_delay_alu instid0(SALU_CYCLE_1)
	s_or_b32 exec_lo, exec_lo, s23
	v_cmp_lt_u64_e64 s8, s[16:17], v[80:81]
	v_mov_b32_e32 v80, 0
	s_and_saveexec_b32 s23, s8
	s_cbranch_execz .LBB302_2216
; %bb.2209:                             ;   in Loop: Header=BB302_2086 Depth=1
	v_lshrrev_b32_e32 v54, 24, v81
	v_bfrev_b32_e32 v80, 1
	s_mov_b32 s24, exec_lo
	s_delay_alu instid0(VALU_DEP_2)
	v_cmpx_ne_u32_e32 0x80, v54
	s_cbranch_execz .LBB302_2215
; %bb.2210:                             ;   in Loop: Header=BB302_2086 Depth=1
	v_and_b32_e32 v83, 0x7f, v54
	v_mov_b32_e32 v80, 0x7c010000
	s_mov_b32 s25, exec_lo
	s_delay_alu instid0(VALU_DEP_2)
	v_cmpx_ne_u32_e32 0x7f, v83
	s_cbranch_execz .LBB302_2214
; %bb.2211:                             ;   in Loop: Header=BB302_2086 Depth=1
	v_dual_lshrrev_b32 v81, 3, v83 :: v_dual_bitop2_b32 v80, 7, v54 bitop3:0x40
	s_mov_b32 s26, exec_lo
	v_cmpx_gt_u32_e32 8, v83
; %bb.2212:                             ;   in Loop: Header=BB302_2086 Depth=1
	s_delay_alu instid0(VALU_DEP_2) | instskip(NEXT) | instid1(VALU_DEP_1)
	v_clz_i32_u32_e32 v6, v80
	v_min_u32_e32 v64, 32, v6
	s_delay_alu instid0(VALU_DEP_1) | instskip(NEXT) | instid1(VALU_DEP_1)
	v_subrev_nc_u32_e32 v6, 28, v64
	v_lshlrev_b64_e32 v[6:7], v6, v[54:55]
	s_delay_alu instid0(VALU_DEP_1)
	v_dual_sub_nc_u32 v81, 29, v64 :: v_dual_bitop2_b32 v80, 7, v6 bitop3:0x40
; %bb.2213:                             ;   in Loop: Header=BB302_2086 Depth=1
	s_or_b32 exec_lo, exec_lo, s26
	v_lshlrev_b32_e32 v6, 8, v54
	s_delay_alu instid0(VALU_DEP_2) | instskip(NEXT) | instid1(VALU_DEP_1)
	v_lshl_add_u32 v7, v81, 10, 0x2000
	v_and_or_b32 v6, 0x8000, v6, v7
	v_lshlrev_b32_e32 v7, 23, v80
	s_delay_alu instid0(VALU_DEP_1)
	v_lshl_or_b32 v80, v6, 16, v7
.LBB302_2214:                           ;   in Loop: Header=BB302_2086 Depth=1
	s_or_b32 exec_lo, exec_lo, s25
.LBB302_2215:                           ;   in Loop: Header=BB302_2086 Depth=1
	s_delay_alu instid0(SALU_CYCLE_1)
	s_or_b32 exec_lo, exec_lo, s24
.LBB302_2216:                           ;   in Loop: Header=BB302_2086 Depth=1
	s_delay_alu instid0(SALU_CYCLE_1) | instskip(SKIP_3) | instid1(VALU_DEP_3)
	s_or_b32 exec_lo, exec_lo, s23
	v_dual_lshrrev_b32 v6, 16, v0 :: v_dual_bitop2_b32 v54, v0, v1 bitop3:0x54
	v_dual_lshrrev_b32 v7, 16, v12 :: v_dual_bitop2_b32 v12, v12, v18 bitop3:0x54
	;; [unrolled: 1-line block ×3, first 2 shown]
	v_cvt_f32_f16_e32 v1, v6
	s_delay_alu instid0(VALU_DEP_3)
	v_cvt_f32_f16_e32 v0, v7
	v_lshrrev_b32_e32 v65, 16, v80
	v_cvt_f32_f16_e32 v6, v12
	v_or_b32_e32 v12, v82, v19
	v_cvt_f32_f16_e32 v7, v54
	s_wait_loadcnt_dscnt 0x0
	v_pk_mul_f32 v[0:1], v[70:71], v[0:1] op_sel_hi:[0,1]
	v_cvt_f32_f16_e32 v19, v18
	v_cvt_f32_f16_e32 v18, v65
	;; [unrolled: 1-line block ×4, first 2 shown]
	v_pk_mul_f32 v[6:7], v[70:71], v[6:7] op_sel_hi:[0,1]
	v_cvt_pk_f16_f32 v12, v0, v1
	v_pk_mul_f32 v[0:1], v[70:71], v[18:19] op_sel_hi:[0,1]
	s_delay_alu instid0(VALU_DEP_4) | instskip(NEXT) | instid1(VALU_DEP_4)
	v_pk_mul_f32 v[18:19], v[70:71], v[64:65] op_sel_hi:[0,1]
	v_cvt_pk_f16_f32 v6, v6, v7
	s_delay_alu instid0(VALU_DEP_4) | instskip(NEXT) | instid1(VALU_DEP_4)
	v_and_b32_e32 v71, 0xffff0000, v12
	v_cvt_pk_f16_f32 v0, v0, v1
	v_lshlrev_b32_e32 v82, 16, v12
	v_cvt_pk_f16_f32 v1, v18, v19
	v_lshrrev_b32_e32 v87, 16, v6
	v_and_b32_e32 v86, 0xffff, v6
	v_and_b32_e32 v19, 0xffff0000, v0
	s_delay_alu instid0(VALU_DEP_4) | instskip(SKIP_3) | instid1(VALU_DEP_4)
	v_dual_lshlrev_b32 v54, 16, v0 :: v_dual_lshrrev_b32 v85, 16, v1
	v_and_b32_e32 v84, 0xffff, v1
	v_or_b32_e32 v83, v71, v87
	v_or_b32_e32 v80, v82, v86
	;; [unrolled: 1-line block ×3, first 2 shown]
	s_delay_alu instid0(VALU_DEP_4)
	v_or_b32_e32 v70, v54, v84
	s_and_saveexec_b32 s8, s3
	s_cbranch_execz .LBB302_2218
; %bb.2217:                             ;   in Loop: Header=BB302_2086 Depth=1
	v_dual_cndmask_b32 v0, 0, v87, vcc_lo :: v_dual_cndmask_b32 v1, 0, v86, s0
	v_dual_cndmask_b32 v6, 0, v71, s1 :: v_dual_cndmask_b32 v7, 0, v82, s2
	v_dual_cndmask_b32 v12, 0, v85, s4 :: v_dual_cndmask_b32 v18, 0, v84, s5
	;; [unrolled: 1-line block ×3, first 2 shown]
	s_delay_alu instid0(VALU_DEP_3) | instskip(NEXT) | instid1(VALU_DEP_4)
	v_or_b32_e32 v83, v0, v6
	v_or_b32_e32 v80, v1, v7
	s_delay_alu instid0(VALU_DEP_3) | instskip(NEXT) | instid1(VALU_DEP_4)
	v_or_b32_e32 v81, v12, v19
	v_or_b32_e32 v70, v18, v54
.LBB302_2218:                           ;   in Loop: Header=BB302_2086 Depth=1
	s_or_b32 exec_lo, exec_lo, s8
	;;#ASMSTART
	v_pk_mul_f16 v0, v112, v83;

	;;#ASMEND
	;;#ASMSTART
	v_pk_mul_f16 v1, v103, v80;

	;;#ASMEND
	;; [unrolled: 4-line block ×4, first 2 shown]
	;;#ASMSTART
	v_pk_add_f16 v0, v0, v1;

	;;#ASMEND
	;;#ASMSTART
	v_pk_add_f16 v0, v0, v6;

	;;#ASMEND
	;; [unrolled: 4-line block ×3, first 2 shown]
	v_and_b32_e32 v1, 0xffff, v0
	v_lshrrev_b32_e32 v0, 16, v0
	;;#ASMSTART
	v_cvt_f32_f16 v115, v1;
	;;#ASMEND
	v_mov_b32_e32 v1, 0
	;;#ASMSTART
	v_cvt_f32_f16 v116, v0;
	;;#ASMEND
	flat_load_b64 v[80:81], v[68:69] offset:512
	flat_load_b32 v70, v[22:23]
	v_mov_b32_e32 v0, 0
	s_mov_b32 s23, exec_lo
	s_wait_loadcnt_dscnt 0x101
	v_and_b32_e32 v12, 0xff, v80
	s_wait_xcnt 0x0
	s_delay_alu instid0(VALU_DEP_1)
	v_cmpx_ne_u16_e32 0, v12
	s_cbranch_execz .LBB302_2226
; %bb.2219:                             ;   in Loop: Header=BB302_2086 Depth=1
	v_mov_b32_e32 v1, 0x8000
	s_mov_b32 s24, exec_lo
	v_cmpx_ne_u16_e32 0x80, v12
	s_cbranch_execz .LBB302_2225
; %bb.2220:                             ;   in Loop: Header=BB302_2086 Depth=1
	v_and_b32_e32 v18, 0x7f, v80
	v_mov_b32_e32 v1, 0x7c01
	s_mov_b32 s25, exec_lo
	s_delay_alu instid0(VALU_DEP_2)
	v_cmpx_ne_u32_e32 0x7f, v18
	s_cbranch_execz .LBB302_2224
; %bb.2221:                             ;   in Loop: Header=BB302_2086 Depth=1
	v_dual_lshrrev_b32 v12, 3, v18 :: v_dual_bitop2_b32 v1, 7, v80 bitop3:0x40
	s_mov_b32 s26, exec_lo
	v_cmpx_gt_u32_e32 8, v18
; %bb.2222:                             ;   in Loop: Header=BB302_2086 Depth=1
	s_delay_alu instid0(VALU_DEP_2) | instskip(NEXT) | instid1(VALU_DEP_1)
	v_clz_i32_u32_e32 v1, v1
	v_min_u32_e32 v1, 32, v1
	s_delay_alu instid0(VALU_DEP_1) | instskip(NEXT) | instid1(VALU_DEP_1)
	v_subrev_nc_u32_e32 v6, 28, v1
	v_lshlrev_b64_e32 v[6:7], v6, v[80:81]
	s_delay_alu instid0(VALU_DEP_1)
	v_dual_sub_nc_u32 v12, 29, v1 :: v_dual_bitop2_b32 v1, 7, v6 bitop3:0x40
; %bb.2223:                             ;   in Loop: Header=BB302_2086 Depth=1
	s_or_b32 exec_lo, exec_lo, s26
	s_delay_alu instid0(VALU_DEP_1) | instskip(NEXT) | instid1(VALU_DEP_2)
	v_dual_lshlrev_b32 v6, 8, v80 :: v_dual_lshlrev_b32 v1, 7, v1
	v_lshl_add_u32 v7, v12, 10, 0x2000
	s_delay_alu instid0(VALU_DEP_2) | instskip(NEXT) | instid1(VALU_DEP_2)
	v_and_b32_e32 v6, 0x8000, v6
	v_and_b32_e32 v7, 0xfc00, v7
	s_delay_alu instid0(VALU_DEP_1)
	v_or3_b32 v1, v6, v7, v1
.LBB302_2224:                           ;   in Loop: Header=BB302_2086 Depth=1
	s_or_b32 exec_lo, exec_lo, s25
.LBB302_2225:                           ;   in Loop: Header=BB302_2086 Depth=1
	s_delay_alu instid0(SALU_CYCLE_1)
	s_or_b32 exec_lo, exec_lo, s24
.LBB302_2226:                           ;   in Loop: Header=BB302_2086 Depth=1
	s_delay_alu instid0(SALU_CYCLE_1) | instskip(SKIP_2) | instid1(VALU_DEP_1)
	s_or_b32 exec_lo, exec_lo, s23
	v_lshrrev_b16 v54, 8, v80
	s_mov_b32 s23, exec_lo
	v_cmpx_ne_u16_e32 0, v54
	s_cbranch_execz .LBB302_2234
; %bb.2227:                             ;   in Loop: Header=BB302_2086 Depth=1
	v_bfrev_b32_e32 v0, 1
	s_mov_b32 s24, exec_lo
	v_cmpx_ne_u16_e32 0x80, v54
	s_cbranch_execz .LBB302_2233
; %bb.2228:                             ;   in Loop: Header=BB302_2086 Depth=1
	v_and_b32_e32 v12, 0xffff, v54
	v_mov_b32_e32 v0, 0x7c010000
	s_mov_b32 s25, exec_lo
	s_delay_alu instid0(VALU_DEP_2) | instskip(NEXT) | instid1(VALU_DEP_1)
	v_and_b32_e32 v19, 0x7f, v12
	v_cmpx_ne_u32_e32 0x7f, v19
	s_cbranch_execz .LBB302_2232
; %bb.2229:                             ;   in Loop: Header=BB302_2086 Depth=1
	v_dual_lshrrev_b32 v18, 3, v19 :: v_dual_bitop2_b32 v0, 7, v12 bitop3:0x40
	s_mov_b32 s26, exec_lo
	v_cmpx_gt_u32_e32 8, v19
; %bb.2230:                             ;   in Loop: Header=BB302_2086 Depth=1
	s_delay_alu instid0(VALU_DEP_2) | instskip(NEXT) | instid1(VALU_DEP_1)
	v_clz_i32_u32_e32 v0, v0
	v_min_u32_e32 v0, 32, v0
	s_delay_alu instid0(VALU_DEP_1) | instskip(NEXT) | instid1(VALU_DEP_1)
	v_subrev_nc_u32_e32 v6, 28, v0
	v_lshlrev_b64_e32 v[6:7], v6, v[54:55]
	s_delay_alu instid0(VALU_DEP_1)
	v_dual_sub_nc_u32 v18, 29, v0 :: v_dual_bitop2_b32 v0, 7, v6 bitop3:0x40
; %bb.2231:                             ;   in Loop: Header=BB302_2086 Depth=1
	s_or_b32 exec_lo, exec_lo, s26
	v_lshlrev_b32_e32 v6, 8, v12
	s_delay_alu instid0(VALU_DEP_2) | instskip(NEXT) | instid1(VALU_DEP_3)
	v_lshl_add_u32 v7, v18, 10, 0x2000
	v_lshlrev_b32_e32 v0, 23, v0
	s_delay_alu instid0(VALU_DEP_2) | instskip(NEXT) | instid1(VALU_DEP_1)
	v_and_or_b32 v6, 0x8000, v6, v7
	v_lshl_or_b32 v0, v6, 16, v0
.LBB302_2232:                           ;   in Loop: Header=BB302_2086 Depth=1
	s_or_b32 exec_lo, exec_lo, s25
.LBB302_2233:                           ;   in Loop: Header=BB302_2086 Depth=1
	s_delay_alu instid0(SALU_CYCLE_1)
	s_or_b32 exec_lo, exec_lo, s24
.LBB302_2234:                           ;   in Loop: Header=BB302_2086 Depth=1
	s_delay_alu instid0(SALU_CYCLE_1) | instskip(SKIP_3) | instid1(VALU_DEP_2)
	s_or_b32 exec_lo, exec_lo, s23
	v_dual_lshrrev_b32 v54, 16, v80 :: v_dual_mov_b32 v12, 0
	v_mov_b32_e32 v18, 0
	s_mov_b32 s23, exec_lo
	v_and_b32_e32 v19, 0xff, v54
	s_delay_alu instid0(VALU_DEP_1)
	v_cmpx_ne_u16_e32 0, v19
	s_cbranch_execz .LBB302_2242
; %bb.2235:                             ;   in Loop: Header=BB302_2086 Depth=1
	v_mov_b32_e32 v18, 0x8000
	s_mov_b32 s24, exec_lo
	v_cmpx_ne_u16_e32 0x80, v19
	s_cbranch_execz .LBB302_2241
; %bb.2236:                             ;   in Loop: Header=BB302_2086 Depth=1
	v_bfe_u32 v71, v80, 16, 7
	v_mov_b32_e32 v18, 0x7c01
	s_mov_b32 s25, exec_lo
	s_delay_alu instid0(VALU_DEP_2)
	v_cmpx_ne_u32_e32 0x7f, v71
	s_cbranch_execz .LBB302_2240
; %bb.2237:                             ;   in Loop: Header=BB302_2086 Depth=1
	v_dual_lshrrev_b32 v19, 3, v71 :: v_dual_bitop2_b32 v18, 7, v54 bitop3:0x40
	s_mov_b32 s26, exec_lo
	v_cmpx_gt_u32_e32 8, v71
; %bb.2238:                             ;   in Loop: Header=BB302_2086 Depth=1
	s_delay_alu instid0(VALU_DEP_2) | instskip(NEXT) | instid1(VALU_DEP_1)
	v_clz_i32_u32_e32 v6, v18
	v_min_u32_e32 v18, 32, v6
	s_delay_alu instid0(VALU_DEP_1) | instskip(SKIP_1) | instid1(VALU_DEP_2)
	v_subrev_nc_u32_e32 v6, 28, v18
	v_sub_nc_u32_e32 v19, 29, v18
	v_lshlrev_b64_e32 v[6:7], v6, v[54:55]
	s_delay_alu instid0(VALU_DEP_1)
	v_and_b32_e32 v18, 7, v6
; %bb.2239:                             ;   in Loop: Header=BB302_2086 Depth=1
	s_or_b32 exec_lo, exec_lo, s26
	v_lshlrev_b32_e32 v6, 8, v54
	v_lshl_add_u32 v7, v19, 10, 0x2000
	s_delay_alu instid0(VALU_DEP_3) | instskip(NEXT) | instid1(VALU_DEP_3)
	v_lshlrev_b32_e32 v18, 7, v18
	v_and_b32_e32 v6, 0x8000, v6
	s_delay_alu instid0(VALU_DEP_3) | instskip(NEXT) | instid1(VALU_DEP_1)
	v_and_b32_e32 v7, 0xfc00, v7
	v_or3_b32 v18, v6, v7, v18
.LBB302_2240:                           ;   in Loop: Header=BB302_2086 Depth=1
	s_or_b32 exec_lo, exec_lo, s25
.LBB302_2241:                           ;   in Loop: Header=BB302_2086 Depth=1
	s_delay_alu instid0(SALU_CYCLE_1)
	s_or_b32 exec_lo, exec_lo, s24
.LBB302_2242:                           ;   in Loop: Header=BB302_2086 Depth=1
	s_delay_alu instid0(SALU_CYCLE_1) | instskip(NEXT) | instid1(SALU_CYCLE_1)
	s_or_b32 exec_lo, exec_lo, s23
	s_mov_b32 s23, exec_lo
	v_cmpx_lt_u32_e32 0xffffff, v80
	s_cbranch_execz .LBB302_2250
; %bb.2243:                             ;   in Loop: Header=BB302_2086 Depth=1
	v_lshrrev_b32_e32 v54, 24, v80
	v_bfrev_b32_e32 v12, 1
	s_mov_b32 s24, exec_lo
	s_delay_alu instid0(VALU_DEP_2)
	v_cmpx_ne_u32_e32 0x80, v54
	s_cbranch_execz .LBB302_2249
; %bb.2244:                             ;   in Loop: Header=BB302_2086 Depth=1
	v_and_b32_e32 v71, 0x7f, v54
	v_mov_b32_e32 v12, 0x7c010000
	s_mov_b32 s25, exec_lo
	s_delay_alu instid0(VALU_DEP_2)
	v_cmpx_ne_u32_e32 0x7f, v71
	s_cbranch_execz .LBB302_2248
; %bb.2245:                             ;   in Loop: Header=BB302_2086 Depth=1
	v_dual_lshrrev_b32 v19, 3, v71 :: v_dual_bitop2_b32 v12, 7, v54 bitop3:0x40
	s_mov_b32 s26, exec_lo
	v_cmpx_gt_u32_e32 8, v71
; %bb.2246:                             ;   in Loop: Header=BB302_2086 Depth=1
	s_delay_alu instid0(VALU_DEP_2) | instskip(NEXT) | instid1(VALU_DEP_1)
	v_clz_i32_u32_e32 v6, v12
	v_min_u32_e32 v12, 32, v6
	s_delay_alu instid0(VALU_DEP_1) | instskip(NEXT) | instid1(VALU_DEP_1)
	v_subrev_nc_u32_e32 v6, 28, v12
	v_lshlrev_b64_e32 v[6:7], v6, v[54:55]
	s_delay_alu instid0(VALU_DEP_1)
	v_dual_sub_nc_u32 v19, 29, v12 :: v_dual_bitop2_b32 v12, 7, v6 bitop3:0x40
; %bb.2247:                             ;   in Loop: Header=BB302_2086 Depth=1
	s_or_b32 exec_lo, exec_lo, s26
	v_lshlrev_b32_e32 v6, 8, v54
	s_delay_alu instid0(VALU_DEP_2) | instskip(NEXT) | instid1(VALU_DEP_1)
	v_lshl_add_u32 v7, v19, 10, 0x2000
	v_and_or_b32 v6, 0x8000, v6, v7
	v_lshlrev_b32_e32 v7, 23, v12
	s_delay_alu instid0(VALU_DEP_1)
	v_lshl_or_b32 v12, v6, 16, v7
.LBB302_2248:                           ;   in Loop: Header=BB302_2086 Depth=1
	s_or_b32 exec_lo, exec_lo, s25
.LBB302_2249:                           ;   in Loop: Header=BB302_2086 Depth=1
	s_delay_alu instid0(SALU_CYCLE_1)
	s_or_b32 exec_lo, exec_lo, s24
.LBB302_2250:                           ;   in Loop: Header=BB302_2086 Depth=1
	s_delay_alu instid0(SALU_CYCLE_1) | instskip(SKIP_4) | instid1(VALU_DEP_3)
	s_or_b32 exec_lo, exec_lo, s23
	v_and_b32_e32 v82, 0xff, v81
	v_dual_mov_b32 v54, v81 :: v_dual_mov_b32 v71, 0
	v_mov_b32_e32 v19, 0
	s_mov_b32 s23, exec_lo
	v_cmpx_ne_u16_e32 0, v82
	s_cbranch_execz .LBB302_2258
; %bb.2251:                             ;   in Loop: Header=BB302_2086 Depth=1
	v_mov_b32_e32 v19, 0x8000
	s_mov_b32 s24, exec_lo
	v_cmpx_ne_u16_e32 0x80, v82
	s_cbranch_execz .LBB302_2257
; %bb.2252:                             ;   in Loop: Header=BB302_2086 Depth=1
	v_and_b32_e32 v83, 0x7f, v81
	v_mov_b32_e32 v19, 0x7c01
	s_mov_b32 s25, exec_lo
	s_delay_alu instid0(VALU_DEP_2)
	v_cmpx_ne_u32_e32 0x7f, v83
	s_cbranch_execz .LBB302_2256
; %bb.2253:                             ;   in Loop: Header=BB302_2086 Depth=1
	v_dual_lshrrev_b32 v82, 3, v83 :: v_dual_bitop2_b32 v19, 7, v81 bitop3:0x40
	s_mov_b32 s26, exec_lo
	v_cmpx_gt_u32_e32 8, v83
; %bb.2254:                             ;   in Loop: Header=BB302_2086 Depth=1
	s_delay_alu instid0(VALU_DEP_2) | instskip(NEXT) | instid1(VALU_DEP_1)
	v_clz_i32_u32_e32 v6, v19
	v_min_u32_e32 v19, 32, v6
	s_delay_alu instid0(VALU_DEP_1) | instskip(NEXT) | instid1(VALU_DEP_1)
	v_subrev_nc_u32_e32 v6, 28, v19
	v_lshlrev_b64_e32 v[6:7], v6, v[54:55]
	s_delay_alu instid0(VALU_DEP_1)
	v_dual_sub_nc_u32 v82, 29, v19 :: v_dual_bitop2_b32 v19, 7, v6 bitop3:0x40
; %bb.2255:                             ;   in Loop: Header=BB302_2086 Depth=1
	s_or_b32 exec_lo, exec_lo, s26
	s_delay_alu instid0(VALU_DEP_1) | instskip(NEXT) | instid1(VALU_DEP_2)
	v_dual_lshlrev_b32 v6, 8, v81 :: v_dual_lshlrev_b32 v19, 7, v19
	v_lshl_add_u32 v7, v82, 10, 0x2000
	s_delay_alu instid0(VALU_DEP_2) | instskip(NEXT) | instid1(VALU_DEP_2)
	v_and_b32_e32 v6, 0x8000, v6
	v_and_b32_e32 v7, 0xfc00, v7
	s_delay_alu instid0(VALU_DEP_1)
	v_or3_b32 v19, v6, v7, v19
.LBB302_2256:                           ;   in Loop: Header=BB302_2086 Depth=1
	s_or_b32 exec_lo, exec_lo, s25
.LBB302_2257:                           ;   in Loop: Header=BB302_2086 Depth=1
	s_delay_alu instid0(SALU_CYCLE_1)
	s_or_b32 exec_lo, exec_lo, s24
.LBB302_2258:                           ;   in Loop: Header=BB302_2086 Depth=1
	s_delay_alu instid0(SALU_CYCLE_1) | instskip(SKIP_3) | instid1(VALU_DEP_2)
	s_or_b32 exec_lo, exec_lo, s23
	v_lshrrev_b16 v54, 8, v54
	v_mov_b32_e32 v82, 0
	s_mov_b32 s23, exec_lo
	v_cmpx_ne_u16_e32 0, v54
	s_cbranch_execz .LBB302_2266
; %bb.2259:                             ;   in Loop: Header=BB302_2086 Depth=1
	v_bfrev_b32_e32 v82, 1
	s_mov_b32 s24, exec_lo
	v_cmpx_ne_u16_e32 0x80, v54
	s_cbranch_execz .LBB302_2265
; %bb.2260:                             ;   in Loop: Header=BB302_2086 Depth=1
	v_and_b32_e32 v83, 0xffff, v54
	v_mov_b32_e32 v82, 0x7c010000
	s_mov_b32 s25, exec_lo
	s_delay_alu instid0(VALU_DEP_2) | instskip(NEXT) | instid1(VALU_DEP_1)
	v_and_b32_e32 v85, 0x7f, v83
	v_cmpx_ne_u32_e32 0x7f, v85
	s_cbranch_execz .LBB302_2264
; %bb.2261:                             ;   in Loop: Header=BB302_2086 Depth=1
	v_dual_lshrrev_b32 v84, 3, v85 :: v_dual_bitop2_b32 v82, 7, v83 bitop3:0x40
	s_mov_b32 s26, exec_lo
	v_cmpx_gt_u32_e32 8, v85
; %bb.2262:                             ;   in Loop: Header=BB302_2086 Depth=1
	s_delay_alu instid0(VALU_DEP_2) | instskip(NEXT) | instid1(VALU_DEP_1)
	v_clz_i32_u32_e32 v6, v82
	v_min_u32_e32 v64, 32, v6
	s_delay_alu instid0(VALU_DEP_1) | instskip(NEXT) | instid1(VALU_DEP_1)
	v_subrev_nc_u32_e32 v6, 28, v64
	v_lshlrev_b64_e32 v[6:7], v6, v[54:55]
	s_delay_alu instid0(VALU_DEP_1)
	v_dual_sub_nc_u32 v84, 29, v64 :: v_dual_bitop2_b32 v82, 7, v6 bitop3:0x40
; %bb.2263:                             ;   in Loop: Header=BB302_2086 Depth=1
	s_or_b32 exec_lo, exec_lo, s26
	v_lshlrev_b32_e32 v6, 8, v83
	s_delay_alu instid0(VALU_DEP_2) | instskip(NEXT) | instid1(VALU_DEP_1)
	v_lshl_add_u32 v7, v84, 10, 0x2000
	v_and_or_b32 v6, 0x8000, v6, v7
	v_lshlrev_b32_e32 v7, 23, v82
	s_delay_alu instid0(VALU_DEP_1)
	v_lshl_or_b32 v82, v6, 16, v7
.LBB302_2264:                           ;   in Loop: Header=BB302_2086 Depth=1
	s_or_b32 exec_lo, exec_lo, s25
.LBB302_2265:                           ;   in Loop: Header=BB302_2086 Depth=1
	s_delay_alu instid0(SALU_CYCLE_1)
	s_or_b32 exec_lo, exec_lo, s24
.LBB302_2266:                           ;   in Loop: Header=BB302_2086 Depth=1
	s_delay_alu instid0(SALU_CYCLE_1) | instskip(SKIP_2) | instid1(VALU_DEP_1)
	s_or_b32 exec_lo, exec_lo, s23
	v_lshrrev_b32_e32 v54, 16, v81
	s_mov_b32 s23, exec_lo
	v_and_b32_e32 v83, 0xff, v54
	s_delay_alu instid0(VALU_DEP_1)
	v_cmpx_ne_u16_e32 0, v83
	s_cbranch_execz .LBB302_2274
; %bb.2267:                             ;   in Loop: Header=BB302_2086 Depth=1
	v_mov_b32_e32 v71, 0x8000
	s_mov_b32 s24, exec_lo
	v_cmpx_ne_u16_e32 0x80, v83
	s_cbranch_execz .LBB302_2273
; %bb.2268:                             ;   in Loop: Header=BB302_2086 Depth=1
	v_bfe_u32 v84, v81, 16, 7
	v_mov_b32_e32 v71, 0x7c01
	s_mov_b32 s25, exec_lo
	s_delay_alu instid0(VALU_DEP_2)
	v_cmpx_ne_u32_e32 0x7f, v84
	s_cbranch_execz .LBB302_2272
; %bb.2269:                             ;   in Loop: Header=BB302_2086 Depth=1
	v_dual_lshrrev_b32 v83, 3, v84 :: v_dual_bitop2_b32 v71, 7, v54 bitop3:0x40
	s_mov_b32 s26, exec_lo
	v_cmpx_gt_u32_e32 8, v84
; %bb.2270:                             ;   in Loop: Header=BB302_2086 Depth=1
	s_delay_alu instid0(VALU_DEP_2) | instskip(NEXT) | instid1(VALU_DEP_1)
	v_clz_i32_u32_e32 v6, v71
	v_min_u32_e32 v64, 32, v6
	s_delay_alu instid0(VALU_DEP_1) | instskip(NEXT) | instid1(VALU_DEP_1)
	v_subrev_nc_u32_e32 v6, 28, v64
	v_lshlrev_b64_e32 v[6:7], v6, v[54:55]
	s_delay_alu instid0(VALU_DEP_1)
	v_dual_sub_nc_u32 v83, 29, v64 :: v_dual_bitop2_b32 v71, 7, v6 bitop3:0x40
; %bb.2271:                             ;   in Loop: Header=BB302_2086 Depth=1
	s_or_b32 exec_lo, exec_lo, s26
	s_delay_alu instid0(VALU_DEP_1) | instskip(NEXT) | instid1(VALU_DEP_2)
	v_dual_lshlrev_b32 v6, 8, v54 :: v_dual_lshlrev_b32 v54, 7, v71
	v_lshl_add_u32 v7, v83, 10, 0x2000
	s_delay_alu instid0(VALU_DEP_2) | instskip(NEXT) | instid1(VALU_DEP_2)
	v_and_b32_e32 v6, 0x8000, v6
	v_and_b32_e32 v7, 0xfc00, v7
	s_delay_alu instid0(VALU_DEP_1)
	v_or3_b32 v71, v6, v7, v54
.LBB302_2272:                           ;   in Loop: Header=BB302_2086 Depth=1
	s_or_b32 exec_lo, exec_lo, s25
.LBB302_2273:                           ;   in Loop: Header=BB302_2086 Depth=1
	s_delay_alu instid0(SALU_CYCLE_1)
	s_or_b32 exec_lo, exec_lo, s24
.LBB302_2274:                           ;   in Loop: Header=BB302_2086 Depth=1
	s_delay_alu instid0(SALU_CYCLE_1)
	s_or_b32 exec_lo, exec_lo, s23
	v_cmp_lt_u64_e64 s8, s[16:17], v[80:81]
	v_mov_b32_e32 v80, 0
	s_and_saveexec_b32 s23, s8
	s_cbranch_execz .LBB302_2282
; %bb.2275:                             ;   in Loop: Header=BB302_2086 Depth=1
	v_lshrrev_b32_e32 v54, 24, v81
	v_bfrev_b32_e32 v80, 1
	s_mov_b32 s24, exec_lo
	s_delay_alu instid0(VALU_DEP_2)
	v_cmpx_ne_u32_e32 0x80, v54
	s_cbranch_execz .LBB302_2281
; %bb.2276:                             ;   in Loop: Header=BB302_2086 Depth=1
	v_and_b32_e32 v83, 0x7f, v54
	v_mov_b32_e32 v80, 0x7c010000
	s_mov_b32 s25, exec_lo
	s_delay_alu instid0(VALU_DEP_2)
	v_cmpx_ne_u32_e32 0x7f, v83
	s_cbranch_execz .LBB302_2280
; %bb.2277:                             ;   in Loop: Header=BB302_2086 Depth=1
	v_dual_lshrrev_b32 v81, 3, v83 :: v_dual_bitop2_b32 v80, 7, v54 bitop3:0x40
	s_mov_b32 s26, exec_lo
	v_cmpx_gt_u32_e32 8, v83
; %bb.2278:                             ;   in Loop: Header=BB302_2086 Depth=1
	s_delay_alu instid0(VALU_DEP_2) | instskip(NEXT) | instid1(VALU_DEP_1)
	v_clz_i32_u32_e32 v6, v80
	v_min_u32_e32 v64, 32, v6
	s_delay_alu instid0(VALU_DEP_1) | instskip(NEXT) | instid1(VALU_DEP_1)
	v_subrev_nc_u32_e32 v6, 28, v64
	v_lshlrev_b64_e32 v[6:7], v6, v[54:55]
	s_delay_alu instid0(VALU_DEP_1)
	v_dual_sub_nc_u32 v81, 29, v64 :: v_dual_bitop2_b32 v80, 7, v6 bitop3:0x40
; %bb.2279:                             ;   in Loop: Header=BB302_2086 Depth=1
	s_or_b32 exec_lo, exec_lo, s26
	v_lshlrev_b32_e32 v6, 8, v54
	s_delay_alu instid0(VALU_DEP_2) | instskip(NEXT) | instid1(VALU_DEP_1)
	v_lshl_add_u32 v7, v81, 10, 0x2000
	v_and_or_b32 v6, 0x8000, v6, v7
	v_lshlrev_b32_e32 v7, 23, v80
	s_delay_alu instid0(VALU_DEP_1)
	v_lshl_or_b32 v80, v6, 16, v7
.LBB302_2280:                           ;   in Loop: Header=BB302_2086 Depth=1
	s_or_b32 exec_lo, exec_lo, s25
.LBB302_2281:                           ;   in Loop: Header=BB302_2086 Depth=1
	s_delay_alu instid0(SALU_CYCLE_1)
	s_or_b32 exec_lo, exec_lo, s24
.LBB302_2282:                           ;   in Loop: Header=BB302_2086 Depth=1
	s_delay_alu instid0(SALU_CYCLE_1) | instskip(SKIP_3) | instid1(VALU_DEP_3)
	s_or_b32 exec_lo, exec_lo, s23
	v_dual_lshrrev_b32 v6, 16, v0 :: v_dual_bitop2_b32 v54, v0, v1 bitop3:0x54
	v_dual_lshrrev_b32 v7, 16, v12 :: v_dual_bitop2_b32 v12, v12, v18 bitop3:0x54
	;; [unrolled: 1-line block ×3, first 2 shown]
	v_cvt_f32_f16_e32 v1, v6
	s_delay_alu instid0(VALU_DEP_3)
	v_cvt_f32_f16_e32 v0, v7
	v_lshrrev_b32_e32 v65, 16, v80
	v_cvt_f32_f16_e32 v6, v12
	v_or_b32_e32 v12, v82, v19
	v_cvt_f32_f16_e32 v7, v54
	s_wait_loadcnt_dscnt 0x0
	v_pk_mul_f32 v[0:1], v[70:71], v[0:1] op_sel_hi:[0,1]
	v_cvt_f32_f16_e32 v19, v18
	v_cvt_f32_f16_e32 v18, v65
	v_cvt_f32_f16_e32 v64, v64
	v_cvt_f32_f16_e32 v65, v12
	v_pk_mul_f32 v[6:7], v[70:71], v[6:7] op_sel_hi:[0,1]
	v_cvt_pk_f16_f32 v12, v0, v1
	v_pk_mul_f32 v[0:1], v[70:71], v[18:19] op_sel_hi:[0,1]
	s_delay_alu instid0(VALU_DEP_4) | instskip(NEXT) | instid1(VALU_DEP_4)
	v_pk_mul_f32 v[18:19], v[70:71], v[64:65] op_sel_hi:[0,1]
	v_cvt_pk_f16_f32 v6, v6, v7
	s_delay_alu instid0(VALU_DEP_4) | instskip(NEXT) | instid1(VALU_DEP_4)
	v_and_b32_e32 v71, 0xffff0000, v12
	v_cvt_pk_f16_f32 v0, v0, v1
	v_lshlrev_b32_e32 v82, 16, v12
	v_cvt_pk_f16_f32 v1, v18, v19
	v_lshrrev_b32_e32 v87, 16, v6
	v_and_b32_e32 v86, 0xffff, v6
	v_and_b32_e32 v19, 0xffff0000, v0
	s_delay_alu instid0(VALU_DEP_4) | instskip(SKIP_3) | instid1(VALU_DEP_4)
	v_dual_lshlrev_b32 v54, 16, v0 :: v_dual_lshrrev_b32 v85, 16, v1
	v_and_b32_e32 v84, 0xffff, v1
	v_or_b32_e32 v83, v71, v87
	v_or_b32_e32 v80, v82, v86
	;; [unrolled: 1-line block ×3, first 2 shown]
	s_delay_alu instid0(VALU_DEP_4)
	v_or_b32_e32 v70, v54, v84
	s_and_saveexec_b32 s8, s3
	s_cbranch_execz .LBB302_2284
; %bb.2283:                             ;   in Loop: Header=BB302_2086 Depth=1
	v_dual_cndmask_b32 v0, 0, v87, vcc_lo :: v_dual_cndmask_b32 v1, 0, v86, s0
	v_dual_cndmask_b32 v6, 0, v71, s1 :: v_dual_cndmask_b32 v7, 0, v82, s2
	v_dual_cndmask_b32 v12, 0, v85, s4 :: v_dual_cndmask_b32 v18, 0, v84, s5
	;; [unrolled: 1-line block ×3, first 2 shown]
	s_delay_alu instid0(VALU_DEP_3) | instskip(NEXT) | instid1(VALU_DEP_4)
	v_or_b32_e32 v83, v0, v6
	v_or_b32_e32 v80, v1, v7
	s_delay_alu instid0(VALU_DEP_3) | instskip(NEXT) | instid1(VALU_DEP_4)
	v_or_b32_e32 v81, v12, v19
	v_or_b32_e32 v70, v18, v54
.LBB302_2284:                           ;   in Loop: Header=BB302_2086 Depth=1
	s_or_b32 exec_lo, exec_lo, s8
	;;#ASMSTART
	v_pk_mul_f16 v0, v112, v83;

	;;#ASMEND
	;;#ASMSTART
	v_pk_mul_f16 v1, v103, v80;

	;;#ASMEND
	;; [unrolled: 4-line block ×4, first 2 shown]
	;;#ASMSTART
	v_pk_add_f16 v0, v0, v1;

	;;#ASMEND
	;;#ASMSTART
	v_pk_add_f16 v0, v0, v6;

	;;#ASMEND
	;; [unrolled: 4-line block ×3, first 2 shown]
	v_and_b32_e32 v1, 0xffff, v0
	v_lshrrev_b32_e32 v0, 16, v0
	;;#ASMSTART
	v_cvt_f32_f16 v117, v1;
	;;#ASMEND
	v_mov_b32_e32 v1, 0
	;;#ASMSTART
	v_cvt_f32_f16 v118, v0;
	;;#ASMEND
	flat_load_b64 v[80:81], v[68:69] offset:768
	flat_load_b32 v70, v[22:23]
	v_mov_b32_e32 v0, 0
	s_mov_b32 s23, exec_lo
	s_wait_loadcnt_dscnt 0x101
	v_and_b32_e32 v12, 0xff, v80
	s_wait_xcnt 0x0
	s_delay_alu instid0(VALU_DEP_1)
	v_cmpx_ne_u16_e32 0, v12
	s_cbranch_execz .LBB302_2292
; %bb.2285:                             ;   in Loop: Header=BB302_2086 Depth=1
	v_mov_b32_e32 v1, 0x8000
	s_mov_b32 s24, exec_lo
	v_cmpx_ne_u16_e32 0x80, v12
	s_cbranch_execz .LBB302_2291
; %bb.2286:                             ;   in Loop: Header=BB302_2086 Depth=1
	v_and_b32_e32 v18, 0x7f, v80
	v_mov_b32_e32 v1, 0x7c01
	s_mov_b32 s25, exec_lo
	s_delay_alu instid0(VALU_DEP_2)
	v_cmpx_ne_u32_e32 0x7f, v18
	s_cbranch_execz .LBB302_2290
; %bb.2287:                             ;   in Loop: Header=BB302_2086 Depth=1
	v_dual_lshrrev_b32 v12, 3, v18 :: v_dual_bitop2_b32 v1, 7, v80 bitop3:0x40
	s_mov_b32 s26, exec_lo
	v_cmpx_gt_u32_e32 8, v18
; %bb.2288:                             ;   in Loop: Header=BB302_2086 Depth=1
	s_delay_alu instid0(VALU_DEP_2) | instskip(NEXT) | instid1(VALU_DEP_1)
	v_clz_i32_u32_e32 v1, v1
	v_min_u32_e32 v1, 32, v1
	s_delay_alu instid0(VALU_DEP_1) | instskip(NEXT) | instid1(VALU_DEP_1)
	v_subrev_nc_u32_e32 v6, 28, v1
	v_lshlrev_b64_e32 v[6:7], v6, v[80:81]
	s_delay_alu instid0(VALU_DEP_1)
	v_dual_sub_nc_u32 v12, 29, v1 :: v_dual_bitop2_b32 v1, 7, v6 bitop3:0x40
; %bb.2289:                             ;   in Loop: Header=BB302_2086 Depth=1
	s_or_b32 exec_lo, exec_lo, s26
	s_delay_alu instid0(VALU_DEP_1) | instskip(NEXT) | instid1(VALU_DEP_2)
	v_dual_lshlrev_b32 v6, 8, v80 :: v_dual_lshlrev_b32 v1, 7, v1
	v_lshl_add_u32 v7, v12, 10, 0x2000
	s_delay_alu instid0(VALU_DEP_2) | instskip(NEXT) | instid1(VALU_DEP_2)
	v_and_b32_e32 v6, 0x8000, v6
	v_and_b32_e32 v7, 0xfc00, v7
	s_delay_alu instid0(VALU_DEP_1)
	v_or3_b32 v1, v6, v7, v1
.LBB302_2290:                           ;   in Loop: Header=BB302_2086 Depth=1
	s_or_b32 exec_lo, exec_lo, s25
.LBB302_2291:                           ;   in Loop: Header=BB302_2086 Depth=1
	s_delay_alu instid0(SALU_CYCLE_1)
	s_or_b32 exec_lo, exec_lo, s24
.LBB302_2292:                           ;   in Loop: Header=BB302_2086 Depth=1
	s_delay_alu instid0(SALU_CYCLE_1) | instskip(SKIP_2) | instid1(VALU_DEP_1)
	s_or_b32 exec_lo, exec_lo, s23
	v_lshrrev_b16 v54, 8, v80
	s_mov_b32 s23, exec_lo
	v_cmpx_ne_u16_e32 0, v54
	s_cbranch_execz .LBB302_2300
; %bb.2293:                             ;   in Loop: Header=BB302_2086 Depth=1
	v_bfrev_b32_e32 v0, 1
	s_mov_b32 s24, exec_lo
	v_cmpx_ne_u16_e32 0x80, v54
	s_cbranch_execz .LBB302_2299
; %bb.2294:                             ;   in Loop: Header=BB302_2086 Depth=1
	v_and_b32_e32 v12, 0xffff, v54
	v_mov_b32_e32 v0, 0x7c010000
	s_mov_b32 s25, exec_lo
	s_delay_alu instid0(VALU_DEP_2) | instskip(NEXT) | instid1(VALU_DEP_1)
	v_and_b32_e32 v19, 0x7f, v12
	v_cmpx_ne_u32_e32 0x7f, v19
	s_cbranch_execz .LBB302_2298
; %bb.2295:                             ;   in Loop: Header=BB302_2086 Depth=1
	v_dual_lshrrev_b32 v18, 3, v19 :: v_dual_bitop2_b32 v0, 7, v12 bitop3:0x40
	s_mov_b32 s26, exec_lo
	v_cmpx_gt_u32_e32 8, v19
; %bb.2296:                             ;   in Loop: Header=BB302_2086 Depth=1
	s_delay_alu instid0(VALU_DEP_2) | instskip(NEXT) | instid1(VALU_DEP_1)
	v_clz_i32_u32_e32 v0, v0
	v_min_u32_e32 v0, 32, v0
	s_delay_alu instid0(VALU_DEP_1) | instskip(NEXT) | instid1(VALU_DEP_1)
	v_subrev_nc_u32_e32 v6, 28, v0
	v_lshlrev_b64_e32 v[6:7], v6, v[54:55]
	s_delay_alu instid0(VALU_DEP_1)
	v_dual_sub_nc_u32 v18, 29, v0 :: v_dual_bitop2_b32 v0, 7, v6 bitop3:0x40
; %bb.2297:                             ;   in Loop: Header=BB302_2086 Depth=1
	s_or_b32 exec_lo, exec_lo, s26
	v_lshlrev_b32_e32 v6, 8, v12
	s_delay_alu instid0(VALU_DEP_2) | instskip(NEXT) | instid1(VALU_DEP_3)
	v_lshl_add_u32 v7, v18, 10, 0x2000
	v_lshlrev_b32_e32 v0, 23, v0
	s_delay_alu instid0(VALU_DEP_2) | instskip(NEXT) | instid1(VALU_DEP_1)
	v_and_or_b32 v6, 0x8000, v6, v7
	v_lshl_or_b32 v0, v6, 16, v0
.LBB302_2298:                           ;   in Loop: Header=BB302_2086 Depth=1
	s_or_b32 exec_lo, exec_lo, s25
.LBB302_2299:                           ;   in Loop: Header=BB302_2086 Depth=1
	s_delay_alu instid0(SALU_CYCLE_1)
	s_or_b32 exec_lo, exec_lo, s24
.LBB302_2300:                           ;   in Loop: Header=BB302_2086 Depth=1
	s_delay_alu instid0(SALU_CYCLE_1) | instskip(SKIP_3) | instid1(VALU_DEP_2)
	s_or_b32 exec_lo, exec_lo, s23
	v_dual_lshrrev_b32 v54, 16, v80 :: v_dual_mov_b32 v12, 0
	v_mov_b32_e32 v18, 0
	s_mov_b32 s23, exec_lo
	v_and_b32_e32 v19, 0xff, v54
	s_delay_alu instid0(VALU_DEP_1)
	v_cmpx_ne_u16_e32 0, v19
	s_cbranch_execz .LBB302_2308
; %bb.2301:                             ;   in Loop: Header=BB302_2086 Depth=1
	v_mov_b32_e32 v18, 0x8000
	s_mov_b32 s24, exec_lo
	v_cmpx_ne_u16_e32 0x80, v19
	s_cbranch_execz .LBB302_2307
; %bb.2302:                             ;   in Loop: Header=BB302_2086 Depth=1
	v_bfe_u32 v71, v80, 16, 7
	v_mov_b32_e32 v18, 0x7c01
	s_mov_b32 s25, exec_lo
	s_delay_alu instid0(VALU_DEP_2)
	v_cmpx_ne_u32_e32 0x7f, v71
	s_cbranch_execz .LBB302_2306
; %bb.2303:                             ;   in Loop: Header=BB302_2086 Depth=1
	v_dual_lshrrev_b32 v19, 3, v71 :: v_dual_bitop2_b32 v18, 7, v54 bitop3:0x40
	s_mov_b32 s26, exec_lo
	v_cmpx_gt_u32_e32 8, v71
; %bb.2304:                             ;   in Loop: Header=BB302_2086 Depth=1
	s_delay_alu instid0(VALU_DEP_2) | instskip(NEXT) | instid1(VALU_DEP_1)
	v_clz_i32_u32_e32 v6, v18
	v_min_u32_e32 v18, 32, v6
	s_delay_alu instid0(VALU_DEP_1) | instskip(SKIP_1) | instid1(VALU_DEP_2)
	v_subrev_nc_u32_e32 v6, 28, v18
	v_sub_nc_u32_e32 v19, 29, v18
	v_lshlrev_b64_e32 v[6:7], v6, v[54:55]
	s_delay_alu instid0(VALU_DEP_1)
	v_and_b32_e32 v18, 7, v6
; %bb.2305:                             ;   in Loop: Header=BB302_2086 Depth=1
	s_or_b32 exec_lo, exec_lo, s26
	v_lshlrev_b32_e32 v6, 8, v54
	v_lshl_add_u32 v7, v19, 10, 0x2000
	s_delay_alu instid0(VALU_DEP_3) | instskip(NEXT) | instid1(VALU_DEP_3)
	v_lshlrev_b32_e32 v18, 7, v18
	v_and_b32_e32 v6, 0x8000, v6
	s_delay_alu instid0(VALU_DEP_3) | instskip(NEXT) | instid1(VALU_DEP_1)
	v_and_b32_e32 v7, 0xfc00, v7
	v_or3_b32 v18, v6, v7, v18
.LBB302_2306:                           ;   in Loop: Header=BB302_2086 Depth=1
	s_or_b32 exec_lo, exec_lo, s25
.LBB302_2307:                           ;   in Loop: Header=BB302_2086 Depth=1
	s_delay_alu instid0(SALU_CYCLE_1)
	s_or_b32 exec_lo, exec_lo, s24
.LBB302_2308:                           ;   in Loop: Header=BB302_2086 Depth=1
	s_delay_alu instid0(SALU_CYCLE_1) | instskip(NEXT) | instid1(SALU_CYCLE_1)
	s_or_b32 exec_lo, exec_lo, s23
	s_mov_b32 s23, exec_lo
	v_cmpx_lt_u32_e32 0xffffff, v80
	s_cbranch_execz .LBB302_2316
; %bb.2309:                             ;   in Loop: Header=BB302_2086 Depth=1
	v_lshrrev_b32_e32 v54, 24, v80
	v_bfrev_b32_e32 v12, 1
	s_mov_b32 s24, exec_lo
	s_delay_alu instid0(VALU_DEP_2)
	v_cmpx_ne_u32_e32 0x80, v54
	s_cbranch_execz .LBB302_2315
; %bb.2310:                             ;   in Loop: Header=BB302_2086 Depth=1
	v_and_b32_e32 v71, 0x7f, v54
	v_mov_b32_e32 v12, 0x7c010000
	s_mov_b32 s25, exec_lo
	s_delay_alu instid0(VALU_DEP_2)
	v_cmpx_ne_u32_e32 0x7f, v71
	s_cbranch_execz .LBB302_2314
; %bb.2311:                             ;   in Loop: Header=BB302_2086 Depth=1
	v_dual_lshrrev_b32 v19, 3, v71 :: v_dual_bitop2_b32 v12, 7, v54 bitop3:0x40
	s_mov_b32 s26, exec_lo
	v_cmpx_gt_u32_e32 8, v71
; %bb.2312:                             ;   in Loop: Header=BB302_2086 Depth=1
	s_delay_alu instid0(VALU_DEP_2) | instskip(NEXT) | instid1(VALU_DEP_1)
	v_clz_i32_u32_e32 v6, v12
	v_min_u32_e32 v12, 32, v6
	s_delay_alu instid0(VALU_DEP_1) | instskip(NEXT) | instid1(VALU_DEP_1)
	v_subrev_nc_u32_e32 v6, 28, v12
	v_lshlrev_b64_e32 v[6:7], v6, v[54:55]
	s_delay_alu instid0(VALU_DEP_1)
	v_dual_sub_nc_u32 v19, 29, v12 :: v_dual_bitop2_b32 v12, 7, v6 bitop3:0x40
; %bb.2313:                             ;   in Loop: Header=BB302_2086 Depth=1
	s_or_b32 exec_lo, exec_lo, s26
	v_lshlrev_b32_e32 v6, 8, v54
	s_delay_alu instid0(VALU_DEP_2) | instskip(NEXT) | instid1(VALU_DEP_1)
	v_lshl_add_u32 v7, v19, 10, 0x2000
	v_and_or_b32 v6, 0x8000, v6, v7
	v_lshlrev_b32_e32 v7, 23, v12
	s_delay_alu instid0(VALU_DEP_1)
	v_lshl_or_b32 v12, v6, 16, v7
.LBB302_2314:                           ;   in Loop: Header=BB302_2086 Depth=1
	s_or_b32 exec_lo, exec_lo, s25
.LBB302_2315:                           ;   in Loop: Header=BB302_2086 Depth=1
	s_delay_alu instid0(SALU_CYCLE_1)
	s_or_b32 exec_lo, exec_lo, s24
.LBB302_2316:                           ;   in Loop: Header=BB302_2086 Depth=1
	s_delay_alu instid0(SALU_CYCLE_1) | instskip(SKIP_4) | instid1(VALU_DEP_3)
	s_or_b32 exec_lo, exec_lo, s23
	v_and_b32_e32 v82, 0xff, v81
	v_dual_mov_b32 v54, v81 :: v_dual_mov_b32 v71, 0
	v_mov_b32_e32 v19, 0
	s_mov_b32 s23, exec_lo
	v_cmpx_ne_u16_e32 0, v82
	s_cbranch_execz .LBB302_2324
; %bb.2317:                             ;   in Loop: Header=BB302_2086 Depth=1
	v_mov_b32_e32 v19, 0x8000
	s_mov_b32 s24, exec_lo
	v_cmpx_ne_u16_e32 0x80, v82
	s_cbranch_execz .LBB302_2323
; %bb.2318:                             ;   in Loop: Header=BB302_2086 Depth=1
	v_and_b32_e32 v83, 0x7f, v81
	v_mov_b32_e32 v19, 0x7c01
	s_mov_b32 s25, exec_lo
	s_delay_alu instid0(VALU_DEP_2)
	v_cmpx_ne_u32_e32 0x7f, v83
	s_cbranch_execz .LBB302_2322
; %bb.2319:                             ;   in Loop: Header=BB302_2086 Depth=1
	v_dual_lshrrev_b32 v82, 3, v83 :: v_dual_bitop2_b32 v19, 7, v81 bitop3:0x40
	s_mov_b32 s26, exec_lo
	v_cmpx_gt_u32_e32 8, v83
; %bb.2320:                             ;   in Loop: Header=BB302_2086 Depth=1
	s_delay_alu instid0(VALU_DEP_2) | instskip(NEXT) | instid1(VALU_DEP_1)
	v_clz_i32_u32_e32 v6, v19
	v_min_u32_e32 v19, 32, v6
	s_delay_alu instid0(VALU_DEP_1) | instskip(NEXT) | instid1(VALU_DEP_1)
	v_subrev_nc_u32_e32 v6, 28, v19
	v_lshlrev_b64_e32 v[6:7], v6, v[54:55]
	s_delay_alu instid0(VALU_DEP_1)
	v_dual_sub_nc_u32 v82, 29, v19 :: v_dual_bitop2_b32 v19, 7, v6 bitop3:0x40
; %bb.2321:                             ;   in Loop: Header=BB302_2086 Depth=1
	s_or_b32 exec_lo, exec_lo, s26
	s_delay_alu instid0(VALU_DEP_1) | instskip(NEXT) | instid1(VALU_DEP_2)
	v_dual_lshlrev_b32 v6, 8, v81 :: v_dual_lshlrev_b32 v19, 7, v19
	v_lshl_add_u32 v7, v82, 10, 0x2000
	s_delay_alu instid0(VALU_DEP_2) | instskip(NEXT) | instid1(VALU_DEP_2)
	v_and_b32_e32 v6, 0x8000, v6
	v_and_b32_e32 v7, 0xfc00, v7
	s_delay_alu instid0(VALU_DEP_1)
	v_or3_b32 v19, v6, v7, v19
.LBB302_2322:                           ;   in Loop: Header=BB302_2086 Depth=1
	s_or_b32 exec_lo, exec_lo, s25
.LBB302_2323:                           ;   in Loop: Header=BB302_2086 Depth=1
	s_delay_alu instid0(SALU_CYCLE_1)
	s_or_b32 exec_lo, exec_lo, s24
.LBB302_2324:                           ;   in Loop: Header=BB302_2086 Depth=1
	s_delay_alu instid0(SALU_CYCLE_1) | instskip(SKIP_3) | instid1(VALU_DEP_2)
	s_or_b32 exec_lo, exec_lo, s23
	v_lshrrev_b16 v54, 8, v54
	v_mov_b32_e32 v82, 0
	s_mov_b32 s23, exec_lo
	v_cmpx_ne_u16_e32 0, v54
	s_cbranch_execz .LBB302_2332
; %bb.2325:                             ;   in Loop: Header=BB302_2086 Depth=1
	v_bfrev_b32_e32 v82, 1
	s_mov_b32 s24, exec_lo
	v_cmpx_ne_u16_e32 0x80, v54
	s_cbranch_execz .LBB302_2331
; %bb.2326:                             ;   in Loop: Header=BB302_2086 Depth=1
	v_and_b32_e32 v83, 0xffff, v54
	v_mov_b32_e32 v82, 0x7c010000
	s_mov_b32 s25, exec_lo
	s_delay_alu instid0(VALU_DEP_2) | instskip(NEXT) | instid1(VALU_DEP_1)
	v_and_b32_e32 v85, 0x7f, v83
	v_cmpx_ne_u32_e32 0x7f, v85
	s_cbranch_execz .LBB302_2330
; %bb.2327:                             ;   in Loop: Header=BB302_2086 Depth=1
	v_dual_lshrrev_b32 v84, 3, v85 :: v_dual_bitop2_b32 v82, 7, v83 bitop3:0x40
	s_mov_b32 s26, exec_lo
	v_cmpx_gt_u32_e32 8, v85
; %bb.2328:                             ;   in Loop: Header=BB302_2086 Depth=1
	s_delay_alu instid0(VALU_DEP_2) | instskip(NEXT) | instid1(VALU_DEP_1)
	v_clz_i32_u32_e32 v6, v82
	v_min_u32_e32 v64, 32, v6
	s_delay_alu instid0(VALU_DEP_1) | instskip(NEXT) | instid1(VALU_DEP_1)
	v_subrev_nc_u32_e32 v6, 28, v64
	v_lshlrev_b64_e32 v[6:7], v6, v[54:55]
	s_delay_alu instid0(VALU_DEP_1)
	v_dual_sub_nc_u32 v84, 29, v64 :: v_dual_bitop2_b32 v82, 7, v6 bitop3:0x40
; %bb.2329:                             ;   in Loop: Header=BB302_2086 Depth=1
	s_or_b32 exec_lo, exec_lo, s26
	v_lshlrev_b32_e32 v6, 8, v83
	s_delay_alu instid0(VALU_DEP_2) | instskip(NEXT) | instid1(VALU_DEP_1)
	v_lshl_add_u32 v7, v84, 10, 0x2000
	v_and_or_b32 v6, 0x8000, v6, v7
	v_lshlrev_b32_e32 v7, 23, v82
	s_delay_alu instid0(VALU_DEP_1)
	v_lshl_or_b32 v82, v6, 16, v7
.LBB302_2330:                           ;   in Loop: Header=BB302_2086 Depth=1
	s_or_b32 exec_lo, exec_lo, s25
.LBB302_2331:                           ;   in Loop: Header=BB302_2086 Depth=1
	s_delay_alu instid0(SALU_CYCLE_1)
	s_or_b32 exec_lo, exec_lo, s24
.LBB302_2332:                           ;   in Loop: Header=BB302_2086 Depth=1
	s_delay_alu instid0(SALU_CYCLE_1) | instskip(SKIP_2) | instid1(VALU_DEP_1)
	s_or_b32 exec_lo, exec_lo, s23
	v_lshrrev_b32_e32 v54, 16, v81
	s_mov_b32 s23, exec_lo
	v_and_b32_e32 v83, 0xff, v54
	s_delay_alu instid0(VALU_DEP_1)
	v_cmpx_ne_u16_e32 0, v83
	s_cbranch_execz .LBB302_2340
; %bb.2333:                             ;   in Loop: Header=BB302_2086 Depth=1
	v_mov_b32_e32 v71, 0x8000
	s_mov_b32 s24, exec_lo
	v_cmpx_ne_u16_e32 0x80, v83
	s_cbranch_execz .LBB302_2339
; %bb.2334:                             ;   in Loop: Header=BB302_2086 Depth=1
	v_bfe_u32 v84, v81, 16, 7
	v_mov_b32_e32 v71, 0x7c01
	s_mov_b32 s25, exec_lo
	s_delay_alu instid0(VALU_DEP_2)
	v_cmpx_ne_u32_e32 0x7f, v84
	s_cbranch_execz .LBB302_2338
; %bb.2335:                             ;   in Loop: Header=BB302_2086 Depth=1
	v_dual_lshrrev_b32 v83, 3, v84 :: v_dual_bitop2_b32 v71, 7, v54 bitop3:0x40
	s_mov_b32 s26, exec_lo
	v_cmpx_gt_u32_e32 8, v84
; %bb.2336:                             ;   in Loop: Header=BB302_2086 Depth=1
	s_delay_alu instid0(VALU_DEP_2) | instskip(NEXT) | instid1(VALU_DEP_1)
	v_clz_i32_u32_e32 v6, v71
	v_min_u32_e32 v64, 32, v6
	s_delay_alu instid0(VALU_DEP_1) | instskip(NEXT) | instid1(VALU_DEP_1)
	v_subrev_nc_u32_e32 v6, 28, v64
	v_lshlrev_b64_e32 v[6:7], v6, v[54:55]
	s_delay_alu instid0(VALU_DEP_1)
	v_dual_sub_nc_u32 v83, 29, v64 :: v_dual_bitop2_b32 v71, 7, v6 bitop3:0x40
; %bb.2337:                             ;   in Loop: Header=BB302_2086 Depth=1
	s_or_b32 exec_lo, exec_lo, s26
	s_delay_alu instid0(VALU_DEP_1) | instskip(NEXT) | instid1(VALU_DEP_2)
	v_dual_lshlrev_b32 v6, 8, v54 :: v_dual_lshlrev_b32 v54, 7, v71
	v_lshl_add_u32 v7, v83, 10, 0x2000
	s_delay_alu instid0(VALU_DEP_2) | instskip(NEXT) | instid1(VALU_DEP_2)
	v_and_b32_e32 v6, 0x8000, v6
	v_and_b32_e32 v7, 0xfc00, v7
	s_delay_alu instid0(VALU_DEP_1)
	v_or3_b32 v71, v6, v7, v54
.LBB302_2338:                           ;   in Loop: Header=BB302_2086 Depth=1
	s_or_b32 exec_lo, exec_lo, s25
.LBB302_2339:                           ;   in Loop: Header=BB302_2086 Depth=1
	s_delay_alu instid0(SALU_CYCLE_1)
	s_or_b32 exec_lo, exec_lo, s24
.LBB302_2340:                           ;   in Loop: Header=BB302_2086 Depth=1
	s_delay_alu instid0(SALU_CYCLE_1)
	s_or_b32 exec_lo, exec_lo, s23
	v_cmp_lt_u64_e64 s8, s[16:17], v[80:81]
	v_mov_b32_e32 v80, 0
	s_and_saveexec_b32 s23, s8
	s_cbranch_execz .LBB302_2348
; %bb.2341:                             ;   in Loop: Header=BB302_2086 Depth=1
	v_lshrrev_b32_e32 v54, 24, v81
	v_bfrev_b32_e32 v80, 1
	s_mov_b32 s24, exec_lo
	s_delay_alu instid0(VALU_DEP_2)
	v_cmpx_ne_u32_e32 0x80, v54
	s_cbranch_execz .LBB302_2347
; %bb.2342:                             ;   in Loop: Header=BB302_2086 Depth=1
	v_and_b32_e32 v83, 0x7f, v54
	v_mov_b32_e32 v80, 0x7c010000
	s_mov_b32 s25, exec_lo
	s_delay_alu instid0(VALU_DEP_2)
	v_cmpx_ne_u32_e32 0x7f, v83
	s_cbranch_execz .LBB302_2346
; %bb.2343:                             ;   in Loop: Header=BB302_2086 Depth=1
	v_dual_lshrrev_b32 v81, 3, v83 :: v_dual_bitop2_b32 v80, 7, v54 bitop3:0x40
	s_mov_b32 s26, exec_lo
	v_cmpx_gt_u32_e32 8, v83
; %bb.2344:                             ;   in Loop: Header=BB302_2086 Depth=1
	s_delay_alu instid0(VALU_DEP_2) | instskip(NEXT) | instid1(VALU_DEP_1)
	v_clz_i32_u32_e32 v6, v80
	v_min_u32_e32 v64, 32, v6
	s_delay_alu instid0(VALU_DEP_1) | instskip(NEXT) | instid1(VALU_DEP_1)
	v_subrev_nc_u32_e32 v6, 28, v64
	v_lshlrev_b64_e32 v[6:7], v6, v[54:55]
	s_delay_alu instid0(VALU_DEP_1)
	v_dual_sub_nc_u32 v81, 29, v64 :: v_dual_bitop2_b32 v80, 7, v6 bitop3:0x40
; %bb.2345:                             ;   in Loop: Header=BB302_2086 Depth=1
	s_or_b32 exec_lo, exec_lo, s26
	v_lshlrev_b32_e32 v6, 8, v54
	s_delay_alu instid0(VALU_DEP_2) | instskip(NEXT) | instid1(VALU_DEP_1)
	v_lshl_add_u32 v7, v81, 10, 0x2000
	v_and_or_b32 v6, 0x8000, v6, v7
	v_lshlrev_b32_e32 v7, 23, v80
	s_delay_alu instid0(VALU_DEP_1)
	v_lshl_or_b32 v80, v6, 16, v7
.LBB302_2346:                           ;   in Loop: Header=BB302_2086 Depth=1
	s_or_b32 exec_lo, exec_lo, s25
.LBB302_2347:                           ;   in Loop: Header=BB302_2086 Depth=1
	s_delay_alu instid0(SALU_CYCLE_1)
	s_or_b32 exec_lo, exec_lo, s24
.LBB302_2348:                           ;   in Loop: Header=BB302_2086 Depth=1
	s_delay_alu instid0(SALU_CYCLE_1) | instskip(SKIP_3) | instid1(VALU_DEP_3)
	s_or_b32 exec_lo, exec_lo, s23
	v_dual_lshrrev_b32 v6, 16, v0 :: v_dual_bitop2_b32 v54, v0, v1 bitop3:0x54
	v_dual_lshrrev_b32 v7, 16, v12 :: v_dual_bitop2_b32 v12, v12, v18 bitop3:0x54
	;; [unrolled: 1-line block ×3, first 2 shown]
	v_cvt_f32_f16_e32 v1, v6
	s_delay_alu instid0(VALU_DEP_3)
	v_cvt_f32_f16_e32 v0, v7
	v_lshrrev_b32_e32 v65, 16, v80
	v_cvt_f32_f16_e32 v6, v12
	v_or_b32_e32 v12, v82, v19
	v_cvt_f32_f16_e32 v7, v54
	s_wait_loadcnt_dscnt 0x0
	v_pk_mul_f32 v[0:1], v[70:71], v[0:1] op_sel_hi:[0,1]
	v_cvt_f32_f16_e32 v19, v18
	v_cvt_f32_f16_e32 v18, v65
	;; [unrolled: 1-line block ×4, first 2 shown]
	v_pk_mul_f32 v[6:7], v[70:71], v[6:7] op_sel_hi:[0,1]
	v_cvt_pk_f16_f32 v12, v0, v1
	v_pk_mul_f32 v[0:1], v[70:71], v[18:19] op_sel_hi:[0,1]
	s_delay_alu instid0(VALU_DEP_4) | instskip(NEXT) | instid1(VALU_DEP_4)
	v_pk_mul_f32 v[18:19], v[70:71], v[64:65] op_sel_hi:[0,1]
	v_cvt_pk_f16_f32 v6, v6, v7
	s_delay_alu instid0(VALU_DEP_4) | instskip(NEXT) | instid1(VALU_DEP_4)
	v_and_b32_e32 v71, 0xffff0000, v12
	v_cvt_pk_f16_f32 v0, v0, v1
	v_lshlrev_b32_e32 v82, 16, v12
	v_cvt_pk_f16_f32 v1, v18, v19
	v_lshrrev_b32_e32 v87, 16, v6
	v_and_b32_e32 v86, 0xffff, v6
	v_and_b32_e32 v19, 0xffff0000, v0
	s_delay_alu instid0(VALU_DEP_4) | instskip(SKIP_3) | instid1(VALU_DEP_4)
	v_dual_lshlrev_b32 v54, 16, v0 :: v_dual_lshrrev_b32 v85, 16, v1
	v_and_b32_e32 v84, 0xffff, v1
	v_or_b32_e32 v83, v71, v87
	v_or_b32_e32 v80, v82, v86
	;; [unrolled: 1-line block ×3, first 2 shown]
	s_delay_alu instid0(VALU_DEP_4)
	v_or_b32_e32 v70, v54, v84
	s_and_saveexec_b32 s8, s3
	s_cbranch_execz .LBB302_2350
; %bb.2349:                             ;   in Loop: Header=BB302_2086 Depth=1
	v_dual_cndmask_b32 v0, 0, v87, vcc_lo :: v_dual_cndmask_b32 v1, 0, v86, s0
	v_dual_cndmask_b32 v6, 0, v71, s1 :: v_dual_cndmask_b32 v7, 0, v82, s2
	v_dual_cndmask_b32 v12, 0, v85, s4 :: v_dual_cndmask_b32 v18, 0, v84, s5
	;; [unrolled: 1-line block ×3, first 2 shown]
	s_delay_alu instid0(VALU_DEP_3) | instskip(NEXT) | instid1(VALU_DEP_4)
	v_or_b32_e32 v83, v0, v6
	v_or_b32_e32 v80, v1, v7
	s_delay_alu instid0(VALU_DEP_3) | instskip(NEXT) | instid1(VALU_DEP_4)
	v_or_b32_e32 v81, v12, v19
	v_or_b32_e32 v70, v18, v54
.LBB302_2350:                           ;   in Loop: Header=BB302_2086 Depth=1
	s_or_b32 exec_lo, exec_lo, s8
	;;#ASMSTART
	v_pk_mul_f16 v0, v112, v83;

	;;#ASMEND
	;;#ASMSTART
	v_pk_mul_f16 v1, v103, v80;

	;;#ASMEND
	;; [unrolled: 4-line block ×4, first 2 shown]
	;;#ASMSTART
	v_pk_add_f16 v0, v0, v1;

	;;#ASMEND
	;;#ASMSTART
	v_pk_add_f16 v0, v0, v6;

	;;#ASMEND
	;; [unrolled: 4-line block ×3, first 2 shown]
	v_and_b32_e32 v1, 0xffff, v0
	v_lshrrev_b32_e32 v0, 16, v0
	;;#ASMSTART
	v_cvt_f32_f16 v119, v1;
	;;#ASMEND
	v_mov_b32_e32 v1, 0
	;;#ASMSTART
	v_cvt_f32_f16 v40, v0;
	;;#ASMEND
	flat_load_b64 v[80:81], v[68:69] offset:1024
	flat_load_b32 v70, v[22:23]
	v_mov_b32_e32 v0, 0
	s_mov_b32 s23, exec_lo
	s_wait_loadcnt_dscnt 0x101
	v_and_b32_e32 v12, 0xff, v80
	s_wait_xcnt 0x0
	s_delay_alu instid0(VALU_DEP_1)
	v_cmpx_ne_u16_e32 0, v12
	s_cbranch_execz .LBB302_2358
; %bb.2351:                             ;   in Loop: Header=BB302_2086 Depth=1
	v_mov_b32_e32 v1, 0x8000
	s_mov_b32 s24, exec_lo
	v_cmpx_ne_u16_e32 0x80, v12
	s_cbranch_execz .LBB302_2357
; %bb.2352:                             ;   in Loop: Header=BB302_2086 Depth=1
	v_and_b32_e32 v18, 0x7f, v80
	v_mov_b32_e32 v1, 0x7c01
	s_mov_b32 s25, exec_lo
	s_delay_alu instid0(VALU_DEP_2)
	v_cmpx_ne_u32_e32 0x7f, v18
	s_cbranch_execz .LBB302_2356
; %bb.2353:                             ;   in Loop: Header=BB302_2086 Depth=1
	v_dual_lshrrev_b32 v12, 3, v18 :: v_dual_bitop2_b32 v1, 7, v80 bitop3:0x40
	s_mov_b32 s26, exec_lo
	v_cmpx_gt_u32_e32 8, v18
; %bb.2354:                             ;   in Loop: Header=BB302_2086 Depth=1
	s_delay_alu instid0(VALU_DEP_2) | instskip(NEXT) | instid1(VALU_DEP_1)
	v_clz_i32_u32_e32 v1, v1
	v_min_u32_e32 v1, 32, v1
	s_delay_alu instid0(VALU_DEP_1) | instskip(NEXT) | instid1(VALU_DEP_1)
	v_subrev_nc_u32_e32 v6, 28, v1
	v_lshlrev_b64_e32 v[6:7], v6, v[80:81]
	s_delay_alu instid0(VALU_DEP_1)
	v_dual_sub_nc_u32 v12, 29, v1 :: v_dual_bitop2_b32 v1, 7, v6 bitop3:0x40
; %bb.2355:                             ;   in Loop: Header=BB302_2086 Depth=1
	s_or_b32 exec_lo, exec_lo, s26
	s_delay_alu instid0(VALU_DEP_1) | instskip(NEXT) | instid1(VALU_DEP_2)
	v_dual_lshlrev_b32 v6, 8, v80 :: v_dual_lshlrev_b32 v1, 7, v1
	v_lshl_add_u32 v7, v12, 10, 0x2000
	s_delay_alu instid0(VALU_DEP_2) | instskip(NEXT) | instid1(VALU_DEP_2)
	v_and_b32_e32 v6, 0x8000, v6
	v_and_b32_e32 v7, 0xfc00, v7
	s_delay_alu instid0(VALU_DEP_1)
	v_or3_b32 v1, v6, v7, v1
.LBB302_2356:                           ;   in Loop: Header=BB302_2086 Depth=1
	s_or_b32 exec_lo, exec_lo, s25
.LBB302_2357:                           ;   in Loop: Header=BB302_2086 Depth=1
	s_delay_alu instid0(SALU_CYCLE_1)
	s_or_b32 exec_lo, exec_lo, s24
.LBB302_2358:                           ;   in Loop: Header=BB302_2086 Depth=1
	s_delay_alu instid0(SALU_CYCLE_1) | instskip(SKIP_2) | instid1(VALU_DEP_1)
	s_or_b32 exec_lo, exec_lo, s23
	v_lshrrev_b16 v54, 8, v80
	s_mov_b32 s23, exec_lo
	v_cmpx_ne_u16_e32 0, v54
	s_cbranch_execz .LBB302_2366
; %bb.2359:                             ;   in Loop: Header=BB302_2086 Depth=1
	v_bfrev_b32_e32 v0, 1
	s_mov_b32 s24, exec_lo
	v_cmpx_ne_u16_e32 0x80, v54
	s_cbranch_execz .LBB302_2365
; %bb.2360:                             ;   in Loop: Header=BB302_2086 Depth=1
	v_and_b32_e32 v12, 0xffff, v54
	v_mov_b32_e32 v0, 0x7c010000
	s_mov_b32 s25, exec_lo
	s_delay_alu instid0(VALU_DEP_2) | instskip(NEXT) | instid1(VALU_DEP_1)
	v_and_b32_e32 v19, 0x7f, v12
	v_cmpx_ne_u32_e32 0x7f, v19
	s_cbranch_execz .LBB302_2364
; %bb.2361:                             ;   in Loop: Header=BB302_2086 Depth=1
	v_dual_lshrrev_b32 v18, 3, v19 :: v_dual_bitop2_b32 v0, 7, v12 bitop3:0x40
	s_mov_b32 s26, exec_lo
	v_cmpx_gt_u32_e32 8, v19
; %bb.2362:                             ;   in Loop: Header=BB302_2086 Depth=1
	s_delay_alu instid0(VALU_DEP_2) | instskip(NEXT) | instid1(VALU_DEP_1)
	v_clz_i32_u32_e32 v0, v0
	v_min_u32_e32 v0, 32, v0
	s_delay_alu instid0(VALU_DEP_1) | instskip(NEXT) | instid1(VALU_DEP_1)
	v_subrev_nc_u32_e32 v6, 28, v0
	v_lshlrev_b64_e32 v[6:7], v6, v[54:55]
	s_delay_alu instid0(VALU_DEP_1)
	v_dual_sub_nc_u32 v18, 29, v0 :: v_dual_bitop2_b32 v0, 7, v6 bitop3:0x40
; %bb.2363:                             ;   in Loop: Header=BB302_2086 Depth=1
	s_or_b32 exec_lo, exec_lo, s26
	v_lshlrev_b32_e32 v6, 8, v12
	s_delay_alu instid0(VALU_DEP_2) | instskip(NEXT) | instid1(VALU_DEP_3)
	v_lshl_add_u32 v7, v18, 10, 0x2000
	v_lshlrev_b32_e32 v0, 23, v0
	s_delay_alu instid0(VALU_DEP_2) | instskip(NEXT) | instid1(VALU_DEP_1)
	v_and_or_b32 v6, 0x8000, v6, v7
	v_lshl_or_b32 v0, v6, 16, v0
.LBB302_2364:                           ;   in Loop: Header=BB302_2086 Depth=1
	s_or_b32 exec_lo, exec_lo, s25
.LBB302_2365:                           ;   in Loop: Header=BB302_2086 Depth=1
	s_delay_alu instid0(SALU_CYCLE_1)
	s_or_b32 exec_lo, exec_lo, s24
.LBB302_2366:                           ;   in Loop: Header=BB302_2086 Depth=1
	s_delay_alu instid0(SALU_CYCLE_1) | instskip(SKIP_3) | instid1(VALU_DEP_2)
	s_or_b32 exec_lo, exec_lo, s23
	v_dual_lshrrev_b32 v54, 16, v80 :: v_dual_mov_b32 v12, 0
	v_mov_b32_e32 v18, 0
	s_mov_b32 s23, exec_lo
	v_and_b32_e32 v19, 0xff, v54
	s_delay_alu instid0(VALU_DEP_1)
	v_cmpx_ne_u16_e32 0, v19
	s_cbranch_execz .LBB302_2374
; %bb.2367:                             ;   in Loop: Header=BB302_2086 Depth=1
	v_mov_b32_e32 v18, 0x8000
	s_mov_b32 s24, exec_lo
	v_cmpx_ne_u16_e32 0x80, v19
	s_cbranch_execz .LBB302_2373
; %bb.2368:                             ;   in Loop: Header=BB302_2086 Depth=1
	v_bfe_u32 v71, v80, 16, 7
	v_mov_b32_e32 v18, 0x7c01
	s_mov_b32 s25, exec_lo
	s_delay_alu instid0(VALU_DEP_2)
	v_cmpx_ne_u32_e32 0x7f, v71
	s_cbranch_execz .LBB302_2372
; %bb.2369:                             ;   in Loop: Header=BB302_2086 Depth=1
	v_dual_lshrrev_b32 v19, 3, v71 :: v_dual_bitop2_b32 v18, 7, v54 bitop3:0x40
	s_mov_b32 s26, exec_lo
	v_cmpx_gt_u32_e32 8, v71
; %bb.2370:                             ;   in Loop: Header=BB302_2086 Depth=1
	s_delay_alu instid0(VALU_DEP_2) | instskip(NEXT) | instid1(VALU_DEP_1)
	v_clz_i32_u32_e32 v6, v18
	v_min_u32_e32 v18, 32, v6
	s_delay_alu instid0(VALU_DEP_1) | instskip(SKIP_1) | instid1(VALU_DEP_2)
	v_subrev_nc_u32_e32 v6, 28, v18
	v_sub_nc_u32_e32 v19, 29, v18
	v_lshlrev_b64_e32 v[6:7], v6, v[54:55]
	s_delay_alu instid0(VALU_DEP_1)
	v_and_b32_e32 v18, 7, v6
; %bb.2371:                             ;   in Loop: Header=BB302_2086 Depth=1
	s_or_b32 exec_lo, exec_lo, s26
	v_lshlrev_b32_e32 v6, 8, v54
	v_lshl_add_u32 v7, v19, 10, 0x2000
	s_delay_alu instid0(VALU_DEP_3) | instskip(NEXT) | instid1(VALU_DEP_3)
	v_lshlrev_b32_e32 v18, 7, v18
	v_and_b32_e32 v6, 0x8000, v6
	s_delay_alu instid0(VALU_DEP_3) | instskip(NEXT) | instid1(VALU_DEP_1)
	v_and_b32_e32 v7, 0xfc00, v7
	v_or3_b32 v18, v6, v7, v18
.LBB302_2372:                           ;   in Loop: Header=BB302_2086 Depth=1
	s_or_b32 exec_lo, exec_lo, s25
.LBB302_2373:                           ;   in Loop: Header=BB302_2086 Depth=1
	s_delay_alu instid0(SALU_CYCLE_1)
	s_or_b32 exec_lo, exec_lo, s24
.LBB302_2374:                           ;   in Loop: Header=BB302_2086 Depth=1
	s_delay_alu instid0(SALU_CYCLE_1) | instskip(NEXT) | instid1(SALU_CYCLE_1)
	s_or_b32 exec_lo, exec_lo, s23
	s_mov_b32 s23, exec_lo
	v_cmpx_lt_u32_e32 0xffffff, v80
	s_cbranch_execz .LBB302_2382
; %bb.2375:                             ;   in Loop: Header=BB302_2086 Depth=1
	v_lshrrev_b32_e32 v54, 24, v80
	v_bfrev_b32_e32 v12, 1
	s_mov_b32 s24, exec_lo
	s_delay_alu instid0(VALU_DEP_2)
	v_cmpx_ne_u32_e32 0x80, v54
	s_cbranch_execz .LBB302_2381
; %bb.2376:                             ;   in Loop: Header=BB302_2086 Depth=1
	v_and_b32_e32 v71, 0x7f, v54
	v_mov_b32_e32 v12, 0x7c010000
	s_mov_b32 s25, exec_lo
	s_delay_alu instid0(VALU_DEP_2)
	v_cmpx_ne_u32_e32 0x7f, v71
	s_cbranch_execz .LBB302_2380
; %bb.2377:                             ;   in Loop: Header=BB302_2086 Depth=1
	v_dual_lshrrev_b32 v19, 3, v71 :: v_dual_bitop2_b32 v12, 7, v54 bitop3:0x40
	s_mov_b32 s26, exec_lo
	v_cmpx_gt_u32_e32 8, v71
; %bb.2378:                             ;   in Loop: Header=BB302_2086 Depth=1
	s_delay_alu instid0(VALU_DEP_2) | instskip(NEXT) | instid1(VALU_DEP_1)
	v_clz_i32_u32_e32 v6, v12
	v_min_u32_e32 v12, 32, v6
	s_delay_alu instid0(VALU_DEP_1) | instskip(NEXT) | instid1(VALU_DEP_1)
	v_subrev_nc_u32_e32 v6, 28, v12
	v_lshlrev_b64_e32 v[6:7], v6, v[54:55]
	s_delay_alu instid0(VALU_DEP_1)
	v_dual_sub_nc_u32 v19, 29, v12 :: v_dual_bitop2_b32 v12, 7, v6 bitop3:0x40
; %bb.2379:                             ;   in Loop: Header=BB302_2086 Depth=1
	s_or_b32 exec_lo, exec_lo, s26
	v_lshlrev_b32_e32 v6, 8, v54
	s_delay_alu instid0(VALU_DEP_2) | instskip(NEXT) | instid1(VALU_DEP_1)
	v_lshl_add_u32 v7, v19, 10, 0x2000
	v_and_or_b32 v6, 0x8000, v6, v7
	v_lshlrev_b32_e32 v7, 23, v12
	s_delay_alu instid0(VALU_DEP_1)
	v_lshl_or_b32 v12, v6, 16, v7
.LBB302_2380:                           ;   in Loop: Header=BB302_2086 Depth=1
	s_or_b32 exec_lo, exec_lo, s25
.LBB302_2381:                           ;   in Loop: Header=BB302_2086 Depth=1
	s_delay_alu instid0(SALU_CYCLE_1)
	s_or_b32 exec_lo, exec_lo, s24
.LBB302_2382:                           ;   in Loop: Header=BB302_2086 Depth=1
	s_delay_alu instid0(SALU_CYCLE_1) | instskip(SKIP_4) | instid1(VALU_DEP_3)
	s_or_b32 exec_lo, exec_lo, s23
	v_and_b32_e32 v82, 0xff, v81
	v_dual_mov_b32 v54, v81 :: v_dual_mov_b32 v71, 0
	v_mov_b32_e32 v19, 0
	s_mov_b32 s23, exec_lo
	v_cmpx_ne_u16_e32 0, v82
	s_cbranch_execz .LBB302_2390
; %bb.2383:                             ;   in Loop: Header=BB302_2086 Depth=1
	v_mov_b32_e32 v19, 0x8000
	s_mov_b32 s24, exec_lo
	v_cmpx_ne_u16_e32 0x80, v82
	s_cbranch_execz .LBB302_2389
; %bb.2384:                             ;   in Loop: Header=BB302_2086 Depth=1
	v_and_b32_e32 v83, 0x7f, v81
	v_mov_b32_e32 v19, 0x7c01
	s_mov_b32 s25, exec_lo
	s_delay_alu instid0(VALU_DEP_2)
	v_cmpx_ne_u32_e32 0x7f, v83
	s_cbranch_execz .LBB302_2388
; %bb.2385:                             ;   in Loop: Header=BB302_2086 Depth=1
	v_dual_lshrrev_b32 v82, 3, v83 :: v_dual_bitop2_b32 v19, 7, v81 bitop3:0x40
	s_mov_b32 s26, exec_lo
	v_cmpx_gt_u32_e32 8, v83
; %bb.2386:                             ;   in Loop: Header=BB302_2086 Depth=1
	s_delay_alu instid0(VALU_DEP_2) | instskip(NEXT) | instid1(VALU_DEP_1)
	v_clz_i32_u32_e32 v6, v19
	v_min_u32_e32 v19, 32, v6
	s_delay_alu instid0(VALU_DEP_1) | instskip(NEXT) | instid1(VALU_DEP_1)
	v_subrev_nc_u32_e32 v6, 28, v19
	v_lshlrev_b64_e32 v[6:7], v6, v[54:55]
	s_delay_alu instid0(VALU_DEP_1)
	v_dual_sub_nc_u32 v82, 29, v19 :: v_dual_bitop2_b32 v19, 7, v6 bitop3:0x40
; %bb.2387:                             ;   in Loop: Header=BB302_2086 Depth=1
	s_or_b32 exec_lo, exec_lo, s26
	s_delay_alu instid0(VALU_DEP_1) | instskip(NEXT) | instid1(VALU_DEP_2)
	v_dual_lshlrev_b32 v6, 8, v81 :: v_dual_lshlrev_b32 v19, 7, v19
	v_lshl_add_u32 v7, v82, 10, 0x2000
	s_delay_alu instid0(VALU_DEP_2) | instskip(NEXT) | instid1(VALU_DEP_2)
	v_and_b32_e32 v6, 0x8000, v6
	v_and_b32_e32 v7, 0xfc00, v7
	s_delay_alu instid0(VALU_DEP_1)
	v_or3_b32 v19, v6, v7, v19
.LBB302_2388:                           ;   in Loop: Header=BB302_2086 Depth=1
	s_or_b32 exec_lo, exec_lo, s25
.LBB302_2389:                           ;   in Loop: Header=BB302_2086 Depth=1
	s_delay_alu instid0(SALU_CYCLE_1)
	s_or_b32 exec_lo, exec_lo, s24
.LBB302_2390:                           ;   in Loop: Header=BB302_2086 Depth=1
	s_delay_alu instid0(SALU_CYCLE_1) | instskip(SKIP_3) | instid1(VALU_DEP_2)
	s_or_b32 exec_lo, exec_lo, s23
	v_lshrrev_b16 v54, 8, v54
	v_mov_b32_e32 v82, 0
	s_mov_b32 s23, exec_lo
	v_cmpx_ne_u16_e32 0, v54
	s_cbranch_execz .LBB302_2398
; %bb.2391:                             ;   in Loop: Header=BB302_2086 Depth=1
	v_bfrev_b32_e32 v82, 1
	s_mov_b32 s24, exec_lo
	v_cmpx_ne_u16_e32 0x80, v54
	s_cbranch_execz .LBB302_2397
; %bb.2392:                             ;   in Loop: Header=BB302_2086 Depth=1
	v_and_b32_e32 v83, 0xffff, v54
	v_mov_b32_e32 v82, 0x7c010000
	s_mov_b32 s25, exec_lo
	s_delay_alu instid0(VALU_DEP_2) | instskip(NEXT) | instid1(VALU_DEP_1)
	v_and_b32_e32 v85, 0x7f, v83
	v_cmpx_ne_u32_e32 0x7f, v85
	s_cbranch_execz .LBB302_2396
; %bb.2393:                             ;   in Loop: Header=BB302_2086 Depth=1
	v_dual_lshrrev_b32 v84, 3, v85 :: v_dual_bitop2_b32 v82, 7, v83 bitop3:0x40
	s_mov_b32 s26, exec_lo
	v_cmpx_gt_u32_e32 8, v85
; %bb.2394:                             ;   in Loop: Header=BB302_2086 Depth=1
	s_delay_alu instid0(VALU_DEP_2) | instskip(NEXT) | instid1(VALU_DEP_1)
	v_clz_i32_u32_e32 v6, v82
	v_min_u32_e32 v64, 32, v6
	s_delay_alu instid0(VALU_DEP_1) | instskip(NEXT) | instid1(VALU_DEP_1)
	v_subrev_nc_u32_e32 v6, 28, v64
	v_lshlrev_b64_e32 v[6:7], v6, v[54:55]
	s_delay_alu instid0(VALU_DEP_1)
	v_dual_sub_nc_u32 v84, 29, v64 :: v_dual_bitop2_b32 v82, 7, v6 bitop3:0x40
; %bb.2395:                             ;   in Loop: Header=BB302_2086 Depth=1
	s_or_b32 exec_lo, exec_lo, s26
	v_lshlrev_b32_e32 v6, 8, v83
	s_delay_alu instid0(VALU_DEP_2) | instskip(NEXT) | instid1(VALU_DEP_1)
	v_lshl_add_u32 v7, v84, 10, 0x2000
	v_and_or_b32 v6, 0x8000, v6, v7
	v_lshlrev_b32_e32 v7, 23, v82
	s_delay_alu instid0(VALU_DEP_1)
	v_lshl_or_b32 v82, v6, 16, v7
.LBB302_2396:                           ;   in Loop: Header=BB302_2086 Depth=1
	s_or_b32 exec_lo, exec_lo, s25
.LBB302_2397:                           ;   in Loop: Header=BB302_2086 Depth=1
	s_delay_alu instid0(SALU_CYCLE_1)
	s_or_b32 exec_lo, exec_lo, s24
.LBB302_2398:                           ;   in Loop: Header=BB302_2086 Depth=1
	s_delay_alu instid0(SALU_CYCLE_1) | instskip(SKIP_2) | instid1(VALU_DEP_1)
	s_or_b32 exec_lo, exec_lo, s23
	v_lshrrev_b32_e32 v54, 16, v81
	s_mov_b32 s23, exec_lo
	v_and_b32_e32 v83, 0xff, v54
	s_delay_alu instid0(VALU_DEP_1)
	v_cmpx_ne_u16_e32 0, v83
	s_cbranch_execz .LBB302_2406
; %bb.2399:                             ;   in Loop: Header=BB302_2086 Depth=1
	v_mov_b32_e32 v71, 0x8000
	s_mov_b32 s24, exec_lo
	v_cmpx_ne_u16_e32 0x80, v83
	s_cbranch_execz .LBB302_2405
; %bb.2400:                             ;   in Loop: Header=BB302_2086 Depth=1
	v_bfe_u32 v84, v81, 16, 7
	v_mov_b32_e32 v71, 0x7c01
	s_mov_b32 s25, exec_lo
	s_delay_alu instid0(VALU_DEP_2)
	v_cmpx_ne_u32_e32 0x7f, v84
	s_cbranch_execz .LBB302_2404
; %bb.2401:                             ;   in Loop: Header=BB302_2086 Depth=1
	v_dual_lshrrev_b32 v83, 3, v84 :: v_dual_bitop2_b32 v71, 7, v54 bitop3:0x40
	s_mov_b32 s26, exec_lo
	v_cmpx_gt_u32_e32 8, v84
; %bb.2402:                             ;   in Loop: Header=BB302_2086 Depth=1
	s_delay_alu instid0(VALU_DEP_2) | instskip(NEXT) | instid1(VALU_DEP_1)
	v_clz_i32_u32_e32 v6, v71
	v_min_u32_e32 v64, 32, v6
	s_delay_alu instid0(VALU_DEP_1) | instskip(NEXT) | instid1(VALU_DEP_1)
	v_subrev_nc_u32_e32 v6, 28, v64
	v_lshlrev_b64_e32 v[6:7], v6, v[54:55]
	s_delay_alu instid0(VALU_DEP_1)
	v_dual_sub_nc_u32 v83, 29, v64 :: v_dual_bitop2_b32 v71, 7, v6 bitop3:0x40
; %bb.2403:                             ;   in Loop: Header=BB302_2086 Depth=1
	s_or_b32 exec_lo, exec_lo, s26
	s_delay_alu instid0(VALU_DEP_1) | instskip(NEXT) | instid1(VALU_DEP_2)
	v_dual_lshlrev_b32 v6, 8, v54 :: v_dual_lshlrev_b32 v54, 7, v71
	v_lshl_add_u32 v7, v83, 10, 0x2000
	s_delay_alu instid0(VALU_DEP_2) | instskip(NEXT) | instid1(VALU_DEP_2)
	v_and_b32_e32 v6, 0x8000, v6
	v_and_b32_e32 v7, 0xfc00, v7
	s_delay_alu instid0(VALU_DEP_1)
	v_or3_b32 v71, v6, v7, v54
.LBB302_2404:                           ;   in Loop: Header=BB302_2086 Depth=1
	s_or_b32 exec_lo, exec_lo, s25
.LBB302_2405:                           ;   in Loop: Header=BB302_2086 Depth=1
	s_delay_alu instid0(SALU_CYCLE_1)
	s_or_b32 exec_lo, exec_lo, s24
.LBB302_2406:                           ;   in Loop: Header=BB302_2086 Depth=1
	s_delay_alu instid0(SALU_CYCLE_1)
	s_or_b32 exec_lo, exec_lo, s23
	v_cmp_lt_u64_e64 s8, s[16:17], v[80:81]
	v_mov_b32_e32 v80, 0
	s_and_saveexec_b32 s23, s8
	s_cbranch_execz .LBB302_2414
; %bb.2407:                             ;   in Loop: Header=BB302_2086 Depth=1
	v_lshrrev_b32_e32 v54, 24, v81
	v_bfrev_b32_e32 v80, 1
	s_mov_b32 s24, exec_lo
	s_delay_alu instid0(VALU_DEP_2)
	v_cmpx_ne_u32_e32 0x80, v54
	s_cbranch_execz .LBB302_2413
; %bb.2408:                             ;   in Loop: Header=BB302_2086 Depth=1
	v_and_b32_e32 v83, 0x7f, v54
	v_mov_b32_e32 v80, 0x7c010000
	s_mov_b32 s25, exec_lo
	s_delay_alu instid0(VALU_DEP_2)
	v_cmpx_ne_u32_e32 0x7f, v83
	s_cbranch_execz .LBB302_2412
; %bb.2409:                             ;   in Loop: Header=BB302_2086 Depth=1
	v_dual_lshrrev_b32 v81, 3, v83 :: v_dual_bitop2_b32 v80, 7, v54 bitop3:0x40
	s_mov_b32 s26, exec_lo
	v_cmpx_gt_u32_e32 8, v83
; %bb.2410:                             ;   in Loop: Header=BB302_2086 Depth=1
	s_delay_alu instid0(VALU_DEP_2) | instskip(NEXT) | instid1(VALU_DEP_1)
	v_clz_i32_u32_e32 v6, v80
	v_min_u32_e32 v64, 32, v6
	s_delay_alu instid0(VALU_DEP_1) | instskip(NEXT) | instid1(VALU_DEP_1)
	v_subrev_nc_u32_e32 v6, 28, v64
	v_lshlrev_b64_e32 v[6:7], v6, v[54:55]
	s_delay_alu instid0(VALU_DEP_1)
	v_dual_sub_nc_u32 v81, 29, v64 :: v_dual_bitop2_b32 v80, 7, v6 bitop3:0x40
; %bb.2411:                             ;   in Loop: Header=BB302_2086 Depth=1
	s_or_b32 exec_lo, exec_lo, s26
	v_lshlrev_b32_e32 v6, 8, v54
	s_delay_alu instid0(VALU_DEP_2) | instskip(NEXT) | instid1(VALU_DEP_1)
	v_lshl_add_u32 v7, v81, 10, 0x2000
	v_and_or_b32 v6, 0x8000, v6, v7
	v_lshlrev_b32_e32 v7, 23, v80
	s_delay_alu instid0(VALU_DEP_1)
	v_lshl_or_b32 v80, v6, 16, v7
.LBB302_2412:                           ;   in Loop: Header=BB302_2086 Depth=1
	s_or_b32 exec_lo, exec_lo, s25
.LBB302_2413:                           ;   in Loop: Header=BB302_2086 Depth=1
	s_delay_alu instid0(SALU_CYCLE_1)
	s_or_b32 exec_lo, exec_lo, s24
.LBB302_2414:                           ;   in Loop: Header=BB302_2086 Depth=1
	s_delay_alu instid0(SALU_CYCLE_1) | instskip(SKIP_3) | instid1(VALU_DEP_3)
	s_or_b32 exec_lo, exec_lo, s23
	v_dual_lshrrev_b32 v6, 16, v0 :: v_dual_bitop2_b32 v54, v0, v1 bitop3:0x54
	v_dual_lshrrev_b32 v7, 16, v12 :: v_dual_bitop2_b32 v12, v12, v18 bitop3:0x54
	;; [unrolled: 1-line block ×3, first 2 shown]
	v_cvt_f32_f16_e32 v1, v6
	s_delay_alu instid0(VALU_DEP_3)
	v_cvt_f32_f16_e32 v0, v7
	v_lshrrev_b32_e32 v65, 16, v80
	v_cvt_f32_f16_e32 v6, v12
	v_or_b32_e32 v12, v82, v19
	v_cvt_f32_f16_e32 v7, v54
	s_wait_loadcnt_dscnt 0x0
	v_pk_mul_f32 v[0:1], v[70:71], v[0:1] op_sel_hi:[0,1]
	v_cvt_f32_f16_e32 v19, v18
	v_cvt_f32_f16_e32 v18, v65
	;; [unrolled: 1-line block ×4, first 2 shown]
	v_pk_mul_f32 v[6:7], v[70:71], v[6:7] op_sel_hi:[0,1]
	v_cvt_pk_f16_f32 v12, v0, v1
	v_pk_mul_f32 v[0:1], v[70:71], v[18:19] op_sel_hi:[0,1]
	s_delay_alu instid0(VALU_DEP_4) | instskip(NEXT) | instid1(VALU_DEP_4)
	v_pk_mul_f32 v[18:19], v[70:71], v[64:65] op_sel_hi:[0,1]
	v_cvt_pk_f16_f32 v6, v6, v7
	s_delay_alu instid0(VALU_DEP_4) | instskip(NEXT) | instid1(VALU_DEP_4)
	v_and_b32_e32 v71, 0xffff0000, v12
	v_cvt_pk_f16_f32 v0, v0, v1
	v_lshlrev_b32_e32 v82, 16, v12
	v_cvt_pk_f16_f32 v1, v18, v19
	v_lshrrev_b32_e32 v87, 16, v6
	v_and_b32_e32 v86, 0xffff, v6
	v_and_b32_e32 v19, 0xffff0000, v0
	s_delay_alu instid0(VALU_DEP_4) | instskip(SKIP_3) | instid1(VALU_DEP_4)
	v_dual_lshlrev_b32 v54, 16, v0 :: v_dual_lshrrev_b32 v85, 16, v1
	v_and_b32_e32 v84, 0xffff, v1
	v_or_b32_e32 v83, v71, v87
	v_or_b32_e32 v80, v82, v86
	;; [unrolled: 1-line block ×3, first 2 shown]
	s_delay_alu instid0(VALU_DEP_4)
	v_or_b32_e32 v70, v54, v84
	s_and_saveexec_b32 s8, s3
	s_cbranch_execz .LBB302_2416
; %bb.2415:                             ;   in Loop: Header=BB302_2086 Depth=1
	v_dual_cndmask_b32 v0, 0, v87, vcc_lo :: v_dual_cndmask_b32 v1, 0, v86, s0
	v_dual_cndmask_b32 v6, 0, v71, s1 :: v_dual_cndmask_b32 v7, 0, v82, s2
	v_dual_cndmask_b32 v12, 0, v85, s4 :: v_dual_cndmask_b32 v18, 0, v84, s5
	;; [unrolled: 1-line block ×3, first 2 shown]
	s_delay_alu instid0(VALU_DEP_3) | instskip(NEXT) | instid1(VALU_DEP_4)
	v_or_b32_e32 v83, v0, v6
	v_or_b32_e32 v80, v1, v7
	s_delay_alu instid0(VALU_DEP_3) | instskip(NEXT) | instid1(VALU_DEP_4)
	v_or_b32_e32 v81, v12, v19
	v_or_b32_e32 v70, v18, v54
.LBB302_2416:                           ;   in Loop: Header=BB302_2086 Depth=1
	s_or_b32 exec_lo, exec_lo, s8
	;;#ASMSTART
	v_pk_mul_f16 v0, v112, v83;

	;;#ASMEND
	;;#ASMSTART
	v_pk_mul_f16 v1, v103, v80;

	;;#ASMEND
	;; [unrolled: 4-line block ×4, first 2 shown]
	;;#ASMSTART
	v_pk_add_f16 v0, v0, v1;

	;;#ASMEND
	;;#ASMSTART
	v_pk_add_f16 v0, v0, v6;

	;;#ASMEND
	;; [unrolled: 4-line block ×3, first 2 shown]
	v_and_b32_e32 v1, 0xffff, v0
	v_lshrrev_b32_e32 v0, 16, v0
	;;#ASMSTART
	v_cvt_f32_f16 v41, v1;
	;;#ASMEND
	v_mov_b32_e32 v1, 0
	;;#ASMSTART
	v_cvt_f32_f16 v42, v0;
	;;#ASMEND
	flat_load_b64 v[80:81], v[68:69] offset:1280
	flat_load_b32 v70, v[22:23]
	v_mov_b32_e32 v0, 0
	s_mov_b32 s23, exec_lo
	s_wait_loadcnt_dscnt 0x101
	v_and_b32_e32 v12, 0xff, v80
	s_wait_xcnt 0x0
	s_delay_alu instid0(VALU_DEP_1)
	v_cmpx_ne_u16_e32 0, v12
	s_cbranch_execz .LBB302_2424
; %bb.2417:                             ;   in Loop: Header=BB302_2086 Depth=1
	v_mov_b32_e32 v1, 0x8000
	s_mov_b32 s24, exec_lo
	v_cmpx_ne_u16_e32 0x80, v12
	s_cbranch_execz .LBB302_2423
; %bb.2418:                             ;   in Loop: Header=BB302_2086 Depth=1
	v_and_b32_e32 v18, 0x7f, v80
	v_mov_b32_e32 v1, 0x7c01
	s_mov_b32 s25, exec_lo
	s_delay_alu instid0(VALU_DEP_2)
	v_cmpx_ne_u32_e32 0x7f, v18
	s_cbranch_execz .LBB302_2422
; %bb.2419:                             ;   in Loop: Header=BB302_2086 Depth=1
	v_dual_lshrrev_b32 v12, 3, v18 :: v_dual_bitop2_b32 v1, 7, v80 bitop3:0x40
	s_mov_b32 s26, exec_lo
	v_cmpx_gt_u32_e32 8, v18
; %bb.2420:                             ;   in Loop: Header=BB302_2086 Depth=1
	s_delay_alu instid0(VALU_DEP_2) | instskip(NEXT) | instid1(VALU_DEP_1)
	v_clz_i32_u32_e32 v1, v1
	v_min_u32_e32 v1, 32, v1
	s_delay_alu instid0(VALU_DEP_1) | instskip(NEXT) | instid1(VALU_DEP_1)
	v_subrev_nc_u32_e32 v6, 28, v1
	v_lshlrev_b64_e32 v[6:7], v6, v[80:81]
	s_delay_alu instid0(VALU_DEP_1)
	v_dual_sub_nc_u32 v12, 29, v1 :: v_dual_bitop2_b32 v1, 7, v6 bitop3:0x40
; %bb.2421:                             ;   in Loop: Header=BB302_2086 Depth=1
	s_or_b32 exec_lo, exec_lo, s26
	s_delay_alu instid0(VALU_DEP_1) | instskip(NEXT) | instid1(VALU_DEP_2)
	v_dual_lshlrev_b32 v6, 8, v80 :: v_dual_lshlrev_b32 v1, 7, v1
	v_lshl_add_u32 v7, v12, 10, 0x2000
	s_delay_alu instid0(VALU_DEP_2) | instskip(NEXT) | instid1(VALU_DEP_2)
	v_and_b32_e32 v6, 0x8000, v6
	v_and_b32_e32 v7, 0xfc00, v7
	s_delay_alu instid0(VALU_DEP_1)
	v_or3_b32 v1, v6, v7, v1
.LBB302_2422:                           ;   in Loop: Header=BB302_2086 Depth=1
	s_or_b32 exec_lo, exec_lo, s25
.LBB302_2423:                           ;   in Loop: Header=BB302_2086 Depth=1
	s_delay_alu instid0(SALU_CYCLE_1)
	s_or_b32 exec_lo, exec_lo, s24
.LBB302_2424:                           ;   in Loop: Header=BB302_2086 Depth=1
	s_delay_alu instid0(SALU_CYCLE_1) | instskip(SKIP_2) | instid1(VALU_DEP_1)
	s_or_b32 exec_lo, exec_lo, s23
	v_lshrrev_b16 v54, 8, v80
	s_mov_b32 s23, exec_lo
	v_cmpx_ne_u16_e32 0, v54
	s_cbranch_execz .LBB302_2432
; %bb.2425:                             ;   in Loop: Header=BB302_2086 Depth=1
	v_bfrev_b32_e32 v0, 1
	s_mov_b32 s24, exec_lo
	v_cmpx_ne_u16_e32 0x80, v54
	s_cbranch_execz .LBB302_2431
; %bb.2426:                             ;   in Loop: Header=BB302_2086 Depth=1
	v_and_b32_e32 v12, 0xffff, v54
	v_mov_b32_e32 v0, 0x7c010000
	s_mov_b32 s25, exec_lo
	s_delay_alu instid0(VALU_DEP_2) | instskip(NEXT) | instid1(VALU_DEP_1)
	v_and_b32_e32 v19, 0x7f, v12
	v_cmpx_ne_u32_e32 0x7f, v19
	s_cbranch_execz .LBB302_2430
; %bb.2427:                             ;   in Loop: Header=BB302_2086 Depth=1
	v_dual_lshrrev_b32 v18, 3, v19 :: v_dual_bitop2_b32 v0, 7, v12 bitop3:0x40
	s_mov_b32 s26, exec_lo
	v_cmpx_gt_u32_e32 8, v19
; %bb.2428:                             ;   in Loop: Header=BB302_2086 Depth=1
	s_delay_alu instid0(VALU_DEP_2) | instskip(NEXT) | instid1(VALU_DEP_1)
	v_clz_i32_u32_e32 v0, v0
	v_min_u32_e32 v0, 32, v0
	s_delay_alu instid0(VALU_DEP_1) | instskip(NEXT) | instid1(VALU_DEP_1)
	v_subrev_nc_u32_e32 v6, 28, v0
	v_lshlrev_b64_e32 v[6:7], v6, v[54:55]
	s_delay_alu instid0(VALU_DEP_1)
	v_dual_sub_nc_u32 v18, 29, v0 :: v_dual_bitop2_b32 v0, 7, v6 bitop3:0x40
; %bb.2429:                             ;   in Loop: Header=BB302_2086 Depth=1
	s_or_b32 exec_lo, exec_lo, s26
	v_lshlrev_b32_e32 v6, 8, v12
	s_delay_alu instid0(VALU_DEP_2) | instskip(NEXT) | instid1(VALU_DEP_3)
	v_lshl_add_u32 v7, v18, 10, 0x2000
	v_lshlrev_b32_e32 v0, 23, v0
	s_delay_alu instid0(VALU_DEP_2) | instskip(NEXT) | instid1(VALU_DEP_1)
	v_and_or_b32 v6, 0x8000, v6, v7
	v_lshl_or_b32 v0, v6, 16, v0
.LBB302_2430:                           ;   in Loop: Header=BB302_2086 Depth=1
	s_or_b32 exec_lo, exec_lo, s25
.LBB302_2431:                           ;   in Loop: Header=BB302_2086 Depth=1
	s_delay_alu instid0(SALU_CYCLE_1)
	s_or_b32 exec_lo, exec_lo, s24
.LBB302_2432:                           ;   in Loop: Header=BB302_2086 Depth=1
	s_delay_alu instid0(SALU_CYCLE_1) | instskip(SKIP_3) | instid1(VALU_DEP_2)
	s_or_b32 exec_lo, exec_lo, s23
	v_dual_lshrrev_b32 v54, 16, v80 :: v_dual_mov_b32 v12, 0
	v_mov_b32_e32 v18, 0
	s_mov_b32 s23, exec_lo
	v_and_b32_e32 v19, 0xff, v54
	s_delay_alu instid0(VALU_DEP_1)
	v_cmpx_ne_u16_e32 0, v19
	s_cbranch_execz .LBB302_2440
; %bb.2433:                             ;   in Loop: Header=BB302_2086 Depth=1
	v_mov_b32_e32 v18, 0x8000
	s_mov_b32 s24, exec_lo
	v_cmpx_ne_u16_e32 0x80, v19
	s_cbranch_execz .LBB302_2439
; %bb.2434:                             ;   in Loop: Header=BB302_2086 Depth=1
	v_bfe_u32 v71, v80, 16, 7
	v_mov_b32_e32 v18, 0x7c01
	s_mov_b32 s25, exec_lo
	s_delay_alu instid0(VALU_DEP_2)
	v_cmpx_ne_u32_e32 0x7f, v71
	s_cbranch_execz .LBB302_2438
; %bb.2435:                             ;   in Loop: Header=BB302_2086 Depth=1
	v_dual_lshrrev_b32 v19, 3, v71 :: v_dual_bitop2_b32 v18, 7, v54 bitop3:0x40
	s_mov_b32 s26, exec_lo
	v_cmpx_gt_u32_e32 8, v71
; %bb.2436:                             ;   in Loop: Header=BB302_2086 Depth=1
	s_delay_alu instid0(VALU_DEP_2) | instskip(NEXT) | instid1(VALU_DEP_1)
	v_clz_i32_u32_e32 v6, v18
	v_min_u32_e32 v18, 32, v6
	s_delay_alu instid0(VALU_DEP_1) | instskip(SKIP_1) | instid1(VALU_DEP_2)
	v_subrev_nc_u32_e32 v6, 28, v18
	v_sub_nc_u32_e32 v19, 29, v18
	v_lshlrev_b64_e32 v[6:7], v6, v[54:55]
	s_delay_alu instid0(VALU_DEP_1)
	v_and_b32_e32 v18, 7, v6
; %bb.2437:                             ;   in Loop: Header=BB302_2086 Depth=1
	s_or_b32 exec_lo, exec_lo, s26
	v_lshlrev_b32_e32 v6, 8, v54
	v_lshl_add_u32 v7, v19, 10, 0x2000
	s_delay_alu instid0(VALU_DEP_3) | instskip(NEXT) | instid1(VALU_DEP_3)
	v_lshlrev_b32_e32 v18, 7, v18
	v_and_b32_e32 v6, 0x8000, v6
	s_delay_alu instid0(VALU_DEP_3) | instskip(NEXT) | instid1(VALU_DEP_1)
	v_and_b32_e32 v7, 0xfc00, v7
	v_or3_b32 v18, v6, v7, v18
.LBB302_2438:                           ;   in Loop: Header=BB302_2086 Depth=1
	s_or_b32 exec_lo, exec_lo, s25
.LBB302_2439:                           ;   in Loop: Header=BB302_2086 Depth=1
	s_delay_alu instid0(SALU_CYCLE_1)
	s_or_b32 exec_lo, exec_lo, s24
.LBB302_2440:                           ;   in Loop: Header=BB302_2086 Depth=1
	s_delay_alu instid0(SALU_CYCLE_1) | instskip(NEXT) | instid1(SALU_CYCLE_1)
	s_or_b32 exec_lo, exec_lo, s23
	s_mov_b32 s23, exec_lo
	v_cmpx_lt_u32_e32 0xffffff, v80
	s_cbranch_execz .LBB302_2448
; %bb.2441:                             ;   in Loop: Header=BB302_2086 Depth=1
	v_lshrrev_b32_e32 v54, 24, v80
	v_bfrev_b32_e32 v12, 1
	s_mov_b32 s24, exec_lo
	s_delay_alu instid0(VALU_DEP_2)
	v_cmpx_ne_u32_e32 0x80, v54
	s_cbranch_execz .LBB302_2447
; %bb.2442:                             ;   in Loop: Header=BB302_2086 Depth=1
	v_and_b32_e32 v71, 0x7f, v54
	v_mov_b32_e32 v12, 0x7c010000
	s_mov_b32 s25, exec_lo
	s_delay_alu instid0(VALU_DEP_2)
	v_cmpx_ne_u32_e32 0x7f, v71
	s_cbranch_execz .LBB302_2446
; %bb.2443:                             ;   in Loop: Header=BB302_2086 Depth=1
	v_dual_lshrrev_b32 v19, 3, v71 :: v_dual_bitop2_b32 v12, 7, v54 bitop3:0x40
	s_mov_b32 s26, exec_lo
	v_cmpx_gt_u32_e32 8, v71
; %bb.2444:                             ;   in Loop: Header=BB302_2086 Depth=1
	s_delay_alu instid0(VALU_DEP_2) | instskip(NEXT) | instid1(VALU_DEP_1)
	v_clz_i32_u32_e32 v6, v12
	v_min_u32_e32 v12, 32, v6
	s_delay_alu instid0(VALU_DEP_1) | instskip(NEXT) | instid1(VALU_DEP_1)
	v_subrev_nc_u32_e32 v6, 28, v12
	v_lshlrev_b64_e32 v[6:7], v6, v[54:55]
	s_delay_alu instid0(VALU_DEP_1)
	v_dual_sub_nc_u32 v19, 29, v12 :: v_dual_bitop2_b32 v12, 7, v6 bitop3:0x40
; %bb.2445:                             ;   in Loop: Header=BB302_2086 Depth=1
	s_or_b32 exec_lo, exec_lo, s26
	v_lshlrev_b32_e32 v6, 8, v54
	s_delay_alu instid0(VALU_DEP_2) | instskip(NEXT) | instid1(VALU_DEP_1)
	v_lshl_add_u32 v7, v19, 10, 0x2000
	v_and_or_b32 v6, 0x8000, v6, v7
	v_lshlrev_b32_e32 v7, 23, v12
	s_delay_alu instid0(VALU_DEP_1)
	v_lshl_or_b32 v12, v6, 16, v7
.LBB302_2446:                           ;   in Loop: Header=BB302_2086 Depth=1
	s_or_b32 exec_lo, exec_lo, s25
.LBB302_2447:                           ;   in Loop: Header=BB302_2086 Depth=1
	s_delay_alu instid0(SALU_CYCLE_1)
	s_or_b32 exec_lo, exec_lo, s24
.LBB302_2448:                           ;   in Loop: Header=BB302_2086 Depth=1
	s_delay_alu instid0(SALU_CYCLE_1) | instskip(SKIP_4) | instid1(VALU_DEP_3)
	s_or_b32 exec_lo, exec_lo, s23
	v_and_b32_e32 v82, 0xff, v81
	v_dual_mov_b32 v54, v81 :: v_dual_mov_b32 v71, 0
	v_mov_b32_e32 v19, 0
	s_mov_b32 s23, exec_lo
	v_cmpx_ne_u16_e32 0, v82
	s_cbranch_execz .LBB302_2456
; %bb.2449:                             ;   in Loop: Header=BB302_2086 Depth=1
	v_mov_b32_e32 v19, 0x8000
	s_mov_b32 s24, exec_lo
	v_cmpx_ne_u16_e32 0x80, v82
	s_cbranch_execz .LBB302_2455
; %bb.2450:                             ;   in Loop: Header=BB302_2086 Depth=1
	v_and_b32_e32 v83, 0x7f, v81
	v_mov_b32_e32 v19, 0x7c01
	s_mov_b32 s25, exec_lo
	s_delay_alu instid0(VALU_DEP_2)
	v_cmpx_ne_u32_e32 0x7f, v83
	s_cbranch_execz .LBB302_2454
; %bb.2451:                             ;   in Loop: Header=BB302_2086 Depth=1
	v_dual_lshrrev_b32 v82, 3, v83 :: v_dual_bitop2_b32 v19, 7, v81 bitop3:0x40
	s_mov_b32 s26, exec_lo
	v_cmpx_gt_u32_e32 8, v83
; %bb.2452:                             ;   in Loop: Header=BB302_2086 Depth=1
	s_delay_alu instid0(VALU_DEP_2) | instskip(NEXT) | instid1(VALU_DEP_1)
	v_clz_i32_u32_e32 v6, v19
	v_min_u32_e32 v19, 32, v6
	s_delay_alu instid0(VALU_DEP_1) | instskip(NEXT) | instid1(VALU_DEP_1)
	v_subrev_nc_u32_e32 v6, 28, v19
	v_lshlrev_b64_e32 v[6:7], v6, v[54:55]
	s_delay_alu instid0(VALU_DEP_1)
	v_dual_sub_nc_u32 v82, 29, v19 :: v_dual_bitop2_b32 v19, 7, v6 bitop3:0x40
; %bb.2453:                             ;   in Loop: Header=BB302_2086 Depth=1
	s_or_b32 exec_lo, exec_lo, s26
	s_delay_alu instid0(VALU_DEP_1) | instskip(NEXT) | instid1(VALU_DEP_2)
	v_dual_lshlrev_b32 v6, 8, v81 :: v_dual_lshlrev_b32 v19, 7, v19
	v_lshl_add_u32 v7, v82, 10, 0x2000
	s_delay_alu instid0(VALU_DEP_2) | instskip(NEXT) | instid1(VALU_DEP_2)
	v_and_b32_e32 v6, 0x8000, v6
	v_and_b32_e32 v7, 0xfc00, v7
	s_delay_alu instid0(VALU_DEP_1)
	v_or3_b32 v19, v6, v7, v19
.LBB302_2454:                           ;   in Loop: Header=BB302_2086 Depth=1
	s_or_b32 exec_lo, exec_lo, s25
.LBB302_2455:                           ;   in Loop: Header=BB302_2086 Depth=1
	s_delay_alu instid0(SALU_CYCLE_1)
	s_or_b32 exec_lo, exec_lo, s24
.LBB302_2456:                           ;   in Loop: Header=BB302_2086 Depth=1
	s_delay_alu instid0(SALU_CYCLE_1) | instskip(SKIP_3) | instid1(VALU_DEP_2)
	s_or_b32 exec_lo, exec_lo, s23
	v_lshrrev_b16 v54, 8, v54
	v_mov_b32_e32 v82, 0
	s_mov_b32 s23, exec_lo
	v_cmpx_ne_u16_e32 0, v54
	s_cbranch_execz .LBB302_2464
; %bb.2457:                             ;   in Loop: Header=BB302_2086 Depth=1
	v_bfrev_b32_e32 v82, 1
	s_mov_b32 s24, exec_lo
	v_cmpx_ne_u16_e32 0x80, v54
	s_cbranch_execz .LBB302_2463
; %bb.2458:                             ;   in Loop: Header=BB302_2086 Depth=1
	v_and_b32_e32 v83, 0xffff, v54
	v_mov_b32_e32 v82, 0x7c010000
	s_mov_b32 s25, exec_lo
	s_delay_alu instid0(VALU_DEP_2) | instskip(NEXT) | instid1(VALU_DEP_1)
	v_and_b32_e32 v85, 0x7f, v83
	v_cmpx_ne_u32_e32 0x7f, v85
	s_cbranch_execz .LBB302_2462
; %bb.2459:                             ;   in Loop: Header=BB302_2086 Depth=1
	v_dual_lshrrev_b32 v84, 3, v85 :: v_dual_bitop2_b32 v82, 7, v83 bitop3:0x40
	s_mov_b32 s26, exec_lo
	v_cmpx_gt_u32_e32 8, v85
; %bb.2460:                             ;   in Loop: Header=BB302_2086 Depth=1
	s_delay_alu instid0(VALU_DEP_2) | instskip(NEXT) | instid1(VALU_DEP_1)
	v_clz_i32_u32_e32 v6, v82
	v_min_u32_e32 v64, 32, v6
	s_delay_alu instid0(VALU_DEP_1) | instskip(NEXT) | instid1(VALU_DEP_1)
	v_subrev_nc_u32_e32 v6, 28, v64
	v_lshlrev_b64_e32 v[6:7], v6, v[54:55]
	s_delay_alu instid0(VALU_DEP_1)
	v_dual_sub_nc_u32 v84, 29, v64 :: v_dual_bitop2_b32 v82, 7, v6 bitop3:0x40
; %bb.2461:                             ;   in Loop: Header=BB302_2086 Depth=1
	s_or_b32 exec_lo, exec_lo, s26
	v_lshlrev_b32_e32 v6, 8, v83
	s_delay_alu instid0(VALU_DEP_2) | instskip(NEXT) | instid1(VALU_DEP_1)
	v_lshl_add_u32 v7, v84, 10, 0x2000
	v_and_or_b32 v6, 0x8000, v6, v7
	v_lshlrev_b32_e32 v7, 23, v82
	s_delay_alu instid0(VALU_DEP_1)
	v_lshl_or_b32 v82, v6, 16, v7
.LBB302_2462:                           ;   in Loop: Header=BB302_2086 Depth=1
	s_or_b32 exec_lo, exec_lo, s25
.LBB302_2463:                           ;   in Loop: Header=BB302_2086 Depth=1
	s_delay_alu instid0(SALU_CYCLE_1)
	s_or_b32 exec_lo, exec_lo, s24
.LBB302_2464:                           ;   in Loop: Header=BB302_2086 Depth=1
	s_delay_alu instid0(SALU_CYCLE_1) | instskip(SKIP_2) | instid1(VALU_DEP_1)
	s_or_b32 exec_lo, exec_lo, s23
	v_lshrrev_b32_e32 v54, 16, v81
	s_mov_b32 s23, exec_lo
	v_and_b32_e32 v83, 0xff, v54
	s_delay_alu instid0(VALU_DEP_1)
	v_cmpx_ne_u16_e32 0, v83
	s_cbranch_execz .LBB302_2472
; %bb.2465:                             ;   in Loop: Header=BB302_2086 Depth=1
	v_mov_b32_e32 v71, 0x8000
	s_mov_b32 s24, exec_lo
	v_cmpx_ne_u16_e32 0x80, v83
	s_cbranch_execz .LBB302_2471
; %bb.2466:                             ;   in Loop: Header=BB302_2086 Depth=1
	v_bfe_u32 v84, v81, 16, 7
	v_mov_b32_e32 v71, 0x7c01
	s_mov_b32 s25, exec_lo
	s_delay_alu instid0(VALU_DEP_2)
	v_cmpx_ne_u32_e32 0x7f, v84
	s_cbranch_execz .LBB302_2470
; %bb.2467:                             ;   in Loop: Header=BB302_2086 Depth=1
	v_dual_lshrrev_b32 v83, 3, v84 :: v_dual_bitop2_b32 v71, 7, v54 bitop3:0x40
	s_mov_b32 s26, exec_lo
	v_cmpx_gt_u32_e32 8, v84
; %bb.2468:                             ;   in Loop: Header=BB302_2086 Depth=1
	s_delay_alu instid0(VALU_DEP_2) | instskip(NEXT) | instid1(VALU_DEP_1)
	v_clz_i32_u32_e32 v6, v71
	v_min_u32_e32 v64, 32, v6
	s_delay_alu instid0(VALU_DEP_1) | instskip(NEXT) | instid1(VALU_DEP_1)
	v_subrev_nc_u32_e32 v6, 28, v64
	v_lshlrev_b64_e32 v[6:7], v6, v[54:55]
	s_delay_alu instid0(VALU_DEP_1)
	v_dual_sub_nc_u32 v83, 29, v64 :: v_dual_bitop2_b32 v71, 7, v6 bitop3:0x40
; %bb.2469:                             ;   in Loop: Header=BB302_2086 Depth=1
	s_or_b32 exec_lo, exec_lo, s26
	s_delay_alu instid0(VALU_DEP_1) | instskip(NEXT) | instid1(VALU_DEP_2)
	v_dual_lshlrev_b32 v6, 8, v54 :: v_dual_lshlrev_b32 v54, 7, v71
	v_lshl_add_u32 v7, v83, 10, 0x2000
	s_delay_alu instid0(VALU_DEP_2) | instskip(NEXT) | instid1(VALU_DEP_2)
	v_and_b32_e32 v6, 0x8000, v6
	v_and_b32_e32 v7, 0xfc00, v7
	s_delay_alu instid0(VALU_DEP_1)
	v_or3_b32 v71, v6, v7, v54
.LBB302_2470:                           ;   in Loop: Header=BB302_2086 Depth=1
	s_or_b32 exec_lo, exec_lo, s25
.LBB302_2471:                           ;   in Loop: Header=BB302_2086 Depth=1
	s_delay_alu instid0(SALU_CYCLE_1)
	s_or_b32 exec_lo, exec_lo, s24
.LBB302_2472:                           ;   in Loop: Header=BB302_2086 Depth=1
	s_delay_alu instid0(SALU_CYCLE_1)
	s_or_b32 exec_lo, exec_lo, s23
	v_cmp_lt_u64_e64 s8, s[16:17], v[80:81]
	v_mov_b32_e32 v80, 0
	s_and_saveexec_b32 s23, s8
	s_cbranch_execz .LBB302_2480
; %bb.2473:                             ;   in Loop: Header=BB302_2086 Depth=1
	v_lshrrev_b32_e32 v54, 24, v81
	v_bfrev_b32_e32 v80, 1
	s_mov_b32 s24, exec_lo
	s_delay_alu instid0(VALU_DEP_2)
	v_cmpx_ne_u32_e32 0x80, v54
	s_cbranch_execz .LBB302_2479
; %bb.2474:                             ;   in Loop: Header=BB302_2086 Depth=1
	v_and_b32_e32 v83, 0x7f, v54
	v_mov_b32_e32 v80, 0x7c010000
	s_mov_b32 s25, exec_lo
	s_delay_alu instid0(VALU_DEP_2)
	v_cmpx_ne_u32_e32 0x7f, v83
	s_cbranch_execz .LBB302_2478
; %bb.2475:                             ;   in Loop: Header=BB302_2086 Depth=1
	v_dual_lshrrev_b32 v81, 3, v83 :: v_dual_bitop2_b32 v80, 7, v54 bitop3:0x40
	s_mov_b32 s26, exec_lo
	v_cmpx_gt_u32_e32 8, v83
; %bb.2476:                             ;   in Loop: Header=BB302_2086 Depth=1
	s_delay_alu instid0(VALU_DEP_2) | instskip(NEXT) | instid1(VALU_DEP_1)
	v_clz_i32_u32_e32 v6, v80
	v_min_u32_e32 v64, 32, v6
	s_delay_alu instid0(VALU_DEP_1) | instskip(NEXT) | instid1(VALU_DEP_1)
	v_subrev_nc_u32_e32 v6, 28, v64
	v_lshlrev_b64_e32 v[6:7], v6, v[54:55]
	s_delay_alu instid0(VALU_DEP_1)
	v_dual_sub_nc_u32 v81, 29, v64 :: v_dual_bitop2_b32 v80, 7, v6 bitop3:0x40
; %bb.2477:                             ;   in Loop: Header=BB302_2086 Depth=1
	s_or_b32 exec_lo, exec_lo, s26
	v_lshlrev_b32_e32 v6, 8, v54
	s_delay_alu instid0(VALU_DEP_2) | instskip(NEXT) | instid1(VALU_DEP_1)
	v_lshl_add_u32 v7, v81, 10, 0x2000
	v_and_or_b32 v6, 0x8000, v6, v7
	v_lshlrev_b32_e32 v7, 23, v80
	s_delay_alu instid0(VALU_DEP_1)
	v_lshl_or_b32 v80, v6, 16, v7
.LBB302_2478:                           ;   in Loop: Header=BB302_2086 Depth=1
	s_or_b32 exec_lo, exec_lo, s25
.LBB302_2479:                           ;   in Loop: Header=BB302_2086 Depth=1
	s_delay_alu instid0(SALU_CYCLE_1)
	s_or_b32 exec_lo, exec_lo, s24
.LBB302_2480:                           ;   in Loop: Header=BB302_2086 Depth=1
	s_delay_alu instid0(SALU_CYCLE_1) | instskip(SKIP_3) | instid1(VALU_DEP_3)
	s_or_b32 exec_lo, exec_lo, s23
	v_dual_lshrrev_b32 v6, 16, v0 :: v_dual_bitop2_b32 v54, v0, v1 bitop3:0x54
	v_dual_lshrrev_b32 v7, 16, v12 :: v_dual_bitop2_b32 v12, v12, v18 bitop3:0x54
	;; [unrolled: 1-line block ×3, first 2 shown]
	v_cvt_f32_f16_e32 v1, v6
	s_delay_alu instid0(VALU_DEP_3)
	v_cvt_f32_f16_e32 v0, v7
	v_lshrrev_b32_e32 v65, 16, v80
	v_cvt_f32_f16_e32 v6, v12
	v_or_b32_e32 v12, v82, v19
	v_cvt_f32_f16_e32 v7, v54
	s_wait_loadcnt_dscnt 0x0
	v_pk_mul_f32 v[0:1], v[70:71], v[0:1] op_sel_hi:[0,1]
	v_cvt_f32_f16_e32 v19, v18
	v_cvt_f32_f16_e32 v18, v65
	;; [unrolled: 1-line block ×4, first 2 shown]
	v_pk_mul_f32 v[6:7], v[70:71], v[6:7] op_sel_hi:[0,1]
	v_cvt_pk_f16_f32 v12, v0, v1
	v_pk_mul_f32 v[0:1], v[70:71], v[18:19] op_sel_hi:[0,1]
	s_delay_alu instid0(VALU_DEP_4) | instskip(NEXT) | instid1(VALU_DEP_4)
	v_pk_mul_f32 v[18:19], v[70:71], v[64:65] op_sel_hi:[0,1]
	v_cvt_pk_f16_f32 v6, v6, v7
	s_delay_alu instid0(VALU_DEP_4) | instskip(NEXT) | instid1(VALU_DEP_4)
	v_and_b32_e32 v71, 0xffff0000, v12
	v_cvt_pk_f16_f32 v0, v0, v1
	v_lshlrev_b32_e32 v82, 16, v12
	v_cvt_pk_f16_f32 v1, v18, v19
	v_lshrrev_b32_e32 v87, 16, v6
	v_and_b32_e32 v86, 0xffff, v6
	v_and_b32_e32 v19, 0xffff0000, v0
	s_delay_alu instid0(VALU_DEP_4) | instskip(SKIP_3) | instid1(VALU_DEP_4)
	v_dual_lshlrev_b32 v54, 16, v0 :: v_dual_lshrrev_b32 v85, 16, v1
	v_and_b32_e32 v84, 0xffff, v1
	v_or_b32_e32 v83, v71, v87
	v_or_b32_e32 v80, v82, v86
	;; [unrolled: 1-line block ×3, first 2 shown]
	s_delay_alu instid0(VALU_DEP_4)
	v_or_b32_e32 v70, v54, v84
	s_and_saveexec_b32 s8, s3
	s_cbranch_execz .LBB302_2482
; %bb.2481:                             ;   in Loop: Header=BB302_2086 Depth=1
	v_dual_cndmask_b32 v0, 0, v87, vcc_lo :: v_dual_cndmask_b32 v1, 0, v86, s0
	v_dual_cndmask_b32 v6, 0, v71, s1 :: v_dual_cndmask_b32 v7, 0, v82, s2
	v_dual_cndmask_b32 v12, 0, v85, s4 :: v_dual_cndmask_b32 v18, 0, v84, s5
	;; [unrolled: 1-line block ×3, first 2 shown]
	s_delay_alu instid0(VALU_DEP_3) | instskip(NEXT) | instid1(VALU_DEP_4)
	v_or_b32_e32 v83, v0, v6
	v_or_b32_e32 v80, v1, v7
	s_delay_alu instid0(VALU_DEP_3) | instskip(NEXT) | instid1(VALU_DEP_4)
	v_or_b32_e32 v81, v12, v19
	v_or_b32_e32 v70, v18, v54
.LBB302_2482:                           ;   in Loop: Header=BB302_2086 Depth=1
	s_or_b32 exec_lo, exec_lo, s8
	;;#ASMSTART
	v_pk_mul_f16 v0, v112, v83;

	;;#ASMEND
	;;#ASMSTART
	v_pk_mul_f16 v1, v103, v80;

	;;#ASMEND
	;; [unrolled: 4-line block ×4, first 2 shown]
	;;#ASMSTART
	v_pk_add_f16 v0, v0, v1;

	;;#ASMEND
	;;#ASMSTART
	v_pk_add_f16 v0, v0, v6;

	;;#ASMEND
	;; [unrolled: 4-line block ×3, first 2 shown]
	v_and_b32_e32 v1, 0xffff, v0
	v_lshrrev_b32_e32 v0, 16, v0
	;;#ASMSTART
	v_cvt_f32_f16 v43, v1;
	;;#ASMEND
	v_mov_b32_e32 v1, 0
	;;#ASMSTART
	v_cvt_f32_f16 v44, v0;
	;;#ASMEND
	flat_load_b64 v[80:81], v[68:69] offset:1536
	flat_load_b32 v70, v[22:23]
	v_mov_b32_e32 v0, 0
	s_mov_b32 s23, exec_lo
	s_wait_loadcnt_dscnt 0x101
	v_and_b32_e32 v12, 0xff, v80
	s_wait_xcnt 0x0
	s_delay_alu instid0(VALU_DEP_1)
	v_cmpx_ne_u16_e32 0, v12
	s_cbranch_execz .LBB302_2490
; %bb.2483:                             ;   in Loop: Header=BB302_2086 Depth=1
	v_mov_b32_e32 v1, 0x8000
	s_mov_b32 s24, exec_lo
	v_cmpx_ne_u16_e32 0x80, v12
	s_cbranch_execz .LBB302_2489
; %bb.2484:                             ;   in Loop: Header=BB302_2086 Depth=1
	v_and_b32_e32 v18, 0x7f, v80
	v_mov_b32_e32 v1, 0x7c01
	s_mov_b32 s25, exec_lo
	s_delay_alu instid0(VALU_DEP_2)
	v_cmpx_ne_u32_e32 0x7f, v18
	s_cbranch_execz .LBB302_2488
; %bb.2485:                             ;   in Loop: Header=BB302_2086 Depth=1
	v_dual_lshrrev_b32 v12, 3, v18 :: v_dual_bitop2_b32 v1, 7, v80 bitop3:0x40
	s_mov_b32 s26, exec_lo
	v_cmpx_gt_u32_e32 8, v18
; %bb.2486:                             ;   in Loop: Header=BB302_2086 Depth=1
	s_delay_alu instid0(VALU_DEP_2) | instskip(NEXT) | instid1(VALU_DEP_1)
	v_clz_i32_u32_e32 v1, v1
	v_min_u32_e32 v1, 32, v1
	s_delay_alu instid0(VALU_DEP_1) | instskip(NEXT) | instid1(VALU_DEP_1)
	v_subrev_nc_u32_e32 v6, 28, v1
	v_lshlrev_b64_e32 v[6:7], v6, v[80:81]
	s_delay_alu instid0(VALU_DEP_1)
	v_dual_sub_nc_u32 v12, 29, v1 :: v_dual_bitop2_b32 v1, 7, v6 bitop3:0x40
; %bb.2487:                             ;   in Loop: Header=BB302_2086 Depth=1
	s_or_b32 exec_lo, exec_lo, s26
	s_delay_alu instid0(VALU_DEP_1) | instskip(NEXT) | instid1(VALU_DEP_2)
	v_dual_lshlrev_b32 v6, 8, v80 :: v_dual_lshlrev_b32 v1, 7, v1
	v_lshl_add_u32 v7, v12, 10, 0x2000
	s_delay_alu instid0(VALU_DEP_2) | instskip(NEXT) | instid1(VALU_DEP_2)
	v_and_b32_e32 v6, 0x8000, v6
	v_and_b32_e32 v7, 0xfc00, v7
	s_delay_alu instid0(VALU_DEP_1)
	v_or3_b32 v1, v6, v7, v1
.LBB302_2488:                           ;   in Loop: Header=BB302_2086 Depth=1
	s_or_b32 exec_lo, exec_lo, s25
.LBB302_2489:                           ;   in Loop: Header=BB302_2086 Depth=1
	s_delay_alu instid0(SALU_CYCLE_1)
	s_or_b32 exec_lo, exec_lo, s24
.LBB302_2490:                           ;   in Loop: Header=BB302_2086 Depth=1
	s_delay_alu instid0(SALU_CYCLE_1) | instskip(SKIP_2) | instid1(VALU_DEP_1)
	s_or_b32 exec_lo, exec_lo, s23
	v_lshrrev_b16 v54, 8, v80
	s_mov_b32 s23, exec_lo
	v_cmpx_ne_u16_e32 0, v54
	s_cbranch_execz .LBB302_2498
; %bb.2491:                             ;   in Loop: Header=BB302_2086 Depth=1
	v_bfrev_b32_e32 v0, 1
	s_mov_b32 s24, exec_lo
	v_cmpx_ne_u16_e32 0x80, v54
	s_cbranch_execz .LBB302_2497
; %bb.2492:                             ;   in Loop: Header=BB302_2086 Depth=1
	v_and_b32_e32 v12, 0xffff, v54
	v_mov_b32_e32 v0, 0x7c010000
	s_mov_b32 s25, exec_lo
	s_delay_alu instid0(VALU_DEP_2) | instskip(NEXT) | instid1(VALU_DEP_1)
	v_and_b32_e32 v19, 0x7f, v12
	v_cmpx_ne_u32_e32 0x7f, v19
	s_cbranch_execz .LBB302_2496
; %bb.2493:                             ;   in Loop: Header=BB302_2086 Depth=1
	v_dual_lshrrev_b32 v18, 3, v19 :: v_dual_bitop2_b32 v0, 7, v12 bitop3:0x40
	s_mov_b32 s26, exec_lo
	v_cmpx_gt_u32_e32 8, v19
; %bb.2494:                             ;   in Loop: Header=BB302_2086 Depth=1
	s_delay_alu instid0(VALU_DEP_2) | instskip(NEXT) | instid1(VALU_DEP_1)
	v_clz_i32_u32_e32 v0, v0
	v_min_u32_e32 v0, 32, v0
	s_delay_alu instid0(VALU_DEP_1) | instskip(NEXT) | instid1(VALU_DEP_1)
	v_subrev_nc_u32_e32 v6, 28, v0
	v_lshlrev_b64_e32 v[6:7], v6, v[54:55]
	s_delay_alu instid0(VALU_DEP_1)
	v_dual_sub_nc_u32 v18, 29, v0 :: v_dual_bitop2_b32 v0, 7, v6 bitop3:0x40
; %bb.2495:                             ;   in Loop: Header=BB302_2086 Depth=1
	s_or_b32 exec_lo, exec_lo, s26
	v_lshlrev_b32_e32 v6, 8, v12
	s_delay_alu instid0(VALU_DEP_2) | instskip(NEXT) | instid1(VALU_DEP_3)
	v_lshl_add_u32 v7, v18, 10, 0x2000
	v_lshlrev_b32_e32 v0, 23, v0
	s_delay_alu instid0(VALU_DEP_2) | instskip(NEXT) | instid1(VALU_DEP_1)
	v_and_or_b32 v6, 0x8000, v6, v7
	v_lshl_or_b32 v0, v6, 16, v0
.LBB302_2496:                           ;   in Loop: Header=BB302_2086 Depth=1
	s_or_b32 exec_lo, exec_lo, s25
.LBB302_2497:                           ;   in Loop: Header=BB302_2086 Depth=1
	s_delay_alu instid0(SALU_CYCLE_1)
	s_or_b32 exec_lo, exec_lo, s24
.LBB302_2498:                           ;   in Loop: Header=BB302_2086 Depth=1
	s_delay_alu instid0(SALU_CYCLE_1) | instskip(SKIP_3) | instid1(VALU_DEP_2)
	s_or_b32 exec_lo, exec_lo, s23
	v_dual_lshrrev_b32 v54, 16, v80 :: v_dual_mov_b32 v12, 0
	v_mov_b32_e32 v18, 0
	s_mov_b32 s23, exec_lo
	v_and_b32_e32 v19, 0xff, v54
	s_delay_alu instid0(VALU_DEP_1)
	v_cmpx_ne_u16_e32 0, v19
	s_cbranch_execz .LBB302_2506
; %bb.2499:                             ;   in Loop: Header=BB302_2086 Depth=1
	v_mov_b32_e32 v18, 0x8000
	s_mov_b32 s24, exec_lo
	v_cmpx_ne_u16_e32 0x80, v19
	s_cbranch_execz .LBB302_2505
; %bb.2500:                             ;   in Loop: Header=BB302_2086 Depth=1
	v_bfe_u32 v71, v80, 16, 7
	v_mov_b32_e32 v18, 0x7c01
	s_mov_b32 s25, exec_lo
	s_delay_alu instid0(VALU_DEP_2)
	v_cmpx_ne_u32_e32 0x7f, v71
	s_cbranch_execz .LBB302_2504
; %bb.2501:                             ;   in Loop: Header=BB302_2086 Depth=1
	v_dual_lshrrev_b32 v19, 3, v71 :: v_dual_bitop2_b32 v18, 7, v54 bitop3:0x40
	s_mov_b32 s26, exec_lo
	v_cmpx_gt_u32_e32 8, v71
; %bb.2502:                             ;   in Loop: Header=BB302_2086 Depth=1
	s_delay_alu instid0(VALU_DEP_2) | instskip(NEXT) | instid1(VALU_DEP_1)
	v_clz_i32_u32_e32 v6, v18
	v_min_u32_e32 v18, 32, v6
	s_delay_alu instid0(VALU_DEP_1) | instskip(SKIP_1) | instid1(VALU_DEP_2)
	v_subrev_nc_u32_e32 v6, 28, v18
	v_sub_nc_u32_e32 v19, 29, v18
	v_lshlrev_b64_e32 v[6:7], v6, v[54:55]
	s_delay_alu instid0(VALU_DEP_1)
	v_and_b32_e32 v18, 7, v6
; %bb.2503:                             ;   in Loop: Header=BB302_2086 Depth=1
	s_or_b32 exec_lo, exec_lo, s26
	v_lshlrev_b32_e32 v6, 8, v54
	v_lshl_add_u32 v7, v19, 10, 0x2000
	s_delay_alu instid0(VALU_DEP_3) | instskip(NEXT) | instid1(VALU_DEP_3)
	v_lshlrev_b32_e32 v18, 7, v18
	v_and_b32_e32 v6, 0x8000, v6
	s_delay_alu instid0(VALU_DEP_3) | instskip(NEXT) | instid1(VALU_DEP_1)
	v_and_b32_e32 v7, 0xfc00, v7
	v_or3_b32 v18, v6, v7, v18
.LBB302_2504:                           ;   in Loop: Header=BB302_2086 Depth=1
	s_or_b32 exec_lo, exec_lo, s25
.LBB302_2505:                           ;   in Loop: Header=BB302_2086 Depth=1
	s_delay_alu instid0(SALU_CYCLE_1)
	s_or_b32 exec_lo, exec_lo, s24
.LBB302_2506:                           ;   in Loop: Header=BB302_2086 Depth=1
	s_delay_alu instid0(SALU_CYCLE_1) | instskip(NEXT) | instid1(SALU_CYCLE_1)
	s_or_b32 exec_lo, exec_lo, s23
	s_mov_b32 s23, exec_lo
	v_cmpx_lt_u32_e32 0xffffff, v80
	s_cbranch_execz .LBB302_2514
; %bb.2507:                             ;   in Loop: Header=BB302_2086 Depth=1
	v_lshrrev_b32_e32 v54, 24, v80
	v_bfrev_b32_e32 v12, 1
	s_mov_b32 s24, exec_lo
	s_delay_alu instid0(VALU_DEP_2)
	v_cmpx_ne_u32_e32 0x80, v54
	s_cbranch_execz .LBB302_2513
; %bb.2508:                             ;   in Loop: Header=BB302_2086 Depth=1
	v_and_b32_e32 v71, 0x7f, v54
	v_mov_b32_e32 v12, 0x7c010000
	s_mov_b32 s25, exec_lo
	s_delay_alu instid0(VALU_DEP_2)
	v_cmpx_ne_u32_e32 0x7f, v71
	s_cbranch_execz .LBB302_2512
; %bb.2509:                             ;   in Loop: Header=BB302_2086 Depth=1
	v_dual_lshrrev_b32 v19, 3, v71 :: v_dual_bitop2_b32 v12, 7, v54 bitop3:0x40
	s_mov_b32 s26, exec_lo
	v_cmpx_gt_u32_e32 8, v71
; %bb.2510:                             ;   in Loop: Header=BB302_2086 Depth=1
	s_delay_alu instid0(VALU_DEP_2) | instskip(NEXT) | instid1(VALU_DEP_1)
	v_clz_i32_u32_e32 v6, v12
	v_min_u32_e32 v12, 32, v6
	s_delay_alu instid0(VALU_DEP_1) | instskip(NEXT) | instid1(VALU_DEP_1)
	v_subrev_nc_u32_e32 v6, 28, v12
	v_lshlrev_b64_e32 v[6:7], v6, v[54:55]
	s_delay_alu instid0(VALU_DEP_1)
	v_dual_sub_nc_u32 v19, 29, v12 :: v_dual_bitop2_b32 v12, 7, v6 bitop3:0x40
; %bb.2511:                             ;   in Loop: Header=BB302_2086 Depth=1
	s_or_b32 exec_lo, exec_lo, s26
	v_lshlrev_b32_e32 v6, 8, v54
	s_delay_alu instid0(VALU_DEP_2) | instskip(NEXT) | instid1(VALU_DEP_1)
	v_lshl_add_u32 v7, v19, 10, 0x2000
	v_and_or_b32 v6, 0x8000, v6, v7
	v_lshlrev_b32_e32 v7, 23, v12
	s_delay_alu instid0(VALU_DEP_1)
	v_lshl_or_b32 v12, v6, 16, v7
.LBB302_2512:                           ;   in Loop: Header=BB302_2086 Depth=1
	s_or_b32 exec_lo, exec_lo, s25
.LBB302_2513:                           ;   in Loop: Header=BB302_2086 Depth=1
	s_delay_alu instid0(SALU_CYCLE_1)
	s_or_b32 exec_lo, exec_lo, s24
.LBB302_2514:                           ;   in Loop: Header=BB302_2086 Depth=1
	s_delay_alu instid0(SALU_CYCLE_1) | instskip(SKIP_4) | instid1(VALU_DEP_3)
	s_or_b32 exec_lo, exec_lo, s23
	v_and_b32_e32 v82, 0xff, v81
	v_dual_mov_b32 v54, v81 :: v_dual_mov_b32 v71, 0
	v_mov_b32_e32 v19, 0
	s_mov_b32 s23, exec_lo
	v_cmpx_ne_u16_e32 0, v82
	s_cbranch_execz .LBB302_2522
; %bb.2515:                             ;   in Loop: Header=BB302_2086 Depth=1
	v_mov_b32_e32 v19, 0x8000
	s_mov_b32 s24, exec_lo
	v_cmpx_ne_u16_e32 0x80, v82
	s_cbranch_execz .LBB302_2521
; %bb.2516:                             ;   in Loop: Header=BB302_2086 Depth=1
	v_and_b32_e32 v83, 0x7f, v81
	v_mov_b32_e32 v19, 0x7c01
	s_mov_b32 s25, exec_lo
	s_delay_alu instid0(VALU_DEP_2)
	v_cmpx_ne_u32_e32 0x7f, v83
	s_cbranch_execz .LBB302_2520
; %bb.2517:                             ;   in Loop: Header=BB302_2086 Depth=1
	v_dual_lshrrev_b32 v82, 3, v83 :: v_dual_bitop2_b32 v19, 7, v81 bitop3:0x40
	s_mov_b32 s26, exec_lo
	v_cmpx_gt_u32_e32 8, v83
; %bb.2518:                             ;   in Loop: Header=BB302_2086 Depth=1
	s_delay_alu instid0(VALU_DEP_2) | instskip(NEXT) | instid1(VALU_DEP_1)
	v_clz_i32_u32_e32 v6, v19
	v_min_u32_e32 v19, 32, v6
	s_delay_alu instid0(VALU_DEP_1) | instskip(NEXT) | instid1(VALU_DEP_1)
	v_subrev_nc_u32_e32 v6, 28, v19
	v_lshlrev_b64_e32 v[6:7], v6, v[54:55]
	s_delay_alu instid0(VALU_DEP_1)
	v_dual_sub_nc_u32 v82, 29, v19 :: v_dual_bitop2_b32 v19, 7, v6 bitop3:0x40
; %bb.2519:                             ;   in Loop: Header=BB302_2086 Depth=1
	s_or_b32 exec_lo, exec_lo, s26
	s_delay_alu instid0(VALU_DEP_1) | instskip(NEXT) | instid1(VALU_DEP_2)
	v_dual_lshlrev_b32 v6, 8, v81 :: v_dual_lshlrev_b32 v19, 7, v19
	v_lshl_add_u32 v7, v82, 10, 0x2000
	s_delay_alu instid0(VALU_DEP_2) | instskip(NEXT) | instid1(VALU_DEP_2)
	v_and_b32_e32 v6, 0x8000, v6
	v_and_b32_e32 v7, 0xfc00, v7
	s_delay_alu instid0(VALU_DEP_1)
	v_or3_b32 v19, v6, v7, v19
.LBB302_2520:                           ;   in Loop: Header=BB302_2086 Depth=1
	s_or_b32 exec_lo, exec_lo, s25
.LBB302_2521:                           ;   in Loop: Header=BB302_2086 Depth=1
	s_delay_alu instid0(SALU_CYCLE_1)
	s_or_b32 exec_lo, exec_lo, s24
.LBB302_2522:                           ;   in Loop: Header=BB302_2086 Depth=1
	s_delay_alu instid0(SALU_CYCLE_1) | instskip(SKIP_3) | instid1(VALU_DEP_2)
	s_or_b32 exec_lo, exec_lo, s23
	v_lshrrev_b16 v54, 8, v54
	v_mov_b32_e32 v82, 0
	s_mov_b32 s23, exec_lo
	v_cmpx_ne_u16_e32 0, v54
	s_cbranch_execz .LBB302_2530
; %bb.2523:                             ;   in Loop: Header=BB302_2086 Depth=1
	v_bfrev_b32_e32 v82, 1
	s_mov_b32 s24, exec_lo
	v_cmpx_ne_u16_e32 0x80, v54
	s_cbranch_execz .LBB302_2529
; %bb.2524:                             ;   in Loop: Header=BB302_2086 Depth=1
	v_and_b32_e32 v83, 0xffff, v54
	v_mov_b32_e32 v82, 0x7c010000
	s_mov_b32 s25, exec_lo
	s_delay_alu instid0(VALU_DEP_2) | instskip(NEXT) | instid1(VALU_DEP_1)
	v_and_b32_e32 v85, 0x7f, v83
	v_cmpx_ne_u32_e32 0x7f, v85
	s_cbranch_execz .LBB302_2528
; %bb.2525:                             ;   in Loop: Header=BB302_2086 Depth=1
	v_dual_lshrrev_b32 v84, 3, v85 :: v_dual_bitop2_b32 v82, 7, v83 bitop3:0x40
	s_mov_b32 s26, exec_lo
	v_cmpx_gt_u32_e32 8, v85
; %bb.2526:                             ;   in Loop: Header=BB302_2086 Depth=1
	s_delay_alu instid0(VALU_DEP_2) | instskip(NEXT) | instid1(VALU_DEP_1)
	v_clz_i32_u32_e32 v6, v82
	v_min_u32_e32 v64, 32, v6
	s_delay_alu instid0(VALU_DEP_1) | instskip(NEXT) | instid1(VALU_DEP_1)
	v_subrev_nc_u32_e32 v6, 28, v64
	v_lshlrev_b64_e32 v[6:7], v6, v[54:55]
	s_delay_alu instid0(VALU_DEP_1)
	v_dual_sub_nc_u32 v84, 29, v64 :: v_dual_bitop2_b32 v82, 7, v6 bitop3:0x40
; %bb.2527:                             ;   in Loop: Header=BB302_2086 Depth=1
	s_or_b32 exec_lo, exec_lo, s26
	v_lshlrev_b32_e32 v6, 8, v83
	s_delay_alu instid0(VALU_DEP_2) | instskip(NEXT) | instid1(VALU_DEP_1)
	v_lshl_add_u32 v7, v84, 10, 0x2000
	v_and_or_b32 v6, 0x8000, v6, v7
	v_lshlrev_b32_e32 v7, 23, v82
	s_delay_alu instid0(VALU_DEP_1)
	v_lshl_or_b32 v82, v6, 16, v7
.LBB302_2528:                           ;   in Loop: Header=BB302_2086 Depth=1
	s_or_b32 exec_lo, exec_lo, s25
.LBB302_2529:                           ;   in Loop: Header=BB302_2086 Depth=1
	s_delay_alu instid0(SALU_CYCLE_1)
	s_or_b32 exec_lo, exec_lo, s24
.LBB302_2530:                           ;   in Loop: Header=BB302_2086 Depth=1
	s_delay_alu instid0(SALU_CYCLE_1) | instskip(SKIP_2) | instid1(VALU_DEP_1)
	s_or_b32 exec_lo, exec_lo, s23
	v_lshrrev_b32_e32 v54, 16, v81
	s_mov_b32 s23, exec_lo
	v_and_b32_e32 v83, 0xff, v54
	s_delay_alu instid0(VALU_DEP_1)
	v_cmpx_ne_u16_e32 0, v83
	s_cbranch_execz .LBB302_2538
; %bb.2531:                             ;   in Loop: Header=BB302_2086 Depth=1
	v_mov_b32_e32 v71, 0x8000
	s_mov_b32 s24, exec_lo
	v_cmpx_ne_u16_e32 0x80, v83
	s_cbranch_execz .LBB302_2537
; %bb.2532:                             ;   in Loop: Header=BB302_2086 Depth=1
	v_bfe_u32 v84, v81, 16, 7
	v_mov_b32_e32 v71, 0x7c01
	s_mov_b32 s25, exec_lo
	s_delay_alu instid0(VALU_DEP_2)
	v_cmpx_ne_u32_e32 0x7f, v84
	s_cbranch_execz .LBB302_2536
; %bb.2533:                             ;   in Loop: Header=BB302_2086 Depth=1
	v_dual_lshrrev_b32 v83, 3, v84 :: v_dual_bitop2_b32 v71, 7, v54 bitop3:0x40
	s_mov_b32 s26, exec_lo
	v_cmpx_gt_u32_e32 8, v84
; %bb.2534:                             ;   in Loop: Header=BB302_2086 Depth=1
	s_delay_alu instid0(VALU_DEP_2) | instskip(NEXT) | instid1(VALU_DEP_1)
	v_clz_i32_u32_e32 v6, v71
	v_min_u32_e32 v64, 32, v6
	s_delay_alu instid0(VALU_DEP_1) | instskip(NEXT) | instid1(VALU_DEP_1)
	v_subrev_nc_u32_e32 v6, 28, v64
	v_lshlrev_b64_e32 v[6:7], v6, v[54:55]
	s_delay_alu instid0(VALU_DEP_1)
	v_dual_sub_nc_u32 v83, 29, v64 :: v_dual_bitop2_b32 v71, 7, v6 bitop3:0x40
; %bb.2535:                             ;   in Loop: Header=BB302_2086 Depth=1
	s_or_b32 exec_lo, exec_lo, s26
	s_delay_alu instid0(VALU_DEP_1) | instskip(NEXT) | instid1(VALU_DEP_2)
	v_dual_lshlrev_b32 v6, 8, v54 :: v_dual_lshlrev_b32 v54, 7, v71
	v_lshl_add_u32 v7, v83, 10, 0x2000
	s_delay_alu instid0(VALU_DEP_2) | instskip(NEXT) | instid1(VALU_DEP_2)
	v_and_b32_e32 v6, 0x8000, v6
	v_and_b32_e32 v7, 0xfc00, v7
	s_delay_alu instid0(VALU_DEP_1)
	v_or3_b32 v71, v6, v7, v54
.LBB302_2536:                           ;   in Loop: Header=BB302_2086 Depth=1
	s_or_b32 exec_lo, exec_lo, s25
.LBB302_2537:                           ;   in Loop: Header=BB302_2086 Depth=1
	s_delay_alu instid0(SALU_CYCLE_1)
	s_or_b32 exec_lo, exec_lo, s24
.LBB302_2538:                           ;   in Loop: Header=BB302_2086 Depth=1
	s_delay_alu instid0(SALU_CYCLE_1)
	s_or_b32 exec_lo, exec_lo, s23
	v_cmp_lt_u64_e64 s8, s[16:17], v[80:81]
	v_mov_b32_e32 v80, 0
	s_and_saveexec_b32 s23, s8
	s_cbranch_execz .LBB302_2546
; %bb.2539:                             ;   in Loop: Header=BB302_2086 Depth=1
	v_lshrrev_b32_e32 v54, 24, v81
	v_bfrev_b32_e32 v80, 1
	s_mov_b32 s24, exec_lo
	s_delay_alu instid0(VALU_DEP_2)
	v_cmpx_ne_u32_e32 0x80, v54
	s_cbranch_execz .LBB302_2545
; %bb.2540:                             ;   in Loop: Header=BB302_2086 Depth=1
	v_and_b32_e32 v83, 0x7f, v54
	v_mov_b32_e32 v80, 0x7c010000
	s_mov_b32 s25, exec_lo
	s_delay_alu instid0(VALU_DEP_2)
	v_cmpx_ne_u32_e32 0x7f, v83
	s_cbranch_execz .LBB302_2544
; %bb.2541:                             ;   in Loop: Header=BB302_2086 Depth=1
	v_dual_lshrrev_b32 v81, 3, v83 :: v_dual_bitop2_b32 v80, 7, v54 bitop3:0x40
	s_mov_b32 s26, exec_lo
	v_cmpx_gt_u32_e32 8, v83
; %bb.2542:                             ;   in Loop: Header=BB302_2086 Depth=1
	s_delay_alu instid0(VALU_DEP_2) | instskip(NEXT) | instid1(VALU_DEP_1)
	v_clz_i32_u32_e32 v6, v80
	v_min_u32_e32 v64, 32, v6
	s_delay_alu instid0(VALU_DEP_1) | instskip(NEXT) | instid1(VALU_DEP_1)
	v_subrev_nc_u32_e32 v6, 28, v64
	v_lshlrev_b64_e32 v[6:7], v6, v[54:55]
	s_delay_alu instid0(VALU_DEP_1)
	v_dual_sub_nc_u32 v81, 29, v64 :: v_dual_bitop2_b32 v80, 7, v6 bitop3:0x40
; %bb.2543:                             ;   in Loop: Header=BB302_2086 Depth=1
	s_or_b32 exec_lo, exec_lo, s26
	v_lshlrev_b32_e32 v6, 8, v54
	s_delay_alu instid0(VALU_DEP_2) | instskip(NEXT) | instid1(VALU_DEP_1)
	v_lshl_add_u32 v7, v81, 10, 0x2000
	v_and_or_b32 v6, 0x8000, v6, v7
	v_lshlrev_b32_e32 v7, 23, v80
	s_delay_alu instid0(VALU_DEP_1)
	v_lshl_or_b32 v80, v6, 16, v7
.LBB302_2544:                           ;   in Loop: Header=BB302_2086 Depth=1
	s_or_b32 exec_lo, exec_lo, s25
.LBB302_2545:                           ;   in Loop: Header=BB302_2086 Depth=1
	s_delay_alu instid0(SALU_CYCLE_1)
	s_or_b32 exec_lo, exec_lo, s24
.LBB302_2546:                           ;   in Loop: Header=BB302_2086 Depth=1
	s_delay_alu instid0(SALU_CYCLE_1) | instskip(SKIP_3) | instid1(VALU_DEP_3)
	s_or_b32 exec_lo, exec_lo, s23
	v_dual_lshrrev_b32 v6, 16, v0 :: v_dual_bitop2_b32 v54, v0, v1 bitop3:0x54
	v_dual_lshrrev_b32 v7, 16, v12 :: v_dual_bitop2_b32 v12, v12, v18 bitop3:0x54
	;; [unrolled: 1-line block ×3, first 2 shown]
	v_cvt_f32_f16_e32 v1, v6
	s_delay_alu instid0(VALU_DEP_3)
	v_cvt_f32_f16_e32 v0, v7
	v_lshrrev_b32_e32 v65, 16, v80
	v_cvt_f32_f16_e32 v6, v12
	v_or_b32_e32 v12, v82, v19
	v_cvt_f32_f16_e32 v7, v54
	s_wait_loadcnt_dscnt 0x0
	v_pk_mul_f32 v[0:1], v[70:71], v[0:1] op_sel_hi:[0,1]
	v_cvt_f32_f16_e32 v19, v18
	v_cvt_f32_f16_e32 v18, v65
	v_cvt_f32_f16_e32 v64, v64
	v_cvt_f32_f16_e32 v65, v12
	v_pk_mul_f32 v[6:7], v[70:71], v[6:7] op_sel_hi:[0,1]
	v_cvt_pk_f16_f32 v12, v0, v1
	v_pk_mul_f32 v[0:1], v[70:71], v[18:19] op_sel_hi:[0,1]
	s_delay_alu instid0(VALU_DEP_4) | instskip(NEXT) | instid1(VALU_DEP_4)
	v_pk_mul_f32 v[18:19], v[70:71], v[64:65] op_sel_hi:[0,1]
	v_cvt_pk_f16_f32 v6, v6, v7
	s_delay_alu instid0(VALU_DEP_4) | instskip(NEXT) | instid1(VALU_DEP_4)
	v_and_b32_e32 v71, 0xffff0000, v12
	v_cvt_pk_f16_f32 v0, v0, v1
	v_lshlrev_b32_e32 v82, 16, v12
	v_cvt_pk_f16_f32 v1, v18, v19
	v_lshrrev_b32_e32 v87, 16, v6
	v_and_b32_e32 v86, 0xffff, v6
	v_and_b32_e32 v19, 0xffff0000, v0
	s_delay_alu instid0(VALU_DEP_4) | instskip(SKIP_3) | instid1(VALU_DEP_4)
	v_dual_lshlrev_b32 v54, 16, v0 :: v_dual_lshrrev_b32 v85, 16, v1
	v_and_b32_e32 v84, 0xffff, v1
	v_or_b32_e32 v83, v71, v87
	v_or_b32_e32 v80, v82, v86
	;; [unrolled: 1-line block ×3, first 2 shown]
	s_delay_alu instid0(VALU_DEP_4)
	v_or_b32_e32 v70, v54, v84
	s_and_saveexec_b32 s8, s3
	s_cbranch_execz .LBB302_2548
; %bb.2547:                             ;   in Loop: Header=BB302_2086 Depth=1
	v_dual_cndmask_b32 v0, 0, v87, vcc_lo :: v_dual_cndmask_b32 v1, 0, v86, s0
	v_dual_cndmask_b32 v6, 0, v71, s1 :: v_dual_cndmask_b32 v7, 0, v82, s2
	v_dual_cndmask_b32 v12, 0, v85, s4 :: v_dual_cndmask_b32 v18, 0, v84, s5
	;; [unrolled: 1-line block ×3, first 2 shown]
	s_delay_alu instid0(VALU_DEP_3) | instskip(NEXT) | instid1(VALU_DEP_4)
	v_or_b32_e32 v83, v0, v6
	v_or_b32_e32 v80, v1, v7
	s_delay_alu instid0(VALU_DEP_3) | instskip(NEXT) | instid1(VALU_DEP_4)
	v_or_b32_e32 v81, v12, v19
	v_or_b32_e32 v70, v18, v54
.LBB302_2548:                           ;   in Loop: Header=BB302_2086 Depth=1
	s_or_b32 exec_lo, exec_lo, s8
	;;#ASMSTART
	v_pk_mul_f16 v0, v112, v83;

	;;#ASMEND
	;;#ASMSTART
	v_pk_mul_f16 v1, v103, v80;

	;;#ASMEND
	;; [unrolled: 4-line block ×4, first 2 shown]
	;;#ASMSTART
	v_pk_add_f16 v0, v0, v1;

	;;#ASMEND
	;;#ASMSTART
	v_pk_add_f16 v0, v0, v6;

	;;#ASMEND
	;; [unrolled: 4-line block ×3, first 2 shown]
	v_and_b32_e32 v1, 0xffff, v0
	v_lshrrev_b32_e32 v0, 16, v0
	;;#ASMSTART
	v_cvt_f32_f16 v45, v1;
	;;#ASMEND
	v_mov_b32_e32 v1, 0
	;;#ASMSTART
	v_cvt_f32_f16 v46, v0;
	;;#ASMEND
	flat_load_b64 v[80:81], v[68:69] offset:1792
	flat_load_b32 v70, v[22:23]
	v_mov_b32_e32 v0, 0
	s_mov_b32 s23, exec_lo
	s_wait_loadcnt_dscnt 0x101
	v_and_b32_e32 v12, 0xff, v80
	s_wait_xcnt 0x0
	s_delay_alu instid0(VALU_DEP_1)
	v_cmpx_ne_u16_e32 0, v12
	s_cbranch_execz .LBB302_2556
; %bb.2549:                             ;   in Loop: Header=BB302_2086 Depth=1
	v_mov_b32_e32 v1, 0x8000
	s_mov_b32 s24, exec_lo
	v_cmpx_ne_u16_e32 0x80, v12
	s_cbranch_execz .LBB302_2555
; %bb.2550:                             ;   in Loop: Header=BB302_2086 Depth=1
	v_and_b32_e32 v18, 0x7f, v80
	v_mov_b32_e32 v1, 0x7c01
	s_mov_b32 s25, exec_lo
	s_delay_alu instid0(VALU_DEP_2)
	v_cmpx_ne_u32_e32 0x7f, v18
	s_cbranch_execz .LBB302_2554
; %bb.2551:                             ;   in Loop: Header=BB302_2086 Depth=1
	v_dual_lshrrev_b32 v12, 3, v18 :: v_dual_bitop2_b32 v1, 7, v80 bitop3:0x40
	s_mov_b32 s26, exec_lo
	v_cmpx_gt_u32_e32 8, v18
; %bb.2552:                             ;   in Loop: Header=BB302_2086 Depth=1
	s_delay_alu instid0(VALU_DEP_2) | instskip(NEXT) | instid1(VALU_DEP_1)
	v_clz_i32_u32_e32 v1, v1
	v_min_u32_e32 v1, 32, v1
	s_delay_alu instid0(VALU_DEP_1) | instskip(NEXT) | instid1(VALU_DEP_1)
	v_subrev_nc_u32_e32 v6, 28, v1
	v_lshlrev_b64_e32 v[6:7], v6, v[80:81]
	s_delay_alu instid0(VALU_DEP_1)
	v_dual_sub_nc_u32 v12, 29, v1 :: v_dual_bitop2_b32 v1, 7, v6 bitop3:0x40
; %bb.2553:                             ;   in Loop: Header=BB302_2086 Depth=1
	s_or_b32 exec_lo, exec_lo, s26
	s_delay_alu instid0(VALU_DEP_1) | instskip(NEXT) | instid1(VALU_DEP_2)
	v_dual_lshlrev_b32 v6, 8, v80 :: v_dual_lshlrev_b32 v1, 7, v1
	v_lshl_add_u32 v7, v12, 10, 0x2000
	s_delay_alu instid0(VALU_DEP_2) | instskip(NEXT) | instid1(VALU_DEP_2)
	v_and_b32_e32 v6, 0x8000, v6
	v_and_b32_e32 v7, 0xfc00, v7
	s_delay_alu instid0(VALU_DEP_1)
	v_or3_b32 v1, v6, v7, v1
.LBB302_2554:                           ;   in Loop: Header=BB302_2086 Depth=1
	s_or_b32 exec_lo, exec_lo, s25
.LBB302_2555:                           ;   in Loop: Header=BB302_2086 Depth=1
	s_delay_alu instid0(SALU_CYCLE_1)
	s_or_b32 exec_lo, exec_lo, s24
.LBB302_2556:                           ;   in Loop: Header=BB302_2086 Depth=1
	s_delay_alu instid0(SALU_CYCLE_1) | instskip(SKIP_2) | instid1(VALU_DEP_1)
	s_or_b32 exec_lo, exec_lo, s23
	v_lshrrev_b16 v54, 8, v80
	s_mov_b32 s23, exec_lo
	v_cmpx_ne_u16_e32 0, v54
	s_cbranch_execz .LBB302_2564
; %bb.2557:                             ;   in Loop: Header=BB302_2086 Depth=1
	v_bfrev_b32_e32 v0, 1
	s_mov_b32 s24, exec_lo
	v_cmpx_ne_u16_e32 0x80, v54
	s_cbranch_execz .LBB302_2563
; %bb.2558:                             ;   in Loop: Header=BB302_2086 Depth=1
	v_and_b32_e32 v12, 0xffff, v54
	v_mov_b32_e32 v0, 0x7c010000
	s_mov_b32 s25, exec_lo
	s_delay_alu instid0(VALU_DEP_2) | instskip(NEXT) | instid1(VALU_DEP_1)
	v_and_b32_e32 v19, 0x7f, v12
	v_cmpx_ne_u32_e32 0x7f, v19
	s_cbranch_execz .LBB302_2562
; %bb.2559:                             ;   in Loop: Header=BB302_2086 Depth=1
	v_dual_lshrrev_b32 v18, 3, v19 :: v_dual_bitop2_b32 v0, 7, v12 bitop3:0x40
	s_mov_b32 s26, exec_lo
	v_cmpx_gt_u32_e32 8, v19
; %bb.2560:                             ;   in Loop: Header=BB302_2086 Depth=1
	s_delay_alu instid0(VALU_DEP_2) | instskip(NEXT) | instid1(VALU_DEP_1)
	v_clz_i32_u32_e32 v0, v0
	v_min_u32_e32 v0, 32, v0
	s_delay_alu instid0(VALU_DEP_1) | instskip(NEXT) | instid1(VALU_DEP_1)
	v_subrev_nc_u32_e32 v6, 28, v0
	v_lshlrev_b64_e32 v[6:7], v6, v[54:55]
	s_delay_alu instid0(VALU_DEP_1)
	v_dual_sub_nc_u32 v18, 29, v0 :: v_dual_bitop2_b32 v0, 7, v6 bitop3:0x40
; %bb.2561:                             ;   in Loop: Header=BB302_2086 Depth=1
	s_or_b32 exec_lo, exec_lo, s26
	v_lshlrev_b32_e32 v6, 8, v12
	s_delay_alu instid0(VALU_DEP_2) | instskip(NEXT) | instid1(VALU_DEP_3)
	v_lshl_add_u32 v7, v18, 10, 0x2000
	v_lshlrev_b32_e32 v0, 23, v0
	s_delay_alu instid0(VALU_DEP_2) | instskip(NEXT) | instid1(VALU_DEP_1)
	v_and_or_b32 v6, 0x8000, v6, v7
	v_lshl_or_b32 v0, v6, 16, v0
.LBB302_2562:                           ;   in Loop: Header=BB302_2086 Depth=1
	s_or_b32 exec_lo, exec_lo, s25
.LBB302_2563:                           ;   in Loop: Header=BB302_2086 Depth=1
	s_delay_alu instid0(SALU_CYCLE_1)
	s_or_b32 exec_lo, exec_lo, s24
.LBB302_2564:                           ;   in Loop: Header=BB302_2086 Depth=1
	s_delay_alu instid0(SALU_CYCLE_1) | instskip(SKIP_3) | instid1(VALU_DEP_2)
	s_or_b32 exec_lo, exec_lo, s23
	v_dual_lshrrev_b32 v54, 16, v80 :: v_dual_mov_b32 v12, 0
	v_mov_b32_e32 v18, 0
	s_mov_b32 s23, exec_lo
	v_and_b32_e32 v19, 0xff, v54
	s_delay_alu instid0(VALU_DEP_1)
	v_cmpx_ne_u16_e32 0, v19
	s_cbranch_execz .LBB302_2572
; %bb.2565:                             ;   in Loop: Header=BB302_2086 Depth=1
	v_mov_b32_e32 v18, 0x8000
	s_mov_b32 s24, exec_lo
	v_cmpx_ne_u16_e32 0x80, v19
	s_cbranch_execz .LBB302_2571
; %bb.2566:                             ;   in Loop: Header=BB302_2086 Depth=1
	v_bfe_u32 v71, v80, 16, 7
	v_mov_b32_e32 v18, 0x7c01
	s_mov_b32 s25, exec_lo
	s_delay_alu instid0(VALU_DEP_2)
	v_cmpx_ne_u32_e32 0x7f, v71
	s_cbranch_execz .LBB302_2570
; %bb.2567:                             ;   in Loop: Header=BB302_2086 Depth=1
	v_dual_lshrrev_b32 v19, 3, v71 :: v_dual_bitop2_b32 v18, 7, v54 bitop3:0x40
	s_mov_b32 s26, exec_lo
	v_cmpx_gt_u32_e32 8, v71
; %bb.2568:                             ;   in Loop: Header=BB302_2086 Depth=1
	s_delay_alu instid0(VALU_DEP_2) | instskip(NEXT) | instid1(VALU_DEP_1)
	v_clz_i32_u32_e32 v6, v18
	v_min_u32_e32 v18, 32, v6
	s_delay_alu instid0(VALU_DEP_1) | instskip(SKIP_1) | instid1(VALU_DEP_2)
	v_subrev_nc_u32_e32 v6, 28, v18
	v_sub_nc_u32_e32 v19, 29, v18
	v_lshlrev_b64_e32 v[6:7], v6, v[54:55]
	s_delay_alu instid0(VALU_DEP_1)
	v_and_b32_e32 v18, 7, v6
; %bb.2569:                             ;   in Loop: Header=BB302_2086 Depth=1
	s_or_b32 exec_lo, exec_lo, s26
	v_lshlrev_b32_e32 v6, 8, v54
	v_lshl_add_u32 v7, v19, 10, 0x2000
	s_delay_alu instid0(VALU_DEP_3) | instskip(NEXT) | instid1(VALU_DEP_3)
	v_lshlrev_b32_e32 v18, 7, v18
	v_and_b32_e32 v6, 0x8000, v6
	s_delay_alu instid0(VALU_DEP_3) | instskip(NEXT) | instid1(VALU_DEP_1)
	v_and_b32_e32 v7, 0xfc00, v7
	v_or3_b32 v18, v6, v7, v18
.LBB302_2570:                           ;   in Loop: Header=BB302_2086 Depth=1
	s_or_b32 exec_lo, exec_lo, s25
.LBB302_2571:                           ;   in Loop: Header=BB302_2086 Depth=1
	s_delay_alu instid0(SALU_CYCLE_1)
	s_or_b32 exec_lo, exec_lo, s24
.LBB302_2572:                           ;   in Loop: Header=BB302_2086 Depth=1
	s_delay_alu instid0(SALU_CYCLE_1) | instskip(NEXT) | instid1(SALU_CYCLE_1)
	s_or_b32 exec_lo, exec_lo, s23
	s_mov_b32 s23, exec_lo
	v_cmpx_lt_u32_e32 0xffffff, v80
	s_cbranch_execz .LBB302_2580
; %bb.2573:                             ;   in Loop: Header=BB302_2086 Depth=1
	v_lshrrev_b32_e32 v54, 24, v80
	v_bfrev_b32_e32 v12, 1
	s_mov_b32 s24, exec_lo
	s_delay_alu instid0(VALU_DEP_2)
	v_cmpx_ne_u32_e32 0x80, v54
	s_cbranch_execz .LBB302_2579
; %bb.2574:                             ;   in Loop: Header=BB302_2086 Depth=1
	v_and_b32_e32 v71, 0x7f, v54
	v_mov_b32_e32 v12, 0x7c010000
	s_mov_b32 s25, exec_lo
	s_delay_alu instid0(VALU_DEP_2)
	v_cmpx_ne_u32_e32 0x7f, v71
	s_cbranch_execz .LBB302_2578
; %bb.2575:                             ;   in Loop: Header=BB302_2086 Depth=1
	v_dual_lshrrev_b32 v19, 3, v71 :: v_dual_bitop2_b32 v12, 7, v54 bitop3:0x40
	s_mov_b32 s26, exec_lo
	v_cmpx_gt_u32_e32 8, v71
; %bb.2576:                             ;   in Loop: Header=BB302_2086 Depth=1
	s_delay_alu instid0(VALU_DEP_2) | instskip(NEXT) | instid1(VALU_DEP_1)
	v_clz_i32_u32_e32 v6, v12
	v_min_u32_e32 v12, 32, v6
	s_delay_alu instid0(VALU_DEP_1) | instskip(NEXT) | instid1(VALU_DEP_1)
	v_subrev_nc_u32_e32 v6, 28, v12
	v_lshlrev_b64_e32 v[6:7], v6, v[54:55]
	s_delay_alu instid0(VALU_DEP_1)
	v_dual_sub_nc_u32 v19, 29, v12 :: v_dual_bitop2_b32 v12, 7, v6 bitop3:0x40
; %bb.2577:                             ;   in Loop: Header=BB302_2086 Depth=1
	s_or_b32 exec_lo, exec_lo, s26
	v_lshlrev_b32_e32 v6, 8, v54
	s_delay_alu instid0(VALU_DEP_2) | instskip(NEXT) | instid1(VALU_DEP_1)
	v_lshl_add_u32 v7, v19, 10, 0x2000
	v_and_or_b32 v6, 0x8000, v6, v7
	v_lshlrev_b32_e32 v7, 23, v12
	s_delay_alu instid0(VALU_DEP_1)
	v_lshl_or_b32 v12, v6, 16, v7
.LBB302_2578:                           ;   in Loop: Header=BB302_2086 Depth=1
	s_or_b32 exec_lo, exec_lo, s25
.LBB302_2579:                           ;   in Loop: Header=BB302_2086 Depth=1
	s_delay_alu instid0(SALU_CYCLE_1)
	s_or_b32 exec_lo, exec_lo, s24
.LBB302_2580:                           ;   in Loop: Header=BB302_2086 Depth=1
	s_delay_alu instid0(SALU_CYCLE_1) | instskip(SKIP_4) | instid1(VALU_DEP_3)
	s_or_b32 exec_lo, exec_lo, s23
	v_and_b32_e32 v82, 0xff, v81
	v_dual_mov_b32 v54, v81 :: v_dual_mov_b32 v71, 0
	v_mov_b32_e32 v19, 0
	s_mov_b32 s23, exec_lo
	v_cmpx_ne_u16_e32 0, v82
	s_cbranch_execz .LBB302_2588
; %bb.2581:                             ;   in Loop: Header=BB302_2086 Depth=1
	v_mov_b32_e32 v19, 0x8000
	s_mov_b32 s24, exec_lo
	v_cmpx_ne_u16_e32 0x80, v82
	s_cbranch_execz .LBB302_2587
; %bb.2582:                             ;   in Loop: Header=BB302_2086 Depth=1
	v_and_b32_e32 v83, 0x7f, v81
	v_mov_b32_e32 v19, 0x7c01
	s_mov_b32 s25, exec_lo
	s_delay_alu instid0(VALU_DEP_2)
	v_cmpx_ne_u32_e32 0x7f, v83
	s_cbranch_execz .LBB302_2586
; %bb.2583:                             ;   in Loop: Header=BB302_2086 Depth=1
	v_dual_lshrrev_b32 v82, 3, v83 :: v_dual_bitop2_b32 v19, 7, v81 bitop3:0x40
	s_mov_b32 s26, exec_lo
	v_cmpx_gt_u32_e32 8, v83
; %bb.2584:                             ;   in Loop: Header=BB302_2086 Depth=1
	s_delay_alu instid0(VALU_DEP_2) | instskip(NEXT) | instid1(VALU_DEP_1)
	v_clz_i32_u32_e32 v6, v19
	v_min_u32_e32 v19, 32, v6
	s_delay_alu instid0(VALU_DEP_1) | instskip(NEXT) | instid1(VALU_DEP_1)
	v_subrev_nc_u32_e32 v6, 28, v19
	v_lshlrev_b64_e32 v[6:7], v6, v[54:55]
	s_delay_alu instid0(VALU_DEP_1)
	v_dual_sub_nc_u32 v82, 29, v19 :: v_dual_bitop2_b32 v19, 7, v6 bitop3:0x40
; %bb.2585:                             ;   in Loop: Header=BB302_2086 Depth=1
	s_or_b32 exec_lo, exec_lo, s26
	s_delay_alu instid0(VALU_DEP_1) | instskip(NEXT) | instid1(VALU_DEP_2)
	v_dual_lshlrev_b32 v6, 8, v81 :: v_dual_lshlrev_b32 v19, 7, v19
	v_lshl_add_u32 v7, v82, 10, 0x2000
	s_delay_alu instid0(VALU_DEP_2) | instskip(NEXT) | instid1(VALU_DEP_2)
	v_and_b32_e32 v6, 0x8000, v6
	v_and_b32_e32 v7, 0xfc00, v7
	s_delay_alu instid0(VALU_DEP_1)
	v_or3_b32 v19, v6, v7, v19
.LBB302_2586:                           ;   in Loop: Header=BB302_2086 Depth=1
	s_or_b32 exec_lo, exec_lo, s25
.LBB302_2587:                           ;   in Loop: Header=BB302_2086 Depth=1
	s_delay_alu instid0(SALU_CYCLE_1)
	s_or_b32 exec_lo, exec_lo, s24
.LBB302_2588:                           ;   in Loop: Header=BB302_2086 Depth=1
	s_delay_alu instid0(SALU_CYCLE_1) | instskip(SKIP_3) | instid1(VALU_DEP_2)
	s_or_b32 exec_lo, exec_lo, s23
	v_lshrrev_b16 v54, 8, v54
	v_mov_b32_e32 v82, 0
	s_mov_b32 s23, exec_lo
	v_cmpx_ne_u16_e32 0, v54
	s_cbranch_execz .LBB302_2596
; %bb.2589:                             ;   in Loop: Header=BB302_2086 Depth=1
	v_bfrev_b32_e32 v82, 1
	s_mov_b32 s24, exec_lo
	v_cmpx_ne_u16_e32 0x80, v54
	s_cbranch_execz .LBB302_2595
; %bb.2590:                             ;   in Loop: Header=BB302_2086 Depth=1
	v_and_b32_e32 v83, 0xffff, v54
	v_mov_b32_e32 v82, 0x7c010000
	s_mov_b32 s25, exec_lo
	s_delay_alu instid0(VALU_DEP_2) | instskip(NEXT) | instid1(VALU_DEP_1)
	v_and_b32_e32 v85, 0x7f, v83
	v_cmpx_ne_u32_e32 0x7f, v85
	s_cbranch_execz .LBB302_2594
; %bb.2591:                             ;   in Loop: Header=BB302_2086 Depth=1
	v_dual_lshrrev_b32 v84, 3, v85 :: v_dual_bitop2_b32 v82, 7, v83 bitop3:0x40
	s_mov_b32 s26, exec_lo
	v_cmpx_gt_u32_e32 8, v85
; %bb.2592:                             ;   in Loop: Header=BB302_2086 Depth=1
	s_delay_alu instid0(VALU_DEP_2) | instskip(NEXT) | instid1(VALU_DEP_1)
	v_clz_i32_u32_e32 v6, v82
	v_min_u32_e32 v64, 32, v6
	s_delay_alu instid0(VALU_DEP_1) | instskip(NEXT) | instid1(VALU_DEP_1)
	v_subrev_nc_u32_e32 v6, 28, v64
	v_lshlrev_b64_e32 v[6:7], v6, v[54:55]
	s_delay_alu instid0(VALU_DEP_1)
	v_dual_sub_nc_u32 v84, 29, v64 :: v_dual_bitop2_b32 v82, 7, v6 bitop3:0x40
; %bb.2593:                             ;   in Loop: Header=BB302_2086 Depth=1
	s_or_b32 exec_lo, exec_lo, s26
	v_lshlrev_b32_e32 v6, 8, v83
	s_delay_alu instid0(VALU_DEP_2) | instskip(NEXT) | instid1(VALU_DEP_1)
	v_lshl_add_u32 v7, v84, 10, 0x2000
	v_and_or_b32 v6, 0x8000, v6, v7
	v_lshlrev_b32_e32 v7, 23, v82
	s_delay_alu instid0(VALU_DEP_1)
	v_lshl_or_b32 v82, v6, 16, v7
.LBB302_2594:                           ;   in Loop: Header=BB302_2086 Depth=1
	s_or_b32 exec_lo, exec_lo, s25
.LBB302_2595:                           ;   in Loop: Header=BB302_2086 Depth=1
	s_delay_alu instid0(SALU_CYCLE_1)
	s_or_b32 exec_lo, exec_lo, s24
.LBB302_2596:                           ;   in Loop: Header=BB302_2086 Depth=1
	s_delay_alu instid0(SALU_CYCLE_1) | instskip(SKIP_2) | instid1(VALU_DEP_1)
	s_or_b32 exec_lo, exec_lo, s23
	v_lshrrev_b32_e32 v54, 16, v81
	s_mov_b32 s23, exec_lo
	v_and_b32_e32 v83, 0xff, v54
	s_delay_alu instid0(VALU_DEP_1)
	v_cmpx_ne_u16_e32 0, v83
	s_cbranch_execz .LBB302_2604
; %bb.2597:                             ;   in Loop: Header=BB302_2086 Depth=1
	v_mov_b32_e32 v71, 0x8000
	s_mov_b32 s24, exec_lo
	v_cmpx_ne_u16_e32 0x80, v83
	s_cbranch_execz .LBB302_2603
; %bb.2598:                             ;   in Loop: Header=BB302_2086 Depth=1
	v_bfe_u32 v84, v81, 16, 7
	v_mov_b32_e32 v71, 0x7c01
	s_mov_b32 s25, exec_lo
	s_delay_alu instid0(VALU_DEP_2)
	v_cmpx_ne_u32_e32 0x7f, v84
	s_cbranch_execz .LBB302_2602
; %bb.2599:                             ;   in Loop: Header=BB302_2086 Depth=1
	v_dual_lshrrev_b32 v83, 3, v84 :: v_dual_bitop2_b32 v71, 7, v54 bitop3:0x40
	s_mov_b32 s26, exec_lo
	v_cmpx_gt_u32_e32 8, v84
; %bb.2600:                             ;   in Loop: Header=BB302_2086 Depth=1
	s_delay_alu instid0(VALU_DEP_2) | instskip(NEXT) | instid1(VALU_DEP_1)
	v_clz_i32_u32_e32 v6, v71
	v_min_u32_e32 v64, 32, v6
	s_delay_alu instid0(VALU_DEP_1) | instskip(NEXT) | instid1(VALU_DEP_1)
	v_subrev_nc_u32_e32 v6, 28, v64
	v_lshlrev_b64_e32 v[6:7], v6, v[54:55]
	s_delay_alu instid0(VALU_DEP_1)
	v_dual_sub_nc_u32 v83, 29, v64 :: v_dual_bitop2_b32 v71, 7, v6 bitop3:0x40
; %bb.2601:                             ;   in Loop: Header=BB302_2086 Depth=1
	s_or_b32 exec_lo, exec_lo, s26
	s_delay_alu instid0(VALU_DEP_1) | instskip(NEXT) | instid1(VALU_DEP_2)
	v_dual_lshlrev_b32 v6, 8, v54 :: v_dual_lshlrev_b32 v54, 7, v71
	v_lshl_add_u32 v7, v83, 10, 0x2000
	s_delay_alu instid0(VALU_DEP_2) | instskip(NEXT) | instid1(VALU_DEP_2)
	v_and_b32_e32 v6, 0x8000, v6
	v_and_b32_e32 v7, 0xfc00, v7
	s_delay_alu instid0(VALU_DEP_1)
	v_or3_b32 v71, v6, v7, v54
.LBB302_2602:                           ;   in Loop: Header=BB302_2086 Depth=1
	s_or_b32 exec_lo, exec_lo, s25
.LBB302_2603:                           ;   in Loop: Header=BB302_2086 Depth=1
	s_delay_alu instid0(SALU_CYCLE_1)
	s_or_b32 exec_lo, exec_lo, s24
.LBB302_2604:                           ;   in Loop: Header=BB302_2086 Depth=1
	s_delay_alu instid0(SALU_CYCLE_1)
	s_or_b32 exec_lo, exec_lo, s23
	v_cmp_lt_u64_e64 s8, s[16:17], v[80:81]
	v_mov_b32_e32 v80, 0
	s_and_saveexec_b32 s23, s8
	s_cbranch_execz .LBB302_2612
; %bb.2605:                             ;   in Loop: Header=BB302_2086 Depth=1
	v_lshrrev_b32_e32 v54, 24, v81
	v_bfrev_b32_e32 v80, 1
	s_mov_b32 s24, exec_lo
	s_delay_alu instid0(VALU_DEP_2)
	v_cmpx_ne_u32_e32 0x80, v54
	s_cbranch_execz .LBB302_2611
; %bb.2606:                             ;   in Loop: Header=BB302_2086 Depth=1
	v_and_b32_e32 v83, 0x7f, v54
	v_mov_b32_e32 v80, 0x7c010000
	s_mov_b32 s25, exec_lo
	s_delay_alu instid0(VALU_DEP_2)
	v_cmpx_ne_u32_e32 0x7f, v83
	s_cbranch_execz .LBB302_2610
; %bb.2607:                             ;   in Loop: Header=BB302_2086 Depth=1
	v_dual_lshrrev_b32 v81, 3, v83 :: v_dual_bitop2_b32 v80, 7, v54 bitop3:0x40
	s_mov_b32 s26, exec_lo
	v_cmpx_gt_u32_e32 8, v83
; %bb.2608:                             ;   in Loop: Header=BB302_2086 Depth=1
	s_delay_alu instid0(VALU_DEP_2) | instskip(NEXT) | instid1(VALU_DEP_1)
	v_clz_i32_u32_e32 v6, v80
	v_min_u32_e32 v64, 32, v6
	s_delay_alu instid0(VALU_DEP_1) | instskip(NEXT) | instid1(VALU_DEP_1)
	v_subrev_nc_u32_e32 v6, 28, v64
	v_lshlrev_b64_e32 v[6:7], v6, v[54:55]
	s_delay_alu instid0(VALU_DEP_1)
	v_dual_sub_nc_u32 v81, 29, v64 :: v_dual_bitop2_b32 v80, 7, v6 bitop3:0x40
; %bb.2609:                             ;   in Loop: Header=BB302_2086 Depth=1
	s_or_b32 exec_lo, exec_lo, s26
	v_lshlrev_b32_e32 v6, 8, v54
	s_delay_alu instid0(VALU_DEP_2) | instskip(NEXT) | instid1(VALU_DEP_1)
	v_lshl_add_u32 v7, v81, 10, 0x2000
	v_and_or_b32 v6, 0x8000, v6, v7
	v_lshlrev_b32_e32 v7, 23, v80
	s_delay_alu instid0(VALU_DEP_1)
	v_lshl_or_b32 v80, v6, 16, v7
.LBB302_2610:                           ;   in Loop: Header=BB302_2086 Depth=1
	s_or_b32 exec_lo, exec_lo, s25
.LBB302_2611:                           ;   in Loop: Header=BB302_2086 Depth=1
	s_delay_alu instid0(SALU_CYCLE_1)
	s_or_b32 exec_lo, exec_lo, s24
.LBB302_2612:                           ;   in Loop: Header=BB302_2086 Depth=1
	s_delay_alu instid0(SALU_CYCLE_1) | instskip(SKIP_3) | instid1(VALU_DEP_3)
	s_or_b32 exec_lo, exec_lo, s23
	v_dual_lshrrev_b32 v6, 16, v0 :: v_dual_bitop2_b32 v54, v0, v1 bitop3:0x54
	v_dual_lshrrev_b32 v7, 16, v12 :: v_dual_bitop2_b32 v12, v12, v18 bitop3:0x54
	;; [unrolled: 1-line block ×3, first 2 shown]
	v_cvt_f32_f16_e32 v1, v6
	s_delay_alu instid0(VALU_DEP_3)
	v_cvt_f32_f16_e32 v0, v7
	v_lshrrev_b32_e32 v65, 16, v80
	v_cvt_f32_f16_e32 v6, v12
	v_or_b32_e32 v12, v82, v19
	v_cvt_f32_f16_e32 v7, v54
	s_wait_loadcnt_dscnt 0x0
	v_pk_mul_f32 v[0:1], v[70:71], v[0:1] op_sel_hi:[0,1]
	v_cvt_f32_f16_e32 v19, v18
	v_cvt_f32_f16_e32 v18, v65
	;; [unrolled: 1-line block ×4, first 2 shown]
	v_pk_mul_f32 v[6:7], v[70:71], v[6:7] op_sel_hi:[0,1]
	v_cvt_pk_f16_f32 v12, v0, v1
	v_pk_mul_f32 v[0:1], v[70:71], v[18:19] op_sel_hi:[0,1]
	s_delay_alu instid0(VALU_DEP_4) | instskip(NEXT) | instid1(VALU_DEP_4)
	v_pk_mul_f32 v[18:19], v[70:71], v[64:65] op_sel_hi:[0,1]
	v_cvt_pk_f16_f32 v6, v6, v7
	s_delay_alu instid0(VALU_DEP_4) | instskip(NEXT) | instid1(VALU_DEP_4)
	v_and_b32_e32 v71, 0xffff0000, v12
	v_cvt_pk_f16_f32 v0, v0, v1
	v_lshlrev_b32_e32 v82, 16, v12
	v_cvt_pk_f16_f32 v1, v18, v19
	v_lshrrev_b32_e32 v87, 16, v6
	v_and_b32_e32 v86, 0xffff, v6
	v_and_b32_e32 v19, 0xffff0000, v0
	s_delay_alu instid0(VALU_DEP_4) | instskip(SKIP_3) | instid1(VALU_DEP_4)
	v_dual_lshlrev_b32 v54, 16, v0 :: v_dual_lshrrev_b32 v85, 16, v1
	v_and_b32_e32 v84, 0xffff, v1
	v_or_b32_e32 v83, v71, v87
	v_or_b32_e32 v80, v82, v86
	;; [unrolled: 1-line block ×3, first 2 shown]
	s_delay_alu instid0(VALU_DEP_4)
	v_or_b32_e32 v70, v54, v84
	s_and_saveexec_b32 s8, s3
	s_cbranch_execz .LBB302_2614
; %bb.2613:                             ;   in Loop: Header=BB302_2086 Depth=1
	v_dual_cndmask_b32 v0, 0, v87, vcc_lo :: v_dual_cndmask_b32 v1, 0, v86, s0
	v_dual_cndmask_b32 v6, 0, v71, s1 :: v_dual_cndmask_b32 v7, 0, v82, s2
	v_dual_cndmask_b32 v12, 0, v85, s4 :: v_dual_cndmask_b32 v18, 0, v84, s5
	;; [unrolled: 1-line block ×3, first 2 shown]
	s_delay_alu instid0(VALU_DEP_3) | instskip(NEXT) | instid1(VALU_DEP_4)
	v_or_b32_e32 v83, v0, v6
	v_or_b32_e32 v80, v1, v7
	s_delay_alu instid0(VALU_DEP_3) | instskip(NEXT) | instid1(VALU_DEP_4)
	v_or_b32_e32 v81, v12, v19
	v_or_b32_e32 v70, v18, v54
.LBB302_2614:                           ;   in Loop: Header=BB302_2086 Depth=1
	s_or_b32 exec_lo, exec_lo, s8
	;;#ASMSTART
	v_pk_mul_f16 v0, v112, v83;

	;;#ASMEND
	;;#ASMSTART
	v_pk_mul_f16 v1, v103, v80;

	;;#ASMEND
	;; [unrolled: 4-line block ×4, first 2 shown]
	;;#ASMSTART
	v_pk_add_f16 v0, v0, v1;

	;;#ASMEND
	;;#ASMSTART
	v_pk_add_f16 v0, v0, v6;

	;;#ASMEND
	;;#ASMSTART
	v_pk_add_f16 v0, v0, v7;

	;;#ASMEND
	v_and_b32_e32 v1, 0xffff, v0
	v_lshrrev_b32_e32 v0, 16, v0
	;;#ASMSTART
	v_cvt_f32_f16 v47, v1;
	;;#ASMEND
	v_mov_b32_e32 v1, 0
	;;#ASMSTART
	v_cvt_f32_f16 v56, v0;
	;;#ASMEND
	flat_load_b64 v[80:81], v[68:69] offset:2048
	flat_load_b32 v70, v[22:23]
	v_mov_b32_e32 v0, 0
	s_mov_b32 s23, exec_lo
	s_wait_loadcnt_dscnt 0x101
	v_and_b32_e32 v12, 0xff, v80
	s_wait_xcnt 0x0
	s_delay_alu instid0(VALU_DEP_1)
	v_cmpx_ne_u16_e32 0, v12
	s_cbranch_execz .LBB302_2622
; %bb.2615:                             ;   in Loop: Header=BB302_2086 Depth=1
	v_mov_b32_e32 v1, 0x8000
	s_mov_b32 s24, exec_lo
	v_cmpx_ne_u16_e32 0x80, v12
	s_cbranch_execz .LBB302_2621
; %bb.2616:                             ;   in Loop: Header=BB302_2086 Depth=1
	v_and_b32_e32 v18, 0x7f, v80
	v_mov_b32_e32 v1, 0x7c01
	s_mov_b32 s25, exec_lo
	s_delay_alu instid0(VALU_DEP_2)
	v_cmpx_ne_u32_e32 0x7f, v18
	s_cbranch_execz .LBB302_2620
; %bb.2617:                             ;   in Loop: Header=BB302_2086 Depth=1
	v_dual_lshrrev_b32 v12, 3, v18 :: v_dual_bitop2_b32 v1, 7, v80 bitop3:0x40
	s_mov_b32 s26, exec_lo
	v_cmpx_gt_u32_e32 8, v18
; %bb.2618:                             ;   in Loop: Header=BB302_2086 Depth=1
	s_delay_alu instid0(VALU_DEP_2) | instskip(NEXT) | instid1(VALU_DEP_1)
	v_clz_i32_u32_e32 v1, v1
	v_min_u32_e32 v1, 32, v1
	s_delay_alu instid0(VALU_DEP_1) | instskip(NEXT) | instid1(VALU_DEP_1)
	v_subrev_nc_u32_e32 v6, 28, v1
	v_lshlrev_b64_e32 v[6:7], v6, v[80:81]
	s_delay_alu instid0(VALU_DEP_1)
	v_dual_sub_nc_u32 v12, 29, v1 :: v_dual_bitop2_b32 v1, 7, v6 bitop3:0x40
; %bb.2619:                             ;   in Loop: Header=BB302_2086 Depth=1
	s_or_b32 exec_lo, exec_lo, s26
	s_delay_alu instid0(VALU_DEP_1) | instskip(NEXT) | instid1(VALU_DEP_2)
	v_dual_lshlrev_b32 v6, 8, v80 :: v_dual_lshlrev_b32 v1, 7, v1
	v_lshl_add_u32 v7, v12, 10, 0x2000
	s_delay_alu instid0(VALU_DEP_2) | instskip(NEXT) | instid1(VALU_DEP_2)
	v_and_b32_e32 v6, 0x8000, v6
	v_and_b32_e32 v7, 0xfc00, v7
	s_delay_alu instid0(VALU_DEP_1)
	v_or3_b32 v1, v6, v7, v1
.LBB302_2620:                           ;   in Loop: Header=BB302_2086 Depth=1
	s_or_b32 exec_lo, exec_lo, s25
.LBB302_2621:                           ;   in Loop: Header=BB302_2086 Depth=1
	s_delay_alu instid0(SALU_CYCLE_1)
	s_or_b32 exec_lo, exec_lo, s24
.LBB302_2622:                           ;   in Loop: Header=BB302_2086 Depth=1
	s_delay_alu instid0(SALU_CYCLE_1) | instskip(SKIP_2) | instid1(VALU_DEP_1)
	s_or_b32 exec_lo, exec_lo, s23
	v_lshrrev_b16 v54, 8, v80
	s_mov_b32 s23, exec_lo
	v_cmpx_ne_u16_e32 0, v54
	s_cbranch_execz .LBB302_2630
; %bb.2623:                             ;   in Loop: Header=BB302_2086 Depth=1
	v_bfrev_b32_e32 v0, 1
	s_mov_b32 s24, exec_lo
	v_cmpx_ne_u16_e32 0x80, v54
	s_cbranch_execz .LBB302_2629
; %bb.2624:                             ;   in Loop: Header=BB302_2086 Depth=1
	v_and_b32_e32 v12, 0xffff, v54
	v_mov_b32_e32 v0, 0x7c010000
	s_mov_b32 s25, exec_lo
	s_delay_alu instid0(VALU_DEP_2) | instskip(NEXT) | instid1(VALU_DEP_1)
	v_and_b32_e32 v19, 0x7f, v12
	v_cmpx_ne_u32_e32 0x7f, v19
	s_cbranch_execz .LBB302_2628
; %bb.2625:                             ;   in Loop: Header=BB302_2086 Depth=1
	v_dual_lshrrev_b32 v18, 3, v19 :: v_dual_bitop2_b32 v0, 7, v12 bitop3:0x40
	s_mov_b32 s26, exec_lo
	v_cmpx_gt_u32_e32 8, v19
; %bb.2626:                             ;   in Loop: Header=BB302_2086 Depth=1
	s_delay_alu instid0(VALU_DEP_2) | instskip(NEXT) | instid1(VALU_DEP_1)
	v_clz_i32_u32_e32 v0, v0
	v_min_u32_e32 v0, 32, v0
	s_delay_alu instid0(VALU_DEP_1) | instskip(NEXT) | instid1(VALU_DEP_1)
	v_subrev_nc_u32_e32 v6, 28, v0
	v_lshlrev_b64_e32 v[6:7], v6, v[54:55]
	s_delay_alu instid0(VALU_DEP_1)
	v_dual_sub_nc_u32 v18, 29, v0 :: v_dual_bitop2_b32 v0, 7, v6 bitop3:0x40
; %bb.2627:                             ;   in Loop: Header=BB302_2086 Depth=1
	s_or_b32 exec_lo, exec_lo, s26
	v_lshlrev_b32_e32 v6, 8, v12
	s_delay_alu instid0(VALU_DEP_2) | instskip(NEXT) | instid1(VALU_DEP_3)
	v_lshl_add_u32 v7, v18, 10, 0x2000
	v_lshlrev_b32_e32 v0, 23, v0
	s_delay_alu instid0(VALU_DEP_2) | instskip(NEXT) | instid1(VALU_DEP_1)
	v_and_or_b32 v6, 0x8000, v6, v7
	v_lshl_or_b32 v0, v6, 16, v0
.LBB302_2628:                           ;   in Loop: Header=BB302_2086 Depth=1
	s_or_b32 exec_lo, exec_lo, s25
.LBB302_2629:                           ;   in Loop: Header=BB302_2086 Depth=1
	s_delay_alu instid0(SALU_CYCLE_1)
	s_or_b32 exec_lo, exec_lo, s24
.LBB302_2630:                           ;   in Loop: Header=BB302_2086 Depth=1
	s_delay_alu instid0(SALU_CYCLE_1) | instskip(SKIP_3) | instid1(VALU_DEP_2)
	s_or_b32 exec_lo, exec_lo, s23
	v_dual_lshrrev_b32 v54, 16, v80 :: v_dual_mov_b32 v12, 0
	v_mov_b32_e32 v18, 0
	s_mov_b32 s23, exec_lo
	v_and_b32_e32 v19, 0xff, v54
	s_delay_alu instid0(VALU_DEP_1)
	v_cmpx_ne_u16_e32 0, v19
	s_cbranch_execz .LBB302_2638
; %bb.2631:                             ;   in Loop: Header=BB302_2086 Depth=1
	v_mov_b32_e32 v18, 0x8000
	s_mov_b32 s24, exec_lo
	v_cmpx_ne_u16_e32 0x80, v19
	s_cbranch_execz .LBB302_2637
; %bb.2632:                             ;   in Loop: Header=BB302_2086 Depth=1
	v_bfe_u32 v71, v80, 16, 7
	v_mov_b32_e32 v18, 0x7c01
	s_mov_b32 s25, exec_lo
	s_delay_alu instid0(VALU_DEP_2)
	v_cmpx_ne_u32_e32 0x7f, v71
	s_cbranch_execz .LBB302_2636
; %bb.2633:                             ;   in Loop: Header=BB302_2086 Depth=1
	v_dual_lshrrev_b32 v19, 3, v71 :: v_dual_bitop2_b32 v18, 7, v54 bitop3:0x40
	s_mov_b32 s26, exec_lo
	v_cmpx_gt_u32_e32 8, v71
; %bb.2634:                             ;   in Loop: Header=BB302_2086 Depth=1
	s_delay_alu instid0(VALU_DEP_2) | instskip(NEXT) | instid1(VALU_DEP_1)
	v_clz_i32_u32_e32 v6, v18
	v_min_u32_e32 v18, 32, v6
	s_delay_alu instid0(VALU_DEP_1) | instskip(SKIP_1) | instid1(VALU_DEP_2)
	v_subrev_nc_u32_e32 v6, 28, v18
	v_sub_nc_u32_e32 v19, 29, v18
	v_lshlrev_b64_e32 v[6:7], v6, v[54:55]
	s_delay_alu instid0(VALU_DEP_1)
	v_and_b32_e32 v18, 7, v6
; %bb.2635:                             ;   in Loop: Header=BB302_2086 Depth=1
	s_or_b32 exec_lo, exec_lo, s26
	v_lshlrev_b32_e32 v6, 8, v54
	v_lshl_add_u32 v7, v19, 10, 0x2000
	s_delay_alu instid0(VALU_DEP_3) | instskip(NEXT) | instid1(VALU_DEP_3)
	v_lshlrev_b32_e32 v18, 7, v18
	v_and_b32_e32 v6, 0x8000, v6
	s_delay_alu instid0(VALU_DEP_3) | instskip(NEXT) | instid1(VALU_DEP_1)
	v_and_b32_e32 v7, 0xfc00, v7
	v_or3_b32 v18, v6, v7, v18
.LBB302_2636:                           ;   in Loop: Header=BB302_2086 Depth=1
	s_or_b32 exec_lo, exec_lo, s25
.LBB302_2637:                           ;   in Loop: Header=BB302_2086 Depth=1
	s_delay_alu instid0(SALU_CYCLE_1)
	s_or_b32 exec_lo, exec_lo, s24
.LBB302_2638:                           ;   in Loop: Header=BB302_2086 Depth=1
	s_delay_alu instid0(SALU_CYCLE_1) | instskip(NEXT) | instid1(SALU_CYCLE_1)
	s_or_b32 exec_lo, exec_lo, s23
	s_mov_b32 s23, exec_lo
	v_cmpx_lt_u32_e32 0xffffff, v80
	s_cbranch_execz .LBB302_2646
; %bb.2639:                             ;   in Loop: Header=BB302_2086 Depth=1
	v_lshrrev_b32_e32 v54, 24, v80
	v_bfrev_b32_e32 v12, 1
	s_mov_b32 s24, exec_lo
	s_delay_alu instid0(VALU_DEP_2)
	v_cmpx_ne_u32_e32 0x80, v54
	s_cbranch_execz .LBB302_2645
; %bb.2640:                             ;   in Loop: Header=BB302_2086 Depth=1
	v_and_b32_e32 v71, 0x7f, v54
	v_mov_b32_e32 v12, 0x7c010000
	s_mov_b32 s25, exec_lo
	s_delay_alu instid0(VALU_DEP_2)
	v_cmpx_ne_u32_e32 0x7f, v71
	s_cbranch_execz .LBB302_2644
; %bb.2641:                             ;   in Loop: Header=BB302_2086 Depth=1
	v_dual_lshrrev_b32 v19, 3, v71 :: v_dual_bitop2_b32 v12, 7, v54 bitop3:0x40
	s_mov_b32 s26, exec_lo
	v_cmpx_gt_u32_e32 8, v71
; %bb.2642:                             ;   in Loop: Header=BB302_2086 Depth=1
	s_delay_alu instid0(VALU_DEP_2) | instskip(NEXT) | instid1(VALU_DEP_1)
	v_clz_i32_u32_e32 v6, v12
	v_min_u32_e32 v12, 32, v6
	s_delay_alu instid0(VALU_DEP_1) | instskip(NEXT) | instid1(VALU_DEP_1)
	v_subrev_nc_u32_e32 v6, 28, v12
	v_lshlrev_b64_e32 v[6:7], v6, v[54:55]
	s_delay_alu instid0(VALU_DEP_1)
	v_dual_sub_nc_u32 v19, 29, v12 :: v_dual_bitop2_b32 v12, 7, v6 bitop3:0x40
; %bb.2643:                             ;   in Loop: Header=BB302_2086 Depth=1
	s_or_b32 exec_lo, exec_lo, s26
	v_lshlrev_b32_e32 v6, 8, v54
	s_delay_alu instid0(VALU_DEP_2) | instskip(NEXT) | instid1(VALU_DEP_1)
	v_lshl_add_u32 v7, v19, 10, 0x2000
	v_and_or_b32 v6, 0x8000, v6, v7
	v_lshlrev_b32_e32 v7, 23, v12
	s_delay_alu instid0(VALU_DEP_1)
	v_lshl_or_b32 v12, v6, 16, v7
.LBB302_2644:                           ;   in Loop: Header=BB302_2086 Depth=1
	s_or_b32 exec_lo, exec_lo, s25
.LBB302_2645:                           ;   in Loop: Header=BB302_2086 Depth=1
	s_delay_alu instid0(SALU_CYCLE_1)
	s_or_b32 exec_lo, exec_lo, s24
.LBB302_2646:                           ;   in Loop: Header=BB302_2086 Depth=1
	s_delay_alu instid0(SALU_CYCLE_1) | instskip(SKIP_4) | instid1(VALU_DEP_3)
	s_or_b32 exec_lo, exec_lo, s23
	v_and_b32_e32 v82, 0xff, v81
	v_dual_mov_b32 v54, v81 :: v_dual_mov_b32 v71, 0
	v_mov_b32_e32 v19, 0
	s_mov_b32 s23, exec_lo
	v_cmpx_ne_u16_e32 0, v82
	s_cbranch_execz .LBB302_2654
; %bb.2647:                             ;   in Loop: Header=BB302_2086 Depth=1
	v_mov_b32_e32 v19, 0x8000
	s_mov_b32 s24, exec_lo
	v_cmpx_ne_u16_e32 0x80, v82
	s_cbranch_execz .LBB302_2653
; %bb.2648:                             ;   in Loop: Header=BB302_2086 Depth=1
	v_and_b32_e32 v83, 0x7f, v81
	v_mov_b32_e32 v19, 0x7c01
	s_mov_b32 s25, exec_lo
	s_delay_alu instid0(VALU_DEP_2)
	v_cmpx_ne_u32_e32 0x7f, v83
	s_cbranch_execz .LBB302_2652
; %bb.2649:                             ;   in Loop: Header=BB302_2086 Depth=1
	v_dual_lshrrev_b32 v82, 3, v83 :: v_dual_bitop2_b32 v19, 7, v81 bitop3:0x40
	s_mov_b32 s26, exec_lo
	v_cmpx_gt_u32_e32 8, v83
; %bb.2650:                             ;   in Loop: Header=BB302_2086 Depth=1
	s_delay_alu instid0(VALU_DEP_2) | instskip(NEXT) | instid1(VALU_DEP_1)
	v_clz_i32_u32_e32 v6, v19
	v_min_u32_e32 v19, 32, v6
	s_delay_alu instid0(VALU_DEP_1) | instskip(NEXT) | instid1(VALU_DEP_1)
	v_subrev_nc_u32_e32 v6, 28, v19
	v_lshlrev_b64_e32 v[6:7], v6, v[54:55]
	s_delay_alu instid0(VALU_DEP_1)
	v_dual_sub_nc_u32 v82, 29, v19 :: v_dual_bitop2_b32 v19, 7, v6 bitop3:0x40
; %bb.2651:                             ;   in Loop: Header=BB302_2086 Depth=1
	s_or_b32 exec_lo, exec_lo, s26
	s_delay_alu instid0(VALU_DEP_1) | instskip(NEXT) | instid1(VALU_DEP_2)
	v_dual_lshlrev_b32 v6, 8, v81 :: v_dual_lshlrev_b32 v19, 7, v19
	v_lshl_add_u32 v7, v82, 10, 0x2000
	s_delay_alu instid0(VALU_DEP_2) | instskip(NEXT) | instid1(VALU_DEP_2)
	v_and_b32_e32 v6, 0x8000, v6
	v_and_b32_e32 v7, 0xfc00, v7
	s_delay_alu instid0(VALU_DEP_1)
	v_or3_b32 v19, v6, v7, v19
.LBB302_2652:                           ;   in Loop: Header=BB302_2086 Depth=1
	s_or_b32 exec_lo, exec_lo, s25
.LBB302_2653:                           ;   in Loop: Header=BB302_2086 Depth=1
	s_delay_alu instid0(SALU_CYCLE_1)
	s_or_b32 exec_lo, exec_lo, s24
.LBB302_2654:                           ;   in Loop: Header=BB302_2086 Depth=1
	s_delay_alu instid0(SALU_CYCLE_1) | instskip(SKIP_3) | instid1(VALU_DEP_2)
	s_or_b32 exec_lo, exec_lo, s23
	v_lshrrev_b16 v54, 8, v54
	v_mov_b32_e32 v82, 0
	s_mov_b32 s23, exec_lo
	v_cmpx_ne_u16_e32 0, v54
	s_cbranch_execz .LBB302_2662
; %bb.2655:                             ;   in Loop: Header=BB302_2086 Depth=1
	v_bfrev_b32_e32 v82, 1
	s_mov_b32 s24, exec_lo
	v_cmpx_ne_u16_e32 0x80, v54
	s_cbranch_execz .LBB302_2661
; %bb.2656:                             ;   in Loop: Header=BB302_2086 Depth=1
	v_and_b32_e32 v83, 0xffff, v54
	v_mov_b32_e32 v82, 0x7c010000
	s_mov_b32 s25, exec_lo
	s_delay_alu instid0(VALU_DEP_2) | instskip(NEXT) | instid1(VALU_DEP_1)
	v_and_b32_e32 v85, 0x7f, v83
	v_cmpx_ne_u32_e32 0x7f, v85
	s_cbranch_execz .LBB302_2660
; %bb.2657:                             ;   in Loop: Header=BB302_2086 Depth=1
	v_dual_lshrrev_b32 v84, 3, v85 :: v_dual_bitop2_b32 v82, 7, v83 bitop3:0x40
	s_mov_b32 s26, exec_lo
	v_cmpx_gt_u32_e32 8, v85
; %bb.2658:                             ;   in Loop: Header=BB302_2086 Depth=1
	s_delay_alu instid0(VALU_DEP_2) | instskip(NEXT) | instid1(VALU_DEP_1)
	v_clz_i32_u32_e32 v6, v82
	v_min_u32_e32 v64, 32, v6
	s_delay_alu instid0(VALU_DEP_1) | instskip(NEXT) | instid1(VALU_DEP_1)
	v_subrev_nc_u32_e32 v6, 28, v64
	v_lshlrev_b64_e32 v[6:7], v6, v[54:55]
	s_delay_alu instid0(VALU_DEP_1)
	v_dual_sub_nc_u32 v84, 29, v64 :: v_dual_bitop2_b32 v82, 7, v6 bitop3:0x40
; %bb.2659:                             ;   in Loop: Header=BB302_2086 Depth=1
	s_or_b32 exec_lo, exec_lo, s26
	v_lshlrev_b32_e32 v6, 8, v83
	s_delay_alu instid0(VALU_DEP_2) | instskip(NEXT) | instid1(VALU_DEP_1)
	v_lshl_add_u32 v7, v84, 10, 0x2000
	v_and_or_b32 v6, 0x8000, v6, v7
	v_lshlrev_b32_e32 v7, 23, v82
	s_delay_alu instid0(VALU_DEP_1)
	v_lshl_or_b32 v82, v6, 16, v7
.LBB302_2660:                           ;   in Loop: Header=BB302_2086 Depth=1
	s_or_b32 exec_lo, exec_lo, s25
.LBB302_2661:                           ;   in Loop: Header=BB302_2086 Depth=1
	s_delay_alu instid0(SALU_CYCLE_1)
	s_or_b32 exec_lo, exec_lo, s24
.LBB302_2662:                           ;   in Loop: Header=BB302_2086 Depth=1
	s_delay_alu instid0(SALU_CYCLE_1) | instskip(SKIP_2) | instid1(VALU_DEP_1)
	s_or_b32 exec_lo, exec_lo, s23
	v_lshrrev_b32_e32 v54, 16, v81
	s_mov_b32 s23, exec_lo
	v_and_b32_e32 v83, 0xff, v54
	s_delay_alu instid0(VALU_DEP_1)
	v_cmpx_ne_u16_e32 0, v83
	s_cbranch_execz .LBB302_2670
; %bb.2663:                             ;   in Loop: Header=BB302_2086 Depth=1
	v_mov_b32_e32 v71, 0x8000
	s_mov_b32 s24, exec_lo
	v_cmpx_ne_u16_e32 0x80, v83
	s_cbranch_execz .LBB302_2669
; %bb.2664:                             ;   in Loop: Header=BB302_2086 Depth=1
	v_bfe_u32 v84, v81, 16, 7
	v_mov_b32_e32 v71, 0x7c01
	s_mov_b32 s25, exec_lo
	s_delay_alu instid0(VALU_DEP_2)
	v_cmpx_ne_u32_e32 0x7f, v84
	s_cbranch_execz .LBB302_2668
; %bb.2665:                             ;   in Loop: Header=BB302_2086 Depth=1
	v_dual_lshrrev_b32 v83, 3, v84 :: v_dual_bitop2_b32 v71, 7, v54 bitop3:0x40
	s_mov_b32 s26, exec_lo
	v_cmpx_gt_u32_e32 8, v84
; %bb.2666:                             ;   in Loop: Header=BB302_2086 Depth=1
	s_delay_alu instid0(VALU_DEP_2) | instskip(NEXT) | instid1(VALU_DEP_1)
	v_clz_i32_u32_e32 v6, v71
	v_min_u32_e32 v64, 32, v6
	s_delay_alu instid0(VALU_DEP_1) | instskip(NEXT) | instid1(VALU_DEP_1)
	v_subrev_nc_u32_e32 v6, 28, v64
	v_lshlrev_b64_e32 v[6:7], v6, v[54:55]
	s_delay_alu instid0(VALU_DEP_1)
	v_dual_sub_nc_u32 v83, 29, v64 :: v_dual_bitop2_b32 v71, 7, v6 bitop3:0x40
; %bb.2667:                             ;   in Loop: Header=BB302_2086 Depth=1
	s_or_b32 exec_lo, exec_lo, s26
	s_delay_alu instid0(VALU_DEP_1) | instskip(NEXT) | instid1(VALU_DEP_2)
	v_dual_lshlrev_b32 v6, 8, v54 :: v_dual_lshlrev_b32 v54, 7, v71
	v_lshl_add_u32 v7, v83, 10, 0x2000
	s_delay_alu instid0(VALU_DEP_2) | instskip(NEXT) | instid1(VALU_DEP_2)
	v_and_b32_e32 v6, 0x8000, v6
	v_and_b32_e32 v7, 0xfc00, v7
	s_delay_alu instid0(VALU_DEP_1)
	v_or3_b32 v71, v6, v7, v54
.LBB302_2668:                           ;   in Loop: Header=BB302_2086 Depth=1
	s_or_b32 exec_lo, exec_lo, s25
.LBB302_2669:                           ;   in Loop: Header=BB302_2086 Depth=1
	s_delay_alu instid0(SALU_CYCLE_1)
	s_or_b32 exec_lo, exec_lo, s24
.LBB302_2670:                           ;   in Loop: Header=BB302_2086 Depth=1
	s_delay_alu instid0(SALU_CYCLE_1)
	s_or_b32 exec_lo, exec_lo, s23
	v_cmp_lt_u64_e64 s8, s[16:17], v[80:81]
	v_mov_b32_e32 v80, 0
	s_and_saveexec_b32 s23, s8
	s_cbranch_execz .LBB302_2678
; %bb.2671:                             ;   in Loop: Header=BB302_2086 Depth=1
	v_lshrrev_b32_e32 v54, 24, v81
	v_bfrev_b32_e32 v80, 1
	s_mov_b32 s24, exec_lo
	s_delay_alu instid0(VALU_DEP_2)
	v_cmpx_ne_u32_e32 0x80, v54
	s_cbranch_execz .LBB302_2677
; %bb.2672:                             ;   in Loop: Header=BB302_2086 Depth=1
	v_and_b32_e32 v83, 0x7f, v54
	v_mov_b32_e32 v80, 0x7c010000
	s_mov_b32 s25, exec_lo
	s_delay_alu instid0(VALU_DEP_2)
	v_cmpx_ne_u32_e32 0x7f, v83
	s_cbranch_execz .LBB302_2676
; %bb.2673:                             ;   in Loop: Header=BB302_2086 Depth=1
	v_dual_lshrrev_b32 v81, 3, v83 :: v_dual_bitop2_b32 v80, 7, v54 bitop3:0x40
	s_mov_b32 s26, exec_lo
	v_cmpx_gt_u32_e32 8, v83
; %bb.2674:                             ;   in Loop: Header=BB302_2086 Depth=1
	s_delay_alu instid0(VALU_DEP_2) | instskip(NEXT) | instid1(VALU_DEP_1)
	v_clz_i32_u32_e32 v6, v80
	v_min_u32_e32 v64, 32, v6
	s_delay_alu instid0(VALU_DEP_1) | instskip(NEXT) | instid1(VALU_DEP_1)
	v_subrev_nc_u32_e32 v6, 28, v64
	v_lshlrev_b64_e32 v[6:7], v6, v[54:55]
	s_delay_alu instid0(VALU_DEP_1)
	v_dual_sub_nc_u32 v81, 29, v64 :: v_dual_bitop2_b32 v80, 7, v6 bitop3:0x40
; %bb.2675:                             ;   in Loop: Header=BB302_2086 Depth=1
	s_or_b32 exec_lo, exec_lo, s26
	v_lshlrev_b32_e32 v6, 8, v54
	s_delay_alu instid0(VALU_DEP_2) | instskip(NEXT) | instid1(VALU_DEP_1)
	v_lshl_add_u32 v7, v81, 10, 0x2000
	v_and_or_b32 v6, 0x8000, v6, v7
	v_lshlrev_b32_e32 v7, 23, v80
	s_delay_alu instid0(VALU_DEP_1)
	v_lshl_or_b32 v80, v6, 16, v7
.LBB302_2676:                           ;   in Loop: Header=BB302_2086 Depth=1
	s_or_b32 exec_lo, exec_lo, s25
.LBB302_2677:                           ;   in Loop: Header=BB302_2086 Depth=1
	s_delay_alu instid0(SALU_CYCLE_1)
	s_or_b32 exec_lo, exec_lo, s24
.LBB302_2678:                           ;   in Loop: Header=BB302_2086 Depth=1
	s_delay_alu instid0(SALU_CYCLE_1) | instskip(SKIP_3) | instid1(VALU_DEP_3)
	s_or_b32 exec_lo, exec_lo, s23
	v_dual_lshrrev_b32 v6, 16, v0 :: v_dual_bitop2_b32 v54, v0, v1 bitop3:0x54
	v_dual_lshrrev_b32 v7, 16, v12 :: v_dual_bitop2_b32 v12, v12, v18 bitop3:0x54
	;; [unrolled: 1-line block ×3, first 2 shown]
	v_cvt_f32_f16_e32 v1, v6
	s_delay_alu instid0(VALU_DEP_3)
	v_cvt_f32_f16_e32 v0, v7
	v_lshrrev_b32_e32 v65, 16, v80
	v_cvt_f32_f16_e32 v6, v12
	v_or_b32_e32 v12, v82, v19
	v_cvt_f32_f16_e32 v7, v54
	s_wait_loadcnt_dscnt 0x0
	v_pk_mul_f32 v[0:1], v[70:71], v[0:1] op_sel_hi:[0,1]
	v_cvt_f32_f16_e32 v19, v18
	v_cvt_f32_f16_e32 v18, v65
	;; [unrolled: 1-line block ×4, first 2 shown]
	v_pk_mul_f32 v[6:7], v[70:71], v[6:7] op_sel_hi:[0,1]
	v_cvt_pk_f16_f32 v12, v0, v1
	v_pk_mul_f32 v[0:1], v[70:71], v[18:19] op_sel_hi:[0,1]
	s_delay_alu instid0(VALU_DEP_4) | instskip(NEXT) | instid1(VALU_DEP_4)
	v_pk_mul_f32 v[18:19], v[70:71], v[64:65] op_sel_hi:[0,1]
	v_cvt_pk_f16_f32 v6, v6, v7
	s_delay_alu instid0(VALU_DEP_4) | instskip(NEXT) | instid1(VALU_DEP_4)
	v_and_b32_e32 v71, 0xffff0000, v12
	v_cvt_pk_f16_f32 v0, v0, v1
	v_lshlrev_b32_e32 v82, 16, v12
	v_cvt_pk_f16_f32 v1, v18, v19
	v_lshrrev_b32_e32 v87, 16, v6
	v_and_b32_e32 v86, 0xffff, v6
	v_and_b32_e32 v19, 0xffff0000, v0
	s_delay_alu instid0(VALU_DEP_4) | instskip(SKIP_3) | instid1(VALU_DEP_4)
	v_dual_lshlrev_b32 v54, 16, v0 :: v_dual_lshrrev_b32 v85, 16, v1
	v_and_b32_e32 v84, 0xffff, v1
	v_or_b32_e32 v83, v71, v87
	v_or_b32_e32 v80, v82, v86
	;; [unrolled: 1-line block ×3, first 2 shown]
	s_delay_alu instid0(VALU_DEP_4)
	v_or_b32_e32 v70, v54, v84
	s_and_saveexec_b32 s8, s3
	s_cbranch_execz .LBB302_2680
; %bb.2679:                             ;   in Loop: Header=BB302_2086 Depth=1
	v_dual_cndmask_b32 v0, 0, v87, vcc_lo :: v_dual_cndmask_b32 v1, 0, v86, s0
	v_dual_cndmask_b32 v6, 0, v71, s1 :: v_dual_cndmask_b32 v7, 0, v82, s2
	v_dual_cndmask_b32 v12, 0, v85, s4 :: v_dual_cndmask_b32 v18, 0, v84, s5
	;; [unrolled: 1-line block ×3, first 2 shown]
	s_delay_alu instid0(VALU_DEP_3) | instskip(NEXT) | instid1(VALU_DEP_4)
	v_or_b32_e32 v83, v0, v6
	v_or_b32_e32 v80, v1, v7
	s_delay_alu instid0(VALU_DEP_3) | instskip(NEXT) | instid1(VALU_DEP_4)
	v_or_b32_e32 v81, v12, v19
	v_or_b32_e32 v70, v18, v54
.LBB302_2680:                           ;   in Loop: Header=BB302_2086 Depth=1
	s_or_b32 exec_lo, exec_lo, s8
	;;#ASMSTART
	v_pk_mul_f16 v0, v112, v83;

	;;#ASMEND
	;;#ASMSTART
	v_pk_mul_f16 v1, v103, v80;

	;;#ASMEND
	;; [unrolled: 4-line block ×4, first 2 shown]
	;;#ASMSTART
	v_pk_add_f16 v0, v0, v1;

	;;#ASMEND
	;;#ASMSTART
	v_pk_add_f16 v0, v0, v6;

	;;#ASMEND
	;; [unrolled: 4-line block ×3, first 2 shown]
	v_and_b32_e32 v1, 0xffff, v0
	v_lshrrev_b32_e32 v0, 16, v0
	;;#ASMSTART
	v_cvt_f32_f16 v57, v1;
	;;#ASMEND
	v_mov_b32_e32 v1, 0
	;;#ASMSTART
	v_cvt_f32_f16 v58, v0;
	;;#ASMEND
	flat_load_b64 v[80:81], v[68:69] offset:2304
	flat_load_b32 v70, v[22:23]
	v_mov_b32_e32 v0, 0
	s_mov_b32 s23, exec_lo
	s_wait_loadcnt_dscnt 0x101
	v_and_b32_e32 v12, 0xff, v80
	s_wait_xcnt 0x0
	s_delay_alu instid0(VALU_DEP_1)
	v_cmpx_ne_u16_e32 0, v12
	s_cbranch_execz .LBB302_2688
; %bb.2681:                             ;   in Loop: Header=BB302_2086 Depth=1
	v_mov_b32_e32 v1, 0x8000
	s_mov_b32 s24, exec_lo
	v_cmpx_ne_u16_e32 0x80, v12
	s_cbranch_execz .LBB302_2687
; %bb.2682:                             ;   in Loop: Header=BB302_2086 Depth=1
	v_and_b32_e32 v18, 0x7f, v80
	v_mov_b32_e32 v1, 0x7c01
	s_mov_b32 s25, exec_lo
	s_delay_alu instid0(VALU_DEP_2)
	v_cmpx_ne_u32_e32 0x7f, v18
	s_cbranch_execz .LBB302_2686
; %bb.2683:                             ;   in Loop: Header=BB302_2086 Depth=1
	v_dual_lshrrev_b32 v12, 3, v18 :: v_dual_bitop2_b32 v1, 7, v80 bitop3:0x40
	s_mov_b32 s26, exec_lo
	v_cmpx_gt_u32_e32 8, v18
; %bb.2684:                             ;   in Loop: Header=BB302_2086 Depth=1
	s_delay_alu instid0(VALU_DEP_2) | instskip(NEXT) | instid1(VALU_DEP_1)
	v_clz_i32_u32_e32 v1, v1
	v_min_u32_e32 v1, 32, v1
	s_delay_alu instid0(VALU_DEP_1) | instskip(NEXT) | instid1(VALU_DEP_1)
	v_subrev_nc_u32_e32 v6, 28, v1
	v_lshlrev_b64_e32 v[6:7], v6, v[80:81]
	s_delay_alu instid0(VALU_DEP_1)
	v_dual_sub_nc_u32 v12, 29, v1 :: v_dual_bitop2_b32 v1, 7, v6 bitop3:0x40
; %bb.2685:                             ;   in Loop: Header=BB302_2086 Depth=1
	s_or_b32 exec_lo, exec_lo, s26
	s_delay_alu instid0(VALU_DEP_1) | instskip(NEXT) | instid1(VALU_DEP_2)
	v_dual_lshlrev_b32 v6, 8, v80 :: v_dual_lshlrev_b32 v1, 7, v1
	v_lshl_add_u32 v7, v12, 10, 0x2000
	s_delay_alu instid0(VALU_DEP_2) | instskip(NEXT) | instid1(VALU_DEP_2)
	v_and_b32_e32 v6, 0x8000, v6
	v_and_b32_e32 v7, 0xfc00, v7
	s_delay_alu instid0(VALU_DEP_1)
	v_or3_b32 v1, v6, v7, v1
.LBB302_2686:                           ;   in Loop: Header=BB302_2086 Depth=1
	s_or_b32 exec_lo, exec_lo, s25
.LBB302_2687:                           ;   in Loop: Header=BB302_2086 Depth=1
	s_delay_alu instid0(SALU_CYCLE_1)
	s_or_b32 exec_lo, exec_lo, s24
.LBB302_2688:                           ;   in Loop: Header=BB302_2086 Depth=1
	s_delay_alu instid0(SALU_CYCLE_1) | instskip(SKIP_2) | instid1(VALU_DEP_1)
	s_or_b32 exec_lo, exec_lo, s23
	v_lshrrev_b16 v54, 8, v80
	s_mov_b32 s23, exec_lo
	v_cmpx_ne_u16_e32 0, v54
	s_cbranch_execz .LBB302_2696
; %bb.2689:                             ;   in Loop: Header=BB302_2086 Depth=1
	v_bfrev_b32_e32 v0, 1
	s_mov_b32 s24, exec_lo
	v_cmpx_ne_u16_e32 0x80, v54
	s_cbranch_execz .LBB302_2695
; %bb.2690:                             ;   in Loop: Header=BB302_2086 Depth=1
	v_and_b32_e32 v12, 0xffff, v54
	v_mov_b32_e32 v0, 0x7c010000
	s_mov_b32 s25, exec_lo
	s_delay_alu instid0(VALU_DEP_2) | instskip(NEXT) | instid1(VALU_DEP_1)
	v_and_b32_e32 v19, 0x7f, v12
	v_cmpx_ne_u32_e32 0x7f, v19
	s_cbranch_execz .LBB302_2694
; %bb.2691:                             ;   in Loop: Header=BB302_2086 Depth=1
	v_dual_lshrrev_b32 v18, 3, v19 :: v_dual_bitop2_b32 v0, 7, v12 bitop3:0x40
	s_mov_b32 s26, exec_lo
	v_cmpx_gt_u32_e32 8, v19
; %bb.2692:                             ;   in Loop: Header=BB302_2086 Depth=1
	s_delay_alu instid0(VALU_DEP_2) | instskip(NEXT) | instid1(VALU_DEP_1)
	v_clz_i32_u32_e32 v0, v0
	v_min_u32_e32 v0, 32, v0
	s_delay_alu instid0(VALU_DEP_1) | instskip(NEXT) | instid1(VALU_DEP_1)
	v_subrev_nc_u32_e32 v6, 28, v0
	v_lshlrev_b64_e32 v[6:7], v6, v[54:55]
	s_delay_alu instid0(VALU_DEP_1)
	v_dual_sub_nc_u32 v18, 29, v0 :: v_dual_bitop2_b32 v0, 7, v6 bitop3:0x40
; %bb.2693:                             ;   in Loop: Header=BB302_2086 Depth=1
	s_or_b32 exec_lo, exec_lo, s26
	v_lshlrev_b32_e32 v6, 8, v12
	s_delay_alu instid0(VALU_DEP_2) | instskip(NEXT) | instid1(VALU_DEP_3)
	v_lshl_add_u32 v7, v18, 10, 0x2000
	v_lshlrev_b32_e32 v0, 23, v0
	s_delay_alu instid0(VALU_DEP_2) | instskip(NEXT) | instid1(VALU_DEP_1)
	v_and_or_b32 v6, 0x8000, v6, v7
	v_lshl_or_b32 v0, v6, 16, v0
.LBB302_2694:                           ;   in Loop: Header=BB302_2086 Depth=1
	s_or_b32 exec_lo, exec_lo, s25
.LBB302_2695:                           ;   in Loop: Header=BB302_2086 Depth=1
	s_delay_alu instid0(SALU_CYCLE_1)
	s_or_b32 exec_lo, exec_lo, s24
.LBB302_2696:                           ;   in Loop: Header=BB302_2086 Depth=1
	s_delay_alu instid0(SALU_CYCLE_1) | instskip(SKIP_3) | instid1(VALU_DEP_2)
	s_or_b32 exec_lo, exec_lo, s23
	v_dual_lshrrev_b32 v54, 16, v80 :: v_dual_mov_b32 v12, 0
	v_mov_b32_e32 v18, 0
	s_mov_b32 s23, exec_lo
	v_and_b32_e32 v19, 0xff, v54
	s_delay_alu instid0(VALU_DEP_1)
	v_cmpx_ne_u16_e32 0, v19
	s_cbranch_execz .LBB302_2704
; %bb.2697:                             ;   in Loop: Header=BB302_2086 Depth=1
	v_mov_b32_e32 v18, 0x8000
	s_mov_b32 s24, exec_lo
	v_cmpx_ne_u16_e32 0x80, v19
	s_cbranch_execz .LBB302_2703
; %bb.2698:                             ;   in Loop: Header=BB302_2086 Depth=1
	v_bfe_u32 v71, v80, 16, 7
	v_mov_b32_e32 v18, 0x7c01
	s_mov_b32 s25, exec_lo
	s_delay_alu instid0(VALU_DEP_2)
	v_cmpx_ne_u32_e32 0x7f, v71
	s_cbranch_execz .LBB302_2702
; %bb.2699:                             ;   in Loop: Header=BB302_2086 Depth=1
	v_dual_lshrrev_b32 v19, 3, v71 :: v_dual_bitop2_b32 v18, 7, v54 bitop3:0x40
	s_mov_b32 s26, exec_lo
	v_cmpx_gt_u32_e32 8, v71
; %bb.2700:                             ;   in Loop: Header=BB302_2086 Depth=1
	s_delay_alu instid0(VALU_DEP_2) | instskip(NEXT) | instid1(VALU_DEP_1)
	v_clz_i32_u32_e32 v6, v18
	v_min_u32_e32 v18, 32, v6
	s_delay_alu instid0(VALU_DEP_1) | instskip(SKIP_1) | instid1(VALU_DEP_2)
	v_subrev_nc_u32_e32 v6, 28, v18
	v_sub_nc_u32_e32 v19, 29, v18
	v_lshlrev_b64_e32 v[6:7], v6, v[54:55]
	s_delay_alu instid0(VALU_DEP_1)
	v_and_b32_e32 v18, 7, v6
; %bb.2701:                             ;   in Loop: Header=BB302_2086 Depth=1
	s_or_b32 exec_lo, exec_lo, s26
	v_lshlrev_b32_e32 v6, 8, v54
	v_lshl_add_u32 v7, v19, 10, 0x2000
	s_delay_alu instid0(VALU_DEP_3) | instskip(NEXT) | instid1(VALU_DEP_3)
	v_lshlrev_b32_e32 v18, 7, v18
	v_and_b32_e32 v6, 0x8000, v6
	s_delay_alu instid0(VALU_DEP_3) | instskip(NEXT) | instid1(VALU_DEP_1)
	v_and_b32_e32 v7, 0xfc00, v7
	v_or3_b32 v18, v6, v7, v18
.LBB302_2702:                           ;   in Loop: Header=BB302_2086 Depth=1
	s_or_b32 exec_lo, exec_lo, s25
.LBB302_2703:                           ;   in Loop: Header=BB302_2086 Depth=1
	s_delay_alu instid0(SALU_CYCLE_1)
	s_or_b32 exec_lo, exec_lo, s24
.LBB302_2704:                           ;   in Loop: Header=BB302_2086 Depth=1
	s_delay_alu instid0(SALU_CYCLE_1) | instskip(NEXT) | instid1(SALU_CYCLE_1)
	s_or_b32 exec_lo, exec_lo, s23
	s_mov_b32 s23, exec_lo
	v_cmpx_lt_u32_e32 0xffffff, v80
	s_cbranch_execz .LBB302_2712
; %bb.2705:                             ;   in Loop: Header=BB302_2086 Depth=1
	v_lshrrev_b32_e32 v54, 24, v80
	v_bfrev_b32_e32 v12, 1
	s_mov_b32 s24, exec_lo
	s_delay_alu instid0(VALU_DEP_2)
	v_cmpx_ne_u32_e32 0x80, v54
	s_cbranch_execz .LBB302_2711
; %bb.2706:                             ;   in Loop: Header=BB302_2086 Depth=1
	v_and_b32_e32 v71, 0x7f, v54
	v_mov_b32_e32 v12, 0x7c010000
	s_mov_b32 s25, exec_lo
	s_delay_alu instid0(VALU_DEP_2)
	v_cmpx_ne_u32_e32 0x7f, v71
	s_cbranch_execz .LBB302_2710
; %bb.2707:                             ;   in Loop: Header=BB302_2086 Depth=1
	v_dual_lshrrev_b32 v19, 3, v71 :: v_dual_bitop2_b32 v12, 7, v54 bitop3:0x40
	s_mov_b32 s26, exec_lo
	v_cmpx_gt_u32_e32 8, v71
; %bb.2708:                             ;   in Loop: Header=BB302_2086 Depth=1
	s_delay_alu instid0(VALU_DEP_2) | instskip(NEXT) | instid1(VALU_DEP_1)
	v_clz_i32_u32_e32 v6, v12
	v_min_u32_e32 v12, 32, v6
	s_delay_alu instid0(VALU_DEP_1) | instskip(NEXT) | instid1(VALU_DEP_1)
	v_subrev_nc_u32_e32 v6, 28, v12
	v_lshlrev_b64_e32 v[6:7], v6, v[54:55]
	s_delay_alu instid0(VALU_DEP_1)
	v_dual_sub_nc_u32 v19, 29, v12 :: v_dual_bitop2_b32 v12, 7, v6 bitop3:0x40
; %bb.2709:                             ;   in Loop: Header=BB302_2086 Depth=1
	s_or_b32 exec_lo, exec_lo, s26
	v_lshlrev_b32_e32 v6, 8, v54
	s_delay_alu instid0(VALU_DEP_2) | instskip(NEXT) | instid1(VALU_DEP_1)
	v_lshl_add_u32 v7, v19, 10, 0x2000
	v_and_or_b32 v6, 0x8000, v6, v7
	v_lshlrev_b32_e32 v7, 23, v12
	s_delay_alu instid0(VALU_DEP_1)
	v_lshl_or_b32 v12, v6, 16, v7
.LBB302_2710:                           ;   in Loop: Header=BB302_2086 Depth=1
	s_or_b32 exec_lo, exec_lo, s25
.LBB302_2711:                           ;   in Loop: Header=BB302_2086 Depth=1
	s_delay_alu instid0(SALU_CYCLE_1)
	s_or_b32 exec_lo, exec_lo, s24
.LBB302_2712:                           ;   in Loop: Header=BB302_2086 Depth=1
	s_delay_alu instid0(SALU_CYCLE_1) | instskip(SKIP_4) | instid1(VALU_DEP_3)
	s_or_b32 exec_lo, exec_lo, s23
	v_and_b32_e32 v82, 0xff, v81
	v_dual_mov_b32 v54, v81 :: v_dual_mov_b32 v71, 0
	v_mov_b32_e32 v19, 0
	s_mov_b32 s23, exec_lo
	v_cmpx_ne_u16_e32 0, v82
	s_cbranch_execz .LBB302_2720
; %bb.2713:                             ;   in Loop: Header=BB302_2086 Depth=1
	v_mov_b32_e32 v19, 0x8000
	s_mov_b32 s24, exec_lo
	v_cmpx_ne_u16_e32 0x80, v82
	s_cbranch_execz .LBB302_2719
; %bb.2714:                             ;   in Loop: Header=BB302_2086 Depth=1
	v_and_b32_e32 v83, 0x7f, v81
	v_mov_b32_e32 v19, 0x7c01
	s_mov_b32 s25, exec_lo
	s_delay_alu instid0(VALU_DEP_2)
	v_cmpx_ne_u32_e32 0x7f, v83
	s_cbranch_execz .LBB302_2718
; %bb.2715:                             ;   in Loop: Header=BB302_2086 Depth=1
	v_dual_lshrrev_b32 v82, 3, v83 :: v_dual_bitop2_b32 v19, 7, v81 bitop3:0x40
	s_mov_b32 s26, exec_lo
	v_cmpx_gt_u32_e32 8, v83
; %bb.2716:                             ;   in Loop: Header=BB302_2086 Depth=1
	s_delay_alu instid0(VALU_DEP_2) | instskip(NEXT) | instid1(VALU_DEP_1)
	v_clz_i32_u32_e32 v6, v19
	v_min_u32_e32 v19, 32, v6
	s_delay_alu instid0(VALU_DEP_1) | instskip(NEXT) | instid1(VALU_DEP_1)
	v_subrev_nc_u32_e32 v6, 28, v19
	v_lshlrev_b64_e32 v[6:7], v6, v[54:55]
	s_delay_alu instid0(VALU_DEP_1)
	v_dual_sub_nc_u32 v82, 29, v19 :: v_dual_bitop2_b32 v19, 7, v6 bitop3:0x40
; %bb.2717:                             ;   in Loop: Header=BB302_2086 Depth=1
	s_or_b32 exec_lo, exec_lo, s26
	s_delay_alu instid0(VALU_DEP_1) | instskip(NEXT) | instid1(VALU_DEP_2)
	v_dual_lshlrev_b32 v6, 8, v81 :: v_dual_lshlrev_b32 v19, 7, v19
	v_lshl_add_u32 v7, v82, 10, 0x2000
	s_delay_alu instid0(VALU_DEP_2) | instskip(NEXT) | instid1(VALU_DEP_2)
	v_and_b32_e32 v6, 0x8000, v6
	v_and_b32_e32 v7, 0xfc00, v7
	s_delay_alu instid0(VALU_DEP_1)
	v_or3_b32 v19, v6, v7, v19
.LBB302_2718:                           ;   in Loop: Header=BB302_2086 Depth=1
	s_or_b32 exec_lo, exec_lo, s25
.LBB302_2719:                           ;   in Loop: Header=BB302_2086 Depth=1
	s_delay_alu instid0(SALU_CYCLE_1)
	s_or_b32 exec_lo, exec_lo, s24
.LBB302_2720:                           ;   in Loop: Header=BB302_2086 Depth=1
	s_delay_alu instid0(SALU_CYCLE_1) | instskip(SKIP_3) | instid1(VALU_DEP_2)
	s_or_b32 exec_lo, exec_lo, s23
	v_lshrrev_b16 v54, 8, v54
	v_mov_b32_e32 v82, 0
	s_mov_b32 s23, exec_lo
	v_cmpx_ne_u16_e32 0, v54
	s_cbranch_execz .LBB302_2728
; %bb.2721:                             ;   in Loop: Header=BB302_2086 Depth=1
	v_bfrev_b32_e32 v82, 1
	s_mov_b32 s24, exec_lo
	v_cmpx_ne_u16_e32 0x80, v54
	s_cbranch_execz .LBB302_2727
; %bb.2722:                             ;   in Loop: Header=BB302_2086 Depth=1
	v_and_b32_e32 v83, 0xffff, v54
	v_mov_b32_e32 v82, 0x7c010000
	s_mov_b32 s25, exec_lo
	s_delay_alu instid0(VALU_DEP_2) | instskip(NEXT) | instid1(VALU_DEP_1)
	v_and_b32_e32 v85, 0x7f, v83
	v_cmpx_ne_u32_e32 0x7f, v85
	s_cbranch_execz .LBB302_2726
; %bb.2723:                             ;   in Loop: Header=BB302_2086 Depth=1
	v_dual_lshrrev_b32 v84, 3, v85 :: v_dual_bitop2_b32 v82, 7, v83 bitop3:0x40
	s_mov_b32 s26, exec_lo
	v_cmpx_gt_u32_e32 8, v85
; %bb.2724:                             ;   in Loop: Header=BB302_2086 Depth=1
	s_delay_alu instid0(VALU_DEP_2) | instskip(NEXT) | instid1(VALU_DEP_1)
	v_clz_i32_u32_e32 v6, v82
	v_min_u32_e32 v64, 32, v6
	s_delay_alu instid0(VALU_DEP_1) | instskip(NEXT) | instid1(VALU_DEP_1)
	v_subrev_nc_u32_e32 v6, 28, v64
	v_lshlrev_b64_e32 v[6:7], v6, v[54:55]
	s_delay_alu instid0(VALU_DEP_1)
	v_dual_sub_nc_u32 v84, 29, v64 :: v_dual_bitop2_b32 v82, 7, v6 bitop3:0x40
; %bb.2725:                             ;   in Loop: Header=BB302_2086 Depth=1
	s_or_b32 exec_lo, exec_lo, s26
	v_lshlrev_b32_e32 v6, 8, v83
	s_delay_alu instid0(VALU_DEP_2) | instskip(NEXT) | instid1(VALU_DEP_1)
	v_lshl_add_u32 v7, v84, 10, 0x2000
	v_and_or_b32 v6, 0x8000, v6, v7
	v_lshlrev_b32_e32 v7, 23, v82
	s_delay_alu instid0(VALU_DEP_1)
	v_lshl_or_b32 v82, v6, 16, v7
.LBB302_2726:                           ;   in Loop: Header=BB302_2086 Depth=1
	s_or_b32 exec_lo, exec_lo, s25
.LBB302_2727:                           ;   in Loop: Header=BB302_2086 Depth=1
	s_delay_alu instid0(SALU_CYCLE_1)
	s_or_b32 exec_lo, exec_lo, s24
.LBB302_2728:                           ;   in Loop: Header=BB302_2086 Depth=1
	s_delay_alu instid0(SALU_CYCLE_1) | instskip(SKIP_2) | instid1(VALU_DEP_1)
	s_or_b32 exec_lo, exec_lo, s23
	v_lshrrev_b32_e32 v54, 16, v81
	s_mov_b32 s23, exec_lo
	v_and_b32_e32 v83, 0xff, v54
	s_delay_alu instid0(VALU_DEP_1)
	v_cmpx_ne_u16_e32 0, v83
	s_cbranch_execz .LBB302_2736
; %bb.2729:                             ;   in Loop: Header=BB302_2086 Depth=1
	v_mov_b32_e32 v71, 0x8000
	s_mov_b32 s24, exec_lo
	v_cmpx_ne_u16_e32 0x80, v83
	s_cbranch_execz .LBB302_2735
; %bb.2730:                             ;   in Loop: Header=BB302_2086 Depth=1
	v_bfe_u32 v84, v81, 16, 7
	v_mov_b32_e32 v71, 0x7c01
	s_mov_b32 s25, exec_lo
	s_delay_alu instid0(VALU_DEP_2)
	v_cmpx_ne_u32_e32 0x7f, v84
	s_cbranch_execz .LBB302_2734
; %bb.2731:                             ;   in Loop: Header=BB302_2086 Depth=1
	v_dual_lshrrev_b32 v83, 3, v84 :: v_dual_bitop2_b32 v71, 7, v54 bitop3:0x40
	s_mov_b32 s26, exec_lo
	v_cmpx_gt_u32_e32 8, v84
; %bb.2732:                             ;   in Loop: Header=BB302_2086 Depth=1
	s_delay_alu instid0(VALU_DEP_2) | instskip(NEXT) | instid1(VALU_DEP_1)
	v_clz_i32_u32_e32 v6, v71
	v_min_u32_e32 v64, 32, v6
	s_delay_alu instid0(VALU_DEP_1) | instskip(NEXT) | instid1(VALU_DEP_1)
	v_subrev_nc_u32_e32 v6, 28, v64
	v_lshlrev_b64_e32 v[6:7], v6, v[54:55]
	s_delay_alu instid0(VALU_DEP_1)
	v_dual_sub_nc_u32 v83, 29, v64 :: v_dual_bitop2_b32 v71, 7, v6 bitop3:0x40
; %bb.2733:                             ;   in Loop: Header=BB302_2086 Depth=1
	s_or_b32 exec_lo, exec_lo, s26
	s_delay_alu instid0(VALU_DEP_1) | instskip(NEXT) | instid1(VALU_DEP_2)
	v_dual_lshlrev_b32 v6, 8, v54 :: v_dual_lshlrev_b32 v54, 7, v71
	v_lshl_add_u32 v7, v83, 10, 0x2000
	s_delay_alu instid0(VALU_DEP_2) | instskip(NEXT) | instid1(VALU_DEP_2)
	v_and_b32_e32 v6, 0x8000, v6
	v_and_b32_e32 v7, 0xfc00, v7
	s_delay_alu instid0(VALU_DEP_1)
	v_or3_b32 v71, v6, v7, v54
.LBB302_2734:                           ;   in Loop: Header=BB302_2086 Depth=1
	s_or_b32 exec_lo, exec_lo, s25
.LBB302_2735:                           ;   in Loop: Header=BB302_2086 Depth=1
	s_delay_alu instid0(SALU_CYCLE_1)
	s_or_b32 exec_lo, exec_lo, s24
.LBB302_2736:                           ;   in Loop: Header=BB302_2086 Depth=1
	s_delay_alu instid0(SALU_CYCLE_1)
	s_or_b32 exec_lo, exec_lo, s23
	v_cmp_lt_u64_e64 s8, s[16:17], v[80:81]
	v_mov_b32_e32 v80, 0
	s_and_saveexec_b32 s23, s8
	s_cbranch_execz .LBB302_2744
; %bb.2737:                             ;   in Loop: Header=BB302_2086 Depth=1
	v_lshrrev_b32_e32 v54, 24, v81
	v_bfrev_b32_e32 v80, 1
	s_mov_b32 s24, exec_lo
	s_delay_alu instid0(VALU_DEP_2)
	v_cmpx_ne_u32_e32 0x80, v54
	s_cbranch_execz .LBB302_2743
; %bb.2738:                             ;   in Loop: Header=BB302_2086 Depth=1
	v_and_b32_e32 v83, 0x7f, v54
	v_mov_b32_e32 v80, 0x7c010000
	s_mov_b32 s25, exec_lo
	s_delay_alu instid0(VALU_DEP_2)
	v_cmpx_ne_u32_e32 0x7f, v83
	s_cbranch_execz .LBB302_2742
; %bb.2739:                             ;   in Loop: Header=BB302_2086 Depth=1
	v_dual_lshrrev_b32 v81, 3, v83 :: v_dual_bitop2_b32 v80, 7, v54 bitop3:0x40
	s_mov_b32 s26, exec_lo
	v_cmpx_gt_u32_e32 8, v83
; %bb.2740:                             ;   in Loop: Header=BB302_2086 Depth=1
	s_delay_alu instid0(VALU_DEP_2) | instskip(NEXT) | instid1(VALU_DEP_1)
	v_clz_i32_u32_e32 v6, v80
	v_min_u32_e32 v64, 32, v6
	s_delay_alu instid0(VALU_DEP_1) | instskip(NEXT) | instid1(VALU_DEP_1)
	v_subrev_nc_u32_e32 v6, 28, v64
	v_lshlrev_b64_e32 v[6:7], v6, v[54:55]
	s_delay_alu instid0(VALU_DEP_1)
	v_dual_sub_nc_u32 v81, 29, v64 :: v_dual_bitop2_b32 v80, 7, v6 bitop3:0x40
; %bb.2741:                             ;   in Loop: Header=BB302_2086 Depth=1
	s_or_b32 exec_lo, exec_lo, s26
	v_lshlrev_b32_e32 v6, 8, v54
	s_delay_alu instid0(VALU_DEP_2) | instskip(NEXT) | instid1(VALU_DEP_1)
	v_lshl_add_u32 v7, v81, 10, 0x2000
	v_and_or_b32 v6, 0x8000, v6, v7
	v_lshlrev_b32_e32 v7, 23, v80
	s_delay_alu instid0(VALU_DEP_1)
	v_lshl_or_b32 v80, v6, 16, v7
.LBB302_2742:                           ;   in Loop: Header=BB302_2086 Depth=1
	s_or_b32 exec_lo, exec_lo, s25
.LBB302_2743:                           ;   in Loop: Header=BB302_2086 Depth=1
	s_delay_alu instid0(SALU_CYCLE_1)
	s_or_b32 exec_lo, exec_lo, s24
.LBB302_2744:                           ;   in Loop: Header=BB302_2086 Depth=1
	s_delay_alu instid0(SALU_CYCLE_1) | instskip(SKIP_3) | instid1(VALU_DEP_3)
	s_or_b32 exec_lo, exec_lo, s23
	v_dual_lshrrev_b32 v6, 16, v0 :: v_dual_bitop2_b32 v54, v0, v1 bitop3:0x54
	v_dual_lshrrev_b32 v7, 16, v12 :: v_dual_bitop2_b32 v12, v12, v18 bitop3:0x54
	;; [unrolled: 1-line block ×3, first 2 shown]
	v_cvt_f32_f16_e32 v1, v6
	s_delay_alu instid0(VALU_DEP_3)
	v_cvt_f32_f16_e32 v0, v7
	v_lshrrev_b32_e32 v65, 16, v80
	v_cvt_f32_f16_e32 v6, v12
	v_or_b32_e32 v12, v82, v19
	v_cvt_f32_f16_e32 v7, v54
	s_wait_loadcnt_dscnt 0x0
	v_pk_mul_f32 v[0:1], v[70:71], v[0:1] op_sel_hi:[0,1]
	v_cvt_f32_f16_e32 v19, v18
	v_cvt_f32_f16_e32 v18, v65
	;; [unrolled: 1-line block ×4, first 2 shown]
	v_pk_mul_f32 v[6:7], v[70:71], v[6:7] op_sel_hi:[0,1]
	v_cvt_pk_f16_f32 v12, v0, v1
	v_pk_mul_f32 v[0:1], v[70:71], v[18:19] op_sel_hi:[0,1]
	s_delay_alu instid0(VALU_DEP_4) | instskip(NEXT) | instid1(VALU_DEP_4)
	v_pk_mul_f32 v[18:19], v[70:71], v[64:65] op_sel_hi:[0,1]
	v_cvt_pk_f16_f32 v6, v6, v7
	s_delay_alu instid0(VALU_DEP_4) | instskip(NEXT) | instid1(VALU_DEP_4)
	v_and_b32_e32 v71, 0xffff0000, v12
	v_cvt_pk_f16_f32 v0, v0, v1
	v_lshlrev_b32_e32 v82, 16, v12
	v_cvt_pk_f16_f32 v1, v18, v19
	v_lshrrev_b32_e32 v87, 16, v6
	v_and_b32_e32 v86, 0xffff, v6
	v_and_b32_e32 v19, 0xffff0000, v0
	s_delay_alu instid0(VALU_DEP_4) | instskip(SKIP_3) | instid1(VALU_DEP_4)
	v_dual_lshlrev_b32 v54, 16, v0 :: v_dual_lshrrev_b32 v85, 16, v1
	v_and_b32_e32 v84, 0xffff, v1
	v_or_b32_e32 v83, v71, v87
	v_or_b32_e32 v80, v82, v86
	;; [unrolled: 1-line block ×3, first 2 shown]
	s_delay_alu instid0(VALU_DEP_4)
	v_or_b32_e32 v70, v54, v84
	s_and_saveexec_b32 s8, s3
	s_cbranch_execz .LBB302_2746
; %bb.2745:                             ;   in Loop: Header=BB302_2086 Depth=1
	v_dual_cndmask_b32 v0, 0, v87, vcc_lo :: v_dual_cndmask_b32 v1, 0, v86, s0
	v_dual_cndmask_b32 v6, 0, v71, s1 :: v_dual_cndmask_b32 v7, 0, v82, s2
	v_dual_cndmask_b32 v12, 0, v85, s4 :: v_dual_cndmask_b32 v18, 0, v84, s5
	;; [unrolled: 1-line block ×3, first 2 shown]
	s_delay_alu instid0(VALU_DEP_3) | instskip(NEXT) | instid1(VALU_DEP_4)
	v_or_b32_e32 v83, v0, v6
	v_or_b32_e32 v80, v1, v7
	s_delay_alu instid0(VALU_DEP_3) | instskip(NEXT) | instid1(VALU_DEP_4)
	v_or_b32_e32 v81, v12, v19
	v_or_b32_e32 v70, v18, v54
.LBB302_2746:                           ;   in Loop: Header=BB302_2086 Depth=1
	s_or_b32 exec_lo, exec_lo, s8
	;;#ASMSTART
	v_pk_mul_f16 v0, v112, v83;

	;;#ASMEND
	;;#ASMSTART
	v_pk_mul_f16 v1, v103, v80;

	;;#ASMEND
	;; [unrolled: 4-line block ×4, first 2 shown]
	;;#ASMSTART
	v_pk_add_f16 v0, v0, v1;

	;;#ASMEND
	;;#ASMSTART
	v_pk_add_f16 v0, v0, v6;

	;;#ASMEND
	;; [unrolled: 4-line block ×3, first 2 shown]
	v_and_b32_e32 v1, 0xffff, v0
	v_lshrrev_b32_e32 v0, 16, v0
	;;#ASMSTART
	v_cvt_f32_f16 v59, v1;
	;;#ASMEND
	v_mov_b32_e32 v1, 0
	;;#ASMSTART
	v_cvt_f32_f16 v60, v0;
	;;#ASMEND
	flat_load_b64 v[80:81], v[68:69] offset:2560
	flat_load_b32 v70, v[22:23]
	v_mov_b32_e32 v0, 0
	s_mov_b32 s23, exec_lo
	s_wait_loadcnt_dscnt 0x101
	v_and_b32_e32 v12, 0xff, v80
	s_wait_xcnt 0x0
	s_delay_alu instid0(VALU_DEP_1)
	v_cmpx_ne_u16_e32 0, v12
	s_cbranch_execz .LBB302_2754
; %bb.2747:                             ;   in Loop: Header=BB302_2086 Depth=1
	v_mov_b32_e32 v1, 0x8000
	s_mov_b32 s24, exec_lo
	v_cmpx_ne_u16_e32 0x80, v12
	s_cbranch_execz .LBB302_2753
; %bb.2748:                             ;   in Loop: Header=BB302_2086 Depth=1
	v_and_b32_e32 v18, 0x7f, v80
	v_mov_b32_e32 v1, 0x7c01
	s_mov_b32 s25, exec_lo
	s_delay_alu instid0(VALU_DEP_2)
	v_cmpx_ne_u32_e32 0x7f, v18
	s_cbranch_execz .LBB302_2752
; %bb.2749:                             ;   in Loop: Header=BB302_2086 Depth=1
	v_dual_lshrrev_b32 v12, 3, v18 :: v_dual_bitop2_b32 v1, 7, v80 bitop3:0x40
	s_mov_b32 s26, exec_lo
	v_cmpx_gt_u32_e32 8, v18
; %bb.2750:                             ;   in Loop: Header=BB302_2086 Depth=1
	s_delay_alu instid0(VALU_DEP_2) | instskip(NEXT) | instid1(VALU_DEP_1)
	v_clz_i32_u32_e32 v1, v1
	v_min_u32_e32 v1, 32, v1
	s_delay_alu instid0(VALU_DEP_1) | instskip(NEXT) | instid1(VALU_DEP_1)
	v_subrev_nc_u32_e32 v6, 28, v1
	v_lshlrev_b64_e32 v[6:7], v6, v[80:81]
	s_delay_alu instid0(VALU_DEP_1)
	v_dual_sub_nc_u32 v12, 29, v1 :: v_dual_bitop2_b32 v1, 7, v6 bitop3:0x40
; %bb.2751:                             ;   in Loop: Header=BB302_2086 Depth=1
	s_or_b32 exec_lo, exec_lo, s26
	s_delay_alu instid0(VALU_DEP_1) | instskip(NEXT) | instid1(VALU_DEP_2)
	v_dual_lshlrev_b32 v6, 8, v80 :: v_dual_lshlrev_b32 v1, 7, v1
	v_lshl_add_u32 v7, v12, 10, 0x2000
	s_delay_alu instid0(VALU_DEP_2) | instskip(NEXT) | instid1(VALU_DEP_2)
	v_and_b32_e32 v6, 0x8000, v6
	v_and_b32_e32 v7, 0xfc00, v7
	s_delay_alu instid0(VALU_DEP_1)
	v_or3_b32 v1, v6, v7, v1
.LBB302_2752:                           ;   in Loop: Header=BB302_2086 Depth=1
	s_or_b32 exec_lo, exec_lo, s25
.LBB302_2753:                           ;   in Loop: Header=BB302_2086 Depth=1
	s_delay_alu instid0(SALU_CYCLE_1)
	s_or_b32 exec_lo, exec_lo, s24
.LBB302_2754:                           ;   in Loop: Header=BB302_2086 Depth=1
	s_delay_alu instid0(SALU_CYCLE_1) | instskip(SKIP_2) | instid1(VALU_DEP_1)
	s_or_b32 exec_lo, exec_lo, s23
	v_lshrrev_b16 v54, 8, v80
	s_mov_b32 s23, exec_lo
	v_cmpx_ne_u16_e32 0, v54
	s_cbranch_execz .LBB302_2762
; %bb.2755:                             ;   in Loop: Header=BB302_2086 Depth=1
	v_bfrev_b32_e32 v0, 1
	s_mov_b32 s24, exec_lo
	v_cmpx_ne_u16_e32 0x80, v54
	s_cbranch_execz .LBB302_2761
; %bb.2756:                             ;   in Loop: Header=BB302_2086 Depth=1
	v_and_b32_e32 v12, 0xffff, v54
	v_mov_b32_e32 v0, 0x7c010000
	s_mov_b32 s25, exec_lo
	s_delay_alu instid0(VALU_DEP_2) | instskip(NEXT) | instid1(VALU_DEP_1)
	v_and_b32_e32 v19, 0x7f, v12
	v_cmpx_ne_u32_e32 0x7f, v19
	s_cbranch_execz .LBB302_2760
; %bb.2757:                             ;   in Loop: Header=BB302_2086 Depth=1
	v_dual_lshrrev_b32 v18, 3, v19 :: v_dual_bitop2_b32 v0, 7, v12 bitop3:0x40
	s_mov_b32 s26, exec_lo
	v_cmpx_gt_u32_e32 8, v19
; %bb.2758:                             ;   in Loop: Header=BB302_2086 Depth=1
	s_delay_alu instid0(VALU_DEP_2) | instskip(NEXT) | instid1(VALU_DEP_1)
	v_clz_i32_u32_e32 v0, v0
	v_min_u32_e32 v0, 32, v0
	s_delay_alu instid0(VALU_DEP_1) | instskip(NEXT) | instid1(VALU_DEP_1)
	v_subrev_nc_u32_e32 v6, 28, v0
	v_lshlrev_b64_e32 v[6:7], v6, v[54:55]
	s_delay_alu instid0(VALU_DEP_1)
	v_dual_sub_nc_u32 v18, 29, v0 :: v_dual_bitop2_b32 v0, 7, v6 bitop3:0x40
; %bb.2759:                             ;   in Loop: Header=BB302_2086 Depth=1
	s_or_b32 exec_lo, exec_lo, s26
	v_lshlrev_b32_e32 v6, 8, v12
	s_delay_alu instid0(VALU_DEP_2) | instskip(NEXT) | instid1(VALU_DEP_3)
	v_lshl_add_u32 v7, v18, 10, 0x2000
	v_lshlrev_b32_e32 v0, 23, v0
	s_delay_alu instid0(VALU_DEP_2) | instskip(NEXT) | instid1(VALU_DEP_1)
	v_and_or_b32 v6, 0x8000, v6, v7
	v_lshl_or_b32 v0, v6, 16, v0
.LBB302_2760:                           ;   in Loop: Header=BB302_2086 Depth=1
	s_or_b32 exec_lo, exec_lo, s25
.LBB302_2761:                           ;   in Loop: Header=BB302_2086 Depth=1
	s_delay_alu instid0(SALU_CYCLE_1)
	s_or_b32 exec_lo, exec_lo, s24
.LBB302_2762:                           ;   in Loop: Header=BB302_2086 Depth=1
	s_delay_alu instid0(SALU_CYCLE_1) | instskip(SKIP_3) | instid1(VALU_DEP_2)
	s_or_b32 exec_lo, exec_lo, s23
	v_dual_lshrrev_b32 v54, 16, v80 :: v_dual_mov_b32 v12, 0
	v_mov_b32_e32 v18, 0
	s_mov_b32 s23, exec_lo
	v_and_b32_e32 v19, 0xff, v54
	s_delay_alu instid0(VALU_DEP_1)
	v_cmpx_ne_u16_e32 0, v19
	s_cbranch_execz .LBB302_2770
; %bb.2763:                             ;   in Loop: Header=BB302_2086 Depth=1
	v_mov_b32_e32 v18, 0x8000
	s_mov_b32 s24, exec_lo
	v_cmpx_ne_u16_e32 0x80, v19
	s_cbranch_execz .LBB302_2769
; %bb.2764:                             ;   in Loop: Header=BB302_2086 Depth=1
	v_bfe_u32 v71, v80, 16, 7
	v_mov_b32_e32 v18, 0x7c01
	s_mov_b32 s25, exec_lo
	s_delay_alu instid0(VALU_DEP_2)
	v_cmpx_ne_u32_e32 0x7f, v71
	s_cbranch_execz .LBB302_2768
; %bb.2765:                             ;   in Loop: Header=BB302_2086 Depth=1
	v_dual_lshrrev_b32 v19, 3, v71 :: v_dual_bitop2_b32 v18, 7, v54 bitop3:0x40
	s_mov_b32 s26, exec_lo
	v_cmpx_gt_u32_e32 8, v71
; %bb.2766:                             ;   in Loop: Header=BB302_2086 Depth=1
	s_delay_alu instid0(VALU_DEP_2) | instskip(NEXT) | instid1(VALU_DEP_1)
	v_clz_i32_u32_e32 v6, v18
	v_min_u32_e32 v18, 32, v6
	s_delay_alu instid0(VALU_DEP_1) | instskip(SKIP_1) | instid1(VALU_DEP_2)
	v_subrev_nc_u32_e32 v6, 28, v18
	v_sub_nc_u32_e32 v19, 29, v18
	v_lshlrev_b64_e32 v[6:7], v6, v[54:55]
	s_delay_alu instid0(VALU_DEP_1)
	v_and_b32_e32 v18, 7, v6
; %bb.2767:                             ;   in Loop: Header=BB302_2086 Depth=1
	s_or_b32 exec_lo, exec_lo, s26
	v_lshlrev_b32_e32 v6, 8, v54
	v_lshl_add_u32 v7, v19, 10, 0x2000
	s_delay_alu instid0(VALU_DEP_3) | instskip(NEXT) | instid1(VALU_DEP_3)
	v_lshlrev_b32_e32 v18, 7, v18
	v_and_b32_e32 v6, 0x8000, v6
	s_delay_alu instid0(VALU_DEP_3) | instskip(NEXT) | instid1(VALU_DEP_1)
	v_and_b32_e32 v7, 0xfc00, v7
	v_or3_b32 v18, v6, v7, v18
.LBB302_2768:                           ;   in Loop: Header=BB302_2086 Depth=1
	s_or_b32 exec_lo, exec_lo, s25
.LBB302_2769:                           ;   in Loop: Header=BB302_2086 Depth=1
	s_delay_alu instid0(SALU_CYCLE_1)
	s_or_b32 exec_lo, exec_lo, s24
.LBB302_2770:                           ;   in Loop: Header=BB302_2086 Depth=1
	s_delay_alu instid0(SALU_CYCLE_1) | instskip(NEXT) | instid1(SALU_CYCLE_1)
	s_or_b32 exec_lo, exec_lo, s23
	s_mov_b32 s23, exec_lo
	v_cmpx_lt_u32_e32 0xffffff, v80
	s_cbranch_execz .LBB302_2778
; %bb.2771:                             ;   in Loop: Header=BB302_2086 Depth=1
	v_lshrrev_b32_e32 v54, 24, v80
	v_bfrev_b32_e32 v12, 1
	s_mov_b32 s24, exec_lo
	s_delay_alu instid0(VALU_DEP_2)
	v_cmpx_ne_u32_e32 0x80, v54
	s_cbranch_execz .LBB302_2777
; %bb.2772:                             ;   in Loop: Header=BB302_2086 Depth=1
	v_and_b32_e32 v71, 0x7f, v54
	v_mov_b32_e32 v12, 0x7c010000
	s_mov_b32 s25, exec_lo
	s_delay_alu instid0(VALU_DEP_2)
	v_cmpx_ne_u32_e32 0x7f, v71
	s_cbranch_execz .LBB302_2776
; %bb.2773:                             ;   in Loop: Header=BB302_2086 Depth=1
	v_dual_lshrrev_b32 v19, 3, v71 :: v_dual_bitop2_b32 v12, 7, v54 bitop3:0x40
	s_mov_b32 s26, exec_lo
	v_cmpx_gt_u32_e32 8, v71
; %bb.2774:                             ;   in Loop: Header=BB302_2086 Depth=1
	s_delay_alu instid0(VALU_DEP_2) | instskip(NEXT) | instid1(VALU_DEP_1)
	v_clz_i32_u32_e32 v6, v12
	v_min_u32_e32 v12, 32, v6
	s_delay_alu instid0(VALU_DEP_1) | instskip(NEXT) | instid1(VALU_DEP_1)
	v_subrev_nc_u32_e32 v6, 28, v12
	v_lshlrev_b64_e32 v[6:7], v6, v[54:55]
	s_delay_alu instid0(VALU_DEP_1)
	v_dual_sub_nc_u32 v19, 29, v12 :: v_dual_bitop2_b32 v12, 7, v6 bitop3:0x40
; %bb.2775:                             ;   in Loop: Header=BB302_2086 Depth=1
	s_or_b32 exec_lo, exec_lo, s26
	v_lshlrev_b32_e32 v6, 8, v54
	s_delay_alu instid0(VALU_DEP_2) | instskip(NEXT) | instid1(VALU_DEP_1)
	v_lshl_add_u32 v7, v19, 10, 0x2000
	v_and_or_b32 v6, 0x8000, v6, v7
	v_lshlrev_b32_e32 v7, 23, v12
	s_delay_alu instid0(VALU_DEP_1)
	v_lshl_or_b32 v12, v6, 16, v7
.LBB302_2776:                           ;   in Loop: Header=BB302_2086 Depth=1
	s_or_b32 exec_lo, exec_lo, s25
.LBB302_2777:                           ;   in Loop: Header=BB302_2086 Depth=1
	s_delay_alu instid0(SALU_CYCLE_1)
	s_or_b32 exec_lo, exec_lo, s24
.LBB302_2778:                           ;   in Loop: Header=BB302_2086 Depth=1
	s_delay_alu instid0(SALU_CYCLE_1) | instskip(SKIP_4) | instid1(VALU_DEP_3)
	s_or_b32 exec_lo, exec_lo, s23
	v_and_b32_e32 v82, 0xff, v81
	v_dual_mov_b32 v54, v81 :: v_dual_mov_b32 v71, 0
	v_mov_b32_e32 v19, 0
	s_mov_b32 s23, exec_lo
	v_cmpx_ne_u16_e32 0, v82
	s_cbranch_execz .LBB302_2786
; %bb.2779:                             ;   in Loop: Header=BB302_2086 Depth=1
	v_mov_b32_e32 v19, 0x8000
	s_mov_b32 s24, exec_lo
	v_cmpx_ne_u16_e32 0x80, v82
	s_cbranch_execz .LBB302_2785
; %bb.2780:                             ;   in Loop: Header=BB302_2086 Depth=1
	v_and_b32_e32 v83, 0x7f, v81
	v_mov_b32_e32 v19, 0x7c01
	s_mov_b32 s25, exec_lo
	s_delay_alu instid0(VALU_DEP_2)
	v_cmpx_ne_u32_e32 0x7f, v83
	s_cbranch_execz .LBB302_2784
; %bb.2781:                             ;   in Loop: Header=BB302_2086 Depth=1
	v_dual_lshrrev_b32 v82, 3, v83 :: v_dual_bitop2_b32 v19, 7, v81 bitop3:0x40
	s_mov_b32 s26, exec_lo
	v_cmpx_gt_u32_e32 8, v83
; %bb.2782:                             ;   in Loop: Header=BB302_2086 Depth=1
	s_delay_alu instid0(VALU_DEP_2) | instskip(NEXT) | instid1(VALU_DEP_1)
	v_clz_i32_u32_e32 v6, v19
	v_min_u32_e32 v19, 32, v6
	s_delay_alu instid0(VALU_DEP_1) | instskip(NEXT) | instid1(VALU_DEP_1)
	v_subrev_nc_u32_e32 v6, 28, v19
	v_lshlrev_b64_e32 v[6:7], v6, v[54:55]
	s_delay_alu instid0(VALU_DEP_1)
	v_dual_sub_nc_u32 v82, 29, v19 :: v_dual_bitop2_b32 v19, 7, v6 bitop3:0x40
; %bb.2783:                             ;   in Loop: Header=BB302_2086 Depth=1
	s_or_b32 exec_lo, exec_lo, s26
	s_delay_alu instid0(VALU_DEP_1) | instskip(NEXT) | instid1(VALU_DEP_2)
	v_dual_lshlrev_b32 v6, 8, v81 :: v_dual_lshlrev_b32 v19, 7, v19
	v_lshl_add_u32 v7, v82, 10, 0x2000
	s_delay_alu instid0(VALU_DEP_2) | instskip(NEXT) | instid1(VALU_DEP_2)
	v_and_b32_e32 v6, 0x8000, v6
	v_and_b32_e32 v7, 0xfc00, v7
	s_delay_alu instid0(VALU_DEP_1)
	v_or3_b32 v19, v6, v7, v19
.LBB302_2784:                           ;   in Loop: Header=BB302_2086 Depth=1
	s_or_b32 exec_lo, exec_lo, s25
.LBB302_2785:                           ;   in Loop: Header=BB302_2086 Depth=1
	s_delay_alu instid0(SALU_CYCLE_1)
	s_or_b32 exec_lo, exec_lo, s24
.LBB302_2786:                           ;   in Loop: Header=BB302_2086 Depth=1
	s_delay_alu instid0(SALU_CYCLE_1) | instskip(SKIP_3) | instid1(VALU_DEP_2)
	s_or_b32 exec_lo, exec_lo, s23
	v_lshrrev_b16 v54, 8, v54
	v_mov_b32_e32 v82, 0
	s_mov_b32 s23, exec_lo
	v_cmpx_ne_u16_e32 0, v54
	s_cbranch_execz .LBB302_2794
; %bb.2787:                             ;   in Loop: Header=BB302_2086 Depth=1
	v_bfrev_b32_e32 v82, 1
	s_mov_b32 s24, exec_lo
	v_cmpx_ne_u16_e32 0x80, v54
	s_cbranch_execz .LBB302_2793
; %bb.2788:                             ;   in Loop: Header=BB302_2086 Depth=1
	v_and_b32_e32 v83, 0xffff, v54
	v_mov_b32_e32 v82, 0x7c010000
	s_mov_b32 s25, exec_lo
	s_delay_alu instid0(VALU_DEP_2) | instskip(NEXT) | instid1(VALU_DEP_1)
	v_and_b32_e32 v85, 0x7f, v83
	v_cmpx_ne_u32_e32 0x7f, v85
	s_cbranch_execz .LBB302_2792
; %bb.2789:                             ;   in Loop: Header=BB302_2086 Depth=1
	v_dual_lshrrev_b32 v84, 3, v85 :: v_dual_bitop2_b32 v82, 7, v83 bitop3:0x40
	s_mov_b32 s26, exec_lo
	v_cmpx_gt_u32_e32 8, v85
; %bb.2790:                             ;   in Loop: Header=BB302_2086 Depth=1
	s_delay_alu instid0(VALU_DEP_2) | instskip(NEXT) | instid1(VALU_DEP_1)
	v_clz_i32_u32_e32 v6, v82
	v_min_u32_e32 v64, 32, v6
	s_delay_alu instid0(VALU_DEP_1) | instskip(NEXT) | instid1(VALU_DEP_1)
	v_subrev_nc_u32_e32 v6, 28, v64
	v_lshlrev_b64_e32 v[6:7], v6, v[54:55]
	s_delay_alu instid0(VALU_DEP_1)
	v_dual_sub_nc_u32 v84, 29, v64 :: v_dual_bitop2_b32 v82, 7, v6 bitop3:0x40
; %bb.2791:                             ;   in Loop: Header=BB302_2086 Depth=1
	s_or_b32 exec_lo, exec_lo, s26
	v_lshlrev_b32_e32 v6, 8, v83
	s_delay_alu instid0(VALU_DEP_2) | instskip(NEXT) | instid1(VALU_DEP_1)
	v_lshl_add_u32 v7, v84, 10, 0x2000
	v_and_or_b32 v6, 0x8000, v6, v7
	v_lshlrev_b32_e32 v7, 23, v82
	s_delay_alu instid0(VALU_DEP_1)
	v_lshl_or_b32 v82, v6, 16, v7
.LBB302_2792:                           ;   in Loop: Header=BB302_2086 Depth=1
	s_or_b32 exec_lo, exec_lo, s25
.LBB302_2793:                           ;   in Loop: Header=BB302_2086 Depth=1
	s_delay_alu instid0(SALU_CYCLE_1)
	s_or_b32 exec_lo, exec_lo, s24
.LBB302_2794:                           ;   in Loop: Header=BB302_2086 Depth=1
	s_delay_alu instid0(SALU_CYCLE_1) | instskip(SKIP_2) | instid1(VALU_DEP_1)
	s_or_b32 exec_lo, exec_lo, s23
	v_lshrrev_b32_e32 v54, 16, v81
	s_mov_b32 s23, exec_lo
	v_and_b32_e32 v83, 0xff, v54
	s_delay_alu instid0(VALU_DEP_1)
	v_cmpx_ne_u16_e32 0, v83
	s_cbranch_execz .LBB302_2802
; %bb.2795:                             ;   in Loop: Header=BB302_2086 Depth=1
	v_mov_b32_e32 v71, 0x8000
	s_mov_b32 s24, exec_lo
	v_cmpx_ne_u16_e32 0x80, v83
	s_cbranch_execz .LBB302_2801
; %bb.2796:                             ;   in Loop: Header=BB302_2086 Depth=1
	v_bfe_u32 v84, v81, 16, 7
	v_mov_b32_e32 v71, 0x7c01
	s_mov_b32 s25, exec_lo
	s_delay_alu instid0(VALU_DEP_2)
	v_cmpx_ne_u32_e32 0x7f, v84
	s_cbranch_execz .LBB302_2800
; %bb.2797:                             ;   in Loop: Header=BB302_2086 Depth=1
	v_dual_lshrrev_b32 v83, 3, v84 :: v_dual_bitop2_b32 v71, 7, v54 bitop3:0x40
	s_mov_b32 s26, exec_lo
	v_cmpx_gt_u32_e32 8, v84
; %bb.2798:                             ;   in Loop: Header=BB302_2086 Depth=1
	s_delay_alu instid0(VALU_DEP_2) | instskip(NEXT) | instid1(VALU_DEP_1)
	v_clz_i32_u32_e32 v6, v71
	v_min_u32_e32 v64, 32, v6
	s_delay_alu instid0(VALU_DEP_1) | instskip(NEXT) | instid1(VALU_DEP_1)
	v_subrev_nc_u32_e32 v6, 28, v64
	v_lshlrev_b64_e32 v[6:7], v6, v[54:55]
	s_delay_alu instid0(VALU_DEP_1)
	v_dual_sub_nc_u32 v83, 29, v64 :: v_dual_bitop2_b32 v71, 7, v6 bitop3:0x40
; %bb.2799:                             ;   in Loop: Header=BB302_2086 Depth=1
	s_or_b32 exec_lo, exec_lo, s26
	s_delay_alu instid0(VALU_DEP_1) | instskip(NEXT) | instid1(VALU_DEP_2)
	v_dual_lshlrev_b32 v6, 8, v54 :: v_dual_lshlrev_b32 v54, 7, v71
	v_lshl_add_u32 v7, v83, 10, 0x2000
	s_delay_alu instid0(VALU_DEP_2) | instskip(NEXT) | instid1(VALU_DEP_2)
	v_and_b32_e32 v6, 0x8000, v6
	v_and_b32_e32 v7, 0xfc00, v7
	s_delay_alu instid0(VALU_DEP_1)
	v_or3_b32 v71, v6, v7, v54
.LBB302_2800:                           ;   in Loop: Header=BB302_2086 Depth=1
	s_or_b32 exec_lo, exec_lo, s25
.LBB302_2801:                           ;   in Loop: Header=BB302_2086 Depth=1
	s_delay_alu instid0(SALU_CYCLE_1)
	s_or_b32 exec_lo, exec_lo, s24
.LBB302_2802:                           ;   in Loop: Header=BB302_2086 Depth=1
	s_delay_alu instid0(SALU_CYCLE_1)
	s_or_b32 exec_lo, exec_lo, s23
	v_cmp_lt_u64_e64 s8, s[16:17], v[80:81]
	v_mov_b32_e32 v80, 0
	s_and_saveexec_b32 s23, s8
	s_cbranch_execz .LBB302_2810
; %bb.2803:                             ;   in Loop: Header=BB302_2086 Depth=1
	v_lshrrev_b32_e32 v54, 24, v81
	v_bfrev_b32_e32 v80, 1
	s_mov_b32 s24, exec_lo
	s_delay_alu instid0(VALU_DEP_2)
	v_cmpx_ne_u32_e32 0x80, v54
	s_cbranch_execz .LBB302_2809
; %bb.2804:                             ;   in Loop: Header=BB302_2086 Depth=1
	v_and_b32_e32 v83, 0x7f, v54
	v_mov_b32_e32 v80, 0x7c010000
	s_mov_b32 s25, exec_lo
	s_delay_alu instid0(VALU_DEP_2)
	v_cmpx_ne_u32_e32 0x7f, v83
	s_cbranch_execz .LBB302_2808
; %bb.2805:                             ;   in Loop: Header=BB302_2086 Depth=1
	v_dual_lshrrev_b32 v81, 3, v83 :: v_dual_bitop2_b32 v80, 7, v54 bitop3:0x40
	s_mov_b32 s26, exec_lo
	v_cmpx_gt_u32_e32 8, v83
; %bb.2806:                             ;   in Loop: Header=BB302_2086 Depth=1
	s_delay_alu instid0(VALU_DEP_2) | instskip(NEXT) | instid1(VALU_DEP_1)
	v_clz_i32_u32_e32 v6, v80
	v_min_u32_e32 v64, 32, v6
	s_delay_alu instid0(VALU_DEP_1) | instskip(NEXT) | instid1(VALU_DEP_1)
	v_subrev_nc_u32_e32 v6, 28, v64
	v_lshlrev_b64_e32 v[6:7], v6, v[54:55]
	s_delay_alu instid0(VALU_DEP_1)
	v_dual_sub_nc_u32 v81, 29, v64 :: v_dual_bitop2_b32 v80, 7, v6 bitop3:0x40
; %bb.2807:                             ;   in Loop: Header=BB302_2086 Depth=1
	s_or_b32 exec_lo, exec_lo, s26
	v_lshlrev_b32_e32 v6, 8, v54
	s_delay_alu instid0(VALU_DEP_2) | instskip(NEXT) | instid1(VALU_DEP_1)
	v_lshl_add_u32 v7, v81, 10, 0x2000
	v_and_or_b32 v6, 0x8000, v6, v7
	v_lshlrev_b32_e32 v7, 23, v80
	s_delay_alu instid0(VALU_DEP_1)
	v_lshl_or_b32 v80, v6, 16, v7
.LBB302_2808:                           ;   in Loop: Header=BB302_2086 Depth=1
	s_or_b32 exec_lo, exec_lo, s25
.LBB302_2809:                           ;   in Loop: Header=BB302_2086 Depth=1
	s_delay_alu instid0(SALU_CYCLE_1)
	s_or_b32 exec_lo, exec_lo, s24
.LBB302_2810:                           ;   in Loop: Header=BB302_2086 Depth=1
	s_delay_alu instid0(SALU_CYCLE_1) | instskip(SKIP_3) | instid1(VALU_DEP_3)
	s_or_b32 exec_lo, exec_lo, s23
	v_dual_lshrrev_b32 v6, 16, v0 :: v_dual_bitop2_b32 v54, v0, v1 bitop3:0x54
	v_dual_lshrrev_b32 v7, 16, v12 :: v_dual_bitop2_b32 v12, v12, v18 bitop3:0x54
	;; [unrolled: 1-line block ×3, first 2 shown]
	v_cvt_f32_f16_e32 v1, v6
	s_delay_alu instid0(VALU_DEP_3)
	v_cvt_f32_f16_e32 v0, v7
	v_lshrrev_b32_e32 v65, 16, v80
	v_cvt_f32_f16_e32 v6, v12
	v_or_b32_e32 v12, v82, v19
	v_cvt_f32_f16_e32 v7, v54
	s_wait_loadcnt_dscnt 0x0
	v_pk_mul_f32 v[0:1], v[70:71], v[0:1] op_sel_hi:[0,1]
	v_cvt_f32_f16_e32 v19, v18
	v_cvt_f32_f16_e32 v18, v65
	;; [unrolled: 1-line block ×4, first 2 shown]
	v_pk_mul_f32 v[6:7], v[70:71], v[6:7] op_sel_hi:[0,1]
	v_cvt_pk_f16_f32 v12, v0, v1
	v_pk_mul_f32 v[0:1], v[70:71], v[18:19] op_sel_hi:[0,1]
	s_delay_alu instid0(VALU_DEP_4) | instskip(NEXT) | instid1(VALU_DEP_4)
	v_pk_mul_f32 v[18:19], v[70:71], v[64:65] op_sel_hi:[0,1]
	v_cvt_pk_f16_f32 v6, v6, v7
	s_delay_alu instid0(VALU_DEP_4) | instskip(NEXT) | instid1(VALU_DEP_4)
	v_and_b32_e32 v71, 0xffff0000, v12
	v_cvt_pk_f16_f32 v0, v0, v1
	v_lshlrev_b32_e32 v82, 16, v12
	v_cvt_pk_f16_f32 v1, v18, v19
	v_lshrrev_b32_e32 v87, 16, v6
	v_and_b32_e32 v86, 0xffff, v6
	v_and_b32_e32 v19, 0xffff0000, v0
	s_delay_alu instid0(VALU_DEP_4) | instskip(SKIP_3) | instid1(VALU_DEP_4)
	v_dual_lshlrev_b32 v54, 16, v0 :: v_dual_lshrrev_b32 v85, 16, v1
	v_and_b32_e32 v84, 0xffff, v1
	v_or_b32_e32 v83, v71, v87
	v_or_b32_e32 v80, v82, v86
	;; [unrolled: 1-line block ×3, first 2 shown]
	s_delay_alu instid0(VALU_DEP_4)
	v_or_b32_e32 v70, v54, v84
	s_and_saveexec_b32 s8, s3
	s_cbranch_execz .LBB302_2812
; %bb.2811:                             ;   in Loop: Header=BB302_2086 Depth=1
	v_dual_cndmask_b32 v0, 0, v87, vcc_lo :: v_dual_cndmask_b32 v1, 0, v86, s0
	v_dual_cndmask_b32 v6, 0, v71, s1 :: v_dual_cndmask_b32 v7, 0, v82, s2
	v_dual_cndmask_b32 v12, 0, v85, s4 :: v_dual_cndmask_b32 v18, 0, v84, s5
	;; [unrolled: 1-line block ×3, first 2 shown]
	s_delay_alu instid0(VALU_DEP_3) | instskip(NEXT) | instid1(VALU_DEP_4)
	v_or_b32_e32 v83, v0, v6
	v_or_b32_e32 v80, v1, v7
	s_delay_alu instid0(VALU_DEP_3) | instskip(NEXT) | instid1(VALU_DEP_4)
	v_or_b32_e32 v81, v12, v19
	v_or_b32_e32 v70, v18, v54
.LBB302_2812:                           ;   in Loop: Header=BB302_2086 Depth=1
	s_or_b32 exec_lo, exec_lo, s8
	;;#ASMSTART
	v_pk_mul_f16 v0, v112, v83;

	;;#ASMEND
	;;#ASMSTART
	v_pk_mul_f16 v1, v103, v80;

	;;#ASMEND
	;;#ASMSTART
	v_pk_mul_f16 v6, v102, v81;

	;;#ASMEND
	;;#ASMSTART
	v_pk_mul_f16 v7, v101, v70;

	;;#ASMEND
	;;#ASMSTART
	v_pk_add_f16 v0, v0, v1;

	;;#ASMEND
	;;#ASMSTART
	v_pk_add_f16 v0, v0, v6;

	;;#ASMEND
	;; [unrolled: 4-line block ×3, first 2 shown]
	v_and_b32_e32 v1, 0xffff, v0
	v_lshrrev_b32_e32 v0, 16, v0
	;;#ASMSTART
	v_cvt_f32_f16 v61, v1;
	;;#ASMEND
	v_mov_b32_e32 v1, 0
	;;#ASMSTART
	v_cvt_f32_f16 v62, v0;
	;;#ASMEND
	flat_load_b64 v[80:81], v[68:69] offset:2816
	flat_load_b32 v70, v[22:23]
	v_mov_b32_e32 v0, 0
	s_mov_b32 s23, exec_lo
	s_wait_loadcnt_dscnt 0x101
	v_and_b32_e32 v12, 0xff, v80
	s_wait_xcnt 0x0
	s_delay_alu instid0(VALU_DEP_1)
	v_cmpx_ne_u16_e32 0, v12
	s_cbranch_execz .LBB302_2820
; %bb.2813:                             ;   in Loop: Header=BB302_2086 Depth=1
	v_mov_b32_e32 v1, 0x8000
	s_mov_b32 s24, exec_lo
	v_cmpx_ne_u16_e32 0x80, v12
	s_cbranch_execz .LBB302_2819
; %bb.2814:                             ;   in Loop: Header=BB302_2086 Depth=1
	v_and_b32_e32 v18, 0x7f, v80
	v_mov_b32_e32 v1, 0x7c01
	s_mov_b32 s25, exec_lo
	s_delay_alu instid0(VALU_DEP_2)
	v_cmpx_ne_u32_e32 0x7f, v18
	s_cbranch_execz .LBB302_2818
; %bb.2815:                             ;   in Loop: Header=BB302_2086 Depth=1
	v_dual_lshrrev_b32 v12, 3, v18 :: v_dual_bitop2_b32 v1, 7, v80 bitop3:0x40
	s_mov_b32 s26, exec_lo
	v_cmpx_gt_u32_e32 8, v18
; %bb.2816:                             ;   in Loop: Header=BB302_2086 Depth=1
	s_delay_alu instid0(VALU_DEP_2) | instskip(NEXT) | instid1(VALU_DEP_1)
	v_clz_i32_u32_e32 v1, v1
	v_min_u32_e32 v1, 32, v1
	s_delay_alu instid0(VALU_DEP_1) | instskip(NEXT) | instid1(VALU_DEP_1)
	v_subrev_nc_u32_e32 v6, 28, v1
	v_lshlrev_b64_e32 v[6:7], v6, v[80:81]
	s_delay_alu instid0(VALU_DEP_1)
	v_dual_sub_nc_u32 v12, 29, v1 :: v_dual_bitop2_b32 v1, 7, v6 bitop3:0x40
; %bb.2817:                             ;   in Loop: Header=BB302_2086 Depth=1
	s_or_b32 exec_lo, exec_lo, s26
	s_delay_alu instid0(VALU_DEP_1) | instskip(NEXT) | instid1(VALU_DEP_2)
	v_dual_lshlrev_b32 v6, 8, v80 :: v_dual_lshlrev_b32 v1, 7, v1
	v_lshl_add_u32 v7, v12, 10, 0x2000
	s_delay_alu instid0(VALU_DEP_2) | instskip(NEXT) | instid1(VALU_DEP_2)
	v_and_b32_e32 v6, 0x8000, v6
	v_and_b32_e32 v7, 0xfc00, v7
	s_delay_alu instid0(VALU_DEP_1)
	v_or3_b32 v1, v6, v7, v1
.LBB302_2818:                           ;   in Loop: Header=BB302_2086 Depth=1
	s_or_b32 exec_lo, exec_lo, s25
.LBB302_2819:                           ;   in Loop: Header=BB302_2086 Depth=1
	s_delay_alu instid0(SALU_CYCLE_1)
	s_or_b32 exec_lo, exec_lo, s24
.LBB302_2820:                           ;   in Loop: Header=BB302_2086 Depth=1
	s_delay_alu instid0(SALU_CYCLE_1) | instskip(SKIP_2) | instid1(VALU_DEP_1)
	s_or_b32 exec_lo, exec_lo, s23
	v_lshrrev_b16 v54, 8, v80
	s_mov_b32 s23, exec_lo
	v_cmpx_ne_u16_e32 0, v54
	s_cbranch_execz .LBB302_2828
; %bb.2821:                             ;   in Loop: Header=BB302_2086 Depth=1
	v_bfrev_b32_e32 v0, 1
	s_mov_b32 s24, exec_lo
	v_cmpx_ne_u16_e32 0x80, v54
	s_cbranch_execz .LBB302_2827
; %bb.2822:                             ;   in Loop: Header=BB302_2086 Depth=1
	v_and_b32_e32 v12, 0xffff, v54
	v_mov_b32_e32 v0, 0x7c010000
	s_mov_b32 s25, exec_lo
	s_delay_alu instid0(VALU_DEP_2) | instskip(NEXT) | instid1(VALU_DEP_1)
	v_and_b32_e32 v19, 0x7f, v12
	v_cmpx_ne_u32_e32 0x7f, v19
	s_cbranch_execz .LBB302_2826
; %bb.2823:                             ;   in Loop: Header=BB302_2086 Depth=1
	v_dual_lshrrev_b32 v18, 3, v19 :: v_dual_bitop2_b32 v0, 7, v12 bitop3:0x40
	s_mov_b32 s26, exec_lo
	v_cmpx_gt_u32_e32 8, v19
; %bb.2824:                             ;   in Loop: Header=BB302_2086 Depth=1
	s_delay_alu instid0(VALU_DEP_2) | instskip(NEXT) | instid1(VALU_DEP_1)
	v_clz_i32_u32_e32 v0, v0
	v_min_u32_e32 v0, 32, v0
	s_delay_alu instid0(VALU_DEP_1) | instskip(NEXT) | instid1(VALU_DEP_1)
	v_subrev_nc_u32_e32 v6, 28, v0
	v_lshlrev_b64_e32 v[6:7], v6, v[54:55]
	s_delay_alu instid0(VALU_DEP_1)
	v_dual_sub_nc_u32 v18, 29, v0 :: v_dual_bitop2_b32 v0, 7, v6 bitop3:0x40
; %bb.2825:                             ;   in Loop: Header=BB302_2086 Depth=1
	s_or_b32 exec_lo, exec_lo, s26
	v_lshlrev_b32_e32 v6, 8, v12
	s_delay_alu instid0(VALU_DEP_2) | instskip(NEXT) | instid1(VALU_DEP_3)
	v_lshl_add_u32 v7, v18, 10, 0x2000
	v_lshlrev_b32_e32 v0, 23, v0
	s_delay_alu instid0(VALU_DEP_2) | instskip(NEXT) | instid1(VALU_DEP_1)
	v_and_or_b32 v6, 0x8000, v6, v7
	v_lshl_or_b32 v0, v6, 16, v0
.LBB302_2826:                           ;   in Loop: Header=BB302_2086 Depth=1
	s_or_b32 exec_lo, exec_lo, s25
.LBB302_2827:                           ;   in Loop: Header=BB302_2086 Depth=1
	s_delay_alu instid0(SALU_CYCLE_1)
	s_or_b32 exec_lo, exec_lo, s24
.LBB302_2828:                           ;   in Loop: Header=BB302_2086 Depth=1
	s_delay_alu instid0(SALU_CYCLE_1) | instskip(SKIP_3) | instid1(VALU_DEP_2)
	s_or_b32 exec_lo, exec_lo, s23
	v_dual_lshrrev_b32 v54, 16, v80 :: v_dual_mov_b32 v12, 0
	v_mov_b32_e32 v18, 0
	s_mov_b32 s23, exec_lo
	v_and_b32_e32 v19, 0xff, v54
	s_delay_alu instid0(VALU_DEP_1)
	v_cmpx_ne_u16_e32 0, v19
	s_cbranch_execz .LBB302_2836
; %bb.2829:                             ;   in Loop: Header=BB302_2086 Depth=1
	v_mov_b32_e32 v18, 0x8000
	s_mov_b32 s24, exec_lo
	v_cmpx_ne_u16_e32 0x80, v19
	s_cbranch_execz .LBB302_2835
; %bb.2830:                             ;   in Loop: Header=BB302_2086 Depth=1
	v_bfe_u32 v71, v80, 16, 7
	v_mov_b32_e32 v18, 0x7c01
	s_mov_b32 s25, exec_lo
	s_delay_alu instid0(VALU_DEP_2)
	v_cmpx_ne_u32_e32 0x7f, v71
	s_cbranch_execz .LBB302_2834
; %bb.2831:                             ;   in Loop: Header=BB302_2086 Depth=1
	v_dual_lshrrev_b32 v19, 3, v71 :: v_dual_bitop2_b32 v18, 7, v54 bitop3:0x40
	s_mov_b32 s26, exec_lo
	v_cmpx_gt_u32_e32 8, v71
; %bb.2832:                             ;   in Loop: Header=BB302_2086 Depth=1
	s_delay_alu instid0(VALU_DEP_2) | instskip(NEXT) | instid1(VALU_DEP_1)
	v_clz_i32_u32_e32 v6, v18
	v_min_u32_e32 v18, 32, v6
	s_delay_alu instid0(VALU_DEP_1) | instskip(SKIP_1) | instid1(VALU_DEP_2)
	v_subrev_nc_u32_e32 v6, 28, v18
	v_sub_nc_u32_e32 v19, 29, v18
	v_lshlrev_b64_e32 v[6:7], v6, v[54:55]
	s_delay_alu instid0(VALU_DEP_1)
	v_and_b32_e32 v18, 7, v6
; %bb.2833:                             ;   in Loop: Header=BB302_2086 Depth=1
	s_or_b32 exec_lo, exec_lo, s26
	v_lshlrev_b32_e32 v6, 8, v54
	v_lshl_add_u32 v7, v19, 10, 0x2000
	s_delay_alu instid0(VALU_DEP_3) | instskip(NEXT) | instid1(VALU_DEP_3)
	v_lshlrev_b32_e32 v18, 7, v18
	v_and_b32_e32 v6, 0x8000, v6
	s_delay_alu instid0(VALU_DEP_3) | instskip(NEXT) | instid1(VALU_DEP_1)
	v_and_b32_e32 v7, 0xfc00, v7
	v_or3_b32 v18, v6, v7, v18
.LBB302_2834:                           ;   in Loop: Header=BB302_2086 Depth=1
	s_or_b32 exec_lo, exec_lo, s25
.LBB302_2835:                           ;   in Loop: Header=BB302_2086 Depth=1
	s_delay_alu instid0(SALU_CYCLE_1)
	s_or_b32 exec_lo, exec_lo, s24
.LBB302_2836:                           ;   in Loop: Header=BB302_2086 Depth=1
	s_delay_alu instid0(SALU_CYCLE_1) | instskip(NEXT) | instid1(SALU_CYCLE_1)
	s_or_b32 exec_lo, exec_lo, s23
	s_mov_b32 s23, exec_lo
	v_cmpx_lt_u32_e32 0xffffff, v80
	s_cbranch_execz .LBB302_2844
; %bb.2837:                             ;   in Loop: Header=BB302_2086 Depth=1
	v_lshrrev_b32_e32 v54, 24, v80
	v_bfrev_b32_e32 v12, 1
	s_mov_b32 s24, exec_lo
	s_delay_alu instid0(VALU_DEP_2)
	v_cmpx_ne_u32_e32 0x80, v54
	s_cbranch_execz .LBB302_2843
; %bb.2838:                             ;   in Loop: Header=BB302_2086 Depth=1
	v_and_b32_e32 v71, 0x7f, v54
	v_mov_b32_e32 v12, 0x7c010000
	s_mov_b32 s25, exec_lo
	s_delay_alu instid0(VALU_DEP_2)
	v_cmpx_ne_u32_e32 0x7f, v71
	s_cbranch_execz .LBB302_2842
; %bb.2839:                             ;   in Loop: Header=BB302_2086 Depth=1
	v_dual_lshrrev_b32 v19, 3, v71 :: v_dual_bitop2_b32 v12, 7, v54 bitop3:0x40
	s_mov_b32 s26, exec_lo
	v_cmpx_gt_u32_e32 8, v71
; %bb.2840:                             ;   in Loop: Header=BB302_2086 Depth=1
	s_delay_alu instid0(VALU_DEP_2) | instskip(NEXT) | instid1(VALU_DEP_1)
	v_clz_i32_u32_e32 v6, v12
	v_min_u32_e32 v12, 32, v6
	s_delay_alu instid0(VALU_DEP_1) | instskip(NEXT) | instid1(VALU_DEP_1)
	v_subrev_nc_u32_e32 v6, 28, v12
	v_lshlrev_b64_e32 v[6:7], v6, v[54:55]
	s_delay_alu instid0(VALU_DEP_1)
	v_dual_sub_nc_u32 v19, 29, v12 :: v_dual_bitop2_b32 v12, 7, v6 bitop3:0x40
; %bb.2841:                             ;   in Loop: Header=BB302_2086 Depth=1
	s_or_b32 exec_lo, exec_lo, s26
	v_lshlrev_b32_e32 v6, 8, v54
	s_delay_alu instid0(VALU_DEP_2) | instskip(NEXT) | instid1(VALU_DEP_1)
	v_lshl_add_u32 v7, v19, 10, 0x2000
	v_and_or_b32 v6, 0x8000, v6, v7
	v_lshlrev_b32_e32 v7, 23, v12
	s_delay_alu instid0(VALU_DEP_1)
	v_lshl_or_b32 v12, v6, 16, v7
.LBB302_2842:                           ;   in Loop: Header=BB302_2086 Depth=1
	s_or_b32 exec_lo, exec_lo, s25
.LBB302_2843:                           ;   in Loop: Header=BB302_2086 Depth=1
	s_delay_alu instid0(SALU_CYCLE_1)
	s_or_b32 exec_lo, exec_lo, s24
.LBB302_2844:                           ;   in Loop: Header=BB302_2086 Depth=1
	s_delay_alu instid0(SALU_CYCLE_1) | instskip(SKIP_4) | instid1(VALU_DEP_3)
	s_or_b32 exec_lo, exec_lo, s23
	v_and_b32_e32 v82, 0xff, v81
	v_dual_mov_b32 v54, v81 :: v_dual_mov_b32 v71, 0
	v_mov_b32_e32 v19, 0
	s_mov_b32 s23, exec_lo
	v_cmpx_ne_u16_e32 0, v82
	s_cbranch_execz .LBB302_2852
; %bb.2845:                             ;   in Loop: Header=BB302_2086 Depth=1
	v_mov_b32_e32 v19, 0x8000
	s_mov_b32 s24, exec_lo
	v_cmpx_ne_u16_e32 0x80, v82
	s_cbranch_execz .LBB302_2851
; %bb.2846:                             ;   in Loop: Header=BB302_2086 Depth=1
	v_and_b32_e32 v83, 0x7f, v81
	v_mov_b32_e32 v19, 0x7c01
	s_mov_b32 s25, exec_lo
	s_delay_alu instid0(VALU_DEP_2)
	v_cmpx_ne_u32_e32 0x7f, v83
	s_cbranch_execz .LBB302_2850
; %bb.2847:                             ;   in Loop: Header=BB302_2086 Depth=1
	v_dual_lshrrev_b32 v82, 3, v83 :: v_dual_bitop2_b32 v19, 7, v81 bitop3:0x40
	s_mov_b32 s26, exec_lo
	v_cmpx_gt_u32_e32 8, v83
; %bb.2848:                             ;   in Loop: Header=BB302_2086 Depth=1
	s_delay_alu instid0(VALU_DEP_2) | instskip(NEXT) | instid1(VALU_DEP_1)
	v_clz_i32_u32_e32 v6, v19
	v_min_u32_e32 v19, 32, v6
	s_delay_alu instid0(VALU_DEP_1) | instskip(NEXT) | instid1(VALU_DEP_1)
	v_subrev_nc_u32_e32 v6, 28, v19
	v_lshlrev_b64_e32 v[6:7], v6, v[54:55]
	s_delay_alu instid0(VALU_DEP_1)
	v_dual_sub_nc_u32 v82, 29, v19 :: v_dual_bitop2_b32 v19, 7, v6 bitop3:0x40
; %bb.2849:                             ;   in Loop: Header=BB302_2086 Depth=1
	s_or_b32 exec_lo, exec_lo, s26
	s_delay_alu instid0(VALU_DEP_1) | instskip(NEXT) | instid1(VALU_DEP_2)
	v_dual_lshlrev_b32 v6, 8, v81 :: v_dual_lshlrev_b32 v19, 7, v19
	v_lshl_add_u32 v7, v82, 10, 0x2000
	s_delay_alu instid0(VALU_DEP_2) | instskip(NEXT) | instid1(VALU_DEP_2)
	v_and_b32_e32 v6, 0x8000, v6
	v_and_b32_e32 v7, 0xfc00, v7
	s_delay_alu instid0(VALU_DEP_1)
	v_or3_b32 v19, v6, v7, v19
.LBB302_2850:                           ;   in Loop: Header=BB302_2086 Depth=1
	s_or_b32 exec_lo, exec_lo, s25
.LBB302_2851:                           ;   in Loop: Header=BB302_2086 Depth=1
	s_delay_alu instid0(SALU_CYCLE_1)
	s_or_b32 exec_lo, exec_lo, s24
.LBB302_2852:                           ;   in Loop: Header=BB302_2086 Depth=1
	s_delay_alu instid0(SALU_CYCLE_1) | instskip(SKIP_3) | instid1(VALU_DEP_2)
	s_or_b32 exec_lo, exec_lo, s23
	v_lshrrev_b16 v54, 8, v54
	v_mov_b32_e32 v82, 0
	s_mov_b32 s23, exec_lo
	v_cmpx_ne_u16_e32 0, v54
	s_cbranch_execz .LBB302_2860
; %bb.2853:                             ;   in Loop: Header=BB302_2086 Depth=1
	v_bfrev_b32_e32 v82, 1
	s_mov_b32 s24, exec_lo
	v_cmpx_ne_u16_e32 0x80, v54
	s_cbranch_execz .LBB302_2859
; %bb.2854:                             ;   in Loop: Header=BB302_2086 Depth=1
	v_and_b32_e32 v83, 0xffff, v54
	v_mov_b32_e32 v82, 0x7c010000
	s_mov_b32 s25, exec_lo
	s_delay_alu instid0(VALU_DEP_2) | instskip(NEXT) | instid1(VALU_DEP_1)
	v_and_b32_e32 v85, 0x7f, v83
	v_cmpx_ne_u32_e32 0x7f, v85
	s_cbranch_execz .LBB302_2858
; %bb.2855:                             ;   in Loop: Header=BB302_2086 Depth=1
	v_dual_lshrrev_b32 v84, 3, v85 :: v_dual_bitop2_b32 v82, 7, v83 bitop3:0x40
	s_mov_b32 s26, exec_lo
	v_cmpx_gt_u32_e32 8, v85
; %bb.2856:                             ;   in Loop: Header=BB302_2086 Depth=1
	s_delay_alu instid0(VALU_DEP_2) | instskip(NEXT) | instid1(VALU_DEP_1)
	v_clz_i32_u32_e32 v6, v82
	v_min_u32_e32 v64, 32, v6
	s_delay_alu instid0(VALU_DEP_1) | instskip(NEXT) | instid1(VALU_DEP_1)
	v_subrev_nc_u32_e32 v6, 28, v64
	v_lshlrev_b64_e32 v[6:7], v6, v[54:55]
	s_delay_alu instid0(VALU_DEP_1)
	v_dual_sub_nc_u32 v84, 29, v64 :: v_dual_bitop2_b32 v82, 7, v6 bitop3:0x40
; %bb.2857:                             ;   in Loop: Header=BB302_2086 Depth=1
	s_or_b32 exec_lo, exec_lo, s26
	v_lshlrev_b32_e32 v6, 8, v83
	s_delay_alu instid0(VALU_DEP_2) | instskip(NEXT) | instid1(VALU_DEP_1)
	v_lshl_add_u32 v7, v84, 10, 0x2000
	v_and_or_b32 v6, 0x8000, v6, v7
	v_lshlrev_b32_e32 v7, 23, v82
	s_delay_alu instid0(VALU_DEP_1)
	v_lshl_or_b32 v82, v6, 16, v7
.LBB302_2858:                           ;   in Loop: Header=BB302_2086 Depth=1
	s_or_b32 exec_lo, exec_lo, s25
.LBB302_2859:                           ;   in Loop: Header=BB302_2086 Depth=1
	s_delay_alu instid0(SALU_CYCLE_1)
	s_or_b32 exec_lo, exec_lo, s24
.LBB302_2860:                           ;   in Loop: Header=BB302_2086 Depth=1
	s_delay_alu instid0(SALU_CYCLE_1) | instskip(SKIP_2) | instid1(VALU_DEP_1)
	s_or_b32 exec_lo, exec_lo, s23
	v_lshrrev_b32_e32 v54, 16, v81
	s_mov_b32 s23, exec_lo
	v_and_b32_e32 v83, 0xff, v54
	s_delay_alu instid0(VALU_DEP_1)
	v_cmpx_ne_u16_e32 0, v83
	s_cbranch_execz .LBB302_2868
; %bb.2861:                             ;   in Loop: Header=BB302_2086 Depth=1
	v_mov_b32_e32 v71, 0x8000
	s_mov_b32 s24, exec_lo
	v_cmpx_ne_u16_e32 0x80, v83
	s_cbranch_execz .LBB302_2867
; %bb.2862:                             ;   in Loop: Header=BB302_2086 Depth=1
	v_bfe_u32 v84, v81, 16, 7
	v_mov_b32_e32 v71, 0x7c01
	s_mov_b32 s25, exec_lo
	s_delay_alu instid0(VALU_DEP_2)
	v_cmpx_ne_u32_e32 0x7f, v84
	s_cbranch_execz .LBB302_2866
; %bb.2863:                             ;   in Loop: Header=BB302_2086 Depth=1
	v_dual_lshrrev_b32 v83, 3, v84 :: v_dual_bitop2_b32 v71, 7, v54 bitop3:0x40
	s_mov_b32 s26, exec_lo
	v_cmpx_gt_u32_e32 8, v84
; %bb.2864:                             ;   in Loop: Header=BB302_2086 Depth=1
	s_delay_alu instid0(VALU_DEP_2) | instskip(NEXT) | instid1(VALU_DEP_1)
	v_clz_i32_u32_e32 v6, v71
	v_min_u32_e32 v64, 32, v6
	s_delay_alu instid0(VALU_DEP_1) | instskip(NEXT) | instid1(VALU_DEP_1)
	v_subrev_nc_u32_e32 v6, 28, v64
	v_lshlrev_b64_e32 v[6:7], v6, v[54:55]
	s_delay_alu instid0(VALU_DEP_1)
	v_dual_sub_nc_u32 v83, 29, v64 :: v_dual_bitop2_b32 v71, 7, v6 bitop3:0x40
; %bb.2865:                             ;   in Loop: Header=BB302_2086 Depth=1
	s_or_b32 exec_lo, exec_lo, s26
	s_delay_alu instid0(VALU_DEP_1) | instskip(NEXT) | instid1(VALU_DEP_2)
	v_dual_lshlrev_b32 v6, 8, v54 :: v_dual_lshlrev_b32 v54, 7, v71
	v_lshl_add_u32 v7, v83, 10, 0x2000
	s_delay_alu instid0(VALU_DEP_2) | instskip(NEXT) | instid1(VALU_DEP_2)
	v_and_b32_e32 v6, 0x8000, v6
	v_and_b32_e32 v7, 0xfc00, v7
	s_delay_alu instid0(VALU_DEP_1)
	v_or3_b32 v71, v6, v7, v54
.LBB302_2866:                           ;   in Loop: Header=BB302_2086 Depth=1
	s_or_b32 exec_lo, exec_lo, s25
.LBB302_2867:                           ;   in Loop: Header=BB302_2086 Depth=1
	s_delay_alu instid0(SALU_CYCLE_1)
	s_or_b32 exec_lo, exec_lo, s24
.LBB302_2868:                           ;   in Loop: Header=BB302_2086 Depth=1
	s_delay_alu instid0(SALU_CYCLE_1)
	s_or_b32 exec_lo, exec_lo, s23
	v_cmp_lt_u64_e64 s8, s[16:17], v[80:81]
	v_mov_b32_e32 v80, 0
	s_and_saveexec_b32 s23, s8
	s_cbranch_execz .LBB302_2876
; %bb.2869:                             ;   in Loop: Header=BB302_2086 Depth=1
	v_lshrrev_b32_e32 v54, 24, v81
	v_bfrev_b32_e32 v80, 1
	s_mov_b32 s24, exec_lo
	s_delay_alu instid0(VALU_DEP_2)
	v_cmpx_ne_u32_e32 0x80, v54
	s_cbranch_execz .LBB302_2875
; %bb.2870:                             ;   in Loop: Header=BB302_2086 Depth=1
	v_and_b32_e32 v83, 0x7f, v54
	v_mov_b32_e32 v80, 0x7c010000
	s_mov_b32 s25, exec_lo
	s_delay_alu instid0(VALU_DEP_2)
	v_cmpx_ne_u32_e32 0x7f, v83
	s_cbranch_execz .LBB302_2874
; %bb.2871:                             ;   in Loop: Header=BB302_2086 Depth=1
	v_dual_lshrrev_b32 v81, 3, v83 :: v_dual_bitop2_b32 v80, 7, v54 bitop3:0x40
	s_mov_b32 s26, exec_lo
	v_cmpx_gt_u32_e32 8, v83
; %bb.2872:                             ;   in Loop: Header=BB302_2086 Depth=1
	s_delay_alu instid0(VALU_DEP_2) | instskip(NEXT) | instid1(VALU_DEP_1)
	v_clz_i32_u32_e32 v6, v80
	v_min_u32_e32 v64, 32, v6
	s_delay_alu instid0(VALU_DEP_1) | instskip(NEXT) | instid1(VALU_DEP_1)
	v_subrev_nc_u32_e32 v6, 28, v64
	v_lshlrev_b64_e32 v[6:7], v6, v[54:55]
	s_delay_alu instid0(VALU_DEP_1)
	v_dual_sub_nc_u32 v81, 29, v64 :: v_dual_bitop2_b32 v80, 7, v6 bitop3:0x40
; %bb.2873:                             ;   in Loop: Header=BB302_2086 Depth=1
	s_or_b32 exec_lo, exec_lo, s26
	v_lshlrev_b32_e32 v6, 8, v54
	s_delay_alu instid0(VALU_DEP_2) | instskip(NEXT) | instid1(VALU_DEP_1)
	v_lshl_add_u32 v7, v81, 10, 0x2000
	v_and_or_b32 v6, 0x8000, v6, v7
	v_lshlrev_b32_e32 v7, 23, v80
	s_delay_alu instid0(VALU_DEP_1)
	v_lshl_or_b32 v80, v6, 16, v7
.LBB302_2874:                           ;   in Loop: Header=BB302_2086 Depth=1
	s_or_b32 exec_lo, exec_lo, s25
.LBB302_2875:                           ;   in Loop: Header=BB302_2086 Depth=1
	s_delay_alu instid0(SALU_CYCLE_1)
	s_or_b32 exec_lo, exec_lo, s24
.LBB302_2876:                           ;   in Loop: Header=BB302_2086 Depth=1
	s_delay_alu instid0(SALU_CYCLE_1) | instskip(SKIP_3) | instid1(VALU_DEP_3)
	s_or_b32 exec_lo, exec_lo, s23
	v_dual_lshrrev_b32 v6, 16, v0 :: v_dual_bitop2_b32 v54, v0, v1 bitop3:0x54
	v_dual_lshrrev_b32 v7, 16, v12 :: v_dual_bitop2_b32 v12, v12, v18 bitop3:0x54
	;; [unrolled: 1-line block ×3, first 2 shown]
	v_cvt_f32_f16_e32 v1, v6
	s_delay_alu instid0(VALU_DEP_3)
	v_cvt_f32_f16_e32 v0, v7
	v_lshrrev_b32_e32 v65, 16, v80
	v_cvt_f32_f16_e32 v6, v12
	v_or_b32_e32 v12, v82, v19
	v_cvt_f32_f16_e32 v7, v54
	s_wait_loadcnt_dscnt 0x0
	v_pk_mul_f32 v[0:1], v[70:71], v[0:1] op_sel_hi:[0,1]
	v_cvt_f32_f16_e32 v19, v18
	v_cvt_f32_f16_e32 v18, v65
	;; [unrolled: 1-line block ×4, first 2 shown]
	v_pk_mul_f32 v[6:7], v[70:71], v[6:7] op_sel_hi:[0,1]
	v_cvt_pk_f16_f32 v12, v0, v1
	v_pk_mul_f32 v[0:1], v[70:71], v[18:19] op_sel_hi:[0,1]
	s_delay_alu instid0(VALU_DEP_4) | instskip(NEXT) | instid1(VALU_DEP_4)
	v_pk_mul_f32 v[18:19], v[70:71], v[64:65] op_sel_hi:[0,1]
	v_cvt_pk_f16_f32 v6, v6, v7
	s_delay_alu instid0(VALU_DEP_4) | instskip(NEXT) | instid1(VALU_DEP_4)
	v_and_b32_e32 v71, 0xffff0000, v12
	v_cvt_pk_f16_f32 v0, v0, v1
	v_lshlrev_b32_e32 v82, 16, v12
	v_cvt_pk_f16_f32 v1, v18, v19
	v_lshrrev_b32_e32 v87, 16, v6
	v_and_b32_e32 v86, 0xffff, v6
	v_and_b32_e32 v19, 0xffff0000, v0
	s_delay_alu instid0(VALU_DEP_4) | instskip(SKIP_3) | instid1(VALU_DEP_4)
	v_dual_lshlrev_b32 v54, 16, v0 :: v_dual_lshrrev_b32 v85, 16, v1
	v_and_b32_e32 v84, 0xffff, v1
	v_or_b32_e32 v83, v71, v87
	v_or_b32_e32 v80, v82, v86
	;; [unrolled: 1-line block ×3, first 2 shown]
	s_delay_alu instid0(VALU_DEP_4)
	v_or_b32_e32 v70, v54, v84
	s_and_saveexec_b32 s8, s3
	s_cbranch_execz .LBB302_2878
; %bb.2877:                             ;   in Loop: Header=BB302_2086 Depth=1
	v_dual_cndmask_b32 v0, 0, v87, vcc_lo :: v_dual_cndmask_b32 v1, 0, v86, s0
	v_dual_cndmask_b32 v6, 0, v71, s1 :: v_dual_cndmask_b32 v7, 0, v82, s2
	v_dual_cndmask_b32 v12, 0, v85, s4 :: v_dual_cndmask_b32 v18, 0, v84, s5
	;; [unrolled: 1-line block ×3, first 2 shown]
	s_delay_alu instid0(VALU_DEP_3) | instskip(NEXT) | instid1(VALU_DEP_4)
	v_or_b32_e32 v83, v0, v6
	v_or_b32_e32 v80, v1, v7
	s_delay_alu instid0(VALU_DEP_3) | instskip(NEXT) | instid1(VALU_DEP_4)
	v_or_b32_e32 v81, v12, v19
	v_or_b32_e32 v70, v18, v54
.LBB302_2878:                           ;   in Loop: Header=BB302_2086 Depth=1
	s_or_b32 exec_lo, exec_lo, s8
	;;#ASMSTART
	v_pk_mul_f16 v0, v112, v83;

	;;#ASMEND
	;;#ASMSTART
	v_pk_mul_f16 v1, v103, v80;

	;;#ASMEND
	;; [unrolled: 4-line block ×4, first 2 shown]
	;;#ASMSTART
	v_pk_add_f16 v0, v0, v1;

	;;#ASMEND
	;;#ASMSTART
	v_pk_add_f16 v0, v0, v6;

	;;#ASMEND
	;; [unrolled: 4-line block ×3, first 2 shown]
	v_and_b32_e32 v1, 0xffff, v0
	v_lshrrev_b32_e32 v0, 16, v0
	;;#ASMSTART
	v_cvt_f32_f16 v63, v1;
	;;#ASMEND
	v_mov_b32_e32 v1, 0
	;;#ASMSTART
	v_cvt_f32_f16 v72, v0;
	;;#ASMEND
	flat_load_b64 v[80:81], v[68:69] offset:3072
	flat_load_b32 v70, v[22:23]
	v_mov_b32_e32 v0, 0
	s_mov_b32 s23, exec_lo
	s_wait_loadcnt_dscnt 0x101
	v_and_b32_e32 v12, 0xff, v80
	s_wait_xcnt 0x0
	s_delay_alu instid0(VALU_DEP_1)
	v_cmpx_ne_u16_e32 0, v12
	s_cbranch_execz .LBB302_2886
; %bb.2879:                             ;   in Loop: Header=BB302_2086 Depth=1
	v_mov_b32_e32 v1, 0x8000
	s_mov_b32 s24, exec_lo
	v_cmpx_ne_u16_e32 0x80, v12
	s_cbranch_execz .LBB302_2885
; %bb.2880:                             ;   in Loop: Header=BB302_2086 Depth=1
	v_and_b32_e32 v18, 0x7f, v80
	v_mov_b32_e32 v1, 0x7c01
	s_mov_b32 s25, exec_lo
	s_delay_alu instid0(VALU_DEP_2)
	v_cmpx_ne_u32_e32 0x7f, v18
	s_cbranch_execz .LBB302_2884
; %bb.2881:                             ;   in Loop: Header=BB302_2086 Depth=1
	v_dual_lshrrev_b32 v12, 3, v18 :: v_dual_bitop2_b32 v1, 7, v80 bitop3:0x40
	s_mov_b32 s26, exec_lo
	v_cmpx_gt_u32_e32 8, v18
; %bb.2882:                             ;   in Loop: Header=BB302_2086 Depth=1
	s_delay_alu instid0(VALU_DEP_2) | instskip(NEXT) | instid1(VALU_DEP_1)
	v_clz_i32_u32_e32 v1, v1
	v_min_u32_e32 v1, 32, v1
	s_delay_alu instid0(VALU_DEP_1) | instskip(NEXT) | instid1(VALU_DEP_1)
	v_subrev_nc_u32_e32 v6, 28, v1
	v_lshlrev_b64_e32 v[6:7], v6, v[80:81]
	s_delay_alu instid0(VALU_DEP_1)
	v_dual_sub_nc_u32 v12, 29, v1 :: v_dual_bitop2_b32 v1, 7, v6 bitop3:0x40
; %bb.2883:                             ;   in Loop: Header=BB302_2086 Depth=1
	s_or_b32 exec_lo, exec_lo, s26
	s_delay_alu instid0(VALU_DEP_1) | instskip(NEXT) | instid1(VALU_DEP_2)
	v_dual_lshlrev_b32 v6, 8, v80 :: v_dual_lshlrev_b32 v1, 7, v1
	v_lshl_add_u32 v7, v12, 10, 0x2000
	s_delay_alu instid0(VALU_DEP_2) | instskip(NEXT) | instid1(VALU_DEP_2)
	v_and_b32_e32 v6, 0x8000, v6
	v_and_b32_e32 v7, 0xfc00, v7
	s_delay_alu instid0(VALU_DEP_1)
	v_or3_b32 v1, v6, v7, v1
.LBB302_2884:                           ;   in Loop: Header=BB302_2086 Depth=1
	s_or_b32 exec_lo, exec_lo, s25
.LBB302_2885:                           ;   in Loop: Header=BB302_2086 Depth=1
	s_delay_alu instid0(SALU_CYCLE_1)
	s_or_b32 exec_lo, exec_lo, s24
.LBB302_2886:                           ;   in Loop: Header=BB302_2086 Depth=1
	s_delay_alu instid0(SALU_CYCLE_1) | instskip(SKIP_2) | instid1(VALU_DEP_1)
	s_or_b32 exec_lo, exec_lo, s23
	v_lshrrev_b16 v54, 8, v80
	s_mov_b32 s23, exec_lo
	v_cmpx_ne_u16_e32 0, v54
	s_cbranch_execz .LBB302_2894
; %bb.2887:                             ;   in Loop: Header=BB302_2086 Depth=1
	v_bfrev_b32_e32 v0, 1
	s_mov_b32 s24, exec_lo
	v_cmpx_ne_u16_e32 0x80, v54
	s_cbranch_execz .LBB302_2893
; %bb.2888:                             ;   in Loop: Header=BB302_2086 Depth=1
	v_and_b32_e32 v12, 0xffff, v54
	v_mov_b32_e32 v0, 0x7c010000
	s_mov_b32 s25, exec_lo
	s_delay_alu instid0(VALU_DEP_2) | instskip(NEXT) | instid1(VALU_DEP_1)
	v_and_b32_e32 v19, 0x7f, v12
	v_cmpx_ne_u32_e32 0x7f, v19
	s_cbranch_execz .LBB302_2892
; %bb.2889:                             ;   in Loop: Header=BB302_2086 Depth=1
	v_dual_lshrrev_b32 v18, 3, v19 :: v_dual_bitop2_b32 v0, 7, v12 bitop3:0x40
	s_mov_b32 s26, exec_lo
	v_cmpx_gt_u32_e32 8, v19
; %bb.2890:                             ;   in Loop: Header=BB302_2086 Depth=1
	s_delay_alu instid0(VALU_DEP_2) | instskip(NEXT) | instid1(VALU_DEP_1)
	v_clz_i32_u32_e32 v0, v0
	v_min_u32_e32 v0, 32, v0
	s_delay_alu instid0(VALU_DEP_1) | instskip(NEXT) | instid1(VALU_DEP_1)
	v_subrev_nc_u32_e32 v6, 28, v0
	v_lshlrev_b64_e32 v[6:7], v6, v[54:55]
	s_delay_alu instid0(VALU_DEP_1)
	v_dual_sub_nc_u32 v18, 29, v0 :: v_dual_bitop2_b32 v0, 7, v6 bitop3:0x40
; %bb.2891:                             ;   in Loop: Header=BB302_2086 Depth=1
	s_or_b32 exec_lo, exec_lo, s26
	v_lshlrev_b32_e32 v6, 8, v12
	s_delay_alu instid0(VALU_DEP_2) | instskip(NEXT) | instid1(VALU_DEP_3)
	v_lshl_add_u32 v7, v18, 10, 0x2000
	v_lshlrev_b32_e32 v0, 23, v0
	s_delay_alu instid0(VALU_DEP_2) | instskip(NEXT) | instid1(VALU_DEP_1)
	v_and_or_b32 v6, 0x8000, v6, v7
	v_lshl_or_b32 v0, v6, 16, v0
.LBB302_2892:                           ;   in Loop: Header=BB302_2086 Depth=1
	s_or_b32 exec_lo, exec_lo, s25
.LBB302_2893:                           ;   in Loop: Header=BB302_2086 Depth=1
	s_delay_alu instid0(SALU_CYCLE_1)
	s_or_b32 exec_lo, exec_lo, s24
.LBB302_2894:                           ;   in Loop: Header=BB302_2086 Depth=1
	s_delay_alu instid0(SALU_CYCLE_1) | instskip(SKIP_3) | instid1(VALU_DEP_2)
	s_or_b32 exec_lo, exec_lo, s23
	v_dual_lshrrev_b32 v54, 16, v80 :: v_dual_mov_b32 v12, 0
	v_mov_b32_e32 v18, 0
	s_mov_b32 s23, exec_lo
	v_and_b32_e32 v19, 0xff, v54
	s_delay_alu instid0(VALU_DEP_1)
	v_cmpx_ne_u16_e32 0, v19
	s_cbranch_execz .LBB302_2902
; %bb.2895:                             ;   in Loop: Header=BB302_2086 Depth=1
	v_mov_b32_e32 v18, 0x8000
	s_mov_b32 s24, exec_lo
	v_cmpx_ne_u16_e32 0x80, v19
	s_cbranch_execz .LBB302_2901
; %bb.2896:                             ;   in Loop: Header=BB302_2086 Depth=1
	v_bfe_u32 v71, v80, 16, 7
	v_mov_b32_e32 v18, 0x7c01
	s_mov_b32 s25, exec_lo
	s_delay_alu instid0(VALU_DEP_2)
	v_cmpx_ne_u32_e32 0x7f, v71
	s_cbranch_execz .LBB302_2900
; %bb.2897:                             ;   in Loop: Header=BB302_2086 Depth=1
	v_dual_lshrrev_b32 v19, 3, v71 :: v_dual_bitop2_b32 v18, 7, v54 bitop3:0x40
	s_mov_b32 s26, exec_lo
	v_cmpx_gt_u32_e32 8, v71
; %bb.2898:                             ;   in Loop: Header=BB302_2086 Depth=1
	s_delay_alu instid0(VALU_DEP_2) | instskip(NEXT) | instid1(VALU_DEP_1)
	v_clz_i32_u32_e32 v6, v18
	v_min_u32_e32 v18, 32, v6
	s_delay_alu instid0(VALU_DEP_1) | instskip(SKIP_1) | instid1(VALU_DEP_2)
	v_subrev_nc_u32_e32 v6, 28, v18
	v_sub_nc_u32_e32 v19, 29, v18
	v_lshlrev_b64_e32 v[6:7], v6, v[54:55]
	s_delay_alu instid0(VALU_DEP_1)
	v_and_b32_e32 v18, 7, v6
; %bb.2899:                             ;   in Loop: Header=BB302_2086 Depth=1
	s_or_b32 exec_lo, exec_lo, s26
	v_lshlrev_b32_e32 v6, 8, v54
	v_lshl_add_u32 v7, v19, 10, 0x2000
	s_delay_alu instid0(VALU_DEP_3) | instskip(NEXT) | instid1(VALU_DEP_3)
	v_lshlrev_b32_e32 v18, 7, v18
	v_and_b32_e32 v6, 0x8000, v6
	s_delay_alu instid0(VALU_DEP_3) | instskip(NEXT) | instid1(VALU_DEP_1)
	v_and_b32_e32 v7, 0xfc00, v7
	v_or3_b32 v18, v6, v7, v18
.LBB302_2900:                           ;   in Loop: Header=BB302_2086 Depth=1
	s_or_b32 exec_lo, exec_lo, s25
.LBB302_2901:                           ;   in Loop: Header=BB302_2086 Depth=1
	s_delay_alu instid0(SALU_CYCLE_1)
	s_or_b32 exec_lo, exec_lo, s24
.LBB302_2902:                           ;   in Loop: Header=BB302_2086 Depth=1
	s_delay_alu instid0(SALU_CYCLE_1) | instskip(NEXT) | instid1(SALU_CYCLE_1)
	s_or_b32 exec_lo, exec_lo, s23
	s_mov_b32 s23, exec_lo
	v_cmpx_lt_u32_e32 0xffffff, v80
	s_cbranch_execz .LBB302_2910
; %bb.2903:                             ;   in Loop: Header=BB302_2086 Depth=1
	v_lshrrev_b32_e32 v54, 24, v80
	v_bfrev_b32_e32 v12, 1
	s_mov_b32 s24, exec_lo
	s_delay_alu instid0(VALU_DEP_2)
	v_cmpx_ne_u32_e32 0x80, v54
	s_cbranch_execz .LBB302_2909
; %bb.2904:                             ;   in Loop: Header=BB302_2086 Depth=1
	v_and_b32_e32 v71, 0x7f, v54
	v_mov_b32_e32 v12, 0x7c010000
	s_mov_b32 s25, exec_lo
	s_delay_alu instid0(VALU_DEP_2)
	v_cmpx_ne_u32_e32 0x7f, v71
	s_cbranch_execz .LBB302_2908
; %bb.2905:                             ;   in Loop: Header=BB302_2086 Depth=1
	v_dual_lshrrev_b32 v19, 3, v71 :: v_dual_bitop2_b32 v12, 7, v54 bitop3:0x40
	s_mov_b32 s26, exec_lo
	v_cmpx_gt_u32_e32 8, v71
; %bb.2906:                             ;   in Loop: Header=BB302_2086 Depth=1
	s_delay_alu instid0(VALU_DEP_2) | instskip(NEXT) | instid1(VALU_DEP_1)
	v_clz_i32_u32_e32 v6, v12
	v_min_u32_e32 v12, 32, v6
	s_delay_alu instid0(VALU_DEP_1) | instskip(NEXT) | instid1(VALU_DEP_1)
	v_subrev_nc_u32_e32 v6, 28, v12
	v_lshlrev_b64_e32 v[6:7], v6, v[54:55]
	s_delay_alu instid0(VALU_DEP_1)
	v_dual_sub_nc_u32 v19, 29, v12 :: v_dual_bitop2_b32 v12, 7, v6 bitop3:0x40
; %bb.2907:                             ;   in Loop: Header=BB302_2086 Depth=1
	s_or_b32 exec_lo, exec_lo, s26
	v_lshlrev_b32_e32 v6, 8, v54
	s_delay_alu instid0(VALU_DEP_2) | instskip(NEXT) | instid1(VALU_DEP_1)
	v_lshl_add_u32 v7, v19, 10, 0x2000
	v_and_or_b32 v6, 0x8000, v6, v7
	v_lshlrev_b32_e32 v7, 23, v12
	s_delay_alu instid0(VALU_DEP_1)
	v_lshl_or_b32 v12, v6, 16, v7
.LBB302_2908:                           ;   in Loop: Header=BB302_2086 Depth=1
	s_or_b32 exec_lo, exec_lo, s25
.LBB302_2909:                           ;   in Loop: Header=BB302_2086 Depth=1
	s_delay_alu instid0(SALU_CYCLE_1)
	s_or_b32 exec_lo, exec_lo, s24
.LBB302_2910:                           ;   in Loop: Header=BB302_2086 Depth=1
	s_delay_alu instid0(SALU_CYCLE_1) | instskip(SKIP_4) | instid1(VALU_DEP_3)
	s_or_b32 exec_lo, exec_lo, s23
	v_and_b32_e32 v82, 0xff, v81
	v_dual_mov_b32 v54, v81 :: v_dual_mov_b32 v71, 0
	v_mov_b32_e32 v19, 0
	s_mov_b32 s23, exec_lo
	v_cmpx_ne_u16_e32 0, v82
	s_cbranch_execz .LBB302_2918
; %bb.2911:                             ;   in Loop: Header=BB302_2086 Depth=1
	v_mov_b32_e32 v19, 0x8000
	s_mov_b32 s24, exec_lo
	v_cmpx_ne_u16_e32 0x80, v82
	s_cbranch_execz .LBB302_2917
; %bb.2912:                             ;   in Loop: Header=BB302_2086 Depth=1
	v_and_b32_e32 v83, 0x7f, v81
	v_mov_b32_e32 v19, 0x7c01
	s_mov_b32 s25, exec_lo
	s_delay_alu instid0(VALU_DEP_2)
	v_cmpx_ne_u32_e32 0x7f, v83
	s_cbranch_execz .LBB302_2916
; %bb.2913:                             ;   in Loop: Header=BB302_2086 Depth=1
	v_dual_lshrrev_b32 v82, 3, v83 :: v_dual_bitop2_b32 v19, 7, v81 bitop3:0x40
	s_mov_b32 s26, exec_lo
	v_cmpx_gt_u32_e32 8, v83
; %bb.2914:                             ;   in Loop: Header=BB302_2086 Depth=1
	s_delay_alu instid0(VALU_DEP_2) | instskip(NEXT) | instid1(VALU_DEP_1)
	v_clz_i32_u32_e32 v6, v19
	v_min_u32_e32 v19, 32, v6
	s_delay_alu instid0(VALU_DEP_1) | instskip(NEXT) | instid1(VALU_DEP_1)
	v_subrev_nc_u32_e32 v6, 28, v19
	v_lshlrev_b64_e32 v[6:7], v6, v[54:55]
	s_delay_alu instid0(VALU_DEP_1)
	v_dual_sub_nc_u32 v82, 29, v19 :: v_dual_bitop2_b32 v19, 7, v6 bitop3:0x40
; %bb.2915:                             ;   in Loop: Header=BB302_2086 Depth=1
	s_or_b32 exec_lo, exec_lo, s26
	s_delay_alu instid0(VALU_DEP_1) | instskip(NEXT) | instid1(VALU_DEP_2)
	v_dual_lshlrev_b32 v6, 8, v81 :: v_dual_lshlrev_b32 v19, 7, v19
	v_lshl_add_u32 v7, v82, 10, 0x2000
	s_delay_alu instid0(VALU_DEP_2) | instskip(NEXT) | instid1(VALU_DEP_2)
	v_and_b32_e32 v6, 0x8000, v6
	v_and_b32_e32 v7, 0xfc00, v7
	s_delay_alu instid0(VALU_DEP_1)
	v_or3_b32 v19, v6, v7, v19
.LBB302_2916:                           ;   in Loop: Header=BB302_2086 Depth=1
	s_or_b32 exec_lo, exec_lo, s25
.LBB302_2917:                           ;   in Loop: Header=BB302_2086 Depth=1
	s_delay_alu instid0(SALU_CYCLE_1)
	s_or_b32 exec_lo, exec_lo, s24
.LBB302_2918:                           ;   in Loop: Header=BB302_2086 Depth=1
	s_delay_alu instid0(SALU_CYCLE_1) | instskip(SKIP_3) | instid1(VALU_DEP_2)
	s_or_b32 exec_lo, exec_lo, s23
	v_lshrrev_b16 v54, 8, v54
	v_mov_b32_e32 v82, 0
	s_mov_b32 s23, exec_lo
	v_cmpx_ne_u16_e32 0, v54
	s_cbranch_execz .LBB302_2926
; %bb.2919:                             ;   in Loop: Header=BB302_2086 Depth=1
	v_bfrev_b32_e32 v82, 1
	s_mov_b32 s24, exec_lo
	v_cmpx_ne_u16_e32 0x80, v54
	s_cbranch_execz .LBB302_2925
; %bb.2920:                             ;   in Loop: Header=BB302_2086 Depth=1
	v_and_b32_e32 v83, 0xffff, v54
	v_mov_b32_e32 v82, 0x7c010000
	s_mov_b32 s25, exec_lo
	s_delay_alu instid0(VALU_DEP_2) | instskip(NEXT) | instid1(VALU_DEP_1)
	v_and_b32_e32 v85, 0x7f, v83
	v_cmpx_ne_u32_e32 0x7f, v85
	s_cbranch_execz .LBB302_2924
; %bb.2921:                             ;   in Loop: Header=BB302_2086 Depth=1
	v_dual_lshrrev_b32 v84, 3, v85 :: v_dual_bitop2_b32 v82, 7, v83 bitop3:0x40
	s_mov_b32 s26, exec_lo
	v_cmpx_gt_u32_e32 8, v85
; %bb.2922:                             ;   in Loop: Header=BB302_2086 Depth=1
	s_delay_alu instid0(VALU_DEP_2) | instskip(NEXT) | instid1(VALU_DEP_1)
	v_clz_i32_u32_e32 v6, v82
	v_min_u32_e32 v64, 32, v6
	s_delay_alu instid0(VALU_DEP_1) | instskip(NEXT) | instid1(VALU_DEP_1)
	v_subrev_nc_u32_e32 v6, 28, v64
	v_lshlrev_b64_e32 v[6:7], v6, v[54:55]
	s_delay_alu instid0(VALU_DEP_1)
	v_dual_sub_nc_u32 v84, 29, v64 :: v_dual_bitop2_b32 v82, 7, v6 bitop3:0x40
; %bb.2923:                             ;   in Loop: Header=BB302_2086 Depth=1
	s_or_b32 exec_lo, exec_lo, s26
	v_lshlrev_b32_e32 v6, 8, v83
	s_delay_alu instid0(VALU_DEP_2) | instskip(NEXT) | instid1(VALU_DEP_1)
	v_lshl_add_u32 v7, v84, 10, 0x2000
	v_and_or_b32 v6, 0x8000, v6, v7
	v_lshlrev_b32_e32 v7, 23, v82
	s_delay_alu instid0(VALU_DEP_1)
	v_lshl_or_b32 v82, v6, 16, v7
.LBB302_2924:                           ;   in Loop: Header=BB302_2086 Depth=1
	s_or_b32 exec_lo, exec_lo, s25
.LBB302_2925:                           ;   in Loop: Header=BB302_2086 Depth=1
	s_delay_alu instid0(SALU_CYCLE_1)
	s_or_b32 exec_lo, exec_lo, s24
.LBB302_2926:                           ;   in Loop: Header=BB302_2086 Depth=1
	s_delay_alu instid0(SALU_CYCLE_1) | instskip(SKIP_2) | instid1(VALU_DEP_1)
	s_or_b32 exec_lo, exec_lo, s23
	v_lshrrev_b32_e32 v54, 16, v81
	s_mov_b32 s23, exec_lo
	v_and_b32_e32 v83, 0xff, v54
	s_delay_alu instid0(VALU_DEP_1)
	v_cmpx_ne_u16_e32 0, v83
	s_cbranch_execz .LBB302_2934
; %bb.2927:                             ;   in Loop: Header=BB302_2086 Depth=1
	v_mov_b32_e32 v71, 0x8000
	s_mov_b32 s24, exec_lo
	v_cmpx_ne_u16_e32 0x80, v83
	s_cbranch_execz .LBB302_2933
; %bb.2928:                             ;   in Loop: Header=BB302_2086 Depth=1
	v_bfe_u32 v84, v81, 16, 7
	v_mov_b32_e32 v71, 0x7c01
	s_mov_b32 s25, exec_lo
	s_delay_alu instid0(VALU_DEP_2)
	v_cmpx_ne_u32_e32 0x7f, v84
	s_cbranch_execz .LBB302_2932
; %bb.2929:                             ;   in Loop: Header=BB302_2086 Depth=1
	v_dual_lshrrev_b32 v83, 3, v84 :: v_dual_bitop2_b32 v71, 7, v54 bitop3:0x40
	s_mov_b32 s26, exec_lo
	v_cmpx_gt_u32_e32 8, v84
; %bb.2930:                             ;   in Loop: Header=BB302_2086 Depth=1
	s_delay_alu instid0(VALU_DEP_2) | instskip(NEXT) | instid1(VALU_DEP_1)
	v_clz_i32_u32_e32 v6, v71
	v_min_u32_e32 v64, 32, v6
	s_delay_alu instid0(VALU_DEP_1) | instskip(NEXT) | instid1(VALU_DEP_1)
	v_subrev_nc_u32_e32 v6, 28, v64
	v_lshlrev_b64_e32 v[6:7], v6, v[54:55]
	s_delay_alu instid0(VALU_DEP_1)
	v_dual_sub_nc_u32 v83, 29, v64 :: v_dual_bitop2_b32 v71, 7, v6 bitop3:0x40
; %bb.2931:                             ;   in Loop: Header=BB302_2086 Depth=1
	s_or_b32 exec_lo, exec_lo, s26
	s_delay_alu instid0(VALU_DEP_1) | instskip(NEXT) | instid1(VALU_DEP_2)
	v_dual_lshlrev_b32 v6, 8, v54 :: v_dual_lshlrev_b32 v54, 7, v71
	v_lshl_add_u32 v7, v83, 10, 0x2000
	s_delay_alu instid0(VALU_DEP_2) | instskip(NEXT) | instid1(VALU_DEP_2)
	v_and_b32_e32 v6, 0x8000, v6
	v_and_b32_e32 v7, 0xfc00, v7
	s_delay_alu instid0(VALU_DEP_1)
	v_or3_b32 v71, v6, v7, v54
.LBB302_2932:                           ;   in Loop: Header=BB302_2086 Depth=1
	s_or_b32 exec_lo, exec_lo, s25
.LBB302_2933:                           ;   in Loop: Header=BB302_2086 Depth=1
	s_delay_alu instid0(SALU_CYCLE_1)
	s_or_b32 exec_lo, exec_lo, s24
.LBB302_2934:                           ;   in Loop: Header=BB302_2086 Depth=1
	s_delay_alu instid0(SALU_CYCLE_1)
	s_or_b32 exec_lo, exec_lo, s23
	v_cmp_lt_u64_e64 s8, s[16:17], v[80:81]
	v_mov_b32_e32 v80, 0
	s_and_saveexec_b32 s23, s8
	s_cbranch_execz .LBB302_2942
; %bb.2935:                             ;   in Loop: Header=BB302_2086 Depth=1
	v_lshrrev_b32_e32 v54, 24, v81
	v_bfrev_b32_e32 v80, 1
	s_mov_b32 s24, exec_lo
	s_delay_alu instid0(VALU_DEP_2)
	v_cmpx_ne_u32_e32 0x80, v54
	s_cbranch_execz .LBB302_2941
; %bb.2936:                             ;   in Loop: Header=BB302_2086 Depth=1
	v_and_b32_e32 v83, 0x7f, v54
	v_mov_b32_e32 v80, 0x7c010000
	s_mov_b32 s25, exec_lo
	s_delay_alu instid0(VALU_DEP_2)
	v_cmpx_ne_u32_e32 0x7f, v83
	s_cbranch_execz .LBB302_2940
; %bb.2937:                             ;   in Loop: Header=BB302_2086 Depth=1
	v_dual_lshrrev_b32 v81, 3, v83 :: v_dual_bitop2_b32 v80, 7, v54 bitop3:0x40
	s_mov_b32 s26, exec_lo
	v_cmpx_gt_u32_e32 8, v83
; %bb.2938:                             ;   in Loop: Header=BB302_2086 Depth=1
	s_delay_alu instid0(VALU_DEP_2) | instskip(NEXT) | instid1(VALU_DEP_1)
	v_clz_i32_u32_e32 v6, v80
	v_min_u32_e32 v64, 32, v6
	s_delay_alu instid0(VALU_DEP_1) | instskip(NEXT) | instid1(VALU_DEP_1)
	v_subrev_nc_u32_e32 v6, 28, v64
	v_lshlrev_b64_e32 v[6:7], v6, v[54:55]
	s_delay_alu instid0(VALU_DEP_1)
	v_dual_sub_nc_u32 v81, 29, v64 :: v_dual_bitop2_b32 v80, 7, v6 bitop3:0x40
; %bb.2939:                             ;   in Loop: Header=BB302_2086 Depth=1
	s_or_b32 exec_lo, exec_lo, s26
	v_lshlrev_b32_e32 v6, 8, v54
	s_delay_alu instid0(VALU_DEP_2) | instskip(NEXT) | instid1(VALU_DEP_1)
	v_lshl_add_u32 v7, v81, 10, 0x2000
	v_and_or_b32 v6, 0x8000, v6, v7
	v_lshlrev_b32_e32 v7, 23, v80
	s_delay_alu instid0(VALU_DEP_1)
	v_lshl_or_b32 v80, v6, 16, v7
.LBB302_2940:                           ;   in Loop: Header=BB302_2086 Depth=1
	s_or_b32 exec_lo, exec_lo, s25
.LBB302_2941:                           ;   in Loop: Header=BB302_2086 Depth=1
	s_delay_alu instid0(SALU_CYCLE_1)
	s_or_b32 exec_lo, exec_lo, s24
.LBB302_2942:                           ;   in Loop: Header=BB302_2086 Depth=1
	s_delay_alu instid0(SALU_CYCLE_1) | instskip(SKIP_3) | instid1(VALU_DEP_3)
	s_or_b32 exec_lo, exec_lo, s23
	v_dual_lshrrev_b32 v6, 16, v0 :: v_dual_bitop2_b32 v54, v0, v1 bitop3:0x54
	v_dual_lshrrev_b32 v7, 16, v12 :: v_dual_bitop2_b32 v12, v12, v18 bitop3:0x54
	;; [unrolled: 1-line block ×3, first 2 shown]
	v_cvt_f32_f16_e32 v1, v6
	s_delay_alu instid0(VALU_DEP_3)
	v_cvt_f32_f16_e32 v0, v7
	v_lshrrev_b32_e32 v65, 16, v80
	v_cvt_f32_f16_e32 v6, v12
	v_or_b32_e32 v12, v82, v19
	v_cvt_f32_f16_e32 v7, v54
	s_wait_loadcnt_dscnt 0x0
	v_pk_mul_f32 v[0:1], v[70:71], v[0:1] op_sel_hi:[0,1]
	v_cvt_f32_f16_e32 v19, v18
	v_cvt_f32_f16_e32 v18, v65
	;; [unrolled: 1-line block ×4, first 2 shown]
	v_pk_mul_f32 v[6:7], v[70:71], v[6:7] op_sel_hi:[0,1]
	v_cvt_pk_f16_f32 v12, v0, v1
	v_pk_mul_f32 v[0:1], v[70:71], v[18:19] op_sel_hi:[0,1]
	s_delay_alu instid0(VALU_DEP_4) | instskip(NEXT) | instid1(VALU_DEP_4)
	v_pk_mul_f32 v[18:19], v[70:71], v[64:65] op_sel_hi:[0,1]
	v_cvt_pk_f16_f32 v6, v6, v7
	s_delay_alu instid0(VALU_DEP_4) | instskip(NEXT) | instid1(VALU_DEP_4)
	v_and_b32_e32 v71, 0xffff0000, v12
	v_cvt_pk_f16_f32 v0, v0, v1
	v_lshlrev_b32_e32 v82, 16, v12
	v_cvt_pk_f16_f32 v1, v18, v19
	v_lshrrev_b32_e32 v87, 16, v6
	v_and_b32_e32 v86, 0xffff, v6
	v_and_b32_e32 v19, 0xffff0000, v0
	s_delay_alu instid0(VALU_DEP_4) | instskip(SKIP_3) | instid1(VALU_DEP_4)
	v_dual_lshlrev_b32 v54, 16, v0 :: v_dual_lshrrev_b32 v85, 16, v1
	v_and_b32_e32 v84, 0xffff, v1
	v_or_b32_e32 v83, v71, v87
	v_or_b32_e32 v80, v82, v86
	;; [unrolled: 1-line block ×3, first 2 shown]
	s_delay_alu instid0(VALU_DEP_4)
	v_or_b32_e32 v70, v54, v84
	s_and_saveexec_b32 s8, s3
	s_cbranch_execz .LBB302_2944
; %bb.2943:                             ;   in Loop: Header=BB302_2086 Depth=1
	v_dual_cndmask_b32 v0, 0, v87, vcc_lo :: v_dual_cndmask_b32 v1, 0, v86, s0
	v_dual_cndmask_b32 v6, 0, v71, s1 :: v_dual_cndmask_b32 v7, 0, v82, s2
	v_dual_cndmask_b32 v12, 0, v85, s4 :: v_dual_cndmask_b32 v18, 0, v84, s5
	;; [unrolled: 1-line block ×3, first 2 shown]
	s_delay_alu instid0(VALU_DEP_3) | instskip(NEXT) | instid1(VALU_DEP_4)
	v_or_b32_e32 v83, v0, v6
	v_or_b32_e32 v80, v1, v7
	s_delay_alu instid0(VALU_DEP_3) | instskip(NEXT) | instid1(VALU_DEP_4)
	v_or_b32_e32 v81, v12, v19
	v_or_b32_e32 v70, v18, v54
.LBB302_2944:                           ;   in Loop: Header=BB302_2086 Depth=1
	s_or_b32 exec_lo, exec_lo, s8
	;;#ASMSTART
	v_pk_mul_f16 v0, v112, v83;

	;;#ASMEND
	;;#ASMSTART
	v_pk_mul_f16 v1, v103, v80;

	;;#ASMEND
	;; [unrolled: 4-line block ×4, first 2 shown]
	;;#ASMSTART
	v_pk_add_f16 v0, v0, v1;

	;;#ASMEND
	;;#ASMSTART
	v_pk_add_f16 v0, v0, v6;

	;;#ASMEND
	;; [unrolled: 4-line block ×3, first 2 shown]
	v_and_b32_e32 v1, 0xffff, v0
	v_lshrrev_b32_e32 v0, 16, v0
	;;#ASMSTART
	v_cvt_f32_f16 v73, v1;
	;;#ASMEND
	v_mov_b32_e32 v1, 0
	;;#ASMSTART
	v_cvt_f32_f16 v74, v0;
	;;#ASMEND
	flat_load_b64 v[80:81], v[68:69] offset:3328
	flat_load_b32 v70, v[22:23]
	v_mov_b32_e32 v0, 0
	s_mov_b32 s23, exec_lo
	s_wait_loadcnt_dscnt 0x101
	v_and_b32_e32 v12, 0xff, v80
	s_wait_xcnt 0x0
	s_delay_alu instid0(VALU_DEP_1)
	v_cmpx_ne_u16_e32 0, v12
	s_cbranch_execz .LBB302_2952
; %bb.2945:                             ;   in Loop: Header=BB302_2086 Depth=1
	v_mov_b32_e32 v1, 0x8000
	s_mov_b32 s24, exec_lo
	v_cmpx_ne_u16_e32 0x80, v12
	s_cbranch_execz .LBB302_2951
; %bb.2946:                             ;   in Loop: Header=BB302_2086 Depth=1
	v_and_b32_e32 v18, 0x7f, v80
	v_mov_b32_e32 v1, 0x7c01
	s_mov_b32 s25, exec_lo
	s_delay_alu instid0(VALU_DEP_2)
	v_cmpx_ne_u32_e32 0x7f, v18
	s_cbranch_execz .LBB302_2950
; %bb.2947:                             ;   in Loop: Header=BB302_2086 Depth=1
	v_dual_lshrrev_b32 v12, 3, v18 :: v_dual_bitop2_b32 v1, 7, v80 bitop3:0x40
	s_mov_b32 s26, exec_lo
	v_cmpx_gt_u32_e32 8, v18
; %bb.2948:                             ;   in Loop: Header=BB302_2086 Depth=1
	s_delay_alu instid0(VALU_DEP_2) | instskip(NEXT) | instid1(VALU_DEP_1)
	v_clz_i32_u32_e32 v1, v1
	v_min_u32_e32 v1, 32, v1
	s_delay_alu instid0(VALU_DEP_1) | instskip(NEXT) | instid1(VALU_DEP_1)
	v_subrev_nc_u32_e32 v6, 28, v1
	v_lshlrev_b64_e32 v[6:7], v6, v[80:81]
	s_delay_alu instid0(VALU_DEP_1)
	v_dual_sub_nc_u32 v12, 29, v1 :: v_dual_bitop2_b32 v1, 7, v6 bitop3:0x40
; %bb.2949:                             ;   in Loop: Header=BB302_2086 Depth=1
	s_or_b32 exec_lo, exec_lo, s26
	s_delay_alu instid0(VALU_DEP_1) | instskip(NEXT) | instid1(VALU_DEP_2)
	v_dual_lshlrev_b32 v6, 8, v80 :: v_dual_lshlrev_b32 v1, 7, v1
	v_lshl_add_u32 v7, v12, 10, 0x2000
	s_delay_alu instid0(VALU_DEP_2) | instskip(NEXT) | instid1(VALU_DEP_2)
	v_and_b32_e32 v6, 0x8000, v6
	v_and_b32_e32 v7, 0xfc00, v7
	s_delay_alu instid0(VALU_DEP_1)
	v_or3_b32 v1, v6, v7, v1
.LBB302_2950:                           ;   in Loop: Header=BB302_2086 Depth=1
	s_or_b32 exec_lo, exec_lo, s25
.LBB302_2951:                           ;   in Loop: Header=BB302_2086 Depth=1
	s_delay_alu instid0(SALU_CYCLE_1)
	s_or_b32 exec_lo, exec_lo, s24
.LBB302_2952:                           ;   in Loop: Header=BB302_2086 Depth=1
	s_delay_alu instid0(SALU_CYCLE_1) | instskip(SKIP_2) | instid1(VALU_DEP_1)
	s_or_b32 exec_lo, exec_lo, s23
	v_lshrrev_b16 v54, 8, v80
	s_mov_b32 s23, exec_lo
	v_cmpx_ne_u16_e32 0, v54
	s_cbranch_execz .LBB302_2960
; %bb.2953:                             ;   in Loop: Header=BB302_2086 Depth=1
	v_bfrev_b32_e32 v0, 1
	s_mov_b32 s24, exec_lo
	v_cmpx_ne_u16_e32 0x80, v54
	s_cbranch_execz .LBB302_2959
; %bb.2954:                             ;   in Loop: Header=BB302_2086 Depth=1
	v_and_b32_e32 v12, 0xffff, v54
	v_mov_b32_e32 v0, 0x7c010000
	s_mov_b32 s25, exec_lo
	s_delay_alu instid0(VALU_DEP_2) | instskip(NEXT) | instid1(VALU_DEP_1)
	v_and_b32_e32 v19, 0x7f, v12
	v_cmpx_ne_u32_e32 0x7f, v19
	s_cbranch_execz .LBB302_2958
; %bb.2955:                             ;   in Loop: Header=BB302_2086 Depth=1
	v_dual_lshrrev_b32 v18, 3, v19 :: v_dual_bitop2_b32 v0, 7, v12 bitop3:0x40
	s_mov_b32 s26, exec_lo
	v_cmpx_gt_u32_e32 8, v19
; %bb.2956:                             ;   in Loop: Header=BB302_2086 Depth=1
	s_delay_alu instid0(VALU_DEP_2) | instskip(NEXT) | instid1(VALU_DEP_1)
	v_clz_i32_u32_e32 v0, v0
	v_min_u32_e32 v0, 32, v0
	s_delay_alu instid0(VALU_DEP_1) | instskip(NEXT) | instid1(VALU_DEP_1)
	v_subrev_nc_u32_e32 v6, 28, v0
	v_lshlrev_b64_e32 v[6:7], v6, v[54:55]
	s_delay_alu instid0(VALU_DEP_1)
	v_dual_sub_nc_u32 v18, 29, v0 :: v_dual_bitop2_b32 v0, 7, v6 bitop3:0x40
; %bb.2957:                             ;   in Loop: Header=BB302_2086 Depth=1
	s_or_b32 exec_lo, exec_lo, s26
	v_lshlrev_b32_e32 v6, 8, v12
	s_delay_alu instid0(VALU_DEP_2) | instskip(NEXT) | instid1(VALU_DEP_3)
	v_lshl_add_u32 v7, v18, 10, 0x2000
	v_lshlrev_b32_e32 v0, 23, v0
	s_delay_alu instid0(VALU_DEP_2) | instskip(NEXT) | instid1(VALU_DEP_1)
	v_and_or_b32 v6, 0x8000, v6, v7
	v_lshl_or_b32 v0, v6, 16, v0
.LBB302_2958:                           ;   in Loop: Header=BB302_2086 Depth=1
	s_or_b32 exec_lo, exec_lo, s25
.LBB302_2959:                           ;   in Loop: Header=BB302_2086 Depth=1
	s_delay_alu instid0(SALU_CYCLE_1)
	s_or_b32 exec_lo, exec_lo, s24
.LBB302_2960:                           ;   in Loop: Header=BB302_2086 Depth=1
	s_delay_alu instid0(SALU_CYCLE_1) | instskip(SKIP_3) | instid1(VALU_DEP_2)
	s_or_b32 exec_lo, exec_lo, s23
	v_dual_lshrrev_b32 v54, 16, v80 :: v_dual_mov_b32 v12, 0
	v_mov_b32_e32 v18, 0
	s_mov_b32 s23, exec_lo
	v_and_b32_e32 v19, 0xff, v54
	s_delay_alu instid0(VALU_DEP_1)
	v_cmpx_ne_u16_e32 0, v19
	s_cbranch_execz .LBB302_2968
; %bb.2961:                             ;   in Loop: Header=BB302_2086 Depth=1
	v_mov_b32_e32 v18, 0x8000
	s_mov_b32 s24, exec_lo
	v_cmpx_ne_u16_e32 0x80, v19
	s_cbranch_execz .LBB302_2967
; %bb.2962:                             ;   in Loop: Header=BB302_2086 Depth=1
	v_bfe_u32 v71, v80, 16, 7
	v_mov_b32_e32 v18, 0x7c01
	s_mov_b32 s25, exec_lo
	s_delay_alu instid0(VALU_DEP_2)
	v_cmpx_ne_u32_e32 0x7f, v71
	s_cbranch_execz .LBB302_2966
; %bb.2963:                             ;   in Loop: Header=BB302_2086 Depth=1
	v_dual_lshrrev_b32 v19, 3, v71 :: v_dual_bitop2_b32 v18, 7, v54 bitop3:0x40
	s_mov_b32 s26, exec_lo
	v_cmpx_gt_u32_e32 8, v71
; %bb.2964:                             ;   in Loop: Header=BB302_2086 Depth=1
	s_delay_alu instid0(VALU_DEP_2) | instskip(NEXT) | instid1(VALU_DEP_1)
	v_clz_i32_u32_e32 v6, v18
	v_min_u32_e32 v18, 32, v6
	s_delay_alu instid0(VALU_DEP_1) | instskip(SKIP_1) | instid1(VALU_DEP_2)
	v_subrev_nc_u32_e32 v6, 28, v18
	v_sub_nc_u32_e32 v19, 29, v18
	v_lshlrev_b64_e32 v[6:7], v6, v[54:55]
	s_delay_alu instid0(VALU_DEP_1)
	v_and_b32_e32 v18, 7, v6
; %bb.2965:                             ;   in Loop: Header=BB302_2086 Depth=1
	s_or_b32 exec_lo, exec_lo, s26
	v_lshlrev_b32_e32 v6, 8, v54
	v_lshl_add_u32 v7, v19, 10, 0x2000
	s_delay_alu instid0(VALU_DEP_3) | instskip(NEXT) | instid1(VALU_DEP_3)
	v_lshlrev_b32_e32 v18, 7, v18
	v_and_b32_e32 v6, 0x8000, v6
	s_delay_alu instid0(VALU_DEP_3) | instskip(NEXT) | instid1(VALU_DEP_1)
	v_and_b32_e32 v7, 0xfc00, v7
	v_or3_b32 v18, v6, v7, v18
.LBB302_2966:                           ;   in Loop: Header=BB302_2086 Depth=1
	s_or_b32 exec_lo, exec_lo, s25
.LBB302_2967:                           ;   in Loop: Header=BB302_2086 Depth=1
	s_delay_alu instid0(SALU_CYCLE_1)
	s_or_b32 exec_lo, exec_lo, s24
.LBB302_2968:                           ;   in Loop: Header=BB302_2086 Depth=1
	s_delay_alu instid0(SALU_CYCLE_1) | instskip(NEXT) | instid1(SALU_CYCLE_1)
	s_or_b32 exec_lo, exec_lo, s23
	s_mov_b32 s23, exec_lo
	v_cmpx_lt_u32_e32 0xffffff, v80
	s_cbranch_execz .LBB302_2976
; %bb.2969:                             ;   in Loop: Header=BB302_2086 Depth=1
	v_lshrrev_b32_e32 v54, 24, v80
	v_bfrev_b32_e32 v12, 1
	s_mov_b32 s24, exec_lo
	s_delay_alu instid0(VALU_DEP_2)
	v_cmpx_ne_u32_e32 0x80, v54
	s_cbranch_execz .LBB302_2975
; %bb.2970:                             ;   in Loop: Header=BB302_2086 Depth=1
	v_and_b32_e32 v71, 0x7f, v54
	v_mov_b32_e32 v12, 0x7c010000
	s_mov_b32 s25, exec_lo
	s_delay_alu instid0(VALU_DEP_2)
	v_cmpx_ne_u32_e32 0x7f, v71
	s_cbranch_execz .LBB302_2974
; %bb.2971:                             ;   in Loop: Header=BB302_2086 Depth=1
	v_dual_lshrrev_b32 v19, 3, v71 :: v_dual_bitop2_b32 v12, 7, v54 bitop3:0x40
	s_mov_b32 s26, exec_lo
	v_cmpx_gt_u32_e32 8, v71
; %bb.2972:                             ;   in Loop: Header=BB302_2086 Depth=1
	s_delay_alu instid0(VALU_DEP_2) | instskip(NEXT) | instid1(VALU_DEP_1)
	v_clz_i32_u32_e32 v6, v12
	v_min_u32_e32 v12, 32, v6
	s_delay_alu instid0(VALU_DEP_1) | instskip(NEXT) | instid1(VALU_DEP_1)
	v_subrev_nc_u32_e32 v6, 28, v12
	v_lshlrev_b64_e32 v[6:7], v6, v[54:55]
	s_delay_alu instid0(VALU_DEP_1)
	v_dual_sub_nc_u32 v19, 29, v12 :: v_dual_bitop2_b32 v12, 7, v6 bitop3:0x40
; %bb.2973:                             ;   in Loop: Header=BB302_2086 Depth=1
	s_or_b32 exec_lo, exec_lo, s26
	v_lshlrev_b32_e32 v6, 8, v54
	s_delay_alu instid0(VALU_DEP_2) | instskip(NEXT) | instid1(VALU_DEP_1)
	v_lshl_add_u32 v7, v19, 10, 0x2000
	v_and_or_b32 v6, 0x8000, v6, v7
	v_lshlrev_b32_e32 v7, 23, v12
	s_delay_alu instid0(VALU_DEP_1)
	v_lshl_or_b32 v12, v6, 16, v7
.LBB302_2974:                           ;   in Loop: Header=BB302_2086 Depth=1
	s_or_b32 exec_lo, exec_lo, s25
.LBB302_2975:                           ;   in Loop: Header=BB302_2086 Depth=1
	s_delay_alu instid0(SALU_CYCLE_1)
	s_or_b32 exec_lo, exec_lo, s24
.LBB302_2976:                           ;   in Loop: Header=BB302_2086 Depth=1
	s_delay_alu instid0(SALU_CYCLE_1) | instskip(SKIP_4) | instid1(VALU_DEP_3)
	s_or_b32 exec_lo, exec_lo, s23
	v_and_b32_e32 v82, 0xff, v81
	v_dual_mov_b32 v54, v81 :: v_dual_mov_b32 v71, 0
	v_mov_b32_e32 v19, 0
	s_mov_b32 s23, exec_lo
	v_cmpx_ne_u16_e32 0, v82
	s_cbranch_execz .LBB302_2984
; %bb.2977:                             ;   in Loop: Header=BB302_2086 Depth=1
	v_mov_b32_e32 v19, 0x8000
	s_mov_b32 s24, exec_lo
	v_cmpx_ne_u16_e32 0x80, v82
	s_cbranch_execz .LBB302_2983
; %bb.2978:                             ;   in Loop: Header=BB302_2086 Depth=1
	v_and_b32_e32 v83, 0x7f, v81
	v_mov_b32_e32 v19, 0x7c01
	s_mov_b32 s25, exec_lo
	s_delay_alu instid0(VALU_DEP_2)
	v_cmpx_ne_u32_e32 0x7f, v83
	s_cbranch_execz .LBB302_2982
; %bb.2979:                             ;   in Loop: Header=BB302_2086 Depth=1
	v_dual_lshrrev_b32 v82, 3, v83 :: v_dual_bitop2_b32 v19, 7, v81 bitop3:0x40
	s_mov_b32 s26, exec_lo
	v_cmpx_gt_u32_e32 8, v83
; %bb.2980:                             ;   in Loop: Header=BB302_2086 Depth=1
	s_delay_alu instid0(VALU_DEP_2) | instskip(NEXT) | instid1(VALU_DEP_1)
	v_clz_i32_u32_e32 v6, v19
	v_min_u32_e32 v19, 32, v6
	s_delay_alu instid0(VALU_DEP_1) | instskip(NEXT) | instid1(VALU_DEP_1)
	v_subrev_nc_u32_e32 v6, 28, v19
	v_lshlrev_b64_e32 v[6:7], v6, v[54:55]
	s_delay_alu instid0(VALU_DEP_1)
	v_dual_sub_nc_u32 v82, 29, v19 :: v_dual_bitop2_b32 v19, 7, v6 bitop3:0x40
; %bb.2981:                             ;   in Loop: Header=BB302_2086 Depth=1
	s_or_b32 exec_lo, exec_lo, s26
	s_delay_alu instid0(VALU_DEP_1) | instskip(NEXT) | instid1(VALU_DEP_2)
	v_dual_lshlrev_b32 v6, 8, v81 :: v_dual_lshlrev_b32 v19, 7, v19
	v_lshl_add_u32 v7, v82, 10, 0x2000
	s_delay_alu instid0(VALU_DEP_2) | instskip(NEXT) | instid1(VALU_DEP_2)
	v_and_b32_e32 v6, 0x8000, v6
	v_and_b32_e32 v7, 0xfc00, v7
	s_delay_alu instid0(VALU_DEP_1)
	v_or3_b32 v19, v6, v7, v19
.LBB302_2982:                           ;   in Loop: Header=BB302_2086 Depth=1
	s_or_b32 exec_lo, exec_lo, s25
.LBB302_2983:                           ;   in Loop: Header=BB302_2086 Depth=1
	s_delay_alu instid0(SALU_CYCLE_1)
	s_or_b32 exec_lo, exec_lo, s24
.LBB302_2984:                           ;   in Loop: Header=BB302_2086 Depth=1
	s_delay_alu instid0(SALU_CYCLE_1) | instskip(SKIP_3) | instid1(VALU_DEP_2)
	s_or_b32 exec_lo, exec_lo, s23
	v_lshrrev_b16 v54, 8, v54
	v_mov_b32_e32 v82, 0
	s_mov_b32 s23, exec_lo
	v_cmpx_ne_u16_e32 0, v54
	s_cbranch_execz .LBB302_2992
; %bb.2985:                             ;   in Loop: Header=BB302_2086 Depth=1
	v_bfrev_b32_e32 v82, 1
	s_mov_b32 s24, exec_lo
	v_cmpx_ne_u16_e32 0x80, v54
	s_cbranch_execz .LBB302_2991
; %bb.2986:                             ;   in Loop: Header=BB302_2086 Depth=1
	v_and_b32_e32 v83, 0xffff, v54
	v_mov_b32_e32 v82, 0x7c010000
	s_mov_b32 s25, exec_lo
	s_delay_alu instid0(VALU_DEP_2) | instskip(NEXT) | instid1(VALU_DEP_1)
	v_and_b32_e32 v85, 0x7f, v83
	v_cmpx_ne_u32_e32 0x7f, v85
	s_cbranch_execz .LBB302_2990
; %bb.2987:                             ;   in Loop: Header=BB302_2086 Depth=1
	v_dual_lshrrev_b32 v84, 3, v85 :: v_dual_bitop2_b32 v82, 7, v83 bitop3:0x40
	s_mov_b32 s26, exec_lo
	v_cmpx_gt_u32_e32 8, v85
; %bb.2988:                             ;   in Loop: Header=BB302_2086 Depth=1
	s_delay_alu instid0(VALU_DEP_2) | instskip(NEXT) | instid1(VALU_DEP_1)
	v_clz_i32_u32_e32 v6, v82
	v_min_u32_e32 v64, 32, v6
	s_delay_alu instid0(VALU_DEP_1) | instskip(NEXT) | instid1(VALU_DEP_1)
	v_subrev_nc_u32_e32 v6, 28, v64
	v_lshlrev_b64_e32 v[6:7], v6, v[54:55]
	s_delay_alu instid0(VALU_DEP_1)
	v_dual_sub_nc_u32 v84, 29, v64 :: v_dual_bitop2_b32 v82, 7, v6 bitop3:0x40
; %bb.2989:                             ;   in Loop: Header=BB302_2086 Depth=1
	s_or_b32 exec_lo, exec_lo, s26
	v_lshlrev_b32_e32 v6, 8, v83
	s_delay_alu instid0(VALU_DEP_2) | instskip(NEXT) | instid1(VALU_DEP_1)
	v_lshl_add_u32 v7, v84, 10, 0x2000
	v_and_or_b32 v6, 0x8000, v6, v7
	v_lshlrev_b32_e32 v7, 23, v82
	s_delay_alu instid0(VALU_DEP_1)
	v_lshl_or_b32 v82, v6, 16, v7
.LBB302_2990:                           ;   in Loop: Header=BB302_2086 Depth=1
	s_or_b32 exec_lo, exec_lo, s25
.LBB302_2991:                           ;   in Loop: Header=BB302_2086 Depth=1
	s_delay_alu instid0(SALU_CYCLE_1)
	s_or_b32 exec_lo, exec_lo, s24
.LBB302_2992:                           ;   in Loop: Header=BB302_2086 Depth=1
	s_delay_alu instid0(SALU_CYCLE_1) | instskip(SKIP_2) | instid1(VALU_DEP_1)
	s_or_b32 exec_lo, exec_lo, s23
	v_lshrrev_b32_e32 v54, 16, v81
	s_mov_b32 s23, exec_lo
	v_and_b32_e32 v83, 0xff, v54
	s_delay_alu instid0(VALU_DEP_1)
	v_cmpx_ne_u16_e32 0, v83
	s_cbranch_execz .LBB302_3000
; %bb.2993:                             ;   in Loop: Header=BB302_2086 Depth=1
	v_mov_b32_e32 v71, 0x8000
	s_mov_b32 s24, exec_lo
	v_cmpx_ne_u16_e32 0x80, v83
	s_cbranch_execz .LBB302_2999
; %bb.2994:                             ;   in Loop: Header=BB302_2086 Depth=1
	v_bfe_u32 v84, v81, 16, 7
	v_mov_b32_e32 v71, 0x7c01
	s_mov_b32 s25, exec_lo
	s_delay_alu instid0(VALU_DEP_2)
	v_cmpx_ne_u32_e32 0x7f, v84
	s_cbranch_execz .LBB302_2998
; %bb.2995:                             ;   in Loop: Header=BB302_2086 Depth=1
	v_dual_lshrrev_b32 v83, 3, v84 :: v_dual_bitop2_b32 v71, 7, v54 bitop3:0x40
	s_mov_b32 s26, exec_lo
	v_cmpx_gt_u32_e32 8, v84
; %bb.2996:                             ;   in Loop: Header=BB302_2086 Depth=1
	s_delay_alu instid0(VALU_DEP_2) | instskip(NEXT) | instid1(VALU_DEP_1)
	v_clz_i32_u32_e32 v6, v71
	v_min_u32_e32 v64, 32, v6
	s_delay_alu instid0(VALU_DEP_1) | instskip(NEXT) | instid1(VALU_DEP_1)
	v_subrev_nc_u32_e32 v6, 28, v64
	v_lshlrev_b64_e32 v[6:7], v6, v[54:55]
	s_delay_alu instid0(VALU_DEP_1)
	v_dual_sub_nc_u32 v83, 29, v64 :: v_dual_bitop2_b32 v71, 7, v6 bitop3:0x40
; %bb.2997:                             ;   in Loop: Header=BB302_2086 Depth=1
	s_or_b32 exec_lo, exec_lo, s26
	s_delay_alu instid0(VALU_DEP_1) | instskip(NEXT) | instid1(VALU_DEP_2)
	v_dual_lshlrev_b32 v6, 8, v54 :: v_dual_lshlrev_b32 v54, 7, v71
	v_lshl_add_u32 v7, v83, 10, 0x2000
	s_delay_alu instid0(VALU_DEP_2) | instskip(NEXT) | instid1(VALU_DEP_2)
	v_and_b32_e32 v6, 0x8000, v6
	v_and_b32_e32 v7, 0xfc00, v7
	s_delay_alu instid0(VALU_DEP_1)
	v_or3_b32 v71, v6, v7, v54
.LBB302_2998:                           ;   in Loop: Header=BB302_2086 Depth=1
	s_or_b32 exec_lo, exec_lo, s25
.LBB302_2999:                           ;   in Loop: Header=BB302_2086 Depth=1
	s_delay_alu instid0(SALU_CYCLE_1)
	s_or_b32 exec_lo, exec_lo, s24
.LBB302_3000:                           ;   in Loop: Header=BB302_2086 Depth=1
	s_delay_alu instid0(SALU_CYCLE_1)
	s_or_b32 exec_lo, exec_lo, s23
	v_cmp_lt_u64_e64 s8, s[16:17], v[80:81]
	v_mov_b32_e32 v80, 0
	s_and_saveexec_b32 s23, s8
	s_cbranch_execz .LBB302_3008
; %bb.3001:                             ;   in Loop: Header=BB302_2086 Depth=1
	v_lshrrev_b32_e32 v54, 24, v81
	v_bfrev_b32_e32 v80, 1
	s_mov_b32 s24, exec_lo
	s_delay_alu instid0(VALU_DEP_2)
	v_cmpx_ne_u32_e32 0x80, v54
	s_cbranch_execz .LBB302_3007
; %bb.3002:                             ;   in Loop: Header=BB302_2086 Depth=1
	v_and_b32_e32 v83, 0x7f, v54
	v_mov_b32_e32 v80, 0x7c010000
	s_mov_b32 s25, exec_lo
	s_delay_alu instid0(VALU_DEP_2)
	v_cmpx_ne_u32_e32 0x7f, v83
	s_cbranch_execz .LBB302_3006
; %bb.3003:                             ;   in Loop: Header=BB302_2086 Depth=1
	v_dual_lshrrev_b32 v81, 3, v83 :: v_dual_bitop2_b32 v80, 7, v54 bitop3:0x40
	s_mov_b32 s26, exec_lo
	v_cmpx_gt_u32_e32 8, v83
; %bb.3004:                             ;   in Loop: Header=BB302_2086 Depth=1
	s_delay_alu instid0(VALU_DEP_2) | instskip(NEXT) | instid1(VALU_DEP_1)
	v_clz_i32_u32_e32 v6, v80
	v_min_u32_e32 v64, 32, v6
	s_delay_alu instid0(VALU_DEP_1) | instskip(NEXT) | instid1(VALU_DEP_1)
	v_subrev_nc_u32_e32 v6, 28, v64
	v_lshlrev_b64_e32 v[6:7], v6, v[54:55]
	s_delay_alu instid0(VALU_DEP_1)
	v_dual_sub_nc_u32 v81, 29, v64 :: v_dual_bitop2_b32 v80, 7, v6 bitop3:0x40
; %bb.3005:                             ;   in Loop: Header=BB302_2086 Depth=1
	s_or_b32 exec_lo, exec_lo, s26
	v_lshlrev_b32_e32 v6, 8, v54
	s_delay_alu instid0(VALU_DEP_2) | instskip(NEXT) | instid1(VALU_DEP_1)
	v_lshl_add_u32 v7, v81, 10, 0x2000
	v_and_or_b32 v6, 0x8000, v6, v7
	v_lshlrev_b32_e32 v7, 23, v80
	s_delay_alu instid0(VALU_DEP_1)
	v_lshl_or_b32 v80, v6, 16, v7
.LBB302_3006:                           ;   in Loop: Header=BB302_2086 Depth=1
	s_or_b32 exec_lo, exec_lo, s25
.LBB302_3007:                           ;   in Loop: Header=BB302_2086 Depth=1
	s_delay_alu instid0(SALU_CYCLE_1)
	s_or_b32 exec_lo, exec_lo, s24
.LBB302_3008:                           ;   in Loop: Header=BB302_2086 Depth=1
	s_delay_alu instid0(SALU_CYCLE_1) | instskip(SKIP_3) | instid1(VALU_DEP_3)
	s_or_b32 exec_lo, exec_lo, s23
	v_dual_lshrrev_b32 v6, 16, v0 :: v_dual_bitop2_b32 v54, v0, v1 bitop3:0x54
	v_dual_lshrrev_b32 v7, 16, v12 :: v_dual_bitop2_b32 v12, v12, v18 bitop3:0x54
	;; [unrolled: 1-line block ×3, first 2 shown]
	v_cvt_f32_f16_e32 v1, v6
	s_delay_alu instid0(VALU_DEP_3)
	v_cvt_f32_f16_e32 v0, v7
	v_lshrrev_b32_e32 v65, 16, v80
	v_cvt_f32_f16_e32 v6, v12
	v_or_b32_e32 v12, v82, v19
	v_cvt_f32_f16_e32 v7, v54
	s_wait_loadcnt_dscnt 0x0
	v_pk_mul_f32 v[0:1], v[70:71], v[0:1] op_sel_hi:[0,1]
	v_cvt_f32_f16_e32 v19, v18
	v_cvt_f32_f16_e32 v18, v65
	v_cvt_f32_f16_e32 v64, v64
	v_cvt_f32_f16_e32 v65, v12
	v_pk_mul_f32 v[6:7], v[70:71], v[6:7] op_sel_hi:[0,1]
	v_cvt_pk_f16_f32 v12, v0, v1
	v_pk_mul_f32 v[0:1], v[70:71], v[18:19] op_sel_hi:[0,1]
	s_delay_alu instid0(VALU_DEP_4) | instskip(NEXT) | instid1(VALU_DEP_4)
	v_pk_mul_f32 v[18:19], v[70:71], v[64:65] op_sel_hi:[0,1]
	v_cvt_pk_f16_f32 v6, v6, v7
	s_delay_alu instid0(VALU_DEP_4) | instskip(NEXT) | instid1(VALU_DEP_4)
	v_and_b32_e32 v71, 0xffff0000, v12
	v_cvt_pk_f16_f32 v0, v0, v1
	v_lshlrev_b32_e32 v82, 16, v12
	v_cvt_pk_f16_f32 v1, v18, v19
	v_lshrrev_b32_e32 v87, 16, v6
	v_and_b32_e32 v86, 0xffff, v6
	v_and_b32_e32 v19, 0xffff0000, v0
	s_delay_alu instid0(VALU_DEP_4) | instskip(SKIP_3) | instid1(VALU_DEP_4)
	v_dual_lshlrev_b32 v54, 16, v0 :: v_dual_lshrrev_b32 v85, 16, v1
	v_and_b32_e32 v84, 0xffff, v1
	v_or_b32_e32 v83, v71, v87
	v_or_b32_e32 v80, v82, v86
	;; [unrolled: 1-line block ×3, first 2 shown]
	s_delay_alu instid0(VALU_DEP_4)
	v_or_b32_e32 v70, v54, v84
	s_and_saveexec_b32 s8, s3
	s_cbranch_execz .LBB302_3010
; %bb.3009:                             ;   in Loop: Header=BB302_2086 Depth=1
	v_dual_cndmask_b32 v0, 0, v87, vcc_lo :: v_dual_cndmask_b32 v1, 0, v86, s0
	v_dual_cndmask_b32 v6, 0, v71, s1 :: v_dual_cndmask_b32 v7, 0, v82, s2
	v_dual_cndmask_b32 v12, 0, v85, s4 :: v_dual_cndmask_b32 v18, 0, v84, s5
	;; [unrolled: 1-line block ×3, first 2 shown]
	s_delay_alu instid0(VALU_DEP_3) | instskip(NEXT) | instid1(VALU_DEP_4)
	v_or_b32_e32 v83, v0, v6
	v_or_b32_e32 v80, v1, v7
	s_delay_alu instid0(VALU_DEP_3) | instskip(NEXT) | instid1(VALU_DEP_4)
	v_or_b32_e32 v81, v12, v19
	v_or_b32_e32 v70, v18, v54
.LBB302_3010:                           ;   in Loop: Header=BB302_2086 Depth=1
	s_or_b32 exec_lo, exec_lo, s8
	;;#ASMSTART
	v_pk_mul_f16 v0, v112, v83;

	;;#ASMEND
	;;#ASMSTART
	v_pk_mul_f16 v1, v103, v80;

	;;#ASMEND
	;; [unrolled: 4-line block ×4, first 2 shown]
	;;#ASMSTART
	v_pk_add_f16 v0, v0, v1;

	;;#ASMEND
	;;#ASMSTART
	v_pk_add_f16 v0, v0, v6;

	;;#ASMEND
	;; [unrolled: 4-line block ×3, first 2 shown]
	v_and_b32_e32 v1, 0xffff, v0
	v_lshrrev_b32_e32 v0, 16, v0
	;;#ASMSTART
	v_cvt_f32_f16 v75, v1;
	;;#ASMEND
	v_mov_b32_e32 v1, 0
	;;#ASMSTART
	v_cvt_f32_f16 v76, v0;
	;;#ASMEND
	flat_load_b64 v[80:81], v[68:69] offset:3584
	flat_load_b32 v70, v[22:23]
	v_mov_b32_e32 v0, 0
	s_mov_b32 s23, exec_lo
	s_wait_loadcnt_dscnt 0x101
	v_and_b32_e32 v12, 0xff, v80
	s_wait_xcnt 0x0
	s_delay_alu instid0(VALU_DEP_1)
	v_cmpx_ne_u16_e32 0, v12
	s_cbranch_execz .LBB302_3018
; %bb.3011:                             ;   in Loop: Header=BB302_2086 Depth=1
	v_mov_b32_e32 v1, 0x8000
	s_mov_b32 s24, exec_lo
	v_cmpx_ne_u16_e32 0x80, v12
	s_cbranch_execz .LBB302_3017
; %bb.3012:                             ;   in Loop: Header=BB302_2086 Depth=1
	v_and_b32_e32 v18, 0x7f, v80
	v_mov_b32_e32 v1, 0x7c01
	s_mov_b32 s25, exec_lo
	s_delay_alu instid0(VALU_DEP_2)
	v_cmpx_ne_u32_e32 0x7f, v18
	s_cbranch_execz .LBB302_3016
; %bb.3013:                             ;   in Loop: Header=BB302_2086 Depth=1
	v_dual_lshrrev_b32 v12, 3, v18 :: v_dual_bitop2_b32 v1, 7, v80 bitop3:0x40
	s_mov_b32 s26, exec_lo
	v_cmpx_gt_u32_e32 8, v18
; %bb.3014:                             ;   in Loop: Header=BB302_2086 Depth=1
	s_delay_alu instid0(VALU_DEP_2) | instskip(NEXT) | instid1(VALU_DEP_1)
	v_clz_i32_u32_e32 v1, v1
	v_min_u32_e32 v1, 32, v1
	s_delay_alu instid0(VALU_DEP_1) | instskip(NEXT) | instid1(VALU_DEP_1)
	v_subrev_nc_u32_e32 v6, 28, v1
	v_lshlrev_b64_e32 v[6:7], v6, v[80:81]
	s_delay_alu instid0(VALU_DEP_1)
	v_dual_sub_nc_u32 v12, 29, v1 :: v_dual_bitop2_b32 v1, 7, v6 bitop3:0x40
; %bb.3015:                             ;   in Loop: Header=BB302_2086 Depth=1
	s_or_b32 exec_lo, exec_lo, s26
	s_delay_alu instid0(VALU_DEP_1) | instskip(NEXT) | instid1(VALU_DEP_2)
	v_dual_lshlrev_b32 v6, 8, v80 :: v_dual_lshlrev_b32 v1, 7, v1
	v_lshl_add_u32 v7, v12, 10, 0x2000
	s_delay_alu instid0(VALU_DEP_2) | instskip(NEXT) | instid1(VALU_DEP_2)
	v_and_b32_e32 v6, 0x8000, v6
	v_and_b32_e32 v7, 0xfc00, v7
	s_delay_alu instid0(VALU_DEP_1)
	v_or3_b32 v1, v6, v7, v1
.LBB302_3016:                           ;   in Loop: Header=BB302_2086 Depth=1
	s_or_b32 exec_lo, exec_lo, s25
.LBB302_3017:                           ;   in Loop: Header=BB302_2086 Depth=1
	s_delay_alu instid0(SALU_CYCLE_1)
	s_or_b32 exec_lo, exec_lo, s24
.LBB302_3018:                           ;   in Loop: Header=BB302_2086 Depth=1
	s_delay_alu instid0(SALU_CYCLE_1) | instskip(SKIP_2) | instid1(VALU_DEP_1)
	s_or_b32 exec_lo, exec_lo, s23
	v_lshrrev_b16 v54, 8, v80
	s_mov_b32 s23, exec_lo
	v_cmpx_ne_u16_e32 0, v54
	s_cbranch_execz .LBB302_3026
; %bb.3019:                             ;   in Loop: Header=BB302_2086 Depth=1
	v_bfrev_b32_e32 v0, 1
	s_mov_b32 s24, exec_lo
	v_cmpx_ne_u16_e32 0x80, v54
	s_cbranch_execz .LBB302_3025
; %bb.3020:                             ;   in Loop: Header=BB302_2086 Depth=1
	v_and_b32_e32 v12, 0xffff, v54
	v_mov_b32_e32 v0, 0x7c010000
	s_mov_b32 s25, exec_lo
	s_delay_alu instid0(VALU_DEP_2) | instskip(NEXT) | instid1(VALU_DEP_1)
	v_and_b32_e32 v19, 0x7f, v12
	v_cmpx_ne_u32_e32 0x7f, v19
	s_cbranch_execz .LBB302_3024
; %bb.3021:                             ;   in Loop: Header=BB302_2086 Depth=1
	v_dual_lshrrev_b32 v18, 3, v19 :: v_dual_bitop2_b32 v0, 7, v12 bitop3:0x40
	s_mov_b32 s26, exec_lo
	v_cmpx_gt_u32_e32 8, v19
; %bb.3022:                             ;   in Loop: Header=BB302_2086 Depth=1
	s_delay_alu instid0(VALU_DEP_2) | instskip(NEXT) | instid1(VALU_DEP_1)
	v_clz_i32_u32_e32 v0, v0
	v_min_u32_e32 v0, 32, v0
	s_delay_alu instid0(VALU_DEP_1) | instskip(NEXT) | instid1(VALU_DEP_1)
	v_subrev_nc_u32_e32 v6, 28, v0
	v_lshlrev_b64_e32 v[6:7], v6, v[54:55]
	s_delay_alu instid0(VALU_DEP_1)
	v_dual_sub_nc_u32 v18, 29, v0 :: v_dual_bitop2_b32 v0, 7, v6 bitop3:0x40
; %bb.3023:                             ;   in Loop: Header=BB302_2086 Depth=1
	s_or_b32 exec_lo, exec_lo, s26
	v_lshlrev_b32_e32 v6, 8, v12
	s_delay_alu instid0(VALU_DEP_2) | instskip(NEXT) | instid1(VALU_DEP_3)
	v_lshl_add_u32 v7, v18, 10, 0x2000
	v_lshlrev_b32_e32 v0, 23, v0
	s_delay_alu instid0(VALU_DEP_2) | instskip(NEXT) | instid1(VALU_DEP_1)
	v_and_or_b32 v6, 0x8000, v6, v7
	v_lshl_or_b32 v0, v6, 16, v0
.LBB302_3024:                           ;   in Loop: Header=BB302_2086 Depth=1
	s_or_b32 exec_lo, exec_lo, s25
.LBB302_3025:                           ;   in Loop: Header=BB302_2086 Depth=1
	s_delay_alu instid0(SALU_CYCLE_1)
	s_or_b32 exec_lo, exec_lo, s24
.LBB302_3026:                           ;   in Loop: Header=BB302_2086 Depth=1
	s_delay_alu instid0(SALU_CYCLE_1) | instskip(SKIP_3) | instid1(VALU_DEP_2)
	s_or_b32 exec_lo, exec_lo, s23
	v_dual_lshrrev_b32 v54, 16, v80 :: v_dual_mov_b32 v12, 0
	v_mov_b32_e32 v18, 0
	s_mov_b32 s23, exec_lo
	v_and_b32_e32 v19, 0xff, v54
	s_delay_alu instid0(VALU_DEP_1)
	v_cmpx_ne_u16_e32 0, v19
	s_cbranch_execz .LBB302_3034
; %bb.3027:                             ;   in Loop: Header=BB302_2086 Depth=1
	v_mov_b32_e32 v18, 0x8000
	s_mov_b32 s24, exec_lo
	v_cmpx_ne_u16_e32 0x80, v19
	s_cbranch_execz .LBB302_3033
; %bb.3028:                             ;   in Loop: Header=BB302_2086 Depth=1
	v_bfe_u32 v71, v80, 16, 7
	v_mov_b32_e32 v18, 0x7c01
	s_mov_b32 s25, exec_lo
	s_delay_alu instid0(VALU_DEP_2)
	v_cmpx_ne_u32_e32 0x7f, v71
	s_cbranch_execz .LBB302_3032
; %bb.3029:                             ;   in Loop: Header=BB302_2086 Depth=1
	v_dual_lshrrev_b32 v19, 3, v71 :: v_dual_bitop2_b32 v18, 7, v54 bitop3:0x40
	s_mov_b32 s26, exec_lo
	v_cmpx_gt_u32_e32 8, v71
; %bb.3030:                             ;   in Loop: Header=BB302_2086 Depth=1
	s_delay_alu instid0(VALU_DEP_2) | instskip(NEXT) | instid1(VALU_DEP_1)
	v_clz_i32_u32_e32 v6, v18
	v_min_u32_e32 v18, 32, v6
	s_delay_alu instid0(VALU_DEP_1) | instskip(SKIP_1) | instid1(VALU_DEP_2)
	v_subrev_nc_u32_e32 v6, 28, v18
	v_sub_nc_u32_e32 v19, 29, v18
	v_lshlrev_b64_e32 v[6:7], v6, v[54:55]
	s_delay_alu instid0(VALU_DEP_1)
	v_and_b32_e32 v18, 7, v6
; %bb.3031:                             ;   in Loop: Header=BB302_2086 Depth=1
	s_or_b32 exec_lo, exec_lo, s26
	v_lshlrev_b32_e32 v6, 8, v54
	v_lshl_add_u32 v7, v19, 10, 0x2000
	s_delay_alu instid0(VALU_DEP_3) | instskip(NEXT) | instid1(VALU_DEP_3)
	v_lshlrev_b32_e32 v18, 7, v18
	v_and_b32_e32 v6, 0x8000, v6
	s_delay_alu instid0(VALU_DEP_3) | instskip(NEXT) | instid1(VALU_DEP_1)
	v_and_b32_e32 v7, 0xfc00, v7
	v_or3_b32 v18, v6, v7, v18
.LBB302_3032:                           ;   in Loop: Header=BB302_2086 Depth=1
	s_or_b32 exec_lo, exec_lo, s25
.LBB302_3033:                           ;   in Loop: Header=BB302_2086 Depth=1
	s_delay_alu instid0(SALU_CYCLE_1)
	s_or_b32 exec_lo, exec_lo, s24
.LBB302_3034:                           ;   in Loop: Header=BB302_2086 Depth=1
	s_delay_alu instid0(SALU_CYCLE_1) | instskip(NEXT) | instid1(SALU_CYCLE_1)
	s_or_b32 exec_lo, exec_lo, s23
	s_mov_b32 s23, exec_lo
	v_cmpx_lt_u32_e32 0xffffff, v80
	s_cbranch_execz .LBB302_3042
; %bb.3035:                             ;   in Loop: Header=BB302_2086 Depth=1
	v_lshrrev_b32_e32 v54, 24, v80
	v_bfrev_b32_e32 v12, 1
	s_mov_b32 s24, exec_lo
	s_delay_alu instid0(VALU_DEP_2)
	v_cmpx_ne_u32_e32 0x80, v54
	s_cbranch_execz .LBB302_3041
; %bb.3036:                             ;   in Loop: Header=BB302_2086 Depth=1
	v_and_b32_e32 v71, 0x7f, v54
	v_mov_b32_e32 v12, 0x7c010000
	s_mov_b32 s25, exec_lo
	s_delay_alu instid0(VALU_DEP_2)
	v_cmpx_ne_u32_e32 0x7f, v71
	s_cbranch_execz .LBB302_3040
; %bb.3037:                             ;   in Loop: Header=BB302_2086 Depth=1
	v_dual_lshrrev_b32 v19, 3, v71 :: v_dual_bitop2_b32 v12, 7, v54 bitop3:0x40
	s_mov_b32 s26, exec_lo
	v_cmpx_gt_u32_e32 8, v71
; %bb.3038:                             ;   in Loop: Header=BB302_2086 Depth=1
	s_delay_alu instid0(VALU_DEP_2) | instskip(NEXT) | instid1(VALU_DEP_1)
	v_clz_i32_u32_e32 v6, v12
	v_min_u32_e32 v12, 32, v6
	s_delay_alu instid0(VALU_DEP_1) | instskip(NEXT) | instid1(VALU_DEP_1)
	v_subrev_nc_u32_e32 v6, 28, v12
	v_lshlrev_b64_e32 v[6:7], v6, v[54:55]
	s_delay_alu instid0(VALU_DEP_1)
	v_dual_sub_nc_u32 v19, 29, v12 :: v_dual_bitop2_b32 v12, 7, v6 bitop3:0x40
; %bb.3039:                             ;   in Loop: Header=BB302_2086 Depth=1
	s_or_b32 exec_lo, exec_lo, s26
	v_lshlrev_b32_e32 v6, 8, v54
	s_delay_alu instid0(VALU_DEP_2) | instskip(NEXT) | instid1(VALU_DEP_1)
	v_lshl_add_u32 v7, v19, 10, 0x2000
	v_and_or_b32 v6, 0x8000, v6, v7
	v_lshlrev_b32_e32 v7, 23, v12
	s_delay_alu instid0(VALU_DEP_1)
	v_lshl_or_b32 v12, v6, 16, v7
.LBB302_3040:                           ;   in Loop: Header=BB302_2086 Depth=1
	s_or_b32 exec_lo, exec_lo, s25
.LBB302_3041:                           ;   in Loop: Header=BB302_2086 Depth=1
	s_delay_alu instid0(SALU_CYCLE_1)
	s_or_b32 exec_lo, exec_lo, s24
.LBB302_3042:                           ;   in Loop: Header=BB302_2086 Depth=1
	s_delay_alu instid0(SALU_CYCLE_1) | instskip(SKIP_4) | instid1(VALU_DEP_3)
	s_or_b32 exec_lo, exec_lo, s23
	v_and_b32_e32 v82, 0xff, v81
	v_dual_mov_b32 v54, v81 :: v_dual_mov_b32 v71, 0
	v_mov_b32_e32 v19, 0
	s_mov_b32 s23, exec_lo
	v_cmpx_ne_u16_e32 0, v82
	s_cbranch_execz .LBB302_3050
; %bb.3043:                             ;   in Loop: Header=BB302_2086 Depth=1
	v_mov_b32_e32 v19, 0x8000
	s_mov_b32 s24, exec_lo
	v_cmpx_ne_u16_e32 0x80, v82
	s_cbranch_execz .LBB302_3049
; %bb.3044:                             ;   in Loop: Header=BB302_2086 Depth=1
	v_and_b32_e32 v83, 0x7f, v81
	v_mov_b32_e32 v19, 0x7c01
	s_mov_b32 s25, exec_lo
	s_delay_alu instid0(VALU_DEP_2)
	v_cmpx_ne_u32_e32 0x7f, v83
	s_cbranch_execz .LBB302_3048
; %bb.3045:                             ;   in Loop: Header=BB302_2086 Depth=1
	v_dual_lshrrev_b32 v82, 3, v83 :: v_dual_bitop2_b32 v19, 7, v81 bitop3:0x40
	s_mov_b32 s26, exec_lo
	v_cmpx_gt_u32_e32 8, v83
; %bb.3046:                             ;   in Loop: Header=BB302_2086 Depth=1
	s_delay_alu instid0(VALU_DEP_2) | instskip(NEXT) | instid1(VALU_DEP_1)
	v_clz_i32_u32_e32 v6, v19
	v_min_u32_e32 v19, 32, v6
	s_delay_alu instid0(VALU_DEP_1) | instskip(NEXT) | instid1(VALU_DEP_1)
	v_subrev_nc_u32_e32 v6, 28, v19
	v_lshlrev_b64_e32 v[6:7], v6, v[54:55]
	s_delay_alu instid0(VALU_DEP_1)
	v_dual_sub_nc_u32 v82, 29, v19 :: v_dual_bitop2_b32 v19, 7, v6 bitop3:0x40
; %bb.3047:                             ;   in Loop: Header=BB302_2086 Depth=1
	s_or_b32 exec_lo, exec_lo, s26
	s_delay_alu instid0(VALU_DEP_1) | instskip(NEXT) | instid1(VALU_DEP_2)
	v_dual_lshlrev_b32 v6, 8, v81 :: v_dual_lshlrev_b32 v19, 7, v19
	v_lshl_add_u32 v7, v82, 10, 0x2000
	s_delay_alu instid0(VALU_DEP_2) | instskip(NEXT) | instid1(VALU_DEP_2)
	v_and_b32_e32 v6, 0x8000, v6
	v_and_b32_e32 v7, 0xfc00, v7
	s_delay_alu instid0(VALU_DEP_1)
	v_or3_b32 v19, v6, v7, v19
.LBB302_3048:                           ;   in Loop: Header=BB302_2086 Depth=1
	s_or_b32 exec_lo, exec_lo, s25
.LBB302_3049:                           ;   in Loop: Header=BB302_2086 Depth=1
	s_delay_alu instid0(SALU_CYCLE_1)
	s_or_b32 exec_lo, exec_lo, s24
.LBB302_3050:                           ;   in Loop: Header=BB302_2086 Depth=1
	s_delay_alu instid0(SALU_CYCLE_1) | instskip(SKIP_3) | instid1(VALU_DEP_2)
	s_or_b32 exec_lo, exec_lo, s23
	v_lshrrev_b16 v54, 8, v54
	v_mov_b32_e32 v82, 0
	s_mov_b32 s23, exec_lo
	v_cmpx_ne_u16_e32 0, v54
	s_cbranch_execz .LBB302_3058
; %bb.3051:                             ;   in Loop: Header=BB302_2086 Depth=1
	v_bfrev_b32_e32 v82, 1
	s_mov_b32 s24, exec_lo
	v_cmpx_ne_u16_e32 0x80, v54
	s_cbranch_execz .LBB302_3057
; %bb.3052:                             ;   in Loop: Header=BB302_2086 Depth=1
	v_and_b32_e32 v83, 0xffff, v54
	v_mov_b32_e32 v82, 0x7c010000
	s_mov_b32 s25, exec_lo
	s_delay_alu instid0(VALU_DEP_2) | instskip(NEXT) | instid1(VALU_DEP_1)
	v_and_b32_e32 v85, 0x7f, v83
	v_cmpx_ne_u32_e32 0x7f, v85
	s_cbranch_execz .LBB302_3056
; %bb.3053:                             ;   in Loop: Header=BB302_2086 Depth=1
	v_dual_lshrrev_b32 v84, 3, v85 :: v_dual_bitop2_b32 v82, 7, v83 bitop3:0x40
	s_mov_b32 s26, exec_lo
	v_cmpx_gt_u32_e32 8, v85
; %bb.3054:                             ;   in Loop: Header=BB302_2086 Depth=1
	s_delay_alu instid0(VALU_DEP_2) | instskip(NEXT) | instid1(VALU_DEP_1)
	v_clz_i32_u32_e32 v6, v82
	v_min_u32_e32 v64, 32, v6
	s_delay_alu instid0(VALU_DEP_1) | instskip(NEXT) | instid1(VALU_DEP_1)
	v_subrev_nc_u32_e32 v6, 28, v64
	v_lshlrev_b64_e32 v[6:7], v6, v[54:55]
	s_delay_alu instid0(VALU_DEP_1)
	v_dual_sub_nc_u32 v84, 29, v64 :: v_dual_bitop2_b32 v82, 7, v6 bitop3:0x40
; %bb.3055:                             ;   in Loop: Header=BB302_2086 Depth=1
	s_or_b32 exec_lo, exec_lo, s26
	v_lshlrev_b32_e32 v6, 8, v83
	s_delay_alu instid0(VALU_DEP_2) | instskip(NEXT) | instid1(VALU_DEP_1)
	v_lshl_add_u32 v7, v84, 10, 0x2000
	v_and_or_b32 v6, 0x8000, v6, v7
	v_lshlrev_b32_e32 v7, 23, v82
	s_delay_alu instid0(VALU_DEP_1)
	v_lshl_or_b32 v82, v6, 16, v7
.LBB302_3056:                           ;   in Loop: Header=BB302_2086 Depth=1
	s_or_b32 exec_lo, exec_lo, s25
.LBB302_3057:                           ;   in Loop: Header=BB302_2086 Depth=1
	s_delay_alu instid0(SALU_CYCLE_1)
	s_or_b32 exec_lo, exec_lo, s24
.LBB302_3058:                           ;   in Loop: Header=BB302_2086 Depth=1
	s_delay_alu instid0(SALU_CYCLE_1) | instskip(SKIP_2) | instid1(VALU_DEP_1)
	s_or_b32 exec_lo, exec_lo, s23
	v_lshrrev_b32_e32 v54, 16, v81
	s_mov_b32 s23, exec_lo
	v_and_b32_e32 v83, 0xff, v54
	s_delay_alu instid0(VALU_DEP_1)
	v_cmpx_ne_u16_e32 0, v83
	s_cbranch_execz .LBB302_3066
; %bb.3059:                             ;   in Loop: Header=BB302_2086 Depth=1
	v_mov_b32_e32 v71, 0x8000
	s_mov_b32 s24, exec_lo
	v_cmpx_ne_u16_e32 0x80, v83
	s_cbranch_execz .LBB302_3065
; %bb.3060:                             ;   in Loop: Header=BB302_2086 Depth=1
	v_bfe_u32 v84, v81, 16, 7
	v_mov_b32_e32 v71, 0x7c01
	s_mov_b32 s25, exec_lo
	s_delay_alu instid0(VALU_DEP_2)
	v_cmpx_ne_u32_e32 0x7f, v84
	s_cbranch_execz .LBB302_3064
; %bb.3061:                             ;   in Loop: Header=BB302_2086 Depth=1
	v_dual_lshrrev_b32 v83, 3, v84 :: v_dual_bitop2_b32 v71, 7, v54 bitop3:0x40
	s_mov_b32 s26, exec_lo
	v_cmpx_gt_u32_e32 8, v84
; %bb.3062:                             ;   in Loop: Header=BB302_2086 Depth=1
	s_delay_alu instid0(VALU_DEP_2) | instskip(NEXT) | instid1(VALU_DEP_1)
	v_clz_i32_u32_e32 v6, v71
	v_min_u32_e32 v64, 32, v6
	s_delay_alu instid0(VALU_DEP_1) | instskip(NEXT) | instid1(VALU_DEP_1)
	v_subrev_nc_u32_e32 v6, 28, v64
	v_lshlrev_b64_e32 v[6:7], v6, v[54:55]
	s_delay_alu instid0(VALU_DEP_1)
	v_dual_sub_nc_u32 v83, 29, v64 :: v_dual_bitop2_b32 v71, 7, v6 bitop3:0x40
; %bb.3063:                             ;   in Loop: Header=BB302_2086 Depth=1
	s_or_b32 exec_lo, exec_lo, s26
	s_delay_alu instid0(VALU_DEP_1) | instskip(NEXT) | instid1(VALU_DEP_2)
	v_dual_lshlrev_b32 v6, 8, v54 :: v_dual_lshlrev_b32 v54, 7, v71
	v_lshl_add_u32 v7, v83, 10, 0x2000
	s_delay_alu instid0(VALU_DEP_2) | instskip(NEXT) | instid1(VALU_DEP_2)
	v_and_b32_e32 v6, 0x8000, v6
	v_and_b32_e32 v7, 0xfc00, v7
	s_delay_alu instid0(VALU_DEP_1)
	v_or3_b32 v71, v6, v7, v54
.LBB302_3064:                           ;   in Loop: Header=BB302_2086 Depth=1
	s_or_b32 exec_lo, exec_lo, s25
.LBB302_3065:                           ;   in Loop: Header=BB302_2086 Depth=1
	s_delay_alu instid0(SALU_CYCLE_1)
	s_or_b32 exec_lo, exec_lo, s24
.LBB302_3066:                           ;   in Loop: Header=BB302_2086 Depth=1
	s_delay_alu instid0(SALU_CYCLE_1)
	s_or_b32 exec_lo, exec_lo, s23
	v_cmp_lt_u64_e64 s8, s[16:17], v[80:81]
	v_mov_b32_e32 v80, 0
	s_and_saveexec_b32 s23, s8
	s_cbranch_execz .LBB302_3074
; %bb.3067:                             ;   in Loop: Header=BB302_2086 Depth=1
	v_lshrrev_b32_e32 v54, 24, v81
	v_bfrev_b32_e32 v80, 1
	s_mov_b32 s24, exec_lo
	s_delay_alu instid0(VALU_DEP_2)
	v_cmpx_ne_u32_e32 0x80, v54
	s_cbranch_execz .LBB302_3073
; %bb.3068:                             ;   in Loop: Header=BB302_2086 Depth=1
	v_and_b32_e32 v83, 0x7f, v54
	v_mov_b32_e32 v80, 0x7c010000
	s_mov_b32 s25, exec_lo
	s_delay_alu instid0(VALU_DEP_2)
	v_cmpx_ne_u32_e32 0x7f, v83
	s_cbranch_execz .LBB302_3072
; %bb.3069:                             ;   in Loop: Header=BB302_2086 Depth=1
	v_dual_lshrrev_b32 v81, 3, v83 :: v_dual_bitop2_b32 v80, 7, v54 bitop3:0x40
	s_mov_b32 s26, exec_lo
	v_cmpx_gt_u32_e32 8, v83
; %bb.3070:                             ;   in Loop: Header=BB302_2086 Depth=1
	s_delay_alu instid0(VALU_DEP_2) | instskip(NEXT) | instid1(VALU_DEP_1)
	v_clz_i32_u32_e32 v6, v80
	v_min_u32_e32 v64, 32, v6
	s_delay_alu instid0(VALU_DEP_1) | instskip(NEXT) | instid1(VALU_DEP_1)
	v_subrev_nc_u32_e32 v6, 28, v64
	v_lshlrev_b64_e32 v[6:7], v6, v[54:55]
	s_delay_alu instid0(VALU_DEP_1)
	v_dual_sub_nc_u32 v81, 29, v64 :: v_dual_bitop2_b32 v80, 7, v6 bitop3:0x40
; %bb.3071:                             ;   in Loop: Header=BB302_2086 Depth=1
	s_or_b32 exec_lo, exec_lo, s26
	v_lshlrev_b32_e32 v6, 8, v54
	s_delay_alu instid0(VALU_DEP_2) | instskip(NEXT) | instid1(VALU_DEP_1)
	v_lshl_add_u32 v7, v81, 10, 0x2000
	v_and_or_b32 v6, 0x8000, v6, v7
	v_lshlrev_b32_e32 v7, 23, v80
	s_delay_alu instid0(VALU_DEP_1)
	v_lshl_or_b32 v80, v6, 16, v7
.LBB302_3072:                           ;   in Loop: Header=BB302_2086 Depth=1
	s_or_b32 exec_lo, exec_lo, s25
.LBB302_3073:                           ;   in Loop: Header=BB302_2086 Depth=1
	s_delay_alu instid0(SALU_CYCLE_1)
	s_or_b32 exec_lo, exec_lo, s24
.LBB302_3074:                           ;   in Loop: Header=BB302_2086 Depth=1
	s_delay_alu instid0(SALU_CYCLE_1) | instskip(SKIP_3) | instid1(VALU_DEP_3)
	s_or_b32 exec_lo, exec_lo, s23
	v_dual_lshrrev_b32 v6, 16, v0 :: v_dual_bitop2_b32 v54, v0, v1 bitop3:0x54
	v_dual_lshrrev_b32 v7, 16, v12 :: v_dual_bitop2_b32 v12, v12, v18 bitop3:0x54
	;; [unrolled: 1-line block ×3, first 2 shown]
	v_cvt_f32_f16_e32 v1, v6
	s_delay_alu instid0(VALU_DEP_3)
	v_cvt_f32_f16_e32 v0, v7
	v_lshrrev_b32_e32 v65, 16, v80
	v_cvt_f32_f16_e32 v6, v12
	v_or_b32_e32 v12, v82, v19
	v_cvt_f32_f16_e32 v7, v54
	s_wait_loadcnt_dscnt 0x0
	v_pk_mul_f32 v[0:1], v[70:71], v[0:1] op_sel_hi:[0,1]
	v_cvt_f32_f16_e32 v19, v18
	v_cvt_f32_f16_e32 v18, v65
	;; [unrolled: 1-line block ×4, first 2 shown]
	v_pk_mul_f32 v[6:7], v[70:71], v[6:7] op_sel_hi:[0,1]
	v_cvt_pk_f16_f32 v12, v0, v1
	v_pk_mul_f32 v[0:1], v[70:71], v[18:19] op_sel_hi:[0,1]
	s_delay_alu instid0(VALU_DEP_4) | instskip(NEXT) | instid1(VALU_DEP_4)
	v_pk_mul_f32 v[18:19], v[70:71], v[64:65] op_sel_hi:[0,1]
	v_cvt_pk_f16_f32 v6, v6, v7
	s_delay_alu instid0(VALU_DEP_4) | instskip(NEXT) | instid1(VALU_DEP_4)
	v_and_b32_e32 v71, 0xffff0000, v12
	v_cvt_pk_f16_f32 v0, v0, v1
	v_lshlrev_b32_e32 v82, 16, v12
	v_cvt_pk_f16_f32 v1, v18, v19
	v_lshrrev_b32_e32 v87, 16, v6
	v_and_b32_e32 v86, 0xffff, v6
	v_and_b32_e32 v19, 0xffff0000, v0
	s_delay_alu instid0(VALU_DEP_4) | instskip(SKIP_3) | instid1(VALU_DEP_4)
	v_dual_lshlrev_b32 v54, 16, v0 :: v_dual_lshrrev_b32 v85, 16, v1
	v_and_b32_e32 v84, 0xffff, v1
	v_or_b32_e32 v83, v71, v87
	v_or_b32_e32 v80, v82, v86
	;; [unrolled: 1-line block ×3, first 2 shown]
	s_delay_alu instid0(VALU_DEP_4)
	v_or_b32_e32 v70, v54, v84
	s_and_saveexec_b32 s8, s3
	s_cbranch_execz .LBB302_3076
; %bb.3075:                             ;   in Loop: Header=BB302_2086 Depth=1
	v_dual_cndmask_b32 v0, 0, v87, vcc_lo :: v_dual_cndmask_b32 v1, 0, v86, s0
	v_dual_cndmask_b32 v6, 0, v71, s1 :: v_dual_cndmask_b32 v7, 0, v82, s2
	v_dual_cndmask_b32 v12, 0, v85, s4 :: v_dual_cndmask_b32 v18, 0, v84, s5
	v_dual_cndmask_b32 v19, 0, v19, s6 :: v_dual_cndmask_b32 v54, 0, v54, s7
	s_delay_alu instid0(VALU_DEP_3) | instskip(NEXT) | instid1(VALU_DEP_4)
	v_or_b32_e32 v83, v0, v6
	v_or_b32_e32 v80, v1, v7
	s_delay_alu instid0(VALU_DEP_3) | instskip(NEXT) | instid1(VALU_DEP_4)
	v_or_b32_e32 v81, v12, v19
	v_or_b32_e32 v70, v18, v54
.LBB302_3076:                           ;   in Loop: Header=BB302_2086 Depth=1
	s_or_b32 exec_lo, exec_lo, s8
	;;#ASMSTART
	v_pk_mul_f16 v0, v112, v83;

	;;#ASMEND
	;;#ASMSTART
	v_pk_mul_f16 v1, v103, v80;

	;;#ASMEND
	;; [unrolled: 4-line block ×4, first 2 shown]
	;;#ASMSTART
	v_pk_add_f16 v0, v0, v1;

	;;#ASMEND
	;;#ASMSTART
	v_pk_add_f16 v0, v0, v6;

	;;#ASMEND
	;; [unrolled: 4-line block ×3, first 2 shown]
	v_and_b32_e32 v1, 0xffff, v0
	v_lshrrev_b32_e32 v0, 16, v0
	;;#ASMSTART
	v_cvt_f32_f16 v77, v1;
	;;#ASMEND
	v_mov_b32_e32 v1, 0
	;;#ASMSTART
	v_cvt_f32_f16 v78, v0;
	;;#ASMEND
	flat_load_b64 v[80:81], v[68:69] offset:3840
	flat_load_b32 v70, v[22:23]
	v_mov_b32_e32 v0, 0
	s_mov_b32 s23, exec_lo
	s_wait_loadcnt_dscnt 0x101
	v_and_b32_e32 v12, 0xff, v80
	s_wait_xcnt 0x0
	s_delay_alu instid0(VALU_DEP_1)
	v_cmpx_ne_u16_e32 0, v12
	s_cbranch_execz .LBB302_3084
; %bb.3077:                             ;   in Loop: Header=BB302_2086 Depth=1
	v_mov_b32_e32 v1, 0x8000
	s_mov_b32 s24, exec_lo
	v_cmpx_ne_u16_e32 0x80, v12
	s_cbranch_execz .LBB302_3083
; %bb.3078:                             ;   in Loop: Header=BB302_2086 Depth=1
	v_and_b32_e32 v18, 0x7f, v80
	v_mov_b32_e32 v1, 0x7c01
	s_mov_b32 s25, exec_lo
	s_delay_alu instid0(VALU_DEP_2)
	v_cmpx_ne_u32_e32 0x7f, v18
	s_cbranch_execz .LBB302_3082
; %bb.3079:                             ;   in Loop: Header=BB302_2086 Depth=1
	v_dual_lshrrev_b32 v12, 3, v18 :: v_dual_bitop2_b32 v1, 7, v80 bitop3:0x40
	s_mov_b32 s26, exec_lo
	v_cmpx_gt_u32_e32 8, v18
; %bb.3080:                             ;   in Loop: Header=BB302_2086 Depth=1
	s_delay_alu instid0(VALU_DEP_2) | instskip(NEXT) | instid1(VALU_DEP_1)
	v_clz_i32_u32_e32 v1, v1
	v_min_u32_e32 v1, 32, v1
	s_delay_alu instid0(VALU_DEP_1) | instskip(NEXT) | instid1(VALU_DEP_1)
	v_subrev_nc_u32_e32 v6, 28, v1
	v_lshlrev_b64_e32 v[6:7], v6, v[80:81]
	s_delay_alu instid0(VALU_DEP_1)
	v_dual_sub_nc_u32 v12, 29, v1 :: v_dual_bitop2_b32 v1, 7, v6 bitop3:0x40
; %bb.3081:                             ;   in Loop: Header=BB302_2086 Depth=1
	s_or_b32 exec_lo, exec_lo, s26
	s_delay_alu instid0(VALU_DEP_1) | instskip(NEXT) | instid1(VALU_DEP_2)
	v_dual_lshlrev_b32 v6, 8, v80 :: v_dual_lshlrev_b32 v1, 7, v1
	v_lshl_add_u32 v7, v12, 10, 0x2000
	s_delay_alu instid0(VALU_DEP_2) | instskip(NEXT) | instid1(VALU_DEP_2)
	v_and_b32_e32 v6, 0x8000, v6
	v_and_b32_e32 v7, 0xfc00, v7
	s_delay_alu instid0(VALU_DEP_1)
	v_or3_b32 v1, v6, v7, v1
.LBB302_3082:                           ;   in Loop: Header=BB302_2086 Depth=1
	s_or_b32 exec_lo, exec_lo, s25
.LBB302_3083:                           ;   in Loop: Header=BB302_2086 Depth=1
	s_delay_alu instid0(SALU_CYCLE_1)
	s_or_b32 exec_lo, exec_lo, s24
.LBB302_3084:                           ;   in Loop: Header=BB302_2086 Depth=1
	s_delay_alu instid0(SALU_CYCLE_1) | instskip(SKIP_2) | instid1(VALU_DEP_1)
	s_or_b32 exec_lo, exec_lo, s23
	v_lshrrev_b16 v54, 8, v80
	s_mov_b32 s23, exec_lo
	v_cmpx_ne_u16_e32 0, v54
	s_cbranch_execz .LBB302_3092
; %bb.3085:                             ;   in Loop: Header=BB302_2086 Depth=1
	v_bfrev_b32_e32 v0, 1
	s_mov_b32 s24, exec_lo
	v_cmpx_ne_u16_e32 0x80, v54
	s_cbranch_execz .LBB302_3091
; %bb.3086:                             ;   in Loop: Header=BB302_2086 Depth=1
	v_and_b32_e32 v12, 0xffff, v54
	v_mov_b32_e32 v0, 0x7c010000
	s_mov_b32 s25, exec_lo
	s_delay_alu instid0(VALU_DEP_2) | instskip(NEXT) | instid1(VALU_DEP_1)
	v_and_b32_e32 v19, 0x7f, v12
	v_cmpx_ne_u32_e32 0x7f, v19
	s_cbranch_execz .LBB302_3090
; %bb.3087:                             ;   in Loop: Header=BB302_2086 Depth=1
	v_dual_lshrrev_b32 v18, 3, v19 :: v_dual_bitop2_b32 v0, 7, v12 bitop3:0x40
	s_mov_b32 s26, exec_lo
	v_cmpx_gt_u32_e32 8, v19
; %bb.3088:                             ;   in Loop: Header=BB302_2086 Depth=1
	s_delay_alu instid0(VALU_DEP_2) | instskip(NEXT) | instid1(VALU_DEP_1)
	v_clz_i32_u32_e32 v0, v0
	v_min_u32_e32 v0, 32, v0
	s_delay_alu instid0(VALU_DEP_1) | instskip(NEXT) | instid1(VALU_DEP_1)
	v_subrev_nc_u32_e32 v6, 28, v0
	v_lshlrev_b64_e32 v[6:7], v6, v[54:55]
	s_delay_alu instid0(VALU_DEP_1)
	v_dual_sub_nc_u32 v18, 29, v0 :: v_dual_bitop2_b32 v0, 7, v6 bitop3:0x40
; %bb.3089:                             ;   in Loop: Header=BB302_2086 Depth=1
	s_or_b32 exec_lo, exec_lo, s26
	v_lshlrev_b32_e32 v6, 8, v12
	s_delay_alu instid0(VALU_DEP_2) | instskip(NEXT) | instid1(VALU_DEP_3)
	v_lshl_add_u32 v7, v18, 10, 0x2000
	v_lshlrev_b32_e32 v0, 23, v0
	s_delay_alu instid0(VALU_DEP_2) | instskip(NEXT) | instid1(VALU_DEP_1)
	v_and_or_b32 v6, 0x8000, v6, v7
	v_lshl_or_b32 v0, v6, 16, v0
.LBB302_3090:                           ;   in Loop: Header=BB302_2086 Depth=1
	s_or_b32 exec_lo, exec_lo, s25
.LBB302_3091:                           ;   in Loop: Header=BB302_2086 Depth=1
	s_delay_alu instid0(SALU_CYCLE_1)
	s_or_b32 exec_lo, exec_lo, s24
.LBB302_3092:                           ;   in Loop: Header=BB302_2086 Depth=1
	s_delay_alu instid0(SALU_CYCLE_1) | instskip(SKIP_3) | instid1(VALU_DEP_2)
	s_or_b32 exec_lo, exec_lo, s23
	v_dual_lshrrev_b32 v54, 16, v80 :: v_dual_mov_b32 v12, 0
	v_mov_b32_e32 v18, 0
	s_mov_b32 s23, exec_lo
	v_and_b32_e32 v19, 0xff, v54
	s_delay_alu instid0(VALU_DEP_1)
	v_cmpx_ne_u16_e32 0, v19
	s_cbranch_execz .LBB302_3100
; %bb.3093:                             ;   in Loop: Header=BB302_2086 Depth=1
	v_mov_b32_e32 v18, 0x8000
	s_mov_b32 s24, exec_lo
	v_cmpx_ne_u16_e32 0x80, v19
	s_cbranch_execz .LBB302_3099
; %bb.3094:                             ;   in Loop: Header=BB302_2086 Depth=1
	v_bfe_u32 v71, v80, 16, 7
	v_mov_b32_e32 v18, 0x7c01
	s_mov_b32 s25, exec_lo
	s_delay_alu instid0(VALU_DEP_2)
	v_cmpx_ne_u32_e32 0x7f, v71
	s_cbranch_execz .LBB302_3098
; %bb.3095:                             ;   in Loop: Header=BB302_2086 Depth=1
	v_dual_lshrrev_b32 v19, 3, v71 :: v_dual_bitop2_b32 v18, 7, v54 bitop3:0x40
	s_mov_b32 s26, exec_lo
	v_cmpx_gt_u32_e32 8, v71
; %bb.3096:                             ;   in Loop: Header=BB302_2086 Depth=1
	s_delay_alu instid0(VALU_DEP_2) | instskip(NEXT) | instid1(VALU_DEP_1)
	v_clz_i32_u32_e32 v6, v18
	v_min_u32_e32 v18, 32, v6
	s_delay_alu instid0(VALU_DEP_1) | instskip(SKIP_1) | instid1(VALU_DEP_2)
	v_subrev_nc_u32_e32 v6, 28, v18
	v_sub_nc_u32_e32 v19, 29, v18
	v_lshlrev_b64_e32 v[6:7], v6, v[54:55]
	s_delay_alu instid0(VALU_DEP_1)
	v_and_b32_e32 v18, 7, v6
; %bb.3097:                             ;   in Loop: Header=BB302_2086 Depth=1
	s_or_b32 exec_lo, exec_lo, s26
	v_lshlrev_b32_e32 v6, 8, v54
	v_lshl_add_u32 v7, v19, 10, 0x2000
	s_delay_alu instid0(VALU_DEP_3) | instskip(NEXT) | instid1(VALU_DEP_3)
	v_lshlrev_b32_e32 v18, 7, v18
	v_and_b32_e32 v6, 0x8000, v6
	s_delay_alu instid0(VALU_DEP_3) | instskip(NEXT) | instid1(VALU_DEP_1)
	v_and_b32_e32 v7, 0xfc00, v7
	v_or3_b32 v18, v6, v7, v18
.LBB302_3098:                           ;   in Loop: Header=BB302_2086 Depth=1
	s_or_b32 exec_lo, exec_lo, s25
.LBB302_3099:                           ;   in Loop: Header=BB302_2086 Depth=1
	s_delay_alu instid0(SALU_CYCLE_1)
	s_or_b32 exec_lo, exec_lo, s24
.LBB302_3100:                           ;   in Loop: Header=BB302_2086 Depth=1
	s_delay_alu instid0(SALU_CYCLE_1) | instskip(NEXT) | instid1(SALU_CYCLE_1)
	s_or_b32 exec_lo, exec_lo, s23
	s_mov_b32 s23, exec_lo
	v_cmpx_lt_u32_e32 0xffffff, v80
	s_cbranch_execz .LBB302_3108
; %bb.3101:                             ;   in Loop: Header=BB302_2086 Depth=1
	v_lshrrev_b32_e32 v54, 24, v80
	v_bfrev_b32_e32 v12, 1
	s_mov_b32 s24, exec_lo
	s_delay_alu instid0(VALU_DEP_2)
	v_cmpx_ne_u32_e32 0x80, v54
	s_cbranch_execz .LBB302_3107
; %bb.3102:                             ;   in Loop: Header=BB302_2086 Depth=1
	v_and_b32_e32 v71, 0x7f, v54
	v_mov_b32_e32 v12, 0x7c010000
	s_mov_b32 s25, exec_lo
	s_delay_alu instid0(VALU_DEP_2)
	v_cmpx_ne_u32_e32 0x7f, v71
	s_cbranch_execz .LBB302_3106
; %bb.3103:                             ;   in Loop: Header=BB302_2086 Depth=1
	v_dual_lshrrev_b32 v19, 3, v71 :: v_dual_bitop2_b32 v12, 7, v54 bitop3:0x40
	s_mov_b32 s26, exec_lo
	v_cmpx_gt_u32_e32 8, v71
; %bb.3104:                             ;   in Loop: Header=BB302_2086 Depth=1
	s_delay_alu instid0(VALU_DEP_2) | instskip(NEXT) | instid1(VALU_DEP_1)
	v_clz_i32_u32_e32 v6, v12
	v_min_u32_e32 v12, 32, v6
	s_delay_alu instid0(VALU_DEP_1) | instskip(NEXT) | instid1(VALU_DEP_1)
	v_subrev_nc_u32_e32 v6, 28, v12
	v_lshlrev_b64_e32 v[6:7], v6, v[54:55]
	s_delay_alu instid0(VALU_DEP_1)
	v_dual_sub_nc_u32 v19, 29, v12 :: v_dual_bitop2_b32 v12, 7, v6 bitop3:0x40
; %bb.3105:                             ;   in Loop: Header=BB302_2086 Depth=1
	s_or_b32 exec_lo, exec_lo, s26
	v_lshlrev_b32_e32 v6, 8, v54
	s_delay_alu instid0(VALU_DEP_2) | instskip(NEXT) | instid1(VALU_DEP_1)
	v_lshl_add_u32 v7, v19, 10, 0x2000
	v_and_or_b32 v6, 0x8000, v6, v7
	v_lshlrev_b32_e32 v7, 23, v12
	s_delay_alu instid0(VALU_DEP_1)
	v_lshl_or_b32 v12, v6, 16, v7
.LBB302_3106:                           ;   in Loop: Header=BB302_2086 Depth=1
	s_or_b32 exec_lo, exec_lo, s25
.LBB302_3107:                           ;   in Loop: Header=BB302_2086 Depth=1
	s_delay_alu instid0(SALU_CYCLE_1)
	s_or_b32 exec_lo, exec_lo, s24
.LBB302_3108:                           ;   in Loop: Header=BB302_2086 Depth=1
	s_delay_alu instid0(SALU_CYCLE_1) | instskip(SKIP_4) | instid1(VALU_DEP_3)
	s_or_b32 exec_lo, exec_lo, s23
	v_and_b32_e32 v82, 0xff, v81
	v_dual_mov_b32 v54, v81 :: v_dual_mov_b32 v71, 0
	v_mov_b32_e32 v19, 0
	s_mov_b32 s23, exec_lo
	v_cmpx_ne_u16_e32 0, v82
	s_cbranch_execz .LBB302_3116
; %bb.3109:                             ;   in Loop: Header=BB302_2086 Depth=1
	v_mov_b32_e32 v19, 0x8000
	s_mov_b32 s24, exec_lo
	v_cmpx_ne_u16_e32 0x80, v82
	s_cbranch_execz .LBB302_3115
; %bb.3110:                             ;   in Loop: Header=BB302_2086 Depth=1
	v_and_b32_e32 v83, 0x7f, v81
	v_mov_b32_e32 v19, 0x7c01
	s_mov_b32 s25, exec_lo
	s_delay_alu instid0(VALU_DEP_2)
	v_cmpx_ne_u32_e32 0x7f, v83
	s_cbranch_execz .LBB302_3114
; %bb.3111:                             ;   in Loop: Header=BB302_2086 Depth=1
	v_dual_lshrrev_b32 v82, 3, v83 :: v_dual_bitop2_b32 v19, 7, v81 bitop3:0x40
	s_mov_b32 s26, exec_lo
	v_cmpx_gt_u32_e32 8, v83
; %bb.3112:                             ;   in Loop: Header=BB302_2086 Depth=1
	s_delay_alu instid0(VALU_DEP_2) | instskip(NEXT) | instid1(VALU_DEP_1)
	v_clz_i32_u32_e32 v6, v19
	v_min_u32_e32 v19, 32, v6
	s_delay_alu instid0(VALU_DEP_1) | instskip(NEXT) | instid1(VALU_DEP_1)
	v_subrev_nc_u32_e32 v6, 28, v19
	v_lshlrev_b64_e32 v[6:7], v6, v[54:55]
	s_delay_alu instid0(VALU_DEP_1)
	v_dual_sub_nc_u32 v82, 29, v19 :: v_dual_bitop2_b32 v19, 7, v6 bitop3:0x40
; %bb.3113:                             ;   in Loop: Header=BB302_2086 Depth=1
	s_or_b32 exec_lo, exec_lo, s26
	s_delay_alu instid0(VALU_DEP_1) | instskip(NEXT) | instid1(VALU_DEP_2)
	v_dual_lshlrev_b32 v6, 8, v81 :: v_dual_lshlrev_b32 v19, 7, v19
	v_lshl_add_u32 v7, v82, 10, 0x2000
	s_delay_alu instid0(VALU_DEP_2) | instskip(NEXT) | instid1(VALU_DEP_2)
	v_and_b32_e32 v6, 0x8000, v6
	v_and_b32_e32 v7, 0xfc00, v7
	s_delay_alu instid0(VALU_DEP_1)
	v_or3_b32 v19, v6, v7, v19
.LBB302_3114:                           ;   in Loop: Header=BB302_2086 Depth=1
	s_or_b32 exec_lo, exec_lo, s25
.LBB302_3115:                           ;   in Loop: Header=BB302_2086 Depth=1
	s_delay_alu instid0(SALU_CYCLE_1)
	s_or_b32 exec_lo, exec_lo, s24
.LBB302_3116:                           ;   in Loop: Header=BB302_2086 Depth=1
	s_delay_alu instid0(SALU_CYCLE_1) | instskip(SKIP_3) | instid1(VALU_DEP_2)
	s_or_b32 exec_lo, exec_lo, s23
	v_lshrrev_b16 v54, 8, v54
	v_mov_b32_e32 v82, 0
	s_mov_b32 s23, exec_lo
	v_cmpx_ne_u16_e32 0, v54
	s_cbranch_execz .LBB302_3124
; %bb.3117:                             ;   in Loop: Header=BB302_2086 Depth=1
	v_bfrev_b32_e32 v82, 1
	s_mov_b32 s24, exec_lo
	v_cmpx_ne_u16_e32 0x80, v54
	s_cbranch_execz .LBB302_3123
; %bb.3118:                             ;   in Loop: Header=BB302_2086 Depth=1
	v_and_b32_e32 v83, 0xffff, v54
	v_mov_b32_e32 v82, 0x7c010000
	s_mov_b32 s25, exec_lo
	s_delay_alu instid0(VALU_DEP_2) | instskip(NEXT) | instid1(VALU_DEP_1)
	v_and_b32_e32 v85, 0x7f, v83
	v_cmpx_ne_u32_e32 0x7f, v85
	s_cbranch_execz .LBB302_3122
; %bb.3119:                             ;   in Loop: Header=BB302_2086 Depth=1
	v_dual_lshrrev_b32 v84, 3, v85 :: v_dual_bitop2_b32 v82, 7, v83 bitop3:0x40
	s_mov_b32 s26, exec_lo
	v_cmpx_gt_u32_e32 8, v85
; %bb.3120:                             ;   in Loop: Header=BB302_2086 Depth=1
	s_delay_alu instid0(VALU_DEP_2) | instskip(NEXT) | instid1(VALU_DEP_1)
	v_clz_i32_u32_e32 v6, v82
	v_min_u32_e32 v64, 32, v6
	s_delay_alu instid0(VALU_DEP_1) | instskip(NEXT) | instid1(VALU_DEP_1)
	v_subrev_nc_u32_e32 v6, 28, v64
	v_lshlrev_b64_e32 v[6:7], v6, v[54:55]
	s_delay_alu instid0(VALU_DEP_1)
	v_dual_sub_nc_u32 v84, 29, v64 :: v_dual_bitop2_b32 v82, 7, v6 bitop3:0x40
; %bb.3121:                             ;   in Loop: Header=BB302_2086 Depth=1
	s_or_b32 exec_lo, exec_lo, s26
	v_lshlrev_b32_e32 v6, 8, v83
	s_delay_alu instid0(VALU_DEP_2) | instskip(NEXT) | instid1(VALU_DEP_1)
	v_lshl_add_u32 v7, v84, 10, 0x2000
	v_and_or_b32 v6, 0x8000, v6, v7
	v_lshlrev_b32_e32 v7, 23, v82
	s_delay_alu instid0(VALU_DEP_1)
	v_lshl_or_b32 v82, v6, 16, v7
.LBB302_3122:                           ;   in Loop: Header=BB302_2086 Depth=1
	s_or_b32 exec_lo, exec_lo, s25
.LBB302_3123:                           ;   in Loop: Header=BB302_2086 Depth=1
	s_delay_alu instid0(SALU_CYCLE_1)
	s_or_b32 exec_lo, exec_lo, s24
.LBB302_3124:                           ;   in Loop: Header=BB302_2086 Depth=1
	s_delay_alu instid0(SALU_CYCLE_1) | instskip(SKIP_2) | instid1(VALU_DEP_1)
	s_or_b32 exec_lo, exec_lo, s23
	v_lshrrev_b32_e32 v54, 16, v81
	s_mov_b32 s23, exec_lo
	v_and_b32_e32 v83, 0xff, v54
	s_delay_alu instid0(VALU_DEP_1)
	v_cmpx_ne_u16_e32 0, v83
	s_cbranch_execz .LBB302_3132
; %bb.3125:                             ;   in Loop: Header=BB302_2086 Depth=1
	v_mov_b32_e32 v71, 0x8000
	s_mov_b32 s24, exec_lo
	v_cmpx_ne_u16_e32 0x80, v83
	s_cbranch_execz .LBB302_3131
; %bb.3126:                             ;   in Loop: Header=BB302_2086 Depth=1
	v_bfe_u32 v84, v81, 16, 7
	v_mov_b32_e32 v71, 0x7c01
	s_mov_b32 s25, exec_lo
	s_delay_alu instid0(VALU_DEP_2)
	v_cmpx_ne_u32_e32 0x7f, v84
	s_cbranch_execz .LBB302_3130
; %bb.3127:                             ;   in Loop: Header=BB302_2086 Depth=1
	v_dual_lshrrev_b32 v83, 3, v84 :: v_dual_bitop2_b32 v71, 7, v54 bitop3:0x40
	s_mov_b32 s26, exec_lo
	v_cmpx_gt_u32_e32 8, v84
; %bb.3128:                             ;   in Loop: Header=BB302_2086 Depth=1
	s_delay_alu instid0(VALU_DEP_2) | instskip(NEXT) | instid1(VALU_DEP_1)
	v_clz_i32_u32_e32 v6, v71
	v_min_u32_e32 v64, 32, v6
	s_delay_alu instid0(VALU_DEP_1) | instskip(NEXT) | instid1(VALU_DEP_1)
	v_subrev_nc_u32_e32 v6, 28, v64
	v_lshlrev_b64_e32 v[6:7], v6, v[54:55]
	s_delay_alu instid0(VALU_DEP_1)
	v_dual_sub_nc_u32 v83, 29, v64 :: v_dual_bitop2_b32 v71, 7, v6 bitop3:0x40
; %bb.3129:                             ;   in Loop: Header=BB302_2086 Depth=1
	s_or_b32 exec_lo, exec_lo, s26
	s_delay_alu instid0(VALU_DEP_1) | instskip(NEXT) | instid1(VALU_DEP_2)
	v_dual_lshlrev_b32 v6, 8, v54 :: v_dual_lshlrev_b32 v54, 7, v71
	v_lshl_add_u32 v7, v83, 10, 0x2000
	s_delay_alu instid0(VALU_DEP_2) | instskip(NEXT) | instid1(VALU_DEP_2)
	v_and_b32_e32 v6, 0x8000, v6
	v_and_b32_e32 v7, 0xfc00, v7
	s_delay_alu instid0(VALU_DEP_1)
	v_or3_b32 v71, v6, v7, v54
.LBB302_3130:                           ;   in Loop: Header=BB302_2086 Depth=1
	s_or_b32 exec_lo, exec_lo, s25
.LBB302_3131:                           ;   in Loop: Header=BB302_2086 Depth=1
	s_delay_alu instid0(SALU_CYCLE_1)
	s_or_b32 exec_lo, exec_lo, s24
.LBB302_3132:                           ;   in Loop: Header=BB302_2086 Depth=1
	s_delay_alu instid0(SALU_CYCLE_1)
	s_or_b32 exec_lo, exec_lo, s23
	v_cmp_lt_u64_e64 s8, s[16:17], v[80:81]
	v_mov_b32_e32 v80, 0
	s_and_saveexec_b32 s23, s8
	s_cbranch_execz .LBB302_3140
; %bb.3133:                             ;   in Loop: Header=BB302_2086 Depth=1
	v_lshrrev_b32_e32 v54, 24, v81
	v_bfrev_b32_e32 v80, 1
	s_mov_b32 s24, exec_lo
	s_delay_alu instid0(VALU_DEP_2)
	v_cmpx_ne_u32_e32 0x80, v54
	s_cbranch_execz .LBB302_3139
; %bb.3134:                             ;   in Loop: Header=BB302_2086 Depth=1
	v_and_b32_e32 v83, 0x7f, v54
	v_mov_b32_e32 v80, 0x7c010000
	s_mov_b32 s25, exec_lo
	s_delay_alu instid0(VALU_DEP_2)
	v_cmpx_ne_u32_e32 0x7f, v83
	s_cbranch_execz .LBB302_3138
; %bb.3135:                             ;   in Loop: Header=BB302_2086 Depth=1
	v_dual_lshrrev_b32 v81, 3, v83 :: v_dual_bitop2_b32 v80, 7, v54 bitop3:0x40
	s_mov_b32 s26, exec_lo
	v_cmpx_gt_u32_e32 8, v83
; %bb.3136:                             ;   in Loop: Header=BB302_2086 Depth=1
	s_delay_alu instid0(VALU_DEP_2) | instskip(NEXT) | instid1(VALU_DEP_1)
	v_clz_i32_u32_e32 v6, v80
	v_min_u32_e32 v64, 32, v6
	s_delay_alu instid0(VALU_DEP_1) | instskip(NEXT) | instid1(VALU_DEP_1)
	v_subrev_nc_u32_e32 v6, 28, v64
	v_lshlrev_b64_e32 v[6:7], v6, v[54:55]
	s_delay_alu instid0(VALU_DEP_1)
	v_dual_sub_nc_u32 v81, 29, v64 :: v_dual_bitop2_b32 v80, 7, v6 bitop3:0x40
; %bb.3137:                             ;   in Loop: Header=BB302_2086 Depth=1
	s_or_b32 exec_lo, exec_lo, s26
	v_lshlrev_b32_e32 v6, 8, v54
	s_delay_alu instid0(VALU_DEP_2) | instskip(NEXT) | instid1(VALU_DEP_1)
	v_lshl_add_u32 v7, v81, 10, 0x2000
	v_and_or_b32 v6, 0x8000, v6, v7
	v_lshlrev_b32_e32 v7, 23, v80
	s_delay_alu instid0(VALU_DEP_1)
	v_lshl_or_b32 v80, v6, 16, v7
.LBB302_3138:                           ;   in Loop: Header=BB302_2086 Depth=1
	s_or_b32 exec_lo, exec_lo, s25
.LBB302_3139:                           ;   in Loop: Header=BB302_2086 Depth=1
	s_delay_alu instid0(SALU_CYCLE_1)
	s_or_b32 exec_lo, exec_lo, s24
.LBB302_3140:                           ;   in Loop: Header=BB302_2086 Depth=1
	s_delay_alu instid0(SALU_CYCLE_1) | instskip(SKIP_3) | instid1(VALU_DEP_3)
	s_or_b32 exec_lo, exec_lo, s23
	v_dual_lshrrev_b32 v6, 16, v0 :: v_dual_bitop2_b32 v54, v0, v1 bitop3:0x54
	v_dual_lshrrev_b32 v7, 16, v12 :: v_dual_bitop2_b32 v12, v12, v18 bitop3:0x54
	;; [unrolled: 1-line block ×3, first 2 shown]
	v_cvt_f32_f16_e32 v1, v6
	s_delay_alu instid0(VALU_DEP_3)
	v_cvt_f32_f16_e32 v0, v7
	v_lshrrev_b32_e32 v65, 16, v80
	v_cvt_f32_f16_e32 v6, v12
	v_or_b32_e32 v12, v82, v19
	v_cvt_f32_f16_e32 v7, v54
	s_wait_loadcnt_dscnt 0x0
	v_pk_mul_f32 v[0:1], v[70:71], v[0:1] op_sel_hi:[0,1]
	v_cvt_f32_f16_e32 v19, v18
	v_cvt_f32_f16_e32 v18, v65
	v_cvt_f32_f16_e32 v64, v64
	v_cvt_f32_f16_e32 v65, v12
	v_pk_mul_f32 v[6:7], v[70:71], v[6:7] op_sel_hi:[0,1]
	v_cvt_pk_f16_f32 v12, v0, v1
	v_pk_mul_f32 v[0:1], v[70:71], v[18:19] op_sel_hi:[0,1]
	s_delay_alu instid0(VALU_DEP_4) | instskip(NEXT) | instid1(VALU_DEP_4)
	v_pk_mul_f32 v[18:19], v[70:71], v[64:65] op_sel_hi:[0,1]
	v_cvt_pk_f16_f32 v6, v6, v7
	s_delay_alu instid0(VALU_DEP_4) | instskip(NEXT) | instid1(VALU_DEP_4)
	v_and_b32_e32 v71, 0xffff0000, v12
	v_cvt_pk_f16_f32 v0, v0, v1
	v_lshlrev_b32_e32 v82, 16, v12
	v_cvt_pk_f16_f32 v1, v18, v19
	v_lshrrev_b32_e32 v87, 16, v6
	v_and_b32_e32 v86, 0xffff, v6
	v_and_b32_e32 v19, 0xffff0000, v0
	s_delay_alu instid0(VALU_DEP_4) | instskip(SKIP_3) | instid1(VALU_DEP_4)
	v_dual_lshlrev_b32 v54, 16, v0 :: v_dual_lshrrev_b32 v85, 16, v1
	v_and_b32_e32 v84, 0xffff, v1
	v_or_b32_e32 v83, v71, v87
	v_or_b32_e32 v80, v82, v86
	;; [unrolled: 1-line block ×3, first 2 shown]
	s_delay_alu instid0(VALU_DEP_4)
	v_or_b32_e32 v70, v54, v84
	s_and_saveexec_b32 s8, s3
	s_cbranch_execz .LBB302_3142
; %bb.3141:                             ;   in Loop: Header=BB302_2086 Depth=1
	v_dual_cndmask_b32 v0, 0, v87, vcc_lo :: v_dual_cndmask_b32 v1, 0, v86, s0
	v_dual_cndmask_b32 v6, 0, v71, s1 :: v_dual_cndmask_b32 v7, 0, v82, s2
	v_dual_cndmask_b32 v12, 0, v85, s4 :: v_dual_cndmask_b32 v18, 0, v84, s5
	;; [unrolled: 1-line block ×3, first 2 shown]
	s_delay_alu instid0(VALU_DEP_3) | instskip(NEXT) | instid1(VALU_DEP_4)
	v_or_b32_e32 v83, v0, v6
	v_or_b32_e32 v80, v1, v7
	s_delay_alu instid0(VALU_DEP_3) | instskip(NEXT) | instid1(VALU_DEP_4)
	v_or_b32_e32 v81, v12, v19
	v_or_b32_e32 v70, v18, v54
.LBB302_3142:                           ;   in Loop: Header=BB302_2086 Depth=1
	s_or_b32 exec_lo, exec_lo, s8
	;;#ASMSTART
	v_pk_mul_f16 v0, v112, v83;

	;;#ASMEND
	;;#ASMSTART
	v_pk_mul_f16 v1, v103, v80;

	;;#ASMEND
	;; [unrolled: 4-line block ×4, first 2 shown]
	;;#ASMSTART
	v_pk_add_f16 v0, v0, v1;

	;;#ASMEND
	;;#ASMSTART
	v_pk_add_f16 v0, v0, v6;

	;;#ASMEND
	;; [unrolled: 4-line block ×3, first 2 shown]
	v_and_b32_e32 v1, 0xffff, v0
	v_lshrrev_b32_e32 v0, 16, v0
	;;#ASMSTART
	v_cvt_f32_f16 v79, v1;
	;;#ASMEND
	v_mov_b32_e32 v1, 0
	;;#ASMSTART
	v_cvt_f32_f16 v88, v0;
	;;#ASMEND
	flat_load_b64 v[80:81], v[68:69] offset:4096
	flat_load_b32 v70, v[22:23]
	v_mov_b32_e32 v0, 0
	s_mov_b32 s23, exec_lo
	s_wait_loadcnt_dscnt 0x101
	v_and_b32_e32 v12, 0xff, v80
	s_wait_xcnt 0x0
	s_delay_alu instid0(VALU_DEP_1)
	v_cmpx_ne_u16_e32 0, v12
	s_cbranch_execz .LBB302_3150
; %bb.3143:                             ;   in Loop: Header=BB302_2086 Depth=1
	v_mov_b32_e32 v1, 0x8000
	s_mov_b32 s24, exec_lo
	v_cmpx_ne_u16_e32 0x80, v12
	s_cbranch_execz .LBB302_3149
; %bb.3144:                             ;   in Loop: Header=BB302_2086 Depth=1
	v_and_b32_e32 v18, 0x7f, v80
	v_mov_b32_e32 v1, 0x7c01
	s_mov_b32 s25, exec_lo
	s_delay_alu instid0(VALU_DEP_2)
	v_cmpx_ne_u32_e32 0x7f, v18
	s_cbranch_execz .LBB302_3148
; %bb.3145:                             ;   in Loop: Header=BB302_2086 Depth=1
	v_dual_lshrrev_b32 v12, 3, v18 :: v_dual_bitop2_b32 v1, 7, v80 bitop3:0x40
	s_mov_b32 s26, exec_lo
	v_cmpx_gt_u32_e32 8, v18
; %bb.3146:                             ;   in Loop: Header=BB302_2086 Depth=1
	s_delay_alu instid0(VALU_DEP_2) | instskip(NEXT) | instid1(VALU_DEP_1)
	v_clz_i32_u32_e32 v1, v1
	v_min_u32_e32 v1, 32, v1
	s_delay_alu instid0(VALU_DEP_1) | instskip(NEXT) | instid1(VALU_DEP_1)
	v_subrev_nc_u32_e32 v6, 28, v1
	v_lshlrev_b64_e32 v[6:7], v6, v[80:81]
	s_delay_alu instid0(VALU_DEP_1)
	v_dual_sub_nc_u32 v12, 29, v1 :: v_dual_bitop2_b32 v1, 7, v6 bitop3:0x40
; %bb.3147:                             ;   in Loop: Header=BB302_2086 Depth=1
	s_or_b32 exec_lo, exec_lo, s26
	s_delay_alu instid0(VALU_DEP_1) | instskip(NEXT) | instid1(VALU_DEP_2)
	v_dual_lshlrev_b32 v6, 8, v80 :: v_dual_lshlrev_b32 v1, 7, v1
	v_lshl_add_u32 v7, v12, 10, 0x2000
	s_delay_alu instid0(VALU_DEP_2) | instskip(NEXT) | instid1(VALU_DEP_2)
	v_and_b32_e32 v6, 0x8000, v6
	v_and_b32_e32 v7, 0xfc00, v7
	s_delay_alu instid0(VALU_DEP_1)
	v_or3_b32 v1, v6, v7, v1
.LBB302_3148:                           ;   in Loop: Header=BB302_2086 Depth=1
	s_or_b32 exec_lo, exec_lo, s25
.LBB302_3149:                           ;   in Loop: Header=BB302_2086 Depth=1
	s_delay_alu instid0(SALU_CYCLE_1)
	s_or_b32 exec_lo, exec_lo, s24
.LBB302_3150:                           ;   in Loop: Header=BB302_2086 Depth=1
	s_delay_alu instid0(SALU_CYCLE_1) | instskip(SKIP_2) | instid1(VALU_DEP_1)
	s_or_b32 exec_lo, exec_lo, s23
	v_lshrrev_b16 v54, 8, v80
	s_mov_b32 s23, exec_lo
	v_cmpx_ne_u16_e32 0, v54
	s_cbranch_execz .LBB302_3158
; %bb.3151:                             ;   in Loop: Header=BB302_2086 Depth=1
	v_bfrev_b32_e32 v0, 1
	s_mov_b32 s24, exec_lo
	v_cmpx_ne_u16_e32 0x80, v54
	s_cbranch_execz .LBB302_3157
; %bb.3152:                             ;   in Loop: Header=BB302_2086 Depth=1
	v_and_b32_e32 v12, 0xffff, v54
	v_mov_b32_e32 v0, 0x7c010000
	s_mov_b32 s25, exec_lo
	s_delay_alu instid0(VALU_DEP_2) | instskip(NEXT) | instid1(VALU_DEP_1)
	v_and_b32_e32 v19, 0x7f, v12
	v_cmpx_ne_u32_e32 0x7f, v19
	s_cbranch_execz .LBB302_3156
; %bb.3153:                             ;   in Loop: Header=BB302_2086 Depth=1
	v_dual_lshrrev_b32 v18, 3, v19 :: v_dual_bitop2_b32 v0, 7, v12 bitop3:0x40
	s_mov_b32 s26, exec_lo
	v_cmpx_gt_u32_e32 8, v19
; %bb.3154:                             ;   in Loop: Header=BB302_2086 Depth=1
	s_delay_alu instid0(VALU_DEP_2) | instskip(NEXT) | instid1(VALU_DEP_1)
	v_clz_i32_u32_e32 v0, v0
	v_min_u32_e32 v0, 32, v0
	s_delay_alu instid0(VALU_DEP_1) | instskip(NEXT) | instid1(VALU_DEP_1)
	v_subrev_nc_u32_e32 v6, 28, v0
	v_lshlrev_b64_e32 v[6:7], v6, v[54:55]
	s_delay_alu instid0(VALU_DEP_1)
	v_dual_sub_nc_u32 v18, 29, v0 :: v_dual_bitop2_b32 v0, 7, v6 bitop3:0x40
; %bb.3155:                             ;   in Loop: Header=BB302_2086 Depth=1
	s_or_b32 exec_lo, exec_lo, s26
	v_lshlrev_b32_e32 v6, 8, v12
	s_delay_alu instid0(VALU_DEP_2) | instskip(NEXT) | instid1(VALU_DEP_3)
	v_lshl_add_u32 v7, v18, 10, 0x2000
	v_lshlrev_b32_e32 v0, 23, v0
	s_delay_alu instid0(VALU_DEP_2) | instskip(NEXT) | instid1(VALU_DEP_1)
	v_and_or_b32 v6, 0x8000, v6, v7
	v_lshl_or_b32 v0, v6, 16, v0
.LBB302_3156:                           ;   in Loop: Header=BB302_2086 Depth=1
	s_or_b32 exec_lo, exec_lo, s25
.LBB302_3157:                           ;   in Loop: Header=BB302_2086 Depth=1
	s_delay_alu instid0(SALU_CYCLE_1)
	s_or_b32 exec_lo, exec_lo, s24
.LBB302_3158:                           ;   in Loop: Header=BB302_2086 Depth=1
	s_delay_alu instid0(SALU_CYCLE_1) | instskip(SKIP_3) | instid1(VALU_DEP_2)
	s_or_b32 exec_lo, exec_lo, s23
	v_dual_lshrrev_b32 v54, 16, v80 :: v_dual_mov_b32 v12, 0
	v_mov_b32_e32 v18, 0
	s_mov_b32 s23, exec_lo
	v_and_b32_e32 v19, 0xff, v54
	s_delay_alu instid0(VALU_DEP_1)
	v_cmpx_ne_u16_e32 0, v19
	s_cbranch_execz .LBB302_3166
; %bb.3159:                             ;   in Loop: Header=BB302_2086 Depth=1
	v_mov_b32_e32 v18, 0x8000
	s_mov_b32 s24, exec_lo
	v_cmpx_ne_u16_e32 0x80, v19
	s_cbranch_execz .LBB302_3165
; %bb.3160:                             ;   in Loop: Header=BB302_2086 Depth=1
	v_bfe_u32 v71, v80, 16, 7
	v_mov_b32_e32 v18, 0x7c01
	s_mov_b32 s25, exec_lo
	s_delay_alu instid0(VALU_DEP_2)
	v_cmpx_ne_u32_e32 0x7f, v71
	s_cbranch_execz .LBB302_3164
; %bb.3161:                             ;   in Loop: Header=BB302_2086 Depth=1
	v_dual_lshrrev_b32 v19, 3, v71 :: v_dual_bitop2_b32 v18, 7, v54 bitop3:0x40
	s_mov_b32 s26, exec_lo
	v_cmpx_gt_u32_e32 8, v71
; %bb.3162:                             ;   in Loop: Header=BB302_2086 Depth=1
	s_delay_alu instid0(VALU_DEP_2) | instskip(NEXT) | instid1(VALU_DEP_1)
	v_clz_i32_u32_e32 v6, v18
	v_min_u32_e32 v18, 32, v6
	s_delay_alu instid0(VALU_DEP_1) | instskip(SKIP_1) | instid1(VALU_DEP_2)
	v_subrev_nc_u32_e32 v6, 28, v18
	v_sub_nc_u32_e32 v19, 29, v18
	v_lshlrev_b64_e32 v[6:7], v6, v[54:55]
	s_delay_alu instid0(VALU_DEP_1)
	v_and_b32_e32 v18, 7, v6
; %bb.3163:                             ;   in Loop: Header=BB302_2086 Depth=1
	s_or_b32 exec_lo, exec_lo, s26
	v_lshlrev_b32_e32 v6, 8, v54
	v_lshl_add_u32 v7, v19, 10, 0x2000
	s_delay_alu instid0(VALU_DEP_3) | instskip(NEXT) | instid1(VALU_DEP_3)
	v_lshlrev_b32_e32 v18, 7, v18
	v_and_b32_e32 v6, 0x8000, v6
	s_delay_alu instid0(VALU_DEP_3) | instskip(NEXT) | instid1(VALU_DEP_1)
	v_and_b32_e32 v7, 0xfc00, v7
	v_or3_b32 v18, v6, v7, v18
.LBB302_3164:                           ;   in Loop: Header=BB302_2086 Depth=1
	s_or_b32 exec_lo, exec_lo, s25
.LBB302_3165:                           ;   in Loop: Header=BB302_2086 Depth=1
	s_delay_alu instid0(SALU_CYCLE_1)
	s_or_b32 exec_lo, exec_lo, s24
.LBB302_3166:                           ;   in Loop: Header=BB302_2086 Depth=1
	s_delay_alu instid0(SALU_CYCLE_1) | instskip(NEXT) | instid1(SALU_CYCLE_1)
	s_or_b32 exec_lo, exec_lo, s23
	s_mov_b32 s23, exec_lo
	v_cmpx_lt_u32_e32 0xffffff, v80
	s_cbranch_execz .LBB302_3174
; %bb.3167:                             ;   in Loop: Header=BB302_2086 Depth=1
	v_lshrrev_b32_e32 v54, 24, v80
	v_bfrev_b32_e32 v12, 1
	s_mov_b32 s24, exec_lo
	s_delay_alu instid0(VALU_DEP_2)
	v_cmpx_ne_u32_e32 0x80, v54
	s_cbranch_execz .LBB302_3173
; %bb.3168:                             ;   in Loop: Header=BB302_2086 Depth=1
	v_and_b32_e32 v71, 0x7f, v54
	v_mov_b32_e32 v12, 0x7c010000
	s_mov_b32 s25, exec_lo
	s_delay_alu instid0(VALU_DEP_2)
	v_cmpx_ne_u32_e32 0x7f, v71
	s_cbranch_execz .LBB302_3172
; %bb.3169:                             ;   in Loop: Header=BB302_2086 Depth=1
	v_dual_lshrrev_b32 v19, 3, v71 :: v_dual_bitop2_b32 v12, 7, v54 bitop3:0x40
	s_mov_b32 s26, exec_lo
	v_cmpx_gt_u32_e32 8, v71
; %bb.3170:                             ;   in Loop: Header=BB302_2086 Depth=1
	s_delay_alu instid0(VALU_DEP_2) | instskip(NEXT) | instid1(VALU_DEP_1)
	v_clz_i32_u32_e32 v6, v12
	v_min_u32_e32 v12, 32, v6
	s_delay_alu instid0(VALU_DEP_1) | instskip(NEXT) | instid1(VALU_DEP_1)
	v_subrev_nc_u32_e32 v6, 28, v12
	v_lshlrev_b64_e32 v[6:7], v6, v[54:55]
	s_delay_alu instid0(VALU_DEP_1)
	v_dual_sub_nc_u32 v19, 29, v12 :: v_dual_bitop2_b32 v12, 7, v6 bitop3:0x40
; %bb.3171:                             ;   in Loop: Header=BB302_2086 Depth=1
	s_or_b32 exec_lo, exec_lo, s26
	v_lshlrev_b32_e32 v6, 8, v54
	s_delay_alu instid0(VALU_DEP_2) | instskip(NEXT) | instid1(VALU_DEP_1)
	v_lshl_add_u32 v7, v19, 10, 0x2000
	v_and_or_b32 v6, 0x8000, v6, v7
	v_lshlrev_b32_e32 v7, 23, v12
	s_delay_alu instid0(VALU_DEP_1)
	v_lshl_or_b32 v12, v6, 16, v7
.LBB302_3172:                           ;   in Loop: Header=BB302_2086 Depth=1
	s_or_b32 exec_lo, exec_lo, s25
.LBB302_3173:                           ;   in Loop: Header=BB302_2086 Depth=1
	s_delay_alu instid0(SALU_CYCLE_1)
	s_or_b32 exec_lo, exec_lo, s24
.LBB302_3174:                           ;   in Loop: Header=BB302_2086 Depth=1
	s_delay_alu instid0(SALU_CYCLE_1) | instskip(SKIP_4) | instid1(VALU_DEP_3)
	s_or_b32 exec_lo, exec_lo, s23
	v_and_b32_e32 v82, 0xff, v81
	v_dual_mov_b32 v54, v81 :: v_dual_mov_b32 v71, 0
	v_mov_b32_e32 v19, 0
	s_mov_b32 s23, exec_lo
	v_cmpx_ne_u16_e32 0, v82
	s_cbranch_execz .LBB302_3182
; %bb.3175:                             ;   in Loop: Header=BB302_2086 Depth=1
	v_mov_b32_e32 v19, 0x8000
	s_mov_b32 s24, exec_lo
	v_cmpx_ne_u16_e32 0x80, v82
	s_cbranch_execz .LBB302_3181
; %bb.3176:                             ;   in Loop: Header=BB302_2086 Depth=1
	v_and_b32_e32 v83, 0x7f, v81
	v_mov_b32_e32 v19, 0x7c01
	s_mov_b32 s25, exec_lo
	s_delay_alu instid0(VALU_DEP_2)
	v_cmpx_ne_u32_e32 0x7f, v83
	s_cbranch_execz .LBB302_3180
; %bb.3177:                             ;   in Loop: Header=BB302_2086 Depth=1
	v_dual_lshrrev_b32 v82, 3, v83 :: v_dual_bitop2_b32 v19, 7, v81 bitop3:0x40
	s_mov_b32 s26, exec_lo
	v_cmpx_gt_u32_e32 8, v83
; %bb.3178:                             ;   in Loop: Header=BB302_2086 Depth=1
	s_delay_alu instid0(VALU_DEP_2) | instskip(NEXT) | instid1(VALU_DEP_1)
	v_clz_i32_u32_e32 v6, v19
	v_min_u32_e32 v19, 32, v6
	s_delay_alu instid0(VALU_DEP_1) | instskip(NEXT) | instid1(VALU_DEP_1)
	v_subrev_nc_u32_e32 v6, 28, v19
	v_lshlrev_b64_e32 v[6:7], v6, v[54:55]
	s_delay_alu instid0(VALU_DEP_1)
	v_dual_sub_nc_u32 v82, 29, v19 :: v_dual_bitop2_b32 v19, 7, v6 bitop3:0x40
; %bb.3179:                             ;   in Loop: Header=BB302_2086 Depth=1
	s_or_b32 exec_lo, exec_lo, s26
	s_delay_alu instid0(VALU_DEP_1) | instskip(NEXT) | instid1(VALU_DEP_2)
	v_dual_lshlrev_b32 v6, 8, v81 :: v_dual_lshlrev_b32 v19, 7, v19
	v_lshl_add_u32 v7, v82, 10, 0x2000
	s_delay_alu instid0(VALU_DEP_2) | instskip(NEXT) | instid1(VALU_DEP_2)
	v_and_b32_e32 v6, 0x8000, v6
	v_and_b32_e32 v7, 0xfc00, v7
	s_delay_alu instid0(VALU_DEP_1)
	v_or3_b32 v19, v6, v7, v19
.LBB302_3180:                           ;   in Loop: Header=BB302_2086 Depth=1
	s_or_b32 exec_lo, exec_lo, s25
.LBB302_3181:                           ;   in Loop: Header=BB302_2086 Depth=1
	s_delay_alu instid0(SALU_CYCLE_1)
	s_or_b32 exec_lo, exec_lo, s24
.LBB302_3182:                           ;   in Loop: Header=BB302_2086 Depth=1
	s_delay_alu instid0(SALU_CYCLE_1) | instskip(SKIP_3) | instid1(VALU_DEP_2)
	s_or_b32 exec_lo, exec_lo, s23
	v_lshrrev_b16 v54, 8, v54
	v_mov_b32_e32 v82, 0
	s_mov_b32 s23, exec_lo
	v_cmpx_ne_u16_e32 0, v54
	s_cbranch_execz .LBB302_3190
; %bb.3183:                             ;   in Loop: Header=BB302_2086 Depth=1
	v_bfrev_b32_e32 v82, 1
	s_mov_b32 s24, exec_lo
	v_cmpx_ne_u16_e32 0x80, v54
	s_cbranch_execz .LBB302_3189
; %bb.3184:                             ;   in Loop: Header=BB302_2086 Depth=1
	v_and_b32_e32 v83, 0xffff, v54
	v_mov_b32_e32 v82, 0x7c010000
	s_mov_b32 s25, exec_lo
	s_delay_alu instid0(VALU_DEP_2) | instskip(NEXT) | instid1(VALU_DEP_1)
	v_and_b32_e32 v85, 0x7f, v83
	v_cmpx_ne_u32_e32 0x7f, v85
	s_cbranch_execz .LBB302_3188
; %bb.3185:                             ;   in Loop: Header=BB302_2086 Depth=1
	v_dual_lshrrev_b32 v84, 3, v85 :: v_dual_bitop2_b32 v82, 7, v83 bitop3:0x40
	s_mov_b32 s26, exec_lo
	v_cmpx_gt_u32_e32 8, v85
; %bb.3186:                             ;   in Loop: Header=BB302_2086 Depth=1
	s_delay_alu instid0(VALU_DEP_2) | instskip(NEXT) | instid1(VALU_DEP_1)
	v_clz_i32_u32_e32 v6, v82
	v_min_u32_e32 v64, 32, v6
	s_delay_alu instid0(VALU_DEP_1) | instskip(NEXT) | instid1(VALU_DEP_1)
	v_subrev_nc_u32_e32 v6, 28, v64
	v_lshlrev_b64_e32 v[6:7], v6, v[54:55]
	s_delay_alu instid0(VALU_DEP_1)
	v_dual_sub_nc_u32 v84, 29, v64 :: v_dual_bitop2_b32 v82, 7, v6 bitop3:0x40
; %bb.3187:                             ;   in Loop: Header=BB302_2086 Depth=1
	s_or_b32 exec_lo, exec_lo, s26
	v_lshlrev_b32_e32 v6, 8, v83
	s_delay_alu instid0(VALU_DEP_2) | instskip(NEXT) | instid1(VALU_DEP_1)
	v_lshl_add_u32 v7, v84, 10, 0x2000
	v_and_or_b32 v6, 0x8000, v6, v7
	v_lshlrev_b32_e32 v7, 23, v82
	s_delay_alu instid0(VALU_DEP_1)
	v_lshl_or_b32 v82, v6, 16, v7
.LBB302_3188:                           ;   in Loop: Header=BB302_2086 Depth=1
	s_or_b32 exec_lo, exec_lo, s25
.LBB302_3189:                           ;   in Loop: Header=BB302_2086 Depth=1
	s_delay_alu instid0(SALU_CYCLE_1)
	s_or_b32 exec_lo, exec_lo, s24
.LBB302_3190:                           ;   in Loop: Header=BB302_2086 Depth=1
	s_delay_alu instid0(SALU_CYCLE_1) | instskip(SKIP_2) | instid1(VALU_DEP_1)
	s_or_b32 exec_lo, exec_lo, s23
	v_lshrrev_b32_e32 v54, 16, v81
	s_mov_b32 s23, exec_lo
	v_and_b32_e32 v83, 0xff, v54
	s_delay_alu instid0(VALU_DEP_1)
	v_cmpx_ne_u16_e32 0, v83
	s_cbranch_execz .LBB302_3198
; %bb.3191:                             ;   in Loop: Header=BB302_2086 Depth=1
	v_mov_b32_e32 v71, 0x8000
	s_mov_b32 s24, exec_lo
	v_cmpx_ne_u16_e32 0x80, v83
	s_cbranch_execz .LBB302_3197
; %bb.3192:                             ;   in Loop: Header=BB302_2086 Depth=1
	v_bfe_u32 v84, v81, 16, 7
	v_mov_b32_e32 v71, 0x7c01
	s_mov_b32 s25, exec_lo
	s_delay_alu instid0(VALU_DEP_2)
	v_cmpx_ne_u32_e32 0x7f, v84
	s_cbranch_execz .LBB302_3196
; %bb.3193:                             ;   in Loop: Header=BB302_2086 Depth=1
	v_dual_lshrrev_b32 v83, 3, v84 :: v_dual_bitop2_b32 v71, 7, v54 bitop3:0x40
	s_mov_b32 s26, exec_lo
	v_cmpx_gt_u32_e32 8, v84
; %bb.3194:                             ;   in Loop: Header=BB302_2086 Depth=1
	s_delay_alu instid0(VALU_DEP_2) | instskip(NEXT) | instid1(VALU_DEP_1)
	v_clz_i32_u32_e32 v6, v71
	v_min_u32_e32 v64, 32, v6
	s_delay_alu instid0(VALU_DEP_1) | instskip(NEXT) | instid1(VALU_DEP_1)
	v_subrev_nc_u32_e32 v6, 28, v64
	v_lshlrev_b64_e32 v[6:7], v6, v[54:55]
	s_delay_alu instid0(VALU_DEP_1)
	v_dual_sub_nc_u32 v83, 29, v64 :: v_dual_bitop2_b32 v71, 7, v6 bitop3:0x40
; %bb.3195:                             ;   in Loop: Header=BB302_2086 Depth=1
	s_or_b32 exec_lo, exec_lo, s26
	s_delay_alu instid0(VALU_DEP_1) | instskip(NEXT) | instid1(VALU_DEP_2)
	v_dual_lshlrev_b32 v6, 8, v54 :: v_dual_lshlrev_b32 v54, 7, v71
	v_lshl_add_u32 v7, v83, 10, 0x2000
	s_delay_alu instid0(VALU_DEP_2) | instskip(NEXT) | instid1(VALU_DEP_2)
	v_and_b32_e32 v6, 0x8000, v6
	v_and_b32_e32 v7, 0xfc00, v7
	s_delay_alu instid0(VALU_DEP_1)
	v_or3_b32 v71, v6, v7, v54
.LBB302_3196:                           ;   in Loop: Header=BB302_2086 Depth=1
	s_or_b32 exec_lo, exec_lo, s25
.LBB302_3197:                           ;   in Loop: Header=BB302_2086 Depth=1
	s_delay_alu instid0(SALU_CYCLE_1)
	s_or_b32 exec_lo, exec_lo, s24
.LBB302_3198:                           ;   in Loop: Header=BB302_2086 Depth=1
	s_delay_alu instid0(SALU_CYCLE_1)
	s_or_b32 exec_lo, exec_lo, s23
	v_cmp_lt_u64_e64 s8, s[16:17], v[80:81]
	v_mov_b32_e32 v80, 0
	s_and_saveexec_b32 s23, s8
	s_cbranch_execz .LBB302_3206
; %bb.3199:                             ;   in Loop: Header=BB302_2086 Depth=1
	v_lshrrev_b32_e32 v54, 24, v81
	v_bfrev_b32_e32 v80, 1
	s_mov_b32 s24, exec_lo
	s_delay_alu instid0(VALU_DEP_2)
	v_cmpx_ne_u32_e32 0x80, v54
	s_cbranch_execz .LBB302_3205
; %bb.3200:                             ;   in Loop: Header=BB302_2086 Depth=1
	v_and_b32_e32 v83, 0x7f, v54
	v_mov_b32_e32 v80, 0x7c010000
	s_mov_b32 s25, exec_lo
	s_delay_alu instid0(VALU_DEP_2)
	v_cmpx_ne_u32_e32 0x7f, v83
	s_cbranch_execz .LBB302_3204
; %bb.3201:                             ;   in Loop: Header=BB302_2086 Depth=1
	v_dual_lshrrev_b32 v81, 3, v83 :: v_dual_bitop2_b32 v80, 7, v54 bitop3:0x40
	s_mov_b32 s26, exec_lo
	v_cmpx_gt_u32_e32 8, v83
; %bb.3202:                             ;   in Loop: Header=BB302_2086 Depth=1
	s_delay_alu instid0(VALU_DEP_2) | instskip(NEXT) | instid1(VALU_DEP_1)
	v_clz_i32_u32_e32 v6, v80
	v_min_u32_e32 v64, 32, v6
	s_delay_alu instid0(VALU_DEP_1) | instskip(NEXT) | instid1(VALU_DEP_1)
	v_subrev_nc_u32_e32 v6, 28, v64
	v_lshlrev_b64_e32 v[6:7], v6, v[54:55]
	s_delay_alu instid0(VALU_DEP_1)
	v_dual_sub_nc_u32 v81, 29, v64 :: v_dual_bitop2_b32 v80, 7, v6 bitop3:0x40
; %bb.3203:                             ;   in Loop: Header=BB302_2086 Depth=1
	s_or_b32 exec_lo, exec_lo, s26
	v_lshlrev_b32_e32 v6, 8, v54
	s_delay_alu instid0(VALU_DEP_2) | instskip(NEXT) | instid1(VALU_DEP_1)
	v_lshl_add_u32 v7, v81, 10, 0x2000
	v_and_or_b32 v6, 0x8000, v6, v7
	v_lshlrev_b32_e32 v7, 23, v80
	s_delay_alu instid0(VALU_DEP_1)
	v_lshl_or_b32 v80, v6, 16, v7
.LBB302_3204:                           ;   in Loop: Header=BB302_2086 Depth=1
	s_or_b32 exec_lo, exec_lo, s25
.LBB302_3205:                           ;   in Loop: Header=BB302_2086 Depth=1
	s_delay_alu instid0(SALU_CYCLE_1)
	s_or_b32 exec_lo, exec_lo, s24
.LBB302_3206:                           ;   in Loop: Header=BB302_2086 Depth=1
	s_delay_alu instid0(SALU_CYCLE_1) | instskip(SKIP_3) | instid1(VALU_DEP_3)
	s_or_b32 exec_lo, exec_lo, s23
	v_dual_lshrrev_b32 v6, 16, v0 :: v_dual_bitop2_b32 v54, v0, v1 bitop3:0x54
	v_dual_lshrrev_b32 v7, 16, v12 :: v_dual_bitop2_b32 v12, v12, v18 bitop3:0x54
	;; [unrolled: 1-line block ×3, first 2 shown]
	v_cvt_f32_f16_e32 v1, v6
	s_delay_alu instid0(VALU_DEP_3)
	v_cvt_f32_f16_e32 v0, v7
	v_lshrrev_b32_e32 v65, 16, v80
	v_cvt_f32_f16_e32 v6, v12
	v_or_b32_e32 v12, v82, v19
	v_cvt_f32_f16_e32 v7, v54
	s_wait_loadcnt_dscnt 0x0
	v_pk_mul_f32 v[0:1], v[70:71], v[0:1] op_sel_hi:[0,1]
	v_cvt_f32_f16_e32 v19, v18
	v_cvt_f32_f16_e32 v18, v65
	;; [unrolled: 1-line block ×4, first 2 shown]
	v_pk_mul_f32 v[6:7], v[70:71], v[6:7] op_sel_hi:[0,1]
	v_cvt_pk_f16_f32 v12, v0, v1
	v_pk_mul_f32 v[0:1], v[70:71], v[18:19] op_sel_hi:[0,1]
	s_delay_alu instid0(VALU_DEP_4) | instskip(NEXT) | instid1(VALU_DEP_4)
	v_pk_mul_f32 v[18:19], v[70:71], v[64:65] op_sel_hi:[0,1]
	v_cvt_pk_f16_f32 v6, v6, v7
	s_delay_alu instid0(VALU_DEP_4) | instskip(NEXT) | instid1(VALU_DEP_4)
	v_and_b32_e32 v71, 0xffff0000, v12
	v_cvt_pk_f16_f32 v0, v0, v1
	v_lshlrev_b32_e32 v82, 16, v12
	v_cvt_pk_f16_f32 v1, v18, v19
	v_lshrrev_b32_e32 v87, 16, v6
	v_and_b32_e32 v86, 0xffff, v6
	v_and_b32_e32 v19, 0xffff0000, v0
	s_delay_alu instid0(VALU_DEP_4) | instskip(SKIP_3) | instid1(VALU_DEP_4)
	v_dual_lshlrev_b32 v54, 16, v0 :: v_dual_lshrrev_b32 v85, 16, v1
	v_and_b32_e32 v84, 0xffff, v1
	v_or_b32_e32 v83, v71, v87
	v_or_b32_e32 v80, v82, v86
	;; [unrolled: 1-line block ×3, first 2 shown]
	s_delay_alu instid0(VALU_DEP_4)
	v_or_b32_e32 v70, v54, v84
	s_and_saveexec_b32 s8, s3
	s_cbranch_execz .LBB302_3208
; %bb.3207:                             ;   in Loop: Header=BB302_2086 Depth=1
	v_dual_cndmask_b32 v0, 0, v87, vcc_lo :: v_dual_cndmask_b32 v1, 0, v86, s0
	v_dual_cndmask_b32 v6, 0, v71, s1 :: v_dual_cndmask_b32 v7, 0, v82, s2
	v_dual_cndmask_b32 v12, 0, v85, s4 :: v_dual_cndmask_b32 v18, 0, v84, s5
	;; [unrolled: 1-line block ×3, first 2 shown]
	s_delay_alu instid0(VALU_DEP_3) | instskip(NEXT) | instid1(VALU_DEP_4)
	v_or_b32_e32 v83, v0, v6
	v_or_b32_e32 v80, v1, v7
	s_delay_alu instid0(VALU_DEP_3) | instskip(NEXT) | instid1(VALU_DEP_4)
	v_or_b32_e32 v81, v12, v19
	v_or_b32_e32 v70, v18, v54
.LBB302_3208:                           ;   in Loop: Header=BB302_2086 Depth=1
	s_or_b32 exec_lo, exec_lo, s8
	;;#ASMSTART
	v_pk_mul_f16 v0, v112, v83;

	;;#ASMEND
	;;#ASMSTART
	v_pk_mul_f16 v1, v103, v80;

	;;#ASMEND
	;; [unrolled: 4-line block ×4, first 2 shown]
	;;#ASMSTART
	v_pk_add_f16 v0, v0, v1;

	;;#ASMEND
	;;#ASMSTART
	v_pk_add_f16 v0, v0, v6;

	;;#ASMEND
	;; [unrolled: 4-line block ×3, first 2 shown]
	v_and_b32_e32 v1, 0xffff, v0
	v_lshrrev_b32_e32 v0, 16, v0
	;;#ASMSTART
	v_cvt_f32_f16 v89, v1;
	;;#ASMEND
	v_mov_b32_e32 v1, 0
	;;#ASMSTART
	v_cvt_f32_f16 v90, v0;
	;;#ASMEND
	flat_load_b64 v[80:81], v[68:69] offset:4352
	flat_load_b32 v70, v[22:23]
	v_mov_b32_e32 v0, 0
	s_mov_b32 s23, exec_lo
	s_wait_loadcnt_dscnt 0x101
	v_and_b32_e32 v12, 0xff, v80
	s_wait_xcnt 0x0
	s_delay_alu instid0(VALU_DEP_1)
	v_cmpx_ne_u16_e32 0, v12
	s_cbranch_execz .LBB302_3216
; %bb.3209:                             ;   in Loop: Header=BB302_2086 Depth=1
	v_mov_b32_e32 v1, 0x8000
	s_mov_b32 s24, exec_lo
	v_cmpx_ne_u16_e32 0x80, v12
	s_cbranch_execz .LBB302_3215
; %bb.3210:                             ;   in Loop: Header=BB302_2086 Depth=1
	v_and_b32_e32 v18, 0x7f, v80
	v_mov_b32_e32 v1, 0x7c01
	s_mov_b32 s25, exec_lo
	s_delay_alu instid0(VALU_DEP_2)
	v_cmpx_ne_u32_e32 0x7f, v18
	s_cbranch_execz .LBB302_3214
; %bb.3211:                             ;   in Loop: Header=BB302_2086 Depth=1
	v_dual_lshrrev_b32 v12, 3, v18 :: v_dual_bitop2_b32 v1, 7, v80 bitop3:0x40
	s_mov_b32 s26, exec_lo
	v_cmpx_gt_u32_e32 8, v18
; %bb.3212:                             ;   in Loop: Header=BB302_2086 Depth=1
	s_delay_alu instid0(VALU_DEP_2) | instskip(NEXT) | instid1(VALU_DEP_1)
	v_clz_i32_u32_e32 v1, v1
	v_min_u32_e32 v1, 32, v1
	s_delay_alu instid0(VALU_DEP_1) | instskip(NEXT) | instid1(VALU_DEP_1)
	v_subrev_nc_u32_e32 v6, 28, v1
	v_lshlrev_b64_e32 v[6:7], v6, v[80:81]
	s_delay_alu instid0(VALU_DEP_1)
	v_dual_sub_nc_u32 v12, 29, v1 :: v_dual_bitop2_b32 v1, 7, v6 bitop3:0x40
; %bb.3213:                             ;   in Loop: Header=BB302_2086 Depth=1
	s_or_b32 exec_lo, exec_lo, s26
	s_delay_alu instid0(VALU_DEP_1) | instskip(NEXT) | instid1(VALU_DEP_2)
	v_dual_lshlrev_b32 v6, 8, v80 :: v_dual_lshlrev_b32 v1, 7, v1
	v_lshl_add_u32 v7, v12, 10, 0x2000
	s_delay_alu instid0(VALU_DEP_2) | instskip(NEXT) | instid1(VALU_DEP_2)
	v_and_b32_e32 v6, 0x8000, v6
	v_and_b32_e32 v7, 0xfc00, v7
	s_delay_alu instid0(VALU_DEP_1)
	v_or3_b32 v1, v6, v7, v1
.LBB302_3214:                           ;   in Loop: Header=BB302_2086 Depth=1
	s_or_b32 exec_lo, exec_lo, s25
.LBB302_3215:                           ;   in Loop: Header=BB302_2086 Depth=1
	s_delay_alu instid0(SALU_CYCLE_1)
	s_or_b32 exec_lo, exec_lo, s24
.LBB302_3216:                           ;   in Loop: Header=BB302_2086 Depth=1
	s_delay_alu instid0(SALU_CYCLE_1) | instskip(SKIP_2) | instid1(VALU_DEP_1)
	s_or_b32 exec_lo, exec_lo, s23
	v_lshrrev_b16 v54, 8, v80
	s_mov_b32 s23, exec_lo
	v_cmpx_ne_u16_e32 0, v54
	s_cbranch_execz .LBB302_3224
; %bb.3217:                             ;   in Loop: Header=BB302_2086 Depth=1
	v_bfrev_b32_e32 v0, 1
	s_mov_b32 s24, exec_lo
	v_cmpx_ne_u16_e32 0x80, v54
	s_cbranch_execz .LBB302_3223
; %bb.3218:                             ;   in Loop: Header=BB302_2086 Depth=1
	v_and_b32_e32 v12, 0xffff, v54
	v_mov_b32_e32 v0, 0x7c010000
	s_mov_b32 s25, exec_lo
	s_delay_alu instid0(VALU_DEP_2) | instskip(NEXT) | instid1(VALU_DEP_1)
	v_and_b32_e32 v19, 0x7f, v12
	v_cmpx_ne_u32_e32 0x7f, v19
	s_cbranch_execz .LBB302_3222
; %bb.3219:                             ;   in Loop: Header=BB302_2086 Depth=1
	v_dual_lshrrev_b32 v18, 3, v19 :: v_dual_bitop2_b32 v0, 7, v12 bitop3:0x40
	s_mov_b32 s26, exec_lo
	v_cmpx_gt_u32_e32 8, v19
; %bb.3220:                             ;   in Loop: Header=BB302_2086 Depth=1
	s_delay_alu instid0(VALU_DEP_2) | instskip(NEXT) | instid1(VALU_DEP_1)
	v_clz_i32_u32_e32 v0, v0
	v_min_u32_e32 v0, 32, v0
	s_delay_alu instid0(VALU_DEP_1) | instskip(NEXT) | instid1(VALU_DEP_1)
	v_subrev_nc_u32_e32 v6, 28, v0
	v_lshlrev_b64_e32 v[6:7], v6, v[54:55]
	s_delay_alu instid0(VALU_DEP_1)
	v_dual_sub_nc_u32 v18, 29, v0 :: v_dual_bitop2_b32 v0, 7, v6 bitop3:0x40
; %bb.3221:                             ;   in Loop: Header=BB302_2086 Depth=1
	s_or_b32 exec_lo, exec_lo, s26
	v_lshlrev_b32_e32 v6, 8, v12
	s_delay_alu instid0(VALU_DEP_2) | instskip(NEXT) | instid1(VALU_DEP_3)
	v_lshl_add_u32 v7, v18, 10, 0x2000
	v_lshlrev_b32_e32 v0, 23, v0
	s_delay_alu instid0(VALU_DEP_2) | instskip(NEXT) | instid1(VALU_DEP_1)
	v_and_or_b32 v6, 0x8000, v6, v7
	v_lshl_or_b32 v0, v6, 16, v0
.LBB302_3222:                           ;   in Loop: Header=BB302_2086 Depth=1
	s_or_b32 exec_lo, exec_lo, s25
.LBB302_3223:                           ;   in Loop: Header=BB302_2086 Depth=1
	s_delay_alu instid0(SALU_CYCLE_1)
	s_or_b32 exec_lo, exec_lo, s24
.LBB302_3224:                           ;   in Loop: Header=BB302_2086 Depth=1
	s_delay_alu instid0(SALU_CYCLE_1) | instskip(SKIP_3) | instid1(VALU_DEP_2)
	s_or_b32 exec_lo, exec_lo, s23
	v_dual_lshrrev_b32 v54, 16, v80 :: v_dual_mov_b32 v12, 0
	v_mov_b32_e32 v18, 0
	s_mov_b32 s23, exec_lo
	v_and_b32_e32 v19, 0xff, v54
	s_delay_alu instid0(VALU_DEP_1)
	v_cmpx_ne_u16_e32 0, v19
	s_cbranch_execz .LBB302_3232
; %bb.3225:                             ;   in Loop: Header=BB302_2086 Depth=1
	v_mov_b32_e32 v18, 0x8000
	s_mov_b32 s24, exec_lo
	v_cmpx_ne_u16_e32 0x80, v19
	s_cbranch_execz .LBB302_3231
; %bb.3226:                             ;   in Loop: Header=BB302_2086 Depth=1
	v_bfe_u32 v71, v80, 16, 7
	v_mov_b32_e32 v18, 0x7c01
	s_mov_b32 s25, exec_lo
	s_delay_alu instid0(VALU_DEP_2)
	v_cmpx_ne_u32_e32 0x7f, v71
	s_cbranch_execz .LBB302_3230
; %bb.3227:                             ;   in Loop: Header=BB302_2086 Depth=1
	v_dual_lshrrev_b32 v19, 3, v71 :: v_dual_bitop2_b32 v18, 7, v54 bitop3:0x40
	s_mov_b32 s26, exec_lo
	v_cmpx_gt_u32_e32 8, v71
; %bb.3228:                             ;   in Loop: Header=BB302_2086 Depth=1
	s_delay_alu instid0(VALU_DEP_2) | instskip(NEXT) | instid1(VALU_DEP_1)
	v_clz_i32_u32_e32 v6, v18
	v_min_u32_e32 v18, 32, v6
	s_delay_alu instid0(VALU_DEP_1) | instskip(SKIP_1) | instid1(VALU_DEP_2)
	v_subrev_nc_u32_e32 v6, 28, v18
	v_sub_nc_u32_e32 v19, 29, v18
	v_lshlrev_b64_e32 v[6:7], v6, v[54:55]
	s_delay_alu instid0(VALU_DEP_1)
	v_and_b32_e32 v18, 7, v6
; %bb.3229:                             ;   in Loop: Header=BB302_2086 Depth=1
	s_or_b32 exec_lo, exec_lo, s26
	v_lshlrev_b32_e32 v6, 8, v54
	v_lshl_add_u32 v7, v19, 10, 0x2000
	s_delay_alu instid0(VALU_DEP_3) | instskip(NEXT) | instid1(VALU_DEP_3)
	v_lshlrev_b32_e32 v18, 7, v18
	v_and_b32_e32 v6, 0x8000, v6
	s_delay_alu instid0(VALU_DEP_3) | instskip(NEXT) | instid1(VALU_DEP_1)
	v_and_b32_e32 v7, 0xfc00, v7
	v_or3_b32 v18, v6, v7, v18
.LBB302_3230:                           ;   in Loop: Header=BB302_2086 Depth=1
	s_or_b32 exec_lo, exec_lo, s25
.LBB302_3231:                           ;   in Loop: Header=BB302_2086 Depth=1
	s_delay_alu instid0(SALU_CYCLE_1)
	s_or_b32 exec_lo, exec_lo, s24
.LBB302_3232:                           ;   in Loop: Header=BB302_2086 Depth=1
	s_delay_alu instid0(SALU_CYCLE_1) | instskip(NEXT) | instid1(SALU_CYCLE_1)
	s_or_b32 exec_lo, exec_lo, s23
	s_mov_b32 s23, exec_lo
	v_cmpx_lt_u32_e32 0xffffff, v80
	s_cbranch_execz .LBB302_3240
; %bb.3233:                             ;   in Loop: Header=BB302_2086 Depth=1
	v_lshrrev_b32_e32 v54, 24, v80
	v_bfrev_b32_e32 v12, 1
	s_mov_b32 s24, exec_lo
	s_delay_alu instid0(VALU_DEP_2)
	v_cmpx_ne_u32_e32 0x80, v54
	s_cbranch_execz .LBB302_3239
; %bb.3234:                             ;   in Loop: Header=BB302_2086 Depth=1
	v_and_b32_e32 v71, 0x7f, v54
	v_mov_b32_e32 v12, 0x7c010000
	s_mov_b32 s25, exec_lo
	s_delay_alu instid0(VALU_DEP_2)
	v_cmpx_ne_u32_e32 0x7f, v71
	s_cbranch_execz .LBB302_3238
; %bb.3235:                             ;   in Loop: Header=BB302_2086 Depth=1
	v_dual_lshrrev_b32 v19, 3, v71 :: v_dual_bitop2_b32 v12, 7, v54 bitop3:0x40
	s_mov_b32 s26, exec_lo
	v_cmpx_gt_u32_e32 8, v71
; %bb.3236:                             ;   in Loop: Header=BB302_2086 Depth=1
	s_delay_alu instid0(VALU_DEP_2) | instskip(NEXT) | instid1(VALU_DEP_1)
	v_clz_i32_u32_e32 v6, v12
	v_min_u32_e32 v12, 32, v6
	s_delay_alu instid0(VALU_DEP_1) | instskip(NEXT) | instid1(VALU_DEP_1)
	v_subrev_nc_u32_e32 v6, 28, v12
	v_lshlrev_b64_e32 v[6:7], v6, v[54:55]
	s_delay_alu instid0(VALU_DEP_1)
	v_dual_sub_nc_u32 v19, 29, v12 :: v_dual_bitop2_b32 v12, 7, v6 bitop3:0x40
; %bb.3237:                             ;   in Loop: Header=BB302_2086 Depth=1
	s_or_b32 exec_lo, exec_lo, s26
	v_lshlrev_b32_e32 v6, 8, v54
	s_delay_alu instid0(VALU_DEP_2) | instskip(NEXT) | instid1(VALU_DEP_1)
	v_lshl_add_u32 v7, v19, 10, 0x2000
	v_and_or_b32 v6, 0x8000, v6, v7
	v_lshlrev_b32_e32 v7, 23, v12
	s_delay_alu instid0(VALU_DEP_1)
	v_lshl_or_b32 v12, v6, 16, v7
.LBB302_3238:                           ;   in Loop: Header=BB302_2086 Depth=1
	s_or_b32 exec_lo, exec_lo, s25
.LBB302_3239:                           ;   in Loop: Header=BB302_2086 Depth=1
	s_delay_alu instid0(SALU_CYCLE_1)
	s_or_b32 exec_lo, exec_lo, s24
.LBB302_3240:                           ;   in Loop: Header=BB302_2086 Depth=1
	s_delay_alu instid0(SALU_CYCLE_1) | instskip(SKIP_4) | instid1(VALU_DEP_3)
	s_or_b32 exec_lo, exec_lo, s23
	v_and_b32_e32 v82, 0xff, v81
	v_dual_mov_b32 v54, v81 :: v_dual_mov_b32 v71, 0
	v_mov_b32_e32 v19, 0
	s_mov_b32 s23, exec_lo
	v_cmpx_ne_u16_e32 0, v82
	s_cbranch_execz .LBB302_3248
; %bb.3241:                             ;   in Loop: Header=BB302_2086 Depth=1
	v_mov_b32_e32 v19, 0x8000
	s_mov_b32 s24, exec_lo
	v_cmpx_ne_u16_e32 0x80, v82
	s_cbranch_execz .LBB302_3247
; %bb.3242:                             ;   in Loop: Header=BB302_2086 Depth=1
	v_and_b32_e32 v83, 0x7f, v81
	v_mov_b32_e32 v19, 0x7c01
	s_mov_b32 s25, exec_lo
	s_delay_alu instid0(VALU_DEP_2)
	v_cmpx_ne_u32_e32 0x7f, v83
	s_cbranch_execz .LBB302_3246
; %bb.3243:                             ;   in Loop: Header=BB302_2086 Depth=1
	v_dual_lshrrev_b32 v82, 3, v83 :: v_dual_bitop2_b32 v19, 7, v81 bitop3:0x40
	s_mov_b32 s26, exec_lo
	v_cmpx_gt_u32_e32 8, v83
; %bb.3244:                             ;   in Loop: Header=BB302_2086 Depth=1
	s_delay_alu instid0(VALU_DEP_2) | instskip(NEXT) | instid1(VALU_DEP_1)
	v_clz_i32_u32_e32 v6, v19
	v_min_u32_e32 v19, 32, v6
	s_delay_alu instid0(VALU_DEP_1) | instskip(NEXT) | instid1(VALU_DEP_1)
	v_subrev_nc_u32_e32 v6, 28, v19
	v_lshlrev_b64_e32 v[6:7], v6, v[54:55]
	s_delay_alu instid0(VALU_DEP_1)
	v_dual_sub_nc_u32 v82, 29, v19 :: v_dual_bitop2_b32 v19, 7, v6 bitop3:0x40
; %bb.3245:                             ;   in Loop: Header=BB302_2086 Depth=1
	s_or_b32 exec_lo, exec_lo, s26
	s_delay_alu instid0(VALU_DEP_1) | instskip(NEXT) | instid1(VALU_DEP_2)
	v_dual_lshlrev_b32 v6, 8, v81 :: v_dual_lshlrev_b32 v19, 7, v19
	v_lshl_add_u32 v7, v82, 10, 0x2000
	s_delay_alu instid0(VALU_DEP_2) | instskip(NEXT) | instid1(VALU_DEP_2)
	v_and_b32_e32 v6, 0x8000, v6
	v_and_b32_e32 v7, 0xfc00, v7
	s_delay_alu instid0(VALU_DEP_1)
	v_or3_b32 v19, v6, v7, v19
.LBB302_3246:                           ;   in Loop: Header=BB302_2086 Depth=1
	s_or_b32 exec_lo, exec_lo, s25
.LBB302_3247:                           ;   in Loop: Header=BB302_2086 Depth=1
	s_delay_alu instid0(SALU_CYCLE_1)
	s_or_b32 exec_lo, exec_lo, s24
.LBB302_3248:                           ;   in Loop: Header=BB302_2086 Depth=1
	s_delay_alu instid0(SALU_CYCLE_1) | instskip(SKIP_3) | instid1(VALU_DEP_2)
	s_or_b32 exec_lo, exec_lo, s23
	v_lshrrev_b16 v54, 8, v54
	v_mov_b32_e32 v82, 0
	s_mov_b32 s23, exec_lo
	v_cmpx_ne_u16_e32 0, v54
	s_cbranch_execz .LBB302_3256
; %bb.3249:                             ;   in Loop: Header=BB302_2086 Depth=1
	v_bfrev_b32_e32 v82, 1
	s_mov_b32 s24, exec_lo
	v_cmpx_ne_u16_e32 0x80, v54
	s_cbranch_execz .LBB302_3255
; %bb.3250:                             ;   in Loop: Header=BB302_2086 Depth=1
	v_and_b32_e32 v83, 0xffff, v54
	v_mov_b32_e32 v82, 0x7c010000
	s_mov_b32 s25, exec_lo
	s_delay_alu instid0(VALU_DEP_2) | instskip(NEXT) | instid1(VALU_DEP_1)
	v_and_b32_e32 v85, 0x7f, v83
	v_cmpx_ne_u32_e32 0x7f, v85
	s_cbranch_execz .LBB302_3254
; %bb.3251:                             ;   in Loop: Header=BB302_2086 Depth=1
	v_dual_lshrrev_b32 v84, 3, v85 :: v_dual_bitop2_b32 v82, 7, v83 bitop3:0x40
	s_mov_b32 s26, exec_lo
	v_cmpx_gt_u32_e32 8, v85
; %bb.3252:                             ;   in Loop: Header=BB302_2086 Depth=1
	s_delay_alu instid0(VALU_DEP_2) | instskip(NEXT) | instid1(VALU_DEP_1)
	v_clz_i32_u32_e32 v6, v82
	v_min_u32_e32 v64, 32, v6
	s_delay_alu instid0(VALU_DEP_1) | instskip(NEXT) | instid1(VALU_DEP_1)
	v_subrev_nc_u32_e32 v6, 28, v64
	v_lshlrev_b64_e32 v[6:7], v6, v[54:55]
	s_delay_alu instid0(VALU_DEP_1)
	v_dual_sub_nc_u32 v84, 29, v64 :: v_dual_bitop2_b32 v82, 7, v6 bitop3:0x40
; %bb.3253:                             ;   in Loop: Header=BB302_2086 Depth=1
	s_or_b32 exec_lo, exec_lo, s26
	v_lshlrev_b32_e32 v6, 8, v83
	s_delay_alu instid0(VALU_DEP_2) | instskip(NEXT) | instid1(VALU_DEP_1)
	v_lshl_add_u32 v7, v84, 10, 0x2000
	v_and_or_b32 v6, 0x8000, v6, v7
	v_lshlrev_b32_e32 v7, 23, v82
	s_delay_alu instid0(VALU_DEP_1)
	v_lshl_or_b32 v82, v6, 16, v7
.LBB302_3254:                           ;   in Loop: Header=BB302_2086 Depth=1
	s_or_b32 exec_lo, exec_lo, s25
.LBB302_3255:                           ;   in Loop: Header=BB302_2086 Depth=1
	s_delay_alu instid0(SALU_CYCLE_1)
	s_or_b32 exec_lo, exec_lo, s24
.LBB302_3256:                           ;   in Loop: Header=BB302_2086 Depth=1
	s_delay_alu instid0(SALU_CYCLE_1) | instskip(SKIP_2) | instid1(VALU_DEP_1)
	s_or_b32 exec_lo, exec_lo, s23
	v_lshrrev_b32_e32 v54, 16, v81
	s_mov_b32 s23, exec_lo
	v_and_b32_e32 v83, 0xff, v54
	s_delay_alu instid0(VALU_DEP_1)
	v_cmpx_ne_u16_e32 0, v83
	s_cbranch_execz .LBB302_3264
; %bb.3257:                             ;   in Loop: Header=BB302_2086 Depth=1
	v_mov_b32_e32 v71, 0x8000
	s_mov_b32 s24, exec_lo
	v_cmpx_ne_u16_e32 0x80, v83
	s_cbranch_execz .LBB302_3263
; %bb.3258:                             ;   in Loop: Header=BB302_2086 Depth=1
	v_bfe_u32 v84, v81, 16, 7
	v_mov_b32_e32 v71, 0x7c01
	s_mov_b32 s25, exec_lo
	s_delay_alu instid0(VALU_DEP_2)
	v_cmpx_ne_u32_e32 0x7f, v84
	s_cbranch_execz .LBB302_3262
; %bb.3259:                             ;   in Loop: Header=BB302_2086 Depth=1
	v_dual_lshrrev_b32 v83, 3, v84 :: v_dual_bitop2_b32 v71, 7, v54 bitop3:0x40
	s_mov_b32 s26, exec_lo
	v_cmpx_gt_u32_e32 8, v84
; %bb.3260:                             ;   in Loop: Header=BB302_2086 Depth=1
	s_delay_alu instid0(VALU_DEP_2) | instskip(NEXT) | instid1(VALU_DEP_1)
	v_clz_i32_u32_e32 v6, v71
	v_min_u32_e32 v64, 32, v6
	s_delay_alu instid0(VALU_DEP_1) | instskip(NEXT) | instid1(VALU_DEP_1)
	v_subrev_nc_u32_e32 v6, 28, v64
	v_lshlrev_b64_e32 v[6:7], v6, v[54:55]
	s_delay_alu instid0(VALU_DEP_1)
	v_dual_sub_nc_u32 v83, 29, v64 :: v_dual_bitop2_b32 v71, 7, v6 bitop3:0x40
; %bb.3261:                             ;   in Loop: Header=BB302_2086 Depth=1
	s_or_b32 exec_lo, exec_lo, s26
	s_delay_alu instid0(VALU_DEP_1) | instskip(NEXT) | instid1(VALU_DEP_2)
	v_dual_lshlrev_b32 v6, 8, v54 :: v_dual_lshlrev_b32 v54, 7, v71
	v_lshl_add_u32 v7, v83, 10, 0x2000
	s_delay_alu instid0(VALU_DEP_2) | instskip(NEXT) | instid1(VALU_DEP_2)
	v_and_b32_e32 v6, 0x8000, v6
	v_and_b32_e32 v7, 0xfc00, v7
	s_delay_alu instid0(VALU_DEP_1)
	v_or3_b32 v71, v6, v7, v54
.LBB302_3262:                           ;   in Loop: Header=BB302_2086 Depth=1
	s_or_b32 exec_lo, exec_lo, s25
.LBB302_3263:                           ;   in Loop: Header=BB302_2086 Depth=1
	s_delay_alu instid0(SALU_CYCLE_1)
	s_or_b32 exec_lo, exec_lo, s24
.LBB302_3264:                           ;   in Loop: Header=BB302_2086 Depth=1
	s_delay_alu instid0(SALU_CYCLE_1)
	s_or_b32 exec_lo, exec_lo, s23
	v_cmp_lt_u64_e64 s8, s[16:17], v[80:81]
	v_mov_b32_e32 v80, 0
	s_and_saveexec_b32 s23, s8
	s_cbranch_execz .LBB302_3272
; %bb.3265:                             ;   in Loop: Header=BB302_2086 Depth=1
	v_lshrrev_b32_e32 v54, 24, v81
	v_bfrev_b32_e32 v80, 1
	s_mov_b32 s24, exec_lo
	s_delay_alu instid0(VALU_DEP_2)
	v_cmpx_ne_u32_e32 0x80, v54
	s_cbranch_execz .LBB302_3271
; %bb.3266:                             ;   in Loop: Header=BB302_2086 Depth=1
	v_and_b32_e32 v83, 0x7f, v54
	v_mov_b32_e32 v80, 0x7c010000
	s_mov_b32 s25, exec_lo
	s_delay_alu instid0(VALU_DEP_2)
	v_cmpx_ne_u32_e32 0x7f, v83
	s_cbranch_execz .LBB302_3270
; %bb.3267:                             ;   in Loop: Header=BB302_2086 Depth=1
	v_dual_lshrrev_b32 v81, 3, v83 :: v_dual_bitop2_b32 v80, 7, v54 bitop3:0x40
	s_mov_b32 s26, exec_lo
	v_cmpx_gt_u32_e32 8, v83
; %bb.3268:                             ;   in Loop: Header=BB302_2086 Depth=1
	s_delay_alu instid0(VALU_DEP_2) | instskip(NEXT) | instid1(VALU_DEP_1)
	v_clz_i32_u32_e32 v6, v80
	v_min_u32_e32 v64, 32, v6
	s_delay_alu instid0(VALU_DEP_1) | instskip(NEXT) | instid1(VALU_DEP_1)
	v_subrev_nc_u32_e32 v6, 28, v64
	v_lshlrev_b64_e32 v[6:7], v6, v[54:55]
	s_delay_alu instid0(VALU_DEP_1)
	v_dual_sub_nc_u32 v81, 29, v64 :: v_dual_bitop2_b32 v80, 7, v6 bitop3:0x40
; %bb.3269:                             ;   in Loop: Header=BB302_2086 Depth=1
	s_or_b32 exec_lo, exec_lo, s26
	v_lshlrev_b32_e32 v6, 8, v54
	s_delay_alu instid0(VALU_DEP_2) | instskip(NEXT) | instid1(VALU_DEP_1)
	v_lshl_add_u32 v7, v81, 10, 0x2000
	v_and_or_b32 v6, 0x8000, v6, v7
	v_lshlrev_b32_e32 v7, 23, v80
	s_delay_alu instid0(VALU_DEP_1)
	v_lshl_or_b32 v80, v6, 16, v7
.LBB302_3270:                           ;   in Loop: Header=BB302_2086 Depth=1
	s_or_b32 exec_lo, exec_lo, s25
.LBB302_3271:                           ;   in Loop: Header=BB302_2086 Depth=1
	s_delay_alu instid0(SALU_CYCLE_1)
	s_or_b32 exec_lo, exec_lo, s24
.LBB302_3272:                           ;   in Loop: Header=BB302_2086 Depth=1
	s_delay_alu instid0(SALU_CYCLE_1) | instskip(SKIP_3) | instid1(VALU_DEP_3)
	s_or_b32 exec_lo, exec_lo, s23
	v_dual_lshrrev_b32 v6, 16, v0 :: v_dual_bitop2_b32 v54, v0, v1 bitop3:0x54
	v_dual_lshrrev_b32 v7, 16, v12 :: v_dual_bitop2_b32 v12, v12, v18 bitop3:0x54
	v_dual_lshrrev_b32 v18, 16, v82 :: v_dual_bitop2_b32 v64, v80, v71 bitop3:0x54
	v_cvt_f32_f16_e32 v1, v6
	s_delay_alu instid0(VALU_DEP_3)
	v_cvt_f32_f16_e32 v0, v7
	v_lshrrev_b32_e32 v65, 16, v80
	v_cvt_f32_f16_e32 v6, v12
	v_or_b32_e32 v12, v82, v19
	v_cvt_f32_f16_e32 v7, v54
	s_wait_loadcnt_dscnt 0x0
	v_pk_mul_f32 v[0:1], v[70:71], v[0:1] op_sel_hi:[0,1]
	v_cvt_f32_f16_e32 v19, v18
	v_cvt_f32_f16_e32 v18, v65
	;; [unrolled: 1-line block ×4, first 2 shown]
	v_pk_mul_f32 v[6:7], v[70:71], v[6:7] op_sel_hi:[0,1]
	v_cvt_pk_f16_f32 v12, v0, v1
	v_pk_mul_f32 v[0:1], v[70:71], v[18:19] op_sel_hi:[0,1]
	s_delay_alu instid0(VALU_DEP_4) | instskip(NEXT) | instid1(VALU_DEP_4)
	v_pk_mul_f32 v[18:19], v[70:71], v[64:65] op_sel_hi:[0,1]
	v_cvt_pk_f16_f32 v6, v6, v7
	s_delay_alu instid0(VALU_DEP_4) | instskip(NEXT) | instid1(VALU_DEP_4)
	v_and_b32_e32 v71, 0xffff0000, v12
	v_cvt_pk_f16_f32 v0, v0, v1
	v_lshlrev_b32_e32 v82, 16, v12
	v_cvt_pk_f16_f32 v1, v18, v19
	v_lshrrev_b32_e32 v87, 16, v6
	v_and_b32_e32 v86, 0xffff, v6
	v_and_b32_e32 v19, 0xffff0000, v0
	s_delay_alu instid0(VALU_DEP_4) | instskip(SKIP_3) | instid1(VALU_DEP_4)
	v_dual_lshlrev_b32 v54, 16, v0 :: v_dual_lshrrev_b32 v85, 16, v1
	v_and_b32_e32 v84, 0xffff, v1
	v_or_b32_e32 v83, v71, v87
	v_or_b32_e32 v80, v82, v86
	;; [unrolled: 1-line block ×3, first 2 shown]
	s_delay_alu instid0(VALU_DEP_4)
	v_or_b32_e32 v70, v54, v84
	s_and_saveexec_b32 s8, s3
	s_cbranch_execz .LBB302_3274
; %bb.3273:                             ;   in Loop: Header=BB302_2086 Depth=1
	v_dual_cndmask_b32 v0, 0, v87, vcc_lo :: v_dual_cndmask_b32 v1, 0, v86, s0
	v_dual_cndmask_b32 v6, 0, v71, s1 :: v_dual_cndmask_b32 v7, 0, v82, s2
	v_dual_cndmask_b32 v12, 0, v85, s4 :: v_dual_cndmask_b32 v18, 0, v84, s5
	;; [unrolled: 1-line block ×3, first 2 shown]
	s_delay_alu instid0(VALU_DEP_3) | instskip(NEXT) | instid1(VALU_DEP_4)
	v_or_b32_e32 v83, v0, v6
	v_or_b32_e32 v80, v1, v7
	s_delay_alu instid0(VALU_DEP_3) | instskip(NEXT) | instid1(VALU_DEP_4)
	v_or_b32_e32 v81, v12, v19
	v_or_b32_e32 v70, v18, v54
.LBB302_3274:                           ;   in Loop: Header=BB302_2086 Depth=1
	s_or_b32 exec_lo, exec_lo, s8
	;;#ASMSTART
	v_pk_mul_f16 v0, v112, v83;

	;;#ASMEND
	;;#ASMSTART
	v_pk_mul_f16 v1, v103, v80;

	;;#ASMEND
	;; [unrolled: 4-line block ×4, first 2 shown]
	;;#ASMSTART
	v_pk_add_f16 v0, v0, v1;

	;;#ASMEND
	;;#ASMSTART
	v_pk_add_f16 v0, v0, v6;

	;;#ASMEND
	;; [unrolled: 4-line block ×3, first 2 shown]
	v_and_b32_e32 v1, 0xffff, v0
	v_lshrrev_b32_e32 v0, 16, v0
	;;#ASMSTART
	v_cvt_f32_f16 v91, v1;
	;;#ASMEND
	v_mov_b32_e32 v1, 0
	;;#ASMSTART
	v_cvt_f32_f16 v92, v0;
	;;#ASMEND
	flat_load_b64 v[80:81], v[68:69] offset:4608
	flat_load_b32 v70, v[22:23]
	v_mov_b32_e32 v0, 0
	s_mov_b32 s23, exec_lo
	s_wait_loadcnt_dscnt 0x101
	v_and_b32_e32 v12, 0xff, v80
	s_wait_xcnt 0x0
	s_delay_alu instid0(VALU_DEP_1)
	v_cmpx_ne_u16_e32 0, v12
	s_cbranch_execz .LBB302_3282
; %bb.3275:                             ;   in Loop: Header=BB302_2086 Depth=1
	v_mov_b32_e32 v1, 0x8000
	s_mov_b32 s24, exec_lo
	v_cmpx_ne_u16_e32 0x80, v12
	s_cbranch_execz .LBB302_3281
; %bb.3276:                             ;   in Loop: Header=BB302_2086 Depth=1
	v_and_b32_e32 v18, 0x7f, v80
	v_mov_b32_e32 v1, 0x7c01
	s_mov_b32 s25, exec_lo
	s_delay_alu instid0(VALU_DEP_2)
	v_cmpx_ne_u32_e32 0x7f, v18
	s_cbranch_execz .LBB302_3280
; %bb.3277:                             ;   in Loop: Header=BB302_2086 Depth=1
	v_dual_lshrrev_b32 v12, 3, v18 :: v_dual_bitop2_b32 v1, 7, v80 bitop3:0x40
	s_mov_b32 s26, exec_lo
	v_cmpx_gt_u32_e32 8, v18
; %bb.3278:                             ;   in Loop: Header=BB302_2086 Depth=1
	s_delay_alu instid0(VALU_DEP_2) | instskip(NEXT) | instid1(VALU_DEP_1)
	v_clz_i32_u32_e32 v1, v1
	v_min_u32_e32 v1, 32, v1
	s_delay_alu instid0(VALU_DEP_1) | instskip(NEXT) | instid1(VALU_DEP_1)
	v_subrev_nc_u32_e32 v6, 28, v1
	v_lshlrev_b64_e32 v[6:7], v6, v[80:81]
	s_delay_alu instid0(VALU_DEP_1)
	v_dual_sub_nc_u32 v12, 29, v1 :: v_dual_bitop2_b32 v1, 7, v6 bitop3:0x40
; %bb.3279:                             ;   in Loop: Header=BB302_2086 Depth=1
	s_or_b32 exec_lo, exec_lo, s26
	s_delay_alu instid0(VALU_DEP_1) | instskip(NEXT) | instid1(VALU_DEP_2)
	v_dual_lshlrev_b32 v6, 8, v80 :: v_dual_lshlrev_b32 v1, 7, v1
	v_lshl_add_u32 v7, v12, 10, 0x2000
	s_delay_alu instid0(VALU_DEP_2) | instskip(NEXT) | instid1(VALU_DEP_2)
	v_and_b32_e32 v6, 0x8000, v6
	v_and_b32_e32 v7, 0xfc00, v7
	s_delay_alu instid0(VALU_DEP_1)
	v_or3_b32 v1, v6, v7, v1
.LBB302_3280:                           ;   in Loop: Header=BB302_2086 Depth=1
	s_or_b32 exec_lo, exec_lo, s25
.LBB302_3281:                           ;   in Loop: Header=BB302_2086 Depth=1
	s_delay_alu instid0(SALU_CYCLE_1)
	s_or_b32 exec_lo, exec_lo, s24
.LBB302_3282:                           ;   in Loop: Header=BB302_2086 Depth=1
	s_delay_alu instid0(SALU_CYCLE_1) | instskip(SKIP_2) | instid1(VALU_DEP_1)
	s_or_b32 exec_lo, exec_lo, s23
	v_lshrrev_b16 v54, 8, v80
	s_mov_b32 s23, exec_lo
	v_cmpx_ne_u16_e32 0, v54
	s_cbranch_execz .LBB302_3290
; %bb.3283:                             ;   in Loop: Header=BB302_2086 Depth=1
	v_bfrev_b32_e32 v0, 1
	s_mov_b32 s24, exec_lo
	v_cmpx_ne_u16_e32 0x80, v54
	s_cbranch_execz .LBB302_3289
; %bb.3284:                             ;   in Loop: Header=BB302_2086 Depth=1
	v_and_b32_e32 v12, 0xffff, v54
	v_mov_b32_e32 v0, 0x7c010000
	s_mov_b32 s25, exec_lo
	s_delay_alu instid0(VALU_DEP_2) | instskip(NEXT) | instid1(VALU_DEP_1)
	v_and_b32_e32 v19, 0x7f, v12
	v_cmpx_ne_u32_e32 0x7f, v19
	s_cbranch_execz .LBB302_3288
; %bb.3285:                             ;   in Loop: Header=BB302_2086 Depth=1
	v_dual_lshrrev_b32 v18, 3, v19 :: v_dual_bitop2_b32 v0, 7, v12 bitop3:0x40
	s_mov_b32 s26, exec_lo
	v_cmpx_gt_u32_e32 8, v19
; %bb.3286:                             ;   in Loop: Header=BB302_2086 Depth=1
	s_delay_alu instid0(VALU_DEP_2) | instskip(NEXT) | instid1(VALU_DEP_1)
	v_clz_i32_u32_e32 v0, v0
	v_min_u32_e32 v0, 32, v0
	s_delay_alu instid0(VALU_DEP_1) | instskip(NEXT) | instid1(VALU_DEP_1)
	v_subrev_nc_u32_e32 v6, 28, v0
	v_lshlrev_b64_e32 v[6:7], v6, v[54:55]
	s_delay_alu instid0(VALU_DEP_1)
	v_dual_sub_nc_u32 v18, 29, v0 :: v_dual_bitop2_b32 v0, 7, v6 bitop3:0x40
; %bb.3287:                             ;   in Loop: Header=BB302_2086 Depth=1
	s_or_b32 exec_lo, exec_lo, s26
	v_lshlrev_b32_e32 v6, 8, v12
	s_delay_alu instid0(VALU_DEP_2) | instskip(NEXT) | instid1(VALU_DEP_3)
	v_lshl_add_u32 v7, v18, 10, 0x2000
	v_lshlrev_b32_e32 v0, 23, v0
	s_delay_alu instid0(VALU_DEP_2) | instskip(NEXT) | instid1(VALU_DEP_1)
	v_and_or_b32 v6, 0x8000, v6, v7
	v_lshl_or_b32 v0, v6, 16, v0
.LBB302_3288:                           ;   in Loop: Header=BB302_2086 Depth=1
	s_or_b32 exec_lo, exec_lo, s25
.LBB302_3289:                           ;   in Loop: Header=BB302_2086 Depth=1
	s_delay_alu instid0(SALU_CYCLE_1)
	s_or_b32 exec_lo, exec_lo, s24
.LBB302_3290:                           ;   in Loop: Header=BB302_2086 Depth=1
	s_delay_alu instid0(SALU_CYCLE_1) | instskip(SKIP_3) | instid1(VALU_DEP_2)
	s_or_b32 exec_lo, exec_lo, s23
	v_dual_lshrrev_b32 v54, 16, v80 :: v_dual_mov_b32 v12, 0
	v_mov_b32_e32 v18, 0
	s_mov_b32 s23, exec_lo
	v_and_b32_e32 v19, 0xff, v54
	s_delay_alu instid0(VALU_DEP_1)
	v_cmpx_ne_u16_e32 0, v19
	s_cbranch_execz .LBB302_3298
; %bb.3291:                             ;   in Loop: Header=BB302_2086 Depth=1
	v_mov_b32_e32 v18, 0x8000
	s_mov_b32 s24, exec_lo
	v_cmpx_ne_u16_e32 0x80, v19
	s_cbranch_execz .LBB302_3297
; %bb.3292:                             ;   in Loop: Header=BB302_2086 Depth=1
	v_bfe_u32 v71, v80, 16, 7
	v_mov_b32_e32 v18, 0x7c01
	s_mov_b32 s25, exec_lo
	s_delay_alu instid0(VALU_DEP_2)
	v_cmpx_ne_u32_e32 0x7f, v71
	s_cbranch_execz .LBB302_3296
; %bb.3293:                             ;   in Loop: Header=BB302_2086 Depth=1
	v_dual_lshrrev_b32 v19, 3, v71 :: v_dual_bitop2_b32 v18, 7, v54 bitop3:0x40
	s_mov_b32 s26, exec_lo
	v_cmpx_gt_u32_e32 8, v71
; %bb.3294:                             ;   in Loop: Header=BB302_2086 Depth=1
	s_delay_alu instid0(VALU_DEP_2) | instskip(NEXT) | instid1(VALU_DEP_1)
	v_clz_i32_u32_e32 v6, v18
	v_min_u32_e32 v18, 32, v6
	s_delay_alu instid0(VALU_DEP_1) | instskip(SKIP_1) | instid1(VALU_DEP_2)
	v_subrev_nc_u32_e32 v6, 28, v18
	v_sub_nc_u32_e32 v19, 29, v18
	v_lshlrev_b64_e32 v[6:7], v6, v[54:55]
	s_delay_alu instid0(VALU_DEP_1)
	v_and_b32_e32 v18, 7, v6
; %bb.3295:                             ;   in Loop: Header=BB302_2086 Depth=1
	s_or_b32 exec_lo, exec_lo, s26
	v_lshlrev_b32_e32 v6, 8, v54
	v_lshl_add_u32 v7, v19, 10, 0x2000
	s_delay_alu instid0(VALU_DEP_3) | instskip(NEXT) | instid1(VALU_DEP_3)
	v_lshlrev_b32_e32 v18, 7, v18
	v_and_b32_e32 v6, 0x8000, v6
	s_delay_alu instid0(VALU_DEP_3) | instskip(NEXT) | instid1(VALU_DEP_1)
	v_and_b32_e32 v7, 0xfc00, v7
	v_or3_b32 v18, v6, v7, v18
.LBB302_3296:                           ;   in Loop: Header=BB302_2086 Depth=1
	s_or_b32 exec_lo, exec_lo, s25
.LBB302_3297:                           ;   in Loop: Header=BB302_2086 Depth=1
	s_delay_alu instid0(SALU_CYCLE_1)
	s_or_b32 exec_lo, exec_lo, s24
.LBB302_3298:                           ;   in Loop: Header=BB302_2086 Depth=1
	s_delay_alu instid0(SALU_CYCLE_1) | instskip(NEXT) | instid1(SALU_CYCLE_1)
	s_or_b32 exec_lo, exec_lo, s23
	s_mov_b32 s23, exec_lo
	v_cmpx_lt_u32_e32 0xffffff, v80
	s_cbranch_execz .LBB302_3306
; %bb.3299:                             ;   in Loop: Header=BB302_2086 Depth=1
	v_lshrrev_b32_e32 v54, 24, v80
	v_bfrev_b32_e32 v12, 1
	s_mov_b32 s24, exec_lo
	s_delay_alu instid0(VALU_DEP_2)
	v_cmpx_ne_u32_e32 0x80, v54
	s_cbranch_execz .LBB302_3305
; %bb.3300:                             ;   in Loop: Header=BB302_2086 Depth=1
	v_and_b32_e32 v71, 0x7f, v54
	v_mov_b32_e32 v12, 0x7c010000
	s_mov_b32 s25, exec_lo
	s_delay_alu instid0(VALU_DEP_2)
	v_cmpx_ne_u32_e32 0x7f, v71
	s_cbranch_execz .LBB302_3304
; %bb.3301:                             ;   in Loop: Header=BB302_2086 Depth=1
	v_dual_lshrrev_b32 v19, 3, v71 :: v_dual_bitop2_b32 v12, 7, v54 bitop3:0x40
	s_mov_b32 s26, exec_lo
	v_cmpx_gt_u32_e32 8, v71
; %bb.3302:                             ;   in Loop: Header=BB302_2086 Depth=1
	s_delay_alu instid0(VALU_DEP_2) | instskip(NEXT) | instid1(VALU_DEP_1)
	v_clz_i32_u32_e32 v6, v12
	v_min_u32_e32 v12, 32, v6
	s_delay_alu instid0(VALU_DEP_1) | instskip(NEXT) | instid1(VALU_DEP_1)
	v_subrev_nc_u32_e32 v6, 28, v12
	v_lshlrev_b64_e32 v[6:7], v6, v[54:55]
	s_delay_alu instid0(VALU_DEP_1)
	v_dual_sub_nc_u32 v19, 29, v12 :: v_dual_bitop2_b32 v12, 7, v6 bitop3:0x40
; %bb.3303:                             ;   in Loop: Header=BB302_2086 Depth=1
	s_or_b32 exec_lo, exec_lo, s26
	v_lshlrev_b32_e32 v6, 8, v54
	s_delay_alu instid0(VALU_DEP_2) | instskip(NEXT) | instid1(VALU_DEP_1)
	v_lshl_add_u32 v7, v19, 10, 0x2000
	v_and_or_b32 v6, 0x8000, v6, v7
	v_lshlrev_b32_e32 v7, 23, v12
	s_delay_alu instid0(VALU_DEP_1)
	v_lshl_or_b32 v12, v6, 16, v7
.LBB302_3304:                           ;   in Loop: Header=BB302_2086 Depth=1
	s_or_b32 exec_lo, exec_lo, s25
.LBB302_3305:                           ;   in Loop: Header=BB302_2086 Depth=1
	s_delay_alu instid0(SALU_CYCLE_1)
	s_or_b32 exec_lo, exec_lo, s24
.LBB302_3306:                           ;   in Loop: Header=BB302_2086 Depth=1
	s_delay_alu instid0(SALU_CYCLE_1) | instskip(SKIP_4) | instid1(VALU_DEP_3)
	s_or_b32 exec_lo, exec_lo, s23
	v_and_b32_e32 v82, 0xff, v81
	v_dual_mov_b32 v54, v81 :: v_dual_mov_b32 v71, 0
	v_mov_b32_e32 v19, 0
	s_mov_b32 s23, exec_lo
	v_cmpx_ne_u16_e32 0, v82
	s_cbranch_execz .LBB302_3314
; %bb.3307:                             ;   in Loop: Header=BB302_2086 Depth=1
	v_mov_b32_e32 v19, 0x8000
	s_mov_b32 s24, exec_lo
	v_cmpx_ne_u16_e32 0x80, v82
	s_cbranch_execz .LBB302_3313
; %bb.3308:                             ;   in Loop: Header=BB302_2086 Depth=1
	v_and_b32_e32 v83, 0x7f, v81
	v_mov_b32_e32 v19, 0x7c01
	s_mov_b32 s25, exec_lo
	s_delay_alu instid0(VALU_DEP_2)
	v_cmpx_ne_u32_e32 0x7f, v83
	s_cbranch_execz .LBB302_3312
; %bb.3309:                             ;   in Loop: Header=BB302_2086 Depth=1
	v_dual_lshrrev_b32 v82, 3, v83 :: v_dual_bitop2_b32 v19, 7, v81 bitop3:0x40
	s_mov_b32 s26, exec_lo
	v_cmpx_gt_u32_e32 8, v83
; %bb.3310:                             ;   in Loop: Header=BB302_2086 Depth=1
	s_delay_alu instid0(VALU_DEP_2) | instskip(NEXT) | instid1(VALU_DEP_1)
	v_clz_i32_u32_e32 v6, v19
	v_min_u32_e32 v19, 32, v6
	s_delay_alu instid0(VALU_DEP_1) | instskip(NEXT) | instid1(VALU_DEP_1)
	v_subrev_nc_u32_e32 v6, 28, v19
	v_lshlrev_b64_e32 v[6:7], v6, v[54:55]
	s_delay_alu instid0(VALU_DEP_1)
	v_dual_sub_nc_u32 v82, 29, v19 :: v_dual_bitop2_b32 v19, 7, v6 bitop3:0x40
; %bb.3311:                             ;   in Loop: Header=BB302_2086 Depth=1
	s_or_b32 exec_lo, exec_lo, s26
	s_delay_alu instid0(VALU_DEP_1) | instskip(NEXT) | instid1(VALU_DEP_2)
	v_dual_lshlrev_b32 v6, 8, v81 :: v_dual_lshlrev_b32 v19, 7, v19
	v_lshl_add_u32 v7, v82, 10, 0x2000
	s_delay_alu instid0(VALU_DEP_2) | instskip(NEXT) | instid1(VALU_DEP_2)
	v_and_b32_e32 v6, 0x8000, v6
	v_and_b32_e32 v7, 0xfc00, v7
	s_delay_alu instid0(VALU_DEP_1)
	v_or3_b32 v19, v6, v7, v19
.LBB302_3312:                           ;   in Loop: Header=BB302_2086 Depth=1
	s_or_b32 exec_lo, exec_lo, s25
.LBB302_3313:                           ;   in Loop: Header=BB302_2086 Depth=1
	s_delay_alu instid0(SALU_CYCLE_1)
	s_or_b32 exec_lo, exec_lo, s24
.LBB302_3314:                           ;   in Loop: Header=BB302_2086 Depth=1
	s_delay_alu instid0(SALU_CYCLE_1) | instskip(SKIP_3) | instid1(VALU_DEP_2)
	s_or_b32 exec_lo, exec_lo, s23
	v_lshrrev_b16 v54, 8, v54
	v_mov_b32_e32 v82, 0
	s_mov_b32 s23, exec_lo
	v_cmpx_ne_u16_e32 0, v54
	s_cbranch_execz .LBB302_3322
; %bb.3315:                             ;   in Loop: Header=BB302_2086 Depth=1
	v_bfrev_b32_e32 v82, 1
	s_mov_b32 s24, exec_lo
	v_cmpx_ne_u16_e32 0x80, v54
	s_cbranch_execz .LBB302_3321
; %bb.3316:                             ;   in Loop: Header=BB302_2086 Depth=1
	v_and_b32_e32 v83, 0xffff, v54
	v_mov_b32_e32 v82, 0x7c010000
	s_mov_b32 s25, exec_lo
	s_delay_alu instid0(VALU_DEP_2) | instskip(NEXT) | instid1(VALU_DEP_1)
	v_and_b32_e32 v85, 0x7f, v83
	v_cmpx_ne_u32_e32 0x7f, v85
	s_cbranch_execz .LBB302_3320
; %bb.3317:                             ;   in Loop: Header=BB302_2086 Depth=1
	v_dual_lshrrev_b32 v84, 3, v85 :: v_dual_bitop2_b32 v82, 7, v83 bitop3:0x40
	s_mov_b32 s26, exec_lo
	v_cmpx_gt_u32_e32 8, v85
; %bb.3318:                             ;   in Loop: Header=BB302_2086 Depth=1
	s_delay_alu instid0(VALU_DEP_2) | instskip(NEXT) | instid1(VALU_DEP_1)
	v_clz_i32_u32_e32 v6, v82
	v_min_u32_e32 v64, 32, v6
	s_delay_alu instid0(VALU_DEP_1) | instskip(NEXT) | instid1(VALU_DEP_1)
	v_subrev_nc_u32_e32 v6, 28, v64
	v_lshlrev_b64_e32 v[6:7], v6, v[54:55]
	s_delay_alu instid0(VALU_DEP_1)
	v_dual_sub_nc_u32 v84, 29, v64 :: v_dual_bitop2_b32 v82, 7, v6 bitop3:0x40
; %bb.3319:                             ;   in Loop: Header=BB302_2086 Depth=1
	s_or_b32 exec_lo, exec_lo, s26
	v_lshlrev_b32_e32 v6, 8, v83
	s_delay_alu instid0(VALU_DEP_2) | instskip(NEXT) | instid1(VALU_DEP_1)
	v_lshl_add_u32 v7, v84, 10, 0x2000
	v_and_or_b32 v6, 0x8000, v6, v7
	v_lshlrev_b32_e32 v7, 23, v82
	s_delay_alu instid0(VALU_DEP_1)
	v_lshl_or_b32 v82, v6, 16, v7
.LBB302_3320:                           ;   in Loop: Header=BB302_2086 Depth=1
	s_or_b32 exec_lo, exec_lo, s25
.LBB302_3321:                           ;   in Loop: Header=BB302_2086 Depth=1
	s_delay_alu instid0(SALU_CYCLE_1)
	s_or_b32 exec_lo, exec_lo, s24
.LBB302_3322:                           ;   in Loop: Header=BB302_2086 Depth=1
	s_delay_alu instid0(SALU_CYCLE_1) | instskip(SKIP_2) | instid1(VALU_DEP_1)
	s_or_b32 exec_lo, exec_lo, s23
	v_lshrrev_b32_e32 v54, 16, v81
	s_mov_b32 s23, exec_lo
	v_and_b32_e32 v83, 0xff, v54
	s_delay_alu instid0(VALU_DEP_1)
	v_cmpx_ne_u16_e32 0, v83
	s_cbranch_execz .LBB302_3330
; %bb.3323:                             ;   in Loop: Header=BB302_2086 Depth=1
	v_mov_b32_e32 v71, 0x8000
	s_mov_b32 s24, exec_lo
	v_cmpx_ne_u16_e32 0x80, v83
	s_cbranch_execz .LBB302_3329
; %bb.3324:                             ;   in Loop: Header=BB302_2086 Depth=1
	v_bfe_u32 v84, v81, 16, 7
	v_mov_b32_e32 v71, 0x7c01
	s_mov_b32 s25, exec_lo
	s_delay_alu instid0(VALU_DEP_2)
	v_cmpx_ne_u32_e32 0x7f, v84
	s_cbranch_execz .LBB302_3328
; %bb.3325:                             ;   in Loop: Header=BB302_2086 Depth=1
	v_dual_lshrrev_b32 v83, 3, v84 :: v_dual_bitop2_b32 v71, 7, v54 bitop3:0x40
	s_mov_b32 s26, exec_lo
	v_cmpx_gt_u32_e32 8, v84
; %bb.3326:                             ;   in Loop: Header=BB302_2086 Depth=1
	s_delay_alu instid0(VALU_DEP_2) | instskip(NEXT) | instid1(VALU_DEP_1)
	v_clz_i32_u32_e32 v6, v71
	v_min_u32_e32 v64, 32, v6
	s_delay_alu instid0(VALU_DEP_1) | instskip(NEXT) | instid1(VALU_DEP_1)
	v_subrev_nc_u32_e32 v6, 28, v64
	v_lshlrev_b64_e32 v[6:7], v6, v[54:55]
	s_delay_alu instid0(VALU_DEP_1)
	v_dual_sub_nc_u32 v83, 29, v64 :: v_dual_bitop2_b32 v71, 7, v6 bitop3:0x40
; %bb.3327:                             ;   in Loop: Header=BB302_2086 Depth=1
	s_or_b32 exec_lo, exec_lo, s26
	s_delay_alu instid0(VALU_DEP_1) | instskip(NEXT) | instid1(VALU_DEP_2)
	v_dual_lshlrev_b32 v6, 8, v54 :: v_dual_lshlrev_b32 v54, 7, v71
	v_lshl_add_u32 v7, v83, 10, 0x2000
	s_delay_alu instid0(VALU_DEP_2) | instskip(NEXT) | instid1(VALU_DEP_2)
	v_and_b32_e32 v6, 0x8000, v6
	v_and_b32_e32 v7, 0xfc00, v7
	s_delay_alu instid0(VALU_DEP_1)
	v_or3_b32 v71, v6, v7, v54
.LBB302_3328:                           ;   in Loop: Header=BB302_2086 Depth=1
	s_or_b32 exec_lo, exec_lo, s25
.LBB302_3329:                           ;   in Loop: Header=BB302_2086 Depth=1
	s_delay_alu instid0(SALU_CYCLE_1)
	s_or_b32 exec_lo, exec_lo, s24
.LBB302_3330:                           ;   in Loop: Header=BB302_2086 Depth=1
	s_delay_alu instid0(SALU_CYCLE_1)
	s_or_b32 exec_lo, exec_lo, s23
	v_cmp_lt_u64_e64 s8, s[16:17], v[80:81]
	v_mov_b32_e32 v80, 0
	s_and_saveexec_b32 s23, s8
	s_cbranch_execz .LBB302_3338
; %bb.3331:                             ;   in Loop: Header=BB302_2086 Depth=1
	v_lshrrev_b32_e32 v54, 24, v81
	v_bfrev_b32_e32 v80, 1
	s_mov_b32 s24, exec_lo
	s_delay_alu instid0(VALU_DEP_2)
	v_cmpx_ne_u32_e32 0x80, v54
	s_cbranch_execz .LBB302_3337
; %bb.3332:                             ;   in Loop: Header=BB302_2086 Depth=1
	v_and_b32_e32 v83, 0x7f, v54
	v_mov_b32_e32 v80, 0x7c010000
	s_mov_b32 s25, exec_lo
	s_delay_alu instid0(VALU_DEP_2)
	v_cmpx_ne_u32_e32 0x7f, v83
	s_cbranch_execz .LBB302_3336
; %bb.3333:                             ;   in Loop: Header=BB302_2086 Depth=1
	v_dual_lshrrev_b32 v81, 3, v83 :: v_dual_bitop2_b32 v80, 7, v54 bitop3:0x40
	s_mov_b32 s26, exec_lo
	v_cmpx_gt_u32_e32 8, v83
; %bb.3334:                             ;   in Loop: Header=BB302_2086 Depth=1
	s_delay_alu instid0(VALU_DEP_2) | instskip(NEXT) | instid1(VALU_DEP_1)
	v_clz_i32_u32_e32 v6, v80
	v_min_u32_e32 v64, 32, v6
	s_delay_alu instid0(VALU_DEP_1) | instskip(NEXT) | instid1(VALU_DEP_1)
	v_subrev_nc_u32_e32 v6, 28, v64
	v_lshlrev_b64_e32 v[6:7], v6, v[54:55]
	s_delay_alu instid0(VALU_DEP_1)
	v_dual_sub_nc_u32 v81, 29, v64 :: v_dual_bitop2_b32 v80, 7, v6 bitop3:0x40
; %bb.3335:                             ;   in Loop: Header=BB302_2086 Depth=1
	s_or_b32 exec_lo, exec_lo, s26
	v_lshlrev_b32_e32 v6, 8, v54
	s_delay_alu instid0(VALU_DEP_2) | instskip(NEXT) | instid1(VALU_DEP_1)
	v_lshl_add_u32 v7, v81, 10, 0x2000
	v_and_or_b32 v6, 0x8000, v6, v7
	v_lshlrev_b32_e32 v7, 23, v80
	s_delay_alu instid0(VALU_DEP_1)
	v_lshl_or_b32 v80, v6, 16, v7
.LBB302_3336:                           ;   in Loop: Header=BB302_2086 Depth=1
	s_or_b32 exec_lo, exec_lo, s25
.LBB302_3337:                           ;   in Loop: Header=BB302_2086 Depth=1
	s_delay_alu instid0(SALU_CYCLE_1)
	s_or_b32 exec_lo, exec_lo, s24
.LBB302_3338:                           ;   in Loop: Header=BB302_2086 Depth=1
	s_delay_alu instid0(SALU_CYCLE_1) | instskip(SKIP_3) | instid1(VALU_DEP_3)
	s_or_b32 exec_lo, exec_lo, s23
	v_dual_lshrrev_b32 v6, 16, v0 :: v_dual_bitop2_b32 v54, v0, v1 bitop3:0x54
	v_dual_lshrrev_b32 v7, 16, v12 :: v_dual_bitop2_b32 v12, v12, v18 bitop3:0x54
	;; [unrolled: 1-line block ×3, first 2 shown]
	v_cvt_f32_f16_e32 v1, v6
	s_delay_alu instid0(VALU_DEP_3)
	v_cvt_f32_f16_e32 v0, v7
	v_lshrrev_b32_e32 v65, 16, v80
	v_cvt_f32_f16_e32 v6, v12
	v_or_b32_e32 v12, v82, v19
	v_cvt_f32_f16_e32 v7, v54
	s_wait_loadcnt_dscnt 0x0
	v_pk_mul_f32 v[0:1], v[70:71], v[0:1] op_sel_hi:[0,1]
	v_cvt_f32_f16_e32 v19, v18
	v_cvt_f32_f16_e32 v18, v65
	;; [unrolled: 1-line block ×4, first 2 shown]
	v_pk_mul_f32 v[6:7], v[70:71], v[6:7] op_sel_hi:[0,1]
	v_cvt_pk_f16_f32 v12, v0, v1
	v_pk_mul_f32 v[0:1], v[70:71], v[18:19] op_sel_hi:[0,1]
	s_delay_alu instid0(VALU_DEP_4) | instskip(NEXT) | instid1(VALU_DEP_4)
	v_pk_mul_f32 v[18:19], v[70:71], v[64:65] op_sel_hi:[0,1]
	v_cvt_pk_f16_f32 v6, v6, v7
	s_delay_alu instid0(VALU_DEP_4) | instskip(NEXT) | instid1(VALU_DEP_4)
	v_and_b32_e32 v71, 0xffff0000, v12
	v_cvt_pk_f16_f32 v0, v0, v1
	v_lshlrev_b32_e32 v82, 16, v12
	v_cvt_pk_f16_f32 v1, v18, v19
	v_lshrrev_b32_e32 v87, 16, v6
	v_and_b32_e32 v86, 0xffff, v6
	v_and_b32_e32 v19, 0xffff0000, v0
	s_delay_alu instid0(VALU_DEP_4) | instskip(SKIP_3) | instid1(VALU_DEP_4)
	v_dual_lshlrev_b32 v54, 16, v0 :: v_dual_lshrrev_b32 v85, 16, v1
	v_and_b32_e32 v84, 0xffff, v1
	v_or_b32_e32 v83, v71, v87
	v_or_b32_e32 v80, v82, v86
	;; [unrolled: 1-line block ×3, first 2 shown]
	s_delay_alu instid0(VALU_DEP_4)
	v_or_b32_e32 v70, v54, v84
	s_and_saveexec_b32 s8, s3
	s_cbranch_execz .LBB302_3340
; %bb.3339:                             ;   in Loop: Header=BB302_2086 Depth=1
	v_dual_cndmask_b32 v0, 0, v87, vcc_lo :: v_dual_cndmask_b32 v1, 0, v86, s0
	v_dual_cndmask_b32 v6, 0, v71, s1 :: v_dual_cndmask_b32 v7, 0, v82, s2
	v_dual_cndmask_b32 v12, 0, v85, s4 :: v_dual_cndmask_b32 v18, 0, v84, s5
	;; [unrolled: 1-line block ×3, first 2 shown]
	s_delay_alu instid0(VALU_DEP_3) | instskip(NEXT) | instid1(VALU_DEP_4)
	v_or_b32_e32 v83, v0, v6
	v_or_b32_e32 v80, v1, v7
	s_delay_alu instid0(VALU_DEP_3) | instskip(NEXT) | instid1(VALU_DEP_4)
	v_or_b32_e32 v81, v12, v19
	v_or_b32_e32 v70, v18, v54
.LBB302_3340:                           ;   in Loop: Header=BB302_2086 Depth=1
	s_or_b32 exec_lo, exec_lo, s8
	;;#ASMSTART
	v_pk_mul_f16 v0, v112, v83;

	;;#ASMEND
	;;#ASMSTART
	v_pk_mul_f16 v1, v103, v80;

	;;#ASMEND
	;; [unrolled: 4-line block ×4, first 2 shown]
	;;#ASMSTART
	v_pk_add_f16 v0, v0, v1;

	;;#ASMEND
	;;#ASMSTART
	v_pk_add_f16 v0, v0, v6;

	;;#ASMEND
	;; [unrolled: 4-line block ×3, first 2 shown]
	v_and_b32_e32 v1, 0xffff, v0
	v_lshrrev_b32_e32 v0, 16, v0
	;;#ASMSTART
	v_cvt_f32_f16 v93, v1;
	;;#ASMEND
	v_mov_b32_e32 v1, 0
	;;#ASMSTART
	v_cvt_f32_f16 v94, v0;
	;;#ASMEND
	flat_load_b64 v[80:81], v[68:69] offset:4864
	flat_load_b32 v70, v[22:23]
	v_mov_b32_e32 v0, 0
	s_mov_b32 s23, exec_lo
	s_wait_loadcnt_dscnt 0x101
	v_and_b32_e32 v12, 0xff, v80
	s_wait_xcnt 0x0
	s_delay_alu instid0(VALU_DEP_1)
	v_cmpx_ne_u16_e32 0, v12
	s_cbranch_execz .LBB302_3348
; %bb.3341:                             ;   in Loop: Header=BB302_2086 Depth=1
	v_mov_b32_e32 v1, 0x8000
	s_mov_b32 s24, exec_lo
	v_cmpx_ne_u16_e32 0x80, v12
	s_cbranch_execz .LBB302_3347
; %bb.3342:                             ;   in Loop: Header=BB302_2086 Depth=1
	v_and_b32_e32 v18, 0x7f, v80
	v_mov_b32_e32 v1, 0x7c01
	s_mov_b32 s25, exec_lo
	s_delay_alu instid0(VALU_DEP_2)
	v_cmpx_ne_u32_e32 0x7f, v18
	s_cbranch_execz .LBB302_3346
; %bb.3343:                             ;   in Loop: Header=BB302_2086 Depth=1
	v_dual_lshrrev_b32 v12, 3, v18 :: v_dual_bitop2_b32 v1, 7, v80 bitop3:0x40
	s_mov_b32 s26, exec_lo
	v_cmpx_gt_u32_e32 8, v18
; %bb.3344:                             ;   in Loop: Header=BB302_2086 Depth=1
	s_delay_alu instid0(VALU_DEP_2) | instskip(NEXT) | instid1(VALU_DEP_1)
	v_clz_i32_u32_e32 v1, v1
	v_min_u32_e32 v1, 32, v1
	s_delay_alu instid0(VALU_DEP_1) | instskip(NEXT) | instid1(VALU_DEP_1)
	v_subrev_nc_u32_e32 v6, 28, v1
	v_lshlrev_b64_e32 v[6:7], v6, v[80:81]
	s_delay_alu instid0(VALU_DEP_1)
	v_dual_sub_nc_u32 v12, 29, v1 :: v_dual_bitop2_b32 v1, 7, v6 bitop3:0x40
; %bb.3345:                             ;   in Loop: Header=BB302_2086 Depth=1
	s_or_b32 exec_lo, exec_lo, s26
	s_delay_alu instid0(VALU_DEP_1) | instskip(NEXT) | instid1(VALU_DEP_2)
	v_dual_lshlrev_b32 v6, 8, v80 :: v_dual_lshlrev_b32 v1, 7, v1
	v_lshl_add_u32 v7, v12, 10, 0x2000
	s_delay_alu instid0(VALU_DEP_2) | instskip(NEXT) | instid1(VALU_DEP_2)
	v_and_b32_e32 v6, 0x8000, v6
	v_and_b32_e32 v7, 0xfc00, v7
	s_delay_alu instid0(VALU_DEP_1)
	v_or3_b32 v1, v6, v7, v1
.LBB302_3346:                           ;   in Loop: Header=BB302_2086 Depth=1
	s_or_b32 exec_lo, exec_lo, s25
.LBB302_3347:                           ;   in Loop: Header=BB302_2086 Depth=1
	s_delay_alu instid0(SALU_CYCLE_1)
	s_or_b32 exec_lo, exec_lo, s24
.LBB302_3348:                           ;   in Loop: Header=BB302_2086 Depth=1
	s_delay_alu instid0(SALU_CYCLE_1) | instskip(SKIP_2) | instid1(VALU_DEP_1)
	s_or_b32 exec_lo, exec_lo, s23
	v_lshrrev_b16 v54, 8, v80
	s_mov_b32 s23, exec_lo
	v_cmpx_ne_u16_e32 0, v54
	s_cbranch_execz .LBB302_3356
; %bb.3349:                             ;   in Loop: Header=BB302_2086 Depth=1
	v_bfrev_b32_e32 v0, 1
	s_mov_b32 s24, exec_lo
	v_cmpx_ne_u16_e32 0x80, v54
	s_cbranch_execz .LBB302_3355
; %bb.3350:                             ;   in Loop: Header=BB302_2086 Depth=1
	v_and_b32_e32 v12, 0xffff, v54
	v_mov_b32_e32 v0, 0x7c010000
	s_mov_b32 s25, exec_lo
	s_delay_alu instid0(VALU_DEP_2) | instskip(NEXT) | instid1(VALU_DEP_1)
	v_and_b32_e32 v19, 0x7f, v12
	v_cmpx_ne_u32_e32 0x7f, v19
	s_cbranch_execz .LBB302_3354
; %bb.3351:                             ;   in Loop: Header=BB302_2086 Depth=1
	v_dual_lshrrev_b32 v18, 3, v19 :: v_dual_bitop2_b32 v0, 7, v12 bitop3:0x40
	s_mov_b32 s26, exec_lo
	v_cmpx_gt_u32_e32 8, v19
; %bb.3352:                             ;   in Loop: Header=BB302_2086 Depth=1
	s_delay_alu instid0(VALU_DEP_2) | instskip(NEXT) | instid1(VALU_DEP_1)
	v_clz_i32_u32_e32 v0, v0
	v_min_u32_e32 v0, 32, v0
	s_delay_alu instid0(VALU_DEP_1) | instskip(NEXT) | instid1(VALU_DEP_1)
	v_subrev_nc_u32_e32 v6, 28, v0
	v_lshlrev_b64_e32 v[6:7], v6, v[54:55]
	s_delay_alu instid0(VALU_DEP_1)
	v_dual_sub_nc_u32 v18, 29, v0 :: v_dual_bitop2_b32 v0, 7, v6 bitop3:0x40
; %bb.3353:                             ;   in Loop: Header=BB302_2086 Depth=1
	s_or_b32 exec_lo, exec_lo, s26
	v_lshlrev_b32_e32 v6, 8, v12
	s_delay_alu instid0(VALU_DEP_2) | instskip(NEXT) | instid1(VALU_DEP_3)
	v_lshl_add_u32 v7, v18, 10, 0x2000
	v_lshlrev_b32_e32 v0, 23, v0
	s_delay_alu instid0(VALU_DEP_2) | instskip(NEXT) | instid1(VALU_DEP_1)
	v_and_or_b32 v6, 0x8000, v6, v7
	v_lshl_or_b32 v0, v6, 16, v0
.LBB302_3354:                           ;   in Loop: Header=BB302_2086 Depth=1
	s_or_b32 exec_lo, exec_lo, s25
.LBB302_3355:                           ;   in Loop: Header=BB302_2086 Depth=1
	s_delay_alu instid0(SALU_CYCLE_1)
	s_or_b32 exec_lo, exec_lo, s24
.LBB302_3356:                           ;   in Loop: Header=BB302_2086 Depth=1
	s_delay_alu instid0(SALU_CYCLE_1) | instskip(SKIP_3) | instid1(VALU_DEP_2)
	s_or_b32 exec_lo, exec_lo, s23
	v_dual_lshrrev_b32 v54, 16, v80 :: v_dual_mov_b32 v12, 0
	v_mov_b32_e32 v18, 0
	s_mov_b32 s23, exec_lo
	v_and_b32_e32 v19, 0xff, v54
	s_delay_alu instid0(VALU_DEP_1)
	v_cmpx_ne_u16_e32 0, v19
	s_cbranch_execz .LBB302_3364
; %bb.3357:                             ;   in Loop: Header=BB302_2086 Depth=1
	v_mov_b32_e32 v18, 0x8000
	s_mov_b32 s24, exec_lo
	v_cmpx_ne_u16_e32 0x80, v19
	s_cbranch_execz .LBB302_3363
; %bb.3358:                             ;   in Loop: Header=BB302_2086 Depth=1
	v_bfe_u32 v71, v80, 16, 7
	v_mov_b32_e32 v18, 0x7c01
	s_mov_b32 s25, exec_lo
	s_delay_alu instid0(VALU_DEP_2)
	v_cmpx_ne_u32_e32 0x7f, v71
	s_cbranch_execz .LBB302_3362
; %bb.3359:                             ;   in Loop: Header=BB302_2086 Depth=1
	v_dual_lshrrev_b32 v19, 3, v71 :: v_dual_bitop2_b32 v18, 7, v54 bitop3:0x40
	s_mov_b32 s26, exec_lo
	v_cmpx_gt_u32_e32 8, v71
; %bb.3360:                             ;   in Loop: Header=BB302_2086 Depth=1
	s_delay_alu instid0(VALU_DEP_2) | instskip(NEXT) | instid1(VALU_DEP_1)
	v_clz_i32_u32_e32 v6, v18
	v_min_u32_e32 v18, 32, v6
	s_delay_alu instid0(VALU_DEP_1) | instskip(SKIP_1) | instid1(VALU_DEP_2)
	v_subrev_nc_u32_e32 v6, 28, v18
	v_sub_nc_u32_e32 v19, 29, v18
	v_lshlrev_b64_e32 v[6:7], v6, v[54:55]
	s_delay_alu instid0(VALU_DEP_1)
	v_and_b32_e32 v18, 7, v6
; %bb.3361:                             ;   in Loop: Header=BB302_2086 Depth=1
	s_or_b32 exec_lo, exec_lo, s26
	v_lshlrev_b32_e32 v6, 8, v54
	v_lshl_add_u32 v7, v19, 10, 0x2000
	s_delay_alu instid0(VALU_DEP_3) | instskip(NEXT) | instid1(VALU_DEP_3)
	v_lshlrev_b32_e32 v18, 7, v18
	v_and_b32_e32 v6, 0x8000, v6
	s_delay_alu instid0(VALU_DEP_3) | instskip(NEXT) | instid1(VALU_DEP_1)
	v_and_b32_e32 v7, 0xfc00, v7
	v_or3_b32 v18, v6, v7, v18
.LBB302_3362:                           ;   in Loop: Header=BB302_2086 Depth=1
	s_or_b32 exec_lo, exec_lo, s25
.LBB302_3363:                           ;   in Loop: Header=BB302_2086 Depth=1
	s_delay_alu instid0(SALU_CYCLE_1)
	s_or_b32 exec_lo, exec_lo, s24
.LBB302_3364:                           ;   in Loop: Header=BB302_2086 Depth=1
	s_delay_alu instid0(SALU_CYCLE_1) | instskip(NEXT) | instid1(SALU_CYCLE_1)
	s_or_b32 exec_lo, exec_lo, s23
	s_mov_b32 s23, exec_lo
	v_cmpx_lt_u32_e32 0xffffff, v80
	s_cbranch_execz .LBB302_3372
; %bb.3365:                             ;   in Loop: Header=BB302_2086 Depth=1
	v_lshrrev_b32_e32 v54, 24, v80
	v_bfrev_b32_e32 v12, 1
	s_mov_b32 s24, exec_lo
	s_delay_alu instid0(VALU_DEP_2)
	v_cmpx_ne_u32_e32 0x80, v54
	s_cbranch_execz .LBB302_3371
; %bb.3366:                             ;   in Loop: Header=BB302_2086 Depth=1
	v_and_b32_e32 v71, 0x7f, v54
	v_mov_b32_e32 v12, 0x7c010000
	s_mov_b32 s25, exec_lo
	s_delay_alu instid0(VALU_DEP_2)
	v_cmpx_ne_u32_e32 0x7f, v71
	s_cbranch_execz .LBB302_3370
; %bb.3367:                             ;   in Loop: Header=BB302_2086 Depth=1
	v_dual_lshrrev_b32 v19, 3, v71 :: v_dual_bitop2_b32 v12, 7, v54 bitop3:0x40
	s_mov_b32 s26, exec_lo
	v_cmpx_gt_u32_e32 8, v71
; %bb.3368:                             ;   in Loop: Header=BB302_2086 Depth=1
	s_delay_alu instid0(VALU_DEP_2) | instskip(NEXT) | instid1(VALU_DEP_1)
	v_clz_i32_u32_e32 v6, v12
	v_min_u32_e32 v12, 32, v6
	s_delay_alu instid0(VALU_DEP_1) | instskip(NEXT) | instid1(VALU_DEP_1)
	v_subrev_nc_u32_e32 v6, 28, v12
	v_lshlrev_b64_e32 v[6:7], v6, v[54:55]
	s_delay_alu instid0(VALU_DEP_1)
	v_dual_sub_nc_u32 v19, 29, v12 :: v_dual_bitop2_b32 v12, 7, v6 bitop3:0x40
; %bb.3369:                             ;   in Loop: Header=BB302_2086 Depth=1
	s_or_b32 exec_lo, exec_lo, s26
	v_lshlrev_b32_e32 v6, 8, v54
	s_delay_alu instid0(VALU_DEP_2) | instskip(NEXT) | instid1(VALU_DEP_1)
	v_lshl_add_u32 v7, v19, 10, 0x2000
	v_and_or_b32 v6, 0x8000, v6, v7
	v_lshlrev_b32_e32 v7, 23, v12
	s_delay_alu instid0(VALU_DEP_1)
	v_lshl_or_b32 v12, v6, 16, v7
.LBB302_3370:                           ;   in Loop: Header=BB302_2086 Depth=1
	s_or_b32 exec_lo, exec_lo, s25
.LBB302_3371:                           ;   in Loop: Header=BB302_2086 Depth=1
	s_delay_alu instid0(SALU_CYCLE_1)
	s_or_b32 exec_lo, exec_lo, s24
.LBB302_3372:                           ;   in Loop: Header=BB302_2086 Depth=1
	s_delay_alu instid0(SALU_CYCLE_1) | instskip(SKIP_4) | instid1(VALU_DEP_3)
	s_or_b32 exec_lo, exec_lo, s23
	v_and_b32_e32 v82, 0xff, v81
	v_dual_mov_b32 v54, v81 :: v_dual_mov_b32 v71, 0
	v_mov_b32_e32 v19, 0
	s_mov_b32 s23, exec_lo
	v_cmpx_ne_u16_e32 0, v82
	s_cbranch_execz .LBB302_3380
; %bb.3373:                             ;   in Loop: Header=BB302_2086 Depth=1
	v_mov_b32_e32 v19, 0x8000
	s_mov_b32 s24, exec_lo
	v_cmpx_ne_u16_e32 0x80, v82
	s_cbranch_execz .LBB302_3379
; %bb.3374:                             ;   in Loop: Header=BB302_2086 Depth=1
	v_and_b32_e32 v83, 0x7f, v81
	v_mov_b32_e32 v19, 0x7c01
	s_mov_b32 s25, exec_lo
	s_delay_alu instid0(VALU_DEP_2)
	v_cmpx_ne_u32_e32 0x7f, v83
	s_cbranch_execz .LBB302_3378
; %bb.3375:                             ;   in Loop: Header=BB302_2086 Depth=1
	v_dual_lshrrev_b32 v82, 3, v83 :: v_dual_bitop2_b32 v19, 7, v81 bitop3:0x40
	s_mov_b32 s26, exec_lo
	v_cmpx_gt_u32_e32 8, v83
; %bb.3376:                             ;   in Loop: Header=BB302_2086 Depth=1
	s_delay_alu instid0(VALU_DEP_2) | instskip(NEXT) | instid1(VALU_DEP_1)
	v_clz_i32_u32_e32 v6, v19
	v_min_u32_e32 v19, 32, v6
	s_delay_alu instid0(VALU_DEP_1) | instskip(NEXT) | instid1(VALU_DEP_1)
	v_subrev_nc_u32_e32 v6, 28, v19
	v_lshlrev_b64_e32 v[6:7], v6, v[54:55]
	s_delay_alu instid0(VALU_DEP_1)
	v_dual_sub_nc_u32 v82, 29, v19 :: v_dual_bitop2_b32 v19, 7, v6 bitop3:0x40
; %bb.3377:                             ;   in Loop: Header=BB302_2086 Depth=1
	s_or_b32 exec_lo, exec_lo, s26
	s_delay_alu instid0(VALU_DEP_1) | instskip(NEXT) | instid1(VALU_DEP_2)
	v_dual_lshlrev_b32 v6, 8, v81 :: v_dual_lshlrev_b32 v19, 7, v19
	v_lshl_add_u32 v7, v82, 10, 0x2000
	s_delay_alu instid0(VALU_DEP_2) | instskip(NEXT) | instid1(VALU_DEP_2)
	v_and_b32_e32 v6, 0x8000, v6
	v_and_b32_e32 v7, 0xfc00, v7
	s_delay_alu instid0(VALU_DEP_1)
	v_or3_b32 v19, v6, v7, v19
.LBB302_3378:                           ;   in Loop: Header=BB302_2086 Depth=1
	s_or_b32 exec_lo, exec_lo, s25
.LBB302_3379:                           ;   in Loop: Header=BB302_2086 Depth=1
	s_delay_alu instid0(SALU_CYCLE_1)
	s_or_b32 exec_lo, exec_lo, s24
.LBB302_3380:                           ;   in Loop: Header=BB302_2086 Depth=1
	s_delay_alu instid0(SALU_CYCLE_1) | instskip(SKIP_3) | instid1(VALU_DEP_2)
	s_or_b32 exec_lo, exec_lo, s23
	v_lshrrev_b16 v54, 8, v54
	v_mov_b32_e32 v82, 0
	s_mov_b32 s23, exec_lo
	v_cmpx_ne_u16_e32 0, v54
	s_cbranch_execz .LBB302_3388
; %bb.3381:                             ;   in Loop: Header=BB302_2086 Depth=1
	v_bfrev_b32_e32 v82, 1
	s_mov_b32 s24, exec_lo
	v_cmpx_ne_u16_e32 0x80, v54
	s_cbranch_execz .LBB302_3387
; %bb.3382:                             ;   in Loop: Header=BB302_2086 Depth=1
	v_and_b32_e32 v83, 0xffff, v54
	v_mov_b32_e32 v82, 0x7c010000
	s_mov_b32 s25, exec_lo
	s_delay_alu instid0(VALU_DEP_2) | instskip(NEXT) | instid1(VALU_DEP_1)
	v_and_b32_e32 v85, 0x7f, v83
	v_cmpx_ne_u32_e32 0x7f, v85
	s_cbranch_execz .LBB302_3386
; %bb.3383:                             ;   in Loop: Header=BB302_2086 Depth=1
	v_dual_lshrrev_b32 v84, 3, v85 :: v_dual_bitop2_b32 v82, 7, v83 bitop3:0x40
	s_mov_b32 s26, exec_lo
	v_cmpx_gt_u32_e32 8, v85
; %bb.3384:                             ;   in Loop: Header=BB302_2086 Depth=1
	s_delay_alu instid0(VALU_DEP_2) | instskip(NEXT) | instid1(VALU_DEP_1)
	v_clz_i32_u32_e32 v6, v82
	v_min_u32_e32 v64, 32, v6
	s_delay_alu instid0(VALU_DEP_1) | instskip(NEXT) | instid1(VALU_DEP_1)
	v_subrev_nc_u32_e32 v6, 28, v64
	v_lshlrev_b64_e32 v[6:7], v6, v[54:55]
	s_delay_alu instid0(VALU_DEP_1)
	v_dual_sub_nc_u32 v84, 29, v64 :: v_dual_bitop2_b32 v82, 7, v6 bitop3:0x40
; %bb.3385:                             ;   in Loop: Header=BB302_2086 Depth=1
	s_or_b32 exec_lo, exec_lo, s26
	v_lshlrev_b32_e32 v6, 8, v83
	s_delay_alu instid0(VALU_DEP_2) | instskip(NEXT) | instid1(VALU_DEP_1)
	v_lshl_add_u32 v7, v84, 10, 0x2000
	v_and_or_b32 v6, 0x8000, v6, v7
	v_lshlrev_b32_e32 v7, 23, v82
	s_delay_alu instid0(VALU_DEP_1)
	v_lshl_or_b32 v82, v6, 16, v7
.LBB302_3386:                           ;   in Loop: Header=BB302_2086 Depth=1
	s_or_b32 exec_lo, exec_lo, s25
.LBB302_3387:                           ;   in Loop: Header=BB302_2086 Depth=1
	s_delay_alu instid0(SALU_CYCLE_1)
	s_or_b32 exec_lo, exec_lo, s24
.LBB302_3388:                           ;   in Loop: Header=BB302_2086 Depth=1
	s_delay_alu instid0(SALU_CYCLE_1) | instskip(SKIP_2) | instid1(VALU_DEP_1)
	s_or_b32 exec_lo, exec_lo, s23
	v_lshrrev_b32_e32 v54, 16, v81
	s_mov_b32 s23, exec_lo
	v_and_b32_e32 v83, 0xff, v54
	s_delay_alu instid0(VALU_DEP_1)
	v_cmpx_ne_u16_e32 0, v83
	s_cbranch_execz .LBB302_3396
; %bb.3389:                             ;   in Loop: Header=BB302_2086 Depth=1
	v_mov_b32_e32 v71, 0x8000
	s_mov_b32 s24, exec_lo
	v_cmpx_ne_u16_e32 0x80, v83
	s_cbranch_execz .LBB302_3395
; %bb.3390:                             ;   in Loop: Header=BB302_2086 Depth=1
	v_bfe_u32 v84, v81, 16, 7
	v_mov_b32_e32 v71, 0x7c01
	s_mov_b32 s25, exec_lo
	s_delay_alu instid0(VALU_DEP_2)
	v_cmpx_ne_u32_e32 0x7f, v84
	s_cbranch_execz .LBB302_3394
; %bb.3391:                             ;   in Loop: Header=BB302_2086 Depth=1
	v_dual_lshrrev_b32 v83, 3, v84 :: v_dual_bitop2_b32 v71, 7, v54 bitop3:0x40
	s_mov_b32 s26, exec_lo
	v_cmpx_gt_u32_e32 8, v84
; %bb.3392:                             ;   in Loop: Header=BB302_2086 Depth=1
	s_delay_alu instid0(VALU_DEP_2) | instskip(NEXT) | instid1(VALU_DEP_1)
	v_clz_i32_u32_e32 v6, v71
	v_min_u32_e32 v64, 32, v6
	s_delay_alu instid0(VALU_DEP_1) | instskip(NEXT) | instid1(VALU_DEP_1)
	v_subrev_nc_u32_e32 v6, 28, v64
	v_lshlrev_b64_e32 v[6:7], v6, v[54:55]
	s_delay_alu instid0(VALU_DEP_1)
	v_dual_sub_nc_u32 v83, 29, v64 :: v_dual_bitop2_b32 v71, 7, v6 bitop3:0x40
; %bb.3393:                             ;   in Loop: Header=BB302_2086 Depth=1
	s_or_b32 exec_lo, exec_lo, s26
	s_delay_alu instid0(VALU_DEP_1) | instskip(NEXT) | instid1(VALU_DEP_2)
	v_dual_lshlrev_b32 v6, 8, v54 :: v_dual_lshlrev_b32 v54, 7, v71
	v_lshl_add_u32 v7, v83, 10, 0x2000
	s_delay_alu instid0(VALU_DEP_2) | instskip(NEXT) | instid1(VALU_DEP_2)
	v_and_b32_e32 v6, 0x8000, v6
	v_and_b32_e32 v7, 0xfc00, v7
	s_delay_alu instid0(VALU_DEP_1)
	v_or3_b32 v71, v6, v7, v54
.LBB302_3394:                           ;   in Loop: Header=BB302_2086 Depth=1
	s_or_b32 exec_lo, exec_lo, s25
.LBB302_3395:                           ;   in Loop: Header=BB302_2086 Depth=1
	s_delay_alu instid0(SALU_CYCLE_1)
	s_or_b32 exec_lo, exec_lo, s24
.LBB302_3396:                           ;   in Loop: Header=BB302_2086 Depth=1
	s_delay_alu instid0(SALU_CYCLE_1)
	s_or_b32 exec_lo, exec_lo, s23
	v_cmp_lt_u64_e64 s8, s[16:17], v[80:81]
	v_mov_b32_e32 v80, 0
	s_and_saveexec_b32 s23, s8
	s_cbranch_execz .LBB302_3404
; %bb.3397:                             ;   in Loop: Header=BB302_2086 Depth=1
	v_lshrrev_b32_e32 v54, 24, v81
	v_bfrev_b32_e32 v80, 1
	s_mov_b32 s24, exec_lo
	s_delay_alu instid0(VALU_DEP_2)
	v_cmpx_ne_u32_e32 0x80, v54
	s_cbranch_execz .LBB302_3403
; %bb.3398:                             ;   in Loop: Header=BB302_2086 Depth=1
	v_and_b32_e32 v83, 0x7f, v54
	v_mov_b32_e32 v80, 0x7c010000
	s_mov_b32 s25, exec_lo
	s_delay_alu instid0(VALU_DEP_2)
	v_cmpx_ne_u32_e32 0x7f, v83
	s_cbranch_execz .LBB302_3402
; %bb.3399:                             ;   in Loop: Header=BB302_2086 Depth=1
	v_dual_lshrrev_b32 v81, 3, v83 :: v_dual_bitop2_b32 v80, 7, v54 bitop3:0x40
	s_mov_b32 s26, exec_lo
	v_cmpx_gt_u32_e32 8, v83
; %bb.3400:                             ;   in Loop: Header=BB302_2086 Depth=1
	s_delay_alu instid0(VALU_DEP_2) | instskip(NEXT) | instid1(VALU_DEP_1)
	v_clz_i32_u32_e32 v6, v80
	v_min_u32_e32 v64, 32, v6
	s_delay_alu instid0(VALU_DEP_1) | instskip(NEXT) | instid1(VALU_DEP_1)
	v_subrev_nc_u32_e32 v6, 28, v64
	v_lshlrev_b64_e32 v[6:7], v6, v[54:55]
	s_delay_alu instid0(VALU_DEP_1)
	v_dual_sub_nc_u32 v81, 29, v64 :: v_dual_bitop2_b32 v80, 7, v6 bitop3:0x40
; %bb.3401:                             ;   in Loop: Header=BB302_2086 Depth=1
	s_or_b32 exec_lo, exec_lo, s26
	v_lshlrev_b32_e32 v6, 8, v54
	s_delay_alu instid0(VALU_DEP_2) | instskip(NEXT) | instid1(VALU_DEP_1)
	v_lshl_add_u32 v7, v81, 10, 0x2000
	v_and_or_b32 v6, 0x8000, v6, v7
	v_lshlrev_b32_e32 v7, 23, v80
	s_delay_alu instid0(VALU_DEP_1)
	v_lshl_or_b32 v80, v6, 16, v7
.LBB302_3402:                           ;   in Loop: Header=BB302_2086 Depth=1
	s_or_b32 exec_lo, exec_lo, s25
.LBB302_3403:                           ;   in Loop: Header=BB302_2086 Depth=1
	s_delay_alu instid0(SALU_CYCLE_1)
	s_or_b32 exec_lo, exec_lo, s24
.LBB302_3404:                           ;   in Loop: Header=BB302_2086 Depth=1
	s_delay_alu instid0(SALU_CYCLE_1) | instskip(SKIP_3) | instid1(VALU_DEP_3)
	s_or_b32 exec_lo, exec_lo, s23
	v_dual_lshrrev_b32 v6, 16, v0 :: v_dual_bitop2_b32 v54, v0, v1 bitop3:0x54
	v_dual_lshrrev_b32 v7, 16, v12 :: v_dual_bitop2_b32 v12, v12, v18 bitop3:0x54
	;; [unrolled: 1-line block ×3, first 2 shown]
	v_cvt_f32_f16_e32 v1, v6
	s_delay_alu instid0(VALU_DEP_3)
	v_cvt_f32_f16_e32 v0, v7
	v_lshrrev_b32_e32 v65, 16, v80
	v_cvt_f32_f16_e32 v6, v12
	v_or_b32_e32 v12, v82, v19
	v_cvt_f32_f16_e32 v7, v54
	s_wait_loadcnt_dscnt 0x0
	v_pk_mul_f32 v[0:1], v[70:71], v[0:1] op_sel_hi:[0,1]
	v_cvt_f32_f16_e32 v19, v18
	v_cvt_f32_f16_e32 v18, v65
	v_cvt_f32_f16_e32 v64, v64
	v_cvt_f32_f16_e32 v65, v12
	v_pk_mul_f32 v[6:7], v[70:71], v[6:7] op_sel_hi:[0,1]
	v_cvt_pk_f16_f32 v12, v0, v1
	v_pk_mul_f32 v[0:1], v[70:71], v[18:19] op_sel_hi:[0,1]
	s_delay_alu instid0(VALU_DEP_4) | instskip(NEXT) | instid1(VALU_DEP_4)
	v_pk_mul_f32 v[18:19], v[70:71], v[64:65] op_sel_hi:[0,1]
	v_cvt_pk_f16_f32 v6, v6, v7
	s_delay_alu instid0(VALU_DEP_4) | instskip(NEXT) | instid1(VALU_DEP_4)
	v_and_b32_e32 v71, 0xffff0000, v12
	v_cvt_pk_f16_f32 v0, v0, v1
	v_lshlrev_b32_e32 v82, 16, v12
	v_cvt_pk_f16_f32 v1, v18, v19
	v_lshrrev_b32_e32 v87, 16, v6
	v_and_b32_e32 v86, 0xffff, v6
	v_and_b32_e32 v19, 0xffff0000, v0
	s_delay_alu instid0(VALU_DEP_4) | instskip(SKIP_3) | instid1(VALU_DEP_4)
	v_dual_lshlrev_b32 v54, 16, v0 :: v_dual_lshrrev_b32 v85, 16, v1
	v_and_b32_e32 v84, 0xffff, v1
	v_or_b32_e32 v83, v71, v87
	v_or_b32_e32 v80, v82, v86
	;; [unrolled: 1-line block ×3, first 2 shown]
	s_delay_alu instid0(VALU_DEP_4)
	v_or_b32_e32 v70, v54, v84
	s_and_saveexec_b32 s8, s3
	s_cbranch_execz .LBB302_3406
; %bb.3405:                             ;   in Loop: Header=BB302_2086 Depth=1
	v_dual_cndmask_b32 v0, 0, v87, vcc_lo :: v_dual_cndmask_b32 v1, 0, v86, s0
	v_dual_cndmask_b32 v6, 0, v71, s1 :: v_dual_cndmask_b32 v7, 0, v82, s2
	v_dual_cndmask_b32 v12, 0, v85, s4 :: v_dual_cndmask_b32 v18, 0, v84, s5
	;; [unrolled: 1-line block ×3, first 2 shown]
	s_delay_alu instid0(VALU_DEP_3) | instskip(NEXT) | instid1(VALU_DEP_4)
	v_or_b32_e32 v83, v0, v6
	v_or_b32_e32 v80, v1, v7
	s_delay_alu instid0(VALU_DEP_3) | instskip(NEXT) | instid1(VALU_DEP_4)
	v_or_b32_e32 v81, v12, v19
	v_or_b32_e32 v70, v18, v54
.LBB302_3406:                           ;   in Loop: Header=BB302_2086 Depth=1
	s_or_b32 exec_lo, exec_lo, s8
	;;#ASMSTART
	v_pk_mul_f16 v0, v112, v83;

	;;#ASMEND
	;;#ASMSTART
	v_pk_mul_f16 v1, v103, v80;

	;;#ASMEND
	;; [unrolled: 4-line block ×4, first 2 shown]
	;;#ASMSTART
	v_pk_add_f16 v0, v0, v1;

	;;#ASMEND
	;;#ASMSTART
	v_pk_add_f16 v0, v0, v6;

	;;#ASMEND
	;; [unrolled: 4-line block ×3, first 2 shown]
	v_and_b32_e32 v1, 0xffff, v0
	v_lshrrev_b32_e32 v0, 16, v0
	;;#ASMSTART
	v_cvt_f32_f16 v95, v1;
	;;#ASMEND
	v_mov_b32_e32 v1, 0
	;;#ASMSTART
	v_cvt_f32_f16 v104, v0;
	;;#ASMEND
	flat_load_b64 v[80:81], v[68:69] offset:5120
	flat_load_b32 v70, v[22:23]
	v_mov_b32_e32 v0, 0
	s_mov_b32 s23, exec_lo
	s_wait_loadcnt_dscnt 0x101
	v_and_b32_e32 v12, 0xff, v80
	s_wait_xcnt 0x0
	s_delay_alu instid0(VALU_DEP_1)
	v_cmpx_ne_u16_e32 0, v12
	s_cbranch_execz .LBB302_3414
; %bb.3407:                             ;   in Loop: Header=BB302_2086 Depth=1
	v_mov_b32_e32 v1, 0x8000
	s_mov_b32 s24, exec_lo
	v_cmpx_ne_u16_e32 0x80, v12
	s_cbranch_execz .LBB302_3413
; %bb.3408:                             ;   in Loop: Header=BB302_2086 Depth=1
	v_and_b32_e32 v18, 0x7f, v80
	v_mov_b32_e32 v1, 0x7c01
	s_mov_b32 s25, exec_lo
	s_delay_alu instid0(VALU_DEP_2)
	v_cmpx_ne_u32_e32 0x7f, v18
	s_cbranch_execz .LBB302_3412
; %bb.3409:                             ;   in Loop: Header=BB302_2086 Depth=1
	v_dual_lshrrev_b32 v12, 3, v18 :: v_dual_bitop2_b32 v1, 7, v80 bitop3:0x40
	s_mov_b32 s26, exec_lo
	v_cmpx_gt_u32_e32 8, v18
; %bb.3410:                             ;   in Loop: Header=BB302_2086 Depth=1
	s_delay_alu instid0(VALU_DEP_2) | instskip(NEXT) | instid1(VALU_DEP_1)
	v_clz_i32_u32_e32 v1, v1
	v_min_u32_e32 v1, 32, v1
	s_delay_alu instid0(VALU_DEP_1) | instskip(NEXT) | instid1(VALU_DEP_1)
	v_subrev_nc_u32_e32 v6, 28, v1
	v_lshlrev_b64_e32 v[6:7], v6, v[80:81]
	s_delay_alu instid0(VALU_DEP_1)
	v_dual_sub_nc_u32 v12, 29, v1 :: v_dual_bitop2_b32 v1, 7, v6 bitop3:0x40
; %bb.3411:                             ;   in Loop: Header=BB302_2086 Depth=1
	s_or_b32 exec_lo, exec_lo, s26
	s_delay_alu instid0(VALU_DEP_1) | instskip(NEXT) | instid1(VALU_DEP_2)
	v_dual_lshlrev_b32 v6, 8, v80 :: v_dual_lshlrev_b32 v1, 7, v1
	v_lshl_add_u32 v7, v12, 10, 0x2000
	s_delay_alu instid0(VALU_DEP_2) | instskip(NEXT) | instid1(VALU_DEP_2)
	v_and_b32_e32 v6, 0x8000, v6
	v_and_b32_e32 v7, 0xfc00, v7
	s_delay_alu instid0(VALU_DEP_1)
	v_or3_b32 v1, v6, v7, v1
.LBB302_3412:                           ;   in Loop: Header=BB302_2086 Depth=1
	s_or_b32 exec_lo, exec_lo, s25
.LBB302_3413:                           ;   in Loop: Header=BB302_2086 Depth=1
	s_delay_alu instid0(SALU_CYCLE_1)
	s_or_b32 exec_lo, exec_lo, s24
.LBB302_3414:                           ;   in Loop: Header=BB302_2086 Depth=1
	s_delay_alu instid0(SALU_CYCLE_1) | instskip(SKIP_2) | instid1(VALU_DEP_1)
	s_or_b32 exec_lo, exec_lo, s23
	v_lshrrev_b16 v54, 8, v80
	s_mov_b32 s23, exec_lo
	v_cmpx_ne_u16_e32 0, v54
	s_cbranch_execz .LBB302_3422
; %bb.3415:                             ;   in Loop: Header=BB302_2086 Depth=1
	v_bfrev_b32_e32 v0, 1
	s_mov_b32 s24, exec_lo
	v_cmpx_ne_u16_e32 0x80, v54
	s_cbranch_execz .LBB302_3421
; %bb.3416:                             ;   in Loop: Header=BB302_2086 Depth=1
	v_and_b32_e32 v12, 0xffff, v54
	v_mov_b32_e32 v0, 0x7c010000
	s_mov_b32 s25, exec_lo
	s_delay_alu instid0(VALU_DEP_2) | instskip(NEXT) | instid1(VALU_DEP_1)
	v_and_b32_e32 v19, 0x7f, v12
	v_cmpx_ne_u32_e32 0x7f, v19
	s_cbranch_execz .LBB302_3420
; %bb.3417:                             ;   in Loop: Header=BB302_2086 Depth=1
	v_dual_lshrrev_b32 v18, 3, v19 :: v_dual_bitop2_b32 v0, 7, v12 bitop3:0x40
	s_mov_b32 s26, exec_lo
	v_cmpx_gt_u32_e32 8, v19
; %bb.3418:                             ;   in Loop: Header=BB302_2086 Depth=1
	s_delay_alu instid0(VALU_DEP_2) | instskip(NEXT) | instid1(VALU_DEP_1)
	v_clz_i32_u32_e32 v0, v0
	v_min_u32_e32 v0, 32, v0
	s_delay_alu instid0(VALU_DEP_1) | instskip(NEXT) | instid1(VALU_DEP_1)
	v_subrev_nc_u32_e32 v6, 28, v0
	v_lshlrev_b64_e32 v[6:7], v6, v[54:55]
	s_delay_alu instid0(VALU_DEP_1)
	v_dual_sub_nc_u32 v18, 29, v0 :: v_dual_bitop2_b32 v0, 7, v6 bitop3:0x40
; %bb.3419:                             ;   in Loop: Header=BB302_2086 Depth=1
	s_or_b32 exec_lo, exec_lo, s26
	v_lshlrev_b32_e32 v6, 8, v12
	s_delay_alu instid0(VALU_DEP_2) | instskip(NEXT) | instid1(VALU_DEP_3)
	v_lshl_add_u32 v7, v18, 10, 0x2000
	v_lshlrev_b32_e32 v0, 23, v0
	s_delay_alu instid0(VALU_DEP_2) | instskip(NEXT) | instid1(VALU_DEP_1)
	v_and_or_b32 v6, 0x8000, v6, v7
	v_lshl_or_b32 v0, v6, 16, v0
.LBB302_3420:                           ;   in Loop: Header=BB302_2086 Depth=1
	s_or_b32 exec_lo, exec_lo, s25
.LBB302_3421:                           ;   in Loop: Header=BB302_2086 Depth=1
	s_delay_alu instid0(SALU_CYCLE_1)
	s_or_b32 exec_lo, exec_lo, s24
.LBB302_3422:                           ;   in Loop: Header=BB302_2086 Depth=1
	s_delay_alu instid0(SALU_CYCLE_1) | instskip(SKIP_3) | instid1(VALU_DEP_2)
	s_or_b32 exec_lo, exec_lo, s23
	v_dual_lshrrev_b32 v54, 16, v80 :: v_dual_mov_b32 v12, 0
	v_mov_b32_e32 v18, 0
	s_mov_b32 s23, exec_lo
	v_and_b32_e32 v19, 0xff, v54
	s_delay_alu instid0(VALU_DEP_1)
	v_cmpx_ne_u16_e32 0, v19
	s_cbranch_execz .LBB302_3430
; %bb.3423:                             ;   in Loop: Header=BB302_2086 Depth=1
	v_mov_b32_e32 v18, 0x8000
	s_mov_b32 s24, exec_lo
	v_cmpx_ne_u16_e32 0x80, v19
	s_cbranch_execz .LBB302_3429
; %bb.3424:                             ;   in Loop: Header=BB302_2086 Depth=1
	v_bfe_u32 v71, v80, 16, 7
	v_mov_b32_e32 v18, 0x7c01
	s_mov_b32 s25, exec_lo
	s_delay_alu instid0(VALU_DEP_2)
	v_cmpx_ne_u32_e32 0x7f, v71
	s_cbranch_execz .LBB302_3428
; %bb.3425:                             ;   in Loop: Header=BB302_2086 Depth=1
	v_dual_lshrrev_b32 v19, 3, v71 :: v_dual_bitop2_b32 v18, 7, v54 bitop3:0x40
	s_mov_b32 s26, exec_lo
	v_cmpx_gt_u32_e32 8, v71
; %bb.3426:                             ;   in Loop: Header=BB302_2086 Depth=1
	s_delay_alu instid0(VALU_DEP_2) | instskip(NEXT) | instid1(VALU_DEP_1)
	v_clz_i32_u32_e32 v6, v18
	v_min_u32_e32 v18, 32, v6
	s_delay_alu instid0(VALU_DEP_1) | instskip(SKIP_1) | instid1(VALU_DEP_2)
	v_subrev_nc_u32_e32 v6, 28, v18
	v_sub_nc_u32_e32 v19, 29, v18
	v_lshlrev_b64_e32 v[6:7], v6, v[54:55]
	s_delay_alu instid0(VALU_DEP_1)
	v_and_b32_e32 v18, 7, v6
; %bb.3427:                             ;   in Loop: Header=BB302_2086 Depth=1
	s_or_b32 exec_lo, exec_lo, s26
	v_lshlrev_b32_e32 v6, 8, v54
	v_lshl_add_u32 v7, v19, 10, 0x2000
	s_delay_alu instid0(VALU_DEP_3) | instskip(NEXT) | instid1(VALU_DEP_3)
	v_lshlrev_b32_e32 v18, 7, v18
	v_and_b32_e32 v6, 0x8000, v6
	s_delay_alu instid0(VALU_DEP_3) | instskip(NEXT) | instid1(VALU_DEP_1)
	v_and_b32_e32 v7, 0xfc00, v7
	v_or3_b32 v18, v6, v7, v18
.LBB302_3428:                           ;   in Loop: Header=BB302_2086 Depth=1
	s_or_b32 exec_lo, exec_lo, s25
.LBB302_3429:                           ;   in Loop: Header=BB302_2086 Depth=1
	s_delay_alu instid0(SALU_CYCLE_1)
	s_or_b32 exec_lo, exec_lo, s24
.LBB302_3430:                           ;   in Loop: Header=BB302_2086 Depth=1
	s_delay_alu instid0(SALU_CYCLE_1) | instskip(NEXT) | instid1(SALU_CYCLE_1)
	s_or_b32 exec_lo, exec_lo, s23
	s_mov_b32 s23, exec_lo
	v_cmpx_lt_u32_e32 0xffffff, v80
	s_cbranch_execz .LBB302_3438
; %bb.3431:                             ;   in Loop: Header=BB302_2086 Depth=1
	v_lshrrev_b32_e32 v54, 24, v80
	v_bfrev_b32_e32 v12, 1
	s_mov_b32 s24, exec_lo
	s_delay_alu instid0(VALU_DEP_2)
	v_cmpx_ne_u32_e32 0x80, v54
	s_cbranch_execz .LBB302_3437
; %bb.3432:                             ;   in Loop: Header=BB302_2086 Depth=1
	v_and_b32_e32 v71, 0x7f, v54
	v_mov_b32_e32 v12, 0x7c010000
	s_mov_b32 s25, exec_lo
	s_delay_alu instid0(VALU_DEP_2)
	v_cmpx_ne_u32_e32 0x7f, v71
	s_cbranch_execz .LBB302_3436
; %bb.3433:                             ;   in Loop: Header=BB302_2086 Depth=1
	v_dual_lshrrev_b32 v19, 3, v71 :: v_dual_bitop2_b32 v12, 7, v54 bitop3:0x40
	s_mov_b32 s26, exec_lo
	v_cmpx_gt_u32_e32 8, v71
; %bb.3434:                             ;   in Loop: Header=BB302_2086 Depth=1
	s_delay_alu instid0(VALU_DEP_2) | instskip(NEXT) | instid1(VALU_DEP_1)
	v_clz_i32_u32_e32 v6, v12
	v_min_u32_e32 v12, 32, v6
	s_delay_alu instid0(VALU_DEP_1) | instskip(NEXT) | instid1(VALU_DEP_1)
	v_subrev_nc_u32_e32 v6, 28, v12
	v_lshlrev_b64_e32 v[6:7], v6, v[54:55]
	s_delay_alu instid0(VALU_DEP_1)
	v_dual_sub_nc_u32 v19, 29, v12 :: v_dual_bitop2_b32 v12, 7, v6 bitop3:0x40
; %bb.3435:                             ;   in Loop: Header=BB302_2086 Depth=1
	s_or_b32 exec_lo, exec_lo, s26
	v_lshlrev_b32_e32 v6, 8, v54
	s_delay_alu instid0(VALU_DEP_2) | instskip(NEXT) | instid1(VALU_DEP_1)
	v_lshl_add_u32 v7, v19, 10, 0x2000
	v_and_or_b32 v6, 0x8000, v6, v7
	v_lshlrev_b32_e32 v7, 23, v12
	s_delay_alu instid0(VALU_DEP_1)
	v_lshl_or_b32 v12, v6, 16, v7
.LBB302_3436:                           ;   in Loop: Header=BB302_2086 Depth=1
	s_or_b32 exec_lo, exec_lo, s25
.LBB302_3437:                           ;   in Loop: Header=BB302_2086 Depth=1
	s_delay_alu instid0(SALU_CYCLE_1)
	s_or_b32 exec_lo, exec_lo, s24
.LBB302_3438:                           ;   in Loop: Header=BB302_2086 Depth=1
	s_delay_alu instid0(SALU_CYCLE_1) | instskip(SKIP_4) | instid1(VALU_DEP_3)
	s_or_b32 exec_lo, exec_lo, s23
	v_and_b32_e32 v82, 0xff, v81
	v_dual_mov_b32 v54, v81 :: v_dual_mov_b32 v71, 0
	v_mov_b32_e32 v19, 0
	s_mov_b32 s23, exec_lo
	v_cmpx_ne_u16_e32 0, v82
	s_cbranch_execz .LBB302_3446
; %bb.3439:                             ;   in Loop: Header=BB302_2086 Depth=1
	v_mov_b32_e32 v19, 0x8000
	s_mov_b32 s24, exec_lo
	v_cmpx_ne_u16_e32 0x80, v82
	s_cbranch_execz .LBB302_3445
; %bb.3440:                             ;   in Loop: Header=BB302_2086 Depth=1
	v_and_b32_e32 v83, 0x7f, v81
	v_mov_b32_e32 v19, 0x7c01
	s_mov_b32 s25, exec_lo
	s_delay_alu instid0(VALU_DEP_2)
	v_cmpx_ne_u32_e32 0x7f, v83
	s_cbranch_execz .LBB302_3444
; %bb.3441:                             ;   in Loop: Header=BB302_2086 Depth=1
	v_dual_lshrrev_b32 v82, 3, v83 :: v_dual_bitop2_b32 v19, 7, v81 bitop3:0x40
	s_mov_b32 s26, exec_lo
	v_cmpx_gt_u32_e32 8, v83
; %bb.3442:                             ;   in Loop: Header=BB302_2086 Depth=1
	s_delay_alu instid0(VALU_DEP_2) | instskip(NEXT) | instid1(VALU_DEP_1)
	v_clz_i32_u32_e32 v6, v19
	v_min_u32_e32 v19, 32, v6
	s_delay_alu instid0(VALU_DEP_1) | instskip(NEXT) | instid1(VALU_DEP_1)
	v_subrev_nc_u32_e32 v6, 28, v19
	v_lshlrev_b64_e32 v[6:7], v6, v[54:55]
	s_delay_alu instid0(VALU_DEP_1)
	v_dual_sub_nc_u32 v82, 29, v19 :: v_dual_bitop2_b32 v19, 7, v6 bitop3:0x40
; %bb.3443:                             ;   in Loop: Header=BB302_2086 Depth=1
	s_or_b32 exec_lo, exec_lo, s26
	s_delay_alu instid0(VALU_DEP_1) | instskip(NEXT) | instid1(VALU_DEP_2)
	v_dual_lshlrev_b32 v6, 8, v81 :: v_dual_lshlrev_b32 v19, 7, v19
	v_lshl_add_u32 v7, v82, 10, 0x2000
	s_delay_alu instid0(VALU_DEP_2) | instskip(NEXT) | instid1(VALU_DEP_2)
	v_and_b32_e32 v6, 0x8000, v6
	v_and_b32_e32 v7, 0xfc00, v7
	s_delay_alu instid0(VALU_DEP_1)
	v_or3_b32 v19, v6, v7, v19
.LBB302_3444:                           ;   in Loop: Header=BB302_2086 Depth=1
	s_or_b32 exec_lo, exec_lo, s25
.LBB302_3445:                           ;   in Loop: Header=BB302_2086 Depth=1
	s_delay_alu instid0(SALU_CYCLE_1)
	s_or_b32 exec_lo, exec_lo, s24
.LBB302_3446:                           ;   in Loop: Header=BB302_2086 Depth=1
	s_delay_alu instid0(SALU_CYCLE_1) | instskip(SKIP_3) | instid1(VALU_DEP_2)
	s_or_b32 exec_lo, exec_lo, s23
	v_lshrrev_b16 v54, 8, v54
	v_mov_b32_e32 v82, 0
	s_mov_b32 s23, exec_lo
	v_cmpx_ne_u16_e32 0, v54
	s_cbranch_execz .LBB302_3454
; %bb.3447:                             ;   in Loop: Header=BB302_2086 Depth=1
	v_bfrev_b32_e32 v82, 1
	s_mov_b32 s24, exec_lo
	v_cmpx_ne_u16_e32 0x80, v54
	s_cbranch_execz .LBB302_3453
; %bb.3448:                             ;   in Loop: Header=BB302_2086 Depth=1
	v_and_b32_e32 v83, 0xffff, v54
	v_mov_b32_e32 v82, 0x7c010000
	s_mov_b32 s25, exec_lo
	s_delay_alu instid0(VALU_DEP_2) | instskip(NEXT) | instid1(VALU_DEP_1)
	v_and_b32_e32 v85, 0x7f, v83
	v_cmpx_ne_u32_e32 0x7f, v85
	s_cbranch_execz .LBB302_3452
; %bb.3449:                             ;   in Loop: Header=BB302_2086 Depth=1
	v_dual_lshrrev_b32 v84, 3, v85 :: v_dual_bitop2_b32 v82, 7, v83 bitop3:0x40
	s_mov_b32 s26, exec_lo
	v_cmpx_gt_u32_e32 8, v85
; %bb.3450:                             ;   in Loop: Header=BB302_2086 Depth=1
	s_delay_alu instid0(VALU_DEP_2) | instskip(NEXT) | instid1(VALU_DEP_1)
	v_clz_i32_u32_e32 v6, v82
	v_min_u32_e32 v64, 32, v6
	s_delay_alu instid0(VALU_DEP_1) | instskip(NEXT) | instid1(VALU_DEP_1)
	v_subrev_nc_u32_e32 v6, 28, v64
	v_lshlrev_b64_e32 v[6:7], v6, v[54:55]
	s_delay_alu instid0(VALU_DEP_1)
	v_dual_sub_nc_u32 v84, 29, v64 :: v_dual_bitop2_b32 v82, 7, v6 bitop3:0x40
; %bb.3451:                             ;   in Loop: Header=BB302_2086 Depth=1
	s_or_b32 exec_lo, exec_lo, s26
	v_lshlrev_b32_e32 v6, 8, v83
	s_delay_alu instid0(VALU_DEP_2) | instskip(NEXT) | instid1(VALU_DEP_1)
	v_lshl_add_u32 v7, v84, 10, 0x2000
	v_and_or_b32 v6, 0x8000, v6, v7
	v_lshlrev_b32_e32 v7, 23, v82
	s_delay_alu instid0(VALU_DEP_1)
	v_lshl_or_b32 v82, v6, 16, v7
.LBB302_3452:                           ;   in Loop: Header=BB302_2086 Depth=1
	s_or_b32 exec_lo, exec_lo, s25
.LBB302_3453:                           ;   in Loop: Header=BB302_2086 Depth=1
	s_delay_alu instid0(SALU_CYCLE_1)
	s_or_b32 exec_lo, exec_lo, s24
.LBB302_3454:                           ;   in Loop: Header=BB302_2086 Depth=1
	s_delay_alu instid0(SALU_CYCLE_1) | instskip(SKIP_2) | instid1(VALU_DEP_1)
	s_or_b32 exec_lo, exec_lo, s23
	v_lshrrev_b32_e32 v54, 16, v81
	s_mov_b32 s23, exec_lo
	v_and_b32_e32 v83, 0xff, v54
	s_delay_alu instid0(VALU_DEP_1)
	v_cmpx_ne_u16_e32 0, v83
	s_cbranch_execz .LBB302_3462
; %bb.3455:                             ;   in Loop: Header=BB302_2086 Depth=1
	v_mov_b32_e32 v71, 0x8000
	s_mov_b32 s24, exec_lo
	v_cmpx_ne_u16_e32 0x80, v83
	s_cbranch_execz .LBB302_3461
; %bb.3456:                             ;   in Loop: Header=BB302_2086 Depth=1
	v_bfe_u32 v84, v81, 16, 7
	v_mov_b32_e32 v71, 0x7c01
	s_mov_b32 s25, exec_lo
	s_delay_alu instid0(VALU_DEP_2)
	v_cmpx_ne_u32_e32 0x7f, v84
	s_cbranch_execz .LBB302_3460
; %bb.3457:                             ;   in Loop: Header=BB302_2086 Depth=1
	v_dual_lshrrev_b32 v83, 3, v84 :: v_dual_bitop2_b32 v71, 7, v54 bitop3:0x40
	s_mov_b32 s26, exec_lo
	v_cmpx_gt_u32_e32 8, v84
; %bb.3458:                             ;   in Loop: Header=BB302_2086 Depth=1
	s_delay_alu instid0(VALU_DEP_2) | instskip(NEXT) | instid1(VALU_DEP_1)
	v_clz_i32_u32_e32 v6, v71
	v_min_u32_e32 v64, 32, v6
	s_delay_alu instid0(VALU_DEP_1) | instskip(NEXT) | instid1(VALU_DEP_1)
	v_subrev_nc_u32_e32 v6, 28, v64
	v_lshlrev_b64_e32 v[6:7], v6, v[54:55]
	s_delay_alu instid0(VALU_DEP_1)
	v_dual_sub_nc_u32 v83, 29, v64 :: v_dual_bitop2_b32 v71, 7, v6 bitop3:0x40
; %bb.3459:                             ;   in Loop: Header=BB302_2086 Depth=1
	s_or_b32 exec_lo, exec_lo, s26
	s_delay_alu instid0(VALU_DEP_1) | instskip(NEXT) | instid1(VALU_DEP_2)
	v_dual_lshlrev_b32 v6, 8, v54 :: v_dual_lshlrev_b32 v54, 7, v71
	v_lshl_add_u32 v7, v83, 10, 0x2000
	s_delay_alu instid0(VALU_DEP_2) | instskip(NEXT) | instid1(VALU_DEP_2)
	v_and_b32_e32 v6, 0x8000, v6
	v_and_b32_e32 v7, 0xfc00, v7
	s_delay_alu instid0(VALU_DEP_1)
	v_or3_b32 v71, v6, v7, v54
.LBB302_3460:                           ;   in Loop: Header=BB302_2086 Depth=1
	s_or_b32 exec_lo, exec_lo, s25
.LBB302_3461:                           ;   in Loop: Header=BB302_2086 Depth=1
	s_delay_alu instid0(SALU_CYCLE_1)
	s_or_b32 exec_lo, exec_lo, s24
.LBB302_3462:                           ;   in Loop: Header=BB302_2086 Depth=1
	s_delay_alu instid0(SALU_CYCLE_1)
	s_or_b32 exec_lo, exec_lo, s23
	v_cmp_lt_u64_e64 s8, s[16:17], v[80:81]
	v_mov_b32_e32 v80, 0
	s_and_saveexec_b32 s23, s8
	s_cbranch_execz .LBB302_3470
; %bb.3463:                             ;   in Loop: Header=BB302_2086 Depth=1
	v_lshrrev_b32_e32 v54, 24, v81
	v_bfrev_b32_e32 v80, 1
	s_mov_b32 s24, exec_lo
	s_delay_alu instid0(VALU_DEP_2)
	v_cmpx_ne_u32_e32 0x80, v54
	s_cbranch_execz .LBB302_3469
; %bb.3464:                             ;   in Loop: Header=BB302_2086 Depth=1
	v_and_b32_e32 v83, 0x7f, v54
	v_mov_b32_e32 v80, 0x7c010000
	s_mov_b32 s25, exec_lo
	s_delay_alu instid0(VALU_DEP_2)
	v_cmpx_ne_u32_e32 0x7f, v83
	s_cbranch_execz .LBB302_3468
; %bb.3465:                             ;   in Loop: Header=BB302_2086 Depth=1
	v_dual_lshrrev_b32 v81, 3, v83 :: v_dual_bitop2_b32 v80, 7, v54 bitop3:0x40
	s_mov_b32 s26, exec_lo
	v_cmpx_gt_u32_e32 8, v83
; %bb.3466:                             ;   in Loop: Header=BB302_2086 Depth=1
	s_delay_alu instid0(VALU_DEP_2) | instskip(NEXT) | instid1(VALU_DEP_1)
	v_clz_i32_u32_e32 v6, v80
	v_min_u32_e32 v64, 32, v6
	s_delay_alu instid0(VALU_DEP_1) | instskip(NEXT) | instid1(VALU_DEP_1)
	v_subrev_nc_u32_e32 v6, 28, v64
	v_lshlrev_b64_e32 v[6:7], v6, v[54:55]
	s_delay_alu instid0(VALU_DEP_1)
	v_dual_sub_nc_u32 v81, 29, v64 :: v_dual_bitop2_b32 v80, 7, v6 bitop3:0x40
; %bb.3467:                             ;   in Loop: Header=BB302_2086 Depth=1
	s_or_b32 exec_lo, exec_lo, s26
	v_lshlrev_b32_e32 v6, 8, v54
	s_delay_alu instid0(VALU_DEP_2) | instskip(NEXT) | instid1(VALU_DEP_1)
	v_lshl_add_u32 v7, v81, 10, 0x2000
	v_and_or_b32 v6, 0x8000, v6, v7
	v_lshlrev_b32_e32 v7, 23, v80
	s_delay_alu instid0(VALU_DEP_1)
	v_lshl_or_b32 v80, v6, 16, v7
.LBB302_3468:                           ;   in Loop: Header=BB302_2086 Depth=1
	s_or_b32 exec_lo, exec_lo, s25
.LBB302_3469:                           ;   in Loop: Header=BB302_2086 Depth=1
	s_delay_alu instid0(SALU_CYCLE_1)
	s_or_b32 exec_lo, exec_lo, s24
.LBB302_3470:                           ;   in Loop: Header=BB302_2086 Depth=1
	s_delay_alu instid0(SALU_CYCLE_1) | instskip(SKIP_3) | instid1(VALU_DEP_3)
	s_or_b32 exec_lo, exec_lo, s23
	v_dual_lshrrev_b32 v6, 16, v0 :: v_dual_bitop2_b32 v54, v0, v1 bitop3:0x54
	v_dual_lshrrev_b32 v7, 16, v12 :: v_dual_bitop2_b32 v12, v12, v18 bitop3:0x54
	;; [unrolled: 1-line block ×3, first 2 shown]
	v_cvt_f32_f16_e32 v1, v6
	s_delay_alu instid0(VALU_DEP_3)
	v_cvt_f32_f16_e32 v0, v7
	v_lshrrev_b32_e32 v65, 16, v80
	v_cvt_f32_f16_e32 v6, v12
	v_or_b32_e32 v12, v82, v19
	v_cvt_f32_f16_e32 v7, v54
	s_wait_loadcnt_dscnt 0x0
	v_pk_mul_f32 v[0:1], v[70:71], v[0:1] op_sel_hi:[0,1]
	v_cvt_f32_f16_e32 v19, v18
	v_cvt_f32_f16_e32 v18, v65
	;; [unrolled: 1-line block ×4, first 2 shown]
	v_pk_mul_f32 v[6:7], v[70:71], v[6:7] op_sel_hi:[0,1]
	v_cvt_pk_f16_f32 v12, v0, v1
	v_pk_mul_f32 v[0:1], v[70:71], v[18:19] op_sel_hi:[0,1]
	s_delay_alu instid0(VALU_DEP_4) | instskip(NEXT) | instid1(VALU_DEP_4)
	v_pk_mul_f32 v[18:19], v[70:71], v[64:65] op_sel_hi:[0,1]
	v_cvt_pk_f16_f32 v6, v6, v7
	s_delay_alu instid0(VALU_DEP_4) | instskip(NEXT) | instid1(VALU_DEP_4)
	v_and_b32_e32 v71, 0xffff0000, v12
	v_cvt_pk_f16_f32 v0, v0, v1
	v_lshlrev_b32_e32 v82, 16, v12
	v_cvt_pk_f16_f32 v1, v18, v19
	v_lshrrev_b32_e32 v87, 16, v6
	v_and_b32_e32 v86, 0xffff, v6
	v_and_b32_e32 v19, 0xffff0000, v0
	s_delay_alu instid0(VALU_DEP_4) | instskip(SKIP_3) | instid1(VALU_DEP_4)
	v_dual_lshlrev_b32 v54, 16, v0 :: v_dual_lshrrev_b32 v85, 16, v1
	v_and_b32_e32 v84, 0xffff, v1
	v_or_b32_e32 v83, v71, v87
	v_or_b32_e32 v80, v82, v86
	;; [unrolled: 1-line block ×3, first 2 shown]
	s_delay_alu instid0(VALU_DEP_4)
	v_or_b32_e32 v70, v54, v84
	s_and_saveexec_b32 s8, s3
	s_cbranch_execz .LBB302_3472
; %bb.3471:                             ;   in Loop: Header=BB302_2086 Depth=1
	v_dual_cndmask_b32 v0, 0, v87, vcc_lo :: v_dual_cndmask_b32 v1, 0, v86, s0
	v_dual_cndmask_b32 v6, 0, v71, s1 :: v_dual_cndmask_b32 v7, 0, v82, s2
	v_dual_cndmask_b32 v12, 0, v85, s4 :: v_dual_cndmask_b32 v18, 0, v84, s5
	;; [unrolled: 1-line block ×3, first 2 shown]
	s_delay_alu instid0(VALU_DEP_3) | instskip(NEXT) | instid1(VALU_DEP_4)
	v_or_b32_e32 v83, v0, v6
	v_or_b32_e32 v80, v1, v7
	s_delay_alu instid0(VALU_DEP_3) | instskip(NEXT) | instid1(VALU_DEP_4)
	v_or_b32_e32 v81, v12, v19
	v_or_b32_e32 v70, v18, v54
.LBB302_3472:                           ;   in Loop: Header=BB302_2086 Depth=1
	s_or_b32 exec_lo, exec_lo, s8
	;;#ASMSTART
	v_pk_mul_f16 v0, v112, v83;

	;;#ASMEND
	;;#ASMSTART
	v_pk_mul_f16 v1, v103, v80;

	;;#ASMEND
	;; [unrolled: 4-line block ×4, first 2 shown]
	;;#ASMSTART
	v_pk_add_f16 v0, v0, v1;

	;;#ASMEND
	;;#ASMSTART
	v_pk_add_f16 v0, v0, v6;

	;;#ASMEND
	;; [unrolled: 4-line block ×3, first 2 shown]
	v_and_b32_e32 v1, 0xffff, v0
	v_lshrrev_b32_e32 v0, 16, v0
	;;#ASMSTART
	v_cvt_f32_f16 v105, v1;
	;;#ASMEND
	v_mov_b32_e32 v1, 0
	;;#ASMSTART
	v_cvt_f32_f16 v106, v0;
	;;#ASMEND
	flat_load_b64 v[80:81], v[68:69] offset:5376
	flat_load_b32 v70, v[22:23]
	v_mov_b32_e32 v0, 0
	s_mov_b32 s23, exec_lo
	s_wait_loadcnt_dscnt 0x101
	v_and_b32_e32 v12, 0xff, v80
	s_wait_xcnt 0x0
	s_delay_alu instid0(VALU_DEP_1)
	v_cmpx_ne_u16_e32 0, v12
	s_cbranch_execz .LBB302_3480
; %bb.3473:                             ;   in Loop: Header=BB302_2086 Depth=1
	v_mov_b32_e32 v1, 0x8000
	s_mov_b32 s24, exec_lo
	v_cmpx_ne_u16_e32 0x80, v12
	s_cbranch_execz .LBB302_3479
; %bb.3474:                             ;   in Loop: Header=BB302_2086 Depth=1
	v_and_b32_e32 v18, 0x7f, v80
	v_mov_b32_e32 v1, 0x7c01
	s_mov_b32 s25, exec_lo
	s_delay_alu instid0(VALU_DEP_2)
	v_cmpx_ne_u32_e32 0x7f, v18
	s_cbranch_execz .LBB302_3478
; %bb.3475:                             ;   in Loop: Header=BB302_2086 Depth=1
	v_dual_lshrrev_b32 v12, 3, v18 :: v_dual_bitop2_b32 v1, 7, v80 bitop3:0x40
	s_mov_b32 s26, exec_lo
	v_cmpx_gt_u32_e32 8, v18
; %bb.3476:                             ;   in Loop: Header=BB302_2086 Depth=1
	s_delay_alu instid0(VALU_DEP_2) | instskip(NEXT) | instid1(VALU_DEP_1)
	v_clz_i32_u32_e32 v1, v1
	v_min_u32_e32 v1, 32, v1
	s_delay_alu instid0(VALU_DEP_1) | instskip(NEXT) | instid1(VALU_DEP_1)
	v_subrev_nc_u32_e32 v6, 28, v1
	v_lshlrev_b64_e32 v[6:7], v6, v[80:81]
	s_delay_alu instid0(VALU_DEP_1)
	v_dual_sub_nc_u32 v12, 29, v1 :: v_dual_bitop2_b32 v1, 7, v6 bitop3:0x40
; %bb.3477:                             ;   in Loop: Header=BB302_2086 Depth=1
	s_or_b32 exec_lo, exec_lo, s26
	s_delay_alu instid0(VALU_DEP_1) | instskip(NEXT) | instid1(VALU_DEP_2)
	v_dual_lshlrev_b32 v6, 8, v80 :: v_dual_lshlrev_b32 v1, 7, v1
	v_lshl_add_u32 v7, v12, 10, 0x2000
	s_delay_alu instid0(VALU_DEP_2) | instskip(NEXT) | instid1(VALU_DEP_2)
	v_and_b32_e32 v6, 0x8000, v6
	v_and_b32_e32 v7, 0xfc00, v7
	s_delay_alu instid0(VALU_DEP_1)
	v_or3_b32 v1, v6, v7, v1
.LBB302_3478:                           ;   in Loop: Header=BB302_2086 Depth=1
	s_or_b32 exec_lo, exec_lo, s25
.LBB302_3479:                           ;   in Loop: Header=BB302_2086 Depth=1
	s_delay_alu instid0(SALU_CYCLE_1)
	s_or_b32 exec_lo, exec_lo, s24
.LBB302_3480:                           ;   in Loop: Header=BB302_2086 Depth=1
	s_delay_alu instid0(SALU_CYCLE_1) | instskip(SKIP_2) | instid1(VALU_DEP_1)
	s_or_b32 exec_lo, exec_lo, s23
	v_lshrrev_b16 v54, 8, v80
	s_mov_b32 s23, exec_lo
	v_cmpx_ne_u16_e32 0, v54
	s_cbranch_execz .LBB302_3488
; %bb.3481:                             ;   in Loop: Header=BB302_2086 Depth=1
	v_bfrev_b32_e32 v0, 1
	s_mov_b32 s24, exec_lo
	v_cmpx_ne_u16_e32 0x80, v54
	s_cbranch_execz .LBB302_3487
; %bb.3482:                             ;   in Loop: Header=BB302_2086 Depth=1
	v_and_b32_e32 v12, 0xffff, v54
	v_mov_b32_e32 v0, 0x7c010000
	s_mov_b32 s25, exec_lo
	s_delay_alu instid0(VALU_DEP_2) | instskip(NEXT) | instid1(VALU_DEP_1)
	v_and_b32_e32 v19, 0x7f, v12
	v_cmpx_ne_u32_e32 0x7f, v19
	s_cbranch_execz .LBB302_3486
; %bb.3483:                             ;   in Loop: Header=BB302_2086 Depth=1
	v_dual_lshrrev_b32 v18, 3, v19 :: v_dual_bitop2_b32 v0, 7, v12 bitop3:0x40
	s_mov_b32 s26, exec_lo
	v_cmpx_gt_u32_e32 8, v19
; %bb.3484:                             ;   in Loop: Header=BB302_2086 Depth=1
	s_delay_alu instid0(VALU_DEP_2) | instskip(NEXT) | instid1(VALU_DEP_1)
	v_clz_i32_u32_e32 v0, v0
	v_min_u32_e32 v0, 32, v0
	s_delay_alu instid0(VALU_DEP_1) | instskip(NEXT) | instid1(VALU_DEP_1)
	v_subrev_nc_u32_e32 v6, 28, v0
	v_lshlrev_b64_e32 v[6:7], v6, v[54:55]
	s_delay_alu instid0(VALU_DEP_1)
	v_dual_sub_nc_u32 v18, 29, v0 :: v_dual_bitop2_b32 v0, 7, v6 bitop3:0x40
; %bb.3485:                             ;   in Loop: Header=BB302_2086 Depth=1
	s_or_b32 exec_lo, exec_lo, s26
	v_lshlrev_b32_e32 v6, 8, v12
	s_delay_alu instid0(VALU_DEP_2) | instskip(NEXT) | instid1(VALU_DEP_3)
	v_lshl_add_u32 v7, v18, 10, 0x2000
	v_lshlrev_b32_e32 v0, 23, v0
	s_delay_alu instid0(VALU_DEP_2) | instskip(NEXT) | instid1(VALU_DEP_1)
	v_and_or_b32 v6, 0x8000, v6, v7
	v_lshl_or_b32 v0, v6, 16, v0
.LBB302_3486:                           ;   in Loop: Header=BB302_2086 Depth=1
	s_or_b32 exec_lo, exec_lo, s25
.LBB302_3487:                           ;   in Loop: Header=BB302_2086 Depth=1
	s_delay_alu instid0(SALU_CYCLE_1)
	s_or_b32 exec_lo, exec_lo, s24
.LBB302_3488:                           ;   in Loop: Header=BB302_2086 Depth=1
	s_delay_alu instid0(SALU_CYCLE_1) | instskip(SKIP_3) | instid1(VALU_DEP_2)
	s_or_b32 exec_lo, exec_lo, s23
	v_dual_lshrrev_b32 v54, 16, v80 :: v_dual_mov_b32 v12, 0
	v_mov_b32_e32 v18, 0
	s_mov_b32 s23, exec_lo
	v_and_b32_e32 v19, 0xff, v54
	s_delay_alu instid0(VALU_DEP_1)
	v_cmpx_ne_u16_e32 0, v19
	s_cbranch_execz .LBB302_3496
; %bb.3489:                             ;   in Loop: Header=BB302_2086 Depth=1
	v_mov_b32_e32 v18, 0x8000
	s_mov_b32 s24, exec_lo
	v_cmpx_ne_u16_e32 0x80, v19
	s_cbranch_execz .LBB302_3495
; %bb.3490:                             ;   in Loop: Header=BB302_2086 Depth=1
	v_bfe_u32 v71, v80, 16, 7
	v_mov_b32_e32 v18, 0x7c01
	s_mov_b32 s25, exec_lo
	s_delay_alu instid0(VALU_DEP_2)
	v_cmpx_ne_u32_e32 0x7f, v71
	s_cbranch_execz .LBB302_3494
; %bb.3491:                             ;   in Loop: Header=BB302_2086 Depth=1
	v_dual_lshrrev_b32 v19, 3, v71 :: v_dual_bitop2_b32 v18, 7, v54 bitop3:0x40
	s_mov_b32 s26, exec_lo
	v_cmpx_gt_u32_e32 8, v71
; %bb.3492:                             ;   in Loop: Header=BB302_2086 Depth=1
	s_delay_alu instid0(VALU_DEP_2) | instskip(NEXT) | instid1(VALU_DEP_1)
	v_clz_i32_u32_e32 v6, v18
	v_min_u32_e32 v18, 32, v6
	s_delay_alu instid0(VALU_DEP_1) | instskip(SKIP_1) | instid1(VALU_DEP_2)
	v_subrev_nc_u32_e32 v6, 28, v18
	v_sub_nc_u32_e32 v19, 29, v18
	v_lshlrev_b64_e32 v[6:7], v6, v[54:55]
	s_delay_alu instid0(VALU_DEP_1)
	v_and_b32_e32 v18, 7, v6
; %bb.3493:                             ;   in Loop: Header=BB302_2086 Depth=1
	s_or_b32 exec_lo, exec_lo, s26
	v_lshlrev_b32_e32 v6, 8, v54
	v_lshl_add_u32 v7, v19, 10, 0x2000
	s_delay_alu instid0(VALU_DEP_3) | instskip(NEXT) | instid1(VALU_DEP_3)
	v_lshlrev_b32_e32 v18, 7, v18
	v_and_b32_e32 v6, 0x8000, v6
	s_delay_alu instid0(VALU_DEP_3) | instskip(NEXT) | instid1(VALU_DEP_1)
	v_and_b32_e32 v7, 0xfc00, v7
	v_or3_b32 v18, v6, v7, v18
.LBB302_3494:                           ;   in Loop: Header=BB302_2086 Depth=1
	s_or_b32 exec_lo, exec_lo, s25
.LBB302_3495:                           ;   in Loop: Header=BB302_2086 Depth=1
	s_delay_alu instid0(SALU_CYCLE_1)
	s_or_b32 exec_lo, exec_lo, s24
.LBB302_3496:                           ;   in Loop: Header=BB302_2086 Depth=1
	s_delay_alu instid0(SALU_CYCLE_1) | instskip(NEXT) | instid1(SALU_CYCLE_1)
	s_or_b32 exec_lo, exec_lo, s23
	s_mov_b32 s23, exec_lo
	v_cmpx_lt_u32_e32 0xffffff, v80
	s_cbranch_execz .LBB302_3504
; %bb.3497:                             ;   in Loop: Header=BB302_2086 Depth=1
	v_lshrrev_b32_e32 v54, 24, v80
	v_bfrev_b32_e32 v12, 1
	s_mov_b32 s24, exec_lo
	s_delay_alu instid0(VALU_DEP_2)
	v_cmpx_ne_u32_e32 0x80, v54
	s_cbranch_execz .LBB302_3503
; %bb.3498:                             ;   in Loop: Header=BB302_2086 Depth=1
	v_and_b32_e32 v71, 0x7f, v54
	v_mov_b32_e32 v12, 0x7c010000
	s_mov_b32 s25, exec_lo
	s_delay_alu instid0(VALU_DEP_2)
	v_cmpx_ne_u32_e32 0x7f, v71
	s_cbranch_execz .LBB302_3502
; %bb.3499:                             ;   in Loop: Header=BB302_2086 Depth=1
	v_dual_lshrrev_b32 v19, 3, v71 :: v_dual_bitop2_b32 v12, 7, v54 bitop3:0x40
	s_mov_b32 s26, exec_lo
	v_cmpx_gt_u32_e32 8, v71
; %bb.3500:                             ;   in Loop: Header=BB302_2086 Depth=1
	s_delay_alu instid0(VALU_DEP_2) | instskip(NEXT) | instid1(VALU_DEP_1)
	v_clz_i32_u32_e32 v6, v12
	v_min_u32_e32 v12, 32, v6
	s_delay_alu instid0(VALU_DEP_1) | instskip(NEXT) | instid1(VALU_DEP_1)
	v_subrev_nc_u32_e32 v6, 28, v12
	v_lshlrev_b64_e32 v[6:7], v6, v[54:55]
	s_delay_alu instid0(VALU_DEP_1)
	v_dual_sub_nc_u32 v19, 29, v12 :: v_dual_bitop2_b32 v12, 7, v6 bitop3:0x40
; %bb.3501:                             ;   in Loop: Header=BB302_2086 Depth=1
	s_or_b32 exec_lo, exec_lo, s26
	v_lshlrev_b32_e32 v6, 8, v54
	s_delay_alu instid0(VALU_DEP_2) | instskip(NEXT) | instid1(VALU_DEP_1)
	v_lshl_add_u32 v7, v19, 10, 0x2000
	v_and_or_b32 v6, 0x8000, v6, v7
	v_lshlrev_b32_e32 v7, 23, v12
	s_delay_alu instid0(VALU_DEP_1)
	v_lshl_or_b32 v12, v6, 16, v7
.LBB302_3502:                           ;   in Loop: Header=BB302_2086 Depth=1
	s_or_b32 exec_lo, exec_lo, s25
.LBB302_3503:                           ;   in Loop: Header=BB302_2086 Depth=1
	s_delay_alu instid0(SALU_CYCLE_1)
	s_or_b32 exec_lo, exec_lo, s24
.LBB302_3504:                           ;   in Loop: Header=BB302_2086 Depth=1
	s_delay_alu instid0(SALU_CYCLE_1) | instskip(SKIP_4) | instid1(VALU_DEP_3)
	s_or_b32 exec_lo, exec_lo, s23
	v_and_b32_e32 v82, 0xff, v81
	v_dual_mov_b32 v54, v81 :: v_dual_mov_b32 v71, 0
	v_mov_b32_e32 v19, 0
	s_mov_b32 s23, exec_lo
	v_cmpx_ne_u16_e32 0, v82
	s_cbranch_execz .LBB302_3512
; %bb.3505:                             ;   in Loop: Header=BB302_2086 Depth=1
	v_mov_b32_e32 v19, 0x8000
	s_mov_b32 s24, exec_lo
	v_cmpx_ne_u16_e32 0x80, v82
	s_cbranch_execz .LBB302_3511
; %bb.3506:                             ;   in Loop: Header=BB302_2086 Depth=1
	v_and_b32_e32 v83, 0x7f, v81
	v_mov_b32_e32 v19, 0x7c01
	s_mov_b32 s25, exec_lo
	s_delay_alu instid0(VALU_DEP_2)
	v_cmpx_ne_u32_e32 0x7f, v83
	s_cbranch_execz .LBB302_3510
; %bb.3507:                             ;   in Loop: Header=BB302_2086 Depth=1
	v_dual_lshrrev_b32 v82, 3, v83 :: v_dual_bitop2_b32 v19, 7, v81 bitop3:0x40
	s_mov_b32 s26, exec_lo
	v_cmpx_gt_u32_e32 8, v83
; %bb.3508:                             ;   in Loop: Header=BB302_2086 Depth=1
	s_delay_alu instid0(VALU_DEP_2) | instskip(NEXT) | instid1(VALU_DEP_1)
	v_clz_i32_u32_e32 v6, v19
	v_min_u32_e32 v19, 32, v6
	s_delay_alu instid0(VALU_DEP_1) | instskip(NEXT) | instid1(VALU_DEP_1)
	v_subrev_nc_u32_e32 v6, 28, v19
	v_lshlrev_b64_e32 v[6:7], v6, v[54:55]
	s_delay_alu instid0(VALU_DEP_1)
	v_dual_sub_nc_u32 v82, 29, v19 :: v_dual_bitop2_b32 v19, 7, v6 bitop3:0x40
; %bb.3509:                             ;   in Loop: Header=BB302_2086 Depth=1
	s_or_b32 exec_lo, exec_lo, s26
	s_delay_alu instid0(VALU_DEP_1) | instskip(NEXT) | instid1(VALU_DEP_2)
	v_dual_lshlrev_b32 v6, 8, v81 :: v_dual_lshlrev_b32 v19, 7, v19
	v_lshl_add_u32 v7, v82, 10, 0x2000
	s_delay_alu instid0(VALU_DEP_2) | instskip(NEXT) | instid1(VALU_DEP_2)
	v_and_b32_e32 v6, 0x8000, v6
	v_and_b32_e32 v7, 0xfc00, v7
	s_delay_alu instid0(VALU_DEP_1)
	v_or3_b32 v19, v6, v7, v19
.LBB302_3510:                           ;   in Loop: Header=BB302_2086 Depth=1
	s_or_b32 exec_lo, exec_lo, s25
.LBB302_3511:                           ;   in Loop: Header=BB302_2086 Depth=1
	s_delay_alu instid0(SALU_CYCLE_1)
	s_or_b32 exec_lo, exec_lo, s24
.LBB302_3512:                           ;   in Loop: Header=BB302_2086 Depth=1
	s_delay_alu instid0(SALU_CYCLE_1) | instskip(SKIP_3) | instid1(VALU_DEP_2)
	s_or_b32 exec_lo, exec_lo, s23
	v_lshrrev_b16 v54, 8, v54
	v_mov_b32_e32 v82, 0
	s_mov_b32 s23, exec_lo
	v_cmpx_ne_u16_e32 0, v54
	s_cbranch_execz .LBB302_3520
; %bb.3513:                             ;   in Loop: Header=BB302_2086 Depth=1
	v_bfrev_b32_e32 v82, 1
	s_mov_b32 s24, exec_lo
	v_cmpx_ne_u16_e32 0x80, v54
	s_cbranch_execz .LBB302_3519
; %bb.3514:                             ;   in Loop: Header=BB302_2086 Depth=1
	v_and_b32_e32 v83, 0xffff, v54
	v_mov_b32_e32 v82, 0x7c010000
	s_mov_b32 s25, exec_lo
	s_delay_alu instid0(VALU_DEP_2) | instskip(NEXT) | instid1(VALU_DEP_1)
	v_and_b32_e32 v85, 0x7f, v83
	v_cmpx_ne_u32_e32 0x7f, v85
	s_cbranch_execz .LBB302_3518
; %bb.3515:                             ;   in Loop: Header=BB302_2086 Depth=1
	v_dual_lshrrev_b32 v84, 3, v85 :: v_dual_bitop2_b32 v82, 7, v83 bitop3:0x40
	s_mov_b32 s26, exec_lo
	v_cmpx_gt_u32_e32 8, v85
; %bb.3516:                             ;   in Loop: Header=BB302_2086 Depth=1
	s_delay_alu instid0(VALU_DEP_2) | instskip(NEXT) | instid1(VALU_DEP_1)
	v_clz_i32_u32_e32 v6, v82
	v_min_u32_e32 v64, 32, v6
	s_delay_alu instid0(VALU_DEP_1) | instskip(NEXT) | instid1(VALU_DEP_1)
	v_subrev_nc_u32_e32 v6, 28, v64
	v_lshlrev_b64_e32 v[6:7], v6, v[54:55]
	s_delay_alu instid0(VALU_DEP_1)
	v_dual_sub_nc_u32 v84, 29, v64 :: v_dual_bitop2_b32 v82, 7, v6 bitop3:0x40
; %bb.3517:                             ;   in Loop: Header=BB302_2086 Depth=1
	s_or_b32 exec_lo, exec_lo, s26
	v_lshlrev_b32_e32 v6, 8, v83
	s_delay_alu instid0(VALU_DEP_2) | instskip(NEXT) | instid1(VALU_DEP_1)
	v_lshl_add_u32 v7, v84, 10, 0x2000
	v_and_or_b32 v6, 0x8000, v6, v7
	v_lshlrev_b32_e32 v7, 23, v82
	s_delay_alu instid0(VALU_DEP_1)
	v_lshl_or_b32 v82, v6, 16, v7
.LBB302_3518:                           ;   in Loop: Header=BB302_2086 Depth=1
	s_or_b32 exec_lo, exec_lo, s25
.LBB302_3519:                           ;   in Loop: Header=BB302_2086 Depth=1
	s_delay_alu instid0(SALU_CYCLE_1)
	s_or_b32 exec_lo, exec_lo, s24
.LBB302_3520:                           ;   in Loop: Header=BB302_2086 Depth=1
	s_delay_alu instid0(SALU_CYCLE_1) | instskip(SKIP_2) | instid1(VALU_DEP_1)
	s_or_b32 exec_lo, exec_lo, s23
	v_lshrrev_b32_e32 v54, 16, v81
	s_mov_b32 s23, exec_lo
	v_and_b32_e32 v83, 0xff, v54
	s_delay_alu instid0(VALU_DEP_1)
	v_cmpx_ne_u16_e32 0, v83
	s_cbranch_execz .LBB302_3528
; %bb.3521:                             ;   in Loop: Header=BB302_2086 Depth=1
	v_mov_b32_e32 v71, 0x8000
	s_mov_b32 s24, exec_lo
	v_cmpx_ne_u16_e32 0x80, v83
	s_cbranch_execz .LBB302_3527
; %bb.3522:                             ;   in Loop: Header=BB302_2086 Depth=1
	v_bfe_u32 v84, v81, 16, 7
	v_mov_b32_e32 v71, 0x7c01
	s_mov_b32 s25, exec_lo
	s_delay_alu instid0(VALU_DEP_2)
	v_cmpx_ne_u32_e32 0x7f, v84
	s_cbranch_execz .LBB302_3526
; %bb.3523:                             ;   in Loop: Header=BB302_2086 Depth=1
	v_dual_lshrrev_b32 v83, 3, v84 :: v_dual_bitop2_b32 v71, 7, v54 bitop3:0x40
	s_mov_b32 s26, exec_lo
	v_cmpx_gt_u32_e32 8, v84
; %bb.3524:                             ;   in Loop: Header=BB302_2086 Depth=1
	s_delay_alu instid0(VALU_DEP_2) | instskip(NEXT) | instid1(VALU_DEP_1)
	v_clz_i32_u32_e32 v6, v71
	v_min_u32_e32 v64, 32, v6
	s_delay_alu instid0(VALU_DEP_1) | instskip(NEXT) | instid1(VALU_DEP_1)
	v_subrev_nc_u32_e32 v6, 28, v64
	v_lshlrev_b64_e32 v[6:7], v6, v[54:55]
	s_delay_alu instid0(VALU_DEP_1)
	v_dual_sub_nc_u32 v83, 29, v64 :: v_dual_bitop2_b32 v71, 7, v6 bitop3:0x40
; %bb.3525:                             ;   in Loop: Header=BB302_2086 Depth=1
	s_or_b32 exec_lo, exec_lo, s26
	s_delay_alu instid0(VALU_DEP_1) | instskip(NEXT) | instid1(VALU_DEP_2)
	v_dual_lshlrev_b32 v6, 8, v54 :: v_dual_lshlrev_b32 v54, 7, v71
	v_lshl_add_u32 v7, v83, 10, 0x2000
	s_delay_alu instid0(VALU_DEP_2) | instskip(NEXT) | instid1(VALU_DEP_2)
	v_and_b32_e32 v6, 0x8000, v6
	v_and_b32_e32 v7, 0xfc00, v7
	s_delay_alu instid0(VALU_DEP_1)
	v_or3_b32 v71, v6, v7, v54
.LBB302_3526:                           ;   in Loop: Header=BB302_2086 Depth=1
	s_or_b32 exec_lo, exec_lo, s25
.LBB302_3527:                           ;   in Loop: Header=BB302_2086 Depth=1
	s_delay_alu instid0(SALU_CYCLE_1)
	s_or_b32 exec_lo, exec_lo, s24
.LBB302_3528:                           ;   in Loop: Header=BB302_2086 Depth=1
	s_delay_alu instid0(SALU_CYCLE_1)
	s_or_b32 exec_lo, exec_lo, s23
	v_cmp_lt_u64_e64 s8, s[16:17], v[80:81]
	v_mov_b32_e32 v80, 0
	s_and_saveexec_b32 s23, s8
	s_cbranch_execz .LBB302_3536
; %bb.3529:                             ;   in Loop: Header=BB302_2086 Depth=1
	v_lshrrev_b32_e32 v54, 24, v81
	v_bfrev_b32_e32 v80, 1
	s_mov_b32 s24, exec_lo
	s_delay_alu instid0(VALU_DEP_2)
	v_cmpx_ne_u32_e32 0x80, v54
	s_cbranch_execz .LBB302_3535
; %bb.3530:                             ;   in Loop: Header=BB302_2086 Depth=1
	v_and_b32_e32 v83, 0x7f, v54
	v_mov_b32_e32 v80, 0x7c010000
	s_mov_b32 s25, exec_lo
	s_delay_alu instid0(VALU_DEP_2)
	v_cmpx_ne_u32_e32 0x7f, v83
	s_cbranch_execz .LBB302_3534
; %bb.3531:                             ;   in Loop: Header=BB302_2086 Depth=1
	v_dual_lshrrev_b32 v81, 3, v83 :: v_dual_bitop2_b32 v80, 7, v54 bitop3:0x40
	s_mov_b32 s26, exec_lo
	v_cmpx_gt_u32_e32 8, v83
; %bb.3532:                             ;   in Loop: Header=BB302_2086 Depth=1
	s_delay_alu instid0(VALU_DEP_2) | instskip(NEXT) | instid1(VALU_DEP_1)
	v_clz_i32_u32_e32 v6, v80
	v_min_u32_e32 v64, 32, v6
	s_delay_alu instid0(VALU_DEP_1) | instskip(NEXT) | instid1(VALU_DEP_1)
	v_subrev_nc_u32_e32 v6, 28, v64
	v_lshlrev_b64_e32 v[6:7], v6, v[54:55]
	s_delay_alu instid0(VALU_DEP_1)
	v_dual_sub_nc_u32 v81, 29, v64 :: v_dual_bitop2_b32 v80, 7, v6 bitop3:0x40
; %bb.3533:                             ;   in Loop: Header=BB302_2086 Depth=1
	s_or_b32 exec_lo, exec_lo, s26
	v_lshlrev_b32_e32 v6, 8, v54
	s_delay_alu instid0(VALU_DEP_2) | instskip(NEXT) | instid1(VALU_DEP_1)
	v_lshl_add_u32 v7, v81, 10, 0x2000
	v_and_or_b32 v6, 0x8000, v6, v7
	v_lshlrev_b32_e32 v7, 23, v80
	s_delay_alu instid0(VALU_DEP_1)
	v_lshl_or_b32 v80, v6, 16, v7
.LBB302_3534:                           ;   in Loop: Header=BB302_2086 Depth=1
	s_or_b32 exec_lo, exec_lo, s25
.LBB302_3535:                           ;   in Loop: Header=BB302_2086 Depth=1
	s_delay_alu instid0(SALU_CYCLE_1)
	s_or_b32 exec_lo, exec_lo, s24
.LBB302_3536:                           ;   in Loop: Header=BB302_2086 Depth=1
	s_delay_alu instid0(SALU_CYCLE_1) | instskip(SKIP_3) | instid1(VALU_DEP_3)
	s_or_b32 exec_lo, exec_lo, s23
	v_dual_lshrrev_b32 v6, 16, v0 :: v_dual_bitop2_b32 v54, v0, v1 bitop3:0x54
	v_dual_lshrrev_b32 v7, 16, v12 :: v_dual_bitop2_b32 v12, v12, v18 bitop3:0x54
	;; [unrolled: 1-line block ×3, first 2 shown]
	v_cvt_f32_f16_e32 v1, v6
	s_delay_alu instid0(VALU_DEP_3)
	v_cvt_f32_f16_e32 v0, v7
	v_lshrrev_b32_e32 v65, 16, v80
	v_cvt_f32_f16_e32 v6, v12
	v_or_b32_e32 v12, v82, v19
	v_cvt_f32_f16_e32 v7, v54
	s_wait_loadcnt_dscnt 0x0
	v_pk_mul_f32 v[0:1], v[70:71], v[0:1] op_sel_hi:[0,1]
	v_cvt_f32_f16_e32 v19, v18
	v_cvt_f32_f16_e32 v18, v65
	;; [unrolled: 1-line block ×4, first 2 shown]
	v_pk_mul_f32 v[6:7], v[70:71], v[6:7] op_sel_hi:[0,1]
	v_cvt_pk_f16_f32 v12, v0, v1
	v_pk_mul_f32 v[0:1], v[70:71], v[18:19] op_sel_hi:[0,1]
	s_delay_alu instid0(VALU_DEP_4) | instskip(NEXT) | instid1(VALU_DEP_4)
	v_pk_mul_f32 v[18:19], v[70:71], v[64:65] op_sel_hi:[0,1]
	v_cvt_pk_f16_f32 v6, v6, v7
	s_delay_alu instid0(VALU_DEP_4) | instskip(NEXT) | instid1(VALU_DEP_4)
	v_and_b32_e32 v71, 0xffff0000, v12
	v_cvt_pk_f16_f32 v0, v0, v1
	v_lshlrev_b32_e32 v82, 16, v12
	v_cvt_pk_f16_f32 v1, v18, v19
	v_lshrrev_b32_e32 v87, 16, v6
	v_and_b32_e32 v86, 0xffff, v6
	v_and_b32_e32 v19, 0xffff0000, v0
	s_delay_alu instid0(VALU_DEP_4) | instskip(SKIP_3) | instid1(VALU_DEP_4)
	v_dual_lshlrev_b32 v54, 16, v0 :: v_dual_lshrrev_b32 v85, 16, v1
	v_and_b32_e32 v84, 0xffff, v1
	v_or_b32_e32 v83, v71, v87
	v_or_b32_e32 v80, v82, v86
	;; [unrolled: 1-line block ×3, first 2 shown]
	s_delay_alu instid0(VALU_DEP_4)
	v_or_b32_e32 v70, v54, v84
	s_and_saveexec_b32 s8, s3
	s_cbranch_execz .LBB302_3538
; %bb.3537:                             ;   in Loop: Header=BB302_2086 Depth=1
	v_dual_cndmask_b32 v0, 0, v87, vcc_lo :: v_dual_cndmask_b32 v1, 0, v86, s0
	v_dual_cndmask_b32 v6, 0, v71, s1 :: v_dual_cndmask_b32 v7, 0, v82, s2
	v_dual_cndmask_b32 v12, 0, v85, s4 :: v_dual_cndmask_b32 v18, 0, v84, s5
	;; [unrolled: 1-line block ×3, first 2 shown]
	s_delay_alu instid0(VALU_DEP_3) | instskip(NEXT) | instid1(VALU_DEP_4)
	v_or_b32_e32 v83, v0, v6
	v_or_b32_e32 v80, v1, v7
	s_delay_alu instid0(VALU_DEP_3) | instskip(NEXT) | instid1(VALU_DEP_4)
	v_or_b32_e32 v81, v12, v19
	v_or_b32_e32 v70, v18, v54
.LBB302_3538:                           ;   in Loop: Header=BB302_2086 Depth=1
	s_or_b32 exec_lo, exec_lo, s8
	;;#ASMSTART
	v_pk_mul_f16 v0, v112, v83;

	;;#ASMEND
	;;#ASMSTART
	v_pk_mul_f16 v1, v103, v80;

	;;#ASMEND
	;; [unrolled: 4-line block ×4, first 2 shown]
	;;#ASMSTART
	v_pk_add_f16 v0, v0, v1;

	;;#ASMEND
	;;#ASMSTART
	v_pk_add_f16 v0, v0, v6;

	;;#ASMEND
	;; [unrolled: 4-line block ×3, first 2 shown]
	v_and_b32_e32 v1, 0xffff, v0
	v_lshrrev_b32_e32 v0, 16, v0
	;;#ASMSTART
	v_cvt_f32_f16 v107, v1;
	;;#ASMEND
	v_mov_b32_e32 v1, 0
	;;#ASMSTART
	v_cvt_f32_f16 v108, v0;
	;;#ASMEND
	flat_load_b64 v[80:81], v[68:69] offset:5632
	flat_load_b32 v70, v[22:23]
	v_mov_b32_e32 v0, 0
	s_mov_b32 s23, exec_lo
	s_wait_loadcnt_dscnt 0x101
	v_and_b32_e32 v12, 0xff, v80
	s_wait_xcnt 0x0
	s_delay_alu instid0(VALU_DEP_1)
	v_cmpx_ne_u16_e32 0, v12
	s_cbranch_execz .LBB302_3546
; %bb.3539:                             ;   in Loop: Header=BB302_2086 Depth=1
	v_mov_b32_e32 v1, 0x8000
	s_mov_b32 s24, exec_lo
	v_cmpx_ne_u16_e32 0x80, v12
	s_cbranch_execz .LBB302_3545
; %bb.3540:                             ;   in Loop: Header=BB302_2086 Depth=1
	v_and_b32_e32 v18, 0x7f, v80
	v_mov_b32_e32 v1, 0x7c01
	s_mov_b32 s25, exec_lo
	s_delay_alu instid0(VALU_DEP_2)
	v_cmpx_ne_u32_e32 0x7f, v18
	s_cbranch_execz .LBB302_3544
; %bb.3541:                             ;   in Loop: Header=BB302_2086 Depth=1
	v_dual_lshrrev_b32 v12, 3, v18 :: v_dual_bitop2_b32 v1, 7, v80 bitop3:0x40
	s_mov_b32 s26, exec_lo
	v_cmpx_gt_u32_e32 8, v18
; %bb.3542:                             ;   in Loop: Header=BB302_2086 Depth=1
	s_delay_alu instid0(VALU_DEP_2) | instskip(NEXT) | instid1(VALU_DEP_1)
	v_clz_i32_u32_e32 v1, v1
	v_min_u32_e32 v1, 32, v1
	s_delay_alu instid0(VALU_DEP_1) | instskip(NEXT) | instid1(VALU_DEP_1)
	v_subrev_nc_u32_e32 v6, 28, v1
	v_lshlrev_b64_e32 v[6:7], v6, v[80:81]
	s_delay_alu instid0(VALU_DEP_1)
	v_dual_sub_nc_u32 v12, 29, v1 :: v_dual_bitop2_b32 v1, 7, v6 bitop3:0x40
; %bb.3543:                             ;   in Loop: Header=BB302_2086 Depth=1
	s_or_b32 exec_lo, exec_lo, s26
	s_delay_alu instid0(VALU_DEP_1) | instskip(NEXT) | instid1(VALU_DEP_2)
	v_dual_lshlrev_b32 v6, 8, v80 :: v_dual_lshlrev_b32 v1, 7, v1
	v_lshl_add_u32 v7, v12, 10, 0x2000
	s_delay_alu instid0(VALU_DEP_2) | instskip(NEXT) | instid1(VALU_DEP_2)
	v_and_b32_e32 v6, 0x8000, v6
	v_and_b32_e32 v7, 0xfc00, v7
	s_delay_alu instid0(VALU_DEP_1)
	v_or3_b32 v1, v6, v7, v1
.LBB302_3544:                           ;   in Loop: Header=BB302_2086 Depth=1
	s_or_b32 exec_lo, exec_lo, s25
.LBB302_3545:                           ;   in Loop: Header=BB302_2086 Depth=1
	s_delay_alu instid0(SALU_CYCLE_1)
	s_or_b32 exec_lo, exec_lo, s24
.LBB302_3546:                           ;   in Loop: Header=BB302_2086 Depth=1
	s_delay_alu instid0(SALU_CYCLE_1) | instskip(SKIP_2) | instid1(VALU_DEP_1)
	s_or_b32 exec_lo, exec_lo, s23
	v_lshrrev_b16 v54, 8, v80
	s_mov_b32 s23, exec_lo
	v_cmpx_ne_u16_e32 0, v54
	s_cbranch_execz .LBB302_3554
; %bb.3547:                             ;   in Loop: Header=BB302_2086 Depth=1
	v_bfrev_b32_e32 v0, 1
	s_mov_b32 s24, exec_lo
	v_cmpx_ne_u16_e32 0x80, v54
	s_cbranch_execz .LBB302_3553
; %bb.3548:                             ;   in Loop: Header=BB302_2086 Depth=1
	v_and_b32_e32 v12, 0xffff, v54
	v_mov_b32_e32 v0, 0x7c010000
	s_mov_b32 s25, exec_lo
	s_delay_alu instid0(VALU_DEP_2) | instskip(NEXT) | instid1(VALU_DEP_1)
	v_and_b32_e32 v19, 0x7f, v12
	v_cmpx_ne_u32_e32 0x7f, v19
	s_cbranch_execz .LBB302_3552
; %bb.3549:                             ;   in Loop: Header=BB302_2086 Depth=1
	v_dual_lshrrev_b32 v18, 3, v19 :: v_dual_bitop2_b32 v0, 7, v12 bitop3:0x40
	s_mov_b32 s26, exec_lo
	v_cmpx_gt_u32_e32 8, v19
; %bb.3550:                             ;   in Loop: Header=BB302_2086 Depth=1
	s_delay_alu instid0(VALU_DEP_2) | instskip(NEXT) | instid1(VALU_DEP_1)
	v_clz_i32_u32_e32 v0, v0
	v_min_u32_e32 v0, 32, v0
	s_delay_alu instid0(VALU_DEP_1) | instskip(NEXT) | instid1(VALU_DEP_1)
	v_subrev_nc_u32_e32 v6, 28, v0
	v_lshlrev_b64_e32 v[6:7], v6, v[54:55]
	s_delay_alu instid0(VALU_DEP_1)
	v_dual_sub_nc_u32 v18, 29, v0 :: v_dual_bitop2_b32 v0, 7, v6 bitop3:0x40
; %bb.3551:                             ;   in Loop: Header=BB302_2086 Depth=1
	s_or_b32 exec_lo, exec_lo, s26
	v_lshlrev_b32_e32 v6, 8, v12
	s_delay_alu instid0(VALU_DEP_2) | instskip(NEXT) | instid1(VALU_DEP_3)
	v_lshl_add_u32 v7, v18, 10, 0x2000
	v_lshlrev_b32_e32 v0, 23, v0
	s_delay_alu instid0(VALU_DEP_2) | instskip(NEXT) | instid1(VALU_DEP_1)
	v_and_or_b32 v6, 0x8000, v6, v7
	v_lshl_or_b32 v0, v6, 16, v0
.LBB302_3552:                           ;   in Loop: Header=BB302_2086 Depth=1
	s_or_b32 exec_lo, exec_lo, s25
.LBB302_3553:                           ;   in Loop: Header=BB302_2086 Depth=1
	s_delay_alu instid0(SALU_CYCLE_1)
	s_or_b32 exec_lo, exec_lo, s24
.LBB302_3554:                           ;   in Loop: Header=BB302_2086 Depth=1
	s_delay_alu instid0(SALU_CYCLE_1) | instskip(SKIP_3) | instid1(VALU_DEP_2)
	s_or_b32 exec_lo, exec_lo, s23
	v_dual_lshrrev_b32 v54, 16, v80 :: v_dual_mov_b32 v12, 0
	v_mov_b32_e32 v18, 0
	s_mov_b32 s23, exec_lo
	v_and_b32_e32 v19, 0xff, v54
	s_delay_alu instid0(VALU_DEP_1)
	v_cmpx_ne_u16_e32 0, v19
	s_cbranch_execz .LBB302_3562
; %bb.3555:                             ;   in Loop: Header=BB302_2086 Depth=1
	v_mov_b32_e32 v18, 0x8000
	s_mov_b32 s24, exec_lo
	v_cmpx_ne_u16_e32 0x80, v19
	s_cbranch_execz .LBB302_3561
; %bb.3556:                             ;   in Loop: Header=BB302_2086 Depth=1
	v_bfe_u32 v71, v80, 16, 7
	v_mov_b32_e32 v18, 0x7c01
	s_mov_b32 s25, exec_lo
	s_delay_alu instid0(VALU_DEP_2)
	v_cmpx_ne_u32_e32 0x7f, v71
	s_cbranch_execz .LBB302_3560
; %bb.3557:                             ;   in Loop: Header=BB302_2086 Depth=1
	v_dual_lshrrev_b32 v19, 3, v71 :: v_dual_bitop2_b32 v18, 7, v54 bitop3:0x40
	s_mov_b32 s26, exec_lo
	v_cmpx_gt_u32_e32 8, v71
; %bb.3558:                             ;   in Loop: Header=BB302_2086 Depth=1
	s_delay_alu instid0(VALU_DEP_2) | instskip(NEXT) | instid1(VALU_DEP_1)
	v_clz_i32_u32_e32 v6, v18
	v_min_u32_e32 v18, 32, v6
	s_delay_alu instid0(VALU_DEP_1) | instskip(SKIP_1) | instid1(VALU_DEP_2)
	v_subrev_nc_u32_e32 v6, 28, v18
	v_sub_nc_u32_e32 v19, 29, v18
	v_lshlrev_b64_e32 v[6:7], v6, v[54:55]
	s_delay_alu instid0(VALU_DEP_1)
	v_and_b32_e32 v18, 7, v6
; %bb.3559:                             ;   in Loop: Header=BB302_2086 Depth=1
	s_or_b32 exec_lo, exec_lo, s26
	v_lshlrev_b32_e32 v6, 8, v54
	v_lshl_add_u32 v7, v19, 10, 0x2000
	s_delay_alu instid0(VALU_DEP_3) | instskip(NEXT) | instid1(VALU_DEP_3)
	v_lshlrev_b32_e32 v18, 7, v18
	v_and_b32_e32 v6, 0x8000, v6
	s_delay_alu instid0(VALU_DEP_3) | instskip(NEXT) | instid1(VALU_DEP_1)
	v_and_b32_e32 v7, 0xfc00, v7
	v_or3_b32 v18, v6, v7, v18
.LBB302_3560:                           ;   in Loop: Header=BB302_2086 Depth=1
	s_or_b32 exec_lo, exec_lo, s25
.LBB302_3561:                           ;   in Loop: Header=BB302_2086 Depth=1
	s_delay_alu instid0(SALU_CYCLE_1)
	s_or_b32 exec_lo, exec_lo, s24
.LBB302_3562:                           ;   in Loop: Header=BB302_2086 Depth=1
	s_delay_alu instid0(SALU_CYCLE_1) | instskip(NEXT) | instid1(SALU_CYCLE_1)
	s_or_b32 exec_lo, exec_lo, s23
	s_mov_b32 s23, exec_lo
	v_cmpx_lt_u32_e32 0xffffff, v80
	s_cbranch_execz .LBB302_3570
; %bb.3563:                             ;   in Loop: Header=BB302_2086 Depth=1
	v_lshrrev_b32_e32 v54, 24, v80
	v_bfrev_b32_e32 v12, 1
	s_mov_b32 s24, exec_lo
	s_delay_alu instid0(VALU_DEP_2)
	v_cmpx_ne_u32_e32 0x80, v54
	s_cbranch_execz .LBB302_3569
; %bb.3564:                             ;   in Loop: Header=BB302_2086 Depth=1
	v_and_b32_e32 v71, 0x7f, v54
	v_mov_b32_e32 v12, 0x7c010000
	s_mov_b32 s25, exec_lo
	s_delay_alu instid0(VALU_DEP_2)
	v_cmpx_ne_u32_e32 0x7f, v71
	s_cbranch_execz .LBB302_3568
; %bb.3565:                             ;   in Loop: Header=BB302_2086 Depth=1
	v_dual_lshrrev_b32 v19, 3, v71 :: v_dual_bitop2_b32 v12, 7, v54 bitop3:0x40
	s_mov_b32 s26, exec_lo
	v_cmpx_gt_u32_e32 8, v71
; %bb.3566:                             ;   in Loop: Header=BB302_2086 Depth=1
	s_delay_alu instid0(VALU_DEP_2) | instskip(NEXT) | instid1(VALU_DEP_1)
	v_clz_i32_u32_e32 v6, v12
	v_min_u32_e32 v12, 32, v6
	s_delay_alu instid0(VALU_DEP_1) | instskip(NEXT) | instid1(VALU_DEP_1)
	v_subrev_nc_u32_e32 v6, 28, v12
	v_lshlrev_b64_e32 v[6:7], v6, v[54:55]
	s_delay_alu instid0(VALU_DEP_1)
	v_dual_sub_nc_u32 v19, 29, v12 :: v_dual_bitop2_b32 v12, 7, v6 bitop3:0x40
; %bb.3567:                             ;   in Loop: Header=BB302_2086 Depth=1
	s_or_b32 exec_lo, exec_lo, s26
	v_lshlrev_b32_e32 v6, 8, v54
	s_delay_alu instid0(VALU_DEP_2) | instskip(NEXT) | instid1(VALU_DEP_1)
	v_lshl_add_u32 v7, v19, 10, 0x2000
	v_and_or_b32 v6, 0x8000, v6, v7
	v_lshlrev_b32_e32 v7, 23, v12
	s_delay_alu instid0(VALU_DEP_1)
	v_lshl_or_b32 v12, v6, 16, v7
.LBB302_3568:                           ;   in Loop: Header=BB302_2086 Depth=1
	s_or_b32 exec_lo, exec_lo, s25
.LBB302_3569:                           ;   in Loop: Header=BB302_2086 Depth=1
	s_delay_alu instid0(SALU_CYCLE_1)
	s_or_b32 exec_lo, exec_lo, s24
.LBB302_3570:                           ;   in Loop: Header=BB302_2086 Depth=1
	s_delay_alu instid0(SALU_CYCLE_1) | instskip(SKIP_4) | instid1(VALU_DEP_3)
	s_or_b32 exec_lo, exec_lo, s23
	v_and_b32_e32 v82, 0xff, v81
	v_dual_mov_b32 v54, v81 :: v_dual_mov_b32 v71, 0
	v_mov_b32_e32 v19, 0
	s_mov_b32 s23, exec_lo
	v_cmpx_ne_u16_e32 0, v82
	s_cbranch_execz .LBB302_3578
; %bb.3571:                             ;   in Loop: Header=BB302_2086 Depth=1
	v_mov_b32_e32 v19, 0x8000
	s_mov_b32 s24, exec_lo
	v_cmpx_ne_u16_e32 0x80, v82
	s_cbranch_execz .LBB302_3577
; %bb.3572:                             ;   in Loop: Header=BB302_2086 Depth=1
	v_and_b32_e32 v83, 0x7f, v81
	v_mov_b32_e32 v19, 0x7c01
	s_mov_b32 s25, exec_lo
	s_delay_alu instid0(VALU_DEP_2)
	v_cmpx_ne_u32_e32 0x7f, v83
	s_cbranch_execz .LBB302_3576
; %bb.3573:                             ;   in Loop: Header=BB302_2086 Depth=1
	v_dual_lshrrev_b32 v82, 3, v83 :: v_dual_bitop2_b32 v19, 7, v81 bitop3:0x40
	s_mov_b32 s26, exec_lo
	v_cmpx_gt_u32_e32 8, v83
; %bb.3574:                             ;   in Loop: Header=BB302_2086 Depth=1
	s_delay_alu instid0(VALU_DEP_2) | instskip(NEXT) | instid1(VALU_DEP_1)
	v_clz_i32_u32_e32 v6, v19
	v_min_u32_e32 v19, 32, v6
	s_delay_alu instid0(VALU_DEP_1) | instskip(NEXT) | instid1(VALU_DEP_1)
	v_subrev_nc_u32_e32 v6, 28, v19
	v_lshlrev_b64_e32 v[6:7], v6, v[54:55]
	s_delay_alu instid0(VALU_DEP_1)
	v_dual_sub_nc_u32 v82, 29, v19 :: v_dual_bitop2_b32 v19, 7, v6 bitop3:0x40
; %bb.3575:                             ;   in Loop: Header=BB302_2086 Depth=1
	s_or_b32 exec_lo, exec_lo, s26
	s_delay_alu instid0(VALU_DEP_1) | instskip(NEXT) | instid1(VALU_DEP_2)
	v_dual_lshlrev_b32 v6, 8, v81 :: v_dual_lshlrev_b32 v19, 7, v19
	v_lshl_add_u32 v7, v82, 10, 0x2000
	s_delay_alu instid0(VALU_DEP_2) | instskip(NEXT) | instid1(VALU_DEP_2)
	v_and_b32_e32 v6, 0x8000, v6
	v_and_b32_e32 v7, 0xfc00, v7
	s_delay_alu instid0(VALU_DEP_1)
	v_or3_b32 v19, v6, v7, v19
.LBB302_3576:                           ;   in Loop: Header=BB302_2086 Depth=1
	s_or_b32 exec_lo, exec_lo, s25
.LBB302_3577:                           ;   in Loop: Header=BB302_2086 Depth=1
	s_delay_alu instid0(SALU_CYCLE_1)
	s_or_b32 exec_lo, exec_lo, s24
.LBB302_3578:                           ;   in Loop: Header=BB302_2086 Depth=1
	s_delay_alu instid0(SALU_CYCLE_1) | instskip(SKIP_3) | instid1(VALU_DEP_2)
	s_or_b32 exec_lo, exec_lo, s23
	v_lshrrev_b16 v54, 8, v54
	v_mov_b32_e32 v82, 0
	s_mov_b32 s23, exec_lo
	v_cmpx_ne_u16_e32 0, v54
	s_cbranch_execz .LBB302_3586
; %bb.3579:                             ;   in Loop: Header=BB302_2086 Depth=1
	v_bfrev_b32_e32 v82, 1
	s_mov_b32 s24, exec_lo
	v_cmpx_ne_u16_e32 0x80, v54
	s_cbranch_execz .LBB302_3585
; %bb.3580:                             ;   in Loop: Header=BB302_2086 Depth=1
	v_and_b32_e32 v83, 0xffff, v54
	v_mov_b32_e32 v82, 0x7c010000
	s_mov_b32 s25, exec_lo
	s_delay_alu instid0(VALU_DEP_2) | instskip(NEXT) | instid1(VALU_DEP_1)
	v_and_b32_e32 v85, 0x7f, v83
	v_cmpx_ne_u32_e32 0x7f, v85
	s_cbranch_execz .LBB302_3584
; %bb.3581:                             ;   in Loop: Header=BB302_2086 Depth=1
	v_dual_lshrrev_b32 v84, 3, v85 :: v_dual_bitop2_b32 v82, 7, v83 bitop3:0x40
	s_mov_b32 s26, exec_lo
	v_cmpx_gt_u32_e32 8, v85
; %bb.3582:                             ;   in Loop: Header=BB302_2086 Depth=1
	s_delay_alu instid0(VALU_DEP_2) | instskip(NEXT) | instid1(VALU_DEP_1)
	v_clz_i32_u32_e32 v6, v82
	v_min_u32_e32 v64, 32, v6
	s_delay_alu instid0(VALU_DEP_1) | instskip(NEXT) | instid1(VALU_DEP_1)
	v_subrev_nc_u32_e32 v6, 28, v64
	v_lshlrev_b64_e32 v[6:7], v6, v[54:55]
	s_delay_alu instid0(VALU_DEP_1)
	v_dual_sub_nc_u32 v84, 29, v64 :: v_dual_bitop2_b32 v82, 7, v6 bitop3:0x40
; %bb.3583:                             ;   in Loop: Header=BB302_2086 Depth=1
	s_or_b32 exec_lo, exec_lo, s26
	v_lshlrev_b32_e32 v6, 8, v83
	s_delay_alu instid0(VALU_DEP_2) | instskip(NEXT) | instid1(VALU_DEP_1)
	v_lshl_add_u32 v7, v84, 10, 0x2000
	v_and_or_b32 v6, 0x8000, v6, v7
	v_lshlrev_b32_e32 v7, 23, v82
	s_delay_alu instid0(VALU_DEP_1)
	v_lshl_or_b32 v82, v6, 16, v7
.LBB302_3584:                           ;   in Loop: Header=BB302_2086 Depth=1
	s_or_b32 exec_lo, exec_lo, s25
.LBB302_3585:                           ;   in Loop: Header=BB302_2086 Depth=1
	s_delay_alu instid0(SALU_CYCLE_1)
	s_or_b32 exec_lo, exec_lo, s24
.LBB302_3586:                           ;   in Loop: Header=BB302_2086 Depth=1
	s_delay_alu instid0(SALU_CYCLE_1) | instskip(SKIP_2) | instid1(VALU_DEP_1)
	s_or_b32 exec_lo, exec_lo, s23
	v_lshrrev_b32_e32 v54, 16, v81
	s_mov_b32 s23, exec_lo
	v_and_b32_e32 v83, 0xff, v54
	s_delay_alu instid0(VALU_DEP_1)
	v_cmpx_ne_u16_e32 0, v83
	s_cbranch_execz .LBB302_3594
; %bb.3587:                             ;   in Loop: Header=BB302_2086 Depth=1
	v_mov_b32_e32 v71, 0x8000
	s_mov_b32 s24, exec_lo
	v_cmpx_ne_u16_e32 0x80, v83
	s_cbranch_execz .LBB302_3593
; %bb.3588:                             ;   in Loop: Header=BB302_2086 Depth=1
	v_bfe_u32 v84, v81, 16, 7
	v_mov_b32_e32 v71, 0x7c01
	s_mov_b32 s25, exec_lo
	s_delay_alu instid0(VALU_DEP_2)
	v_cmpx_ne_u32_e32 0x7f, v84
	s_cbranch_execz .LBB302_3592
; %bb.3589:                             ;   in Loop: Header=BB302_2086 Depth=1
	v_dual_lshrrev_b32 v83, 3, v84 :: v_dual_bitop2_b32 v71, 7, v54 bitop3:0x40
	s_mov_b32 s26, exec_lo
	v_cmpx_gt_u32_e32 8, v84
; %bb.3590:                             ;   in Loop: Header=BB302_2086 Depth=1
	s_delay_alu instid0(VALU_DEP_2) | instskip(NEXT) | instid1(VALU_DEP_1)
	v_clz_i32_u32_e32 v6, v71
	v_min_u32_e32 v64, 32, v6
	s_delay_alu instid0(VALU_DEP_1) | instskip(NEXT) | instid1(VALU_DEP_1)
	v_subrev_nc_u32_e32 v6, 28, v64
	v_lshlrev_b64_e32 v[6:7], v6, v[54:55]
	s_delay_alu instid0(VALU_DEP_1)
	v_dual_sub_nc_u32 v83, 29, v64 :: v_dual_bitop2_b32 v71, 7, v6 bitop3:0x40
; %bb.3591:                             ;   in Loop: Header=BB302_2086 Depth=1
	s_or_b32 exec_lo, exec_lo, s26
	s_delay_alu instid0(VALU_DEP_1) | instskip(NEXT) | instid1(VALU_DEP_2)
	v_dual_lshlrev_b32 v6, 8, v54 :: v_dual_lshlrev_b32 v54, 7, v71
	v_lshl_add_u32 v7, v83, 10, 0x2000
	s_delay_alu instid0(VALU_DEP_2) | instskip(NEXT) | instid1(VALU_DEP_2)
	v_and_b32_e32 v6, 0x8000, v6
	v_and_b32_e32 v7, 0xfc00, v7
	s_delay_alu instid0(VALU_DEP_1)
	v_or3_b32 v71, v6, v7, v54
.LBB302_3592:                           ;   in Loop: Header=BB302_2086 Depth=1
	s_or_b32 exec_lo, exec_lo, s25
.LBB302_3593:                           ;   in Loop: Header=BB302_2086 Depth=1
	s_delay_alu instid0(SALU_CYCLE_1)
	s_or_b32 exec_lo, exec_lo, s24
.LBB302_3594:                           ;   in Loop: Header=BB302_2086 Depth=1
	s_delay_alu instid0(SALU_CYCLE_1)
	s_or_b32 exec_lo, exec_lo, s23
	v_cmp_lt_u64_e64 s8, s[16:17], v[80:81]
	v_mov_b32_e32 v80, 0
	s_and_saveexec_b32 s23, s8
	s_cbranch_execz .LBB302_3602
; %bb.3595:                             ;   in Loop: Header=BB302_2086 Depth=1
	v_lshrrev_b32_e32 v54, 24, v81
	v_bfrev_b32_e32 v80, 1
	s_mov_b32 s24, exec_lo
	s_delay_alu instid0(VALU_DEP_2)
	v_cmpx_ne_u32_e32 0x80, v54
	s_cbranch_execz .LBB302_3601
; %bb.3596:                             ;   in Loop: Header=BB302_2086 Depth=1
	v_and_b32_e32 v83, 0x7f, v54
	v_mov_b32_e32 v80, 0x7c010000
	s_mov_b32 s25, exec_lo
	s_delay_alu instid0(VALU_DEP_2)
	v_cmpx_ne_u32_e32 0x7f, v83
	s_cbranch_execz .LBB302_3600
; %bb.3597:                             ;   in Loop: Header=BB302_2086 Depth=1
	v_dual_lshrrev_b32 v81, 3, v83 :: v_dual_bitop2_b32 v80, 7, v54 bitop3:0x40
	s_mov_b32 s26, exec_lo
	v_cmpx_gt_u32_e32 8, v83
; %bb.3598:                             ;   in Loop: Header=BB302_2086 Depth=1
	s_delay_alu instid0(VALU_DEP_2) | instskip(NEXT) | instid1(VALU_DEP_1)
	v_clz_i32_u32_e32 v6, v80
	v_min_u32_e32 v64, 32, v6
	s_delay_alu instid0(VALU_DEP_1) | instskip(NEXT) | instid1(VALU_DEP_1)
	v_subrev_nc_u32_e32 v6, 28, v64
	v_lshlrev_b64_e32 v[6:7], v6, v[54:55]
	s_delay_alu instid0(VALU_DEP_1)
	v_dual_sub_nc_u32 v81, 29, v64 :: v_dual_bitop2_b32 v80, 7, v6 bitop3:0x40
; %bb.3599:                             ;   in Loop: Header=BB302_2086 Depth=1
	s_or_b32 exec_lo, exec_lo, s26
	v_lshlrev_b32_e32 v6, 8, v54
	s_delay_alu instid0(VALU_DEP_2) | instskip(NEXT) | instid1(VALU_DEP_1)
	v_lshl_add_u32 v7, v81, 10, 0x2000
	v_and_or_b32 v6, 0x8000, v6, v7
	v_lshlrev_b32_e32 v7, 23, v80
	s_delay_alu instid0(VALU_DEP_1)
	v_lshl_or_b32 v80, v6, 16, v7
.LBB302_3600:                           ;   in Loop: Header=BB302_2086 Depth=1
	s_or_b32 exec_lo, exec_lo, s25
.LBB302_3601:                           ;   in Loop: Header=BB302_2086 Depth=1
	s_delay_alu instid0(SALU_CYCLE_1)
	s_or_b32 exec_lo, exec_lo, s24
.LBB302_3602:                           ;   in Loop: Header=BB302_2086 Depth=1
	s_delay_alu instid0(SALU_CYCLE_1) | instskip(SKIP_3) | instid1(VALU_DEP_3)
	s_or_b32 exec_lo, exec_lo, s23
	v_dual_lshrrev_b32 v6, 16, v0 :: v_dual_bitop2_b32 v54, v0, v1 bitop3:0x54
	v_dual_lshrrev_b32 v7, 16, v12 :: v_dual_bitop2_b32 v12, v12, v18 bitop3:0x54
	;; [unrolled: 1-line block ×3, first 2 shown]
	v_cvt_f32_f16_e32 v1, v6
	s_delay_alu instid0(VALU_DEP_3)
	v_cvt_f32_f16_e32 v0, v7
	v_lshrrev_b32_e32 v65, 16, v80
	v_cvt_f32_f16_e32 v6, v12
	v_or_b32_e32 v12, v82, v19
	v_cvt_f32_f16_e32 v7, v54
	s_wait_loadcnt_dscnt 0x0
	v_pk_mul_f32 v[0:1], v[70:71], v[0:1] op_sel_hi:[0,1]
	v_cvt_f32_f16_e32 v19, v18
	v_cvt_f32_f16_e32 v18, v65
	;; [unrolled: 1-line block ×4, first 2 shown]
	v_pk_mul_f32 v[6:7], v[70:71], v[6:7] op_sel_hi:[0,1]
	v_cvt_pk_f16_f32 v12, v0, v1
	v_pk_mul_f32 v[0:1], v[70:71], v[18:19] op_sel_hi:[0,1]
	s_delay_alu instid0(VALU_DEP_4) | instskip(NEXT) | instid1(VALU_DEP_4)
	v_pk_mul_f32 v[18:19], v[70:71], v[64:65] op_sel_hi:[0,1]
	v_cvt_pk_f16_f32 v6, v6, v7
	s_delay_alu instid0(VALU_DEP_4) | instskip(NEXT) | instid1(VALU_DEP_4)
	v_and_b32_e32 v71, 0xffff0000, v12
	v_cvt_pk_f16_f32 v0, v0, v1
	v_lshlrev_b32_e32 v82, 16, v12
	v_cvt_pk_f16_f32 v1, v18, v19
	v_lshrrev_b32_e32 v87, 16, v6
	v_and_b32_e32 v86, 0xffff, v6
	v_and_b32_e32 v19, 0xffff0000, v0
	s_delay_alu instid0(VALU_DEP_4) | instskip(SKIP_3) | instid1(VALU_DEP_4)
	v_dual_lshlrev_b32 v54, 16, v0 :: v_dual_lshrrev_b32 v85, 16, v1
	v_and_b32_e32 v84, 0xffff, v1
	v_or_b32_e32 v83, v71, v87
	v_or_b32_e32 v80, v82, v86
	;; [unrolled: 1-line block ×3, first 2 shown]
	s_delay_alu instid0(VALU_DEP_4)
	v_or_b32_e32 v70, v54, v84
	s_and_saveexec_b32 s8, s3
	s_cbranch_execz .LBB302_3604
; %bb.3603:                             ;   in Loop: Header=BB302_2086 Depth=1
	v_dual_cndmask_b32 v0, 0, v87, vcc_lo :: v_dual_cndmask_b32 v1, 0, v86, s0
	v_dual_cndmask_b32 v6, 0, v71, s1 :: v_dual_cndmask_b32 v7, 0, v82, s2
	v_dual_cndmask_b32 v12, 0, v85, s4 :: v_dual_cndmask_b32 v18, 0, v84, s5
	;; [unrolled: 1-line block ×3, first 2 shown]
	s_delay_alu instid0(VALU_DEP_3) | instskip(NEXT) | instid1(VALU_DEP_4)
	v_or_b32_e32 v83, v0, v6
	v_or_b32_e32 v80, v1, v7
	s_delay_alu instid0(VALU_DEP_3) | instskip(NEXT) | instid1(VALU_DEP_4)
	v_or_b32_e32 v81, v12, v19
	v_or_b32_e32 v70, v18, v54
.LBB302_3604:                           ;   in Loop: Header=BB302_2086 Depth=1
	s_or_b32 exec_lo, exec_lo, s8
	;;#ASMSTART
	v_pk_mul_f16 v0, v112, v83;

	;;#ASMEND
	;;#ASMSTART
	v_pk_mul_f16 v1, v103, v80;

	;;#ASMEND
	;; [unrolled: 4-line block ×4, first 2 shown]
	;;#ASMSTART
	v_pk_add_f16 v0, v0, v1;

	;;#ASMEND
	;;#ASMSTART
	v_pk_add_f16 v0, v0, v6;

	;;#ASMEND
	;; [unrolled: 4-line block ×3, first 2 shown]
	v_and_b32_e32 v1, 0xffff, v0
	v_lshrrev_b32_e32 v0, 16, v0
	;;#ASMSTART
	v_cvt_f32_f16 v109, v1;
	;;#ASMEND
	v_mov_b32_e32 v1, 0
	;;#ASMSTART
	v_cvt_f32_f16 v110, v0;
	;;#ASMEND
	flat_load_b64 v[80:81], v[68:69] offset:5888
	flat_load_b32 v70, v[22:23]
	v_mov_b32_e32 v0, 0
	s_mov_b32 s23, exec_lo
	s_wait_loadcnt_dscnt 0x101
	v_and_b32_e32 v12, 0xff, v80
	s_wait_xcnt 0x0
	s_delay_alu instid0(VALU_DEP_1)
	v_cmpx_ne_u16_e32 0, v12
	s_cbranch_execz .LBB302_3612
; %bb.3605:                             ;   in Loop: Header=BB302_2086 Depth=1
	v_mov_b32_e32 v1, 0x8000
	s_mov_b32 s24, exec_lo
	v_cmpx_ne_u16_e32 0x80, v12
	s_cbranch_execz .LBB302_3611
; %bb.3606:                             ;   in Loop: Header=BB302_2086 Depth=1
	v_and_b32_e32 v18, 0x7f, v80
	v_mov_b32_e32 v1, 0x7c01
	s_mov_b32 s25, exec_lo
	s_delay_alu instid0(VALU_DEP_2)
	v_cmpx_ne_u32_e32 0x7f, v18
	s_cbranch_execz .LBB302_3610
; %bb.3607:                             ;   in Loop: Header=BB302_2086 Depth=1
	v_dual_lshrrev_b32 v12, 3, v18 :: v_dual_bitop2_b32 v1, 7, v80 bitop3:0x40
	s_mov_b32 s26, exec_lo
	v_cmpx_gt_u32_e32 8, v18
; %bb.3608:                             ;   in Loop: Header=BB302_2086 Depth=1
	s_delay_alu instid0(VALU_DEP_2) | instskip(NEXT) | instid1(VALU_DEP_1)
	v_clz_i32_u32_e32 v1, v1
	v_min_u32_e32 v1, 32, v1
	s_delay_alu instid0(VALU_DEP_1) | instskip(NEXT) | instid1(VALU_DEP_1)
	v_subrev_nc_u32_e32 v6, 28, v1
	v_lshlrev_b64_e32 v[6:7], v6, v[80:81]
	s_delay_alu instid0(VALU_DEP_1)
	v_dual_sub_nc_u32 v12, 29, v1 :: v_dual_bitop2_b32 v1, 7, v6 bitop3:0x40
; %bb.3609:                             ;   in Loop: Header=BB302_2086 Depth=1
	s_or_b32 exec_lo, exec_lo, s26
	s_delay_alu instid0(VALU_DEP_1) | instskip(NEXT) | instid1(VALU_DEP_2)
	v_dual_lshlrev_b32 v6, 8, v80 :: v_dual_lshlrev_b32 v1, 7, v1
	v_lshl_add_u32 v7, v12, 10, 0x2000
	s_delay_alu instid0(VALU_DEP_2) | instskip(NEXT) | instid1(VALU_DEP_2)
	v_and_b32_e32 v6, 0x8000, v6
	v_and_b32_e32 v7, 0xfc00, v7
	s_delay_alu instid0(VALU_DEP_1)
	v_or3_b32 v1, v6, v7, v1
.LBB302_3610:                           ;   in Loop: Header=BB302_2086 Depth=1
	s_or_b32 exec_lo, exec_lo, s25
.LBB302_3611:                           ;   in Loop: Header=BB302_2086 Depth=1
	s_delay_alu instid0(SALU_CYCLE_1)
	s_or_b32 exec_lo, exec_lo, s24
.LBB302_3612:                           ;   in Loop: Header=BB302_2086 Depth=1
	s_delay_alu instid0(SALU_CYCLE_1) | instskip(SKIP_2) | instid1(VALU_DEP_1)
	s_or_b32 exec_lo, exec_lo, s23
	v_lshrrev_b16 v54, 8, v80
	s_mov_b32 s23, exec_lo
	v_cmpx_ne_u16_e32 0, v54
	s_cbranch_execz .LBB302_3620
; %bb.3613:                             ;   in Loop: Header=BB302_2086 Depth=1
	v_bfrev_b32_e32 v0, 1
	s_mov_b32 s24, exec_lo
	v_cmpx_ne_u16_e32 0x80, v54
	s_cbranch_execz .LBB302_3619
; %bb.3614:                             ;   in Loop: Header=BB302_2086 Depth=1
	v_and_b32_e32 v12, 0xffff, v54
	v_mov_b32_e32 v0, 0x7c010000
	s_mov_b32 s25, exec_lo
	s_delay_alu instid0(VALU_DEP_2) | instskip(NEXT) | instid1(VALU_DEP_1)
	v_and_b32_e32 v19, 0x7f, v12
	v_cmpx_ne_u32_e32 0x7f, v19
	s_cbranch_execz .LBB302_3618
; %bb.3615:                             ;   in Loop: Header=BB302_2086 Depth=1
	v_dual_lshrrev_b32 v18, 3, v19 :: v_dual_bitop2_b32 v0, 7, v12 bitop3:0x40
	s_mov_b32 s26, exec_lo
	v_cmpx_gt_u32_e32 8, v19
; %bb.3616:                             ;   in Loop: Header=BB302_2086 Depth=1
	s_delay_alu instid0(VALU_DEP_2) | instskip(NEXT) | instid1(VALU_DEP_1)
	v_clz_i32_u32_e32 v0, v0
	v_min_u32_e32 v0, 32, v0
	s_delay_alu instid0(VALU_DEP_1) | instskip(NEXT) | instid1(VALU_DEP_1)
	v_subrev_nc_u32_e32 v6, 28, v0
	v_lshlrev_b64_e32 v[6:7], v6, v[54:55]
	s_delay_alu instid0(VALU_DEP_1)
	v_dual_sub_nc_u32 v18, 29, v0 :: v_dual_bitop2_b32 v0, 7, v6 bitop3:0x40
; %bb.3617:                             ;   in Loop: Header=BB302_2086 Depth=1
	s_or_b32 exec_lo, exec_lo, s26
	v_lshlrev_b32_e32 v6, 8, v12
	s_delay_alu instid0(VALU_DEP_2) | instskip(NEXT) | instid1(VALU_DEP_3)
	v_lshl_add_u32 v7, v18, 10, 0x2000
	v_lshlrev_b32_e32 v0, 23, v0
	s_delay_alu instid0(VALU_DEP_2) | instskip(NEXT) | instid1(VALU_DEP_1)
	v_and_or_b32 v6, 0x8000, v6, v7
	v_lshl_or_b32 v0, v6, 16, v0
.LBB302_3618:                           ;   in Loop: Header=BB302_2086 Depth=1
	s_or_b32 exec_lo, exec_lo, s25
.LBB302_3619:                           ;   in Loop: Header=BB302_2086 Depth=1
	s_delay_alu instid0(SALU_CYCLE_1)
	s_or_b32 exec_lo, exec_lo, s24
.LBB302_3620:                           ;   in Loop: Header=BB302_2086 Depth=1
	s_delay_alu instid0(SALU_CYCLE_1) | instskip(SKIP_3) | instid1(VALU_DEP_2)
	s_or_b32 exec_lo, exec_lo, s23
	v_dual_lshrrev_b32 v54, 16, v80 :: v_dual_mov_b32 v12, 0
	v_mov_b32_e32 v18, 0
	s_mov_b32 s23, exec_lo
	v_and_b32_e32 v19, 0xff, v54
	s_delay_alu instid0(VALU_DEP_1)
	v_cmpx_ne_u16_e32 0, v19
	s_cbranch_execz .LBB302_3628
; %bb.3621:                             ;   in Loop: Header=BB302_2086 Depth=1
	v_mov_b32_e32 v18, 0x8000
	s_mov_b32 s24, exec_lo
	v_cmpx_ne_u16_e32 0x80, v19
	s_cbranch_execz .LBB302_3627
; %bb.3622:                             ;   in Loop: Header=BB302_2086 Depth=1
	v_bfe_u32 v71, v80, 16, 7
	v_mov_b32_e32 v18, 0x7c01
	s_mov_b32 s25, exec_lo
	s_delay_alu instid0(VALU_DEP_2)
	v_cmpx_ne_u32_e32 0x7f, v71
	s_cbranch_execz .LBB302_3626
; %bb.3623:                             ;   in Loop: Header=BB302_2086 Depth=1
	v_dual_lshrrev_b32 v19, 3, v71 :: v_dual_bitop2_b32 v18, 7, v54 bitop3:0x40
	s_mov_b32 s26, exec_lo
	v_cmpx_gt_u32_e32 8, v71
; %bb.3624:                             ;   in Loop: Header=BB302_2086 Depth=1
	s_delay_alu instid0(VALU_DEP_2) | instskip(NEXT) | instid1(VALU_DEP_1)
	v_clz_i32_u32_e32 v6, v18
	v_min_u32_e32 v18, 32, v6
	s_delay_alu instid0(VALU_DEP_1) | instskip(SKIP_1) | instid1(VALU_DEP_2)
	v_subrev_nc_u32_e32 v6, 28, v18
	v_sub_nc_u32_e32 v19, 29, v18
	v_lshlrev_b64_e32 v[6:7], v6, v[54:55]
	s_delay_alu instid0(VALU_DEP_1)
	v_and_b32_e32 v18, 7, v6
; %bb.3625:                             ;   in Loop: Header=BB302_2086 Depth=1
	s_or_b32 exec_lo, exec_lo, s26
	v_lshlrev_b32_e32 v6, 8, v54
	v_lshl_add_u32 v7, v19, 10, 0x2000
	s_delay_alu instid0(VALU_DEP_3) | instskip(NEXT) | instid1(VALU_DEP_3)
	v_lshlrev_b32_e32 v18, 7, v18
	v_and_b32_e32 v6, 0x8000, v6
	s_delay_alu instid0(VALU_DEP_3) | instskip(NEXT) | instid1(VALU_DEP_1)
	v_and_b32_e32 v7, 0xfc00, v7
	v_or3_b32 v18, v6, v7, v18
.LBB302_3626:                           ;   in Loop: Header=BB302_2086 Depth=1
	s_or_b32 exec_lo, exec_lo, s25
.LBB302_3627:                           ;   in Loop: Header=BB302_2086 Depth=1
	s_delay_alu instid0(SALU_CYCLE_1)
	s_or_b32 exec_lo, exec_lo, s24
.LBB302_3628:                           ;   in Loop: Header=BB302_2086 Depth=1
	s_delay_alu instid0(SALU_CYCLE_1) | instskip(NEXT) | instid1(SALU_CYCLE_1)
	s_or_b32 exec_lo, exec_lo, s23
	s_mov_b32 s23, exec_lo
	v_cmpx_lt_u32_e32 0xffffff, v80
	s_cbranch_execz .LBB302_3636
; %bb.3629:                             ;   in Loop: Header=BB302_2086 Depth=1
	v_lshrrev_b32_e32 v54, 24, v80
	v_bfrev_b32_e32 v12, 1
	s_mov_b32 s24, exec_lo
	s_delay_alu instid0(VALU_DEP_2)
	v_cmpx_ne_u32_e32 0x80, v54
	s_cbranch_execz .LBB302_3635
; %bb.3630:                             ;   in Loop: Header=BB302_2086 Depth=1
	v_and_b32_e32 v71, 0x7f, v54
	v_mov_b32_e32 v12, 0x7c010000
	s_mov_b32 s25, exec_lo
	s_delay_alu instid0(VALU_DEP_2)
	v_cmpx_ne_u32_e32 0x7f, v71
	s_cbranch_execz .LBB302_3634
; %bb.3631:                             ;   in Loop: Header=BB302_2086 Depth=1
	v_dual_lshrrev_b32 v19, 3, v71 :: v_dual_bitop2_b32 v12, 7, v54 bitop3:0x40
	s_mov_b32 s26, exec_lo
	v_cmpx_gt_u32_e32 8, v71
; %bb.3632:                             ;   in Loop: Header=BB302_2086 Depth=1
	s_delay_alu instid0(VALU_DEP_2) | instskip(NEXT) | instid1(VALU_DEP_1)
	v_clz_i32_u32_e32 v6, v12
	v_min_u32_e32 v12, 32, v6
	s_delay_alu instid0(VALU_DEP_1) | instskip(NEXT) | instid1(VALU_DEP_1)
	v_subrev_nc_u32_e32 v6, 28, v12
	v_lshlrev_b64_e32 v[6:7], v6, v[54:55]
	s_delay_alu instid0(VALU_DEP_1)
	v_dual_sub_nc_u32 v19, 29, v12 :: v_dual_bitop2_b32 v12, 7, v6 bitop3:0x40
; %bb.3633:                             ;   in Loop: Header=BB302_2086 Depth=1
	s_or_b32 exec_lo, exec_lo, s26
	v_lshlrev_b32_e32 v6, 8, v54
	s_delay_alu instid0(VALU_DEP_2) | instskip(NEXT) | instid1(VALU_DEP_1)
	v_lshl_add_u32 v7, v19, 10, 0x2000
	v_and_or_b32 v6, 0x8000, v6, v7
	v_lshlrev_b32_e32 v7, 23, v12
	s_delay_alu instid0(VALU_DEP_1)
	v_lshl_or_b32 v12, v6, 16, v7
.LBB302_3634:                           ;   in Loop: Header=BB302_2086 Depth=1
	s_or_b32 exec_lo, exec_lo, s25
.LBB302_3635:                           ;   in Loop: Header=BB302_2086 Depth=1
	s_delay_alu instid0(SALU_CYCLE_1)
	s_or_b32 exec_lo, exec_lo, s24
.LBB302_3636:                           ;   in Loop: Header=BB302_2086 Depth=1
	s_delay_alu instid0(SALU_CYCLE_1) | instskip(SKIP_4) | instid1(VALU_DEP_3)
	s_or_b32 exec_lo, exec_lo, s23
	v_and_b32_e32 v82, 0xff, v81
	v_dual_mov_b32 v54, v81 :: v_dual_mov_b32 v71, 0
	v_mov_b32_e32 v19, 0
	s_mov_b32 s23, exec_lo
	v_cmpx_ne_u16_e32 0, v82
	s_cbranch_execz .LBB302_3644
; %bb.3637:                             ;   in Loop: Header=BB302_2086 Depth=1
	v_mov_b32_e32 v19, 0x8000
	s_mov_b32 s24, exec_lo
	v_cmpx_ne_u16_e32 0x80, v82
	s_cbranch_execz .LBB302_3643
; %bb.3638:                             ;   in Loop: Header=BB302_2086 Depth=1
	v_and_b32_e32 v83, 0x7f, v81
	v_mov_b32_e32 v19, 0x7c01
	s_mov_b32 s25, exec_lo
	s_delay_alu instid0(VALU_DEP_2)
	v_cmpx_ne_u32_e32 0x7f, v83
	s_cbranch_execz .LBB302_3642
; %bb.3639:                             ;   in Loop: Header=BB302_2086 Depth=1
	v_dual_lshrrev_b32 v82, 3, v83 :: v_dual_bitop2_b32 v19, 7, v81 bitop3:0x40
	s_mov_b32 s26, exec_lo
	v_cmpx_gt_u32_e32 8, v83
; %bb.3640:                             ;   in Loop: Header=BB302_2086 Depth=1
	s_delay_alu instid0(VALU_DEP_2) | instskip(NEXT) | instid1(VALU_DEP_1)
	v_clz_i32_u32_e32 v6, v19
	v_min_u32_e32 v19, 32, v6
	s_delay_alu instid0(VALU_DEP_1) | instskip(NEXT) | instid1(VALU_DEP_1)
	v_subrev_nc_u32_e32 v6, 28, v19
	v_lshlrev_b64_e32 v[6:7], v6, v[54:55]
	s_delay_alu instid0(VALU_DEP_1)
	v_dual_sub_nc_u32 v82, 29, v19 :: v_dual_bitop2_b32 v19, 7, v6 bitop3:0x40
; %bb.3641:                             ;   in Loop: Header=BB302_2086 Depth=1
	s_or_b32 exec_lo, exec_lo, s26
	s_delay_alu instid0(VALU_DEP_1) | instskip(NEXT) | instid1(VALU_DEP_2)
	v_dual_lshlrev_b32 v6, 8, v81 :: v_dual_lshlrev_b32 v19, 7, v19
	v_lshl_add_u32 v7, v82, 10, 0x2000
	s_delay_alu instid0(VALU_DEP_2) | instskip(NEXT) | instid1(VALU_DEP_2)
	v_and_b32_e32 v6, 0x8000, v6
	v_and_b32_e32 v7, 0xfc00, v7
	s_delay_alu instid0(VALU_DEP_1)
	v_or3_b32 v19, v6, v7, v19
.LBB302_3642:                           ;   in Loop: Header=BB302_2086 Depth=1
	s_or_b32 exec_lo, exec_lo, s25
.LBB302_3643:                           ;   in Loop: Header=BB302_2086 Depth=1
	s_delay_alu instid0(SALU_CYCLE_1)
	s_or_b32 exec_lo, exec_lo, s24
.LBB302_3644:                           ;   in Loop: Header=BB302_2086 Depth=1
	s_delay_alu instid0(SALU_CYCLE_1) | instskip(SKIP_3) | instid1(VALU_DEP_2)
	s_or_b32 exec_lo, exec_lo, s23
	v_lshrrev_b16 v54, 8, v54
	v_mov_b32_e32 v82, 0
	s_mov_b32 s23, exec_lo
	v_cmpx_ne_u16_e32 0, v54
	s_cbranch_execz .LBB302_3652
; %bb.3645:                             ;   in Loop: Header=BB302_2086 Depth=1
	v_bfrev_b32_e32 v82, 1
	s_mov_b32 s24, exec_lo
	v_cmpx_ne_u16_e32 0x80, v54
	s_cbranch_execz .LBB302_3651
; %bb.3646:                             ;   in Loop: Header=BB302_2086 Depth=1
	v_and_b32_e32 v83, 0xffff, v54
	v_mov_b32_e32 v82, 0x7c010000
	s_mov_b32 s25, exec_lo
	s_delay_alu instid0(VALU_DEP_2) | instskip(NEXT) | instid1(VALU_DEP_1)
	v_and_b32_e32 v85, 0x7f, v83
	v_cmpx_ne_u32_e32 0x7f, v85
	s_cbranch_execz .LBB302_3650
; %bb.3647:                             ;   in Loop: Header=BB302_2086 Depth=1
	v_dual_lshrrev_b32 v84, 3, v85 :: v_dual_bitop2_b32 v82, 7, v83 bitop3:0x40
	s_mov_b32 s26, exec_lo
	v_cmpx_gt_u32_e32 8, v85
; %bb.3648:                             ;   in Loop: Header=BB302_2086 Depth=1
	s_delay_alu instid0(VALU_DEP_2) | instskip(NEXT) | instid1(VALU_DEP_1)
	v_clz_i32_u32_e32 v6, v82
	v_min_u32_e32 v64, 32, v6
	s_delay_alu instid0(VALU_DEP_1) | instskip(NEXT) | instid1(VALU_DEP_1)
	v_subrev_nc_u32_e32 v6, 28, v64
	v_lshlrev_b64_e32 v[6:7], v6, v[54:55]
	s_delay_alu instid0(VALU_DEP_1)
	v_dual_sub_nc_u32 v84, 29, v64 :: v_dual_bitop2_b32 v82, 7, v6 bitop3:0x40
; %bb.3649:                             ;   in Loop: Header=BB302_2086 Depth=1
	s_or_b32 exec_lo, exec_lo, s26
	v_lshlrev_b32_e32 v6, 8, v83
	s_delay_alu instid0(VALU_DEP_2) | instskip(NEXT) | instid1(VALU_DEP_1)
	v_lshl_add_u32 v7, v84, 10, 0x2000
	v_and_or_b32 v6, 0x8000, v6, v7
	v_lshlrev_b32_e32 v7, 23, v82
	s_delay_alu instid0(VALU_DEP_1)
	v_lshl_or_b32 v82, v6, 16, v7
.LBB302_3650:                           ;   in Loop: Header=BB302_2086 Depth=1
	s_or_b32 exec_lo, exec_lo, s25
.LBB302_3651:                           ;   in Loop: Header=BB302_2086 Depth=1
	s_delay_alu instid0(SALU_CYCLE_1)
	s_or_b32 exec_lo, exec_lo, s24
.LBB302_3652:                           ;   in Loop: Header=BB302_2086 Depth=1
	s_delay_alu instid0(SALU_CYCLE_1) | instskip(SKIP_2) | instid1(VALU_DEP_1)
	s_or_b32 exec_lo, exec_lo, s23
	v_lshrrev_b32_e32 v54, 16, v81
	s_mov_b32 s23, exec_lo
	v_and_b32_e32 v83, 0xff, v54
	s_delay_alu instid0(VALU_DEP_1)
	v_cmpx_ne_u16_e32 0, v83
	s_cbranch_execz .LBB302_3660
; %bb.3653:                             ;   in Loop: Header=BB302_2086 Depth=1
	v_mov_b32_e32 v71, 0x8000
	s_mov_b32 s24, exec_lo
	v_cmpx_ne_u16_e32 0x80, v83
	s_cbranch_execz .LBB302_3659
; %bb.3654:                             ;   in Loop: Header=BB302_2086 Depth=1
	v_bfe_u32 v84, v81, 16, 7
	v_mov_b32_e32 v71, 0x7c01
	s_mov_b32 s25, exec_lo
	s_delay_alu instid0(VALU_DEP_2)
	v_cmpx_ne_u32_e32 0x7f, v84
	s_cbranch_execz .LBB302_3658
; %bb.3655:                             ;   in Loop: Header=BB302_2086 Depth=1
	v_dual_lshrrev_b32 v83, 3, v84 :: v_dual_bitop2_b32 v71, 7, v54 bitop3:0x40
	s_mov_b32 s26, exec_lo
	v_cmpx_gt_u32_e32 8, v84
; %bb.3656:                             ;   in Loop: Header=BB302_2086 Depth=1
	s_delay_alu instid0(VALU_DEP_2) | instskip(NEXT) | instid1(VALU_DEP_1)
	v_clz_i32_u32_e32 v6, v71
	v_min_u32_e32 v64, 32, v6
	s_delay_alu instid0(VALU_DEP_1) | instskip(NEXT) | instid1(VALU_DEP_1)
	v_subrev_nc_u32_e32 v6, 28, v64
	v_lshlrev_b64_e32 v[6:7], v6, v[54:55]
	s_delay_alu instid0(VALU_DEP_1)
	v_dual_sub_nc_u32 v83, 29, v64 :: v_dual_bitop2_b32 v71, 7, v6 bitop3:0x40
; %bb.3657:                             ;   in Loop: Header=BB302_2086 Depth=1
	s_or_b32 exec_lo, exec_lo, s26
	s_delay_alu instid0(VALU_DEP_1) | instskip(NEXT) | instid1(VALU_DEP_2)
	v_dual_lshlrev_b32 v6, 8, v54 :: v_dual_lshlrev_b32 v54, 7, v71
	v_lshl_add_u32 v7, v83, 10, 0x2000
	s_delay_alu instid0(VALU_DEP_2) | instskip(NEXT) | instid1(VALU_DEP_2)
	v_and_b32_e32 v6, 0x8000, v6
	v_and_b32_e32 v7, 0xfc00, v7
	s_delay_alu instid0(VALU_DEP_1)
	v_or3_b32 v71, v6, v7, v54
.LBB302_3658:                           ;   in Loop: Header=BB302_2086 Depth=1
	s_or_b32 exec_lo, exec_lo, s25
.LBB302_3659:                           ;   in Loop: Header=BB302_2086 Depth=1
	s_delay_alu instid0(SALU_CYCLE_1)
	s_or_b32 exec_lo, exec_lo, s24
.LBB302_3660:                           ;   in Loop: Header=BB302_2086 Depth=1
	s_delay_alu instid0(SALU_CYCLE_1)
	s_or_b32 exec_lo, exec_lo, s23
	v_cmp_lt_u64_e64 s8, s[16:17], v[80:81]
	v_mov_b32_e32 v80, 0
	s_and_saveexec_b32 s23, s8
	s_cbranch_execz .LBB302_3668
; %bb.3661:                             ;   in Loop: Header=BB302_2086 Depth=1
	v_lshrrev_b32_e32 v54, 24, v81
	v_bfrev_b32_e32 v80, 1
	s_mov_b32 s24, exec_lo
	s_delay_alu instid0(VALU_DEP_2)
	v_cmpx_ne_u32_e32 0x80, v54
	s_cbranch_execz .LBB302_3667
; %bb.3662:                             ;   in Loop: Header=BB302_2086 Depth=1
	v_and_b32_e32 v83, 0x7f, v54
	v_mov_b32_e32 v80, 0x7c010000
	s_mov_b32 s25, exec_lo
	s_delay_alu instid0(VALU_DEP_2)
	v_cmpx_ne_u32_e32 0x7f, v83
	s_cbranch_execz .LBB302_3666
; %bb.3663:                             ;   in Loop: Header=BB302_2086 Depth=1
	v_dual_lshrrev_b32 v81, 3, v83 :: v_dual_bitop2_b32 v80, 7, v54 bitop3:0x40
	s_mov_b32 s26, exec_lo
	v_cmpx_gt_u32_e32 8, v83
; %bb.3664:                             ;   in Loop: Header=BB302_2086 Depth=1
	s_delay_alu instid0(VALU_DEP_2) | instskip(NEXT) | instid1(VALU_DEP_1)
	v_clz_i32_u32_e32 v6, v80
	v_min_u32_e32 v64, 32, v6
	s_delay_alu instid0(VALU_DEP_1) | instskip(NEXT) | instid1(VALU_DEP_1)
	v_subrev_nc_u32_e32 v6, 28, v64
	v_lshlrev_b64_e32 v[6:7], v6, v[54:55]
	s_delay_alu instid0(VALU_DEP_1)
	v_dual_sub_nc_u32 v81, 29, v64 :: v_dual_bitop2_b32 v80, 7, v6 bitop3:0x40
; %bb.3665:                             ;   in Loop: Header=BB302_2086 Depth=1
	s_or_b32 exec_lo, exec_lo, s26
	v_lshlrev_b32_e32 v6, 8, v54
	s_delay_alu instid0(VALU_DEP_2) | instskip(NEXT) | instid1(VALU_DEP_1)
	v_lshl_add_u32 v7, v81, 10, 0x2000
	v_and_or_b32 v6, 0x8000, v6, v7
	v_lshlrev_b32_e32 v7, 23, v80
	s_delay_alu instid0(VALU_DEP_1)
	v_lshl_or_b32 v80, v6, 16, v7
.LBB302_3666:                           ;   in Loop: Header=BB302_2086 Depth=1
	s_or_b32 exec_lo, exec_lo, s25
.LBB302_3667:                           ;   in Loop: Header=BB302_2086 Depth=1
	s_delay_alu instid0(SALU_CYCLE_1)
	s_or_b32 exec_lo, exec_lo, s24
.LBB302_3668:                           ;   in Loop: Header=BB302_2086 Depth=1
	s_delay_alu instid0(SALU_CYCLE_1) | instskip(SKIP_3) | instid1(VALU_DEP_3)
	s_or_b32 exec_lo, exec_lo, s23
	v_dual_lshrrev_b32 v6, 16, v0 :: v_dual_bitop2_b32 v54, v0, v1 bitop3:0x54
	v_dual_lshrrev_b32 v7, 16, v12 :: v_dual_bitop2_b32 v12, v12, v18 bitop3:0x54
	v_dual_lshrrev_b32 v18, 16, v82 :: v_dual_bitop2_b32 v64, v80, v71 bitop3:0x54
	v_cvt_f32_f16_e32 v1, v6
	s_delay_alu instid0(VALU_DEP_3)
	v_cvt_f32_f16_e32 v0, v7
	v_lshrrev_b32_e32 v65, 16, v80
	v_cvt_f32_f16_e32 v6, v12
	v_or_b32_e32 v12, v82, v19
	v_cvt_f32_f16_e32 v7, v54
	s_wait_loadcnt_dscnt 0x0
	v_pk_mul_f32 v[0:1], v[70:71], v[0:1] op_sel_hi:[0,1]
	v_cvt_f32_f16_e32 v19, v18
	v_cvt_f32_f16_e32 v18, v65
	;; [unrolled: 1-line block ×4, first 2 shown]
	v_pk_mul_f32 v[6:7], v[70:71], v[6:7] op_sel_hi:[0,1]
	v_cvt_pk_f16_f32 v12, v0, v1
	v_pk_mul_f32 v[0:1], v[70:71], v[18:19] op_sel_hi:[0,1]
	s_delay_alu instid0(VALU_DEP_4) | instskip(NEXT) | instid1(VALU_DEP_4)
	v_pk_mul_f32 v[18:19], v[70:71], v[64:65] op_sel_hi:[0,1]
	v_cvt_pk_f16_f32 v6, v6, v7
	s_delay_alu instid0(VALU_DEP_4) | instskip(NEXT) | instid1(VALU_DEP_4)
	v_and_b32_e32 v71, 0xffff0000, v12
	v_cvt_pk_f16_f32 v0, v0, v1
	v_lshlrev_b32_e32 v82, 16, v12
	v_cvt_pk_f16_f32 v1, v18, v19
	v_lshrrev_b32_e32 v87, 16, v6
	v_and_b32_e32 v86, 0xffff, v6
	v_and_b32_e32 v19, 0xffff0000, v0
	s_delay_alu instid0(VALU_DEP_4) | instskip(SKIP_3) | instid1(VALU_DEP_4)
	v_dual_lshlrev_b32 v54, 16, v0 :: v_dual_lshrrev_b32 v85, 16, v1
	v_and_b32_e32 v84, 0xffff, v1
	v_or_b32_e32 v83, v71, v87
	v_or_b32_e32 v80, v82, v86
	;; [unrolled: 1-line block ×3, first 2 shown]
	s_delay_alu instid0(VALU_DEP_4)
	v_or_b32_e32 v70, v54, v84
	s_and_saveexec_b32 s8, s3
	s_cbranch_execz .LBB302_3670
; %bb.3669:                             ;   in Loop: Header=BB302_2086 Depth=1
	v_dual_cndmask_b32 v0, 0, v87, vcc_lo :: v_dual_cndmask_b32 v1, 0, v86, s0
	v_dual_cndmask_b32 v6, 0, v71, s1 :: v_dual_cndmask_b32 v7, 0, v82, s2
	v_dual_cndmask_b32 v12, 0, v85, s4 :: v_dual_cndmask_b32 v18, 0, v84, s5
	;; [unrolled: 1-line block ×3, first 2 shown]
	s_delay_alu instid0(VALU_DEP_3) | instskip(NEXT) | instid1(VALU_DEP_4)
	v_or_b32_e32 v83, v0, v6
	v_or_b32_e32 v80, v1, v7
	s_delay_alu instid0(VALU_DEP_3) | instskip(NEXT) | instid1(VALU_DEP_4)
	v_or_b32_e32 v81, v12, v19
	v_or_b32_e32 v70, v18, v54
.LBB302_3670:                           ;   in Loop: Header=BB302_2086 Depth=1
	s_or_b32 exec_lo, exec_lo, s8
	;;#ASMSTART
	v_pk_mul_f16 v0, v112, v83;

	;;#ASMEND
	;;#ASMSTART
	v_pk_mul_f16 v1, v103, v80;

	;;#ASMEND
	;;#ASMSTART
	v_pk_mul_f16 v6, v102, v81;

	;;#ASMEND
	;;#ASMSTART
	v_pk_mul_f16 v7, v101, v70;

	;;#ASMEND
	;;#ASMSTART
	v_pk_add_f16 v0, v0, v1;

	;;#ASMEND
	;;#ASMSTART
	v_pk_add_f16 v0, v0, v6;

	;;#ASMEND
	;; [unrolled: 4-line block ×3, first 2 shown]
	v_and_b32_e32 v1, 0xffff, v0
	v_lshrrev_b32_e32 v0, 16, v0
	;;#ASMSTART
	v_cvt_f32_f16 v111, v1;
	;;#ASMEND
	v_mov_b32_e32 v1, 0
	;;#ASMSTART
	v_cvt_f32_f16 v120, v0;
	;;#ASMEND
	flat_load_b64 v[80:81], v[68:69] offset:6144
	flat_load_b32 v70, v[22:23]
	v_mov_b32_e32 v0, 0
	s_mov_b32 s23, exec_lo
	s_wait_loadcnt_dscnt 0x101
	v_and_b32_e32 v12, 0xff, v80
	s_wait_xcnt 0x0
	s_delay_alu instid0(VALU_DEP_1)
	v_cmpx_ne_u16_e32 0, v12
	s_cbranch_execz .LBB302_3678
; %bb.3671:                             ;   in Loop: Header=BB302_2086 Depth=1
	v_mov_b32_e32 v1, 0x8000
	s_mov_b32 s24, exec_lo
	v_cmpx_ne_u16_e32 0x80, v12
	s_cbranch_execz .LBB302_3677
; %bb.3672:                             ;   in Loop: Header=BB302_2086 Depth=1
	v_and_b32_e32 v18, 0x7f, v80
	v_mov_b32_e32 v1, 0x7c01
	s_mov_b32 s25, exec_lo
	s_delay_alu instid0(VALU_DEP_2)
	v_cmpx_ne_u32_e32 0x7f, v18
	s_cbranch_execz .LBB302_3676
; %bb.3673:                             ;   in Loop: Header=BB302_2086 Depth=1
	v_dual_lshrrev_b32 v12, 3, v18 :: v_dual_bitop2_b32 v1, 7, v80 bitop3:0x40
	s_mov_b32 s26, exec_lo
	v_cmpx_gt_u32_e32 8, v18
; %bb.3674:                             ;   in Loop: Header=BB302_2086 Depth=1
	s_delay_alu instid0(VALU_DEP_2) | instskip(NEXT) | instid1(VALU_DEP_1)
	v_clz_i32_u32_e32 v1, v1
	v_min_u32_e32 v1, 32, v1
	s_delay_alu instid0(VALU_DEP_1) | instskip(NEXT) | instid1(VALU_DEP_1)
	v_subrev_nc_u32_e32 v6, 28, v1
	v_lshlrev_b64_e32 v[6:7], v6, v[80:81]
	s_delay_alu instid0(VALU_DEP_1)
	v_dual_sub_nc_u32 v12, 29, v1 :: v_dual_bitop2_b32 v1, 7, v6 bitop3:0x40
; %bb.3675:                             ;   in Loop: Header=BB302_2086 Depth=1
	s_or_b32 exec_lo, exec_lo, s26
	s_delay_alu instid0(VALU_DEP_1) | instskip(NEXT) | instid1(VALU_DEP_2)
	v_dual_lshlrev_b32 v6, 8, v80 :: v_dual_lshlrev_b32 v1, 7, v1
	v_lshl_add_u32 v7, v12, 10, 0x2000
	s_delay_alu instid0(VALU_DEP_2) | instskip(NEXT) | instid1(VALU_DEP_2)
	v_and_b32_e32 v6, 0x8000, v6
	v_and_b32_e32 v7, 0xfc00, v7
	s_delay_alu instid0(VALU_DEP_1)
	v_or3_b32 v1, v6, v7, v1
.LBB302_3676:                           ;   in Loop: Header=BB302_2086 Depth=1
	s_or_b32 exec_lo, exec_lo, s25
.LBB302_3677:                           ;   in Loop: Header=BB302_2086 Depth=1
	s_delay_alu instid0(SALU_CYCLE_1)
	s_or_b32 exec_lo, exec_lo, s24
.LBB302_3678:                           ;   in Loop: Header=BB302_2086 Depth=1
	s_delay_alu instid0(SALU_CYCLE_1) | instskip(SKIP_2) | instid1(VALU_DEP_1)
	s_or_b32 exec_lo, exec_lo, s23
	v_lshrrev_b16 v54, 8, v80
	s_mov_b32 s23, exec_lo
	v_cmpx_ne_u16_e32 0, v54
	s_cbranch_execz .LBB302_3686
; %bb.3679:                             ;   in Loop: Header=BB302_2086 Depth=1
	v_bfrev_b32_e32 v0, 1
	s_mov_b32 s24, exec_lo
	v_cmpx_ne_u16_e32 0x80, v54
	s_cbranch_execz .LBB302_3685
; %bb.3680:                             ;   in Loop: Header=BB302_2086 Depth=1
	v_and_b32_e32 v12, 0xffff, v54
	v_mov_b32_e32 v0, 0x7c010000
	s_mov_b32 s25, exec_lo
	s_delay_alu instid0(VALU_DEP_2) | instskip(NEXT) | instid1(VALU_DEP_1)
	v_and_b32_e32 v19, 0x7f, v12
	v_cmpx_ne_u32_e32 0x7f, v19
	s_cbranch_execz .LBB302_3684
; %bb.3681:                             ;   in Loop: Header=BB302_2086 Depth=1
	v_dual_lshrrev_b32 v18, 3, v19 :: v_dual_bitop2_b32 v0, 7, v12 bitop3:0x40
	s_mov_b32 s26, exec_lo
	v_cmpx_gt_u32_e32 8, v19
; %bb.3682:                             ;   in Loop: Header=BB302_2086 Depth=1
	s_delay_alu instid0(VALU_DEP_2) | instskip(NEXT) | instid1(VALU_DEP_1)
	v_clz_i32_u32_e32 v0, v0
	v_min_u32_e32 v0, 32, v0
	s_delay_alu instid0(VALU_DEP_1) | instskip(NEXT) | instid1(VALU_DEP_1)
	v_subrev_nc_u32_e32 v6, 28, v0
	v_lshlrev_b64_e32 v[6:7], v6, v[54:55]
	s_delay_alu instid0(VALU_DEP_1)
	v_dual_sub_nc_u32 v18, 29, v0 :: v_dual_bitop2_b32 v0, 7, v6 bitop3:0x40
; %bb.3683:                             ;   in Loop: Header=BB302_2086 Depth=1
	s_or_b32 exec_lo, exec_lo, s26
	v_lshlrev_b32_e32 v6, 8, v12
	s_delay_alu instid0(VALU_DEP_2) | instskip(NEXT) | instid1(VALU_DEP_3)
	v_lshl_add_u32 v7, v18, 10, 0x2000
	v_lshlrev_b32_e32 v0, 23, v0
	s_delay_alu instid0(VALU_DEP_2) | instskip(NEXT) | instid1(VALU_DEP_1)
	v_and_or_b32 v6, 0x8000, v6, v7
	v_lshl_or_b32 v0, v6, 16, v0
.LBB302_3684:                           ;   in Loop: Header=BB302_2086 Depth=1
	s_or_b32 exec_lo, exec_lo, s25
.LBB302_3685:                           ;   in Loop: Header=BB302_2086 Depth=1
	s_delay_alu instid0(SALU_CYCLE_1)
	s_or_b32 exec_lo, exec_lo, s24
.LBB302_3686:                           ;   in Loop: Header=BB302_2086 Depth=1
	s_delay_alu instid0(SALU_CYCLE_1) | instskip(SKIP_3) | instid1(VALU_DEP_2)
	s_or_b32 exec_lo, exec_lo, s23
	v_dual_lshrrev_b32 v54, 16, v80 :: v_dual_mov_b32 v12, 0
	v_mov_b32_e32 v18, 0
	s_mov_b32 s23, exec_lo
	v_and_b32_e32 v19, 0xff, v54
	s_delay_alu instid0(VALU_DEP_1)
	v_cmpx_ne_u16_e32 0, v19
	s_cbranch_execz .LBB302_3694
; %bb.3687:                             ;   in Loop: Header=BB302_2086 Depth=1
	v_mov_b32_e32 v18, 0x8000
	s_mov_b32 s24, exec_lo
	v_cmpx_ne_u16_e32 0x80, v19
	s_cbranch_execz .LBB302_3693
; %bb.3688:                             ;   in Loop: Header=BB302_2086 Depth=1
	v_bfe_u32 v71, v80, 16, 7
	v_mov_b32_e32 v18, 0x7c01
	s_mov_b32 s25, exec_lo
	s_delay_alu instid0(VALU_DEP_2)
	v_cmpx_ne_u32_e32 0x7f, v71
	s_cbranch_execz .LBB302_3692
; %bb.3689:                             ;   in Loop: Header=BB302_2086 Depth=1
	v_dual_lshrrev_b32 v19, 3, v71 :: v_dual_bitop2_b32 v18, 7, v54 bitop3:0x40
	s_mov_b32 s26, exec_lo
	v_cmpx_gt_u32_e32 8, v71
; %bb.3690:                             ;   in Loop: Header=BB302_2086 Depth=1
	s_delay_alu instid0(VALU_DEP_2) | instskip(NEXT) | instid1(VALU_DEP_1)
	v_clz_i32_u32_e32 v6, v18
	v_min_u32_e32 v18, 32, v6
	s_delay_alu instid0(VALU_DEP_1) | instskip(SKIP_1) | instid1(VALU_DEP_2)
	v_subrev_nc_u32_e32 v6, 28, v18
	v_sub_nc_u32_e32 v19, 29, v18
	v_lshlrev_b64_e32 v[6:7], v6, v[54:55]
	s_delay_alu instid0(VALU_DEP_1)
	v_and_b32_e32 v18, 7, v6
; %bb.3691:                             ;   in Loop: Header=BB302_2086 Depth=1
	s_or_b32 exec_lo, exec_lo, s26
	v_lshlrev_b32_e32 v6, 8, v54
	v_lshl_add_u32 v7, v19, 10, 0x2000
	s_delay_alu instid0(VALU_DEP_3) | instskip(NEXT) | instid1(VALU_DEP_3)
	v_lshlrev_b32_e32 v18, 7, v18
	v_and_b32_e32 v6, 0x8000, v6
	s_delay_alu instid0(VALU_DEP_3) | instskip(NEXT) | instid1(VALU_DEP_1)
	v_and_b32_e32 v7, 0xfc00, v7
	v_or3_b32 v18, v6, v7, v18
.LBB302_3692:                           ;   in Loop: Header=BB302_2086 Depth=1
	s_or_b32 exec_lo, exec_lo, s25
.LBB302_3693:                           ;   in Loop: Header=BB302_2086 Depth=1
	s_delay_alu instid0(SALU_CYCLE_1)
	s_or_b32 exec_lo, exec_lo, s24
.LBB302_3694:                           ;   in Loop: Header=BB302_2086 Depth=1
	s_delay_alu instid0(SALU_CYCLE_1) | instskip(NEXT) | instid1(SALU_CYCLE_1)
	s_or_b32 exec_lo, exec_lo, s23
	s_mov_b32 s23, exec_lo
	v_cmpx_lt_u32_e32 0xffffff, v80
	s_cbranch_execz .LBB302_3702
; %bb.3695:                             ;   in Loop: Header=BB302_2086 Depth=1
	v_lshrrev_b32_e32 v54, 24, v80
	v_bfrev_b32_e32 v12, 1
	s_mov_b32 s24, exec_lo
	s_delay_alu instid0(VALU_DEP_2)
	v_cmpx_ne_u32_e32 0x80, v54
	s_cbranch_execz .LBB302_3701
; %bb.3696:                             ;   in Loop: Header=BB302_2086 Depth=1
	v_and_b32_e32 v71, 0x7f, v54
	v_mov_b32_e32 v12, 0x7c010000
	s_mov_b32 s25, exec_lo
	s_delay_alu instid0(VALU_DEP_2)
	v_cmpx_ne_u32_e32 0x7f, v71
	s_cbranch_execz .LBB302_3700
; %bb.3697:                             ;   in Loop: Header=BB302_2086 Depth=1
	v_dual_lshrrev_b32 v19, 3, v71 :: v_dual_bitop2_b32 v12, 7, v54 bitop3:0x40
	s_mov_b32 s26, exec_lo
	v_cmpx_gt_u32_e32 8, v71
; %bb.3698:                             ;   in Loop: Header=BB302_2086 Depth=1
	s_delay_alu instid0(VALU_DEP_2) | instskip(NEXT) | instid1(VALU_DEP_1)
	v_clz_i32_u32_e32 v6, v12
	v_min_u32_e32 v12, 32, v6
	s_delay_alu instid0(VALU_DEP_1) | instskip(NEXT) | instid1(VALU_DEP_1)
	v_subrev_nc_u32_e32 v6, 28, v12
	v_lshlrev_b64_e32 v[6:7], v6, v[54:55]
	s_delay_alu instid0(VALU_DEP_1)
	v_dual_sub_nc_u32 v19, 29, v12 :: v_dual_bitop2_b32 v12, 7, v6 bitop3:0x40
; %bb.3699:                             ;   in Loop: Header=BB302_2086 Depth=1
	s_or_b32 exec_lo, exec_lo, s26
	v_lshlrev_b32_e32 v6, 8, v54
	s_delay_alu instid0(VALU_DEP_2) | instskip(NEXT) | instid1(VALU_DEP_1)
	v_lshl_add_u32 v7, v19, 10, 0x2000
	v_and_or_b32 v6, 0x8000, v6, v7
	v_lshlrev_b32_e32 v7, 23, v12
	s_delay_alu instid0(VALU_DEP_1)
	v_lshl_or_b32 v12, v6, 16, v7
.LBB302_3700:                           ;   in Loop: Header=BB302_2086 Depth=1
	s_or_b32 exec_lo, exec_lo, s25
.LBB302_3701:                           ;   in Loop: Header=BB302_2086 Depth=1
	s_delay_alu instid0(SALU_CYCLE_1)
	s_or_b32 exec_lo, exec_lo, s24
.LBB302_3702:                           ;   in Loop: Header=BB302_2086 Depth=1
	s_delay_alu instid0(SALU_CYCLE_1) | instskip(SKIP_4) | instid1(VALU_DEP_3)
	s_or_b32 exec_lo, exec_lo, s23
	v_and_b32_e32 v82, 0xff, v81
	v_dual_mov_b32 v54, v81 :: v_dual_mov_b32 v71, 0
	v_mov_b32_e32 v19, 0
	s_mov_b32 s23, exec_lo
	v_cmpx_ne_u16_e32 0, v82
	s_cbranch_execz .LBB302_3710
; %bb.3703:                             ;   in Loop: Header=BB302_2086 Depth=1
	v_mov_b32_e32 v19, 0x8000
	s_mov_b32 s24, exec_lo
	v_cmpx_ne_u16_e32 0x80, v82
	s_cbranch_execz .LBB302_3709
; %bb.3704:                             ;   in Loop: Header=BB302_2086 Depth=1
	v_and_b32_e32 v83, 0x7f, v81
	v_mov_b32_e32 v19, 0x7c01
	s_mov_b32 s25, exec_lo
	s_delay_alu instid0(VALU_DEP_2)
	v_cmpx_ne_u32_e32 0x7f, v83
	s_cbranch_execz .LBB302_3708
; %bb.3705:                             ;   in Loop: Header=BB302_2086 Depth=1
	v_dual_lshrrev_b32 v82, 3, v83 :: v_dual_bitop2_b32 v19, 7, v81 bitop3:0x40
	s_mov_b32 s26, exec_lo
	v_cmpx_gt_u32_e32 8, v83
; %bb.3706:                             ;   in Loop: Header=BB302_2086 Depth=1
	s_delay_alu instid0(VALU_DEP_2) | instskip(NEXT) | instid1(VALU_DEP_1)
	v_clz_i32_u32_e32 v6, v19
	v_min_u32_e32 v19, 32, v6
	s_delay_alu instid0(VALU_DEP_1) | instskip(NEXT) | instid1(VALU_DEP_1)
	v_subrev_nc_u32_e32 v6, 28, v19
	v_lshlrev_b64_e32 v[6:7], v6, v[54:55]
	s_delay_alu instid0(VALU_DEP_1)
	v_dual_sub_nc_u32 v82, 29, v19 :: v_dual_bitop2_b32 v19, 7, v6 bitop3:0x40
; %bb.3707:                             ;   in Loop: Header=BB302_2086 Depth=1
	s_or_b32 exec_lo, exec_lo, s26
	s_delay_alu instid0(VALU_DEP_1) | instskip(NEXT) | instid1(VALU_DEP_2)
	v_dual_lshlrev_b32 v6, 8, v81 :: v_dual_lshlrev_b32 v19, 7, v19
	v_lshl_add_u32 v7, v82, 10, 0x2000
	s_delay_alu instid0(VALU_DEP_2) | instskip(NEXT) | instid1(VALU_DEP_2)
	v_and_b32_e32 v6, 0x8000, v6
	v_and_b32_e32 v7, 0xfc00, v7
	s_delay_alu instid0(VALU_DEP_1)
	v_or3_b32 v19, v6, v7, v19
.LBB302_3708:                           ;   in Loop: Header=BB302_2086 Depth=1
	s_or_b32 exec_lo, exec_lo, s25
.LBB302_3709:                           ;   in Loop: Header=BB302_2086 Depth=1
	s_delay_alu instid0(SALU_CYCLE_1)
	s_or_b32 exec_lo, exec_lo, s24
.LBB302_3710:                           ;   in Loop: Header=BB302_2086 Depth=1
	s_delay_alu instid0(SALU_CYCLE_1) | instskip(SKIP_3) | instid1(VALU_DEP_2)
	s_or_b32 exec_lo, exec_lo, s23
	v_lshrrev_b16 v54, 8, v54
	v_mov_b32_e32 v82, 0
	s_mov_b32 s23, exec_lo
	v_cmpx_ne_u16_e32 0, v54
	s_cbranch_execz .LBB302_3718
; %bb.3711:                             ;   in Loop: Header=BB302_2086 Depth=1
	v_bfrev_b32_e32 v82, 1
	s_mov_b32 s24, exec_lo
	v_cmpx_ne_u16_e32 0x80, v54
	s_cbranch_execz .LBB302_3717
; %bb.3712:                             ;   in Loop: Header=BB302_2086 Depth=1
	v_and_b32_e32 v83, 0xffff, v54
	v_mov_b32_e32 v82, 0x7c010000
	s_mov_b32 s25, exec_lo
	s_delay_alu instid0(VALU_DEP_2) | instskip(NEXT) | instid1(VALU_DEP_1)
	v_and_b32_e32 v85, 0x7f, v83
	v_cmpx_ne_u32_e32 0x7f, v85
	s_cbranch_execz .LBB302_3716
; %bb.3713:                             ;   in Loop: Header=BB302_2086 Depth=1
	v_dual_lshrrev_b32 v84, 3, v85 :: v_dual_bitop2_b32 v82, 7, v83 bitop3:0x40
	s_mov_b32 s26, exec_lo
	v_cmpx_gt_u32_e32 8, v85
; %bb.3714:                             ;   in Loop: Header=BB302_2086 Depth=1
	s_delay_alu instid0(VALU_DEP_2) | instskip(NEXT) | instid1(VALU_DEP_1)
	v_clz_i32_u32_e32 v6, v82
	v_min_u32_e32 v64, 32, v6
	s_delay_alu instid0(VALU_DEP_1) | instskip(NEXT) | instid1(VALU_DEP_1)
	v_subrev_nc_u32_e32 v6, 28, v64
	v_lshlrev_b64_e32 v[6:7], v6, v[54:55]
	s_delay_alu instid0(VALU_DEP_1)
	v_dual_sub_nc_u32 v84, 29, v64 :: v_dual_bitop2_b32 v82, 7, v6 bitop3:0x40
; %bb.3715:                             ;   in Loop: Header=BB302_2086 Depth=1
	s_or_b32 exec_lo, exec_lo, s26
	v_lshlrev_b32_e32 v6, 8, v83
	s_delay_alu instid0(VALU_DEP_2) | instskip(NEXT) | instid1(VALU_DEP_1)
	v_lshl_add_u32 v7, v84, 10, 0x2000
	v_and_or_b32 v6, 0x8000, v6, v7
	v_lshlrev_b32_e32 v7, 23, v82
	s_delay_alu instid0(VALU_DEP_1)
	v_lshl_or_b32 v82, v6, 16, v7
.LBB302_3716:                           ;   in Loop: Header=BB302_2086 Depth=1
	s_or_b32 exec_lo, exec_lo, s25
.LBB302_3717:                           ;   in Loop: Header=BB302_2086 Depth=1
	s_delay_alu instid0(SALU_CYCLE_1)
	s_or_b32 exec_lo, exec_lo, s24
.LBB302_3718:                           ;   in Loop: Header=BB302_2086 Depth=1
	s_delay_alu instid0(SALU_CYCLE_1) | instskip(SKIP_2) | instid1(VALU_DEP_1)
	s_or_b32 exec_lo, exec_lo, s23
	v_lshrrev_b32_e32 v54, 16, v81
	s_mov_b32 s23, exec_lo
	v_and_b32_e32 v83, 0xff, v54
	s_delay_alu instid0(VALU_DEP_1)
	v_cmpx_ne_u16_e32 0, v83
	s_cbranch_execz .LBB302_3726
; %bb.3719:                             ;   in Loop: Header=BB302_2086 Depth=1
	v_mov_b32_e32 v71, 0x8000
	s_mov_b32 s24, exec_lo
	v_cmpx_ne_u16_e32 0x80, v83
	s_cbranch_execz .LBB302_3725
; %bb.3720:                             ;   in Loop: Header=BB302_2086 Depth=1
	v_bfe_u32 v84, v81, 16, 7
	v_mov_b32_e32 v71, 0x7c01
	s_mov_b32 s25, exec_lo
	s_delay_alu instid0(VALU_DEP_2)
	v_cmpx_ne_u32_e32 0x7f, v84
	s_cbranch_execz .LBB302_3724
; %bb.3721:                             ;   in Loop: Header=BB302_2086 Depth=1
	v_dual_lshrrev_b32 v83, 3, v84 :: v_dual_bitop2_b32 v71, 7, v54 bitop3:0x40
	s_mov_b32 s26, exec_lo
	v_cmpx_gt_u32_e32 8, v84
; %bb.3722:                             ;   in Loop: Header=BB302_2086 Depth=1
	s_delay_alu instid0(VALU_DEP_2) | instskip(NEXT) | instid1(VALU_DEP_1)
	v_clz_i32_u32_e32 v6, v71
	v_min_u32_e32 v64, 32, v6
	s_delay_alu instid0(VALU_DEP_1) | instskip(NEXT) | instid1(VALU_DEP_1)
	v_subrev_nc_u32_e32 v6, 28, v64
	v_lshlrev_b64_e32 v[6:7], v6, v[54:55]
	s_delay_alu instid0(VALU_DEP_1)
	v_dual_sub_nc_u32 v83, 29, v64 :: v_dual_bitop2_b32 v71, 7, v6 bitop3:0x40
; %bb.3723:                             ;   in Loop: Header=BB302_2086 Depth=1
	s_or_b32 exec_lo, exec_lo, s26
	s_delay_alu instid0(VALU_DEP_1) | instskip(NEXT) | instid1(VALU_DEP_2)
	v_dual_lshlrev_b32 v6, 8, v54 :: v_dual_lshlrev_b32 v54, 7, v71
	v_lshl_add_u32 v7, v83, 10, 0x2000
	s_delay_alu instid0(VALU_DEP_2) | instskip(NEXT) | instid1(VALU_DEP_2)
	v_and_b32_e32 v6, 0x8000, v6
	v_and_b32_e32 v7, 0xfc00, v7
	s_delay_alu instid0(VALU_DEP_1)
	v_or3_b32 v71, v6, v7, v54
.LBB302_3724:                           ;   in Loop: Header=BB302_2086 Depth=1
	s_or_b32 exec_lo, exec_lo, s25
.LBB302_3725:                           ;   in Loop: Header=BB302_2086 Depth=1
	s_delay_alu instid0(SALU_CYCLE_1)
	s_or_b32 exec_lo, exec_lo, s24
.LBB302_3726:                           ;   in Loop: Header=BB302_2086 Depth=1
	s_delay_alu instid0(SALU_CYCLE_1)
	s_or_b32 exec_lo, exec_lo, s23
	v_cmp_lt_u64_e64 s8, s[16:17], v[80:81]
	v_mov_b32_e32 v80, 0
	s_and_saveexec_b32 s23, s8
	s_cbranch_execz .LBB302_3734
; %bb.3727:                             ;   in Loop: Header=BB302_2086 Depth=1
	v_lshrrev_b32_e32 v54, 24, v81
	v_bfrev_b32_e32 v80, 1
	s_mov_b32 s24, exec_lo
	s_delay_alu instid0(VALU_DEP_2)
	v_cmpx_ne_u32_e32 0x80, v54
	s_cbranch_execz .LBB302_3733
; %bb.3728:                             ;   in Loop: Header=BB302_2086 Depth=1
	v_and_b32_e32 v83, 0x7f, v54
	v_mov_b32_e32 v80, 0x7c010000
	s_mov_b32 s25, exec_lo
	s_delay_alu instid0(VALU_DEP_2)
	v_cmpx_ne_u32_e32 0x7f, v83
	s_cbranch_execz .LBB302_3732
; %bb.3729:                             ;   in Loop: Header=BB302_2086 Depth=1
	v_dual_lshrrev_b32 v81, 3, v83 :: v_dual_bitop2_b32 v80, 7, v54 bitop3:0x40
	s_mov_b32 s26, exec_lo
	v_cmpx_gt_u32_e32 8, v83
; %bb.3730:                             ;   in Loop: Header=BB302_2086 Depth=1
	s_delay_alu instid0(VALU_DEP_2) | instskip(NEXT) | instid1(VALU_DEP_1)
	v_clz_i32_u32_e32 v6, v80
	v_min_u32_e32 v64, 32, v6
	s_delay_alu instid0(VALU_DEP_1) | instskip(NEXT) | instid1(VALU_DEP_1)
	v_subrev_nc_u32_e32 v6, 28, v64
	v_lshlrev_b64_e32 v[6:7], v6, v[54:55]
	s_delay_alu instid0(VALU_DEP_1)
	v_dual_sub_nc_u32 v81, 29, v64 :: v_dual_bitop2_b32 v80, 7, v6 bitop3:0x40
; %bb.3731:                             ;   in Loop: Header=BB302_2086 Depth=1
	s_or_b32 exec_lo, exec_lo, s26
	v_lshlrev_b32_e32 v6, 8, v54
	s_delay_alu instid0(VALU_DEP_2) | instskip(NEXT) | instid1(VALU_DEP_1)
	v_lshl_add_u32 v7, v81, 10, 0x2000
	v_and_or_b32 v6, 0x8000, v6, v7
	v_lshlrev_b32_e32 v7, 23, v80
	s_delay_alu instid0(VALU_DEP_1)
	v_lshl_or_b32 v80, v6, 16, v7
.LBB302_3732:                           ;   in Loop: Header=BB302_2086 Depth=1
	s_or_b32 exec_lo, exec_lo, s25
.LBB302_3733:                           ;   in Loop: Header=BB302_2086 Depth=1
	s_delay_alu instid0(SALU_CYCLE_1)
	s_or_b32 exec_lo, exec_lo, s24
.LBB302_3734:                           ;   in Loop: Header=BB302_2086 Depth=1
	s_delay_alu instid0(SALU_CYCLE_1) | instskip(SKIP_3) | instid1(VALU_DEP_3)
	s_or_b32 exec_lo, exec_lo, s23
	v_dual_lshrrev_b32 v6, 16, v0 :: v_dual_bitop2_b32 v54, v0, v1 bitop3:0x54
	v_dual_lshrrev_b32 v7, 16, v12 :: v_dual_bitop2_b32 v12, v12, v18 bitop3:0x54
	;; [unrolled: 1-line block ×3, first 2 shown]
	v_cvt_f32_f16_e32 v1, v6
	s_delay_alu instid0(VALU_DEP_3)
	v_cvt_f32_f16_e32 v0, v7
	v_lshrrev_b32_e32 v65, 16, v80
	v_cvt_f32_f16_e32 v6, v12
	v_or_b32_e32 v12, v82, v19
	v_cvt_f32_f16_e32 v7, v54
	s_wait_loadcnt_dscnt 0x0
	v_pk_mul_f32 v[0:1], v[70:71], v[0:1] op_sel_hi:[0,1]
	v_cvt_f32_f16_e32 v19, v18
	v_cvt_f32_f16_e32 v18, v65
	;; [unrolled: 1-line block ×4, first 2 shown]
	v_pk_mul_f32 v[6:7], v[70:71], v[6:7] op_sel_hi:[0,1]
	v_cvt_pk_f16_f32 v12, v0, v1
	v_pk_mul_f32 v[0:1], v[70:71], v[18:19] op_sel_hi:[0,1]
	s_delay_alu instid0(VALU_DEP_4) | instskip(NEXT) | instid1(VALU_DEP_4)
	v_pk_mul_f32 v[18:19], v[70:71], v[64:65] op_sel_hi:[0,1]
	v_cvt_pk_f16_f32 v6, v6, v7
	s_delay_alu instid0(VALU_DEP_4) | instskip(NEXT) | instid1(VALU_DEP_4)
	v_and_b32_e32 v71, 0xffff0000, v12
	v_cvt_pk_f16_f32 v0, v0, v1
	v_lshlrev_b32_e32 v82, 16, v12
	v_cvt_pk_f16_f32 v1, v18, v19
	v_lshrrev_b32_e32 v87, 16, v6
	v_and_b32_e32 v86, 0xffff, v6
	v_and_b32_e32 v19, 0xffff0000, v0
	s_delay_alu instid0(VALU_DEP_4) | instskip(SKIP_3) | instid1(VALU_DEP_4)
	v_dual_lshlrev_b32 v54, 16, v0 :: v_dual_lshrrev_b32 v85, 16, v1
	v_and_b32_e32 v84, 0xffff, v1
	v_or_b32_e32 v83, v71, v87
	v_or_b32_e32 v80, v82, v86
	;; [unrolled: 1-line block ×3, first 2 shown]
	s_delay_alu instid0(VALU_DEP_4)
	v_or_b32_e32 v70, v54, v84
	s_and_saveexec_b32 s8, s3
	s_cbranch_execz .LBB302_3736
; %bb.3735:                             ;   in Loop: Header=BB302_2086 Depth=1
	v_dual_cndmask_b32 v0, 0, v87, vcc_lo :: v_dual_cndmask_b32 v1, 0, v86, s0
	v_dual_cndmask_b32 v6, 0, v71, s1 :: v_dual_cndmask_b32 v7, 0, v82, s2
	v_dual_cndmask_b32 v12, 0, v85, s4 :: v_dual_cndmask_b32 v18, 0, v84, s5
	;; [unrolled: 1-line block ×3, first 2 shown]
	s_delay_alu instid0(VALU_DEP_3) | instskip(NEXT) | instid1(VALU_DEP_4)
	v_or_b32_e32 v83, v0, v6
	v_or_b32_e32 v80, v1, v7
	s_delay_alu instid0(VALU_DEP_3) | instskip(NEXT) | instid1(VALU_DEP_4)
	v_or_b32_e32 v81, v12, v19
	v_or_b32_e32 v70, v18, v54
.LBB302_3736:                           ;   in Loop: Header=BB302_2086 Depth=1
	s_or_b32 exec_lo, exec_lo, s8
	;;#ASMSTART
	v_pk_mul_f16 v0, v112, v83;

	;;#ASMEND
	;;#ASMSTART
	v_pk_mul_f16 v1, v103, v80;

	;;#ASMEND
	;; [unrolled: 4-line block ×4, first 2 shown]
	;;#ASMSTART
	v_pk_add_f16 v0, v0, v1;

	;;#ASMEND
	;;#ASMSTART
	v_pk_add_f16 v0, v0, v6;

	;;#ASMEND
	;; [unrolled: 4-line block ×3, first 2 shown]
	v_and_b32_e32 v1, 0xffff, v0
	v_lshrrev_b32_e32 v0, 16, v0
	;;#ASMSTART
	v_cvt_f32_f16 v121, v1;
	;;#ASMEND
	v_mov_b32_e32 v1, 0
	;;#ASMSTART
	v_cvt_f32_f16 v122, v0;
	;;#ASMEND
	flat_load_b64 v[80:81], v[68:69] offset:6400
	flat_load_b32 v70, v[22:23]
	v_mov_b32_e32 v0, 0
	s_mov_b32 s23, exec_lo
	s_wait_loadcnt_dscnt 0x101
	v_and_b32_e32 v12, 0xff, v80
	s_wait_xcnt 0x0
	s_delay_alu instid0(VALU_DEP_1)
	v_cmpx_ne_u16_e32 0, v12
	s_cbranch_execz .LBB302_3744
; %bb.3737:                             ;   in Loop: Header=BB302_2086 Depth=1
	v_mov_b32_e32 v1, 0x8000
	s_mov_b32 s24, exec_lo
	v_cmpx_ne_u16_e32 0x80, v12
	s_cbranch_execz .LBB302_3743
; %bb.3738:                             ;   in Loop: Header=BB302_2086 Depth=1
	v_and_b32_e32 v18, 0x7f, v80
	v_mov_b32_e32 v1, 0x7c01
	s_mov_b32 s25, exec_lo
	s_delay_alu instid0(VALU_DEP_2)
	v_cmpx_ne_u32_e32 0x7f, v18
	s_cbranch_execz .LBB302_3742
; %bb.3739:                             ;   in Loop: Header=BB302_2086 Depth=1
	v_dual_lshrrev_b32 v12, 3, v18 :: v_dual_bitop2_b32 v1, 7, v80 bitop3:0x40
	s_mov_b32 s26, exec_lo
	v_cmpx_gt_u32_e32 8, v18
; %bb.3740:                             ;   in Loop: Header=BB302_2086 Depth=1
	s_delay_alu instid0(VALU_DEP_2) | instskip(NEXT) | instid1(VALU_DEP_1)
	v_clz_i32_u32_e32 v1, v1
	v_min_u32_e32 v1, 32, v1
	s_delay_alu instid0(VALU_DEP_1) | instskip(NEXT) | instid1(VALU_DEP_1)
	v_subrev_nc_u32_e32 v6, 28, v1
	v_lshlrev_b64_e32 v[6:7], v6, v[80:81]
	s_delay_alu instid0(VALU_DEP_1)
	v_dual_sub_nc_u32 v12, 29, v1 :: v_dual_bitop2_b32 v1, 7, v6 bitop3:0x40
; %bb.3741:                             ;   in Loop: Header=BB302_2086 Depth=1
	s_or_b32 exec_lo, exec_lo, s26
	s_delay_alu instid0(VALU_DEP_1) | instskip(NEXT) | instid1(VALU_DEP_2)
	v_dual_lshlrev_b32 v6, 8, v80 :: v_dual_lshlrev_b32 v1, 7, v1
	v_lshl_add_u32 v7, v12, 10, 0x2000
	s_delay_alu instid0(VALU_DEP_2) | instskip(NEXT) | instid1(VALU_DEP_2)
	v_and_b32_e32 v6, 0x8000, v6
	v_and_b32_e32 v7, 0xfc00, v7
	s_delay_alu instid0(VALU_DEP_1)
	v_or3_b32 v1, v6, v7, v1
.LBB302_3742:                           ;   in Loop: Header=BB302_2086 Depth=1
	s_or_b32 exec_lo, exec_lo, s25
.LBB302_3743:                           ;   in Loop: Header=BB302_2086 Depth=1
	s_delay_alu instid0(SALU_CYCLE_1)
	s_or_b32 exec_lo, exec_lo, s24
.LBB302_3744:                           ;   in Loop: Header=BB302_2086 Depth=1
	s_delay_alu instid0(SALU_CYCLE_1) | instskip(SKIP_2) | instid1(VALU_DEP_1)
	s_or_b32 exec_lo, exec_lo, s23
	v_lshrrev_b16 v54, 8, v80
	s_mov_b32 s23, exec_lo
	v_cmpx_ne_u16_e32 0, v54
	s_cbranch_execz .LBB302_3752
; %bb.3745:                             ;   in Loop: Header=BB302_2086 Depth=1
	v_bfrev_b32_e32 v0, 1
	s_mov_b32 s24, exec_lo
	v_cmpx_ne_u16_e32 0x80, v54
	s_cbranch_execz .LBB302_3751
; %bb.3746:                             ;   in Loop: Header=BB302_2086 Depth=1
	v_and_b32_e32 v12, 0xffff, v54
	v_mov_b32_e32 v0, 0x7c010000
	s_mov_b32 s25, exec_lo
	s_delay_alu instid0(VALU_DEP_2) | instskip(NEXT) | instid1(VALU_DEP_1)
	v_and_b32_e32 v19, 0x7f, v12
	v_cmpx_ne_u32_e32 0x7f, v19
	s_cbranch_execz .LBB302_3750
; %bb.3747:                             ;   in Loop: Header=BB302_2086 Depth=1
	v_dual_lshrrev_b32 v18, 3, v19 :: v_dual_bitop2_b32 v0, 7, v12 bitop3:0x40
	s_mov_b32 s26, exec_lo
	v_cmpx_gt_u32_e32 8, v19
; %bb.3748:                             ;   in Loop: Header=BB302_2086 Depth=1
	s_delay_alu instid0(VALU_DEP_2) | instskip(NEXT) | instid1(VALU_DEP_1)
	v_clz_i32_u32_e32 v0, v0
	v_min_u32_e32 v0, 32, v0
	s_delay_alu instid0(VALU_DEP_1) | instskip(NEXT) | instid1(VALU_DEP_1)
	v_subrev_nc_u32_e32 v6, 28, v0
	v_lshlrev_b64_e32 v[6:7], v6, v[54:55]
	s_delay_alu instid0(VALU_DEP_1)
	v_dual_sub_nc_u32 v18, 29, v0 :: v_dual_bitop2_b32 v0, 7, v6 bitop3:0x40
; %bb.3749:                             ;   in Loop: Header=BB302_2086 Depth=1
	s_or_b32 exec_lo, exec_lo, s26
	v_lshlrev_b32_e32 v6, 8, v12
	s_delay_alu instid0(VALU_DEP_2) | instskip(NEXT) | instid1(VALU_DEP_3)
	v_lshl_add_u32 v7, v18, 10, 0x2000
	v_lshlrev_b32_e32 v0, 23, v0
	s_delay_alu instid0(VALU_DEP_2) | instskip(NEXT) | instid1(VALU_DEP_1)
	v_and_or_b32 v6, 0x8000, v6, v7
	v_lshl_or_b32 v0, v6, 16, v0
.LBB302_3750:                           ;   in Loop: Header=BB302_2086 Depth=1
	s_or_b32 exec_lo, exec_lo, s25
.LBB302_3751:                           ;   in Loop: Header=BB302_2086 Depth=1
	s_delay_alu instid0(SALU_CYCLE_1)
	s_or_b32 exec_lo, exec_lo, s24
.LBB302_3752:                           ;   in Loop: Header=BB302_2086 Depth=1
	s_delay_alu instid0(SALU_CYCLE_1) | instskip(SKIP_3) | instid1(VALU_DEP_2)
	s_or_b32 exec_lo, exec_lo, s23
	v_dual_lshrrev_b32 v54, 16, v80 :: v_dual_mov_b32 v12, 0
	v_mov_b32_e32 v18, 0
	s_mov_b32 s23, exec_lo
	v_and_b32_e32 v19, 0xff, v54
	s_delay_alu instid0(VALU_DEP_1)
	v_cmpx_ne_u16_e32 0, v19
	s_cbranch_execz .LBB302_3760
; %bb.3753:                             ;   in Loop: Header=BB302_2086 Depth=1
	v_mov_b32_e32 v18, 0x8000
	s_mov_b32 s24, exec_lo
	v_cmpx_ne_u16_e32 0x80, v19
	s_cbranch_execz .LBB302_3759
; %bb.3754:                             ;   in Loop: Header=BB302_2086 Depth=1
	v_bfe_u32 v71, v80, 16, 7
	v_mov_b32_e32 v18, 0x7c01
	s_mov_b32 s25, exec_lo
	s_delay_alu instid0(VALU_DEP_2)
	v_cmpx_ne_u32_e32 0x7f, v71
	s_cbranch_execz .LBB302_3758
; %bb.3755:                             ;   in Loop: Header=BB302_2086 Depth=1
	v_dual_lshrrev_b32 v19, 3, v71 :: v_dual_bitop2_b32 v18, 7, v54 bitop3:0x40
	s_mov_b32 s26, exec_lo
	v_cmpx_gt_u32_e32 8, v71
; %bb.3756:                             ;   in Loop: Header=BB302_2086 Depth=1
	s_delay_alu instid0(VALU_DEP_2) | instskip(NEXT) | instid1(VALU_DEP_1)
	v_clz_i32_u32_e32 v6, v18
	v_min_u32_e32 v18, 32, v6
	s_delay_alu instid0(VALU_DEP_1) | instskip(SKIP_1) | instid1(VALU_DEP_2)
	v_subrev_nc_u32_e32 v6, 28, v18
	v_sub_nc_u32_e32 v19, 29, v18
	v_lshlrev_b64_e32 v[6:7], v6, v[54:55]
	s_delay_alu instid0(VALU_DEP_1)
	v_and_b32_e32 v18, 7, v6
; %bb.3757:                             ;   in Loop: Header=BB302_2086 Depth=1
	s_or_b32 exec_lo, exec_lo, s26
	v_lshlrev_b32_e32 v6, 8, v54
	v_lshl_add_u32 v7, v19, 10, 0x2000
	s_delay_alu instid0(VALU_DEP_3) | instskip(NEXT) | instid1(VALU_DEP_3)
	v_lshlrev_b32_e32 v18, 7, v18
	v_and_b32_e32 v6, 0x8000, v6
	s_delay_alu instid0(VALU_DEP_3) | instskip(NEXT) | instid1(VALU_DEP_1)
	v_and_b32_e32 v7, 0xfc00, v7
	v_or3_b32 v18, v6, v7, v18
.LBB302_3758:                           ;   in Loop: Header=BB302_2086 Depth=1
	s_or_b32 exec_lo, exec_lo, s25
.LBB302_3759:                           ;   in Loop: Header=BB302_2086 Depth=1
	s_delay_alu instid0(SALU_CYCLE_1)
	s_or_b32 exec_lo, exec_lo, s24
.LBB302_3760:                           ;   in Loop: Header=BB302_2086 Depth=1
	s_delay_alu instid0(SALU_CYCLE_1) | instskip(NEXT) | instid1(SALU_CYCLE_1)
	s_or_b32 exec_lo, exec_lo, s23
	s_mov_b32 s23, exec_lo
	v_cmpx_lt_u32_e32 0xffffff, v80
	s_cbranch_execz .LBB302_3768
; %bb.3761:                             ;   in Loop: Header=BB302_2086 Depth=1
	v_lshrrev_b32_e32 v54, 24, v80
	v_bfrev_b32_e32 v12, 1
	s_mov_b32 s24, exec_lo
	s_delay_alu instid0(VALU_DEP_2)
	v_cmpx_ne_u32_e32 0x80, v54
	s_cbranch_execz .LBB302_3767
; %bb.3762:                             ;   in Loop: Header=BB302_2086 Depth=1
	v_and_b32_e32 v71, 0x7f, v54
	v_mov_b32_e32 v12, 0x7c010000
	s_mov_b32 s25, exec_lo
	s_delay_alu instid0(VALU_DEP_2)
	v_cmpx_ne_u32_e32 0x7f, v71
	s_cbranch_execz .LBB302_3766
; %bb.3763:                             ;   in Loop: Header=BB302_2086 Depth=1
	v_dual_lshrrev_b32 v19, 3, v71 :: v_dual_bitop2_b32 v12, 7, v54 bitop3:0x40
	s_mov_b32 s26, exec_lo
	v_cmpx_gt_u32_e32 8, v71
; %bb.3764:                             ;   in Loop: Header=BB302_2086 Depth=1
	s_delay_alu instid0(VALU_DEP_2) | instskip(NEXT) | instid1(VALU_DEP_1)
	v_clz_i32_u32_e32 v6, v12
	v_min_u32_e32 v12, 32, v6
	s_delay_alu instid0(VALU_DEP_1) | instskip(NEXT) | instid1(VALU_DEP_1)
	v_subrev_nc_u32_e32 v6, 28, v12
	v_lshlrev_b64_e32 v[6:7], v6, v[54:55]
	s_delay_alu instid0(VALU_DEP_1)
	v_dual_sub_nc_u32 v19, 29, v12 :: v_dual_bitop2_b32 v12, 7, v6 bitop3:0x40
; %bb.3765:                             ;   in Loop: Header=BB302_2086 Depth=1
	s_or_b32 exec_lo, exec_lo, s26
	v_lshlrev_b32_e32 v6, 8, v54
	s_delay_alu instid0(VALU_DEP_2) | instskip(NEXT) | instid1(VALU_DEP_1)
	v_lshl_add_u32 v7, v19, 10, 0x2000
	v_and_or_b32 v6, 0x8000, v6, v7
	v_lshlrev_b32_e32 v7, 23, v12
	s_delay_alu instid0(VALU_DEP_1)
	v_lshl_or_b32 v12, v6, 16, v7
.LBB302_3766:                           ;   in Loop: Header=BB302_2086 Depth=1
	s_or_b32 exec_lo, exec_lo, s25
.LBB302_3767:                           ;   in Loop: Header=BB302_2086 Depth=1
	s_delay_alu instid0(SALU_CYCLE_1)
	s_or_b32 exec_lo, exec_lo, s24
.LBB302_3768:                           ;   in Loop: Header=BB302_2086 Depth=1
	s_delay_alu instid0(SALU_CYCLE_1) | instskip(SKIP_4) | instid1(VALU_DEP_3)
	s_or_b32 exec_lo, exec_lo, s23
	v_and_b32_e32 v82, 0xff, v81
	v_dual_mov_b32 v54, v81 :: v_dual_mov_b32 v71, 0
	v_mov_b32_e32 v19, 0
	s_mov_b32 s23, exec_lo
	v_cmpx_ne_u16_e32 0, v82
	s_cbranch_execz .LBB302_3776
; %bb.3769:                             ;   in Loop: Header=BB302_2086 Depth=1
	v_mov_b32_e32 v19, 0x8000
	s_mov_b32 s24, exec_lo
	v_cmpx_ne_u16_e32 0x80, v82
	s_cbranch_execz .LBB302_3775
; %bb.3770:                             ;   in Loop: Header=BB302_2086 Depth=1
	v_and_b32_e32 v83, 0x7f, v81
	v_mov_b32_e32 v19, 0x7c01
	s_mov_b32 s25, exec_lo
	s_delay_alu instid0(VALU_DEP_2)
	v_cmpx_ne_u32_e32 0x7f, v83
	s_cbranch_execz .LBB302_3774
; %bb.3771:                             ;   in Loop: Header=BB302_2086 Depth=1
	v_dual_lshrrev_b32 v82, 3, v83 :: v_dual_bitop2_b32 v19, 7, v81 bitop3:0x40
	s_mov_b32 s26, exec_lo
	v_cmpx_gt_u32_e32 8, v83
; %bb.3772:                             ;   in Loop: Header=BB302_2086 Depth=1
	s_delay_alu instid0(VALU_DEP_2) | instskip(NEXT) | instid1(VALU_DEP_1)
	v_clz_i32_u32_e32 v6, v19
	v_min_u32_e32 v19, 32, v6
	s_delay_alu instid0(VALU_DEP_1) | instskip(NEXT) | instid1(VALU_DEP_1)
	v_subrev_nc_u32_e32 v6, 28, v19
	v_lshlrev_b64_e32 v[6:7], v6, v[54:55]
	s_delay_alu instid0(VALU_DEP_1)
	v_dual_sub_nc_u32 v82, 29, v19 :: v_dual_bitop2_b32 v19, 7, v6 bitop3:0x40
; %bb.3773:                             ;   in Loop: Header=BB302_2086 Depth=1
	s_or_b32 exec_lo, exec_lo, s26
	s_delay_alu instid0(VALU_DEP_1) | instskip(NEXT) | instid1(VALU_DEP_2)
	v_dual_lshlrev_b32 v6, 8, v81 :: v_dual_lshlrev_b32 v19, 7, v19
	v_lshl_add_u32 v7, v82, 10, 0x2000
	s_delay_alu instid0(VALU_DEP_2) | instskip(NEXT) | instid1(VALU_DEP_2)
	v_and_b32_e32 v6, 0x8000, v6
	v_and_b32_e32 v7, 0xfc00, v7
	s_delay_alu instid0(VALU_DEP_1)
	v_or3_b32 v19, v6, v7, v19
.LBB302_3774:                           ;   in Loop: Header=BB302_2086 Depth=1
	s_or_b32 exec_lo, exec_lo, s25
.LBB302_3775:                           ;   in Loop: Header=BB302_2086 Depth=1
	s_delay_alu instid0(SALU_CYCLE_1)
	s_or_b32 exec_lo, exec_lo, s24
.LBB302_3776:                           ;   in Loop: Header=BB302_2086 Depth=1
	s_delay_alu instid0(SALU_CYCLE_1) | instskip(SKIP_3) | instid1(VALU_DEP_2)
	s_or_b32 exec_lo, exec_lo, s23
	v_lshrrev_b16 v54, 8, v54
	v_mov_b32_e32 v82, 0
	s_mov_b32 s23, exec_lo
	v_cmpx_ne_u16_e32 0, v54
	s_cbranch_execz .LBB302_3784
; %bb.3777:                             ;   in Loop: Header=BB302_2086 Depth=1
	v_bfrev_b32_e32 v82, 1
	s_mov_b32 s24, exec_lo
	v_cmpx_ne_u16_e32 0x80, v54
	s_cbranch_execz .LBB302_3783
; %bb.3778:                             ;   in Loop: Header=BB302_2086 Depth=1
	v_and_b32_e32 v83, 0xffff, v54
	v_mov_b32_e32 v82, 0x7c010000
	s_mov_b32 s25, exec_lo
	s_delay_alu instid0(VALU_DEP_2) | instskip(NEXT) | instid1(VALU_DEP_1)
	v_and_b32_e32 v85, 0x7f, v83
	v_cmpx_ne_u32_e32 0x7f, v85
	s_cbranch_execz .LBB302_3782
; %bb.3779:                             ;   in Loop: Header=BB302_2086 Depth=1
	v_dual_lshrrev_b32 v84, 3, v85 :: v_dual_bitop2_b32 v82, 7, v83 bitop3:0x40
	s_mov_b32 s26, exec_lo
	v_cmpx_gt_u32_e32 8, v85
; %bb.3780:                             ;   in Loop: Header=BB302_2086 Depth=1
	s_delay_alu instid0(VALU_DEP_2) | instskip(NEXT) | instid1(VALU_DEP_1)
	v_clz_i32_u32_e32 v6, v82
	v_min_u32_e32 v64, 32, v6
	s_delay_alu instid0(VALU_DEP_1) | instskip(NEXT) | instid1(VALU_DEP_1)
	v_subrev_nc_u32_e32 v6, 28, v64
	v_lshlrev_b64_e32 v[6:7], v6, v[54:55]
	s_delay_alu instid0(VALU_DEP_1)
	v_dual_sub_nc_u32 v84, 29, v64 :: v_dual_bitop2_b32 v82, 7, v6 bitop3:0x40
; %bb.3781:                             ;   in Loop: Header=BB302_2086 Depth=1
	s_or_b32 exec_lo, exec_lo, s26
	v_lshlrev_b32_e32 v6, 8, v83
	s_delay_alu instid0(VALU_DEP_2) | instskip(NEXT) | instid1(VALU_DEP_1)
	v_lshl_add_u32 v7, v84, 10, 0x2000
	v_and_or_b32 v6, 0x8000, v6, v7
	v_lshlrev_b32_e32 v7, 23, v82
	s_delay_alu instid0(VALU_DEP_1)
	v_lshl_or_b32 v82, v6, 16, v7
.LBB302_3782:                           ;   in Loop: Header=BB302_2086 Depth=1
	s_or_b32 exec_lo, exec_lo, s25
.LBB302_3783:                           ;   in Loop: Header=BB302_2086 Depth=1
	s_delay_alu instid0(SALU_CYCLE_1)
	s_or_b32 exec_lo, exec_lo, s24
.LBB302_3784:                           ;   in Loop: Header=BB302_2086 Depth=1
	s_delay_alu instid0(SALU_CYCLE_1) | instskip(SKIP_2) | instid1(VALU_DEP_1)
	s_or_b32 exec_lo, exec_lo, s23
	v_lshrrev_b32_e32 v54, 16, v81
	s_mov_b32 s23, exec_lo
	v_and_b32_e32 v83, 0xff, v54
	s_delay_alu instid0(VALU_DEP_1)
	v_cmpx_ne_u16_e32 0, v83
	s_cbranch_execz .LBB302_3792
; %bb.3785:                             ;   in Loop: Header=BB302_2086 Depth=1
	v_mov_b32_e32 v71, 0x8000
	s_mov_b32 s24, exec_lo
	v_cmpx_ne_u16_e32 0x80, v83
	s_cbranch_execz .LBB302_3791
; %bb.3786:                             ;   in Loop: Header=BB302_2086 Depth=1
	v_bfe_u32 v84, v81, 16, 7
	v_mov_b32_e32 v71, 0x7c01
	s_mov_b32 s25, exec_lo
	s_delay_alu instid0(VALU_DEP_2)
	v_cmpx_ne_u32_e32 0x7f, v84
	s_cbranch_execz .LBB302_3790
; %bb.3787:                             ;   in Loop: Header=BB302_2086 Depth=1
	v_dual_lshrrev_b32 v83, 3, v84 :: v_dual_bitop2_b32 v71, 7, v54 bitop3:0x40
	s_mov_b32 s26, exec_lo
	v_cmpx_gt_u32_e32 8, v84
; %bb.3788:                             ;   in Loop: Header=BB302_2086 Depth=1
	s_delay_alu instid0(VALU_DEP_2) | instskip(NEXT) | instid1(VALU_DEP_1)
	v_clz_i32_u32_e32 v6, v71
	v_min_u32_e32 v64, 32, v6
	s_delay_alu instid0(VALU_DEP_1) | instskip(NEXT) | instid1(VALU_DEP_1)
	v_subrev_nc_u32_e32 v6, 28, v64
	v_lshlrev_b64_e32 v[6:7], v6, v[54:55]
	s_delay_alu instid0(VALU_DEP_1)
	v_dual_sub_nc_u32 v83, 29, v64 :: v_dual_bitop2_b32 v71, 7, v6 bitop3:0x40
; %bb.3789:                             ;   in Loop: Header=BB302_2086 Depth=1
	s_or_b32 exec_lo, exec_lo, s26
	s_delay_alu instid0(VALU_DEP_1) | instskip(NEXT) | instid1(VALU_DEP_2)
	v_dual_lshlrev_b32 v6, 8, v54 :: v_dual_lshlrev_b32 v54, 7, v71
	v_lshl_add_u32 v7, v83, 10, 0x2000
	s_delay_alu instid0(VALU_DEP_2) | instskip(NEXT) | instid1(VALU_DEP_2)
	v_and_b32_e32 v6, 0x8000, v6
	v_and_b32_e32 v7, 0xfc00, v7
	s_delay_alu instid0(VALU_DEP_1)
	v_or3_b32 v71, v6, v7, v54
.LBB302_3790:                           ;   in Loop: Header=BB302_2086 Depth=1
	s_or_b32 exec_lo, exec_lo, s25
.LBB302_3791:                           ;   in Loop: Header=BB302_2086 Depth=1
	s_delay_alu instid0(SALU_CYCLE_1)
	s_or_b32 exec_lo, exec_lo, s24
.LBB302_3792:                           ;   in Loop: Header=BB302_2086 Depth=1
	s_delay_alu instid0(SALU_CYCLE_1)
	s_or_b32 exec_lo, exec_lo, s23
	v_cmp_lt_u64_e64 s8, s[16:17], v[80:81]
	v_mov_b32_e32 v80, 0
	s_and_saveexec_b32 s23, s8
	s_cbranch_execz .LBB302_3800
; %bb.3793:                             ;   in Loop: Header=BB302_2086 Depth=1
	v_lshrrev_b32_e32 v54, 24, v81
	v_bfrev_b32_e32 v80, 1
	s_mov_b32 s24, exec_lo
	s_delay_alu instid0(VALU_DEP_2)
	v_cmpx_ne_u32_e32 0x80, v54
	s_cbranch_execz .LBB302_3799
; %bb.3794:                             ;   in Loop: Header=BB302_2086 Depth=1
	v_and_b32_e32 v83, 0x7f, v54
	v_mov_b32_e32 v80, 0x7c010000
	s_mov_b32 s25, exec_lo
	s_delay_alu instid0(VALU_DEP_2)
	v_cmpx_ne_u32_e32 0x7f, v83
	s_cbranch_execz .LBB302_3798
; %bb.3795:                             ;   in Loop: Header=BB302_2086 Depth=1
	v_dual_lshrrev_b32 v81, 3, v83 :: v_dual_bitop2_b32 v80, 7, v54 bitop3:0x40
	s_mov_b32 s26, exec_lo
	v_cmpx_gt_u32_e32 8, v83
; %bb.3796:                             ;   in Loop: Header=BB302_2086 Depth=1
	s_delay_alu instid0(VALU_DEP_2) | instskip(NEXT) | instid1(VALU_DEP_1)
	v_clz_i32_u32_e32 v6, v80
	v_min_u32_e32 v64, 32, v6
	s_delay_alu instid0(VALU_DEP_1) | instskip(NEXT) | instid1(VALU_DEP_1)
	v_subrev_nc_u32_e32 v6, 28, v64
	v_lshlrev_b64_e32 v[6:7], v6, v[54:55]
	s_delay_alu instid0(VALU_DEP_1)
	v_dual_sub_nc_u32 v81, 29, v64 :: v_dual_bitop2_b32 v80, 7, v6 bitop3:0x40
; %bb.3797:                             ;   in Loop: Header=BB302_2086 Depth=1
	s_or_b32 exec_lo, exec_lo, s26
	v_lshlrev_b32_e32 v6, 8, v54
	s_delay_alu instid0(VALU_DEP_2) | instskip(NEXT) | instid1(VALU_DEP_1)
	v_lshl_add_u32 v7, v81, 10, 0x2000
	v_and_or_b32 v6, 0x8000, v6, v7
	v_lshlrev_b32_e32 v7, 23, v80
	s_delay_alu instid0(VALU_DEP_1)
	v_lshl_or_b32 v80, v6, 16, v7
.LBB302_3798:                           ;   in Loop: Header=BB302_2086 Depth=1
	s_or_b32 exec_lo, exec_lo, s25
.LBB302_3799:                           ;   in Loop: Header=BB302_2086 Depth=1
	s_delay_alu instid0(SALU_CYCLE_1)
	s_or_b32 exec_lo, exec_lo, s24
.LBB302_3800:                           ;   in Loop: Header=BB302_2086 Depth=1
	s_delay_alu instid0(SALU_CYCLE_1) | instskip(SKIP_3) | instid1(VALU_DEP_3)
	s_or_b32 exec_lo, exec_lo, s23
	v_dual_lshrrev_b32 v6, 16, v0 :: v_dual_bitop2_b32 v54, v0, v1 bitop3:0x54
	v_dual_lshrrev_b32 v7, 16, v12 :: v_dual_bitop2_b32 v12, v12, v18 bitop3:0x54
	;; [unrolled: 1-line block ×3, first 2 shown]
	v_cvt_f32_f16_e32 v1, v6
	s_delay_alu instid0(VALU_DEP_3)
	v_cvt_f32_f16_e32 v0, v7
	v_lshrrev_b32_e32 v65, 16, v80
	v_cvt_f32_f16_e32 v6, v12
	v_or_b32_e32 v12, v82, v19
	v_cvt_f32_f16_e32 v7, v54
	s_wait_loadcnt_dscnt 0x0
	v_pk_mul_f32 v[0:1], v[70:71], v[0:1] op_sel_hi:[0,1]
	v_cvt_f32_f16_e32 v19, v18
	v_cvt_f32_f16_e32 v18, v65
	;; [unrolled: 1-line block ×4, first 2 shown]
	v_pk_mul_f32 v[6:7], v[70:71], v[6:7] op_sel_hi:[0,1]
	v_cvt_pk_f16_f32 v12, v0, v1
	v_pk_mul_f32 v[0:1], v[70:71], v[18:19] op_sel_hi:[0,1]
	s_delay_alu instid0(VALU_DEP_4) | instskip(NEXT) | instid1(VALU_DEP_4)
	v_pk_mul_f32 v[18:19], v[70:71], v[64:65] op_sel_hi:[0,1]
	v_cvt_pk_f16_f32 v6, v6, v7
	s_delay_alu instid0(VALU_DEP_4) | instskip(NEXT) | instid1(VALU_DEP_4)
	v_and_b32_e32 v71, 0xffff0000, v12
	v_cvt_pk_f16_f32 v0, v0, v1
	v_lshlrev_b32_e32 v82, 16, v12
	v_cvt_pk_f16_f32 v1, v18, v19
	v_lshrrev_b32_e32 v87, 16, v6
	v_and_b32_e32 v86, 0xffff, v6
	v_and_b32_e32 v19, 0xffff0000, v0
	s_delay_alu instid0(VALU_DEP_4) | instskip(SKIP_3) | instid1(VALU_DEP_4)
	v_dual_lshlrev_b32 v54, 16, v0 :: v_dual_lshrrev_b32 v85, 16, v1
	v_and_b32_e32 v84, 0xffff, v1
	v_or_b32_e32 v83, v71, v87
	v_or_b32_e32 v80, v82, v86
	;; [unrolled: 1-line block ×3, first 2 shown]
	s_delay_alu instid0(VALU_DEP_4)
	v_or_b32_e32 v70, v54, v84
	s_and_saveexec_b32 s8, s3
	s_cbranch_execz .LBB302_3802
; %bb.3801:                             ;   in Loop: Header=BB302_2086 Depth=1
	v_dual_cndmask_b32 v0, 0, v87, vcc_lo :: v_dual_cndmask_b32 v1, 0, v86, s0
	v_dual_cndmask_b32 v6, 0, v71, s1 :: v_dual_cndmask_b32 v7, 0, v82, s2
	v_dual_cndmask_b32 v12, 0, v85, s4 :: v_dual_cndmask_b32 v18, 0, v84, s5
	;; [unrolled: 1-line block ×3, first 2 shown]
	s_delay_alu instid0(VALU_DEP_3) | instskip(NEXT) | instid1(VALU_DEP_4)
	v_or_b32_e32 v83, v0, v6
	v_or_b32_e32 v80, v1, v7
	s_delay_alu instid0(VALU_DEP_3) | instskip(NEXT) | instid1(VALU_DEP_4)
	v_or_b32_e32 v81, v12, v19
	v_or_b32_e32 v70, v18, v54
.LBB302_3802:                           ;   in Loop: Header=BB302_2086 Depth=1
	s_or_b32 exec_lo, exec_lo, s8
	;;#ASMSTART
	v_pk_mul_f16 v0, v112, v83;

	;;#ASMEND
	;;#ASMSTART
	v_pk_mul_f16 v1, v103, v80;

	;;#ASMEND
	;; [unrolled: 4-line block ×4, first 2 shown]
	;;#ASMSTART
	v_pk_add_f16 v0, v0, v1;

	;;#ASMEND
	;;#ASMSTART
	v_pk_add_f16 v0, v0, v6;

	;;#ASMEND
	;; [unrolled: 4-line block ×3, first 2 shown]
	v_and_b32_e32 v1, 0xffff, v0
	v_lshrrev_b32_e32 v0, 16, v0
	;;#ASMSTART
	v_cvt_f32_f16 v123, v1;
	;;#ASMEND
	v_mov_b32_e32 v1, 0
	;;#ASMSTART
	v_cvt_f32_f16 v124, v0;
	;;#ASMEND
	flat_load_b64 v[80:81], v[68:69] offset:6656
	flat_load_b32 v70, v[22:23]
	v_mov_b32_e32 v0, 0
	s_mov_b32 s23, exec_lo
	s_wait_loadcnt_dscnt 0x101
	v_and_b32_e32 v12, 0xff, v80
	s_wait_xcnt 0x0
	s_delay_alu instid0(VALU_DEP_1)
	v_cmpx_ne_u16_e32 0, v12
	s_cbranch_execz .LBB302_3810
; %bb.3803:                             ;   in Loop: Header=BB302_2086 Depth=1
	v_mov_b32_e32 v1, 0x8000
	s_mov_b32 s24, exec_lo
	v_cmpx_ne_u16_e32 0x80, v12
	s_cbranch_execz .LBB302_3809
; %bb.3804:                             ;   in Loop: Header=BB302_2086 Depth=1
	v_and_b32_e32 v18, 0x7f, v80
	v_mov_b32_e32 v1, 0x7c01
	s_mov_b32 s25, exec_lo
	s_delay_alu instid0(VALU_DEP_2)
	v_cmpx_ne_u32_e32 0x7f, v18
	s_cbranch_execz .LBB302_3808
; %bb.3805:                             ;   in Loop: Header=BB302_2086 Depth=1
	v_dual_lshrrev_b32 v12, 3, v18 :: v_dual_bitop2_b32 v1, 7, v80 bitop3:0x40
	s_mov_b32 s26, exec_lo
	v_cmpx_gt_u32_e32 8, v18
; %bb.3806:                             ;   in Loop: Header=BB302_2086 Depth=1
	s_delay_alu instid0(VALU_DEP_2) | instskip(NEXT) | instid1(VALU_DEP_1)
	v_clz_i32_u32_e32 v1, v1
	v_min_u32_e32 v1, 32, v1
	s_delay_alu instid0(VALU_DEP_1) | instskip(NEXT) | instid1(VALU_DEP_1)
	v_subrev_nc_u32_e32 v6, 28, v1
	v_lshlrev_b64_e32 v[6:7], v6, v[80:81]
	s_delay_alu instid0(VALU_DEP_1)
	v_dual_sub_nc_u32 v12, 29, v1 :: v_dual_bitop2_b32 v1, 7, v6 bitop3:0x40
; %bb.3807:                             ;   in Loop: Header=BB302_2086 Depth=1
	s_or_b32 exec_lo, exec_lo, s26
	s_delay_alu instid0(VALU_DEP_1) | instskip(NEXT) | instid1(VALU_DEP_2)
	v_dual_lshlrev_b32 v6, 8, v80 :: v_dual_lshlrev_b32 v1, 7, v1
	v_lshl_add_u32 v7, v12, 10, 0x2000
	s_delay_alu instid0(VALU_DEP_2) | instskip(NEXT) | instid1(VALU_DEP_2)
	v_and_b32_e32 v6, 0x8000, v6
	v_and_b32_e32 v7, 0xfc00, v7
	s_delay_alu instid0(VALU_DEP_1)
	v_or3_b32 v1, v6, v7, v1
.LBB302_3808:                           ;   in Loop: Header=BB302_2086 Depth=1
	s_or_b32 exec_lo, exec_lo, s25
.LBB302_3809:                           ;   in Loop: Header=BB302_2086 Depth=1
	s_delay_alu instid0(SALU_CYCLE_1)
	s_or_b32 exec_lo, exec_lo, s24
.LBB302_3810:                           ;   in Loop: Header=BB302_2086 Depth=1
	s_delay_alu instid0(SALU_CYCLE_1) | instskip(SKIP_2) | instid1(VALU_DEP_1)
	s_or_b32 exec_lo, exec_lo, s23
	v_lshrrev_b16 v54, 8, v80
	s_mov_b32 s23, exec_lo
	v_cmpx_ne_u16_e32 0, v54
	s_cbranch_execz .LBB302_3818
; %bb.3811:                             ;   in Loop: Header=BB302_2086 Depth=1
	v_bfrev_b32_e32 v0, 1
	s_mov_b32 s24, exec_lo
	v_cmpx_ne_u16_e32 0x80, v54
	s_cbranch_execz .LBB302_3817
; %bb.3812:                             ;   in Loop: Header=BB302_2086 Depth=1
	v_and_b32_e32 v12, 0xffff, v54
	v_mov_b32_e32 v0, 0x7c010000
	s_mov_b32 s25, exec_lo
	s_delay_alu instid0(VALU_DEP_2) | instskip(NEXT) | instid1(VALU_DEP_1)
	v_and_b32_e32 v19, 0x7f, v12
	v_cmpx_ne_u32_e32 0x7f, v19
	s_cbranch_execz .LBB302_3816
; %bb.3813:                             ;   in Loop: Header=BB302_2086 Depth=1
	v_dual_lshrrev_b32 v18, 3, v19 :: v_dual_bitop2_b32 v0, 7, v12 bitop3:0x40
	s_mov_b32 s26, exec_lo
	v_cmpx_gt_u32_e32 8, v19
; %bb.3814:                             ;   in Loop: Header=BB302_2086 Depth=1
	s_delay_alu instid0(VALU_DEP_2) | instskip(NEXT) | instid1(VALU_DEP_1)
	v_clz_i32_u32_e32 v0, v0
	v_min_u32_e32 v0, 32, v0
	s_delay_alu instid0(VALU_DEP_1) | instskip(NEXT) | instid1(VALU_DEP_1)
	v_subrev_nc_u32_e32 v6, 28, v0
	v_lshlrev_b64_e32 v[6:7], v6, v[54:55]
	s_delay_alu instid0(VALU_DEP_1)
	v_dual_sub_nc_u32 v18, 29, v0 :: v_dual_bitop2_b32 v0, 7, v6 bitop3:0x40
; %bb.3815:                             ;   in Loop: Header=BB302_2086 Depth=1
	s_or_b32 exec_lo, exec_lo, s26
	v_lshlrev_b32_e32 v6, 8, v12
	s_delay_alu instid0(VALU_DEP_2) | instskip(NEXT) | instid1(VALU_DEP_3)
	v_lshl_add_u32 v7, v18, 10, 0x2000
	v_lshlrev_b32_e32 v0, 23, v0
	s_delay_alu instid0(VALU_DEP_2) | instskip(NEXT) | instid1(VALU_DEP_1)
	v_and_or_b32 v6, 0x8000, v6, v7
	v_lshl_or_b32 v0, v6, 16, v0
.LBB302_3816:                           ;   in Loop: Header=BB302_2086 Depth=1
	s_or_b32 exec_lo, exec_lo, s25
.LBB302_3817:                           ;   in Loop: Header=BB302_2086 Depth=1
	s_delay_alu instid0(SALU_CYCLE_1)
	s_or_b32 exec_lo, exec_lo, s24
.LBB302_3818:                           ;   in Loop: Header=BB302_2086 Depth=1
	s_delay_alu instid0(SALU_CYCLE_1) | instskip(SKIP_3) | instid1(VALU_DEP_2)
	s_or_b32 exec_lo, exec_lo, s23
	v_dual_lshrrev_b32 v54, 16, v80 :: v_dual_mov_b32 v12, 0
	v_mov_b32_e32 v18, 0
	s_mov_b32 s23, exec_lo
	v_and_b32_e32 v19, 0xff, v54
	s_delay_alu instid0(VALU_DEP_1)
	v_cmpx_ne_u16_e32 0, v19
	s_cbranch_execz .LBB302_3826
; %bb.3819:                             ;   in Loop: Header=BB302_2086 Depth=1
	v_mov_b32_e32 v18, 0x8000
	s_mov_b32 s24, exec_lo
	v_cmpx_ne_u16_e32 0x80, v19
	s_cbranch_execz .LBB302_3825
; %bb.3820:                             ;   in Loop: Header=BB302_2086 Depth=1
	v_bfe_u32 v71, v80, 16, 7
	v_mov_b32_e32 v18, 0x7c01
	s_mov_b32 s25, exec_lo
	s_delay_alu instid0(VALU_DEP_2)
	v_cmpx_ne_u32_e32 0x7f, v71
	s_cbranch_execz .LBB302_3824
; %bb.3821:                             ;   in Loop: Header=BB302_2086 Depth=1
	v_dual_lshrrev_b32 v19, 3, v71 :: v_dual_bitop2_b32 v18, 7, v54 bitop3:0x40
	s_mov_b32 s26, exec_lo
	v_cmpx_gt_u32_e32 8, v71
; %bb.3822:                             ;   in Loop: Header=BB302_2086 Depth=1
	s_delay_alu instid0(VALU_DEP_2) | instskip(NEXT) | instid1(VALU_DEP_1)
	v_clz_i32_u32_e32 v6, v18
	v_min_u32_e32 v18, 32, v6
	s_delay_alu instid0(VALU_DEP_1) | instskip(SKIP_1) | instid1(VALU_DEP_2)
	v_subrev_nc_u32_e32 v6, 28, v18
	v_sub_nc_u32_e32 v19, 29, v18
	v_lshlrev_b64_e32 v[6:7], v6, v[54:55]
	s_delay_alu instid0(VALU_DEP_1)
	v_and_b32_e32 v18, 7, v6
; %bb.3823:                             ;   in Loop: Header=BB302_2086 Depth=1
	s_or_b32 exec_lo, exec_lo, s26
	v_lshlrev_b32_e32 v6, 8, v54
	v_lshl_add_u32 v7, v19, 10, 0x2000
	s_delay_alu instid0(VALU_DEP_3) | instskip(NEXT) | instid1(VALU_DEP_3)
	v_lshlrev_b32_e32 v18, 7, v18
	v_and_b32_e32 v6, 0x8000, v6
	s_delay_alu instid0(VALU_DEP_3) | instskip(NEXT) | instid1(VALU_DEP_1)
	v_and_b32_e32 v7, 0xfc00, v7
	v_or3_b32 v18, v6, v7, v18
.LBB302_3824:                           ;   in Loop: Header=BB302_2086 Depth=1
	s_or_b32 exec_lo, exec_lo, s25
.LBB302_3825:                           ;   in Loop: Header=BB302_2086 Depth=1
	s_delay_alu instid0(SALU_CYCLE_1)
	s_or_b32 exec_lo, exec_lo, s24
.LBB302_3826:                           ;   in Loop: Header=BB302_2086 Depth=1
	s_delay_alu instid0(SALU_CYCLE_1) | instskip(NEXT) | instid1(SALU_CYCLE_1)
	s_or_b32 exec_lo, exec_lo, s23
	s_mov_b32 s23, exec_lo
	v_cmpx_lt_u32_e32 0xffffff, v80
	s_cbranch_execz .LBB302_3834
; %bb.3827:                             ;   in Loop: Header=BB302_2086 Depth=1
	v_lshrrev_b32_e32 v54, 24, v80
	v_bfrev_b32_e32 v12, 1
	s_mov_b32 s24, exec_lo
	s_delay_alu instid0(VALU_DEP_2)
	v_cmpx_ne_u32_e32 0x80, v54
	s_cbranch_execz .LBB302_3833
; %bb.3828:                             ;   in Loop: Header=BB302_2086 Depth=1
	v_and_b32_e32 v71, 0x7f, v54
	v_mov_b32_e32 v12, 0x7c010000
	s_mov_b32 s25, exec_lo
	s_delay_alu instid0(VALU_DEP_2)
	v_cmpx_ne_u32_e32 0x7f, v71
	s_cbranch_execz .LBB302_3832
; %bb.3829:                             ;   in Loop: Header=BB302_2086 Depth=1
	v_dual_lshrrev_b32 v19, 3, v71 :: v_dual_bitop2_b32 v12, 7, v54 bitop3:0x40
	s_mov_b32 s26, exec_lo
	v_cmpx_gt_u32_e32 8, v71
; %bb.3830:                             ;   in Loop: Header=BB302_2086 Depth=1
	s_delay_alu instid0(VALU_DEP_2) | instskip(NEXT) | instid1(VALU_DEP_1)
	v_clz_i32_u32_e32 v6, v12
	v_min_u32_e32 v12, 32, v6
	s_delay_alu instid0(VALU_DEP_1) | instskip(NEXT) | instid1(VALU_DEP_1)
	v_subrev_nc_u32_e32 v6, 28, v12
	v_lshlrev_b64_e32 v[6:7], v6, v[54:55]
	s_delay_alu instid0(VALU_DEP_1)
	v_dual_sub_nc_u32 v19, 29, v12 :: v_dual_bitop2_b32 v12, 7, v6 bitop3:0x40
; %bb.3831:                             ;   in Loop: Header=BB302_2086 Depth=1
	s_or_b32 exec_lo, exec_lo, s26
	v_lshlrev_b32_e32 v6, 8, v54
	s_delay_alu instid0(VALU_DEP_2) | instskip(NEXT) | instid1(VALU_DEP_1)
	v_lshl_add_u32 v7, v19, 10, 0x2000
	v_and_or_b32 v6, 0x8000, v6, v7
	v_lshlrev_b32_e32 v7, 23, v12
	s_delay_alu instid0(VALU_DEP_1)
	v_lshl_or_b32 v12, v6, 16, v7
.LBB302_3832:                           ;   in Loop: Header=BB302_2086 Depth=1
	s_or_b32 exec_lo, exec_lo, s25
.LBB302_3833:                           ;   in Loop: Header=BB302_2086 Depth=1
	s_delay_alu instid0(SALU_CYCLE_1)
	s_or_b32 exec_lo, exec_lo, s24
.LBB302_3834:                           ;   in Loop: Header=BB302_2086 Depth=1
	s_delay_alu instid0(SALU_CYCLE_1) | instskip(SKIP_4) | instid1(VALU_DEP_3)
	s_or_b32 exec_lo, exec_lo, s23
	v_and_b32_e32 v82, 0xff, v81
	v_dual_mov_b32 v54, v81 :: v_dual_mov_b32 v71, 0
	v_mov_b32_e32 v19, 0
	s_mov_b32 s23, exec_lo
	v_cmpx_ne_u16_e32 0, v82
	s_cbranch_execz .LBB302_3842
; %bb.3835:                             ;   in Loop: Header=BB302_2086 Depth=1
	v_mov_b32_e32 v19, 0x8000
	s_mov_b32 s24, exec_lo
	v_cmpx_ne_u16_e32 0x80, v82
	s_cbranch_execz .LBB302_3841
; %bb.3836:                             ;   in Loop: Header=BB302_2086 Depth=1
	v_and_b32_e32 v83, 0x7f, v81
	v_mov_b32_e32 v19, 0x7c01
	s_mov_b32 s25, exec_lo
	s_delay_alu instid0(VALU_DEP_2)
	v_cmpx_ne_u32_e32 0x7f, v83
	s_cbranch_execz .LBB302_3840
; %bb.3837:                             ;   in Loop: Header=BB302_2086 Depth=1
	v_dual_lshrrev_b32 v82, 3, v83 :: v_dual_bitop2_b32 v19, 7, v81 bitop3:0x40
	s_mov_b32 s26, exec_lo
	v_cmpx_gt_u32_e32 8, v83
; %bb.3838:                             ;   in Loop: Header=BB302_2086 Depth=1
	s_delay_alu instid0(VALU_DEP_2) | instskip(NEXT) | instid1(VALU_DEP_1)
	v_clz_i32_u32_e32 v6, v19
	v_min_u32_e32 v19, 32, v6
	s_delay_alu instid0(VALU_DEP_1) | instskip(NEXT) | instid1(VALU_DEP_1)
	v_subrev_nc_u32_e32 v6, 28, v19
	v_lshlrev_b64_e32 v[6:7], v6, v[54:55]
	s_delay_alu instid0(VALU_DEP_1)
	v_dual_sub_nc_u32 v82, 29, v19 :: v_dual_bitop2_b32 v19, 7, v6 bitop3:0x40
; %bb.3839:                             ;   in Loop: Header=BB302_2086 Depth=1
	s_or_b32 exec_lo, exec_lo, s26
	s_delay_alu instid0(VALU_DEP_1) | instskip(NEXT) | instid1(VALU_DEP_2)
	v_dual_lshlrev_b32 v6, 8, v81 :: v_dual_lshlrev_b32 v19, 7, v19
	v_lshl_add_u32 v7, v82, 10, 0x2000
	s_delay_alu instid0(VALU_DEP_2) | instskip(NEXT) | instid1(VALU_DEP_2)
	v_and_b32_e32 v6, 0x8000, v6
	v_and_b32_e32 v7, 0xfc00, v7
	s_delay_alu instid0(VALU_DEP_1)
	v_or3_b32 v19, v6, v7, v19
.LBB302_3840:                           ;   in Loop: Header=BB302_2086 Depth=1
	s_or_b32 exec_lo, exec_lo, s25
.LBB302_3841:                           ;   in Loop: Header=BB302_2086 Depth=1
	s_delay_alu instid0(SALU_CYCLE_1)
	s_or_b32 exec_lo, exec_lo, s24
.LBB302_3842:                           ;   in Loop: Header=BB302_2086 Depth=1
	s_delay_alu instid0(SALU_CYCLE_1) | instskip(SKIP_3) | instid1(VALU_DEP_2)
	s_or_b32 exec_lo, exec_lo, s23
	v_lshrrev_b16 v54, 8, v54
	v_mov_b32_e32 v82, 0
	s_mov_b32 s23, exec_lo
	v_cmpx_ne_u16_e32 0, v54
	s_cbranch_execz .LBB302_3850
; %bb.3843:                             ;   in Loop: Header=BB302_2086 Depth=1
	v_bfrev_b32_e32 v82, 1
	s_mov_b32 s24, exec_lo
	v_cmpx_ne_u16_e32 0x80, v54
	s_cbranch_execz .LBB302_3849
; %bb.3844:                             ;   in Loop: Header=BB302_2086 Depth=1
	v_and_b32_e32 v83, 0xffff, v54
	v_mov_b32_e32 v82, 0x7c010000
	s_mov_b32 s25, exec_lo
	s_delay_alu instid0(VALU_DEP_2) | instskip(NEXT) | instid1(VALU_DEP_1)
	v_and_b32_e32 v85, 0x7f, v83
	v_cmpx_ne_u32_e32 0x7f, v85
	s_cbranch_execz .LBB302_3848
; %bb.3845:                             ;   in Loop: Header=BB302_2086 Depth=1
	v_dual_lshrrev_b32 v84, 3, v85 :: v_dual_bitop2_b32 v82, 7, v83 bitop3:0x40
	s_mov_b32 s26, exec_lo
	v_cmpx_gt_u32_e32 8, v85
; %bb.3846:                             ;   in Loop: Header=BB302_2086 Depth=1
	s_delay_alu instid0(VALU_DEP_2) | instskip(NEXT) | instid1(VALU_DEP_1)
	v_clz_i32_u32_e32 v6, v82
	v_min_u32_e32 v64, 32, v6
	s_delay_alu instid0(VALU_DEP_1) | instskip(NEXT) | instid1(VALU_DEP_1)
	v_subrev_nc_u32_e32 v6, 28, v64
	v_lshlrev_b64_e32 v[6:7], v6, v[54:55]
	s_delay_alu instid0(VALU_DEP_1)
	v_dual_sub_nc_u32 v84, 29, v64 :: v_dual_bitop2_b32 v82, 7, v6 bitop3:0x40
; %bb.3847:                             ;   in Loop: Header=BB302_2086 Depth=1
	s_or_b32 exec_lo, exec_lo, s26
	v_lshlrev_b32_e32 v6, 8, v83
	s_delay_alu instid0(VALU_DEP_2) | instskip(NEXT) | instid1(VALU_DEP_1)
	v_lshl_add_u32 v7, v84, 10, 0x2000
	v_and_or_b32 v6, 0x8000, v6, v7
	v_lshlrev_b32_e32 v7, 23, v82
	s_delay_alu instid0(VALU_DEP_1)
	v_lshl_or_b32 v82, v6, 16, v7
.LBB302_3848:                           ;   in Loop: Header=BB302_2086 Depth=1
	s_or_b32 exec_lo, exec_lo, s25
.LBB302_3849:                           ;   in Loop: Header=BB302_2086 Depth=1
	s_delay_alu instid0(SALU_CYCLE_1)
	s_or_b32 exec_lo, exec_lo, s24
.LBB302_3850:                           ;   in Loop: Header=BB302_2086 Depth=1
	s_delay_alu instid0(SALU_CYCLE_1) | instskip(SKIP_2) | instid1(VALU_DEP_1)
	s_or_b32 exec_lo, exec_lo, s23
	v_lshrrev_b32_e32 v54, 16, v81
	s_mov_b32 s23, exec_lo
	v_and_b32_e32 v83, 0xff, v54
	s_delay_alu instid0(VALU_DEP_1)
	v_cmpx_ne_u16_e32 0, v83
	s_cbranch_execz .LBB302_3858
; %bb.3851:                             ;   in Loop: Header=BB302_2086 Depth=1
	v_mov_b32_e32 v71, 0x8000
	s_mov_b32 s24, exec_lo
	v_cmpx_ne_u16_e32 0x80, v83
	s_cbranch_execz .LBB302_3857
; %bb.3852:                             ;   in Loop: Header=BB302_2086 Depth=1
	v_bfe_u32 v84, v81, 16, 7
	v_mov_b32_e32 v71, 0x7c01
	s_mov_b32 s25, exec_lo
	s_delay_alu instid0(VALU_DEP_2)
	v_cmpx_ne_u32_e32 0x7f, v84
	s_cbranch_execz .LBB302_3856
; %bb.3853:                             ;   in Loop: Header=BB302_2086 Depth=1
	v_dual_lshrrev_b32 v83, 3, v84 :: v_dual_bitop2_b32 v71, 7, v54 bitop3:0x40
	s_mov_b32 s26, exec_lo
	v_cmpx_gt_u32_e32 8, v84
; %bb.3854:                             ;   in Loop: Header=BB302_2086 Depth=1
	s_delay_alu instid0(VALU_DEP_2) | instskip(NEXT) | instid1(VALU_DEP_1)
	v_clz_i32_u32_e32 v6, v71
	v_min_u32_e32 v64, 32, v6
	s_delay_alu instid0(VALU_DEP_1) | instskip(NEXT) | instid1(VALU_DEP_1)
	v_subrev_nc_u32_e32 v6, 28, v64
	v_lshlrev_b64_e32 v[6:7], v6, v[54:55]
	s_delay_alu instid0(VALU_DEP_1)
	v_dual_sub_nc_u32 v83, 29, v64 :: v_dual_bitop2_b32 v71, 7, v6 bitop3:0x40
; %bb.3855:                             ;   in Loop: Header=BB302_2086 Depth=1
	s_or_b32 exec_lo, exec_lo, s26
	s_delay_alu instid0(VALU_DEP_1) | instskip(NEXT) | instid1(VALU_DEP_2)
	v_dual_lshlrev_b32 v6, 8, v54 :: v_dual_lshlrev_b32 v54, 7, v71
	v_lshl_add_u32 v7, v83, 10, 0x2000
	s_delay_alu instid0(VALU_DEP_2) | instskip(NEXT) | instid1(VALU_DEP_2)
	v_and_b32_e32 v6, 0x8000, v6
	v_and_b32_e32 v7, 0xfc00, v7
	s_delay_alu instid0(VALU_DEP_1)
	v_or3_b32 v71, v6, v7, v54
.LBB302_3856:                           ;   in Loop: Header=BB302_2086 Depth=1
	s_or_b32 exec_lo, exec_lo, s25
.LBB302_3857:                           ;   in Loop: Header=BB302_2086 Depth=1
	s_delay_alu instid0(SALU_CYCLE_1)
	s_or_b32 exec_lo, exec_lo, s24
.LBB302_3858:                           ;   in Loop: Header=BB302_2086 Depth=1
	s_delay_alu instid0(SALU_CYCLE_1)
	s_or_b32 exec_lo, exec_lo, s23
	v_cmp_lt_u64_e64 s8, s[16:17], v[80:81]
	v_mov_b32_e32 v80, 0
	s_and_saveexec_b32 s23, s8
	s_cbranch_execz .LBB302_3866
; %bb.3859:                             ;   in Loop: Header=BB302_2086 Depth=1
	v_lshrrev_b32_e32 v54, 24, v81
	v_bfrev_b32_e32 v80, 1
	s_mov_b32 s24, exec_lo
	s_delay_alu instid0(VALU_DEP_2)
	v_cmpx_ne_u32_e32 0x80, v54
	s_cbranch_execz .LBB302_3865
; %bb.3860:                             ;   in Loop: Header=BB302_2086 Depth=1
	v_and_b32_e32 v83, 0x7f, v54
	v_mov_b32_e32 v80, 0x7c010000
	s_mov_b32 s25, exec_lo
	s_delay_alu instid0(VALU_DEP_2)
	v_cmpx_ne_u32_e32 0x7f, v83
	s_cbranch_execz .LBB302_3864
; %bb.3861:                             ;   in Loop: Header=BB302_2086 Depth=1
	v_dual_lshrrev_b32 v81, 3, v83 :: v_dual_bitop2_b32 v80, 7, v54 bitop3:0x40
	s_mov_b32 s26, exec_lo
	v_cmpx_gt_u32_e32 8, v83
; %bb.3862:                             ;   in Loop: Header=BB302_2086 Depth=1
	s_delay_alu instid0(VALU_DEP_2) | instskip(NEXT) | instid1(VALU_DEP_1)
	v_clz_i32_u32_e32 v6, v80
	v_min_u32_e32 v64, 32, v6
	s_delay_alu instid0(VALU_DEP_1) | instskip(NEXT) | instid1(VALU_DEP_1)
	v_subrev_nc_u32_e32 v6, 28, v64
	v_lshlrev_b64_e32 v[6:7], v6, v[54:55]
	s_delay_alu instid0(VALU_DEP_1)
	v_dual_sub_nc_u32 v81, 29, v64 :: v_dual_bitop2_b32 v80, 7, v6 bitop3:0x40
; %bb.3863:                             ;   in Loop: Header=BB302_2086 Depth=1
	s_or_b32 exec_lo, exec_lo, s26
	v_lshlrev_b32_e32 v6, 8, v54
	s_delay_alu instid0(VALU_DEP_2) | instskip(NEXT) | instid1(VALU_DEP_1)
	v_lshl_add_u32 v7, v81, 10, 0x2000
	v_and_or_b32 v6, 0x8000, v6, v7
	v_lshlrev_b32_e32 v7, 23, v80
	s_delay_alu instid0(VALU_DEP_1)
	v_lshl_or_b32 v80, v6, 16, v7
.LBB302_3864:                           ;   in Loop: Header=BB302_2086 Depth=1
	s_or_b32 exec_lo, exec_lo, s25
.LBB302_3865:                           ;   in Loop: Header=BB302_2086 Depth=1
	s_delay_alu instid0(SALU_CYCLE_1)
	s_or_b32 exec_lo, exec_lo, s24
.LBB302_3866:                           ;   in Loop: Header=BB302_2086 Depth=1
	s_delay_alu instid0(SALU_CYCLE_1) | instskip(SKIP_3) | instid1(VALU_DEP_3)
	s_or_b32 exec_lo, exec_lo, s23
	v_dual_lshrrev_b32 v6, 16, v0 :: v_dual_bitop2_b32 v54, v0, v1 bitop3:0x54
	v_dual_lshrrev_b32 v7, 16, v12 :: v_dual_bitop2_b32 v12, v12, v18 bitop3:0x54
	;; [unrolled: 1-line block ×3, first 2 shown]
	v_cvt_f32_f16_e32 v1, v6
	s_delay_alu instid0(VALU_DEP_3)
	v_cvt_f32_f16_e32 v0, v7
	v_lshrrev_b32_e32 v65, 16, v80
	v_cvt_f32_f16_e32 v6, v12
	v_or_b32_e32 v12, v82, v19
	v_cvt_f32_f16_e32 v7, v54
	s_wait_loadcnt_dscnt 0x0
	v_pk_mul_f32 v[0:1], v[70:71], v[0:1] op_sel_hi:[0,1]
	v_cvt_f32_f16_e32 v19, v18
	v_cvt_f32_f16_e32 v18, v65
	;; [unrolled: 1-line block ×4, first 2 shown]
	v_pk_mul_f32 v[6:7], v[70:71], v[6:7] op_sel_hi:[0,1]
	v_cvt_pk_f16_f32 v12, v0, v1
	v_pk_mul_f32 v[0:1], v[70:71], v[18:19] op_sel_hi:[0,1]
	s_delay_alu instid0(VALU_DEP_4) | instskip(NEXT) | instid1(VALU_DEP_4)
	v_pk_mul_f32 v[18:19], v[70:71], v[64:65] op_sel_hi:[0,1]
	v_cvt_pk_f16_f32 v6, v6, v7
	s_delay_alu instid0(VALU_DEP_4) | instskip(NEXT) | instid1(VALU_DEP_4)
	v_and_b32_e32 v71, 0xffff0000, v12
	v_cvt_pk_f16_f32 v0, v0, v1
	v_lshlrev_b32_e32 v82, 16, v12
	v_cvt_pk_f16_f32 v1, v18, v19
	v_lshrrev_b32_e32 v87, 16, v6
	v_and_b32_e32 v86, 0xffff, v6
	v_and_b32_e32 v19, 0xffff0000, v0
	s_delay_alu instid0(VALU_DEP_4) | instskip(SKIP_3) | instid1(VALU_DEP_4)
	v_dual_lshlrev_b32 v54, 16, v0 :: v_dual_lshrrev_b32 v85, 16, v1
	v_and_b32_e32 v84, 0xffff, v1
	v_or_b32_e32 v83, v71, v87
	v_or_b32_e32 v80, v82, v86
	;; [unrolled: 1-line block ×3, first 2 shown]
	s_delay_alu instid0(VALU_DEP_4)
	v_or_b32_e32 v70, v54, v84
	s_and_saveexec_b32 s8, s3
	s_cbranch_execz .LBB302_3868
; %bb.3867:                             ;   in Loop: Header=BB302_2086 Depth=1
	v_dual_cndmask_b32 v0, 0, v87, vcc_lo :: v_dual_cndmask_b32 v1, 0, v86, s0
	v_dual_cndmask_b32 v6, 0, v71, s1 :: v_dual_cndmask_b32 v7, 0, v82, s2
	v_dual_cndmask_b32 v12, 0, v85, s4 :: v_dual_cndmask_b32 v18, 0, v84, s5
	v_dual_cndmask_b32 v19, 0, v19, s6 :: v_dual_cndmask_b32 v54, 0, v54, s7
	s_delay_alu instid0(VALU_DEP_3) | instskip(NEXT) | instid1(VALU_DEP_4)
	v_or_b32_e32 v83, v0, v6
	v_or_b32_e32 v80, v1, v7
	s_delay_alu instid0(VALU_DEP_3) | instskip(NEXT) | instid1(VALU_DEP_4)
	v_or_b32_e32 v81, v12, v19
	v_or_b32_e32 v70, v18, v54
.LBB302_3868:                           ;   in Loop: Header=BB302_2086 Depth=1
	s_or_b32 exec_lo, exec_lo, s8
	;;#ASMSTART
	v_pk_mul_f16 v0, v112, v83;

	;;#ASMEND
	;;#ASMSTART
	v_pk_mul_f16 v1, v103, v80;

	;;#ASMEND
	;; [unrolled: 4-line block ×4, first 2 shown]
	;;#ASMSTART
	v_pk_add_f16 v0, v0, v1;

	;;#ASMEND
	;;#ASMSTART
	v_pk_add_f16 v0, v0, v6;

	;;#ASMEND
	;; [unrolled: 4-line block ×3, first 2 shown]
	v_and_b32_e32 v1, 0xffff, v0
	v_lshrrev_b32_e32 v0, 16, v0
	;;#ASMSTART
	v_cvt_f32_f16 v125, v1;
	;;#ASMEND
	v_mov_b32_e32 v1, 0
	;;#ASMSTART
	v_cvt_f32_f16 v126, v0;
	;;#ASMEND
	flat_load_b64 v[80:81], v[68:69] offset:6912
	flat_load_b32 v70, v[22:23]
	v_mov_b32_e32 v0, 0
	s_mov_b32 s23, exec_lo
	s_wait_loadcnt_dscnt 0x101
	v_and_b32_e32 v12, 0xff, v80
	s_wait_xcnt 0x0
	s_delay_alu instid0(VALU_DEP_1)
	v_cmpx_ne_u16_e32 0, v12
	s_cbranch_execz .LBB302_3876
; %bb.3869:                             ;   in Loop: Header=BB302_2086 Depth=1
	v_mov_b32_e32 v1, 0x8000
	s_mov_b32 s24, exec_lo
	v_cmpx_ne_u16_e32 0x80, v12
	s_cbranch_execz .LBB302_3875
; %bb.3870:                             ;   in Loop: Header=BB302_2086 Depth=1
	v_and_b32_e32 v18, 0x7f, v80
	v_mov_b32_e32 v1, 0x7c01
	s_mov_b32 s25, exec_lo
	s_delay_alu instid0(VALU_DEP_2)
	v_cmpx_ne_u32_e32 0x7f, v18
	s_cbranch_execz .LBB302_3874
; %bb.3871:                             ;   in Loop: Header=BB302_2086 Depth=1
	v_dual_lshrrev_b32 v12, 3, v18 :: v_dual_bitop2_b32 v1, 7, v80 bitop3:0x40
	s_mov_b32 s26, exec_lo
	v_cmpx_gt_u32_e32 8, v18
; %bb.3872:                             ;   in Loop: Header=BB302_2086 Depth=1
	s_delay_alu instid0(VALU_DEP_2) | instskip(NEXT) | instid1(VALU_DEP_1)
	v_clz_i32_u32_e32 v1, v1
	v_min_u32_e32 v1, 32, v1
	s_delay_alu instid0(VALU_DEP_1) | instskip(NEXT) | instid1(VALU_DEP_1)
	v_subrev_nc_u32_e32 v6, 28, v1
	v_lshlrev_b64_e32 v[6:7], v6, v[80:81]
	s_delay_alu instid0(VALU_DEP_1)
	v_dual_sub_nc_u32 v12, 29, v1 :: v_dual_bitop2_b32 v1, 7, v6 bitop3:0x40
; %bb.3873:                             ;   in Loop: Header=BB302_2086 Depth=1
	s_or_b32 exec_lo, exec_lo, s26
	s_delay_alu instid0(VALU_DEP_1) | instskip(NEXT) | instid1(VALU_DEP_2)
	v_dual_lshlrev_b32 v6, 8, v80 :: v_dual_lshlrev_b32 v1, 7, v1
	v_lshl_add_u32 v7, v12, 10, 0x2000
	s_delay_alu instid0(VALU_DEP_2) | instskip(NEXT) | instid1(VALU_DEP_2)
	v_and_b32_e32 v6, 0x8000, v6
	v_and_b32_e32 v7, 0xfc00, v7
	s_delay_alu instid0(VALU_DEP_1)
	v_or3_b32 v1, v6, v7, v1
.LBB302_3874:                           ;   in Loop: Header=BB302_2086 Depth=1
	s_or_b32 exec_lo, exec_lo, s25
.LBB302_3875:                           ;   in Loop: Header=BB302_2086 Depth=1
	s_delay_alu instid0(SALU_CYCLE_1)
	s_or_b32 exec_lo, exec_lo, s24
.LBB302_3876:                           ;   in Loop: Header=BB302_2086 Depth=1
	s_delay_alu instid0(SALU_CYCLE_1) | instskip(SKIP_2) | instid1(VALU_DEP_1)
	s_or_b32 exec_lo, exec_lo, s23
	v_lshrrev_b16 v54, 8, v80
	s_mov_b32 s23, exec_lo
	v_cmpx_ne_u16_e32 0, v54
	s_cbranch_execz .LBB302_3884
; %bb.3877:                             ;   in Loop: Header=BB302_2086 Depth=1
	v_bfrev_b32_e32 v0, 1
	s_mov_b32 s24, exec_lo
	v_cmpx_ne_u16_e32 0x80, v54
	s_cbranch_execz .LBB302_3883
; %bb.3878:                             ;   in Loop: Header=BB302_2086 Depth=1
	v_and_b32_e32 v12, 0xffff, v54
	v_mov_b32_e32 v0, 0x7c010000
	s_mov_b32 s25, exec_lo
	s_delay_alu instid0(VALU_DEP_2) | instskip(NEXT) | instid1(VALU_DEP_1)
	v_and_b32_e32 v19, 0x7f, v12
	v_cmpx_ne_u32_e32 0x7f, v19
	s_cbranch_execz .LBB302_3882
; %bb.3879:                             ;   in Loop: Header=BB302_2086 Depth=1
	v_dual_lshrrev_b32 v18, 3, v19 :: v_dual_bitop2_b32 v0, 7, v12 bitop3:0x40
	s_mov_b32 s26, exec_lo
	v_cmpx_gt_u32_e32 8, v19
; %bb.3880:                             ;   in Loop: Header=BB302_2086 Depth=1
	s_delay_alu instid0(VALU_DEP_2) | instskip(NEXT) | instid1(VALU_DEP_1)
	v_clz_i32_u32_e32 v0, v0
	v_min_u32_e32 v0, 32, v0
	s_delay_alu instid0(VALU_DEP_1) | instskip(NEXT) | instid1(VALU_DEP_1)
	v_subrev_nc_u32_e32 v6, 28, v0
	v_lshlrev_b64_e32 v[6:7], v6, v[54:55]
	s_delay_alu instid0(VALU_DEP_1)
	v_dual_sub_nc_u32 v18, 29, v0 :: v_dual_bitop2_b32 v0, 7, v6 bitop3:0x40
; %bb.3881:                             ;   in Loop: Header=BB302_2086 Depth=1
	s_or_b32 exec_lo, exec_lo, s26
	v_lshlrev_b32_e32 v6, 8, v12
	s_delay_alu instid0(VALU_DEP_2) | instskip(NEXT) | instid1(VALU_DEP_3)
	v_lshl_add_u32 v7, v18, 10, 0x2000
	v_lshlrev_b32_e32 v0, 23, v0
	s_delay_alu instid0(VALU_DEP_2) | instskip(NEXT) | instid1(VALU_DEP_1)
	v_and_or_b32 v6, 0x8000, v6, v7
	v_lshl_or_b32 v0, v6, 16, v0
.LBB302_3882:                           ;   in Loop: Header=BB302_2086 Depth=1
	s_or_b32 exec_lo, exec_lo, s25
.LBB302_3883:                           ;   in Loop: Header=BB302_2086 Depth=1
	s_delay_alu instid0(SALU_CYCLE_1)
	s_or_b32 exec_lo, exec_lo, s24
.LBB302_3884:                           ;   in Loop: Header=BB302_2086 Depth=1
	s_delay_alu instid0(SALU_CYCLE_1) | instskip(SKIP_3) | instid1(VALU_DEP_2)
	s_or_b32 exec_lo, exec_lo, s23
	v_dual_lshrrev_b32 v54, 16, v80 :: v_dual_mov_b32 v12, 0
	v_mov_b32_e32 v18, 0
	s_mov_b32 s23, exec_lo
	v_and_b32_e32 v19, 0xff, v54
	s_delay_alu instid0(VALU_DEP_1)
	v_cmpx_ne_u16_e32 0, v19
	s_cbranch_execz .LBB302_3892
; %bb.3885:                             ;   in Loop: Header=BB302_2086 Depth=1
	v_mov_b32_e32 v18, 0x8000
	s_mov_b32 s24, exec_lo
	v_cmpx_ne_u16_e32 0x80, v19
	s_cbranch_execz .LBB302_3891
; %bb.3886:                             ;   in Loop: Header=BB302_2086 Depth=1
	v_bfe_u32 v71, v80, 16, 7
	v_mov_b32_e32 v18, 0x7c01
	s_mov_b32 s25, exec_lo
	s_delay_alu instid0(VALU_DEP_2)
	v_cmpx_ne_u32_e32 0x7f, v71
	s_cbranch_execz .LBB302_3890
; %bb.3887:                             ;   in Loop: Header=BB302_2086 Depth=1
	v_dual_lshrrev_b32 v19, 3, v71 :: v_dual_bitop2_b32 v18, 7, v54 bitop3:0x40
	s_mov_b32 s26, exec_lo
	v_cmpx_gt_u32_e32 8, v71
; %bb.3888:                             ;   in Loop: Header=BB302_2086 Depth=1
	s_delay_alu instid0(VALU_DEP_2) | instskip(NEXT) | instid1(VALU_DEP_1)
	v_clz_i32_u32_e32 v6, v18
	v_min_u32_e32 v18, 32, v6
	s_delay_alu instid0(VALU_DEP_1) | instskip(SKIP_1) | instid1(VALU_DEP_2)
	v_subrev_nc_u32_e32 v6, 28, v18
	v_sub_nc_u32_e32 v19, 29, v18
	v_lshlrev_b64_e32 v[6:7], v6, v[54:55]
	s_delay_alu instid0(VALU_DEP_1)
	v_and_b32_e32 v18, 7, v6
; %bb.3889:                             ;   in Loop: Header=BB302_2086 Depth=1
	s_or_b32 exec_lo, exec_lo, s26
	v_lshlrev_b32_e32 v6, 8, v54
	v_lshl_add_u32 v7, v19, 10, 0x2000
	s_delay_alu instid0(VALU_DEP_3) | instskip(NEXT) | instid1(VALU_DEP_3)
	v_lshlrev_b32_e32 v18, 7, v18
	v_and_b32_e32 v6, 0x8000, v6
	s_delay_alu instid0(VALU_DEP_3) | instskip(NEXT) | instid1(VALU_DEP_1)
	v_and_b32_e32 v7, 0xfc00, v7
	v_or3_b32 v18, v6, v7, v18
.LBB302_3890:                           ;   in Loop: Header=BB302_2086 Depth=1
	s_or_b32 exec_lo, exec_lo, s25
.LBB302_3891:                           ;   in Loop: Header=BB302_2086 Depth=1
	s_delay_alu instid0(SALU_CYCLE_1)
	s_or_b32 exec_lo, exec_lo, s24
.LBB302_3892:                           ;   in Loop: Header=BB302_2086 Depth=1
	s_delay_alu instid0(SALU_CYCLE_1) | instskip(NEXT) | instid1(SALU_CYCLE_1)
	s_or_b32 exec_lo, exec_lo, s23
	s_mov_b32 s23, exec_lo
	v_cmpx_lt_u32_e32 0xffffff, v80
	s_cbranch_execz .LBB302_3900
; %bb.3893:                             ;   in Loop: Header=BB302_2086 Depth=1
	v_lshrrev_b32_e32 v54, 24, v80
	v_bfrev_b32_e32 v12, 1
	s_mov_b32 s24, exec_lo
	s_delay_alu instid0(VALU_DEP_2)
	v_cmpx_ne_u32_e32 0x80, v54
	s_cbranch_execz .LBB302_3899
; %bb.3894:                             ;   in Loop: Header=BB302_2086 Depth=1
	v_and_b32_e32 v71, 0x7f, v54
	v_mov_b32_e32 v12, 0x7c010000
	s_mov_b32 s25, exec_lo
	s_delay_alu instid0(VALU_DEP_2)
	v_cmpx_ne_u32_e32 0x7f, v71
	s_cbranch_execz .LBB302_3898
; %bb.3895:                             ;   in Loop: Header=BB302_2086 Depth=1
	v_dual_lshrrev_b32 v19, 3, v71 :: v_dual_bitop2_b32 v12, 7, v54 bitop3:0x40
	s_mov_b32 s26, exec_lo
	v_cmpx_gt_u32_e32 8, v71
; %bb.3896:                             ;   in Loop: Header=BB302_2086 Depth=1
	s_delay_alu instid0(VALU_DEP_2) | instskip(NEXT) | instid1(VALU_DEP_1)
	v_clz_i32_u32_e32 v6, v12
	v_min_u32_e32 v12, 32, v6
	s_delay_alu instid0(VALU_DEP_1) | instskip(NEXT) | instid1(VALU_DEP_1)
	v_subrev_nc_u32_e32 v6, 28, v12
	v_lshlrev_b64_e32 v[6:7], v6, v[54:55]
	s_delay_alu instid0(VALU_DEP_1)
	v_dual_sub_nc_u32 v19, 29, v12 :: v_dual_bitop2_b32 v12, 7, v6 bitop3:0x40
; %bb.3897:                             ;   in Loop: Header=BB302_2086 Depth=1
	s_or_b32 exec_lo, exec_lo, s26
	v_lshlrev_b32_e32 v6, 8, v54
	s_delay_alu instid0(VALU_DEP_2) | instskip(NEXT) | instid1(VALU_DEP_1)
	v_lshl_add_u32 v7, v19, 10, 0x2000
	v_and_or_b32 v6, 0x8000, v6, v7
	v_lshlrev_b32_e32 v7, 23, v12
	s_delay_alu instid0(VALU_DEP_1)
	v_lshl_or_b32 v12, v6, 16, v7
.LBB302_3898:                           ;   in Loop: Header=BB302_2086 Depth=1
	s_or_b32 exec_lo, exec_lo, s25
.LBB302_3899:                           ;   in Loop: Header=BB302_2086 Depth=1
	s_delay_alu instid0(SALU_CYCLE_1)
	s_or_b32 exec_lo, exec_lo, s24
.LBB302_3900:                           ;   in Loop: Header=BB302_2086 Depth=1
	s_delay_alu instid0(SALU_CYCLE_1) | instskip(SKIP_4) | instid1(VALU_DEP_3)
	s_or_b32 exec_lo, exec_lo, s23
	v_and_b32_e32 v82, 0xff, v81
	v_dual_mov_b32 v54, v81 :: v_dual_mov_b32 v71, 0
	v_mov_b32_e32 v19, 0
	s_mov_b32 s23, exec_lo
	v_cmpx_ne_u16_e32 0, v82
	s_cbranch_execz .LBB302_3908
; %bb.3901:                             ;   in Loop: Header=BB302_2086 Depth=1
	v_mov_b32_e32 v19, 0x8000
	s_mov_b32 s24, exec_lo
	v_cmpx_ne_u16_e32 0x80, v82
	s_cbranch_execz .LBB302_3907
; %bb.3902:                             ;   in Loop: Header=BB302_2086 Depth=1
	v_and_b32_e32 v83, 0x7f, v81
	v_mov_b32_e32 v19, 0x7c01
	s_mov_b32 s25, exec_lo
	s_delay_alu instid0(VALU_DEP_2)
	v_cmpx_ne_u32_e32 0x7f, v83
	s_cbranch_execz .LBB302_3906
; %bb.3903:                             ;   in Loop: Header=BB302_2086 Depth=1
	v_dual_lshrrev_b32 v82, 3, v83 :: v_dual_bitop2_b32 v19, 7, v81 bitop3:0x40
	s_mov_b32 s26, exec_lo
	v_cmpx_gt_u32_e32 8, v83
; %bb.3904:                             ;   in Loop: Header=BB302_2086 Depth=1
	s_delay_alu instid0(VALU_DEP_2) | instskip(NEXT) | instid1(VALU_DEP_1)
	v_clz_i32_u32_e32 v6, v19
	v_min_u32_e32 v19, 32, v6
	s_delay_alu instid0(VALU_DEP_1) | instskip(NEXT) | instid1(VALU_DEP_1)
	v_subrev_nc_u32_e32 v6, 28, v19
	v_lshlrev_b64_e32 v[6:7], v6, v[54:55]
	s_delay_alu instid0(VALU_DEP_1)
	v_dual_sub_nc_u32 v82, 29, v19 :: v_dual_bitop2_b32 v19, 7, v6 bitop3:0x40
; %bb.3905:                             ;   in Loop: Header=BB302_2086 Depth=1
	s_or_b32 exec_lo, exec_lo, s26
	s_delay_alu instid0(VALU_DEP_1) | instskip(NEXT) | instid1(VALU_DEP_2)
	v_dual_lshlrev_b32 v6, 8, v81 :: v_dual_lshlrev_b32 v19, 7, v19
	v_lshl_add_u32 v7, v82, 10, 0x2000
	s_delay_alu instid0(VALU_DEP_2) | instskip(NEXT) | instid1(VALU_DEP_2)
	v_and_b32_e32 v6, 0x8000, v6
	v_and_b32_e32 v7, 0xfc00, v7
	s_delay_alu instid0(VALU_DEP_1)
	v_or3_b32 v19, v6, v7, v19
.LBB302_3906:                           ;   in Loop: Header=BB302_2086 Depth=1
	s_or_b32 exec_lo, exec_lo, s25
.LBB302_3907:                           ;   in Loop: Header=BB302_2086 Depth=1
	s_delay_alu instid0(SALU_CYCLE_1)
	s_or_b32 exec_lo, exec_lo, s24
.LBB302_3908:                           ;   in Loop: Header=BB302_2086 Depth=1
	s_delay_alu instid0(SALU_CYCLE_1) | instskip(SKIP_3) | instid1(VALU_DEP_2)
	s_or_b32 exec_lo, exec_lo, s23
	v_lshrrev_b16 v54, 8, v54
	v_mov_b32_e32 v82, 0
	s_mov_b32 s23, exec_lo
	v_cmpx_ne_u16_e32 0, v54
	s_cbranch_execz .LBB302_3916
; %bb.3909:                             ;   in Loop: Header=BB302_2086 Depth=1
	v_bfrev_b32_e32 v82, 1
	s_mov_b32 s24, exec_lo
	v_cmpx_ne_u16_e32 0x80, v54
	s_cbranch_execz .LBB302_3915
; %bb.3910:                             ;   in Loop: Header=BB302_2086 Depth=1
	v_and_b32_e32 v83, 0xffff, v54
	v_mov_b32_e32 v82, 0x7c010000
	s_mov_b32 s25, exec_lo
	s_delay_alu instid0(VALU_DEP_2) | instskip(NEXT) | instid1(VALU_DEP_1)
	v_and_b32_e32 v85, 0x7f, v83
	v_cmpx_ne_u32_e32 0x7f, v85
	s_cbranch_execz .LBB302_3914
; %bb.3911:                             ;   in Loop: Header=BB302_2086 Depth=1
	v_dual_lshrrev_b32 v84, 3, v85 :: v_dual_bitop2_b32 v82, 7, v83 bitop3:0x40
	s_mov_b32 s26, exec_lo
	v_cmpx_gt_u32_e32 8, v85
; %bb.3912:                             ;   in Loop: Header=BB302_2086 Depth=1
	s_delay_alu instid0(VALU_DEP_2) | instskip(NEXT) | instid1(VALU_DEP_1)
	v_clz_i32_u32_e32 v6, v82
	v_min_u32_e32 v64, 32, v6
	s_delay_alu instid0(VALU_DEP_1) | instskip(NEXT) | instid1(VALU_DEP_1)
	v_subrev_nc_u32_e32 v6, 28, v64
	v_lshlrev_b64_e32 v[6:7], v6, v[54:55]
	s_delay_alu instid0(VALU_DEP_1)
	v_dual_sub_nc_u32 v84, 29, v64 :: v_dual_bitop2_b32 v82, 7, v6 bitop3:0x40
; %bb.3913:                             ;   in Loop: Header=BB302_2086 Depth=1
	s_or_b32 exec_lo, exec_lo, s26
	v_lshlrev_b32_e32 v6, 8, v83
	s_delay_alu instid0(VALU_DEP_2) | instskip(NEXT) | instid1(VALU_DEP_1)
	v_lshl_add_u32 v7, v84, 10, 0x2000
	v_and_or_b32 v6, 0x8000, v6, v7
	v_lshlrev_b32_e32 v7, 23, v82
	s_delay_alu instid0(VALU_DEP_1)
	v_lshl_or_b32 v82, v6, 16, v7
.LBB302_3914:                           ;   in Loop: Header=BB302_2086 Depth=1
	s_or_b32 exec_lo, exec_lo, s25
.LBB302_3915:                           ;   in Loop: Header=BB302_2086 Depth=1
	s_delay_alu instid0(SALU_CYCLE_1)
	s_or_b32 exec_lo, exec_lo, s24
.LBB302_3916:                           ;   in Loop: Header=BB302_2086 Depth=1
	s_delay_alu instid0(SALU_CYCLE_1) | instskip(SKIP_2) | instid1(VALU_DEP_1)
	s_or_b32 exec_lo, exec_lo, s23
	v_lshrrev_b32_e32 v54, 16, v81
	s_mov_b32 s23, exec_lo
	v_and_b32_e32 v83, 0xff, v54
	s_delay_alu instid0(VALU_DEP_1)
	v_cmpx_ne_u16_e32 0, v83
	s_cbranch_execz .LBB302_3924
; %bb.3917:                             ;   in Loop: Header=BB302_2086 Depth=1
	v_mov_b32_e32 v71, 0x8000
	s_mov_b32 s24, exec_lo
	v_cmpx_ne_u16_e32 0x80, v83
	s_cbranch_execz .LBB302_3923
; %bb.3918:                             ;   in Loop: Header=BB302_2086 Depth=1
	v_bfe_u32 v84, v81, 16, 7
	v_mov_b32_e32 v71, 0x7c01
	s_mov_b32 s25, exec_lo
	s_delay_alu instid0(VALU_DEP_2)
	v_cmpx_ne_u32_e32 0x7f, v84
	s_cbranch_execz .LBB302_3922
; %bb.3919:                             ;   in Loop: Header=BB302_2086 Depth=1
	v_dual_lshrrev_b32 v83, 3, v84 :: v_dual_bitop2_b32 v71, 7, v54 bitop3:0x40
	s_mov_b32 s26, exec_lo
	v_cmpx_gt_u32_e32 8, v84
; %bb.3920:                             ;   in Loop: Header=BB302_2086 Depth=1
	s_delay_alu instid0(VALU_DEP_2) | instskip(NEXT) | instid1(VALU_DEP_1)
	v_clz_i32_u32_e32 v6, v71
	v_min_u32_e32 v64, 32, v6
	s_delay_alu instid0(VALU_DEP_1) | instskip(NEXT) | instid1(VALU_DEP_1)
	v_subrev_nc_u32_e32 v6, 28, v64
	v_lshlrev_b64_e32 v[6:7], v6, v[54:55]
	s_delay_alu instid0(VALU_DEP_1)
	v_dual_sub_nc_u32 v83, 29, v64 :: v_dual_bitop2_b32 v71, 7, v6 bitop3:0x40
; %bb.3921:                             ;   in Loop: Header=BB302_2086 Depth=1
	s_or_b32 exec_lo, exec_lo, s26
	s_delay_alu instid0(VALU_DEP_1) | instskip(NEXT) | instid1(VALU_DEP_2)
	v_dual_lshlrev_b32 v6, 8, v54 :: v_dual_lshlrev_b32 v54, 7, v71
	v_lshl_add_u32 v7, v83, 10, 0x2000
	s_delay_alu instid0(VALU_DEP_2) | instskip(NEXT) | instid1(VALU_DEP_2)
	v_and_b32_e32 v6, 0x8000, v6
	v_and_b32_e32 v7, 0xfc00, v7
	s_delay_alu instid0(VALU_DEP_1)
	v_or3_b32 v71, v6, v7, v54
.LBB302_3922:                           ;   in Loop: Header=BB302_2086 Depth=1
	s_or_b32 exec_lo, exec_lo, s25
.LBB302_3923:                           ;   in Loop: Header=BB302_2086 Depth=1
	s_delay_alu instid0(SALU_CYCLE_1)
	s_or_b32 exec_lo, exec_lo, s24
.LBB302_3924:                           ;   in Loop: Header=BB302_2086 Depth=1
	s_delay_alu instid0(SALU_CYCLE_1)
	s_or_b32 exec_lo, exec_lo, s23
	v_cmp_lt_u64_e64 s8, s[16:17], v[80:81]
	v_mov_b32_e32 v80, 0
	s_and_saveexec_b32 s23, s8
	s_cbranch_execz .LBB302_3932
; %bb.3925:                             ;   in Loop: Header=BB302_2086 Depth=1
	v_lshrrev_b32_e32 v54, 24, v81
	v_bfrev_b32_e32 v80, 1
	s_mov_b32 s24, exec_lo
	s_delay_alu instid0(VALU_DEP_2)
	v_cmpx_ne_u32_e32 0x80, v54
	s_cbranch_execz .LBB302_3931
; %bb.3926:                             ;   in Loop: Header=BB302_2086 Depth=1
	v_and_b32_e32 v83, 0x7f, v54
	v_mov_b32_e32 v80, 0x7c010000
	s_mov_b32 s25, exec_lo
	s_delay_alu instid0(VALU_DEP_2)
	v_cmpx_ne_u32_e32 0x7f, v83
	s_cbranch_execz .LBB302_3930
; %bb.3927:                             ;   in Loop: Header=BB302_2086 Depth=1
	v_dual_lshrrev_b32 v81, 3, v83 :: v_dual_bitop2_b32 v80, 7, v54 bitop3:0x40
	s_mov_b32 s26, exec_lo
	v_cmpx_gt_u32_e32 8, v83
; %bb.3928:                             ;   in Loop: Header=BB302_2086 Depth=1
	s_delay_alu instid0(VALU_DEP_2) | instskip(NEXT) | instid1(VALU_DEP_1)
	v_clz_i32_u32_e32 v6, v80
	v_min_u32_e32 v64, 32, v6
	s_delay_alu instid0(VALU_DEP_1) | instskip(NEXT) | instid1(VALU_DEP_1)
	v_subrev_nc_u32_e32 v6, 28, v64
	v_lshlrev_b64_e32 v[6:7], v6, v[54:55]
	s_delay_alu instid0(VALU_DEP_1)
	v_dual_sub_nc_u32 v81, 29, v64 :: v_dual_bitop2_b32 v80, 7, v6 bitop3:0x40
; %bb.3929:                             ;   in Loop: Header=BB302_2086 Depth=1
	s_or_b32 exec_lo, exec_lo, s26
	v_lshlrev_b32_e32 v6, 8, v54
	s_delay_alu instid0(VALU_DEP_2) | instskip(NEXT) | instid1(VALU_DEP_1)
	v_lshl_add_u32 v7, v81, 10, 0x2000
	v_and_or_b32 v6, 0x8000, v6, v7
	v_lshlrev_b32_e32 v7, 23, v80
	s_delay_alu instid0(VALU_DEP_1)
	v_lshl_or_b32 v80, v6, 16, v7
.LBB302_3930:                           ;   in Loop: Header=BB302_2086 Depth=1
	s_or_b32 exec_lo, exec_lo, s25
.LBB302_3931:                           ;   in Loop: Header=BB302_2086 Depth=1
	s_delay_alu instid0(SALU_CYCLE_1)
	s_or_b32 exec_lo, exec_lo, s24
.LBB302_3932:                           ;   in Loop: Header=BB302_2086 Depth=1
	s_delay_alu instid0(SALU_CYCLE_1) | instskip(SKIP_3) | instid1(VALU_DEP_3)
	s_or_b32 exec_lo, exec_lo, s23
	v_dual_lshrrev_b32 v6, 16, v0 :: v_dual_bitop2_b32 v54, v0, v1 bitop3:0x54
	v_dual_lshrrev_b32 v7, 16, v12 :: v_dual_bitop2_b32 v12, v12, v18 bitop3:0x54
	;; [unrolled: 1-line block ×3, first 2 shown]
	v_cvt_f32_f16_e32 v1, v6
	s_delay_alu instid0(VALU_DEP_3)
	v_cvt_f32_f16_e32 v0, v7
	v_lshrrev_b32_e32 v65, 16, v80
	v_cvt_f32_f16_e32 v6, v12
	v_or_b32_e32 v12, v82, v19
	v_cvt_f32_f16_e32 v7, v54
	s_wait_loadcnt_dscnt 0x0
	v_pk_mul_f32 v[0:1], v[70:71], v[0:1] op_sel_hi:[0,1]
	v_cvt_f32_f16_e32 v19, v18
	v_cvt_f32_f16_e32 v18, v65
	v_cvt_f32_f16_e32 v64, v64
	v_cvt_f32_f16_e32 v65, v12
	v_pk_mul_f32 v[6:7], v[70:71], v[6:7] op_sel_hi:[0,1]
	v_cvt_pk_f16_f32 v12, v0, v1
	v_pk_mul_f32 v[0:1], v[70:71], v[18:19] op_sel_hi:[0,1]
	s_delay_alu instid0(VALU_DEP_4) | instskip(NEXT) | instid1(VALU_DEP_4)
	v_pk_mul_f32 v[18:19], v[70:71], v[64:65] op_sel_hi:[0,1]
	v_cvt_pk_f16_f32 v6, v6, v7
	s_delay_alu instid0(VALU_DEP_4) | instskip(NEXT) | instid1(VALU_DEP_4)
	v_and_b32_e32 v71, 0xffff0000, v12
	v_cvt_pk_f16_f32 v0, v0, v1
	v_lshlrev_b32_e32 v82, 16, v12
	v_cvt_pk_f16_f32 v1, v18, v19
	v_lshrrev_b32_e32 v87, 16, v6
	v_and_b32_e32 v86, 0xffff, v6
	v_and_b32_e32 v19, 0xffff0000, v0
	s_delay_alu instid0(VALU_DEP_4) | instskip(SKIP_3) | instid1(VALU_DEP_4)
	v_dual_lshlrev_b32 v54, 16, v0 :: v_dual_lshrrev_b32 v85, 16, v1
	v_and_b32_e32 v84, 0xffff, v1
	v_or_b32_e32 v83, v71, v87
	v_or_b32_e32 v80, v82, v86
	;; [unrolled: 1-line block ×3, first 2 shown]
	s_delay_alu instid0(VALU_DEP_4)
	v_or_b32_e32 v70, v54, v84
	s_and_saveexec_b32 s8, s3
	s_cbranch_execz .LBB302_3934
; %bb.3933:                             ;   in Loop: Header=BB302_2086 Depth=1
	v_dual_cndmask_b32 v0, 0, v87, vcc_lo :: v_dual_cndmask_b32 v1, 0, v86, s0
	v_dual_cndmask_b32 v6, 0, v71, s1 :: v_dual_cndmask_b32 v7, 0, v82, s2
	v_dual_cndmask_b32 v12, 0, v85, s4 :: v_dual_cndmask_b32 v18, 0, v84, s5
	;; [unrolled: 1-line block ×3, first 2 shown]
	s_delay_alu instid0(VALU_DEP_3) | instskip(NEXT) | instid1(VALU_DEP_4)
	v_or_b32_e32 v83, v0, v6
	v_or_b32_e32 v80, v1, v7
	s_delay_alu instid0(VALU_DEP_3) | instskip(NEXT) | instid1(VALU_DEP_4)
	v_or_b32_e32 v81, v12, v19
	v_or_b32_e32 v70, v18, v54
.LBB302_3934:                           ;   in Loop: Header=BB302_2086 Depth=1
	s_or_b32 exec_lo, exec_lo, s8
	;;#ASMSTART
	v_pk_mul_f16 v0, v112, v83;

	;;#ASMEND
	;;#ASMSTART
	v_pk_mul_f16 v1, v103, v80;

	;;#ASMEND
	;; [unrolled: 4-line block ×4, first 2 shown]
	;;#ASMSTART
	v_pk_add_f16 v0, v0, v1;

	;;#ASMEND
	;;#ASMSTART
	v_pk_add_f16 v0, v0, v6;

	;;#ASMEND
	;; [unrolled: 4-line block ×3, first 2 shown]
	v_and_b32_e32 v1, 0xffff, v0
	v_lshrrev_b32_e32 v0, 16, v0
	;;#ASMSTART
	v_cvt_f32_f16 v127, v1;
	;;#ASMEND
	v_mov_b32_e32 v1, 0
	;;#ASMSTART
	v_cvt_f32_f16 v6, v0;
	;;#ASMEND
	flat_load_b64 v[80:81], v[68:69] offset:7168
	flat_load_b32 v70, v[22:23]
	v_mov_b32_e32 v0, 0
	s_mov_b32 s23, exec_lo
	s_wait_loadcnt_dscnt 0x101
	v_and_b32_e32 v12, 0xff, v80
	s_wait_xcnt 0x0
	s_delay_alu instid0(VALU_DEP_1)
	v_cmpx_ne_u16_e32 0, v12
	s_cbranch_execz .LBB302_3942
; %bb.3935:                             ;   in Loop: Header=BB302_2086 Depth=1
	v_mov_b32_e32 v1, 0x8000
	s_mov_b32 s24, exec_lo
	v_cmpx_ne_u16_e32 0x80, v12
	s_cbranch_execz .LBB302_3941
; %bb.3936:                             ;   in Loop: Header=BB302_2086 Depth=1
	v_and_b32_e32 v18, 0x7f, v80
	v_mov_b32_e32 v1, 0x7c01
	s_mov_b32 s25, exec_lo
	s_delay_alu instid0(VALU_DEP_2)
	v_cmpx_ne_u32_e32 0x7f, v18
	s_cbranch_execz .LBB302_3940
; %bb.3937:                             ;   in Loop: Header=BB302_2086 Depth=1
	v_dual_lshrrev_b32 v12, 3, v18 :: v_dual_bitop2_b32 v1, 7, v80 bitop3:0x40
	s_mov_b32 s26, exec_lo
	v_cmpx_gt_u32_e32 8, v18
; %bb.3938:                             ;   in Loop: Header=BB302_2086 Depth=1
	s_delay_alu instid0(VALU_DEP_2) | instskip(NEXT) | instid1(VALU_DEP_1)
	v_clz_i32_u32_e32 v1, v1
	v_min_u32_e32 v1, 32, v1
	s_delay_alu instid0(VALU_DEP_1) | instskip(NEXT) | instid1(VALU_DEP_1)
	v_subrev_nc_u32_e32 v7, 28, v1
	v_lshlrev_b64_e32 v[18:19], v7, v[80:81]
	s_delay_alu instid0(VALU_DEP_1)
	v_dual_sub_nc_u32 v12, 29, v1 :: v_dual_bitop2_b32 v1, 7, v18 bitop3:0x40
; %bb.3939:                             ;   in Loop: Header=BB302_2086 Depth=1
	s_or_b32 exec_lo, exec_lo, s26
	s_delay_alu instid0(VALU_DEP_1) | instskip(NEXT) | instid1(VALU_DEP_2)
	v_dual_lshlrev_b32 v7, 8, v80 :: v_dual_lshlrev_b32 v1, 7, v1
	v_lshl_add_u32 v12, v12, 10, 0x2000
	s_delay_alu instid0(VALU_DEP_2) | instskip(NEXT) | instid1(VALU_DEP_2)
	v_and_b32_e32 v7, 0x8000, v7
	v_and_b32_e32 v12, 0xfc00, v12
	s_delay_alu instid0(VALU_DEP_1)
	v_or3_b32 v1, v7, v12, v1
.LBB302_3940:                           ;   in Loop: Header=BB302_2086 Depth=1
	s_or_b32 exec_lo, exec_lo, s25
.LBB302_3941:                           ;   in Loop: Header=BB302_2086 Depth=1
	s_delay_alu instid0(SALU_CYCLE_1)
	s_or_b32 exec_lo, exec_lo, s24
.LBB302_3942:                           ;   in Loop: Header=BB302_2086 Depth=1
	s_delay_alu instid0(SALU_CYCLE_1) | instskip(SKIP_2) | instid1(VALU_DEP_1)
	s_or_b32 exec_lo, exec_lo, s23
	v_lshrrev_b16 v54, 8, v80
	s_mov_b32 s23, exec_lo
	v_cmpx_ne_u16_e32 0, v54
	s_cbranch_execz .LBB302_3950
; %bb.3943:                             ;   in Loop: Header=BB302_2086 Depth=1
	v_bfrev_b32_e32 v0, 1
	s_mov_b32 s24, exec_lo
	v_cmpx_ne_u16_e32 0x80, v54
	s_cbranch_execz .LBB302_3949
; %bb.3944:                             ;   in Loop: Header=BB302_2086 Depth=1
	v_and_b32_e32 v12, 0xffff, v54
	v_mov_b32_e32 v0, 0x7c010000
	s_mov_b32 s25, exec_lo
	s_delay_alu instid0(VALU_DEP_2) | instskip(NEXT) | instid1(VALU_DEP_1)
	v_and_b32_e32 v19, 0x7f, v12
	v_cmpx_ne_u32_e32 0x7f, v19
	s_cbranch_execz .LBB302_3948
; %bb.3945:                             ;   in Loop: Header=BB302_2086 Depth=1
	v_dual_lshrrev_b32 v18, 3, v19 :: v_dual_bitop2_b32 v0, 7, v12 bitop3:0x40
	s_mov_b32 s26, exec_lo
	v_cmpx_gt_u32_e32 8, v19
; %bb.3946:                             ;   in Loop: Header=BB302_2086 Depth=1
	s_delay_alu instid0(VALU_DEP_2) | instskip(NEXT) | instid1(VALU_DEP_1)
	v_clz_i32_u32_e32 v0, v0
	v_min_u32_e32 v0, 32, v0
	s_delay_alu instid0(VALU_DEP_1) | instskip(SKIP_1) | instid1(VALU_DEP_2)
	v_subrev_nc_u32_e32 v7, 28, v0
	v_sub_nc_u32_e32 v18, 29, v0
	v_lshlrev_b64_e32 v[64:65], v7, v[54:55]
	s_delay_alu instid0(VALU_DEP_1)
	v_and_b32_e32 v0, 7, v64
; %bb.3947:                             ;   in Loop: Header=BB302_2086 Depth=1
	s_or_b32 exec_lo, exec_lo, s26
	v_lshlrev_b32_e32 v7, 8, v12
	v_lshl_add_u32 v12, v18, 10, 0x2000
	s_delay_alu instid0(VALU_DEP_3) | instskip(NEXT) | instid1(VALU_DEP_2)
	v_lshlrev_b32_e32 v0, 23, v0
	v_and_or_b32 v7, 0x8000, v7, v12
	s_delay_alu instid0(VALU_DEP_1)
	v_lshl_or_b32 v0, v7, 16, v0
.LBB302_3948:                           ;   in Loop: Header=BB302_2086 Depth=1
	s_or_b32 exec_lo, exec_lo, s25
.LBB302_3949:                           ;   in Loop: Header=BB302_2086 Depth=1
	s_delay_alu instid0(SALU_CYCLE_1)
	s_or_b32 exec_lo, exec_lo, s24
.LBB302_3950:                           ;   in Loop: Header=BB302_2086 Depth=1
	s_delay_alu instid0(SALU_CYCLE_1) | instskip(SKIP_3) | instid1(VALU_DEP_2)
	s_or_b32 exec_lo, exec_lo, s23
	v_dual_lshrrev_b32 v54, 16, v80 :: v_dual_mov_b32 v12, 0
	v_mov_b32_e32 v18, 0
	s_mov_b32 s23, exec_lo
	v_and_b32_e32 v19, 0xff, v54
	s_delay_alu instid0(VALU_DEP_1)
	v_cmpx_ne_u16_e32 0, v19
	s_cbranch_execz .LBB302_3958
; %bb.3951:                             ;   in Loop: Header=BB302_2086 Depth=1
	v_mov_b32_e32 v18, 0x8000
	s_mov_b32 s24, exec_lo
	v_cmpx_ne_u16_e32 0x80, v19
	s_cbranch_execz .LBB302_3957
; %bb.3952:                             ;   in Loop: Header=BB302_2086 Depth=1
	v_bfe_u32 v71, v80, 16, 7
	v_mov_b32_e32 v18, 0x7c01
	s_mov_b32 s25, exec_lo
	s_delay_alu instid0(VALU_DEP_2)
	v_cmpx_ne_u32_e32 0x7f, v71
	s_cbranch_execz .LBB302_3956
; %bb.3953:                             ;   in Loop: Header=BB302_2086 Depth=1
	v_dual_lshrrev_b32 v19, 3, v71 :: v_dual_bitop2_b32 v18, 7, v54 bitop3:0x40
	s_mov_b32 s26, exec_lo
	v_cmpx_gt_u32_e32 8, v71
; %bb.3954:                             ;   in Loop: Header=BB302_2086 Depth=1
	s_delay_alu instid0(VALU_DEP_2) | instskip(NEXT) | instid1(VALU_DEP_1)
	v_clz_i32_u32_e32 v7, v18
	v_min_u32_e32 v7, 32, v7
	s_delay_alu instid0(VALU_DEP_1) | instskip(NEXT) | instid1(VALU_DEP_1)
	v_subrev_nc_u32_e32 v18, 28, v7
	v_lshlrev_b64_e32 v[18:19], v18, v[54:55]
	s_delay_alu instid0(VALU_DEP_1)
	v_dual_sub_nc_u32 v19, 29, v7 :: v_dual_bitop2_b32 v18, 7, v18 bitop3:0x40
; %bb.3955:                             ;   in Loop: Header=BB302_2086 Depth=1
	s_or_b32 exec_lo, exec_lo, s26
	v_lshlrev_b32_e32 v7, 8, v54
	s_delay_alu instid0(VALU_DEP_2) | instskip(NEXT) | instid1(VALU_DEP_3)
	v_lshl_add_u32 v19, v19, 10, 0x2000
	v_lshlrev_b32_e32 v18, 7, v18
	s_delay_alu instid0(VALU_DEP_3) | instskip(NEXT) | instid1(VALU_DEP_3)
	v_and_b32_e32 v7, 0x8000, v7
	v_and_b32_e32 v19, 0xfc00, v19
	s_delay_alu instid0(VALU_DEP_1)
	v_or3_b32 v18, v7, v19, v18
.LBB302_3956:                           ;   in Loop: Header=BB302_2086 Depth=1
	s_or_b32 exec_lo, exec_lo, s25
.LBB302_3957:                           ;   in Loop: Header=BB302_2086 Depth=1
	s_delay_alu instid0(SALU_CYCLE_1)
	s_or_b32 exec_lo, exec_lo, s24
.LBB302_3958:                           ;   in Loop: Header=BB302_2086 Depth=1
	s_delay_alu instid0(SALU_CYCLE_1) | instskip(NEXT) | instid1(SALU_CYCLE_1)
	s_or_b32 exec_lo, exec_lo, s23
	s_mov_b32 s23, exec_lo
	v_cmpx_lt_u32_e32 0xffffff, v80
	s_cbranch_execz .LBB302_3966
; %bb.3959:                             ;   in Loop: Header=BB302_2086 Depth=1
	v_lshrrev_b32_e32 v54, 24, v80
	v_bfrev_b32_e32 v12, 1
	s_mov_b32 s24, exec_lo
	s_delay_alu instid0(VALU_DEP_2)
	v_cmpx_ne_u32_e32 0x80, v54
	s_cbranch_execz .LBB302_3965
; %bb.3960:                             ;   in Loop: Header=BB302_2086 Depth=1
	v_and_b32_e32 v71, 0x7f, v54
	v_mov_b32_e32 v12, 0x7c010000
	s_mov_b32 s25, exec_lo
	s_delay_alu instid0(VALU_DEP_2)
	v_cmpx_ne_u32_e32 0x7f, v71
	s_cbranch_execz .LBB302_3964
; %bb.3961:                             ;   in Loop: Header=BB302_2086 Depth=1
	v_dual_lshrrev_b32 v19, 3, v71 :: v_dual_bitop2_b32 v12, 7, v54 bitop3:0x40
	s_mov_b32 s26, exec_lo
	v_cmpx_gt_u32_e32 8, v71
; %bb.3962:                             ;   in Loop: Header=BB302_2086 Depth=1
	s_delay_alu instid0(VALU_DEP_2) | instskip(NEXT) | instid1(VALU_DEP_1)
	v_clz_i32_u32_e32 v7, v12
	v_min_u32_e32 v7, 32, v7
	s_delay_alu instid0(VALU_DEP_1) | instskip(NEXT) | instid1(VALU_DEP_1)
	v_subrev_nc_u32_e32 v12, 28, v7
	v_lshlrev_b64_e32 v[64:65], v12, v[54:55]
	s_delay_alu instid0(VALU_DEP_1)
	v_dual_sub_nc_u32 v19, 29, v7 :: v_dual_bitop2_b32 v12, 7, v64 bitop3:0x40
; %bb.3963:                             ;   in Loop: Header=BB302_2086 Depth=1
	s_or_b32 exec_lo, exec_lo, s26
	s_delay_alu instid0(VALU_DEP_1) | instskip(NEXT) | instid1(VALU_DEP_2)
	v_dual_lshlrev_b32 v7, 8, v54 :: v_dual_lshlrev_b32 v12, 23, v12
	v_lshl_add_u32 v19, v19, 10, 0x2000
	s_delay_alu instid0(VALU_DEP_1) | instskip(NEXT) | instid1(VALU_DEP_1)
	v_and_or_b32 v7, 0x8000, v7, v19
	v_lshl_or_b32 v12, v7, 16, v12
.LBB302_3964:                           ;   in Loop: Header=BB302_2086 Depth=1
	s_or_b32 exec_lo, exec_lo, s25
.LBB302_3965:                           ;   in Loop: Header=BB302_2086 Depth=1
	s_delay_alu instid0(SALU_CYCLE_1)
	s_or_b32 exec_lo, exec_lo, s24
.LBB302_3966:                           ;   in Loop: Header=BB302_2086 Depth=1
	s_delay_alu instid0(SALU_CYCLE_1) | instskip(SKIP_4) | instid1(VALU_DEP_3)
	s_or_b32 exec_lo, exec_lo, s23
	v_and_b32_e32 v82, 0xff, v81
	v_dual_mov_b32 v54, v81 :: v_dual_mov_b32 v71, 0
	v_mov_b32_e32 v19, 0
	s_mov_b32 s23, exec_lo
	v_cmpx_ne_u16_e32 0, v82
	s_cbranch_execz .LBB302_3974
; %bb.3967:                             ;   in Loop: Header=BB302_2086 Depth=1
	v_mov_b32_e32 v19, 0x8000
	s_mov_b32 s24, exec_lo
	v_cmpx_ne_u16_e32 0x80, v82
	s_cbranch_execz .LBB302_3973
; %bb.3968:                             ;   in Loop: Header=BB302_2086 Depth=1
	v_and_b32_e32 v83, 0x7f, v81
	v_mov_b32_e32 v19, 0x7c01
	s_mov_b32 s25, exec_lo
	s_delay_alu instid0(VALU_DEP_2)
	v_cmpx_ne_u32_e32 0x7f, v83
	s_cbranch_execz .LBB302_3972
; %bb.3969:                             ;   in Loop: Header=BB302_2086 Depth=1
	v_dual_lshrrev_b32 v82, 3, v83 :: v_dual_bitop2_b32 v19, 7, v81 bitop3:0x40
	s_mov_b32 s26, exec_lo
	v_cmpx_gt_u32_e32 8, v83
; %bb.3970:                             ;   in Loop: Header=BB302_2086 Depth=1
	s_delay_alu instid0(VALU_DEP_2) | instskip(NEXT) | instid1(VALU_DEP_1)
	v_clz_i32_u32_e32 v7, v19
	v_min_u32_e32 v7, 32, v7
	s_delay_alu instid0(VALU_DEP_1) | instskip(NEXT) | instid1(VALU_DEP_1)
	v_subrev_nc_u32_e32 v19, 28, v7
	v_lshlrev_b64_e32 v[64:65], v19, v[54:55]
	s_delay_alu instid0(VALU_DEP_1)
	v_dual_sub_nc_u32 v82, 29, v7 :: v_dual_bitop2_b32 v19, 7, v64 bitop3:0x40
; %bb.3971:                             ;   in Loop: Header=BB302_2086 Depth=1
	s_or_b32 exec_lo, exec_lo, s26
	s_delay_alu instid0(VALU_DEP_1) | instskip(NEXT) | instid1(VALU_DEP_2)
	v_dual_lshlrev_b32 v7, 8, v81 :: v_dual_lshlrev_b32 v19, 7, v19
	v_lshl_add_u32 v64, v82, 10, 0x2000
	s_delay_alu instid0(VALU_DEP_2) | instskip(NEXT) | instid1(VALU_DEP_2)
	v_and_b32_e32 v7, 0x8000, v7
	v_and_b32_e32 v64, 0xfc00, v64
	s_delay_alu instid0(VALU_DEP_1)
	v_or3_b32 v19, v7, v64, v19
.LBB302_3972:                           ;   in Loop: Header=BB302_2086 Depth=1
	s_or_b32 exec_lo, exec_lo, s25
.LBB302_3973:                           ;   in Loop: Header=BB302_2086 Depth=1
	s_delay_alu instid0(SALU_CYCLE_1)
	s_or_b32 exec_lo, exec_lo, s24
.LBB302_3974:                           ;   in Loop: Header=BB302_2086 Depth=1
	s_delay_alu instid0(SALU_CYCLE_1) | instskip(SKIP_3) | instid1(VALU_DEP_2)
	s_or_b32 exec_lo, exec_lo, s23
	v_lshrrev_b16 v54, 8, v54
	v_mov_b32_e32 v82, 0
	s_mov_b32 s23, exec_lo
	v_cmpx_ne_u16_e32 0, v54
	s_cbranch_execz .LBB302_3982
; %bb.3975:                             ;   in Loop: Header=BB302_2086 Depth=1
	v_bfrev_b32_e32 v82, 1
	s_mov_b32 s24, exec_lo
	v_cmpx_ne_u16_e32 0x80, v54
	s_cbranch_execz .LBB302_3981
; %bb.3976:                             ;   in Loop: Header=BB302_2086 Depth=1
	v_and_b32_e32 v83, 0xffff, v54
	v_mov_b32_e32 v82, 0x7c010000
	s_mov_b32 s25, exec_lo
	s_delay_alu instid0(VALU_DEP_2) | instskip(NEXT) | instid1(VALU_DEP_1)
	v_and_b32_e32 v85, 0x7f, v83
	v_cmpx_ne_u32_e32 0x7f, v85
	s_cbranch_execz .LBB302_3980
; %bb.3977:                             ;   in Loop: Header=BB302_2086 Depth=1
	v_dual_lshrrev_b32 v84, 3, v85 :: v_dual_bitop2_b32 v82, 7, v83 bitop3:0x40
	s_mov_b32 s26, exec_lo
	v_cmpx_gt_u32_e32 8, v85
; %bb.3978:                             ;   in Loop: Header=BB302_2086 Depth=1
	s_delay_alu instid0(VALU_DEP_2) | instskip(NEXT) | instid1(VALU_DEP_1)
	v_clz_i32_u32_e32 v7, v82
	v_min_u32_e32 v7, 32, v7
	s_delay_alu instid0(VALU_DEP_1) | instskip(NEXT) | instid1(VALU_DEP_1)
	v_subrev_nc_u32_e32 v64, 28, v7
	v_lshlrev_b64_e32 v[64:65], v64, v[54:55]
	s_delay_alu instid0(VALU_DEP_1)
	v_dual_sub_nc_u32 v84, 29, v7 :: v_dual_bitop2_b32 v82, 7, v64 bitop3:0x40
; %bb.3979:                             ;   in Loop: Header=BB302_2086 Depth=1
	s_or_b32 exec_lo, exec_lo, s26
	v_lshlrev_b32_e32 v7, 8, v83
	s_delay_alu instid0(VALU_DEP_2) | instskip(NEXT) | instid1(VALU_DEP_1)
	v_lshl_add_u32 v54, v84, 10, 0x2000
	v_and_or_b32 v7, 0x8000, v7, v54
	v_lshlrev_b32_e32 v54, 23, v82
	s_delay_alu instid0(VALU_DEP_1)
	v_lshl_or_b32 v82, v7, 16, v54
.LBB302_3980:                           ;   in Loop: Header=BB302_2086 Depth=1
	s_or_b32 exec_lo, exec_lo, s25
.LBB302_3981:                           ;   in Loop: Header=BB302_2086 Depth=1
	s_delay_alu instid0(SALU_CYCLE_1)
	s_or_b32 exec_lo, exec_lo, s24
.LBB302_3982:                           ;   in Loop: Header=BB302_2086 Depth=1
	s_delay_alu instid0(SALU_CYCLE_1) | instskip(SKIP_2) | instid1(VALU_DEP_1)
	s_or_b32 exec_lo, exec_lo, s23
	v_lshrrev_b32_e32 v54, 16, v81
	s_mov_b32 s23, exec_lo
	v_and_b32_e32 v83, 0xff, v54
	s_delay_alu instid0(VALU_DEP_1)
	v_cmpx_ne_u16_e32 0, v83
	s_cbranch_execz .LBB302_3990
; %bb.3983:                             ;   in Loop: Header=BB302_2086 Depth=1
	v_mov_b32_e32 v71, 0x8000
	s_mov_b32 s24, exec_lo
	v_cmpx_ne_u16_e32 0x80, v83
	s_cbranch_execz .LBB302_3989
; %bb.3984:                             ;   in Loop: Header=BB302_2086 Depth=1
	v_bfe_u32 v84, v81, 16, 7
	v_mov_b32_e32 v71, 0x7c01
	s_mov_b32 s25, exec_lo
	s_delay_alu instid0(VALU_DEP_2)
	v_cmpx_ne_u32_e32 0x7f, v84
	s_cbranch_execz .LBB302_3988
; %bb.3985:                             ;   in Loop: Header=BB302_2086 Depth=1
	v_dual_lshrrev_b32 v83, 3, v84 :: v_dual_bitop2_b32 v71, 7, v54 bitop3:0x40
	s_mov_b32 s26, exec_lo
	v_cmpx_gt_u32_e32 8, v84
; %bb.3986:                             ;   in Loop: Header=BB302_2086 Depth=1
	s_delay_alu instid0(VALU_DEP_2) | instskip(NEXT) | instid1(VALU_DEP_1)
	v_clz_i32_u32_e32 v7, v71
	v_min_u32_e32 v7, 32, v7
	s_delay_alu instid0(VALU_DEP_1) | instskip(NEXT) | instid1(VALU_DEP_1)
	v_subrev_nc_u32_e32 v64, 28, v7
	v_lshlrev_b64_e32 v[64:65], v64, v[54:55]
	s_delay_alu instid0(VALU_DEP_1)
	v_dual_sub_nc_u32 v83, 29, v7 :: v_dual_bitop2_b32 v71, 7, v64 bitop3:0x40
; %bb.3987:                             ;   in Loop: Header=BB302_2086 Depth=1
	s_or_b32 exec_lo, exec_lo, s26
	s_delay_alu instid0(VALU_DEP_1) | instskip(NEXT) | instid1(VALU_DEP_2)
	v_dual_lshlrev_b32 v7, 8, v54 :: v_dual_lshlrev_b32 v64, 7, v71
	v_lshl_add_u32 v54, v83, 10, 0x2000
	s_delay_alu instid0(VALU_DEP_2) | instskip(NEXT) | instid1(VALU_DEP_2)
	v_and_b32_e32 v7, 0x8000, v7
	v_and_b32_e32 v54, 0xfc00, v54
	s_delay_alu instid0(VALU_DEP_1)
	v_or3_b32 v71, v7, v54, v64
.LBB302_3988:                           ;   in Loop: Header=BB302_2086 Depth=1
	s_or_b32 exec_lo, exec_lo, s25
.LBB302_3989:                           ;   in Loop: Header=BB302_2086 Depth=1
	s_delay_alu instid0(SALU_CYCLE_1)
	s_or_b32 exec_lo, exec_lo, s24
.LBB302_3990:                           ;   in Loop: Header=BB302_2086 Depth=1
	s_delay_alu instid0(SALU_CYCLE_1)
	s_or_b32 exec_lo, exec_lo, s23
	v_cmp_lt_u64_e64 s8, s[16:17], v[80:81]
	v_mov_b32_e32 v80, 0
	s_and_saveexec_b32 s23, s8
	s_cbranch_execz .LBB302_3998
; %bb.3991:                             ;   in Loop: Header=BB302_2086 Depth=1
	v_lshrrev_b32_e32 v54, 24, v81
	v_bfrev_b32_e32 v80, 1
	s_mov_b32 s24, exec_lo
	s_delay_alu instid0(VALU_DEP_2)
	v_cmpx_ne_u32_e32 0x80, v54
	s_cbranch_execz .LBB302_3997
; %bb.3992:                             ;   in Loop: Header=BB302_2086 Depth=1
	v_and_b32_e32 v83, 0x7f, v54
	v_mov_b32_e32 v80, 0x7c010000
	s_mov_b32 s25, exec_lo
	s_delay_alu instid0(VALU_DEP_2)
	v_cmpx_ne_u32_e32 0x7f, v83
	s_cbranch_execz .LBB302_3996
; %bb.3993:                             ;   in Loop: Header=BB302_2086 Depth=1
	v_dual_lshrrev_b32 v81, 3, v83 :: v_dual_bitop2_b32 v80, 7, v54 bitop3:0x40
	s_mov_b32 s26, exec_lo
	v_cmpx_gt_u32_e32 8, v83
; %bb.3994:                             ;   in Loop: Header=BB302_2086 Depth=1
	s_delay_alu instid0(VALU_DEP_2) | instskip(NEXT) | instid1(VALU_DEP_1)
	v_clz_i32_u32_e32 v7, v80
	v_min_u32_e32 v7, 32, v7
	s_delay_alu instid0(VALU_DEP_1) | instskip(NEXT) | instid1(VALU_DEP_1)
	v_subrev_nc_u32_e32 v64, 28, v7
	v_lshlrev_b64_e32 v[64:65], v64, v[54:55]
	s_delay_alu instid0(VALU_DEP_1)
	v_dual_sub_nc_u32 v81, 29, v7 :: v_dual_bitop2_b32 v80, 7, v64 bitop3:0x40
; %bb.3995:                             ;   in Loop: Header=BB302_2086 Depth=1
	s_or_b32 exec_lo, exec_lo, s26
	v_lshlrev_b32_e32 v7, 8, v54
	s_delay_alu instid0(VALU_DEP_2) | instskip(NEXT) | instid1(VALU_DEP_1)
	v_lshl_add_u32 v54, v81, 10, 0x2000
	v_and_or_b32 v7, 0x8000, v7, v54
	v_lshlrev_b32_e32 v54, 23, v80
	s_delay_alu instid0(VALU_DEP_1)
	v_lshl_or_b32 v80, v7, 16, v54
.LBB302_3996:                           ;   in Loop: Header=BB302_2086 Depth=1
	s_or_b32 exec_lo, exec_lo, s25
.LBB302_3997:                           ;   in Loop: Header=BB302_2086 Depth=1
	s_delay_alu instid0(SALU_CYCLE_1)
	s_or_b32 exec_lo, exec_lo, s24
.LBB302_3998:                           ;   in Loop: Header=BB302_2086 Depth=1
	s_delay_alu instid0(SALU_CYCLE_1) | instskip(SKIP_2) | instid1(VALU_DEP_2)
	s_or_b32 exec_lo, exec_lo, s23
	v_dual_lshrrev_b32 v7, 16, v0 :: v_dual_bitop2_b32 v64, v0, v1 bitop3:0x54
	v_dual_lshrrev_b32 v54, 16, v12 :: v_dual_bitop2_b32 v12, v12, v18 bitop3:0x54
	v_cvt_f32_f16_e32 v1, v7
	v_or_b32_e32 v7, v80, v71
	s_delay_alu instid0(VALU_DEP_3) | instskip(SKIP_4) | instid1(VALU_DEP_4)
	v_cvt_f32_f16_e32 v0, v54
	v_dual_lshrrev_b32 v54, 16, v82 :: v_dual_lshrrev_b32 v71, 16, v80
	v_cvt_f32_f16_e32 v18, v12
	v_or_b32_e32 v12, v82, v19
	v_cvt_f32_f16_e32 v19, v64
	v_cvt_f32_f16_e32 v65, v54
	s_wait_loadcnt_dscnt 0x0
	v_pk_mul_f32 v[0:1], v[70:71], v[0:1] op_sel_hi:[0,1]
	v_cvt_f32_f16_e32 v64, v71
	v_cvt_f32_f16_e32 v80, v7
	;; [unrolled: 1-line block ×3, first 2 shown]
	v_pk_mul_f32 v[18:19], v[70:71], v[18:19] op_sel_hi:[0,1]
	v_cvt_pk_f16_f32 v7, v0, v1
	v_pk_mul_f32 v[0:1], v[70:71], v[64:65] op_sel_hi:[0,1]
	s_delay_alu instid0(VALU_DEP_4) | instskip(NEXT) | instid1(VALU_DEP_4)
	v_pk_mul_f32 v[64:65], v[70:71], v[80:81] op_sel_hi:[0,1]
	v_cvt_pk_f16_f32 v12, v18, v19
	s_delay_alu instid0(VALU_DEP_4) | instskip(NEXT) | instid1(VALU_DEP_4)
	v_and_b32_e32 v71, 0xffff0000, v7
	v_cvt_pk_f16_f32 v0, v0, v1
	v_lshlrev_b32_e32 v82, 16, v7
	v_cvt_pk_f16_f32 v1, v64, v65
	v_lshrrev_b32_e32 v87, 16, v12
	v_and_b32_e32 v86, 0xffff, v12
	v_and_b32_e32 v19, 0xffff0000, v0
	s_delay_alu instid0(VALU_DEP_4) | instskip(SKIP_3) | instid1(VALU_DEP_4)
	v_dual_lshlrev_b32 v54, 16, v0 :: v_dual_lshrrev_b32 v85, 16, v1
	v_and_b32_e32 v84, 0xffff, v1
	v_or_b32_e32 v83, v71, v87
	v_or_b32_e32 v80, v82, v86
	;; [unrolled: 1-line block ×3, first 2 shown]
	s_delay_alu instid0(VALU_DEP_4)
	v_or_b32_e32 v70, v54, v84
	s_and_saveexec_b32 s8, s3
	s_cbranch_execz .LBB302_4000
; %bb.3999:                             ;   in Loop: Header=BB302_2086 Depth=1
	v_dual_cndmask_b32 v0, 0, v87, vcc_lo :: v_dual_cndmask_b32 v1, 0, v86, s0
	v_dual_cndmask_b32 v7, 0, v71, s1 :: v_dual_cndmask_b32 v12, 0, v82, s2
	v_dual_cndmask_b32 v18, 0, v85, s4 :: v_dual_cndmask_b32 v64, 0, v84, s5
	;; [unrolled: 1-line block ×3, first 2 shown]
	s_delay_alu instid0(VALU_DEP_3) | instskip(NEXT) | instid1(VALU_DEP_4)
	v_or_b32_e32 v83, v0, v7
	v_or_b32_e32 v80, v1, v12
	s_delay_alu instid0(VALU_DEP_3) | instskip(NEXT) | instid1(VALU_DEP_4)
	v_or_b32_e32 v81, v18, v19
	v_or_b32_e32 v70, v64, v54
.LBB302_4000:                           ;   in Loop: Header=BB302_2086 Depth=1
	s_or_b32 exec_lo, exec_lo, s8
	;;#ASMSTART
	v_pk_mul_f16 v0, v112, v83;

	;;#ASMEND
	;;#ASMSTART
	v_pk_mul_f16 v1, v103, v80;

	;;#ASMEND
	;; [unrolled: 4-line block ×4, first 2 shown]
	;;#ASMSTART
	v_pk_add_f16 v0, v0, v1;

	;;#ASMEND
	;;#ASMSTART
	v_pk_add_f16 v0, v0, v7;

	;;#ASMEND
	;; [unrolled: 4-line block ×3, first 2 shown]
	v_and_b32_e32 v1, 0xffff, v0
	v_lshrrev_b32_e32 v0, 16, v0
	;;#ASMSTART
	v_cvt_f32_f16 v7, v1;
	;;#ASMEND
	v_mov_b32_e32 v1, 0
	;;#ASMSTART
	v_cvt_f32_f16 v64, v0;
	;;#ASMEND
	flat_load_b64 v[80:81], v[68:69] offset:7424
	flat_load_b32 v70, v[22:23]
	v_mov_b32_e32 v0, 0
	s_mov_b32 s23, exec_lo
	s_wait_loadcnt_dscnt 0x101
	v_and_b32_e32 v12, 0xff, v80
	s_wait_xcnt 0x0
	s_delay_alu instid0(VALU_DEP_1)
	v_cmpx_ne_u16_e32 0, v12
	s_cbranch_execz .LBB302_4008
; %bb.4001:                             ;   in Loop: Header=BB302_2086 Depth=1
	v_mov_b32_e32 v1, 0x8000
	s_mov_b32 s24, exec_lo
	v_cmpx_ne_u16_e32 0x80, v12
	s_cbranch_execz .LBB302_4007
; %bb.4002:                             ;   in Loop: Header=BB302_2086 Depth=1
	v_and_b32_e32 v18, 0x7f, v80
	v_mov_b32_e32 v1, 0x7c01
	s_mov_b32 s25, exec_lo
	s_delay_alu instid0(VALU_DEP_2)
	v_cmpx_ne_u32_e32 0x7f, v18
	s_cbranch_execz .LBB302_4006
; %bb.4003:                             ;   in Loop: Header=BB302_2086 Depth=1
	v_dual_lshrrev_b32 v12, 3, v18 :: v_dual_bitop2_b32 v1, 7, v80 bitop3:0x40
	s_mov_b32 s26, exec_lo
	v_cmpx_gt_u32_e32 8, v18
; %bb.4004:                             ;   in Loop: Header=BB302_2086 Depth=1
	s_delay_alu instid0(VALU_DEP_2) | instskip(NEXT) | instid1(VALU_DEP_1)
	v_clz_i32_u32_e32 v1, v1
	v_min_u32_e32 v1, 32, v1
	s_delay_alu instid0(VALU_DEP_1) | instskip(NEXT) | instid1(VALU_DEP_1)
	v_subrev_nc_u32_e32 v12, 28, v1
	v_lshlrev_b64_e32 v[18:19], v12, v[80:81]
	s_delay_alu instid0(VALU_DEP_1)
	v_dual_sub_nc_u32 v12, 29, v1 :: v_dual_bitop2_b32 v1, 7, v18 bitop3:0x40
; %bb.4005:                             ;   in Loop: Header=BB302_2086 Depth=1
	s_or_b32 exec_lo, exec_lo, s26
	s_delay_alu instid0(VALU_DEP_1) | instskip(NEXT) | instid1(VALU_DEP_2)
	v_dual_lshlrev_b32 v18, 8, v80 :: v_dual_lshlrev_b32 v1, 7, v1
	v_lshl_add_u32 v12, v12, 10, 0x2000
	s_delay_alu instid0(VALU_DEP_2) | instskip(NEXT) | instid1(VALU_DEP_2)
	v_and_b32_e32 v18, 0x8000, v18
	v_and_b32_e32 v12, 0xfc00, v12
	s_delay_alu instid0(VALU_DEP_1)
	v_or3_b32 v1, v18, v12, v1
.LBB302_4006:                           ;   in Loop: Header=BB302_2086 Depth=1
	s_or_b32 exec_lo, exec_lo, s25
.LBB302_4007:                           ;   in Loop: Header=BB302_2086 Depth=1
	s_delay_alu instid0(SALU_CYCLE_1)
	s_or_b32 exec_lo, exec_lo, s24
.LBB302_4008:                           ;   in Loop: Header=BB302_2086 Depth=1
	s_delay_alu instid0(SALU_CYCLE_1) | instskip(SKIP_2) | instid1(VALU_DEP_1)
	s_or_b32 exec_lo, exec_lo, s23
	v_lshrrev_b16 v54, 8, v80
	s_mov_b32 s23, exec_lo
	v_cmpx_ne_u16_e32 0, v54
	s_cbranch_execz .LBB302_4016
; %bb.4009:                             ;   in Loop: Header=BB302_2086 Depth=1
	v_bfrev_b32_e32 v0, 1
	s_mov_b32 s24, exec_lo
	v_cmpx_ne_u16_e32 0x80, v54
	s_cbranch_execz .LBB302_4015
; %bb.4010:                             ;   in Loop: Header=BB302_2086 Depth=1
	v_and_b32_e32 v12, 0xffff, v54
	v_mov_b32_e32 v0, 0x7c010000
	s_mov_b32 s25, exec_lo
	s_delay_alu instid0(VALU_DEP_2) | instskip(NEXT) | instid1(VALU_DEP_1)
	v_and_b32_e32 v19, 0x7f, v12
	v_cmpx_ne_u32_e32 0x7f, v19
	s_cbranch_execz .LBB302_4014
; %bb.4011:                             ;   in Loop: Header=BB302_2086 Depth=1
	v_dual_lshrrev_b32 v18, 3, v19 :: v_dual_bitop2_b32 v0, 7, v12 bitop3:0x40
	s_mov_b32 s26, exec_lo
	v_cmpx_gt_u32_e32 8, v19
; %bb.4012:                             ;   in Loop: Header=BB302_2086 Depth=1
	s_delay_alu instid0(VALU_DEP_2) | instskip(NEXT) | instid1(VALU_DEP_1)
	v_clz_i32_u32_e32 v0, v0
	v_min_u32_e32 v0, 32, v0
	s_delay_alu instid0(VALU_DEP_1) | instskip(NEXT) | instid1(VALU_DEP_1)
	v_subrev_nc_u32_e32 v18, 28, v0
	v_lshlrev_b64_e32 v[82:83], v18, v[54:55]
	s_delay_alu instid0(VALU_DEP_1)
	v_dual_sub_nc_u32 v18, 29, v0 :: v_dual_bitop2_b32 v0, 7, v82 bitop3:0x40
; %bb.4013:                             ;   in Loop: Header=BB302_2086 Depth=1
	s_or_b32 exec_lo, exec_lo, s26
	v_lshlrev_b32_e32 v12, 8, v12
	s_delay_alu instid0(VALU_DEP_2) | instskip(NEXT) | instid1(VALU_DEP_3)
	v_lshl_add_u32 v18, v18, 10, 0x2000
	v_lshlrev_b32_e32 v0, 23, v0
	s_delay_alu instid0(VALU_DEP_2) | instskip(NEXT) | instid1(VALU_DEP_1)
	v_and_or_b32 v12, 0x8000, v12, v18
	v_lshl_or_b32 v0, v12, 16, v0
.LBB302_4014:                           ;   in Loop: Header=BB302_2086 Depth=1
	s_or_b32 exec_lo, exec_lo, s25
.LBB302_4015:                           ;   in Loop: Header=BB302_2086 Depth=1
	s_delay_alu instid0(SALU_CYCLE_1)
	s_or_b32 exec_lo, exec_lo, s24
.LBB302_4016:                           ;   in Loop: Header=BB302_2086 Depth=1
	s_delay_alu instid0(SALU_CYCLE_1) | instskip(SKIP_3) | instid1(VALU_DEP_2)
	s_or_b32 exec_lo, exec_lo, s23
	v_dual_lshrrev_b32 v54, 16, v80 :: v_dual_mov_b32 v12, 0
	v_mov_b32_e32 v18, 0
	s_mov_b32 s23, exec_lo
	v_and_b32_e32 v19, 0xff, v54
	s_delay_alu instid0(VALU_DEP_1)
	v_cmpx_ne_u16_e32 0, v19
	s_cbranch_execz .LBB302_4024
; %bb.4017:                             ;   in Loop: Header=BB302_2086 Depth=1
	v_mov_b32_e32 v18, 0x8000
	s_mov_b32 s24, exec_lo
	v_cmpx_ne_u16_e32 0x80, v19
	s_cbranch_execz .LBB302_4023
; %bb.4018:                             ;   in Loop: Header=BB302_2086 Depth=1
	v_bfe_u32 v71, v80, 16, 7
	v_mov_b32_e32 v18, 0x7c01
	s_mov_b32 s25, exec_lo
	s_delay_alu instid0(VALU_DEP_2)
	v_cmpx_ne_u32_e32 0x7f, v71
	s_cbranch_execz .LBB302_4022
; %bb.4019:                             ;   in Loop: Header=BB302_2086 Depth=1
	v_dual_lshrrev_b32 v19, 3, v71 :: v_dual_bitop2_b32 v18, 7, v54 bitop3:0x40
	s_mov_b32 s26, exec_lo
	v_cmpx_gt_u32_e32 8, v71
; %bb.4020:                             ;   in Loop: Header=BB302_2086 Depth=1
	s_delay_alu instid0(VALU_DEP_2) | instskip(NEXT) | instid1(VALU_DEP_1)
	v_clz_i32_u32_e32 v18, v18
	v_min_u32_e32 v65, 32, v18
	s_delay_alu instid0(VALU_DEP_1) | instskip(NEXT) | instid1(VALU_DEP_1)
	v_subrev_nc_u32_e32 v18, 28, v65
	v_lshlrev_b64_e32 v[18:19], v18, v[54:55]
	s_delay_alu instid0(VALU_DEP_1)
	v_dual_sub_nc_u32 v19, 29, v65 :: v_dual_bitop2_b32 v18, 7, v18 bitop3:0x40
; %bb.4021:                             ;   in Loop: Header=BB302_2086 Depth=1
	s_or_b32 exec_lo, exec_lo, s26
	v_lshlrev_b32_e32 v54, 8, v54
	s_delay_alu instid0(VALU_DEP_2) | instskip(NEXT) | instid1(VALU_DEP_3)
	v_lshl_add_u32 v19, v19, 10, 0x2000
	v_lshlrev_b32_e32 v18, 7, v18
	s_delay_alu instid0(VALU_DEP_3) | instskip(NEXT) | instid1(VALU_DEP_3)
	v_and_b32_e32 v54, 0x8000, v54
	v_and_b32_e32 v19, 0xfc00, v19
	s_delay_alu instid0(VALU_DEP_1)
	v_or3_b32 v18, v54, v19, v18
.LBB302_4022:                           ;   in Loop: Header=BB302_2086 Depth=1
	s_or_b32 exec_lo, exec_lo, s25
.LBB302_4023:                           ;   in Loop: Header=BB302_2086 Depth=1
	s_delay_alu instid0(SALU_CYCLE_1)
	s_or_b32 exec_lo, exec_lo, s24
.LBB302_4024:                           ;   in Loop: Header=BB302_2086 Depth=1
	s_delay_alu instid0(SALU_CYCLE_1) | instskip(NEXT) | instid1(SALU_CYCLE_1)
	s_or_b32 exec_lo, exec_lo, s23
	s_mov_b32 s23, exec_lo
	v_cmpx_lt_u32_e32 0xffffff, v80
	s_cbranch_execz .LBB302_4032
; %bb.4025:                             ;   in Loop: Header=BB302_2086 Depth=1
	v_lshrrev_b32_e32 v54, 24, v80
	v_bfrev_b32_e32 v12, 1
	s_mov_b32 s24, exec_lo
	s_delay_alu instid0(VALU_DEP_2)
	v_cmpx_ne_u32_e32 0x80, v54
	s_cbranch_execz .LBB302_4031
; %bb.4026:                             ;   in Loop: Header=BB302_2086 Depth=1
	v_and_b32_e32 v71, 0x7f, v54
	v_mov_b32_e32 v12, 0x7c010000
	s_mov_b32 s25, exec_lo
	s_delay_alu instid0(VALU_DEP_2)
	v_cmpx_ne_u32_e32 0x7f, v71
	s_cbranch_execz .LBB302_4030
; %bb.4027:                             ;   in Loop: Header=BB302_2086 Depth=1
	v_dual_lshrrev_b32 v19, 3, v71 :: v_dual_bitop2_b32 v12, 7, v54 bitop3:0x40
	s_mov_b32 s26, exec_lo
	v_cmpx_gt_u32_e32 8, v71
; %bb.4028:                             ;   in Loop: Header=BB302_2086 Depth=1
	s_delay_alu instid0(VALU_DEP_2) | instskip(NEXT) | instid1(VALU_DEP_1)
	v_clz_i32_u32_e32 v12, v12
	v_min_u32_e32 v12, 32, v12
	s_delay_alu instid0(VALU_DEP_1) | instskip(NEXT) | instid1(VALU_DEP_1)
	v_subrev_nc_u32_e32 v19, 28, v12
	v_lshlrev_b64_e32 v[82:83], v19, v[54:55]
	s_delay_alu instid0(VALU_DEP_1)
	v_dual_sub_nc_u32 v19, 29, v12 :: v_dual_bitop2_b32 v12, 7, v82 bitop3:0x40
; %bb.4029:                             ;   in Loop: Header=BB302_2086 Depth=1
	s_or_b32 exec_lo, exec_lo, s26
	s_delay_alu instid0(VALU_DEP_1) | instskip(NEXT) | instid1(VALU_DEP_2)
	v_dual_lshlrev_b32 v54, 8, v54 :: v_dual_lshlrev_b32 v12, 23, v12
	v_lshl_add_u32 v19, v19, 10, 0x2000
	s_delay_alu instid0(VALU_DEP_1) | instskip(NEXT) | instid1(VALU_DEP_1)
	v_and_or_b32 v19, 0x8000, v54, v19
	v_lshl_or_b32 v12, v19, 16, v12
.LBB302_4030:                           ;   in Loop: Header=BB302_2086 Depth=1
	s_or_b32 exec_lo, exec_lo, s25
.LBB302_4031:                           ;   in Loop: Header=BB302_2086 Depth=1
	s_delay_alu instid0(SALU_CYCLE_1)
	s_or_b32 exec_lo, exec_lo, s24
.LBB302_4032:                           ;   in Loop: Header=BB302_2086 Depth=1
	s_delay_alu instid0(SALU_CYCLE_1) | instskip(SKIP_4) | instid1(VALU_DEP_3)
	s_or_b32 exec_lo, exec_lo, s23
	v_and_b32_e32 v82, 0xff, v81
	v_dual_mov_b32 v54, v81 :: v_dual_mov_b32 v71, 0
	v_mov_b32_e32 v19, 0
	s_mov_b32 s23, exec_lo
	v_cmpx_ne_u16_e32 0, v82
	s_cbranch_execz .LBB302_4040
; %bb.4033:                             ;   in Loop: Header=BB302_2086 Depth=1
	v_mov_b32_e32 v19, 0x8000
	s_mov_b32 s24, exec_lo
	v_cmpx_ne_u16_e32 0x80, v82
	s_cbranch_execz .LBB302_4039
; %bb.4034:                             ;   in Loop: Header=BB302_2086 Depth=1
	v_and_b32_e32 v83, 0x7f, v81
	v_mov_b32_e32 v19, 0x7c01
	s_mov_b32 s25, exec_lo
	s_delay_alu instid0(VALU_DEP_2)
	v_cmpx_ne_u32_e32 0x7f, v83
	s_cbranch_execz .LBB302_4038
; %bb.4035:                             ;   in Loop: Header=BB302_2086 Depth=1
	v_dual_lshrrev_b32 v82, 3, v83 :: v_dual_bitop2_b32 v19, 7, v81 bitop3:0x40
	s_mov_b32 s26, exec_lo
	v_cmpx_gt_u32_e32 8, v83
; %bb.4036:                             ;   in Loop: Header=BB302_2086 Depth=1
	s_delay_alu instid0(VALU_DEP_2) | instskip(NEXT) | instid1(VALU_DEP_1)
	v_clz_i32_u32_e32 v19, v19
	v_min_u32_e32 v19, 32, v19
	s_delay_alu instid0(VALU_DEP_1) | instskip(NEXT) | instid1(VALU_DEP_1)
	v_subrev_nc_u32_e32 v65, 28, v19
	v_lshlrev_b64_e32 v[84:85], v65, v[54:55]
	s_delay_alu instid0(VALU_DEP_1)
	v_dual_sub_nc_u32 v82, 29, v19 :: v_dual_bitop2_b32 v19, 7, v84 bitop3:0x40
; %bb.4037:                             ;   in Loop: Header=BB302_2086 Depth=1
	s_or_b32 exec_lo, exec_lo, s26
	s_delay_alu instid0(VALU_DEP_1) | instskip(NEXT) | instid1(VALU_DEP_2)
	v_dual_lshlrev_b32 v65, 8, v81 :: v_dual_lshlrev_b32 v19, 7, v19
	v_lshl_add_u32 v82, v82, 10, 0x2000
	s_delay_alu instid0(VALU_DEP_2) | instskip(NEXT) | instid1(VALU_DEP_2)
	v_and_b32_e32 v65, 0x8000, v65
	v_and_b32_e32 v82, 0xfc00, v82
	s_delay_alu instid0(VALU_DEP_1)
	v_or3_b32 v19, v65, v82, v19
.LBB302_4038:                           ;   in Loop: Header=BB302_2086 Depth=1
	s_or_b32 exec_lo, exec_lo, s25
.LBB302_4039:                           ;   in Loop: Header=BB302_2086 Depth=1
	s_delay_alu instid0(SALU_CYCLE_1)
	s_or_b32 exec_lo, exec_lo, s24
.LBB302_4040:                           ;   in Loop: Header=BB302_2086 Depth=1
	s_delay_alu instid0(SALU_CYCLE_1) | instskip(SKIP_3) | instid1(VALU_DEP_2)
	s_or_b32 exec_lo, exec_lo, s23
	v_lshrrev_b16 v54, 8, v54
	v_mov_b32_e32 v82, 0
	s_mov_b32 s23, exec_lo
	v_cmpx_ne_u16_e32 0, v54
	s_cbranch_execz .LBB302_4048
; %bb.4041:                             ;   in Loop: Header=BB302_2086 Depth=1
	v_bfrev_b32_e32 v82, 1
	s_mov_b32 s24, exec_lo
	v_cmpx_ne_u16_e32 0x80, v54
	s_cbranch_execz .LBB302_4047
; %bb.4042:                             ;   in Loop: Header=BB302_2086 Depth=1
	v_and_b32_e32 v83, 0xffff, v54
	v_mov_b32_e32 v82, 0x7c010000
	s_mov_b32 s25, exec_lo
	s_delay_alu instid0(VALU_DEP_2) | instskip(NEXT) | instid1(VALU_DEP_1)
	v_and_b32_e32 v85, 0x7f, v83
	v_cmpx_ne_u32_e32 0x7f, v85
	s_cbranch_execz .LBB302_4046
; %bb.4043:                             ;   in Loop: Header=BB302_2086 Depth=1
	v_dual_lshrrev_b32 v84, 3, v85 :: v_dual_bitop2_b32 v82, 7, v83 bitop3:0x40
	s_mov_b32 s26, exec_lo
	v_cmpx_gt_u32_e32 8, v85
; %bb.4044:                             ;   in Loop: Header=BB302_2086 Depth=1
	s_delay_alu instid0(VALU_DEP_2) | instskip(NEXT) | instid1(VALU_DEP_1)
	v_clz_i32_u32_e32 v65, v82
	v_min_u32_e32 v65, 32, v65
	s_delay_alu instid0(VALU_DEP_1) | instskip(NEXT) | instid1(VALU_DEP_1)
	v_subrev_nc_u32_e32 v82, 28, v65
	v_lshlrev_b64_e32 v[86:87], v82, v[54:55]
	s_delay_alu instid0(VALU_DEP_1)
	v_dual_sub_nc_u32 v84, 29, v65 :: v_dual_bitop2_b32 v82, 7, v86 bitop3:0x40
; %bb.4045:                             ;   in Loop: Header=BB302_2086 Depth=1
	s_or_b32 exec_lo, exec_lo, s26
	v_lshlrev_b32_e32 v54, 8, v83
	s_delay_alu instid0(VALU_DEP_2) | instskip(NEXT) | instid1(VALU_DEP_1)
	v_lshl_add_u32 v65, v84, 10, 0x2000
	v_and_or_b32 v54, 0x8000, v54, v65
	v_lshlrev_b32_e32 v65, 23, v82
	s_delay_alu instid0(VALU_DEP_1)
	v_lshl_or_b32 v82, v54, 16, v65
.LBB302_4046:                           ;   in Loop: Header=BB302_2086 Depth=1
	s_or_b32 exec_lo, exec_lo, s25
.LBB302_4047:                           ;   in Loop: Header=BB302_2086 Depth=1
	s_delay_alu instid0(SALU_CYCLE_1)
	s_or_b32 exec_lo, exec_lo, s24
.LBB302_4048:                           ;   in Loop: Header=BB302_2086 Depth=1
	s_delay_alu instid0(SALU_CYCLE_1) | instskip(SKIP_2) | instid1(VALU_DEP_1)
	s_or_b32 exec_lo, exec_lo, s23
	v_lshrrev_b32_e32 v54, 16, v81
	s_mov_b32 s23, exec_lo
	v_and_b32_e32 v83, 0xff, v54
	s_delay_alu instid0(VALU_DEP_1)
	v_cmpx_ne_u16_e32 0, v83
	s_cbranch_execz .LBB302_4056
; %bb.4049:                             ;   in Loop: Header=BB302_2086 Depth=1
	v_mov_b32_e32 v71, 0x8000
	s_mov_b32 s24, exec_lo
	v_cmpx_ne_u16_e32 0x80, v83
	s_cbranch_execz .LBB302_4055
; %bb.4050:                             ;   in Loop: Header=BB302_2086 Depth=1
	v_bfe_u32 v84, v81, 16, 7
	v_mov_b32_e32 v71, 0x7c01
	s_mov_b32 s25, exec_lo
	s_delay_alu instid0(VALU_DEP_2)
	v_cmpx_ne_u32_e32 0x7f, v84
	s_cbranch_execz .LBB302_4054
; %bb.4051:                             ;   in Loop: Header=BB302_2086 Depth=1
	v_dual_lshrrev_b32 v83, 3, v84 :: v_dual_bitop2_b32 v71, 7, v54 bitop3:0x40
	s_mov_b32 s26, exec_lo
	v_cmpx_gt_u32_e32 8, v84
; %bb.4052:                             ;   in Loop: Header=BB302_2086 Depth=1
	s_delay_alu instid0(VALU_DEP_2) | instskip(NEXT) | instid1(VALU_DEP_1)
	v_clz_i32_u32_e32 v65, v71
	v_min_u32_e32 v65, 32, v65
	s_delay_alu instid0(VALU_DEP_1) | instskip(NEXT) | instid1(VALU_DEP_1)
	v_subrev_nc_u32_e32 v71, 28, v65
	v_lshlrev_b64_e32 v[84:85], v71, v[54:55]
	s_delay_alu instid0(VALU_DEP_1)
	v_dual_sub_nc_u32 v83, 29, v65 :: v_dual_bitop2_b32 v71, 7, v84 bitop3:0x40
; %bb.4053:                             ;   in Loop: Header=BB302_2086 Depth=1
	s_or_b32 exec_lo, exec_lo, s26
	s_delay_alu instid0(VALU_DEP_1) | instskip(NEXT) | instid1(VALU_DEP_2)
	v_dual_lshlrev_b32 v54, 8, v54 :: v_dual_lshlrev_b32 v71, 7, v71
	v_lshl_add_u32 v65, v83, 10, 0x2000
	s_delay_alu instid0(VALU_DEP_2) | instskip(NEXT) | instid1(VALU_DEP_2)
	v_and_b32_e32 v54, 0x8000, v54
	v_and_b32_e32 v65, 0xfc00, v65
	s_delay_alu instid0(VALU_DEP_1)
	v_or3_b32 v71, v54, v65, v71
.LBB302_4054:                           ;   in Loop: Header=BB302_2086 Depth=1
	s_or_b32 exec_lo, exec_lo, s25
.LBB302_4055:                           ;   in Loop: Header=BB302_2086 Depth=1
	s_delay_alu instid0(SALU_CYCLE_1)
	s_or_b32 exec_lo, exec_lo, s24
.LBB302_4056:                           ;   in Loop: Header=BB302_2086 Depth=1
	s_delay_alu instid0(SALU_CYCLE_1)
	s_or_b32 exec_lo, exec_lo, s23
	v_cmp_lt_u64_e64 s8, s[16:17], v[80:81]
	v_mov_b32_e32 v80, 0
	s_and_saveexec_b32 s23, s8
	s_cbranch_execz .LBB302_4064
; %bb.4057:                             ;   in Loop: Header=BB302_2086 Depth=1
	v_lshrrev_b32_e32 v54, 24, v81
	v_bfrev_b32_e32 v80, 1
	s_mov_b32 s24, exec_lo
	s_delay_alu instid0(VALU_DEP_2)
	v_cmpx_ne_u32_e32 0x80, v54
	s_cbranch_execz .LBB302_4063
; %bb.4058:                             ;   in Loop: Header=BB302_2086 Depth=1
	v_and_b32_e32 v83, 0x7f, v54
	v_mov_b32_e32 v80, 0x7c010000
	s_mov_b32 s25, exec_lo
	s_delay_alu instid0(VALU_DEP_2)
	v_cmpx_ne_u32_e32 0x7f, v83
	s_cbranch_execz .LBB302_4062
; %bb.4059:                             ;   in Loop: Header=BB302_2086 Depth=1
	v_dual_lshrrev_b32 v81, 3, v83 :: v_dual_bitop2_b32 v80, 7, v54 bitop3:0x40
	s_mov_b32 s26, exec_lo
	v_cmpx_gt_u32_e32 8, v83
; %bb.4060:                             ;   in Loop: Header=BB302_2086 Depth=1
	s_delay_alu instid0(VALU_DEP_2) | instskip(NEXT) | instid1(VALU_DEP_1)
	v_clz_i32_u32_e32 v65, v80
	v_min_u32_e32 v65, 32, v65
	s_delay_alu instid0(VALU_DEP_1) | instskip(NEXT) | instid1(VALU_DEP_1)
	v_subrev_nc_u32_e32 v80, 28, v65
	v_lshlrev_b64_e32 v[80:81], v80, v[54:55]
	s_delay_alu instid0(VALU_DEP_1)
	v_dual_sub_nc_u32 v81, 29, v65 :: v_dual_bitop2_b32 v80, 7, v80 bitop3:0x40
; %bb.4061:                             ;   in Loop: Header=BB302_2086 Depth=1
	s_or_b32 exec_lo, exec_lo, s26
	v_lshlrev_b32_e32 v54, 8, v54
	s_delay_alu instid0(VALU_DEP_2) | instskip(NEXT) | instid1(VALU_DEP_1)
	v_lshl_add_u32 v65, v81, 10, 0x2000
	v_and_or_b32 v54, 0x8000, v54, v65
	v_lshlrev_b32_e32 v65, 23, v80
	s_delay_alu instid0(VALU_DEP_1)
	v_lshl_or_b32 v80, v54, 16, v65
.LBB302_4062:                           ;   in Loop: Header=BB302_2086 Depth=1
	s_or_b32 exec_lo, exec_lo, s25
.LBB302_4063:                           ;   in Loop: Header=BB302_2086 Depth=1
	s_delay_alu instid0(SALU_CYCLE_1)
	s_or_b32 exec_lo, exec_lo, s24
.LBB302_4064:                           ;   in Loop: Header=BB302_2086 Depth=1
	s_delay_alu instid0(SALU_CYCLE_1) | instskip(SKIP_2) | instid1(VALU_DEP_2)
	s_or_b32 exec_lo, exec_lo, s23
	v_dual_lshrrev_b32 v54, 16, v0 :: v_dual_bitop2_b32 v81, v0, v1 bitop3:0x54
	v_dual_lshrrev_b32 v65, 16, v12 :: v_dual_bitop2_b32 v12, v12, v18 bitop3:0x54
	v_cvt_f32_f16_e32 v1, v54
	v_or_b32_e32 v54, v80, v71
	s_delay_alu instid0(VALU_DEP_3) | instskip(SKIP_4) | instid1(VALU_DEP_4)
	v_cvt_f32_f16_e32 v0, v65
	v_dual_lshrrev_b32 v65, 16, v82 :: v_dual_lshrrev_b32 v71, 16, v80
	v_cvt_f32_f16_e32 v18, v12
	v_or_b32_e32 v12, v82, v19
	v_cvt_f32_f16_e32 v19, v81
	v_cvt_f32_f16_e32 v81, v65
	s_wait_loadcnt_dscnt 0x0
	v_pk_mul_f32 v[0:1], v[70:71], v[0:1] op_sel_hi:[0,1]
	v_cvt_f32_f16_e32 v80, v71
	v_cvt_f32_f16_e32 v82, v54
	;; [unrolled: 1-line block ×3, first 2 shown]
	v_pk_mul_f32 v[18:19], v[70:71], v[18:19] op_sel_hi:[0,1]
	v_cvt_pk_f16_f32 v12, v0, v1
	v_pk_mul_f32 v[0:1], v[70:71], v[80:81] op_sel_hi:[0,1]
	s_delay_alu instid0(VALU_DEP_4) | instskip(NEXT) | instid1(VALU_DEP_4)
	v_pk_mul_f32 v[80:81], v[70:71], v[82:83] op_sel_hi:[0,1]
	v_cvt_pk_f16_f32 v18, v18, v19
	s_delay_alu instid0(VALU_DEP_4) | instskip(NEXT) | instid1(VALU_DEP_4)
	v_and_b32_e32 v71, 0xffff0000, v12
	v_cvt_pk_f16_f32 v0, v0, v1
	v_lshlrev_b32_e32 v82, 16, v12
	v_cvt_pk_f16_f32 v1, v80, v81
	v_lshrrev_b32_e32 v87, 16, v18
	v_and_b32_e32 v86, 0xffff, v18
	v_and_b32_e32 v19, 0xffff0000, v0
	s_delay_alu instid0(VALU_DEP_4) | instskip(SKIP_3) | instid1(VALU_DEP_4)
	v_dual_lshlrev_b32 v54, 16, v0 :: v_dual_lshrrev_b32 v85, 16, v1
	v_and_b32_e32 v84, 0xffff, v1
	v_or_b32_e32 v83, v71, v87
	v_or_b32_e32 v80, v82, v86
	;; [unrolled: 1-line block ×3, first 2 shown]
	s_delay_alu instid0(VALU_DEP_4)
	v_or_b32_e32 v70, v54, v84
	s_and_saveexec_b32 s8, s3
	s_cbranch_execz .LBB302_4066
; %bb.4065:                             ;   in Loop: Header=BB302_2086 Depth=1
	v_dual_cndmask_b32 v0, 0, v87, vcc_lo :: v_dual_cndmask_b32 v1, 0, v86, s0
	v_dual_cndmask_b32 v12, 0, v71, s1 :: v_dual_cndmask_b32 v18, 0, v82, s2
	v_dual_cndmask_b32 v65, 0, v85, s4 :: v_dual_cndmask_b32 v70, 0, v84, s5
	;; [unrolled: 1-line block ×3, first 2 shown]
	s_delay_alu instid0(VALU_DEP_3) | instskip(NEXT) | instid1(VALU_DEP_4)
	v_or_b32_e32 v83, v0, v12
	v_or_b32_e32 v80, v1, v18
	s_delay_alu instid0(VALU_DEP_3) | instskip(NEXT) | instid1(VALU_DEP_4)
	v_or_b32_e32 v81, v65, v19
	v_or_b32_e32 v70, v70, v54
.LBB302_4066:                           ;   in Loop: Header=BB302_2086 Depth=1
	s_or_b32 exec_lo, exec_lo, s8
	;;#ASMSTART
	v_pk_mul_f16 v0, v112, v83;

	;;#ASMEND
	;;#ASMSTART
	v_pk_mul_f16 v1, v103, v80;

	;;#ASMEND
	;; [unrolled: 4-line block ×4, first 2 shown]
	;;#ASMSTART
	v_pk_add_f16 v0, v0, v1;

	;;#ASMEND
	;;#ASMSTART
	v_pk_add_f16 v0, v0, v12;

	;;#ASMEND
	;; [unrolled: 4-line block ×3, first 2 shown]
	v_and_b32_e32 v1, 0xffff, v0
	v_lshrrev_b32_e32 v0, 16, v0
	;;#ASMSTART
	v_cvt_f32_f16 v65, v1;
	;;#ASMEND
	v_mov_b32_e32 v1, 0
	;;#ASMSTART
	v_cvt_f32_f16 v86, v0;
	;;#ASMEND
	flat_load_b64 v[70:71], v[68:69] offset:7680
	flat_load_b32 v68, v[22:23]
	v_mov_b32_e32 v0, 0
	s_mov_b32 s23, exec_lo
	s_wait_loadcnt_dscnt 0x101
	v_and_b32_e32 v12, 0xff, v70
	s_wait_xcnt 0x0
	s_delay_alu instid0(VALU_DEP_1)
	v_cmpx_ne_u16_e32 0, v12
	s_cbranch_execz .LBB302_4074
; %bb.4067:                             ;   in Loop: Header=BB302_2086 Depth=1
	v_mov_b32_e32 v1, 0x8000
	s_mov_b32 s24, exec_lo
	v_cmpx_ne_u16_e32 0x80, v12
	s_cbranch_execz .LBB302_4073
; %bb.4068:                             ;   in Loop: Header=BB302_2086 Depth=1
	v_and_b32_e32 v18, 0x7f, v70
	v_mov_b32_e32 v1, 0x7c01
	s_mov_b32 s25, exec_lo
	s_delay_alu instid0(VALU_DEP_2)
	v_cmpx_ne_u32_e32 0x7f, v18
	s_cbranch_execz .LBB302_4072
; %bb.4069:                             ;   in Loop: Header=BB302_2086 Depth=1
	v_and_b32_e32 v1, 7, v70
	v_lshrrev_b32_e32 v12, 3, v18
	s_mov_b32 s26, exec_lo
	v_cmpx_gt_u32_e32 8, v18
; %bb.4070:                             ;   in Loop: Header=BB302_2086 Depth=1
	s_delay_alu instid0(VALU_DEP_3) | instskip(NEXT) | instid1(VALU_DEP_1)
	v_clz_i32_u32_e32 v1, v1
	v_min_u32_e32 v1, 32, v1
	s_delay_alu instid0(VALU_DEP_1) | instskip(NEXT) | instid1(VALU_DEP_1)
	v_subrev_nc_u32_e32 v12, 28, v1
	v_lshlrev_b64_e32 v[18:19], v12, v[70:71]
	s_delay_alu instid0(VALU_DEP_1)
	v_dual_sub_nc_u32 v12, 29, v1 :: v_dual_bitop2_b32 v1, 7, v18 bitop3:0x40
; %bb.4071:                             ;   in Loop: Header=BB302_2086 Depth=1
	s_or_b32 exec_lo, exec_lo, s26
	s_delay_alu instid0(VALU_DEP_1) | instskip(NEXT) | instid1(VALU_DEP_2)
	v_dual_lshlrev_b32 v18, 8, v70 :: v_dual_lshlrev_b32 v1, 7, v1
	v_lshl_add_u32 v12, v12, 10, 0x2000
	s_delay_alu instid0(VALU_DEP_2) | instskip(NEXT) | instid1(VALU_DEP_2)
	v_and_b32_e32 v18, 0x8000, v18
	v_and_b32_e32 v12, 0xfc00, v12
	s_delay_alu instid0(VALU_DEP_1)
	v_or3_b32 v1, v18, v12, v1
.LBB302_4072:                           ;   in Loop: Header=BB302_2086 Depth=1
	s_or_b32 exec_lo, exec_lo, s25
.LBB302_4073:                           ;   in Loop: Header=BB302_2086 Depth=1
	s_delay_alu instid0(SALU_CYCLE_1)
	s_or_b32 exec_lo, exec_lo, s24
.LBB302_4074:                           ;   in Loop: Header=BB302_2086 Depth=1
	s_delay_alu instid0(SALU_CYCLE_1) | instskip(SKIP_2) | instid1(VALU_DEP_1)
	s_or_b32 exec_lo, exec_lo, s23
	v_lshrrev_b16 v54, 8, v70
	s_mov_b32 s23, exec_lo
	v_cmpx_ne_u16_e32 0, v54
	s_cbranch_execz .LBB302_4082
; %bb.4075:                             ;   in Loop: Header=BB302_2086 Depth=1
	v_bfrev_b32_e32 v0, 1
	s_mov_b32 s24, exec_lo
	v_cmpx_ne_u16_e32 0x80, v54
	s_cbranch_execz .LBB302_4081
; %bb.4076:                             ;   in Loop: Header=BB302_2086 Depth=1
	v_and_b32_e32 v12, 0xffff, v54
	v_mov_b32_e32 v0, 0x7c010000
	s_mov_b32 s25, exec_lo
	s_delay_alu instid0(VALU_DEP_2) | instskip(NEXT) | instid1(VALU_DEP_1)
	v_and_b32_e32 v19, 0x7f, v12
	v_cmpx_ne_u32_e32 0x7f, v19
	s_cbranch_execz .LBB302_4080
; %bb.4077:                             ;   in Loop: Header=BB302_2086 Depth=1
	v_dual_lshrrev_b32 v18, 3, v19 :: v_dual_bitop2_b32 v0, 7, v12 bitop3:0x40
	s_mov_b32 s26, exec_lo
	v_cmpx_gt_u32_e32 8, v19
; %bb.4078:                             ;   in Loop: Header=BB302_2086 Depth=1
	s_delay_alu instid0(VALU_DEP_2) | instskip(NEXT) | instid1(VALU_DEP_1)
	v_clz_i32_u32_e32 v0, v0
	v_min_u32_e32 v0, 32, v0
	s_delay_alu instid0(VALU_DEP_1) | instskip(NEXT) | instid1(VALU_DEP_1)
	v_subrev_nc_u32_e32 v18, 28, v0
	v_lshlrev_b64_e32 v[80:81], v18, v[54:55]
	v_sub_nc_u32_e32 v18, 29, v0
	s_delay_alu instid0(VALU_DEP_2)
	v_and_b32_e32 v0, 7, v80
; %bb.4079:                             ;   in Loop: Header=BB302_2086 Depth=1
	s_or_b32 exec_lo, exec_lo, s26
	v_lshlrev_b32_e32 v12, 8, v12
	s_delay_alu instid0(VALU_DEP_3) | instskip(NEXT) | instid1(VALU_DEP_3)
	v_lshl_add_u32 v18, v18, 10, 0x2000
	v_lshlrev_b32_e32 v0, 23, v0
	s_delay_alu instid0(VALU_DEP_2) | instskip(NEXT) | instid1(VALU_DEP_1)
	v_and_or_b32 v12, 0x8000, v12, v18
	v_lshl_or_b32 v0, v12, 16, v0
.LBB302_4080:                           ;   in Loop: Header=BB302_2086 Depth=1
	s_or_b32 exec_lo, exec_lo, s25
.LBB302_4081:                           ;   in Loop: Header=BB302_2086 Depth=1
	s_delay_alu instid0(SALU_CYCLE_1)
	s_or_b32 exec_lo, exec_lo, s24
.LBB302_4082:                           ;   in Loop: Header=BB302_2086 Depth=1
	s_delay_alu instid0(SALU_CYCLE_1) | instskip(SKIP_3) | instid1(VALU_DEP_2)
	s_or_b32 exec_lo, exec_lo, s23
	v_dual_lshrrev_b32 v54, 16, v70 :: v_dual_mov_b32 v12, 0
	v_mov_b32_e32 v18, 0
	s_mov_b32 s23, exec_lo
	v_and_b32_e32 v19, 0xff, v54
	s_delay_alu instid0(VALU_DEP_1)
	v_cmpx_ne_u16_e32 0, v19
	s_cbranch_execz .LBB302_4090
; %bb.4083:                             ;   in Loop: Header=BB302_2086 Depth=1
	v_mov_b32_e32 v18, 0x8000
	s_mov_b32 s24, exec_lo
	v_cmpx_ne_u16_e32 0x80, v19
	s_cbranch_execz .LBB302_4089
; %bb.4084:                             ;   in Loop: Header=BB302_2086 Depth=1
	v_bfe_u32 v69, v70, 16, 7
	v_mov_b32_e32 v18, 0x7c01
	s_mov_b32 s25, exec_lo
	s_delay_alu instid0(VALU_DEP_2)
	v_cmpx_ne_u32_e32 0x7f, v69
	s_cbranch_execz .LBB302_4088
; %bb.4085:                             ;   in Loop: Header=BB302_2086 Depth=1
	v_dual_lshrrev_b32 v19, 3, v69 :: v_dual_bitop2_b32 v18, 7, v54 bitop3:0x40
	s_mov_b32 s26, exec_lo
	v_cmpx_gt_u32_e32 8, v69
; %bb.4086:                             ;   in Loop: Header=BB302_2086 Depth=1
	s_delay_alu instid0(VALU_DEP_2) | instskip(NEXT) | instid1(VALU_DEP_1)
	v_clz_i32_u32_e32 v18, v18
	v_min_u32_e32 v69, 32, v18
	s_delay_alu instid0(VALU_DEP_1) | instskip(NEXT) | instid1(VALU_DEP_1)
	v_subrev_nc_u32_e32 v18, 28, v69
	v_lshlrev_b64_e32 v[18:19], v18, v[54:55]
	s_delay_alu instid0(VALU_DEP_1)
	v_dual_sub_nc_u32 v19, 29, v69 :: v_dual_bitop2_b32 v18, 7, v18 bitop3:0x40
; %bb.4087:                             ;   in Loop: Header=BB302_2086 Depth=1
	s_or_b32 exec_lo, exec_lo, s26
	v_lshlrev_b32_e32 v54, 8, v54
	s_delay_alu instid0(VALU_DEP_2) | instskip(NEXT) | instid1(VALU_DEP_3)
	v_lshl_add_u32 v19, v19, 10, 0x2000
	v_lshlrev_b32_e32 v18, 7, v18
	s_delay_alu instid0(VALU_DEP_3) | instskip(NEXT) | instid1(VALU_DEP_3)
	v_and_b32_e32 v54, 0x8000, v54
	v_and_b32_e32 v19, 0xfc00, v19
	s_delay_alu instid0(VALU_DEP_1)
	v_or3_b32 v18, v54, v19, v18
.LBB302_4088:                           ;   in Loop: Header=BB302_2086 Depth=1
	s_or_b32 exec_lo, exec_lo, s25
.LBB302_4089:                           ;   in Loop: Header=BB302_2086 Depth=1
	s_delay_alu instid0(SALU_CYCLE_1)
	s_or_b32 exec_lo, exec_lo, s24
.LBB302_4090:                           ;   in Loop: Header=BB302_2086 Depth=1
	s_delay_alu instid0(SALU_CYCLE_1) | instskip(NEXT) | instid1(SALU_CYCLE_1)
	s_or_b32 exec_lo, exec_lo, s23
	s_mov_b32 s23, exec_lo
	v_cmpx_lt_u32_e32 0xffffff, v70
	s_cbranch_execz .LBB302_4098
; %bb.4091:                             ;   in Loop: Header=BB302_2086 Depth=1
	v_lshrrev_b32_e32 v54, 24, v70
	v_bfrev_b32_e32 v12, 1
	s_mov_b32 s24, exec_lo
	s_delay_alu instid0(VALU_DEP_2)
	v_cmpx_ne_u32_e32 0x80, v54
	s_cbranch_execz .LBB302_4097
; %bb.4092:                             ;   in Loop: Header=BB302_2086 Depth=1
	v_and_b32_e32 v69, 0x7f, v54
	v_mov_b32_e32 v12, 0x7c010000
	s_mov_b32 s25, exec_lo
	s_delay_alu instid0(VALU_DEP_2)
	v_cmpx_ne_u32_e32 0x7f, v69
	s_cbranch_execz .LBB302_4096
; %bb.4093:                             ;   in Loop: Header=BB302_2086 Depth=1
	v_dual_lshrrev_b32 v19, 3, v69 :: v_dual_bitop2_b32 v12, 7, v54 bitop3:0x40
	s_mov_b32 s26, exec_lo
	v_cmpx_gt_u32_e32 8, v69
; %bb.4094:                             ;   in Loop: Header=BB302_2086 Depth=1
	s_delay_alu instid0(VALU_DEP_2) | instskip(NEXT) | instid1(VALU_DEP_1)
	v_clz_i32_u32_e32 v12, v12
	v_min_u32_e32 v12, 32, v12
	s_delay_alu instid0(VALU_DEP_1) | instskip(NEXT) | instid1(VALU_DEP_1)
	v_subrev_nc_u32_e32 v19, 28, v12
	v_lshlrev_b64_e32 v[80:81], v19, v[54:55]
	v_sub_nc_u32_e32 v19, 29, v12
	s_delay_alu instid0(VALU_DEP_2)
	v_and_b32_e32 v12, 7, v80
; %bb.4095:                             ;   in Loop: Header=BB302_2086 Depth=1
	s_or_b32 exec_lo, exec_lo, s26
	s_delay_alu instid0(VALU_DEP_1) | instskip(NEXT) | instid1(VALU_DEP_3)
	v_dual_lshlrev_b32 v54, 8, v54 :: v_dual_lshlrev_b32 v12, 23, v12
	v_lshl_add_u32 v19, v19, 10, 0x2000
	s_delay_alu instid0(VALU_DEP_1) | instskip(NEXT) | instid1(VALU_DEP_1)
	v_and_or_b32 v19, 0x8000, v54, v19
	v_lshl_or_b32 v12, v19, 16, v12
.LBB302_4096:                           ;   in Loop: Header=BB302_2086 Depth=1
	s_or_b32 exec_lo, exec_lo, s25
.LBB302_4097:                           ;   in Loop: Header=BB302_2086 Depth=1
	s_delay_alu instid0(SALU_CYCLE_1)
	s_or_b32 exec_lo, exec_lo, s24
.LBB302_4098:                           ;   in Loop: Header=BB302_2086 Depth=1
	s_delay_alu instid0(SALU_CYCLE_1) | instskip(SKIP_4) | instid1(VALU_DEP_3)
	s_or_b32 exec_lo, exec_lo, s23
	v_and_b32_e32 v80, 0xff, v71
	v_dual_mov_b32 v54, v71 :: v_dual_mov_b32 v69, 0
	v_mov_b32_e32 v19, 0
	s_mov_b32 s23, exec_lo
	v_cmpx_ne_u16_e32 0, v80
	s_cbranch_execz .LBB302_4106
; %bb.4099:                             ;   in Loop: Header=BB302_2086 Depth=1
	v_mov_b32_e32 v19, 0x8000
	s_mov_b32 s24, exec_lo
	v_cmpx_ne_u16_e32 0x80, v80
	s_cbranch_execz .LBB302_4105
; %bb.4100:                             ;   in Loop: Header=BB302_2086 Depth=1
	v_and_b32_e32 v81, 0x7f, v71
	v_mov_b32_e32 v19, 0x7c01
	s_mov_b32 s25, exec_lo
	s_delay_alu instid0(VALU_DEP_2)
	v_cmpx_ne_u32_e32 0x7f, v81
	s_cbranch_execz .LBB302_4104
; %bb.4101:                             ;   in Loop: Header=BB302_2086 Depth=1
	v_dual_lshrrev_b32 v80, 3, v81 :: v_dual_bitop2_b32 v19, 7, v71 bitop3:0x40
	s_mov_b32 s26, exec_lo
	v_cmpx_gt_u32_e32 8, v81
; %bb.4102:                             ;   in Loop: Header=BB302_2086 Depth=1
	s_delay_alu instid0(VALU_DEP_2) | instskip(NEXT) | instid1(VALU_DEP_1)
	v_clz_i32_u32_e32 v19, v19
	v_min_u32_e32 v19, 32, v19
	s_delay_alu instid0(VALU_DEP_1) | instskip(NEXT) | instid1(VALU_DEP_1)
	v_subrev_nc_u32_e32 v80, 28, v19
	v_lshlrev_b64_e32 v[82:83], v80, v[54:55]
	s_delay_alu instid0(VALU_DEP_1)
	v_dual_sub_nc_u32 v80, 29, v19 :: v_dual_bitop2_b32 v19, 7, v82 bitop3:0x40
; %bb.4103:                             ;   in Loop: Header=BB302_2086 Depth=1
	s_or_b32 exec_lo, exec_lo, s26
	v_lshlrev_b32_e32 v81, 8, v71
	s_delay_alu instid0(VALU_DEP_2) | instskip(NEXT) | instid1(VALU_DEP_3)
	v_lshl_add_u32 v80, v80, 10, 0x2000
	v_lshlrev_b32_e32 v19, 7, v19
	s_delay_alu instid0(VALU_DEP_3) | instskip(NEXT) | instid1(VALU_DEP_3)
	v_and_b32_e32 v81, 0x8000, v81
	v_and_b32_e32 v80, 0xfc00, v80
	s_delay_alu instid0(VALU_DEP_1)
	v_or3_b32 v19, v81, v80, v19
.LBB302_4104:                           ;   in Loop: Header=BB302_2086 Depth=1
	s_or_b32 exec_lo, exec_lo, s25
.LBB302_4105:                           ;   in Loop: Header=BB302_2086 Depth=1
	s_delay_alu instid0(SALU_CYCLE_1)
	s_or_b32 exec_lo, exec_lo, s24
.LBB302_4106:                           ;   in Loop: Header=BB302_2086 Depth=1
	s_delay_alu instid0(SALU_CYCLE_1) | instskip(SKIP_3) | instid1(VALU_DEP_2)
	s_or_b32 exec_lo, exec_lo, s23
	v_lshrrev_b16 v54, 8, v54
	v_mov_b32_e32 v80, 0
	s_mov_b32 s23, exec_lo
	v_cmpx_ne_u16_e32 0, v54
	s_cbranch_execz .LBB302_4114
; %bb.4107:                             ;   in Loop: Header=BB302_2086 Depth=1
	v_bfrev_b32_e32 v80, 1
	s_mov_b32 s24, exec_lo
	v_cmpx_ne_u16_e32 0x80, v54
	s_cbranch_execz .LBB302_4113
; %bb.4108:                             ;   in Loop: Header=BB302_2086 Depth=1
	v_and_b32_e32 v81, 0xffff, v54
	v_mov_b32_e32 v80, 0x7c010000
	s_mov_b32 s25, exec_lo
	s_delay_alu instid0(VALU_DEP_2) | instskip(NEXT) | instid1(VALU_DEP_1)
	v_and_b32_e32 v83, 0x7f, v81
	v_cmpx_ne_u32_e32 0x7f, v83
	s_cbranch_execz .LBB302_4112
; %bb.4109:                             ;   in Loop: Header=BB302_2086 Depth=1
	v_dual_lshrrev_b32 v82, 3, v83 :: v_dual_bitop2_b32 v80, 7, v81 bitop3:0x40
	s_mov_b32 s26, exec_lo
	v_cmpx_gt_u32_e32 8, v83
; %bb.4110:                             ;   in Loop: Header=BB302_2086 Depth=1
	s_delay_alu instid0(VALU_DEP_2) | instskip(NEXT) | instid1(VALU_DEP_1)
	v_clz_i32_u32_e32 v80, v80
	v_min_u32_e32 v80, 32, v80
	s_delay_alu instid0(VALU_DEP_1) | instskip(NEXT) | instid1(VALU_DEP_1)
	v_subrev_nc_u32_e32 v82, 28, v80
	v_lshlrev_b64_e32 v[84:85], v82, v[54:55]
	v_sub_nc_u32_e32 v82, 29, v80
	s_delay_alu instid0(VALU_DEP_2)
	v_and_b32_e32 v80, 7, v84
; %bb.4111:                             ;   in Loop: Header=BB302_2086 Depth=1
	s_or_b32 exec_lo, exec_lo, s26
	s_delay_alu instid0(VALU_DEP_1) | instskip(NEXT) | instid1(VALU_DEP_3)
	v_dual_lshlrev_b32 v54, 8, v81 :: v_dual_lshlrev_b32 v80, 23, v80
	v_lshl_add_u32 v81, v82, 10, 0x2000
	s_delay_alu instid0(VALU_DEP_1) | instskip(NEXT) | instid1(VALU_DEP_1)
	v_and_or_b32 v54, 0x8000, v54, v81
	v_lshl_or_b32 v80, v54, 16, v80
.LBB302_4112:                           ;   in Loop: Header=BB302_2086 Depth=1
	s_or_b32 exec_lo, exec_lo, s25
.LBB302_4113:                           ;   in Loop: Header=BB302_2086 Depth=1
	s_delay_alu instid0(SALU_CYCLE_1)
	s_or_b32 exec_lo, exec_lo, s24
.LBB302_4114:                           ;   in Loop: Header=BB302_2086 Depth=1
	s_delay_alu instid0(SALU_CYCLE_1) | instskip(SKIP_2) | instid1(VALU_DEP_1)
	s_or_b32 exec_lo, exec_lo, s23
	v_lshrrev_b32_e32 v54, 16, v71
	s_mov_b32 s23, exec_lo
	v_and_b32_e32 v81, 0xff, v54
	s_delay_alu instid0(VALU_DEP_1)
	v_cmpx_ne_u16_e32 0, v81
	s_cbranch_execz .LBB302_4122
; %bb.4115:                             ;   in Loop: Header=BB302_2086 Depth=1
	v_mov_b32_e32 v69, 0x8000
	s_mov_b32 s24, exec_lo
	v_cmpx_ne_u16_e32 0x80, v81
	s_cbranch_execz .LBB302_4121
; %bb.4116:                             ;   in Loop: Header=BB302_2086 Depth=1
	v_bfe_u32 v82, v71, 16, 7
	v_mov_b32_e32 v69, 0x7c01
	s_mov_b32 s25, exec_lo
	s_delay_alu instid0(VALU_DEP_2)
	v_cmpx_ne_u32_e32 0x7f, v82
	s_cbranch_execz .LBB302_4120
; %bb.4117:                             ;   in Loop: Header=BB302_2086 Depth=1
	v_and_b32_e32 v69, 7, v54
	v_lshrrev_b32_e32 v81, 3, v82
	s_mov_b32 s26, exec_lo
	v_cmpx_gt_u32_e32 8, v82
; %bb.4118:                             ;   in Loop: Header=BB302_2086 Depth=1
	s_delay_alu instid0(VALU_DEP_3) | instskip(NEXT) | instid1(VALU_DEP_1)
	v_clz_i32_u32_e32 v69, v69
	v_min_u32_e32 v69, 32, v69
	s_delay_alu instid0(VALU_DEP_1) | instskip(NEXT) | instid1(VALU_DEP_1)
	v_subrev_nc_u32_e32 v81, 28, v69
	v_lshlrev_b64_e32 v[82:83], v81, v[54:55]
	s_delay_alu instid0(VALU_DEP_1)
	v_dual_sub_nc_u32 v81, 29, v69 :: v_dual_bitop2_b32 v69, 7, v82 bitop3:0x40
; %bb.4119:                             ;   in Loop: Header=BB302_2086 Depth=1
	s_or_b32 exec_lo, exec_lo, s26
	s_delay_alu instid0(VALU_DEP_1) | instskip(NEXT) | instid1(VALU_DEP_2)
	v_dual_lshlrev_b32 v54, 8, v54 :: v_dual_lshlrev_b32 v69, 7, v69
	v_lshl_add_u32 v81, v81, 10, 0x2000
	s_delay_alu instid0(VALU_DEP_2) | instskip(NEXT) | instid1(VALU_DEP_2)
	v_and_b32_e32 v54, 0x8000, v54
	v_and_b32_e32 v81, 0xfc00, v81
	s_delay_alu instid0(VALU_DEP_1)
	v_or3_b32 v69, v54, v81, v69
.LBB302_4120:                           ;   in Loop: Header=BB302_2086 Depth=1
	s_or_b32 exec_lo, exec_lo, s25
.LBB302_4121:                           ;   in Loop: Header=BB302_2086 Depth=1
	s_delay_alu instid0(SALU_CYCLE_1)
	s_or_b32 exec_lo, exec_lo, s24
.LBB302_4122:                           ;   in Loop: Header=BB302_2086 Depth=1
	s_delay_alu instid0(SALU_CYCLE_1)
	s_or_b32 exec_lo, exec_lo, s23
	v_cmp_lt_u64_e64 s8, s[16:17], v[70:71]
	v_mov_b32_e32 v70, 0
	s_and_saveexec_b32 s23, s8
	s_cbranch_execz .LBB302_4130
; %bb.4123:                             ;   in Loop: Header=BB302_2086 Depth=1
	v_lshrrev_b32_e32 v54, 24, v71
	v_bfrev_b32_e32 v70, 1
	s_mov_b32 s24, exec_lo
	s_delay_alu instid0(VALU_DEP_2)
	v_cmpx_ne_u32_e32 0x80, v54
	s_cbranch_execz .LBB302_4129
; %bb.4124:                             ;   in Loop: Header=BB302_2086 Depth=1
	v_and_b32_e32 v81, 0x7f, v54
	v_mov_b32_e32 v70, 0x7c010000
	s_mov_b32 s25, exec_lo
	s_delay_alu instid0(VALU_DEP_2)
	v_cmpx_ne_u32_e32 0x7f, v81
	s_cbranch_execz .LBB302_4128
; %bb.4125:                             ;   in Loop: Header=BB302_2086 Depth=1
	v_dual_lshrrev_b32 v71, 3, v81 :: v_dual_bitop2_b32 v70, 7, v54 bitop3:0x40
	s_mov_b32 s26, exec_lo
	v_cmpx_gt_u32_e32 8, v81
; %bb.4126:                             ;   in Loop: Header=BB302_2086 Depth=1
	s_delay_alu instid0(VALU_DEP_2) | instskip(NEXT) | instid1(VALU_DEP_1)
	v_clz_i32_u32_e32 v70, v70
	v_min_u32_e32 v81, 32, v70
	s_delay_alu instid0(VALU_DEP_1) | instskip(NEXT) | instid1(VALU_DEP_1)
	v_subrev_nc_u32_e32 v70, 28, v81
	v_lshlrev_b64_e32 v[70:71], v70, v[54:55]
	s_delay_alu instid0(VALU_DEP_1)
	v_dual_sub_nc_u32 v71, 29, v81 :: v_dual_bitop2_b32 v70, 7, v70 bitop3:0x40
; %bb.4127:                             ;   in Loop: Header=BB302_2086 Depth=1
	s_or_b32 exec_lo, exec_lo, s26
	v_lshlrev_b32_e32 v54, 8, v54
	s_delay_alu instid0(VALU_DEP_2) | instskip(NEXT) | instid1(VALU_DEP_3)
	v_lshl_add_u32 v71, v71, 10, 0x2000
	v_lshlrev_b32_e32 v70, 23, v70
	s_delay_alu instid0(VALU_DEP_2) | instskip(NEXT) | instid1(VALU_DEP_1)
	v_and_or_b32 v54, 0x8000, v54, v71
	v_lshl_or_b32 v70, v54, 16, v70
.LBB302_4128:                           ;   in Loop: Header=BB302_2086 Depth=1
	s_or_b32 exec_lo, exec_lo, s25
.LBB302_4129:                           ;   in Loop: Header=BB302_2086 Depth=1
	s_delay_alu instid0(SALU_CYCLE_1)
	s_or_b32 exec_lo, exec_lo, s24
.LBB302_4130:                           ;   in Loop: Header=BB302_2086 Depth=1
	s_delay_alu instid0(SALU_CYCLE_1) | instskip(SKIP_2) | instid1(VALU_DEP_2)
	s_or_b32 exec_lo, exec_lo, s23
	v_dual_lshrrev_b32 v54, 16, v0 :: v_dual_bitop2_b32 v81, v0, v1 bitop3:0x54
	v_dual_lshrrev_b32 v71, 16, v12 :: v_dual_bitop2_b32 v12, v12, v18 bitop3:0x54
	v_cvt_f32_f16_e32 v1, v54
	v_dual_lshrrev_b32 v69, 16, v80 :: v_dual_bitop2_b32 v54, v70, v69 bitop3:0x54
	s_delay_alu instid0(VALU_DEP_3)
	v_cvt_f32_f16_e32 v0, v71
	v_lshrrev_b32_e32 v70, 16, v70
	v_cvt_f32_f16_e32 v18, v12
	v_or_b32_e32 v12, v80, v19
	v_cvt_f32_f16_e32 v19, v81
	s_wait_loadcnt_dscnt 0x0
	v_pk_mul_f32 v[0:1], v[68:69], v[0:1] op_sel_hi:[0,1]
	v_cvt_f32_f16_e32 v71, v69
	v_cvt_f32_f16_e32 v70, v70
	;; [unrolled: 1-line block ×4, first 2 shown]
	v_pk_mul_f32 v[18:19], v[68:69], v[18:19] op_sel_hi:[0,1]
	v_cvt_pk_f16_f32 v12, v0, v1
	v_pk_mul_f32 v[0:1], v[68:69], v[70:71] op_sel_hi:[0,1]
	s_delay_alu instid0(VALU_DEP_4) | instskip(NEXT) | instid1(VALU_DEP_4)
	v_pk_mul_f32 v[70:71], v[68:69], v[80:81] op_sel_hi:[0,1]
	v_cvt_pk_f16_f32 v18, v18, v19
	s_delay_alu instid0(VALU_DEP_4) | instskip(NEXT) | instid1(VALU_DEP_4)
	v_and_b32_e32 v69, 0xffff0000, v12
	v_cvt_pk_f16_f32 v0, v0, v1
	v_lshlrev_b32_e32 v80, 16, v12
	v_cvt_pk_f16_f32 v1, v70, v71
	v_lshrrev_b32_e32 v85, 16, v18
	v_and_b32_e32 v84, 0xffff, v18
	v_and_b32_e32 v19, 0xffff0000, v0
	s_delay_alu instid0(VALU_DEP_4) | instskip(SKIP_3) | instid1(VALU_DEP_4)
	v_dual_lshlrev_b32 v54, 16, v0 :: v_dual_lshrrev_b32 v83, 16, v1
	v_and_b32_e32 v82, 0xffff, v1
	v_or_b32_e32 v81, v69, v85
	v_or_b32_e32 v70, v80, v84
	;; [unrolled: 1-line block ×3, first 2 shown]
	s_delay_alu instid0(VALU_DEP_4)
	v_or_b32_e32 v68, v54, v82
	s_and_saveexec_b32 s8, s3
	s_cbranch_execz .LBB302_4132
; %bb.4131:                             ;   in Loop: Header=BB302_2086 Depth=1
	v_dual_cndmask_b32 v0, 0, v85, vcc_lo :: v_dual_cndmask_b32 v1, 0, v84, s0
	v_dual_cndmask_b32 v12, 0, v69, s1 :: v_dual_cndmask_b32 v18, 0, v80, s2
	v_dual_cndmask_b32 v68, 0, v83, s4 :: v_dual_cndmask_b32 v69, 0, v82, s5
	;; [unrolled: 1-line block ×3, first 2 shown]
	s_delay_alu instid0(VALU_DEP_3) | instskip(NEXT) | instid1(VALU_DEP_4)
	v_or_b32_e32 v81, v0, v12
	v_or_b32_e32 v70, v1, v18
	s_delay_alu instid0(VALU_DEP_3) | instskip(NEXT) | instid1(VALU_DEP_4)
	v_or_b32_e32 v71, v68, v19
	v_or_b32_e32 v68, v69, v54
.LBB302_4132:                           ;   in Loop: Header=BB302_2086 Depth=1
	s_or_b32 exec_lo, exec_lo, s8
	;;#ASMSTART
	v_pk_mul_f16 v0, v112, v81;

	;;#ASMEND
	;;#ASMSTART
	v_pk_mul_f16 v1, v103, v70;

	;;#ASMEND
	;; [unrolled: 4-line block ×4, first 2 shown]
	;;#ASMSTART
	v_pk_add_f16 v0, v0, v1;

	;;#ASMEND
	;;#ASMSTART
	v_pk_add_f16 v0, v0, v12;

	;;#ASMEND
	;; [unrolled: 4-line block ×3, first 2 shown]
	v_add_nc_u64_e32 v[0:1], v[66:67], v[52:53]
	v_and_b32_e32 v18, 0xffff, v12
	v_lshrrev_b32_e32 v12, 16, v12
	;;#ASMSTART
	v_cvt_f32_f16 v84, v18;
	;;#ASMEND
	;;#ASMSTART
	v_cvt_f32_f16 v85, v12;
	;;#ASMEND
	flat_load_b64 v[68:69], v[0:1]
	flat_load_b32 v66, v[22:23]
	s_wait_xcnt 0x1
	v_dual_mov_b32 v0, 0 :: v_dual_mov_b32 v1, 0
	s_mov_b32 s23, exec_lo
	s_wait_loadcnt_dscnt 0x101
	v_and_b32_e32 v12, 0xff, v68
	s_wait_xcnt 0x0
	s_delay_alu instid0(VALU_DEP_1)
	v_cmpx_ne_u16_e32 0, v12
	s_cbranch_execz .LBB302_4140
; %bb.4133:                             ;   in Loop: Header=BB302_2086 Depth=1
	v_mov_b32_e32 v1, 0x8000
	s_mov_b32 s24, exec_lo
	v_cmpx_ne_u16_e32 0x80, v12
	s_cbranch_execz .LBB302_4139
; %bb.4134:                             ;   in Loop: Header=BB302_2086 Depth=1
	v_and_b32_e32 v18, 0x7f, v68
	v_mov_b32_e32 v1, 0x7c01
	s_mov_b32 s25, exec_lo
	s_delay_alu instid0(VALU_DEP_2)
	v_cmpx_ne_u32_e32 0x7f, v18
	s_cbranch_execz .LBB302_4138
; %bb.4135:                             ;   in Loop: Header=BB302_2086 Depth=1
	v_dual_lshrrev_b32 v12, 3, v18 :: v_dual_bitop2_b32 v1, 7, v68 bitop3:0x40
	s_mov_b32 s26, exec_lo
	v_cmpx_gt_u32_e32 8, v18
; %bb.4136:                             ;   in Loop: Header=BB302_2086 Depth=1
	s_delay_alu instid0(VALU_DEP_2) | instskip(NEXT) | instid1(VALU_DEP_1)
	v_clz_i32_u32_e32 v1, v1
	v_min_u32_e32 v1, 32, v1
	s_delay_alu instid0(VALU_DEP_1) | instskip(NEXT) | instid1(VALU_DEP_1)
	v_subrev_nc_u32_e32 v12, 28, v1
	v_lshlrev_b64_e32 v[18:19], v12, v[68:69]
	s_delay_alu instid0(VALU_DEP_1)
	v_dual_sub_nc_u32 v12, 29, v1 :: v_dual_bitop2_b32 v1, 7, v18 bitop3:0x40
; %bb.4137:                             ;   in Loop: Header=BB302_2086 Depth=1
	s_or_b32 exec_lo, exec_lo, s26
	s_delay_alu instid0(VALU_DEP_1) | instskip(NEXT) | instid1(VALU_DEP_2)
	v_dual_lshlrev_b32 v18, 8, v68 :: v_dual_lshlrev_b32 v1, 7, v1
	v_lshl_add_u32 v12, v12, 10, 0x2000
	s_delay_alu instid0(VALU_DEP_2) | instskip(NEXT) | instid1(VALU_DEP_2)
	v_and_b32_e32 v18, 0x8000, v18
	v_and_b32_e32 v12, 0xfc00, v12
	s_delay_alu instid0(VALU_DEP_1)
	v_or3_b32 v1, v18, v12, v1
.LBB302_4138:                           ;   in Loop: Header=BB302_2086 Depth=1
	s_or_b32 exec_lo, exec_lo, s25
.LBB302_4139:                           ;   in Loop: Header=BB302_2086 Depth=1
	s_delay_alu instid0(SALU_CYCLE_1)
	s_or_b32 exec_lo, exec_lo, s24
.LBB302_4140:                           ;   in Loop: Header=BB302_2086 Depth=1
	s_delay_alu instid0(SALU_CYCLE_1) | instskip(SKIP_2) | instid1(VALU_DEP_1)
	s_or_b32 exec_lo, exec_lo, s23
	v_lshrrev_b16 v54, 8, v68
	s_mov_b32 s23, exec_lo
	v_cmpx_ne_u16_e32 0, v54
	s_cbranch_execz .LBB302_4148
; %bb.4141:                             ;   in Loop: Header=BB302_2086 Depth=1
	v_bfrev_b32_e32 v0, 1
	s_mov_b32 s24, exec_lo
	v_cmpx_ne_u16_e32 0x80, v54
	s_cbranch_execz .LBB302_4147
; %bb.4142:                             ;   in Loop: Header=BB302_2086 Depth=1
	v_and_b32_e32 v12, 0xffff, v54
	v_mov_b32_e32 v0, 0x7c010000
	s_mov_b32 s25, exec_lo
	s_delay_alu instid0(VALU_DEP_2) | instskip(NEXT) | instid1(VALU_DEP_1)
	v_and_b32_e32 v19, 0x7f, v12
	v_cmpx_ne_u32_e32 0x7f, v19
	s_cbranch_execz .LBB302_4146
; %bb.4143:                             ;   in Loop: Header=BB302_2086 Depth=1
	v_dual_lshrrev_b32 v18, 3, v19 :: v_dual_bitop2_b32 v0, 7, v12 bitop3:0x40
	s_mov_b32 s26, exec_lo
	v_cmpx_gt_u32_e32 8, v19
; %bb.4144:                             ;   in Loop: Header=BB302_2086 Depth=1
	s_delay_alu instid0(VALU_DEP_2) | instskip(NEXT) | instid1(VALU_DEP_1)
	v_clz_i32_u32_e32 v0, v0
	v_min_u32_e32 v0, 32, v0
	s_delay_alu instid0(VALU_DEP_1) | instskip(NEXT) | instid1(VALU_DEP_1)
	v_subrev_nc_u32_e32 v18, 28, v0
	v_lshlrev_b64_e32 v[70:71], v18, v[54:55]
	s_delay_alu instid0(VALU_DEP_1)
	v_dual_sub_nc_u32 v18, 29, v0 :: v_dual_bitop2_b32 v0, 7, v70 bitop3:0x40
; %bb.4145:                             ;   in Loop: Header=BB302_2086 Depth=1
	s_or_b32 exec_lo, exec_lo, s26
	v_lshlrev_b32_e32 v12, 8, v12
	s_delay_alu instid0(VALU_DEP_2) | instskip(NEXT) | instid1(VALU_DEP_3)
	v_lshl_add_u32 v18, v18, 10, 0x2000
	v_lshlrev_b32_e32 v0, 23, v0
	s_delay_alu instid0(VALU_DEP_2) | instskip(NEXT) | instid1(VALU_DEP_1)
	v_and_or_b32 v12, 0x8000, v12, v18
	v_lshl_or_b32 v0, v12, 16, v0
.LBB302_4146:                           ;   in Loop: Header=BB302_2086 Depth=1
	s_or_b32 exec_lo, exec_lo, s25
.LBB302_4147:                           ;   in Loop: Header=BB302_2086 Depth=1
	s_delay_alu instid0(SALU_CYCLE_1)
	s_or_b32 exec_lo, exec_lo, s24
.LBB302_4148:                           ;   in Loop: Header=BB302_2086 Depth=1
	s_delay_alu instid0(SALU_CYCLE_1) | instskip(SKIP_3) | instid1(VALU_DEP_2)
	s_or_b32 exec_lo, exec_lo, s23
	v_dual_lshrrev_b32 v54, 16, v68 :: v_dual_mov_b32 v12, 0
	v_mov_b32_e32 v18, 0
	s_mov_b32 s23, exec_lo
	v_and_b32_e32 v19, 0xff, v54
	s_delay_alu instid0(VALU_DEP_1)
	v_cmpx_ne_u16_e32 0, v19
	s_cbranch_execz .LBB302_4156
; %bb.4149:                             ;   in Loop: Header=BB302_2086 Depth=1
	v_mov_b32_e32 v18, 0x8000
	s_mov_b32 s24, exec_lo
	v_cmpx_ne_u16_e32 0x80, v19
	s_cbranch_execz .LBB302_4155
; %bb.4150:                             ;   in Loop: Header=BB302_2086 Depth=1
	v_bfe_u32 v67, v68, 16, 7
	v_mov_b32_e32 v18, 0x7c01
	s_mov_b32 s25, exec_lo
	s_delay_alu instid0(VALU_DEP_2)
	v_cmpx_ne_u32_e32 0x7f, v67
	s_cbranch_execz .LBB302_4154
; %bb.4151:                             ;   in Loop: Header=BB302_2086 Depth=1
	v_dual_lshrrev_b32 v19, 3, v67 :: v_dual_bitop2_b32 v18, 7, v54 bitop3:0x40
	s_mov_b32 s26, exec_lo
	v_cmpx_gt_u32_e32 8, v67
; %bb.4152:                             ;   in Loop: Header=BB302_2086 Depth=1
	s_delay_alu instid0(VALU_DEP_2) | instskip(NEXT) | instid1(VALU_DEP_1)
	v_clz_i32_u32_e32 v18, v18
	v_min_u32_e32 v67, 32, v18
	s_delay_alu instid0(VALU_DEP_1) | instskip(NEXT) | instid1(VALU_DEP_1)
	v_subrev_nc_u32_e32 v18, 28, v67
	v_lshlrev_b64_e32 v[18:19], v18, v[54:55]
	s_delay_alu instid0(VALU_DEP_1)
	v_dual_sub_nc_u32 v19, 29, v67 :: v_dual_bitop2_b32 v18, 7, v18 bitop3:0x40
; %bb.4153:                             ;   in Loop: Header=BB302_2086 Depth=1
	s_or_b32 exec_lo, exec_lo, s26
	v_lshlrev_b32_e32 v54, 8, v54
	s_delay_alu instid0(VALU_DEP_2) | instskip(NEXT) | instid1(VALU_DEP_3)
	v_lshl_add_u32 v19, v19, 10, 0x2000
	v_lshlrev_b32_e32 v18, 7, v18
	s_delay_alu instid0(VALU_DEP_3) | instskip(NEXT) | instid1(VALU_DEP_3)
	v_and_b32_e32 v54, 0x8000, v54
	v_and_b32_e32 v19, 0xfc00, v19
	s_delay_alu instid0(VALU_DEP_1)
	v_or3_b32 v18, v54, v19, v18
.LBB302_4154:                           ;   in Loop: Header=BB302_2086 Depth=1
	s_or_b32 exec_lo, exec_lo, s25
.LBB302_4155:                           ;   in Loop: Header=BB302_2086 Depth=1
	s_delay_alu instid0(SALU_CYCLE_1)
	s_or_b32 exec_lo, exec_lo, s24
.LBB302_4156:                           ;   in Loop: Header=BB302_2086 Depth=1
	s_delay_alu instid0(SALU_CYCLE_1) | instskip(NEXT) | instid1(SALU_CYCLE_1)
	s_or_b32 exec_lo, exec_lo, s23
	s_mov_b32 s23, exec_lo
	v_cmpx_lt_u32_e32 0xffffff, v68
	s_cbranch_execz .LBB302_4164
; %bb.4157:                             ;   in Loop: Header=BB302_2086 Depth=1
	v_lshrrev_b32_e32 v54, 24, v68
	v_bfrev_b32_e32 v12, 1
	s_mov_b32 s24, exec_lo
	s_delay_alu instid0(VALU_DEP_2)
	v_cmpx_ne_u32_e32 0x80, v54
	s_cbranch_execz .LBB302_4163
; %bb.4158:                             ;   in Loop: Header=BB302_2086 Depth=1
	v_and_b32_e32 v67, 0x7f, v54
	v_mov_b32_e32 v12, 0x7c010000
	s_mov_b32 s25, exec_lo
	s_delay_alu instid0(VALU_DEP_2)
	v_cmpx_ne_u32_e32 0x7f, v67
	s_cbranch_execz .LBB302_4162
; %bb.4159:                             ;   in Loop: Header=BB302_2086 Depth=1
	v_dual_lshrrev_b32 v19, 3, v67 :: v_dual_bitop2_b32 v12, 7, v54 bitop3:0x40
	s_mov_b32 s26, exec_lo
	v_cmpx_gt_u32_e32 8, v67
; %bb.4160:                             ;   in Loop: Header=BB302_2086 Depth=1
	s_delay_alu instid0(VALU_DEP_2) | instskip(NEXT) | instid1(VALU_DEP_1)
	v_clz_i32_u32_e32 v12, v12
	v_min_u32_e32 v12, 32, v12
	s_delay_alu instid0(VALU_DEP_1) | instskip(NEXT) | instid1(VALU_DEP_1)
	v_subrev_nc_u32_e32 v19, 28, v12
	v_lshlrev_b64_e32 v[70:71], v19, v[54:55]
	s_delay_alu instid0(VALU_DEP_1)
	v_dual_sub_nc_u32 v19, 29, v12 :: v_dual_bitop2_b32 v12, 7, v70 bitop3:0x40
; %bb.4161:                             ;   in Loop: Header=BB302_2086 Depth=1
	s_or_b32 exec_lo, exec_lo, s26
	s_delay_alu instid0(VALU_DEP_1) | instskip(NEXT) | instid1(VALU_DEP_2)
	v_dual_lshlrev_b32 v54, 8, v54 :: v_dual_lshlrev_b32 v12, 23, v12
	v_lshl_add_u32 v19, v19, 10, 0x2000
	s_delay_alu instid0(VALU_DEP_1) | instskip(NEXT) | instid1(VALU_DEP_1)
	v_and_or_b32 v19, 0x8000, v54, v19
	v_lshl_or_b32 v12, v19, 16, v12
.LBB302_4162:                           ;   in Loop: Header=BB302_2086 Depth=1
	s_or_b32 exec_lo, exec_lo, s25
.LBB302_4163:                           ;   in Loop: Header=BB302_2086 Depth=1
	s_delay_alu instid0(SALU_CYCLE_1)
	s_or_b32 exec_lo, exec_lo, s24
.LBB302_4164:                           ;   in Loop: Header=BB302_2086 Depth=1
	s_delay_alu instid0(SALU_CYCLE_1) | instskip(SKIP_4) | instid1(VALU_DEP_3)
	s_or_b32 exec_lo, exec_lo, s23
	v_and_b32_e32 v70, 0xff, v69
	v_dual_mov_b32 v54, v69 :: v_dual_mov_b32 v67, 0
	v_mov_b32_e32 v19, 0
	s_mov_b32 s23, exec_lo
	v_cmpx_ne_u16_e32 0, v70
	s_cbranch_execz .LBB302_4172
; %bb.4165:                             ;   in Loop: Header=BB302_2086 Depth=1
	v_mov_b32_e32 v19, 0x8000
	s_mov_b32 s24, exec_lo
	v_cmpx_ne_u16_e32 0x80, v70
	s_cbranch_execz .LBB302_4171
; %bb.4166:                             ;   in Loop: Header=BB302_2086 Depth=1
	v_and_b32_e32 v71, 0x7f, v69
	v_mov_b32_e32 v19, 0x7c01
	s_mov_b32 s25, exec_lo
	s_delay_alu instid0(VALU_DEP_2)
	v_cmpx_ne_u32_e32 0x7f, v71
	s_cbranch_execz .LBB302_4170
; %bb.4167:                             ;   in Loop: Header=BB302_2086 Depth=1
	v_dual_lshrrev_b32 v70, 3, v71 :: v_dual_bitop2_b32 v19, 7, v69 bitop3:0x40
	s_mov_b32 s26, exec_lo
	v_cmpx_gt_u32_e32 8, v71
; %bb.4168:                             ;   in Loop: Header=BB302_2086 Depth=1
	s_delay_alu instid0(VALU_DEP_2) | instskip(NEXT) | instid1(VALU_DEP_1)
	v_clz_i32_u32_e32 v19, v19
	v_min_u32_e32 v19, 32, v19
	s_delay_alu instid0(VALU_DEP_1) | instskip(NEXT) | instid1(VALU_DEP_1)
	v_subrev_nc_u32_e32 v70, 28, v19
	v_lshlrev_b64_e32 v[80:81], v70, v[54:55]
	s_delay_alu instid0(VALU_DEP_1)
	v_dual_sub_nc_u32 v70, 29, v19 :: v_dual_bitop2_b32 v19, 7, v80 bitop3:0x40
; %bb.4169:                             ;   in Loop: Header=BB302_2086 Depth=1
	s_or_b32 exec_lo, exec_lo, s26
	s_delay_alu instid0(VALU_DEP_1) | instskip(NEXT) | instid1(VALU_DEP_2)
	v_dual_lshlrev_b32 v71, 8, v69 :: v_dual_lshlrev_b32 v19, 7, v19
	v_lshl_add_u32 v70, v70, 10, 0x2000
	s_delay_alu instid0(VALU_DEP_2) | instskip(NEXT) | instid1(VALU_DEP_2)
	v_and_b32_e32 v71, 0x8000, v71
	v_and_b32_e32 v70, 0xfc00, v70
	s_delay_alu instid0(VALU_DEP_1)
	v_or3_b32 v19, v71, v70, v19
.LBB302_4170:                           ;   in Loop: Header=BB302_2086 Depth=1
	s_or_b32 exec_lo, exec_lo, s25
.LBB302_4171:                           ;   in Loop: Header=BB302_2086 Depth=1
	s_delay_alu instid0(SALU_CYCLE_1)
	s_or_b32 exec_lo, exec_lo, s24
.LBB302_4172:                           ;   in Loop: Header=BB302_2086 Depth=1
	s_delay_alu instid0(SALU_CYCLE_1) | instskip(SKIP_3) | instid1(VALU_DEP_2)
	s_or_b32 exec_lo, exec_lo, s23
	v_lshrrev_b16 v54, 8, v54
	v_mov_b32_e32 v70, 0
	s_mov_b32 s23, exec_lo
	v_cmpx_ne_u16_e32 0, v54
	s_cbranch_execz .LBB302_4180
; %bb.4173:                             ;   in Loop: Header=BB302_2086 Depth=1
	v_bfrev_b32_e32 v70, 1
	s_mov_b32 s24, exec_lo
	v_cmpx_ne_u16_e32 0x80, v54
	s_cbranch_execz .LBB302_4179
; %bb.4174:                             ;   in Loop: Header=BB302_2086 Depth=1
	v_and_b32_e32 v71, 0xffff, v54
	v_mov_b32_e32 v70, 0x7c010000
	s_mov_b32 s25, exec_lo
	s_delay_alu instid0(VALU_DEP_2) | instskip(NEXT) | instid1(VALU_DEP_1)
	v_and_b32_e32 v81, 0x7f, v71
	v_cmpx_ne_u32_e32 0x7f, v81
	s_cbranch_execz .LBB302_4178
; %bb.4175:                             ;   in Loop: Header=BB302_2086 Depth=1
	v_dual_lshrrev_b32 v80, 3, v81 :: v_dual_bitop2_b32 v70, 7, v71 bitop3:0x40
	s_mov_b32 s26, exec_lo
	v_cmpx_gt_u32_e32 8, v81
; %bb.4176:                             ;   in Loop: Header=BB302_2086 Depth=1
	s_delay_alu instid0(VALU_DEP_2) | instskip(NEXT) | instid1(VALU_DEP_1)
	v_clz_i32_u32_e32 v70, v70
	v_min_u32_e32 v70, 32, v70
	s_delay_alu instid0(VALU_DEP_1) | instskip(NEXT) | instid1(VALU_DEP_1)
	v_subrev_nc_u32_e32 v80, 28, v70
	v_lshlrev_b64_e32 v[82:83], v80, v[54:55]
	v_sub_nc_u32_e32 v80, 29, v70
	s_delay_alu instid0(VALU_DEP_2)
	v_and_b32_e32 v70, 7, v82
; %bb.4177:                             ;   in Loop: Header=BB302_2086 Depth=1
	s_or_b32 exec_lo, exec_lo, s26
	s_delay_alu instid0(VALU_DEP_1) | instskip(NEXT) | instid1(VALU_DEP_3)
	v_dual_lshlrev_b32 v54, 8, v71 :: v_dual_lshlrev_b32 v70, 23, v70
	v_lshl_add_u32 v71, v80, 10, 0x2000
	s_delay_alu instid0(VALU_DEP_1) | instskip(NEXT) | instid1(VALU_DEP_1)
	v_and_or_b32 v54, 0x8000, v54, v71
	v_lshl_or_b32 v70, v54, 16, v70
.LBB302_4178:                           ;   in Loop: Header=BB302_2086 Depth=1
	s_or_b32 exec_lo, exec_lo, s25
.LBB302_4179:                           ;   in Loop: Header=BB302_2086 Depth=1
	s_delay_alu instid0(SALU_CYCLE_1)
	s_or_b32 exec_lo, exec_lo, s24
.LBB302_4180:                           ;   in Loop: Header=BB302_2086 Depth=1
	s_delay_alu instid0(SALU_CYCLE_1) | instskip(SKIP_2) | instid1(VALU_DEP_1)
	s_or_b32 exec_lo, exec_lo, s23
	v_lshrrev_b32_e32 v54, 16, v69
	s_mov_b32 s23, exec_lo
	v_and_b32_e32 v71, 0xff, v54
	s_delay_alu instid0(VALU_DEP_1)
	v_cmpx_ne_u16_e32 0, v71
	s_cbranch_execz .LBB302_4188
; %bb.4181:                             ;   in Loop: Header=BB302_2086 Depth=1
	v_mov_b32_e32 v67, 0x8000
	s_mov_b32 s24, exec_lo
	v_cmpx_ne_u16_e32 0x80, v71
	s_cbranch_execz .LBB302_4187
; %bb.4182:                             ;   in Loop: Header=BB302_2086 Depth=1
	v_bfe_u32 v80, v69, 16, 7
	v_mov_b32_e32 v67, 0x7c01
	s_mov_b32 s25, exec_lo
	s_delay_alu instid0(VALU_DEP_2)
	v_cmpx_ne_u32_e32 0x7f, v80
	s_cbranch_execz .LBB302_4186
; %bb.4183:                             ;   in Loop: Header=BB302_2086 Depth=1
	v_dual_lshrrev_b32 v71, 3, v80 :: v_dual_bitop2_b32 v67, 7, v54 bitop3:0x40
	s_mov_b32 s26, exec_lo
	v_cmpx_gt_u32_e32 8, v80
; %bb.4184:                             ;   in Loop: Header=BB302_2086 Depth=1
	s_delay_alu instid0(VALU_DEP_2) | instskip(NEXT) | instid1(VALU_DEP_1)
	v_clz_i32_u32_e32 v67, v67
	v_min_u32_e32 v67, 32, v67
	s_delay_alu instid0(VALU_DEP_1) | instskip(NEXT) | instid1(VALU_DEP_1)
	v_subrev_nc_u32_e32 v71, 28, v67
	v_lshlrev_b64_e32 v[80:81], v71, v[54:55]
	s_delay_alu instid0(VALU_DEP_1)
	v_dual_sub_nc_u32 v71, 29, v67 :: v_dual_bitop2_b32 v67, 7, v80 bitop3:0x40
; %bb.4185:                             ;   in Loop: Header=BB302_2086 Depth=1
	s_or_b32 exec_lo, exec_lo, s26
	s_delay_alu instid0(VALU_DEP_1) | instskip(NEXT) | instid1(VALU_DEP_2)
	v_dual_lshlrev_b32 v54, 8, v54 :: v_dual_lshlrev_b32 v67, 7, v67
	v_lshl_add_u32 v71, v71, 10, 0x2000
	s_delay_alu instid0(VALU_DEP_2) | instskip(NEXT) | instid1(VALU_DEP_2)
	v_and_b32_e32 v54, 0x8000, v54
	v_and_b32_e32 v71, 0xfc00, v71
	s_delay_alu instid0(VALU_DEP_1)
	v_or3_b32 v67, v54, v71, v67
.LBB302_4186:                           ;   in Loop: Header=BB302_2086 Depth=1
	s_or_b32 exec_lo, exec_lo, s25
.LBB302_4187:                           ;   in Loop: Header=BB302_2086 Depth=1
	s_delay_alu instid0(SALU_CYCLE_1)
	s_or_b32 exec_lo, exec_lo, s24
.LBB302_4188:                           ;   in Loop: Header=BB302_2086 Depth=1
	s_delay_alu instid0(SALU_CYCLE_1)
	s_or_b32 exec_lo, exec_lo, s23
	v_cmp_lt_u64_e64 s8, s[16:17], v[68:69]
	v_mov_b32_e32 v68, 0
	s_and_saveexec_b32 s23, s8
	s_cbranch_execz .LBB302_4196
; %bb.4189:                             ;   in Loop: Header=BB302_2086 Depth=1
	v_lshrrev_b32_e32 v54, 24, v69
	v_bfrev_b32_e32 v68, 1
	s_mov_b32 s24, exec_lo
	s_delay_alu instid0(VALU_DEP_2)
	v_cmpx_ne_u32_e32 0x80, v54
	s_cbranch_execz .LBB302_4195
; %bb.4190:                             ;   in Loop: Header=BB302_2086 Depth=1
	v_and_b32_e32 v71, 0x7f, v54
	v_mov_b32_e32 v68, 0x7c010000
	s_mov_b32 s25, exec_lo
	s_delay_alu instid0(VALU_DEP_2)
	v_cmpx_ne_u32_e32 0x7f, v71
	s_cbranch_execz .LBB302_4194
; %bb.4191:                             ;   in Loop: Header=BB302_2086 Depth=1
	v_dual_lshrrev_b32 v69, 3, v71 :: v_dual_bitop2_b32 v68, 7, v54 bitop3:0x40
	s_mov_b32 s26, exec_lo
	v_cmpx_gt_u32_e32 8, v71
; %bb.4192:                             ;   in Loop: Header=BB302_2086 Depth=1
	s_delay_alu instid0(VALU_DEP_2) | instskip(NEXT) | instid1(VALU_DEP_1)
	v_clz_i32_u32_e32 v68, v68
	v_min_u32_e32 v71, 32, v68
	s_delay_alu instid0(VALU_DEP_1) | instskip(NEXT) | instid1(VALU_DEP_1)
	v_subrev_nc_u32_e32 v68, 28, v71
	v_lshlrev_b64_e32 v[68:69], v68, v[54:55]
	s_delay_alu instid0(VALU_DEP_1)
	v_dual_sub_nc_u32 v69, 29, v71 :: v_dual_bitop2_b32 v68, 7, v68 bitop3:0x40
; %bb.4193:                             ;   in Loop: Header=BB302_2086 Depth=1
	s_or_b32 exec_lo, exec_lo, s26
	s_delay_alu instid0(VALU_DEP_1) | instskip(NEXT) | instid1(VALU_DEP_2)
	v_dual_lshlrev_b32 v54, 8, v54 :: v_dual_lshlrev_b32 v68, 23, v68
	v_lshl_add_u32 v69, v69, 10, 0x2000
	s_delay_alu instid0(VALU_DEP_1) | instskip(NEXT) | instid1(VALU_DEP_1)
	v_and_or_b32 v54, 0x8000, v54, v69
	v_lshl_or_b32 v68, v54, 16, v68
.LBB302_4194:                           ;   in Loop: Header=BB302_2086 Depth=1
	s_or_b32 exec_lo, exec_lo, s25
.LBB302_4195:                           ;   in Loop: Header=BB302_2086 Depth=1
	s_delay_alu instid0(SALU_CYCLE_1)
	s_or_b32 exec_lo, exec_lo, s24
.LBB302_4196:                           ;   in Loop: Header=BB302_2086 Depth=1
	s_delay_alu instid0(SALU_CYCLE_1) | instskip(SKIP_2) | instid1(VALU_DEP_2)
	s_or_b32 exec_lo, exec_lo, s23
	v_dual_lshrrev_b32 v54, 16, v0 :: v_dual_bitop2_b32 v71, v0, v1 bitop3:0x54
	v_dual_lshrrev_b32 v69, 16, v12 :: v_dual_bitop2_b32 v12, v12, v18 bitop3:0x54
	v_cvt_f32_f16_e32 v1, v54
	v_dual_lshrrev_b32 v67, 16, v70 :: v_dual_bitop2_b32 v54, v68, v67 bitop3:0x54
	s_delay_alu instid0(VALU_DEP_3)
	v_cvt_f32_f16_e32 v0, v69
	v_lshrrev_b32_e32 v68, 16, v68
	v_cvt_f32_f16_e32 v18, v12
	v_or_b32_e32 v12, v70, v19
	v_cvt_f32_f16_e32 v19, v71
	s_wait_loadcnt_dscnt 0x0
	v_pk_mul_f32 v[0:1], v[66:67], v[0:1] op_sel_hi:[0,1]
	v_cvt_f32_f16_e32 v69, v67
	v_cvt_f32_f16_e32 v68, v68
	;; [unrolled: 1-line block ×4, first 2 shown]
	v_pk_mul_f32 v[18:19], v[66:67], v[18:19] op_sel_hi:[0,1]
	v_cvt_pk_f16_f32 v12, v0, v1
	v_pk_mul_f32 v[0:1], v[66:67], v[68:69] op_sel_hi:[0,1]
	s_delay_alu instid0(VALU_DEP_4) | instskip(NEXT) | instid1(VALU_DEP_4)
	v_pk_mul_f32 v[66:67], v[66:67], v[70:71] op_sel_hi:[0,1]
	v_cvt_pk_f16_f32 v18, v18, v19
	s_delay_alu instid0(VALU_DEP_4) | instskip(NEXT) | instid1(VALU_DEP_4)
	v_and_b32_e32 v71, 0xffff0000, v12
	v_cvt_pk_f16_f32 v0, v0, v1
	v_lshlrev_b32_e32 v70, 16, v12
	v_cvt_pk_f16_f32 v1, v66, v67
	v_lshrrev_b32_e32 v83, 16, v18
	v_and_b32_e32 v82, 0xffff, v18
	v_and_b32_e32 v69, 0xffff0000, v0
	s_delay_alu instid0(VALU_DEP_4) | instskip(SKIP_3) | instid1(VALU_DEP_4)
	v_dual_lshlrev_b32 v68, 16, v0 :: v_dual_lshrrev_b32 v81, 16, v1
	v_and_b32_e32 v80, 0xffff, v1
	v_or_b32_e32 v67, v71, v83
	v_or_b32_e32 v66, v70, v82
	;; [unrolled: 1-line block ×3, first 2 shown]
	s_delay_alu instid0(VALU_DEP_4)
	v_or_b32_e32 v54, v68, v80
	s_and_saveexec_b32 s8, s3
	s_cbranch_execz .LBB302_2085
; %bb.4197:                             ;   in Loop: Header=BB302_2086 Depth=1
	v_dual_cndmask_b32 v0, 0, v83, vcc_lo :: v_dual_cndmask_b32 v1, 0, v82, s0
	v_dual_cndmask_b32 v12, 0, v71, s1 :: v_dual_cndmask_b32 v18, 0, v70, s2
	v_dual_cndmask_b32 v19, 0, v81, s4 :: v_dual_cndmask_b32 v54, 0, v80, s5
	;; [unrolled: 1-line block ×3, first 2 shown]
	s_delay_alu instid0(VALU_DEP_3) | instskip(NEXT) | instid1(VALU_DEP_4)
	v_or_b32_e32 v67, v0, v12
	v_or_b32_e32 v66, v1, v18
	s_delay_alu instid0(VALU_DEP_3) | instskip(NEXT) | instid1(VALU_DEP_4)
	v_or_b32_e32 v19, v19, v69
	v_or_b32_e32 v54, v54, v68
	s_branch .LBB302_2085
.LBB302_4198:
	s_or_b32 exec_lo, exec_lo, s22
	v_mov_b64_e32 v[64:65], s[14:15]
.LBB302_4199:
	s_or_b32 exec_lo, exec_lo, s11
	ds_bpermute_b32 v22, v97, v8
	ds_bpermute_b32 v23, v97, v9
	;; [unrolled: 1-line block ×6, first 2 shown]
	s_wait_loadcnt 0x0
	v_lshl_add_u64 v[0:1], v[64:65], 2, s[12:13]
	s_wait_storecnt_dscnt 0x0
	s_barrier_signal -1
	s_barrier_wait -1
	global_load_b32 v0, v[0:1], off
	scratch_load_b32 v1, off, s32 offset:872 th:TH_LOAD_LU ; 4-byte Folded Reload
	ds_bpermute_b32 v6, v97, v50
	ds_bpermute_b32 v7, v97, v51
	;; [unrolled: 1-line block ×8, first 2 shown]
	v_pk_add_f32 v[8:9], v[8:9], v[22:23]
	ds_bpermute_b32 v54, v97, v34
	v_pk_add_f32 v[22:23], v[36:37], v[52:53]
	ds_bpermute_b32 v55, v97, v35
	v_pk_add_f32 v[52:53], v[26:27], v[68:69]
	scratch_load_b32 v26, off, s32 offset:876 th:TH_LOAD_LU ; 4-byte Folded Reload
	ds_bpermute_b32 v64, v97, v30
	ds_bpermute_b32 v65, v97, v31
	ds_bpermute_b32 v66, v97, v28
	ds_bpermute_b32 v67, v97, v29
	ds_bpermute_b32 v70, v97, v24
	ds_bpermute_b32 v71, v97, v25
	ds_bpermute_b32 v80, v97, v20
	ds_bpermute_b32 v81, v97, v21
	ds_bpermute_b32 v82, v97, v16
	ds_bpermute_b32 v83, v97, v17
	ds_bpermute_b32 v84, v97, v14
	ds_bpermute_b32 v85, v97, v15
	ds_bpermute_b32 v86, v97, v4
	ds_bpermute_b32 v87, v97, v5
	ds_bpermute_b32 v98, v97, v2
	ds_bpermute_b32 v99, v97, v3
	s_wait_dscnt 0x18
	v_pk_add_f32 v[6:7], v[50:51], v[6:7]
	s_wait_dscnt 0x16
	v_pk_add_f32 v[10:11], v[48:49], v[10:11]
	;; [unrolled: 2-line block ×6, first 2 shown]
	s_mov_b32 s0, exec_lo
	s_wait_dscnt 0xc
	v_pk_add_f32 v[50:51], v[28:29], v[66:67]
	s_wait_dscnt 0xa
	v_pk_add_f32 v[54:55], v[24:25], v[70:71]
	ds_bpermute_b32 v24, v96, v18
	s_wait_dscnt 0x9
	v_pk_add_f32 v[64:65], v[20:21], v[80:81]
	ds_bpermute_b32 v20, v96, v12
	;; [unrolled: 3-line block ×6, first 2 shown]
	ds_bpermute_b32 v21, v96, v13
	ds_bpermute_b32 v25, v96, v19
	;; [unrolled: 1-line block ×26, first 2 shown]
	s_wait_dscnt 0x1b
	v_pk_add_f32 v[32:33], v[6:7], v[14:15]
	s_wait_dscnt 0x1a
	v_pk_add_f32 v[30:31], v[10:11], v[16:17]
	;; [unrolled: 2-line block ×12, first 2 shown]
	s_wait_loadcnt 0x0
	v_lshlrev_b32_e32 v36, 10, v26
	scratch_load_b32 v26, off, s32 offset:868 ; 4-byte Folded Reload
	v_dual_lshrrev_b32 v35, 2, v1 :: v_dual_bitop2_b32 v1, 28, v1 bitop3:0x40
	s_delay_alu instid0(VALU_DEP_1)
	v_add_nc_u32_e32 v1, v0, v1
	s_wait_loadcnt 0x0
	v_and_b32_e32 v34, 0x3c3, v26
	v_pk_add_f32 v[26:27], v[18:19], v[24:25]
	v_pk_add_f32 v[24:25], v[8:9], v[70:71]
	;; [unrolled: 1-line block ×4, first 2 shown]
	v_cmpx_eq_u32_e32 64, v34
	s_cbranch_execz .LBB302_4201
; %bb.4200:
	v_add_nc_u32_e32 v37, v1, v36
	s_delay_alu instid0(VALU_DEP_1)
	v_add_nc_u32_e32 v38, 0xfffff800, v37
	v_add_nc_u32_e32 v39, 0xfffff820, v37
	v_add_nc_u32_e32 v48, 0xfffff840, v37
	v_add_nc_u32_e32 v49, 0xfffff860, v37
	v_add_nc_u32_e32 v50, 0xfffff880, v37
	v_add_nc_u32_e32 v51, 0xfffff8a0, v37
	v_add_nc_u32_e32 v52, 0xfffff8c0, v37
	v_add_nc_u32_e32 v53, 0xfffff8e0, v37
	ds_store_b32 v38, v32
	ds_store_b32 v39, v33
	ds_store_b32 v48, v30
	ds_store_b32 v49, v31
	ds_store_b32 v50, v28
	ds_store_b32 v51, v29
	ds_store_b32 v52, v26
	ds_store_b32 v53, v27
	v_add_nc_u32_e32 v38, 0xfffff900, v37
	v_add_nc_u32_e32 v39, 0xfffff920, v37
	v_add_nc_u32_e32 v48, 0xfffff940, v37
	v_add_nc_u32_e32 v49, 0xfffff960, v37
	v_add_nc_u32_e32 v50, 0xfffff980, v37
	v_add_nc_u32_e32 v51, 0xfffff9a0, v37
	v_add_nc_u32_e32 v52, 0xfffff9c0, v37
	v_add_nc_u32_e32 v53, 0xfffff9e0, v37
	ds_store_b32 v38, v24
	ds_store_b32 v39, v25
	ds_store_b32 v48, v22
	ds_store_b32 v49, v23
	ds_store_b32 v50, v20
	ds_store_b32 v51, v21
	ds_store_b32 v52, v18
	ds_store_b32 v53, v19
	;; [unrolled: 16-line block ×4, first 2 shown]
.LBB302_4201:
	s_or_b32 exec_lo, exec_lo, s0
	v_lshlrev_b32_e32 v35, 2, v35
	s_mov_b32 s0, exec_lo
	s_wait_dscnt 0x0
	s_barrier_signal -1
	s_barrier_wait -1
	v_add3_u32 v0, v0, v36, v35
	v_cmpx_eq_u32_e32 0, v34
	s_cbranch_execz .LBB302_4203
; %bb.4202:
	ds_load_2addr_b32 v[34:35], v0 offset1:8
	ds_load_2addr_b32 v[36:37], v0 offset0:16 offset1:24
	ds_load_2addr_b32 v[38:39], v0 offset0:32 offset1:40
	;; [unrolled: 1-line block ×15, first 2 shown]
	s_wait_dscnt 0xf
	v_pk_add_f32 v[32:33], v[34:35], v[32:33]
	s_wait_dscnt 0xe
	v_pk_add_f32 v[30:31], v[36:37], v[30:31]
	;; [unrolled: 2-line block ×16, first 2 shown]
.LBB302_4203:
	s_or_b32 exec_lo, exec_lo, s0
	scratch_load_b32 v34, off, s32 offset:868 ; 4-byte Folded Reload
	s_mov_b32 s0, exec_lo
	s_wait_loadcnt 0x0
	s_barrier_signal -1
	s_barrier_wait -1
	v_and_b32_e32 v34, 0x3e3, v34
	s_wait_xcnt 0x0
	s_delay_alu instid0(VALU_DEP_1)
	v_cmpx_eq_u32_e32 32, v34
	s_cbranch_execz .LBB302_4205
; %bb.4204:
	ds_store_2addr_b32 v1, v32, v33 offset1:8
	ds_store_2addr_b32 v1, v30, v31 offset0:16 offset1:24
	ds_store_2addr_b32 v1, v28, v29 offset0:32 offset1:40
	ds_store_2addr_b32 v1, v26, v27 offset0:48 offset1:56
	ds_store_2addr_b32 v1, v24, v25 offset0:64 offset1:72
	ds_store_2addr_b32 v1, v22, v23 offset0:80 offset1:88
	ds_store_2addr_b32 v1, v20, v21 offset0:96 offset1:104
	ds_store_2addr_b32 v1, v18, v19 offset0:112 offset1:120
	ds_store_2addr_b32 v1, v16, v17 offset0:128 offset1:136
	ds_store_2addr_b32 v1, v14, v15 offset0:144 offset1:152
	ds_store_2addr_b32 v1, v12, v13 offset0:160 offset1:168
	ds_store_2addr_b32 v1, v10, v11 offset0:176 offset1:184
	ds_store_2addr_b32 v1, v8, v9 offset0:192 offset1:200
	ds_store_2addr_b32 v1, v6, v7 offset0:208 offset1:216
	ds_store_2addr_b32 v1, v4, v5 offset0:224 offset1:232
	ds_store_2addr_b32 v1, v2, v3 offset0:240 offset1:248
.LBB302_4205:
	s_or_b32 exec_lo, exec_lo, s0
	v_cmp_eq_u32_e32 vcc_lo, 0, v34
	s_wait_dscnt 0x0
	s_barrier_signal -1
	s_barrier_wait -1
	s_and_saveexec_b32 s0, vcc_lo
	s_cbranch_execz .LBB302_4207
; %bb.4206:
	ds_load_2addr_b32 v[34:35], v0 offset1:8
	ds_load_2addr_b32 v[36:37], v0 offset0:16 offset1:24
	ds_load_2addr_b32 v[38:39], v0 offset0:32 offset1:40
	;; [unrolled: 1-line block ×15, first 2 shown]
	s_wait_dscnt 0xf
	v_pk_add_f32 v[32:33], v[34:35], v[32:33]
	s_wait_dscnt 0xe
	v_pk_add_f32 v[30:31], v[36:37], v[30:31]
	s_wait_dscnt 0xd
	v_pk_add_f32 v[28:29], v[38:39], v[28:29]
	s_wait_dscnt 0xc
	v_pk_add_f32 v[26:27], v[48:49], v[26:27]
	s_wait_dscnt 0xb
	v_pk_add_f32 v[24:25], v[50:51], v[24:25]
	s_wait_dscnt 0xa
	v_pk_add_f32 v[22:23], v[52:53], v[22:23]
	s_wait_dscnt 0x9
	v_pk_add_f32 v[20:21], v[54:55], v[20:21]
	s_wait_dscnt 0x8
	v_pk_add_f32 v[18:19], v[64:65], v[18:19]
	s_wait_dscnt 0x7
	v_pk_add_f32 v[16:17], v[66:67], v[16:17]
	s_wait_dscnt 0x6
	v_pk_add_f32 v[14:15], v[68:69], v[14:15]
	s_wait_dscnt 0x5
	v_pk_add_f32 v[12:13], v[70:71], v[12:13]
	s_wait_dscnt 0x4
	v_pk_add_f32 v[10:11], v[80:81], v[10:11]
	s_wait_dscnt 0x3
	v_pk_add_f32 v[8:9], v[82:83], v[8:9]
	s_wait_dscnt 0x2
	v_pk_add_f32 v[6:7], v[84:85], v[6:7]
	s_wait_dscnt 0x1
	v_pk_add_f32 v[4:5], v[86:87], v[4:5]
	s_wait_dscnt 0x0
	v_pk_add_f32 v[2:3], v[0:1], v[2:3]
.LBB302_4207:
	s_or_b32 exec_lo, exec_lo, s0
	s_barrier_signal -1
	s_barrier_wait -1
	s_and_saveexec_b32 s0, vcc_lo
	s_cbranch_execz .LBB302_4209
; %bb.4208:
	s_clause 0x1
	scratch_load_b64 v[0:1], off, s32 offset:908 th:TH_LOAD_LU
	scratch_load_b32 v34, off, s32 offset:868 th:TH_LOAD_LU
	s_and_b32 s1, 0xffff, s21
	;;#ASMSTART
	v_cvt_f16_f32 v32, v32;

	;;#ASMEND
	s_cmp_lg_u32 s1, 0
	v_mov_b32_e32 v35, 0
	s_cselect_b32 s1, -1, 0
	s_delay_alu instid0(SALU_CYCLE_1)
	s_cmp_lg_u32 s1, 0
	s_wait_kmcnt 0x0
	s_add_co_ci_u32 s1, s9, 0
	s_bfe_u32 s5, ttmp6, 0x40014
	s_mul_i32 s2, s19, s1
	s_lshr_b32 s6, ttmp7, 16
	s_mul_i32 s2, s2, s20
	s_add_co_i32 s5, s5, 1
	s_lshl_b32 s2, s2, 8
	s_bfe_u32 s7, ttmp6, 0x40008
	s_ashr_i32 s3, s2, 31
	s_mul_i32 s4, s10, s1
	s_mul_i32 s1, s6, s5
	s_ashr_i32 s5, s4, 31
	s_add_co_i32 s7, s7, s1
	s_cmp_eq_u32 s18, 0
	s_cselect_b32 s1, s6, s7
	s_wait_loadcnt 0x1
	v_lshl_add_u64 v[0:1], s[2:3], 1, v[0:1]
	s_mov_b32 s3, 0
	s_lshl_b32 s2, s1, 9
	s_wait_loadcnt 0x0
	v_lshrrev_b32_e32 v34, 1, v34
	v_lshl_add_u64 v[0:1], s[4:5], 1, v[0:1]
	s_delay_alu instid0(VALU_DEP_1) | instskip(NEXT) | instid1(VALU_DEP_1)
	v_add_nc_u64_e32 v[0:1], s[2:3], v[0:1]
	v_add_nc_u64_e32 v[0:1], v[0:1], v[34:35]
	flat_store_b16 v[0:1], v32
	s_wait_xcnt 0x0
	;;#ASMSTART
	v_cvt_f16_f32 v32, v33;

	;;#ASMEND
	flat_store_b16 v[0:1], v32 offset:16
	;;#ASMSTART
	v_cvt_f16_f32 v30, v30;

	;;#ASMEND
	flat_store_b16 v[0:1], v30 offset:32
	s_wait_xcnt 0x0
	;;#ASMSTART
	v_cvt_f16_f32 v30, v31;

	;;#ASMEND
	flat_store_b16 v[0:1], v30 offset:48
	;;#ASMSTART
	v_cvt_f16_f32 v28, v28;

	;;#ASMEND
	flat_store_b16 v[0:1], v28 offset:64
	;; [unrolled: 11-line block ×15, first 2 shown]
	s_wait_xcnt 0x0
	;;#ASMSTART
	v_cvt_f16_f32 v2, v3;

	;;#ASMEND
	flat_store_b16 v[0:1], v2 offset:496
.LBB302_4209:
	s_wait_xcnt 0x0
	s_or_b32 exec_lo, exec_lo, s0
	s_clause 0x2f
	scratch_load_b32 v127, off, s32
	scratch_load_b32 v126, off, s32 offset:4
	scratch_load_b32 v125, off, s32 offset:8
	;; [unrolled: 1-line block ×47, first 2 shown]
	s_wait_loadcnt_dscnt 0x0
	s_wait_kmcnt 0x0
	s_set_pc_i64 s[30:31]
.Lfunc_end302:
	.size	_ZN4vllm22paged_attention_kernelIthLi256ELi32ELi128ELNS_18Fp8KVCacheDataTypeE1ELb0ELi0EEEvPfS2_PT_PKS3_PKT0_S9_ifPKiSB_iPKfiiiSD_SD_iiiii, .Lfunc_end302-_ZN4vllm22paged_attention_kernelIthLi256ELi32ELi128ELNS_18Fp8KVCacheDataTypeE1ELb0ELi0EEEvPfS2_PT_PKS3_PKT0_S9_ifPKiSB_iPKfiiiSD_SD_iiiii
                                        ; -- End function
	.set .L_ZN4vllm22paged_attention_kernelIthLi256ELi32ELi128ELNS_18Fp8KVCacheDataTypeE1ELb0ELi0EEEvPfS2_PT_PKS3_PKT0_S9_ifPKiSB_iPKfiiiSD_SD_iiiii.num_vgpr, 128
	.set .L_ZN4vllm22paged_attention_kernelIthLi256ELi32ELi128ELNS_18Fp8KVCacheDataTypeE1ELb0ELi0EEEvPfS2_PT_PKS3_PKT0_S9_ifPKiSB_iPKfiiiSD_SD_iiiii.num_agpr, 0
	.set .L_ZN4vllm22paged_attention_kernelIthLi256ELi32ELi128ELNS_18Fp8KVCacheDataTypeE1ELb0ELi0EEEvPfS2_PT_PKS3_PKT0_S9_ifPKiSB_iPKfiiiSD_SD_iiiii.numbered_sgpr, 33
	.set .L_ZN4vllm22paged_attention_kernelIthLi256ELi32ELi128ELNS_18Fp8KVCacheDataTypeE1ELb0ELi0EEEvPfS2_PT_PKS3_PKT0_S9_ifPKiSB_iPKfiiiSD_SD_iiiii.num_named_barrier, 0
	.set .L_ZN4vllm22paged_attention_kernelIthLi256ELi32ELi128ELNS_18Fp8KVCacheDataTypeE1ELb0ELi0EEEvPfS2_PT_PKS3_PKT0_S9_ifPKiSB_iPKfiiiSD_SD_iiiii.private_seg_size, 940
	.set .L_ZN4vllm22paged_attention_kernelIthLi256ELi32ELi128ELNS_18Fp8KVCacheDataTypeE1ELb0ELi0EEEvPfS2_PT_PKS3_PKT0_S9_ifPKiSB_iPKfiiiSD_SD_iiiii.uses_vcc, 1
	.set .L_ZN4vllm22paged_attention_kernelIthLi256ELi32ELi128ELNS_18Fp8KVCacheDataTypeE1ELb0ELi0EEEvPfS2_PT_PKS3_PKT0_S9_ifPKiSB_iPKfiiiSD_SD_iiiii.uses_flat_scratch, 1
	.set .L_ZN4vllm22paged_attention_kernelIthLi256ELi32ELi128ELNS_18Fp8KVCacheDataTypeE1ELb0ELi0EEEvPfS2_PT_PKS3_PKT0_S9_ifPKiSB_iPKfiiiSD_SD_iiiii.has_dyn_sized_stack, 0
	.set .L_ZN4vllm22paged_attention_kernelIthLi256ELi32ELi128ELNS_18Fp8KVCacheDataTypeE1ELb0ELi0EEEvPfS2_PT_PKS3_PKT0_S9_ifPKiSB_iPKfiiiSD_SD_iiiii.has_recursion, 0
	.set .L_ZN4vllm22paged_attention_kernelIthLi256ELi32ELi128ELNS_18Fp8KVCacheDataTypeE1ELb0ELi0EEEvPfS2_PT_PKS3_PKT0_S9_ifPKiSB_iPKfiiiSD_SD_iiiii.has_indirect_call, 0
	.section	.AMDGPU.csdata,"",@progbits
; Function info:
; codeLenInByte = 170256
; TotalNumSgprs: 35
; NumVgprs: 128
; ScratchSize: 940
; MemoryBound: 0
	.section	.text._ZN4vllm25paged_attention_v1_kernelIthLi256ELi32ELi128ELNS_18Fp8KVCacheDataTypeE1ELb0EEEvPT_PKS2_PKT0_S8_ifPKiSA_iPKfiiiSC_SC_iiiii,"axG",@progbits,_ZN4vllm25paged_attention_v1_kernelIthLi256ELi32ELi128ELNS_18Fp8KVCacheDataTypeE1ELb0EEEvPT_PKS2_PKT0_S8_ifPKiSA_iPKfiiiSC_SC_iiiii,comdat
	.protected	_ZN4vllm25paged_attention_v1_kernelIthLi256ELi32ELi128ELNS_18Fp8KVCacheDataTypeE1ELb0EEEvPT_PKS2_PKT0_S8_ifPKiSA_iPKfiiiSC_SC_iiiii ; -- Begin function _ZN4vllm25paged_attention_v1_kernelIthLi256ELi32ELi128ELNS_18Fp8KVCacheDataTypeE1ELb0EEEvPT_PKS2_PKT0_S8_ifPKiSA_iPKfiiiSC_SC_iiiii
	.globl	_ZN4vllm25paged_attention_v1_kernelIthLi256ELi32ELi128ELNS_18Fp8KVCacheDataTypeE1ELb0EEEvPT_PKS2_PKT0_S8_ifPKiSA_iPKfiiiSC_SC_iiiii
	.p2align	8
	.type	_ZN4vllm25paged_attention_v1_kernelIthLi256ELi32ELi128ELNS_18Fp8KVCacheDataTypeE1ELb0EEEvPT_PKS2_PKT0_S8_ifPKiSA_iPKfiiiSC_SC_iiiii,@function
_ZN4vllm25paged_attention_v1_kernelIthLi256ELi32ELi128ELNS_18Fp8KVCacheDataTypeE1ELb0EEEvPT_PKS2_PKT0_S8_ifPKiSA_iPKfiiiSC_SC_iiiii: ; @_ZN4vllm25paged_attention_v1_kernelIthLi256ELi32ELi128ELNS_18Fp8KVCacheDataTypeE1ELb0EEEvPT_PKS2_PKT0_S8_ifPKiSA_iPKfiiiSC_SC_iiiii
; %bb.0:
	s_clause 0x5
	s_load_b256 s[12:19], s[0:1], 0x0
	s_load_b128 s[4:7], s[0:1], 0x20
	s_load_b96 s[20:22], s[0:1], 0x30
	s_load_b64 s[10:11], s[0:1], 0x40
	s_load_b96 s[28:30], s[0:1], 0x48
	s_load_b128 s[24:27], s[0:1], 0x58
	v_mov_b32_e32 v31, v0
	s_get_pc_i64 s[2:3]
	s_add_nc_u64 s[2:3], s[2:3], _ZN4vllm22paged_attention_kernelIthLi256ELi32ELi128ELNS_18Fp8KVCacheDataTypeE1ELb0ELi0EEEvPfS2_PT_PKS3_PKT0_S9_ifPKiSB_iPKfiiiSD_SD_iiiii@rel64+4
	s_add_nc_u64 s[8:9], s[0:1], 0x80
	s_mov_b32 s32, 0
	s_wait_kmcnt 0x0
	v_dual_mov_b32 v0, s12 :: v_dual_mov_b32 v1, s13
	v_dual_mov_b32 v2, s14 :: v_dual_mov_b32 v3, s15
	;; [unrolled: 1-line block ×12, first 2 shown]
	s_mov_b32 s15, 46
	s_swap_pc_i64 s[30:31], s[2:3]
	s_endpgm
	.section	.rodata,"a",@progbits
	.p2align	6, 0x0
	.amdhsa_kernel _ZN4vllm25paged_attention_v1_kernelIthLi256ELi32ELi128ELNS_18Fp8KVCacheDataTypeE1ELb0EEEvPT_PKS2_PKT0_S8_ifPKiSA_iPKfiiiSC_SC_iiiii
		.amdhsa_group_segment_fixed_size 544
		.amdhsa_private_segment_fixed_size 940
		.amdhsa_kernarg_size 384
		.amdhsa_user_sgpr_count 2
		.amdhsa_user_sgpr_dispatch_ptr 0
		.amdhsa_user_sgpr_queue_ptr 0
		.amdhsa_user_sgpr_kernarg_segment_ptr 1
		.amdhsa_user_sgpr_dispatch_id 0
		.amdhsa_user_sgpr_kernarg_preload_length 0
		.amdhsa_user_sgpr_kernarg_preload_offset 0
		.amdhsa_user_sgpr_private_segment_size 0
		.amdhsa_wavefront_size32 1
		.amdhsa_uses_dynamic_stack 0
		.amdhsa_enable_private_segment 1
		.amdhsa_system_sgpr_workgroup_id_x 1
		.amdhsa_system_sgpr_workgroup_id_y 1
		.amdhsa_system_sgpr_workgroup_id_z 1
		.amdhsa_system_sgpr_workgroup_info 0
		.amdhsa_system_vgpr_workitem_id 0
		.amdhsa_next_free_vgpr 128
		.amdhsa_next_free_sgpr 33
		.amdhsa_named_barrier_count 0
		.amdhsa_reserve_vcc 1
		.amdhsa_float_round_mode_32 0
		.amdhsa_float_round_mode_16_64 0
		.amdhsa_float_denorm_mode_32 3
		.amdhsa_float_denorm_mode_16_64 3
		.amdhsa_fp16_overflow 0
		.amdhsa_memory_ordered 1
		.amdhsa_forward_progress 1
		.amdhsa_inst_pref_size 2
		.amdhsa_round_robin_scheduling 0
		.amdhsa_exception_fp_ieee_invalid_op 0
		.amdhsa_exception_fp_denorm_src 0
		.amdhsa_exception_fp_ieee_div_zero 0
		.amdhsa_exception_fp_ieee_overflow 0
		.amdhsa_exception_fp_ieee_underflow 0
		.amdhsa_exception_fp_ieee_inexact 0
		.amdhsa_exception_int_div_zero 0
	.end_amdhsa_kernel
	.section	.text._ZN4vllm25paged_attention_v1_kernelIthLi256ELi32ELi128ELNS_18Fp8KVCacheDataTypeE1ELb0EEEvPT_PKS2_PKT0_S8_ifPKiSA_iPKfiiiSC_SC_iiiii,"axG",@progbits,_ZN4vllm25paged_attention_v1_kernelIthLi256ELi32ELi128ELNS_18Fp8KVCacheDataTypeE1ELb0EEEvPT_PKS2_PKT0_S8_ifPKiSA_iPKfiiiSC_SC_iiiii,comdat
.Lfunc_end303:
	.size	_ZN4vllm25paged_attention_v1_kernelIthLi256ELi32ELi128ELNS_18Fp8KVCacheDataTypeE1ELb0EEEvPT_PKS2_PKT0_S8_ifPKiSA_iPKfiiiSC_SC_iiiii, .Lfunc_end303-_ZN4vllm25paged_attention_v1_kernelIthLi256ELi32ELi128ELNS_18Fp8KVCacheDataTypeE1ELb0EEEvPT_PKS2_PKT0_S8_ifPKiSA_iPKfiiiSC_SC_iiiii
                                        ; -- End function
	.set _ZN4vllm25paged_attention_v1_kernelIthLi256ELi32ELi128ELNS_18Fp8KVCacheDataTypeE1ELb0EEEvPT_PKS2_PKT0_S8_ifPKiSA_iPKfiiiSC_SC_iiiii.num_vgpr, max(32, .L_ZN4vllm22paged_attention_kernelIthLi256ELi32ELi128ELNS_18Fp8KVCacheDataTypeE1ELb0ELi0EEEvPfS2_PT_PKS3_PKT0_S9_ifPKiSB_iPKfiiiSD_SD_iiiii.num_vgpr)
	.set _ZN4vllm25paged_attention_v1_kernelIthLi256ELi32ELi128ELNS_18Fp8KVCacheDataTypeE1ELb0EEEvPT_PKS2_PKT0_S8_ifPKiSA_iPKfiiiSC_SC_iiiii.num_agpr, max(0, .L_ZN4vllm22paged_attention_kernelIthLi256ELi32ELi128ELNS_18Fp8KVCacheDataTypeE1ELb0ELi0EEEvPfS2_PT_PKS3_PKT0_S9_ifPKiSB_iPKfiiiSD_SD_iiiii.num_agpr)
	.set _ZN4vllm25paged_attention_v1_kernelIthLi256ELi32ELi128ELNS_18Fp8KVCacheDataTypeE1ELb0EEEvPT_PKS2_PKT0_S8_ifPKiSA_iPKfiiiSC_SC_iiiii.numbered_sgpr, max(33, .L_ZN4vllm22paged_attention_kernelIthLi256ELi32ELi128ELNS_18Fp8KVCacheDataTypeE1ELb0ELi0EEEvPfS2_PT_PKS3_PKT0_S9_ifPKiSB_iPKfiiiSD_SD_iiiii.numbered_sgpr)
	.set _ZN4vllm25paged_attention_v1_kernelIthLi256ELi32ELi128ELNS_18Fp8KVCacheDataTypeE1ELb0EEEvPT_PKS2_PKT0_S8_ifPKiSA_iPKfiiiSC_SC_iiiii.num_named_barrier, max(0, .L_ZN4vllm22paged_attention_kernelIthLi256ELi32ELi128ELNS_18Fp8KVCacheDataTypeE1ELb0ELi0EEEvPfS2_PT_PKS3_PKT0_S9_ifPKiSB_iPKfiiiSD_SD_iiiii.num_named_barrier)
	.set _ZN4vllm25paged_attention_v1_kernelIthLi256ELi32ELi128ELNS_18Fp8KVCacheDataTypeE1ELb0EEEvPT_PKS2_PKT0_S8_ifPKiSA_iPKfiiiSC_SC_iiiii.private_seg_size, 0+max(.L_ZN4vllm22paged_attention_kernelIthLi256ELi32ELi128ELNS_18Fp8KVCacheDataTypeE1ELb0ELi0EEEvPfS2_PT_PKS3_PKT0_S9_ifPKiSB_iPKfiiiSD_SD_iiiii.private_seg_size)
	.set _ZN4vllm25paged_attention_v1_kernelIthLi256ELi32ELi128ELNS_18Fp8KVCacheDataTypeE1ELb0EEEvPT_PKS2_PKT0_S8_ifPKiSA_iPKfiiiSC_SC_iiiii.uses_vcc, or(1, .L_ZN4vllm22paged_attention_kernelIthLi256ELi32ELi128ELNS_18Fp8KVCacheDataTypeE1ELb0ELi0EEEvPfS2_PT_PKS3_PKT0_S9_ifPKiSB_iPKfiiiSD_SD_iiiii.uses_vcc)
	.set _ZN4vllm25paged_attention_v1_kernelIthLi256ELi32ELi128ELNS_18Fp8KVCacheDataTypeE1ELb0EEEvPT_PKS2_PKT0_S8_ifPKiSA_iPKfiiiSC_SC_iiiii.uses_flat_scratch, or(0, .L_ZN4vllm22paged_attention_kernelIthLi256ELi32ELi128ELNS_18Fp8KVCacheDataTypeE1ELb0ELi0EEEvPfS2_PT_PKS3_PKT0_S9_ifPKiSB_iPKfiiiSD_SD_iiiii.uses_flat_scratch)
	.set _ZN4vllm25paged_attention_v1_kernelIthLi256ELi32ELi128ELNS_18Fp8KVCacheDataTypeE1ELb0EEEvPT_PKS2_PKT0_S8_ifPKiSA_iPKfiiiSC_SC_iiiii.has_dyn_sized_stack, or(0, .L_ZN4vllm22paged_attention_kernelIthLi256ELi32ELi128ELNS_18Fp8KVCacheDataTypeE1ELb0ELi0EEEvPfS2_PT_PKS3_PKT0_S9_ifPKiSB_iPKfiiiSD_SD_iiiii.has_dyn_sized_stack)
	.set _ZN4vllm25paged_attention_v1_kernelIthLi256ELi32ELi128ELNS_18Fp8KVCacheDataTypeE1ELb0EEEvPT_PKS2_PKT0_S8_ifPKiSA_iPKfiiiSC_SC_iiiii.has_recursion, or(0, .L_ZN4vllm22paged_attention_kernelIthLi256ELi32ELi128ELNS_18Fp8KVCacheDataTypeE1ELb0ELi0EEEvPfS2_PT_PKS3_PKT0_S9_ifPKiSB_iPKfiiiSD_SD_iiiii.has_recursion)
	.set _ZN4vllm25paged_attention_v1_kernelIthLi256ELi32ELi128ELNS_18Fp8KVCacheDataTypeE1ELb0EEEvPT_PKS2_PKT0_S8_ifPKiSA_iPKfiiiSC_SC_iiiii.has_indirect_call, or(0, .L_ZN4vllm22paged_attention_kernelIthLi256ELi32ELi128ELNS_18Fp8KVCacheDataTypeE1ELb0ELi0EEEvPfS2_PT_PKS3_PKT0_S9_ifPKiSB_iPKfiiiSD_SD_iiiii.has_indirect_call)
	.section	.AMDGPU.csdata,"",@progbits
; Kernel info:
; codeLenInByte = 196
; TotalNumSgprs: 35
; NumVgprs: 128
; ScratchSize: 940
; MemoryBound: 0
; FloatMode: 240
; IeeeMode: 1
; LDSByteSize: 544 bytes/workgroup (compile time only)
; SGPRBlocks: 0
; VGPRBlocks: 7
; NumSGPRsForWavesPerEU: 35
; NumVGPRsForWavesPerEU: 128
; NamedBarCnt: 0
; Occupancy: 8
; WaveLimiterHint : 1
; COMPUTE_PGM_RSRC2:SCRATCH_EN: 1
; COMPUTE_PGM_RSRC2:USER_SGPR: 2
; COMPUTE_PGM_RSRC2:TRAP_HANDLER: 0
; COMPUTE_PGM_RSRC2:TGID_X_EN: 1
; COMPUTE_PGM_RSRC2:TGID_Y_EN: 1
; COMPUTE_PGM_RSRC2:TGID_Z_EN: 1
; COMPUTE_PGM_RSRC2:TIDIG_COMP_CNT: 0
	.section	.text._ZN4vllm25paged_attention_v1_kernelI14__hip_bfloat16hLi32ELi8ELi128ELNS_18Fp8KVCacheDataTypeE1ELb1EEEvPT_PKS3_PKT0_S9_ifPKiSB_iPKfiiiSD_SD_iiiii,"axG",@progbits,_ZN4vllm25paged_attention_v1_kernelI14__hip_bfloat16hLi32ELi8ELi128ELNS_18Fp8KVCacheDataTypeE1ELb1EEEvPT_PKS3_PKT0_S9_ifPKiSB_iPKfiiiSD_SD_iiiii,comdat
	.protected	_ZN4vllm25paged_attention_v1_kernelI14__hip_bfloat16hLi32ELi8ELi128ELNS_18Fp8KVCacheDataTypeE1ELb1EEEvPT_PKS3_PKT0_S9_ifPKiSB_iPKfiiiSD_SD_iiiii ; -- Begin function _ZN4vllm25paged_attention_v1_kernelI14__hip_bfloat16hLi32ELi8ELi128ELNS_18Fp8KVCacheDataTypeE1ELb1EEEvPT_PKS3_PKT0_S9_ifPKiSB_iPKfiiiSD_SD_iiiii
	.globl	_ZN4vllm25paged_attention_v1_kernelI14__hip_bfloat16hLi32ELi8ELi128ELNS_18Fp8KVCacheDataTypeE1ELb1EEEvPT_PKS3_PKT0_S9_ifPKiSB_iPKfiiiSD_SD_iiiii
	.p2align	8
	.type	_ZN4vllm25paged_attention_v1_kernelI14__hip_bfloat16hLi32ELi8ELi128ELNS_18Fp8KVCacheDataTypeE1ELb1EEEvPT_PKS3_PKT0_S9_ifPKiSB_iPKfiiiSD_SD_iiiii,@function
_ZN4vllm25paged_attention_v1_kernelI14__hip_bfloat16hLi32ELi8ELi128ELNS_18Fp8KVCacheDataTypeE1ELb1EEEvPT_PKS3_PKT0_S9_ifPKiSB_iPKfiiiSD_SD_iiiii: ; @_ZN4vllm25paged_attention_v1_kernelI14__hip_bfloat16hLi32ELi8ELi128ELNS_18Fp8KVCacheDataTypeE1ELb1EEEvPT_PKS3_PKT0_S9_ifPKiSB_iPKfiiiSD_SD_iiiii
; %bb.0:
	s_load_b64 s[26:27], s[0:1], 0x20
	s_bfe_u32 s3, ttmp6, 0x4000c
	s_bfe_u32 s4, ttmp6, 0x40010
	s_and_b32 s6, ttmp7, 0xffff
	s_add_co_i32 s3, s3, 1
	s_add_co_i32 s4, s4, 1
	s_and_b32 s2, ttmp6, 15
	s_bfe_u32 s5, ttmp6, 0x40004
	s_mul_i32 s3, ttmp9, s3
	s_mul_i32 s4, s6, s4
	s_getreg_b32 s30, hwreg(HW_REG_IB_STS2, 6, 4)
	s_add_co_i32 s2, s2, s3
	s_add_co_i32 s3, s5, s4
	s_cmp_eq_u32 s30, 0
	s_clause 0x1
	s_load_b32 s31, s[0:1], 0x80
	s_load_b64 s[4:5], s[0:1], 0x30
	s_cselect_b32 s33, s6, s3
	s_cselect_b32 s2, ttmp9, s2
	s_wait_kmcnt 0x0
	s_abs_i32 s3, s26
	s_delay_alu instid0(SALU_CYCLE_1) | instskip(SKIP_1) | instid1(SALU_CYCLE_2)
	s_cvt_f32_u32 s6, s3
	s_sub_co_i32 s7, 0, s3
	v_rcp_iflag_f32_e32 v1, s6
	s_abs_i32 s8, s31
	v_nop
	s_delay_alu instid0(TRANS32_DEP_1) | instskip(SKIP_1) | instid1(SALU_CYCLE_3)
	v_readfirstlane_b32 s6, v1
	s_mul_f32 s6, s6, 0x4f7ffffe
	s_cvt_u32_f32 s6, s6
	s_delay_alu instid0(SALU_CYCLE_3) | instskip(NEXT) | instid1(SALU_CYCLE_1)
	s_mul_i32 s7, s7, s6
	s_mul_hi_u32 s7, s6, s7
	s_delay_alu instid0(SALU_CYCLE_1) | instskip(SKIP_4) | instid1(SALU_CYCLE_1)
	s_add_co_i32 s6, s6, s7
	s_xor_b32 s7, s31, s26
	s_mul_hi_u32 s6, s8, s6
	s_ashr_i32 s7, s7, 31
	s_mul_i32 s9, s6, s3
	s_sub_co_i32 s8, s8, s9
	s_add_co_i32 s9, s6, 1
	s_sub_co_i32 s10, s8, s3
	s_cmp_ge_u32 s8, s3
	s_cselect_b32 s6, s9, s6
	s_cselect_b32 s8, s10, s8
	s_add_co_i32 s9, s6, 1
	s_cmp_ge_u32 s8, s3
	s_load_b64 s[10:11], s[0:1], 0x40
	s_cselect_b32 s3, s9, s6
	s_mov_b32 s9, 0
	s_xor_b32 s3, s3, s7
	s_abs_i32 s8, s2
	s_sub_co_i32 s12, s3, s7
	s_mov_b32 s7, s9
	s_abs_i32 s19, s12
	s_mov_b32 s37, s9
	s_cvt_f32_u32 s3, s19
	s_sub_co_i32 s6, 0, s19
	s_delay_alu instid0(SALU_CYCLE_2) | instskip(SKIP_1) | instid1(TRANS32_DEP_1)
	v_rcp_iflag_f32_e32 v1, s3
	v_nop
	v_readfirstlane_b32 s3, v1
	s_mul_f32 s3, s3, 0x4f7ffffe
	s_delay_alu instid0(SALU_CYCLE_3) | instskip(NEXT) | instid1(SALU_CYCLE_3)
	s_cvt_u32_f32 s3, s3
	s_mul_i32 s6, s6, s3
	s_delay_alu instid0(SALU_CYCLE_1) | instskip(NEXT) | instid1(SALU_CYCLE_1)
	s_mul_hi_u32 s6, s3, s6
	s_add_co_i32 s6, s3, s6
	s_wait_kmcnt 0x0
	s_cmp_eq_u64 s[10:11], 0
	s_cbranch_scc1 .LBB304_2
; %bb.1:
	s_ashr_i32 s3, s2, 31
	s_delay_alu instid0(SALU_CYCLE_1) | instskip(NEXT) | instid1(SALU_CYCLE_1)
	s_lshl_b64 s[14:15], s[2:3], 2
	s_add_nc_u64 s[10:11], s[10:11], s[14:15]
	s_load_b32 s37, s[10:11], 0x0
.LBB304_2:
	s_load_b32 s34, s[4:5], s33 offset:0x0 scale_offset
	s_load_b96 s[16:18], s[0:1], 0x48
	v_and_b32_e32 v2, 3, v0
	s_wait_xcnt 0x0
	s_mul_u64 s[4:5], s[8:9], s[6:7]
	s_ashr_i32 s3, s2, 31
	s_ashr_i32 s10, s12, 31
	s_lshl_b32 s6, s2, 5
	s_mov_b32 s4, exec_lo
	v_cmpx_gt_u32_e32 16, v0
	s_cbranch_execz .LBB304_4
; %bb.3:
	s_load_b64 s[12:13], s[0:1], 0x8
	s_wait_kmcnt 0x0
	s_mul_i32 s14, s16, s33
	s_ashr_i32 s7, s6, 31
	s_ashr_i32 s15, s14, 31
	v_and_b32_e32 v3, 0x3fc, v0
	s_lshl_b64 s[14:15], s[14:15], 1
	s_delay_alu instid0(VALU_DEP_1) | instskip(SKIP_2) | instid1(SALU_CYCLE_1)
	v_lshl_add_u32 v3, v2, 4, v3
	s_add_nc_u64 s[12:13], s[12:13], s[14:15]
	s_lshl_b64 s[14:15], s[6:7], 1
	s_add_nc_u64 s[12:13], s[12:13], s[14:15]
	global_load_b32 v1, v0, s[12:13] scale_offset
	s_wait_loadcnt 0x0
	ds_store_b32 v3, v1
.LBB304_4:
	s_or_b32 exec_lo, exec_lo, s4
	s_load_b128 s[12:15], s[0:1], 0x68
	s_mul_i32 s4, s5, s19
	s_xor_b32 s3, s3, s10
	s_sub_co_i32 s4, s8, s4
	s_add_co_i32 s7, s5, 1
	s_sub_co_i32 s8, s4, s19
	s_cmp_ge_u32 s4, s19
	s_mov_b32 s9, -1
	s_cselect_b32 s5, s7, s5
	s_cselect_b32 s4, s8, s4
	s_add_co_i32 s8, s5, 1
	s_cmp_ge_u32 s4, s19
	s_load_b32 s7, s[0:1], 0x78
	s_cselect_b32 s4, s8, s5
	s_wait_kmcnt 0x0
	s_add_co_i32 s8, s34, -1
	s_xor_b32 s4, s4, s3
	s_wait_dscnt 0x0
	s_sub_co_i32 s3, s4, s3
	s_barrier_signal -1
	s_barrier_wait -1
	s_abs_i32 s16, s15
	s_delay_alu instid0(SALU_CYCLE_1) | instskip(NEXT) | instid1(SALU_CYCLE_3)
	s_cvt_f32_u32 s5, s16
                                        ; implicit-def: $sgpr35
	v_rcp_iflag_f32_e32 v1, s5
	v_nop
	s_delay_alu instid0(TRANS32_DEP_1) | instskip(SKIP_1) | instid1(SALU_CYCLE_3)
	v_readfirstlane_b32 s5, v1
	s_mul_f32 s4, s5, 0x4f7ffffe
	s_cvt_u32_f32 s10, s4
	s_sub_co_i32 s4, 0, s16
	s_delay_alu instid0(SALU_CYCLE_2)
	s_mul_i32 s5, s4, s10
	s_abs_i32 s4, s8
	s_mul_hi_u32 s11, s10, s5
	s_mov_b32 s5, 0
	s_add_co_i32 s20, s10, s11
	s_cmp_lt_i32 s7, 0
	s_mov_b32 s21, s5
	s_cbranch_scc0 .LBB304_6
; %bb.5:
	s_mul_i32 s9, s12, s26
	s_delay_alu instid0(SALU_CYCLE_1) | instskip(NEXT) | instid1(SALU_CYCLE_1)
	s_add_co_i32 s9, s3, s9
	s_mul_i32 s9, s9, s7
	s_delay_alu instid0(SALU_CYCLE_1)
	s_sub_co_i32 s35, 1, s9
	s_mov_b32 s9, s5
.LBB304_6:
	s_ashr_i32 s8, s8, 31
	s_ashr_i32 s15, s15, 31
	s_and_not1_b32 vcc_lo, exec_lo, s9
	s_mul_u64 s[28:29], s[4:5], s[20:21]
	s_cbranch_vccnz .LBB304_8
; %bb.7:
	s_mul_i32 s5, s31, s12
	s_delay_alu instid0(SALU_CYCLE_1) | instskip(NEXT) | instid1(SALU_CYCLE_1)
	s_add_co_i32 s2, s5, s2
	s_mul_i32 s2, s2, s7
	s_delay_alu instid0(SALU_CYCLE_1)
	s_add_co_i32 s35, s2, 1
.LBB304_8:
	s_clause 0x1
	s_load_b32 s2, s[0:1], 0x38
	s_load_b64 s[22:23], s[0:1], 0x28
	s_mul_i32 s7, s29, s16
	s_xor_b32 s5, s8, s15
	s_sub_co_i32 s4, s4, s7
	s_add_co_i32 s12, s29, 1
	s_clause 0x1
	s_load_b32 s7, s[0:1], 0x88
	s_load_b128 s[8:11], s[0:1], 0x58
	v_dual_lshrrev_b32 v1, 5, v0 :: v_dual_lshrrev_b32 v11, 3, v0
	v_mov_b32_e32 v21, 0xff7fffff
	v_mbcnt_lo_u32_b32 v18, -1, 0
	s_mul_i32 s18, s3, s18
	s_delay_alu instid0(VALU_DEP_3)
	v_lshlrev_b32_e32 v10, 3, v1
	s_wait_kmcnt 0x0
	s_mul_i32 s24, s2, s33
	s_sub_co_i32 s2, s4, s16
	s_ashr_i32 s25, s24, 31
	s_cmp_ge_u32 s4, s16
	s_cselect_b32 s12, s12, s29
	s_cselect_b32 s2, s2, s4
	s_add_co_i32 s4, s12, 1
	s_cmp_ge_u32 s2, s16
	s_cselect_b32 s2, s4, s12
	s_add_co_i32 s4, s34, 7
	s_delay_alu instid0(SALU_CYCLE_1) | instskip(NEXT) | instid1(SALU_CYCLE_1)
	s_ashr_i32 s12, s4, 31
	s_lshr_b32 s12, s12, 29
	s_delay_alu instid0(SALU_CYCLE_1) | instskip(NEXT) | instid1(SALU_CYCLE_1)
	s_add_co_i32 s4, s4, s12
	s_ashr_i32 s12, s4, 3
	s_xor_b32 s4, s2, s5
	v_cmp_gt_i32_e64 s2, s12, v1
	s_sub_co_i32 s36, s4, s5
	s_and_saveexec_b32 s26, s2
	s_cbranch_execz .LBB304_84
; %bb.9:
	s_load_b64 s[4:5], s[0:1], 0x10
	s_sub_co_i32 s38, s36, s13
	s_ashr_i32 s19, s18, 31
	s_cmp_neq_f32 s37, 0
	v_bfe_u32 v19, v0, 2, 3
	v_dual_mov_b32 v7, 0 :: v_dual_lshlrev_b32 v20, 4, v2
	s_cselect_b32 vcc_lo, -1, 0
	s_abs_i32 s39, s14
	s_delay_alu instid0(VALU_DEP_2)
	v_dual_lshlrev_b32 v8, 3, v1 :: v_dual_lshlrev_b32 v6, 4, v19
	s_cvt_f32_u32 s28, s39
	s_lshl_b64 s[40:41], s[24:25], 2
	v_cmp_eq_u32_e64 s3, 0, v2
	v_subrev_nc_u32_e32 v9, s34, v19
	v_rcp_iflag_f32_e32 v3, s28
	v_dual_mov_b32 v24, 0xff7fffff :: v_dual_mov_b32 v25, v1
	s_delay_alu instid0(VALU_DEP_2) | instskip(SKIP_3) | instid1(TRANS32_DEP_1)
	v_dual_mov_b32 v21, 0xff7fffff :: v_dual_add_nc_u32 v22, 1, v9
	s_wait_kmcnt 0x0
	s_add_nc_u64 s[4:5], s[4:5], s[18:19]
	s_mov_b32 s29, 0
	v_readfirstlane_b32 s28, v3
	v_add_nc_u64_e32 v[4:5], s[4:5], v[6:7]
	v_dual_lshlrev_b32 v3, 2, v19 :: v_dual_lshlrev_b32 v6, 1, v2
	s_add_nc_u64 s[4:5], s[22:23], s[40:41]
	s_mul_f32 s19, s28, 0x4f7ffffe
	s_sub_co_i32 s28, 0, s39
	s_delay_alu instid0(VALU_DEP_1) | instskip(NEXT) | instid1(VALU_DEP_3)
	v_lshl_or_b32 v2, v1, 5, v3
	v_add_nc_u64_e32 v[12:13], v[4:5], v[6:7]
	v_and_b32_e32 v6, 0x7c, v11
	s_cvt_u32_f32 s40, s19
	s_mov_b32 s19, s17
	v_add_nc_u32_e32 v23, 0x60, v2
	s_delay_alu instid0(VALU_DEP_2) | instskip(SKIP_1) | instid1(SALU_CYCLE_1)
	v_add_nc_u64_e32 v[14:15], s[4:5], v[6:7]
	s_mul_i32 s28, s28, s40
	s_mul_hi_u32 s28, s40, s28
	s_delay_alu instid0(SALU_CYCLE_1)
	s_add_co_i32 s28, s40, s28
	s_mov_b32 s40, s29
	s_branch .LBB304_12
.LBB304_10:                             ;   in Loop: Header=BB304_12 Depth=1
	s_or_b32 exec_lo, exec_lo, s41
.LBB304_11:                             ;   in Loop: Header=BB304_12 Depth=1
	s_delay_alu instid0(SALU_CYCLE_1) | instskip(SKIP_3) | instid1(VALU_DEP_3)
	s_or_b32 exec_lo, exec_lo, s5
	v_dual_add_nc_u32 v25, 4, v25 :: v_dual_add_nc_u32 v8, 32, v8
	v_add_nc_u64_e32 v[14:15], 16, v[14:15]
	v_add_nc_u32_e32 v23, 0x80, v23
	v_cmp_le_i32_e64 s4, s12, v25
	s_or_b32 s40, s4, s40
	s_delay_alu instid0(SALU_CYCLE_1)
	s_and_not1_b32 exec_lo, exec_lo, s40
	s_cbranch_execz .LBB304_83
.LBB304_12:                             ; =>This Inner Loop Header: Depth=1
	v_mov_b32_e32 v9, v7
	s_wait_dscnt 0x0
	s_delay_alu instid0(VALU_DEP_1) | instskip(NEXT) | instid1(VALU_DEP_1)
	v_mul_u64_e32 v[2:3], s[20:21], v[8:9]
	v_mul_lo_u32 v2, v3, s16
	s_delay_alu instid0(VALU_DEP_1) | instskip(NEXT) | instid1(VALU_DEP_1)
	v_sub_nc_u32_e32 v2, v8, v2
	v_subrev_nc_u32_e32 v5, s16, v2
	v_cmp_le_u32_e64 s4, s16, v2
	s_delay_alu instid0(VALU_DEP_1) | instskip(NEXT) | instid1(VALU_DEP_1)
	v_dual_add_nc_u32 v4, 1, v3 :: v_dual_cndmask_b32 v2, v2, v5, s4
	v_cndmask_b32_e64 v3, v3, v4, s4
	s_delay_alu instid0(VALU_DEP_2) | instskip(NEXT) | instid1(VALU_DEP_2)
	v_cmp_le_u32_e64 s4, s16, v2
	v_add_nc_u32_e32 v4, 1, v3
	s_delay_alu instid0(VALU_DEP_1) | instskip(NEXT) | instid1(VALU_DEP_1)
	v_cndmask_b32_e64 v2, v3, v4, s4
	v_xor_b32_e32 v2, s15, v2
	s_delay_alu instid0(VALU_DEP_1) | instskip(NEXT) | instid1(VALU_DEP_1)
	v_subrev_nc_u32_e32 v4, s15, v2
	v_add_nc_u32_e32 v5, s35, v4
	v_cmp_ge_i32_e64 s5, s38, v4
	s_delay_alu instid0(VALU_DEP_2) | instskip(NEXT) | instid1(VALU_DEP_1)
	v_sub_nc_u32_e32 v2, 0, v5
	v_dual_ashrrev_i32 v5, 31, v5 :: v_dual_max_i32 v6, v5, v2
	s_delay_alu instid0(VALU_DEP_1) | instskip(NEXT) | instid1(VALU_DEP_1)
	v_mul_u64_e32 v[2:3], s[28:29], v[6:7]
	v_mul_lo_u32 v2, v3, s39
	s_delay_alu instid0(VALU_DEP_1) | instskip(NEXT) | instid1(VALU_DEP_1)
	v_sub_nc_u32_e32 v2, v6, v2
	v_subrev_nc_u32_e32 v3, s39, v2
	v_cmp_le_u32_e64 s4, s39, v2
	s_delay_alu instid0(VALU_DEP_1) | instskip(NEXT) | instid1(VALU_DEP_1)
	v_cndmask_b32_e64 v2, v2, v3, s4
	v_subrev_nc_u32_e32 v3, s39, v2
	v_cmp_le_u32_e64 s4, s39, v2
	s_delay_alu instid0(VALU_DEP_1) | instskip(NEXT) | instid1(VALU_DEP_1)
	v_cndmask_b32_e64 v2, v2, v3, s4
	v_xor_b32_e32 v2, v2, v5
	s_delay_alu instid0(VALU_DEP_1) | instskip(NEXT) | instid1(VALU_DEP_1)
	v_sub_nc_u32_e32 v2, v2, v5
	v_cmp_ne_u32_e64 s4, 0, v2
	s_and_b32 s4, s4, s5
	s_delay_alu instid0(SALU_CYCLE_1) | instskip(NEXT) | instid1(SALU_CYCLE_1)
	s_and_saveexec_b32 s5, s4
	s_xor_b32 s4, exec_lo, s5
	s_cbranch_execz .LBB304_16
; %bb.13:                               ;   in Loop: Header=BB304_12 Depth=1
	s_and_saveexec_b32 s5, s3
; %bb.14:                               ;   in Loop: Header=BB304_12 Depth=1
	ds_store_b32 v23, v24
; %bb.15:                               ;   in Loop: Header=BB304_12 Depth=1
	s_or_b32 exec_lo, exec_lo, s5
.LBB304_16:                             ;   in Loop: Header=BB304_12 Depth=1
	s_and_not1_saveexec_b32 s5, s4
	s_cbranch_execz .LBB304_11
; %bb.17:                               ;   in Loop: Header=BB304_12 Depth=1
	global_load_b32 v2, v[14:15], off
	s_load_b32 s41, s[8:9], 0x0
	v_mov_b32_e32 v9, 0
	s_wait_loadcnt 0x0
	v_mad_nc_i64_i32 v[16:17], v2, s19, v[12:13]
	ds_load_b128 v[2:5], v20
	global_load_u16 v6, v[16:17], off
	s_wait_loadcnt 0x0
	v_and_b32_e32 v26, 0xff, v6
	v_and_b32_e32 v27, 0xffff, v6
	s_delay_alu instid0(VALU_DEP_2)
	v_cmp_ne_u16_e64 s4, 0, v26
	v_mov_b32_e32 v26, 0
	s_and_saveexec_b32 s42, s4
	s_cbranch_execz .LBB304_25
; %bb.18:                               ;   in Loop: Header=BB304_12 Depth=1
	v_and_b32_e32 v6, 0xff, v27
	v_bfrev_b32_e32 v26, 1
	s_mov_b32 s43, exec_lo
	s_delay_alu instid0(VALU_DEP_2)
	v_cmpx_ne_u16_e32 0x80, v6
	s_cbranch_execz .LBB304_24
; %bb.19:                               ;   in Loop: Header=BB304_12 Depth=1
	v_and_b32_e32 v28, 0x7f, v27
	v_mov_b32_e32 v26, 0x7f800001
	s_mov_b32 s44, exec_lo
	s_delay_alu instid0(VALU_DEP_2)
	v_cmpx_ne_u32_e32 0x7f, v28
	s_cbranch_execz .LBB304_23
; %bb.20:                               ;   in Loop: Header=BB304_12 Depth=1
	v_dual_lshrrev_b32 v26, 3, v28 :: v_dual_bitop2_b32 v6, 7, v27 bitop3:0x40
	s_mov_b32 s45, exec_lo
	v_cmpx_gt_u32_e32 8, v28
; %bb.21:                               ;   in Loop: Header=BB304_12 Depth=1
	s_delay_alu instid0(VALU_DEP_2) | instskip(NEXT) | instid1(VALU_DEP_1)
	v_clz_i32_u32_e32 v26, v6
	v_min_u32_e32 v26, 32, v26
	s_delay_alu instid0(VALU_DEP_1) | instskip(NEXT) | instid1(VALU_DEP_1)
	v_subrev_nc_u32_e32 v28, 28, v26
	v_lshlrev_b64_e32 v[28:29], v28, v[6:7]
	s_delay_alu instid0(VALU_DEP_1)
	v_dual_sub_nc_u32 v26, 29, v26 :: v_dual_bitop2_b32 v6, 7, v28 bitop3:0x40
; %bb.22:                               ;   in Loop: Header=BB304_12 Depth=1
	s_or_b32 exec_lo, exec_lo, s45
	s_delay_alu instid0(VALU_DEP_1) | instskip(NEXT) | instid1(VALU_DEP_2)
	v_dual_lshlrev_b32 v28, 24, v27 :: v_dual_lshlrev_b32 v6, 20, v6
	v_lshl_add_u32 v26, v26, 23, 0x3c000000
	s_delay_alu instid0(VALU_DEP_2) | instskip(NEXT) | instid1(VALU_DEP_1)
	v_and_b32_e32 v28, 0x80000000, v28
	v_or3_b32 v26, v6, v28, v26
.LBB304_23:                             ;   in Loop: Header=BB304_12 Depth=1
	s_or_b32 exec_lo, exec_lo, s44
.LBB304_24:                             ;   in Loop: Header=BB304_12 Depth=1
	s_delay_alu instid0(SALU_CYCLE_1)
	s_or_b32 exec_lo, exec_lo, s43
.LBB304_25:                             ;   in Loop: Header=BB304_12 Depth=1
	s_delay_alu instid0(SALU_CYCLE_1) | instskip(SKIP_2) | instid1(VALU_DEP_1)
	s_or_b32 exec_lo, exec_lo, s42
	v_lshrrev_b16 v6, 8, v27
	s_mov_b32 s42, exec_lo
	v_cmpx_ne_u16_e32 0, v6
	s_cbranch_execz .LBB304_33
; %bb.26:                               ;   in Loop: Header=BB304_12 Depth=1
	v_bfrev_b32_e32 v9, 1
	s_mov_b32 s43, exec_lo
	v_cmpx_ne_u16_e32 0x80, v6
	s_cbranch_execz .LBB304_32
; %bb.27:                               ;   in Loop: Header=BB304_12 Depth=1
	v_and_b32_e32 v6, 0xffff, v6
	v_mov_b32_e32 v9, 0x7f800001
	s_mov_b32 s44, exec_lo
	s_delay_alu instid0(VALU_DEP_2) | instskip(NEXT) | instid1(VALU_DEP_1)
	v_and_b32_e32 v28, 0x7f, v6
	v_cmpx_ne_u32_e32 0x7f, v28
	s_cbranch_execz .LBB304_31
; %bb.28:                               ;   in Loop: Header=BB304_12 Depth=1
	v_dual_lshrrev_b32 v9, 3, v28 :: v_dual_bitop2_b32 v6, 7, v6 bitop3:0x40
	s_mov_b32 s45, exec_lo
	v_cmpx_gt_u32_e32 8, v28
; %bb.29:                               ;   in Loop: Header=BB304_12 Depth=1
	s_delay_alu instid0(VALU_DEP_2) | instskip(NEXT) | instid1(VALU_DEP_1)
	v_clz_i32_u32_e32 v9, v6
	v_min_u32_e32 v9, 32, v9
	s_delay_alu instid0(VALU_DEP_1) | instskip(NEXT) | instid1(VALU_DEP_1)
	v_subrev_nc_u32_e32 v28, 28, v9
	v_lshlrev_b64_e32 v[28:29], v28, v[6:7]
	s_delay_alu instid0(VALU_DEP_1)
	v_dual_sub_nc_u32 v9, 29, v9 :: v_dual_bitop2_b32 v6, 7, v28 bitop3:0x40
; %bb.30:                               ;   in Loop: Header=BB304_12 Depth=1
	s_or_b32 exec_lo, exec_lo, s45
	s_delay_alu instid0(VALU_DEP_1) | instskip(NEXT) | instid1(VALU_DEP_2)
	v_dual_lshlrev_b32 v27, 16, v27 :: v_dual_lshlrev_b32 v6, 20, v6
	v_lshl_add_u32 v9, v9, 23, 0x3c000000
	s_delay_alu instid0(VALU_DEP_2) | instskip(NEXT) | instid1(VALU_DEP_1)
	v_and_b32_e32 v27, 0x80000000, v27
	v_or3_b32 v9, v6, v27, v9
.LBB304_31:                             ;   in Loop: Header=BB304_12 Depth=1
	s_or_b32 exec_lo, exec_lo, s44
.LBB304_32:                             ;   in Loop: Header=BB304_12 Depth=1
	s_delay_alu instid0(SALU_CYCLE_1)
	s_or_b32 exec_lo, exec_lo, s43
.LBB304_33:                             ;   in Loop: Header=BB304_12 Depth=1
	s_delay_alu instid0(SALU_CYCLE_1)
	s_or_b32 exec_lo, exec_lo, s42
	global_load_u16 v6, v[16:17], off offset:8
	v_mov_b32_e32 v27, 0
	s_wait_loadcnt 0x0
	v_and_b32_e32 v28, 0xff, v6
	v_and_b32_e32 v29, 0xffff, v6
	s_delay_alu instid0(VALU_DEP_2)
	v_cmp_ne_u16_e64 s4, 0, v28
	v_mov_b32_e32 v28, 0
	s_and_saveexec_b32 s42, s4
	s_cbranch_execz .LBB304_41
; %bb.34:                               ;   in Loop: Header=BB304_12 Depth=1
	v_and_b32_e32 v6, 0xff, v29
	v_bfrev_b32_e32 v28, 1
	s_mov_b32 s43, exec_lo
	s_delay_alu instid0(VALU_DEP_2)
	v_cmpx_ne_u16_e32 0x80, v6
	s_cbranch_execz .LBB304_40
; %bb.35:                               ;   in Loop: Header=BB304_12 Depth=1
	v_and_b32_e32 v30, 0x7f, v29
	v_mov_b32_e32 v28, 0x7f800001
	s_mov_b32 s44, exec_lo
	s_delay_alu instid0(VALU_DEP_2)
	v_cmpx_ne_u32_e32 0x7f, v30
	s_cbranch_execz .LBB304_39
; %bb.36:                               ;   in Loop: Header=BB304_12 Depth=1
	v_dual_lshrrev_b32 v28, 3, v30 :: v_dual_bitop2_b32 v6, 7, v29 bitop3:0x40
	s_mov_b32 s45, exec_lo
	v_cmpx_gt_u32_e32 8, v30
; %bb.37:                               ;   in Loop: Header=BB304_12 Depth=1
	s_delay_alu instid0(VALU_DEP_2) | instskip(NEXT) | instid1(VALU_DEP_1)
	v_clz_i32_u32_e32 v28, v6
	v_min_u32_e32 v28, 32, v28
	s_delay_alu instid0(VALU_DEP_1) | instskip(NEXT) | instid1(VALU_DEP_1)
	v_subrev_nc_u32_e32 v30, 28, v28
	v_lshlrev_b64_e32 v[30:31], v30, v[6:7]
	s_delay_alu instid0(VALU_DEP_1)
	v_dual_sub_nc_u32 v28, 29, v28 :: v_dual_bitop2_b32 v6, 7, v30 bitop3:0x40
; %bb.38:                               ;   in Loop: Header=BB304_12 Depth=1
	s_or_b32 exec_lo, exec_lo, s45
	s_delay_alu instid0(VALU_DEP_1) | instskip(NEXT) | instid1(VALU_DEP_2)
	v_dual_lshlrev_b32 v30, 24, v29 :: v_dual_lshlrev_b32 v6, 20, v6
	v_lshl_add_u32 v28, v28, 23, 0x3c000000
	s_delay_alu instid0(VALU_DEP_2) | instskip(NEXT) | instid1(VALU_DEP_1)
	v_and_b32_e32 v30, 0x80000000, v30
	v_or3_b32 v28, v6, v30, v28
.LBB304_39:                             ;   in Loop: Header=BB304_12 Depth=1
	s_or_b32 exec_lo, exec_lo, s44
.LBB304_40:                             ;   in Loop: Header=BB304_12 Depth=1
	s_delay_alu instid0(SALU_CYCLE_1)
	s_or_b32 exec_lo, exec_lo, s43
.LBB304_41:                             ;   in Loop: Header=BB304_12 Depth=1
	s_delay_alu instid0(SALU_CYCLE_1) | instskip(SKIP_2) | instid1(VALU_DEP_1)
	s_or_b32 exec_lo, exec_lo, s42
	v_lshrrev_b16 v6, 8, v29
	s_mov_b32 s42, exec_lo
	v_cmpx_ne_u16_e32 0, v6
	s_cbranch_execz .LBB304_49
; %bb.42:                               ;   in Loop: Header=BB304_12 Depth=1
	v_bfrev_b32_e32 v27, 1
	s_mov_b32 s43, exec_lo
	v_cmpx_ne_u16_e32 0x80, v6
	s_cbranch_execz .LBB304_48
; %bb.43:                               ;   in Loop: Header=BB304_12 Depth=1
	v_and_b32_e32 v6, 0xffff, v6
	v_mov_b32_e32 v27, 0x7f800001
	s_mov_b32 s44, exec_lo
	s_delay_alu instid0(VALU_DEP_2) | instskip(NEXT) | instid1(VALU_DEP_1)
	v_and_b32_e32 v30, 0x7f, v6
	v_cmpx_ne_u32_e32 0x7f, v30
	s_cbranch_execz .LBB304_47
; %bb.44:                               ;   in Loop: Header=BB304_12 Depth=1
	v_and_b32_e32 v6, 7, v6
	v_lshrrev_b32_e32 v27, 3, v30
	s_mov_b32 s45, exec_lo
	v_cmpx_gt_u32_e32 8, v30
; %bb.45:                               ;   in Loop: Header=BB304_12 Depth=1
	s_delay_alu instid0(VALU_DEP_3) | instskip(NEXT) | instid1(VALU_DEP_1)
	v_clz_i32_u32_e32 v27, v6
	v_min_u32_e32 v27, 32, v27
	s_delay_alu instid0(VALU_DEP_1) | instskip(NEXT) | instid1(VALU_DEP_1)
	v_subrev_nc_u32_e32 v30, 28, v27
	v_lshlrev_b64_e32 v[30:31], v30, v[6:7]
	s_delay_alu instid0(VALU_DEP_1)
	v_dual_sub_nc_u32 v27, 29, v27 :: v_dual_bitop2_b32 v6, 7, v30 bitop3:0x40
; %bb.46:                               ;   in Loop: Header=BB304_12 Depth=1
	s_or_b32 exec_lo, exec_lo, s45
	s_delay_alu instid0(VALU_DEP_1) | instskip(NEXT) | instid1(VALU_DEP_2)
	v_dual_lshlrev_b32 v29, 16, v29 :: v_dual_lshlrev_b32 v6, 20, v6
	v_lshl_add_u32 v27, v27, 23, 0x3c000000
	s_delay_alu instid0(VALU_DEP_2) | instskip(NEXT) | instid1(VALU_DEP_1)
	v_and_b32_e32 v29, 0x80000000, v29
	v_or3_b32 v27, v6, v29, v27
.LBB304_47:                             ;   in Loop: Header=BB304_12 Depth=1
	s_or_b32 exec_lo, exec_lo, s44
.LBB304_48:                             ;   in Loop: Header=BB304_12 Depth=1
	s_delay_alu instid0(SALU_CYCLE_1)
	s_or_b32 exec_lo, exec_lo, s43
.LBB304_49:                             ;   in Loop: Header=BB304_12 Depth=1
	s_delay_alu instid0(SALU_CYCLE_1)
	s_or_b32 exec_lo, exec_lo, s42
	global_load_u16 v6, v[16:17], off offset:128
	v_mov_b32_e32 v29, 0
	s_wait_loadcnt 0x0
	v_and_b32_e32 v30, 0xff, v6
	v_and_b32_e32 v31, 0xffff, v6
	s_delay_alu instid0(VALU_DEP_2)
	v_cmp_ne_u16_e64 s4, 0, v30
	v_mov_b32_e32 v30, 0
	s_and_saveexec_b32 s42, s4
	s_cbranch_execz .LBB304_57
; %bb.50:                               ;   in Loop: Header=BB304_12 Depth=1
	v_and_b32_e32 v6, 0xff, v31
	v_bfrev_b32_e32 v30, 1
	s_mov_b32 s43, exec_lo
	s_delay_alu instid0(VALU_DEP_2)
	v_cmpx_ne_u16_e32 0x80, v6
	s_cbranch_execz .LBB304_56
; %bb.51:                               ;   in Loop: Header=BB304_12 Depth=1
	v_and_b32_e32 v32, 0x7f, v31
	v_mov_b32_e32 v30, 0x7f800001
	s_mov_b32 s44, exec_lo
	s_delay_alu instid0(VALU_DEP_2)
	v_cmpx_ne_u32_e32 0x7f, v32
	s_cbranch_execz .LBB304_55
; %bb.52:                               ;   in Loop: Header=BB304_12 Depth=1
	v_dual_lshrrev_b32 v30, 3, v32 :: v_dual_bitop2_b32 v6, 7, v31 bitop3:0x40
	s_mov_b32 s45, exec_lo
	v_cmpx_gt_u32_e32 8, v32
; %bb.53:                               ;   in Loop: Header=BB304_12 Depth=1
	s_delay_alu instid0(VALU_DEP_2) | instskip(NEXT) | instid1(VALU_DEP_1)
	v_clz_i32_u32_e32 v30, v6
	v_min_u32_e32 v30, 32, v30
	s_delay_alu instid0(VALU_DEP_1) | instskip(NEXT) | instid1(VALU_DEP_1)
	v_subrev_nc_u32_e32 v32, 28, v30
	v_lshlrev_b64_e32 v[32:33], v32, v[6:7]
	s_delay_alu instid0(VALU_DEP_1)
	v_dual_sub_nc_u32 v30, 29, v30 :: v_dual_bitop2_b32 v6, 7, v32 bitop3:0x40
; %bb.54:                               ;   in Loop: Header=BB304_12 Depth=1
	s_or_b32 exec_lo, exec_lo, s45
	s_delay_alu instid0(VALU_DEP_1) | instskip(NEXT) | instid1(VALU_DEP_2)
	v_dual_lshlrev_b32 v32, 24, v31 :: v_dual_lshlrev_b32 v6, 20, v6
	v_lshl_add_u32 v30, v30, 23, 0x3c000000
	s_delay_alu instid0(VALU_DEP_2) | instskip(NEXT) | instid1(VALU_DEP_1)
	v_and_b32_e32 v32, 0x80000000, v32
	v_or3_b32 v30, v6, v32, v30
.LBB304_55:                             ;   in Loop: Header=BB304_12 Depth=1
	s_or_b32 exec_lo, exec_lo, s44
.LBB304_56:                             ;   in Loop: Header=BB304_12 Depth=1
	s_delay_alu instid0(SALU_CYCLE_1)
	s_or_b32 exec_lo, exec_lo, s43
.LBB304_57:                             ;   in Loop: Header=BB304_12 Depth=1
	s_delay_alu instid0(SALU_CYCLE_1) | instskip(SKIP_2) | instid1(VALU_DEP_1)
	s_or_b32 exec_lo, exec_lo, s42
	v_lshrrev_b16 v6, 8, v31
	s_mov_b32 s42, exec_lo
	v_cmpx_ne_u16_e32 0, v6
	s_cbranch_execz .LBB304_65
; %bb.58:                               ;   in Loop: Header=BB304_12 Depth=1
	v_bfrev_b32_e32 v29, 1
	s_mov_b32 s43, exec_lo
	v_cmpx_ne_u16_e32 0x80, v6
	s_cbranch_execz .LBB304_64
; %bb.59:                               ;   in Loop: Header=BB304_12 Depth=1
	v_and_b32_e32 v6, 0xffff, v6
	v_mov_b32_e32 v29, 0x7f800001
	s_mov_b32 s44, exec_lo
	s_delay_alu instid0(VALU_DEP_2) | instskip(NEXT) | instid1(VALU_DEP_1)
	v_and_b32_e32 v32, 0x7f, v6
	v_cmpx_ne_u32_e32 0x7f, v32
	s_cbranch_execz .LBB304_63
; %bb.60:                               ;   in Loop: Header=BB304_12 Depth=1
	v_dual_lshrrev_b32 v29, 3, v32 :: v_dual_bitop2_b32 v6, 7, v6 bitop3:0x40
	s_mov_b32 s45, exec_lo
	v_cmpx_gt_u32_e32 8, v32
; %bb.61:                               ;   in Loop: Header=BB304_12 Depth=1
	s_delay_alu instid0(VALU_DEP_2) | instskip(NEXT) | instid1(VALU_DEP_1)
	v_clz_i32_u32_e32 v29, v6
	v_min_u32_e32 v29, 32, v29
	s_delay_alu instid0(VALU_DEP_1) | instskip(NEXT) | instid1(VALU_DEP_1)
	v_subrev_nc_u32_e32 v32, 28, v29
	v_lshlrev_b64_e32 v[32:33], v32, v[6:7]
	s_delay_alu instid0(VALU_DEP_1)
	v_dual_sub_nc_u32 v29, 29, v29 :: v_dual_bitop2_b32 v6, 7, v32 bitop3:0x40
; %bb.62:                               ;   in Loop: Header=BB304_12 Depth=1
	s_or_b32 exec_lo, exec_lo, s45
	s_delay_alu instid0(VALU_DEP_1) | instskip(NEXT) | instid1(VALU_DEP_2)
	v_dual_lshlrev_b32 v31, 16, v31 :: v_dual_lshlrev_b32 v6, 20, v6
	v_lshl_add_u32 v29, v29, 23, 0x3c000000
	s_delay_alu instid0(VALU_DEP_2) | instskip(NEXT) | instid1(VALU_DEP_1)
	v_and_b32_e32 v31, 0x80000000, v31
	v_or3_b32 v29, v6, v31, v29
.LBB304_63:                             ;   in Loop: Header=BB304_12 Depth=1
	s_or_b32 exec_lo, exec_lo, s44
.LBB304_64:                             ;   in Loop: Header=BB304_12 Depth=1
	s_delay_alu instid0(SALU_CYCLE_1)
	s_or_b32 exec_lo, exec_lo, s43
.LBB304_65:                             ;   in Loop: Header=BB304_12 Depth=1
	s_delay_alu instid0(SALU_CYCLE_1)
	s_or_b32 exec_lo, exec_lo, s42
	global_load_u16 v6, v[16:17], off offset:136
	s_wait_xcnt 0x0
	v_mov_b32_e32 v16, 0
	s_wait_loadcnt 0x0
	v_and_b32_e32 v17, 0xff, v6
	v_and_b32_e32 v31, 0xffff, v6
	s_delay_alu instid0(VALU_DEP_2)
	v_cmp_ne_u16_e64 s4, 0, v17
	v_mov_b32_e32 v17, 0
	s_and_saveexec_b32 s42, s4
	s_cbranch_execz .LBB304_73
; %bb.66:                               ;   in Loop: Header=BB304_12 Depth=1
	v_and_b32_e32 v6, 0xff, v31
	v_bfrev_b32_e32 v17, 1
	s_mov_b32 s43, exec_lo
	s_delay_alu instid0(VALU_DEP_2)
	v_cmpx_ne_u16_e32 0x80, v6
	s_cbranch_execz .LBB304_72
; %bb.67:                               ;   in Loop: Header=BB304_12 Depth=1
	v_and_b32_e32 v32, 0x7f, v31
	v_mov_b32_e32 v17, 0x7f800001
	s_mov_b32 s44, exec_lo
	s_delay_alu instid0(VALU_DEP_2)
	v_cmpx_ne_u32_e32 0x7f, v32
	s_cbranch_execz .LBB304_71
; %bb.68:                               ;   in Loop: Header=BB304_12 Depth=1
	v_dual_lshrrev_b32 v17, 3, v32 :: v_dual_bitop2_b32 v6, 7, v31 bitop3:0x40
	s_mov_b32 s45, exec_lo
	v_cmpx_gt_u32_e32 8, v32
; %bb.69:                               ;   in Loop: Header=BB304_12 Depth=1
	s_delay_alu instid0(VALU_DEP_2) | instskip(NEXT) | instid1(VALU_DEP_1)
	v_clz_i32_u32_e32 v17, v6
	v_min_u32_e32 v17, 32, v17
	s_delay_alu instid0(VALU_DEP_1) | instskip(NEXT) | instid1(VALU_DEP_1)
	v_subrev_nc_u32_e32 v32, 28, v17
	v_lshlrev_b64_e32 v[32:33], v32, v[6:7]
	s_delay_alu instid0(VALU_DEP_1)
	v_dual_sub_nc_u32 v17, 29, v17 :: v_dual_bitop2_b32 v6, 7, v32 bitop3:0x40
; %bb.70:                               ;   in Loop: Header=BB304_12 Depth=1
	s_or_b32 exec_lo, exec_lo, s45
	s_delay_alu instid0(VALU_DEP_1) | instskip(NEXT) | instid1(VALU_DEP_2)
	v_dual_lshlrev_b32 v32, 24, v31 :: v_dual_lshlrev_b32 v6, 20, v6
	v_lshl_add_u32 v17, v17, 23, 0x3c000000
	s_delay_alu instid0(VALU_DEP_2) | instskip(NEXT) | instid1(VALU_DEP_1)
	v_and_b32_e32 v32, 0x80000000, v32
	v_or3_b32 v17, v6, v32, v17
.LBB304_71:                             ;   in Loop: Header=BB304_12 Depth=1
	s_or_b32 exec_lo, exec_lo, s44
.LBB304_72:                             ;   in Loop: Header=BB304_12 Depth=1
	s_delay_alu instid0(SALU_CYCLE_1)
	s_or_b32 exec_lo, exec_lo, s43
.LBB304_73:                             ;   in Loop: Header=BB304_12 Depth=1
	s_delay_alu instid0(SALU_CYCLE_1) | instskip(SKIP_2) | instid1(VALU_DEP_1)
	s_or_b32 exec_lo, exec_lo, s42
	v_lshrrev_b16 v6, 8, v31
	s_mov_b32 s42, exec_lo
	v_cmpx_ne_u16_e32 0, v6
	s_cbranch_execz .LBB304_81
; %bb.74:                               ;   in Loop: Header=BB304_12 Depth=1
	v_bfrev_b32_e32 v16, 1
	s_mov_b32 s43, exec_lo
	v_cmpx_ne_u16_e32 0x80, v6
	s_cbranch_execz .LBB304_80
; %bb.75:                               ;   in Loop: Header=BB304_12 Depth=1
	v_and_b32_e32 v6, 0xffff, v6
	v_mov_b32_e32 v16, 0x7f800001
	s_mov_b32 s44, exec_lo
	s_delay_alu instid0(VALU_DEP_2) | instskip(NEXT) | instid1(VALU_DEP_1)
	v_and_b32_e32 v32, 0x7f, v6
	v_cmpx_ne_u32_e32 0x7f, v32
	s_cbranch_execz .LBB304_79
; %bb.76:                               ;   in Loop: Header=BB304_12 Depth=1
	v_dual_lshrrev_b32 v16, 3, v32 :: v_dual_bitop2_b32 v6, 7, v6 bitop3:0x40
	s_mov_b32 s45, exec_lo
	v_cmpx_gt_u32_e32 8, v32
; %bb.77:                               ;   in Loop: Header=BB304_12 Depth=1
	s_delay_alu instid0(VALU_DEP_2) | instskip(NEXT) | instid1(VALU_DEP_1)
	v_clz_i32_u32_e32 v16, v6
	v_min_u32_e32 v16, 32, v16
	s_delay_alu instid0(VALU_DEP_1) | instskip(SKIP_1) | instid1(VALU_DEP_2)
	v_subrev_nc_u32_e32 v32, 28, v16
	v_sub_nc_u32_e32 v16, 29, v16
	v_lshlrev_b64_e32 v[32:33], v32, v[6:7]
	s_delay_alu instid0(VALU_DEP_1)
	v_and_b32_e32 v6, 7, v32
; %bb.78:                               ;   in Loop: Header=BB304_12 Depth=1
	s_or_b32 exec_lo, exec_lo, s45
	s_delay_alu instid0(VALU_DEP_1) | instskip(SKIP_1) | instid1(VALU_DEP_2)
	v_dual_lshlrev_b32 v31, 16, v31 :: v_dual_lshlrev_b32 v6, 20, v6
	v_lshl_add_u32 v16, v16, 23, 0x3c000000
	v_and_b32_e32 v31, 0x80000000, v31
	s_delay_alu instid0(VALU_DEP_1)
	v_or3_b32 v16, v6, v31, v16
.LBB304_79:                             ;   in Loop: Header=BB304_12 Depth=1
	s_or_b32 exec_lo, exec_lo, s44
.LBB304_80:                             ;   in Loop: Header=BB304_12 Depth=1
	s_delay_alu instid0(SALU_CYCLE_1)
	s_or_b32 exec_lo, exec_lo, s43
.LBB304_81:                             ;   in Loop: Header=BB304_12 Depth=1
	s_delay_alu instid0(SALU_CYCLE_1)
	s_or_b32 exec_lo, exec_lo, s42
	s_wait_kmcnt 0x0
	v_fma_mixlo_bf16 v6, s41, v28, 0
	v_fma_mixlo_bf16 v27, s41, v27, 0
	s_wait_dscnt 0x0
	v_lshlrev_b32_e32 v28, 16, v3
	v_and_b32_e32 v3, 0xffff0000, v3
	v_fma_mixlo_bf16 v9, s41, v9, 0
	v_dual_lshlrev_b32 v6, 16, v6 :: v_dual_lshlrev_b32 v27, 16, v27
	v_fma_mixlo_bf16 v26, s41, v26, 0
	v_fma_mixlo_bf16 v16, s41, v16, 0
	s_delay_alu instid0(VALU_DEP_3) | instskip(SKIP_2) | instid1(VALU_DEP_3)
	v_dual_mul_f32 v6, v28, v6 :: v_dual_mul_f32 v3, v3, v27
	v_fma_mixlo_bf16 v27, s41, v29, 0
	v_fma_mixlo_bf16 v28, s41, v30, 0
	v_fma_mix_f32_bf16 v6, v2, v26, v6 op_sel_hi:[1,1,0]
	s_delay_alu instid0(VALU_DEP_4) | instskip(SKIP_2) | instid1(VALU_DEP_4)
	v_fma_mix_f32_bf16 v2, v2, v9, v3 op_sel:[1,0,0] op_sel_hi:[1,1,0]
	v_xor_b32_e32 v9, 2, v18
	v_fma_mixlo_bf16 v3, s41, v17, 0
	v_fma_mix_f32_bf16 v6, v4, v28, v6 op_sel_hi:[1,1,0]
	s_delay_alu instid0(VALU_DEP_4) | instskip(NEXT) | instid1(VALU_DEP_4)
	v_fma_mix_f32_bf16 v2, v4, v27, v2 op_sel:[1,0,0] op_sel_hi:[1,1,0]
	v_cmp_gt_i32_e64 s4, 32, v9
	s_delay_alu instid0(VALU_DEP_3) | instskip(NEXT) | instid1(VALU_DEP_3)
	v_fma_mix_f32_bf16 v3, v5, v3, v6 op_sel_hi:[1,1,0]
	v_fma_mix_f32_bf16 v2, v5, v16, v2 op_sel:[1,0,0] op_sel_hi:[1,1,0]
	s_delay_alu instid0(VALU_DEP_1) | instskip(NEXT) | instid1(VALU_DEP_1)
	v_dual_cndmask_b32 v4, v18, v9, s4 :: v_dual_add_f32 v2, v3, v2
	v_lshlrev_b32_e32 v4, 2, v4
	ds_bpermute_b32 v3, v4, v2
	v_xor_b32_e32 v4, 1, v18
	s_delay_alu instid0(VALU_DEP_1) | instskip(NEXT) | instid1(VALU_DEP_1)
	v_cmp_gt_i32_e64 s4, 32, v4
	v_cndmask_b32_e64 v4, v18, v4, s4
	s_wait_dscnt 0x0
	s_delay_alu instid0(VALU_DEP_1)
	v_dual_lshlrev_b32 v4, 2, v4 :: v_dual_add_f32 v2, v2, v3
	ds_bpermute_b32 v3, v4, v2
	s_and_saveexec_b32 s41, s3
	s_cbranch_execz .LBB304_10
; %bb.82:                               ;   in Loop: Header=BB304_12 Depth=1
	s_wait_dscnt 0x0
	v_add_f32_e32 v2, v2, v3
	v_add_nc_u32_e32 v4, v22, v8
	s_delay_alu instid0(VALU_DEP_1) | instskip(NEXT) | instid1(VALU_DEP_1)
	v_cvt_f32_i32_e32 v4, v4
	v_mul_f32_e32 v4, s37, v4
	s_delay_alu instid0(VALU_DEP_1) | instskip(NEXT) | instid1(VALU_DEP_1)
	v_dual_cndmask_b32 v3, 0, v4 :: v_dual_max_num_f32 v4, v21, v21
	v_dual_fmac_f32 v3, s27, v2 :: v_dual_add_nc_u32 v2, v19, v8
	s_delay_alu instid0(VALU_DEP_1) | instskip(NEXT) | instid1(VALU_DEP_2)
	v_max_num_f32_e32 v4, v4, v3
	v_cmp_gt_i32_e64 s4, s34, v2
	s_delay_alu instid0(VALU_DEP_1)
	v_dual_cndmask_b32 v2, 0, v3, s4 :: v_dual_cndmask_b32 v21, v21, v4, s4
	ds_store_b32 v23, v2
	s_branch .LBB304_10
.LBB304_83:
	s_or_b32 exec_lo, exec_lo, s40
.LBB304_84:
	s_delay_alu instid0(SALU_CYCLE_1)
	s_or_b32 exec_lo, exec_lo, s26
	v_dual_max_num_f32 v5, v21, v21 :: v_dual_bitop2_b32 v2, 16, v18 bitop3:0x14
	v_xor_b32_e32 v4, 8, v18
	s_clause 0x1
	s_load_b64 s[4:5], s[0:1], 0x0
	s_load_b64 s[26:27], s[0:1], 0x18
	v_and_b32_e32 v20, 31, v0
	v_cmp_gt_i32_e32 vcc_lo, 32, v2
	v_cndmask_b32_e32 v2, v18, v2, vcc_lo
	v_cmp_gt_i32_e32 vcc_lo, 32, v4
	s_delay_alu instid0(VALU_DEP_2) | instskip(SKIP_4) | instid1(VALU_DEP_1)
	v_dual_cndmask_b32 v4, v18, v4, vcc_lo :: v_dual_lshlrev_b32 v2, 2, v2
	s_wait_dscnt 0x0
	ds_bpermute_b32 v3, v2, v21
	s_wait_dscnt 0x0
	v_dual_max_num_f32 v6, v3, v3 :: v_dual_lshlrev_b32 v3, 2, v4
	v_max_num_f32_e32 v4, v5, v6
	ds_bpermute_b32 v5, v3, v4
	s_wait_dscnt 0x0
	v_dual_max_num_f32 v5, v5, v5 :: v_dual_bitop2_b32 v6, 4, v18 bitop3:0x14
	s_delay_alu instid0(VALU_DEP_1) | instskip(NEXT) | instid1(VALU_DEP_2)
	v_max_num_f32_e32 v5, v4, v5
	v_cmp_gt_i32_e32 vcc_lo, 32, v6
	v_dual_lshlrev_b32 v4, 2, v1 :: v_dual_cndmask_b32 v6, v18, v6, vcc_lo
	v_cmp_eq_u32_e32 vcc_lo, 0, v20
	s_delay_alu instid0(VALU_DEP_2)
	v_lshlrev_b32_e32 v6, 2, v6
	ds_bpermute_b32 v7, v6, v5
	s_wait_xcnt 0x0
	s_and_saveexec_b32 s0, vcc_lo
	s_cbranch_execz .LBB304_86
; %bb.85:
	s_wait_dscnt 0x0
	v_dual_max_num_f32 v7, v7, v7 :: v_dual_max_num_f32 v5, v5, v5
	s_delay_alu instid0(VALU_DEP_1)
	v_max_num_f32_e32 v5, v5, v7
	ds_store_b32 v4, v5 offset:64
.LBB304_86:
	s_or_b32 exec_lo, exec_lo, s0
	v_cmp_gt_u32_e64 s0, 4, v20
	v_dual_mov_b32 v8, 0xff7fffff :: v_dual_lshlrev_b32 v5, 2, v20
	s_wait_dscnt 0x0
	s_barrier_signal -1
	s_barrier_wait -1
	s_and_saveexec_b32 s1, s0
; %bb.87:
	ds_load_b32 v8, v5 offset:64
; %bb.88:
	s_or_b32 exec_lo, exec_lo, s1
	s_wait_dscnt 0x0
	v_dual_max_num_f32 v13, v8, v8 :: v_dual_bitop2_b32 v7, 2, v18 bitop3:0x14
	v_xor_b32_e32 v12, 1, v18
	s_delay_alu instid0(VALU_DEP_2) | instskip(NEXT) | instid1(VALU_DEP_1)
	v_cmp_gt_i32_e64 s1, 32, v7
	v_cndmask_b32_e64 v7, v18, v7, s1
	s_delay_alu instid0(VALU_DEP_3) | instskip(NEXT) | instid1(VALU_DEP_2)
	v_cmp_gt_i32_e64 s1, 32, v12
	v_lshlrev_b32_e32 v7, 2, v7
	ds_bpermute_b32 v9, v7, v8
	v_cndmask_b32_e64 v8, v18, v12, s1
	s_lshl_b32 s1, s12, 3
	s_delay_alu instid0(SALU_CYCLE_1) | instskip(NEXT) | instid1(SALU_CYCLE_1)
	s_min_i32 s8, s1, s34
	v_cmp_gt_i32_e64 s1, s8, v0
	s_wait_dscnt 0x0
	v_dual_max_num_f32 v9, v9, v9 :: v_dual_lshlrev_b32 v8, 2, v8
	s_delay_alu instid0(VALU_DEP_1) | instskip(SKIP_3) | instid1(VALU_DEP_1)
	v_max_num_f32_e32 v9, v13, v9
	ds_bpermute_b32 v12, v8, v9
	s_wait_dscnt 0x0
	v_max_num_f32_e32 v12, v12, v12
	v_dual_max_num_f32 v12, v9, v12 :: v_dual_mov_b32 v9, 0
	ds_bpermute_b32 v12, v9, v12
	s_and_saveexec_b32 s9, s1
	s_cbranch_execz .LBB304_92
; %bb.89:
	v_lshl_add_u32 v13, v0, 2, 0x60
	v_dual_mov_b32 v9, 0 :: v_dual_mov_b32 v14, v0
	s_mov_b32 s19, 0
.LBB304_90:                             ; =>This Inner Loop Header: Depth=1
	ds_load_b32 v15, v13
	v_add_nc_u32_e32 v14, 0x80, v14
	s_delay_alu instid0(VALU_DEP_1) | instskip(SKIP_3) | instid1(VALU_DEP_1)
	v_cmp_le_i32_e64 s3, s8, v14
	s_or_b32 s19, s3, s19
	s_wait_dscnt 0x0
	v_sub_f32_e32 v15, v15, v12
	v_mul_f32_e32 v15, 0x3fb8aa3b, v15
	s_delay_alu instid0(VALU_DEP_1)
	v_exp_f32_e32 v15, v15
	ds_store_b32 v13, v15
	v_nop
	v_add_f32_e32 v9, v9, v15
	v_add_nc_u32_e32 v13, 0x200, v13
	s_and_not1_b32 exec_lo, exec_lo, s19
	s_cbranch_execnz .LBB304_90
; %bb.91:
	s_or_b32 exec_lo, exec_lo, s19
.LBB304_92:
	s_delay_alu instid0(SALU_CYCLE_1)
	s_or_b32 exec_lo, exec_lo, s9
	ds_bpermute_b32 v2, v2, v9
	s_wait_dscnt 0x0
	v_add_f32_e32 v2, v9, v2
	ds_bpermute_b32 v3, v3, v2
	s_wait_dscnt 0x0
	v_add_f32_e32 v2, v2, v3
	;; [unrolled: 3-line block ×5, first 2 shown]
	s_and_saveexec_b32 s3, vcc_lo
; %bb.93:
	ds_store_b32 v4, v2 offset:80
; %bb.94:
	s_or_b32 exec_lo, exec_lo, s3
	s_wait_dscnt 0x0
	s_barrier_signal -1
	s_barrier_wait -1
	s_and_saveexec_b32 s3, s0
; %bb.95:
	ds_load_b32 v2, v5 offset:80
; %bb.96:
	s_or_b32 exec_lo, exec_lo, s3
	s_wait_dscnt 0x0
	ds_bpermute_b32 v3, v7, v2
	s_wait_dscnt 0x0
	v_dual_mov_b32 v21, 0 :: v_dual_add_f32 v2, v2, v3
	ds_bpermute_b32 v3, v8, v2
	s_wait_dscnt 0x0
	v_add_f32_e32 v2, v2, v3
	ds_bpermute_b32 v2, v21, v2
	s_and_saveexec_b32 s0, s1
	s_cbranch_execz .LBB304_109
; %bb.97:
	s_wait_dscnt 0x0
	v_add_f32_e32 v2, 0x358637bd, v2
	s_mov_b32 s3, -1
	s_mov_b32 s1, exec_lo
	s_delay_alu instid0(VALU_DEP_1) | instskip(NEXT) | instid1(VALU_DEP_1)
	v_div_scale_f32 v3, null, v2, v2, 1.0
	v_rcp_f32_e32 v5, v3
	v_nop
	s_delay_alu instid0(TRANS32_DEP_1) | instskip(NEXT) | instid1(VALU_DEP_1)
	v_fma_f32 v4, -v3, v5, 1.0
	v_fmac_f32_e32 v5, v4, v5
	v_div_scale_f32 v6, vcc_lo, 1.0, v2, 1.0
	s_delay_alu instid0(VALU_DEP_1) | instskip(NEXT) | instid1(VALU_DEP_1)
	v_mul_f32_e32 v7, v6, v5
	v_fma_f32 v4, -v3, v7, v6
	s_delay_alu instid0(VALU_DEP_1) | instskip(SKIP_1) | instid1(VALU_DEP_2)
	v_fmac_f32_e32 v7, v4, v5
	v_xad_u32 v4, v0, -1, s8
	v_fma_f32 v3, -v3, v7, v6
	s_delay_alu instid0(VALU_DEP_1) | instskip(NEXT) | instid1(VALU_DEP_1)
	v_div_fmas_f32 v3, v3, v5, v7
	v_div_fixup_f32 v2, v3, v2, 1.0
	v_mov_b32_e32 v3, v0
	v_cmpx_lt_u32_e32 0x7f, v4
	s_cbranch_execz .LBB304_106
; %bb.98:
	s_delay_alu instid0(VALU_DEP_3) | instskip(NEXT) | instid1(VALU_DEP_1)
	v_dual_mov_b32 v3, v2 :: v_dual_lshrrev_b32 v4, 7, v4
	v_dual_mov_b32 v8, 0 :: v_dual_add_nc_u32 v5, -1, v4
	s_delay_alu instid0(VALU_DEP_1) | instskip(SKIP_1) | instid1(VALU_DEP_2)
	v_lshrrev_b32_e32 v6, 1, v5
	v_cmp_lt_u32_e32 vcc_lo, 13, v5
	v_add_nc_u32_e32 v5, 1, v6
	s_and_saveexec_b32 s3, vcc_lo
	s_cbranch_execz .LBB304_102
; %bb.99:
	s_delay_alu instid0(VALU_DEP_1)
	v_and_b32_e32 v6, -8, v5
	v_lshl_add_u32 v7, v0, 2, 0x60
	s_mov_b32 s9, 0
	s_mov_b32 s19, 0
.LBB304_100:                            ; =>This Inner Loop Header: Depth=1
	ds_load_2addr_stride64_b32 v[8:9], v7 offset1:2
	ds_load_2addr_stride64_b32 v[12:13], v7 offset0:4 offset1:6
	ds_load_2addr_stride64_b32 v[14:15], v7 offset0:8 offset1:10
	;; [unrolled: 1-line block ×7, first 2 shown]
	s_add_co_i32 s19, s19, 16
	v_add_nc_u32_e32 v6, -8, v6
	s_wait_dscnt 0x7
	v_pk_mul_f32 v[8:9], v[2:3], v[8:9]
	s_wait_dscnt 0x6
	v_pk_mul_f32 v[12:13], v[2:3], v[12:13]
	;; [unrolled: 2-line block ×8, first 2 shown]
	ds_store_2addr_stride64_b32 v7, v8, v9 offset1:2
	ds_store_2addr_stride64_b32 v7, v12, v13 offset0:4 offset1:6
	ds_store_2addr_stride64_b32 v7, v14, v15 offset0:8 offset1:10
	;; [unrolled: 1-line block ×7, first 2 shown]
	v_mov_b32_e32 v8, s19
	v_cmp_eq_u32_e32 vcc_lo, 0, v6
	v_add_nc_u32_e32 v7, 0x2000, v7
	s_or_b32 s9, vcc_lo, s9
	s_delay_alu instid0(SALU_CYCLE_1)
	s_and_not1_b32 exec_lo, exec_lo, s9
	s_cbranch_execnz .LBB304_100
; %bb.101:
	s_or_b32 exec_lo, exec_lo, s9
.LBB304_102:
	s_delay_alu instid0(SALU_CYCLE_1) | instskip(NEXT) | instid1(VALU_DEP_1)
	s_or_b32 exec_lo, exec_lo, s3
	v_and_b32_e32 v5, 7, v5
	s_mov_b32 s9, 0
	s_mov_b32 s3, exec_lo
	s_delay_alu instid0(VALU_DEP_1)
	v_cmpx_ne_u32_e32 0, v5
	s_cbranch_execz .LBB304_105
; %bb.103:
	v_lshlrev_b32_e32 v6, 9, v8
	v_lshlrev_b32_e32 v7, 2, v0
	s_delay_alu instid0(VALU_DEP_1)
	v_add3_u32 v6, v6, v7, 0x60
.LBB304_104:                            ; =>This Inner Loop Header: Depth=1
	ds_load_2addr_stride64_b32 v[8:9], v6 offset1:2
	v_add_nc_u32_e32 v5, -1, v5
	s_delay_alu instid0(VALU_DEP_1)
	v_cmp_eq_u32_e32 vcc_lo, 0, v5
	s_or_b32 s9, vcc_lo, s9
	s_wait_dscnt 0x0
	v_pk_mul_f32 v[8:9], v[2:3], v[8:9]
	ds_store_2addr_stride64_b32 v6, v8, v9 offset1:2
	v_add_nc_u32_e32 v6, 0x400, v6
	s_and_not1_b32 exec_lo, exec_lo, s9
	s_cbranch_execnz .LBB304_104
.LBB304_105:
	s_or_b32 exec_lo, exec_lo, s3
	v_add_nc_u32_e32 v3, 1, v4
	s_delay_alu instid0(VALU_DEP_1) | instskip(NEXT) | instid1(VALU_DEP_1)
	v_and_b32_e32 v4, 0x3fffffe, v3
	v_cmp_ne_u32_e32 vcc_lo, v3, v4
	v_lshl_add_u32 v3, v4, 7, v0
	s_or_not1_b32 s3, vcc_lo, exec_lo
.LBB304_106:
	s_or_b32 exec_lo, exec_lo, s1
	s_delay_alu instid0(SALU_CYCLE_1)
	s_and_b32 exec_lo, exec_lo, s3
	s_cbranch_execz .LBB304_109
; %bb.107:
	v_lshl_add_u32 v4, v3, 2, 0x60
	s_mov_b32 s1, 0
.LBB304_108:                            ; =>This Inner Loop Header: Depth=1
	ds_load_b32 v5, v4
	v_add_nc_u32_e32 v3, 0x80, v3
	s_delay_alu instid0(VALU_DEP_1)
	v_cmp_le_i32_e32 vcc_lo, s8, v3
	s_or_b32 s1, vcc_lo, s1
	s_wait_dscnt 0x0
	v_mul_f32_e32 v5, v2, v5
	ds_store_b32 v4, v5
	v_add_nc_u32_e32 v4, 0x200, v4
	s_and_not1_b32 exec_lo, exec_lo, s1
	s_cbranch_execnz .LBB304_108
.LBB304_109:
	s_or_b32 exec_lo, exec_lo, s0
	s_wait_dscnt 0x0
	s_barrier_signal -1
	s_barrier_wait -1
	s_and_saveexec_b32 s28, s2
	s_cbranch_execz .LBB304_181
; %bb.110:
	s_abs_i32 s14, s14
	v_dual_mov_b32 v13, 0 :: v_dual_lshlrev_b32 v12, 3, v20
	s_cvt_f32_u32 s0, s14
	s_ashr_i32 s19, s18, 31
	v_lshl_add_u32 v22, v1, 5, 0x60
	s_wait_kmcnt 0x0
	s_add_nc_u64 s[18:19], s[26:27], s[18:19]
	v_rcp_iflag_f32_e32 v2, s0
	v_add_nc_u64_e32 v[14:15], s[18:19], v[12:13]
	v_and_b32_e32 v12, 0x7c, v11
	s_lshl_b64 s[0:1], s[24:25], 2
	s_sub_co_i32 s18, 0, s14
	s_add_nc_u64 s[0:1], s[22:23], s[0:1]
	v_bfrev_b32_e32 v23, 1
	v_readfirstlane_b32 s2, v2
	v_add_nc_u64_e32 v[16:17], s[0:1], v[12:13]
	v_dual_mov_b32 v24, v1 :: v_dual_mov_b32 v21, 0
	s_mov_b32 s3, 0
	s_mul_f32 s2, s2, 0x4f7ffffe
	s_sub_co_i32 s13, s36, s13
	s_mov_b64 s[8:9], 0x100000000000000
	s_mov_b32 s19, s3
	s_cvt_u32_f32 s2, s2
	s_delay_alu instid0(SALU_CYCLE_3) | instskip(NEXT) | instid1(SALU_CYCLE_1)
	s_mul_i32 s18, s18, s2
	s_mul_hi_u32 s0, s2, s18
	s_add_co_i32 s18, s12, -1
	s_add_co_i32 s2, s2, s0
	s_branch .LBB304_113
.LBB304_111:                            ;   in Loop: Header=BB304_113 Depth=1
	s_or_b32 exec_lo, exec_lo, s0
	s_wait_dscnt 0x1
	v_cvt_pk_bf16_f32 v6, v6, v7
	v_cvt_pk_bf16_f32 v7, v8, v9
	v_perm_b32 v8, v25, v28, 0x5040100
	s_wait_dscnt 0x0
	v_cvt_pk_bf16_f32 v2, v2, v3
	v_perm_b32 v3, v27, v26, 0x5040100
	v_perm_b32 v9, v12, v18, 0x5040100
	v_cvt_pk_bf16_f32 v4, v4, v5
	v_pk_mul_bf16 v6, v6, v8
	v_perm_b32 v5, v19, v11, 0x5040100
	v_pk_mul_bf16 v3, v7, v3
	v_pk_mul_bf16 v2, v2, v9
	s_delay_alu instid0(VALU_DEP_4) | instskip(SKIP_1) | instid1(VALU_DEP_4)
	v_lshlrev_b32_e32 v7, 16, v6
	v_and_b32_e32 v6, 0xffff0000, v6
	v_lshlrev_b32_e32 v8, 16, v3
	v_and_b32_e32 v3, 0xffff0000, v3
	v_pk_mul_bf16 v4, v4, v5
	s_delay_alu instid0(VALU_DEP_4) | instskip(SKIP_1) | instid1(VALU_DEP_1)
	v_dual_add_f32 v6, v6, v7 :: v_dual_lshlrev_b32 v5, 16, v2
	v_and_b32_e32 v2, 0xffff0000, v2
	v_dual_add_f32 v3, v3, v8 :: v_dual_add_f32 v2, v2, v5
	s_delay_alu instid0(VALU_DEP_1) | instskip(SKIP_1) | instid1(VALU_DEP_2)
	v_dual_lshlrev_b32 v7, 16, v4 :: v_dual_add_f32 v3, v3, v6
	v_and_b32_e32 v4, 0xffff0000, v4
	v_add_f32_e32 v2, v2, v3
	s_delay_alu instid0(VALU_DEP_2) | instskip(NEXT) | instid1(VALU_DEP_1)
	v_add_f32_e32 v3, v4, v7
	v_add_f32_e32 v2, v3, v2
	s_delay_alu instid0(VALU_DEP_1)
	v_add_f32_e32 v21, v21, v2
.LBB304_112:                            ;   in Loop: Header=BB304_113 Depth=1
	s_or_b32 exec_lo, exec_lo, s22
	v_dual_add_nc_u32 v24, 4, v24 :: v_dual_add_nc_u32 v10, 32, v10
	v_add_nc_u64_e32 v[16:17], 16, v[16:17]
	v_add_nc_u32_e32 v22, 0x80, v22
	s_delay_alu instid0(VALU_DEP_3) | instskip(SKIP_1) | instid1(SALU_CYCLE_1)
	v_cmp_le_i32_e32 vcc_lo, s12, v24
	s_or_b32 s19, vcc_lo, s19
	s_and_not1_b32 exec_lo, exec_lo, s19
	s_cbranch_execz .LBB304_180
.LBB304_113:                            ; =>This Inner Loop Header: Depth=1
	v_mov_b32_e32 v11, v13
	s_delay_alu instid0(VALU_DEP_1) | instskip(NEXT) | instid1(VALU_DEP_1)
	v_mul_u64_e32 v[2:3], s[20:21], v[10:11]
	v_mul_lo_u32 v2, v3, s16
	s_delay_alu instid0(VALU_DEP_1) | instskip(NEXT) | instid1(VALU_DEP_1)
	v_sub_nc_u32_e32 v2, v10, v2
	v_subrev_nc_u32_e32 v5, s16, v2
	v_cmp_le_u32_e32 vcc_lo, s16, v2
	s_delay_alu instid0(VALU_DEP_2) | instskip(NEXT) | instid1(VALU_DEP_1)
	v_dual_add_nc_u32 v4, 1, v3 :: v_dual_cndmask_b32 v2, v2, v5, vcc_lo
	v_cndmask_b32_e32 v3, v3, v4, vcc_lo
	s_delay_alu instid0(VALU_DEP_2) | instskip(NEXT) | instid1(VALU_DEP_2)
	v_cmp_le_u32_e32 vcc_lo, s16, v2
	v_add_nc_u32_e32 v4, 1, v3
	s_delay_alu instid0(VALU_DEP_1) | instskip(NEXT) | instid1(VALU_DEP_1)
	v_cndmask_b32_e32 v2, v3, v4, vcc_lo
	v_xor_b32_e32 v2, s15, v2
	s_delay_alu instid0(VALU_DEP_1) | instskip(NEXT) | instid1(VALU_DEP_1)
	v_subrev_nc_u32_e32 v4, s15, v2
	v_add_nc_u32_e32 v5, s35, v4
	v_cmp_lt_i32_e64 s0, s13, v4
	s_delay_alu instid0(VALU_DEP_2) | instskip(NEXT) | instid1(VALU_DEP_1)
	v_sub_nc_u32_e32 v2, 0, v5
	v_dual_ashrrev_i32 v5, 31, v5 :: v_dual_max_i32 v12, v5, v2
	s_delay_alu instid0(VALU_DEP_1) | instskip(NEXT) | instid1(VALU_DEP_1)
	v_mul_u64_e32 v[2:3], s[2:3], v[12:13]
	v_mul_lo_u32 v2, v3, s14
	s_delay_alu instid0(VALU_DEP_1) | instskip(NEXT) | instid1(VALU_DEP_1)
	v_sub_nc_u32_e32 v2, v12, v2
	v_subrev_nc_u32_e32 v3, s14, v2
	v_cmp_le_u32_e32 vcc_lo, s14, v2
	s_delay_alu instid0(VALU_DEP_2) | instskip(NEXT) | instid1(VALU_DEP_1)
	v_cndmask_b32_e32 v2, v2, v3, vcc_lo
	v_subrev_nc_u32_e32 v3, s14, v2
	v_cmp_le_u32_e32 vcc_lo, s14, v2
	s_delay_alu instid0(VALU_DEP_2) | instskip(NEXT) | instid1(VALU_DEP_1)
	v_cndmask_b32_e32 v2, v2, v3, vcc_lo
	v_xor_b32_e32 v2, v2, v5
	s_delay_alu instid0(VALU_DEP_1) | instskip(NEXT) | instid1(VALU_DEP_1)
	v_sub_nc_u32_e32 v2, v2, v5
	v_cmp_eq_u32_e32 vcc_lo, 0, v2
	s_or_b32 s0, vcc_lo, s0
	s_delay_alu instid0(SALU_CYCLE_1)
	s_and_saveexec_b32 s22, s0
	s_cbranch_execz .LBB304_112
; %bb.114:                              ;   in Loop: Header=BB304_113 Depth=1
	global_load_b32 v2, v[16:17], off
	s_mov_b32 s1, 0
	s_mov_b32 s0, exec_lo
	s_wait_loadcnt 0x0
	v_mad_nc_i64_i32 v[2:3], v2, s17, v[14:15]
	global_load_b64 v[18:19], v[2:3], off
	ds_load_2addr_b64 v[6:9], v22 offset1:1
	s_wait_xcnt 0x0
	ds_load_2addr_b64 v[2:5], v22 offset0:2 offset1:3
	s_load_b32 s23, s[10:11], 0x0
	s_wait_loadcnt 0x0
	v_and_b32_e32 v12, 0xff, v18
	s_delay_alu instid0(VALU_DEP_1)
	v_cmpx_lt_i16_e32 0x7f, v12
	s_xor_b32 s0, exec_lo, s0
	s_cbranch_execnz .LBB304_117
; %bb.115:                              ;   in Loop: Header=BB304_113 Depth=1
	s_or_saveexec_b32 s0, s0
	v_bfrev_b32_e32 v11, 1
	s_xor_b32 exec_lo, exec_lo, s0
	s_cbranch_execnz .LBB304_120
.LBB304_116:                            ;   in Loop: Header=BB304_113 Depth=1
	s_or_b32 exec_lo, exec_lo, s0
	s_and_saveexec_b32 s0, s1
	s_cbranch_execnz .LBB304_121
	s_branch .LBB304_124
.LBB304_117:                            ;   in Loop: Header=BB304_113 Depth=1
	s_mov_b32 s1, -1
	s_mov_b32 s24, exec_lo
	v_cmpx_eq_u16_e32 0x80, v12
; %bb.118:                              ;   in Loop: Header=BB304_113 Depth=1
	s_xor_b32 s1, exec_lo, -1
; %bb.119:                              ;   in Loop: Header=BB304_113 Depth=1
	s_or_b32 exec_lo, exec_lo, s24
	s_delay_alu instid0(SALU_CYCLE_1)
	s_and_b32 s1, s1, exec_lo
                                        ; implicit-def: $vgpr12
	s_or_saveexec_b32 s0, s0
	v_bfrev_b32_e32 v11, 1
	s_xor_b32 exec_lo, exec_lo, s0
	s_cbranch_execz .LBB304_116
.LBB304_120:                            ;   in Loop: Header=BB304_113 Depth=1
	v_cmp_ne_u16_e32 vcc_lo, 0, v12
	v_mov_b32_e32 v11, 0
	s_and_not1_b32 s1, s1, exec_lo
	s_and_b32 s24, vcc_lo, exec_lo
	s_delay_alu instid0(SALU_CYCLE_1)
	s_or_b32 s1, s1, s24
	s_or_b32 exec_lo, exec_lo, s0
	s_and_saveexec_b32 s0, s1
	s_cbranch_execz .LBB304_124
.LBB304_121:                            ;   in Loop: Header=BB304_113 Depth=1
	v_and_b32_e32 v12, 0x7f, v18
	v_mov_b32_e32 v11, 0x7f800001
	s_mov_b32 s1, exec_lo
	s_delay_alu instid0(VALU_DEP_2)
	v_cmpx_ne_u32_e32 0x7f, v12
	s_cbranch_execz .LBB304_123
; %bb.122:                              ;   in Loop: Header=BB304_113 Depth=1
	v_dual_lshrrev_b32 v25, 3, v12 :: v_dual_bitop2_b32 v11, 7, v18 bitop3:0x40
	v_cmp_gt_u32_e32 vcc_lo, 8, v12
	s_delay_alu instid0(VALU_DEP_2) | instskip(NEXT) | instid1(VALU_DEP_1)
	v_clz_i32_u32_e32 v11, v11
	v_min_u32_e32 v11, 32, v11
	s_delay_alu instid0(VALU_DEP_1) | instskip(NEXT) | instid1(VALU_DEP_1)
	v_subrev_nc_u32_e32 v26, 28, v11
	v_dual_cndmask_b32 v12, 0, v26 :: v_dual_sub_nc_u32 v11, 29, v11
	s_delay_alu instid0(VALU_DEP_1) | instskip(NEXT) | instid1(VALU_DEP_2)
	v_cndmask_b32_e32 v11, v25, v11, vcc_lo
	v_lshlrev_b64_e32 v[26:27], v12, v[18:19]
	v_lshlrev_b32_e32 v12, 24, v18
	s_delay_alu instid0(VALU_DEP_3) | instskip(NEXT) | instid1(VALU_DEP_2)
	v_lshl_add_u32 v11, v11, 23, 0x3c000000
	v_and_b32_e32 v12, 0x80000000, v12
	s_delay_alu instid0(VALU_DEP_4) | instskip(NEXT) | instid1(VALU_DEP_1)
	v_lshlrev_b32_e32 v25, 20, v26
	v_and_b32_e32 v25, 0x700000, v25
	s_delay_alu instid0(VALU_DEP_1)
	v_or3_b32 v11, v25, v12, v11
.LBB304_123:                            ;   in Loop: Header=BB304_113 Depth=1
	s_or_b32 exec_lo, exec_lo, s1
.LBB304_124:                            ;   in Loop: Header=BB304_113 Depth=1
	s_delay_alu instid0(SALU_CYCLE_1) | instskip(SKIP_3) | instid1(VALU_DEP_1)
	s_or_b32 exec_lo, exec_lo, s0
	v_lshrrev_b16 v26, 8, v18
	s_mov_b32 s1, 0
	s_mov_b32 s0, exec_lo
	v_cmpx_lt_i16_e32 0x7f, v26
	s_xor_b32 s0, exec_lo, s0
	s_cbranch_execnz .LBB304_127
; %bb.125:                              ;   in Loop: Header=BB304_113 Depth=1
	s_or_saveexec_b32 s0, s0
	v_bfrev_b32_e32 v25, 1
	s_xor_b32 exec_lo, exec_lo, s0
	s_cbranch_execnz .LBB304_130
.LBB304_126:                            ;   in Loop: Header=BB304_113 Depth=1
	s_or_b32 exec_lo, exec_lo, s0
	s_and_saveexec_b32 s0, s1
	s_cbranch_execnz .LBB304_131
	s_branch .LBB304_134
.LBB304_127:                            ;   in Loop: Header=BB304_113 Depth=1
	s_mov_b32 s1, -1
	s_mov_b32 s24, exec_lo
	v_cmpx_eq_u16_e32 0x80, v26
; %bb.128:                              ;   in Loop: Header=BB304_113 Depth=1
	s_xor_b32 s1, exec_lo, -1
; %bb.129:                              ;   in Loop: Header=BB304_113 Depth=1
	s_or_b32 exec_lo, exec_lo, s24
	s_delay_alu instid0(SALU_CYCLE_1)
	s_and_b32 s1, s1, exec_lo
	s_or_saveexec_b32 s0, s0
	v_bfrev_b32_e32 v25, 1
	s_xor_b32 exec_lo, exec_lo, s0
	s_cbranch_execz .LBB304_126
.LBB304_130:                            ;   in Loop: Header=BB304_113 Depth=1
	v_cmp_ne_u16_e32 vcc_lo, 0, v26
	v_mov_b32_e32 v25, 0
	s_and_not1_b32 s1, s1, exec_lo
	s_and_b32 s24, vcc_lo, exec_lo
	s_delay_alu instid0(SALU_CYCLE_1)
	s_or_b32 s1, s1, s24
	s_or_b32 exec_lo, exec_lo, s0
	s_and_saveexec_b32 s0, s1
	s_cbranch_execz .LBB304_134
.LBB304_131:                            ;   in Loop: Header=BB304_113 Depth=1
	v_and_b32_e32 v12, 0xffff, v26
	v_mov_b32_e32 v25, 0x7f800001
	s_mov_b32 s1, exec_lo
	s_delay_alu instid0(VALU_DEP_2) | instskip(NEXT) | instid1(VALU_DEP_1)
	v_and_b32_e32 v27, 0x7f, v12
	v_cmpx_ne_u32_e32 0x7f, v27
	s_cbranch_execz .LBB304_133
; %bb.132:                              ;   in Loop: Header=BB304_113 Depth=1
	v_and_b32_e32 v25, 7, v12
	v_cmp_gt_u32_e32 vcc_lo, 8, v27
	s_delay_alu instid0(VALU_DEP_2) | instskip(NEXT) | instid1(VALU_DEP_1)
	v_clz_i32_u32_e32 v28, v25
	v_min_u32_e32 v30, 32, v28
	s_delay_alu instid0(VALU_DEP_1) | instskip(NEXT) | instid1(VALU_DEP_1)
	v_subrev_nc_u32_e32 v28, 28, v30
	v_lshlrev_b64_e32 v[28:29], v28, v[12:13]
	v_dual_lshrrev_b32 v12, 3, v27 :: v_dual_sub_nc_u32 v29, 29, v30
	s_delay_alu instid0(VALU_DEP_2) | instskip(NEXT) | instid1(VALU_DEP_1)
	v_dual_lshlrev_b32 v26, 24, v26 :: v_dual_bitop2_b32 v27, 7, v28 bitop3:0x40
	v_dual_cndmask_b32 v12, v12, v29 :: v_dual_cndmask_b32 v25, v25, v27
	s_delay_alu instid0(VALU_DEP_2) | instskip(NEXT) | instid1(VALU_DEP_2)
	v_and_b32_e32 v26, 0x80000000, v26
	v_lshl_add_u32 v12, v12, 23, 0x3c000000
	s_delay_alu instid0(VALU_DEP_3) | instskip(NEXT) | instid1(VALU_DEP_1)
	v_lshlrev_b32_e32 v25, 20, v25
	v_or3_b32 v25, v25, v26, v12
.LBB304_133:                            ;   in Loop: Header=BB304_113 Depth=1
	s_or_b32 exec_lo, exec_lo, s1
.LBB304_134:                            ;   in Loop: Header=BB304_113 Depth=1
	s_delay_alu instid0(SALU_CYCLE_1) | instskip(SKIP_3) | instid1(VALU_DEP_1)
	s_or_b32 exec_lo, exec_lo, s0
	v_lshrrev_b32_e32 v12, 16, v18
	s_mov_b32 s1, 0
	s_mov_b32 s0, exec_lo
	v_and_b32_e32 v27, 0xff, v12
	s_delay_alu instid0(VALU_DEP_1)
	v_cmpx_lt_i16_e32 0x7f, v27
	s_xor_b32 s0, exec_lo, s0
	s_cbranch_execnz .LBB304_137
; %bb.135:                              ;   in Loop: Header=BB304_113 Depth=1
	s_or_saveexec_b32 s0, s0
	v_bfrev_b32_e32 v26, 1
	s_xor_b32 exec_lo, exec_lo, s0
	s_cbranch_execnz .LBB304_140
.LBB304_136:                            ;   in Loop: Header=BB304_113 Depth=1
	s_or_b32 exec_lo, exec_lo, s0
	s_and_saveexec_b32 s0, s1
	s_cbranch_execnz .LBB304_141
	s_branch .LBB304_144
.LBB304_137:                            ;   in Loop: Header=BB304_113 Depth=1
	s_mov_b32 s1, -1
	s_mov_b32 s24, exec_lo
	v_cmpx_eq_u16_e32 0x80, v27
; %bb.138:                              ;   in Loop: Header=BB304_113 Depth=1
	s_xor_b32 s1, exec_lo, -1
; %bb.139:                              ;   in Loop: Header=BB304_113 Depth=1
	s_or_b32 exec_lo, exec_lo, s24
	s_delay_alu instid0(SALU_CYCLE_1)
	s_and_b32 s1, s1, exec_lo
                                        ; implicit-def: $vgpr27
	s_or_saveexec_b32 s0, s0
	v_bfrev_b32_e32 v26, 1
	s_xor_b32 exec_lo, exec_lo, s0
	s_cbranch_execz .LBB304_136
.LBB304_140:                            ;   in Loop: Header=BB304_113 Depth=1
	v_cmp_ne_u16_e32 vcc_lo, 0, v27
	v_mov_b32_e32 v26, 0
	s_and_not1_b32 s1, s1, exec_lo
	s_and_b32 s24, vcc_lo, exec_lo
	s_delay_alu instid0(SALU_CYCLE_1)
	s_or_b32 s1, s1, s24
	s_or_b32 exec_lo, exec_lo, s0
	s_and_saveexec_b32 s0, s1
	s_cbranch_execz .LBB304_144
.LBB304_141:                            ;   in Loop: Header=BB304_113 Depth=1
	v_and_b32_e32 v27, 0x7f, v12
	v_mov_b32_e32 v26, 0x7f800001
	s_mov_b32 s1, exec_lo
	s_delay_alu instid0(VALU_DEP_2)
	v_cmpx_ne_u32_e32 0x7f, v27
	s_cbranch_execz .LBB304_143
; %bb.142:                              ;   in Loop: Header=BB304_113 Depth=1
	v_and_b32_e32 v26, 7, v12
	v_cmp_gt_u32_e32 vcc_lo, 8, v27
	s_delay_alu instid0(VALU_DEP_2) | instskip(NEXT) | instid1(VALU_DEP_1)
	v_clz_i32_u32_e32 v28, v26
	v_min_u32_e32 v30, 32, v28
	s_delay_alu instid0(VALU_DEP_1) | instskip(NEXT) | instid1(VALU_DEP_1)
	v_subrev_nc_u32_e32 v28, 28, v30
	v_lshlrev_b64_e32 v[28:29], v28, v[12:13]
	v_dual_lshrrev_b32 v29, 3, v27 :: v_dual_sub_nc_u32 v30, 29, v30
	v_lshlrev_b32_e32 v12, 24, v12
	s_delay_alu instid0(VALU_DEP_2) | instskip(NEXT) | instid1(VALU_DEP_2)
	v_dual_cndmask_b32 v28, v29, v30, vcc_lo :: v_dual_bitop2_b32 v27, 7, v28 bitop3:0x40
	v_and_b32_e32 v12, 0x80000000, v12
	s_delay_alu instid0(VALU_DEP_2) | instskip(NEXT) | instid1(VALU_DEP_3)
	v_cndmask_b32_e32 v26, v26, v27, vcc_lo
	v_lshl_add_u32 v27, v28, 23, 0x3c000000
	s_delay_alu instid0(VALU_DEP_2) | instskip(NEXT) | instid1(VALU_DEP_1)
	v_lshlrev_b32_e32 v26, 20, v26
	v_or3_b32 v26, v26, v12, v27
.LBB304_143:                            ;   in Loop: Header=BB304_113 Depth=1
	s_or_b32 exec_lo, exec_lo, s1
.LBB304_144:                            ;   in Loop: Header=BB304_113 Depth=1
	s_delay_alu instid0(SALU_CYCLE_1) | instskip(SKIP_3) | instid1(VALU_DEP_3)
	s_or_b32 exec_lo, exec_lo, s0
	v_lshrrev_b32_e32 v12, 24, v18
	v_bfe_u32 v28, v18, 24, 7
	v_cmp_gt_u32_e64 s1, 0x1000000, v18
	v_cmp_eq_u32_e32 vcc_lo, 0x80, v12
	s_delay_alu instid0(VALU_DEP_3) | instskip(SKIP_2) | instid1(VALU_DEP_1)
	v_cmp_eq_u32_e64 s0, 0x7f, v28
	v_cndmask_b32_e32 v27, 0x7f800001, v23, vcc_lo
	s_or_b32 s0, vcc_lo, s0
	v_cndmask_b32_e64 v27, v27, 0, s1
	s_nor_b32 s1, s1, s0
	s_delay_alu instid0(SALU_CYCLE_1)
	s_and_saveexec_b32 s0, s1
	s_cbranch_execz .LBB304_146
; %bb.145:                              ;   in Loop: Header=BB304_113 Depth=1
	v_and_b32_e32 v27, 7, v12
	v_cmp_gt_u32_e32 vcc_lo, 8, v28
	s_delay_alu instid0(VALU_DEP_2) | instskip(NEXT) | instid1(VALU_DEP_1)
	v_clz_i32_u32_e32 v29, v27
	v_min_u32_e32 v29, 32, v29
	s_delay_alu instid0(VALU_DEP_1) | instskip(SKIP_1) | instid1(VALU_DEP_2)
	v_subrev_nc_u32_e32 v30, 28, v29
	v_sub_nc_u32_e32 v29, 29, v29
	v_lshlrev_b64_e32 v[30:31], v30, v[12:13]
	s_delay_alu instid0(VALU_DEP_1) | instskip(NEXT) | instid1(VALU_DEP_1)
	v_dual_lshrrev_b32 v31, 3, v28 :: v_dual_bitop2_b32 v28, 7, v30 bitop3:0x40
	v_dual_cndmask_b32 v29, v31, v29 :: v_dual_lshlrev_b32 v12, 24, v12
	s_delay_alu instid0(VALU_DEP_2) | instskip(NEXT) | instid1(VALU_DEP_2)
	v_cndmask_b32_e32 v27, v27, v28, vcc_lo
	v_and_b32_e32 v12, 0x80000000, v12
	s_delay_alu instid0(VALU_DEP_3) | instskip(NEXT) | instid1(VALU_DEP_3)
	v_lshl_add_u32 v28, v29, 23, 0x3c000000
	v_lshlrev_b32_e32 v27, 20, v27
	s_delay_alu instid0(VALU_DEP_1)
	v_or3_b32 v27, v27, v12, v28
.LBB304_146:                            ;   in Loop: Header=BB304_113 Depth=1
	s_or_b32 exec_lo, exec_lo, s0
	v_and_b32_e32 v29, 0xff, v19
	v_mov_b32_e32 v12, v19
	s_mov_b32 s1, 0
	s_mov_b32 s0, exec_lo
	s_delay_alu instid0(VALU_DEP_2)
	v_cmpx_lt_i16_e32 0x7f, v29
	s_xor_b32 s0, exec_lo, s0
	s_cbranch_execnz .LBB304_149
; %bb.147:                              ;   in Loop: Header=BB304_113 Depth=1
	s_or_saveexec_b32 s0, s0
	v_bfrev_b32_e32 v28, 1
	s_xor_b32 exec_lo, exec_lo, s0
	s_cbranch_execnz .LBB304_152
.LBB304_148:                            ;   in Loop: Header=BB304_113 Depth=1
	s_or_b32 exec_lo, exec_lo, s0
	s_and_saveexec_b32 s0, s1
	s_cbranch_execnz .LBB304_153
	s_branch .LBB304_156
.LBB304_149:                            ;   in Loop: Header=BB304_113 Depth=1
	s_mov_b32 s1, -1
	s_mov_b32 s24, exec_lo
	v_cmpx_eq_u16_e32 0x80, v29
; %bb.150:                              ;   in Loop: Header=BB304_113 Depth=1
	s_xor_b32 s1, exec_lo, -1
; %bb.151:                              ;   in Loop: Header=BB304_113 Depth=1
	s_or_b32 exec_lo, exec_lo, s24
	s_delay_alu instid0(SALU_CYCLE_1)
	s_and_b32 s1, s1, exec_lo
                                        ; implicit-def: $vgpr29
	s_or_saveexec_b32 s0, s0
	v_bfrev_b32_e32 v28, 1
	s_xor_b32 exec_lo, exec_lo, s0
	s_cbranch_execz .LBB304_148
.LBB304_152:                            ;   in Loop: Header=BB304_113 Depth=1
	v_cmp_ne_u16_e32 vcc_lo, 0, v29
	v_mov_b32_e32 v28, 0
	s_and_not1_b32 s1, s1, exec_lo
	s_and_b32 s24, vcc_lo, exec_lo
	s_delay_alu instid0(SALU_CYCLE_1)
	s_or_b32 s1, s1, s24
	s_or_b32 exec_lo, exec_lo, s0
	s_and_saveexec_b32 s0, s1
	s_cbranch_execz .LBB304_156
.LBB304_153:                            ;   in Loop: Header=BB304_113 Depth=1
	v_and_b32_e32 v29, 0x7f, v19
	v_mov_b32_e32 v28, 0x7f800001
	s_mov_b32 s1, exec_lo
	s_delay_alu instid0(VALU_DEP_2)
	v_cmpx_ne_u32_e32 0x7f, v29
	s_cbranch_execz .LBB304_155
; %bb.154:                              ;   in Loop: Header=BB304_113 Depth=1
	v_dual_lshrrev_b32 v30, 3, v29 :: v_dual_bitop2_b32 v28, 7, v19 bitop3:0x40
	v_cmp_gt_u32_e32 vcc_lo, 8, v29
	s_delay_alu instid0(VALU_DEP_2) | instskip(NEXT) | instid1(VALU_DEP_1)
	v_clz_i32_u32_e32 v28, v28
	v_min_u32_e32 v28, 32, v28
	s_delay_alu instid0(VALU_DEP_1) | instskip(SKIP_1) | instid1(VALU_DEP_1)
	v_subrev_nc_u32_e32 v31, 28, v28
	v_sub_nc_u32_e32 v28, 29, v28
	v_dual_cndmask_b32 v30, v30, v28, vcc_lo :: v_dual_cndmask_b32 v28, 0, v31, vcc_lo
	s_delay_alu instid0(VALU_DEP_1) | instskip(NEXT) | instid1(VALU_DEP_2)
	v_lshl_add_u32 v30, v30, 23, 0x3c000000
	v_lshlrev_b64_e32 v[28:29], v28, v[12:13]
	v_lshlrev_b32_e32 v29, 24, v12
	s_delay_alu instid0(VALU_DEP_1) | instskip(NEXT) | instid1(VALU_DEP_3)
	v_and_b32_e32 v29, 0x80000000, v29
	v_lshlrev_b32_e32 v28, 20, v28
	s_delay_alu instid0(VALU_DEP_1) | instskip(NEXT) | instid1(VALU_DEP_1)
	v_and_b32_e32 v28, 0x700000, v28
	v_or3_b32 v28, v28, v29, v30
.LBB304_155:                            ;   in Loop: Header=BB304_113 Depth=1
	s_or_b32 exec_lo, exec_lo, s1
.LBB304_156:                            ;   in Loop: Header=BB304_113 Depth=1
	s_delay_alu instid0(SALU_CYCLE_1) | instskip(SKIP_3) | instid1(VALU_DEP_1)
	s_or_b32 exec_lo, exec_lo, s0
	v_lshrrev_b16 v30, 8, v12
	s_mov_b32 s1, 0
	s_mov_b32 s0, exec_lo
	v_cmpx_lt_i16_e32 0x7f, v30
	s_xor_b32 s0, exec_lo, s0
	s_cbranch_execnz .LBB304_159
; %bb.157:                              ;   in Loop: Header=BB304_113 Depth=1
	s_or_saveexec_b32 s0, s0
	v_bfrev_b32_e32 v29, 1
	s_xor_b32 exec_lo, exec_lo, s0
	s_cbranch_execnz .LBB304_162
.LBB304_158:                            ;   in Loop: Header=BB304_113 Depth=1
	s_or_b32 exec_lo, exec_lo, s0
	s_and_saveexec_b32 s0, s1
	s_cbranch_execnz .LBB304_163
	s_branch .LBB304_166
.LBB304_159:                            ;   in Loop: Header=BB304_113 Depth=1
	s_mov_b32 s1, -1
	s_mov_b32 s24, exec_lo
	v_cmpx_eq_u16_e32 0x80, v30
; %bb.160:                              ;   in Loop: Header=BB304_113 Depth=1
	s_xor_b32 s1, exec_lo, -1
; %bb.161:                              ;   in Loop: Header=BB304_113 Depth=1
	s_or_b32 exec_lo, exec_lo, s24
	s_delay_alu instid0(SALU_CYCLE_1)
	s_and_b32 s1, s1, exec_lo
	s_or_saveexec_b32 s0, s0
	v_bfrev_b32_e32 v29, 1
	s_xor_b32 exec_lo, exec_lo, s0
	s_cbranch_execz .LBB304_158
.LBB304_162:                            ;   in Loop: Header=BB304_113 Depth=1
	v_cmp_ne_u16_e32 vcc_lo, 0, v30
	v_mov_b32_e32 v29, 0
	s_and_not1_b32 s1, s1, exec_lo
	s_and_b32 s24, vcc_lo, exec_lo
	s_delay_alu instid0(SALU_CYCLE_1)
	s_or_b32 s1, s1, s24
	s_or_b32 exec_lo, exec_lo, s0
	s_and_saveexec_b32 s0, s1
	s_cbranch_execz .LBB304_166
.LBB304_163:                            ;   in Loop: Header=BB304_113 Depth=1
	v_and_b32_e32 v12, 0xffff, v30
	v_mov_b32_e32 v29, 0x7f800001
	s_mov_b32 s1, exec_lo
	s_delay_alu instid0(VALU_DEP_2) | instskip(NEXT) | instid1(VALU_DEP_1)
	v_and_b32_e32 v31, 0x7f, v12
	v_cmpx_ne_u32_e32 0x7f, v31
	s_cbranch_execz .LBB304_165
; %bb.164:                              ;   in Loop: Header=BB304_113 Depth=1
	v_and_b32_e32 v29, 7, v12
	v_cmp_gt_u32_e32 vcc_lo, 8, v31
	s_delay_alu instid0(VALU_DEP_2) | instskip(NEXT) | instid1(VALU_DEP_1)
	v_clz_i32_u32_e32 v32, v29
	v_min_u32_e32 v34, 32, v32
	s_delay_alu instid0(VALU_DEP_1) | instskip(NEXT) | instid1(VALU_DEP_1)
	v_subrev_nc_u32_e32 v32, 28, v34
	v_lshlrev_b64_e32 v[32:33], v32, v[12:13]
	v_dual_lshrrev_b32 v12, 3, v31 :: v_dual_sub_nc_u32 v33, 29, v34
	s_delay_alu instid0(VALU_DEP_2) | instskip(NEXT) | instid1(VALU_DEP_1)
	v_dual_lshlrev_b32 v30, 24, v30 :: v_dual_bitop2_b32 v31, 7, v32 bitop3:0x40
	v_dual_cndmask_b32 v12, v12, v33 :: v_dual_cndmask_b32 v29, v29, v31
	s_delay_alu instid0(VALU_DEP_2) | instskip(NEXT) | instid1(VALU_DEP_2)
	v_and_b32_e32 v30, 0x80000000, v30
	v_lshl_add_u32 v12, v12, 23, 0x3c000000
	s_delay_alu instid0(VALU_DEP_3) | instskip(NEXT) | instid1(VALU_DEP_1)
	v_lshlrev_b32_e32 v29, 20, v29
	v_or3_b32 v29, v29, v30, v12
.LBB304_165:                            ;   in Loop: Header=BB304_113 Depth=1
	s_or_b32 exec_lo, exec_lo, s1
.LBB304_166:                            ;   in Loop: Header=BB304_113 Depth=1
	s_delay_alu instid0(SALU_CYCLE_1) | instskip(SKIP_3) | instid1(VALU_DEP_1)
	s_or_b32 exec_lo, exec_lo, s0
	v_lshrrev_b32_e32 v12, 16, v19
	s_mov_b32 s1, 0
	s_mov_b32 s0, exec_lo
	v_and_b32_e32 v31, 0xff, v12
	s_delay_alu instid0(VALU_DEP_1)
	v_cmpx_lt_i16_e32 0x7f, v31
	s_xor_b32 s0, exec_lo, s0
	s_cbranch_execnz .LBB304_169
; %bb.167:                              ;   in Loop: Header=BB304_113 Depth=1
	s_or_saveexec_b32 s0, s0
	v_bfrev_b32_e32 v30, 1
	s_xor_b32 exec_lo, exec_lo, s0
	s_cbranch_execnz .LBB304_172
.LBB304_168:                            ;   in Loop: Header=BB304_113 Depth=1
	s_or_b32 exec_lo, exec_lo, s0
	s_and_saveexec_b32 s0, s1
	s_cbranch_execnz .LBB304_173
	s_branch .LBB304_176
.LBB304_169:                            ;   in Loop: Header=BB304_113 Depth=1
	s_mov_b32 s1, -1
	s_mov_b32 s24, exec_lo
	v_cmpx_eq_u16_e32 0x80, v31
; %bb.170:                              ;   in Loop: Header=BB304_113 Depth=1
	s_xor_b32 s1, exec_lo, -1
; %bb.171:                              ;   in Loop: Header=BB304_113 Depth=1
	s_or_b32 exec_lo, exec_lo, s24
	s_delay_alu instid0(SALU_CYCLE_1)
	s_and_b32 s1, s1, exec_lo
                                        ; implicit-def: $vgpr31
	s_or_saveexec_b32 s0, s0
	v_bfrev_b32_e32 v30, 1
	s_xor_b32 exec_lo, exec_lo, s0
	s_cbranch_execz .LBB304_168
.LBB304_172:                            ;   in Loop: Header=BB304_113 Depth=1
	v_cmp_ne_u16_e32 vcc_lo, 0, v31
	v_mov_b32_e32 v30, 0
	s_and_not1_b32 s1, s1, exec_lo
	s_and_b32 s24, vcc_lo, exec_lo
	s_delay_alu instid0(SALU_CYCLE_1)
	s_or_b32 s1, s1, s24
	s_or_b32 exec_lo, exec_lo, s0
	s_and_saveexec_b32 s0, s1
	s_cbranch_execz .LBB304_176
.LBB304_173:                            ;   in Loop: Header=BB304_113 Depth=1
	v_and_b32_e32 v31, 0x7f, v12
	v_mov_b32_e32 v30, 0x7f800001
	s_mov_b32 s1, exec_lo
	s_delay_alu instid0(VALU_DEP_2)
	v_cmpx_ne_u32_e32 0x7f, v31
	s_cbranch_execz .LBB304_175
; %bb.174:                              ;   in Loop: Header=BB304_113 Depth=1
	v_and_b32_e32 v30, 7, v12
	v_cmp_gt_u32_e32 vcc_lo, 8, v31
	s_delay_alu instid0(VALU_DEP_2) | instskip(NEXT) | instid1(VALU_DEP_1)
	v_clz_i32_u32_e32 v32, v30
	v_min_u32_e32 v34, 32, v32
	s_delay_alu instid0(VALU_DEP_1) | instskip(NEXT) | instid1(VALU_DEP_1)
	v_subrev_nc_u32_e32 v32, 28, v34
	v_lshlrev_b64_e32 v[32:33], v32, v[12:13]
	v_dual_lshrrev_b32 v33, 3, v31 :: v_dual_sub_nc_u32 v34, 29, v34
	v_lshlrev_b32_e32 v12, 24, v12
	s_delay_alu instid0(VALU_DEP_2) | instskip(NEXT) | instid1(VALU_DEP_2)
	v_dual_cndmask_b32 v32, v33, v34, vcc_lo :: v_dual_bitop2_b32 v31, 7, v32 bitop3:0x40
	v_and_b32_e32 v12, 0x80000000, v12
	s_delay_alu instid0(VALU_DEP_2) | instskip(NEXT) | instid1(VALU_DEP_3)
	v_cndmask_b32_e32 v30, v30, v31, vcc_lo
	v_lshl_add_u32 v31, v32, 23, 0x3c000000
	s_delay_alu instid0(VALU_DEP_2) | instskip(NEXT) | instid1(VALU_DEP_1)
	v_lshlrev_b32_e32 v30, 20, v30
	v_or3_b32 v30, v30, v12, v31
.LBB304_175:                            ;   in Loop: Header=BB304_113 Depth=1
	s_or_b32 exec_lo, exec_lo, s1
.LBB304_176:                            ;   in Loop: Header=BB304_113 Depth=1
	s_delay_alu instid0(SALU_CYCLE_1) | instskip(SKIP_3) | instid1(VALU_DEP_3)
	s_or_b32 exec_lo, exec_lo, s0
	v_lshrrev_b32_e32 v12, 24, v19
	v_bfe_u32 v31, v19, 24, 7
	v_cmp_gt_u64_e64 s1, s[8:9], v[18:19]
	v_cmp_eq_u32_e64 s0, 0x80, v12
	s_delay_alu instid0(VALU_DEP_3) | instskip(NEXT) | instid1(VALU_DEP_2)
	v_cmp_eq_u32_e32 vcc_lo, 0x7f, v31
	v_cndmask_b32_e64 v32, 0x7f800001, v23, s0
	s_or_b32 s0, s0, vcc_lo
	s_delay_alu instid0(VALU_DEP_1) | instskip(SKIP_1) | instid1(SALU_CYCLE_1)
	v_cndmask_b32_e64 v19, v32, 0, s1
	s_nor_b32 s1, s1, s0
	s_and_saveexec_b32 s0, s1
	s_cbranch_execz .LBB304_178
; %bb.177:                              ;   in Loop: Header=BB304_113 Depth=1
	v_and_b32_e32 v32, 7, v12
	v_cmp_gt_u32_e32 vcc_lo, 8, v31
	s_delay_alu instid0(VALU_DEP_2) | instskip(NEXT) | instid1(VALU_DEP_1)
	v_clz_i32_u32_e32 v18, v32
	v_min_u32_e32 v33, 32, v18
	s_delay_alu instid0(VALU_DEP_1) | instskip(NEXT) | instid1(VALU_DEP_1)
	v_subrev_nc_u32_e32 v18, 28, v33
	v_lshlrev_b64_e32 v[18:19], v18, v[12:13]
	v_dual_lshrrev_b32 v19, 3, v31 :: v_dual_sub_nc_u32 v33, 29, v33
	s_delay_alu instid0(VALU_DEP_2) | instskip(NEXT) | instid1(VALU_DEP_1)
	v_dual_lshlrev_b32 v12, 24, v12 :: v_dual_bitop2_b32 v18, 7, v18 bitop3:0x40
	v_dual_cndmask_b32 v19, v19, v33 :: v_dual_cndmask_b32 v18, v32, v18
	s_delay_alu instid0(VALU_DEP_2) | instskip(NEXT) | instid1(VALU_DEP_2)
	v_and_b32_e32 v12, 0x80000000, v12
	v_lshl_add_u32 v19, v19, 23, 0x3c000000
	s_delay_alu instid0(VALU_DEP_3) | instskip(NEXT) | instid1(VALU_DEP_1)
	v_lshlrev_b32_e32 v18, 20, v18
	v_or3_b32 v19, v18, v12, v19
.LBB304_178:                            ;   in Loop: Header=BB304_113 Depth=1
	s_or_b32 exec_lo, exec_lo, s0
	s_wait_kmcnt 0x0
	v_fma_mixlo_bf16 v12, s23, v29, 0
	v_fma_mixlo_bf16 v18, s23, v28, 0
	;; [unrolled: 1-line block ×8, first 2 shown]
	s_mov_b32 s0, exec_lo
	v_cmpx_eq_u32_e64 s18, v24
	s_cbranch_execz .LBB304_111
; %bb.179:                              ;   in Loop: Header=BB304_113 Depth=1
	v_dual_add_nc_u32 v29, 1, v10 :: v_dual_add_nc_u32 v30, 2, v10
	v_cmp_gt_i32_e32 vcc_lo, s34, v10
	v_dual_cndmask_b32 v28, 0, v28 :: v_dual_add_nc_u32 v31, 3, v10
	s_delay_alu instid0(VALU_DEP_3)
	v_cmp_gt_i32_e32 vcc_lo, s34, v29
	v_cndmask_b32_e32 v25, 0, v25, vcc_lo
	v_cmp_gt_i32_e32 vcc_lo, s34, v30
	v_add_nc_u32_e32 v30, 5, v10
	v_cndmask_b32_e32 v26, 0, v26, vcc_lo
	v_cmp_gt_i32_e32 vcc_lo, s34, v31
	v_dual_add_nc_u32 v29, 4, v10 :: v_dual_add_nc_u32 v31, 6, v10
	v_cndmask_b32_e32 v27, 0, v27, vcc_lo
	s_delay_alu instid0(VALU_DEP_2)
	v_cmp_gt_i32_e32 vcc_lo, s34, v29
	v_cndmask_b32_e32 v18, 0, v18, vcc_lo
	v_cmp_gt_i32_e32 vcc_lo, s34, v30
	v_cndmask_b32_e32 v12, 0, v12, vcc_lo
	v_cmp_gt_i32_e32 vcc_lo, s34, v31
	v_dual_add_nc_u32 v29, 7, v10 :: v_dual_cndmask_b32 v11, 0, v11, vcc_lo
	s_delay_alu instid0(VALU_DEP_1)
	v_cmp_gt_i32_e32 vcc_lo, s34, v29
	v_cndmask_b32_e32 v19, 0, v19, vcc_lo
	s_branch .LBB304_111
.LBB304_180:
	s_or_b32 exec_lo, exec_lo, s19
.LBB304_181:
	s_delay_alu instid0(SALU_CYCLE_1)
	s_or_b32 exec_lo, exec_lo, s28
	v_and_b32_e32 v3, 0x3c0, v0
	v_lshl_add_u32 v2, v20, 2, 0x60
	s_mov_b32 s0, exec_lo
	s_barrier_signal -1
	s_barrier_wait -1
	v_cmpx_eq_u32_e32 64, v3
; %bb.182:
	v_lshlrev_b32_e32 v1, 7, v1
	s_delay_alu instid0(VALU_DEP_1)
	v_add3_u32 v1, v2, v1, 0xffffff00
	ds_store_b32 v1, v21
; %bb.183:
	s_or_b32 exec_lo, exec_lo, s0
	v_and_b32_e32 v3, 0x3e0, v0
	s_mov_b32 s0, exec_lo
	s_wait_dscnt 0x0
	s_barrier_signal -1
	s_barrier_wait -1
	v_lshl_add_u32 v1, v3, 2, v2
	v_cmpx_gt_u32_e32 64, v0
	s_cbranch_execz .LBB304_185
; %bb.184:
	ds_load_b32 v4, v1
	s_wait_dscnt 0x0
	v_add_f32_e32 v21, v21, v4
.LBB304_185:
	s_or_b32 exec_lo, exec_lo, s0
	s_delay_alu instid0(SALU_CYCLE_1)
	s_mov_b32 s0, exec_lo
	s_barrier_signal -1
	s_barrier_wait -1
	v_cmpx_eq_u32_e32 32, v3
; %bb.186:
	ds_store_b32 v2, v21
; %bb.187:
	s_or_b32 exec_lo, exec_lo, s0
	v_cmp_gt_u32_e32 vcc_lo, 32, v0
	s_wait_dscnt 0x0
	s_barrier_signal -1
	s_barrier_wait -1
	s_and_saveexec_b32 s0, vcc_lo
	s_cbranch_execz .LBB304_189
; %bb.188:
	ds_load_b32 v0, v1
	s_wait_dscnt 0x0
	v_add_f32_e32 v21, v21, v0
.LBB304_189:
	s_or_b32 exec_lo, exec_lo, s0
	s_barrier_signal -1
	s_barrier_wait -1
	s_and_saveexec_b32 s0, vcc_lo
	s_cbranch_execz .LBB304_191
; %bb.190:
	s_mul_i32 s1, s33, s7
	s_mul_i32 s0, s7, s6
	;; [unrolled: 1-line block ×3, first 2 shown]
	s_bfe_u32 s7, ttmp6, 0x40014
	s_lshl_b32 s2, s1, 5
	s_lshr_b32 s6, ttmp7, 16
	s_ashr_i32 s3, s2, 31
	s_add_co_i32 s7, s7, 1
	s_lshl_b64 s[2:3], s[2:3], 1
	s_ashr_i32 s1, s0, 31
	s_wait_kmcnt 0x0
	s_add_nc_u64 s[2:3], s[4:5], s[2:3]
	s_mul_i32 s4, s6, s7
	s_bfe_u32 s5, ttmp6, 0x40008
	s_lshl_b64 s[0:1], s[0:1], 1
	s_add_co_i32 s5, s5, s4
	s_cmp_eq_u32 s30, 0
	s_add_nc_u64 s[0:1], s[2:3], s[0:1]
	s_cselect_b32 s2, s6, s5
	v_cvt_pk_bf16_f32 v0, v21, s0
	s_mov_b32 s3, 0
	s_lshl_b32 s2, s2, 6
	s_delay_alu instid0(SALU_CYCLE_1)
	s_add_nc_u64 s[0:1], s[0:1], s[2:3]
	global_store_b16 v20, v0, s[0:1] scale_offset
.LBB304_191:
	s_endpgm
	.section	.rodata,"a",@progbits
	.p2align	6, 0x0
	.amdhsa_kernel _ZN4vllm25paged_attention_v1_kernelI14__hip_bfloat16hLi32ELi8ELi128ELNS_18Fp8KVCacheDataTypeE1ELb1EEEvPT_PKS3_PKT0_S9_ifPKiSB_iPKfiiiSD_SD_iiiii
		.amdhsa_group_segment_fixed_size 96
		.amdhsa_private_segment_fixed_size 0
		.amdhsa_kernarg_size 384
		.amdhsa_user_sgpr_count 2
		.amdhsa_user_sgpr_dispatch_ptr 0
		.amdhsa_user_sgpr_queue_ptr 0
		.amdhsa_user_sgpr_kernarg_segment_ptr 1
		.amdhsa_user_sgpr_dispatch_id 0
		.amdhsa_user_sgpr_kernarg_preload_length 0
		.amdhsa_user_sgpr_kernarg_preload_offset 0
		.amdhsa_user_sgpr_private_segment_size 0
		.amdhsa_wavefront_size32 1
		.amdhsa_uses_dynamic_stack 0
		.amdhsa_enable_private_segment 0
		.amdhsa_system_sgpr_workgroup_id_x 1
		.amdhsa_system_sgpr_workgroup_id_y 1
		.amdhsa_system_sgpr_workgroup_id_z 1
		.amdhsa_system_sgpr_workgroup_info 0
		.amdhsa_system_vgpr_workitem_id 0
		.amdhsa_next_free_vgpr 35
		.amdhsa_next_free_sgpr 46
		.amdhsa_named_barrier_count 0
		.amdhsa_reserve_vcc 1
		.amdhsa_float_round_mode_32 0
		.amdhsa_float_round_mode_16_64 0
		.amdhsa_float_denorm_mode_32 3
		.amdhsa_float_denorm_mode_16_64 3
		.amdhsa_fp16_overflow 0
		.amdhsa_memory_ordered 1
		.amdhsa_forward_progress 1
		.amdhsa_inst_pref_size 69
		.amdhsa_round_robin_scheduling 0
		.amdhsa_exception_fp_ieee_invalid_op 0
		.amdhsa_exception_fp_denorm_src 0
		.amdhsa_exception_fp_ieee_div_zero 0
		.amdhsa_exception_fp_ieee_overflow 0
		.amdhsa_exception_fp_ieee_underflow 0
		.amdhsa_exception_fp_ieee_inexact 0
		.amdhsa_exception_int_div_zero 0
	.end_amdhsa_kernel
	.section	.text._ZN4vllm25paged_attention_v1_kernelI14__hip_bfloat16hLi32ELi8ELi128ELNS_18Fp8KVCacheDataTypeE1ELb1EEEvPT_PKS3_PKT0_S9_ifPKiSB_iPKfiiiSD_SD_iiiii,"axG",@progbits,_ZN4vllm25paged_attention_v1_kernelI14__hip_bfloat16hLi32ELi8ELi128ELNS_18Fp8KVCacheDataTypeE1ELb1EEEvPT_PKS3_PKT0_S9_ifPKiSB_iPKfiiiSD_SD_iiiii,comdat
.Lfunc_end304:
	.size	_ZN4vllm25paged_attention_v1_kernelI14__hip_bfloat16hLi32ELi8ELi128ELNS_18Fp8KVCacheDataTypeE1ELb1EEEvPT_PKS3_PKT0_S9_ifPKiSB_iPKfiiiSD_SD_iiiii, .Lfunc_end304-_ZN4vllm25paged_attention_v1_kernelI14__hip_bfloat16hLi32ELi8ELi128ELNS_18Fp8KVCacheDataTypeE1ELb1EEEvPT_PKS3_PKT0_S9_ifPKiSB_iPKfiiiSD_SD_iiiii
                                        ; -- End function
	.set _ZN4vllm25paged_attention_v1_kernelI14__hip_bfloat16hLi32ELi8ELi128ELNS_18Fp8KVCacheDataTypeE1ELb1EEEvPT_PKS3_PKT0_S9_ifPKiSB_iPKfiiiSD_SD_iiiii.num_vgpr, 35
	.set _ZN4vllm25paged_attention_v1_kernelI14__hip_bfloat16hLi32ELi8ELi128ELNS_18Fp8KVCacheDataTypeE1ELb1EEEvPT_PKS3_PKT0_S9_ifPKiSB_iPKfiiiSD_SD_iiiii.num_agpr, 0
	.set _ZN4vllm25paged_attention_v1_kernelI14__hip_bfloat16hLi32ELi8ELi128ELNS_18Fp8KVCacheDataTypeE1ELb1EEEvPT_PKS3_PKT0_S9_ifPKiSB_iPKfiiiSD_SD_iiiii.numbered_sgpr, 46
	.set _ZN4vllm25paged_attention_v1_kernelI14__hip_bfloat16hLi32ELi8ELi128ELNS_18Fp8KVCacheDataTypeE1ELb1EEEvPT_PKS3_PKT0_S9_ifPKiSB_iPKfiiiSD_SD_iiiii.num_named_barrier, 0
	.set _ZN4vllm25paged_attention_v1_kernelI14__hip_bfloat16hLi32ELi8ELi128ELNS_18Fp8KVCacheDataTypeE1ELb1EEEvPT_PKS3_PKT0_S9_ifPKiSB_iPKfiiiSD_SD_iiiii.private_seg_size, 0
	.set _ZN4vllm25paged_attention_v1_kernelI14__hip_bfloat16hLi32ELi8ELi128ELNS_18Fp8KVCacheDataTypeE1ELb1EEEvPT_PKS3_PKT0_S9_ifPKiSB_iPKfiiiSD_SD_iiiii.uses_vcc, 1
	.set _ZN4vllm25paged_attention_v1_kernelI14__hip_bfloat16hLi32ELi8ELi128ELNS_18Fp8KVCacheDataTypeE1ELb1EEEvPT_PKS3_PKT0_S9_ifPKiSB_iPKfiiiSD_SD_iiiii.uses_flat_scratch, 0
	.set _ZN4vllm25paged_attention_v1_kernelI14__hip_bfloat16hLi32ELi8ELi128ELNS_18Fp8KVCacheDataTypeE1ELb1EEEvPT_PKS3_PKT0_S9_ifPKiSB_iPKfiiiSD_SD_iiiii.has_dyn_sized_stack, 0
	.set _ZN4vllm25paged_attention_v1_kernelI14__hip_bfloat16hLi32ELi8ELi128ELNS_18Fp8KVCacheDataTypeE1ELb1EEEvPT_PKS3_PKT0_S9_ifPKiSB_iPKfiiiSD_SD_iiiii.has_recursion, 0
	.set _ZN4vllm25paged_attention_v1_kernelI14__hip_bfloat16hLi32ELi8ELi128ELNS_18Fp8KVCacheDataTypeE1ELb1EEEvPT_PKS3_PKT0_S9_ifPKiSB_iPKfiiiSD_SD_iiiii.has_indirect_call, 0
	.section	.AMDGPU.csdata,"",@progbits
; Kernel info:
; codeLenInByte = 8796
; TotalNumSgprs: 48
; NumVgprs: 35
; ScratchSize: 0
; MemoryBound: 0
; FloatMode: 240
; IeeeMode: 1
; LDSByteSize: 96 bytes/workgroup (compile time only)
; SGPRBlocks: 0
; VGPRBlocks: 2
; NumSGPRsForWavesPerEU: 48
; NumVGPRsForWavesPerEU: 35
; NamedBarCnt: 0
; Occupancy: 16
; WaveLimiterHint : 1
; COMPUTE_PGM_RSRC2:SCRATCH_EN: 0
; COMPUTE_PGM_RSRC2:USER_SGPR: 2
; COMPUTE_PGM_RSRC2:TRAP_HANDLER: 0
; COMPUTE_PGM_RSRC2:TGID_X_EN: 1
; COMPUTE_PGM_RSRC2:TGID_Y_EN: 1
; COMPUTE_PGM_RSRC2:TGID_Z_EN: 1
; COMPUTE_PGM_RSRC2:TIDIG_COMP_CNT: 0
	.section	.text._ZN4vllm25paged_attention_v1_kernelI14__hip_bfloat16hLi64ELi8ELi128ELNS_18Fp8KVCacheDataTypeE1ELb1EEEvPT_PKS3_PKT0_S9_ifPKiSB_iPKfiiiSD_SD_iiiii,"axG",@progbits,_ZN4vllm25paged_attention_v1_kernelI14__hip_bfloat16hLi64ELi8ELi128ELNS_18Fp8KVCacheDataTypeE1ELb1EEEvPT_PKS3_PKT0_S9_ifPKiSB_iPKfiiiSD_SD_iiiii,comdat
	.protected	_ZN4vllm25paged_attention_v1_kernelI14__hip_bfloat16hLi64ELi8ELi128ELNS_18Fp8KVCacheDataTypeE1ELb1EEEvPT_PKS3_PKT0_S9_ifPKiSB_iPKfiiiSD_SD_iiiii ; -- Begin function _ZN4vllm25paged_attention_v1_kernelI14__hip_bfloat16hLi64ELi8ELi128ELNS_18Fp8KVCacheDataTypeE1ELb1EEEvPT_PKS3_PKT0_S9_ifPKiSB_iPKfiiiSD_SD_iiiii
	.globl	_ZN4vllm25paged_attention_v1_kernelI14__hip_bfloat16hLi64ELi8ELi128ELNS_18Fp8KVCacheDataTypeE1ELb1EEEvPT_PKS3_PKT0_S9_ifPKiSB_iPKfiiiSD_SD_iiiii
	.p2align	8
	.type	_ZN4vllm25paged_attention_v1_kernelI14__hip_bfloat16hLi64ELi8ELi128ELNS_18Fp8KVCacheDataTypeE1ELb1EEEvPT_PKS3_PKT0_S9_ifPKiSB_iPKfiiiSD_SD_iiiii,@function
_ZN4vllm25paged_attention_v1_kernelI14__hip_bfloat16hLi64ELi8ELi128ELNS_18Fp8KVCacheDataTypeE1ELb1EEEvPT_PKS3_PKT0_S9_ifPKiSB_iPKfiiiSD_SD_iiiii: ; @_ZN4vllm25paged_attention_v1_kernelI14__hip_bfloat16hLi64ELi8ELi128ELNS_18Fp8KVCacheDataTypeE1ELb1EEEvPT_PKS3_PKT0_S9_ifPKiSB_iPKfiiiSD_SD_iiiii
; %bb.0:
	s_load_b64 s[6:7], s[0:1], 0x20
	s_bfe_u32 s3, ttmp6, 0x4000c
	s_bfe_u32 s5, ttmp6, 0x40010
	s_and_b32 s4, ttmp7, 0xffff
	s_add_co_i32 s3, s3, 1
	s_add_co_i32 s5, s5, 1
	s_and_b32 s2, ttmp6, 15
	s_bfe_u32 s8, ttmp6, 0x40004
	s_mul_i32 s3, ttmp9, s3
	s_mul_i32 s5, s4, s5
	s_getreg_b32 s30, hwreg(HW_REG_IB_STS2, 6, 4)
	s_add_co_i32 s9, s2, s3
	s_add_co_i32 s8, s8, s5
	s_cmp_eq_u32 s30, 0
	s_clause 0x1
	s_load_b32 s31, s[0:1], 0x80
	s_load_b64 s[2:3], s[0:1], 0x30
	s_cselect_b32 s33, s4, s8
	s_cselect_b32 s4, ttmp9, s9
	s_wait_kmcnt 0x0
	s_abs_i32 s5, s6
	s_delay_alu instid0(SALU_CYCLE_1) | instskip(SKIP_1) | instid1(SALU_CYCLE_2)
	s_cvt_f32_u32 s8, s5
	s_sub_co_i32 s9, 0, s5
	v_rcp_iflag_f32_e32 v1, s8
	s_abs_i32 s10, s31
	v_nop
	s_delay_alu instid0(TRANS32_DEP_1) | instskip(SKIP_1) | instid1(SALU_CYCLE_3)
	v_readfirstlane_b32 s8, v1
	s_mul_f32 s8, s8, 0x4f7ffffe
	s_cvt_u32_f32 s8, s8
	s_delay_alu instid0(SALU_CYCLE_3) | instskip(NEXT) | instid1(SALU_CYCLE_1)
	s_mul_i32 s9, s9, s8
	s_mul_hi_u32 s9, s8, s9
	s_delay_alu instid0(SALU_CYCLE_1) | instskip(SKIP_4) | instid1(SALU_CYCLE_1)
	s_add_co_i32 s8, s8, s9
	s_xor_b32 s9, s31, s6
	s_mul_hi_u32 s8, s10, s8
	s_ashr_i32 s9, s9, 31
	s_mul_i32 s11, s8, s5
	s_sub_co_i32 s10, s10, s11
	s_add_co_i32 s11, s8, 1
	s_sub_co_i32 s12, s10, s5
	s_cmp_ge_u32 s10, s5
	s_cselect_b32 s8, s11, s8
	s_cselect_b32 s10, s12, s10
	s_add_co_i32 s11, s8, 1
	s_cmp_ge_u32 s10, s5
	s_load_b64 s[12:13], s[0:1], 0x40
	s_cselect_b32 s5, s11, s8
	s_delay_alu instid0(SALU_CYCLE_1) | instskip(NEXT) | instid1(SALU_CYCLE_1)
	s_xor_b32 s5, s5, s9
	s_sub_co_i32 s14, s5, s9
	s_mov_b32 s9, 0
	s_abs_i32 s19, s14
	s_mov_b32 s11, s9
	s_cvt_f32_u32 s5, s19
	s_sub_co_i32 s8, 0, s19
	s_mov_b32 s37, s9
	s_delay_alu instid0(SALU_CYCLE_1) | instskip(SKIP_1) | instid1(TRANS32_DEP_1)
	v_rcp_iflag_f32_e32 v1, s5
	v_nop
	v_readfirstlane_b32 s5, v1
	s_mul_f32 s5, s5, 0x4f7ffffe
	s_delay_alu instid0(SALU_CYCLE_3) | instskip(NEXT) | instid1(SALU_CYCLE_3)
	s_cvt_u32_f32 s5, s5
	s_mul_i32 s8, s8, s5
	s_delay_alu instid0(SALU_CYCLE_1)
	s_mul_hi_u32 s10, s5, s8
	s_abs_i32 s8, s4
	s_add_co_i32 s10, s5, s10
	s_wait_kmcnt 0x0
	s_cmp_eq_u64 s[12:13], 0
	s_cbranch_scc1 .LBB305_2
; %bb.1:
	s_ashr_i32 s5, s4, 31
	s_delay_alu instid0(SALU_CYCLE_1) | instskip(NEXT) | instid1(SALU_CYCLE_1)
	s_lshl_b64 s[16:17], s[4:5], 2
	s_add_nc_u64 s[12:13], s[12:13], s[16:17]
	s_load_b32 s37, s[12:13], 0x0
.LBB305_2:
	s_load_b32 s34, s[2:3], s33 offset:0x0 scale_offset
	s_load_b96 s[16:18], s[0:1], 0x48
	v_and_b32_e32 v2, 3, v0
	s_wait_xcnt 0x0
	v_cmp_gt_u32_e64 s2, 32, v0
	s_ashr_i32 s3, s4, 31
	s_ashr_i32 s5, s14, 31
	s_mul_u64 s[10:11], s[8:9], s[10:11]
	s_lshl_b32 s20, s4, 6
	s_and_saveexec_b32 s9, s2
	s_cbranch_execz .LBB305_4
; %bb.3:
	s_load_b64 s[12:13], s[0:1], 0x8
	s_wait_kmcnt 0x0
	s_mul_i32 s14, s16, s33
	s_ashr_i32 s21, s20, 31
	s_ashr_i32 s15, s14, 31
	v_and_b32_e32 v3, 0x3fc, v0
	s_lshl_b64 s[14:15], s[14:15], 1
	s_delay_alu instid0(VALU_DEP_1) | instskip(SKIP_2) | instid1(SALU_CYCLE_1)
	v_lshl_add_u32 v3, v2, 5, v3
	s_add_nc_u64 s[12:13], s[12:13], s[14:15]
	s_lshl_b64 s[14:15], s[20:21], 1
	s_add_nc_u64 s[12:13], s[12:13], s[14:15]
	global_load_b32 v1, v0, s[12:13] scale_offset
	s_wait_loadcnt 0x0
	ds_store_b32 v3, v1
.LBB305_4:
	s_or_b32 exec_lo, exec_lo, s9
	s_load_b128 s[12:15], s[0:1], 0x68
	s_mul_i32 s9, s11, s19
	s_xor_b32 s5, s3, s5
	s_sub_co_i32 s3, s8, s9
	s_add_co_i32 s8, s11, 1
	s_sub_co_i32 s9, s3, s19
	s_cmp_ge_u32 s3, s19
	s_wait_dscnt 0x0
	s_cselect_b32 s8, s8, s11
	s_cselect_b32 s3, s9, s3
	s_add_co_i32 s9, s8, 1
	s_cmp_ge_u32 s3, s19
	s_load_b32 s3, s[0:1], 0x78
	s_cselect_b32 s8, s9, s8
	s_wait_kmcnt 0x0
	s_add_co_i32 s10, s34, -1
	s_xor_b32 s8, s8, s5
	s_mov_b32 s11, -1
	s_sub_co_i32 s5, s8, s5
	s_barrier_signal -1
	s_barrier_wait -1
	s_abs_i32 s16, s15
	s_delay_alu instid0(SALU_CYCLE_1) | instskip(NEXT) | instid1(SALU_CYCLE_3)
	s_cvt_f32_u32 s9, s16
	v_rcp_iflag_f32_e32 v1, s9
	v_nop
	s_delay_alu instid0(TRANS32_DEP_1) | instskip(SKIP_1) | instid1(SALU_CYCLE_3)
	v_readfirstlane_b32 s9, v1
	s_mul_f32 s8, s9, 0x4f7ffffe
	s_cvt_u32_f32 s19, s8
	s_sub_co_i32 s8, 0, s16
	s_delay_alu instid0(SALU_CYCLE_2)
	s_mul_i32 s9, s8, s19
	s_abs_i32 s8, s10
	s_mul_hi_u32 s21, s19, s9
	s_mov_b32 s9, 0
	s_add_co_i32 s22, s19, s21
	s_cmp_lt_i32 s3, 0
	s_mov_b32 s23, s9
                                        ; implicit-def: $sgpr21
	s_cbranch_scc0 .LBB305_6
; %bb.5:
	s_mul_i32 s6, s12, s6
	s_mov_b32 s11, s9
	s_add_co_i32 s6, s5, s6
	s_delay_alu instid0(SALU_CYCLE_1) | instskip(NEXT) | instid1(SALU_CYCLE_1)
	s_mul_i32 s6, s6, s3
	s_sub_co_i32 s21, 1, s6
.LBB305_6:
	s_ashr_i32 s6, s10, 31
	s_ashr_i32 s15, s15, 31
	s_and_not1_b32 vcc_lo, exec_lo, s11
	s_mul_u64 s[28:29], s[8:9], s[22:23]
	s_cbranch_vccnz .LBB305_8
; %bb.7:
	s_mul_i32 s9, s31, s12
	s_delay_alu instid0(SALU_CYCLE_1) | instskip(NEXT) | instid1(SALU_CYCLE_1)
	s_add_co_i32 s4, s9, s4
	s_mul_i32 s3, s4, s3
	s_delay_alu instid0(SALU_CYCLE_1)
	s_add_co_i32 s21, s3, 1
.LBB305_8:
	s_clause 0x1
	s_load_b32 s3, s[0:1], 0x38
	s_load_b64 s[24:25], s[0:1], 0x28
	s_xor_b32 s4, s6, s15
	s_mul_i32 s6, s29, s16
	s_add_co_i32 s19, s29, 1
	s_sub_co_i32 s6, s8, s6
	s_clause 0x1
	s_load_b32 s12, s[0:1], 0x88
	s_load_b128 s[8:11], s[0:1], 0x58
	v_dual_lshrrev_b32 v1, 5, v0 :: v_dual_lshrrev_b32 v11, 3, v0
	v_mov_b32_e32 v25, 0xff7fffff
	v_mbcnt_lo_u32_b32 v22, -1, 0
	s_mul_i32 s18, s5, s18
	s_delay_alu instid0(VALU_DEP_3)
	v_lshlrev_b32_e32 v10, 3, v1
	s_wait_kmcnt 0x0
	s_mul_i32 s26, s3, s33
	s_sub_co_i32 s3, s6, s16
	s_ashr_i32 s27, s26, 31
	s_cmp_ge_u32 s6, s16
	s_cselect_b32 s19, s19, s29
	s_cselect_b32 s3, s3, s6
	s_add_co_i32 s6, s19, 1
	s_cmp_ge_u32 s3, s16
	s_cselect_b32 s3, s6, s19
	s_add_co_i32 s6, s34, 7
	s_delay_alu instid0(SALU_CYCLE_1) | instskip(NEXT) | instid1(SALU_CYCLE_1)
	s_ashr_i32 s19, s6, 31
	s_lshr_b32 s19, s19, 29
	s_delay_alu instid0(SALU_CYCLE_1) | instskip(NEXT) | instid1(SALU_CYCLE_1)
	s_add_co_i32 s6, s6, s19
	s_ashr_i32 s35, s6, 3
	s_xor_b32 s6, s3, s4
	v_cmp_gt_i32_e64 s3, s35, v1
	s_sub_co_i32 s36, s6, s4
	s_and_saveexec_b32 s38, s3
	s_cbranch_execz .LBB305_148
; %bb.9:
	s_load_b64 s[42:43], s[0:1], 0x10
	s_sub_co_i32 s39, s36, s13
	s_ashr_i32 s19, s18, 31
	s_cmp_neq_f32 s37, 0
	v_bfe_u32 v23, v0, 2, 3
	v_dual_mov_b32 v13, 0 :: v_dual_lshlrev_b32 v24, 5, v2
	s_cselect_b32 vcc_lo, -1, 0
	s_abs_i32 s40, s14
	s_delay_alu instid0(VALU_DEP_2)
	v_dual_lshlrev_b32 v14, 3, v1 :: v_dual_lshlrev_b32 v12, 4, v23
	s_cvt_f32_u32 s5, s40
	s_lshl_b64 s[44:45], s[26:27], 2
	v_cmp_eq_u32_e64 s4, 0, v2
	v_subrev_nc_u32_e32 v6, s34, v23
	v_rcp_iflag_f32_e32 v3, s5
	s_sub_co_i32 s6, 0, s40
	v_dual_mov_b32 v28, 0xff7fffff :: v_dual_mov_b32 v29, v1
	s_delay_alu instid0(VALU_DEP_2) | instskip(SKIP_2) | instid1(TRANS32_DEP_1)
	v_dual_mov_b32 v25, 0xff7fffff :: v_dual_add_nc_u32 v26, 1, v6
	s_wait_kmcnt 0x0
	s_add_nc_u64 s[42:43], s[42:43], s[18:19]
	v_readfirstlane_b32 s5, v3
	v_add_nc_u64_e32 v[4:5], s[42:43], v[12:13]
	v_dual_lshlrev_b32 v3, 2, v23 :: v_dual_lshlrev_b32 v12, 1, v2
	s_add_nc_u64 s[42:43], s[24:25], s[44:45]
	s_mul_f32 s5, s5, 0x4f7ffffe
	s_mov_b32 s29, 0
	s_delay_alu instid0(VALU_DEP_1) | instskip(NEXT) | instid1(VALU_DEP_3)
	v_lshl_or_b32 v2, v1, 5, v3
	v_add_nc_u64_e32 v[16:17], v[4:5], v[12:13]
	v_and_b32_e32 v12, 0x7c, v11
	s_cvt_u32_f32 s5, s5
	s_mov_b32 s19, s17
	v_add_nc_u32_e32 v27, 0xa0, v2
	s_mov_b32 s41, s29
	v_add_nc_u64_e32 v[18:19], s[42:43], v[12:13]
	s_mul_i32 s6, s6, s5
	s_delay_alu instid0(SALU_CYCLE_1) | instskip(NEXT) | instid1(SALU_CYCLE_1)
	s_mul_hi_u32 s6, s5, s6
	s_add_co_i32 s28, s5, s6
	s_branch .LBB305_12
.LBB305_10:                             ;   in Loop: Header=BB305_12 Depth=1
	s_or_b32 exec_lo, exec_lo, s42
.LBB305_11:                             ;   in Loop: Header=BB305_12 Depth=1
	s_delay_alu instid0(SALU_CYCLE_1) | instskip(SKIP_3) | instid1(VALU_DEP_3)
	s_or_b32 exec_lo, exec_lo, s6
	v_dual_add_nc_u32 v29, 4, v29 :: v_dual_add_nc_u32 v14, 32, v14
	v_add_nc_u64_e32 v[18:19], 16, v[18:19]
	v_add_nc_u32_e32 v27, 0x80, v27
	v_cmp_le_i32_e64 s5, s35, v29
	s_or_b32 s41, s5, s41
	s_delay_alu instid0(SALU_CYCLE_1)
	s_and_not1_b32 exec_lo, exec_lo, s41
	s_cbranch_execz .LBB305_147
.LBB305_12:                             ; =>This Inner Loop Header: Depth=1
	v_mov_b32_e32 v15, v13
	s_wait_dscnt 0x0
	s_delay_alu instid0(VALU_DEP_1) | instskip(NEXT) | instid1(VALU_DEP_1)
	v_mul_u64_e32 v[2:3], s[22:23], v[14:15]
	v_mul_lo_u32 v2, v3, s16
	s_delay_alu instid0(VALU_DEP_1) | instskip(NEXT) | instid1(VALU_DEP_1)
	v_sub_nc_u32_e32 v2, v14, v2
	v_subrev_nc_u32_e32 v5, s16, v2
	v_cmp_le_u32_e64 s5, s16, v2
	s_delay_alu instid0(VALU_DEP_1) | instskip(NEXT) | instid1(VALU_DEP_1)
	v_dual_add_nc_u32 v4, 1, v3 :: v_dual_cndmask_b32 v2, v2, v5, s5
	v_cndmask_b32_e64 v3, v3, v4, s5
	s_delay_alu instid0(VALU_DEP_2) | instskip(NEXT) | instid1(VALU_DEP_2)
	v_cmp_le_u32_e64 s5, s16, v2
	v_add_nc_u32_e32 v4, 1, v3
	s_delay_alu instid0(VALU_DEP_1) | instskip(NEXT) | instid1(VALU_DEP_1)
	v_cndmask_b32_e64 v2, v3, v4, s5
	v_xor_b32_e32 v2, s15, v2
	s_delay_alu instid0(VALU_DEP_1) | instskip(NEXT) | instid1(VALU_DEP_1)
	v_subrev_nc_u32_e32 v4, s15, v2
	v_add_nc_u32_e32 v5, s21, v4
	v_cmp_ge_i32_e64 s6, s39, v4
	s_delay_alu instid0(VALU_DEP_2) | instskip(NEXT) | instid1(VALU_DEP_1)
	v_sub_nc_u32_e32 v2, 0, v5
	v_dual_ashrrev_i32 v5, 31, v5 :: v_dual_max_i32 v12, v5, v2
	s_delay_alu instid0(VALU_DEP_1) | instskip(NEXT) | instid1(VALU_DEP_1)
	v_mul_u64_e32 v[2:3], s[28:29], v[12:13]
	v_mul_lo_u32 v2, v3, s40
	s_delay_alu instid0(VALU_DEP_1) | instskip(NEXT) | instid1(VALU_DEP_1)
	v_sub_nc_u32_e32 v2, v12, v2
	v_subrev_nc_u32_e32 v3, s40, v2
	v_cmp_le_u32_e64 s5, s40, v2
	s_delay_alu instid0(VALU_DEP_1) | instskip(NEXT) | instid1(VALU_DEP_1)
	v_cndmask_b32_e64 v2, v2, v3, s5
	v_subrev_nc_u32_e32 v3, s40, v2
	v_cmp_le_u32_e64 s5, s40, v2
	s_delay_alu instid0(VALU_DEP_1) | instskip(NEXT) | instid1(VALU_DEP_1)
	v_cndmask_b32_e64 v2, v2, v3, s5
	v_xor_b32_e32 v2, v2, v5
	s_delay_alu instid0(VALU_DEP_1) | instskip(NEXT) | instid1(VALU_DEP_1)
	v_sub_nc_u32_e32 v2, v2, v5
	v_cmp_ne_u32_e64 s5, 0, v2
	s_and_b32 s5, s5, s6
	s_delay_alu instid0(SALU_CYCLE_1) | instskip(NEXT) | instid1(SALU_CYCLE_1)
	s_and_saveexec_b32 s6, s5
	s_xor_b32 s5, exec_lo, s6
	s_cbranch_execz .LBB305_16
; %bb.13:                               ;   in Loop: Header=BB305_12 Depth=1
	s_and_saveexec_b32 s6, s4
; %bb.14:                               ;   in Loop: Header=BB305_12 Depth=1
	ds_store_b32 v27, v28
; %bb.15:                               ;   in Loop: Header=BB305_12 Depth=1
	s_or_b32 exec_lo, exec_lo, s6
.LBB305_16:                             ;   in Loop: Header=BB305_12 Depth=1
	s_and_not1_saveexec_b32 s6, s5
	s_cbranch_execz .LBB305_11
; %bb.17:                               ;   in Loop: Header=BB305_12 Depth=1
	global_load_b32 v2, v[18:19], off
	v_mov_b32_e32 v15, 0
	s_wait_loadcnt 0x0
	v_mad_nc_i64_i32 v[20:21], v2, s19, v[16:17]
	global_load_u16 v12, v[20:21], off
	ds_load_b128 v[6:9], v24
	ds_load_b128 v[2:5], v24 offset:16
	s_load_b32 s42, s[8:9], 0x0
	s_wait_loadcnt 0x0
	v_and_b32_e32 v30, 0xff, v12
	v_and_b32_e32 v31, 0xffff, v12
	s_delay_alu instid0(VALU_DEP_2)
	v_cmp_ne_u16_e64 s5, 0, v30
	v_mov_b32_e32 v30, 0
	s_and_saveexec_b32 s43, s5
	s_cbranch_execz .LBB305_25
; %bb.18:                               ;   in Loop: Header=BB305_12 Depth=1
	v_and_b32_e32 v12, 0xff, v31
	v_bfrev_b32_e32 v30, 1
	s_mov_b32 s44, exec_lo
	s_delay_alu instid0(VALU_DEP_2)
	v_cmpx_ne_u16_e32 0x80, v12
	s_cbranch_execz .LBB305_24
; %bb.19:                               ;   in Loop: Header=BB305_12 Depth=1
	v_and_b32_e32 v32, 0x7f, v31
	v_mov_b32_e32 v30, 0x7f800001
	s_mov_b32 s45, exec_lo
	s_delay_alu instid0(VALU_DEP_2)
	v_cmpx_ne_u32_e32 0x7f, v32
	s_cbranch_execz .LBB305_23
; %bb.20:                               ;   in Loop: Header=BB305_12 Depth=1
	v_dual_lshrrev_b32 v30, 3, v32 :: v_dual_bitop2_b32 v12, 7, v31 bitop3:0x40
	s_mov_b32 s46, exec_lo
	v_cmpx_gt_u32_e32 8, v32
; %bb.21:                               ;   in Loop: Header=BB305_12 Depth=1
	s_delay_alu instid0(VALU_DEP_2) | instskip(NEXT) | instid1(VALU_DEP_1)
	v_clz_i32_u32_e32 v30, v12
	v_min_u32_e32 v30, 32, v30
	s_delay_alu instid0(VALU_DEP_1) | instskip(NEXT) | instid1(VALU_DEP_1)
	v_subrev_nc_u32_e32 v32, 28, v30
	v_lshlrev_b64_e32 v[32:33], v32, v[12:13]
	s_delay_alu instid0(VALU_DEP_1)
	v_dual_sub_nc_u32 v30, 29, v30 :: v_dual_bitop2_b32 v12, 7, v32 bitop3:0x40
; %bb.22:                               ;   in Loop: Header=BB305_12 Depth=1
	s_or_b32 exec_lo, exec_lo, s46
	s_delay_alu instid0(VALU_DEP_1) | instskip(NEXT) | instid1(VALU_DEP_2)
	v_dual_lshlrev_b32 v32, 24, v31 :: v_dual_lshlrev_b32 v12, 20, v12
	v_lshl_add_u32 v30, v30, 23, 0x3c000000
	s_delay_alu instid0(VALU_DEP_2) | instskip(NEXT) | instid1(VALU_DEP_1)
	v_and_b32_e32 v32, 0x80000000, v32
	v_or3_b32 v30, v12, v32, v30
.LBB305_23:                             ;   in Loop: Header=BB305_12 Depth=1
	s_or_b32 exec_lo, exec_lo, s45
.LBB305_24:                             ;   in Loop: Header=BB305_12 Depth=1
	s_delay_alu instid0(SALU_CYCLE_1)
	s_or_b32 exec_lo, exec_lo, s44
.LBB305_25:                             ;   in Loop: Header=BB305_12 Depth=1
	s_delay_alu instid0(SALU_CYCLE_1) | instskip(SKIP_2) | instid1(VALU_DEP_1)
	s_or_b32 exec_lo, exec_lo, s43
	v_lshrrev_b16 v12, 8, v31
	s_mov_b32 s43, exec_lo
	v_cmpx_ne_u16_e32 0, v12
	s_cbranch_execz .LBB305_33
; %bb.26:                               ;   in Loop: Header=BB305_12 Depth=1
	v_bfrev_b32_e32 v15, 1
	s_mov_b32 s44, exec_lo
	v_cmpx_ne_u16_e32 0x80, v12
	s_cbranch_execz .LBB305_32
; %bb.27:                               ;   in Loop: Header=BB305_12 Depth=1
	v_and_b32_e32 v12, 0xffff, v12
	v_mov_b32_e32 v15, 0x7f800001
	s_mov_b32 s45, exec_lo
	s_delay_alu instid0(VALU_DEP_2) | instskip(NEXT) | instid1(VALU_DEP_1)
	v_and_b32_e32 v32, 0x7f, v12
	v_cmpx_ne_u32_e32 0x7f, v32
	s_cbranch_execz .LBB305_31
; %bb.28:                               ;   in Loop: Header=BB305_12 Depth=1
	v_and_b32_e32 v12, 7, v12
	v_lshrrev_b32_e32 v15, 3, v32
	s_mov_b32 s46, exec_lo
	v_cmpx_gt_u32_e32 8, v32
; %bb.29:                               ;   in Loop: Header=BB305_12 Depth=1
	s_delay_alu instid0(VALU_DEP_3) | instskip(NEXT) | instid1(VALU_DEP_1)
	v_clz_i32_u32_e32 v15, v12
	v_min_u32_e32 v15, 32, v15
	s_delay_alu instid0(VALU_DEP_1) | instskip(NEXT) | instid1(VALU_DEP_1)
	v_subrev_nc_u32_e32 v32, 28, v15
	v_lshlrev_b64_e32 v[32:33], v32, v[12:13]
	s_delay_alu instid0(VALU_DEP_1)
	v_dual_sub_nc_u32 v15, 29, v15 :: v_dual_bitop2_b32 v12, 7, v32 bitop3:0x40
; %bb.30:                               ;   in Loop: Header=BB305_12 Depth=1
	s_or_b32 exec_lo, exec_lo, s46
	s_delay_alu instid0(VALU_DEP_1) | instskip(NEXT) | instid1(VALU_DEP_2)
	v_dual_lshlrev_b32 v31, 16, v31 :: v_dual_lshlrev_b32 v12, 20, v12
	v_lshl_add_u32 v15, v15, 23, 0x3c000000
	s_delay_alu instid0(VALU_DEP_2) | instskip(NEXT) | instid1(VALU_DEP_1)
	v_and_b32_e32 v31, 0x80000000, v31
	v_or3_b32 v15, v12, v31, v15
.LBB305_31:                             ;   in Loop: Header=BB305_12 Depth=1
	s_or_b32 exec_lo, exec_lo, s45
.LBB305_32:                             ;   in Loop: Header=BB305_12 Depth=1
	s_delay_alu instid0(SALU_CYCLE_1)
	s_or_b32 exec_lo, exec_lo, s44
.LBB305_33:                             ;   in Loop: Header=BB305_12 Depth=1
	s_delay_alu instid0(SALU_CYCLE_1)
	s_or_b32 exec_lo, exec_lo, s43
	global_load_u16 v12, v[20:21], off offset:8
	v_mov_b32_e32 v31, 0
	s_wait_loadcnt 0x0
	v_and_b32_e32 v32, 0xff, v12
	v_and_b32_e32 v33, 0xffff, v12
	s_delay_alu instid0(VALU_DEP_2)
	v_cmp_ne_u16_e64 s5, 0, v32
	v_mov_b32_e32 v32, 0
	s_and_saveexec_b32 s43, s5
	s_cbranch_execz .LBB305_41
; %bb.34:                               ;   in Loop: Header=BB305_12 Depth=1
	v_and_b32_e32 v12, 0xff, v33
	v_bfrev_b32_e32 v32, 1
	s_mov_b32 s44, exec_lo
	s_delay_alu instid0(VALU_DEP_2)
	v_cmpx_ne_u16_e32 0x80, v12
	s_cbranch_execz .LBB305_40
; %bb.35:                               ;   in Loop: Header=BB305_12 Depth=1
	v_and_b32_e32 v34, 0x7f, v33
	v_mov_b32_e32 v32, 0x7f800001
	s_mov_b32 s45, exec_lo
	s_delay_alu instid0(VALU_DEP_2)
	v_cmpx_ne_u32_e32 0x7f, v34
	s_cbranch_execz .LBB305_39
; %bb.36:                               ;   in Loop: Header=BB305_12 Depth=1
	v_dual_lshrrev_b32 v32, 3, v34 :: v_dual_bitop2_b32 v12, 7, v33 bitop3:0x40
	s_mov_b32 s46, exec_lo
	v_cmpx_gt_u32_e32 8, v34
; %bb.37:                               ;   in Loop: Header=BB305_12 Depth=1
	s_delay_alu instid0(VALU_DEP_2) | instskip(NEXT) | instid1(VALU_DEP_1)
	v_clz_i32_u32_e32 v32, v12
	v_min_u32_e32 v32, 32, v32
	s_delay_alu instid0(VALU_DEP_1) | instskip(NEXT) | instid1(VALU_DEP_1)
	v_subrev_nc_u32_e32 v34, 28, v32
	v_lshlrev_b64_e32 v[34:35], v34, v[12:13]
	s_delay_alu instid0(VALU_DEP_1)
	v_dual_sub_nc_u32 v32, 29, v32 :: v_dual_bitop2_b32 v12, 7, v34 bitop3:0x40
; %bb.38:                               ;   in Loop: Header=BB305_12 Depth=1
	s_or_b32 exec_lo, exec_lo, s46
	s_delay_alu instid0(VALU_DEP_1) | instskip(NEXT) | instid1(VALU_DEP_2)
	v_dual_lshlrev_b32 v34, 24, v33 :: v_dual_lshlrev_b32 v12, 20, v12
	v_lshl_add_u32 v32, v32, 23, 0x3c000000
	s_delay_alu instid0(VALU_DEP_2) | instskip(NEXT) | instid1(VALU_DEP_1)
	v_and_b32_e32 v34, 0x80000000, v34
	v_or3_b32 v32, v12, v34, v32
.LBB305_39:                             ;   in Loop: Header=BB305_12 Depth=1
	s_or_b32 exec_lo, exec_lo, s45
.LBB305_40:                             ;   in Loop: Header=BB305_12 Depth=1
	s_delay_alu instid0(SALU_CYCLE_1)
	s_or_b32 exec_lo, exec_lo, s44
.LBB305_41:                             ;   in Loop: Header=BB305_12 Depth=1
	s_delay_alu instid0(SALU_CYCLE_1) | instskip(SKIP_2) | instid1(VALU_DEP_1)
	s_or_b32 exec_lo, exec_lo, s43
	v_lshrrev_b16 v12, 8, v33
	s_mov_b32 s43, exec_lo
	v_cmpx_ne_u16_e32 0, v12
	s_cbranch_execz .LBB305_49
; %bb.42:                               ;   in Loop: Header=BB305_12 Depth=1
	v_bfrev_b32_e32 v31, 1
	s_mov_b32 s44, exec_lo
	v_cmpx_ne_u16_e32 0x80, v12
	s_cbranch_execz .LBB305_48
; %bb.43:                               ;   in Loop: Header=BB305_12 Depth=1
	v_and_b32_e32 v12, 0xffff, v12
	v_mov_b32_e32 v31, 0x7f800001
	s_mov_b32 s45, exec_lo
	s_delay_alu instid0(VALU_DEP_2) | instskip(NEXT) | instid1(VALU_DEP_1)
	v_and_b32_e32 v34, 0x7f, v12
	v_cmpx_ne_u32_e32 0x7f, v34
	s_cbranch_execz .LBB305_47
; %bb.44:                               ;   in Loop: Header=BB305_12 Depth=1
	v_dual_lshrrev_b32 v31, 3, v34 :: v_dual_bitop2_b32 v12, 7, v12 bitop3:0x40
	s_mov_b32 s46, exec_lo
	v_cmpx_gt_u32_e32 8, v34
; %bb.45:                               ;   in Loop: Header=BB305_12 Depth=1
	s_delay_alu instid0(VALU_DEP_2) | instskip(NEXT) | instid1(VALU_DEP_1)
	v_clz_i32_u32_e32 v31, v12
	v_min_u32_e32 v31, 32, v31
	s_delay_alu instid0(VALU_DEP_1) | instskip(NEXT) | instid1(VALU_DEP_1)
	v_subrev_nc_u32_e32 v34, 28, v31
	v_lshlrev_b64_e32 v[34:35], v34, v[12:13]
	s_delay_alu instid0(VALU_DEP_1)
	v_dual_sub_nc_u32 v31, 29, v31 :: v_dual_bitop2_b32 v12, 7, v34 bitop3:0x40
; %bb.46:                               ;   in Loop: Header=BB305_12 Depth=1
	s_or_b32 exec_lo, exec_lo, s46
	s_delay_alu instid0(VALU_DEP_1) | instskip(NEXT) | instid1(VALU_DEP_2)
	v_dual_lshlrev_b32 v33, 16, v33 :: v_dual_lshlrev_b32 v12, 20, v12
	v_lshl_add_u32 v31, v31, 23, 0x3c000000
	s_delay_alu instid0(VALU_DEP_2) | instskip(NEXT) | instid1(VALU_DEP_1)
	v_and_b32_e32 v33, 0x80000000, v33
	v_or3_b32 v31, v12, v33, v31
.LBB305_47:                             ;   in Loop: Header=BB305_12 Depth=1
	s_or_b32 exec_lo, exec_lo, s45
.LBB305_48:                             ;   in Loop: Header=BB305_12 Depth=1
	s_delay_alu instid0(SALU_CYCLE_1)
	s_or_b32 exec_lo, exec_lo, s44
.LBB305_49:                             ;   in Loop: Header=BB305_12 Depth=1
	s_delay_alu instid0(SALU_CYCLE_1)
	s_or_b32 exec_lo, exec_lo, s43
	global_load_u16 v12, v[20:21], off offset:128
	v_mov_b32_e32 v33, 0
	s_wait_loadcnt 0x0
	v_and_b32_e32 v34, 0xff, v12
	v_and_b32_e32 v35, 0xffff, v12
	s_delay_alu instid0(VALU_DEP_2)
	v_cmp_ne_u16_e64 s5, 0, v34
	v_mov_b32_e32 v34, 0
	s_and_saveexec_b32 s43, s5
	s_cbranch_execz .LBB305_57
; %bb.50:                               ;   in Loop: Header=BB305_12 Depth=1
	v_and_b32_e32 v12, 0xff, v35
	v_bfrev_b32_e32 v34, 1
	s_mov_b32 s44, exec_lo
	s_delay_alu instid0(VALU_DEP_2)
	v_cmpx_ne_u16_e32 0x80, v12
	s_cbranch_execz .LBB305_56
; %bb.51:                               ;   in Loop: Header=BB305_12 Depth=1
	v_and_b32_e32 v36, 0x7f, v35
	v_mov_b32_e32 v34, 0x7f800001
	s_mov_b32 s45, exec_lo
	s_delay_alu instid0(VALU_DEP_2)
	v_cmpx_ne_u32_e32 0x7f, v36
	s_cbranch_execz .LBB305_55
; %bb.52:                               ;   in Loop: Header=BB305_12 Depth=1
	v_dual_lshrrev_b32 v34, 3, v36 :: v_dual_bitop2_b32 v12, 7, v35 bitop3:0x40
	s_mov_b32 s46, exec_lo
	v_cmpx_gt_u32_e32 8, v36
; %bb.53:                               ;   in Loop: Header=BB305_12 Depth=1
	s_delay_alu instid0(VALU_DEP_2) | instskip(NEXT) | instid1(VALU_DEP_1)
	v_clz_i32_u32_e32 v34, v12
	v_min_u32_e32 v34, 32, v34
	s_delay_alu instid0(VALU_DEP_1) | instskip(NEXT) | instid1(VALU_DEP_1)
	v_subrev_nc_u32_e32 v36, 28, v34
	v_lshlrev_b64_e32 v[36:37], v36, v[12:13]
	s_delay_alu instid0(VALU_DEP_1)
	v_dual_sub_nc_u32 v34, 29, v34 :: v_dual_bitop2_b32 v12, 7, v36 bitop3:0x40
; %bb.54:                               ;   in Loop: Header=BB305_12 Depth=1
	s_or_b32 exec_lo, exec_lo, s46
	s_delay_alu instid0(VALU_DEP_1) | instskip(NEXT) | instid1(VALU_DEP_2)
	v_dual_lshlrev_b32 v36, 24, v35 :: v_dual_lshlrev_b32 v12, 20, v12
	v_lshl_add_u32 v34, v34, 23, 0x3c000000
	s_delay_alu instid0(VALU_DEP_2) | instskip(NEXT) | instid1(VALU_DEP_1)
	v_and_b32_e32 v36, 0x80000000, v36
	v_or3_b32 v34, v12, v36, v34
.LBB305_55:                             ;   in Loop: Header=BB305_12 Depth=1
	s_or_b32 exec_lo, exec_lo, s45
.LBB305_56:                             ;   in Loop: Header=BB305_12 Depth=1
	s_delay_alu instid0(SALU_CYCLE_1)
	s_or_b32 exec_lo, exec_lo, s44
.LBB305_57:                             ;   in Loop: Header=BB305_12 Depth=1
	s_delay_alu instid0(SALU_CYCLE_1) | instskip(SKIP_2) | instid1(VALU_DEP_1)
	s_or_b32 exec_lo, exec_lo, s43
	v_lshrrev_b16 v12, 8, v35
	s_mov_b32 s43, exec_lo
	v_cmpx_ne_u16_e32 0, v12
	s_cbranch_execz .LBB305_65
; %bb.58:                               ;   in Loop: Header=BB305_12 Depth=1
	v_bfrev_b32_e32 v33, 1
	s_mov_b32 s44, exec_lo
	v_cmpx_ne_u16_e32 0x80, v12
	s_cbranch_execz .LBB305_64
; %bb.59:                               ;   in Loop: Header=BB305_12 Depth=1
	v_and_b32_e32 v12, 0xffff, v12
	v_mov_b32_e32 v33, 0x7f800001
	s_mov_b32 s45, exec_lo
	s_delay_alu instid0(VALU_DEP_2) | instskip(NEXT) | instid1(VALU_DEP_1)
	v_and_b32_e32 v36, 0x7f, v12
	v_cmpx_ne_u32_e32 0x7f, v36
	s_cbranch_execz .LBB305_63
; %bb.60:                               ;   in Loop: Header=BB305_12 Depth=1
	v_and_b32_e32 v12, 7, v12
	v_lshrrev_b32_e32 v33, 3, v36
	s_mov_b32 s46, exec_lo
	v_cmpx_gt_u32_e32 8, v36
; %bb.61:                               ;   in Loop: Header=BB305_12 Depth=1
	s_delay_alu instid0(VALU_DEP_3) | instskip(NEXT) | instid1(VALU_DEP_1)
	v_clz_i32_u32_e32 v33, v12
	v_min_u32_e32 v33, 32, v33
	s_delay_alu instid0(VALU_DEP_1) | instskip(NEXT) | instid1(VALU_DEP_1)
	v_subrev_nc_u32_e32 v36, 28, v33
	v_lshlrev_b64_e32 v[36:37], v36, v[12:13]
	s_delay_alu instid0(VALU_DEP_1)
	v_dual_sub_nc_u32 v33, 29, v33 :: v_dual_bitop2_b32 v12, 7, v36 bitop3:0x40
; %bb.62:                               ;   in Loop: Header=BB305_12 Depth=1
	s_or_b32 exec_lo, exec_lo, s46
	s_delay_alu instid0(VALU_DEP_1) | instskip(NEXT) | instid1(VALU_DEP_2)
	v_dual_lshlrev_b32 v35, 16, v35 :: v_dual_lshlrev_b32 v12, 20, v12
	v_lshl_add_u32 v33, v33, 23, 0x3c000000
	s_delay_alu instid0(VALU_DEP_2) | instskip(NEXT) | instid1(VALU_DEP_1)
	v_and_b32_e32 v35, 0x80000000, v35
	v_or3_b32 v33, v12, v35, v33
.LBB305_63:                             ;   in Loop: Header=BB305_12 Depth=1
	s_or_b32 exec_lo, exec_lo, s45
.LBB305_64:                             ;   in Loop: Header=BB305_12 Depth=1
	s_delay_alu instid0(SALU_CYCLE_1)
	s_or_b32 exec_lo, exec_lo, s44
.LBB305_65:                             ;   in Loop: Header=BB305_12 Depth=1
	s_delay_alu instid0(SALU_CYCLE_1)
	s_or_b32 exec_lo, exec_lo, s43
	global_load_u16 v12, v[20:21], off offset:136
	v_mov_b32_e32 v35, 0
	s_wait_loadcnt 0x0
	v_and_b32_e32 v36, 0xff, v12
	v_and_b32_e32 v37, 0xffff, v12
	s_delay_alu instid0(VALU_DEP_2)
	v_cmp_ne_u16_e64 s5, 0, v36
	v_mov_b32_e32 v36, 0
	s_and_saveexec_b32 s43, s5
	s_cbranch_execz .LBB305_73
; %bb.66:                               ;   in Loop: Header=BB305_12 Depth=1
	v_and_b32_e32 v12, 0xff, v37
	v_bfrev_b32_e32 v36, 1
	s_mov_b32 s44, exec_lo
	s_delay_alu instid0(VALU_DEP_2)
	v_cmpx_ne_u16_e32 0x80, v12
	s_cbranch_execz .LBB305_72
; %bb.67:                               ;   in Loop: Header=BB305_12 Depth=1
	v_and_b32_e32 v38, 0x7f, v37
	v_mov_b32_e32 v36, 0x7f800001
	s_mov_b32 s45, exec_lo
	s_delay_alu instid0(VALU_DEP_2)
	v_cmpx_ne_u32_e32 0x7f, v38
	s_cbranch_execz .LBB305_71
; %bb.68:                               ;   in Loop: Header=BB305_12 Depth=1
	v_dual_lshrrev_b32 v36, 3, v38 :: v_dual_bitop2_b32 v12, 7, v37 bitop3:0x40
	s_mov_b32 s46, exec_lo
	v_cmpx_gt_u32_e32 8, v38
; %bb.69:                               ;   in Loop: Header=BB305_12 Depth=1
	s_delay_alu instid0(VALU_DEP_2) | instskip(NEXT) | instid1(VALU_DEP_1)
	v_clz_i32_u32_e32 v36, v12
	v_min_u32_e32 v36, 32, v36
	s_delay_alu instid0(VALU_DEP_1) | instskip(NEXT) | instid1(VALU_DEP_1)
	v_subrev_nc_u32_e32 v38, 28, v36
	v_lshlrev_b64_e32 v[38:39], v38, v[12:13]
	s_delay_alu instid0(VALU_DEP_1)
	v_dual_sub_nc_u32 v36, 29, v36 :: v_dual_bitop2_b32 v12, 7, v38 bitop3:0x40
; %bb.70:                               ;   in Loop: Header=BB305_12 Depth=1
	s_or_b32 exec_lo, exec_lo, s46
	s_delay_alu instid0(VALU_DEP_1) | instskip(NEXT) | instid1(VALU_DEP_2)
	v_dual_lshlrev_b32 v38, 24, v37 :: v_dual_lshlrev_b32 v12, 20, v12
	v_lshl_add_u32 v36, v36, 23, 0x3c000000
	s_delay_alu instid0(VALU_DEP_2) | instskip(NEXT) | instid1(VALU_DEP_1)
	v_and_b32_e32 v38, 0x80000000, v38
	v_or3_b32 v36, v12, v38, v36
.LBB305_71:                             ;   in Loop: Header=BB305_12 Depth=1
	s_or_b32 exec_lo, exec_lo, s45
.LBB305_72:                             ;   in Loop: Header=BB305_12 Depth=1
	s_delay_alu instid0(SALU_CYCLE_1)
	s_or_b32 exec_lo, exec_lo, s44
.LBB305_73:                             ;   in Loop: Header=BB305_12 Depth=1
	s_delay_alu instid0(SALU_CYCLE_1) | instskip(SKIP_2) | instid1(VALU_DEP_1)
	s_or_b32 exec_lo, exec_lo, s43
	v_lshrrev_b16 v12, 8, v37
	s_mov_b32 s43, exec_lo
	v_cmpx_ne_u16_e32 0, v12
	s_cbranch_execz .LBB305_81
; %bb.74:                               ;   in Loop: Header=BB305_12 Depth=1
	v_bfrev_b32_e32 v35, 1
	s_mov_b32 s44, exec_lo
	v_cmpx_ne_u16_e32 0x80, v12
	s_cbranch_execz .LBB305_80
; %bb.75:                               ;   in Loop: Header=BB305_12 Depth=1
	v_and_b32_e32 v12, 0xffff, v12
	v_mov_b32_e32 v35, 0x7f800001
	s_mov_b32 s45, exec_lo
	s_delay_alu instid0(VALU_DEP_2) | instskip(NEXT) | instid1(VALU_DEP_1)
	v_and_b32_e32 v38, 0x7f, v12
	v_cmpx_ne_u32_e32 0x7f, v38
	s_cbranch_execz .LBB305_79
; %bb.76:                               ;   in Loop: Header=BB305_12 Depth=1
	v_dual_lshrrev_b32 v35, 3, v38 :: v_dual_bitop2_b32 v12, 7, v12 bitop3:0x40
	s_mov_b32 s46, exec_lo
	v_cmpx_gt_u32_e32 8, v38
; %bb.77:                               ;   in Loop: Header=BB305_12 Depth=1
	s_delay_alu instid0(VALU_DEP_2) | instskip(NEXT) | instid1(VALU_DEP_1)
	v_clz_i32_u32_e32 v35, v12
	v_min_u32_e32 v35, 32, v35
	s_delay_alu instid0(VALU_DEP_1) | instskip(NEXT) | instid1(VALU_DEP_1)
	v_subrev_nc_u32_e32 v38, 28, v35
	v_lshlrev_b64_e32 v[38:39], v38, v[12:13]
	s_delay_alu instid0(VALU_DEP_1)
	v_dual_sub_nc_u32 v35, 29, v35 :: v_dual_bitop2_b32 v12, 7, v38 bitop3:0x40
; %bb.78:                               ;   in Loop: Header=BB305_12 Depth=1
	s_or_b32 exec_lo, exec_lo, s46
	s_delay_alu instid0(VALU_DEP_1) | instskip(NEXT) | instid1(VALU_DEP_2)
	v_dual_lshlrev_b32 v37, 16, v37 :: v_dual_lshlrev_b32 v12, 20, v12
	v_lshl_add_u32 v35, v35, 23, 0x3c000000
	s_delay_alu instid0(VALU_DEP_2) | instskip(NEXT) | instid1(VALU_DEP_1)
	v_and_b32_e32 v37, 0x80000000, v37
	v_or3_b32 v35, v12, v37, v35
.LBB305_79:                             ;   in Loop: Header=BB305_12 Depth=1
	s_or_b32 exec_lo, exec_lo, s45
.LBB305_80:                             ;   in Loop: Header=BB305_12 Depth=1
	s_delay_alu instid0(SALU_CYCLE_1)
	s_or_b32 exec_lo, exec_lo, s44
.LBB305_81:                             ;   in Loop: Header=BB305_12 Depth=1
	s_delay_alu instid0(SALU_CYCLE_1)
	s_or_b32 exec_lo, exec_lo, s43
	global_load_u16 v12, v[20:21], off offset:256
	v_mov_b32_e32 v37, 0
	s_wait_loadcnt 0x0
	v_and_b32_e32 v38, 0xff, v12
	v_and_b32_e32 v39, 0xffff, v12
	s_delay_alu instid0(VALU_DEP_2)
	v_cmp_ne_u16_e64 s5, 0, v38
	v_mov_b32_e32 v38, 0
	s_and_saveexec_b32 s43, s5
	s_cbranch_execz .LBB305_89
; %bb.82:                               ;   in Loop: Header=BB305_12 Depth=1
	v_and_b32_e32 v12, 0xff, v39
	v_bfrev_b32_e32 v38, 1
	s_mov_b32 s44, exec_lo
	s_delay_alu instid0(VALU_DEP_2)
	v_cmpx_ne_u16_e32 0x80, v12
	s_cbranch_execz .LBB305_88
; %bb.83:                               ;   in Loop: Header=BB305_12 Depth=1
	v_and_b32_e32 v40, 0x7f, v39
	v_mov_b32_e32 v38, 0x7f800001
	s_mov_b32 s45, exec_lo
	s_delay_alu instid0(VALU_DEP_2)
	v_cmpx_ne_u32_e32 0x7f, v40
	s_cbranch_execz .LBB305_87
; %bb.84:                               ;   in Loop: Header=BB305_12 Depth=1
	v_dual_lshrrev_b32 v38, 3, v40 :: v_dual_bitop2_b32 v12, 7, v39 bitop3:0x40
	s_mov_b32 s46, exec_lo
	v_cmpx_gt_u32_e32 8, v40
; %bb.85:                               ;   in Loop: Header=BB305_12 Depth=1
	s_delay_alu instid0(VALU_DEP_2) | instskip(NEXT) | instid1(VALU_DEP_1)
	v_clz_i32_u32_e32 v38, v12
	v_min_u32_e32 v38, 32, v38
	s_delay_alu instid0(VALU_DEP_1) | instskip(NEXT) | instid1(VALU_DEP_1)
	v_subrev_nc_u32_e32 v40, 28, v38
	v_lshlrev_b64_e32 v[40:41], v40, v[12:13]
	s_delay_alu instid0(VALU_DEP_1)
	v_dual_sub_nc_u32 v38, 29, v38 :: v_dual_bitop2_b32 v12, 7, v40 bitop3:0x40
; %bb.86:                               ;   in Loop: Header=BB305_12 Depth=1
	s_or_b32 exec_lo, exec_lo, s46
	s_delay_alu instid0(VALU_DEP_1) | instskip(NEXT) | instid1(VALU_DEP_2)
	v_dual_lshlrev_b32 v40, 24, v39 :: v_dual_lshlrev_b32 v12, 20, v12
	v_lshl_add_u32 v38, v38, 23, 0x3c000000
	s_delay_alu instid0(VALU_DEP_2) | instskip(NEXT) | instid1(VALU_DEP_1)
	v_and_b32_e32 v40, 0x80000000, v40
	v_or3_b32 v38, v12, v40, v38
.LBB305_87:                             ;   in Loop: Header=BB305_12 Depth=1
	s_or_b32 exec_lo, exec_lo, s45
.LBB305_88:                             ;   in Loop: Header=BB305_12 Depth=1
	s_delay_alu instid0(SALU_CYCLE_1)
	s_or_b32 exec_lo, exec_lo, s44
.LBB305_89:                             ;   in Loop: Header=BB305_12 Depth=1
	s_delay_alu instid0(SALU_CYCLE_1) | instskip(SKIP_2) | instid1(VALU_DEP_1)
	s_or_b32 exec_lo, exec_lo, s43
	v_lshrrev_b16 v12, 8, v39
	s_mov_b32 s43, exec_lo
	v_cmpx_ne_u16_e32 0, v12
	s_cbranch_execz .LBB305_97
; %bb.90:                               ;   in Loop: Header=BB305_12 Depth=1
	v_bfrev_b32_e32 v37, 1
	s_mov_b32 s44, exec_lo
	v_cmpx_ne_u16_e32 0x80, v12
	s_cbranch_execz .LBB305_96
; %bb.91:                               ;   in Loop: Header=BB305_12 Depth=1
	v_and_b32_e32 v12, 0xffff, v12
	v_mov_b32_e32 v37, 0x7f800001
	s_mov_b32 s45, exec_lo
	s_delay_alu instid0(VALU_DEP_2) | instskip(NEXT) | instid1(VALU_DEP_1)
	v_and_b32_e32 v40, 0x7f, v12
	v_cmpx_ne_u32_e32 0x7f, v40
	s_cbranch_execz .LBB305_95
; %bb.92:                               ;   in Loop: Header=BB305_12 Depth=1
	v_and_b32_e32 v12, 7, v12
	v_lshrrev_b32_e32 v37, 3, v40
	s_mov_b32 s46, exec_lo
	v_cmpx_gt_u32_e32 8, v40
; %bb.93:                               ;   in Loop: Header=BB305_12 Depth=1
	s_delay_alu instid0(VALU_DEP_3) | instskip(NEXT) | instid1(VALU_DEP_1)
	v_clz_i32_u32_e32 v37, v12
	v_min_u32_e32 v37, 32, v37
	s_delay_alu instid0(VALU_DEP_1) | instskip(NEXT) | instid1(VALU_DEP_1)
	v_subrev_nc_u32_e32 v40, 28, v37
	v_lshlrev_b64_e32 v[40:41], v40, v[12:13]
	s_delay_alu instid0(VALU_DEP_1)
	v_dual_sub_nc_u32 v37, 29, v37 :: v_dual_bitop2_b32 v12, 7, v40 bitop3:0x40
; %bb.94:                               ;   in Loop: Header=BB305_12 Depth=1
	s_or_b32 exec_lo, exec_lo, s46
	s_delay_alu instid0(VALU_DEP_1) | instskip(NEXT) | instid1(VALU_DEP_2)
	v_dual_lshlrev_b32 v39, 16, v39 :: v_dual_lshlrev_b32 v12, 20, v12
	v_lshl_add_u32 v37, v37, 23, 0x3c000000
	s_delay_alu instid0(VALU_DEP_2) | instskip(NEXT) | instid1(VALU_DEP_1)
	v_and_b32_e32 v39, 0x80000000, v39
	v_or3_b32 v37, v12, v39, v37
.LBB305_95:                             ;   in Loop: Header=BB305_12 Depth=1
	s_or_b32 exec_lo, exec_lo, s45
.LBB305_96:                             ;   in Loop: Header=BB305_12 Depth=1
	s_delay_alu instid0(SALU_CYCLE_1)
	s_or_b32 exec_lo, exec_lo, s44
.LBB305_97:                             ;   in Loop: Header=BB305_12 Depth=1
	s_delay_alu instid0(SALU_CYCLE_1)
	s_or_b32 exec_lo, exec_lo, s43
	global_load_u16 v12, v[20:21], off offset:264
	v_mov_b32_e32 v39, 0
	s_wait_loadcnt 0x0
	v_and_b32_e32 v40, 0xff, v12
	v_and_b32_e32 v41, 0xffff, v12
	s_delay_alu instid0(VALU_DEP_2)
	v_cmp_ne_u16_e64 s5, 0, v40
	v_mov_b32_e32 v40, 0
	s_and_saveexec_b32 s43, s5
	s_cbranch_execz .LBB305_105
; %bb.98:                               ;   in Loop: Header=BB305_12 Depth=1
	v_and_b32_e32 v12, 0xff, v41
	v_bfrev_b32_e32 v40, 1
	s_mov_b32 s44, exec_lo
	s_delay_alu instid0(VALU_DEP_2)
	v_cmpx_ne_u16_e32 0x80, v12
	s_cbranch_execz .LBB305_104
; %bb.99:                               ;   in Loop: Header=BB305_12 Depth=1
	v_and_b32_e32 v42, 0x7f, v41
	v_mov_b32_e32 v40, 0x7f800001
	s_mov_b32 s45, exec_lo
	s_delay_alu instid0(VALU_DEP_2)
	v_cmpx_ne_u32_e32 0x7f, v42
	s_cbranch_execz .LBB305_103
; %bb.100:                              ;   in Loop: Header=BB305_12 Depth=1
	v_dual_lshrrev_b32 v40, 3, v42 :: v_dual_bitop2_b32 v12, 7, v41 bitop3:0x40
	s_mov_b32 s46, exec_lo
	v_cmpx_gt_u32_e32 8, v42
; %bb.101:                              ;   in Loop: Header=BB305_12 Depth=1
	s_delay_alu instid0(VALU_DEP_2) | instskip(NEXT) | instid1(VALU_DEP_1)
	v_clz_i32_u32_e32 v40, v12
	v_min_u32_e32 v40, 32, v40
	s_delay_alu instid0(VALU_DEP_1) | instskip(NEXT) | instid1(VALU_DEP_1)
	v_subrev_nc_u32_e32 v42, 28, v40
	v_lshlrev_b64_e32 v[42:43], v42, v[12:13]
	s_delay_alu instid0(VALU_DEP_1)
	v_dual_sub_nc_u32 v40, 29, v40 :: v_dual_bitop2_b32 v12, 7, v42 bitop3:0x40
; %bb.102:                              ;   in Loop: Header=BB305_12 Depth=1
	s_or_b32 exec_lo, exec_lo, s46
	s_delay_alu instid0(VALU_DEP_1) | instskip(NEXT) | instid1(VALU_DEP_2)
	v_dual_lshlrev_b32 v42, 24, v41 :: v_dual_lshlrev_b32 v12, 20, v12
	v_lshl_add_u32 v40, v40, 23, 0x3c000000
	s_delay_alu instid0(VALU_DEP_2) | instskip(NEXT) | instid1(VALU_DEP_1)
	v_and_b32_e32 v42, 0x80000000, v42
	v_or3_b32 v40, v12, v42, v40
.LBB305_103:                            ;   in Loop: Header=BB305_12 Depth=1
	s_or_b32 exec_lo, exec_lo, s45
.LBB305_104:                            ;   in Loop: Header=BB305_12 Depth=1
	s_delay_alu instid0(SALU_CYCLE_1)
	s_or_b32 exec_lo, exec_lo, s44
.LBB305_105:                            ;   in Loop: Header=BB305_12 Depth=1
	s_delay_alu instid0(SALU_CYCLE_1) | instskip(SKIP_2) | instid1(VALU_DEP_1)
	s_or_b32 exec_lo, exec_lo, s43
	v_lshrrev_b16 v12, 8, v41
	s_mov_b32 s43, exec_lo
	v_cmpx_ne_u16_e32 0, v12
	s_cbranch_execz .LBB305_113
; %bb.106:                              ;   in Loop: Header=BB305_12 Depth=1
	v_bfrev_b32_e32 v39, 1
	s_mov_b32 s44, exec_lo
	v_cmpx_ne_u16_e32 0x80, v12
	s_cbranch_execz .LBB305_112
; %bb.107:                              ;   in Loop: Header=BB305_12 Depth=1
	v_and_b32_e32 v12, 0xffff, v12
	v_mov_b32_e32 v39, 0x7f800001
	s_mov_b32 s45, exec_lo
	s_delay_alu instid0(VALU_DEP_2) | instskip(NEXT) | instid1(VALU_DEP_1)
	v_and_b32_e32 v42, 0x7f, v12
	v_cmpx_ne_u32_e32 0x7f, v42
	s_cbranch_execz .LBB305_111
; %bb.108:                              ;   in Loop: Header=BB305_12 Depth=1
	v_dual_lshrrev_b32 v39, 3, v42 :: v_dual_bitop2_b32 v12, 7, v12 bitop3:0x40
	s_mov_b32 s46, exec_lo
	v_cmpx_gt_u32_e32 8, v42
; %bb.109:                              ;   in Loop: Header=BB305_12 Depth=1
	s_delay_alu instid0(VALU_DEP_2) | instskip(NEXT) | instid1(VALU_DEP_1)
	v_clz_i32_u32_e32 v39, v12
	v_min_u32_e32 v39, 32, v39
	s_delay_alu instid0(VALU_DEP_1) | instskip(NEXT) | instid1(VALU_DEP_1)
	v_subrev_nc_u32_e32 v42, 28, v39
	v_lshlrev_b64_e32 v[42:43], v42, v[12:13]
	s_delay_alu instid0(VALU_DEP_1)
	v_dual_sub_nc_u32 v39, 29, v39 :: v_dual_bitop2_b32 v12, 7, v42 bitop3:0x40
; %bb.110:                              ;   in Loop: Header=BB305_12 Depth=1
	s_or_b32 exec_lo, exec_lo, s46
	s_delay_alu instid0(VALU_DEP_1) | instskip(NEXT) | instid1(VALU_DEP_2)
	v_dual_lshlrev_b32 v41, 16, v41 :: v_dual_lshlrev_b32 v12, 20, v12
	v_lshl_add_u32 v39, v39, 23, 0x3c000000
	s_delay_alu instid0(VALU_DEP_2) | instskip(NEXT) | instid1(VALU_DEP_1)
	v_and_b32_e32 v41, 0x80000000, v41
	v_or3_b32 v39, v12, v41, v39
.LBB305_111:                            ;   in Loop: Header=BB305_12 Depth=1
	s_or_b32 exec_lo, exec_lo, s45
.LBB305_112:                            ;   in Loop: Header=BB305_12 Depth=1
	s_delay_alu instid0(SALU_CYCLE_1)
	s_or_b32 exec_lo, exec_lo, s44
.LBB305_113:                            ;   in Loop: Header=BB305_12 Depth=1
	s_delay_alu instid0(SALU_CYCLE_1)
	s_or_b32 exec_lo, exec_lo, s43
	global_load_u16 v12, v[20:21], off offset:384
	v_mov_b32_e32 v41, 0
	s_wait_loadcnt 0x0
	v_and_b32_e32 v42, 0xff, v12
	v_and_b32_e32 v43, 0xffff, v12
	s_delay_alu instid0(VALU_DEP_2)
	v_cmp_ne_u16_e64 s5, 0, v42
	v_mov_b32_e32 v42, 0
	s_and_saveexec_b32 s43, s5
	s_cbranch_execz .LBB305_121
; %bb.114:                              ;   in Loop: Header=BB305_12 Depth=1
	v_and_b32_e32 v12, 0xff, v43
	v_bfrev_b32_e32 v42, 1
	s_mov_b32 s44, exec_lo
	s_delay_alu instid0(VALU_DEP_2)
	v_cmpx_ne_u16_e32 0x80, v12
	s_cbranch_execz .LBB305_120
; %bb.115:                              ;   in Loop: Header=BB305_12 Depth=1
	v_and_b32_e32 v44, 0x7f, v43
	v_mov_b32_e32 v42, 0x7f800001
	s_mov_b32 s45, exec_lo
	s_delay_alu instid0(VALU_DEP_2)
	v_cmpx_ne_u32_e32 0x7f, v44
	s_cbranch_execz .LBB305_119
; %bb.116:                              ;   in Loop: Header=BB305_12 Depth=1
	v_dual_lshrrev_b32 v42, 3, v44 :: v_dual_bitop2_b32 v12, 7, v43 bitop3:0x40
	s_mov_b32 s46, exec_lo
	v_cmpx_gt_u32_e32 8, v44
; %bb.117:                              ;   in Loop: Header=BB305_12 Depth=1
	s_delay_alu instid0(VALU_DEP_2) | instskip(NEXT) | instid1(VALU_DEP_1)
	v_clz_i32_u32_e32 v42, v12
	v_min_u32_e32 v42, 32, v42
	s_delay_alu instid0(VALU_DEP_1) | instskip(NEXT) | instid1(VALU_DEP_1)
	v_subrev_nc_u32_e32 v44, 28, v42
	v_lshlrev_b64_e32 v[44:45], v44, v[12:13]
	s_delay_alu instid0(VALU_DEP_1)
	v_dual_sub_nc_u32 v42, 29, v42 :: v_dual_bitop2_b32 v12, 7, v44 bitop3:0x40
; %bb.118:                              ;   in Loop: Header=BB305_12 Depth=1
	s_or_b32 exec_lo, exec_lo, s46
	s_delay_alu instid0(VALU_DEP_1) | instskip(NEXT) | instid1(VALU_DEP_2)
	v_dual_lshlrev_b32 v44, 24, v43 :: v_dual_lshlrev_b32 v12, 20, v12
	v_lshl_add_u32 v42, v42, 23, 0x3c000000
	s_delay_alu instid0(VALU_DEP_2) | instskip(NEXT) | instid1(VALU_DEP_1)
	v_and_b32_e32 v44, 0x80000000, v44
	v_or3_b32 v42, v12, v44, v42
.LBB305_119:                            ;   in Loop: Header=BB305_12 Depth=1
	s_or_b32 exec_lo, exec_lo, s45
.LBB305_120:                            ;   in Loop: Header=BB305_12 Depth=1
	s_delay_alu instid0(SALU_CYCLE_1)
	s_or_b32 exec_lo, exec_lo, s44
.LBB305_121:                            ;   in Loop: Header=BB305_12 Depth=1
	s_delay_alu instid0(SALU_CYCLE_1) | instskip(SKIP_2) | instid1(VALU_DEP_1)
	s_or_b32 exec_lo, exec_lo, s43
	v_lshrrev_b16 v12, 8, v43
	s_mov_b32 s43, exec_lo
	v_cmpx_ne_u16_e32 0, v12
	s_cbranch_execz .LBB305_129
; %bb.122:                              ;   in Loop: Header=BB305_12 Depth=1
	v_bfrev_b32_e32 v41, 1
	s_mov_b32 s44, exec_lo
	v_cmpx_ne_u16_e32 0x80, v12
	s_cbranch_execz .LBB305_128
; %bb.123:                              ;   in Loop: Header=BB305_12 Depth=1
	v_and_b32_e32 v12, 0xffff, v12
	v_mov_b32_e32 v41, 0x7f800001
	s_mov_b32 s45, exec_lo
	s_delay_alu instid0(VALU_DEP_2) | instskip(NEXT) | instid1(VALU_DEP_1)
	v_and_b32_e32 v44, 0x7f, v12
	v_cmpx_ne_u32_e32 0x7f, v44
	s_cbranch_execz .LBB305_127
; %bb.124:                              ;   in Loop: Header=BB305_12 Depth=1
	v_and_b32_e32 v12, 7, v12
	v_lshrrev_b32_e32 v41, 3, v44
	s_mov_b32 s46, exec_lo
	v_cmpx_gt_u32_e32 8, v44
; %bb.125:                              ;   in Loop: Header=BB305_12 Depth=1
	s_delay_alu instid0(VALU_DEP_3) | instskip(NEXT) | instid1(VALU_DEP_1)
	v_clz_i32_u32_e32 v41, v12
	v_min_u32_e32 v41, 32, v41
	s_delay_alu instid0(VALU_DEP_1) | instskip(NEXT) | instid1(VALU_DEP_1)
	v_subrev_nc_u32_e32 v44, 28, v41
	v_lshlrev_b64_e32 v[44:45], v44, v[12:13]
	s_delay_alu instid0(VALU_DEP_1)
	v_dual_sub_nc_u32 v41, 29, v41 :: v_dual_bitop2_b32 v12, 7, v44 bitop3:0x40
; %bb.126:                              ;   in Loop: Header=BB305_12 Depth=1
	s_or_b32 exec_lo, exec_lo, s46
	s_delay_alu instid0(VALU_DEP_1) | instskip(NEXT) | instid1(VALU_DEP_2)
	v_dual_lshlrev_b32 v43, 16, v43 :: v_dual_lshlrev_b32 v12, 20, v12
	v_lshl_add_u32 v41, v41, 23, 0x3c000000
	s_delay_alu instid0(VALU_DEP_2) | instskip(NEXT) | instid1(VALU_DEP_1)
	v_and_b32_e32 v43, 0x80000000, v43
	v_or3_b32 v41, v12, v43, v41
.LBB305_127:                            ;   in Loop: Header=BB305_12 Depth=1
	s_or_b32 exec_lo, exec_lo, s45
.LBB305_128:                            ;   in Loop: Header=BB305_12 Depth=1
	s_delay_alu instid0(SALU_CYCLE_1)
	s_or_b32 exec_lo, exec_lo, s44
.LBB305_129:                            ;   in Loop: Header=BB305_12 Depth=1
	s_delay_alu instid0(SALU_CYCLE_1)
	s_or_b32 exec_lo, exec_lo, s43
	global_load_u16 v12, v[20:21], off offset:392
	s_wait_xcnt 0x0
	v_mov_b32_e32 v20, 0
	s_wait_loadcnt 0x0
	v_and_b32_e32 v21, 0xff, v12
	v_and_b32_e32 v43, 0xffff, v12
	s_delay_alu instid0(VALU_DEP_2)
	v_cmp_ne_u16_e64 s5, 0, v21
	v_mov_b32_e32 v21, 0
	s_and_saveexec_b32 s43, s5
	s_cbranch_execz .LBB305_137
; %bb.130:                              ;   in Loop: Header=BB305_12 Depth=1
	v_and_b32_e32 v12, 0xff, v43
	v_bfrev_b32_e32 v21, 1
	s_mov_b32 s44, exec_lo
	s_delay_alu instid0(VALU_DEP_2)
	v_cmpx_ne_u16_e32 0x80, v12
	s_cbranch_execz .LBB305_136
; %bb.131:                              ;   in Loop: Header=BB305_12 Depth=1
	v_and_b32_e32 v44, 0x7f, v43
	v_mov_b32_e32 v21, 0x7f800001
	s_mov_b32 s45, exec_lo
	s_delay_alu instid0(VALU_DEP_2)
	v_cmpx_ne_u32_e32 0x7f, v44
	s_cbranch_execz .LBB305_135
; %bb.132:                              ;   in Loop: Header=BB305_12 Depth=1
	v_dual_lshrrev_b32 v21, 3, v44 :: v_dual_bitop2_b32 v12, 7, v43 bitop3:0x40
	s_mov_b32 s46, exec_lo
	v_cmpx_gt_u32_e32 8, v44
; %bb.133:                              ;   in Loop: Header=BB305_12 Depth=1
	s_delay_alu instid0(VALU_DEP_2) | instskip(NEXT) | instid1(VALU_DEP_1)
	v_clz_i32_u32_e32 v21, v12
	v_min_u32_e32 v21, 32, v21
	s_delay_alu instid0(VALU_DEP_1) | instskip(NEXT) | instid1(VALU_DEP_1)
	v_subrev_nc_u32_e32 v44, 28, v21
	v_lshlrev_b64_e32 v[44:45], v44, v[12:13]
	s_delay_alu instid0(VALU_DEP_1)
	v_dual_sub_nc_u32 v21, 29, v21 :: v_dual_bitop2_b32 v12, 7, v44 bitop3:0x40
; %bb.134:                              ;   in Loop: Header=BB305_12 Depth=1
	s_or_b32 exec_lo, exec_lo, s46
	s_delay_alu instid0(VALU_DEP_1) | instskip(NEXT) | instid1(VALU_DEP_2)
	v_dual_lshlrev_b32 v44, 24, v43 :: v_dual_lshlrev_b32 v12, 20, v12
	v_lshl_add_u32 v21, v21, 23, 0x3c000000
	s_delay_alu instid0(VALU_DEP_2) | instskip(NEXT) | instid1(VALU_DEP_1)
	v_and_b32_e32 v44, 0x80000000, v44
	v_or3_b32 v21, v12, v44, v21
.LBB305_135:                            ;   in Loop: Header=BB305_12 Depth=1
	s_or_b32 exec_lo, exec_lo, s45
.LBB305_136:                            ;   in Loop: Header=BB305_12 Depth=1
	s_delay_alu instid0(SALU_CYCLE_1)
	s_or_b32 exec_lo, exec_lo, s44
.LBB305_137:                            ;   in Loop: Header=BB305_12 Depth=1
	s_delay_alu instid0(SALU_CYCLE_1) | instskip(SKIP_2) | instid1(VALU_DEP_1)
	s_or_b32 exec_lo, exec_lo, s43
	v_lshrrev_b16 v12, 8, v43
	s_mov_b32 s43, exec_lo
	v_cmpx_ne_u16_e32 0, v12
	s_cbranch_execz .LBB305_145
; %bb.138:                              ;   in Loop: Header=BB305_12 Depth=1
	v_bfrev_b32_e32 v20, 1
	s_mov_b32 s44, exec_lo
	v_cmpx_ne_u16_e32 0x80, v12
	s_cbranch_execz .LBB305_144
; %bb.139:                              ;   in Loop: Header=BB305_12 Depth=1
	v_and_b32_e32 v12, 0xffff, v12
	v_mov_b32_e32 v20, 0x7f800001
	s_mov_b32 s45, exec_lo
	s_delay_alu instid0(VALU_DEP_2) | instskip(NEXT) | instid1(VALU_DEP_1)
	v_and_b32_e32 v44, 0x7f, v12
	v_cmpx_ne_u32_e32 0x7f, v44
	s_cbranch_execz .LBB305_143
; %bb.140:                              ;   in Loop: Header=BB305_12 Depth=1
	v_and_b32_e32 v12, 7, v12
	v_lshrrev_b32_e32 v20, 3, v44
	s_mov_b32 s46, exec_lo
	v_cmpx_gt_u32_e32 8, v44
; %bb.141:                              ;   in Loop: Header=BB305_12 Depth=1
	s_delay_alu instid0(VALU_DEP_3) | instskip(NEXT) | instid1(VALU_DEP_1)
	v_clz_i32_u32_e32 v20, v12
	v_min_u32_e32 v20, 32, v20
	s_delay_alu instid0(VALU_DEP_1) | instskip(SKIP_1) | instid1(VALU_DEP_2)
	v_subrev_nc_u32_e32 v44, 28, v20
	v_sub_nc_u32_e32 v20, 29, v20
	v_lshlrev_b64_e32 v[44:45], v44, v[12:13]
	s_delay_alu instid0(VALU_DEP_1)
	v_and_b32_e32 v12, 7, v44
; %bb.142:                              ;   in Loop: Header=BB305_12 Depth=1
	s_or_b32 exec_lo, exec_lo, s46
	s_delay_alu instid0(VALU_DEP_1) | instskip(SKIP_1) | instid1(VALU_DEP_2)
	v_dual_lshlrev_b32 v43, 16, v43 :: v_dual_lshlrev_b32 v12, 20, v12
	v_lshl_add_u32 v20, v20, 23, 0x3c000000
	v_and_b32_e32 v43, 0x80000000, v43
	s_delay_alu instid0(VALU_DEP_1)
	v_or3_b32 v20, v12, v43, v20
.LBB305_143:                            ;   in Loop: Header=BB305_12 Depth=1
	s_or_b32 exec_lo, exec_lo, s45
.LBB305_144:                            ;   in Loop: Header=BB305_12 Depth=1
	s_delay_alu instid0(SALU_CYCLE_1)
	s_or_b32 exec_lo, exec_lo, s44
.LBB305_145:                            ;   in Loop: Header=BB305_12 Depth=1
	s_delay_alu instid0(SALU_CYCLE_1)
	s_or_b32 exec_lo, exec_lo, s43
	s_wait_kmcnt 0x0
	v_fma_mixlo_bf16 v12, s42, v32, 0
	v_fma_mixlo_bf16 v31, s42, v31, 0
	s_wait_dscnt 0x1
	v_lshlrev_b32_e32 v32, 16, v7
	v_and_b32_e32 v7, 0xffff0000, v7
	v_fma_mixlo_bf16 v15, s42, v15, 0
	v_dual_lshlrev_b32 v12, 16, v12 :: v_dual_lshlrev_b32 v31, 16, v31
	v_fma_mixlo_bf16 v30, s42, v30, 0
	s_delay_alu instid0(VALU_DEP_2) | instskip(SKIP_2) | instid1(VALU_DEP_3)
	v_dual_mul_f32 v12, v32, v12 :: v_dual_mul_f32 v7, v7, v31
	v_fma_mixlo_bf16 v31, s42, v33, 0
	v_fma_mixlo_bf16 v32, s42, v34, 0
	v_fma_mix_f32_bf16 v12, v6, v30, v12 op_sel_hi:[1,1,0]
	s_delay_alu instid0(VALU_DEP_4)
	v_fma_mix_f32_bf16 v6, v6, v15, v7 op_sel:[1,0,0] op_sel_hi:[1,1,0]
	v_fma_mixlo_bf16 v7, s42, v35, 0
	v_fma_mixlo_bf16 v15, s42, v36, 0
	;; [unrolled: 1-line block ×3, first 2 shown]
	v_fma_mix_f32_bf16 v12, v8, v32, v12 op_sel_hi:[1,1,0]
	v_fma_mix_f32_bf16 v6, v8, v31, v6 op_sel:[1,0,0] op_sel_hi:[1,1,0]
	v_fma_mixlo_bf16 v8, s42, v37, 0
	s_delay_alu instid0(VALU_DEP_3) | instskip(NEXT) | instid1(VALU_DEP_3)
	v_fma_mix_f32_bf16 v12, v9, v15, v12 op_sel_hi:[1,1,0]
	v_fma_mix_f32_bf16 v6, v9, v7, v6 op_sel:[1,0,0] op_sel_hi:[1,1,0]
	v_fma_mixlo_bf16 v7, s42, v39, 0
	v_fma_mixlo_bf16 v9, s42, v40, 0
	s_wait_dscnt 0x0
	v_fma_mix_f32_bf16 v12, v2, v30, v12 op_sel_hi:[1,1,0]
	v_fma_mix_f32_bf16 v2, v2, v8, v6 op_sel:[1,0,0] op_sel_hi:[1,1,0]
	v_fma_mixlo_bf16 v6, s42, v41, 0
	v_fma_mixlo_bf16 v8, s42, v42, 0
	s_delay_alu instid0(VALU_DEP_4) | instskip(NEXT) | instid1(VALU_DEP_4)
	v_fma_mix_f32_bf16 v9, v3, v9, v12 op_sel_hi:[1,1,0]
	v_fma_mix_f32_bf16 v2, v3, v7, v2 op_sel:[1,0,0] op_sel_hi:[1,1,0]
	v_xor_b32_e32 v7, 2, v22
	v_fma_mixlo_bf16 v3, s42, v21, 0
	v_fma_mixlo_bf16 v12, s42, v20, 0
	v_fma_mix_f32_bf16 v8, v4, v8, v9 op_sel_hi:[1,1,0]
	v_fma_mix_f32_bf16 v2, v4, v6, v2 op_sel:[1,0,0] op_sel_hi:[1,1,0]
	v_cmp_gt_i32_e64 s5, 32, v7
	s_delay_alu instid0(VALU_DEP_3) | instskip(NEXT) | instid1(VALU_DEP_3)
	v_fma_mix_f32_bf16 v3, v5, v3, v8 op_sel_hi:[1,1,0]
	v_fma_mix_f32_bf16 v2, v5, v12, v2 op_sel:[1,0,0] op_sel_hi:[1,1,0]
	s_delay_alu instid0(VALU_DEP_1) | instskip(NEXT) | instid1(VALU_DEP_1)
	v_dual_cndmask_b32 v4, v22, v7, s5 :: v_dual_add_f32 v2, v3, v2
	v_lshlrev_b32_e32 v4, 2, v4
	ds_bpermute_b32 v3, v4, v2
	s_wait_dscnt 0x0
	v_dual_add_f32 v2, v2, v3 :: v_dual_bitop2_b32 v4, 1, v22 bitop3:0x14
	s_delay_alu instid0(VALU_DEP_1) | instskip(NEXT) | instid1(VALU_DEP_1)
	v_cmp_gt_i32_e64 s5, 32, v4
	v_cndmask_b32_e64 v4, v22, v4, s5
	s_delay_alu instid0(VALU_DEP_1)
	v_lshlrev_b32_e32 v4, 2, v4
	ds_bpermute_b32 v3, v4, v2
	s_and_saveexec_b32 s42, s4
	s_cbranch_execz .LBB305_10
; %bb.146:                              ;   in Loop: Header=BB305_12 Depth=1
	v_add_nc_u32_e32 v4, v26, v14
	s_wait_dscnt 0x0
	v_add_f32_e32 v2, v2, v3
	s_delay_alu instid0(VALU_DEP_2) | instskip(NEXT) | instid1(VALU_DEP_1)
	v_cvt_f32_i32_e32 v4, v4
	v_mul_f32_e32 v4, s37, v4
	s_delay_alu instid0(VALU_DEP_1) | instskip(NEXT) | instid1(VALU_DEP_1)
	v_dual_cndmask_b32 v3, 0, v4 :: v_dual_max_num_f32 v4, v25, v25
	v_fmac_f32_e32 v3, s7, v2
	v_add_nc_u32_e32 v2, v23, v14
	s_delay_alu instid0(VALU_DEP_1) | instskip(NEXT) | instid1(VALU_DEP_3)
	v_cmp_gt_i32_e64 s5, s34, v2
	v_max_num_f32_e32 v4, v4, v3
	s_delay_alu instid0(VALU_DEP_1)
	v_dual_cndmask_b32 v25, v25, v4, s5 :: v_dual_cndmask_b32 v2, 0, v3, s5
	ds_store_b32 v27, v2
	s_branch .LBB305_10
.LBB305_147:
	s_or_b32 exec_lo, exec_lo, s41
.LBB305_148:
	s_delay_alu instid0(SALU_CYCLE_1)
	s_or_b32 exec_lo, exec_lo, s38
	v_dual_max_num_f32 v5, v25, v25 :: v_dual_bitop2_b32 v2, 16, v22 bitop3:0x14
	v_xor_b32_e32 v4, 8, v22
	s_clause 0x1
	s_load_b64 s[6:7], s[0:1], 0x0
	s_load_b64 s[8:9], s[0:1], 0x18
	v_and_b32_e32 v26, 31, v0
	v_cmp_gt_i32_e32 vcc_lo, 32, v2
	v_cndmask_b32_e32 v2, v22, v2, vcc_lo
	v_cmp_gt_i32_e32 vcc_lo, 32, v4
	s_delay_alu instid0(VALU_DEP_2) | instskip(SKIP_4) | instid1(VALU_DEP_1)
	v_dual_cndmask_b32 v4, v22, v4, vcc_lo :: v_dual_lshlrev_b32 v2, 2, v2
	s_wait_dscnt 0x0
	ds_bpermute_b32 v3, v2, v25
	s_wait_dscnt 0x0
	v_dual_max_num_f32 v6, v3, v3 :: v_dual_lshlrev_b32 v3, 2, v4
	v_max_num_f32_e32 v4, v5, v6
	ds_bpermute_b32 v5, v3, v4
	s_wait_dscnt 0x0
	v_dual_max_num_f32 v5, v5, v5 :: v_dual_bitop2_b32 v6, 4, v22 bitop3:0x14
	s_delay_alu instid0(VALU_DEP_1) | instskip(NEXT) | instid1(VALU_DEP_2)
	v_max_num_f32_e32 v5, v4, v5
	v_cmp_gt_i32_e32 vcc_lo, 32, v6
	v_dual_lshlrev_b32 v4, 2, v1 :: v_dual_cndmask_b32 v6, v22, v6, vcc_lo
	v_cmp_eq_u32_e32 vcc_lo, 0, v26
	s_delay_alu instid0(VALU_DEP_2)
	v_lshlrev_b32_e32 v6, 2, v6
	ds_bpermute_b32 v7, v6, v5
	s_wait_xcnt 0x0
	s_and_saveexec_b32 s0, vcc_lo
	s_cbranch_execz .LBB305_150
; %bb.149:
	s_wait_dscnt 0x0
	v_dual_max_num_f32 v7, v7, v7 :: v_dual_max_num_f32 v5, v5, v5
	s_delay_alu instid0(VALU_DEP_1)
	v_max_num_f32_e32 v5, v5, v7
	ds_store_b32 v4, v5 offset:128
.LBB305_150:
	s_or_b32 exec_lo, exec_lo, s0
	v_cmp_gt_u32_e64 s0, 4, v26
	v_dual_mov_b32 v8, 0xff7fffff :: v_dual_lshlrev_b32 v5, 2, v26
	s_wait_dscnt 0x0
	s_barrier_signal -1
	s_barrier_wait -1
	s_and_saveexec_b32 s1, s0
; %bb.151:
	ds_load_b32 v8, v5 offset:128
; %bb.152:
	s_or_b32 exec_lo, exec_lo, s1
	s_wait_dscnt 0x0
	v_dual_max_num_f32 v13, v8, v8 :: v_dual_bitop2_b32 v7, 2, v22 bitop3:0x14
	v_xor_b32_e32 v12, 1, v22
	s_delay_alu instid0(VALU_DEP_2) | instskip(NEXT) | instid1(VALU_DEP_1)
	v_cmp_gt_i32_e64 s1, 32, v7
	v_cndmask_b32_e64 v7, v22, v7, s1
	s_delay_alu instid0(VALU_DEP_3) | instskip(NEXT) | instid1(VALU_DEP_2)
	v_cmp_gt_i32_e64 s1, 32, v12
	v_lshlrev_b32_e32 v7, 2, v7
	ds_bpermute_b32 v9, v7, v8
	v_cndmask_b32_e64 v8, v22, v12, s1
	s_lshl_b32 s1, s35, 3
	s_delay_alu instid0(SALU_CYCLE_1) | instskip(NEXT) | instid1(SALU_CYCLE_1)
	s_min_i32 s5, s1, s34
	v_cmp_gt_i32_e64 s1, s5, v0
	s_wait_dscnt 0x0
	v_dual_max_num_f32 v9, v9, v9 :: v_dual_lshlrev_b32 v8, 2, v8
	s_delay_alu instid0(VALU_DEP_1) | instskip(SKIP_3) | instid1(VALU_DEP_1)
	v_max_num_f32_e32 v9, v13, v9
	ds_bpermute_b32 v12, v8, v9
	s_wait_dscnt 0x0
	v_max_num_f32_e32 v12, v12, v12
	v_dual_max_num_f32 v12, v9, v12 :: v_dual_mov_b32 v9, 0
	ds_bpermute_b32 v12, v9, v12
	s_and_saveexec_b32 s19, s1
	s_cbranch_execz .LBB305_156
; %bb.153:
	v_lshl_add_u32 v13, v0, 2, 0xa0
	v_dual_mov_b32 v9, 0 :: v_dual_mov_b32 v14, v0
	s_mov_b32 s28, 0
.LBB305_154:                            ; =>This Inner Loop Header: Depth=1
	ds_load_b32 v15, v13
	v_add_nc_u32_e32 v14, 0x80, v14
	s_delay_alu instid0(VALU_DEP_1) | instskip(SKIP_3) | instid1(VALU_DEP_1)
	v_cmp_le_i32_e64 s4, s5, v14
	s_or_b32 s28, s4, s28
	s_wait_dscnt 0x0
	v_sub_f32_e32 v15, v15, v12
	v_mul_f32_e32 v15, 0x3fb8aa3b, v15
	s_delay_alu instid0(VALU_DEP_1)
	v_exp_f32_e32 v15, v15
	ds_store_b32 v13, v15
	v_nop
	v_add_f32_e32 v9, v9, v15
	v_add_nc_u32_e32 v13, 0x200, v13
	s_and_not1_b32 exec_lo, exec_lo, s28
	s_cbranch_execnz .LBB305_154
; %bb.155:
	s_or_b32 exec_lo, exec_lo, s28
.LBB305_156:
	s_delay_alu instid0(SALU_CYCLE_1)
	s_or_b32 exec_lo, exec_lo, s19
	ds_bpermute_b32 v2, v2, v9
	s_wait_dscnt 0x0
	v_add_f32_e32 v2, v9, v2
	ds_bpermute_b32 v3, v3, v2
	s_wait_dscnt 0x0
	v_add_f32_e32 v2, v2, v3
	;; [unrolled: 3-line block ×5, first 2 shown]
	s_and_saveexec_b32 s4, vcc_lo
; %bb.157:
	ds_store_b32 v4, v2 offset:144
; %bb.158:
	s_or_b32 exec_lo, exec_lo, s4
	s_wait_dscnt 0x0
	s_barrier_signal -1
	s_barrier_wait -1
	s_and_saveexec_b32 s4, s0
; %bb.159:
	ds_load_b32 v2, v5 offset:144
; %bb.160:
	s_or_b32 exec_lo, exec_lo, s4
	s_wait_dscnt 0x0
	ds_bpermute_b32 v3, v7, v2
	s_wait_dscnt 0x0
	v_add_f32_e32 v2, v2, v3
	ds_bpermute_b32 v3, v8, v2
	s_wait_dscnt 0x0
	v_dual_add_f32 v2, v2, v3 :: v_dual_mov_b32 v3, 0
	ds_bpermute_b32 v2, v3, v2
	s_and_saveexec_b32 s0, s1
	s_cbranch_execz .LBB305_173
; %bb.161:
	s_wait_dscnt 0x0
	v_add_f32_e32 v2, 0x358637bd, v2
	s_mov_b32 s4, -1
	s_mov_b32 s1, exec_lo
	s_delay_alu instid0(VALU_DEP_1) | instskip(NEXT) | instid1(VALU_DEP_1)
	v_div_scale_f32 v3, null, v2, v2, 1.0
	v_rcp_f32_e32 v5, v3
	v_nop
	s_delay_alu instid0(TRANS32_DEP_1) | instskip(NEXT) | instid1(VALU_DEP_1)
	v_fma_f32 v4, -v3, v5, 1.0
	v_fmac_f32_e32 v5, v4, v5
	v_div_scale_f32 v6, vcc_lo, 1.0, v2, 1.0
	s_delay_alu instid0(VALU_DEP_1) | instskip(NEXT) | instid1(VALU_DEP_1)
	v_mul_f32_e32 v7, v6, v5
	v_fma_f32 v4, -v3, v7, v6
	s_delay_alu instid0(VALU_DEP_1) | instskip(SKIP_1) | instid1(VALU_DEP_2)
	v_fmac_f32_e32 v7, v4, v5
	v_xad_u32 v4, v0, -1, s5
	v_fma_f32 v3, -v3, v7, v6
	s_delay_alu instid0(VALU_DEP_1) | instskip(NEXT) | instid1(VALU_DEP_1)
	v_div_fmas_f32 v3, v3, v5, v7
	v_div_fixup_f32 v2, v3, v2, 1.0
	v_mov_b32_e32 v3, v0
	v_cmpx_lt_u32_e32 0x7f, v4
	s_cbranch_execz .LBB305_170
; %bb.162:
	s_delay_alu instid0(VALU_DEP_3) | instskip(NEXT) | instid1(VALU_DEP_1)
	v_dual_mov_b32 v3, v2 :: v_dual_lshrrev_b32 v4, 7, v4
	v_dual_mov_b32 v8, 0 :: v_dual_add_nc_u32 v5, -1, v4
	s_delay_alu instid0(VALU_DEP_1) | instskip(SKIP_1) | instid1(VALU_DEP_2)
	v_lshrrev_b32_e32 v6, 1, v5
	v_cmp_lt_u32_e32 vcc_lo, 13, v5
	v_add_nc_u32_e32 v5, 1, v6
	s_and_saveexec_b32 s4, vcc_lo
	s_cbranch_execz .LBB305_166
; %bb.163:
	s_delay_alu instid0(VALU_DEP_1)
	v_and_b32_e32 v6, -8, v5
	v_lshl_add_u32 v7, v0, 2, 0xa0
	s_mov_b32 s19, 0
	s_mov_b32 s28, 0
.LBB305_164:                            ; =>This Inner Loop Header: Depth=1
	ds_load_2addr_stride64_b32 v[8:9], v7 offset1:2
	ds_load_2addr_stride64_b32 v[12:13], v7 offset0:4 offset1:6
	ds_load_2addr_stride64_b32 v[14:15], v7 offset0:8 offset1:10
	;; [unrolled: 1-line block ×7, first 2 shown]
	s_add_co_i32 s28, s28, 16
	v_add_nc_u32_e32 v6, -8, v6
	s_wait_dscnt 0x7
	v_pk_mul_f32 v[8:9], v[2:3], v[8:9]
	s_wait_dscnt 0x6
	v_pk_mul_f32 v[12:13], v[2:3], v[12:13]
	;; [unrolled: 2-line block ×8, first 2 shown]
	ds_store_2addr_stride64_b32 v7, v8, v9 offset1:2
	ds_store_2addr_stride64_b32 v7, v12, v13 offset0:4 offset1:6
	ds_store_2addr_stride64_b32 v7, v14, v15 offset0:8 offset1:10
	;; [unrolled: 1-line block ×7, first 2 shown]
	v_mov_b32_e32 v8, s28
	v_cmp_eq_u32_e32 vcc_lo, 0, v6
	v_add_nc_u32_e32 v7, 0x2000, v7
	s_or_b32 s19, vcc_lo, s19
	s_delay_alu instid0(SALU_CYCLE_1)
	s_and_not1_b32 exec_lo, exec_lo, s19
	s_cbranch_execnz .LBB305_164
; %bb.165:
	s_or_b32 exec_lo, exec_lo, s19
.LBB305_166:
	s_delay_alu instid0(SALU_CYCLE_1) | instskip(NEXT) | instid1(VALU_DEP_1)
	s_or_b32 exec_lo, exec_lo, s4
	v_and_b32_e32 v5, 7, v5
	s_mov_b32 s19, 0
	s_mov_b32 s4, exec_lo
	s_delay_alu instid0(VALU_DEP_1)
	v_cmpx_ne_u32_e32 0, v5
	s_cbranch_execz .LBB305_169
; %bb.167:
	v_lshlrev_b32_e32 v6, 9, v8
	v_lshlrev_b32_e32 v7, 2, v0
	s_delay_alu instid0(VALU_DEP_1)
	v_add3_u32 v6, v6, v7, 0xa0
.LBB305_168:                            ; =>This Inner Loop Header: Depth=1
	ds_load_2addr_stride64_b32 v[8:9], v6 offset1:2
	v_add_nc_u32_e32 v5, -1, v5
	s_delay_alu instid0(VALU_DEP_1)
	v_cmp_eq_u32_e32 vcc_lo, 0, v5
	s_or_b32 s19, vcc_lo, s19
	s_wait_dscnt 0x0
	v_pk_mul_f32 v[8:9], v[2:3], v[8:9]
	ds_store_2addr_stride64_b32 v6, v8, v9 offset1:2
	v_add_nc_u32_e32 v6, 0x400, v6
	s_and_not1_b32 exec_lo, exec_lo, s19
	s_cbranch_execnz .LBB305_168
.LBB305_169:
	s_or_b32 exec_lo, exec_lo, s4
	v_add_nc_u32_e32 v3, 1, v4
	s_delay_alu instid0(VALU_DEP_1) | instskip(NEXT) | instid1(VALU_DEP_1)
	v_and_b32_e32 v4, 0x3fffffe, v3
	v_cmp_ne_u32_e32 vcc_lo, v3, v4
	v_lshl_add_u32 v3, v4, 7, v0
	s_or_not1_b32 s4, vcc_lo, exec_lo
.LBB305_170:
	s_or_b32 exec_lo, exec_lo, s1
	s_delay_alu instid0(SALU_CYCLE_1)
	s_and_b32 exec_lo, exec_lo, s4
	s_cbranch_execz .LBB305_173
; %bb.171:
	v_lshl_add_u32 v4, v3, 2, 0xa0
	s_mov_b32 s1, 0
.LBB305_172:                            ; =>This Inner Loop Header: Depth=1
	ds_load_b32 v5, v4
	v_add_nc_u32_e32 v3, 0x80, v3
	s_delay_alu instid0(VALU_DEP_1)
	v_cmp_le_i32_e32 vcc_lo, s5, v3
	s_or_b32 s1, vcc_lo, s1
	s_wait_dscnt 0x0
	v_mul_f32_e32 v5, v2, v5
	ds_store_b32 v4, v5
	v_add_nc_u32_e32 v4, 0x200, v4
	s_and_not1_b32 exec_lo, exec_lo, s1
	s_cbranch_execnz .LBB305_172
.LBB305_173:
	s_or_b32 exec_lo, exec_lo, s0
	v_mov_b64_e32 v[12:13], 0
	s_wait_dscnt 0x0
	s_barrier_signal -1
	s_barrier_wait -1
	s_and_saveexec_b32 s1, s3
	s_cbranch_execz .LBB305_303
; %bb.174:
	s_abs_i32 s3, s14
	v_dual_mov_b32 v15, 0 :: v_dual_lshlrev_b32 v14, 3, v26
	s_cvt_f32_u32 s0, s3
	s_ashr_i32 s19, s18, 31
	s_lshl_b64 s[26:27], s[26:27], 2
	s_wait_kmcnt 0x0
	s_add_nc_u64 s[4:5], s[8:9], s[18:19]
	v_rcp_iflag_f32_e32 v2, s0
	v_add_nc_u64_e32 v[16:17], s[4:5], v[14:15]
	v_and_b32_e32 v14, 0x7c, v11
	s_add_nc_u64 s[8:9], s[24:25], s[26:27]
	s_sub_co_i32 s18, 0, s3
	v_mov_b64_e32 v[12:13], 0
	v_lshl_add_u32 v27, v1, 5, 0xa0
	v_readfirstlane_b32 s0, v2
	v_add_nc_u64_e32 v[18:19], s[8:9], v[14:15]
	v_mov_b32_e32 v28, v1
	s_mov_b32 s9, 0
	s_sub_co_i32 s13, s36, s13
	s_mul_f32 s0, s0, 0x4f7ffffe
	s_mov_b32 s14, s17
	s_add_co_i32 s17, s35, -1
	s_mov_b64 s[4:5], 0xffffffffffffff
	s_cvt_u32_f32 s0, s0
	s_delay_alu instid0(SALU_CYCLE_3) | instskip(NEXT) | instid1(SALU_CYCLE_1)
	s_mul_i32 s18, s18, s0
	s_mul_hi_u32 s8, s0, s18
	s_mov_b32 s18, s9
	s_add_co_i32 s8, s0, s8
	s_branch .LBB305_177
.LBB305_175:                            ;   in Loop: Header=BB305_177 Depth=1
	s_or_b32 exec_lo, exec_lo, s0
	s_wait_dscnt 0x1
	v_cvt_pk_bf16_f32 v6, v6, v7
	v_perm_b32 v7, v32, v33, 0x5040100
	s_wait_dscnt 0x0
	v_cvt_pk_bf16_f32 v3, v2, v3
	v_cvt_pk_bf16_f32 v8, v8, v9
	;; [unrolled: 1-line block ×3, first 2 shown]
	v_perm_b32 v5, v29, v31, 0x5040100
	v_pk_mul_bf16 v2, v6, v7
	v_perm_b32 v7, v11, v24, 0x5040100
	v_perm_b32 v9, v30, v25, 0x5040100
	;; [unrolled: 1-line block ×3, first 2 shown]
	v_pk_mul_bf16 v5, v8, v5
	s_delay_alu instid0(VALU_DEP_4)
	v_pk_mul_bf16 v25, v3, v7
	v_perm_b32 v7, v22, v43, 0x5040100
	v_pk_mul_bf16 v29, v4, v9
	v_perm_b32 v9, v14, v20, 0x5040100
	v_perm_b32 v14, v23, v21, 0x5040100
	v_pk_mul_bf16 v6, v6, v24
	v_pk_mul_bf16 v8, v8, v7
	v_lshlrev_b32_e32 v11, 16, v2
	v_and_b32_e32 v2, 0xffff0000, v2
	v_and_b32_e32 v22, 0xffff0000, v5
	v_pk_mul_bf16 v3, v3, v9
	v_pk_mul_bf16 v14, v4, v14
	s_delay_alu instid0(VALU_DEP_4)
	v_dual_add_f32 v2, v2, v11 :: v_dual_lshlrev_b32 v7, 16, v6
	v_lshlrev_b32_e32 v11, 16, v5
	v_and_b32_e32 v5, 0xffff0000, v6
	v_and_b32_e32 v4, 0xffff0000, v8
	v_lshlrev_b32_e32 v6, 16, v8
	v_and_b32_e32 v9, 0xffff0000, v3
	v_lshlrev_b32_e32 v21, 16, v3
	v_and_b32_e32 v8, 0xffff0000, v14
	v_dual_lshlrev_b32 v20, 16, v14 :: v_dual_lshlrev_b32 v14, 16, v25
	v_pk_add_f32 v[4:5], v[6:7], v[4:5]
	v_and_b32_e32 v23, 0xffff0000, v25
	v_add_f32_e32 v6, v22, v11
	s_delay_alu instid0(VALU_DEP_4) | instskip(NEXT) | instid1(VALU_DEP_4)
	v_pk_add_f32 v[8:9], v[20:21], v[8:9]
	v_dual_lshlrev_b32 v11, 16, v29 :: v_dual_mov_b32 v7, v4
	s_delay_alu instid0(VALU_DEP_4) | instskip(SKIP_1) | instid1(VALU_DEP_4)
	v_dual_mov_b32 v3, v5 :: v_dual_add_f32 v4, v23, v14
	v_and_b32_e32 v14, 0xffff0000, v29
	v_mov_b32_e32 v5, v9
	s_delay_alu instid0(VALU_DEP_3) | instskip(NEXT) | instid1(VALU_DEP_3)
	v_pk_add_f32 v[2:3], v[6:7], v[2:3]
	v_dual_mov_b32 v7, v8 :: v_dual_add_f32 v6, v14, v11
	s_delay_alu instid0(VALU_DEP_2) | instskip(NEXT) | instid1(VALU_DEP_1)
	v_pk_add_f32 v[2:3], v[4:5], v[2:3]
	v_pk_add_f32 v[2:3], v[6:7], v[2:3]
	s_delay_alu instid0(VALU_DEP_1)
	v_pk_add_f32 v[12:13], v[12:13], v[2:3]
.LBB305_176:                            ;   in Loop: Header=BB305_177 Depth=1
	s_or_b32 exec_lo, exec_lo, s19
	v_dual_add_nc_u32 v28, 4, v28 :: v_dual_add_nc_u32 v10, 32, v10
	v_add_nc_u64_e32 v[18:19], 16, v[18:19]
	v_add_nc_u32_e32 v27, 0x80, v27
	s_delay_alu instid0(VALU_DEP_3) | instskip(SKIP_1) | instid1(SALU_CYCLE_1)
	v_cmp_le_i32_e32 vcc_lo, s35, v28
	s_or_b32 s18, vcc_lo, s18
	s_and_not1_b32 exec_lo, exec_lo, s18
	s_cbranch_execz .LBB305_302
.LBB305_177:                            ; =>This Inner Loop Header: Depth=1
	v_mov_b32_e32 v11, v15
	s_delay_alu instid0(VALU_DEP_1) | instskip(NEXT) | instid1(VALU_DEP_1)
	v_mul_u64_e32 v[2:3], s[22:23], v[10:11]
	v_mul_lo_u32 v2, v3, s16
	s_delay_alu instid0(VALU_DEP_1) | instskip(NEXT) | instid1(VALU_DEP_1)
	v_sub_nc_u32_e32 v2, v10, v2
	v_subrev_nc_u32_e32 v5, s16, v2
	v_cmp_le_u32_e32 vcc_lo, s16, v2
	s_delay_alu instid0(VALU_DEP_2) | instskip(NEXT) | instid1(VALU_DEP_1)
	v_dual_add_nc_u32 v4, 1, v3 :: v_dual_cndmask_b32 v2, v2, v5, vcc_lo
	v_cndmask_b32_e32 v3, v3, v4, vcc_lo
	s_delay_alu instid0(VALU_DEP_2) | instskip(NEXT) | instid1(VALU_DEP_2)
	v_cmp_le_u32_e32 vcc_lo, s16, v2
	v_add_nc_u32_e32 v4, 1, v3
	s_delay_alu instid0(VALU_DEP_1) | instskip(NEXT) | instid1(VALU_DEP_1)
	v_cndmask_b32_e32 v2, v3, v4, vcc_lo
	v_xor_b32_e32 v2, s15, v2
	s_delay_alu instid0(VALU_DEP_1) | instskip(NEXT) | instid1(VALU_DEP_1)
	v_subrev_nc_u32_e32 v4, s15, v2
	v_add_nc_u32_e32 v5, s21, v4
	v_cmp_lt_i32_e64 s0, s13, v4
	s_delay_alu instid0(VALU_DEP_2) | instskip(NEXT) | instid1(VALU_DEP_1)
	v_sub_nc_u32_e32 v2, 0, v5
	v_dual_ashrrev_i32 v5, 31, v5 :: v_dual_max_i32 v14, v5, v2
	s_delay_alu instid0(VALU_DEP_1) | instskip(NEXT) | instid1(VALU_DEP_1)
	v_mul_u64_e32 v[2:3], s[8:9], v[14:15]
	v_mul_lo_u32 v2, v3, s3
	s_delay_alu instid0(VALU_DEP_1) | instskip(NEXT) | instid1(VALU_DEP_1)
	v_sub_nc_u32_e32 v2, v14, v2
	v_subrev_nc_u32_e32 v3, s3, v2
	v_cmp_le_u32_e32 vcc_lo, s3, v2
	s_delay_alu instid0(VALU_DEP_2) | instskip(NEXT) | instid1(VALU_DEP_1)
	v_cndmask_b32_e32 v2, v2, v3, vcc_lo
	v_subrev_nc_u32_e32 v3, s3, v2
	v_cmp_le_u32_e32 vcc_lo, s3, v2
	s_delay_alu instid0(VALU_DEP_2) | instskip(NEXT) | instid1(VALU_DEP_1)
	v_cndmask_b32_e32 v2, v2, v3, vcc_lo
	v_xor_b32_e32 v2, v2, v5
	s_delay_alu instid0(VALU_DEP_1) | instskip(NEXT) | instid1(VALU_DEP_1)
	v_sub_nc_u32_e32 v2, v2, v5
	v_cmp_eq_u32_e32 vcc_lo, 0, v2
	s_or_b32 s0, vcc_lo, s0
	s_delay_alu instid0(SALU_CYCLE_1)
	s_and_saveexec_b32 s19, s0
	s_cbranch_execz .LBB305_176
; %bb.178:                              ;   in Loop: Header=BB305_177 Depth=1
	global_load_b32 v2, v[18:19], off
	v_dual_mov_b32 v32, 0 :: v_dual_mov_b32 v30, 0
	s_mov_b32 s0, exec_lo
	s_wait_loadcnt 0x0
	v_mad_nc_i64_i32 v[20:21], v2, s14, v[16:17]
	global_load_b64 v[22:23], v[20:21], off
	ds_load_2addr_b64 v[6:9], v27 offset1:1
	ds_load_2addr_b64 v[2:5], v27 offset0:2 offset1:3
	s_load_b32 s24, s[10:11], 0x0
	s_wait_loadcnt 0x0
	v_and_b32_e32 v11, 0xff, v22
	s_delay_alu instid0(VALU_DEP_1)
	v_cmpx_ne_u16_e32 0, v11
	s_cbranch_execz .LBB305_184
; %bb.179:                              ;   in Loop: Header=BB305_177 Depth=1
	v_bfrev_b32_e32 v30, 1
	s_mov_b32 s25, exec_lo
	v_cmpx_ne_u16_e32 0x80, v11
	s_cbranch_execz .LBB305_183
; %bb.180:                              ;   in Loop: Header=BB305_177 Depth=1
	v_and_b32_e32 v11, 0x7f, v22
	v_mov_b32_e32 v30, 0x7f800001
	s_mov_b32 s26, exec_lo
	s_delay_alu instid0(VALU_DEP_2)
	v_cmpx_ne_u32_e32 0x7f, v11
	s_cbranch_execz .LBB305_182
; %bb.181:                              ;   in Loop: Header=BB305_177 Depth=1
	v_dual_lshrrev_b32 v24, 3, v11 :: v_dual_bitop2_b32 v14, 7, v22 bitop3:0x40
	v_cmp_gt_u32_e32 vcc_lo, 8, v11
	s_delay_alu instid0(VALU_DEP_2) | instskip(NEXT) | instid1(VALU_DEP_1)
	v_clz_i32_u32_e32 v14, v14
	v_min_u32_e32 v14, 32, v14
	s_delay_alu instid0(VALU_DEP_1) | instskip(SKIP_1) | instid1(VALU_DEP_1)
	v_subrev_nc_u32_e32 v25, 28, v14
	v_sub_nc_u32_e32 v14, 29, v14
	v_dual_cndmask_b32 v11, v24, v14 :: v_dual_cndmask_b32 v14, 0, v25
	s_delay_alu instid0(VALU_DEP_1) | instskip(NEXT) | instid1(VALU_DEP_2)
	v_lshl_add_u32 v11, v11, 23, 0x3c000000
	v_lshlrev_b64_e32 v[24:25], v14, v[22:23]
	v_lshlrev_b32_e32 v14, 24, v22
	s_delay_alu instid0(VALU_DEP_1) | instskip(NEXT) | instid1(VALU_DEP_3)
	v_and_b32_e32 v14, 0x80000000, v14
	v_lshlrev_b32_e32 v24, 20, v24
	s_delay_alu instid0(VALU_DEP_1) | instskip(NEXT) | instid1(VALU_DEP_1)
	v_and_b32_e32 v24, 0x700000, v24
	v_or3_b32 v30, v24, v14, v11
.LBB305_182:                            ;   in Loop: Header=BB305_177 Depth=1
	s_or_b32 exec_lo, exec_lo, s26
.LBB305_183:                            ;   in Loop: Header=BB305_177 Depth=1
	s_delay_alu instid0(SALU_CYCLE_1)
	s_or_b32 exec_lo, exec_lo, s25
.LBB305_184:                            ;   in Loop: Header=BB305_177 Depth=1
	s_delay_alu instid0(SALU_CYCLE_1) | instskip(SKIP_2) | instid1(VALU_DEP_1)
	s_or_b32 exec_lo, exec_lo, s0
	v_lshrrev_b16 v11, 8, v22
	s_mov_b32 s0, exec_lo
	v_cmpx_ne_u16_e32 0, v11
	s_cbranch_execz .LBB305_192
; %bb.185:                              ;   in Loop: Header=BB305_177 Depth=1
	v_bfrev_b32_e32 v32, 1
	s_mov_b32 s25, exec_lo
	v_cmpx_ne_u16_e32 0x80, v11
	s_cbranch_execz .LBB305_191
; %bb.186:                              ;   in Loop: Header=BB305_177 Depth=1
	v_and_b32_e32 v11, 0xffff, v11
	v_mov_b32_e32 v32, 0x7f800001
	s_mov_b32 s26, exec_lo
	s_delay_alu instid0(VALU_DEP_2) | instskip(NEXT) | instid1(VALU_DEP_1)
	v_and_b32_e32 v24, 0x7f, v11
	v_cmpx_ne_u32_e32 0x7f, v24
	s_cbranch_execz .LBB305_190
; %bb.187:                              ;   in Loop: Header=BB305_177 Depth=1
	v_dual_lshrrev_b32 v11, 3, v24 :: v_dual_bitop2_b32 v14, 7, v11 bitop3:0x40
	s_mov_b32 s27, exec_lo
	v_cmpx_gt_u32_e32 8, v24
; %bb.188:                              ;   in Loop: Header=BB305_177 Depth=1
	s_delay_alu instid0(VALU_DEP_2) | instskip(NEXT) | instid1(VALU_DEP_1)
	v_clz_i32_u32_e32 v11, v14
	v_min_u32_e32 v11, 32, v11
	s_delay_alu instid0(VALU_DEP_1) | instskip(NEXT) | instid1(VALU_DEP_1)
	v_subrev_nc_u32_e32 v24, 28, v11
	v_lshlrev_b64_e32 v[24:25], v24, v[14:15]
	s_delay_alu instid0(VALU_DEP_1)
	v_dual_sub_nc_u32 v11, 29, v11 :: v_dual_bitop2_b32 v14, 7, v24 bitop3:0x40
; %bb.189:                              ;   in Loop: Header=BB305_177 Depth=1
	s_or_b32 exec_lo, exec_lo, s27
	v_lshlrev_b32_e32 v24, 16, v22
	s_delay_alu instid0(VALU_DEP_2) | instskip(NEXT) | instid1(VALU_DEP_3)
	v_lshlrev_b32_e32 v14, 20, v14
	v_lshl_add_u32 v11, v11, 23, 0x3c000000
	s_delay_alu instid0(VALU_DEP_3) | instskip(NEXT) | instid1(VALU_DEP_1)
	v_and_b32_e32 v24, 0x80000000, v24
	v_or3_b32 v32, v14, v24, v11
.LBB305_190:                            ;   in Loop: Header=BB305_177 Depth=1
	s_or_b32 exec_lo, exec_lo, s26
.LBB305_191:                            ;   in Loop: Header=BB305_177 Depth=1
	s_delay_alu instid0(SALU_CYCLE_1)
	s_or_b32 exec_lo, exec_lo, s25
.LBB305_192:                            ;   in Loop: Header=BB305_177 Depth=1
	s_delay_alu instid0(SALU_CYCLE_1) | instskip(SKIP_3) | instid1(VALU_DEP_2)
	s_or_b32 exec_lo, exec_lo, s0
	v_dual_lshrrev_b32 v11, 16, v22 :: v_dual_mov_b32 v29, 0
	v_mov_b32_e32 v31, 0
	s_mov_b32 s0, exec_lo
	v_and_b32_e32 v14, 0xff, v11
	s_delay_alu instid0(VALU_DEP_1)
	v_cmpx_ne_u16_e32 0, v14
	s_cbranch_execz .LBB305_200
; %bb.193:                              ;   in Loop: Header=BB305_177 Depth=1
	v_bfrev_b32_e32 v31, 1
	s_mov_b32 s25, exec_lo
	v_cmpx_ne_u16_e32 0x80, v14
	s_cbranch_execz .LBB305_199
; %bb.194:                              ;   in Loop: Header=BB305_177 Depth=1
	v_bfe_u32 v25, v22, 16, 7
	v_mov_b32_e32 v31, 0x7f800001
	s_mov_b32 s26, exec_lo
	s_delay_alu instid0(VALU_DEP_2)
	v_cmpx_ne_u32_e32 0x7f, v25
	s_cbranch_execz .LBB305_198
; %bb.195:                              ;   in Loop: Header=BB305_177 Depth=1
	v_dual_lshrrev_b32 v24, 3, v25 :: v_dual_bitop2_b32 v14, 7, v11 bitop3:0x40
	s_mov_b32 s27, exec_lo
	v_cmpx_gt_u32_e32 8, v25
; %bb.196:                              ;   in Loop: Header=BB305_177 Depth=1
	s_delay_alu instid0(VALU_DEP_2) | instskip(NEXT) | instid1(VALU_DEP_1)
	v_clz_i32_u32_e32 v24, v14
	v_min_u32_e32 v24, 32, v24
	s_delay_alu instid0(VALU_DEP_1) | instskip(NEXT) | instid1(VALU_DEP_1)
	v_subrev_nc_u32_e32 v25, 28, v24
	v_lshlrev_b64_e32 v[34:35], v25, v[14:15]
	s_delay_alu instid0(VALU_DEP_1)
	v_dual_sub_nc_u32 v24, 29, v24 :: v_dual_bitop2_b32 v14, 7, v34 bitop3:0x40
; %bb.197:                              ;   in Loop: Header=BB305_177 Depth=1
	s_or_b32 exec_lo, exec_lo, s27
	s_delay_alu instid0(VALU_DEP_1) | instskip(NEXT) | instid1(VALU_DEP_2)
	v_dual_lshlrev_b32 v11, 24, v11 :: v_dual_lshlrev_b32 v14, 20, v14
	v_lshl_add_u32 v24, v24, 23, 0x3c000000
	s_delay_alu instid0(VALU_DEP_2) | instskip(NEXT) | instid1(VALU_DEP_1)
	v_and_b32_e32 v11, 0x80000000, v11
	v_or3_b32 v31, v14, v11, v24
.LBB305_198:                            ;   in Loop: Header=BB305_177 Depth=1
	s_or_b32 exec_lo, exec_lo, s26
.LBB305_199:                            ;   in Loop: Header=BB305_177 Depth=1
	s_delay_alu instid0(SALU_CYCLE_1)
	s_or_b32 exec_lo, exec_lo, s25
.LBB305_200:                            ;   in Loop: Header=BB305_177 Depth=1
	s_delay_alu instid0(SALU_CYCLE_1) | instskip(NEXT) | instid1(SALU_CYCLE_1)
	s_or_b32 exec_lo, exec_lo, s0
	s_mov_b32 s0, exec_lo
	v_cmpx_lt_u32_e32 0xffffff, v22
	s_cbranch_execz .LBB305_208
; %bb.201:                              ;   in Loop: Header=BB305_177 Depth=1
	v_lshrrev_b32_e32 v11, 24, v22
	v_bfrev_b32_e32 v29, 1
	s_mov_b32 s25, exec_lo
	s_delay_alu instid0(VALU_DEP_2)
	v_cmpx_ne_u32_e32 0x80, v11
	s_cbranch_execz .LBB305_207
; %bb.202:                              ;   in Loop: Header=BB305_177 Depth=1
	v_bfe_u32 v25, v22, 24, 7
	v_mov_b32_e32 v29, 0x7f800001
	s_mov_b32 s26, exec_lo
	s_delay_alu instid0(VALU_DEP_2)
	v_cmpx_ne_u32_e32 0x7f, v25
	s_cbranch_execz .LBB305_206
; %bb.203:                              ;   in Loop: Header=BB305_177 Depth=1
	v_dual_lshrrev_b32 v24, 3, v25 :: v_dual_bitop2_b32 v14, 7, v11 bitop3:0x40
	s_mov_b32 s27, exec_lo
	v_cmpx_gt_u32_e32 8, v25
; %bb.204:                              ;   in Loop: Header=BB305_177 Depth=1
	s_delay_alu instid0(VALU_DEP_2) | instskip(NEXT) | instid1(VALU_DEP_1)
	v_clz_i32_u32_e32 v24, v14
	v_min_u32_e32 v24, 32, v24
	s_delay_alu instid0(VALU_DEP_1) | instskip(NEXT) | instid1(VALU_DEP_1)
	v_subrev_nc_u32_e32 v25, 28, v24
	v_lshlrev_b64_e32 v[34:35], v25, v[14:15]
	s_delay_alu instid0(VALU_DEP_1)
	v_dual_sub_nc_u32 v24, 29, v24 :: v_dual_bitop2_b32 v14, 7, v34 bitop3:0x40
; %bb.205:                              ;   in Loop: Header=BB305_177 Depth=1
	s_or_b32 exec_lo, exec_lo, s27
	s_delay_alu instid0(VALU_DEP_1) | instskip(NEXT) | instid1(VALU_DEP_2)
	v_dual_lshlrev_b32 v11, 24, v11 :: v_dual_lshlrev_b32 v14, 20, v14
	v_lshl_add_u32 v24, v24, 23, 0x3c000000
	s_delay_alu instid0(VALU_DEP_2) | instskip(NEXT) | instid1(VALU_DEP_1)
	v_and_b32_e32 v11, 0x80000000, v11
	v_or3_b32 v29, v14, v11, v24
.LBB305_206:                            ;   in Loop: Header=BB305_177 Depth=1
	s_or_b32 exec_lo, exec_lo, s26
.LBB305_207:                            ;   in Loop: Header=BB305_177 Depth=1
	s_delay_alu instid0(SALU_CYCLE_1)
	s_or_b32 exec_lo, exec_lo, s25
.LBB305_208:                            ;   in Loop: Header=BB305_177 Depth=1
	s_delay_alu instid0(SALU_CYCLE_1) | instskip(SKIP_4) | instid1(VALU_DEP_3)
	s_or_b32 exec_lo, exec_lo, s0
	v_and_b32_e32 v24, 0xff, v23
	v_dual_mov_b32 v14, v23 :: v_dual_mov_b32 v11, 0
	v_mov_b32_e32 v33, 0
	s_mov_b32 s0, exec_lo
	v_cmpx_ne_u16_e32 0, v24
	s_cbranch_execz .LBB305_214
; %bb.209:                              ;   in Loop: Header=BB305_177 Depth=1
	v_bfrev_b32_e32 v33, 1
	s_mov_b32 s25, exec_lo
	v_cmpx_ne_u16_e32 0x80, v24
	s_cbranch_execz .LBB305_213
; %bb.210:                              ;   in Loop: Header=BB305_177 Depth=1
	v_and_b32_e32 v24, 0x7f, v23
	v_mov_b32_e32 v33, 0x7f800001
	s_mov_b32 s26, exec_lo
	s_delay_alu instid0(VALU_DEP_2)
	v_cmpx_ne_u32_e32 0x7f, v24
	s_cbranch_execz .LBB305_212
; %bb.211:                              ;   in Loop: Header=BB305_177 Depth=1
	v_dual_lshrrev_b32 v33, 3, v24 :: v_dual_bitop2_b32 v25, 7, v23 bitop3:0x40
	v_cmp_gt_u32_e32 vcc_lo, 8, v24
	s_delay_alu instid0(VALU_DEP_2) | instskip(NEXT) | instid1(VALU_DEP_1)
	v_clz_i32_u32_e32 v25, v25
	v_min_u32_e32 v25, 32, v25
	s_delay_alu instid0(VALU_DEP_1) | instskip(NEXT) | instid1(VALU_DEP_1)
	v_subrev_nc_u32_e32 v34, 28, v25
	v_dual_cndmask_b32 v24, 0, v34 :: v_dual_sub_nc_u32 v25, 29, v25
	s_delay_alu instid0(VALU_DEP_1) | instskip(NEXT) | instid1(VALU_DEP_2)
	v_cndmask_b32_e32 v33, v33, v25, vcc_lo
	v_lshlrev_b64_e32 v[24:25], v24, v[14:15]
	v_lshlrev_b32_e32 v25, 24, v14
	s_delay_alu instid0(VALU_DEP_3) | instskip(NEXT) | instid1(VALU_DEP_2)
	v_lshl_add_u32 v33, v33, 23, 0x3c000000
	v_and_b32_e32 v25, 0x80000000, v25
	s_delay_alu instid0(VALU_DEP_4) | instskip(NEXT) | instid1(VALU_DEP_1)
	v_lshlrev_b32_e32 v24, 20, v24
	v_and_b32_e32 v24, 0x700000, v24
	s_delay_alu instid0(VALU_DEP_1)
	v_or3_b32 v33, v24, v25, v33
.LBB305_212:                            ;   in Loop: Header=BB305_177 Depth=1
	s_or_b32 exec_lo, exec_lo, s26
.LBB305_213:                            ;   in Loop: Header=BB305_177 Depth=1
	s_delay_alu instid0(SALU_CYCLE_1)
	s_or_b32 exec_lo, exec_lo, s25
.LBB305_214:                            ;   in Loop: Header=BB305_177 Depth=1
	s_delay_alu instid0(SALU_CYCLE_1) | instskip(SKIP_2) | instid1(VALU_DEP_1)
	s_or_b32 exec_lo, exec_lo, s0
	v_lshrrev_b16 v24, 8, v14
	s_mov_b32 s0, exec_lo
	v_cmpx_ne_u16_e32 0, v24
	s_cbranch_execz .LBB305_222
; %bb.215:                              ;   in Loop: Header=BB305_177 Depth=1
	v_bfrev_b32_e32 v11, 1
	s_mov_b32 s25, exec_lo
	v_cmpx_ne_u16_e32 0x80, v24
	s_cbranch_execz .LBB305_221
; %bb.216:                              ;   in Loop: Header=BB305_177 Depth=1
	v_and_b32_e32 v24, 0xffff, v24
	v_mov_b32_e32 v11, 0x7f800001
	s_mov_b32 s26, exec_lo
	s_delay_alu instid0(VALU_DEP_2) | instskip(NEXT) | instid1(VALU_DEP_1)
	v_and_b32_e32 v34, 0x7f, v24
	v_cmpx_ne_u32_e32 0x7f, v34
	s_cbranch_execz .LBB305_220
; %bb.217:                              ;   in Loop: Header=BB305_177 Depth=1
	v_dual_mov_b32 v25, v15 :: v_dual_bitop2_b32 v24, 7, v24 bitop3:0x40
	v_lshrrev_b32_e32 v11, 3, v34
	s_mov_b32 s27, exec_lo
	v_cmpx_gt_u32_e32 8, v34
; %bb.218:                              ;   in Loop: Header=BB305_177 Depth=1
	s_delay_alu instid0(VALU_DEP_3) | instskip(NEXT) | instid1(VALU_DEP_1)
	v_clz_i32_u32_e32 v11, v24
	v_min_u32_e32 v11, 32, v11
	s_delay_alu instid0(VALU_DEP_1) | instskip(NEXT) | instid1(VALU_DEP_1)
	v_subrev_nc_u32_e32 v34, 28, v11
	v_lshlrev_b64_e32 v[24:25], v34, v[24:25]
	s_delay_alu instid0(VALU_DEP_1)
	v_dual_sub_nc_u32 v11, 29, v11 :: v_dual_bitop2_b32 v24, 7, v24 bitop3:0x40
; %bb.219:                              ;   in Loop: Header=BB305_177 Depth=1
	s_or_b32 exec_lo, exec_lo, s27
	s_delay_alu instid0(VALU_DEP_1) | instskip(NEXT) | instid1(VALU_DEP_2)
	v_dual_lshlrev_b32 v14, 16, v14 :: v_dual_lshlrev_b32 v24, 20, v24
	v_lshl_add_u32 v11, v11, 23, 0x3c000000
	s_delay_alu instid0(VALU_DEP_2) | instskip(NEXT) | instid1(VALU_DEP_1)
	v_and_b32_e32 v14, 0x80000000, v14
	v_or3_b32 v11, v24, v14, v11
.LBB305_220:                            ;   in Loop: Header=BB305_177 Depth=1
	s_or_b32 exec_lo, exec_lo, s26
.LBB305_221:                            ;   in Loop: Header=BB305_177 Depth=1
	s_delay_alu instid0(SALU_CYCLE_1)
	s_or_b32 exec_lo, exec_lo, s25
.LBB305_222:                            ;   in Loop: Header=BB305_177 Depth=1
	s_delay_alu instid0(SALU_CYCLE_1) | instskip(SKIP_3) | instid1(VALU_DEP_2)
	s_or_b32 exec_lo, exec_lo, s0
	v_dual_lshrrev_b32 v24, 16, v23 :: v_dual_mov_b32 v34, 0
	v_mov_b32_e32 v25, 0
	s_mov_b32 s0, exec_lo
	v_and_b32_e32 v14, 0xff, v24
	s_delay_alu instid0(VALU_DEP_1)
	v_cmpx_ne_u16_e32 0, v14
	s_cbranch_execz .LBB305_230
; %bb.223:                              ;   in Loop: Header=BB305_177 Depth=1
	v_bfrev_b32_e32 v25, 1
	s_mov_b32 s25, exec_lo
	v_cmpx_ne_u16_e32 0x80, v14
	s_cbranch_execz .LBB305_229
; %bb.224:                              ;   in Loop: Header=BB305_177 Depth=1
	v_bfe_u32 v35, v23, 16, 7
	v_mov_b32_e32 v25, 0x7f800001
	s_mov_b32 s26, exec_lo
	s_delay_alu instid0(VALU_DEP_2)
	v_cmpx_ne_u32_e32 0x7f, v35
	s_cbranch_execz .LBB305_228
; %bb.225:                              ;   in Loop: Header=BB305_177 Depth=1
	v_dual_lshrrev_b32 v25, 3, v35 :: v_dual_bitop2_b32 v14, 7, v24 bitop3:0x40
	s_mov_b32 s27, exec_lo
	v_cmpx_gt_u32_e32 8, v35
; %bb.226:                              ;   in Loop: Header=BB305_177 Depth=1
	s_delay_alu instid0(VALU_DEP_2) | instskip(NEXT) | instid1(VALU_DEP_1)
	v_clz_i32_u32_e32 v25, v14
	v_min_u32_e32 v25, 32, v25
	s_delay_alu instid0(VALU_DEP_1) | instskip(NEXT) | instid1(VALU_DEP_1)
	v_subrev_nc_u32_e32 v35, 28, v25
	v_lshlrev_b64_e32 v[36:37], v35, v[14:15]
	s_delay_alu instid0(VALU_DEP_1)
	v_dual_sub_nc_u32 v25, 29, v25 :: v_dual_bitop2_b32 v14, 7, v36 bitop3:0x40
; %bb.227:                              ;   in Loop: Header=BB305_177 Depth=1
	s_or_b32 exec_lo, exec_lo, s27
	s_delay_alu instid0(VALU_DEP_1) | instskip(NEXT) | instid1(VALU_DEP_2)
	v_dual_lshlrev_b32 v24, 24, v24 :: v_dual_lshlrev_b32 v14, 20, v14
	v_lshl_add_u32 v25, v25, 23, 0x3c000000
	s_delay_alu instid0(VALU_DEP_2) | instskip(NEXT) | instid1(VALU_DEP_1)
	v_and_b32_e32 v24, 0x80000000, v24
	v_or3_b32 v25, v14, v24, v25
.LBB305_228:                            ;   in Loop: Header=BB305_177 Depth=1
	s_or_b32 exec_lo, exec_lo, s26
.LBB305_229:                            ;   in Loop: Header=BB305_177 Depth=1
	s_delay_alu instid0(SALU_CYCLE_1)
	s_or_b32 exec_lo, exec_lo, s25
.LBB305_230:                            ;   in Loop: Header=BB305_177 Depth=1
	s_delay_alu instid0(SALU_CYCLE_1) | instskip(NEXT) | instid1(SALU_CYCLE_1)
	s_or_b32 exec_lo, exec_lo, s0
	s_mov_b32 s0, exec_lo
	v_cmpx_lt_u64_e64 s[4:5], v[22:23]
	s_cbranch_execz .LBB305_238
; %bb.231:                              ;   in Loop: Header=BB305_177 Depth=1
	v_lshrrev_b32_e32 v22, 24, v23
	v_bfrev_b32_e32 v34, 1
	s_mov_b32 s25, exec_lo
	s_delay_alu instid0(VALU_DEP_2)
	v_cmpx_ne_u32_e32 0x80, v22
	s_cbranch_execz .LBB305_237
; %bb.232:                              ;   in Loop: Header=BB305_177 Depth=1
	v_bfe_u32 v24, v23, 24, 7
	v_mov_b32_e32 v34, 0x7f800001
	s_mov_b32 s26, exec_lo
	s_delay_alu instid0(VALU_DEP_2)
	v_cmpx_ne_u32_e32 0x7f, v24
	s_cbranch_execz .LBB305_236
; %bb.233:                              ;   in Loop: Header=BB305_177 Depth=1
	v_dual_lshrrev_b32 v23, 3, v24 :: v_dual_bitop2_b32 v14, 7, v22 bitop3:0x40
	s_mov_b32 s27, exec_lo
	v_cmpx_gt_u32_e32 8, v24
; %bb.234:                              ;   in Loop: Header=BB305_177 Depth=1
	s_delay_alu instid0(VALU_DEP_2) | instskip(NEXT) | instid1(VALU_DEP_1)
	v_clz_i32_u32_e32 v23, v14
	v_min_u32_e32 v23, 32, v23
	s_delay_alu instid0(VALU_DEP_1) | instskip(NEXT) | instid1(VALU_DEP_1)
	v_subrev_nc_u32_e32 v24, 28, v23
	v_lshlrev_b64_e32 v[34:35], v24, v[14:15]
	s_delay_alu instid0(VALU_DEP_1)
	v_dual_sub_nc_u32 v23, 29, v23 :: v_dual_bitop2_b32 v14, 7, v34 bitop3:0x40
; %bb.235:                              ;   in Loop: Header=BB305_177 Depth=1
	s_or_b32 exec_lo, exec_lo, s27
	v_lshlrev_b32_e32 v22, 24, v22
	s_delay_alu instid0(VALU_DEP_2) | instskip(NEXT) | instid1(VALU_DEP_3)
	v_lshlrev_b32_e32 v14, 20, v14
	v_lshl_add_u32 v23, v23, 23, 0x3c000000
	s_delay_alu instid0(VALU_DEP_3) | instskip(NEXT) | instid1(VALU_DEP_1)
	v_and_b32_e32 v22, 0x80000000, v22
	v_or3_b32 v34, v14, v22, v23
.LBB305_236:                            ;   in Loop: Header=BB305_177 Depth=1
	s_or_b32 exec_lo, exec_lo, s26
.LBB305_237:                            ;   in Loop: Header=BB305_177 Depth=1
	s_delay_alu instid0(SALU_CYCLE_1)
	s_or_b32 exec_lo, exec_lo, s25
.LBB305_238:                            ;   in Loop: Header=BB305_177 Depth=1
	s_delay_alu instid0(SALU_CYCLE_1)
	s_or_b32 exec_lo, exec_lo, s0
	v_cmp_eq_u32_e32 vcc_lo, s17, v28
	s_wait_kmcnt 0x0
	v_fma_mixlo_bf16 v11, s24, v11, 0
	v_fma_mixlo_bf16 v24, s24, v33, 0
	;; [unrolled: 1-line block ×8, first 2 shown]
	v_dual_add_nc_u32 v40, 1, v10 :: v_dual_add_nc_u32 v39, 2, v10
	v_dual_add_nc_u32 v38, 3, v10 :: v_dual_add_nc_u32 v37, 4, v10
	;; [unrolled: 1-line block ×3, first 2 shown]
	v_add_nc_u32_e32 v34, 7, v10
	s_and_saveexec_b32 s25, vcc_lo
	s_cbranch_execz .LBB305_240
; %bb.239:                              ;   in Loop: Header=BB305_177 Depth=1
	v_cmp_gt_i32_e64 s0, s34, v10
	s_delay_alu instid0(VALU_DEP_1) | instskip(SKIP_1) | instid1(VALU_DEP_1)
	v_cndmask_b32_e64 v33, 0, v33, s0
	v_cmp_gt_i32_e64 s0, s34, v40
	v_cndmask_b32_e64 v32, 0, v32, s0
	v_cmp_gt_i32_e64 s0, s34, v39
	s_delay_alu instid0(VALU_DEP_1) | instskip(SKIP_1) | instid1(VALU_DEP_1)
	v_cndmask_b32_e64 v31, 0, v31, s0
	v_cmp_gt_i32_e64 s0, s34, v38
	v_cndmask_b32_e64 v29, 0, v29, s0
	v_cmp_gt_i32_e64 s0, s34, v37
	s_delay_alu instid0(VALU_DEP_1) | instskip(SKIP_1) | instid1(VALU_DEP_1)
	v_cndmask_b32_e64 v24, 0, v24, s0
	v_cmp_gt_i32_e64 s0, s34, v36
	v_cndmask_b32_e64 v11, 0, v11, s0
	v_cmp_gt_i32_e64 s0, s34, v35
	s_delay_alu instid0(VALU_DEP_1) | instskip(SKIP_1) | instid1(VALU_DEP_1)
	v_cndmask_b32_e64 v25, 0, v25, s0
	v_cmp_gt_i32_e64 s0, s34, v34
	v_cndmask_b32_e64 v30, 0, v30, s0
.LBB305_240:                            ;   in Loop: Header=BB305_177 Depth=1
	s_or_b32 exec_lo, exec_lo, s25
	global_load_b64 v[20:21], v[20:21], off offset:256
	v_dual_mov_b32 v42, 0 :: v_dual_mov_b32 v41, 0
	s_mov_b32 s25, exec_lo
	s_wait_loadcnt 0x0
	v_and_b32_e32 v14, 0xff, v20
	s_delay_alu instid0(VALU_DEP_1)
	v_cmpx_ne_u16_e32 0, v14
	s_cbranch_execz .LBB305_246
; %bb.241:                              ;   in Loop: Header=BB305_177 Depth=1
	v_bfrev_b32_e32 v41, 1
	s_mov_b32 s26, exec_lo
	v_cmpx_ne_u16_e32 0x80, v14
	s_cbranch_execz .LBB305_245
; %bb.242:                              ;   in Loop: Header=BB305_177 Depth=1
	v_and_b32_e32 v14, 0x7f, v20
	v_mov_b32_e32 v41, 0x7f800001
	s_mov_b32 s27, exec_lo
	s_delay_alu instid0(VALU_DEP_2)
	v_cmpx_ne_u32_e32 0x7f, v14
	s_cbranch_execz .LBB305_244
; %bb.243:                              ;   in Loop: Header=BB305_177 Depth=1
	v_dual_lshrrev_b32 v23, 3, v14 :: v_dual_bitop2_b32 v22, 7, v20 bitop3:0x40
	v_cmp_gt_u32_e64 s0, 8, v14
	s_delay_alu instid0(VALU_DEP_2) | instskip(NEXT) | instid1(VALU_DEP_1)
	v_clz_i32_u32_e32 v22, v22
	v_min_u32_e32 v22, 32, v22
	s_delay_alu instid0(VALU_DEP_1) | instskip(SKIP_1) | instid1(VALU_DEP_1)
	v_subrev_nc_u32_e32 v41, 28, v22
	v_sub_nc_u32_e32 v22, 29, v22
	v_dual_cndmask_b32 v14, v23, v22, s0 :: v_dual_cndmask_b32 v22, 0, v41, s0
	s_delay_alu instid0(VALU_DEP_1) | instskip(NEXT) | instid1(VALU_DEP_2)
	v_lshl_add_u32 v14, v14, 23, 0x3c000000
	v_lshlrev_b64_e32 v[22:23], v22, v[20:21]
	v_lshlrev_b32_e32 v23, 24, v20
	s_delay_alu instid0(VALU_DEP_1) | instskip(NEXT) | instid1(VALU_DEP_3)
	v_and_b32_e32 v23, 0x80000000, v23
	v_lshlrev_b32_e32 v22, 20, v22
	s_delay_alu instid0(VALU_DEP_1) | instskip(NEXT) | instid1(VALU_DEP_1)
	v_and_b32_e32 v22, 0x700000, v22
	v_or3_b32 v41, v22, v23, v14
.LBB305_244:                            ;   in Loop: Header=BB305_177 Depth=1
	s_or_b32 exec_lo, exec_lo, s27
.LBB305_245:                            ;   in Loop: Header=BB305_177 Depth=1
	s_delay_alu instid0(SALU_CYCLE_1)
	s_or_b32 exec_lo, exec_lo, s26
.LBB305_246:                            ;   in Loop: Header=BB305_177 Depth=1
	s_delay_alu instid0(SALU_CYCLE_1) | instskip(SKIP_2) | instid1(VALU_DEP_1)
	s_or_b32 exec_lo, exec_lo, s25
	v_lshrrev_b16 v14, 8, v20
	s_mov_b32 s25, exec_lo
	v_cmpx_ne_u16_e32 0, v14
	s_cbranch_execz .LBB305_254
; %bb.247:                              ;   in Loop: Header=BB305_177 Depth=1
	v_bfrev_b32_e32 v42, 1
	s_mov_b32 s26, exec_lo
	v_cmpx_ne_u16_e32 0x80, v14
	s_cbranch_execz .LBB305_253
; %bb.248:                              ;   in Loop: Header=BB305_177 Depth=1
	v_and_b32_e32 v14, 0xffff, v14
	v_mov_b32_e32 v42, 0x7f800001
	s_mov_b32 s27, exec_lo
	s_delay_alu instid0(VALU_DEP_2) | instskip(NEXT) | instid1(VALU_DEP_1)
	v_and_b32_e32 v23, 0x7f, v14
	v_cmpx_ne_u32_e32 0x7f, v23
	s_cbranch_execz .LBB305_252
; %bb.249:                              ;   in Loop: Header=BB305_177 Depth=1
	v_dual_lshrrev_b32 v22, 3, v23 :: v_dual_bitop2_b32 v14, 7, v14 bitop3:0x40
	s_mov_b32 s28, exec_lo
	v_cmpx_gt_u32_e32 8, v23
; %bb.250:                              ;   in Loop: Header=BB305_177 Depth=1
	s_delay_alu instid0(VALU_DEP_2) | instskip(NEXT) | instid1(VALU_DEP_1)
	v_clz_i32_u32_e32 v22, v14
	v_min_u32_e32 v22, 32, v22
	s_delay_alu instid0(VALU_DEP_1) | instskip(SKIP_1) | instid1(VALU_DEP_2)
	v_subrev_nc_u32_e32 v23, 28, v22
	v_sub_nc_u32_e32 v22, 29, v22
	v_lshlrev_b64_e32 v[42:43], v23, v[14:15]
	s_delay_alu instid0(VALU_DEP_1)
	v_and_b32_e32 v14, 7, v42
; %bb.251:                              ;   in Loop: Header=BB305_177 Depth=1
	s_or_b32 exec_lo, exec_lo, s28
	s_delay_alu instid0(VALU_DEP_1) | instskip(SKIP_1) | instid1(VALU_DEP_2)
	v_dual_lshlrev_b32 v23, 16, v20 :: v_dual_lshlrev_b32 v14, 20, v14
	v_lshl_add_u32 v22, v22, 23, 0x3c000000
	v_and_b32_e32 v23, 0x80000000, v23
	s_delay_alu instid0(VALU_DEP_1)
	v_or3_b32 v42, v14, v23, v22
.LBB305_252:                            ;   in Loop: Header=BB305_177 Depth=1
	s_or_b32 exec_lo, exec_lo, s27
.LBB305_253:                            ;   in Loop: Header=BB305_177 Depth=1
	s_delay_alu instid0(SALU_CYCLE_1)
	s_or_b32 exec_lo, exec_lo, s26
.LBB305_254:                            ;   in Loop: Header=BB305_177 Depth=1
	s_delay_alu instid0(SALU_CYCLE_1) | instskip(SKIP_3) | instid1(VALU_DEP_2)
	s_or_b32 exec_lo, exec_lo, s25
	v_dual_lshrrev_b32 v22, 16, v20 :: v_dual_mov_b32 v44, 0
	v_mov_b32_e32 v43, 0
	s_mov_b32 s25, exec_lo
	v_and_b32_e32 v14, 0xff, v22
	s_delay_alu instid0(VALU_DEP_1)
	v_cmpx_ne_u16_e32 0, v14
	s_cbranch_execz .LBB305_262
; %bb.255:                              ;   in Loop: Header=BB305_177 Depth=1
	v_bfrev_b32_e32 v43, 1
	s_mov_b32 s26, exec_lo
	v_cmpx_ne_u16_e32 0x80, v14
	s_cbranch_execz .LBB305_261
; %bb.256:                              ;   in Loop: Header=BB305_177 Depth=1
	v_bfe_u32 v45, v20, 16, 7
	v_mov_b32_e32 v43, 0x7f800001
	s_mov_b32 s27, exec_lo
	s_delay_alu instid0(VALU_DEP_2)
	v_cmpx_ne_u32_e32 0x7f, v45
	s_cbranch_execz .LBB305_260
; %bb.257:                              ;   in Loop: Header=BB305_177 Depth=1
	v_dual_lshrrev_b32 v23, 3, v45 :: v_dual_bitop2_b32 v14, 7, v22 bitop3:0x40
	s_mov_b32 s28, exec_lo
	v_cmpx_gt_u32_e32 8, v45
; %bb.258:                              ;   in Loop: Header=BB305_177 Depth=1
	s_delay_alu instid0(VALU_DEP_2) | instskip(NEXT) | instid1(VALU_DEP_1)
	v_clz_i32_u32_e32 v23, v14
	v_min_u32_e32 v23, 32, v23
	s_delay_alu instid0(VALU_DEP_1) | instskip(NEXT) | instid1(VALU_DEP_1)
	v_subrev_nc_u32_e32 v43, 28, v23
	v_lshlrev_b64_e32 v[46:47], v43, v[14:15]
	s_delay_alu instid0(VALU_DEP_1)
	v_dual_sub_nc_u32 v23, 29, v23 :: v_dual_bitop2_b32 v14, 7, v46 bitop3:0x40
; %bb.259:                              ;   in Loop: Header=BB305_177 Depth=1
	s_or_b32 exec_lo, exec_lo, s28
	v_lshlrev_b32_e32 v22, 24, v22
	s_delay_alu instid0(VALU_DEP_2) | instskip(NEXT) | instid1(VALU_DEP_3)
	v_lshlrev_b32_e32 v14, 20, v14
	v_lshl_add_u32 v23, v23, 23, 0x3c000000
	s_delay_alu instid0(VALU_DEP_3) | instskip(NEXT) | instid1(VALU_DEP_1)
	v_and_b32_e32 v22, 0x80000000, v22
	v_or3_b32 v43, v14, v22, v23
.LBB305_260:                            ;   in Loop: Header=BB305_177 Depth=1
	s_or_b32 exec_lo, exec_lo, s27
.LBB305_261:                            ;   in Loop: Header=BB305_177 Depth=1
	s_delay_alu instid0(SALU_CYCLE_1)
	s_or_b32 exec_lo, exec_lo, s26
.LBB305_262:                            ;   in Loop: Header=BB305_177 Depth=1
	s_delay_alu instid0(SALU_CYCLE_1) | instskip(NEXT) | instid1(SALU_CYCLE_1)
	s_or_b32 exec_lo, exec_lo, s25
	s_mov_b32 s25, exec_lo
	v_cmpx_lt_u32_e32 0xffffff, v20
	s_cbranch_execz .LBB305_270
; %bb.263:                              ;   in Loop: Header=BB305_177 Depth=1
	v_lshrrev_b32_e32 v22, 24, v20
	v_bfrev_b32_e32 v44, 1
	s_mov_b32 s26, exec_lo
	s_delay_alu instid0(VALU_DEP_2)
	v_cmpx_ne_u32_e32 0x80, v22
	s_cbranch_execz .LBB305_269
; %bb.264:                              ;   in Loop: Header=BB305_177 Depth=1
	v_bfe_u32 v45, v20, 24, 7
	v_mov_b32_e32 v44, 0x7f800001
	s_mov_b32 s27, exec_lo
	s_delay_alu instid0(VALU_DEP_2)
	v_cmpx_ne_u32_e32 0x7f, v45
	s_cbranch_execz .LBB305_268
; %bb.265:                              ;   in Loop: Header=BB305_177 Depth=1
	v_dual_lshrrev_b32 v23, 3, v45 :: v_dual_bitop2_b32 v14, 7, v22 bitop3:0x40
	s_mov_b32 s28, exec_lo
	v_cmpx_gt_u32_e32 8, v45
; %bb.266:                              ;   in Loop: Header=BB305_177 Depth=1
	s_delay_alu instid0(VALU_DEP_2) | instskip(NEXT) | instid1(VALU_DEP_1)
	v_clz_i32_u32_e32 v23, v14
	v_min_u32_e32 v23, 32, v23
	s_delay_alu instid0(VALU_DEP_1) | instskip(NEXT) | instid1(VALU_DEP_1)
	v_subrev_nc_u32_e32 v44, 28, v23
	v_lshlrev_b64_e32 v[44:45], v44, v[14:15]
	s_delay_alu instid0(VALU_DEP_1)
	v_dual_sub_nc_u32 v23, 29, v23 :: v_dual_bitop2_b32 v14, 7, v44 bitop3:0x40
; %bb.267:                              ;   in Loop: Header=BB305_177 Depth=1
	s_or_b32 exec_lo, exec_lo, s28
	v_lshlrev_b32_e32 v22, 24, v22
	s_delay_alu instid0(VALU_DEP_2) | instskip(NEXT) | instid1(VALU_DEP_3)
	v_lshlrev_b32_e32 v14, 20, v14
	v_lshl_add_u32 v23, v23, 23, 0x3c000000
	s_delay_alu instid0(VALU_DEP_3) | instskip(NEXT) | instid1(VALU_DEP_1)
	v_and_b32_e32 v22, 0x80000000, v22
	v_or3_b32 v44, v14, v22, v23
.LBB305_268:                            ;   in Loop: Header=BB305_177 Depth=1
	s_or_b32 exec_lo, exec_lo, s27
.LBB305_269:                            ;   in Loop: Header=BB305_177 Depth=1
	s_delay_alu instid0(SALU_CYCLE_1)
	s_or_b32 exec_lo, exec_lo, s26
.LBB305_270:                            ;   in Loop: Header=BB305_177 Depth=1
	s_delay_alu instid0(SALU_CYCLE_1) | instskip(SKIP_4) | instid1(VALU_DEP_3)
	s_or_b32 exec_lo, exec_lo, s25
	v_and_b32_e32 v23, 0xff, v21
	v_dual_mov_b32 v14, v21 :: v_dual_mov_b32 v22, 0
	v_mov_b32_e32 v45, 0
	s_mov_b32 s25, exec_lo
	v_cmpx_ne_u16_e32 0, v23
	s_cbranch_execz .LBB305_276
; %bb.271:                              ;   in Loop: Header=BB305_177 Depth=1
	v_bfrev_b32_e32 v45, 1
	s_mov_b32 s26, exec_lo
	v_cmpx_ne_u16_e32 0x80, v23
	s_cbranch_execz .LBB305_275
; %bb.272:                              ;   in Loop: Header=BB305_177 Depth=1
	v_and_b32_e32 v23, 0x7f, v21
	v_mov_b32_e32 v45, 0x7f800001
	s_mov_b32 s27, exec_lo
	s_delay_alu instid0(VALU_DEP_2)
	v_cmpx_ne_u32_e32 0x7f, v23
	s_cbranch_execz .LBB305_274
; %bb.273:                              ;   in Loop: Header=BB305_177 Depth=1
	v_dual_lshrrev_b32 v46, 3, v23 :: v_dual_bitop2_b32 v45, 7, v21 bitop3:0x40
	v_cmp_gt_u32_e64 s0, 8, v23
	s_delay_alu instid0(VALU_DEP_2) | instskip(NEXT) | instid1(VALU_DEP_1)
	v_clz_i32_u32_e32 v45, v45
	v_min_u32_e32 v45, 32, v45
	s_delay_alu instid0(VALU_DEP_1) | instskip(SKIP_1) | instid1(VALU_DEP_1)
	v_subrev_nc_u32_e32 v47, 28, v45
	v_sub_nc_u32_e32 v45, 29, v45
	v_dual_cndmask_b32 v23, v46, v45, s0 :: v_dual_cndmask_b32 v45, 0, v47, s0
	s_delay_alu instid0(VALU_DEP_1) | instskip(NEXT) | instid1(VALU_DEP_2)
	v_lshl_add_u32 v23, v23, 23, 0x3c000000
	v_lshlrev_b64_e32 v[46:47], v45, v[14:15]
	v_lshlrev_b32_e32 v45, 24, v14
	s_delay_alu instid0(VALU_DEP_1) | instskip(NEXT) | instid1(VALU_DEP_3)
	v_and_b32_e32 v45, 0x80000000, v45
	v_lshlrev_b32_e32 v46, 20, v46
	s_delay_alu instid0(VALU_DEP_1) | instskip(NEXT) | instid1(VALU_DEP_1)
	v_and_b32_e32 v46, 0x700000, v46
	v_or3_b32 v45, v46, v45, v23
.LBB305_274:                            ;   in Loop: Header=BB305_177 Depth=1
	s_or_b32 exec_lo, exec_lo, s27
.LBB305_275:                            ;   in Loop: Header=BB305_177 Depth=1
	s_delay_alu instid0(SALU_CYCLE_1)
	s_or_b32 exec_lo, exec_lo, s26
.LBB305_276:                            ;   in Loop: Header=BB305_177 Depth=1
	s_delay_alu instid0(SALU_CYCLE_1) | instskip(SKIP_2) | instid1(VALU_DEP_1)
	s_or_b32 exec_lo, exec_lo, s25
	v_lshrrev_b16 v23, 8, v14
	s_mov_b32 s25, exec_lo
	v_cmpx_ne_u16_e32 0, v23
	s_cbranch_execz .LBB305_284
; %bb.277:                              ;   in Loop: Header=BB305_177 Depth=1
	v_bfrev_b32_e32 v22, 1
	s_mov_b32 s26, exec_lo
	v_cmpx_ne_u16_e32 0x80, v23
	s_cbranch_execz .LBB305_283
; %bb.278:                              ;   in Loop: Header=BB305_177 Depth=1
	v_and_b32_e32 v23, 0xffff, v23
	v_mov_b32_e32 v22, 0x7f800001
	s_mov_b32 s27, exec_lo
	s_delay_alu instid0(VALU_DEP_2) | instskip(NEXT) | instid1(VALU_DEP_1)
	v_and_b32_e32 v47, 0x7f, v23
	v_cmpx_ne_u32_e32 0x7f, v47
	s_cbranch_execz .LBB305_282
; %bb.279:                              ;   in Loop: Header=BB305_177 Depth=1
	v_dual_mov_b32 v23, v15 :: v_dual_bitop2_b32 v22, 7, v23 bitop3:0x40
	v_lshrrev_b32_e32 v46, 3, v47
	s_mov_b32 s28, exec_lo
	v_cmpx_gt_u32_e32 8, v47
; %bb.280:                              ;   in Loop: Header=BB305_177 Depth=1
	s_delay_alu instid0(VALU_DEP_3) | instskip(NEXT) | instid1(VALU_DEP_1)
	v_clz_i32_u32_e32 v46, v22
	v_min_u32_e32 v46, 32, v46
	s_delay_alu instid0(VALU_DEP_1) | instskip(SKIP_1) | instid1(VALU_DEP_2)
	v_subrev_nc_u32_e32 v47, 28, v46
	v_sub_nc_u32_e32 v46, 29, v46
	v_lshlrev_b64_e32 v[22:23], v47, v[22:23]
	s_delay_alu instid0(VALU_DEP_1)
	v_and_b32_e32 v22, 7, v22
; %bb.281:                              ;   in Loop: Header=BB305_177 Depth=1
	s_or_b32 exec_lo, exec_lo, s28
	v_lshlrev_b32_e32 v14, 16, v14
	s_delay_alu instid0(VALU_DEP_2) | instskip(SKIP_1) | instid1(VALU_DEP_3)
	v_lshlrev_b32_e32 v22, 20, v22
	v_lshl_add_u32 v23, v46, 23, 0x3c000000
	v_and_b32_e32 v14, 0x80000000, v14
	s_delay_alu instid0(VALU_DEP_1)
	v_or3_b32 v22, v22, v14, v23
.LBB305_282:                            ;   in Loop: Header=BB305_177 Depth=1
	s_or_b32 exec_lo, exec_lo, s27
.LBB305_283:                            ;   in Loop: Header=BB305_177 Depth=1
	s_delay_alu instid0(SALU_CYCLE_1)
	s_or_b32 exec_lo, exec_lo, s26
.LBB305_284:                            ;   in Loop: Header=BB305_177 Depth=1
	s_delay_alu instid0(SALU_CYCLE_1) | instskip(SKIP_3) | instid1(VALU_DEP_2)
	s_or_b32 exec_lo, exec_lo, s25
	v_dual_lshrrev_b32 v47, 16, v21 :: v_dual_mov_b32 v23, 0
	v_mov_b32_e32 v46, 0
	s_mov_b32 s25, exec_lo
	v_and_b32_e32 v14, 0xff, v47
	s_delay_alu instid0(VALU_DEP_1)
	v_cmpx_ne_u16_e32 0, v14
	s_cbranch_execz .LBB305_292
; %bb.285:                              ;   in Loop: Header=BB305_177 Depth=1
	v_bfrev_b32_e32 v46, 1
	s_mov_b32 s26, exec_lo
	v_cmpx_ne_u16_e32 0x80, v14
	s_cbranch_execz .LBB305_291
; %bb.286:                              ;   in Loop: Header=BB305_177 Depth=1
	v_bfe_u32 v48, v21, 16, 7
	v_mov_b32_e32 v46, 0x7f800001
	s_mov_b32 s27, exec_lo
	s_delay_alu instid0(VALU_DEP_2)
	v_cmpx_ne_u32_e32 0x7f, v48
	s_cbranch_execz .LBB305_290
; %bb.287:                              ;   in Loop: Header=BB305_177 Depth=1
	v_dual_lshrrev_b32 v46, 3, v48 :: v_dual_bitop2_b32 v14, 7, v47 bitop3:0x40
	s_mov_b32 s28, exec_lo
	v_cmpx_gt_u32_e32 8, v48
; %bb.288:                              ;   in Loop: Header=BB305_177 Depth=1
	s_delay_alu instid0(VALU_DEP_2) | instskip(NEXT) | instid1(VALU_DEP_1)
	v_clz_i32_u32_e32 v46, v14
	v_min_u32_e32 v46, 32, v46
	s_delay_alu instid0(VALU_DEP_1) | instskip(NEXT) | instid1(VALU_DEP_1)
	v_subrev_nc_u32_e32 v48, 28, v46
	v_lshlrev_b64_e32 v[48:49], v48, v[14:15]
	s_delay_alu instid0(VALU_DEP_1)
	v_dual_sub_nc_u32 v46, 29, v46 :: v_dual_bitop2_b32 v14, 7, v48 bitop3:0x40
; %bb.289:                              ;   in Loop: Header=BB305_177 Depth=1
	s_or_b32 exec_lo, exec_lo, s28
	s_delay_alu instid0(VALU_DEP_1) | instskip(NEXT) | instid1(VALU_DEP_2)
	v_dual_lshlrev_b32 v47, 24, v47 :: v_dual_lshlrev_b32 v14, 20, v14
	v_lshl_add_u32 v46, v46, 23, 0x3c000000
	s_delay_alu instid0(VALU_DEP_2) | instskip(NEXT) | instid1(VALU_DEP_1)
	v_and_b32_e32 v47, 0x80000000, v47
	v_or3_b32 v46, v14, v47, v46
.LBB305_290:                            ;   in Loop: Header=BB305_177 Depth=1
	s_or_b32 exec_lo, exec_lo, s27
.LBB305_291:                            ;   in Loop: Header=BB305_177 Depth=1
	s_delay_alu instid0(SALU_CYCLE_1)
	s_or_b32 exec_lo, exec_lo, s26
.LBB305_292:                            ;   in Loop: Header=BB305_177 Depth=1
	s_delay_alu instid0(SALU_CYCLE_1) | instskip(NEXT) | instid1(SALU_CYCLE_1)
	s_or_b32 exec_lo, exec_lo, s25
	s_mov_b32 s25, exec_lo
	v_cmpx_lt_u64_e64 s[4:5], v[20:21]
	s_cbranch_execz .LBB305_300
; %bb.293:                              ;   in Loop: Header=BB305_177 Depth=1
	v_lshrrev_b32_e32 v20, 24, v21
	v_bfrev_b32_e32 v23, 1
	s_mov_b32 s26, exec_lo
	s_delay_alu instid0(VALU_DEP_2)
	v_cmpx_ne_u32_e32 0x80, v20
	s_cbranch_execz .LBB305_299
; %bb.294:                              ;   in Loop: Header=BB305_177 Depth=1
	v_bfe_u32 v47, v21, 24, 7
	v_mov_b32_e32 v23, 0x7f800001
	s_mov_b32 s27, exec_lo
	s_delay_alu instid0(VALU_DEP_2)
	v_cmpx_ne_u32_e32 0x7f, v47
	s_cbranch_execz .LBB305_298
; %bb.295:                              ;   in Loop: Header=BB305_177 Depth=1
	v_dual_lshrrev_b32 v21, 3, v47 :: v_dual_bitop2_b32 v14, 7, v20 bitop3:0x40
	s_mov_b32 s28, exec_lo
	v_cmpx_gt_u32_e32 8, v47
; %bb.296:                              ;   in Loop: Header=BB305_177 Depth=1
	s_delay_alu instid0(VALU_DEP_2) | instskip(NEXT) | instid1(VALU_DEP_1)
	v_clz_i32_u32_e32 v21, v14
	v_min_u32_e32 v21, 32, v21
	s_delay_alu instid0(VALU_DEP_1) | instskip(NEXT) | instid1(VALU_DEP_1)
	v_subrev_nc_u32_e32 v23, 28, v21
	v_lshlrev_b64_e32 v[48:49], v23, v[14:15]
	s_delay_alu instid0(VALU_DEP_1)
	v_dual_sub_nc_u32 v21, 29, v21 :: v_dual_bitop2_b32 v14, 7, v48 bitop3:0x40
; %bb.297:                              ;   in Loop: Header=BB305_177 Depth=1
	s_or_b32 exec_lo, exec_lo, s28
	s_delay_alu instid0(VALU_DEP_1) | instskip(NEXT) | instid1(VALU_DEP_2)
	v_dual_lshlrev_b32 v20, 24, v20 :: v_dual_lshlrev_b32 v14, 20, v14
	v_lshl_add_u32 v21, v21, 23, 0x3c000000
	s_delay_alu instid0(VALU_DEP_2) | instskip(NEXT) | instid1(VALU_DEP_1)
	v_and_b32_e32 v20, 0x80000000, v20
	v_or3_b32 v23, v14, v20, v21
.LBB305_298:                            ;   in Loop: Header=BB305_177 Depth=1
	s_or_b32 exec_lo, exec_lo, s27
.LBB305_299:                            ;   in Loop: Header=BB305_177 Depth=1
	s_delay_alu instid0(SALU_CYCLE_1)
	s_or_b32 exec_lo, exec_lo, s26
.LBB305_300:                            ;   in Loop: Header=BB305_177 Depth=1
	s_delay_alu instid0(SALU_CYCLE_1)
	s_or_b32 exec_lo, exec_lo, s25
	v_fma_mixlo_bf16 v14, s24, v22, 0
	v_fma_mixlo_bf16 v20, s24, v45, 0
	;; [unrolled: 1-line block ×8, first 2 shown]
	s_and_saveexec_b32 s0, vcc_lo
	s_cbranch_execz .LBB305_175
; %bb.301:                              ;   in Loop: Header=BB305_177 Depth=1
	v_cmp_gt_i32_e32 vcc_lo, s34, v10
	v_cndmask_b32_e32 v41, 0, v41, vcc_lo
	v_cmp_gt_i32_e32 vcc_lo, s34, v40
	v_cndmask_b32_e32 v42, 0, v42, vcc_lo
	;; [unrolled: 2-line block ×8, first 2 shown]
	s_branch .LBB305_175
.LBB305_302:
	s_or_b32 exec_lo, exec_lo, s18
.LBB305_303:
	s_delay_alu instid0(SALU_CYCLE_1) | instskip(SKIP_4) | instid1(VALU_DEP_2)
	s_or_b32 exec_lo, exec_lo, s1
	v_lshl_add_u32 v2, v26, 2, 0xa0
	v_and_b32_e32 v3, 0x3c0, v0
	s_mov_b32 s0, exec_lo
	s_barrier_signal -1
	v_lshl_add_u32 v1, v1, 8, v2
	s_barrier_wait -1
	v_cmpx_eq_u32_e32 64, v3
	s_cbranch_execz .LBB305_305
; %bb.304:
	s_delay_alu instid0(VALU_DEP_2)
	v_add_nc_u32_e32 v3, 0xfffffe00, v1
	v_add_nc_u32_e32 v4, 0xfffffe80, v1
	ds_store_b32 v3, v12
	ds_store_b32 v4, v13
.LBB305_305:
	s_or_b32 exec_lo, exec_lo, s0
	s_delay_alu instid0(SALU_CYCLE_1)
	s_mov_b32 s0, exec_lo
	s_wait_dscnt 0x0
	s_barrier_signal -1
	s_barrier_wait -1
	v_cmpx_gt_u32_e32 64, v0
	s_cbranch_execz .LBB305_307
; %bb.306:
	ds_load_2addr_b32 v[4:5], v1 offset1:32
	s_wait_dscnt 0x0
	v_pk_add_f32 v[12:13], v[12:13], v[4:5]
.LBB305_307:
	s_or_b32 exec_lo, exec_lo, s0
	v_and_b32_e32 v3, 0x3e0, v0
	s_mov_b32 s0, exec_lo
	s_barrier_signal -1
	s_barrier_wait -1
	s_delay_alu instid0(VALU_DEP_1)
	v_cmpx_eq_u32_e32 32, v3
; %bb.308:
	ds_store_2addr_b32 v2, v12, v13 offset1:32
; %bb.309:
	s_or_b32 exec_lo, exec_lo, s0
	s_wait_dscnt 0x0
	s_barrier_signal -1
	s_barrier_wait -1
	s_and_saveexec_b32 s0, s2
	s_cbranch_execz .LBB305_311
; %bb.310:
	ds_load_2addr_b32 v[2:3], v1 offset1:32
	s_wait_dscnt 0x0
	v_pk_add_f32 v[12:13], v[12:13], v[2:3]
.LBB305_311:
	s_or_b32 exec_lo, exec_lo, s0
	s_barrier_signal -1
	s_barrier_wait -1
	s_and_saveexec_b32 s0, s2
	s_cbranch_execz .LBB305_313
; %bb.312:
	s_mul_i32 s1, s33, s12
	s_bfe_u32 s5, ttmp6, 0x40014
	s_mul_i32 s1, s1, s31
	s_mul_i32 s0, s12, s20
	s_lshl_b32 s2, s1, 6
	s_lshr_b32 s4, ttmp7, 16
	s_ashr_i32 s3, s2, 31
	s_add_co_i32 s5, s5, 1
	s_lshl_b64 s[2:3], s[2:3], 1
	s_ashr_i32 s1, s0, 31
	s_wait_kmcnt 0x0
	s_add_nc_u64 s[2:3], s[6:7], s[2:3]
	s_mul_i32 s5, s4, s5
	s_bfe_u32 s6, ttmp6, 0x40008
	s_lshl_b64 s[0:1], s[0:1], 1
	s_add_co_i32 s6, s6, s5
	s_cmp_eq_u32 s30, 0
	s_add_nc_u64 s[0:1], s[2:3], s[0:1]
	s_cselect_b32 s2, s4, s6
	v_cvt_pk_bf16_f32 v1, v12, s0
	s_mov_b32 s3, 0
	s_lshl_b32 s2, s2, 7
	v_cvt_pk_bf16_f32 v2, v13, s0
	s_add_nc_u64 s[0:1], s[0:1], s[2:3]
	s_clause 0x1
	global_store_b16 v0, v1, s[0:1] scale_offset
	global_store_b16 v0, v2, s[0:1] offset:64 scale_offset
.LBB305_313:
	s_endpgm
	.section	.rodata,"a",@progbits
	.p2align	6, 0x0
	.amdhsa_kernel _ZN4vllm25paged_attention_v1_kernelI14__hip_bfloat16hLi64ELi8ELi128ELNS_18Fp8KVCacheDataTypeE1ELb1EEEvPT_PKS3_PKT0_S9_ifPKiSB_iPKfiiiSD_SD_iiiii
		.amdhsa_group_segment_fixed_size 160
		.amdhsa_private_segment_fixed_size 0
		.amdhsa_kernarg_size 384
		.amdhsa_user_sgpr_count 2
		.amdhsa_user_sgpr_dispatch_ptr 0
		.amdhsa_user_sgpr_queue_ptr 0
		.amdhsa_user_sgpr_kernarg_segment_ptr 1
		.amdhsa_user_sgpr_dispatch_id 0
		.amdhsa_user_sgpr_kernarg_preload_length 0
		.amdhsa_user_sgpr_kernarg_preload_offset 0
		.amdhsa_user_sgpr_private_segment_size 0
		.amdhsa_wavefront_size32 1
		.amdhsa_uses_dynamic_stack 0
		.amdhsa_enable_private_segment 0
		.amdhsa_system_sgpr_workgroup_id_x 1
		.amdhsa_system_sgpr_workgroup_id_y 1
		.amdhsa_system_sgpr_workgroup_id_z 1
		.amdhsa_system_sgpr_workgroup_info 0
		.amdhsa_system_vgpr_workitem_id 0
		.amdhsa_next_free_vgpr 50
		.amdhsa_next_free_sgpr 47
		.amdhsa_named_barrier_count 0
		.amdhsa_reserve_vcc 1
		.amdhsa_float_round_mode_32 0
		.amdhsa_float_round_mode_16_64 0
		.amdhsa_float_denorm_mode_32 3
		.amdhsa_float_denorm_mode_16_64 3
		.amdhsa_fp16_overflow 0
		.amdhsa_memory_ordered 1
		.amdhsa_forward_progress 1
		.amdhsa_inst_pref_size 98
		.amdhsa_round_robin_scheduling 0
		.amdhsa_exception_fp_ieee_invalid_op 0
		.amdhsa_exception_fp_denorm_src 0
		.amdhsa_exception_fp_ieee_div_zero 0
		.amdhsa_exception_fp_ieee_overflow 0
		.amdhsa_exception_fp_ieee_underflow 0
		.amdhsa_exception_fp_ieee_inexact 0
		.amdhsa_exception_int_div_zero 0
	.end_amdhsa_kernel
	.section	.text._ZN4vllm25paged_attention_v1_kernelI14__hip_bfloat16hLi64ELi8ELi128ELNS_18Fp8KVCacheDataTypeE1ELb1EEEvPT_PKS3_PKT0_S9_ifPKiSB_iPKfiiiSD_SD_iiiii,"axG",@progbits,_ZN4vllm25paged_attention_v1_kernelI14__hip_bfloat16hLi64ELi8ELi128ELNS_18Fp8KVCacheDataTypeE1ELb1EEEvPT_PKS3_PKT0_S9_ifPKiSB_iPKfiiiSD_SD_iiiii,comdat
.Lfunc_end305:
	.size	_ZN4vllm25paged_attention_v1_kernelI14__hip_bfloat16hLi64ELi8ELi128ELNS_18Fp8KVCacheDataTypeE1ELb1EEEvPT_PKS3_PKT0_S9_ifPKiSB_iPKfiiiSD_SD_iiiii, .Lfunc_end305-_ZN4vllm25paged_attention_v1_kernelI14__hip_bfloat16hLi64ELi8ELi128ELNS_18Fp8KVCacheDataTypeE1ELb1EEEvPT_PKS3_PKT0_S9_ifPKiSB_iPKfiiiSD_SD_iiiii
                                        ; -- End function
	.set _ZN4vllm25paged_attention_v1_kernelI14__hip_bfloat16hLi64ELi8ELi128ELNS_18Fp8KVCacheDataTypeE1ELb1EEEvPT_PKS3_PKT0_S9_ifPKiSB_iPKfiiiSD_SD_iiiii.num_vgpr, 50
	.set _ZN4vllm25paged_attention_v1_kernelI14__hip_bfloat16hLi64ELi8ELi128ELNS_18Fp8KVCacheDataTypeE1ELb1EEEvPT_PKS3_PKT0_S9_ifPKiSB_iPKfiiiSD_SD_iiiii.num_agpr, 0
	.set _ZN4vllm25paged_attention_v1_kernelI14__hip_bfloat16hLi64ELi8ELi128ELNS_18Fp8KVCacheDataTypeE1ELb1EEEvPT_PKS3_PKT0_S9_ifPKiSB_iPKfiiiSD_SD_iiiii.numbered_sgpr, 47
	.set _ZN4vllm25paged_attention_v1_kernelI14__hip_bfloat16hLi64ELi8ELi128ELNS_18Fp8KVCacheDataTypeE1ELb1EEEvPT_PKS3_PKT0_S9_ifPKiSB_iPKfiiiSD_SD_iiiii.num_named_barrier, 0
	.set _ZN4vllm25paged_attention_v1_kernelI14__hip_bfloat16hLi64ELi8ELi128ELNS_18Fp8KVCacheDataTypeE1ELb1EEEvPT_PKS3_PKT0_S9_ifPKiSB_iPKfiiiSD_SD_iiiii.private_seg_size, 0
	.set _ZN4vllm25paged_attention_v1_kernelI14__hip_bfloat16hLi64ELi8ELi128ELNS_18Fp8KVCacheDataTypeE1ELb1EEEvPT_PKS3_PKT0_S9_ifPKiSB_iPKfiiiSD_SD_iiiii.uses_vcc, 1
	.set _ZN4vllm25paged_attention_v1_kernelI14__hip_bfloat16hLi64ELi8ELi128ELNS_18Fp8KVCacheDataTypeE1ELb1EEEvPT_PKS3_PKT0_S9_ifPKiSB_iPKfiiiSD_SD_iiiii.uses_flat_scratch, 0
	.set _ZN4vllm25paged_attention_v1_kernelI14__hip_bfloat16hLi64ELi8ELi128ELNS_18Fp8KVCacheDataTypeE1ELb1EEEvPT_PKS3_PKT0_S9_ifPKiSB_iPKfiiiSD_SD_iiiii.has_dyn_sized_stack, 0
	.set _ZN4vllm25paged_attention_v1_kernelI14__hip_bfloat16hLi64ELi8ELi128ELNS_18Fp8KVCacheDataTypeE1ELb1EEEvPT_PKS3_PKT0_S9_ifPKiSB_iPKfiiiSD_SD_iiiii.has_recursion, 0
	.set _ZN4vllm25paged_attention_v1_kernelI14__hip_bfloat16hLi64ELi8ELi128ELNS_18Fp8KVCacheDataTypeE1ELb1EEEvPT_PKS3_PKT0_S9_ifPKiSB_iPKfiiiSD_SD_iiiii.has_indirect_call, 0
	.section	.AMDGPU.csdata,"",@progbits
; Kernel info:
; codeLenInByte = 12504
; TotalNumSgprs: 49
; NumVgprs: 50
; ScratchSize: 0
; MemoryBound: 0
; FloatMode: 240
; IeeeMode: 1
; LDSByteSize: 160 bytes/workgroup (compile time only)
; SGPRBlocks: 0
; VGPRBlocks: 3
; NumSGPRsForWavesPerEU: 49
; NumVGPRsForWavesPerEU: 50
; NamedBarCnt: 0
; Occupancy: 16
; WaveLimiterHint : 1
; COMPUTE_PGM_RSRC2:SCRATCH_EN: 0
; COMPUTE_PGM_RSRC2:USER_SGPR: 2
; COMPUTE_PGM_RSRC2:TRAP_HANDLER: 0
; COMPUTE_PGM_RSRC2:TGID_X_EN: 1
; COMPUTE_PGM_RSRC2:TGID_Y_EN: 1
; COMPUTE_PGM_RSRC2:TGID_Z_EN: 1
; COMPUTE_PGM_RSRC2:TIDIG_COMP_CNT: 0
	.section	.text._ZN4vllm25paged_attention_v1_kernelI14__hip_bfloat16hLi80ELi8ELi128ELNS_18Fp8KVCacheDataTypeE1ELb1EEEvPT_PKS3_PKT0_S9_ifPKiSB_iPKfiiiSD_SD_iiiii,"axG",@progbits,_ZN4vllm25paged_attention_v1_kernelI14__hip_bfloat16hLi80ELi8ELi128ELNS_18Fp8KVCacheDataTypeE1ELb1EEEvPT_PKS3_PKT0_S9_ifPKiSB_iPKfiiiSD_SD_iiiii,comdat
	.protected	_ZN4vllm25paged_attention_v1_kernelI14__hip_bfloat16hLi80ELi8ELi128ELNS_18Fp8KVCacheDataTypeE1ELb1EEEvPT_PKS3_PKT0_S9_ifPKiSB_iPKfiiiSD_SD_iiiii ; -- Begin function _ZN4vllm25paged_attention_v1_kernelI14__hip_bfloat16hLi80ELi8ELi128ELNS_18Fp8KVCacheDataTypeE1ELb1EEEvPT_PKS3_PKT0_S9_ifPKiSB_iPKfiiiSD_SD_iiiii
	.globl	_ZN4vllm25paged_attention_v1_kernelI14__hip_bfloat16hLi80ELi8ELi128ELNS_18Fp8KVCacheDataTypeE1ELb1EEEvPT_PKS3_PKT0_S9_ifPKiSB_iPKfiiiSD_SD_iiiii
	.p2align	8
	.type	_ZN4vllm25paged_attention_v1_kernelI14__hip_bfloat16hLi80ELi8ELi128ELNS_18Fp8KVCacheDataTypeE1ELb1EEEvPT_PKS3_PKT0_S9_ifPKiSB_iPKfiiiSD_SD_iiiii,@function
_ZN4vllm25paged_attention_v1_kernelI14__hip_bfloat16hLi80ELi8ELi128ELNS_18Fp8KVCacheDataTypeE1ELb1EEEvPT_PKS3_PKT0_S9_ifPKiSB_iPKfiiiSD_SD_iiiii: ; @_ZN4vllm25paged_attention_v1_kernelI14__hip_bfloat16hLi80ELi8ELi128ELNS_18Fp8KVCacheDataTypeE1ELb1EEEvPT_PKS3_PKT0_S9_ifPKiSB_iPKfiiiSD_SD_iiiii
; %bb.0:
	s_load_b64 s[26:27], s[0:1], 0x20
	s_bfe_u32 s3, ttmp6, 0x4000c
	s_bfe_u32 s4, ttmp6, 0x40010
	s_and_b32 s6, ttmp7, 0xffff
	s_add_co_i32 s3, s3, 1
	s_add_co_i32 s4, s4, 1
	s_and_b32 s2, ttmp6, 15
	s_bfe_u32 s5, ttmp6, 0x40004
	s_mul_i32 s3, ttmp9, s3
	s_mul_i32 s4, s6, s4
	s_getreg_b32 s30, hwreg(HW_REG_IB_STS2, 6, 4)
	s_add_co_i32 s2, s2, s3
	s_add_co_i32 s3, s5, s4
	s_cmp_eq_u32 s30, 0
	s_clause 0x1
	s_load_b32 s31, s[0:1], 0x80
	s_load_b64 s[4:5], s[0:1], 0x30
	s_cselect_b32 s33, s6, s3
	s_cselect_b32 s2, ttmp9, s2
	s_wait_kmcnt 0x0
	s_abs_i32 s3, s26
	s_delay_alu instid0(SALU_CYCLE_1) | instskip(SKIP_1) | instid1(SALU_CYCLE_2)
	s_cvt_f32_u32 s6, s3
	s_sub_co_i32 s7, 0, s3
	v_rcp_iflag_f32_e32 v1, s6
	s_abs_i32 s8, s31
	v_nop
	s_delay_alu instid0(TRANS32_DEP_1) | instskip(SKIP_1) | instid1(SALU_CYCLE_3)
	v_readfirstlane_b32 s6, v1
	s_mul_f32 s6, s6, 0x4f7ffffe
	s_cvt_u32_f32 s6, s6
	s_delay_alu instid0(SALU_CYCLE_3) | instskip(NEXT) | instid1(SALU_CYCLE_1)
	s_mul_i32 s7, s7, s6
	s_mul_hi_u32 s7, s6, s7
	s_delay_alu instid0(SALU_CYCLE_1) | instskip(SKIP_4) | instid1(SALU_CYCLE_1)
	s_add_co_i32 s6, s6, s7
	s_xor_b32 s7, s31, s26
	s_mul_hi_u32 s6, s8, s6
	s_ashr_i32 s7, s7, 31
	s_mul_i32 s9, s6, s3
	s_sub_co_i32 s8, s8, s9
	s_add_co_i32 s9, s6, 1
	s_sub_co_i32 s10, s8, s3
	s_cmp_ge_u32 s8, s3
	s_cselect_b32 s6, s9, s6
	s_cselect_b32 s8, s10, s8
	s_add_co_i32 s9, s6, 1
	s_cmp_ge_u32 s8, s3
	s_load_b64 s[10:11], s[0:1], 0x40
	s_cselect_b32 s3, s9, s6
	s_mov_b32 s9, 0
	s_xor_b32 s3, s3, s7
	s_abs_i32 s8, s2
	s_sub_co_i32 s12, s3, s7
	s_mov_b32 s7, s9
	s_abs_i32 s19, s12
	s_mov_b32 s36, s9
	s_cvt_f32_u32 s3, s19
	s_sub_co_i32 s6, 0, s19
	s_delay_alu instid0(SALU_CYCLE_2) | instskip(SKIP_1) | instid1(TRANS32_DEP_1)
	v_rcp_iflag_f32_e32 v1, s3
	v_nop
	v_readfirstlane_b32 s3, v1
	s_mul_f32 s3, s3, 0x4f7ffffe
	s_delay_alu instid0(SALU_CYCLE_3) | instskip(NEXT) | instid1(SALU_CYCLE_3)
	s_cvt_u32_f32 s3, s3
	s_mul_i32 s6, s6, s3
	s_delay_alu instid0(SALU_CYCLE_1) | instskip(NEXT) | instid1(SALU_CYCLE_1)
	s_mul_hi_u32 s6, s3, s6
	s_add_co_i32 s6, s3, s6
	s_wait_kmcnt 0x0
	s_cmp_eq_u64 s[10:11], 0
	s_cbranch_scc1 .LBB306_2
; %bb.1:
	s_ashr_i32 s3, s2, 31
	s_delay_alu instid0(SALU_CYCLE_1) | instskip(NEXT) | instid1(SALU_CYCLE_1)
	s_lshl_b64 s[14:15], s[2:3], 2
	s_add_nc_u64 s[10:11], s[10:11], s[14:15]
	s_load_b32 s36, s[10:11], 0x0
.LBB306_2:
	s_load_b32 s34, s[4:5], s33 offset:0x0 scale_offset
	s_load_b96 s[16:18], s[0:1], 0x48
	v_and_b32_e32 v2, 3, v0
	s_wait_xcnt 0x0
	s_mul_u64 s[4:5], s[8:9], s[6:7]
	s_ashr_i32 s3, s2, 31
	s_ashr_i32 s10, s12, 31
	s_mul_i32 s6, s2, 0x50
	s_mov_b32 s4, exec_lo
	v_cmpx_gt_u32_e32 40, v0
	s_cbranch_execz .LBB306_4
; %bb.3:
	s_load_b64 s[12:13], s[0:1], 0x8
	s_wait_kmcnt 0x0
	s_mul_i32 s14, s16, s33
	s_ashr_i32 s7, s6, 31
	s_ashr_i32 s15, s14, 31
	v_and_b32_e32 v3, 0x3fc, v0
	s_lshl_b64 s[14:15], s[14:15], 1
	s_delay_alu instid0(VALU_DEP_1) | instskip(SKIP_2) | instid1(SALU_CYCLE_1)
	v_mad_u32_u24 v3, v2, 40, v3
	s_add_nc_u64 s[12:13], s[12:13], s[14:15]
	s_lshl_b64 s[14:15], s[6:7], 1
	s_add_nc_u64 s[12:13], s[12:13], s[14:15]
	global_load_b32 v1, v0, s[12:13] scale_offset
	s_wait_loadcnt 0x0
	ds_store_b32 v3, v1
.LBB306_4:
	s_or_b32 exec_lo, exec_lo, s4
	s_load_b128 s[12:15], s[0:1], 0x68
	s_mul_i32 s4, s5, s19
	s_xor_b32 s3, s3, s10
	s_sub_co_i32 s4, s8, s4
	s_add_co_i32 s7, s5, 1
	s_sub_co_i32 s8, s4, s19
	s_cmp_ge_u32 s4, s19
	s_mov_b32 s9, -1
	s_cselect_b32 s5, s7, s5
	s_cselect_b32 s4, s8, s4
	s_add_co_i32 s8, s5, 1
	s_cmp_ge_u32 s4, s19
	s_load_b32 s7, s[0:1], 0x78
	s_cselect_b32 s4, s8, s5
	s_wait_kmcnt 0x0
	s_add_co_i32 s8, s34, -1
	s_xor_b32 s4, s4, s3
	s_wait_dscnt 0x0
	s_sub_co_i32 s3, s4, s3
	s_barrier_signal -1
	s_barrier_wait -1
	s_abs_i32 s16, s15
	s_delay_alu instid0(SALU_CYCLE_1) | instskip(NEXT) | instid1(SALU_CYCLE_3)
	s_cvt_f32_u32 s5, s16
                                        ; implicit-def: $sgpr35
	v_rcp_iflag_f32_e32 v1, s5
	v_nop
	s_delay_alu instid0(TRANS32_DEP_1) | instskip(SKIP_1) | instid1(SALU_CYCLE_3)
	v_readfirstlane_b32 s5, v1
	s_mul_f32 s4, s5, 0x4f7ffffe
	s_cvt_u32_f32 s10, s4
	s_sub_co_i32 s4, 0, s16
	s_delay_alu instid0(SALU_CYCLE_2)
	s_mul_i32 s5, s4, s10
	s_abs_i32 s4, s8
	s_mul_hi_u32 s11, s10, s5
	s_mov_b32 s5, 0
	s_add_co_i32 s20, s10, s11
	s_cmp_lt_i32 s7, 0
	s_mov_b32 s21, s5
	s_cbranch_scc0 .LBB306_6
; %bb.5:
	s_mul_i32 s9, s12, s26
	s_delay_alu instid0(SALU_CYCLE_1) | instskip(NEXT) | instid1(SALU_CYCLE_1)
	s_add_co_i32 s9, s3, s9
	s_mul_i32 s9, s9, s7
	s_delay_alu instid0(SALU_CYCLE_1)
	s_sub_co_i32 s35, 1, s9
	s_mov_b32 s9, s5
.LBB306_6:
	s_ashr_i32 s8, s8, 31
	s_ashr_i32 s15, s15, 31
	s_and_not1_b32 vcc_lo, exec_lo, s9
	s_mul_u64 s[28:29], s[4:5], s[20:21]
	s_cbranch_vccnz .LBB306_8
; %bb.7:
	s_mul_i32 s5, s31, s12
	s_delay_alu instid0(SALU_CYCLE_1) | instskip(NEXT) | instid1(SALU_CYCLE_1)
	s_add_co_i32 s2, s5, s2
	s_mul_i32 s2, s2, s7
	s_delay_alu instid0(SALU_CYCLE_1)
	s_add_co_i32 s35, s2, 1
.LBB306_8:
	s_clause 0x1
	s_load_b32 s2, s[0:1], 0x38
	s_load_b64 s[22:23], s[0:1], 0x28
	s_mul_i32 s7, s29, s16
	s_xor_b32 s5, s8, s15
	s_sub_co_i32 s4, s4, s7
	s_add_co_i32 s12, s29, 1
	s_clause 0x1
	s_load_b32 s7, s[0:1], 0x88
	s_load_b128 s[8:11], s[0:1], 0x58
	v_dual_lshrrev_b32 v1, 5, v0 :: v_dual_lshrrev_b32 v11, 3, v0
	v_mov_b32_e32 v27, 0xff7fffff
	v_mbcnt_lo_u32_b32 v24, -1, 0
	s_mul_i32 s18, s3, s18
	s_delay_alu instid0(VALU_DEP_3)
	v_lshlrev_b32_e32 v10, 3, v1
	s_wait_kmcnt 0x0
	s_mul_i32 s24, s2, s33
	s_sub_co_i32 s2, s4, s16
	s_ashr_i32 s25, s24, 31
	s_cmp_ge_u32 s4, s16
	s_cselect_b32 s12, s12, s29
	s_cselect_b32 s2, s2, s4
	s_add_co_i32 s4, s12, 1
	s_cmp_ge_u32 s2, s16
	s_cselect_b32 s2, s4, s12
	s_add_co_i32 s4, s34, 7
	s_delay_alu instid0(SALU_CYCLE_1) | instskip(NEXT) | instid1(SALU_CYCLE_1)
	s_ashr_i32 s12, s4, 31
	s_lshr_b32 s12, s12, 29
	s_delay_alu instid0(SALU_CYCLE_1) | instskip(NEXT) | instid1(SALU_CYCLE_1)
	s_add_co_i32 s4, s4, s12
	s_ashr_i32 s26, s4, 3
	s_xor_b32 s4, s2, s5
	v_cmp_gt_i32_e64 s2, s26, v1
	s_sub_co_i32 s12, s4, s5
	s_and_saveexec_b32 s37, s2
	s_cbranch_execz .LBB306_180
; %bb.9:
	s_load_b64 s[4:5], s[0:1], 0x10
	s_sub_co_i32 s38, s12, s13
	s_ashr_i32 s19, s18, 31
	s_cmp_neq_f32 s36, 0
	v_bfe_u32 v25, v0, 2, 3
	v_dual_mov_b32 v13, 0 :: v_dual_lshlrev_b32 v14, 3, v1
	s_cselect_b32 vcc_lo, -1, 0
	s_abs_i32 s39, s14
	s_delay_alu instid0(VALU_DEP_2)
	v_lshlrev_b32_e32 v12, 4, v25
	s_cvt_f32_u32 s28, s39
	s_lshl_b64 s[40:41], s[24:25], 2
	v_cmp_eq_u32_e64 s3, 0, v2
	v_mul_u32_u24_e32 v26, 40, v2
	v_rcp_iflag_f32_e32 v3, s28
	v_subrev_nc_u32_e32 v6, s34, v25
	v_dual_mov_b32 v30, 0xff7fffff :: v_dual_mov_b32 v31, v1
	s_mov_b32 s29, 0
	v_mov_b32_e32 v27, 0xff7fffff
	s_wait_kmcnt 0x0
	s_add_nc_u64 s[4:5], s[4:5], s[18:19]
	v_readfirstlane_b32 s28, v3
	v_lshlrev_b32_e32 v3, 2, v25
	v_add_nc_u64_e32 v[4:5], s[4:5], v[12:13]
	v_lshlrev_b32_e32 v12, 1, v2
	s_add_nc_u64 s[4:5], s[22:23], s[40:41]
	s_mul_f32 s19, s28, 0x4f7ffffe
	v_lshl_or_b32 v2, v1, 5, v3
	s_sub_co_i32 s28, 0, s39
	v_add_nc_u32_e32 v28, 1, v6
	v_add_nc_u64_e32 v[16:17], v[4:5], v[12:13]
	v_and_b32_e32 v12, 0x7c, v11
	s_cvt_u32_f32 s40, s19
	v_add_nc_u32_e32 v29, 0xc0, v2
	s_mov_b32 s19, s17
	s_delay_alu instid0(VALU_DEP_2) | instskip(SKIP_1) | instid1(SALU_CYCLE_1)
	v_add_nc_u64_e32 v[18:19], s[4:5], v[12:13]
	s_mul_i32 s28, s28, s40
	s_mul_hi_u32 s28, s40, s28
	s_delay_alu instid0(SALU_CYCLE_1)
	s_add_co_i32 s28, s40, s28
	s_mov_b32 s40, s29
	s_branch .LBB306_12
.LBB306_10:                             ;   in Loop: Header=BB306_12 Depth=1
	s_or_b32 exec_lo, exec_lo, s41
.LBB306_11:                             ;   in Loop: Header=BB306_12 Depth=1
	s_delay_alu instid0(SALU_CYCLE_1) | instskip(SKIP_3) | instid1(VALU_DEP_3)
	s_or_b32 exec_lo, exec_lo, s5
	v_dual_add_nc_u32 v31, 4, v31 :: v_dual_add_nc_u32 v14, 32, v14
	v_add_nc_u64_e32 v[18:19], 16, v[18:19]
	v_add_nc_u32_e32 v29, 0x80, v29
	v_cmp_le_i32_e64 s4, s26, v31
	s_or_b32 s40, s4, s40
	s_delay_alu instid0(SALU_CYCLE_1)
	s_and_not1_b32 exec_lo, exec_lo, s40
	s_cbranch_execz .LBB306_179
.LBB306_12:                             ; =>This Inner Loop Header: Depth=1
	v_mov_b32_e32 v15, v13
	s_wait_dscnt 0x0
	s_delay_alu instid0(VALU_DEP_1) | instskip(NEXT) | instid1(VALU_DEP_1)
	v_mul_u64_e32 v[2:3], s[20:21], v[14:15]
	v_mul_lo_u32 v2, v3, s16
	s_delay_alu instid0(VALU_DEP_1) | instskip(NEXT) | instid1(VALU_DEP_1)
	v_sub_nc_u32_e32 v2, v14, v2
	v_subrev_nc_u32_e32 v5, s16, v2
	v_cmp_le_u32_e64 s4, s16, v2
	s_delay_alu instid0(VALU_DEP_1) | instskip(NEXT) | instid1(VALU_DEP_1)
	v_dual_add_nc_u32 v4, 1, v3 :: v_dual_cndmask_b32 v2, v2, v5, s4
	v_cndmask_b32_e64 v3, v3, v4, s4
	s_delay_alu instid0(VALU_DEP_2) | instskip(NEXT) | instid1(VALU_DEP_2)
	v_cmp_le_u32_e64 s4, s16, v2
	v_add_nc_u32_e32 v4, 1, v3
	s_delay_alu instid0(VALU_DEP_1) | instskip(NEXT) | instid1(VALU_DEP_1)
	v_cndmask_b32_e64 v2, v3, v4, s4
	v_xor_b32_e32 v2, s15, v2
	s_delay_alu instid0(VALU_DEP_1) | instskip(NEXT) | instid1(VALU_DEP_1)
	v_subrev_nc_u32_e32 v4, s15, v2
	v_add_nc_u32_e32 v5, s35, v4
	v_cmp_ge_i32_e64 s5, s38, v4
	s_delay_alu instid0(VALU_DEP_2) | instskip(NEXT) | instid1(VALU_DEP_1)
	v_sub_nc_u32_e32 v2, 0, v5
	v_dual_ashrrev_i32 v5, 31, v5 :: v_dual_max_i32 v12, v5, v2
	s_delay_alu instid0(VALU_DEP_1) | instskip(NEXT) | instid1(VALU_DEP_1)
	v_mul_u64_e32 v[2:3], s[28:29], v[12:13]
	v_mul_lo_u32 v2, v3, s39
	s_delay_alu instid0(VALU_DEP_1) | instskip(NEXT) | instid1(VALU_DEP_1)
	v_sub_nc_u32_e32 v2, v12, v2
	v_subrev_nc_u32_e32 v3, s39, v2
	v_cmp_le_u32_e64 s4, s39, v2
	s_delay_alu instid0(VALU_DEP_1) | instskip(NEXT) | instid1(VALU_DEP_1)
	v_cndmask_b32_e64 v2, v2, v3, s4
	v_subrev_nc_u32_e32 v3, s39, v2
	v_cmp_le_u32_e64 s4, s39, v2
	s_delay_alu instid0(VALU_DEP_1) | instskip(NEXT) | instid1(VALU_DEP_1)
	v_cndmask_b32_e64 v2, v2, v3, s4
	v_xor_b32_e32 v2, v2, v5
	s_delay_alu instid0(VALU_DEP_1) | instskip(NEXT) | instid1(VALU_DEP_1)
	v_sub_nc_u32_e32 v2, v2, v5
	v_cmp_ne_u32_e64 s4, 0, v2
	s_and_b32 s4, s4, s5
	s_delay_alu instid0(SALU_CYCLE_1) | instskip(NEXT) | instid1(SALU_CYCLE_1)
	s_and_saveexec_b32 s5, s4
	s_xor_b32 s4, exec_lo, s5
	s_cbranch_execz .LBB306_16
; %bb.13:                               ;   in Loop: Header=BB306_12 Depth=1
	s_and_saveexec_b32 s5, s3
; %bb.14:                               ;   in Loop: Header=BB306_12 Depth=1
	ds_store_b32 v29, v30
; %bb.15:                               ;   in Loop: Header=BB306_12 Depth=1
	s_or_b32 exec_lo, exec_lo, s5
.LBB306_16:                             ;   in Loop: Header=BB306_12 Depth=1
	s_and_not1_saveexec_b32 s5, s4
	s_cbranch_execz .LBB306_11
; %bb.17:                               ;   in Loop: Header=BB306_12 Depth=1
	global_load_b32 v2, v[18:19], off
	v_mov_b32_e32 v15, 0
	s_wait_loadcnt 0x0
	v_mad_nc_i64_i32 v[22:23], v2, s19, v[16:17]
	global_load_u16 v12, v[22:23], off
	ds_load_2addr_b64 v[6:9], v26 offset1:1
	ds_load_2addr_b64 v[2:5], v26 offset0:2 offset1:3
	ds_load_b64 v[20:21], v26 offset:32
	s_load_b32 s41, s[8:9], 0x0
	s_wait_loadcnt 0x0
	v_and_b32_e32 v32, 0xff, v12
	v_and_b32_e32 v33, 0xffff, v12
	s_delay_alu instid0(VALU_DEP_2)
	v_cmp_ne_u16_e64 s4, 0, v32
	v_mov_b32_e32 v32, 0
	s_and_saveexec_b32 s42, s4
	s_cbranch_execz .LBB306_25
; %bb.18:                               ;   in Loop: Header=BB306_12 Depth=1
	v_and_b32_e32 v12, 0xff, v33
	v_bfrev_b32_e32 v32, 1
	s_mov_b32 s43, exec_lo
	s_delay_alu instid0(VALU_DEP_2)
	v_cmpx_ne_u16_e32 0x80, v12
	s_cbranch_execz .LBB306_24
; %bb.19:                               ;   in Loop: Header=BB306_12 Depth=1
	v_and_b32_e32 v34, 0x7f, v33
	v_mov_b32_e32 v32, 0x7f800001
	s_mov_b32 s44, exec_lo
	s_delay_alu instid0(VALU_DEP_2)
	v_cmpx_ne_u32_e32 0x7f, v34
	s_cbranch_execz .LBB306_23
; %bb.20:                               ;   in Loop: Header=BB306_12 Depth=1
	v_dual_lshrrev_b32 v32, 3, v34 :: v_dual_bitop2_b32 v12, 7, v33 bitop3:0x40
	s_mov_b32 s45, exec_lo
	v_cmpx_gt_u32_e32 8, v34
; %bb.21:                               ;   in Loop: Header=BB306_12 Depth=1
	s_delay_alu instid0(VALU_DEP_2) | instskip(NEXT) | instid1(VALU_DEP_1)
	v_clz_i32_u32_e32 v32, v12
	v_min_u32_e32 v32, 32, v32
	s_delay_alu instid0(VALU_DEP_1) | instskip(NEXT) | instid1(VALU_DEP_1)
	v_subrev_nc_u32_e32 v34, 28, v32
	v_lshlrev_b64_e32 v[34:35], v34, v[12:13]
	s_delay_alu instid0(VALU_DEP_1)
	v_dual_sub_nc_u32 v32, 29, v32 :: v_dual_bitop2_b32 v12, 7, v34 bitop3:0x40
; %bb.22:                               ;   in Loop: Header=BB306_12 Depth=1
	s_or_b32 exec_lo, exec_lo, s45
	s_delay_alu instid0(VALU_DEP_1) | instskip(NEXT) | instid1(VALU_DEP_2)
	v_dual_lshlrev_b32 v34, 24, v33 :: v_dual_lshlrev_b32 v12, 20, v12
	v_lshl_add_u32 v32, v32, 23, 0x3c000000
	s_delay_alu instid0(VALU_DEP_2) | instskip(NEXT) | instid1(VALU_DEP_1)
	v_and_b32_e32 v34, 0x80000000, v34
	v_or3_b32 v32, v12, v34, v32
.LBB306_23:                             ;   in Loop: Header=BB306_12 Depth=1
	s_or_b32 exec_lo, exec_lo, s44
.LBB306_24:                             ;   in Loop: Header=BB306_12 Depth=1
	s_delay_alu instid0(SALU_CYCLE_1)
	s_or_b32 exec_lo, exec_lo, s43
.LBB306_25:                             ;   in Loop: Header=BB306_12 Depth=1
	s_delay_alu instid0(SALU_CYCLE_1) | instskip(SKIP_2) | instid1(VALU_DEP_1)
	s_or_b32 exec_lo, exec_lo, s42
	v_lshrrev_b16 v12, 8, v33
	s_mov_b32 s42, exec_lo
	v_cmpx_ne_u16_e32 0, v12
	s_cbranch_execz .LBB306_33
; %bb.26:                               ;   in Loop: Header=BB306_12 Depth=1
	v_bfrev_b32_e32 v15, 1
	s_mov_b32 s43, exec_lo
	v_cmpx_ne_u16_e32 0x80, v12
	s_cbranch_execz .LBB306_32
; %bb.27:                               ;   in Loop: Header=BB306_12 Depth=1
	v_and_b32_e32 v12, 0xffff, v12
	v_mov_b32_e32 v15, 0x7f800001
	s_mov_b32 s44, exec_lo
	s_delay_alu instid0(VALU_DEP_2) | instskip(NEXT) | instid1(VALU_DEP_1)
	v_and_b32_e32 v34, 0x7f, v12
	v_cmpx_ne_u32_e32 0x7f, v34
	s_cbranch_execz .LBB306_31
; %bb.28:                               ;   in Loop: Header=BB306_12 Depth=1
	v_dual_lshrrev_b32 v15, 3, v34 :: v_dual_bitop2_b32 v12, 7, v12 bitop3:0x40
	s_mov_b32 s45, exec_lo
	v_cmpx_gt_u32_e32 8, v34
; %bb.29:                               ;   in Loop: Header=BB306_12 Depth=1
	s_delay_alu instid0(VALU_DEP_2) | instskip(NEXT) | instid1(VALU_DEP_1)
	v_clz_i32_u32_e32 v15, v12
	v_min_u32_e32 v15, 32, v15
	s_delay_alu instid0(VALU_DEP_1) | instskip(NEXT) | instid1(VALU_DEP_1)
	v_subrev_nc_u32_e32 v34, 28, v15
	v_lshlrev_b64_e32 v[34:35], v34, v[12:13]
	s_delay_alu instid0(VALU_DEP_1)
	v_dual_sub_nc_u32 v15, 29, v15 :: v_dual_bitop2_b32 v12, 7, v34 bitop3:0x40
; %bb.30:                               ;   in Loop: Header=BB306_12 Depth=1
	s_or_b32 exec_lo, exec_lo, s45
	s_delay_alu instid0(VALU_DEP_1) | instskip(NEXT) | instid1(VALU_DEP_2)
	v_dual_lshlrev_b32 v33, 16, v33 :: v_dual_lshlrev_b32 v12, 20, v12
	v_lshl_add_u32 v15, v15, 23, 0x3c000000
	s_delay_alu instid0(VALU_DEP_2) | instskip(NEXT) | instid1(VALU_DEP_1)
	v_and_b32_e32 v33, 0x80000000, v33
	v_or3_b32 v15, v12, v33, v15
.LBB306_31:                             ;   in Loop: Header=BB306_12 Depth=1
	s_or_b32 exec_lo, exec_lo, s44
.LBB306_32:                             ;   in Loop: Header=BB306_12 Depth=1
	s_delay_alu instid0(SALU_CYCLE_1)
	s_or_b32 exec_lo, exec_lo, s43
.LBB306_33:                             ;   in Loop: Header=BB306_12 Depth=1
	s_delay_alu instid0(SALU_CYCLE_1)
	s_or_b32 exec_lo, exec_lo, s42
	global_load_u16 v12, v[22:23], off offset:8
	v_mov_b32_e32 v33, 0
	s_wait_loadcnt 0x0
	v_and_b32_e32 v34, 0xff, v12
	v_and_b32_e32 v35, 0xffff, v12
	s_delay_alu instid0(VALU_DEP_2)
	v_cmp_ne_u16_e64 s4, 0, v34
	v_mov_b32_e32 v34, 0
	s_and_saveexec_b32 s42, s4
	s_cbranch_execz .LBB306_41
; %bb.34:                               ;   in Loop: Header=BB306_12 Depth=1
	v_and_b32_e32 v12, 0xff, v35
	v_bfrev_b32_e32 v34, 1
	s_mov_b32 s43, exec_lo
	s_delay_alu instid0(VALU_DEP_2)
	v_cmpx_ne_u16_e32 0x80, v12
	s_cbranch_execz .LBB306_40
; %bb.35:                               ;   in Loop: Header=BB306_12 Depth=1
	v_and_b32_e32 v36, 0x7f, v35
	v_mov_b32_e32 v34, 0x7f800001
	s_mov_b32 s44, exec_lo
	s_delay_alu instid0(VALU_DEP_2)
	v_cmpx_ne_u32_e32 0x7f, v36
	s_cbranch_execz .LBB306_39
; %bb.36:                               ;   in Loop: Header=BB306_12 Depth=1
	v_dual_lshrrev_b32 v34, 3, v36 :: v_dual_bitop2_b32 v12, 7, v35 bitop3:0x40
	s_mov_b32 s45, exec_lo
	v_cmpx_gt_u32_e32 8, v36
; %bb.37:                               ;   in Loop: Header=BB306_12 Depth=1
	s_delay_alu instid0(VALU_DEP_2) | instskip(NEXT) | instid1(VALU_DEP_1)
	v_clz_i32_u32_e32 v34, v12
	v_min_u32_e32 v34, 32, v34
	s_delay_alu instid0(VALU_DEP_1) | instskip(NEXT) | instid1(VALU_DEP_1)
	v_subrev_nc_u32_e32 v36, 28, v34
	v_lshlrev_b64_e32 v[36:37], v36, v[12:13]
	s_delay_alu instid0(VALU_DEP_1)
	v_dual_sub_nc_u32 v34, 29, v34 :: v_dual_bitop2_b32 v12, 7, v36 bitop3:0x40
; %bb.38:                               ;   in Loop: Header=BB306_12 Depth=1
	s_or_b32 exec_lo, exec_lo, s45
	s_delay_alu instid0(VALU_DEP_1) | instskip(NEXT) | instid1(VALU_DEP_2)
	v_dual_lshlrev_b32 v36, 24, v35 :: v_dual_lshlrev_b32 v12, 20, v12
	v_lshl_add_u32 v34, v34, 23, 0x3c000000
	s_delay_alu instid0(VALU_DEP_2) | instskip(NEXT) | instid1(VALU_DEP_1)
	v_and_b32_e32 v36, 0x80000000, v36
	v_or3_b32 v34, v12, v36, v34
.LBB306_39:                             ;   in Loop: Header=BB306_12 Depth=1
	s_or_b32 exec_lo, exec_lo, s44
.LBB306_40:                             ;   in Loop: Header=BB306_12 Depth=1
	s_delay_alu instid0(SALU_CYCLE_1)
	s_or_b32 exec_lo, exec_lo, s43
.LBB306_41:                             ;   in Loop: Header=BB306_12 Depth=1
	s_delay_alu instid0(SALU_CYCLE_1) | instskip(SKIP_2) | instid1(VALU_DEP_1)
	s_or_b32 exec_lo, exec_lo, s42
	v_lshrrev_b16 v12, 8, v35
	s_mov_b32 s42, exec_lo
	v_cmpx_ne_u16_e32 0, v12
	s_cbranch_execz .LBB306_49
; %bb.42:                               ;   in Loop: Header=BB306_12 Depth=1
	v_bfrev_b32_e32 v33, 1
	s_mov_b32 s43, exec_lo
	v_cmpx_ne_u16_e32 0x80, v12
	s_cbranch_execz .LBB306_48
; %bb.43:                               ;   in Loop: Header=BB306_12 Depth=1
	v_and_b32_e32 v12, 0xffff, v12
	v_mov_b32_e32 v33, 0x7f800001
	s_mov_b32 s44, exec_lo
	s_delay_alu instid0(VALU_DEP_2) | instskip(NEXT) | instid1(VALU_DEP_1)
	v_and_b32_e32 v36, 0x7f, v12
	v_cmpx_ne_u32_e32 0x7f, v36
	s_cbranch_execz .LBB306_47
; %bb.44:                               ;   in Loop: Header=BB306_12 Depth=1
	v_and_b32_e32 v12, 7, v12
	v_lshrrev_b32_e32 v33, 3, v36
	s_mov_b32 s45, exec_lo
	v_cmpx_gt_u32_e32 8, v36
; %bb.45:                               ;   in Loop: Header=BB306_12 Depth=1
	s_delay_alu instid0(VALU_DEP_3) | instskip(NEXT) | instid1(VALU_DEP_1)
	v_clz_i32_u32_e32 v33, v12
	v_min_u32_e32 v33, 32, v33
	s_delay_alu instid0(VALU_DEP_1) | instskip(NEXT) | instid1(VALU_DEP_1)
	v_subrev_nc_u32_e32 v36, 28, v33
	v_lshlrev_b64_e32 v[36:37], v36, v[12:13]
	s_delay_alu instid0(VALU_DEP_1)
	v_dual_sub_nc_u32 v33, 29, v33 :: v_dual_bitop2_b32 v12, 7, v36 bitop3:0x40
; %bb.46:                               ;   in Loop: Header=BB306_12 Depth=1
	s_or_b32 exec_lo, exec_lo, s45
	s_delay_alu instid0(VALU_DEP_1) | instskip(NEXT) | instid1(VALU_DEP_2)
	v_dual_lshlrev_b32 v35, 16, v35 :: v_dual_lshlrev_b32 v12, 20, v12
	v_lshl_add_u32 v33, v33, 23, 0x3c000000
	s_delay_alu instid0(VALU_DEP_2) | instskip(NEXT) | instid1(VALU_DEP_1)
	v_and_b32_e32 v35, 0x80000000, v35
	v_or3_b32 v33, v12, v35, v33
.LBB306_47:                             ;   in Loop: Header=BB306_12 Depth=1
	s_or_b32 exec_lo, exec_lo, s44
.LBB306_48:                             ;   in Loop: Header=BB306_12 Depth=1
	s_delay_alu instid0(SALU_CYCLE_1)
	s_or_b32 exec_lo, exec_lo, s43
.LBB306_49:                             ;   in Loop: Header=BB306_12 Depth=1
	s_delay_alu instid0(SALU_CYCLE_1)
	s_or_b32 exec_lo, exec_lo, s42
	global_load_u16 v12, v[22:23], off offset:128
	v_mov_b32_e32 v35, 0
	s_wait_loadcnt 0x0
	v_and_b32_e32 v36, 0xff, v12
	v_and_b32_e32 v37, 0xffff, v12
	s_delay_alu instid0(VALU_DEP_2)
	v_cmp_ne_u16_e64 s4, 0, v36
	v_mov_b32_e32 v36, 0
	s_and_saveexec_b32 s42, s4
	s_cbranch_execz .LBB306_57
; %bb.50:                               ;   in Loop: Header=BB306_12 Depth=1
	v_and_b32_e32 v12, 0xff, v37
	v_bfrev_b32_e32 v36, 1
	s_mov_b32 s43, exec_lo
	s_delay_alu instid0(VALU_DEP_2)
	v_cmpx_ne_u16_e32 0x80, v12
	s_cbranch_execz .LBB306_56
; %bb.51:                               ;   in Loop: Header=BB306_12 Depth=1
	v_and_b32_e32 v38, 0x7f, v37
	v_mov_b32_e32 v36, 0x7f800001
	s_mov_b32 s44, exec_lo
	s_delay_alu instid0(VALU_DEP_2)
	v_cmpx_ne_u32_e32 0x7f, v38
	s_cbranch_execz .LBB306_55
; %bb.52:                               ;   in Loop: Header=BB306_12 Depth=1
	v_dual_lshrrev_b32 v36, 3, v38 :: v_dual_bitop2_b32 v12, 7, v37 bitop3:0x40
	s_mov_b32 s45, exec_lo
	v_cmpx_gt_u32_e32 8, v38
; %bb.53:                               ;   in Loop: Header=BB306_12 Depth=1
	s_delay_alu instid0(VALU_DEP_2) | instskip(NEXT) | instid1(VALU_DEP_1)
	v_clz_i32_u32_e32 v36, v12
	v_min_u32_e32 v36, 32, v36
	s_delay_alu instid0(VALU_DEP_1) | instskip(NEXT) | instid1(VALU_DEP_1)
	v_subrev_nc_u32_e32 v38, 28, v36
	v_lshlrev_b64_e32 v[38:39], v38, v[12:13]
	s_delay_alu instid0(VALU_DEP_1)
	v_dual_sub_nc_u32 v36, 29, v36 :: v_dual_bitop2_b32 v12, 7, v38 bitop3:0x40
; %bb.54:                               ;   in Loop: Header=BB306_12 Depth=1
	s_or_b32 exec_lo, exec_lo, s45
	s_delay_alu instid0(VALU_DEP_1) | instskip(NEXT) | instid1(VALU_DEP_2)
	v_dual_lshlrev_b32 v38, 24, v37 :: v_dual_lshlrev_b32 v12, 20, v12
	v_lshl_add_u32 v36, v36, 23, 0x3c000000
	s_delay_alu instid0(VALU_DEP_2) | instskip(NEXT) | instid1(VALU_DEP_1)
	v_and_b32_e32 v38, 0x80000000, v38
	v_or3_b32 v36, v12, v38, v36
.LBB306_55:                             ;   in Loop: Header=BB306_12 Depth=1
	s_or_b32 exec_lo, exec_lo, s44
.LBB306_56:                             ;   in Loop: Header=BB306_12 Depth=1
	s_delay_alu instid0(SALU_CYCLE_1)
	s_or_b32 exec_lo, exec_lo, s43
.LBB306_57:                             ;   in Loop: Header=BB306_12 Depth=1
	s_delay_alu instid0(SALU_CYCLE_1) | instskip(SKIP_2) | instid1(VALU_DEP_1)
	s_or_b32 exec_lo, exec_lo, s42
	v_lshrrev_b16 v12, 8, v37
	s_mov_b32 s42, exec_lo
	v_cmpx_ne_u16_e32 0, v12
	s_cbranch_execz .LBB306_65
; %bb.58:                               ;   in Loop: Header=BB306_12 Depth=1
	v_bfrev_b32_e32 v35, 1
	s_mov_b32 s43, exec_lo
	v_cmpx_ne_u16_e32 0x80, v12
	s_cbranch_execz .LBB306_64
; %bb.59:                               ;   in Loop: Header=BB306_12 Depth=1
	v_and_b32_e32 v12, 0xffff, v12
	v_mov_b32_e32 v35, 0x7f800001
	s_mov_b32 s44, exec_lo
	s_delay_alu instid0(VALU_DEP_2) | instskip(NEXT) | instid1(VALU_DEP_1)
	v_and_b32_e32 v38, 0x7f, v12
	v_cmpx_ne_u32_e32 0x7f, v38
	s_cbranch_execz .LBB306_63
; %bb.60:                               ;   in Loop: Header=BB306_12 Depth=1
	v_dual_lshrrev_b32 v35, 3, v38 :: v_dual_bitop2_b32 v12, 7, v12 bitop3:0x40
	s_mov_b32 s45, exec_lo
	v_cmpx_gt_u32_e32 8, v38
; %bb.61:                               ;   in Loop: Header=BB306_12 Depth=1
	s_delay_alu instid0(VALU_DEP_2) | instskip(NEXT) | instid1(VALU_DEP_1)
	v_clz_i32_u32_e32 v35, v12
	v_min_u32_e32 v35, 32, v35
	s_delay_alu instid0(VALU_DEP_1) | instskip(NEXT) | instid1(VALU_DEP_1)
	v_subrev_nc_u32_e32 v38, 28, v35
	v_lshlrev_b64_e32 v[38:39], v38, v[12:13]
	s_delay_alu instid0(VALU_DEP_1)
	v_dual_sub_nc_u32 v35, 29, v35 :: v_dual_bitop2_b32 v12, 7, v38 bitop3:0x40
; %bb.62:                               ;   in Loop: Header=BB306_12 Depth=1
	s_or_b32 exec_lo, exec_lo, s45
	s_delay_alu instid0(VALU_DEP_1) | instskip(NEXT) | instid1(VALU_DEP_2)
	v_dual_lshlrev_b32 v37, 16, v37 :: v_dual_lshlrev_b32 v12, 20, v12
	v_lshl_add_u32 v35, v35, 23, 0x3c000000
	s_delay_alu instid0(VALU_DEP_2) | instskip(NEXT) | instid1(VALU_DEP_1)
	v_and_b32_e32 v37, 0x80000000, v37
	v_or3_b32 v35, v12, v37, v35
.LBB306_63:                             ;   in Loop: Header=BB306_12 Depth=1
	s_or_b32 exec_lo, exec_lo, s44
.LBB306_64:                             ;   in Loop: Header=BB306_12 Depth=1
	s_delay_alu instid0(SALU_CYCLE_1)
	s_or_b32 exec_lo, exec_lo, s43
.LBB306_65:                             ;   in Loop: Header=BB306_12 Depth=1
	s_delay_alu instid0(SALU_CYCLE_1)
	s_or_b32 exec_lo, exec_lo, s42
	global_load_u16 v12, v[22:23], off offset:136
	v_mov_b32_e32 v37, 0
	s_wait_loadcnt 0x0
	v_and_b32_e32 v38, 0xff, v12
	v_and_b32_e32 v39, 0xffff, v12
	s_delay_alu instid0(VALU_DEP_2)
	v_cmp_ne_u16_e64 s4, 0, v38
	v_mov_b32_e32 v38, 0
	s_and_saveexec_b32 s42, s4
	s_cbranch_execz .LBB306_73
; %bb.66:                               ;   in Loop: Header=BB306_12 Depth=1
	v_and_b32_e32 v12, 0xff, v39
	v_bfrev_b32_e32 v38, 1
	s_mov_b32 s43, exec_lo
	s_delay_alu instid0(VALU_DEP_2)
	v_cmpx_ne_u16_e32 0x80, v12
	s_cbranch_execz .LBB306_72
; %bb.67:                               ;   in Loop: Header=BB306_12 Depth=1
	v_and_b32_e32 v40, 0x7f, v39
	v_mov_b32_e32 v38, 0x7f800001
	s_mov_b32 s44, exec_lo
	s_delay_alu instid0(VALU_DEP_2)
	v_cmpx_ne_u32_e32 0x7f, v40
	s_cbranch_execz .LBB306_71
; %bb.68:                               ;   in Loop: Header=BB306_12 Depth=1
	v_dual_lshrrev_b32 v38, 3, v40 :: v_dual_bitop2_b32 v12, 7, v39 bitop3:0x40
	s_mov_b32 s45, exec_lo
	v_cmpx_gt_u32_e32 8, v40
; %bb.69:                               ;   in Loop: Header=BB306_12 Depth=1
	s_delay_alu instid0(VALU_DEP_2) | instskip(NEXT) | instid1(VALU_DEP_1)
	v_clz_i32_u32_e32 v38, v12
	v_min_u32_e32 v38, 32, v38
	s_delay_alu instid0(VALU_DEP_1) | instskip(NEXT) | instid1(VALU_DEP_1)
	v_subrev_nc_u32_e32 v40, 28, v38
	v_lshlrev_b64_e32 v[40:41], v40, v[12:13]
	s_delay_alu instid0(VALU_DEP_1)
	v_dual_sub_nc_u32 v38, 29, v38 :: v_dual_bitop2_b32 v12, 7, v40 bitop3:0x40
; %bb.70:                               ;   in Loop: Header=BB306_12 Depth=1
	s_or_b32 exec_lo, exec_lo, s45
	s_delay_alu instid0(VALU_DEP_1) | instskip(NEXT) | instid1(VALU_DEP_2)
	v_dual_lshlrev_b32 v40, 24, v39 :: v_dual_lshlrev_b32 v12, 20, v12
	v_lshl_add_u32 v38, v38, 23, 0x3c000000
	s_delay_alu instid0(VALU_DEP_2) | instskip(NEXT) | instid1(VALU_DEP_1)
	v_and_b32_e32 v40, 0x80000000, v40
	v_or3_b32 v38, v12, v40, v38
.LBB306_71:                             ;   in Loop: Header=BB306_12 Depth=1
	s_or_b32 exec_lo, exec_lo, s44
.LBB306_72:                             ;   in Loop: Header=BB306_12 Depth=1
	s_delay_alu instid0(SALU_CYCLE_1)
	s_or_b32 exec_lo, exec_lo, s43
.LBB306_73:                             ;   in Loop: Header=BB306_12 Depth=1
	s_delay_alu instid0(SALU_CYCLE_1) | instskip(SKIP_2) | instid1(VALU_DEP_1)
	s_or_b32 exec_lo, exec_lo, s42
	v_lshrrev_b16 v12, 8, v39
	s_mov_b32 s42, exec_lo
	v_cmpx_ne_u16_e32 0, v12
	s_cbranch_execz .LBB306_81
; %bb.74:                               ;   in Loop: Header=BB306_12 Depth=1
	v_bfrev_b32_e32 v37, 1
	s_mov_b32 s43, exec_lo
	v_cmpx_ne_u16_e32 0x80, v12
	s_cbranch_execz .LBB306_80
; %bb.75:                               ;   in Loop: Header=BB306_12 Depth=1
	v_and_b32_e32 v12, 0xffff, v12
	v_mov_b32_e32 v37, 0x7f800001
	s_mov_b32 s44, exec_lo
	s_delay_alu instid0(VALU_DEP_2) | instskip(NEXT) | instid1(VALU_DEP_1)
	v_and_b32_e32 v40, 0x7f, v12
	v_cmpx_ne_u32_e32 0x7f, v40
	s_cbranch_execz .LBB306_79
; %bb.76:                               ;   in Loop: Header=BB306_12 Depth=1
	v_and_b32_e32 v12, 7, v12
	v_lshrrev_b32_e32 v37, 3, v40
	s_mov_b32 s45, exec_lo
	v_cmpx_gt_u32_e32 8, v40
; %bb.77:                               ;   in Loop: Header=BB306_12 Depth=1
	s_delay_alu instid0(VALU_DEP_3) | instskip(NEXT) | instid1(VALU_DEP_1)
	v_clz_i32_u32_e32 v37, v12
	v_min_u32_e32 v37, 32, v37
	s_delay_alu instid0(VALU_DEP_1) | instskip(NEXT) | instid1(VALU_DEP_1)
	v_subrev_nc_u32_e32 v40, 28, v37
	v_lshlrev_b64_e32 v[40:41], v40, v[12:13]
	s_delay_alu instid0(VALU_DEP_1)
	v_dual_sub_nc_u32 v37, 29, v37 :: v_dual_bitop2_b32 v12, 7, v40 bitop3:0x40
; %bb.78:                               ;   in Loop: Header=BB306_12 Depth=1
	s_or_b32 exec_lo, exec_lo, s45
	s_delay_alu instid0(VALU_DEP_1) | instskip(NEXT) | instid1(VALU_DEP_2)
	v_dual_lshlrev_b32 v39, 16, v39 :: v_dual_lshlrev_b32 v12, 20, v12
	v_lshl_add_u32 v37, v37, 23, 0x3c000000
	s_delay_alu instid0(VALU_DEP_2) | instskip(NEXT) | instid1(VALU_DEP_1)
	v_and_b32_e32 v39, 0x80000000, v39
	v_or3_b32 v37, v12, v39, v37
.LBB306_79:                             ;   in Loop: Header=BB306_12 Depth=1
	s_or_b32 exec_lo, exec_lo, s44
.LBB306_80:                             ;   in Loop: Header=BB306_12 Depth=1
	s_delay_alu instid0(SALU_CYCLE_1)
	s_or_b32 exec_lo, exec_lo, s43
.LBB306_81:                             ;   in Loop: Header=BB306_12 Depth=1
	s_delay_alu instid0(SALU_CYCLE_1)
	s_or_b32 exec_lo, exec_lo, s42
	global_load_u16 v12, v[22:23], off offset:256
	v_mov_b32_e32 v39, 0
	s_wait_loadcnt 0x0
	v_and_b32_e32 v40, 0xff, v12
	v_and_b32_e32 v41, 0xffff, v12
	s_delay_alu instid0(VALU_DEP_2)
	v_cmp_ne_u16_e64 s4, 0, v40
	v_mov_b32_e32 v40, 0
	s_and_saveexec_b32 s42, s4
	s_cbranch_execz .LBB306_89
; %bb.82:                               ;   in Loop: Header=BB306_12 Depth=1
	v_and_b32_e32 v12, 0xff, v41
	v_bfrev_b32_e32 v40, 1
	s_mov_b32 s43, exec_lo
	s_delay_alu instid0(VALU_DEP_2)
	v_cmpx_ne_u16_e32 0x80, v12
	s_cbranch_execz .LBB306_88
; %bb.83:                               ;   in Loop: Header=BB306_12 Depth=1
	v_and_b32_e32 v42, 0x7f, v41
	v_mov_b32_e32 v40, 0x7f800001
	s_mov_b32 s44, exec_lo
	s_delay_alu instid0(VALU_DEP_2)
	v_cmpx_ne_u32_e32 0x7f, v42
	s_cbranch_execz .LBB306_87
; %bb.84:                               ;   in Loop: Header=BB306_12 Depth=1
	v_dual_lshrrev_b32 v40, 3, v42 :: v_dual_bitop2_b32 v12, 7, v41 bitop3:0x40
	s_mov_b32 s45, exec_lo
	v_cmpx_gt_u32_e32 8, v42
; %bb.85:                               ;   in Loop: Header=BB306_12 Depth=1
	s_delay_alu instid0(VALU_DEP_2) | instskip(NEXT) | instid1(VALU_DEP_1)
	v_clz_i32_u32_e32 v40, v12
	v_min_u32_e32 v40, 32, v40
	s_delay_alu instid0(VALU_DEP_1) | instskip(NEXT) | instid1(VALU_DEP_1)
	v_subrev_nc_u32_e32 v42, 28, v40
	v_lshlrev_b64_e32 v[42:43], v42, v[12:13]
	s_delay_alu instid0(VALU_DEP_1)
	v_dual_sub_nc_u32 v40, 29, v40 :: v_dual_bitop2_b32 v12, 7, v42 bitop3:0x40
; %bb.86:                               ;   in Loop: Header=BB306_12 Depth=1
	s_or_b32 exec_lo, exec_lo, s45
	s_delay_alu instid0(VALU_DEP_1) | instskip(NEXT) | instid1(VALU_DEP_2)
	v_dual_lshlrev_b32 v42, 24, v41 :: v_dual_lshlrev_b32 v12, 20, v12
	v_lshl_add_u32 v40, v40, 23, 0x3c000000
	s_delay_alu instid0(VALU_DEP_2) | instskip(NEXT) | instid1(VALU_DEP_1)
	v_and_b32_e32 v42, 0x80000000, v42
	v_or3_b32 v40, v12, v42, v40
.LBB306_87:                             ;   in Loop: Header=BB306_12 Depth=1
	s_or_b32 exec_lo, exec_lo, s44
.LBB306_88:                             ;   in Loop: Header=BB306_12 Depth=1
	s_delay_alu instid0(SALU_CYCLE_1)
	s_or_b32 exec_lo, exec_lo, s43
.LBB306_89:                             ;   in Loop: Header=BB306_12 Depth=1
	s_delay_alu instid0(SALU_CYCLE_1) | instskip(SKIP_2) | instid1(VALU_DEP_1)
	s_or_b32 exec_lo, exec_lo, s42
	v_lshrrev_b16 v12, 8, v41
	s_mov_b32 s42, exec_lo
	v_cmpx_ne_u16_e32 0, v12
	s_cbranch_execz .LBB306_97
; %bb.90:                               ;   in Loop: Header=BB306_12 Depth=1
	v_bfrev_b32_e32 v39, 1
	s_mov_b32 s43, exec_lo
	v_cmpx_ne_u16_e32 0x80, v12
	s_cbranch_execz .LBB306_96
; %bb.91:                               ;   in Loop: Header=BB306_12 Depth=1
	v_and_b32_e32 v12, 0xffff, v12
	v_mov_b32_e32 v39, 0x7f800001
	s_mov_b32 s44, exec_lo
	s_delay_alu instid0(VALU_DEP_2) | instskip(NEXT) | instid1(VALU_DEP_1)
	v_and_b32_e32 v42, 0x7f, v12
	v_cmpx_ne_u32_e32 0x7f, v42
	s_cbranch_execz .LBB306_95
; %bb.92:                               ;   in Loop: Header=BB306_12 Depth=1
	v_dual_lshrrev_b32 v39, 3, v42 :: v_dual_bitop2_b32 v12, 7, v12 bitop3:0x40
	s_mov_b32 s45, exec_lo
	v_cmpx_gt_u32_e32 8, v42
; %bb.93:                               ;   in Loop: Header=BB306_12 Depth=1
	s_delay_alu instid0(VALU_DEP_2) | instskip(NEXT) | instid1(VALU_DEP_1)
	v_clz_i32_u32_e32 v39, v12
	v_min_u32_e32 v39, 32, v39
	s_delay_alu instid0(VALU_DEP_1) | instskip(NEXT) | instid1(VALU_DEP_1)
	v_subrev_nc_u32_e32 v42, 28, v39
	v_lshlrev_b64_e32 v[42:43], v42, v[12:13]
	s_delay_alu instid0(VALU_DEP_1)
	v_dual_sub_nc_u32 v39, 29, v39 :: v_dual_bitop2_b32 v12, 7, v42 bitop3:0x40
; %bb.94:                               ;   in Loop: Header=BB306_12 Depth=1
	s_or_b32 exec_lo, exec_lo, s45
	s_delay_alu instid0(VALU_DEP_1) | instskip(NEXT) | instid1(VALU_DEP_2)
	v_dual_lshlrev_b32 v41, 16, v41 :: v_dual_lshlrev_b32 v12, 20, v12
	v_lshl_add_u32 v39, v39, 23, 0x3c000000
	s_delay_alu instid0(VALU_DEP_2) | instskip(NEXT) | instid1(VALU_DEP_1)
	v_and_b32_e32 v41, 0x80000000, v41
	v_or3_b32 v39, v12, v41, v39
.LBB306_95:                             ;   in Loop: Header=BB306_12 Depth=1
	s_or_b32 exec_lo, exec_lo, s44
.LBB306_96:                             ;   in Loop: Header=BB306_12 Depth=1
	s_delay_alu instid0(SALU_CYCLE_1)
	s_or_b32 exec_lo, exec_lo, s43
.LBB306_97:                             ;   in Loop: Header=BB306_12 Depth=1
	s_delay_alu instid0(SALU_CYCLE_1)
	s_or_b32 exec_lo, exec_lo, s42
	global_load_u16 v12, v[22:23], off offset:264
	v_mov_b32_e32 v41, 0
	s_wait_loadcnt 0x0
	v_and_b32_e32 v42, 0xff, v12
	v_and_b32_e32 v43, 0xffff, v12
	s_delay_alu instid0(VALU_DEP_2)
	v_cmp_ne_u16_e64 s4, 0, v42
	v_mov_b32_e32 v42, 0
	s_and_saveexec_b32 s42, s4
	s_cbranch_execz .LBB306_105
; %bb.98:                               ;   in Loop: Header=BB306_12 Depth=1
	v_and_b32_e32 v12, 0xff, v43
	v_bfrev_b32_e32 v42, 1
	s_mov_b32 s43, exec_lo
	s_delay_alu instid0(VALU_DEP_2)
	v_cmpx_ne_u16_e32 0x80, v12
	s_cbranch_execz .LBB306_104
; %bb.99:                               ;   in Loop: Header=BB306_12 Depth=1
	v_and_b32_e32 v44, 0x7f, v43
	v_mov_b32_e32 v42, 0x7f800001
	s_mov_b32 s44, exec_lo
	s_delay_alu instid0(VALU_DEP_2)
	v_cmpx_ne_u32_e32 0x7f, v44
	s_cbranch_execz .LBB306_103
; %bb.100:                              ;   in Loop: Header=BB306_12 Depth=1
	v_dual_lshrrev_b32 v42, 3, v44 :: v_dual_bitop2_b32 v12, 7, v43 bitop3:0x40
	s_mov_b32 s45, exec_lo
	v_cmpx_gt_u32_e32 8, v44
; %bb.101:                              ;   in Loop: Header=BB306_12 Depth=1
	s_delay_alu instid0(VALU_DEP_2) | instskip(NEXT) | instid1(VALU_DEP_1)
	v_clz_i32_u32_e32 v42, v12
	v_min_u32_e32 v42, 32, v42
	s_delay_alu instid0(VALU_DEP_1) | instskip(NEXT) | instid1(VALU_DEP_1)
	v_subrev_nc_u32_e32 v44, 28, v42
	v_lshlrev_b64_e32 v[44:45], v44, v[12:13]
	s_delay_alu instid0(VALU_DEP_1)
	v_dual_sub_nc_u32 v42, 29, v42 :: v_dual_bitop2_b32 v12, 7, v44 bitop3:0x40
; %bb.102:                              ;   in Loop: Header=BB306_12 Depth=1
	s_or_b32 exec_lo, exec_lo, s45
	s_delay_alu instid0(VALU_DEP_1) | instskip(NEXT) | instid1(VALU_DEP_2)
	v_dual_lshlrev_b32 v44, 24, v43 :: v_dual_lshlrev_b32 v12, 20, v12
	v_lshl_add_u32 v42, v42, 23, 0x3c000000
	s_delay_alu instid0(VALU_DEP_2) | instskip(NEXT) | instid1(VALU_DEP_1)
	v_and_b32_e32 v44, 0x80000000, v44
	v_or3_b32 v42, v12, v44, v42
.LBB306_103:                            ;   in Loop: Header=BB306_12 Depth=1
	s_or_b32 exec_lo, exec_lo, s44
.LBB306_104:                            ;   in Loop: Header=BB306_12 Depth=1
	s_delay_alu instid0(SALU_CYCLE_1)
	s_or_b32 exec_lo, exec_lo, s43
.LBB306_105:                            ;   in Loop: Header=BB306_12 Depth=1
	s_delay_alu instid0(SALU_CYCLE_1) | instskip(SKIP_2) | instid1(VALU_DEP_1)
	s_or_b32 exec_lo, exec_lo, s42
	v_lshrrev_b16 v12, 8, v43
	s_mov_b32 s42, exec_lo
	v_cmpx_ne_u16_e32 0, v12
	s_cbranch_execz .LBB306_113
; %bb.106:                              ;   in Loop: Header=BB306_12 Depth=1
	v_bfrev_b32_e32 v41, 1
	s_mov_b32 s43, exec_lo
	v_cmpx_ne_u16_e32 0x80, v12
	s_cbranch_execz .LBB306_112
; %bb.107:                              ;   in Loop: Header=BB306_12 Depth=1
	v_and_b32_e32 v12, 0xffff, v12
	v_mov_b32_e32 v41, 0x7f800001
	s_mov_b32 s44, exec_lo
	s_delay_alu instid0(VALU_DEP_2) | instskip(NEXT) | instid1(VALU_DEP_1)
	v_and_b32_e32 v44, 0x7f, v12
	v_cmpx_ne_u32_e32 0x7f, v44
	s_cbranch_execz .LBB306_111
; %bb.108:                              ;   in Loop: Header=BB306_12 Depth=1
	v_and_b32_e32 v12, 7, v12
	v_lshrrev_b32_e32 v41, 3, v44
	s_mov_b32 s45, exec_lo
	v_cmpx_gt_u32_e32 8, v44
; %bb.109:                              ;   in Loop: Header=BB306_12 Depth=1
	s_delay_alu instid0(VALU_DEP_3) | instskip(NEXT) | instid1(VALU_DEP_1)
	v_clz_i32_u32_e32 v41, v12
	v_min_u32_e32 v41, 32, v41
	s_delay_alu instid0(VALU_DEP_1) | instskip(NEXT) | instid1(VALU_DEP_1)
	v_subrev_nc_u32_e32 v44, 28, v41
	v_lshlrev_b64_e32 v[44:45], v44, v[12:13]
	s_delay_alu instid0(VALU_DEP_1)
	v_dual_sub_nc_u32 v41, 29, v41 :: v_dual_bitop2_b32 v12, 7, v44 bitop3:0x40
; %bb.110:                              ;   in Loop: Header=BB306_12 Depth=1
	s_or_b32 exec_lo, exec_lo, s45
	s_delay_alu instid0(VALU_DEP_1) | instskip(NEXT) | instid1(VALU_DEP_2)
	v_dual_lshlrev_b32 v43, 16, v43 :: v_dual_lshlrev_b32 v12, 20, v12
	v_lshl_add_u32 v41, v41, 23, 0x3c000000
	s_delay_alu instid0(VALU_DEP_2) | instskip(NEXT) | instid1(VALU_DEP_1)
	v_and_b32_e32 v43, 0x80000000, v43
	v_or3_b32 v41, v12, v43, v41
.LBB306_111:                            ;   in Loop: Header=BB306_12 Depth=1
	s_or_b32 exec_lo, exec_lo, s44
.LBB306_112:                            ;   in Loop: Header=BB306_12 Depth=1
	s_delay_alu instid0(SALU_CYCLE_1)
	s_or_b32 exec_lo, exec_lo, s43
.LBB306_113:                            ;   in Loop: Header=BB306_12 Depth=1
	s_delay_alu instid0(SALU_CYCLE_1)
	s_or_b32 exec_lo, exec_lo, s42
	global_load_u16 v12, v[22:23], off offset:384
	v_mov_b32_e32 v43, 0
	s_wait_loadcnt 0x0
	v_and_b32_e32 v44, 0xff, v12
	v_and_b32_e32 v45, 0xffff, v12
	s_delay_alu instid0(VALU_DEP_2)
	v_cmp_ne_u16_e64 s4, 0, v44
	v_mov_b32_e32 v44, 0
	s_and_saveexec_b32 s42, s4
	s_cbranch_execz .LBB306_121
; %bb.114:                              ;   in Loop: Header=BB306_12 Depth=1
	v_and_b32_e32 v12, 0xff, v45
	v_bfrev_b32_e32 v44, 1
	s_mov_b32 s43, exec_lo
	s_delay_alu instid0(VALU_DEP_2)
	v_cmpx_ne_u16_e32 0x80, v12
	s_cbranch_execz .LBB306_120
; %bb.115:                              ;   in Loop: Header=BB306_12 Depth=1
	v_and_b32_e32 v46, 0x7f, v45
	v_mov_b32_e32 v44, 0x7f800001
	s_mov_b32 s44, exec_lo
	s_delay_alu instid0(VALU_DEP_2)
	v_cmpx_ne_u32_e32 0x7f, v46
	s_cbranch_execz .LBB306_119
; %bb.116:                              ;   in Loop: Header=BB306_12 Depth=1
	v_dual_lshrrev_b32 v44, 3, v46 :: v_dual_bitop2_b32 v12, 7, v45 bitop3:0x40
	s_mov_b32 s45, exec_lo
	v_cmpx_gt_u32_e32 8, v46
; %bb.117:                              ;   in Loop: Header=BB306_12 Depth=1
	s_delay_alu instid0(VALU_DEP_2) | instskip(NEXT) | instid1(VALU_DEP_1)
	v_clz_i32_u32_e32 v44, v12
	v_min_u32_e32 v44, 32, v44
	s_delay_alu instid0(VALU_DEP_1) | instskip(NEXT) | instid1(VALU_DEP_1)
	v_subrev_nc_u32_e32 v46, 28, v44
	v_lshlrev_b64_e32 v[46:47], v46, v[12:13]
	s_delay_alu instid0(VALU_DEP_1)
	v_dual_sub_nc_u32 v44, 29, v44 :: v_dual_bitop2_b32 v12, 7, v46 bitop3:0x40
; %bb.118:                              ;   in Loop: Header=BB306_12 Depth=1
	s_or_b32 exec_lo, exec_lo, s45
	s_delay_alu instid0(VALU_DEP_1) | instskip(NEXT) | instid1(VALU_DEP_2)
	v_dual_lshlrev_b32 v46, 24, v45 :: v_dual_lshlrev_b32 v12, 20, v12
	v_lshl_add_u32 v44, v44, 23, 0x3c000000
	s_delay_alu instid0(VALU_DEP_2) | instskip(NEXT) | instid1(VALU_DEP_1)
	v_and_b32_e32 v46, 0x80000000, v46
	v_or3_b32 v44, v12, v46, v44
.LBB306_119:                            ;   in Loop: Header=BB306_12 Depth=1
	s_or_b32 exec_lo, exec_lo, s44
.LBB306_120:                            ;   in Loop: Header=BB306_12 Depth=1
	s_delay_alu instid0(SALU_CYCLE_1)
	s_or_b32 exec_lo, exec_lo, s43
.LBB306_121:                            ;   in Loop: Header=BB306_12 Depth=1
	s_delay_alu instid0(SALU_CYCLE_1) | instskip(SKIP_2) | instid1(VALU_DEP_1)
	s_or_b32 exec_lo, exec_lo, s42
	v_lshrrev_b16 v12, 8, v45
	s_mov_b32 s42, exec_lo
	v_cmpx_ne_u16_e32 0, v12
	s_cbranch_execz .LBB306_129
; %bb.122:                              ;   in Loop: Header=BB306_12 Depth=1
	v_bfrev_b32_e32 v43, 1
	s_mov_b32 s43, exec_lo
	v_cmpx_ne_u16_e32 0x80, v12
	s_cbranch_execz .LBB306_128
; %bb.123:                              ;   in Loop: Header=BB306_12 Depth=1
	v_and_b32_e32 v12, 0xffff, v12
	v_mov_b32_e32 v43, 0x7f800001
	s_mov_b32 s44, exec_lo
	s_delay_alu instid0(VALU_DEP_2) | instskip(NEXT) | instid1(VALU_DEP_1)
	v_and_b32_e32 v46, 0x7f, v12
	v_cmpx_ne_u32_e32 0x7f, v46
	s_cbranch_execz .LBB306_127
; %bb.124:                              ;   in Loop: Header=BB306_12 Depth=1
	v_dual_lshrrev_b32 v43, 3, v46 :: v_dual_bitop2_b32 v12, 7, v12 bitop3:0x40
	s_mov_b32 s45, exec_lo
	v_cmpx_gt_u32_e32 8, v46
; %bb.125:                              ;   in Loop: Header=BB306_12 Depth=1
	s_delay_alu instid0(VALU_DEP_2) | instskip(NEXT) | instid1(VALU_DEP_1)
	v_clz_i32_u32_e32 v43, v12
	v_min_u32_e32 v43, 32, v43
	s_delay_alu instid0(VALU_DEP_1) | instskip(NEXT) | instid1(VALU_DEP_1)
	v_subrev_nc_u32_e32 v46, 28, v43
	v_lshlrev_b64_e32 v[46:47], v46, v[12:13]
	s_delay_alu instid0(VALU_DEP_1)
	v_dual_sub_nc_u32 v43, 29, v43 :: v_dual_bitop2_b32 v12, 7, v46 bitop3:0x40
; %bb.126:                              ;   in Loop: Header=BB306_12 Depth=1
	s_or_b32 exec_lo, exec_lo, s45
	s_delay_alu instid0(VALU_DEP_1) | instskip(NEXT) | instid1(VALU_DEP_2)
	v_dual_lshlrev_b32 v45, 16, v45 :: v_dual_lshlrev_b32 v12, 20, v12
	v_lshl_add_u32 v43, v43, 23, 0x3c000000
	s_delay_alu instid0(VALU_DEP_2) | instskip(NEXT) | instid1(VALU_DEP_1)
	v_and_b32_e32 v45, 0x80000000, v45
	v_or3_b32 v43, v12, v45, v43
.LBB306_127:                            ;   in Loop: Header=BB306_12 Depth=1
	s_or_b32 exec_lo, exec_lo, s44
.LBB306_128:                            ;   in Loop: Header=BB306_12 Depth=1
	s_delay_alu instid0(SALU_CYCLE_1)
	s_or_b32 exec_lo, exec_lo, s43
.LBB306_129:                            ;   in Loop: Header=BB306_12 Depth=1
	s_delay_alu instid0(SALU_CYCLE_1)
	s_or_b32 exec_lo, exec_lo, s42
	global_load_u16 v12, v[22:23], off offset:392
	v_mov_b32_e32 v45, 0
	s_wait_loadcnt 0x0
	v_and_b32_e32 v46, 0xff, v12
	v_and_b32_e32 v47, 0xffff, v12
	s_delay_alu instid0(VALU_DEP_2)
	v_cmp_ne_u16_e64 s4, 0, v46
	v_mov_b32_e32 v46, 0
	s_and_saveexec_b32 s42, s4
	s_cbranch_execz .LBB306_137
; %bb.130:                              ;   in Loop: Header=BB306_12 Depth=1
	v_and_b32_e32 v12, 0xff, v47
	v_bfrev_b32_e32 v46, 1
	s_mov_b32 s43, exec_lo
	s_delay_alu instid0(VALU_DEP_2)
	v_cmpx_ne_u16_e32 0x80, v12
	s_cbranch_execz .LBB306_136
; %bb.131:                              ;   in Loop: Header=BB306_12 Depth=1
	v_and_b32_e32 v48, 0x7f, v47
	v_mov_b32_e32 v46, 0x7f800001
	s_mov_b32 s44, exec_lo
	s_delay_alu instid0(VALU_DEP_2)
	v_cmpx_ne_u32_e32 0x7f, v48
	s_cbranch_execz .LBB306_135
; %bb.132:                              ;   in Loop: Header=BB306_12 Depth=1
	v_dual_lshrrev_b32 v46, 3, v48 :: v_dual_bitop2_b32 v12, 7, v47 bitop3:0x40
	s_mov_b32 s45, exec_lo
	v_cmpx_gt_u32_e32 8, v48
; %bb.133:                              ;   in Loop: Header=BB306_12 Depth=1
	s_delay_alu instid0(VALU_DEP_2) | instskip(NEXT) | instid1(VALU_DEP_1)
	v_clz_i32_u32_e32 v46, v12
	v_min_u32_e32 v46, 32, v46
	s_delay_alu instid0(VALU_DEP_1) | instskip(NEXT) | instid1(VALU_DEP_1)
	v_subrev_nc_u32_e32 v48, 28, v46
	v_lshlrev_b64_e32 v[48:49], v48, v[12:13]
	s_delay_alu instid0(VALU_DEP_1)
	v_dual_sub_nc_u32 v46, 29, v46 :: v_dual_bitop2_b32 v12, 7, v48 bitop3:0x40
; %bb.134:                              ;   in Loop: Header=BB306_12 Depth=1
	s_or_b32 exec_lo, exec_lo, s45
	s_delay_alu instid0(VALU_DEP_1) | instskip(NEXT) | instid1(VALU_DEP_2)
	v_dual_lshlrev_b32 v48, 24, v47 :: v_dual_lshlrev_b32 v12, 20, v12
	v_lshl_add_u32 v46, v46, 23, 0x3c000000
	s_delay_alu instid0(VALU_DEP_2) | instskip(NEXT) | instid1(VALU_DEP_1)
	v_and_b32_e32 v48, 0x80000000, v48
	v_or3_b32 v46, v12, v48, v46
.LBB306_135:                            ;   in Loop: Header=BB306_12 Depth=1
	s_or_b32 exec_lo, exec_lo, s44
.LBB306_136:                            ;   in Loop: Header=BB306_12 Depth=1
	s_delay_alu instid0(SALU_CYCLE_1)
	s_or_b32 exec_lo, exec_lo, s43
.LBB306_137:                            ;   in Loop: Header=BB306_12 Depth=1
	s_delay_alu instid0(SALU_CYCLE_1) | instskip(SKIP_2) | instid1(VALU_DEP_1)
	s_or_b32 exec_lo, exec_lo, s42
	v_lshrrev_b16 v12, 8, v47
	s_mov_b32 s42, exec_lo
	v_cmpx_ne_u16_e32 0, v12
	s_cbranch_execz .LBB306_145
; %bb.138:                              ;   in Loop: Header=BB306_12 Depth=1
	v_bfrev_b32_e32 v45, 1
	s_mov_b32 s43, exec_lo
	v_cmpx_ne_u16_e32 0x80, v12
	s_cbranch_execz .LBB306_144
; %bb.139:                              ;   in Loop: Header=BB306_12 Depth=1
	v_and_b32_e32 v12, 0xffff, v12
	v_mov_b32_e32 v45, 0x7f800001
	s_mov_b32 s44, exec_lo
	s_delay_alu instid0(VALU_DEP_2) | instskip(NEXT) | instid1(VALU_DEP_1)
	v_and_b32_e32 v48, 0x7f, v12
	v_cmpx_ne_u32_e32 0x7f, v48
	s_cbranch_execz .LBB306_143
; %bb.140:                              ;   in Loop: Header=BB306_12 Depth=1
	v_and_b32_e32 v12, 7, v12
	v_lshrrev_b32_e32 v45, 3, v48
	s_mov_b32 s45, exec_lo
	v_cmpx_gt_u32_e32 8, v48
; %bb.141:                              ;   in Loop: Header=BB306_12 Depth=1
	s_delay_alu instid0(VALU_DEP_3) | instskip(NEXT) | instid1(VALU_DEP_1)
	v_clz_i32_u32_e32 v45, v12
	v_min_u32_e32 v45, 32, v45
	s_delay_alu instid0(VALU_DEP_1) | instskip(NEXT) | instid1(VALU_DEP_1)
	v_subrev_nc_u32_e32 v48, 28, v45
	v_lshlrev_b64_e32 v[48:49], v48, v[12:13]
	s_delay_alu instid0(VALU_DEP_1)
	v_dual_sub_nc_u32 v45, 29, v45 :: v_dual_bitop2_b32 v12, 7, v48 bitop3:0x40
; %bb.142:                              ;   in Loop: Header=BB306_12 Depth=1
	s_or_b32 exec_lo, exec_lo, s45
	s_delay_alu instid0(VALU_DEP_1) | instskip(NEXT) | instid1(VALU_DEP_2)
	v_dual_lshlrev_b32 v47, 16, v47 :: v_dual_lshlrev_b32 v12, 20, v12
	v_lshl_add_u32 v45, v45, 23, 0x3c000000
	s_delay_alu instid0(VALU_DEP_2) | instskip(NEXT) | instid1(VALU_DEP_1)
	v_and_b32_e32 v47, 0x80000000, v47
	v_or3_b32 v45, v12, v47, v45
.LBB306_143:                            ;   in Loop: Header=BB306_12 Depth=1
	s_or_b32 exec_lo, exec_lo, s44
.LBB306_144:                            ;   in Loop: Header=BB306_12 Depth=1
	s_delay_alu instid0(SALU_CYCLE_1)
	s_or_b32 exec_lo, exec_lo, s43
.LBB306_145:                            ;   in Loop: Header=BB306_12 Depth=1
	s_delay_alu instid0(SALU_CYCLE_1)
	s_or_b32 exec_lo, exec_lo, s42
	global_load_u16 v12, v[22:23], off offset:512
	v_mov_b32_e32 v47, 0
	s_wait_loadcnt 0x0
	v_and_b32_e32 v48, 0xff, v12
	v_and_b32_e32 v49, 0xffff, v12
	s_delay_alu instid0(VALU_DEP_2)
	v_cmp_ne_u16_e64 s4, 0, v48
	v_mov_b32_e32 v48, 0
	s_and_saveexec_b32 s42, s4
	s_cbranch_execz .LBB306_153
; %bb.146:                              ;   in Loop: Header=BB306_12 Depth=1
	v_and_b32_e32 v12, 0xff, v49
	v_bfrev_b32_e32 v48, 1
	s_mov_b32 s43, exec_lo
	s_delay_alu instid0(VALU_DEP_2)
	v_cmpx_ne_u16_e32 0x80, v12
	s_cbranch_execz .LBB306_152
; %bb.147:                              ;   in Loop: Header=BB306_12 Depth=1
	v_and_b32_e32 v50, 0x7f, v49
	v_mov_b32_e32 v48, 0x7f800001
	s_mov_b32 s44, exec_lo
	s_delay_alu instid0(VALU_DEP_2)
	v_cmpx_ne_u32_e32 0x7f, v50
	s_cbranch_execz .LBB306_151
; %bb.148:                              ;   in Loop: Header=BB306_12 Depth=1
	v_dual_lshrrev_b32 v48, 3, v50 :: v_dual_bitop2_b32 v12, 7, v49 bitop3:0x40
	s_mov_b32 s45, exec_lo
	v_cmpx_gt_u32_e32 8, v50
; %bb.149:                              ;   in Loop: Header=BB306_12 Depth=1
	s_delay_alu instid0(VALU_DEP_2) | instskip(NEXT) | instid1(VALU_DEP_1)
	v_clz_i32_u32_e32 v48, v12
	v_min_u32_e32 v48, 32, v48
	s_delay_alu instid0(VALU_DEP_1) | instskip(NEXT) | instid1(VALU_DEP_1)
	v_subrev_nc_u32_e32 v50, 28, v48
	v_lshlrev_b64_e32 v[50:51], v50, v[12:13]
	s_delay_alu instid0(VALU_DEP_1)
	v_dual_sub_nc_u32 v48, 29, v48 :: v_dual_bitop2_b32 v12, 7, v50 bitop3:0x40
; %bb.150:                              ;   in Loop: Header=BB306_12 Depth=1
	s_or_b32 exec_lo, exec_lo, s45
	s_delay_alu instid0(VALU_DEP_1) | instskip(NEXT) | instid1(VALU_DEP_2)
	v_dual_lshlrev_b32 v50, 24, v49 :: v_dual_lshlrev_b32 v12, 20, v12
	v_lshl_add_u32 v48, v48, 23, 0x3c000000
	s_delay_alu instid0(VALU_DEP_2) | instskip(NEXT) | instid1(VALU_DEP_1)
	v_and_b32_e32 v50, 0x80000000, v50
	v_or3_b32 v48, v12, v50, v48
.LBB306_151:                            ;   in Loop: Header=BB306_12 Depth=1
	s_or_b32 exec_lo, exec_lo, s44
.LBB306_152:                            ;   in Loop: Header=BB306_12 Depth=1
	s_delay_alu instid0(SALU_CYCLE_1)
	s_or_b32 exec_lo, exec_lo, s43
.LBB306_153:                            ;   in Loop: Header=BB306_12 Depth=1
	s_delay_alu instid0(SALU_CYCLE_1) | instskip(SKIP_2) | instid1(VALU_DEP_1)
	s_or_b32 exec_lo, exec_lo, s42
	v_lshrrev_b16 v12, 8, v49
	s_mov_b32 s42, exec_lo
	v_cmpx_ne_u16_e32 0, v12
	s_cbranch_execz .LBB306_161
; %bb.154:                              ;   in Loop: Header=BB306_12 Depth=1
	v_bfrev_b32_e32 v47, 1
	s_mov_b32 s43, exec_lo
	v_cmpx_ne_u16_e32 0x80, v12
	s_cbranch_execz .LBB306_160
; %bb.155:                              ;   in Loop: Header=BB306_12 Depth=1
	v_and_b32_e32 v12, 0xffff, v12
	v_mov_b32_e32 v47, 0x7f800001
	s_mov_b32 s44, exec_lo
	s_delay_alu instid0(VALU_DEP_2) | instskip(NEXT) | instid1(VALU_DEP_1)
	v_and_b32_e32 v50, 0x7f, v12
	v_cmpx_ne_u32_e32 0x7f, v50
	s_cbranch_execz .LBB306_159
; %bb.156:                              ;   in Loop: Header=BB306_12 Depth=1
	v_dual_lshrrev_b32 v47, 3, v50 :: v_dual_bitop2_b32 v12, 7, v12 bitop3:0x40
	s_mov_b32 s45, exec_lo
	v_cmpx_gt_u32_e32 8, v50
; %bb.157:                              ;   in Loop: Header=BB306_12 Depth=1
	s_delay_alu instid0(VALU_DEP_2) | instskip(NEXT) | instid1(VALU_DEP_1)
	v_clz_i32_u32_e32 v47, v12
	v_min_u32_e32 v47, 32, v47
	s_delay_alu instid0(VALU_DEP_1) | instskip(NEXT) | instid1(VALU_DEP_1)
	v_subrev_nc_u32_e32 v50, 28, v47
	v_lshlrev_b64_e32 v[50:51], v50, v[12:13]
	s_delay_alu instid0(VALU_DEP_1)
	v_dual_sub_nc_u32 v47, 29, v47 :: v_dual_bitop2_b32 v12, 7, v50 bitop3:0x40
; %bb.158:                              ;   in Loop: Header=BB306_12 Depth=1
	s_or_b32 exec_lo, exec_lo, s45
	s_delay_alu instid0(VALU_DEP_1) | instskip(NEXT) | instid1(VALU_DEP_2)
	v_dual_lshlrev_b32 v49, 16, v49 :: v_dual_lshlrev_b32 v12, 20, v12
	v_lshl_add_u32 v47, v47, 23, 0x3c000000
	s_delay_alu instid0(VALU_DEP_2) | instskip(NEXT) | instid1(VALU_DEP_1)
	v_and_b32_e32 v49, 0x80000000, v49
	v_or3_b32 v47, v12, v49, v47
.LBB306_159:                            ;   in Loop: Header=BB306_12 Depth=1
	s_or_b32 exec_lo, exec_lo, s44
.LBB306_160:                            ;   in Loop: Header=BB306_12 Depth=1
	s_delay_alu instid0(SALU_CYCLE_1)
	s_or_b32 exec_lo, exec_lo, s43
.LBB306_161:                            ;   in Loop: Header=BB306_12 Depth=1
	s_delay_alu instid0(SALU_CYCLE_1)
	s_or_b32 exec_lo, exec_lo, s42
	global_load_u16 v12, v[22:23], off offset:520
	s_wait_xcnt 0x0
	v_mov_b32_e32 v22, 0
	s_wait_loadcnt 0x0
	v_and_b32_e32 v23, 0xff, v12
	v_and_b32_e32 v49, 0xffff, v12
	s_delay_alu instid0(VALU_DEP_2)
	v_cmp_ne_u16_e64 s4, 0, v23
	v_mov_b32_e32 v23, 0
	s_and_saveexec_b32 s42, s4
	s_cbranch_execz .LBB306_169
; %bb.162:                              ;   in Loop: Header=BB306_12 Depth=1
	v_and_b32_e32 v12, 0xff, v49
	v_bfrev_b32_e32 v23, 1
	s_mov_b32 s43, exec_lo
	s_delay_alu instid0(VALU_DEP_2)
	v_cmpx_ne_u16_e32 0x80, v12
	s_cbranch_execz .LBB306_168
; %bb.163:                              ;   in Loop: Header=BB306_12 Depth=1
	v_and_b32_e32 v50, 0x7f, v49
	v_mov_b32_e32 v23, 0x7f800001
	s_mov_b32 s44, exec_lo
	s_delay_alu instid0(VALU_DEP_2)
	v_cmpx_ne_u32_e32 0x7f, v50
	s_cbranch_execz .LBB306_167
; %bb.164:                              ;   in Loop: Header=BB306_12 Depth=1
	v_dual_lshrrev_b32 v23, 3, v50 :: v_dual_bitop2_b32 v12, 7, v49 bitop3:0x40
	s_mov_b32 s45, exec_lo
	v_cmpx_gt_u32_e32 8, v50
; %bb.165:                              ;   in Loop: Header=BB306_12 Depth=1
	s_delay_alu instid0(VALU_DEP_2) | instskip(NEXT) | instid1(VALU_DEP_1)
	v_clz_i32_u32_e32 v23, v12
	v_min_u32_e32 v23, 32, v23
	s_delay_alu instid0(VALU_DEP_1) | instskip(NEXT) | instid1(VALU_DEP_1)
	v_subrev_nc_u32_e32 v50, 28, v23
	v_lshlrev_b64_e32 v[50:51], v50, v[12:13]
	s_delay_alu instid0(VALU_DEP_1)
	v_dual_sub_nc_u32 v23, 29, v23 :: v_dual_bitop2_b32 v12, 7, v50 bitop3:0x40
; %bb.166:                              ;   in Loop: Header=BB306_12 Depth=1
	s_or_b32 exec_lo, exec_lo, s45
	s_delay_alu instid0(VALU_DEP_1) | instskip(NEXT) | instid1(VALU_DEP_2)
	v_dual_lshlrev_b32 v50, 24, v49 :: v_dual_lshlrev_b32 v12, 20, v12
	v_lshl_add_u32 v23, v23, 23, 0x3c000000
	s_delay_alu instid0(VALU_DEP_2) | instskip(NEXT) | instid1(VALU_DEP_1)
	v_and_b32_e32 v50, 0x80000000, v50
	v_or3_b32 v23, v12, v50, v23
.LBB306_167:                            ;   in Loop: Header=BB306_12 Depth=1
	s_or_b32 exec_lo, exec_lo, s44
.LBB306_168:                            ;   in Loop: Header=BB306_12 Depth=1
	s_delay_alu instid0(SALU_CYCLE_1)
	s_or_b32 exec_lo, exec_lo, s43
.LBB306_169:                            ;   in Loop: Header=BB306_12 Depth=1
	s_delay_alu instid0(SALU_CYCLE_1) | instskip(SKIP_2) | instid1(VALU_DEP_1)
	s_or_b32 exec_lo, exec_lo, s42
	v_lshrrev_b16 v12, 8, v49
	s_mov_b32 s42, exec_lo
	v_cmpx_ne_u16_e32 0, v12
	s_cbranch_execz .LBB306_177
; %bb.170:                              ;   in Loop: Header=BB306_12 Depth=1
	v_bfrev_b32_e32 v22, 1
	s_mov_b32 s43, exec_lo
	v_cmpx_ne_u16_e32 0x80, v12
	s_cbranch_execz .LBB306_176
; %bb.171:                              ;   in Loop: Header=BB306_12 Depth=1
	v_and_b32_e32 v12, 0xffff, v12
	v_mov_b32_e32 v22, 0x7f800001
	s_mov_b32 s44, exec_lo
	s_delay_alu instid0(VALU_DEP_2) | instskip(NEXT) | instid1(VALU_DEP_1)
	v_and_b32_e32 v50, 0x7f, v12
	v_cmpx_ne_u32_e32 0x7f, v50
	s_cbranch_execz .LBB306_175
; %bb.172:                              ;   in Loop: Header=BB306_12 Depth=1
	v_dual_lshrrev_b32 v22, 3, v50 :: v_dual_bitop2_b32 v12, 7, v12 bitop3:0x40
	s_mov_b32 s45, exec_lo
	v_cmpx_gt_u32_e32 8, v50
; %bb.173:                              ;   in Loop: Header=BB306_12 Depth=1
	s_delay_alu instid0(VALU_DEP_2) | instskip(NEXT) | instid1(VALU_DEP_1)
	v_clz_i32_u32_e32 v22, v12
	v_min_u32_e32 v22, 32, v22
	s_delay_alu instid0(VALU_DEP_1) | instskip(SKIP_1) | instid1(VALU_DEP_2)
	v_subrev_nc_u32_e32 v50, 28, v22
	v_sub_nc_u32_e32 v22, 29, v22
	v_lshlrev_b64_e32 v[50:51], v50, v[12:13]
	s_delay_alu instid0(VALU_DEP_1)
	v_and_b32_e32 v12, 7, v50
; %bb.174:                              ;   in Loop: Header=BB306_12 Depth=1
	s_or_b32 exec_lo, exec_lo, s45
	s_delay_alu instid0(VALU_DEP_1) | instskip(SKIP_1) | instid1(VALU_DEP_2)
	v_dual_lshlrev_b32 v49, 16, v49 :: v_dual_lshlrev_b32 v12, 20, v12
	v_lshl_add_u32 v22, v22, 23, 0x3c000000
	v_and_b32_e32 v49, 0x80000000, v49
	s_delay_alu instid0(VALU_DEP_1)
	v_or3_b32 v22, v12, v49, v22
.LBB306_175:                            ;   in Loop: Header=BB306_12 Depth=1
	s_or_b32 exec_lo, exec_lo, s44
.LBB306_176:                            ;   in Loop: Header=BB306_12 Depth=1
	s_delay_alu instid0(SALU_CYCLE_1)
	s_or_b32 exec_lo, exec_lo, s43
.LBB306_177:                            ;   in Loop: Header=BB306_12 Depth=1
	s_delay_alu instid0(SALU_CYCLE_1)
	s_or_b32 exec_lo, exec_lo, s42
	s_wait_kmcnt 0x0
	v_fma_mixlo_bf16 v12, s41, v34, 0
	v_fma_mixlo_bf16 v33, s41, v33, 0
	s_wait_dscnt 0x2
	v_lshlrev_b32_e32 v34, 16, v7
	v_and_b32_e32 v7, 0xffff0000, v7
	v_fma_mixlo_bf16 v15, s41, v15, 0
	v_dual_lshlrev_b32 v12, 16, v12 :: v_dual_lshlrev_b32 v33, 16, v33
	v_fma_mixlo_bf16 v32, s41, v32, 0
	s_delay_alu instid0(VALU_DEP_2) | instskip(SKIP_2) | instid1(VALU_DEP_3)
	v_dual_mul_f32 v12, v34, v12 :: v_dual_mul_f32 v7, v7, v33
	v_fma_mixlo_bf16 v33, s41, v35, 0
	v_fma_mixlo_bf16 v34, s41, v36, 0
	v_fma_mix_f32_bf16 v12, v6, v32, v12 op_sel_hi:[1,1,0]
	s_delay_alu instid0(VALU_DEP_4)
	v_fma_mix_f32_bf16 v6, v6, v15, v7 op_sel:[1,0,0] op_sel_hi:[1,1,0]
	v_fma_mixlo_bf16 v7, s41, v37, 0
	v_fma_mixlo_bf16 v15, s41, v38, 0
	;; [unrolled: 1-line block ×3, first 2 shown]
	v_fma_mix_f32_bf16 v12, v8, v34, v12 op_sel_hi:[1,1,0]
	v_fma_mix_f32_bf16 v6, v8, v33, v6 op_sel:[1,0,0] op_sel_hi:[1,1,0]
	v_fma_mixlo_bf16 v8, s41, v39, 0
	s_delay_alu instid0(VALU_DEP_3) | instskip(NEXT) | instid1(VALU_DEP_3)
	v_fma_mix_f32_bf16 v12, v9, v15, v12 op_sel_hi:[1,1,0]
	v_fma_mix_f32_bf16 v6, v9, v7, v6 op_sel:[1,0,0] op_sel_hi:[1,1,0]
	v_fma_mixlo_bf16 v7, s41, v41, 0
	v_fma_mixlo_bf16 v9, s41, v42, 0
	s_wait_dscnt 0x1
	v_fma_mix_f32_bf16 v12, v2, v32, v12 op_sel_hi:[1,1,0]
	v_fma_mix_f32_bf16 v2, v2, v8, v6 op_sel:[1,0,0] op_sel_hi:[1,1,0]
	v_fma_mixlo_bf16 v6, s41, v43, 0
	v_fma_mixlo_bf16 v8, s41, v44, 0
	s_delay_alu instid0(VALU_DEP_4) | instskip(NEXT) | instid1(VALU_DEP_4)
	v_fma_mix_f32_bf16 v9, v3, v9, v12 op_sel_hi:[1,1,0]
	v_fma_mix_f32_bf16 v2, v3, v7, v2 op_sel:[1,0,0] op_sel_hi:[1,1,0]
	v_fma_mixlo_bf16 v3, s41, v45, 0
	v_fma_mixlo_bf16 v7, s41, v46, 0
	s_delay_alu instid0(VALU_DEP_4) | instskip(NEXT) | instid1(VALU_DEP_4)
	;; [unrolled: 5-line block ×3, first 2 shown]
	v_fma_mix_f32_bf16 v7, v5, v7, v8 op_sel_hi:[1,1,0]
	v_fma_mix_f32_bf16 v2, v5, v3, v2 op_sel:[1,0,0] op_sel_hi:[1,1,0]
	v_xor_b32_e32 v5, 2, v24
	v_fma_mixlo_bf16 v3, s41, v23, 0
	v_fma_mixlo_bf16 v8, s41, v22, 0
	s_wait_dscnt 0x0
	v_fma_mix_f32_bf16 v6, v20, v6, v7 op_sel_hi:[1,1,0]
	v_fma_mix_f32_bf16 v2, v20, v4, v2 op_sel:[1,0,0] op_sel_hi:[1,1,0]
	v_cmp_gt_i32_e64 s4, 32, v5
	s_delay_alu instid0(VALU_DEP_3) | instskip(NEXT) | instid1(VALU_DEP_3)
	v_fma_mix_f32_bf16 v3, v21, v3, v6 op_sel_hi:[1,1,0]
	v_fma_mix_f32_bf16 v2, v21, v8, v2 op_sel:[1,0,0] op_sel_hi:[1,1,0]
	s_delay_alu instid0(VALU_DEP_1) | instskip(NEXT) | instid1(VALU_DEP_1)
	v_dual_cndmask_b32 v4, v24, v5, s4 :: v_dual_add_f32 v2, v3, v2
	v_lshlrev_b32_e32 v4, 2, v4
	ds_bpermute_b32 v3, v4, v2
	v_xor_b32_e32 v4, 1, v24
	s_delay_alu instid0(VALU_DEP_1) | instskip(NEXT) | instid1(VALU_DEP_1)
	v_cmp_gt_i32_e64 s4, 32, v4
	v_cndmask_b32_e64 v4, v24, v4, s4
	s_wait_dscnt 0x0
	s_delay_alu instid0(VALU_DEP_1)
	v_dual_lshlrev_b32 v4, 2, v4 :: v_dual_add_f32 v2, v2, v3
	ds_bpermute_b32 v3, v4, v2
	s_and_saveexec_b32 s41, s3
	s_cbranch_execz .LBB306_10
; %bb.178:                              ;   in Loop: Header=BB306_12 Depth=1
	s_wait_dscnt 0x0
	v_dual_add_nc_u32 v4, v28, v14 :: v_dual_add_f32 v2, v2, v3
	s_delay_alu instid0(VALU_DEP_1) | instskip(NEXT) | instid1(VALU_DEP_1)
	v_cvt_f32_i32_e32 v4, v4
	v_mul_f32_e32 v4, s36, v4
	s_delay_alu instid0(VALU_DEP_1) | instskip(NEXT) | instid1(VALU_DEP_1)
	v_dual_cndmask_b32 v3, 0, v4 :: v_dual_max_num_f32 v4, v27, v27
	v_fmac_f32_e32 v3, s27, v2
	s_delay_alu instid0(VALU_DEP_1) | instskip(NEXT) | instid1(VALU_DEP_1)
	v_dual_add_nc_u32 v2, v25, v14 :: v_dual_max_num_f32 v4, v4, v3
	v_cmp_gt_i32_e64 s4, s34, v2
	s_delay_alu instid0(VALU_DEP_1)
	v_dual_cndmask_b32 v2, 0, v3, s4 :: v_dual_cndmask_b32 v27, v27, v4, s4
	ds_store_b32 v29, v2
	s_branch .LBB306_10
.LBB306_179:
	s_or_b32 exec_lo, exec_lo, s40
.LBB306_180:
	s_delay_alu instid0(SALU_CYCLE_1)
	s_or_b32 exec_lo, exec_lo, s37
	v_dual_max_num_f32 v5, v27, v27 :: v_dual_bitop2_b32 v2, 16, v24 bitop3:0x14
	s_clause 0x1
	s_load_b64 s[4:5], s[0:1], 0x0
	s_load_b64 s[8:9], s[0:1], 0x18
	v_and_b32_e32 v30, 31, v0
	v_xor_b32_e32 v4, 8, v24
	v_cmp_gt_i32_e32 vcc_lo, 32, v2
	v_cndmask_b32_e32 v2, v24, v2, vcc_lo
	s_delay_alu instid0(VALU_DEP_3) | instskip(NEXT) | instid1(VALU_DEP_2)
	v_cmp_gt_i32_e32 vcc_lo, 32, v4
	v_dual_lshlrev_b32 v2, 2, v2 :: v_dual_cndmask_b32 v4, v24, v4, vcc_lo
	s_wait_dscnt 0x0
	ds_bpermute_b32 v3, v2, v27
	s_wait_dscnt 0x0
	v_dual_max_num_f32 v6, v3, v3 :: v_dual_lshlrev_b32 v3, 2, v4
	s_delay_alu instid0(VALU_DEP_1) | instskip(SKIP_4) | instid1(VALU_DEP_1)
	v_dual_max_num_f32 v4, v5, v6 :: v_dual_bitop2_b32 v6, 4, v24 bitop3:0x14
	ds_bpermute_b32 v5, v3, v4
	v_cmp_gt_i32_e32 vcc_lo, 32, v6
	v_cndmask_b32_e32 v6, v24, v6, vcc_lo
	s_wait_dscnt 0x0
	v_dual_max_num_f32 v5, v5, v5 :: v_dual_lshlrev_b32 v6, 2, v6
	s_delay_alu instid0(VALU_DEP_1)
	v_max_num_f32_e32 v5, v4, v5
	v_lshlrev_b32_e32 v4, 2, v1
	v_cmp_eq_u32_e32 vcc_lo, 0, v30
	ds_bpermute_b32 v7, v6, v5
	s_wait_xcnt 0x0
	s_and_saveexec_b32 s0, vcc_lo
	s_cbranch_execz .LBB306_182
; %bb.181:
	s_wait_dscnt 0x0
	v_dual_max_num_f32 v7, v7, v7 :: v_dual_max_num_f32 v5, v5, v5
	s_delay_alu instid0(VALU_DEP_1)
	v_max_num_f32_e32 v5, v5, v7
	ds_store_b32 v4, v5 offset:160
.LBB306_182:
	s_or_b32 exec_lo, exec_lo, s0
	v_cmp_gt_u32_e64 s0, 4, v30
	v_dual_mov_b32 v8, 0xff7fffff :: v_dual_lshlrev_b32 v5, 2, v30
	s_wait_dscnt 0x0
	s_barrier_signal -1
	s_barrier_wait -1
	s_and_saveexec_b32 s1, s0
; %bb.183:
	ds_load_b32 v8, v5 offset:160
; %bb.184:
	s_or_b32 exec_lo, exec_lo, s1
	v_xor_b32_e32 v7, 2, v24
	v_lshl_add_u32 v31, v0, 2, 0xc0
	v_xor_b32_e32 v12, 1, v24
	s_wait_dscnt 0x0
	v_max_num_f32_e32 v13, v8, v8
	v_cmp_gt_i32_e64 s1, 32, v7
	s_delay_alu instid0(VALU_DEP_1) | instskip(SKIP_1) | instid1(VALU_DEP_2)
	v_cndmask_b32_e64 v7, v24, v7, s1
	v_cmp_gt_i32_e64 s1, 32, v12
	v_lshlrev_b32_e32 v7, 2, v7
	ds_bpermute_b32 v9, v7, v8
	s_wait_dscnt 0x0
	v_dual_max_num_f32 v9, v9, v9 :: v_dual_cndmask_b32 v8, v24, v12, s1
	s_lshl_b32 s1, s26, 3
	s_delay_alu instid0(SALU_CYCLE_1) | instskip(NEXT) | instid1(VALU_DEP_1)
	s_min_i32 s19, s1, s34
	v_dual_max_num_f32 v9, v13, v9 :: v_dual_lshlrev_b32 v8, 2, v8
	v_cmp_gt_i32_e64 s1, s19, v0
	ds_bpermute_b32 v12, v8, v9
	s_wait_dscnt 0x0
	v_max_num_f32_e32 v12, v12, v12
	s_delay_alu instid0(VALU_DEP_1)
	v_dual_max_num_f32 v12, v9, v12 :: v_dual_mov_b32 v9, 0
	ds_bpermute_b32 v12, v9, v12
	s_and_saveexec_b32 s27, s1
	s_cbranch_execz .LBB306_188
; %bb.185:
	v_lshl_add_u32 v13, v0, 2, 0xc0
	v_dual_mov_b32 v9, 0 :: v_dual_mov_b32 v14, v0
	s_mov_b32 s28, 0
.LBB306_186:                            ; =>This Inner Loop Header: Depth=1
	ds_load_b32 v15, v13
	v_add_nc_u32_e32 v14, 0x80, v14
	s_delay_alu instid0(VALU_DEP_1) | instskip(SKIP_3) | instid1(VALU_DEP_1)
	v_cmp_le_i32_e64 s3, s19, v14
	s_or_b32 s28, s3, s28
	s_wait_dscnt 0x0
	v_sub_f32_e32 v15, v15, v12
	v_mul_f32_e32 v15, 0x3fb8aa3b, v15
	s_delay_alu instid0(VALU_DEP_1)
	v_exp_f32_e32 v15, v15
	ds_store_b32 v13, v15
	v_nop
	v_add_f32_e32 v9, v9, v15
	v_add_nc_u32_e32 v13, 0x200, v13
	s_and_not1_b32 exec_lo, exec_lo, s28
	s_cbranch_execnz .LBB306_186
; %bb.187:
	s_or_b32 exec_lo, exec_lo, s28
.LBB306_188:
	s_delay_alu instid0(SALU_CYCLE_1)
	s_or_b32 exec_lo, exec_lo, s27
	ds_bpermute_b32 v2, v2, v9
	s_wait_dscnt 0x0
	v_add_f32_e32 v2, v9, v2
	ds_bpermute_b32 v3, v3, v2
	s_wait_dscnt 0x0
	v_add_f32_e32 v2, v2, v3
	;; [unrolled: 3-line block ×5, first 2 shown]
	s_and_saveexec_b32 s3, vcc_lo
; %bb.189:
	ds_store_b32 v4, v2 offset:176
; %bb.190:
	s_or_b32 exec_lo, exec_lo, s3
	s_wait_dscnt 0x0
	s_barrier_signal -1
	s_barrier_wait -1
	s_and_saveexec_b32 s3, s0
; %bb.191:
	ds_load_b32 v2, v5 offset:176
; %bb.192:
	s_or_b32 exec_lo, exec_lo, s3
	s_wait_dscnt 0x0
	ds_bpermute_b32 v3, v7, v2
	s_wait_dscnt 0x0
	v_dual_mov_b32 v32, 0 :: v_dual_add_f32 v2, v2, v3
	ds_bpermute_b32 v3, v8, v2
	s_wait_dscnt 0x0
	v_add_f32_e32 v2, v2, v3
	ds_bpermute_b32 v2, v32, v2
	s_and_saveexec_b32 s0, s1
	s_cbranch_execz .LBB306_205
; %bb.193:
	s_wait_dscnt 0x0
	v_add_f32_e32 v2, 0x358637bd, v2
	s_mov_b32 s3, -1
	s_mov_b32 s1, exec_lo
	s_delay_alu instid0(VALU_DEP_1) | instskip(NEXT) | instid1(VALU_DEP_1)
	v_div_scale_f32 v3, null, v2, v2, 1.0
	v_rcp_f32_e32 v5, v3
	v_nop
	s_delay_alu instid0(TRANS32_DEP_1) | instskip(NEXT) | instid1(VALU_DEP_1)
	v_fma_f32 v4, -v3, v5, 1.0
	v_fmac_f32_e32 v5, v4, v5
	v_div_scale_f32 v6, vcc_lo, 1.0, v2, 1.0
	s_delay_alu instid0(VALU_DEP_1) | instskip(NEXT) | instid1(VALU_DEP_1)
	v_mul_f32_e32 v7, v6, v5
	v_fma_f32 v4, -v3, v7, v6
	s_delay_alu instid0(VALU_DEP_1) | instskip(SKIP_1) | instid1(VALU_DEP_2)
	v_fmac_f32_e32 v7, v4, v5
	v_xad_u32 v4, v0, -1, s19
	v_fma_f32 v3, -v3, v7, v6
	s_delay_alu instid0(VALU_DEP_1) | instskip(NEXT) | instid1(VALU_DEP_1)
	v_div_fmas_f32 v3, v3, v5, v7
	v_div_fixup_f32 v2, v3, v2, 1.0
	v_mov_b32_e32 v3, v0
	v_cmpx_lt_u32_e32 0x7f, v4
	s_cbranch_execz .LBB306_202
; %bb.194:
	s_delay_alu instid0(VALU_DEP_3) | instskip(NEXT) | instid1(VALU_DEP_1)
	v_dual_mov_b32 v3, v2 :: v_dual_lshrrev_b32 v4, 7, v4
	v_dual_mov_b32 v8, 0 :: v_dual_add_nc_u32 v5, -1, v4
	s_delay_alu instid0(VALU_DEP_1) | instskip(SKIP_1) | instid1(VALU_DEP_2)
	v_lshrrev_b32_e32 v6, 1, v5
	v_cmp_lt_u32_e32 vcc_lo, 13, v5
	v_add_nc_u32_e32 v5, 1, v6
	s_and_saveexec_b32 s3, vcc_lo
	s_cbranch_execz .LBB306_198
; %bb.195:
	s_delay_alu instid0(VALU_DEP_1)
	v_dual_mov_b32 v7, v31 :: v_dual_bitop2_b32 v6, -8, v5 bitop3:0x40
	s_mov_b32 s27, 0
	s_mov_b32 s28, 0
.LBB306_196:                            ; =>This Inner Loop Header: Depth=1
	ds_load_2addr_stride64_b32 v[8:9], v7 offset1:2
	ds_load_2addr_stride64_b32 v[12:13], v7 offset0:4 offset1:6
	ds_load_2addr_stride64_b32 v[14:15], v7 offset0:8 offset1:10
	;; [unrolled: 1-line block ×7, first 2 shown]
	s_add_co_i32 s28, s28, 16
	v_add_nc_u32_e32 v6, -8, v6
	s_wait_dscnt 0x7
	v_pk_mul_f32 v[8:9], v[2:3], v[8:9]
	s_wait_dscnt 0x6
	v_pk_mul_f32 v[12:13], v[2:3], v[12:13]
	;; [unrolled: 2-line block ×8, first 2 shown]
	ds_store_2addr_stride64_b32 v7, v8, v9 offset1:2
	ds_store_2addr_stride64_b32 v7, v12, v13 offset0:4 offset1:6
	ds_store_2addr_stride64_b32 v7, v14, v15 offset0:8 offset1:10
	;; [unrolled: 1-line block ×7, first 2 shown]
	v_mov_b32_e32 v8, s28
	v_cmp_eq_u32_e32 vcc_lo, 0, v6
	v_add_nc_u32_e32 v7, 0x2000, v7
	s_or_b32 s27, vcc_lo, s27
	s_delay_alu instid0(SALU_CYCLE_1)
	s_and_not1_b32 exec_lo, exec_lo, s27
	s_cbranch_execnz .LBB306_196
; %bb.197:
	s_or_b32 exec_lo, exec_lo, s27
.LBB306_198:
	s_delay_alu instid0(SALU_CYCLE_1) | instskip(NEXT) | instid1(VALU_DEP_1)
	s_or_b32 exec_lo, exec_lo, s3
	v_and_b32_e32 v5, 7, v5
	s_mov_b32 s27, 0
	s_mov_b32 s3, exec_lo
	s_delay_alu instid0(VALU_DEP_1)
	v_cmpx_ne_u32_e32 0, v5
	s_cbranch_execz .LBB306_201
; %bb.199:
	v_lshlrev_b32_e32 v6, 9, v8
	v_lshlrev_b32_e32 v7, 2, v0
	s_delay_alu instid0(VALU_DEP_1)
	v_add3_u32 v6, v6, v7, 0xc0
.LBB306_200:                            ; =>This Inner Loop Header: Depth=1
	ds_load_2addr_stride64_b32 v[8:9], v6 offset1:2
	v_add_nc_u32_e32 v5, -1, v5
	s_delay_alu instid0(VALU_DEP_1)
	v_cmp_eq_u32_e32 vcc_lo, 0, v5
	s_or_b32 s27, vcc_lo, s27
	s_wait_dscnt 0x0
	v_pk_mul_f32 v[8:9], v[2:3], v[8:9]
	ds_store_2addr_stride64_b32 v6, v8, v9 offset1:2
	v_add_nc_u32_e32 v6, 0x400, v6
	s_and_not1_b32 exec_lo, exec_lo, s27
	s_cbranch_execnz .LBB306_200
.LBB306_201:
	s_or_b32 exec_lo, exec_lo, s3
	v_add_nc_u32_e32 v3, 1, v4
	s_delay_alu instid0(VALU_DEP_1) | instskip(NEXT) | instid1(VALU_DEP_1)
	v_and_b32_e32 v4, 0x3fffffe, v3
	v_cmp_ne_u32_e32 vcc_lo, v3, v4
	v_lshl_add_u32 v3, v4, 7, v0
	s_or_not1_b32 s3, vcc_lo, exec_lo
.LBB306_202:
	s_or_b32 exec_lo, exec_lo, s1
	s_delay_alu instid0(SALU_CYCLE_1)
	s_and_b32 exec_lo, exec_lo, s3
	s_cbranch_execz .LBB306_205
; %bb.203:
	v_lshl_add_u32 v4, v3, 2, 0xc0
	s_mov_b32 s1, 0
.LBB306_204:                            ; =>This Inner Loop Header: Depth=1
	ds_load_b32 v5, v4
	v_add_nc_u32_e32 v3, 0x80, v3
	s_delay_alu instid0(VALU_DEP_1)
	v_cmp_le_i32_e32 vcc_lo, s19, v3
	s_or_b32 s1, vcc_lo, s1
	s_wait_dscnt 0x0
	v_mul_f32_e32 v5, v2, v5
	ds_store_b32 v4, v5
	v_add_nc_u32_e32 v4, 0x200, v4
	s_and_not1_b32 exec_lo, exec_lo, s1
	s_cbranch_execnz .LBB306_204
.LBB306_205:
	s_or_b32 exec_lo, exec_lo, s0
	v_mov_b64_e32 v[12:13], 0
	v_or_b32_e32 v33, 64, v30
	s_wait_dscnt 0x0
	s_barrier_signal -1
	s_barrier_wait -1
	s_and_saveexec_b32 s27, s2
	s_cbranch_execz .LBB306_399
; %bb.206:
	s_abs_i32 s14, s14
	s_sub_co_i32 s28, s12, s13
	s_cvt_f32_u32 s0, s14
	v_dual_mov_b32 v17, 0 :: v_dual_lshlrev_b32 v14, 3, v30
	v_and_b32_e32 v16, 0x7c, v11
	s_delay_alu instid0(SALU_CYCLE_1)
	v_rcp_iflag_f32_e32 v2, s0
	s_lshl_b64 s[0:1], s[24:25], 2
	s_sub_co_i32 s13, 0, s14
	s_add_nc_u64 s[0:1], s[22:23], s[0:1]
	v_mov_b64_e32 v[12:13], 0
	v_add_nc_u64_e32 v[20:21], s[0:1], v[16:17]
	v_dual_lshlrev_b32 v18, 3, v33 :: v_dual_mov_b32 v32, 0
	v_readfirstlane_b32 s12, v2
	v_lshl_add_u32 v34, v1, 5, 0xc0
	v_dual_mov_b32 v15, v17 :: v_dual_mov_b32 v19, v17
	v_mov_b32_e32 v35, v1
	s_mul_f32 s12, s12, 0x4f7ffffe
	s_ashr_i32 s19, s18, 31
	s_add_co_i32 s29, s26, -1
	s_mov_b64 s[2:3], 0xffffffffffffff
	s_cvt_u32_f32 s12, s12
	s_wait_kmcnt 0x0
	s_add_nc_u64 s[8:9], s[8:9], s[18:19]
	v_cmp_gt_u32_e32 vcc_lo, 0x50, v33
	s_mul_i32 s13, s13, s12
	s_delay_alu instid0(SALU_CYCLE_1)
	s_mul_hi_u32 s0, s12, s13
	s_mov_b32 s13, 0
	s_add_co_i32 s12, s12, s0
	s_mov_b32 s18, s13
	s_branch .LBB306_210
.LBB306_207:                            ;   in Loop: Header=BB306_210 Depth=1
	s_or_b32 exec_lo, exec_lo, s1
	v_perm_b32 v9, v22, v9, 0x5040100
	v_perm_b32 v16, v16, v23, 0x5040100
	;; [unrolled: 1-line block ×4, first 2 shown]
	s_delay_alu instid0(VALU_DEP_4) | instskip(NEXT) | instid1(VALU_DEP_4)
	v_pk_mul_bf16 v3, v45, v9
	v_pk_mul_bf16 v9, v7, v16
	s_delay_alu instid0(VALU_DEP_4) | instskip(NEXT) | instid1(VALU_DEP_4)
	v_pk_mul_bf16 v2, v8, v2
	v_pk_mul_bf16 v4, v6, v4
	s_delay_alu instid0(VALU_DEP_3) | instskip(SKIP_4) | instid1(VALU_DEP_3)
	v_dual_lshlrev_b32 v5, 16, v3 :: v_dual_lshlrev_b32 v16, 16, v9
	v_and_b32_e32 v3, 0xffff0000, v3
	v_and_b32_e32 v9, 0xffff0000, v9
	v_lshlrev_b32_e32 v22, 16, v2
	v_and_b32_e32 v2, 0xffff0000, v2
	v_dual_add_f32 v3, v3, v5 :: v_dual_add_f32 v5, v9, v16
	s_delay_alu instid0(VALU_DEP_2) | instskip(SKIP_1) | instid1(VALU_DEP_3)
	v_dual_add_f32 v2, v2, v22 :: v_dual_lshlrev_b32 v9, 16, v4
	v_and_b32_e32 v4, 0xffff0000, v4
	v_add_f32_e32 v3, v5, v3
	s_delay_alu instid0(VALU_DEP_1) | instskip(NEXT) | instid1(VALU_DEP_1)
	v_dual_add_f32 v2, v2, v3 :: v_dual_add_f32 v3, v4, v9
	v_add_f32_e32 v2, v3, v2
	s_delay_alu instid0(VALU_DEP_1)
	v_add_f32_e32 v32, v32, v2
.LBB306_208:                            ;   in Loop: Header=BB306_210 Depth=1
	s_or_b32 exec_lo, exec_lo, s23
	v_perm_b32 v2, v39, v40, 0x5040100
	v_perm_b32 v3, v36, v38, 0x5040100
	v_perm_b32 v4, v11, v28, 0x5040100
	v_perm_b32 v5, v43, v44, 0x5040100
	v_perm_b32 v9, v41, v42, 0x5040100
	v_pk_mul_bf16 v2, v45, v2
	v_pk_mul_bf16 v3, v7, v3
	v_perm_b32 v16, v25, v27, 0x5040100
	v_perm_b32 v24, v26, v24, 0x5040100
	v_pk_mul_bf16 v25, v8, v4
	s_delay_alu instid0(VALU_DEP_4)
	v_dual_lshlrev_b32 v22, 16, v2 :: v_dual_lshlrev_b32 v23, 16, v3
	v_and_b32_e32 v2, 0xffff0000, v2
	v_and_b32_e32 v3, 0xffff0000, v3
	v_pk_mul_bf16 v4, v7, v9
	v_pk_mul_bf16 v7, v8, v16
	;; [unrolled: 1-line block ×3, first 2 shown]
	s_delay_alu instid0(VALU_DEP_4) | instskip(SKIP_4) | instid1(VALU_DEP_4)
	v_dual_add_f32 v26, v22, v2 :: v_dual_add_f32 v27, v23, v3
	v_pk_mul_bf16 v2, v45, v5
	v_perm_b32 v11, v37, v29, 0x5040100
	v_and_b32_e32 v9, 0xffff0000, v7
	v_dual_lshlrev_b32 v23, 16, v7 :: v_dual_lshlrev_b32 v22, 16, v16
	v_and_b32_e32 v3, 0xffff0000, v2
	v_lshlrev_b32_e32 v5, 16, v2
	v_and_b32_e32 v2, 0xffff0000, v4
	v_lshlrev_b32_e32 v4, 16, v4
	v_and_b32_e32 v8, 0xffff0000, v16
	v_and_b32_e32 v16, 0xffff0000, v25
	v_pk_mul_bf16 v6, v6, v11
	s_delay_alu instid0(VALU_DEP_4) | instskip(SKIP_2) | instid1(VALU_DEP_4)
	v_pk_add_f32 v[2:3], v[4:5], v[2:3]
	v_lshlrev_b32_e32 v7, 16, v25
	v_pk_add_f32 v[4:5], v[22:23], v[8:9]
	v_lshlrev_b32_e32 v8, 16, v6
	v_and_b32_e32 v6, 0xffff0000, v6
	v_dual_add_f32 v2, v2, v3 :: v_dual_add_f32 v3, v27, v26
	s_delay_alu instid0(VALU_DEP_1) | instskip(NEXT) | instid1(VALU_DEP_1)
	v_dual_add_f32 v7, v7, v16 :: v_dual_add_f32 v2, v5, v2
	v_dual_add_f32 v5, v8, v6 :: v_dual_add_f32 v3, v7, v3
	s_delay_alu instid0(VALU_DEP_1) | instskip(NEXT) | instid1(VALU_DEP_1)
	v_dual_add_f32 v2, v4, v2 :: v_dual_add_f32 v4, v5, v3
	v_pk_add_f32 v[2:3], v[12:13], v[2:3] op_sel_hi:[1,0]
	s_delay_alu instid0(VALU_DEP_2) | instskip(NEXT) | instid1(VALU_DEP_1)
	v_add_f32_e32 v2, v12, v4
	v_mov_b64_e32 v[12:13], v[2:3]
.LBB306_209:                            ;   in Loop: Header=BB306_210 Depth=1
	s_or_b32 exec_lo, exec_lo, s19
	v_dual_add_nc_u32 v35, 4, v35 :: v_dual_add_nc_u32 v10, 32, v10
	v_add_nc_u64_e32 v[20:21], 16, v[20:21]
	v_add_nc_u32_e32 v34, 0x80, v34
	s_delay_alu instid0(VALU_DEP_3) | instskip(SKIP_1) | instid1(SALU_CYCLE_1)
	v_cmp_le_i32_e64 s0, s26, v35
	s_or_b32 s18, s0, s18
	s_and_not1_b32 exec_lo, exec_lo, s18
	s_cbranch_execz .LBB306_398
.LBB306_210:                            ; =>This Inner Loop Header: Depth=1
	v_mov_b32_e32 v11, v17
	s_delay_alu instid0(VALU_DEP_1) | instskip(NEXT) | instid1(VALU_DEP_1)
	v_mul_u64_e32 v[2:3], s[20:21], v[10:11]
	v_mul_lo_u32 v2, v3, s16
	s_delay_alu instid0(VALU_DEP_1) | instskip(NEXT) | instid1(VALU_DEP_1)
	v_sub_nc_u32_e32 v2, v10, v2
	v_subrev_nc_u32_e32 v5, s16, v2
	v_cmp_le_u32_e64 s0, s16, v2
	s_delay_alu instid0(VALU_DEP_1) | instskip(NEXT) | instid1(VALU_DEP_1)
	v_dual_add_nc_u32 v4, 1, v3 :: v_dual_cndmask_b32 v2, v2, v5, s0
	v_cndmask_b32_e64 v3, v3, v4, s0
	s_delay_alu instid0(VALU_DEP_2) | instskip(NEXT) | instid1(VALU_DEP_2)
	v_cmp_le_u32_e64 s0, s16, v2
	v_add_nc_u32_e32 v4, 1, v3
	s_delay_alu instid0(VALU_DEP_1) | instskip(NEXT) | instid1(VALU_DEP_1)
	v_cndmask_b32_e64 v2, v3, v4, s0
	v_xor_b32_e32 v2, s15, v2
	s_delay_alu instid0(VALU_DEP_1) | instskip(NEXT) | instid1(VALU_DEP_1)
	v_subrev_nc_u32_e32 v4, s15, v2
	v_add_nc_u32_e32 v5, s35, v4
	v_cmp_lt_i32_e64 s1, s28, v4
	s_delay_alu instid0(VALU_DEP_2) | instskip(NEXT) | instid1(VALU_DEP_1)
	v_sub_nc_u32_e32 v2, 0, v5
	v_dual_ashrrev_i32 v5, 31, v5 :: v_dual_max_i32 v16, v5, v2
	s_delay_alu instid0(VALU_DEP_1) | instskip(NEXT) | instid1(VALU_DEP_1)
	v_mul_u64_e32 v[2:3], s[12:13], v[16:17]
	v_mul_lo_u32 v2, v3, s14
	s_delay_alu instid0(VALU_DEP_1) | instskip(NEXT) | instid1(VALU_DEP_1)
	v_sub_nc_u32_e32 v2, v16, v2
	v_subrev_nc_u32_e32 v3, s14, v2
	v_cmp_le_u32_e64 s0, s14, v2
	s_delay_alu instid0(VALU_DEP_1) | instskip(NEXT) | instid1(VALU_DEP_1)
	v_cndmask_b32_e64 v2, v2, v3, s0
	v_subrev_nc_u32_e32 v3, s14, v2
	v_cmp_le_u32_e64 s0, s14, v2
	s_delay_alu instid0(VALU_DEP_1) | instskip(NEXT) | instid1(VALU_DEP_1)
	v_cndmask_b32_e64 v2, v2, v3, s0
	v_xor_b32_e32 v2, v2, v5
	s_delay_alu instid0(VALU_DEP_1) | instskip(NEXT) | instid1(VALU_DEP_1)
	v_sub_nc_u32_e32 v2, v2, v5
	v_cmp_eq_u32_e64 s0, 0, v2
	s_or_b32 s0, s0, s1
	s_delay_alu instid0(SALU_CYCLE_1)
	s_and_saveexec_b32 s19, s0
	s_cbranch_execz .LBB306_209
; %bb.211:                              ;   in Loop: Header=BB306_210 Depth=1
	global_load_b32 v2, v[20:21], off
	v_dual_mov_b32 v39, 0 :: v_dual_mov_b32 v37, 0
	s_mov_b32 s1, exec_lo
	s_wait_loadcnt 0x0
	v_mad_nc_i64_i32 v[22:23], v2, s17, s[8:9]
	s_delay_alu instid0(VALU_DEP_1)
	v_add_nc_u64_e32 v[24:25], v[22:23], v[14:15]
	global_load_b64 v[26:27], v[24:25], off
	ds_load_2addr_b64 v[6:9], v34 offset1:1
	ds_load_2addr_b64 v[2:5], v34 offset0:2 offset1:3
	s_load_b32 s22, s[10:11], 0x0
	s_wait_loadcnt 0x0
	v_and_b32_e32 v11, 0xff, v26
	s_delay_alu instid0(VALU_DEP_1)
	v_cmpx_ne_u16_e32 0, v11
	s_cbranch_execz .LBB306_217
; %bb.212:                              ;   in Loop: Header=BB306_210 Depth=1
	v_bfrev_b32_e32 v37, 1
	s_mov_b32 s23, exec_lo
	v_cmpx_ne_u16_e32 0x80, v11
	s_cbranch_execz .LBB306_216
; %bb.213:                              ;   in Loop: Header=BB306_210 Depth=1
	v_and_b32_e32 v11, 0x7f, v26
	v_mov_b32_e32 v37, 0x7f800001
	s_mov_b32 s24, exec_lo
	s_delay_alu instid0(VALU_DEP_2)
	v_cmpx_ne_u32_e32 0x7f, v11
	s_cbranch_execz .LBB306_215
; %bb.214:                              ;   in Loop: Header=BB306_210 Depth=1
	v_dual_lshrrev_b32 v28, 3, v11 :: v_dual_bitop2_b32 v16, 7, v26 bitop3:0x40
	v_cmp_gt_u32_e64 s0, 8, v11
	s_delay_alu instid0(VALU_DEP_2) | instskip(NEXT) | instid1(VALU_DEP_1)
	v_clz_i32_u32_e32 v16, v16
	v_min_u32_e32 v16, 32, v16
	s_delay_alu instid0(VALU_DEP_1) | instskip(SKIP_1) | instid1(VALU_DEP_1)
	v_subrev_nc_u32_e32 v29, 28, v16
	v_sub_nc_u32_e32 v16, 29, v16
	v_dual_cndmask_b32 v11, v28, v16, s0 :: v_dual_cndmask_b32 v16, 0, v29, s0
	s_delay_alu instid0(VALU_DEP_1) | instskip(NEXT) | instid1(VALU_DEP_2)
	v_lshl_add_u32 v11, v11, 23, 0x3c000000
	v_lshlrev_b64_e32 v[28:29], v16, v[26:27]
	s_delay_alu instid0(VALU_DEP_1) | instskip(NEXT) | instid1(VALU_DEP_1)
	v_dual_lshlrev_b32 v16, 24, v26 :: v_dual_lshlrev_b32 v28, 20, v28
	v_and_b32_e32 v16, 0x80000000, v16
	s_delay_alu instid0(VALU_DEP_2) | instskip(NEXT) | instid1(VALU_DEP_1)
	v_and_b32_e32 v28, 0x700000, v28
	v_or3_b32 v37, v28, v16, v11
.LBB306_215:                            ;   in Loop: Header=BB306_210 Depth=1
	s_or_b32 exec_lo, exec_lo, s24
.LBB306_216:                            ;   in Loop: Header=BB306_210 Depth=1
	s_delay_alu instid0(SALU_CYCLE_1)
	s_or_b32 exec_lo, exec_lo, s23
.LBB306_217:                            ;   in Loop: Header=BB306_210 Depth=1
	s_delay_alu instid0(SALU_CYCLE_1) | instskip(SKIP_2) | instid1(VALU_DEP_1)
	s_or_b32 exec_lo, exec_lo, s1
	v_lshrrev_b16 v11, 8, v26
	s_mov_b32 s1, exec_lo
	v_cmpx_ne_u16_e32 0, v11
	s_cbranch_execz .LBB306_225
; %bb.218:                              ;   in Loop: Header=BB306_210 Depth=1
	v_bfrev_b32_e32 v39, 1
	s_mov_b32 s23, exec_lo
	v_cmpx_ne_u16_e32 0x80, v11
	s_cbranch_execz .LBB306_224
; %bb.219:                              ;   in Loop: Header=BB306_210 Depth=1
	v_and_b32_e32 v11, 0xffff, v11
	v_mov_b32_e32 v39, 0x7f800001
	s_mov_b32 s24, exec_lo
	s_delay_alu instid0(VALU_DEP_2) | instskip(NEXT) | instid1(VALU_DEP_1)
	v_and_b32_e32 v28, 0x7f, v11
	v_cmpx_ne_u32_e32 0x7f, v28
	s_cbranch_execz .LBB306_223
; %bb.220:                              ;   in Loop: Header=BB306_210 Depth=1
	v_dual_lshrrev_b32 v11, 3, v28 :: v_dual_bitop2_b32 v16, 7, v11 bitop3:0x40
	s_mov_b32 s25, exec_lo
	v_cmpx_gt_u32_e32 8, v28
; %bb.221:                              ;   in Loop: Header=BB306_210 Depth=1
	s_delay_alu instid0(VALU_DEP_2) | instskip(NEXT) | instid1(VALU_DEP_1)
	v_clz_i32_u32_e32 v11, v16
	v_min_u32_e32 v11, 32, v11
	s_delay_alu instid0(VALU_DEP_1) | instskip(NEXT) | instid1(VALU_DEP_1)
	v_subrev_nc_u32_e32 v28, 28, v11
	v_lshlrev_b64_e32 v[28:29], v28, v[16:17]
	s_delay_alu instid0(VALU_DEP_1)
	v_dual_sub_nc_u32 v11, 29, v11 :: v_dual_bitop2_b32 v16, 7, v28 bitop3:0x40
; %bb.222:                              ;   in Loop: Header=BB306_210 Depth=1
	s_or_b32 exec_lo, exec_lo, s25
	s_delay_alu instid0(VALU_DEP_1) | instskip(NEXT) | instid1(VALU_DEP_2)
	v_dual_lshlrev_b32 v28, 16, v26 :: v_dual_lshlrev_b32 v16, 20, v16
	v_lshl_add_u32 v11, v11, 23, 0x3c000000
	s_delay_alu instid0(VALU_DEP_2) | instskip(NEXT) | instid1(VALU_DEP_1)
	v_and_b32_e32 v28, 0x80000000, v28
	v_or3_b32 v39, v16, v28, v11
.LBB306_223:                            ;   in Loop: Header=BB306_210 Depth=1
	s_or_b32 exec_lo, exec_lo, s24
.LBB306_224:                            ;   in Loop: Header=BB306_210 Depth=1
	s_delay_alu instid0(SALU_CYCLE_1)
	s_or_b32 exec_lo, exec_lo, s23
.LBB306_225:                            ;   in Loop: Header=BB306_210 Depth=1
	s_delay_alu instid0(SALU_CYCLE_1) | instskip(SKIP_3) | instid1(VALU_DEP_2)
	s_or_b32 exec_lo, exec_lo, s1
	v_dual_mov_b32 v36, 0 :: v_dual_lshrrev_b32 v11, 16, v26
	v_mov_b32_e32 v38, 0
	s_mov_b32 s1, exec_lo
	v_and_b32_e32 v16, 0xff, v11
	s_delay_alu instid0(VALU_DEP_1)
	v_cmpx_ne_u16_e32 0, v16
	s_cbranch_execz .LBB306_233
; %bb.226:                              ;   in Loop: Header=BB306_210 Depth=1
	v_bfrev_b32_e32 v38, 1
	s_mov_b32 s23, exec_lo
	v_cmpx_ne_u16_e32 0x80, v16
	s_cbranch_execz .LBB306_232
; %bb.227:                              ;   in Loop: Header=BB306_210 Depth=1
	v_bfe_u32 v29, v26, 16, 7
	v_mov_b32_e32 v38, 0x7f800001
	s_mov_b32 s24, exec_lo
	s_delay_alu instid0(VALU_DEP_2)
	v_cmpx_ne_u32_e32 0x7f, v29
	s_cbranch_execz .LBB306_231
; %bb.228:                              ;   in Loop: Header=BB306_210 Depth=1
	v_dual_lshrrev_b32 v28, 3, v29 :: v_dual_bitop2_b32 v16, 7, v11 bitop3:0x40
	s_mov_b32 s25, exec_lo
	v_cmpx_gt_u32_e32 8, v29
; %bb.229:                              ;   in Loop: Header=BB306_210 Depth=1
	s_delay_alu instid0(VALU_DEP_2) | instskip(NEXT) | instid1(VALU_DEP_1)
	v_clz_i32_u32_e32 v28, v16
	v_min_u32_e32 v28, 32, v28
	s_delay_alu instid0(VALU_DEP_1) | instskip(SKIP_1) | instid1(VALU_DEP_2)
	v_subrev_nc_u32_e32 v29, 28, v28
	v_sub_nc_u32_e32 v28, 29, v28
	v_lshlrev_b64_e32 v[40:41], v29, v[16:17]
	s_delay_alu instid0(VALU_DEP_1)
	v_and_b32_e32 v16, 7, v40
; %bb.230:                              ;   in Loop: Header=BB306_210 Depth=1
	s_or_b32 exec_lo, exec_lo, s25
	s_delay_alu instid0(VALU_DEP_1) | instskip(SKIP_1) | instid1(VALU_DEP_2)
	v_dual_lshlrev_b32 v11, 24, v11 :: v_dual_lshlrev_b32 v16, 20, v16
	v_lshl_add_u32 v28, v28, 23, 0x3c000000
	v_and_b32_e32 v11, 0x80000000, v11
	s_delay_alu instid0(VALU_DEP_1)
	v_or3_b32 v38, v16, v11, v28
.LBB306_231:                            ;   in Loop: Header=BB306_210 Depth=1
	s_or_b32 exec_lo, exec_lo, s24
.LBB306_232:                            ;   in Loop: Header=BB306_210 Depth=1
	s_delay_alu instid0(SALU_CYCLE_1)
	s_or_b32 exec_lo, exec_lo, s23
.LBB306_233:                            ;   in Loop: Header=BB306_210 Depth=1
	s_delay_alu instid0(SALU_CYCLE_1) | instskip(NEXT) | instid1(SALU_CYCLE_1)
	s_or_b32 exec_lo, exec_lo, s1
	s_mov_b32 s1, exec_lo
	v_cmpx_lt_u32_e32 0xffffff, v26
	s_cbranch_execz .LBB306_241
; %bb.234:                              ;   in Loop: Header=BB306_210 Depth=1
	v_lshrrev_b32_e32 v11, 24, v26
	v_bfrev_b32_e32 v36, 1
	s_mov_b32 s23, exec_lo
	s_delay_alu instid0(VALU_DEP_2)
	v_cmpx_ne_u32_e32 0x80, v11
	s_cbranch_execz .LBB306_240
; %bb.235:                              ;   in Loop: Header=BB306_210 Depth=1
	v_bfe_u32 v29, v26, 24, 7
	v_mov_b32_e32 v36, 0x7f800001
	s_mov_b32 s24, exec_lo
	s_delay_alu instid0(VALU_DEP_2)
	v_cmpx_ne_u32_e32 0x7f, v29
	s_cbranch_execz .LBB306_239
; %bb.236:                              ;   in Loop: Header=BB306_210 Depth=1
	v_dual_lshrrev_b32 v28, 3, v29 :: v_dual_bitop2_b32 v16, 7, v11 bitop3:0x40
	s_mov_b32 s25, exec_lo
	v_cmpx_gt_u32_e32 8, v29
; %bb.237:                              ;   in Loop: Header=BB306_210 Depth=1
	s_delay_alu instid0(VALU_DEP_2) | instskip(NEXT) | instid1(VALU_DEP_1)
	v_clz_i32_u32_e32 v28, v16
	v_min_u32_e32 v28, 32, v28
	s_delay_alu instid0(VALU_DEP_1) | instskip(SKIP_1) | instid1(VALU_DEP_2)
	v_subrev_nc_u32_e32 v29, 28, v28
	v_sub_nc_u32_e32 v28, 29, v28
	v_lshlrev_b64_e32 v[40:41], v29, v[16:17]
	s_delay_alu instid0(VALU_DEP_1)
	v_and_b32_e32 v16, 7, v40
; %bb.238:                              ;   in Loop: Header=BB306_210 Depth=1
	s_or_b32 exec_lo, exec_lo, s25
	s_delay_alu instid0(VALU_DEP_1) | instskip(SKIP_1) | instid1(VALU_DEP_2)
	v_dual_lshlrev_b32 v11, 24, v11 :: v_dual_lshlrev_b32 v16, 20, v16
	v_lshl_add_u32 v28, v28, 23, 0x3c000000
	v_and_b32_e32 v11, 0x80000000, v11
	s_delay_alu instid0(VALU_DEP_1)
	v_or3_b32 v36, v16, v11, v28
.LBB306_239:                            ;   in Loop: Header=BB306_210 Depth=1
	s_or_b32 exec_lo, exec_lo, s24
.LBB306_240:                            ;   in Loop: Header=BB306_210 Depth=1
	s_delay_alu instid0(SALU_CYCLE_1)
	s_or_b32 exec_lo, exec_lo, s23
.LBB306_241:                            ;   in Loop: Header=BB306_210 Depth=1
	s_delay_alu instid0(SALU_CYCLE_1) | instskip(SKIP_4) | instid1(VALU_DEP_3)
	s_or_b32 exec_lo, exec_lo, s1
	v_and_b32_e32 v28, 0xff, v27
	v_dual_mov_b32 v16, v27 :: v_dual_mov_b32 v11, 0
	v_mov_b32_e32 v40, 0
	s_mov_b32 s1, exec_lo
	v_cmpx_ne_u16_e32 0, v28
	s_cbranch_execz .LBB306_247
; %bb.242:                              ;   in Loop: Header=BB306_210 Depth=1
	v_bfrev_b32_e32 v40, 1
	s_mov_b32 s23, exec_lo
	v_cmpx_ne_u16_e32 0x80, v28
	s_cbranch_execz .LBB306_246
; %bb.243:                              ;   in Loop: Header=BB306_210 Depth=1
	v_and_b32_e32 v28, 0x7f, v27
	v_mov_b32_e32 v40, 0x7f800001
	s_mov_b32 s24, exec_lo
	s_delay_alu instid0(VALU_DEP_2)
	v_cmpx_ne_u32_e32 0x7f, v28
	s_cbranch_execz .LBB306_245
; %bb.244:                              ;   in Loop: Header=BB306_210 Depth=1
	v_dual_lshrrev_b32 v40, 3, v28 :: v_dual_bitop2_b32 v29, 7, v27 bitop3:0x40
	v_cmp_gt_u32_e64 s0, 8, v28
	s_delay_alu instid0(VALU_DEP_2) | instskip(NEXT) | instid1(VALU_DEP_1)
	v_clz_i32_u32_e32 v29, v29
	v_min_u32_e32 v29, 32, v29
	s_delay_alu instid0(VALU_DEP_1) | instskip(SKIP_1) | instid1(VALU_DEP_2)
	v_subrev_nc_u32_e32 v41, 28, v29
	v_sub_nc_u32_e32 v29, 29, v29
	v_cndmask_b32_e64 v28, 0, v41, s0
	s_delay_alu instid0(VALU_DEP_2) | instskip(NEXT) | instid1(VALU_DEP_2)
	v_cndmask_b32_e64 v40, v40, v29, s0
	v_lshlrev_b64_e32 v[28:29], v28, v[16:17]
	v_lshlrev_b32_e32 v29, 24, v16
	s_delay_alu instid0(VALU_DEP_3) | instskip(NEXT) | instid1(VALU_DEP_2)
	v_lshl_add_u32 v40, v40, 23, 0x3c000000
	v_and_b32_e32 v29, 0x80000000, v29
	s_delay_alu instid0(VALU_DEP_4) | instskip(NEXT) | instid1(VALU_DEP_1)
	v_lshlrev_b32_e32 v28, 20, v28
	v_and_b32_e32 v28, 0x700000, v28
	s_delay_alu instid0(VALU_DEP_1)
	v_or3_b32 v40, v28, v29, v40
.LBB306_245:                            ;   in Loop: Header=BB306_210 Depth=1
	s_or_b32 exec_lo, exec_lo, s24
.LBB306_246:                            ;   in Loop: Header=BB306_210 Depth=1
	s_delay_alu instid0(SALU_CYCLE_1)
	s_or_b32 exec_lo, exec_lo, s23
.LBB306_247:                            ;   in Loop: Header=BB306_210 Depth=1
	s_delay_alu instid0(SALU_CYCLE_1) | instskip(SKIP_2) | instid1(VALU_DEP_1)
	s_or_b32 exec_lo, exec_lo, s1
	v_lshrrev_b16 v28, 8, v16
	s_mov_b32 s1, exec_lo
	v_cmpx_ne_u16_e32 0, v28
	s_cbranch_execz .LBB306_255
; %bb.248:                              ;   in Loop: Header=BB306_210 Depth=1
	v_bfrev_b32_e32 v11, 1
	s_mov_b32 s23, exec_lo
	v_cmpx_ne_u16_e32 0x80, v28
	s_cbranch_execz .LBB306_254
; %bb.249:                              ;   in Loop: Header=BB306_210 Depth=1
	v_and_b32_e32 v28, 0xffff, v28
	v_mov_b32_e32 v11, 0x7f800001
	s_mov_b32 s24, exec_lo
	s_delay_alu instid0(VALU_DEP_2) | instskip(NEXT) | instid1(VALU_DEP_1)
	v_and_b32_e32 v41, 0x7f, v28
	v_cmpx_ne_u32_e32 0x7f, v41
	s_cbranch_execz .LBB306_253
; %bb.250:                              ;   in Loop: Header=BB306_210 Depth=1
	v_dual_mov_b32 v29, v17 :: v_dual_bitop2_b32 v28, 7, v28 bitop3:0x40
	v_lshrrev_b32_e32 v11, 3, v41
	s_mov_b32 s25, exec_lo
	v_cmpx_gt_u32_e32 8, v41
; %bb.251:                              ;   in Loop: Header=BB306_210 Depth=1
	s_delay_alu instid0(VALU_DEP_3) | instskip(NEXT) | instid1(VALU_DEP_1)
	v_clz_i32_u32_e32 v11, v28
	v_min_u32_e32 v11, 32, v11
	s_delay_alu instid0(VALU_DEP_1) | instskip(NEXT) | instid1(VALU_DEP_1)
	v_subrev_nc_u32_e32 v41, 28, v11
	v_lshlrev_b64_e32 v[28:29], v41, v[28:29]
	s_delay_alu instid0(VALU_DEP_1)
	v_dual_sub_nc_u32 v11, 29, v11 :: v_dual_bitop2_b32 v28, 7, v28 bitop3:0x40
; %bb.252:                              ;   in Loop: Header=BB306_210 Depth=1
	s_or_b32 exec_lo, exec_lo, s25
	v_lshlrev_b32_e32 v16, 16, v16
	s_delay_alu instid0(VALU_DEP_2) | instskip(NEXT) | instid1(VALU_DEP_3)
	v_lshlrev_b32_e32 v28, 20, v28
	v_lshl_add_u32 v11, v11, 23, 0x3c000000
	s_delay_alu instid0(VALU_DEP_3) | instskip(NEXT) | instid1(VALU_DEP_1)
	v_and_b32_e32 v16, 0x80000000, v16
	v_or3_b32 v11, v28, v16, v11
.LBB306_253:                            ;   in Loop: Header=BB306_210 Depth=1
	s_or_b32 exec_lo, exec_lo, s24
.LBB306_254:                            ;   in Loop: Header=BB306_210 Depth=1
	s_delay_alu instid0(SALU_CYCLE_1)
	s_or_b32 exec_lo, exec_lo, s23
.LBB306_255:                            ;   in Loop: Header=BB306_210 Depth=1
	s_delay_alu instid0(SALU_CYCLE_1) | instskip(SKIP_3) | instid1(VALU_DEP_2)
	s_or_b32 exec_lo, exec_lo, s1
	v_dual_mov_b32 v41, 0 :: v_dual_lshrrev_b32 v28, 16, v27
	v_mov_b32_e32 v29, 0
	s_mov_b32 s1, exec_lo
	v_and_b32_e32 v16, 0xff, v28
	s_delay_alu instid0(VALU_DEP_1)
	v_cmpx_ne_u16_e32 0, v16
	s_cbranch_execz .LBB306_263
; %bb.256:                              ;   in Loop: Header=BB306_210 Depth=1
	v_bfrev_b32_e32 v29, 1
	s_mov_b32 s23, exec_lo
	v_cmpx_ne_u16_e32 0x80, v16
	s_cbranch_execz .LBB306_262
; %bb.257:                              ;   in Loop: Header=BB306_210 Depth=1
	v_bfe_u32 v42, v27, 16, 7
	v_mov_b32_e32 v29, 0x7f800001
	s_mov_b32 s24, exec_lo
	s_delay_alu instid0(VALU_DEP_2)
	v_cmpx_ne_u32_e32 0x7f, v42
	s_cbranch_execz .LBB306_261
; %bb.258:                              ;   in Loop: Header=BB306_210 Depth=1
	v_dual_lshrrev_b32 v29, 3, v42 :: v_dual_bitop2_b32 v16, 7, v28 bitop3:0x40
	s_mov_b32 s25, exec_lo
	v_cmpx_gt_u32_e32 8, v42
; %bb.259:                              ;   in Loop: Header=BB306_210 Depth=1
	s_delay_alu instid0(VALU_DEP_2) | instskip(NEXT) | instid1(VALU_DEP_1)
	v_clz_i32_u32_e32 v29, v16
	v_min_u32_e32 v29, 32, v29
	s_delay_alu instid0(VALU_DEP_1) | instskip(NEXT) | instid1(VALU_DEP_1)
	v_subrev_nc_u32_e32 v42, 28, v29
	v_lshlrev_b64_e32 v[42:43], v42, v[16:17]
	s_delay_alu instid0(VALU_DEP_1)
	v_dual_sub_nc_u32 v29, 29, v29 :: v_dual_bitop2_b32 v16, 7, v42 bitop3:0x40
; %bb.260:                              ;   in Loop: Header=BB306_210 Depth=1
	s_or_b32 exec_lo, exec_lo, s25
	v_lshlrev_b32_e32 v28, 24, v28
	s_delay_alu instid0(VALU_DEP_2) | instskip(NEXT) | instid1(VALU_DEP_3)
	v_lshlrev_b32_e32 v16, 20, v16
	v_lshl_add_u32 v29, v29, 23, 0x3c000000
	s_delay_alu instid0(VALU_DEP_3) | instskip(NEXT) | instid1(VALU_DEP_1)
	v_and_b32_e32 v28, 0x80000000, v28
	v_or3_b32 v29, v16, v28, v29
.LBB306_261:                            ;   in Loop: Header=BB306_210 Depth=1
	s_or_b32 exec_lo, exec_lo, s24
.LBB306_262:                            ;   in Loop: Header=BB306_210 Depth=1
	s_delay_alu instid0(SALU_CYCLE_1)
	s_or_b32 exec_lo, exec_lo, s23
.LBB306_263:                            ;   in Loop: Header=BB306_210 Depth=1
	s_delay_alu instid0(SALU_CYCLE_1) | instskip(NEXT) | instid1(SALU_CYCLE_1)
	s_or_b32 exec_lo, exec_lo, s1
	s_mov_b32 s1, exec_lo
	v_cmpx_lt_u64_e64 s[2:3], v[26:27]
	s_cbranch_execz .LBB306_271
; %bb.264:                              ;   in Loop: Header=BB306_210 Depth=1
	v_lshrrev_b32_e32 v26, 24, v27
	v_bfrev_b32_e32 v41, 1
	s_mov_b32 s23, exec_lo
	s_delay_alu instid0(VALU_DEP_2)
	v_cmpx_ne_u32_e32 0x80, v26
	s_cbranch_execz .LBB306_270
; %bb.265:                              ;   in Loop: Header=BB306_210 Depth=1
	v_bfe_u32 v28, v27, 24, 7
	v_mov_b32_e32 v41, 0x7f800001
	s_mov_b32 s24, exec_lo
	s_delay_alu instid0(VALU_DEP_2)
	v_cmpx_ne_u32_e32 0x7f, v28
	s_cbranch_execz .LBB306_269
; %bb.266:                              ;   in Loop: Header=BB306_210 Depth=1
	v_dual_lshrrev_b32 v27, 3, v28 :: v_dual_bitop2_b32 v16, 7, v26 bitop3:0x40
	s_mov_b32 s25, exec_lo
	v_cmpx_gt_u32_e32 8, v28
; %bb.267:                              ;   in Loop: Header=BB306_210 Depth=1
	s_delay_alu instid0(VALU_DEP_2) | instskip(NEXT) | instid1(VALU_DEP_1)
	v_clz_i32_u32_e32 v27, v16
	v_min_u32_e32 v27, 32, v27
	s_delay_alu instid0(VALU_DEP_1) | instskip(NEXT) | instid1(VALU_DEP_1)
	v_subrev_nc_u32_e32 v28, 28, v27
	v_lshlrev_b64_e32 v[42:43], v28, v[16:17]
	s_delay_alu instid0(VALU_DEP_1)
	v_dual_sub_nc_u32 v27, 29, v27 :: v_dual_bitop2_b32 v16, 7, v42 bitop3:0x40
; %bb.268:                              ;   in Loop: Header=BB306_210 Depth=1
	s_or_b32 exec_lo, exec_lo, s25
	s_delay_alu instid0(VALU_DEP_1) | instskip(NEXT) | instid1(VALU_DEP_2)
	v_dual_lshlrev_b32 v26, 24, v26 :: v_dual_lshlrev_b32 v16, 20, v16
	v_lshl_add_u32 v27, v27, 23, 0x3c000000
	s_delay_alu instid0(VALU_DEP_2) | instskip(NEXT) | instid1(VALU_DEP_1)
	v_and_b32_e32 v26, 0x80000000, v26
	v_or3_b32 v41, v16, v26, v27
.LBB306_269:                            ;   in Loop: Header=BB306_210 Depth=1
	s_or_b32 exec_lo, exec_lo, s24
.LBB306_270:                            ;   in Loop: Header=BB306_210 Depth=1
	s_delay_alu instid0(SALU_CYCLE_1)
	s_or_b32 exec_lo, exec_lo, s23
.LBB306_271:                            ;   in Loop: Header=BB306_210 Depth=1
	s_delay_alu instid0(SALU_CYCLE_1)
	s_or_b32 exec_lo, exec_lo, s1
	v_cmp_eq_u32_e64 s0, s29, v35
	s_wait_kmcnt 0x0
	v_fma_mixlo_bf16 v11, s22, v11, 0
	v_fma_mixlo_bf16 v28, s22, v40, 0
	;; [unrolled: 1-line block ×8, first 2 shown]
	s_and_saveexec_b32 s23, s0
	s_cbranch_execz .LBB306_273
; %bb.272:                              ;   in Loop: Header=BB306_210 Depth=1
	v_dual_add_nc_u32 v16, 1, v10 :: v_dual_add_nc_u32 v26, 2, v10
	v_cmp_gt_i32_e64 s1, s34, v10
	s_delay_alu instid0(VALU_DEP_1) | instskip(NEXT) | instid1(VALU_DEP_3)
	v_dual_add_nc_u32 v27, 3, v10 :: v_dual_cndmask_b32 v40, 0, v40, s1
	v_cmp_gt_i32_e64 s1, s34, v16
	s_delay_alu instid0(VALU_DEP_1) | instskip(SKIP_2) | instid1(VALU_DEP_2)
	v_cndmask_b32_e64 v39, 0, v39, s1
	v_cmp_gt_i32_e64 s1, s34, v26
	v_add_nc_u32_e32 v26, 5, v10
	v_cndmask_b32_e64 v38, 0, v38, s1
	v_cmp_gt_i32_e64 s1, s34, v27
	v_dual_add_nc_u32 v16, 4, v10 :: v_dual_add_nc_u32 v27, 6, v10
	s_delay_alu instid0(VALU_DEP_2) | instskip(NEXT) | instid1(VALU_DEP_2)
	v_cndmask_b32_e64 v36, 0, v36, s1
	v_cmp_gt_i32_e64 s1, s34, v16
	s_delay_alu instid0(VALU_DEP_1) | instskip(SKIP_1) | instid1(VALU_DEP_1)
	v_dual_add_nc_u32 v16, 7, v10 :: v_dual_cndmask_b32 v28, 0, v28, s1
	v_cmp_gt_i32_e64 s1, s34, v26
	v_cndmask_b32_e64 v11, 0, v11, s1
	v_cmp_gt_i32_e64 s1, s34, v27
	s_delay_alu instid0(VALU_DEP_1) | instskip(SKIP_1) | instid1(VALU_DEP_1)
	v_cndmask_b32_e64 v29, 0, v29, s1
	v_cmp_gt_i32_e64 s1, s34, v16
	v_cndmask_b32_e64 v37, 0, v37, s1
.LBB306_273:                            ;   in Loop: Header=BB306_210 Depth=1
	s_or_b32 exec_lo, exec_lo, s23
	global_load_b64 v[24:25], v[24:25], off offset:256
	v_dual_mov_b32 v43, 0 :: v_dual_mov_b32 v44, 0
	s_mov_b32 s23, exec_lo
	s_wait_loadcnt 0x0
	v_and_b32_e32 v16, 0xff, v24
	s_delay_alu instid0(VALU_DEP_1)
	v_cmpx_ne_u16_e32 0, v16
	s_cbranch_execz .LBB306_279
; %bb.274:                              ;   in Loop: Header=BB306_210 Depth=1
	v_bfrev_b32_e32 v44, 1
	s_mov_b32 s24, exec_lo
	v_cmpx_ne_u16_e32 0x80, v16
	s_cbranch_execz .LBB306_278
; %bb.275:                              ;   in Loop: Header=BB306_210 Depth=1
	v_and_b32_e32 v16, 0x7f, v24
	v_mov_b32_e32 v44, 0x7f800001
	s_mov_b32 s25, exec_lo
	s_delay_alu instid0(VALU_DEP_2)
	v_cmpx_ne_u32_e32 0x7f, v16
	s_cbranch_execz .LBB306_277
; %bb.276:                              ;   in Loop: Header=BB306_210 Depth=1
	v_and_b32_e32 v26, 7, v24
	v_cmp_gt_u32_e64 s1, 8, v16
	s_delay_alu instid0(VALU_DEP_2) | instskip(NEXT) | instid1(VALU_DEP_1)
	v_clz_i32_u32_e32 v26, v26
	v_min_u32_e32 v26, 32, v26
	v_lshrrev_b32_e32 v27, 3, v16
	s_delay_alu instid0(VALU_DEP_2) | instskip(SKIP_1) | instid1(VALU_DEP_1)
	v_subrev_nc_u32_e32 v41, 28, v26
	v_sub_nc_u32_e32 v26, 29, v26
	v_dual_cndmask_b32 v16, v27, v26, s1 :: v_dual_cndmask_b32 v26, 0, v41, s1
	s_delay_alu instid0(VALU_DEP_1) | instskip(NEXT) | instid1(VALU_DEP_2)
	v_lshl_add_u32 v16, v16, 23, 0x3c000000
	v_lshlrev_b64_e32 v[26:27], v26, v[24:25]
	v_lshlrev_b32_e32 v27, 24, v24
	s_delay_alu instid0(VALU_DEP_1) | instskip(NEXT) | instid1(VALU_DEP_3)
	v_and_b32_e32 v27, 0x80000000, v27
	v_lshlrev_b32_e32 v26, 20, v26
	s_delay_alu instid0(VALU_DEP_1) | instskip(NEXT) | instid1(VALU_DEP_1)
	v_and_b32_e32 v26, 0x700000, v26
	v_or3_b32 v44, v26, v27, v16
.LBB306_277:                            ;   in Loop: Header=BB306_210 Depth=1
	s_or_b32 exec_lo, exec_lo, s25
.LBB306_278:                            ;   in Loop: Header=BB306_210 Depth=1
	s_delay_alu instid0(SALU_CYCLE_1)
	s_or_b32 exec_lo, exec_lo, s24
.LBB306_279:                            ;   in Loop: Header=BB306_210 Depth=1
	s_delay_alu instid0(SALU_CYCLE_1) | instskip(SKIP_2) | instid1(VALU_DEP_1)
	s_or_b32 exec_lo, exec_lo, s23
	v_lshrrev_b16 v16, 8, v24
	s_mov_b32 s23, exec_lo
	v_cmpx_ne_u16_e32 0, v16
	s_cbranch_execz .LBB306_287
; %bb.280:                              ;   in Loop: Header=BB306_210 Depth=1
	v_bfrev_b32_e32 v43, 1
	s_mov_b32 s24, exec_lo
	v_cmpx_ne_u16_e32 0x80, v16
	s_cbranch_execz .LBB306_286
; %bb.281:                              ;   in Loop: Header=BB306_210 Depth=1
	v_and_b32_e32 v16, 0xffff, v16
	v_mov_b32_e32 v43, 0x7f800001
	s_mov_b32 s25, exec_lo
	s_delay_alu instid0(VALU_DEP_2) | instskip(NEXT) | instid1(VALU_DEP_1)
	v_and_b32_e32 v27, 0x7f, v16
	v_cmpx_ne_u32_e32 0x7f, v27
	s_cbranch_execz .LBB306_285
; %bb.282:                              ;   in Loop: Header=BB306_210 Depth=1
	v_dual_lshrrev_b32 v26, 3, v27 :: v_dual_bitop2_b32 v16, 7, v16 bitop3:0x40
	s_mov_b32 s36, exec_lo
	v_cmpx_gt_u32_e32 8, v27
; %bb.283:                              ;   in Loop: Header=BB306_210 Depth=1
	s_delay_alu instid0(VALU_DEP_2) | instskip(NEXT) | instid1(VALU_DEP_1)
	v_clz_i32_u32_e32 v26, v16
	v_min_u32_e32 v26, 32, v26
	s_delay_alu instid0(VALU_DEP_1) | instskip(SKIP_1) | instid1(VALU_DEP_2)
	v_subrev_nc_u32_e32 v27, 28, v26
	v_sub_nc_u32_e32 v26, 29, v26
	v_lshlrev_b64_e32 v[42:43], v27, v[16:17]
	s_delay_alu instid0(VALU_DEP_1)
	v_and_b32_e32 v16, 7, v42
; %bb.284:                              ;   in Loop: Header=BB306_210 Depth=1
	s_or_b32 exec_lo, exec_lo, s36
	v_lshlrev_b32_e32 v27, 16, v24
	s_delay_alu instid0(VALU_DEP_2) | instskip(SKIP_1) | instid1(VALU_DEP_3)
	v_lshlrev_b32_e32 v16, 20, v16
	v_lshl_add_u32 v26, v26, 23, 0x3c000000
	v_and_b32_e32 v27, 0x80000000, v27
	s_delay_alu instid0(VALU_DEP_1)
	v_or3_b32 v43, v16, v27, v26
.LBB306_285:                            ;   in Loop: Header=BB306_210 Depth=1
	s_or_b32 exec_lo, exec_lo, s25
.LBB306_286:                            ;   in Loop: Header=BB306_210 Depth=1
	s_delay_alu instid0(SALU_CYCLE_1)
	s_or_b32 exec_lo, exec_lo, s24
.LBB306_287:                            ;   in Loop: Header=BB306_210 Depth=1
	s_delay_alu instid0(SALU_CYCLE_1) | instskip(SKIP_3) | instid1(VALU_DEP_2)
	s_or_b32 exec_lo, exec_lo, s23
	v_dual_mov_b32 v41, 0 :: v_dual_lshrrev_b32 v26, 16, v24
	v_mov_b32_e32 v42, 0
	s_mov_b32 s23, exec_lo
	v_and_b32_e32 v16, 0xff, v26
	s_delay_alu instid0(VALU_DEP_1)
	v_cmpx_ne_u16_e32 0, v16
	s_cbranch_execz .LBB306_295
; %bb.288:                              ;   in Loop: Header=BB306_210 Depth=1
	v_bfrev_b32_e32 v42, 1
	s_mov_b32 s24, exec_lo
	v_cmpx_ne_u16_e32 0x80, v16
	s_cbranch_execz .LBB306_294
; %bb.289:                              ;   in Loop: Header=BB306_210 Depth=1
	v_bfe_u32 v45, v24, 16, 7
	v_mov_b32_e32 v42, 0x7f800001
	s_mov_b32 s25, exec_lo
	s_delay_alu instid0(VALU_DEP_2)
	v_cmpx_ne_u32_e32 0x7f, v45
	s_cbranch_execz .LBB306_293
; %bb.290:                              ;   in Loop: Header=BB306_210 Depth=1
	v_dual_lshrrev_b32 v27, 3, v45 :: v_dual_bitop2_b32 v16, 7, v26 bitop3:0x40
	s_mov_b32 s36, exec_lo
	v_cmpx_gt_u32_e32 8, v45
; %bb.291:                              ;   in Loop: Header=BB306_210 Depth=1
	s_delay_alu instid0(VALU_DEP_2) | instskip(NEXT) | instid1(VALU_DEP_1)
	v_clz_i32_u32_e32 v27, v16
	v_min_u32_e32 v27, 32, v27
	s_delay_alu instid0(VALU_DEP_1) | instskip(NEXT) | instid1(VALU_DEP_1)
	v_subrev_nc_u32_e32 v42, 28, v27
	v_lshlrev_b64_e32 v[46:47], v42, v[16:17]
	s_delay_alu instid0(VALU_DEP_1)
	v_dual_sub_nc_u32 v27, 29, v27 :: v_dual_bitop2_b32 v16, 7, v46 bitop3:0x40
; %bb.292:                              ;   in Loop: Header=BB306_210 Depth=1
	s_or_b32 exec_lo, exec_lo, s36
	s_delay_alu instid0(VALU_DEP_1) | instskip(NEXT) | instid1(VALU_DEP_2)
	v_dual_lshlrev_b32 v26, 24, v26 :: v_dual_lshlrev_b32 v16, 20, v16
	v_lshl_add_u32 v27, v27, 23, 0x3c000000
	s_delay_alu instid0(VALU_DEP_2) | instskip(NEXT) | instid1(VALU_DEP_1)
	v_and_b32_e32 v26, 0x80000000, v26
	v_or3_b32 v42, v16, v26, v27
.LBB306_293:                            ;   in Loop: Header=BB306_210 Depth=1
	s_or_b32 exec_lo, exec_lo, s25
.LBB306_294:                            ;   in Loop: Header=BB306_210 Depth=1
	s_delay_alu instid0(SALU_CYCLE_1)
	s_or_b32 exec_lo, exec_lo, s24
.LBB306_295:                            ;   in Loop: Header=BB306_210 Depth=1
	s_delay_alu instid0(SALU_CYCLE_1) | instskip(NEXT) | instid1(SALU_CYCLE_1)
	s_or_b32 exec_lo, exec_lo, s23
	s_mov_b32 s23, exec_lo
	v_cmpx_lt_u32_e32 0xffffff, v24
	s_cbranch_execz .LBB306_303
; %bb.296:                              ;   in Loop: Header=BB306_210 Depth=1
	v_lshrrev_b32_e32 v26, 24, v24
	v_bfrev_b32_e32 v41, 1
	s_mov_b32 s24, exec_lo
	s_delay_alu instid0(VALU_DEP_2)
	v_cmpx_ne_u32_e32 0x80, v26
	s_cbranch_execz .LBB306_302
; %bb.297:                              ;   in Loop: Header=BB306_210 Depth=1
	v_bfe_u32 v45, v24, 24, 7
	v_mov_b32_e32 v41, 0x7f800001
	s_mov_b32 s25, exec_lo
	s_delay_alu instid0(VALU_DEP_2)
	v_cmpx_ne_u32_e32 0x7f, v45
	s_cbranch_execz .LBB306_301
; %bb.298:                              ;   in Loop: Header=BB306_210 Depth=1
	v_dual_lshrrev_b32 v27, 3, v45 :: v_dual_bitop2_b32 v16, 7, v26 bitop3:0x40
	s_mov_b32 s36, exec_lo
	v_cmpx_gt_u32_e32 8, v45
; %bb.299:                              ;   in Loop: Header=BB306_210 Depth=1
	s_delay_alu instid0(VALU_DEP_2) | instskip(NEXT) | instid1(VALU_DEP_1)
	v_clz_i32_u32_e32 v27, v16
	v_min_u32_e32 v27, 32, v27
	s_delay_alu instid0(VALU_DEP_1) | instskip(NEXT) | instid1(VALU_DEP_1)
	v_subrev_nc_u32_e32 v41, 28, v27
	v_lshlrev_b64_e32 v[46:47], v41, v[16:17]
	s_delay_alu instid0(VALU_DEP_1)
	v_dual_sub_nc_u32 v27, 29, v27 :: v_dual_bitop2_b32 v16, 7, v46 bitop3:0x40
; %bb.300:                              ;   in Loop: Header=BB306_210 Depth=1
	s_or_b32 exec_lo, exec_lo, s36
	s_delay_alu instid0(VALU_DEP_1) | instskip(NEXT) | instid1(VALU_DEP_2)
	v_dual_lshlrev_b32 v26, 24, v26 :: v_dual_lshlrev_b32 v16, 20, v16
	v_lshl_add_u32 v27, v27, 23, 0x3c000000
	s_delay_alu instid0(VALU_DEP_2) | instskip(NEXT) | instid1(VALU_DEP_1)
	v_and_b32_e32 v26, 0x80000000, v26
	v_or3_b32 v41, v16, v26, v27
.LBB306_301:                            ;   in Loop: Header=BB306_210 Depth=1
	s_or_b32 exec_lo, exec_lo, s25
.LBB306_302:                            ;   in Loop: Header=BB306_210 Depth=1
	s_delay_alu instid0(SALU_CYCLE_1)
	s_or_b32 exec_lo, exec_lo, s24
.LBB306_303:                            ;   in Loop: Header=BB306_210 Depth=1
	s_delay_alu instid0(SALU_CYCLE_1) | instskip(SKIP_4) | instid1(VALU_DEP_3)
	s_or_b32 exec_lo, exec_lo, s23
	v_and_b32_e32 v27, 0xff, v25
	v_dual_mov_b32 v16, v25 :: v_dual_mov_b32 v26, 0
	v_mov_b32_e32 v45, 0
	s_mov_b32 s23, exec_lo
	v_cmpx_ne_u16_e32 0, v27
	s_cbranch_execz .LBB306_309
; %bb.304:                              ;   in Loop: Header=BB306_210 Depth=1
	v_bfrev_b32_e32 v45, 1
	s_mov_b32 s24, exec_lo
	v_cmpx_ne_u16_e32 0x80, v27
	s_cbranch_execz .LBB306_308
; %bb.305:                              ;   in Loop: Header=BB306_210 Depth=1
	v_and_b32_e32 v27, 0x7f, v25
	v_mov_b32_e32 v45, 0x7f800001
	s_mov_b32 s25, exec_lo
	s_delay_alu instid0(VALU_DEP_2)
	v_cmpx_ne_u32_e32 0x7f, v27
	s_cbranch_execz .LBB306_307
; %bb.306:                              ;   in Loop: Header=BB306_210 Depth=1
	v_dual_lshrrev_b32 v46, 3, v27 :: v_dual_bitop2_b32 v45, 7, v25 bitop3:0x40
	v_cmp_gt_u32_e64 s1, 8, v27
	s_delay_alu instid0(VALU_DEP_2) | instskip(NEXT) | instid1(VALU_DEP_1)
	v_clz_i32_u32_e32 v45, v45
	v_min_u32_e32 v45, 32, v45
	s_delay_alu instid0(VALU_DEP_1) | instskip(SKIP_1) | instid1(VALU_DEP_1)
	v_subrev_nc_u32_e32 v47, 28, v45
	v_sub_nc_u32_e32 v45, 29, v45
	v_dual_cndmask_b32 v27, v46, v45, s1 :: v_dual_cndmask_b32 v45, 0, v47, s1
	s_delay_alu instid0(VALU_DEP_1) | instskip(NEXT) | instid1(VALU_DEP_2)
	v_lshl_add_u32 v27, v27, 23, 0x3c000000
	v_lshlrev_b64_e32 v[46:47], v45, v[16:17]
	v_lshlrev_b32_e32 v45, 24, v16
	s_delay_alu instid0(VALU_DEP_1) | instskip(NEXT) | instid1(VALU_DEP_3)
	v_and_b32_e32 v45, 0x80000000, v45
	v_lshlrev_b32_e32 v46, 20, v46
	s_delay_alu instid0(VALU_DEP_1) | instskip(NEXT) | instid1(VALU_DEP_1)
	v_and_b32_e32 v46, 0x700000, v46
	v_or3_b32 v45, v46, v45, v27
.LBB306_307:                            ;   in Loop: Header=BB306_210 Depth=1
	s_or_b32 exec_lo, exec_lo, s25
.LBB306_308:                            ;   in Loop: Header=BB306_210 Depth=1
	s_delay_alu instid0(SALU_CYCLE_1)
	s_or_b32 exec_lo, exec_lo, s24
.LBB306_309:                            ;   in Loop: Header=BB306_210 Depth=1
	s_delay_alu instid0(SALU_CYCLE_1) | instskip(SKIP_2) | instid1(VALU_DEP_1)
	s_or_b32 exec_lo, exec_lo, s23
	v_lshrrev_b16 v27, 8, v16
	s_mov_b32 s23, exec_lo
	v_cmpx_ne_u16_e32 0, v27
	s_cbranch_execz .LBB306_317
; %bb.310:                              ;   in Loop: Header=BB306_210 Depth=1
	v_bfrev_b32_e32 v26, 1
	s_mov_b32 s24, exec_lo
	v_cmpx_ne_u16_e32 0x80, v27
	s_cbranch_execz .LBB306_316
; %bb.311:                              ;   in Loop: Header=BB306_210 Depth=1
	v_and_b32_e32 v27, 0xffff, v27
	v_mov_b32_e32 v26, 0x7f800001
	s_mov_b32 s25, exec_lo
	s_delay_alu instid0(VALU_DEP_2) | instskip(NEXT) | instid1(VALU_DEP_1)
	v_and_b32_e32 v47, 0x7f, v27
	v_cmpx_ne_u32_e32 0x7f, v47
	s_cbranch_execz .LBB306_315
; %bb.312:                              ;   in Loop: Header=BB306_210 Depth=1
	v_dual_mov_b32 v27, v17 :: v_dual_bitop2_b32 v26, 7, v27 bitop3:0x40
	v_lshrrev_b32_e32 v46, 3, v47
	s_mov_b32 s36, exec_lo
	v_cmpx_gt_u32_e32 8, v47
; %bb.313:                              ;   in Loop: Header=BB306_210 Depth=1
	s_delay_alu instid0(VALU_DEP_3) | instskip(NEXT) | instid1(VALU_DEP_1)
	v_clz_i32_u32_e32 v46, v26
	v_min_u32_e32 v46, 32, v46
	s_delay_alu instid0(VALU_DEP_1) | instskip(SKIP_1) | instid1(VALU_DEP_2)
	v_subrev_nc_u32_e32 v47, 28, v46
	v_sub_nc_u32_e32 v46, 29, v46
	v_lshlrev_b64_e32 v[26:27], v47, v[26:27]
	s_delay_alu instid0(VALU_DEP_1)
	v_and_b32_e32 v26, 7, v26
; %bb.314:                              ;   in Loop: Header=BB306_210 Depth=1
	s_or_b32 exec_lo, exec_lo, s36
	s_delay_alu instid0(VALU_DEP_1) | instskip(SKIP_1) | instid1(VALU_DEP_2)
	v_dual_lshlrev_b32 v16, 16, v16 :: v_dual_lshlrev_b32 v26, 20, v26
	v_lshl_add_u32 v27, v46, 23, 0x3c000000
	v_and_b32_e32 v16, 0x80000000, v16
	s_delay_alu instid0(VALU_DEP_1)
	v_or3_b32 v26, v26, v16, v27
.LBB306_315:                            ;   in Loop: Header=BB306_210 Depth=1
	s_or_b32 exec_lo, exec_lo, s25
.LBB306_316:                            ;   in Loop: Header=BB306_210 Depth=1
	s_delay_alu instid0(SALU_CYCLE_1)
	s_or_b32 exec_lo, exec_lo, s24
.LBB306_317:                            ;   in Loop: Header=BB306_210 Depth=1
	s_delay_alu instid0(SALU_CYCLE_1) | instskip(SKIP_3) | instid1(VALU_DEP_2)
	s_or_b32 exec_lo, exec_lo, s23
	v_dual_mov_b32 v46, 0 :: v_dual_lshrrev_b32 v27, 16, v25
	v_mov_b32_e32 v47, 0
	s_mov_b32 s23, exec_lo
	v_and_b32_e32 v16, 0xff, v27
	s_delay_alu instid0(VALU_DEP_1)
	v_cmpx_ne_u16_e32 0, v16
	s_cbranch_execz .LBB306_325
; %bb.318:                              ;   in Loop: Header=BB306_210 Depth=1
	v_bfrev_b32_e32 v47, 1
	s_mov_b32 s24, exec_lo
	v_cmpx_ne_u16_e32 0x80, v16
	s_cbranch_execz .LBB306_324
; %bb.319:                              ;   in Loop: Header=BB306_210 Depth=1
	v_bfe_u32 v48, v25, 16, 7
	v_mov_b32_e32 v47, 0x7f800001
	s_mov_b32 s25, exec_lo
	s_delay_alu instid0(VALU_DEP_2)
	v_cmpx_ne_u32_e32 0x7f, v48
	s_cbranch_execz .LBB306_323
; %bb.320:                              ;   in Loop: Header=BB306_210 Depth=1
	v_dual_lshrrev_b32 v47, 3, v48 :: v_dual_bitop2_b32 v16, 7, v27 bitop3:0x40
	s_mov_b32 s36, exec_lo
	v_cmpx_gt_u32_e32 8, v48
; %bb.321:                              ;   in Loop: Header=BB306_210 Depth=1
	s_delay_alu instid0(VALU_DEP_2) | instskip(NEXT) | instid1(VALU_DEP_1)
	v_clz_i32_u32_e32 v47, v16
	v_min_u32_e32 v47, 32, v47
	s_delay_alu instid0(VALU_DEP_1) | instskip(NEXT) | instid1(VALU_DEP_1)
	v_subrev_nc_u32_e32 v48, 28, v47
	v_lshlrev_b64_e32 v[48:49], v48, v[16:17]
	s_delay_alu instid0(VALU_DEP_1)
	v_dual_sub_nc_u32 v47, 29, v47 :: v_dual_bitop2_b32 v16, 7, v48 bitop3:0x40
; %bb.322:                              ;   in Loop: Header=BB306_210 Depth=1
	s_or_b32 exec_lo, exec_lo, s36
	s_delay_alu instid0(VALU_DEP_1) | instskip(NEXT) | instid1(VALU_DEP_2)
	v_dual_lshlrev_b32 v27, 24, v27 :: v_dual_lshlrev_b32 v16, 20, v16
	v_lshl_add_u32 v47, v47, 23, 0x3c000000
	s_delay_alu instid0(VALU_DEP_2) | instskip(NEXT) | instid1(VALU_DEP_1)
	v_and_b32_e32 v27, 0x80000000, v27
	v_or3_b32 v47, v16, v27, v47
.LBB306_323:                            ;   in Loop: Header=BB306_210 Depth=1
	s_or_b32 exec_lo, exec_lo, s25
.LBB306_324:                            ;   in Loop: Header=BB306_210 Depth=1
	s_delay_alu instid0(SALU_CYCLE_1)
	s_or_b32 exec_lo, exec_lo, s24
.LBB306_325:                            ;   in Loop: Header=BB306_210 Depth=1
	s_delay_alu instid0(SALU_CYCLE_1) | instskip(NEXT) | instid1(SALU_CYCLE_1)
	s_or_b32 exec_lo, exec_lo, s23
	s_mov_b32 s23, exec_lo
	v_cmpx_lt_u64_e64 s[2:3], v[24:25]
	s_cbranch_execz .LBB306_333
; %bb.326:                              ;   in Loop: Header=BB306_210 Depth=1
	v_lshrrev_b32_e32 v24, 24, v25
	v_bfrev_b32_e32 v46, 1
	s_mov_b32 s24, exec_lo
	s_delay_alu instid0(VALU_DEP_2)
	v_cmpx_ne_u32_e32 0x80, v24
	s_cbranch_execz .LBB306_332
; %bb.327:                              ;   in Loop: Header=BB306_210 Depth=1
	v_bfe_u32 v27, v25, 24, 7
	v_mov_b32_e32 v46, 0x7f800001
	s_mov_b32 s25, exec_lo
	s_delay_alu instid0(VALU_DEP_2)
	v_cmpx_ne_u32_e32 0x7f, v27
	s_cbranch_execz .LBB306_331
; %bb.328:                              ;   in Loop: Header=BB306_210 Depth=1
	v_dual_lshrrev_b32 v25, 3, v27 :: v_dual_bitop2_b32 v16, 7, v24 bitop3:0x40
	s_mov_b32 s36, exec_lo
	v_cmpx_gt_u32_e32 8, v27
; %bb.329:                              ;   in Loop: Header=BB306_210 Depth=1
	s_delay_alu instid0(VALU_DEP_2) | instskip(NEXT) | instid1(VALU_DEP_1)
	v_clz_i32_u32_e32 v25, v16
	v_min_u32_e32 v25, 32, v25
	s_delay_alu instid0(VALU_DEP_1) | instskip(NEXT) | instid1(VALU_DEP_1)
	v_subrev_nc_u32_e32 v27, 28, v25
	v_lshlrev_b64_e32 v[48:49], v27, v[16:17]
	s_delay_alu instid0(VALU_DEP_1)
	v_dual_sub_nc_u32 v25, 29, v25 :: v_dual_bitop2_b32 v16, 7, v48 bitop3:0x40
; %bb.330:                              ;   in Loop: Header=BB306_210 Depth=1
	s_or_b32 exec_lo, exec_lo, s36
	v_lshlrev_b32_e32 v24, 24, v24
	s_delay_alu instid0(VALU_DEP_2) | instskip(NEXT) | instid1(VALU_DEP_3)
	v_lshlrev_b32_e32 v16, 20, v16
	v_lshl_add_u32 v25, v25, 23, 0x3c000000
	s_delay_alu instid0(VALU_DEP_3) | instskip(NEXT) | instid1(VALU_DEP_1)
	v_and_b32_e32 v24, 0x80000000, v24
	v_or3_b32 v46, v16, v24, v25
.LBB306_331:                            ;   in Loop: Header=BB306_210 Depth=1
	s_or_b32 exec_lo, exec_lo, s25
.LBB306_332:                            ;   in Loop: Header=BB306_210 Depth=1
	s_delay_alu instid0(SALU_CYCLE_1)
	s_or_b32 exec_lo, exec_lo, s24
.LBB306_333:                            ;   in Loop: Header=BB306_210 Depth=1
	s_delay_alu instid0(SALU_CYCLE_1)
	s_or_b32 exec_lo, exec_lo, s23
	v_fma_mixlo_bf16 v25, s22, v26, 0
	v_fma_mixlo_bf16 v27, s22, v45, 0
	;; [unrolled: 1-line block ×8, first 2 shown]
	s_and_saveexec_b32 s23, s0
	s_cbranch_execz .LBB306_335
; %bb.334:                              ;   in Loop: Header=BB306_210 Depth=1
	v_dual_add_nc_u32 v16, 1, v10 :: v_dual_add_nc_u32 v45, 2, v10
	v_cmp_gt_i32_e64 s1, s34, v10
	s_delay_alu instid0(VALU_DEP_1) | instskip(NEXT) | instid1(VALU_DEP_3)
	v_dual_add_nc_u32 v46, 3, v10 :: v_dual_cndmask_b32 v44, 0, v44, s1
	v_cmp_gt_i32_e64 s1, s34, v16
	s_delay_alu instid0(VALU_DEP_1) | instskip(SKIP_2) | instid1(VALU_DEP_2)
	v_cndmask_b32_e64 v43, 0, v43, s1
	v_cmp_gt_i32_e64 s1, s34, v45
	v_add_nc_u32_e32 v45, 5, v10
	v_cndmask_b32_e64 v42, 0, v42, s1
	v_cmp_gt_i32_e64 s1, s34, v46
	v_dual_add_nc_u32 v16, 4, v10 :: v_dual_add_nc_u32 v46, 6, v10
	s_delay_alu instid0(VALU_DEP_2) | instskip(NEXT) | instid1(VALU_DEP_2)
	v_cndmask_b32_e64 v41, 0, v41, s1
	v_cmp_gt_i32_e64 s1, s34, v16
	s_delay_alu instid0(VALU_DEP_1) | instskip(SKIP_1) | instid1(VALU_DEP_1)
	v_dual_add_nc_u32 v16, 7, v10 :: v_dual_cndmask_b32 v27, 0, v27, s1
	v_cmp_gt_i32_e64 s1, s34, v45
	v_cndmask_b32_e64 v25, 0, v25, s1
	v_cmp_gt_i32_e64 s1, s34, v46
	s_delay_alu instid0(VALU_DEP_1) | instskip(SKIP_1) | instid1(VALU_DEP_1)
	v_cndmask_b32_e64 v24, 0, v24, s1
	v_cmp_gt_i32_e64 s1, s34, v16
	v_cndmask_b32_e64 v26, 0, v26, s1
.LBB306_335:                            ;   in Loop: Header=BB306_210 Depth=1
	s_or_b32 exec_lo, exec_lo, s23
	s_wait_dscnt 0x1
	v_cvt_pk_bf16_f32 v45, v6, v7
	v_cvt_pk_bf16_f32 v7, v8, v9
	s_wait_dscnt 0x0
	v_cvt_pk_bf16_f32 v8, v2, v3
	v_cvt_pk_bf16_f32 v6, v4, v5
	s_and_saveexec_b32 s23, vcc_lo
	s_cbranch_execz .LBB306_208
; %bb.336:                              ;   in Loop: Header=BB306_210 Depth=1
	v_add_nc_u64_e32 v[2:3], v[22:23], v[18:19]
	v_dual_mov_b32 v22, 0 :: v_dual_mov_b32 v9, 0
	s_mov_b32 s24, exec_lo
	global_load_b64 v[2:3], v[2:3], off
	s_wait_loadcnt 0x0
	v_and_b32_e32 v4, 0xff, v2
	s_delay_alu instid0(VALU_DEP_1)
	v_cmpx_ne_u16_e32 0, v4
	s_cbranch_execz .LBB306_342
; %bb.337:                              ;   in Loop: Header=BB306_210 Depth=1
	v_bfrev_b32_e32 v9, 1
	s_mov_b32 s25, exec_lo
	v_cmpx_ne_u16_e32 0x80, v4
	s_cbranch_execz .LBB306_341
; %bb.338:                              ;   in Loop: Header=BB306_210 Depth=1
	v_and_b32_e32 v4, 0x7f, v2
	v_mov_b32_e32 v9, 0x7f800001
	s_mov_b32 s36, exec_lo
	s_delay_alu instid0(VALU_DEP_2)
	v_cmpx_ne_u32_e32 0x7f, v4
	s_cbranch_execz .LBB306_340
; %bb.339:                              ;   in Loop: Header=BB306_210 Depth=1
	v_dual_lshrrev_b32 v9, 3, v4 :: v_dual_bitop2_b32 v5, 7, v2 bitop3:0x40
	v_cmp_gt_u32_e64 s1, 8, v4
	s_delay_alu instid0(VALU_DEP_2) | instskip(NEXT) | instid1(VALU_DEP_1)
	v_clz_i32_u32_e32 v5, v5
	v_min_u32_e32 v5, 32, v5
	s_delay_alu instid0(VALU_DEP_1) | instskip(NEXT) | instid1(VALU_DEP_1)
	v_subrev_nc_u32_e32 v16, 28, v5
	v_dual_sub_nc_u32 v5, 29, v5 :: v_dual_cndmask_b32 v4, 0, v16, s1
	s_delay_alu instid0(VALU_DEP_1) | instskip(NEXT) | instid1(VALU_DEP_2)
	v_cndmask_b32_e64 v9, v9, v5, s1
	v_lshlrev_b64_e32 v[4:5], v4, v[2:3]
	v_lshlrev_b32_e32 v5, 24, v2
	s_delay_alu instid0(VALU_DEP_3) | instskip(NEXT) | instid1(VALU_DEP_2)
	v_lshl_add_u32 v9, v9, 23, 0x3c000000
	v_and_b32_e32 v5, 0x80000000, v5
	s_delay_alu instid0(VALU_DEP_4) | instskip(NEXT) | instid1(VALU_DEP_1)
	v_lshlrev_b32_e32 v4, 20, v4
	v_and_b32_e32 v4, 0x700000, v4
	s_delay_alu instid0(VALU_DEP_1)
	v_or3_b32 v9, v4, v5, v9
.LBB306_340:                            ;   in Loop: Header=BB306_210 Depth=1
	s_or_b32 exec_lo, exec_lo, s36
.LBB306_341:                            ;   in Loop: Header=BB306_210 Depth=1
	s_delay_alu instid0(SALU_CYCLE_1)
	s_or_b32 exec_lo, exec_lo, s25
.LBB306_342:                            ;   in Loop: Header=BB306_210 Depth=1
	s_delay_alu instid0(SALU_CYCLE_1) | instskip(SKIP_2) | instid1(VALU_DEP_1)
	s_or_b32 exec_lo, exec_lo, s24
	v_lshrrev_b16 v4, 8, v2
	s_mov_b32 s24, exec_lo
	v_cmpx_ne_u16_e32 0, v4
	s_cbranch_execz .LBB306_350
; %bb.343:                              ;   in Loop: Header=BB306_210 Depth=1
	v_bfrev_b32_e32 v22, 1
	s_mov_b32 s25, exec_lo
	v_cmpx_ne_u16_e32 0x80, v4
	s_cbranch_execz .LBB306_349
; %bb.344:                              ;   in Loop: Header=BB306_210 Depth=1
	v_and_b32_e32 v4, 0xffff, v4
	v_mov_b32_e32 v22, 0x7f800001
	s_mov_b32 s36, exec_lo
	s_delay_alu instid0(VALU_DEP_2) | instskip(NEXT) | instid1(VALU_DEP_1)
	v_and_b32_e32 v5, 0x7f, v4
	v_cmpx_ne_u32_e32 0x7f, v5
	s_cbranch_execz .LBB306_348
; %bb.345:                              ;   in Loop: Header=BB306_210 Depth=1
	v_dual_lshrrev_b32 v4, 3, v5 :: v_dual_bitop2_b32 v16, 7, v4 bitop3:0x40
	s_mov_b32 s37, exec_lo
	v_cmpx_gt_u32_e32 8, v5
; %bb.346:                              ;   in Loop: Header=BB306_210 Depth=1
	s_delay_alu instid0(VALU_DEP_2) | instskip(NEXT) | instid1(VALU_DEP_1)
	v_clz_i32_u32_e32 v4, v16
	v_min_u32_e32 v4, 32, v4
	s_delay_alu instid0(VALU_DEP_1) | instskip(NEXT) | instid1(VALU_DEP_1)
	v_subrev_nc_u32_e32 v5, 28, v4
	v_lshlrev_b64_e32 v[22:23], v5, v[16:17]
	s_delay_alu instid0(VALU_DEP_1)
	v_dual_sub_nc_u32 v4, 29, v4 :: v_dual_bitop2_b32 v16, 7, v22 bitop3:0x40
; %bb.347:                              ;   in Loop: Header=BB306_210 Depth=1
	s_or_b32 exec_lo, exec_lo, s37
	s_delay_alu instid0(VALU_DEP_1) | instskip(NEXT) | instid1(VALU_DEP_2)
	v_dual_lshlrev_b32 v5, 16, v2 :: v_dual_lshlrev_b32 v16, 20, v16
	v_lshl_add_u32 v4, v4, 23, 0x3c000000
	s_delay_alu instid0(VALU_DEP_2) | instskip(NEXT) | instid1(VALU_DEP_1)
	v_and_b32_e32 v5, 0x80000000, v5
	v_or3_b32 v22, v16, v5, v4
.LBB306_348:                            ;   in Loop: Header=BB306_210 Depth=1
	s_or_b32 exec_lo, exec_lo, s36
.LBB306_349:                            ;   in Loop: Header=BB306_210 Depth=1
	s_delay_alu instid0(SALU_CYCLE_1)
	s_or_b32 exec_lo, exec_lo, s25
.LBB306_350:                            ;   in Loop: Header=BB306_210 Depth=1
	s_delay_alu instid0(SALU_CYCLE_1) | instskip(SKIP_3) | instid1(VALU_DEP_2)
	s_or_b32 exec_lo, exec_lo, s24
	v_dual_lshrrev_b32 v4, 16, v2 :: v_dual_mov_b32 v46, 0
	v_mov_b32_e32 v23, 0
	s_mov_b32 s24, exec_lo
	v_and_b32_e32 v5, 0xff, v4
	s_delay_alu instid0(VALU_DEP_1)
	v_cmpx_ne_u16_e32 0, v5
	s_cbranch_execz .LBB306_358
; %bb.351:                              ;   in Loop: Header=BB306_210 Depth=1
	v_bfrev_b32_e32 v23, 1
	s_mov_b32 s25, exec_lo
	v_cmpx_ne_u16_e32 0x80, v5
	s_cbranch_execz .LBB306_357
; %bb.352:                              ;   in Loop: Header=BB306_210 Depth=1
	v_bfe_u32 v47, v2, 16, 7
	v_mov_b32_e32 v23, 0x7f800001
	s_mov_b32 s36, exec_lo
	s_delay_alu instid0(VALU_DEP_2)
	v_cmpx_ne_u32_e32 0x7f, v47
	s_cbranch_execz .LBB306_356
; %bb.353:                              ;   in Loop: Header=BB306_210 Depth=1
	v_dual_lshrrev_b32 v5, 3, v47 :: v_dual_bitop2_b32 v16, 7, v4 bitop3:0x40
	s_mov_b32 s37, exec_lo
	v_cmpx_gt_u32_e32 8, v47
; %bb.354:                              ;   in Loop: Header=BB306_210 Depth=1
	s_delay_alu instid0(VALU_DEP_2) | instskip(NEXT) | instid1(VALU_DEP_1)
	v_clz_i32_u32_e32 v5, v16
	v_min_u32_e32 v5, 32, v5
	s_delay_alu instid0(VALU_DEP_1) | instskip(NEXT) | instid1(VALU_DEP_1)
	v_subrev_nc_u32_e32 v23, 28, v5
	v_lshlrev_b64_e32 v[48:49], v23, v[16:17]
	s_delay_alu instid0(VALU_DEP_1)
	v_dual_sub_nc_u32 v5, 29, v5 :: v_dual_bitop2_b32 v16, 7, v48 bitop3:0x40
; %bb.355:                              ;   in Loop: Header=BB306_210 Depth=1
	s_or_b32 exec_lo, exec_lo, s37
	v_lshlrev_b32_e32 v4, 24, v4
	s_delay_alu instid0(VALU_DEP_2) | instskip(NEXT) | instid1(VALU_DEP_3)
	v_lshlrev_b32_e32 v16, 20, v16
	v_lshl_add_u32 v5, v5, 23, 0x3c000000
	s_delay_alu instid0(VALU_DEP_3) | instskip(NEXT) | instid1(VALU_DEP_1)
	v_and_b32_e32 v4, 0x80000000, v4
	v_or3_b32 v23, v16, v4, v5
.LBB306_356:                            ;   in Loop: Header=BB306_210 Depth=1
	s_or_b32 exec_lo, exec_lo, s36
.LBB306_357:                            ;   in Loop: Header=BB306_210 Depth=1
	s_delay_alu instid0(SALU_CYCLE_1)
	s_or_b32 exec_lo, exec_lo, s25
.LBB306_358:                            ;   in Loop: Header=BB306_210 Depth=1
	s_delay_alu instid0(SALU_CYCLE_1) | instskip(NEXT) | instid1(SALU_CYCLE_1)
	s_or_b32 exec_lo, exec_lo, s24
	s_mov_b32 s24, exec_lo
	v_cmpx_lt_u32_e32 0xffffff, v2
	s_cbranch_execz .LBB306_366
; %bb.359:                              ;   in Loop: Header=BB306_210 Depth=1
	v_lshrrev_b32_e32 v4, 24, v2
	v_bfrev_b32_e32 v46, 1
	s_mov_b32 s25, exec_lo
	s_delay_alu instid0(VALU_DEP_2)
	v_cmpx_ne_u32_e32 0x80, v4
	s_cbranch_execz .LBB306_365
; %bb.360:                              ;   in Loop: Header=BB306_210 Depth=1
	v_bfe_u32 v47, v2, 24, 7
	v_mov_b32_e32 v46, 0x7f800001
	s_mov_b32 s36, exec_lo
	s_delay_alu instid0(VALU_DEP_2)
	v_cmpx_ne_u32_e32 0x7f, v47
	s_cbranch_execz .LBB306_364
; %bb.361:                              ;   in Loop: Header=BB306_210 Depth=1
	v_dual_lshrrev_b32 v5, 3, v47 :: v_dual_bitop2_b32 v16, 7, v4 bitop3:0x40
	s_mov_b32 s37, exec_lo
	v_cmpx_gt_u32_e32 8, v47
; %bb.362:                              ;   in Loop: Header=BB306_210 Depth=1
	s_delay_alu instid0(VALU_DEP_2) | instskip(NEXT) | instid1(VALU_DEP_1)
	v_clz_i32_u32_e32 v5, v16
	v_min_u32_e32 v5, 32, v5
	s_delay_alu instid0(VALU_DEP_1) | instskip(NEXT) | instid1(VALU_DEP_1)
	v_subrev_nc_u32_e32 v46, 28, v5
	v_lshlrev_b64_e32 v[46:47], v46, v[16:17]
	s_delay_alu instid0(VALU_DEP_1)
	v_dual_sub_nc_u32 v5, 29, v5 :: v_dual_bitop2_b32 v16, 7, v46 bitop3:0x40
; %bb.363:                              ;   in Loop: Header=BB306_210 Depth=1
	s_or_b32 exec_lo, exec_lo, s37
	v_lshlrev_b32_e32 v4, 24, v4
	s_delay_alu instid0(VALU_DEP_2) | instskip(NEXT) | instid1(VALU_DEP_3)
	v_lshlrev_b32_e32 v16, 20, v16
	v_lshl_add_u32 v5, v5, 23, 0x3c000000
	s_delay_alu instid0(VALU_DEP_3) | instskip(NEXT) | instid1(VALU_DEP_1)
	v_and_b32_e32 v4, 0x80000000, v4
	v_or3_b32 v46, v16, v4, v5
.LBB306_364:                            ;   in Loop: Header=BB306_210 Depth=1
	s_or_b32 exec_lo, exec_lo, s36
.LBB306_365:                            ;   in Loop: Header=BB306_210 Depth=1
	s_delay_alu instid0(SALU_CYCLE_1)
	s_or_b32 exec_lo, exec_lo, s25
.LBB306_366:                            ;   in Loop: Header=BB306_210 Depth=1
	s_delay_alu instid0(SALU_CYCLE_1) | instskip(SKIP_4) | instid1(VALU_DEP_3)
	s_or_b32 exec_lo, exec_lo, s24
	v_and_b32_e32 v5, 0xff, v3
	v_dual_mov_b32 v16, v3 :: v_dual_mov_b32 v4, 0
	v_mov_b32_e32 v47, 0
	s_mov_b32 s24, exec_lo
	v_cmpx_ne_u16_e32 0, v5
	s_cbranch_execz .LBB306_372
; %bb.367:                              ;   in Loop: Header=BB306_210 Depth=1
	v_bfrev_b32_e32 v47, 1
	s_mov_b32 s25, exec_lo
	v_cmpx_ne_u16_e32 0x80, v5
	s_cbranch_execz .LBB306_371
; %bb.368:                              ;   in Loop: Header=BB306_210 Depth=1
	v_and_b32_e32 v5, 0x7f, v3
	v_mov_b32_e32 v47, 0x7f800001
	s_mov_b32 s36, exec_lo
	s_delay_alu instid0(VALU_DEP_2)
	v_cmpx_ne_u32_e32 0x7f, v5
	s_cbranch_execz .LBB306_370
; %bb.369:                              ;   in Loop: Header=BB306_210 Depth=1
	v_dual_lshrrev_b32 v48, 3, v5 :: v_dual_bitop2_b32 v47, 7, v3 bitop3:0x40
	v_cmp_gt_u32_e64 s1, 8, v5
	s_delay_alu instid0(VALU_DEP_2) | instskip(NEXT) | instid1(VALU_DEP_1)
	v_clz_i32_u32_e32 v47, v47
	v_min_u32_e32 v47, 32, v47
	s_delay_alu instid0(VALU_DEP_1) | instskip(SKIP_1) | instid1(VALU_DEP_1)
	v_subrev_nc_u32_e32 v49, 28, v47
	v_sub_nc_u32_e32 v47, 29, v47
	v_dual_cndmask_b32 v5, v48, v47, s1 :: v_dual_cndmask_b32 v47, 0, v49, s1
	s_delay_alu instid0(VALU_DEP_1) | instskip(NEXT) | instid1(VALU_DEP_2)
	v_lshl_add_u32 v5, v5, 23, 0x3c000000
	v_lshlrev_b64_e32 v[48:49], v47, v[16:17]
	v_lshlrev_b32_e32 v47, 24, v16
	s_delay_alu instid0(VALU_DEP_1) | instskip(NEXT) | instid1(VALU_DEP_3)
	v_and_b32_e32 v47, 0x80000000, v47
	v_lshlrev_b32_e32 v48, 20, v48
	s_delay_alu instid0(VALU_DEP_1) | instskip(NEXT) | instid1(VALU_DEP_1)
	v_and_b32_e32 v48, 0x700000, v48
	v_or3_b32 v47, v48, v47, v5
.LBB306_370:                            ;   in Loop: Header=BB306_210 Depth=1
	s_or_b32 exec_lo, exec_lo, s36
.LBB306_371:                            ;   in Loop: Header=BB306_210 Depth=1
	s_delay_alu instid0(SALU_CYCLE_1)
	s_or_b32 exec_lo, exec_lo, s25
.LBB306_372:                            ;   in Loop: Header=BB306_210 Depth=1
	s_delay_alu instid0(SALU_CYCLE_1) | instskip(SKIP_2) | instid1(VALU_DEP_1)
	s_or_b32 exec_lo, exec_lo, s24
	v_lshrrev_b16 v5, 8, v16
	s_mov_b32 s24, exec_lo
	v_cmpx_ne_u16_e32 0, v5
	s_cbranch_execz .LBB306_380
; %bb.373:                              ;   in Loop: Header=BB306_210 Depth=1
	v_bfrev_b32_e32 v4, 1
	s_mov_b32 s25, exec_lo
	v_cmpx_ne_u16_e32 0x80, v5
	s_cbranch_execz .LBB306_379
; %bb.374:                              ;   in Loop: Header=BB306_210 Depth=1
	v_and_b32_e32 v5, 0xffff, v5
	v_mov_b32_e32 v4, 0x7f800001
	s_mov_b32 s36, exec_lo
	s_delay_alu instid0(VALU_DEP_2) | instskip(NEXT) | instid1(VALU_DEP_1)
	v_and_b32_e32 v49, 0x7f, v5
	v_cmpx_ne_u32_e32 0x7f, v49
	s_cbranch_execz .LBB306_378
; %bb.375:                              ;   in Loop: Header=BB306_210 Depth=1
	v_dual_mov_b32 v5, v17 :: v_dual_bitop2_b32 v4, 7, v5 bitop3:0x40
	v_lshrrev_b32_e32 v48, 3, v49
	s_mov_b32 s37, exec_lo
	v_cmpx_gt_u32_e32 8, v49
; %bb.376:                              ;   in Loop: Header=BB306_210 Depth=1
	s_delay_alu instid0(VALU_DEP_3) | instskip(NEXT) | instid1(VALU_DEP_1)
	v_clz_i32_u32_e32 v48, v4
	v_min_u32_e32 v48, 32, v48
	s_delay_alu instid0(VALU_DEP_1) | instskip(SKIP_1) | instid1(VALU_DEP_2)
	v_subrev_nc_u32_e32 v49, 28, v48
	v_sub_nc_u32_e32 v48, 29, v48
	v_lshlrev_b64_e32 v[4:5], v49, v[4:5]
	s_delay_alu instid0(VALU_DEP_1)
	v_and_b32_e32 v4, 7, v4
; %bb.377:                              ;   in Loop: Header=BB306_210 Depth=1
	s_or_b32 exec_lo, exec_lo, s37
	v_lshlrev_b32_e32 v5, 16, v16
	s_delay_alu instid0(VALU_DEP_2) | instskip(SKIP_1) | instid1(VALU_DEP_3)
	v_lshlrev_b32_e32 v4, 20, v4
	v_lshl_add_u32 v16, v48, 23, 0x3c000000
	v_and_b32_e32 v5, 0x80000000, v5
	s_delay_alu instid0(VALU_DEP_1)
	v_or3_b32 v4, v4, v5, v16
.LBB306_378:                            ;   in Loop: Header=BB306_210 Depth=1
	s_or_b32 exec_lo, exec_lo, s36
.LBB306_379:                            ;   in Loop: Header=BB306_210 Depth=1
	s_delay_alu instid0(SALU_CYCLE_1)
	s_or_b32 exec_lo, exec_lo, s25
.LBB306_380:                            ;   in Loop: Header=BB306_210 Depth=1
	s_delay_alu instid0(SALU_CYCLE_1) | instskip(SKIP_3) | instid1(VALU_DEP_2)
	s_or_b32 exec_lo, exec_lo, s24
	v_dual_lshrrev_b32 v49, 16, v3 :: v_dual_mov_b32 v5, 0
	v_mov_b32_e32 v48, 0
	s_mov_b32 s24, exec_lo
	v_and_b32_e32 v16, 0xff, v49
	s_delay_alu instid0(VALU_DEP_1)
	v_cmpx_ne_u16_e32 0, v16
	s_cbranch_execz .LBB306_388
; %bb.381:                              ;   in Loop: Header=BB306_210 Depth=1
	v_bfrev_b32_e32 v48, 1
	s_mov_b32 s25, exec_lo
	v_cmpx_ne_u16_e32 0x80, v16
	s_cbranch_execz .LBB306_387
; %bb.382:                              ;   in Loop: Header=BB306_210 Depth=1
	v_bfe_u32 v50, v3, 16, 7
	v_mov_b32_e32 v48, 0x7f800001
	s_mov_b32 s36, exec_lo
	s_delay_alu instid0(VALU_DEP_2)
	v_cmpx_ne_u32_e32 0x7f, v50
	s_cbranch_execz .LBB306_386
; %bb.383:                              ;   in Loop: Header=BB306_210 Depth=1
	v_dual_lshrrev_b32 v48, 3, v50 :: v_dual_bitop2_b32 v16, 7, v49 bitop3:0x40
	s_mov_b32 s37, exec_lo
	v_cmpx_gt_u32_e32 8, v50
; %bb.384:                              ;   in Loop: Header=BB306_210 Depth=1
	s_delay_alu instid0(VALU_DEP_2) | instskip(NEXT) | instid1(VALU_DEP_1)
	v_clz_i32_u32_e32 v48, v16
	v_min_u32_e32 v48, 32, v48
	s_delay_alu instid0(VALU_DEP_1) | instskip(NEXT) | instid1(VALU_DEP_1)
	v_subrev_nc_u32_e32 v50, 28, v48
	v_lshlrev_b64_e32 v[50:51], v50, v[16:17]
	s_delay_alu instid0(VALU_DEP_1)
	v_dual_sub_nc_u32 v48, 29, v48 :: v_dual_bitop2_b32 v16, 7, v50 bitop3:0x40
; %bb.385:                              ;   in Loop: Header=BB306_210 Depth=1
	s_or_b32 exec_lo, exec_lo, s37
	s_delay_alu instid0(VALU_DEP_1) | instskip(NEXT) | instid1(VALU_DEP_2)
	v_dual_lshlrev_b32 v49, 24, v49 :: v_dual_lshlrev_b32 v16, 20, v16
	v_lshl_add_u32 v48, v48, 23, 0x3c000000
	s_delay_alu instid0(VALU_DEP_2) | instskip(NEXT) | instid1(VALU_DEP_1)
	v_and_b32_e32 v49, 0x80000000, v49
	v_or3_b32 v48, v16, v49, v48
.LBB306_386:                            ;   in Loop: Header=BB306_210 Depth=1
	s_or_b32 exec_lo, exec_lo, s36
.LBB306_387:                            ;   in Loop: Header=BB306_210 Depth=1
	s_delay_alu instid0(SALU_CYCLE_1)
	s_or_b32 exec_lo, exec_lo, s25
.LBB306_388:                            ;   in Loop: Header=BB306_210 Depth=1
	s_delay_alu instid0(SALU_CYCLE_1) | instskip(NEXT) | instid1(SALU_CYCLE_1)
	s_or_b32 exec_lo, exec_lo, s24
	s_mov_b32 s24, exec_lo
	v_cmpx_lt_u64_e64 s[2:3], v[2:3]
	s_cbranch_execz .LBB306_396
; %bb.389:                              ;   in Loop: Header=BB306_210 Depth=1
	v_lshrrev_b32_e32 v2, 24, v3
	v_bfrev_b32_e32 v5, 1
	s_mov_b32 s25, exec_lo
	s_delay_alu instid0(VALU_DEP_2)
	v_cmpx_ne_u32_e32 0x80, v2
	s_cbranch_execz .LBB306_395
; %bb.390:                              ;   in Loop: Header=BB306_210 Depth=1
	v_bfe_u32 v49, v3, 24, 7
	v_mov_b32_e32 v5, 0x7f800001
	s_mov_b32 s36, exec_lo
	s_delay_alu instid0(VALU_DEP_2)
	v_cmpx_ne_u32_e32 0x7f, v49
	s_cbranch_execz .LBB306_394
; %bb.391:                              ;   in Loop: Header=BB306_210 Depth=1
	v_dual_lshrrev_b32 v3, 3, v49 :: v_dual_bitop2_b32 v16, 7, v2 bitop3:0x40
	s_mov_b32 s37, exec_lo
	v_cmpx_gt_u32_e32 8, v49
; %bb.392:                              ;   in Loop: Header=BB306_210 Depth=1
	s_delay_alu instid0(VALU_DEP_2) | instskip(NEXT) | instid1(VALU_DEP_1)
	v_clz_i32_u32_e32 v3, v16
	v_min_u32_e32 v3, 32, v3
	s_delay_alu instid0(VALU_DEP_1) | instskip(NEXT) | instid1(VALU_DEP_1)
	v_subrev_nc_u32_e32 v5, 28, v3
	v_lshlrev_b64_e32 v[50:51], v5, v[16:17]
	s_delay_alu instid0(VALU_DEP_1)
	v_dual_sub_nc_u32 v3, 29, v3 :: v_dual_bitop2_b32 v16, 7, v50 bitop3:0x40
; %bb.393:                              ;   in Loop: Header=BB306_210 Depth=1
	s_or_b32 exec_lo, exec_lo, s37
	s_delay_alu instid0(VALU_DEP_1) | instskip(NEXT) | instid1(VALU_DEP_2)
	v_dual_lshlrev_b32 v2, 24, v2 :: v_dual_lshlrev_b32 v5, 20, v16
	v_lshl_add_u32 v3, v3, 23, 0x3c000000
	s_delay_alu instid0(VALU_DEP_2) | instskip(NEXT) | instid1(VALU_DEP_1)
	v_and_b32_e32 v2, 0x80000000, v2
	v_or3_b32 v5, v5, v2, v3
.LBB306_394:                            ;   in Loop: Header=BB306_210 Depth=1
	s_or_b32 exec_lo, exec_lo, s36
.LBB306_395:                            ;   in Loop: Header=BB306_210 Depth=1
	s_delay_alu instid0(SALU_CYCLE_1)
	s_or_b32 exec_lo, exec_lo, s25
.LBB306_396:                            ;   in Loop: Header=BB306_210 Depth=1
	s_delay_alu instid0(SALU_CYCLE_1)
	s_or_b32 exec_lo, exec_lo, s24
	v_fma_mixlo_bf16 v2, s22, v4, 0
	v_fma_mixlo_bf16 v3, s22, v47, 0
	;; [unrolled: 1-line block ×8, first 2 shown]
	s_and_saveexec_b32 s1, s0
	s_cbranch_execz .LBB306_207
; %bb.397:                              ;   in Loop: Header=BB306_210 Depth=1
	v_dual_add_nc_u32 v46, 1, v10 :: v_dual_add_nc_u32 v47, 2, v10
	v_cmp_gt_i32_e64 s0, s34, v10
	s_delay_alu instid0(VALU_DEP_1) | instskip(NEXT) | instid1(VALU_DEP_3)
	v_dual_add_nc_u32 v48, 3, v10 :: v_dual_cndmask_b32 v9, 0, v9, s0
	v_cmp_gt_i32_e64 s0, s34, v46
	s_delay_alu instid0(VALU_DEP_1) | instskip(SKIP_1) | instid1(VALU_DEP_1)
	v_cndmask_b32_e64 v22, 0, v22, s0
	v_cmp_gt_i32_e64 s0, s34, v47
	v_dual_add_nc_u32 v47, 5, v10 :: v_dual_cndmask_b32 v23, 0, v23, s0
	v_cmp_gt_i32_e64 s0, s34, v48
	v_dual_add_nc_u32 v46, 4, v10 :: v_dual_add_nc_u32 v48, 6, v10
	s_delay_alu instid0(VALU_DEP_2) | instskip(NEXT) | instid1(VALU_DEP_2)
	v_cndmask_b32_e64 v16, 0, v16, s0
	v_cmp_gt_i32_e64 s0, s34, v46
	s_delay_alu instid0(VALU_DEP_1) | instskip(SKIP_1) | instid1(VALU_DEP_1)
	v_dual_add_nc_u32 v46, 7, v10 :: v_dual_cndmask_b32 v3, 0, v3, s0
	v_cmp_gt_i32_e64 s0, s34, v47
	v_cndmask_b32_e64 v2, 0, v2, s0
	v_cmp_gt_i32_e64 s0, s34, v48
	s_delay_alu instid0(VALU_DEP_1) | instskip(SKIP_1) | instid1(VALU_DEP_1)
	v_cndmask_b32_e64 v4, 0, v4, s0
	v_cmp_gt_i32_e64 s0, s34, v46
	v_cndmask_b32_e64 v5, 0, v5, s0
	s_branch .LBB306_207
.LBB306_398:
	s_or_b32 exec_lo, exec_lo, s18
.LBB306_399:
	s_delay_alu instid0(SALU_CYCLE_1)
	s_or_b32 exec_lo, exec_lo, s27
	s_movk_i32 s0, 0x140
	v_and_b32_e32 v2, 0x3c0, v0
	v_mad_u32_u24 v1, v1, s0, 0xc0
	s_mov_b32 s0, exec_lo
	s_barrier_signal -1
	s_barrier_wait -1
	v_cmpx_eq_u32_e32 64, v2
	s_cbranch_execz .LBB306_402
; %bb.400:
	v_add_nc_u32_e32 v2, 0xfffffd80, v1
	v_cmp_gt_u32_e32 vcc_lo, 0x50, v33
	s_delay_alu instid0(VALU_DEP_2)
	v_lshl_add_u32 v3, v30, 2, v2
	ds_store_2addr_b32 v3, v12, v13 offset1:32
	s_and_b32 exec_lo, exec_lo, vcc_lo
; %bb.401:
	v_lshl_add_u32 v2, v33, 2, v2
	ds_store_b32 v2, v32
.LBB306_402:
	s_or_b32 exec_lo, exec_lo, s0
	v_lshl_add_u32 v4, v30, 2, v1
	s_mov_b32 s0, exec_lo
	s_wait_dscnt 0x0
	s_barrier_signal -1
	s_barrier_wait -1
	v_cmpx_gt_u32_e32 64, v0
	s_cbranch_execz .LBB306_406
; %bb.403:
	v_lshl_or_b32 v2, v0, 2, 0x80
	s_mov_b32 s1, exec_lo
	s_delay_alu instid0(VALU_DEP_1)
	v_add_nc_u32_e32 v3, v1, v2
	ds_load_b32 v2, v4
	ds_load_b32 v3, v3
	v_cmpx_gt_u32_e32 0x50, v33
	s_cbranch_execz .LBB306_405
; %bb.404:
	ds_load_b32 v5, v4 offset:256
	s_wait_dscnt 0x0
	v_add_f32_e32 v32, v32, v5
.LBB306_405:
	s_or_b32 exec_lo, exec_lo, s1
	s_wait_dscnt 0x0
	v_pk_add_f32 v[12:13], v[12:13], v[2:3]
.LBB306_406:
	s_or_b32 exec_lo, exec_lo, s0
	v_and_b32_e32 v2, 0x3e0, v0
	s_mov_b32 s0, exec_lo
	s_barrier_signal -1
	s_barrier_wait -1
	s_delay_alu instid0(VALU_DEP_1)
	v_cmpx_eq_u32_e32 32, v2
	s_cbranch_execz .LBB306_409
; %bb.407:
	v_lshl_add_u32 v2, v30, 2, 0xc0
	v_cmp_gt_u32_e32 vcc_lo, 0x50, v33
	ds_store_b32 v2, v12
	ds_store_b32 v31, v13
	s_and_b32 exec_lo, exec_lo, vcc_lo
; %bb.408:
	ds_store_b32 v2, v32 offset:256
.LBB306_409:
	s_or_b32 exec_lo, exec_lo, s0
	v_cmp_gt_u32_e32 vcc_lo, 32, v0
	v_or_b32_e32 v5, 64, v0
	s_wait_dscnt 0x0
	s_barrier_signal -1
	s_barrier_wait -1
	s_and_saveexec_b32 s1, vcc_lo
	s_cbranch_execz .LBB306_413
; %bb.410:
	v_lshl_add_u32 v1, v0, 2, v1
	s_mov_b32 s2, exec_lo
	ds_load_b32 v2, v4
	ds_load_b32 v3, v1 offset:128
	v_cmpx_gt_u32_e32 0x50, v5
	s_cbranch_execz .LBB306_412
; %bb.411:
	ds_load_b32 v1, v1 offset:256
	s_wait_dscnt 0x0
	v_add_f32_e32 v32, v32, v1
.LBB306_412:
	s_or_b32 exec_lo, exec_lo, s2
	s_wait_dscnt 0x0
	v_pk_add_f32 v[12:13], v[12:13], v[2:3]
.LBB306_413:
	s_or_b32 exec_lo, exec_lo, s1
	s_barrier_signal -1
	s_barrier_wait -1
	s_and_saveexec_b32 s0, vcc_lo
	s_cbranch_execz .LBB306_416
; %bb.414:
	s_mul_i32 s1, s33, s7
	s_mul_i32 s0, s7, s6
	s_mul_i32 s1, s1, s31
	s_bfe_u32 s7, ttmp6, 0x40014
	s_mul_i32 s2, s1, 0x50
	s_lshr_b32 s6, ttmp7, 16
	s_ashr_i32 s3, s2, 31
	s_add_co_i32 s7, s7, 1
	s_lshl_b64 s[2:3], s[2:3], 1
	s_ashr_i32 s1, s0, 31
	s_wait_kmcnt 0x0
	s_add_nc_u64 s[2:3], s[4:5], s[2:3]
	s_mul_i32 s4, s6, s7
	s_bfe_u32 s5, ttmp6, 0x40008
	s_lshl_b64 s[0:1], s[0:1], 1
	s_add_co_i32 s5, s5, s4
	s_cmp_eq_u32 s30, 0
	s_add_nc_u64 s[0:1], s[2:3], s[0:1]
	s_cselect_b32 s2, s6, s5
	v_cvt_pk_bf16_f32 v1, v12, s0
	v_cmp_gt_u32_e32 vcc_lo, 0x50, v5
	s_mov_b32 s3, 0
	s_mulk_i32 s2, 0xa0
	v_cvt_pk_bf16_f32 v2, v13, s0
	s_add_nc_u64 s[0:1], s[0:1], s[2:3]
	s_clause 0x1
	global_store_b16 v0, v1, s[0:1] scale_offset
	global_store_b16 v0, v2, s[0:1] offset:64 scale_offset
	s_wait_xcnt 0x0
	s_and_b32 exec_lo, exec_lo, vcc_lo
	s_cbranch_execz .LBB306_416
; %bb.415:
	v_dual_mov_b32 v1, 0 :: v_dual_lshlrev_b32 v0, 1, v0
	v_cvt_pk_bf16_f32 v2, v32, s0
	s_delay_alu instid0(VALU_DEP_2)
	v_add_nc_u64_e32 v[0:1], s[0:1], v[0:1]
	global_store_b16 v[0:1], v2, off offset:128
.LBB306_416:
	s_endpgm
	.section	.rodata,"a",@progbits
	.p2align	6, 0x0
	.amdhsa_kernel _ZN4vllm25paged_attention_v1_kernelI14__hip_bfloat16hLi80ELi8ELi128ELNS_18Fp8KVCacheDataTypeE1ELb1EEEvPT_PKS3_PKT0_S9_ifPKiSB_iPKfiiiSD_SD_iiiii
		.amdhsa_group_segment_fixed_size 192
		.amdhsa_private_segment_fixed_size 0
		.amdhsa_kernarg_size 384
		.amdhsa_user_sgpr_count 2
		.amdhsa_user_sgpr_dispatch_ptr 0
		.amdhsa_user_sgpr_queue_ptr 0
		.amdhsa_user_sgpr_kernarg_segment_ptr 1
		.amdhsa_user_sgpr_dispatch_id 0
		.amdhsa_user_sgpr_kernarg_preload_length 0
		.amdhsa_user_sgpr_kernarg_preload_offset 0
		.amdhsa_user_sgpr_private_segment_size 0
		.amdhsa_wavefront_size32 1
		.amdhsa_uses_dynamic_stack 0
		.amdhsa_enable_private_segment 0
		.amdhsa_system_sgpr_workgroup_id_x 1
		.amdhsa_system_sgpr_workgroup_id_y 1
		.amdhsa_system_sgpr_workgroup_id_z 1
		.amdhsa_system_sgpr_workgroup_info 0
		.amdhsa_system_vgpr_workitem_id 0
		.amdhsa_next_free_vgpr 52
		.amdhsa_next_free_sgpr 46
		.amdhsa_named_barrier_count 0
		.amdhsa_reserve_vcc 1
		.amdhsa_float_round_mode_32 0
		.amdhsa_float_round_mode_16_64 0
		.amdhsa_float_denorm_mode_32 3
		.amdhsa_float_denorm_mode_16_64 3
		.amdhsa_fp16_overflow 0
		.amdhsa_memory_ordered 1
		.amdhsa_forward_progress 1
		.amdhsa_inst_pref_size 127
		.amdhsa_round_robin_scheduling 0
		.amdhsa_exception_fp_ieee_invalid_op 0
		.amdhsa_exception_fp_denorm_src 0
		.amdhsa_exception_fp_ieee_div_zero 0
		.amdhsa_exception_fp_ieee_overflow 0
		.amdhsa_exception_fp_ieee_underflow 0
		.amdhsa_exception_fp_ieee_inexact 0
		.amdhsa_exception_int_div_zero 0
	.end_amdhsa_kernel
	.section	.text._ZN4vllm25paged_attention_v1_kernelI14__hip_bfloat16hLi80ELi8ELi128ELNS_18Fp8KVCacheDataTypeE1ELb1EEEvPT_PKS3_PKT0_S9_ifPKiSB_iPKfiiiSD_SD_iiiii,"axG",@progbits,_ZN4vllm25paged_attention_v1_kernelI14__hip_bfloat16hLi80ELi8ELi128ELNS_18Fp8KVCacheDataTypeE1ELb1EEEvPT_PKS3_PKT0_S9_ifPKiSB_iPKfiiiSD_SD_iiiii,comdat
.Lfunc_end306:
	.size	_ZN4vllm25paged_attention_v1_kernelI14__hip_bfloat16hLi80ELi8ELi128ELNS_18Fp8KVCacheDataTypeE1ELb1EEEvPT_PKS3_PKT0_S9_ifPKiSB_iPKfiiiSD_SD_iiiii, .Lfunc_end306-_ZN4vllm25paged_attention_v1_kernelI14__hip_bfloat16hLi80ELi8ELi128ELNS_18Fp8KVCacheDataTypeE1ELb1EEEvPT_PKS3_PKT0_S9_ifPKiSB_iPKfiiiSD_SD_iiiii
                                        ; -- End function
	.set _ZN4vllm25paged_attention_v1_kernelI14__hip_bfloat16hLi80ELi8ELi128ELNS_18Fp8KVCacheDataTypeE1ELb1EEEvPT_PKS3_PKT0_S9_ifPKiSB_iPKfiiiSD_SD_iiiii.num_vgpr, 52
	.set _ZN4vllm25paged_attention_v1_kernelI14__hip_bfloat16hLi80ELi8ELi128ELNS_18Fp8KVCacheDataTypeE1ELb1EEEvPT_PKS3_PKT0_S9_ifPKiSB_iPKfiiiSD_SD_iiiii.num_agpr, 0
	.set _ZN4vllm25paged_attention_v1_kernelI14__hip_bfloat16hLi80ELi8ELi128ELNS_18Fp8KVCacheDataTypeE1ELb1EEEvPT_PKS3_PKT0_S9_ifPKiSB_iPKfiiiSD_SD_iiiii.numbered_sgpr, 46
	.set _ZN4vllm25paged_attention_v1_kernelI14__hip_bfloat16hLi80ELi8ELi128ELNS_18Fp8KVCacheDataTypeE1ELb1EEEvPT_PKS3_PKT0_S9_ifPKiSB_iPKfiiiSD_SD_iiiii.num_named_barrier, 0
	.set _ZN4vllm25paged_attention_v1_kernelI14__hip_bfloat16hLi80ELi8ELi128ELNS_18Fp8KVCacheDataTypeE1ELb1EEEvPT_PKS3_PKT0_S9_ifPKiSB_iPKfiiiSD_SD_iiiii.private_seg_size, 0
	.set _ZN4vllm25paged_attention_v1_kernelI14__hip_bfloat16hLi80ELi8ELi128ELNS_18Fp8KVCacheDataTypeE1ELb1EEEvPT_PKS3_PKT0_S9_ifPKiSB_iPKfiiiSD_SD_iiiii.uses_vcc, 1
	.set _ZN4vllm25paged_attention_v1_kernelI14__hip_bfloat16hLi80ELi8ELi128ELNS_18Fp8KVCacheDataTypeE1ELb1EEEvPT_PKS3_PKT0_S9_ifPKiSB_iPKfiiiSD_SD_iiiii.uses_flat_scratch, 0
	.set _ZN4vllm25paged_attention_v1_kernelI14__hip_bfloat16hLi80ELi8ELi128ELNS_18Fp8KVCacheDataTypeE1ELb1EEEvPT_PKS3_PKT0_S9_ifPKiSB_iPKfiiiSD_SD_iiiii.has_dyn_sized_stack, 0
	.set _ZN4vllm25paged_attention_v1_kernelI14__hip_bfloat16hLi80ELi8ELi128ELNS_18Fp8KVCacheDataTypeE1ELb1EEEvPT_PKS3_PKT0_S9_ifPKiSB_iPKfiiiSD_SD_iiiii.has_recursion, 0
	.set _ZN4vllm25paged_attention_v1_kernelI14__hip_bfloat16hLi80ELi8ELi128ELNS_18Fp8KVCacheDataTypeE1ELb1EEEvPT_PKS3_PKT0_S9_ifPKiSB_iPKfiiiSD_SD_iiiii.has_indirect_call, 0
	.section	.AMDGPU.csdata,"",@progbits
; Kernel info:
; codeLenInByte = 16232
; TotalNumSgprs: 48
; NumVgprs: 52
; ScratchSize: 0
; MemoryBound: 0
; FloatMode: 240
; IeeeMode: 1
; LDSByteSize: 192 bytes/workgroup (compile time only)
; SGPRBlocks: 0
; VGPRBlocks: 3
; NumSGPRsForWavesPerEU: 48
; NumVGPRsForWavesPerEU: 52
; NamedBarCnt: 0
; Occupancy: 16
; WaveLimiterHint : 1
; COMPUTE_PGM_RSRC2:SCRATCH_EN: 0
; COMPUTE_PGM_RSRC2:USER_SGPR: 2
; COMPUTE_PGM_RSRC2:TRAP_HANDLER: 0
; COMPUTE_PGM_RSRC2:TGID_X_EN: 1
; COMPUTE_PGM_RSRC2:TGID_Y_EN: 1
; COMPUTE_PGM_RSRC2:TGID_Z_EN: 1
; COMPUTE_PGM_RSRC2:TIDIG_COMP_CNT: 0
	.section	.text._ZN4vllm25paged_attention_v1_kernelI14__hip_bfloat16hLi96ELi8ELi128ELNS_18Fp8KVCacheDataTypeE1ELb1EEEvPT_PKS3_PKT0_S9_ifPKiSB_iPKfiiiSD_SD_iiiii,"axG",@progbits,_ZN4vllm25paged_attention_v1_kernelI14__hip_bfloat16hLi96ELi8ELi128ELNS_18Fp8KVCacheDataTypeE1ELb1EEEvPT_PKS3_PKT0_S9_ifPKiSB_iPKfiiiSD_SD_iiiii,comdat
	.protected	_ZN4vllm25paged_attention_v1_kernelI14__hip_bfloat16hLi96ELi8ELi128ELNS_18Fp8KVCacheDataTypeE1ELb1EEEvPT_PKS3_PKT0_S9_ifPKiSB_iPKfiiiSD_SD_iiiii ; -- Begin function _ZN4vllm25paged_attention_v1_kernelI14__hip_bfloat16hLi96ELi8ELi128ELNS_18Fp8KVCacheDataTypeE1ELb1EEEvPT_PKS3_PKT0_S9_ifPKiSB_iPKfiiiSD_SD_iiiii
	.globl	_ZN4vllm25paged_attention_v1_kernelI14__hip_bfloat16hLi96ELi8ELi128ELNS_18Fp8KVCacheDataTypeE1ELb1EEEvPT_PKS3_PKT0_S9_ifPKiSB_iPKfiiiSD_SD_iiiii
	.p2align	8
	.type	_ZN4vllm25paged_attention_v1_kernelI14__hip_bfloat16hLi96ELi8ELi128ELNS_18Fp8KVCacheDataTypeE1ELb1EEEvPT_PKS3_PKT0_S9_ifPKiSB_iPKfiiiSD_SD_iiiii,@function
_ZN4vllm25paged_attention_v1_kernelI14__hip_bfloat16hLi96ELi8ELi128ELNS_18Fp8KVCacheDataTypeE1ELb1EEEvPT_PKS3_PKT0_S9_ifPKiSB_iPKfiiiSD_SD_iiiii: ; @_ZN4vllm25paged_attention_v1_kernelI14__hip_bfloat16hLi96ELi8ELi128ELNS_18Fp8KVCacheDataTypeE1ELb1EEEvPT_PKS3_PKT0_S9_ifPKiSB_iPKfiiiSD_SD_iiiii
; %bb.0:
	s_load_b64 s[26:27], s[0:1], 0x20
	s_bfe_u32 s3, ttmp6, 0x4000c
	s_bfe_u32 s4, ttmp6, 0x40010
	s_and_b32 s6, ttmp7, 0xffff
	s_add_co_i32 s3, s3, 1
	s_add_co_i32 s4, s4, 1
	s_and_b32 s2, ttmp6, 15
	s_bfe_u32 s5, ttmp6, 0x40004
	s_mul_i32 s3, ttmp9, s3
	s_mul_i32 s4, s6, s4
	s_getreg_b32 s30, hwreg(HW_REG_IB_STS2, 6, 4)
	s_add_co_i32 s2, s2, s3
	s_add_co_i32 s3, s5, s4
	s_cmp_eq_u32 s30, 0
	s_clause 0x1
	s_load_b32 s31, s[0:1], 0x80
	s_load_b64 s[4:5], s[0:1], 0x30
	s_cselect_b32 s33, s6, s3
	s_cselect_b32 s2, ttmp9, s2
	s_wait_kmcnt 0x0
	s_abs_i32 s3, s26
	s_delay_alu instid0(SALU_CYCLE_1) | instskip(SKIP_1) | instid1(SALU_CYCLE_2)
	s_cvt_f32_u32 s6, s3
	s_sub_co_i32 s7, 0, s3
	v_rcp_iflag_f32_e32 v1, s6
	s_abs_i32 s8, s31
	v_nop
	s_delay_alu instid0(TRANS32_DEP_1) | instskip(SKIP_1) | instid1(SALU_CYCLE_3)
	v_readfirstlane_b32 s6, v1
	s_mul_f32 s6, s6, 0x4f7ffffe
	s_cvt_u32_f32 s6, s6
	s_delay_alu instid0(SALU_CYCLE_3) | instskip(NEXT) | instid1(SALU_CYCLE_1)
	s_mul_i32 s7, s7, s6
	s_mul_hi_u32 s7, s6, s7
	s_delay_alu instid0(SALU_CYCLE_1) | instskip(SKIP_4) | instid1(SALU_CYCLE_1)
	s_add_co_i32 s6, s6, s7
	s_xor_b32 s7, s31, s26
	s_mul_hi_u32 s6, s8, s6
	s_ashr_i32 s7, s7, 31
	s_mul_i32 s9, s6, s3
	s_sub_co_i32 s8, s8, s9
	s_add_co_i32 s9, s6, 1
	s_sub_co_i32 s10, s8, s3
	s_cmp_ge_u32 s8, s3
	s_cselect_b32 s6, s9, s6
	s_cselect_b32 s8, s10, s8
	s_add_co_i32 s9, s6, 1
	s_cmp_ge_u32 s8, s3
	s_load_b64 s[10:11], s[0:1], 0x40
	s_cselect_b32 s3, s9, s6
	s_mov_b32 s9, 0
	s_xor_b32 s3, s3, s7
	s_abs_i32 s8, s2
	s_sub_co_i32 s12, s3, s7
	s_mov_b32 s7, s9
	s_abs_i32 s19, s12
	s_mov_b32 s36, s9
	s_cvt_f32_u32 s3, s19
	s_sub_co_i32 s6, 0, s19
	s_delay_alu instid0(SALU_CYCLE_2) | instskip(SKIP_1) | instid1(TRANS32_DEP_1)
	v_rcp_iflag_f32_e32 v1, s3
	v_nop
	v_readfirstlane_b32 s3, v1
	s_mul_f32 s3, s3, 0x4f7ffffe
	s_delay_alu instid0(SALU_CYCLE_3) | instskip(NEXT) | instid1(SALU_CYCLE_3)
	s_cvt_u32_f32 s3, s3
	s_mul_i32 s6, s6, s3
	s_delay_alu instid0(SALU_CYCLE_1) | instskip(NEXT) | instid1(SALU_CYCLE_1)
	s_mul_hi_u32 s6, s3, s6
	s_add_co_i32 s6, s3, s6
	s_wait_kmcnt 0x0
	s_cmp_eq_u64 s[10:11], 0
	s_cbranch_scc1 .LBB307_2
; %bb.1:
	s_ashr_i32 s3, s2, 31
	s_delay_alu instid0(SALU_CYCLE_1) | instskip(NEXT) | instid1(SALU_CYCLE_1)
	s_lshl_b64 s[14:15], s[2:3], 2
	s_add_nc_u64 s[10:11], s[10:11], s[14:15]
	s_load_b32 s36, s[10:11], 0x0
.LBB307_2:
	s_load_b32 s34, s[4:5], s33 offset:0x0 scale_offset
	s_load_b96 s[16:18], s[0:1], 0x48
	v_and_b32_e32 v2, 3, v0
	s_wait_xcnt 0x0
	s_mul_u64 s[4:5], s[8:9], s[6:7]
	s_ashr_i32 s3, s2, 31
	s_ashr_i32 s10, s12, 31
	s_mul_i32 s6, s2, 0x60
	s_mov_b32 s4, exec_lo
	v_cmpx_gt_u32_e32 48, v0
	s_cbranch_execz .LBB307_4
; %bb.3:
	s_load_b64 s[12:13], s[0:1], 0x8
	s_wait_kmcnt 0x0
	s_mul_i32 s14, s16, s33
	s_ashr_i32 s7, s6, 31
	s_ashr_i32 s15, s14, 31
	v_and_b32_e32 v3, 0x3fc, v0
	s_lshl_b64 s[14:15], s[14:15], 1
	s_delay_alu instid0(VALU_DEP_1) | instskip(SKIP_2) | instid1(SALU_CYCLE_1)
	v_mad_u32_u24 v3, v2, 48, v3
	s_add_nc_u64 s[12:13], s[12:13], s[14:15]
	s_lshl_b64 s[14:15], s[6:7], 1
	s_add_nc_u64 s[12:13], s[12:13], s[14:15]
	global_load_b32 v1, v0, s[12:13] scale_offset
	s_wait_loadcnt 0x0
	ds_store_b32 v3, v1
.LBB307_4:
	s_or_b32 exec_lo, exec_lo, s4
	s_load_b128 s[12:15], s[0:1], 0x68
	s_mul_i32 s4, s5, s19
	s_xor_b32 s3, s3, s10
	s_sub_co_i32 s4, s8, s4
	s_add_co_i32 s7, s5, 1
	s_sub_co_i32 s8, s4, s19
	s_cmp_ge_u32 s4, s19
	s_mov_b32 s9, -1
	s_cselect_b32 s5, s7, s5
	s_cselect_b32 s4, s8, s4
	s_add_co_i32 s8, s5, 1
	s_cmp_ge_u32 s4, s19
	s_load_b32 s7, s[0:1], 0x78
	s_cselect_b32 s4, s8, s5
	s_wait_kmcnt 0x0
	s_add_co_i32 s8, s34, -1
	s_xor_b32 s4, s4, s3
	s_wait_dscnt 0x0
	s_sub_co_i32 s3, s4, s3
	s_barrier_signal -1
	s_barrier_wait -1
	s_abs_i32 s16, s15
	s_delay_alu instid0(SALU_CYCLE_1) | instskip(NEXT) | instid1(SALU_CYCLE_3)
	s_cvt_f32_u32 s5, s16
                                        ; implicit-def: $sgpr35
	v_rcp_iflag_f32_e32 v1, s5
	v_nop
	s_delay_alu instid0(TRANS32_DEP_1) | instskip(SKIP_1) | instid1(SALU_CYCLE_3)
	v_readfirstlane_b32 s5, v1
	s_mul_f32 s4, s5, 0x4f7ffffe
	s_cvt_u32_f32 s10, s4
	s_sub_co_i32 s4, 0, s16
	s_delay_alu instid0(SALU_CYCLE_2)
	s_mul_i32 s5, s4, s10
	s_abs_i32 s4, s8
	s_mul_hi_u32 s11, s10, s5
	s_mov_b32 s5, 0
	s_add_co_i32 s20, s10, s11
	s_cmp_lt_i32 s7, 0
	s_mov_b32 s21, s5
	s_cbranch_scc0 .LBB307_6
; %bb.5:
	s_mul_i32 s9, s12, s26
	s_delay_alu instid0(SALU_CYCLE_1) | instskip(NEXT) | instid1(SALU_CYCLE_1)
	s_add_co_i32 s9, s3, s9
	s_mul_i32 s9, s9, s7
	s_delay_alu instid0(SALU_CYCLE_1)
	s_sub_co_i32 s35, 1, s9
	s_mov_b32 s9, s5
.LBB307_6:
	s_ashr_i32 s8, s8, 31
	s_ashr_i32 s15, s15, 31
	s_and_not1_b32 vcc_lo, exec_lo, s9
	s_mul_u64 s[28:29], s[4:5], s[20:21]
	s_cbranch_vccnz .LBB307_8
; %bb.7:
	s_mul_i32 s5, s31, s12
	s_delay_alu instid0(SALU_CYCLE_1) | instskip(NEXT) | instid1(SALU_CYCLE_1)
	s_add_co_i32 s2, s5, s2
	s_mul_i32 s2, s2, s7
	s_delay_alu instid0(SALU_CYCLE_1)
	s_add_co_i32 s35, s2, 1
.LBB307_8:
	s_clause 0x1
	s_load_b32 s2, s[0:1], 0x38
	s_load_b64 s[22:23], s[0:1], 0x28
	s_mul_i32 s7, s29, s16
	s_xor_b32 s5, s8, s15
	s_sub_co_i32 s4, s4, s7
	s_add_co_i32 s12, s29, 1
	s_clause 0x1
	s_load_b32 s7, s[0:1], 0x88
	s_load_b128 s[8:11], s[0:1], 0x58
	v_dual_lshrrev_b32 v1, 5, v0 :: v_dual_lshrrev_b32 v15, 3, v0
	v_mov_b32_e32 v29, 0xff7fffff
	v_mbcnt_lo_u32_b32 v27, -1, 0
	s_mul_i32 s18, s3, s18
	s_delay_alu instid0(VALU_DEP_3)
	v_lshlrev_b32_e32 v14, 3, v1
	s_wait_kmcnt 0x0
	s_mul_i32 s24, s2, s33
	s_sub_co_i32 s2, s4, s16
	s_ashr_i32 s25, s24, 31
	s_cmp_ge_u32 s4, s16
	s_cselect_b32 s12, s12, s29
	s_cselect_b32 s2, s2, s4
	s_add_co_i32 s4, s12, 1
	s_cmp_ge_u32 s2, s16
	s_cselect_b32 s2, s4, s12
	s_add_co_i32 s4, s34, 7
	s_delay_alu instid0(SALU_CYCLE_1) | instskip(NEXT) | instid1(SALU_CYCLE_1)
	s_ashr_i32 s12, s4, 31
	s_lshr_b32 s12, s12, 29
	s_delay_alu instid0(SALU_CYCLE_1) | instskip(NEXT) | instid1(SALU_CYCLE_1)
	s_add_co_i32 s4, s4, s12
	s_ashr_i32 s12, s4, 3
	s_xor_b32 s4, s2, s5
	v_cmp_gt_i32_e64 s2, s12, v1
	s_sub_co_i32 s26, s4, s5
	s_and_saveexec_b32 s37, s2
	s_cbranch_execz .LBB307_212
; %bb.9:
	s_load_b64 s[4:5], s[0:1], 0x10
	s_sub_co_i32 s38, s26, s13
	s_ashr_i32 s19, s18, 31
	s_cmp_neq_f32 s36, 0
	v_bfe_u32 v26, v0, 2, 3
	v_dual_mov_b32 v17, 0 :: v_dual_lshlrev_b32 v18, 3, v1
	s_cselect_b32 vcc_lo, -1, 0
	s_abs_i32 s39, s14
	s_delay_alu instid0(VALU_DEP_2)
	v_lshlrev_b32_e32 v16, 4, v26
	s_cvt_f32_u32 s28, s39
	s_lshl_b64 s[40:41], s[24:25], 2
	v_cmp_eq_u32_e64 s3, 0, v2
	v_mul_u32_u24_e32 v28, 48, v2
	v_rcp_iflag_f32_e32 v3, s28
	v_subrev_nc_u32_e32 v6, s34, v26
	v_dual_mov_b32 v32, 0xff7fffff :: v_dual_mov_b32 v33, v1
	s_mov_b32 s29, 0
	v_mov_b32_e32 v29, 0xff7fffff
	s_wait_kmcnt 0x0
	s_add_nc_u64 s[4:5], s[4:5], s[18:19]
	v_readfirstlane_b32 s28, v3
	v_lshlrev_b32_e32 v3, 2, v26
	v_add_nc_u64_e32 v[4:5], s[4:5], v[16:17]
	v_lshlrev_b32_e32 v16, 1, v2
	s_add_nc_u64 s[4:5], s[22:23], s[40:41]
	s_mul_f32 s19, s28, 0x4f7ffffe
	v_lshl_or_b32 v2, v1, 5, v3
	s_sub_co_i32 s28, 0, s39
	v_add_nc_u32_e32 v30, 1, v6
	v_add_nc_u64_e32 v[20:21], v[4:5], v[16:17]
	v_and_b32_e32 v16, 0x7c, v15
	s_cvt_u32_f32 s40, s19
	v_add_nc_u32_e32 v31, 0xe0, v2
	s_mov_b32 s19, s17
	s_delay_alu instid0(VALU_DEP_2) | instskip(SKIP_1) | instid1(SALU_CYCLE_1)
	v_add_nc_u64_e32 v[22:23], s[4:5], v[16:17]
	s_mul_i32 s28, s28, s40
	s_mul_hi_u32 s28, s40, s28
	s_delay_alu instid0(SALU_CYCLE_1)
	s_add_co_i32 s28, s40, s28
	s_mov_b32 s40, s29
	s_branch .LBB307_12
.LBB307_10:                             ;   in Loop: Header=BB307_12 Depth=1
	s_or_b32 exec_lo, exec_lo, s41
.LBB307_11:                             ;   in Loop: Header=BB307_12 Depth=1
	s_delay_alu instid0(SALU_CYCLE_1) | instskip(SKIP_3) | instid1(VALU_DEP_3)
	s_or_b32 exec_lo, exec_lo, s5
	v_dual_add_nc_u32 v33, 4, v33 :: v_dual_add_nc_u32 v18, 32, v18
	v_add_nc_u64_e32 v[22:23], 16, v[22:23]
	v_add_nc_u32_e32 v31, 0x80, v31
	v_cmp_le_i32_e64 s4, s12, v33
	s_or_b32 s40, s4, s40
	s_delay_alu instid0(SALU_CYCLE_1)
	s_and_not1_b32 exec_lo, exec_lo, s40
	s_cbranch_execz .LBB307_211
.LBB307_12:                             ; =>This Inner Loop Header: Depth=1
	v_mov_b32_e32 v19, v17
	s_wait_dscnt 0x0
	s_delay_alu instid0(VALU_DEP_1) | instskip(NEXT) | instid1(VALU_DEP_1)
	v_mul_u64_e32 v[2:3], s[20:21], v[18:19]
	v_mul_lo_u32 v2, v3, s16
	s_delay_alu instid0(VALU_DEP_1) | instskip(NEXT) | instid1(VALU_DEP_1)
	v_sub_nc_u32_e32 v2, v18, v2
	v_subrev_nc_u32_e32 v5, s16, v2
	v_cmp_le_u32_e64 s4, s16, v2
	s_delay_alu instid0(VALU_DEP_1) | instskip(NEXT) | instid1(VALU_DEP_1)
	v_dual_add_nc_u32 v4, 1, v3 :: v_dual_cndmask_b32 v2, v2, v5, s4
	v_cndmask_b32_e64 v3, v3, v4, s4
	s_delay_alu instid0(VALU_DEP_2) | instskip(NEXT) | instid1(VALU_DEP_2)
	v_cmp_le_u32_e64 s4, s16, v2
	v_add_nc_u32_e32 v4, 1, v3
	s_delay_alu instid0(VALU_DEP_1) | instskip(NEXT) | instid1(VALU_DEP_1)
	v_cndmask_b32_e64 v2, v3, v4, s4
	v_xor_b32_e32 v2, s15, v2
	s_delay_alu instid0(VALU_DEP_1) | instskip(NEXT) | instid1(VALU_DEP_1)
	v_subrev_nc_u32_e32 v4, s15, v2
	v_add_nc_u32_e32 v5, s35, v4
	v_cmp_ge_i32_e64 s5, s38, v4
	s_delay_alu instid0(VALU_DEP_2) | instskip(NEXT) | instid1(VALU_DEP_1)
	v_sub_nc_u32_e32 v2, 0, v5
	v_dual_ashrrev_i32 v5, 31, v5 :: v_dual_max_i32 v16, v5, v2
	s_delay_alu instid0(VALU_DEP_1) | instskip(NEXT) | instid1(VALU_DEP_1)
	v_mul_u64_e32 v[2:3], s[28:29], v[16:17]
	v_mul_lo_u32 v2, v3, s39
	s_delay_alu instid0(VALU_DEP_1) | instskip(NEXT) | instid1(VALU_DEP_1)
	v_sub_nc_u32_e32 v2, v16, v2
	v_subrev_nc_u32_e32 v3, s39, v2
	v_cmp_le_u32_e64 s4, s39, v2
	s_delay_alu instid0(VALU_DEP_1) | instskip(NEXT) | instid1(VALU_DEP_1)
	v_cndmask_b32_e64 v2, v2, v3, s4
	v_subrev_nc_u32_e32 v3, s39, v2
	v_cmp_le_u32_e64 s4, s39, v2
	s_delay_alu instid0(VALU_DEP_1) | instskip(NEXT) | instid1(VALU_DEP_1)
	v_cndmask_b32_e64 v2, v2, v3, s4
	v_xor_b32_e32 v2, v2, v5
	s_delay_alu instid0(VALU_DEP_1) | instskip(NEXT) | instid1(VALU_DEP_1)
	v_sub_nc_u32_e32 v2, v2, v5
	v_cmp_ne_u32_e64 s4, 0, v2
	s_and_b32 s4, s4, s5
	s_delay_alu instid0(SALU_CYCLE_1) | instskip(NEXT) | instid1(SALU_CYCLE_1)
	s_and_saveexec_b32 s5, s4
	s_xor_b32 s4, exec_lo, s5
	s_cbranch_execz .LBB307_16
; %bb.13:                               ;   in Loop: Header=BB307_12 Depth=1
	s_and_saveexec_b32 s5, s3
; %bb.14:                               ;   in Loop: Header=BB307_12 Depth=1
	ds_store_b32 v31, v32
; %bb.15:                               ;   in Loop: Header=BB307_12 Depth=1
	s_or_b32 exec_lo, exec_lo, s5
.LBB307_16:                             ;   in Loop: Header=BB307_12 Depth=1
	s_and_not1_saveexec_b32 s5, s4
	s_cbranch_execz .LBB307_11
; %bb.17:                               ;   in Loop: Header=BB307_12 Depth=1
	global_load_b32 v2, v[22:23], off
	v_mov_b32_e32 v19, 0
	s_wait_loadcnt 0x0
	v_mad_nc_i64_i32 v[24:25], v2, s19, v[20:21]
	global_load_u16 v16, v[24:25], off
	ds_load_b128 v[10:13], v28
	ds_load_b128 v[6:9], v28 offset:16
	ds_load_b128 v[2:5], v28 offset:32
	s_load_b32 s41, s[8:9], 0x0
	s_wait_loadcnt 0x0
	v_and_b32_e32 v34, 0xff, v16
	v_and_b32_e32 v35, 0xffff, v16
	s_delay_alu instid0(VALU_DEP_2)
	v_cmp_ne_u16_e64 s4, 0, v34
	v_mov_b32_e32 v34, 0
	s_and_saveexec_b32 s42, s4
	s_cbranch_execz .LBB307_25
; %bb.18:                               ;   in Loop: Header=BB307_12 Depth=1
	v_and_b32_e32 v16, 0xff, v35
	v_bfrev_b32_e32 v34, 1
	s_mov_b32 s43, exec_lo
	s_delay_alu instid0(VALU_DEP_2)
	v_cmpx_ne_u16_e32 0x80, v16
	s_cbranch_execz .LBB307_24
; %bb.19:                               ;   in Loop: Header=BB307_12 Depth=1
	v_and_b32_e32 v36, 0x7f, v35
	v_mov_b32_e32 v34, 0x7f800001
	s_mov_b32 s44, exec_lo
	s_delay_alu instid0(VALU_DEP_2)
	v_cmpx_ne_u32_e32 0x7f, v36
	s_cbranch_execz .LBB307_23
; %bb.20:                               ;   in Loop: Header=BB307_12 Depth=1
	v_dual_lshrrev_b32 v34, 3, v36 :: v_dual_bitop2_b32 v16, 7, v35 bitop3:0x40
	s_mov_b32 s45, exec_lo
	v_cmpx_gt_u32_e32 8, v36
; %bb.21:                               ;   in Loop: Header=BB307_12 Depth=1
	s_delay_alu instid0(VALU_DEP_2) | instskip(NEXT) | instid1(VALU_DEP_1)
	v_clz_i32_u32_e32 v34, v16
	v_min_u32_e32 v34, 32, v34
	s_delay_alu instid0(VALU_DEP_1) | instskip(NEXT) | instid1(VALU_DEP_1)
	v_subrev_nc_u32_e32 v36, 28, v34
	v_lshlrev_b64_e32 v[36:37], v36, v[16:17]
	s_delay_alu instid0(VALU_DEP_1)
	v_dual_sub_nc_u32 v34, 29, v34 :: v_dual_bitop2_b32 v16, 7, v36 bitop3:0x40
; %bb.22:                               ;   in Loop: Header=BB307_12 Depth=1
	s_or_b32 exec_lo, exec_lo, s45
	s_delay_alu instid0(VALU_DEP_1) | instskip(NEXT) | instid1(VALU_DEP_2)
	v_dual_lshlrev_b32 v36, 24, v35 :: v_dual_lshlrev_b32 v16, 20, v16
	v_lshl_add_u32 v34, v34, 23, 0x3c000000
	s_delay_alu instid0(VALU_DEP_2) | instskip(NEXT) | instid1(VALU_DEP_1)
	v_and_b32_e32 v36, 0x80000000, v36
	v_or3_b32 v34, v16, v36, v34
.LBB307_23:                             ;   in Loop: Header=BB307_12 Depth=1
	s_or_b32 exec_lo, exec_lo, s44
.LBB307_24:                             ;   in Loop: Header=BB307_12 Depth=1
	s_delay_alu instid0(SALU_CYCLE_1)
	s_or_b32 exec_lo, exec_lo, s43
.LBB307_25:                             ;   in Loop: Header=BB307_12 Depth=1
	s_delay_alu instid0(SALU_CYCLE_1) | instskip(SKIP_2) | instid1(VALU_DEP_1)
	s_or_b32 exec_lo, exec_lo, s42
	v_lshrrev_b16 v16, 8, v35
	s_mov_b32 s42, exec_lo
	v_cmpx_ne_u16_e32 0, v16
	s_cbranch_execz .LBB307_33
; %bb.26:                               ;   in Loop: Header=BB307_12 Depth=1
	v_bfrev_b32_e32 v19, 1
	s_mov_b32 s43, exec_lo
	v_cmpx_ne_u16_e32 0x80, v16
	s_cbranch_execz .LBB307_32
; %bb.27:                               ;   in Loop: Header=BB307_12 Depth=1
	v_and_b32_e32 v16, 0xffff, v16
	v_mov_b32_e32 v19, 0x7f800001
	s_mov_b32 s44, exec_lo
	s_delay_alu instid0(VALU_DEP_2) | instskip(NEXT) | instid1(VALU_DEP_1)
	v_and_b32_e32 v36, 0x7f, v16
	v_cmpx_ne_u32_e32 0x7f, v36
	s_cbranch_execz .LBB307_31
; %bb.28:                               ;   in Loop: Header=BB307_12 Depth=1
	v_and_b32_e32 v16, 7, v16
	v_lshrrev_b32_e32 v19, 3, v36
	s_mov_b32 s45, exec_lo
	v_cmpx_gt_u32_e32 8, v36
; %bb.29:                               ;   in Loop: Header=BB307_12 Depth=1
	s_delay_alu instid0(VALU_DEP_3) | instskip(NEXT) | instid1(VALU_DEP_1)
	v_clz_i32_u32_e32 v19, v16
	v_min_u32_e32 v19, 32, v19
	s_delay_alu instid0(VALU_DEP_1) | instskip(NEXT) | instid1(VALU_DEP_1)
	v_subrev_nc_u32_e32 v36, 28, v19
	v_lshlrev_b64_e32 v[36:37], v36, v[16:17]
	s_delay_alu instid0(VALU_DEP_1)
	v_dual_sub_nc_u32 v19, 29, v19 :: v_dual_bitop2_b32 v16, 7, v36 bitop3:0x40
; %bb.30:                               ;   in Loop: Header=BB307_12 Depth=1
	s_or_b32 exec_lo, exec_lo, s45
	s_delay_alu instid0(VALU_DEP_1) | instskip(NEXT) | instid1(VALU_DEP_2)
	v_dual_lshlrev_b32 v35, 16, v35 :: v_dual_lshlrev_b32 v16, 20, v16
	v_lshl_add_u32 v19, v19, 23, 0x3c000000
	s_delay_alu instid0(VALU_DEP_2) | instskip(NEXT) | instid1(VALU_DEP_1)
	v_and_b32_e32 v35, 0x80000000, v35
	v_or3_b32 v19, v16, v35, v19
.LBB307_31:                             ;   in Loop: Header=BB307_12 Depth=1
	s_or_b32 exec_lo, exec_lo, s44
.LBB307_32:                             ;   in Loop: Header=BB307_12 Depth=1
	s_delay_alu instid0(SALU_CYCLE_1)
	s_or_b32 exec_lo, exec_lo, s43
.LBB307_33:                             ;   in Loop: Header=BB307_12 Depth=1
	s_delay_alu instid0(SALU_CYCLE_1)
	s_or_b32 exec_lo, exec_lo, s42
	global_load_u16 v16, v[24:25], off offset:8
	v_mov_b32_e32 v35, 0
	s_wait_loadcnt 0x0
	v_and_b32_e32 v36, 0xff, v16
	v_and_b32_e32 v37, 0xffff, v16
	s_delay_alu instid0(VALU_DEP_2)
	v_cmp_ne_u16_e64 s4, 0, v36
	v_mov_b32_e32 v36, 0
	s_and_saveexec_b32 s42, s4
	s_cbranch_execz .LBB307_41
; %bb.34:                               ;   in Loop: Header=BB307_12 Depth=1
	v_and_b32_e32 v16, 0xff, v37
	v_bfrev_b32_e32 v36, 1
	s_mov_b32 s43, exec_lo
	s_delay_alu instid0(VALU_DEP_2)
	v_cmpx_ne_u16_e32 0x80, v16
	s_cbranch_execz .LBB307_40
; %bb.35:                               ;   in Loop: Header=BB307_12 Depth=1
	v_and_b32_e32 v38, 0x7f, v37
	v_mov_b32_e32 v36, 0x7f800001
	s_mov_b32 s44, exec_lo
	s_delay_alu instid0(VALU_DEP_2)
	v_cmpx_ne_u32_e32 0x7f, v38
	s_cbranch_execz .LBB307_39
; %bb.36:                               ;   in Loop: Header=BB307_12 Depth=1
	v_dual_lshrrev_b32 v36, 3, v38 :: v_dual_bitop2_b32 v16, 7, v37 bitop3:0x40
	s_mov_b32 s45, exec_lo
	v_cmpx_gt_u32_e32 8, v38
; %bb.37:                               ;   in Loop: Header=BB307_12 Depth=1
	s_delay_alu instid0(VALU_DEP_2) | instskip(NEXT) | instid1(VALU_DEP_1)
	v_clz_i32_u32_e32 v36, v16
	v_min_u32_e32 v36, 32, v36
	s_delay_alu instid0(VALU_DEP_1) | instskip(NEXT) | instid1(VALU_DEP_1)
	v_subrev_nc_u32_e32 v38, 28, v36
	v_lshlrev_b64_e32 v[38:39], v38, v[16:17]
	s_delay_alu instid0(VALU_DEP_1)
	v_dual_sub_nc_u32 v36, 29, v36 :: v_dual_bitop2_b32 v16, 7, v38 bitop3:0x40
; %bb.38:                               ;   in Loop: Header=BB307_12 Depth=1
	s_or_b32 exec_lo, exec_lo, s45
	s_delay_alu instid0(VALU_DEP_1) | instskip(NEXT) | instid1(VALU_DEP_2)
	v_dual_lshlrev_b32 v38, 24, v37 :: v_dual_lshlrev_b32 v16, 20, v16
	v_lshl_add_u32 v36, v36, 23, 0x3c000000
	s_delay_alu instid0(VALU_DEP_2) | instskip(NEXT) | instid1(VALU_DEP_1)
	v_and_b32_e32 v38, 0x80000000, v38
	v_or3_b32 v36, v16, v38, v36
.LBB307_39:                             ;   in Loop: Header=BB307_12 Depth=1
	s_or_b32 exec_lo, exec_lo, s44
.LBB307_40:                             ;   in Loop: Header=BB307_12 Depth=1
	s_delay_alu instid0(SALU_CYCLE_1)
	s_or_b32 exec_lo, exec_lo, s43
.LBB307_41:                             ;   in Loop: Header=BB307_12 Depth=1
	s_delay_alu instid0(SALU_CYCLE_1) | instskip(SKIP_2) | instid1(VALU_DEP_1)
	s_or_b32 exec_lo, exec_lo, s42
	v_lshrrev_b16 v16, 8, v37
	s_mov_b32 s42, exec_lo
	v_cmpx_ne_u16_e32 0, v16
	s_cbranch_execz .LBB307_49
; %bb.42:                               ;   in Loop: Header=BB307_12 Depth=1
	v_bfrev_b32_e32 v35, 1
	s_mov_b32 s43, exec_lo
	v_cmpx_ne_u16_e32 0x80, v16
	s_cbranch_execz .LBB307_48
; %bb.43:                               ;   in Loop: Header=BB307_12 Depth=1
	v_and_b32_e32 v16, 0xffff, v16
	v_mov_b32_e32 v35, 0x7f800001
	s_mov_b32 s44, exec_lo
	s_delay_alu instid0(VALU_DEP_2) | instskip(NEXT) | instid1(VALU_DEP_1)
	v_and_b32_e32 v38, 0x7f, v16
	v_cmpx_ne_u32_e32 0x7f, v38
	s_cbranch_execz .LBB307_47
; %bb.44:                               ;   in Loop: Header=BB307_12 Depth=1
	v_dual_lshrrev_b32 v35, 3, v38 :: v_dual_bitop2_b32 v16, 7, v16 bitop3:0x40
	s_mov_b32 s45, exec_lo
	v_cmpx_gt_u32_e32 8, v38
; %bb.45:                               ;   in Loop: Header=BB307_12 Depth=1
	s_delay_alu instid0(VALU_DEP_2) | instskip(NEXT) | instid1(VALU_DEP_1)
	v_clz_i32_u32_e32 v35, v16
	v_min_u32_e32 v35, 32, v35
	s_delay_alu instid0(VALU_DEP_1) | instskip(NEXT) | instid1(VALU_DEP_1)
	v_subrev_nc_u32_e32 v38, 28, v35
	v_lshlrev_b64_e32 v[38:39], v38, v[16:17]
	s_delay_alu instid0(VALU_DEP_1)
	v_dual_sub_nc_u32 v35, 29, v35 :: v_dual_bitop2_b32 v16, 7, v38 bitop3:0x40
; %bb.46:                               ;   in Loop: Header=BB307_12 Depth=1
	s_or_b32 exec_lo, exec_lo, s45
	s_delay_alu instid0(VALU_DEP_1) | instskip(NEXT) | instid1(VALU_DEP_2)
	v_dual_lshlrev_b32 v37, 16, v37 :: v_dual_lshlrev_b32 v16, 20, v16
	v_lshl_add_u32 v35, v35, 23, 0x3c000000
	s_delay_alu instid0(VALU_DEP_2) | instskip(NEXT) | instid1(VALU_DEP_1)
	v_and_b32_e32 v37, 0x80000000, v37
	v_or3_b32 v35, v16, v37, v35
.LBB307_47:                             ;   in Loop: Header=BB307_12 Depth=1
	s_or_b32 exec_lo, exec_lo, s44
.LBB307_48:                             ;   in Loop: Header=BB307_12 Depth=1
	s_delay_alu instid0(SALU_CYCLE_1)
	s_or_b32 exec_lo, exec_lo, s43
.LBB307_49:                             ;   in Loop: Header=BB307_12 Depth=1
	s_delay_alu instid0(SALU_CYCLE_1)
	s_or_b32 exec_lo, exec_lo, s42
	global_load_u16 v16, v[24:25], off offset:128
	v_mov_b32_e32 v37, 0
	s_wait_loadcnt 0x0
	v_and_b32_e32 v38, 0xff, v16
	v_and_b32_e32 v39, 0xffff, v16
	s_delay_alu instid0(VALU_DEP_2)
	v_cmp_ne_u16_e64 s4, 0, v38
	v_mov_b32_e32 v38, 0
	s_and_saveexec_b32 s42, s4
	s_cbranch_execz .LBB307_57
; %bb.50:                               ;   in Loop: Header=BB307_12 Depth=1
	v_and_b32_e32 v16, 0xff, v39
	v_bfrev_b32_e32 v38, 1
	s_mov_b32 s43, exec_lo
	s_delay_alu instid0(VALU_DEP_2)
	v_cmpx_ne_u16_e32 0x80, v16
	s_cbranch_execz .LBB307_56
; %bb.51:                               ;   in Loop: Header=BB307_12 Depth=1
	v_and_b32_e32 v40, 0x7f, v39
	v_mov_b32_e32 v38, 0x7f800001
	s_mov_b32 s44, exec_lo
	s_delay_alu instid0(VALU_DEP_2)
	v_cmpx_ne_u32_e32 0x7f, v40
	s_cbranch_execz .LBB307_55
; %bb.52:                               ;   in Loop: Header=BB307_12 Depth=1
	v_dual_lshrrev_b32 v38, 3, v40 :: v_dual_bitop2_b32 v16, 7, v39 bitop3:0x40
	s_mov_b32 s45, exec_lo
	v_cmpx_gt_u32_e32 8, v40
; %bb.53:                               ;   in Loop: Header=BB307_12 Depth=1
	s_delay_alu instid0(VALU_DEP_2) | instskip(NEXT) | instid1(VALU_DEP_1)
	v_clz_i32_u32_e32 v38, v16
	v_min_u32_e32 v38, 32, v38
	s_delay_alu instid0(VALU_DEP_1) | instskip(NEXT) | instid1(VALU_DEP_1)
	v_subrev_nc_u32_e32 v40, 28, v38
	v_lshlrev_b64_e32 v[40:41], v40, v[16:17]
	s_delay_alu instid0(VALU_DEP_1)
	v_dual_sub_nc_u32 v38, 29, v38 :: v_dual_bitop2_b32 v16, 7, v40 bitop3:0x40
; %bb.54:                               ;   in Loop: Header=BB307_12 Depth=1
	s_or_b32 exec_lo, exec_lo, s45
	s_delay_alu instid0(VALU_DEP_1) | instskip(NEXT) | instid1(VALU_DEP_2)
	v_dual_lshlrev_b32 v40, 24, v39 :: v_dual_lshlrev_b32 v16, 20, v16
	v_lshl_add_u32 v38, v38, 23, 0x3c000000
	s_delay_alu instid0(VALU_DEP_2) | instskip(NEXT) | instid1(VALU_DEP_1)
	v_and_b32_e32 v40, 0x80000000, v40
	v_or3_b32 v38, v16, v40, v38
.LBB307_55:                             ;   in Loop: Header=BB307_12 Depth=1
	s_or_b32 exec_lo, exec_lo, s44
.LBB307_56:                             ;   in Loop: Header=BB307_12 Depth=1
	s_delay_alu instid0(SALU_CYCLE_1)
	s_or_b32 exec_lo, exec_lo, s43
.LBB307_57:                             ;   in Loop: Header=BB307_12 Depth=1
	s_delay_alu instid0(SALU_CYCLE_1) | instskip(SKIP_2) | instid1(VALU_DEP_1)
	s_or_b32 exec_lo, exec_lo, s42
	v_lshrrev_b16 v16, 8, v39
	s_mov_b32 s42, exec_lo
	v_cmpx_ne_u16_e32 0, v16
	s_cbranch_execz .LBB307_65
; %bb.58:                               ;   in Loop: Header=BB307_12 Depth=1
	v_bfrev_b32_e32 v37, 1
	s_mov_b32 s43, exec_lo
	v_cmpx_ne_u16_e32 0x80, v16
	s_cbranch_execz .LBB307_64
; %bb.59:                               ;   in Loop: Header=BB307_12 Depth=1
	v_and_b32_e32 v16, 0xffff, v16
	v_mov_b32_e32 v37, 0x7f800001
	s_mov_b32 s44, exec_lo
	s_delay_alu instid0(VALU_DEP_2) | instskip(NEXT) | instid1(VALU_DEP_1)
	v_and_b32_e32 v40, 0x7f, v16
	v_cmpx_ne_u32_e32 0x7f, v40
	s_cbranch_execz .LBB307_63
; %bb.60:                               ;   in Loop: Header=BB307_12 Depth=1
	v_and_b32_e32 v16, 7, v16
	v_lshrrev_b32_e32 v37, 3, v40
	s_mov_b32 s45, exec_lo
	v_cmpx_gt_u32_e32 8, v40
; %bb.61:                               ;   in Loop: Header=BB307_12 Depth=1
	s_delay_alu instid0(VALU_DEP_3) | instskip(NEXT) | instid1(VALU_DEP_1)
	v_clz_i32_u32_e32 v37, v16
	v_min_u32_e32 v37, 32, v37
	s_delay_alu instid0(VALU_DEP_1) | instskip(NEXT) | instid1(VALU_DEP_1)
	v_subrev_nc_u32_e32 v40, 28, v37
	v_lshlrev_b64_e32 v[40:41], v40, v[16:17]
	s_delay_alu instid0(VALU_DEP_1)
	v_dual_sub_nc_u32 v37, 29, v37 :: v_dual_bitop2_b32 v16, 7, v40 bitop3:0x40
; %bb.62:                               ;   in Loop: Header=BB307_12 Depth=1
	s_or_b32 exec_lo, exec_lo, s45
	s_delay_alu instid0(VALU_DEP_1) | instskip(NEXT) | instid1(VALU_DEP_2)
	v_dual_lshlrev_b32 v39, 16, v39 :: v_dual_lshlrev_b32 v16, 20, v16
	v_lshl_add_u32 v37, v37, 23, 0x3c000000
	s_delay_alu instid0(VALU_DEP_2) | instskip(NEXT) | instid1(VALU_DEP_1)
	v_and_b32_e32 v39, 0x80000000, v39
	v_or3_b32 v37, v16, v39, v37
.LBB307_63:                             ;   in Loop: Header=BB307_12 Depth=1
	s_or_b32 exec_lo, exec_lo, s44
.LBB307_64:                             ;   in Loop: Header=BB307_12 Depth=1
	s_delay_alu instid0(SALU_CYCLE_1)
	s_or_b32 exec_lo, exec_lo, s43
.LBB307_65:                             ;   in Loop: Header=BB307_12 Depth=1
	s_delay_alu instid0(SALU_CYCLE_1)
	s_or_b32 exec_lo, exec_lo, s42
	global_load_u16 v16, v[24:25], off offset:136
	v_mov_b32_e32 v39, 0
	s_wait_loadcnt 0x0
	v_and_b32_e32 v40, 0xff, v16
	v_and_b32_e32 v41, 0xffff, v16
	s_delay_alu instid0(VALU_DEP_2)
	v_cmp_ne_u16_e64 s4, 0, v40
	v_mov_b32_e32 v40, 0
	s_and_saveexec_b32 s42, s4
	s_cbranch_execz .LBB307_73
; %bb.66:                               ;   in Loop: Header=BB307_12 Depth=1
	v_and_b32_e32 v16, 0xff, v41
	v_bfrev_b32_e32 v40, 1
	s_mov_b32 s43, exec_lo
	s_delay_alu instid0(VALU_DEP_2)
	v_cmpx_ne_u16_e32 0x80, v16
	s_cbranch_execz .LBB307_72
; %bb.67:                               ;   in Loop: Header=BB307_12 Depth=1
	v_and_b32_e32 v42, 0x7f, v41
	v_mov_b32_e32 v40, 0x7f800001
	s_mov_b32 s44, exec_lo
	s_delay_alu instid0(VALU_DEP_2)
	v_cmpx_ne_u32_e32 0x7f, v42
	s_cbranch_execz .LBB307_71
; %bb.68:                               ;   in Loop: Header=BB307_12 Depth=1
	v_dual_lshrrev_b32 v40, 3, v42 :: v_dual_bitop2_b32 v16, 7, v41 bitop3:0x40
	s_mov_b32 s45, exec_lo
	v_cmpx_gt_u32_e32 8, v42
; %bb.69:                               ;   in Loop: Header=BB307_12 Depth=1
	s_delay_alu instid0(VALU_DEP_2) | instskip(NEXT) | instid1(VALU_DEP_1)
	v_clz_i32_u32_e32 v40, v16
	v_min_u32_e32 v40, 32, v40
	s_delay_alu instid0(VALU_DEP_1) | instskip(NEXT) | instid1(VALU_DEP_1)
	v_subrev_nc_u32_e32 v42, 28, v40
	v_lshlrev_b64_e32 v[42:43], v42, v[16:17]
	s_delay_alu instid0(VALU_DEP_1)
	v_dual_sub_nc_u32 v40, 29, v40 :: v_dual_bitop2_b32 v16, 7, v42 bitop3:0x40
; %bb.70:                               ;   in Loop: Header=BB307_12 Depth=1
	s_or_b32 exec_lo, exec_lo, s45
	s_delay_alu instid0(VALU_DEP_1) | instskip(NEXT) | instid1(VALU_DEP_2)
	v_dual_lshlrev_b32 v42, 24, v41 :: v_dual_lshlrev_b32 v16, 20, v16
	v_lshl_add_u32 v40, v40, 23, 0x3c000000
	s_delay_alu instid0(VALU_DEP_2) | instskip(NEXT) | instid1(VALU_DEP_1)
	v_and_b32_e32 v42, 0x80000000, v42
	v_or3_b32 v40, v16, v42, v40
.LBB307_71:                             ;   in Loop: Header=BB307_12 Depth=1
	s_or_b32 exec_lo, exec_lo, s44
.LBB307_72:                             ;   in Loop: Header=BB307_12 Depth=1
	s_delay_alu instid0(SALU_CYCLE_1)
	s_or_b32 exec_lo, exec_lo, s43
.LBB307_73:                             ;   in Loop: Header=BB307_12 Depth=1
	s_delay_alu instid0(SALU_CYCLE_1) | instskip(SKIP_2) | instid1(VALU_DEP_1)
	s_or_b32 exec_lo, exec_lo, s42
	v_lshrrev_b16 v16, 8, v41
	s_mov_b32 s42, exec_lo
	v_cmpx_ne_u16_e32 0, v16
	s_cbranch_execz .LBB307_81
; %bb.74:                               ;   in Loop: Header=BB307_12 Depth=1
	v_bfrev_b32_e32 v39, 1
	s_mov_b32 s43, exec_lo
	v_cmpx_ne_u16_e32 0x80, v16
	s_cbranch_execz .LBB307_80
; %bb.75:                               ;   in Loop: Header=BB307_12 Depth=1
	v_and_b32_e32 v16, 0xffff, v16
	v_mov_b32_e32 v39, 0x7f800001
	s_mov_b32 s44, exec_lo
	s_delay_alu instid0(VALU_DEP_2) | instskip(NEXT) | instid1(VALU_DEP_1)
	v_and_b32_e32 v42, 0x7f, v16
	v_cmpx_ne_u32_e32 0x7f, v42
	s_cbranch_execz .LBB307_79
; %bb.76:                               ;   in Loop: Header=BB307_12 Depth=1
	v_dual_lshrrev_b32 v39, 3, v42 :: v_dual_bitop2_b32 v16, 7, v16 bitop3:0x40
	s_mov_b32 s45, exec_lo
	v_cmpx_gt_u32_e32 8, v42
; %bb.77:                               ;   in Loop: Header=BB307_12 Depth=1
	s_delay_alu instid0(VALU_DEP_2) | instskip(NEXT) | instid1(VALU_DEP_1)
	v_clz_i32_u32_e32 v39, v16
	v_min_u32_e32 v39, 32, v39
	s_delay_alu instid0(VALU_DEP_1) | instskip(NEXT) | instid1(VALU_DEP_1)
	v_subrev_nc_u32_e32 v42, 28, v39
	v_lshlrev_b64_e32 v[42:43], v42, v[16:17]
	s_delay_alu instid0(VALU_DEP_1)
	v_dual_sub_nc_u32 v39, 29, v39 :: v_dual_bitop2_b32 v16, 7, v42 bitop3:0x40
; %bb.78:                               ;   in Loop: Header=BB307_12 Depth=1
	s_or_b32 exec_lo, exec_lo, s45
	s_delay_alu instid0(VALU_DEP_1) | instskip(NEXT) | instid1(VALU_DEP_2)
	v_dual_lshlrev_b32 v41, 16, v41 :: v_dual_lshlrev_b32 v16, 20, v16
	v_lshl_add_u32 v39, v39, 23, 0x3c000000
	s_delay_alu instid0(VALU_DEP_2) | instskip(NEXT) | instid1(VALU_DEP_1)
	v_and_b32_e32 v41, 0x80000000, v41
	v_or3_b32 v39, v16, v41, v39
.LBB307_79:                             ;   in Loop: Header=BB307_12 Depth=1
	s_or_b32 exec_lo, exec_lo, s44
.LBB307_80:                             ;   in Loop: Header=BB307_12 Depth=1
	s_delay_alu instid0(SALU_CYCLE_1)
	s_or_b32 exec_lo, exec_lo, s43
.LBB307_81:                             ;   in Loop: Header=BB307_12 Depth=1
	s_delay_alu instid0(SALU_CYCLE_1)
	s_or_b32 exec_lo, exec_lo, s42
	global_load_u16 v16, v[24:25], off offset:256
	v_mov_b32_e32 v41, 0
	s_wait_loadcnt 0x0
	v_and_b32_e32 v42, 0xff, v16
	v_and_b32_e32 v43, 0xffff, v16
	s_delay_alu instid0(VALU_DEP_2)
	v_cmp_ne_u16_e64 s4, 0, v42
	v_mov_b32_e32 v42, 0
	s_and_saveexec_b32 s42, s4
	s_cbranch_execz .LBB307_89
; %bb.82:                               ;   in Loop: Header=BB307_12 Depth=1
	v_and_b32_e32 v16, 0xff, v43
	v_bfrev_b32_e32 v42, 1
	s_mov_b32 s43, exec_lo
	s_delay_alu instid0(VALU_DEP_2)
	v_cmpx_ne_u16_e32 0x80, v16
	s_cbranch_execz .LBB307_88
; %bb.83:                               ;   in Loop: Header=BB307_12 Depth=1
	v_and_b32_e32 v44, 0x7f, v43
	v_mov_b32_e32 v42, 0x7f800001
	s_mov_b32 s44, exec_lo
	s_delay_alu instid0(VALU_DEP_2)
	v_cmpx_ne_u32_e32 0x7f, v44
	s_cbranch_execz .LBB307_87
; %bb.84:                               ;   in Loop: Header=BB307_12 Depth=1
	v_dual_lshrrev_b32 v42, 3, v44 :: v_dual_bitop2_b32 v16, 7, v43 bitop3:0x40
	s_mov_b32 s45, exec_lo
	v_cmpx_gt_u32_e32 8, v44
; %bb.85:                               ;   in Loop: Header=BB307_12 Depth=1
	s_delay_alu instid0(VALU_DEP_2) | instskip(NEXT) | instid1(VALU_DEP_1)
	v_clz_i32_u32_e32 v42, v16
	v_min_u32_e32 v42, 32, v42
	s_delay_alu instid0(VALU_DEP_1) | instskip(NEXT) | instid1(VALU_DEP_1)
	v_subrev_nc_u32_e32 v44, 28, v42
	v_lshlrev_b64_e32 v[44:45], v44, v[16:17]
	s_delay_alu instid0(VALU_DEP_1)
	v_dual_sub_nc_u32 v42, 29, v42 :: v_dual_bitop2_b32 v16, 7, v44 bitop3:0x40
; %bb.86:                               ;   in Loop: Header=BB307_12 Depth=1
	s_or_b32 exec_lo, exec_lo, s45
	s_delay_alu instid0(VALU_DEP_1) | instskip(NEXT) | instid1(VALU_DEP_2)
	v_dual_lshlrev_b32 v44, 24, v43 :: v_dual_lshlrev_b32 v16, 20, v16
	v_lshl_add_u32 v42, v42, 23, 0x3c000000
	s_delay_alu instid0(VALU_DEP_2) | instskip(NEXT) | instid1(VALU_DEP_1)
	v_and_b32_e32 v44, 0x80000000, v44
	v_or3_b32 v42, v16, v44, v42
.LBB307_87:                             ;   in Loop: Header=BB307_12 Depth=1
	s_or_b32 exec_lo, exec_lo, s44
.LBB307_88:                             ;   in Loop: Header=BB307_12 Depth=1
	s_delay_alu instid0(SALU_CYCLE_1)
	s_or_b32 exec_lo, exec_lo, s43
.LBB307_89:                             ;   in Loop: Header=BB307_12 Depth=1
	s_delay_alu instid0(SALU_CYCLE_1) | instskip(SKIP_2) | instid1(VALU_DEP_1)
	s_or_b32 exec_lo, exec_lo, s42
	v_lshrrev_b16 v16, 8, v43
	s_mov_b32 s42, exec_lo
	v_cmpx_ne_u16_e32 0, v16
	s_cbranch_execz .LBB307_97
; %bb.90:                               ;   in Loop: Header=BB307_12 Depth=1
	v_bfrev_b32_e32 v41, 1
	s_mov_b32 s43, exec_lo
	v_cmpx_ne_u16_e32 0x80, v16
	s_cbranch_execz .LBB307_96
; %bb.91:                               ;   in Loop: Header=BB307_12 Depth=1
	v_and_b32_e32 v16, 0xffff, v16
	v_mov_b32_e32 v41, 0x7f800001
	s_mov_b32 s44, exec_lo
	s_delay_alu instid0(VALU_DEP_2) | instskip(NEXT) | instid1(VALU_DEP_1)
	v_and_b32_e32 v44, 0x7f, v16
	v_cmpx_ne_u32_e32 0x7f, v44
	s_cbranch_execz .LBB307_95
; %bb.92:                               ;   in Loop: Header=BB307_12 Depth=1
	v_and_b32_e32 v16, 7, v16
	v_lshrrev_b32_e32 v41, 3, v44
	s_mov_b32 s45, exec_lo
	v_cmpx_gt_u32_e32 8, v44
; %bb.93:                               ;   in Loop: Header=BB307_12 Depth=1
	s_delay_alu instid0(VALU_DEP_3) | instskip(NEXT) | instid1(VALU_DEP_1)
	v_clz_i32_u32_e32 v41, v16
	v_min_u32_e32 v41, 32, v41
	s_delay_alu instid0(VALU_DEP_1) | instskip(NEXT) | instid1(VALU_DEP_1)
	v_subrev_nc_u32_e32 v44, 28, v41
	v_lshlrev_b64_e32 v[44:45], v44, v[16:17]
	s_delay_alu instid0(VALU_DEP_1)
	v_dual_sub_nc_u32 v41, 29, v41 :: v_dual_bitop2_b32 v16, 7, v44 bitop3:0x40
; %bb.94:                               ;   in Loop: Header=BB307_12 Depth=1
	s_or_b32 exec_lo, exec_lo, s45
	s_delay_alu instid0(VALU_DEP_1) | instskip(NEXT) | instid1(VALU_DEP_2)
	v_dual_lshlrev_b32 v43, 16, v43 :: v_dual_lshlrev_b32 v16, 20, v16
	v_lshl_add_u32 v41, v41, 23, 0x3c000000
	s_delay_alu instid0(VALU_DEP_2) | instskip(NEXT) | instid1(VALU_DEP_1)
	v_and_b32_e32 v43, 0x80000000, v43
	v_or3_b32 v41, v16, v43, v41
.LBB307_95:                             ;   in Loop: Header=BB307_12 Depth=1
	s_or_b32 exec_lo, exec_lo, s44
.LBB307_96:                             ;   in Loop: Header=BB307_12 Depth=1
	s_delay_alu instid0(SALU_CYCLE_1)
	s_or_b32 exec_lo, exec_lo, s43
.LBB307_97:                             ;   in Loop: Header=BB307_12 Depth=1
	s_delay_alu instid0(SALU_CYCLE_1)
	s_or_b32 exec_lo, exec_lo, s42
	global_load_u16 v16, v[24:25], off offset:264
	v_mov_b32_e32 v43, 0
	s_wait_loadcnt 0x0
	v_and_b32_e32 v44, 0xff, v16
	v_and_b32_e32 v45, 0xffff, v16
	s_delay_alu instid0(VALU_DEP_2)
	v_cmp_ne_u16_e64 s4, 0, v44
	v_mov_b32_e32 v44, 0
	s_and_saveexec_b32 s42, s4
	s_cbranch_execz .LBB307_105
; %bb.98:                               ;   in Loop: Header=BB307_12 Depth=1
	v_and_b32_e32 v16, 0xff, v45
	v_bfrev_b32_e32 v44, 1
	s_mov_b32 s43, exec_lo
	s_delay_alu instid0(VALU_DEP_2)
	v_cmpx_ne_u16_e32 0x80, v16
	s_cbranch_execz .LBB307_104
; %bb.99:                               ;   in Loop: Header=BB307_12 Depth=1
	v_and_b32_e32 v46, 0x7f, v45
	v_mov_b32_e32 v44, 0x7f800001
	s_mov_b32 s44, exec_lo
	s_delay_alu instid0(VALU_DEP_2)
	v_cmpx_ne_u32_e32 0x7f, v46
	s_cbranch_execz .LBB307_103
; %bb.100:                              ;   in Loop: Header=BB307_12 Depth=1
	v_dual_lshrrev_b32 v44, 3, v46 :: v_dual_bitop2_b32 v16, 7, v45 bitop3:0x40
	s_mov_b32 s45, exec_lo
	v_cmpx_gt_u32_e32 8, v46
; %bb.101:                              ;   in Loop: Header=BB307_12 Depth=1
	s_delay_alu instid0(VALU_DEP_2) | instskip(NEXT) | instid1(VALU_DEP_1)
	v_clz_i32_u32_e32 v44, v16
	v_min_u32_e32 v44, 32, v44
	s_delay_alu instid0(VALU_DEP_1) | instskip(NEXT) | instid1(VALU_DEP_1)
	v_subrev_nc_u32_e32 v46, 28, v44
	v_lshlrev_b64_e32 v[46:47], v46, v[16:17]
	s_delay_alu instid0(VALU_DEP_1)
	v_dual_sub_nc_u32 v44, 29, v44 :: v_dual_bitop2_b32 v16, 7, v46 bitop3:0x40
; %bb.102:                              ;   in Loop: Header=BB307_12 Depth=1
	s_or_b32 exec_lo, exec_lo, s45
	s_delay_alu instid0(VALU_DEP_1) | instskip(NEXT) | instid1(VALU_DEP_2)
	v_dual_lshlrev_b32 v46, 24, v45 :: v_dual_lshlrev_b32 v16, 20, v16
	v_lshl_add_u32 v44, v44, 23, 0x3c000000
	s_delay_alu instid0(VALU_DEP_2) | instskip(NEXT) | instid1(VALU_DEP_1)
	v_and_b32_e32 v46, 0x80000000, v46
	v_or3_b32 v44, v16, v46, v44
.LBB307_103:                            ;   in Loop: Header=BB307_12 Depth=1
	s_or_b32 exec_lo, exec_lo, s44
.LBB307_104:                            ;   in Loop: Header=BB307_12 Depth=1
	s_delay_alu instid0(SALU_CYCLE_1)
	s_or_b32 exec_lo, exec_lo, s43
.LBB307_105:                            ;   in Loop: Header=BB307_12 Depth=1
	s_delay_alu instid0(SALU_CYCLE_1) | instskip(SKIP_2) | instid1(VALU_DEP_1)
	s_or_b32 exec_lo, exec_lo, s42
	v_lshrrev_b16 v16, 8, v45
	s_mov_b32 s42, exec_lo
	v_cmpx_ne_u16_e32 0, v16
	s_cbranch_execz .LBB307_113
; %bb.106:                              ;   in Loop: Header=BB307_12 Depth=1
	v_bfrev_b32_e32 v43, 1
	s_mov_b32 s43, exec_lo
	v_cmpx_ne_u16_e32 0x80, v16
	s_cbranch_execz .LBB307_112
; %bb.107:                              ;   in Loop: Header=BB307_12 Depth=1
	v_and_b32_e32 v16, 0xffff, v16
	v_mov_b32_e32 v43, 0x7f800001
	s_mov_b32 s44, exec_lo
	s_delay_alu instid0(VALU_DEP_2) | instskip(NEXT) | instid1(VALU_DEP_1)
	v_and_b32_e32 v46, 0x7f, v16
	v_cmpx_ne_u32_e32 0x7f, v46
	s_cbranch_execz .LBB307_111
; %bb.108:                              ;   in Loop: Header=BB307_12 Depth=1
	v_dual_lshrrev_b32 v43, 3, v46 :: v_dual_bitop2_b32 v16, 7, v16 bitop3:0x40
	s_mov_b32 s45, exec_lo
	v_cmpx_gt_u32_e32 8, v46
; %bb.109:                              ;   in Loop: Header=BB307_12 Depth=1
	s_delay_alu instid0(VALU_DEP_2) | instskip(NEXT) | instid1(VALU_DEP_1)
	v_clz_i32_u32_e32 v43, v16
	v_min_u32_e32 v43, 32, v43
	s_delay_alu instid0(VALU_DEP_1) | instskip(NEXT) | instid1(VALU_DEP_1)
	v_subrev_nc_u32_e32 v46, 28, v43
	v_lshlrev_b64_e32 v[46:47], v46, v[16:17]
	s_delay_alu instid0(VALU_DEP_1)
	v_dual_sub_nc_u32 v43, 29, v43 :: v_dual_bitop2_b32 v16, 7, v46 bitop3:0x40
; %bb.110:                              ;   in Loop: Header=BB307_12 Depth=1
	s_or_b32 exec_lo, exec_lo, s45
	s_delay_alu instid0(VALU_DEP_1) | instskip(NEXT) | instid1(VALU_DEP_2)
	v_dual_lshlrev_b32 v45, 16, v45 :: v_dual_lshlrev_b32 v16, 20, v16
	v_lshl_add_u32 v43, v43, 23, 0x3c000000
	s_delay_alu instid0(VALU_DEP_2) | instskip(NEXT) | instid1(VALU_DEP_1)
	v_and_b32_e32 v45, 0x80000000, v45
	v_or3_b32 v43, v16, v45, v43
.LBB307_111:                            ;   in Loop: Header=BB307_12 Depth=1
	s_or_b32 exec_lo, exec_lo, s44
.LBB307_112:                            ;   in Loop: Header=BB307_12 Depth=1
	s_delay_alu instid0(SALU_CYCLE_1)
	s_or_b32 exec_lo, exec_lo, s43
.LBB307_113:                            ;   in Loop: Header=BB307_12 Depth=1
	s_delay_alu instid0(SALU_CYCLE_1)
	s_or_b32 exec_lo, exec_lo, s42
	global_load_u16 v16, v[24:25], off offset:384
	v_mov_b32_e32 v45, 0
	s_wait_loadcnt 0x0
	v_and_b32_e32 v46, 0xff, v16
	v_and_b32_e32 v47, 0xffff, v16
	s_delay_alu instid0(VALU_DEP_2)
	v_cmp_ne_u16_e64 s4, 0, v46
	v_mov_b32_e32 v46, 0
	s_and_saveexec_b32 s42, s4
	s_cbranch_execz .LBB307_121
; %bb.114:                              ;   in Loop: Header=BB307_12 Depth=1
	v_and_b32_e32 v16, 0xff, v47
	v_bfrev_b32_e32 v46, 1
	s_mov_b32 s43, exec_lo
	s_delay_alu instid0(VALU_DEP_2)
	v_cmpx_ne_u16_e32 0x80, v16
	s_cbranch_execz .LBB307_120
; %bb.115:                              ;   in Loop: Header=BB307_12 Depth=1
	v_and_b32_e32 v48, 0x7f, v47
	v_mov_b32_e32 v46, 0x7f800001
	s_mov_b32 s44, exec_lo
	s_delay_alu instid0(VALU_DEP_2)
	v_cmpx_ne_u32_e32 0x7f, v48
	s_cbranch_execz .LBB307_119
; %bb.116:                              ;   in Loop: Header=BB307_12 Depth=1
	v_dual_lshrrev_b32 v46, 3, v48 :: v_dual_bitop2_b32 v16, 7, v47 bitop3:0x40
	s_mov_b32 s45, exec_lo
	v_cmpx_gt_u32_e32 8, v48
; %bb.117:                              ;   in Loop: Header=BB307_12 Depth=1
	s_delay_alu instid0(VALU_DEP_2) | instskip(NEXT) | instid1(VALU_DEP_1)
	v_clz_i32_u32_e32 v46, v16
	v_min_u32_e32 v46, 32, v46
	s_delay_alu instid0(VALU_DEP_1) | instskip(NEXT) | instid1(VALU_DEP_1)
	v_subrev_nc_u32_e32 v48, 28, v46
	v_lshlrev_b64_e32 v[48:49], v48, v[16:17]
	s_delay_alu instid0(VALU_DEP_1)
	v_dual_sub_nc_u32 v46, 29, v46 :: v_dual_bitop2_b32 v16, 7, v48 bitop3:0x40
; %bb.118:                              ;   in Loop: Header=BB307_12 Depth=1
	s_or_b32 exec_lo, exec_lo, s45
	s_delay_alu instid0(VALU_DEP_1) | instskip(NEXT) | instid1(VALU_DEP_2)
	v_dual_lshlrev_b32 v48, 24, v47 :: v_dual_lshlrev_b32 v16, 20, v16
	v_lshl_add_u32 v46, v46, 23, 0x3c000000
	s_delay_alu instid0(VALU_DEP_2) | instskip(NEXT) | instid1(VALU_DEP_1)
	v_and_b32_e32 v48, 0x80000000, v48
	v_or3_b32 v46, v16, v48, v46
.LBB307_119:                            ;   in Loop: Header=BB307_12 Depth=1
	s_or_b32 exec_lo, exec_lo, s44
.LBB307_120:                            ;   in Loop: Header=BB307_12 Depth=1
	s_delay_alu instid0(SALU_CYCLE_1)
	s_or_b32 exec_lo, exec_lo, s43
.LBB307_121:                            ;   in Loop: Header=BB307_12 Depth=1
	s_delay_alu instid0(SALU_CYCLE_1) | instskip(SKIP_2) | instid1(VALU_DEP_1)
	s_or_b32 exec_lo, exec_lo, s42
	v_lshrrev_b16 v16, 8, v47
	s_mov_b32 s42, exec_lo
	v_cmpx_ne_u16_e32 0, v16
	s_cbranch_execz .LBB307_129
; %bb.122:                              ;   in Loop: Header=BB307_12 Depth=1
	v_bfrev_b32_e32 v45, 1
	s_mov_b32 s43, exec_lo
	v_cmpx_ne_u16_e32 0x80, v16
	s_cbranch_execz .LBB307_128
; %bb.123:                              ;   in Loop: Header=BB307_12 Depth=1
	v_and_b32_e32 v16, 0xffff, v16
	v_mov_b32_e32 v45, 0x7f800001
	s_mov_b32 s44, exec_lo
	s_delay_alu instid0(VALU_DEP_2) | instskip(NEXT) | instid1(VALU_DEP_1)
	v_and_b32_e32 v48, 0x7f, v16
	v_cmpx_ne_u32_e32 0x7f, v48
	s_cbranch_execz .LBB307_127
; %bb.124:                              ;   in Loop: Header=BB307_12 Depth=1
	v_and_b32_e32 v16, 7, v16
	v_lshrrev_b32_e32 v45, 3, v48
	s_mov_b32 s45, exec_lo
	v_cmpx_gt_u32_e32 8, v48
; %bb.125:                              ;   in Loop: Header=BB307_12 Depth=1
	s_delay_alu instid0(VALU_DEP_3) | instskip(NEXT) | instid1(VALU_DEP_1)
	v_clz_i32_u32_e32 v45, v16
	v_min_u32_e32 v45, 32, v45
	s_delay_alu instid0(VALU_DEP_1) | instskip(NEXT) | instid1(VALU_DEP_1)
	v_subrev_nc_u32_e32 v48, 28, v45
	v_lshlrev_b64_e32 v[48:49], v48, v[16:17]
	s_delay_alu instid0(VALU_DEP_1)
	v_dual_sub_nc_u32 v45, 29, v45 :: v_dual_bitop2_b32 v16, 7, v48 bitop3:0x40
; %bb.126:                              ;   in Loop: Header=BB307_12 Depth=1
	s_or_b32 exec_lo, exec_lo, s45
	s_delay_alu instid0(VALU_DEP_1) | instskip(NEXT) | instid1(VALU_DEP_2)
	v_dual_lshlrev_b32 v47, 16, v47 :: v_dual_lshlrev_b32 v16, 20, v16
	v_lshl_add_u32 v45, v45, 23, 0x3c000000
	s_delay_alu instid0(VALU_DEP_2) | instskip(NEXT) | instid1(VALU_DEP_1)
	v_and_b32_e32 v47, 0x80000000, v47
	v_or3_b32 v45, v16, v47, v45
.LBB307_127:                            ;   in Loop: Header=BB307_12 Depth=1
	s_or_b32 exec_lo, exec_lo, s44
.LBB307_128:                            ;   in Loop: Header=BB307_12 Depth=1
	s_delay_alu instid0(SALU_CYCLE_1)
	s_or_b32 exec_lo, exec_lo, s43
.LBB307_129:                            ;   in Loop: Header=BB307_12 Depth=1
	s_delay_alu instid0(SALU_CYCLE_1)
	s_or_b32 exec_lo, exec_lo, s42
	global_load_u16 v16, v[24:25], off offset:392
	v_mov_b32_e32 v47, 0
	s_wait_loadcnt 0x0
	v_and_b32_e32 v48, 0xff, v16
	v_and_b32_e32 v49, 0xffff, v16
	s_delay_alu instid0(VALU_DEP_2)
	v_cmp_ne_u16_e64 s4, 0, v48
	v_mov_b32_e32 v48, 0
	s_and_saveexec_b32 s42, s4
	s_cbranch_execz .LBB307_137
; %bb.130:                              ;   in Loop: Header=BB307_12 Depth=1
	v_and_b32_e32 v16, 0xff, v49
	v_bfrev_b32_e32 v48, 1
	s_mov_b32 s43, exec_lo
	s_delay_alu instid0(VALU_DEP_2)
	v_cmpx_ne_u16_e32 0x80, v16
	s_cbranch_execz .LBB307_136
; %bb.131:                              ;   in Loop: Header=BB307_12 Depth=1
	v_and_b32_e32 v50, 0x7f, v49
	v_mov_b32_e32 v48, 0x7f800001
	s_mov_b32 s44, exec_lo
	s_delay_alu instid0(VALU_DEP_2)
	v_cmpx_ne_u32_e32 0x7f, v50
	s_cbranch_execz .LBB307_135
; %bb.132:                              ;   in Loop: Header=BB307_12 Depth=1
	v_dual_lshrrev_b32 v48, 3, v50 :: v_dual_bitop2_b32 v16, 7, v49 bitop3:0x40
	s_mov_b32 s45, exec_lo
	v_cmpx_gt_u32_e32 8, v50
; %bb.133:                              ;   in Loop: Header=BB307_12 Depth=1
	s_delay_alu instid0(VALU_DEP_2) | instskip(NEXT) | instid1(VALU_DEP_1)
	v_clz_i32_u32_e32 v48, v16
	v_min_u32_e32 v48, 32, v48
	s_delay_alu instid0(VALU_DEP_1) | instskip(NEXT) | instid1(VALU_DEP_1)
	v_subrev_nc_u32_e32 v50, 28, v48
	v_lshlrev_b64_e32 v[50:51], v50, v[16:17]
	s_delay_alu instid0(VALU_DEP_1)
	v_dual_sub_nc_u32 v48, 29, v48 :: v_dual_bitop2_b32 v16, 7, v50 bitop3:0x40
; %bb.134:                              ;   in Loop: Header=BB307_12 Depth=1
	s_or_b32 exec_lo, exec_lo, s45
	s_delay_alu instid0(VALU_DEP_1) | instskip(NEXT) | instid1(VALU_DEP_2)
	v_dual_lshlrev_b32 v50, 24, v49 :: v_dual_lshlrev_b32 v16, 20, v16
	v_lshl_add_u32 v48, v48, 23, 0x3c000000
	s_delay_alu instid0(VALU_DEP_2) | instskip(NEXT) | instid1(VALU_DEP_1)
	v_and_b32_e32 v50, 0x80000000, v50
	v_or3_b32 v48, v16, v50, v48
.LBB307_135:                            ;   in Loop: Header=BB307_12 Depth=1
	s_or_b32 exec_lo, exec_lo, s44
.LBB307_136:                            ;   in Loop: Header=BB307_12 Depth=1
	s_delay_alu instid0(SALU_CYCLE_1)
	s_or_b32 exec_lo, exec_lo, s43
.LBB307_137:                            ;   in Loop: Header=BB307_12 Depth=1
	s_delay_alu instid0(SALU_CYCLE_1) | instskip(SKIP_2) | instid1(VALU_DEP_1)
	s_or_b32 exec_lo, exec_lo, s42
	v_lshrrev_b16 v16, 8, v49
	s_mov_b32 s42, exec_lo
	v_cmpx_ne_u16_e32 0, v16
	s_cbranch_execz .LBB307_145
; %bb.138:                              ;   in Loop: Header=BB307_12 Depth=1
	v_bfrev_b32_e32 v47, 1
	s_mov_b32 s43, exec_lo
	v_cmpx_ne_u16_e32 0x80, v16
	s_cbranch_execz .LBB307_144
; %bb.139:                              ;   in Loop: Header=BB307_12 Depth=1
	v_and_b32_e32 v16, 0xffff, v16
	v_mov_b32_e32 v47, 0x7f800001
	s_mov_b32 s44, exec_lo
	s_delay_alu instid0(VALU_DEP_2) | instskip(NEXT) | instid1(VALU_DEP_1)
	v_and_b32_e32 v50, 0x7f, v16
	v_cmpx_ne_u32_e32 0x7f, v50
	s_cbranch_execz .LBB307_143
; %bb.140:                              ;   in Loop: Header=BB307_12 Depth=1
	v_dual_lshrrev_b32 v47, 3, v50 :: v_dual_bitop2_b32 v16, 7, v16 bitop3:0x40
	s_mov_b32 s45, exec_lo
	v_cmpx_gt_u32_e32 8, v50
; %bb.141:                              ;   in Loop: Header=BB307_12 Depth=1
	s_delay_alu instid0(VALU_DEP_2) | instskip(NEXT) | instid1(VALU_DEP_1)
	v_clz_i32_u32_e32 v47, v16
	v_min_u32_e32 v47, 32, v47
	s_delay_alu instid0(VALU_DEP_1) | instskip(NEXT) | instid1(VALU_DEP_1)
	v_subrev_nc_u32_e32 v50, 28, v47
	v_lshlrev_b64_e32 v[50:51], v50, v[16:17]
	s_delay_alu instid0(VALU_DEP_1)
	v_dual_sub_nc_u32 v47, 29, v47 :: v_dual_bitop2_b32 v16, 7, v50 bitop3:0x40
; %bb.142:                              ;   in Loop: Header=BB307_12 Depth=1
	s_or_b32 exec_lo, exec_lo, s45
	s_delay_alu instid0(VALU_DEP_1) | instskip(NEXT) | instid1(VALU_DEP_2)
	v_dual_lshlrev_b32 v49, 16, v49 :: v_dual_lshlrev_b32 v16, 20, v16
	v_lshl_add_u32 v47, v47, 23, 0x3c000000
	s_delay_alu instid0(VALU_DEP_2) | instskip(NEXT) | instid1(VALU_DEP_1)
	v_and_b32_e32 v49, 0x80000000, v49
	v_or3_b32 v47, v16, v49, v47
.LBB307_143:                            ;   in Loop: Header=BB307_12 Depth=1
	s_or_b32 exec_lo, exec_lo, s44
.LBB307_144:                            ;   in Loop: Header=BB307_12 Depth=1
	s_delay_alu instid0(SALU_CYCLE_1)
	s_or_b32 exec_lo, exec_lo, s43
.LBB307_145:                            ;   in Loop: Header=BB307_12 Depth=1
	s_delay_alu instid0(SALU_CYCLE_1)
	s_or_b32 exec_lo, exec_lo, s42
	global_load_u16 v16, v[24:25], off offset:512
	v_mov_b32_e32 v49, 0
	s_wait_loadcnt 0x0
	v_and_b32_e32 v50, 0xff, v16
	v_and_b32_e32 v51, 0xffff, v16
	s_delay_alu instid0(VALU_DEP_2)
	v_cmp_ne_u16_e64 s4, 0, v50
	v_mov_b32_e32 v50, 0
	s_and_saveexec_b32 s42, s4
	s_cbranch_execz .LBB307_153
; %bb.146:                              ;   in Loop: Header=BB307_12 Depth=1
	v_and_b32_e32 v16, 0xff, v51
	v_bfrev_b32_e32 v50, 1
	s_mov_b32 s43, exec_lo
	s_delay_alu instid0(VALU_DEP_2)
	v_cmpx_ne_u16_e32 0x80, v16
	s_cbranch_execz .LBB307_152
; %bb.147:                              ;   in Loop: Header=BB307_12 Depth=1
	v_and_b32_e32 v52, 0x7f, v51
	v_mov_b32_e32 v50, 0x7f800001
	s_mov_b32 s44, exec_lo
	s_delay_alu instid0(VALU_DEP_2)
	v_cmpx_ne_u32_e32 0x7f, v52
	s_cbranch_execz .LBB307_151
; %bb.148:                              ;   in Loop: Header=BB307_12 Depth=1
	v_dual_lshrrev_b32 v50, 3, v52 :: v_dual_bitop2_b32 v16, 7, v51 bitop3:0x40
	s_mov_b32 s45, exec_lo
	v_cmpx_gt_u32_e32 8, v52
; %bb.149:                              ;   in Loop: Header=BB307_12 Depth=1
	s_delay_alu instid0(VALU_DEP_2) | instskip(NEXT) | instid1(VALU_DEP_1)
	v_clz_i32_u32_e32 v50, v16
	v_min_u32_e32 v50, 32, v50
	s_delay_alu instid0(VALU_DEP_1) | instskip(NEXT) | instid1(VALU_DEP_1)
	v_subrev_nc_u32_e32 v52, 28, v50
	v_lshlrev_b64_e32 v[52:53], v52, v[16:17]
	s_delay_alu instid0(VALU_DEP_1)
	v_dual_sub_nc_u32 v50, 29, v50 :: v_dual_bitop2_b32 v16, 7, v52 bitop3:0x40
; %bb.150:                              ;   in Loop: Header=BB307_12 Depth=1
	s_or_b32 exec_lo, exec_lo, s45
	s_delay_alu instid0(VALU_DEP_1) | instskip(NEXT) | instid1(VALU_DEP_2)
	v_dual_lshlrev_b32 v52, 24, v51 :: v_dual_lshlrev_b32 v16, 20, v16
	v_lshl_add_u32 v50, v50, 23, 0x3c000000
	s_delay_alu instid0(VALU_DEP_2) | instskip(NEXT) | instid1(VALU_DEP_1)
	v_and_b32_e32 v52, 0x80000000, v52
	v_or3_b32 v50, v16, v52, v50
.LBB307_151:                            ;   in Loop: Header=BB307_12 Depth=1
	s_or_b32 exec_lo, exec_lo, s44
.LBB307_152:                            ;   in Loop: Header=BB307_12 Depth=1
	s_delay_alu instid0(SALU_CYCLE_1)
	s_or_b32 exec_lo, exec_lo, s43
.LBB307_153:                            ;   in Loop: Header=BB307_12 Depth=1
	s_delay_alu instid0(SALU_CYCLE_1) | instskip(SKIP_2) | instid1(VALU_DEP_1)
	s_or_b32 exec_lo, exec_lo, s42
	v_lshrrev_b16 v16, 8, v51
	s_mov_b32 s42, exec_lo
	v_cmpx_ne_u16_e32 0, v16
	s_cbranch_execz .LBB307_161
; %bb.154:                              ;   in Loop: Header=BB307_12 Depth=1
	v_bfrev_b32_e32 v49, 1
	s_mov_b32 s43, exec_lo
	v_cmpx_ne_u16_e32 0x80, v16
	s_cbranch_execz .LBB307_160
; %bb.155:                              ;   in Loop: Header=BB307_12 Depth=1
	v_and_b32_e32 v16, 0xffff, v16
	v_mov_b32_e32 v49, 0x7f800001
	s_mov_b32 s44, exec_lo
	s_delay_alu instid0(VALU_DEP_2) | instskip(NEXT) | instid1(VALU_DEP_1)
	v_and_b32_e32 v52, 0x7f, v16
	v_cmpx_ne_u32_e32 0x7f, v52
	s_cbranch_execz .LBB307_159
; %bb.156:                              ;   in Loop: Header=BB307_12 Depth=1
	v_and_b32_e32 v16, 7, v16
	v_lshrrev_b32_e32 v49, 3, v52
	s_mov_b32 s45, exec_lo
	v_cmpx_gt_u32_e32 8, v52
; %bb.157:                              ;   in Loop: Header=BB307_12 Depth=1
	s_delay_alu instid0(VALU_DEP_3) | instskip(NEXT) | instid1(VALU_DEP_1)
	v_clz_i32_u32_e32 v49, v16
	v_min_u32_e32 v49, 32, v49
	s_delay_alu instid0(VALU_DEP_1) | instskip(NEXT) | instid1(VALU_DEP_1)
	v_subrev_nc_u32_e32 v52, 28, v49
	v_lshlrev_b64_e32 v[52:53], v52, v[16:17]
	s_delay_alu instid0(VALU_DEP_1)
	v_dual_sub_nc_u32 v49, 29, v49 :: v_dual_bitop2_b32 v16, 7, v52 bitop3:0x40
; %bb.158:                              ;   in Loop: Header=BB307_12 Depth=1
	s_or_b32 exec_lo, exec_lo, s45
	s_delay_alu instid0(VALU_DEP_1) | instskip(NEXT) | instid1(VALU_DEP_2)
	v_dual_lshlrev_b32 v51, 16, v51 :: v_dual_lshlrev_b32 v16, 20, v16
	v_lshl_add_u32 v49, v49, 23, 0x3c000000
	s_delay_alu instid0(VALU_DEP_2) | instskip(NEXT) | instid1(VALU_DEP_1)
	v_and_b32_e32 v51, 0x80000000, v51
	v_or3_b32 v49, v16, v51, v49
.LBB307_159:                            ;   in Loop: Header=BB307_12 Depth=1
	s_or_b32 exec_lo, exec_lo, s44
.LBB307_160:                            ;   in Loop: Header=BB307_12 Depth=1
	s_delay_alu instid0(SALU_CYCLE_1)
	s_or_b32 exec_lo, exec_lo, s43
.LBB307_161:                            ;   in Loop: Header=BB307_12 Depth=1
	s_delay_alu instid0(SALU_CYCLE_1)
	s_or_b32 exec_lo, exec_lo, s42
	global_load_u16 v16, v[24:25], off offset:520
	v_mov_b32_e32 v51, 0
	s_wait_loadcnt 0x0
	v_and_b32_e32 v52, 0xff, v16
	v_and_b32_e32 v53, 0xffff, v16
	s_delay_alu instid0(VALU_DEP_2)
	v_cmp_ne_u16_e64 s4, 0, v52
	v_mov_b32_e32 v52, 0
	s_and_saveexec_b32 s42, s4
	s_cbranch_execz .LBB307_169
; %bb.162:                              ;   in Loop: Header=BB307_12 Depth=1
	v_and_b32_e32 v16, 0xff, v53
	v_bfrev_b32_e32 v52, 1
	s_mov_b32 s43, exec_lo
	s_delay_alu instid0(VALU_DEP_2)
	v_cmpx_ne_u16_e32 0x80, v16
	s_cbranch_execz .LBB307_168
; %bb.163:                              ;   in Loop: Header=BB307_12 Depth=1
	v_and_b32_e32 v54, 0x7f, v53
	v_mov_b32_e32 v52, 0x7f800001
	s_mov_b32 s44, exec_lo
	s_delay_alu instid0(VALU_DEP_2)
	v_cmpx_ne_u32_e32 0x7f, v54
	s_cbranch_execz .LBB307_167
; %bb.164:                              ;   in Loop: Header=BB307_12 Depth=1
	v_dual_lshrrev_b32 v52, 3, v54 :: v_dual_bitop2_b32 v16, 7, v53 bitop3:0x40
	s_mov_b32 s45, exec_lo
	v_cmpx_gt_u32_e32 8, v54
; %bb.165:                              ;   in Loop: Header=BB307_12 Depth=1
	s_delay_alu instid0(VALU_DEP_2) | instskip(NEXT) | instid1(VALU_DEP_1)
	v_clz_i32_u32_e32 v52, v16
	v_min_u32_e32 v52, 32, v52
	s_delay_alu instid0(VALU_DEP_1) | instskip(NEXT) | instid1(VALU_DEP_1)
	v_subrev_nc_u32_e32 v54, 28, v52
	v_lshlrev_b64_e32 v[54:55], v54, v[16:17]
	s_delay_alu instid0(VALU_DEP_1)
	v_dual_sub_nc_u32 v52, 29, v52 :: v_dual_bitop2_b32 v16, 7, v54 bitop3:0x40
; %bb.166:                              ;   in Loop: Header=BB307_12 Depth=1
	s_or_b32 exec_lo, exec_lo, s45
	s_delay_alu instid0(VALU_DEP_1) | instskip(NEXT) | instid1(VALU_DEP_2)
	v_dual_lshlrev_b32 v54, 24, v53 :: v_dual_lshlrev_b32 v16, 20, v16
	v_lshl_add_u32 v52, v52, 23, 0x3c000000
	s_delay_alu instid0(VALU_DEP_2) | instskip(NEXT) | instid1(VALU_DEP_1)
	v_and_b32_e32 v54, 0x80000000, v54
	v_or3_b32 v52, v16, v54, v52
.LBB307_167:                            ;   in Loop: Header=BB307_12 Depth=1
	s_or_b32 exec_lo, exec_lo, s44
.LBB307_168:                            ;   in Loop: Header=BB307_12 Depth=1
	s_delay_alu instid0(SALU_CYCLE_1)
	s_or_b32 exec_lo, exec_lo, s43
.LBB307_169:                            ;   in Loop: Header=BB307_12 Depth=1
	s_delay_alu instid0(SALU_CYCLE_1) | instskip(SKIP_2) | instid1(VALU_DEP_1)
	s_or_b32 exec_lo, exec_lo, s42
	v_lshrrev_b16 v16, 8, v53
	s_mov_b32 s42, exec_lo
	v_cmpx_ne_u16_e32 0, v16
	s_cbranch_execz .LBB307_177
; %bb.170:                              ;   in Loop: Header=BB307_12 Depth=1
	v_bfrev_b32_e32 v51, 1
	s_mov_b32 s43, exec_lo
	v_cmpx_ne_u16_e32 0x80, v16
	s_cbranch_execz .LBB307_176
; %bb.171:                              ;   in Loop: Header=BB307_12 Depth=1
	v_and_b32_e32 v16, 0xffff, v16
	v_mov_b32_e32 v51, 0x7f800001
	s_mov_b32 s44, exec_lo
	s_delay_alu instid0(VALU_DEP_2) | instskip(NEXT) | instid1(VALU_DEP_1)
	v_and_b32_e32 v54, 0x7f, v16
	v_cmpx_ne_u32_e32 0x7f, v54
	s_cbranch_execz .LBB307_175
; %bb.172:                              ;   in Loop: Header=BB307_12 Depth=1
	v_dual_lshrrev_b32 v51, 3, v54 :: v_dual_bitop2_b32 v16, 7, v16 bitop3:0x40
	s_mov_b32 s45, exec_lo
	v_cmpx_gt_u32_e32 8, v54
; %bb.173:                              ;   in Loop: Header=BB307_12 Depth=1
	s_delay_alu instid0(VALU_DEP_2) | instskip(NEXT) | instid1(VALU_DEP_1)
	v_clz_i32_u32_e32 v51, v16
	v_min_u32_e32 v51, 32, v51
	s_delay_alu instid0(VALU_DEP_1) | instskip(NEXT) | instid1(VALU_DEP_1)
	v_subrev_nc_u32_e32 v54, 28, v51
	v_lshlrev_b64_e32 v[54:55], v54, v[16:17]
	s_delay_alu instid0(VALU_DEP_1)
	v_dual_sub_nc_u32 v51, 29, v51 :: v_dual_bitop2_b32 v16, 7, v54 bitop3:0x40
; %bb.174:                              ;   in Loop: Header=BB307_12 Depth=1
	s_or_b32 exec_lo, exec_lo, s45
	s_delay_alu instid0(VALU_DEP_1) | instskip(NEXT) | instid1(VALU_DEP_2)
	v_dual_lshlrev_b32 v53, 16, v53 :: v_dual_lshlrev_b32 v16, 20, v16
	v_lshl_add_u32 v51, v51, 23, 0x3c000000
	s_delay_alu instid0(VALU_DEP_2) | instskip(NEXT) | instid1(VALU_DEP_1)
	v_and_b32_e32 v53, 0x80000000, v53
	v_or3_b32 v51, v16, v53, v51
.LBB307_175:                            ;   in Loop: Header=BB307_12 Depth=1
	s_or_b32 exec_lo, exec_lo, s44
.LBB307_176:                            ;   in Loop: Header=BB307_12 Depth=1
	s_delay_alu instid0(SALU_CYCLE_1)
	s_or_b32 exec_lo, exec_lo, s43
.LBB307_177:                            ;   in Loop: Header=BB307_12 Depth=1
	s_delay_alu instid0(SALU_CYCLE_1)
	s_or_b32 exec_lo, exec_lo, s42
	global_load_u16 v16, v[24:25], off offset:640
	v_mov_b32_e32 v53, 0
	s_wait_loadcnt 0x0
	v_and_b32_e32 v54, 0xff, v16
	v_and_b32_e32 v55, 0xffff, v16
	s_delay_alu instid0(VALU_DEP_2)
	v_cmp_ne_u16_e64 s4, 0, v54
	v_mov_b32_e32 v54, 0
	s_and_saveexec_b32 s42, s4
	s_cbranch_execz .LBB307_185
; %bb.178:                              ;   in Loop: Header=BB307_12 Depth=1
	v_and_b32_e32 v16, 0xff, v55
	v_bfrev_b32_e32 v54, 1
	s_mov_b32 s43, exec_lo
	s_delay_alu instid0(VALU_DEP_2)
	v_cmpx_ne_u16_e32 0x80, v16
	s_cbranch_execz .LBB307_184
; %bb.179:                              ;   in Loop: Header=BB307_12 Depth=1
	v_and_b32_e32 v56, 0x7f, v55
	v_mov_b32_e32 v54, 0x7f800001
	s_mov_b32 s44, exec_lo
	s_delay_alu instid0(VALU_DEP_2)
	v_cmpx_ne_u32_e32 0x7f, v56
	s_cbranch_execz .LBB307_183
; %bb.180:                              ;   in Loop: Header=BB307_12 Depth=1
	v_dual_lshrrev_b32 v54, 3, v56 :: v_dual_bitop2_b32 v16, 7, v55 bitop3:0x40
	s_mov_b32 s45, exec_lo
	v_cmpx_gt_u32_e32 8, v56
; %bb.181:                              ;   in Loop: Header=BB307_12 Depth=1
	s_delay_alu instid0(VALU_DEP_2) | instskip(NEXT) | instid1(VALU_DEP_1)
	v_clz_i32_u32_e32 v54, v16
	v_min_u32_e32 v54, 32, v54
	s_delay_alu instid0(VALU_DEP_1) | instskip(NEXT) | instid1(VALU_DEP_1)
	v_subrev_nc_u32_e32 v56, 28, v54
	v_lshlrev_b64_e32 v[56:57], v56, v[16:17]
	s_delay_alu instid0(VALU_DEP_1)
	v_dual_sub_nc_u32 v54, 29, v54 :: v_dual_bitop2_b32 v16, 7, v56 bitop3:0x40
; %bb.182:                              ;   in Loop: Header=BB307_12 Depth=1
	s_or_b32 exec_lo, exec_lo, s45
	s_delay_alu instid0(VALU_DEP_1) | instskip(NEXT) | instid1(VALU_DEP_2)
	v_dual_lshlrev_b32 v56, 24, v55 :: v_dual_lshlrev_b32 v16, 20, v16
	v_lshl_add_u32 v54, v54, 23, 0x3c000000
	s_delay_alu instid0(VALU_DEP_2) | instskip(NEXT) | instid1(VALU_DEP_1)
	v_and_b32_e32 v56, 0x80000000, v56
	v_or3_b32 v54, v16, v56, v54
.LBB307_183:                            ;   in Loop: Header=BB307_12 Depth=1
	s_or_b32 exec_lo, exec_lo, s44
.LBB307_184:                            ;   in Loop: Header=BB307_12 Depth=1
	s_delay_alu instid0(SALU_CYCLE_1)
	s_or_b32 exec_lo, exec_lo, s43
.LBB307_185:                            ;   in Loop: Header=BB307_12 Depth=1
	s_delay_alu instid0(SALU_CYCLE_1) | instskip(SKIP_2) | instid1(VALU_DEP_1)
	s_or_b32 exec_lo, exec_lo, s42
	v_lshrrev_b16 v16, 8, v55
	s_mov_b32 s42, exec_lo
	v_cmpx_ne_u16_e32 0, v16
	s_cbranch_execz .LBB307_193
; %bb.186:                              ;   in Loop: Header=BB307_12 Depth=1
	v_bfrev_b32_e32 v53, 1
	s_mov_b32 s43, exec_lo
	v_cmpx_ne_u16_e32 0x80, v16
	s_cbranch_execz .LBB307_192
; %bb.187:                              ;   in Loop: Header=BB307_12 Depth=1
	v_and_b32_e32 v16, 0xffff, v16
	v_mov_b32_e32 v53, 0x7f800001
	s_mov_b32 s44, exec_lo
	s_delay_alu instid0(VALU_DEP_2) | instskip(NEXT) | instid1(VALU_DEP_1)
	v_and_b32_e32 v56, 0x7f, v16
	v_cmpx_ne_u32_e32 0x7f, v56
	s_cbranch_execz .LBB307_191
; %bb.188:                              ;   in Loop: Header=BB307_12 Depth=1
	v_and_b32_e32 v16, 7, v16
	v_lshrrev_b32_e32 v53, 3, v56
	s_mov_b32 s45, exec_lo
	v_cmpx_gt_u32_e32 8, v56
; %bb.189:                              ;   in Loop: Header=BB307_12 Depth=1
	s_delay_alu instid0(VALU_DEP_3) | instskip(NEXT) | instid1(VALU_DEP_1)
	v_clz_i32_u32_e32 v53, v16
	v_min_u32_e32 v53, 32, v53
	s_delay_alu instid0(VALU_DEP_1) | instskip(NEXT) | instid1(VALU_DEP_1)
	v_subrev_nc_u32_e32 v56, 28, v53
	v_lshlrev_b64_e32 v[56:57], v56, v[16:17]
	s_delay_alu instid0(VALU_DEP_1)
	v_dual_sub_nc_u32 v53, 29, v53 :: v_dual_bitop2_b32 v16, 7, v56 bitop3:0x40
; %bb.190:                              ;   in Loop: Header=BB307_12 Depth=1
	s_or_b32 exec_lo, exec_lo, s45
	s_delay_alu instid0(VALU_DEP_1) | instskip(NEXT) | instid1(VALU_DEP_2)
	v_dual_lshlrev_b32 v55, 16, v55 :: v_dual_lshlrev_b32 v16, 20, v16
	v_lshl_add_u32 v53, v53, 23, 0x3c000000
	s_delay_alu instid0(VALU_DEP_2) | instskip(NEXT) | instid1(VALU_DEP_1)
	v_and_b32_e32 v55, 0x80000000, v55
	v_or3_b32 v53, v16, v55, v53
.LBB307_191:                            ;   in Loop: Header=BB307_12 Depth=1
	s_or_b32 exec_lo, exec_lo, s44
.LBB307_192:                            ;   in Loop: Header=BB307_12 Depth=1
	s_delay_alu instid0(SALU_CYCLE_1)
	s_or_b32 exec_lo, exec_lo, s43
.LBB307_193:                            ;   in Loop: Header=BB307_12 Depth=1
	s_delay_alu instid0(SALU_CYCLE_1)
	s_or_b32 exec_lo, exec_lo, s42
	global_load_u16 v16, v[24:25], off offset:648
	s_wait_xcnt 0x0
	v_mov_b32_e32 v24, 0
	s_wait_loadcnt 0x0
	v_and_b32_e32 v25, 0xff, v16
	v_and_b32_e32 v55, 0xffff, v16
	s_delay_alu instid0(VALU_DEP_2)
	v_cmp_ne_u16_e64 s4, 0, v25
	v_mov_b32_e32 v25, 0
	s_and_saveexec_b32 s42, s4
	s_cbranch_execz .LBB307_201
; %bb.194:                              ;   in Loop: Header=BB307_12 Depth=1
	v_and_b32_e32 v16, 0xff, v55
	v_bfrev_b32_e32 v25, 1
	s_mov_b32 s43, exec_lo
	s_delay_alu instid0(VALU_DEP_2)
	v_cmpx_ne_u16_e32 0x80, v16
	s_cbranch_execz .LBB307_200
; %bb.195:                              ;   in Loop: Header=BB307_12 Depth=1
	v_and_b32_e32 v56, 0x7f, v55
	v_mov_b32_e32 v25, 0x7f800001
	s_mov_b32 s44, exec_lo
	s_delay_alu instid0(VALU_DEP_2)
	v_cmpx_ne_u32_e32 0x7f, v56
	s_cbranch_execz .LBB307_199
; %bb.196:                              ;   in Loop: Header=BB307_12 Depth=1
	v_dual_lshrrev_b32 v25, 3, v56 :: v_dual_bitop2_b32 v16, 7, v55 bitop3:0x40
	s_mov_b32 s45, exec_lo
	v_cmpx_gt_u32_e32 8, v56
; %bb.197:                              ;   in Loop: Header=BB307_12 Depth=1
	s_delay_alu instid0(VALU_DEP_2) | instskip(NEXT) | instid1(VALU_DEP_1)
	v_clz_i32_u32_e32 v25, v16
	v_min_u32_e32 v25, 32, v25
	s_delay_alu instid0(VALU_DEP_1) | instskip(NEXT) | instid1(VALU_DEP_1)
	v_subrev_nc_u32_e32 v56, 28, v25
	v_lshlrev_b64_e32 v[56:57], v56, v[16:17]
	s_delay_alu instid0(VALU_DEP_1)
	v_dual_sub_nc_u32 v25, 29, v25 :: v_dual_bitop2_b32 v16, 7, v56 bitop3:0x40
; %bb.198:                              ;   in Loop: Header=BB307_12 Depth=1
	s_or_b32 exec_lo, exec_lo, s45
	s_delay_alu instid0(VALU_DEP_1) | instskip(NEXT) | instid1(VALU_DEP_2)
	v_dual_lshlrev_b32 v56, 24, v55 :: v_dual_lshlrev_b32 v16, 20, v16
	v_lshl_add_u32 v25, v25, 23, 0x3c000000
	s_delay_alu instid0(VALU_DEP_2) | instskip(NEXT) | instid1(VALU_DEP_1)
	v_and_b32_e32 v56, 0x80000000, v56
	v_or3_b32 v25, v16, v56, v25
.LBB307_199:                            ;   in Loop: Header=BB307_12 Depth=1
	s_or_b32 exec_lo, exec_lo, s44
.LBB307_200:                            ;   in Loop: Header=BB307_12 Depth=1
	s_delay_alu instid0(SALU_CYCLE_1)
	s_or_b32 exec_lo, exec_lo, s43
.LBB307_201:                            ;   in Loop: Header=BB307_12 Depth=1
	s_delay_alu instid0(SALU_CYCLE_1) | instskip(SKIP_2) | instid1(VALU_DEP_1)
	s_or_b32 exec_lo, exec_lo, s42
	v_lshrrev_b16 v16, 8, v55
	s_mov_b32 s42, exec_lo
	v_cmpx_ne_u16_e32 0, v16
	s_cbranch_execz .LBB307_209
; %bb.202:                              ;   in Loop: Header=BB307_12 Depth=1
	v_bfrev_b32_e32 v24, 1
	s_mov_b32 s43, exec_lo
	v_cmpx_ne_u16_e32 0x80, v16
	s_cbranch_execz .LBB307_208
; %bb.203:                              ;   in Loop: Header=BB307_12 Depth=1
	v_and_b32_e32 v16, 0xffff, v16
	v_mov_b32_e32 v24, 0x7f800001
	s_mov_b32 s44, exec_lo
	s_delay_alu instid0(VALU_DEP_2) | instskip(NEXT) | instid1(VALU_DEP_1)
	v_and_b32_e32 v56, 0x7f, v16
	v_cmpx_ne_u32_e32 0x7f, v56
	s_cbranch_execz .LBB307_207
; %bb.204:                              ;   in Loop: Header=BB307_12 Depth=1
	v_and_b32_e32 v16, 7, v16
	v_lshrrev_b32_e32 v24, 3, v56
	s_mov_b32 s45, exec_lo
	v_cmpx_gt_u32_e32 8, v56
; %bb.205:                              ;   in Loop: Header=BB307_12 Depth=1
	s_delay_alu instid0(VALU_DEP_3) | instskip(NEXT) | instid1(VALU_DEP_1)
	v_clz_i32_u32_e32 v24, v16
	v_min_u32_e32 v24, 32, v24
	s_delay_alu instid0(VALU_DEP_1) | instskip(SKIP_1) | instid1(VALU_DEP_2)
	v_subrev_nc_u32_e32 v56, 28, v24
	v_sub_nc_u32_e32 v24, 29, v24
	v_lshlrev_b64_e32 v[56:57], v56, v[16:17]
	s_delay_alu instid0(VALU_DEP_1)
	v_and_b32_e32 v16, 7, v56
; %bb.206:                              ;   in Loop: Header=BB307_12 Depth=1
	s_or_b32 exec_lo, exec_lo, s45
	s_delay_alu instid0(VALU_DEP_1) | instskip(SKIP_1) | instid1(VALU_DEP_2)
	v_dual_lshlrev_b32 v55, 16, v55 :: v_dual_lshlrev_b32 v16, 20, v16
	v_lshl_add_u32 v24, v24, 23, 0x3c000000
	v_and_b32_e32 v55, 0x80000000, v55
	s_delay_alu instid0(VALU_DEP_1)
	v_or3_b32 v24, v16, v55, v24
.LBB307_207:                            ;   in Loop: Header=BB307_12 Depth=1
	s_or_b32 exec_lo, exec_lo, s44
.LBB307_208:                            ;   in Loop: Header=BB307_12 Depth=1
	s_delay_alu instid0(SALU_CYCLE_1)
	s_or_b32 exec_lo, exec_lo, s43
.LBB307_209:                            ;   in Loop: Header=BB307_12 Depth=1
	s_delay_alu instid0(SALU_CYCLE_1)
	s_or_b32 exec_lo, exec_lo, s42
	s_wait_kmcnt 0x0
	v_fma_mixlo_bf16 v16, s41, v36, 0
	v_fma_mixlo_bf16 v35, s41, v35, 0
	s_wait_dscnt 0x2
	v_lshlrev_b32_e32 v36, 16, v11
	v_and_b32_e32 v11, 0xffff0000, v11
	v_fma_mixlo_bf16 v19, s41, v19, 0
	v_dual_lshlrev_b32 v16, 16, v16 :: v_dual_lshlrev_b32 v35, 16, v35
	v_fma_mixlo_bf16 v34, s41, v34, 0
	s_delay_alu instid0(VALU_DEP_2) | instskip(SKIP_2) | instid1(VALU_DEP_3)
	v_dual_mul_f32 v16, v36, v16 :: v_dual_mul_f32 v11, v11, v35
	v_fma_mixlo_bf16 v35, s41, v37, 0
	v_fma_mixlo_bf16 v36, s41, v38, 0
	v_fma_mix_f32_bf16 v16, v10, v34, v16 op_sel_hi:[1,1,0]
	s_delay_alu instid0(VALU_DEP_4)
	v_fma_mix_f32_bf16 v10, v10, v19, v11 op_sel:[1,0,0] op_sel_hi:[1,1,0]
	v_fma_mixlo_bf16 v11, s41, v39, 0
	v_fma_mixlo_bf16 v19, s41, v40, 0
	;; [unrolled: 1-line block ×3, first 2 shown]
	v_fma_mix_f32_bf16 v16, v12, v36, v16 op_sel_hi:[1,1,0]
	v_fma_mix_f32_bf16 v10, v12, v35, v10 op_sel:[1,0,0] op_sel_hi:[1,1,0]
	v_fma_mixlo_bf16 v12, s41, v41, 0
	s_delay_alu instid0(VALU_DEP_3) | instskip(NEXT) | instid1(VALU_DEP_3)
	v_fma_mix_f32_bf16 v16, v13, v19, v16 op_sel_hi:[1,1,0]
	v_fma_mix_f32_bf16 v10, v13, v11, v10 op_sel:[1,0,0] op_sel_hi:[1,1,0]
	v_fma_mixlo_bf16 v11, s41, v43, 0
	v_fma_mixlo_bf16 v13, s41, v44, 0
	s_wait_dscnt 0x1
	v_fma_mix_f32_bf16 v16, v6, v34, v16 op_sel_hi:[1,1,0]
	v_fma_mix_f32_bf16 v6, v6, v12, v10 op_sel:[1,0,0] op_sel_hi:[1,1,0]
	v_fma_mixlo_bf16 v10, s41, v45, 0
	v_fma_mixlo_bf16 v12, s41, v46, 0
	s_delay_alu instid0(VALU_DEP_4) | instskip(NEXT) | instid1(VALU_DEP_4)
	v_fma_mix_f32_bf16 v13, v7, v13, v16 op_sel_hi:[1,1,0]
	v_fma_mix_f32_bf16 v6, v7, v11, v6 op_sel:[1,0,0] op_sel_hi:[1,1,0]
	v_fma_mixlo_bf16 v7, s41, v47, 0
	v_fma_mixlo_bf16 v11, s41, v48, 0
	s_delay_alu instid0(VALU_DEP_4) | instskip(NEXT) | instid1(VALU_DEP_4)
	;; [unrolled: 5-line block ×3, first 2 shown]
	v_fma_mix_f32_bf16 v11, v9, v11, v12 op_sel_hi:[1,1,0]
	v_fma_mix_f32_bf16 v6, v9, v7, v6 op_sel:[1,0,0] op_sel_hi:[1,1,0]
	v_fma_mixlo_bf16 v7, s41, v51, 0
	v_fma_mixlo_bf16 v9, s41, v52, 0
	s_wait_dscnt 0x0
	v_fma_mix_f32_bf16 v10, v2, v10, v11 op_sel_hi:[1,1,0]
	v_fma_mix_f32_bf16 v2, v2, v8, v6 op_sel:[1,0,0] op_sel_hi:[1,1,0]
	v_fma_mixlo_bf16 v6, s41, v53, 0
	v_fma_mixlo_bf16 v8, s41, v54, 0
	s_delay_alu instid0(VALU_DEP_4) | instskip(NEXT) | instid1(VALU_DEP_4)
	v_fma_mix_f32_bf16 v9, v3, v9, v10 op_sel_hi:[1,1,0]
	v_fma_mix_f32_bf16 v2, v3, v7, v2 op_sel:[1,0,0] op_sel_hi:[1,1,0]
	v_fma_mixlo_bf16 v3, s41, v25, 0
	v_fma_mixlo_bf16 v10, s41, v24, 0
	s_delay_alu instid0(VALU_DEP_4) | instskip(NEXT) | instid1(VALU_DEP_4)
	v_fma_mix_f32_bf16 v8, v4, v8, v9 op_sel_hi:[1,1,0]
	v_fma_mix_f32_bf16 v2, v4, v6, v2 op_sel:[1,0,0] op_sel_hi:[1,1,0]
	s_delay_alu instid0(VALU_DEP_2) | instskip(NEXT) | instid1(VALU_DEP_2)
	v_fma_mix_f32_bf16 v3, v5, v3, v8 op_sel_hi:[1,1,0]
	v_fma_mix_f32_bf16 v2, v5, v10, v2 op_sel:[1,0,0] op_sel_hi:[1,1,0]
	s_delay_alu instid0(VALU_DEP_1) | instskip(NEXT) | instid1(VALU_DEP_1)
	v_dual_add_f32 v2, v3, v2 :: v_dual_bitop2_b32 v7, 2, v27 bitop3:0x14
	v_cmp_gt_i32_e64 s4, 32, v7
	s_delay_alu instid0(VALU_DEP_1) | instskip(NEXT) | instid1(VALU_DEP_1)
	v_cndmask_b32_e64 v4, v27, v7, s4
	v_lshlrev_b32_e32 v4, 2, v4
	ds_bpermute_b32 v3, v4, v2
	v_xor_b32_e32 v4, 1, v27
	s_delay_alu instid0(VALU_DEP_1) | instskip(SKIP_1) | instid1(VALU_DEP_1)
	v_cmp_gt_i32_e64 s4, 32, v4
	s_wait_dscnt 0x0
	v_dual_cndmask_b32 v4, v27, v4, s4 :: v_dual_add_f32 v2, v2, v3
	s_delay_alu instid0(VALU_DEP_1)
	v_lshlrev_b32_e32 v4, 2, v4
	ds_bpermute_b32 v3, v4, v2
	s_and_saveexec_b32 s41, s3
	s_cbranch_execz .LBB307_10
; %bb.210:                              ;   in Loop: Header=BB307_12 Depth=1
	v_add_nc_u32_e32 v4, v30, v18
	s_wait_dscnt 0x0
	v_add_f32_e32 v2, v2, v3
	s_delay_alu instid0(VALU_DEP_2) | instskip(NEXT) | instid1(VALU_DEP_1)
	v_cvt_f32_i32_e32 v4, v4
	v_mul_f32_e32 v4, s36, v4
	s_delay_alu instid0(VALU_DEP_1) | instskip(NEXT) | instid1(VALU_DEP_1)
	v_dual_cndmask_b32 v3, 0, v4 :: v_dual_max_num_f32 v4, v29, v29
	v_fmac_f32_e32 v3, s27, v2
	s_delay_alu instid0(VALU_DEP_1) | instskip(NEXT) | instid1(VALU_DEP_1)
	v_dual_add_nc_u32 v2, v26, v18 :: v_dual_max_num_f32 v4, v4, v3
	v_cmp_gt_i32_e64 s4, s34, v2
	s_delay_alu instid0(VALU_DEP_1)
	v_dual_cndmask_b32 v29, v29, v4, s4 :: v_dual_cndmask_b32 v2, 0, v3, s4
	ds_store_b32 v31, v2
	s_branch .LBB307_10
.LBB307_211:
	s_or_b32 exec_lo, exec_lo, s40
.LBB307_212:
	s_delay_alu instid0(SALU_CYCLE_1)
	s_or_b32 exec_lo, exec_lo, s37
	v_dual_max_num_f32 v5, v29, v29 :: v_dual_bitop2_b32 v2, 16, v27 bitop3:0x14
	s_clause 0x1
	s_load_b64 s[4:5], s[0:1], 0x0
	s_load_b64 s[8:9], s[0:1], 0x18
	v_and_b32_e32 v26, 31, v0
	v_xor_b32_e32 v4, 8, v27
	v_cmp_gt_i32_e32 vcc_lo, 32, v2
	v_cndmask_b32_e32 v2, v27, v2, vcc_lo
	s_delay_alu instid0(VALU_DEP_3) | instskip(NEXT) | instid1(VALU_DEP_2)
	v_cmp_gt_i32_e32 vcc_lo, 32, v4
	v_dual_lshlrev_b32 v2, 2, v2 :: v_dual_cndmask_b32 v4, v27, v4, vcc_lo
	s_wait_dscnt 0x0
	ds_bpermute_b32 v3, v2, v29
	s_wait_dscnt 0x0
	v_dual_max_num_f32 v6, v3, v3 :: v_dual_lshlrev_b32 v3, 2, v4
	s_delay_alu instid0(VALU_DEP_1) | instskip(SKIP_4) | instid1(VALU_DEP_1)
	v_dual_max_num_f32 v4, v5, v6 :: v_dual_bitop2_b32 v6, 4, v27 bitop3:0x14
	ds_bpermute_b32 v5, v3, v4
	v_cmp_gt_i32_e32 vcc_lo, 32, v6
	v_cndmask_b32_e32 v6, v27, v6, vcc_lo
	s_wait_dscnt 0x0
	v_dual_max_num_f32 v5, v5, v5 :: v_dual_lshlrev_b32 v6, 2, v6
	s_delay_alu instid0(VALU_DEP_1)
	v_max_num_f32_e32 v5, v4, v5
	v_lshlrev_b32_e32 v4, 2, v1
	v_cmp_eq_u32_e32 vcc_lo, 0, v26
	ds_bpermute_b32 v7, v6, v5
	s_wait_xcnt 0x0
	s_and_saveexec_b32 s0, vcc_lo
	s_cbranch_execz .LBB307_214
; %bb.213:
	s_wait_dscnt 0x0
	v_dual_max_num_f32 v7, v7, v7 :: v_dual_max_num_f32 v5, v5, v5
	s_delay_alu instid0(VALU_DEP_1)
	v_max_num_f32_e32 v5, v5, v7
	ds_store_b32 v4, v5 offset:192
.LBB307_214:
	s_or_b32 exec_lo, exec_lo, s0
	v_cmp_gt_u32_e64 s0, 4, v26
	v_dual_mov_b32 v8, 0xff7fffff :: v_dual_lshlrev_b32 v5, 2, v26
	s_wait_dscnt 0x0
	s_barrier_signal -1
	s_barrier_wait -1
	s_and_saveexec_b32 s1, s0
; %bb.215:
	ds_load_b32 v8, v5 offset:192
; %bb.216:
	s_or_b32 exec_lo, exec_lo, s1
	s_wait_dscnt 0x0
	v_dual_max_num_f32 v11, v8, v8 :: v_dual_bitop2_b32 v7, 2, v27 bitop3:0x14
	v_xor_b32_e32 v10, 1, v27
	s_delay_alu instid0(VALU_DEP_2) | instskip(NEXT) | instid1(VALU_DEP_1)
	v_cmp_gt_i32_e64 s1, 32, v7
	v_cndmask_b32_e64 v7, v27, v7, s1
	s_delay_alu instid0(VALU_DEP_3) | instskip(NEXT) | instid1(VALU_DEP_2)
	v_cmp_gt_i32_e64 s1, 32, v10
	v_lshlrev_b32_e32 v7, 2, v7
	ds_bpermute_b32 v9, v7, v8
	v_cndmask_b32_e64 v8, v27, v10, s1
	s_lshl_b32 s1, s12, 3
	s_delay_alu instid0(SALU_CYCLE_1) | instskip(NEXT) | instid1(VALU_DEP_1)
	s_min_i32 s19, s1, s34
	v_lshlrev_b32_e32 v8, 2, v8
	v_cmp_gt_i32_e64 s1, s19, v0
	s_wait_dscnt 0x0
	v_max_num_f32_e32 v9, v9, v9
	s_delay_alu instid0(VALU_DEP_1) | instskip(SKIP_3) | instid1(VALU_DEP_1)
	v_max_num_f32_e32 v9, v11, v9
	ds_bpermute_b32 v10, v8, v9
	s_wait_dscnt 0x0
	v_max_num_f32_e32 v10, v10, v10
	v_dual_max_num_f32 v10, v9, v10 :: v_dual_mov_b32 v9, 0
	ds_bpermute_b32 v10, v9, v10
	s_and_saveexec_b32 s27, s1
	s_cbranch_execz .LBB307_220
; %bb.217:
	v_lshl_add_u32 v11, v0, 2, 0xe0
	v_dual_mov_b32 v9, 0 :: v_dual_mov_b32 v12, v0
	s_mov_b32 s28, 0
.LBB307_218:                            ; =>This Inner Loop Header: Depth=1
	ds_load_b32 v13, v11
	v_add_nc_u32_e32 v12, 0x80, v12
	s_delay_alu instid0(VALU_DEP_1) | instskip(SKIP_3) | instid1(VALU_DEP_1)
	v_cmp_le_i32_e64 s3, s19, v12
	s_or_b32 s28, s3, s28
	s_wait_dscnt 0x0
	v_sub_f32_e32 v13, v13, v10
	v_mul_f32_e32 v13, 0x3fb8aa3b, v13
	s_delay_alu instid0(VALU_DEP_1)
	v_exp_f32_e32 v13, v13
	ds_store_b32 v11, v13
	v_nop
	v_add_f32_e32 v9, v9, v13
	v_add_nc_u32_e32 v11, 0x200, v11
	s_and_not1_b32 exec_lo, exec_lo, s28
	s_cbranch_execnz .LBB307_218
; %bb.219:
	s_or_b32 exec_lo, exec_lo, s28
.LBB307_220:
	s_delay_alu instid0(SALU_CYCLE_1)
	s_or_b32 exec_lo, exec_lo, s27
	ds_bpermute_b32 v2, v2, v9
	s_wait_dscnt 0x0
	v_add_f32_e32 v2, v9, v2
	ds_bpermute_b32 v3, v3, v2
	s_wait_dscnt 0x0
	v_add_f32_e32 v2, v2, v3
	;; [unrolled: 3-line block ×5, first 2 shown]
	s_and_saveexec_b32 s3, vcc_lo
; %bb.221:
	ds_store_b32 v4, v2 offset:208
; %bb.222:
	s_or_b32 exec_lo, exec_lo, s3
	s_wait_dscnt 0x0
	s_barrier_signal -1
	s_barrier_wait -1
	s_and_saveexec_b32 s3, s0
; %bb.223:
	ds_load_b32 v2, v5 offset:208
; %bb.224:
	s_or_b32 exec_lo, exec_lo, s3
	s_wait_dscnt 0x0
	ds_bpermute_b32 v3, v7, v2
	s_wait_dscnt 0x0
	v_dual_mov_b32 v27, 0 :: v_dual_add_f32 v2, v2, v3
	ds_bpermute_b32 v3, v8, v2
	s_wait_dscnt 0x0
	v_add_f32_e32 v2, v2, v3
	ds_bpermute_b32 v2, v27, v2
	s_and_saveexec_b32 s0, s1
	s_cbranch_execz .LBB307_237
; %bb.225:
	s_wait_dscnt 0x0
	v_add_f32_e32 v2, 0x358637bd, v2
	s_mov_b32 s3, -1
	s_mov_b32 s1, exec_lo
	s_delay_alu instid0(VALU_DEP_1) | instskip(NEXT) | instid1(VALU_DEP_1)
	v_div_scale_f32 v3, null, v2, v2, 1.0
	v_rcp_f32_e32 v5, v3
	v_nop
	s_delay_alu instid0(TRANS32_DEP_1) | instskip(NEXT) | instid1(VALU_DEP_1)
	v_fma_f32 v4, -v3, v5, 1.0
	v_fmac_f32_e32 v5, v4, v5
	v_div_scale_f32 v6, vcc_lo, 1.0, v2, 1.0
	s_delay_alu instid0(VALU_DEP_1) | instskip(NEXT) | instid1(VALU_DEP_1)
	v_mul_f32_e32 v7, v6, v5
	v_fma_f32 v4, -v3, v7, v6
	s_delay_alu instid0(VALU_DEP_1) | instskip(SKIP_1) | instid1(VALU_DEP_2)
	v_fmac_f32_e32 v7, v4, v5
	v_xad_u32 v4, v0, -1, s19
	v_fma_f32 v3, -v3, v7, v6
	s_delay_alu instid0(VALU_DEP_1) | instskip(NEXT) | instid1(VALU_DEP_1)
	v_div_fmas_f32 v3, v3, v5, v7
	v_div_fixup_f32 v2, v3, v2, 1.0
	v_mov_b32_e32 v3, v0
	v_cmpx_lt_u32_e32 0x7f, v4
	s_cbranch_execz .LBB307_234
; %bb.226:
	s_delay_alu instid0(VALU_DEP_3) | instskip(NEXT) | instid1(VALU_DEP_1)
	v_dual_mov_b32 v3, v2 :: v_dual_lshrrev_b32 v4, 7, v4
	v_dual_mov_b32 v8, 0 :: v_dual_add_nc_u32 v5, -1, v4
	s_delay_alu instid0(VALU_DEP_1) | instskip(SKIP_1) | instid1(VALU_DEP_2)
	v_lshrrev_b32_e32 v6, 1, v5
	v_cmp_lt_u32_e32 vcc_lo, 13, v5
	v_add_nc_u32_e32 v5, 1, v6
	s_and_saveexec_b32 s3, vcc_lo
	s_cbranch_execz .LBB307_230
; %bb.227:
	s_delay_alu instid0(VALU_DEP_1)
	v_and_b32_e32 v6, -8, v5
	v_lshl_add_u32 v7, v0, 2, 0xe0
	s_mov_b32 s27, 0
	s_mov_b32 s28, 0
.LBB307_228:                            ; =>This Inner Loop Header: Depth=1
	ds_load_2addr_stride64_b32 v[8:9], v7 offset1:2
	ds_load_2addr_stride64_b32 v[10:11], v7 offset0:4 offset1:6
	ds_load_2addr_stride64_b32 v[12:13], v7 offset0:8 offset1:10
	;; [unrolled: 1-line block ×7, first 2 shown]
	s_add_co_i32 s28, s28, 16
	v_add_nc_u32_e32 v6, -8, v6
	s_wait_dscnt 0x7
	v_pk_mul_f32 v[8:9], v[2:3], v[8:9]
	s_wait_dscnt 0x6
	v_pk_mul_f32 v[10:11], v[2:3], v[10:11]
	;; [unrolled: 2-line block ×8, first 2 shown]
	ds_store_2addr_stride64_b32 v7, v8, v9 offset1:2
	ds_store_2addr_stride64_b32 v7, v10, v11 offset0:4 offset1:6
	ds_store_2addr_stride64_b32 v7, v12, v13 offset0:8 offset1:10
	;; [unrolled: 1-line block ×7, first 2 shown]
	v_mov_b32_e32 v8, s28
	v_cmp_eq_u32_e32 vcc_lo, 0, v6
	v_add_nc_u32_e32 v7, 0x2000, v7
	s_or_b32 s27, vcc_lo, s27
	s_delay_alu instid0(SALU_CYCLE_1)
	s_and_not1_b32 exec_lo, exec_lo, s27
	s_cbranch_execnz .LBB307_228
; %bb.229:
	s_or_b32 exec_lo, exec_lo, s27
.LBB307_230:
	s_delay_alu instid0(SALU_CYCLE_1) | instskip(NEXT) | instid1(VALU_DEP_1)
	s_or_b32 exec_lo, exec_lo, s3
	v_and_b32_e32 v5, 7, v5
	s_mov_b32 s27, 0
	s_mov_b32 s3, exec_lo
	s_delay_alu instid0(VALU_DEP_1)
	v_cmpx_ne_u32_e32 0, v5
	s_cbranch_execz .LBB307_233
; %bb.231:
	v_lshlrev_b32_e32 v6, 9, v8
	v_lshlrev_b32_e32 v7, 2, v0
	s_delay_alu instid0(VALU_DEP_1)
	v_add3_u32 v6, v6, v7, 0xe0
.LBB307_232:                            ; =>This Inner Loop Header: Depth=1
	ds_load_2addr_stride64_b32 v[8:9], v6 offset1:2
	v_add_nc_u32_e32 v5, -1, v5
	s_delay_alu instid0(VALU_DEP_1)
	v_cmp_eq_u32_e32 vcc_lo, 0, v5
	s_or_b32 s27, vcc_lo, s27
	s_wait_dscnt 0x0
	v_pk_mul_f32 v[8:9], v[2:3], v[8:9]
	ds_store_2addr_stride64_b32 v6, v8, v9 offset1:2
	v_add_nc_u32_e32 v6, 0x400, v6
	s_and_not1_b32 exec_lo, exec_lo, s27
	s_cbranch_execnz .LBB307_232
.LBB307_233:
	s_or_b32 exec_lo, exec_lo, s3
	v_add_nc_u32_e32 v3, 1, v4
	s_delay_alu instid0(VALU_DEP_1) | instskip(NEXT) | instid1(VALU_DEP_1)
	v_and_b32_e32 v4, 0x3fffffe, v3
	v_cmp_ne_u32_e32 vcc_lo, v3, v4
	v_lshl_add_u32 v3, v4, 7, v0
	s_or_not1_b32 s3, vcc_lo, exec_lo
.LBB307_234:
	s_or_b32 exec_lo, exec_lo, s1
	s_delay_alu instid0(SALU_CYCLE_1)
	s_and_b32 exec_lo, exec_lo, s3
	s_cbranch_execz .LBB307_237
; %bb.235:
	v_lshl_add_u32 v4, v3, 2, 0xe0
	s_mov_b32 s1, 0
.LBB307_236:                            ; =>This Inner Loop Header: Depth=1
	ds_load_b32 v5, v4
	v_add_nc_u32_e32 v3, 0x80, v3
	s_delay_alu instid0(VALU_DEP_1)
	v_cmp_le_i32_e32 vcc_lo, s19, v3
	s_or_b32 s1, vcc_lo, s1
	s_wait_dscnt 0x0
	v_mul_f32_e32 v5, v2, v5
	ds_store_b32 v4, v5
	v_add_nc_u32_e32 v4, 0x200, v4
	s_and_not1_b32 exec_lo, exec_lo, s1
	s_cbranch_execnz .LBB307_236
.LBB307_237:
	s_or_b32 exec_lo, exec_lo, s0
	v_mov_b64_e32 v[10:11], 0
	s_wait_dscnt 0x0
	s_barrier_signal -1
	s_barrier_wait -1
	s_and_saveexec_b32 s1, s2
	s_cbranch_execz .LBB307_429
; %bb.238:
	s_abs_i32 s14, s14
	v_dual_mov_b32 v13, 0 :: v_dual_lshlrev_b32 v12, 3, v26
	s_cvt_f32_u32 s0, s14
	s_ashr_i32 s19, s18, 31
	s_lshl_b64 s[24:25], s[24:25], 2
	s_wait_kmcnt 0x0
	s_add_nc_u64 s[8:9], s[8:9], s[18:19]
	v_rcp_iflag_f32_e32 v2, s0
	v_add_nc_u64_e32 v[16:17], s[8:9], v[12:13]
	v_and_b32_e32 v12, 0x7c, v15
	s_add_nc_u64 s[8:9], s[22:23], s[24:25]
	s_sub_co_i32 s18, 0, s14
	v_mov_b64_e32 v[10:11], 0
	v_lshl_add_u32 v28, v1, 5, 0xe0
	v_readfirstlane_b32 s0, v2
	v_add_nc_u64_e32 v[18:19], s[8:9], v[12:13]
	v_dual_mov_b32 v27, 0 :: v_dual_mov_b32 v29, v1
	s_mov_b32 s9, 0
	s_mul_f32 s0, s0, 0x4f7ffffe
	s_sub_co_i32 s13, s26, s13
	s_add_co_i32 s26, s12, -1
	s_mov_b64 s[2:3], 0xffffffffffffff
	s_cvt_u32_f32 s0, s0
	s_delay_alu instid0(SALU_CYCLE_3) | instskip(NEXT) | instid1(SALU_CYCLE_1)
	s_mul_i32 s18, s18, s0
	s_mul_hi_u32 s8, s0, s18
	s_mov_b32 s18, s9
	s_add_co_i32 s8, s0, s8
	s_branch .LBB307_241
.LBB307_239:                            ;   in Loop: Header=BB307_241 Depth=1
	s_or_b32 exec_lo, exec_lo, s0
	s_wait_dscnt 0x1
	v_cvt_pk_bf16_f32 v6, v6, v7
	v_perm_b32 v7, v48, v49, 0x5040100
	v_cvt_pk_bf16_f32 v8, v8, v9
	v_perm_b32 v9, v46, v47, 0x5040100
	s_wait_dscnt 0x0
	v_cvt_pk_bf16_f32 v2, v2, v3
	v_perm_b32 v3, v44, v45, 0x5040100
	v_pk_mul_bf16 v7, v6, v7
	v_cvt_pk_bf16_f32 v4, v4, v5
	v_pk_mul_bf16 v9, v8, v9
	v_perm_b32 v35, v35, v36, 0x5040100
	v_pk_mul_bf16 v3, v2, v3
	v_lshlrev_b32_e32 v37, 16, v7
	v_and_b32_e32 v7, 0xffff0000, v7
	v_lshlrev_b32_e32 v38, 16, v9
	v_and_b32_e32 v9, 0xffff0000, v9
	v_perm_b32 v24, v25, v24, 0x5040100
	v_perm_b32 v25, v33, v34, 0x5040100
	v_add_f32_e32 v5, v37, v7
	v_perm_b32 v15, v15, v30, 0x5040100
	v_dual_add_f32 v7, v38, v9 :: v_dual_lshlrev_b32 v9, 16, v3
	v_and_b32_e32 v3, 0xffff0000, v3
	v_pk_mul_bf16 v24, v4, v24
	s_delay_alu instid0(VALU_DEP_4) | instskip(NEXT) | instid1(VALU_DEP_4)
	v_pk_mul_bf16 v15, v2, v15
	v_add_f32_e32 v5, v7, v5
	v_pk_mul_bf16 v7, v6, v35
	v_add_f32_e32 v3, v9, v3
	v_pk_mul_bf16 v9, v8, v25
	v_perm_b32 v20, v20, v22, 0x5040100
	v_perm_b32 v30, v32, v31, 0x5040100
	v_lshlrev_b32_e32 v22, 16, v15
	v_and_b32_e32 v15, 0xffff0000, v15
	v_lshlrev_b32_e32 v25, 16, v9
	v_dual_add_f32 v3, v3, v5 :: v_dual_lshlrev_b32 v5, 16, v7
	v_and_b32_e32 v7, 0xffff0000, v7
	v_and_b32_e32 v9, 0xffff0000, v9
	v_lshlrev_b32_e32 v33, 16, v24
	v_pk_mul_bf16 v2, v2, v20
	s_delay_alu instid0(VALU_DEP_4) | instskip(NEXT) | instid1(VALU_DEP_4)
	v_add_f32_e32 v5, v5, v7
	v_add_f32_e32 v7, v25, v9
	v_perm_b32 v25, v51, v50, 0x5040100
	v_and_b32_e32 v9, 0xffff0000, v24
	v_pk_mul_bf16 v24, v4, v30
	s_delay_alu instid0(VALU_DEP_3) | instskip(SKIP_2) | instid1(VALU_DEP_1)
	v_pk_mul_bf16 v6, v6, v25
	v_add_f32_e32 v5, v7, v5
	v_perm_b32 v7, v23, v52, 0x5040100
	v_pk_mul_bf16 v7, v8, v7
	v_perm_b32 v8, v21, v12, 0x5040100
	v_lshlrev_b32_e32 v12, 16, v6
	v_and_b32_e32 v6, 0xffff0000, v6
	s_delay_alu instid0(VALU_DEP_4) | instskip(SKIP_4) | instid1(VALU_DEP_4)
	v_lshlrev_b32_e32 v20, 16, v7
	v_and_b32_e32 v7, 0xffff0000, v7
	v_pk_mul_bf16 v4, v4, v8
	v_dual_add_f32 v15, v22, v15 :: v_dual_lshlrev_b32 v8, 16, v2
	v_add_f32_e32 v6, v6, v12
	v_add_f32_e32 v7, v7, v20
	v_and_b32_e32 v2, 0xffff0000, v2
	v_lshlrev_b32_e32 v12, 16, v24
	v_and_b32_e32 v20, 0xffff0000, v24
	v_dual_lshlrev_b32 v21, 16, v4 :: v_dual_add_f32 v5, v15, v5
	v_add_f32_e32 v6, v7, v6
	v_and_b32_e32 v4, 0xffff0000, v4
	v_dual_add_f32 v2, v2, v8 :: v_dual_add_f32 v7, v33, v9
	s_delay_alu instid0(VALU_DEP_2) | instskip(NEXT) | instid1(VALU_DEP_2)
	v_add_f32_e32 v4, v4, v21
	v_dual_add_f32 v8, v12, v20 :: v_dual_add_f32 v2, v2, v6
	s_delay_alu instid0(VALU_DEP_1) | instskip(NEXT) | instid1(VALU_DEP_1)
	v_dual_add_f32 v3, v7, v3 :: v_dual_add_f32 v5, v8, v5
	v_dual_add_f32 v2, v4, v2 :: v_dual_add_f32 v11, v11, v3
	s_delay_alu instid0(VALU_DEP_1)
	v_dual_add_f32 v10, v10, v5 :: v_dual_add_f32 v27, v27, v2
.LBB307_240:                            ;   in Loop: Header=BB307_241 Depth=1
	s_or_b32 exec_lo, exec_lo, s19
	v_dual_add_nc_u32 v29, 4, v29 :: v_dual_add_nc_u32 v14, 32, v14
	v_add_nc_u64_e32 v[18:19], 16, v[18:19]
	v_add_nc_u32_e32 v28, 0x80, v28
	s_delay_alu instid0(VALU_DEP_3) | instskip(SKIP_1) | instid1(SALU_CYCLE_1)
	v_cmp_le_i32_e32 vcc_lo, s12, v29
	s_or_b32 s18, vcc_lo, s18
	s_and_not1_b32 exec_lo, exec_lo, s18
	s_cbranch_execz .LBB307_428
.LBB307_241:                            ; =>This Inner Loop Header: Depth=1
	v_mov_b32_e32 v15, v13
	s_delay_alu instid0(VALU_DEP_1) | instskip(NEXT) | instid1(VALU_DEP_1)
	v_mul_u64_e32 v[2:3], s[20:21], v[14:15]
	v_mul_lo_u32 v2, v3, s16
	s_delay_alu instid0(VALU_DEP_1) | instskip(NEXT) | instid1(VALU_DEP_1)
	v_sub_nc_u32_e32 v2, v14, v2
	v_subrev_nc_u32_e32 v5, s16, v2
	v_cmp_le_u32_e32 vcc_lo, s16, v2
	s_delay_alu instid0(VALU_DEP_2) | instskip(NEXT) | instid1(VALU_DEP_1)
	v_dual_add_nc_u32 v4, 1, v3 :: v_dual_cndmask_b32 v2, v2, v5, vcc_lo
	v_cndmask_b32_e32 v3, v3, v4, vcc_lo
	s_delay_alu instid0(VALU_DEP_2) | instskip(NEXT) | instid1(VALU_DEP_2)
	v_cmp_le_u32_e32 vcc_lo, s16, v2
	v_add_nc_u32_e32 v4, 1, v3
	s_delay_alu instid0(VALU_DEP_1) | instskip(NEXT) | instid1(VALU_DEP_1)
	v_cndmask_b32_e32 v2, v3, v4, vcc_lo
	v_xor_b32_e32 v2, s15, v2
	s_delay_alu instid0(VALU_DEP_1) | instskip(NEXT) | instid1(VALU_DEP_1)
	v_subrev_nc_u32_e32 v4, s15, v2
	v_add_nc_u32_e32 v5, s35, v4
	v_cmp_lt_i32_e64 s0, s13, v4
	s_delay_alu instid0(VALU_DEP_2) | instskip(NEXT) | instid1(VALU_DEP_1)
	v_sub_nc_u32_e32 v2, 0, v5
	v_dual_ashrrev_i32 v5, 31, v5 :: v_dual_max_i32 v12, v5, v2
	s_delay_alu instid0(VALU_DEP_1) | instskip(NEXT) | instid1(VALU_DEP_1)
	v_mul_u64_e32 v[2:3], s[8:9], v[12:13]
	v_mul_lo_u32 v2, v3, s14
	s_delay_alu instid0(VALU_DEP_1) | instskip(NEXT) | instid1(VALU_DEP_1)
	v_sub_nc_u32_e32 v2, v12, v2
	v_subrev_nc_u32_e32 v3, s14, v2
	v_cmp_le_u32_e32 vcc_lo, s14, v2
	s_delay_alu instid0(VALU_DEP_2) | instskip(NEXT) | instid1(VALU_DEP_1)
	v_cndmask_b32_e32 v2, v2, v3, vcc_lo
	v_subrev_nc_u32_e32 v3, s14, v2
	v_cmp_le_u32_e32 vcc_lo, s14, v2
	s_delay_alu instid0(VALU_DEP_2) | instskip(NEXT) | instid1(VALU_DEP_1)
	v_cndmask_b32_e32 v2, v2, v3, vcc_lo
	v_xor_b32_e32 v2, v2, v5
	s_delay_alu instid0(VALU_DEP_1) | instskip(NEXT) | instid1(VALU_DEP_1)
	v_sub_nc_u32_e32 v2, v2, v5
	v_cmp_eq_u32_e32 vcc_lo, 0, v2
	s_or_b32 s0, vcc_lo, s0
	s_delay_alu instid0(SALU_CYCLE_1)
	s_and_saveexec_b32 s19, s0
	s_cbranch_execz .LBB307_240
; %bb.242:                              ;   in Loop: Header=BB307_241 Depth=1
	global_load_b32 v2, v[18:19], off
	v_dual_mov_b32 v32, 0 :: v_dual_mov_b32 v31, 0
	s_mov_b32 s0, exec_lo
	s_wait_loadcnt 0x0
	v_mad_nc_i64_i32 v[20:21], v2, s17, v[16:17]
	global_load_b64 v[22:23], v[20:21], off
	ds_load_2addr_b64 v[6:9], v28 offset1:1
	ds_load_2addr_b64 v[2:5], v28 offset0:2 offset1:3
	s_load_b32 s22, s[10:11], 0x0
	s_wait_loadcnt 0x0
	v_and_b32_e32 v12, 0xff, v22
	s_delay_alu instid0(VALU_DEP_1)
	v_cmpx_ne_u16_e32 0, v12
	s_cbranch_execz .LBB307_248
; %bb.243:                              ;   in Loop: Header=BB307_241 Depth=1
	v_bfrev_b32_e32 v31, 1
	s_mov_b32 s23, exec_lo
	v_cmpx_ne_u16_e32 0x80, v12
	s_cbranch_execz .LBB307_247
; %bb.244:                              ;   in Loop: Header=BB307_241 Depth=1
	v_and_b32_e32 v12, 0x7f, v22
	v_mov_b32_e32 v31, 0x7f800001
	s_mov_b32 s24, exec_lo
	s_delay_alu instid0(VALU_DEP_2)
	v_cmpx_ne_u32_e32 0x7f, v12
	s_cbranch_execz .LBB307_246
; %bb.245:                              ;   in Loop: Header=BB307_241 Depth=1
	v_dual_lshrrev_b32 v24, 3, v12 :: v_dual_bitop2_b32 v15, 7, v22 bitop3:0x40
	v_cmp_gt_u32_e32 vcc_lo, 8, v12
	s_delay_alu instid0(VALU_DEP_2) | instskip(NEXT) | instid1(VALU_DEP_1)
	v_clz_i32_u32_e32 v15, v15
	v_min_u32_e32 v15, 32, v15
	s_delay_alu instid0(VALU_DEP_1) | instskip(SKIP_1) | instid1(VALU_DEP_1)
	v_subrev_nc_u32_e32 v25, 28, v15
	v_sub_nc_u32_e32 v15, 29, v15
	v_dual_cndmask_b32 v12, v24, v15 :: v_dual_cndmask_b32 v15, 0, v25
	s_delay_alu instid0(VALU_DEP_1) | instskip(NEXT) | instid1(VALU_DEP_2)
	v_lshl_add_u32 v12, v12, 23, 0x3c000000
	v_lshlrev_b64_e32 v[24:25], v15, v[22:23]
	v_lshlrev_b32_e32 v15, 24, v22
	s_delay_alu instid0(VALU_DEP_1) | instskip(NEXT) | instid1(VALU_DEP_3)
	v_and_b32_e32 v15, 0x80000000, v15
	v_lshlrev_b32_e32 v24, 20, v24
	s_delay_alu instid0(VALU_DEP_1) | instskip(NEXT) | instid1(VALU_DEP_1)
	v_and_b32_e32 v24, 0x700000, v24
	v_or3_b32 v31, v24, v15, v12
.LBB307_246:                            ;   in Loop: Header=BB307_241 Depth=1
	s_or_b32 exec_lo, exec_lo, s24
.LBB307_247:                            ;   in Loop: Header=BB307_241 Depth=1
	s_delay_alu instid0(SALU_CYCLE_1)
	s_or_b32 exec_lo, exec_lo, s23
.LBB307_248:                            ;   in Loop: Header=BB307_241 Depth=1
	s_delay_alu instid0(SALU_CYCLE_1) | instskip(SKIP_2) | instid1(VALU_DEP_1)
	s_or_b32 exec_lo, exec_lo, s0
	v_lshrrev_b16 v12, 8, v22
	s_mov_b32 s0, exec_lo
	v_cmpx_ne_u16_e32 0, v12
	s_cbranch_execz .LBB307_256
; %bb.249:                              ;   in Loop: Header=BB307_241 Depth=1
	v_bfrev_b32_e32 v32, 1
	s_mov_b32 s23, exec_lo
	v_cmpx_ne_u16_e32 0x80, v12
	s_cbranch_execz .LBB307_255
; %bb.250:                              ;   in Loop: Header=BB307_241 Depth=1
	v_and_b32_e32 v12, 0xffff, v12
	v_mov_b32_e32 v32, 0x7f800001
	s_mov_b32 s24, exec_lo
	s_delay_alu instid0(VALU_DEP_2) | instskip(NEXT) | instid1(VALU_DEP_1)
	v_and_b32_e32 v24, 0x7f, v12
	v_cmpx_ne_u32_e32 0x7f, v24
	s_cbranch_execz .LBB307_254
; %bb.251:                              ;   in Loop: Header=BB307_241 Depth=1
	v_and_b32_e32 v12, 7, v12
	v_lshrrev_b32_e32 v15, 3, v24
	s_mov_b32 s25, exec_lo
	v_cmpx_gt_u32_e32 8, v24
; %bb.252:                              ;   in Loop: Header=BB307_241 Depth=1
	s_delay_alu instid0(VALU_DEP_3) | instskip(NEXT) | instid1(VALU_DEP_1)
	v_clz_i32_u32_e32 v15, v12
	v_min_u32_e32 v15, 32, v15
	s_delay_alu instid0(VALU_DEP_1) | instskip(NEXT) | instid1(VALU_DEP_1)
	v_subrev_nc_u32_e32 v24, 28, v15
	v_lshlrev_b64_e32 v[24:25], v24, v[12:13]
	s_delay_alu instid0(VALU_DEP_1)
	v_dual_sub_nc_u32 v15, 29, v15 :: v_dual_bitop2_b32 v12, 7, v24 bitop3:0x40
; %bb.253:                              ;   in Loop: Header=BB307_241 Depth=1
	s_or_b32 exec_lo, exec_lo, s25
	s_delay_alu instid0(VALU_DEP_1) | instskip(NEXT) | instid1(VALU_DEP_2)
	v_dual_lshlrev_b32 v24, 16, v22 :: v_dual_lshlrev_b32 v12, 20, v12
	v_lshl_add_u32 v15, v15, 23, 0x3c000000
	s_delay_alu instid0(VALU_DEP_2) | instskip(NEXT) | instid1(VALU_DEP_1)
	v_and_b32_e32 v24, 0x80000000, v24
	v_or3_b32 v32, v12, v24, v15
.LBB307_254:                            ;   in Loop: Header=BB307_241 Depth=1
	s_or_b32 exec_lo, exec_lo, s24
.LBB307_255:                            ;   in Loop: Header=BB307_241 Depth=1
	s_delay_alu instid0(SALU_CYCLE_1)
	s_or_b32 exec_lo, exec_lo, s23
.LBB307_256:                            ;   in Loop: Header=BB307_241 Depth=1
	s_delay_alu instid0(SALU_CYCLE_1) | instskip(SKIP_3) | instid1(VALU_DEP_2)
	s_or_b32 exec_lo, exec_lo, s0
	v_dual_lshrrev_b32 v15, 16, v22 :: v_dual_mov_b32 v33, 0
	v_mov_b32_e32 v34, 0
	s_mov_b32 s0, exec_lo
	v_and_b32_e32 v12, 0xff, v15
	s_delay_alu instid0(VALU_DEP_1)
	v_cmpx_ne_u16_e32 0, v12
	s_cbranch_execz .LBB307_264
; %bb.257:                              ;   in Loop: Header=BB307_241 Depth=1
	v_bfrev_b32_e32 v34, 1
	s_mov_b32 s23, exec_lo
	v_cmpx_ne_u16_e32 0x80, v12
	s_cbranch_execz .LBB307_263
; %bb.258:                              ;   in Loop: Header=BB307_241 Depth=1
	v_bfe_u32 v25, v22, 16, 7
	v_mov_b32_e32 v34, 0x7f800001
	s_mov_b32 s24, exec_lo
	s_delay_alu instid0(VALU_DEP_2)
	v_cmpx_ne_u32_e32 0x7f, v25
	s_cbranch_execz .LBB307_262
; %bb.259:                              ;   in Loop: Header=BB307_241 Depth=1
	v_dual_lshrrev_b32 v24, 3, v25 :: v_dual_bitop2_b32 v12, 7, v15 bitop3:0x40
	s_mov_b32 s25, exec_lo
	v_cmpx_gt_u32_e32 8, v25
; %bb.260:                              ;   in Loop: Header=BB307_241 Depth=1
	s_delay_alu instid0(VALU_DEP_2) | instskip(NEXT) | instid1(VALU_DEP_1)
	v_clz_i32_u32_e32 v24, v12
	v_min_u32_e32 v24, 32, v24
	s_delay_alu instid0(VALU_DEP_1) | instskip(NEXT) | instid1(VALU_DEP_1)
	v_subrev_nc_u32_e32 v25, 28, v24
	v_lshlrev_b64_e32 v[34:35], v25, v[12:13]
	s_delay_alu instid0(VALU_DEP_1)
	v_dual_sub_nc_u32 v24, 29, v24 :: v_dual_bitop2_b32 v12, 7, v34 bitop3:0x40
; %bb.261:                              ;   in Loop: Header=BB307_241 Depth=1
	s_or_b32 exec_lo, exec_lo, s25
	s_delay_alu instid0(VALU_DEP_1) | instskip(NEXT) | instid1(VALU_DEP_2)
	v_dual_lshlrev_b32 v15, 24, v15 :: v_dual_lshlrev_b32 v12, 20, v12
	v_lshl_add_u32 v24, v24, 23, 0x3c000000
	s_delay_alu instid0(VALU_DEP_2) | instskip(NEXT) | instid1(VALU_DEP_1)
	v_and_b32_e32 v15, 0x80000000, v15
	v_or3_b32 v34, v12, v15, v24
.LBB307_262:                            ;   in Loop: Header=BB307_241 Depth=1
	s_or_b32 exec_lo, exec_lo, s24
.LBB307_263:                            ;   in Loop: Header=BB307_241 Depth=1
	s_delay_alu instid0(SALU_CYCLE_1)
	s_or_b32 exec_lo, exec_lo, s23
.LBB307_264:                            ;   in Loop: Header=BB307_241 Depth=1
	s_delay_alu instid0(SALU_CYCLE_1) | instskip(NEXT) | instid1(SALU_CYCLE_1)
	s_or_b32 exec_lo, exec_lo, s0
	s_mov_b32 s0, exec_lo
	v_cmpx_lt_u32_e32 0xffffff, v22
	s_cbranch_execz .LBB307_272
; %bb.265:                              ;   in Loop: Header=BB307_241 Depth=1
	v_lshrrev_b32_e32 v15, 24, v22
	v_bfrev_b32_e32 v33, 1
	s_mov_b32 s23, exec_lo
	s_delay_alu instid0(VALU_DEP_2)
	v_cmpx_ne_u32_e32 0x80, v15
	s_cbranch_execz .LBB307_271
; %bb.266:                              ;   in Loop: Header=BB307_241 Depth=1
	v_bfe_u32 v25, v22, 24, 7
	v_mov_b32_e32 v33, 0x7f800001
	s_mov_b32 s24, exec_lo
	s_delay_alu instid0(VALU_DEP_2)
	v_cmpx_ne_u32_e32 0x7f, v25
	s_cbranch_execz .LBB307_270
; %bb.267:                              ;   in Loop: Header=BB307_241 Depth=1
	v_dual_lshrrev_b32 v24, 3, v25 :: v_dual_bitop2_b32 v12, 7, v15 bitop3:0x40
	s_mov_b32 s25, exec_lo
	v_cmpx_gt_u32_e32 8, v25
; %bb.268:                              ;   in Loop: Header=BB307_241 Depth=1
	s_delay_alu instid0(VALU_DEP_2) | instskip(NEXT) | instid1(VALU_DEP_1)
	v_clz_i32_u32_e32 v24, v12
	v_min_u32_e32 v24, 32, v24
	s_delay_alu instid0(VALU_DEP_1) | instskip(SKIP_1) | instid1(VALU_DEP_2)
	v_subrev_nc_u32_e32 v25, 28, v24
	v_sub_nc_u32_e32 v24, 29, v24
	v_lshlrev_b64_e32 v[36:37], v25, v[12:13]
	s_delay_alu instid0(VALU_DEP_1)
	v_and_b32_e32 v12, 7, v36
; %bb.269:                              ;   in Loop: Header=BB307_241 Depth=1
	s_or_b32 exec_lo, exec_lo, s25
	s_delay_alu instid0(VALU_DEP_1) | instskip(SKIP_1) | instid1(VALU_DEP_2)
	v_dual_lshlrev_b32 v15, 24, v15 :: v_dual_lshlrev_b32 v12, 20, v12
	v_lshl_add_u32 v24, v24, 23, 0x3c000000
	v_and_b32_e32 v15, 0x80000000, v15
	s_delay_alu instid0(VALU_DEP_1)
	v_or3_b32 v33, v12, v15, v24
.LBB307_270:                            ;   in Loop: Header=BB307_241 Depth=1
	s_or_b32 exec_lo, exec_lo, s24
.LBB307_271:                            ;   in Loop: Header=BB307_241 Depth=1
	s_delay_alu instid0(SALU_CYCLE_1)
	s_or_b32 exec_lo, exec_lo, s23
.LBB307_272:                            ;   in Loop: Header=BB307_241 Depth=1
	s_delay_alu instid0(SALU_CYCLE_1) | instskip(SKIP_4) | instid1(VALU_DEP_3)
	s_or_b32 exec_lo, exec_lo, s0
	v_and_b32_e32 v24, 0xff, v23
	v_dual_mov_b32 v12, v23 :: v_dual_mov_b32 v15, 0
	v_mov_b32_e32 v30, 0
	s_mov_b32 s0, exec_lo
	v_cmpx_ne_u16_e32 0, v24
	s_cbranch_execz .LBB307_278
; %bb.273:                              ;   in Loop: Header=BB307_241 Depth=1
	v_bfrev_b32_e32 v30, 1
	s_mov_b32 s23, exec_lo
	v_cmpx_ne_u16_e32 0x80, v24
	s_cbranch_execz .LBB307_277
; %bb.274:                              ;   in Loop: Header=BB307_241 Depth=1
	v_and_b32_e32 v24, 0x7f, v23
	v_mov_b32_e32 v30, 0x7f800001
	s_mov_b32 s24, exec_lo
	s_delay_alu instid0(VALU_DEP_2)
	v_cmpx_ne_u32_e32 0x7f, v24
	s_cbranch_execz .LBB307_276
; %bb.275:                              ;   in Loop: Header=BB307_241 Depth=1
	v_dual_lshrrev_b32 v30, 3, v24 :: v_dual_bitop2_b32 v25, 7, v23 bitop3:0x40
	v_cmp_gt_u32_e32 vcc_lo, 8, v24
	s_delay_alu instid0(VALU_DEP_2) | instskip(NEXT) | instid1(VALU_DEP_1)
	v_clz_i32_u32_e32 v25, v25
	v_min_u32_e32 v25, 32, v25
	s_delay_alu instid0(VALU_DEP_1) | instskip(NEXT) | instid1(VALU_DEP_1)
	v_subrev_nc_u32_e32 v35, 28, v25
	v_dual_cndmask_b32 v24, 0, v35 :: v_dual_sub_nc_u32 v25, 29, v25
	s_delay_alu instid0(VALU_DEP_1) | instskip(NEXT) | instid1(VALU_DEP_2)
	v_cndmask_b32_e32 v30, v30, v25, vcc_lo
	v_lshlrev_b64_e32 v[24:25], v24, v[12:13]
	v_lshlrev_b32_e32 v25, 24, v12
	s_delay_alu instid0(VALU_DEP_3) | instskip(NEXT) | instid1(VALU_DEP_2)
	v_lshl_add_u32 v30, v30, 23, 0x3c000000
	v_and_b32_e32 v25, 0x80000000, v25
	s_delay_alu instid0(VALU_DEP_4) | instskip(NEXT) | instid1(VALU_DEP_1)
	v_lshlrev_b32_e32 v24, 20, v24
	v_and_b32_e32 v24, 0x700000, v24
	s_delay_alu instid0(VALU_DEP_1)
	v_or3_b32 v30, v24, v25, v30
.LBB307_276:                            ;   in Loop: Header=BB307_241 Depth=1
	s_or_b32 exec_lo, exec_lo, s24
.LBB307_277:                            ;   in Loop: Header=BB307_241 Depth=1
	s_delay_alu instid0(SALU_CYCLE_1)
	s_or_b32 exec_lo, exec_lo, s23
.LBB307_278:                            ;   in Loop: Header=BB307_241 Depth=1
	s_delay_alu instid0(SALU_CYCLE_1) | instskip(SKIP_2) | instid1(VALU_DEP_1)
	s_or_b32 exec_lo, exec_lo, s0
	v_lshrrev_b16 v24, 8, v12
	s_mov_b32 s0, exec_lo
	v_cmpx_ne_u16_e32 0, v24
	s_cbranch_execz .LBB307_286
; %bb.279:                              ;   in Loop: Header=BB307_241 Depth=1
	v_bfrev_b32_e32 v15, 1
	s_mov_b32 s23, exec_lo
	v_cmpx_ne_u16_e32 0x80, v24
	s_cbranch_execz .LBB307_285
; %bb.280:                              ;   in Loop: Header=BB307_241 Depth=1
	v_and_b32_e32 v24, 0xffff, v24
	v_mov_b32_e32 v15, 0x7f800001
	s_mov_b32 s24, exec_lo
	s_delay_alu instid0(VALU_DEP_2) | instskip(NEXT) | instid1(VALU_DEP_1)
	v_and_b32_e32 v35, 0x7f, v24
	v_cmpx_ne_u32_e32 0x7f, v35
	s_cbranch_execz .LBB307_284
; %bb.281:                              ;   in Loop: Header=BB307_241 Depth=1
	v_dual_mov_b32 v25, v13 :: v_dual_bitop2_b32 v24, 7, v24 bitop3:0x40
	v_lshrrev_b32_e32 v15, 3, v35
	s_mov_b32 s25, exec_lo
	v_cmpx_gt_u32_e32 8, v35
; %bb.282:                              ;   in Loop: Header=BB307_241 Depth=1
	s_delay_alu instid0(VALU_DEP_3) | instskip(NEXT) | instid1(VALU_DEP_1)
	v_clz_i32_u32_e32 v15, v24
	v_min_u32_e32 v15, 32, v15
	s_delay_alu instid0(VALU_DEP_1) | instskip(NEXT) | instid1(VALU_DEP_1)
	v_subrev_nc_u32_e32 v35, 28, v15
	v_lshlrev_b64_e32 v[24:25], v35, v[24:25]
	s_delay_alu instid0(VALU_DEP_1)
	v_dual_sub_nc_u32 v15, 29, v15 :: v_dual_bitop2_b32 v24, 7, v24 bitop3:0x40
; %bb.283:                              ;   in Loop: Header=BB307_241 Depth=1
	s_or_b32 exec_lo, exec_lo, s25
	v_lshlrev_b32_e32 v12, 16, v12
	s_delay_alu instid0(VALU_DEP_2) | instskip(NEXT) | instid1(VALU_DEP_3)
	v_lshlrev_b32_e32 v24, 20, v24
	v_lshl_add_u32 v15, v15, 23, 0x3c000000
	s_delay_alu instid0(VALU_DEP_3) | instskip(NEXT) | instid1(VALU_DEP_1)
	v_and_b32_e32 v12, 0x80000000, v12
	v_or3_b32 v15, v24, v12, v15
.LBB307_284:                            ;   in Loop: Header=BB307_241 Depth=1
	s_or_b32 exec_lo, exec_lo, s24
.LBB307_285:                            ;   in Loop: Header=BB307_241 Depth=1
	s_delay_alu instid0(SALU_CYCLE_1)
	s_or_b32 exec_lo, exec_lo, s23
.LBB307_286:                            ;   in Loop: Header=BB307_241 Depth=1
	s_delay_alu instid0(SALU_CYCLE_1) | instskip(SKIP_3) | instid1(VALU_DEP_2)
	s_or_b32 exec_lo, exec_lo, s0
	v_dual_mov_b32 v24, 0 :: v_dual_lshrrev_b32 v35, 16, v23
	v_mov_b32_e32 v25, 0
	s_mov_b32 s0, exec_lo
	v_and_b32_e32 v12, 0xff, v35
	s_delay_alu instid0(VALU_DEP_1)
	v_cmpx_ne_u16_e32 0, v12
	s_cbranch_execz .LBB307_294
; %bb.287:                              ;   in Loop: Header=BB307_241 Depth=1
	v_bfrev_b32_e32 v25, 1
	s_mov_b32 s23, exec_lo
	v_cmpx_ne_u16_e32 0x80, v12
	s_cbranch_execz .LBB307_293
; %bb.288:                              ;   in Loop: Header=BB307_241 Depth=1
	v_bfe_u32 v36, v23, 16, 7
	v_mov_b32_e32 v25, 0x7f800001
	s_mov_b32 s24, exec_lo
	s_delay_alu instid0(VALU_DEP_2)
	v_cmpx_ne_u32_e32 0x7f, v36
	s_cbranch_execz .LBB307_292
; %bb.289:                              ;   in Loop: Header=BB307_241 Depth=1
	v_dual_lshrrev_b32 v25, 3, v36 :: v_dual_bitop2_b32 v12, 7, v35 bitop3:0x40
	s_mov_b32 s25, exec_lo
	v_cmpx_gt_u32_e32 8, v36
; %bb.290:                              ;   in Loop: Header=BB307_241 Depth=1
	s_delay_alu instid0(VALU_DEP_2) | instskip(NEXT) | instid1(VALU_DEP_1)
	v_clz_i32_u32_e32 v25, v12
	v_min_u32_e32 v25, 32, v25
	s_delay_alu instid0(VALU_DEP_1) | instskip(NEXT) | instid1(VALU_DEP_1)
	v_subrev_nc_u32_e32 v36, 28, v25
	v_lshlrev_b64_e32 v[36:37], v36, v[12:13]
	s_delay_alu instid0(VALU_DEP_1)
	v_dual_sub_nc_u32 v25, 29, v25 :: v_dual_bitop2_b32 v12, 7, v36 bitop3:0x40
; %bb.291:                              ;   in Loop: Header=BB307_241 Depth=1
	s_or_b32 exec_lo, exec_lo, s25
	s_delay_alu instid0(VALU_DEP_1) | instskip(NEXT) | instid1(VALU_DEP_2)
	v_dual_lshlrev_b32 v35, 24, v35 :: v_dual_lshlrev_b32 v12, 20, v12
	v_lshl_add_u32 v25, v25, 23, 0x3c000000
	s_delay_alu instid0(VALU_DEP_2) | instskip(NEXT) | instid1(VALU_DEP_1)
	v_and_b32_e32 v35, 0x80000000, v35
	v_or3_b32 v25, v12, v35, v25
.LBB307_292:                            ;   in Loop: Header=BB307_241 Depth=1
	s_or_b32 exec_lo, exec_lo, s24
.LBB307_293:                            ;   in Loop: Header=BB307_241 Depth=1
	s_delay_alu instid0(SALU_CYCLE_1)
	s_or_b32 exec_lo, exec_lo, s23
.LBB307_294:                            ;   in Loop: Header=BB307_241 Depth=1
	s_delay_alu instid0(SALU_CYCLE_1) | instskip(NEXT) | instid1(SALU_CYCLE_1)
	s_or_b32 exec_lo, exec_lo, s0
	s_mov_b32 s0, exec_lo
	v_cmpx_lt_u64_e64 s[2:3], v[22:23]
	s_cbranch_execz .LBB307_302
; %bb.295:                              ;   in Loop: Header=BB307_241 Depth=1
	v_lshrrev_b32_e32 v22, 24, v23
	v_bfrev_b32_e32 v24, 1
	s_mov_b32 s23, exec_lo
	s_delay_alu instid0(VALU_DEP_2)
	v_cmpx_ne_u32_e32 0x80, v22
	s_cbranch_execz .LBB307_301
; %bb.296:                              ;   in Loop: Header=BB307_241 Depth=1
	v_bfe_u32 v35, v23, 24, 7
	v_mov_b32_e32 v24, 0x7f800001
	s_mov_b32 s24, exec_lo
	s_delay_alu instid0(VALU_DEP_2)
	v_cmpx_ne_u32_e32 0x7f, v35
	s_cbranch_execz .LBB307_300
; %bb.297:                              ;   in Loop: Header=BB307_241 Depth=1
	v_dual_lshrrev_b32 v23, 3, v35 :: v_dual_bitop2_b32 v12, 7, v22 bitop3:0x40
	s_mov_b32 s25, exec_lo
	v_cmpx_gt_u32_e32 8, v35
; %bb.298:                              ;   in Loop: Header=BB307_241 Depth=1
	s_delay_alu instid0(VALU_DEP_2) | instskip(NEXT) | instid1(VALU_DEP_1)
	v_clz_i32_u32_e32 v23, v12
	v_min_u32_e32 v23, 32, v23
	s_delay_alu instid0(VALU_DEP_1) | instskip(NEXT) | instid1(VALU_DEP_1)
	v_subrev_nc_u32_e32 v24, 28, v23
	v_lshlrev_b64_e32 v[36:37], v24, v[12:13]
	s_delay_alu instid0(VALU_DEP_1)
	v_dual_sub_nc_u32 v23, 29, v23 :: v_dual_bitop2_b32 v12, 7, v36 bitop3:0x40
; %bb.299:                              ;   in Loop: Header=BB307_241 Depth=1
	s_or_b32 exec_lo, exec_lo, s25
	s_delay_alu instid0(VALU_DEP_1) | instskip(NEXT) | instid1(VALU_DEP_2)
	v_dual_lshlrev_b32 v22, 24, v22 :: v_dual_lshlrev_b32 v12, 20, v12
	v_lshl_add_u32 v23, v23, 23, 0x3c000000
	s_delay_alu instid0(VALU_DEP_2) | instskip(NEXT) | instid1(VALU_DEP_1)
	v_and_b32_e32 v22, 0x80000000, v22
	v_or3_b32 v24, v12, v22, v23
.LBB307_300:                            ;   in Loop: Header=BB307_241 Depth=1
	s_or_b32 exec_lo, exec_lo, s24
.LBB307_301:                            ;   in Loop: Header=BB307_241 Depth=1
	s_delay_alu instid0(SALU_CYCLE_1)
	s_or_b32 exec_lo, exec_lo, s23
.LBB307_302:                            ;   in Loop: Header=BB307_241 Depth=1
	s_delay_alu instid0(SALU_CYCLE_1)
	s_or_b32 exec_lo, exec_lo, s0
	v_cmp_eq_u32_e32 vcc_lo, s26, v29
	s_wait_kmcnt 0x0
	v_fma_mixlo_bf16 v15, s22, v15, 0
	v_fma_mixlo_bf16 v30, s22, v30, 0
	;; [unrolled: 1-line block ×8, first 2 shown]
	v_dual_add_nc_u32 v43, 1, v14 :: v_dual_add_nc_u32 v42, 2, v14
	v_dual_add_nc_u32 v41, 3, v14 :: v_dual_add_nc_u32 v40, 4, v14
	;; [unrolled: 1-line block ×3, first 2 shown]
	v_add_nc_u32_e32 v37, 7, v14
	s_and_saveexec_b32 s23, vcc_lo
	s_cbranch_execz .LBB307_304
; %bb.303:                              ;   in Loop: Header=BB307_241 Depth=1
	v_cmp_gt_i32_e64 s0, s34, v14
	s_delay_alu instid0(VALU_DEP_1) | instskip(SKIP_1) | instid1(VALU_DEP_1)
	v_cndmask_b32_e64 v36, 0, v36, s0
	v_cmp_gt_i32_e64 s0, s34, v43
	v_cndmask_b32_e64 v35, 0, v35, s0
	v_cmp_gt_i32_e64 s0, s34, v42
	s_delay_alu instid0(VALU_DEP_1) | instskip(SKIP_1) | instid1(VALU_DEP_1)
	v_cndmask_b32_e64 v34, 0, v34, s0
	v_cmp_gt_i32_e64 s0, s34, v41
	v_cndmask_b32_e64 v33, 0, v33, s0
	;; [unrolled: 5-line block ×4, first 2 shown]
.LBB307_304:                            ;   in Loop: Header=BB307_241 Depth=1
	s_or_b32 exec_lo, exec_lo, s23
	global_load_b64 v[22:23], v[20:21], off offset:256
	v_dual_mov_b32 v48, 0 :: v_dual_mov_b32 v49, 0
	s_mov_b32 s23, exec_lo
	s_wait_loadcnt 0x0
	v_and_b32_e32 v12, 0xff, v22
	s_delay_alu instid0(VALU_DEP_1)
	v_cmpx_ne_u16_e32 0, v12
	s_cbranch_execz .LBB307_310
; %bb.305:                              ;   in Loop: Header=BB307_241 Depth=1
	v_bfrev_b32_e32 v49, 1
	s_mov_b32 s24, exec_lo
	v_cmpx_ne_u16_e32 0x80, v12
	s_cbranch_execz .LBB307_309
; %bb.306:                              ;   in Loop: Header=BB307_241 Depth=1
	v_and_b32_e32 v12, 0x7f, v22
	v_mov_b32_e32 v49, 0x7f800001
	s_mov_b32 s25, exec_lo
	s_delay_alu instid0(VALU_DEP_2)
	v_cmpx_ne_u32_e32 0x7f, v12
	s_cbranch_execz .LBB307_308
; %bb.307:                              ;   in Loop: Header=BB307_241 Depth=1
	v_dual_lshrrev_b32 v25, 3, v12 :: v_dual_bitop2_b32 v24, 7, v22 bitop3:0x40
	v_cmp_gt_u32_e64 s0, 8, v12
	s_delay_alu instid0(VALU_DEP_2) | instskip(NEXT) | instid1(VALU_DEP_1)
	v_clz_i32_u32_e32 v24, v24
	v_min_u32_e32 v24, 32, v24
	s_delay_alu instid0(VALU_DEP_1) | instskip(SKIP_1) | instid1(VALU_DEP_1)
	v_subrev_nc_u32_e32 v44, 28, v24
	v_sub_nc_u32_e32 v24, 29, v24
	v_cndmask_b32_e64 v12, v25, v24, s0
	s_delay_alu instid0(VALU_DEP_3) | instskip(NEXT) | instid1(VALU_DEP_1)
	v_cndmask_b32_e64 v24, 0, v44, s0
	v_lshlrev_b64_e32 v[24:25], v24, v[22:23]
	v_lshlrev_b32_e32 v25, 24, v22
	s_delay_alu instid0(VALU_DEP_1) | instskip(NEXT) | instid1(VALU_DEP_3)
	v_and_b32_e32 v25, 0x80000000, v25
	v_lshlrev_b32_e32 v24, 20, v24
	v_lshl_add_u32 v12, v12, 23, 0x3c000000
	s_delay_alu instid0(VALU_DEP_2) | instskip(NEXT) | instid1(VALU_DEP_1)
	v_and_b32_e32 v24, 0x700000, v24
	v_or3_b32 v49, v24, v25, v12
.LBB307_308:                            ;   in Loop: Header=BB307_241 Depth=1
	s_or_b32 exec_lo, exec_lo, s25
.LBB307_309:                            ;   in Loop: Header=BB307_241 Depth=1
	s_delay_alu instid0(SALU_CYCLE_1)
	s_or_b32 exec_lo, exec_lo, s24
.LBB307_310:                            ;   in Loop: Header=BB307_241 Depth=1
	s_delay_alu instid0(SALU_CYCLE_1) | instskip(SKIP_2) | instid1(VALU_DEP_1)
	s_or_b32 exec_lo, exec_lo, s23
	v_lshrrev_b16 v12, 8, v22
	s_mov_b32 s23, exec_lo
	v_cmpx_ne_u16_e32 0, v12
	s_cbranch_execz .LBB307_318
; %bb.311:                              ;   in Loop: Header=BB307_241 Depth=1
	v_bfrev_b32_e32 v48, 1
	s_mov_b32 s24, exec_lo
	v_cmpx_ne_u16_e32 0x80, v12
	s_cbranch_execz .LBB307_317
; %bb.312:                              ;   in Loop: Header=BB307_241 Depth=1
	v_and_b32_e32 v12, 0xffff, v12
	v_mov_b32_e32 v48, 0x7f800001
	s_mov_b32 s25, exec_lo
	s_delay_alu instid0(VALU_DEP_2) | instskip(NEXT) | instid1(VALU_DEP_1)
	v_and_b32_e32 v25, 0x7f, v12
	v_cmpx_ne_u32_e32 0x7f, v25
	s_cbranch_execz .LBB307_316
; %bb.313:                              ;   in Loop: Header=BB307_241 Depth=1
	v_dual_lshrrev_b32 v24, 3, v25 :: v_dual_bitop2_b32 v12, 7, v12 bitop3:0x40
	s_mov_b32 s27, exec_lo
	v_cmpx_gt_u32_e32 8, v25
; %bb.314:                              ;   in Loop: Header=BB307_241 Depth=1
	s_delay_alu instid0(VALU_DEP_2) | instskip(NEXT) | instid1(VALU_DEP_1)
	v_clz_i32_u32_e32 v24, v12
	v_min_u32_e32 v24, 32, v24
	s_delay_alu instid0(VALU_DEP_1) | instskip(SKIP_1) | instid1(VALU_DEP_2)
	v_subrev_nc_u32_e32 v25, 28, v24
	v_sub_nc_u32_e32 v24, 29, v24
	v_lshlrev_b64_e32 v[44:45], v25, v[12:13]
	s_delay_alu instid0(VALU_DEP_1)
	v_and_b32_e32 v12, 7, v44
; %bb.315:                              ;   in Loop: Header=BB307_241 Depth=1
	s_or_b32 exec_lo, exec_lo, s27
	s_delay_alu instid0(VALU_DEP_1) | instskip(SKIP_1) | instid1(VALU_DEP_2)
	v_dual_lshlrev_b32 v25, 16, v22 :: v_dual_lshlrev_b32 v12, 20, v12
	v_lshl_add_u32 v24, v24, 23, 0x3c000000
	v_and_b32_e32 v25, 0x80000000, v25
	s_delay_alu instid0(VALU_DEP_1)
	v_or3_b32 v48, v12, v25, v24
.LBB307_316:                            ;   in Loop: Header=BB307_241 Depth=1
	s_or_b32 exec_lo, exec_lo, s25
.LBB307_317:                            ;   in Loop: Header=BB307_241 Depth=1
	s_delay_alu instid0(SALU_CYCLE_1)
	s_or_b32 exec_lo, exec_lo, s24
.LBB307_318:                            ;   in Loop: Header=BB307_241 Depth=1
	s_delay_alu instid0(SALU_CYCLE_1) | instskip(SKIP_3) | instid1(VALU_DEP_2)
	s_or_b32 exec_lo, exec_lo, s23
	v_dual_lshrrev_b32 v24, 16, v22 :: v_dual_mov_b32 v46, 0
	v_mov_b32_e32 v47, 0
	s_mov_b32 s23, exec_lo
	v_and_b32_e32 v12, 0xff, v24
	s_delay_alu instid0(VALU_DEP_1)
	v_cmpx_ne_u16_e32 0, v12
	s_cbranch_execz .LBB307_326
; %bb.319:                              ;   in Loop: Header=BB307_241 Depth=1
	v_bfrev_b32_e32 v47, 1
	s_mov_b32 s24, exec_lo
	v_cmpx_ne_u16_e32 0x80, v12
	s_cbranch_execz .LBB307_325
; %bb.320:                              ;   in Loop: Header=BB307_241 Depth=1
	v_bfe_u32 v44, v22, 16, 7
	v_mov_b32_e32 v47, 0x7f800001
	s_mov_b32 s25, exec_lo
	s_delay_alu instid0(VALU_DEP_2)
	v_cmpx_ne_u32_e32 0x7f, v44
	s_cbranch_execz .LBB307_324
; %bb.321:                              ;   in Loop: Header=BB307_241 Depth=1
	v_and_b32_e32 v12, 7, v24
	v_lshrrev_b32_e32 v25, 3, v44
	s_mov_b32 s27, exec_lo
	v_cmpx_gt_u32_e32 8, v44
; %bb.322:                              ;   in Loop: Header=BB307_241 Depth=1
	s_delay_alu instid0(VALU_DEP_3) | instskip(NEXT) | instid1(VALU_DEP_1)
	v_clz_i32_u32_e32 v25, v12
	v_min_u32_e32 v25, 32, v25
	s_delay_alu instid0(VALU_DEP_1) | instskip(NEXT) | instid1(VALU_DEP_1)
	v_subrev_nc_u32_e32 v44, 28, v25
	v_lshlrev_b64_e32 v[44:45], v44, v[12:13]
	s_delay_alu instid0(VALU_DEP_1)
	v_dual_sub_nc_u32 v25, 29, v25 :: v_dual_bitop2_b32 v12, 7, v44 bitop3:0x40
; %bb.323:                              ;   in Loop: Header=BB307_241 Depth=1
	s_or_b32 exec_lo, exec_lo, s27
	v_lshlrev_b32_e32 v24, 24, v24
	s_delay_alu instid0(VALU_DEP_2) | instskip(NEXT) | instid1(VALU_DEP_3)
	v_lshlrev_b32_e32 v12, 20, v12
	v_lshl_add_u32 v25, v25, 23, 0x3c000000
	s_delay_alu instid0(VALU_DEP_3) | instskip(NEXT) | instid1(VALU_DEP_1)
	v_and_b32_e32 v24, 0x80000000, v24
	v_or3_b32 v47, v12, v24, v25
.LBB307_324:                            ;   in Loop: Header=BB307_241 Depth=1
	s_or_b32 exec_lo, exec_lo, s25
.LBB307_325:                            ;   in Loop: Header=BB307_241 Depth=1
	s_delay_alu instid0(SALU_CYCLE_1)
	s_or_b32 exec_lo, exec_lo, s24
.LBB307_326:                            ;   in Loop: Header=BB307_241 Depth=1
	s_delay_alu instid0(SALU_CYCLE_1) | instskip(NEXT) | instid1(SALU_CYCLE_1)
	s_or_b32 exec_lo, exec_lo, s23
	s_mov_b32 s23, exec_lo
	v_cmpx_lt_u32_e32 0xffffff, v22
	s_cbranch_execz .LBB307_334
; %bb.327:                              ;   in Loop: Header=BB307_241 Depth=1
	v_lshrrev_b32_e32 v24, 24, v22
	v_bfrev_b32_e32 v46, 1
	s_mov_b32 s24, exec_lo
	s_delay_alu instid0(VALU_DEP_2)
	v_cmpx_ne_u32_e32 0x80, v24
	s_cbranch_execz .LBB307_333
; %bb.328:                              ;   in Loop: Header=BB307_241 Depth=1
	v_bfe_u32 v44, v22, 24, 7
	v_mov_b32_e32 v46, 0x7f800001
	s_mov_b32 s25, exec_lo
	s_delay_alu instid0(VALU_DEP_2)
	v_cmpx_ne_u32_e32 0x7f, v44
	s_cbranch_execz .LBB307_332
; %bb.329:                              ;   in Loop: Header=BB307_241 Depth=1
	v_and_b32_e32 v12, 7, v24
	v_lshrrev_b32_e32 v25, 3, v44
	s_mov_b32 s27, exec_lo
	v_cmpx_gt_u32_e32 8, v44
; %bb.330:                              ;   in Loop: Header=BB307_241 Depth=1
	s_delay_alu instid0(VALU_DEP_3) | instskip(NEXT) | instid1(VALU_DEP_1)
	v_clz_i32_u32_e32 v25, v12
	v_min_u32_e32 v25, 32, v25
	s_delay_alu instid0(VALU_DEP_1) | instskip(NEXT) | instid1(VALU_DEP_1)
	v_subrev_nc_u32_e32 v44, 28, v25
	v_lshlrev_b64_e32 v[44:45], v44, v[12:13]
	s_delay_alu instid0(VALU_DEP_1)
	v_dual_sub_nc_u32 v25, 29, v25 :: v_dual_bitop2_b32 v12, 7, v44 bitop3:0x40
; %bb.331:                              ;   in Loop: Header=BB307_241 Depth=1
	s_or_b32 exec_lo, exec_lo, s27
	v_lshlrev_b32_e32 v24, 24, v24
	s_delay_alu instid0(VALU_DEP_2) | instskip(NEXT) | instid1(VALU_DEP_3)
	v_lshlrev_b32_e32 v12, 20, v12
	v_lshl_add_u32 v25, v25, 23, 0x3c000000
	s_delay_alu instid0(VALU_DEP_3) | instskip(NEXT) | instid1(VALU_DEP_1)
	v_and_b32_e32 v24, 0x80000000, v24
	v_or3_b32 v46, v12, v24, v25
.LBB307_332:                            ;   in Loop: Header=BB307_241 Depth=1
	s_or_b32 exec_lo, exec_lo, s25
.LBB307_333:                            ;   in Loop: Header=BB307_241 Depth=1
	s_delay_alu instid0(SALU_CYCLE_1)
	s_or_b32 exec_lo, exec_lo, s24
.LBB307_334:                            ;   in Loop: Header=BB307_241 Depth=1
	s_delay_alu instid0(SALU_CYCLE_1) | instskip(SKIP_4) | instid1(VALU_DEP_3)
	s_or_b32 exec_lo, exec_lo, s23
	v_and_b32_e32 v25, 0xff, v23
	v_dual_mov_b32 v12, v23 :: v_dual_mov_b32 v24, 0
	v_mov_b32_e32 v45, 0
	s_mov_b32 s23, exec_lo
	v_cmpx_ne_u16_e32 0, v25
	s_cbranch_execz .LBB307_340
; %bb.335:                              ;   in Loop: Header=BB307_241 Depth=1
	v_bfrev_b32_e32 v45, 1
	s_mov_b32 s24, exec_lo
	v_cmpx_ne_u16_e32 0x80, v25
	s_cbranch_execz .LBB307_339
; %bb.336:                              ;   in Loop: Header=BB307_241 Depth=1
	v_and_b32_e32 v25, 0x7f, v23
	v_mov_b32_e32 v45, 0x7f800001
	s_mov_b32 s25, exec_lo
	s_delay_alu instid0(VALU_DEP_2)
	v_cmpx_ne_u32_e32 0x7f, v25
	s_cbranch_execz .LBB307_338
; %bb.337:                              ;   in Loop: Header=BB307_241 Depth=1
	v_dual_lshrrev_b32 v45, 3, v25 :: v_dual_bitop2_b32 v44, 7, v23 bitop3:0x40
	v_cmp_gt_u32_e64 s0, 8, v25
	s_delay_alu instid0(VALU_DEP_2) | instskip(NEXT) | instid1(VALU_DEP_1)
	v_clz_i32_u32_e32 v44, v44
	v_min_u32_e32 v44, 32, v44
	s_delay_alu instid0(VALU_DEP_1) | instskip(SKIP_1) | instid1(VALU_DEP_1)
	v_subrev_nc_u32_e32 v50, 28, v44
	v_sub_nc_u32_e32 v44, 29, v44
	v_dual_cndmask_b32 v25, v45, v44, s0 :: v_dual_cndmask_b32 v44, 0, v50, s0
	s_delay_alu instid0(VALU_DEP_1) | instskip(NEXT) | instid1(VALU_DEP_2)
	v_lshl_add_u32 v25, v25, 23, 0x3c000000
	v_lshlrev_b64_e32 v[44:45], v44, v[12:13]
	v_lshlrev_b32_e32 v45, 24, v12
	s_delay_alu instid0(VALU_DEP_1) | instskip(NEXT) | instid1(VALU_DEP_3)
	v_and_b32_e32 v45, 0x80000000, v45
	v_lshlrev_b32_e32 v44, 20, v44
	s_delay_alu instid0(VALU_DEP_1) | instskip(NEXT) | instid1(VALU_DEP_1)
	v_and_b32_e32 v44, 0x700000, v44
	v_or3_b32 v45, v44, v45, v25
.LBB307_338:                            ;   in Loop: Header=BB307_241 Depth=1
	s_or_b32 exec_lo, exec_lo, s25
.LBB307_339:                            ;   in Loop: Header=BB307_241 Depth=1
	s_delay_alu instid0(SALU_CYCLE_1)
	s_or_b32 exec_lo, exec_lo, s24
.LBB307_340:                            ;   in Loop: Header=BB307_241 Depth=1
	s_delay_alu instid0(SALU_CYCLE_1) | instskip(SKIP_2) | instid1(VALU_DEP_1)
	s_or_b32 exec_lo, exec_lo, s23
	v_lshrrev_b16 v25, 8, v12
	s_mov_b32 s23, exec_lo
	v_cmpx_ne_u16_e32 0, v25
	s_cbranch_execz .LBB307_348
; %bb.341:                              ;   in Loop: Header=BB307_241 Depth=1
	v_bfrev_b32_e32 v24, 1
	s_mov_b32 s24, exec_lo
	v_cmpx_ne_u16_e32 0x80, v25
	s_cbranch_execz .LBB307_347
; %bb.342:                              ;   in Loop: Header=BB307_241 Depth=1
	v_and_b32_e32 v25, 0xffff, v25
	v_mov_b32_e32 v24, 0x7f800001
	s_mov_b32 s25, exec_lo
	s_delay_alu instid0(VALU_DEP_2) | instskip(NEXT) | instid1(VALU_DEP_1)
	v_and_b32_e32 v50, 0x7f, v25
	v_cmpx_ne_u32_e32 0x7f, v50
	s_cbranch_execz .LBB307_346
; %bb.343:                              ;   in Loop: Header=BB307_241 Depth=1
	v_dual_mov_b32 v25, v13 :: v_dual_bitop2_b32 v24, 7, v25 bitop3:0x40
	v_lshrrev_b32_e32 v44, 3, v50
	s_mov_b32 s27, exec_lo
	v_cmpx_gt_u32_e32 8, v50
; %bb.344:                              ;   in Loop: Header=BB307_241 Depth=1
	s_delay_alu instid0(VALU_DEP_3) | instskip(NEXT) | instid1(VALU_DEP_1)
	v_clz_i32_u32_e32 v44, v24
	v_min_u32_e32 v44, 32, v44
	s_delay_alu instid0(VALU_DEP_1) | instskip(SKIP_1) | instid1(VALU_DEP_2)
	v_subrev_nc_u32_e32 v50, 28, v44
	v_sub_nc_u32_e32 v44, 29, v44
	v_lshlrev_b64_e32 v[24:25], v50, v[24:25]
	s_delay_alu instid0(VALU_DEP_1)
	v_and_b32_e32 v24, 7, v24
; %bb.345:                              ;   in Loop: Header=BB307_241 Depth=1
	s_or_b32 exec_lo, exec_lo, s27
	v_lshlrev_b32_e32 v12, 16, v12
	s_delay_alu instid0(VALU_DEP_2) | instskip(SKIP_1) | instid1(VALU_DEP_3)
	v_lshlrev_b32_e32 v24, 20, v24
	v_lshl_add_u32 v25, v44, 23, 0x3c000000
	v_and_b32_e32 v12, 0x80000000, v12
	s_delay_alu instid0(VALU_DEP_1)
	v_or3_b32 v24, v24, v12, v25
.LBB307_346:                            ;   in Loop: Header=BB307_241 Depth=1
	s_or_b32 exec_lo, exec_lo, s25
.LBB307_347:                            ;   in Loop: Header=BB307_241 Depth=1
	s_delay_alu instid0(SALU_CYCLE_1)
	s_or_b32 exec_lo, exec_lo, s24
.LBB307_348:                            ;   in Loop: Header=BB307_241 Depth=1
	s_delay_alu instid0(SALU_CYCLE_1) | instskip(SKIP_3) | instid1(VALU_DEP_2)
	s_or_b32 exec_lo, exec_lo, s23
	v_dual_mov_b32 v25, 0 :: v_dual_lshrrev_b32 v44, 16, v23
	v_mov_b32_e32 v50, 0
	s_mov_b32 s23, exec_lo
	v_and_b32_e32 v12, 0xff, v44
	s_delay_alu instid0(VALU_DEP_1)
	v_cmpx_ne_u16_e32 0, v12
	s_cbranch_execz .LBB307_356
; %bb.349:                              ;   in Loop: Header=BB307_241 Depth=1
	v_bfrev_b32_e32 v50, 1
	s_mov_b32 s24, exec_lo
	v_cmpx_ne_u16_e32 0x80, v12
	s_cbranch_execz .LBB307_355
; %bb.350:                              ;   in Loop: Header=BB307_241 Depth=1
	v_bfe_u32 v51, v23, 16, 7
	v_mov_b32_e32 v50, 0x7f800001
	s_mov_b32 s25, exec_lo
	s_delay_alu instid0(VALU_DEP_2)
	v_cmpx_ne_u32_e32 0x7f, v51
	s_cbranch_execz .LBB307_354
; %bb.351:                              ;   in Loop: Header=BB307_241 Depth=1
	v_dual_lshrrev_b32 v50, 3, v51 :: v_dual_bitop2_b32 v12, 7, v44 bitop3:0x40
	s_mov_b32 s27, exec_lo
	v_cmpx_gt_u32_e32 8, v51
; %bb.352:                              ;   in Loop: Header=BB307_241 Depth=1
	s_delay_alu instid0(VALU_DEP_2) | instskip(NEXT) | instid1(VALU_DEP_1)
	v_clz_i32_u32_e32 v50, v12
	v_min_u32_e32 v50, 32, v50
	s_delay_alu instid0(VALU_DEP_1) | instskip(NEXT) | instid1(VALU_DEP_1)
	v_subrev_nc_u32_e32 v51, 28, v50
	v_lshlrev_b64_e32 v[52:53], v51, v[12:13]
	s_delay_alu instid0(VALU_DEP_1)
	v_dual_sub_nc_u32 v50, 29, v50 :: v_dual_bitop2_b32 v12, 7, v52 bitop3:0x40
; %bb.353:                              ;   in Loop: Header=BB307_241 Depth=1
	s_or_b32 exec_lo, exec_lo, s27
	v_lshlrev_b32_e32 v44, 24, v44
	s_delay_alu instid0(VALU_DEP_2) | instskip(NEXT) | instid1(VALU_DEP_3)
	v_lshlrev_b32_e32 v12, 20, v12
	v_lshl_add_u32 v50, v50, 23, 0x3c000000
	s_delay_alu instid0(VALU_DEP_3) | instskip(NEXT) | instid1(VALU_DEP_1)
	v_and_b32_e32 v44, 0x80000000, v44
	v_or3_b32 v50, v12, v44, v50
.LBB307_354:                            ;   in Loop: Header=BB307_241 Depth=1
	s_or_b32 exec_lo, exec_lo, s25
.LBB307_355:                            ;   in Loop: Header=BB307_241 Depth=1
	s_delay_alu instid0(SALU_CYCLE_1)
	s_or_b32 exec_lo, exec_lo, s24
.LBB307_356:                            ;   in Loop: Header=BB307_241 Depth=1
	s_delay_alu instid0(SALU_CYCLE_1) | instskip(NEXT) | instid1(SALU_CYCLE_1)
	s_or_b32 exec_lo, exec_lo, s23
	s_mov_b32 s23, exec_lo
	v_cmpx_lt_u64_e64 s[2:3], v[22:23]
	s_cbranch_execz .LBB307_364
; %bb.357:                              ;   in Loop: Header=BB307_241 Depth=1
	v_lshrrev_b32_e32 v22, 24, v23
	v_bfrev_b32_e32 v25, 1
	s_mov_b32 s24, exec_lo
	s_delay_alu instid0(VALU_DEP_2)
	v_cmpx_ne_u32_e32 0x80, v22
	s_cbranch_execz .LBB307_363
; %bb.358:                              ;   in Loop: Header=BB307_241 Depth=1
	v_bfe_u32 v44, v23, 24, 7
	v_mov_b32_e32 v25, 0x7f800001
	s_mov_b32 s25, exec_lo
	s_delay_alu instid0(VALU_DEP_2)
	v_cmpx_ne_u32_e32 0x7f, v44
	s_cbranch_execz .LBB307_362
; %bb.359:                              ;   in Loop: Header=BB307_241 Depth=1
	v_dual_lshrrev_b32 v23, 3, v44 :: v_dual_bitop2_b32 v12, 7, v22 bitop3:0x40
	s_mov_b32 s27, exec_lo
	v_cmpx_gt_u32_e32 8, v44
; %bb.360:                              ;   in Loop: Header=BB307_241 Depth=1
	s_delay_alu instid0(VALU_DEP_2) | instskip(NEXT) | instid1(VALU_DEP_1)
	v_clz_i32_u32_e32 v23, v12
	v_min_u32_e32 v23, 32, v23
	s_delay_alu instid0(VALU_DEP_1) | instskip(NEXT) | instid1(VALU_DEP_1)
	v_subrev_nc_u32_e32 v25, 28, v23
	v_lshlrev_b64_e32 v[52:53], v25, v[12:13]
	s_delay_alu instid0(VALU_DEP_1)
	v_dual_sub_nc_u32 v23, 29, v23 :: v_dual_bitop2_b32 v12, 7, v52 bitop3:0x40
; %bb.361:                              ;   in Loop: Header=BB307_241 Depth=1
	s_or_b32 exec_lo, exec_lo, s27
	s_delay_alu instid0(VALU_DEP_1) | instskip(NEXT) | instid1(VALU_DEP_2)
	v_dual_lshlrev_b32 v22, 24, v22 :: v_dual_lshlrev_b32 v12, 20, v12
	v_lshl_add_u32 v23, v23, 23, 0x3c000000
	s_delay_alu instid0(VALU_DEP_2) | instskip(NEXT) | instid1(VALU_DEP_1)
	v_and_b32_e32 v22, 0x80000000, v22
	v_or3_b32 v25, v12, v22, v23
.LBB307_362:                            ;   in Loop: Header=BB307_241 Depth=1
	s_or_b32 exec_lo, exec_lo, s25
.LBB307_363:                            ;   in Loop: Header=BB307_241 Depth=1
	s_delay_alu instid0(SALU_CYCLE_1)
	s_or_b32 exec_lo, exec_lo, s24
.LBB307_364:                            ;   in Loop: Header=BB307_241 Depth=1
	s_delay_alu instid0(SALU_CYCLE_1)
	s_or_b32 exec_lo, exec_lo, s23
	v_fma_mixlo_bf16 v44, s22, v24, 0
	v_fma_mixlo_bf16 v45, s22, v45, 0
	;; [unrolled: 1-line block ×8, first 2 shown]
	s_and_saveexec_b32 s23, vcc_lo
	s_cbranch_execz .LBB307_366
; %bb.365:                              ;   in Loop: Header=BB307_241 Depth=1
	v_cmp_gt_i32_e64 s0, s34, v14
	s_delay_alu instid0(VALU_DEP_1) | instskip(SKIP_1) | instid1(VALU_DEP_1)
	v_cndmask_b32_e64 v49, 0, v49, s0
	v_cmp_gt_i32_e64 s0, s34, v43
	v_cndmask_b32_e64 v48, 0, v48, s0
	v_cmp_gt_i32_e64 s0, s34, v42
	s_delay_alu instid0(VALU_DEP_1) | instskip(SKIP_1) | instid1(VALU_DEP_1)
	v_cndmask_b32_e64 v47, 0, v47, s0
	v_cmp_gt_i32_e64 s0, s34, v41
	v_cndmask_b32_e64 v46, 0, v46, s0
	;; [unrolled: 5-line block ×4, first 2 shown]
.LBB307_366:                            ;   in Loop: Header=BB307_241 Depth=1
	s_or_b32 exec_lo, exec_lo, s23
	global_load_b64 v[20:21], v[20:21], off offset:512
	v_dual_mov_b32 v51, 0 :: v_dual_mov_b32 v50, 0
	s_mov_b32 s23, exec_lo
	s_wait_loadcnt 0x0
	v_and_b32_e32 v12, 0xff, v20
	s_delay_alu instid0(VALU_DEP_1)
	v_cmpx_ne_u16_e32 0, v12
	s_cbranch_execz .LBB307_372
; %bb.367:                              ;   in Loop: Header=BB307_241 Depth=1
	v_bfrev_b32_e32 v50, 1
	s_mov_b32 s24, exec_lo
	v_cmpx_ne_u16_e32 0x80, v12
	s_cbranch_execz .LBB307_371
; %bb.368:                              ;   in Loop: Header=BB307_241 Depth=1
	v_and_b32_e32 v12, 0x7f, v20
	v_mov_b32_e32 v50, 0x7f800001
	s_mov_b32 s25, exec_lo
	s_delay_alu instid0(VALU_DEP_2)
	v_cmpx_ne_u32_e32 0x7f, v12
	s_cbranch_execz .LBB307_370
; %bb.369:                              ;   in Loop: Header=BB307_241 Depth=1
	v_and_b32_e32 v22, 7, v20
	v_cmp_gt_u32_e64 s0, 8, v12
	s_delay_alu instid0(VALU_DEP_2) | instskip(NEXT) | instid1(VALU_DEP_1)
	v_clz_i32_u32_e32 v22, v22
	v_min_u32_e32 v22, 32, v22
	v_lshrrev_b32_e32 v23, 3, v12
	s_delay_alu instid0(VALU_DEP_2) | instskip(SKIP_1) | instid1(VALU_DEP_1)
	v_subrev_nc_u32_e32 v50, 28, v22
	v_sub_nc_u32_e32 v22, 29, v22
	v_cndmask_b32_e64 v12, v23, v22, s0
	s_delay_alu instid0(VALU_DEP_3) | instskip(NEXT) | instid1(VALU_DEP_1)
	v_cndmask_b32_e64 v22, 0, v50, s0
	v_lshlrev_b64_e32 v[22:23], v22, v[20:21]
	v_lshlrev_b32_e32 v23, 24, v20
	s_delay_alu instid0(VALU_DEP_1) | instskip(NEXT) | instid1(VALU_DEP_3)
	v_and_b32_e32 v23, 0x80000000, v23
	v_lshlrev_b32_e32 v22, 20, v22
	v_lshl_add_u32 v12, v12, 23, 0x3c000000
	s_delay_alu instid0(VALU_DEP_2) | instskip(NEXT) | instid1(VALU_DEP_1)
	v_and_b32_e32 v22, 0x700000, v22
	v_or3_b32 v50, v22, v23, v12
.LBB307_370:                            ;   in Loop: Header=BB307_241 Depth=1
	s_or_b32 exec_lo, exec_lo, s25
.LBB307_371:                            ;   in Loop: Header=BB307_241 Depth=1
	s_delay_alu instid0(SALU_CYCLE_1)
	s_or_b32 exec_lo, exec_lo, s24
.LBB307_372:                            ;   in Loop: Header=BB307_241 Depth=1
	s_delay_alu instid0(SALU_CYCLE_1) | instskip(SKIP_2) | instid1(VALU_DEP_1)
	s_or_b32 exec_lo, exec_lo, s23
	v_lshrrev_b16 v12, 8, v20
	s_mov_b32 s23, exec_lo
	v_cmpx_ne_u16_e32 0, v12
	s_cbranch_execz .LBB307_380
; %bb.373:                              ;   in Loop: Header=BB307_241 Depth=1
	v_bfrev_b32_e32 v51, 1
	s_mov_b32 s24, exec_lo
	v_cmpx_ne_u16_e32 0x80, v12
	s_cbranch_execz .LBB307_379
; %bb.374:                              ;   in Loop: Header=BB307_241 Depth=1
	v_and_b32_e32 v12, 0xffff, v12
	v_mov_b32_e32 v51, 0x7f800001
	s_mov_b32 s25, exec_lo
	s_delay_alu instid0(VALU_DEP_2) | instskip(NEXT) | instid1(VALU_DEP_1)
	v_and_b32_e32 v23, 0x7f, v12
	v_cmpx_ne_u32_e32 0x7f, v23
	s_cbranch_execz .LBB307_378
; %bb.375:                              ;   in Loop: Header=BB307_241 Depth=1
	v_dual_lshrrev_b32 v22, 3, v23 :: v_dual_bitop2_b32 v12, 7, v12 bitop3:0x40
	s_mov_b32 s27, exec_lo
	v_cmpx_gt_u32_e32 8, v23
; %bb.376:                              ;   in Loop: Header=BB307_241 Depth=1
	s_delay_alu instid0(VALU_DEP_2) | instskip(NEXT) | instid1(VALU_DEP_1)
	v_clz_i32_u32_e32 v22, v12
	v_min_u32_e32 v22, 32, v22
	s_delay_alu instid0(VALU_DEP_1) | instskip(NEXT) | instid1(VALU_DEP_1)
	v_subrev_nc_u32_e32 v23, 28, v22
	v_lshlrev_b64_e32 v[52:53], v23, v[12:13]
	s_delay_alu instid0(VALU_DEP_1)
	v_dual_sub_nc_u32 v22, 29, v22 :: v_dual_bitop2_b32 v12, 7, v52 bitop3:0x40
; %bb.377:                              ;   in Loop: Header=BB307_241 Depth=1
	s_or_b32 exec_lo, exec_lo, s27
	v_lshlrev_b32_e32 v23, 16, v20
	s_delay_alu instid0(VALU_DEP_2) | instskip(NEXT) | instid1(VALU_DEP_3)
	v_lshlrev_b32_e32 v12, 20, v12
	v_lshl_add_u32 v22, v22, 23, 0x3c000000
	s_delay_alu instid0(VALU_DEP_3) | instskip(NEXT) | instid1(VALU_DEP_1)
	v_and_b32_e32 v23, 0x80000000, v23
	v_or3_b32 v51, v12, v23, v22
.LBB307_378:                            ;   in Loop: Header=BB307_241 Depth=1
	s_or_b32 exec_lo, exec_lo, s25
.LBB307_379:                            ;   in Loop: Header=BB307_241 Depth=1
	s_delay_alu instid0(SALU_CYCLE_1)
	s_or_b32 exec_lo, exec_lo, s24
.LBB307_380:                            ;   in Loop: Header=BB307_241 Depth=1
	s_delay_alu instid0(SALU_CYCLE_1) | instskip(SKIP_3) | instid1(VALU_DEP_2)
	s_or_b32 exec_lo, exec_lo, s23
	v_dual_mov_b32 v53, 0 :: v_dual_lshrrev_b32 v22, 16, v20
	v_mov_b32_e32 v52, 0
	s_mov_b32 s23, exec_lo
	v_and_b32_e32 v12, 0xff, v22
	s_delay_alu instid0(VALU_DEP_1)
	v_cmpx_ne_u16_e32 0, v12
	s_cbranch_execz .LBB307_388
; %bb.381:                              ;   in Loop: Header=BB307_241 Depth=1
	v_bfrev_b32_e32 v52, 1
	s_mov_b32 s24, exec_lo
	v_cmpx_ne_u16_e32 0x80, v12
	s_cbranch_execz .LBB307_387
; %bb.382:                              ;   in Loop: Header=BB307_241 Depth=1
	v_bfe_u32 v54, v20, 16, 7
	v_mov_b32_e32 v52, 0x7f800001
	s_mov_b32 s25, exec_lo
	s_delay_alu instid0(VALU_DEP_2)
	v_cmpx_ne_u32_e32 0x7f, v54
	s_cbranch_execz .LBB307_386
; %bb.383:                              ;   in Loop: Header=BB307_241 Depth=1
	v_and_b32_e32 v12, 7, v22
	v_lshrrev_b32_e32 v23, 3, v54
	s_mov_b32 s27, exec_lo
	v_cmpx_gt_u32_e32 8, v54
; %bb.384:                              ;   in Loop: Header=BB307_241 Depth=1
	s_delay_alu instid0(VALU_DEP_3) | instskip(NEXT) | instid1(VALU_DEP_1)
	v_clz_i32_u32_e32 v23, v12
	v_min_u32_e32 v23, 32, v23
	s_delay_alu instid0(VALU_DEP_1) | instskip(NEXT) | instid1(VALU_DEP_1)
	v_subrev_nc_u32_e32 v52, 28, v23
	v_lshlrev_b64_e32 v[54:55], v52, v[12:13]
	s_delay_alu instid0(VALU_DEP_1)
	v_dual_sub_nc_u32 v23, 29, v23 :: v_dual_bitop2_b32 v12, 7, v54 bitop3:0x40
; %bb.385:                              ;   in Loop: Header=BB307_241 Depth=1
	s_or_b32 exec_lo, exec_lo, s27
	s_delay_alu instid0(VALU_DEP_1) | instskip(NEXT) | instid1(VALU_DEP_2)
	v_dual_lshlrev_b32 v22, 24, v22 :: v_dual_lshlrev_b32 v12, 20, v12
	v_lshl_add_u32 v23, v23, 23, 0x3c000000
	s_delay_alu instid0(VALU_DEP_2) | instskip(NEXT) | instid1(VALU_DEP_1)
	v_and_b32_e32 v22, 0x80000000, v22
	v_or3_b32 v52, v12, v22, v23
.LBB307_386:                            ;   in Loop: Header=BB307_241 Depth=1
	s_or_b32 exec_lo, exec_lo, s25
.LBB307_387:                            ;   in Loop: Header=BB307_241 Depth=1
	s_delay_alu instid0(SALU_CYCLE_1)
	s_or_b32 exec_lo, exec_lo, s24
.LBB307_388:                            ;   in Loop: Header=BB307_241 Depth=1
	s_delay_alu instid0(SALU_CYCLE_1) | instskip(NEXT) | instid1(SALU_CYCLE_1)
	s_or_b32 exec_lo, exec_lo, s23
	s_mov_b32 s23, exec_lo
	v_cmpx_lt_u32_e32 0xffffff, v20
	s_cbranch_execz .LBB307_396
; %bb.389:                              ;   in Loop: Header=BB307_241 Depth=1
	v_lshrrev_b32_e32 v22, 24, v20
	v_bfrev_b32_e32 v53, 1
	s_mov_b32 s24, exec_lo
	s_delay_alu instid0(VALU_DEP_2)
	v_cmpx_ne_u32_e32 0x80, v22
	s_cbranch_execz .LBB307_395
; %bb.390:                              ;   in Loop: Header=BB307_241 Depth=1
	v_bfe_u32 v54, v20, 24, 7
	v_mov_b32_e32 v53, 0x7f800001
	s_mov_b32 s25, exec_lo
	s_delay_alu instid0(VALU_DEP_2)
	v_cmpx_ne_u32_e32 0x7f, v54
	s_cbranch_execz .LBB307_394
; %bb.391:                              ;   in Loop: Header=BB307_241 Depth=1
	v_and_b32_e32 v12, 7, v22
	v_lshrrev_b32_e32 v23, 3, v54
	s_mov_b32 s27, exec_lo
	v_cmpx_gt_u32_e32 8, v54
; %bb.392:                              ;   in Loop: Header=BB307_241 Depth=1
	s_delay_alu instid0(VALU_DEP_3) | instskip(NEXT) | instid1(VALU_DEP_1)
	v_clz_i32_u32_e32 v23, v12
	v_min_u32_e32 v23, 32, v23
	s_delay_alu instid0(VALU_DEP_1) | instskip(NEXT) | instid1(VALU_DEP_1)
	v_subrev_nc_u32_e32 v53, 28, v23
	v_lshlrev_b64_e32 v[54:55], v53, v[12:13]
	s_delay_alu instid0(VALU_DEP_1)
	v_dual_sub_nc_u32 v23, 29, v23 :: v_dual_bitop2_b32 v12, 7, v54 bitop3:0x40
; %bb.393:                              ;   in Loop: Header=BB307_241 Depth=1
	s_or_b32 exec_lo, exec_lo, s27
	s_delay_alu instid0(VALU_DEP_1) | instskip(NEXT) | instid1(VALU_DEP_2)
	v_dual_lshlrev_b32 v22, 24, v22 :: v_dual_lshlrev_b32 v12, 20, v12
	v_lshl_add_u32 v23, v23, 23, 0x3c000000
	s_delay_alu instid0(VALU_DEP_2) | instskip(NEXT) | instid1(VALU_DEP_1)
	v_and_b32_e32 v22, 0x80000000, v22
	v_or3_b32 v53, v12, v22, v23
.LBB307_394:                            ;   in Loop: Header=BB307_241 Depth=1
	s_or_b32 exec_lo, exec_lo, s25
.LBB307_395:                            ;   in Loop: Header=BB307_241 Depth=1
	s_delay_alu instid0(SALU_CYCLE_1)
	s_or_b32 exec_lo, exec_lo, s24
.LBB307_396:                            ;   in Loop: Header=BB307_241 Depth=1
	s_delay_alu instid0(SALU_CYCLE_1) | instskip(SKIP_4) | instid1(VALU_DEP_3)
	s_or_b32 exec_lo, exec_lo, s23
	v_and_b32_e32 v23, 0xff, v21
	v_dual_mov_b32 v12, v21 :: v_dual_mov_b32 v22, 0
	v_mov_b32_e32 v54, 0
	s_mov_b32 s23, exec_lo
	v_cmpx_ne_u16_e32 0, v23
	s_cbranch_execz .LBB307_402
; %bb.397:                              ;   in Loop: Header=BB307_241 Depth=1
	v_bfrev_b32_e32 v54, 1
	s_mov_b32 s24, exec_lo
	v_cmpx_ne_u16_e32 0x80, v23
	s_cbranch_execz .LBB307_401
; %bb.398:                              ;   in Loop: Header=BB307_241 Depth=1
	v_and_b32_e32 v23, 0x7f, v21
	v_mov_b32_e32 v54, 0x7f800001
	s_mov_b32 s25, exec_lo
	s_delay_alu instid0(VALU_DEP_2)
	v_cmpx_ne_u32_e32 0x7f, v23
	s_cbranch_execz .LBB307_400
; %bb.399:                              ;   in Loop: Header=BB307_241 Depth=1
	v_dual_lshrrev_b32 v55, 3, v23 :: v_dual_bitop2_b32 v54, 7, v21 bitop3:0x40
	v_cmp_gt_u32_e64 s0, 8, v23
	s_delay_alu instid0(VALU_DEP_2) | instskip(NEXT) | instid1(VALU_DEP_1)
	v_clz_i32_u32_e32 v54, v54
	v_min_u32_e32 v54, 32, v54
	s_delay_alu instid0(VALU_DEP_1) | instskip(SKIP_1) | instid1(VALU_DEP_1)
	v_subrev_nc_u32_e32 v56, 28, v54
	v_sub_nc_u32_e32 v54, 29, v54
	v_dual_cndmask_b32 v23, v55, v54, s0 :: v_dual_cndmask_b32 v54, 0, v56, s0
	s_delay_alu instid0(VALU_DEP_1) | instskip(NEXT) | instid1(VALU_DEP_2)
	v_lshl_add_u32 v23, v23, 23, 0x3c000000
	v_lshlrev_b64_e32 v[54:55], v54, v[12:13]
	v_lshlrev_b32_e32 v55, 24, v12
	s_delay_alu instid0(VALU_DEP_1) | instskip(NEXT) | instid1(VALU_DEP_3)
	v_and_b32_e32 v55, 0x80000000, v55
	v_lshlrev_b32_e32 v54, 20, v54
	s_delay_alu instid0(VALU_DEP_1) | instskip(NEXT) | instid1(VALU_DEP_1)
	v_and_b32_e32 v54, 0x700000, v54
	v_or3_b32 v54, v54, v55, v23
.LBB307_400:                            ;   in Loop: Header=BB307_241 Depth=1
	s_or_b32 exec_lo, exec_lo, s25
.LBB307_401:                            ;   in Loop: Header=BB307_241 Depth=1
	s_delay_alu instid0(SALU_CYCLE_1)
	s_or_b32 exec_lo, exec_lo, s24
.LBB307_402:                            ;   in Loop: Header=BB307_241 Depth=1
	s_delay_alu instid0(SALU_CYCLE_1) | instskip(SKIP_2) | instid1(VALU_DEP_1)
	s_or_b32 exec_lo, exec_lo, s23
	v_lshrrev_b16 v23, 8, v12
	s_mov_b32 s23, exec_lo
	v_cmpx_ne_u16_e32 0, v23
	s_cbranch_execz .LBB307_410
; %bb.403:                              ;   in Loop: Header=BB307_241 Depth=1
	v_bfrev_b32_e32 v22, 1
	s_mov_b32 s24, exec_lo
	v_cmpx_ne_u16_e32 0x80, v23
	s_cbranch_execz .LBB307_409
; %bb.404:                              ;   in Loop: Header=BB307_241 Depth=1
	v_and_b32_e32 v23, 0xffff, v23
	v_mov_b32_e32 v22, 0x7f800001
	s_mov_b32 s25, exec_lo
	s_delay_alu instid0(VALU_DEP_2) | instskip(NEXT) | instid1(VALU_DEP_1)
	v_and_b32_e32 v56, 0x7f, v23
	v_cmpx_ne_u32_e32 0x7f, v56
	s_cbranch_execz .LBB307_408
; %bb.405:                              ;   in Loop: Header=BB307_241 Depth=1
	v_dual_mov_b32 v23, v13 :: v_dual_bitop2_b32 v22, 7, v23 bitop3:0x40
	v_lshrrev_b32_e32 v55, 3, v56
	s_mov_b32 s27, exec_lo
	v_cmpx_gt_u32_e32 8, v56
; %bb.406:                              ;   in Loop: Header=BB307_241 Depth=1
	s_delay_alu instid0(VALU_DEP_3) | instskip(NEXT) | instid1(VALU_DEP_1)
	v_clz_i32_u32_e32 v55, v22
	v_min_u32_e32 v55, 32, v55
	s_delay_alu instid0(VALU_DEP_1) | instskip(NEXT) | instid1(VALU_DEP_1)
	v_subrev_nc_u32_e32 v56, 28, v55
	v_lshlrev_b64_e32 v[22:23], v56, v[22:23]
	s_delay_alu instid0(VALU_DEP_1)
	v_dual_sub_nc_u32 v55, 29, v55 :: v_dual_bitop2_b32 v22, 7, v22 bitop3:0x40
; %bb.407:                              ;   in Loop: Header=BB307_241 Depth=1
	s_or_b32 exec_lo, exec_lo, s27
	s_delay_alu instid0(VALU_DEP_1) | instskip(NEXT) | instid1(VALU_DEP_2)
	v_dual_lshlrev_b32 v12, 16, v12 :: v_dual_lshlrev_b32 v22, 20, v22
	v_lshl_add_u32 v23, v55, 23, 0x3c000000
	s_delay_alu instid0(VALU_DEP_2) | instskip(NEXT) | instid1(VALU_DEP_1)
	v_and_b32_e32 v12, 0x80000000, v12
	v_or3_b32 v22, v22, v12, v23
.LBB307_408:                            ;   in Loop: Header=BB307_241 Depth=1
	s_or_b32 exec_lo, exec_lo, s25
.LBB307_409:                            ;   in Loop: Header=BB307_241 Depth=1
	s_delay_alu instid0(SALU_CYCLE_1)
	s_or_b32 exec_lo, exec_lo, s24
.LBB307_410:                            ;   in Loop: Header=BB307_241 Depth=1
	s_delay_alu instid0(SALU_CYCLE_1) | instskip(SKIP_3) | instid1(VALU_DEP_2)
	s_or_b32 exec_lo, exec_lo, s23
	v_dual_lshrrev_b32 v23, 16, v21 :: v_dual_mov_b32 v55, 0
	v_mov_b32_e32 v56, 0
	s_mov_b32 s23, exec_lo
	v_and_b32_e32 v12, 0xff, v23
	s_delay_alu instid0(VALU_DEP_1)
	v_cmpx_ne_u16_e32 0, v12
	s_cbranch_execz .LBB307_418
; %bb.411:                              ;   in Loop: Header=BB307_241 Depth=1
	v_bfrev_b32_e32 v56, 1
	s_mov_b32 s24, exec_lo
	v_cmpx_ne_u16_e32 0x80, v12
	s_cbranch_execz .LBB307_417
; %bb.412:                              ;   in Loop: Header=BB307_241 Depth=1
	v_bfe_u32 v57, v21, 16, 7
	v_mov_b32_e32 v56, 0x7f800001
	s_mov_b32 s25, exec_lo
	s_delay_alu instid0(VALU_DEP_2)
	v_cmpx_ne_u32_e32 0x7f, v57
	s_cbranch_execz .LBB307_416
; %bb.413:                              ;   in Loop: Header=BB307_241 Depth=1
	v_dual_lshrrev_b32 v56, 3, v57 :: v_dual_bitop2_b32 v12, 7, v23 bitop3:0x40
	s_mov_b32 s27, exec_lo
	v_cmpx_gt_u32_e32 8, v57
; %bb.414:                              ;   in Loop: Header=BB307_241 Depth=1
	s_delay_alu instid0(VALU_DEP_2) | instskip(NEXT) | instid1(VALU_DEP_1)
	v_clz_i32_u32_e32 v56, v12
	v_min_u32_e32 v56, 32, v56
	s_delay_alu instid0(VALU_DEP_1) | instskip(NEXT) | instid1(VALU_DEP_1)
	v_subrev_nc_u32_e32 v57, 28, v56
	v_lshlrev_b64_e32 v[58:59], v57, v[12:13]
	s_delay_alu instid0(VALU_DEP_1)
	v_dual_sub_nc_u32 v56, 29, v56 :: v_dual_bitop2_b32 v12, 7, v58 bitop3:0x40
; %bb.415:                              ;   in Loop: Header=BB307_241 Depth=1
	s_or_b32 exec_lo, exec_lo, s27
	s_delay_alu instid0(VALU_DEP_1) | instskip(NEXT) | instid1(VALU_DEP_2)
	v_dual_lshlrev_b32 v23, 24, v23 :: v_dual_lshlrev_b32 v12, 20, v12
	v_lshl_add_u32 v56, v56, 23, 0x3c000000
	s_delay_alu instid0(VALU_DEP_2) | instskip(NEXT) | instid1(VALU_DEP_1)
	v_and_b32_e32 v23, 0x80000000, v23
	v_or3_b32 v56, v12, v23, v56
.LBB307_416:                            ;   in Loop: Header=BB307_241 Depth=1
	s_or_b32 exec_lo, exec_lo, s25
.LBB307_417:                            ;   in Loop: Header=BB307_241 Depth=1
	s_delay_alu instid0(SALU_CYCLE_1)
	s_or_b32 exec_lo, exec_lo, s24
.LBB307_418:                            ;   in Loop: Header=BB307_241 Depth=1
	s_delay_alu instid0(SALU_CYCLE_1) | instskip(NEXT) | instid1(SALU_CYCLE_1)
	s_or_b32 exec_lo, exec_lo, s23
	s_mov_b32 s23, exec_lo
	v_cmpx_lt_u64_e64 s[2:3], v[20:21]
	s_cbranch_execz .LBB307_426
; %bb.419:                              ;   in Loop: Header=BB307_241 Depth=1
	v_lshrrev_b32_e32 v20, 24, v21
	v_bfrev_b32_e32 v55, 1
	s_mov_b32 s24, exec_lo
	s_delay_alu instid0(VALU_DEP_2)
	v_cmpx_ne_u32_e32 0x80, v20
	s_cbranch_execz .LBB307_425
; %bb.420:                              ;   in Loop: Header=BB307_241 Depth=1
	v_bfe_u32 v23, v21, 24, 7
	v_mov_b32_e32 v55, 0x7f800001
	s_mov_b32 s25, exec_lo
	s_delay_alu instid0(VALU_DEP_2)
	v_cmpx_ne_u32_e32 0x7f, v23
	s_cbranch_execz .LBB307_424
; %bb.421:                              ;   in Loop: Header=BB307_241 Depth=1
	v_dual_lshrrev_b32 v21, 3, v23 :: v_dual_bitop2_b32 v12, 7, v20 bitop3:0x40
	s_mov_b32 s27, exec_lo
	v_cmpx_gt_u32_e32 8, v23
; %bb.422:                              ;   in Loop: Header=BB307_241 Depth=1
	s_delay_alu instid0(VALU_DEP_2) | instskip(NEXT) | instid1(VALU_DEP_1)
	v_clz_i32_u32_e32 v21, v12
	v_min_u32_e32 v21, 32, v21
	s_delay_alu instid0(VALU_DEP_1) | instskip(NEXT) | instid1(VALU_DEP_1)
	v_subrev_nc_u32_e32 v23, 28, v21
	v_lshlrev_b64_e32 v[58:59], v23, v[12:13]
	s_delay_alu instid0(VALU_DEP_1)
	v_dual_sub_nc_u32 v21, 29, v21 :: v_dual_bitop2_b32 v12, 7, v58 bitop3:0x40
; %bb.423:                              ;   in Loop: Header=BB307_241 Depth=1
	s_or_b32 exec_lo, exec_lo, s27
	v_lshlrev_b32_e32 v20, 24, v20
	s_delay_alu instid0(VALU_DEP_2) | instskip(NEXT) | instid1(VALU_DEP_3)
	v_lshlrev_b32_e32 v12, 20, v12
	v_lshl_add_u32 v21, v21, 23, 0x3c000000
	s_delay_alu instid0(VALU_DEP_3) | instskip(NEXT) | instid1(VALU_DEP_1)
	v_and_b32_e32 v20, 0x80000000, v20
	v_or3_b32 v55, v12, v20, v21
.LBB307_424:                            ;   in Loop: Header=BB307_241 Depth=1
	s_or_b32 exec_lo, exec_lo, s25
.LBB307_425:                            ;   in Loop: Header=BB307_241 Depth=1
	s_delay_alu instid0(SALU_CYCLE_1)
	s_or_b32 exec_lo, exec_lo, s24
.LBB307_426:                            ;   in Loop: Header=BB307_241 Depth=1
	s_delay_alu instid0(SALU_CYCLE_1)
	s_or_b32 exec_lo, exec_lo, s23
	v_fma_mixlo_bf16 v20, s22, v22, 0
	v_fma_mixlo_bf16 v22, s22, v54, 0
	;; [unrolled: 1-line block ×8, first 2 shown]
	s_and_saveexec_b32 s0, vcc_lo
	s_cbranch_execz .LBB307_239
; %bb.427:                              ;   in Loop: Header=BB307_241 Depth=1
	v_cmp_gt_i32_e32 vcc_lo, s34, v14
	v_cndmask_b32_e32 v50, 0, v50, vcc_lo
	v_cmp_gt_i32_e32 vcc_lo, s34, v43
	v_cndmask_b32_e32 v51, 0, v51, vcc_lo
	v_cmp_gt_i32_e32 vcc_lo, s34, v42
	v_cndmask_b32_e32 v52, 0, v52, vcc_lo
	v_cmp_gt_i32_e32 vcc_lo, s34, v41
	v_cndmask_b32_e32 v23, 0, v23, vcc_lo
	v_cmp_gt_i32_e32 vcc_lo, s34, v40
	v_cndmask_b32_e32 v22, 0, v22, vcc_lo
	v_cmp_gt_i32_e32 vcc_lo, s34, v39
	v_cndmask_b32_e32 v20, 0, v20, vcc_lo
	v_cmp_gt_i32_e32 vcc_lo, s34, v38
	v_cndmask_b32_e32 v12, 0, v12, vcc_lo
	v_cmp_gt_i32_e32 vcc_lo, s34, v37
	v_cndmask_b32_e32 v21, 0, v21, vcc_lo
	s_branch .LBB307_239
.LBB307_428:
	s_or_b32 exec_lo, exec_lo, s18
.LBB307_429:
	s_delay_alu instid0(SALU_CYCLE_1) | instskip(SKIP_4) | instid1(VALU_DEP_2)
	s_or_b32 exec_lo, exec_lo, s1
	v_lshl_add_u32 v2, v26, 2, 0xe0
	v_and_b32_e32 v3, 0x3c0, v0
	s_mov_b32 s0, exec_lo
	s_barrier_signal -1
	v_mad_u32_u24 v1, 0x180, v1, v2
	s_barrier_wait -1
	v_cmpx_eq_u32_e32 64, v3
	s_cbranch_execz .LBB307_431
; %bb.430:
	s_delay_alu instid0(VALU_DEP_2)
	v_add_nc_u32_e32 v3, 0xfffffd00, v1
	v_add_nc_u32_e32 v4, 0xfffffd80, v1
	v_add_nc_u32_e32 v5, 0xfffffe00, v1
	ds_store_b32 v3, v10
	ds_store_b32 v4, v11
	;; [unrolled: 1-line block ×3, first 2 shown]
.LBB307_431:
	s_or_b32 exec_lo, exec_lo, s0
	s_delay_alu instid0(SALU_CYCLE_1)
	s_mov_b32 s0, exec_lo
	s_wait_dscnt 0x0
	s_barrier_signal -1
	s_barrier_wait -1
	v_cmpx_gt_u32_e32 64, v0
	s_cbranch_execz .LBB307_433
; %bb.432:
	ds_load_2addr_b32 v[4:5], v1 offset1:32
	ds_load_b32 v3, v1 offset:256
	s_wait_dscnt 0x1
	v_pk_add_f32 v[10:11], v[10:11], v[4:5]
	s_wait_dscnt 0x0
	v_add_f32_e32 v27, v27, v3
.LBB307_433:
	s_or_b32 exec_lo, exec_lo, s0
	v_and_b32_e32 v3, 0x3e0, v0
	s_mov_b32 s0, exec_lo
	s_barrier_signal -1
	s_barrier_wait -1
	s_delay_alu instid0(VALU_DEP_1)
	v_cmpx_eq_u32_e32 32, v3
	s_cbranch_execz .LBB307_435
; %bb.434:
	ds_store_2addr_b32 v2, v10, v11 offset1:32
	ds_store_b32 v2, v27 offset:256
.LBB307_435:
	s_or_b32 exec_lo, exec_lo, s0
	v_cmp_gt_u32_e32 vcc_lo, 32, v0
	s_wait_dscnt 0x0
	s_barrier_signal -1
	s_barrier_wait -1
	s_and_saveexec_b32 s0, vcc_lo
	s_cbranch_execz .LBB307_437
; %bb.436:
	ds_load_2addr_b32 v[2:3], v1 offset1:32
	ds_load_b32 v1, v1 offset:256
	s_wait_dscnt 0x1
	v_pk_add_f32 v[10:11], v[10:11], v[2:3]
	s_wait_dscnt 0x0
	v_add_f32_e32 v27, v27, v1
.LBB307_437:
	s_or_b32 exec_lo, exec_lo, s0
	s_barrier_signal -1
	s_barrier_wait -1
	s_and_saveexec_b32 s0, vcc_lo
	s_cbranch_execz .LBB307_439
; %bb.438:
	s_mul_i32 s1, s33, s7
	s_mul_i32 s0, s7, s6
	;; [unrolled: 1-line block ×3, first 2 shown]
	s_bfe_u32 s7, ttmp6, 0x40014
	s_mul_i32 s2, s1, 0x60
	s_lshr_b32 s6, ttmp7, 16
	s_ashr_i32 s3, s2, 31
	s_add_co_i32 s7, s7, 1
	s_lshl_b64 s[2:3], s[2:3], 1
	s_ashr_i32 s1, s0, 31
	s_wait_kmcnt 0x0
	s_add_nc_u64 s[2:3], s[4:5], s[2:3]
	s_mul_i32 s4, s6, s7
	s_bfe_u32 s5, ttmp6, 0x40008
	s_lshl_b64 s[0:1], s[0:1], 1
	s_add_co_i32 s5, s5, s4
	s_cmp_eq_u32 s30, 0
	s_add_nc_u64 s[0:1], s[2:3], s[0:1]
	s_cselect_b32 s2, s6, s5
	v_cvt_pk_bf16_f32 v1, v10, s0
	s_mov_b32 s3, 0
	s_mulk_i32 s2, 0xc0
	v_cvt_pk_bf16_f32 v2, v11, s0
	v_cvt_pk_bf16_f32 v3, v27, s0
	s_add_nc_u64 s[0:1], s[0:1], s[2:3]
	s_clause 0x2
	global_store_b16 v0, v1, s[0:1] scale_offset
	global_store_b16 v0, v2, s[0:1] offset:64 scale_offset
	global_store_b16 v0, v3, s[0:1] offset:128 scale_offset
.LBB307_439:
	s_endpgm
	.section	.rodata,"a",@progbits
	.p2align	6, 0x0
	.amdhsa_kernel _ZN4vllm25paged_attention_v1_kernelI14__hip_bfloat16hLi96ELi8ELi128ELNS_18Fp8KVCacheDataTypeE1ELb1EEEvPT_PKS3_PKT0_S9_ifPKiSB_iPKfiiiSD_SD_iiiii
		.amdhsa_group_segment_fixed_size 224
		.amdhsa_private_segment_fixed_size 0
		.amdhsa_kernarg_size 384
		.amdhsa_user_sgpr_count 2
		.amdhsa_user_sgpr_dispatch_ptr 0
		.amdhsa_user_sgpr_queue_ptr 0
		.amdhsa_user_sgpr_kernarg_segment_ptr 1
		.amdhsa_user_sgpr_dispatch_id 0
		.amdhsa_user_sgpr_kernarg_preload_length 0
		.amdhsa_user_sgpr_kernarg_preload_offset 0
		.amdhsa_user_sgpr_private_segment_size 0
		.amdhsa_wavefront_size32 1
		.amdhsa_uses_dynamic_stack 0
		.amdhsa_enable_private_segment 0
		.amdhsa_system_sgpr_workgroup_id_x 1
		.amdhsa_system_sgpr_workgroup_id_y 1
		.amdhsa_system_sgpr_workgroup_id_z 1
		.amdhsa_system_sgpr_workgroup_info 0
		.amdhsa_system_vgpr_workitem_id 0
		.amdhsa_next_free_vgpr 60
		.amdhsa_next_free_sgpr 46
		.amdhsa_named_barrier_count 0
		.amdhsa_reserve_vcc 1
		.amdhsa_float_round_mode_32 0
		.amdhsa_float_round_mode_16_64 0
		.amdhsa_float_denorm_mode_32 3
		.amdhsa_float_denorm_mode_16_64 3
		.amdhsa_fp16_overflow 0
		.amdhsa_memory_ordered 1
		.amdhsa_forward_progress 1
		.amdhsa_inst_pref_size 131
		.amdhsa_round_robin_scheduling 0
		.amdhsa_exception_fp_ieee_invalid_op 0
		.amdhsa_exception_fp_denorm_src 0
		.amdhsa_exception_fp_ieee_div_zero 0
		.amdhsa_exception_fp_ieee_overflow 0
		.amdhsa_exception_fp_ieee_underflow 0
		.amdhsa_exception_fp_ieee_inexact 0
		.amdhsa_exception_int_div_zero 0
	.end_amdhsa_kernel
	.section	.text._ZN4vllm25paged_attention_v1_kernelI14__hip_bfloat16hLi96ELi8ELi128ELNS_18Fp8KVCacheDataTypeE1ELb1EEEvPT_PKS3_PKT0_S9_ifPKiSB_iPKfiiiSD_SD_iiiii,"axG",@progbits,_ZN4vllm25paged_attention_v1_kernelI14__hip_bfloat16hLi96ELi8ELi128ELNS_18Fp8KVCacheDataTypeE1ELb1EEEvPT_PKS3_PKT0_S9_ifPKiSB_iPKfiiiSD_SD_iiiii,comdat
.Lfunc_end307:
	.size	_ZN4vllm25paged_attention_v1_kernelI14__hip_bfloat16hLi96ELi8ELi128ELNS_18Fp8KVCacheDataTypeE1ELb1EEEvPT_PKS3_PKT0_S9_ifPKiSB_iPKfiiiSD_SD_iiiii, .Lfunc_end307-_ZN4vllm25paged_attention_v1_kernelI14__hip_bfloat16hLi96ELi8ELi128ELNS_18Fp8KVCacheDataTypeE1ELb1EEEvPT_PKS3_PKT0_S9_ifPKiSB_iPKfiiiSD_SD_iiiii
                                        ; -- End function
	.set _ZN4vllm25paged_attention_v1_kernelI14__hip_bfloat16hLi96ELi8ELi128ELNS_18Fp8KVCacheDataTypeE1ELb1EEEvPT_PKS3_PKT0_S9_ifPKiSB_iPKfiiiSD_SD_iiiii.num_vgpr, 60
	.set _ZN4vllm25paged_attention_v1_kernelI14__hip_bfloat16hLi96ELi8ELi128ELNS_18Fp8KVCacheDataTypeE1ELb1EEEvPT_PKS3_PKT0_S9_ifPKiSB_iPKfiiiSD_SD_iiiii.num_agpr, 0
	.set _ZN4vllm25paged_attention_v1_kernelI14__hip_bfloat16hLi96ELi8ELi128ELNS_18Fp8KVCacheDataTypeE1ELb1EEEvPT_PKS3_PKT0_S9_ifPKiSB_iPKfiiiSD_SD_iiiii.numbered_sgpr, 46
	.set _ZN4vllm25paged_attention_v1_kernelI14__hip_bfloat16hLi96ELi8ELi128ELNS_18Fp8KVCacheDataTypeE1ELb1EEEvPT_PKS3_PKT0_S9_ifPKiSB_iPKfiiiSD_SD_iiiii.num_named_barrier, 0
	.set _ZN4vllm25paged_attention_v1_kernelI14__hip_bfloat16hLi96ELi8ELi128ELNS_18Fp8KVCacheDataTypeE1ELb1EEEvPT_PKS3_PKT0_S9_ifPKiSB_iPKfiiiSD_SD_iiiii.private_seg_size, 0
	.set _ZN4vllm25paged_attention_v1_kernelI14__hip_bfloat16hLi96ELi8ELi128ELNS_18Fp8KVCacheDataTypeE1ELb1EEEvPT_PKS3_PKT0_S9_ifPKiSB_iPKfiiiSD_SD_iiiii.uses_vcc, 1
	.set _ZN4vllm25paged_attention_v1_kernelI14__hip_bfloat16hLi96ELi8ELi128ELNS_18Fp8KVCacheDataTypeE1ELb1EEEvPT_PKS3_PKT0_S9_ifPKiSB_iPKfiiiSD_SD_iiiii.uses_flat_scratch, 0
	.set _ZN4vllm25paged_attention_v1_kernelI14__hip_bfloat16hLi96ELi8ELi128ELNS_18Fp8KVCacheDataTypeE1ELb1EEEvPT_PKS3_PKT0_S9_ifPKiSB_iPKfiiiSD_SD_iiiii.has_dyn_sized_stack, 0
	.set _ZN4vllm25paged_attention_v1_kernelI14__hip_bfloat16hLi96ELi8ELi128ELNS_18Fp8KVCacheDataTypeE1ELb1EEEvPT_PKS3_PKT0_S9_ifPKiSB_iPKfiiiSD_SD_iiiii.has_recursion, 0
	.set _ZN4vllm25paged_attention_v1_kernelI14__hip_bfloat16hLi96ELi8ELi128ELNS_18Fp8KVCacheDataTypeE1ELb1EEEvPT_PKS3_PKT0_S9_ifPKiSB_iPKfiiiSD_SD_iiiii.has_indirect_call, 0
	.section	.AMDGPU.csdata,"",@progbits
; Kernel info:
; codeLenInByte = 16760
; TotalNumSgprs: 48
; NumVgprs: 60
; ScratchSize: 0
; MemoryBound: 0
; FloatMode: 240
; IeeeMode: 1
; LDSByteSize: 224 bytes/workgroup (compile time only)
; SGPRBlocks: 0
; VGPRBlocks: 3
; NumSGPRsForWavesPerEU: 48
; NumVGPRsForWavesPerEU: 60
; NamedBarCnt: 0
; Occupancy: 16
; WaveLimiterHint : 1
; COMPUTE_PGM_RSRC2:SCRATCH_EN: 0
; COMPUTE_PGM_RSRC2:USER_SGPR: 2
; COMPUTE_PGM_RSRC2:TRAP_HANDLER: 0
; COMPUTE_PGM_RSRC2:TGID_X_EN: 1
; COMPUTE_PGM_RSRC2:TGID_Y_EN: 1
; COMPUTE_PGM_RSRC2:TGID_Z_EN: 1
; COMPUTE_PGM_RSRC2:TIDIG_COMP_CNT: 0
	.section	.text._ZN4vllm25paged_attention_v1_kernelI14__hip_bfloat16hLi112ELi8ELi128ELNS_18Fp8KVCacheDataTypeE1ELb1EEEvPT_PKS3_PKT0_S9_ifPKiSB_iPKfiiiSD_SD_iiiii,"axG",@progbits,_ZN4vllm25paged_attention_v1_kernelI14__hip_bfloat16hLi112ELi8ELi128ELNS_18Fp8KVCacheDataTypeE1ELb1EEEvPT_PKS3_PKT0_S9_ifPKiSB_iPKfiiiSD_SD_iiiii,comdat
	.protected	_ZN4vllm25paged_attention_v1_kernelI14__hip_bfloat16hLi112ELi8ELi128ELNS_18Fp8KVCacheDataTypeE1ELb1EEEvPT_PKS3_PKT0_S9_ifPKiSB_iPKfiiiSD_SD_iiiii ; -- Begin function _ZN4vllm25paged_attention_v1_kernelI14__hip_bfloat16hLi112ELi8ELi128ELNS_18Fp8KVCacheDataTypeE1ELb1EEEvPT_PKS3_PKT0_S9_ifPKiSB_iPKfiiiSD_SD_iiiii
	.globl	_ZN4vllm25paged_attention_v1_kernelI14__hip_bfloat16hLi112ELi8ELi128ELNS_18Fp8KVCacheDataTypeE1ELb1EEEvPT_PKS3_PKT0_S9_ifPKiSB_iPKfiiiSD_SD_iiiii
	.p2align	8
	.type	_ZN4vllm25paged_attention_v1_kernelI14__hip_bfloat16hLi112ELi8ELi128ELNS_18Fp8KVCacheDataTypeE1ELb1EEEvPT_PKS3_PKT0_S9_ifPKiSB_iPKfiiiSD_SD_iiiii,@function
_ZN4vllm25paged_attention_v1_kernelI14__hip_bfloat16hLi112ELi8ELi128ELNS_18Fp8KVCacheDataTypeE1ELb1EEEvPT_PKS3_PKT0_S9_ifPKiSB_iPKfiiiSD_SD_iiiii: ; @_ZN4vllm25paged_attention_v1_kernelI14__hip_bfloat16hLi112ELi8ELi128ELNS_18Fp8KVCacheDataTypeE1ELb1EEEvPT_PKS3_PKT0_S9_ifPKiSB_iPKfiiiSD_SD_iiiii
; %bb.0:
	s_load_b64 s[26:27], s[0:1], 0x20
	s_bfe_u32 s3, ttmp6, 0x4000c
	s_bfe_u32 s4, ttmp6, 0x40010
	s_and_b32 s6, ttmp7, 0xffff
	s_add_co_i32 s3, s3, 1
	s_add_co_i32 s4, s4, 1
	s_and_b32 s2, ttmp6, 15
	s_bfe_u32 s5, ttmp6, 0x40004
	s_mul_i32 s3, ttmp9, s3
	s_mul_i32 s4, s6, s4
	s_getreg_b32 s30, hwreg(HW_REG_IB_STS2, 6, 4)
	s_add_co_i32 s2, s2, s3
	s_add_co_i32 s3, s5, s4
	s_cmp_eq_u32 s30, 0
	s_clause 0x1
	s_load_b32 s31, s[0:1], 0x80
	s_load_b64 s[4:5], s[0:1], 0x30
	s_cselect_b32 s33, s6, s3
	s_cselect_b32 s2, ttmp9, s2
	s_wait_kmcnt 0x0
	s_abs_i32 s3, s26
	s_delay_alu instid0(SALU_CYCLE_1) | instskip(SKIP_1) | instid1(SALU_CYCLE_2)
	s_cvt_f32_u32 s6, s3
	s_sub_co_i32 s7, 0, s3
	v_rcp_iflag_f32_e32 v1, s6
	s_abs_i32 s8, s31
	v_nop
	s_delay_alu instid0(TRANS32_DEP_1) | instskip(SKIP_1) | instid1(SALU_CYCLE_3)
	v_readfirstlane_b32 s6, v1
	s_mul_f32 s6, s6, 0x4f7ffffe
	s_cvt_u32_f32 s6, s6
	s_delay_alu instid0(SALU_CYCLE_3) | instskip(NEXT) | instid1(SALU_CYCLE_1)
	s_mul_i32 s7, s7, s6
	s_mul_hi_u32 s7, s6, s7
	s_delay_alu instid0(SALU_CYCLE_1) | instskip(SKIP_4) | instid1(SALU_CYCLE_1)
	s_add_co_i32 s6, s6, s7
	s_xor_b32 s7, s31, s26
	s_mul_hi_u32 s6, s8, s6
	s_ashr_i32 s7, s7, 31
	s_mul_i32 s9, s6, s3
	s_sub_co_i32 s8, s8, s9
	s_add_co_i32 s9, s6, 1
	s_sub_co_i32 s10, s8, s3
	s_cmp_ge_u32 s8, s3
	s_cselect_b32 s6, s9, s6
	s_cselect_b32 s8, s10, s8
	s_add_co_i32 s9, s6, 1
	s_cmp_ge_u32 s8, s3
	s_load_b64 s[10:11], s[0:1], 0x40
	s_cselect_b32 s3, s9, s6
	s_mov_b32 s9, 0
	s_xor_b32 s3, s3, s7
	s_abs_i32 s8, s2
	s_sub_co_i32 s12, s3, s7
	s_mov_b32 s7, s9
	s_abs_i32 s19, s12
	s_mov_b32 s36, s9
	s_cvt_f32_u32 s3, s19
	s_sub_co_i32 s6, 0, s19
	s_delay_alu instid0(SALU_CYCLE_2) | instskip(SKIP_1) | instid1(TRANS32_DEP_1)
	v_rcp_iflag_f32_e32 v1, s3
	v_nop
	v_readfirstlane_b32 s3, v1
	s_mul_f32 s3, s3, 0x4f7ffffe
	s_delay_alu instid0(SALU_CYCLE_3) | instskip(NEXT) | instid1(SALU_CYCLE_3)
	s_cvt_u32_f32 s3, s3
	s_mul_i32 s6, s6, s3
	s_delay_alu instid0(SALU_CYCLE_1) | instskip(NEXT) | instid1(SALU_CYCLE_1)
	s_mul_hi_u32 s6, s3, s6
	s_add_co_i32 s6, s3, s6
	s_wait_kmcnt 0x0
	s_cmp_eq_u64 s[10:11], 0
	s_cbranch_scc1 .LBB308_2
; %bb.1:
	s_ashr_i32 s3, s2, 31
	s_delay_alu instid0(SALU_CYCLE_1) | instskip(NEXT) | instid1(SALU_CYCLE_1)
	s_lshl_b64 s[14:15], s[2:3], 2
	s_add_nc_u64 s[10:11], s[10:11], s[14:15]
	s_load_b32 s36, s[10:11], 0x0
.LBB308_2:
	s_load_b32 s34, s[4:5], s33 offset:0x0 scale_offset
	s_load_b96 s[16:18], s[0:1], 0x48
	v_and_b32_e32 v2, 3, v0
	s_wait_xcnt 0x0
	s_mul_u64 s[4:5], s[8:9], s[6:7]
	s_ashr_i32 s3, s2, 31
	s_ashr_i32 s10, s12, 31
	s_mul_i32 s6, s2, 0x70
	s_mov_b32 s4, exec_lo
	v_cmpx_gt_u32_e32 56, v0
	s_cbranch_execz .LBB308_4
; %bb.3:
	s_load_b64 s[12:13], s[0:1], 0x8
	s_wait_kmcnt 0x0
	s_mul_i32 s14, s16, s33
	s_ashr_i32 s7, s6, 31
	s_ashr_i32 s15, s14, 31
	v_and_b32_e32 v3, 0x3fc, v0
	s_lshl_b64 s[14:15], s[14:15], 1
	s_delay_alu instid0(VALU_DEP_1) | instskip(SKIP_2) | instid1(SALU_CYCLE_1)
	v_mad_u32_u24 v3, v2, 56, v3
	s_add_nc_u64 s[12:13], s[12:13], s[14:15]
	s_lshl_b64 s[14:15], s[6:7], 1
	s_add_nc_u64 s[12:13], s[12:13], s[14:15]
	global_load_b32 v1, v0, s[12:13] scale_offset
	s_wait_loadcnt 0x0
	ds_store_b32 v3, v1
.LBB308_4:
	s_or_b32 exec_lo, exec_lo, s4
	s_load_b128 s[12:15], s[0:1], 0x68
	s_mul_i32 s4, s5, s19
	s_xor_b32 s3, s3, s10
	s_sub_co_i32 s4, s8, s4
	s_add_co_i32 s7, s5, 1
	s_sub_co_i32 s8, s4, s19
	s_cmp_ge_u32 s4, s19
	s_mov_b32 s9, -1
	s_cselect_b32 s5, s7, s5
	s_cselect_b32 s4, s8, s4
	s_add_co_i32 s8, s5, 1
	s_cmp_ge_u32 s4, s19
	s_load_b32 s7, s[0:1], 0x78
	s_cselect_b32 s4, s8, s5
	s_wait_kmcnt 0x0
	s_add_co_i32 s8, s34, -1
	s_xor_b32 s4, s4, s3
	s_wait_dscnt 0x0
	s_sub_co_i32 s3, s4, s3
	s_barrier_signal -1
	s_barrier_wait -1
	s_abs_i32 s16, s15
	s_delay_alu instid0(SALU_CYCLE_1) | instskip(NEXT) | instid1(SALU_CYCLE_3)
	s_cvt_f32_u32 s5, s16
                                        ; implicit-def: $sgpr35
	v_rcp_iflag_f32_e32 v1, s5
	v_nop
	s_delay_alu instid0(TRANS32_DEP_1) | instskip(SKIP_1) | instid1(SALU_CYCLE_3)
	v_readfirstlane_b32 s5, v1
	s_mul_f32 s4, s5, 0x4f7ffffe
	s_cvt_u32_f32 s10, s4
	s_sub_co_i32 s4, 0, s16
	s_delay_alu instid0(SALU_CYCLE_2)
	s_mul_i32 s5, s4, s10
	s_abs_i32 s4, s8
	s_mul_hi_u32 s11, s10, s5
	s_mov_b32 s5, 0
	s_add_co_i32 s20, s10, s11
	s_cmp_lt_i32 s7, 0
	s_mov_b32 s21, s5
	s_cbranch_scc0 .LBB308_6
; %bb.5:
	s_mul_i32 s9, s12, s26
	s_delay_alu instid0(SALU_CYCLE_1) | instskip(NEXT) | instid1(SALU_CYCLE_1)
	s_add_co_i32 s9, s3, s9
	s_mul_i32 s9, s9, s7
	s_delay_alu instid0(SALU_CYCLE_1)
	s_sub_co_i32 s35, 1, s9
	s_mov_b32 s9, s5
.LBB308_6:
	s_ashr_i32 s8, s8, 31
	s_ashr_i32 s15, s15, 31
	s_and_not1_b32 vcc_lo, exec_lo, s9
	s_mul_u64 s[28:29], s[4:5], s[20:21]
	s_cbranch_vccnz .LBB308_8
; %bb.7:
	s_mul_i32 s5, s31, s12
	s_delay_alu instid0(SALU_CYCLE_1) | instskip(NEXT) | instid1(SALU_CYCLE_1)
	s_add_co_i32 s2, s5, s2
	s_mul_i32 s2, s2, s7
	s_delay_alu instid0(SALU_CYCLE_1)
	s_add_co_i32 s35, s2, 1
.LBB308_8:
	s_clause 0x1
	s_load_b32 s2, s[0:1], 0x38
	s_load_b64 s[22:23], s[0:1], 0x28
	s_mul_i32 s7, s29, s16
	s_xor_b32 s5, s8, s15
	s_sub_co_i32 s4, s4, s7
	s_add_co_i32 s12, s29, 1
	s_clause 0x1
	s_load_b32 s7, s[0:1], 0x88
	s_load_b128 s[8:11], s[0:1], 0x58
	v_dual_lshrrev_b32 v1, 5, v0 :: v_dual_lshrrev_b32 v15, 3, v0
	v_mov_b32_e32 v31, 0xff7fffff
	v_mbcnt_lo_u32_b32 v28, -1, 0
	s_mul_i32 s18, s3, s18
	s_delay_alu instid0(VALU_DEP_3)
	v_lshlrev_b32_e32 v14, 3, v1
	s_wait_kmcnt 0x0
	s_mul_i32 s24, s2, s33
	s_sub_co_i32 s2, s4, s16
	s_ashr_i32 s25, s24, 31
	s_cmp_ge_u32 s4, s16
	s_cselect_b32 s12, s12, s29
	s_cselect_b32 s2, s2, s4
	s_add_co_i32 s4, s12, 1
	s_cmp_ge_u32 s2, s16
	s_cselect_b32 s2, s4, s12
	s_add_co_i32 s4, s34, 7
	s_delay_alu instid0(SALU_CYCLE_1) | instskip(NEXT) | instid1(SALU_CYCLE_1)
	s_ashr_i32 s12, s4, 31
	s_lshr_b32 s12, s12, 29
	s_delay_alu instid0(SALU_CYCLE_1) | instskip(NEXT) | instid1(SALU_CYCLE_1)
	s_add_co_i32 s4, s4, s12
	s_ashr_i32 s26, s4, 3
	s_xor_b32 s4, s2, s5
	v_cmp_gt_i32_e64 s2, s26, v1
	s_sub_co_i32 s12, s4, s5
	s_and_saveexec_b32 s37, s2
	s_cbranch_execz .LBB308_244
; %bb.9:
	s_load_b64 s[4:5], s[0:1], 0x10
	s_sub_co_i32 s38, s12, s13
	s_ashr_i32 s19, s18, 31
	s_cmp_neq_f32 s36, 0
	v_bfe_u32 v29, v0, 2, 3
	v_dual_mov_b32 v17, 0 :: v_dual_lshlrev_b32 v18, 3, v1
	s_cselect_b32 vcc_lo, -1, 0
	s_abs_i32 s39, s14
	s_delay_alu instid0(VALU_DEP_2)
	v_lshlrev_b32_e32 v16, 4, v29
	s_cvt_f32_u32 s28, s39
	s_lshl_b64 s[40:41], s[24:25], 2
	v_cmp_eq_u32_e64 s3, 0, v2
	v_mul_u32_u24_e32 v30, 56, v2
	v_rcp_iflag_f32_e32 v3, s28
	v_subrev_nc_u32_e32 v6, s34, v29
	v_mov_b32_e32 v34, v1
	s_mov_b32 s29, 0
	v_mov_b32_e32 v31, 0xff7fffff
	s_wait_kmcnt 0x0
	s_add_nc_u64 s[4:5], s[4:5], s[18:19]
	v_readfirstlane_b32 s28, v3
	v_lshlrev_b32_e32 v3, 2, v29
	v_add_nc_u64_e32 v[4:5], s[4:5], v[16:17]
	v_lshlrev_b32_e32 v16, 1, v2
	s_add_nc_u64 s[4:5], s[22:23], s[40:41]
	s_mul_f32 s19, s28, 0x4f7ffffe
	v_lshl_or_b32 v2, v1, 5, v3
	s_sub_co_i32 s28, 0, s39
	v_add_nc_u32_e32 v32, 1, v6
	v_add_nc_u64_e32 v[20:21], v[4:5], v[16:17]
	v_and_b32_e32 v16, 0x7c, v15
	s_cvt_u32_f32 s40, s19
	v_add_nc_u32_e32 v33, 0x100, v2
	s_mov_b32 s19, s17
	s_delay_alu instid0(VALU_DEP_2) | instskip(SKIP_1) | instid1(SALU_CYCLE_1)
	v_add_nc_u64_e32 v[22:23], s[4:5], v[16:17]
	s_mul_i32 s28, s28, s40
	s_mul_hi_u32 s28, s40, s28
	s_delay_alu instid0(SALU_CYCLE_1)
	s_add_co_i32 s28, s40, s28
	s_mov_b32 s40, s29
	s_branch .LBB308_12
.LBB308_10:                             ;   in Loop: Header=BB308_12 Depth=1
	s_or_b32 exec_lo, exec_lo, s41
.LBB308_11:                             ;   in Loop: Header=BB308_12 Depth=1
	s_delay_alu instid0(SALU_CYCLE_1) | instskip(SKIP_4) | instid1(VALU_DEP_4)
	s_or_b32 exec_lo, exec_lo, s5
	v_add_nc_u32_e32 v34, 4, v34
	v_add_nc_u64_e32 v[22:23], 16, v[22:23]
	v_add_nc_u32_e32 v18, 32, v18
	v_add_nc_u32_e32 v33, 0x80, v33
	v_cmp_le_i32_e64 s4, s26, v34
	s_or_b32 s40, s4, s40
	s_delay_alu instid0(SALU_CYCLE_1)
	s_and_not1_b32 exec_lo, exec_lo, s40
	s_cbranch_execz .LBB308_243
.LBB308_12:                             ; =>This Inner Loop Header: Depth=1
	v_mov_b32_e32 v19, v17
	s_wait_dscnt 0x0
	s_delay_alu instid0(VALU_DEP_1) | instskip(NEXT) | instid1(VALU_DEP_1)
	v_mul_u64_e32 v[2:3], s[20:21], v[18:19]
	v_mul_lo_u32 v2, v3, s16
	s_delay_alu instid0(VALU_DEP_1) | instskip(NEXT) | instid1(VALU_DEP_1)
	v_sub_nc_u32_e32 v2, v18, v2
	v_subrev_nc_u32_e32 v5, s16, v2
	v_cmp_le_u32_e64 s4, s16, v2
	s_delay_alu instid0(VALU_DEP_1) | instskip(NEXT) | instid1(VALU_DEP_1)
	v_dual_add_nc_u32 v4, 1, v3 :: v_dual_cndmask_b32 v2, v2, v5, s4
	v_cndmask_b32_e64 v3, v3, v4, s4
	s_delay_alu instid0(VALU_DEP_2) | instskip(NEXT) | instid1(VALU_DEP_2)
	v_cmp_le_u32_e64 s4, s16, v2
	v_add_nc_u32_e32 v4, 1, v3
	s_delay_alu instid0(VALU_DEP_1) | instskip(NEXT) | instid1(VALU_DEP_1)
	v_cndmask_b32_e64 v2, v3, v4, s4
	v_xor_b32_e32 v2, s15, v2
	s_delay_alu instid0(VALU_DEP_1) | instskip(NEXT) | instid1(VALU_DEP_1)
	v_subrev_nc_u32_e32 v4, s15, v2
	v_add_nc_u32_e32 v5, s35, v4
	v_cmp_ge_i32_e64 s5, s38, v4
	s_delay_alu instid0(VALU_DEP_2) | instskip(NEXT) | instid1(VALU_DEP_1)
	v_sub_nc_u32_e32 v2, 0, v5
	v_dual_ashrrev_i32 v5, 31, v5 :: v_dual_max_i32 v16, v5, v2
	s_delay_alu instid0(VALU_DEP_1) | instskip(NEXT) | instid1(VALU_DEP_1)
	v_mul_u64_e32 v[2:3], s[28:29], v[16:17]
	v_mul_lo_u32 v2, v3, s39
	s_delay_alu instid0(VALU_DEP_1) | instskip(NEXT) | instid1(VALU_DEP_1)
	v_sub_nc_u32_e32 v2, v16, v2
	v_subrev_nc_u32_e32 v3, s39, v2
	v_cmp_le_u32_e64 s4, s39, v2
	s_delay_alu instid0(VALU_DEP_1) | instskip(NEXT) | instid1(VALU_DEP_1)
	v_cndmask_b32_e64 v2, v2, v3, s4
	v_subrev_nc_u32_e32 v3, s39, v2
	v_cmp_le_u32_e64 s4, s39, v2
	s_delay_alu instid0(VALU_DEP_1) | instskip(NEXT) | instid1(VALU_DEP_1)
	v_cndmask_b32_e64 v2, v2, v3, s4
	v_xor_b32_e32 v2, v2, v5
	s_delay_alu instid0(VALU_DEP_1) | instskip(NEXT) | instid1(VALU_DEP_1)
	v_sub_nc_u32_e32 v2, v2, v5
	v_cmp_ne_u32_e64 s4, 0, v2
	s_and_b32 s4, s4, s5
	s_delay_alu instid0(SALU_CYCLE_1) | instskip(NEXT) | instid1(SALU_CYCLE_1)
	s_and_saveexec_b32 s5, s4
	s_xor_b32 s4, exec_lo, s5
	s_cbranch_execz .LBB308_16
; %bb.13:                               ;   in Loop: Header=BB308_12 Depth=1
	s_and_saveexec_b32 s5, s3
; %bb.14:                               ;   in Loop: Header=BB308_12 Depth=1
	v_mov_b32_e32 v2, 0xff7fffff
	ds_store_b32 v33, v2
; %bb.15:                               ;   in Loop: Header=BB308_12 Depth=1
	s_or_b32 exec_lo, exec_lo, s5
.LBB308_16:                             ;   in Loop: Header=BB308_12 Depth=1
	s_and_not1_saveexec_b32 s5, s4
	s_cbranch_execz .LBB308_11
; %bb.17:                               ;   in Loop: Header=BB308_12 Depth=1
	global_load_b32 v2, v[22:23], off
	v_mov_b32_e32 v19, 0
	s_wait_loadcnt 0x0
	v_mad_nc_i64_i32 v[26:27], v2, s19, v[20:21]
	global_load_u16 v16, v[26:27], off
	ds_load_2addr_b64 v[10:13], v30 offset1:1
	ds_load_2addr_b64 v[6:9], v30 offset0:2 offset1:3
	ds_load_2addr_b64 v[2:5], v30 offset0:4 offset1:5
	ds_load_b64 v[24:25], v30 offset:48
	s_load_b32 s41, s[8:9], 0x0
	s_wait_loadcnt 0x0
	v_and_b32_e32 v35, 0xff, v16
	v_and_b32_e32 v36, 0xffff, v16
	s_delay_alu instid0(VALU_DEP_2)
	v_cmp_ne_u16_e64 s4, 0, v35
	v_mov_b32_e32 v35, 0
	s_and_saveexec_b32 s42, s4
	s_cbranch_execz .LBB308_25
; %bb.18:                               ;   in Loop: Header=BB308_12 Depth=1
	v_and_b32_e32 v16, 0xff, v36
	v_bfrev_b32_e32 v35, 1
	s_mov_b32 s43, exec_lo
	s_delay_alu instid0(VALU_DEP_2)
	v_cmpx_ne_u16_e32 0x80, v16
	s_cbranch_execz .LBB308_24
; %bb.19:                               ;   in Loop: Header=BB308_12 Depth=1
	v_and_b32_e32 v37, 0x7f, v36
	v_mov_b32_e32 v35, 0x7f800001
	s_mov_b32 s44, exec_lo
	s_delay_alu instid0(VALU_DEP_2)
	v_cmpx_ne_u32_e32 0x7f, v37
	s_cbranch_execz .LBB308_23
; %bb.20:                               ;   in Loop: Header=BB308_12 Depth=1
	v_dual_lshrrev_b32 v35, 3, v37 :: v_dual_bitop2_b32 v16, 7, v36 bitop3:0x40
	s_mov_b32 s45, exec_lo
	v_cmpx_gt_u32_e32 8, v37
; %bb.21:                               ;   in Loop: Header=BB308_12 Depth=1
	s_delay_alu instid0(VALU_DEP_2) | instskip(NEXT) | instid1(VALU_DEP_1)
	v_clz_i32_u32_e32 v35, v16
	v_min_u32_e32 v35, 32, v35
	s_delay_alu instid0(VALU_DEP_1) | instskip(NEXT) | instid1(VALU_DEP_1)
	v_subrev_nc_u32_e32 v37, 28, v35
	v_lshlrev_b64_e32 v[38:39], v37, v[16:17]
	s_delay_alu instid0(VALU_DEP_1)
	v_dual_sub_nc_u32 v35, 29, v35 :: v_dual_bitop2_b32 v16, 7, v38 bitop3:0x40
; %bb.22:                               ;   in Loop: Header=BB308_12 Depth=1
	s_or_b32 exec_lo, exec_lo, s45
	v_lshlrev_b32_e32 v37, 24, v36
	s_delay_alu instid0(VALU_DEP_2) | instskip(NEXT) | instid1(VALU_DEP_3)
	v_lshlrev_b32_e32 v16, 20, v16
	v_lshl_add_u32 v35, v35, 23, 0x3c000000
	s_delay_alu instid0(VALU_DEP_3) | instskip(NEXT) | instid1(VALU_DEP_1)
	v_and_b32_e32 v37, 0x80000000, v37
	v_or3_b32 v35, v16, v37, v35
.LBB308_23:                             ;   in Loop: Header=BB308_12 Depth=1
	s_or_b32 exec_lo, exec_lo, s44
.LBB308_24:                             ;   in Loop: Header=BB308_12 Depth=1
	s_delay_alu instid0(SALU_CYCLE_1)
	s_or_b32 exec_lo, exec_lo, s43
.LBB308_25:                             ;   in Loop: Header=BB308_12 Depth=1
	s_delay_alu instid0(SALU_CYCLE_1) | instskip(SKIP_2) | instid1(VALU_DEP_1)
	s_or_b32 exec_lo, exec_lo, s42
	v_lshrrev_b16 v16, 8, v36
	s_mov_b32 s42, exec_lo
	v_cmpx_ne_u16_e32 0, v16
	s_cbranch_execz .LBB308_33
; %bb.26:                               ;   in Loop: Header=BB308_12 Depth=1
	v_bfrev_b32_e32 v19, 1
	s_mov_b32 s43, exec_lo
	v_cmpx_ne_u16_e32 0x80, v16
	s_cbranch_execz .LBB308_32
; %bb.27:                               ;   in Loop: Header=BB308_12 Depth=1
	v_and_b32_e32 v16, 0xffff, v16
	v_mov_b32_e32 v19, 0x7f800001
	s_mov_b32 s44, exec_lo
	s_delay_alu instid0(VALU_DEP_2) | instskip(NEXT) | instid1(VALU_DEP_1)
	v_and_b32_e32 v37, 0x7f, v16
	v_cmpx_ne_u32_e32 0x7f, v37
	s_cbranch_execz .LBB308_31
; %bb.28:                               ;   in Loop: Header=BB308_12 Depth=1
	v_dual_lshrrev_b32 v19, 3, v37 :: v_dual_bitop2_b32 v16, 7, v16 bitop3:0x40
	s_mov_b32 s45, exec_lo
	v_cmpx_gt_u32_e32 8, v37
; %bb.29:                               ;   in Loop: Header=BB308_12 Depth=1
	s_delay_alu instid0(VALU_DEP_2) | instskip(NEXT) | instid1(VALU_DEP_1)
	v_clz_i32_u32_e32 v19, v16
	v_min_u32_e32 v19, 32, v19
	s_delay_alu instid0(VALU_DEP_1) | instskip(NEXT) | instid1(VALU_DEP_1)
	v_subrev_nc_u32_e32 v37, 28, v19
	v_lshlrev_b64_e32 v[38:39], v37, v[16:17]
	s_delay_alu instid0(VALU_DEP_1)
	v_dual_sub_nc_u32 v19, 29, v19 :: v_dual_bitop2_b32 v16, 7, v38 bitop3:0x40
; %bb.30:                               ;   in Loop: Header=BB308_12 Depth=1
	s_or_b32 exec_lo, exec_lo, s45
	v_lshlrev_b32_e32 v36, 16, v36
	s_delay_alu instid0(VALU_DEP_2) | instskip(NEXT) | instid1(VALU_DEP_3)
	v_lshlrev_b32_e32 v16, 20, v16
	v_lshl_add_u32 v19, v19, 23, 0x3c000000
	s_delay_alu instid0(VALU_DEP_3) | instskip(NEXT) | instid1(VALU_DEP_1)
	v_and_b32_e32 v36, 0x80000000, v36
	v_or3_b32 v19, v16, v36, v19
.LBB308_31:                             ;   in Loop: Header=BB308_12 Depth=1
	s_or_b32 exec_lo, exec_lo, s44
.LBB308_32:                             ;   in Loop: Header=BB308_12 Depth=1
	s_delay_alu instid0(SALU_CYCLE_1)
	s_or_b32 exec_lo, exec_lo, s43
.LBB308_33:                             ;   in Loop: Header=BB308_12 Depth=1
	s_delay_alu instid0(SALU_CYCLE_1)
	s_or_b32 exec_lo, exec_lo, s42
	global_load_u16 v16, v[26:27], off offset:8
	v_mov_b32_e32 v36, 0
	s_wait_loadcnt 0x0
	v_and_b32_e32 v37, 0xff, v16
	v_and_b32_e32 v38, 0xffff, v16
	s_delay_alu instid0(VALU_DEP_2)
	v_cmp_ne_u16_e64 s4, 0, v37
	v_mov_b32_e32 v37, 0
	s_and_saveexec_b32 s42, s4
	s_cbranch_execz .LBB308_41
; %bb.34:                               ;   in Loop: Header=BB308_12 Depth=1
	v_and_b32_e32 v16, 0xff, v38
	v_bfrev_b32_e32 v37, 1
	s_mov_b32 s43, exec_lo
	s_delay_alu instid0(VALU_DEP_2)
	v_cmpx_ne_u16_e32 0x80, v16
	s_cbranch_execz .LBB308_40
; %bb.35:                               ;   in Loop: Header=BB308_12 Depth=1
	v_and_b32_e32 v39, 0x7f, v38
	v_mov_b32_e32 v37, 0x7f800001
	s_mov_b32 s44, exec_lo
	s_delay_alu instid0(VALU_DEP_2)
	v_cmpx_ne_u32_e32 0x7f, v39
	s_cbranch_execz .LBB308_39
; %bb.36:                               ;   in Loop: Header=BB308_12 Depth=1
	v_dual_lshrrev_b32 v37, 3, v39 :: v_dual_bitop2_b32 v16, 7, v38 bitop3:0x40
	s_mov_b32 s45, exec_lo
	v_cmpx_gt_u32_e32 8, v39
; %bb.37:                               ;   in Loop: Header=BB308_12 Depth=1
	s_delay_alu instid0(VALU_DEP_2) | instskip(NEXT) | instid1(VALU_DEP_1)
	v_clz_i32_u32_e32 v37, v16
	v_min_u32_e32 v37, 32, v37
	s_delay_alu instid0(VALU_DEP_1) | instskip(NEXT) | instid1(VALU_DEP_1)
	v_subrev_nc_u32_e32 v39, 28, v37
	v_lshlrev_b64_e32 v[40:41], v39, v[16:17]
	s_delay_alu instid0(VALU_DEP_1)
	v_dual_sub_nc_u32 v37, 29, v37 :: v_dual_bitop2_b32 v16, 7, v40 bitop3:0x40
; %bb.38:                               ;   in Loop: Header=BB308_12 Depth=1
	s_or_b32 exec_lo, exec_lo, s45
	s_delay_alu instid0(VALU_DEP_1) | instskip(NEXT) | instid1(VALU_DEP_2)
	v_dual_lshlrev_b32 v39, 24, v38 :: v_dual_lshlrev_b32 v16, 20, v16
	v_lshl_add_u32 v37, v37, 23, 0x3c000000
	s_delay_alu instid0(VALU_DEP_2) | instskip(NEXT) | instid1(VALU_DEP_1)
	v_and_b32_e32 v39, 0x80000000, v39
	v_or3_b32 v37, v16, v39, v37
.LBB308_39:                             ;   in Loop: Header=BB308_12 Depth=1
	s_or_b32 exec_lo, exec_lo, s44
.LBB308_40:                             ;   in Loop: Header=BB308_12 Depth=1
	s_delay_alu instid0(SALU_CYCLE_1)
	s_or_b32 exec_lo, exec_lo, s43
.LBB308_41:                             ;   in Loop: Header=BB308_12 Depth=1
	s_delay_alu instid0(SALU_CYCLE_1) | instskip(SKIP_2) | instid1(VALU_DEP_1)
	s_or_b32 exec_lo, exec_lo, s42
	v_lshrrev_b16 v16, 8, v38
	s_mov_b32 s42, exec_lo
	v_cmpx_ne_u16_e32 0, v16
	s_cbranch_execz .LBB308_49
; %bb.42:                               ;   in Loop: Header=BB308_12 Depth=1
	v_bfrev_b32_e32 v36, 1
	s_mov_b32 s43, exec_lo
	v_cmpx_ne_u16_e32 0x80, v16
	s_cbranch_execz .LBB308_48
; %bb.43:                               ;   in Loop: Header=BB308_12 Depth=1
	v_and_b32_e32 v16, 0xffff, v16
	v_mov_b32_e32 v36, 0x7f800001
	s_mov_b32 s44, exec_lo
	s_delay_alu instid0(VALU_DEP_2) | instskip(NEXT) | instid1(VALU_DEP_1)
	v_and_b32_e32 v39, 0x7f, v16
	v_cmpx_ne_u32_e32 0x7f, v39
	s_cbranch_execz .LBB308_47
; %bb.44:                               ;   in Loop: Header=BB308_12 Depth=1
	v_dual_lshrrev_b32 v36, 3, v39 :: v_dual_bitop2_b32 v16, 7, v16 bitop3:0x40
	s_mov_b32 s45, exec_lo
	v_cmpx_gt_u32_e32 8, v39
; %bb.45:                               ;   in Loop: Header=BB308_12 Depth=1
	s_delay_alu instid0(VALU_DEP_2) | instskip(NEXT) | instid1(VALU_DEP_1)
	v_clz_i32_u32_e32 v36, v16
	v_min_u32_e32 v36, 32, v36
	s_delay_alu instid0(VALU_DEP_1) | instskip(SKIP_1) | instid1(VALU_DEP_2)
	v_subrev_nc_u32_e32 v39, 28, v36
	v_sub_nc_u32_e32 v36, 29, v36
	v_lshlrev_b64_e32 v[40:41], v39, v[16:17]
	s_delay_alu instid0(VALU_DEP_1)
	v_and_b32_e32 v16, 7, v40
; %bb.46:                               ;   in Loop: Header=BB308_12 Depth=1
	s_or_b32 exec_lo, exec_lo, s45
	s_delay_alu instid0(VALU_DEP_1) | instskip(SKIP_1) | instid1(VALU_DEP_2)
	v_dual_lshlrev_b32 v38, 16, v38 :: v_dual_lshlrev_b32 v16, 20, v16
	v_lshl_add_u32 v36, v36, 23, 0x3c000000
	v_and_b32_e32 v38, 0x80000000, v38
	s_delay_alu instid0(VALU_DEP_1)
	v_or3_b32 v36, v16, v38, v36
.LBB308_47:                             ;   in Loop: Header=BB308_12 Depth=1
	s_or_b32 exec_lo, exec_lo, s44
.LBB308_48:                             ;   in Loop: Header=BB308_12 Depth=1
	s_delay_alu instid0(SALU_CYCLE_1)
	s_or_b32 exec_lo, exec_lo, s43
.LBB308_49:                             ;   in Loop: Header=BB308_12 Depth=1
	s_delay_alu instid0(SALU_CYCLE_1)
	s_or_b32 exec_lo, exec_lo, s42
	global_load_u16 v16, v[26:27], off offset:128
	v_mov_b32_e32 v38, 0
	s_wait_loadcnt 0x0
	v_and_b32_e32 v39, 0xff, v16
	v_and_b32_e32 v40, 0xffff, v16
	s_delay_alu instid0(VALU_DEP_2)
	v_cmp_ne_u16_e64 s4, 0, v39
	v_mov_b32_e32 v39, 0
	s_and_saveexec_b32 s42, s4
	s_cbranch_execz .LBB308_57
; %bb.50:                               ;   in Loop: Header=BB308_12 Depth=1
	v_and_b32_e32 v16, 0xff, v40
	v_bfrev_b32_e32 v39, 1
	s_mov_b32 s43, exec_lo
	s_delay_alu instid0(VALU_DEP_2)
	v_cmpx_ne_u16_e32 0x80, v16
	s_cbranch_execz .LBB308_56
; %bb.51:                               ;   in Loop: Header=BB308_12 Depth=1
	v_and_b32_e32 v41, 0x7f, v40
	v_mov_b32_e32 v39, 0x7f800001
	s_mov_b32 s44, exec_lo
	s_delay_alu instid0(VALU_DEP_2)
	v_cmpx_ne_u32_e32 0x7f, v41
	s_cbranch_execz .LBB308_55
; %bb.52:                               ;   in Loop: Header=BB308_12 Depth=1
	v_dual_lshrrev_b32 v39, 3, v41 :: v_dual_bitop2_b32 v16, 7, v40 bitop3:0x40
	s_mov_b32 s45, exec_lo
	v_cmpx_gt_u32_e32 8, v41
; %bb.53:                               ;   in Loop: Header=BB308_12 Depth=1
	s_delay_alu instid0(VALU_DEP_2) | instskip(NEXT) | instid1(VALU_DEP_1)
	v_clz_i32_u32_e32 v39, v16
	v_min_u32_e32 v39, 32, v39
	s_delay_alu instid0(VALU_DEP_1) | instskip(NEXT) | instid1(VALU_DEP_1)
	v_subrev_nc_u32_e32 v41, 28, v39
	v_lshlrev_b64_e32 v[42:43], v41, v[16:17]
	s_delay_alu instid0(VALU_DEP_1)
	v_dual_sub_nc_u32 v39, 29, v39 :: v_dual_bitop2_b32 v16, 7, v42 bitop3:0x40
; %bb.54:                               ;   in Loop: Header=BB308_12 Depth=1
	s_or_b32 exec_lo, exec_lo, s45
	v_lshlrev_b32_e32 v41, 24, v40
	s_delay_alu instid0(VALU_DEP_2) | instskip(NEXT) | instid1(VALU_DEP_3)
	v_lshlrev_b32_e32 v16, 20, v16
	v_lshl_add_u32 v39, v39, 23, 0x3c000000
	s_delay_alu instid0(VALU_DEP_3) | instskip(NEXT) | instid1(VALU_DEP_1)
	v_and_b32_e32 v41, 0x80000000, v41
	v_or3_b32 v39, v16, v41, v39
.LBB308_55:                             ;   in Loop: Header=BB308_12 Depth=1
	s_or_b32 exec_lo, exec_lo, s44
.LBB308_56:                             ;   in Loop: Header=BB308_12 Depth=1
	s_delay_alu instid0(SALU_CYCLE_1)
	s_or_b32 exec_lo, exec_lo, s43
.LBB308_57:                             ;   in Loop: Header=BB308_12 Depth=1
	s_delay_alu instid0(SALU_CYCLE_1) | instskip(SKIP_2) | instid1(VALU_DEP_1)
	s_or_b32 exec_lo, exec_lo, s42
	v_lshrrev_b16 v16, 8, v40
	s_mov_b32 s42, exec_lo
	v_cmpx_ne_u16_e32 0, v16
	s_cbranch_execz .LBB308_65
; %bb.58:                               ;   in Loop: Header=BB308_12 Depth=1
	v_bfrev_b32_e32 v38, 1
	s_mov_b32 s43, exec_lo
	v_cmpx_ne_u16_e32 0x80, v16
	s_cbranch_execz .LBB308_64
; %bb.59:                               ;   in Loop: Header=BB308_12 Depth=1
	v_and_b32_e32 v16, 0xffff, v16
	v_mov_b32_e32 v38, 0x7f800001
	s_mov_b32 s44, exec_lo
	s_delay_alu instid0(VALU_DEP_2) | instskip(NEXT) | instid1(VALU_DEP_1)
	v_and_b32_e32 v41, 0x7f, v16
	v_cmpx_ne_u32_e32 0x7f, v41
	s_cbranch_execz .LBB308_63
; %bb.60:                               ;   in Loop: Header=BB308_12 Depth=1
	v_dual_lshrrev_b32 v38, 3, v41 :: v_dual_bitop2_b32 v16, 7, v16 bitop3:0x40
	s_mov_b32 s45, exec_lo
	v_cmpx_gt_u32_e32 8, v41
; %bb.61:                               ;   in Loop: Header=BB308_12 Depth=1
	s_delay_alu instid0(VALU_DEP_2) | instskip(NEXT) | instid1(VALU_DEP_1)
	v_clz_i32_u32_e32 v38, v16
	v_min_u32_e32 v38, 32, v38
	s_delay_alu instid0(VALU_DEP_1) | instskip(SKIP_1) | instid1(VALU_DEP_2)
	v_subrev_nc_u32_e32 v41, 28, v38
	v_sub_nc_u32_e32 v38, 29, v38
	v_lshlrev_b64_e32 v[42:43], v41, v[16:17]
	s_delay_alu instid0(VALU_DEP_1)
	v_and_b32_e32 v16, 7, v42
; %bb.62:                               ;   in Loop: Header=BB308_12 Depth=1
	s_or_b32 exec_lo, exec_lo, s45
	v_lshlrev_b32_e32 v40, 16, v40
	s_delay_alu instid0(VALU_DEP_2) | instskip(SKIP_1) | instid1(VALU_DEP_3)
	v_lshlrev_b32_e32 v16, 20, v16
	v_lshl_add_u32 v38, v38, 23, 0x3c000000
	v_and_b32_e32 v40, 0x80000000, v40
	s_delay_alu instid0(VALU_DEP_1)
	v_or3_b32 v38, v16, v40, v38
.LBB308_63:                             ;   in Loop: Header=BB308_12 Depth=1
	s_or_b32 exec_lo, exec_lo, s44
.LBB308_64:                             ;   in Loop: Header=BB308_12 Depth=1
	s_delay_alu instid0(SALU_CYCLE_1)
	s_or_b32 exec_lo, exec_lo, s43
.LBB308_65:                             ;   in Loop: Header=BB308_12 Depth=1
	s_delay_alu instid0(SALU_CYCLE_1)
	s_or_b32 exec_lo, exec_lo, s42
	global_load_u16 v16, v[26:27], off offset:136
	v_mov_b32_e32 v40, 0
	s_wait_loadcnt 0x0
	v_and_b32_e32 v41, 0xff, v16
	v_and_b32_e32 v42, 0xffff, v16
	s_delay_alu instid0(VALU_DEP_2)
	v_cmp_ne_u16_e64 s4, 0, v41
	v_mov_b32_e32 v41, 0
	s_and_saveexec_b32 s42, s4
	s_cbranch_execz .LBB308_73
; %bb.66:                               ;   in Loop: Header=BB308_12 Depth=1
	v_and_b32_e32 v16, 0xff, v42
	v_bfrev_b32_e32 v41, 1
	s_mov_b32 s43, exec_lo
	s_delay_alu instid0(VALU_DEP_2)
	v_cmpx_ne_u16_e32 0x80, v16
	s_cbranch_execz .LBB308_72
; %bb.67:                               ;   in Loop: Header=BB308_12 Depth=1
	v_and_b32_e32 v43, 0x7f, v42
	v_mov_b32_e32 v41, 0x7f800001
	s_mov_b32 s44, exec_lo
	s_delay_alu instid0(VALU_DEP_2)
	v_cmpx_ne_u32_e32 0x7f, v43
	s_cbranch_execz .LBB308_71
; %bb.68:                               ;   in Loop: Header=BB308_12 Depth=1
	v_dual_lshrrev_b32 v41, 3, v43 :: v_dual_bitop2_b32 v16, 7, v42 bitop3:0x40
	s_mov_b32 s45, exec_lo
	v_cmpx_gt_u32_e32 8, v43
; %bb.69:                               ;   in Loop: Header=BB308_12 Depth=1
	s_delay_alu instid0(VALU_DEP_2) | instskip(NEXT) | instid1(VALU_DEP_1)
	v_clz_i32_u32_e32 v41, v16
	v_min_u32_e32 v41, 32, v41
	s_delay_alu instid0(VALU_DEP_1) | instskip(NEXT) | instid1(VALU_DEP_1)
	v_subrev_nc_u32_e32 v43, 28, v41
	v_lshlrev_b64_e32 v[44:45], v43, v[16:17]
	s_delay_alu instid0(VALU_DEP_1)
	v_dual_sub_nc_u32 v41, 29, v41 :: v_dual_bitop2_b32 v16, 7, v44 bitop3:0x40
; %bb.70:                               ;   in Loop: Header=BB308_12 Depth=1
	s_or_b32 exec_lo, exec_lo, s45
	s_delay_alu instid0(VALU_DEP_1) | instskip(NEXT) | instid1(VALU_DEP_2)
	v_dual_lshlrev_b32 v43, 24, v42 :: v_dual_lshlrev_b32 v16, 20, v16
	v_lshl_add_u32 v41, v41, 23, 0x3c000000
	s_delay_alu instid0(VALU_DEP_2) | instskip(NEXT) | instid1(VALU_DEP_1)
	v_and_b32_e32 v43, 0x80000000, v43
	v_or3_b32 v41, v16, v43, v41
.LBB308_71:                             ;   in Loop: Header=BB308_12 Depth=1
	s_or_b32 exec_lo, exec_lo, s44
.LBB308_72:                             ;   in Loop: Header=BB308_12 Depth=1
	s_delay_alu instid0(SALU_CYCLE_1)
	s_or_b32 exec_lo, exec_lo, s43
.LBB308_73:                             ;   in Loop: Header=BB308_12 Depth=1
	s_delay_alu instid0(SALU_CYCLE_1) | instskip(SKIP_2) | instid1(VALU_DEP_1)
	s_or_b32 exec_lo, exec_lo, s42
	v_lshrrev_b16 v16, 8, v42
	s_mov_b32 s42, exec_lo
	v_cmpx_ne_u16_e32 0, v16
	s_cbranch_execz .LBB308_81
; %bb.74:                               ;   in Loop: Header=BB308_12 Depth=1
	v_bfrev_b32_e32 v40, 1
	s_mov_b32 s43, exec_lo
	v_cmpx_ne_u16_e32 0x80, v16
	s_cbranch_execz .LBB308_80
; %bb.75:                               ;   in Loop: Header=BB308_12 Depth=1
	v_and_b32_e32 v16, 0xffff, v16
	v_mov_b32_e32 v40, 0x7f800001
	s_mov_b32 s44, exec_lo
	s_delay_alu instid0(VALU_DEP_2) | instskip(NEXT) | instid1(VALU_DEP_1)
	v_and_b32_e32 v43, 0x7f, v16
	v_cmpx_ne_u32_e32 0x7f, v43
	s_cbranch_execz .LBB308_79
; %bb.76:                               ;   in Loop: Header=BB308_12 Depth=1
	v_dual_lshrrev_b32 v40, 3, v43 :: v_dual_bitop2_b32 v16, 7, v16 bitop3:0x40
	s_mov_b32 s45, exec_lo
	v_cmpx_gt_u32_e32 8, v43
; %bb.77:                               ;   in Loop: Header=BB308_12 Depth=1
	s_delay_alu instid0(VALU_DEP_2) | instskip(NEXT) | instid1(VALU_DEP_1)
	v_clz_i32_u32_e32 v40, v16
	v_min_u32_e32 v40, 32, v40
	s_delay_alu instid0(VALU_DEP_1) | instskip(SKIP_1) | instid1(VALU_DEP_2)
	v_subrev_nc_u32_e32 v43, 28, v40
	v_sub_nc_u32_e32 v40, 29, v40
	v_lshlrev_b64_e32 v[44:45], v43, v[16:17]
	s_delay_alu instid0(VALU_DEP_1)
	v_and_b32_e32 v16, 7, v44
; %bb.78:                               ;   in Loop: Header=BB308_12 Depth=1
	s_or_b32 exec_lo, exec_lo, s45
	s_delay_alu instid0(VALU_DEP_1) | instskip(SKIP_1) | instid1(VALU_DEP_2)
	v_dual_lshlrev_b32 v42, 16, v42 :: v_dual_lshlrev_b32 v16, 20, v16
	v_lshl_add_u32 v40, v40, 23, 0x3c000000
	v_and_b32_e32 v42, 0x80000000, v42
	s_delay_alu instid0(VALU_DEP_1)
	v_or3_b32 v40, v16, v42, v40
.LBB308_79:                             ;   in Loop: Header=BB308_12 Depth=1
	s_or_b32 exec_lo, exec_lo, s44
.LBB308_80:                             ;   in Loop: Header=BB308_12 Depth=1
	s_delay_alu instid0(SALU_CYCLE_1)
	s_or_b32 exec_lo, exec_lo, s43
.LBB308_81:                             ;   in Loop: Header=BB308_12 Depth=1
	s_delay_alu instid0(SALU_CYCLE_1)
	s_or_b32 exec_lo, exec_lo, s42
	global_load_u16 v16, v[26:27], off offset:256
	v_mov_b32_e32 v42, 0
	s_wait_loadcnt 0x0
	v_and_b32_e32 v43, 0xff, v16
	v_and_b32_e32 v44, 0xffff, v16
	s_delay_alu instid0(VALU_DEP_2)
	v_cmp_ne_u16_e64 s4, 0, v43
	v_mov_b32_e32 v43, 0
	s_and_saveexec_b32 s42, s4
	s_cbranch_execz .LBB308_89
; %bb.82:                               ;   in Loop: Header=BB308_12 Depth=1
	v_and_b32_e32 v16, 0xff, v44
	v_bfrev_b32_e32 v43, 1
	s_mov_b32 s43, exec_lo
	s_delay_alu instid0(VALU_DEP_2)
	v_cmpx_ne_u16_e32 0x80, v16
	s_cbranch_execz .LBB308_88
; %bb.83:                               ;   in Loop: Header=BB308_12 Depth=1
	v_and_b32_e32 v45, 0x7f, v44
	v_mov_b32_e32 v43, 0x7f800001
	s_mov_b32 s44, exec_lo
	s_delay_alu instid0(VALU_DEP_2)
	v_cmpx_ne_u32_e32 0x7f, v45
	s_cbranch_execz .LBB308_87
; %bb.84:                               ;   in Loop: Header=BB308_12 Depth=1
	v_dual_lshrrev_b32 v43, 3, v45 :: v_dual_bitop2_b32 v16, 7, v44 bitop3:0x40
	s_mov_b32 s45, exec_lo
	v_cmpx_gt_u32_e32 8, v45
; %bb.85:                               ;   in Loop: Header=BB308_12 Depth=1
	s_delay_alu instid0(VALU_DEP_2) | instskip(NEXT) | instid1(VALU_DEP_1)
	v_clz_i32_u32_e32 v43, v16
	v_min_u32_e32 v43, 32, v43
	s_delay_alu instid0(VALU_DEP_1) | instskip(NEXT) | instid1(VALU_DEP_1)
	v_subrev_nc_u32_e32 v45, 28, v43
	v_lshlrev_b64_e32 v[46:47], v45, v[16:17]
	s_delay_alu instid0(VALU_DEP_1)
	v_dual_sub_nc_u32 v43, 29, v43 :: v_dual_bitop2_b32 v16, 7, v46 bitop3:0x40
; %bb.86:                               ;   in Loop: Header=BB308_12 Depth=1
	s_or_b32 exec_lo, exec_lo, s45
	v_lshlrev_b32_e32 v45, 24, v44
	s_delay_alu instid0(VALU_DEP_2) | instskip(NEXT) | instid1(VALU_DEP_3)
	v_lshlrev_b32_e32 v16, 20, v16
	v_lshl_add_u32 v43, v43, 23, 0x3c000000
	s_delay_alu instid0(VALU_DEP_3) | instskip(NEXT) | instid1(VALU_DEP_1)
	v_and_b32_e32 v45, 0x80000000, v45
	v_or3_b32 v43, v16, v45, v43
.LBB308_87:                             ;   in Loop: Header=BB308_12 Depth=1
	s_or_b32 exec_lo, exec_lo, s44
.LBB308_88:                             ;   in Loop: Header=BB308_12 Depth=1
	s_delay_alu instid0(SALU_CYCLE_1)
	s_or_b32 exec_lo, exec_lo, s43
.LBB308_89:                             ;   in Loop: Header=BB308_12 Depth=1
	s_delay_alu instid0(SALU_CYCLE_1) | instskip(SKIP_2) | instid1(VALU_DEP_1)
	s_or_b32 exec_lo, exec_lo, s42
	v_lshrrev_b16 v16, 8, v44
	s_mov_b32 s42, exec_lo
	v_cmpx_ne_u16_e32 0, v16
	s_cbranch_execz .LBB308_97
; %bb.90:                               ;   in Loop: Header=BB308_12 Depth=1
	v_bfrev_b32_e32 v42, 1
	s_mov_b32 s43, exec_lo
	v_cmpx_ne_u16_e32 0x80, v16
	s_cbranch_execz .LBB308_96
; %bb.91:                               ;   in Loop: Header=BB308_12 Depth=1
	v_and_b32_e32 v16, 0xffff, v16
	v_mov_b32_e32 v42, 0x7f800001
	s_mov_b32 s44, exec_lo
	s_delay_alu instid0(VALU_DEP_2) | instskip(NEXT) | instid1(VALU_DEP_1)
	v_and_b32_e32 v45, 0x7f, v16
	v_cmpx_ne_u32_e32 0x7f, v45
	s_cbranch_execz .LBB308_95
; %bb.92:                               ;   in Loop: Header=BB308_12 Depth=1
	v_dual_lshrrev_b32 v42, 3, v45 :: v_dual_bitop2_b32 v16, 7, v16 bitop3:0x40
	s_mov_b32 s45, exec_lo
	v_cmpx_gt_u32_e32 8, v45
; %bb.93:                               ;   in Loop: Header=BB308_12 Depth=1
	s_delay_alu instid0(VALU_DEP_2) | instskip(NEXT) | instid1(VALU_DEP_1)
	v_clz_i32_u32_e32 v42, v16
	v_min_u32_e32 v42, 32, v42
	s_delay_alu instid0(VALU_DEP_1) | instskip(SKIP_1) | instid1(VALU_DEP_2)
	v_subrev_nc_u32_e32 v45, 28, v42
	v_sub_nc_u32_e32 v42, 29, v42
	v_lshlrev_b64_e32 v[46:47], v45, v[16:17]
	s_delay_alu instid0(VALU_DEP_1)
	v_and_b32_e32 v16, 7, v46
; %bb.94:                               ;   in Loop: Header=BB308_12 Depth=1
	s_or_b32 exec_lo, exec_lo, s45
	v_lshlrev_b32_e32 v44, 16, v44
	s_delay_alu instid0(VALU_DEP_2) | instskip(SKIP_1) | instid1(VALU_DEP_3)
	v_lshlrev_b32_e32 v16, 20, v16
	v_lshl_add_u32 v42, v42, 23, 0x3c000000
	v_and_b32_e32 v44, 0x80000000, v44
	s_delay_alu instid0(VALU_DEP_1)
	v_or3_b32 v42, v16, v44, v42
.LBB308_95:                             ;   in Loop: Header=BB308_12 Depth=1
	s_or_b32 exec_lo, exec_lo, s44
.LBB308_96:                             ;   in Loop: Header=BB308_12 Depth=1
	s_delay_alu instid0(SALU_CYCLE_1)
	s_or_b32 exec_lo, exec_lo, s43
.LBB308_97:                             ;   in Loop: Header=BB308_12 Depth=1
	s_delay_alu instid0(SALU_CYCLE_1)
	s_or_b32 exec_lo, exec_lo, s42
	global_load_u16 v16, v[26:27], off offset:264
	v_mov_b32_e32 v44, 0
	s_wait_loadcnt 0x0
	v_and_b32_e32 v45, 0xff, v16
	v_and_b32_e32 v46, 0xffff, v16
	s_delay_alu instid0(VALU_DEP_2)
	v_cmp_ne_u16_e64 s4, 0, v45
	v_mov_b32_e32 v45, 0
	s_and_saveexec_b32 s42, s4
	s_cbranch_execz .LBB308_105
; %bb.98:                               ;   in Loop: Header=BB308_12 Depth=1
	v_and_b32_e32 v16, 0xff, v46
	v_bfrev_b32_e32 v45, 1
	s_mov_b32 s43, exec_lo
	s_delay_alu instid0(VALU_DEP_2)
	v_cmpx_ne_u16_e32 0x80, v16
	s_cbranch_execz .LBB308_104
; %bb.99:                               ;   in Loop: Header=BB308_12 Depth=1
	v_and_b32_e32 v47, 0x7f, v46
	v_mov_b32_e32 v45, 0x7f800001
	s_mov_b32 s44, exec_lo
	s_delay_alu instid0(VALU_DEP_2)
	v_cmpx_ne_u32_e32 0x7f, v47
	s_cbranch_execz .LBB308_103
; %bb.100:                              ;   in Loop: Header=BB308_12 Depth=1
	v_dual_lshrrev_b32 v45, 3, v47 :: v_dual_bitop2_b32 v16, 7, v46 bitop3:0x40
	s_mov_b32 s45, exec_lo
	v_cmpx_gt_u32_e32 8, v47
; %bb.101:                              ;   in Loop: Header=BB308_12 Depth=1
	s_delay_alu instid0(VALU_DEP_2) | instskip(NEXT) | instid1(VALU_DEP_1)
	v_clz_i32_u32_e32 v45, v16
	v_min_u32_e32 v45, 32, v45
	s_delay_alu instid0(VALU_DEP_1) | instskip(NEXT) | instid1(VALU_DEP_1)
	v_subrev_nc_u32_e32 v47, 28, v45
	v_lshlrev_b64_e32 v[48:49], v47, v[16:17]
	s_delay_alu instid0(VALU_DEP_1)
	v_dual_sub_nc_u32 v45, 29, v45 :: v_dual_bitop2_b32 v16, 7, v48 bitop3:0x40
; %bb.102:                              ;   in Loop: Header=BB308_12 Depth=1
	s_or_b32 exec_lo, exec_lo, s45
	s_delay_alu instid0(VALU_DEP_1) | instskip(NEXT) | instid1(VALU_DEP_2)
	v_dual_lshlrev_b32 v47, 24, v46 :: v_dual_lshlrev_b32 v16, 20, v16
	v_lshl_add_u32 v45, v45, 23, 0x3c000000
	s_delay_alu instid0(VALU_DEP_2) | instskip(NEXT) | instid1(VALU_DEP_1)
	v_and_b32_e32 v47, 0x80000000, v47
	v_or3_b32 v45, v16, v47, v45
.LBB308_103:                            ;   in Loop: Header=BB308_12 Depth=1
	s_or_b32 exec_lo, exec_lo, s44
.LBB308_104:                            ;   in Loop: Header=BB308_12 Depth=1
	s_delay_alu instid0(SALU_CYCLE_1)
	s_or_b32 exec_lo, exec_lo, s43
.LBB308_105:                            ;   in Loop: Header=BB308_12 Depth=1
	s_delay_alu instid0(SALU_CYCLE_1) | instskip(SKIP_2) | instid1(VALU_DEP_1)
	s_or_b32 exec_lo, exec_lo, s42
	v_lshrrev_b16 v16, 8, v46
	s_mov_b32 s42, exec_lo
	v_cmpx_ne_u16_e32 0, v16
	s_cbranch_execz .LBB308_113
; %bb.106:                              ;   in Loop: Header=BB308_12 Depth=1
	v_bfrev_b32_e32 v44, 1
	s_mov_b32 s43, exec_lo
	v_cmpx_ne_u16_e32 0x80, v16
	s_cbranch_execz .LBB308_112
; %bb.107:                              ;   in Loop: Header=BB308_12 Depth=1
	v_and_b32_e32 v16, 0xffff, v16
	v_mov_b32_e32 v44, 0x7f800001
	s_mov_b32 s44, exec_lo
	s_delay_alu instid0(VALU_DEP_2) | instskip(NEXT) | instid1(VALU_DEP_1)
	v_and_b32_e32 v47, 0x7f, v16
	v_cmpx_ne_u32_e32 0x7f, v47
	s_cbranch_execz .LBB308_111
; %bb.108:                              ;   in Loop: Header=BB308_12 Depth=1
	v_dual_lshrrev_b32 v44, 3, v47 :: v_dual_bitop2_b32 v16, 7, v16 bitop3:0x40
	s_mov_b32 s45, exec_lo
	v_cmpx_gt_u32_e32 8, v47
; %bb.109:                              ;   in Loop: Header=BB308_12 Depth=1
	s_delay_alu instid0(VALU_DEP_2) | instskip(NEXT) | instid1(VALU_DEP_1)
	v_clz_i32_u32_e32 v44, v16
	v_min_u32_e32 v44, 32, v44
	s_delay_alu instid0(VALU_DEP_1) | instskip(SKIP_1) | instid1(VALU_DEP_2)
	v_subrev_nc_u32_e32 v47, 28, v44
	v_sub_nc_u32_e32 v44, 29, v44
	v_lshlrev_b64_e32 v[48:49], v47, v[16:17]
	s_delay_alu instid0(VALU_DEP_1)
	v_and_b32_e32 v16, 7, v48
; %bb.110:                              ;   in Loop: Header=BB308_12 Depth=1
	s_or_b32 exec_lo, exec_lo, s45
	s_delay_alu instid0(VALU_DEP_1) | instskip(SKIP_1) | instid1(VALU_DEP_2)
	v_dual_lshlrev_b32 v46, 16, v46 :: v_dual_lshlrev_b32 v16, 20, v16
	v_lshl_add_u32 v44, v44, 23, 0x3c000000
	v_and_b32_e32 v46, 0x80000000, v46
	s_delay_alu instid0(VALU_DEP_1)
	v_or3_b32 v44, v16, v46, v44
.LBB308_111:                            ;   in Loop: Header=BB308_12 Depth=1
	s_or_b32 exec_lo, exec_lo, s44
.LBB308_112:                            ;   in Loop: Header=BB308_12 Depth=1
	s_delay_alu instid0(SALU_CYCLE_1)
	s_or_b32 exec_lo, exec_lo, s43
.LBB308_113:                            ;   in Loop: Header=BB308_12 Depth=1
	s_delay_alu instid0(SALU_CYCLE_1)
	s_or_b32 exec_lo, exec_lo, s42
	global_load_u16 v16, v[26:27], off offset:384
	v_mov_b32_e32 v46, 0
	s_wait_loadcnt 0x0
	v_and_b32_e32 v47, 0xff, v16
	v_and_b32_e32 v48, 0xffff, v16
	s_delay_alu instid0(VALU_DEP_2)
	v_cmp_ne_u16_e64 s4, 0, v47
	v_mov_b32_e32 v47, 0
	s_and_saveexec_b32 s42, s4
	s_cbranch_execz .LBB308_121
; %bb.114:                              ;   in Loop: Header=BB308_12 Depth=1
	v_and_b32_e32 v16, 0xff, v48
	v_bfrev_b32_e32 v47, 1
	s_mov_b32 s43, exec_lo
	s_delay_alu instid0(VALU_DEP_2)
	v_cmpx_ne_u16_e32 0x80, v16
	s_cbranch_execz .LBB308_120
; %bb.115:                              ;   in Loop: Header=BB308_12 Depth=1
	v_and_b32_e32 v49, 0x7f, v48
	v_mov_b32_e32 v47, 0x7f800001
	s_mov_b32 s44, exec_lo
	s_delay_alu instid0(VALU_DEP_2)
	v_cmpx_ne_u32_e32 0x7f, v49
	s_cbranch_execz .LBB308_119
; %bb.116:                              ;   in Loop: Header=BB308_12 Depth=1
	v_dual_lshrrev_b32 v47, 3, v49 :: v_dual_bitop2_b32 v16, 7, v48 bitop3:0x40
	s_mov_b32 s45, exec_lo
	v_cmpx_gt_u32_e32 8, v49
; %bb.117:                              ;   in Loop: Header=BB308_12 Depth=1
	s_delay_alu instid0(VALU_DEP_2) | instskip(NEXT) | instid1(VALU_DEP_1)
	v_clz_i32_u32_e32 v47, v16
	v_min_u32_e32 v47, 32, v47
	s_delay_alu instid0(VALU_DEP_1) | instskip(NEXT) | instid1(VALU_DEP_1)
	v_subrev_nc_u32_e32 v49, 28, v47
	v_lshlrev_b64_e32 v[50:51], v49, v[16:17]
	s_delay_alu instid0(VALU_DEP_1)
	v_dual_sub_nc_u32 v47, 29, v47 :: v_dual_bitop2_b32 v16, 7, v50 bitop3:0x40
; %bb.118:                              ;   in Loop: Header=BB308_12 Depth=1
	s_or_b32 exec_lo, exec_lo, s45
	v_lshlrev_b32_e32 v49, 24, v48
	s_delay_alu instid0(VALU_DEP_2) | instskip(NEXT) | instid1(VALU_DEP_3)
	v_lshlrev_b32_e32 v16, 20, v16
	v_lshl_add_u32 v47, v47, 23, 0x3c000000
	s_delay_alu instid0(VALU_DEP_3) | instskip(NEXT) | instid1(VALU_DEP_1)
	v_and_b32_e32 v49, 0x80000000, v49
	v_or3_b32 v47, v16, v49, v47
.LBB308_119:                            ;   in Loop: Header=BB308_12 Depth=1
	s_or_b32 exec_lo, exec_lo, s44
.LBB308_120:                            ;   in Loop: Header=BB308_12 Depth=1
	s_delay_alu instid0(SALU_CYCLE_1)
	s_or_b32 exec_lo, exec_lo, s43
.LBB308_121:                            ;   in Loop: Header=BB308_12 Depth=1
	s_delay_alu instid0(SALU_CYCLE_1) | instskip(SKIP_2) | instid1(VALU_DEP_1)
	s_or_b32 exec_lo, exec_lo, s42
	v_lshrrev_b16 v16, 8, v48
	s_mov_b32 s42, exec_lo
	v_cmpx_ne_u16_e32 0, v16
	s_cbranch_execz .LBB308_129
; %bb.122:                              ;   in Loop: Header=BB308_12 Depth=1
	v_bfrev_b32_e32 v46, 1
	s_mov_b32 s43, exec_lo
	v_cmpx_ne_u16_e32 0x80, v16
	s_cbranch_execz .LBB308_128
; %bb.123:                              ;   in Loop: Header=BB308_12 Depth=1
	v_and_b32_e32 v16, 0xffff, v16
	v_mov_b32_e32 v46, 0x7f800001
	s_mov_b32 s44, exec_lo
	s_delay_alu instid0(VALU_DEP_2) | instskip(NEXT) | instid1(VALU_DEP_1)
	v_and_b32_e32 v49, 0x7f, v16
	v_cmpx_ne_u32_e32 0x7f, v49
	s_cbranch_execz .LBB308_127
; %bb.124:                              ;   in Loop: Header=BB308_12 Depth=1
	v_dual_lshrrev_b32 v46, 3, v49 :: v_dual_bitop2_b32 v16, 7, v16 bitop3:0x40
	s_mov_b32 s45, exec_lo
	v_cmpx_gt_u32_e32 8, v49
; %bb.125:                              ;   in Loop: Header=BB308_12 Depth=1
	s_delay_alu instid0(VALU_DEP_2) | instskip(NEXT) | instid1(VALU_DEP_1)
	v_clz_i32_u32_e32 v46, v16
	v_min_u32_e32 v46, 32, v46
	s_delay_alu instid0(VALU_DEP_1) | instskip(SKIP_1) | instid1(VALU_DEP_2)
	v_subrev_nc_u32_e32 v49, 28, v46
	v_sub_nc_u32_e32 v46, 29, v46
	v_lshlrev_b64_e32 v[50:51], v49, v[16:17]
	s_delay_alu instid0(VALU_DEP_1)
	v_and_b32_e32 v16, 7, v50
; %bb.126:                              ;   in Loop: Header=BB308_12 Depth=1
	s_or_b32 exec_lo, exec_lo, s45
	v_lshlrev_b32_e32 v48, 16, v48
	s_delay_alu instid0(VALU_DEP_2) | instskip(SKIP_1) | instid1(VALU_DEP_3)
	v_lshlrev_b32_e32 v16, 20, v16
	v_lshl_add_u32 v46, v46, 23, 0x3c000000
	v_and_b32_e32 v48, 0x80000000, v48
	s_delay_alu instid0(VALU_DEP_1)
	v_or3_b32 v46, v16, v48, v46
.LBB308_127:                            ;   in Loop: Header=BB308_12 Depth=1
	s_or_b32 exec_lo, exec_lo, s44
.LBB308_128:                            ;   in Loop: Header=BB308_12 Depth=1
	s_delay_alu instid0(SALU_CYCLE_1)
	s_or_b32 exec_lo, exec_lo, s43
.LBB308_129:                            ;   in Loop: Header=BB308_12 Depth=1
	s_delay_alu instid0(SALU_CYCLE_1)
	s_or_b32 exec_lo, exec_lo, s42
	global_load_u16 v16, v[26:27], off offset:392
	v_mov_b32_e32 v48, 0
	s_wait_loadcnt 0x0
	v_and_b32_e32 v49, 0xff, v16
	v_and_b32_e32 v50, 0xffff, v16
	s_delay_alu instid0(VALU_DEP_2)
	v_cmp_ne_u16_e64 s4, 0, v49
	v_mov_b32_e32 v49, 0
	s_and_saveexec_b32 s42, s4
	s_cbranch_execz .LBB308_137
; %bb.130:                              ;   in Loop: Header=BB308_12 Depth=1
	v_and_b32_e32 v16, 0xff, v50
	v_bfrev_b32_e32 v49, 1
	s_mov_b32 s43, exec_lo
	s_delay_alu instid0(VALU_DEP_2)
	v_cmpx_ne_u16_e32 0x80, v16
	s_cbranch_execz .LBB308_136
; %bb.131:                              ;   in Loop: Header=BB308_12 Depth=1
	v_and_b32_e32 v51, 0x7f, v50
	v_mov_b32_e32 v49, 0x7f800001
	s_mov_b32 s44, exec_lo
	s_delay_alu instid0(VALU_DEP_2)
	v_cmpx_ne_u32_e32 0x7f, v51
	s_cbranch_execz .LBB308_135
; %bb.132:                              ;   in Loop: Header=BB308_12 Depth=1
	v_dual_lshrrev_b32 v49, 3, v51 :: v_dual_bitop2_b32 v16, 7, v50 bitop3:0x40
	s_mov_b32 s45, exec_lo
	v_cmpx_gt_u32_e32 8, v51
; %bb.133:                              ;   in Loop: Header=BB308_12 Depth=1
	s_delay_alu instid0(VALU_DEP_2) | instskip(NEXT) | instid1(VALU_DEP_1)
	v_clz_i32_u32_e32 v49, v16
	v_min_u32_e32 v49, 32, v49
	s_delay_alu instid0(VALU_DEP_1) | instskip(NEXT) | instid1(VALU_DEP_1)
	v_subrev_nc_u32_e32 v51, 28, v49
	v_lshlrev_b64_e32 v[52:53], v51, v[16:17]
	s_delay_alu instid0(VALU_DEP_1)
	v_dual_sub_nc_u32 v49, 29, v49 :: v_dual_bitop2_b32 v16, 7, v52 bitop3:0x40
; %bb.134:                              ;   in Loop: Header=BB308_12 Depth=1
	s_or_b32 exec_lo, exec_lo, s45
	s_delay_alu instid0(VALU_DEP_1) | instskip(NEXT) | instid1(VALU_DEP_2)
	v_dual_lshlrev_b32 v51, 24, v50 :: v_dual_lshlrev_b32 v16, 20, v16
	v_lshl_add_u32 v49, v49, 23, 0x3c000000
	s_delay_alu instid0(VALU_DEP_2) | instskip(NEXT) | instid1(VALU_DEP_1)
	v_and_b32_e32 v51, 0x80000000, v51
	v_or3_b32 v49, v16, v51, v49
.LBB308_135:                            ;   in Loop: Header=BB308_12 Depth=1
	s_or_b32 exec_lo, exec_lo, s44
.LBB308_136:                            ;   in Loop: Header=BB308_12 Depth=1
	s_delay_alu instid0(SALU_CYCLE_1)
	s_or_b32 exec_lo, exec_lo, s43
.LBB308_137:                            ;   in Loop: Header=BB308_12 Depth=1
	s_delay_alu instid0(SALU_CYCLE_1) | instskip(SKIP_2) | instid1(VALU_DEP_1)
	s_or_b32 exec_lo, exec_lo, s42
	v_lshrrev_b16 v16, 8, v50
	s_mov_b32 s42, exec_lo
	v_cmpx_ne_u16_e32 0, v16
	s_cbranch_execz .LBB308_145
; %bb.138:                              ;   in Loop: Header=BB308_12 Depth=1
	v_bfrev_b32_e32 v48, 1
	s_mov_b32 s43, exec_lo
	v_cmpx_ne_u16_e32 0x80, v16
	s_cbranch_execz .LBB308_144
; %bb.139:                              ;   in Loop: Header=BB308_12 Depth=1
	v_and_b32_e32 v16, 0xffff, v16
	v_mov_b32_e32 v48, 0x7f800001
	s_mov_b32 s44, exec_lo
	s_delay_alu instid0(VALU_DEP_2) | instskip(NEXT) | instid1(VALU_DEP_1)
	v_and_b32_e32 v51, 0x7f, v16
	v_cmpx_ne_u32_e32 0x7f, v51
	s_cbranch_execz .LBB308_143
; %bb.140:                              ;   in Loop: Header=BB308_12 Depth=1
	v_dual_lshrrev_b32 v48, 3, v51 :: v_dual_bitop2_b32 v16, 7, v16 bitop3:0x40
	s_mov_b32 s45, exec_lo
	v_cmpx_gt_u32_e32 8, v51
; %bb.141:                              ;   in Loop: Header=BB308_12 Depth=1
	s_delay_alu instid0(VALU_DEP_2) | instskip(NEXT) | instid1(VALU_DEP_1)
	v_clz_i32_u32_e32 v48, v16
	v_min_u32_e32 v48, 32, v48
	s_delay_alu instid0(VALU_DEP_1) | instskip(SKIP_1) | instid1(VALU_DEP_2)
	v_subrev_nc_u32_e32 v51, 28, v48
	v_sub_nc_u32_e32 v48, 29, v48
	v_lshlrev_b64_e32 v[52:53], v51, v[16:17]
	s_delay_alu instid0(VALU_DEP_1)
	v_and_b32_e32 v16, 7, v52
; %bb.142:                              ;   in Loop: Header=BB308_12 Depth=1
	s_or_b32 exec_lo, exec_lo, s45
	s_delay_alu instid0(VALU_DEP_1) | instskip(SKIP_1) | instid1(VALU_DEP_2)
	v_dual_lshlrev_b32 v50, 16, v50 :: v_dual_lshlrev_b32 v16, 20, v16
	v_lshl_add_u32 v48, v48, 23, 0x3c000000
	v_and_b32_e32 v50, 0x80000000, v50
	s_delay_alu instid0(VALU_DEP_1)
	v_or3_b32 v48, v16, v50, v48
.LBB308_143:                            ;   in Loop: Header=BB308_12 Depth=1
	s_or_b32 exec_lo, exec_lo, s44
.LBB308_144:                            ;   in Loop: Header=BB308_12 Depth=1
	s_delay_alu instid0(SALU_CYCLE_1)
	s_or_b32 exec_lo, exec_lo, s43
.LBB308_145:                            ;   in Loop: Header=BB308_12 Depth=1
	s_delay_alu instid0(SALU_CYCLE_1)
	s_or_b32 exec_lo, exec_lo, s42
	global_load_u16 v16, v[26:27], off offset:512
	v_mov_b32_e32 v50, 0
	s_wait_loadcnt 0x0
	v_and_b32_e32 v51, 0xff, v16
	v_and_b32_e32 v52, 0xffff, v16
	s_delay_alu instid0(VALU_DEP_2)
	v_cmp_ne_u16_e64 s4, 0, v51
	v_mov_b32_e32 v51, 0
	s_and_saveexec_b32 s42, s4
	s_cbranch_execz .LBB308_153
; %bb.146:                              ;   in Loop: Header=BB308_12 Depth=1
	v_and_b32_e32 v16, 0xff, v52
	v_bfrev_b32_e32 v51, 1
	s_mov_b32 s43, exec_lo
	s_delay_alu instid0(VALU_DEP_2)
	v_cmpx_ne_u16_e32 0x80, v16
	s_cbranch_execz .LBB308_152
; %bb.147:                              ;   in Loop: Header=BB308_12 Depth=1
	v_and_b32_e32 v53, 0x7f, v52
	v_mov_b32_e32 v51, 0x7f800001
	s_mov_b32 s44, exec_lo
	s_delay_alu instid0(VALU_DEP_2)
	v_cmpx_ne_u32_e32 0x7f, v53
	s_cbranch_execz .LBB308_151
; %bb.148:                              ;   in Loop: Header=BB308_12 Depth=1
	v_dual_lshrrev_b32 v51, 3, v53 :: v_dual_bitop2_b32 v16, 7, v52 bitop3:0x40
	s_mov_b32 s45, exec_lo
	v_cmpx_gt_u32_e32 8, v53
; %bb.149:                              ;   in Loop: Header=BB308_12 Depth=1
	s_delay_alu instid0(VALU_DEP_2) | instskip(NEXT) | instid1(VALU_DEP_1)
	v_clz_i32_u32_e32 v51, v16
	v_min_u32_e32 v51, 32, v51
	s_delay_alu instid0(VALU_DEP_1) | instskip(NEXT) | instid1(VALU_DEP_1)
	v_subrev_nc_u32_e32 v53, 28, v51
	v_lshlrev_b64_e32 v[54:55], v53, v[16:17]
	s_delay_alu instid0(VALU_DEP_1)
	v_dual_sub_nc_u32 v51, 29, v51 :: v_dual_bitop2_b32 v16, 7, v54 bitop3:0x40
; %bb.150:                              ;   in Loop: Header=BB308_12 Depth=1
	s_or_b32 exec_lo, exec_lo, s45
	v_lshlrev_b32_e32 v53, 24, v52
	s_delay_alu instid0(VALU_DEP_2) | instskip(NEXT) | instid1(VALU_DEP_3)
	v_lshlrev_b32_e32 v16, 20, v16
	v_lshl_add_u32 v51, v51, 23, 0x3c000000
	s_delay_alu instid0(VALU_DEP_3) | instskip(NEXT) | instid1(VALU_DEP_1)
	v_and_b32_e32 v53, 0x80000000, v53
	v_or3_b32 v51, v16, v53, v51
.LBB308_151:                            ;   in Loop: Header=BB308_12 Depth=1
	s_or_b32 exec_lo, exec_lo, s44
.LBB308_152:                            ;   in Loop: Header=BB308_12 Depth=1
	s_delay_alu instid0(SALU_CYCLE_1)
	s_or_b32 exec_lo, exec_lo, s43
.LBB308_153:                            ;   in Loop: Header=BB308_12 Depth=1
	s_delay_alu instid0(SALU_CYCLE_1) | instskip(SKIP_2) | instid1(VALU_DEP_1)
	s_or_b32 exec_lo, exec_lo, s42
	v_lshrrev_b16 v16, 8, v52
	s_mov_b32 s42, exec_lo
	v_cmpx_ne_u16_e32 0, v16
	s_cbranch_execz .LBB308_161
; %bb.154:                              ;   in Loop: Header=BB308_12 Depth=1
	v_bfrev_b32_e32 v50, 1
	s_mov_b32 s43, exec_lo
	v_cmpx_ne_u16_e32 0x80, v16
	s_cbranch_execz .LBB308_160
; %bb.155:                              ;   in Loop: Header=BB308_12 Depth=1
	v_and_b32_e32 v16, 0xffff, v16
	v_mov_b32_e32 v50, 0x7f800001
	s_mov_b32 s44, exec_lo
	s_delay_alu instid0(VALU_DEP_2) | instskip(NEXT) | instid1(VALU_DEP_1)
	v_and_b32_e32 v53, 0x7f, v16
	v_cmpx_ne_u32_e32 0x7f, v53
	s_cbranch_execz .LBB308_159
; %bb.156:                              ;   in Loop: Header=BB308_12 Depth=1
	v_dual_lshrrev_b32 v50, 3, v53 :: v_dual_bitop2_b32 v16, 7, v16 bitop3:0x40
	s_mov_b32 s45, exec_lo
	v_cmpx_gt_u32_e32 8, v53
; %bb.157:                              ;   in Loop: Header=BB308_12 Depth=1
	s_delay_alu instid0(VALU_DEP_2) | instskip(NEXT) | instid1(VALU_DEP_1)
	v_clz_i32_u32_e32 v50, v16
	v_min_u32_e32 v50, 32, v50
	s_delay_alu instid0(VALU_DEP_1) | instskip(SKIP_1) | instid1(VALU_DEP_2)
	v_subrev_nc_u32_e32 v53, 28, v50
	v_sub_nc_u32_e32 v50, 29, v50
	v_lshlrev_b64_e32 v[54:55], v53, v[16:17]
	s_delay_alu instid0(VALU_DEP_1)
	v_and_b32_e32 v16, 7, v54
; %bb.158:                              ;   in Loop: Header=BB308_12 Depth=1
	s_or_b32 exec_lo, exec_lo, s45
	v_lshlrev_b32_e32 v52, 16, v52
	s_delay_alu instid0(VALU_DEP_2) | instskip(SKIP_1) | instid1(VALU_DEP_3)
	v_lshlrev_b32_e32 v16, 20, v16
	v_lshl_add_u32 v50, v50, 23, 0x3c000000
	v_and_b32_e32 v52, 0x80000000, v52
	s_delay_alu instid0(VALU_DEP_1)
	v_or3_b32 v50, v16, v52, v50
.LBB308_159:                            ;   in Loop: Header=BB308_12 Depth=1
	s_or_b32 exec_lo, exec_lo, s44
.LBB308_160:                            ;   in Loop: Header=BB308_12 Depth=1
	s_delay_alu instid0(SALU_CYCLE_1)
	s_or_b32 exec_lo, exec_lo, s43
.LBB308_161:                            ;   in Loop: Header=BB308_12 Depth=1
	s_delay_alu instid0(SALU_CYCLE_1)
	s_or_b32 exec_lo, exec_lo, s42
	global_load_u16 v16, v[26:27], off offset:520
	v_mov_b32_e32 v52, 0
	s_wait_loadcnt 0x0
	v_and_b32_e32 v53, 0xff, v16
	v_and_b32_e32 v54, 0xffff, v16
	s_delay_alu instid0(VALU_DEP_2)
	v_cmp_ne_u16_e64 s4, 0, v53
	v_mov_b32_e32 v53, 0
	s_and_saveexec_b32 s42, s4
	s_cbranch_execz .LBB308_169
; %bb.162:                              ;   in Loop: Header=BB308_12 Depth=1
	v_and_b32_e32 v16, 0xff, v54
	v_bfrev_b32_e32 v53, 1
	s_mov_b32 s43, exec_lo
	s_delay_alu instid0(VALU_DEP_2)
	v_cmpx_ne_u16_e32 0x80, v16
	s_cbranch_execz .LBB308_168
; %bb.163:                              ;   in Loop: Header=BB308_12 Depth=1
	v_and_b32_e32 v55, 0x7f, v54
	v_mov_b32_e32 v53, 0x7f800001
	s_mov_b32 s44, exec_lo
	s_delay_alu instid0(VALU_DEP_2)
	v_cmpx_ne_u32_e32 0x7f, v55
	s_cbranch_execz .LBB308_167
; %bb.164:                              ;   in Loop: Header=BB308_12 Depth=1
	v_dual_lshrrev_b32 v53, 3, v55 :: v_dual_bitop2_b32 v16, 7, v54 bitop3:0x40
	s_mov_b32 s45, exec_lo
	v_cmpx_gt_u32_e32 8, v55
; %bb.165:                              ;   in Loop: Header=BB308_12 Depth=1
	s_delay_alu instid0(VALU_DEP_2) | instskip(NEXT) | instid1(VALU_DEP_1)
	v_clz_i32_u32_e32 v53, v16
	v_min_u32_e32 v53, 32, v53
	s_delay_alu instid0(VALU_DEP_1) | instskip(NEXT) | instid1(VALU_DEP_1)
	v_subrev_nc_u32_e32 v55, 28, v53
	v_lshlrev_b64_e32 v[56:57], v55, v[16:17]
	s_delay_alu instid0(VALU_DEP_1)
	v_dual_sub_nc_u32 v53, 29, v53 :: v_dual_bitop2_b32 v16, 7, v56 bitop3:0x40
; %bb.166:                              ;   in Loop: Header=BB308_12 Depth=1
	s_or_b32 exec_lo, exec_lo, s45
	s_delay_alu instid0(VALU_DEP_1) | instskip(NEXT) | instid1(VALU_DEP_2)
	v_dual_lshlrev_b32 v55, 24, v54 :: v_dual_lshlrev_b32 v16, 20, v16
	v_lshl_add_u32 v53, v53, 23, 0x3c000000
	s_delay_alu instid0(VALU_DEP_2) | instskip(NEXT) | instid1(VALU_DEP_1)
	v_and_b32_e32 v55, 0x80000000, v55
	v_or3_b32 v53, v16, v55, v53
.LBB308_167:                            ;   in Loop: Header=BB308_12 Depth=1
	s_or_b32 exec_lo, exec_lo, s44
.LBB308_168:                            ;   in Loop: Header=BB308_12 Depth=1
	s_delay_alu instid0(SALU_CYCLE_1)
	s_or_b32 exec_lo, exec_lo, s43
.LBB308_169:                            ;   in Loop: Header=BB308_12 Depth=1
	s_delay_alu instid0(SALU_CYCLE_1) | instskip(SKIP_2) | instid1(VALU_DEP_1)
	s_or_b32 exec_lo, exec_lo, s42
	v_lshrrev_b16 v16, 8, v54
	s_mov_b32 s42, exec_lo
	v_cmpx_ne_u16_e32 0, v16
	s_cbranch_execz .LBB308_177
; %bb.170:                              ;   in Loop: Header=BB308_12 Depth=1
	v_bfrev_b32_e32 v52, 1
	s_mov_b32 s43, exec_lo
	v_cmpx_ne_u16_e32 0x80, v16
	s_cbranch_execz .LBB308_176
; %bb.171:                              ;   in Loop: Header=BB308_12 Depth=1
	v_and_b32_e32 v16, 0xffff, v16
	v_mov_b32_e32 v52, 0x7f800001
	s_mov_b32 s44, exec_lo
	s_delay_alu instid0(VALU_DEP_2) | instskip(NEXT) | instid1(VALU_DEP_1)
	v_and_b32_e32 v55, 0x7f, v16
	v_cmpx_ne_u32_e32 0x7f, v55
	s_cbranch_execz .LBB308_175
; %bb.172:                              ;   in Loop: Header=BB308_12 Depth=1
	v_dual_lshrrev_b32 v52, 3, v55 :: v_dual_bitop2_b32 v16, 7, v16 bitop3:0x40
	s_mov_b32 s45, exec_lo
	v_cmpx_gt_u32_e32 8, v55
; %bb.173:                              ;   in Loop: Header=BB308_12 Depth=1
	s_delay_alu instid0(VALU_DEP_2) | instskip(NEXT) | instid1(VALU_DEP_1)
	v_clz_i32_u32_e32 v52, v16
	v_min_u32_e32 v52, 32, v52
	s_delay_alu instid0(VALU_DEP_1) | instskip(SKIP_1) | instid1(VALU_DEP_2)
	v_subrev_nc_u32_e32 v55, 28, v52
	v_sub_nc_u32_e32 v52, 29, v52
	v_lshlrev_b64_e32 v[56:57], v55, v[16:17]
	s_delay_alu instid0(VALU_DEP_1)
	v_and_b32_e32 v16, 7, v56
; %bb.174:                              ;   in Loop: Header=BB308_12 Depth=1
	s_or_b32 exec_lo, exec_lo, s45
	s_delay_alu instid0(VALU_DEP_1) | instskip(SKIP_1) | instid1(VALU_DEP_2)
	v_dual_lshlrev_b32 v54, 16, v54 :: v_dual_lshlrev_b32 v16, 20, v16
	v_lshl_add_u32 v52, v52, 23, 0x3c000000
	v_and_b32_e32 v54, 0x80000000, v54
	s_delay_alu instid0(VALU_DEP_1)
	v_or3_b32 v52, v16, v54, v52
.LBB308_175:                            ;   in Loop: Header=BB308_12 Depth=1
	s_or_b32 exec_lo, exec_lo, s44
.LBB308_176:                            ;   in Loop: Header=BB308_12 Depth=1
	s_delay_alu instid0(SALU_CYCLE_1)
	s_or_b32 exec_lo, exec_lo, s43
.LBB308_177:                            ;   in Loop: Header=BB308_12 Depth=1
	s_delay_alu instid0(SALU_CYCLE_1)
	s_or_b32 exec_lo, exec_lo, s42
	global_load_u16 v16, v[26:27], off offset:640
	v_mov_b32_e32 v54, 0
	s_wait_loadcnt 0x0
	v_and_b32_e32 v55, 0xff, v16
	v_and_b32_e32 v56, 0xffff, v16
	s_delay_alu instid0(VALU_DEP_2)
	v_cmp_ne_u16_e64 s4, 0, v55
	v_mov_b32_e32 v55, 0
	s_and_saveexec_b32 s42, s4
	s_cbranch_execz .LBB308_185
; %bb.178:                              ;   in Loop: Header=BB308_12 Depth=1
	v_and_b32_e32 v16, 0xff, v56
	v_bfrev_b32_e32 v55, 1
	s_mov_b32 s43, exec_lo
	s_delay_alu instid0(VALU_DEP_2)
	v_cmpx_ne_u16_e32 0x80, v16
	s_cbranch_execz .LBB308_184
; %bb.179:                              ;   in Loop: Header=BB308_12 Depth=1
	v_and_b32_e32 v57, 0x7f, v56
	v_mov_b32_e32 v55, 0x7f800001
	s_mov_b32 s44, exec_lo
	s_delay_alu instid0(VALU_DEP_2)
	v_cmpx_ne_u32_e32 0x7f, v57
	s_cbranch_execz .LBB308_183
; %bb.180:                              ;   in Loop: Header=BB308_12 Depth=1
	v_dual_lshrrev_b32 v55, 3, v57 :: v_dual_bitop2_b32 v16, 7, v56 bitop3:0x40
	s_mov_b32 s45, exec_lo
	v_cmpx_gt_u32_e32 8, v57
; %bb.181:                              ;   in Loop: Header=BB308_12 Depth=1
	s_delay_alu instid0(VALU_DEP_2) | instskip(NEXT) | instid1(VALU_DEP_1)
	v_clz_i32_u32_e32 v55, v16
	v_min_u32_e32 v55, 32, v55
	s_delay_alu instid0(VALU_DEP_1) | instskip(NEXT) | instid1(VALU_DEP_1)
	v_subrev_nc_u32_e32 v57, 28, v55
	v_lshlrev_b64_e32 v[58:59], v57, v[16:17]
	s_delay_alu instid0(VALU_DEP_1)
	v_dual_sub_nc_u32 v55, 29, v55 :: v_dual_bitop2_b32 v16, 7, v58 bitop3:0x40
; %bb.182:                              ;   in Loop: Header=BB308_12 Depth=1
	s_or_b32 exec_lo, exec_lo, s45
	v_lshlrev_b32_e32 v57, 24, v56
	s_delay_alu instid0(VALU_DEP_2) | instskip(NEXT) | instid1(VALU_DEP_3)
	v_lshlrev_b32_e32 v16, 20, v16
	v_lshl_add_u32 v55, v55, 23, 0x3c000000
	s_delay_alu instid0(VALU_DEP_3) | instskip(NEXT) | instid1(VALU_DEP_1)
	v_and_b32_e32 v57, 0x80000000, v57
	v_or3_b32 v55, v16, v57, v55
.LBB308_183:                            ;   in Loop: Header=BB308_12 Depth=1
	s_or_b32 exec_lo, exec_lo, s44
.LBB308_184:                            ;   in Loop: Header=BB308_12 Depth=1
	s_delay_alu instid0(SALU_CYCLE_1)
	s_or_b32 exec_lo, exec_lo, s43
.LBB308_185:                            ;   in Loop: Header=BB308_12 Depth=1
	s_delay_alu instid0(SALU_CYCLE_1) | instskip(SKIP_2) | instid1(VALU_DEP_1)
	s_or_b32 exec_lo, exec_lo, s42
	v_lshrrev_b16 v16, 8, v56
	s_mov_b32 s42, exec_lo
	v_cmpx_ne_u16_e32 0, v16
	s_cbranch_execz .LBB308_193
; %bb.186:                              ;   in Loop: Header=BB308_12 Depth=1
	v_bfrev_b32_e32 v54, 1
	s_mov_b32 s43, exec_lo
	v_cmpx_ne_u16_e32 0x80, v16
	s_cbranch_execz .LBB308_192
; %bb.187:                              ;   in Loop: Header=BB308_12 Depth=1
	v_and_b32_e32 v16, 0xffff, v16
	v_mov_b32_e32 v54, 0x7f800001
	s_mov_b32 s44, exec_lo
	s_delay_alu instid0(VALU_DEP_2) | instskip(NEXT) | instid1(VALU_DEP_1)
	v_and_b32_e32 v57, 0x7f, v16
	v_cmpx_ne_u32_e32 0x7f, v57
	s_cbranch_execz .LBB308_191
; %bb.188:                              ;   in Loop: Header=BB308_12 Depth=1
	v_dual_lshrrev_b32 v54, 3, v57 :: v_dual_bitop2_b32 v16, 7, v16 bitop3:0x40
	s_mov_b32 s45, exec_lo
	v_cmpx_gt_u32_e32 8, v57
; %bb.189:                              ;   in Loop: Header=BB308_12 Depth=1
	s_delay_alu instid0(VALU_DEP_2) | instskip(NEXT) | instid1(VALU_DEP_1)
	v_clz_i32_u32_e32 v54, v16
	v_min_u32_e32 v54, 32, v54
	s_delay_alu instid0(VALU_DEP_1) | instskip(SKIP_1) | instid1(VALU_DEP_2)
	v_subrev_nc_u32_e32 v57, 28, v54
	v_sub_nc_u32_e32 v54, 29, v54
	v_lshlrev_b64_e32 v[58:59], v57, v[16:17]
	s_delay_alu instid0(VALU_DEP_1)
	v_and_b32_e32 v16, 7, v58
; %bb.190:                              ;   in Loop: Header=BB308_12 Depth=1
	s_or_b32 exec_lo, exec_lo, s45
	v_lshlrev_b32_e32 v56, 16, v56
	s_delay_alu instid0(VALU_DEP_2) | instskip(SKIP_1) | instid1(VALU_DEP_3)
	v_lshlrev_b32_e32 v16, 20, v16
	v_lshl_add_u32 v54, v54, 23, 0x3c000000
	v_and_b32_e32 v56, 0x80000000, v56
	s_delay_alu instid0(VALU_DEP_1)
	v_or3_b32 v54, v16, v56, v54
.LBB308_191:                            ;   in Loop: Header=BB308_12 Depth=1
	s_or_b32 exec_lo, exec_lo, s44
.LBB308_192:                            ;   in Loop: Header=BB308_12 Depth=1
	s_delay_alu instid0(SALU_CYCLE_1)
	s_or_b32 exec_lo, exec_lo, s43
.LBB308_193:                            ;   in Loop: Header=BB308_12 Depth=1
	s_delay_alu instid0(SALU_CYCLE_1)
	s_or_b32 exec_lo, exec_lo, s42
	global_load_u16 v16, v[26:27], off offset:648
	v_mov_b32_e32 v56, 0
	s_wait_loadcnt 0x0
	v_and_b32_e32 v57, 0xff, v16
	v_and_b32_e32 v58, 0xffff, v16
	s_delay_alu instid0(VALU_DEP_2)
	v_cmp_ne_u16_e64 s4, 0, v57
	v_mov_b32_e32 v57, 0
	s_and_saveexec_b32 s42, s4
	s_cbranch_execz .LBB308_201
; %bb.194:                              ;   in Loop: Header=BB308_12 Depth=1
	v_and_b32_e32 v16, 0xff, v58
	v_bfrev_b32_e32 v57, 1
	s_mov_b32 s43, exec_lo
	s_delay_alu instid0(VALU_DEP_2)
	v_cmpx_ne_u16_e32 0x80, v16
	s_cbranch_execz .LBB308_200
; %bb.195:                              ;   in Loop: Header=BB308_12 Depth=1
	v_and_b32_e32 v59, 0x7f, v58
	v_mov_b32_e32 v57, 0x7f800001
	s_mov_b32 s44, exec_lo
	s_delay_alu instid0(VALU_DEP_2)
	v_cmpx_ne_u32_e32 0x7f, v59
	s_cbranch_execz .LBB308_199
; %bb.196:                              ;   in Loop: Header=BB308_12 Depth=1
	v_dual_lshrrev_b32 v57, 3, v59 :: v_dual_bitop2_b32 v16, 7, v58 bitop3:0x40
	s_mov_b32 s45, exec_lo
	v_cmpx_gt_u32_e32 8, v59
; %bb.197:                              ;   in Loop: Header=BB308_12 Depth=1
	s_delay_alu instid0(VALU_DEP_2) | instskip(NEXT) | instid1(VALU_DEP_1)
	v_clz_i32_u32_e32 v57, v16
	v_min_u32_e32 v57, 32, v57
	s_delay_alu instid0(VALU_DEP_1) | instskip(NEXT) | instid1(VALU_DEP_1)
	v_subrev_nc_u32_e32 v59, 28, v57
	v_lshlrev_b64_e32 v[60:61], v59, v[16:17]
	s_delay_alu instid0(VALU_DEP_1)
	v_dual_sub_nc_u32 v57, 29, v57 :: v_dual_bitop2_b32 v16, 7, v60 bitop3:0x40
; %bb.198:                              ;   in Loop: Header=BB308_12 Depth=1
	s_or_b32 exec_lo, exec_lo, s45
	s_delay_alu instid0(VALU_DEP_1) | instskip(NEXT) | instid1(VALU_DEP_2)
	v_dual_lshlrev_b32 v59, 24, v58 :: v_dual_lshlrev_b32 v16, 20, v16
	v_lshl_add_u32 v57, v57, 23, 0x3c000000
	s_delay_alu instid0(VALU_DEP_2) | instskip(NEXT) | instid1(VALU_DEP_1)
	v_and_b32_e32 v59, 0x80000000, v59
	v_or3_b32 v57, v16, v59, v57
.LBB308_199:                            ;   in Loop: Header=BB308_12 Depth=1
	s_or_b32 exec_lo, exec_lo, s44
.LBB308_200:                            ;   in Loop: Header=BB308_12 Depth=1
	s_delay_alu instid0(SALU_CYCLE_1)
	s_or_b32 exec_lo, exec_lo, s43
.LBB308_201:                            ;   in Loop: Header=BB308_12 Depth=1
	s_delay_alu instid0(SALU_CYCLE_1) | instskip(SKIP_2) | instid1(VALU_DEP_1)
	s_or_b32 exec_lo, exec_lo, s42
	v_lshrrev_b16 v16, 8, v58
	s_mov_b32 s42, exec_lo
	v_cmpx_ne_u16_e32 0, v16
	s_cbranch_execz .LBB308_209
; %bb.202:                              ;   in Loop: Header=BB308_12 Depth=1
	v_bfrev_b32_e32 v56, 1
	s_mov_b32 s43, exec_lo
	v_cmpx_ne_u16_e32 0x80, v16
	s_cbranch_execz .LBB308_208
; %bb.203:                              ;   in Loop: Header=BB308_12 Depth=1
	v_and_b32_e32 v16, 0xffff, v16
	v_mov_b32_e32 v56, 0x7f800001
	s_mov_b32 s44, exec_lo
	s_delay_alu instid0(VALU_DEP_2) | instskip(NEXT) | instid1(VALU_DEP_1)
	v_and_b32_e32 v59, 0x7f, v16
	v_cmpx_ne_u32_e32 0x7f, v59
	s_cbranch_execz .LBB308_207
; %bb.204:                              ;   in Loop: Header=BB308_12 Depth=1
	v_dual_lshrrev_b32 v56, 3, v59 :: v_dual_bitop2_b32 v16, 7, v16 bitop3:0x40
	s_mov_b32 s45, exec_lo
	v_cmpx_gt_u32_e32 8, v59
; %bb.205:                              ;   in Loop: Header=BB308_12 Depth=1
	s_delay_alu instid0(VALU_DEP_2) | instskip(NEXT) | instid1(VALU_DEP_1)
	v_clz_i32_u32_e32 v56, v16
	v_min_u32_e32 v56, 32, v56
	s_delay_alu instid0(VALU_DEP_1) | instskip(SKIP_1) | instid1(VALU_DEP_2)
	v_subrev_nc_u32_e32 v59, 28, v56
	v_sub_nc_u32_e32 v56, 29, v56
	v_lshlrev_b64_e32 v[60:61], v59, v[16:17]
	s_delay_alu instid0(VALU_DEP_1)
	v_and_b32_e32 v16, 7, v60
; %bb.206:                              ;   in Loop: Header=BB308_12 Depth=1
	s_or_b32 exec_lo, exec_lo, s45
	s_delay_alu instid0(VALU_DEP_1) | instskip(SKIP_1) | instid1(VALU_DEP_2)
	v_dual_lshlrev_b32 v58, 16, v58 :: v_dual_lshlrev_b32 v16, 20, v16
	v_lshl_add_u32 v56, v56, 23, 0x3c000000
	v_and_b32_e32 v58, 0x80000000, v58
	s_delay_alu instid0(VALU_DEP_1)
	v_or3_b32 v56, v16, v58, v56
.LBB308_207:                            ;   in Loop: Header=BB308_12 Depth=1
	s_or_b32 exec_lo, exec_lo, s44
.LBB308_208:                            ;   in Loop: Header=BB308_12 Depth=1
	s_delay_alu instid0(SALU_CYCLE_1)
	s_or_b32 exec_lo, exec_lo, s43
.LBB308_209:                            ;   in Loop: Header=BB308_12 Depth=1
	s_delay_alu instid0(SALU_CYCLE_1)
	s_or_b32 exec_lo, exec_lo, s42
	global_load_u16 v16, v[26:27], off offset:768
	v_mov_b32_e32 v58, 0
	s_wait_loadcnt 0x0
	v_and_b32_e32 v59, 0xff, v16
	v_and_b32_e32 v60, 0xffff, v16
	s_delay_alu instid0(VALU_DEP_2)
	v_cmp_ne_u16_e64 s4, 0, v59
	v_mov_b32_e32 v59, 0
	s_and_saveexec_b32 s42, s4
	s_cbranch_execz .LBB308_217
; %bb.210:                              ;   in Loop: Header=BB308_12 Depth=1
	v_and_b32_e32 v16, 0xff, v60
	v_bfrev_b32_e32 v59, 1
	s_mov_b32 s43, exec_lo
	s_delay_alu instid0(VALU_DEP_2)
	v_cmpx_ne_u16_e32 0x80, v16
	s_cbranch_execz .LBB308_216
; %bb.211:                              ;   in Loop: Header=BB308_12 Depth=1
	v_and_b32_e32 v61, 0x7f, v60
	v_mov_b32_e32 v59, 0x7f800001
	s_mov_b32 s44, exec_lo
	s_delay_alu instid0(VALU_DEP_2)
	v_cmpx_ne_u32_e32 0x7f, v61
	s_cbranch_execz .LBB308_215
; %bb.212:                              ;   in Loop: Header=BB308_12 Depth=1
	v_dual_lshrrev_b32 v59, 3, v61 :: v_dual_bitop2_b32 v16, 7, v60 bitop3:0x40
	s_mov_b32 s45, exec_lo
	v_cmpx_gt_u32_e32 8, v61
; %bb.213:                              ;   in Loop: Header=BB308_12 Depth=1
	s_delay_alu instid0(VALU_DEP_2) | instskip(NEXT) | instid1(VALU_DEP_1)
	v_clz_i32_u32_e32 v59, v16
	v_min_u32_e32 v59, 32, v59
	s_delay_alu instid0(VALU_DEP_1) | instskip(NEXT) | instid1(VALU_DEP_1)
	v_subrev_nc_u32_e32 v61, 28, v59
	v_lshlrev_b64_e32 v[62:63], v61, v[16:17]
	s_delay_alu instid0(VALU_DEP_1)
	v_dual_sub_nc_u32 v59, 29, v59 :: v_dual_bitop2_b32 v16, 7, v62 bitop3:0x40
; %bb.214:                              ;   in Loop: Header=BB308_12 Depth=1
	s_or_b32 exec_lo, exec_lo, s45
	v_lshlrev_b32_e32 v61, 24, v60
	s_delay_alu instid0(VALU_DEP_2) | instskip(NEXT) | instid1(VALU_DEP_3)
	v_lshlrev_b32_e32 v16, 20, v16
	v_lshl_add_u32 v59, v59, 23, 0x3c000000
	s_delay_alu instid0(VALU_DEP_3) | instskip(NEXT) | instid1(VALU_DEP_1)
	v_and_b32_e32 v61, 0x80000000, v61
	v_or3_b32 v59, v16, v61, v59
.LBB308_215:                            ;   in Loop: Header=BB308_12 Depth=1
	s_or_b32 exec_lo, exec_lo, s44
.LBB308_216:                            ;   in Loop: Header=BB308_12 Depth=1
	s_delay_alu instid0(SALU_CYCLE_1)
	s_or_b32 exec_lo, exec_lo, s43
.LBB308_217:                            ;   in Loop: Header=BB308_12 Depth=1
	s_delay_alu instid0(SALU_CYCLE_1) | instskip(SKIP_2) | instid1(VALU_DEP_1)
	s_or_b32 exec_lo, exec_lo, s42
	v_lshrrev_b16 v16, 8, v60
	s_mov_b32 s42, exec_lo
	v_cmpx_ne_u16_e32 0, v16
	s_cbranch_execz .LBB308_225
; %bb.218:                              ;   in Loop: Header=BB308_12 Depth=1
	v_bfrev_b32_e32 v58, 1
	s_mov_b32 s43, exec_lo
	v_cmpx_ne_u16_e32 0x80, v16
	s_cbranch_execz .LBB308_224
; %bb.219:                              ;   in Loop: Header=BB308_12 Depth=1
	v_and_b32_e32 v16, 0xffff, v16
	v_mov_b32_e32 v58, 0x7f800001
	s_mov_b32 s44, exec_lo
	s_delay_alu instid0(VALU_DEP_2) | instskip(NEXT) | instid1(VALU_DEP_1)
	v_and_b32_e32 v61, 0x7f, v16
	v_cmpx_ne_u32_e32 0x7f, v61
	s_cbranch_execz .LBB308_223
; %bb.220:                              ;   in Loop: Header=BB308_12 Depth=1
	v_dual_lshrrev_b32 v58, 3, v61 :: v_dual_bitop2_b32 v16, 7, v16 bitop3:0x40
	s_mov_b32 s45, exec_lo
	v_cmpx_gt_u32_e32 8, v61
; %bb.221:                              ;   in Loop: Header=BB308_12 Depth=1
	s_delay_alu instid0(VALU_DEP_2) | instskip(NEXT) | instid1(VALU_DEP_1)
	v_clz_i32_u32_e32 v58, v16
	v_min_u32_e32 v58, 32, v58
	s_delay_alu instid0(VALU_DEP_1) | instskip(SKIP_1) | instid1(VALU_DEP_2)
	v_subrev_nc_u32_e32 v61, 28, v58
	v_sub_nc_u32_e32 v58, 29, v58
	v_lshlrev_b64_e32 v[62:63], v61, v[16:17]
	s_delay_alu instid0(VALU_DEP_1)
	v_and_b32_e32 v16, 7, v62
; %bb.222:                              ;   in Loop: Header=BB308_12 Depth=1
	s_or_b32 exec_lo, exec_lo, s45
	v_lshlrev_b32_e32 v60, 16, v60
	s_delay_alu instid0(VALU_DEP_2) | instskip(SKIP_1) | instid1(VALU_DEP_3)
	v_lshlrev_b32_e32 v16, 20, v16
	v_lshl_add_u32 v58, v58, 23, 0x3c000000
	v_and_b32_e32 v60, 0x80000000, v60
	s_delay_alu instid0(VALU_DEP_1)
	v_or3_b32 v58, v16, v60, v58
.LBB308_223:                            ;   in Loop: Header=BB308_12 Depth=1
	s_or_b32 exec_lo, exec_lo, s44
.LBB308_224:                            ;   in Loop: Header=BB308_12 Depth=1
	s_delay_alu instid0(SALU_CYCLE_1)
	s_or_b32 exec_lo, exec_lo, s43
.LBB308_225:                            ;   in Loop: Header=BB308_12 Depth=1
	s_delay_alu instid0(SALU_CYCLE_1)
	s_or_b32 exec_lo, exec_lo, s42
	global_load_u16 v16, v[26:27], off offset:776
	s_wait_xcnt 0x0
	v_mov_b32_e32 v26, 0
	s_wait_loadcnt 0x0
	v_and_b32_e32 v27, 0xff, v16
	v_and_b32_e32 v60, 0xffff, v16
	s_delay_alu instid0(VALU_DEP_2)
	v_cmp_ne_u16_e64 s4, 0, v27
	v_mov_b32_e32 v27, 0
	s_and_saveexec_b32 s42, s4
	s_cbranch_execz .LBB308_233
; %bb.226:                              ;   in Loop: Header=BB308_12 Depth=1
	v_and_b32_e32 v16, 0xff, v60
	v_bfrev_b32_e32 v27, 1
	s_mov_b32 s43, exec_lo
	s_delay_alu instid0(VALU_DEP_2)
	v_cmpx_ne_u16_e32 0x80, v16
	s_cbranch_execz .LBB308_232
; %bb.227:                              ;   in Loop: Header=BB308_12 Depth=1
	v_and_b32_e32 v61, 0x7f, v60
	v_mov_b32_e32 v27, 0x7f800001
	s_mov_b32 s44, exec_lo
	s_delay_alu instid0(VALU_DEP_2)
	v_cmpx_ne_u32_e32 0x7f, v61
	s_cbranch_execz .LBB308_231
; %bb.228:                              ;   in Loop: Header=BB308_12 Depth=1
	v_dual_lshrrev_b32 v27, 3, v61 :: v_dual_bitop2_b32 v16, 7, v60 bitop3:0x40
	s_mov_b32 s45, exec_lo
	v_cmpx_gt_u32_e32 8, v61
; %bb.229:                              ;   in Loop: Header=BB308_12 Depth=1
	s_delay_alu instid0(VALU_DEP_2) | instskip(NEXT) | instid1(VALU_DEP_1)
	v_clz_i32_u32_e32 v27, v16
	v_min_u32_e32 v27, 32, v27
	s_delay_alu instid0(VALU_DEP_1) | instskip(NEXT) | instid1(VALU_DEP_1)
	v_subrev_nc_u32_e32 v61, 28, v27
	v_lshlrev_b64_e32 v[62:63], v61, v[16:17]
	s_delay_alu instid0(VALU_DEP_1)
	v_dual_sub_nc_u32 v27, 29, v27 :: v_dual_bitop2_b32 v16, 7, v62 bitop3:0x40
; %bb.230:                              ;   in Loop: Header=BB308_12 Depth=1
	s_or_b32 exec_lo, exec_lo, s45
	v_lshlrev_b32_e32 v61, 24, v60
	s_delay_alu instid0(VALU_DEP_2) | instskip(NEXT) | instid1(VALU_DEP_3)
	v_lshlrev_b32_e32 v16, 20, v16
	v_lshl_add_u32 v27, v27, 23, 0x3c000000
	s_delay_alu instid0(VALU_DEP_3) | instskip(NEXT) | instid1(VALU_DEP_1)
	v_and_b32_e32 v61, 0x80000000, v61
	v_or3_b32 v27, v16, v61, v27
.LBB308_231:                            ;   in Loop: Header=BB308_12 Depth=1
	s_or_b32 exec_lo, exec_lo, s44
.LBB308_232:                            ;   in Loop: Header=BB308_12 Depth=1
	s_delay_alu instid0(SALU_CYCLE_1)
	s_or_b32 exec_lo, exec_lo, s43
.LBB308_233:                            ;   in Loop: Header=BB308_12 Depth=1
	s_delay_alu instid0(SALU_CYCLE_1) | instskip(SKIP_2) | instid1(VALU_DEP_1)
	s_or_b32 exec_lo, exec_lo, s42
	v_lshrrev_b16 v16, 8, v60
	s_mov_b32 s42, exec_lo
	v_cmpx_ne_u16_e32 0, v16
	s_cbranch_execz .LBB308_241
; %bb.234:                              ;   in Loop: Header=BB308_12 Depth=1
	v_bfrev_b32_e32 v26, 1
	s_mov_b32 s43, exec_lo
	v_cmpx_ne_u16_e32 0x80, v16
	s_cbranch_execz .LBB308_240
; %bb.235:                              ;   in Loop: Header=BB308_12 Depth=1
	v_and_b32_e32 v16, 0xffff, v16
	v_mov_b32_e32 v26, 0x7f800001
	s_mov_b32 s44, exec_lo
	s_delay_alu instid0(VALU_DEP_2) | instskip(NEXT) | instid1(VALU_DEP_1)
	v_and_b32_e32 v61, 0x7f, v16
	v_cmpx_ne_u32_e32 0x7f, v61
	s_cbranch_execz .LBB308_239
; %bb.236:                              ;   in Loop: Header=BB308_12 Depth=1
	v_dual_lshrrev_b32 v26, 3, v61 :: v_dual_bitop2_b32 v16, 7, v16 bitop3:0x40
	s_mov_b32 s45, exec_lo
	v_cmpx_gt_u32_e32 8, v61
; %bb.237:                              ;   in Loop: Header=BB308_12 Depth=1
	s_delay_alu instid0(VALU_DEP_2) | instskip(NEXT) | instid1(VALU_DEP_1)
	v_clz_i32_u32_e32 v26, v16
	v_min_u32_e32 v26, 32, v26
	s_delay_alu instid0(VALU_DEP_1) | instskip(SKIP_1) | instid1(VALU_DEP_2)
	v_subrev_nc_u32_e32 v61, 28, v26
	v_sub_nc_u32_e32 v26, 29, v26
	v_lshlrev_b64_e32 v[62:63], v61, v[16:17]
	s_delay_alu instid0(VALU_DEP_1)
	v_and_b32_e32 v16, 7, v62
; %bb.238:                              ;   in Loop: Header=BB308_12 Depth=1
	s_or_b32 exec_lo, exec_lo, s45
	v_lshlrev_b32_e32 v60, 16, v60
	s_delay_alu instid0(VALU_DEP_2) | instskip(SKIP_1) | instid1(VALU_DEP_3)
	v_lshlrev_b32_e32 v16, 20, v16
	v_lshl_add_u32 v26, v26, 23, 0x3c000000
	v_and_b32_e32 v60, 0x80000000, v60
	s_delay_alu instid0(VALU_DEP_1)
	v_or3_b32 v26, v16, v60, v26
.LBB308_239:                            ;   in Loop: Header=BB308_12 Depth=1
	s_or_b32 exec_lo, exec_lo, s44
.LBB308_240:                            ;   in Loop: Header=BB308_12 Depth=1
	s_delay_alu instid0(SALU_CYCLE_1)
	s_or_b32 exec_lo, exec_lo, s43
.LBB308_241:                            ;   in Loop: Header=BB308_12 Depth=1
	s_delay_alu instid0(SALU_CYCLE_1)
	s_or_b32 exec_lo, exec_lo, s42
	s_wait_kmcnt 0x0
	v_fma_mixlo_bf16 v16, s41, v37, 0
	v_fma_mixlo_bf16 v36, s41, v36, 0
	s_wait_dscnt 0x3
	v_lshlrev_b32_e32 v37, 16, v11
	v_and_b32_e32 v11, 0xffff0000, v11
	v_fma_mixlo_bf16 v19, s41, v19, 0
	v_lshlrev_b32_e32 v16, 16, v16
	v_lshlrev_b32_e32 v36, 16, v36
	v_fma_mixlo_bf16 v35, s41, v35, 0
	s_delay_alu instid0(VALU_DEP_3) | instskip(NEXT) | instid1(VALU_DEP_3)
	v_mul_f32_e32 v16, v37, v16
	v_mul_f32_e32 v11, v11, v36
	v_fma_mixlo_bf16 v36, s41, v38, 0
	v_fma_mixlo_bf16 v37, s41, v39, 0
	s_delay_alu instid0(VALU_DEP_4) | instskip(NEXT) | instid1(VALU_DEP_4)
	v_fma_mix_f32_bf16 v16, v10, v35, v16 op_sel_hi:[1,1,0]
	v_fma_mix_f32_bf16 v10, v10, v19, v11 op_sel:[1,0,0] op_sel_hi:[1,1,0]
	v_fma_mixlo_bf16 v11, s41, v40, 0
	v_fma_mixlo_bf16 v19, s41, v41, 0
	;; [unrolled: 1-line block ×3, first 2 shown]
	v_fma_mix_f32_bf16 v16, v12, v37, v16 op_sel_hi:[1,1,0]
	v_fma_mix_f32_bf16 v10, v12, v36, v10 op_sel:[1,0,0] op_sel_hi:[1,1,0]
	v_fma_mixlo_bf16 v12, s41, v42, 0
	s_delay_alu instid0(VALU_DEP_3) | instskip(NEXT) | instid1(VALU_DEP_3)
	v_fma_mix_f32_bf16 v16, v13, v19, v16 op_sel_hi:[1,1,0]
	v_fma_mix_f32_bf16 v10, v13, v11, v10 op_sel:[1,0,0] op_sel_hi:[1,1,0]
	v_fma_mixlo_bf16 v11, s41, v44, 0
	v_fma_mixlo_bf16 v13, s41, v45, 0
	s_wait_dscnt 0x2
	v_fma_mix_f32_bf16 v16, v6, v35, v16 op_sel_hi:[1,1,0]
	v_fma_mix_f32_bf16 v6, v6, v12, v10 op_sel:[1,0,0] op_sel_hi:[1,1,0]
	v_fma_mixlo_bf16 v10, s41, v46, 0
	v_fma_mixlo_bf16 v12, s41, v47, 0
	s_delay_alu instid0(VALU_DEP_4) | instskip(NEXT) | instid1(VALU_DEP_4)
	v_fma_mix_f32_bf16 v13, v7, v13, v16 op_sel_hi:[1,1,0]
	v_fma_mix_f32_bf16 v6, v7, v11, v6 op_sel:[1,0,0] op_sel_hi:[1,1,0]
	v_fma_mixlo_bf16 v7, s41, v48, 0
	v_fma_mixlo_bf16 v11, s41, v49, 0
	s_delay_alu instid0(VALU_DEP_4) | instskip(NEXT) | instid1(VALU_DEP_4)
	;; [unrolled: 5-line block ×3, first 2 shown]
	v_fma_mix_f32_bf16 v11, v9, v11, v12 op_sel_hi:[1,1,0]
	v_fma_mix_f32_bf16 v6, v9, v7, v6 op_sel:[1,0,0] op_sel_hi:[1,1,0]
	v_fma_mixlo_bf16 v7, s41, v52, 0
	v_fma_mixlo_bf16 v9, s41, v53, 0
	s_wait_dscnt 0x1
	v_fma_mix_f32_bf16 v10, v2, v10, v11 op_sel_hi:[1,1,0]
	v_fma_mix_f32_bf16 v2, v2, v8, v6 op_sel:[1,0,0] op_sel_hi:[1,1,0]
	v_fma_mixlo_bf16 v6, s41, v54, 0
	v_fma_mixlo_bf16 v8, s41, v55, 0
	s_delay_alu instid0(VALU_DEP_4) | instskip(NEXT) | instid1(VALU_DEP_4)
	v_fma_mix_f32_bf16 v9, v3, v9, v10 op_sel_hi:[1,1,0]
	v_fma_mix_f32_bf16 v2, v3, v7, v2 op_sel:[1,0,0] op_sel_hi:[1,1,0]
	v_fma_mixlo_bf16 v3, s41, v56, 0
	v_fma_mixlo_bf16 v7, s41, v57, 0
	s_delay_alu instid0(VALU_DEP_4) | instskip(NEXT) | instid1(VALU_DEP_4)
	v_fma_mix_f32_bf16 v8, v4, v8, v9 op_sel_hi:[1,1,0]
	v_fma_mix_f32_bf16 v2, v4, v6, v2 op_sel:[1,0,0] op_sel_hi:[1,1,0]
	v_fma_mixlo_bf16 v4, s41, v58, 0
	v_fma_mixlo_bf16 v6, s41, v59, 0
	s_delay_alu instid0(VALU_DEP_4) | instskip(NEXT) | instid1(VALU_DEP_4)
	v_fma_mix_f32_bf16 v7, v5, v7, v8 op_sel_hi:[1,1,0]
	v_fma_mix_f32_bf16 v2, v5, v3, v2 op_sel:[1,0,0] op_sel_hi:[1,1,0]
	v_xor_b32_e32 v5, 2, v28
	v_fma_mixlo_bf16 v3, s41, v27, 0
	v_fma_mixlo_bf16 v8, s41, v26, 0
	s_wait_dscnt 0x0
	v_fma_mix_f32_bf16 v6, v24, v6, v7 op_sel_hi:[1,1,0]
	v_fma_mix_f32_bf16 v2, v24, v4, v2 op_sel:[1,0,0] op_sel_hi:[1,1,0]
	v_cmp_gt_i32_e64 s4, 32, v5
	s_delay_alu instid0(VALU_DEP_3) | instskip(NEXT) | instid1(VALU_DEP_3)
	v_fma_mix_f32_bf16 v3, v25, v3, v6 op_sel_hi:[1,1,0]
	v_fma_mix_f32_bf16 v2, v25, v8, v2 op_sel:[1,0,0] op_sel_hi:[1,1,0]
	s_delay_alu instid0(VALU_DEP_1) | instskip(NEXT) | instid1(VALU_DEP_1)
	v_dual_cndmask_b32 v4, v28, v5, s4 :: v_dual_add_f32 v2, v3, v2
	v_lshlrev_b32_e32 v4, 2, v4
	ds_bpermute_b32 v3, v4, v2
	v_xor_b32_e32 v4, 1, v28
	s_delay_alu instid0(VALU_DEP_1) | instskip(NEXT) | instid1(VALU_DEP_1)
	v_cmp_gt_i32_e64 s4, 32, v4
	v_cndmask_b32_e64 v4, v28, v4, s4
	s_wait_dscnt 0x0
	s_delay_alu instid0(VALU_DEP_1)
	v_dual_lshlrev_b32 v4, 2, v4 :: v_dual_add_f32 v2, v2, v3
	ds_bpermute_b32 v3, v4, v2
	s_and_saveexec_b32 s41, s3
	s_cbranch_execz .LBB308_10
; %bb.242:                              ;   in Loop: Header=BB308_12 Depth=1
	s_wait_dscnt 0x0
	v_dual_add_nc_u32 v4, v32, v18 :: v_dual_add_f32 v2, v2, v3
	s_delay_alu instid0(VALU_DEP_1) | instskip(NEXT) | instid1(VALU_DEP_1)
	v_cvt_f32_i32_e32 v4, v4
	v_mul_f32_e32 v4, s36, v4
	s_delay_alu instid0(VALU_DEP_1) | instskip(NEXT) | instid1(VALU_DEP_1)
	v_dual_cndmask_b32 v3, 0, v4 :: v_dual_max_num_f32 v4, v31, v31
	v_fmac_f32_e32 v3, s27, v2
	s_delay_alu instid0(VALU_DEP_1) | instskip(NEXT) | instid1(VALU_DEP_1)
	v_dual_add_nc_u32 v2, v29, v18 :: v_dual_max_num_f32 v4, v4, v3
	v_cmp_gt_i32_e64 s4, s34, v2
	s_delay_alu instid0(VALU_DEP_1)
	v_dual_cndmask_b32 v2, 0, v3, s4 :: v_dual_cndmask_b32 v31, v31, v4, s4
	ds_store_b32 v33, v2
	s_branch .LBB308_10
.LBB308_243:
	s_or_b32 exec_lo, exec_lo, s40
.LBB308_244:
	s_delay_alu instid0(SALU_CYCLE_1)
	s_or_b32 exec_lo, exec_lo, s37
	v_dual_max_num_f32 v5, v31, v31 :: v_dual_bitop2_b32 v2, 16, v28 bitop3:0x14
	s_clause 0x1
	s_load_b64 s[4:5], s[0:1], 0x0
	s_load_b64 s[8:9], s[0:1], 0x18
	v_and_b32_e32 v30, 31, v0
	v_xor_b32_e32 v4, 8, v28
	v_cmp_gt_i32_e32 vcc_lo, 32, v2
	v_cndmask_b32_e32 v2, v28, v2, vcc_lo
	s_delay_alu instid0(VALU_DEP_3) | instskip(NEXT) | instid1(VALU_DEP_2)
	v_cmp_gt_i32_e32 vcc_lo, 32, v4
	v_dual_lshlrev_b32 v2, 2, v2 :: v_dual_cndmask_b32 v4, v28, v4, vcc_lo
	s_wait_dscnt 0x0
	ds_bpermute_b32 v3, v2, v31
	s_wait_dscnt 0x0
	v_dual_max_num_f32 v6, v3, v3 :: v_dual_lshlrev_b32 v3, 2, v4
	s_delay_alu instid0(VALU_DEP_1) | instskip(SKIP_4) | instid1(VALU_DEP_1)
	v_dual_max_num_f32 v4, v5, v6 :: v_dual_bitop2_b32 v6, 4, v28 bitop3:0x14
	ds_bpermute_b32 v5, v3, v4
	v_cmp_gt_i32_e32 vcc_lo, 32, v6
	v_cndmask_b32_e32 v6, v28, v6, vcc_lo
	s_wait_dscnt 0x0
	v_dual_max_num_f32 v5, v5, v5 :: v_dual_lshlrev_b32 v6, 2, v6
	s_delay_alu instid0(VALU_DEP_1)
	v_max_num_f32_e32 v5, v4, v5
	v_lshlrev_b32_e32 v4, 2, v1
	v_cmp_eq_u32_e32 vcc_lo, 0, v30
	ds_bpermute_b32 v7, v6, v5
	s_wait_xcnt 0x0
	s_and_saveexec_b32 s0, vcc_lo
	s_cbranch_execz .LBB308_246
; %bb.245:
	s_wait_dscnt 0x0
	v_dual_max_num_f32 v7, v7, v7 :: v_dual_max_num_f32 v5, v5, v5
	s_delay_alu instid0(VALU_DEP_1)
	v_max_num_f32_e32 v5, v5, v7
	ds_store_b32 v4, v5 offset:224
.LBB308_246:
	s_or_b32 exec_lo, exec_lo, s0
	v_cmp_gt_u32_e64 s0, 4, v30
	v_dual_mov_b32 v8, 0xff7fffff :: v_dual_lshlrev_b32 v5, 2, v30
	s_wait_dscnt 0x0
	s_barrier_signal -1
	s_barrier_wait -1
	s_and_saveexec_b32 s1, s0
; %bb.247:
	ds_load_b32 v8, v5 offset:224
; %bb.248:
	s_or_b32 exec_lo, exec_lo, s1
	v_xor_b32_e32 v10, 1, v28
	v_xor_b32_e32 v7, 2, v28
	v_lshl_add_u32 v31, v0, 2, 0x100
	s_wait_dscnt 0x0
	v_max_num_f32_e32 v11, v8, v8
	s_delay_alu instid0(VALU_DEP_3) | instskip(NEXT) | instid1(VALU_DEP_1)
	v_cmp_gt_i32_e64 s1, 32, v7
	v_cndmask_b32_e64 v7, v28, v7, s1
	s_delay_alu instid0(VALU_DEP_1) | instskip(SKIP_3) | instid1(VALU_DEP_1)
	v_lshlrev_b32_e32 v7, 2, v7
	ds_bpermute_b32 v9, v7, v8
	s_wait_dscnt 0x0
	v_max_num_f32_e32 v9, v9, v9
	v_max_num_f32_e32 v9, v11, v9
	v_cmp_gt_i32_e64 s1, 32, v10
	s_delay_alu instid0(VALU_DEP_1) | instskip(SKIP_1) | instid1(SALU_CYCLE_1)
	v_cndmask_b32_e64 v8, v28, v10, s1
	s_lshl_b32 s1, s26, 3
	s_min_i32 s19, s1, s34
	s_delay_alu instid0(VALU_DEP_1) | instskip(SKIP_4) | instid1(VALU_DEP_1)
	v_lshlrev_b32_e32 v8, 2, v8
	v_cmp_gt_i32_e64 s1, s19, v0
	ds_bpermute_b32 v10, v8, v9
	s_wait_dscnt 0x0
	v_max_num_f32_e32 v10, v10, v10
	v_dual_max_num_f32 v10, v9, v10 :: v_dual_mov_b32 v9, 0
	ds_bpermute_b32 v10, v9, v10
	s_and_saveexec_b32 s27, s1
	s_cbranch_execz .LBB308_252
; %bb.249:
	v_lshl_add_u32 v11, v0, 2, 0x100
	v_dual_mov_b32 v9, 0 :: v_dual_mov_b32 v12, v0
	s_mov_b32 s28, 0
.LBB308_250:                            ; =>This Inner Loop Header: Depth=1
	ds_load_b32 v13, v11
	v_add_nc_u32_e32 v12, 0x80, v12
	s_delay_alu instid0(VALU_DEP_1) | instskip(SKIP_3) | instid1(VALU_DEP_1)
	v_cmp_le_i32_e64 s3, s19, v12
	s_or_b32 s28, s3, s28
	s_wait_dscnt 0x0
	v_sub_f32_e32 v13, v13, v10
	v_mul_f32_e32 v13, 0x3fb8aa3b, v13
	s_delay_alu instid0(VALU_DEP_1)
	v_exp_f32_e32 v13, v13
	ds_store_b32 v11, v13
	v_nop
	v_add_f32_e32 v9, v9, v13
	v_add_nc_u32_e32 v11, 0x200, v11
	s_and_not1_b32 exec_lo, exec_lo, s28
	s_cbranch_execnz .LBB308_250
; %bb.251:
	s_or_b32 exec_lo, exec_lo, s28
.LBB308_252:
	s_delay_alu instid0(SALU_CYCLE_1)
	s_or_b32 exec_lo, exec_lo, s27
	ds_bpermute_b32 v2, v2, v9
	s_wait_dscnt 0x0
	v_add_f32_e32 v2, v9, v2
	ds_bpermute_b32 v3, v3, v2
	s_wait_dscnt 0x0
	v_add_f32_e32 v2, v2, v3
	;; [unrolled: 3-line block ×5, first 2 shown]
	s_and_saveexec_b32 s3, vcc_lo
; %bb.253:
	ds_store_b32 v4, v2 offset:240
; %bb.254:
	s_or_b32 exec_lo, exec_lo, s3
	s_wait_dscnt 0x0
	s_barrier_signal -1
	s_barrier_wait -1
	s_and_saveexec_b32 s3, s0
; %bb.255:
	ds_load_b32 v2, v5 offset:240
; %bb.256:
	s_or_b32 exec_lo, exec_lo, s3
	s_wait_dscnt 0x0
	ds_bpermute_b32 v3, v7, v2
	s_wait_dscnt 0x0
	v_dual_mov_b32 v32, 0 :: v_dual_add_f32 v2, v2, v3
	ds_bpermute_b32 v3, v8, v2
	s_wait_dscnt 0x0
	v_add_f32_e32 v2, v2, v3
	ds_bpermute_b32 v2, v32, v2
	s_and_saveexec_b32 s0, s1
	s_cbranch_execz .LBB308_269
; %bb.257:
	s_wait_dscnt 0x0
	v_add_f32_e32 v2, 0x358637bd, v2
	s_mov_b32 s3, -1
	s_mov_b32 s1, exec_lo
	s_delay_alu instid0(VALU_DEP_1) | instskip(NEXT) | instid1(VALU_DEP_1)
	v_div_scale_f32 v3, null, v2, v2, 1.0
	v_rcp_f32_e32 v5, v3
	v_nop
	s_delay_alu instid0(TRANS32_DEP_1) | instskip(NEXT) | instid1(VALU_DEP_1)
	v_fma_f32 v4, -v3, v5, 1.0
	v_fmac_f32_e32 v5, v4, v5
	v_div_scale_f32 v6, vcc_lo, 1.0, v2, 1.0
	s_delay_alu instid0(VALU_DEP_1) | instskip(NEXT) | instid1(VALU_DEP_1)
	v_mul_f32_e32 v7, v6, v5
	v_fma_f32 v4, -v3, v7, v6
	s_delay_alu instid0(VALU_DEP_1) | instskip(SKIP_1) | instid1(VALU_DEP_2)
	v_fmac_f32_e32 v7, v4, v5
	v_xad_u32 v4, v0, -1, s19
	v_fma_f32 v3, -v3, v7, v6
	s_delay_alu instid0(VALU_DEP_1) | instskip(NEXT) | instid1(VALU_DEP_1)
	v_div_fmas_f32 v3, v3, v5, v7
	v_div_fixup_f32 v2, v3, v2, 1.0
	v_mov_b32_e32 v3, v0
	v_cmpx_lt_u32_e32 0x7f, v4
	s_cbranch_execz .LBB308_266
; %bb.258:
	s_delay_alu instid0(VALU_DEP_3) | instskip(NEXT) | instid1(VALU_DEP_1)
	v_dual_mov_b32 v3, v2 :: v_dual_lshrrev_b32 v4, 7, v4
	v_dual_mov_b32 v8, 0 :: v_dual_add_nc_u32 v5, -1, v4
	s_delay_alu instid0(VALU_DEP_1) | instskip(SKIP_1) | instid1(VALU_DEP_2)
	v_lshrrev_b32_e32 v6, 1, v5
	v_cmp_lt_u32_e32 vcc_lo, 13, v5
	v_add_nc_u32_e32 v5, 1, v6
	s_and_saveexec_b32 s3, vcc_lo
	s_cbranch_execz .LBB308_262
; %bb.259:
	s_delay_alu instid0(VALU_DEP_1)
	v_dual_mov_b32 v7, v31 :: v_dual_bitop2_b32 v6, -8, v5 bitop3:0x40
	s_mov_b32 s27, 0
	s_mov_b32 s28, 0
.LBB308_260:                            ; =>This Inner Loop Header: Depth=1
	ds_load_2addr_stride64_b32 v[8:9], v7 offset1:2
	ds_load_2addr_stride64_b32 v[10:11], v7 offset0:4 offset1:6
	ds_load_2addr_stride64_b32 v[12:13], v7 offset0:8 offset1:10
	;; [unrolled: 1-line block ×7, first 2 shown]
	s_add_co_i32 s28, s28, 16
	v_add_nc_u32_e32 v6, -8, v6
	s_wait_dscnt 0x7
	v_pk_mul_f32 v[8:9], v[2:3], v[8:9]
	s_wait_dscnt 0x6
	v_pk_mul_f32 v[10:11], v[2:3], v[10:11]
	;; [unrolled: 2-line block ×8, first 2 shown]
	ds_store_2addr_stride64_b32 v7, v8, v9 offset1:2
	ds_store_2addr_stride64_b32 v7, v10, v11 offset0:4 offset1:6
	ds_store_2addr_stride64_b32 v7, v12, v13 offset0:8 offset1:10
	;; [unrolled: 1-line block ×7, first 2 shown]
	v_mov_b32_e32 v8, s28
	v_cmp_eq_u32_e32 vcc_lo, 0, v6
	v_add_nc_u32_e32 v7, 0x2000, v7
	s_or_b32 s27, vcc_lo, s27
	s_delay_alu instid0(SALU_CYCLE_1)
	s_and_not1_b32 exec_lo, exec_lo, s27
	s_cbranch_execnz .LBB308_260
; %bb.261:
	s_or_b32 exec_lo, exec_lo, s27
.LBB308_262:
	s_delay_alu instid0(SALU_CYCLE_1) | instskip(NEXT) | instid1(VALU_DEP_1)
	s_or_b32 exec_lo, exec_lo, s3
	v_and_b32_e32 v5, 7, v5
	s_mov_b32 s27, 0
	s_mov_b32 s3, exec_lo
	s_delay_alu instid0(VALU_DEP_1)
	v_cmpx_ne_u32_e32 0, v5
	s_cbranch_execz .LBB308_265
; %bb.263:
	v_lshlrev_b32_e32 v6, 9, v8
	v_lshlrev_b32_e32 v7, 2, v0
	s_delay_alu instid0(VALU_DEP_1)
	v_add3_u32 v6, v6, v7, 0x100
.LBB308_264:                            ; =>This Inner Loop Header: Depth=1
	ds_load_2addr_stride64_b32 v[8:9], v6 offset1:2
	v_add_nc_u32_e32 v5, -1, v5
	s_delay_alu instid0(VALU_DEP_1)
	v_cmp_eq_u32_e32 vcc_lo, 0, v5
	s_or_b32 s27, vcc_lo, s27
	s_wait_dscnt 0x0
	v_pk_mul_f32 v[8:9], v[2:3], v[8:9]
	ds_store_2addr_stride64_b32 v6, v8, v9 offset1:2
	v_add_nc_u32_e32 v6, 0x400, v6
	s_and_not1_b32 exec_lo, exec_lo, s27
	s_cbranch_execnz .LBB308_264
.LBB308_265:
	s_or_b32 exec_lo, exec_lo, s3
	v_add_nc_u32_e32 v3, 1, v4
	s_delay_alu instid0(VALU_DEP_1) | instskip(NEXT) | instid1(VALU_DEP_1)
	v_and_b32_e32 v4, 0x3fffffe, v3
	v_cmp_ne_u32_e32 vcc_lo, v3, v4
	v_lshl_add_u32 v3, v4, 7, v0
	s_or_not1_b32 s3, vcc_lo, exec_lo
.LBB308_266:
	s_or_b32 exec_lo, exec_lo, s1
	s_delay_alu instid0(SALU_CYCLE_1)
	s_and_b32 exec_lo, exec_lo, s3
	s_cbranch_execz .LBB308_269
; %bb.267:
	v_lshl_add_u32 v4, v3, 2, 0x100
	s_mov_b32 s1, 0
.LBB308_268:                            ; =>This Inner Loop Header: Depth=1
	ds_load_b32 v5, v4
	v_add_nc_u32_e32 v3, 0x80, v3
	s_delay_alu instid0(VALU_DEP_1)
	v_cmp_le_i32_e32 vcc_lo, s19, v3
	s_or_b32 s1, vcc_lo, s1
	s_wait_dscnt 0x0
	v_mul_f32_e32 v5, v2, v5
	ds_store_b32 v4, v5
	v_add_nc_u32_e32 v4, 0x200, v4
	s_and_not1_b32 exec_lo, exec_lo, s1
	s_cbranch_execnz .LBB308_268
.LBB308_269:
	s_or_b32 exec_lo, exec_lo, s0
	v_mov_b64_e32 v[10:11], 0
	v_mov_b32_e32 v33, 0
	s_wait_dscnt 0x0
	s_barrier_signal -1
	s_barrier_wait -1
	s_and_saveexec_b32 s27, s2
	s_cbranch_execz .LBB308_525
; %bb.270:
	s_abs_i32 s14, s14
	s_sub_co_i32 s28, s12, s13
	s_cvt_f32_u32 s0, s14
	v_dual_mov_b32 v17, 0 :: v_dual_lshlrev_b32 v12, 3, v30
	v_and_b32_e32 v16, 0x7c, v15
	s_delay_alu instid0(SALU_CYCLE_1)
	v_rcp_iflag_f32_e32 v2, s0
	s_lshl_b64 s[0:1], s[24:25], 2
	v_or_b32_e32 v3, 0x60, v30
	s_add_nc_u64 s[0:1], s[22:23], s[0:1]
	s_sub_co_i32 s13, 0, s14
	v_mov_b64_e32 v[10:11], 0
	v_add_nc_u64_e32 v[20:21], s[0:1], v[16:17]
	v_readfirstlane_b32 s12, v2
	v_lshl_add_u32 v34, v1, 5, 0x100
	v_dual_mov_b32 v13, v17 :: v_dual_lshlrev_b32 v18, 3, v3
	v_dual_mov_b32 v19, v17 :: v_dual_mov_b32 v33, 0
	s_mul_f32 s12, s12, 0x4f7ffffe
	v_dual_mov_b32 v32, 0 :: v_dual_mov_b32 v35, v1
	s_ashr_i32 s19, s18, 31
	s_delay_alu instid0(SALU_CYCLE_1)
	s_cvt_u32_f32 s12, s12
	s_add_co_i32 s29, s26, -1
	s_mov_b64 s[2:3], 0xffffffffffffff
	s_wait_kmcnt 0x0
	s_add_nc_u64 s[8:9], s[8:9], s[18:19]
	s_mul_i32 s13, s13, s12
	v_cmp_gt_u32_e32 vcc_lo, 0x70, v3
	s_mul_hi_u32 s0, s12, s13
	s_mov_b32 s13, 0
	s_add_co_i32 s12, s12, s0
	s_mov_b32 s18, s13
	s_branch .LBB308_274
.LBB308_271:                            ;   in Loop: Header=BB308_274 Depth=1
	s_or_b32 exec_lo, exec_lo, s1
	v_perm_b32 v9, v22, v9, 0x5040100
	v_perm_b32 v16, v16, v23, 0x5040100
	;; [unrolled: 1-line block ×4, first 2 shown]
	s_delay_alu instid0(VALU_DEP_4) | instskip(NEXT) | instid1(VALU_DEP_4)
	v_pk_mul_bf16 v3, v53, v9
	v_pk_mul_bf16 v9, v7, v16
	s_delay_alu instid0(VALU_DEP_4) | instskip(NEXT) | instid1(VALU_DEP_4)
	v_pk_mul_bf16 v2, v8, v2
	v_pk_mul_bf16 v4, v6, v4
	s_delay_alu instid0(VALU_DEP_3) | instskip(SKIP_4) | instid1(VALU_DEP_3)
	v_dual_lshlrev_b32 v5, 16, v3 :: v_dual_lshlrev_b32 v16, 16, v9
	v_and_b32_e32 v3, 0xffff0000, v3
	v_and_b32_e32 v9, 0xffff0000, v9
	v_lshlrev_b32_e32 v22, 16, v2
	v_and_b32_e32 v2, 0xffff0000, v2
	v_dual_add_f32 v3, v3, v5 :: v_dual_add_f32 v5, v9, v16
	s_delay_alu instid0(VALU_DEP_2) | instskip(SKIP_1) | instid1(VALU_DEP_3)
	v_dual_add_f32 v2, v2, v22 :: v_dual_lshlrev_b32 v9, 16, v4
	v_and_b32_e32 v4, 0xffff0000, v4
	v_add_f32_e32 v3, v5, v3
	s_delay_alu instid0(VALU_DEP_1) | instskip(NEXT) | instid1(VALU_DEP_1)
	v_dual_add_f32 v2, v2, v3 :: v_dual_add_f32 v3, v4, v9
	v_add_f32_e32 v2, v3, v2
	s_delay_alu instid0(VALU_DEP_1)
	v_add_f32_e32 v33, v33, v2
.LBB308_272:                            ;   in Loop: Header=BB308_274 Depth=1
	s_or_b32 exec_lo, exec_lo, s23
	v_perm_b32 v2, v47, v48, 0x5040100
	v_perm_b32 v3, v45, v46, 0x5040100
	;; [unrolled: 1-line block ×5, first 2 shown]
	v_pk_mul_bf16 v2, v53, v2
	v_pk_mul_bf16 v3, v7, v3
	;; [unrolled: 1-line block ×4, first 2 shown]
	v_perm_b32 v15, v15, v36, 0x5040100
	s_delay_alu instid0(VALU_DEP_4) | instskip(SKIP_4) | instid1(VALU_DEP_3)
	v_dual_lshlrev_b32 v9, 16, v2 :: v_dual_lshlrev_b32 v16, 16, v3
	v_and_b32_e32 v2, 0xffff0000, v2
	v_and_b32_e32 v3, 0xffff0000, v3
	v_lshlrev_b32_e32 v23, 16, v4
	v_and_b32_e32 v4, 0xffff0000, v4
	v_dual_add_f32 v2, v9, v2 :: v_dual_add_f32 v3, v16, v3
	v_perm_b32 v9, v29, v28, 0x5040100
	v_pk_mul_bf16 v16, v7, v22
	s_delay_alu instid0(VALU_DEP_4)
	v_add_f32_e32 v4, v23, v4
	v_perm_b32 v23, v38, v37, 0x5040100
	v_add_f32_e32 v2, v3, v2
	v_pk_mul_bf16 v3, v6, v9
	v_lshlrev_b32_e32 v9, 16, v5
	v_and_b32_e32 v5, 0xffff0000, v5
	s_delay_alu instid0(VALU_DEP_4) | instskip(SKIP_1) | instid1(VALU_DEP_3)
	v_dual_lshlrev_b32 v22, 16, v16 :: v_dual_add_f32 v2, v4, v2
	v_and_b32_e32 v4, 0xffff0000, v16
	v_dual_add_f32 v5, v9, v5 :: v_dual_lshlrev_b32 v16, 16, v3
	v_pk_mul_bf16 v9, v8, v15
	v_pk_mul_bf16 v15, v6, v23
	s_delay_alu instid0(VALU_DEP_4)
	v_add_f32_e32 v4, v22, v4
	v_perm_b32 v22, v51, v52, 0x5040100
	v_perm_b32 v23, v25, v27, 0x5040100
	v_lshlrev_b32_e32 v25, 16, v9
	v_and_b32_e32 v9, 0xffff0000, v9
	v_and_b32_e32 v3, 0xffff0000, v3
	v_pk_mul_bf16 v22, v53, v22
	v_add_f32_e32 v4, v4, v5
	v_perm_b32 v5, v49, v50, 0x5040100
	s_delay_alu instid0(VALU_DEP_4) | instskip(NEXT) | instid1(VALU_DEP_2)
	v_add_f32_e32 v3, v16, v3
	v_pk_mul_bf16 v5, v7, v5
	v_pk_mul_bf16 v7, v8, v23
	v_perm_b32 v8, v26, v24, 0x5040100
	v_lshlrev_b32_e32 v23, 16, v22
	v_and_b32_e32 v22, 0xffff0000, v22
	v_lshlrev_b32_e32 v24, 16, v5
	v_and_b32_e32 v5, 0xffff0000, v5
	v_add_f32_e32 v9, v25, v9
	v_pk_mul_bf16 v6, v6, v8
	v_lshlrev_b32_e32 v8, 16, v7
	s_delay_alu instid0(VALU_DEP_4)
	v_dual_add_f32 v22, v22, v23 :: v_dual_add_f32 v5, v5, v24
	v_lshlrev_b32_e32 v23, 16, v15
	v_and_b32_e32 v7, 0xffff0000, v7
	v_and_b32_e32 v15, 0xffff0000, v15
	v_lshlrev_b32_e32 v24, 16, v6
	v_add_f32_e32 v5, v5, v22
	v_and_b32_e32 v6, 0xffff0000, v6
	v_add_f32_e32 v7, v7, v8
	v_dual_add_f32 v4, v9, v4 :: v_dual_add_f32 v8, v23, v15
	s_delay_alu instid0(VALU_DEP_3) | instskip(NEXT) | instid1(VALU_DEP_2)
	v_dual_add_f32 v2, v3, v2 :: v_dual_add_f32 v6, v6, v24
	v_dual_add_f32 v5, v7, v5 :: v_dual_add_f32 v3, v8, v4
	s_delay_alu instid0(VALU_DEP_1) | instskip(NEXT) | instid1(VALU_DEP_1)
	v_dual_add_f32 v11, v11, v2 :: v_dual_add_f32 v4, v6, v5
	v_dual_add_f32 v10, v10, v3 :: v_dual_add_f32 v32, v32, v4
.LBB308_273:                            ;   in Loop: Header=BB308_274 Depth=1
	s_or_b32 exec_lo, exec_lo, s19
	v_dual_add_nc_u32 v35, 4, v35 :: v_dual_add_nc_u32 v14, 32, v14
	v_add_nc_u64_e32 v[20:21], 16, v[20:21]
	v_add_nc_u32_e32 v34, 0x80, v34
	s_delay_alu instid0(VALU_DEP_3) | instskip(SKIP_1) | instid1(SALU_CYCLE_1)
	v_cmp_le_i32_e64 s0, s26, v35
	s_or_b32 s18, s0, s18
	s_and_not1_b32 exec_lo, exec_lo, s18
	s_cbranch_execz .LBB308_524
.LBB308_274:                            ; =>This Inner Loop Header: Depth=1
	v_mov_b32_e32 v15, v17
	s_delay_alu instid0(VALU_DEP_1) | instskip(NEXT) | instid1(VALU_DEP_1)
	v_mul_u64_e32 v[2:3], s[20:21], v[14:15]
	v_mul_lo_u32 v2, v3, s16
	s_delay_alu instid0(VALU_DEP_1) | instskip(NEXT) | instid1(VALU_DEP_1)
	v_sub_nc_u32_e32 v2, v14, v2
	v_subrev_nc_u32_e32 v5, s16, v2
	v_cmp_le_u32_e64 s0, s16, v2
	s_delay_alu instid0(VALU_DEP_1) | instskip(NEXT) | instid1(VALU_DEP_1)
	v_dual_add_nc_u32 v4, 1, v3 :: v_dual_cndmask_b32 v2, v2, v5, s0
	v_cndmask_b32_e64 v3, v3, v4, s0
	s_delay_alu instid0(VALU_DEP_2) | instskip(NEXT) | instid1(VALU_DEP_2)
	v_cmp_le_u32_e64 s0, s16, v2
	v_add_nc_u32_e32 v4, 1, v3
	s_delay_alu instid0(VALU_DEP_1) | instskip(NEXT) | instid1(VALU_DEP_1)
	v_cndmask_b32_e64 v2, v3, v4, s0
	v_xor_b32_e32 v2, s15, v2
	s_delay_alu instid0(VALU_DEP_1) | instskip(NEXT) | instid1(VALU_DEP_1)
	v_subrev_nc_u32_e32 v4, s15, v2
	v_add_nc_u32_e32 v5, s35, v4
	v_cmp_lt_i32_e64 s1, s28, v4
	s_delay_alu instid0(VALU_DEP_2) | instskip(NEXT) | instid1(VALU_DEP_1)
	v_sub_nc_u32_e32 v2, 0, v5
	v_dual_ashrrev_i32 v5, 31, v5 :: v_dual_max_i32 v16, v5, v2
	s_delay_alu instid0(VALU_DEP_1) | instskip(NEXT) | instid1(VALU_DEP_1)
	v_mul_u64_e32 v[2:3], s[12:13], v[16:17]
	v_mul_lo_u32 v2, v3, s14
	s_delay_alu instid0(VALU_DEP_1) | instskip(NEXT) | instid1(VALU_DEP_1)
	v_sub_nc_u32_e32 v2, v16, v2
	v_subrev_nc_u32_e32 v3, s14, v2
	v_cmp_le_u32_e64 s0, s14, v2
	s_delay_alu instid0(VALU_DEP_1) | instskip(NEXT) | instid1(VALU_DEP_1)
	v_cndmask_b32_e64 v2, v2, v3, s0
	v_subrev_nc_u32_e32 v3, s14, v2
	v_cmp_le_u32_e64 s0, s14, v2
	s_delay_alu instid0(VALU_DEP_1) | instskip(NEXT) | instid1(VALU_DEP_1)
	v_cndmask_b32_e64 v2, v2, v3, s0
	v_xor_b32_e32 v2, v2, v5
	s_delay_alu instid0(VALU_DEP_1) | instskip(NEXT) | instid1(VALU_DEP_1)
	v_sub_nc_u32_e32 v2, v2, v5
	v_cmp_eq_u32_e64 s0, 0, v2
	s_or_b32 s0, s0, s1
	s_delay_alu instid0(SALU_CYCLE_1)
	s_and_saveexec_b32 s19, s0
	s_cbranch_execz .LBB308_273
; %bb.275:                              ;   in Loop: Header=BB308_274 Depth=1
	global_load_b32 v2, v[20:21], off
	v_dual_mov_b32 v38, 0 :: v_dual_mov_b32 v37, 0
	s_mov_b32 s1, exec_lo
	s_wait_loadcnt 0x0
	v_mad_nc_i64_i32 v[22:23], v2, s17, s[8:9]
	s_delay_alu instid0(VALU_DEP_1)
	v_add_nc_u64_e32 v[24:25], v[22:23], v[12:13]
	global_load_b64 v[26:27], v[24:25], off
	ds_load_2addr_b64 v[6:9], v34 offset1:1
	ds_load_2addr_b64 v[2:5], v34 offset0:2 offset1:3
	s_load_b32 s22, s[10:11], 0x0
	s_wait_loadcnt 0x0
	v_and_b32_e32 v15, 0xff, v26
	s_delay_alu instid0(VALU_DEP_1)
	v_cmpx_ne_u16_e32 0, v15
	s_cbranch_execz .LBB308_281
; %bb.276:                              ;   in Loop: Header=BB308_274 Depth=1
	v_bfrev_b32_e32 v37, 1
	s_mov_b32 s23, exec_lo
	v_cmpx_ne_u16_e32 0x80, v15
	s_cbranch_execz .LBB308_280
; %bb.277:                              ;   in Loop: Header=BB308_274 Depth=1
	v_and_b32_e32 v15, 0x7f, v26
	v_mov_b32_e32 v37, 0x7f800001
	s_mov_b32 s24, exec_lo
	s_delay_alu instid0(VALU_DEP_2)
	v_cmpx_ne_u32_e32 0x7f, v15
	s_cbranch_execz .LBB308_279
; %bb.278:                              ;   in Loop: Header=BB308_274 Depth=1
	v_dual_lshrrev_b32 v28, 3, v15 :: v_dual_bitop2_b32 v16, 7, v26 bitop3:0x40
	v_cmp_gt_u32_e64 s0, 8, v15
	s_delay_alu instid0(VALU_DEP_2) | instskip(NEXT) | instid1(VALU_DEP_1)
	v_clz_i32_u32_e32 v16, v16
	v_min_u32_e32 v16, 32, v16
	s_delay_alu instid0(VALU_DEP_1) | instskip(SKIP_1) | instid1(VALU_DEP_1)
	v_subrev_nc_u32_e32 v29, 28, v16
	v_sub_nc_u32_e32 v16, 29, v16
	v_dual_cndmask_b32 v15, v28, v16, s0 :: v_dual_cndmask_b32 v16, 0, v29, s0
	s_delay_alu instid0(VALU_DEP_1) | instskip(NEXT) | instid1(VALU_DEP_2)
	v_lshl_add_u32 v15, v15, 23, 0x3c000000
	v_lshlrev_b64_e32 v[28:29], v16, v[26:27]
	s_delay_alu instid0(VALU_DEP_1) | instskip(NEXT) | instid1(VALU_DEP_1)
	v_dual_lshlrev_b32 v16, 24, v26 :: v_dual_lshlrev_b32 v28, 20, v28
	v_and_b32_e32 v16, 0x80000000, v16
	s_delay_alu instid0(VALU_DEP_2) | instskip(NEXT) | instid1(VALU_DEP_1)
	v_and_b32_e32 v28, 0x700000, v28
	v_or3_b32 v37, v28, v16, v15
.LBB308_279:                            ;   in Loop: Header=BB308_274 Depth=1
	s_or_b32 exec_lo, exec_lo, s24
.LBB308_280:                            ;   in Loop: Header=BB308_274 Depth=1
	s_delay_alu instid0(SALU_CYCLE_1)
	s_or_b32 exec_lo, exec_lo, s23
.LBB308_281:                            ;   in Loop: Header=BB308_274 Depth=1
	s_delay_alu instid0(SALU_CYCLE_1) | instskip(SKIP_2) | instid1(VALU_DEP_1)
	s_or_b32 exec_lo, exec_lo, s1
	v_lshrrev_b16 v15, 8, v26
	s_mov_b32 s1, exec_lo
	v_cmpx_ne_u16_e32 0, v15
	s_cbranch_execz .LBB308_289
; %bb.282:                              ;   in Loop: Header=BB308_274 Depth=1
	v_bfrev_b32_e32 v38, 1
	s_mov_b32 s23, exec_lo
	v_cmpx_ne_u16_e32 0x80, v15
	s_cbranch_execz .LBB308_288
; %bb.283:                              ;   in Loop: Header=BB308_274 Depth=1
	v_and_b32_e32 v15, 0xffff, v15
	v_mov_b32_e32 v38, 0x7f800001
	s_mov_b32 s24, exec_lo
	s_delay_alu instid0(VALU_DEP_2) | instskip(NEXT) | instid1(VALU_DEP_1)
	v_and_b32_e32 v28, 0x7f, v15
	v_cmpx_ne_u32_e32 0x7f, v28
	s_cbranch_execz .LBB308_287
; %bb.284:                              ;   in Loop: Header=BB308_274 Depth=1
	v_dual_lshrrev_b32 v15, 3, v28 :: v_dual_bitop2_b32 v16, 7, v15 bitop3:0x40
	s_mov_b32 s25, exec_lo
	v_cmpx_gt_u32_e32 8, v28
; %bb.285:                              ;   in Loop: Header=BB308_274 Depth=1
	s_delay_alu instid0(VALU_DEP_2) | instskip(NEXT) | instid1(VALU_DEP_1)
	v_clz_i32_u32_e32 v15, v16
	v_min_u32_e32 v15, 32, v15
	s_delay_alu instid0(VALU_DEP_1) | instskip(NEXT) | instid1(VALU_DEP_1)
	v_subrev_nc_u32_e32 v28, 28, v15
	v_lshlrev_b64_e32 v[28:29], v28, v[16:17]
	s_delay_alu instid0(VALU_DEP_1)
	v_dual_sub_nc_u32 v15, 29, v15 :: v_dual_bitop2_b32 v16, 7, v28 bitop3:0x40
; %bb.286:                              ;   in Loop: Header=BB308_274 Depth=1
	s_or_b32 exec_lo, exec_lo, s25
	s_delay_alu instid0(VALU_DEP_1) | instskip(NEXT) | instid1(VALU_DEP_2)
	v_dual_lshlrev_b32 v28, 16, v26 :: v_dual_lshlrev_b32 v16, 20, v16
	v_lshl_add_u32 v15, v15, 23, 0x3c000000
	s_delay_alu instid0(VALU_DEP_2) | instskip(NEXT) | instid1(VALU_DEP_1)
	v_and_b32_e32 v28, 0x80000000, v28
	v_or3_b32 v38, v16, v28, v15
.LBB308_287:                            ;   in Loop: Header=BB308_274 Depth=1
	s_or_b32 exec_lo, exec_lo, s24
.LBB308_288:                            ;   in Loop: Header=BB308_274 Depth=1
	s_delay_alu instid0(SALU_CYCLE_1)
	s_or_b32 exec_lo, exec_lo, s23
.LBB308_289:                            ;   in Loop: Header=BB308_274 Depth=1
	s_delay_alu instid0(SALU_CYCLE_1) | instskip(SKIP_3) | instid1(VALU_DEP_2)
	s_or_b32 exec_lo, exec_lo, s1
	v_dual_lshrrev_b32 v15, 16, v26 :: v_dual_mov_b32 v39, 0
	v_mov_b32_e32 v40, 0
	s_mov_b32 s1, exec_lo
	v_and_b32_e32 v16, 0xff, v15
	s_delay_alu instid0(VALU_DEP_1)
	v_cmpx_ne_u16_e32 0, v16
	s_cbranch_execz .LBB308_297
; %bb.290:                              ;   in Loop: Header=BB308_274 Depth=1
	v_bfrev_b32_e32 v40, 1
	s_mov_b32 s23, exec_lo
	v_cmpx_ne_u16_e32 0x80, v16
	s_cbranch_execz .LBB308_296
; %bb.291:                              ;   in Loop: Header=BB308_274 Depth=1
	v_bfe_u32 v29, v26, 16, 7
	v_mov_b32_e32 v40, 0x7f800001
	s_mov_b32 s24, exec_lo
	s_delay_alu instid0(VALU_DEP_2)
	v_cmpx_ne_u32_e32 0x7f, v29
	s_cbranch_execz .LBB308_295
; %bb.292:                              ;   in Loop: Header=BB308_274 Depth=1
	v_dual_lshrrev_b32 v28, 3, v29 :: v_dual_bitop2_b32 v16, 7, v15 bitop3:0x40
	s_mov_b32 s25, exec_lo
	v_cmpx_gt_u32_e32 8, v29
; %bb.293:                              ;   in Loop: Header=BB308_274 Depth=1
	s_delay_alu instid0(VALU_DEP_2) | instskip(NEXT) | instid1(VALU_DEP_1)
	v_clz_i32_u32_e32 v28, v16
	v_min_u32_e32 v28, 32, v28
	s_delay_alu instid0(VALU_DEP_1) | instskip(SKIP_1) | instid1(VALU_DEP_2)
	v_subrev_nc_u32_e32 v29, 28, v28
	v_sub_nc_u32_e32 v28, 29, v28
	v_lshlrev_b64_e32 v[40:41], v29, v[16:17]
	s_delay_alu instid0(VALU_DEP_1)
	v_and_b32_e32 v16, 7, v40
; %bb.294:                              ;   in Loop: Header=BB308_274 Depth=1
	s_or_b32 exec_lo, exec_lo, s25
	s_delay_alu instid0(VALU_DEP_1) | instskip(SKIP_1) | instid1(VALU_DEP_2)
	v_dual_lshlrev_b32 v15, 24, v15 :: v_dual_lshlrev_b32 v16, 20, v16
	v_lshl_add_u32 v28, v28, 23, 0x3c000000
	v_and_b32_e32 v15, 0x80000000, v15
	s_delay_alu instid0(VALU_DEP_1)
	v_or3_b32 v40, v16, v15, v28
.LBB308_295:                            ;   in Loop: Header=BB308_274 Depth=1
	s_or_b32 exec_lo, exec_lo, s24
.LBB308_296:                            ;   in Loop: Header=BB308_274 Depth=1
	s_delay_alu instid0(SALU_CYCLE_1)
	s_or_b32 exec_lo, exec_lo, s23
.LBB308_297:                            ;   in Loop: Header=BB308_274 Depth=1
	s_delay_alu instid0(SALU_CYCLE_1) | instskip(NEXT) | instid1(SALU_CYCLE_1)
	s_or_b32 exec_lo, exec_lo, s1
	s_mov_b32 s1, exec_lo
	v_cmpx_lt_u32_e32 0xffffff, v26
	s_cbranch_execz .LBB308_305
; %bb.298:                              ;   in Loop: Header=BB308_274 Depth=1
	v_lshrrev_b32_e32 v15, 24, v26
	v_bfrev_b32_e32 v39, 1
	s_mov_b32 s23, exec_lo
	s_delay_alu instid0(VALU_DEP_2)
	v_cmpx_ne_u32_e32 0x80, v15
	s_cbranch_execz .LBB308_304
; %bb.299:                              ;   in Loop: Header=BB308_274 Depth=1
	v_bfe_u32 v29, v26, 24, 7
	v_mov_b32_e32 v39, 0x7f800001
	s_mov_b32 s24, exec_lo
	s_delay_alu instid0(VALU_DEP_2)
	v_cmpx_ne_u32_e32 0x7f, v29
	s_cbranch_execz .LBB308_303
; %bb.300:                              ;   in Loop: Header=BB308_274 Depth=1
	v_dual_lshrrev_b32 v28, 3, v29 :: v_dual_bitop2_b32 v16, 7, v15 bitop3:0x40
	s_mov_b32 s25, exec_lo
	v_cmpx_gt_u32_e32 8, v29
; %bb.301:                              ;   in Loop: Header=BB308_274 Depth=1
	s_delay_alu instid0(VALU_DEP_2) | instskip(NEXT) | instid1(VALU_DEP_1)
	v_clz_i32_u32_e32 v28, v16
	v_min_u32_e32 v28, 32, v28
	s_delay_alu instid0(VALU_DEP_1) | instskip(NEXT) | instid1(VALU_DEP_1)
	v_subrev_nc_u32_e32 v29, 28, v28
	v_lshlrev_b64_e32 v[42:43], v29, v[16:17]
	s_delay_alu instid0(VALU_DEP_1)
	v_dual_sub_nc_u32 v28, 29, v28 :: v_dual_bitop2_b32 v16, 7, v42 bitop3:0x40
; %bb.302:                              ;   in Loop: Header=BB308_274 Depth=1
	s_or_b32 exec_lo, exec_lo, s25
	s_delay_alu instid0(VALU_DEP_1) | instskip(NEXT) | instid1(VALU_DEP_2)
	v_dual_lshlrev_b32 v15, 24, v15 :: v_dual_lshlrev_b32 v16, 20, v16
	v_lshl_add_u32 v28, v28, 23, 0x3c000000
	s_delay_alu instid0(VALU_DEP_2) | instskip(NEXT) | instid1(VALU_DEP_1)
	v_and_b32_e32 v15, 0x80000000, v15
	v_or3_b32 v39, v16, v15, v28
.LBB308_303:                            ;   in Loop: Header=BB308_274 Depth=1
	s_or_b32 exec_lo, exec_lo, s24
.LBB308_304:                            ;   in Loop: Header=BB308_274 Depth=1
	s_delay_alu instid0(SALU_CYCLE_1)
	s_or_b32 exec_lo, exec_lo, s23
.LBB308_305:                            ;   in Loop: Header=BB308_274 Depth=1
	s_delay_alu instid0(SALU_CYCLE_1) | instskip(SKIP_4) | instid1(VALU_DEP_3)
	s_or_b32 exec_lo, exec_lo, s1
	v_and_b32_e32 v28, 0xff, v27
	v_dual_mov_b32 v16, v27 :: v_dual_mov_b32 v15, 0
	v_mov_b32_e32 v36, 0
	s_mov_b32 s1, exec_lo
	v_cmpx_ne_u16_e32 0, v28
	s_cbranch_execz .LBB308_311
; %bb.306:                              ;   in Loop: Header=BB308_274 Depth=1
	v_bfrev_b32_e32 v36, 1
	s_mov_b32 s23, exec_lo
	v_cmpx_ne_u16_e32 0x80, v28
	s_cbranch_execz .LBB308_310
; %bb.307:                              ;   in Loop: Header=BB308_274 Depth=1
	v_and_b32_e32 v28, 0x7f, v27
	v_mov_b32_e32 v36, 0x7f800001
	s_mov_b32 s24, exec_lo
	s_delay_alu instid0(VALU_DEP_2)
	v_cmpx_ne_u32_e32 0x7f, v28
	s_cbranch_execz .LBB308_309
; %bb.308:                              ;   in Loop: Header=BB308_274 Depth=1
	v_dual_lshrrev_b32 v36, 3, v28 :: v_dual_bitop2_b32 v29, 7, v27 bitop3:0x40
	v_cmp_gt_u32_e64 s0, 8, v28
	s_delay_alu instid0(VALU_DEP_2) | instskip(NEXT) | instid1(VALU_DEP_1)
	v_clz_i32_u32_e32 v29, v29
	v_min_u32_e32 v29, 32, v29
	s_delay_alu instid0(VALU_DEP_1) | instskip(SKIP_1) | instid1(VALU_DEP_2)
	v_subrev_nc_u32_e32 v41, 28, v29
	v_sub_nc_u32_e32 v29, 29, v29
	v_cndmask_b32_e64 v28, 0, v41, s0
	s_delay_alu instid0(VALU_DEP_2) | instskip(NEXT) | instid1(VALU_DEP_2)
	v_cndmask_b32_e64 v36, v36, v29, s0
	v_lshlrev_b64_e32 v[28:29], v28, v[16:17]
	v_lshlrev_b32_e32 v29, 24, v16
	s_delay_alu instid0(VALU_DEP_3) | instskip(NEXT) | instid1(VALU_DEP_2)
	v_lshl_add_u32 v36, v36, 23, 0x3c000000
	v_and_b32_e32 v29, 0x80000000, v29
	s_delay_alu instid0(VALU_DEP_4) | instskip(NEXT) | instid1(VALU_DEP_1)
	v_lshlrev_b32_e32 v28, 20, v28
	v_and_b32_e32 v28, 0x700000, v28
	s_delay_alu instid0(VALU_DEP_1)
	v_or3_b32 v36, v28, v29, v36
.LBB308_309:                            ;   in Loop: Header=BB308_274 Depth=1
	s_or_b32 exec_lo, exec_lo, s24
.LBB308_310:                            ;   in Loop: Header=BB308_274 Depth=1
	s_delay_alu instid0(SALU_CYCLE_1)
	s_or_b32 exec_lo, exec_lo, s23
.LBB308_311:                            ;   in Loop: Header=BB308_274 Depth=1
	s_delay_alu instid0(SALU_CYCLE_1) | instskip(SKIP_2) | instid1(VALU_DEP_1)
	s_or_b32 exec_lo, exec_lo, s1
	v_lshrrev_b16 v28, 8, v16
	s_mov_b32 s1, exec_lo
	v_cmpx_ne_u16_e32 0, v28
	s_cbranch_execz .LBB308_319
; %bb.312:                              ;   in Loop: Header=BB308_274 Depth=1
	v_bfrev_b32_e32 v15, 1
	s_mov_b32 s23, exec_lo
	v_cmpx_ne_u16_e32 0x80, v28
	s_cbranch_execz .LBB308_318
; %bb.313:                              ;   in Loop: Header=BB308_274 Depth=1
	v_and_b32_e32 v28, 0xffff, v28
	v_mov_b32_e32 v15, 0x7f800001
	s_mov_b32 s24, exec_lo
	s_delay_alu instid0(VALU_DEP_2) | instskip(NEXT) | instid1(VALU_DEP_1)
	v_and_b32_e32 v41, 0x7f, v28
	v_cmpx_ne_u32_e32 0x7f, v41
	s_cbranch_execz .LBB308_317
; %bb.314:                              ;   in Loop: Header=BB308_274 Depth=1
	v_dual_mov_b32 v29, v17 :: v_dual_bitop2_b32 v28, 7, v28 bitop3:0x40
	v_lshrrev_b32_e32 v15, 3, v41
	s_mov_b32 s25, exec_lo
	v_cmpx_gt_u32_e32 8, v41
; %bb.315:                              ;   in Loop: Header=BB308_274 Depth=1
	s_delay_alu instid0(VALU_DEP_3) | instskip(NEXT) | instid1(VALU_DEP_1)
	v_clz_i32_u32_e32 v15, v28
	v_min_u32_e32 v15, 32, v15
	s_delay_alu instid0(VALU_DEP_1) | instskip(NEXT) | instid1(VALU_DEP_1)
	v_subrev_nc_u32_e32 v41, 28, v15
	v_lshlrev_b64_e32 v[28:29], v41, v[28:29]
	s_delay_alu instid0(VALU_DEP_1)
	v_dual_sub_nc_u32 v15, 29, v15 :: v_dual_bitop2_b32 v28, 7, v28 bitop3:0x40
; %bb.316:                              ;   in Loop: Header=BB308_274 Depth=1
	s_or_b32 exec_lo, exec_lo, s25
	v_lshlrev_b32_e32 v16, 16, v16
	s_delay_alu instid0(VALU_DEP_2) | instskip(NEXT) | instid1(VALU_DEP_3)
	v_lshlrev_b32_e32 v28, 20, v28
	v_lshl_add_u32 v15, v15, 23, 0x3c000000
	s_delay_alu instid0(VALU_DEP_3) | instskip(NEXT) | instid1(VALU_DEP_1)
	v_and_b32_e32 v16, 0x80000000, v16
	v_or3_b32 v15, v28, v16, v15
.LBB308_317:                            ;   in Loop: Header=BB308_274 Depth=1
	s_or_b32 exec_lo, exec_lo, s24
.LBB308_318:                            ;   in Loop: Header=BB308_274 Depth=1
	s_delay_alu instid0(SALU_CYCLE_1)
	s_or_b32 exec_lo, exec_lo, s23
.LBB308_319:                            ;   in Loop: Header=BB308_274 Depth=1
	s_delay_alu instid0(SALU_CYCLE_1) | instskip(SKIP_3) | instid1(VALU_DEP_2)
	s_or_b32 exec_lo, exec_lo, s1
	v_dual_mov_b32 v28, 0 :: v_dual_lshrrev_b32 v41, 16, v27
	v_mov_b32_e32 v29, 0
	s_mov_b32 s1, exec_lo
	v_and_b32_e32 v16, 0xff, v41
	s_delay_alu instid0(VALU_DEP_1)
	v_cmpx_ne_u16_e32 0, v16
	s_cbranch_execz .LBB308_327
; %bb.320:                              ;   in Loop: Header=BB308_274 Depth=1
	v_bfrev_b32_e32 v29, 1
	s_mov_b32 s23, exec_lo
	v_cmpx_ne_u16_e32 0x80, v16
	s_cbranch_execz .LBB308_326
; %bb.321:                              ;   in Loop: Header=BB308_274 Depth=1
	v_bfe_u32 v42, v27, 16, 7
	v_mov_b32_e32 v29, 0x7f800001
	s_mov_b32 s24, exec_lo
	s_delay_alu instid0(VALU_DEP_2)
	v_cmpx_ne_u32_e32 0x7f, v42
	s_cbranch_execz .LBB308_325
; %bb.322:                              ;   in Loop: Header=BB308_274 Depth=1
	v_dual_lshrrev_b32 v29, 3, v42 :: v_dual_bitop2_b32 v16, 7, v41 bitop3:0x40
	s_mov_b32 s25, exec_lo
	v_cmpx_gt_u32_e32 8, v42
; %bb.323:                              ;   in Loop: Header=BB308_274 Depth=1
	s_delay_alu instid0(VALU_DEP_2) | instskip(NEXT) | instid1(VALU_DEP_1)
	v_clz_i32_u32_e32 v29, v16
	v_min_u32_e32 v29, 32, v29
	s_delay_alu instid0(VALU_DEP_1) | instskip(NEXT) | instid1(VALU_DEP_1)
	v_subrev_nc_u32_e32 v42, 28, v29
	v_lshlrev_b64_e32 v[42:43], v42, v[16:17]
	s_delay_alu instid0(VALU_DEP_1)
	v_dual_sub_nc_u32 v29, 29, v29 :: v_dual_bitop2_b32 v16, 7, v42 bitop3:0x40
; %bb.324:                              ;   in Loop: Header=BB308_274 Depth=1
	s_or_b32 exec_lo, exec_lo, s25
	s_delay_alu instid0(VALU_DEP_1) | instskip(NEXT) | instid1(VALU_DEP_2)
	v_dual_lshlrev_b32 v41, 24, v41 :: v_dual_lshlrev_b32 v16, 20, v16
	v_lshl_add_u32 v29, v29, 23, 0x3c000000
	s_delay_alu instid0(VALU_DEP_2) | instskip(NEXT) | instid1(VALU_DEP_1)
	v_and_b32_e32 v41, 0x80000000, v41
	v_or3_b32 v29, v16, v41, v29
.LBB308_325:                            ;   in Loop: Header=BB308_274 Depth=1
	s_or_b32 exec_lo, exec_lo, s24
.LBB308_326:                            ;   in Loop: Header=BB308_274 Depth=1
	s_delay_alu instid0(SALU_CYCLE_1)
	s_or_b32 exec_lo, exec_lo, s23
.LBB308_327:                            ;   in Loop: Header=BB308_274 Depth=1
	s_delay_alu instid0(SALU_CYCLE_1) | instskip(NEXT) | instid1(SALU_CYCLE_1)
	s_or_b32 exec_lo, exec_lo, s1
	s_mov_b32 s1, exec_lo
	v_cmpx_lt_u64_e64 s[2:3], v[26:27]
	s_cbranch_execz .LBB308_335
; %bb.328:                              ;   in Loop: Header=BB308_274 Depth=1
	v_lshrrev_b32_e32 v26, 24, v27
	v_bfrev_b32_e32 v28, 1
	s_mov_b32 s23, exec_lo
	s_delay_alu instid0(VALU_DEP_2)
	v_cmpx_ne_u32_e32 0x80, v26
	s_cbranch_execz .LBB308_334
; %bb.329:                              ;   in Loop: Header=BB308_274 Depth=1
	v_bfe_u32 v41, v27, 24, 7
	v_mov_b32_e32 v28, 0x7f800001
	s_mov_b32 s24, exec_lo
	s_delay_alu instid0(VALU_DEP_2)
	v_cmpx_ne_u32_e32 0x7f, v41
	s_cbranch_execz .LBB308_333
; %bb.330:                              ;   in Loop: Header=BB308_274 Depth=1
	v_dual_lshrrev_b32 v27, 3, v41 :: v_dual_bitop2_b32 v16, 7, v26 bitop3:0x40
	s_mov_b32 s25, exec_lo
	v_cmpx_gt_u32_e32 8, v41
; %bb.331:                              ;   in Loop: Header=BB308_274 Depth=1
	s_delay_alu instid0(VALU_DEP_2) | instskip(NEXT) | instid1(VALU_DEP_1)
	v_clz_i32_u32_e32 v27, v16
	v_min_u32_e32 v27, 32, v27
	s_delay_alu instid0(VALU_DEP_1) | instskip(NEXT) | instid1(VALU_DEP_1)
	v_subrev_nc_u32_e32 v28, 28, v27
	v_lshlrev_b64_e32 v[42:43], v28, v[16:17]
	s_delay_alu instid0(VALU_DEP_1)
	v_dual_sub_nc_u32 v27, 29, v27 :: v_dual_bitop2_b32 v16, 7, v42 bitop3:0x40
; %bb.332:                              ;   in Loop: Header=BB308_274 Depth=1
	s_or_b32 exec_lo, exec_lo, s25
	s_delay_alu instid0(VALU_DEP_1) | instskip(NEXT) | instid1(VALU_DEP_2)
	v_dual_lshlrev_b32 v26, 24, v26 :: v_dual_lshlrev_b32 v16, 20, v16
	v_lshl_add_u32 v27, v27, 23, 0x3c000000
	s_delay_alu instid0(VALU_DEP_2) | instskip(NEXT) | instid1(VALU_DEP_1)
	v_and_b32_e32 v26, 0x80000000, v26
	v_or3_b32 v28, v16, v26, v27
.LBB308_333:                            ;   in Loop: Header=BB308_274 Depth=1
	s_or_b32 exec_lo, exec_lo, s24
.LBB308_334:                            ;   in Loop: Header=BB308_274 Depth=1
	s_delay_alu instid0(SALU_CYCLE_1)
	s_or_b32 exec_lo, exec_lo, s23
.LBB308_335:                            ;   in Loop: Header=BB308_274 Depth=1
	s_delay_alu instid0(SALU_CYCLE_1)
	s_or_b32 exec_lo, exec_lo, s1
	v_cmp_eq_u32_e64 s0, s29, v35
	s_wait_kmcnt 0x0
	v_fma_mixlo_bf16 v15, s22, v15, 0
	v_fma_mixlo_bf16 v36, s22, v36, 0
	;; [unrolled: 1-line block ×8, first 2 shown]
	s_and_saveexec_b32 s23, s0
	s_cbranch_execz .LBB308_337
; %bb.336:                              ;   in Loop: Header=BB308_274 Depth=1
	v_dual_add_nc_u32 v16, 1, v14 :: v_dual_add_nc_u32 v26, 2, v14
	v_cmp_gt_i32_e64 s1, s34, v14
	s_delay_alu instid0(VALU_DEP_1) | instskip(NEXT) | instid1(VALU_DEP_3)
	v_cndmask_b32_e64 v42, 0, v42, s1
	v_cmp_gt_i32_e64 s1, s34, v16
	s_delay_alu instid0(VALU_DEP_1) | instskip(SKIP_2) | instid1(VALU_DEP_2)
	v_cndmask_b32_e64 v41, 0, v41, s1
	v_cmp_gt_i32_e64 s1, s34, v26
	v_dual_add_nc_u32 v27, 3, v14 :: v_dual_add_nc_u32 v26, 5, v14
	v_cndmask_b32_e64 v40, 0, v40, s1
	s_delay_alu instid0(VALU_DEP_2) | instskip(SKIP_1) | instid1(VALU_DEP_2)
	v_cmp_gt_i32_e64 s1, s34, v27
	v_dual_add_nc_u32 v16, 4, v14 :: v_dual_add_nc_u32 v27, 6, v14
	v_cndmask_b32_e64 v39, 0, v39, s1
	s_delay_alu instid0(VALU_DEP_2) | instskip(NEXT) | instid1(VALU_DEP_1)
	v_cmp_gt_i32_e64 s1, s34, v16
	v_dual_add_nc_u32 v16, 7, v14 :: v_dual_cndmask_b32 v36, 0, v36, s1
	v_cmp_gt_i32_e64 s1, s34, v26
	s_delay_alu instid0(VALU_DEP_1) | instskip(SKIP_1) | instid1(VALU_DEP_1)
	v_cndmask_b32_e64 v15, 0, v15, s1
	v_cmp_gt_i32_e64 s1, s34, v27
	v_cndmask_b32_e64 v37, 0, v37, s1
	v_cmp_gt_i32_e64 s1, s34, v16
	s_delay_alu instid0(VALU_DEP_1)
	v_cndmask_b32_e64 v38, 0, v38, s1
.LBB308_337:                            ;   in Loop: Header=BB308_274 Depth=1
	s_or_b32 exec_lo, exec_lo, s23
	global_load_b64 v[26:27], v[24:25], off offset:256
	v_dual_mov_b32 v47, 0 :: v_dual_mov_b32 v48, 0
	s_mov_b32 s23, exec_lo
	s_wait_loadcnt 0x0
	v_and_b32_e32 v16, 0xff, v26
	s_delay_alu instid0(VALU_DEP_1)
	v_cmpx_ne_u16_e32 0, v16
	s_cbranch_execz .LBB308_343
; %bb.338:                              ;   in Loop: Header=BB308_274 Depth=1
	v_bfrev_b32_e32 v48, 1
	s_mov_b32 s24, exec_lo
	v_cmpx_ne_u16_e32 0x80, v16
	s_cbranch_execz .LBB308_342
; %bb.339:                              ;   in Loop: Header=BB308_274 Depth=1
	v_and_b32_e32 v16, 0x7f, v26
	v_mov_b32_e32 v48, 0x7f800001
	s_mov_b32 s25, exec_lo
	s_delay_alu instid0(VALU_DEP_2)
	v_cmpx_ne_u32_e32 0x7f, v16
	s_cbranch_execz .LBB308_341
; %bb.340:                              ;   in Loop: Header=BB308_274 Depth=1
	v_dual_lshrrev_b32 v29, 3, v16 :: v_dual_bitop2_b32 v28, 7, v26 bitop3:0x40
	v_cmp_gt_u32_e64 s1, 8, v16
	s_delay_alu instid0(VALU_DEP_2) | instskip(NEXT) | instid1(VALU_DEP_1)
	v_clz_i32_u32_e32 v28, v28
	v_min_u32_e32 v28, 32, v28
	s_delay_alu instid0(VALU_DEP_1) | instskip(SKIP_1) | instid1(VALU_DEP_1)
	v_subrev_nc_u32_e32 v43, 28, v28
	v_sub_nc_u32_e32 v28, 29, v28
	v_dual_cndmask_b32 v16, v29, v28, s1 :: v_dual_cndmask_b32 v28, 0, v43, s1
	s_delay_alu instid0(VALU_DEP_1) | instskip(NEXT) | instid1(VALU_DEP_2)
	v_lshl_add_u32 v16, v16, 23, 0x3c000000
	v_lshlrev_b64_e32 v[28:29], v28, v[26:27]
	v_lshlrev_b32_e32 v29, 24, v26
	s_delay_alu instid0(VALU_DEP_1) | instskip(NEXT) | instid1(VALU_DEP_3)
	v_and_b32_e32 v29, 0x80000000, v29
	v_lshlrev_b32_e32 v28, 20, v28
	s_delay_alu instid0(VALU_DEP_1) | instskip(NEXT) | instid1(VALU_DEP_1)
	v_and_b32_e32 v28, 0x700000, v28
	v_or3_b32 v48, v28, v29, v16
.LBB308_341:                            ;   in Loop: Header=BB308_274 Depth=1
	s_or_b32 exec_lo, exec_lo, s25
.LBB308_342:                            ;   in Loop: Header=BB308_274 Depth=1
	s_delay_alu instid0(SALU_CYCLE_1)
	s_or_b32 exec_lo, exec_lo, s24
.LBB308_343:                            ;   in Loop: Header=BB308_274 Depth=1
	s_delay_alu instid0(SALU_CYCLE_1) | instskip(SKIP_2) | instid1(VALU_DEP_1)
	s_or_b32 exec_lo, exec_lo, s23
	v_lshrrev_b16 v16, 8, v26
	s_mov_b32 s23, exec_lo
	v_cmpx_ne_u16_e32 0, v16
	s_cbranch_execz .LBB308_351
; %bb.344:                              ;   in Loop: Header=BB308_274 Depth=1
	v_bfrev_b32_e32 v47, 1
	s_mov_b32 s24, exec_lo
	v_cmpx_ne_u16_e32 0x80, v16
	s_cbranch_execz .LBB308_350
; %bb.345:                              ;   in Loop: Header=BB308_274 Depth=1
	v_and_b32_e32 v16, 0xffff, v16
	v_mov_b32_e32 v47, 0x7f800001
	s_mov_b32 s25, exec_lo
	s_delay_alu instid0(VALU_DEP_2) | instskip(NEXT) | instid1(VALU_DEP_1)
	v_and_b32_e32 v29, 0x7f, v16
	v_cmpx_ne_u32_e32 0x7f, v29
	s_cbranch_execz .LBB308_349
; %bb.346:                              ;   in Loop: Header=BB308_274 Depth=1
	v_dual_lshrrev_b32 v28, 3, v29 :: v_dual_bitop2_b32 v16, 7, v16 bitop3:0x40
	s_mov_b32 s36, exec_lo
	v_cmpx_gt_u32_e32 8, v29
; %bb.347:                              ;   in Loop: Header=BB308_274 Depth=1
	s_delay_alu instid0(VALU_DEP_2) | instskip(NEXT) | instid1(VALU_DEP_1)
	v_clz_i32_u32_e32 v28, v16
	v_min_u32_e32 v28, 32, v28
	s_delay_alu instid0(VALU_DEP_1) | instskip(SKIP_1) | instid1(VALU_DEP_2)
	v_subrev_nc_u32_e32 v29, 28, v28
	v_sub_nc_u32_e32 v28, 29, v28
	v_lshlrev_b64_e32 v[44:45], v29, v[16:17]
	s_delay_alu instid0(VALU_DEP_1)
	v_and_b32_e32 v16, 7, v44
; %bb.348:                              ;   in Loop: Header=BB308_274 Depth=1
	s_or_b32 exec_lo, exec_lo, s36
	s_delay_alu instid0(VALU_DEP_1) | instskip(SKIP_1) | instid1(VALU_DEP_2)
	v_dual_lshlrev_b32 v29, 16, v26 :: v_dual_lshlrev_b32 v16, 20, v16
	v_lshl_add_u32 v28, v28, 23, 0x3c000000
	v_and_b32_e32 v29, 0x80000000, v29
	s_delay_alu instid0(VALU_DEP_1)
	v_or3_b32 v47, v16, v29, v28
.LBB308_349:                            ;   in Loop: Header=BB308_274 Depth=1
	s_or_b32 exec_lo, exec_lo, s25
.LBB308_350:                            ;   in Loop: Header=BB308_274 Depth=1
	s_delay_alu instid0(SALU_CYCLE_1)
	s_or_b32 exec_lo, exec_lo, s24
.LBB308_351:                            ;   in Loop: Header=BB308_274 Depth=1
	s_delay_alu instid0(SALU_CYCLE_1) | instskip(SKIP_3) | instid1(VALU_DEP_2)
	s_or_b32 exec_lo, exec_lo, s23
	v_dual_mov_b32 v45, 0 :: v_dual_lshrrev_b32 v28, 16, v26
	v_mov_b32_e32 v46, 0
	s_mov_b32 s23, exec_lo
	v_and_b32_e32 v16, 0xff, v28
	s_delay_alu instid0(VALU_DEP_1)
	v_cmpx_ne_u16_e32 0, v16
	s_cbranch_execz .LBB308_359
; %bb.352:                              ;   in Loop: Header=BB308_274 Depth=1
	v_bfrev_b32_e32 v46, 1
	s_mov_b32 s24, exec_lo
	v_cmpx_ne_u16_e32 0x80, v16
	s_cbranch_execz .LBB308_358
; %bb.353:                              ;   in Loop: Header=BB308_274 Depth=1
	v_bfe_u32 v43, v26, 16, 7
	v_mov_b32_e32 v46, 0x7f800001
	s_mov_b32 s25, exec_lo
	s_delay_alu instid0(VALU_DEP_2)
	v_cmpx_ne_u32_e32 0x7f, v43
	s_cbranch_execz .LBB308_357
; %bb.354:                              ;   in Loop: Header=BB308_274 Depth=1
	v_dual_lshrrev_b32 v29, 3, v43 :: v_dual_bitop2_b32 v16, 7, v28 bitop3:0x40
	s_mov_b32 s36, exec_lo
	v_cmpx_gt_u32_e32 8, v43
; %bb.355:                              ;   in Loop: Header=BB308_274 Depth=1
	s_delay_alu instid0(VALU_DEP_2) | instskip(NEXT) | instid1(VALU_DEP_1)
	v_clz_i32_u32_e32 v29, v16
	v_min_u32_e32 v29, 32, v29
	s_delay_alu instid0(VALU_DEP_1) | instskip(NEXT) | instid1(VALU_DEP_1)
	v_subrev_nc_u32_e32 v43, 28, v29
	v_lshlrev_b64_e32 v[50:51], v43, v[16:17]
	s_delay_alu instid0(VALU_DEP_1)
	v_dual_sub_nc_u32 v29, 29, v29 :: v_dual_bitop2_b32 v16, 7, v50 bitop3:0x40
; %bb.356:                              ;   in Loop: Header=BB308_274 Depth=1
	s_or_b32 exec_lo, exec_lo, s36
	v_lshlrev_b32_e32 v28, 24, v28
	s_delay_alu instid0(VALU_DEP_2) | instskip(NEXT) | instid1(VALU_DEP_3)
	v_lshlrev_b32_e32 v16, 20, v16
	v_lshl_add_u32 v29, v29, 23, 0x3c000000
	s_delay_alu instid0(VALU_DEP_3) | instskip(NEXT) | instid1(VALU_DEP_1)
	v_and_b32_e32 v28, 0x80000000, v28
	v_or3_b32 v46, v16, v28, v29
.LBB308_357:                            ;   in Loop: Header=BB308_274 Depth=1
	s_or_b32 exec_lo, exec_lo, s25
.LBB308_358:                            ;   in Loop: Header=BB308_274 Depth=1
	s_delay_alu instid0(SALU_CYCLE_1)
	s_or_b32 exec_lo, exec_lo, s24
.LBB308_359:                            ;   in Loop: Header=BB308_274 Depth=1
	s_delay_alu instid0(SALU_CYCLE_1) | instskip(NEXT) | instid1(SALU_CYCLE_1)
	s_or_b32 exec_lo, exec_lo, s23
	s_mov_b32 s23, exec_lo
	v_cmpx_lt_u32_e32 0xffffff, v26
	s_cbranch_execz .LBB308_367
; %bb.360:                              ;   in Loop: Header=BB308_274 Depth=1
	v_lshrrev_b32_e32 v28, 24, v26
	v_bfrev_b32_e32 v45, 1
	s_mov_b32 s24, exec_lo
	s_delay_alu instid0(VALU_DEP_2)
	v_cmpx_ne_u32_e32 0x80, v28
	s_cbranch_execz .LBB308_366
; %bb.361:                              ;   in Loop: Header=BB308_274 Depth=1
	v_bfe_u32 v43, v26, 24, 7
	v_mov_b32_e32 v45, 0x7f800001
	s_mov_b32 s25, exec_lo
	s_delay_alu instid0(VALU_DEP_2)
	v_cmpx_ne_u32_e32 0x7f, v43
	s_cbranch_execz .LBB308_365
; %bb.362:                              ;   in Loop: Header=BB308_274 Depth=1
	v_dual_lshrrev_b32 v29, 3, v43 :: v_dual_bitop2_b32 v16, 7, v28 bitop3:0x40
	s_mov_b32 s36, exec_lo
	v_cmpx_gt_u32_e32 8, v43
; %bb.363:                              ;   in Loop: Header=BB308_274 Depth=1
	s_delay_alu instid0(VALU_DEP_2) | instskip(NEXT) | instid1(VALU_DEP_1)
	v_clz_i32_u32_e32 v29, v16
	v_min_u32_e32 v29, 32, v29
	s_delay_alu instid0(VALU_DEP_1) | instskip(NEXT) | instid1(VALU_DEP_1)
	v_subrev_nc_u32_e32 v43, 28, v29
	v_lshlrev_b64_e32 v[44:45], v43, v[16:17]
	s_delay_alu instid0(VALU_DEP_1)
	v_dual_sub_nc_u32 v29, 29, v29 :: v_dual_bitop2_b32 v16, 7, v44 bitop3:0x40
; %bb.364:                              ;   in Loop: Header=BB308_274 Depth=1
	s_or_b32 exec_lo, exec_lo, s36
	v_lshlrev_b32_e32 v28, 24, v28
	s_delay_alu instid0(VALU_DEP_2) | instskip(NEXT) | instid1(VALU_DEP_3)
	v_lshlrev_b32_e32 v16, 20, v16
	v_lshl_add_u32 v29, v29, 23, 0x3c000000
	s_delay_alu instid0(VALU_DEP_3) | instskip(NEXT) | instid1(VALU_DEP_1)
	v_and_b32_e32 v28, 0x80000000, v28
	v_or3_b32 v45, v16, v28, v29
.LBB308_365:                            ;   in Loop: Header=BB308_274 Depth=1
	s_or_b32 exec_lo, exec_lo, s25
.LBB308_366:                            ;   in Loop: Header=BB308_274 Depth=1
	s_delay_alu instid0(SALU_CYCLE_1)
	s_or_b32 exec_lo, exec_lo, s24
.LBB308_367:                            ;   in Loop: Header=BB308_274 Depth=1
	s_delay_alu instid0(SALU_CYCLE_1) | instskip(SKIP_4) | instid1(VALU_DEP_3)
	s_or_b32 exec_lo, exec_lo, s23
	v_and_b32_e32 v29, 0xff, v27
	v_dual_mov_b32 v16, v27 :: v_dual_mov_b32 v28, 0
	v_mov_b32_e32 v44, 0
	s_mov_b32 s23, exec_lo
	v_cmpx_ne_u16_e32 0, v29
	s_cbranch_execz .LBB308_373
; %bb.368:                              ;   in Loop: Header=BB308_274 Depth=1
	v_bfrev_b32_e32 v44, 1
	s_mov_b32 s24, exec_lo
	v_cmpx_ne_u16_e32 0x80, v29
	s_cbranch_execz .LBB308_372
; %bb.369:                              ;   in Loop: Header=BB308_274 Depth=1
	v_and_b32_e32 v29, 0x7f, v27
	v_mov_b32_e32 v44, 0x7f800001
	s_mov_b32 s25, exec_lo
	s_delay_alu instid0(VALU_DEP_2)
	v_cmpx_ne_u32_e32 0x7f, v29
	s_cbranch_execz .LBB308_371
; %bb.370:                              ;   in Loop: Header=BB308_274 Depth=1
	v_dual_lshrrev_b32 v44, 3, v29 :: v_dual_bitop2_b32 v43, 7, v27 bitop3:0x40
	v_cmp_gt_u32_e64 s1, 8, v29
	s_delay_alu instid0(VALU_DEP_2) | instskip(NEXT) | instid1(VALU_DEP_1)
	v_clz_i32_u32_e32 v43, v43
	v_min_u32_e32 v43, 32, v43
	s_delay_alu instid0(VALU_DEP_1) | instskip(SKIP_1) | instid1(VALU_DEP_1)
	v_subrev_nc_u32_e32 v49, 28, v43
	v_sub_nc_u32_e32 v43, 29, v43
	v_dual_cndmask_b32 v29, v44, v43, s1 :: v_dual_cndmask_b32 v43, 0, v49, s1
	s_delay_alu instid0(VALU_DEP_1) | instskip(NEXT) | instid1(VALU_DEP_2)
	v_lshl_add_u32 v29, v29, 23, 0x3c000000
	v_lshlrev_b64_e32 v[50:51], v43, v[16:17]
	v_lshlrev_b32_e32 v43, 24, v16
	s_delay_alu instid0(VALU_DEP_1) | instskip(NEXT) | instid1(VALU_DEP_3)
	v_and_b32_e32 v43, 0x80000000, v43
	v_lshlrev_b32_e32 v44, 20, v50
	s_delay_alu instid0(VALU_DEP_1) | instskip(NEXT) | instid1(VALU_DEP_1)
	v_and_b32_e32 v44, 0x700000, v44
	v_or3_b32 v44, v44, v43, v29
.LBB308_371:                            ;   in Loop: Header=BB308_274 Depth=1
	s_or_b32 exec_lo, exec_lo, s25
.LBB308_372:                            ;   in Loop: Header=BB308_274 Depth=1
	s_delay_alu instid0(SALU_CYCLE_1)
	s_or_b32 exec_lo, exec_lo, s24
.LBB308_373:                            ;   in Loop: Header=BB308_274 Depth=1
	s_delay_alu instid0(SALU_CYCLE_1) | instskip(SKIP_2) | instid1(VALU_DEP_1)
	s_or_b32 exec_lo, exec_lo, s23
	v_lshrrev_b16 v29, 8, v16
	s_mov_b32 s23, exec_lo
	v_cmpx_ne_u16_e32 0, v29
	s_cbranch_execz .LBB308_381
; %bb.374:                              ;   in Loop: Header=BB308_274 Depth=1
	v_bfrev_b32_e32 v28, 1
	s_mov_b32 s24, exec_lo
	v_cmpx_ne_u16_e32 0x80, v29
	s_cbranch_execz .LBB308_380
; %bb.375:                              ;   in Loop: Header=BB308_274 Depth=1
	v_and_b32_e32 v29, 0xffff, v29
	v_mov_b32_e32 v28, 0x7f800001
	s_mov_b32 s25, exec_lo
	s_delay_alu instid0(VALU_DEP_2) | instskip(NEXT) | instid1(VALU_DEP_1)
	v_and_b32_e32 v49, 0x7f, v29
	v_cmpx_ne_u32_e32 0x7f, v49
	s_cbranch_execz .LBB308_379
; %bb.376:                              ;   in Loop: Header=BB308_274 Depth=1
	v_dual_mov_b32 v29, v17 :: v_dual_bitop2_b32 v28, 7, v29 bitop3:0x40
	v_lshrrev_b32_e32 v43, 3, v49
	s_mov_b32 s36, exec_lo
	v_cmpx_gt_u32_e32 8, v49
; %bb.377:                              ;   in Loop: Header=BB308_274 Depth=1
	s_delay_alu instid0(VALU_DEP_3) | instskip(NEXT) | instid1(VALU_DEP_1)
	v_clz_i32_u32_e32 v43, v28
	v_min_u32_e32 v43, 32, v43
	s_delay_alu instid0(VALU_DEP_1) | instskip(NEXT) | instid1(VALU_DEP_1)
	v_subrev_nc_u32_e32 v49, 28, v43
	v_lshlrev_b64_e32 v[28:29], v49, v[28:29]
	s_delay_alu instid0(VALU_DEP_1)
	v_dual_sub_nc_u32 v43, 29, v43 :: v_dual_bitop2_b32 v28, 7, v28 bitop3:0x40
; %bb.378:                              ;   in Loop: Header=BB308_274 Depth=1
	s_or_b32 exec_lo, exec_lo, s36
	v_lshlrev_b32_e32 v16, 16, v16
	s_delay_alu instid0(VALU_DEP_2) | instskip(NEXT) | instid1(VALU_DEP_3)
	v_lshlrev_b32_e32 v28, 20, v28
	v_lshl_add_u32 v29, v43, 23, 0x3c000000
	s_delay_alu instid0(VALU_DEP_3) | instskip(NEXT) | instid1(VALU_DEP_1)
	v_and_b32_e32 v16, 0x80000000, v16
	v_or3_b32 v28, v28, v16, v29
.LBB308_379:                            ;   in Loop: Header=BB308_274 Depth=1
	s_or_b32 exec_lo, exec_lo, s25
.LBB308_380:                            ;   in Loop: Header=BB308_274 Depth=1
	s_delay_alu instid0(SALU_CYCLE_1)
	s_or_b32 exec_lo, exec_lo, s24
.LBB308_381:                            ;   in Loop: Header=BB308_274 Depth=1
	s_delay_alu instid0(SALU_CYCLE_1) | instskip(SKIP_3) | instid1(VALU_DEP_2)
	s_or_b32 exec_lo, exec_lo, s23
	v_dual_lshrrev_b32 v43, 16, v27 :: v_dual_mov_b32 v29, 0
	v_mov_b32_e32 v49, 0
	s_mov_b32 s23, exec_lo
	v_and_b32_e32 v16, 0xff, v43
	s_delay_alu instid0(VALU_DEP_1)
	v_cmpx_ne_u16_e32 0, v16
	s_cbranch_execz .LBB308_389
; %bb.382:                              ;   in Loop: Header=BB308_274 Depth=1
	v_bfrev_b32_e32 v49, 1
	s_mov_b32 s24, exec_lo
	v_cmpx_ne_u16_e32 0x80, v16
	s_cbranch_execz .LBB308_388
; %bb.383:                              ;   in Loop: Header=BB308_274 Depth=1
	v_bfe_u32 v50, v27, 16, 7
	v_mov_b32_e32 v49, 0x7f800001
	s_mov_b32 s25, exec_lo
	s_delay_alu instid0(VALU_DEP_2)
	v_cmpx_ne_u32_e32 0x7f, v50
	s_cbranch_execz .LBB308_387
; %bb.384:                              ;   in Loop: Header=BB308_274 Depth=1
	v_dual_lshrrev_b32 v49, 3, v50 :: v_dual_bitop2_b32 v16, 7, v43 bitop3:0x40
	s_mov_b32 s36, exec_lo
	v_cmpx_gt_u32_e32 8, v50
; %bb.385:                              ;   in Loop: Header=BB308_274 Depth=1
	s_delay_alu instid0(VALU_DEP_2) | instskip(NEXT) | instid1(VALU_DEP_1)
	v_clz_i32_u32_e32 v49, v16
	v_min_u32_e32 v49, 32, v49
	s_delay_alu instid0(VALU_DEP_1) | instskip(NEXT) | instid1(VALU_DEP_1)
	v_subrev_nc_u32_e32 v50, 28, v49
	v_lshlrev_b64_e32 v[50:51], v50, v[16:17]
	s_delay_alu instid0(VALU_DEP_1)
	v_dual_sub_nc_u32 v49, 29, v49 :: v_dual_bitop2_b32 v16, 7, v50 bitop3:0x40
; %bb.386:                              ;   in Loop: Header=BB308_274 Depth=1
	s_or_b32 exec_lo, exec_lo, s36
	s_delay_alu instid0(VALU_DEP_1) | instskip(NEXT) | instid1(VALU_DEP_2)
	v_dual_lshlrev_b32 v43, 24, v43 :: v_dual_lshlrev_b32 v16, 20, v16
	v_lshl_add_u32 v49, v49, 23, 0x3c000000
	s_delay_alu instid0(VALU_DEP_2) | instskip(NEXT) | instid1(VALU_DEP_1)
	v_and_b32_e32 v43, 0x80000000, v43
	v_or3_b32 v49, v16, v43, v49
.LBB308_387:                            ;   in Loop: Header=BB308_274 Depth=1
	s_or_b32 exec_lo, exec_lo, s25
.LBB308_388:                            ;   in Loop: Header=BB308_274 Depth=1
	s_delay_alu instid0(SALU_CYCLE_1)
	s_or_b32 exec_lo, exec_lo, s24
.LBB308_389:                            ;   in Loop: Header=BB308_274 Depth=1
	s_delay_alu instid0(SALU_CYCLE_1) | instskip(NEXT) | instid1(SALU_CYCLE_1)
	s_or_b32 exec_lo, exec_lo, s23
	s_mov_b32 s23, exec_lo
	v_cmpx_lt_u64_e64 s[2:3], v[26:27]
	s_cbranch_execz .LBB308_397
; %bb.390:                              ;   in Loop: Header=BB308_274 Depth=1
	v_lshrrev_b32_e32 v26, 24, v27
	v_bfrev_b32_e32 v29, 1
	s_mov_b32 s24, exec_lo
	s_delay_alu instid0(VALU_DEP_2)
	v_cmpx_ne_u32_e32 0x80, v26
	s_cbranch_execz .LBB308_396
; %bb.391:                              ;   in Loop: Header=BB308_274 Depth=1
	v_bfe_u32 v43, v27, 24, 7
	v_mov_b32_e32 v29, 0x7f800001
	s_mov_b32 s25, exec_lo
	s_delay_alu instid0(VALU_DEP_2)
	v_cmpx_ne_u32_e32 0x7f, v43
	s_cbranch_execz .LBB308_395
; %bb.392:                              ;   in Loop: Header=BB308_274 Depth=1
	v_dual_lshrrev_b32 v27, 3, v43 :: v_dual_bitop2_b32 v16, 7, v26 bitop3:0x40
	s_mov_b32 s36, exec_lo
	v_cmpx_gt_u32_e32 8, v43
; %bb.393:                              ;   in Loop: Header=BB308_274 Depth=1
	s_delay_alu instid0(VALU_DEP_2) | instskip(NEXT) | instid1(VALU_DEP_1)
	v_clz_i32_u32_e32 v27, v16
	v_min_u32_e32 v27, 32, v27
	s_delay_alu instid0(VALU_DEP_1) | instskip(NEXT) | instid1(VALU_DEP_1)
	v_subrev_nc_u32_e32 v29, 28, v27
	v_lshlrev_b64_e32 v[50:51], v29, v[16:17]
	s_delay_alu instid0(VALU_DEP_1)
	v_dual_sub_nc_u32 v27, 29, v27 :: v_dual_bitop2_b32 v16, 7, v50 bitop3:0x40
; %bb.394:                              ;   in Loop: Header=BB308_274 Depth=1
	s_or_b32 exec_lo, exec_lo, s36
	s_delay_alu instid0(VALU_DEP_1) | instskip(NEXT) | instid1(VALU_DEP_2)
	v_dual_lshlrev_b32 v26, 24, v26 :: v_dual_lshlrev_b32 v16, 20, v16
	v_lshl_add_u32 v27, v27, 23, 0x3c000000
	s_delay_alu instid0(VALU_DEP_2) | instskip(NEXT) | instid1(VALU_DEP_1)
	v_and_b32_e32 v26, 0x80000000, v26
	v_or3_b32 v29, v16, v26, v27
.LBB308_395:                            ;   in Loop: Header=BB308_274 Depth=1
	s_or_b32 exec_lo, exec_lo, s25
.LBB308_396:                            ;   in Loop: Header=BB308_274 Depth=1
	s_delay_alu instid0(SALU_CYCLE_1)
	s_or_b32 exec_lo, exec_lo, s24
.LBB308_397:                            ;   in Loop: Header=BB308_274 Depth=1
	s_delay_alu instid0(SALU_CYCLE_1)
	s_or_b32 exec_lo, exec_lo, s23
	v_fma_mixlo_bf16 v43, s22, v28, 0
	v_fma_mixlo_bf16 v44, s22, v44, 0
	v_fma_mixlo_bf16 v45, s22, v45, 0
	v_fma_mixlo_bf16 v46, s22, v46, 0
	v_fma_mixlo_bf16 v47, s22, v47, 0
	v_fma_mixlo_bf16 v48, s22, v48, 0
	v_fma_mixlo_bf16 v28, s22, v49, 0
	v_fma_mixlo_bf16 v29, s22, v29, 0
	s_and_saveexec_b32 s23, s0
	s_cbranch_execz .LBB308_399
; %bb.398:                              ;   in Loop: Header=BB308_274 Depth=1
	v_dual_add_nc_u32 v16, 1, v14 :: v_dual_add_nc_u32 v26, 2, v14
	v_cmp_gt_i32_e64 s1, s34, v14
	s_delay_alu instid0(VALU_DEP_1) | instskip(NEXT) | instid1(VALU_DEP_3)
	v_dual_add_nc_u32 v27, 3, v14 :: v_dual_cndmask_b32 v48, 0, v48, s1
	v_cmp_gt_i32_e64 s1, s34, v16
	s_delay_alu instid0(VALU_DEP_1) | instskip(SKIP_2) | instid1(VALU_DEP_2)
	v_cndmask_b32_e64 v47, 0, v47, s1
	v_cmp_gt_i32_e64 s1, s34, v26
	v_add_nc_u32_e32 v26, 5, v14
	v_cndmask_b32_e64 v46, 0, v46, s1
	v_cmp_gt_i32_e64 s1, s34, v27
	v_dual_add_nc_u32 v16, 4, v14 :: v_dual_add_nc_u32 v27, 6, v14
	s_delay_alu instid0(VALU_DEP_2) | instskip(NEXT) | instid1(VALU_DEP_2)
	v_cndmask_b32_e64 v45, 0, v45, s1
	v_cmp_gt_i32_e64 s1, s34, v16
	s_delay_alu instid0(VALU_DEP_1) | instskip(SKIP_1) | instid1(VALU_DEP_1)
	v_dual_add_nc_u32 v16, 7, v14 :: v_dual_cndmask_b32 v44, 0, v44, s1
	v_cmp_gt_i32_e64 s1, s34, v26
	v_cndmask_b32_e64 v43, 0, v43, s1
	v_cmp_gt_i32_e64 s1, s34, v27
	s_delay_alu instid0(VALU_DEP_1) | instskip(SKIP_1) | instid1(VALU_DEP_1)
	v_cndmask_b32_e64 v28, 0, v28, s1
	v_cmp_gt_i32_e64 s1, s34, v16
	v_cndmask_b32_e64 v29, 0, v29, s1
.LBB308_399:                            ;   in Loop: Header=BB308_274 Depth=1
	s_or_b32 exec_lo, exec_lo, s23
	global_load_b64 v[24:25], v[24:25], off offset:512
	v_dual_mov_b32 v51, 0 :: v_dual_mov_b32 v52, 0
	s_mov_b32 s23, exec_lo
	s_wait_loadcnt 0x0
	v_and_b32_e32 v16, 0xff, v24
	s_delay_alu instid0(VALU_DEP_1)
	v_cmpx_ne_u16_e32 0, v16
	s_cbranch_execz .LBB308_405
; %bb.400:                              ;   in Loop: Header=BB308_274 Depth=1
	v_bfrev_b32_e32 v52, 1
	s_mov_b32 s24, exec_lo
	v_cmpx_ne_u16_e32 0x80, v16
	s_cbranch_execz .LBB308_404
; %bb.401:                              ;   in Loop: Header=BB308_274 Depth=1
	v_and_b32_e32 v16, 0x7f, v24
	v_mov_b32_e32 v52, 0x7f800001
	s_mov_b32 s25, exec_lo
	s_delay_alu instid0(VALU_DEP_2)
	v_cmpx_ne_u32_e32 0x7f, v16
	s_cbranch_execz .LBB308_403
; %bb.402:                              ;   in Loop: Header=BB308_274 Depth=1
	v_and_b32_e32 v26, 7, v24
	v_cmp_gt_u32_e64 s1, 8, v16
	s_delay_alu instid0(VALU_DEP_2) | instskip(NEXT) | instid1(VALU_DEP_1)
	v_clz_i32_u32_e32 v26, v26
	v_min_u32_e32 v26, 32, v26
	v_lshrrev_b32_e32 v27, 3, v16
	s_delay_alu instid0(VALU_DEP_2) | instskip(SKIP_1) | instid1(VALU_DEP_1)
	v_subrev_nc_u32_e32 v49, 28, v26
	v_sub_nc_u32_e32 v26, 29, v26
	v_dual_cndmask_b32 v16, v27, v26, s1 :: v_dual_cndmask_b32 v26, 0, v49, s1
	s_delay_alu instid0(VALU_DEP_1) | instskip(NEXT) | instid1(VALU_DEP_2)
	v_lshl_add_u32 v16, v16, 23, 0x3c000000
	v_lshlrev_b64_e32 v[26:27], v26, v[24:25]
	v_lshlrev_b32_e32 v27, 24, v24
	s_delay_alu instid0(VALU_DEP_1) | instskip(NEXT) | instid1(VALU_DEP_3)
	v_and_b32_e32 v27, 0x80000000, v27
	v_lshlrev_b32_e32 v26, 20, v26
	s_delay_alu instid0(VALU_DEP_1) | instskip(NEXT) | instid1(VALU_DEP_1)
	v_and_b32_e32 v26, 0x700000, v26
	v_or3_b32 v52, v26, v27, v16
.LBB308_403:                            ;   in Loop: Header=BB308_274 Depth=1
	s_or_b32 exec_lo, exec_lo, s25
.LBB308_404:                            ;   in Loop: Header=BB308_274 Depth=1
	s_delay_alu instid0(SALU_CYCLE_1)
	s_or_b32 exec_lo, exec_lo, s24
.LBB308_405:                            ;   in Loop: Header=BB308_274 Depth=1
	s_delay_alu instid0(SALU_CYCLE_1) | instskip(SKIP_2) | instid1(VALU_DEP_1)
	s_or_b32 exec_lo, exec_lo, s23
	v_lshrrev_b16 v16, 8, v24
	s_mov_b32 s23, exec_lo
	v_cmpx_ne_u16_e32 0, v16
	s_cbranch_execz .LBB308_413
; %bb.406:                              ;   in Loop: Header=BB308_274 Depth=1
	v_bfrev_b32_e32 v51, 1
	s_mov_b32 s24, exec_lo
	v_cmpx_ne_u16_e32 0x80, v16
	s_cbranch_execz .LBB308_412
; %bb.407:                              ;   in Loop: Header=BB308_274 Depth=1
	v_and_b32_e32 v16, 0xffff, v16
	v_mov_b32_e32 v51, 0x7f800001
	s_mov_b32 s25, exec_lo
	s_delay_alu instid0(VALU_DEP_2) | instskip(NEXT) | instid1(VALU_DEP_1)
	v_and_b32_e32 v27, 0x7f, v16
	v_cmpx_ne_u32_e32 0x7f, v27
	s_cbranch_execz .LBB308_411
; %bb.408:                              ;   in Loop: Header=BB308_274 Depth=1
	v_dual_lshrrev_b32 v26, 3, v27 :: v_dual_bitop2_b32 v16, 7, v16 bitop3:0x40
	s_mov_b32 s36, exec_lo
	v_cmpx_gt_u32_e32 8, v27
; %bb.409:                              ;   in Loop: Header=BB308_274 Depth=1
	s_delay_alu instid0(VALU_DEP_2) | instskip(NEXT) | instid1(VALU_DEP_1)
	v_clz_i32_u32_e32 v26, v16
	v_min_u32_e32 v26, 32, v26
	s_delay_alu instid0(VALU_DEP_1) | instskip(SKIP_1) | instid1(VALU_DEP_2)
	v_subrev_nc_u32_e32 v27, 28, v26
	v_sub_nc_u32_e32 v26, 29, v26
	v_lshlrev_b64_e32 v[50:51], v27, v[16:17]
	s_delay_alu instid0(VALU_DEP_1)
	v_and_b32_e32 v16, 7, v50
; %bb.410:                              ;   in Loop: Header=BB308_274 Depth=1
	s_or_b32 exec_lo, exec_lo, s36
	v_lshlrev_b32_e32 v27, 16, v24
	s_delay_alu instid0(VALU_DEP_2) | instskip(SKIP_1) | instid1(VALU_DEP_3)
	v_lshlrev_b32_e32 v16, 20, v16
	v_lshl_add_u32 v26, v26, 23, 0x3c000000
	v_and_b32_e32 v27, 0x80000000, v27
	s_delay_alu instid0(VALU_DEP_1)
	v_or3_b32 v51, v16, v27, v26
.LBB308_411:                            ;   in Loop: Header=BB308_274 Depth=1
	s_or_b32 exec_lo, exec_lo, s25
.LBB308_412:                            ;   in Loop: Header=BB308_274 Depth=1
	s_delay_alu instid0(SALU_CYCLE_1)
	s_or_b32 exec_lo, exec_lo, s24
.LBB308_413:                            ;   in Loop: Header=BB308_274 Depth=1
	s_delay_alu instid0(SALU_CYCLE_1) | instskip(SKIP_3) | instid1(VALU_DEP_2)
	s_or_b32 exec_lo, exec_lo, s23
	v_dual_mov_b32 v49, 0 :: v_dual_lshrrev_b32 v26, 16, v24
	v_mov_b32_e32 v50, 0
	s_mov_b32 s23, exec_lo
	v_and_b32_e32 v16, 0xff, v26
	s_delay_alu instid0(VALU_DEP_1)
	v_cmpx_ne_u16_e32 0, v16
	s_cbranch_execz .LBB308_421
; %bb.414:                              ;   in Loop: Header=BB308_274 Depth=1
	v_bfrev_b32_e32 v50, 1
	s_mov_b32 s24, exec_lo
	v_cmpx_ne_u16_e32 0x80, v16
	s_cbranch_execz .LBB308_420
; %bb.415:                              ;   in Loop: Header=BB308_274 Depth=1
	v_bfe_u32 v53, v24, 16, 7
	v_mov_b32_e32 v50, 0x7f800001
	s_mov_b32 s25, exec_lo
	s_delay_alu instid0(VALU_DEP_2)
	v_cmpx_ne_u32_e32 0x7f, v53
	s_cbranch_execz .LBB308_419
; %bb.416:                              ;   in Loop: Header=BB308_274 Depth=1
	v_dual_lshrrev_b32 v27, 3, v53 :: v_dual_bitop2_b32 v16, 7, v26 bitop3:0x40
	s_mov_b32 s36, exec_lo
	v_cmpx_gt_u32_e32 8, v53
; %bb.417:                              ;   in Loop: Header=BB308_274 Depth=1
	s_delay_alu instid0(VALU_DEP_2) | instskip(NEXT) | instid1(VALU_DEP_1)
	v_clz_i32_u32_e32 v27, v16
	v_min_u32_e32 v27, 32, v27
	s_delay_alu instid0(VALU_DEP_1) | instskip(NEXT) | instid1(VALU_DEP_1)
	v_subrev_nc_u32_e32 v50, 28, v27
	v_lshlrev_b64_e32 v[54:55], v50, v[16:17]
	s_delay_alu instid0(VALU_DEP_1)
	v_dual_sub_nc_u32 v27, 29, v27 :: v_dual_bitop2_b32 v16, 7, v54 bitop3:0x40
; %bb.418:                              ;   in Loop: Header=BB308_274 Depth=1
	s_or_b32 exec_lo, exec_lo, s36
	s_delay_alu instid0(VALU_DEP_1) | instskip(NEXT) | instid1(VALU_DEP_2)
	v_dual_lshlrev_b32 v26, 24, v26 :: v_dual_lshlrev_b32 v16, 20, v16
	v_lshl_add_u32 v27, v27, 23, 0x3c000000
	s_delay_alu instid0(VALU_DEP_2) | instskip(NEXT) | instid1(VALU_DEP_1)
	v_and_b32_e32 v26, 0x80000000, v26
	v_or3_b32 v50, v16, v26, v27
.LBB308_419:                            ;   in Loop: Header=BB308_274 Depth=1
	s_or_b32 exec_lo, exec_lo, s25
.LBB308_420:                            ;   in Loop: Header=BB308_274 Depth=1
	s_delay_alu instid0(SALU_CYCLE_1)
	s_or_b32 exec_lo, exec_lo, s24
.LBB308_421:                            ;   in Loop: Header=BB308_274 Depth=1
	s_delay_alu instid0(SALU_CYCLE_1) | instskip(NEXT) | instid1(SALU_CYCLE_1)
	s_or_b32 exec_lo, exec_lo, s23
	s_mov_b32 s23, exec_lo
	v_cmpx_lt_u32_e32 0xffffff, v24
	s_cbranch_execz .LBB308_429
; %bb.422:                              ;   in Loop: Header=BB308_274 Depth=1
	v_lshrrev_b32_e32 v26, 24, v24
	v_bfrev_b32_e32 v49, 1
	s_mov_b32 s24, exec_lo
	s_delay_alu instid0(VALU_DEP_2)
	v_cmpx_ne_u32_e32 0x80, v26
	s_cbranch_execz .LBB308_428
; %bb.423:                              ;   in Loop: Header=BB308_274 Depth=1
	v_bfe_u32 v53, v24, 24, 7
	v_mov_b32_e32 v49, 0x7f800001
	s_mov_b32 s25, exec_lo
	s_delay_alu instid0(VALU_DEP_2)
	v_cmpx_ne_u32_e32 0x7f, v53
	s_cbranch_execz .LBB308_427
; %bb.424:                              ;   in Loop: Header=BB308_274 Depth=1
	v_dual_lshrrev_b32 v27, 3, v53 :: v_dual_bitop2_b32 v16, 7, v26 bitop3:0x40
	s_mov_b32 s36, exec_lo
	v_cmpx_gt_u32_e32 8, v53
; %bb.425:                              ;   in Loop: Header=BB308_274 Depth=1
	s_delay_alu instid0(VALU_DEP_2) | instskip(NEXT) | instid1(VALU_DEP_1)
	v_clz_i32_u32_e32 v27, v16
	v_min_u32_e32 v27, 32, v27
	s_delay_alu instid0(VALU_DEP_1) | instskip(NEXT) | instid1(VALU_DEP_1)
	v_subrev_nc_u32_e32 v49, 28, v27
	v_lshlrev_b64_e32 v[54:55], v49, v[16:17]
	s_delay_alu instid0(VALU_DEP_1)
	v_dual_sub_nc_u32 v27, 29, v27 :: v_dual_bitop2_b32 v16, 7, v54 bitop3:0x40
; %bb.426:                              ;   in Loop: Header=BB308_274 Depth=1
	s_or_b32 exec_lo, exec_lo, s36
	s_delay_alu instid0(VALU_DEP_1) | instskip(NEXT) | instid1(VALU_DEP_2)
	v_dual_lshlrev_b32 v26, 24, v26 :: v_dual_lshlrev_b32 v16, 20, v16
	v_lshl_add_u32 v27, v27, 23, 0x3c000000
	s_delay_alu instid0(VALU_DEP_2) | instskip(NEXT) | instid1(VALU_DEP_1)
	v_and_b32_e32 v26, 0x80000000, v26
	v_or3_b32 v49, v16, v26, v27
.LBB308_427:                            ;   in Loop: Header=BB308_274 Depth=1
	s_or_b32 exec_lo, exec_lo, s25
.LBB308_428:                            ;   in Loop: Header=BB308_274 Depth=1
	s_delay_alu instid0(SALU_CYCLE_1)
	s_or_b32 exec_lo, exec_lo, s24
.LBB308_429:                            ;   in Loop: Header=BB308_274 Depth=1
	s_delay_alu instid0(SALU_CYCLE_1) | instskip(SKIP_4) | instid1(VALU_DEP_3)
	s_or_b32 exec_lo, exec_lo, s23
	v_and_b32_e32 v27, 0xff, v25
	v_dual_mov_b32 v16, v25 :: v_dual_mov_b32 v26, 0
	v_mov_b32_e32 v53, 0
	s_mov_b32 s23, exec_lo
	v_cmpx_ne_u16_e32 0, v27
	s_cbranch_execz .LBB308_435
; %bb.430:                              ;   in Loop: Header=BB308_274 Depth=1
	v_bfrev_b32_e32 v53, 1
	s_mov_b32 s24, exec_lo
	v_cmpx_ne_u16_e32 0x80, v27
	s_cbranch_execz .LBB308_434
; %bb.431:                              ;   in Loop: Header=BB308_274 Depth=1
	v_and_b32_e32 v27, 0x7f, v25
	v_mov_b32_e32 v53, 0x7f800001
	s_mov_b32 s25, exec_lo
	s_delay_alu instid0(VALU_DEP_2)
	v_cmpx_ne_u32_e32 0x7f, v27
	s_cbranch_execz .LBB308_433
; %bb.432:                              ;   in Loop: Header=BB308_274 Depth=1
	v_dual_lshrrev_b32 v54, 3, v27 :: v_dual_bitop2_b32 v53, 7, v25 bitop3:0x40
	v_cmp_gt_u32_e64 s1, 8, v27
	s_delay_alu instid0(VALU_DEP_2) | instskip(NEXT) | instid1(VALU_DEP_1)
	v_clz_i32_u32_e32 v53, v53
	v_min_u32_e32 v53, 32, v53
	s_delay_alu instid0(VALU_DEP_1) | instskip(SKIP_1) | instid1(VALU_DEP_1)
	v_subrev_nc_u32_e32 v55, 28, v53
	v_sub_nc_u32_e32 v53, 29, v53
	v_dual_cndmask_b32 v27, v54, v53, s1 :: v_dual_cndmask_b32 v53, 0, v55, s1
	s_delay_alu instid0(VALU_DEP_1) | instskip(NEXT) | instid1(VALU_DEP_2)
	v_lshl_add_u32 v27, v27, 23, 0x3c000000
	v_lshlrev_b64_e32 v[54:55], v53, v[16:17]
	v_lshlrev_b32_e32 v53, 24, v16
	s_delay_alu instid0(VALU_DEP_1) | instskip(NEXT) | instid1(VALU_DEP_3)
	v_and_b32_e32 v53, 0x80000000, v53
	v_lshlrev_b32_e32 v54, 20, v54
	s_delay_alu instid0(VALU_DEP_1) | instskip(NEXT) | instid1(VALU_DEP_1)
	v_and_b32_e32 v54, 0x700000, v54
	v_or3_b32 v53, v54, v53, v27
.LBB308_433:                            ;   in Loop: Header=BB308_274 Depth=1
	s_or_b32 exec_lo, exec_lo, s25
.LBB308_434:                            ;   in Loop: Header=BB308_274 Depth=1
	s_delay_alu instid0(SALU_CYCLE_1)
	s_or_b32 exec_lo, exec_lo, s24
.LBB308_435:                            ;   in Loop: Header=BB308_274 Depth=1
	s_delay_alu instid0(SALU_CYCLE_1) | instskip(SKIP_2) | instid1(VALU_DEP_1)
	s_or_b32 exec_lo, exec_lo, s23
	v_lshrrev_b16 v27, 8, v16
	s_mov_b32 s23, exec_lo
	v_cmpx_ne_u16_e32 0, v27
	s_cbranch_execz .LBB308_443
; %bb.436:                              ;   in Loop: Header=BB308_274 Depth=1
	v_bfrev_b32_e32 v26, 1
	s_mov_b32 s24, exec_lo
	v_cmpx_ne_u16_e32 0x80, v27
	s_cbranch_execz .LBB308_442
; %bb.437:                              ;   in Loop: Header=BB308_274 Depth=1
	v_and_b32_e32 v27, 0xffff, v27
	v_mov_b32_e32 v26, 0x7f800001
	s_mov_b32 s25, exec_lo
	s_delay_alu instid0(VALU_DEP_2) | instskip(NEXT) | instid1(VALU_DEP_1)
	v_and_b32_e32 v55, 0x7f, v27
	v_cmpx_ne_u32_e32 0x7f, v55
	s_cbranch_execz .LBB308_441
; %bb.438:                              ;   in Loop: Header=BB308_274 Depth=1
	v_dual_mov_b32 v27, v17 :: v_dual_bitop2_b32 v26, 7, v27 bitop3:0x40
	v_lshrrev_b32_e32 v54, 3, v55
	s_mov_b32 s36, exec_lo
	v_cmpx_gt_u32_e32 8, v55
; %bb.439:                              ;   in Loop: Header=BB308_274 Depth=1
	s_delay_alu instid0(VALU_DEP_3) | instskip(NEXT) | instid1(VALU_DEP_1)
	v_clz_i32_u32_e32 v54, v26
	v_min_u32_e32 v54, 32, v54
	s_delay_alu instid0(VALU_DEP_1) | instskip(SKIP_1) | instid1(VALU_DEP_2)
	v_subrev_nc_u32_e32 v55, 28, v54
	v_sub_nc_u32_e32 v54, 29, v54
	v_lshlrev_b64_e32 v[26:27], v55, v[26:27]
	s_delay_alu instid0(VALU_DEP_1)
	v_and_b32_e32 v26, 7, v26
; %bb.440:                              ;   in Loop: Header=BB308_274 Depth=1
	s_or_b32 exec_lo, exec_lo, s36
	s_delay_alu instid0(VALU_DEP_1) | instskip(SKIP_1) | instid1(VALU_DEP_2)
	v_dual_lshlrev_b32 v16, 16, v16 :: v_dual_lshlrev_b32 v26, 20, v26
	v_lshl_add_u32 v27, v54, 23, 0x3c000000
	v_and_b32_e32 v16, 0x80000000, v16
	s_delay_alu instid0(VALU_DEP_1)
	v_or3_b32 v26, v26, v16, v27
.LBB308_441:                            ;   in Loop: Header=BB308_274 Depth=1
	s_or_b32 exec_lo, exec_lo, s25
.LBB308_442:                            ;   in Loop: Header=BB308_274 Depth=1
	s_delay_alu instid0(SALU_CYCLE_1)
	s_or_b32 exec_lo, exec_lo, s24
.LBB308_443:                            ;   in Loop: Header=BB308_274 Depth=1
	s_delay_alu instid0(SALU_CYCLE_1) | instskip(SKIP_3) | instid1(VALU_DEP_2)
	s_or_b32 exec_lo, exec_lo, s23
	v_dual_mov_b32 v54, 0 :: v_dual_lshrrev_b32 v27, 16, v25
	v_mov_b32_e32 v55, 0
	s_mov_b32 s23, exec_lo
	v_and_b32_e32 v16, 0xff, v27
	s_delay_alu instid0(VALU_DEP_1)
	v_cmpx_ne_u16_e32 0, v16
	s_cbranch_execz .LBB308_451
; %bb.444:                              ;   in Loop: Header=BB308_274 Depth=1
	v_bfrev_b32_e32 v55, 1
	s_mov_b32 s24, exec_lo
	v_cmpx_ne_u16_e32 0x80, v16
	s_cbranch_execz .LBB308_450
; %bb.445:                              ;   in Loop: Header=BB308_274 Depth=1
	v_bfe_u32 v56, v25, 16, 7
	v_mov_b32_e32 v55, 0x7f800001
	s_mov_b32 s25, exec_lo
	s_delay_alu instid0(VALU_DEP_2)
	v_cmpx_ne_u32_e32 0x7f, v56
	s_cbranch_execz .LBB308_449
; %bb.446:                              ;   in Loop: Header=BB308_274 Depth=1
	v_dual_lshrrev_b32 v55, 3, v56 :: v_dual_bitop2_b32 v16, 7, v27 bitop3:0x40
	s_mov_b32 s36, exec_lo
	v_cmpx_gt_u32_e32 8, v56
; %bb.447:                              ;   in Loop: Header=BB308_274 Depth=1
	s_delay_alu instid0(VALU_DEP_2) | instskip(NEXT) | instid1(VALU_DEP_1)
	v_clz_i32_u32_e32 v55, v16
	v_min_u32_e32 v55, 32, v55
	s_delay_alu instid0(VALU_DEP_1) | instskip(NEXT) | instid1(VALU_DEP_1)
	v_subrev_nc_u32_e32 v56, 28, v55
	v_lshlrev_b64_e32 v[56:57], v56, v[16:17]
	s_delay_alu instid0(VALU_DEP_1)
	v_dual_sub_nc_u32 v55, 29, v55 :: v_dual_bitop2_b32 v16, 7, v56 bitop3:0x40
; %bb.448:                              ;   in Loop: Header=BB308_274 Depth=1
	s_or_b32 exec_lo, exec_lo, s36
	s_delay_alu instid0(VALU_DEP_1) | instskip(NEXT) | instid1(VALU_DEP_2)
	v_dual_lshlrev_b32 v27, 24, v27 :: v_dual_lshlrev_b32 v16, 20, v16
	v_lshl_add_u32 v55, v55, 23, 0x3c000000
	s_delay_alu instid0(VALU_DEP_2) | instskip(NEXT) | instid1(VALU_DEP_1)
	v_and_b32_e32 v27, 0x80000000, v27
	v_or3_b32 v55, v16, v27, v55
.LBB308_449:                            ;   in Loop: Header=BB308_274 Depth=1
	s_or_b32 exec_lo, exec_lo, s25
.LBB308_450:                            ;   in Loop: Header=BB308_274 Depth=1
	s_delay_alu instid0(SALU_CYCLE_1)
	s_or_b32 exec_lo, exec_lo, s24
.LBB308_451:                            ;   in Loop: Header=BB308_274 Depth=1
	s_delay_alu instid0(SALU_CYCLE_1) | instskip(NEXT) | instid1(SALU_CYCLE_1)
	s_or_b32 exec_lo, exec_lo, s23
	s_mov_b32 s23, exec_lo
	v_cmpx_lt_u64_e64 s[2:3], v[24:25]
	s_cbranch_execz .LBB308_459
; %bb.452:                              ;   in Loop: Header=BB308_274 Depth=1
	v_lshrrev_b32_e32 v24, 24, v25
	v_bfrev_b32_e32 v54, 1
	s_mov_b32 s24, exec_lo
	s_delay_alu instid0(VALU_DEP_2)
	v_cmpx_ne_u32_e32 0x80, v24
	s_cbranch_execz .LBB308_458
; %bb.453:                              ;   in Loop: Header=BB308_274 Depth=1
	v_bfe_u32 v27, v25, 24, 7
	v_mov_b32_e32 v54, 0x7f800001
	s_mov_b32 s25, exec_lo
	s_delay_alu instid0(VALU_DEP_2)
	v_cmpx_ne_u32_e32 0x7f, v27
	s_cbranch_execz .LBB308_457
; %bb.454:                              ;   in Loop: Header=BB308_274 Depth=1
	v_dual_lshrrev_b32 v25, 3, v27 :: v_dual_bitop2_b32 v16, 7, v24 bitop3:0x40
	s_mov_b32 s36, exec_lo
	v_cmpx_gt_u32_e32 8, v27
; %bb.455:                              ;   in Loop: Header=BB308_274 Depth=1
	s_delay_alu instid0(VALU_DEP_2) | instskip(NEXT) | instid1(VALU_DEP_1)
	v_clz_i32_u32_e32 v25, v16
	v_min_u32_e32 v25, 32, v25
	s_delay_alu instid0(VALU_DEP_1) | instskip(NEXT) | instid1(VALU_DEP_1)
	v_subrev_nc_u32_e32 v27, 28, v25
	v_lshlrev_b64_e32 v[56:57], v27, v[16:17]
	s_delay_alu instid0(VALU_DEP_1)
	v_dual_sub_nc_u32 v25, 29, v25 :: v_dual_bitop2_b32 v16, 7, v56 bitop3:0x40
; %bb.456:                              ;   in Loop: Header=BB308_274 Depth=1
	s_or_b32 exec_lo, exec_lo, s36
	v_lshlrev_b32_e32 v24, 24, v24
	s_delay_alu instid0(VALU_DEP_2) | instskip(NEXT) | instid1(VALU_DEP_3)
	v_lshlrev_b32_e32 v16, 20, v16
	v_lshl_add_u32 v25, v25, 23, 0x3c000000
	s_delay_alu instid0(VALU_DEP_3) | instskip(NEXT) | instid1(VALU_DEP_1)
	v_and_b32_e32 v24, 0x80000000, v24
	v_or3_b32 v54, v16, v24, v25
.LBB308_457:                            ;   in Loop: Header=BB308_274 Depth=1
	s_or_b32 exec_lo, exec_lo, s25
.LBB308_458:                            ;   in Loop: Header=BB308_274 Depth=1
	s_delay_alu instid0(SALU_CYCLE_1)
	s_or_b32 exec_lo, exec_lo, s24
.LBB308_459:                            ;   in Loop: Header=BB308_274 Depth=1
	s_delay_alu instid0(SALU_CYCLE_1)
	s_or_b32 exec_lo, exec_lo, s23
	v_fma_mixlo_bf16 v25, s22, v26, 0
	v_fma_mixlo_bf16 v27, s22, v53, 0
	;; [unrolled: 1-line block ×8, first 2 shown]
	s_and_saveexec_b32 s23, s0
	s_cbranch_execz .LBB308_461
; %bb.460:                              ;   in Loop: Header=BB308_274 Depth=1
	v_dual_add_nc_u32 v16, 1, v14 :: v_dual_add_nc_u32 v53, 2, v14
	v_cmp_gt_i32_e64 s1, s34, v14
	s_delay_alu instid0(VALU_DEP_1) | instskip(NEXT) | instid1(VALU_DEP_3)
	v_dual_add_nc_u32 v54, 3, v14 :: v_dual_cndmask_b32 v52, 0, v52, s1
	v_cmp_gt_i32_e64 s1, s34, v16
	s_delay_alu instid0(VALU_DEP_1) | instskip(SKIP_2) | instid1(VALU_DEP_2)
	v_cndmask_b32_e64 v51, 0, v51, s1
	v_cmp_gt_i32_e64 s1, s34, v53
	v_add_nc_u32_e32 v53, 5, v14
	v_cndmask_b32_e64 v50, 0, v50, s1
	v_cmp_gt_i32_e64 s1, s34, v54
	v_dual_add_nc_u32 v16, 4, v14 :: v_dual_add_nc_u32 v54, 6, v14
	s_delay_alu instid0(VALU_DEP_2) | instskip(NEXT) | instid1(VALU_DEP_2)
	v_cndmask_b32_e64 v49, 0, v49, s1
	v_cmp_gt_i32_e64 s1, s34, v16
	s_delay_alu instid0(VALU_DEP_1) | instskip(SKIP_1) | instid1(VALU_DEP_1)
	v_dual_add_nc_u32 v16, 7, v14 :: v_dual_cndmask_b32 v27, 0, v27, s1
	v_cmp_gt_i32_e64 s1, s34, v53
	v_cndmask_b32_e64 v25, 0, v25, s1
	v_cmp_gt_i32_e64 s1, s34, v54
	s_delay_alu instid0(VALU_DEP_1) | instskip(SKIP_1) | instid1(VALU_DEP_1)
	v_cndmask_b32_e64 v24, 0, v24, s1
	v_cmp_gt_i32_e64 s1, s34, v16
	v_cndmask_b32_e64 v26, 0, v26, s1
.LBB308_461:                            ;   in Loop: Header=BB308_274 Depth=1
	s_or_b32 exec_lo, exec_lo, s23
	s_wait_dscnt 0x1
	v_cvt_pk_bf16_f32 v53, v6, v7
	v_cvt_pk_bf16_f32 v7, v8, v9
	s_wait_dscnt 0x0
	v_cvt_pk_bf16_f32 v8, v2, v3
	v_cvt_pk_bf16_f32 v6, v4, v5
	s_and_saveexec_b32 s23, vcc_lo
	s_cbranch_execz .LBB308_272
; %bb.462:                              ;   in Loop: Header=BB308_274 Depth=1
	v_add_nc_u64_e32 v[2:3], v[22:23], v[18:19]
	v_dual_mov_b32 v22, 0 :: v_dual_mov_b32 v9, 0
	s_mov_b32 s24, exec_lo
	global_load_b64 v[2:3], v[2:3], off
	s_wait_loadcnt 0x0
	v_and_b32_e32 v4, 0xff, v2
	s_delay_alu instid0(VALU_DEP_1)
	v_cmpx_ne_u16_e32 0, v4
	s_cbranch_execz .LBB308_468
; %bb.463:                              ;   in Loop: Header=BB308_274 Depth=1
	v_bfrev_b32_e32 v9, 1
	s_mov_b32 s25, exec_lo
	v_cmpx_ne_u16_e32 0x80, v4
	s_cbranch_execz .LBB308_467
; %bb.464:                              ;   in Loop: Header=BB308_274 Depth=1
	v_and_b32_e32 v4, 0x7f, v2
	v_mov_b32_e32 v9, 0x7f800001
	s_mov_b32 s36, exec_lo
	s_delay_alu instid0(VALU_DEP_2)
	v_cmpx_ne_u32_e32 0x7f, v4
	s_cbranch_execz .LBB308_466
; %bb.465:                              ;   in Loop: Header=BB308_274 Depth=1
	v_dual_lshrrev_b32 v9, 3, v4 :: v_dual_bitop2_b32 v5, 7, v2 bitop3:0x40
	v_cmp_gt_u32_e64 s1, 8, v4
	s_delay_alu instid0(VALU_DEP_2) | instskip(NEXT) | instid1(VALU_DEP_1)
	v_clz_i32_u32_e32 v5, v5
	v_min_u32_e32 v5, 32, v5
	s_delay_alu instid0(VALU_DEP_1) | instskip(NEXT) | instid1(VALU_DEP_1)
	v_subrev_nc_u32_e32 v16, 28, v5
	v_dual_sub_nc_u32 v5, 29, v5 :: v_dual_cndmask_b32 v4, 0, v16, s1
	s_delay_alu instid0(VALU_DEP_1) | instskip(NEXT) | instid1(VALU_DEP_2)
	v_cndmask_b32_e64 v9, v9, v5, s1
	v_lshlrev_b64_e32 v[4:5], v4, v[2:3]
	v_lshlrev_b32_e32 v5, 24, v2
	s_delay_alu instid0(VALU_DEP_3) | instskip(NEXT) | instid1(VALU_DEP_2)
	v_lshl_add_u32 v9, v9, 23, 0x3c000000
	v_and_b32_e32 v5, 0x80000000, v5
	s_delay_alu instid0(VALU_DEP_4) | instskip(NEXT) | instid1(VALU_DEP_1)
	v_lshlrev_b32_e32 v4, 20, v4
	v_and_b32_e32 v4, 0x700000, v4
	s_delay_alu instid0(VALU_DEP_1)
	v_or3_b32 v9, v4, v5, v9
.LBB308_466:                            ;   in Loop: Header=BB308_274 Depth=1
	s_or_b32 exec_lo, exec_lo, s36
.LBB308_467:                            ;   in Loop: Header=BB308_274 Depth=1
	s_delay_alu instid0(SALU_CYCLE_1)
	s_or_b32 exec_lo, exec_lo, s25
.LBB308_468:                            ;   in Loop: Header=BB308_274 Depth=1
	s_delay_alu instid0(SALU_CYCLE_1) | instskip(SKIP_2) | instid1(VALU_DEP_1)
	s_or_b32 exec_lo, exec_lo, s24
	v_lshrrev_b16 v4, 8, v2
	s_mov_b32 s24, exec_lo
	v_cmpx_ne_u16_e32 0, v4
	s_cbranch_execz .LBB308_476
; %bb.469:                              ;   in Loop: Header=BB308_274 Depth=1
	v_bfrev_b32_e32 v22, 1
	s_mov_b32 s25, exec_lo
	v_cmpx_ne_u16_e32 0x80, v4
	s_cbranch_execz .LBB308_475
; %bb.470:                              ;   in Loop: Header=BB308_274 Depth=1
	v_and_b32_e32 v4, 0xffff, v4
	v_mov_b32_e32 v22, 0x7f800001
	s_mov_b32 s36, exec_lo
	s_delay_alu instid0(VALU_DEP_2) | instskip(NEXT) | instid1(VALU_DEP_1)
	v_and_b32_e32 v5, 0x7f, v4
	v_cmpx_ne_u32_e32 0x7f, v5
	s_cbranch_execz .LBB308_474
; %bb.471:                              ;   in Loop: Header=BB308_274 Depth=1
	v_dual_lshrrev_b32 v4, 3, v5 :: v_dual_bitop2_b32 v16, 7, v4 bitop3:0x40
	s_mov_b32 s37, exec_lo
	v_cmpx_gt_u32_e32 8, v5
; %bb.472:                              ;   in Loop: Header=BB308_274 Depth=1
	s_delay_alu instid0(VALU_DEP_2) | instskip(NEXT) | instid1(VALU_DEP_1)
	v_clz_i32_u32_e32 v4, v16
	v_min_u32_e32 v4, 32, v4
	s_delay_alu instid0(VALU_DEP_1) | instskip(NEXT) | instid1(VALU_DEP_1)
	v_subrev_nc_u32_e32 v5, 28, v4
	v_lshlrev_b64_e32 v[22:23], v5, v[16:17]
	s_delay_alu instid0(VALU_DEP_1)
	v_dual_sub_nc_u32 v4, 29, v4 :: v_dual_bitop2_b32 v16, 7, v22 bitop3:0x40
; %bb.473:                              ;   in Loop: Header=BB308_274 Depth=1
	s_or_b32 exec_lo, exec_lo, s37
	s_delay_alu instid0(VALU_DEP_1) | instskip(NEXT) | instid1(VALU_DEP_2)
	v_dual_lshlrev_b32 v5, 16, v2 :: v_dual_lshlrev_b32 v16, 20, v16
	v_lshl_add_u32 v4, v4, 23, 0x3c000000
	s_delay_alu instid0(VALU_DEP_2) | instskip(NEXT) | instid1(VALU_DEP_1)
	v_and_b32_e32 v5, 0x80000000, v5
	v_or3_b32 v22, v16, v5, v4
.LBB308_474:                            ;   in Loop: Header=BB308_274 Depth=1
	s_or_b32 exec_lo, exec_lo, s36
.LBB308_475:                            ;   in Loop: Header=BB308_274 Depth=1
	s_delay_alu instid0(SALU_CYCLE_1)
	s_or_b32 exec_lo, exec_lo, s25
.LBB308_476:                            ;   in Loop: Header=BB308_274 Depth=1
	s_delay_alu instid0(SALU_CYCLE_1) | instskip(SKIP_3) | instid1(VALU_DEP_2)
	s_or_b32 exec_lo, exec_lo, s24
	v_dual_lshrrev_b32 v4, 16, v2 :: v_dual_mov_b32 v54, 0
	v_mov_b32_e32 v23, 0
	s_mov_b32 s24, exec_lo
	v_and_b32_e32 v5, 0xff, v4
	s_delay_alu instid0(VALU_DEP_1)
	v_cmpx_ne_u16_e32 0, v5
	s_cbranch_execz .LBB308_484
; %bb.477:                              ;   in Loop: Header=BB308_274 Depth=1
	v_bfrev_b32_e32 v23, 1
	s_mov_b32 s25, exec_lo
	v_cmpx_ne_u16_e32 0x80, v5
	s_cbranch_execz .LBB308_483
; %bb.478:                              ;   in Loop: Header=BB308_274 Depth=1
	v_bfe_u32 v55, v2, 16, 7
	v_mov_b32_e32 v23, 0x7f800001
	s_mov_b32 s36, exec_lo
	s_delay_alu instid0(VALU_DEP_2)
	v_cmpx_ne_u32_e32 0x7f, v55
	s_cbranch_execz .LBB308_482
; %bb.479:                              ;   in Loop: Header=BB308_274 Depth=1
	v_dual_lshrrev_b32 v5, 3, v55 :: v_dual_bitop2_b32 v16, 7, v4 bitop3:0x40
	s_mov_b32 s37, exec_lo
	v_cmpx_gt_u32_e32 8, v55
; %bb.480:                              ;   in Loop: Header=BB308_274 Depth=1
	s_delay_alu instid0(VALU_DEP_2) | instskip(NEXT) | instid1(VALU_DEP_1)
	v_clz_i32_u32_e32 v5, v16
	v_min_u32_e32 v5, 32, v5
	s_delay_alu instid0(VALU_DEP_1) | instskip(NEXT) | instid1(VALU_DEP_1)
	v_subrev_nc_u32_e32 v23, 28, v5
	v_lshlrev_b64_e32 v[56:57], v23, v[16:17]
	s_delay_alu instid0(VALU_DEP_1)
	v_dual_sub_nc_u32 v5, 29, v5 :: v_dual_bitop2_b32 v16, 7, v56 bitop3:0x40
; %bb.481:                              ;   in Loop: Header=BB308_274 Depth=1
	s_or_b32 exec_lo, exec_lo, s37
	v_lshlrev_b32_e32 v4, 24, v4
	s_delay_alu instid0(VALU_DEP_2) | instskip(NEXT) | instid1(VALU_DEP_3)
	v_lshlrev_b32_e32 v16, 20, v16
	v_lshl_add_u32 v5, v5, 23, 0x3c000000
	s_delay_alu instid0(VALU_DEP_3) | instskip(NEXT) | instid1(VALU_DEP_1)
	v_and_b32_e32 v4, 0x80000000, v4
	v_or3_b32 v23, v16, v4, v5
.LBB308_482:                            ;   in Loop: Header=BB308_274 Depth=1
	s_or_b32 exec_lo, exec_lo, s36
.LBB308_483:                            ;   in Loop: Header=BB308_274 Depth=1
	s_delay_alu instid0(SALU_CYCLE_1)
	s_or_b32 exec_lo, exec_lo, s25
.LBB308_484:                            ;   in Loop: Header=BB308_274 Depth=1
	s_delay_alu instid0(SALU_CYCLE_1) | instskip(NEXT) | instid1(SALU_CYCLE_1)
	s_or_b32 exec_lo, exec_lo, s24
	s_mov_b32 s24, exec_lo
	v_cmpx_lt_u32_e32 0xffffff, v2
	s_cbranch_execz .LBB308_492
; %bb.485:                              ;   in Loop: Header=BB308_274 Depth=1
	v_lshrrev_b32_e32 v4, 24, v2
	v_bfrev_b32_e32 v54, 1
	s_mov_b32 s25, exec_lo
	s_delay_alu instid0(VALU_DEP_2)
	v_cmpx_ne_u32_e32 0x80, v4
	s_cbranch_execz .LBB308_491
; %bb.486:                              ;   in Loop: Header=BB308_274 Depth=1
	v_bfe_u32 v55, v2, 24, 7
	v_mov_b32_e32 v54, 0x7f800001
	s_mov_b32 s36, exec_lo
	s_delay_alu instid0(VALU_DEP_2)
	v_cmpx_ne_u32_e32 0x7f, v55
	s_cbranch_execz .LBB308_490
; %bb.487:                              ;   in Loop: Header=BB308_274 Depth=1
	v_dual_lshrrev_b32 v5, 3, v55 :: v_dual_bitop2_b32 v16, 7, v4 bitop3:0x40
	s_mov_b32 s37, exec_lo
	v_cmpx_gt_u32_e32 8, v55
; %bb.488:                              ;   in Loop: Header=BB308_274 Depth=1
	s_delay_alu instid0(VALU_DEP_2) | instskip(NEXT) | instid1(VALU_DEP_1)
	v_clz_i32_u32_e32 v5, v16
	v_min_u32_e32 v5, 32, v5
	s_delay_alu instid0(VALU_DEP_1) | instskip(NEXT) | instid1(VALU_DEP_1)
	v_subrev_nc_u32_e32 v54, 28, v5
	v_lshlrev_b64_e32 v[54:55], v54, v[16:17]
	s_delay_alu instid0(VALU_DEP_1)
	v_dual_sub_nc_u32 v5, 29, v5 :: v_dual_bitop2_b32 v16, 7, v54 bitop3:0x40
; %bb.489:                              ;   in Loop: Header=BB308_274 Depth=1
	s_or_b32 exec_lo, exec_lo, s37
	v_lshlrev_b32_e32 v4, 24, v4
	s_delay_alu instid0(VALU_DEP_2) | instskip(NEXT) | instid1(VALU_DEP_3)
	v_lshlrev_b32_e32 v16, 20, v16
	v_lshl_add_u32 v5, v5, 23, 0x3c000000
	s_delay_alu instid0(VALU_DEP_3) | instskip(NEXT) | instid1(VALU_DEP_1)
	v_and_b32_e32 v4, 0x80000000, v4
	v_or3_b32 v54, v16, v4, v5
.LBB308_490:                            ;   in Loop: Header=BB308_274 Depth=1
	s_or_b32 exec_lo, exec_lo, s36
.LBB308_491:                            ;   in Loop: Header=BB308_274 Depth=1
	s_delay_alu instid0(SALU_CYCLE_1)
	s_or_b32 exec_lo, exec_lo, s25
.LBB308_492:                            ;   in Loop: Header=BB308_274 Depth=1
	s_delay_alu instid0(SALU_CYCLE_1) | instskip(SKIP_4) | instid1(VALU_DEP_3)
	s_or_b32 exec_lo, exec_lo, s24
	v_and_b32_e32 v5, 0xff, v3
	v_dual_mov_b32 v16, v3 :: v_dual_mov_b32 v4, 0
	v_mov_b32_e32 v55, 0
	s_mov_b32 s24, exec_lo
	v_cmpx_ne_u16_e32 0, v5
	s_cbranch_execz .LBB308_498
; %bb.493:                              ;   in Loop: Header=BB308_274 Depth=1
	v_bfrev_b32_e32 v55, 1
	s_mov_b32 s25, exec_lo
	v_cmpx_ne_u16_e32 0x80, v5
	s_cbranch_execz .LBB308_497
; %bb.494:                              ;   in Loop: Header=BB308_274 Depth=1
	v_and_b32_e32 v5, 0x7f, v3
	v_mov_b32_e32 v55, 0x7f800001
	s_mov_b32 s36, exec_lo
	s_delay_alu instid0(VALU_DEP_2)
	v_cmpx_ne_u32_e32 0x7f, v5
	s_cbranch_execz .LBB308_496
; %bb.495:                              ;   in Loop: Header=BB308_274 Depth=1
	v_dual_lshrrev_b32 v56, 3, v5 :: v_dual_bitop2_b32 v55, 7, v3 bitop3:0x40
	v_cmp_gt_u32_e64 s1, 8, v5
	s_delay_alu instid0(VALU_DEP_2) | instskip(NEXT) | instid1(VALU_DEP_1)
	v_clz_i32_u32_e32 v55, v55
	v_min_u32_e32 v55, 32, v55
	s_delay_alu instid0(VALU_DEP_1) | instskip(SKIP_1) | instid1(VALU_DEP_1)
	v_subrev_nc_u32_e32 v57, 28, v55
	v_sub_nc_u32_e32 v55, 29, v55
	v_dual_cndmask_b32 v5, v56, v55, s1 :: v_dual_cndmask_b32 v55, 0, v57, s1
	s_delay_alu instid0(VALU_DEP_1) | instskip(NEXT) | instid1(VALU_DEP_2)
	v_lshl_add_u32 v5, v5, 23, 0x3c000000
	v_lshlrev_b64_e32 v[56:57], v55, v[16:17]
	v_lshlrev_b32_e32 v55, 24, v16
	s_delay_alu instid0(VALU_DEP_1) | instskip(NEXT) | instid1(VALU_DEP_3)
	v_and_b32_e32 v55, 0x80000000, v55
	v_lshlrev_b32_e32 v56, 20, v56
	s_delay_alu instid0(VALU_DEP_1) | instskip(NEXT) | instid1(VALU_DEP_1)
	v_and_b32_e32 v56, 0x700000, v56
	v_or3_b32 v55, v56, v55, v5
.LBB308_496:                            ;   in Loop: Header=BB308_274 Depth=1
	s_or_b32 exec_lo, exec_lo, s36
.LBB308_497:                            ;   in Loop: Header=BB308_274 Depth=1
	s_delay_alu instid0(SALU_CYCLE_1)
	s_or_b32 exec_lo, exec_lo, s25
.LBB308_498:                            ;   in Loop: Header=BB308_274 Depth=1
	s_delay_alu instid0(SALU_CYCLE_1) | instskip(SKIP_2) | instid1(VALU_DEP_1)
	s_or_b32 exec_lo, exec_lo, s24
	v_lshrrev_b16 v5, 8, v16
	s_mov_b32 s24, exec_lo
	v_cmpx_ne_u16_e32 0, v5
	s_cbranch_execz .LBB308_506
; %bb.499:                              ;   in Loop: Header=BB308_274 Depth=1
	v_bfrev_b32_e32 v4, 1
	s_mov_b32 s25, exec_lo
	v_cmpx_ne_u16_e32 0x80, v5
	s_cbranch_execz .LBB308_505
; %bb.500:                              ;   in Loop: Header=BB308_274 Depth=1
	v_and_b32_e32 v5, 0xffff, v5
	v_mov_b32_e32 v4, 0x7f800001
	s_mov_b32 s36, exec_lo
	s_delay_alu instid0(VALU_DEP_2) | instskip(NEXT) | instid1(VALU_DEP_1)
	v_and_b32_e32 v57, 0x7f, v5
	v_cmpx_ne_u32_e32 0x7f, v57
	s_cbranch_execz .LBB308_504
; %bb.501:                              ;   in Loop: Header=BB308_274 Depth=1
	v_dual_mov_b32 v5, v17 :: v_dual_bitop2_b32 v4, 7, v5 bitop3:0x40
	v_lshrrev_b32_e32 v56, 3, v57
	s_mov_b32 s37, exec_lo
	v_cmpx_gt_u32_e32 8, v57
; %bb.502:                              ;   in Loop: Header=BB308_274 Depth=1
	s_delay_alu instid0(VALU_DEP_3) | instskip(NEXT) | instid1(VALU_DEP_1)
	v_clz_i32_u32_e32 v56, v4
	v_min_u32_e32 v56, 32, v56
	s_delay_alu instid0(VALU_DEP_1) | instskip(SKIP_1) | instid1(VALU_DEP_2)
	v_subrev_nc_u32_e32 v57, 28, v56
	v_sub_nc_u32_e32 v56, 29, v56
	v_lshlrev_b64_e32 v[4:5], v57, v[4:5]
	s_delay_alu instid0(VALU_DEP_1)
	v_and_b32_e32 v4, 7, v4
; %bb.503:                              ;   in Loop: Header=BB308_274 Depth=1
	s_or_b32 exec_lo, exec_lo, s37
	v_lshlrev_b32_e32 v5, 16, v16
	s_delay_alu instid0(VALU_DEP_2) | instskip(SKIP_1) | instid1(VALU_DEP_3)
	v_lshlrev_b32_e32 v4, 20, v4
	v_lshl_add_u32 v16, v56, 23, 0x3c000000
	v_and_b32_e32 v5, 0x80000000, v5
	s_delay_alu instid0(VALU_DEP_1)
	v_or3_b32 v4, v4, v5, v16
.LBB308_504:                            ;   in Loop: Header=BB308_274 Depth=1
	s_or_b32 exec_lo, exec_lo, s36
.LBB308_505:                            ;   in Loop: Header=BB308_274 Depth=1
	s_delay_alu instid0(SALU_CYCLE_1)
	s_or_b32 exec_lo, exec_lo, s25
.LBB308_506:                            ;   in Loop: Header=BB308_274 Depth=1
	s_delay_alu instid0(SALU_CYCLE_1) | instskip(SKIP_3) | instid1(VALU_DEP_2)
	s_or_b32 exec_lo, exec_lo, s24
	v_dual_lshrrev_b32 v57, 16, v3 :: v_dual_mov_b32 v5, 0
	v_mov_b32_e32 v56, 0
	s_mov_b32 s24, exec_lo
	v_and_b32_e32 v16, 0xff, v57
	s_delay_alu instid0(VALU_DEP_1)
	v_cmpx_ne_u16_e32 0, v16
	s_cbranch_execz .LBB308_514
; %bb.507:                              ;   in Loop: Header=BB308_274 Depth=1
	v_bfrev_b32_e32 v56, 1
	s_mov_b32 s25, exec_lo
	v_cmpx_ne_u16_e32 0x80, v16
	s_cbranch_execz .LBB308_513
; %bb.508:                              ;   in Loop: Header=BB308_274 Depth=1
	v_bfe_u32 v58, v3, 16, 7
	v_mov_b32_e32 v56, 0x7f800001
	s_mov_b32 s36, exec_lo
	s_delay_alu instid0(VALU_DEP_2)
	v_cmpx_ne_u32_e32 0x7f, v58
	s_cbranch_execz .LBB308_512
; %bb.509:                              ;   in Loop: Header=BB308_274 Depth=1
	v_dual_lshrrev_b32 v56, 3, v58 :: v_dual_bitop2_b32 v16, 7, v57 bitop3:0x40
	s_mov_b32 s37, exec_lo
	v_cmpx_gt_u32_e32 8, v58
; %bb.510:                              ;   in Loop: Header=BB308_274 Depth=1
	s_delay_alu instid0(VALU_DEP_2) | instskip(NEXT) | instid1(VALU_DEP_1)
	v_clz_i32_u32_e32 v56, v16
	v_min_u32_e32 v56, 32, v56
	s_delay_alu instid0(VALU_DEP_1) | instskip(NEXT) | instid1(VALU_DEP_1)
	v_subrev_nc_u32_e32 v58, 28, v56
	v_lshlrev_b64_e32 v[58:59], v58, v[16:17]
	s_delay_alu instid0(VALU_DEP_1)
	v_dual_sub_nc_u32 v56, 29, v56 :: v_dual_bitop2_b32 v16, 7, v58 bitop3:0x40
; %bb.511:                              ;   in Loop: Header=BB308_274 Depth=1
	s_or_b32 exec_lo, exec_lo, s37
	s_delay_alu instid0(VALU_DEP_1) | instskip(NEXT) | instid1(VALU_DEP_2)
	v_dual_lshlrev_b32 v57, 24, v57 :: v_dual_lshlrev_b32 v16, 20, v16
	v_lshl_add_u32 v56, v56, 23, 0x3c000000
	s_delay_alu instid0(VALU_DEP_2) | instskip(NEXT) | instid1(VALU_DEP_1)
	v_and_b32_e32 v57, 0x80000000, v57
	v_or3_b32 v56, v16, v57, v56
.LBB308_512:                            ;   in Loop: Header=BB308_274 Depth=1
	s_or_b32 exec_lo, exec_lo, s36
.LBB308_513:                            ;   in Loop: Header=BB308_274 Depth=1
	s_delay_alu instid0(SALU_CYCLE_1)
	s_or_b32 exec_lo, exec_lo, s25
.LBB308_514:                            ;   in Loop: Header=BB308_274 Depth=1
	s_delay_alu instid0(SALU_CYCLE_1) | instskip(NEXT) | instid1(SALU_CYCLE_1)
	s_or_b32 exec_lo, exec_lo, s24
	s_mov_b32 s24, exec_lo
	v_cmpx_lt_u64_e64 s[2:3], v[2:3]
	s_cbranch_execz .LBB308_522
; %bb.515:                              ;   in Loop: Header=BB308_274 Depth=1
	v_lshrrev_b32_e32 v2, 24, v3
	v_bfrev_b32_e32 v5, 1
	s_mov_b32 s25, exec_lo
	s_delay_alu instid0(VALU_DEP_2)
	v_cmpx_ne_u32_e32 0x80, v2
	s_cbranch_execz .LBB308_521
; %bb.516:                              ;   in Loop: Header=BB308_274 Depth=1
	v_bfe_u32 v57, v3, 24, 7
	v_mov_b32_e32 v5, 0x7f800001
	s_mov_b32 s36, exec_lo
	s_delay_alu instid0(VALU_DEP_2)
	v_cmpx_ne_u32_e32 0x7f, v57
	s_cbranch_execz .LBB308_520
; %bb.517:                              ;   in Loop: Header=BB308_274 Depth=1
	v_dual_lshrrev_b32 v3, 3, v57 :: v_dual_bitop2_b32 v16, 7, v2 bitop3:0x40
	s_mov_b32 s37, exec_lo
	v_cmpx_gt_u32_e32 8, v57
; %bb.518:                              ;   in Loop: Header=BB308_274 Depth=1
	s_delay_alu instid0(VALU_DEP_2) | instskip(NEXT) | instid1(VALU_DEP_1)
	v_clz_i32_u32_e32 v3, v16
	v_min_u32_e32 v3, 32, v3
	s_delay_alu instid0(VALU_DEP_1) | instskip(NEXT) | instid1(VALU_DEP_1)
	v_subrev_nc_u32_e32 v5, 28, v3
	v_lshlrev_b64_e32 v[58:59], v5, v[16:17]
	s_delay_alu instid0(VALU_DEP_1)
	v_dual_sub_nc_u32 v3, 29, v3 :: v_dual_bitop2_b32 v16, 7, v58 bitop3:0x40
; %bb.519:                              ;   in Loop: Header=BB308_274 Depth=1
	s_or_b32 exec_lo, exec_lo, s37
	s_delay_alu instid0(VALU_DEP_1) | instskip(NEXT) | instid1(VALU_DEP_2)
	v_dual_lshlrev_b32 v2, 24, v2 :: v_dual_lshlrev_b32 v5, 20, v16
	v_lshl_add_u32 v3, v3, 23, 0x3c000000
	s_delay_alu instid0(VALU_DEP_2) | instskip(NEXT) | instid1(VALU_DEP_1)
	v_and_b32_e32 v2, 0x80000000, v2
	v_or3_b32 v5, v5, v2, v3
.LBB308_520:                            ;   in Loop: Header=BB308_274 Depth=1
	s_or_b32 exec_lo, exec_lo, s36
.LBB308_521:                            ;   in Loop: Header=BB308_274 Depth=1
	s_delay_alu instid0(SALU_CYCLE_1)
	s_or_b32 exec_lo, exec_lo, s25
.LBB308_522:                            ;   in Loop: Header=BB308_274 Depth=1
	s_delay_alu instid0(SALU_CYCLE_1)
	s_or_b32 exec_lo, exec_lo, s24
	v_fma_mixlo_bf16 v2, s22, v4, 0
	v_fma_mixlo_bf16 v3, s22, v55, 0
	;; [unrolled: 1-line block ×8, first 2 shown]
	s_and_saveexec_b32 s1, s0
	s_cbranch_execz .LBB308_271
; %bb.523:                              ;   in Loop: Header=BB308_274 Depth=1
	v_dual_add_nc_u32 v54, 1, v14 :: v_dual_add_nc_u32 v55, 2, v14
	v_cmp_gt_i32_e64 s0, s34, v14
	s_delay_alu instid0(VALU_DEP_1) | instskip(NEXT) | instid1(VALU_DEP_3)
	v_dual_add_nc_u32 v56, 3, v14 :: v_dual_cndmask_b32 v9, 0, v9, s0
	v_cmp_gt_i32_e64 s0, s34, v54
	s_delay_alu instid0(VALU_DEP_1) | instskip(SKIP_1) | instid1(VALU_DEP_1)
	v_cndmask_b32_e64 v22, 0, v22, s0
	v_cmp_gt_i32_e64 s0, s34, v55
	v_dual_add_nc_u32 v55, 5, v14 :: v_dual_cndmask_b32 v23, 0, v23, s0
	v_cmp_gt_i32_e64 s0, s34, v56
	v_dual_add_nc_u32 v54, 4, v14 :: v_dual_add_nc_u32 v56, 6, v14
	s_delay_alu instid0(VALU_DEP_2) | instskip(NEXT) | instid1(VALU_DEP_2)
	v_cndmask_b32_e64 v16, 0, v16, s0
	v_cmp_gt_i32_e64 s0, s34, v54
	s_delay_alu instid0(VALU_DEP_1) | instskip(SKIP_1) | instid1(VALU_DEP_1)
	v_dual_add_nc_u32 v54, 7, v14 :: v_dual_cndmask_b32 v3, 0, v3, s0
	v_cmp_gt_i32_e64 s0, s34, v55
	v_cndmask_b32_e64 v2, 0, v2, s0
	v_cmp_gt_i32_e64 s0, s34, v56
	s_delay_alu instid0(VALU_DEP_1) | instskip(SKIP_1) | instid1(VALU_DEP_1)
	v_cndmask_b32_e64 v4, 0, v4, s0
	v_cmp_gt_i32_e64 s0, s34, v54
	v_cndmask_b32_e64 v5, 0, v5, s0
	s_branch .LBB308_271
.LBB308_524:
	s_or_b32 exec_lo, exec_lo, s18
.LBB308_525:
	s_delay_alu instid0(SALU_CYCLE_1)
	s_or_b32 exec_lo, exec_lo, s27
	s_movk_i32 s0, 0x1c0
	v_and_b32_e32 v2, 0x3c0, v0
	v_mad_u32_u24 v6, v1, s0, 0x100
	v_or_b32_e32 v1, 0x60, v0
	s_mov_b32 s0, exec_lo
	s_barrier_signal -1
	s_barrier_wait -1
	v_cmpx_eq_u32_e32 64, v2
	s_cbranch_execz .LBB308_528
; %bb.526:
	v_add_nc_u32_e32 v2, 0xfffffc80, v6
	v_cmp_gt_u32_e32 vcc_lo, 0x70, v1
	s_delay_alu instid0(VALU_DEP_2)
	v_lshl_add_u32 v3, v30, 2, v2
	ds_store_2addr_b32 v3, v10, v11 offset1:32
	ds_store_b32 v3, v32 offset:256
	s_and_b32 exec_lo, exec_lo, vcc_lo
; %bb.527:
	v_lshl_add_u32 v2, v1, 2, v2
	ds_store_b32 v2, v33
.LBB308_528:
	s_or_b32 exec_lo, exec_lo, s0
	v_lshl_add_u32 v7, v30, 2, v6
	s_mov_b32 s0, exec_lo
	s_wait_dscnt 0x0
	s_barrier_signal -1
	s_barrier_wait -1
	v_cmpx_gt_u32_e32 64, v0
	s_cbranch_execz .LBB308_532
; %bb.529:
	v_lshl_or_b32 v4, v0, 2, 0x80
	ds_load_2addr_stride64_b32 v[2:3], v7 offset1:1
	s_mov_b32 s1, exec_lo
	v_add_nc_u32_e32 v4, v6, v4
	ds_load_b32 v5, v4
	s_wait_dscnt 0x1
	v_mov_b32_e32 v4, v2
	v_cmpx_gt_u32_e32 0x70, v1
	s_cbranch_execz .LBB308_531
; %bb.530:
	v_lshl_add_u32 v2, v1, 2, v6
	ds_load_b32 v2, v2
	s_wait_dscnt 0x0
	v_add_f32_e32 v33, v33, v2
.LBB308_531:
	s_or_b32 exec_lo, exec_lo, s1
	s_wait_dscnt 0x0
	v_pk_add_f32 v[10:11], v[10:11], v[4:5]
	v_add_f32_e32 v32, v32, v3
.LBB308_532:
	s_or_b32 exec_lo, exec_lo, s0
	v_and_b32_e32 v2, 0x3e0, v0
	s_mov_b32 s0, exec_lo
	s_barrier_signal -1
	s_barrier_wait -1
	s_delay_alu instid0(VALU_DEP_1)
	v_cmpx_eq_u32_e32 32, v2
	s_cbranch_execz .LBB308_535
; %bb.533:
	v_lshl_add_u32 v2, v30, 2, 0x100
	v_cmp_gt_u32_e32 vcc_lo, 0x70, v1
	ds_store_b32 v2, v10
	ds_store_b32 v31, v11
	ds_store_b32 v2, v32 offset:256
	s_and_b32 exec_lo, exec_lo, vcc_lo
; %bb.534:
	v_lshl_add_u32 v2, v1, 2, 0x100
	ds_store_b32 v2, v33
.LBB308_535:
	s_or_b32 exec_lo, exec_lo, s0
	v_cmp_gt_u32_e32 vcc_lo, 32, v0
	s_wait_dscnt 0x0
	s_barrier_signal -1
	s_barrier_wait -1
	s_and_saveexec_b32 s1, vcc_lo
	s_cbranch_execz .LBB308_539
; %bb.536:
	v_lshl_add_u32 v6, v0, 2, v6
	s_mov_b32 s2, exec_lo
	ds_load_2addr_b32 v[2:3], v6 offset0:32 offset1:64
	ds_load_b32 v4, v7
	s_wait_dscnt 0x1
	v_mov_b32_e32 v5, v2
	v_cmpx_gt_u32_e32 0x70, v1
	s_cbranch_execz .LBB308_538
; %bb.537:
	ds_load_b32 v2, v6 offset:384
	s_wait_dscnt 0x0
	v_add_f32_e32 v33, v33, v2
.LBB308_538:
	s_or_b32 exec_lo, exec_lo, s2
	s_wait_dscnt 0x0
	v_pk_add_f32 v[10:11], v[10:11], v[4:5]
	v_add_f32_e32 v32, v32, v3
.LBB308_539:
	s_or_b32 exec_lo, exec_lo, s1
	s_barrier_signal -1
	s_barrier_wait -1
	s_and_saveexec_b32 s0, vcc_lo
	s_cbranch_execz .LBB308_542
; %bb.540:
	s_mul_i32 s1, s33, s7
	s_mul_i32 s0, s7, s6
	;; [unrolled: 1-line block ×3, first 2 shown]
	s_bfe_u32 s7, ttmp6, 0x40014
	s_mul_i32 s2, s1, 0x70
	s_lshr_b32 s6, ttmp7, 16
	s_ashr_i32 s3, s2, 31
	s_add_co_i32 s7, s7, 1
	s_lshl_b64 s[2:3], s[2:3], 1
	s_ashr_i32 s1, s0, 31
	s_wait_kmcnt 0x0
	s_add_nc_u64 s[2:3], s[4:5], s[2:3]
	s_mul_i32 s4, s6, s7
	s_bfe_u32 s5, ttmp6, 0x40008
	s_lshl_b64 s[0:1], s[0:1], 1
	s_add_co_i32 s5, s5, s4
	s_cmp_eq_u32 s30, 0
	s_add_nc_u64 s[0:1], s[2:3], s[0:1]
	s_cselect_b32 s2, s6, s5
	s_mov_b32 s3, 0
	s_mulk_i32 s2, 0xe0
	v_cmp_gt_u32_e32 vcc_lo, 0x70, v1
	s_add_nc_u64 s[0:1], s[0:1], s[2:3]
	s_delay_alu instid0(SALU_CYCLE_1)
	v_cvt_pk_bf16_f32 v2, v10, s0
	v_cvt_pk_bf16_f32 v3, v11, s0
	;; [unrolled: 1-line block ×3, first 2 shown]
	s_clause 0x2
	global_store_b16 v0, v2, s[0:1] scale_offset
	global_store_b16 v0, v3, s[0:1] offset:64 scale_offset
	global_store_b16 v0, v4, s[0:1] offset:128 scale_offset
	s_wait_xcnt 0x0
	s_and_b32 exec_lo, exec_lo, vcc_lo
	s_cbranch_execz .LBB308_542
; %bb.541:
	v_dual_mov_b32 v1, 0 :: v_dual_lshlrev_b32 v0, 1, v0
	v_cvt_pk_bf16_f32 v2, v33, s0
	s_delay_alu instid0(VALU_DEP_2)
	v_add_nc_u64_e32 v[0:1], s[0:1], v[0:1]
	global_store_b16 v[0:1], v2, off offset:192
.LBB308_542:
	s_endpgm
	.section	.rodata,"a",@progbits
	.p2align	6, 0x0
	.amdhsa_kernel _ZN4vllm25paged_attention_v1_kernelI14__hip_bfloat16hLi112ELi8ELi128ELNS_18Fp8KVCacheDataTypeE1ELb1EEEvPT_PKS3_PKT0_S9_ifPKiSB_iPKfiiiSD_SD_iiiii
		.amdhsa_group_segment_fixed_size 256
		.amdhsa_private_segment_fixed_size 0
		.amdhsa_kernarg_size 384
		.amdhsa_user_sgpr_count 2
		.amdhsa_user_sgpr_dispatch_ptr 0
		.amdhsa_user_sgpr_queue_ptr 0
		.amdhsa_user_sgpr_kernarg_segment_ptr 1
		.amdhsa_user_sgpr_dispatch_id 0
		.amdhsa_user_sgpr_kernarg_preload_length 0
		.amdhsa_user_sgpr_kernarg_preload_offset 0
		.amdhsa_user_sgpr_private_segment_size 0
		.amdhsa_wavefront_size32 1
		.amdhsa_uses_dynamic_stack 0
		.amdhsa_enable_private_segment 0
		.amdhsa_system_sgpr_workgroup_id_x 1
		.amdhsa_system_sgpr_workgroup_id_y 1
		.amdhsa_system_sgpr_workgroup_id_z 1
		.amdhsa_system_sgpr_workgroup_info 0
		.amdhsa_system_vgpr_workitem_id 0
		.amdhsa_next_free_vgpr 64
		.amdhsa_next_free_sgpr 46
		.amdhsa_named_barrier_count 0
		.amdhsa_reserve_vcc 1
		.amdhsa_float_round_mode_32 0
		.amdhsa_float_round_mode_16_64 0
		.amdhsa_float_denorm_mode_32 3
		.amdhsa_float_denorm_mode_16_64 3
		.amdhsa_fp16_overflow 0
		.amdhsa_memory_ordered 1
		.amdhsa_forward_progress 1
		.amdhsa_inst_pref_size 161
		.amdhsa_round_robin_scheduling 0
		.amdhsa_exception_fp_ieee_invalid_op 0
		.amdhsa_exception_fp_denorm_src 0
		.amdhsa_exception_fp_ieee_div_zero 0
		.amdhsa_exception_fp_ieee_overflow 0
		.amdhsa_exception_fp_ieee_underflow 0
		.amdhsa_exception_fp_ieee_inexact 0
		.amdhsa_exception_int_div_zero 0
	.end_amdhsa_kernel
	.section	.text._ZN4vllm25paged_attention_v1_kernelI14__hip_bfloat16hLi112ELi8ELi128ELNS_18Fp8KVCacheDataTypeE1ELb1EEEvPT_PKS3_PKT0_S9_ifPKiSB_iPKfiiiSD_SD_iiiii,"axG",@progbits,_ZN4vllm25paged_attention_v1_kernelI14__hip_bfloat16hLi112ELi8ELi128ELNS_18Fp8KVCacheDataTypeE1ELb1EEEvPT_PKS3_PKT0_S9_ifPKiSB_iPKfiiiSD_SD_iiiii,comdat
.Lfunc_end308:
	.size	_ZN4vllm25paged_attention_v1_kernelI14__hip_bfloat16hLi112ELi8ELi128ELNS_18Fp8KVCacheDataTypeE1ELb1EEEvPT_PKS3_PKT0_S9_ifPKiSB_iPKfiiiSD_SD_iiiii, .Lfunc_end308-_ZN4vllm25paged_attention_v1_kernelI14__hip_bfloat16hLi112ELi8ELi128ELNS_18Fp8KVCacheDataTypeE1ELb1EEEvPT_PKS3_PKT0_S9_ifPKiSB_iPKfiiiSD_SD_iiiii
                                        ; -- End function
	.set _ZN4vllm25paged_attention_v1_kernelI14__hip_bfloat16hLi112ELi8ELi128ELNS_18Fp8KVCacheDataTypeE1ELb1EEEvPT_PKS3_PKT0_S9_ifPKiSB_iPKfiiiSD_SD_iiiii.num_vgpr, 64
	.set _ZN4vllm25paged_attention_v1_kernelI14__hip_bfloat16hLi112ELi8ELi128ELNS_18Fp8KVCacheDataTypeE1ELb1EEEvPT_PKS3_PKT0_S9_ifPKiSB_iPKfiiiSD_SD_iiiii.num_agpr, 0
	.set _ZN4vllm25paged_attention_v1_kernelI14__hip_bfloat16hLi112ELi8ELi128ELNS_18Fp8KVCacheDataTypeE1ELb1EEEvPT_PKS3_PKT0_S9_ifPKiSB_iPKfiiiSD_SD_iiiii.numbered_sgpr, 46
	.set _ZN4vllm25paged_attention_v1_kernelI14__hip_bfloat16hLi112ELi8ELi128ELNS_18Fp8KVCacheDataTypeE1ELb1EEEvPT_PKS3_PKT0_S9_ifPKiSB_iPKfiiiSD_SD_iiiii.num_named_barrier, 0
	.set _ZN4vllm25paged_attention_v1_kernelI14__hip_bfloat16hLi112ELi8ELi128ELNS_18Fp8KVCacheDataTypeE1ELb1EEEvPT_PKS3_PKT0_S9_ifPKiSB_iPKfiiiSD_SD_iiiii.private_seg_size, 0
	.set _ZN4vllm25paged_attention_v1_kernelI14__hip_bfloat16hLi112ELi8ELi128ELNS_18Fp8KVCacheDataTypeE1ELb1EEEvPT_PKS3_PKT0_S9_ifPKiSB_iPKfiiiSD_SD_iiiii.uses_vcc, 1
	.set _ZN4vllm25paged_attention_v1_kernelI14__hip_bfloat16hLi112ELi8ELi128ELNS_18Fp8KVCacheDataTypeE1ELb1EEEvPT_PKS3_PKT0_S9_ifPKiSB_iPKfiiiSD_SD_iiiii.uses_flat_scratch, 0
	.set _ZN4vllm25paged_attention_v1_kernelI14__hip_bfloat16hLi112ELi8ELi128ELNS_18Fp8KVCacheDataTypeE1ELb1EEEvPT_PKS3_PKT0_S9_ifPKiSB_iPKfiiiSD_SD_iiiii.has_dyn_sized_stack, 0
	.set _ZN4vllm25paged_attention_v1_kernelI14__hip_bfloat16hLi112ELi8ELi128ELNS_18Fp8KVCacheDataTypeE1ELb1EEEvPT_PKS3_PKT0_S9_ifPKiSB_iPKfiiiSD_SD_iiiii.has_recursion, 0
	.set _ZN4vllm25paged_attention_v1_kernelI14__hip_bfloat16hLi112ELi8ELi128ELNS_18Fp8KVCacheDataTypeE1ELb1EEEvPT_PKS3_PKT0_S9_ifPKiSB_iPKfiiiSD_SD_iiiii.has_indirect_call, 0
	.section	.AMDGPU.csdata,"",@progbits
; Kernel info:
; codeLenInByte = 20488
; TotalNumSgprs: 48
; NumVgprs: 64
; ScratchSize: 0
; MemoryBound: 0
; FloatMode: 240
; IeeeMode: 1
; LDSByteSize: 256 bytes/workgroup (compile time only)
; SGPRBlocks: 0
; VGPRBlocks: 3
; NumSGPRsForWavesPerEU: 48
; NumVGPRsForWavesPerEU: 64
; NamedBarCnt: 0
; Occupancy: 16
; WaveLimiterHint : 1
; COMPUTE_PGM_RSRC2:SCRATCH_EN: 0
; COMPUTE_PGM_RSRC2:USER_SGPR: 2
; COMPUTE_PGM_RSRC2:TRAP_HANDLER: 0
; COMPUTE_PGM_RSRC2:TGID_X_EN: 1
; COMPUTE_PGM_RSRC2:TGID_Y_EN: 1
; COMPUTE_PGM_RSRC2:TGID_Z_EN: 1
; COMPUTE_PGM_RSRC2:TIDIG_COMP_CNT: 0
	.section	.text._ZN4vllm25paged_attention_v1_kernelI14__hip_bfloat16hLi120ELi8ELi128ELNS_18Fp8KVCacheDataTypeE1ELb1EEEvPT_PKS3_PKT0_S9_ifPKiSB_iPKfiiiSD_SD_iiiii,"axG",@progbits,_ZN4vllm25paged_attention_v1_kernelI14__hip_bfloat16hLi120ELi8ELi128ELNS_18Fp8KVCacheDataTypeE1ELb1EEEvPT_PKS3_PKT0_S9_ifPKiSB_iPKfiiiSD_SD_iiiii,comdat
	.protected	_ZN4vllm25paged_attention_v1_kernelI14__hip_bfloat16hLi120ELi8ELi128ELNS_18Fp8KVCacheDataTypeE1ELb1EEEvPT_PKS3_PKT0_S9_ifPKiSB_iPKfiiiSD_SD_iiiii ; -- Begin function _ZN4vllm25paged_attention_v1_kernelI14__hip_bfloat16hLi120ELi8ELi128ELNS_18Fp8KVCacheDataTypeE1ELb1EEEvPT_PKS3_PKT0_S9_ifPKiSB_iPKfiiiSD_SD_iiiii
	.globl	_ZN4vllm25paged_attention_v1_kernelI14__hip_bfloat16hLi120ELi8ELi128ELNS_18Fp8KVCacheDataTypeE1ELb1EEEvPT_PKS3_PKT0_S9_ifPKiSB_iPKfiiiSD_SD_iiiii
	.p2align	8
	.type	_ZN4vllm25paged_attention_v1_kernelI14__hip_bfloat16hLi120ELi8ELi128ELNS_18Fp8KVCacheDataTypeE1ELb1EEEvPT_PKS3_PKT0_S9_ifPKiSB_iPKfiiiSD_SD_iiiii,@function
_ZN4vllm25paged_attention_v1_kernelI14__hip_bfloat16hLi120ELi8ELi128ELNS_18Fp8KVCacheDataTypeE1ELb1EEEvPT_PKS3_PKT0_S9_ifPKiSB_iPKfiiiSD_SD_iiiii: ; @_ZN4vllm25paged_attention_v1_kernelI14__hip_bfloat16hLi120ELi8ELi128ELNS_18Fp8KVCacheDataTypeE1ELb1EEEvPT_PKS3_PKT0_S9_ifPKiSB_iPKfiiiSD_SD_iiiii
; %bb.0:
	s_load_b64 s[26:27], s[0:1], 0x20
	s_bfe_u32 s3, ttmp6, 0x4000c
	s_bfe_u32 s4, ttmp6, 0x40010
	s_and_b32 s6, ttmp7, 0xffff
	s_add_co_i32 s3, s3, 1
	s_add_co_i32 s4, s4, 1
	s_and_b32 s2, ttmp6, 15
	s_bfe_u32 s5, ttmp6, 0x40004
	s_mul_i32 s3, ttmp9, s3
	s_mul_i32 s4, s6, s4
	s_getreg_b32 s30, hwreg(HW_REG_IB_STS2, 6, 4)
	s_add_co_i32 s2, s2, s3
	s_add_co_i32 s3, s5, s4
	s_cmp_eq_u32 s30, 0
	s_clause 0x1
	s_load_b32 s31, s[0:1], 0x80
	s_load_b64 s[4:5], s[0:1], 0x30
	s_cselect_b32 s33, s6, s3
	s_cselect_b32 s2, ttmp9, s2
	s_wait_kmcnt 0x0
	s_abs_i32 s3, s26
	s_delay_alu instid0(SALU_CYCLE_1) | instskip(SKIP_1) | instid1(SALU_CYCLE_2)
	s_cvt_f32_u32 s6, s3
	s_sub_co_i32 s7, 0, s3
	v_rcp_iflag_f32_e32 v1, s6
	s_abs_i32 s8, s31
	v_nop
	s_delay_alu instid0(TRANS32_DEP_1) | instskip(SKIP_1) | instid1(SALU_CYCLE_3)
	v_readfirstlane_b32 s6, v1
	s_mul_f32 s6, s6, 0x4f7ffffe
	s_cvt_u32_f32 s6, s6
	s_delay_alu instid0(SALU_CYCLE_3) | instskip(NEXT) | instid1(SALU_CYCLE_1)
	s_mul_i32 s7, s7, s6
	s_mul_hi_u32 s7, s6, s7
	s_delay_alu instid0(SALU_CYCLE_1) | instskip(SKIP_4) | instid1(SALU_CYCLE_1)
	s_add_co_i32 s6, s6, s7
	s_xor_b32 s7, s31, s26
	s_mul_hi_u32 s6, s8, s6
	s_ashr_i32 s7, s7, 31
	s_mul_i32 s9, s6, s3
	s_sub_co_i32 s8, s8, s9
	s_add_co_i32 s9, s6, 1
	s_sub_co_i32 s10, s8, s3
	s_cmp_ge_u32 s8, s3
	s_cselect_b32 s6, s9, s6
	s_cselect_b32 s8, s10, s8
	s_add_co_i32 s9, s6, 1
	s_cmp_ge_u32 s8, s3
	s_load_b64 s[10:11], s[0:1], 0x40
	s_cselect_b32 s3, s9, s6
	s_mov_b32 s9, 0
	s_xor_b32 s3, s3, s7
	s_abs_i32 s8, s2
	s_sub_co_i32 s12, s3, s7
	s_mov_b32 s7, s9
	s_abs_i32 s19, s12
	s_mov_b32 s36, s9
	s_cvt_f32_u32 s3, s19
	s_sub_co_i32 s6, 0, s19
	s_delay_alu instid0(SALU_CYCLE_2) | instskip(SKIP_1) | instid1(TRANS32_DEP_1)
	v_rcp_iflag_f32_e32 v1, s3
	v_nop
	v_readfirstlane_b32 s3, v1
	s_mul_f32 s3, s3, 0x4f7ffffe
	s_delay_alu instid0(SALU_CYCLE_3) | instskip(NEXT) | instid1(SALU_CYCLE_3)
	s_cvt_u32_f32 s3, s3
	s_mul_i32 s6, s6, s3
	s_delay_alu instid0(SALU_CYCLE_1) | instskip(NEXT) | instid1(SALU_CYCLE_1)
	s_mul_hi_u32 s6, s3, s6
	s_add_co_i32 s6, s3, s6
	s_wait_kmcnt 0x0
	s_cmp_eq_u64 s[10:11], 0
	s_cbranch_scc1 .LBB309_2
; %bb.1:
	s_ashr_i32 s3, s2, 31
	s_delay_alu instid0(SALU_CYCLE_1) | instskip(NEXT) | instid1(SALU_CYCLE_1)
	s_lshl_b64 s[14:15], s[2:3], 2
	s_add_nc_u64 s[10:11], s[10:11], s[14:15]
	s_load_b32 s36, s[10:11], 0x0
.LBB309_2:
	s_load_b32 s34, s[4:5], s33 offset:0x0 scale_offset
	s_load_b96 s[16:18], s[0:1], 0x48
	v_and_b32_e32 v5, 3, v0
	s_wait_xcnt 0x0
	s_mul_u64 s[4:5], s[8:9], s[6:7]
	s_ashr_i32 s3, s2, 31
	s_ashr_i32 s10, s12, 31
	s_mul_i32 s6, s2, 0x78
	s_mov_b32 s4, exec_lo
	v_cmpx_gt_u32_e32 60, v0
	s_cbranch_execz .LBB309_4
; %bb.3:
	s_load_b64 s[12:13], s[0:1], 0x8
	s_wait_kmcnt 0x0
	s_mul_i32 s14, s16, s33
	s_ashr_i32 s7, s6, 31
	s_ashr_i32 s15, s14, 31
	v_and_b32_e32 v2, 0x3fc, v0
	s_lshl_b64 s[14:15], s[14:15], 1
	s_delay_alu instid0(VALU_DEP_1) | instskip(SKIP_2) | instid1(SALU_CYCLE_1)
	v_mad_u32_u24 v2, v5, 60, v2
	s_add_nc_u64 s[12:13], s[12:13], s[14:15]
	s_lshl_b64 s[14:15], s[6:7], 1
	s_add_nc_u64 s[12:13], s[12:13], s[14:15]
	global_load_b32 v1, v0, s[12:13] scale_offset
	s_wait_loadcnt 0x0
	ds_store_b32 v2, v1
.LBB309_4:
	s_or_b32 exec_lo, exec_lo, s4
	s_load_b128 s[12:15], s[0:1], 0x68
	s_mul_i32 s4, s5, s19
	s_xor_b32 s3, s3, s10
	s_sub_co_i32 s4, s8, s4
	s_add_co_i32 s7, s5, 1
	s_sub_co_i32 s8, s4, s19
	s_cmp_ge_u32 s4, s19
	s_mov_b32 s9, -1
	s_cselect_b32 s5, s7, s5
	s_cselect_b32 s4, s8, s4
	s_add_co_i32 s8, s5, 1
	s_cmp_ge_u32 s4, s19
	s_load_b32 s7, s[0:1], 0x78
	s_cselect_b32 s4, s8, s5
	s_wait_kmcnt 0x0
	s_add_co_i32 s8, s34, -1
	s_xor_b32 s4, s4, s3
	s_wait_dscnt 0x0
	s_sub_co_i32 s3, s4, s3
	s_barrier_signal -1
	s_barrier_wait -1
	s_abs_i32 s16, s15
	s_delay_alu instid0(SALU_CYCLE_1) | instskip(NEXT) | instid1(SALU_CYCLE_3)
	s_cvt_f32_u32 s5, s16
                                        ; implicit-def: $sgpr35
	v_rcp_iflag_f32_e32 v1, s5
	v_nop
	s_delay_alu instid0(TRANS32_DEP_1) | instskip(SKIP_1) | instid1(SALU_CYCLE_3)
	v_readfirstlane_b32 s5, v1
	s_mul_f32 s4, s5, 0x4f7ffffe
	s_cvt_u32_f32 s10, s4
	s_sub_co_i32 s4, 0, s16
	s_delay_alu instid0(SALU_CYCLE_2)
	s_mul_i32 s5, s4, s10
	s_abs_i32 s4, s8
	s_mul_hi_u32 s11, s10, s5
	s_mov_b32 s5, 0
	s_add_co_i32 s20, s10, s11
	s_cmp_lt_i32 s7, 0
	s_mov_b32 s21, s5
	s_cbranch_scc0 .LBB309_6
; %bb.5:
	s_mul_i32 s9, s12, s26
	s_delay_alu instid0(SALU_CYCLE_1) | instskip(NEXT) | instid1(SALU_CYCLE_1)
	s_add_co_i32 s9, s3, s9
	s_mul_i32 s9, s9, s7
	s_delay_alu instid0(SALU_CYCLE_1)
	s_sub_co_i32 s35, 1, s9
	s_mov_b32 s9, s5
.LBB309_6:
	s_ashr_i32 s8, s8, 31
	s_ashr_i32 s15, s15, 31
	s_and_not1_b32 vcc_lo, exec_lo, s9
	s_mul_u64 s[28:29], s[4:5], s[20:21]
	s_cbranch_vccnz .LBB309_8
; %bb.7:
	s_mul_i32 s5, s31, s12
	s_delay_alu instid0(SALU_CYCLE_1) | instskip(NEXT) | instid1(SALU_CYCLE_1)
	s_add_co_i32 s2, s5, s2
	s_mul_i32 s2, s2, s7
	s_delay_alu instid0(SALU_CYCLE_1)
	s_add_co_i32 s35, s2, 1
.LBB309_8:
	s_clause 0x1
	s_load_b32 s2, s[0:1], 0x38
	s_load_b64 s[22:23], s[0:1], 0x28
	s_mul_i32 s7, s29, s16
	s_xor_b32 s5, s8, s15
	s_sub_co_i32 s4, s4, s7
	s_add_co_i32 s12, s29, 1
	s_clause 0x1
	s_load_b32 s7, s[0:1], 0x88
	s_load_b128 s[8:11], s[0:1], 0x58
	v_dual_lshrrev_b32 v1, 5, v0 :: v_dual_lshrrev_b32 v11, 3, v0
	v_mov_b32_e32 v31, 0xff7fffff
	v_mbcnt_lo_u32_b32 v28, -1, 0
	s_mul_i32 s18, s3, s18
	s_delay_alu instid0(VALU_DEP_3)
	v_lshlrev_b32_e32 v10, 3, v1
	s_wait_kmcnt 0x0
	s_mul_i32 s24, s2, s33
	s_sub_co_i32 s2, s4, s16
	s_ashr_i32 s25, s24, 31
	s_cmp_ge_u32 s4, s16
	s_cselect_b32 s12, s12, s29
	s_cselect_b32 s2, s2, s4
	s_add_co_i32 s4, s12, 1
	s_cmp_ge_u32 s2, s16
	s_cselect_b32 s2, s4, s12
	s_add_co_i32 s4, s34, 7
	s_delay_alu instid0(SALU_CYCLE_1) | instskip(NEXT) | instid1(SALU_CYCLE_1)
	s_ashr_i32 s12, s4, 31
	s_lshr_b32 s12, s12, 29
	s_delay_alu instid0(SALU_CYCLE_1) | instskip(NEXT) | instid1(SALU_CYCLE_1)
	s_add_co_i32 s4, s4, s12
	s_ashr_i32 s26, s4, 3
	s_xor_b32 s4, s2, s5
	v_cmp_gt_i32_e64 s2, s26, v1
	s_sub_co_i32 s12, s4, s5
	s_and_saveexec_b32 s37, s2
	s_cbranch_execz .LBB309_260
; %bb.9:
	s_load_b64 s[4:5], s[0:1], 0x10
	s_sub_co_i32 s38, s12, s13
	s_ashr_i32 s19, s18, 31
	s_cmp_neq_f32 s36, 0
	v_bfe_u32 v29, v0, 2, 3
	v_dual_mov_b32 v3, 0 :: v_dual_lshlrev_b32 v4, 3, v1
	s_cselect_b32 vcc_lo, -1, 0
	s_abs_i32 s39, s14
	s_delay_alu instid0(VALU_DEP_2)
	v_dual_lshlrev_b32 v2, 4, v29 :: v_dual_lshlrev_b32 v9, 2, v29
	s_cvt_f32_u32 s28, s39
	v_subrev_nc_u32_e32 v8, s34, v29
	s_lshl_b64 s[40:41], s[24:25], 2
	v_cmp_eq_u32_e64 s3, 0, v5
	v_rcp_iflag_f32_e32 v6, s28
	v_mul_u32_u24_e32 v30, 60, v5
	v_dual_mov_b32 v34, 0xff7fffff :: v_dual_mov_b32 v31, 0xff7fffff
	v_mov_b32_e32 v35, v1
	s_wait_kmcnt 0x0
	s_add_nc_u64 s[4:5], s[4:5], s[18:19]
	s_mov_b32 s29, 0
	v_readfirstlane_b32 s28, v6
	v_add_nc_u64_e32 v[6:7], s[4:5], v[2:3]
	v_dual_lshlrev_b32 v2, 1, v5 :: v_dual_add_nc_u32 v32, 1, v8
	s_add_nc_u64 s[4:5], s[22:23], s[40:41]
	s_mul_f32 s19, s28, 0x4f7ffffe
	v_lshl_or_b32 v5, v1, 5, v9
	s_sub_co_i32 s28, 0, s39
	s_delay_alu instid0(VALU_DEP_3) | instskip(SKIP_4) | instid1(VALU_DEP_2)
	v_add_nc_u64_e32 v[6:7], v[6:7], v[2:3]
	v_and_b32_e32 v2, 0x7c, v11
	s_cvt_u32_f32 s40, s19
	v_add_nc_u32_e32 v33, 0x110, v5
	s_mov_b32 s19, s17
	v_add_nc_u64_e32 v[8:9], s[4:5], v[2:3]
	s_mul_i32 s28, s28, s40
	s_delay_alu instid0(SALU_CYCLE_1) | instskip(NEXT) | instid1(SALU_CYCLE_1)
	s_mul_hi_u32 s28, s40, s28
	s_add_co_i32 s28, s40, s28
	s_mov_b32 s40, s29
	s_branch .LBB309_12
.LBB309_10:                             ;   in Loop: Header=BB309_12 Depth=1
	s_or_b32 exec_lo, exec_lo, s41
.LBB309_11:                             ;   in Loop: Header=BB309_12 Depth=1
	s_delay_alu instid0(SALU_CYCLE_1) | instskip(SKIP_3) | instid1(VALU_DEP_3)
	s_or_b32 exec_lo, exec_lo, s5
	v_dual_add_nc_u32 v35, 4, v35 :: v_dual_add_nc_u32 v4, 32, v4
	v_add_nc_u64_e32 v[8:9], 16, v[8:9]
	v_add_nc_u32_e32 v33, 0x80, v33
	v_cmp_le_i32_e64 s4, s26, v35
	s_or_b32 s40, s4, s40
	s_delay_alu instid0(SALU_CYCLE_1)
	s_and_not1_b32 exec_lo, exec_lo, s40
	s_cbranch_execz .LBB309_259
.LBB309_12:                             ; =>This Inner Loop Header: Depth=1
	s_wait_dscnt 0x0
	v_mov_b32_e32 v5, v3
	s_delay_alu instid0(VALU_DEP_1) | instskip(NEXT) | instid1(VALU_DEP_1)
	v_mul_u64_e32 v[12:13], s[20:21], v[4:5]
	v_mul_lo_u32 v2, v13, s16
	s_delay_alu instid0(VALU_DEP_1) | instskip(NEXT) | instid1(VALU_DEP_1)
	v_sub_nc_u32_e32 v2, v4, v2
	v_subrev_nc_u32_e32 v12, s16, v2
	v_cmp_le_u32_e64 s4, s16, v2
	s_delay_alu instid0(VALU_DEP_1) | instskip(NEXT) | instid1(VALU_DEP_1)
	v_dual_add_nc_u32 v5, 1, v13 :: v_dual_cndmask_b32 v2, v2, v12, s4
	v_cndmask_b32_e64 v5, v13, v5, s4
	s_delay_alu instid0(VALU_DEP_2) | instskip(NEXT) | instid1(VALU_DEP_2)
	v_cmp_le_u32_e64 s4, s16, v2
	v_add_nc_u32_e32 v12, 1, v5
	s_delay_alu instid0(VALU_DEP_1) | instskip(NEXT) | instid1(VALU_DEP_1)
	v_cndmask_b32_e64 v2, v5, v12, s4
	v_xor_b32_e32 v2, s15, v2
	s_delay_alu instid0(VALU_DEP_1) | instskip(NEXT) | instid1(VALU_DEP_1)
	v_subrev_nc_u32_e32 v5, s15, v2
	v_add_nc_u32_e32 v14, s35, v5
	v_cmp_ge_i32_e64 s5, s38, v5
	s_delay_alu instid0(VALU_DEP_2) | instskip(NEXT) | instid1(VALU_DEP_1)
	v_sub_nc_u32_e32 v2, 0, v14
	v_max_i32_e32 v2, v14, v2
	s_delay_alu instid0(VALU_DEP_1) | instskip(NEXT) | instid1(VALU_DEP_1)
	v_mul_u64_e32 v[12:13], s[28:29], v[2:3]
	v_mul_lo_u32 v12, v13, s39
	s_delay_alu instid0(VALU_DEP_1) | instskip(NEXT) | instid1(VALU_DEP_1)
	v_dual_ashrrev_i32 v13, 31, v14 :: v_dual_sub_nc_u32 v2, v2, v12
	v_subrev_nc_u32_e32 v12, s39, v2
	v_cmp_le_u32_e64 s4, s39, v2
	s_delay_alu instid0(VALU_DEP_1) | instskip(NEXT) | instid1(VALU_DEP_1)
	v_cndmask_b32_e64 v2, v2, v12, s4
	v_subrev_nc_u32_e32 v12, s39, v2
	v_cmp_le_u32_e64 s4, s39, v2
	s_delay_alu instid0(VALU_DEP_1) | instskip(NEXT) | instid1(VALU_DEP_1)
	v_cndmask_b32_e64 v2, v2, v12, s4
	v_xor_b32_e32 v2, v2, v13
	s_delay_alu instid0(VALU_DEP_1) | instskip(NEXT) | instid1(VALU_DEP_1)
	v_sub_nc_u32_e32 v2, v2, v13
	v_cmp_ne_u32_e64 s4, 0, v2
	s_and_b32 s4, s4, s5
	s_delay_alu instid0(SALU_CYCLE_1) | instskip(NEXT) | instid1(SALU_CYCLE_1)
	s_and_saveexec_b32 s5, s4
	s_xor_b32 s4, exec_lo, s5
	s_cbranch_execz .LBB309_16
; %bb.13:                               ;   in Loop: Header=BB309_12 Depth=1
	s_and_saveexec_b32 s5, s3
; %bb.14:                               ;   in Loop: Header=BB309_12 Depth=1
	ds_store_b32 v33, v34
; %bb.15:                               ;   in Loop: Header=BB309_12 Depth=1
	s_or_b32 exec_lo, exec_lo, s5
.LBB309_16:                             ;   in Loop: Header=BB309_12 Depth=1
	s_and_not1_saveexec_b32 s5, s4
	s_cbranch_execz .LBB309_11
; %bb.17:                               ;   in Loop: Header=BB309_12 Depth=1
	global_load_b32 v2, v[8:9], off
	v_mov_b32_e32 v36, 0
	s_wait_loadcnt 0x0
	v_mad_nc_i64_i32 v[26:27], v2, s19, v[6:7]
	global_load_u16 v2, v[26:27], off
	ds_load_2addr_b32 v[24:25], v30 offset1:1
	ds_load_2addr_b32 v[22:23], v30 offset0:2 offset1:3
	ds_load_2addr_b32 v[20:21], v30 offset0:4 offset1:5
	;; [unrolled: 1-line block ×6, first 2 shown]
	ds_load_b32 v5, v30 offset:56
	s_load_b32 s41, s[8:9], 0x0
	s_wait_loadcnt 0x0
	v_and_b32_e32 v37, 0xff, v2
	v_and_b32_e32 v38, 0xffff, v2
	s_delay_alu instid0(VALU_DEP_2)
	v_cmp_ne_u16_e64 s4, 0, v37
	v_mov_b32_e32 v37, 0
	s_and_saveexec_b32 s42, s4
	s_cbranch_execz .LBB309_25
; %bb.18:                               ;   in Loop: Header=BB309_12 Depth=1
	v_and_b32_e32 v2, 0xff, v38
	v_bfrev_b32_e32 v37, 1
	s_mov_b32 s43, exec_lo
	s_delay_alu instid0(VALU_DEP_2)
	v_cmpx_ne_u16_e32 0x80, v2
	s_cbranch_execz .LBB309_24
; %bb.19:                               ;   in Loop: Header=BB309_12 Depth=1
	v_and_b32_e32 v39, 0x7f, v38
	v_mov_b32_e32 v37, 0x7f800001
	s_mov_b32 s44, exec_lo
	s_delay_alu instid0(VALU_DEP_2)
	v_cmpx_ne_u32_e32 0x7f, v39
	s_cbranch_execz .LBB309_23
; %bb.20:                               ;   in Loop: Header=BB309_12 Depth=1
	v_dual_lshrrev_b32 v37, 3, v39 :: v_dual_bitop2_b32 v2, 7, v38 bitop3:0x40
	s_mov_b32 s45, exec_lo
	v_cmpx_gt_u32_e32 8, v39
; %bb.21:                               ;   in Loop: Header=BB309_12 Depth=1
	s_delay_alu instid0(VALU_DEP_2) | instskip(NEXT) | instid1(VALU_DEP_1)
	v_clz_i32_u32_e32 v37, v2
	v_min_u32_e32 v37, 32, v37
	s_delay_alu instid0(VALU_DEP_1) | instskip(NEXT) | instid1(VALU_DEP_1)
	v_subrev_nc_u32_e32 v39, 28, v37
	v_lshlrev_b64_e32 v[40:41], v39, v[2:3]
	s_delay_alu instid0(VALU_DEP_1)
	v_dual_sub_nc_u32 v37, 29, v37 :: v_dual_bitop2_b32 v2, 7, v40 bitop3:0x40
; %bb.22:                               ;   in Loop: Header=BB309_12 Depth=1
	s_or_b32 exec_lo, exec_lo, s45
	v_lshlrev_b32_e32 v39, 24, v38
	s_delay_alu instid0(VALU_DEP_2) | instskip(NEXT) | instid1(VALU_DEP_3)
	v_lshlrev_b32_e32 v2, 20, v2
	v_lshl_add_u32 v37, v37, 23, 0x3c000000
	s_delay_alu instid0(VALU_DEP_3) | instskip(NEXT) | instid1(VALU_DEP_1)
	v_and_b32_e32 v39, 0x80000000, v39
	v_or3_b32 v37, v2, v39, v37
.LBB309_23:                             ;   in Loop: Header=BB309_12 Depth=1
	s_or_b32 exec_lo, exec_lo, s44
.LBB309_24:                             ;   in Loop: Header=BB309_12 Depth=1
	s_delay_alu instid0(SALU_CYCLE_1)
	s_or_b32 exec_lo, exec_lo, s43
.LBB309_25:                             ;   in Loop: Header=BB309_12 Depth=1
	s_delay_alu instid0(SALU_CYCLE_1) | instskip(SKIP_2) | instid1(VALU_DEP_1)
	s_or_b32 exec_lo, exec_lo, s42
	v_lshrrev_b16 v2, 8, v38
	s_mov_b32 s42, exec_lo
	v_cmpx_ne_u16_e32 0, v2
	s_cbranch_execz .LBB309_33
; %bb.26:                               ;   in Loop: Header=BB309_12 Depth=1
	v_bfrev_b32_e32 v36, 1
	s_mov_b32 s43, exec_lo
	v_cmpx_ne_u16_e32 0x80, v2
	s_cbranch_execz .LBB309_32
; %bb.27:                               ;   in Loop: Header=BB309_12 Depth=1
	v_and_b32_e32 v2, 0xffff, v2
	v_mov_b32_e32 v36, 0x7f800001
	s_mov_b32 s44, exec_lo
	s_delay_alu instid0(VALU_DEP_2) | instskip(NEXT) | instid1(VALU_DEP_1)
	v_and_b32_e32 v39, 0x7f, v2
	v_cmpx_ne_u32_e32 0x7f, v39
	s_cbranch_execz .LBB309_31
; %bb.28:                               ;   in Loop: Header=BB309_12 Depth=1
	v_dual_lshrrev_b32 v36, 3, v39 :: v_dual_bitop2_b32 v2, 7, v2 bitop3:0x40
	s_mov_b32 s45, exec_lo
	v_cmpx_gt_u32_e32 8, v39
; %bb.29:                               ;   in Loop: Header=BB309_12 Depth=1
	s_delay_alu instid0(VALU_DEP_2) | instskip(NEXT) | instid1(VALU_DEP_1)
	v_clz_i32_u32_e32 v36, v2
	v_min_u32_e32 v36, 32, v36
	s_delay_alu instid0(VALU_DEP_1) | instskip(SKIP_1) | instid1(VALU_DEP_2)
	v_subrev_nc_u32_e32 v39, 28, v36
	v_sub_nc_u32_e32 v36, 29, v36
	v_lshlrev_b64_e32 v[40:41], v39, v[2:3]
	s_delay_alu instid0(VALU_DEP_1)
	v_and_b32_e32 v2, 7, v40
; %bb.30:                               ;   in Loop: Header=BB309_12 Depth=1
	s_or_b32 exec_lo, exec_lo, s45
	v_lshlrev_b32_e32 v38, 16, v38
	s_delay_alu instid0(VALU_DEP_2) | instskip(SKIP_1) | instid1(VALU_DEP_3)
	v_lshlrev_b32_e32 v2, 20, v2
	v_lshl_add_u32 v36, v36, 23, 0x3c000000
	v_and_b32_e32 v38, 0x80000000, v38
	s_delay_alu instid0(VALU_DEP_1)
	v_or3_b32 v36, v2, v38, v36
.LBB309_31:                             ;   in Loop: Header=BB309_12 Depth=1
	s_or_b32 exec_lo, exec_lo, s44
.LBB309_32:                             ;   in Loop: Header=BB309_12 Depth=1
	s_delay_alu instid0(SALU_CYCLE_1)
	s_or_b32 exec_lo, exec_lo, s43
.LBB309_33:                             ;   in Loop: Header=BB309_12 Depth=1
	s_delay_alu instid0(SALU_CYCLE_1)
	s_or_b32 exec_lo, exec_lo, s42
	global_load_u16 v2, v[26:27], off offset:8
	v_mov_b32_e32 v38, 0
	s_wait_loadcnt 0x0
	v_and_b32_e32 v39, 0xff, v2
	v_and_b32_e32 v40, 0xffff, v2
	s_delay_alu instid0(VALU_DEP_2)
	v_cmp_ne_u16_e64 s4, 0, v39
	v_mov_b32_e32 v39, 0
	s_and_saveexec_b32 s42, s4
	s_cbranch_execz .LBB309_41
; %bb.34:                               ;   in Loop: Header=BB309_12 Depth=1
	v_and_b32_e32 v2, 0xff, v40
	v_bfrev_b32_e32 v39, 1
	s_mov_b32 s43, exec_lo
	s_delay_alu instid0(VALU_DEP_2)
	v_cmpx_ne_u16_e32 0x80, v2
	s_cbranch_execz .LBB309_40
; %bb.35:                               ;   in Loop: Header=BB309_12 Depth=1
	v_and_b32_e32 v41, 0x7f, v40
	v_mov_b32_e32 v39, 0x7f800001
	s_mov_b32 s44, exec_lo
	s_delay_alu instid0(VALU_DEP_2)
	v_cmpx_ne_u32_e32 0x7f, v41
	s_cbranch_execz .LBB309_39
; %bb.36:                               ;   in Loop: Header=BB309_12 Depth=1
	v_dual_lshrrev_b32 v39, 3, v41 :: v_dual_bitop2_b32 v2, 7, v40 bitop3:0x40
	s_mov_b32 s45, exec_lo
	v_cmpx_gt_u32_e32 8, v41
; %bb.37:                               ;   in Loop: Header=BB309_12 Depth=1
	s_delay_alu instid0(VALU_DEP_2) | instskip(NEXT) | instid1(VALU_DEP_1)
	v_clz_i32_u32_e32 v39, v2
	v_min_u32_e32 v39, 32, v39
	s_delay_alu instid0(VALU_DEP_1) | instskip(NEXT) | instid1(VALU_DEP_1)
	v_subrev_nc_u32_e32 v41, 28, v39
	v_lshlrev_b64_e32 v[42:43], v41, v[2:3]
	s_delay_alu instid0(VALU_DEP_1)
	v_dual_sub_nc_u32 v39, 29, v39 :: v_dual_bitop2_b32 v2, 7, v42 bitop3:0x40
; %bb.38:                               ;   in Loop: Header=BB309_12 Depth=1
	s_or_b32 exec_lo, exec_lo, s45
	s_delay_alu instid0(VALU_DEP_1) | instskip(NEXT) | instid1(VALU_DEP_2)
	v_dual_lshlrev_b32 v41, 24, v40 :: v_dual_lshlrev_b32 v2, 20, v2
	v_lshl_add_u32 v39, v39, 23, 0x3c000000
	s_delay_alu instid0(VALU_DEP_2) | instskip(NEXT) | instid1(VALU_DEP_1)
	v_and_b32_e32 v41, 0x80000000, v41
	v_or3_b32 v39, v2, v41, v39
.LBB309_39:                             ;   in Loop: Header=BB309_12 Depth=1
	s_or_b32 exec_lo, exec_lo, s44
.LBB309_40:                             ;   in Loop: Header=BB309_12 Depth=1
	s_delay_alu instid0(SALU_CYCLE_1)
	s_or_b32 exec_lo, exec_lo, s43
.LBB309_41:                             ;   in Loop: Header=BB309_12 Depth=1
	s_delay_alu instid0(SALU_CYCLE_1) | instskip(SKIP_2) | instid1(VALU_DEP_1)
	s_or_b32 exec_lo, exec_lo, s42
	v_lshrrev_b16 v2, 8, v40
	s_mov_b32 s42, exec_lo
	v_cmpx_ne_u16_e32 0, v2
	s_cbranch_execz .LBB309_49
; %bb.42:                               ;   in Loop: Header=BB309_12 Depth=1
	v_bfrev_b32_e32 v38, 1
	s_mov_b32 s43, exec_lo
	v_cmpx_ne_u16_e32 0x80, v2
	s_cbranch_execz .LBB309_48
; %bb.43:                               ;   in Loop: Header=BB309_12 Depth=1
	v_and_b32_e32 v2, 0xffff, v2
	v_mov_b32_e32 v38, 0x7f800001
	s_mov_b32 s44, exec_lo
	s_delay_alu instid0(VALU_DEP_2) | instskip(NEXT) | instid1(VALU_DEP_1)
	v_and_b32_e32 v41, 0x7f, v2
	v_cmpx_ne_u32_e32 0x7f, v41
	s_cbranch_execz .LBB309_47
; %bb.44:                               ;   in Loop: Header=BB309_12 Depth=1
	v_dual_lshrrev_b32 v38, 3, v41 :: v_dual_bitop2_b32 v2, 7, v2 bitop3:0x40
	s_mov_b32 s45, exec_lo
	v_cmpx_gt_u32_e32 8, v41
; %bb.45:                               ;   in Loop: Header=BB309_12 Depth=1
	s_delay_alu instid0(VALU_DEP_2) | instskip(NEXT) | instid1(VALU_DEP_1)
	v_clz_i32_u32_e32 v38, v2
	v_min_u32_e32 v38, 32, v38
	s_delay_alu instid0(VALU_DEP_1) | instskip(SKIP_1) | instid1(VALU_DEP_2)
	v_subrev_nc_u32_e32 v41, 28, v38
	v_sub_nc_u32_e32 v38, 29, v38
	v_lshlrev_b64_e32 v[42:43], v41, v[2:3]
	s_delay_alu instid0(VALU_DEP_1)
	v_and_b32_e32 v2, 7, v42
; %bb.46:                               ;   in Loop: Header=BB309_12 Depth=1
	s_or_b32 exec_lo, exec_lo, s45
	s_delay_alu instid0(VALU_DEP_1) | instskip(SKIP_1) | instid1(VALU_DEP_2)
	v_dual_lshlrev_b32 v40, 16, v40 :: v_dual_lshlrev_b32 v2, 20, v2
	v_lshl_add_u32 v38, v38, 23, 0x3c000000
	v_and_b32_e32 v40, 0x80000000, v40
	s_delay_alu instid0(VALU_DEP_1)
	v_or3_b32 v38, v2, v40, v38
.LBB309_47:                             ;   in Loop: Header=BB309_12 Depth=1
	s_or_b32 exec_lo, exec_lo, s44
.LBB309_48:                             ;   in Loop: Header=BB309_12 Depth=1
	s_delay_alu instid0(SALU_CYCLE_1)
	s_or_b32 exec_lo, exec_lo, s43
.LBB309_49:                             ;   in Loop: Header=BB309_12 Depth=1
	s_delay_alu instid0(SALU_CYCLE_1)
	s_or_b32 exec_lo, exec_lo, s42
	global_load_u16 v2, v[26:27], off offset:128
	v_mov_b32_e32 v40, 0
	s_wait_loadcnt 0x0
	v_and_b32_e32 v41, 0xff, v2
	v_and_b32_e32 v42, 0xffff, v2
	s_delay_alu instid0(VALU_DEP_2)
	v_cmp_ne_u16_e64 s4, 0, v41
	v_mov_b32_e32 v41, 0
	s_and_saveexec_b32 s42, s4
	s_cbranch_execz .LBB309_57
; %bb.50:                               ;   in Loop: Header=BB309_12 Depth=1
	v_and_b32_e32 v2, 0xff, v42
	v_bfrev_b32_e32 v41, 1
	s_mov_b32 s43, exec_lo
	s_delay_alu instid0(VALU_DEP_2)
	v_cmpx_ne_u16_e32 0x80, v2
	s_cbranch_execz .LBB309_56
; %bb.51:                               ;   in Loop: Header=BB309_12 Depth=1
	v_and_b32_e32 v43, 0x7f, v42
	v_mov_b32_e32 v41, 0x7f800001
	s_mov_b32 s44, exec_lo
	s_delay_alu instid0(VALU_DEP_2)
	v_cmpx_ne_u32_e32 0x7f, v43
	s_cbranch_execz .LBB309_55
; %bb.52:                               ;   in Loop: Header=BB309_12 Depth=1
	v_dual_lshrrev_b32 v41, 3, v43 :: v_dual_bitop2_b32 v2, 7, v42 bitop3:0x40
	s_mov_b32 s45, exec_lo
	v_cmpx_gt_u32_e32 8, v43
; %bb.53:                               ;   in Loop: Header=BB309_12 Depth=1
	s_delay_alu instid0(VALU_DEP_2) | instskip(NEXT) | instid1(VALU_DEP_1)
	v_clz_i32_u32_e32 v41, v2
	v_min_u32_e32 v41, 32, v41
	s_delay_alu instid0(VALU_DEP_1) | instskip(NEXT) | instid1(VALU_DEP_1)
	v_subrev_nc_u32_e32 v43, 28, v41
	v_lshlrev_b64_e32 v[44:45], v43, v[2:3]
	s_delay_alu instid0(VALU_DEP_1)
	v_dual_sub_nc_u32 v41, 29, v41 :: v_dual_bitop2_b32 v2, 7, v44 bitop3:0x40
; %bb.54:                               ;   in Loop: Header=BB309_12 Depth=1
	s_or_b32 exec_lo, exec_lo, s45
	v_lshlrev_b32_e32 v43, 24, v42
	s_delay_alu instid0(VALU_DEP_2) | instskip(NEXT) | instid1(VALU_DEP_3)
	v_lshlrev_b32_e32 v2, 20, v2
	v_lshl_add_u32 v41, v41, 23, 0x3c000000
	s_delay_alu instid0(VALU_DEP_3) | instskip(NEXT) | instid1(VALU_DEP_1)
	v_and_b32_e32 v43, 0x80000000, v43
	v_or3_b32 v41, v2, v43, v41
.LBB309_55:                             ;   in Loop: Header=BB309_12 Depth=1
	s_or_b32 exec_lo, exec_lo, s44
.LBB309_56:                             ;   in Loop: Header=BB309_12 Depth=1
	s_delay_alu instid0(SALU_CYCLE_1)
	s_or_b32 exec_lo, exec_lo, s43
.LBB309_57:                             ;   in Loop: Header=BB309_12 Depth=1
	s_delay_alu instid0(SALU_CYCLE_1) | instskip(SKIP_2) | instid1(VALU_DEP_1)
	s_or_b32 exec_lo, exec_lo, s42
	v_lshrrev_b16 v2, 8, v42
	s_mov_b32 s42, exec_lo
	v_cmpx_ne_u16_e32 0, v2
	s_cbranch_execz .LBB309_65
; %bb.58:                               ;   in Loop: Header=BB309_12 Depth=1
	v_bfrev_b32_e32 v40, 1
	s_mov_b32 s43, exec_lo
	v_cmpx_ne_u16_e32 0x80, v2
	s_cbranch_execz .LBB309_64
; %bb.59:                               ;   in Loop: Header=BB309_12 Depth=1
	v_and_b32_e32 v2, 0xffff, v2
	v_mov_b32_e32 v40, 0x7f800001
	s_mov_b32 s44, exec_lo
	s_delay_alu instid0(VALU_DEP_2) | instskip(NEXT) | instid1(VALU_DEP_1)
	v_and_b32_e32 v43, 0x7f, v2
	v_cmpx_ne_u32_e32 0x7f, v43
	s_cbranch_execz .LBB309_63
; %bb.60:                               ;   in Loop: Header=BB309_12 Depth=1
	v_dual_lshrrev_b32 v40, 3, v43 :: v_dual_bitop2_b32 v2, 7, v2 bitop3:0x40
	s_mov_b32 s45, exec_lo
	v_cmpx_gt_u32_e32 8, v43
; %bb.61:                               ;   in Loop: Header=BB309_12 Depth=1
	s_delay_alu instid0(VALU_DEP_2) | instskip(NEXT) | instid1(VALU_DEP_1)
	v_clz_i32_u32_e32 v40, v2
	v_min_u32_e32 v40, 32, v40
	s_delay_alu instid0(VALU_DEP_1) | instskip(SKIP_1) | instid1(VALU_DEP_2)
	v_subrev_nc_u32_e32 v43, 28, v40
	v_sub_nc_u32_e32 v40, 29, v40
	v_lshlrev_b64_e32 v[44:45], v43, v[2:3]
	s_delay_alu instid0(VALU_DEP_1)
	v_and_b32_e32 v2, 7, v44
; %bb.62:                               ;   in Loop: Header=BB309_12 Depth=1
	s_or_b32 exec_lo, exec_lo, s45
	v_lshlrev_b32_e32 v42, 16, v42
	s_delay_alu instid0(VALU_DEP_2) | instskip(SKIP_1) | instid1(VALU_DEP_3)
	v_lshlrev_b32_e32 v2, 20, v2
	v_lshl_add_u32 v40, v40, 23, 0x3c000000
	v_and_b32_e32 v42, 0x80000000, v42
	s_delay_alu instid0(VALU_DEP_1)
	v_or3_b32 v40, v2, v42, v40
.LBB309_63:                             ;   in Loop: Header=BB309_12 Depth=1
	s_or_b32 exec_lo, exec_lo, s44
.LBB309_64:                             ;   in Loop: Header=BB309_12 Depth=1
	s_delay_alu instid0(SALU_CYCLE_1)
	s_or_b32 exec_lo, exec_lo, s43
.LBB309_65:                             ;   in Loop: Header=BB309_12 Depth=1
	s_delay_alu instid0(SALU_CYCLE_1)
	s_or_b32 exec_lo, exec_lo, s42
	global_load_u16 v2, v[26:27], off offset:136
	v_mov_b32_e32 v42, 0
	s_wait_loadcnt 0x0
	v_and_b32_e32 v43, 0xff, v2
	v_and_b32_e32 v44, 0xffff, v2
	s_delay_alu instid0(VALU_DEP_2)
	v_cmp_ne_u16_e64 s4, 0, v43
	v_mov_b32_e32 v43, 0
	s_and_saveexec_b32 s42, s4
	s_cbranch_execz .LBB309_73
; %bb.66:                               ;   in Loop: Header=BB309_12 Depth=1
	v_and_b32_e32 v2, 0xff, v44
	v_bfrev_b32_e32 v43, 1
	s_mov_b32 s43, exec_lo
	s_delay_alu instid0(VALU_DEP_2)
	v_cmpx_ne_u16_e32 0x80, v2
	s_cbranch_execz .LBB309_72
; %bb.67:                               ;   in Loop: Header=BB309_12 Depth=1
	v_and_b32_e32 v45, 0x7f, v44
	v_mov_b32_e32 v43, 0x7f800001
	s_mov_b32 s44, exec_lo
	s_delay_alu instid0(VALU_DEP_2)
	v_cmpx_ne_u32_e32 0x7f, v45
	s_cbranch_execz .LBB309_71
; %bb.68:                               ;   in Loop: Header=BB309_12 Depth=1
	v_dual_lshrrev_b32 v43, 3, v45 :: v_dual_bitop2_b32 v2, 7, v44 bitop3:0x40
	s_mov_b32 s45, exec_lo
	v_cmpx_gt_u32_e32 8, v45
; %bb.69:                               ;   in Loop: Header=BB309_12 Depth=1
	s_delay_alu instid0(VALU_DEP_2) | instskip(NEXT) | instid1(VALU_DEP_1)
	v_clz_i32_u32_e32 v43, v2
	v_min_u32_e32 v43, 32, v43
	s_delay_alu instid0(VALU_DEP_1) | instskip(NEXT) | instid1(VALU_DEP_1)
	v_subrev_nc_u32_e32 v45, 28, v43
	v_lshlrev_b64_e32 v[46:47], v45, v[2:3]
	s_delay_alu instid0(VALU_DEP_1)
	v_dual_sub_nc_u32 v43, 29, v43 :: v_dual_bitop2_b32 v2, 7, v46 bitop3:0x40
; %bb.70:                               ;   in Loop: Header=BB309_12 Depth=1
	s_or_b32 exec_lo, exec_lo, s45
	s_delay_alu instid0(VALU_DEP_1) | instskip(NEXT) | instid1(VALU_DEP_2)
	v_dual_lshlrev_b32 v45, 24, v44 :: v_dual_lshlrev_b32 v2, 20, v2
	v_lshl_add_u32 v43, v43, 23, 0x3c000000
	s_delay_alu instid0(VALU_DEP_2) | instskip(NEXT) | instid1(VALU_DEP_1)
	v_and_b32_e32 v45, 0x80000000, v45
	v_or3_b32 v43, v2, v45, v43
.LBB309_71:                             ;   in Loop: Header=BB309_12 Depth=1
	s_or_b32 exec_lo, exec_lo, s44
.LBB309_72:                             ;   in Loop: Header=BB309_12 Depth=1
	s_delay_alu instid0(SALU_CYCLE_1)
	s_or_b32 exec_lo, exec_lo, s43
.LBB309_73:                             ;   in Loop: Header=BB309_12 Depth=1
	s_delay_alu instid0(SALU_CYCLE_1) | instskip(SKIP_2) | instid1(VALU_DEP_1)
	s_or_b32 exec_lo, exec_lo, s42
	v_lshrrev_b16 v2, 8, v44
	s_mov_b32 s42, exec_lo
	v_cmpx_ne_u16_e32 0, v2
	s_cbranch_execz .LBB309_81
; %bb.74:                               ;   in Loop: Header=BB309_12 Depth=1
	v_bfrev_b32_e32 v42, 1
	s_mov_b32 s43, exec_lo
	v_cmpx_ne_u16_e32 0x80, v2
	s_cbranch_execz .LBB309_80
; %bb.75:                               ;   in Loop: Header=BB309_12 Depth=1
	v_and_b32_e32 v2, 0xffff, v2
	v_mov_b32_e32 v42, 0x7f800001
	s_mov_b32 s44, exec_lo
	s_delay_alu instid0(VALU_DEP_2) | instskip(NEXT) | instid1(VALU_DEP_1)
	v_and_b32_e32 v45, 0x7f, v2
	v_cmpx_ne_u32_e32 0x7f, v45
	s_cbranch_execz .LBB309_79
; %bb.76:                               ;   in Loop: Header=BB309_12 Depth=1
	v_dual_lshrrev_b32 v42, 3, v45 :: v_dual_bitop2_b32 v2, 7, v2 bitop3:0x40
	s_mov_b32 s45, exec_lo
	v_cmpx_gt_u32_e32 8, v45
; %bb.77:                               ;   in Loop: Header=BB309_12 Depth=1
	s_delay_alu instid0(VALU_DEP_2) | instskip(NEXT) | instid1(VALU_DEP_1)
	v_clz_i32_u32_e32 v42, v2
	v_min_u32_e32 v42, 32, v42
	s_delay_alu instid0(VALU_DEP_1) | instskip(SKIP_1) | instid1(VALU_DEP_2)
	v_subrev_nc_u32_e32 v45, 28, v42
	v_sub_nc_u32_e32 v42, 29, v42
	v_lshlrev_b64_e32 v[46:47], v45, v[2:3]
	s_delay_alu instid0(VALU_DEP_1)
	v_and_b32_e32 v2, 7, v46
; %bb.78:                               ;   in Loop: Header=BB309_12 Depth=1
	s_or_b32 exec_lo, exec_lo, s45
	s_delay_alu instid0(VALU_DEP_1) | instskip(SKIP_1) | instid1(VALU_DEP_2)
	v_dual_lshlrev_b32 v44, 16, v44 :: v_dual_lshlrev_b32 v2, 20, v2
	v_lshl_add_u32 v42, v42, 23, 0x3c000000
	v_and_b32_e32 v44, 0x80000000, v44
	s_delay_alu instid0(VALU_DEP_1)
	v_or3_b32 v42, v2, v44, v42
.LBB309_79:                             ;   in Loop: Header=BB309_12 Depth=1
	s_or_b32 exec_lo, exec_lo, s44
.LBB309_80:                             ;   in Loop: Header=BB309_12 Depth=1
	s_delay_alu instid0(SALU_CYCLE_1)
	s_or_b32 exec_lo, exec_lo, s43
.LBB309_81:                             ;   in Loop: Header=BB309_12 Depth=1
	s_delay_alu instid0(SALU_CYCLE_1)
	s_or_b32 exec_lo, exec_lo, s42
	global_load_u16 v2, v[26:27], off offset:256
	v_mov_b32_e32 v44, 0
	s_wait_loadcnt 0x0
	v_and_b32_e32 v45, 0xff, v2
	v_and_b32_e32 v46, 0xffff, v2
	s_delay_alu instid0(VALU_DEP_2)
	v_cmp_ne_u16_e64 s4, 0, v45
	v_mov_b32_e32 v45, 0
	s_and_saveexec_b32 s42, s4
	s_cbranch_execz .LBB309_89
; %bb.82:                               ;   in Loop: Header=BB309_12 Depth=1
	v_and_b32_e32 v2, 0xff, v46
	v_bfrev_b32_e32 v45, 1
	s_mov_b32 s43, exec_lo
	s_delay_alu instid0(VALU_DEP_2)
	v_cmpx_ne_u16_e32 0x80, v2
	s_cbranch_execz .LBB309_88
; %bb.83:                               ;   in Loop: Header=BB309_12 Depth=1
	v_and_b32_e32 v47, 0x7f, v46
	v_mov_b32_e32 v45, 0x7f800001
	s_mov_b32 s44, exec_lo
	s_delay_alu instid0(VALU_DEP_2)
	v_cmpx_ne_u32_e32 0x7f, v47
	s_cbranch_execz .LBB309_87
; %bb.84:                               ;   in Loop: Header=BB309_12 Depth=1
	v_dual_lshrrev_b32 v45, 3, v47 :: v_dual_bitop2_b32 v2, 7, v46 bitop3:0x40
	s_mov_b32 s45, exec_lo
	v_cmpx_gt_u32_e32 8, v47
; %bb.85:                               ;   in Loop: Header=BB309_12 Depth=1
	s_delay_alu instid0(VALU_DEP_2) | instskip(NEXT) | instid1(VALU_DEP_1)
	v_clz_i32_u32_e32 v45, v2
	v_min_u32_e32 v45, 32, v45
	s_delay_alu instid0(VALU_DEP_1) | instskip(NEXT) | instid1(VALU_DEP_1)
	v_subrev_nc_u32_e32 v47, 28, v45
	v_lshlrev_b64_e32 v[48:49], v47, v[2:3]
	s_delay_alu instid0(VALU_DEP_1)
	v_dual_sub_nc_u32 v45, 29, v45 :: v_dual_bitop2_b32 v2, 7, v48 bitop3:0x40
; %bb.86:                               ;   in Loop: Header=BB309_12 Depth=1
	s_or_b32 exec_lo, exec_lo, s45
	v_lshlrev_b32_e32 v47, 24, v46
	s_delay_alu instid0(VALU_DEP_2) | instskip(NEXT) | instid1(VALU_DEP_3)
	v_lshlrev_b32_e32 v2, 20, v2
	v_lshl_add_u32 v45, v45, 23, 0x3c000000
	s_delay_alu instid0(VALU_DEP_3) | instskip(NEXT) | instid1(VALU_DEP_1)
	v_and_b32_e32 v47, 0x80000000, v47
	v_or3_b32 v45, v2, v47, v45
.LBB309_87:                             ;   in Loop: Header=BB309_12 Depth=1
	s_or_b32 exec_lo, exec_lo, s44
.LBB309_88:                             ;   in Loop: Header=BB309_12 Depth=1
	s_delay_alu instid0(SALU_CYCLE_1)
	s_or_b32 exec_lo, exec_lo, s43
.LBB309_89:                             ;   in Loop: Header=BB309_12 Depth=1
	s_delay_alu instid0(SALU_CYCLE_1) | instskip(SKIP_2) | instid1(VALU_DEP_1)
	s_or_b32 exec_lo, exec_lo, s42
	v_lshrrev_b16 v2, 8, v46
	s_mov_b32 s42, exec_lo
	v_cmpx_ne_u16_e32 0, v2
	s_cbranch_execz .LBB309_97
; %bb.90:                               ;   in Loop: Header=BB309_12 Depth=1
	v_bfrev_b32_e32 v44, 1
	s_mov_b32 s43, exec_lo
	v_cmpx_ne_u16_e32 0x80, v2
	s_cbranch_execz .LBB309_96
; %bb.91:                               ;   in Loop: Header=BB309_12 Depth=1
	v_and_b32_e32 v2, 0xffff, v2
	v_mov_b32_e32 v44, 0x7f800001
	s_mov_b32 s44, exec_lo
	s_delay_alu instid0(VALU_DEP_2) | instskip(NEXT) | instid1(VALU_DEP_1)
	v_and_b32_e32 v47, 0x7f, v2
	v_cmpx_ne_u32_e32 0x7f, v47
	s_cbranch_execz .LBB309_95
; %bb.92:                               ;   in Loop: Header=BB309_12 Depth=1
	v_dual_lshrrev_b32 v44, 3, v47 :: v_dual_bitop2_b32 v2, 7, v2 bitop3:0x40
	s_mov_b32 s45, exec_lo
	v_cmpx_gt_u32_e32 8, v47
; %bb.93:                               ;   in Loop: Header=BB309_12 Depth=1
	s_delay_alu instid0(VALU_DEP_2) | instskip(NEXT) | instid1(VALU_DEP_1)
	v_clz_i32_u32_e32 v44, v2
	v_min_u32_e32 v44, 32, v44
	s_delay_alu instid0(VALU_DEP_1) | instskip(SKIP_1) | instid1(VALU_DEP_2)
	v_subrev_nc_u32_e32 v47, 28, v44
	v_sub_nc_u32_e32 v44, 29, v44
	v_lshlrev_b64_e32 v[48:49], v47, v[2:3]
	s_delay_alu instid0(VALU_DEP_1)
	v_and_b32_e32 v2, 7, v48
; %bb.94:                               ;   in Loop: Header=BB309_12 Depth=1
	s_or_b32 exec_lo, exec_lo, s45
	v_lshlrev_b32_e32 v46, 16, v46
	s_delay_alu instid0(VALU_DEP_2) | instskip(SKIP_1) | instid1(VALU_DEP_3)
	v_lshlrev_b32_e32 v2, 20, v2
	v_lshl_add_u32 v44, v44, 23, 0x3c000000
	v_and_b32_e32 v46, 0x80000000, v46
	s_delay_alu instid0(VALU_DEP_1)
	v_or3_b32 v44, v2, v46, v44
.LBB309_95:                             ;   in Loop: Header=BB309_12 Depth=1
	s_or_b32 exec_lo, exec_lo, s44
.LBB309_96:                             ;   in Loop: Header=BB309_12 Depth=1
	s_delay_alu instid0(SALU_CYCLE_1)
	s_or_b32 exec_lo, exec_lo, s43
.LBB309_97:                             ;   in Loop: Header=BB309_12 Depth=1
	s_delay_alu instid0(SALU_CYCLE_1)
	s_or_b32 exec_lo, exec_lo, s42
	global_load_u16 v2, v[26:27], off offset:264
	v_mov_b32_e32 v46, 0
	s_wait_loadcnt 0x0
	v_and_b32_e32 v47, 0xff, v2
	v_and_b32_e32 v48, 0xffff, v2
	s_delay_alu instid0(VALU_DEP_2)
	v_cmp_ne_u16_e64 s4, 0, v47
	v_mov_b32_e32 v47, 0
	s_and_saveexec_b32 s42, s4
	s_cbranch_execz .LBB309_105
; %bb.98:                               ;   in Loop: Header=BB309_12 Depth=1
	v_and_b32_e32 v2, 0xff, v48
	v_bfrev_b32_e32 v47, 1
	s_mov_b32 s43, exec_lo
	s_delay_alu instid0(VALU_DEP_2)
	v_cmpx_ne_u16_e32 0x80, v2
	s_cbranch_execz .LBB309_104
; %bb.99:                               ;   in Loop: Header=BB309_12 Depth=1
	v_and_b32_e32 v49, 0x7f, v48
	v_mov_b32_e32 v47, 0x7f800001
	s_mov_b32 s44, exec_lo
	s_delay_alu instid0(VALU_DEP_2)
	v_cmpx_ne_u32_e32 0x7f, v49
	s_cbranch_execz .LBB309_103
; %bb.100:                              ;   in Loop: Header=BB309_12 Depth=1
	v_dual_lshrrev_b32 v47, 3, v49 :: v_dual_bitop2_b32 v2, 7, v48 bitop3:0x40
	s_mov_b32 s45, exec_lo
	v_cmpx_gt_u32_e32 8, v49
; %bb.101:                              ;   in Loop: Header=BB309_12 Depth=1
	s_delay_alu instid0(VALU_DEP_2) | instskip(NEXT) | instid1(VALU_DEP_1)
	v_clz_i32_u32_e32 v47, v2
	v_min_u32_e32 v47, 32, v47
	s_delay_alu instid0(VALU_DEP_1) | instskip(NEXT) | instid1(VALU_DEP_1)
	v_subrev_nc_u32_e32 v49, 28, v47
	v_lshlrev_b64_e32 v[50:51], v49, v[2:3]
	s_delay_alu instid0(VALU_DEP_1)
	v_dual_sub_nc_u32 v47, 29, v47 :: v_dual_bitop2_b32 v2, 7, v50 bitop3:0x40
; %bb.102:                              ;   in Loop: Header=BB309_12 Depth=1
	s_or_b32 exec_lo, exec_lo, s45
	s_delay_alu instid0(VALU_DEP_1) | instskip(NEXT) | instid1(VALU_DEP_2)
	v_dual_lshlrev_b32 v49, 24, v48 :: v_dual_lshlrev_b32 v2, 20, v2
	v_lshl_add_u32 v47, v47, 23, 0x3c000000
	s_delay_alu instid0(VALU_DEP_2) | instskip(NEXT) | instid1(VALU_DEP_1)
	v_and_b32_e32 v49, 0x80000000, v49
	v_or3_b32 v47, v2, v49, v47
.LBB309_103:                            ;   in Loop: Header=BB309_12 Depth=1
	s_or_b32 exec_lo, exec_lo, s44
.LBB309_104:                            ;   in Loop: Header=BB309_12 Depth=1
	s_delay_alu instid0(SALU_CYCLE_1)
	s_or_b32 exec_lo, exec_lo, s43
.LBB309_105:                            ;   in Loop: Header=BB309_12 Depth=1
	s_delay_alu instid0(SALU_CYCLE_1) | instskip(SKIP_2) | instid1(VALU_DEP_1)
	s_or_b32 exec_lo, exec_lo, s42
	v_lshrrev_b16 v2, 8, v48
	s_mov_b32 s42, exec_lo
	v_cmpx_ne_u16_e32 0, v2
	s_cbranch_execz .LBB309_113
; %bb.106:                              ;   in Loop: Header=BB309_12 Depth=1
	v_bfrev_b32_e32 v46, 1
	s_mov_b32 s43, exec_lo
	v_cmpx_ne_u16_e32 0x80, v2
	s_cbranch_execz .LBB309_112
; %bb.107:                              ;   in Loop: Header=BB309_12 Depth=1
	v_and_b32_e32 v2, 0xffff, v2
	v_mov_b32_e32 v46, 0x7f800001
	s_mov_b32 s44, exec_lo
	s_delay_alu instid0(VALU_DEP_2) | instskip(NEXT) | instid1(VALU_DEP_1)
	v_and_b32_e32 v49, 0x7f, v2
	v_cmpx_ne_u32_e32 0x7f, v49
	s_cbranch_execz .LBB309_111
; %bb.108:                              ;   in Loop: Header=BB309_12 Depth=1
	v_dual_lshrrev_b32 v46, 3, v49 :: v_dual_bitop2_b32 v2, 7, v2 bitop3:0x40
	s_mov_b32 s45, exec_lo
	v_cmpx_gt_u32_e32 8, v49
; %bb.109:                              ;   in Loop: Header=BB309_12 Depth=1
	s_delay_alu instid0(VALU_DEP_2) | instskip(NEXT) | instid1(VALU_DEP_1)
	v_clz_i32_u32_e32 v46, v2
	v_min_u32_e32 v46, 32, v46
	s_delay_alu instid0(VALU_DEP_1) | instskip(SKIP_1) | instid1(VALU_DEP_2)
	v_subrev_nc_u32_e32 v49, 28, v46
	v_sub_nc_u32_e32 v46, 29, v46
	v_lshlrev_b64_e32 v[50:51], v49, v[2:3]
	s_delay_alu instid0(VALU_DEP_1)
	v_and_b32_e32 v2, 7, v50
; %bb.110:                              ;   in Loop: Header=BB309_12 Depth=1
	s_or_b32 exec_lo, exec_lo, s45
	s_delay_alu instid0(VALU_DEP_1) | instskip(SKIP_1) | instid1(VALU_DEP_2)
	v_dual_lshlrev_b32 v48, 16, v48 :: v_dual_lshlrev_b32 v2, 20, v2
	v_lshl_add_u32 v46, v46, 23, 0x3c000000
	v_and_b32_e32 v48, 0x80000000, v48
	s_delay_alu instid0(VALU_DEP_1)
	v_or3_b32 v46, v2, v48, v46
.LBB309_111:                            ;   in Loop: Header=BB309_12 Depth=1
	s_or_b32 exec_lo, exec_lo, s44
.LBB309_112:                            ;   in Loop: Header=BB309_12 Depth=1
	s_delay_alu instid0(SALU_CYCLE_1)
	s_or_b32 exec_lo, exec_lo, s43
.LBB309_113:                            ;   in Loop: Header=BB309_12 Depth=1
	s_delay_alu instid0(SALU_CYCLE_1)
	s_or_b32 exec_lo, exec_lo, s42
	global_load_u16 v2, v[26:27], off offset:384
	v_mov_b32_e32 v48, 0
	s_wait_loadcnt 0x0
	v_and_b32_e32 v49, 0xff, v2
	v_and_b32_e32 v50, 0xffff, v2
	s_delay_alu instid0(VALU_DEP_2)
	v_cmp_ne_u16_e64 s4, 0, v49
	v_mov_b32_e32 v49, 0
	s_and_saveexec_b32 s42, s4
	s_cbranch_execz .LBB309_121
; %bb.114:                              ;   in Loop: Header=BB309_12 Depth=1
	v_and_b32_e32 v2, 0xff, v50
	v_bfrev_b32_e32 v49, 1
	s_mov_b32 s43, exec_lo
	s_delay_alu instid0(VALU_DEP_2)
	v_cmpx_ne_u16_e32 0x80, v2
	s_cbranch_execz .LBB309_120
; %bb.115:                              ;   in Loop: Header=BB309_12 Depth=1
	v_and_b32_e32 v51, 0x7f, v50
	v_mov_b32_e32 v49, 0x7f800001
	s_mov_b32 s44, exec_lo
	s_delay_alu instid0(VALU_DEP_2)
	v_cmpx_ne_u32_e32 0x7f, v51
	s_cbranch_execz .LBB309_119
; %bb.116:                              ;   in Loop: Header=BB309_12 Depth=1
	v_dual_lshrrev_b32 v49, 3, v51 :: v_dual_bitop2_b32 v2, 7, v50 bitop3:0x40
	s_mov_b32 s45, exec_lo
	v_cmpx_gt_u32_e32 8, v51
; %bb.117:                              ;   in Loop: Header=BB309_12 Depth=1
	s_delay_alu instid0(VALU_DEP_2) | instskip(NEXT) | instid1(VALU_DEP_1)
	v_clz_i32_u32_e32 v49, v2
	v_min_u32_e32 v49, 32, v49
	s_delay_alu instid0(VALU_DEP_1) | instskip(NEXT) | instid1(VALU_DEP_1)
	v_subrev_nc_u32_e32 v51, 28, v49
	v_lshlrev_b64_e32 v[52:53], v51, v[2:3]
	s_delay_alu instid0(VALU_DEP_1)
	v_dual_sub_nc_u32 v49, 29, v49 :: v_dual_bitop2_b32 v2, 7, v52 bitop3:0x40
; %bb.118:                              ;   in Loop: Header=BB309_12 Depth=1
	s_or_b32 exec_lo, exec_lo, s45
	v_lshlrev_b32_e32 v51, 24, v50
	s_delay_alu instid0(VALU_DEP_2) | instskip(NEXT) | instid1(VALU_DEP_3)
	v_lshlrev_b32_e32 v2, 20, v2
	v_lshl_add_u32 v49, v49, 23, 0x3c000000
	s_delay_alu instid0(VALU_DEP_3) | instskip(NEXT) | instid1(VALU_DEP_1)
	v_and_b32_e32 v51, 0x80000000, v51
	v_or3_b32 v49, v2, v51, v49
.LBB309_119:                            ;   in Loop: Header=BB309_12 Depth=1
	s_or_b32 exec_lo, exec_lo, s44
.LBB309_120:                            ;   in Loop: Header=BB309_12 Depth=1
	s_delay_alu instid0(SALU_CYCLE_1)
	s_or_b32 exec_lo, exec_lo, s43
.LBB309_121:                            ;   in Loop: Header=BB309_12 Depth=1
	s_delay_alu instid0(SALU_CYCLE_1) | instskip(SKIP_2) | instid1(VALU_DEP_1)
	s_or_b32 exec_lo, exec_lo, s42
	v_lshrrev_b16 v2, 8, v50
	s_mov_b32 s42, exec_lo
	v_cmpx_ne_u16_e32 0, v2
	s_cbranch_execz .LBB309_129
; %bb.122:                              ;   in Loop: Header=BB309_12 Depth=1
	v_bfrev_b32_e32 v48, 1
	s_mov_b32 s43, exec_lo
	v_cmpx_ne_u16_e32 0x80, v2
	s_cbranch_execz .LBB309_128
; %bb.123:                              ;   in Loop: Header=BB309_12 Depth=1
	v_and_b32_e32 v2, 0xffff, v2
	v_mov_b32_e32 v48, 0x7f800001
	s_mov_b32 s44, exec_lo
	s_delay_alu instid0(VALU_DEP_2) | instskip(NEXT) | instid1(VALU_DEP_1)
	v_and_b32_e32 v51, 0x7f, v2
	v_cmpx_ne_u32_e32 0x7f, v51
	s_cbranch_execz .LBB309_127
; %bb.124:                              ;   in Loop: Header=BB309_12 Depth=1
	v_dual_lshrrev_b32 v48, 3, v51 :: v_dual_bitop2_b32 v2, 7, v2 bitop3:0x40
	s_mov_b32 s45, exec_lo
	v_cmpx_gt_u32_e32 8, v51
; %bb.125:                              ;   in Loop: Header=BB309_12 Depth=1
	s_delay_alu instid0(VALU_DEP_2) | instskip(NEXT) | instid1(VALU_DEP_1)
	v_clz_i32_u32_e32 v48, v2
	v_min_u32_e32 v48, 32, v48
	s_delay_alu instid0(VALU_DEP_1) | instskip(SKIP_1) | instid1(VALU_DEP_2)
	v_subrev_nc_u32_e32 v51, 28, v48
	v_sub_nc_u32_e32 v48, 29, v48
	v_lshlrev_b64_e32 v[52:53], v51, v[2:3]
	s_delay_alu instid0(VALU_DEP_1)
	v_and_b32_e32 v2, 7, v52
; %bb.126:                              ;   in Loop: Header=BB309_12 Depth=1
	s_or_b32 exec_lo, exec_lo, s45
	v_lshlrev_b32_e32 v50, 16, v50
	s_delay_alu instid0(VALU_DEP_2) | instskip(SKIP_1) | instid1(VALU_DEP_3)
	v_lshlrev_b32_e32 v2, 20, v2
	v_lshl_add_u32 v48, v48, 23, 0x3c000000
	v_and_b32_e32 v50, 0x80000000, v50
	s_delay_alu instid0(VALU_DEP_1)
	v_or3_b32 v48, v2, v50, v48
.LBB309_127:                            ;   in Loop: Header=BB309_12 Depth=1
	s_or_b32 exec_lo, exec_lo, s44
.LBB309_128:                            ;   in Loop: Header=BB309_12 Depth=1
	s_delay_alu instid0(SALU_CYCLE_1)
	s_or_b32 exec_lo, exec_lo, s43
.LBB309_129:                            ;   in Loop: Header=BB309_12 Depth=1
	s_delay_alu instid0(SALU_CYCLE_1)
	s_or_b32 exec_lo, exec_lo, s42
	global_load_u16 v2, v[26:27], off offset:392
	v_mov_b32_e32 v50, 0
	s_wait_loadcnt 0x0
	v_and_b32_e32 v51, 0xff, v2
	v_and_b32_e32 v52, 0xffff, v2
	s_delay_alu instid0(VALU_DEP_2)
	v_cmp_ne_u16_e64 s4, 0, v51
	v_mov_b32_e32 v51, 0
	s_and_saveexec_b32 s42, s4
	s_cbranch_execz .LBB309_137
; %bb.130:                              ;   in Loop: Header=BB309_12 Depth=1
	v_and_b32_e32 v2, 0xff, v52
	v_bfrev_b32_e32 v51, 1
	s_mov_b32 s43, exec_lo
	s_delay_alu instid0(VALU_DEP_2)
	v_cmpx_ne_u16_e32 0x80, v2
	s_cbranch_execz .LBB309_136
; %bb.131:                              ;   in Loop: Header=BB309_12 Depth=1
	v_and_b32_e32 v53, 0x7f, v52
	v_mov_b32_e32 v51, 0x7f800001
	s_mov_b32 s44, exec_lo
	s_delay_alu instid0(VALU_DEP_2)
	v_cmpx_ne_u32_e32 0x7f, v53
	s_cbranch_execz .LBB309_135
; %bb.132:                              ;   in Loop: Header=BB309_12 Depth=1
	v_dual_lshrrev_b32 v51, 3, v53 :: v_dual_bitop2_b32 v2, 7, v52 bitop3:0x40
	s_mov_b32 s45, exec_lo
	v_cmpx_gt_u32_e32 8, v53
; %bb.133:                              ;   in Loop: Header=BB309_12 Depth=1
	s_delay_alu instid0(VALU_DEP_2) | instskip(NEXT) | instid1(VALU_DEP_1)
	v_clz_i32_u32_e32 v51, v2
	v_min_u32_e32 v51, 32, v51
	s_delay_alu instid0(VALU_DEP_1) | instskip(NEXT) | instid1(VALU_DEP_1)
	v_subrev_nc_u32_e32 v53, 28, v51
	v_lshlrev_b64_e32 v[54:55], v53, v[2:3]
	s_delay_alu instid0(VALU_DEP_1)
	v_dual_sub_nc_u32 v51, 29, v51 :: v_dual_bitop2_b32 v2, 7, v54 bitop3:0x40
; %bb.134:                              ;   in Loop: Header=BB309_12 Depth=1
	s_or_b32 exec_lo, exec_lo, s45
	s_delay_alu instid0(VALU_DEP_1) | instskip(NEXT) | instid1(VALU_DEP_2)
	v_dual_lshlrev_b32 v53, 24, v52 :: v_dual_lshlrev_b32 v2, 20, v2
	v_lshl_add_u32 v51, v51, 23, 0x3c000000
	s_delay_alu instid0(VALU_DEP_2) | instskip(NEXT) | instid1(VALU_DEP_1)
	v_and_b32_e32 v53, 0x80000000, v53
	v_or3_b32 v51, v2, v53, v51
.LBB309_135:                            ;   in Loop: Header=BB309_12 Depth=1
	s_or_b32 exec_lo, exec_lo, s44
.LBB309_136:                            ;   in Loop: Header=BB309_12 Depth=1
	s_delay_alu instid0(SALU_CYCLE_1)
	s_or_b32 exec_lo, exec_lo, s43
.LBB309_137:                            ;   in Loop: Header=BB309_12 Depth=1
	s_delay_alu instid0(SALU_CYCLE_1) | instskip(SKIP_2) | instid1(VALU_DEP_1)
	s_or_b32 exec_lo, exec_lo, s42
	v_lshrrev_b16 v2, 8, v52
	s_mov_b32 s42, exec_lo
	v_cmpx_ne_u16_e32 0, v2
	s_cbranch_execz .LBB309_145
; %bb.138:                              ;   in Loop: Header=BB309_12 Depth=1
	v_bfrev_b32_e32 v50, 1
	s_mov_b32 s43, exec_lo
	v_cmpx_ne_u16_e32 0x80, v2
	s_cbranch_execz .LBB309_144
; %bb.139:                              ;   in Loop: Header=BB309_12 Depth=1
	v_and_b32_e32 v2, 0xffff, v2
	v_mov_b32_e32 v50, 0x7f800001
	s_mov_b32 s44, exec_lo
	s_delay_alu instid0(VALU_DEP_2) | instskip(NEXT) | instid1(VALU_DEP_1)
	v_and_b32_e32 v53, 0x7f, v2
	v_cmpx_ne_u32_e32 0x7f, v53
	s_cbranch_execz .LBB309_143
; %bb.140:                              ;   in Loop: Header=BB309_12 Depth=1
	v_dual_lshrrev_b32 v50, 3, v53 :: v_dual_bitop2_b32 v2, 7, v2 bitop3:0x40
	s_mov_b32 s45, exec_lo
	v_cmpx_gt_u32_e32 8, v53
; %bb.141:                              ;   in Loop: Header=BB309_12 Depth=1
	s_delay_alu instid0(VALU_DEP_2) | instskip(NEXT) | instid1(VALU_DEP_1)
	v_clz_i32_u32_e32 v50, v2
	v_min_u32_e32 v50, 32, v50
	s_delay_alu instid0(VALU_DEP_1) | instskip(SKIP_1) | instid1(VALU_DEP_2)
	v_subrev_nc_u32_e32 v53, 28, v50
	v_sub_nc_u32_e32 v50, 29, v50
	v_lshlrev_b64_e32 v[54:55], v53, v[2:3]
	s_delay_alu instid0(VALU_DEP_1)
	v_and_b32_e32 v2, 7, v54
; %bb.142:                              ;   in Loop: Header=BB309_12 Depth=1
	s_or_b32 exec_lo, exec_lo, s45
	s_delay_alu instid0(VALU_DEP_1) | instskip(SKIP_1) | instid1(VALU_DEP_2)
	v_dual_lshlrev_b32 v52, 16, v52 :: v_dual_lshlrev_b32 v2, 20, v2
	v_lshl_add_u32 v50, v50, 23, 0x3c000000
	v_and_b32_e32 v52, 0x80000000, v52
	s_delay_alu instid0(VALU_DEP_1)
	v_or3_b32 v50, v2, v52, v50
.LBB309_143:                            ;   in Loop: Header=BB309_12 Depth=1
	s_or_b32 exec_lo, exec_lo, s44
.LBB309_144:                            ;   in Loop: Header=BB309_12 Depth=1
	s_delay_alu instid0(SALU_CYCLE_1)
	s_or_b32 exec_lo, exec_lo, s43
.LBB309_145:                            ;   in Loop: Header=BB309_12 Depth=1
	s_delay_alu instid0(SALU_CYCLE_1)
	s_or_b32 exec_lo, exec_lo, s42
	global_load_u16 v2, v[26:27], off offset:512
	v_mov_b32_e32 v52, 0
	s_wait_loadcnt 0x0
	v_and_b32_e32 v53, 0xff, v2
	v_and_b32_e32 v54, 0xffff, v2
	s_delay_alu instid0(VALU_DEP_2)
	v_cmp_ne_u16_e64 s4, 0, v53
	v_mov_b32_e32 v53, 0
	s_and_saveexec_b32 s42, s4
	s_cbranch_execz .LBB309_153
; %bb.146:                              ;   in Loop: Header=BB309_12 Depth=1
	v_and_b32_e32 v2, 0xff, v54
	v_bfrev_b32_e32 v53, 1
	s_mov_b32 s43, exec_lo
	s_delay_alu instid0(VALU_DEP_2)
	v_cmpx_ne_u16_e32 0x80, v2
	s_cbranch_execz .LBB309_152
; %bb.147:                              ;   in Loop: Header=BB309_12 Depth=1
	v_and_b32_e32 v55, 0x7f, v54
	v_mov_b32_e32 v53, 0x7f800001
	s_mov_b32 s44, exec_lo
	s_delay_alu instid0(VALU_DEP_2)
	v_cmpx_ne_u32_e32 0x7f, v55
	s_cbranch_execz .LBB309_151
; %bb.148:                              ;   in Loop: Header=BB309_12 Depth=1
	v_dual_lshrrev_b32 v53, 3, v55 :: v_dual_bitop2_b32 v2, 7, v54 bitop3:0x40
	s_mov_b32 s45, exec_lo
	v_cmpx_gt_u32_e32 8, v55
; %bb.149:                              ;   in Loop: Header=BB309_12 Depth=1
	s_delay_alu instid0(VALU_DEP_2) | instskip(NEXT) | instid1(VALU_DEP_1)
	v_clz_i32_u32_e32 v53, v2
	v_min_u32_e32 v53, 32, v53
	s_delay_alu instid0(VALU_DEP_1) | instskip(NEXT) | instid1(VALU_DEP_1)
	v_subrev_nc_u32_e32 v55, 28, v53
	v_lshlrev_b64_e32 v[56:57], v55, v[2:3]
	s_delay_alu instid0(VALU_DEP_1)
	v_dual_sub_nc_u32 v53, 29, v53 :: v_dual_bitop2_b32 v2, 7, v56 bitop3:0x40
; %bb.150:                              ;   in Loop: Header=BB309_12 Depth=1
	s_or_b32 exec_lo, exec_lo, s45
	v_lshlrev_b32_e32 v55, 24, v54
	s_delay_alu instid0(VALU_DEP_2) | instskip(NEXT) | instid1(VALU_DEP_3)
	v_lshlrev_b32_e32 v2, 20, v2
	v_lshl_add_u32 v53, v53, 23, 0x3c000000
	s_delay_alu instid0(VALU_DEP_3) | instskip(NEXT) | instid1(VALU_DEP_1)
	v_and_b32_e32 v55, 0x80000000, v55
	v_or3_b32 v53, v2, v55, v53
.LBB309_151:                            ;   in Loop: Header=BB309_12 Depth=1
	s_or_b32 exec_lo, exec_lo, s44
.LBB309_152:                            ;   in Loop: Header=BB309_12 Depth=1
	s_delay_alu instid0(SALU_CYCLE_1)
	s_or_b32 exec_lo, exec_lo, s43
.LBB309_153:                            ;   in Loop: Header=BB309_12 Depth=1
	s_delay_alu instid0(SALU_CYCLE_1) | instskip(SKIP_2) | instid1(VALU_DEP_1)
	s_or_b32 exec_lo, exec_lo, s42
	v_lshrrev_b16 v2, 8, v54
	s_mov_b32 s42, exec_lo
	v_cmpx_ne_u16_e32 0, v2
	s_cbranch_execz .LBB309_161
; %bb.154:                              ;   in Loop: Header=BB309_12 Depth=1
	v_bfrev_b32_e32 v52, 1
	s_mov_b32 s43, exec_lo
	v_cmpx_ne_u16_e32 0x80, v2
	s_cbranch_execz .LBB309_160
; %bb.155:                              ;   in Loop: Header=BB309_12 Depth=1
	v_and_b32_e32 v2, 0xffff, v2
	v_mov_b32_e32 v52, 0x7f800001
	s_mov_b32 s44, exec_lo
	s_delay_alu instid0(VALU_DEP_2) | instskip(NEXT) | instid1(VALU_DEP_1)
	v_and_b32_e32 v55, 0x7f, v2
	v_cmpx_ne_u32_e32 0x7f, v55
	s_cbranch_execz .LBB309_159
; %bb.156:                              ;   in Loop: Header=BB309_12 Depth=1
	v_dual_lshrrev_b32 v52, 3, v55 :: v_dual_bitop2_b32 v2, 7, v2 bitop3:0x40
	s_mov_b32 s45, exec_lo
	v_cmpx_gt_u32_e32 8, v55
; %bb.157:                              ;   in Loop: Header=BB309_12 Depth=1
	s_delay_alu instid0(VALU_DEP_2) | instskip(NEXT) | instid1(VALU_DEP_1)
	v_clz_i32_u32_e32 v52, v2
	v_min_u32_e32 v52, 32, v52
	s_delay_alu instid0(VALU_DEP_1) | instskip(SKIP_1) | instid1(VALU_DEP_2)
	v_subrev_nc_u32_e32 v55, 28, v52
	v_sub_nc_u32_e32 v52, 29, v52
	v_lshlrev_b64_e32 v[56:57], v55, v[2:3]
	s_delay_alu instid0(VALU_DEP_1)
	v_and_b32_e32 v2, 7, v56
; %bb.158:                              ;   in Loop: Header=BB309_12 Depth=1
	s_or_b32 exec_lo, exec_lo, s45
	v_lshlrev_b32_e32 v54, 16, v54
	s_delay_alu instid0(VALU_DEP_2) | instskip(SKIP_1) | instid1(VALU_DEP_3)
	v_lshlrev_b32_e32 v2, 20, v2
	v_lshl_add_u32 v52, v52, 23, 0x3c000000
	v_and_b32_e32 v54, 0x80000000, v54
	s_delay_alu instid0(VALU_DEP_1)
	v_or3_b32 v52, v2, v54, v52
.LBB309_159:                            ;   in Loop: Header=BB309_12 Depth=1
	s_or_b32 exec_lo, exec_lo, s44
.LBB309_160:                            ;   in Loop: Header=BB309_12 Depth=1
	s_delay_alu instid0(SALU_CYCLE_1)
	s_or_b32 exec_lo, exec_lo, s43
.LBB309_161:                            ;   in Loop: Header=BB309_12 Depth=1
	s_delay_alu instid0(SALU_CYCLE_1)
	s_or_b32 exec_lo, exec_lo, s42
	global_load_u16 v2, v[26:27], off offset:520
	v_mov_b32_e32 v54, 0
	s_wait_loadcnt 0x0
	v_and_b32_e32 v55, 0xff, v2
	v_and_b32_e32 v56, 0xffff, v2
	s_delay_alu instid0(VALU_DEP_2)
	v_cmp_ne_u16_e64 s4, 0, v55
	v_mov_b32_e32 v55, 0
	s_and_saveexec_b32 s42, s4
	s_cbranch_execz .LBB309_169
; %bb.162:                              ;   in Loop: Header=BB309_12 Depth=1
	v_and_b32_e32 v2, 0xff, v56
	v_bfrev_b32_e32 v55, 1
	s_mov_b32 s43, exec_lo
	s_delay_alu instid0(VALU_DEP_2)
	v_cmpx_ne_u16_e32 0x80, v2
	s_cbranch_execz .LBB309_168
; %bb.163:                              ;   in Loop: Header=BB309_12 Depth=1
	v_and_b32_e32 v57, 0x7f, v56
	v_mov_b32_e32 v55, 0x7f800001
	s_mov_b32 s44, exec_lo
	s_delay_alu instid0(VALU_DEP_2)
	v_cmpx_ne_u32_e32 0x7f, v57
	s_cbranch_execz .LBB309_167
; %bb.164:                              ;   in Loop: Header=BB309_12 Depth=1
	v_dual_lshrrev_b32 v55, 3, v57 :: v_dual_bitop2_b32 v2, 7, v56 bitop3:0x40
	s_mov_b32 s45, exec_lo
	v_cmpx_gt_u32_e32 8, v57
; %bb.165:                              ;   in Loop: Header=BB309_12 Depth=1
	s_delay_alu instid0(VALU_DEP_2) | instskip(NEXT) | instid1(VALU_DEP_1)
	v_clz_i32_u32_e32 v55, v2
	v_min_u32_e32 v55, 32, v55
	s_delay_alu instid0(VALU_DEP_1) | instskip(NEXT) | instid1(VALU_DEP_1)
	v_subrev_nc_u32_e32 v57, 28, v55
	v_lshlrev_b64_e32 v[58:59], v57, v[2:3]
	s_delay_alu instid0(VALU_DEP_1)
	v_dual_sub_nc_u32 v55, 29, v55 :: v_dual_bitop2_b32 v2, 7, v58 bitop3:0x40
; %bb.166:                              ;   in Loop: Header=BB309_12 Depth=1
	s_or_b32 exec_lo, exec_lo, s45
	s_delay_alu instid0(VALU_DEP_1) | instskip(NEXT) | instid1(VALU_DEP_2)
	v_dual_lshlrev_b32 v57, 24, v56 :: v_dual_lshlrev_b32 v2, 20, v2
	v_lshl_add_u32 v55, v55, 23, 0x3c000000
	s_delay_alu instid0(VALU_DEP_2) | instskip(NEXT) | instid1(VALU_DEP_1)
	v_and_b32_e32 v57, 0x80000000, v57
	v_or3_b32 v55, v2, v57, v55
.LBB309_167:                            ;   in Loop: Header=BB309_12 Depth=1
	s_or_b32 exec_lo, exec_lo, s44
.LBB309_168:                            ;   in Loop: Header=BB309_12 Depth=1
	s_delay_alu instid0(SALU_CYCLE_1)
	s_or_b32 exec_lo, exec_lo, s43
.LBB309_169:                            ;   in Loop: Header=BB309_12 Depth=1
	s_delay_alu instid0(SALU_CYCLE_1) | instskip(SKIP_2) | instid1(VALU_DEP_1)
	s_or_b32 exec_lo, exec_lo, s42
	v_lshrrev_b16 v2, 8, v56
	s_mov_b32 s42, exec_lo
	v_cmpx_ne_u16_e32 0, v2
	s_cbranch_execz .LBB309_177
; %bb.170:                              ;   in Loop: Header=BB309_12 Depth=1
	v_bfrev_b32_e32 v54, 1
	s_mov_b32 s43, exec_lo
	v_cmpx_ne_u16_e32 0x80, v2
	s_cbranch_execz .LBB309_176
; %bb.171:                              ;   in Loop: Header=BB309_12 Depth=1
	v_and_b32_e32 v2, 0xffff, v2
	v_mov_b32_e32 v54, 0x7f800001
	s_mov_b32 s44, exec_lo
	s_delay_alu instid0(VALU_DEP_2) | instskip(NEXT) | instid1(VALU_DEP_1)
	v_and_b32_e32 v57, 0x7f, v2
	v_cmpx_ne_u32_e32 0x7f, v57
	s_cbranch_execz .LBB309_175
; %bb.172:                              ;   in Loop: Header=BB309_12 Depth=1
	v_dual_lshrrev_b32 v54, 3, v57 :: v_dual_bitop2_b32 v2, 7, v2 bitop3:0x40
	s_mov_b32 s45, exec_lo
	v_cmpx_gt_u32_e32 8, v57
; %bb.173:                              ;   in Loop: Header=BB309_12 Depth=1
	s_delay_alu instid0(VALU_DEP_2) | instskip(NEXT) | instid1(VALU_DEP_1)
	v_clz_i32_u32_e32 v54, v2
	v_min_u32_e32 v54, 32, v54
	s_delay_alu instid0(VALU_DEP_1) | instskip(SKIP_1) | instid1(VALU_DEP_2)
	v_subrev_nc_u32_e32 v57, 28, v54
	v_sub_nc_u32_e32 v54, 29, v54
	v_lshlrev_b64_e32 v[58:59], v57, v[2:3]
	s_delay_alu instid0(VALU_DEP_1)
	v_and_b32_e32 v2, 7, v58
; %bb.174:                              ;   in Loop: Header=BB309_12 Depth=1
	s_or_b32 exec_lo, exec_lo, s45
	s_delay_alu instid0(VALU_DEP_1) | instskip(SKIP_1) | instid1(VALU_DEP_2)
	v_dual_lshlrev_b32 v56, 16, v56 :: v_dual_lshlrev_b32 v2, 20, v2
	v_lshl_add_u32 v54, v54, 23, 0x3c000000
	v_and_b32_e32 v56, 0x80000000, v56
	s_delay_alu instid0(VALU_DEP_1)
	v_or3_b32 v54, v2, v56, v54
.LBB309_175:                            ;   in Loop: Header=BB309_12 Depth=1
	s_or_b32 exec_lo, exec_lo, s44
.LBB309_176:                            ;   in Loop: Header=BB309_12 Depth=1
	s_delay_alu instid0(SALU_CYCLE_1)
	s_or_b32 exec_lo, exec_lo, s43
.LBB309_177:                            ;   in Loop: Header=BB309_12 Depth=1
	s_delay_alu instid0(SALU_CYCLE_1)
	s_or_b32 exec_lo, exec_lo, s42
	global_load_u16 v2, v[26:27], off offset:640
	v_mov_b32_e32 v56, 0
	s_wait_loadcnt 0x0
	v_and_b32_e32 v57, 0xff, v2
	v_and_b32_e32 v58, 0xffff, v2
	s_delay_alu instid0(VALU_DEP_2)
	v_cmp_ne_u16_e64 s4, 0, v57
	v_mov_b32_e32 v57, 0
	s_and_saveexec_b32 s42, s4
	s_cbranch_execz .LBB309_185
; %bb.178:                              ;   in Loop: Header=BB309_12 Depth=1
	v_and_b32_e32 v2, 0xff, v58
	v_bfrev_b32_e32 v57, 1
	s_mov_b32 s43, exec_lo
	s_delay_alu instid0(VALU_DEP_2)
	v_cmpx_ne_u16_e32 0x80, v2
	s_cbranch_execz .LBB309_184
; %bb.179:                              ;   in Loop: Header=BB309_12 Depth=1
	v_and_b32_e32 v59, 0x7f, v58
	v_mov_b32_e32 v57, 0x7f800001
	s_mov_b32 s44, exec_lo
	s_delay_alu instid0(VALU_DEP_2)
	v_cmpx_ne_u32_e32 0x7f, v59
	s_cbranch_execz .LBB309_183
; %bb.180:                              ;   in Loop: Header=BB309_12 Depth=1
	v_dual_lshrrev_b32 v57, 3, v59 :: v_dual_bitop2_b32 v2, 7, v58 bitop3:0x40
	s_mov_b32 s45, exec_lo
	v_cmpx_gt_u32_e32 8, v59
; %bb.181:                              ;   in Loop: Header=BB309_12 Depth=1
	s_delay_alu instid0(VALU_DEP_2) | instskip(NEXT) | instid1(VALU_DEP_1)
	v_clz_i32_u32_e32 v57, v2
	v_min_u32_e32 v57, 32, v57
	s_delay_alu instid0(VALU_DEP_1) | instskip(NEXT) | instid1(VALU_DEP_1)
	v_subrev_nc_u32_e32 v59, 28, v57
	v_lshlrev_b64_e32 v[60:61], v59, v[2:3]
	s_delay_alu instid0(VALU_DEP_1)
	v_dual_sub_nc_u32 v57, 29, v57 :: v_dual_bitop2_b32 v2, 7, v60 bitop3:0x40
; %bb.182:                              ;   in Loop: Header=BB309_12 Depth=1
	s_or_b32 exec_lo, exec_lo, s45
	v_lshlrev_b32_e32 v59, 24, v58
	s_delay_alu instid0(VALU_DEP_2) | instskip(NEXT) | instid1(VALU_DEP_3)
	v_lshlrev_b32_e32 v2, 20, v2
	v_lshl_add_u32 v57, v57, 23, 0x3c000000
	s_delay_alu instid0(VALU_DEP_3) | instskip(NEXT) | instid1(VALU_DEP_1)
	v_and_b32_e32 v59, 0x80000000, v59
	v_or3_b32 v57, v2, v59, v57
.LBB309_183:                            ;   in Loop: Header=BB309_12 Depth=1
	s_or_b32 exec_lo, exec_lo, s44
.LBB309_184:                            ;   in Loop: Header=BB309_12 Depth=1
	s_delay_alu instid0(SALU_CYCLE_1)
	s_or_b32 exec_lo, exec_lo, s43
.LBB309_185:                            ;   in Loop: Header=BB309_12 Depth=1
	s_delay_alu instid0(SALU_CYCLE_1) | instskip(SKIP_2) | instid1(VALU_DEP_1)
	s_or_b32 exec_lo, exec_lo, s42
	v_lshrrev_b16 v2, 8, v58
	s_mov_b32 s42, exec_lo
	v_cmpx_ne_u16_e32 0, v2
	s_cbranch_execz .LBB309_193
; %bb.186:                              ;   in Loop: Header=BB309_12 Depth=1
	v_bfrev_b32_e32 v56, 1
	s_mov_b32 s43, exec_lo
	v_cmpx_ne_u16_e32 0x80, v2
	s_cbranch_execz .LBB309_192
; %bb.187:                              ;   in Loop: Header=BB309_12 Depth=1
	v_and_b32_e32 v2, 0xffff, v2
	v_mov_b32_e32 v56, 0x7f800001
	s_mov_b32 s44, exec_lo
	s_delay_alu instid0(VALU_DEP_2) | instskip(NEXT) | instid1(VALU_DEP_1)
	v_and_b32_e32 v59, 0x7f, v2
	v_cmpx_ne_u32_e32 0x7f, v59
	s_cbranch_execz .LBB309_191
; %bb.188:                              ;   in Loop: Header=BB309_12 Depth=1
	v_dual_lshrrev_b32 v56, 3, v59 :: v_dual_bitop2_b32 v2, 7, v2 bitop3:0x40
	s_mov_b32 s45, exec_lo
	v_cmpx_gt_u32_e32 8, v59
; %bb.189:                              ;   in Loop: Header=BB309_12 Depth=1
	s_delay_alu instid0(VALU_DEP_2) | instskip(NEXT) | instid1(VALU_DEP_1)
	v_clz_i32_u32_e32 v56, v2
	v_min_u32_e32 v56, 32, v56
	s_delay_alu instid0(VALU_DEP_1) | instskip(SKIP_1) | instid1(VALU_DEP_2)
	v_subrev_nc_u32_e32 v59, 28, v56
	v_sub_nc_u32_e32 v56, 29, v56
	v_lshlrev_b64_e32 v[60:61], v59, v[2:3]
	s_delay_alu instid0(VALU_DEP_1)
	v_and_b32_e32 v2, 7, v60
; %bb.190:                              ;   in Loop: Header=BB309_12 Depth=1
	s_or_b32 exec_lo, exec_lo, s45
	v_lshlrev_b32_e32 v58, 16, v58
	s_delay_alu instid0(VALU_DEP_2) | instskip(SKIP_1) | instid1(VALU_DEP_3)
	v_lshlrev_b32_e32 v2, 20, v2
	v_lshl_add_u32 v56, v56, 23, 0x3c000000
	v_and_b32_e32 v58, 0x80000000, v58
	s_delay_alu instid0(VALU_DEP_1)
	v_or3_b32 v56, v2, v58, v56
.LBB309_191:                            ;   in Loop: Header=BB309_12 Depth=1
	s_or_b32 exec_lo, exec_lo, s44
.LBB309_192:                            ;   in Loop: Header=BB309_12 Depth=1
	s_delay_alu instid0(SALU_CYCLE_1)
	s_or_b32 exec_lo, exec_lo, s43
.LBB309_193:                            ;   in Loop: Header=BB309_12 Depth=1
	s_delay_alu instid0(SALU_CYCLE_1)
	s_or_b32 exec_lo, exec_lo, s42
	global_load_u16 v2, v[26:27], off offset:648
	v_mov_b32_e32 v58, 0
	s_wait_loadcnt 0x0
	v_and_b32_e32 v59, 0xff, v2
	v_and_b32_e32 v60, 0xffff, v2
	s_delay_alu instid0(VALU_DEP_2)
	v_cmp_ne_u16_e64 s4, 0, v59
	v_mov_b32_e32 v59, 0
	s_and_saveexec_b32 s42, s4
	s_cbranch_execz .LBB309_201
; %bb.194:                              ;   in Loop: Header=BB309_12 Depth=1
	v_and_b32_e32 v2, 0xff, v60
	v_bfrev_b32_e32 v59, 1
	s_mov_b32 s43, exec_lo
	s_delay_alu instid0(VALU_DEP_2)
	v_cmpx_ne_u16_e32 0x80, v2
	s_cbranch_execz .LBB309_200
; %bb.195:                              ;   in Loop: Header=BB309_12 Depth=1
	v_and_b32_e32 v61, 0x7f, v60
	v_mov_b32_e32 v59, 0x7f800001
	s_mov_b32 s44, exec_lo
	s_delay_alu instid0(VALU_DEP_2)
	v_cmpx_ne_u32_e32 0x7f, v61
	s_cbranch_execz .LBB309_199
; %bb.196:                              ;   in Loop: Header=BB309_12 Depth=1
	v_dual_lshrrev_b32 v59, 3, v61 :: v_dual_bitop2_b32 v2, 7, v60 bitop3:0x40
	s_mov_b32 s45, exec_lo
	v_cmpx_gt_u32_e32 8, v61
; %bb.197:                              ;   in Loop: Header=BB309_12 Depth=1
	s_delay_alu instid0(VALU_DEP_2) | instskip(NEXT) | instid1(VALU_DEP_1)
	v_clz_i32_u32_e32 v59, v2
	v_min_u32_e32 v59, 32, v59
	s_delay_alu instid0(VALU_DEP_1) | instskip(NEXT) | instid1(VALU_DEP_1)
	v_subrev_nc_u32_e32 v61, 28, v59
	v_lshlrev_b64_e32 v[62:63], v61, v[2:3]
	s_delay_alu instid0(VALU_DEP_1)
	v_dual_sub_nc_u32 v59, 29, v59 :: v_dual_bitop2_b32 v2, 7, v62 bitop3:0x40
; %bb.198:                              ;   in Loop: Header=BB309_12 Depth=1
	s_or_b32 exec_lo, exec_lo, s45
	s_delay_alu instid0(VALU_DEP_1) | instskip(NEXT) | instid1(VALU_DEP_2)
	v_dual_lshlrev_b32 v61, 24, v60 :: v_dual_lshlrev_b32 v2, 20, v2
	v_lshl_add_u32 v59, v59, 23, 0x3c000000
	s_delay_alu instid0(VALU_DEP_2) | instskip(NEXT) | instid1(VALU_DEP_1)
	v_and_b32_e32 v61, 0x80000000, v61
	v_or3_b32 v59, v2, v61, v59
.LBB309_199:                            ;   in Loop: Header=BB309_12 Depth=1
	s_or_b32 exec_lo, exec_lo, s44
.LBB309_200:                            ;   in Loop: Header=BB309_12 Depth=1
	s_delay_alu instid0(SALU_CYCLE_1)
	s_or_b32 exec_lo, exec_lo, s43
.LBB309_201:                            ;   in Loop: Header=BB309_12 Depth=1
	s_delay_alu instid0(SALU_CYCLE_1) | instskip(SKIP_2) | instid1(VALU_DEP_1)
	s_or_b32 exec_lo, exec_lo, s42
	v_lshrrev_b16 v2, 8, v60
	s_mov_b32 s42, exec_lo
	v_cmpx_ne_u16_e32 0, v2
	s_cbranch_execz .LBB309_209
; %bb.202:                              ;   in Loop: Header=BB309_12 Depth=1
	v_bfrev_b32_e32 v58, 1
	s_mov_b32 s43, exec_lo
	v_cmpx_ne_u16_e32 0x80, v2
	s_cbranch_execz .LBB309_208
; %bb.203:                              ;   in Loop: Header=BB309_12 Depth=1
	v_and_b32_e32 v2, 0xffff, v2
	v_mov_b32_e32 v58, 0x7f800001
	s_mov_b32 s44, exec_lo
	s_delay_alu instid0(VALU_DEP_2) | instskip(NEXT) | instid1(VALU_DEP_1)
	v_and_b32_e32 v61, 0x7f, v2
	v_cmpx_ne_u32_e32 0x7f, v61
	s_cbranch_execz .LBB309_207
; %bb.204:                              ;   in Loop: Header=BB309_12 Depth=1
	v_dual_lshrrev_b32 v58, 3, v61 :: v_dual_bitop2_b32 v2, 7, v2 bitop3:0x40
	s_mov_b32 s45, exec_lo
	v_cmpx_gt_u32_e32 8, v61
; %bb.205:                              ;   in Loop: Header=BB309_12 Depth=1
	s_delay_alu instid0(VALU_DEP_2) | instskip(NEXT) | instid1(VALU_DEP_1)
	v_clz_i32_u32_e32 v58, v2
	v_min_u32_e32 v58, 32, v58
	s_delay_alu instid0(VALU_DEP_1) | instskip(SKIP_1) | instid1(VALU_DEP_2)
	v_subrev_nc_u32_e32 v61, 28, v58
	v_sub_nc_u32_e32 v58, 29, v58
	v_lshlrev_b64_e32 v[62:63], v61, v[2:3]
	s_delay_alu instid0(VALU_DEP_1)
	v_and_b32_e32 v2, 7, v62
; %bb.206:                              ;   in Loop: Header=BB309_12 Depth=1
	s_or_b32 exec_lo, exec_lo, s45
	s_delay_alu instid0(VALU_DEP_1) | instskip(SKIP_1) | instid1(VALU_DEP_2)
	v_dual_lshlrev_b32 v60, 16, v60 :: v_dual_lshlrev_b32 v2, 20, v2
	v_lshl_add_u32 v58, v58, 23, 0x3c000000
	v_and_b32_e32 v60, 0x80000000, v60
	s_delay_alu instid0(VALU_DEP_1)
	v_or3_b32 v58, v2, v60, v58
.LBB309_207:                            ;   in Loop: Header=BB309_12 Depth=1
	s_or_b32 exec_lo, exec_lo, s44
.LBB309_208:                            ;   in Loop: Header=BB309_12 Depth=1
	s_delay_alu instid0(SALU_CYCLE_1)
	s_or_b32 exec_lo, exec_lo, s43
.LBB309_209:                            ;   in Loop: Header=BB309_12 Depth=1
	s_delay_alu instid0(SALU_CYCLE_1)
	s_or_b32 exec_lo, exec_lo, s42
	global_load_u16 v2, v[26:27], off offset:768
	v_mov_b32_e32 v60, 0
	s_wait_loadcnt 0x0
	v_and_b32_e32 v61, 0xff, v2
	v_and_b32_e32 v62, 0xffff, v2
	s_delay_alu instid0(VALU_DEP_2)
	v_cmp_ne_u16_e64 s4, 0, v61
	v_mov_b32_e32 v61, 0
	s_and_saveexec_b32 s42, s4
	s_cbranch_execz .LBB309_217
; %bb.210:                              ;   in Loop: Header=BB309_12 Depth=1
	v_and_b32_e32 v2, 0xff, v62
	v_bfrev_b32_e32 v61, 1
	s_mov_b32 s43, exec_lo
	s_delay_alu instid0(VALU_DEP_2)
	v_cmpx_ne_u16_e32 0x80, v2
	s_cbranch_execz .LBB309_216
; %bb.211:                              ;   in Loop: Header=BB309_12 Depth=1
	v_and_b32_e32 v63, 0x7f, v62
	v_mov_b32_e32 v61, 0x7f800001
	s_mov_b32 s44, exec_lo
	s_delay_alu instid0(VALU_DEP_2)
	v_cmpx_ne_u32_e32 0x7f, v63
	s_cbranch_execz .LBB309_215
; %bb.212:                              ;   in Loop: Header=BB309_12 Depth=1
	v_dual_lshrrev_b32 v61, 3, v63 :: v_dual_bitop2_b32 v2, 7, v62 bitop3:0x40
	s_mov_b32 s45, exec_lo
	v_cmpx_gt_u32_e32 8, v63
; %bb.213:                              ;   in Loop: Header=BB309_12 Depth=1
	s_delay_alu instid0(VALU_DEP_2) | instskip(NEXT) | instid1(VALU_DEP_1)
	v_clz_i32_u32_e32 v61, v2
	v_min_u32_e32 v61, 32, v61
	s_delay_alu instid0(VALU_DEP_1) | instskip(NEXT) | instid1(VALU_DEP_1)
	v_subrev_nc_u32_e32 v63, 28, v61
	v_lshlrev_b64_e32 v[64:65], v63, v[2:3]
	s_delay_alu instid0(VALU_DEP_1)
	v_dual_sub_nc_u32 v61, 29, v61 :: v_dual_bitop2_b32 v2, 7, v64 bitop3:0x40
; %bb.214:                              ;   in Loop: Header=BB309_12 Depth=1
	s_or_b32 exec_lo, exec_lo, s45
	v_lshlrev_b32_e32 v63, 24, v62
	s_delay_alu instid0(VALU_DEP_2) | instskip(NEXT) | instid1(VALU_DEP_3)
	v_lshlrev_b32_e32 v2, 20, v2
	v_lshl_add_u32 v61, v61, 23, 0x3c000000
	s_delay_alu instid0(VALU_DEP_3) | instskip(NEXT) | instid1(VALU_DEP_1)
	v_and_b32_e32 v63, 0x80000000, v63
	v_or3_b32 v61, v2, v63, v61
.LBB309_215:                            ;   in Loop: Header=BB309_12 Depth=1
	s_or_b32 exec_lo, exec_lo, s44
.LBB309_216:                            ;   in Loop: Header=BB309_12 Depth=1
	s_delay_alu instid0(SALU_CYCLE_1)
	s_or_b32 exec_lo, exec_lo, s43
.LBB309_217:                            ;   in Loop: Header=BB309_12 Depth=1
	s_delay_alu instid0(SALU_CYCLE_1) | instskip(SKIP_2) | instid1(VALU_DEP_1)
	s_or_b32 exec_lo, exec_lo, s42
	v_lshrrev_b16 v2, 8, v62
	s_mov_b32 s42, exec_lo
	v_cmpx_ne_u16_e32 0, v2
	s_cbranch_execz .LBB309_225
; %bb.218:                              ;   in Loop: Header=BB309_12 Depth=1
	v_bfrev_b32_e32 v60, 1
	s_mov_b32 s43, exec_lo
	v_cmpx_ne_u16_e32 0x80, v2
	s_cbranch_execz .LBB309_224
; %bb.219:                              ;   in Loop: Header=BB309_12 Depth=1
	v_and_b32_e32 v2, 0xffff, v2
	v_mov_b32_e32 v60, 0x7f800001
	s_mov_b32 s44, exec_lo
	s_delay_alu instid0(VALU_DEP_2) | instskip(NEXT) | instid1(VALU_DEP_1)
	v_and_b32_e32 v63, 0x7f, v2
	v_cmpx_ne_u32_e32 0x7f, v63
	s_cbranch_execz .LBB309_223
; %bb.220:                              ;   in Loop: Header=BB309_12 Depth=1
	v_dual_lshrrev_b32 v60, 3, v63 :: v_dual_bitop2_b32 v2, 7, v2 bitop3:0x40
	s_mov_b32 s45, exec_lo
	v_cmpx_gt_u32_e32 8, v63
; %bb.221:                              ;   in Loop: Header=BB309_12 Depth=1
	s_delay_alu instid0(VALU_DEP_2) | instskip(NEXT) | instid1(VALU_DEP_1)
	v_clz_i32_u32_e32 v60, v2
	v_min_u32_e32 v60, 32, v60
	s_delay_alu instid0(VALU_DEP_1) | instskip(SKIP_1) | instid1(VALU_DEP_2)
	v_subrev_nc_u32_e32 v63, 28, v60
	v_sub_nc_u32_e32 v60, 29, v60
	v_lshlrev_b64_e32 v[64:65], v63, v[2:3]
	s_delay_alu instid0(VALU_DEP_1)
	v_and_b32_e32 v2, 7, v64
; %bb.222:                              ;   in Loop: Header=BB309_12 Depth=1
	s_or_b32 exec_lo, exec_lo, s45
	v_lshlrev_b32_e32 v62, 16, v62
	s_delay_alu instid0(VALU_DEP_2) | instskip(SKIP_1) | instid1(VALU_DEP_3)
	v_lshlrev_b32_e32 v2, 20, v2
	v_lshl_add_u32 v60, v60, 23, 0x3c000000
	v_and_b32_e32 v62, 0x80000000, v62
	s_delay_alu instid0(VALU_DEP_1)
	v_or3_b32 v60, v2, v62, v60
.LBB309_223:                            ;   in Loop: Header=BB309_12 Depth=1
	s_or_b32 exec_lo, exec_lo, s44
.LBB309_224:                            ;   in Loop: Header=BB309_12 Depth=1
	s_delay_alu instid0(SALU_CYCLE_1)
	s_or_b32 exec_lo, exec_lo, s43
.LBB309_225:                            ;   in Loop: Header=BB309_12 Depth=1
	s_delay_alu instid0(SALU_CYCLE_1)
	s_or_b32 exec_lo, exec_lo, s42
	global_load_u16 v2, v[26:27], off offset:776
	v_mov_b32_e32 v62, 0
	s_wait_loadcnt 0x0
	v_and_b32_e32 v63, 0xff, v2
	v_and_b32_e32 v64, 0xffff, v2
	s_delay_alu instid0(VALU_DEP_2)
	v_cmp_ne_u16_e64 s4, 0, v63
	v_mov_b32_e32 v63, 0
	s_and_saveexec_b32 s42, s4
	s_cbranch_execz .LBB309_233
; %bb.226:                              ;   in Loop: Header=BB309_12 Depth=1
	v_and_b32_e32 v2, 0xff, v64
	v_bfrev_b32_e32 v63, 1
	s_mov_b32 s43, exec_lo
	s_delay_alu instid0(VALU_DEP_2)
	v_cmpx_ne_u16_e32 0x80, v2
	s_cbranch_execz .LBB309_232
; %bb.227:                              ;   in Loop: Header=BB309_12 Depth=1
	v_and_b32_e32 v65, 0x7f, v64
	v_mov_b32_e32 v63, 0x7f800001
	s_mov_b32 s44, exec_lo
	s_delay_alu instid0(VALU_DEP_2)
	v_cmpx_ne_u32_e32 0x7f, v65
	s_cbranch_execz .LBB309_231
; %bb.228:                              ;   in Loop: Header=BB309_12 Depth=1
	v_dual_lshrrev_b32 v63, 3, v65 :: v_dual_bitop2_b32 v2, 7, v64 bitop3:0x40
	s_mov_b32 s45, exec_lo
	v_cmpx_gt_u32_e32 8, v65
; %bb.229:                              ;   in Loop: Header=BB309_12 Depth=1
	s_delay_alu instid0(VALU_DEP_2) | instskip(NEXT) | instid1(VALU_DEP_1)
	v_clz_i32_u32_e32 v63, v2
	v_min_u32_e32 v63, 32, v63
	s_delay_alu instid0(VALU_DEP_1) | instskip(NEXT) | instid1(VALU_DEP_1)
	v_subrev_nc_u32_e32 v65, 28, v63
	v_lshlrev_b64_e32 v[66:67], v65, v[2:3]
	s_delay_alu instid0(VALU_DEP_1)
	v_dual_sub_nc_u32 v63, 29, v63 :: v_dual_bitop2_b32 v2, 7, v66 bitop3:0x40
; %bb.230:                              ;   in Loop: Header=BB309_12 Depth=1
	s_or_b32 exec_lo, exec_lo, s45
	s_delay_alu instid0(VALU_DEP_1) | instskip(NEXT) | instid1(VALU_DEP_2)
	v_dual_lshlrev_b32 v65, 24, v64 :: v_dual_lshlrev_b32 v2, 20, v2
	v_lshl_add_u32 v63, v63, 23, 0x3c000000
	s_delay_alu instid0(VALU_DEP_2) | instskip(NEXT) | instid1(VALU_DEP_1)
	v_and_b32_e32 v65, 0x80000000, v65
	v_or3_b32 v63, v2, v65, v63
.LBB309_231:                            ;   in Loop: Header=BB309_12 Depth=1
	s_or_b32 exec_lo, exec_lo, s44
.LBB309_232:                            ;   in Loop: Header=BB309_12 Depth=1
	s_delay_alu instid0(SALU_CYCLE_1)
	s_or_b32 exec_lo, exec_lo, s43
.LBB309_233:                            ;   in Loop: Header=BB309_12 Depth=1
	s_delay_alu instid0(SALU_CYCLE_1) | instskip(SKIP_2) | instid1(VALU_DEP_1)
	s_or_b32 exec_lo, exec_lo, s42
	v_lshrrev_b16 v2, 8, v64
	s_mov_b32 s42, exec_lo
	v_cmpx_ne_u16_e32 0, v2
	s_cbranch_execz .LBB309_241
; %bb.234:                              ;   in Loop: Header=BB309_12 Depth=1
	v_bfrev_b32_e32 v62, 1
	s_mov_b32 s43, exec_lo
	v_cmpx_ne_u16_e32 0x80, v2
	s_cbranch_execz .LBB309_240
; %bb.235:                              ;   in Loop: Header=BB309_12 Depth=1
	v_and_b32_e32 v2, 0xffff, v2
	v_mov_b32_e32 v62, 0x7f800001
	s_mov_b32 s44, exec_lo
	s_delay_alu instid0(VALU_DEP_2) | instskip(NEXT) | instid1(VALU_DEP_1)
	v_and_b32_e32 v65, 0x7f, v2
	v_cmpx_ne_u32_e32 0x7f, v65
	s_cbranch_execz .LBB309_239
; %bb.236:                              ;   in Loop: Header=BB309_12 Depth=1
	v_dual_lshrrev_b32 v62, 3, v65 :: v_dual_bitop2_b32 v2, 7, v2 bitop3:0x40
	s_mov_b32 s45, exec_lo
	v_cmpx_gt_u32_e32 8, v65
; %bb.237:                              ;   in Loop: Header=BB309_12 Depth=1
	s_delay_alu instid0(VALU_DEP_2) | instskip(NEXT) | instid1(VALU_DEP_1)
	v_clz_i32_u32_e32 v62, v2
	v_min_u32_e32 v62, 32, v62
	s_delay_alu instid0(VALU_DEP_1) | instskip(SKIP_1) | instid1(VALU_DEP_2)
	v_subrev_nc_u32_e32 v65, 28, v62
	v_sub_nc_u32_e32 v62, 29, v62
	v_lshlrev_b64_e32 v[66:67], v65, v[2:3]
	s_delay_alu instid0(VALU_DEP_1)
	v_and_b32_e32 v2, 7, v66
; %bb.238:                              ;   in Loop: Header=BB309_12 Depth=1
	s_or_b32 exec_lo, exec_lo, s45
	s_delay_alu instid0(VALU_DEP_1) | instskip(SKIP_1) | instid1(VALU_DEP_2)
	v_dual_lshlrev_b32 v64, 16, v64 :: v_dual_lshlrev_b32 v2, 20, v2
	v_lshl_add_u32 v62, v62, 23, 0x3c000000
	v_and_b32_e32 v64, 0x80000000, v64
	s_delay_alu instid0(VALU_DEP_1)
	v_or3_b32 v62, v2, v64, v62
.LBB309_239:                            ;   in Loop: Header=BB309_12 Depth=1
	s_or_b32 exec_lo, exec_lo, s44
.LBB309_240:                            ;   in Loop: Header=BB309_12 Depth=1
	s_delay_alu instid0(SALU_CYCLE_1)
	s_or_b32 exec_lo, exec_lo, s43
.LBB309_241:                            ;   in Loop: Header=BB309_12 Depth=1
	s_delay_alu instid0(SALU_CYCLE_1)
	s_or_b32 exec_lo, exec_lo, s42
	global_load_u16 v2, v[26:27], off offset:896
	s_wait_xcnt 0x0
	v_mov_b32_e32 v26, 0
	s_wait_loadcnt 0x0
	v_and_b32_e32 v27, 0xff, v2
	v_and_b32_e32 v64, 0xffff, v2
	s_delay_alu instid0(VALU_DEP_2)
	v_cmp_ne_u16_e64 s4, 0, v27
	v_mov_b32_e32 v27, 0
	s_and_saveexec_b32 s42, s4
	s_cbranch_execz .LBB309_249
; %bb.242:                              ;   in Loop: Header=BB309_12 Depth=1
	v_and_b32_e32 v2, 0xff, v64
	v_bfrev_b32_e32 v27, 1
	s_mov_b32 s43, exec_lo
	s_delay_alu instid0(VALU_DEP_2)
	v_cmpx_ne_u16_e32 0x80, v2
	s_cbranch_execz .LBB309_248
; %bb.243:                              ;   in Loop: Header=BB309_12 Depth=1
	v_and_b32_e32 v65, 0x7f, v64
	v_mov_b32_e32 v27, 0x7f800001
	s_mov_b32 s44, exec_lo
	s_delay_alu instid0(VALU_DEP_2)
	v_cmpx_ne_u32_e32 0x7f, v65
	s_cbranch_execz .LBB309_247
; %bb.244:                              ;   in Loop: Header=BB309_12 Depth=1
	v_dual_lshrrev_b32 v27, 3, v65 :: v_dual_bitop2_b32 v2, 7, v64 bitop3:0x40
	s_mov_b32 s45, exec_lo
	v_cmpx_gt_u32_e32 8, v65
; %bb.245:                              ;   in Loop: Header=BB309_12 Depth=1
	s_delay_alu instid0(VALU_DEP_2) | instskip(NEXT) | instid1(VALU_DEP_1)
	v_clz_i32_u32_e32 v27, v2
	v_min_u32_e32 v27, 32, v27
	s_delay_alu instid0(VALU_DEP_1) | instskip(NEXT) | instid1(VALU_DEP_1)
	v_subrev_nc_u32_e32 v65, 28, v27
	v_lshlrev_b64_e32 v[66:67], v65, v[2:3]
	s_delay_alu instid0(VALU_DEP_1)
	v_dual_sub_nc_u32 v27, 29, v27 :: v_dual_bitop2_b32 v2, 7, v66 bitop3:0x40
; %bb.246:                              ;   in Loop: Header=BB309_12 Depth=1
	s_or_b32 exec_lo, exec_lo, s45
	s_delay_alu instid0(VALU_DEP_1) | instskip(NEXT) | instid1(VALU_DEP_2)
	v_dual_lshlrev_b32 v65, 24, v64 :: v_dual_lshlrev_b32 v2, 20, v2
	v_lshl_add_u32 v27, v27, 23, 0x3c000000
	s_delay_alu instid0(VALU_DEP_2) | instskip(NEXT) | instid1(VALU_DEP_1)
	v_and_b32_e32 v65, 0x80000000, v65
	v_or3_b32 v27, v2, v65, v27
.LBB309_247:                            ;   in Loop: Header=BB309_12 Depth=1
	s_or_b32 exec_lo, exec_lo, s44
.LBB309_248:                            ;   in Loop: Header=BB309_12 Depth=1
	s_delay_alu instid0(SALU_CYCLE_1)
	s_or_b32 exec_lo, exec_lo, s43
.LBB309_249:                            ;   in Loop: Header=BB309_12 Depth=1
	s_delay_alu instid0(SALU_CYCLE_1) | instskip(SKIP_2) | instid1(VALU_DEP_1)
	s_or_b32 exec_lo, exec_lo, s42
	v_lshrrev_b16 v2, 8, v64
	s_mov_b32 s42, exec_lo
	v_cmpx_ne_u16_e32 0, v2
	s_cbranch_execz .LBB309_257
; %bb.250:                              ;   in Loop: Header=BB309_12 Depth=1
	v_bfrev_b32_e32 v26, 1
	s_mov_b32 s43, exec_lo
	v_cmpx_ne_u16_e32 0x80, v2
	s_cbranch_execz .LBB309_256
; %bb.251:                              ;   in Loop: Header=BB309_12 Depth=1
	v_and_b32_e32 v2, 0xffff, v2
	v_mov_b32_e32 v26, 0x7f800001
	s_mov_b32 s44, exec_lo
	s_delay_alu instid0(VALU_DEP_2) | instskip(NEXT) | instid1(VALU_DEP_1)
	v_and_b32_e32 v65, 0x7f, v2
	v_cmpx_ne_u32_e32 0x7f, v65
	s_cbranch_execz .LBB309_255
; %bb.252:                              ;   in Loop: Header=BB309_12 Depth=1
	v_dual_lshrrev_b32 v26, 3, v65 :: v_dual_bitop2_b32 v2, 7, v2 bitop3:0x40
	s_mov_b32 s45, exec_lo
	v_cmpx_gt_u32_e32 8, v65
; %bb.253:                              ;   in Loop: Header=BB309_12 Depth=1
	s_delay_alu instid0(VALU_DEP_2) | instskip(NEXT) | instid1(VALU_DEP_1)
	v_clz_i32_u32_e32 v26, v2
	v_min_u32_e32 v26, 32, v26
	s_delay_alu instid0(VALU_DEP_1) | instskip(SKIP_1) | instid1(VALU_DEP_2)
	v_subrev_nc_u32_e32 v65, 28, v26
	v_sub_nc_u32_e32 v26, 29, v26
	v_lshlrev_b64_e32 v[66:67], v65, v[2:3]
	s_delay_alu instid0(VALU_DEP_1)
	v_and_b32_e32 v2, 7, v66
; %bb.254:                              ;   in Loop: Header=BB309_12 Depth=1
	s_or_b32 exec_lo, exec_lo, s45
	s_delay_alu instid0(VALU_DEP_1) | instskip(SKIP_1) | instid1(VALU_DEP_2)
	v_dual_lshlrev_b32 v64, 16, v64 :: v_dual_lshlrev_b32 v2, 20, v2
	v_lshl_add_u32 v26, v26, 23, 0x3c000000
	v_and_b32_e32 v64, 0x80000000, v64
	s_delay_alu instid0(VALU_DEP_1)
	v_or3_b32 v26, v2, v64, v26
.LBB309_255:                            ;   in Loop: Header=BB309_12 Depth=1
	s_or_b32 exec_lo, exec_lo, s44
.LBB309_256:                            ;   in Loop: Header=BB309_12 Depth=1
	s_delay_alu instid0(SALU_CYCLE_1)
	s_or_b32 exec_lo, exec_lo, s43
.LBB309_257:                            ;   in Loop: Header=BB309_12 Depth=1
	s_delay_alu instid0(SALU_CYCLE_1)
	s_or_b32 exec_lo, exec_lo, s42
	s_wait_kmcnt 0x0
	v_fma_mixlo_bf16 v2, s41, v39, 0
	v_fma_mixlo_bf16 v38, s41, v38, 0
	s_wait_dscnt 0x7
	v_lshlrev_b32_e32 v39, 16, v25
	v_and_b32_e32 v25, 0xffff0000, v25
	v_fma_mixlo_bf16 v36, s41, v36, 0
	v_lshlrev_b32_e32 v2, 16, v2
	v_lshlrev_b32_e32 v38, 16, v38
	v_fma_mixlo_bf16 v37, s41, v37, 0
	s_delay_alu instid0(VALU_DEP_3) | instskip(NEXT) | instid1(VALU_DEP_3)
	v_mul_f32_e32 v2, v39, v2
	v_mul_f32_e32 v25, v25, v38
	v_fma_mixlo_bf16 v38, s41, v40, 0
	v_fma_mixlo_bf16 v39, s41, v41, 0
	s_delay_alu instid0(VALU_DEP_4) | instskip(NEXT) | instid1(VALU_DEP_4)
	v_fma_mix_f32_bf16 v2, v24, v37, v2 op_sel_hi:[1,1,0]
	v_fma_mix_f32_bf16 v24, v24, v36, v25 op_sel:[1,0,0] op_sel_hi:[1,1,0]
	v_fma_mixlo_bf16 v25, s41, v42, 0
	v_fma_mixlo_bf16 v36, s41, v43, 0
	;; [unrolled: 1-line block ×3, first 2 shown]
	s_wait_dscnt 0x6
	v_fma_mix_f32_bf16 v2, v22, v39, v2 op_sel_hi:[1,1,0]
	v_fma_mix_f32_bf16 v22, v22, v38, v24 op_sel:[1,0,0] op_sel_hi:[1,1,0]
	v_fma_mixlo_bf16 v24, s41, v44, 0
	s_delay_alu instid0(VALU_DEP_3) | instskip(NEXT) | instid1(VALU_DEP_3)
	v_fma_mix_f32_bf16 v2, v23, v36, v2 op_sel_hi:[1,1,0]
	v_fma_mix_f32_bf16 v22, v23, v25, v22 op_sel:[1,0,0] op_sel_hi:[1,1,0]
	v_fma_mixlo_bf16 v23, s41, v46, 0
	v_fma_mixlo_bf16 v25, s41, v47, 0
	s_wait_dscnt 0x5
	v_fma_mix_f32_bf16 v2, v20, v37, v2 op_sel_hi:[1,1,0]
	v_fma_mix_f32_bf16 v20, v20, v24, v22 op_sel:[1,0,0] op_sel_hi:[1,1,0]
	v_fma_mixlo_bf16 v22, s41, v48, 0
	v_fma_mixlo_bf16 v24, s41, v49, 0
	s_delay_alu instid0(VALU_DEP_4) | instskip(NEXT) | instid1(VALU_DEP_4)
	v_fma_mix_f32_bf16 v2, v21, v25, v2 op_sel_hi:[1,1,0]
	v_fma_mix_f32_bf16 v20, v21, v23, v20 op_sel:[1,0,0] op_sel_hi:[1,1,0]
	v_fma_mixlo_bf16 v21, s41, v50, 0
	v_fma_mixlo_bf16 v23, s41, v51, 0
	s_wait_dscnt 0x4
	v_fma_mix_f32_bf16 v2, v18, v24, v2 op_sel_hi:[1,1,0]
	v_fma_mix_f32_bf16 v18, v18, v22, v20 op_sel:[1,0,0] op_sel_hi:[1,1,0]
	v_fma_mixlo_bf16 v20, s41, v52, 0
	v_fma_mixlo_bf16 v22, s41, v53, 0
	s_delay_alu instid0(VALU_DEP_4) | instskip(NEXT) | instid1(VALU_DEP_4)
	;; [unrolled: 10-line block ×4, first 2 shown]
	v_fma_mix_f32_bf16 v2, v15, v19, v2 op_sel_hi:[1,1,0]
	v_fma_mix_f32_bf16 v14, v15, v17, v14 op_sel:[1,0,0] op_sel_hi:[1,1,0]
	v_fma_mixlo_bf16 v15, s41, v62, 0
	v_fma_mixlo_bf16 v17, s41, v63, 0
	s_wait_dscnt 0x1
	v_fma_mix_f32_bf16 v2, v12, v18, v2 op_sel_hi:[1,1,0]
	v_fma_mix_f32_bf16 v12, v12, v16, v14 op_sel:[1,0,0] op_sel_hi:[1,1,0]
	v_xor_b32_e32 v16, 2, v28
	v_fma_mixlo_bf16 v14, s41, v27, 0
	v_fma_mixlo_bf16 v18, s41, v26, 0
	v_fma_mix_f32_bf16 v2, v13, v17, v2 op_sel_hi:[1,1,0]
	v_fma_mix_f32_bf16 v12, v13, v15, v12 op_sel:[1,0,0] op_sel_hi:[1,1,0]
	v_cmp_gt_i32_e64 s4, 32, v16
	s_wait_dscnt 0x0
	s_delay_alu instid0(VALU_DEP_3) | instskip(NEXT) | instid1(VALU_DEP_3)
	v_fma_mix_f32_bf16 v2, v5, v14, v2 op_sel_hi:[1,1,0]
	v_fma_mix_f32_bf16 v5, v5, v18, v12 op_sel:[1,0,0] op_sel_hi:[1,1,0]
	s_delay_alu instid0(VALU_DEP_1) | instskip(NEXT) | instid1(VALU_DEP_1)
	v_dual_cndmask_b32 v13, v28, v16, s4 :: v_dual_add_f32 v2, v2, v5
	v_lshlrev_b32_e32 v12, 2, v13
	ds_bpermute_b32 v5, v12, v2
	v_xor_b32_e32 v12, 1, v28
	s_delay_alu instid0(VALU_DEP_1) | instskip(SKIP_1) | instid1(VALU_DEP_1)
	v_cmp_gt_i32_e64 s4, 32, v12
	s_wait_dscnt 0x0
	v_dual_cndmask_b32 v12, v28, v12, s4 :: v_dual_add_f32 v2, v2, v5
	s_delay_alu instid0(VALU_DEP_1)
	v_lshlrev_b32_e32 v12, 2, v12
	ds_bpermute_b32 v5, v12, v2
	s_and_saveexec_b32 s41, s3
	s_cbranch_execz .LBB309_10
; %bb.258:                              ;   in Loop: Header=BB309_12 Depth=1
	s_wait_dscnt 0x0
	v_dual_add_nc_u32 v12, v32, v4 :: v_dual_add_f32 v2, v2, v5
	s_delay_alu instid0(VALU_DEP_1) | instskip(NEXT) | instid1(VALU_DEP_1)
	v_cvt_f32_i32_e32 v12, v12
	v_mul_f32_e32 v12, s36, v12
	s_delay_alu instid0(VALU_DEP_1) | instskip(NEXT) | instid1(VALU_DEP_1)
	v_dual_cndmask_b32 v5, 0, v12 :: v_dual_max_num_f32 v12, v31, v31
	v_dual_fmac_f32 v5, s27, v2 :: v_dual_add_nc_u32 v2, v29, v4
	s_delay_alu instid0(VALU_DEP_1) | instskip(NEXT) | instid1(VALU_DEP_2)
	v_max_num_f32_e32 v12, v12, v5
	v_cmp_gt_i32_e64 s4, s34, v2
	s_delay_alu instid0(VALU_DEP_1)
	v_dual_cndmask_b32 v2, 0, v5, s4 :: v_dual_cndmask_b32 v31, v31, v12, s4
	ds_store_b32 v33, v2
	s_branch .LBB309_10
.LBB309_259:
	s_or_b32 exec_lo, exec_lo, s40
.LBB309_260:
	s_delay_alu instid0(SALU_CYCLE_1)
	s_or_b32 exec_lo, exec_lo, s37
	s_wait_dscnt 0x0
	v_dual_max_num_f32 v5, v31, v31 :: v_dual_bitop2_b32 v2, 16, v28 bitop3:0x14
	s_clause 0x1
	s_load_b64 s[4:5], s[0:1], 0x0
	s_load_b64 s[8:9], s[0:1], 0x18
	v_and_b32_e32 v30, 31, v0
	v_xor_b32_e32 v4, 8, v28
	v_cmp_gt_i32_e32 vcc_lo, 32, v2
	v_cndmask_b32_e32 v2, v28, v2, vcc_lo
	s_delay_alu instid0(VALU_DEP_3) | instskip(NEXT) | instid1(VALU_DEP_2)
	v_cmp_gt_i32_e32 vcc_lo, 32, v4
	v_dual_lshlrev_b32 v2, 2, v2 :: v_dual_cndmask_b32 v4, v28, v4, vcc_lo
	ds_bpermute_b32 v3, v2, v31
	s_wait_dscnt 0x0
	v_dual_max_num_f32 v6, v3, v3 :: v_dual_lshlrev_b32 v3, 2, v4
	s_delay_alu instid0(VALU_DEP_1) | instskip(SKIP_4) | instid1(VALU_DEP_1)
	v_dual_max_num_f32 v4, v5, v6 :: v_dual_bitop2_b32 v6, 4, v28 bitop3:0x14
	ds_bpermute_b32 v5, v3, v4
	v_cmp_gt_i32_e32 vcc_lo, 32, v6
	v_cndmask_b32_e32 v6, v28, v6, vcc_lo
	s_wait_dscnt 0x0
	v_dual_max_num_f32 v5, v5, v5 :: v_dual_lshlrev_b32 v6, 2, v6
	s_delay_alu instid0(VALU_DEP_1)
	v_max_num_f32_e32 v5, v4, v5
	v_lshlrev_b32_e32 v4, 2, v1
	v_cmp_eq_u32_e32 vcc_lo, 0, v30
	ds_bpermute_b32 v7, v6, v5
	s_wait_xcnt 0x0
	s_and_saveexec_b32 s0, vcc_lo
	s_cbranch_execz .LBB309_262
; %bb.261:
	s_wait_dscnt 0x0
	v_dual_max_num_f32 v7, v7, v7 :: v_dual_max_num_f32 v5, v5, v5
	s_delay_alu instid0(VALU_DEP_1)
	v_max_num_f32_e32 v5, v5, v7
	ds_store_b32 v4, v5 offset:240
.LBB309_262:
	s_or_b32 exec_lo, exec_lo, s0
	v_cmp_gt_u32_e64 s0, 4, v30
	v_dual_mov_b32 v8, 0xff7fffff :: v_dual_lshlrev_b32 v5, 2, v30
	s_wait_dscnt 0x0
	s_barrier_signal -1
	s_barrier_wait -1
	s_and_saveexec_b32 s1, s0
; %bb.263:
	ds_load_b32 v8, v5 offset:240
; %bb.264:
	s_or_b32 exec_lo, exec_lo, s1
	v_xor_b32_e32 v7, 2, v28
	v_lshl_add_u32 v31, v0, 2, 0x110
	v_xor_b32_e32 v12, 1, v28
	s_wait_dscnt 0x0
	v_max_num_f32_e32 v13, v8, v8
	v_cmp_gt_i32_e64 s1, 32, v7
	s_delay_alu instid0(VALU_DEP_1) | instskip(SKIP_1) | instid1(VALU_DEP_2)
	v_cndmask_b32_e64 v7, v28, v7, s1
	v_cmp_gt_i32_e64 s1, 32, v12
	v_lshlrev_b32_e32 v7, 2, v7
	ds_bpermute_b32 v9, v7, v8
	s_wait_dscnt 0x0
	v_dual_max_num_f32 v9, v9, v9 :: v_dual_cndmask_b32 v8, v28, v12, s1
	s_lshl_b32 s1, s26, 3
	s_delay_alu instid0(SALU_CYCLE_1) | instskip(NEXT) | instid1(VALU_DEP_1)
	s_min_i32 s19, s1, s34
	v_dual_max_num_f32 v9, v13, v9 :: v_dual_lshlrev_b32 v8, 2, v8
	v_cmp_gt_i32_e64 s1, s19, v0
	ds_bpermute_b32 v12, v8, v9
	s_wait_dscnt 0x0
	v_max_num_f32_e32 v12, v12, v12
	s_delay_alu instid0(VALU_DEP_1)
	v_dual_max_num_f32 v12, v9, v12 :: v_dual_mov_b32 v9, 0
	ds_bpermute_b32 v12, v9, v12
	s_and_saveexec_b32 s27, s1
	s_cbranch_execz .LBB309_268
; %bb.265:
	v_lshl_add_u32 v13, v0, 2, 0x110
	v_dual_mov_b32 v9, 0 :: v_dual_mov_b32 v14, v0
	s_mov_b32 s28, 0
.LBB309_266:                            ; =>This Inner Loop Header: Depth=1
	ds_load_b32 v15, v13
	v_add_nc_u32_e32 v14, 0x80, v14
	s_delay_alu instid0(VALU_DEP_1) | instskip(SKIP_3) | instid1(VALU_DEP_1)
	v_cmp_le_i32_e64 s3, s19, v14
	s_or_b32 s28, s3, s28
	s_wait_dscnt 0x0
	v_sub_f32_e32 v15, v15, v12
	v_mul_f32_e32 v15, 0x3fb8aa3b, v15
	s_delay_alu instid0(VALU_DEP_1)
	v_exp_f32_e32 v15, v15
	ds_store_b32 v13, v15
	v_nop
	v_add_f32_e32 v9, v9, v15
	v_add_nc_u32_e32 v13, 0x200, v13
	s_and_not1_b32 exec_lo, exec_lo, s28
	s_cbranch_execnz .LBB309_266
; %bb.267:
	s_or_b32 exec_lo, exec_lo, s28
.LBB309_268:
	s_delay_alu instid0(SALU_CYCLE_1)
	s_or_b32 exec_lo, exec_lo, s27
	ds_bpermute_b32 v2, v2, v9
	s_wait_dscnt 0x0
	v_add_f32_e32 v2, v9, v2
	ds_bpermute_b32 v3, v3, v2
	s_wait_dscnt 0x0
	v_add_f32_e32 v2, v2, v3
	;; [unrolled: 3-line block ×5, first 2 shown]
	s_and_saveexec_b32 s3, vcc_lo
; %bb.269:
	ds_store_b32 v4, v2 offset:256
; %bb.270:
	s_or_b32 exec_lo, exec_lo, s3
	s_wait_dscnt 0x0
	s_barrier_signal -1
	s_barrier_wait -1
	s_and_saveexec_b32 s3, s0
; %bb.271:
	ds_load_b32 v2, v5 offset:256
; %bb.272:
	s_or_b32 exec_lo, exec_lo, s3
	s_wait_dscnt 0x0
	ds_bpermute_b32 v3, v7, v2
	s_wait_dscnt 0x0
	v_dual_mov_b32 v32, 0 :: v_dual_add_f32 v2, v2, v3
	ds_bpermute_b32 v3, v8, v2
	s_wait_dscnt 0x0
	v_add_f32_e32 v2, v2, v3
	ds_bpermute_b32 v2, v32, v2
	s_and_saveexec_b32 s0, s1
	s_cbranch_execz .LBB309_285
; %bb.273:
	s_wait_dscnt 0x0
	v_add_f32_e32 v2, 0x358637bd, v2
	s_mov_b32 s3, -1
	s_mov_b32 s1, exec_lo
	s_delay_alu instid0(VALU_DEP_1) | instskip(NEXT) | instid1(VALU_DEP_1)
	v_div_scale_f32 v3, null, v2, v2, 1.0
	v_rcp_f32_e32 v5, v3
	v_nop
	s_delay_alu instid0(TRANS32_DEP_1) | instskip(NEXT) | instid1(VALU_DEP_1)
	v_fma_f32 v4, -v3, v5, 1.0
	v_fmac_f32_e32 v5, v4, v5
	v_div_scale_f32 v6, vcc_lo, 1.0, v2, 1.0
	s_delay_alu instid0(VALU_DEP_1) | instskip(NEXT) | instid1(VALU_DEP_1)
	v_mul_f32_e32 v7, v6, v5
	v_fma_f32 v4, -v3, v7, v6
	s_delay_alu instid0(VALU_DEP_1) | instskip(SKIP_1) | instid1(VALU_DEP_2)
	v_fmac_f32_e32 v7, v4, v5
	v_xad_u32 v4, v0, -1, s19
	v_fma_f32 v3, -v3, v7, v6
	s_delay_alu instid0(VALU_DEP_1) | instskip(NEXT) | instid1(VALU_DEP_1)
	v_div_fmas_f32 v3, v3, v5, v7
	v_div_fixup_f32 v2, v3, v2, 1.0
	v_mov_b32_e32 v3, v0
	v_cmpx_lt_u32_e32 0x7f, v4
	s_cbranch_execz .LBB309_282
; %bb.274:
	s_delay_alu instid0(VALU_DEP_3) | instskip(NEXT) | instid1(VALU_DEP_1)
	v_dual_mov_b32 v3, v2 :: v_dual_lshrrev_b32 v4, 7, v4
	v_dual_mov_b32 v8, 0 :: v_dual_add_nc_u32 v5, -1, v4
	s_delay_alu instid0(VALU_DEP_1) | instskip(SKIP_1) | instid1(VALU_DEP_2)
	v_lshrrev_b32_e32 v6, 1, v5
	v_cmp_lt_u32_e32 vcc_lo, 13, v5
	v_add_nc_u32_e32 v5, 1, v6
	s_and_saveexec_b32 s3, vcc_lo
	s_cbranch_execz .LBB309_278
; %bb.275:
	s_delay_alu instid0(VALU_DEP_1)
	v_dual_mov_b32 v7, v31 :: v_dual_bitop2_b32 v6, -8, v5 bitop3:0x40
	s_mov_b32 s27, 0
	s_mov_b32 s28, 0
.LBB309_276:                            ; =>This Inner Loop Header: Depth=1
	ds_load_2addr_stride64_b32 v[8:9], v7 offset1:2
	ds_load_2addr_stride64_b32 v[12:13], v7 offset0:4 offset1:6
	ds_load_2addr_stride64_b32 v[14:15], v7 offset0:8 offset1:10
	;; [unrolled: 1-line block ×7, first 2 shown]
	s_add_co_i32 s28, s28, 16
	v_add_nc_u32_e32 v6, -8, v6
	s_wait_dscnt 0x7
	v_pk_mul_f32 v[8:9], v[2:3], v[8:9]
	s_wait_dscnt 0x6
	v_pk_mul_f32 v[12:13], v[2:3], v[12:13]
	;; [unrolled: 2-line block ×8, first 2 shown]
	ds_store_2addr_stride64_b32 v7, v8, v9 offset1:2
	ds_store_2addr_stride64_b32 v7, v12, v13 offset0:4 offset1:6
	ds_store_2addr_stride64_b32 v7, v14, v15 offset0:8 offset1:10
	;; [unrolled: 1-line block ×7, first 2 shown]
	v_mov_b32_e32 v8, s28
	v_cmp_eq_u32_e32 vcc_lo, 0, v6
	v_add_nc_u32_e32 v7, 0x2000, v7
	s_or_b32 s27, vcc_lo, s27
	s_delay_alu instid0(SALU_CYCLE_1)
	s_and_not1_b32 exec_lo, exec_lo, s27
	s_cbranch_execnz .LBB309_276
; %bb.277:
	s_or_b32 exec_lo, exec_lo, s27
.LBB309_278:
	s_delay_alu instid0(SALU_CYCLE_1) | instskip(NEXT) | instid1(VALU_DEP_1)
	s_or_b32 exec_lo, exec_lo, s3
	v_and_b32_e32 v5, 7, v5
	s_mov_b32 s27, 0
	s_mov_b32 s3, exec_lo
	s_delay_alu instid0(VALU_DEP_1)
	v_cmpx_ne_u32_e32 0, v5
	s_cbranch_execz .LBB309_281
; %bb.279:
	v_lshlrev_b32_e32 v6, 9, v8
	v_lshlrev_b32_e32 v7, 2, v0
	s_delay_alu instid0(VALU_DEP_1)
	v_add3_u32 v6, v6, v7, 0x110
.LBB309_280:                            ; =>This Inner Loop Header: Depth=1
	ds_load_2addr_stride64_b32 v[8:9], v6 offset1:2
	v_add_nc_u32_e32 v5, -1, v5
	s_delay_alu instid0(VALU_DEP_1)
	v_cmp_eq_u32_e32 vcc_lo, 0, v5
	s_or_b32 s27, vcc_lo, s27
	s_wait_dscnt 0x0
	v_pk_mul_f32 v[8:9], v[2:3], v[8:9]
	ds_store_2addr_stride64_b32 v6, v8, v9 offset1:2
	v_add_nc_u32_e32 v6, 0x400, v6
	s_and_not1_b32 exec_lo, exec_lo, s27
	s_cbranch_execnz .LBB309_280
.LBB309_281:
	s_or_b32 exec_lo, exec_lo, s3
	v_add_nc_u32_e32 v3, 1, v4
	s_delay_alu instid0(VALU_DEP_1) | instskip(NEXT) | instid1(VALU_DEP_1)
	v_and_b32_e32 v4, 0x3fffffe, v3
	v_cmp_ne_u32_e32 vcc_lo, v3, v4
	v_lshl_add_u32 v3, v4, 7, v0
	s_or_not1_b32 s3, vcc_lo, exec_lo
.LBB309_282:
	s_or_b32 exec_lo, exec_lo, s1
	s_delay_alu instid0(SALU_CYCLE_1)
	s_and_b32 exec_lo, exec_lo, s3
	s_cbranch_execz .LBB309_285
; %bb.283:
	v_lshl_add_u32 v4, v3, 2, 0x110
	s_mov_b32 s1, 0
.LBB309_284:                            ; =>This Inner Loop Header: Depth=1
	ds_load_b32 v5, v4
	v_add_nc_u32_e32 v3, 0x80, v3
	s_delay_alu instid0(VALU_DEP_1)
	v_cmp_le_i32_e32 vcc_lo, s19, v3
	s_or_b32 s1, vcc_lo, s1
	s_wait_dscnt 0x0
	v_mul_f32_e32 v5, v2, v5
	ds_store_b32 v4, v5
	v_add_nc_u32_e32 v4, 0x200, v4
	s_and_not1_b32 exec_lo, exec_lo, s1
	s_cbranch_execnz .LBB309_284
.LBB309_285:
	s_or_b32 exec_lo, exec_lo, s0
	v_mov_b64_e32 v[12:13], 0
	v_mov_b32_e32 v33, 0
	s_wait_dscnt 0x0
	s_barrier_signal -1
	s_barrier_wait -1
	s_and_saveexec_b32 s27, s2
	s_cbranch_execz .LBB309_541
; %bb.286:
	s_abs_i32 s14, s14
	s_sub_co_i32 s28, s12, s13
	s_cvt_f32_u32 s0, s14
	v_dual_mov_b32 v17, 0 :: v_dual_lshlrev_b32 v14, 3, v30
	v_and_b32_e32 v16, 0x7c, v11
	s_delay_alu instid0(SALU_CYCLE_1)
	v_rcp_iflag_f32_e32 v2, s0
	s_lshl_b64 s[0:1], s[24:25], 2
	v_or_b32_e32 v3, 0x60, v30
	s_add_nc_u64 s[0:1], s[22:23], s[0:1]
	s_sub_co_i32 s13, 0, s14
	v_mov_b64_e32 v[12:13], 0
	v_add_nc_u64_e32 v[20:21], s[0:1], v[16:17]
	v_readfirstlane_b32 s12, v2
	v_lshl_add_u32 v34, v1, 5, 0x110
	v_dual_mov_b32 v15, v17 :: v_dual_lshlrev_b32 v18, 3, v3
	v_dual_mov_b32 v19, v17 :: v_dual_mov_b32 v33, 0
	s_mul_f32 s12, s12, 0x4f7ffffe
	v_dual_mov_b32 v32, 0 :: v_dual_mov_b32 v35, v1
	s_ashr_i32 s19, s18, 31
	s_delay_alu instid0(SALU_CYCLE_1)
	s_cvt_u32_f32 s12, s12
	s_add_co_i32 s29, s26, -1
	s_mov_b64 s[2:3], 0xffffffffffffff
	s_wait_kmcnt 0x0
	s_add_nc_u64 s[8:9], s[8:9], s[18:19]
	s_mul_i32 s13, s13, s12
	v_cmp_gt_u32_e32 vcc_lo, 0x78, v3
	s_mul_hi_u32 s0, s12, s13
	s_mov_b32 s13, 0
	s_add_co_i32 s12, s12, s0
	s_mov_b32 s18, s13
	s_branch .LBB309_290
.LBB309_287:                            ;   in Loop: Header=BB309_290 Depth=1
	s_or_b32 exec_lo, exec_lo, s1
	v_perm_b32 v9, v22, v9, 0x5040100
	v_perm_b32 v16, v16, v23, 0x5040100
	;; [unrolled: 1-line block ×4, first 2 shown]
	s_delay_alu instid0(VALU_DEP_4) | instskip(NEXT) | instid1(VALU_DEP_4)
	v_pk_mul_bf16 v3, v53, v9
	v_pk_mul_bf16 v9, v7, v16
	s_delay_alu instid0(VALU_DEP_4) | instskip(NEXT) | instid1(VALU_DEP_4)
	v_pk_mul_bf16 v2, v8, v2
	v_pk_mul_bf16 v4, v6, v4
	s_delay_alu instid0(VALU_DEP_3) | instskip(SKIP_4) | instid1(VALU_DEP_3)
	v_dual_lshlrev_b32 v5, 16, v3 :: v_dual_lshlrev_b32 v16, 16, v9
	v_and_b32_e32 v3, 0xffff0000, v3
	v_and_b32_e32 v9, 0xffff0000, v9
	v_lshlrev_b32_e32 v22, 16, v2
	v_and_b32_e32 v2, 0xffff0000, v2
	v_dual_add_f32 v3, v3, v5 :: v_dual_add_f32 v5, v9, v16
	s_delay_alu instid0(VALU_DEP_2) | instskip(SKIP_1) | instid1(VALU_DEP_3)
	v_dual_add_f32 v2, v2, v22 :: v_dual_lshlrev_b32 v9, 16, v4
	v_and_b32_e32 v4, 0xffff0000, v4
	v_add_f32_e32 v3, v5, v3
	s_delay_alu instid0(VALU_DEP_1) | instskip(NEXT) | instid1(VALU_DEP_1)
	v_dual_add_f32 v2, v2, v3 :: v_dual_add_f32 v3, v4, v9
	v_add_f32_e32 v2, v3, v2
	s_delay_alu instid0(VALU_DEP_1)
	v_add_f32_e32 v33, v33, v2
.LBB309_288:                            ;   in Loop: Header=BB309_290 Depth=1
	s_or_b32 exec_lo, exec_lo, s23
	v_perm_b32 v2, v47, v48, 0x5040100
	v_perm_b32 v3, v45, v46, 0x5040100
	;; [unrolled: 1-line block ×5, first 2 shown]
	v_pk_mul_bf16 v2, v53, v2
	v_pk_mul_bf16 v3, v7, v3
	v_pk_mul_bf16 v4, v8, v4
	v_pk_mul_bf16 v5, v53, v5
	v_perm_b32 v11, v11, v36, 0x5040100
	s_delay_alu instid0(VALU_DEP_4) | instskip(SKIP_4) | instid1(VALU_DEP_3)
	v_dual_lshlrev_b32 v9, 16, v2 :: v_dual_lshlrev_b32 v16, 16, v3
	v_and_b32_e32 v2, 0xffff0000, v2
	v_and_b32_e32 v3, 0xffff0000, v3
	v_lshlrev_b32_e32 v23, 16, v4
	v_and_b32_e32 v4, 0xffff0000, v4
	v_dual_add_f32 v2, v9, v2 :: v_dual_add_f32 v3, v16, v3
	v_perm_b32 v9, v29, v28, 0x5040100
	v_pk_mul_bf16 v16, v7, v22
	s_delay_alu instid0(VALU_DEP_4)
	v_add_f32_e32 v4, v23, v4
	v_perm_b32 v23, v38, v37, 0x5040100
	v_add_f32_e32 v2, v3, v2
	v_pk_mul_bf16 v3, v6, v9
	v_lshlrev_b32_e32 v9, 16, v5
	v_and_b32_e32 v5, 0xffff0000, v5
	s_delay_alu instid0(VALU_DEP_4) | instskip(SKIP_1) | instid1(VALU_DEP_3)
	v_dual_lshlrev_b32 v22, 16, v16 :: v_dual_add_f32 v2, v4, v2
	v_and_b32_e32 v4, 0xffff0000, v16
	v_dual_add_f32 v5, v9, v5 :: v_dual_lshlrev_b32 v16, 16, v3
	v_pk_mul_bf16 v9, v8, v11
	v_pk_mul_bf16 v11, v6, v23
	s_delay_alu instid0(VALU_DEP_4)
	v_add_f32_e32 v4, v22, v4
	v_perm_b32 v22, v51, v52, 0x5040100
	v_perm_b32 v23, v25, v27, 0x5040100
	v_lshlrev_b32_e32 v25, 16, v9
	v_and_b32_e32 v9, 0xffff0000, v9
	v_and_b32_e32 v3, 0xffff0000, v3
	v_pk_mul_bf16 v22, v53, v22
	v_add_f32_e32 v4, v4, v5
	v_perm_b32 v5, v49, v50, 0x5040100
	s_delay_alu instid0(VALU_DEP_4) | instskip(NEXT) | instid1(VALU_DEP_2)
	v_add_f32_e32 v3, v16, v3
	v_pk_mul_bf16 v5, v7, v5
	v_pk_mul_bf16 v7, v8, v23
	v_perm_b32 v8, v26, v24, 0x5040100
	v_lshlrev_b32_e32 v23, 16, v22
	v_and_b32_e32 v22, 0xffff0000, v22
	v_lshlrev_b32_e32 v24, 16, v5
	v_and_b32_e32 v5, 0xffff0000, v5
	v_add_f32_e32 v9, v25, v9
	v_pk_mul_bf16 v6, v6, v8
	v_lshlrev_b32_e32 v8, 16, v7
	s_delay_alu instid0(VALU_DEP_4)
	v_dual_add_f32 v22, v22, v23 :: v_dual_add_f32 v5, v5, v24
	v_lshlrev_b32_e32 v23, 16, v11
	v_and_b32_e32 v7, 0xffff0000, v7
	v_and_b32_e32 v11, 0xffff0000, v11
	v_lshlrev_b32_e32 v24, 16, v6
	v_add_f32_e32 v5, v5, v22
	v_and_b32_e32 v6, 0xffff0000, v6
	v_add_f32_e32 v7, v7, v8
	v_dual_add_f32 v4, v9, v4 :: v_dual_add_f32 v8, v23, v11
	s_delay_alu instid0(VALU_DEP_3) | instskip(NEXT) | instid1(VALU_DEP_2)
	v_dual_add_f32 v2, v3, v2 :: v_dual_add_f32 v6, v6, v24
	v_dual_add_f32 v5, v7, v5 :: v_dual_add_f32 v3, v8, v4
	s_delay_alu instid0(VALU_DEP_1) | instskip(NEXT) | instid1(VALU_DEP_2)
	v_dual_add_f32 v13, v13, v2 :: v_dual_add_f32 v4, v6, v5
	v_add_f32_e32 v12, v12, v3
	s_delay_alu instid0(VALU_DEP_2)
	v_add_f32_e32 v32, v32, v4
.LBB309_289:                            ;   in Loop: Header=BB309_290 Depth=1
	s_or_b32 exec_lo, exec_lo, s19
	v_dual_add_nc_u32 v35, 4, v35 :: v_dual_add_nc_u32 v10, 32, v10
	v_add_nc_u64_e32 v[20:21], 16, v[20:21]
	v_add_nc_u32_e32 v34, 0x80, v34
	s_delay_alu instid0(VALU_DEP_3) | instskip(SKIP_1) | instid1(SALU_CYCLE_1)
	v_cmp_le_i32_e64 s0, s26, v35
	s_or_b32 s18, s0, s18
	s_and_not1_b32 exec_lo, exec_lo, s18
	s_cbranch_execz .LBB309_540
.LBB309_290:                            ; =>This Inner Loop Header: Depth=1
	v_mov_b32_e32 v11, v17
	s_delay_alu instid0(VALU_DEP_1) | instskip(NEXT) | instid1(VALU_DEP_1)
	v_mul_u64_e32 v[2:3], s[20:21], v[10:11]
	v_mul_lo_u32 v2, v3, s16
	s_delay_alu instid0(VALU_DEP_1) | instskip(NEXT) | instid1(VALU_DEP_1)
	v_sub_nc_u32_e32 v2, v10, v2
	v_subrev_nc_u32_e32 v5, s16, v2
	v_cmp_le_u32_e64 s0, s16, v2
	s_delay_alu instid0(VALU_DEP_1) | instskip(NEXT) | instid1(VALU_DEP_1)
	v_dual_add_nc_u32 v4, 1, v3 :: v_dual_cndmask_b32 v2, v2, v5, s0
	v_cndmask_b32_e64 v3, v3, v4, s0
	s_delay_alu instid0(VALU_DEP_2) | instskip(NEXT) | instid1(VALU_DEP_2)
	v_cmp_le_u32_e64 s0, s16, v2
	v_add_nc_u32_e32 v4, 1, v3
	s_delay_alu instid0(VALU_DEP_1) | instskip(NEXT) | instid1(VALU_DEP_1)
	v_cndmask_b32_e64 v2, v3, v4, s0
	v_xor_b32_e32 v2, s15, v2
	s_delay_alu instid0(VALU_DEP_1) | instskip(NEXT) | instid1(VALU_DEP_1)
	v_subrev_nc_u32_e32 v4, s15, v2
	v_add_nc_u32_e32 v5, s35, v4
	v_cmp_lt_i32_e64 s1, s28, v4
	s_delay_alu instid0(VALU_DEP_2) | instskip(NEXT) | instid1(VALU_DEP_1)
	v_sub_nc_u32_e32 v2, 0, v5
	v_dual_ashrrev_i32 v5, 31, v5 :: v_dual_max_i32 v16, v5, v2
	s_delay_alu instid0(VALU_DEP_1) | instskip(NEXT) | instid1(VALU_DEP_1)
	v_mul_u64_e32 v[2:3], s[12:13], v[16:17]
	v_mul_lo_u32 v2, v3, s14
	s_delay_alu instid0(VALU_DEP_1) | instskip(NEXT) | instid1(VALU_DEP_1)
	v_sub_nc_u32_e32 v2, v16, v2
	v_subrev_nc_u32_e32 v3, s14, v2
	v_cmp_le_u32_e64 s0, s14, v2
	s_delay_alu instid0(VALU_DEP_1) | instskip(NEXT) | instid1(VALU_DEP_1)
	v_cndmask_b32_e64 v2, v2, v3, s0
	v_subrev_nc_u32_e32 v3, s14, v2
	v_cmp_le_u32_e64 s0, s14, v2
	s_delay_alu instid0(VALU_DEP_1) | instskip(NEXT) | instid1(VALU_DEP_1)
	v_cndmask_b32_e64 v2, v2, v3, s0
	v_xor_b32_e32 v2, v2, v5
	s_delay_alu instid0(VALU_DEP_1) | instskip(NEXT) | instid1(VALU_DEP_1)
	v_sub_nc_u32_e32 v2, v2, v5
	v_cmp_eq_u32_e64 s0, 0, v2
	s_or_b32 s0, s0, s1
	s_delay_alu instid0(SALU_CYCLE_1)
	s_and_saveexec_b32 s19, s0
	s_cbranch_execz .LBB309_289
; %bb.291:                              ;   in Loop: Header=BB309_290 Depth=1
	global_load_b32 v2, v[20:21], off
	v_dual_mov_b32 v38, 0 :: v_dual_mov_b32 v37, 0
	s_mov_b32 s1, exec_lo
	s_wait_loadcnt 0x0
	v_mad_nc_i64_i32 v[22:23], v2, s17, s[8:9]
	s_delay_alu instid0(VALU_DEP_1)
	v_add_nc_u64_e32 v[24:25], v[22:23], v[14:15]
	global_load_b64 v[26:27], v[24:25], off
	ds_load_2addr_b64 v[6:9], v34 offset1:1
	ds_load_2addr_b64 v[2:5], v34 offset0:2 offset1:3
	s_load_b32 s22, s[10:11], 0x0
	s_wait_loadcnt 0x0
	v_and_b32_e32 v11, 0xff, v26
	s_delay_alu instid0(VALU_DEP_1)
	v_cmpx_ne_u16_e32 0, v11
	s_cbranch_execz .LBB309_297
; %bb.292:                              ;   in Loop: Header=BB309_290 Depth=1
	v_bfrev_b32_e32 v37, 1
	s_mov_b32 s23, exec_lo
	v_cmpx_ne_u16_e32 0x80, v11
	s_cbranch_execz .LBB309_296
; %bb.293:                              ;   in Loop: Header=BB309_290 Depth=1
	v_and_b32_e32 v11, 0x7f, v26
	v_mov_b32_e32 v37, 0x7f800001
	s_mov_b32 s24, exec_lo
	s_delay_alu instid0(VALU_DEP_2)
	v_cmpx_ne_u32_e32 0x7f, v11
	s_cbranch_execz .LBB309_295
; %bb.294:                              ;   in Loop: Header=BB309_290 Depth=1
	v_dual_lshrrev_b32 v28, 3, v11 :: v_dual_bitop2_b32 v16, 7, v26 bitop3:0x40
	v_cmp_gt_u32_e64 s0, 8, v11
	s_delay_alu instid0(VALU_DEP_2) | instskip(NEXT) | instid1(VALU_DEP_1)
	v_clz_i32_u32_e32 v16, v16
	v_min_u32_e32 v16, 32, v16
	s_delay_alu instid0(VALU_DEP_1) | instskip(SKIP_1) | instid1(VALU_DEP_1)
	v_subrev_nc_u32_e32 v29, 28, v16
	v_sub_nc_u32_e32 v16, 29, v16
	v_dual_cndmask_b32 v11, v28, v16, s0 :: v_dual_cndmask_b32 v16, 0, v29, s0
	s_delay_alu instid0(VALU_DEP_1) | instskip(NEXT) | instid1(VALU_DEP_2)
	v_lshl_add_u32 v11, v11, 23, 0x3c000000
	v_lshlrev_b64_e32 v[28:29], v16, v[26:27]
	s_delay_alu instid0(VALU_DEP_1) | instskip(NEXT) | instid1(VALU_DEP_1)
	v_dual_lshlrev_b32 v16, 24, v26 :: v_dual_lshlrev_b32 v28, 20, v28
	v_and_b32_e32 v16, 0x80000000, v16
	s_delay_alu instid0(VALU_DEP_2) | instskip(NEXT) | instid1(VALU_DEP_1)
	v_and_b32_e32 v28, 0x700000, v28
	v_or3_b32 v37, v28, v16, v11
.LBB309_295:                            ;   in Loop: Header=BB309_290 Depth=1
	s_or_b32 exec_lo, exec_lo, s24
.LBB309_296:                            ;   in Loop: Header=BB309_290 Depth=1
	s_delay_alu instid0(SALU_CYCLE_1)
	s_or_b32 exec_lo, exec_lo, s23
.LBB309_297:                            ;   in Loop: Header=BB309_290 Depth=1
	s_delay_alu instid0(SALU_CYCLE_1) | instskip(SKIP_2) | instid1(VALU_DEP_1)
	s_or_b32 exec_lo, exec_lo, s1
	v_lshrrev_b16 v11, 8, v26
	s_mov_b32 s1, exec_lo
	v_cmpx_ne_u16_e32 0, v11
	s_cbranch_execz .LBB309_305
; %bb.298:                              ;   in Loop: Header=BB309_290 Depth=1
	v_bfrev_b32_e32 v38, 1
	s_mov_b32 s23, exec_lo
	v_cmpx_ne_u16_e32 0x80, v11
	s_cbranch_execz .LBB309_304
; %bb.299:                              ;   in Loop: Header=BB309_290 Depth=1
	v_and_b32_e32 v11, 0xffff, v11
	v_mov_b32_e32 v38, 0x7f800001
	s_mov_b32 s24, exec_lo
	s_delay_alu instid0(VALU_DEP_2) | instskip(NEXT) | instid1(VALU_DEP_1)
	v_and_b32_e32 v28, 0x7f, v11
	v_cmpx_ne_u32_e32 0x7f, v28
	s_cbranch_execz .LBB309_303
; %bb.300:                              ;   in Loop: Header=BB309_290 Depth=1
	v_dual_lshrrev_b32 v11, 3, v28 :: v_dual_bitop2_b32 v16, 7, v11 bitop3:0x40
	s_mov_b32 s25, exec_lo
	v_cmpx_gt_u32_e32 8, v28
; %bb.301:                              ;   in Loop: Header=BB309_290 Depth=1
	s_delay_alu instid0(VALU_DEP_2) | instskip(NEXT) | instid1(VALU_DEP_1)
	v_clz_i32_u32_e32 v11, v16
	v_min_u32_e32 v11, 32, v11
	s_delay_alu instid0(VALU_DEP_1) | instskip(NEXT) | instid1(VALU_DEP_1)
	v_subrev_nc_u32_e32 v28, 28, v11
	v_lshlrev_b64_e32 v[28:29], v28, v[16:17]
	s_delay_alu instid0(VALU_DEP_1)
	v_dual_sub_nc_u32 v11, 29, v11 :: v_dual_bitop2_b32 v16, 7, v28 bitop3:0x40
; %bb.302:                              ;   in Loop: Header=BB309_290 Depth=1
	s_or_b32 exec_lo, exec_lo, s25
	s_delay_alu instid0(VALU_DEP_1) | instskip(NEXT) | instid1(VALU_DEP_2)
	v_dual_lshlrev_b32 v28, 16, v26 :: v_dual_lshlrev_b32 v16, 20, v16
	v_lshl_add_u32 v11, v11, 23, 0x3c000000
	s_delay_alu instid0(VALU_DEP_2) | instskip(NEXT) | instid1(VALU_DEP_1)
	v_and_b32_e32 v28, 0x80000000, v28
	v_or3_b32 v38, v16, v28, v11
.LBB309_303:                            ;   in Loop: Header=BB309_290 Depth=1
	s_or_b32 exec_lo, exec_lo, s24
.LBB309_304:                            ;   in Loop: Header=BB309_290 Depth=1
	s_delay_alu instid0(SALU_CYCLE_1)
	s_or_b32 exec_lo, exec_lo, s23
.LBB309_305:                            ;   in Loop: Header=BB309_290 Depth=1
	s_delay_alu instid0(SALU_CYCLE_1) | instskip(SKIP_3) | instid1(VALU_DEP_2)
	s_or_b32 exec_lo, exec_lo, s1
	v_dual_lshrrev_b32 v11, 16, v26 :: v_dual_mov_b32 v39, 0
	v_mov_b32_e32 v40, 0
	s_mov_b32 s1, exec_lo
	v_and_b32_e32 v16, 0xff, v11
	s_delay_alu instid0(VALU_DEP_1)
	v_cmpx_ne_u16_e32 0, v16
	s_cbranch_execz .LBB309_313
; %bb.306:                              ;   in Loop: Header=BB309_290 Depth=1
	v_bfrev_b32_e32 v40, 1
	s_mov_b32 s23, exec_lo
	v_cmpx_ne_u16_e32 0x80, v16
	s_cbranch_execz .LBB309_312
; %bb.307:                              ;   in Loop: Header=BB309_290 Depth=1
	v_bfe_u32 v29, v26, 16, 7
	v_mov_b32_e32 v40, 0x7f800001
	s_mov_b32 s24, exec_lo
	s_delay_alu instid0(VALU_DEP_2)
	v_cmpx_ne_u32_e32 0x7f, v29
	s_cbranch_execz .LBB309_311
; %bb.308:                              ;   in Loop: Header=BB309_290 Depth=1
	v_dual_lshrrev_b32 v28, 3, v29 :: v_dual_bitop2_b32 v16, 7, v11 bitop3:0x40
	s_mov_b32 s25, exec_lo
	v_cmpx_gt_u32_e32 8, v29
; %bb.309:                              ;   in Loop: Header=BB309_290 Depth=1
	s_delay_alu instid0(VALU_DEP_2) | instskip(NEXT) | instid1(VALU_DEP_1)
	v_clz_i32_u32_e32 v28, v16
	v_min_u32_e32 v28, 32, v28
	s_delay_alu instid0(VALU_DEP_1) | instskip(SKIP_1) | instid1(VALU_DEP_2)
	v_subrev_nc_u32_e32 v29, 28, v28
	v_sub_nc_u32_e32 v28, 29, v28
	v_lshlrev_b64_e32 v[40:41], v29, v[16:17]
	s_delay_alu instid0(VALU_DEP_1)
	v_and_b32_e32 v16, 7, v40
; %bb.310:                              ;   in Loop: Header=BB309_290 Depth=1
	s_or_b32 exec_lo, exec_lo, s25
	s_delay_alu instid0(VALU_DEP_1) | instskip(SKIP_1) | instid1(VALU_DEP_2)
	v_dual_lshlrev_b32 v11, 24, v11 :: v_dual_lshlrev_b32 v16, 20, v16
	v_lshl_add_u32 v28, v28, 23, 0x3c000000
	v_and_b32_e32 v11, 0x80000000, v11
	s_delay_alu instid0(VALU_DEP_1)
	v_or3_b32 v40, v16, v11, v28
.LBB309_311:                            ;   in Loop: Header=BB309_290 Depth=1
	s_or_b32 exec_lo, exec_lo, s24
.LBB309_312:                            ;   in Loop: Header=BB309_290 Depth=1
	s_delay_alu instid0(SALU_CYCLE_1)
	s_or_b32 exec_lo, exec_lo, s23
.LBB309_313:                            ;   in Loop: Header=BB309_290 Depth=1
	s_delay_alu instid0(SALU_CYCLE_1) | instskip(NEXT) | instid1(SALU_CYCLE_1)
	s_or_b32 exec_lo, exec_lo, s1
	s_mov_b32 s1, exec_lo
	v_cmpx_lt_u32_e32 0xffffff, v26
	s_cbranch_execz .LBB309_321
; %bb.314:                              ;   in Loop: Header=BB309_290 Depth=1
	v_lshrrev_b32_e32 v11, 24, v26
	v_bfrev_b32_e32 v39, 1
	s_mov_b32 s23, exec_lo
	s_delay_alu instid0(VALU_DEP_2)
	v_cmpx_ne_u32_e32 0x80, v11
	s_cbranch_execz .LBB309_320
; %bb.315:                              ;   in Loop: Header=BB309_290 Depth=1
	v_bfe_u32 v29, v26, 24, 7
	v_mov_b32_e32 v39, 0x7f800001
	s_mov_b32 s24, exec_lo
	s_delay_alu instid0(VALU_DEP_2)
	v_cmpx_ne_u32_e32 0x7f, v29
	s_cbranch_execz .LBB309_319
; %bb.316:                              ;   in Loop: Header=BB309_290 Depth=1
	v_dual_lshrrev_b32 v28, 3, v29 :: v_dual_bitop2_b32 v16, 7, v11 bitop3:0x40
	s_mov_b32 s25, exec_lo
	v_cmpx_gt_u32_e32 8, v29
; %bb.317:                              ;   in Loop: Header=BB309_290 Depth=1
	s_delay_alu instid0(VALU_DEP_2) | instskip(NEXT) | instid1(VALU_DEP_1)
	v_clz_i32_u32_e32 v28, v16
	v_min_u32_e32 v28, 32, v28
	s_delay_alu instid0(VALU_DEP_1) | instskip(NEXT) | instid1(VALU_DEP_1)
	v_subrev_nc_u32_e32 v29, 28, v28
	v_lshlrev_b64_e32 v[42:43], v29, v[16:17]
	s_delay_alu instid0(VALU_DEP_1)
	v_dual_sub_nc_u32 v28, 29, v28 :: v_dual_bitop2_b32 v16, 7, v42 bitop3:0x40
; %bb.318:                              ;   in Loop: Header=BB309_290 Depth=1
	s_or_b32 exec_lo, exec_lo, s25
	s_delay_alu instid0(VALU_DEP_1) | instskip(NEXT) | instid1(VALU_DEP_2)
	v_dual_lshlrev_b32 v11, 24, v11 :: v_dual_lshlrev_b32 v16, 20, v16
	v_lshl_add_u32 v28, v28, 23, 0x3c000000
	s_delay_alu instid0(VALU_DEP_2) | instskip(NEXT) | instid1(VALU_DEP_1)
	v_and_b32_e32 v11, 0x80000000, v11
	v_or3_b32 v39, v16, v11, v28
.LBB309_319:                            ;   in Loop: Header=BB309_290 Depth=1
	s_or_b32 exec_lo, exec_lo, s24
.LBB309_320:                            ;   in Loop: Header=BB309_290 Depth=1
	s_delay_alu instid0(SALU_CYCLE_1)
	s_or_b32 exec_lo, exec_lo, s23
.LBB309_321:                            ;   in Loop: Header=BB309_290 Depth=1
	s_delay_alu instid0(SALU_CYCLE_1) | instskip(SKIP_4) | instid1(VALU_DEP_3)
	s_or_b32 exec_lo, exec_lo, s1
	v_and_b32_e32 v28, 0xff, v27
	v_dual_mov_b32 v16, v27 :: v_dual_mov_b32 v11, 0
	v_mov_b32_e32 v36, 0
	s_mov_b32 s1, exec_lo
	v_cmpx_ne_u16_e32 0, v28
	s_cbranch_execz .LBB309_327
; %bb.322:                              ;   in Loop: Header=BB309_290 Depth=1
	v_bfrev_b32_e32 v36, 1
	s_mov_b32 s23, exec_lo
	v_cmpx_ne_u16_e32 0x80, v28
	s_cbranch_execz .LBB309_326
; %bb.323:                              ;   in Loop: Header=BB309_290 Depth=1
	v_and_b32_e32 v28, 0x7f, v27
	v_mov_b32_e32 v36, 0x7f800001
	s_mov_b32 s24, exec_lo
	s_delay_alu instid0(VALU_DEP_2)
	v_cmpx_ne_u32_e32 0x7f, v28
	s_cbranch_execz .LBB309_325
; %bb.324:                              ;   in Loop: Header=BB309_290 Depth=1
	v_dual_lshrrev_b32 v36, 3, v28 :: v_dual_bitop2_b32 v29, 7, v27 bitop3:0x40
	v_cmp_gt_u32_e64 s0, 8, v28
	s_delay_alu instid0(VALU_DEP_2) | instskip(NEXT) | instid1(VALU_DEP_1)
	v_clz_i32_u32_e32 v29, v29
	v_min_u32_e32 v29, 32, v29
	s_delay_alu instid0(VALU_DEP_1) | instskip(SKIP_1) | instid1(VALU_DEP_2)
	v_subrev_nc_u32_e32 v41, 28, v29
	v_sub_nc_u32_e32 v29, 29, v29
	v_cndmask_b32_e64 v28, 0, v41, s0
	s_delay_alu instid0(VALU_DEP_2) | instskip(NEXT) | instid1(VALU_DEP_2)
	v_cndmask_b32_e64 v36, v36, v29, s0
	v_lshlrev_b64_e32 v[28:29], v28, v[16:17]
	v_lshlrev_b32_e32 v29, 24, v16
	s_delay_alu instid0(VALU_DEP_3) | instskip(NEXT) | instid1(VALU_DEP_2)
	v_lshl_add_u32 v36, v36, 23, 0x3c000000
	v_and_b32_e32 v29, 0x80000000, v29
	s_delay_alu instid0(VALU_DEP_4) | instskip(NEXT) | instid1(VALU_DEP_1)
	v_lshlrev_b32_e32 v28, 20, v28
	v_and_b32_e32 v28, 0x700000, v28
	s_delay_alu instid0(VALU_DEP_1)
	v_or3_b32 v36, v28, v29, v36
.LBB309_325:                            ;   in Loop: Header=BB309_290 Depth=1
	s_or_b32 exec_lo, exec_lo, s24
.LBB309_326:                            ;   in Loop: Header=BB309_290 Depth=1
	s_delay_alu instid0(SALU_CYCLE_1)
	s_or_b32 exec_lo, exec_lo, s23
.LBB309_327:                            ;   in Loop: Header=BB309_290 Depth=1
	s_delay_alu instid0(SALU_CYCLE_1) | instskip(SKIP_2) | instid1(VALU_DEP_1)
	s_or_b32 exec_lo, exec_lo, s1
	v_lshrrev_b16 v28, 8, v16
	s_mov_b32 s1, exec_lo
	v_cmpx_ne_u16_e32 0, v28
	s_cbranch_execz .LBB309_335
; %bb.328:                              ;   in Loop: Header=BB309_290 Depth=1
	v_bfrev_b32_e32 v11, 1
	s_mov_b32 s23, exec_lo
	v_cmpx_ne_u16_e32 0x80, v28
	s_cbranch_execz .LBB309_334
; %bb.329:                              ;   in Loop: Header=BB309_290 Depth=1
	v_and_b32_e32 v28, 0xffff, v28
	v_mov_b32_e32 v11, 0x7f800001
	s_mov_b32 s24, exec_lo
	s_delay_alu instid0(VALU_DEP_2) | instskip(NEXT) | instid1(VALU_DEP_1)
	v_and_b32_e32 v41, 0x7f, v28
	v_cmpx_ne_u32_e32 0x7f, v41
	s_cbranch_execz .LBB309_333
; %bb.330:                              ;   in Loop: Header=BB309_290 Depth=1
	v_dual_mov_b32 v29, v17 :: v_dual_bitop2_b32 v28, 7, v28 bitop3:0x40
	v_lshrrev_b32_e32 v11, 3, v41
	s_mov_b32 s25, exec_lo
	v_cmpx_gt_u32_e32 8, v41
; %bb.331:                              ;   in Loop: Header=BB309_290 Depth=1
	s_delay_alu instid0(VALU_DEP_3) | instskip(NEXT) | instid1(VALU_DEP_1)
	v_clz_i32_u32_e32 v11, v28
	v_min_u32_e32 v11, 32, v11
	s_delay_alu instid0(VALU_DEP_1) | instskip(NEXT) | instid1(VALU_DEP_1)
	v_subrev_nc_u32_e32 v41, 28, v11
	v_lshlrev_b64_e32 v[28:29], v41, v[28:29]
	s_delay_alu instid0(VALU_DEP_1)
	v_dual_sub_nc_u32 v11, 29, v11 :: v_dual_bitop2_b32 v28, 7, v28 bitop3:0x40
; %bb.332:                              ;   in Loop: Header=BB309_290 Depth=1
	s_or_b32 exec_lo, exec_lo, s25
	v_lshlrev_b32_e32 v16, 16, v16
	s_delay_alu instid0(VALU_DEP_2) | instskip(NEXT) | instid1(VALU_DEP_3)
	v_lshlrev_b32_e32 v28, 20, v28
	v_lshl_add_u32 v11, v11, 23, 0x3c000000
	s_delay_alu instid0(VALU_DEP_3) | instskip(NEXT) | instid1(VALU_DEP_1)
	v_and_b32_e32 v16, 0x80000000, v16
	v_or3_b32 v11, v28, v16, v11
.LBB309_333:                            ;   in Loop: Header=BB309_290 Depth=1
	s_or_b32 exec_lo, exec_lo, s24
.LBB309_334:                            ;   in Loop: Header=BB309_290 Depth=1
	s_delay_alu instid0(SALU_CYCLE_1)
	s_or_b32 exec_lo, exec_lo, s23
.LBB309_335:                            ;   in Loop: Header=BB309_290 Depth=1
	s_delay_alu instid0(SALU_CYCLE_1) | instskip(SKIP_3) | instid1(VALU_DEP_2)
	s_or_b32 exec_lo, exec_lo, s1
	v_dual_mov_b32 v28, 0 :: v_dual_lshrrev_b32 v41, 16, v27
	v_mov_b32_e32 v29, 0
	s_mov_b32 s1, exec_lo
	v_and_b32_e32 v16, 0xff, v41
	s_delay_alu instid0(VALU_DEP_1)
	v_cmpx_ne_u16_e32 0, v16
	s_cbranch_execz .LBB309_343
; %bb.336:                              ;   in Loop: Header=BB309_290 Depth=1
	v_bfrev_b32_e32 v29, 1
	s_mov_b32 s23, exec_lo
	v_cmpx_ne_u16_e32 0x80, v16
	s_cbranch_execz .LBB309_342
; %bb.337:                              ;   in Loop: Header=BB309_290 Depth=1
	v_bfe_u32 v42, v27, 16, 7
	v_mov_b32_e32 v29, 0x7f800001
	s_mov_b32 s24, exec_lo
	s_delay_alu instid0(VALU_DEP_2)
	v_cmpx_ne_u32_e32 0x7f, v42
	s_cbranch_execz .LBB309_341
; %bb.338:                              ;   in Loop: Header=BB309_290 Depth=1
	v_dual_lshrrev_b32 v29, 3, v42 :: v_dual_bitop2_b32 v16, 7, v41 bitop3:0x40
	s_mov_b32 s25, exec_lo
	v_cmpx_gt_u32_e32 8, v42
; %bb.339:                              ;   in Loop: Header=BB309_290 Depth=1
	s_delay_alu instid0(VALU_DEP_2) | instskip(NEXT) | instid1(VALU_DEP_1)
	v_clz_i32_u32_e32 v29, v16
	v_min_u32_e32 v29, 32, v29
	s_delay_alu instid0(VALU_DEP_1) | instskip(NEXT) | instid1(VALU_DEP_1)
	v_subrev_nc_u32_e32 v42, 28, v29
	v_lshlrev_b64_e32 v[42:43], v42, v[16:17]
	s_delay_alu instid0(VALU_DEP_1)
	v_dual_sub_nc_u32 v29, 29, v29 :: v_dual_bitop2_b32 v16, 7, v42 bitop3:0x40
; %bb.340:                              ;   in Loop: Header=BB309_290 Depth=1
	s_or_b32 exec_lo, exec_lo, s25
	s_delay_alu instid0(VALU_DEP_1) | instskip(NEXT) | instid1(VALU_DEP_2)
	v_dual_lshlrev_b32 v41, 24, v41 :: v_dual_lshlrev_b32 v16, 20, v16
	v_lshl_add_u32 v29, v29, 23, 0x3c000000
	s_delay_alu instid0(VALU_DEP_2) | instskip(NEXT) | instid1(VALU_DEP_1)
	v_and_b32_e32 v41, 0x80000000, v41
	v_or3_b32 v29, v16, v41, v29
.LBB309_341:                            ;   in Loop: Header=BB309_290 Depth=1
	s_or_b32 exec_lo, exec_lo, s24
.LBB309_342:                            ;   in Loop: Header=BB309_290 Depth=1
	s_delay_alu instid0(SALU_CYCLE_1)
	s_or_b32 exec_lo, exec_lo, s23
.LBB309_343:                            ;   in Loop: Header=BB309_290 Depth=1
	s_delay_alu instid0(SALU_CYCLE_1) | instskip(NEXT) | instid1(SALU_CYCLE_1)
	s_or_b32 exec_lo, exec_lo, s1
	s_mov_b32 s1, exec_lo
	v_cmpx_lt_u64_e64 s[2:3], v[26:27]
	s_cbranch_execz .LBB309_351
; %bb.344:                              ;   in Loop: Header=BB309_290 Depth=1
	v_lshrrev_b32_e32 v26, 24, v27
	v_bfrev_b32_e32 v28, 1
	s_mov_b32 s23, exec_lo
	s_delay_alu instid0(VALU_DEP_2)
	v_cmpx_ne_u32_e32 0x80, v26
	s_cbranch_execz .LBB309_350
; %bb.345:                              ;   in Loop: Header=BB309_290 Depth=1
	v_bfe_u32 v41, v27, 24, 7
	v_mov_b32_e32 v28, 0x7f800001
	s_mov_b32 s24, exec_lo
	s_delay_alu instid0(VALU_DEP_2)
	v_cmpx_ne_u32_e32 0x7f, v41
	s_cbranch_execz .LBB309_349
; %bb.346:                              ;   in Loop: Header=BB309_290 Depth=1
	v_dual_lshrrev_b32 v27, 3, v41 :: v_dual_bitop2_b32 v16, 7, v26 bitop3:0x40
	s_mov_b32 s25, exec_lo
	v_cmpx_gt_u32_e32 8, v41
; %bb.347:                              ;   in Loop: Header=BB309_290 Depth=1
	s_delay_alu instid0(VALU_DEP_2) | instskip(NEXT) | instid1(VALU_DEP_1)
	v_clz_i32_u32_e32 v27, v16
	v_min_u32_e32 v27, 32, v27
	s_delay_alu instid0(VALU_DEP_1) | instskip(NEXT) | instid1(VALU_DEP_1)
	v_subrev_nc_u32_e32 v28, 28, v27
	v_lshlrev_b64_e32 v[42:43], v28, v[16:17]
	s_delay_alu instid0(VALU_DEP_1)
	v_dual_sub_nc_u32 v27, 29, v27 :: v_dual_bitop2_b32 v16, 7, v42 bitop3:0x40
; %bb.348:                              ;   in Loop: Header=BB309_290 Depth=1
	s_or_b32 exec_lo, exec_lo, s25
	s_delay_alu instid0(VALU_DEP_1) | instskip(NEXT) | instid1(VALU_DEP_2)
	v_dual_lshlrev_b32 v26, 24, v26 :: v_dual_lshlrev_b32 v16, 20, v16
	v_lshl_add_u32 v27, v27, 23, 0x3c000000
	s_delay_alu instid0(VALU_DEP_2) | instskip(NEXT) | instid1(VALU_DEP_1)
	v_and_b32_e32 v26, 0x80000000, v26
	v_or3_b32 v28, v16, v26, v27
.LBB309_349:                            ;   in Loop: Header=BB309_290 Depth=1
	s_or_b32 exec_lo, exec_lo, s24
.LBB309_350:                            ;   in Loop: Header=BB309_290 Depth=1
	s_delay_alu instid0(SALU_CYCLE_1)
	s_or_b32 exec_lo, exec_lo, s23
.LBB309_351:                            ;   in Loop: Header=BB309_290 Depth=1
	s_delay_alu instid0(SALU_CYCLE_1)
	s_or_b32 exec_lo, exec_lo, s1
	v_cmp_eq_u32_e64 s0, s29, v35
	s_wait_kmcnt 0x0
	v_fma_mixlo_bf16 v11, s22, v11, 0
	v_fma_mixlo_bf16 v36, s22, v36, 0
	;; [unrolled: 1-line block ×8, first 2 shown]
	s_and_saveexec_b32 s23, s0
	s_cbranch_execz .LBB309_353
; %bb.352:                              ;   in Loop: Header=BB309_290 Depth=1
	v_dual_add_nc_u32 v16, 1, v10 :: v_dual_add_nc_u32 v26, 2, v10
	v_cmp_gt_i32_e64 s1, s34, v10
	s_delay_alu instid0(VALU_DEP_1) | instskip(NEXT) | instid1(VALU_DEP_3)
	v_cndmask_b32_e64 v42, 0, v42, s1
	v_cmp_gt_i32_e64 s1, s34, v16
	s_delay_alu instid0(VALU_DEP_1) | instskip(SKIP_2) | instid1(VALU_DEP_2)
	v_cndmask_b32_e64 v41, 0, v41, s1
	v_cmp_gt_i32_e64 s1, s34, v26
	v_dual_add_nc_u32 v27, 3, v10 :: v_dual_add_nc_u32 v26, 5, v10
	v_cndmask_b32_e64 v40, 0, v40, s1
	s_delay_alu instid0(VALU_DEP_2) | instskip(SKIP_1) | instid1(VALU_DEP_2)
	v_cmp_gt_i32_e64 s1, s34, v27
	v_dual_add_nc_u32 v16, 4, v10 :: v_dual_add_nc_u32 v27, 6, v10
	v_cndmask_b32_e64 v39, 0, v39, s1
	s_delay_alu instid0(VALU_DEP_2) | instskip(NEXT) | instid1(VALU_DEP_1)
	v_cmp_gt_i32_e64 s1, s34, v16
	v_dual_add_nc_u32 v16, 7, v10 :: v_dual_cndmask_b32 v36, 0, v36, s1
	v_cmp_gt_i32_e64 s1, s34, v26
	s_delay_alu instid0(VALU_DEP_1) | instskip(SKIP_1) | instid1(VALU_DEP_1)
	v_cndmask_b32_e64 v11, 0, v11, s1
	v_cmp_gt_i32_e64 s1, s34, v27
	v_cndmask_b32_e64 v37, 0, v37, s1
	v_cmp_gt_i32_e64 s1, s34, v16
	s_delay_alu instid0(VALU_DEP_1)
	v_cndmask_b32_e64 v38, 0, v38, s1
.LBB309_353:                            ;   in Loop: Header=BB309_290 Depth=1
	s_or_b32 exec_lo, exec_lo, s23
	global_load_b64 v[26:27], v[24:25], off offset:256
	v_dual_mov_b32 v47, 0 :: v_dual_mov_b32 v48, 0
	s_mov_b32 s23, exec_lo
	s_wait_loadcnt 0x0
	v_and_b32_e32 v16, 0xff, v26
	s_delay_alu instid0(VALU_DEP_1)
	v_cmpx_ne_u16_e32 0, v16
	s_cbranch_execz .LBB309_359
; %bb.354:                              ;   in Loop: Header=BB309_290 Depth=1
	v_bfrev_b32_e32 v48, 1
	s_mov_b32 s24, exec_lo
	v_cmpx_ne_u16_e32 0x80, v16
	s_cbranch_execz .LBB309_358
; %bb.355:                              ;   in Loop: Header=BB309_290 Depth=1
	v_and_b32_e32 v16, 0x7f, v26
	v_mov_b32_e32 v48, 0x7f800001
	s_mov_b32 s25, exec_lo
	s_delay_alu instid0(VALU_DEP_2)
	v_cmpx_ne_u32_e32 0x7f, v16
	s_cbranch_execz .LBB309_357
; %bb.356:                              ;   in Loop: Header=BB309_290 Depth=1
	v_dual_lshrrev_b32 v29, 3, v16 :: v_dual_bitop2_b32 v28, 7, v26 bitop3:0x40
	v_cmp_gt_u32_e64 s1, 8, v16
	s_delay_alu instid0(VALU_DEP_2) | instskip(NEXT) | instid1(VALU_DEP_1)
	v_clz_i32_u32_e32 v28, v28
	v_min_u32_e32 v28, 32, v28
	s_delay_alu instid0(VALU_DEP_1) | instskip(SKIP_1) | instid1(VALU_DEP_1)
	v_subrev_nc_u32_e32 v43, 28, v28
	v_sub_nc_u32_e32 v28, 29, v28
	v_dual_cndmask_b32 v16, v29, v28, s1 :: v_dual_cndmask_b32 v28, 0, v43, s1
	s_delay_alu instid0(VALU_DEP_1) | instskip(NEXT) | instid1(VALU_DEP_2)
	v_lshl_add_u32 v16, v16, 23, 0x3c000000
	v_lshlrev_b64_e32 v[28:29], v28, v[26:27]
	v_lshlrev_b32_e32 v29, 24, v26
	s_delay_alu instid0(VALU_DEP_1) | instskip(NEXT) | instid1(VALU_DEP_3)
	v_and_b32_e32 v29, 0x80000000, v29
	v_lshlrev_b32_e32 v28, 20, v28
	s_delay_alu instid0(VALU_DEP_1) | instskip(NEXT) | instid1(VALU_DEP_1)
	v_and_b32_e32 v28, 0x700000, v28
	v_or3_b32 v48, v28, v29, v16
.LBB309_357:                            ;   in Loop: Header=BB309_290 Depth=1
	s_or_b32 exec_lo, exec_lo, s25
.LBB309_358:                            ;   in Loop: Header=BB309_290 Depth=1
	s_delay_alu instid0(SALU_CYCLE_1)
	s_or_b32 exec_lo, exec_lo, s24
.LBB309_359:                            ;   in Loop: Header=BB309_290 Depth=1
	s_delay_alu instid0(SALU_CYCLE_1) | instskip(SKIP_2) | instid1(VALU_DEP_1)
	s_or_b32 exec_lo, exec_lo, s23
	v_lshrrev_b16 v16, 8, v26
	s_mov_b32 s23, exec_lo
	v_cmpx_ne_u16_e32 0, v16
	s_cbranch_execz .LBB309_367
; %bb.360:                              ;   in Loop: Header=BB309_290 Depth=1
	v_bfrev_b32_e32 v47, 1
	s_mov_b32 s24, exec_lo
	v_cmpx_ne_u16_e32 0x80, v16
	s_cbranch_execz .LBB309_366
; %bb.361:                              ;   in Loop: Header=BB309_290 Depth=1
	v_and_b32_e32 v16, 0xffff, v16
	v_mov_b32_e32 v47, 0x7f800001
	s_mov_b32 s25, exec_lo
	s_delay_alu instid0(VALU_DEP_2) | instskip(NEXT) | instid1(VALU_DEP_1)
	v_and_b32_e32 v29, 0x7f, v16
	v_cmpx_ne_u32_e32 0x7f, v29
	s_cbranch_execz .LBB309_365
; %bb.362:                              ;   in Loop: Header=BB309_290 Depth=1
	v_dual_lshrrev_b32 v28, 3, v29 :: v_dual_bitop2_b32 v16, 7, v16 bitop3:0x40
	s_mov_b32 s36, exec_lo
	v_cmpx_gt_u32_e32 8, v29
; %bb.363:                              ;   in Loop: Header=BB309_290 Depth=1
	s_delay_alu instid0(VALU_DEP_2) | instskip(NEXT) | instid1(VALU_DEP_1)
	v_clz_i32_u32_e32 v28, v16
	v_min_u32_e32 v28, 32, v28
	s_delay_alu instid0(VALU_DEP_1) | instskip(SKIP_1) | instid1(VALU_DEP_2)
	v_subrev_nc_u32_e32 v29, 28, v28
	v_sub_nc_u32_e32 v28, 29, v28
	v_lshlrev_b64_e32 v[44:45], v29, v[16:17]
	s_delay_alu instid0(VALU_DEP_1)
	v_and_b32_e32 v16, 7, v44
; %bb.364:                              ;   in Loop: Header=BB309_290 Depth=1
	s_or_b32 exec_lo, exec_lo, s36
	s_delay_alu instid0(VALU_DEP_1) | instskip(SKIP_1) | instid1(VALU_DEP_2)
	v_dual_lshlrev_b32 v29, 16, v26 :: v_dual_lshlrev_b32 v16, 20, v16
	v_lshl_add_u32 v28, v28, 23, 0x3c000000
	v_and_b32_e32 v29, 0x80000000, v29
	s_delay_alu instid0(VALU_DEP_1)
	v_or3_b32 v47, v16, v29, v28
.LBB309_365:                            ;   in Loop: Header=BB309_290 Depth=1
	s_or_b32 exec_lo, exec_lo, s25
.LBB309_366:                            ;   in Loop: Header=BB309_290 Depth=1
	s_delay_alu instid0(SALU_CYCLE_1)
	s_or_b32 exec_lo, exec_lo, s24
.LBB309_367:                            ;   in Loop: Header=BB309_290 Depth=1
	s_delay_alu instid0(SALU_CYCLE_1) | instskip(SKIP_3) | instid1(VALU_DEP_2)
	s_or_b32 exec_lo, exec_lo, s23
	v_dual_mov_b32 v45, 0 :: v_dual_lshrrev_b32 v28, 16, v26
	v_mov_b32_e32 v46, 0
	s_mov_b32 s23, exec_lo
	v_and_b32_e32 v16, 0xff, v28
	s_delay_alu instid0(VALU_DEP_1)
	v_cmpx_ne_u16_e32 0, v16
	s_cbranch_execz .LBB309_375
; %bb.368:                              ;   in Loop: Header=BB309_290 Depth=1
	v_bfrev_b32_e32 v46, 1
	s_mov_b32 s24, exec_lo
	v_cmpx_ne_u16_e32 0x80, v16
	s_cbranch_execz .LBB309_374
; %bb.369:                              ;   in Loop: Header=BB309_290 Depth=1
	v_bfe_u32 v43, v26, 16, 7
	v_mov_b32_e32 v46, 0x7f800001
	s_mov_b32 s25, exec_lo
	s_delay_alu instid0(VALU_DEP_2)
	v_cmpx_ne_u32_e32 0x7f, v43
	s_cbranch_execz .LBB309_373
; %bb.370:                              ;   in Loop: Header=BB309_290 Depth=1
	v_dual_lshrrev_b32 v29, 3, v43 :: v_dual_bitop2_b32 v16, 7, v28 bitop3:0x40
	s_mov_b32 s36, exec_lo
	v_cmpx_gt_u32_e32 8, v43
; %bb.371:                              ;   in Loop: Header=BB309_290 Depth=1
	s_delay_alu instid0(VALU_DEP_2) | instskip(NEXT) | instid1(VALU_DEP_1)
	v_clz_i32_u32_e32 v29, v16
	v_min_u32_e32 v29, 32, v29
	s_delay_alu instid0(VALU_DEP_1) | instskip(NEXT) | instid1(VALU_DEP_1)
	v_subrev_nc_u32_e32 v43, 28, v29
	v_lshlrev_b64_e32 v[50:51], v43, v[16:17]
	s_delay_alu instid0(VALU_DEP_1)
	v_dual_sub_nc_u32 v29, 29, v29 :: v_dual_bitop2_b32 v16, 7, v50 bitop3:0x40
; %bb.372:                              ;   in Loop: Header=BB309_290 Depth=1
	s_or_b32 exec_lo, exec_lo, s36
	v_lshlrev_b32_e32 v28, 24, v28
	s_delay_alu instid0(VALU_DEP_2) | instskip(NEXT) | instid1(VALU_DEP_3)
	v_lshlrev_b32_e32 v16, 20, v16
	v_lshl_add_u32 v29, v29, 23, 0x3c000000
	s_delay_alu instid0(VALU_DEP_3) | instskip(NEXT) | instid1(VALU_DEP_1)
	v_and_b32_e32 v28, 0x80000000, v28
	v_or3_b32 v46, v16, v28, v29
.LBB309_373:                            ;   in Loop: Header=BB309_290 Depth=1
	s_or_b32 exec_lo, exec_lo, s25
.LBB309_374:                            ;   in Loop: Header=BB309_290 Depth=1
	s_delay_alu instid0(SALU_CYCLE_1)
	s_or_b32 exec_lo, exec_lo, s24
.LBB309_375:                            ;   in Loop: Header=BB309_290 Depth=1
	s_delay_alu instid0(SALU_CYCLE_1) | instskip(NEXT) | instid1(SALU_CYCLE_1)
	s_or_b32 exec_lo, exec_lo, s23
	s_mov_b32 s23, exec_lo
	v_cmpx_lt_u32_e32 0xffffff, v26
	s_cbranch_execz .LBB309_383
; %bb.376:                              ;   in Loop: Header=BB309_290 Depth=1
	v_lshrrev_b32_e32 v28, 24, v26
	v_bfrev_b32_e32 v45, 1
	s_mov_b32 s24, exec_lo
	s_delay_alu instid0(VALU_DEP_2)
	v_cmpx_ne_u32_e32 0x80, v28
	s_cbranch_execz .LBB309_382
; %bb.377:                              ;   in Loop: Header=BB309_290 Depth=1
	v_bfe_u32 v43, v26, 24, 7
	v_mov_b32_e32 v45, 0x7f800001
	s_mov_b32 s25, exec_lo
	s_delay_alu instid0(VALU_DEP_2)
	v_cmpx_ne_u32_e32 0x7f, v43
	s_cbranch_execz .LBB309_381
; %bb.378:                              ;   in Loop: Header=BB309_290 Depth=1
	v_dual_lshrrev_b32 v29, 3, v43 :: v_dual_bitop2_b32 v16, 7, v28 bitop3:0x40
	s_mov_b32 s36, exec_lo
	v_cmpx_gt_u32_e32 8, v43
; %bb.379:                              ;   in Loop: Header=BB309_290 Depth=1
	s_delay_alu instid0(VALU_DEP_2) | instskip(NEXT) | instid1(VALU_DEP_1)
	v_clz_i32_u32_e32 v29, v16
	v_min_u32_e32 v29, 32, v29
	s_delay_alu instid0(VALU_DEP_1) | instskip(NEXT) | instid1(VALU_DEP_1)
	v_subrev_nc_u32_e32 v43, 28, v29
	v_lshlrev_b64_e32 v[44:45], v43, v[16:17]
	s_delay_alu instid0(VALU_DEP_1)
	v_dual_sub_nc_u32 v29, 29, v29 :: v_dual_bitop2_b32 v16, 7, v44 bitop3:0x40
; %bb.380:                              ;   in Loop: Header=BB309_290 Depth=1
	s_or_b32 exec_lo, exec_lo, s36
	v_lshlrev_b32_e32 v28, 24, v28
	s_delay_alu instid0(VALU_DEP_2) | instskip(NEXT) | instid1(VALU_DEP_3)
	v_lshlrev_b32_e32 v16, 20, v16
	v_lshl_add_u32 v29, v29, 23, 0x3c000000
	s_delay_alu instid0(VALU_DEP_3) | instskip(NEXT) | instid1(VALU_DEP_1)
	v_and_b32_e32 v28, 0x80000000, v28
	v_or3_b32 v45, v16, v28, v29
.LBB309_381:                            ;   in Loop: Header=BB309_290 Depth=1
	s_or_b32 exec_lo, exec_lo, s25
.LBB309_382:                            ;   in Loop: Header=BB309_290 Depth=1
	s_delay_alu instid0(SALU_CYCLE_1)
	s_or_b32 exec_lo, exec_lo, s24
.LBB309_383:                            ;   in Loop: Header=BB309_290 Depth=1
	s_delay_alu instid0(SALU_CYCLE_1) | instskip(SKIP_4) | instid1(VALU_DEP_3)
	s_or_b32 exec_lo, exec_lo, s23
	v_and_b32_e32 v29, 0xff, v27
	v_dual_mov_b32 v16, v27 :: v_dual_mov_b32 v28, 0
	v_mov_b32_e32 v44, 0
	s_mov_b32 s23, exec_lo
	v_cmpx_ne_u16_e32 0, v29
	s_cbranch_execz .LBB309_389
; %bb.384:                              ;   in Loop: Header=BB309_290 Depth=1
	v_bfrev_b32_e32 v44, 1
	s_mov_b32 s24, exec_lo
	v_cmpx_ne_u16_e32 0x80, v29
	s_cbranch_execz .LBB309_388
; %bb.385:                              ;   in Loop: Header=BB309_290 Depth=1
	v_and_b32_e32 v29, 0x7f, v27
	v_mov_b32_e32 v44, 0x7f800001
	s_mov_b32 s25, exec_lo
	s_delay_alu instid0(VALU_DEP_2)
	v_cmpx_ne_u32_e32 0x7f, v29
	s_cbranch_execz .LBB309_387
; %bb.386:                              ;   in Loop: Header=BB309_290 Depth=1
	v_dual_lshrrev_b32 v44, 3, v29 :: v_dual_bitop2_b32 v43, 7, v27 bitop3:0x40
	v_cmp_gt_u32_e64 s1, 8, v29
	s_delay_alu instid0(VALU_DEP_2) | instskip(NEXT) | instid1(VALU_DEP_1)
	v_clz_i32_u32_e32 v43, v43
	v_min_u32_e32 v43, 32, v43
	s_delay_alu instid0(VALU_DEP_1) | instskip(SKIP_1) | instid1(VALU_DEP_1)
	v_subrev_nc_u32_e32 v49, 28, v43
	v_sub_nc_u32_e32 v43, 29, v43
	v_dual_cndmask_b32 v29, v44, v43, s1 :: v_dual_cndmask_b32 v43, 0, v49, s1
	s_delay_alu instid0(VALU_DEP_1) | instskip(NEXT) | instid1(VALU_DEP_2)
	v_lshl_add_u32 v29, v29, 23, 0x3c000000
	v_lshlrev_b64_e32 v[50:51], v43, v[16:17]
	v_lshlrev_b32_e32 v43, 24, v16
	s_delay_alu instid0(VALU_DEP_1) | instskip(NEXT) | instid1(VALU_DEP_3)
	v_and_b32_e32 v43, 0x80000000, v43
	v_lshlrev_b32_e32 v44, 20, v50
	s_delay_alu instid0(VALU_DEP_1) | instskip(NEXT) | instid1(VALU_DEP_1)
	v_and_b32_e32 v44, 0x700000, v44
	v_or3_b32 v44, v44, v43, v29
.LBB309_387:                            ;   in Loop: Header=BB309_290 Depth=1
	s_or_b32 exec_lo, exec_lo, s25
.LBB309_388:                            ;   in Loop: Header=BB309_290 Depth=1
	s_delay_alu instid0(SALU_CYCLE_1)
	s_or_b32 exec_lo, exec_lo, s24
.LBB309_389:                            ;   in Loop: Header=BB309_290 Depth=1
	s_delay_alu instid0(SALU_CYCLE_1) | instskip(SKIP_2) | instid1(VALU_DEP_1)
	s_or_b32 exec_lo, exec_lo, s23
	v_lshrrev_b16 v29, 8, v16
	s_mov_b32 s23, exec_lo
	v_cmpx_ne_u16_e32 0, v29
	s_cbranch_execz .LBB309_397
; %bb.390:                              ;   in Loop: Header=BB309_290 Depth=1
	v_bfrev_b32_e32 v28, 1
	s_mov_b32 s24, exec_lo
	v_cmpx_ne_u16_e32 0x80, v29
	s_cbranch_execz .LBB309_396
; %bb.391:                              ;   in Loop: Header=BB309_290 Depth=1
	v_and_b32_e32 v29, 0xffff, v29
	v_mov_b32_e32 v28, 0x7f800001
	s_mov_b32 s25, exec_lo
	s_delay_alu instid0(VALU_DEP_2) | instskip(NEXT) | instid1(VALU_DEP_1)
	v_and_b32_e32 v49, 0x7f, v29
	v_cmpx_ne_u32_e32 0x7f, v49
	s_cbranch_execz .LBB309_395
; %bb.392:                              ;   in Loop: Header=BB309_290 Depth=1
	v_dual_mov_b32 v29, v17 :: v_dual_bitop2_b32 v28, 7, v29 bitop3:0x40
	v_lshrrev_b32_e32 v43, 3, v49
	s_mov_b32 s36, exec_lo
	v_cmpx_gt_u32_e32 8, v49
; %bb.393:                              ;   in Loop: Header=BB309_290 Depth=1
	s_delay_alu instid0(VALU_DEP_3) | instskip(NEXT) | instid1(VALU_DEP_1)
	v_clz_i32_u32_e32 v43, v28
	v_min_u32_e32 v43, 32, v43
	s_delay_alu instid0(VALU_DEP_1) | instskip(NEXT) | instid1(VALU_DEP_1)
	v_subrev_nc_u32_e32 v49, 28, v43
	v_lshlrev_b64_e32 v[28:29], v49, v[28:29]
	s_delay_alu instid0(VALU_DEP_1)
	v_dual_sub_nc_u32 v43, 29, v43 :: v_dual_bitop2_b32 v28, 7, v28 bitop3:0x40
; %bb.394:                              ;   in Loop: Header=BB309_290 Depth=1
	s_or_b32 exec_lo, exec_lo, s36
	v_lshlrev_b32_e32 v16, 16, v16
	s_delay_alu instid0(VALU_DEP_2) | instskip(NEXT) | instid1(VALU_DEP_3)
	v_lshlrev_b32_e32 v28, 20, v28
	v_lshl_add_u32 v29, v43, 23, 0x3c000000
	s_delay_alu instid0(VALU_DEP_3) | instskip(NEXT) | instid1(VALU_DEP_1)
	v_and_b32_e32 v16, 0x80000000, v16
	v_or3_b32 v28, v28, v16, v29
.LBB309_395:                            ;   in Loop: Header=BB309_290 Depth=1
	s_or_b32 exec_lo, exec_lo, s25
.LBB309_396:                            ;   in Loop: Header=BB309_290 Depth=1
	s_delay_alu instid0(SALU_CYCLE_1)
	s_or_b32 exec_lo, exec_lo, s24
.LBB309_397:                            ;   in Loop: Header=BB309_290 Depth=1
	s_delay_alu instid0(SALU_CYCLE_1) | instskip(SKIP_3) | instid1(VALU_DEP_2)
	s_or_b32 exec_lo, exec_lo, s23
	v_dual_lshrrev_b32 v43, 16, v27 :: v_dual_mov_b32 v29, 0
	v_mov_b32_e32 v49, 0
	s_mov_b32 s23, exec_lo
	v_and_b32_e32 v16, 0xff, v43
	s_delay_alu instid0(VALU_DEP_1)
	v_cmpx_ne_u16_e32 0, v16
	s_cbranch_execz .LBB309_405
; %bb.398:                              ;   in Loop: Header=BB309_290 Depth=1
	v_bfrev_b32_e32 v49, 1
	s_mov_b32 s24, exec_lo
	v_cmpx_ne_u16_e32 0x80, v16
	s_cbranch_execz .LBB309_404
; %bb.399:                              ;   in Loop: Header=BB309_290 Depth=1
	v_bfe_u32 v50, v27, 16, 7
	v_mov_b32_e32 v49, 0x7f800001
	s_mov_b32 s25, exec_lo
	s_delay_alu instid0(VALU_DEP_2)
	v_cmpx_ne_u32_e32 0x7f, v50
	s_cbranch_execz .LBB309_403
; %bb.400:                              ;   in Loop: Header=BB309_290 Depth=1
	v_dual_lshrrev_b32 v49, 3, v50 :: v_dual_bitop2_b32 v16, 7, v43 bitop3:0x40
	s_mov_b32 s36, exec_lo
	v_cmpx_gt_u32_e32 8, v50
; %bb.401:                              ;   in Loop: Header=BB309_290 Depth=1
	s_delay_alu instid0(VALU_DEP_2) | instskip(NEXT) | instid1(VALU_DEP_1)
	v_clz_i32_u32_e32 v49, v16
	v_min_u32_e32 v49, 32, v49
	s_delay_alu instid0(VALU_DEP_1) | instskip(NEXT) | instid1(VALU_DEP_1)
	v_subrev_nc_u32_e32 v50, 28, v49
	v_lshlrev_b64_e32 v[50:51], v50, v[16:17]
	s_delay_alu instid0(VALU_DEP_1)
	v_dual_sub_nc_u32 v49, 29, v49 :: v_dual_bitop2_b32 v16, 7, v50 bitop3:0x40
; %bb.402:                              ;   in Loop: Header=BB309_290 Depth=1
	s_or_b32 exec_lo, exec_lo, s36
	s_delay_alu instid0(VALU_DEP_1) | instskip(NEXT) | instid1(VALU_DEP_2)
	v_dual_lshlrev_b32 v43, 24, v43 :: v_dual_lshlrev_b32 v16, 20, v16
	v_lshl_add_u32 v49, v49, 23, 0x3c000000
	s_delay_alu instid0(VALU_DEP_2) | instskip(NEXT) | instid1(VALU_DEP_1)
	v_and_b32_e32 v43, 0x80000000, v43
	v_or3_b32 v49, v16, v43, v49
.LBB309_403:                            ;   in Loop: Header=BB309_290 Depth=1
	s_or_b32 exec_lo, exec_lo, s25
.LBB309_404:                            ;   in Loop: Header=BB309_290 Depth=1
	s_delay_alu instid0(SALU_CYCLE_1)
	s_or_b32 exec_lo, exec_lo, s24
.LBB309_405:                            ;   in Loop: Header=BB309_290 Depth=1
	s_delay_alu instid0(SALU_CYCLE_1) | instskip(NEXT) | instid1(SALU_CYCLE_1)
	s_or_b32 exec_lo, exec_lo, s23
	s_mov_b32 s23, exec_lo
	v_cmpx_lt_u64_e64 s[2:3], v[26:27]
	s_cbranch_execz .LBB309_413
; %bb.406:                              ;   in Loop: Header=BB309_290 Depth=1
	v_lshrrev_b32_e32 v26, 24, v27
	v_bfrev_b32_e32 v29, 1
	s_mov_b32 s24, exec_lo
	s_delay_alu instid0(VALU_DEP_2)
	v_cmpx_ne_u32_e32 0x80, v26
	s_cbranch_execz .LBB309_412
; %bb.407:                              ;   in Loop: Header=BB309_290 Depth=1
	v_bfe_u32 v43, v27, 24, 7
	v_mov_b32_e32 v29, 0x7f800001
	s_mov_b32 s25, exec_lo
	s_delay_alu instid0(VALU_DEP_2)
	v_cmpx_ne_u32_e32 0x7f, v43
	s_cbranch_execz .LBB309_411
; %bb.408:                              ;   in Loop: Header=BB309_290 Depth=1
	v_dual_lshrrev_b32 v27, 3, v43 :: v_dual_bitop2_b32 v16, 7, v26 bitop3:0x40
	s_mov_b32 s36, exec_lo
	v_cmpx_gt_u32_e32 8, v43
; %bb.409:                              ;   in Loop: Header=BB309_290 Depth=1
	s_delay_alu instid0(VALU_DEP_2) | instskip(NEXT) | instid1(VALU_DEP_1)
	v_clz_i32_u32_e32 v27, v16
	v_min_u32_e32 v27, 32, v27
	s_delay_alu instid0(VALU_DEP_1) | instskip(NEXT) | instid1(VALU_DEP_1)
	v_subrev_nc_u32_e32 v29, 28, v27
	v_lshlrev_b64_e32 v[50:51], v29, v[16:17]
	s_delay_alu instid0(VALU_DEP_1)
	v_dual_sub_nc_u32 v27, 29, v27 :: v_dual_bitop2_b32 v16, 7, v50 bitop3:0x40
; %bb.410:                              ;   in Loop: Header=BB309_290 Depth=1
	s_or_b32 exec_lo, exec_lo, s36
	s_delay_alu instid0(VALU_DEP_1) | instskip(NEXT) | instid1(VALU_DEP_2)
	v_dual_lshlrev_b32 v26, 24, v26 :: v_dual_lshlrev_b32 v16, 20, v16
	v_lshl_add_u32 v27, v27, 23, 0x3c000000
	s_delay_alu instid0(VALU_DEP_2) | instskip(NEXT) | instid1(VALU_DEP_1)
	v_and_b32_e32 v26, 0x80000000, v26
	v_or3_b32 v29, v16, v26, v27
.LBB309_411:                            ;   in Loop: Header=BB309_290 Depth=1
	s_or_b32 exec_lo, exec_lo, s25
.LBB309_412:                            ;   in Loop: Header=BB309_290 Depth=1
	s_delay_alu instid0(SALU_CYCLE_1)
	s_or_b32 exec_lo, exec_lo, s24
.LBB309_413:                            ;   in Loop: Header=BB309_290 Depth=1
	s_delay_alu instid0(SALU_CYCLE_1)
	s_or_b32 exec_lo, exec_lo, s23
	v_fma_mixlo_bf16 v43, s22, v28, 0
	v_fma_mixlo_bf16 v44, s22, v44, 0
	;; [unrolled: 1-line block ×8, first 2 shown]
	s_and_saveexec_b32 s23, s0
	s_cbranch_execz .LBB309_415
; %bb.414:                              ;   in Loop: Header=BB309_290 Depth=1
	v_dual_add_nc_u32 v16, 1, v10 :: v_dual_add_nc_u32 v26, 2, v10
	v_cmp_gt_i32_e64 s1, s34, v10
	s_delay_alu instid0(VALU_DEP_1) | instskip(NEXT) | instid1(VALU_DEP_3)
	v_dual_add_nc_u32 v27, 3, v10 :: v_dual_cndmask_b32 v48, 0, v48, s1
	v_cmp_gt_i32_e64 s1, s34, v16
	s_delay_alu instid0(VALU_DEP_1) | instskip(SKIP_2) | instid1(VALU_DEP_2)
	v_cndmask_b32_e64 v47, 0, v47, s1
	v_cmp_gt_i32_e64 s1, s34, v26
	v_add_nc_u32_e32 v26, 5, v10
	v_cndmask_b32_e64 v46, 0, v46, s1
	v_cmp_gt_i32_e64 s1, s34, v27
	v_dual_add_nc_u32 v16, 4, v10 :: v_dual_add_nc_u32 v27, 6, v10
	s_delay_alu instid0(VALU_DEP_2) | instskip(NEXT) | instid1(VALU_DEP_2)
	v_cndmask_b32_e64 v45, 0, v45, s1
	v_cmp_gt_i32_e64 s1, s34, v16
	s_delay_alu instid0(VALU_DEP_1) | instskip(SKIP_1) | instid1(VALU_DEP_1)
	v_dual_add_nc_u32 v16, 7, v10 :: v_dual_cndmask_b32 v44, 0, v44, s1
	v_cmp_gt_i32_e64 s1, s34, v26
	v_cndmask_b32_e64 v43, 0, v43, s1
	v_cmp_gt_i32_e64 s1, s34, v27
	s_delay_alu instid0(VALU_DEP_1) | instskip(SKIP_1) | instid1(VALU_DEP_1)
	v_cndmask_b32_e64 v28, 0, v28, s1
	v_cmp_gt_i32_e64 s1, s34, v16
	v_cndmask_b32_e64 v29, 0, v29, s1
.LBB309_415:                            ;   in Loop: Header=BB309_290 Depth=1
	s_or_b32 exec_lo, exec_lo, s23
	global_load_b64 v[24:25], v[24:25], off offset:512
	v_dual_mov_b32 v51, 0 :: v_dual_mov_b32 v52, 0
	s_mov_b32 s23, exec_lo
	s_wait_loadcnt 0x0
	v_and_b32_e32 v16, 0xff, v24
	s_delay_alu instid0(VALU_DEP_1)
	v_cmpx_ne_u16_e32 0, v16
	s_cbranch_execz .LBB309_421
; %bb.416:                              ;   in Loop: Header=BB309_290 Depth=1
	v_bfrev_b32_e32 v52, 1
	s_mov_b32 s24, exec_lo
	v_cmpx_ne_u16_e32 0x80, v16
	s_cbranch_execz .LBB309_420
; %bb.417:                              ;   in Loop: Header=BB309_290 Depth=1
	v_and_b32_e32 v16, 0x7f, v24
	v_mov_b32_e32 v52, 0x7f800001
	s_mov_b32 s25, exec_lo
	s_delay_alu instid0(VALU_DEP_2)
	v_cmpx_ne_u32_e32 0x7f, v16
	s_cbranch_execz .LBB309_419
; %bb.418:                              ;   in Loop: Header=BB309_290 Depth=1
	v_and_b32_e32 v26, 7, v24
	v_cmp_gt_u32_e64 s1, 8, v16
	s_delay_alu instid0(VALU_DEP_2) | instskip(NEXT) | instid1(VALU_DEP_1)
	v_clz_i32_u32_e32 v26, v26
	v_min_u32_e32 v26, 32, v26
	v_lshrrev_b32_e32 v27, 3, v16
	s_delay_alu instid0(VALU_DEP_2) | instskip(SKIP_1) | instid1(VALU_DEP_1)
	v_subrev_nc_u32_e32 v49, 28, v26
	v_sub_nc_u32_e32 v26, 29, v26
	v_dual_cndmask_b32 v16, v27, v26, s1 :: v_dual_cndmask_b32 v26, 0, v49, s1
	s_delay_alu instid0(VALU_DEP_1) | instskip(NEXT) | instid1(VALU_DEP_2)
	v_lshl_add_u32 v16, v16, 23, 0x3c000000
	v_lshlrev_b64_e32 v[26:27], v26, v[24:25]
	v_lshlrev_b32_e32 v27, 24, v24
	s_delay_alu instid0(VALU_DEP_1) | instskip(NEXT) | instid1(VALU_DEP_3)
	v_and_b32_e32 v27, 0x80000000, v27
	v_lshlrev_b32_e32 v26, 20, v26
	s_delay_alu instid0(VALU_DEP_1) | instskip(NEXT) | instid1(VALU_DEP_1)
	v_and_b32_e32 v26, 0x700000, v26
	v_or3_b32 v52, v26, v27, v16
.LBB309_419:                            ;   in Loop: Header=BB309_290 Depth=1
	s_or_b32 exec_lo, exec_lo, s25
.LBB309_420:                            ;   in Loop: Header=BB309_290 Depth=1
	s_delay_alu instid0(SALU_CYCLE_1)
	s_or_b32 exec_lo, exec_lo, s24
.LBB309_421:                            ;   in Loop: Header=BB309_290 Depth=1
	s_delay_alu instid0(SALU_CYCLE_1) | instskip(SKIP_2) | instid1(VALU_DEP_1)
	s_or_b32 exec_lo, exec_lo, s23
	v_lshrrev_b16 v16, 8, v24
	s_mov_b32 s23, exec_lo
	v_cmpx_ne_u16_e32 0, v16
	s_cbranch_execz .LBB309_429
; %bb.422:                              ;   in Loop: Header=BB309_290 Depth=1
	v_bfrev_b32_e32 v51, 1
	s_mov_b32 s24, exec_lo
	v_cmpx_ne_u16_e32 0x80, v16
	s_cbranch_execz .LBB309_428
; %bb.423:                              ;   in Loop: Header=BB309_290 Depth=1
	v_and_b32_e32 v16, 0xffff, v16
	v_mov_b32_e32 v51, 0x7f800001
	s_mov_b32 s25, exec_lo
	s_delay_alu instid0(VALU_DEP_2) | instskip(NEXT) | instid1(VALU_DEP_1)
	v_and_b32_e32 v27, 0x7f, v16
	v_cmpx_ne_u32_e32 0x7f, v27
	s_cbranch_execz .LBB309_427
; %bb.424:                              ;   in Loop: Header=BB309_290 Depth=1
	v_dual_lshrrev_b32 v26, 3, v27 :: v_dual_bitop2_b32 v16, 7, v16 bitop3:0x40
	s_mov_b32 s36, exec_lo
	v_cmpx_gt_u32_e32 8, v27
; %bb.425:                              ;   in Loop: Header=BB309_290 Depth=1
	s_delay_alu instid0(VALU_DEP_2) | instskip(NEXT) | instid1(VALU_DEP_1)
	v_clz_i32_u32_e32 v26, v16
	v_min_u32_e32 v26, 32, v26
	s_delay_alu instid0(VALU_DEP_1) | instskip(SKIP_1) | instid1(VALU_DEP_2)
	v_subrev_nc_u32_e32 v27, 28, v26
	v_sub_nc_u32_e32 v26, 29, v26
	v_lshlrev_b64_e32 v[50:51], v27, v[16:17]
	s_delay_alu instid0(VALU_DEP_1)
	v_and_b32_e32 v16, 7, v50
; %bb.426:                              ;   in Loop: Header=BB309_290 Depth=1
	s_or_b32 exec_lo, exec_lo, s36
	v_lshlrev_b32_e32 v27, 16, v24
	s_delay_alu instid0(VALU_DEP_2) | instskip(SKIP_1) | instid1(VALU_DEP_3)
	v_lshlrev_b32_e32 v16, 20, v16
	v_lshl_add_u32 v26, v26, 23, 0x3c000000
	v_and_b32_e32 v27, 0x80000000, v27
	s_delay_alu instid0(VALU_DEP_1)
	v_or3_b32 v51, v16, v27, v26
.LBB309_427:                            ;   in Loop: Header=BB309_290 Depth=1
	s_or_b32 exec_lo, exec_lo, s25
.LBB309_428:                            ;   in Loop: Header=BB309_290 Depth=1
	s_delay_alu instid0(SALU_CYCLE_1)
	s_or_b32 exec_lo, exec_lo, s24
.LBB309_429:                            ;   in Loop: Header=BB309_290 Depth=1
	s_delay_alu instid0(SALU_CYCLE_1) | instskip(SKIP_3) | instid1(VALU_DEP_2)
	s_or_b32 exec_lo, exec_lo, s23
	v_dual_mov_b32 v49, 0 :: v_dual_lshrrev_b32 v26, 16, v24
	v_mov_b32_e32 v50, 0
	s_mov_b32 s23, exec_lo
	v_and_b32_e32 v16, 0xff, v26
	s_delay_alu instid0(VALU_DEP_1)
	v_cmpx_ne_u16_e32 0, v16
	s_cbranch_execz .LBB309_437
; %bb.430:                              ;   in Loop: Header=BB309_290 Depth=1
	v_bfrev_b32_e32 v50, 1
	s_mov_b32 s24, exec_lo
	v_cmpx_ne_u16_e32 0x80, v16
	s_cbranch_execz .LBB309_436
; %bb.431:                              ;   in Loop: Header=BB309_290 Depth=1
	v_bfe_u32 v53, v24, 16, 7
	v_mov_b32_e32 v50, 0x7f800001
	s_mov_b32 s25, exec_lo
	s_delay_alu instid0(VALU_DEP_2)
	v_cmpx_ne_u32_e32 0x7f, v53
	s_cbranch_execz .LBB309_435
; %bb.432:                              ;   in Loop: Header=BB309_290 Depth=1
	v_dual_lshrrev_b32 v27, 3, v53 :: v_dual_bitop2_b32 v16, 7, v26 bitop3:0x40
	s_mov_b32 s36, exec_lo
	v_cmpx_gt_u32_e32 8, v53
; %bb.433:                              ;   in Loop: Header=BB309_290 Depth=1
	s_delay_alu instid0(VALU_DEP_2) | instskip(NEXT) | instid1(VALU_DEP_1)
	v_clz_i32_u32_e32 v27, v16
	v_min_u32_e32 v27, 32, v27
	s_delay_alu instid0(VALU_DEP_1) | instskip(NEXT) | instid1(VALU_DEP_1)
	v_subrev_nc_u32_e32 v50, 28, v27
	v_lshlrev_b64_e32 v[54:55], v50, v[16:17]
	s_delay_alu instid0(VALU_DEP_1)
	v_dual_sub_nc_u32 v27, 29, v27 :: v_dual_bitop2_b32 v16, 7, v54 bitop3:0x40
; %bb.434:                              ;   in Loop: Header=BB309_290 Depth=1
	s_or_b32 exec_lo, exec_lo, s36
	s_delay_alu instid0(VALU_DEP_1) | instskip(NEXT) | instid1(VALU_DEP_2)
	v_dual_lshlrev_b32 v26, 24, v26 :: v_dual_lshlrev_b32 v16, 20, v16
	v_lshl_add_u32 v27, v27, 23, 0x3c000000
	s_delay_alu instid0(VALU_DEP_2) | instskip(NEXT) | instid1(VALU_DEP_1)
	v_and_b32_e32 v26, 0x80000000, v26
	v_or3_b32 v50, v16, v26, v27
.LBB309_435:                            ;   in Loop: Header=BB309_290 Depth=1
	s_or_b32 exec_lo, exec_lo, s25
.LBB309_436:                            ;   in Loop: Header=BB309_290 Depth=1
	s_delay_alu instid0(SALU_CYCLE_1)
	s_or_b32 exec_lo, exec_lo, s24
.LBB309_437:                            ;   in Loop: Header=BB309_290 Depth=1
	s_delay_alu instid0(SALU_CYCLE_1) | instskip(NEXT) | instid1(SALU_CYCLE_1)
	s_or_b32 exec_lo, exec_lo, s23
	s_mov_b32 s23, exec_lo
	v_cmpx_lt_u32_e32 0xffffff, v24
	s_cbranch_execz .LBB309_445
; %bb.438:                              ;   in Loop: Header=BB309_290 Depth=1
	v_lshrrev_b32_e32 v26, 24, v24
	v_bfrev_b32_e32 v49, 1
	s_mov_b32 s24, exec_lo
	s_delay_alu instid0(VALU_DEP_2)
	v_cmpx_ne_u32_e32 0x80, v26
	s_cbranch_execz .LBB309_444
; %bb.439:                              ;   in Loop: Header=BB309_290 Depth=1
	v_bfe_u32 v53, v24, 24, 7
	v_mov_b32_e32 v49, 0x7f800001
	s_mov_b32 s25, exec_lo
	s_delay_alu instid0(VALU_DEP_2)
	v_cmpx_ne_u32_e32 0x7f, v53
	s_cbranch_execz .LBB309_443
; %bb.440:                              ;   in Loop: Header=BB309_290 Depth=1
	v_dual_lshrrev_b32 v27, 3, v53 :: v_dual_bitop2_b32 v16, 7, v26 bitop3:0x40
	s_mov_b32 s36, exec_lo
	v_cmpx_gt_u32_e32 8, v53
; %bb.441:                              ;   in Loop: Header=BB309_290 Depth=1
	s_delay_alu instid0(VALU_DEP_2) | instskip(NEXT) | instid1(VALU_DEP_1)
	v_clz_i32_u32_e32 v27, v16
	v_min_u32_e32 v27, 32, v27
	s_delay_alu instid0(VALU_DEP_1) | instskip(NEXT) | instid1(VALU_DEP_1)
	v_subrev_nc_u32_e32 v49, 28, v27
	v_lshlrev_b64_e32 v[54:55], v49, v[16:17]
	s_delay_alu instid0(VALU_DEP_1)
	v_dual_sub_nc_u32 v27, 29, v27 :: v_dual_bitop2_b32 v16, 7, v54 bitop3:0x40
; %bb.442:                              ;   in Loop: Header=BB309_290 Depth=1
	s_or_b32 exec_lo, exec_lo, s36
	s_delay_alu instid0(VALU_DEP_1) | instskip(NEXT) | instid1(VALU_DEP_2)
	v_dual_lshlrev_b32 v26, 24, v26 :: v_dual_lshlrev_b32 v16, 20, v16
	v_lshl_add_u32 v27, v27, 23, 0x3c000000
	s_delay_alu instid0(VALU_DEP_2) | instskip(NEXT) | instid1(VALU_DEP_1)
	v_and_b32_e32 v26, 0x80000000, v26
	v_or3_b32 v49, v16, v26, v27
.LBB309_443:                            ;   in Loop: Header=BB309_290 Depth=1
	s_or_b32 exec_lo, exec_lo, s25
.LBB309_444:                            ;   in Loop: Header=BB309_290 Depth=1
	s_delay_alu instid0(SALU_CYCLE_1)
	s_or_b32 exec_lo, exec_lo, s24
.LBB309_445:                            ;   in Loop: Header=BB309_290 Depth=1
	s_delay_alu instid0(SALU_CYCLE_1) | instskip(SKIP_4) | instid1(VALU_DEP_3)
	s_or_b32 exec_lo, exec_lo, s23
	v_and_b32_e32 v27, 0xff, v25
	v_dual_mov_b32 v16, v25 :: v_dual_mov_b32 v26, 0
	v_mov_b32_e32 v53, 0
	s_mov_b32 s23, exec_lo
	v_cmpx_ne_u16_e32 0, v27
	s_cbranch_execz .LBB309_451
; %bb.446:                              ;   in Loop: Header=BB309_290 Depth=1
	v_bfrev_b32_e32 v53, 1
	s_mov_b32 s24, exec_lo
	v_cmpx_ne_u16_e32 0x80, v27
	s_cbranch_execz .LBB309_450
; %bb.447:                              ;   in Loop: Header=BB309_290 Depth=1
	v_and_b32_e32 v27, 0x7f, v25
	v_mov_b32_e32 v53, 0x7f800001
	s_mov_b32 s25, exec_lo
	s_delay_alu instid0(VALU_DEP_2)
	v_cmpx_ne_u32_e32 0x7f, v27
	s_cbranch_execz .LBB309_449
; %bb.448:                              ;   in Loop: Header=BB309_290 Depth=1
	v_dual_lshrrev_b32 v54, 3, v27 :: v_dual_bitop2_b32 v53, 7, v25 bitop3:0x40
	v_cmp_gt_u32_e64 s1, 8, v27
	s_delay_alu instid0(VALU_DEP_2) | instskip(NEXT) | instid1(VALU_DEP_1)
	v_clz_i32_u32_e32 v53, v53
	v_min_u32_e32 v53, 32, v53
	s_delay_alu instid0(VALU_DEP_1) | instskip(SKIP_1) | instid1(VALU_DEP_1)
	v_subrev_nc_u32_e32 v55, 28, v53
	v_sub_nc_u32_e32 v53, 29, v53
	v_dual_cndmask_b32 v27, v54, v53, s1 :: v_dual_cndmask_b32 v53, 0, v55, s1
	s_delay_alu instid0(VALU_DEP_1) | instskip(NEXT) | instid1(VALU_DEP_2)
	v_lshl_add_u32 v27, v27, 23, 0x3c000000
	v_lshlrev_b64_e32 v[54:55], v53, v[16:17]
	v_lshlrev_b32_e32 v53, 24, v16
	s_delay_alu instid0(VALU_DEP_1) | instskip(NEXT) | instid1(VALU_DEP_3)
	v_and_b32_e32 v53, 0x80000000, v53
	v_lshlrev_b32_e32 v54, 20, v54
	s_delay_alu instid0(VALU_DEP_1) | instskip(NEXT) | instid1(VALU_DEP_1)
	v_and_b32_e32 v54, 0x700000, v54
	v_or3_b32 v53, v54, v53, v27
.LBB309_449:                            ;   in Loop: Header=BB309_290 Depth=1
	s_or_b32 exec_lo, exec_lo, s25
.LBB309_450:                            ;   in Loop: Header=BB309_290 Depth=1
	s_delay_alu instid0(SALU_CYCLE_1)
	s_or_b32 exec_lo, exec_lo, s24
.LBB309_451:                            ;   in Loop: Header=BB309_290 Depth=1
	s_delay_alu instid0(SALU_CYCLE_1) | instskip(SKIP_2) | instid1(VALU_DEP_1)
	s_or_b32 exec_lo, exec_lo, s23
	v_lshrrev_b16 v27, 8, v16
	s_mov_b32 s23, exec_lo
	v_cmpx_ne_u16_e32 0, v27
	s_cbranch_execz .LBB309_459
; %bb.452:                              ;   in Loop: Header=BB309_290 Depth=1
	v_bfrev_b32_e32 v26, 1
	s_mov_b32 s24, exec_lo
	v_cmpx_ne_u16_e32 0x80, v27
	s_cbranch_execz .LBB309_458
; %bb.453:                              ;   in Loop: Header=BB309_290 Depth=1
	v_and_b32_e32 v27, 0xffff, v27
	v_mov_b32_e32 v26, 0x7f800001
	s_mov_b32 s25, exec_lo
	s_delay_alu instid0(VALU_DEP_2) | instskip(NEXT) | instid1(VALU_DEP_1)
	v_and_b32_e32 v55, 0x7f, v27
	v_cmpx_ne_u32_e32 0x7f, v55
	s_cbranch_execz .LBB309_457
; %bb.454:                              ;   in Loop: Header=BB309_290 Depth=1
	v_dual_mov_b32 v27, v17 :: v_dual_bitop2_b32 v26, 7, v27 bitop3:0x40
	v_lshrrev_b32_e32 v54, 3, v55
	s_mov_b32 s36, exec_lo
	v_cmpx_gt_u32_e32 8, v55
; %bb.455:                              ;   in Loop: Header=BB309_290 Depth=1
	s_delay_alu instid0(VALU_DEP_3) | instskip(NEXT) | instid1(VALU_DEP_1)
	v_clz_i32_u32_e32 v54, v26
	v_min_u32_e32 v54, 32, v54
	s_delay_alu instid0(VALU_DEP_1) | instskip(SKIP_1) | instid1(VALU_DEP_2)
	v_subrev_nc_u32_e32 v55, 28, v54
	v_sub_nc_u32_e32 v54, 29, v54
	v_lshlrev_b64_e32 v[26:27], v55, v[26:27]
	s_delay_alu instid0(VALU_DEP_1)
	v_and_b32_e32 v26, 7, v26
; %bb.456:                              ;   in Loop: Header=BB309_290 Depth=1
	s_or_b32 exec_lo, exec_lo, s36
	s_delay_alu instid0(VALU_DEP_1) | instskip(SKIP_1) | instid1(VALU_DEP_2)
	v_dual_lshlrev_b32 v16, 16, v16 :: v_dual_lshlrev_b32 v26, 20, v26
	v_lshl_add_u32 v27, v54, 23, 0x3c000000
	v_and_b32_e32 v16, 0x80000000, v16
	s_delay_alu instid0(VALU_DEP_1)
	v_or3_b32 v26, v26, v16, v27
.LBB309_457:                            ;   in Loop: Header=BB309_290 Depth=1
	s_or_b32 exec_lo, exec_lo, s25
.LBB309_458:                            ;   in Loop: Header=BB309_290 Depth=1
	s_delay_alu instid0(SALU_CYCLE_1)
	s_or_b32 exec_lo, exec_lo, s24
.LBB309_459:                            ;   in Loop: Header=BB309_290 Depth=1
	s_delay_alu instid0(SALU_CYCLE_1) | instskip(SKIP_3) | instid1(VALU_DEP_2)
	s_or_b32 exec_lo, exec_lo, s23
	v_dual_mov_b32 v54, 0 :: v_dual_lshrrev_b32 v27, 16, v25
	v_mov_b32_e32 v55, 0
	s_mov_b32 s23, exec_lo
	v_and_b32_e32 v16, 0xff, v27
	s_delay_alu instid0(VALU_DEP_1)
	v_cmpx_ne_u16_e32 0, v16
	s_cbranch_execz .LBB309_467
; %bb.460:                              ;   in Loop: Header=BB309_290 Depth=1
	v_bfrev_b32_e32 v55, 1
	s_mov_b32 s24, exec_lo
	v_cmpx_ne_u16_e32 0x80, v16
	s_cbranch_execz .LBB309_466
; %bb.461:                              ;   in Loop: Header=BB309_290 Depth=1
	v_bfe_u32 v56, v25, 16, 7
	v_mov_b32_e32 v55, 0x7f800001
	s_mov_b32 s25, exec_lo
	s_delay_alu instid0(VALU_DEP_2)
	v_cmpx_ne_u32_e32 0x7f, v56
	s_cbranch_execz .LBB309_465
; %bb.462:                              ;   in Loop: Header=BB309_290 Depth=1
	v_dual_lshrrev_b32 v55, 3, v56 :: v_dual_bitop2_b32 v16, 7, v27 bitop3:0x40
	s_mov_b32 s36, exec_lo
	v_cmpx_gt_u32_e32 8, v56
; %bb.463:                              ;   in Loop: Header=BB309_290 Depth=1
	s_delay_alu instid0(VALU_DEP_2) | instskip(NEXT) | instid1(VALU_DEP_1)
	v_clz_i32_u32_e32 v55, v16
	v_min_u32_e32 v55, 32, v55
	s_delay_alu instid0(VALU_DEP_1) | instskip(NEXT) | instid1(VALU_DEP_1)
	v_subrev_nc_u32_e32 v56, 28, v55
	v_lshlrev_b64_e32 v[56:57], v56, v[16:17]
	s_delay_alu instid0(VALU_DEP_1)
	v_dual_sub_nc_u32 v55, 29, v55 :: v_dual_bitop2_b32 v16, 7, v56 bitop3:0x40
; %bb.464:                              ;   in Loop: Header=BB309_290 Depth=1
	s_or_b32 exec_lo, exec_lo, s36
	s_delay_alu instid0(VALU_DEP_1) | instskip(NEXT) | instid1(VALU_DEP_2)
	v_dual_lshlrev_b32 v27, 24, v27 :: v_dual_lshlrev_b32 v16, 20, v16
	v_lshl_add_u32 v55, v55, 23, 0x3c000000
	s_delay_alu instid0(VALU_DEP_2) | instskip(NEXT) | instid1(VALU_DEP_1)
	v_and_b32_e32 v27, 0x80000000, v27
	v_or3_b32 v55, v16, v27, v55
.LBB309_465:                            ;   in Loop: Header=BB309_290 Depth=1
	s_or_b32 exec_lo, exec_lo, s25
.LBB309_466:                            ;   in Loop: Header=BB309_290 Depth=1
	s_delay_alu instid0(SALU_CYCLE_1)
	s_or_b32 exec_lo, exec_lo, s24
.LBB309_467:                            ;   in Loop: Header=BB309_290 Depth=1
	s_delay_alu instid0(SALU_CYCLE_1) | instskip(NEXT) | instid1(SALU_CYCLE_1)
	s_or_b32 exec_lo, exec_lo, s23
	s_mov_b32 s23, exec_lo
	v_cmpx_lt_u64_e64 s[2:3], v[24:25]
	s_cbranch_execz .LBB309_475
; %bb.468:                              ;   in Loop: Header=BB309_290 Depth=1
	v_lshrrev_b32_e32 v24, 24, v25
	v_bfrev_b32_e32 v54, 1
	s_mov_b32 s24, exec_lo
	s_delay_alu instid0(VALU_DEP_2)
	v_cmpx_ne_u32_e32 0x80, v24
	s_cbranch_execz .LBB309_474
; %bb.469:                              ;   in Loop: Header=BB309_290 Depth=1
	v_bfe_u32 v27, v25, 24, 7
	v_mov_b32_e32 v54, 0x7f800001
	s_mov_b32 s25, exec_lo
	s_delay_alu instid0(VALU_DEP_2)
	v_cmpx_ne_u32_e32 0x7f, v27
	s_cbranch_execz .LBB309_473
; %bb.470:                              ;   in Loop: Header=BB309_290 Depth=1
	v_dual_lshrrev_b32 v25, 3, v27 :: v_dual_bitop2_b32 v16, 7, v24 bitop3:0x40
	s_mov_b32 s36, exec_lo
	v_cmpx_gt_u32_e32 8, v27
; %bb.471:                              ;   in Loop: Header=BB309_290 Depth=1
	s_delay_alu instid0(VALU_DEP_2) | instskip(NEXT) | instid1(VALU_DEP_1)
	v_clz_i32_u32_e32 v25, v16
	v_min_u32_e32 v25, 32, v25
	s_delay_alu instid0(VALU_DEP_1) | instskip(NEXT) | instid1(VALU_DEP_1)
	v_subrev_nc_u32_e32 v27, 28, v25
	v_lshlrev_b64_e32 v[56:57], v27, v[16:17]
	s_delay_alu instid0(VALU_DEP_1)
	v_dual_sub_nc_u32 v25, 29, v25 :: v_dual_bitop2_b32 v16, 7, v56 bitop3:0x40
; %bb.472:                              ;   in Loop: Header=BB309_290 Depth=1
	s_or_b32 exec_lo, exec_lo, s36
	v_lshlrev_b32_e32 v24, 24, v24
	s_delay_alu instid0(VALU_DEP_2) | instskip(NEXT) | instid1(VALU_DEP_3)
	v_lshlrev_b32_e32 v16, 20, v16
	v_lshl_add_u32 v25, v25, 23, 0x3c000000
	s_delay_alu instid0(VALU_DEP_3) | instskip(NEXT) | instid1(VALU_DEP_1)
	v_and_b32_e32 v24, 0x80000000, v24
	v_or3_b32 v54, v16, v24, v25
.LBB309_473:                            ;   in Loop: Header=BB309_290 Depth=1
	s_or_b32 exec_lo, exec_lo, s25
.LBB309_474:                            ;   in Loop: Header=BB309_290 Depth=1
	s_delay_alu instid0(SALU_CYCLE_1)
	s_or_b32 exec_lo, exec_lo, s24
.LBB309_475:                            ;   in Loop: Header=BB309_290 Depth=1
	s_delay_alu instid0(SALU_CYCLE_1)
	s_or_b32 exec_lo, exec_lo, s23
	v_fma_mixlo_bf16 v25, s22, v26, 0
	v_fma_mixlo_bf16 v27, s22, v53, 0
	;; [unrolled: 1-line block ×8, first 2 shown]
	s_and_saveexec_b32 s23, s0
	s_cbranch_execz .LBB309_477
; %bb.476:                              ;   in Loop: Header=BB309_290 Depth=1
	v_dual_add_nc_u32 v16, 1, v10 :: v_dual_add_nc_u32 v53, 2, v10
	v_cmp_gt_i32_e64 s1, s34, v10
	s_delay_alu instid0(VALU_DEP_1) | instskip(NEXT) | instid1(VALU_DEP_3)
	v_dual_add_nc_u32 v54, 3, v10 :: v_dual_cndmask_b32 v52, 0, v52, s1
	v_cmp_gt_i32_e64 s1, s34, v16
	s_delay_alu instid0(VALU_DEP_1) | instskip(SKIP_2) | instid1(VALU_DEP_2)
	v_cndmask_b32_e64 v51, 0, v51, s1
	v_cmp_gt_i32_e64 s1, s34, v53
	v_add_nc_u32_e32 v53, 5, v10
	v_cndmask_b32_e64 v50, 0, v50, s1
	v_cmp_gt_i32_e64 s1, s34, v54
	v_dual_add_nc_u32 v16, 4, v10 :: v_dual_add_nc_u32 v54, 6, v10
	s_delay_alu instid0(VALU_DEP_2) | instskip(NEXT) | instid1(VALU_DEP_2)
	v_cndmask_b32_e64 v49, 0, v49, s1
	v_cmp_gt_i32_e64 s1, s34, v16
	s_delay_alu instid0(VALU_DEP_1) | instskip(SKIP_1) | instid1(VALU_DEP_1)
	v_dual_add_nc_u32 v16, 7, v10 :: v_dual_cndmask_b32 v27, 0, v27, s1
	v_cmp_gt_i32_e64 s1, s34, v53
	v_cndmask_b32_e64 v25, 0, v25, s1
	v_cmp_gt_i32_e64 s1, s34, v54
	s_delay_alu instid0(VALU_DEP_1) | instskip(SKIP_1) | instid1(VALU_DEP_1)
	v_cndmask_b32_e64 v24, 0, v24, s1
	v_cmp_gt_i32_e64 s1, s34, v16
	v_cndmask_b32_e64 v26, 0, v26, s1
.LBB309_477:                            ;   in Loop: Header=BB309_290 Depth=1
	s_or_b32 exec_lo, exec_lo, s23
	s_wait_dscnt 0x1
	v_cvt_pk_bf16_f32 v53, v6, v7
	v_cvt_pk_bf16_f32 v7, v8, v9
	s_wait_dscnt 0x0
	v_cvt_pk_bf16_f32 v8, v2, v3
	v_cvt_pk_bf16_f32 v6, v4, v5
	s_and_saveexec_b32 s23, vcc_lo
	s_cbranch_execz .LBB309_288
; %bb.478:                              ;   in Loop: Header=BB309_290 Depth=1
	v_add_nc_u64_e32 v[2:3], v[22:23], v[18:19]
	v_dual_mov_b32 v22, 0 :: v_dual_mov_b32 v9, 0
	s_mov_b32 s24, exec_lo
	global_load_b64 v[2:3], v[2:3], off
	s_wait_loadcnt 0x0
	v_and_b32_e32 v4, 0xff, v2
	s_delay_alu instid0(VALU_DEP_1)
	v_cmpx_ne_u16_e32 0, v4
	s_cbranch_execz .LBB309_484
; %bb.479:                              ;   in Loop: Header=BB309_290 Depth=1
	v_bfrev_b32_e32 v9, 1
	s_mov_b32 s25, exec_lo
	v_cmpx_ne_u16_e32 0x80, v4
	s_cbranch_execz .LBB309_483
; %bb.480:                              ;   in Loop: Header=BB309_290 Depth=1
	v_and_b32_e32 v4, 0x7f, v2
	v_mov_b32_e32 v9, 0x7f800001
	s_mov_b32 s36, exec_lo
	s_delay_alu instid0(VALU_DEP_2)
	v_cmpx_ne_u32_e32 0x7f, v4
	s_cbranch_execz .LBB309_482
; %bb.481:                              ;   in Loop: Header=BB309_290 Depth=1
	v_dual_lshrrev_b32 v9, 3, v4 :: v_dual_bitop2_b32 v5, 7, v2 bitop3:0x40
	v_cmp_gt_u32_e64 s1, 8, v4
	s_delay_alu instid0(VALU_DEP_2) | instskip(NEXT) | instid1(VALU_DEP_1)
	v_clz_i32_u32_e32 v5, v5
	v_min_u32_e32 v5, 32, v5
	s_delay_alu instid0(VALU_DEP_1) | instskip(NEXT) | instid1(VALU_DEP_1)
	v_subrev_nc_u32_e32 v16, 28, v5
	v_dual_sub_nc_u32 v5, 29, v5 :: v_dual_cndmask_b32 v4, 0, v16, s1
	s_delay_alu instid0(VALU_DEP_1) | instskip(NEXT) | instid1(VALU_DEP_2)
	v_cndmask_b32_e64 v9, v9, v5, s1
	v_lshlrev_b64_e32 v[4:5], v4, v[2:3]
	v_lshlrev_b32_e32 v5, 24, v2
	s_delay_alu instid0(VALU_DEP_3) | instskip(NEXT) | instid1(VALU_DEP_2)
	v_lshl_add_u32 v9, v9, 23, 0x3c000000
	v_and_b32_e32 v5, 0x80000000, v5
	s_delay_alu instid0(VALU_DEP_4) | instskip(NEXT) | instid1(VALU_DEP_1)
	v_lshlrev_b32_e32 v4, 20, v4
	v_and_b32_e32 v4, 0x700000, v4
	s_delay_alu instid0(VALU_DEP_1)
	v_or3_b32 v9, v4, v5, v9
.LBB309_482:                            ;   in Loop: Header=BB309_290 Depth=1
	s_or_b32 exec_lo, exec_lo, s36
.LBB309_483:                            ;   in Loop: Header=BB309_290 Depth=1
	s_delay_alu instid0(SALU_CYCLE_1)
	s_or_b32 exec_lo, exec_lo, s25
.LBB309_484:                            ;   in Loop: Header=BB309_290 Depth=1
	s_delay_alu instid0(SALU_CYCLE_1) | instskip(SKIP_2) | instid1(VALU_DEP_1)
	s_or_b32 exec_lo, exec_lo, s24
	v_lshrrev_b16 v4, 8, v2
	s_mov_b32 s24, exec_lo
	v_cmpx_ne_u16_e32 0, v4
	s_cbranch_execz .LBB309_492
; %bb.485:                              ;   in Loop: Header=BB309_290 Depth=1
	v_bfrev_b32_e32 v22, 1
	s_mov_b32 s25, exec_lo
	v_cmpx_ne_u16_e32 0x80, v4
	s_cbranch_execz .LBB309_491
; %bb.486:                              ;   in Loop: Header=BB309_290 Depth=1
	v_and_b32_e32 v4, 0xffff, v4
	v_mov_b32_e32 v22, 0x7f800001
	s_mov_b32 s36, exec_lo
	s_delay_alu instid0(VALU_DEP_2) | instskip(NEXT) | instid1(VALU_DEP_1)
	v_and_b32_e32 v5, 0x7f, v4
	v_cmpx_ne_u32_e32 0x7f, v5
	s_cbranch_execz .LBB309_490
; %bb.487:                              ;   in Loop: Header=BB309_290 Depth=1
	v_dual_lshrrev_b32 v4, 3, v5 :: v_dual_bitop2_b32 v16, 7, v4 bitop3:0x40
	s_mov_b32 s37, exec_lo
	v_cmpx_gt_u32_e32 8, v5
; %bb.488:                              ;   in Loop: Header=BB309_290 Depth=1
	s_delay_alu instid0(VALU_DEP_2) | instskip(NEXT) | instid1(VALU_DEP_1)
	v_clz_i32_u32_e32 v4, v16
	v_min_u32_e32 v4, 32, v4
	s_delay_alu instid0(VALU_DEP_1) | instskip(NEXT) | instid1(VALU_DEP_1)
	v_subrev_nc_u32_e32 v5, 28, v4
	v_lshlrev_b64_e32 v[22:23], v5, v[16:17]
	s_delay_alu instid0(VALU_DEP_1)
	v_dual_sub_nc_u32 v4, 29, v4 :: v_dual_bitop2_b32 v16, 7, v22 bitop3:0x40
; %bb.489:                              ;   in Loop: Header=BB309_290 Depth=1
	s_or_b32 exec_lo, exec_lo, s37
	s_delay_alu instid0(VALU_DEP_1) | instskip(NEXT) | instid1(VALU_DEP_2)
	v_dual_lshlrev_b32 v5, 16, v2 :: v_dual_lshlrev_b32 v16, 20, v16
	v_lshl_add_u32 v4, v4, 23, 0x3c000000
	s_delay_alu instid0(VALU_DEP_2) | instskip(NEXT) | instid1(VALU_DEP_1)
	v_and_b32_e32 v5, 0x80000000, v5
	v_or3_b32 v22, v16, v5, v4
.LBB309_490:                            ;   in Loop: Header=BB309_290 Depth=1
	s_or_b32 exec_lo, exec_lo, s36
.LBB309_491:                            ;   in Loop: Header=BB309_290 Depth=1
	s_delay_alu instid0(SALU_CYCLE_1)
	s_or_b32 exec_lo, exec_lo, s25
.LBB309_492:                            ;   in Loop: Header=BB309_290 Depth=1
	s_delay_alu instid0(SALU_CYCLE_1) | instskip(SKIP_3) | instid1(VALU_DEP_2)
	s_or_b32 exec_lo, exec_lo, s24
	v_dual_lshrrev_b32 v4, 16, v2 :: v_dual_mov_b32 v54, 0
	v_mov_b32_e32 v23, 0
	s_mov_b32 s24, exec_lo
	v_and_b32_e32 v5, 0xff, v4
	s_delay_alu instid0(VALU_DEP_1)
	v_cmpx_ne_u16_e32 0, v5
	s_cbranch_execz .LBB309_500
; %bb.493:                              ;   in Loop: Header=BB309_290 Depth=1
	v_bfrev_b32_e32 v23, 1
	s_mov_b32 s25, exec_lo
	v_cmpx_ne_u16_e32 0x80, v5
	s_cbranch_execz .LBB309_499
; %bb.494:                              ;   in Loop: Header=BB309_290 Depth=1
	v_bfe_u32 v55, v2, 16, 7
	v_mov_b32_e32 v23, 0x7f800001
	s_mov_b32 s36, exec_lo
	s_delay_alu instid0(VALU_DEP_2)
	v_cmpx_ne_u32_e32 0x7f, v55
	s_cbranch_execz .LBB309_498
; %bb.495:                              ;   in Loop: Header=BB309_290 Depth=1
	v_dual_lshrrev_b32 v5, 3, v55 :: v_dual_bitop2_b32 v16, 7, v4 bitop3:0x40
	s_mov_b32 s37, exec_lo
	v_cmpx_gt_u32_e32 8, v55
; %bb.496:                              ;   in Loop: Header=BB309_290 Depth=1
	s_delay_alu instid0(VALU_DEP_2) | instskip(NEXT) | instid1(VALU_DEP_1)
	v_clz_i32_u32_e32 v5, v16
	v_min_u32_e32 v5, 32, v5
	s_delay_alu instid0(VALU_DEP_1) | instskip(NEXT) | instid1(VALU_DEP_1)
	v_subrev_nc_u32_e32 v23, 28, v5
	v_lshlrev_b64_e32 v[56:57], v23, v[16:17]
	s_delay_alu instid0(VALU_DEP_1)
	v_dual_sub_nc_u32 v5, 29, v5 :: v_dual_bitop2_b32 v16, 7, v56 bitop3:0x40
; %bb.497:                              ;   in Loop: Header=BB309_290 Depth=1
	s_or_b32 exec_lo, exec_lo, s37
	v_lshlrev_b32_e32 v4, 24, v4
	s_delay_alu instid0(VALU_DEP_2) | instskip(NEXT) | instid1(VALU_DEP_3)
	v_lshlrev_b32_e32 v16, 20, v16
	v_lshl_add_u32 v5, v5, 23, 0x3c000000
	s_delay_alu instid0(VALU_DEP_3) | instskip(NEXT) | instid1(VALU_DEP_1)
	v_and_b32_e32 v4, 0x80000000, v4
	v_or3_b32 v23, v16, v4, v5
.LBB309_498:                            ;   in Loop: Header=BB309_290 Depth=1
	s_or_b32 exec_lo, exec_lo, s36
.LBB309_499:                            ;   in Loop: Header=BB309_290 Depth=1
	s_delay_alu instid0(SALU_CYCLE_1)
	s_or_b32 exec_lo, exec_lo, s25
.LBB309_500:                            ;   in Loop: Header=BB309_290 Depth=1
	s_delay_alu instid0(SALU_CYCLE_1) | instskip(NEXT) | instid1(SALU_CYCLE_1)
	s_or_b32 exec_lo, exec_lo, s24
	s_mov_b32 s24, exec_lo
	v_cmpx_lt_u32_e32 0xffffff, v2
	s_cbranch_execz .LBB309_508
; %bb.501:                              ;   in Loop: Header=BB309_290 Depth=1
	v_lshrrev_b32_e32 v4, 24, v2
	v_bfrev_b32_e32 v54, 1
	s_mov_b32 s25, exec_lo
	s_delay_alu instid0(VALU_DEP_2)
	v_cmpx_ne_u32_e32 0x80, v4
	s_cbranch_execz .LBB309_507
; %bb.502:                              ;   in Loop: Header=BB309_290 Depth=1
	v_bfe_u32 v55, v2, 24, 7
	v_mov_b32_e32 v54, 0x7f800001
	s_mov_b32 s36, exec_lo
	s_delay_alu instid0(VALU_DEP_2)
	v_cmpx_ne_u32_e32 0x7f, v55
	s_cbranch_execz .LBB309_506
; %bb.503:                              ;   in Loop: Header=BB309_290 Depth=1
	v_dual_lshrrev_b32 v5, 3, v55 :: v_dual_bitop2_b32 v16, 7, v4 bitop3:0x40
	s_mov_b32 s37, exec_lo
	v_cmpx_gt_u32_e32 8, v55
; %bb.504:                              ;   in Loop: Header=BB309_290 Depth=1
	s_delay_alu instid0(VALU_DEP_2) | instskip(NEXT) | instid1(VALU_DEP_1)
	v_clz_i32_u32_e32 v5, v16
	v_min_u32_e32 v5, 32, v5
	s_delay_alu instid0(VALU_DEP_1) | instskip(NEXT) | instid1(VALU_DEP_1)
	v_subrev_nc_u32_e32 v54, 28, v5
	v_lshlrev_b64_e32 v[54:55], v54, v[16:17]
	s_delay_alu instid0(VALU_DEP_1)
	v_dual_sub_nc_u32 v5, 29, v5 :: v_dual_bitop2_b32 v16, 7, v54 bitop3:0x40
; %bb.505:                              ;   in Loop: Header=BB309_290 Depth=1
	s_or_b32 exec_lo, exec_lo, s37
	v_lshlrev_b32_e32 v4, 24, v4
	s_delay_alu instid0(VALU_DEP_2) | instskip(NEXT) | instid1(VALU_DEP_3)
	v_lshlrev_b32_e32 v16, 20, v16
	v_lshl_add_u32 v5, v5, 23, 0x3c000000
	s_delay_alu instid0(VALU_DEP_3) | instskip(NEXT) | instid1(VALU_DEP_1)
	v_and_b32_e32 v4, 0x80000000, v4
	v_or3_b32 v54, v16, v4, v5
.LBB309_506:                            ;   in Loop: Header=BB309_290 Depth=1
	s_or_b32 exec_lo, exec_lo, s36
.LBB309_507:                            ;   in Loop: Header=BB309_290 Depth=1
	s_delay_alu instid0(SALU_CYCLE_1)
	s_or_b32 exec_lo, exec_lo, s25
.LBB309_508:                            ;   in Loop: Header=BB309_290 Depth=1
	s_delay_alu instid0(SALU_CYCLE_1) | instskip(SKIP_4) | instid1(VALU_DEP_3)
	s_or_b32 exec_lo, exec_lo, s24
	v_and_b32_e32 v5, 0xff, v3
	v_dual_mov_b32 v16, v3 :: v_dual_mov_b32 v4, 0
	v_mov_b32_e32 v55, 0
	s_mov_b32 s24, exec_lo
	v_cmpx_ne_u16_e32 0, v5
	s_cbranch_execz .LBB309_514
; %bb.509:                              ;   in Loop: Header=BB309_290 Depth=1
	v_bfrev_b32_e32 v55, 1
	s_mov_b32 s25, exec_lo
	v_cmpx_ne_u16_e32 0x80, v5
	s_cbranch_execz .LBB309_513
; %bb.510:                              ;   in Loop: Header=BB309_290 Depth=1
	v_and_b32_e32 v5, 0x7f, v3
	v_mov_b32_e32 v55, 0x7f800001
	s_mov_b32 s36, exec_lo
	s_delay_alu instid0(VALU_DEP_2)
	v_cmpx_ne_u32_e32 0x7f, v5
	s_cbranch_execz .LBB309_512
; %bb.511:                              ;   in Loop: Header=BB309_290 Depth=1
	v_dual_lshrrev_b32 v56, 3, v5 :: v_dual_bitop2_b32 v55, 7, v3 bitop3:0x40
	v_cmp_gt_u32_e64 s1, 8, v5
	s_delay_alu instid0(VALU_DEP_2) | instskip(NEXT) | instid1(VALU_DEP_1)
	v_clz_i32_u32_e32 v55, v55
	v_min_u32_e32 v55, 32, v55
	s_delay_alu instid0(VALU_DEP_1) | instskip(SKIP_1) | instid1(VALU_DEP_1)
	v_subrev_nc_u32_e32 v57, 28, v55
	v_sub_nc_u32_e32 v55, 29, v55
	v_dual_cndmask_b32 v5, v56, v55, s1 :: v_dual_cndmask_b32 v55, 0, v57, s1
	s_delay_alu instid0(VALU_DEP_1) | instskip(NEXT) | instid1(VALU_DEP_2)
	v_lshl_add_u32 v5, v5, 23, 0x3c000000
	v_lshlrev_b64_e32 v[56:57], v55, v[16:17]
	v_lshlrev_b32_e32 v55, 24, v16
	s_delay_alu instid0(VALU_DEP_1) | instskip(NEXT) | instid1(VALU_DEP_3)
	v_and_b32_e32 v55, 0x80000000, v55
	v_lshlrev_b32_e32 v56, 20, v56
	s_delay_alu instid0(VALU_DEP_1) | instskip(NEXT) | instid1(VALU_DEP_1)
	v_and_b32_e32 v56, 0x700000, v56
	v_or3_b32 v55, v56, v55, v5
.LBB309_512:                            ;   in Loop: Header=BB309_290 Depth=1
	s_or_b32 exec_lo, exec_lo, s36
.LBB309_513:                            ;   in Loop: Header=BB309_290 Depth=1
	s_delay_alu instid0(SALU_CYCLE_1)
	s_or_b32 exec_lo, exec_lo, s25
.LBB309_514:                            ;   in Loop: Header=BB309_290 Depth=1
	s_delay_alu instid0(SALU_CYCLE_1) | instskip(SKIP_2) | instid1(VALU_DEP_1)
	s_or_b32 exec_lo, exec_lo, s24
	v_lshrrev_b16 v5, 8, v16
	s_mov_b32 s24, exec_lo
	v_cmpx_ne_u16_e32 0, v5
	s_cbranch_execz .LBB309_522
; %bb.515:                              ;   in Loop: Header=BB309_290 Depth=1
	v_bfrev_b32_e32 v4, 1
	s_mov_b32 s25, exec_lo
	v_cmpx_ne_u16_e32 0x80, v5
	s_cbranch_execz .LBB309_521
; %bb.516:                              ;   in Loop: Header=BB309_290 Depth=1
	v_and_b32_e32 v5, 0xffff, v5
	v_mov_b32_e32 v4, 0x7f800001
	s_mov_b32 s36, exec_lo
	s_delay_alu instid0(VALU_DEP_2) | instskip(NEXT) | instid1(VALU_DEP_1)
	v_and_b32_e32 v57, 0x7f, v5
	v_cmpx_ne_u32_e32 0x7f, v57
	s_cbranch_execz .LBB309_520
; %bb.517:                              ;   in Loop: Header=BB309_290 Depth=1
	v_dual_mov_b32 v5, v17 :: v_dual_bitop2_b32 v4, 7, v5 bitop3:0x40
	v_lshrrev_b32_e32 v56, 3, v57
	s_mov_b32 s37, exec_lo
	v_cmpx_gt_u32_e32 8, v57
; %bb.518:                              ;   in Loop: Header=BB309_290 Depth=1
	s_delay_alu instid0(VALU_DEP_3) | instskip(NEXT) | instid1(VALU_DEP_1)
	v_clz_i32_u32_e32 v56, v4
	v_min_u32_e32 v56, 32, v56
	s_delay_alu instid0(VALU_DEP_1) | instskip(SKIP_1) | instid1(VALU_DEP_2)
	v_subrev_nc_u32_e32 v57, 28, v56
	v_sub_nc_u32_e32 v56, 29, v56
	v_lshlrev_b64_e32 v[4:5], v57, v[4:5]
	s_delay_alu instid0(VALU_DEP_1)
	v_and_b32_e32 v4, 7, v4
; %bb.519:                              ;   in Loop: Header=BB309_290 Depth=1
	s_or_b32 exec_lo, exec_lo, s37
	v_lshlrev_b32_e32 v5, 16, v16
	s_delay_alu instid0(VALU_DEP_2) | instskip(SKIP_1) | instid1(VALU_DEP_3)
	v_lshlrev_b32_e32 v4, 20, v4
	v_lshl_add_u32 v16, v56, 23, 0x3c000000
	v_and_b32_e32 v5, 0x80000000, v5
	s_delay_alu instid0(VALU_DEP_1)
	v_or3_b32 v4, v4, v5, v16
.LBB309_520:                            ;   in Loop: Header=BB309_290 Depth=1
	s_or_b32 exec_lo, exec_lo, s36
.LBB309_521:                            ;   in Loop: Header=BB309_290 Depth=1
	s_delay_alu instid0(SALU_CYCLE_1)
	s_or_b32 exec_lo, exec_lo, s25
.LBB309_522:                            ;   in Loop: Header=BB309_290 Depth=1
	s_delay_alu instid0(SALU_CYCLE_1) | instskip(SKIP_3) | instid1(VALU_DEP_2)
	s_or_b32 exec_lo, exec_lo, s24
	v_dual_lshrrev_b32 v57, 16, v3 :: v_dual_mov_b32 v5, 0
	v_mov_b32_e32 v56, 0
	s_mov_b32 s24, exec_lo
	v_and_b32_e32 v16, 0xff, v57
	s_delay_alu instid0(VALU_DEP_1)
	v_cmpx_ne_u16_e32 0, v16
	s_cbranch_execz .LBB309_530
; %bb.523:                              ;   in Loop: Header=BB309_290 Depth=1
	v_bfrev_b32_e32 v56, 1
	s_mov_b32 s25, exec_lo
	v_cmpx_ne_u16_e32 0x80, v16
	s_cbranch_execz .LBB309_529
; %bb.524:                              ;   in Loop: Header=BB309_290 Depth=1
	v_bfe_u32 v58, v3, 16, 7
	v_mov_b32_e32 v56, 0x7f800001
	s_mov_b32 s36, exec_lo
	s_delay_alu instid0(VALU_DEP_2)
	v_cmpx_ne_u32_e32 0x7f, v58
	s_cbranch_execz .LBB309_528
; %bb.525:                              ;   in Loop: Header=BB309_290 Depth=1
	v_dual_lshrrev_b32 v56, 3, v58 :: v_dual_bitop2_b32 v16, 7, v57 bitop3:0x40
	s_mov_b32 s37, exec_lo
	v_cmpx_gt_u32_e32 8, v58
; %bb.526:                              ;   in Loop: Header=BB309_290 Depth=1
	s_delay_alu instid0(VALU_DEP_2) | instskip(NEXT) | instid1(VALU_DEP_1)
	v_clz_i32_u32_e32 v56, v16
	v_min_u32_e32 v56, 32, v56
	s_delay_alu instid0(VALU_DEP_1) | instskip(NEXT) | instid1(VALU_DEP_1)
	v_subrev_nc_u32_e32 v58, 28, v56
	v_lshlrev_b64_e32 v[58:59], v58, v[16:17]
	s_delay_alu instid0(VALU_DEP_1)
	v_dual_sub_nc_u32 v56, 29, v56 :: v_dual_bitop2_b32 v16, 7, v58 bitop3:0x40
; %bb.527:                              ;   in Loop: Header=BB309_290 Depth=1
	s_or_b32 exec_lo, exec_lo, s37
	s_delay_alu instid0(VALU_DEP_1) | instskip(NEXT) | instid1(VALU_DEP_2)
	v_dual_lshlrev_b32 v57, 24, v57 :: v_dual_lshlrev_b32 v16, 20, v16
	v_lshl_add_u32 v56, v56, 23, 0x3c000000
	s_delay_alu instid0(VALU_DEP_2) | instskip(NEXT) | instid1(VALU_DEP_1)
	v_and_b32_e32 v57, 0x80000000, v57
	v_or3_b32 v56, v16, v57, v56
.LBB309_528:                            ;   in Loop: Header=BB309_290 Depth=1
	s_or_b32 exec_lo, exec_lo, s36
.LBB309_529:                            ;   in Loop: Header=BB309_290 Depth=1
	s_delay_alu instid0(SALU_CYCLE_1)
	s_or_b32 exec_lo, exec_lo, s25
.LBB309_530:                            ;   in Loop: Header=BB309_290 Depth=1
	s_delay_alu instid0(SALU_CYCLE_1) | instskip(NEXT) | instid1(SALU_CYCLE_1)
	s_or_b32 exec_lo, exec_lo, s24
	s_mov_b32 s24, exec_lo
	v_cmpx_lt_u64_e64 s[2:3], v[2:3]
	s_cbranch_execz .LBB309_538
; %bb.531:                              ;   in Loop: Header=BB309_290 Depth=1
	v_lshrrev_b32_e32 v2, 24, v3
	v_bfrev_b32_e32 v5, 1
	s_mov_b32 s25, exec_lo
	s_delay_alu instid0(VALU_DEP_2)
	v_cmpx_ne_u32_e32 0x80, v2
	s_cbranch_execz .LBB309_537
; %bb.532:                              ;   in Loop: Header=BB309_290 Depth=1
	v_bfe_u32 v57, v3, 24, 7
	v_mov_b32_e32 v5, 0x7f800001
	s_mov_b32 s36, exec_lo
	s_delay_alu instid0(VALU_DEP_2)
	v_cmpx_ne_u32_e32 0x7f, v57
	s_cbranch_execz .LBB309_536
; %bb.533:                              ;   in Loop: Header=BB309_290 Depth=1
	v_dual_lshrrev_b32 v3, 3, v57 :: v_dual_bitop2_b32 v16, 7, v2 bitop3:0x40
	s_mov_b32 s37, exec_lo
	v_cmpx_gt_u32_e32 8, v57
; %bb.534:                              ;   in Loop: Header=BB309_290 Depth=1
	s_delay_alu instid0(VALU_DEP_2) | instskip(NEXT) | instid1(VALU_DEP_1)
	v_clz_i32_u32_e32 v3, v16
	v_min_u32_e32 v3, 32, v3
	s_delay_alu instid0(VALU_DEP_1) | instskip(NEXT) | instid1(VALU_DEP_1)
	v_subrev_nc_u32_e32 v5, 28, v3
	v_lshlrev_b64_e32 v[58:59], v5, v[16:17]
	s_delay_alu instid0(VALU_DEP_1)
	v_dual_sub_nc_u32 v3, 29, v3 :: v_dual_bitop2_b32 v16, 7, v58 bitop3:0x40
; %bb.535:                              ;   in Loop: Header=BB309_290 Depth=1
	s_or_b32 exec_lo, exec_lo, s37
	s_delay_alu instid0(VALU_DEP_1) | instskip(NEXT) | instid1(VALU_DEP_2)
	v_dual_lshlrev_b32 v2, 24, v2 :: v_dual_lshlrev_b32 v5, 20, v16
	v_lshl_add_u32 v3, v3, 23, 0x3c000000
	s_delay_alu instid0(VALU_DEP_2) | instskip(NEXT) | instid1(VALU_DEP_1)
	v_and_b32_e32 v2, 0x80000000, v2
	v_or3_b32 v5, v5, v2, v3
.LBB309_536:                            ;   in Loop: Header=BB309_290 Depth=1
	s_or_b32 exec_lo, exec_lo, s36
.LBB309_537:                            ;   in Loop: Header=BB309_290 Depth=1
	s_delay_alu instid0(SALU_CYCLE_1)
	s_or_b32 exec_lo, exec_lo, s25
.LBB309_538:                            ;   in Loop: Header=BB309_290 Depth=1
	s_delay_alu instid0(SALU_CYCLE_1)
	s_or_b32 exec_lo, exec_lo, s24
	v_fma_mixlo_bf16 v2, s22, v4, 0
	v_fma_mixlo_bf16 v3, s22, v55, 0
	;; [unrolled: 1-line block ×8, first 2 shown]
	s_and_saveexec_b32 s1, s0
	s_cbranch_execz .LBB309_287
; %bb.539:                              ;   in Loop: Header=BB309_290 Depth=1
	v_dual_add_nc_u32 v54, 1, v10 :: v_dual_add_nc_u32 v55, 2, v10
	v_cmp_gt_i32_e64 s0, s34, v10
	s_delay_alu instid0(VALU_DEP_1) | instskip(NEXT) | instid1(VALU_DEP_3)
	v_dual_add_nc_u32 v56, 3, v10 :: v_dual_cndmask_b32 v9, 0, v9, s0
	v_cmp_gt_i32_e64 s0, s34, v54
	s_delay_alu instid0(VALU_DEP_1) | instskip(SKIP_1) | instid1(VALU_DEP_1)
	v_cndmask_b32_e64 v22, 0, v22, s0
	v_cmp_gt_i32_e64 s0, s34, v55
	v_dual_add_nc_u32 v55, 5, v10 :: v_dual_cndmask_b32 v23, 0, v23, s0
	v_cmp_gt_i32_e64 s0, s34, v56
	v_dual_add_nc_u32 v54, 4, v10 :: v_dual_add_nc_u32 v56, 6, v10
	s_delay_alu instid0(VALU_DEP_2) | instskip(NEXT) | instid1(VALU_DEP_2)
	v_cndmask_b32_e64 v16, 0, v16, s0
	v_cmp_gt_i32_e64 s0, s34, v54
	s_delay_alu instid0(VALU_DEP_1) | instskip(SKIP_1) | instid1(VALU_DEP_1)
	v_dual_add_nc_u32 v54, 7, v10 :: v_dual_cndmask_b32 v3, 0, v3, s0
	v_cmp_gt_i32_e64 s0, s34, v55
	v_cndmask_b32_e64 v2, 0, v2, s0
	v_cmp_gt_i32_e64 s0, s34, v56
	s_delay_alu instid0(VALU_DEP_1) | instskip(SKIP_1) | instid1(VALU_DEP_1)
	v_cndmask_b32_e64 v4, 0, v4, s0
	v_cmp_gt_i32_e64 s0, s34, v54
	v_cndmask_b32_e64 v5, 0, v5, s0
	s_branch .LBB309_287
.LBB309_540:
	s_or_b32 exec_lo, exec_lo, s18
.LBB309_541:
	s_delay_alu instid0(SALU_CYCLE_1)
	s_or_b32 exec_lo, exec_lo, s27
	s_movk_i32 s0, 0x1e0
	v_and_b32_e32 v2, 0x3c0, v0
	v_mad_u32_u24 v6, v1, s0, 0x110
	v_or_b32_e32 v1, 0x60, v0
	s_mov_b32 s0, exec_lo
	s_barrier_signal -1
	s_barrier_wait -1
	v_cmpx_eq_u32_e32 64, v2
	s_cbranch_execz .LBB309_544
; %bb.542:
	v_add_nc_u32_e32 v2, 0xfffffc40, v6
	v_cmp_gt_u32_e32 vcc_lo, 0x78, v1
	s_delay_alu instid0(VALU_DEP_2)
	v_lshl_add_u32 v3, v30, 2, v2
	ds_store_2addr_b32 v3, v12, v13 offset1:32
	ds_store_b32 v3, v32 offset:256
	s_and_b32 exec_lo, exec_lo, vcc_lo
; %bb.543:
	v_lshl_add_u32 v2, v1, 2, v2
	ds_store_b32 v2, v33
.LBB309_544:
	s_or_b32 exec_lo, exec_lo, s0
	v_lshl_add_u32 v7, v30, 2, v6
	s_mov_b32 s0, exec_lo
	s_wait_dscnt 0x0
	s_barrier_signal -1
	s_barrier_wait -1
	v_cmpx_gt_u32_e32 64, v0
	s_cbranch_execz .LBB309_548
; %bb.545:
	v_lshl_or_b32 v4, v0, 2, 0x80
	ds_load_2addr_stride64_b32 v[2:3], v7 offset1:1
	s_mov_b32 s1, exec_lo
	v_add_nc_u32_e32 v4, v6, v4
	ds_load_b32 v5, v4
	s_wait_dscnt 0x1
	v_mov_b32_e32 v4, v2
	v_cmpx_gt_u32_e32 0x78, v1
	s_cbranch_execz .LBB309_547
; %bb.546:
	v_lshl_add_u32 v2, v1, 2, v6
	ds_load_b32 v2, v2
	s_wait_dscnt 0x0
	v_add_f32_e32 v33, v33, v2
.LBB309_547:
	s_or_b32 exec_lo, exec_lo, s1
	s_wait_dscnt 0x0
	v_pk_add_f32 v[12:13], v[12:13], v[4:5]
	v_add_f32_e32 v32, v32, v3
.LBB309_548:
	s_or_b32 exec_lo, exec_lo, s0
	v_and_b32_e32 v2, 0x3e0, v0
	s_mov_b32 s0, exec_lo
	s_barrier_signal -1
	s_barrier_wait -1
	s_delay_alu instid0(VALU_DEP_1)
	v_cmpx_eq_u32_e32 32, v2
	s_cbranch_execz .LBB309_551
; %bb.549:
	v_lshl_add_u32 v2, v30, 2, 0x110
	v_cmp_gt_u32_e32 vcc_lo, 0x78, v1
	ds_store_b32 v2, v12
	ds_store_b32 v31, v13
	ds_store_b32 v2, v32 offset:256
	s_and_b32 exec_lo, exec_lo, vcc_lo
; %bb.550:
	v_lshl_add_u32 v2, v1, 2, 0x110
	ds_store_b32 v2, v33
.LBB309_551:
	s_or_b32 exec_lo, exec_lo, s0
	v_cmp_gt_u32_e32 vcc_lo, 32, v0
	s_wait_dscnt 0x0
	s_barrier_signal -1
	s_barrier_wait -1
	s_and_saveexec_b32 s1, vcc_lo
	s_cbranch_execz .LBB309_555
; %bb.552:
	v_lshl_add_u32 v6, v0, 2, v6
	s_mov_b32 s2, exec_lo
	ds_load_2addr_b32 v[2:3], v6 offset0:32 offset1:64
	ds_load_b32 v4, v7
	s_wait_dscnt 0x1
	v_mov_b32_e32 v5, v2
	v_cmpx_gt_u32_e32 0x78, v1
	s_cbranch_execz .LBB309_554
; %bb.553:
	ds_load_b32 v2, v6 offset:384
	s_wait_dscnt 0x0
	v_add_f32_e32 v33, v33, v2
.LBB309_554:
	s_or_b32 exec_lo, exec_lo, s2
	s_wait_dscnt 0x0
	v_pk_add_f32 v[12:13], v[12:13], v[4:5]
	v_add_f32_e32 v32, v32, v3
.LBB309_555:
	s_or_b32 exec_lo, exec_lo, s1
	s_barrier_signal -1
	s_barrier_wait -1
	s_and_saveexec_b32 s0, vcc_lo
	s_cbranch_execz .LBB309_558
; %bb.556:
	s_mul_i32 s1, s33, s7
	s_mul_i32 s0, s7, s6
	;; [unrolled: 1-line block ×3, first 2 shown]
	s_bfe_u32 s7, ttmp6, 0x40014
	s_mul_i32 s2, s1, 0x78
	s_lshr_b32 s6, ttmp7, 16
	s_ashr_i32 s3, s2, 31
	s_add_co_i32 s7, s7, 1
	s_lshl_b64 s[2:3], s[2:3], 1
	s_ashr_i32 s1, s0, 31
	s_wait_kmcnt 0x0
	s_add_nc_u64 s[2:3], s[4:5], s[2:3]
	s_mul_i32 s4, s6, s7
	s_bfe_u32 s5, ttmp6, 0x40008
	s_lshl_b64 s[0:1], s[0:1], 1
	s_add_co_i32 s5, s5, s4
	s_cmp_eq_u32 s30, 0
	s_add_nc_u64 s[0:1], s[2:3], s[0:1]
	s_cselect_b32 s2, s6, s5
	s_mov_b32 s3, 0
	s_mulk_i32 s2, 0xf0
	v_cmp_gt_u32_e32 vcc_lo, 0x78, v1
	s_add_nc_u64 s[0:1], s[0:1], s[2:3]
	s_delay_alu instid0(SALU_CYCLE_1)
	v_cvt_pk_bf16_f32 v2, v12, s0
	v_cvt_pk_bf16_f32 v3, v13, s0
	;; [unrolled: 1-line block ×3, first 2 shown]
	s_clause 0x2
	global_store_b16 v0, v2, s[0:1] scale_offset
	global_store_b16 v0, v3, s[0:1] offset:64 scale_offset
	global_store_b16 v0, v4, s[0:1] offset:128 scale_offset
	s_wait_xcnt 0x0
	s_and_b32 exec_lo, exec_lo, vcc_lo
	s_cbranch_execz .LBB309_558
; %bb.557:
	v_dual_mov_b32 v1, 0 :: v_dual_lshlrev_b32 v0, 1, v0
	v_cvt_pk_bf16_f32 v2, v33, s0
	s_delay_alu instid0(VALU_DEP_2)
	v_add_nc_u64_e32 v[0:1], s[0:1], v[0:1]
	global_store_b16 v[0:1], v2, off offset:192
.LBB309_558:
	s_sendmsg sendmsg(MSG_DEALLOC_VGPRS)
	s_endpgm
	.section	.rodata,"a",@progbits
	.p2align	6, 0x0
	.amdhsa_kernel _ZN4vllm25paged_attention_v1_kernelI14__hip_bfloat16hLi120ELi8ELi128ELNS_18Fp8KVCacheDataTypeE1ELb1EEEvPT_PKS3_PKT0_S9_ifPKiSB_iPKfiiiSD_SD_iiiii
		.amdhsa_group_segment_fixed_size 272
		.amdhsa_private_segment_fixed_size 0
		.amdhsa_kernarg_size 384
		.amdhsa_user_sgpr_count 2
		.amdhsa_user_sgpr_dispatch_ptr 0
		.amdhsa_user_sgpr_queue_ptr 0
		.amdhsa_user_sgpr_kernarg_segment_ptr 1
		.amdhsa_user_sgpr_dispatch_id 0
		.amdhsa_user_sgpr_kernarg_preload_length 0
		.amdhsa_user_sgpr_kernarg_preload_offset 0
		.amdhsa_user_sgpr_private_segment_size 0
		.amdhsa_wavefront_size32 1
		.amdhsa_uses_dynamic_stack 0
		.amdhsa_enable_private_segment 0
		.amdhsa_system_sgpr_workgroup_id_x 1
		.amdhsa_system_sgpr_workgroup_id_y 1
		.amdhsa_system_sgpr_workgroup_id_z 1
		.amdhsa_system_sgpr_workgroup_info 0
		.amdhsa_system_vgpr_workitem_id 0
		.amdhsa_next_free_vgpr 68
		.amdhsa_next_free_sgpr 46
		.amdhsa_named_barrier_count 0
		.amdhsa_reserve_vcc 1
		.amdhsa_float_round_mode_32 0
		.amdhsa_float_round_mode_16_64 0
		.amdhsa_float_denorm_mode_32 3
		.amdhsa_float_denorm_mode_16_64 3
		.amdhsa_fp16_overflow 0
		.amdhsa_memory_ordered 1
		.amdhsa_forward_progress 1
		.amdhsa_inst_pref_size 165
		.amdhsa_round_robin_scheduling 0
		.amdhsa_exception_fp_ieee_invalid_op 0
		.amdhsa_exception_fp_denorm_src 0
		.amdhsa_exception_fp_ieee_div_zero 0
		.amdhsa_exception_fp_ieee_overflow 0
		.amdhsa_exception_fp_ieee_underflow 0
		.amdhsa_exception_fp_ieee_inexact 0
		.amdhsa_exception_int_div_zero 0
	.end_amdhsa_kernel
	.section	.text._ZN4vllm25paged_attention_v1_kernelI14__hip_bfloat16hLi120ELi8ELi128ELNS_18Fp8KVCacheDataTypeE1ELb1EEEvPT_PKS3_PKT0_S9_ifPKiSB_iPKfiiiSD_SD_iiiii,"axG",@progbits,_ZN4vllm25paged_attention_v1_kernelI14__hip_bfloat16hLi120ELi8ELi128ELNS_18Fp8KVCacheDataTypeE1ELb1EEEvPT_PKS3_PKT0_S9_ifPKiSB_iPKfiiiSD_SD_iiiii,comdat
.Lfunc_end309:
	.size	_ZN4vllm25paged_attention_v1_kernelI14__hip_bfloat16hLi120ELi8ELi128ELNS_18Fp8KVCacheDataTypeE1ELb1EEEvPT_PKS3_PKT0_S9_ifPKiSB_iPKfiiiSD_SD_iiiii, .Lfunc_end309-_ZN4vllm25paged_attention_v1_kernelI14__hip_bfloat16hLi120ELi8ELi128ELNS_18Fp8KVCacheDataTypeE1ELb1EEEvPT_PKS3_PKT0_S9_ifPKiSB_iPKfiiiSD_SD_iiiii
                                        ; -- End function
	.set _ZN4vllm25paged_attention_v1_kernelI14__hip_bfloat16hLi120ELi8ELi128ELNS_18Fp8KVCacheDataTypeE1ELb1EEEvPT_PKS3_PKT0_S9_ifPKiSB_iPKfiiiSD_SD_iiiii.num_vgpr, 68
	.set _ZN4vllm25paged_attention_v1_kernelI14__hip_bfloat16hLi120ELi8ELi128ELNS_18Fp8KVCacheDataTypeE1ELb1EEEvPT_PKS3_PKT0_S9_ifPKiSB_iPKfiiiSD_SD_iiiii.num_agpr, 0
	.set _ZN4vllm25paged_attention_v1_kernelI14__hip_bfloat16hLi120ELi8ELi128ELNS_18Fp8KVCacheDataTypeE1ELb1EEEvPT_PKS3_PKT0_S9_ifPKiSB_iPKfiiiSD_SD_iiiii.numbered_sgpr, 46
	.set _ZN4vllm25paged_attention_v1_kernelI14__hip_bfloat16hLi120ELi8ELi128ELNS_18Fp8KVCacheDataTypeE1ELb1EEEvPT_PKS3_PKT0_S9_ifPKiSB_iPKfiiiSD_SD_iiiii.num_named_barrier, 0
	.set _ZN4vllm25paged_attention_v1_kernelI14__hip_bfloat16hLi120ELi8ELi128ELNS_18Fp8KVCacheDataTypeE1ELb1EEEvPT_PKS3_PKT0_S9_ifPKiSB_iPKfiiiSD_SD_iiiii.private_seg_size, 0
	.set _ZN4vllm25paged_attention_v1_kernelI14__hip_bfloat16hLi120ELi8ELi128ELNS_18Fp8KVCacheDataTypeE1ELb1EEEvPT_PKS3_PKT0_S9_ifPKiSB_iPKfiiiSD_SD_iiiii.uses_vcc, 1
	.set _ZN4vllm25paged_attention_v1_kernelI14__hip_bfloat16hLi120ELi8ELi128ELNS_18Fp8KVCacheDataTypeE1ELb1EEEvPT_PKS3_PKT0_S9_ifPKiSB_iPKfiiiSD_SD_iiiii.uses_flat_scratch, 0
	.set _ZN4vllm25paged_attention_v1_kernelI14__hip_bfloat16hLi120ELi8ELi128ELNS_18Fp8KVCacheDataTypeE1ELb1EEEvPT_PKS3_PKT0_S9_ifPKiSB_iPKfiiiSD_SD_iiiii.has_dyn_sized_stack, 0
	.set _ZN4vllm25paged_attention_v1_kernelI14__hip_bfloat16hLi120ELi8ELi128ELNS_18Fp8KVCacheDataTypeE1ELb1EEEvPT_PKS3_PKT0_S9_ifPKiSB_iPKfiiiSD_SD_iiiii.has_recursion, 0
	.set _ZN4vllm25paged_attention_v1_kernelI14__hip_bfloat16hLi120ELi8ELi128ELNS_18Fp8KVCacheDataTypeE1ELb1EEEvPT_PKS3_PKT0_S9_ifPKiSB_iPKfiiiSD_SD_iiiii.has_indirect_call, 0
	.section	.AMDGPU.csdata,"",@progbits
; Kernel info:
; codeLenInByte = 21036
; TotalNumSgprs: 48
; NumVgprs: 68
; ScratchSize: 0
; MemoryBound: 0
; FloatMode: 240
; IeeeMode: 1
; LDSByteSize: 272 bytes/workgroup (compile time only)
; SGPRBlocks: 0
; VGPRBlocks: 4
; NumSGPRsForWavesPerEU: 48
; NumVGPRsForWavesPerEU: 68
; NamedBarCnt: 0
; Occupancy: 12
; WaveLimiterHint : 1
; COMPUTE_PGM_RSRC2:SCRATCH_EN: 0
; COMPUTE_PGM_RSRC2:USER_SGPR: 2
; COMPUTE_PGM_RSRC2:TRAP_HANDLER: 0
; COMPUTE_PGM_RSRC2:TGID_X_EN: 1
; COMPUTE_PGM_RSRC2:TGID_Y_EN: 1
; COMPUTE_PGM_RSRC2:TGID_Z_EN: 1
; COMPUTE_PGM_RSRC2:TIDIG_COMP_CNT: 0
	.section	.text._ZN4vllm25paged_attention_v1_kernelI14__hip_bfloat16hLi128ELi8ELi128ELNS_18Fp8KVCacheDataTypeE1ELb1EEEvPT_PKS3_PKT0_S9_ifPKiSB_iPKfiiiSD_SD_iiiii,"axG",@progbits,_ZN4vllm25paged_attention_v1_kernelI14__hip_bfloat16hLi128ELi8ELi128ELNS_18Fp8KVCacheDataTypeE1ELb1EEEvPT_PKS3_PKT0_S9_ifPKiSB_iPKfiiiSD_SD_iiiii,comdat
	.protected	_ZN4vllm25paged_attention_v1_kernelI14__hip_bfloat16hLi128ELi8ELi128ELNS_18Fp8KVCacheDataTypeE1ELb1EEEvPT_PKS3_PKT0_S9_ifPKiSB_iPKfiiiSD_SD_iiiii ; -- Begin function _ZN4vllm25paged_attention_v1_kernelI14__hip_bfloat16hLi128ELi8ELi128ELNS_18Fp8KVCacheDataTypeE1ELb1EEEvPT_PKS3_PKT0_S9_ifPKiSB_iPKfiiiSD_SD_iiiii
	.globl	_ZN4vllm25paged_attention_v1_kernelI14__hip_bfloat16hLi128ELi8ELi128ELNS_18Fp8KVCacheDataTypeE1ELb1EEEvPT_PKS3_PKT0_S9_ifPKiSB_iPKfiiiSD_SD_iiiii
	.p2align	8
	.type	_ZN4vllm25paged_attention_v1_kernelI14__hip_bfloat16hLi128ELi8ELi128ELNS_18Fp8KVCacheDataTypeE1ELb1EEEvPT_PKS3_PKT0_S9_ifPKiSB_iPKfiiiSD_SD_iiiii,@function
_ZN4vllm25paged_attention_v1_kernelI14__hip_bfloat16hLi128ELi8ELi128ELNS_18Fp8KVCacheDataTypeE1ELb1EEEvPT_PKS3_PKT0_S9_ifPKiSB_iPKfiiiSD_SD_iiiii: ; @_ZN4vllm25paged_attention_v1_kernelI14__hip_bfloat16hLi128ELi8ELi128ELNS_18Fp8KVCacheDataTypeE1ELb1EEEvPT_PKS3_PKT0_S9_ifPKiSB_iPKfiiiSD_SD_iiiii
; %bb.0:
	s_load_b64 s[6:7], s[0:1], 0x20
	s_bfe_u32 s3, ttmp6, 0x4000c
	s_bfe_u32 s5, ttmp6, 0x40010
	s_and_b32 s4, ttmp7, 0xffff
	s_add_co_i32 s3, s3, 1
	s_add_co_i32 s5, s5, 1
	s_and_b32 s2, ttmp6, 15
	s_bfe_u32 s8, ttmp6, 0x40004
	s_mul_i32 s3, ttmp9, s3
	s_mul_i32 s5, s4, s5
	s_getreg_b32 s30, hwreg(HW_REG_IB_STS2, 6, 4)
	s_add_co_i32 s9, s2, s3
	s_add_co_i32 s8, s8, s5
	s_cmp_eq_u32 s30, 0
	s_clause 0x1
	s_load_b32 s31, s[0:1], 0x80
	s_load_b64 s[2:3], s[0:1], 0x30
	s_cselect_b32 s33, s4, s8
	s_cselect_b32 s4, ttmp9, s9
	s_wait_kmcnt 0x0
	s_abs_i32 s5, s6
	s_delay_alu instid0(SALU_CYCLE_1) | instskip(SKIP_1) | instid1(SALU_CYCLE_2)
	s_cvt_f32_u32 s8, s5
	s_sub_co_i32 s9, 0, s5
	v_rcp_iflag_f32_e32 v1, s8
	s_abs_i32 s10, s31
	v_nop
	s_delay_alu instid0(TRANS32_DEP_1) | instskip(SKIP_1) | instid1(SALU_CYCLE_3)
	v_readfirstlane_b32 s8, v1
	s_mul_f32 s8, s8, 0x4f7ffffe
	s_cvt_u32_f32 s8, s8
	s_delay_alu instid0(SALU_CYCLE_3) | instskip(NEXT) | instid1(SALU_CYCLE_1)
	s_mul_i32 s9, s9, s8
	s_mul_hi_u32 s9, s8, s9
	s_delay_alu instid0(SALU_CYCLE_1) | instskip(SKIP_4) | instid1(SALU_CYCLE_1)
	s_add_co_i32 s8, s8, s9
	s_xor_b32 s9, s31, s6
	s_mul_hi_u32 s8, s10, s8
	s_ashr_i32 s9, s9, 31
	s_mul_i32 s11, s8, s5
	s_sub_co_i32 s10, s10, s11
	s_add_co_i32 s11, s8, 1
	s_sub_co_i32 s12, s10, s5
	s_cmp_ge_u32 s10, s5
	s_cselect_b32 s8, s11, s8
	s_cselect_b32 s10, s12, s10
	s_add_co_i32 s11, s8, 1
	s_cmp_ge_u32 s10, s5
	s_load_b64 s[12:13], s[0:1], 0x40
	s_cselect_b32 s5, s11, s8
	s_delay_alu instid0(SALU_CYCLE_1) | instskip(NEXT) | instid1(SALU_CYCLE_1)
	s_xor_b32 s5, s5, s9
	s_sub_co_i32 s14, s5, s9
	s_mov_b32 s9, 0
	s_abs_i32 s19, s14
	s_mov_b32 s11, s9
	s_cvt_f32_u32 s5, s19
	s_sub_co_i32 s8, 0, s19
	s_mov_b32 s37, s9
	s_delay_alu instid0(SALU_CYCLE_1) | instskip(SKIP_1) | instid1(TRANS32_DEP_1)
	v_rcp_iflag_f32_e32 v1, s5
	v_nop
	v_readfirstlane_b32 s5, v1
	s_mul_f32 s5, s5, 0x4f7ffffe
	s_delay_alu instid0(SALU_CYCLE_3) | instskip(NEXT) | instid1(SALU_CYCLE_3)
	s_cvt_u32_f32 s5, s5
	s_mul_i32 s8, s8, s5
	s_delay_alu instid0(SALU_CYCLE_1)
	s_mul_hi_u32 s10, s5, s8
	s_abs_i32 s8, s4
	s_add_co_i32 s10, s5, s10
	s_wait_kmcnt 0x0
	s_cmp_eq_u64 s[12:13], 0
	s_cbranch_scc1 .LBB310_2
; %bb.1:
	s_ashr_i32 s5, s4, 31
	s_delay_alu instid0(SALU_CYCLE_1) | instskip(NEXT) | instid1(SALU_CYCLE_1)
	s_lshl_b64 s[16:17], s[4:5], 2
	s_add_nc_u64 s[12:13], s[12:13], s[16:17]
	s_load_b32 s37, s[12:13], 0x0
.LBB310_2:
	s_load_b32 s34, s[2:3], s33 offset:0x0 scale_offset
	s_load_b96 s[16:18], s[0:1], 0x48
	v_and_b32_e32 v2, 3, v0
	s_wait_xcnt 0x0
	v_cmp_gt_u32_e64 s2, 64, v0
	s_ashr_i32 s3, s4, 31
	s_ashr_i32 s5, s14, 31
	s_mul_u64 s[10:11], s[8:9], s[10:11]
	s_lshl_b32 s20, s4, 7
	s_and_saveexec_b32 s9, s2
	s_cbranch_execz .LBB310_4
; %bb.3:
	s_load_b64 s[12:13], s[0:1], 0x8
	s_wait_kmcnt 0x0
	s_mul_i32 s14, s16, s33
	s_ashr_i32 s21, s20, 31
	s_ashr_i32 s15, s14, 31
	v_and_b32_e32 v3, 0x3fc, v0
	s_lshl_b64 s[14:15], s[14:15], 1
	s_delay_alu instid0(VALU_DEP_1) | instskip(SKIP_2) | instid1(SALU_CYCLE_1)
	v_lshl_add_u32 v3, v2, 6, v3
	s_add_nc_u64 s[12:13], s[12:13], s[14:15]
	s_lshl_b64 s[14:15], s[20:21], 1
	s_add_nc_u64 s[12:13], s[12:13], s[14:15]
	global_load_b32 v1, v0, s[12:13] scale_offset
	s_wait_loadcnt 0x0
	ds_store_b32 v3, v1
.LBB310_4:
	s_or_b32 exec_lo, exec_lo, s9
	s_load_b128 s[12:15], s[0:1], 0x68
	s_mul_i32 s9, s11, s19
	s_xor_b32 s5, s3, s5
	s_sub_co_i32 s3, s8, s9
	s_add_co_i32 s8, s11, 1
	s_sub_co_i32 s9, s3, s19
	s_cmp_ge_u32 s3, s19
	s_wait_dscnt 0x0
	s_cselect_b32 s8, s8, s11
	s_cselect_b32 s3, s9, s3
	s_add_co_i32 s9, s8, 1
	s_cmp_ge_u32 s3, s19
	s_load_b32 s3, s[0:1], 0x78
	s_cselect_b32 s8, s9, s8
	s_wait_kmcnt 0x0
	s_add_co_i32 s10, s34, -1
	s_xor_b32 s8, s8, s5
	s_mov_b32 s11, -1
	s_sub_co_i32 s5, s8, s5
	s_barrier_signal -1
	s_barrier_wait -1
	s_abs_i32 s16, s15
	s_delay_alu instid0(SALU_CYCLE_1) | instskip(NEXT) | instid1(SALU_CYCLE_3)
	s_cvt_f32_u32 s9, s16
	v_rcp_iflag_f32_e32 v1, s9
	v_nop
	s_delay_alu instid0(TRANS32_DEP_1) | instskip(SKIP_1) | instid1(SALU_CYCLE_3)
	v_readfirstlane_b32 s9, v1
	s_mul_f32 s8, s9, 0x4f7ffffe
	s_cvt_u32_f32 s19, s8
	s_sub_co_i32 s8, 0, s16
	s_delay_alu instid0(SALU_CYCLE_2)
	s_mul_i32 s9, s8, s19
	s_abs_i32 s8, s10
	s_mul_hi_u32 s21, s19, s9
	s_mov_b32 s9, 0
	s_add_co_i32 s22, s19, s21
	s_cmp_lt_i32 s3, 0
	s_mov_b32 s23, s9
                                        ; implicit-def: $sgpr21
	s_cbranch_scc0 .LBB310_6
; %bb.5:
	s_mul_i32 s6, s12, s6
	s_mov_b32 s11, s9
	s_add_co_i32 s6, s5, s6
	s_delay_alu instid0(SALU_CYCLE_1) | instskip(NEXT) | instid1(SALU_CYCLE_1)
	s_mul_i32 s6, s6, s3
	s_sub_co_i32 s21, 1, s6
.LBB310_6:
	s_ashr_i32 s6, s10, 31
	s_ashr_i32 s15, s15, 31
	s_and_not1_b32 vcc_lo, exec_lo, s11
	s_mul_u64 s[28:29], s[8:9], s[22:23]
	s_cbranch_vccnz .LBB310_8
; %bb.7:
	s_mul_i32 s9, s31, s12
	s_delay_alu instid0(SALU_CYCLE_1) | instskip(NEXT) | instid1(SALU_CYCLE_1)
	s_add_co_i32 s4, s9, s4
	s_mul_i32 s3, s4, s3
	s_delay_alu instid0(SALU_CYCLE_1)
	s_add_co_i32 s21, s3, 1
.LBB310_8:
	s_clause 0x1
	s_load_b32 s3, s[0:1], 0x38
	s_load_b64 s[24:25], s[0:1], 0x28
	s_xor_b32 s4, s6, s15
	s_mul_i32 s6, s29, s16
	s_add_co_i32 s19, s29, 1
	s_sub_co_i32 s6, s8, s6
	s_clause 0x1
	s_load_b32 s12, s[0:1], 0x88
	s_load_b128 s[8:11], s[0:1], 0x58
	v_dual_lshrrev_b32 v1, 5, v0 :: v_dual_lshrrev_b32 v19, 3, v0
	v_mov_b32_e32 v33, 0xff7fffff
	v_mbcnt_lo_u32_b32 v30, -1, 0
	s_mul_i32 s18, s5, s18
	s_delay_alu instid0(VALU_DEP_3)
	v_lshlrev_b32_e32 v18, 3, v1
	s_wait_kmcnt 0x0
	s_mul_i32 s26, s3, s33
	s_sub_co_i32 s3, s6, s16
	s_ashr_i32 s27, s26, 31
	s_cmp_ge_u32 s6, s16
	s_cselect_b32 s19, s19, s29
	s_cselect_b32 s3, s3, s6
	s_add_co_i32 s6, s19, 1
	s_cmp_ge_u32 s3, s16
	s_cselect_b32 s3, s6, s19
	s_add_co_i32 s6, s34, 7
	s_delay_alu instid0(SALU_CYCLE_1) | instskip(NEXT) | instid1(SALU_CYCLE_1)
	s_ashr_i32 s19, s6, 31
	s_lshr_b32 s19, s19, 29
	s_delay_alu instid0(SALU_CYCLE_1) | instskip(NEXT) | instid1(SALU_CYCLE_1)
	s_add_co_i32 s6, s6, s19
	s_ashr_i32 s35, s6, 3
	s_xor_b32 s6, s3, s4
	v_cmp_gt_i32_e64 s3, s35, v1
	s_sub_co_i32 s36, s6, s4
	s_and_saveexec_b32 s38, s3
	s_cbranch_execz .LBB310_276
; %bb.9:
	s_load_b64 s[42:43], s[0:1], 0x10
	s_sub_co_i32 s39, s36, s13
	s_ashr_i32 s19, s18, 31
	s_cmp_neq_f32 s37, 0
	v_bfe_u32 v31, v0, 2, 3
	v_dual_mov_b32 v21, 0 :: v_dual_lshlrev_b32 v32, 6, v2
	s_cselect_b32 vcc_lo, -1, 0
	s_abs_i32 s40, s14
	s_delay_alu instid0(VALU_DEP_2)
	v_dual_lshlrev_b32 v22, 3, v1 :: v_dual_lshlrev_b32 v20, 4, v31
	s_cvt_f32_u32 s5, s40
	s_lshl_b64 s[44:45], s[26:27], 2
	v_cmp_eq_u32_e64 s4, 0, v2
	v_subrev_nc_u32_e32 v6, s34, v31
	v_rcp_iflag_f32_e32 v3, s5
	s_sub_co_i32 s6, 0, s40
	v_dual_mov_b32 v36, 0xff7fffff :: v_dual_mov_b32 v37, v1
	s_delay_alu instid0(VALU_DEP_2) | instskip(SKIP_2) | instid1(TRANS32_DEP_1)
	v_dual_mov_b32 v33, 0xff7fffff :: v_dual_add_nc_u32 v34, 1, v6
	s_wait_kmcnt 0x0
	s_add_nc_u64 s[42:43], s[42:43], s[18:19]
	v_readfirstlane_b32 s5, v3
	v_add_nc_u64_e32 v[4:5], s[42:43], v[20:21]
	v_dual_lshlrev_b32 v3, 2, v31 :: v_dual_lshlrev_b32 v20, 1, v2
	s_add_nc_u64 s[42:43], s[24:25], s[44:45]
	s_mul_f32 s5, s5, 0x4f7ffffe
	s_mov_b32 s29, 0
	s_delay_alu instid0(VALU_DEP_1) | instskip(NEXT) | instid1(VALU_DEP_3)
	v_lshl_or_b32 v2, v1, 5, v3
	v_add_nc_u64_e32 v[24:25], v[4:5], v[20:21]
	v_and_b32_e32 v20, 0x7c, v19
	s_cvt_u32_f32 s5, s5
	s_mov_b32 s19, s17
	v_add_nc_u32_e32 v35, 0x120, v2
	s_mov_b32 s41, s29
	v_add_nc_u64_e32 v[26:27], s[42:43], v[20:21]
	s_mul_i32 s6, s6, s5
	s_delay_alu instid0(SALU_CYCLE_1) | instskip(NEXT) | instid1(SALU_CYCLE_1)
	s_mul_hi_u32 s6, s5, s6
	s_add_co_i32 s28, s5, s6
	s_branch .LBB310_12
.LBB310_10:                             ;   in Loop: Header=BB310_12 Depth=1
	s_or_b32 exec_lo, exec_lo, s42
.LBB310_11:                             ;   in Loop: Header=BB310_12 Depth=1
	s_delay_alu instid0(SALU_CYCLE_1) | instskip(SKIP_3) | instid1(VALU_DEP_3)
	s_or_b32 exec_lo, exec_lo, s6
	v_dual_add_nc_u32 v37, 4, v37 :: v_dual_add_nc_u32 v22, 32, v22
	v_add_nc_u64_e32 v[26:27], 16, v[26:27]
	v_add_nc_u32_e32 v35, 0x80, v35
	v_cmp_le_i32_e64 s5, s35, v37
	s_or_b32 s41, s5, s41
	s_delay_alu instid0(SALU_CYCLE_1)
	s_and_not1_b32 exec_lo, exec_lo, s41
	s_cbranch_execz .LBB310_275
.LBB310_12:                             ; =>This Inner Loop Header: Depth=1
	v_mov_b32_e32 v23, v21
	s_wait_dscnt 0x0
	s_delay_alu instid0(VALU_DEP_1) | instskip(NEXT) | instid1(VALU_DEP_1)
	v_mul_u64_e32 v[2:3], s[22:23], v[22:23]
	v_mul_lo_u32 v2, v3, s16
	s_delay_alu instid0(VALU_DEP_1) | instskip(NEXT) | instid1(VALU_DEP_1)
	v_sub_nc_u32_e32 v2, v22, v2
	v_subrev_nc_u32_e32 v5, s16, v2
	v_cmp_le_u32_e64 s5, s16, v2
	s_delay_alu instid0(VALU_DEP_1) | instskip(NEXT) | instid1(VALU_DEP_1)
	v_dual_add_nc_u32 v4, 1, v3 :: v_dual_cndmask_b32 v2, v2, v5, s5
	v_cndmask_b32_e64 v3, v3, v4, s5
	s_delay_alu instid0(VALU_DEP_2) | instskip(NEXT) | instid1(VALU_DEP_2)
	v_cmp_le_u32_e64 s5, s16, v2
	v_add_nc_u32_e32 v4, 1, v3
	s_delay_alu instid0(VALU_DEP_1) | instskip(NEXT) | instid1(VALU_DEP_1)
	v_cndmask_b32_e64 v2, v3, v4, s5
	v_xor_b32_e32 v2, s15, v2
	s_delay_alu instid0(VALU_DEP_1) | instskip(NEXT) | instid1(VALU_DEP_1)
	v_subrev_nc_u32_e32 v4, s15, v2
	v_add_nc_u32_e32 v5, s21, v4
	v_cmp_ge_i32_e64 s6, s39, v4
	s_delay_alu instid0(VALU_DEP_2) | instskip(NEXT) | instid1(VALU_DEP_1)
	v_sub_nc_u32_e32 v2, 0, v5
	v_dual_ashrrev_i32 v5, 31, v5 :: v_dual_max_i32 v20, v5, v2
	s_delay_alu instid0(VALU_DEP_1) | instskip(NEXT) | instid1(VALU_DEP_1)
	v_mul_u64_e32 v[2:3], s[28:29], v[20:21]
	v_mul_lo_u32 v2, v3, s40
	s_delay_alu instid0(VALU_DEP_1) | instskip(NEXT) | instid1(VALU_DEP_1)
	v_sub_nc_u32_e32 v2, v20, v2
	v_subrev_nc_u32_e32 v3, s40, v2
	v_cmp_le_u32_e64 s5, s40, v2
	s_delay_alu instid0(VALU_DEP_1) | instskip(NEXT) | instid1(VALU_DEP_1)
	v_cndmask_b32_e64 v2, v2, v3, s5
	v_subrev_nc_u32_e32 v3, s40, v2
	v_cmp_le_u32_e64 s5, s40, v2
	s_delay_alu instid0(VALU_DEP_1) | instskip(NEXT) | instid1(VALU_DEP_1)
	v_cndmask_b32_e64 v2, v2, v3, s5
	v_xor_b32_e32 v2, v2, v5
	s_delay_alu instid0(VALU_DEP_1) | instskip(NEXT) | instid1(VALU_DEP_1)
	v_sub_nc_u32_e32 v2, v2, v5
	v_cmp_ne_u32_e64 s5, 0, v2
	s_and_b32 s5, s5, s6
	s_delay_alu instid0(SALU_CYCLE_1) | instskip(NEXT) | instid1(SALU_CYCLE_1)
	s_and_saveexec_b32 s6, s5
	s_xor_b32 s5, exec_lo, s6
	s_cbranch_execz .LBB310_16
; %bb.13:                               ;   in Loop: Header=BB310_12 Depth=1
	s_and_saveexec_b32 s6, s4
; %bb.14:                               ;   in Loop: Header=BB310_12 Depth=1
	ds_store_b32 v35, v36
; %bb.15:                               ;   in Loop: Header=BB310_12 Depth=1
	s_or_b32 exec_lo, exec_lo, s6
.LBB310_16:                             ;   in Loop: Header=BB310_12 Depth=1
	s_and_not1_saveexec_b32 s6, s5
	s_cbranch_execz .LBB310_11
; %bb.17:                               ;   in Loop: Header=BB310_12 Depth=1
	global_load_b32 v2, v[26:27], off
	v_mov_b32_e32 v23, 0
	s_wait_loadcnt 0x0
	v_mad_nc_i64_i32 v[28:29], v2, s19, v[24:25]
	global_load_u16 v20, v[28:29], off
	ds_load_b128 v[14:17], v32
	ds_load_b128 v[10:13], v32 offset:16
	ds_load_b128 v[6:9], v32 offset:32
	;; [unrolled: 1-line block ×3, first 2 shown]
	s_load_b32 s42, s[8:9], 0x0
	s_wait_loadcnt 0x0
	v_and_b32_e32 v38, 0xff, v20
	v_and_b32_e32 v39, 0xffff, v20
	s_delay_alu instid0(VALU_DEP_2)
	v_cmp_ne_u16_e64 s5, 0, v38
	v_mov_b32_e32 v38, 0
	s_and_saveexec_b32 s43, s5
	s_cbranch_execz .LBB310_25
; %bb.18:                               ;   in Loop: Header=BB310_12 Depth=1
	v_and_b32_e32 v20, 0xff, v39
	v_bfrev_b32_e32 v38, 1
	s_mov_b32 s44, exec_lo
	s_delay_alu instid0(VALU_DEP_2)
	v_cmpx_ne_u16_e32 0x80, v20
	s_cbranch_execz .LBB310_24
; %bb.19:                               ;   in Loop: Header=BB310_12 Depth=1
	v_and_b32_e32 v40, 0x7f, v39
	v_mov_b32_e32 v38, 0x7f800001
	s_mov_b32 s45, exec_lo
	s_delay_alu instid0(VALU_DEP_2)
	v_cmpx_ne_u32_e32 0x7f, v40
	s_cbranch_execz .LBB310_23
; %bb.20:                               ;   in Loop: Header=BB310_12 Depth=1
	v_dual_lshrrev_b32 v38, 3, v40 :: v_dual_bitop2_b32 v20, 7, v39 bitop3:0x40
	s_mov_b32 s46, exec_lo
	v_cmpx_gt_u32_e32 8, v40
; %bb.21:                               ;   in Loop: Header=BB310_12 Depth=1
	s_delay_alu instid0(VALU_DEP_2) | instskip(NEXT) | instid1(VALU_DEP_1)
	v_clz_i32_u32_e32 v38, v20
	v_min_u32_e32 v38, 32, v38
	s_delay_alu instid0(VALU_DEP_1) | instskip(NEXT) | instid1(VALU_DEP_1)
	v_subrev_nc_u32_e32 v40, 28, v38
	v_lshlrev_b64_e32 v[40:41], v40, v[20:21]
	s_delay_alu instid0(VALU_DEP_1)
	v_dual_sub_nc_u32 v38, 29, v38 :: v_dual_bitop2_b32 v20, 7, v40 bitop3:0x40
; %bb.22:                               ;   in Loop: Header=BB310_12 Depth=1
	s_or_b32 exec_lo, exec_lo, s46
	s_delay_alu instid0(VALU_DEP_1) | instskip(NEXT) | instid1(VALU_DEP_2)
	v_dual_lshlrev_b32 v40, 24, v39 :: v_dual_lshlrev_b32 v20, 20, v20
	v_lshl_add_u32 v38, v38, 23, 0x3c000000
	s_delay_alu instid0(VALU_DEP_2) | instskip(NEXT) | instid1(VALU_DEP_1)
	v_and_b32_e32 v40, 0x80000000, v40
	v_or3_b32 v38, v20, v40, v38
.LBB310_23:                             ;   in Loop: Header=BB310_12 Depth=1
	s_or_b32 exec_lo, exec_lo, s45
.LBB310_24:                             ;   in Loop: Header=BB310_12 Depth=1
	s_delay_alu instid0(SALU_CYCLE_1)
	s_or_b32 exec_lo, exec_lo, s44
.LBB310_25:                             ;   in Loop: Header=BB310_12 Depth=1
	s_delay_alu instid0(SALU_CYCLE_1) | instskip(SKIP_2) | instid1(VALU_DEP_1)
	s_or_b32 exec_lo, exec_lo, s43
	v_lshrrev_b16 v20, 8, v39
	s_mov_b32 s43, exec_lo
	v_cmpx_ne_u16_e32 0, v20
	s_cbranch_execz .LBB310_33
; %bb.26:                               ;   in Loop: Header=BB310_12 Depth=1
	v_bfrev_b32_e32 v23, 1
	s_mov_b32 s44, exec_lo
	v_cmpx_ne_u16_e32 0x80, v20
	s_cbranch_execz .LBB310_32
; %bb.27:                               ;   in Loop: Header=BB310_12 Depth=1
	v_and_b32_e32 v20, 0xffff, v20
	v_mov_b32_e32 v23, 0x7f800001
	s_mov_b32 s45, exec_lo
	s_delay_alu instid0(VALU_DEP_2) | instskip(NEXT) | instid1(VALU_DEP_1)
	v_and_b32_e32 v40, 0x7f, v20
	v_cmpx_ne_u32_e32 0x7f, v40
	s_cbranch_execz .LBB310_31
; %bb.28:                               ;   in Loop: Header=BB310_12 Depth=1
	v_and_b32_e32 v20, 7, v20
	v_lshrrev_b32_e32 v23, 3, v40
	s_mov_b32 s46, exec_lo
	v_cmpx_gt_u32_e32 8, v40
; %bb.29:                               ;   in Loop: Header=BB310_12 Depth=1
	s_delay_alu instid0(VALU_DEP_3) | instskip(NEXT) | instid1(VALU_DEP_1)
	v_clz_i32_u32_e32 v23, v20
	v_min_u32_e32 v23, 32, v23
	s_delay_alu instid0(VALU_DEP_1) | instskip(NEXT) | instid1(VALU_DEP_1)
	v_subrev_nc_u32_e32 v40, 28, v23
	v_lshlrev_b64_e32 v[40:41], v40, v[20:21]
	s_delay_alu instid0(VALU_DEP_1)
	v_dual_sub_nc_u32 v23, 29, v23 :: v_dual_bitop2_b32 v20, 7, v40 bitop3:0x40
; %bb.30:                               ;   in Loop: Header=BB310_12 Depth=1
	s_or_b32 exec_lo, exec_lo, s46
	s_delay_alu instid0(VALU_DEP_1) | instskip(NEXT) | instid1(VALU_DEP_2)
	v_dual_lshlrev_b32 v39, 16, v39 :: v_dual_lshlrev_b32 v20, 20, v20
	v_lshl_add_u32 v23, v23, 23, 0x3c000000
	s_delay_alu instid0(VALU_DEP_2) | instskip(NEXT) | instid1(VALU_DEP_1)
	v_and_b32_e32 v39, 0x80000000, v39
	v_or3_b32 v23, v20, v39, v23
.LBB310_31:                             ;   in Loop: Header=BB310_12 Depth=1
	s_or_b32 exec_lo, exec_lo, s45
.LBB310_32:                             ;   in Loop: Header=BB310_12 Depth=1
	s_delay_alu instid0(SALU_CYCLE_1)
	s_or_b32 exec_lo, exec_lo, s44
.LBB310_33:                             ;   in Loop: Header=BB310_12 Depth=1
	s_delay_alu instid0(SALU_CYCLE_1)
	s_or_b32 exec_lo, exec_lo, s43
	global_load_u16 v20, v[28:29], off offset:8
	v_mov_b32_e32 v39, 0
	s_wait_loadcnt 0x0
	v_and_b32_e32 v40, 0xff, v20
	v_and_b32_e32 v41, 0xffff, v20
	s_delay_alu instid0(VALU_DEP_2)
	v_cmp_ne_u16_e64 s5, 0, v40
	v_mov_b32_e32 v40, 0
	s_and_saveexec_b32 s43, s5
	s_cbranch_execz .LBB310_41
; %bb.34:                               ;   in Loop: Header=BB310_12 Depth=1
	v_and_b32_e32 v20, 0xff, v41
	v_bfrev_b32_e32 v40, 1
	s_mov_b32 s44, exec_lo
	s_delay_alu instid0(VALU_DEP_2)
	v_cmpx_ne_u16_e32 0x80, v20
	s_cbranch_execz .LBB310_40
; %bb.35:                               ;   in Loop: Header=BB310_12 Depth=1
	v_and_b32_e32 v42, 0x7f, v41
	v_mov_b32_e32 v40, 0x7f800001
	s_mov_b32 s45, exec_lo
	s_delay_alu instid0(VALU_DEP_2)
	v_cmpx_ne_u32_e32 0x7f, v42
	s_cbranch_execz .LBB310_39
; %bb.36:                               ;   in Loop: Header=BB310_12 Depth=1
	v_dual_lshrrev_b32 v40, 3, v42 :: v_dual_bitop2_b32 v20, 7, v41 bitop3:0x40
	s_mov_b32 s46, exec_lo
	v_cmpx_gt_u32_e32 8, v42
; %bb.37:                               ;   in Loop: Header=BB310_12 Depth=1
	s_delay_alu instid0(VALU_DEP_2) | instskip(NEXT) | instid1(VALU_DEP_1)
	v_clz_i32_u32_e32 v40, v20
	v_min_u32_e32 v40, 32, v40
	s_delay_alu instid0(VALU_DEP_1) | instskip(NEXT) | instid1(VALU_DEP_1)
	v_subrev_nc_u32_e32 v42, 28, v40
	v_lshlrev_b64_e32 v[42:43], v42, v[20:21]
	s_delay_alu instid0(VALU_DEP_1)
	v_dual_sub_nc_u32 v40, 29, v40 :: v_dual_bitop2_b32 v20, 7, v42 bitop3:0x40
; %bb.38:                               ;   in Loop: Header=BB310_12 Depth=1
	s_or_b32 exec_lo, exec_lo, s46
	s_delay_alu instid0(VALU_DEP_1) | instskip(NEXT) | instid1(VALU_DEP_2)
	v_dual_lshlrev_b32 v42, 24, v41 :: v_dual_lshlrev_b32 v20, 20, v20
	v_lshl_add_u32 v40, v40, 23, 0x3c000000
	s_delay_alu instid0(VALU_DEP_2) | instskip(NEXT) | instid1(VALU_DEP_1)
	v_and_b32_e32 v42, 0x80000000, v42
	v_or3_b32 v40, v20, v42, v40
.LBB310_39:                             ;   in Loop: Header=BB310_12 Depth=1
	s_or_b32 exec_lo, exec_lo, s45
.LBB310_40:                             ;   in Loop: Header=BB310_12 Depth=1
	s_delay_alu instid0(SALU_CYCLE_1)
	s_or_b32 exec_lo, exec_lo, s44
.LBB310_41:                             ;   in Loop: Header=BB310_12 Depth=1
	s_delay_alu instid0(SALU_CYCLE_1) | instskip(SKIP_2) | instid1(VALU_DEP_1)
	s_or_b32 exec_lo, exec_lo, s43
	v_lshrrev_b16 v20, 8, v41
	s_mov_b32 s43, exec_lo
	v_cmpx_ne_u16_e32 0, v20
	s_cbranch_execz .LBB310_49
; %bb.42:                               ;   in Loop: Header=BB310_12 Depth=1
	v_bfrev_b32_e32 v39, 1
	s_mov_b32 s44, exec_lo
	v_cmpx_ne_u16_e32 0x80, v20
	s_cbranch_execz .LBB310_48
; %bb.43:                               ;   in Loop: Header=BB310_12 Depth=1
	v_and_b32_e32 v20, 0xffff, v20
	v_mov_b32_e32 v39, 0x7f800001
	s_mov_b32 s45, exec_lo
	s_delay_alu instid0(VALU_DEP_2) | instskip(NEXT) | instid1(VALU_DEP_1)
	v_and_b32_e32 v42, 0x7f, v20
	v_cmpx_ne_u32_e32 0x7f, v42
	s_cbranch_execz .LBB310_47
; %bb.44:                               ;   in Loop: Header=BB310_12 Depth=1
	v_dual_lshrrev_b32 v39, 3, v42 :: v_dual_bitop2_b32 v20, 7, v20 bitop3:0x40
	s_mov_b32 s46, exec_lo
	v_cmpx_gt_u32_e32 8, v42
; %bb.45:                               ;   in Loop: Header=BB310_12 Depth=1
	s_delay_alu instid0(VALU_DEP_2) | instskip(NEXT) | instid1(VALU_DEP_1)
	v_clz_i32_u32_e32 v39, v20
	v_min_u32_e32 v39, 32, v39
	s_delay_alu instid0(VALU_DEP_1) | instskip(NEXT) | instid1(VALU_DEP_1)
	v_subrev_nc_u32_e32 v42, 28, v39
	v_lshlrev_b64_e32 v[42:43], v42, v[20:21]
	s_delay_alu instid0(VALU_DEP_1)
	v_dual_sub_nc_u32 v39, 29, v39 :: v_dual_bitop2_b32 v20, 7, v42 bitop3:0x40
; %bb.46:                               ;   in Loop: Header=BB310_12 Depth=1
	s_or_b32 exec_lo, exec_lo, s46
	s_delay_alu instid0(VALU_DEP_1) | instskip(NEXT) | instid1(VALU_DEP_2)
	v_dual_lshlrev_b32 v41, 16, v41 :: v_dual_lshlrev_b32 v20, 20, v20
	v_lshl_add_u32 v39, v39, 23, 0x3c000000
	s_delay_alu instid0(VALU_DEP_2) | instskip(NEXT) | instid1(VALU_DEP_1)
	v_and_b32_e32 v41, 0x80000000, v41
	v_or3_b32 v39, v20, v41, v39
.LBB310_47:                             ;   in Loop: Header=BB310_12 Depth=1
	s_or_b32 exec_lo, exec_lo, s45
.LBB310_48:                             ;   in Loop: Header=BB310_12 Depth=1
	s_delay_alu instid0(SALU_CYCLE_1)
	s_or_b32 exec_lo, exec_lo, s44
.LBB310_49:                             ;   in Loop: Header=BB310_12 Depth=1
	s_delay_alu instid0(SALU_CYCLE_1)
	s_or_b32 exec_lo, exec_lo, s43
	global_load_u16 v20, v[28:29], off offset:128
	v_mov_b32_e32 v41, 0
	s_wait_loadcnt 0x0
	v_and_b32_e32 v42, 0xff, v20
	v_and_b32_e32 v43, 0xffff, v20
	s_delay_alu instid0(VALU_DEP_2)
	v_cmp_ne_u16_e64 s5, 0, v42
	v_mov_b32_e32 v42, 0
	s_and_saveexec_b32 s43, s5
	s_cbranch_execz .LBB310_57
; %bb.50:                               ;   in Loop: Header=BB310_12 Depth=1
	v_and_b32_e32 v20, 0xff, v43
	v_bfrev_b32_e32 v42, 1
	s_mov_b32 s44, exec_lo
	s_delay_alu instid0(VALU_DEP_2)
	v_cmpx_ne_u16_e32 0x80, v20
	s_cbranch_execz .LBB310_56
; %bb.51:                               ;   in Loop: Header=BB310_12 Depth=1
	v_and_b32_e32 v44, 0x7f, v43
	v_mov_b32_e32 v42, 0x7f800001
	s_mov_b32 s45, exec_lo
	s_delay_alu instid0(VALU_DEP_2)
	v_cmpx_ne_u32_e32 0x7f, v44
	s_cbranch_execz .LBB310_55
; %bb.52:                               ;   in Loop: Header=BB310_12 Depth=1
	v_dual_lshrrev_b32 v42, 3, v44 :: v_dual_bitop2_b32 v20, 7, v43 bitop3:0x40
	s_mov_b32 s46, exec_lo
	v_cmpx_gt_u32_e32 8, v44
; %bb.53:                               ;   in Loop: Header=BB310_12 Depth=1
	s_delay_alu instid0(VALU_DEP_2) | instskip(NEXT) | instid1(VALU_DEP_1)
	v_clz_i32_u32_e32 v42, v20
	v_min_u32_e32 v42, 32, v42
	s_delay_alu instid0(VALU_DEP_1) | instskip(NEXT) | instid1(VALU_DEP_1)
	v_subrev_nc_u32_e32 v44, 28, v42
	v_lshlrev_b64_e32 v[44:45], v44, v[20:21]
	s_delay_alu instid0(VALU_DEP_1)
	v_dual_sub_nc_u32 v42, 29, v42 :: v_dual_bitop2_b32 v20, 7, v44 bitop3:0x40
; %bb.54:                               ;   in Loop: Header=BB310_12 Depth=1
	s_or_b32 exec_lo, exec_lo, s46
	s_delay_alu instid0(VALU_DEP_1) | instskip(NEXT) | instid1(VALU_DEP_2)
	v_dual_lshlrev_b32 v44, 24, v43 :: v_dual_lshlrev_b32 v20, 20, v20
	v_lshl_add_u32 v42, v42, 23, 0x3c000000
	s_delay_alu instid0(VALU_DEP_2) | instskip(NEXT) | instid1(VALU_DEP_1)
	v_and_b32_e32 v44, 0x80000000, v44
	v_or3_b32 v42, v20, v44, v42
.LBB310_55:                             ;   in Loop: Header=BB310_12 Depth=1
	s_or_b32 exec_lo, exec_lo, s45
.LBB310_56:                             ;   in Loop: Header=BB310_12 Depth=1
	s_delay_alu instid0(SALU_CYCLE_1)
	s_or_b32 exec_lo, exec_lo, s44
.LBB310_57:                             ;   in Loop: Header=BB310_12 Depth=1
	s_delay_alu instid0(SALU_CYCLE_1) | instskip(SKIP_2) | instid1(VALU_DEP_1)
	s_or_b32 exec_lo, exec_lo, s43
	v_lshrrev_b16 v20, 8, v43
	s_mov_b32 s43, exec_lo
	v_cmpx_ne_u16_e32 0, v20
	s_cbranch_execz .LBB310_65
; %bb.58:                               ;   in Loop: Header=BB310_12 Depth=1
	v_bfrev_b32_e32 v41, 1
	s_mov_b32 s44, exec_lo
	v_cmpx_ne_u16_e32 0x80, v20
	s_cbranch_execz .LBB310_64
; %bb.59:                               ;   in Loop: Header=BB310_12 Depth=1
	v_and_b32_e32 v20, 0xffff, v20
	v_mov_b32_e32 v41, 0x7f800001
	s_mov_b32 s45, exec_lo
	s_delay_alu instid0(VALU_DEP_2) | instskip(NEXT) | instid1(VALU_DEP_1)
	v_and_b32_e32 v44, 0x7f, v20
	v_cmpx_ne_u32_e32 0x7f, v44
	s_cbranch_execz .LBB310_63
; %bb.60:                               ;   in Loop: Header=BB310_12 Depth=1
	v_and_b32_e32 v20, 7, v20
	v_lshrrev_b32_e32 v41, 3, v44
	s_mov_b32 s46, exec_lo
	v_cmpx_gt_u32_e32 8, v44
; %bb.61:                               ;   in Loop: Header=BB310_12 Depth=1
	s_delay_alu instid0(VALU_DEP_3) | instskip(NEXT) | instid1(VALU_DEP_1)
	v_clz_i32_u32_e32 v41, v20
	v_min_u32_e32 v41, 32, v41
	s_delay_alu instid0(VALU_DEP_1) | instskip(NEXT) | instid1(VALU_DEP_1)
	v_subrev_nc_u32_e32 v44, 28, v41
	v_lshlrev_b64_e32 v[44:45], v44, v[20:21]
	s_delay_alu instid0(VALU_DEP_1)
	v_dual_sub_nc_u32 v41, 29, v41 :: v_dual_bitop2_b32 v20, 7, v44 bitop3:0x40
; %bb.62:                               ;   in Loop: Header=BB310_12 Depth=1
	s_or_b32 exec_lo, exec_lo, s46
	s_delay_alu instid0(VALU_DEP_1) | instskip(NEXT) | instid1(VALU_DEP_2)
	v_dual_lshlrev_b32 v43, 16, v43 :: v_dual_lshlrev_b32 v20, 20, v20
	v_lshl_add_u32 v41, v41, 23, 0x3c000000
	s_delay_alu instid0(VALU_DEP_2) | instskip(NEXT) | instid1(VALU_DEP_1)
	v_and_b32_e32 v43, 0x80000000, v43
	v_or3_b32 v41, v20, v43, v41
.LBB310_63:                             ;   in Loop: Header=BB310_12 Depth=1
	s_or_b32 exec_lo, exec_lo, s45
.LBB310_64:                             ;   in Loop: Header=BB310_12 Depth=1
	s_delay_alu instid0(SALU_CYCLE_1)
	s_or_b32 exec_lo, exec_lo, s44
.LBB310_65:                             ;   in Loop: Header=BB310_12 Depth=1
	s_delay_alu instid0(SALU_CYCLE_1)
	s_or_b32 exec_lo, exec_lo, s43
	global_load_u16 v20, v[28:29], off offset:136
	v_mov_b32_e32 v43, 0
	s_wait_loadcnt 0x0
	v_and_b32_e32 v44, 0xff, v20
	v_and_b32_e32 v45, 0xffff, v20
	s_delay_alu instid0(VALU_DEP_2)
	v_cmp_ne_u16_e64 s5, 0, v44
	v_mov_b32_e32 v44, 0
	s_and_saveexec_b32 s43, s5
	s_cbranch_execz .LBB310_73
; %bb.66:                               ;   in Loop: Header=BB310_12 Depth=1
	v_and_b32_e32 v20, 0xff, v45
	v_bfrev_b32_e32 v44, 1
	s_mov_b32 s44, exec_lo
	s_delay_alu instid0(VALU_DEP_2)
	v_cmpx_ne_u16_e32 0x80, v20
	s_cbranch_execz .LBB310_72
; %bb.67:                               ;   in Loop: Header=BB310_12 Depth=1
	v_and_b32_e32 v46, 0x7f, v45
	v_mov_b32_e32 v44, 0x7f800001
	s_mov_b32 s45, exec_lo
	s_delay_alu instid0(VALU_DEP_2)
	v_cmpx_ne_u32_e32 0x7f, v46
	s_cbranch_execz .LBB310_71
; %bb.68:                               ;   in Loop: Header=BB310_12 Depth=1
	v_dual_lshrrev_b32 v44, 3, v46 :: v_dual_bitop2_b32 v20, 7, v45 bitop3:0x40
	s_mov_b32 s46, exec_lo
	v_cmpx_gt_u32_e32 8, v46
; %bb.69:                               ;   in Loop: Header=BB310_12 Depth=1
	s_delay_alu instid0(VALU_DEP_2) | instskip(NEXT) | instid1(VALU_DEP_1)
	v_clz_i32_u32_e32 v44, v20
	v_min_u32_e32 v44, 32, v44
	s_delay_alu instid0(VALU_DEP_1) | instskip(NEXT) | instid1(VALU_DEP_1)
	v_subrev_nc_u32_e32 v46, 28, v44
	v_lshlrev_b64_e32 v[46:47], v46, v[20:21]
	s_delay_alu instid0(VALU_DEP_1)
	v_dual_sub_nc_u32 v44, 29, v44 :: v_dual_bitop2_b32 v20, 7, v46 bitop3:0x40
; %bb.70:                               ;   in Loop: Header=BB310_12 Depth=1
	s_or_b32 exec_lo, exec_lo, s46
	s_delay_alu instid0(VALU_DEP_1) | instskip(NEXT) | instid1(VALU_DEP_2)
	v_dual_lshlrev_b32 v46, 24, v45 :: v_dual_lshlrev_b32 v20, 20, v20
	v_lshl_add_u32 v44, v44, 23, 0x3c000000
	s_delay_alu instid0(VALU_DEP_2) | instskip(NEXT) | instid1(VALU_DEP_1)
	v_and_b32_e32 v46, 0x80000000, v46
	v_or3_b32 v44, v20, v46, v44
.LBB310_71:                             ;   in Loop: Header=BB310_12 Depth=1
	s_or_b32 exec_lo, exec_lo, s45
.LBB310_72:                             ;   in Loop: Header=BB310_12 Depth=1
	s_delay_alu instid0(SALU_CYCLE_1)
	s_or_b32 exec_lo, exec_lo, s44
.LBB310_73:                             ;   in Loop: Header=BB310_12 Depth=1
	s_delay_alu instid0(SALU_CYCLE_1) | instskip(SKIP_2) | instid1(VALU_DEP_1)
	s_or_b32 exec_lo, exec_lo, s43
	v_lshrrev_b16 v20, 8, v45
	s_mov_b32 s43, exec_lo
	v_cmpx_ne_u16_e32 0, v20
	s_cbranch_execz .LBB310_81
; %bb.74:                               ;   in Loop: Header=BB310_12 Depth=1
	v_bfrev_b32_e32 v43, 1
	s_mov_b32 s44, exec_lo
	v_cmpx_ne_u16_e32 0x80, v20
	s_cbranch_execz .LBB310_80
; %bb.75:                               ;   in Loop: Header=BB310_12 Depth=1
	v_and_b32_e32 v20, 0xffff, v20
	v_mov_b32_e32 v43, 0x7f800001
	s_mov_b32 s45, exec_lo
	s_delay_alu instid0(VALU_DEP_2) | instskip(NEXT) | instid1(VALU_DEP_1)
	v_and_b32_e32 v46, 0x7f, v20
	v_cmpx_ne_u32_e32 0x7f, v46
	s_cbranch_execz .LBB310_79
; %bb.76:                               ;   in Loop: Header=BB310_12 Depth=1
	v_dual_lshrrev_b32 v43, 3, v46 :: v_dual_bitop2_b32 v20, 7, v20 bitop3:0x40
	s_mov_b32 s46, exec_lo
	v_cmpx_gt_u32_e32 8, v46
; %bb.77:                               ;   in Loop: Header=BB310_12 Depth=1
	s_delay_alu instid0(VALU_DEP_2) | instskip(NEXT) | instid1(VALU_DEP_1)
	v_clz_i32_u32_e32 v43, v20
	v_min_u32_e32 v43, 32, v43
	s_delay_alu instid0(VALU_DEP_1) | instskip(NEXT) | instid1(VALU_DEP_1)
	v_subrev_nc_u32_e32 v46, 28, v43
	v_lshlrev_b64_e32 v[46:47], v46, v[20:21]
	s_delay_alu instid0(VALU_DEP_1)
	v_dual_sub_nc_u32 v43, 29, v43 :: v_dual_bitop2_b32 v20, 7, v46 bitop3:0x40
; %bb.78:                               ;   in Loop: Header=BB310_12 Depth=1
	s_or_b32 exec_lo, exec_lo, s46
	s_delay_alu instid0(VALU_DEP_1) | instskip(NEXT) | instid1(VALU_DEP_2)
	v_dual_lshlrev_b32 v45, 16, v45 :: v_dual_lshlrev_b32 v20, 20, v20
	v_lshl_add_u32 v43, v43, 23, 0x3c000000
	s_delay_alu instid0(VALU_DEP_2) | instskip(NEXT) | instid1(VALU_DEP_1)
	v_and_b32_e32 v45, 0x80000000, v45
	v_or3_b32 v43, v20, v45, v43
.LBB310_79:                             ;   in Loop: Header=BB310_12 Depth=1
	s_or_b32 exec_lo, exec_lo, s45
.LBB310_80:                             ;   in Loop: Header=BB310_12 Depth=1
	s_delay_alu instid0(SALU_CYCLE_1)
	s_or_b32 exec_lo, exec_lo, s44
.LBB310_81:                             ;   in Loop: Header=BB310_12 Depth=1
	s_delay_alu instid0(SALU_CYCLE_1)
	s_or_b32 exec_lo, exec_lo, s43
	global_load_u16 v20, v[28:29], off offset:256
	v_mov_b32_e32 v45, 0
	s_wait_loadcnt 0x0
	v_and_b32_e32 v46, 0xff, v20
	v_and_b32_e32 v47, 0xffff, v20
	s_delay_alu instid0(VALU_DEP_2)
	v_cmp_ne_u16_e64 s5, 0, v46
	v_mov_b32_e32 v46, 0
	s_and_saveexec_b32 s43, s5
	s_cbranch_execz .LBB310_89
; %bb.82:                               ;   in Loop: Header=BB310_12 Depth=1
	v_and_b32_e32 v20, 0xff, v47
	v_bfrev_b32_e32 v46, 1
	s_mov_b32 s44, exec_lo
	s_delay_alu instid0(VALU_DEP_2)
	v_cmpx_ne_u16_e32 0x80, v20
	s_cbranch_execz .LBB310_88
; %bb.83:                               ;   in Loop: Header=BB310_12 Depth=1
	v_and_b32_e32 v48, 0x7f, v47
	v_mov_b32_e32 v46, 0x7f800001
	s_mov_b32 s45, exec_lo
	s_delay_alu instid0(VALU_DEP_2)
	v_cmpx_ne_u32_e32 0x7f, v48
	s_cbranch_execz .LBB310_87
; %bb.84:                               ;   in Loop: Header=BB310_12 Depth=1
	v_dual_lshrrev_b32 v46, 3, v48 :: v_dual_bitop2_b32 v20, 7, v47 bitop3:0x40
	s_mov_b32 s46, exec_lo
	v_cmpx_gt_u32_e32 8, v48
; %bb.85:                               ;   in Loop: Header=BB310_12 Depth=1
	s_delay_alu instid0(VALU_DEP_2) | instskip(NEXT) | instid1(VALU_DEP_1)
	v_clz_i32_u32_e32 v46, v20
	v_min_u32_e32 v46, 32, v46
	s_delay_alu instid0(VALU_DEP_1) | instskip(NEXT) | instid1(VALU_DEP_1)
	v_subrev_nc_u32_e32 v48, 28, v46
	v_lshlrev_b64_e32 v[48:49], v48, v[20:21]
	s_delay_alu instid0(VALU_DEP_1)
	v_dual_sub_nc_u32 v46, 29, v46 :: v_dual_bitop2_b32 v20, 7, v48 bitop3:0x40
; %bb.86:                               ;   in Loop: Header=BB310_12 Depth=1
	s_or_b32 exec_lo, exec_lo, s46
	s_delay_alu instid0(VALU_DEP_1) | instskip(NEXT) | instid1(VALU_DEP_2)
	v_dual_lshlrev_b32 v48, 24, v47 :: v_dual_lshlrev_b32 v20, 20, v20
	v_lshl_add_u32 v46, v46, 23, 0x3c000000
	s_delay_alu instid0(VALU_DEP_2) | instskip(NEXT) | instid1(VALU_DEP_1)
	v_and_b32_e32 v48, 0x80000000, v48
	v_or3_b32 v46, v20, v48, v46
.LBB310_87:                             ;   in Loop: Header=BB310_12 Depth=1
	s_or_b32 exec_lo, exec_lo, s45
.LBB310_88:                             ;   in Loop: Header=BB310_12 Depth=1
	s_delay_alu instid0(SALU_CYCLE_1)
	s_or_b32 exec_lo, exec_lo, s44
.LBB310_89:                             ;   in Loop: Header=BB310_12 Depth=1
	s_delay_alu instid0(SALU_CYCLE_1) | instskip(SKIP_2) | instid1(VALU_DEP_1)
	s_or_b32 exec_lo, exec_lo, s43
	v_lshrrev_b16 v20, 8, v47
	s_mov_b32 s43, exec_lo
	v_cmpx_ne_u16_e32 0, v20
	s_cbranch_execz .LBB310_97
; %bb.90:                               ;   in Loop: Header=BB310_12 Depth=1
	v_bfrev_b32_e32 v45, 1
	s_mov_b32 s44, exec_lo
	v_cmpx_ne_u16_e32 0x80, v20
	s_cbranch_execz .LBB310_96
; %bb.91:                               ;   in Loop: Header=BB310_12 Depth=1
	v_and_b32_e32 v20, 0xffff, v20
	v_mov_b32_e32 v45, 0x7f800001
	s_mov_b32 s45, exec_lo
	s_delay_alu instid0(VALU_DEP_2) | instskip(NEXT) | instid1(VALU_DEP_1)
	v_and_b32_e32 v48, 0x7f, v20
	v_cmpx_ne_u32_e32 0x7f, v48
	s_cbranch_execz .LBB310_95
; %bb.92:                               ;   in Loop: Header=BB310_12 Depth=1
	v_and_b32_e32 v20, 7, v20
	v_lshrrev_b32_e32 v45, 3, v48
	s_mov_b32 s46, exec_lo
	v_cmpx_gt_u32_e32 8, v48
; %bb.93:                               ;   in Loop: Header=BB310_12 Depth=1
	s_delay_alu instid0(VALU_DEP_3) | instskip(NEXT) | instid1(VALU_DEP_1)
	v_clz_i32_u32_e32 v45, v20
	v_min_u32_e32 v45, 32, v45
	s_delay_alu instid0(VALU_DEP_1) | instskip(NEXT) | instid1(VALU_DEP_1)
	v_subrev_nc_u32_e32 v48, 28, v45
	v_lshlrev_b64_e32 v[48:49], v48, v[20:21]
	s_delay_alu instid0(VALU_DEP_1)
	v_dual_sub_nc_u32 v45, 29, v45 :: v_dual_bitop2_b32 v20, 7, v48 bitop3:0x40
; %bb.94:                               ;   in Loop: Header=BB310_12 Depth=1
	s_or_b32 exec_lo, exec_lo, s46
	s_delay_alu instid0(VALU_DEP_1) | instskip(NEXT) | instid1(VALU_DEP_2)
	v_dual_lshlrev_b32 v47, 16, v47 :: v_dual_lshlrev_b32 v20, 20, v20
	v_lshl_add_u32 v45, v45, 23, 0x3c000000
	s_delay_alu instid0(VALU_DEP_2) | instskip(NEXT) | instid1(VALU_DEP_1)
	v_and_b32_e32 v47, 0x80000000, v47
	v_or3_b32 v45, v20, v47, v45
.LBB310_95:                             ;   in Loop: Header=BB310_12 Depth=1
	s_or_b32 exec_lo, exec_lo, s45
.LBB310_96:                             ;   in Loop: Header=BB310_12 Depth=1
	s_delay_alu instid0(SALU_CYCLE_1)
	s_or_b32 exec_lo, exec_lo, s44
.LBB310_97:                             ;   in Loop: Header=BB310_12 Depth=1
	s_delay_alu instid0(SALU_CYCLE_1)
	s_or_b32 exec_lo, exec_lo, s43
	global_load_u16 v20, v[28:29], off offset:264
	v_mov_b32_e32 v47, 0
	s_wait_loadcnt 0x0
	v_and_b32_e32 v48, 0xff, v20
	v_and_b32_e32 v49, 0xffff, v20
	s_delay_alu instid0(VALU_DEP_2)
	v_cmp_ne_u16_e64 s5, 0, v48
	v_mov_b32_e32 v48, 0
	s_and_saveexec_b32 s43, s5
	s_cbranch_execz .LBB310_105
; %bb.98:                               ;   in Loop: Header=BB310_12 Depth=1
	v_and_b32_e32 v20, 0xff, v49
	v_bfrev_b32_e32 v48, 1
	s_mov_b32 s44, exec_lo
	s_delay_alu instid0(VALU_DEP_2)
	v_cmpx_ne_u16_e32 0x80, v20
	s_cbranch_execz .LBB310_104
; %bb.99:                               ;   in Loop: Header=BB310_12 Depth=1
	v_and_b32_e32 v50, 0x7f, v49
	v_mov_b32_e32 v48, 0x7f800001
	s_mov_b32 s45, exec_lo
	s_delay_alu instid0(VALU_DEP_2)
	v_cmpx_ne_u32_e32 0x7f, v50
	s_cbranch_execz .LBB310_103
; %bb.100:                              ;   in Loop: Header=BB310_12 Depth=1
	v_dual_lshrrev_b32 v48, 3, v50 :: v_dual_bitop2_b32 v20, 7, v49 bitop3:0x40
	s_mov_b32 s46, exec_lo
	v_cmpx_gt_u32_e32 8, v50
; %bb.101:                              ;   in Loop: Header=BB310_12 Depth=1
	s_delay_alu instid0(VALU_DEP_2) | instskip(NEXT) | instid1(VALU_DEP_1)
	v_clz_i32_u32_e32 v48, v20
	v_min_u32_e32 v48, 32, v48
	s_delay_alu instid0(VALU_DEP_1) | instskip(NEXT) | instid1(VALU_DEP_1)
	v_subrev_nc_u32_e32 v50, 28, v48
	v_lshlrev_b64_e32 v[50:51], v50, v[20:21]
	s_delay_alu instid0(VALU_DEP_1)
	v_dual_sub_nc_u32 v48, 29, v48 :: v_dual_bitop2_b32 v20, 7, v50 bitop3:0x40
; %bb.102:                              ;   in Loop: Header=BB310_12 Depth=1
	s_or_b32 exec_lo, exec_lo, s46
	s_delay_alu instid0(VALU_DEP_1) | instskip(NEXT) | instid1(VALU_DEP_2)
	v_dual_lshlrev_b32 v50, 24, v49 :: v_dual_lshlrev_b32 v20, 20, v20
	v_lshl_add_u32 v48, v48, 23, 0x3c000000
	s_delay_alu instid0(VALU_DEP_2) | instskip(NEXT) | instid1(VALU_DEP_1)
	v_and_b32_e32 v50, 0x80000000, v50
	v_or3_b32 v48, v20, v50, v48
.LBB310_103:                            ;   in Loop: Header=BB310_12 Depth=1
	s_or_b32 exec_lo, exec_lo, s45
.LBB310_104:                            ;   in Loop: Header=BB310_12 Depth=1
	s_delay_alu instid0(SALU_CYCLE_1)
	s_or_b32 exec_lo, exec_lo, s44
.LBB310_105:                            ;   in Loop: Header=BB310_12 Depth=1
	s_delay_alu instid0(SALU_CYCLE_1) | instskip(SKIP_2) | instid1(VALU_DEP_1)
	s_or_b32 exec_lo, exec_lo, s43
	v_lshrrev_b16 v20, 8, v49
	s_mov_b32 s43, exec_lo
	v_cmpx_ne_u16_e32 0, v20
	s_cbranch_execz .LBB310_113
; %bb.106:                              ;   in Loop: Header=BB310_12 Depth=1
	v_bfrev_b32_e32 v47, 1
	s_mov_b32 s44, exec_lo
	v_cmpx_ne_u16_e32 0x80, v20
	s_cbranch_execz .LBB310_112
; %bb.107:                              ;   in Loop: Header=BB310_12 Depth=1
	v_and_b32_e32 v20, 0xffff, v20
	v_mov_b32_e32 v47, 0x7f800001
	s_mov_b32 s45, exec_lo
	s_delay_alu instid0(VALU_DEP_2) | instskip(NEXT) | instid1(VALU_DEP_1)
	v_and_b32_e32 v50, 0x7f, v20
	v_cmpx_ne_u32_e32 0x7f, v50
	s_cbranch_execz .LBB310_111
; %bb.108:                              ;   in Loop: Header=BB310_12 Depth=1
	v_dual_lshrrev_b32 v47, 3, v50 :: v_dual_bitop2_b32 v20, 7, v20 bitop3:0x40
	s_mov_b32 s46, exec_lo
	v_cmpx_gt_u32_e32 8, v50
; %bb.109:                              ;   in Loop: Header=BB310_12 Depth=1
	s_delay_alu instid0(VALU_DEP_2) | instskip(NEXT) | instid1(VALU_DEP_1)
	v_clz_i32_u32_e32 v47, v20
	v_min_u32_e32 v47, 32, v47
	s_delay_alu instid0(VALU_DEP_1) | instskip(NEXT) | instid1(VALU_DEP_1)
	v_subrev_nc_u32_e32 v50, 28, v47
	v_lshlrev_b64_e32 v[50:51], v50, v[20:21]
	s_delay_alu instid0(VALU_DEP_1)
	v_dual_sub_nc_u32 v47, 29, v47 :: v_dual_bitop2_b32 v20, 7, v50 bitop3:0x40
; %bb.110:                              ;   in Loop: Header=BB310_12 Depth=1
	s_or_b32 exec_lo, exec_lo, s46
	s_delay_alu instid0(VALU_DEP_1) | instskip(NEXT) | instid1(VALU_DEP_2)
	v_dual_lshlrev_b32 v49, 16, v49 :: v_dual_lshlrev_b32 v20, 20, v20
	v_lshl_add_u32 v47, v47, 23, 0x3c000000
	s_delay_alu instid0(VALU_DEP_2) | instskip(NEXT) | instid1(VALU_DEP_1)
	v_and_b32_e32 v49, 0x80000000, v49
	v_or3_b32 v47, v20, v49, v47
.LBB310_111:                            ;   in Loop: Header=BB310_12 Depth=1
	s_or_b32 exec_lo, exec_lo, s45
.LBB310_112:                            ;   in Loop: Header=BB310_12 Depth=1
	s_delay_alu instid0(SALU_CYCLE_1)
	s_or_b32 exec_lo, exec_lo, s44
.LBB310_113:                            ;   in Loop: Header=BB310_12 Depth=1
	s_delay_alu instid0(SALU_CYCLE_1)
	s_or_b32 exec_lo, exec_lo, s43
	global_load_u16 v20, v[28:29], off offset:384
	v_mov_b32_e32 v49, 0
	s_wait_loadcnt 0x0
	v_and_b32_e32 v50, 0xff, v20
	v_and_b32_e32 v51, 0xffff, v20
	s_delay_alu instid0(VALU_DEP_2)
	v_cmp_ne_u16_e64 s5, 0, v50
	v_mov_b32_e32 v50, 0
	s_and_saveexec_b32 s43, s5
	s_cbranch_execz .LBB310_121
; %bb.114:                              ;   in Loop: Header=BB310_12 Depth=1
	v_and_b32_e32 v20, 0xff, v51
	v_bfrev_b32_e32 v50, 1
	s_mov_b32 s44, exec_lo
	s_delay_alu instid0(VALU_DEP_2)
	v_cmpx_ne_u16_e32 0x80, v20
	s_cbranch_execz .LBB310_120
; %bb.115:                              ;   in Loop: Header=BB310_12 Depth=1
	v_and_b32_e32 v52, 0x7f, v51
	v_mov_b32_e32 v50, 0x7f800001
	s_mov_b32 s45, exec_lo
	s_delay_alu instid0(VALU_DEP_2)
	v_cmpx_ne_u32_e32 0x7f, v52
	s_cbranch_execz .LBB310_119
; %bb.116:                              ;   in Loop: Header=BB310_12 Depth=1
	v_dual_lshrrev_b32 v50, 3, v52 :: v_dual_bitop2_b32 v20, 7, v51 bitop3:0x40
	s_mov_b32 s46, exec_lo
	v_cmpx_gt_u32_e32 8, v52
; %bb.117:                              ;   in Loop: Header=BB310_12 Depth=1
	s_delay_alu instid0(VALU_DEP_2) | instskip(NEXT) | instid1(VALU_DEP_1)
	v_clz_i32_u32_e32 v50, v20
	v_min_u32_e32 v50, 32, v50
	s_delay_alu instid0(VALU_DEP_1) | instskip(NEXT) | instid1(VALU_DEP_1)
	v_subrev_nc_u32_e32 v52, 28, v50
	v_lshlrev_b64_e32 v[52:53], v52, v[20:21]
	s_delay_alu instid0(VALU_DEP_1)
	v_dual_sub_nc_u32 v50, 29, v50 :: v_dual_bitop2_b32 v20, 7, v52 bitop3:0x40
; %bb.118:                              ;   in Loop: Header=BB310_12 Depth=1
	s_or_b32 exec_lo, exec_lo, s46
	s_delay_alu instid0(VALU_DEP_1) | instskip(NEXT) | instid1(VALU_DEP_2)
	v_dual_lshlrev_b32 v52, 24, v51 :: v_dual_lshlrev_b32 v20, 20, v20
	v_lshl_add_u32 v50, v50, 23, 0x3c000000
	s_delay_alu instid0(VALU_DEP_2) | instskip(NEXT) | instid1(VALU_DEP_1)
	v_and_b32_e32 v52, 0x80000000, v52
	v_or3_b32 v50, v20, v52, v50
.LBB310_119:                            ;   in Loop: Header=BB310_12 Depth=1
	s_or_b32 exec_lo, exec_lo, s45
.LBB310_120:                            ;   in Loop: Header=BB310_12 Depth=1
	s_delay_alu instid0(SALU_CYCLE_1)
	s_or_b32 exec_lo, exec_lo, s44
.LBB310_121:                            ;   in Loop: Header=BB310_12 Depth=1
	s_delay_alu instid0(SALU_CYCLE_1) | instskip(SKIP_2) | instid1(VALU_DEP_1)
	s_or_b32 exec_lo, exec_lo, s43
	v_lshrrev_b16 v20, 8, v51
	s_mov_b32 s43, exec_lo
	v_cmpx_ne_u16_e32 0, v20
	s_cbranch_execz .LBB310_129
; %bb.122:                              ;   in Loop: Header=BB310_12 Depth=1
	v_bfrev_b32_e32 v49, 1
	s_mov_b32 s44, exec_lo
	v_cmpx_ne_u16_e32 0x80, v20
	s_cbranch_execz .LBB310_128
; %bb.123:                              ;   in Loop: Header=BB310_12 Depth=1
	v_and_b32_e32 v20, 0xffff, v20
	v_mov_b32_e32 v49, 0x7f800001
	s_mov_b32 s45, exec_lo
	s_delay_alu instid0(VALU_DEP_2) | instskip(NEXT) | instid1(VALU_DEP_1)
	v_and_b32_e32 v52, 0x7f, v20
	v_cmpx_ne_u32_e32 0x7f, v52
	s_cbranch_execz .LBB310_127
; %bb.124:                              ;   in Loop: Header=BB310_12 Depth=1
	v_and_b32_e32 v20, 7, v20
	v_lshrrev_b32_e32 v49, 3, v52
	s_mov_b32 s46, exec_lo
	v_cmpx_gt_u32_e32 8, v52
; %bb.125:                              ;   in Loop: Header=BB310_12 Depth=1
	s_delay_alu instid0(VALU_DEP_3) | instskip(NEXT) | instid1(VALU_DEP_1)
	v_clz_i32_u32_e32 v49, v20
	v_min_u32_e32 v49, 32, v49
	s_delay_alu instid0(VALU_DEP_1) | instskip(NEXT) | instid1(VALU_DEP_1)
	v_subrev_nc_u32_e32 v52, 28, v49
	v_lshlrev_b64_e32 v[52:53], v52, v[20:21]
	s_delay_alu instid0(VALU_DEP_1)
	v_dual_sub_nc_u32 v49, 29, v49 :: v_dual_bitop2_b32 v20, 7, v52 bitop3:0x40
; %bb.126:                              ;   in Loop: Header=BB310_12 Depth=1
	s_or_b32 exec_lo, exec_lo, s46
	s_delay_alu instid0(VALU_DEP_1) | instskip(NEXT) | instid1(VALU_DEP_2)
	v_dual_lshlrev_b32 v51, 16, v51 :: v_dual_lshlrev_b32 v20, 20, v20
	v_lshl_add_u32 v49, v49, 23, 0x3c000000
	s_delay_alu instid0(VALU_DEP_2) | instskip(NEXT) | instid1(VALU_DEP_1)
	v_and_b32_e32 v51, 0x80000000, v51
	v_or3_b32 v49, v20, v51, v49
.LBB310_127:                            ;   in Loop: Header=BB310_12 Depth=1
	s_or_b32 exec_lo, exec_lo, s45
.LBB310_128:                            ;   in Loop: Header=BB310_12 Depth=1
	s_delay_alu instid0(SALU_CYCLE_1)
	s_or_b32 exec_lo, exec_lo, s44
.LBB310_129:                            ;   in Loop: Header=BB310_12 Depth=1
	s_delay_alu instid0(SALU_CYCLE_1)
	s_or_b32 exec_lo, exec_lo, s43
	global_load_u16 v20, v[28:29], off offset:392
	v_mov_b32_e32 v51, 0
	s_wait_loadcnt 0x0
	v_and_b32_e32 v52, 0xff, v20
	v_and_b32_e32 v53, 0xffff, v20
	s_delay_alu instid0(VALU_DEP_2)
	v_cmp_ne_u16_e64 s5, 0, v52
	v_mov_b32_e32 v52, 0
	s_and_saveexec_b32 s43, s5
	s_cbranch_execz .LBB310_137
; %bb.130:                              ;   in Loop: Header=BB310_12 Depth=1
	v_and_b32_e32 v20, 0xff, v53
	v_bfrev_b32_e32 v52, 1
	s_mov_b32 s44, exec_lo
	s_delay_alu instid0(VALU_DEP_2)
	v_cmpx_ne_u16_e32 0x80, v20
	s_cbranch_execz .LBB310_136
; %bb.131:                              ;   in Loop: Header=BB310_12 Depth=1
	v_and_b32_e32 v54, 0x7f, v53
	v_mov_b32_e32 v52, 0x7f800001
	s_mov_b32 s45, exec_lo
	s_delay_alu instid0(VALU_DEP_2)
	v_cmpx_ne_u32_e32 0x7f, v54
	s_cbranch_execz .LBB310_135
; %bb.132:                              ;   in Loop: Header=BB310_12 Depth=1
	v_dual_lshrrev_b32 v52, 3, v54 :: v_dual_bitop2_b32 v20, 7, v53 bitop3:0x40
	s_mov_b32 s46, exec_lo
	v_cmpx_gt_u32_e32 8, v54
; %bb.133:                              ;   in Loop: Header=BB310_12 Depth=1
	s_delay_alu instid0(VALU_DEP_2) | instskip(NEXT) | instid1(VALU_DEP_1)
	v_clz_i32_u32_e32 v52, v20
	v_min_u32_e32 v52, 32, v52
	s_delay_alu instid0(VALU_DEP_1) | instskip(NEXT) | instid1(VALU_DEP_1)
	v_subrev_nc_u32_e32 v54, 28, v52
	v_lshlrev_b64_e32 v[54:55], v54, v[20:21]
	s_delay_alu instid0(VALU_DEP_1)
	v_dual_sub_nc_u32 v52, 29, v52 :: v_dual_bitop2_b32 v20, 7, v54 bitop3:0x40
; %bb.134:                              ;   in Loop: Header=BB310_12 Depth=1
	s_or_b32 exec_lo, exec_lo, s46
	s_delay_alu instid0(VALU_DEP_1) | instskip(NEXT) | instid1(VALU_DEP_2)
	v_dual_lshlrev_b32 v54, 24, v53 :: v_dual_lshlrev_b32 v20, 20, v20
	v_lshl_add_u32 v52, v52, 23, 0x3c000000
	s_delay_alu instid0(VALU_DEP_2) | instskip(NEXT) | instid1(VALU_DEP_1)
	v_and_b32_e32 v54, 0x80000000, v54
	v_or3_b32 v52, v20, v54, v52
.LBB310_135:                            ;   in Loop: Header=BB310_12 Depth=1
	s_or_b32 exec_lo, exec_lo, s45
.LBB310_136:                            ;   in Loop: Header=BB310_12 Depth=1
	s_delay_alu instid0(SALU_CYCLE_1)
	s_or_b32 exec_lo, exec_lo, s44
.LBB310_137:                            ;   in Loop: Header=BB310_12 Depth=1
	s_delay_alu instid0(SALU_CYCLE_1) | instskip(SKIP_2) | instid1(VALU_DEP_1)
	s_or_b32 exec_lo, exec_lo, s43
	v_lshrrev_b16 v20, 8, v53
	s_mov_b32 s43, exec_lo
	v_cmpx_ne_u16_e32 0, v20
	s_cbranch_execz .LBB310_145
; %bb.138:                              ;   in Loop: Header=BB310_12 Depth=1
	v_bfrev_b32_e32 v51, 1
	s_mov_b32 s44, exec_lo
	v_cmpx_ne_u16_e32 0x80, v20
	s_cbranch_execz .LBB310_144
; %bb.139:                              ;   in Loop: Header=BB310_12 Depth=1
	v_and_b32_e32 v20, 0xffff, v20
	v_mov_b32_e32 v51, 0x7f800001
	s_mov_b32 s45, exec_lo
	s_delay_alu instid0(VALU_DEP_2) | instskip(NEXT) | instid1(VALU_DEP_1)
	v_and_b32_e32 v54, 0x7f, v20
	v_cmpx_ne_u32_e32 0x7f, v54
	s_cbranch_execz .LBB310_143
; %bb.140:                              ;   in Loop: Header=BB310_12 Depth=1
	v_dual_lshrrev_b32 v51, 3, v54 :: v_dual_bitop2_b32 v20, 7, v20 bitop3:0x40
	s_mov_b32 s46, exec_lo
	v_cmpx_gt_u32_e32 8, v54
; %bb.141:                              ;   in Loop: Header=BB310_12 Depth=1
	s_delay_alu instid0(VALU_DEP_2) | instskip(NEXT) | instid1(VALU_DEP_1)
	v_clz_i32_u32_e32 v51, v20
	v_min_u32_e32 v51, 32, v51
	s_delay_alu instid0(VALU_DEP_1) | instskip(NEXT) | instid1(VALU_DEP_1)
	v_subrev_nc_u32_e32 v54, 28, v51
	v_lshlrev_b64_e32 v[54:55], v54, v[20:21]
	s_delay_alu instid0(VALU_DEP_1)
	v_dual_sub_nc_u32 v51, 29, v51 :: v_dual_bitop2_b32 v20, 7, v54 bitop3:0x40
; %bb.142:                              ;   in Loop: Header=BB310_12 Depth=1
	s_or_b32 exec_lo, exec_lo, s46
	s_delay_alu instid0(VALU_DEP_1) | instskip(NEXT) | instid1(VALU_DEP_2)
	v_dual_lshlrev_b32 v53, 16, v53 :: v_dual_lshlrev_b32 v20, 20, v20
	v_lshl_add_u32 v51, v51, 23, 0x3c000000
	s_delay_alu instid0(VALU_DEP_2) | instskip(NEXT) | instid1(VALU_DEP_1)
	v_and_b32_e32 v53, 0x80000000, v53
	v_or3_b32 v51, v20, v53, v51
.LBB310_143:                            ;   in Loop: Header=BB310_12 Depth=1
	s_or_b32 exec_lo, exec_lo, s45
.LBB310_144:                            ;   in Loop: Header=BB310_12 Depth=1
	s_delay_alu instid0(SALU_CYCLE_1)
	s_or_b32 exec_lo, exec_lo, s44
.LBB310_145:                            ;   in Loop: Header=BB310_12 Depth=1
	s_delay_alu instid0(SALU_CYCLE_1)
	s_or_b32 exec_lo, exec_lo, s43
	global_load_u16 v20, v[28:29], off offset:512
	v_mov_b32_e32 v53, 0
	s_wait_loadcnt 0x0
	v_and_b32_e32 v54, 0xff, v20
	v_and_b32_e32 v55, 0xffff, v20
	s_delay_alu instid0(VALU_DEP_2)
	v_cmp_ne_u16_e64 s5, 0, v54
	v_mov_b32_e32 v54, 0
	s_and_saveexec_b32 s43, s5
	s_cbranch_execz .LBB310_153
; %bb.146:                              ;   in Loop: Header=BB310_12 Depth=1
	v_and_b32_e32 v20, 0xff, v55
	v_bfrev_b32_e32 v54, 1
	s_mov_b32 s44, exec_lo
	s_delay_alu instid0(VALU_DEP_2)
	v_cmpx_ne_u16_e32 0x80, v20
	s_cbranch_execz .LBB310_152
; %bb.147:                              ;   in Loop: Header=BB310_12 Depth=1
	v_and_b32_e32 v56, 0x7f, v55
	v_mov_b32_e32 v54, 0x7f800001
	s_mov_b32 s45, exec_lo
	s_delay_alu instid0(VALU_DEP_2)
	v_cmpx_ne_u32_e32 0x7f, v56
	s_cbranch_execz .LBB310_151
; %bb.148:                              ;   in Loop: Header=BB310_12 Depth=1
	v_dual_lshrrev_b32 v54, 3, v56 :: v_dual_bitop2_b32 v20, 7, v55 bitop3:0x40
	s_mov_b32 s46, exec_lo
	v_cmpx_gt_u32_e32 8, v56
; %bb.149:                              ;   in Loop: Header=BB310_12 Depth=1
	s_delay_alu instid0(VALU_DEP_2) | instskip(NEXT) | instid1(VALU_DEP_1)
	v_clz_i32_u32_e32 v54, v20
	v_min_u32_e32 v54, 32, v54
	s_delay_alu instid0(VALU_DEP_1) | instskip(NEXT) | instid1(VALU_DEP_1)
	v_subrev_nc_u32_e32 v56, 28, v54
	v_lshlrev_b64_e32 v[56:57], v56, v[20:21]
	s_delay_alu instid0(VALU_DEP_1)
	v_dual_sub_nc_u32 v54, 29, v54 :: v_dual_bitop2_b32 v20, 7, v56 bitop3:0x40
; %bb.150:                              ;   in Loop: Header=BB310_12 Depth=1
	s_or_b32 exec_lo, exec_lo, s46
	s_delay_alu instid0(VALU_DEP_1) | instskip(NEXT) | instid1(VALU_DEP_2)
	v_dual_lshlrev_b32 v56, 24, v55 :: v_dual_lshlrev_b32 v20, 20, v20
	v_lshl_add_u32 v54, v54, 23, 0x3c000000
	s_delay_alu instid0(VALU_DEP_2) | instskip(NEXT) | instid1(VALU_DEP_1)
	v_and_b32_e32 v56, 0x80000000, v56
	v_or3_b32 v54, v20, v56, v54
.LBB310_151:                            ;   in Loop: Header=BB310_12 Depth=1
	s_or_b32 exec_lo, exec_lo, s45
.LBB310_152:                            ;   in Loop: Header=BB310_12 Depth=1
	s_delay_alu instid0(SALU_CYCLE_1)
	s_or_b32 exec_lo, exec_lo, s44
.LBB310_153:                            ;   in Loop: Header=BB310_12 Depth=1
	s_delay_alu instid0(SALU_CYCLE_1) | instskip(SKIP_2) | instid1(VALU_DEP_1)
	s_or_b32 exec_lo, exec_lo, s43
	v_lshrrev_b16 v20, 8, v55
	s_mov_b32 s43, exec_lo
	v_cmpx_ne_u16_e32 0, v20
	s_cbranch_execz .LBB310_161
; %bb.154:                              ;   in Loop: Header=BB310_12 Depth=1
	v_bfrev_b32_e32 v53, 1
	s_mov_b32 s44, exec_lo
	v_cmpx_ne_u16_e32 0x80, v20
	s_cbranch_execz .LBB310_160
; %bb.155:                              ;   in Loop: Header=BB310_12 Depth=1
	v_and_b32_e32 v20, 0xffff, v20
	v_mov_b32_e32 v53, 0x7f800001
	s_mov_b32 s45, exec_lo
	s_delay_alu instid0(VALU_DEP_2) | instskip(NEXT) | instid1(VALU_DEP_1)
	v_and_b32_e32 v56, 0x7f, v20
	v_cmpx_ne_u32_e32 0x7f, v56
	s_cbranch_execz .LBB310_159
; %bb.156:                              ;   in Loop: Header=BB310_12 Depth=1
	v_and_b32_e32 v20, 7, v20
	v_lshrrev_b32_e32 v53, 3, v56
	s_mov_b32 s46, exec_lo
	v_cmpx_gt_u32_e32 8, v56
; %bb.157:                              ;   in Loop: Header=BB310_12 Depth=1
	s_delay_alu instid0(VALU_DEP_3) | instskip(NEXT) | instid1(VALU_DEP_1)
	v_clz_i32_u32_e32 v53, v20
	v_min_u32_e32 v53, 32, v53
	s_delay_alu instid0(VALU_DEP_1) | instskip(NEXT) | instid1(VALU_DEP_1)
	v_subrev_nc_u32_e32 v56, 28, v53
	v_lshlrev_b64_e32 v[56:57], v56, v[20:21]
	s_delay_alu instid0(VALU_DEP_1)
	v_dual_sub_nc_u32 v53, 29, v53 :: v_dual_bitop2_b32 v20, 7, v56 bitop3:0x40
; %bb.158:                              ;   in Loop: Header=BB310_12 Depth=1
	s_or_b32 exec_lo, exec_lo, s46
	s_delay_alu instid0(VALU_DEP_1) | instskip(NEXT) | instid1(VALU_DEP_2)
	v_dual_lshlrev_b32 v55, 16, v55 :: v_dual_lshlrev_b32 v20, 20, v20
	v_lshl_add_u32 v53, v53, 23, 0x3c000000
	s_delay_alu instid0(VALU_DEP_2) | instskip(NEXT) | instid1(VALU_DEP_1)
	v_and_b32_e32 v55, 0x80000000, v55
	v_or3_b32 v53, v20, v55, v53
.LBB310_159:                            ;   in Loop: Header=BB310_12 Depth=1
	s_or_b32 exec_lo, exec_lo, s45
.LBB310_160:                            ;   in Loop: Header=BB310_12 Depth=1
	s_delay_alu instid0(SALU_CYCLE_1)
	s_or_b32 exec_lo, exec_lo, s44
.LBB310_161:                            ;   in Loop: Header=BB310_12 Depth=1
	s_delay_alu instid0(SALU_CYCLE_1)
	s_or_b32 exec_lo, exec_lo, s43
	global_load_u16 v20, v[28:29], off offset:520
	v_mov_b32_e32 v55, 0
	s_wait_loadcnt 0x0
	v_and_b32_e32 v56, 0xff, v20
	v_and_b32_e32 v57, 0xffff, v20
	s_delay_alu instid0(VALU_DEP_2)
	v_cmp_ne_u16_e64 s5, 0, v56
	v_mov_b32_e32 v56, 0
	s_and_saveexec_b32 s43, s5
	s_cbranch_execz .LBB310_169
; %bb.162:                              ;   in Loop: Header=BB310_12 Depth=1
	v_and_b32_e32 v20, 0xff, v57
	v_bfrev_b32_e32 v56, 1
	s_mov_b32 s44, exec_lo
	s_delay_alu instid0(VALU_DEP_2)
	v_cmpx_ne_u16_e32 0x80, v20
	s_cbranch_execz .LBB310_168
; %bb.163:                              ;   in Loop: Header=BB310_12 Depth=1
	v_and_b32_e32 v58, 0x7f, v57
	v_mov_b32_e32 v56, 0x7f800001
	s_mov_b32 s45, exec_lo
	s_delay_alu instid0(VALU_DEP_2)
	v_cmpx_ne_u32_e32 0x7f, v58
	s_cbranch_execz .LBB310_167
; %bb.164:                              ;   in Loop: Header=BB310_12 Depth=1
	v_dual_lshrrev_b32 v56, 3, v58 :: v_dual_bitop2_b32 v20, 7, v57 bitop3:0x40
	s_mov_b32 s46, exec_lo
	v_cmpx_gt_u32_e32 8, v58
; %bb.165:                              ;   in Loop: Header=BB310_12 Depth=1
	s_delay_alu instid0(VALU_DEP_2) | instskip(NEXT) | instid1(VALU_DEP_1)
	v_clz_i32_u32_e32 v56, v20
	v_min_u32_e32 v56, 32, v56
	s_delay_alu instid0(VALU_DEP_1) | instskip(NEXT) | instid1(VALU_DEP_1)
	v_subrev_nc_u32_e32 v58, 28, v56
	v_lshlrev_b64_e32 v[58:59], v58, v[20:21]
	s_delay_alu instid0(VALU_DEP_1)
	v_dual_sub_nc_u32 v56, 29, v56 :: v_dual_bitop2_b32 v20, 7, v58 bitop3:0x40
; %bb.166:                              ;   in Loop: Header=BB310_12 Depth=1
	s_or_b32 exec_lo, exec_lo, s46
	s_delay_alu instid0(VALU_DEP_1) | instskip(NEXT) | instid1(VALU_DEP_2)
	v_dual_lshlrev_b32 v58, 24, v57 :: v_dual_lshlrev_b32 v20, 20, v20
	v_lshl_add_u32 v56, v56, 23, 0x3c000000
	s_delay_alu instid0(VALU_DEP_2) | instskip(NEXT) | instid1(VALU_DEP_1)
	v_and_b32_e32 v58, 0x80000000, v58
	v_or3_b32 v56, v20, v58, v56
.LBB310_167:                            ;   in Loop: Header=BB310_12 Depth=1
	s_or_b32 exec_lo, exec_lo, s45
.LBB310_168:                            ;   in Loop: Header=BB310_12 Depth=1
	s_delay_alu instid0(SALU_CYCLE_1)
	s_or_b32 exec_lo, exec_lo, s44
.LBB310_169:                            ;   in Loop: Header=BB310_12 Depth=1
	s_delay_alu instid0(SALU_CYCLE_1) | instskip(SKIP_2) | instid1(VALU_DEP_1)
	s_or_b32 exec_lo, exec_lo, s43
	v_lshrrev_b16 v20, 8, v57
	s_mov_b32 s43, exec_lo
	v_cmpx_ne_u16_e32 0, v20
	s_cbranch_execz .LBB310_177
; %bb.170:                              ;   in Loop: Header=BB310_12 Depth=1
	v_bfrev_b32_e32 v55, 1
	s_mov_b32 s44, exec_lo
	v_cmpx_ne_u16_e32 0x80, v20
	s_cbranch_execz .LBB310_176
; %bb.171:                              ;   in Loop: Header=BB310_12 Depth=1
	v_and_b32_e32 v20, 0xffff, v20
	v_mov_b32_e32 v55, 0x7f800001
	s_mov_b32 s45, exec_lo
	s_delay_alu instid0(VALU_DEP_2) | instskip(NEXT) | instid1(VALU_DEP_1)
	v_and_b32_e32 v58, 0x7f, v20
	v_cmpx_ne_u32_e32 0x7f, v58
	s_cbranch_execz .LBB310_175
; %bb.172:                              ;   in Loop: Header=BB310_12 Depth=1
	v_dual_lshrrev_b32 v55, 3, v58 :: v_dual_bitop2_b32 v20, 7, v20 bitop3:0x40
	s_mov_b32 s46, exec_lo
	v_cmpx_gt_u32_e32 8, v58
; %bb.173:                              ;   in Loop: Header=BB310_12 Depth=1
	s_delay_alu instid0(VALU_DEP_2) | instskip(NEXT) | instid1(VALU_DEP_1)
	v_clz_i32_u32_e32 v55, v20
	v_min_u32_e32 v55, 32, v55
	s_delay_alu instid0(VALU_DEP_1) | instskip(NEXT) | instid1(VALU_DEP_1)
	v_subrev_nc_u32_e32 v58, 28, v55
	v_lshlrev_b64_e32 v[58:59], v58, v[20:21]
	s_delay_alu instid0(VALU_DEP_1)
	v_dual_sub_nc_u32 v55, 29, v55 :: v_dual_bitop2_b32 v20, 7, v58 bitop3:0x40
; %bb.174:                              ;   in Loop: Header=BB310_12 Depth=1
	s_or_b32 exec_lo, exec_lo, s46
	s_delay_alu instid0(VALU_DEP_1) | instskip(NEXT) | instid1(VALU_DEP_2)
	v_dual_lshlrev_b32 v57, 16, v57 :: v_dual_lshlrev_b32 v20, 20, v20
	v_lshl_add_u32 v55, v55, 23, 0x3c000000
	s_delay_alu instid0(VALU_DEP_2) | instskip(NEXT) | instid1(VALU_DEP_1)
	v_and_b32_e32 v57, 0x80000000, v57
	v_or3_b32 v55, v20, v57, v55
.LBB310_175:                            ;   in Loop: Header=BB310_12 Depth=1
	s_or_b32 exec_lo, exec_lo, s45
.LBB310_176:                            ;   in Loop: Header=BB310_12 Depth=1
	s_delay_alu instid0(SALU_CYCLE_1)
	s_or_b32 exec_lo, exec_lo, s44
.LBB310_177:                            ;   in Loop: Header=BB310_12 Depth=1
	s_delay_alu instid0(SALU_CYCLE_1)
	s_or_b32 exec_lo, exec_lo, s43
	global_load_u16 v20, v[28:29], off offset:640
	v_mov_b32_e32 v57, 0
	s_wait_loadcnt 0x0
	v_and_b32_e32 v58, 0xff, v20
	v_and_b32_e32 v59, 0xffff, v20
	s_delay_alu instid0(VALU_DEP_2)
	v_cmp_ne_u16_e64 s5, 0, v58
	v_mov_b32_e32 v58, 0
	s_and_saveexec_b32 s43, s5
	s_cbranch_execz .LBB310_185
; %bb.178:                              ;   in Loop: Header=BB310_12 Depth=1
	v_and_b32_e32 v20, 0xff, v59
	v_bfrev_b32_e32 v58, 1
	s_mov_b32 s44, exec_lo
	s_delay_alu instid0(VALU_DEP_2)
	v_cmpx_ne_u16_e32 0x80, v20
	s_cbranch_execz .LBB310_184
; %bb.179:                              ;   in Loop: Header=BB310_12 Depth=1
	v_and_b32_e32 v60, 0x7f, v59
	v_mov_b32_e32 v58, 0x7f800001
	s_mov_b32 s45, exec_lo
	s_delay_alu instid0(VALU_DEP_2)
	v_cmpx_ne_u32_e32 0x7f, v60
	s_cbranch_execz .LBB310_183
; %bb.180:                              ;   in Loop: Header=BB310_12 Depth=1
	v_dual_lshrrev_b32 v58, 3, v60 :: v_dual_bitop2_b32 v20, 7, v59 bitop3:0x40
	s_mov_b32 s46, exec_lo
	v_cmpx_gt_u32_e32 8, v60
; %bb.181:                              ;   in Loop: Header=BB310_12 Depth=1
	s_delay_alu instid0(VALU_DEP_2) | instskip(NEXT) | instid1(VALU_DEP_1)
	v_clz_i32_u32_e32 v58, v20
	v_min_u32_e32 v58, 32, v58
	s_delay_alu instid0(VALU_DEP_1) | instskip(NEXT) | instid1(VALU_DEP_1)
	v_subrev_nc_u32_e32 v60, 28, v58
	v_lshlrev_b64_e32 v[60:61], v60, v[20:21]
	s_delay_alu instid0(VALU_DEP_1)
	v_dual_sub_nc_u32 v58, 29, v58 :: v_dual_bitop2_b32 v20, 7, v60 bitop3:0x40
; %bb.182:                              ;   in Loop: Header=BB310_12 Depth=1
	s_or_b32 exec_lo, exec_lo, s46
	s_delay_alu instid0(VALU_DEP_1) | instskip(NEXT) | instid1(VALU_DEP_2)
	v_dual_lshlrev_b32 v60, 24, v59 :: v_dual_lshlrev_b32 v20, 20, v20
	v_lshl_add_u32 v58, v58, 23, 0x3c000000
	s_delay_alu instid0(VALU_DEP_2) | instskip(NEXT) | instid1(VALU_DEP_1)
	v_and_b32_e32 v60, 0x80000000, v60
	v_or3_b32 v58, v20, v60, v58
.LBB310_183:                            ;   in Loop: Header=BB310_12 Depth=1
	s_or_b32 exec_lo, exec_lo, s45
.LBB310_184:                            ;   in Loop: Header=BB310_12 Depth=1
	s_delay_alu instid0(SALU_CYCLE_1)
	s_or_b32 exec_lo, exec_lo, s44
.LBB310_185:                            ;   in Loop: Header=BB310_12 Depth=1
	s_delay_alu instid0(SALU_CYCLE_1) | instskip(SKIP_2) | instid1(VALU_DEP_1)
	s_or_b32 exec_lo, exec_lo, s43
	v_lshrrev_b16 v20, 8, v59
	s_mov_b32 s43, exec_lo
	v_cmpx_ne_u16_e32 0, v20
	s_cbranch_execz .LBB310_193
; %bb.186:                              ;   in Loop: Header=BB310_12 Depth=1
	v_bfrev_b32_e32 v57, 1
	s_mov_b32 s44, exec_lo
	v_cmpx_ne_u16_e32 0x80, v20
	s_cbranch_execz .LBB310_192
; %bb.187:                              ;   in Loop: Header=BB310_12 Depth=1
	v_and_b32_e32 v20, 0xffff, v20
	v_mov_b32_e32 v57, 0x7f800001
	s_mov_b32 s45, exec_lo
	s_delay_alu instid0(VALU_DEP_2) | instskip(NEXT) | instid1(VALU_DEP_1)
	v_and_b32_e32 v60, 0x7f, v20
	v_cmpx_ne_u32_e32 0x7f, v60
	s_cbranch_execz .LBB310_191
; %bb.188:                              ;   in Loop: Header=BB310_12 Depth=1
	v_and_b32_e32 v20, 7, v20
	v_lshrrev_b32_e32 v57, 3, v60
	s_mov_b32 s46, exec_lo
	v_cmpx_gt_u32_e32 8, v60
; %bb.189:                              ;   in Loop: Header=BB310_12 Depth=1
	s_delay_alu instid0(VALU_DEP_3) | instskip(NEXT) | instid1(VALU_DEP_1)
	v_clz_i32_u32_e32 v57, v20
	v_min_u32_e32 v57, 32, v57
	s_delay_alu instid0(VALU_DEP_1) | instskip(NEXT) | instid1(VALU_DEP_1)
	v_subrev_nc_u32_e32 v60, 28, v57
	v_lshlrev_b64_e32 v[60:61], v60, v[20:21]
	s_delay_alu instid0(VALU_DEP_1)
	v_dual_sub_nc_u32 v57, 29, v57 :: v_dual_bitop2_b32 v20, 7, v60 bitop3:0x40
; %bb.190:                              ;   in Loop: Header=BB310_12 Depth=1
	s_or_b32 exec_lo, exec_lo, s46
	s_delay_alu instid0(VALU_DEP_1) | instskip(NEXT) | instid1(VALU_DEP_2)
	v_dual_lshlrev_b32 v59, 16, v59 :: v_dual_lshlrev_b32 v20, 20, v20
	v_lshl_add_u32 v57, v57, 23, 0x3c000000
	s_delay_alu instid0(VALU_DEP_2) | instskip(NEXT) | instid1(VALU_DEP_1)
	v_and_b32_e32 v59, 0x80000000, v59
	v_or3_b32 v57, v20, v59, v57
.LBB310_191:                            ;   in Loop: Header=BB310_12 Depth=1
	s_or_b32 exec_lo, exec_lo, s45
.LBB310_192:                            ;   in Loop: Header=BB310_12 Depth=1
	s_delay_alu instid0(SALU_CYCLE_1)
	s_or_b32 exec_lo, exec_lo, s44
.LBB310_193:                            ;   in Loop: Header=BB310_12 Depth=1
	s_delay_alu instid0(SALU_CYCLE_1)
	s_or_b32 exec_lo, exec_lo, s43
	global_load_u16 v20, v[28:29], off offset:648
	v_mov_b32_e32 v59, 0
	s_wait_loadcnt 0x0
	v_and_b32_e32 v60, 0xff, v20
	v_and_b32_e32 v61, 0xffff, v20
	s_delay_alu instid0(VALU_DEP_2)
	v_cmp_ne_u16_e64 s5, 0, v60
	v_mov_b32_e32 v60, 0
	s_and_saveexec_b32 s43, s5
	s_cbranch_execz .LBB310_201
; %bb.194:                              ;   in Loop: Header=BB310_12 Depth=1
	v_and_b32_e32 v20, 0xff, v61
	v_bfrev_b32_e32 v60, 1
	s_mov_b32 s44, exec_lo
	s_delay_alu instid0(VALU_DEP_2)
	v_cmpx_ne_u16_e32 0x80, v20
	s_cbranch_execz .LBB310_200
; %bb.195:                              ;   in Loop: Header=BB310_12 Depth=1
	v_and_b32_e32 v62, 0x7f, v61
	v_mov_b32_e32 v60, 0x7f800001
	s_mov_b32 s45, exec_lo
	s_delay_alu instid0(VALU_DEP_2)
	v_cmpx_ne_u32_e32 0x7f, v62
	s_cbranch_execz .LBB310_199
; %bb.196:                              ;   in Loop: Header=BB310_12 Depth=1
	v_dual_lshrrev_b32 v60, 3, v62 :: v_dual_bitop2_b32 v20, 7, v61 bitop3:0x40
	s_mov_b32 s46, exec_lo
	v_cmpx_gt_u32_e32 8, v62
; %bb.197:                              ;   in Loop: Header=BB310_12 Depth=1
	s_delay_alu instid0(VALU_DEP_2) | instskip(NEXT) | instid1(VALU_DEP_1)
	v_clz_i32_u32_e32 v60, v20
	v_min_u32_e32 v60, 32, v60
	s_delay_alu instid0(VALU_DEP_1) | instskip(NEXT) | instid1(VALU_DEP_1)
	v_subrev_nc_u32_e32 v62, 28, v60
	v_lshlrev_b64_e32 v[62:63], v62, v[20:21]
	s_delay_alu instid0(VALU_DEP_1)
	v_dual_sub_nc_u32 v60, 29, v60 :: v_dual_bitop2_b32 v20, 7, v62 bitop3:0x40
; %bb.198:                              ;   in Loop: Header=BB310_12 Depth=1
	s_or_b32 exec_lo, exec_lo, s46
	s_delay_alu instid0(VALU_DEP_1) | instskip(NEXT) | instid1(VALU_DEP_2)
	v_dual_lshlrev_b32 v62, 24, v61 :: v_dual_lshlrev_b32 v20, 20, v20
	v_lshl_add_u32 v60, v60, 23, 0x3c000000
	s_delay_alu instid0(VALU_DEP_2) | instskip(NEXT) | instid1(VALU_DEP_1)
	v_and_b32_e32 v62, 0x80000000, v62
	v_or3_b32 v60, v20, v62, v60
.LBB310_199:                            ;   in Loop: Header=BB310_12 Depth=1
	s_or_b32 exec_lo, exec_lo, s45
.LBB310_200:                            ;   in Loop: Header=BB310_12 Depth=1
	s_delay_alu instid0(SALU_CYCLE_1)
	s_or_b32 exec_lo, exec_lo, s44
.LBB310_201:                            ;   in Loop: Header=BB310_12 Depth=1
	s_delay_alu instid0(SALU_CYCLE_1) | instskip(SKIP_2) | instid1(VALU_DEP_1)
	s_or_b32 exec_lo, exec_lo, s43
	v_lshrrev_b16 v20, 8, v61
	s_mov_b32 s43, exec_lo
	v_cmpx_ne_u16_e32 0, v20
	s_cbranch_execz .LBB310_209
; %bb.202:                              ;   in Loop: Header=BB310_12 Depth=1
	v_bfrev_b32_e32 v59, 1
	s_mov_b32 s44, exec_lo
	v_cmpx_ne_u16_e32 0x80, v20
	s_cbranch_execz .LBB310_208
; %bb.203:                              ;   in Loop: Header=BB310_12 Depth=1
	v_and_b32_e32 v20, 0xffff, v20
	v_mov_b32_e32 v59, 0x7f800001
	s_mov_b32 s45, exec_lo
	s_delay_alu instid0(VALU_DEP_2) | instskip(NEXT) | instid1(VALU_DEP_1)
	v_and_b32_e32 v62, 0x7f, v20
	v_cmpx_ne_u32_e32 0x7f, v62
	s_cbranch_execz .LBB310_207
; %bb.204:                              ;   in Loop: Header=BB310_12 Depth=1
	v_dual_lshrrev_b32 v59, 3, v62 :: v_dual_bitop2_b32 v20, 7, v20 bitop3:0x40
	s_mov_b32 s46, exec_lo
	v_cmpx_gt_u32_e32 8, v62
; %bb.205:                              ;   in Loop: Header=BB310_12 Depth=1
	s_delay_alu instid0(VALU_DEP_2) | instskip(NEXT) | instid1(VALU_DEP_1)
	v_clz_i32_u32_e32 v59, v20
	v_min_u32_e32 v59, 32, v59
	s_delay_alu instid0(VALU_DEP_1) | instskip(NEXT) | instid1(VALU_DEP_1)
	v_subrev_nc_u32_e32 v62, 28, v59
	v_lshlrev_b64_e32 v[62:63], v62, v[20:21]
	s_delay_alu instid0(VALU_DEP_1)
	v_dual_sub_nc_u32 v59, 29, v59 :: v_dual_bitop2_b32 v20, 7, v62 bitop3:0x40
; %bb.206:                              ;   in Loop: Header=BB310_12 Depth=1
	s_or_b32 exec_lo, exec_lo, s46
	s_delay_alu instid0(VALU_DEP_1) | instskip(NEXT) | instid1(VALU_DEP_2)
	v_dual_lshlrev_b32 v61, 16, v61 :: v_dual_lshlrev_b32 v20, 20, v20
	v_lshl_add_u32 v59, v59, 23, 0x3c000000
	s_delay_alu instid0(VALU_DEP_2) | instskip(NEXT) | instid1(VALU_DEP_1)
	v_and_b32_e32 v61, 0x80000000, v61
	v_or3_b32 v59, v20, v61, v59
.LBB310_207:                            ;   in Loop: Header=BB310_12 Depth=1
	s_or_b32 exec_lo, exec_lo, s45
.LBB310_208:                            ;   in Loop: Header=BB310_12 Depth=1
	s_delay_alu instid0(SALU_CYCLE_1)
	s_or_b32 exec_lo, exec_lo, s44
.LBB310_209:                            ;   in Loop: Header=BB310_12 Depth=1
	s_delay_alu instid0(SALU_CYCLE_1)
	s_or_b32 exec_lo, exec_lo, s43
	global_load_u16 v20, v[28:29], off offset:768
	v_mov_b32_e32 v61, 0
	s_wait_loadcnt 0x0
	v_and_b32_e32 v62, 0xff, v20
	v_and_b32_e32 v63, 0xffff, v20
	s_delay_alu instid0(VALU_DEP_2)
	v_cmp_ne_u16_e64 s5, 0, v62
	v_mov_b32_e32 v62, 0
	s_and_saveexec_b32 s43, s5
	s_cbranch_execz .LBB310_217
; %bb.210:                              ;   in Loop: Header=BB310_12 Depth=1
	v_and_b32_e32 v20, 0xff, v63
	v_bfrev_b32_e32 v62, 1
	s_mov_b32 s44, exec_lo
	s_delay_alu instid0(VALU_DEP_2)
	v_cmpx_ne_u16_e32 0x80, v20
	s_cbranch_execz .LBB310_216
; %bb.211:                              ;   in Loop: Header=BB310_12 Depth=1
	v_and_b32_e32 v64, 0x7f, v63
	v_mov_b32_e32 v62, 0x7f800001
	s_mov_b32 s45, exec_lo
	s_delay_alu instid0(VALU_DEP_2)
	v_cmpx_ne_u32_e32 0x7f, v64
	s_cbranch_execz .LBB310_215
; %bb.212:                              ;   in Loop: Header=BB310_12 Depth=1
	v_dual_lshrrev_b32 v62, 3, v64 :: v_dual_bitop2_b32 v20, 7, v63 bitop3:0x40
	s_mov_b32 s46, exec_lo
	v_cmpx_gt_u32_e32 8, v64
; %bb.213:                              ;   in Loop: Header=BB310_12 Depth=1
	s_delay_alu instid0(VALU_DEP_2) | instskip(NEXT) | instid1(VALU_DEP_1)
	v_clz_i32_u32_e32 v62, v20
	v_min_u32_e32 v62, 32, v62
	s_delay_alu instid0(VALU_DEP_1) | instskip(NEXT) | instid1(VALU_DEP_1)
	v_subrev_nc_u32_e32 v64, 28, v62
	v_lshlrev_b64_e32 v[64:65], v64, v[20:21]
	s_delay_alu instid0(VALU_DEP_1)
	v_dual_sub_nc_u32 v62, 29, v62 :: v_dual_bitop2_b32 v20, 7, v64 bitop3:0x40
; %bb.214:                              ;   in Loop: Header=BB310_12 Depth=1
	s_or_b32 exec_lo, exec_lo, s46
	s_delay_alu instid0(VALU_DEP_1) | instskip(NEXT) | instid1(VALU_DEP_2)
	v_dual_lshlrev_b32 v64, 24, v63 :: v_dual_lshlrev_b32 v20, 20, v20
	v_lshl_add_u32 v62, v62, 23, 0x3c000000
	s_delay_alu instid0(VALU_DEP_2) | instskip(NEXT) | instid1(VALU_DEP_1)
	v_and_b32_e32 v64, 0x80000000, v64
	v_or3_b32 v62, v20, v64, v62
.LBB310_215:                            ;   in Loop: Header=BB310_12 Depth=1
	s_or_b32 exec_lo, exec_lo, s45
.LBB310_216:                            ;   in Loop: Header=BB310_12 Depth=1
	s_delay_alu instid0(SALU_CYCLE_1)
	s_or_b32 exec_lo, exec_lo, s44
.LBB310_217:                            ;   in Loop: Header=BB310_12 Depth=1
	s_delay_alu instid0(SALU_CYCLE_1) | instskip(SKIP_2) | instid1(VALU_DEP_1)
	s_or_b32 exec_lo, exec_lo, s43
	v_lshrrev_b16 v20, 8, v63
	s_mov_b32 s43, exec_lo
	v_cmpx_ne_u16_e32 0, v20
	s_cbranch_execz .LBB310_225
; %bb.218:                              ;   in Loop: Header=BB310_12 Depth=1
	v_bfrev_b32_e32 v61, 1
	s_mov_b32 s44, exec_lo
	v_cmpx_ne_u16_e32 0x80, v20
	s_cbranch_execz .LBB310_224
; %bb.219:                              ;   in Loop: Header=BB310_12 Depth=1
	v_and_b32_e32 v20, 0xffff, v20
	v_mov_b32_e32 v61, 0x7f800001
	s_mov_b32 s45, exec_lo
	s_delay_alu instid0(VALU_DEP_2) | instskip(NEXT) | instid1(VALU_DEP_1)
	v_and_b32_e32 v64, 0x7f, v20
	v_cmpx_ne_u32_e32 0x7f, v64
	s_cbranch_execz .LBB310_223
; %bb.220:                              ;   in Loop: Header=BB310_12 Depth=1
	v_and_b32_e32 v20, 7, v20
	v_lshrrev_b32_e32 v61, 3, v64
	s_mov_b32 s46, exec_lo
	v_cmpx_gt_u32_e32 8, v64
; %bb.221:                              ;   in Loop: Header=BB310_12 Depth=1
	s_delay_alu instid0(VALU_DEP_3) | instskip(NEXT) | instid1(VALU_DEP_1)
	v_clz_i32_u32_e32 v61, v20
	v_min_u32_e32 v61, 32, v61
	s_delay_alu instid0(VALU_DEP_1) | instskip(NEXT) | instid1(VALU_DEP_1)
	v_subrev_nc_u32_e32 v64, 28, v61
	v_lshlrev_b64_e32 v[64:65], v64, v[20:21]
	s_delay_alu instid0(VALU_DEP_1)
	v_dual_sub_nc_u32 v61, 29, v61 :: v_dual_bitop2_b32 v20, 7, v64 bitop3:0x40
; %bb.222:                              ;   in Loop: Header=BB310_12 Depth=1
	s_or_b32 exec_lo, exec_lo, s46
	s_delay_alu instid0(VALU_DEP_1) | instskip(NEXT) | instid1(VALU_DEP_2)
	v_dual_lshlrev_b32 v63, 16, v63 :: v_dual_lshlrev_b32 v20, 20, v20
	v_lshl_add_u32 v61, v61, 23, 0x3c000000
	s_delay_alu instid0(VALU_DEP_2) | instskip(NEXT) | instid1(VALU_DEP_1)
	v_and_b32_e32 v63, 0x80000000, v63
	v_or3_b32 v61, v20, v63, v61
.LBB310_223:                            ;   in Loop: Header=BB310_12 Depth=1
	s_or_b32 exec_lo, exec_lo, s45
.LBB310_224:                            ;   in Loop: Header=BB310_12 Depth=1
	s_delay_alu instid0(SALU_CYCLE_1)
	s_or_b32 exec_lo, exec_lo, s44
.LBB310_225:                            ;   in Loop: Header=BB310_12 Depth=1
	s_delay_alu instid0(SALU_CYCLE_1)
	s_or_b32 exec_lo, exec_lo, s43
	global_load_u16 v20, v[28:29], off offset:776
	v_mov_b32_e32 v63, 0
	s_wait_loadcnt 0x0
	v_and_b32_e32 v64, 0xff, v20
	v_and_b32_e32 v65, 0xffff, v20
	s_delay_alu instid0(VALU_DEP_2)
	v_cmp_ne_u16_e64 s5, 0, v64
	v_mov_b32_e32 v64, 0
	s_and_saveexec_b32 s43, s5
	s_cbranch_execz .LBB310_233
; %bb.226:                              ;   in Loop: Header=BB310_12 Depth=1
	v_and_b32_e32 v20, 0xff, v65
	v_bfrev_b32_e32 v64, 1
	s_mov_b32 s44, exec_lo
	s_delay_alu instid0(VALU_DEP_2)
	v_cmpx_ne_u16_e32 0x80, v20
	s_cbranch_execz .LBB310_232
; %bb.227:                              ;   in Loop: Header=BB310_12 Depth=1
	v_and_b32_e32 v66, 0x7f, v65
	v_mov_b32_e32 v64, 0x7f800001
	s_mov_b32 s45, exec_lo
	s_delay_alu instid0(VALU_DEP_2)
	v_cmpx_ne_u32_e32 0x7f, v66
	s_cbranch_execz .LBB310_231
; %bb.228:                              ;   in Loop: Header=BB310_12 Depth=1
	v_dual_lshrrev_b32 v64, 3, v66 :: v_dual_bitop2_b32 v20, 7, v65 bitop3:0x40
	s_mov_b32 s46, exec_lo
	v_cmpx_gt_u32_e32 8, v66
; %bb.229:                              ;   in Loop: Header=BB310_12 Depth=1
	s_delay_alu instid0(VALU_DEP_2) | instskip(NEXT) | instid1(VALU_DEP_1)
	v_clz_i32_u32_e32 v64, v20
	v_min_u32_e32 v64, 32, v64
	s_delay_alu instid0(VALU_DEP_1) | instskip(NEXT) | instid1(VALU_DEP_1)
	v_subrev_nc_u32_e32 v66, 28, v64
	v_lshlrev_b64_e32 v[66:67], v66, v[20:21]
	s_delay_alu instid0(VALU_DEP_1)
	v_dual_sub_nc_u32 v64, 29, v64 :: v_dual_bitop2_b32 v20, 7, v66 bitop3:0x40
; %bb.230:                              ;   in Loop: Header=BB310_12 Depth=1
	s_or_b32 exec_lo, exec_lo, s46
	s_delay_alu instid0(VALU_DEP_1) | instskip(NEXT) | instid1(VALU_DEP_2)
	v_dual_lshlrev_b32 v66, 24, v65 :: v_dual_lshlrev_b32 v20, 20, v20
	v_lshl_add_u32 v64, v64, 23, 0x3c000000
	s_delay_alu instid0(VALU_DEP_2) | instskip(NEXT) | instid1(VALU_DEP_1)
	v_and_b32_e32 v66, 0x80000000, v66
	v_or3_b32 v64, v20, v66, v64
.LBB310_231:                            ;   in Loop: Header=BB310_12 Depth=1
	s_or_b32 exec_lo, exec_lo, s45
.LBB310_232:                            ;   in Loop: Header=BB310_12 Depth=1
	s_delay_alu instid0(SALU_CYCLE_1)
	s_or_b32 exec_lo, exec_lo, s44
.LBB310_233:                            ;   in Loop: Header=BB310_12 Depth=1
	s_delay_alu instid0(SALU_CYCLE_1) | instskip(SKIP_2) | instid1(VALU_DEP_1)
	s_or_b32 exec_lo, exec_lo, s43
	v_lshrrev_b16 v20, 8, v65
	s_mov_b32 s43, exec_lo
	v_cmpx_ne_u16_e32 0, v20
	s_cbranch_execz .LBB310_241
; %bb.234:                              ;   in Loop: Header=BB310_12 Depth=1
	v_bfrev_b32_e32 v63, 1
	s_mov_b32 s44, exec_lo
	v_cmpx_ne_u16_e32 0x80, v20
	s_cbranch_execz .LBB310_240
; %bb.235:                              ;   in Loop: Header=BB310_12 Depth=1
	v_and_b32_e32 v20, 0xffff, v20
	v_mov_b32_e32 v63, 0x7f800001
	s_mov_b32 s45, exec_lo
	s_delay_alu instid0(VALU_DEP_2) | instskip(NEXT) | instid1(VALU_DEP_1)
	v_and_b32_e32 v66, 0x7f, v20
	v_cmpx_ne_u32_e32 0x7f, v66
	s_cbranch_execz .LBB310_239
; %bb.236:                              ;   in Loop: Header=BB310_12 Depth=1
	v_dual_lshrrev_b32 v63, 3, v66 :: v_dual_bitop2_b32 v20, 7, v20 bitop3:0x40
	s_mov_b32 s46, exec_lo
	v_cmpx_gt_u32_e32 8, v66
; %bb.237:                              ;   in Loop: Header=BB310_12 Depth=1
	s_delay_alu instid0(VALU_DEP_2) | instskip(NEXT) | instid1(VALU_DEP_1)
	v_clz_i32_u32_e32 v63, v20
	v_min_u32_e32 v63, 32, v63
	s_delay_alu instid0(VALU_DEP_1) | instskip(NEXT) | instid1(VALU_DEP_1)
	v_subrev_nc_u32_e32 v66, 28, v63
	v_lshlrev_b64_e32 v[66:67], v66, v[20:21]
	s_delay_alu instid0(VALU_DEP_1)
	v_dual_sub_nc_u32 v63, 29, v63 :: v_dual_bitop2_b32 v20, 7, v66 bitop3:0x40
; %bb.238:                              ;   in Loop: Header=BB310_12 Depth=1
	s_or_b32 exec_lo, exec_lo, s46
	s_delay_alu instid0(VALU_DEP_1) | instskip(NEXT) | instid1(VALU_DEP_2)
	v_dual_lshlrev_b32 v65, 16, v65 :: v_dual_lshlrev_b32 v20, 20, v20
	v_lshl_add_u32 v63, v63, 23, 0x3c000000
	s_delay_alu instid0(VALU_DEP_2) | instskip(NEXT) | instid1(VALU_DEP_1)
	v_and_b32_e32 v65, 0x80000000, v65
	v_or3_b32 v63, v20, v65, v63
.LBB310_239:                            ;   in Loop: Header=BB310_12 Depth=1
	s_or_b32 exec_lo, exec_lo, s45
.LBB310_240:                            ;   in Loop: Header=BB310_12 Depth=1
	s_delay_alu instid0(SALU_CYCLE_1)
	s_or_b32 exec_lo, exec_lo, s44
.LBB310_241:                            ;   in Loop: Header=BB310_12 Depth=1
	s_delay_alu instid0(SALU_CYCLE_1)
	s_or_b32 exec_lo, exec_lo, s43
	global_load_u16 v20, v[28:29], off offset:896
	v_mov_b32_e32 v65, 0
	s_wait_loadcnt 0x0
	v_and_b32_e32 v66, 0xff, v20
	v_and_b32_e32 v67, 0xffff, v20
	s_delay_alu instid0(VALU_DEP_2)
	v_cmp_ne_u16_e64 s5, 0, v66
	v_mov_b32_e32 v66, 0
	s_and_saveexec_b32 s43, s5
	s_cbranch_execz .LBB310_249
; %bb.242:                              ;   in Loop: Header=BB310_12 Depth=1
	v_and_b32_e32 v20, 0xff, v67
	v_bfrev_b32_e32 v66, 1
	s_mov_b32 s44, exec_lo
	s_delay_alu instid0(VALU_DEP_2)
	v_cmpx_ne_u16_e32 0x80, v20
	s_cbranch_execz .LBB310_248
; %bb.243:                              ;   in Loop: Header=BB310_12 Depth=1
	v_and_b32_e32 v68, 0x7f, v67
	v_mov_b32_e32 v66, 0x7f800001
	s_mov_b32 s45, exec_lo
	s_delay_alu instid0(VALU_DEP_2)
	v_cmpx_ne_u32_e32 0x7f, v68
	s_cbranch_execz .LBB310_247
; %bb.244:                              ;   in Loop: Header=BB310_12 Depth=1
	v_dual_lshrrev_b32 v66, 3, v68 :: v_dual_bitop2_b32 v20, 7, v67 bitop3:0x40
	s_mov_b32 s46, exec_lo
	v_cmpx_gt_u32_e32 8, v68
; %bb.245:                              ;   in Loop: Header=BB310_12 Depth=1
	s_delay_alu instid0(VALU_DEP_2) | instskip(NEXT) | instid1(VALU_DEP_1)
	v_clz_i32_u32_e32 v66, v20
	v_min_u32_e32 v66, 32, v66
	s_delay_alu instid0(VALU_DEP_1) | instskip(NEXT) | instid1(VALU_DEP_1)
	v_subrev_nc_u32_e32 v68, 28, v66
	v_lshlrev_b64_e32 v[68:69], v68, v[20:21]
	s_delay_alu instid0(VALU_DEP_1)
	v_dual_sub_nc_u32 v66, 29, v66 :: v_dual_bitop2_b32 v20, 7, v68 bitop3:0x40
; %bb.246:                              ;   in Loop: Header=BB310_12 Depth=1
	s_or_b32 exec_lo, exec_lo, s46
	s_delay_alu instid0(VALU_DEP_1) | instskip(NEXT) | instid1(VALU_DEP_2)
	v_dual_lshlrev_b32 v68, 24, v67 :: v_dual_lshlrev_b32 v20, 20, v20
	v_lshl_add_u32 v66, v66, 23, 0x3c000000
	s_delay_alu instid0(VALU_DEP_2) | instskip(NEXT) | instid1(VALU_DEP_1)
	v_and_b32_e32 v68, 0x80000000, v68
	v_or3_b32 v66, v20, v68, v66
.LBB310_247:                            ;   in Loop: Header=BB310_12 Depth=1
	s_or_b32 exec_lo, exec_lo, s45
.LBB310_248:                            ;   in Loop: Header=BB310_12 Depth=1
	s_delay_alu instid0(SALU_CYCLE_1)
	s_or_b32 exec_lo, exec_lo, s44
.LBB310_249:                            ;   in Loop: Header=BB310_12 Depth=1
	s_delay_alu instid0(SALU_CYCLE_1) | instskip(SKIP_2) | instid1(VALU_DEP_1)
	s_or_b32 exec_lo, exec_lo, s43
	v_lshrrev_b16 v20, 8, v67
	s_mov_b32 s43, exec_lo
	v_cmpx_ne_u16_e32 0, v20
	s_cbranch_execz .LBB310_257
; %bb.250:                              ;   in Loop: Header=BB310_12 Depth=1
	v_bfrev_b32_e32 v65, 1
	s_mov_b32 s44, exec_lo
	v_cmpx_ne_u16_e32 0x80, v20
	s_cbranch_execz .LBB310_256
; %bb.251:                              ;   in Loop: Header=BB310_12 Depth=1
	v_and_b32_e32 v20, 0xffff, v20
	v_mov_b32_e32 v65, 0x7f800001
	s_mov_b32 s45, exec_lo
	s_delay_alu instid0(VALU_DEP_2) | instskip(NEXT) | instid1(VALU_DEP_1)
	v_and_b32_e32 v68, 0x7f, v20
	v_cmpx_ne_u32_e32 0x7f, v68
	s_cbranch_execz .LBB310_255
; %bb.252:                              ;   in Loop: Header=BB310_12 Depth=1
	v_and_b32_e32 v20, 7, v20
	v_lshrrev_b32_e32 v65, 3, v68
	s_mov_b32 s46, exec_lo
	v_cmpx_gt_u32_e32 8, v68
; %bb.253:                              ;   in Loop: Header=BB310_12 Depth=1
	s_delay_alu instid0(VALU_DEP_3) | instskip(NEXT) | instid1(VALU_DEP_1)
	v_clz_i32_u32_e32 v65, v20
	v_min_u32_e32 v65, 32, v65
	s_delay_alu instid0(VALU_DEP_1) | instskip(NEXT) | instid1(VALU_DEP_1)
	v_subrev_nc_u32_e32 v68, 28, v65
	v_lshlrev_b64_e32 v[68:69], v68, v[20:21]
	s_delay_alu instid0(VALU_DEP_1)
	v_dual_sub_nc_u32 v65, 29, v65 :: v_dual_bitop2_b32 v20, 7, v68 bitop3:0x40
; %bb.254:                              ;   in Loop: Header=BB310_12 Depth=1
	s_or_b32 exec_lo, exec_lo, s46
	s_delay_alu instid0(VALU_DEP_1) | instskip(NEXT) | instid1(VALU_DEP_2)
	v_dual_lshlrev_b32 v67, 16, v67 :: v_dual_lshlrev_b32 v20, 20, v20
	v_lshl_add_u32 v65, v65, 23, 0x3c000000
	s_delay_alu instid0(VALU_DEP_2) | instskip(NEXT) | instid1(VALU_DEP_1)
	v_and_b32_e32 v67, 0x80000000, v67
	v_or3_b32 v65, v20, v67, v65
.LBB310_255:                            ;   in Loop: Header=BB310_12 Depth=1
	s_or_b32 exec_lo, exec_lo, s45
.LBB310_256:                            ;   in Loop: Header=BB310_12 Depth=1
	s_delay_alu instid0(SALU_CYCLE_1)
	s_or_b32 exec_lo, exec_lo, s44
.LBB310_257:                            ;   in Loop: Header=BB310_12 Depth=1
	s_delay_alu instid0(SALU_CYCLE_1)
	s_or_b32 exec_lo, exec_lo, s43
	global_load_u16 v20, v[28:29], off offset:904
	s_wait_xcnt 0x0
	v_mov_b32_e32 v28, 0
	s_wait_loadcnt 0x0
	v_and_b32_e32 v29, 0xff, v20
	v_and_b32_e32 v67, 0xffff, v20
	s_delay_alu instid0(VALU_DEP_2)
	v_cmp_ne_u16_e64 s5, 0, v29
	v_mov_b32_e32 v29, 0
	s_and_saveexec_b32 s43, s5
	s_cbranch_execz .LBB310_265
; %bb.258:                              ;   in Loop: Header=BB310_12 Depth=1
	v_and_b32_e32 v20, 0xff, v67
	v_bfrev_b32_e32 v29, 1
	s_mov_b32 s44, exec_lo
	s_delay_alu instid0(VALU_DEP_2)
	v_cmpx_ne_u16_e32 0x80, v20
	s_cbranch_execz .LBB310_264
; %bb.259:                              ;   in Loop: Header=BB310_12 Depth=1
	v_and_b32_e32 v68, 0x7f, v67
	v_mov_b32_e32 v29, 0x7f800001
	s_mov_b32 s45, exec_lo
	s_delay_alu instid0(VALU_DEP_2)
	v_cmpx_ne_u32_e32 0x7f, v68
	s_cbranch_execz .LBB310_263
; %bb.260:                              ;   in Loop: Header=BB310_12 Depth=1
	v_dual_lshrrev_b32 v29, 3, v68 :: v_dual_bitop2_b32 v20, 7, v67 bitop3:0x40
	s_mov_b32 s46, exec_lo
	v_cmpx_gt_u32_e32 8, v68
; %bb.261:                              ;   in Loop: Header=BB310_12 Depth=1
	s_delay_alu instid0(VALU_DEP_2) | instskip(NEXT) | instid1(VALU_DEP_1)
	v_clz_i32_u32_e32 v29, v20
	v_min_u32_e32 v29, 32, v29
	s_delay_alu instid0(VALU_DEP_1) | instskip(NEXT) | instid1(VALU_DEP_1)
	v_subrev_nc_u32_e32 v68, 28, v29
	v_lshlrev_b64_e32 v[68:69], v68, v[20:21]
	s_delay_alu instid0(VALU_DEP_1)
	v_dual_sub_nc_u32 v29, 29, v29 :: v_dual_bitop2_b32 v20, 7, v68 bitop3:0x40
; %bb.262:                              ;   in Loop: Header=BB310_12 Depth=1
	s_or_b32 exec_lo, exec_lo, s46
	s_delay_alu instid0(VALU_DEP_1) | instskip(NEXT) | instid1(VALU_DEP_2)
	v_dual_lshlrev_b32 v68, 24, v67 :: v_dual_lshlrev_b32 v20, 20, v20
	v_lshl_add_u32 v29, v29, 23, 0x3c000000
	s_delay_alu instid0(VALU_DEP_2) | instskip(NEXT) | instid1(VALU_DEP_1)
	v_and_b32_e32 v68, 0x80000000, v68
	v_or3_b32 v29, v20, v68, v29
.LBB310_263:                            ;   in Loop: Header=BB310_12 Depth=1
	s_or_b32 exec_lo, exec_lo, s45
.LBB310_264:                            ;   in Loop: Header=BB310_12 Depth=1
	s_delay_alu instid0(SALU_CYCLE_1)
	s_or_b32 exec_lo, exec_lo, s44
.LBB310_265:                            ;   in Loop: Header=BB310_12 Depth=1
	s_delay_alu instid0(SALU_CYCLE_1) | instskip(SKIP_2) | instid1(VALU_DEP_1)
	s_or_b32 exec_lo, exec_lo, s43
	v_lshrrev_b16 v20, 8, v67
	s_mov_b32 s43, exec_lo
	v_cmpx_ne_u16_e32 0, v20
	s_cbranch_execz .LBB310_273
; %bb.266:                              ;   in Loop: Header=BB310_12 Depth=1
	v_bfrev_b32_e32 v28, 1
	s_mov_b32 s44, exec_lo
	v_cmpx_ne_u16_e32 0x80, v20
	s_cbranch_execz .LBB310_272
; %bb.267:                              ;   in Loop: Header=BB310_12 Depth=1
	v_and_b32_e32 v20, 0xffff, v20
	v_mov_b32_e32 v28, 0x7f800001
	s_mov_b32 s45, exec_lo
	s_delay_alu instid0(VALU_DEP_2) | instskip(NEXT) | instid1(VALU_DEP_1)
	v_and_b32_e32 v68, 0x7f, v20
	v_cmpx_ne_u32_e32 0x7f, v68
	s_cbranch_execz .LBB310_271
; %bb.268:                              ;   in Loop: Header=BB310_12 Depth=1
	v_and_b32_e32 v20, 7, v20
	v_lshrrev_b32_e32 v28, 3, v68
	s_mov_b32 s46, exec_lo
	v_cmpx_gt_u32_e32 8, v68
; %bb.269:                              ;   in Loop: Header=BB310_12 Depth=1
	s_delay_alu instid0(VALU_DEP_3) | instskip(NEXT) | instid1(VALU_DEP_1)
	v_clz_i32_u32_e32 v28, v20
	v_min_u32_e32 v28, 32, v28
	s_delay_alu instid0(VALU_DEP_1) | instskip(SKIP_1) | instid1(VALU_DEP_2)
	v_subrev_nc_u32_e32 v68, 28, v28
	v_sub_nc_u32_e32 v28, 29, v28
	v_lshlrev_b64_e32 v[68:69], v68, v[20:21]
	s_delay_alu instid0(VALU_DEP_1)
	v_and_b32_e32 v20, 7, v68
; %bb.270:                              ;   in Loop: Header=BB310_12 Depth=1
	s_or_b32 exec_lo, exec_lo, s46
	s_delay_alu instid0(VALU_DEP_1) | instskip(SKIP_1) | instid1(VALU_DEP_2)
	v_dual_lshlrev_b32 v67, 16, v67 :: v_dual_lshlrev_b32 v20, 20, v20
	v_lshl_add_u32 v28, v28, 23, 0x3c000000
	v_and_b32_e32 v67, 0x80000000, v67
	s_delay_alu instid0(VALU_DEP_1)
	v_or3_b32 v28, v20, v67, v28
.LBB310_271:                            ;   in Loop: Header=BB310_12 Depth=1
	s_or_b32 exec_lo, exec_lo, s45
.LBB310_272:                            ;   in Loop: Header=BB310_12 Depth=1
	s_delay_alu instid0(SALU_CYCLE_1)
	s_or_b32 exec_lo, exec_lo, s44
.LBB310_273:                            ;   in Loop: Header=BB310_12 Depth=1
	s_delay_alu instid0(SALU_CYCLE_1)
	s_or_b32 exec_lo, exec_lo, s43
	s_wait_kmcnt 0x0
	v_fma_mixlo_bf16 v20, s42, v40, 0
	v_fma_mixlo_bf16 v39, s42, v39, 0
	s_wait_dscnt 0x3
	v_lshlrev_b32_e32 v40, 16, v15
	v_and_b32_e32 v15, 0xffff0000, v15
	v_fma_mixlo_bf16 v23, s42, v23, 0
	v_dual_lshlrev_b32 v20, 16, v20 :: v_dual_lshlrev_b32 v39, 16, v39
	v_fma_mixlo_bf16 v38, s42, v38, 0
	s_delay_alu instid0(VALU_DEP_2) | instskip(SKIP_2) | instid1(VALU_DEP_3)
	v_dual_mul_f32 v20, v40, v20 :: v_dual_mul_f32 v15, v15, v39
	v_fma_mixlo_bf16 v39, s42, v41, 0
	v_fma_mixlo_bf16 v40, s42, v42, 0
	v_fma_mix_f32_bf16 v20, v14, v38, v20 op_sel_hi:[1,1,0]
	s_delay_alu instid0(VALU_DEP_4)
	v_fma_mix_f32_bf16 v14, v14, v23, v15 op_sel:[1,0,0] op_sel_hi:[1,1,0]
	v_fma_mixlo_bf16 v15, s42, v43, 0
	v_fma_mixlo_bf16 v23, s42, v44, 0
	;; [unrolled: 1-line block ×3, first 2 shown]
	v_fma_mix_f32_bf16 v20, v16, v40, v20 op_sel_hi:[1,1,0]
	v_fma_mix_f32_bf16 v14, v16, v39, v14 op_sel:[1,0,0] op_sel_hi:[1,1,0]
	v_fma_mixlo_bf16 v16, s42, v45, 0
	s_delay_alu instid0(VALU_DEP_3) | instskip(NEXT) | instid1(VALU_DEP_3)
	v_fma_mix_f32_bf16 v20, v17, v23, v20 op_sel_hi:[1,1,0]
	v_fma_mix_f32_bf16 v14, v17, v15, v14 op_sel:[1,0,0] op_sel_hi:[1,1,0]
	v_fma_mixlo_bf16 v15, s42, v47, 0
	v_fma_mixlo_bf16 v17, s42, v48, 0
	s_wait_dscnt 0x2
	v_fma_mix_f32_bf16 v20, v10, v38, v20 op_sel_hi:[1,1,0]
	v_fma_mix_f32_bf16 v10, v10, v16, v14 op_sel:[1,0,0] op_sel_hi:[1,1,0]
	v_fma_mixlo_bf16 v14, s42, v49, 0
	v_fma_mixlo_bf16 v16, s42, v50, 0
	s_delay_alu instid0(VALU_DEP_4) | instskip(NEXT) | instid1(VALU_DEP_4)
	v_fma_mix_f32_bf16 v17, v11, v17, v20 op_sel_hi:[1,1,0]
	v_fma_mix_f32_bf16 v10, v11, v15, v10 op_sel:[1,0,0] op_sel_hi:[1,1,0]
	v_fma_mixlo_bf16 v11, s42, v51, 0
	v_fma_mixlo_bf16 v15, s42, v52, 0
	s_delay_alu instid0(VALU_DEP_4) | instskip(NEXT) | instid1(VALU_DEP_4)
	;; [unrolled: 5-line block ×3, first 2 shown]
	v_fma_mix_f32_bf16 v15, v13, v15, v16 op_sel_hi:[1,1,0]
	v_fma_mix_f32_bf16 v10, v13, v11, v10 op_sel:[1,0,0] op_sel_hi:[1,1,0]
	v_fma_mixlo_bf16 v11, s42, v55, 0
	v_fma_mixlo_bf16 v13, s42, v56, 0
	s_wait_dscnt 0x1
	v_fma_mix_f32_bf16 v14, v6, v14, v15 op_sel_hi:[1,1,0]
	v_fma_mix_f32_bf16 v6, v6, v12, v10 op_sel:[1,0,0] op_sel_hi:[1,1,0]
	v_fma_mixlo_bf16 v10, s42, v57, 0
	v_fma_mixlo_bf16 v12, s42, v58, 0
	s_delay_alu instid0(VALU_DEP_4) | instskip(NEXT) | instid1(VALU_DEP_4)
	v_fma_mix_f32_bf16 v13, v7, v13, v14 op_sel_hi:[1,1,0]
	v_fma_mix_f32_bf16 v6, v7, v11, v6 op_sel:[1,0,0] op_sel_hi:[1,1,0]
	v_fma_mixlo_bf16 v7, s42, v59, 0
	v_fma_mixlo_bf16 v11, s42, v60, 0
	s_delay_alu instid0(VALU_DEP_4) | instskip(NEXT) | instid1(VALU_DEP_4)
	;; [unrolled: 5-line block ×3, first 2 shown]
	v_fma_mix_f32_bf16 v11, v9, v11, v12 op_sel_hi:[1,1,0]
	v_fma_mix_f32_bf16 v6, v9, v7, v6 op_sel:[1,0,0] op_sel_hi:[1,1,0]
	v_fma_mixlo_bf16 v7, s42, v63, 0
	v_fma_mixlo_bf16 v9, s42, v64, 0
	s_wait_dscnt 0x0
	v_fma_mix_f32_bf16 v10, v2, v10, v11 op_sel_hi:[1,1,0]
	v_fma_mix_f32_bf16 v2, v2, v8, v6 op_sel:[1,0,0] op_sel_hi:[1,1,0]
	v_fma_mixlo_bf16 v6, s42, v65, 0
	v_fma_mixlo_bf16 v8, s42, v66, 0
	s_delay_alu instid0(VALU_DEP_4) | instskip(NEXT) | instid1(VALU_DEP_4)
	v_fma_mix_f32_bf16 v9, v3, v9, v10 op_sel_hi:[1,1,0]
	v_fma_mix_f32_bf16 v2, v3, v7, v2 op_sel:[1,0,0] op_sel_hi:[1,1,0]
	v_xor_b32_e32 v7, 2, v30
	v_fma_mixlo_bf16 v3, s42, v29, 0
	v_fma_mixlo_bf16 v10, s42, v28, 0
	v_fma_mix_f32_bf16 v8, v4, v8, v9 op_sel_hi:[1,1,0]
	v_fma_mix_f32_bf16 v2, v4, v6, v2 op_sel:[1,0,0] op_sel_hi:[1,1,0]
	v_cmp_gt_i32_e64 s5, 32, v7
	s_delay_alu instid0(VALU_DEP_3) | instskip(NEXT) | instid1(VALU_DEP_3)
	v_fma_mix_f32_bf16 v3, v5, v3, v8 op_sel_hi:[1,1,0]
	v_fma_mix_f32_bf16 v2, v5, v10, v2 op_sel:[1,0,0] op_sel_hi:[1,1,0]
	s_delay_alu instid0(VALU_DEP_1) | instskip(NEXT) | instid1(VALU_DEP_1)
	v_dual_cndmask_b32 v4, v30, v7, s5 :: v_dual_add_f32 v2, v3, v2
	v_lshlrev_b32_e32 v4, 2, v4
	ds_bpermute_b32 v3, v4, v2
	v_xor_b32_e32 v4, 1, v30
	s_delay_alu instid0(VALU_DEP_1) | instskip(NEXT) | instid1(VALU_DEP_1)
	v_cmp_gt_i32_e64 s5, 32, v4
	v_cndmask_b32_e64 v4, v30, v4, s5
	s_wait_dscnt 0x0
	s_delay_alu instid0(VALU_DEP_1)
	v_dual_lshlrev_b32 v4, 2, v4 :: v_dual_add_f32 v2, v2, v3
	ds_bpermute_b32 v3, v4, v2
	s_and_saveexec_b32 s42, s4
	s_cbranch_execz .LBB310_10
; %bb.274:                              ;   in Loop: Header=BB310_12 Depth=1
	v_add_nc_u32_e32 v4, v34, v22
	s_wait_dscnt 0x0
	v_add_f32_e32 v2, v2, v3
	s_delay_alu instid0(VALU_DEP_2) | instskip(NEXT) | instid1(VALU_DEP_1)
	v_cvt_f32_i32_e32 v4, v4
	v_mul_f32_e32 v4, s37, v4
	s_delay_alu instid0(VALU_DEP_1) | instskip(NEXT) | instid1(VALU_DEP_1)
	v_dual_cndmask_b32 v3, 0, v4 :: v_dual_max_num_f32 v4, v33, v33
	v_fmac_f32_e32 v3, s7, v2
	v_add_nc_u32_e32 v2, v31, v22
	s_delay_alu instid0(VALU_DEP_1) | instskip(NEXT) | instid1(VALU_DEP_3)
	v_cmp_gt_i32_e64 s5, s34, v2
	v_max_num_f32_e32 v4, v4, v3
	s_delay_alu instid0(VALU_DEP_1)
	v_dual_cndmask_b32 v33, v33, v4, s5 :: v_dual_cndmask_b32 v2, 0, v3, s5
	ds_store_b32 v35, v2
	s_branch .LBB310_10
.LBB310_275:
	s_or_b32 exec_lo, exec_lo, s41
.LBB310_276:
	s_delay_alu instid0(SALU_CYCLE_1)
	s_or_b32 exec_lo, exec_lo, s38
	v_dual_max_num_f32 v5, v33, v33 :: v_dual_bitop2_b32 v2, 16, v30 bitop3:0x14
	v_xor_b32_e32 v4, 8, v30
	s_clause 0x1
	s_load_b64 s[6:7], s[0:1], 0x0
	s_load_b64 s[8:9], s[0:1], 0x18
	v_and_b32_e32 v28, 31, v0
	v_cmp_gt_i32_e32 vcc_lo, 32, v2
	v_cndmask_b32_e32 v2, v30, v2, vcc_lo
	v_cmp_gt_i32_e32 vcc_lo, 32, v4
	s_delay_alu instid0(VALU_DEP_2) | instskip(SKIP_4) | instid1(VALU_DEP_1)
	v_dual_cndmask_b32 v4, v30, v4, vcc_lo :: v_dual_lshlrev_b32 v2, 2, v2
	s_wait_dscnt 0x0
	ds_bpermute_b32 v3, v2, v33
	s_wait_dscnt 0x0
	v_dual_max_num_f32 v6, v3, v3 :: v_dual_lshlrev_b32 v3, 2, v4
	v_max_num_f32_e32 v4, v5, v6
	ds_bpermute_b32 v5, v3, v4
	s_wait_dscnt 0x0
	v_dual_max_num_f32 v5, v5, v5 :: v_dual_bitop2_b32 v6, 4, v30 bitop3:0x14
	s_delay_alu instid0(VALU_DEP_1) | instskip(NEXT) | instid1(VALU_DEP_2)
	v_max_num_f32_e32 v5, v4, v5
	v_cmp_gt_i32_e32 vcc_lo, 32, v6
	v_dual_lshlrev_b32 v4, 2, v1 :: v_dual_cndmask_b32 v6, v30, v6, vcc_lo
	v_cmp_eq_u32_e32 vcc_lo, 0, v28
	s_delay_alu instid0(VALU_DEP_2)
	v_lshlrev_b32_e32 v6, 2, v6
	ds_bpermute_b32 v7, v6, v5
	s_wait_xcnt 0x0
	s_and_saveexec_b32 s0, vcc_lo
	s_cbranch_execz .LBB310_278
; %bb.277:
	s_wait_dscnt 0x0
	v_dual_max_num_f32 v7, v7, v7 :: v_dual_max_num_f32 v5, v5, v5
	s_delay_alu instid0(VALU_DEP_1)
	v_max_num_f32_e32 v5, v5, v7
	ds_store_b32 v4, v5 offset:256
.LBB310_278:
	s_or_b32 exec_lo, exec_lo, s0
	v_cmp_gt_u32_e64 s0, 4, v28
	v_dual_mov_b32 v8, 0xff7fffff :: v_dual_lshlrev_b32 v5, 2, v28
	s_wait_dscnt 0x0
	s_barrier_signal -1
	s_barrier_wait -1
	s_and_saveexec_b32 s1, s0
; %bb.279:
	ds_load_b32 v8, v5 offset:256
; %bb.280:
	s_or_b32 exec_lo, exec_lo, s1
	s_wait_dscnt 0x0
	v_dual_max_num_f32 v11, v8, v8 :: v_dual_bitop2_b32 v7, 2, v30 bitop3:0x14
	v_xor_b32_e32 v10, 1, v30
	s_delay_alu instid0(VALU_DEP_2) | instskip(NEXT) | instid1(VALU_DEP_1)
	v_cmp_gt_i32_e64 s1, 32, v7
	v_cndmask_b32_e64 v7, v30, v7, s1
	s_delay_alu instid0(VALU_DEP_3) | instskip(NEXT) | instid1(VALU_DEP_2)
	v_cmp_gt_i32_e64 s1, 32, v10
	v_lshlrev_b32_e32 v7, 2, v7
	ds_bpermute_b32 v9, v7, v8
	v_cndmask_b32_e64 v8, v30, v10, s1
	s_lshl_b32 s1, s35, 3
	s_delay_alu instid0(SALU_CYCLE_1) | instskip(NEXT) | instid1(SALU_CYCLE_1)
	s_min_i32 s5, s1, s34
	v_cmp_gt_i32_e64 s1, s5, v0
	s_wait_dscnt 0x0
	v_dual_max_num_f32 v9, v9, v9 :: v_dual_lshlrev_b32 v8, 2, v8
	s_delay_alu instid0(VALU_DEP_1) | instskip(SKIP_3) | instid1(VALU_DEP_1)
	v_max_num_f32_e32 v9, v11, v9
	ds_bpermute_b32 v10, v8, v9
	s_wait_dscnt 0x0
	v_max_num_f32_e32 v10, v10, v10
	v_dual_max_num_f32 v10, v9, v10 :: v_dual_mov_b32 v9, 0
	ds_bpermute_b32 v10, v9, v10
	s_and_saveexec_b32 s19, s1
	s_cbranch_execz .LBB310_284
; %bb.281:
	v_lshl_add_u32 v11, v0, 2, 0x120
	v_dual_mov_b32 v9, 0 :: v_dual_mov_b32 v12, v0
	s_mov_b32 s28, 0
.LBB310_282:                            ; =>This Inner Loop Header: Depth=1
	ds_load_b32 v13, v11
	v_add_nc_u32_e32 v12, 0x80, v12
	s_delay_alu instid0(VALU_DEP_1) | instskip(SKIP_3) | instid1(VALU_DEP_1)
	v_cmp_le_i32_e64 s4, s5, v12
	s_or_b32 s28, s4, s28
	s_wait_dscnt 0x0
	v_sub_f32_e32 v13, v13, v10
	v_mul_f32_e32 v13, 0x3fb8aa3b, v13
	s_delay_alu instid0(VALU_DEP_1)
	v_exp_f32_e32 v13, v13
	ds_store_b32 v11, v13
	v_nop
	v_add_f32_e32 v9, v9, v13
	v_add_nc_u32_e32 v11, 0x200, v11
	s_and_not1_b32 exec_lo, exec_lo, s28
	s_cbranch_execnz .LBB310_282
; %bb.283:
	s_or_b32 exec_lo, exec_lo, s28
.LBB310_284:
	s_delay_alu instid0(SALU_CYCLE_1)
	s_or_b32 exec_lo, exec_lo, s19
	ds_bpermute_b32 v2, v2, v9
	s_wait_dscnt 0x0
	v_add_f32_e32 v2, v9, v2
	ds_bpermute_b32 v3, v3, v2
	s_wait_dscnt 0x0
	v_add_f32_e32 v2, v2, v3
	;; [unrolled: 3-line block ×5, first 2 shown]
	s_and_saveexec_b32 s4, vcc_lo
; %bb.285:
	ds_store_b32 v4, v2 offset:272
; %bb.286:
	s_or_b32 exec_lo, exec_lo, s4
	s_wait_dscnt 0x0
	s_barrier_signal -1
	s_barrier_wait -1
	s_and_saveexec_b32 s4, s0
; %bb.287:
	ds_load_b32 v2, v5 offset:272
; %bb.288:
	s_or_b32 exec_lo, exec_lo, s4
	s_wait_dscnt 0x0
	ds_bpermute_b32 v3, v7, v2
	s_wait_dscnt 0x0
	v_add_f32_e32 v2, v2, v3
	ds_bpermute_b32 v3, v8, v2
	s_wait_dscnt 0x0
	v_dual_add_f32 v2, v2, v3 :: v_dual_mov_b32 v3, 0
	ds_bpermute_b32 v2, v3, v2
	s_and_saveexec_b32 s0, s1
	s_cbranch_execz .LBB310_301
; %bb.289:
	s_wait_dscnt 0x0
	v_add_f32_e32 v2, 0x358637bd, v2
	s_mov_b32 s4, -1
	s_mov_b32 s1, exec_lo
	s_delay_alu instid0(VALU_DEP_1) | instskip(NEXT) | instid1(VALU_DEP_1)
	v_div_scale_f32 v3, null, v2, v2, 1.0
	v_rcp_f32_e32 v5, v3
	v_nop
	s_delay_alu instid0(TRANS32_DEP_1) | instskip(NEXT) | instid1(VALU_DEP_1)
	v_fma_f32 v4, -v3, v5, 1.0
	v_fmac_f32_e32 v5, v4, v5
	v_div_scale_f32 v6, vcc_lo, 1.0, v2, 1.0
	s_delay_alu instid0(VALU_DEP_1) | instskip(NEXT) | instid1(VALU_DEP_1)
	v_mul_f32_e32 v7, v6, v5
	v_fma_f32 v4, -v3, v7, v6
	s_delay_alu instid0(VALU_DEP_1) | instskip(SKIP_1) | instid1(VALU_DEP_2)
	v_fmac_f32_e32 v7, v4, v5
	v_xad_u32 v4, v0, -1, s5
	v_fma_f32 v3, -v3, v7, v6
	s_delay_alu instid0(VALU_DEP_1) | instskip(NEXT) | instid1(VALU_DEP_1)
	v_div_fmas_f32 v3, v3, v5, v7
	v_div_fixup_f32 v2, v3, v2, 1.0
	v_mov_b32_e32 v3, v0
	v_cmpx_lt_u32_e32 0x7f, v4
	s_cbranch_execz .LBB310_298
; %bb.290:
	s_delay_alu instid0(VALU_DEP_3) | instskip(NEXT) | instid1(VALU_DEP_1)
	v_dual_mov_b32 v3, v2 :: v_dual_lshrrev_b32 v4, 7, v4
	v_dual_mov_b32 v8, 0 :: v_dual_add_nc_u32 v5, -1, v4
	s_delay_alu instid0(VALU_DEP_1) | instskip(SKIP_1) | instid1(VALU_DEP_2)
	v_lshrrev_b32_e32 v6, 1, v5
	v_cmp_lt_u32_e32 vcc_lo, 13, v5
	v_add_nc_u32_e32 v5, 1, v6
	s_and_saveexec_b32 s4, vcc_lo
	s_cbranch_execz .LBB310_294
; %bb.291:
	s_delay_alu instid0(VALU_DEP_1)
	v_and_b32_e32 v6, -8, v5
	v_lshl_add_u32 v7, v0, 2, 0x120
	s_mov_b32 s19, 0
	s_mov_b32 s28, 0
.LBB310_292:                            ; =>This Inner Loop Header: Depth=1
	ds_load_2addr_stride64_b32 v[8:9], v7 offset1:2
	ds_load_2addr_stride64_b32 v[10:11], v7 offset0:4 offset1:6
	ds_load_2addr_stride64_b32 v[12:13], v7 offset0:8 offset1:10
	ds_load_2addr_stride64_b32 v[14:15], v7 offset0:12 offset1:14
	ds_load_2addr_stride64_b32 v[16:17], v7 offset0:16 offset1:18
	ds_load_2addr_stride64_b32 v[20:21], v7 offset0:20 offset1:22
	ds_load_2addr_stride64_b32 v[22:23], v7 offset0:24 offset1:26
	ds_load_2addr_stride64_b32 v[24:25], v7 offset0:28 offset1:30
	s_add_co_i32 s28, s28, 16
	v_add_nc_u32_e32 v6, -8, v6
	s_wait_dscnt 0x7
	v_pk_mul_f32 v[8:9], v[2:3], v[8:9]
	s_wait_dscnt 0x6
	v_pk_mul_f32 v[10:11], v[2:3], v[10:11]
	;; [unrolled: 2-line block ×8, first 2 shown]
	ds_store_2addr_stride64_b32 v7, v8, v9 offset1:2
	ds_store_2addr_stride64_b32 v7, v10, v11 offset0:4 offset1:6
	ds_store_2addr_stride64_b32 v7, v12, v13 offset0:8 offset1:10
	;; [unrolled: 1-line block ×7, first 2 shown]
	v_mov_b32_e32 v8, s28
	v_cmp_eq_u32_e32 vcc_lo, 0, v6
	v_add_nc_u32_e32 v7, 0x2000, v7
	s_or_b32 s19, vcc_lo, s19
	s_delay_alu instid0(SALU_CYCLE_1)
	s_and_not1_b32 exec_lo, exec_lo, s19
	s_cbranch_execnz .LBB310_292
; %bb.293:
	s_or_b32 exec_lo, exec_lo, s19
.LBB310_294:
	s_delay_alu instid0(SALU_CYCLE_1) | instskip(NEXT) | instid1(VALU_DEP_1)
	s_or_b32 exec_lo, exec_lo, s4
	v_and_b32_e32 v5, 7, v5
	s_mov_b32 s19, 0
	s_mov_b32 s4, exec_lo
	s_delay_alu instid0(VALU_DEP_1)
	v_cmpx_ne_u32_e32 0, v5
	s_cbranch_execz .LBB310_297
; %bb.295:
	v_lshlrev_b32_e32 v6, 9, v8
	v_lshlrev_b32_e32 v7, 2, v0
	s_delay_alu instid0(VALU_DEP_1)
	v_add3_u32 v6, v6, v7, 0x120
.LBB310_296:                            ; =>This Inner Loop Header: Depth=1
	ds_load_2addr_stride64_b32 v[8:9], v6 offset1:2
	v_add_nc_u32_e32 v5, -1, v5
	s_delay_alu instid0(VALU_DEP_1)
	v_cmp_eq_u32_e32 vcc_lo, 0, v5
	s_or_b32 s19, vcc_lo, s19
	s_wait_dscnt 0x0
	v_pk_mul_f32 v[8:9], v[2:3], v[8:9]
	ds_store_2addr_stride64_b32 v6, v8, v9 offset1:2
	v_add_nc_u32_e32 v6, 0x400, v6
	s_and_not1_b32 exec_lo, exec_lo, s19
	s_cbranch_execnz .LBB310_296
.LBB310_297:
	s_or_b32 exec_lo, exec_lo, s4
	v_add_nc_u32_e32 v3, 1, v4
	s_delay_alu instid0(VALU_DEP_1) | instskip(NEXT) | instid1(VALU_DEP_1)
	v_and_b32_e32 v4, 0x3fffffe, v3
	v_cmp_ne_u32_e32 vcc_lo, v3, v4
	v_lshl_add_u32 v3, v4, 7, v0
	s_or_not1_b32 s4, vcc_lo, exec_lo
.LBB310_298:
	s_or_b32 exec_lo, exec_lo, s1
	s_delay_alu instid0(SALU_CYCLE_1)
	s_and_b32 exec_lo, exec_lo, s4
	s_cbranch_execz .LBB310_301
; %bb.299:
	v_lshl_add_u32 v4, v3, 2, 0x120
	s_mov_b32 s1, 0
.LBB310_300:                            ; =>This Inner Loop Header: Depth=1
	ds_load_b32 v5, v4
	v_add_nc_u32_e32 v3, 0x80, v3
	s_delay_alu instid0(VALU_DEP_1)
	v_cmp_le_i32_e32 vcc_lo, s5, v3
	s_or_b32 s1, vcc_lo, s1
	s_wait_dscnt 0x0
	v_mul_f32_e32 v5, v2, v5
	ds_store_b32 v4, v5
	v_add_nc_u32_e32 v4, 0x200, v4
	s_and_not1_b32 exec_lo, exec_lo, s1
	s_cbranch_execnz .LBB310_300
.LBB310_301:
	s_or_b32 exec_lo, exec_lo, s0
	v_mov_b64_e32 v[12:13], 0
	v_mov_b64_e32 v[10:11], 0
	s_wait_dscnt 0x0
	s_barrier_signal -1
	s_barrier_wait -1
	s_and_saveexec_b32 s1, s3
	s_cbranch_execz .LBB310_555
; %bb.302:
	s_abs_i32 s3, s14
	v_dual_mov_b32 v15, 0 :: v_dual_lshlrev_b32 v14, 3, v28
	s_cvt_f32_u32 s0, s3
	s_ashr_i32 s19, s18, 31
	s_lshl_b64 s[26:27], s[26:27], 2
	s_wait_kmcnt 0x0
	s_add_nc_u64 s[8:9], s[8:9], s[18:19]
	v_rcp_iflag_f32_e32 v2, s0
	v_add_nc_u64_e32 v[16:17], s[8:9], v[14:15]
	v_and_b32_e32 v14, 0x7c, v19
	s_add_nc_u64 s[8:9], s[24:25], s[26:27]
	s_sub_co_i32 s18, 0, s3
	v_mov_b64_e32 v[10:11], 0
	v_mov_b64_e32 v[12:13], 0
	v_readfirstlane_b32 s0, v2
	v_add_nc_u64_e32 v[20:21], s[8:9], v[14:15]
	v_lshl_add_u32 v29, v1, 5, 0x120
	v_mov_b32_e32 v30, v1
	s_mov_b32 s9, 0
	s_mul_f32 s0, s0, 0x4f7ffffe
	s_sub_co_i32 s13, s36, s13
	s_mov_b32 s14, s17
	s_add_co_i32 s17, s35, -1
	s_cvt_u32_f32 s0, s0
	s_mov_b64 s[4:5], 0xffffffffffffff
	s_delay_alu instid0(SALU_CYCLE_2) | instskip(NEXT) | instid1(SALU_CYCLE_1)
	s_mul_i32 s18, s18, s0
	s_mul_hi_u32 s8, s0, s18
	s_mov_b32 s18, s9
	s_add_co_i32 s8, s0, s8
	s_branch .LBB310_305
.LBB310_303:                            ;   in Loop: Header=BB310_305 Depth=1
	s_or_b32 exec_lo, exec_lo, s0
	s_wait_dscnt 0x1
	v_cvt_pk_bf16_f32 v6, v6, v7
	v_perm_b32 v7, v57, v58, 0x5040100
	v_cvt_pk_bf16_f32 v8, v8, v9
	v_perm_b32 v9, v55, v56, 0x5040100
	s_wait_dscnt 0x0
	v_cvt_pk_bf16_f32 v2, v2, v3
	v_perm_b32 v3, v53, v54, 0x5040100
	v_pk_mul_bf16 v7, v6, v7
	v_cvt_pk_bf16_f32 v40, v4, v5
	v_pk_mul_bf16 v9, v8, v9
	v_perm_b32 v4, v27, v26, 0x5040100
	v_pk_mul_bf16 v3, v2, v3
	v_lshlrev_b32_e32 v38, 16, v7
	v_and_b32_e32 v7, 0xffff0000, v7
	v_lshlrev_b32_e32 v39, 16, v9
	v_and_b32_e32 v9, 0xffff0000, v9
	v_pk_mul_bf16 v4, v40, v4
	v_perm_b32 v26, v49, v50, 0x5040100
	v_add_f32_e32 v5, v38, v7
	v_perm_b32 v38, v46, v45, 0x5040100
	v_dual_add_f32 v7, v39, v9 :: v_dual_lshlrev_b32 v9, 16, v3
	v_and_b32_e32 v3, 0xffff0000, v3
	v_perm_b32 v19, v31, v19, 0x5040100
	s_delay_alu instid0(VALU_DEP_3) | instskip(SKIP_1) | instid1(VALU_DEP_4)
	v_add_f32_e32 v5, v7, v5
	v_perm_b32 v7, v51, v52, 0x5040100
	v_dual_add_f32 v3, v9, v3 :: v_dual_lshlrev_b32 v9, 16, v4
	v_and_b32_e32 v4, 0xffff0000, v4
	s_delay_alu instid0(VALU_DEP_3) | instskip(NEXT) | instid1(VALU_DEP_3)
	v_pk_mul_bf16 v7, v6, v7
	v_add_f32_e32 v3, v3, v5
	v_pk_mul_bf16 v5, v8, v26
	s_delay_alu instid0(VALU_DEP_4)
	v_add_f32_e32 v4, v9, v4
	v_perm_b32 v9, v47, v48, 0x5040100
	v_lshlrev_b32_e32 v26, 16, v7
	v_and_b32_e32 v7, 0xffff0000, v7
	v_lshlrev_b32_e32 v27, 16, v5
	v_and_b32_e32 v5, 0xffff0000, v5
	v_pk_mul_bf16 v9, v2, v9
	v_add_f32_e32 v39, v4, v3
	v_add_f32_e32 v3, v26, v7
	v_perm_b32 v7, v36, v37, 0x5040100
	v_add_f32_e32 v4, v27, v5
	v_lshlrev_b32_e32 v5, 16, v9
	v_and_b32_e32 v9, 0xffff0000, v9
	v_pk_mul_bf16 v26, v40, v38
	v_pk_mul_bf16 v7, v6, v7
	v_add_f32_e32 v27, v4, v3
	v_perm_b32 v4, v32, v33, 0x5040100
	v_perm_b32 v3, v34, v35, 0x5040100
	v_add_f32_e32 v32, v5, v9
	v_perm_b32 v5, v24, v61, 0x5040100
	v_dual_lshlrev_b32 v33, 16, v26 :: v_dual_lshlrev_b32 v35, 16, v7
	v_pk_mul_bf16 v34, v2, v4
	v_perm_b32 v4, v60, v59, 0x5040100
	v_pk_mul_bf16 v3, v8, v3
	v_and_b32_e32 v36, 0xffff0000, v7
	v_perm_b32 v7, v14, v22, 0x5040100
	v_perm_b32 v9, v25, v23, 0x5040100
	v_pk_mul_bf16 v4, v6, v4
	v_pk_mul_bf16 v6, v8, v5
	v_lshlrev_b32_e32 v37, 16, v3
	v_and_b32_e32 v14, 0xffff0000, v3
	v_pk_mul_bf16 v8, v2, v7
	v_pk_mul_bf16 v22, v40, v9
	v_and_b32_e32 v3, 0xffff0000, v4
	v_lshlrev_b32_e32 v5, 16, v4
	v_and_b32_e32 v2, 0xffff0000, v6
	v_dual_lshlrev_b32 v4, 16, v6 :: v_dual_lshlrev_b32 v9, 16, v8
	v_and_b32_e32 v7, 0xffff0000, v8
	v_and_b32_e32 v6, 0xffff0000, v22
	v_dual_lshlrev_b32 v8, 16, v22 :: v_dual_add_f32 v22, v35, v36
	s_delay_alu instid0(VALU_DEP_4) | instskip(SKIP_1) | instid1(VALU_DEP_3)
	v_pk_add_f32 v[2:3], v[4:5], v[2:3]
	v_add_f32_e32 v14, v37, v14
	v_pk_add_f32 v[4:5], v[8:9], v[6:7]
	v_and_b32_e32 v6, 0xffff0000, v34
	s_delay_alu instid0(VALU_DEP_4) | instskip(SKIP_3) | instid1(VALU_DEP_4)
	v_add_f32_e32 v2, v2, v3
	v_pk_mul_bf16 v7, v40, v19
	v_lshlrev_b32_e32 v3, 16, v34
	v_and_b32_e32 v8, 0xffff0000, v26
	v_add_f32_e32 v2, v5, v2
	v_add_f32_e32 v5, v14, v22
	s_delay_alu instid0(VALU_DEP_4) | instskip(SKIP_1) | instid1(VALU_DEP_1)
	v_dual_add_f32 v3, v3, v6 :: v_dual_lshlrev_b32 v6, 16, v7
	v_and_b32_e32 v7, 0xffff0000, v7
	v_dual_add_f32 v8, v33, v8 :: v_dual_add_f32 v6, v6, v7
	s_delay_alu instid0(VALU_DEP_3) | instskip(SKIP_1) | instid1(VALU_DEP_2)
	v_dual_add_f32 v2, v4, v2 :: v_dual_add_f32 v5, v3, v5
	v_add_f32_e32 v4, v32, v27
	v_pk_add_f32 v[2:3], v[12:13], v[2:3] op_sel_hi:[1,0]
	s_delay_alu instid0(VALU_DEP_3) | instskip(NEXT) | instid1(VALU_DEP_3)
	v_dual_add_f32 v2, v12, v39 :: v_dual_add_f32 v5, v6, v5
	v_add_f32_e32 v4, v8, v4
	s_delay_alu instid0(VALU_DEP_2) | instskip(NEXT) | instid1(VALU_DEP_2)
	v_mov_b64_e32 v[12:13], v[2:3]
	v_dual_add_f32 v10, v10, v5 :: v_dual_add_f32 v11, v11, v4
.LBB310_304:                            ;   in Loop: Header=BB310_305 Depth=1
	s_or_b32 exec_lo, exec_lo, s19
	v_add_nc_u32_e32 v30, 4, v30
	v_add_nc_u64_e32 v[20:21], 16, v[20:21]
	v_add_nc_u32_e32 v18, 32, v18
	v_add_nc_u32_e32 v29, 0x80, v29
	s_delay_alu instid0(VALU_DEP_4) | instskip(SKIP_1) | instid1(SALU_CYCLE_1)
	v_cmp_le_i32_e32 vcc_lo, s35, v30
	s_or_b32 s18, vcc_lo, s18
	s_and_not1_b32 exec_lo, exec_lo, s18
	s_cbranch_execz .LBB310_554
.LBB310_305:                            ; =>This Inner Loop Header: Depth=1
	v_mov_b32_e32 v19, v15
	s_delay_alu instid0(VALU_DEP_1) | instskip(NEXT) | instid1(VALU_DEP_1)
	v_mul_u64_e32 v[2:3], s[22:23], v[18:19]
	v_mul_lo_u32 v2, v3, s16
	s_delay_alu instid0(VALU_DEP_1) | instskip(NEXT) | instid1(VALU_DEP_1)
	v_sub_nc_u32_e32 v2, v18, v2
	v_subrev_nc_u32_e32 v5, s16, v2
	v_cmp_le_u32_e32 vcc_lo, s16, v2
	s_delay_alu instid0(VALU_DEP_2) | instskip(NEXT) | instid1(VALU_DEP_1)
	v_dual_add_nc_u32 v4, 1, v3 :: v_dual_cndmask_b32 v2, v2, v5, vcc_lo
	v_cndmask_b32_e32 v3, v3, v4, vcc_lo
	s_delay_alu instid0(VALU_DEP_2) | instskip(NEXT) | instid1(VALU_DEP_2)
	v_cmp_le_u32_e32 vcc_lo, s16, v2
	v_add_nc_u32_e32 v4, 1, v3
	s_delay_alu instid0(VALU_DEP_1) | instskip(NEXT) | instid1(VALU_DEP_1)
	v_cndmask_b32_e32 v2, v3, v4, vcc_lo
	v_xor_b32_e32 v2, s15, v2
	s_delay_alu instid0(VALU_DEP_1) | instskip(NEXT) | instid1(VALU_DEP_1)
	v_subrev_nc_u32_e32 v4, s15, v2
	v_add_nc_u32_e32 v5, s21, v4
	v_cmp_lt_i32_e64 s0, s13, v4
	s_delay_alu instid0(VALU_DEP_2) | instskip(NEXT) | instid1(VALU_DEP_1)
	v_sub_nc_u32_e32 v2, 0, v5
	v_dual_ashrrev_i32 v5, 31, v5 :: v_dual_max_i32 v14, v5, v2
	s_delay_alu instid0(VALU_DEP_1) | instskip(NEXT) | instid1(VALU_DEP_1)
	v_mul_u64_e32 v[2:3], s[8:9], v[14:15]
	v_mul_lo_u32 v2, v3, s3
	s_delay_alu instid0(VALU_DEP_1) | instskip(NEXT) | instid1(VALU_DEP_1)
	v_sub_nc_u32_e32 v2, v14, v2
	v_subrev_nc_u32_e32 v3, s3, v2
	v_cmp_le_u32_e32 vcc_lo, s3, v2
	s_delay_alu instid0(VALU_DEP_2) | instskip(NEXT) | instid1(VALU_DEP_1)
	v_cndmask_b32_e32 v2, v2, v3, vcc_lo
	v_subrev_nc_u32_e32 v3, s3, v2
	v_cmp_le_u32_e32 vcc_lo, s3, v2
	s_delay_alu instid0(VALU_DEP_2) | instskip(NEXT) | instid1(VALU_DEP_1)
	v_cndmask_b32_e32 v2, v2, v3, vcc_lo
	v_xor_b32_e32 v2, v2, v5
	s_delay_alu instid0(VALU_DEP_1) | instskip(NEXT) | instid1(VALU_DEP_1)
	v_sub_nc_u32_e32 v2, v2, v5
	v_cmp_eq_u32_e32 vcc_lo, 0, v2
	s_or_b32 s0, vcc_lo, s0
	s_delay_alu instid0(SALU_CYCLE_1)
	s_and_saveexec_b32 s19, s0
	s_cbranch_execz .LBB310_304
; %bb.306:                              ;   in Loop: Header=BB310_305 Depth=1
	global_load_b32 v2, v[20:21], off
	v_dual_mov_b32 v31, 0 :: v_dual_mov_b32 v19, 0
	s_mov_b32 s0, exec_lo
	s_wait_loadcnt 0x0
	v_mad_nc_i64_i32 v[22:23], v2, s14, v[16:17]
	global_load_b64 v[24:25], v[22:23], off
	ds_load_2addr_b64 v[6:9], v29 offset1:1
	ds_load_2addr_b64 v[2:5], v29 offset0:2 offset1:3
	s_load_b32 s24, s[10:11], 0x0
	s_wait_loadcnt 0x0
	v_and_b32_e32 v14, 0xff, v24
	s_delay_alu instid0(VALU_DEP_1)
	v_cmpx_ne_u16_e32 0, v14
	s_cbranch_execz .LBB310_312
; %bb.307:                              ;   in Loop: Header=BB310_305 Depth=1
	v_bfrev_b32_e32 v19, 1
	s_mov_b32 s25, exec_lo
	v_cmpx_ne_u16_e32 0x80, v14
	s_cbranch_execz .LBB310_311
; %bb.308:                              ;   in Loop: Header=BB310_305 Depth=1
	v_and_b32_e32 v14, 0x7f, v24
	v_mov_b32_e32 v19, 0x7f800001
	s_mov_b32 s26, exec_lo
	s_delay_alu instid0(VALU_DEP_2)
	v_cmpx_ne_u32_e32 0x7f, v14
	s_cbranch_execz .LBB310_310
; %bb.309:                              ;   in Loop: Header=BB310_305 Depth=1
	v_dual_lshrrev_b32 v26, 3, v14 :: v_dual_bitop2_b32 v19, 7, v24 bitop3:0x40
	v_cmp_gt_u32_e32 vcc_lo, 8, v14
	s_delay_alu instid0(VALU_DEP_2) | instskip(NEXT) | instid1(VALU_DEP_1)
	v_clz_i32_u32_e32 v19, v19
	v_min_u32_e32 v19, 32, v19
	s_delay_alu instid0(VALU_DEP_1) | instskip(SKIP_1) | instid1(VALU_DEP_1)
	v_subrev_nc_u32_e32 v27, 28, v19
	v_sub_nc_u32_e32 v19, 29, v19
	v_cndmask_b32_e32 v14, v26, v19, vcc_lo
	s_delay_alu instid0(VALU_DEP_3) | instskip(NEXT) | instid1(VALU_DEP_1)
	v_cndmask_b32_e32 v19, 0, v27, vcc_lo
	v_lshlrev_b64_e32 v[26:27], v19, v[24:25]
	v_lshlrev_b32_e32 v19, 24, v24
	s_delay_alu instid0(VALU_DEP_4) | instskip(NEXT) | instid1(VALU_DEP_2)
	v_lshl_add_u32 v14, v14, 23, 0x3c000000
	v_and_b32_e32 v19, 0x80000000, v19
	s_delay_alu instid0(VALU_DEP_4) | instskip(NEXT) | instid1(VALU_DEP_1)
	v_lshlrev_b32_e32 v26, 20, v26
	v_and_b32_e32 v26, 0x700000, v26
	s_delay_alu instid0(VALU_DEP_1)
	v_or3_b32 v19, v26, v19, v14
.LBB310_310:                            ;   in Loop: Header=BB310_305 Depth=1
	s_or_b32 exec_lo, exec_lo, s26
.LBB310_311:                            ;   in Loop: Header=BB310_305 Depth=1
	s_delay_alu instid0(SALU_CYCLE_1)
	s_or_b32 exec_lo, exec_lo, s25
.LBB310_312:                            ;   in Loop: Header=BB310_305 Depth=1
	s_delay_alu instid0(SALU_CYCLE_1) | instskip(SKIP_2) | instid1(VALU_DEP_1)
	s_or_b32 exec_lo, exec_lo, s0
	v_lshrrev_b16 v14, 8, v24
	s_mov_b32 s0, exec_lo
	v_cmpx_ne_u16_e32 0, v14
	s_cbranch_execz .LBB310_320
; %bb.313:                              ;   in Loop: Header=BB310_305 Depth=1
	v_bfrev_b32_e32 v31, 1
	s_mov_b32 s25, exec_lo
	v_cmpx_ne_u16_e32 0x80, v14
	s_cbranch_execz .LBB310_319
; %bb.314:                              ;   in Loop: Header=BB310_305 Depth=1
	v_and_b32_e32 v14, 0xffff, v14
	v_mov_b32_e32 v31, 0x7f800001
	s_mov_b32 s26, exec_lo
	s_delay_alu instid0(VALU_DEP_2) | instskip(NEXT) | instid1(VALU_DEP_1)
	v_and_b32_e32 v27, 0x7f, v14
	v_cmpx_ne_u32_e32 0x7f, v27
	s_cbranch_execz .LBB310_318
; %bb.315:                              ;   in Loop: Header=BB310_305 Depth=1
	v_dual_lshrrev_b32 v26, 3, v27 :: v_dual_bitop2_b32 v14, 7, v14 bitop3:0x40
	s_mov_b32 s27, exec_lo
	v_cmpx_gt_u32_e32 8, v27
; %bb.316:                              ;   in Loop: Header=BB310_305 Depth=1
	s_delay_alu instid0(VALU_DEP_2) | instskip(NEXT) | instid1(VALU_DEP_1)
	v_clz_i32_u32_e32 v26, v14
	v_min_u32_e32 v26, 32, v26
	s_delay_alu instid0(VALU_DEP_1) | instskip(NEXT) | instid1(VALU_DEP_1)
	v_subrev_nc_u32_e32 v27, 28, v26
	v_lshlrev_b64_e32 v[32:33], v27, v[14:15]
	s_delay_alu instid0(VALU_DEP_1)
	v_dual_sub_nc_u32 v26, 29, v26 :: v_dual_bitop2_b32 v14, 7, v32 bitop3:0x40
; %bb.317:                              ;   in Loop: Header=BB310_305 Depth=1
	s_or_b32 exec_lo, exec_lo, s27
	s_delay_alu instid0(VALU_DEP_1) | instskip(NEXT) | instid1(VALU_DEP_2)
	v_dual_lshlrev_b32 v27, 16, v24 :: v_dual_lshlrev_b32 v14, 20, v14
	v_lshl_add_u32 v26, v26, 23, 0x3c000000
	s_delay_alu instid0(VALU_DEP_2) | instskip(NEXT) | instid1(VALU_DEP_1)
	v_and_b32_e32 v27, 0x80000000, v27
	v_or3_b32 v31, v14, v27, v26
.LBB310_318:                            ;   in Loop: Header=BB310_305 Depth=1
	s_or_b32 exec_lo, exec_lo, s26
.LBB310_319:                            ;   in Loop: Header=BB310_305 Depth=1
	s_delay_alu instid0(SALU_CYCLE_1)
	s_or_b32 exec_lo, exec_lo, s25
.LBB310_320:                            ;   in Loop: Header=BB310_305 Depth=1
	s_delay_alu instid0(SALU_CYCLE_1) | instskip(SKIP_3) | instid1(VALU_DEP_2)
	s_or_b32 exec_lo, exec_lo, s0
	v_dual_lshrrev_b32 v26, 16, v24 :: v_dual_mov_b32 v34, 0
	v_mov_b32_e32 v35, 0
	s_mov_b32 s0, exec_lo
	v_and_b32_e32 v14, 0xff, v26
	s_delay_alu instid0(VALU_DEP_1)
	v_cmpx_ne_u16_e32 0, v14
	s_cbranch_execz .LBB310_328
; %bb.321:                              ;   in Loop: Header=BB310_305 Depth=1
	v_bfrev_b32_e32 v35, 1
	s_mov_b32 s25, exec_lo
	v_cmpx_ne_u16_e32 0x80, v14
	s_cbranch_execz .LBB310_327
; %bb.322:                              ;   in Loop: Header=BB310_305 Depth=1
	v_bfe_u32 v32, v24, 16, 7
	v_mov_b32_e32 v35, 0x7f800001
	s_mov_b32 s26, exec_lo
	s_delay_alu instid0(VALU_DEP_2)
	v_cmpx_ne_u32_e32 0x7f, v32
	s_cbranch_execz .LBB310_326
; %bb.323:                              ;   in Loop: Header=BB310_305 Depth=1
	v_dual_lshrrev_b32 v27, 3, v32 :: v_dual_bitop2_b32 v14, 7, v26 bitop3:0x40
	s_mov_b32 s27, exec_lo
	v_cmpx_gt_u32_e32 8, v32
; %bb.324:                              ;   in Loop: Header=BB310_305 Depth=1
	s_delay_alu instid0(VALU_DEP_2) | instskip(NEXT) | instid1(VALU_DEP_1)
	v_clz_i32_u32_e32 v27, v14
	v_min_u32_e32 v27, 32, v27
	s_delay_alu instid0(VALU_DEP_1) | instskip(NEXT) | instid1(VALU_DEP_1)
	v_subrev_nc_u32_e32 v32, 28, v27
	v_lshlrev_b64_e32 v[32:33], v32, v[14:15]
	s_delay_alu instid0(VALU_DEP_1)
	v_dual_sub_nc_u32 v27, 29, v27 :: v_dual_bitop2_b32 v14, 7, v32 bitop3:0x40
; %bb.325:                              ;   in Loop: Header=BB310_305 Depth=1
	s_or_b32 exec_lo, exec_lo, s27
	v_lshlrev_b32_e32 v26, 24, v26
	s_delay_alu instid0(VALU_DEP_2) | instskip(NEXT) | instid1(VALU_DEP_3)
	v_lshlrev_b32_e32 v14, 20, v14
	v_lshl_add_u32 v27, v27, 23, 0x3c000000
	s_delay_alu instid0(VALU_DEP_3) | instskip(NEXT) | instid1(VALU_DEP_1)
	v_and_b32_e32 v26, 0x80000000, v26
	v_or3_b32 v35, v14, v26, v27
.LBB310_326:                            ;   in Loop: Header=BB310_305 Depth=1
	s_or_b32 exec_lo, exec_lo, s26
.LBB310_327:                            ;   in Loop: Header=BB310_305 Depth=1
	s_delay_alu instid0(SALU_CYCLE_1)
	s_or_b32 exec_lo, exec_lo, s25
.LBB310_328:                            ;   in Loop: Header=BB310_305 Depth=1
	s_delay_alu instid0(SALU_CYCLE_1) | instskip(NEXT) | instid1(SALU_CYCLE_1)
	s_or_b32 exec_lo, exec_lo, s0
	s_mov_b32 s0, exec_lo
	v_cmpx_lt_u32_e32 0xffffff, v24
	s_cbranch_execz .LBB310_336
; %bb.329:                              ;   in Loop: Header=BB310_305 Depth=1
	v_lshrrev_b32_e32 v26, 24, v24
	v_bfrev_b32_e32 v34, 1
	s_mov_b32 s25, exec_lo
	s_delay_alu instid0(VALU_DEP_2)
	v_cmpx_ne_u32_e32 0x80, v26
	s_cbranch_execz .LBB310_335
; %bb.330:                              ;   in Loop: Header=BB310_305 Depth=1
	v_bfe_u32 v32, v24, 24, 7
	v_mov_b32_e32 v34, 0x7f800001
	s_mov_b32 s26, exec_lo
	s_delay_alu instid0(VALU_DEP_2)
	v_cmpx_ne_u32_e32 0x7f, v32
	s_cbranch_execz .LBB310_334
; %bb.331:                              ;   in Loop: Header=BB310_305 Depth=1
	v_dual_lshrrev_b32 v27, 3, v32 :: v_dual_bitop2_b32 v14, 7, v26 bitop3:0x40
	s_mov_b32 s27, exec_lo
	v_cmpx_gt_u32_e32 8, v32
; %bb.332:                              ;   in Loop: Header=BB310_305 Depth=1
	s_delay_alu instid0(VALU_DEP_2) | instskip(NEXT) | instid1(VALU_DEP_1)
	v_clz_i32_u32_e32 v27, v14
	v_min_u32_e32 v27, 32, v27
	s_delay_alu instid0(VALU_DEP_1) | instskip(NEXT) | instid1(VALU_DEP_1)
	v_subrev_nc_u32_e32 v32, 28, v27
	v_lshlrev_b64_e32 v[32:33], v32, v[14:15]
	s_delay_alu instid0(VALU_DEP_1)
	v_dual_sub_nc_u32 v27, 29, v27 :: v_dual_bitop2_b32 v14, 7, v32 bitop3:0x40
; %bb.333:                              ;   in Loop: Header=BB310_305 Depth=1
	s_or_b32 exec_lo, exec_lo, s27
	v_lshlrev_b32_e32 v26, 24, v26
	s_delay_alu instid0(VALU_DEP_2) | instskip(NEXT) | instid1(VALU_DEP_3)
	v_lshlrev_b32_e32 v14, 20, v14
	v_lshl_add_u32 v27, v27, 23, 0x3c000000
	s_delay_alu instid0(VALU_DEP_3) | instskip(NEXT) | instid1(VALU_DEP_1)
	v_and_b32_e32 v26, 0x80000000, v26
	v_or3_b32 v34, v14, v26, v27
.LBB310_334:                            ;   in Loop: Header=BB310_305 Depth=1
	s_or_b32 exec_lo, exec_lo, s26
.LBB310_335:                            ;   in Loop: Header=BB310_305 Depth=1
	s_delay_alu instid0(SALU_CYCLE_1)
	s_or_b32 exec_lo, exec_lo, s25
.LBB310_336:                            ;   in Loop: Header=BB310_305 Depth=1
	s_delay_alu instid0(SALU_CYCLE_1) | instskip(SKIP_4) | instid1(VALU_DEP_3)
	s_or_b32 exec_lo, exec_lo, s0
	v_and_b32_e32 v27, 0xff, v25
	v_dual_mov_b32 v14, v25 :: v_dual_mov_b32 v26, 0
	v_mov_b32_e32 v33, 0
	s_mov_b32 s0, exec_lo
	v_cmpx_ne_u16_e32 0, v27
	s_cbranch_execz .LBB310_342
; %bb.337:                              ;   in Loop: Header=BB310_305 Depth=1
	v_bfrev_b32_e32 v33, 1
	s_mov_b32 s25, exec_lo
	v_cmpx_ne_u16_e32 0x80, v27
	s_cbranch_execz .LBB310_341
; %bb.338:                              ;   in Loop: Header=BB310_305 Depth=1
	v_and_b32_e32 v27, 0x7f, v25
	v_mov_b32_e32 v33, 0x7f800001
	s_mov_b32 s26, exec_lo
	s_delay_alu instid0(VALU_DEP_2)
	v_cmpx_ne_u32_e32 0x7f, v27
	s_cbranch_execz .LBB310_340
; %bb.339:                              ;   in Loop: Header=BB310_305 Depth=1
	v_dual_lshrrev_b32 v33, 3, v27 :: v_dual_bitop2_b32 v32, 7, v25 bitop3:0x40
	v_cmp_gt_u32_e32 vcc_lo, 8, v27
	s_delay_alu instid0(VALU_DEP_2) | instskip(NEXT) | instid1(VALU_DEP_1)
	v_clz_i32_u32_e32 v32, v32
	v_min_u32_e32 v32, 32, v32
	s_delay_alu instid0(VALU_DEP_1) | instskip(SKIP_1) | instid1(VALU_DEP_1)
	v_subrev_nc_u32_e32 v36, 28, v32
	v_sub_nc_u32_e32 v32, 29, v32
	v_cndmask_b32_e32 v27, v33, v32, vcc_lo
	s_delay_alu instid0(VALU_DEP_3) | instskip(NEXT) | instid1(VALU_DEP_1)
	v_cndmask_b32_e32 v32, 0, v36, vcc_lo
	v_lshlrev_b64_e32 v[32:33], v32, v[14:15]
	v_lshlrev_b32_e32 v33, 24, v14
	s_delay_alu instid0(VALU_DEP_1) | instskip(NEXT) | instid1(VALU_DEP_3)
	v_and_b32_e32 v33, 0x80000000, v33
	v_lshlrev_b32_e32 v32, 20, v32
	v_lshl_add_u32 v27, v27, 23, 0x3c000000
	s_delay_alu instid0(VALU_DEP_2) | instskip(NEXT) | instid1(VALU_DEP_1)
	v_and_b32_e32 v32, 0x700000, v32
	v_or3_b32 v33, v32, v33, v27
.LBB310_340:                            ;   in Loop: Header=BB310_305 Depth=1
	s_or_b32 exec_lo, exec_lo, s26
.LBB310_341:                            ;   in Loop: Header=BB310_305 Depth=1
	s_delay_alu instid0(SALU_CYCLE_1)
	s_or_b32 exec_lo, exec_lo, s25
.LBB310_342:                            ;   in Loop: Header=BB310_305 Depth=1
	s_delay_alu instid0(SALU_CYCLE_1) | instskip(SKIP_2) | instid1(VALU_DEP_1)
	s_or_b32 exec_lo, exec_lo, s0
	v_lshrrev_b16 v27, 8, v14
	s_mov_b32 s0, exec_lo
	v_cmpx_ne_u16_e32 0, v27
	s_cbranch_execz .LBB310_350
; %bb.343:                              ;   in Loop: Header=BB310_305 Depth=1
	v_bfrev_b32_e32 v26, 1
	s_mov_b32 s25, exec_lo
	v_cmpx_ne_u16_e32 0x80, v27
	s_cbranch_execz .LBB310_349
; %bb.344:                              ;   in Loop: Header=BB310_305 Depth=1
	v_and_b32_e32 v27, 0xffff, v27
	v_mov_b32_e32 v26, 0x7f800001
	s_mov_b32 s26, exec_lo
	s_delay_alu instid0(VALU_DEP_2) | instskip(NEXT) | instid1(VALU_DEP_1)
	v_and_b32_e32 v36, 0x7f, v27
	v_cmpx_ne_u32_e32 0x7f, v36
	s_cbranch_execz .LBB310_348
; %bb.345:                              ;   in Loop: Header=BB310_305 Depth=1
	v_dual_mov_b32 v27, v15 :: v_dual_bitop2_b32 v26, 7, v27 bitop3:0x40
	v_lshrrev_b32_e32 v32, 3, v36
	s_mov_b32 s27, exec_lo
	v_cmpx_gt_u32_e32 8, v36
; %bb.346:                              ;   in Loop: Header=BB310_305 Depth=1
	s_delay_alu instid0(VALU_DEP_3) | instskip(NEXT) | instid1(VALU_DEP_1)
	v_clz_i32_u32_e32 v32, v26
	v_min_u32_e32 v32, 32, v32
	s_delay_alu instid0(VALU_DEP_1) | instskip(NEXT) | instid1(VALU_DEP_1)
	v_subrev_nc_u32_e32 v36, 28, v32
	v_lshlrev_b64_e32 v[26:27], v36, v[26:27]
	s_delay_alu instid0(VALU_DEP_1)
	v_dual_sub_nc_u32 v32, 29, v32 :: v_dual_bitop2_b32 v26, 7, v26 bitop3:0x40
; %bb.347:                              ;   in Loop: Header=BB310_305 Depth=1
	s_or_b32 exec_lo, exec_lo, s27
	v_lshlrev_b32_e32 v14, 16, v14
	s_delay_alu instid0(VALU_DEP_2) | instskip(NEXT) | instid1(VALU_DEP_3)
	v_lshlrev_b32_e32 v26, 20, v26
	v_lshl_add_u32 v27, v32, 23, 0x3c000000
	s_delay_alu instid0(VALU_DEP_3) | instskip(NEXT) | instid1(VALU_DEP_1)
	v_and_b32_e32 v14, 0x80000000, v14
	v_or3_b32 v26, v26, v14, v27
.LBB310_348:                            ;   in Loop: Header=BB310_305 Depth=1
	s_or_b32 exec_lo, exec_lo, s26
.LBB310_349:                            ;   in Loop: Header=BB310_305 Depth=1
	s_delay_alu instid0(SALU_CYCLE_1)
	s_or_b32 exec_lo, exec_lo, s25
.LBB310_350:                            ;   in Loop: Header=BB310_305 Depth=1
	s_delay_alu instid0(SALU_CYCLE_1) | instskip(SKIP_3) | instid1(VALU_DEP_2)
	s_or_b32 exec_lo, exec_lo, s0
	v_dual_mov_b32 v27, 0 :: v_dual_lshrrev_b32 v32, 16, v25
	v_mov_b32_e32 v38, 0
	s_mov_b32 s0, exec_lo
	v_and_b32_e32 v14, 0xff, v32
	s_delay_alu instid0(VALU_DEP_1)
	v_cmpx_ne_u16_e32 0, v14
	s_cbranch_execz .LBB310_358
; %bb.351:                              ;   in Loop: Header=BB310_305 Depth=1
	v_bfrev_b32_e32 v38, 1
	s_mov_b32 s25, exec_lo
	v_cmpx_ne_u16_e32 0x80, v14
	s_cbranch_execz .LBB310_357
; %bb.352:                              ;   in Loop: Header=BB310_305 Depth=1
	v_bfe_u32 v37, v25, 16, 7
	v_mov_b32_e32 v38, 0x7f800001
	s_mov_b32 s26, exec_lo
	s_delay_alu instid0(VALU_DEP_2)
	v_cmpx_ne_u32_e32 0x7f, v37
	s_cbranch_execz .LBB310_356
; %bb.353:                              ;   in Loop: Header=BB310_305 Depth=1
	v_dual_lshrrev_b32 v36, 3, v37 :: v_dual_bitop2_b32 v14, 7, v32 bitop3:0x40
	s_mov_b32 s27, exec_lo
	v_cmpx_gt_u32_e32 8, v37
; %bb.354:                              ;   in Loop: Header=BB310_305 Depth=1
	s_delay_alu instid0(VALU_DEP_2) | instskip(NEXT) | instid1(VALU_DEP_1)
	v_clz_i32_u32_e32 v36, v14
	v_min_u32_e32 v36, 32, v36
	s_delay_alu instid0(VALU_DEP_1) | instskip(NEXT) | instid1(VALU_DEP_1)
	v_subrev_nc_u32_e32 v37, 28, v36
	v_lshlrev_b64_e32 v[38:39], v37, v[14:15]
	s_delay_alu instid0(VALU_DEP_1)
	v_dual_sub_nc_u32 v36, 29, v36 :: v_dual_bitop2_b32 v14, 7, v38 bitop3:0x40
; %bb.355:                              ;   in Loop: Header=BB310_305 Depth=1
	s_or_b32 exec_lo, exec_lo, s27
	s_delay_alu instid0(VALU_DEP_1) | instskip(NEXT) | instid1(VALU_DEP_2)
	v_dual_lshlrev_b32 v32, 24, v32 :: v_dual_lshlrev_b32 v14, 20, v14
	v_lshl_add_u32 v36, v36, 23, 0x3c000000
	s_delay_alu instid0(VALU_DEP_2) | instskip(NEXT) | instid1(VALU_DEP_1)
	v_and_b32_e32 v32, 0x80000000, v32
	v_or3_b32 v38, v14, v32, v36
.LBB310_356:                            ;   in Loop: Header=BB310_305 Depth=1
	s_or_b32 exec_lo, exec_lo, s26
.LBB310_357:                            ;   in Loop: Header=BB310_305 Depth=1
	s_delay_alu instid0(SALU_CYCLE_1)
	s_or_b32 exec_lo, exec_lo, s25
.LBB310_358:                            ;   in Loop: Header=BB310_305 Depth=1
	s_delay_alu instid0(SALU_CYCLE_1) | instskip(NEXT) | instid1(SALU_CYCLE_1)
	s_or_b32 exec_lo, exec_lo, s0
	s_mov_b32 s0, exec_lo
	v_cmpx_lt_u64_e64 s[4:5], v[24:25]
	s_cbranch_execz .LBB310_366
; %bb.359:                              ;   in Loop: Header=BB310_305 Depth=1
	v_lshrrev_b32_e32 v24, 24, v25
	v_bfrev_b32_e32 v27, 1
	s_mov_b32 s25, exec_lo
	s_delay_alu instid0(VALU_DEP_2)
	v_cmpx_ne_u32_e32 0x80, v24
	s_cbranch_execz .LBB310_365
; %bb.360:                              ;   in Loop: Header=BB310_305 Depth=1
	v_bfe_u32 v32, v25, 24, 7
	v_mov_b32_e32 v27, 0x7f800001
	s_mov_b32 s26, exec_lo
	s_delay_alu instid0(VALU_DEP_2)
	v_cmpx_ne_u32_e32 0x7f, v32
	s_cbranch_execz .LBB310_364
; %bb.361:                              ;   in Loop: Header=BB310_305 Depth=1
	v_and_b32_e32 v14, 7, v24
	v_lshrrev_b32_e32 v25, 3, v32
	s_mov_b32 s27, exec_lo
	v_cmpx_gt_u32_e32 8, v32
; %bb.362:                              ;   in Loop: Header=BB310_305 Depth=1
	s_delay_alu instid0(VALU_DEP_3) | instskip(NEXT) | instid1(VALU_DEP_1)
	v_clz_i32_u32_e32 v25, v14
	v_min_u32_e32 v25, 32, v25
	s_delay_alu instid0(VALU_DEP_1) | instskip(NEXT) | instid1(VALU_DEP_1)
	v_subrev_nc_u32_e32 v27, 28, v25
	v_lshlrev_b64_e32 v[36:37], v27, v[14:15]
	s_delay_alu instid0(VALU_DEP_1)
	v_dual_sub_nc_u32 v25, 29, v25 :: v_dual_bitop2_b32 v14, 7, v36 bitop3:0x40
; %bb.363:                              ;   in Loop: Header=BB310_305 Depth=1
	s_or_b32 exec_lo, exec_lo, s27
	s_delay_alu instid0(VALU_DEP_1) | instskip(NEXT) | instid1(VALU_DEP_2)
	v_dual_lshlrev_b32 v24, 24, v24 :: v_dual_lshlrev_b32 v14, 20, v14
	v_lshl_add_u32 v25, v25, 23, 0x3c000000
	s_delay_alu instid0(VALU_DEP_2) | instskip(NEXT) | instid1(VALU_DEP_1)
	v_and_b32_e32 v24, 0x80000000, v24
	v_or3_b32 v27, v14, v24, v25
.LBB310_364:                            ;   in Loop: Header=BB310_305 Depth=1
	s_or_b32 exec_lo, exec_lo, s26
.LBB310_365:                            ;   in Loop: Header=BB310_305 Depth=1
	s_delay_alu instid0(SALU_CYCLE_1)
	s_or_b32 exec_lo, exec_lo, s25
.LBB310_366:                            ;   in Loop: Header=BB310_305 Depth=1
	s_delay_alu instid0(SALU_CYCLE_1)
	s_or_b32 exec_lo, exec_lo, s0
	v_cmp_eq_u32_e32 vcc_lo, s17, v30
	s_wait_kmcnt 0x0
	v_fma_mixlo_bf16 v32, s24, v26, 0
	v_fma_mixlo_bf16 v33, s24, v33, 0
	;; [unrolled: 1-line block ×8, first 2 shown]
	v_dual_add_nc_u32 v44, 1, v18 :: v_dual_add_nc_u32 v43, 2, v18
	v_dual_add_nc_u32 v42, 3, v18 :: v_dual_add_nc_u32 v41, 4, v18
	;; [unrolled: 1-line block ×3, first 2 shown]
	v_add_nc_u32_e32 v38, 7, v18
	s_and_saveexec_b32 s25, vcc_lo
	s_cbranch_execz .LBB310_368
; %bb.367:                              ;   in Loop: Header=BB310_305 Depth=1
	v_cmp_gt_i32_e64 s0, s34, v18
	s_delay_alu instid0(VALU_DEP_1) | instskip(SKIP_1) | instid1(VALU_DEP_1)
	v_cndmask_b32_e64 v37, 0, v37, s0
	v_cmp_gt_i32_e64 s0, s34, v44
	v_cndmask_b32_e64 v36, 0, v36, s0
	v_cmp_gt_i32_e64 s0, s34, v43
	s_delay_alu instid0(VALU_DEP_1) | instskip(SKIP_1) | instid1(VALU_DEP_1)
	v_cndmask_b32_e64 v35, 0, v35, s0
	v_cmp_gt_i32_e64 s0, s34, v42
	v_cndmask_b32_e64 v34, 0, v34, s0
	;; [unrolled: 5-line block ×4, first 2 shown]
.LBB310_368:                            ;   in Loop: Header=BB310_305 Depth=1
	s_or_b32 exec_lo, exec_lo, s25
	global_load_b64 v[24:25], v[22:23], off offset:256
	v_dual_mov_b32 v46, 0 :: v_dual_mov_b32 v45, 0
	s_mov_b32 s25, exec_lo
	s_wait_loadcnt 0x0
	v_and_b32_e32 v14, 0xff, v24
	s_delay_alu instid0(VALU_DEP_1)
	v_cmpx_ne_u16_e32 0, v14
	s_cbranch_execz .LBB310_374
; %bb.369:                              ;   in Loop: Header=BB310_305 Depth=1
	v_bfrev_b32_e32 v45, 1
	s_mov_b32 s26, exec_lo
	v_cmpx_ne_u16_e32 0x80, v14
	s_cbranch_execz .LBB310_373
; %bb.370:                              ;   in Loop: Header=BB310_305 Depth=1
	v_and_b32_e32 v14, 0x7f, v24
	v_mov_b32_e32 v45, 0x7f800001
	s_mov_b32 s27, exec_lo
	s_delay_alu instid0(VALU_DEP_2)
	v_cmpx_ne_u32_e32 0x7f, v14
	s_cbranch_execz .LBB310_372
; %bb.371:                              ;   in Loop: Header=BB310_305 Depth=1
	v_dual_lshrrev_b32 v27, 3, v14 :: v_dual_bitop2_b32 v26, 7, v24 bitop3:0x40
	v_cmp_gt_u32_e64 s0, 8, v14
	s_delay_alu instid0(VALU_DEP_2) | instskip(NEXT) | instid1(VALU_DEP_1)
	v_clz_i32_u32_e32 v26, v26
	v_min_u32_e32 v26, 32, v26
	s_delay_alu instid0(VALU_DEP_1) | instskip(SKIP_1) | instid1(VALU_DEP_1)
	v_subrev_nc_u32_e32 v45, 28, v26
	v_sub_nc_u32_e32 v26, 29, v26
	v_dual_cndmask_b32 v14, v27, v26, s0 :: v_dual_cndmask_b32 v26, 0, v45, s0
	s_delay_alu instid0(VALU_DEP_1) | instskip(NEXT) | instid1(VALU_DEP_2)
	v_lshl_add_u32 v14, v14, 23, 0x3c000000
	v_lshlrev_b64_e32 v[26:27], v26, v[24:25]
	v_lshlrev_b32_e32 v27, 24, v24
	s_delay_alu instid0(VALU_DEP_1) | instskip(NEXT) | instid1(VALU_DEP_3)
	v_and_b32_e32 v27, 0x80000000, v27
	v_lshlrev_b32_e32 v26, 20, v26
	s_delay_alu instid0(VALU_DEP_1) | instskip(NEXT) | instid1(VALU_DEP_1)
	v_and_b32_e32 v26, 0x700000, v26
	v_or3_b32 v45, v26, v27, v14
.LBB310_372:                            ;   in Loop: Header=BB310_305 Depth=1
	s_or_b32 exec_lo, exec_lo, s27
.LBB310_373:                            ;   in Loop: Header=BB310_305 Depth=1
	s_delay_alu instid0(SALU_CYCLE_1)
	s_or_b32 exec_lo, exec_lo, s26
.LBB310_374:                            ;   in Loop: Header=BB310_305 Depth=1
	s_delay_alu instid0(SALU_CYCLE_1) | instskip(SKIP_2) | instid1(VALU_DEP_1)
	s_or_b32 exec_lo, exec_lo, s25
	v_lshrrev_b16 v14, 8, v24
	s_mov_b32 s25, exec_lo
	v_cmpx_ne_u16_e32 0, v14
	s_cbranch_execz .LBB310_382
; %bb.375:                              ;   in Loop: Header=BB310_305 Depth=1
	v_bfrev_b32_e32 v46, 1
	s_mov_b32 s26, exec_lo
	v_cmpx_ne_u16_e32 0x80, v14
	s_cbranch_execz .LBB310_381
; %bb.376:                              ;   in Loop: Header=BB310_305 Depth=1
	v_and_b32_e32 v14, 0xffff, v14
	v_mov_b32_e32 v46, 0x7f800001
	s_mov_b32 s27, exec_lo
	s_delay_alu instid0(VALU_DEP_2) | instskip(NEXT) | instid1(VALU_DEP_1)
	v_and_b32_e32 v27, 0x7f, v14
	v_cmpx_ne_u32_e32 0x7f, v27
	s_cbranch_execz .LBB310_380
; %bb.377:                              ;   in Loop: Header=BB310_305 Depth=1
	v_dual_lshrrev_b32 v26, 3, v27 :: v_dual_bitop2_b32 v14, 7, v14 bitop3:0x40
	s_mov_b32 s28, exec_lo
	v_cmpx_gt_u32_e32 8, v27
; %bb.378:                              ;   in Loop: Header=BB310_305 Depth=1
	s_delay_alu instid0(VALU_DEP_2) | instskip(NEXT) | instid1(VALU_DEP_1)
	v_clz_i32_u32_e32 v26, v14
	v_min_u32_e32 v26, 32, v26
	s_delay_alu instid0(VALU_DEP_1) | instskip(SKIP_1) | instid1(VALU_DEP_2)
	v_subrev_nc_u32_e32 v27, 28, v26
	v_sub_nc_u32_e32 v26, 29, v26
	v_lshlrev_b64_e32 v[46:47], v27, v[14:15]
	s_delay_alu instid0(VALU_DEP_1)
	v_and_b32_e32 v14, 7, v46
; %bb.379:                              ;   in Loop: Header=BB310_305 Depth=1
	s_or_b32 exec_lo, exec_lo, s28
	s_delay_alu instid0(VALU_DEP_1) | instskip(SKIP_1) | instid1(VALU_DEP_2)
	v_dual_lshlrev_b32 v27, 16, v24 :: v_dual_lshlrev_b32 v14, 20, v14
	v_lshl_add_u32 v26, v26, 23, 0x3c000000
	v_and_b32_e32 v27, 0x80000000, v27
	s_delay_alu instid0(VALU_DEP_1)
	v_or3_b32 v46, v14, v27, v26
.LBB310_380:                            ;   in Loop: Header=BB310_305 Depth=1
	s_or_b32 exec_lo, exec_lo, s27
.LBB310_381:                            ;   in Loop: Header=BB310_305 Depth=1
	s_delay_alu instid0(SALU_CYCLE_1)
	s_or_b32 exec_lo, exec_lo, s26
.LBB310_382:                            ;   in Loop: Header=BB310_305 Depth=1
	s_delay_alu instid0(SALU_CYCLE_1) | instskip(SKIP_3) | instid1(VALU_DEP_2)
	s_or_b32 exec_lo, exec_lo, s25
	v_dual_mov_b32 v49, 0 :: v_dual_lshrrev_b32 v26, 16, v24
	v_mov_b32_e32 v50, 0
	s_mov_b32 s25, exec_lo
	v_and_b32_e32 v14, 0xff, v26
	s_delay_alu instid0(VALU_DEP_1)
	v_cmpx_ne_u16_e32 0, v14
	s_cbranch_execz .LBB310_390
; %bb.383:                              ;   in Loop: Header=BB310_305 Depth=1
	v_bfrev_b32_e32 v50, 1
	s_mov_b32 s26, exec_lo
	v_cmpx_ne_u16_e32 0x80, v14
	s_cbranch_execz .LBB310_389
; %bb.384:                              ;   in Loop: Header=BB310_305 Depth=1
	v_bfe_u32 v47, v24, 16, 7
	v_mov_b32_e32 v50, 0x7f800001
	s_mov_b32 s27, exec_lo
	s_delay_alu instid0(VALU_DEP_2)
	v_cmpx_ne_u32_e32 0x7f, v47
	s_cbranch_execz .LBB310_388
; %bb.385:                              ;   in Loop: Header=BB310_305 Depth=1
	v_dual_lshrrev_b32 v27, 3, v47 :: v_dual_bitop2_b32 v14, 7, v26 bitop3:0x40
	s_mov_b32 s28, exec_lo
	v_cmpx_gt_u32_e32 8, v47
; %bb.386:                              ;   in Loop: Header=BB310_305 Depth=1
	s_delay_alu instid0(VALU_DEP_2) | instskip(NEXT) | instid1(VALU_DEP_1)
	v_clz_i32_u32_e32 v27, v14
	v_min_u32_e32 v27, 32, v27
	s_delay_alu instid0(VALU_DEP_1) | instskip(NEXT) | instid1(VALU_DEP_1)
	v_subrev_nc_u32_e32 v47, 28, v27
	v_lshlrev_b64_e32 v[50:51], v47, v[14:15]
	s_delay_alu instid0(VALU_DEP_1)
	v_dual_sub_nc_u32 v27, 29, v27 :: v_dual_bitop2_b32 v14, 7, v50 bitop3:0x40
; %bb.387:                              ;   in Loop: Header=BB310_305 Depth=1
	s_or_b32 exec_lo, exec_lo, s28
	v_lshlrev_b32_e32 v26, 24, v26
	s_delay_alu instid0(VALU_DEP_2) | instskip(NEXT) | instid1(VALU_DEP_3)
	v_lshlrev_b32_e32 v14, 20, v14
	v_lshl_add_u32 v27, v27, 23, 0x3c000000
	s_delay_alu instid0(VALU_DEP_3) | instskip(NEXT) | instid1(VALU_DEP_1)
	v_and_b32_e32 v26, 0x80000000, v26
	v_or3_b32 v50, v14, v26, v27
.LBB310_388:                            ;   in Loop: Header=BB310_305 Depth=1
	s_or_b32 exec_lo, exec_lo, s27
.LBB310_389:                            ;   in Loop: Header=BB310_305 Depth=1
	s_delay_alu instid0(SALU_CYCLE_1)
	s_or_b32 exec_lo, exec_lo, s26
.LBB310_390:                            ;   in Loop: Header=BB310_305 Depth=1
	s_delay_alu instid0(SALU_CYCLE_1) | instskip(NEXT) | instid1(SALU_CYCLE_1)
	s_or_b32 exec_lo, exec_lo, s25
	s_mov_b32 s25, exec_lo
	v_cmpx_lt_u32_e32 0xffffff, v24
	s_cbranch_execz .LBB310_398
; %bb.391:                              ;   in Loop: Header=BB310_305 Depth=1
	v_lshrrev_b32_e32 v26, 24, v24
	v_bfrev_b32_e32 v49, 1
	s_mov_b32 s26, exec_lo
	s_delay_alu instid0(VALU_DEP_2)
	v_cmpx_ne_u32_e32 0x80, v26
	s_cbranch_execz .LBB310_397
; %bb.392:                              ;   in Loop: Header=BB310_305 Depth=1
	v_bfe_u32 v47, v24, 24, 7
	v_mov_b32_e32 v49, 0x7f800001
	s_mov_b32 s27, exec_lo
	s_delay_alu instid0(VALU_DEP_2)
	v_cmpx_ne_u32_e32 0x7f, v47
	s_cbranch_execz .LBB310_396
; %bb.393:                              ;   in Loop: Header=BB310_305 Depth=1
	v_dual_lshrrev_b32 v27, 3, v47 :: v_dual_bitop2_b32 v14, 7, v26 bitop3:0x40
	s_mov_b32 s28, exec_lo
	v_cmpx_gt_u32_e32 8, v47
; %bb.394:                              ;   in Loop: Header=BB310_305 Depth=1
	s_delay_alu instid0(VALU_DEP_2) | instskip(NEXT) | instid1(VALU_DEP_1)
	v_clz_i32_u32_e32 v27, v14
	v_min_u32_e32 v27, 32, v27
	s_delay_alu instid0(VALU_DEP_1) | instskip(NEXT) | instid1(VALU_DEP_1)
	v_subrev_nc_u32_e32 v47, 28, v27
	v_lshlrev_b64_e32 v[48:49], v47, v[14:15]
	s_delay_alu instid0(VALU_DEP_1)
	v_dual_sub_nc_u32 v27, 29, v27 :: v_dual_bitop2_b32 v14, 7, v48 bitop3:0x40
; %bb.395:                              ;   in Loop: Header=BB310_305 Depth=1
	s_or_b32 exec_lo, exec_lo, s28
	v_lshlrev_b32_e32 v26, 24, v26
	s_delay_alu instid0(VALU_DEP_2) | instskip(NEXT) | instid1(VALU_DEP_3)
	v_lshlrev_b32_e32 v14, 20, v14
	v_lshl_add_u32 v27, v27, 23, 0x3c000000
	s_delay_alu instid0(VALU_DEP_3) | instskip(NEXT) | instid1(VALU_DEP_1)
	v_and_b32_e32 v26, 0x80000000, v26
	v_or3_b32 v49, v14, v26, v27
.LBB310_396:                            ;   in Loop: Header=BB310_305 Depth=1
	s_or_b32 exec_lo, exec_lo, s27
.LBB310_397:                            ;   in Loop: Header=BB310_305 Depth=1
	s_delay_alu instid0(SALU_CYCLE_1)
	s_or_b32 exec_lo, exec_lo, s26
.LBB310_398:                            ;   in Loop: Header=BB310_305 Depth=1
	s_delay_alu instid0(SALU_CYCLE_1) | instskip(SKIP_4) | instid1(VALU_DEP_3)
	s_or_b32 exec_lo, exec_lo, s25
	v_and_b32_e32 v27, 0xff, v25
	v_dual_mov_b32 v14, v25 :: v_dual_mov_b32 v26, 0
	v_mov_b32_e32 v48, 0
	s_mov_b32 s25, exec_lo
	v_cmpx_ne_u16_e32 0, v27
	s_cbranch_execz .LBB310_404
; %bb.399:                              ;   in Loop: Header=BB310_305 Depth=1
	v_bfrev_b32_e32 v48, 1
	s_mov_b32 s26, exec_lo
	v_cmpx_ne_u16_e32 0x80, v27
	s_cbranch_execz .LBB310_403
; %bb.400:                              ;   in Loop: Header=BB310_305 Depth=1
	v_and_b32_e32 v27, 0x7f, v25
	v_mov_b32_e32 v48, 0x7f800001
	s_mov_b32 s27, exec_lo
	s_delay_alu instid0(VALU_DEP_2)
	v_cmpx_ne_u32_e32 0x7f, v27
	s_cbranch_execz .LBB310_402
; %bb.401:                              ;   in Loop: Header=BB310_305 Depth=1
	v_dual_lshrrev_b32 v48, 3, v27 :: v_dual_bitop2_b32 v47, 7, v25 bitop3:0x40
	v_cmp_gt_u32_e64 s0, 8, v27
	s_delay_alu instid0(VALU_DEP_2) | instskip(NEXT) | instid1(VALU_DEP_1)
	v_clz_i32_u32_e32 v47, v47
	v_min_u32_e32 v47, 32, v47
	s_delay_alu instid0(VALU_DEP_1) | instskip(SKIP_1) | instid1(VALU_DEP_1)
	v_subrev_nc_u32_e32 v51, 28, v47
	v_sub_nc_u32_e32 v47, 29, v47
	v_cndmask_b32_e64 v27, v48, v47, s0
	s_delay_alu instid0(VALU_DEP_3) | instskip(NEXT) | instid1(VALU_DEP_1)
	v_cndmask_b32_e64 v47, 0, v51, s0
	v_lshlrev_b64_e32 v[52:53], v47, v[14:15]
	v_lshlrev_b32_e32 v47, 24, v14
	s_delay_alu instid0(VALU_DEP_4) | instskip(NEXT) | instid1(VALU_DEP_2)
	v_lshl_add_u32 v27, v27, 23, 0x3c000000
	v_and_b32_e32 v47, 0x80000000, v47
	s_delay_alu instid0(VALU_DEP_4) | instskip(NEXT) | instid1(VALU_DEP_1)
	v_lshlrev_b32_e32 v48, 20, v52
	v_and_b32_e32 v48, 0x700000, v48
	s_delay_alu instid0(VALU_DEP_1)
	v_or3_b32 v48, v48, v47, v27
.LBB310_402:                            ;   in Loop: Header=BB310_305 Depth=1
	s_or_b32 exec_lo, exec_lo, s27
.LBB310_403:                            ;   in Loop: Header=BB310_305 Depth=1
	s_delay_alu instid0(SALU_CYCLE_1)
	s_or_b32 exec_lo, exec_lo, s26
.LBB310_404:                            ;   in Loop: Header=BB310_305 Depth=1
	s_delay_alu instid0(SALU_CYCLE_1) | instskip(SKIP_2) | instid1(VALU_DEP_1)
	s_or_b32 exec_lo, exec_lo, s25
	v_lshrrev_b16 v27, 8, v14
	s_mov_b32 s25, exec_lo
	v_cmpx_ne_u16_e32 0, v27
	s_cbranch_execz .LBB310_412
; %bb.405:                              ;   in Loop: Header=BB310_305 Depth=1
	v_bfrev_b32_e32 v26, 1
	s_mov_b32 s26, exec_lo
	v_cmpx_ne_u16_e32 0x80, v27
	s_cbranch_execz .LBB310_411
; %bb.406:                              ;   in Loop: Header=BB310_305 Depth=1
	v_and_b32_e32 v27, 0xffff, v27
	v_mov_b32_e32 v26, 0x7f800001
	s_mov_b32 s27, exec_lo
	s_delay_alu instid0(VALU_DEP_2) | instskip(NEXT) | instid1(VALU_DEP_1)
	v_and_b32_e32 v51, 0x7f, v27
	v_cmpx_ne_u32_e32 0x7f, v51
	s_cbranch_execz .LBB310_410
; %bb.407:                              ;   in Loop: Header=BB310_305 Depth=1
	v_dual_mov_b32 v27, v15 :: v_dual_bitop2_b32 v26, 7, v27 bitop3:0x40
	v_lshrrev_b32_e32 v47, 3, v51
	s_mov_b32 s28, exec_lo
	v_cmpx_gt_u32_e32 8, v51
; %bb.408:                              ;   in Loop: Header=BB310_305 Depth=1
	s_delay_alu instid0(VALU_DEP_3) | instskip(NEXT) | instid1(VALU_DEP_1)
	v_clz_i32_u32_e32 v47, v26
	v_min_u32_e32 v47, 32, v47
	s_delay_alu instid0(VALU_DEP_1) | instskip(NEXT) | instid1(VALU_DEP_1)
	v_subrev_nc_u32_e32 v51, 28, v47
	v_lshlrev_b64_e32 v[26:27], v51, v[26:27]
	s_delay_alu instid0(VALU_DEP_1)
	v_dual_sub_nc_u32 v47, 29, v47 :: v_dual_bitop2_b32 v26, 7, v26 bitop3:0x40
; %bb.409:                              ;   in Loop: Header=BB310_305 Depth=1
	s_or_b32 exec_lo, exec_lo, s28
	v_lshlrev_b32_e32 v14, 16, v14
	s_delay_alu instid0(VALU_DEP_2) | instskip(NEXT) | instid1(VALU_DEP_3)
	v_lshlrev_b32_e32 v26, 20, v26
	v_lshl_add_u32 v27, v47, 23, 0x3c000000
	s_delay_alu instid0(VALU_DEP_3) | instskip(NEXT) | instid1(VALU_DEP_1)
	v_and_b32_e32 v14, 0x80000000, v14
	v_or3_b32 v26, v26, v14, v27
.LBB310_410:                            ;   in Loop: Header=BB310_305 Depth=1
	s_or_b32 exec_lo, exec_lo, s27
.LBB310_411:                            ;   in Loop: Header=BB310_305 Depth=1
	s_delay_alu instid0(SALU_CYCLE_1)
	s_or_b32 exec_lo, exec_lo, s26
.LBB310_412:                            ;   in Loop: Header=BB310_305 Depth=1
	s_delay_alu instid0(SALU_CYCLE_1) | instskip(SKIP_3) | instid1(VALU_DEP_2)
	s_or_b32 exec_lo, exec_lo, s25
	v_dual_lshrrev_b32 v47, 16, v25 :: v_dual_mov_b32 v27, 0
	v_mov_b32_e32 v53, 0
	s_mov_b32 s25, exec_lo
	v_and_b32_e32 v14, 0xff, v47
	s_delay_alu instid0(VALU_DEP_1)
	v_cmpx_ne_u16_e32 0, v14
	s_cbranch_execz .LBB310_420
; %bb.413:                              ;   in Loop: Header=BB310_305 Depth=1
	v_bfrev_b32_e32 v53, 1
	s_mov_b32 s26, exec_lo
	v_cmpx_ne_u16_e32 0x80, v14
	s_cbranch_execz .LBB310_419
; %bb.414:                              ;   in Loop: Header=BB310_305 Depth=1
	v_bfe_u32 v52, v25, 16, 7
	v_mov_b32_e32 v53, 0x7f800001
	s_mov_b32 s27, exec_lo
	s_delay_alu instid0(VALU_DEP_2)
	v_cmpx_ne_u32_e32 0x7f, v52
	s_cbranch_execz .LBB310_418
; %bb.415:                              ;   in Loop: Header=BB310_305 Depth=1
	v_dual_lshrrev_b32 v51, 3, v52 :: v_dual_bitop2_b32 v14, 7, v47 bitop3:0x40
	s_mov_b32 s28, exec_lo
	v_cmpx_gt_u32_e32 8, v52
; %bb.416:                              ;   in Loop: Header=BB310_305 Depth=1
	s_delay_alu instid0(VALU_DEP_2) | instskip(NEXT) | instid1(VALU_DEP_1)
	v_clz_i32_u32_e32 v51, v14
	v_min_u32_e32 v51, 32, v51
	s_delay_alu instid0(VALU_DEP_1) | instskip(NEXT) | instid1(VALU_DEP_1)
	v_subrev_nc_u32_e32 v52, 28, v51
	v_lshlrev_b64_e32 v[52:53], v52, v[14:15]
	s_delay_alu instid0(VALU_DEP_1)
	v_dual_sub_nc_u32 v51, 29, v51 :: v_dual_bitop2_b32 v14, 7, v52 bitop3:0x40
; %bb.417:                              ;   in Loop: Header=BB310_305 Depth=1
	s_or_b32 exec_lo, exec_lo, s28
	s_delay_alu instid0(VALU_DEP_1) | instskip(NEXT) | instid1(VALU_DEP_2)
	v_dual_lshlrev_b32 v47, 24, v47 :: v_dual_lshlrev_b32 v14, 20, v14
	v_lshl_add_u32 v51, v51, 23, 0x3c000000
	s_delay_alu instid0(VALU_DEP_2) | instskip(NEXT) | instid1(VALU_DEP_1)
	v_and_b32_e32 v47, 0x80000000, v47
	v_or3_b32 v53, v14, v47, v51
.LBB310_418:                            ;   in Loop: Header=BB310_305 Depth=1
	s_or_b32 exec_lo, exec_lo, s27
.LBB310_419:                            ;   in Loop: Header=BB310_305 Depth=1
	s_delay_alu instid0(SALU_CYCLE_1)
	s_or_b32 exec_lo, exec_lo, s26
.LBB310_420:                            ;   in Loop: Header=BB310_305 Depth=1
	s_delay_alu instid0(SALU_CYCLE_1) | instskip(NEXT) | instid1(SALU_CYCLE_1)
	s_or_b32 exec_lo, exec_lo, s25
	s_mov_b32 s25, exec_lo
	v_cmpx_lt_u64_e64 s[4:5], v[24:25]
	s_cbranch_execz .LBB310_428
; %bb.421:                              ;   in Loop: Header=BB310_305 Depth=1
	v_lshrrev_b32_e32 v24, 24, v25
	v_bfrev_b32_e32 v27, 1
	s_mov_b32 s26, exec_lo
	s_delay_alu instid0(VALU_DEP_2)
	v_cmpx_ne_u32_e32 0x80, v24
	s_cbranch_execz .LBB310_427
; %bb.422:                              ;   in Loop: Header=BB310_305 Depth=1
	v_bfe_u32 v47, v25, 24, 7
	v_mov_b32_e32 v27, 0x7f800001
	s_mov_b32 s27, exec_lo
	s_delay_alu instid0(VALU_DEP_2)
	v_cmpx_ne_u32_e32 0x7f, v47
	s_cbranch_execz .LBB310_426
; %bb.423:                              ;   in Loop: Header=BB310_305 Depth=1
	v_dual_lshrrev_b32 v25, 3, v47 :: v_dual_bitop2_b32 v14, 7, v24 bitop3:0x40
	s_mov_b32 s28, exec_lo
	v_cmpx_gt_u32_e32 8, v47
; %bb.424:                              ;   in Loop: Header=BB310_305 Depth=1
	s_delay_alu instid0(VALU_DEP_2) | instskip(NEXT) | instid1(VALU_DEP_1)
	v_clz_i32_u32_e32 v25, v14
	v_min_u32_e32 v25, 32, v25
	s_delay_alu instid0(VALU_DEP_1) | instskip(NEXT) | instid1(VALU_DEP_1)
	v_subrev_nc_u32_e32 v27, 28, v25
	v_lshlrev_b64_e32 v[54:55], v27, v[14:15]
	s_delay_alu instid0(VALU_DEP_1)
	v_dual_sub_nc_u32 v25, 29, v25 :: v_dual_bitop2_b32 v14, 7, v54 bitop3:0x40
; %bb.425:                              ;   in Loop: Header=BB310_305 Depth=1
	s_or_b32 exec_lo, exec_lo, s28
	s_delay_alu instid0(VALU_DEP_1) | instskip(NEXT) | instid1(VALU_DEP_2)
	v_dual_lshlrev_b32 v24, 24, v24 :: v_dual_lshlrev_b32 v14, 20, v14
	v_lshl_add_u32 v25, v25, 23, 0x3c000000
	s_delay_alu instid0(VALU_DEP_2) | instskip(NEXT) | instid1(VALU_DEP_1)
	v_and_b32_e32 v24, 0x80000000, v24
	v_or3_b32 v27, v14, v24, v25
.LBB310_426:                            ;   in Loop: Header=BB310_305 Depth=1
	s_or_b32 exec_lo, exec_lo, s27
.LBB310_427:                            ;   in Loop: Header=BB310_305 Depth=1
	s_delay_alu instid0(SALU_CYCLE_1)
	s_or_b32 exec_lo, exec_lo, s26
.LBB310_428:                            ;   in Loop: Header=BB310_305 Depth=1
	s_delay_alu instid0(SALU_CYCLE_1)
	s_or_b32 exec_lo, exec_lo, s25
	v_fma_mixlo_bf16 v47, s24, v26, 0
	v_fma_mixlo_bf16 v48, s24, v48, 0
	;; [unrolled: 1-line block ×8, first 2 shown]
	s_and_saveexec_b32 s25, vcc_lo
	s_cbranch_execz .LBB310_430
; %bb.429:                              ;   in Loop: Header=BB310_305 Depth=1
	v_cmp_gt_i32_e64 s0, s34, v18
	s_delay_alu instid0(VALU_DEP_1) | instskip(SKIP_1) | instid1(VALU_DEP_1)
	v_cndmask_b32_e64 v52, 0, v52, s0
	v_cmp_gt_i32_e64 s0, s34, v44
	v_cndmask_b32_e64 v51, 0, v51, s0
	v_cmp_gt_i32_e64 s0, s34, v43
	s_delay_alu instid0(VALU_DEP_1) | instskip(SKIP_1) | instid1(VALU_DEP_1)
	v_cndmask_b32_e64 v50, 0, v50, s0
	v_cmp_gt_i32_e64 s0, s34, v42
	v_cndmask_b32_e64 v49, 0, v49, s0
	;; [unrolled: 5-line block ×4, first 2 shown]
.LBB310_430:                            ;   in Loop: Header=BB310_305 Depth=1
	s_or_b32 exec_lo, exec_lo, s25
	global_load_b64 v[24:25], v[22:23], off offset:512
	v_dual_mov_b32 v57, 0 :: v_dual_mov_b32 v58, 0
	s_mov_b32 s25, exec_lo
	s_wait_loadcnt 0x0
	v_and_b32_e32 v14, 0xff, v24
	s_delay_alu instid0(VALU_DEP_1)
	v_cmpx_ne_u16_e32 0, v14
	s_cbranch_execz .LBB310_436
; %bb.431:                              ;   in Loop: Header=BB310_305 Depth=1
	v_bfrev_b32_e32 v58, 1
	s_mov_b32 s26, exec_lo
	v_cmpx_ne_u16_e32 0x80, v14
	s_cbranch_execz .LBB310_435
; %bb.432:                              ;   in Loop: Header=BB310_305 Depth=1
	v_and_b32_e32 v14, 0x7f, v24
	v_mov_b32_e32 v58, 0x7f800001
	s_mov_b32 s27, exec_lo
	s_delay_alu instid0(VALU_DEP_2)
	v_cmpx_ne_u32_e32 0x7f, v14
	s_cbranch_execz .LBB310_434
; %bb.433:                              ;   in Loop: Header=BB310_305 Depth=1
	v_dual_lshrrev_b32 v27, 3, v14 :: v_dual_bitop2_b32 v26, 7, v24 bitop3:0x40
	v_cmp_gt_u32_e64 s0, 8, v14
	s_delay_alu instid0(VALU_DEP_2) | instskip(NEXT) | instid1(VALU_DEP_1)
	v_clz_i32_u32_e32 v26, v26
	v_min_u32_e32 v26, 32, v26
	s_delay_alu instid0(VALU_DEP_1) | instskip(SKIP_1) | instid1(VALU_DEP_1)
	v_subrev_nc_u32_e32 v53, 28, v26
	v_sub_nc_u32_e32 v26, 29, v26
	v_dual_cndmask_b32 v14, v27, v26, s0 :: v_dual_cndmask_b32 v26, 0, v53, s0
	s_delay_alu instid0(VALU_DEP_1) | instskip(NEXT) | instid1(VALU_DEP_2)
	v_lshl_add_u32 v14, v14, 23, 0x3c000000
	v_lshlrev_b64_e32 v[26:27], v26, v[24:25]
	v_lshlrev_b32_e32 v27, 24, v24
	s_delay_alu instid0(VALU_DEP_1) | instskip(NEXT) | instid1(VALU_DEP_3)
	v_and_b32_e32 v27, 0x80000000, v27
	v_lshlrev_b32_e32 v26, 20, v26
	s_delay_alu instid0(VALU_DEP_1) | instskip(NEXT) | instid1(VALU_DEP_1)
	v_and_b32_e32 v26, 0x700000, v26
	v_or3_b32 v58, v26, v27, v14
.LBB310_434:                            ;   in Loop: Header=BB310_305 Depth=1
	s_or_b32 exec_lo, exec_lo, s27
.LBB310_435:                            ;   in Loop: Header=BB310_305 Depth=1
	s_delay_alu instid0(SALU_CYCLE_1)
	s_or_b32 exec_lo, exec_lo, s26
.LBB310_436:                            ;   in Loop: Header=BB310_305 Depth=1
	s_delay_alu instid0(SALU_CYCLE_1) | instskip(SKIP_2) | instid1(VALU_DEP_1)
	s_or_b32 exec_lo, exec_lo, s25
	v_lshrrev_b16 v14, 8, v24
	s_mov_b32 s25, exec_lo
	v_cmpx_ne_u16_e32 0, v14
	s_cbranch_execz .LBB310_444
; %bb.437:                              ;   in Loop: Header=BB310_305 Depth=1
	v_bfrev_b32_e32 v57, 1
	s_mov_b32 s26, exec_lo
	v_cmpx_ne_u16_e32 0x80, v14
	s_cbranch_execz .LBB310_443
; %bb.438:                              ;   in Loop: Header=BB310_305 Depth=1
	v_and_b32_e32 v14, 0xffff, v14
	v_mov_b32_e32 v57, 0x7f800001
	s_mov_b32 s27, exec_lo
	s_delay_alu instid0(VALU_DEP_2) | instskip(NEXT) | instid1(VALU_DEP_1)
	v_and_b32_e32 v27, 0x7f, v14
	v_cmpx_ne_u32_e32 0x7f, v27
	s_cbranch_execz .LBB310_442
; %bb.439:                              ;   in Loop: Header=BB310_305 Depth=1
	v_dual_lshrrev_b32 v26, 3, v27 :: v_dual_bitop2_b32 v14, 7, v14 bitop3:0x40
	s_mov_b32 s28, exec_lo
	v_cmpx_gt_u32_e32 8, v27
; %bb.440:                              ;   in Loop: Header=BB310_305 Depth=1
	s_delay_alu instid0(VALU_DEP_2) | instskip(NEXT) | instid1(VALU_DEP_1)
	v_clz_i32_u32_e32 v26, v14
	v_min_u32_e32 v26, 32, v26
	s_delay_alu instid0(VALU_DEP_1) | instskip(SKIP_1) | instid1(VALU_DEP_2)
	v_subrev_nc_u32_e32 v27, 28, v26
	v_sub_nc_u32_e32 v26, 29, v26
	v_lshlrev_b64_e32 v[54:55], v27, v[14:15]
	s_delay_alu instid0(VALU_DEP_1)
	v_and_b32_e32 v14, 7, v54
; %bb.441:                              ;   in Loop: Header=BB310_305 Depth=1
	s_or_b32 exec_lo, exec_lo, s28
	s_delay_alu instid0(VALU_DEP_1) | instskip(SKIP_1) | instid1(VALU_DEP_2)
	v_dual_lshlrev_b32 v27, 16, v24 :: v_dual_lshlrev_b32 v14, 20, v14
	v_lshl_add_u32 v26, v26, 23, 0x3c000000
	v_and_b32_e32 v27, 0x80000000, v27
	s_delay_alu instid0(VALU_DEP_1)
	v_or3_b32 v57, v14, v27, v26
.LBB310_442:                            ;   in Loop: Header=BB310_305 Depth=1
	s_or_b32 exec_lo, exec_lo, s27
.LBB310_443:                            ;   in Loop: Header=BB310_305 Depth=1
	s_delay_alu instid0(SALU_CYCLE_1)
	s_or_b32 exec_lo, exec_lo, s26
.LBB310_444:                            ;   in Loop: Header=BB310_305 Depth=1
	s_delay_alu instid0(SALU_CYCLE_1) | instskip(SKIP_3) | instid1(VALU_DEP_2)
	s_or_b32 exec_lo, exec_lo, s25
	v_dual_mov_b32 v55, 0 :: v_dual_lshrrev_b32 v26, 16, v24
	v_mov_b32_e32 v56, 0
	s_mov_b32 s25, exec_lo
	v_and_b32_e32 v14, 0xff, v26
	s_delay_alu instid0(VALU_DEP_1)
	v_cmpx_ne_u16_e32 0, v14
	s_cbranch_execz .LBB310_452
; %bb.445:                              ;   in Loop: Header=BB310_305 Depth=1
	v_bfrev_b32_e32 v56, 1
	s_mov_b32 s26, exec_lo
	v_cmpx_ne_u16_e32 0x80, v14
	s_cbranch_execz .LBB310_451
; %bb.446:                              ;   in Loop: Header=BB310_305 Depth=1
	v_bfe_u32 v53, v24, 16, 7
	v_mov_b32_e32 v56, 0x7f800001
	s_mov_b32 s27, exec_lo
	s_delay_alu instid0(VALU_DEP_2)
	v_cmpx_ne_u32_e32 0x7f, v53
	s_cbranch_execz .LBB310_450
; %bb.447:                              ;   in Loop: Header=BB310_305 Depth=1
	v_dual_lshrrev_b32 v27, 3, v53 :: v_dual_bitop2_b32 v14, 7, v26 bitop3:0x40
	s_mov_b32 s28, exec_lo
	v_cmpx_gt_u32_e32 8, v53
; %bb.448:                              ;   in Loop: Header=BB310_305 Depth=1
	s_delay_alu instid0(VALU_DEP_2) | instskip(NEXT) | instid1(VALU_DEP_1)
	v_clz_i32_u32_e32 v27, v14
	v_min_u32_e32 v27, 32, v27
	s_delay_alu instid0(VALU_DEP_1) | instskip(NEXT) | instid1(VALU_DEP_1)
	v_subrev_nc_u32_e32 v53, 28, v27
	v_lshlrev_b64_e32 v[60:61], v53, v[14:15]
	s_delay_alu instid0(VALU_DEP_1)
	v_dual_sub_nc_u32 v27, 29, v27 :: v_dual_bitop2_b32 v14, 7, v60 bitop3:0x40
; %bb.449:                              ;   in Loop: Header=BB310_305 Depth=1
	s_or_b32 exec_lo, exec_lo, s28
	v_lshlrev_b32_e32 v26, 24, v26
	s_delay_alu instid0(VALU_DEP_2) | instskip(NEXT) | instid1(VALU_DEP_3)
	v_lshlrev_b32_e32 v14, 20, v14
	v_lshl_add_u32 v27, v27, 23, 0x3c000000
	s_delay_alu instid0(VALU_DEP_3) | instskip(NEXT) | instid1(VALU_DEP_1)
	v_and_b32_e32 v26, 0x80000000, v26
	v_or3_b32 v56, v14, v26, v27
.LBB310_450:                            ;   in Loop: Header=BB310_305 Depth=1
	s_or_b32 exec_lo, exec_lo, s27
.LBB310_451:                            ;   in Loop: Header=BB310_305 Depth=1
	s_delay_alu instid0(SALU_CYCLE_1)
	s_or_b32 exec_lo, exec_lo, s26
.LBB310_452:                            ;   in Loop: Header=BB310_305 Depth=1
	s_delay_alu instid0(SALU_CYCLE_1) | instskip(NEXT) | instid1(SALU_CYCLE_1)
	s_or_b32 exec_lo, exec_lo, s25
	s_mov_b32 s25, exec_lo
	v_cmpx_lt_u32_e32 0xffffff, v24
	s_cbranch_execz .LBB310_460
; %bb.453:                              ;   in Loop: Header=BB310_305 Depth=1
	v_lshrrev_b32_e32 v26, 24, v24
	v_bfrev_b32_e32 v55, 1
	s_mov_b32 s26, exec_lo
	s_delay_alu instid0(VALU_DEP_2)
	v_cmpx_ne_u32_e32 0x80, v26
	s_cbranch_execz .LBB310_459
; %bb.454:                              ;   in Loop: Header=BB310_305 Depth=1
	v_bfe_u32 v53, v24, 24, 7
	v_mov_b32_e32 v55, 0x7f800001
	s_mov_b32 s27, exec_lo
	s_delay_alu instid0(VALU_DEP_2)
	v_cmpx_ne_u32_e32 0x7f, v53
	s_cbranch_execz .LBB310_458
; %bb.455:                              ;   in Loop: Header=BB310_305 Depth=1
	v_dual_lshrrev_b32 v27, 3, v53 :: v_dual_bitop2_b32 v14, 7, v26 bitop3:0x40
	s_mov_b32 s28, exec_lo
	v_cmpx_gt_u32_e32 8, v53
; %bb.456:                              ;   in Loop: Header=BB310_305 Depth=1
	s_delay_alu instid0(VALU_DEP_2) | instskip(NEXT) | instid1(VALU_DEP_1)
	v_clz_i32_u32_e32 v27, v14
	v_min_u32_e32 v27, 32, v27
	s_delay_alu instid0(VALU_DEP_1) | instskip(NEXT) | instid1(VALU_DEP_1)
	v_subrev_nc_u32_e32 v53, 28, v27
	v_lshlrev_b64_e32 v[54:55], v53, v[14:15]
	s_delay_alu instid0(VALU_DEP_1)
	v_dual_sub_nc_u32 v27, 29, v27 :: v_dual_bitop2_b32 v14, 7, v54 bitop3:0x40
; %bb.457:                              ;   in Loop: Header=BB310_305 Depth=1
	s_or_b32 exec_lo, exec_lo, s28
	v_lshlrev_b32_e32 v26, 24, v26
	s_delay_alu instid0(VALU_DEP_2) | instskip(NEXT) | instid1(VALU_DEP_3)
	v_lshlrev_b32_e32 v14, 20, v14
	v_lshl_add_u32 v27, v27, 23, 0x3c000000
	s_delay_alu instid0(VALU_DEP_3) | instskip(NEXT) | instid1(VALU_DEP_1)
	v_and_b32_e32 v26, 0x80000000, v26
	v_or3_b32 v55, v14, v26, v27
.LBB310_458:                            ;   in Loop: Header=BB310_305 Depth=1
	s_or_b32 exec_lo, exec_lo, s27
.LBB310_459:                            ;   in Loop: Header=BB310_305 Depth=1
	s_delay_alu instid0(SALU_CYCLE_1)
	s_or_b32 exec_lo, exec_lo, s26
.LBB310_460:                            ;   in Loop: Header=BB310_305 Depth=1
	s_delay_alu instid0(SALU_CYCLE_1) | instskip(SKIP_4) | instid1(VALU_DEP_3)
	s_or_b32 exec_lo, exec_lo, s25
	v_and_b32_e32 v27, 0xff, v25
	v_dual_mov_b32 v14, v25 :: v_dual_mov_b32 v26, 0
	v_mov_b32_e32 v54, 0
	s_mov_b32 s25, exec_lo
	v_cmpx_ne_u16_e32 0, v27
	s_cbranch_execz .LBB310_466
; %bb.461:                              ;   in Loop: Header=BB310_305 Depth=1
	v_bfrev_b32_e32 v54, 1
	s_mov_b32 s26, exec_lo
	v_cmpx_ne_u16_e32 0x80, v27
	s_cbranch_execz .LBB310_465
; %bb.462:                              ;   in Loop: Header=BB310_305 Depth=1
	v_and_b32_e32 v27, 0x7f, v25
	v_mov_b32_e32 v54, 0x7f800001
	s_mov_b32 s27, exec_lo
	s_delay_alu instid0(VALU_DEP_2)
	v_cmpx_ne_u32_e32 0x7f, v27
	s_cbranch_execz .LBB310_464
; %bb.463:                              ;   in Loop: Header=BB310_305 Depth=1
	v_dual_lshrrev_b32 v54, 3, v27 :: v_dual_bitop2_b32 v53, 7, v25 bitop3:0x40
	v_cmp_gt_u32_e64 s0, 8, v27
	s_delay_alu instid0(VALU_DEP_2) | instskip(NEXT) | instid1(VALU_DEP_1)
	v_clz_i32_u32_e32 v53, v53
	v_min_u32_e32 v53, 32, v53
	s_delay_alu instid0(VALU_DEP_1) | instskip(SKIP_1) | instid1(VALU_DEP_1)
	v_subrev_nc_u32_e32 v59, 28, v53
	v_sub_nc_u32_e32 v53, 29, v53
	v_dual_cndmask_b32 v27, v54, v53, s0 :: v_dual_cndmask_b32 v53, 0, v59, s0
	s_delay_alu instid0(VALU_DEP_1) | instskip(NEXT) | instid1(VALU_DEP_2)
	v_lshl_add_u32 v27, v27, 23, 0x3c000000
	v_lshlrev_b64_e32 v[60:61], v53, v[14:15]
	v_lshlrev_b32_e32 v53, 24, v14
	s_delay_alu instid0(VALU_DEP_1) | instskip(NEXT) | instid1(VALU_DEP_3)
	v_and_b32_e32 v53, 0x80000000, v53
	v_lshlrev_b32_e32 v54, 20, v60
	s_delay_alu instid0(VALU_DEP_1) | instskip(NEXT) | instid1(VALU_DEP_1)
	v_and_b32_e32 v54, 0x700000, v54
	v_or3_b32 v54, v54, v53, v27
.LBB310_464:                            ;   in Loop: Header=BB310_305 Depth=1
	s_or_b32 exec_lo, exec_lo, s27
.LBB310_465:                            ;   in Loop: Header=BB310_305 Depth=1
	s_delay_alu instid0(SALU_CYCLE_1)
	s_or_b32 exec_lo, exec_lo, s26
.LBB310_466:                            ;   in Loop: Header=BB310_305 Depth=1
	s_delay_alu instid0(SALU_CYCLE_1) | instskip(SKIP_2) | instid1(VALU_DEP_1)
	s_or_b32 exec_lo, exec_lo, s25
	v_lshrrev_b16 v27, 8, v14
	s_mov_b32 s25, exec_lo
	v_cmpx_ne_u16_e32 0, v27
	s_cbranch_execz .LBB310_474
; %bb.467:                              ;   in Loop: Header=BB310_305 Depth=1
	v_bfrev_b32_e32 v26, 1
	s_mov_b32 s26, exec_lo
	v_cmpx_ne_u16_e32 0x80, v27
	s_cbranch_execz .LBB310_473
; %bb.468:                              ;   in Loop: Header=BB310_305 Depth=1
	v_and_b32_e32 v27, 0xffff, v27
	v_mov_b32_e32 v26, 0x7f800001
	s_mov_b32 s27, exec_lo
	s_delay_alu instid0(VALU_DEP_2) | instskip(NEXT) | instid1(VALU_DEP_1)
	v_and_b32_e32 v59, 0x7f, v27
	v_cmpx_ne_u32_e32 0x7f, v59
	s_cbranch_execz .LBB310_472
; %bb.469:                              ;   in Loop: Header=BB310_305 Depth=1
	v_dual_mov_b32 v27, v15 :: v_dual_bitop2_b32 v26, 7, v27 bitop3:0x40
	v_lshrrev_b32_e32 v53, 3, v59
	s_mov_b32 s28, exec_lo
	v_cmpx_gt_u32_e32 8, v59
; %bb.470:                              ;   in Loop: Header=BB310_305 Depth=1
	s_delay_alu instid0(VALU_DEP_3) | instskip(NEXT) | instid1(VALU_DEP_1)
	v_clz_i32_u32_e32 v53, v26
	v_min_u32_e32 v53, 32, v53
	s_delay_alu instid0(VALU_DEP_1) | instskip(NEXT) | instid1(VALU_DEP_1)
	v_subrev_nc_u32_e32 v59, 28, v53
	v_lshlrev_b64_e32 v[26:27], v59, v[26:27]
	s_delay_alu instid0(VALU_DEP_1)
	v_dual_sub_nc_u32 v53, 29, v53 :: v_dual_bitop2_b32 v26, 7, v26 bitop3:0x40
; %bb.471:                              ;   in Loop: Header=BB310_305 Depth=1
	s_or_b32 exec_lo, exec_lo, s28
	v_lshlrev_b32_e32 v14, 16, v14
	s_delay_alu instid0(VALU_DEP_2) | instskip(NEXT) | instid1(VALU_DEP_3)
	v_lshlrev_b32_e32 v26, 20, v26
	v_lshl_add_u32 v27, v53, 23, 0x3c000000
	s_delay_alu instid0(VALU_DEP_3) | instskip(NEXT) | instid1(VALU_DEP_1)
	v_and_b32_e32 v14, 0x80000000, v14
	v_or3_b32 v26, v26, v14, v27
.LBB310_472:                            ;   in Loop: Header=BB310_305 Depth=1
	s_or_b32 exec_lo, exec_lo, s27
.LBB310_473:                            ;   in Loop: Header=BB310_305 Depth=1
	s_delay_alu instid0(SALU_CYCLE_1)
	s_or_b32 exec_lo, exec_lo, s26
.LBB310_474:                            ;   in Loop: Header=BB310_305 Depth=1
	s_delay_alu instid0(SALU_CYCLE_1) | instskip(SKIP_3) | instid1(VALU_DEP_2)
	s_or_b32 exec_lo, exec_lo, s25
	v_dual_lshrrev_b32 v53, 16, v25 :: v_dual_mov_b32 v27, 0
	v_mov_b32_e32 v59, 0
	s_mov_b32 s25, exec_lo
	v_and_b32_e32 v14, 0xff, v53
	s_delay_alu instid0(VALU_DEP_1)
	v_cmpx_ne_u16_e32 0, v14
	s_cbranch_execz .LBB310_482
; %bb.475:                              ;   in Loop: Header=BB310_305 Depth=1
	v_bfrev_b32_e32 v59, 1
	s_mov_b32 s26, exec_lo
	v_cmpx_ne_u16_e32 0x80, v14
	s_cbranch_execz .LBB310_481
; %bb.476:                              ;   in Loop: Header=BB310_305 Depth=1
	v_bfe_u32 v60, v25, 16, 7
	v_mov_b32_e32 v59, 0x7f800001
	s_mov_b32 s27, exec_lo
	s_delay_alu instid0(VALU_DEP_2)
	v_cmpx_ne_u32_e32 0x7f, v60
	s_cbranch_execz .LBB310_480
; %bb.477:                              ;   in Loop: Header=BB310_305 Depth=1
	v_dual_lshrrev_b32 v59, 3, v60 :: v_dual_bitop2_b32 v14, 7, v53 bitop3:0x40
	s_mov_b32 s28, exec_lo
	v_cmpx_gt_u32_e32 8, v60
; %bb.478:                              ;   in Loop: Header=BB310_305 Depth=1
	s_delay_alu instid0(VALU_DEP_2) | instskip(NEXT) | instid1(VALU_DEP_1)
	v_clz_i32_u32_e32 v59, v14
	v_min_u32_e32 v59, 32, v59
	s_delay_alu instid0(VALU_DEP_1) | instskip(NEXT) | instid1(VALU_DEP_1)
	v_subrev_nc_u32_e32 v60, 28, v59
	v_lshlrev_b64_e32 v[60:61], v60, v[14:15]
	s_delay_alu instid0(VALU_DEP_1)
	v_dual_sub_nc_u32 v59, 29, v59 :: v_dual_bitop2_b32 v14, 7, v60 bitop3:0x40
; %bb.479:                              ;   in Loop: Header=BB310_305 Depth=1
	s_or_b32 exec_lo, exec_lo, s28
	s_delay_alu instid0(VALU_DEP_1) | instskip(NEXT) | instid1(VALU_DEP_2)
	v_dual_lshlrev_b32 v53, 24, v53 :: v_dual_lshlrev_b32 v14, 20, v14
	v_lshl_add_u32 v59, v59, 23, 0x3c000000
	s_delay_alu instid0(VALU_DEP_2) | instskip(NEXT) | instid1(VALU_DEP_1)
	v_and_b32_e32 v53, 0x80000000, v53
	v_or3_b32 v59, v14, v53, v59
.LBB310_480:                            ;   in Loop: Header=BB310_305 Depth=1
	s_or_b32 exec_lo, exec_lo, s27
.LBB310_481:                            ;   in Loop: Header=BB310_305 Depth=1
	s_delay_alu instid0(SALU_CYCLE_1)
	s_or_b32 exec_lo, exec_lo, s26
.LBB310_482:                            ;   in Loop: Header=BB310_305 Depth=1
	s_delay_alu instid0(SALU_CYCLE_1) | instskip(NEXT) | instid1(SALU_CYCLE_1)
	s_or_b32 exec_lo, exec_lo, s25
	s_mov_b32 s25, exec_lo
	v_cmpx_lt_u64_e64 s[4:5], v[24:25]
	s_cbranch_execz .LBB310_490
; %bb.483:                              ;   in Loop: Header=BB310_305 Depth=1
	v_lshrrev_b32_e32 v24, 24, v25
	v_bfrev_b32_e32 v27, 1
	s_mov_b32 s26, exec_lo
	s_delay_alu instid0(VALU_DEP_2)
	v_cmpx_ne_u32_e32 0x80, v24
	s_cbranch_execz .LBB310_489
; %bb.484:                              ;   in Loop: Header=BB310_305 Depth=1
	v_bfe_u32 v53, v25, 24, 7
	v_mov_b32_e32 v27, 0x7f800001
	s_mov_b32 s27, exec_lo
	s_delay_alu instid0(VALU_DEP_2)
	v_cmpx_ne_u32_e32 0x7f, v53
	s_cbranch_execz .LBB310_488
; %bb.485:                              ;   in Loop: Header=BB310_305 Depth=1
	v_dual_lshrrev_b32 v25, 3, v53 :: v_dual_bitop2_b32 v14, 7, v24 bitop3:0x40
	s_mov_b32 s28, exec_lo
	v_cmpx_gt_u32_e32 8, v53
; %bb.486:                              ;   in Loop: Header=BB310_305 Depth=1
	s_delay_alu instid0(VALU_DEP_2) | instskip(NEXT) | instid1(VALU_DEP_1)
	v_clz_i32_u32_e32 v25, v14
	v_min_u32_e32 v25, 32, v25
	s_delay_alu instid0(VALU_DEP_1) | instskip(NEXT) | instid1(VALU_DEP_1)
	v_subrev_nc_u32_e32 v27, 28, v25
	v_lshlrev_b64_e32 v[60:61], v27, v[14:15]
	s_delay_alu instid0(VALU_DEP_1)
	v_dual_sub_nc_u32 v25, 29, v25 :: v_dual_bitop2_b32 v14, 7, v60 bitop3:0x40
; %bb.487:                              ;   in Loop: Header=BB310_305 Depth=1
	s_or_b32 exec_lo, exec_lo, s28
	s_delay_alu instid0(VALU_DEP_1) | instskip(NEXT) | instid1(VALU_DEP_2)
	v_dual_lshlrev_b32 v24, 24, v24 :: v_dual_lshlrev_b32 v14, 20, v14
	v_lshl_add_u32 v25, v25, 23, 0x3c000000
	s_delay_alu instid0(VALU_DEP_2) | instskip(NEXT) | instid1(VALU_DEP_1)
	v_and_b32_e32 v24, 0x80000000, v24
	v_or3_b32 v27, v14, v24, v25
.LBB310_488:                            ;   in Loop: Header=BB310_305 Depth=1
	s_or_b32 exec_lo, exec_lo, s27
.LBB310_489:                            ;   in Loop: Header=BB310_305 Depth=1
	s_delay_alu instid0(SALU_CYCLE_1)
	s_or_b32 exec_lo, exec_lo, s26
.LBB310_490:                            ;   in Loop: Header=BB310_305 Depth=1
	s_delay_alu instid0(SALU_CYCLE_1)
	s_or_b32 exec_lo, exec_lo, s25
	v_fma_mixlo_bf16 v53, s24, v26, 0
	v_fma_mixlo_bf16 v54, s24, v54, 0
	;; [unrolled: 1-line block ×8, first 2 shown]
	s_and_saveexec_b32 s25, vcc_lo
	s_cbranch_execz .LBB310_492
; %bb.491:                              ;   in Loop: Header=BB310_305 Depth=1
	v_cmp_gt_i32_e64 s0, s34, v18
	s_delay_alu instid0(VALU_DEP_1) | instskip(SKIP_1) | instid1(VALU_DEP_1)
	v_cndmask_b32_e64 v58, 0, v58, s0
	v_cmp_gt_i32_e64 s0, s34, v44
	v_cndmask_b32_e64 v57, 0, v57, s0
	v_cmp_gt_i32_e64 s0, s34, v43
	s_delay_alu instid0(VALU_DEP_1) | instskip(SKIP_1) | instid1(VALU_DEP_1)
	v_cndmask_b32_e64 v56, 0, v56, s0
	v_cmp_gt_i32_e64 s0, s34, v42
	v_cndmask_b32_e64 v55, 0, v55, s0
	;; [unrolled: 5-line block ×4, first 2 shown]
.LBB310_492:                            ;   in Loop: Header=BB310_305 Depth=1
	s_or_b32 exec_lo, exec_lo, s25
	global_load_b64 v[22:23], v[22:23], off offset:768
	v_dual_mov_b32 v60, 0 :: v_dual_mov_b32 v59, 0
	s_mov_b32 s25, exec_lo
	s_wait_loadcnt 0x0
	v_and_b32_e32 v14, 0xff, v22
	s_delay_alu instid0(VALU_DEP_1)
	v_cmpx_ne_u16_e32 0, v14
	s_cbranch_execz .LBB310_498
; %bb.493:                              ;   in Loop: Header=BB310_305 Depth=1
	v_bfrev_b32_e32 v59, 1
	s_mov_b32 s26, exec_lo
	v_cmpx_ne_u16_e32 0x80, v14
	s_cbranch_execz .LBB310_497
; %bb.494:                              ;   in Loop: Header=BB310_305 Depth=1
	v_and_b32_e32 v14, 0x7f, v22
	v_mov_b32_e32 v59, 0x7f800001
	s_mov_b32 s27, exec_lo
	s_delay_alu instid0(VALU_DEP_2)
	v_cmpx_ne_u32_e32 0x7f, v14
	s_cbranch_execz .LBB310_496
; %bb.495:                              ;   in Loop: Header=BB310_305 Depth=1
	v_and_b32_e32 v24, 7, v22
	v_cmp_gt_u32_e64 s0, 8, v14
	s_delay_alu instid0(VALU_DEP_2) | instskip(NEXT) | instid1(VALU_DEP_1)
	v_clz_i32_u32_e32 v24, v24
	v_min_u32_e32 v24, 32, v24
	v_lshrrev_b32_e32 v25, 3, v14
	s_delay_alu instid0(VALU_DEP_2) | instskip(SKIP_1) | instid1(VALU_DEP_1)
	v_subrev_nc_u32_e32 v59, 28, v24
	v_sub_nc_u32_e32 v24, 29, v24
	v_dual_cndmask_b32 v14, v25, v24, s0 :: v_dual_cndmask_b32 v24, 0, v59, s0
	s_delay_alu instid0(VALU_DEP_1) | instskip(NEXT) | instid1(VALU_DEP_2)
	v_lshl_add_u32 v14, v14, 23, 0x3c000000
	v_lshlrev_b64_e32 v[24:25], v24, v[22:23]
	v_lshlrev_b32_e32 v25, 24, v22
	s_delay_alu instid0(VALU_DEP_1) | instskip(NEXT) | instid1(VALU_DEP_3)
	v_and_b32_e32 v25, 0x80000000, v25
	v_lshlrev_b32_e32 v24, 20, v24
	s_delay_alu instid0(VALU_DEP_1) | instskip(NEXT) | instid1(VALU_DEP_1)
	v_and_b32_e32 v24, 0x700000, v24
	v_or3_b32 v59, v24, v25, v14
.LBB310_496:                            ;   in Loop: Header=BB310_305 Depth=1
	s_or_b32 exec_lo, exec_lo, s27
.LBB310_497:                            ;   in Loop: Header=BB310_305 Depth=1
	s_delay_alu instid0(SALU_CYCLE_1)
	s_or_b32 exec_lo, exec_lo, s26
.LBB310_498:                            ;   in Loop: Header=BB310_305 Depth=1
	s_delay_alu instid0(SALU_CYCLE_1) | instskip(SKIP_2) | instid1(VALU_DEP_1)
	s_or_b32 exec_lo, exec_lo, s25
	v_lshrrev_b16 v14, 8, v22
	s_mov_b32 s25, exec_lo
	v_cmpx_ne_u16_e32 0, v14
	s_cbranch_execz .LBB310_506
; %bb.499:                              ;   in Loop: Header=BB310_305 Depth=1
	v_bfrev_b32_e32 v60, 1
	s_mov_b32 s26, exec_lo
	v_cmpx_ne_u16_e32 0x80, v14
	s_cbranch_execz .LBB310_505
; %bb.500:                              ;   in Loop: Header=BB310_305 Depth=1
	v_and_b32_e32 v14, 0xffff, v14
	v_mov_b32_e32 v60, 0x7f800001
	s_mov_b32 s27, exec_lo
	s_delay_alu instid0(VALU_DEP_2) | instskip(NEXT) | instid1(VALU_DEP_1)
	v_and_b32_e32 v25, 0x7f, v14
	v_cmpx_ne_u32_e32 0x7f, v25
	s_cbranch_execz .LBB310_504
; %bb.501:                              ;   in Loop: Header=BB310_305 Depth=1
	v_dual_lshrrev_b32 v24, 3, v25 :: v_dual_bitop2_b32 v14, 7, v14 bitop3:0x40
	s_mov_b32 s28, exec_lo
	v_cmpx_gt_u32_e32 8, v25
; %bb.502:                              ;   in Loop: Header=BB310_305 Depth=1
	s_delay_alu instid0(VALU_DEP_2) | instskip(NEXT) | instid1(VALU_DEP_1)
	v_clz_i32_u32_e32 v24, v14
	v_min_u32_e32 v24, 32, v24
	s_delay_alu instid0(VALU_DEP_1) | instskip(SKIP_1) | instid1(VALU_DEP_2)
	v_subrev_nc_u32_e32 v25, 28, v24
	v_sub_nc_u32_e32 v24, 29, v24
	v_lshlrev_b64_e32 v[60:61], v25, v[14:15]
	s_delay_alu instid0(VALU_DEP_1)
	v_and_b32_e32 v14, 7, v60
; %bb.503:                              ;   in Loop: Header=BB310_305 Depth=1
	s_or_b32 exec_lo, exec_lo, s28
	v_lshlrev_b32_e32 v25, 16, v22
	s_delay_alu instid0(VALU_DEP_2) | instskip(SKIP_1) | instid1(VALU_DEP_3)
	v_lshlrev_b32_e32 v14, 20, v14
	v_lshl_add_u32 v24, v24, 23, 0x3c000000
	v_and_b32_e32 v25, 0x80000000, v25
	s_delay_alu instid0(VALU_DEP_1)
	v_or3_b32 v60, v14, v25, v24
.LBB310_504:                            ;   in Loop: Header=BB310_305 Depth=1
	s_or_b32 exec_lo, exec_lo, s27
.LBB310_505:                            ;   in Loop: Header=BB310_305 Depth=1
	s_delay_alu instid0(SALU_CYCLE_1)
	s_or_b32 exec_lo, exec_lo, s26
.LBB310_506:                            ;   in Loop: Header=BB310_305 Depth=1
	s_delay_alu instid0(SALU_CYCLE_1) | instskip(SKIP_3) | instid1(VALU_DEP_2)
	s_or_b32 exec_lo, exec_lo, s25
	v_dual_lshrrev_b32 v24, 16, v22 :: v_dual_mov_b32 v62, 0
	v_mov_b32_e32 v61, 0
	s_mov_b32 s25, exec_lo
	v_and_b32_e32 v14, 0xff, v24
	s_delay_alu instid0(VALU_DEP_1)
	v_cmpx_ne_u16_e32 0, v14
	s_cbranch_execz .LBB310_514
; %bb.507:                              ;   in Loop: Header=BB310_305 Depth=1
	v_bfrev_b32_e32 v61, 1
	s_mov_b32 s26, exec_lo
	v_cmpx_ne_u16_e32 0x80, v14
	s_cbranch_execz .LBB310_513
; %bb.508:                              ;   in Loop: Header=BB310_305 Depth=1
	v_bfe_u32 v63, v22, 16, 7
	v_mov_b32_e32 v61, 0x7f800001
	s_mov_b32 s27, exec_lo
	s_delay_alu instid0(VALU_DEP_2)
	v_cmpx_ne_u32_e32 0x7f, v63
	s_cbranch_execz .LBB310_512
; %bb.509:                              ;   in Loop: Header=BB310_305 Depth=1
	v_dual_lshrrev_b32 v25, 3, v63 :: v_dual_bitop2_b32 v14, 7, v24 bitop3:0x40
	s_mov_b32 s28, exec_lo
	v_cmpx_gt_u32_e32 8, v63
; %bb.510:                              ;   in Loop: Header=BB310_305 Depth=1
	s_delay_alu instid0(VALU_DEP_2) | instskip(NEXT) | instid1(VALU_DEP_1)
	v_clz_i32_u32_e32 v25, v14
	v_min_u32_e32 v25, 32, v25
	s_delay_alu instid0(VALU_DEP_1) | instskip(NEXT) | instid1(VALU_DEP_1)
	v_subrev_nc_u32_e32 v61, 28, v25
	v_lshlrev_b64_e32 v[64:65], v61, v[14:15]
	s_delay_alu instid0(VALU_DEP_1)
	v_dual_sub_nc_u32 v25, 29, v25 :: v_dual_bitop2_b32 v14, 7, v64 bitop3:0x40
; %bb.511:                              ;   in Loop: Header=BB310_305 Depth=1
	s_or_b32 exec_lo, exec_lo, s28
	s_delay_alu instid0(VALU_DEP_1) | instskip(NEXT) | instid1(VALU_DEP_2)
	v_dual_lshlrev_b32 v24, 24, v24 :: v_dual_lshlrev_b32 v14, 20, v14
	v_lshl_add_u32 v25, v25, 23, 0x3c000000
	s_delay_alu instid0(VALU_DEP_2) | instskip(NEXT) | instid1(VALU_DEP_1)
	v_and_b32_e32 v24, 0x80000000, v24
	v_or3_b32 v61, v14, v24, v25
.LBB310_512:                            ;   in Loop: Header=BB310_305 Depth=1
	s_or_b32 exec_lo, exec_lo, s27
.LBB310_513:                            ;   in Loop: Header=BB310_305 Depth=1
	s_delay_alu instid0(SALU_CYCLE_1)
	s_or_b32 exec_lo, exec_lo, s26
.LBB310_514:                            ;   in Loop: Header=BB310_305 Depth=1
	s_delay_alu instid0(SALU_CYCLE_1) | instskip(NEXT) | instid1(SALU_CYCLE_1)
	s_or_b32 exec_lo, exec_lo, s25
	s_mov_b32 s25, exec_lo
	v_cmpx_lt_u32_e32 0xffffff, v22
	s_cbranch_execz .LBB310_522
; %bb.515:                              ;   in Loop: Header=BB310_305 Depth=1
	v_lshrrev_b32_e32 v24, 24, v22
	v_bfrev_b32_e32 v62, 1
	s_mov_b32 s26, exec_lo
	s_delay_alu instid0(VALU_DEP_2)
	v_cmpx_ne_u32_e32 0x80, v24
	s_cbranch_execz .LBB310_521
; %bb.516:                              ;   in Loop: Header=BB310_305 Depth=1
	v_bfe_u32 v63, v22, 24, 7
	v_mov_b32_e32 v62, 0x7f800001
	s_mov_b32 s27, exec_lo
	s_delay_alu instid0(VALU_DEP_2)
	v_cmpx_ne_u32_e32 0x7f, v63
	s_cbranch_execz .LBB310_520
; %bb.517:                              ;   in Loop: Header=BB310_305 Depth=1
	v_dual_lshrrev_b32 v25, 3, v63 :: v_dual_bitop2_b32 v14, 7, v24 bitop3:0x40
	s_mov_b32 s28, exec_lo
	v_cmpx_gt_u32_e32 8, v63
; %bb.518:                              ;   in Loop: Header=BB310_305 Depth=1
	s_delay_alu instid0(VALU_DEP_2) | instskip(NEXT) | instid1(VALU_DEP_1)
	v_clz_i32_u32_e32 v25, v14
	v_min_u32_e32 v25, 32, v25
	s_delay_alu instid0(VALU_DEP_1) | instskip(NEXT) | instid1(VALU_DEP_1)
	v_subrev_nc_u32_e32 v62, 28, v25
	v_lshlrev_b64_e32 v[62:63], v62, v[14:15]
	s_delay_alu instid0(VALU_DEP_1)
	v_dual_sub_nc_u32 v25, 29, v25 :: v_dual_bitop2_b32 v14, 7, v62 bitop3:0x40
; %bb.519:                              ;   in Loop: Header=BB310_305 Depth=1
	s_or_b32 exec_lo, exec_lo, s28
	s_delay_alu instid0(VALU_DEP_1) | instskip(NEXT) | instid1(VALU_DEP_2)
	v_dual_lshlrev_b32 v24, 24, v24 :: v_dual_lshlrev_b32 v14, 20, v14
	v_lshl_add_u32 v25, v25, 23, 0x3c000000
	s_delay_alu instid0(VALU_DEP_2) | instskip(NEXT) | instid1(VALU_DEP_1)
	v_and_b32_e32 v24, 0x80000000, v24
	v_or3_b32 v62, v14, v24, v25
.LBB310_520:                            ;   in Loop: Header=BB310_305 Depth=1
	s_or_b32 exec_lo, exec_lo, s27
.LBB310_521:                            ;   in Loop: Header=BB310_305 Depth=1
	s_delay_alu instid0(SALU_CYCLE_1)
	s_or_b32 exec_lo, exec_lo, s26
.LBB310_522:                            ;   in Loop: Header=BB310_305 Depth=1
	s_delay_alu instid0(SALU_CYCLE_1) | instskip(SKIP_4) | instid1(VALU_DEP_3)
	s_or_b32 exec_lo, exec_lo, s25
	v_and_b32_e32 v25, 0xff, v23
	v_dual_mov_b32 v14, v23 :: v_dual_mov_b32 v24, 0
	v_mov_b32_e32 v63, 0
	s_mov_b32 s25, exec_lo
	v_cmpx_ne_u16_e32 0, v25
	s_cbranch_execz .LBB310_528
; %bb.523:                              ;   in Loop: Header=BB310_305 Depth=1
	v_bfrev_b32_e32 v63, 1
	s_mov_b32 s26, exec_lo
	v_cmpx_ne_u16_e32 0x80, v25
	s_cbranch_execz .LBB310_527
; %bb.524:                              ;   in Loop: Header=BB310_305 Depth=1
	v_and_b32_e32 v25, 0x7f, v23
	v_mov_b32_e32 v63, 0x7f800001
	s_mov_b32 s27, exec_lo
	s_delay_alu instid0(VALU_DEP_2)
	v_cmpx_ne_u32_e32 0x7f, v25
	s_cbranch_execz .LBB310_526
; %bb.525:                              ;   in Loop: Header=BB310_305 Depth=1
	v_dual_lshrrev_b32 v64, 3, v25 :: v_dual_bitop2_b32 v63, 7, v23 bitop3:0x40
	v_cmp_gt_u32_e64 s0, 8, v25
	s_delay_alu instid0(VALU_DEP_2) | instskip(NEXT) | instid1(VALU_DEP_1)
	v_clz_i32_u32_e32 v63, v63
	v_min_u32_e32 v63, 32, v63
	s_delay_alu instid0(VALU_DEP_1) | instskip(SKIP_1) | instid1(VALU_DEP_1)
	v_subrev_nc_u32_e32 v65, 28, v63
	v_sub_nc_u32_e32 v63, 29, v63
	v_dual_cndmask_b32 v25, v64, v63, s0 :: v_dual_cndmask_b32 v63, 0, v65, s0
	s_delay_alu instid0(VALU_DEP_1) | instskip(NEXT) | instid1(VALU_DEP_2)
	v_lshl_add_u32 v25, v25, 23, 0x3c000000
	v_lshlrev_b64_e32 v[64:65], v63, v[14:15]
	v_lshlrev_b32_e32 v63, 24, v14
	s_delay_alu instid0(VALU_DEP_1) | instskip(NEXT) | instid1(VALU_DEP_3)
	v_and_b32_e32 v63, 0x80000000, v63
	v_lshlrev_b32_e32 v64, 20, v64
	s_delay_alu instid0(VALU_DEP_1) | instskip(NEXT) | instid1(VALU_DEP_1)
	v_and_b32_e32 v64, 0x700000, v64
	v_or3_b32 v63, v64, v63, v25
.LBB310_526:                            ;   in Loop: Header=BB310_305 Depth=1
	s_or_b32 exec_lo, exec_lo, s27
.LBB310_527:                            ;   in Loop: Header=BB310_305 Depth=1
	s_delay_alu instid0(SALU_CYCLE_1)
	s_or_b32 exec_lo, exec_lo, s26
.LBB310_528:                            ;   in Loop: Header=BB310_305 Depth=1
	s_delay_alu instid0(SALU_CYCLE_1) | instskip(SKIP_2) | instid1(VALU_DEP_1)
	s_or_b32 exec_lo, exec_lo, s25
	v_lshrrev_b16 v25, 8, v14
	s_mov_b32 s25, exec_lo
	v_cmpx_ne_u16_e32 0, v25
	s_cbranch_execz .LBB310_536
; %bb.529:                              ;   in Loop: Header=BB310_305 Depth=1
	v_bfrev_b32_e32 v24, 1
	s_mov_b32 s26, exec_lo
	v_cmpx_ne_u16_e32 0x80, v25
	s_cbranch_execz .LBB310_535
; %bb.530:                              ;   in Loop: Header=BB310_305 Depth=1
	v_and_b32_e32 v25, 0xffff, v25
	v_mov_b32_e32 v24, 0x7f800001
	s_mov_b32 s27, exec_lo
	s_delay_alu instid0(VALU_DEP_2) | instskip(NEXT) | instid1(VALU_DEP_1)
	v_and_b32_e32 v65, 0x7f, v25
	v_cmpx_ne_u32_e32 0x7f, v65
	s_cbranch_execz .LBB310_534
; %bb.531:                              ;   in Loop: Header=BB310_305 Depth=1
	v_dual_mov_b32 v25, v15 :: v_dual_bitop2_b32 v24, 7, v25 bitop3:0x40
	v_lshrrev_b32_e32 v64, 3, v65
	s_mov_b32 s28, exec_lo
	v_cmpx_gt_u32_e32 8, v65
; %bb.532:                              ;   in Loop: Header=BB310_305 Depth=1
	s_delay_alu instid0(VALU_DEP_3) | instskip(NEXT) | instid1(VALU_DEP_1)
	v_clz_i32_u32_e32 v64, v24
	v_min_u32_e32 v64, 32, v64
	s_delay_alu instid0(VALU_DEP_1) | instskip(SKIP_1) | instid1(VALU_DEP_2)
	v_subrev_nc_u32_e32 v65, 28, v64
	v_sub_nc_u32_e32 v64, 29, v64
	v_lshlrev_b64_e32 v[24:25], v65, v[24:25]
	s_delay_alu instid0(VALU_DEP_1)
	v_and_b32_e32 v24, 7, v24
; %bb.533:                              ;   in Loop: Header=BB310_305 Depth=1
	s_or_b32 exec_lo, exec_lo, s28
	s_delay_alu instid0(VALU_DEP_1) | instskip(SKIP_1) | instid1(VALU_DEP_2)
	v_dual_lshlrev_b32 v14, 16, v14 :: v_dual_lshlrev_b32 v24, 20, v24
	v_lshl_add_u32 v25, v64, 23, 0x3c000000
	v_and_b32_e32 v14, 0x80000000, v14
	s_delay_alu instid0(VALU_DEP_1)
	v_or3_b32 v24, v24, v14, v25
.LBB310_534:                            ;   in Loop: Header=BB310_305 Depth=1
	s_or_b32 exec_lo, exec_lo, s27
.LBB310_535:                            ;   in Loop: Header=BB310_305 Depth=1
	s_delay_alu instid0(SALU_CYCLE_1)
	s_or_b32 exec_lo, exec_lo, s26
.LBB310_536:                            ;   in Loop: Header=BB310_305 Depth=1
	s_delay_alu instid0(SALU_CYCLE_1) | instskip(SKIP_3) | instid1(VALU_DEP_2)
	s_or_b32 exec_lo, exec_lo, s25
	v_dual_lshrrev_b32 v65, 16, v23 :: v_dual_mov_b32 v25, 0
	v_mov_b32_e32 v64, 0
	s_mov_b32 s25, exec_lo
	v_and_b32_e32 v14, 0xff, v65
	s_delay_alu instid0(VALU_DEP_1)
	v_cmpx_ne_u16_e32 0, v14
	s_cbranch_execz .LBB310_544
; %bb.537:                              ;   in Loop: Header=BB310_305 Depth=1
	v_bfrev_b32_e32 v64, 1
	s_mov_b32 s26, exec_lo
	v_cmpx_ne_u16_e32 0x80, v14
	s_cbranch_execz .LBB310_543
; %bb.538:                              ;   in Loop: Header=BB310_305 Depth=1
	v_bfe_u32 v66, v23, 16, 7
	v_mov_b32_e32 v64, 0x7f800001
	s_mov_b32 s27, exec_lo
	s_delay_alu instid0(VALU_DEP_2)
	v_cmpx_ne_u32_e32 0x7f, v66
	s_cbranch_execz .LBB310_542
; %bb.539:                              ;   in Loop: Header=BB310_305 Depth=1
	v_dual_lshrrev_b32 v64, 3, v66 :: v_dual_bitop2_b32 v14, 7, v65 bitop3:0x40
	s_mov_b32 s28, exec_lo
	v_cmpx_gt_u32_e32 8, v66
; %bb.540:                              ;   in Loop: Header=BB310_305 Depth=1
	s_delay_alu instid0(VALU_DEP_2) | instskip(NEXT) | instid1(VALU_DEP_1)
	v_clz_i32_u32_e32 v64, v14
	v_min_u32_e32 v64, 32, v64
	s_delay_alu instid0(VALU_DEP_1) | instskip(NEXT) | instid1(VALU_DEP_1)
	v_subrev_nc_u32_e32 v66, 28, v64
	v_lshlrev_b64_e32 v[66:67], v66, v[14:15]
	s_delay_alu instid0(VALU_DEP_1)
	v_dual_sub_nc_u32 v64, 29, v64 :: v_dual_bitop2_b32 v14, 7, v66 bitop3:0x40
; %bb.541:                              ;   in Loop: Header=BB310_305 Depth=1
	s_or_b32 exec_lo, exec_lo, s28
	s_delay_alu instid0(VALU_DEP_1) | instskip(NEXT) | instid1(VALU_DEP_2)
	v_dual_lshlrev_b32 v65, 24, v65 :: v_dual_lshlrev_b32 v14, 20, v14
	v_lshl_add_u32 v64, v64, 23, 0x3c000000
	s_delay_alu instid0(VALU_DEP_2) | instskip(NEXT) | instid1(VALU_DEP_1)
	v_and_b32_e32 v65, 0x80000000, v65
	v_or3_b32 v64, v14, v65, v64
.LBB310_542:                            ;   in Loop: Header=BB310_305 Depth=1
	s_or_b32 exec_lo, exec_lo, s27
.LBB310_543:                            ;   in Loop: Header=BB310_305 Depth=1
	s_delay_alu instid0(SALU_CYCLE_1)
	s_or_b32 exec_lo, exec_lo, s26
.LBB310_544:                            ;   in Loop: Header=BB310_305 Depth=1
	s_delay_alu instid0(SALU_CYCLE_1) | instskip(NEXT) | instid1(SALU_CYCLE_1)
	s_or_b32 exec_lo, exec_lo, s25
	s_mov_b32 s25, exec_lo
	v_cmpx_lt_u64_e64 s[4:5], v[22:23]
	s_cbranch_execz .LBB310_552
; %bb.545:                              ;   in Loop: Header=BB310_305 Depth=1
	v_lshrrev_b32_e32 v22, 24, v23
	v_bfrev_b32_e32 v25, 1
	s_mov_b32 s26, exec_lo
	s_delay_alu instid0(VALU_DEP_2)
	v_cmpx_ne_u32_e32 0x80, v22
	s_cbranch_execz .LBB310_551
; %bb.546:                              ;   in Loop: Header=BB310_305 Depth=1
	v_bfe_u32 v65, v23, 24, 7
	v_mov_b32_e32 v25, 0x7f800001
	s_mov_b32 s27, exec_lo
	s_delay_alu instid0(VALU_DEP_2)
	v_cmpx_ne_u32_e32 0x7f, v65
	s_cbranch_execz .LBB310_550
; %bb.547:                              ;   in Loop: Header=BB310_305 Depth=1
	v_dual_lshrrev_b32 v23, 3, v65 :: v_dual_bitop2_b32 v14, 7, v22 bitop3:0x40
	s_mov_b32 s28, exec_lo
	v_cmpx_gt_u32_e32 8, v65
; %bb.548:                              ;   in Loop: Header=BB310_305 Depth=1
	s_delay_alu instid0(VALU_DEP_2) | instskip(NEXT) | instid1(VALU_DEP_1)
	v_clz_i32_u32_e32 v23, v14
	v_min_u32_e32 v23, 32, v23
	s_delay_alu instid0(VALU_DEP_1) | instskip(NEXT) | instid1(VALU_DEP_1)
	v_subrev_nc_u32_e32 v25, 28, v23
	v_lshlrev_b64_e32 v[66:67], v25, v[14:15]
	s_delay_alu instid0(VALU_DEP_1)
	v_dual_sub_nc_u32 v23, 29, v23 :: v_dual_bitop2_b32 v14, 7, v66 bitop3:0x40
; %bb.549:                              ;   in Loop: Header=BB310_305 Depth=1
	s_or_b32 exec_lo, exec_lo, s28
	v_lshlrev_b32_e32 v22, 24, v22
	s_delay_alu instid0(VALU_DEP_2) | instskip(NEXT) | instid1(VALU_DEP_3)
	v_lshlrev_b32_e32 v14, 20, v14
	v_lshl_add_u32 v23, v23, 23, 0x3c000000
	s_delay_alu instid0(VALU_DEP_3) | instskip(NEXT) | instid1(VALU_DEP_1)
	v_and_b32_e32 v22, 0x80000000, v22
	v_or3_b32 v25, v14, v22, v23
.LBB310_550:                            ;   in Loop: Header=BB310_305 Depth=1
	s_or_b32 exec_lo, exec_lo, s27
.LBB310_551:                            ;   in Loop: Header=BB310_305 Depth=1
	s_delay_alu instid0(SALU_CYCLE_1)
	s_or_b32 exec_lo, exec_lo, s26
.LBB310_552:                            ;   in Loop: Header=BB310_305 Depth=1
	s_delay_alu instid0(SALU_CYCLE_1)
	s_or_b32 exec_lo, exec_lo, s25
	v_fma_mixlo_bf16 v14, s24, v24, 0
	v_fma_mixlo_bf16 v22, s24, v63, 0
	;; [unrolled: 1-line block ×8, first 2 shown]
	s_and_saveexec_b32 s0, vcc_lo
	s_cbranch_execz .LBB310_303
; %bb.553:                              ;   in Loop: Header=BB310_305 Depth=1
	v_cmp_gt_i32_e32 vcc_lo, s34, v18
	v_cndmask_b32_e32 v59, 0, v59, vcc_lo
	v_cmp_gt_i32_e32 vcc_lo, s34, v44
	v_cndmask_b32_e32 v60, 0, v60, vcc_lo
	;; [unrolled: 2-line block ×8, first 2 shown]
	s_branch .LBB310_303
.LBB310_554:
	s_or_b32 exec_lo, exec_lo, s18
.LBB310_555:
	s_delay_alu instid0(SALU_CYCLE_1) | instskip(SKIP_4) | instid1(VALU_DEP_2)
	s_or_b32 exec_lo, exec_lo, s1
	v_lshl_add_u32 v2, v28, 2, 0x120
	v_and_b32_e32 v3, 0x3c0, v0
	s_mov_b32 s0, exec_lo
	s_barrier_signal -1
	v_lshl_add_u32 v1, v1, 9, v2
	s_barrier_wait -1
	v_cmpx_eq_u32_e32 64, v3
	s_cbranch_execz .LBB310_557
; %bb.556:
	s_delay_alu instid0(VALU_DEP_2)
	v_add_nc_u32_e32 v3, 0xfffffc00, v1
	v_add_nc_u32_e32 v4, 0xfffffc80, v1
	v_add_nc_u32_e32 v5, 0xfffffd00, v1
	v_add_nc_u32_e32 v6, 0xfffffd80, v1
	ds_store_b32 v3, v10
	ds_store_b32 v4, v11
	;; [unrolled: 1-line block ×4, first 2 shown]
.LBB310_557:
	s_or_b32 exec_lo, exec_lo, s0
	s_wait_dscnt 0x0
	s_barrier_signal -1
	s_barrier_wait -1
	s_and_saveexec_b32 s0, s2
	s_cbranch_execz .LBB310_559
; %bb.558:
	ds_load_2addr_b32 v[4:5], v1 offset1:32
	ds_load_2addr_b32 v[6:7], v1 offset0:64 offset1:96
	s_wait_dscnt 0x1
	v_pk_add_f32 v[10:11], v[10:11], v[4:5]
	s_wait_dscnt 0x0
	v_pk_add_f32 v[12:13], v[12:13], v[6:7]
.LBB310_559:
	s_or_b32 exec_lo, exec_lo, s0
	v_and_b32_e32 v3, 0x3e0, v0
	s_mov_b32 s0, exec_lo
	s_barrier_signal -1
	s_barrier_wait -1
	s_delay_alu instid0(VALU_DEP_1)
	v_cmpx_eq_u32_e32 32, v3
	s_cbranch_execz .LBB310_561
; %bb.560:
	ds_store_2addr_b32 v2, v10, v11 offset1:32
	ds_store_2addr_b32 v2, v12, v13 offset0:64 offset1:96
.LBB310_561:
	s_or_b32 exec_lo, exec_lo, s0
	v_cmp_gt_u32_e32 vcc_lo, 32, v0
	s_wait_dscnt 0x0
	s_barrier_signal -1
	s_barrier_wait -1
	s_and_saveexec_b32 s0, vcc_lo
	s_cbranch_execz .LBB310_563
; %bb.562:
	ds_load_2addr_b32 v[2:3], v1 offset1:32
	ds_load_2addr_b32 v[4:5], v1 offset0:64 offset1:96
	s_wait_dscnt 0x1
	v_pk_add_f32 v[10:11], v[10:11], v[2:3]
	s_wait_dscnt 0x0
	v_pk_add_f32 v[12:13], v[12:13], v[4:5]
.LBB310_563:
	s_or_b32 exec_lo, exec_lo, s0
	s_barrier_signal -1
	s_barrier_wait -1
	s_and_saveexec_b32 s0, vcc_lo
	s_cbranch_execz .LBB310_565
; %bb.564:
	s_mul_i32 s1, s33, s12
	s_bfe_u32 s5, ttmp6, 0x40014
	s_mul_i32 s1, s1, s31
	s_mul_i32 s0, s12, s20
	s_lshl_b32 s2, s1, 7
	s_lshr_b32 s4, ttmp7, 16
	s_ashr_i32 s3, s2, 31
	s_add_co_i32 s5, s5, 1
	s_lshl_b64 s[2:3], s[2:3], 1
	s_ashr_i32 s1, s0, 31
	s_wait_kmcnt 0x0
	s_add_nc_u64 s[2:3], s[6:7], s[2:3]
	s_mul_i32 s5, s4, s5
	s_bfe_u32 s6, ttmp6, 0x40008
	s_lshl_b64 s[0:1], s[0:1], 1
	s_add_co_i32 s6, s6, s5
	s_cmp_eq_u32 s30, 0
	s_add_nc_u64 s[0:1], s[2:3], s[0:1]
	s_cselect_b32 s2, s4, s6
	s_mov_b32 s3, 0
	s_lshl_b32 s2, s2, 8
	s_delay_alu instid0(SALU_CYCLE_1) | instskip(NEXT) | instid1(SALU_CYCLE_1)
	s_add_nc_u64 s[0:1], s[0:1], s[2:3]
	v_cvt_pk_bf16_f32 v1, v10, s0
	v_cvt_pk_bf16_f32 v2, v11, s0
	;; [unrolled: 1-line block ×4, first 2 shown]
	s_clause 0x3
	global_store_b16 v0, v1, s[0:1] scale_offset
	global_store_b16 v0, v2, s[0:1] offset:64 scale_offset
	global_store_b16 v0, v3, s[0:1] offset:128 scale_offset
	;; [unrolled: 1-line block ×3, first 2 shown]
.LBB310_565:
	s_sendmsg sendmsg(MSG_DEALLOC_VGPRS)
	s_endpgm
	.section	.rodata,"a",@progbits
	.p2align	6, 0x0
	.amdhsa_kernel _ZN4vllm25paged_attention_v1_kernelI14__hip_bfloat16hLi128ELi8ELi128ELNS_18Fp8KVCacheDataTypeE1ELb1EEEvPT_PKS3_PKT0_S9_ifPKiSB_iPKfiiiSD_SD_iiiii
		.amdhsa_group_segment_fixed_size 288
		.amdhsa_private_segment_fixed_size 0
		.amdhsa_kernarg_size 384
		.amdhsa_user_sgpr_count 2
		.amdhsa_user_sgpr_dispatch_ptr 0
		.amdhsa_user_sgpr_queue_ptr 0
		.amdhsa_user_sgpr_kernarg_segment_ptr 1
		.amdhsa_user_sgpr_dispatch_id 0
		.amdhsa_user_sgpr_kernarg_preload_length 0
		.amdhsa_user_sgpr_kernarg_preload_offset 0
		.amdhsa_user_sgpr_private_segment_size 0
		.amdhsa_wavefront_size32 1
		.amdhsa_uses_dynamic_stack 0
		.amdhsa_enable_private_segment 0
		.amdhsa_system_sgpr_workgroup_id_x 1
		.amdhsa_system_sgpr_workgroup_id_y 1
		.amdhsa_system_sgpr_workgroup_id_z 1
		.amdhsa_system_sgpr_workgroup_info 0
		.amdhsa_system_vgpr_workitem_id 0
		.amdhsa_next_free_vgpr 70
		.amdhsa_next_free_sgpr 47
		.amdhsa_named_barrier_count 0
		.amdhsa_reserve_vcc 1
		.amdhsa_float_round_mode_32 0
		.amdhsa_float_round_mode_16_64 0
		.amdhsa_float_denorm_mode_32 3
		.amdhsa_float_denorm_mode_16_64 3
		.amdhsa_fp16_overflow 0
		.amdhsa_memory_ordered 1
		.amdhsa_forward_progress 1
		.amdhsa_inst_pref_size 165
		.amdhsa_round_robin_scheduling 0
		.amdhsa_exception_fp_ieee_invalid_op 0
		.amdhsa_exception_fp_denorm_src 0
		.amdhsa_exception_fp_ieee_div_zero 0
		.amdhsa_exception_fp_ieee_overflow 0
		.amdhsa_exception_fp_ieee_underflow 0
		.amdhsa_exception_fp_ieee_inexact 0
		.amdhsa_exception_int_div_zero 0
	.end_amdhsa_kernel
	.section	.text._ZN4vllm25paged_attention_v1_kernelI14__hip_bfloat16hLi128ELi8ELi128ELNS_18Fp8KVCacheDataTypeE1ELb1EEEvPT_PKS3_PKT0_S9_ifPKiSB_iPKfiiiSD_SD_iiiii,"axG",@progbits,_ZN4vllm25paged_attention_v1_kernelI14__hip_bfloat16hLi128ELi8ELi128ELNS_18Fp8KVCacheDataTypeE1ELb1EEEvPT_PKS3_PKT0_S9_ifPKiSB_iPKfiiiSD_SD_iiiii,comdat
.Lfunc_end310:
	.size	_ZN4vllm25paged_attention_v1_kernelI14__hip_bfloat16hLi128ELi8ELi128ELNS_18Fp8KVCacheDataTypeE1ELb1EEEvPT_PKS3_PKT0_S9_ifPKiSB_iPKfiiiSD_SD_iiiii, .Lfunc_end310-_ZN4vllm25paged_attention_v1_kernelI14__hip_bfloat16hLi128ELi8ELi128ELNS_18Fp8KVCacheDataTypeE1ELb1EEEvPT_PKS3_PKT0_S9_ifPKiSB_iPKfiiiSD_SD_iiiii
                                        ; -- End function
	.set _ZN4vllm25paged_attention_v1_kernelI14__hip_bfloat16hLi128ELi8ELi128ELNS_18Fp8KVCacheDataTypeE1ELb1EEEvPT_PKS3_PKT0_S9_ifPKiSB_iPKfiiiSD_SD_iiiii.num_vgpr, 70
	.set _ZN4vllm25paged_attention_v1_kernelI14__hip_bfloat16hLi128ELi8ELi128ELNS_18Fp8KVCacheDataTypeE1ELb1EEEvPT_PKS3_PKT0_S9_ifPKiSB_iPKfiiiSD_SD_iiiii.num_agpr, 0
	.set _ZN4vllm25paged_attention_v1_kernelI14__hip_bfloat16hLi128ELi8ELi128ELNS_18Fp8KVCacheDataTypeE1ELb1EEEvPT_PKS3_PKT0_S9_ifPKiSB_iPKfiiiSD_SD_iiiii.numbered_sgpr, 47
	.set _ZN4vllm25paged_attention_v1_kernelI14__hip_bfloat16hLi128ELi8ELi128ELNS_18Fp8KVCacheDataTypeE1ELb1EEEvPT_PKS3_PKT0_S9_ifPKiSB_iPKfiiiSD_SD_iiiii.num_named_barrier, 0
	.set _ZN4vllm25paged_attention_v1_kernelI14__hip_bfloat16hLi128ELi8ELi128ELNS_18Fp8KVCacheDataTypeE1ELb1EEEvPT_PKS3_PKT0_S9_ifPKiSB_iPKfiiiSD_SD_iiiii.private_seg_size, 0
	.set _ZN4vllm25paged_attention_v1_kernelI14__hip_bfloat16hLi128ELi8ELi128ELNS_18Fp8KVCacheDataTypeE1ELb1EEEvPT_PKS3_PKT0_S9_ifPKiSB_iPKfiiiSD_SD_iiiii.uses_vcc, 1
	.set _ZN4vllm25paged_attention_v1_kernelI14__hip_bfloat16hLi128ELi8ELi128ELNS_18Fp8KVCacheDataTypeE1ELb1EEEvPT_PKS3_PKT0_S9_ifPKiSB_iPKfiiiSD_SD_iiiii.uses_flat_scratch, 0
	.set _ZN4vllm25paged_attention_v1_kernelI14__hip_bfloat16hLi128ELi8ELi128ELNS_18Fp8KVCacheDataTypeE1ELb1EEEvPT_PKS3_PKT0_S9_ifPKiSB_iPKfiiiSD_SD_iiiii.has_dyn_sized_stack, 0
	.set _ZN4vllm25paged_attention_v1_kernelI14__hip_bfloat16hLi128ELi8ELi128ELNS_18Fp8KVCacheDataTypeE1ELb1EEEvPT_PKS3_PKT0_S9_ifPKiSB_iPKfiiiSD_SD_iiiii.has_recursion, 0
	.set _ZN4vllm25paged_attention_v1_kernelI14__hip_bfloat16hLi128ELi8ELi128ELNS_18Fp8KVCacheDataTypeE1ELb1EEEvPT_PKS3_PKT0_S9_ifPKiSB_iPKfiiiSD_SD_iiiii.has_indirect_call, 0
	.section	.AMDGPU.csdata,"",@progbits
; Kernel info:
; codeLenInByte = 21036
; TotalNumSgprs: 49
; NumVgprs: 70
; ScratchSize: 0
; MemoryBound: 0
; FloatMode: 240
; IeeeMode: 1
; LDSByteSize: 288 bytes/workgroup (compile time only)
; SGPRBlocks: 0
; VGPRBlocks: 4
; NumSGPRsForWavesPerEU: 49
; NumVGPRsForWavesPerEU: 70
; NamedBarCnt: 0
; Occupancy: 12
; WaveLimiterHint : 1
; COMPUTE_PGM_RSRC2:SCRATCH_EN: 0
; COMPUTE_PGM_RSRC2:USER_SGPR: 2
; COMPUTE_PGM_RSRC2:TRAP_HANDLER: 0
; COMPUTE_PGM_RSRC2:TGID_X_EN: 1
; COMPUTE_PGM_RSRC2:TGID_Y_EN: 1
; COMPUTE_PGM_RSRC2:TGID_Z_EN: 1
; COMPUTE_PGM_RSRC2:TIDIG_COMP_CNT: 0
	.section	.text._ZN4vllm25paged_attention_v1_kernelI14__hip_bfloat16hLi192ELi8ELi128ELNS_18Fp8KVCacheDataTypeE1ELb1EEEvPT_PKS3_PKT0_S9_ifPKiSB_iPKfiiiSD_SD_iiiii,"axG",@progbits,_ZN4vllm25paged_attention_v1_kernelI14__hip_bfloat16hLi192ELi8ELi128ELNS_18Fp8KVCacheDataTypeE1ELb1EEEvPT_PKS3_PKT0_S9_ifPKiSB_iPKfiiiSD_SD_iiiii,comdat
	.protected	_ZN4vllm25paged_attention_v1_kernelI14__hip_bfloat16hLi192ELi8ELi128ELNS_18Fp8KVCacheDataTypeE1ELb1EEEvPT_PKS3_PKT0_S9_ifPKiSB_iPKfiiiSD_SD_iiiii ; -- Begin function _ZN4vllm25paged_attention_v1_kernelI14__hip_bfloat16hLi192ELi8ELi128ELNS_18Fp8KVCacheDataTypeE1ELb1EEEvPT_PKS3_PKT0_S9_ifPKiSB_iPKfiiiSD_SD_iiiii
	.globl	_ZN4vllm25paged_attention_v1_kernelI14__hip_bfloat16hLi192ELi8ELi128ELNS_18Fp8KVCacheDataTypeE1ELb1EEEvPT_PKS3_PKT0_S9_ifPKiSB_iPKfiiiSD_SD_iiiii
	.p2align	8
	.type	_ZN4vllm25paged_attention_v1_kernelI14__hip_bfloat16hLi192ELi8ELi128ELNS_18Fp8KVCacheDataTypeE1ELb1EEEvPT_PKS3_PKT0_S9_ifPKiSB_iPKfiiiSD_SD_iiiii,@function
_ZN4vllm25paged_attention_v1_kernelI14__hip_bfloat16hLi192ELi8ELi128ELNS_18Fp8KVCacheDataTypeE1ELb1EEEvPT_PKS3_PKT0_S9_ifPKiSB_iPKfiiiSD_SD_iiiii: ; @_ZN4vllm25paged_attention_v1_kernelI14__hip_bfloat16hLi192ELi8ELi128ELNS_18Fp8KVCacheDataTypeE1ELb1EEEvPT_PKS3_PKT0_S9_ifPKiSB_iPKfiiiSD_SD_iiiii
; %bb.0:
	s_load_b64 s[26:27], s[0:1], 0x20
	s_bfe_u32 s3, ttmp6, 0x4000c
	s_bfe_u32 s4, ttmp6, 0x40010
	s_and_b32 s6, ttmp7, 0xffff
	s_add_co_i32 s3, s3, 1
	s_add_co_i32 s4, s4, 1
	s_and_b32 s2, ttmp6, 15
	s_bfe_u32 s5, ttmp6, 0x40004
	s_mul_i32 s3, ttmp9, s3
	s_mul_i32 s4, s6, s4
	s_getreg_b32 s30, hwreg(HW_REG_IB_STS2, 6, 4)
	s_add_co_i32 s2, s2, s3
	s_add_co_i32 s3, s5, s4
	s_cmp_eq_u32 s30, 0
	s_clause 0x1
	s_load_b32 s31, s[0:1], 0x80
	s_load_b64 s[4:5], s[0:1], 0x30
	s_cselect_b32 s33, s6, s3
	s_cselect_b32 s2, ttmp9, s2
	s_wait_kmcnt 0x0
	s_abs_i32 s3, s26
	s_delay_alu instid0(SALU_CYCLE_1) | instskip(SKIP_1) | instid1(SALU_CYCLE_2)
	s_cvt_f32_u32 s6, s3
	s_sub_co_i32 s7, 0, s3
	v_rcp_iflag_f32_e32 v1, s6
	s_abs_i32 s8, s31
	v_nop
	s_delay_alu instid0(TRANS32_DEP_1) | instskip(SKIP_1) | instid1(SALU_CYCLE_3)
	v_readfirstlane_b32 s6, v1
	s_mul_f32 s6, s6, 0x4f7ffffe
	s_cvt_u32_f32 s6, s6
	s_delay_alu instid0(SALU_CYCLE_3) | instskip(NEXT) | instid1(SALU_CYCLE_1)
	s_mul_i32 s7, s7, s6
	s_mul_hi_u32 s7, s6, s7
	s_delay_alu instid0(SALU_CYCLE_1) | instskip(SKIP_4) | instid1(SALU_CYCLE_1)
	s_add_co_i32 s6, s6, s7
	s_xor_b32 s7, s31, s26
	s_mul_hi_u32 s6, s8, s6
	s_ashr_i32 s7, s7, 31
	s_mul_i32 s9, s6, s3
	s_sub_co_i32 s8, s8, s9
	s_add_co_i32 s9, s6, 1
	s_sub_co_i32 s10, s8, s3
	s_cmp_ge_u32 s8, s3
	s_cselect_b32 s6, s9, s6
	s_cselect_b32 s8, s10, s8
	s_add_co_i32 s9, s6, 1
	s_cmp_ge_u32 s8, s3
	s_load_b64 s[10:11], s[0:1], 0x40
	s_cselect_b32 s3, s9, s6
	s_mov_b32 s9, 0
	s_xor_b32 s3, s3, s7
	s_abs_i32 s8, s2
	s_sub_co_i32 s12, s3, s7
	s_mov_b32 s7, s9
	s_abs_i32 s19, s12
	s_mov_b32 s36, s9
	s_cvt_f32_u32 s3, s19
	s_sub_co_i32 s6, 0, s19
	s_delay_alu instid0(SALU_CYCLE_2) | instskip(SKIP_1) | instid1(TRANS32_DEP_1)
	v_rcp_iflag_f32_e32 v1, s3
	v_nop
	v_readfirstlane_b32 s3, v1
	s_mul_f32 s3, s3, 0x4f7ffffe
	s_delay_alu instid0(SALU_CYCLE_3) | instskip(NEXT) | instid1(SALU_CYCLE_3)
	s_cvt_u32_f32 s3, s3
	s_mul_i32 s6, s6, s3
	s_delay_alu instid0(SALU_CYCLE_1) | instskip(NEXT) | instid1(SALU_CYCLE_1)
	s_mul_hi_u32 s6, s3, s6
	s_add_co_i32 s6, s3, s6
	s_wait_kmcnt 0x0
	s_cmp_eq_u64 s[10:11], 0
	s_cbranch_scc1 .LBB311_2
; %bb.1:
	s_ashr_i32 s3, s2, 31
	s_delay_alu instid0(SALU_CYCLE_1) | instskip(NEXT) | instid1(SALU_CYCLE_1)
	s_lshl_b64 s[14:15], s[2:3], 2
	s_add_nc_u64 s[10:11], s[10:11], s[14:15]
	s_load_b32 s36, s[10:11], 0x0
.LBB311_2:
	s_load_b32 s34, s[4:5], s33 offset:0x0 scale_offset
	s_load_b96 s[16:18], s[0:1], 0x48
	v_and_b32_e32 v2, 3, v0
	s_wait_xcnt 0x0
	s_mul_u64 s[4:5], s[8:9], s[6:7]
	s_ashr_i32 s3, s2, 31
	s_ashr_i32 s10, s12, 31
	s_mul_i32 s6, s2, 0xc0
	s_mov_b32 s4, exec_lo
	v_cmpx_gt_u32_e32 0x60, v0
	s_cbranch_execz .LBB311_4
; %bb.3:
	s_load_b64 s[12:13], s[0:1], 0x8
	s_wait_kmcnt 0x0
	s_mul_i32 s14, s16, s33
	s_ashr_i32 s7, s6, 31
	s_ashr_i32 s15, s14, 31
	v_and_b32_e32 v3, 0x3fc, v0
	s_lshl_b64 s[14:15], s[14:15], 1
	s_delay_alu instid0(VALU_DEP_1) | instskip(SKIP_2) | instid1(SALU_CYCLE_1)
	v_mad_u32_u24 v3, 0x60, v2, v3
	s_add_nc_u64 s[12:13], s[12:13], s[14:15]
	s_lshl_b64 s[14:15], s[6:7], 1
	s_add_nc_u64 s[12:13], s[12:13], s[14:15]
	global_load_b32 v1, v0, s[12:13] scale_offset
	s_wait_loadcnt 0x0
	ds_store_b32 v3, v1
.LBB311_4:
	s_or_b32 exec_lo, exec_lo, s4
	s_load_b128 s[12:15], s[0:1], 0x68
	s_mul_i32 s4, s5, s19
	s_xor_b32 s3, s3, s10
	s_sub_co_i32 s4, s8, s4
	s_add_co_i32 s7, s5, 1
	s_sub_co_i32 s8, s4, s19
	s_cmp_ge_u32 s4, s19
	s_mov_b32 s9, -1
	s_cselect_b32 s5, s7, s5
	s_cselect_b32 s4, s8, s4
	s_add_co_i32 s8, s5, 1
	s_cmp_ge_u32 s4, s19
	s_load_b32 s7, s[0:1], 0x78
	s_cselect_b32 s4, s8, s5
	s_wait_kmcnt 0x0
	s_add_co_i32 s8, s34, -1
	s_xor_b32 s4, s4, s3
	s_wait_dscnt 0x0
	s_sub_co_i32 s3, s4, s3
	s_barrier_signal -1
	s_barrier_wait -1
	s_abs_i32 s16, s15
	s_delay_alu instid0(SALU_CYCLE_1) | instskip(NEXT) | instid1(SALU_CYCLE_3)
	s_cvt_f32_u32 s5, s16
                                        ; implicit-def: $sgpr35
	v_rcp_iflag_f32_e32 v1, s5
	v_nop
	s_delay_alu instid0(TRANS32_DEP_1) | instskip(SKIP_1) | instid1(SALU_CYCLE_3)
	v_readfirstlane_b32 s5, v1
	s_mul_f32 s4, s5, 0x4f7ffffe
	s_cvt_u32_f32 s10, s4
	s_sub_co_i32 s4, 0, s16
	s_delay_alu instid0(SALU_CYCLE_2)
	s_mul_i32 s5, s4, s10
	s_abs_i32 s4, s8
	s_mul_hi_u32 s11, s10, s5
	s_mov_b32 s5, 0
	s_add_co_i32 s20, s10, s11
	s_cmp_lt_i32 s7, 0
	s_mov_b32 s21, s5
	s_cbranch_scc0 .LBB311_6
; %bb.5:
	s_mul_i32 s9, s12, s26
	s_delay_alu instid0(SALU_CYCLE_1) | instskip(NEXT) | instid1(SALU_CYCLE_1)
	s_add_co_i32 s9, s3, s9
	s_mul_i32 s9, s9, s7
	s_delay_alu instid0(SALU_CYCLE_1)
	s_sub_co_i32 s35, 1, s9
	s_mov_b32 s9, s5
.LBB311_6:
	s_ashr_i32 s8, s8, 31
	s_ashr_i32 s15, s15, 31
	s_and_not1_b32 vcc_lo, exec_lo, s9
	s_mul_u64 s[28:29], s[4:5], s[20:21]
	s_cbranch_vccnz .LBB311_8
; %bb.7:
	s_mul_i32 s5, s31, s12
	s_delay_alu instid0(SALU_CYCLE_1) | instskip(NEXT) | instid1(SALU_CYCLE_1)
	s_add_co_i32 s2, s5, s2
	s_mul_i32 s2, s2, s7
	s_delay_alu instid0(SALU_CYCLE_1)
	s_add_co_i32 s35, s2, 1
.LBB311_8:
	s_clause 0x1
	s_load_b32 s2, s[0:1], 0x38
	s_load_b64 s[22:23], s[0:1], 0x28
	s_mul_i32 s7, s29, s16
	s_xor_b32 s5, s8, s15
	s_sub_co_i32 s4, s4, s7
	s_add_co_i32 s12, s29, 1
	s_clause 0x1
	s_load_b32 s7, s[0:1], 0x88
	s_load_b128 s[8:11], s[0:1], 0x58
	v_dual_lshrrev_b32 v1, 5, v0 :: v_dual_lshrrev_b32 v27, 3, v0
	v_mov_b32_e32 v41, 0xff7fffff
	v_mbcnt_lo_u32_b32 v38, -1, 0
	s_mul_i32 s18, s3, s18
	s_delay_alu instid0(VALU_DEP_3)
	v_lshlrev_b32_e32 v26, 3, v1
	s_wait_kmcnt 0x0
	s_mul_i32 s24, s2, s33
	s_sub_co_i32 s2, s4, s16
	s_ashr_i32 s25, s24, 31
	s_cmp_ge_u32 s4, s16
	s_cselect_b32 s12, s12, s29
	s_cselect_b32 s2, s2, s4
	s_add_co_i32 s4, s12, 1
	s_cmp_ge_u32 s2, s16
	s_cselect_b32 s2, s4, s12
	s_add_co_i32 s4, s34, 7
	s_delay_alu instid0(SALU_CYCLE_1) | instskip(NEXT) | instid1(SALU_CYCLE_1)
	s_ashr_i32 s12, s4, 31
	s_lshr_b32 s12, s12, 29
	s_delay_alu instid0(SALU_CYCLE_1) | instskip(NEXT) | instid1(SALU_CYCLE_1)
	s_add_co_i32 s4, s4, s12
	s_ashr_i32 s12, s4, 3
	s_xor_b32 s4, s2, s5
	v_cmp_gt_i32_e64 s2, s12, v1
	s_sub_co_i32 s26, s4, s5
	s_and_saveexec_b32 s37, s2
	s_cbranch_execz .LBB311_404
; %bb.9:
	s_load_b64 s[4:5], s[0:1], 0x10
	s_sub_co_i32 s38, s26, s13
	s_ashr_i32 s19, s18, 31
	s_cmp_neq_f32 s36, 0
	v_bfe_u32 v39, v0, 2, 3
	v_dual_mov_b32 v29, 0 :: v_dual_lshlrev_b32 v30, 3, v1
	s_cselect_b32 vcc_lo, -1, 0
	s_abs_i32 s39, s14
	s_delay_alu instid0(VALU_DEP_2)
	v_lshlrev_b32_e32 v28, 4, v39
	s_cvt_f32_u32 s28, s39
	s_lshl_b64 s[40:41], s[24:25], 2
	v_cmp_eq_u32_e64 s3, 0, v2
	v_mul_u32_u24_e32 v40, 0x60, v2
	v_rcp_iflag_f32_e32 v3, s28
	v_subrev_nc_u32_e32 v6, s34, v39
	v_dual_mov_b32 v44, 0xff7fffff :: v_dual_mov_b32 v45, v1
	s_mov_b32 s29, 0
	v_mov_b32_e32 v41, 0xff7fffff
	s_wait_kmcnt 0x0
	s_add_nc_u64 s[4:5], s[4:5], s[18:19]
	v_readfirstlane_b32 s28, v3
	v_lshlrev_b32_e32 v3, 2, v39
	v_add_nc_u64_e32 v[4:5], s[4:5], v[28:29]
	v_lshlrev_b32_e32 v28, 1, v2
	s_add_nc_u64 s[4:5], s[22:23], s[40:41]
	s_mul_f32 s19, s28, 0x4f7ffffe
	v_lshl_or_b32 v2, v1, 5, v3
	s_sub_co_i32 s28, 0, s39
	v_add_nc_u32_e32 v42, 1, v6
	v_add_nc_u64_e32 v[32:33], v[4:5], v[28:29]
	v_and_b32_e32 v28, 0x7c, v27
	s_cvt_u32_f32 s40, s19
	v_add_nc_u32_e32 v43, 0x1a0, v2
	s_mov_b32 s19, s17
	s_delay_alu instid0(VALU_DEP_2) | instskip(SKIP_1) | instid1(SALU_CYCLE_1)
	v_add_nc_u64_e32 v[34:35], s[4:5], v[28:29]
	s_mul_i32 s28, s28, s40
	s_mul_hi_u32 s28, s40, s28
	s_delay_alu instid0(SALU_CYCLE_1)
	s_add_co_i32 s28, s40, s28
	s_mov_b32 s40, s29
	s_branch .LBB311_12
.LBB311_10:                             ;   in Loop: Header=BB311_12 Depth=1
	s_or_b32 exec_lo, exec_lo, s41
.LBB311_11:                             ;   in Loop: Header=BB311_12 Depth=1
	s_delay_alu instid0(SALU_CYCLE_1) | instskip(SKIP_3) | instid1(VALU_DEP_3)
	s_or_b32 exec_lo, exec_lo, s5
	v_dual_add_nc_u32 v45, 4, v45 :: v_dual_add_nc_u32 v30, 32, v30
	v_add_nc_u64_e32 v[34:35], 16, v[34:35]
	v_add_nc_u32_e32 v43, 0x80, v43
	v_cmp_le_i32_e64 s4, s12, v45
	s_or_b32 s40, s4, s40
	s_delay_alu instid0(SALU_CYCLE_1)
	s_and_not1_b32 exec_lo, exec_lo, s40
	s_cbranch_execz .LBB311_403
.LBB311_12:                             ; =>This Inner Loop Header: Depth=1
	v_mov_b32_e32 v31, v29
	s_wait_dscnt 0x0
	s_delay_alu instid0(VALU_DEP_1) | instskip(NEXT) | instid1(VALU_DEP_1)
	v_mul_u64_e32 v[2:3], s[20:21], v[30:31]
	v_mul_lo_u32 v2, v3, s16
	s_delay_alu instid0(VALU_DEP_1) | instskip(NEXT) | instid1(VALU_DEP_1)
	v_sub_nc_u32_e32 v2, v30, v2
	v_subrev_nc_u32_e32 v5, s16, v2
	v_cmp_le_u32_e64 s4, s16, v2
	s_delay_alu instid0(VALU_DEP_1) | instskip(NEXT) | instid1(VALU_DEP_1)
	v_dual_add_nc_u32 v4, 1, v3 :: v_dual_cndmask_b32 v2, v2, v5, s4
	v_cndmask_b32_e64 v3, v3, v4, s4
	s_delay_alu instid0(VALU_DEP_2) | instskip(NEXT) | instid1(VALU_DEP_2)
	v_cmp_le_u32_e64 s4, s16, v2
	v_add_nc_u32_e32 v4, 1, v3
	s_delay_alu instid0(VALU_DEP_1) | instskip(NEXT) | instid1(VALU_DEP_1)
	v_cndmask_b32_e64 v2, v3, v4, s4
	v_xor_b32_e32 v2, s15, v2
	s_delay_alu instid0(VALU_DEP_1) | instskip(NEXT) | instid1(VALU_DEP_1)
	v_subrev_nc_u32_e32 v4, s15, v2
	v_add_nc_u32_e32 v5, s35, v4
	v_cmp_ge_i32_e64 s5, s38, v4
	s_delay_alu instid0(VALU_DEP_2) | instskip(NEXT) | instid1(VALU_DEP_1)
	v_sub_nc_u32_e32 v2, 0, v5
	v_dual_ashrrev_i32 v5, 31, v5 :: v_dual_max_i32 v28, v5, v2
	s_delay_alu instid0(VALU_DEP_1) | instskip(NEXT) | instid1(VALU_DEP_1)
	v_mul_u64_e32 v[2:3], s[28:29], v[28:29]
	v_mul_lo_u32 v2, v3, s39
	s_delay_alu instid0(VALU_DEP_1) | instskip(NEXT) | instid1(VALU_DEP_1)
	v_sub_nc_u32_e32 v2, v28, v2
	v_subrev_nc_u32_e32 v3, s39, v2
	v_cmp_le_u32_e64 s4, s39, v2
	s_delay_alu instid0(VALU_DEP_1) | instskip(NEXT) | instid1(VALU_DEP_1)
	v_cndmask_b32_e64 v2, v2, v3, s4
	v_subrev_nc_u32_e32 v3, s39, v2
	v_cmp_le_u32_e64 s4, s39, v2
	s_delay_alu instid0(VALU_DEP_1) | instskip(NEXT) | instid1(VALU_DEP_1)
	v_cndmask_b32_e64 v2, v2, v3, s4
	v_xor_b32_e32 v2, v2, v5
	s_delay_alu instid0(VALU_DEP_1) | instskip(NEXT) | instid1(VALU_DEP_1)
	v_sub_nc_u32_e32 v2, v2, v5
	v_cmp_ne_u32_e64 s4, 0, v2
	s_and_b32 s4, s4, s5
	s_delay_alu instid0(SALU_CYCLE_1) | instskip(NEXT) | instid1(SALU_CYCLE_1)
	s_and_saveexec_b32 s5, s4
	s_xor_b32 s4, exec_lo, s5
	s_cbranch_execz .LBB311_16
; %bb.13:                               ;   in Loop: Header=BB311_12 Depth=1
	s_and_saveexec_b32 s5, s3
; %bb.14:                               ;   in Loop: Header=BB311_12 Depth=1
	ds_store_b32 v43, v44
; %bb.15:                               ;   in Loop: Header=BB311_12 Depth=1
	s_or_b32 exec_lo, exec_lo, s5
.LBB311_16:                             ;   in Loop: Header=BB311_12 Depth=1
	s_and_not1_saveexec_b32 s5, s4
	s_cbranch_execz .LBB311_11
; %bb.17:                               ;   in Loop: Header=BB311_12 Depth=1
	global_load_b32 v2, v[34:35], off
	v_mov_b32_e32 v31, 0
	s_wait_loadcnt 0x0
	v_mad_nc_i64_i32 v[36:37], v2, s19, v[32:33]
	global_load_u16 v28, v[36:37], off
	ds_load_b128 v[22:25], v40
	ds_load_b128 v[18:21], v40 offset:16
	ds_load_b128 v[14:17], v40 offset:32
	;; [unrolled: 1-line block ×5, first 2 shown]
	s_load_b32 s41, s[8:9], 0x0
	s_wait_loadcnt 0x0
	v_and_b32_e32 v46, 0xff, v28
	v_and_b32_e32 v47, 0xffff, v28
	s_delay_alu instid0(VALU_DEP_2)
	v_cmp_ne_u16_e64 s4, 0, v46
	v_mov_b32_e32 v46, 0
	s_and_saveexec_b32 s42, s4
	s_cbranch_execz .LBB311_25
; %bb.18:                               ;   in Loop: Header=BB311_12 Depth=1
	v_and_b32_e32 v28, 0xff, v47
	v_bfrev_b32_e32 v46, 1
	s_mov_b32 s43, exec_lo
	s_delay_alu instid0(VALU_DEP_2)
	v_cmpx_ne_u16_e32 0x80, v28
	s_cbranch_execz .LBB311_24
; %bb.19:                               ;   in Loop: Header=BB311_12 Depth=1
	v_and_b32_e32 v48, 0x7f, v47
	v_mov_b32_e32 v46, 0x7f800001
	s_mov_b32 s44, exec_lo
	s_delay_alu instid0(VALU_DEP_2)
	v_cmpx_ne_u32_e32 0x7f, v48
	s_cbranch_execz .LBB311_23
; %bb.20:                               ;   in Loop: Header=BB311_12 Depth=1
	v_dual_lshrrev_b32 v46, 3, v48 :: v_dual_bitop2_b32 v28, 7, v47 bitop3:0x40
	s_mov_b32 s45, exec_lo
	v_cmpx_gt_u32_e32 8, v48
; %bb.21:                               ;   in Loop: Header=BB311_12 Depth=1
	s_delay_alu instid0(VALU_DEP_2) | instskip(NEXT) | instid1(VALU_DEP_1)
	v_clz_i32_u32_e32 v46, v28
	v_min_u32_e32 v46, 32, v46
	s_delay_alu instid0(VALU_DEP_1) | instskip(NEXT) | instid1(VALU_DEP_1)
	v_subrev_nc_u32_e32 v48, 28, v46
	v_lshlrev_b64_e32 v[48:49], v48, v[28:29]
	s_delay_alu instid0(VALU_DEP_1)
	v_dual_sub_nc_u32 v46, 29, v46 :: v_dual_bitop2_b32 v28, 7, v48 bitop3:0x40
; %bb.22:                               ;   in Loop: Header=BB311_12 Depth=1
	s_or_b32 exec_lo, exec_lo, s45
	s_delay_alu instid0(VALU_DEP_1) | instskip(NEXT) | instid1(VALU_DEP_2)
	v_dual_lshlrev_b32 v48, 24, v47 :: v_dual_lshlrev_b32 v28, 20, v28
	v_lshl_add_u32 v46, v46, 23, 0x3c000000
	s_delay_alu instid0(VALU_DEP_2) | instskip(NEXT) | instid1(VALU_DEP_1)
	v_and_b32_e32 v48, 0x80000000, v48
	v_or3_b32 v46, v28, v48, v46
.LBB311_23:                             ;   in Loop: Header=BB311_12 Depth=1
	s_or_b32 exec_lo, exec_lo, s44
.LBB311_24:                             ;   in Loop: Header=BB311_12 Depth=1
	s_delay_alu instid0(SALU_CYCLE_1)
	s_or_b32 exec_lo, exec_lo, s43
.LBB311_25:                             ;   in Loop: Header=BB311_12 Depth=1
	s_delay_alu instid0(SALU_CYCLE_1) | instskip(SKIP_2) | instid1(VALU_DEP_1)
	s_or_b32 exec_lo, exec_lo, s42
	v_lshrrev_b16 v28, 8, v47
	s_mov_b32 s42, exec_lo
	v_cmpx_ne_u16_e32 0, v28
	s_cbranch_execz .LBB311_33
; %bb.26:                               ;   in Loop: Header=BB311_12 Depth=1
	v_bfrev_b32_e32 v31, 1
	s_mov_b32 s43, exec_lo
	v_cmpx_ne_u16_e32 0x80, v28
	s_cbranch_execz .LBB311_32
; %bb.27:                               ;   in Loop: Header=BB311_12 Depth=1
	v_and_b32_e32 v28, 0xffff, v28
	v_mov_b32_e32 v31, 0x7f800001
	s_mov_b32 s44, exec_lo
	s_delay_alu instid0(VALU_DEP_2) | instskip(NEXT) | instid1(VALU_DEP_1)
	v_and_b32_e32 v48, 0x7f, v28
	v_cmpx_ne_u32_e32 0x7f, v48
	s_cbranch_execz .LBB311_31
; %bb.28:                               ;   in Loop: Header=BB311_12 Depth=1
	v_and_b32_e32 v28, 7, v28
	v_lshrrev_b32_e32 v31, 3, v48
	s_mov_b32 s45, exec_lo
	v_cmpx_gt_u32_e32 8, v48
; %bb.29:                               ;   in Loop: Header=BB311_12 Depth=1
	s_delay_alu instid0(VALU_DEP_3) | instskip(NEXT) | instid1(VALU_DEP_1)
	v_clz_i32_u32_e32 v31, v28
	v_min_u32_e32 v31, 32, v31
	s_delay_alu instid0(VALU_DEP_1) | instskip(NEXT) | instid1(VALU_DEP_1)
	v_subrev_nc_u32_e32 v48, 28, v31
	v_lshlrev_b64_e32 v[48:49], v48, v[28:29]
	s_delay_alu instid0(VALU_DEP_1)
	v_dual_sub_nc_u32 v31, 29, v31 :: v_dual_bitop2_b32 v28, 7, v48 bitop3:0x40
; %bb.30:                               ;   in Loop: Header=BB311_12 Depth=1
	s_or_b32 exec_lo, exec_lo, s45
	s_delay_alu instid0(VALU_DEP_1) | instskip(NEXT) | instid1(VALU_DEP_2)
	v_dual_lshlrev_b32 v47, 16, v47 :: v_dual_lshlrev_b32 v28, 20, v28
	v_lshl_add_u32 v31, v31, 23, 0x3c000000
	s_delay_alu instid0(VALU_DEP_2) | instskip(NEXT) | instid1(VALU_DEP_1)
	v_and_b32_e32 v47, 0x80000000, v47
	v_or3_b32 v31, v28, v47, v31
.LBB311_31:                             ;   in Loop: Header=BB311_12 Depth=1
	s_or_b32 exec_lo, exec_lo, s44
.LBB311_32:                             ;   in Loop: Header=BB311_12 Depth=1
	s_delay_alu instid0(SALU_CYCLE_1)
	s_or_b32 exec_lo, exec_lo, s43
.LBB311_33:                             ;   in Loop: Header=BB311_12 Depth=1
	s_delay_alu instid0(SALU_CYCLE_1)
	s_or_b32 exec_lo, exec_lo, s42
	global_load_u16 v28, v[36:37], off offset:8
	v_mov_b32_e32 v47, 0
	s_wait_loadcnt 0x0
	v_and_b32_e32 v48, 0xff, v28
	v_and_b32_e32 v49, 0xffff, v28
	s_delay_alu instid0(VALU_DEP_2)
	v_cmp_ne_u16_e64 s4, 0, v48
	v_mov_b32_e32 v48, 0
	s_and_saveexec_b32 s42, s4
	s_cbranch_execz .LBB311_41
; %bb.34:                               ;   in Loop: Header=BB311_12 Depth=1
	v_and_b32_e32 v28, 0xff, v49
	v_bfrev_b32_e32 v48, 1
	s_mov_b32 s43, exec_lo
	s_delay_alu instid0(VALU_DEP_2)
	v_cmpx_ne_u16_e32 0x80, v28
	s_cbranch_execz .LBB311_40
; %bb.35:                               ;   in Loop: Header=BB311_12 Depth=1
	v_and_b32_e32 v50, 0x7f, v49
	v_mov_b32_e32 v48, 0x7f800001
	s_mov_b32 s44, exec_lo
	s_delay_alu instid0(VALU_DEP_2)
	v_cmpx_ne_u32_e32 0x7f, v50
	s_cbranch_execz .LBB311_39
; %bb.36:                               ;   in Loop: Header=BB311_12 Depth=1
	v_dual_lshrrev_b32 v48, 3, v50 :: v_dual_bitop2_b32 v28, 7, v49 bitop3:0x40
	s_mov_b32 s45, exec_lo
	v_cmpx_gt_u32_e32 8, v50
; %bb.37:                               ;   in Loop: Header=BB311_12 Depth=1
	s_delay_alu instid0(VALU_DEP_2) | instskip(NEXT) | instid1(VALU_DEP_1)
	v_clz_i32_u32_e32 v48, v28
	v_min_u32_e32 v48, 32, v48
	s_delay_alu instid0(VALU_DEP_1) | instskip(NEXT) | instid1(VALU_DEP_1)
	v_subrev_nc_u32_e32 v50, 28, v48
	v_lshlrev_b64_e32 v[50:51], v50, v[28:29]
	s_delay_alu instid0(VALU_DEP_1)
	v_dual_sub_nc_u32 v48, 29, v48 :: v_dual_bitop2_b32 v28, 7, v50 bitop3:0x40
; %bb.38:                               ;   in Loop: Header=BB311_12 Depth=1
	s_or_b32 exec_lo, exec_lo, s45
	s_delay_alu instid0(VALU_DEP_1) | instskip(NEXT) | instid1(VALU_DEP_2)
	v_dual_lshlrev_b32 v50, 24, v49 :: v_dual_lshlrev_b32 v28, 20, v28
	v_lshl_add_u32 v48, v48, 23, 0x3c000000
	s_delay_alu instid0(VALU_DEP_2) | instskip(NEXT) | instid1(VALU_DEP_1)
	v_and_b32_e32 v50, 0x80000000, v50
	v_or3_b32 v48, v28, v50, v48
.LBB311_39:                             ;   in Loop: Header=BB311_12 Depth=1
	s_or_b32 exec_lo, exec_lo, s44
.LBB311_40:                             ;   in Loop: Header=BB311_12 Depth=1
	s_delay_alu instid0(SALU_CYCLE_1)
	s_or_b32 exec_lo, exec_lo, s43
.LBB311_41:                             ;   in Loop: Header=BB311_12 Depth=1
	s_delay_alu instid0(SALU_CYCLE_1) | instskip(SKIP_2) | instid1(VALU_DEP_1)
	s_or_b32 exec_lo, exec_lo, s42
	v_lshrrev_b16 v28, 8, v49
	s_mov_b32 s42, exec_lo
	v_cmpx_ne_u16_e32 0, v28
	s_cbranch_execz .LBB311_49
; %bb.42:                               ;   in Loop: Header=BB311_12 Depth=1
	v_bfrev_b32_e32 v47, 1
	s_mov_b32 s43, exec_lo
	v_cmpx_ne_u16_e32 0x80, v28
	s_cbranch_execz .LBB311_48
; %bb.43:                               ;   in Loop: Header=BB311_12 Depth=1
	v_and_b32_e32 v28, 0xffff, v28
	v_mov_b32_e32 v47, 0x7f800001
	s_mov_b32 s44, exec_lo
	s_delay_alu instid0(VALU_DEP_2) | instskip(NEXT) | instid1(VALU_DEP_1)
	v_and_b32_e32 v50, 0x7f, v28
	v_cmpx_ne_u32_e32 0x7f, v50
	s_cbranch_execz .LBB311_47
; %bb.44:                               ;   in Loop: Header=BB311_12 Depth=1
	v_dual_lshrrev_b32 v47, 3, v50 :: v_dual_bitop2_b32 v28, 7, v28 bitop3:0x40
	s_mov_b32 s45, exec_lo
	v_cmpx_gt_u32_e32 8, v50
; %bb.45:                               ;   in Loop: Header=BB311_12 Depth=1
	s_delay_alu instid0(VALU_DEP_2) | instskip(NEXT) | instid1(VALU_DEP_1)
	v_clz_i32_u32_e32 v47, v28
	v_min_u32_e32 v47, 32, v47
	s_delay_alu instid0(VALU_DEP_1) | instskip(NEXT) | instid1(VALU_DEP_1)
	v_subrev_nc_u32_e32 v50, 28, v47
	v_lshlrev_b64_e32 v[50:51], v50, v[28:29]
	s_delay_alu instid0(VALU_DEP_1)
	v_dual_sub_nc_u32 v47, 29, v47 :: v_dual_bitop2_b32 v28, 7, v50 bitop3:0x40
; %bb.46:                               ;   in Loop: Header=BB311_12 Depth=1
	s_or_b32 exec_lo, exec_lo, s45
	s_delay_alu instid0(VALU_DEP_1) | instskip(NEXT) | instid1(VALU_DEP_2)
	v_dual_lshlrev_b32 v49, 16, v49 :: v_dual_lshlrev_b32 v28, 20, v28
	v_lshl_add_u32 v47, v47, 23, 0x3c000000
	s_delay_alu instid0(VALU_DEP_2) | instskip(NEXT) | instid1(VALU_DEP_1)
	v_and_b32_e32 v49, 0x80000000, v49
	v_or3_b32 v47, v28, v49, v47
.LBB311_47:                             ;   in Loop: Header=BB311_12 Depth=1
	s_or_b32 exec_lo, exec_lo, s44
.LBB311_48:                             ;   in Loop: Header=BB311_12 Depth=1
	s_delay_alu instid0(SALU_CYCLE_1)
	s_or_b32 exec_lo, exec_lo, s43
.LBB311_49:                             ;   in Loop: Header=BB311_12 Depth=1
	s_delay_alu instid0(SALU_CYCLE_1)
	s_or_b32 exec_lo, exec_lo, s42
	global_load_u16 v28, v[36:37], off offset:128
	v_mov_b32_e32 v49, 0
	s_wait_loadcnt 0x0
	v_and_b32_e32 v50, 0xff, v28
	v_and_b32_e32 v51, 0xffff, v28
	s_delay_alu instid0(VALU_DEP_2)
	v_cmp_ne_u16_e64 s4, 0, v50
	v_mov_b32_e32 v50, 0
	s_and_saveexec_b32 s42, s4
	s_cbranch_execz .LBB311_57
; %bb.50:                               ;   in Loop: Header=BB311_12 Depth=1
	v_and_b32_e32 v28, 0xff, v51
	v_bfrev_b32_e32 v50, 1
	s_mov_b32 s43, exec_lo
	s_delay_alu instid0(VALU_DEP_2)
	v_cmpx_ne_u16_e32 0x80, v28
	s_cbranch_execz .LBB311_56
; %bb.51:                               ;   in Loop: Header=BB311_12 Depth=1
	v_and_b32_e32 v52, 0x7f, v51
	v_mov_b32_e32 v50, 0x7f800001
	s_mov_b32 s44, exec_lo
	s_delay_alu instid0(VALU_DEP_2)
	v_cmpx_ne_u32_e32 0x7f, v52
	s_cbranch_execz .LBB311_55
; %bb.52:                               ;   in Loop: Header=BB311_12 Depth=1
	v_dual_lshrrev_b32 v50, 3, v52 :: v_dual_bitop2_b32 v28, 7, v51 bitop3:0x40
	s_mov_b32 s45, exec_lo
	v_cmpx_gt_u32_e32 8, v52
; %bb.53:                               ;   in Loop: Header=BB311_12 Depth=1
	s_delay_alu instid0(VALU_DEP_2) | instskip(NEXT) | instid1(VALU_DEP_1)
	v_clz_i32_u32_e32 v50, v28
	v_min_u32_e32 v50, 32, v50
	s_delay_alu instid0(VALU_DEP_1) | instskip(NEXT) | instid1(VALU_DEP_1)
	v_subrev_nc_u32_e32 v52, 28, v50
	v_lshlrev_b64_e32 v[52:53], v52, v[28:29]
	s_delay_alu instid0(VALU_DEP_1)
	v_dual_sub_nc_u32 v50, 29, v50 :: v_dual_bitop2_b32 v28, 7, v52 bitop3:0x40
; %bb.54:                               ;   in Loop: Header=BB311_12 Depth=1
	s_or_b32 exec_lo, exec_lo, s45
	s_delay_alu instid0(VALU_DEP_1) | instskip(NEXT) | instid1(VALU_DEP_2)
	v_dual_lshlrev_b32 v52, 24, v51 :: v_dual_lshlrev_b32 v28, 20, v28
	v_lshl_add_u32 v50, v50, 23, 0x3c000000
	s_delay_alu instid0(VALU_DEP_2) | instskip(NEXT) | instid1(VALU_DEP_1)
	v_and_b32_e32 v52, 0x80000000, v52
	v_or3_b32 v50, v28, v52, v50
.LBB311_55:                             ;   in Loop: Header=BB311_12 Depth=1
	s_or_b32 exec_lo, exec_lo, s44
.LBB311_56:                             ;   in Loop: Header=BB311_12 Depth=1
	s_delay_alu instid0(SALU_CYCLE_1)
	s_or_b32 exec_lo, exec_lo, s43
.LBB311_57:                             ;   in Loop: Header=BB311_12 Depth=1
	s_delay_alu instid0(SALU_CYCLE_1) | instskip(SKIP_2) | instid1(VALU_DEP_1)
	s_or_b32 exec_lo, exec_lo, s42
	v_lshrrev_b16 v28, 8, v51
	s_mov_b32 s42, exec_lo
	v_cmpx_ne_u16_e32 0, v28
	s_cbranch_execz .LBB311_65
; %bb.58:                               ;   in Loop: Header=BB311_12 Depth=1
	v_bfrev_b32_e32 v49, 1
	s_mov_b32 s43, exec_lo
	v_cmpx_ne_u16_e32 0x80, v28
	s_cbranch_execz .LBB311_64
; %bb.59:                               ;   in Loop: Header=BB311_12 Depth=1
	v_and_b32_e32 v28, 0xffff, v28
	v_mov_b32_e32 v49, 0x7f800001
	s_mov_b32 s44, exec_lo
	s_delay_alu instid0(VALU_DEP_2) | instskip(NEXT) | instid1(VALU_DEP_1)
	v_and_b32_e32 v52, 0x7f, v28
	v_cmpx_ne_u32_e32 0x7f, v52
	s_cbranch_execz .LBB311_63
; %bb.60:                               ;   in Loop: Header=BB311_12 Depth=1
	v_and_b32_e32 v28, 7, v28
	v_lshrrev_b32_e32 v49, 3, v52
	s_mov_b32 s45, exec_lo
	v_cmpx_gt_u32_e32 8, v52
; %bb.61:                               ;   in Loop: Header=BB311_12 Depth=1
	s_delay_alu instid0(VALU_DEP_3) | instskip(NEXT) | instid1(VALU_DEP_1)
	v_clz_i32_u32_e32 v49, v28
	v_min_u32_e32 v49, 32, v49
	s_delay_alu instid0(VALU_DEP_1) | instskip(NEXT) | instid1(VALU_DEP_1)
	v_subrev_nc_u32_e32 v52, 28, v49
	v_lshlrev_b64_e32 v[52:53], v52, v[28:29]
	s_delay_alu instid0(VALU_DEP_1)
	v_dual_sub_nc_u32 v49, 29, v49 :: v_dual_bitop2_b32 v28, 7, v52 bitop3:0x40
; %bb.62:                               ;   in Loop: Header=BB311_12 Depth=1
	s_or_b32 exec_lo, exec_lo, s45
	s_delay_alu instid0(VALU_DEP_1) | instskip(NEXT) | instid1(VALU_DEP_2)
	v_dual_lshlrev_b32 v51, 16, v51 :: v_dual_lshlrev_b32 v28, 20, v28
	v_lshl_add_u32 v49, v49, 23, 0x3c000000
	s_delay_alu instid0(VALU_DEP_2) | instskip(NEXT) | instid1(VALU_DEP_1)
	v_and_b32_e32 v51, 0x80000000, v51
	v_or3_b32 v49, v28, v51, v49
.LBB311_63:                             ;   in Loop: Header=BB311_12 Depth=1
	s_or_b32 exec_lo, exec_lo, s44
.LBB311_64:                             ;   in Loop: Header=BB311_12 Depth=1
	s_delay_alu instid0(SALU_CYCLE_1)
	s_or_b32 exec_lo, exec_lo, s43
.LBB311_65:                             ;   in Loop: Header=BB311_12 Depth=1
	s_delay_alu instid0(SALU_CYCLE_1)
	s_or_b32 exec_lo, exec_lo, s42
	global_load_u16 v28, v[36:37], off offset:136
	v_mov_b32_e32 v51, 0
	s_wait_loadcnt 0x0
	v_and_b32_e32 v52, 0xff, v28
	v_and_b32_e32 v53, 0xffff, v28
	s_delay_alu instid0(VALU_DEP_2)
	v_cmp_ne_u16_e64 s4, 0, v52
	v_mov_b32_e32 v52, 0
	s_and_saveexec_b32 s42, s4
	s_cbranch_execz .LBB311_73
; %bb.66:                               ;   in Loop: Header=BB311_12 Depth=1
	v_and_b32_e32 v28, 0xff, v53
	v_bfrev_b32_e32 v52, 1
	s_mov_b32 s43, exec_lo
	s_delay_alu instid0(VALU_DEP_2)
	v_cmpx_ne_u16_e32 0x80, v28
	s_cbranch_execz .LBB311_72
; %bb.67:                               ;   in Loop: Header=BB311_12 Depth=1
	v_and_b32_e32 v54, 0x7f, v53
	v_mov_b32_e32 v52, 0x7f800001
	s_mov_b32 s44, exec_lo
	s_delay_alu instid0(VALU_DEP_2)
	v_cmpx_ne_u32_e32 0x7f, v54
	s_cbranch_execz .LBB311_71
; %bb.68:                               ;   in Loop: Header=BB311_12 Depth=1
	v_dual_lshrrev_b32 v52, 3, v54 :: v_dual_bitop2_b32 v28, 7, v53 bitop3:0x40
	s_mov_b32 s45, exec_lo
	v_cmpx_gt_u32_e32 8, v54
; %bb.69:                               ;   in Loop: Header=BB311_12 Depth=1
	s_delay_alu instid0(VALU_DEP_2) | instskip(NEXT) | instid1(VALU_DEP_1)
	v_clz_i32_u32_e32 v52, v28
	v_min_u32_e32 v52, 32, v52
	s_delay_alu instid0(VALU_DEP_1) | instskip(NEXT) | instid1(VALU_DEP_1)
	v_subrev_nc_u32_e32 v54, 28, v52
	v_lshlrev_b64_e32 v[54:55], v54, v[28:29]
	s_delay_alu instid0(VALU_DEP_1)
	v_dual_sub_nc_u32 v52, 29, v52 :: v_dual_bitop2_b32 v28, 7, v54 bitop3:0x40
; %bb.70:                               ;   in Loop: Header=BB311_12 Depth=1
	s_or_b32 exec_lo, exec_lo, s45
	s_delay_alu instid0(VALU_DEP_1) | instskip(NEXT) | instid1(VALU_DEP_2)
	v_dual_lshlrev_b32 v54, 24, v53 :: v_dual_lshlrev_b32 v28, 20, v28
	v_lshl_add_u32 v52, v52, 23, 0x3c000000
	s_delay_alu instid0(VALU_DEP_2) | instskip(NEXT) | instid1(VALU_DEP_1)
	v_and_b32_e32 v54, 0x80000000, v54
	v_or3_b32 v52, v28, v54, v52
.LBB311_71:                             ;   in Loop: Header=BB311_12 Depth=1
	s_or_b32 exec_lo, exec_lo, s44
.LBB311_72:                             ;   in Loop: Header=BB311_12 Depth=1
	s_delay_alu instid0(SALU_CYCLE_1)
	s_or_b32 exec_lo, exec_lo, s43
.LBB311_73:                             ;   in Loop: Header=BB311_12 Depth=1
	s_delay_alu instid0(SALU_CYCLE_1) | instskip(SKIP_2) | instid1(VALU_DEP_1)
	s_or_b32 exec_lo, exec_lo, s42
	v_lshrrev_b16 v28, 8, v53
	s_mov_b32 s42, exec_lo
	v_cmpx_ne_u16_e32 0, v28
	s_cbranch_execz .LBB311_81
; %bb.74:                               ;   in Loop: Header=BB311_12 Depth=1
	v_bfrev_b32_e32 v51, 1
	s_mov_b32 s43, exec_lo
	v_cmpx_ne_u16_e32 0x80, v28
	s_cbranch_execz .LBB311_80
; %bb.75:                               ;   in Loop: Header=BB311_12 Depth=1
	v_and_b32_e32 v28, 0xffff, v28
	v_mov_b32_e32 v51, 0x7f800001
	s_mov_b32 s44, exec_lo
	s_delay_alu instid0(VALU_DEP_2) | instskip(NEXT) | instid1(VALU_DEP_1)
	v_and_b32_e32 v54, 0x7f, v28
	v_cmpx_ne_u32_e32 0x7f, v54
	s_cbranch_execz .LBB311_79
; %bb.76:                               ;   in Loop: Header=BB311_12 Depth=1
	v_dual_lshrrev_b32 v51, 3, v54 :: v_dual_bitop2_b32 v28, 7, v28 bitop3:0x40
	s_mov_b32 s45, exec_lo
	v_cmpx_gt_u32_e32 8, v54
; %bb.77:                               ;   in Loop: Header=BB311_12 Depth=1
	s_delay_alu instid0(VALU_DEP_2) | instskip(NEXT) | instid1(VALU_DEP_1)
	v_clz_i32_u32_e32 v51, v28
	v_min_u32_e32 v51, 32, v51
	s_delay_alu instid0(VALU_DEP_1) | instskip(NEXT) | instid1(VALU_DEP_1)
	v_subrev_nc_u32_e32 v54, 28, v51
	v_lshlrev_b64_e32 v[54:55], v54, v[28:29]
	s_delay_alu instid0(VALU_DEP_1)
	v_dual_sub_nc_u32 v51, 29, v51 :: v_dual_bitop2_b32 v28, 7, v54 bitop3:0x40
; %bb.78:                               ;   in Loop: Header=BB311_12 Depth=1
	s_or_b32 exec_lo, exec_lo, s45
	s_delay_alu instid0(VALU_DEP_1) | instskip(NEXT) | instid1(VALU_DEP_2)
	v_dual_lshlrev_b32 v53, 16, v53 :: v_dual_lshlrev_b32 v28, 20, v28
	v_lshl_add_u32 v51, v51, 23, 0x3c000000
	s_delay_alu instid0(VALU_DEP_2) | instskip(NEXT) | instid1(VALU_DEP_1)
	v_and_b32_e32 v53, 0x80000000, v53
	v_or3_b32 v51, v28, v53, v51
.LBB311_79:                             ;   in Loop: Header=BB311_12 Depth=1
	s_or_b32 exec_lo, exec_lo, s44
.LBB311_80:                             ;   in Loop: Header=BB311_12 Depth=1
	s_delay_alu instid0(SALU_CYCLE_1)
	s_or_b32 exec_lo, exec_lo, s43
.LBB311_81:                             ;   in Loop: Header=BB311_12 Depth=1
	s_delay_alu instid0(SALU_CYCLE_1)
	s_or_b32 exec_lo, exec_lo, s42
	global_load_u16 v28, v[36:37], off offset:256
	v_mov_b32_e32 v53, 0
	s_wait_loadcnt 0x0
	v_and_b32_e32 v54, 0xff, v28
	v_and_b32_e32 v55, 0xffff, v28
	s_delay_alu instid0(VALU_DEP_2)
	v_cmp_ne_u16_e64 s4, 0, v54
	v_mov_b32_e32 v54, 0
	s_and_saveexec_b32 s42, s4
	s_cbranch_execz .LBB311_89
; %bb.82:                               ;   in Loop: Header=BB311_12 Depth=1
	v_and_b32_e32 v28, 0xff, v55
	v_bfrev_b32_e32 v54, 1
	s_mov_b32 s43, exec_lo
	s_delay_alu instid0(VALU_DEP_2)
	v_cmpx_ne_u16_e32 0x80, v28
	s_cbranch_execz .LBB311_88
; %bb.83:                               ;   in Loop: Header=BB311_12 Depth=1
	v_and_b32_e32 v56, 0x7f, v55
	v_mov_b32_e32 v54, 0x7f800001
	s_mov_b32 s44, exec_lo
	s_delay_alu instid0(VALU_DEP_2)
	v_cmpx_ne_u32_e32 0x7f, v56
	s_cbranch_execz .LBB311_87
; %bb.84:                               ;   in Loop: Header=BB311_12 Depth=1
	v_dual_lshrrev_b32 v54, 3, v56 :: v_dual_bitop2_b32 v28, 7, v55 bitop3:0x40
	s_mov_b32 s45, exec_lo
	v_cmpx_gt_u32_e32 8, v56
; %bb.85:                               ;   in Loop: Header=BB311_12 Depth=1
	s_delay_alu instid0(VALU_DEP_2) | instskip(NEXT) | instid1(VALU_DEP_1)
	v_clz_i32_u32_e32 v54, v28
	v_min_u32_e32 v54, 32, v54
	s_delay_alu instid0(VALU_DEP_1) | instskip(NEXT) | instid1(VALU_DEP_1)
	v_subrev_nc_u32_e32 v56, 28, v54
	v_lshlrev_b64_e32 v[56:57], v56, v[28:29]
	s_delay_alu instid0(VALU_DEP_1)
	v_dual_sub_nc_u32 v54, 29, v54 :: v_dual_bitop2_b32 v28, 7, v56 bitop3:0x40
; %bb.86:                               ;   in Loop: Header=BB311_12 Depth=1
	s_or_b32 exec_lo, exec_lo, s45
	s_delay_alu instid0(VALU_DEP_1) | instskip(NEXT) | instid1(VALU_DEP_2)
	v_dual_lshlrev_b32 v56, 24, v55 :: v_dual_lshlrev_b32 v28, 20, v28
	v_lshl_add_u32 v54, v54, 23, 0x3c000000
	s_delay_alu instid0(VALU_DEP_2) | instskip(NEXT) | instid1(VALU_DEP_1)
	v_and_b32_e32 v56, 0x80000000, v56
	v_or3_b32 v54, v28, v56, v54
.LBB311_87:                             ;   in Loop: Header=BB311_12 Depth=1
	s_or_b32 exec_lo, exec_lo, s44
.LBB311_88:                             ;   in Loop: Header=BB311_12 Depth=1
	s_delay_alu instid0(SALU_CYCLE_1)
	s_or_b32 exec_lo, exec_lo, s43
.LBB311_89:                             ;   in Loop: Header=BB311_12 Depth=1
	s_delay_alu instid0(SALU_CYCLE_1) | instskip(SKIP_2) | instid1(VALU_DEP_1)
	s_or_b32 exec_lo, exec_lo, s42
	v_lshrrev_b16 v28, 8, v55
	s_mov_b32 s42, exec_lo
	v_cmpx_ne_u16_e32 0, v28
	s_cbranch_execz .LBB311_97
; %bb.90:                               ;   in Loop: Header=BB311_12 Depth=1
	v_bfrev_b32_e32 v53, 1
	s_mov_b32 s43, exec_lo
	v_cmpx_ne_u16_e32 0x80, v28
	s_cbranch_execz .LBB311_96
; %bb.91:                               ;   in Loop: Header=BB311_12 Depth=1
	v_and_b32_e32 v28, 0xffff, v28
	v_mov_b32_e32 v53, 0x7f800001
	s_mov_b32 s44, exec_lo
	s_delay_alu instid0(VALU_DEP_2) | instskip(NEXT) | instid1(VALU_DEP_1)
	v_and_b32_e32 v56, 0x7f, v28
	v_cmpx_ne_u32_e32 0x7f, v56
	s_cbranch_execz .LBB311_95
; %bb.92:                               ;   in Loop: Header=BB311_12 Depth=1
	v_and_b32_e32 v28, 7, v28
	v_lshrrev_b32_e32 v53, 3, v56
	s_mov_b32 s45, exec_lo
	v_cmpx_gt_u32_e32 8, v56
; %bb.93:                               ;   in Loop: Header=BB311_12 Depth=1
	s_delay_alu instid0(VALU_DEP_3) | instskip(NEXT) | instid1(VALU_DEP_1)
	v_clz_i32_u32_e32 v53, v28
	v_min_u32_e32 v53, 32, v53
	s_delay_alu instid0(VALU_DEP_1) | instskip(NEXT) | instid1(VALU_DEP_1)
	v_subrev_nc_u32_e32 v56, 28, v53
	v_lshlrev_b64_e32 v[56:57], v56, v[28:29]
	s_delay_alu instid0(VALU_DEP_1)
	v_dual_sub_nc_u32 v53, 29, v53 :: v_dual_bitop2_b32 v28, 7, v56 bitop3:0x40
; %bb.94:                               ;   in Loop: Header=BB311_12 Depth=1
	s_or_b32 exec_lo, exec_lo, s45
	s_delay_alu instid0(VALU_DEP_1) | instskip(NEXT) | instid1(VALU_DEP_2)
	v_dual_lshlrev_b32 v55, 16, v55 :: v_dual_lshlrev_b32 v28, 20, v28
	v_lshl_add_u32 v53, v53, 23, 0x3c000000
	s_delay_alu instid0(VALU_DEP_2) | instskip(NEXT) | instid1(VALU_DEP_1)
	v_and_b32_e32 v55, 0x80000000, v55
	v_or3_b32 v53, v28, v55, v53
.LBB311_95:                             ;   in Loop: Header=BB311_12 Depth=1
	s_or_b32 exec_lo, exec_lo, s44
.LBB311_96:                             ;   in Loop: Header=BB311_12 Depth=1
	s_delay_alu instid0(SALU_CYCLE_1)
	s_or_b32 exec_lo, exec_lo, s43
.LBB311_97:                             ;   in Loop: Header=BB311_12 Depth=1
	s_delay_alu instid0(SALU_CYCLE_1)
	s_or_b32 exec_lo, exec_lo, s42
	global_load_u16 v28, v[36:37], off offset:264
	v_mov_b32_e32 v55, 0
	s_wait_loadcnt 0x0
	v_and_b32_e32 v56, 0xff, v28
	v_and_b32_e32 v57, 0xffff, v28
	s_delay_alu instid0(VALU_DEP_2)
	v_cmp_ne_u16_e64 s4, 0, v56
	v_mov_b32_e32 v56, 0
	s_and_saveexec_b32 s42, s4
	s_cbranch_execz .LBB311_105
; %bb.98:                               ;   in Loop: Header=BB311_12 Depth=1
	v_and_b32_e32 v28, 0xff, v57
	v_bfrev_b32_e32 v56, 1
	s_mov_b32 s43, exec_lo
	s_delay_alu instid0(VALU_DEP_2)
	v_cmpx_ne_u16_e32 0x80, v28
	s_cbranch_execz .LBB311_104
; %bb.99:                               ;   in Loop: Header=BB311_12 Depth=1
	v_and_b32_e32 v58, 0x7f, v57
	v_mov_b32_e32 v56, 0x7f800001
	s_mov_b32 s44, exec_lo
	s_delay_alu instid0(VALU_DEP_2)
	v_cmpx_ne_u32_e32 0x7f, v58
	s_cbranch_execz .LBB311_103
; %bb.100:                              ;   in Loop: Header=BB311_12 Depth=1
	v_dual_lshrrev_b32 v56, 3, v58 :: v_dual_bitop2_b32 v28, 7, v57 bitop3:0x40
	s_mov_b32 s45, exec_lo
	v_cmpx_gt_u32_e32 8, v58
; %bb.101:                              ;   in Loop: Header=BB311_12 Depth=1
	s_delay_alu instid0(VALU_DEP_2) | instskip(NEXT) | instid1(VALU_DEP_1)
	v_clz_i32_u32_e32 v56, v28
	v_min_u32_e32 v56, 32, v56
	s_delay_alu instid0(VALU_DEP_1) | instskip(NEXT) | instid1(VALU_DEP_1)
	v_subrev_nc_u32_e32 v58, 28, v56
	v_lshlrev_b64_e32 v[58:59], v58, v[28:29]
	s_delay_alu instid0(VALU_DEP_1)
	v_dual_sub_nc_u32 v56, 29, v56 :: v_dual_bitop2_b32 v28, 7, v58 bitop3:0x40
; %bb.102:                              ;   in Loop: Header=BB311_12 Depth=1
	s_or_b32 exec_lo, exec_lo, s45
	s_delay_alu instid0(VALU_DEP_1) | instskip(NEXT) | instid1(VALU_DEP_2)
	v_dual_lshlrev_b32 v58, 24, v57 :: v_dual_lshlrev_b32 v28, 20, v28
	v_lshl_add_u32 v56, v56, 23, 0x3c000000
	s_delay_alu instid0(VALU_DEP_2) | instskip(NEXT) | instid1(VALU_DEP_1)
	v_and_b32_e32 v58, 0x80000000, v58
	v_or3_b32 v56, v28, v58, v56
.LBB311_103:                            ;   in Loop: Header=BB311_12 Depth=1
	s_or_b32 exec_lo, exec_lo, s44
.LBB311_104:                            ;   in Loop: Header=BB311_12 Depth=1
	s_delay_alu instid0(SALU_CYCLE_1)
	s_or_b32 exec_lo, exec_lo, s43
.LBB311_105:                            ;   in Loop: Header=BB311_12 Depth=1
	s_delay_alu instid0(SALU_CYCLE_1) | instskip(SKIP_2) | instid1(VALU_DEP_1)
	s_or_b32 exec_lo, exec_lo, s42
	v_lshrrev_b16 v28, 8, v57
	s_mov_b32 s42, exec_lo
	v_cmpx_ne_u16_e32 0, v28
	s_cbranch_execz .LBB311_113
; %bb.106:                              ;   in Loop: Header=BB311_12 Depth=1
	v_bfrev_b32_e32 v55, 1
	s_mov_b32 s43, exec_lo
	v_cmpx_ne_u16_e32 0x80, v28
	s_cbranch_execz .LBB311_112
; %bb.107:                              ;   in Loop: Header=BB311_12 Depth=1
	v_and_b32_e32 v28, 0xffff, v28
	v_mov_b32_e32 v55, 0x7f800001
	s_mov_b32 s44, exec_lo
	s_delay_alu instid0(VALU_DEP_2) | instskip(NEXT) | instid1(VALU_DEP_1)
	v_and_b32_e32 v58, 0x7f, v28
	v_cmpx_ne_u32_e32 0x7f, v58
	s_cbranch_execz .LBB311_111
; %bb.108:                              ;   in Loop: Header=BB311_12 Depth=1
	v_dual_lshrrev_b32 v55, 3, v58 :: v_dual_bitop2_b32 v28, 7, v28 bitop3:0x40
	s_mov_b32 s45, exec_lo
	v_cmpx_gt_u32_e32 8, v58
; %bb.109:                              ;   in Loop: Header=BB311_12 Depth=1
	s_delay_alu instid0(VALU_DEP_2) | instskip(NEXT) | instid1(VALU_DEP_1)
	v_clz_i32_u32_e32 v55, v28
	v_min_u32_e32 v55, 32, v55
	s_delay_alu instid0(VALU_DEP_1) | instskip(NEXT) | instid1(VALU_DEP_1)
	v_subrev_nc_u32_e32 v58, 28, v55
	v_lshlrev_b64_e32 v[58:59], v58, v[28:29]
	s_delay_alu instid0(VALU_DEP_1)
	v_dual_sub_nc_u32 v55, 29, v55 :: v_dual_bitop2_b32 v28, 7, v58 bitop3:0x40
; %bb.110:                              ;   in Loop: Header=BB311_12 Depth=1
	s_or_b32 exec_lo, exec_lo, s45
	s_delay_alu instid0(VALU_DEP_1) | instskip(NEXT) | instid1(VALU_DEP_2)
	v_dual_lshlrev_b32 v57, 16, v57 :: v_dual_lshlrev_b32 v28, 20, v28
	v_lshl_add_u32 v55, v55, 23, 0x3c000000
	s_delay_alu instid0(VALU_DEP_2) | instskip(NEXT) | instid1(VALU_DEP_1)
	v_and_b32_e32 v57, 0x80000000, v57
	v_or3_b32 v55, v28, v57, v55
.LBB311_111:                            ;   in Loop: Header=BB311_12 Depth=1
	s_or_b32 exec_lo, exec_lo, s44
.LBB311_112:                            ;   in Loop: Header=BB311_12 Depth=1
	s_delay_alu instid0(SALU_CYCLE_1)
	s_or_b32 exec_lo, exec_lo, s43
.LBB311_113:                            ;   in Loop: Header=BB311_12 Depth=1
	s_delay_alu instid0(SALU_CYCLE_1)
	s_or_b32 exec_lo, exec_lo, s42
	global_load_u16 v28, v[36:37], off offset:384
	v_mov_b32_e32 v57, 0
	s_wait_loadcnt 0x0
	v_and_b32_e32 v58, 0xff, v28
	v_and_b32_e32 v59, 0xffff, v28
	s_delay_alu instid0(VALU_DEP_2)
	v_cmp_ne_u16_e64 s4, 0, v58
	v_mov_b32_e32 v58, 0
	s_and_saveexec_b32 s42, s4
	s_cbranch_execz .LBB311_121
; %bb.114:                              ;   in Loop: Header=BB311_12 Depth=1
	v_and_b32_e32 v28, 0xff, v59
	v_bfrev_b32_e32 v58, 1
	s_mov_b32 s43, exec_lo
	s_delay_alu instid0(VALU_DEP_2)
	v_cmpx_ne_u16_e32 0x80, v28
	s_cbranch_execz .LBB311_120
; %bb.115:                              ;   in Loop: Header=BB311_12 Depth=1
	v_and_b32_e32 v60, 0x7f, v59
	v_mov_b32_e32 v58, 0x7f800001
	s_mov_b32 s44, exec_lo
	s_delay_alu instid0(VALU_DEP_2)
	v_cmpx_ne_u32_e32 0x7f, v60
	s_cbranch_execz .LBB311_119
; %bb.116:                              ;   in Loop: Header=BB311_12 Depth=1
	v_dual_lshrrev_b32 v58, 3, v60 :: v_dual_bitop2_b32 v28, 7, v59 bitop3:0x40
	s_mov_b32 s45, exec_lo
	v_cmpx_gt_u32_e32 8, v60
; %bb.117:                              ;   in Loop: Header=BB311_12 Depth=1
	s_delay_alu instid0(VALU_DEP_2) | instskip(NEXT) | instid1(VALU_DEP_1)
	v_clz_i32_u32_e32 v58, v28
	v_min_u32_e32 v58, 32, v58
	s_delay_alu instid0(VALU_DEP_1) | instskip(NEXT) | instid1(VALU_DEP_1)
	v_subrev_nc_u32_e32 v60, 28, v58
	v_lshlrev_b64_e32 v[60:61], v60, v[28:29]
	s_delay_alu instid0(VALU_DEP_1)
	v_dual_sub_nc_u32 v58, 29, v58 :: v_dual_bitop2_b32 v28, 7, v60 bitop3:0x40
; %bb.118:                              ;   in Loop: Header=BB311_12 Depth=1
	s_or_b32 exec_lo, exec_lo, s45
	s_delay_alu instid0(VALU_DEP_1) | instskip(NEXT) | instid1(VALU_DEP_2)
	v_dual_lshlrev_b32 v60, 24, v59 :: v_dual_lshlrev_b32 v28, 20, v28
	v_lshl_add_u32 v58, v58, 23, 0x3c000000
	s_delay_alu instid0(VALU_DEP_2) | instskip(NEXT) | instid1(VALU_DEP_1)
	v_and_b32_e32 v60, 0x80000000, v60
	v_or3_b32 v58, v28, v60, v58
.LBB311_119:                            ;   in Loop: Header=BB311_12 Depth=1
	s_or_b32 exec_lo, exec_lo, s44
.LBB311_120:                            ;   in Loop: Header=BB311_12 Depth=1
	s_delay_alu instid0(SALU_CYCLE_1)
	s_or_b32 exec_lo, exec_lo, s43
.LBB311_121:                            ;   in Loop: Header=BB311_12 Depth=1
	s_delay_alu instid0(SALU_CYCLE_1) | instskip(SKIP_2) | instid1(VALU_DEP_1)
	s_or_b32 exec_lo, exec_lo, s42
	v_lshrrev_b16 v28, 8, v59
	s_mov_b32 s42, exec_lo
	v_cmpx_ne_u16_e32 0, v28
	s_cbranch_execz .LBB311_129
; %bb.122:                              ;   in Loop: Header=BB311_12 Depth=1
	v_bfrev_b32_e32 v57, 1
	s_mov_b32 s43, exec_lo
	v_cmpx_ne_u16_e32 0x80, v28
	s_cbranch_execz .LBB311_128
; %bb.123:                              ;   in Loop: Header=BB311_12 Depth=1
	v_and_b32_e32 v28, 0xffff, v28
	v_mov_b32_e32 v57, 0x7f800001
	s_mov_b32 s44, exec_lo
	s_delay_alu instid0(VALU_DEP_2) | instskip(NEXT) | instid1(VALU_DEP_1)
	v_and_b32_e32 v60, 0x7f, v28
	v_cmpx_ne_u32_e32 0x7f, v60
	s_cbranch_execz .LBB311_127
; %bb.124:                              ;   in Loop: Header=BB311_12 Depth=1
	v_and_b32_e32 v28, 7, v28
	v_lshrrev_b32_e32 v57, 3, v60
	s_mov_b32 s45, exec_lo
	v_cmpx_gt_u32_e32 8, v60
; %bb.125:                              ;   in Loop: Header=BB311_12 Depth=1
	s_delay_alu instid0(VALU_DEP_3) | instskip(NEXT) | instid1(VALU_DEP_1)
	v_clz_i32_u32_e32 v57, v28
	v_min_u32_e32 v57, 32, v57
	s_delay_alu instid0(VALU_DEP_1) | instskip(NEXT) | instid1(VALU_DEP_1)
	v_subrev_nc_u32_e32 v60, 28, v57
	v_lshlrev_b64_e32 v[60:61], v60, v[28:29]
	s_delay_alu instid0(VALU_DEP_1)
	v_dual_sub_nc_u32 v57, 29, v57 :: v_dual_bitop2_b32 v28, 7, v60 bitop3:0x40
; %bb.126:                              ;   in Loop: Header=BB311_12 Depth=1
	s_or_b32 exec_lo, exec_lo, s45
	s_delay_alu instid0(VALU_DEP_1) | instskip(NEXT) | instid1(VALU_DEP_2)
	v_dual_lshlrev_b32 v59, 16, v59 :: v_dual_lshlrev_b32 v28, 20, v28
	v_lshl_add_u32 v57, v57, 23, 0x3c000000
	s_delay_alu instid0(VALU_DEP_2) | instskip(NEXT) | instid1(VALU_DEP_1)
	v_and_b32_e32 v59, 0x80000000, v59
	v_or3_b32 v57, v28, v59, v57
.LBB311_127:                            ;   in Loop: Header=BB311_12 Depth=1
	s_or_b32 exec_lo, exec_lo, s44
.LBB311_128:                            ;   in Loop: Header=BB311_12 Depth=1
	s_delay_alu instid0(SALU_CYCLE_1)
	s_or_b32 exec_lo, exec_lo, s43
.LBB311_129:                            ;   in Loop: Header=BB311_12 Depth=1
	s_delay_alu instid0(SALU_CYCLE_1)
	s_or_b32 exec_lo, exec_lo, s42
	global_load_u16 v28, v[36:37], off offset:392
	v_mov_b32_e32 v59, 0
	s_wait_loadcnt 0x0
	v_and_b32_e32 v60, 0xff, v28
	v_and_b32_e32 v61, 0xffff, v28
	s_delay_alu instid0(VALU_DEP_2)
	v_cmp_ne_u16_e64 s4, 0, v60
	v_mov_b32_e32 v60, 0
	s_and_saveexec_b32 s42, s4
	s_cbranch_execz .LBB311_137
; %bb.130:                              ;   in Loop: Header=BB311_12 Depth=1
	v_and_b32_e32 v28, 0xff, v61
	v_bfrev_b32_e32 v60, 1
	s_mov_b32 s43, exec_lo
	s_delay_alu instid0(VALU_DEP_2)
	v_cmpx_ne_u16_e32 0x80, v28
	s_cbranch_execz .LBB311_136
; %bb.131:                              ;   in Loop: Header=BB311_12 Depth=1
	v_and_b32_e32 v62, 0x7f, v61
	v_mov_b32_e32 v60, 0x7f800001
	s_mov_b32 s44, exec_lo
	s_delay_alu instid0(VALU_DEP_2)
	v_cmpx_ne_u32_e32 0x7f, v62
	s_cbranch_execz .LBB311_135
; %bb.132:                              ;   in Loop: Header=BB311_12 Depth=1
	v_dual_lshrrev_b32 v60, 3, v62 :: v_dual_bitop2_b32 v28, 7, v61 bitop3:0x40
	s_mov_b32 s45, exec_lo
	v_cmpx_gt_u32_e32 8, v62
; %bb.133:                              ;   in Loop: Header=BB311_12 Depth=1
	s_delay_alu instid0(VALU_DEP_2) | instskip(NEXT) | instid1(VALU_DEP_1)
	v_clz_i32_u32_e32 v60, v28
	v_min_u32_e32 v60, 32, v60
	s_delay_alu instid0(VALU_DEP_1) | instskip(NEXT) | instid1(VALU_DEP_1)
	v_subrev_nc_u32_e32 v62, 28, v60
	v_lshlrev_b64_e32 v[62:63], v62, v[28:29]
	s_delay_alu instid0(VALU_DEP_1)
	v_dual_sub_nc_u32 v60, 29, v60 :: v_dual_bitop2_b32 v28, 7, v62 bitop3:0x40
; %bb.134:                              ;   in Loop: Header=BB311_12 Depth=1
	s_or_b32 exec_lo, exec_lo, s45
	s_delay_alu instid0(VALU_DEP_1) | instskip(NEXT) | instid1(VALU_DEP_2)
	v_dual_lshlrev_b32 v62, 24, v61 :: v_dual_lshlrev_b32 v28, 20, v28
	v_lshl_add_u32 v60, v60, 23, 0x3c000000
	s_delay_alu instid0(VALU_DEP_2) | instskip(NEXT) | instid1(VALU_DEP_1)
	v_and_b32_e32 v62, 0x80000000, v62
	v_or3_b32 v60, v28, v62, v60
.LBB311_135:                            ;   in Loop: Header=BB311_12 Depth=1
	s_or_b32 exec_lo, exec_lo, s44
.LBB311_136:                            ;   in Loop: Header=BB311_12 Depth=1
	s_delay_alu instid0(SALU_CYCLE_1)
	s_or_b32 exec_lo, exec_lo, s43
.LBB311_137:                            ;   in Loop: Header=BB311_12 Depth=1
	s_delay_alu instid0(SALU_CYCLE_1) | instskip(SKIP_2) | instid1(VALU_DEP_1)
	s_or_b32 exec_lo, exec_lo, s42
	v_lshrrev_b16 v28, 8, v61
	s_mov_b32 s42, exec_lo
	v_cmpx_ne_u16_e32 0, v28
	s_cbranch_execz .LBB311_145
; %bb.138:                              ;   in Loop: Header=BB311_12 Depth=1
	v_bfrev_b32_e32 v59, 1
	s_mov_b32 s43, exec_lo
	v_cmpx_ne_u16_e32 0x80, v28
	s_cbranch_execz .LBB311_144
; %bb.139:                              ;   in Loop: Header=BB311_12 Depth=1
	v_and_b32_e32 v28, 0xffff, v28
	v_mov_b32_e32 v59, 0x7f800001
	s_mov_b32 s44, exec_lo
	s_delay_alu instid0(VALU_DEP_2) | instskip(NEXT) | instid1(VALU_DEP_1)
	v_and_b32_e32 v62, 0x7f, v28
	v_cmpx_ne_u32_e32 0x7f, v62
	s_cbranch_execz .LBB311_143
; %bb.140:                              ;   in Loop: Header=BB311_12 Depth=1
	v_dual_lshrrev_b32 v59, 3, v62 :: v_dual_bitop2_b32 v28, 7, v28 bitop3:0x40
	s_mov_b32 s45, exec_lo
	v_cmpx_gt_u32_e32 8, v62
; %bb.141:                              ;   in Loop: Header=BB311_12 Depth=1
	s_delay_alu instid0(VALU_DEP_2) | instskip(NEXT) | instid1(VALU_DEP_1)
	v_clz_i32_u32_e32 v59, v28
	v_min_u32_e32 v59, 32, v59
	s_delay_alu instid0(VALU_DEP_1) | instskip(NEXT) | instid1(VALU_DEP_1)
	v_subrev_nc_u32_e32 v62, 28, v59
	v_lshlrev_b64_e32 v[62:63], v62, v[28:29]
	s_delay_alu instid0(VALU_DEP_1)
	v_dual_sub_nc_u32 v59, 29, v59 :: v_dual_bitop2_b32 v28, 7, v62 bitop3:0x40
; %bb.142:                              ;   in Loop: Header=BB311_12 Depth=1
	s_or_b32 exec_lo, exec_lo, s45
	s_delay_alu instid0(VALU_DEP_1) | instskip(NEXT) | instid1(VALU_DEP_2)
	v_dual_lshlrev_b32 v61, 16, v61 :: v_dual_lshlrev_b32 v28, 20, v28
	v_lshl_add_u32 v59, v59, 23, 0x3c000000
	s_delay_alu instid0(VALU_DEP_2) | instskip(NEXT) | instid1(VALU_DEP_1)
	v_and_b32_e32 v61, 0x80000000, v61
	v_or3_b32 v59, v28, v61, v59
.LBB311_143:                            ;   in Loop: Header=BB311_12 Depth=1
	s_or_b32 exec_lo, exec_lo, s44
.LBB311_144:                            ;   in Loop: Header=BB311_12 Depth=1
	s_delay_alu instid0(SALU_CYCLE_1)
	s_or_b32 exec_lo, exec_lo, s43
.LBB311_145:                            ;   in Loop: Header=BB311_12 Depth=1
	s_delay_alu instid0(SALU_CYCLE_1)
	s_or_b32 exec_lo, exec_lo, s42
	global_load_u16 v28, v[36:37], off offset:512
	v_mov_b32_e32 v61, 0
	s_wait_loadcnt 0x0
	v_and_b32_e32 v62, 0xff, v28
	v_and_b32_e32 v63, 0xffff, v28
	s_delay_alu instid0(VALU_DEP_2)
	v_cmp_ne_u16_e64 s4, 0, v62
	v_mov_b32_e32 v62, 0
	s_and_saveexec_b32 s42, s4
	s_cbranch_execz .LBB311_153
; %bb.146:                              ;   in Loop: Header=BB311_12 Depth=1
	v_and_b32_e32 v28, 0xff, v63
	v_bfrev_b32_e32 v62, 1
	s_mov_b32 s43, exec_lo
	s_delay_alu instid0(VALU_DEP_2)
	v_cmpx_ne_u16_e32 0x80, v28
	s_cbranch_execz .LBB311_152
; %bb.147:                              ;   in Loop: Header=BB311_12 Depth=1
	v_and_b32_e32 v64, 0x7f, v63
	v_mov_b32_e32 v62, 0x7f800001
	s_mov_b32 s44, exec_lo
	s_delay_alu instid0(VALU_DEP_2)
	v_cmpx_ne_u32_e32 0x7f, v64
	s_cbranch_execz .LBB311_151
; %bb.148:                              ;   in Loop: Header=BB311_12 Depth=1
	v_dual_lshrrev_b32 v62, 3, v64 :: v_dual_bitop2_b32 v28, 7, v63 bitop3:0x40
	s_mov_b32 s45, exec_lo
	v_cmpx_gt_u32_e32 8, v64
; %bb.149:                              ;   in Loop: Header=BB311_12 Depth=1
	s_delay_alu instid0(VALU_DEP_2) | instskip(NEXT) | instid1(VALU_DEP_1)
	v_clz_i32_u32_e32 v62, v28
	v_min_u32_e32 v62, 32, v62
	s_delay_alu instid0(VALU_DEP_1) | instskip(NEXT) | instid1(VALU_DEP_1)
	v_subrev_nc_u32_e32 v64, 28, v62
	v_lshlrev_b64_e32 v[64:65], v64, v[28:29]
	s_delay_alu instid0(VALU_DEP_1)
	v_dual_sub_nc_u32 v62, 29, v62 :: v_dual_bitop2_b32 v28, 7, v64 bitop3:0x40
; %bb.150:                              ;   in Loop: Header=BB311_12 Depth=1
	s_or_b32 exec_lo, exec_lo, s45
	s_delay_alu instid0(VALU_DEP_1) | instskip(NEXT) | instid1(VALU_DEP_2)
	v_dual_lshlrev_b32 v64, 24, v63 :: v_dual_lshlrev_b32 v28, 20, v28
	v_lshl_add_u32 v62, v62, 23, 0x3c000000
	s_delay_alu instid0(VALU_DEP_2) | instskip(NEXT) | instid1(VALU_DEP_1)
	v_and_b32_e32 v64, 0x80000000, v64
	v_or3_b32 v62, v28, v64, v62
.LBB311_151:                            ;   in Loop: Header=BB311_12 Depth=1
	s_or_b32 exec_lo, exec_lo, s44
.LBB311_152:                            ;   in Loop: Header=BB311_12 Depth=1
	s_delay_alu instid0(SALU_CYCLE_1)
	s_or_b32 exec_lo, exec_lo, s43
.LBB311_153:                            ;   in Loop: Header=BB311_12 Depth=1
	s_delay_alu instid0(SALU_CYCLE_1) | instskip(SKIP_2) | instid1(VALU_DEP_1)
	s_or_b32 exec_lo, exec_lo, s42
	v_lshrrev_b16 v28, 8, v63
	s_mov_b32 s42, exec_lo
	v_cmpx_ne_u16_e32 0, v28
	s_cbranch_execz .LBB311_161
; %bb.154:                              ;   in Loop: Header=BB311_12 Depth=1
	v_bfrev_b32_e32 v61, 1
	s_mov_b32 s43, exec_lo
	v_cmpx_ne_u16_e32 0x80, v28
	s_cbranch_execz .LBB311_160
; %bb.155:                              ;   in Loop: Header=BB311_12 Depth=1
	v_and_b32_e32 v28, 0xffff, v28
	v_mov_b32_e32 v61, 0x7f800001
	s_mov_b32 s44, exec_lo
	s_delay_alu instid0(VALU_DEP_2) | instskip(NEXT) | instid1(VALU_DEP_1)
	v_and_b32_e32 v64, 0x7f, v28
	v_cmpx_ne_u32_e32 0x7f, v64
	s_cbranch_execz .LBB311_159
; %bb.156:                              ;   in Loop: Header=BB311_12 Depth=1
	v_and_b32_e32 v28, 7, v28
	v_lshrrev_b32_e32 v61, 3, v64
	s_mov_b32 s45, exec_lo
	v_cmpx_gt_u32_e32 8, v64
; %bb.157:                              ;   in Loop: Header=BB311_12 Depth=1
	s_delay_alu instid0(VALU_DEP_3) | instskip(NEXT) | instid1(VALU_DEP_1)
	v_clz_i32_u32_e32 v61, v28
	v_min_u32_e32 v61, 32, v61
	s_delay_alu instid0(VALU_DEP_1) | instskip(NEXT) | instid1(VALU_DEP_1)
	v_subrev_nc_u32_e32 v64, 28, v61
	v_lshlrev_b64_e32 v[64:65], v64, v[28:29]
	s_delay_alu instid0(VALU_DEP_1)
	v_dual_sub_nc_u32 v61, 29, v61 :: v_dual_bitop2_b32 v28, 7, v64 bitop3:0x40
; %bb.158:                              ;   in Loop: Header=BB311_12 Depth=1
	s_or_b32 exec_lo, exec_lo, s45
	s_delay_alu instid0(VALU_DEP_1) | instskip(NEXT) | instid1(VALU_DEP_2)
	v_dual_lshlrev_b32 v63, 16, v63 :: v_dual_lshlrev_b32 v28, 20, v28
	v_lshl_add_u32 v61, v61, 23, 0x3c000000
	s_delay_alu instid0(VALU_DEP_2) | instskip(NEXT) | instid1(VALU_DEP_1)
	v_and_b32_e32 v63, 0x80000000, v63
	v_or3_b32 v61, v28, v63, v61
.LBB311_159:                            ;   in Loop: Header=BB311_12 Depth=1
	s_or_b32 exec_lo, exec_lo, s44
.LBB311_160:                            ;   in Loop: Header=BB311_12 Depth=1
	s_delay_alu instid0(SALU_CYCLE_1)
	s_or_b32 exec_lo, exec_lo, s43
.LBB311_161:                            ;   in Loop: Header=BB311_12 Depth=1
	s_delay_alu instid0(SALU_CYCLE_1)
	s_or_b32 exec_lo, exec_lo, s42
	global_load_u16 v28, v[36:37], off offset:520
	v_mov_b32_e32 v63, 0
	s_wait_loadcnt 0x0
	v_and_b32_e32 v64, 0xff, v28
	v_and_b32_e32 v65, 0xffff, v28
	s_delay_alu instid0(VALU_DEP_2)
	v_cmp_ne_u16_e64 s4, 0, v64
	v_mov_b32_e32 v64, 0
	s_and_saveexec_b32 s42, s4
	s_cbranch_execz .LBB311_169
; %bb.162:                              ;   in Loop: Header=BB311_12 Depth=1
	v_and_b32_e32 v28, 0xff, v65
	v_bfrev_b32_e32 v64, 1
	s_mov_b32 s43, exec_lo
	s_delay_alu instid0(VALU_DEP_2)
	v_cmpx_ne_u16_e32 0x80, v28
	s_cbranch_execz .LBB311_168
; %bb.163:                              ;   in Loop: Header=BB311_12 Depth=1
	v_and_b32_e32 v66, 0x7f, v65
	v_mov_b32_e32 v64, 0x7f800001
	s_mov_b32 s44, exec_lo
	s_delay_alu instid0(VALU_DEP_2)
	v_cmpx_ne_u32_e32 0x7f, v66
	s_cbranch_execz .LBB311_167
; %bb.164:                              ;   in Loop: Header=BB311_12 Depth=1
	v_dual_lshrrev_b32 v64, 3, v66 :: v_dual_bitop2_b32 v28, 7, v65 bitop3:0x40
	s_mov_b32 s45, exec_lo
	v_cmpx_gt_u32_e32 8, v66
; %bb.165:                              ;   in Loop: Header=BB311_12 Depth=1
	s_delay_alu instid0(VALU_DEP_2) | instskip(NEXT) | instid1(VALU_DEP_1)
	v_clz_i32_u32_e32 v64, v28
	v_min_u32_e32 v64, 32, v64
	s_delay_alu instid0(VALU_DEP_1) | instskip(NEXT) | instid1(VALU_DEP_1)
	v_subrev_nc_u32_e32 v66, 28, v64
	v_lshlrev_b64_e32 v[66:67], v66, v[28:29]
	s_delay_alu instid0(VALU_DEP_1)
	v_dual_sub_nc_u32 v64, 29, v64 :: v_dual_bitop2_b32 v28, 7, v66 bitop3:0x40
; %bb.166:                              ;   in Loop: Header=BB311_12 Depth=1
	s_or_b32 exec_lo, exec_lo, s45
	s_delay_alu instid0(VALU_DEP_1) | instskip(NEXT) | instid1(VALU_DEP_2)
	v_dual_lshlrev_b32 v66, 24, v65 :: v_dual_lshlrev_b32 v28, 20, v28
	v_lshl_add_u32 v64, v64, 23, 0x3c000000
	s_delay_alu instid0(VALU_DEP_2) | instskip(NEXT) | instid1(VALU_DEP_1)
	v_and_b32_e32 v66, 0x80000000, v66
	v_or3_b32 v64, v28, v66, v64
.LBB311_167:                            ;   in Loop: Header=BB311_12 Depth=1
	s_or_b32 exec_lo, exec_lo, s44
.LBB311_168:                            ;   in Loop: Header=BB311_12 Depth=1
	s_delay_alu instid0(SALU_CYCLE_1)
	s_or_b32 exec_lo, exec_lo, s43
.LBB311_169:                            ;   in Loop: Header=BB311_12 Depth=1
	s_delay_alu instid0(SALU_CYCLE_1) | instskip(SKIP_2) | instid1(VALU_DEP_1)
	s_or_b32 exec_lo, exec_lo, s42
	v_lshrrev_b16 v28, 8, v65
	s_mov_b32 s42, exec_lo
	v_cmpx_ne_u16_e32 0, v28
	s_cbranch_execz .LBB311_177
; %bb.170:                              ;   in Loop: Header=BB311_12 Depth=1
	v_bfrev_b32_e32 v63, 1
	s_mov_b32 s43, exec_lo
	v_cmpx_ne_u16_e32 0x80, v28
	s_cbranch_execz .LBB311_176
; %bb.171:                              ;   in Loop: Header=BB311_12 Depth=1
	v_and_b32_e32 v28, 0xffff, v28
	v_mov_b32_e32 v63, 0x7f800001
	s_mov_b32 s44, exec_lo
	s_delay_alu instid0(VALU_DEP_2) | instskip(NEXT) | instid1(VALU_DEP_1)
	v_and_b32_e32 v66, 0x7f, v28
	v_cmpx_ne_u32_e32 0x7f, v66
	s_cbranch_execz .LBB311_175
; %bb.172:                              ;   in Loop: Header=BB311_12 Depth=1
	v_dual_lshrrev_b32 v63, 3, v66 :: v_dual_bitop2_b32 v28, 7, v28 bitop3:0x40
	s_mov_b32 s45, exec_lo
	v_cmpx_gt_u32_e32 8, v66
; %bb.173:                              ;   in Loop: Header=BB311_12 Depth=1
	s_delay_alu instid0(VALU_DEP_2) | instskip(NEXT) | instid1(VALU_DEP_1)
	v_clz_i32_u32_e32 v63, v28
	v_min_u32_e32 v63, 32, v63
	s_delay_alu instid0(VALU_DEP_1) | instskip(NEXT) | instid1(VALU_DEP_1)
	v_subrev_nc_u32_e32 v66, 28, v63
	v_lshlrev_b64_e32 v[66:67], v66, v[28:29]
	s_delay_alu instid0(VALU_DEP_1)
	v_dual_sub_nc_u32 v63, 29, v63 :: v_dual_bitop2_b32 v28, 7, v66 bitop3:0x40
; %bb.174:                              ;   in Loop: Header=BB311_12 Depth=1
	s_or_b32 exec_lo, exec_lo, s45
	s_delay_alu instid0(VALU_DEP_1) | instskip(NEXT) | instid1(VALU_DEP_2)
	v_dual_lshlrev_b32 v65, 16, v65 :: v_dual_lshlrev_b32 v28, 20, v28
	v_lshl_add_u32 v63, v63, 23, 0x3c000000
	s_delay_alu instid0(VALU_DEP_2) | instskip(NEXT) | instid1(VALU_DEP_1)
	v_and_b32_e32 v65, 0x80000000, v65
	v_or3_b32 v63, v28, v65, v63
.LBB311_175:                            ;   in Loop: Header=BB311_12 Depth=1
	s_or_b32 exec_lo, exec_lo, s44
.LBB311_176:                            ;   in Loop: Header=BB311_12 Depth=1
	s_delay_alu instid0(SALU_CYCLE_1)
	s_or_b32 exec_lo, exec_lo, s43
.LBB311_177:                            ;   in Loop: Header=BB311_12 Depth=1
	s_delay_alu instid0(SALU_CYCLE_1)
	s_or_b32 exec_lo, exec_lo, s42
	global_load_u16 v28, v[36:37], off offset:640
	v_mov_b32_e32 v65, 0
	s_wait_loadcnt 0x0
	v_and_b32_e32 v66, 0xff, v28
	v_and_b32_e32 v67, 0xffff, v28
	s_delay_alu instid0(VALU_DEP_2)
	v_cmp_ne_u16_e64 s4, 0, v66
	v_mov_b32_e32 v66, 0
	s_and_saveexec_b32 s42, s4
	s_cbranch_execz .LBB311_185
; %bb.178:                              ;   in Loop: Header=BB311_12 Depth=1
	v_and_b32_e32 v28, 0xff, v67
	v_bfrev_b32_e32 v66, 1
	s_mov_b32 s43, exec_lo
	s_delay_alu instid0(VALU_DEP_2)
	v_cmpx_ne_u16_e32 0x80, v28
	s_cbranch_execz .LBB311_184
; %bb.179:                              ;   in Loop: Header=BB311_12 Depth=1
	v_and_b32_e32 v68, 0x7f, v67
	v_mov_b32_e32 v66, 0x7f800001
	s_mov_b32 s44, exec_lo
	s_delay_alu instid0(VALU_DEP_2)
	v_cmpx_ne_u32_e32 0x7f, v68
	s_cbranch_execz .LBB311_183
; %bb.180:                              ;   in Loop: Header=BB311_12 Depth=1
	v_dual_lshrrev_b32 v66, 3, v68 :: v_dual_bitop2_b32 v28, 7, v67 bitop3:0x40
	s_mov_b32 s45, exec_lo
	v_cmpx_gt_u32_e32 8, v68
; %bb.181:                              ;   in Loop: Header=BB311_12 Depth=1
	s_delay_alu instid0(VALU_DEP_2) | instskip(NEXT) | instid1(VALU_DEP_1)
	v_clz_i32_u32_e32 v66, v28
	v_min_u32_e32 v66, 32, v66
	s_delay_alu instid0(VALU_DEP_1) | instskip(NEXT) | instid1(VALU_DEP_1)
	v_subrev_nc_u32_e32 v68, 28, v66
	v_lshlrev_b64_e32 v[68:69], v68, v[28:29]
	s_delay_alu instid0(VALU_DEP_1)
	v_dual_sub_nc_u32 v66, 29, v66 :: v_dual_bitop2_b32 v28, 7, v68 bitop3:0x40
; %bb.182:                              ;   in Loop: Header=BB311_12 Depth=1
	s_or_b32 exec_lo, exec_lo, s45
	s_delay_alu instid0(VALU_DEP_1) | instskip(NEXT) | instid1(VALU_DEP_2)
	v_dual_lshlrev_b32 v68, 24, v67 :: v_dual_lshlrev_b32 v28, 20, v28
	v_lshl_add_u32 v66, v66, 23, 0x3c000000
	s_delay_alu instid0(VALU_DEP_2) | instskip(NEXT) | instid1(VALU_DEP_1)
	v_and_b32_e32 v68, 0x80000000, v68
	v_or3_b32 v66, v28, v68, v66
.LBB311_183:                            ;   in Loop: Header=BB311_12 Depth=1
	s_or_b32 exec_lo, exec_lo, s44
.LBB311_184:                            ;   in Loop: Header=BB311_12 Depth=1
	s_delay_alu instid0(SALU_CYCLE_1)
	s_or_b32 exec_lo, exec_lo, s43
.LBB311_185:                            ;   in Loop: Header=BB311_12 Depth=1
	s_delay_alu instid0(SALU_CYCLE_1) | instskip(SKIP_2) | instid1(VALU_DEP_1)
	s_or_b32 exec_lo, exec_lo, s42
	v_lshrrev_b16 v28, 8, v67
	s_mov_b32 s42, exec_lo
	v_cmpx_ne_u16_e32 0, v28
	s_cbranch_execz .LBB311_193
; %bb.186:                              ;   in Loop: Header=BB311_12 Depth=1
	v_bfrev_b32_e32 v65, 1
	s_mov_b32 s43, exec_lo
	v_cmpx_ne_u16_e32 0x80, v28
	s_cbranch_execz .LBB311_192
; %bb.187:                              ;   in Loop: Header=BB311_12 Depth=1
	v_and_b32_e32 v28, 0xffff, v28
	v_mov_b32_e32 v65, 0x7f800001
	s_mov_b32 s44, exec_lo
	s_delay_alu instid0(VALU_DEP_2) | instskip(NEXT) | instid1(VALU_DEP_1)
	v_and_b32_e32 v68, 0x7f, v28
	v_cmpx_ne_u32_e32 0x7f, v68
	s_cbranch_execz .LBB311_191
; %bb.188:                              ;   in Loop: Header=BB311_12 Depth=1
	v_and_b32_e32 v28, 7, v28
	v_lshrrev_b32_e32 v65, 3, v68
	s_mov_b32 s45, exec_lo
	v_cmpx_gt_u32_e32 8, v68
; %bb.189:                              ;   in Loop: Header=BB311_12 Depth=1
	s_delay_alu instid0(VALU_DEP_3) | instskip(NEXT) | instid1(VALU_DEP_1)
	v_clz_i32_u32_e32 v65, v28
	v_min_u32_e32 v65, 32, v65
	s_delay_alu instid0(VALU_DEP_1) | instskip(NEXT) | instid1(VALU_DEP_1)
	v_subrev_nc_u32_e32 v68, 28, v65
	v_lshlrev_b64_e32 v[68:69], v68, v[28:29]
	s_delay_alu instid0(VALU_DEP_1)
	v_dual_sub_nc_u32 v65, 29, v65 :: v_dual_bitop2_b32 v28, 7, v68 bitop3:0x40
; %bb.190:                              ;   in Loop: Header=BB311_12 Depth=1
	s_or_b32 exec_lo, exec_lo, s45
	s_delay_alu instid0(VALU_DEP_1) | instskip(NEXT) | instid1(VALU_DEP_2)
	v_dual_lshlrev_b32 v67, 16, v67 :: v_dual_lshlrev_b32 v28, 20, v28
	v_lshl_add_u32 v65, v65, 23, 0x3c000000
	s_delay_alu instid0(VALU_DEP_2) | instskip(NEXT) | instid1(VALU_DEP_1)
	v_and_b32_e32 v67, 0x80000000, v67
	v_or3_b32 v65, v28, v67, v65
.LBB311_191:                            ;   in Loop: Header=BB311_12 Depth=1
	s_or_b32 exec_lo, exec_lo, s44
.LBB311_192:                            ;   in Loop: Header=BB311_12 Depth=1
	s_delay_alu instid0(SALU_CYCLE_1)
	s_or_b32 exec_lo, exec_lo, s43
.LBB311_193:                            ;   in Loop: Header=BB311_12 Depth=1
	s_delay_alu instid0(SALU_CYCLE_1)
	s_or_b32 exec_lo, exec_lo, s42
	global_load_u16 v28, v[36:37], off offset:648
	v_mov_b32_e32 v67, 0
	s_wait_loadcnt 0x0
	v_and_b32_e32 v68, 0xff, v28
	v_and_b32_e32 v69, 0xffff, v28
	s_delay_alu instid0(VALU_DEP_2)
	v_cmp_ne_u16_e64 s4, 0, v68
	v_mov_b32_e32 v68, 0
	s_and_saveexec_b32 s42, s4
	s_cbranch_execz .LBB311_201
; %bb.194:                              ;   in Loop: Header=BB311_12 Depth=1
	v_and_b32_e32 v28, 0xff, v69
	v_bfrev_b32_e32 v68, 1
	s_mov_b32 s43, exec_lo
	s_delay_alu instid0(VALU_DEP_2)
	v_cmpx_ne_u16_e32 0x80, v28
	s_cbranch_execz .LBB311_200
; %bb.195:                              ;   in Loop: Header=BB311_12 Depth=1
	v_and_b32_e32 v70, 0x7f, v69
	v_mov_b32_e32 v68, 0x7f800001
	s_mov_b32 s44, exec_lo
	s_delay_alu instid0(VALU_DEP_2)
	v_cmpx_ne_u32_e32 0x7f, v70
	s_cbranch_execz .LBB311_199
; %bb.196:                              ;   in Loop: Header=BB311_12 Depth=1
	v_dual_lshrrev_b32 v68, 3, v70 :: v_dual_bitop2_b32 v28, 7, v69 bitop3:0x40
	s_mov_b32 s45, exec_lo
	v_cmpx_gt_u32_e32 8, v70
; %bb.197:                              ;   in Loop: Header=BB311_12 Depth=1
	s_delay_alu instid0(VALU_DEP_2) | instskip(NEXT) | instid1(VALU_DEP_1)
	v_clz_i32_u32_e32 v68, v28
	v_min_u32_e32 v68, 32, v68
	s_delay_alu instid0(VALU_DEP_1) | instskip(NEXT) | instid1(VALU_DEP_1)
	v_subrev_nc_u32_e32 v70, 28, v68
	v_lshlrev_b64_e32 v[70:71], v70, v[28:29]
	s_delay_alu instid0(VALU_DEP_1)
	v_dual_sub_nc_u32 v68, 29, v68 :: v_dual_bitop2_b32 v28, 7, v70 bitop3:0x40
; %bb.198:                              ;   in Loop: Header=BB311_12 Depth=1
	s_or_b32 exec_lo, exec_lo, s45
	s_delay_alu instid0(VALU_DEP_1) | instskip(NEXT) | instid1(VALU_DEP_2)
	v_dual_lshlrev_b32 v70, 24, v69 :: v_dual_lshlrev_b32 v28, 20, v28
	v_lshl_add_u32 v68, v68, 23, 0x3c000000
	s_delay_alu instid0(VALU_DEP_2) | instskip(NEXT) | instid1(VALU_DEP_1)
	v_and_b32_e32 v70, 0x80000000, v70
	v_or3_b32 v68, v28, v70, v68
.LBB311_199:                            ;   in Loop: Header=BB311_12 Depth=1
	s_or_b32 exec_lo, exec_lo, s44
.LBB311_200:                            ;   in Loop: Header=BB311_12 Depth=1
	s_delay_alu instid0(SALU_CYCLE_1)
	s_or_b32 exec_lo, exec_lo, s43
.LBB311_201:                            ;   in Loop: Header=BB311_12 Depth=1
	s_delay_alu instid0(SALU_CYCLE_1) | instskip(SKIP_2) | instid1(VALU_DEP_1)
	s_or_b32 exec_lo, exec_lo, s42
	v_lshrrev_b16 v28, 8, v69
	s_mov_b32 s42, exec_lo
	v_cmpx_ne_u16_e32 0, v28
	s_cbranch_execz .LBB311_209
; %bb.202:                              ;   in Loop: Header=BB311_12 Depth=1
	v_bfrev_b32_e32 v67, 1
	s_mov_b32 s43, exec_lo
	v_cmpx_ne_u16_e32 0x80, v28
	s_cbranch_execz .LBB311_208
; %bb.203:                              ;   in Loop: Header=BB311_12 Depth=1
	v_and_b32_e32 v28, 0xffff, v28
	v_mov_b32_e32 v67, 0x7f800001
	s_mov_b32 s44, exec_lo
	s_delay_alu instid0(VALU_DEP_2) | instskip(NEXT) | instid1(VALU_DEP_1)
	v_and_b32_e32 v70, 0x7f, v28
	v_cmpx_ne_u32_e32 0x7f, v70
	s_cbranch_execz .LBB311_207
; %bb.204:                              ;   in Loop: Header=BB311_12 Depth=1
	v_dual_lshrrev_b32 v67, 3, v70 :: v_dual_bitop2_b32 v28, 7, v28 bitop3:0x40
	s_mov_b32 s45, exec_lo
	v_cmpx_gt_u32_e32 8, v70
; %bb.205:                              ;   in Loop: Header=BB311_12 Depth=1
	s_delay_alu instid0(VALU_DEP_2) | instskip(NEXT) | instid1(VALU_DEP_1)
	v_clz_i32_u32_e32 v67, v28
	v_min_u32_e32 v67, 32, v67
	s_delay_alu instid0(VALU_DEP_1) | instskip(NEXT) | instid1(VALU_DEP_1)
	v_subrev_nc_u32_e32 v70, 28, v67
	v_lshlrev_b64_e32 v[70:71], v70, v[28:29]
	s_delay_alu instid0(VALU_DEP_1)
	v_dual_sub_nc_u32 v67, 29, v67 :: v_dual_bitop2_b32 v28, 7, v70 bitop3:0x40
; %bb.206:                              ;   in Loop: Header=BB311_12 Depth=1
	s_or_b32 exec_lo, exec_lo, s45
	s_delay_alu instid0(VALU_DEP_1) | instskip(NEXT) | instid1(VALU_DEP_2)
	v_dual_lshlrev_b32 v69, 16, v69 :: v_dual_lshlrev_b32 v28, 20, v28
	v_lshl_add_u32 v67, v67, 23, 0x3c000000
	s_delay_alu instid0(VALU_DEP_2) | instskip(NEXT) | instid1(VALU_DEP_1)
	v_and_b32_e32 v69, 0x80000000, v69
	v_or3_b32 v67, v28, v69, v67
.LBB311_207:                            ;   in Loop: Header=BB311_12 Depth=1
	s_or_b32 exec_lo, exec_lo, s44
.LBB311_208:                            ;   in Loop: Header=BB311_12 Depth=1
	s_delay_alu instid0(SALU_CYCLE_1)
	s_or_b32 exec_lo, exec_lo, s43
.LBB311_209:                            ;   in Loop: Header=BB311_12 Depth=1
	s_delay_alu instid0(SALU_CYCLE_1)
	s_or_b32 exec_lo, exec_lo, s42
	global_load_u16 v28, v[36:37], off offset:768
	v_mov_b32_e32 v69, 0
	s_wait_loadcnt 0x0
	v_and_b32_e32 v70, 0xff, v28
	v_and_b32_e32 v71, 0xffff, v28
	s_delay_alu instid0(VALU_DEP_2)
	v_cmp_ne_u16_e64 s4, 0, v70
	v_mov_b32_e32 v70, 0
	s_and_saveexec_b32 s42, s4
	s_cbranch_execz .LBB311_217
; %bb.210:                              ;   in Loop: Header=BB311_12 Depth=1
	v_and_b32_e32 v28, 0xff, v71
	v_bfrev_b32_e32 v70, 1
	s_mov_b32 s43, exec_lo
	s_delay_alu instid0(VALU_DEP_2)
	v_cmpx_ne_u16_e32 0x80, v28
	s_cbranch_execz .LBB311_216
; %bb.211:                              ;   in Loop: Header=BB311_12 Depth=1
	v_and_b32_e32 v72, 0x7f, v71
	v_mov_b32_e32 v70, 0x7f800001
	s_mov_b32 s44, exec_lo
	s_delay_alu instid0(VALU_DEP_2)
	v_cmpx_ne_u32_e32 0x7f, v72
	s_cbranch_execz .LBB311_215
; %bb.212:                              ;   in Loop: Header=BB311_12 Depth=1
	v_dual_lshrrev_b32 v70, 3, v72 :: v_dual_bitop2_b32 v28, 7, v71 bitop3:0x40
	s_mov_b32 s45, exec_lo
	v_cmpx_gt_u32_e32 8, v72
; %bb.213:                              ;   in Loop: Header=BB311_12 Depth=1
	s_delay_alu instid0(VALU_DEP_2) | instskip(NEXT) | instid1(VALU_DEP_1)
	v_clz_i32_u32_e32 v70, v28
	v_min_u32_e32 v70, 32, v70
	s_delay_alu instid0(VALU_DEP_1) | instskip(NEXT) | instid1(VALU_DEP_1)
	v_subrev_nc_u32_e32 v72, 28, v70
	v_lshlrev_b64_e32 v[72:73], v72, v[28:29]
	s_delay_alu instid0(VALU_DEP_1)
	v_dual_sub_nc_u32 v70, 29, v70 :: v_dual_bitop2_b32 v28, 7, v72 bitop3:0x40
; %bb.214:                              ;   in Loop: Header=BB311_12 Depth=1
	s_or_b32 exec_lo, exec_lo, s45
	s_delay_alu instid0(VALU_DEP_1) | instskip(NEXT) | instid1(VALU_DEP_2)
	v_dual_lshlrev_b32 v72, 24, v71 :: v_dual_lshlrev_b32 v28, 20, v28
	v_lshl_add_u32 v70, v70, 23, 0x3c000000
	s_delay_alu instid0(VALU_DEP_2) | instskip(NEXT) | instid1(VALU_DEP_1)
	v_and_b32_e32 v72, 0x80000000, v72
	v_or3_b32 v70, v28, v72, v70
.LBB311_215:                            ;   in Loop: Header=BB311_12 Depth=1
	s_or_b32 exec_lo, exec_lo, s44
.LBB311_216:                            ;   in Loop: Header=BB311_12 Depth=1
	s_delay_alu instid0(SALU_CYCLE_1)
	s_or_b32 exec_lo, exec_lo, s43
.LBB311_217:                            ;   in Loop: Header=BB311_12 Depth=1
	s_delay_alu instid0(SALU_CYCLE_1) | instskip(SKIP_2) | instid1(VALU_DEP_1)
	s_or_b32 exec_lo, exec_lo, s42
	v_lshrrev_b16 v28, 8, v71
	s_mov_b32 s42, exec_lo
	v_cmpx_ne_u16_e32 0, v28
	s_cbranch_execz .LBB311_225
; %bb.218:                              ;   in Loop: Header=BB311_12 Depth=1
	v_bfrev_b32_e32 v69, 1
	s_mov_b32 s43, exec_lo
	v_cmpx_ne_u16_e32 0x80, v28
	s_cbranch_execz .LBB311_224
; %bb.219:                              ;   in Loop: Header=BB311_12 Depth=1
	v_and_b32_e32 v28, 0xffff, v28
	v_mov_b32_e32 v69, 0x7f800001
	s_mov_b32 s44, exec_lo
	s_delay_alu instid0(VALU_DEP_2) | instskip(NEXT) | instid1(VALU_DEP_1)
	v_and_b32_e32 v72, 0x7f, v28
	v_cmpx_ne_u32_e32 0x7f, v72
	s_cbranch_execz .LBB311_223
; %bb.220:                              ;   in Loop: Header=BB311_12 Depth=1
	v_and_b32_e32 v28, 7, v28
	v_lshrrev_b32_e32 v69, 3, v72
	s_mov_b32 s45, exec_lo
	v_cmpx_gt_u32_e32 8, v72
; %bb.221:                              ;   in Loop: Header=BB311_12 Depth=1
	s_delay_alu instid0(VALU_DEP_3) | instskip(NEXT) | instid1(VALU_DEP_1)
	v_clz_i32_u32_e32 v69, v28
	v_min_u32_e32 v69, 32, v69
	s_delay_alu instid0(VALU_DEP_1) | instskip(NEXT) | instid1(VALU_DEP_1)
	v_subrev_nc_u32_e32 v72, 28, v69
	v_lshlrev_b64_e32 v[72:73], v72, v[28:29]
	s_delay_alu instid0(VALU_DEP_1)
	v_dual_sub_nc_u32 v69, 29, v69 :: v_dual_bitop2_b32 v28, 7, v72 bitop3:0x40
; %bb.222:                              ;   in Loop: Header=BB311_12 Depth=1
	s_or_b32 exec_lo, exec_lo, s45
	s_delay_alu instid0(VALU_DEP_1) | instskip(NEXT) | instid1(VALU_DEP_2)
	v_dual_lshlrev_b32 v71, 16, v71 :: v_dual_lshlrev_b32 v28, 20, v28
	v_lshl_add_u32 v69, v69, 23, 0x3c000000
	s_delay_alu instid0(VALU_DEP_2) | instskip(NEXT) | instid1(VALU_DEP_1)
	v_and_b32_e32 v71, 0x80000000, v71
	v_or3_b32 v69, v28, v71, v69
.LBB311_223:                            ;   in Loop: Header=BB311_12 Depth=1
	s_or_b32 exec_lo, exec_lo, s44
.LBB311_224:                            ;   in Loop: Header=BB311_12 Depth=1
	s_delay_alu instid0(SALU_CYCLE_1)
	s_or_b32 exec_lo, exec_lo, s43
.LBB311_225:                            ;   in Loop: Header=BB311_12 Depth=1
	s_delay_alu instid0(SALU_CYCLE_1)
	s_or_b32 exec_lo, exec_lo, s42
	global_load_u16 v28, v[36:37], off offset:776
	v_mov_b32_e32 v71, 0
	s_wait_loadcnt 0x0
	v_and_b32_e32 v72, 0xff, v28
	v_and_b32_e32 v73, 0xffff, v28
	s_delay_alu instid0(VALU_DEP_2)
	v_cmp_ne_u16_e64 s4, 0, v72
	v_mov_b32_e32 v72, 0
	s_and_saveexec_b32 s42, s4
	s_cbranch_execz .LBB311_233
; %bb.226:                              ;   in Loop: Header=BB311_12 Depth=1
	v_and_b32_e32 v28, 0xff, v73
	v_bfrev_b32_e32 v72, 1
	s_mov_b32 s43, exec_lo
	s_delay_alu instid0(VALU_DEP_2)
	v_cmpx_ne_u16_e32 0x80, v28
	s_cbranch_execz .LBB311_232
; %bb.227:                              ;   in Loop: Header=BB311_12 Depth=1
	v_and_b32_e32 v74, 0x7f, v73
	v_mov_b32_e32 v72, 0x7f800001
	s_mov_b32 s44, exec_lo
	s_delay_alu instid0(VALU_DEP_2)
	v_cmpx_ne_u32_e32 0x7f, v74
	s_cbranch_execz .LBB311_231
; %bb.228:                              ;   in Loop: Header=BB311_12 Depth=1
	v_dual_lshrrev_b32 v72, 3, v74 :: v_dual_bitop2_b32 v28, 7, v73 bitop3:0x40
	s_mov_b32 s45, exec_lo
	v_cmpx_gt_u32_e32 8, v74
; %bb.229:                              ;   in Loop: Header=BB311_12 Depth=1
	s_delay_alu instid0(VALU_DEP_2) | instskip(NEXT) | instid1(VALU_DEP_1)
	v_clz_i32_u32_e32 v72, v28
	v_min_u32_e32 v72, 32, v72
	s_delay_alu instid0(VALU_DEP_1) | instskip(NEXT) | instid1(VALU_DEP_1)
	v_subrev_nc_u32_e32 v74, 28, v72
	v_lshlrev_b64_e32 v[74:75], v74, v[28:29]
	s_delay_alu instid0(VALU_DEP_1)
	v_dual_sub_nc_u32 v72, 29, v72 :: v_dual_bitop2_b32 v28, 7, v74 bitop3:0x40
; %bb.230:                              ;   in Loop: Header=BB311_12 Depth=1
	s_or_b32 exec_lo, exec_lo, s45
	s_delay_alu instid0(VALU_DEP_1) | instskip(NEXT) | instid1(VALU_DEP_2)
	v_dual_lshlrev_b32 v74, 24, v73 :: v_dual_lshlrev_b32 v28, 20, v28
	v_lshl_add_u32 v72, v72, 23, 0x3c000000
	s_delay_alu instid0(VALU_DEP_2) | instskip(NEXT) | instid1(VALU_DEP_1)
	v_and_b32_e32 v74, 0x80000000, v74
	v_or3_b32 v72, v28, v74, v72
.LBB311_231:                            ;   in Loop: Header=BB311_12 Depth=1
	s_or_b32 exec_lo, exec_lo, s44
.LBB311_232:                            ;   in Loop: Header=BB311_12 Depth=1
	s_delay_alu instid0(SALU_CYCLE_1)
	s_or_b32 exec_lo, exec_lo, s43
.LBB311_233:                            ;   in Loop: Header=BB311_12 Depth=1
	s_delay_alu instid0(SALU_CYCLE_1) | instskip(SKIP_2) | instid1(VALU_DEP_1)
	s_or_b32 exec_lo, exec_lo, s42
	v_lshrrev_b16 v28, 8, v73
	s_mov_b32 s42, exec_lo
	v_cmpx_ne_u16_e32 0, v28
	s_cbranch_execz .LBB311_241
; %bb.234:                              ;   in Loop: Header=BB311_12 Depth=1
	v_bfrev_b32_e32 v71, 1
	s_mov_b32 s43, exec_lo
	v_cmpx_ne_u16_e32 0x80, v28
	s_cbranch_execz .LBB311_240
; %bb.235:                              ;   in Loop: Header=BB311_12 Depth=1
	v_and_b32_e32 v28, 0xffff, v28
	v_mov_b32_e32 v71, 0x7f800001
	s_mov_b32 s44, exec_lo
	s_delay_alu instid0(VALU_DEP_2) | instskip(NEXT) | instid1(VALU_DEP_1)
	v_and_b32_e32 v74, 0x7f, v28
	v_cmpx_ne_u32_e32 0x7f, v74
	s_cbranch_execz .LBB311_239
; %bb.236:                              ;   in Loop: Header=BB311_12 Depth=1
	v_dual_lshrrev_b32 v71, 3, v74 :: v_dual_bitop2_b32 v28, 7, v28 bitop3:0x40
	s_mov_b32 s45, exec_lo
	v_cmpx_gt_u32_e32 8, v74
; %bb.237:                              ;   in Loop: Header=BB311_12 Depth=1
	s_delay_alu instid0(VALU_DEP_2) | instskip(NEXT) | instid1(VALU_DEP_1)
	v_clz_i32_u32_e32 v71, v28
	v_min_u32_e32 v71, 32, v71
	s_delay_alu instid0(VALU_DEP_1) | instskip(NEXT) | instid1(VALU_DEP_1)
	v_subrev_nc_u32_e32 v74, 28, v71
	v_lshlrev_b64_e32 v[74:75], v74, v[28:29]
	s_delay_alu instid0(VALU_DEP_1)
	v_dual_sub_nc_u32 v71, 29, v71 :: v_dual_bitop2_b32 v28, 7, v74 bitop3:0x40
; %bb.238:                              ;   in Loop: Header=BB311_12 Depth=1
	s_or_b32 exec_lo, exec_lo, s45
	s_delay_alu instid0(VALU_DEP_1) | instskip(NEXT) | instid1(VALU_DEP_2)
	v_dual_lshlrev_b32 v73, 16, v73 :: v_dual_lshlrev_b32 v28, 20, v28
	v_lshl_add_u32 v71, v71, 23, 0x3c000000
	s_delay_alu instid0(VALU_DEP_2) | instskip(NEXT) | instid1(VALU_DEP_1)
	v_and_b32_e32 v73, 0x80000000, v73
	v_or3_b32 v71, v28, v73, v71
.LBB311_239:                            ;   in Loop: Header=BB311_12 Depth=1
	s_or_b32 exec_lo, exec_lo, s44
.LBB311_240:                            ;   in Loop: Header=BB311_12 Depth=1
	s_delay_alu instid0(SALU_CYCLE_1)
	s_or_b32 exec_lo, exec_lo, s43
.LBB311_241:                            ;   in Loop: Header=BB311_12 Depth=1
	s_delay_alu instid0(SALU_CYCLE_1)
	s_or_b32 exec_lo, exec_lo, s42
	global_load_u16 v28, v[36:37], off offset:896
	v_mov_b32_e32 v73, 0
	s_wait_loadcnt 0x0
	v_and_b32_e32 v74, 0xff, v28
	v_and_b32_e32 v75, 0xffff, v28
	s_delay_alu instid0(VALU_DEP_2)
	v_cmp_ne_u16_e64 s4, 0, v74
	v_mov_b32_e32 v74, 0
	s_and_saveexec_b32 s42, s4
	s_cbranch_execz .LBB311_249
; %bb.242:                              ;   in Loop: Header=BB311_12 Depth=1
	v_and_b32_e32 v28, 0xff, v75
	v_bfrev_b32_e32 v74, 1
	s_mov_b32 s43, exec_lo
	s_delay_alu instid0(VALU_DEP_2)
	v_cmpx_ne_u16_e32 0x80, v28
	s_cbranch_execz .LBB311_248
; %bb.243:                              ;   in Loop: Header=BB311_12 Depth=1
	v_and_b32_e32 v76, 0x7f, v75
	v_mov_b32_e32 v74, 0x7f800001
	s_mov_b32 s44, exec_lo
	s_delay_alu instid0(VALU_DEP_2)
	v_cmpx_ne_u32_e32 0x7f, v76
	s_cbranch_execz .LBB311_247
; %bb.244:                              ;   in Loop: Header=BB311_12 Depth=1
	v_dual_lshrrev_b32 v74, 3, v76 :: v_dual_bitop2_b32 v28, 7, v75 bitop3:0x40
	s_mov_b32 s45, exec_lo
	v_cmpx_gt_u32_e32 8, v76
; %bb.245:                              ;   in Loop: Header=BB311_12 Depth=1
	s_delay_alu instid0(VALU_DEP_2) | instskip(NEXT) | instid1(VALU_DEP_1)
	v_clz_i32_u32_e32 v74, v28
	v_min_u32_e32 v74, 32, v74
	s_delay_alu instid0(VALU_DEP_1) | instskip(NEXT) | instid1(VALU_DEP_1)
	v_subrev_nc_u32_e32 v76, 28, v74
	v_lshlrev_b64_e32 v[76:77], v76, v[28:29]
	s_delay_alu instid0(VALU_DEP_1)
	v_dual_sub_nc_u32 v74, 29, v74 :: v_dual_bitop2_b32 v28, 7, v76 bitop3:0x40
; %bb.246:                              ;   in Loop: Header=BB311_12 Depth=1
	s_or_b32 exec_lo, exec_lo, s45
	s_delay_alu instid0(VALU_DEP_1) | instskip(NEXT) | instid1(VALU_DEP_2)
	v_dual_lshlrev_b32 v76, 24, v75 :: v_dual_lshlrev_b32 v28, 20, v28
	v_lshl_add_u32 v74, v74, 23, 0x3c000000
	s_delay_alu instid0(VALU_DEP_2) | instskip(NEXT) | instid1(VALU_DEP_1)
	v_and_b32_e32 v76, 0x80000000, v76
	v_or3_b32 v74, v28, v76, v74
.LBB311_247:                            ;   in Loop: Header=BB311_12 Depth=1
	s_or_b32 exec_lo, exec_lo, s44
.LBB311_248:                            ;   in Loop: Header=BB311_12 Depth=1
	s_delay_alu instid0(SALU_CYCLE_1)
	s_or_b32 exec_lo, exec_lo, s43
.LBB311_249:                            ;   in Loop: Header=BB311_12 Depth=1
	s_delay_alu instid0(SALU_CYCLE_1) | instskip(SKIP_2) | instid1(VALU_DEP_1)
	s_or_b32 exec_lo, exec_lo, s42
	v_lshrrev_b16 v28, 8, v75
	s_mov_b32 s42, exec_lo
	v_cmpx_ne_u16_e32 0, v28
	s_cbranch_execz .LBB311_257
; %bb.250:                              ;   in Loop: Header=BB311_12 Depth=1
	v_bfrev_b32_e32 v73, 1
	s_mov_b32 s43, exec_lo
	v_cmpx_ne_u16_e32 0x80, v28
	s_cbranch_execz .LBB311_256
; %bb.251:                              ;   in Loop: Header=BB311_12 Depth=1
	v_and_b32_e32 v28, 0xffff, v28
	v_mov_b32_e32 v73, 0x7f800001
	s_mov_b32 s44, exec_lo
	s_delay_alu instid0(VALU_DEP_2) | instskip(NEXT) | instid1(VALU_DEP_1)
	v_and_b32_e32 v76, 0x7f, v28
	v_cmpx_ne_u32_e32 0x7f, v76
	s_cbranch_execz .LBB311_255
; %bb.252:                              ;   in Loop: Header=BB311_12 Depth=1
	v_and_b32_e32 v28, 7, v28
	v_lshrrev_b32_e32 v73, 3, v76
	s_mov_b32 s45, exec_lo
	v_cmpx_gt_u32_e32 8, v76
; %bb.253:                              ;   in Loop: Header=BB311_12 Depth=1
	s_delay_alu instid0(VALU_DEP_3) | instskip(NEXT) | instid1(VALU_DEP_1)
	v_clz_i32_u32_e32 v73, v28
	v_min_u32_e32 v73, 32, v73
	s_delay_alu instid0(VALU_DEP_1) | instskip(NEXT) | instid1(VALU_DEP_1)
	v_subrev_nc_u32_e32 v76, 28, v73
	v_lshlrev_b64_e32 v[76:77], v76, v[28:29]
	s_delay_alu instid0(VALU_DEP_1)
	v_dual_sub_nc_u32 v73, 29, v73 :: v_dual_bitop2_b32 v28, 7, v76 bitop3:0x40
; %bb.254:                              ;   in Loop: Header=BB311_12 Depth=1
	s_or_b32 exec_lo, exec_lo, s45
	s_delay_alu instid0(VALU_DEP_1) | instskip(NEXT) | instid1(VALU_DEP_2)
	v_dual_lshlrev_b32 v75, 16, v75 :: v_dual_lshlrev_b32 v28, 20, v28
	v_lshl_add_u32 v73, v73, 23, 0x3c000000
	s_delay_alu instid0(VALU_DEP_2) | instskip(NEXT) | instid1(VALU_DEP_1)
	v_and_b32_e32 v75, 0x80000000, v75
	v_or3_b32 v73, v28, v75, v73
.LBB311_255:                            ;   in Loop: Header=BB311_12 Depth=1
	s_or_b32 exec_lo, exec_lo, s44
.LBB311_256:                            ;   in Loop: Header=BB311_12 Depth=1
	s_delay_alu instid0(SALU_CYCLE_1)
	s_or_b32 exec_lo, exec_lo, s43
.LBB311_257:                            ;   in Loop: Header=BB311_12 Depth=1
	s_delay_alu instid0(SALU_CYCLE_1)
	s_or_b32 exec_lo, exec_lo, s42
	global_load_u16 v28, v[36:37], off offset:904
	v_mov_b32_e32 v75, 0
	s_wait_loadcnt 0x0
	v_and_b32_e32 v76, 0xff, v28
	v_and_b32_e32 v77, 0xffff, v28
	s_delay_alu instid0(VALU_DEP_2)
	v_cmp_ne_u16_e64 s4, 0, v76
	v_mov_b32_e32 v76, 0
	s_and_saveexec_b32 s42, s4
	s_cbranch_execz .LBB311_265
; %bb.258:                              ;   in Loop: Header=BB311_12 Depth=1
	v_and_b32_e32 v28, 0xff, v77
	v_bfrev_b32_e32 v76, 1
	s_mov_b32 s43, exec_lo
	s_delay_alu instid0(VALU_DEP_2)
	v_cmpx_ne_u16_e32 0x80, v28
	s_cbranch_execz .LBB311_264
; %bb.259:                              ;   in Loop: Header=BB311_12 Depth=1
	v_and_b32_e32 v78, 0x7f, v77
	v_mov_b32_e32 v76, 0x7f800001
	s_mov_b32 s44, exec_lo
	s_delay_alu instid0(VALU_DEP_2)
	v_cmpx_ne_u32_e32 0x7f, v78
	s_cbranch_execz .LBB311_263
; %bb.260:                              ;   in Loop: Header=BB311_12 Depth=1
	v_dual_lshrrev_b32 v76, 3, v78 :: v_dual_bitop2_b32 v28, 7, v77 bitop3:0x40
	s_mov_b32 s45, exec_lo
	v_cmpx_gt_u32_e32 8, v78
; %bb.261:                              ;   in Loop: Header=BB311_12 Depth=1
	s_delay_alu instid0(VALU_DEP_2) | instskip(NEXT) | instid1(VALU_DEP_1)
	v_clz_i32_u32_e32 v76, v28
	v_min_u32_e32 v76, 32, v76
	s_delay_alu instid0(VALU_DEP_1) | instskip(NEXT) | instid1(VALU_DEP_1)
	v_subrev_nc_u32_e32 v78, 28, v76
	v_lshlrev_b64_e32 v[78:79], v78, v[28:29]
	s_delay_alu instid0(VALU_DEP_1)
	v_dual_sub_nc_u32 v76, 29, v76 :: v_dual_bitop2_b32 v28, 7, v78 bitop3:0x40
; %bb.262:                              ;   in Loop: Header=BB311_12 Depth=1
	s_or_b32 exec_lo, exec_lo, s45
	s_delay_alu instid0(VALU_DEP_1) | instskip(NEXT) | instid1(VALU_DEP_2)
	v_dual_lshlrev_b32 v78, 24, v77 :: v_dual_lshlrev_b32 v28, 20, v28
	v_lshl_add_u32 v76, v76, 23, 0x3c000000
	s_delay_alu instid0(VALU_DEP_2) | instskip(NEXT) | instid1(VALU_DEP_1)
	v_and_b32_e32 v78, 0x80000000, v78
	v_or3_b32 v76, v28, v78, v76
.LBB311_263:                            ;   in Loop: Header=BB311_12 Depth=1
	s_or_b32 exec_lo, exec_lo, s44
.LBB311_264:                            ;   in Loop: Header=BB311_12 Depth=1
	s_delay_alu instid0(SALU_CYCLE_1)
	s_or_b32 exec_lo, exec_lo, s43
.LBB311_265:                            ;   in Loop: Header=BB311_12 Depth=1
	s_delay_alu instid0(SALU_CYCLE_1) | instskip(SKIP_2) | instid1(VALU_DEP_1)
	s_or_b32 exec_lo, exec_lo, s42
	v_lshrrev_b16 v28, 8, v77
	s_mov_b32 s42, exec_lo
	v_cmpx_ne_u16_e32 0, v28
	s_cbranch_execz .LBB311_273
; %bb.266:                              ;   in Loop: Header=BB311_12 Depth=1
	v_bfrev_b32_e32 v75, 1
	s_mov_b32 s43, exec_lo
	v_cmpx_ne_u16_e32 0x80, v28
	s_cbranch_execz .LBB311_272
; %bb.267:                              ;   in Loop: Header=BB311_12 Depth=1
	v_and_b32_e32 v28, 0xffff, v28
	v_mov_b32_e32 v75, 0x7f800001
	s_mov_b32 s44, exec_lo
	s_delay_alu instid0(VALU_DEP_2) | instskip(NEXT) | instid1(VALU_DEP_1)
	v_and_b32_e32 v78, 0x7f, v28
	v_cmpx_ne_u32_e32 0x7f, v78
	s_cbranch_execz .LBB311_271
; %bb.268:                              ;   in Loop: Header=BB311_12 Depth=1
	v_dual_lshrrev_b32 v75, 3, v78 :: v_dual_bitop2_b32 v28, 7, v28 bitop3:0x40
	s_mov_b32 s45, exec_lo
	v_cmpx_gt_u32_e32 8, v78
; %bb.269:                              ;   in Loop: Header=BB311_12 Depth=1
	s_delay_alu instid0(VALU_DEP_2) | instskip(NEXT) | instid1(VALU_DEP_1)
	v_clz_i32_u32_e32 v75, v28
	v_min_u32_e32 v75, 32, v75
	s_delay_alu instid0(VALU_DEP_1) | instskip(NEXT) | instid1(VALU_DEP_1)
	v_subrev_nc_u32_e32 v78, 28, v75
	v_lshlrev_b64_e32 v[78:79], v78, v[28:29]
	s_delay_alu instid0(VALU_DEP_1)
	v_dual_sub_nc_u32 v75, 29, v75 :: v_dual_bitop2_b32 v28, 7, v78 bitop3:0x40
; %bb.270:                              ;   in Loop: Header=BB311_12 Depth=1
	s_or_b32 exec_lo, exec_lo, s45
	s_delay_alu instid0(VALU_DEP_1) | instskip(NEXT) | instid1(VALU_DEP_2)
	v_dual_lshlrev_b32 v77, 16, v77 :: v_dual_lshlrev_b32 v28, 20, v28
	v_lshl_add_u32 v75, v75, 23, 0x3c000000
	s_delay_alu instid0(VALU_DEP_2) | instskip(NEXT) | instid1(VALU_DEP_1)
	v_and_b32_e32 v77, 0x80000000, v77
	v_or3_b32 v75, v28, v77, v75
.LBB311_271:                            ;   in Loop: Header=BB311_12 Depth=1
	s_or_b32 exec_lo, exec_lo, s44
.LBB311_272:                            ;   in Loop: Header=BB311_12 Depth=1
	s_delay_alu instid0(SALU_CYCLE_1)
	s_or_b32 exec_lo, exec_lo, s43
.LBB311_273:                            ;   in Loop: Header=BB311_12 Depth=1
	s_delay_alu instid0(SALU_CYCLE_1)
	s_or_b32 exec_lo, exec_lo, s42
	global_load_u16 v28, v[36:37], off offset:1024
	v_mov_b32_e32 v77, 0
	s_wait_loadcnt 0x0
	v_and_b32_e32 v78, 0xff, v28
	v_and_b32_e32 v79, 0xffff, v28
	s_delay_alu instid0(VALU_DEP_2)
	v_cmp_ne_u16_e64 s4, 0, v78
	v_mov_b32_e32 v78, 0
	s_and_saveexec_b32 s42, s4
	s_cbranch_execz .LBB311_281
; %bb.274:                              ;   in Loop: Header=BB311_12 Depth=1
	v_and_b32_e32 v28, 0xff, v79
	v_bfrev_b32_e32 v78, 1
	s_mov_b32 s43, exec_lo
	s_delay_alu instid0(VALU_DEP_2)
	v_cmpx_ne_u16_e32 0x80, v28
	s_cbranch_execz .LBB311_280
; %bb.275:                              ;   in Loop: Header=BB311_12 Depth=1
	v_and_b32_e32 v80, 0x7f, v79
	v_mov_b32_e32 v78, 0x7f800001
	s_mov_b32 s44, exec_lo
	s_delay_alu instid0(VALU_DEP_2)
	v_cmpx_ne_u32_e32 0x7f, v80
	s_cbranch_execz .LBB311_279
; %bb.276:                              ;   in Loop: Header=BB311_12 Depth=1
	v_dual_lshrrev_b32 v78, 3, v80 :: v_dual_bitop2_b32 v28, 7, v79 bitop3:0x40
	s_mov_b32 s45, exec_lo
	v_cmpx_gt_u32_e32 8, v80
; %bb.277:                              ;   in Loop: Header=BB311_12 Depth=1
	s_delay_alu instid0(VALU_DEP_2) | instskip(NEXT) | instid1(VALU_DEP_1)
	v_clz_i32_u32_e32 v78, v28
	v_min_u32_e32 v78, 32, v78
	s_delay_alu instid0(VALU_DEP_1) | instskip(NEXT) | instid1(VALU_DEP_1)
	v_subrev_nc_u32_e32 v80, 28, v78
	v_lshlrev_b64_e32 v[80:81], v80, v[28:29]
	s_delay_alu instid0(VALU_DEP_1)
	v_dual_sub_nc_u32 v78, 29, v78 :: v_dual_bitop2_b32 v28, 7, v80 bitop3:0x40
; %bb.278:                              ;   in Loop: Header=BB311_12 Depth=1
	s_or_b32 exec_lo, exec_lo, s45
	s_delay_alu instid0(VALU_DEP_1) | instskip(NEXT) | instid1(VALU_DEP_2)
	v_dual_lshlrev_b32 v80, 24, v79 :: v_dual_lshlrev_b32 v28, 20, v28
	v_lshl_add_u32 v78, v78, 23, 0x3c000000
	s_delay_alu instid0(VALU_DEP_2) | instskip(NEXT) | instid1(VALU_DEP_1)
	v_and_b32_e32 v80, 0x80000000, v80
	v_or3_b32 v78, v28, v80, v78
.LBB311_279:                            ;   in Loop: Header=BB311_12 Depth=1
	s_or_b32 exec_lo, exec_lo, s44
.LBB311_280:                            ;   in Loop: Header=BB311_12 Depth=1
	s_delay_alu instid0(SALU_CYCLE_1)
	s_or_b32 exec_lo, exec_lo, s43
.LBB311_281:                            ;   in Loop: Header=BB311_12 Depth=1
	s_delay_alu instid0(SALU_CYCLE_1) | instskip(SKIP_2) | instid1(VALU_DEP_1)
	s_or_b32 exec_lo, exec_lo, s42
	v_lshrrev_b16 v28, 8, v79
	s_mov_b32 s42, exec_lo
	v_cmpx_ne_u16_e32 0, v28
	s_cbranch_execz .LBB311_289
; %bb.282:                              ;   in Loop: Header=BB311_12 Depth=1
	v_bfrev_b32_e32 v77, 1
	s_mov_b32 s43, exec_lo
	v_cmpx_ne_u16_e32 0x80, v28
	s_cbranch_execz .LBB311_288
; %bb.283:                              ;   in Loop: Header=BB311_12 Depth=1
	v_and_b32_e32 v28, 0xffff, v28
	v_mov_b32_e32 v77, 0x7f800001
	s_mov_b32 s44, exec_lo
	s_delay_alu instid0(VALU_DEP_2) | instskip(NEXT) | instid1(VALU_DEP_1)
	v_and_b32_e32 v80, 0x7f, v28
	v_cmpx_ne_u32_e32 0x7f, v80
	s_cbranch_execz .LBB311_287
; %bb.284:                              ;   in Loop: Header=BB311_12 Depth=1
	v_and_b32_e32 v28, 7, v28
	v_lshrrev_b32_e32 v77, 3, v80
	s_mov_b32 s45, exec_lo
	v_cmpx_gt_u32_e32 8, v80
; %bb.285:                              ;   in Loop: Header=BB311_12 Depth=1
	s_delay_alu instid0(VALU_DEP_3) | instskip(NEXT) | instid1(VALU_DEP_1)
	v_clz_i32_u32_e32 v77, v28
	v_min_u32_e32 v77, 32, v77
	s_delay_alu instid0(VALU_DEP_1) | instskip(NEXT) | instid1(VALU_DEP_1)
	v_subrev_nc_u32_e32 v80, 28, v77
	v_lshlrev_b64_e32 v[80:81], v80, v[28:29]
	s_delay_alu instid0(VALU_DEP_1)
	v_dual_sub_nc_u32 v77, 29, v77 :: v_dual_bitop2_b32 v28, 7, v80 bitop3:0x40
; %bb.286:                              ;   in Loop: Header=BB311_12 Depth=1
	s_or_b32 exec_lo, exec_lo, s45
	s_delay_alu instid0(VALU_DEP_1) | instskip(NEXT) | instid1(VALU_DEP_2)
	v_dual_lshlrev_b32 v79, 16, v79 :: v_dual_lshlrev_b32 v28, 20, v28
	v_lshl_add_u32 v77, v77, 23, 0x3c000000
	s_delay_alu instid0(VALU_DEP_2) | instskip(NEXT) | instid1(VALU_DEP_1)
	v_and_b32_e32 v79, 0x80000000, v79
	v_or3_b32 v77, v28, v79, v77
.LBB311_287:                            ;   in Loop: Header=BB311_12 Depth=1
	s_or_b32 exec_lo, exec_lo, s44
.LBB311_288:                            ;   in Loop: Header=BB311_12 Depth=1
	s_delay_alu instid0(SALU_CYCLE_1)
	s_or_b32 exec_lo, exec_lo, s43
.LBB311_289:                            ;   in Loop: Header=BB311_12 Depth=1
	s_delay_alu instid0(SALU_CYCLE_1)
	s_or_b32 exec_lo, exec_lo, s42
	global_load_u16 v28, v[36:37], off offset:1032
	v_mov_b32_e32 v79, 0
	s_wait_loadcnt 0x0
	v_and_b32_e32 v80, 0xff, v28
	v_and_b32_e32 v81, 0xffff, v28
	s_delay_alu instid0(VALU_DEP_2)
	v_cmp_ne_u16_e64 s4, 0, v80
	v_mov_b32_e32 v80, 0
	s_and_saveexec_b32 s42, s4
	s_cbranch_execz .LBB311_297
; %bb.290:                              ;   in Loop: Header=BB311_12 Depth=1
	v_and_b32_e32 v28, 0xff, v81
	v_bfrev_b32_e32 v80, 1
	s_mov_b32 s43, exec_lo
	s_delay_alu instid0(VALU_DEP_2)
	v_cmpx_ne_u16_e32 0x80, v28
	s_cbranch_execz .LBB311_296
; %bb.291:                              ;   in Loop: Header=BB311_12 Depth=1
	v_and_b32_e32 v82, 0x7f, v81
	v_mov_b32_e32 v80, 0x7f800001
	s_mov_b32 s44, exec_lo
	s_delay_alu instid0(VALU_DEP_2)
	v_cmpx_ne_u32_e32 0x7f, v82
	s_cbranch_execz .LBB311_295
; %bb.292:                              ;   in Loop: Header=BB311_12 Depth=1
	v_dual_lshrrev_b32 v80, 3, v82 :: v_dual_bitop2_b32 v28, 7, v81 bitop3:0x40
	s_mov_b32 s45, exec_lo
	v_cmpx_gt_u32_e32 8, v82
; %bb.293:                              ;   in Loop: Header=BB311_12 Depth=1
	s_delay_alu instid0(VALU_DEP_2) | instskip(NEXT) | instid1(VALU_DEP_1)
	v_clz_i32_u32_e32 v80, v28
	v_min_u32_e32 v80, 32, v80
	s_delay_alu instid0(VALU_DEP_1) | instskip(NEXT) | instid1(VALU_DEP_1)
	v_subrev_nc_u32_e32 v82, 28, v80
	v_lshlrev_b64_e32 v[82:83], v82, v[28:29]
	s_delay_alu instid0(VALU_DEP_1)
	v_dual_sub_nc_u32 v80, 29, v80 :: v_dual_bitop2_b32 v28, 7, v82 bitop3:0x40
; %bb.294:                              ;   in Loop: Header=BB311_12 Depth=1
	s_or_b32 exec_lo, exec_lo, s45
	s_delay_alu instid0(VALU_DEP_1) | instskip(NEXT) | instid1(VALU_DEP_2)
	v_dual_lshlrev_b32 v82, 24, v81 :: v_dual_lshlrev_b32 v28, 20, v28
	v_lshl_add_u32 v80, v80, 23, 0x3c000000
	s_delay_alu instid0(VALU_DEP_2) | instskip(NEXT) | instid1(VALU_DEP_1)
	v_and_b32_e32 v82, 0x80000000, v82
	v_or3_b32 v80, v28, v82, v80
.LBB311_295:                            ;   in Loop: Header=BB311_12 Depth=1
	s_or_b32 exec_lo, exec_lo, s44
.LBB311_296:                            ;   in Loop: Header=BB311_12 Depth=1
	s_delay_alu instid0(SALU_CYCLE_1)
	s_or_b32 exec_lo, exec_lo, s43
.LBB311_297:                            ;   in Loop: Header=BB311_12 Depth=1
	s_delay_alu instid0(SALU_CYCLE_1) | instskip(SKIP_2) | instid1(VALU_DEP_1)
	s_or_b32 exec_lo, exec_lo, s42
	v_lshrrev_b16 v28, 8, v81
	s_mov_b32 s42, exec_lo
	v_cmpx_ne_u16_e32 0, v28
	s_cbranch_execz .LBB311_305
; %bb.298:                              ;   in Loop: Header=BB311_12 Depth=1
	v_bfrev_b32_e32 v79, 1
	s_mov_b32 s43, exec_lo
	v_cmpx_ne_u16_e32 0x80, v28
	s_cbranch_execz .LBB311_304
; %bb.299:                              ;   in Loop: Header=BB311_12 Depth=1
	v_and_b32_e32 v28, 0xffff, v28
	v_mov_b32_e32 v79, 0x7f800001
	s_mov_b32 s44, exec_lo
	s_delay_alu instid0(VALU_DEP_2) | instskip(NEXT) | instid1(VALU_DEP_1)
	v_and_b32_e32 v82, 0x7f, v28
	v_cmpx_ne_u32_e32 0x7f, v82
	s_cbranch_execz .LBB311_303
; %bb.300:                              ;   in Loop: Header=BB311_12 Depth=1
	v_dual_lshrrev_b32 v79, 3, v82 :: v_dual_bitop2_b32 v28, 7, v28 bitop3:0x40
	s_mov_b32 s45, exec_lo
	v_cmpx_gt_u32_e32 8, v82
; %bb.301:                              ;   in Loop: Header=BB311_12 Depth=1
	s_delay_alu instid0(VALU_DEP_2) | instskip(NEXT) | instid1(VALU_DEP_1)
	v_clz_i32_u32_e32 v79, v28
	v_min_u32_e32 v79, 32, v79
	s_delay_alu instid0(VALU_DEP_1) | instskip(NEXT) | instid1(VALU_DEP_1)
	v_subrev_nc_u32_e32 v82, 28, v79
	v_lshlrev_b64_e32 v[82:83], v82, v[28:29]
	s_delay_alu instid0(VALU_DEP_1)
	v_dual_sub_nc_u32 v79, 29, v79 :: v_dual_bitop2_b32 v28, 7, v82 bitop3:0x40
; %bb.302:                              ;   in Loop: Header=BB311_12 Depth=1
	s_or_b32 exec_lo, exec_lo, s45
	s_delay_alu instid0(VALU_DEP_1) | instskip(NEXT) | instid1(VALU_DEP_2)
	v_dual_lshlrev_b32 v81, 16, v81 :: v_dual_lshlrev_b32 v28, 20, v28
	v_lshl_add_u32 v79, v79, 23, 0x3c000000
	s_delay_alu instid0(VALU_DEP_2) | instskip(NEXT) | instid1(VALU_DEP_1)
	v_and_b32_e32 v81, 0x80000000, v81
	v_or3_b32 v79, v28, v81, v79
.LBB311_303:                            ;   in Loop: Header=BB311_12 Depth=1
	s_or_b32 exec_lo, exec_lo, s44
.LBB311_304:                            ;   in Loop: Header=BB311_12 Depth=1
	s_delay_alu instid0(SALU_CYCLE_1)
	s_or_b32 exec_lo, exec_lo, s43
.LBB311_305:                            ;   in Loop: Header=BB311_12 Depth=1
	s_delay_alu instid0(SALU_CYCLE_1)
	s_or_b32 exec_lo, exec_lo, s42
	global_load_u16 v28, v[36:37], off offset:1152
	v_mov_b32_e32 v81, 0
	s_wait_loadcnt 0x0
	v_and_b32_e32 v82, 0xff, v28
	v_and_b32_e32 v83, 0xffff, v28
	s_delay_alu instid0(VALU_DEP_2)
	v_cmp_ne_u16_e64 s4, 0, v82
	v_mov_b32_e32 v82, 0
	s_and_saveexec_b32 s42, s4
	s_cbranch_execz .LBB311_313
; %bb.306:                              ;   in Loop: Header=BB311_12 Depth=1
	v_and_b32_e32 v28, 0xff, v83
	v_bfrev_b32_e32 v82, 1
	s_mov_b32 s43, exec_lo
	s_delay_alu instid0(VALU_DEP_2)
	v_cmpx_ne_u16_e32 0x80, v28
	s_cbranch_execz .LBB311_312
; %bb.307:                              ;   in Loop: Header=BB311_12 Depth=1
	v_and_b32_e32 v84, 0x7f, v83
	v_mov_b32_e32 v82, 0x7f800001
	s_mov_b32 s44, exec_lo
	s_delay_alu instid0(VALU_DEP_2)
	v_cmpx_ne_u32_e32 0x7f, v84
	s_cbranch_execz .LBB311_311
; %bb.308:                              ;   in Loop: Header=BB311_12 Depth=1
	v_dual_lshrrev_b32 v82, 3, v84 :: v_dual_bitop2_b32 v28, 7, v83 bitop3:0x40
	s_mov_b32 s45, exec_lo
	v_cmpx_gt_u32_e32 8, v84
; %bb.309:                              ;   in Loop: Header=BB311_12 Depth=1
	s_delay_alu instid0(VALU_DEP_2) | instskip(NEXT) | instid1(VALU_DEP_1)
	v_clz_i32_u32_e32 v82, v28
	v_min_u32_e32 v82, 32, v82
	s_delay_alu instid0(VALU_DEP_1) | instskip(NEXT) | instid1(VALU_DEP_1)
	v_subrev_nc_u32_e32 v84, 28, v82
	v_lshlrev_b64_e32 v[84:85], v84, v[28:29]
	s_delay_alu instid0(VALU_DEP_1)
	v_dual_sub_nc_u32 v82, 29, v82 :: v_dual_bitop2_b32 v28, 7, v84 bitop3:0x40
; %bb.310:                              ;   in Loop: Header=BB311_12 Depth=1
	s_or_b32 exec_lo, exec_lo, s45
	s_delay_alu instid0(VALU_DEP_1) | instskip(NEXT) | instid1(VALU_DEP_2)
	v_dual_lshlrev_b32 v84, 24, v83 :: v_dual_lshlrev_b32 v28, 20, v28
	v_lshl_add_u32 v82, v82, 23, 0x3c000000
	s_delay_alu instid0(VALU_DEP_2) | instskip(NEXT) | instid1(VALU_DEP_1)
	v_and_b32_e32 v84, 0x80000000, v84
	v_or3_b32 v82, v28, v84, v82
.LBB311_311:                            ;   in Loop: Header=BB311_12 Depth=1
	s_or_b32 exec_lo, exec_lo, s44
.LBB311_312:                            ;   in Loop: Header=BB311_12 Depth=1
	s_delay_alu instid0(SALU_CYCLE_1)
	s_or_b32 exec_lo, exec_lo, s43
.LBB311_313:                            ;   in Loop: Header=BB311_12 Depth=1
	s_delay_alu instid0(SALU_CYCLE_1) | instskip(SKIP_2) | instid1(VALU_DEP_1)
	s_or_b32 exec_lo, exec_lo, s42
	v_lshrrev_b16 v28, 8, v83
	s_mov_b32 s42, exec_lo
	v_cmpx_ne_u16_e32 0, v28
	s_cbranch_execz .LBB311_321
; %bb.314:                              ;   in Loop: Header=BB311_12 Depth=1
	v_bfrev_b32_e32 v81, 1
	s_mov_b32 s43, exec_lo
	v_cmpx_ne_u16_e32 0x80, v28
	s_cbranch_execz .LBB311_320
; %bb.315:                              ;   in Loop: Header=BB311_12 Depth=1
	v_and_b32_e32 v28, 0xffff, v28
	v_mov_b32_e32 v81, 0x7f800001
	s_mov_b32 s44, exec_lo
	s_delay_alu instid0(VALU_DEP_2) | instskip(NEXT) | instid1(VALU_DEP_1)
	v_and_b32_e32 v84, 0x7f, v28
	v_cmpx_ne_u32_e32 0x7f, v84
	s_cbranch_execz .LBB311_319
; %bb.316:                              ;   in Loop: Header=BB311_12 Depth=1
	v_and_b32_e32 v28, 7, v28
	v_lshrrev_b32_e32 v81, 3, v84
	s_mov_b32 s45, exec_lo
	v_cmpx_gt_u32_e32 8, v84
; %bb.317:                              ;   in Loop: Header=BB311_12 Depth=1
	s_delay_alu instid0(VALU_DEP_3) | instskip(NEXT) | instid1(VALU_DEP_1)
	v_clz_i32_u32_e32 v81, v28
	v_min_u32_e32 v81, 32, v81
	s_delay_alu instid0(VALU_DEP_1) | instskip(NEXT) | instid1(VALU_DEP_1)
	v_subrev_nc_u32_e32 v84, 28, v81
	v_lshlrev_b64_e32 v[84:85], v84, v[28:29]
	s_delay_alu instid0(VALU_DEP_1)
	v_dual_sub_nc_u32 v81, 29, v81 :: v_dual_bitop2_b32 v28, 7, v84 bitop3:0x40
; %bb.318:                              ;   in Loop: Header=BB311_12 Depth=1
	s_or_b32 exec_lo, exec_lo, s45
	s_delay_alu instid0(VALU_DEP_1) | instskip(NEXT) | instid1(VALU_DEP_2)
	v_dual_lshlrev_b32 v83, 16, v83 :: v_dual_lshlrev_b32 v28, 20, v28
	v_lshl_add_u32 v81, v81, 23, 0x3c000000
	s_delay_alu instid0(VALU_DEP_2) | instskip(NEXT) | instid1(VALU_DEP_1)
	v_and_b32_e32 v83, 0x80000000, v83
	v_or3_b32 v81, v28, v83, v81
.LBB311_319:                            ;   in Loop: Header=BB311_12 Depth=1
	s_or_b32 exec_lo, exec_lo, s44
.LBB311_320:                            ;   in Loop: Header=BB311_12 Depth=1
	s_delay_alu instid0(SALU_CYCLE_1)
	s_or_b32 exec_lo, exec_lo, s43
.LBB311_321:                            ;   in Loop: Header=BB311_12 Depth=1
	s_delay_alu instid0(SALU_CYCLE_1)
	s_or_b32 exec_lo, exec_lo, s42
	global_load_u16 v28, v[36:37], off offset:1160
	v_mov_b32_e32 v83, 0
	s_wait_loadcnt 0x0
	v_and_b32_e32 v84, 0xff, v28
	v_and_b32_e32 v85, 0xffff, v28
	s_delay_alu instid0(VALU_DEP_2)
	v_cmp_ne_u16_e64 s4, 0, v84
	v_mov_b32_e32 v84, 0
	s_and_saveexec_b32 s42, s4
	s_cbranch_execz .LBB311_329
; %bb.322:                              ;   in Loop: Header=BB311_12 Depth=1
	v_and_b32_e32 v28, 0xff, v85
	v_bfrev_b32_e32 v84, 1
	s_mov_b32 s43, exec_lo
	s_delay_alu instid0(VALU_DEP_2)
	v_cmpx_ne_u16_e32 0x80, v28
	s_cbranch_execz .LBB311_328
; %bb.323:                              ;   in Loop: Header=BB311_12 Depth=1
	v_and_b32_e32 v86, 0x7f, v85
	v_mov_b32_e32 v84, 0x7f800001
	s_mov_b32 s44, exec_lo
	s_delay_alu instid0(VALU_DEP_2)
	v_cmpx_ne_u32_e32 0x7f, v86
	s_cbranch_execz .LBB311_327
; %bb.324:                              ;   in Loop: Header=BB311_12 Depth=1
	v_dual_lshrrev_b32 v84, 3, v86 :: v_dual_bitop2_b32 v28, 7, v85 bitop3:0x40
	s_mov_b32 s45, exec_lo
	v_cmpx_gt_u32_e32 8, v86
; %bb.325:                              ;   in Loop: Header=BB311_12 Depth=1
	s_delay_alu instid0(VALU_DEP_2) | instskip(NEXT) | instid1(VALU_DEP_1)
	v_clz_i32_u32_e32 v84, v28
	v_min_u32_e32 v84, 32, v84
	s_delay_alu instid0(VALU_DEP_1) | instskip(NEXT) | instid1(VALU_DEP_1)
	v_subrev_nc_u32_e32 v86, 28, v84
	v_lshlrev_b64_e32 v[86:87], v86, v[28:29]
	s_delay_alu instid0(VALU_DEP_1)
	v_dual_sub_nc_u32 v84, 29, v84 :: v_dual_bitop2_b32 v28, 7, v86 bitop3:0x40
; %bb.326:                              ;   in Loop: Header=BB311_12 Depth=1
	s_or_b32 exec_lo, exec_lo, s45
	s_delay_alu instid0(VALU_DEP_1) | instskip(NEXT) | instid1(VALU_DEP_2)
	v_dual_lshlrev_b32 v86, 24, v85 :: v_dual_lshlrev_b32 v28, 20, v28
	v_lshl_add_u32 v84, v84, 23, 0x3c000000
	s_delay_alu instid0(VALU_DEP_2) | instskip(NEXT) | instid1(VALU_DEP_1)
	v_and_b32_e32 v86, 0x80000000, v86
	v_or3_b32 v84, v28, v86, v84
.LBB311_327:                            ;   in Loop: Header=BB311_12 Depth=1
	s_or_b32 exec_lo, exec_lo, s44
.LBB311_328:                            ;   in Loop: Header=BB311_12 Depth=1
	s_delay_alu instid0(SALU_CYCLE_1)
	s_or_b32 exec_lo, exec_lo, s43
.LBB311_329:                            ;   in Loop: Header=BB311_12 Depth=1
	s_delay_alu instid0(SALU_CYCLE_1) | instskip(SKIP_2) | instid1(VALU_DEP_1)
	s_or_b32 exec_lo, exec_lo, s42
	v_lshrrev_b16 v28, 8, v85
	s_mov_b32 s42, exec_lo
	v_cmpx_ne_u16_e32 0, v28
	s_cbranch_execz .LBB311_337
; %bb.330:                              ;   in Loop: Header=BB311_12 Depth=1
	v_bfrev_b32_e32 v83, 1
	s_mov_b32 s43, exec_lo
	v_cmpx_ne_u16_e32 0x80, v28
	s_cbranch_execz .LBB311_336
; %bb.331:                              ;   in Loop: Header=BB311_12 Depth=1
	v_and_b32_e32 v28, 0xffff, v28
	v_mov_b32_e32 v83, 0x7f800001
	s_mov_b32 s44, exec_lo
	s_delay_alu instid0(VALU_DEP_2) | instskip(NEXT) | instid1(VALU_DEP_1)
	v_and_b32_e32 v86, 0x7f, v28
	v_cmpx_ne_u32_e32 0x7f, v86
	s_cbranch_execz .LBB311_335
; %bb.332:                              ;   in Loop: Header=BB311_12 Depth=1
	v_dual_lshrrev_b32 v83, 3, v86 :: v_dual_bitop2_b32 v28, 7, v28 bitop3:0x40
	s_mov_b32 s45, exec_lo
	v_cmpx_gt_u32_e32 8, v86
; %bb.333:                              ;   in Loop: Header=BB311_12 Depth=1
	s_delay_alu instid0(VALU_DEP_2) | instskip(NEXT) | instid1(VALU_DEP_1)
	v_clz_i32_u32_e32 v83, v28
	v_min_u32_e32 v83, 32, v83
	s_delay_alu instid0(VALU_DEP_1) | instskip(NEXT) | instid1(VALU_DEP_1)
	v_subrev_nc_u32_e32 v86, 28, v83
	v_lshlrev_b64_e32 v[86:87], v86, v[28:29]
	s_delay_alu instid0(VALU_DEP_1)
	v_dual_sub_nc_u32 v83, 29, v83 :: v_dual_bitop2_b32 v28, 7, v86 bitop3:0x40
; %bb.334:                              ;   in Loop: Header=BB311_12 Depth=1
	s_or_b32 exec_lo, exec_lo, s45
	s_delay_alu instid0(VALU_DEP_1) | instskip(NEXT) | instid1(VALU_DEP_2)
	v_dual_lshlrev_b32 v85, 16, v85 :: v_dual_lshlrev_b32 v28, 20, v28
	v_lshl_add_u32 v83, v83, 23, 0x3c000000
	s_delay_alu instid0(VALU_DEP_2) | instskip(NEXT) | instid1(VALU_DEP_1)
	v_and_b32_e32 v85, 0x80000000, v85
	v_or3_b32 v83, v28, v85, v83
.LBB311_335:                            ;   in Loop: Header=BB311_12 Depth=1
	s_or_b32 exec_lo, exec_lo, s44
.LBB311_336:                            ;   in Loop: Header=BB311_12 Depth=1
	s_delay_alu instid0(SALU_CYCLE_1)
	s_or_b32 exec_lo, exec_lo, s43
.LBB311_337:                            ;   in Loop: Header=BB311_12 Depth=1
	s_delay_alu instid0(SALU_CYCLE_1)
	s_or_b32 exec_lo, exec_lo, s42
	global_load_u16 v28, v[36:37], off offset:1280
	v_mov_b32_e32 v85, 0
	s_wait_loadcnt 0x0
	v_and_b32_e32 v86, 0xff, v28
	v_and_b32_e32 v87, 0xffff, v28
	s_delay_alu instid0(VALU_DEP_2)
	v_cmp_ne_u16_e64 s4, 0, v86
	v_mov_b32_e32 v86, 0
	s_and_saveexec_b32 s42, s4
	s_cbranch_execz .LBB311_345
; %bb.338:                              ;   in Loop: Header=BB311_12 Depth=1
	v_and_b32_e32 v28, 0xff, v87
	v_bfrev_b32_e32 v86, 1
	s_mov_b32 s43, exec_lo
	s_delay_alu instid0(VALU_DEP_2)
	v_cmpx_ne_u16_e32 0x80, v28
	s_cbranch_execz .LBB311_344
; %bb.339:                              ;   in Loop: Header=BB311_12 Depth=1
	v_and_b32_e32 v88, 0x7f, v87
	v_mov_b32_e32 v86, 0x7f800001
	s_mov_b32 s44, exec_lo
	s_delay_alu instid0(VALU_DEP_2)
	v_cmpx_ne_u32_e32 0x7f, v88
	s_cbranch_execz .LBB311_343
; %bb.340:                              ;   in Loop: Header=BB311_12 Depth=1
	v_dual_lshrrev_b32 v86, 3, v88 :: v_dual_bitop2_b32 v28, 7, v87 bitop3:0x40
	s_mov_b32 s45, exec_lo
	v_cmpx_gt_u32_e32 8, v88
; %bb.341:                              ;   in Loop: Header=BB311_12 Depth=1
	s_delay_alu instid0(VALU_DEP_2) | instskip(NEXT) | instid1(VALU_DEP_1)
	v_clz_i32_u32_e32 v86, v28
	v_min_u32_e32 v86, 32, v86
	s_delay_alu instid0(VALU_DEP_1) | instskip(NEXT) | instid1(VALU_DEP_1)
	v_subrev_nc_u32_e32 v88, 28, v86
	v_lshlrev_b64_e32 v[88:89], v88, v[28:29]
	s_delay_alu instid0(VALU_DEP_1)
	v_dual_sub_nc_u32 v86, 29, v86 :: v_dual_bitop2_b32 v28, 7, v88 bitop3:0x40
; %bb.342:                              ;   in Loop: Header=BB311_12 Depth=1
	s_or_b32 exec_lo, exec_lo, s45
	s_delay_alu instid0(VALU_DEP_1) | instskip(NEXT) | instid1(VALU_DEP_2)
	v_dual_lshlrev_b32 v88, 24, v87 :: v_dual_lshlrev_b32 v28, 20, v28
	v_lshl_add_u32 v86, v86, 23, 0x3c000000
	s_delay_alu instid0(VALU_DEP_2) | instskip(NEXT) | instid1(VALU_DEP_1)
	v_and_b32_e32 v88, 0x80000000, v88
	v_or3_b32 v86, v28, v88, v86
.LBB311_343:                            ;   in Loop: Header=BB311_12 Depth=1
	s_or_b32 exec_lo, exec_lo, s44
.LBB311_344:                            ;   in Loop: Header=BB311_12 Depth=1
	s_delay_alu instid0(SALU_CYCLE_1)
	s_or_b32 exec_lo, exec_lo, s43
.LBB311_345:                            ;   in Loop: Header=BB311_12 Depth=1
	s_delay_alu instid0(SALU_CYCLE_1) | instskip(SKIP_2) | instid1(VALU_DEP_1)
	s_or_b32 exec_lo, exec_lo, s42
	v_lshrrev_b16 v28, 8, v87
	s_mov_b32 s42, exec_lo
	v_cmpx_ne_u16_e32 0, v28
	s_cbranch_execz .LBB311_353
; %bb.346:                              ;   in Loop: Header=BB311_12 Depth=1
	v_bfrev_b32_e32 v85, 1
	s_mov_b32 s43, exec_lo
	v_cmpx_ne_u16_e32 0x80, v28
	s_cbranch_execz .LBB311_352
; %bb.347:                              ;   in Loop: Header=BB311_12 Depth=1
	v_and_b32_e32 v28, 0xffff, v28
	v_mov_b32_e32 v85, 0x7f800001
	s_mov_b32 s44, exec_lo
	s_delay_alu instid0(VALU_DEP_2) | instskip(NEXT) | instid1(VALU_DEP_1)
	v_and_b32_e32 v88, 0x7f, v28
	v_cmpx_ne_u32_e32 0x7f, v88
	s_cbranch_execz .LBB311_351
; %bb.348:                              ;   in Loop: Header=BB311_12 Depth=1
	v_and_b32_e32 v28, 7, v28
	v_lshrrev_b32_e32 v85, 3, v88
	s_mov_b32 s45, exec_lo
	v_cmpx_gt_u32_e32 8, v88
; %bb.349:                              ;   in Loop: Header=BB311_12 Depth=1
	s_delay_alu instid0(VALU_DEP_3) | instskip(NEXT) | instid1(VALU_DEP_1)
	v_clz_i32_u32_e32 v85, v28
	v_min_u32_e32 v85, 32, v85
	s_delay_alu instid0(VALU_DEP_1) | instskip(NEXT) | instid1(VALU_DEP_1)
	v_subrev_nc_u32_e32 v88, 28, v85
	v_lshlrev_b64_e32 v[88:89], v88, v[28:29]
	s_delay_alu instid0(VALU_DEP_1)
	v_dual_sub_nc_u32 v85, 29, v85 :: v_dual_bitop2_b32 v28, 7, v88 bitop3:0x40
; %bb.350:                              ;   in Loop: Header=BB311_12 Depth=1
	s_or_b32 exec_lo, exec_lo, s45
	s_delay_alu instid0(VALU_DEP_1) | instskip(NEXT) | instid1(VALU_DEP_2)
	v_dual_lshlrev_b32 v87, 16, v87 :: v_dual_lshlrev_b32 v28, 20, v28
	v_lshl_add_u32 v85, v85, 23, 0x3c000000
	s_delay_alu instid0(VALU_DEP_2) | instskip(NEXT) | instid1(VALU_DEP_1)
	v_and_b32_e32 v87, 0x80000000, v87
	v_or3_b32 v85, v28, v87, v85
.LBB311_351:                            ;   in Loop: Header=BB311_12 Depth=1
	s_or_b32 exec_lo, exec_lo, s44
.LBB311_352:                            ;   in Loop: Header=BB311_12 Depth=1
	s_delay_alu instid0(SALU_CYCLE_1)
	s_or_b32 exec_lo, exec_lo, s43
.LBB311_353:                            ;   in Loop: Header=BB311_12 Depth=1
	s_delay_alu instid0(SALU_CYCLE_1)
	s_or_b32 exec_lo, exec_lo, s42
	global_load_u16 v28, v[36:37], off offset:1288
	v_mov_b32_e32 v87, 0
	s_wait_loadcnt 0x0
	v_and_b32_e32 v88, 0xff, v28
	v_and_b32_e32 v89, 0xffff, v28
	s_delay_alu instid0(VALU_DEP_2)
	v_cmp_ne_u16_e64 s4, 0, v88
	v_mov_b32_e32 v88, 0
	s_and_saveexec_b32 s42, s4
	s_cbranch_execz .LBB311_361
; %bb.354:                              ;   in Loop: Header=BB311_12 Depth=1
	v_and_b32_e32 v28, 0xff, v89
	v_bfrev_b32_e32 v88, 1
	s_mov_b32 s43, exec_lo
	s_delay_alu instid0(VALU_DEP_2)
	v_cmpx_ne_u16_e32 0x80, v28
	s_cbranch_execz .LBB311_360
; %bb.355:                              ;   in Loop: Header=BB311_12 Depth=1
	v_and_b32_e32 v90, 0x7f, v89
	v_mov_b32_e32 v88, 0x7f800001
	s_mov_b32 s44, exec_lo
	s_delay_alu instid0(VALU_DEP_2)
	v_cmpx_ne_u32_e32 0x7f, v90
	s_cbranch_execz .LBB311_359
; %bb.356:                              ;   in Loop: Header=BB311_12 Depth=1
	v_dual_lshrrev_b32 v88, 3, v90 :: v_dual_bitop2_b32 v28, 7, v89 bitop3:0x40
	s_mov_b32 s45, exec_lo
	v_cmpx_gt_u32_e32 8, v90
; %bb.357:                              ;   in Loop: Header=BB311_12 Depth=1
	s_delay_alu instid0(VALU_DEP_2) | instskip(NEXT) | instid1(VALU_DEP_1)
	v_clz_i32_u32_e32 v88, v28
	v_min_u32_e32 v88, 32, v88
	s_delay_alu instid0(VALU_DEP_1) | instskip(NEXT) | instid1(VALU_DEP_1)
	v_subrev_nc_u32_e32 v90, 28, v88
	v_lshlrev_b64_e32 v[90:91], v90, v[28:29]
	s_delay_alu instid0(VALU_DEP_1)
	v_dual_sub_nc_u32 v88, 29, v88 :: v_dual_bitop2_b32 v28, 7, v90 bitop3:0x40
; %bb.358:                              ;   in Loop: Header=BB311_12 Depth=1
	s_or_b32 exec_lo, exec_lo, s45
	s_delay_alu instid0(VALU_DEP_1) | instskip(NEXT) | instid1(VALU_DEP_2)
	v_dual_lshlrev_b32 v90, 24, v89 :: v_dual_lshlrev_b32 v28, 20, v28
	v_lshl_add_u32 v88, v88, 23, 0x3c000000
	s_delay_alu instid0(VALU_DEP_2) | instskip(NEXT) | instid1(VALU_DEP_1)
	v_and_b32_e32 v90, 0x80000000, v90
	v_or3_b32 v88, v28, v90, v88
.LBB311_359:                            ;   in Loop: Header=BB311_12 Depth=1
	s_or_b32 exec_lo, exec_lo, s44
.LBB311_360:                            ;   in Loop: Header=BB311_12 Depth=1
	s_delay_alu instid0(SALU_CYCLE_1)
	s_or_b32 exec_lo, exec_lo, s43
.LBB311_361:                            ;   in Loop: Header=BB311_12 Depth=1
	s_delay_alu instid0(SALU_CYCLE_1) | instskip(SKIP_2) | instid1(VALU_DEP_1)
	s_or_b32 exec_lo, exec_lo, s42
	v_lshrrev_b16 v28, 8, v89
	s_mov_b32 s42, exec_lo
	v_cmpx_ne_u16_e32 0, v28
	s_cbranch_execz .LBB311_369
; %bb.362:                              ;   in Loop: Header=BB311_12 Depth=1
	v_bfrev_b32_e32 v87, 1
	s_mov_b32 s43, exec_lo
	v_cmpx_ne_u16_e32 0x80, v28
	s_cbranch_execz .LBB311_368
; %bb.363:                              ;   in Loop: Header=BB311_12 Depth=1
	v_and_b32_e32 v28, 0xffff, v28
	v_mov_b32_e32 v87, 0x7f800001
	s_mov_b32 s44, exec_lo
	s_delay_alu instid0(VALU_DEP_2) | instskip(NEXT) | instid1(VALU_DEP_1)
	v_and_b32_e32 v90, 0x7f, v28
	v_cmpx_ne_u32_e32 0x7f, v90
	s_cbranch_execz .LBB311_367
; %bb.364:                              ;   in Loop: Header=BB311_12 Depth=1
	v_dual_lshrrev_b32 v87, 3, v90 :: v_dual_bitop2_b32 v28, 7, v28 bitop3:0x40
	s_mov_b32 s45, exec_lo
	v_cmpx_gt_u32_e32 8, v90
; %bb.365:                              ;   in Loop: Header=BB311_12 Depth=1
	s_delay_alu instid0(VALU_DEP_2) | instskip(NEXT) | instid1(VALU_DEP_1)
	v_clz_i32_u32_e32 v87, v28
	v_min_u32_e32 v87, 32, v87
	s_delay_alu instid0(VALU_DEP_1) | instskip(NEXT) | instid1(VALU_DEP_1)
	v_subrev_nc_u32_e32 v90, 28, v87
	v_lshlrev_b64_e32 v[90:91], v90, v[28:29]
	s_delay_alu instid0(VALU_DEP_1)
	v_dual_sub_nc_u32 v87, 29, v87 :: v_dual_bitop2_b32 v28, 7, v90 bitop3:0x40
; %bb.366:                              ;   in Loop: Header=BB311_12 Depth=1
	s_or_b32 exec_lo, exec_lo, s45
	s_delay_alu instid0(VALU_DEP_1) | instskip(NEXT) | instid1(VALU_DEP_2)
	v_dual_lshlrev_b32 v89, 16, v89 :: v_dual_lshlrev_b32 v28, 20, v28
	v_lshl_add_u32 v87, v87, 23, 0x3c000000
	s_delay_alu instid0(VALU_DEP_2) | instskip(NEXT) | instid1(VALU_DEP_1)
	v_and_b32_e32 v89, 0x80000000, v89
	v_or3_b32 v87, v28, v89, v87
.LBB311_367:                            ;   in Loop: Header=BB311_12 Depth=1
	s_or_b32 exec_lo, exec_lo, s44
.LBB311_368:                            ;   in Loop: Header=BB311_12 Depth=1
	s_delay_alu instid0(SALU_CYCLE_1)
	s_or_b32 exec_lo, exec_lo, s43
.LBB311_369:                            ;   in Loop: Header=BB311_12 Depth=1
	s_delay_alu instid0(SALU_CYCLE_1)
	s_or_b32 exec_lo, exec_lo, s42
	global_load_u16 v28, v[36:37], off offset:1408
	v_mov_b32_e32 v89, 0
	s_wait_loadcnt 0x0
	v_and_b32_e32 v90, 0xff, v28
	v_and_b32_e32 v91, 0xffff, v28
	s_delay_alu instid0(VALU_DEP_2)
	v_cmp_ne_u16_e64 s4, 0, v90
	v_mov_b32_e32 v90, 0
	s_and_saveexec_b32 s42, s4
	s_cbranch_execz .LBB311_377
; %bb.370:                              ;   in Loop: Header=BB311_12 Depth=1
	v_and_b32_e32 v28, 0xff, v91
	v_bfrev_b32_e32 v90, 1
	s_mov_b32 s43, exec_lo
	s_delay_alu instid0(VALU_DEP_2)
	v_cmpx_ne_u16_e32 0x80, v28
	s_cbranch_execz .LBB311_376
; %bb.371:                              ;   in Loop: Header=BB311_12 Depth=1
	v_and_b32_e32 v92, 0x7f, v91
	v_mov_b32_e32 v90, 0x7f800001
	s_mov_b32 s44, exec_lo
	s_delay_alu instid0(VALU_DEP_2)
	v_cmpx_ne_u32_e32 0x7f, v92
	s_cbranch_execz .LBB311_375
; %bb.372:                              ;   in Loop: Header=BB311_12 Depth=1
	v_dual_lshrrev_b32 v90, 3, v92 :: v_dual_bitop2_b32 v28, 7, v91 bitop3:0x40
	s_mov_b32 s45, exec_lo
	v_cmpx_gt_u32_e32 8, v92
; %bb.373:                              ;   in Loop: Header=BB311_12 Depth=1
	s_delay_alu instid0(VALU_DEP_2) | instskip(NEXT) | instid1(VALU_DEP_1)
	v_clz_i32_u32_e32 v90, v28
	v_min_u32_e32 v90, 32, v90
	s_delay_alu instid0(VALU_DEP_1) | instskip(NEXT) | instid1(VALU_DEP_1)
	v_subrev_nc_u32_e32 v92, 28, v90
	v_lshlrev_b64_e32 v[92:93], v92, v[28:29]
	s_delay_alu instid0(VALU_DEP_1)
	v_dual_sub_nc_u32 v90, 29, v90 :: v_dual_bitop2_b32 v28, 7, v92 bitop3:0x40
; %bb.374:                              ;   in Loop: Header=BB311_12 Depth=1
	s_or_b32 exec_lo, exec_lo, s45
	s_delay_alu instid0(VALU_DEP_1) | instskip(NEXT) | instid1(VALU_DEP_2)
	v_dual_lshlrev_b32 v92, 24, v91 :: v_dual_lshlrev_b32 v28, 20, v28
	v_lshl_add_u32 v90, v90, 23, 0x3c000000
	s_delay_alu instid0(VALU_DEP_2) | instskip(NEXT) | instid1(VALU_DEP_1)
	v_and_b32_e32 v92, 0x80000000, v92
	v_or3_b32 v90, v28, v92, v90
.LBB311_375:                            ;   in Loop: Header=BB311_12 Depth=1
	s_or_b32 exec_lo, exec_lo, s44
.LBB311_376:                            ;   in Loop: Header=BB311_12 Depth=1
	s_delay_alu instid0(SALU_CYCLE_1)
	s_or_b32 exec_lo, exec_lo, s43
.LBB311_377:                            ;   in Loop: Header=BB311_12 Depth=1
	s_delay_alu instid0(SALU_CYCLE_1) | instskip(SKIP_2) | instid1(VALU_DEP_1)
	s_or_b32 exec_lo, exec_lo, s42
	v_lshrrev_b16 v28, 8, v91
	s_mov_b32 s42, exec_lo
	v_cmpx_ne_u16_e32 0, v28
	s_cbranch_execz .LBB311_385
; %bb.378:                              ;   in Loop: Header=BB311_12 Depth=1
	v_bfrev_b32_e32 v89, 1
	s_mov_b32 s43, exec_lo
	v_cmpx_ne_u16_e32 0x80, v28
	s_cbranch_execz .LBB311_384
; %bb.379:                              ;   in Loop: Header=BB311_12 Depth=1
	v_and_b32_e32 v28, 0xffff, v28
	v_mov_b32_e32 v89, 0x7f800001
	s_mov_b32 s44, exec_lo
	s_delay_alu instid0(VALU_DEP_2) | instskip(NEXT) | instid1(VALU_DEP_1)
	v_and_b32_e32 v92, 0x7f, v28
	v_cmpx_ne_u32_e32 0x7f, v92
	s_cbranch_execz .LBB311_383
; %bb.380:                              ;   in Loop: Header=BB311_12 Depth=1
	v_and_b32_e32 v28, 7, v28
	v_lshrrev_b32_e32 v89, 3, v92
	s_mov_b32 s45, exec_lo
	v_cmpx_gt_u32_e32 8, v92
; %bb.381:                              ;   in Loop: Header=BB311_12 Depth=1
	s_delay_alu instid0(VALU_DEP_3) | instskip(NEXT) | instid1(VALU_DEP_1)
	v_clz_i32_u32_e32 v89, v28
	v_min_u32_e32 v89, 32, v89
	s_delay_alu instid0(VALU_DEP_1) | instskip(NEXT) | instid1(VALU_DEP_1)
	v_subrev_nc_u32_e32 v92, 28, v89
	v_lshlrev_b64_e32 v[92:93], v92, v[28:29]
	s_delay_alu instid0(VALU_DEP_1)
	v_dual_sub_nc_u32 v89, 29, v89 :: v_dual_bitop2_b32 v28, 7, v92 bitop3:0x40
; %bb.382:                              ;   in Loop: Header=BB311_12 Depth=1
	s_or_b32 exec_lo, exec_lo, s45
	s_delay_alu instid0(VALU_DEP_1) | instskip(NEXT) | instid1(VALU_DEP_2)
	v_dual_lshlrev_b32 v91, 16, v91 :: v_dual_lshlrev_b32 v28, 20, v28
	v_lshl_add_u32 v89, v89, 23, 0x3c000000
	s_delay_alu instid0(VALU_DEP_2) | instskip(NEXT) | instid1(VALU_DEP_1)
	v_and_b32_e32 v91, 0x80000000, v91
	v_or3_b32 v89, v28, v91, v89
.LBB311_383:                            ;   in Loop: Header=BB311_12 Depth=1
	s_or_b32 exec_lo, exec_lo, s44
.LBB311_384:                            ;   in Loop: Header=BB311_12 Depth=1
	s_delay_alu instid0(SALU_CYCLE_1)
	s_or_b32 exec_lo, exec_lo, s43
.LBB311_385:                            ;   in Loop: Header=BB311_12 Depth=1
	s_delay_alu instid0(SALU_CYCLE_1)
	s_or_b32 exec_lo, exec_lo, s42
	global_load_u16 v28, v[36:37], off offset:1416
	s_wait_xcnt 0x0
	v_mov_b32_e32 v36, 0
	s_wait_loadcnt 0x0
	v_and_b32_e32 v37, 0xff, v28
	v_and_b32_e32 v91, 0xffff, v28
	s_delay_alu instid0(VALU_DEP_2)
	v_cmp_ne_u16_e64 s4, 0, v37
	v_mov_b32_e32 v37, 0
	s_and_saveexec_b32 s42, s4
	s_cbranch_execz .LBB311_393
; %bb.386:                              ;   in Loop: Header=BB311_12 Depth=1
	v_and_b32_e32 v28, 0xff, v91
	v_bfrev_b32_e32 v37, 1
	s_mov_b32 s43, exec_lo
	s_delay_alu instid0(VALU_DEP_2)
	v_cmpx_ne_u16_e32 0x80, v28
	s_cbranch_execz .LBB311_392
; %bb.387:                              ;   in Loop: Header=BB311_12 Depth=1
	v_and_b32_e32 v92, 0x7f, v91
	v_mov_b32_e32 v37, 0x7f800001
	s_mov_b32 s44, exec_lo
	s_delay_alu instid0(VALU_DEP_2)
	v_cmpx_ne_u32_e32 0x7f, v92
	s_cbranch_execz .LBB311_391
; %bb.388:                              ;   in Loop: Header=BB311_12 Depth=1
	v_dual_lshrrev_b32 v37, 3, v92 :: v_dual_bitop2_b32 v28, 7, v91 bitop3:0x40
	s_mov_b32 s45, exec_lo
	v_cmpx_gt_u32_e32 8, v92
; %bb.389:                              ;   in Loop: Header=BB311_12 Depth=1
	s_delay_alu instid0(VALU_DEP_2) | instskip(NEXT) | instid1(VALU_DEP_1)
	v_clz_i32_u32_e32 v37, v28
	v_min_u32_e32 v37, 32, v37
	s_delay_alu instid0(VALU_DEP_1) | instskip(NEXT) | instid1(VALU_DEP_1)
	v_subrev_nc_u32_e32 v92, 28, v37
	v_lshlrev_b64_e32 v[92:93], v92, v[28:29]
	s_delay_alu instid0(VALU_DEP_1)
	v_dual_sub_nc_u32 v37, 29, v37 :: v_dual_bitop2_b32 v28, 7, v92 bitop3:0x40
; %bb.390:                              ;   in Loop: Header=BB311_12 Depth=1
	s_or_b32 exec_lo, exec_lo, s45
	s_delay_alu instid0(VALU_DEP_1) | instskip(NEXT) | instid1(VALU_DEP_2)
	v_dual_lshlrev_b32 v92, 24, v91 :: v_dual_lshlrev_b32 v28, 20, v28
	v_lshl_add_u32 v37, v37, 23, 0x3c000000
	s_delay_alu instid0(VALU_DEP_2) | instskip(NEXT) | instid1(VALU_DEP_1)
	v_and_b32_e32 v92, 0x80000000, v92
	v_or3_b32 v37, v28, v92, v37
.LBB311_391:                            ;   in Loop: Header=BB311_12 Depth=1
	s_or_b32 exec_lo, exec_lo, s44
.LBB311_392:                            ;   in Loop: Header=BB311_12 Depth=1
	s_delay_alu instid0(SALU_CYCLE_1)
	s_or_b32 exec_lo, exec_lo, s43
.LBB311_393:                            ;   in Loop: Header=BB311_12 Depth=1
	s_delay_alu instid0(SALU_CYCLE_1) | instskip(SKIP_2) | instid1(VALU_DEP_1)
	s_or_b32 exec_lo, exec_lo, s42
	v_lshrrev_b16 v28, 8, v91
	s_mov_b32 s42, exec_lo
	v_cmpx_ne_u16_e32 0, v28
	s_cbranch_execz .LBB311_401
; %bb.394:                              ;   in Loop: Header=BB311_12 Depth=1
	v_bfrev_b32_e32 v36, 1
	s_mov_b32 s43, exec_lo
	v_cmpx_ne_u16_e32 0x80, v28
	s_cbranch_execz .LBB311_400
; %bb.395:                              ;   in Loop: Header=BB311_12 Depth=1
	v_and_b32_e32 v28, 0xffff, v28
	v_mov_b32_e32 v36, 0x7f800001
	s_mov_b32 s44, exec_lo
	s_delay_alu instid0(VALU_DEP_2) | instskip(NEXT) | instid1(VALU_DEP_1)
	v_and_b32_e32 v92, 0x7f, v28
	v_cmpx_ne_u32_e32 0x7f, v92
	s_cbranch_execz .LBB311_399
; %bb.396:                              ;   in Loop: Header=BB311_12 Depth=1
	v_and_b32_e32 v28, 7, v28
	v_lshrrev_b32_e32 v36, 3, v92
	s_mov_b32 s45, exec_lo
	v_cmpx_gt_u32_e32 8, v92
; %bb.397:                              ;   in Loop: Header=BB311_12 Depth=1
	s_delay_alu instid0(VALU_DEP_3) | instskip(NEXT) | instid1(VALU_DEP_1)
	v_clz_i32_u32_e32 v36, v28
	v_min_u32_e32 v36, 32, v36
	s_delay_alu instid0(VALU_DEP_1) | instskip(SKIP_1) | instid1(VALU_DEP_2)
	v_subrev_nc_u32_e32 v92, 28, v36
	v_sub_nc_u32_e32 v36, 29, v36
	v_lshlrev_b64_e32 v[92:93], v92, v[28:29]
	s_delay_alu instid0(VALU_DEP_1)
	v_and_b32_e32 v28, 7, v92
; %bb.398:                              ;   in Loop: Header=BB311_12 Depth=1
	s_or_b32 exec_lo, exec_lo, s45
	s_delay_alu instid0(VALU_DEP_1) | instskip(SKIP_1) | instid1(VALU_DEP_2)
	v_dual_lshlrev_b32 v91, 16, v91 :: v_dual_lshlrev_b32 v28, 20, v28
	v_lshl_add_u32 v36, v36, 23, 0x3c000000
	v_and_b32_e32 v91, 0x80000000, v91
	s_delay_alu instid0(VALU_DEP_1)
	v_or3_b32 v36, v28, v91, v36
.LBB311_399:                            ;   in Loop: Header=BB311_12 Depth=1
	s_or_b32 exec_lo, exec_lo, s44
.LBB311_400:                            ;   in Loop: Header=BB311_12 Depth=1
	s_delay_alu instid0(SALU_CYCLE_1)
	s_or_b32 exec_lo, exec_lo, s43
.LBB311_401:                            ;   in Loop: Header=BB311_12 Depth=1
	s_delay_alu instid0(SALU_CYCLE_1)
	s_or_b32 exec_lo, exec_lo, s42
	s_wait_kmcnt 0x0
	v_fma_mixlo_bf16 v28, s41, v48, 0
	v_fma_mixlo_bf16 v47, s41, v47, 0
	s_wait_dscnt 0x5
	v_lshlrev_b32_e32 v48, 16, v23
	v_and_b32_e32 v23, 0xffff0000, v23
	v_fma_mixlo_bf16 v31, s41, v31, 0
	v_dual_lshlrev_b32 v28, 16, v28 :: v_dual_lshlrev_b32 v47, 16, v47
	v_fma_mixlo_bf16 v46, s41, v46, 0
	s_delay_alu instid0(VALU_DEP_2) | instskip(SKIP_2) | instid1(VALU_DEP_3)
	v_dual_mul_f32 v28, v48, v28 :: v_dual_mul_f32 v23, v23, v47
	v_fma_mixlo_bf16 v47, s41, v49, 0
	v_fma_mixlo_bf16 v48, s41, v50, 0
	v_fma_mix_f32_bf16 v28, v22, v46, v28 op_sel_hi:[1,1,0]
	s_delay_alu instid0(VALU_DEP_4)
	v_fma_mix_f32_bf16 v22, v22, v31, v23 op_sel:[1,0,0] op_sel_hi:[1,1,0]
	v_fma_mixlo_bf16 v23, s41, v51, 0
	v_fma_mixlo_bf16 v31, s41, v52, 0
	;; [unrolled: 1-line block ×3, first 2 shown]
	v_fma_mix_f32_bf16 v28, v24, v48, v28 op_sel_hi:[1,1,0]
	v_fma_mix_f32_bf16 v22, v24, v47, v22 op_sel:[1,0,0] op_sel_hi:[1,1,0]
	v_fma_mixlo_bf16 v24, s41, v53, 0
	s_delay_alu instid0(VALU_DEP_3) | instskip(NEXT) | instid1(VALU_DEP_3)
	v_fma_mix_f32_bf16 v28, v25, v31, v28 op_sel_hi:[1,1,0]
	v_fma_mix_f32_bf16 v22, v25, v23, v22 op_sel:[1,0,0] op_sel_hi:[1,1,0]
	v_fma_mixlo_bf16 v23, s41, v55, 0
	v_fma_mixlo_bf16 v25, s41, v56, 0
	s_wait_dscnt 0x4
	v_fma_mix_f32_bf16 v28, v18, v46, v28 op_sel_hi:[1,1,0]
	v_fma_mix_f32_bf16 v18, v18, v24, v22 op_sel:[1,0,0] op_sel_hi:[1,1,0]
	v_fma_mixlo_bf16 v22, s41, v57, 0
	v_fma_mixlo_bf16 v24, s41, v58, 0
	s_delay_alu instid0(VALU_DEP_4) | instskip(NEXT) | instid1(VALU_DEP_4)
	v_fma_mix_f32_bf16 v25, v19, v25, v28 op_sel_hi:[1,1,0]
	v_fma_mix_f32_bf16 v18, v19, v23, v18 op_sel:[1,0,0] op_sel_hi:[1,1,0]
	v_fma_mixlo_bf16 v19, s41, v59, 0
	v_fma_mixlo_bf16 v23, s41, v60, 0
	s_delay_alu instid0(VALU_DEP_4) | instskip(NEXT) | instid1(VALU_DEP_4)
	v_fma_mix_f32_bf16 v24, v20, v24, v25 op_sel_hi:[1,1,0]
	v_fma_mix_f32_bf16 v18, v20, v22, v18 op_sel:[1,0,0] op_sel_hi:[1,1,0]
	v_fma_mixlo_bf16 v20, s41, v61, 0
	v_fma_mixlo_bf16 v22, s41, v62, 0
	s_delay_alu instid0(VALU_DEP_4) | instskip(NEXT) | instid1(VALU_DEP_4)
	v_fma_mix_f32_bf16 v23, v21, v23, v24 op_sel_hi:[1,1,0]
	v_fma_mix_f32_bf16 v18, v21, v19, v18 op_sel:[1,0,0] op_sel_hi:[1,1,0]
	v_fma_mixlo_bf16 v19, s41, v63, 0
	v_fma_mixlo_bf16 v21, s41, v64, 0
	s_wait_dscnt 0x3
	v_fma_mix_f32_bf16 v22, v14, v22, v23 op_sel_hi:[1,1,0]
	v_fma_mix_f32_bf16 v14, v14, v20, v18 op_sel:[1,0,0] op_sel_hi:[1,1,0]
	v_fma_mixlo_bf16 v18, s41, v65, 0
	v_fma_mixlo_bf16 v20, s41, v66, 0
	s_delay_alu instid0(VALU_DEP_4) | instskip(NEXT) | instid1(VALU_DEP_4)
	v_fma_mix_f32_bf16 v21, v15, v21, v22 op_sel_hi:[1,1,0]
	v_fma_mix_f32_bf16 v14, v15, v19, v14 op_sel:[1,0,0] op_sel_hi:[1,1,0]
	v_fma_mixlo_bf16 v15, s41, v67, 0
	v_fma_mixlo_bf16 v19, s41, v68, 0
	s_delay_alu instid0(VALU_DEP_4) | instskip(NEXT) | instid1(VALU_DEP_4)
	v_fma_mix_f32_bf16 v20, v16, v20, v21 op_sel_hi:[1,1,0]
	v_fma_mix_f32_bf16 v14, v16, v18, v14 op_sel:[1,0,0] op_sel_hi:[1,1,0]
	v_fma_mixlo_bf16 v16, s41, v69, 0
	v_fma_mixlo_bf16 v18, s41, v70, 0
	s_delay_alu instid0(VALU_DEP_4) | instskip(NEXT) | instid1(VALU_DEP_4)
	;; [unrolled: 20-line block ×4, first 2 shown]
	v_fma_mix_f32_bf16 v11, v9, v11, v12 op_sel_hi:[1,1,0]
	v_fma_mix_f32_bf16 v6, v9, v7, v6 op_sel:[1,0,0] op_sel_hi:[1,1,0]
	v_fma_mixlo_bf16 v7, s41, v87, 0
	v_fma_mixlo_bf16 v9, s41, v88, 0
	s_wait_dscnt 0x0
	v_fma_mix_f32_bf16 v10, v2, v10, v11 op_sel_hi:[1,1,0]
	v_fma_mix_f32_bf16 v2, v2, v8, v6 op_sel:[1,0,0] op_sel_hi:[1,1,0]
	v_fma_mixlo_bf16 v6, s41, v89, 0
	v_fma_mixlo_bf16 v8, s41, v90, 0
	s_delay_alu instid0(VALU_DEP_4) | instskip(NEXT) | instid1(VALU_DEP_4)
	v_fma_mix_f32_bf16 v9, v3, v9, v10 op_sel_hi:[1,1,0]
	v_fma_mix_f32_bf16 v2, v3, v7, v2 op_sel:[1,0,0] op_sel_hi:[1,1,0]
	v_xor_b32_e32 v7, 2, v38
	v_fma_mixlo_bf16 v3, s41, v37, 0
	v_fma_mixlo_bf16 v10, s41, v36, 0
	v_fma_mix_f32_bf16 v8, v4, v8, v9 op_sel_hi:[1,1,0]
	v_fma_mix_f32_bf16 v2, v4, v6, v2 op_sel:[1,0,0] op_sel_hi:[1,1,0]
	v_cmp_gt_i32_e64 s4, 32, v7
	s_delay_alu instid0(VALU_DEP_3) | instskip(NEXT) | instid1(VALU_DEP_3)
	v_fma_mix_f32_bf16 v3, v5, v3, v8 op_sel_hi:[1,1,0]
	v_fma_mix_f32_bf16 v2, v5, v10, v2 op_sel:[1,0,0] op_sel_hi:[1,1,0]
	s_delay_alu instid0(VALU_DEP_1) | instskip(NEXT) | instid1(VALU_DEP_1)
	v_dual_cndmask_b32 v4, v38, v7, s4 :: v_dual_add_f32 v2, v3, v2
	v_lshlrev_b32_e32 v4, 2, v4
	ds_bpermute_b32 v3, v4, v2
	v_xor_b32_e32 v4, 1, v38
	s_delay_alu instid0(VALU_DEP_1) | instskip(NEXT) | instid1(VALU_DEP_1)
	v_cmp_gt_i32_e64 s4, 32, v4
	v_cndmask_b32_e64 v4, v38, v4, s4
	s_wait_dscnt 0x0
	s_delay_alu instid0(VALU_DEP_1)
	v_dual_lshlrev_b32 v4, 2, v4 :: v_dual_add_f32 v2, v2, v3
	ds_bpermute_b32 v3, v4, v2
	s_and_saveexec_b32 s41, s3
	s_cbranch_execz .LBB311_10
; %bb.402:                              ;   in Loop: Header=BB311_12 Depth=1
	v_add_nc_u32_e32 v4, v42, v30
	s_wait_dscnt 0x0
	v_add_f32_e32 v2, v2, v3
	s_delay_alu instid0(VALU_DEP_2) | instskip(NEXT) | instid1(VALU_DEP_1)
	v_cvt_f32_i32_e32 v4, v4
	v_mul_f32_e32 v4, s36, v4
	s_delay_alu instid0(VALU_DEP_1) | instskip(NEXT) | instid1(VALU_DEP_1)
	v_dual_cndmask_b32 v3, 0, v4 :: v_dual_max_num_f32 v4, v41, v41
	v_fmac_f32_e32 v3, s27, v2
	v_add_nc_u32_e32 v2, v39, v30
	s_delay_alu instid0(VALU_DEP_1) | instskip(NEXT) | instid1(VALU_DEP_3)
	v_cmp_gt_i32_e64 s4, s34, v2
	v_max_num_f32_e32 v4, v4, v3
	s_delay_alu instid0(VALU_DEP_1)
	v_dual_cndmask_b32 v41, v41, v4, s4 :: v_dual_cndmask_b32 v2, 0, v3, s4
	ds_store_b32 v43, v2
	s_branch .LBB311_10
.LBB311_403:
	s_or_b32 exec_lo, exec_lo, s40
.LBB311_404:
	s_delay_alu instid0(SALU_CYCLE_1)
	s_or_b32 exec_lo, exec_lo, s37
	v_dual_max_num_f32 v5, v41, v41 :: v_dual_bitop2_b32 v2, 16, v38 bitop3:0x14
	v_xor_b32_e32 v4, 8, v38
	s_clause 0x1
	s_load_b64 s[4:5], s[0:1], 0x0
	s_load_b64 s[8:9], s[0:1], 0x18
	v_and_b32_e32 v30, 31, v0
	v_cmp_gt_i32_e32 vcc_lo, 32, v2
	v_cndmask_b32_e32 v2, v38, v2, vcc_lo
	v_cmp_gt_i32_e32 vcc_lo, 32, v4
	s_delay_alu instid0(VALU_DEP_2) | instskip(SKIP_4) | instid1(VALU_DEP_1)
	v_dual_cndmask_b32 v4, v38, v4, vcc_lo :: v_dual_lshlrev_b32 v2, 2, v2
	s_wait_dscnt 0x0
	ds_bpermute_b32 v3, v2, v41
	s_wait_dscnt 0x0
	v_dual_max_num_f32 v6, v3, v3 :: v_dual_lshlrev_b32 v3, 2, v4
	v_max_num_f32_e32 v4, v5, v6
	ds_bpermute_b32 v5, v3, v4
	s_wait_dscnt 0x0
	v_dual_max_num_f32 v5, v5, v5 :: v_dual_bitop2_b32 v6, 4, v38 bitop3:0x14
	s_delay_alu instid0(VALU_DEP_1) | instskip(NEXT) | instid1(VALU_DEP_2)
	v_max_num_f32_e32 v5, v4, v5
	v_cmp_gt_i32_e32 vcc_lo, 32, v6
	v_dual_lshlrev_b32 v4, 2, v1 :: v_dual_cndmask_b32 v6, v38, v6, vcc_lo
	v_cmp_eq_u32_e32 vcc_lo, 0, v30
	s_delay_alu instid0(VALU_DEP_2)
	v_lshlrev_b32_e32 v6, 2, v6
	ds_bpermute_b32 v7, v6, v5
	s_wait_xcnt 0x0
	s_and_saveexec_b32 s0, vcc_lo
	s_cbranch_execz .LBB311_406
; %bb.405:
	s_wait_dscnt 0x0
	v_dual_max_num_f32 v7, v7, v7 :: v_dual_max_num_f32 v5, v5, v5
	s_delay_alu instid0(VALU_DEP_1)
	v_max_num_f32_e32 v5, v5, v7
	ds_store_b32 v4, v5 offset:384
.LBB311_406:
	s_or_b32 exec_lo, exec_lo, s0
	v_cmp_gt_u32_e64 s0, 4, v30
	v_dual_mov_b32 v8, 0xff7fffff :: v_dual_lshlrev_b32 v5, 2, v30
	s_wait_dscnt 0x0
	s_barrier_signal -1
	s_barrier_wait -1
	s_and_saveexec_b32 s1, s0
; %bb.407:
	ds_load_b32 v8, v5 offset:384
; %bb.408:
	s_or_b32 exec_lo, exec_lo, s1
	s_wait_dscnt 0x0
	v_dual_max_num_f32 v11, v8, v8 :: v_dual_bitop2_b32 v7, 2, v38 bitop3:0x14
	v_xor_b32_e32 v10, 1, v38
	s_delay_alu instid0(VALU_DEP_2) | instskip(NEXT) | instid1(VALU_DEP_1)
	v_cmp_gt_i32_e64 s1, 32, v7
	v_cndmask_b32_e64 v7, v38, v7, s1
	s_delay_alu instid0(VALU_DEP_3) | instskip(NEXT) | instid1(VALU_DEP_2)
	v_cmp_gt_i32_e64 s1, 32, v10
	v_lshlrev_b32_e32 v7, 2, v7
	ds_bpermute_b32 v9, v7, v8
	v_cndmask_b32_e64 v8, v38, v10, s1
	s_lshl_b32 s1, s12, 3
	s_delay_alu instid0(SALU_CYCLE_1) | instskip(NEXT) | instid1(SALU_CYCLE_1)
	s_min_i32 s19, s1, s34
	v_cmp_gt_i32_e64 s1, s19, v0
	s_wait_dscnt 0x0
	v_dual_max_num_f32 v9, v9, v9 :: v_dual_lshlrev_b32 v8, 2, v8
	s_delay_alu instid0(VALU_DEP_1) | instskip(SKIP_3) | instid1(VALU_DEP_1)
	v_max_num_f32_e32 v9, v11, v9
	ds_bpermute_b32 v10, v8, v9
	s_wait_dscnt 0x0
	v_max_num_f32_e32 v10, v10, v10
	v_dual_max_num_f32 v10, v9, v10 :: v_dual_mov_b32 v9, 0
	ds_bpermute_b32 v10, v9, v10
	s_and_saveexec_b32 s27, s1
	s_cbranch_execz .LBB311_412
; %bb.409:
	v_lshl_add_u32 v11, v0, 2, 0x1a0
	v_dual_mov_b32 v9, 0 :: v_dual_mov_b32 v12, v0
	s_mov_b32 s28, 0
.LBB311_410:                            ; =>This Inner Loop Header: Depth=1
	ds_load_b32 v13, v11
	v_add_nc_u32_e32 v12, 0x80, v12
	s_delay_alu instid0(VALU_DEP_1) | instskip(SKIP_3) | instid1(VALU_DEP_1)
	v_cmp_le_i32_e64 s3, s19, v12
	s_or_b32 s28, s3, s28
	s_wait_dscnt 0x0
	v_sub_f32_e32 v13, v13, v10
	v_mul_f32_e32 v13, 0x3fb8aa3b, v13
	s_delay_alu instid0(VALU_DEP_1)
	v_exp_f32_e32 v13, v13
	ds_store_b32 v11, v13
	v_nop
	v_add_f32_e32 v9, v9, v13
	v_add_nc_u32_e32 v11, 0x200, v11
	s_and_not1_b32 exec_lo, exec_lo, s28
	s_cbranch_execnz .LBB311_410
; %bb.411:
	s_or_b32 exec_lo, exec_lo, s28
.LBB311_412:
	s_delay_alu instid0(SALU_CYCLE_1)
	s_or_b32 exec_lo, exec_lo, s27
	ds_bpermute_b32 v2, v2, v9
	s_wait_dscnt 0x0
	v_add_f32_e32 v2, v9, v2
	ds_bpermute_b32 v3, v3, v2
	s_wait_dscnt 0x0
	v_add_f32_e32 v2, v2, v3
	;; [unrolled: 3-line block ×5, first 2 shown]
	s_and_saveexec_b32 s3, vcc_lo
; %bb.413:
	ds_store_b32 v4, v2 offset:400
; %bb.414:
	s_or_b32 exec_lo, exec_lo, s3
	s_wait_dscnt 0x0
	s_barrier_signal -1
	s_barrier_wait -1
	s_and_saveexec_b32 s3, s0
; %bb.415:
	ds_load_b32 v2, v5 offset:400
; %bb.416:
	s_or_b32 exec_lo, exec_lo, s3
	s_wait_dscnt 0x0
	ds_bpermute_b32 v3, v7, v2
	s_wait_dscnt 0x0
	v_add_f32_e32 v2, v2, v3
	ds_bpermute_b32 v3, v8, v2
	s_wait_dscnt 0x0
	v_dual_add_f32 v2, v2, v3 :: v_dual_mov_b32 v3, 0
	ds_bpermute_b32 v2, v3, v2
	s_and_saveexec_b32 s0, s1
	s_cbranch_execz .LBB311_429
; %bb.417:
	s_wait_dscnt 0x0
	v_add_f32_e32 v2, 0x358637bd, v2
	s_mov_b32 s3, -1
	s_mov_b32 s1, exec_lo
	s_delay_alu instid0(VALU_DEP_1) | instskip(NEXT) | instid1(VALU_DEP_1)
	v_div_scale_f32 v3, null, v2, v2, 1.0
	v_rcp_f32_e32 v5, v3
	v_nop
	s_delay_alu instid0(TRANS32_DEP_1) | instskip(NEXT) | instid1(VALU_DEP_1)
	v_fma_f32 v4, -v3, v5, 1.0
	v_fmac_f32_e32 v5, v4, v5
	v_div_scale_f32 v6, vcc_lo, 1.0, v2, 1.0
	s_delay_alu instid0(VALU_DEP_1) | instskip(NEXT) | instid1(VALU_DEP_1)
	v_mul_f32_e32 v7, v6, v5
	v_fma_f32 v4, -v3, v7, v6
	s_delay_alu instid0(VALU_DEP_1) | instskip(SKIP_1) | instid1(VALU_DEP_2)
	v_fmac_f32_e32 v7, v4, v5
	v_xad_u32 v4, v0, -1, s19
	v_fma_f32 v3, -v3, v7, v6
	s_delay_alu instid0(VALU_DEP_1) | instskip(NEXT) | instid1(VALU_DEP_1)
	v_div_fmas_f32 v3, v3, v5, v7
	v_div_fixup_f32 v2, v3, v2, 1.0
	v_mov_b32_e32 v3, v0
	v_cmpx_lt_u32_e32 0x7f, v4
	s_cbranch_execz .LBB311_426
; %bb.418:
	s_delay_alu instid0(VALU_DEP_3) | instskip(NEXT) | instid1(VALU_DEP_1)
	v_dual_mov_b32 v3, v2 :: v_dual_lshrrev_b32 v4, 7, v4
	v_dual_mov_b32 v8, 0 :: v_dual_add_nc_u32 v5, -1, v4
	s_delay_alu instid0(VALU_DEP_1) | instskip(SKIP_1) | instid1(VALU_DEP_2)
	v_lshrrev_b32_e32 v6, 1, v5
	v_cmp_lt_u32_e32 vcc_lo, 13, v5
	v_add_nc_u32_e32 v5, 1, v6
	s_and_saveexec_b32 s3, vcc_lo
	s_cbranch_execz .LBB311_422
; %bb.419:
	s_delay_alu instid0(VALU_DEP_1)
	v_and_b32_e32 v6, -8, v5
	v_lshl_add_u32 v7, v0, 2, 0x1a0
	s_mov_b32 s27, 0
	s_mov_b32 s28, 0
.LBB311_420:                            ; =>This Inner Loop Header: Depth=1
	ds_load_2addr_stride64_b32 v[8:9], v7 offset1:2
	ds_load_2addr_stride64_b32 v[10:11], v7 offset0:4 offset1:6
	ds_load_2addr_stride64_b32 v[12:13], v7 offset0:8 offset1:10
	;; [unrolled: 1-line block ×7, first 2 shown]
	s_add_co_i32 s28, s28, 16
	v_add_nc_u32_e32 v6, -8, v6
	s_wait_dscnt 0x7
	v_pk_mul_f32 v[8:9], v[2:3], v[8:9]
	s_wait_dscnt 0x6
	v_pk_mul_f32 v[10:11], v[2:3], v[10:11]
	;; [unrolled: 2-line block ×8, first 2 shown]
	ds_store_2addr_stride64_b32 v7, v8, v9 offset1:2
	ds_store_2addr_stride64_b32 v7, v10, v11 offset0:4 offset1:6
	ds_store_2addr_stride64_b32 v7, v12, v13 offset0:8 offset1:10
	;; [unrolled: 1-line block ×7, first 2 shown]
	v_mov_b32_e32 v8, s28
	v_cmp_eq_u32_e32 vcc_lo, 0, v6
	v_add_nc_u32_e32 v7, 0x2000, v7
	s_or_b32 s27, vcc_lo, s27
	s_delay_alu instid0(SALU_CYCLE_1)
	s_and_not1_b32 exec_lo, exec_lo, s27
	s_cbranch_execnz .LBB311_420
; %bb.421:
	s_or_b32 exec_lo, exec_lo, s27
.LBB311_422:
	s_delay_alu instid0(SALU_CYCLE_1) | instskip(NEXT) | instid1(VALU_DEP_1)
	s_or_b32 exec_lo, exec_lo, s3
	v_and_b32_e32 v5, 7, v5
	s_mov_b32 s27, 0
	s_mov_b32 s3, exec_lo
	s_delay_alu instid0(VALU_DEP_1)
	v_cmpx_ne_u32_e32 0, v5
	s_cbranch_execz .LBB311_425
; %bb.423:
	v_lshlrev_b32_e32 v6, 9, v8
	v_lshlrev_b32_e32 v7, 2, v0
	s_delay_alu instid0(VALU_DEP_1)
	v_add3_u32 v6, v6, v7, 0x1a0
.LBB311_424:                            ; =>This Inner Loop Header: Depth=1
	ds_load_2addr_stride64_b32 v[8:9], v6 offset1:2
	v_add_nc_u32_e32 v5, -1, v5
	s_delay_alu instid0(VALU_DEP_1)
	v_cmp_eq_u32_e32 vcc_lo, 0, v5
	s_or_b32 s27, vcc_lo, s27
	s_wait_dscnt 0x0
	v_pk_mul_f32 v[8:9], v[2:3], v[8:9]
	ds_store_2addr_stride64_b32 v6, v8, v9 offset1:2
	v_add_nc_u32_e32 v6, 0x400, v6
	s_and_not1_b32 exec_lo, exec_lo, s27
	s_cbranch_execnz .LBB311_424
.LBB311_425:
	s_or_b32 exec_lo, exec_lo, s3
	v_add_nc_u32_e32 v3, 1, v4
	s_delay_alu instid0(VALU_DEP_1) | instskip(NEXT) | instid1(VALU_DEP_1)
	v_and_b32_e32 v4, 0x3fffffe, v3
	v_cmp_ne_u32_e32 vcc_lo, v3, v4
	v_lshl_add_u32 v3, v4, 7, v0
	s_or_not1_b32 s3, vcc_lo, exec_lo
.LBB311_426:
	s_or_b32 exec_lo, exec_lo, s1
	s_delay_alu instid0(SALU_CYCLE_1)
	s_and_b32 exec_lo, exec_lo, s3
	s_cbranch_execz .LBB311_429
; %bb.427:
	v_lshl_add_u32 v4, v3, 2, 0x1a0
	s_mov_b32 s1, 0
.LBB311_428:                            ; =>This Inner Loop Header: Depth=1
	ds_load_b32 v5, v4
	v_add_nc_u32_e32 v3, 0x80, v3
	s_delay_alu instid0(VALU_DEP_1)
	v_cmp_le_i32_e32 vcc_lo, s19, v3
	s_or_b32 s1, vcc_lo, s1
	s_wait_dscnt 0x0
	v_mul_f32_e32 v5, v2, v5
	ds_store_b32 v4, v5
	v_add_nc_u32_e32 v4, 0x200, v4
	s_and_not1_b32 exec_lo, exec_lo, s1
	s_cbranch_execnz .LBB311_428
.LBB311_429:
	s_or_b32 exec_lo, exec_lo, s0
	v_mov_b64_e32 v[14:15], 0
	v_mov_b64_e32 v[12:13], 0
	;; [unrolled: 1-line block ×3, first 2 shown]
	s_wait_dscnt 0x0
	s_barrier_signal -1
	s_barrier_wait -1
	s_and_saveexec_b32 s1, s2
	s_cbranch_execz .LBB311_807
; %bb.430:
	s_abs_i32 s14, s14
	v_dual_mov_b32 v17, 0 :: v_dual_lshlrev_b32 v16, 3, v30
	s_cvt_f32_u32 s0, s14
	s_ashr_i32 s19, s18, 31
	s_lshl_b64 s[24:25], s[24:25], 2
	s_wait_kmcnt 0x0
	s_add_nc_u64 s[8:9], s[8:9], s[18:19]
	v_rcp_iflag_f32_e32 v2, s0
	v_add_nc_u64_e32 v[18:19], s[8:9], v[16:17]
	v_and_b32_e32 v16, 0x7c, v27
	s_add_nc_u64 s[8:9], s[22:23], s[24:25]
	s_sub_co_i32 s18, 0, s14
	v_mov_b64_e32 v[10:11], 0
	v_mov_b64_e32 v[12:13], 0
	v_readfirstlane_b32 s0, v2
	v_mov_b64_e32 v[14:15], 0
	v_add_nc_u64_e32 v[20:21], s[8:9], v[16:17]
	v_lshl_add_u32 v31, v1, 5, 0x1a0
	v_mov_b32_e32 v32, v1
	s_mul_f32 s0, s0, 0x4f7ffffe
	s_mov_b32 s9, 0
	s_sub_co_i32 s13, s26, s13
	s_add_co_i32 s26, s12, -1
	s_cvt_u32_f32 s0, s0
	s_mov_b64 s[2:3], 0xffffffffffffff
	s_delay_alu instid0(SALU_CYCLE_2) | instskip(NEXT) | instid1(SALU_CYCLE_1)
	s_mul_i32 s18, s18, s0
	s_mul_hi_u32 s8, s0, s18
	s_mov_b32 s18, s9
	s_add_co_i32 s8, s0, s8
	s_branch .LBB311_433
.LBB311_431:                            ;   in Loop: Header=BB311_433 Depth=1
	s_or_b32 exec_lo, exec_lo, s0
	s_wait_dscnt 0x1
	v_cvt_pk_bf16_f32 v6, v6, v7
	v_perm_b32 v7, v75, v76, 0x5040100
	v_cvt_pk_bf16_f32 v8, v8, v9
	v_perm_b32 v9, v73, v74, 0x5040100
	s_wait_dscnt 0x0
	v_cvt_pk_bf16_f32 v3, v2, v3
	v_perm_b32 v2, v71, v72, 0x5040100
	v_pk_mul_bf16 v7, v6, v7
	v_cvt_pk_bf16_f32 v42, v4, v5
	v_pk_mul_bf16 v9, v8, v9
	v_perm_b32 v4, v29, v28, 0x5040100
	v_pk_mul_bf16 v2, v3, v2
	v_lshlrev_b32_e32 v40, 16, v7
	v_and_b32_e32 v7, 0xffff0000, v7
	v_lshlrev_b32_e32 v41, 16, v9
	v_and_b32_e32 v9, 0xffff0000, v9
	v_pk_mul_bf16 v4, v42, v4
	v_perm_b32 v29, v59, v60, 0x5040100
	v_add_f32_e32 v5, v40, v7
	v_perm_b32 v40, v64, v63, 0x5040100
	v_dual_add_f32 v7, v41, v9 :: v_dual_lshlrev_b32 v9, 16, v2
	v_and_b32_e32 v2, 0xffff0000, v2
	v_perm_b32 v45, v48, v47, 0x5040100
	s_delay_alu instid0(VALU_DEP_4) | instskip(NEXT) | instid1(VALU_DEP_4)
	v_pk_mul_bf16 v40, v42, v40
	v_dual_add_f32 v5, v7, v5 :: v_dual_lshlrev_b32 v7, 16, v4
	s_delay_alu instid0(VALU_DEP_4) | instskip(SKIP_2) | instid1(VALU_DEP_2)
	v_add_f32_e32 v2, v9, v2
	v_and_b32_e32 v4, 0xffff0000, v4
	v_perm_b32 v9, v69, v70, 0x5040100
	v_dual_add_f32 v2, v2, v5 :: v_dual_add_f32 v4, v7, v4
	v_perm_b32 v5, v67, v68, 0x5040100
	s_delay_alu instid0(VALU_DEP_3) | instskip(NEXT) | instid1(VALU_DEP_3)
	v_pk_mul_bf16 v7, v6, v9
	v_add_f32_e32 v2, v4, v2
	s_delay_alu instid0(VALU_DEP_3) | instskip(SKIP_1) | instid1(VALU_DEP_4)
	v_pk_mul_bf16 v5, v8, v5
	v_perm_b32 v4, v65, v66, 0x5040100
	v_lshlrev_b32_e32 v9, 16, v7
	v_and_b32_e32 v7, 0xffff0000, v7
	s_delay_alu instid0(VALU_DEP_4) | instskip(SKIP_2) | instid1(VALU_DEP_4)
	v_dual_add_f32 v2, v14, v2 :: v_dual_lshlrev_b32 v28, 16, v5
	v_and_b32_e32 v5, 0xffff0000, v5
	v_pk_mul_bf16 v4, v3, v4
	v_add_f32_e32 v7, v9, v7
	v_perm_b32 v9, v61, v62, 0x5040100
	s_delay_alu instid0(VALU_DEP_3) | instskip(SKIP_1) | instid1(VALU_DEP_3)
	v_dual_add_f32 v5, v28, v5 :: v_dual_lshlrev_b32 v28, 16, v4
	v_and_b32_e32 v4, 0xffff0000, v4
	v_pk_mul_bf16 v9, v6, v9
	s_delay_alu instid0(VALU_DEP_3) | instskip(SKIP_1) | instid1(VALU_DEP_3)
	v_add_f32_e32 v5, v5, v7
	v_pk_mul_bf16 v7, v8, v29
	v_dual_add_f32 v4, v28, v4 :: v_dual_lshlrev_b32 v29, 16, v9
	v_perm_b32 v28, v57, v58, 0x5040100
	v_and_b32_e32 v9, 0xffff0000, v9
	s_delay_alu instid0(VALU_DEP_3) | instskip(SKIP_1) | instid1(VALU_DEP_4)
	v_dual_lshlrev_b32 v41, 16, v7 :: v_dual_add_f32 v43, v4, v5
	v_and_b32_e32 v7, 0xffff0000, v7
	v_pk_mul_bf16 v28, v3, v28
	s_delay_alu instid0(VALU_DEP_4) | instskip(SKIP_1) | instid1(VALU_DEP_3)
	v_add_f32_e32 v4, v29, v9
	v_perm_b32 v29, v56, v55, 0x5040100
	v_dual_add_f32 v5, v41, v7 :: v_dual_lshlrev_b32 v7, 16, v28
	v_and_b32_e32 v9, 0xffff0000, v28
	v_lshlrev_b32_e32 v28, 16, v40
	v_and_b32_e32 v40, 0xffff0000, v40
	s_delay_alu instid0(VALU_DEP_3)
	v_dual_add_f32 v4, v5, v4 :: v_dual_add_f32 v5, v7, v9
	v_perm_b32 v7, v53, v54, 0x5040100
	v_pk_mul_bf16 v9, v42, v29
	v_perm_b32 v29, v51, v52, 0x5040100
	v_add_f32_e32 v28, v28, v40
	v_add_f32_e32 v40, v5, v4
	v_pk_mul_bf16 v4, v6, v7
	v_lshlrev_b32_e32 v5, 16, v9
	v_pk_mul_bf16 v7, v8, v29
	v_and_b32_e32 v9, 0xffff0000, v9
	v_perm_b32 v29, v49, v50, 0x5040100
	v_lshlrev_b32_e32 v41, 16, v4
	v_and_b32_e32 v4, 0xffff0000, v4
	s_delay_alu instid0(VALU_DEP_4) | instskip(SKIP_2) | instid1(VALU_DEP_4)
	v_dual_lshlrev_b32 v44, 16, v7 :: v_dual_add_f32 v46, v5, v9
	v_and_b32_e32 v7, 0xffff0000, v7
	v_pk_mul_bf16 v29, v3, v29
	v_add_f32_e32 v4, v41, v4
	v_perm_b32 v9, v38, v39, 0x5040100
	v_pk_mul_bf16 v41, v42, v45
	s_delay_alu instid0(VALU_DEP_4) | instskip(SKIP_1) | instid1(VALU_DEP_4)
	v_dual_add_f32 v5, v44, v7 :: v_dual_lshlrev_b32 v7, 16, v29
	v_and_b32_e32 v29, 0xffff0000, v29
	v_pk_mul_bf16 v9, v6, v9
	s_delay_alu instid0(VALU_DEP_3) | instskip(SKIP_2) | instid1(VALU_DEP_4)
	v_add_f32_e32 v38, v5, v4
	v_perm_b32 v4, v36, v37, 0x5040100
	v_perm_b32 v5, v34, v35, 0x5040100
	v_and_b32_e32 v37, 0xffff0000, v9
	s_delay_alu instid0(VALU_DEP_3) | instskip(SKIP_1) | instid1(VALU_DEP_4)
	v_pk_mul_bf16 v4, v8, v4
	v_add_f32_e32 v29, v7, v29
	v_pk_mul_bf16 v35, v3, v5
	v_perm_b32 v5, v78, v77, 0x5040100
	v_perm_b32 v7, v24, v79, 0x5040100
	v_lshlrev_b32_e32 v39, 16, v4
	v_and_b32_e32 v24, 0xffff0000, v4
	s_delay_alu instid0(VALU_DEP_4) | instskip(NEXT) | instid1(VALU_DEP_4)
	v_pk_mul_bf16 v6, v6, v5
	v_pk_mul_bf16 v8, v8, v7
	v_lshlrev_b32_e32 v36, 16, v9
	v_perm_b32 v9, v16, v22, 0x5040100
	v_perm_b32 v16, v25, v23, 0x5040100
	v_dual_lshlrev_b32 v34, 16, v41 :: v_dual_lshlrev_b32 v7, 16, v6
	v_and_b32_e32 v5, 0xffff0000, v6
	s_delay_alu instid0(VALU_DEP_4) | instskip(NEXT) | instid1(VALU_DEP_4)
	v_pk_mul_bf16 v3, v3, v9
	v_pk_mul_bf16 v16, v42, v16
	v_and_b32_e32 v4, 0xffff0000, v8
	v_lshlrev_b32_e32 v6, 16, v8
	v_add_f32_e32 v24, v39, v24
	v_and_b32_e32 v9, 0xffff0000, v3
	v_dual_lshlrev_b32 v23, 16, v3 :: v_dual_lshlrev_b32 v22, 16, v16
	v_and_b32_e32 v8, 0xffff0000, v16
	v_pk_add_f32 v[4:5], v[6:7], v[4:5]
	v_perm_b32 v3, v33, v27, 0x5040100
	v_add_f32_e32 v16, v36, v37
	s_delay_alu instid0(VALU_DEP_4) | instskip(NEXT) | instid1(VALU_DEP_4)
	v_pk_add_f32 v[6:7], v[22:23], v[8:9]
	v_dual_add_f32 v4, v4, v5 :: v_dual_lshlrev_b32 v5, 16, v35
	v_and_b32_e32 v8, 0xffff0000, v35
	v_pk_mul_bf16 v3, v42, v3
	v_and_b32_e32 v9, 0xffff0000, v41
	s_delay_alu instid0(VALU_DEP_4) | instskip(SKIP_1) | instid1(VALU_DEP_4)
	v_add_f32_e32 v4, v7, v4
	v_add_f32_e32 v7, v24, v16
	v_dual_add_f32 v5, v5, v8 :: v_dual_lshlrev_b32 v8, 16, v3
	v_and_b32_e32 v3, 0xffff0000, v3
	v_add_f32_e32 v9, v34, v9
	v_dual_add_f32 v4, v6, v4 :: v_dual_add_f32 v6, v29, v38
	s_delay_alu instid0(VALU_DEP_4) | instskip(NEXT) | instid1(VALU_DEP_4)
	v_add_f32_e32 v7, v5, v7
	v_dual_add_f32 v3, v8, v3 :: v_dual_add_f32 v8, v46, v40
	s_delay_alu instid0(VALU_DEP_3) | instskip(NEXT) | instid1(VALU_DEP_4)
	v_pk_add_f32 v[4:5], v[14:15], v[4:5] op_sel_hi:[1,0]
	v_dual_add_f32 v4, v28, v43 :: v_dual_add_f32 v6, v9, v6
	s_delay_alu instid0(VALU_DEP_2) | instskip(NEXT) | instid1(VALU_DEP_2)
	v_dual_add_f32 v7, v3, v7 :: v_dual_mov_b32 v3, v5
	v_dual_add_f32 v13, v13, v4 :: v_dual_add_f32 v11, v11, v6
	s_delay_alu instid0(VALU_DEP_2) | instskip(NEXT) | instid1(VALU_DEP_3)
	v_dual_add_f32 v12, v12, v8 :: v_dual_add_f32 v10, v10, v7
	v_mov_b64_e32 v[14:15], v[2:3]
.LBB311_432:                            ;   in Loop: Header=BB311_433 Depth=1
	s_or_b32 exec_lo, exec_lo, s19
	v_dual_add_nc_u32 v32, 4, v32 :: v_dual_add_nc_u32 v26, 32, v26
	v_add_nc_u64_e32 v[20:21], 16, v[20:21]
	v_add_nc_u32_e32 v31, 0x80, v31
	s_delay_alu instid0(VALU_DEP_3) | instskip(SKIP_1) | instid1(SALU_CYCLE_1)
	v_cmp_le_i32_e32 vcc_lo, s12, v32
	s_or_b32 s18, vcc_lo, s18
	s_and_not1_b32 exec_lo, exec_lo, s18
	s_cbranch_execz .LBB311_806
.LBB311_433:                            ; =>This Inner Loop Header: Depth=1
	v_mov_b32_e32 v27, v17
	s_delay_alu instid0(VALU_DEP_1) | instskip(NEXT) | instid1(VALU_DEP_1)
	v_mul_u64_e32 v[2:3], s[20:21], v[26:27]
	v_mul_lo_u32 v2, v3, s16
	s_delay_alu instid0(VALU_DEP_1) | instskip(NEXT) | instid1(VALU_DEP_1)
	v_sub_nc_u32_e32 v2, v26, v2
	v_subrev_nc_u32_e32 v5, s16, v2
	v_cmp_le_u32_e32 vcc_lo, s16, v2
	s_delay_alu instid0(VALU_DEP_2) | instskip(NEXT) | instid1(VALU_DEP_1)
	v_dual_add_nc_u32 v4, 1, v3 :: v_dual_cndmask_b32 v2, v2, v5, vcc_lo
	v_cndmask_b32_e32 v3, v3, v4, vcc_lo
	s_delay_alu instid0(VALU_DEP_2) | instskip(NEXT) | instid1(VALU_DEP_2)
	v_cmp_le_u32_e32 vcc_lo, s16, v2
	v_add_nc_u32_e32 v4, 1, v3
	s_delay_alu instid0(VALU_DEP_1) | instskip(NEXT) | instid1(VALU_DEP_1)
	v_cndmask_b32_e32 v2, v3, v4, vcc_lo
	v_xor_b32_e32 v2, s15, v2
	s_delay_alu instid0(VALU_DEP_1) | instskip(NEXT) | instid1(VALU_DEP_1)
	v_subrev_nc_u32_e32 v4, s15, v2
	v_add_nc_u32_e32 v5, s35, v4
	v_cmp_lt_i32_e64 s0, s13, v4
	s_delay_alu instid0(VALU_DEP_2) | instskip(NEXT) | instid1(VALU_DEP_1)
	v_sub_nc_u32_e32 v2, 0, v5
	v_dual_ashrrev_i32 v5, 31, v5 :: v_dual_max_i32 v16, v5, v2
	s_delay_alu instid0(VALU_DEP_1) | instskip(NEXT) | instid1(VALU_DEP_1)
	v_mul_u64_e32 v[2:3], s[8:9], v[16:17]
	v_mul_lo_u32 v2, v3, s14
	s_delay_alu instid0(VALU_DEP_1) | instskip(NEXT) | instid1(VALU_DEP_1)
	v_sub_nc_u32_e32 v2, v16, v2
	v_subrev_nc_u32_e32 v3, s14, v2
	v_cmp_le_u32_e32 vcc_lo, s14, v2
	s_delay_alu instid0(VALU_DEP_2) | instskip(NEXT) | instid1(VALU_DEP_1)
	v_cndmask_b32_e32 v2, v2, v3, vcc_lo
	v_subrev_nc_u32_e32 v3, s14, v2
	v_cmp_le_u32_e32 vcc_lo, s14, v2
	s_delay_alu instid0(VALU_DEP_2) | instskip(NEXT) | instid1(VALU_DEP_1)
	v_cndmask_b32_e32 v2, v2, v3, vcc_lo
	v_xor_b32_e32 v2, v2, v5
	s_delay_alu instid0(VALU_DEP_1) | instskip(NEXT) | instid1(VALU_DEP_1)
	v_sub_nc_u32_e32 v2, v2, v5
	v_cmp_eq_u32_e32 vcc_lo, 0, v2
	s_or_b32 s0, vcc_lo, s0
	s_delay_alu instid0(SALU_CYCLE_1)
	s_and_saveexec_b32 s19, s0
	s_cbranch_execz .LBB311_432
; %bb.434:                              ;   in Loop: Header=BB311_433 Depth=1
	global_load_b32 v2, v[20:21], off
	v_dual_mov_b32 v33, 0 :: v_dual_mov_b32 v27, 0
	s_mov_b32 s0, exec_lo
	s_wait_loadcnt 0x0
	v_mad_nc_i64_i32 v[22:23], v2, s17, v[18:19]
	global_load_b64 v[24:25], v[22:23], off
	ds_load_2addr_b64 v[6:9], v31 offset1:1
	ds_load_2addr_b64 v[2:5], v31 offset0:2 offset1:3
	s_load_b32 s22, s[10:11], 0x0
	s_wait_loadcnt 0x0
	v_and_b32_e32 v16, 0xff, v24
	s_delay_alu instid0(VALU_DEP_1)
	v_cmpx_ne_u16_e32 0, v16
	s_cbranch_execz .LBB311_440
; %bb.435:                              ;   in Loop: Header=BB311_433 Depth=1
	v_bfrev_b32_e32 v27, 1
	s_mov_b32 s23, exec_lo
	v_cmpx_ne_u16_e32 0x80, v16
	s_cbranch_execz .LBB311_439
; %bb.436:                              ;   in Loop: Header=BB311_433 Depth=1
	v_and_b32_e32 v16, 0x7f, v24
	v_mov_b32_e32 v27, 0x7f800001
	s_mov_b32 s24, exec_lo
	s_delay_alu instid0(VALU_DEP_2)
	v_cmpx_ne_u32_e32 0x7f, v16
	s_cbranch_execz .LBB311_438
; %bb.437:                              ;   in Loop: Header=BB311_433 Depth=1
	v_and_b32_e32 v27, 7, v24
	v_cmp_gt_u32_e32 vcc_lo, 8, v16
	s_delay_alu instid0(VALU_DEP_2) | instskip(NEXT) | instid1(VALU_DEP_1)
	v_clz_i32_u32_e32 v27, v27
	v_min_u32_e32 v27, 32, v27
	v_lshrrev_b32_e32 v28, 3, v16
	s_delay_alu instid0(VALU_DEP_2) | instskip(SKIP_1) | instid1(VALU_DEP_1)
	v_subrev_nc_u32_e32 v29, 28, v27
	v_sub_nc_u32_e32 v27, 29, v27
	v_dual_cndmask_b32 v16, v28, v27 :: v_dual_cndmask_b32 v27, 0, v29
	s_delay_alu instid0(VALU_DEP_1) | instskip(NEXT) | instid1(VALU_DEP_2)
	v_lshl_add_u32 v16, v16, 23, 0x3c000000
	v_lshlrev_b64_e32 v[28:29], v27, v[24:25]
	v_lshlrev_b32_e32 v27, 24, v24
	s_delay_alu instid0(VALU_DEP_1) | instskip(NEXT) | instid1(VALU_DEP_3)
	v_and_b32_e32 v27, 0x80000000, v27
	v_lshlrev_b32_e32 v28, 20, v28
	s_delay_alu instid0(VALU_DEP_1) | instskip(NEXT) | instid1(VALU_DEP_1)
	v_and_b32_e32 v28, 0x700000, v28
	v_or3_b32 v27, v28, v27, v16
.LBB311_438:                            ;   in Loop: Header=BB311_433 Depth=1
	s_or_b32 exec_lo, exec_lo, s24
.LBB311_439:                            ;   in Loop: Header=BB311_433 Depth=1
	s_delay_alu instid0(SALU_CYCLE_1)
	s_or_b32 exec_lo, exec_lo, s23
.LBB311_440:                            ;   in Loop: Header=BB311_433 Depth=1
	s_delay_alu instid0(SALU_CYCLE_1) | instskip(SKIP_2) | instid1(VALU_DEP_1)
	s_or_b32 exec_lo, exec_lo, s0
	v_lshrrev_b16 v16, 8, v24
	s_mov_b32 s0, exec_lo
	v_cmpx_ne_u16_e32 0, v16
	s_cbranch_execz .LBB311_448
; %bb.441:                              ;   in Loop: Header=BB311_433 Depth=1
	v_bfrev_b32_e32 v33, 1
	s_mov_b32 s23, exec_lo
	v_cmpx_ne_u16_e32 0x80, v16
	s_cbranch_execz .LBB311_447
; %bb.442:                              ;   in Loop: Header=BB311_433 Depth=1
	v_and_b32_e32 v16, 0xffff, v16
	v_mov_b32_e32 v33, 0x7f800001
	s_mov_b32 s24, exec_lo
	s_delay_alu instid0(VALU_DEP_2) | instskip(NEXT) | instid1(VALU_DEP_1)
	v_and_b32_e32 v29, 0x7f, v16
	v_cmpx_ne_u32_e32 0x7f, v29
	s_cbranch_execz .LBB311_446
; %bb.443:                              ;   in Loop: Header=BB311_433 Depth=1
	v_dual_lshrrev_b32 v28, 3, v29 :: v_dual_bitop2_b32 v16, 7, v16 bitop3:0x40
	s_mov_b32 s25, exec_lo
	v_cmpx_gt_u32_e32 8, v29
; %bb.444:                              ;   in Loop: Header=BB311_433 Depth=1
	s_delay_alu instid0(VALU_DEP_2) | instskip(NEXT) | instid1(VALU_DEP_1)
	v_clz_i32_u32_e32 v28, v16
	v_min_u32_e32 v28, 32, v28
	s_delay_alu instid0(VALU_DEP_1) | instskip(NEXT) | instid1(VALU_DEP_1)
	v_subrev_nc_u32_e32 v29, 28, v28
	v_lshlrev_b64_e32 v[34:35], v29, v[16:17]
	s_delay_alu instid0(VALU_DEP_1)
	v_dual_sub_nc_u32 v28, 29, v28 :: v_dual_bitop2_b32 v16, 7, v34 bitop3:0x40
; %bb.445:                              ;   in Loop: Header=BB311_433 Depth=1
	s_or_b32 exec_lo, exec_lo, s25
	v_lshlrev_b32_e32 v29, 16, v24
	s_delay_alu instid0(VALU_DEP_2) | instskip(NEXT) | instid1(VALU_DEP_3)
	v_lshlrev_b32_e32 v16, 20, v16
	v_lshl_add_u32 v28, v28, 23, 0x3c000000
	s_delay_alu instid0(VALU_DEP_3) | instskip(NEXT) | instid1(VALU_DEP_1)
	v_and_b32_e32 v29, 0x80000000, v29
	v_or3_b32 v33, v16, v29, v28
.LBB311_446:                            ;   in Loop: Header=BB311_433 Depth=1
	s_or_b32 exec_lo, exec_lo, s24
.LBB311_447:                            ;   in Loop: Header=BB311_433 Depth=1
	s_delay_alu instid0(SALU_CYCLE_1)
	s_or_b32 exec_lo, exec_lo, s23
.LBB311_448:                            ;   in Loop: Header=BB311_433 Depth=1
	s_delay_alu instid0(SALU_CYCLE_1) | instskip(SKIP_3) | instid1(VALU_DEP_2)
	s_or_b32 exec_lo, exec_lo, s0
	v_dual_lshrrev_b32 v28, 16, v24 :: v_dual_mov_b32 v36, 0
	v_mov_b32_e32 v37, 0
	s_mov_b32 s0, exec_lo
	v_and_b32_e32 v16, 0xff, v28
	s_delay_alu instid0(VALU_DEP_1)
	v_cmpx_ne_u16_e32 0, v16
	s_cbranch_execz .LBB311_456
; %bb.449:                              ;   in Loop: Header=BB311_433 Depth=1
	v_bfrev_b32_e32 v37, 1
	s_mov_b32 s23, exec_lo
	v_cmpx_ne_u16_e32 0x80, v16
	s_cbranch_execz .LBB311_455
; %bb.450:                              ;   in Loop: Header=BB311_433 Depth=1
	v_bfe_u32 v34, v24, 16, 7
	v_mov_b32_e32 v37, 0x7f800001
	s_mov_b32 s24, exec_lo
	s_delay_alu instid0(VALU_DEP_2)
	v_cmpx_ne_u32_e32 0x7f, v34
	s_cbranch_execz .LBB311_454
; %bb.451:                              ;   in Loop: Header=BB311_433 Depth=1
	v_dual_lshrrev_b32 v29, 3, v34 :: v_dual_bitop2_b32 v16, 7, v28 bitop3:0x40
	s_mov_b32 s25, exec_lo
	v_cmpx_gt_u32_e32 8, v34
; %bb.452:                              ;   in Loop: Header=BB311_433 Depth=1
	s_delay_alu instid0(VALU_DEP_2) | instskip(NEXT) | instid1(VALU_DEP_1)
	v_clz_i32_u32_e32 v29, v16
	v_min_u32_e32 v29, 32, v29
	s_delay_alu instid0(VALU_DEP_1) | instskip(NEXT) | instid1(VALU_DEP_1)
	v_subrev_nc_u32_e32 v34, 28, v29
	v_lshlrev_b64_e32 v[34:35], v34, v[16:17]
	s_delay_alu instid0(VALU_DEP_1)
	v_dual_sub_nc_u32 v29, 29, v29 :: v_dual_bitop2_b32 v16, 7, v34 bitop3:0x40
; %bb.453:                              ;   in Loop: Header=BB311_433 Depth=1
	s_or_b32 exec_lo, exec_lo, s25
	v_lshlrev_b32_e32 v28, 24, v28
	s_delay_alu instid0(VALU_DEP_2) | instskip(NEXT) | instid1(VALU_DEP_3)
	v_lshlrev_b32_e32 v16, 20, v16
	v_lshl_add_u32 v29, v29, 23, 0x3c000000
	s_delay_alu instid0(VALU_DEP_3) | instskip(NEXT) | instid1(VALU_DEP_1)
	v_and_b32_e32 v28, 0x80000000, v28
	v_or3_b32 v37, v16, v28, v29
.LBB311_454:                            ;   in Loop: Header=BB311_433 Depth=1
	s_or_b32 exec_lo, exec_lo, s24
.LBB311_455:                            ;   in Loop: Header=BB311_433 Depth=1
	s_delay_alu instid0(SALU_CYCLE_1)
	s_or_b32 exec_lo, exec_lo, s23
.LBB311_456:                            ;   in Loop: Header=BB311_433 Depth=1
	s_delay_alu instid0(SALU_CYCLE_1) | instskip(NEXT) | instid1(SALU_CYCLE_1)
	s_or_b32 exec_lo, exec_lo, s0
	s_mov_b32 s0, exec_lo
	v_cmpx_lt_u32_e32 0xffffff, v24
	s_cbranch_execz .LBB311_464
; %bb.457:                              ;   in Loop: Header=BB311_433 Depth=1
	v_lshrrev_b32_e32 v28, 24, v24
	v_bfrev_b32_e32 v36, 1
	s_mov_b32 s23, exec_lo
	s_delay_alu instid0(VALU_DEP_2)
	v_cmpx_ne_u32_e32 0x80, v28
	s_cbranch_execz .LBB311_463
; %bb.458:                              ;   in Loop: Header=BB311_433 Depth=1
	v_bfe_u32 v34, v24, 24, 7
	v_mov_b32_e32 v36, 0x7f800001
	s_mov_b32 s24, exec_lo
	s_delay_alu instid0(VALU_DEP_2)
	v_cmpx_ne_u32_e32 0x7f, v34
	s_cbranch_execz .LBB311_462
; %bb.459:                              ;   in Loop: Header=BB311_433 Depth=1
	v_dual_lshrrev_b32 v29, 3, v34 :: v_dual_bitop2_b32 v16, 7, v28 bitop3:0x40
	s_mov_b32 s25, exec_lo
	v_cmpx_gt_u32_e32 8, v34
; %bb.460:                              ;   in Loop: Header=BB311_433 Depth=1
	s_delay_alu instid0(VALU_DEP_2) | instskip(NEXT) | instid1(VALU_DEP_1)
	v_clz_i32_u32_e32 v29, v16
	v_min_u32_e32 v29, 32, v29
	s_delay_alu instid0(VALU_DEP_1) | instskip(NEXT) | instid1(VALU_DEP_1)
	v_subrev_nc_u32_e32 v34, 28, v29
	v_lshlrev_b64_e32 v[34:35], v34, v[16:17]
	s_delay_alu instid0(VALU_DEP_1)
	v_dual_sub_nc_u32 v29, 29, v29 :: v_dual_bitop2_b32 v16, 7, v34 bitop3:0x40
; %bb.461:                              ;   in Loop: Header=BB311_433 Depth=1
	s_or_b32 exec_lo, exec_lo, s25
	v_lshlrev_b32_e32 v28, 24, v28
	s_delay_alu instid0(VALU_DEP_2) | instskip(NEXT) | instid1(VALU_DEP_3)
	v_lshlrev_b32_e32 v16, 20, v16
	v_lshl_add_u32 v29, v29, 23, 0x3c000000
	s_delay_alu instid0(VALU_DEP_3) | instskip(NEXT) | instid1(VALU_DEP_1)
	v_and_b32_e32 v28, 0x80000000, v28
	v_or3_b32 v36, v16, v28, v29
.LBB311_462:                            ;   in Loop: Header=BB311_433 Depth=1
	s_or_b32 exec_lo, exec_lo, s24
.LBB311_463:                            ;   in Loop: Header=BB311_433 Depth=1
	s_delay_alu instid0(SALU_CYCLE_1)
	s_or_b32 exec_lo, exec_lo, s23
.LBB311_464:                            ;   in Loop: Header=BB311_433 Depth=1
	s_delay_alu instid0(SALU_CYCLE_1) | instskip(SKIP_4) | instid1(VALU_DEP_3)
	s_or_b32 exec_lo, exec_lo, s0
	v_and_b32_e32 v29, 0xff, v25
	v_dual_mov_b32 v16, v25 :: v_dual_mov_b32 v28, 0
	v_mov_b32_e32 v35, 0
	s_mov_b32 s0, exec_lo
	v_cmpx_ne_u16_e32 0, v29
	s_cbranch_execz .LBB311_470
; %bb.465:                              ;   in Loop: Header=BB311_433 Depth=1
	v_bfrev_b32_e32 v35, 1
	s_mov_b32 s23, exec_lo
	v_cmpx_ne_u16_e32 0x80, v29
	s_cbranch_execz .LBB311_469
; %bb.466:                              ;   in Loop: Header=BB311_433 Depth=1
	v_and_b32_e32 v29, 0x7f, v25
	v_mov_b32_e32 v35, 0x7f800001
	s_mov_b32 s24, exec_lo
	s_delay_alu instid0(VALU_DEP_2)
	v_cmpx_ne_u32_e32 0x7f, v29
	s_cbranch_execz .LBB311_468
; %bb.467:                              ;   in Loop: Header=BB311_433 Depth=1
	v_and_b32_e32 v34, 7, v25
	v_cmp_gt_u32_e32 vcc_lo, 8, v29
	s_delay_alu instid0(VALU_DEP_2) | instskip(NEXT) | instid1(VALU_DEP_1)
	v_clz_i32_u32_e32 v34, v34
	v_min_u32_e32 v34, 32, v34
	v_lshrrev_b32_e32 v35, 3, v29
	s_delay_alu instid0(VALU_DEP_2) | instskip(SKIP_1) | instid1(VALU_DEP_1)
	v_subrev_nc_u32_e32 v38, 28, v34
	v_sub_nc_u32_e32 v34, 29, v34
	v_cndmask_b32_e32 v29, v35, v34, vcc_lo
	s_delay_alu instid0(VALU_DEP_3) | instskip(NEXT) | instid1(VALU_DEP_1)
	v_cndmask_b32_e32 v34, 0, v38, vcc_lo
	v_lshlrev_b64_e32 v[34:35], v34, v[16:17]
	v_lshlrev_b32_e32 v35, 24, v16
	s_delay_alu instid0(VALU_DEP_1) | instskip(NEXT) | instid1(VALU_DEP_3)
	v_and_b32_e32 v35, 0x80000000, v35
	v_lshlrev_b32_e32 v34, 20, v34
	v_lshl_add_u32 v29, v29, 23, 0x3c000000
	s_delay_alu instid0(VALU_DEP_2) | instskip(NEXT) | instid1(VALU_DEP_1)
	v_and_b32_e32 v34, 0x700000, v34
	v_or3_b32 v35, v34, v35, v29
.LBB311_468:                            ;   in Loop: Header=BB311_433 Depth=1
	s_or_b32 exec_lo, exec_lo, s24
.LBB311_469:                            ;   in Loop: Header=BB311_433 Depth=1
	s_delay_alu instid0(SALU_CYCLE_1)
	s_or_b32 exec_lo, exec_lo, s23
.LBB311_470:                            ;   in Loop: Header=BB311_433 Depth=1
	s_delay_alu instid0(SALU_CYCLE_1) | instskip(SKIP_2) | instid1(VALU_DEP_1)
	s_or_b32 exec_lo, exec_lo, s0
	v_lshrrev_b16 v29, 8, v16
	s_mov_b32 s0, exec_lo
	v_cmpx_ne_u16_e32 0, v29
	s_cbranch_execz .LBB311_478
; %bb.471:                              ;   in Loop: Header=BB311_433 Depth=1
	v_bfrev_b32_e32 v28, 1
	s_mov_b32 s23, exec_lo
	v_cmpx_ne_u16_e32 0x80, v29
	s_cbranch_execz .LBB311_477
; %bb.472:                              ;   in Loop: Header=BB311_433 Depth=1
	v_and_b32_e32 v29, 0xffff, v29
	v_mov_b32_e32 v28, 0x7f800001
	s_mov_b32 s24, exec_lo
	s_delay_alu instid0(VALU_DEP_2) | instskip(NEXT) | instid1(VALU_DEP_1)
	v_and_b32_e32 v38, 0x7f, v29
	v_cmpx_ne_u32_e32 0x7f, v38
	s_cbranch_execz .LBB311_476
; %bb.473:                              ;   in Loop: Header=BB311_433 Depth=1
	v_dual_mov_b32 v29, v17 :: v_dual_bitop2_b32 v28, 7, v29 bitop3:0x40
	v_lshrrev_b32_e32 v34, 3, v38
	s_mov_b32 s25, exec_lo
	v_cmpx_gt_u32_e32 8, v38
; %bb.474:                              ;   in Loop: Header=BB311_433 Depth=1
	s_delay_alu instid0(VALU_DEP_3) | instskip(NEXT) | instid1(VALU_DEP_1)
	v_clz_i32_u32_e32 v34, v28
	v_min_u32_e32 v34, 32, v34
	s_delay_alu instid0(VALU_DEP_1) | instskip(NEXT) | instid1(VALU_DEP_1)
	v_subrev_nc_u32_e32 v38, 28, v34
	v_lshlrev_b64_e32 v[28:29], v38, v[28:29]
	s_delay_alu instid0(VALU_DEP_1)
	v_dual_sub_nc_u32 v34, 29, v34 :: v_dual_bitop2_b32 v28, 7, v28 bitop3:0x40
; %bb.475:                              ;   in Loop: Header=BB311_433 Depth=1
	s_or_b32 exec_lo, exec_lo, s25
	v_lshlrev_b32_e32 v16, 16, v16
	s_delay_alu instid0(VALU_DEP_2) | instskip(NEXT) | instid1(VALU_DEP_3)
	v_lshlrev_b32_e32 v28, 20, v28
	v_lshl_add_u32 v29, v34, 23, 0x3c000000
	s_delay_alu instid0(VALU_DEP_3) | instskip(NEXT) | instid1(VALU_DEP_1)
	v_and_b32_e32 v16, 0x80000000, v16
	v_or3_b32 v28, v28, v16, v29
.LBB311_476:                            ;   in Loop: Header=BB311_433 Depth=1
	s_or_b32 exec_lo, exec_lo, s24
.LBB311_477:                            ;   in Loop: Header=BB311_433 Depth=1
	s_delay_alu instid0(SALU_CYCLE_1)
	s_or_b32 exec_lo, exec_lo, s23
.LBB311_478:                            ;   in Loop: Header=BB311_433 Depth=1
	s_delay_alu instid0(SALU_CYCLE_1) | instskip(SKIP_3) | instid1(VALU_DEP_2)
	s_or_b32 exec_lo, exec_lo, s0
	v_dual_mov_b32 v29, 0 :: v_dual_lshrrev_b32 v34, 16, v25
	v_mov_b32_e32 v40, 0
	s_mov_b32 s0, exec_lo
	v_and_b32_e32 v16, 0xff, v34
	s_delay_alu instid0(VALU_DEP_1)
	v_cmpx_ne_u16_e32 0, v16
	s_cbranch_execz .LBB311_486
; %bb.479:                              ;   in Loop: Header=BB311_433 Depth=1
	v_bfrev_b32_e32 v40, 1
	s_mov_b32 s23, exec_lo
	v_cmpx_ne_u16_e32 0x80, v16
	s_cbranch_execz .LBB311_485
; %bb.480:                              ;   in Loop: Header=BB311_433 Depth=1
	v_bfe_u32 v39, v25, 16, 7
	v_mov_b32_e32 v40, 0x7f800001
	s_mov_b32 s24, exec_lo
	s_delay_alu instid0(VALU_DEP_2)
	v_cmpx_ne_u32_e32 0x7f, v39
	s_cbranch_execz .LBB311_484
; %bb.481:                              ;   in Loop: Header=BB311_433 Depth=1
	v_dual_lshrrev_b32 v38, 3, v39 :: v_dual_bitop2_b32 v16, 7, v34 bitop3:0x40
	s_mov_b32 s25, exec_lo
	v_cmpx_gt_u32_e32 8, v39
; %bb.482:                              ;   in Loop: Header=BB311_433 Depth=1
	s_delay_alu instid0(VALU_DEP_2) | instskip(NEXT) | instid1(VALU_DEP_1)
	v_clz_i32_u32_e32 v38, v16
	v_min_u32_e32 v38, 32, v38
	s_delay_alu instid0(VALU_DEP_1) | instskip(NEXT) | instid1(VALU_DEP_1)
	v_subrev_nc_u32_e32 v39, 28, v38
	v_lshlrev_b64_e32 v[40:41], v39, v[16:17]
	s_delay_alu instid0(VALU_DEP_1)
	v_dual_sub_nc_u32 v38, 29, v38 :: v_dual_bitop2_b32 v16, 7, v40 bitop3:0x40
; %bb.483:                              ;   in Loop: Header=BB311_433 Depth=1
	s_or_b32 exec_lo, exec_lo, s25
	s_delay_alu instid0(VALU_DEP_1) | instskip(NEXT) | instid1(VALU_DEP_2)
	v_dual_lshlrev_b32 v34, 24, v34 :: v_dual_lshlrev_b32 v16, 20, v16
	v_lshl_add_u32 v38, v38, 23, 0x3c000000
	s_delay_alu instid0(VALU_DEP_2) | instskip(NEXT) | instid1(VALU_DEP_1)
	v_and_b32_e32 v34, 0x80000000, v34
	v_or3_b32 v40, v16, v34, v38
.LBB311_484:                            ;   in Loop: Header=BB311_433 Depth=1
	s_or_b32 exec_lo, exec_lo, s24
.LBB311_485:                            ;   in Loop: Header=BB311_433 Depth=1
	s_delay_alu instid0(SALU_CYCLE_1)
	s_or_b32 exec_lo, exec_lo, s23
.LBB311_486:                            ;   in Loop: Header=BB311_433 Depth=1
	s_delay_alu instid0(SALU_CYCLE_1) | instskip(NEXT) | instid1(SALU_CYCLE_1)
	s_or_b32 exec_lo, exec_lo, s0
	s_mov_b32 s0, exec_lo
	v_cmpx_lt_u64_e64 s[2:3], v[24:25]
	s_cbranch_execz .LBB311_494
; %bb.487:                              ;   in Loop: Header=BB311_433 Depth=1
	v_lshrrev_b32_e32 v24, 24, v25
	v_bfrev_b32_e32 v29, 1
	s_mov_b32 s23, exec_lo
	s_delay_alu instid0(VALU_DEP_2)
	v_cmpx_ne_u32_e32 0x80, v24
	s_cbranch_execz .LBB311_493
; %bb.488:                              ;   in Loop: Header=BB311_433 Depth=1
	v_bfe_u32 v34, v25, 24, 7
	v_mov_b32_e32 v29, 0x7f800001
	s_mov_b32 s24, exec_lo
	s_delay_alu instid0(VALU_DEP_2)
	v_cmpx_ne_u32_e32 0x7f, v34
	s_cbranch_execz .LBB311_492
; %bb.489:                              ;   in Loop: Header=BB311_433 Depth=1
	v_dual_lshrrev_b32 v25, 3, v34 :: v_dual_bitop2_b32 v16, 7, v24 bitop3:0x40
	s_mov_b32 s25, exec_lo
	v_cmpx_gt_u32_e32 8, v34
; %bb.490:                              ;   in Loop: Header=BB311_433 Depth=1
	s_delay_alu instid0(VALU_DEP_2) | instskip(NEXT) | instid1(VALU_DEP_1)
	v_clz_i32_u32_e32 v25, v16
	v_min_u32_e32 v25, 32, v25
	s_delay_alu instid0(VALU_DEP_1) | instskip(NEXT) | instid1(VALU_DEP_1)
	v_subrev_nc_u32_e32 v29, 28, v25
	v_lshlrev_b64_e32 v[38:39], v29, v[16:17]
	s_delay_alu instid0(VALU_DEP_1)
	v_dual_sub_nc_u32 v25, 29, v25 :: v_dual_bitop2_b32 v16, 7, v38 bitop3:0x40
; %bb.491:                              ;   in Loop: Header=BB311_433 Depth=1
	s_or_b32 exec_lo, exec_lo, s25
	v_lshlrev_b32_e32 v24, 24, v24
	s_delay_alu instid0(VALU_DEP_2) | instskip(NEXT) | instid1(VALU_DEP_3)
	v_lshlrev_b32_e32 v16, 20, v16
	v_lshl_add_u32 v25, v25, 23, 0x3c000000
	s_delay_alu instid0(VALU_DEP_3) | instskip(NEXT) | instid1(VALU_DEP_1)
	v_and_b32_e32 v24, 0x80000000, v24
	v_or3_b32 v29, v16, v24, v25
.LBB311_492:                            ;   in Loop: Header=BB311_433 Depth=1
	s_or_b32 exec_lo, exec_lo, s24
.LBB311_493:                            ;   in Loop: Header=BB311_433 Depth=1
	s_delay_alu instid0(SALU_CYCLE_1)
	s_or_b32 exec_lo, exec_lo, s23
.LBB311_494:                            ;   in Loop: Header=BB311_433 Depth=1
	s_delay_alu instid0(SALU_CYCLE_1)
	s_or_b32 exec_lo, exec_lo, s0
	v_cmp_eq_u32_e32 vcc_lo, s26, v32
	s_wait_kmcnt 0x0
	v_fma_mixlo_bf16 v34, s22, v28, 0
	v_fma_mixlo_bf16 v35, s22, v35, 0
	;; [unrolled: 1-line block ×8, first 2 shown]
	v_dual_add_nc_u32 v46, 1, v26 :: v_dual_add_nc_u32 v45, 2, v26
	v_dual_add_nc_u32 v44, 3, v26 :: v_dual_add_nc_u32 v43, 4, v26
	v_dual_add_nc_u32 v42, 5, v26 :: v_dual_add_nc_u32 v41, 6, v26
	v_add_nc_u32_e32 v40, 7, v26
	s_and_saveexec_b32 s23, vcc_lo
	s_cbranch_execz .LBB311_496
; %bb.495:                              ;   in Loop: Header=BB311_433 Depth=1
	v_cmp_gt_i32_e64 s0, s34, v26
	s_delay_alu instid0(VALU_DEP_1) | instskip(SKIP_1) | instid1(VALU_DEP_1)
	v_cndmask_b32_e64 v39, 0, v39, s0
	v_cmp_gt_i32_e64 s0, s34, v46
	v_cndmask_b32_e64 v38, 0, v38, s0
	v_cmp_gt_i32_e64 s0, s34, v45
	s_delay_alu instid0(VALU_DEP_1) | instskip(SKIP_1) | instid1(VALU_DEP_1)
	v_cndmask_b32_e64 v37, 0, v37, s0
	v_cmp_gt_i32_e64 s0, s34, v44
	v_cndmask_b32_e64 v36, 0, v36, s0
	;; [unrolled: 5-line block ×4, first 2 shown]
.LBB311_496:                            ;   in Loop: Header=BB311_433 Depth=1
	s_or_b32 exec_lo, exec_lo, s23
	global_load_b64 v[24:25], v[22:23], off offset:256
	v_dual_mov_b32 v48, 0 :: v_dual_mov_b32 v47, 0
	s_mov_b32 s23, exec_lo
	s_wait_loadcnt 0x0
	v_and_b32_e32 v16, 0xff, v24
	s_delay_alu instid0(VALU_DEP_1)
	v_cmpx_ne_u16_e32 0, v16
	s_cbranch_execz .LBB311_502
; %bb.497:                              ;   in Loop: Header=BB311_433 Depth=1
	v_bfrev_b32_e32 v47, 1
	s_mov_b32 s24, exec_lo
	v_cmpx_ne_u16_e32 0x80, v16
	s_cbranch_execz .LBB311_501
; %bb.498:                              ;   in Loop: Header=BB311_433 Depth=1
	v_and_b32_e32 v16, 0x7f, v24
	v_mov_b32_e32 v47, 0x7f800001
	s_mov_b32 s25, exec_lo
	s_delay_alu instid0(VALU_DEP_2)
	v_cmpx_ne_u32_e32 0x7f, v16
	s_cbranch_execz .LBB311_500
; %bb.499:                              ;   in Loop: Header=BB311_433 Depth=1
	v_and_b32_e32 v28, 7, v24
	v_cmp_gt_u32_e64 s0, 8, v16
	s_delay_alu instid0(VALU_DEP_2) | instskip(NEXT) | instid1(VALU_DEP_1)
	v_clz_i32_u32_e32 v28, v28
	v_min_u32_e32 v28, 32, v28
	s_delay_alu instid0(VALU_DEP_1) | instskip(SKIP_2) | instid1(VALU_DEP_1)
	v_subrev_nc_u32_e32 v47, 28, v28
	v_lshrrev_b32_e32 v29, 3, v16
	v_sub_nc_u32_e32 v28, 29, v28
	v_dual_cndmask_b32 v16, v29, v28, s0 :: v_dual_cndmask_b32 v28, 0, v47, s0
	s_delay_alu instid0(VALU_DEP_1) | instskip(SKIP_1) | instid1(VALU_DEP_1)
	v_lshlrev_b64_e32 v[28:29], v28, v[24:25]
	v_lshlrev_b32_e32 v29, 24, v24
	v_and_b32_e32 v29, 0x80000000, v29
	s_delay_alu instid0(VALU_DEP_3) | instskip(SKIP_1) | instid1(VALU_DEP_2)
	v_lshlrev_b32_e32 v28, 20, v28
	v_lshl_add_u32 v16, v16, 23, 0x3c000000
	v_and_b32_e32 v28, 0x700000, v28
	s_delay_alu instid0(VALU_DEP_1)
	v_or3_b32 v47, v28, v29, v16
.LBB311_500:                            ;   in Loop: Header=BB311_433 Depth=1
	s_or_b32 exec_lo, exec_lo, s25
.LBB311_501:                            ;   in Loop: Header=BB311_433 Depth=1
	s_delay_alu instid0(SALU_CYCLE_1)
	s_or_b32 exec_lo, exec_lo, s24
.LBB311_502:                            ;   in Loop: Header=BB311_433 Depth=1
	s_delay_alu instid0(SALU_CYCLE_1) | instskip(SKIP_2) | instid1(VALU_DEP_1)
	s_or_b32 exec_lo, exec_lo, s23
	v_lshrrev_b16 v16, 8, v24
	s_mov_b32 s23, exec_lo
	v_cmpx_ne_u16_e32 0, v16
	s_cbranch_execz .LBB311_510
; %bb.503:                              ;   in Loop: Header=BB311_433 Depth=1
	v_bfrev_b32_e32 v48, 1
	s_mov_b32 s24, exec_lo
	v_cmpx_ne_u16_e32 0x80, v16
	s_cbranch_execz .LBB311_509
; %bb.504:                              ;   in Loop: Header=BB311_433 Depth=1
	v_and_b32_e32 v16, 0xffff, v16
	v_mov_b32_e32 v48, 0x7f800001
	s_mov_b32 s25, exec_lo
	s_delay_alu instid0(VALU_DEP_2) | instskip(NEXT) | instid1(VALU_DEP_1)
	v_and_b32_e32 v29, 0x7f, v16
	v_cmpx_ne_u32_e32 0x7f, v29
	s_cbranch_execz .LBB311_508
; %bb.505:                              ;   in Loop: Header=BB311_433 Depth=1
	v_dual_lshrrev_b32 v28, 3, v29 :: v_dual_bitop2_b32 v16, 7, v16 bitop3:0x40
	s_mov_b32 s27, exec_lo
	v_cmpx_gt_u32_e32 8, v29
; %bb.506:                              ;   in Loop: Header=BB311_433 Depth=1
	s_delay_alu instid0(VALU_DEP_2) | instskip(NEXT) | instid1(VALU_DEP_1)
	v_clz_i32_u32_e32 v28, v16
	v_min_u32_e32 v28, 32, v28
	s_delay_alu instid0(VALU_DEP_1) | instskip(SKIP_1) | instid1(VALU_DEP_2)
	v_subrev_nc_u32_e32 v29, 28, v28
	v_sub_nc_u32_e32 v28, 29, v28
	v_lshlrev_b64_e32 v[48:49], v29, v[16:17]
	s_delay_alu instid0(VALU_DEP_1)
	v_and_b32_e32 v16, 7, v48
; %bb.507:                              ;   in Loop: Header=BB311_433 Depth=1
	s_or_b32 exec_lo, exec_lo, s27
	v_lshlrev_b32_e32 v29, 16, v24
	s_delay_alu instid0(VALU_DEP_2) | instskip(SKIP_1) | instid1(VALU_DEP_3)
	v_lshlrev_b32_e32 v16, 20, v16
	v_lshl_add_u32 v28, v28, 23, 0x3c000000
	v_and_b32_e32 v29, 0x80000000, v29
	s_delay_alu instid0(VALU_DEP_1)
	v_or3_b32 v48, v16, v29, v28
.LBB311_508:                            ;   in Loop: Header=BB311_433 Depth=1
	s_or_b32 exec_lo, exec_lo, s25
.LBB311_509:                            ;   in Loop: Header=BB311_433 Depth=1
	s_delay_alu instid0(SALU_CYCLE_1)
	s_or_b32 exec_lo, exec_lo, s24
.LBB311_510:                            ;   in Loop: Header=BB311_433 Depth=1
	s_delay_alu instid0(SALU_CYCLE_1) | instskip(SKIP_3) | instid1(VALU_DEP_2)
	s_or_b32 exec_lo, exec_lo, s23
	v_dual_mov_b32 v51, 0 :: v_dual_lshrrev_b32 v28, 16, v24
	v_mov_b32_e32 v52, 0
	s_mov_b32 s23, exec_lo
	v_and_b32_e32 v16, 0xff, v28
	s_delay_alu instid0(VALU_DEP_1)
	v_cmpx_ne_u16_e32 0, v16
	s_cbranch_execz .LBB311_518
; %bb.511:                              ;   in Loop: Header=BB311_433 Depth=1
	v_bfrev_b32_e32 v52, 1
	s_mov_b32 s24, exec_lo
	v_cmpx_ne_u16_e32 0x80, v16
	s_cbranch_execz .LBB311_517
; %bb.512:                              ;   in Loop: Header=BB311_433 Depth=1
	v_bfe_u32 v49, v24, 16, 7
	v_mov_b32_e32 v52, 0x7f800001
	s_mov_b32 s25, exec_lo
	s_delay_alu instid0(VALU_DEP_2)
	v_cmpx_ne_u32_e32 0x7f, v49
	s_cbranch_execz .LBB311_516
; %bb.513:                              ;   in Loop: Header=BB311_433 Depth=1
	v_dual_lshrrev_b32 v29, 3, v49 :: v_dual_bitop2_b32 v16, 7, v28 bitop3:0x40
	s_mov_b32 s27, exec_lo
	v_cmpx_gt_u32_e32 8, v49
; %bb.514:                              ;   in Loop: Header=BB311_433 Depth=1
	s_delay_alu instid0(VALU_DEP_2) | instskip(NEXT) | instid1(VALU_DEP_1)
	v_clz_i32_u32_e32 v29, v16
	v_min_u32_e32 v29, 32, v29
	s_delay_alu instid0(VALU_DEP_1) | instskip(NEXT) | instid1(VALU_DEP_1)
	v_subrev_nc_u32_e32 v49, 28, v29
	v_lshlrev_b64_e32 v[52:53], v49, v[16:17]
	s_delay_alu instid0(VALU_DEP_1)
	v_dual_sub_nc_u32 v29, 29, v29 :: v_dual_bitop2_b32 v16, 7, v52 bitop3:0x40
; %bb.515:                              ;   in Loop: Header=BB311_433 Depth=1
	s_or_b32 exec_lo, exec_lo, s27
	v_lshlrev_b32_e32 v28, 24, v28
	s_delay_alu instid0(VALU_DEP_2) | instskip(NEXT) | instid1(VALU_DEP_3)
	v_lshlrev_b32_e32 v16, 20, v16
	v_lshl_add_u32 v29, v29, 23, 0x3c000000
	s_delay_alu instid0(VALU_DEP_3) | instskip(NEXT) | instid1(VALU_DEP_1)
	v_and_b32_e32 v28, 0x80000000, v28
	v_or3_b32 v52, v16, v28, v29
.LBB311_516:                            ;   in Loop: Header=BB311_433 Depth=1
	s_or_b32 exec_lo, exec_lo, s25
.LBB311_517:                            ;   in Loop: Header=BB311_433 Depth=1
	s_delay_alu instid0(SALU_CYCLE_1)
	s_or_b32 exec_lo, exec_lo, s24
.LBB311_518:                            ;   in Loop: Header=BB311_433 Depth=1
	s_delay_alu instid0(SALU_CYCLE_1) | instskip(NEXT) | instid1(SALU_CYCLE_1)
	s_or_b32 exec_lo, exec_lo, s23
	s_mov_b32 s23, exec_lo
	v_cmpx_lt_u32_e32 0xffffff, v24
	s_cbranch_execz .LBB311_526
; %bb.519:                              ;   in Loop: Header=BB311_433 Depth=1
	v_lshrrev_b32_e32 v28, 24, v24
	v_bfrev_b32_e32 v51, 1
	s_mov_b32 s24, exec_lo
	s_delay_alu instid0(VALU_DEP_2)
	v_cmpx_ne_u32_e32 0x80, v28
	s_cbranch_execz .LBB311_525
; %bb.520:                              ;   in Loop: Header=BB311_433 Depth=1
	v_bfe_u32 v49, v24, 24, 7
	v_mov_b32_e32 v51, 0x7f800001
	s_mov_b32 s25, exec_lo
	s_delay_alu instid0(VALU_DEP_2)
	v_cmpx_ne_u32_e32 0x7f, v49
	s_cbranch_execz .LBB311_524
; %bb.521:                              ;   in Loop: Header=BB311_433 Depth=1
	v_dual_lshrrev_b32 v29, 3, v49 :: v_dual_bitop2_b32 v16, 7, v28 bitop3:0x40
	s_mov_b32 s27, exec_lo
	v_cmpx_gt_u32_e32 8, v49
; %bb.522:                              ;   in Loop: Header=BB311_433 Depth=1
	s_delay_alu instid0(VALU_DEP_2) | instskip(NEXT) | instid1(VALU_DEP_1)
	v_clz_i32_u32_e32 v29, v16
	v_min_u32_e32 v29, 32, v29
	s_delay_alu instid0(VALU_DEP_1) | instskip(NEXT) | instid1(VALU_DEP_1)
	v_subrev_nc_u32_e32 v49, 28, v29
	v_lshlrev_b64_e32 v[50:51], v49, v[16:17]
	s_delay_alu instid0(VALU_DEP_1)
	v_dual_sub_nc_u32 v29, 29, v29 :: v_dual_bitop2_b32 v16, 7, v50 bitop3:0x40
; %bb.523:                              ;   in Loop: Header=BB311_433 Depth=1
	s_or_b32 exec_lo, exec_lo, s27
	v_lshlrev_b32_e32 v28, 24, v28
	s_delay_alu instid0(VALU_DEP_2) | instskip(NEXT) | instid1(VALU_DEP_3)
	v_lshlrev_b32_e32 v16, 20, v16
	v_lshl_add_u32 v29, v29, 23, 0x3c000000
	s_delay_alu instid0(VALU_DEP_3) | instskip(NEXT) | instid1(VALU_DEP_1)
	v_and_b32_e32 v28, 0x80000000, v28
	v_or3_b32 v51, v16, v28, v29
.LBB311_524:                            ;   in Loop: Header=BB311_433 Depth=1
	s_or_b32 exec_lo, exec_lo, s25
.LBB311_525:                            ;   in Loop: Header=BB311_433 Depth=1
	s_delay_alu instid0(SALU_CYCLE_1)
	s_or_b32 exec_lo, exec_lo, s24
.LBB311_526:                            ;   in Loop: Header=BB311_433 Depth=1
	s_delay_alu instid0(SALU_CYCLE_1) | instskip(SKIP_4) | instid1(VALU_DEP_3)
	s_or_b32 exec_lo, exec_lo, s23
	v_and_b32_e32 v29, 0xff, v25
	v_dual_mov_b32 v16, v25 :: v_dual_mov_b32 v28, 0
	v_mov_b32_e32 v50, 0
	s_mov_b32 s23, exec_lo
	v_cmpx_ne_u16_e32 0, v29
	s_cbranch_execz .LBB311_532
; %bb.527:                              ;   in Loop: Header=BB311_433 Depth=1
	v_bfrev_b32_e32 v50, 1
	s_mov_b32 s24, exec_lo
	v_cmpx_ne_u16_e32 0x80, v29
	s_cbranch_execz .LBB311_531
; %bb.528:                              ;   in Loop: Header=BB311_433 Depth=1
	v_and_b32_e32 v29, 0x7f, v25
	v_mov_b32_e32 v50, 0x7f800001
	s_mov_b32 s25, exec_lo
	s_delay_alu instid0(VALU_DEP_2)
	v_cmpx_ne_u32_e32 0x7f, v29
	s_cbranch_execz .LBB311_530
; %bb.529:                              ;   in Loop: Header=BB311_433 Depth=1
	v_and_b32_e32 v49, 7, v25
	v_lshrrev_b32_e32 v50, 3, v29
	v_cmp_gt_u32_e64 s0, 8, v29
	s_delay_alu instid0(VALU_DEP_3) | instskip(NEXT) | instid1(VALU_DEP_1)
	v_clz_i32_u32_e32 v49, v49
	v_min_u32_e32 v49, 32, v49
	s_delay_alu instid0(VALU_DEP_1) | instskip(SKIP_1) | instid1(VALU_DEP_1)
	v_subrev_nc_u32_e32 v53, 28, v49
	v_sub_nc_u32_e32 v49, 29, v49
	v_cndmask_b32_e64 v29, v50, v49, s0
	s_delay_alu instid0(VALU_DEP_3) | instskip(NEXT) | instid1(VALU_DEP_2)
	v_cndmask_b32_e64 v49, 0, v53, s0
	v_lshl_add_u32 v29, v29, 23, 0x3c000000
	s_delay_alu instid0(VALU_DEP_2) | instskip(SKIP_1) | instid1(VALU_DEP_1)
	v_lshlrev_b64_e32 v[54:55], v49, v[16:17]
	v_lshlrev_b32_e32 v49, 24, v16
	v_and_b32_e32 v49, 0x80000000, v49
	s_delay_alu instid0(VALU_DEP_3) | instskip(NEXT) | instid1(VALU_DEP_1)
	v_lshlrev_b32_e32 v50, 20, v54
	v_and_b32_e32 v50, 0x700000, v50
	s_delay_alu instid0(VALU_DEP_1)
	v_or3_b32 v50, v50, v49, v29
.LBB311_530:                            ;   in Loop: Header=BB311_433 Depth=1
	s_or_b32 exec_lo, exec_lo, s25
.LBB311_531:                            ;   in Loop: Header=BB311_433 Depth=1
	s_delay_alu instid0(SALU_CYCLE_1)
	s_or_b32 exec_lo, exec_lo, s24
.LBB311_532:                            ;   in Loop: Header=BB311_433 Depth=1
	s_delay_alu instid0(SALU_CYCLE_1) | instskip(SKIP_2) | instid1(VALU_DEP_1)
	s_or_b32 exec_lo, exec_lo, s23
	v_lshrrev_b16 v29, 8, v16
	s_mov_b32 s23, exec_lo
	v_cmpx_ne_u16_e32 0, v29
	s_cbranch_execz .LBB311_540
; %bb.533:                              ;   in Loop: Header=BB311_433 Depth=1
	v_bfrev_b32_e32 v28, 1
	s_mov_b32 s24, exec_lo
	v_cmpx_ne_u16_e32 0x80, v29
	s_cbranch_execz .LBB311_539
; %bb.534:                              ;   in Loop: Header=BB311_433 Depth=1
	v_and_b32_e32 v29, 0xffff, v29
	v_mov_b32_e32 v28, 0x7f800001
	s_mov_b32 s25, exec_lo
	s_delay_alu instid0(VALU_DEP_2) | instskip(NEXT) | instid1(VALU_DEP_1)
	v_and_b32_e32 v53, 0x7f, v29
	v_cmpx_ne_u32_e32 0x7f, v53
	s_cbranch_execz .LBB311_538
; %bb.535:                              ;   in Loop: Header=BB311_433 Depth=1
	v_dual_mov_b32 v29, v17 :: v_dual_bitop2_b32 v28, 7, v29 bitop3:0x40
	v_lshrrev_b32_e32 v49, 3, v53
	s_mov_b32 s27, exec_lo
	v_cmpx_gt_u32_e32 8, v53
; %bb.536:                              ;   in Loop: Header=BB311_433 Depth=1
	s_delay_alu instid0(VALU_DEP_3) | instskip(NEXT) | instid1(VALU_DEP_1)
	v_clz_i32_u32_e32 v49, v28
	v_min_u32_e32 v49, 32, v49
	s_delay_alu instid0(VALU_DEP_1) | instskip(NEXT) | instid1(VALU_DEP_1)
	v_subrev_nc_u32_e32 v53, 28, v49
	v_lshlrev_b64_e32 v[28:29], v53, v[28:29]
	s_delay_alu instid0(VALU_DEP_1)
	v_dual_sub_nc_u32 v49, 29, v49 :: v_dual_bitop2_b32 v28, 7, v28 bitop3:0x40
; %bb.537:                              ;   in Loop: Header=BB311_433 Depth=1
	s_or_b32 exec_lo, exec_lo, s27
	v_lshlrev_b32_e32 v16, 16, v16
	s_delay_alu instid0(VALU_DEP_2) | instskip(NEXT) | instid1(VALU_DEP_3)
	v_lshlrev_b32_e32 v28, 20, v28
	v_lshl_add_u32 v29, v49, 23, 0x3c000000
	s_delay_alu instid0(VALU_DEP_3) | instskip(NEXT) | instid1(VALU_DEP_1)
	v_and_b32_e32 v16, 0x80000000, v16
	v_or3_b32 v28, v28, v16, v29
.LBB311_538:                            ;   in Loop: Header=BB311_433 Depth=1
	s_or_b32 exec_lo, exec_lo, s25
.LBB311_539:                            ;   in Loop: Header=BB311_433 Depth=1
	s_delay_alu instid0(SALU_CYCLE_1)
	s_or_b32 exec_lo, exec_lo, s24
.LBB311_540:                            ;   in Loop: Header=BB311_433 Depth=1
	s_delay_alu instid0(SALU_CYCLE_1) | instskip(SKIP_3) | instid1(VALU_DEP_2)
	s_or_b32 exec_lo, exec_lo, s23
	v_dual_lshrrev_b32 v49, 16, v25 :: v_dual_mov_b32 v29, 0
	v_mov_b32_e32 v55, 0
	s_mov_b32 s23, exec_lo
	v_and_b32_e32 v16, 0xff, v49
	s_delay_alu instid0(VALU_DEP_1)
	v_cmpx_ne_u16_e32 0, v16
	s_cbranch_execz .LBB311_548
; %bb.541:                              ;   in Loop: Header=BB311_433 Depth=1
	v_bfrev_b32_e32 v55, 1
	s_mov_b32 s24, exec_lo
	v_cmpx_ne_u16_e32 0x80, v16
	s_cbranch_execz .LBB311_547
; %bb.542:                              ;   in Loop: Header=BB311_433 Depth=1
	v_bfe_u32 v54, v25, 16, 7
	v_mov_b32_e32 v55, 0x7f800001
	s_mov_b32 s25, exec_lo
	s_delay_alu instid0(VALU_DEP_2)
	v_cmpx_ne_u32_e32 0x7f, v54
	s_cbranch_execz .LBB311_546
; %bb.543:                              ;   in Loop: Header=BB311_433 Depth=1
	v_dual_lshrrev_b32 v53, 3, v54 :: v_dual_bitop2_b32 v16, 7, v49 bitop3:0x40
	s_mov_b32 s27, exec_lo
	v_cmpx_gt_u32_e32 8, v54
; %bb.544:                              ;   in Loop: Header=BB311_433 Depth=1
	s_delay_alu instid0(VALU_DEP_2) | instskip(NEXT) | instid1(VALU_DEP_1)
	v_clz_i32_u32_e32 v53, v16
	v_min_u32_e32 v53, 32, v53
	s_delay_alu instid0(VALU_DEP_1) | instskip(NEXT) | instid1(VALU_DEP_1)
	v_subrev_nc_u32_e32 v54, 28, v53
	v_lshlrev_b64_e32 v[54:55], v54, v[16:17]
	s_delay_alu instid0(VALU_DEP_1)
	v_dual_sub_nc_u32 v53, 29, v53 :: v_dual_bitop2_b32 v16, 7, v54 bitop3:0x40
; %bb.545:                              ;   in Loop: Header=BB311_433 Depth=1
	s_or_b32 exec_lo, exec_lo, s27
	s_delay_alu instid0(VALU_DEP_1) | instskip(NEXT) | instid1(VALU_DEP_2)
	v_dual_lshlrev_b32 v49, 24, v49 :: v_dual_lshlrev_b32 v16, 20, v16
	v_lshl_add_u32 v53, v53, 23, 0x3c000000
	s_delay_alu instid0(VALU_DEP_2) | instskip(NEXT) | instid1(VALU_DEP_1)
	v_and_b32_e32 v49, 0x80000000, v49
	v_or3_b32 v55, v16, v49, v53
.LBB311_546:                            ;   in Loop: Header=BB311_433 Depth=1
	s_or_b32 exec_lo, exec_lo, s25
.LBB311_547:                            ;   in Loop: Header=BB311_433 Depth=1
	s_delay_alu instid0(SALU_CYCLE_1)
	s_or_b32 exec_lo, exec_lo, s24
.LBB311_548:                            ;   in Loop: Header=BB311_433 Depth=1
	s_delay_alu instid0(SALU_CYCLE_1) | instskip(NEXT) | instid1(SALU_CYCLE_1)
	s_or_b32 exec_lo, exec_lo, s23
	s_mov_b32 s23, exec_lo
	v_cmpx_lt_u64_e64 s[2:3], v[24:25]
	s_cbranch_execz .LBB311_556
; %bb.549:                              ;   in Loop: Header=BB311_433 Depth=1
	v_lshrrev_b32_e32 v24, 24, v25
	v_bfrev_b32_e32 v29, 1
	s_mov_b32 s24, exec_lo
	s_delay_alu instid0(VALU_DEP_2)
	v_cmpx_ne_u32_e32 0x80, v24
	s_cbranch_execz .LBB311_555
; %bb.550:                              ;   in Loop: Header=BB311_433 Depth=1
	v_bfe_u32 v49, v25, 24, 7
	v_mov_b32_e32 v29, 0x7f800001
	s_mov_b32 s25, exec_lo
	s_delay_alu instid0(VALU_DEP_2)
	v_cmpx_ne_u32_e32 0x7f, v49
	s_cbranch_execz .LBB311_554
; %bb.551:                              ;   in Loop: Header=BB311_433 Depth=1
	v_dual_lshrrev_b32 v25, 3, v49 :: v_dual_bitop2_b32 v16, 7, v24 bitop3:0x40
	s_mov_b32 s27, exec_lo
	v_cmpx_gt_u32_e32 8, v49
; %bb.552:                              ;   in Loop: Header=BB311_433 Depth=1
	s_delay_alu instid0(VALU_DEP_2) | instskip(NEXT) | instid1(VALU_DEP_1)
	v_clz_i32_u32_e32 v25, v16
	v_min_u32_e32 v25, 32, v25
	s_delay_alu instid0(VALU_DEP_1) | instskip(NEXT) | instid1(VALU_DEP_1)
	v_subrev_nc_u32_e32 v29, 28, v25
	v_lshlrev_b64_e32 v[56:57], v29, v[16:17]
	s_delay_alu instid0(VALU_DEP_1)
	v_dual_sub_nc_u32 v25, 29, v25 :: v_dual_bitop2_b32 v16, 7, v56 bitop3:0x40
; %bb.553:                              ;   in Loop: Header=BB311_433 Depth=1
	s_or_b32 exec_lo, exec_lo, s27
	v_lshlrev_b32_e32 v24, 24, v24
	s_delay_alu instid0(VALU_DEP_2) | instskip(NEXT) | instid1(VALU_DEP_3)
	v_lshlrev_b32_e32 v16, 20, v16
	v_lshl_add_u32 v25, v25, 23, 0x3c000000
	s_delay_alu instid0(VALU_DEP_3) | instskip(NEXT) | instid1(VALU_DEP_1)
	v_and_b32_e32 v24, 0x80000000, v24
	v_or3_b32 v29, v16, v24, v25
.LBB311_554:                            ;   in Loop: Header=BB311_433 Depth=1
	s_or_b32 exec_lo, exec_lo, s25
.LBB311_555:                            ;   in Loop: Header=BB311_433 Depth=1
	s_delay_alu instid0(SALU_CYCLE_1)
	s_or_b32 exec_lo, exec_lo, s24
.LBB311_556:                            ;   in Loop: Header=BB311_433 Depth=1
	s_delay_alu instid0(SALU_CYCLE_1)
	s_or_b32 exec_lo, exec_lo, s23
	v_fma_mixlo_bf16 v49, s22, v28, 0
	v_fma_mixlo_bf16 v50, s22, v50, 0
	;; [unrolled: 1-line block ×8, first 2 shown]
	s_and_saveexec_b32 s23, vcc_lo
	s_cbranch_execz .LBB311_558
; %bb.557:                              ;   in Loop: Header=BB311_433 Depth=1
	v_cmp_gt_i32_e64 s0, s34, v26
	s_delay_alu instid0(VALU_DEP_1) | instskip(SKIP_1) | instid1(VALU_DEP_1)
	v_cndmask_b32_e64 v54, 0, v54, s0
	v_cmp_gt_i32_e64 s0, s34, v46
	v_cndmask_b32_e64 v53, 0, v53, s0
	v_cmp_gt_i32_e64 s0, s34, v45
	s_delay_alu instid0(VALU_DEP_1) | instskip(SKIP_1) | instid1(VALU_DEP_1)
	v_cndmask_b32_e64 v52, 0, v52, s0
	v_cmp_gt_i32_e64 s0, s34, v44
	v_cndmask_b32_e64 v51, 0, v51, s0
	;; [unrolled: 5-line block ×4, first 2 shown]
.LBB311_558:                            ;   in Loop: Header=BB311_433 Depth=1
	s_or_b32 exec_lo, exec_lo, s23
	global_load_b64 v[24:25], v[22:23], off offset:512
	v_dual_mov_b32 v56, 0 :: v_dual_mov_b32 v55, 0
	s_mov_b32 s23, exec_lo
	s_wait_loadcnt 0x0
	v_and_b32_e32 v16, 0xff, v24
	s_delay_alu instid0(VALU_DEP_1)
	v_cmpx_ne_u16_e32 0, v16
	s_cbranch_execz .LBB311_564
; %bb.559:                              ;   in Loop: Header=BB311_433 Depth=1
	v_bfrev_b32_e32 v55, 1
	s_mov_b32 s24, exec_lo
	v_cmpx_ne_u16_e32 0x80, v16
	s_cbranch_execz .LBB311_563
; %bb.560:                              ;   in Loop: Header=BB311_433 Depth=1
	v_and_b32_e32 v16, 0x7f, v24
	v_mov_b32_e32 v55, 0x7f800001
	s_mov_b32 s25, exec_lo
	s_delay_alu instid0(VALU_DEP_2)
	v_cmpx_ne_u32_e32 0x7f, v16
	s_cbranch_execz .LBB311_562
; %bb.561:                              ;   in Loop: Header=BB311_433 Depth=1
	v_and_b32_e32 v28, 7, v24
	v_cmp_gt_u32_e64 s0, 8, v16
	s_delay_alu instid0(VALU_DEP_2) | instskip(NEXT) | instid1(VALU_DEP_1)
	v_clz_i32_u32_e32 v28, v28
	v_min_u32_e32 v28, 32, v28
	s_delay_alu instid0(VALU_DEP_1) | instskip(SKIP_2) | instid1(VALU_DEP_1)
	v_subrev_nc_u32_e32 v55, 28, v28
	v_lshrrev_b32_e32 v29, 3, v16
	v_sub_nc_u32_e32 v28, 29, v28
	v_dual_cndmask_b32 v16, v29, v28, s0 :: v_dual_cndmask_b32 v28, 0, v55, s0
	s_delay_alu instid0(VALU_DEP_1) | instskip(SKIP_1) | instid1(VALU_DEP_1)
	v_lshlrev_b64_e32 v[28:29], v28, v[24:25]
	v_lshlrev_b32_e32 v29, 24, v24
	v_and_b32_e32 v29, 0x80000000, v29
	s_delay_alu instid0(VALU_DEP_3) | instskip(SKIP_1) | instid1(VALU_DEP_2)
	v_lshlrev_b32_e32 v28, 20, v28
	v_lshl_add_u32 v16, v16, 23, 0x3c000000
	v_and_b32_e32 v28, 0x700000, v28
	s_delay_alu instid0(VALU_DEP_1)
	v_or3_b32 v55, v28, v29, v16
.LBB311_562:                            ;   in Loop: Header=BB311_433 Depth=1
	s_or_b32 exec_lo, exec_lo, s25
.LBB311_563:                            ;   in Loop: Header=BB311_433 Depth=1
	s_delay_alu instid0(SALU_CYCLE_1)
	s_or_b32 exec_lo, exec_lo, s24
.LBB311_564:                            ;   in Loop: Header=BB311_433 Depth=1
	s_delay_alu instid0(SALU_CYCLE_1) | instskip(SKIP_2) | instid1(VALU_DEP_1)
	s_or_b32 exec_lo, exec_lo, s23
	v_lshrrev_b16 v16, 8, v24
	s_mov_b32 s23, exec_lo
	v_cmpx_ne_u16_e32 0, v16
	s_cbranch_execz .LBB311_572
; %bb.565:                              ;   in Loop: Header=BB311_433 Depth=1
	v_bfrev_b32_e32 v56, 1
	s_mov_b32 s24, exec_lo
	v_cmpx_ne_u16_e32 0x80, v16
	s_cbranch_execz .LBB311_571
; %bb.566:                              ;   in Loop: Header=BB311_433 Depth=1
	v_and_b32_e32 v16, 0xffff, v16
	v_mov_b32_e32 v56, 0x7f800001
	s_mov_b32 s25, exec_lo
	s_delay_alu instid0(VALU_DEP_2) | instskip(NEXT) | instid1(VALU_DEP_1)
	v_and_b32_e32 v29, 0x7f, v16
	v_cmpx_ne_u32_e32 0x7f, v29
	s_cbranch_execz .LBB311_570
; %bb.567:                              ;   in Loop: Header=BB311_433 Depth=1
	v_dual_lshrrev_b32 v28, 3, v29 :: v_dual_bitop2_b32 v16, 7, v16 bitop3:0x40
	s_mov_b32 s27, exec_lo
	v_cmpx_gt_u32_e32 8, v29
; %bb.568:                              ;   in Loop: Header=BB311_433 Depth=1
	s_delay_alu instid0(VALU_DEP_2) | instskip(NEXT) | instid1(VALU_DEP_1)
	v_clz_i32_u32_e32 v28, v16
	v_min_u32_e32 v28, 32, v28
	s_delay_alu instid0(VALU_DEP_1) | instskip(SKIP_1) | instid1(VALU_DEP_2)
	v_subrev_nc_u32_e32 v29, 28, v28
	v_sub_nc_u32_e32 v28, 29, v28
	v_lshlrev_b64_e32 v[56:57], v29, v[16:17]
	s_delay_alu instid0(VALU_DEP_1)
	v_and_b32_e32 v16, 7, v56
; %bb.569:                              ;   in Loop: Header=BB311_433 Depth=1
	s_or_b32 exec_lo, exec_lo, s27
	v_lshlrev_b32_e32 v29, 16, v24
	s_delay_alu instid0(VALU_DEP_2) | instskip(SKIP_1) | instid1(VALU_DEP_3)
	v_lshlrev_b32_e32 v16, 20, v16
	v_lshl_add_u32 v28, v28, 23, 0x3c000000
	v_and_b32_e32 v29, 0x80000000, v29
	s_delay_alu instid0(VALU_DEP_1)
	v_or3_b32 v56, v16, v29, v28
.LBB311_570:                            ;   in Loop: Header=BB311_433 Depth=1
	s_or_b32 exec_lo, exec_lo, s25
.LBB311_571:                            ;   in Loop: Header=BB311_433 Depth=1
	s_delay_alu instid0(SALU_CYCLE_1)
	s_or_b32 exec_lo, exec_lo, s24
.LBB311_572:                            ;   in Loop: Header=BB311_433 Depth=1
	s_delay_alu instid0(SALU_CYCLE_1) | instskip(SKIP_3) | instid1(VALU_DEP_2)
	s_or_b32 exec_lo, exec_lo, s23
	v_dual_mov_b32 v59, 0 :: v_dual_lshrrev_b32 v28, 16, v24
	v_mov_b32_e32 v60, 0
	s_mov_b32 s23, exec_lo
	v_and_b32_e32 v16, 0xff, v28
	s_delay_alu instid0(VALU_DEP_1)
	v_cmpx_ne_u16_e32 0, v16
	s_cbranch_execz .LBB311_580
; %bb.573:                              ;   in Loop: Header=BB311_433 Depth=1
	v_bfrev_b32_e32 v60, 1
	s_mov_b32 s24, exec_lo
	v_cmpx_ne_u16_e32 0x80, v16
	s_cbranch_execz .LBB311_579
; %bb.574:                              ;   in Loop: Header=BB311_433 Depth=1
	v_bfe_u32 v57, v24, 16, 7
	v_mov_b32_e32 v60, 0x7f800001
	s_mov_b32 s25, exec_lo
	s_delay_alu instid0(VALU_DEP_2)
	v_cmpx_ne_u32_e32 0x7f, v57
	s_cbranch_execz .LBB311_578
; %bb.575:                              ;   in Loop: Header=BB311_433 Depth=1
	v_dual_lshrrev_b32 v29, 3, v57 :: v_dual_bitop2_b32 v16, 7, v28 bitop3:0x40
	s_mov_b32 s27, exec_lo
	v_cmpx_gt_u32_e32 8, v57
; %bb.576:                              ;   in Loop: Header=BB311_433 Depth=1
	s_delay_alu instid0(VALU_DEP_2) | instskip(NEXT) | instid1(VALU_DEP_1)
	v_clz_i32_u32_e32 v29, v16
	v_min_u32_e32 v29, 32, v29
	s_delay_alu instid0(VALU_DEP_1) | instskip(NEXT) | instid1(VALU_DEP_1)
	v_subrev_nc_u32_e32 v57, 28, v29
	v_lshlrev_b64_e32 v[60:61], v57, v[16:17]
	s_delay_alu instid0(VALU_DEP_1)
	v_dual_sub_nc_u32 v29, 29, v29 :: v_dual_bitop2_b32 v16, 7, v60 bitop3:0x40
; %bb.577:                              ;   in Loop: Header=BB311_433 Depth=1
	s_or_b32 exec_lo, exec_lo, s27
	v_lshlrev_b32_e32 v28, 24, v28
	s_delay_alu instid0(VALU_DEP_2) | instskip(NEXT) | instid1(VALU_DEP_3)
	v_lshlrev_b32_e32 v16, 20, v16
	v_lshl_add_u32 v29, v29, 23, 0x3c000000
	s_delay_alu instid0(VALU_DEP_3) | instskip(NEXT) | instid1(VALU_DEP_1)
	v_and_b32_e32 v28, 0x80000000, v28
	v_or3_b32 v60, v16, v28, v29
.LBB311_578:                            ;   in Loop: Header=BB311_433 Depth=1
	s_or_b32 exec_lo, exec_lo, s25
.LBB311_579:                            ;   in Loop: Header=BB311_433 Depth=1
	s_delay_alu instid0(SALU_CYCLE_1)
	s_or_b32 exec_lo, exec_lo, s24
.LBB311_580:                            ;   in Loop: Header=BB311_433 Depth=1
	s_delay_alu instid0(SALU_CYCLE_1) | instskip(NEXT) | instid1(SALU_CYCLE_1)
	s_or_b32 exec_lo, exec_lo, s23
	s_mov_b32 s23, exec_lo
	v_cmpx_lt_u32_e32 0xffffff, v24
	s_cbranch_execz .LBB311_588
; %bb.581:                              ;   in Loop: Header=BB311_433 Depth=1
	v_lshrrev_b32_e32 v28, 24, v24
	v_bfrev_b32_e32 v59, 1
	s_mov_b32 s24, exec_lo
	s_delay_alu instid0(VALU_DEP_2)
	v_cmpx_ne_u32_e32 0x80, v28
	s_cbranch_execz .LBB311_587
; %bb.582:                              ;   in Loop: Header=BB311_433 Depth=1
	v_bfe_u32 v57, v24, 24, 7
	v_mov_b32_e32 v59, 0x7f800001
	s_mov_b32 s25, exec_lo
	s_delay_alu instid0(VALU_DEP_2)
	v_cmpx_ne_u32_e32 0x7f, v57
	s_cbranch_execz .LBB311_586
; %bb.583:                              ;   in Loop: Header=BB311_433 Depth=1
	v_dual_lshrrev_b32 v29, 3, v57 :: v_dual_bitop2_b32 v16, 7, v28 bitop3:0x40
	s_mov_b32 s27, exec_lo
	v_cmpx_gt_u32_e32 8, v57
; %bb.584:                              ;   in Loop: Header=BB311_433 Depth=1
	s_delay_alu instid0(VALU_DEP_2) | instskip(NEXT) | instid1(VALU_DEP_1)
	v_clz_i32_u32_e32 v29, v16
	v_min_u32_e32 v29, 32, v29
	s_delay_alu instid0(VALU_DEP_1) | instskip(NEXT) | instid1(VALU_DEP_1)
	v_subrev_nc_u32_e32 v57, 28, v29
	v_lshlrev_b64_e32 v[58:59], v57, v[16:17]
	s_delay_alu instid0(VALU_DEP_1)
	v_dual_sub_nc_u32 v29, 29, v29 :: v_dual_bitop2_b32 v16, 7, v58 bitop3:0x40
; %bb.585:                              ;   in Loop: Header=BB311_433 Depth=1
	s_or_b32 exec_lo, exec_lo, s27
	v_lshlrev_b32_e32 v28, 24, v28
	s_delay_alu instid0(VALU_DEP_2) | instskip(NEXT) | instid1(VALU_DEP_3)
	v_lshlrev_b32_e32 v16, 20, v16
	v_lshl_add_u32 v29, v29, 23, 0x3c000000
	s_delay_alu instid0(VALU_DEP_3) | instskip(NEXT) | instid1(VALU_DEP_1)
	v_and_b32_e32 v28, 0x80000000, v28
	v_or3_b32 v59, v16, v28, v29
.LBB311_586:                            ;   in Loop: Header=BB311_433 Depth=1
	s_or_b32 exec_lo, exec_lo, s25
.LBB311_587:                            ;   in Loop: Header=BB311_433 Depth=1
	s_delay_alu instid0(SALU_CYCLE_1)
	s_or_b32 exec_lo, exec_lo, s24
.LBB311_588:                            ;   in Loop: Header=BB311_433 Depth=1
	s_delay_alu instid0(SALU_CYCLE_1) | instskip(SKIP_4) | instid1(VALU_DEP_3)
	s_or_b32 exec_lo, exec_lo, s23
	v_and_b32_e32 v29, 0xff, v25
	v_dual_mov_b32 v16, v25 :: v_dual_mov_b32 v28, 0
	v_mov_b32_e32 v58, 0
	s_mov_b32 s23, exec_lo
	v_cmpx_ne_u16_e32 0, v29
	s_cbranch_execz .LBB311_594
; %bb.589:                              ;   in Loop: Header=BB311_433 Depth=1
	v_bfrev_b32_e32 v58, 1
	s_mov_b32 s24, exec_lo
	v_cmpx_ne_u16_e32 0x80, v29
	s_cbranch_execz .LBB311_593
; %bb.590:                              ;   in Loop: Header=BB311_433 Depth=1
	v_and_b32_e32 v29, 0x7f, v25
	v_mov_b32_e32 v58, 0x7f800001
	s_mov_b32 s25, exec_lo
	s_delay_alu instid0(VALU_DEP_2)
	v_cmpx_ne_u32_e32 0x7f, v29
	s_cbranch_execz .LBB311_592
; %bb.591:                              ;   in Loop: Header=BB311_433 Depth=1
	v_and_b32_e32 v57, 7, v25
	v_lshrrev_b32_e32 v58, 3, v29
	v_cmp_gt_u32_e64 s0, 8, v29
	s_delay_alu instid0(VALU_DEP_3) | instskip(NEXT) | instid1(VALU_DEP_1)
	v_clz_i32_u32_e32 v57, v57
	v_min_u32_e32 v57, 32, v57
	s_delay_alu instid0(VALU_DEP_1) | instskip(SKIP_1) | instid1(VALU_DEP_1)
	v_subrev_nc_u32_e32 v61, 28, v57
	v_sub_nc_u32_e32 v57, 29, v57
	v_cndmask_b32_e64 v29, v58, v57, s0
	s_delay_alu instid0(VALU_DEP_3) | instskip(NEXT) | instid1(VALU_DEP_2)
	v_cndmask_b32_e64 v57, 0, v61, s0
	v_lshl_add_u32 v29, v29, 23, 0x3c000000
	s_delay_alu instid0(VALU_DEP_2) | instskip(SKIP_1) | instid1(VALU_DEP_1)
	v_lshlrev_b64_e32 v[62:63], v57, v[16:17]
	v_lshlrev_b32_e32 v57, 24, v16
	v_and_b32_e32 v57, 0x80000000, v57
	s_delay_alu instid0(VALU_DEP_3) | instskip(NEXT) | instid1(VALU_DEP_1)
	v_lshlrev_b32_e32 v58, 20, v62
	v_and_b32_e32 v58, 0x700000, v58
	s_delay_alu instid0(VALU_DEP_1)
	v_or3_b32 v58, v58, v57, v29
.LBB311_592:                            ;   in Loop: Header=BB311_433 Depth=1
	s_or_b32 exec_lo, exec_lo, s25
.LBB311_593:                            ;   in Loop: Header=BB311_433 Depth=1
	s_delay_alu instid0(SALU_CYCLE_1)
	s_or_b32 exec_lo, exec_lo, s24
.LBB311_594:                            ;   in Loop: Header=BB311_433 Depth=1
	s_delay_alu instid0(SALU_CYCLE_1) | instskip(SKIP_2) | instid1(VALU_DEP_1)
	s_or_b32 exec_lo, exec_lo, s23
	v_lshrrev_b16 v29, 8, v16
	s_mov_b32 s23, exec_lo
	v_cmpx_ne_u16_e32 0, v29
	s_cbranch_execz .LBB311_602
; %bb.595:                              ;   in Loop: Header=BB311_433 Depth=1
	v_bfrev_b32_e32 v28, 1
	s_mov_b32 s24, exec_lo
	v_cmpx_ne_u16_e32 0x80, v29
	s_cbranch_execz .LBB311_601
; %bb.596:                              ;   in Loop: Header=BB311_433 Depth=1
	v_and_b32_e32 v29, 0xffff, v29
	v_mov_b32_e32 v28, 0x7f800001
	s_mov_b32 s25, exec_lo
	s_delay_alu instid0(VALU_DEP_2) | instskip(NEXT) | instid1(VALU_DEP_1)
	v_and_b32_e32 v61, 0x7f, v29
	v_cmpx_ne_u32_e32 0x7f, v61
	s_cbranch_execz .LBB311_600
; %bb.597:                              ;   in Loop: Header=BB311_433 Depth=1
	v_dual_mov_b32 v29, v17 :: v_dual_bitop2_b32 v28, 7, v29 bitop3:0x40
	v_lshrrev_b32_e32 v57, 3, v61
	s_mov_b32 s27, exec_lo
	v_cmpx_gt_u32_e32 8, v61
; %bb.598:                              ;   in Loop: Header=BB311_433 Depth=1
	s_delay_alu instid0(VALU_DEP_3) | instskip(NEXT) | instid1(VALU_DEP_1)
	v_clz_i32_u32_e32 v57, v28
	v_min_u32_e32 v57, 32, v57
	s_delay_alu instid0(VALU_DEP_1) | instskip(NEXT) | instid1(VALU_DEP_1)
	v_subrev_nc_u32_e32 v61, 28, v57
	v_lshlrev_b64_e32 v[28:29], v61, v[28:29]
	s_delay_alu instid0(VALU_DEP_1)
	v_dual_sub_nc_u32 v57, 29, v57 :: v_dual_bitop2_b32 v28, 7, v28 bitop3:0x40
; %bb.599:                              ;   in Loop: Header=BB311_433 Depth=1
	s_or_b32 exec_lo, exec_lo, s27
	v_lshlrev_b32_e32 v16, 16, v16
	s_delay_alu instid0(VALU_DEP_2) | instskip(NEXT) | instid1(VALU_DEP_3)
	v_lshlrev_b32_e32 v28, 20, v28
	v_lshl_add_u32 v29, v57, 23, 0x3c000000
	s_delay_alu instid0(VALU_DEP_3) | instskip(NEXT) | instid1(VALU_DEP_1)
	v_and_b32_e32 v16, 0x80000000, v16
	v_or3_b32 v28, v28, v16, v29
.LBB311_600:                            ;   in Loop: Header=BB311_433 Depth=1
	s_or_b32 exec_lo, exec_lo, s25
.LBB311_601:                            ;   in Loop: Header=BB311_433 Depth=1
	s_delay_alu instid0(SALU_CYCLE_1)
	s_or_b32 exec_lo, exec_lo, s24
.LBB311_602:                            ;   in Loop: Header=BB311_433 Depth=1
	s_delay_alu instid0(SALU_CYCLE_1) | instskip(SKIP_3) | instid1(VALU_DEP_2)
	s_or_b32 exec_lo, exec_lo, s23
	v_dual_lshrrev_b32 v57, 16, v25 :: v_dual_mov_b32 v29, 0
	v_mov_b32_e32 v63, 0
	s_mov_b32 s23, exec_lo
	v_and_b32_e32 v16, 0xff, v57
	s_delay_alu instid0(VALU_DEP_1)
	v_cmpx_ne_u16_e32 0, v16
	s_cbranch_execz .LBB311_610
; %bb.603:                              ;   in Loop: Header=BB311_433 Depth=1
	v_bfrev_b32_e32 v63, 1
	s_mov_b32 s24, exec_lo
	v_cmpx_ne_u16_e32 0x80, v16
	s_cbranch_execz .LBB311_609
; %bb.604:                              ;   in Loop: Header=BB311_433 Depth=1
	v_bfe_u32 v62, v25, 16, 7
	v_mov_b32_e32 v63, 0x7f800001
	s_mov_b32 s25, exec_lo
	s_delay_alu instid0(VALU_DEP_2)
	v_cmpx_ne_u32_e32 0x7f, v62
	s_cbranch_execz .LBB311_608
; %bb.605:                              ;   in Loop: Header=BB311_433 Depth=1
	v_dual_lshrrev_b32 v61, 3, v62 :: v_dual_bitop2_b32 v16, 7, v57 bitop3:0x40
	s_mov_b32 s27, exec_lo
	v_cmpx_gt_u32_e32 8, v62
; %bb.606:                              ;   in Loop: Header=BB311_433 Depth=1
	s_delay_alu instid0(VALU_DEP_2) | instskip(NEXT) | instid1(VALU_DEP_1)
	v_clz_i32_u32_e32 v61, v16
	v_min_u32_e32 v61, 32, v61
	s_delay_alu instid0(VALU_DEP_1) | instskip(NEXT) | instid1(VALU_DEP_1)
	v_subrev_nc_u32_e32 v62, 28, v61
	v_lshlrev_b64_e32 v[62:63], v62, v[16:17]
	s_delay_alu instid0(VALU_DEP_1)
	v_dual_sub_nc_u32 v61, 29, v61 :: v_dual_bitop2_b32 v16, 7, v62 bitop3:0x40
; %bb.607:                              ;   in Loop: Header=BB311_433 Depth=1
	s_or_b32 exec_lo, exec_lo, s27
	s_delay_alu instid0(VALU_DEP_1) | instskip(NEXT) | instid1(VALU_DEP_2)
	v_dual_lshlrev_b32 v57, 24, v57 :: v_dual_lshlrev_b32 v16, 20, v16
	v_lshl_add_u32 v61, v61, 23, 0x3c000000
	s_delay_alu instid0(VALU_DEP_2) | instskip(NEXT) | instid1(VALU_DEP_1)
	v_and_b32_e32 v57, 0x80000000, v57
	v_or3_b32 v63, v16, v57, v61
.LBB311_608:                            ;   in Loop: Header=BB311_433 Depth=1
	s_or_b32 exec_lo, exec_lo, s25
.LBB311_609:                            ;   in Loop: Header=BB311_433 Depth=1
	s_delay_alu instid0(SALU_CYCLE_1)
	s_or_b32 exec_lo, exec_lo, s24
.LBB311_610:                            ;   in Loop: Header=BB311_433 Depth=1
	s_delay_alu instid0(SALU_CYCLE_1) | instskip(NEXT) | instid1(SALU_CYCLE_1)
	s_or_b32 exec_lo, exec_lo, s23
	s_mov_b32 s23, exec_lo
	v_cmpx_lt_u64_e64 s[2:3], v[24:25]
	s_cbranch_execz .LBB311_618
; %bb.611:                              ;   in Loop: Header=BB311_433 Depth=1
	v_lshrrev_b32_e32 v24, 24, v25
	v_bfrev_b32_e32 v29, 1
	s_mov_b32 s24, exec_lo
	s_delay_alu instid0(VALU_DEP_2)
	v_cmpx_ne_u32_e32 0x80, v24
	s_cbranch_execz .LBB311_617
; %bb.612:                              ;   in Loop: Header=BB311_433 Depth=1
	v_bfe_u32 v57, v25, 24, 7
	v_mov_b32_e32 v29, 0x7f800001
	s_mov_b32 s25, exec_lo
	s_delay_alu instid0(VALU_DEP_2)
	v_cmpx_ne_u32_e32 0x7f, v57
	s_cbranch_execz .LBB311_616
; %bb.613:                              ;   in Loop: Header=BB311_433 Depth=1
	v_dual_lshrrev_b32 v25, 3, v57 :: v_dual_bitop2_b32 v16, 7, v24 bitop3:0x40
	s_mov_b32 s27, exec_lo
	v_cmpx_gt_u32_e32 8, v57
; %bb.614:                              ;   in Loop: Header=BB311_433 Depth=1
	s_delay_alu instid0(VALU_DEP_2) | instskip(NEXT) | instid1(VALU_DEP_1)
	v_clz_i32_u32_e32 v25, v16
	v_min_u32_e32 v25, 32, v25
	s_delay_alu instid0(VALU_DEP_1) | instskip(NEXT) | instid1(VALU_DEP_1)
	v_subrev_nc_u32_e32 v29, 28, v25
	v_lshlrev_b64_e32 v[64:65], v29, v[16:17]
	s_delay_alu instid0(VALU_DEP_1)
	v_dual_sub_nc_u32 v25, 29, v25 :: v_dual_bitop2_b32 v16, 7, v64 bitop3:0x40
; %bb.615:                              ;   in Loop: Header=BB311_433 Depth=1
	s_or_b32 exec_lo, exec_lo, s27
	v_lshlrev_b32_e32 v24, 24, v24
	s_delay_alu instid0(VALU_DEP_2) | instskip(NEXT) | instid1(VALU_DEP_3)
	v_lshlrev_b32_e32 v16, 20, v16
	v_lshl_add_u32 v25, v25, 23, 0x3c000000
	s_delay_alu instid0(VALU_DEP_3) | instskip(NEXT) | instid1(VALU_DEP_1)
	v_and_b32_e32 v24, 0x80000000, v24
	v_or3_b32 v29, v16, v24, v25
.LBB311_616:                            ;   in Loop: Header=BB311_433 Depth=1
	s_or_b32 exec_lo, exec_lo, s25
.LBB311_617:                            ;   in Loop: Header=BB311_433 Depth=1
	s_delay_alu instid0(SALU_CYCLE_1)
	s_or_b32 exec_lo, exec_lo, s24
.LBB311_618:                            ;   in Loop: Header=BB311_433 Depth=1
	s_delay_alu instid0(SALU_CYCLE_1)
	s_or_b32 exec_lo, exec_lo, s23
	v_fma_mixlo_bf16 v57, s22, v28, 0
	v_fma_mixlo_bf16 v58, s22, v58, 0
	v_fma_mixlo_bf16 v59, s22, v59, 0
	v_fma_mixlo_bf16 v60, s22, v60, 0
	v_fma_mixlo_bf16 v61, s22, v56, 0
	v_fma_mixlo_bf16 v62, s22, v55, 0
	v_fma_mixlo_bf16 v55, s22, v63, 0
	v_fma_mixlo_bf16 v56, s22, v29, 0
	s_and_saveexec_b32 s23, vcc_lo
	s_cbranch_execz .LBB311_620
; %bb.619:                              ;   in Loop: Header=BB311_433 Depth=1
	v_cmp_gt_i32_e64 s0, s34, v26
	s_delay_alu instid0(VALU_DEP_1) | instskip(SKIP_1) | instid1(VALU_DEP_1)
	v_cndmask_b32_e64 v62, 0, v62, s0
	v_cmp_gt_i32_e64 s0, s34, v46
	v_cndmask_b32_e64 v61, 0, v61, s0
	v_cmp_gt_i32_e64 s0, s34, v45
	s_delay_alu instid0(VALU_DEP_1) | instskip(SKIP_1) | instid1(VALU_DEP_1)
	v_cndmask_b32_e64 v60, 0, v60, s0
	v_cmp_gt_i32_e64 s0, s34, v44
	v_cndmask_b32_e64 v59, 0, v59, s0
	v_cmp_gt_i32_e64 s0, s34, v43
	s_delay_alu instid0(VALU_DEP_1) | instskip(SKIP_1) | instid1(VALU_DEP_1)
	v_cndmask_b32_e64 v58, 0, v58, s0
	v_cmp_gt_i32_e64 s0, s34, v42
	v_cndmask_b32_e64 v57, 0, v57, s0
	v_cmp_gt_i32_e64 s0, s34, v41
	s_delay_alu instid0(VALU_DEP_1) | instskip(SKIP_1) | instid1(VALU_DEP_1)
	v_cndmask_b32_e64 v55, 0, v55, s0
	v_cmp_gt_i32_e64 s0, s34, v40
	v_cndmask_b32_e64 v56, 0, v56, s0
.LBB311_620:                            ;   in Loop: Header=BB311_433 Depth=1
	s_or_b32 exec_lo, exec_lo, s23
	global_load_b64 v[24:25], v[22:23], off offset:768
	v_dual_mov_b32 v64, 0 :: v_dual_mov_b32 v63, 0
	s_mov_b32 s23, exec_lo
	s_wait_loadcnt 0x0
	v_and_b32_e32 v16, 0xff, v24
	s_delay_alu instid0(VALU_DEP_1)
	v_cmpx_ne_u16_e32 0, v16
	s_cbranch_execz .LBB311_626
; %bb.621:                              ;   in Loop: Header=BB311_433 Depth=1
	v_bfrev_b32_e32 v63, 1
	s_mov_b32 s24, exec_lo
	v_cmpx_ne_u16_e32 0x80, v16
	s_cbranch_execz .LBB311_625
; %bb.622:                              ;   in Loop: Header=BB311_433 Depth=1
	v_and_b32_e32 v16, 0x7f, v24
	v_mov_b32_e32 v63, 0x7f800001
	s_mov_b32 s25, exec_lo
	s_delay_alu instid0(VALU_DEP_2)
	v_cmpx_ne_u32_e32 0x7f, v16
	s_cbranch_execz .LBB311_624
; %bb.623:                              ;   in Loop: Header=BB311_433 Depth=1
	v_and_b32_e32 v28, 7, v24
	v_cmp_gt_u32_e64 s0, 8, v16
	s_delay_alu instid0(VALU_DEP_2) | instskip(NEXT) | instid1(VALU_DEP_1)
	v_clz_i32_u32_e32 v28, v28
	v_min_u32_e32 v28, 32, v28
	s_delay_alu instid0(VALU_DEP_1) | instskip(SKIP_2) | instid1(VALU_DEP_1)
	v_subrev_nc_u32_e32 v63, 28, v28
	v_lshrrev_b32_e32 v29, 3, v16
	v_sub_nc_u32_e32 v28, 29, v28
	v_dual_cndmask_b32 v16, v29, v28, s0 :: v_dual_cndmask_b32 v28, 0, v63, s0
	s_delay_alu instid0(VALU_DEP_1) | instskip(SKIP_1) | instid1(VALU_DEP_1)
	v_lshlrev_b64_e32 v[28:29], v28, v[24:25]
	v_lshlrev_b32_e32 v29, 24, v24
	v_and_b32_e32 v29, 0x80000000, v29
	s_delay_alu instid0(VALU_DEP_3) | instskip(SKIP_1) | instid1(VALU_DEP_2)
	v_lshlrev_b32_e32 v28, 20, v28
	v_lshl_add_u32 v16, v16, 23, 0x3c000000
	v_and_b32_e32 v28, 0x700000, v28
	s_delay_alu instid0(VALU_DEP_1)
	v_or3_b32 v63, v28, v29, v16
.LBB311_624:                            ;   in Loop: Header=BB311_433 Depth=1
	s_or_b32 exec_lo, exec_lo, s25
.LBB311_625:                            ;   in Loop: Header=BB311_433 Depth=1
	s_delay_alu instid0(SALU_CYCLE_1)
	s_or_b32 exec_lo, exec_lo, s24
.LBB311_626:                            ;   in Loop: Header=BB311_433 Depth=1
	s_delay_alu instid0(SALU_CYCLE_1) | instskip(SKIP_2) | instid1(VALU_DEP_1)
	s_or_b32 exec_lo, exec_lo, s23
	v_lshrrev_b16 v16, 8, v24
	s_mov_b32 s23, exec_lo
	v_cmpx_ne_u16_e32 0, v16
	s_cbranch_execz .LBB311_634
; %bb.627:                              ;   in Loop: Header=BB311_433 Depth=1
	v_bfrev_b32_e32 v64, 1
	s_mov_b32 s24, exec_lo
	v_cmpx_ne_u16_e32 0x80, v16
	s_cbranch_execz .LBB311_633
; %bb.628:                              ;   in Loop: Header=BB311_433 Depth=1
	v_and_b32_e32 v16, 0xffff, v16
	v_mov_b32_e32 v64, 0x7f800001
	s_mov_b32 s25, exec_lo
	s_delay_alu instid0(VALU_DEP_2) | instskip(NEXT) | instid1(VALU_DEP_1)
	v_and_b32_e32 v29, 0x7f, v16
	v_cmpx_ne_u32_e32 0x7f, v29
	s_cbranch_execz .LBB311_632
; %bb.629:                              ;   in Loop: Header=BB311_433 Depth=1
	v_dual_lshrrev_b32 v28, 3, v29 :: v_dual_bitop2_b32 v16, 7, v16 bitop3:0x40
	s_mov_b32 s27, exec_lo
	v_cmpx_gt_u32_e32 8, v29
; %bb.630:                              ;   in Loop: Header=BB311_433 Depth=1
	s_delay_alu instid0(VALU_DEP_2) | instskip(NEXT) | instid1(VALU_DEP_1)
	v_clz_i32_u32_e32 v28, v16
	v_min_u32_e32 v28, 32, v28
	s_delay_alu instid0(VALU_DEP_1) | instskip(SKIP_1) | instid1(VALU_DEP_2)
	v_subrev_nc_u32_e32 v29, 28, v28
	v_sub_nc_u32_e32 v28, 29, v28
	v_lshlrev_b64_e32 v[64:65], v29, v[16:17]
	s_delay_alu instid0(VALU_DEP_1)
	v_and_b32_e32 v16, 7, v64
; %bb.631:                              ;   in Loop: Header=BB311_433 Depth=1
	s_or_b32 exec_lo, exec_lo, s27
	v_lshlrev_b32_e32 v29, 16, v24
	s_delay_alu instid0(VALU_DEP_2) | instskip(SKIP_1) | instid1(VALU_DEP_3)
	v_lshlrev_b32_e32 v16, 20, v16
	v_lshl_add_u32 v28, v28, 23, 0x3c000000
	v_and_b32_e32 v29, 0x80000000, v29
	s_delay_alu instid0(VALU_DEP_1)
	v_or3_b32 v64, v16, v29, v28
.LBB311_632:                            ;   in Loop: Header=BB311_433 Depth=1
	s_or_b32 exec_lo, exec_lo, s25
.LBB311_633:                            ;   in Loop: Header=BB311_433 Depth=1
	s_delay_alu instid0(SALU_CYCLE_1)
	s_or_b32 exec_lo, exec_lo, s24
.LBB311_634:                            ;   in Loop: Header=BB311_433 Depth=1
	s_delay_alu instid0(SALU_CYCLE_1) | instskip(SKIP_3) | instid1(VALU_DEP_2)
	s_or_b32 exec_lo, exec_lo, s23
	v_dual_mov_b32 v67, 0 :: v_dual_lshrrev_b32 v28, 16, v24
	v_mov_b32_e32 v68, 0
	s_mov_b32 s23, exec_lo
	v_and_b32_e32 v16, 0xff, v28
	s_delay_alu instid0(VALU_DEP_1)
	v_cmpx_ne_u16_e32 0, v16
	s_cbranch_execz .LBB311_642
; %bb.635:                              ;   in Loop: Header=BB311_433 Depth=1
	v_bfrev_b32_e32 v68, 1
	s_mov_b32 s24, exec_lo
	v_cmpx_ne_u16_e32 0x80, v16
	s_cbranch_execz .LBB311_641
; %bb.636:                              ;   in Loop: Header=BB311_433 Depth=1
	v_bfe_u32 v65, v24, 16, 7
	v_mov_b32_e32 v68, 0x7f800001
	s_mov_b32 s25, exec_lo
	s_delay_alu instid0(VALU_DEP_2)
	v_cmpx_ne_u32_e32 0x7f, v65
	s_cbranch_execz .LBB311_640
; %bb.637:                              ;   in Loop: Header=BB311_433 Depth=1
	v_dual_lshrrev_b32 v29, 3, v65 :: v_dual_bitop2_b32 v16, 7, v28 bitop3:0x40
	s_mov_b32 s27, exec_lo
	v_cmpx_gt_u32_e32 8, v65
; %bb.638:                              ;   in Loop: Header=BB311_433 Depth=1
	s_delay_alu instid0(VALU_DEP_2) | instskip(NEXT) | instid1(VALU_DEP_1)
	v_clz_i32_u32_e32 v29, v16
	v_min_u32_e32 v29, 32, v29
	s_delay_alu instid0(VALU_DEP_1) | instskip(NEXT) | instid1(VALU_DEP_1)
	v_subrev_nc_u32_e32 v65, 28, v29
	v_lshlrev_b64_e32 v[68:69], v65, v[16:17]
	s_delay_alu instid0(VALU_DEP_1)
	v_dual_sub_nc_u32 v29, 29, v29 :: v_dual_bitop2_b32 v16, 7, v68 bitop3:0x40
; %bb.639:                              ;   in Loop: Header=BB311_433 Depth=1
	s_or_b32 exec_lo, exec_lo, s27
	v_lshlrev_b32_e32 v28, 24, v28
	s_delay_alu instid0(VALU_DEP_2) | instskip(NEXT) | instid1(VALU_DEP_3)
	v_lshlrev_b32_e32 v16, 20, v16
	v_lshl_add_u32 v29, v29, 23, 0x3c000000
	s_delay_alu instid0(VALU_DEP_3) | instskip(NEXT) | instid1(VALU_DEP_1)
	v_and_b32_e32 v28, 0x80000000, v28
	v_or3_b32 v68, v16, v28, v29
.LBB311_640:                            ;   in Loop: Header=BB311_433 Depth=1
	s_or_b32 exec_lo, exec_lo, s25
.LBB311_641:                            ;   in Loop: Header=BB311_433 Depth=1
	s_delay_alu instid0(SALU_CYCLE_1)
	s_or_b32 exec_lo, exec_lo, s24
.LBB311_642:                            ;   in Loop: Header=BB311_433 Depth=1
	s_delay_alu instid0(SALU_CYCLE_1) | instskip(NEXT) | instid1(SALU_CYCLE_1)
	s_or_b32 exec_lo, exec_lo, s23
	s_mov_b32 s23, exec_lo
	v_cmpx_lt_u32_e32 0xffffff, v24
	s_cbranch_execz .LBB311_650
; %bb.643:                              ;   in Loop: Header=BB311_433 Depth=1
	v_lshrrev_b32_e32 v28, 24, v24
	v_bfrev_b32_e32 v67, 1
	s_mov_b32 s24, exec_lo
	s_delay_alu instid0(VALU_DEP_2)
	v_cmpx_ne_u32_e32 0x80, v28
	s_cbranch_execz .LBB311_649
; %bb.644:                              ;   in Loop: Header=BB311_433 Depth=1
	v_bfe_u32 v65, v24, 24, 7
	v_mov_b32_e32 v67, 0x7f800001
	s_mov_b32 s25, exec_lo
	s_delay_alu instid0(VALU_DEP_2)
	v_cmpx_ne_u32_e32 0x7f, v65
	s_cbranch_execz .LBB311_648
; %bb.645:                              ;   in Loop: Header=BB311_433 Depth=1
	v_dual_lshrrev_b32 v29, 3, v65 :: v_dual_bitop2_b32 v16, 7, v28 bitop3:0x40
	s_mov_b32 s27, exec_lo
	v_cmpx_gt_u32_e32 8, v65
; %bb.646:                              ;   in Loop: Header=BB311_433 Depth=1
	s_delay_alu instid0(VALU_DEP_2) | instskip(NEXT) | instid1(VALU_DEP_1)
	v_clz_i32_u32_e32 v29, v16
	v_min_u32_e32 v29, 32, v29
	s_delay_alu instid0(VALU_DEP_1) | instskip(NEXT) | instid1(VALU_DEP_1)
	v_subrev_nc_u32_e32 v65, 28, v29
	v_lshlrev_b64_e32 v[66:67], v65, v[16:17]
	s_delay_alu instid0(VALU_DEP_1)
	v_dual_sub_nc_u32 v29, 29, v29 :: v_dual_bitop2_b32 v16, 7, v66 bitop3:0x40
; %bb.647:                              ;   in Loop: Header=BB311_433 Depth=1
	s_or_b32 exec_lo, exec_lo, s27
	v_lshlrev_b32_e32 v28, 24, v28
	s_delay_alu instid0(VALU_DEP_2) | instskip(NEXT) | instid1(VALU_DEP_3)
	v_lshlrev_b32_e32 v16, 20, v16
	v_lshl_add_u32 v29, v29, 23, 0x3c000000
	s_delay_alu instid0(VALU_DEP_3) | instskip(NEXT) | instid1(VALU_DEP_1)
	v_and_b32_e32 v28, 0x80000000, v28
	v_or3_b32 v67, v16, v28, v29
.LBB311_648:                            ;   in Loop: Header=BB311_433 Depth=1
	s_or_b32 exec_lo, exec_lo, s25
.LBB311_649:                            ;   in Loop: Header=BB311_433 Depth=1
	s_delay_alu instid0(SALU_CYCLE_1)
	s_or_b32 exec_lo, exec_lo, s24
.LBB311_650:                            ;   in Loop: Header=BB311_433 Depth=1
	s_delay_alu instid0(SALU_CYCLE_1) | instskip(SKIP_4) | instid1(VALU_DEP_3)
	s_or_b32 exec_lo, exec_lo, s23
	v_and_b32_e32 v29, 0xff, v25
	v_dual_mov_b32 v16, v25 :: v_dual_mov_b32 v28, 0
	v_mov_b32_e32 v66, 0
	s_mov_b32 s23, exec_lo
	v_cmpx_ne_u16_e32 0, v29
	s_cbranch_execz .LBB311_656
; %bb.651:                              ;   in Loop: Header=BB311_433 Depth=1
	v_bfrev_b32_e32 v66, 1
	s_mov_b32 s24, exec_lo
	v_cmpx_ne_u16_e32 0x80, v29
	s_cbranch_execz .LBB311_655
; %bb.652:                              ;   in Loop: Header=BB311_433 Depth=1
	v_and_b32_e32 v29, 0x7f, v25
	v_mov_b32_e32 v66, 0x7f800001
	s_mov_b32 s25, exec_lo
	s_delay_alu instid0(VALU_DEP_2)
	v_cmpx_ne_u32_e32 0x7f, v29
	s_cbranch_execz .LBB311_654
; %bb.653:                              ;   in Loop: Header=BB311_433 Depth=1
	v_and_b32_e32 v65, 7, v25
	v_lshrrev_b32_e32 v66, 3, v29
	v_cmp_gt_u32_e64 s0, 8, v29
	s_delay_alu instid0(VALU_DEP_3) | instskip(NEXT) | instid1(VALU_DEP_1)
	v_clz_i32_u32_e32 v65, v65
	v_min_u32_e32 v65, 32, v65
	s_delay_alu instid0(VALU_DEP_1) | instskip(SKIP_1) | instid1(VALU_DEP_1)
	v_subrev_nc_u32_e32 v69, 28, v65
	v_sub_nc_u32_e32 v65, 29, v65
	v_cndmask_b32_e64 v29, v66, v65, s0
	s_delay_alu instid0(VALU_DEP_3) | instskip(NEXT) | instid1(VALU_DEP_2)
	v_cndmask_b32_e64 v65, 0, v69, s0
	v_lshl_add_u32 v29, v29, 23, 0x3c000000
	s_delay_alu instid0(VALU_DEP_2) | instskip(SKIP_1) | instid1(VALU_DEP_1)
	v_lshlrev_b64_e32 v[70:71], v65, v[16:17]
	v_lshlrev_b32_e32 v65, 24, v16
	v_and_b32_e32 v65, 0x80000000, v65
	s_delay_alu instid0(VALU_DEP_3) | instskip(NEXT) | instid1(VALU_DEP_1)
	v_lshlrev_b32_e32 v66, 20, v70
	v_and_b32_e32 v66, 0x700000, v66
	s_delay_alu instid0(VALU_DEP_1)
	v_or3_b32 v66, v66, v65, v29
.LBB311_654:                            ;   in Loop: Header=BB311_433 Depth=1
	s_or_b32 exec_lo, exec_lo, s25
.LBB311_655:                            ;   in Loop: Header=BB311_433 Depth=1
	s_delay_alu instid0(SALU_CYCLE_1)
	s_or_b32 exec_lo, exec_lo, s24
.LBB311_656:                            ;   in Loop: Header=BB311_433 Depth=1
	s_delay_alu instid0(SALU_CYCLE_1) | instskip(SKIP_2) | instid1(VALU_DEP_1)
	s_or_b32 exec_lo, exec_lo, s23
	v_lshrrev_b16 v29, 8, v16
	s_mov_b32 s23, exec_lo
	v_cmpx_ne_u16_e32 0, v29
	s_cbranch_execz .LBB311_664
; %bb.657:                              ;   in Loop: Header=BB311_433 Depth=1
	v_bfrev_b32_e32 v28, 1
	s_mov_b32 s24, exec_lo
	v_cmpx_ne_u16_e32 0x80, v29
	s_cbranch_execz .LBB311_663
; %bb.658:                              ;   in Loop: Header=BB311_433 Depth=1
	v_and_b32_e32 v29, 0xffff, v29
	v_mov_b32_e32 v28, 0x7f800001
	s_mov_b32 s25, exec_lo
	s_delay_alu instid0(VALU_DEP_2) | instskip(NEXT) | instid1(VALU_DEP_1)
	v_and_b32_e32 v69, 0x7f, v29
	v_cmpx_ne_u32_e32 0x7f, v69
	s_cbranch_execz .LBB311_662
; %bb.659:                              ;   in Loop: Header=BB311_433 Depth=1
	v_dual_mov_b32 v29, v17 :: v_dual_bitop2_b32 v28, 7, v29 bitop3:0x40
	v_lshrrev_b32_e32 v65, 3, v69
	s_mov_b32 s27, exec_lo
	v_cmpx_gt_u32_e32 8, v69
; %bb.660:                              ;   in Loop: Header=BB311_433 Depth=1
	s_delay_alu instid0(VALU_DEP_3) | instskip(NEXT) | instid1(VALU_DEP_1)
	v_clz_i32_u32_e32 v65, v28
	v_min_u32_e32 v65, 32, v65
	s_delay_alu instid0(VALU_DEP_1) | instskip(NEXT) | instid1(VALU_DEP_1)
	v_subrev_nc_u32_e32 v69, 28, v65
	v_lshlrev_b64_e32 v[28:29], v69, v[28:29]
	s_delay_alu instid0(VALU_DEP_1)
	v_dual_sub_nc_u32 v65, 29, v65 :: v_dual_bitop2_b32 v28, 7, v28 bitop3:0x40
; %bb.661:                              ;   in Loop: Header=BB311_433 Depth=1
	s_or_b32 exec_lo, exec_lo, s27
	v_lshlrev_b32_e32 v16, 16, v16
	s_delay_alu instid0(VALU_DEP_2) | instskip(NEXT) | instid1(VALU_DEP_3)
	v_lshlrev_b32_e32 v28, 20, v28
	v_lshl_add_u32 v29, v65, 23, 0x3c000000
	s_delay_alu instid0(VALU_DEP_3) | instskip(NEXT) | instid1(VALU_DEP_1)
	v_and_b32_e32 v16, 0x80000000, v16
	v_or3_b32 v28, v28, v16, v29
.LBB311_662:                            ;   in Loop: Header=BB311_433 Depth=1
	s_or_b32 exec_lo, exec_lo, s25
.LBB311_663:                            ;   in Loop: Header=BB311_433 Depth=1
	s_delay_alu instid0(SALU_CYCLE_1)
	s_or_b32 exec_lo, exec_lo, s24
.LBB311_664:                            ;   in Loop: Header=BB311_433 Depth=1
	s_delay_alu instid0(SALU_CYCLE_1) | instskip(SKIP_3) | instid1(VALU_DEP_2)
	s_or_b32 exec_lo, exec_lo, s23
	v_dual_lshrrev_b32 v65, 16, v25 :: v_dual_mov_b32 v29, 0
	v_mov_b32_e32 v71, 0
	s_mov_b32 s23, exec_lo
	v_and_b32_e32 v16, 0xff, v65
	s_delay_alu instid0(VALU_DEP_1)
	v_cmpx_ne_u16_e32 0, v16
	s_cbranch_execz .LBB311_672
; %bb.665:                              ;   in Loop: Header=BB311_433 Depth=1
	v_bfrev_b32_e32 v71, 1
	s_mov_b32 s24, exec_lo
	v_cmpx_ne_u16_e32 0x80, v16
	s_cbranch_execz .LBB311_671
; %bb.666:                              ;   in Loop: Header=BB311_433 Depth=1
	v_bfe_u32 v70, v25, 16, 7
	v_mov_b32_e32 v71, 0x7f800001
	s_mov_b32 s25, exec_lo
	s_delay_alu instid0(VALU_DEP_2)
	v_cmpx_ne_u32_e32 0x7f, v70
	s_cbranch_execz .LBB311_670
; %bb.667:                              ;   in Loop: Header=BB311_433 Depth=1
	v_dual_lshrrev_b32 v69, 3, v70 :: v_dual_bitop2_b32 v16, 7, v65 bitop3:0x40
	s_mov_b32 s27, exec_lo
	v_cmpx_gt_u32_e32 8, v70
; %bb.668:                              ;   in Loop: Header=BB311_433 Depth=1
	s_delay_alu instid0(VALU_DEP_2) | instskip(NEXT) | instid1(VALU_DEP_1)
	v_clz_i32_u32_e32 v69, v16
	v_min_u32_e32 v69, 32, v69
	s_delay_alu instid0(VALU_DEP_1) | instskip(NEXT) | instid1(VALU_DEP_1)
	v_subrev_nc_u32_e32 v70, 28, v69
	v_lshlrev_b64_e32 v[70:71], v70, v[16:17]
	s_delay_alu instid0(VALU_DEP_1)
	v_dual_sub_nc_u32 v69, 29, v69 :: v_dual_bitop2_b32 v16, 7, v70 bitop3:0x40
; %bb.669:                              ;   in Loop: Header=BB311_433 Depth=1
	s_or_b32 exec_lo, exec_lo, s27
	s_delay_alu instid0(VALU_DEP_1) | instskip(NEXT) | instid1(VALU_DEP_2)
	v_dual_lshlrev_b32 v65, 24, v65 :: v_dual_lshlrev_b32 v16, 20, v16
	v_lshl_add_u32 v69, v69, 23, 0x3c000000
	s_delay_alu instid0(VALU_DEP_2) | instskip(NEXT) | instid1(VALU_DEP_1)
	v_and_b32_e32 v65, 0x80000000, v65
	v_or3_b32 v71, v16, v65, v69
.LBB311_670:                            ;   in Loop: Header=BB311_433 Depth=1
	s_or_b32 exec_lo, exec_lo, s25
.LBB311_671:                            ;   in Loop: Header=BB311_433 Depth=1
	s_delay_alu instid0(SALU_CYCLE_1)
	s_or_b32 exec_lo, exec_lo, s24
.LBB311_672:                            ;   in Loop: Header=BB311_433 Depth=1
	s_delay_alu instid0(SALU_CYCLE_1) | instskip(NEXT) | instid1(SALU_CYCLE_1)
	s_or_b32 exec_lo, exec_lo, s23
	s_mov_b32 s23, exec_lo
	v_cmpx_lt_u64_e64 s[2:3], v[24:25]
	s_cbranch_execz .LBB311_680
; %bb.673:                              ;   in Loop: Header=BB311_433 Depth=1
	v_lshrrev_b32_e32 v24, 24, v25
	v_bfrev_b32_e32 v29, 1
	s_mov_b32 s24, exec_lo
	s_delay_alu instid0(VALU_DEP_2)
	v_cmpx_ne_u32_e32 0x80, v24
	s_cbranch_execz .LBB311_679
; %bb.674:                              ;   in Loop: Header=BB311_433 Depth=1
	v_bfe_u32 v65, v25, 24, 7
	v_mov_b32_e32 v29, 0x7f800001
	s_mov_b32 s25, exec_lo
	s_delay_alu instid0(VALU_DEP_2)
	v_cmpx_ne_u32_e32 0x7f, v65
	s_cbranch_execz .LBB311_678
; %bb.675:                              ;   in Loop: Header=BB311_433 Depth=1
	v_dual_lshrrev_b32 v25, 3, v65 :: v_dual_bitop2_b32 v16, 7, v24 bitop3:0x40
	s_mov_b32 s27, exec_lo
	v_cmpx_gt_u32_e32 8, v65
; %bb.676:                              ;   in Loop: Header=BB311_433 Depth=1
	s_delay_alu instid0(VALU_DEP_2) | instskip(NEXT) | instid1(VALU_DEP_1)
	v_clz_i32_u32_e32 v25, v16
	v_min_u32_e32 v25, 32, v25
	s_delay_alu instid0(VALU_DEP_1) | instskip(NEXT) | instid1(VALU_DEP_1)
	v_subrev_nc_u32_e32 v29, 28, v25
	v_lshlrev_b64_e32 v[72:73], v29, v[16:17]
	s_delay_alu instid0(VALU_DEP_1)
	v_dual_sub_nc_u32 v25, 29, v25 :: v_dual_bitop2_b32 v16, 7, v72 bitop3:0x40
; %bb.677:                              ;   in Loop: Header=BB311_433 Depth=1
	s_or_b32 exec_lo, exec_lo, s27
	v_lshlrev_b32_e32 v24, 24, v24
	s_delay_alu instid0(VALU_DEP_2) | instskip(NEXT) | instid1(VALU_DEP_3)
	v_lshlrev_b32_e32 v16, 20, v16
	v_lshl_add_u32 v25, v25, 23, 0x3c000000
	s_delay_alu instid0(VALU_DEP_3) | instskip(NEXT) | instid1(VALU_DEP_1)
	v_and_b32_e32 v24, 0x80000000, v24
	v_or3_b32 v29, v16, v24, v25
.LBB311_678:                            ;   in Loop: Header=BB311_433 Depth=1
	s_or_b32 exec_lo, exec_lo, s25
.LBB311_679:                            ;   in Loop: Header=BB311_433 Depth=1
	s_delay_alu instid0(SALU_CYCLE_1)
	s_or_b32 exec_lo, exec_lo, s24
.LBB311_680:                            ;   in Loop: Header=BB311_433 Depth=1
	s_delay_alu instid0(SALU_CYCLE_1)
	s_or_b32 exec_lo, exec_lo, s23
	v_fma_mixlo_bf16 v65, s22, v28, 0
	v_fma_mixlo_bf16 v66, s22, v66, 0
	;; [unrolled: 1-line block ×8, first 2 shown]
	s_and_saveexec_b32 s23, vcc_lo
	s_cbranch_execz .LBB311_682
; %bb.681:                              ;   in Loop: Header=BB311_433 Depth=1
	v_cmp_gt_i32_e64 s0, s34, v26
	s_delay_alu instid0(VALU_DEP_1) | instskip(SKIP_1) | instid1(VALU_DEP_1)
	v_cndmask_b32_e64 v70, 0, v70, s0
	v_cmp_gt_i32_e64 s0, s34, v46
	v_cndmask_b32_e64 v69, 0, v69, s0
	v_cmp_gt_i32_e64 s0, s34, v45
	s_delay_alu instid0(VALU_DEP_1) | instskip(SKIP_1) | instid1(VALU_DEP_1)
	v_cndmask_b32_e64 v68, 0, v68, s0
	v_cmp_gt_i32_e64 s0, s34, v44
	v_cndmask_b32_e64 v67, 0, v67, s0
	;; [unrolled: 5-line block ×4, first 2 shown]
.LBB311_682:                            ;   in Loop: Header=BB311_433 Depth=1
	s_or_b32 exec_lo, exec_lo, s23
	global_load_b64 v[24:25], v[22:23], off offset:1024
	v_dual_mov_b32 v75, 0 :: v_dual_mov_b32 v76, 0
	s_mov_b32 s23, exec_lo
	s_wait_loadcnt 0x0
	v_and_b32_e32 v16, 0xff, v24
	s_delay_alu instid0(VALU_DEP_1)
	v_cmpx_ne_u16_e32 0, v16
	s_cbranch_execz .LBB311_688
; %bb.683:                              ;   in Loop: Header=BB311_433 Depth=1
	v_bfrev_b32_e32 v76, 1
	s_mov_b32 s24, exec_lo
	v_cmpx_ne_u16_e32 0x80, v16
	s_cbranch_execz .LBB311_687
; %bb.684:                              ;   in Loop: Header=BB311_433 Depth=1
	v_and_b32_e32 v16, 0x7f, v24
	v_mov_b32_e32 v76, 0x7f800001
	s_mov_b32 s25, exec_lo
	s_delay_alu instid0(VALU_DEP_2)
	v_cmpx_ne_u32_e32 0x7f, v16
	s_cbranch_execz .LBB311_686
; %bb.685:                              ;   in Loop: Header=BB311_433 Depth=1
	v_and_b32_e32 v28, 7, v24
	v_cmp_gt_u32_e64 s0, 8, v16
	s_delay_alu instid0(VALU_DEP_2) | instskip(NEXT) | instid1(VALU_DEP_1)
	v_clz_i32_u32_e32 v28, v28
	v_min_u32_e32 v28, 32, v28
	s_delay_alu instid0(VALU_DEP_1) | instskip(SKIP_2) | instid1(VALU_DEP_1)
	v_subrev_nc_u32_e32 v71, 28, v28
	v_lshrrev_b32_e32 v29, 3, v16
	v_sub_nc_u32_e32 v28, 29, v28
	v_dual_cndmask_b32 v16, v29, v28, s0 :: v_dual_cndmask_b32 v28, 0, v71, s0
	s_delay_alu instid0(VALU_DEP_1) | instskip(SKIP_1) | instid1(VALU_DEP_1)
	v_lshlrev_b64_e32 v[28:29], v28, v[24:25]
	v_lshlrev_b32_e32 v29, 24, v24
	v_and_b32_e32 v29, 0x80000000, v29
	s_delay_alu instid0(VALU_DEP_3) | instskip(SKIP_1) | instid1(VALU_DEP_2)
	v_lshlrev_b32_e32 v28, 20, v28
	v_lshl_add_u32 v16, v16, 23, 0x3c000000
	v_and_b32_e32 v28, 0x700000, v28
	s_delay_alu instid0(VALU_DEP_1)
	v_or3_b32 v76, v28, v29, v16
.LBB311_686:                            ;   in Loop: Header=BB311_433 Depth=1
	s_or_b32 exec_lo, exec_lo, s25
.LBB311_687:                            ;   in Loop: Header=BB311_433 Depth=1
	s_delay_alu instid0(SALU_CYCLE_1)
	s_or_b32 exec_lo, exec_lo, s24
.LBB311_688:                            ;   in Loop: Header=BB311_433 Depth=1
	s_delay_alu instid0(SALU_CYCLE_1) | instskip(SKIP_2) | instid1(VALU_DEP_1)
	s_or_b32 exec_lo, exec_lo, s23
	v_lshrrev_b16 v16, 8, v24
	s_mov_b32 s23, exec_lo
	v_cmpx_ne_u16_e32 0, v16
	s_cbranch_execz .LBB311_696
; %bb.689:                              ;   in Loop: Header=BB311_433 Depth=1
	v_bfrev_b32_e32 v75, 1
	s_mov_b32 s24, exec_lo
	v_cmpx_ne_u16_e32 0x80, v16
	s_cbranch_execz .LBB311_695
; %bb.690:                              ;   in Loop: Header=BB311_433 Depth=1
	v_and_b32_e32 v16, 0xffff, v16
	v_mov_b32_e32 v75, 0x7f800001
	s_mov_b32 s25, exec_lo
	s_delay_alu instid0(VALU_DEP_2) | instskip(NEXT) | instid1(VALU_DEP_1)
	v_and_b32_e32 v29, 0x7f, v16
	v_cmpx_ne_u32_e32 0x7f, v29
	s_cbranch_execz .LBB311_694
; %bb.691:                              ;   in Loop: Header=BB311_433 Depth=1
	v_dual_lshrrev_b32 v28, 3, v29 :: v_dual_bitop2_b32 v16, 7, v16 bitop3:0x40
	s_mov_b32 s27, exec_lo
	v_cmpx_gt_u32_e32 8, v29
; %bb.692:                              ;   in Loop: Header=BB311_433 Depth=1
	s_delay_alu instid0(VALU_DEP_2) | instskip(NEXT) | instid1(VALU_DEP_1)
	v_clz_i32_u32_e32 v28, v16
	v_min_u32_e32 v28, 32, v28
	s_delay_alu instid0(VALU_DEP_1) | instskip(SKIP_1) | instid1(VALU_DEP_2)
	v_subrev_nc_u32_e32 v29, 28, v28
	v_sub_nc_u32_e32 v28, 29, v28
	v_lshlrev_b64_e32 v[72:73], v29, v[16:17]
	s_delay_alu instid0(VALU_DEP_1)
	v_and_b32_e32 v16, 7, v72
; %bb.693:                              ;   in Loop: Header=BB311_433 Depth=1
	s_or_b32 exec_lo, exec_lo, s27
	v_lshlrev_b32_e32 v29, 16, v24
	s_delay_alu instid0(VALU_DEP_2) | instskip(SKIP_1) | instid1(VALU_DEP_3)
	v_lshlrev_b32_e32 v16, 20, v16
	v_lshl_add_u32 v28, v28, 23, 0x3c000000
	v_and_b32_e32 v29, 0x80000000, v29
	s_delay_alu instid0(VALU_DEP_1)
	v_or3_b32 v75, v16, v29, v28
.LBB311_694:                            ;   in Loop: Header=BB311_433 Depth=1
	s_or_b32 exec_lo, exec_lo, s25
.LBB311_695:                            ;   in Loop: Header=BB311_433 Depth=1
	s_delay_alu instid0(SALU_CYCLE_1)
	s_or_b32 exec_lo, exec_lo, s24
.LBB311_696:                            ;   in Loop: Header=BB311_433 Depth=1
	s_delay_alu instid0(SALU_CYCLE_1) | instskip(SKIP_3) | instid1(VALU_DEP_2)
	s_or_b32 exec_lo, exec_lo, s23
	v_dual_mov_b32 v73, 0 :: v_dual_lshrrev_b32 v28, 16, v24
	v_mov_b32_e32 v74, 0
	s_mov_b32 s23, exec_lo
	v_and_b32_e32 v16, 0xff, v28
	s_delay_alu instid0(VALU_DEP_1)
	v_cmpx_ne_u16_e32 0, v16
	s_cbranch_execz .LBB311_704
; %bb.697:                              ;   in Loop: Header=BB311_433 Depth=1
	v_bfrev_b32_e32 v74, 1
	s_mov_b32 s24, exec_lo
	v_cmpx_ne_u16_e32 0x80, v16
	s_cbranch_execz .LBB311_703
; %bb.698:                              ;   in Loop: Header=BB311_433 Depth=1
	v_bfe_u32 v71, v24, 16, 7
	v_mov_b32_e32 v74, 0x7f800001
	s_mov_b32 s25, exec_lo
	s_delay_alu instid0(VALU_DEP_2)
	v_cmpx_ne_u32_e32 0x7f, v71
	s_cbranch_execz .LBB311_702
; %bb.699:                              ;   in Loop: Header=BB311_433 Depth=1
	v_dual_lshrrev_b32 v29, 3, v71 :: v_dual_bitop2_b32 v16, 7, v28 bitop3:0x40
	s_mov_b32 s27, exec_lo
	v_cmpx_gt_u32_e32 8, v71
; %bb.700:                              ;   in Loop: Header=BB311_433 Depth=1
	s_delay_alu instid0(VALU_DEP_2) | instskip(NEXT) | instid1(VALU_DEP_1)
	v_clz_i32_u32_e32 v29, v16
	v_min_u32_e32 v29, 32, v29
	s_delay_alu instid0(VALU_DEP_1) | instskip(NEXT) | instid1(VALU_DEP_1)
	v_subrev_nc_u32_e32 v71, 28, v29
	v_lshlrev_b64_e32 v[78:79], v71, v[16:17]
	s_delay_alu instid0(VALU_DEP_1)
	v_dual_sub_nc_u32 v29, 29, v29 :: v_dual_bitop2_b32 v16, 7, v78 bitop3:0x40
; %bb.701:                              ;   in Loop: Header=BB311_433 Depth=1
	s_or_b32 exec_lo, exec_lo, s27
	v_lshlrev_b32_e32 v28, 24, v28
	s_delay_alu instid0(VALU_DEP_2) | instskip(NEXT) | instid1(VALU_DEP_3)
	v_lshlrev_b32_e32 v16, 20, v16
	v_lshl_add_u32 v29, v29, 23, 0x3c000000
	s_delay_alu instid0(VALU_DEP_3) | instskip(NEXT) | instid1(VALU_DEP_1)
	v_and_b32_e32 v28, 0x80000000, v28
	v_or3_b32 v74, v16, v28, v29
.LBB311_702:                            ;   in Loop: Header=BB311_433 Depth=1
	s_or_b32 exec_lo, exec_lo, s25
.LBB311_703:                            ;   in Loop: Header=BB311_433 Depth=1
	s_delay_alu instid0(SALU_CYCLE_1)
	s_or_b32 exec_lo, exec_lo, s24
.LBB311_704:                            ;   in Loop: Header=BB311_433 Depth=1
	s_delay_alu instid0(SALU_CYCLE_1) | instskip(NEXT) | instid1(SALU_CYCLE_1)
	s_or_b32 exec_lo, exec_lo, s23
	s_mov_b32 s23, exec_lo
	v_cmpx_lt_u32_e32 0xffffff, v24
	s_cbranch_execz .LBB311_712
; %bb.705:                              ;   in Loop: Header=BB311_433 Depth=1
	v_lshrrev_b32_e32 v28, 24, v24
	v_bfrev_b32_e32 v73, 1
	s_mov_b32 s24, exec_lo
	s_delay_alu instid0(VALU_DEP_2)
	v_cmpx_ne_u32_e32 0x80, v28
	s_cbranch_execz .LBB311_711
; %bb.706:                              ;   in Loop: Header=BB311_433 Depth=1
	v_bfe_u32 v71, v24, 24, 7
	v_mov_b32_e32 v73, 0x7f800001
	s_mov_b32 s25, exec_lo
	s_delay_alu instid0(VALU_DEP_2)
	v_cmpx_ne_u32_e32 0x7f, v71
	s_cbranch_execz .LBB311_710
; %bb.707:                              ;   in Loop: Header=BB311_433 Depth=1
	v_dual_lshrrev_b32 v29, 3, v71 :: v_dual_bitop2_b32 v16, 7, v28 bitop3:0x40
	s_mov_b32 s27, exec_lo
	v_cmpx_gt_u32_e32 8, v71
; %bb.708:                              ;   in Loop: Header=BB311_433 Depth=1
	s_delay_alu instid0(VALU_DEP_2) | instskip(NEXT) | instid1(VALU_DEP_1)
	v_clz_i32_u32_e32 v29, v16
	v_min_u32_e32 v29, 32, v29
	s_delay_alu instid0(VALU_DEP_1) | instskip(NEXT) | instid1(VALU_DEP_1)
	v_subrev_nc_u32_e32 v71, 28, v29
	v_lshlrev_b64_e32 v[72:73], v71, v[16:17]
	s_delay_alu instid0(VALU_DEP_1)
	v_dual_sub_nc_u32 v29, 29, v29 :: v_dual_bitop2_b32 v16, 7, v72 bitop3:0x40
; %bb.709:                              ;   in Loop: Header=BB311_433 Depth=1
	s_or_b32 exec_lo, exec_lo, s27
	v_lshlrev_b32_e32 v28, 24, v28
	s_delay_alu instid0(VALU_DEP_2) | instskip(NEXT) | instid1(VALU_DEP_3)
	v_lshlrev_b32_e32 v16, 20, v16
	v_lshl_add_u32 v29, v29, 23, 0x3c000000
	s_delay_alu instid0(VALU_DEP_3) | instskip(NEXT) | instid1(VALU_DEP_1)
	v_and_b32_e32 v28, 0x80000000, v28
	v_or3_b32 v73, v16, v28, v29
.LBB311_710:                            ;   in Loop: Header=BB311_433 Depth=1
	s_or_b32 exec_lo, exec_lo, s25
.LBB311_711:                            ;   in Loop: Header=BB311_433 Depth=1
	s_delay_alu instid0(SALU_CYCLE_1)
	s_or_b32 exec_lo, exec_lo, s24
.LBB311_712:                            ;   in Loop: Header=BB311_433 Depth=1
	s_delay_alu instid0(SALU_CYCLE_1) | instskip(SKIP_4) | instid1(VALU_DEP_3)
	s_or_b32 exec_lo, exec_lo, s23
	v_and_b32_e32 v29, 0xff, v25
	v_dual_mov_b32 v16, v25 :: v_dual_mov_b32 v28, 0
	v_mov_b32_e32 v72, 0
	s_mov_b32 s23, exec_lo
	v_cmpx_ne_u16_e32 0, v29
	s_cbranch_execz .LBB311_718
; %bb.713:                              ;   in Loop: Header=BB311_433 Depth=1
	v_bfrev_b32_e32 v72, 1
	s_mov_b32 s24, exec_lo
	v_cmpx_ne_u16_e32 0x80, v29
	s_cbranch_execz .LBB311_717
; %bb.714:                              ;   in Loop: Header=BB311_433 Depth=1
	v_and_b32_e32 v29, 0x7f, v25
	v_mov_b32_e32 v72, 0x7f800001
	s_mov_b32 s25, exec_lo
	s_delay_alu instid0(VALU_DEP_2)
	v_cmpx_ne_u32_e32 0x7f, v29
	s_cbranch_execz .LBB311_716
; %bb.715:                              ;   in Loop: Header=BB311_433 Depth=1
	v_and_b32_e32 v71, 7, v25
	v_cmp_gt_u32_e64 s0, 8, v29
	s_delay_alu instid0(VALU_DEP_2) | instskip(NEXT) | instid1(VALU_DEP_1)
	v_clz_i32_u32_e32 v71, v71
	v_min_u32_e32 v71, 32, v71
	v_lshrrev_b32_e32 v72, 3, v29
	s_delay_alu instid0(VALU_DEP_2) | instskip(SKIP_1) | instid1(VALU_DEP_1)
	v_subrev_nc_u32_e32 v77, 28, v71
	v_sub_nc_u32_e32 v71, 29, v71
	v_dual_cndmask_b32 v29, v72, v71, s0 :: v_dual_cndmask_b32 v71, 0, v77, s0
	s_delay_alu instid0(VALU_DEP_1) | instskip(NEXT) | instid1(VALU_DEP_2)
	v_lshl_add_u32 v29, v29, 23, 0x3c000000
	v_lshlrev_b64_e32 v[78:79], v71, v[16:17]
	v_lshlrev_b32_e32 v71, 24, v16
	s_delay_alu instid0(VALU_DEP_1) | instskip(NEXT) | instid1(VALU_DEP_3)
	v_and_b32_e32 v71, 0x80000000, v71
	v_lshlrev_b32_e32 v72, 20, v78
	s_delay_alu instid0(VALU_DEP_1) | instskip(NEXT) | instid1(VALU_DEP_1)
	v_and_b32_e32 v72, 0x700000, v72
	v_or3_b32 v72, v72, v71, v29
.LBB311_716:                            ;   in Loop: Header=BB311_433 Depth=1
	s_or_b32 exec_lo, exec_lo, s25
.LBB311_717:                            ;   in Loop: Header=BB311_433 Depth=1
	s_delay_alu instid0(SALU_CYCLE_1)
	s_or_b32 exec_lo, exec_lo, s24
.LBB311_718:                            ;   in Loop: Header=BB311_433 Depth=1
	s_delay_alu instid0(SALU_CYCLE_1) | instskip(SKIP_2) | instid1(VALU_DEP_1)
	s_or_b32 exec_lo, exec_lo, s23
	v_lshrrev_b16 v29, 8, v16
	s_mov_b32 s23, exec_lo
	v_cmpx_ne_u16_e32 0, v29
	s_cbranch_execz .LBB311_726
; %bb.719:                              ;   in Loop: Header=BB311_433 Depth=1
	v_bfrev_b32_e32 v28, 1
	s_mov_b32 s24, exec_lo
	v_cmpx_ne_u16_e32 0x80, v29
	s_cbranch_execz .LBB311_725
; %bb.720:                              ;   in Loop: Header=BB311_433 Depth=1
	v_and_b32_e32 v29, 0xffff, v29
	v_mov_b32_e32 v28, 0x7f800001
	s_mov_b32 s25, exec_lo
	s_delay_alu instid0(VALU_DEP_2) | instskip(NEXT) | instid1(VALU_DEP_1)
	v_and_b32_e32 v77, 0x7f, v29
	v_cmpx_ne_u32_e32 0x7f, v77
	s_cbranch_execz .LBB311_724
; %bb.721:                              ;   in Loop: Header=BB311_433 Depth=1
	v_dual_mov_b32 v29, v17 :: v_dual_bitop2_b32 v28, 7, v29 bitop3:0x40
	v_lshrrev_b32_e32 v71, 3, v77
	s_mov_b32 s27, exec_lo
	v_cmpx_gt_u32_e32 8, v77
; %bb.722:                              ;   in Loop: Header=BB311_433 Depth=1
	s_delay_alu instid0(VALU_DEP_3) | instskip(NEXT) | instid1(VALU_DEP_1)
	v_clz_i32_u32_e32 v71, v28
	v_min_u32_e32 v71, 32, v71
	s_delay_alu instid0(VALU_DEP_1) | instskip(NEXT) | instid1(VALU_DEP_1)
	v_subrev_nc_u32_e32 v77, 28, v71
	v_lshlrev_b64_e32 v[28:29], v77, v[28:29]
	s_delay_alu instid0(VALU_DEP_1)
	v_dual_sub_nc_u32 v71, 29, v71 :: v_dual_bitop2_b32 v28, 7, v28 bitop3:0x40
; %bb.723:                              ;   in Loop: Header=BB311_433 Depth=1
	s_or_b32 exec_lo, exec_lo, s27
	v_lshlrev_b32_e32 v16, 16, v16
	s_delay_alu instid0(VALU_DEP_2) | instskip(NEXT) | instid1(VALU_DEP_3)
	v_lshlrev_b32_e32 v28, 20, v28
	v_lshl_add_u32 v29, v71, 23, 0x3c000000
	s_delay_alu instid0(VALU_DEP_3) | instskip(NEXT) | instid1(VALU_DEP_1)
	v_and_b32_e32 v16, 0x80000000, v16
	v_or3_b32 v28, v28, v16, v29
.LBB311_724:                            ;   in Loop: Header=BB311_433 Depth=1
	s_or_b32 exec_lo, exec_lo, s25
.LBB311_725:                            ;   in Loop: Header=BB311_433 Depth=1
	s_delay_alu instid0(SALU_CYCLE_1)
	s_or_b32 exec_lo, exec_lo, s24
.LBB311_726:                            ;   in Loop: Header=BB311_433 Depth=1
	s_delay_alu instid0(SALU_CYCLE_1) | instskip(SKIP_3) | instid1(VALU_DEP_2)
	s_or_b32 exec_lo, exec_lo, s23
	v_dual_lshrrev_b32 v71, 16, v25 :: v_dual_mov_b32 v29, 0
	v_mov_b32_e32 v77, 0
	s_mov_b32 s23, exec_lo
	v_and_b32_e32 v16, 0xff, v71
	s_delay_alu instid0(VALU_DEP_1)
	v_cmpx_ne_u16_e32 0, v16
	s_cbranch_execz .LBB311_734
; %bb.727:                              ;   in Loop: Header=BB311_433 Depth=1
	v_bfrev_b32_e32 v77, 1
	s_mov_b32 s24, exec_lo
	v_cmpx_ne_u16_e32 0x80, v16
	s_cbranch_execz .LBB311_733
; %bb.728:                              ;   in Loop: Header=BB311_433 Depth=1
	v_bfe_u32 v78, v25, 16, 7
	v_mov_b32_e32 v77, 0x7f800001
	s_mov_b32 s25, exec_lo
	s_delay_alu instid0(VALU_DEP_2)
	v_cmpx_ne_u32_e32 0x7f, v78
	s_cbranch_execz .LBB311_732
; %bb.729:                              ;   in Loop: Header=BB311_433 Depth=1
	v_dual_lshrrev_b32 v77, 3, v78 :: v_dual_bitop2_b32 v16, 7, v71 bitop3:0x40
	s_mov_b32 s27, exec_lo
	v_cmpx_gt_u32_e32 8, v78
; %bb.730:                              ;   in Loop: Header=BB311_433 Depth=1
	s_delay_alu instid0(VALU_DEP_2) | instskip(NEXT) | instid1(VALU_DEP_1)
	v_clz_i32_u32_e32 v77, v16
	v_min_u32_e32 v77, 32, v77
	s_delay_alu instid0(VALU_DEP_1) | instskip(NEXT) | instid1(VALU_DEP_1)
	v_subrev_nc_u32_e32 v78, 28, v77
	v_lshlrev_b64_e32 v[78:79], v78, v[16:17]
	s_delay_alu instid0(VALU_DEP_1)
	v_dual_sub_nc_u32 v77, 29, v77 :: v_dual_bitop2_b32 v16, 7, v78 bitop3:0x40
; %bb.731:                              ;   in Loop: Header=BB311_433 Depth=1
	s_or_b32 exec_lo, exec_lo, s27
	s_delay_alu instid0(VALU_DEP_1) | instskip(NEXT) | instid1(VALU_DEP_2)
	v_dual_lshlrev_b32 v71, 24, v71 :: v_dual_lshlrev_b32 v16, 20, v16
	v_lshl_add_u32 v77, v77, 23, 0x3c000000
	s_delay_alu instid0(VALU_DEP_2) | instskip(NEXT) | instid1(VALU_DEP_1)
	v_and_b32_e32 v71, 0x80000000, v71
	v_or3_b32 v77, v16, v71, v77
.LBB311_732:                            ;   in Loop: Header=BB311_433 Depth=1
	s_or_b32 exec_lo, exec_lo, s25
.LBB311_733:                            ;   in Loop: Header=BB311_433 Depth=1
	s_delay_alu instid0(SALU_CYCLE_1)
	s_or_b32 exec_lo, exec_lo, s24
.LBB311_734:                            ;   in Loop: Header=BB311_433 Depth=1
	s_delay_alu instid0(SALU_CYCLE_1) | instskip(NEXT) | instid1(SALU_CYCLE_1)
	s_or_b32 exec_lo, exec_lo, s23
	s_mov_b32 s23, exec_lo
	v_cmpx_lt_u64_e64 s[2:3], v[24:25]
	s_cbranch_execz .LBB311_742
; %bb.735:                              ;   in Loop: Header=BB311_433 Depth=1
	v_lshrrev_b32_e32 v24, 24, v25
	v_bfrev_b32_e32 v29, 1
	s_mov_b32 s24, exec_lo
	s_delay_alu instid0(VALU_DEP_2)
	v_cmpx_ne_u32_e32 0x80, v24
	s_cbranch_execz .LBB311_741
; %bb.736:                              ;   in Loop: Header=BB311_433 Depth=1
	v_bfe_u32 v71, v25, 24, 7
	v_mov_b32_e32 v29, 0x7f800001
	s_mov_b32 s25, exec_lo
	s_delay_alu instid0(VALU_DEP_2)
	v_cmpx_ne_u32_e32 0x7f, v71
	s_cbranch_execz .LBB311_740
; %bb.737:                              ;   in Loop: Header=BB311_433 Depth=1
	v_dual_lshrrev_b32 v25, 3, v71 :: v_dual_bitop2_b32 v16, 7, v24 bitop3:0x40
	s_mov_b32 s27, exec_lo
	v_cmpx_gt_u32_e32 8, v71
; %bb.738:                              ;   in Loop: Header=BB311_433 Depth=1
	s_delay_alu instid0(VALU_DEP_2) | instskip(NEXT) | instid1(VALU_DEP_1)
	v_clz_i32_u32_e32 v25, v16
	v_min_u32_e32 v25, 32, v25
	s_delay_alu instid0(VALU_DEP_1) | instskip(NEXT) | instid1(VALU_DEP_1)
	v_subrev_nc_u32_e32 v29, 28, v25
	v_lshlrev_b64_e32 v[78:79], v29, v[16:17]
	s_delay_alu instid0(VALU_DEP_1)
	v_dual_sub_nc_u32 v25, 29, v25 :: v_dual_bitop2_b32 v16, 7, v78 bitop3:0x40
; %bb.739:                              ;   in Loop: Header=BB311_433 Depth=1
	s_or_b32 exec_lo, exec_lo, s27
	v_lshlrev_b32_e32 v24, 24, v24
	s_delay_alu instid0(VALU_DEP_2) | instskip(NEXT) | instid1(VALU_DEP_3)
	v_lshlrev_b32_e32 v16, 20, v16
	v_lshl_add_u32 v25, v25, 23, 0x3c000000
	s_delay_alu instid0(VALU_DEP_3) | instskip(NEXT) | instid1(VALU_DEP_1)
	v_and_b32_e32 v24, 0x80000000, v24
	v_or3_b32 v29, v16, v24, v25
.LBB311_740:                            ;   in Loop: Header=BB311_433 Depth=1
	s_or_b32 exec_lo, exec_lo, s25
.LBB311_741:                            ;   in Loop: Header=BB311_433 Depth=1
	s_delay_alu instid0(SALU_CYCLE_1)
	s_or_b32 exec_lo, exec_lo, s24
.LBB311_742:                            ;   in Loop: Header=BB311_433 Depth=1
	s_delay_alu instid0(SALU_CYCLE_1)
	s_or_b32 exec_lo, exec_lo, s23
	v_fma_mixlo_bf16 v71, s22, v28, 0
	v_fma_mixlo_bf16 v72, s22, v72, 0
	;; [unrolled: 1-line block ×8, first 2 shown]
	s_and_saveexec_b32 s23, vcc_lo
	s_cbranch_execz .LBB311_744
; %bb.743:                              ;   in Loop: Header=BB311_433 Depth=1
	v_cmp_gt_i32_e64 s0, s34, v26
	s_delay_alu instid0(VALU_DEP_1) | instskip(SKIP_1) | instid1(VALU_DEP_1)
	v_cndmask_b32_e64 v76, 0, v76, s0
	v_cmp_gt_i32_e64 s0, s34, v46
	v_cndmask_b32_e64 v75, 0, v75, s0
	v_cmp_gt_i32_e64 s0, s34, v45
	s_delay_alu instid0(VALU_DEP_1) | instskip(SKIP_1) | instid1(VALU_DEP_1)
	v_cndmask_b32_e64 v74, 0, v74, s0
	v_cmp_gt_i32_e64 s0, s34, v44
	v_cndmask_b32_e64 v73, 0, v73, s0
	;; [unrolled: 5-line block ×4, first 2 shown]
.LBB311_744:                            ;   in Loop: Header=BB311_433 Depth=1
	s_or_b32 exec_lo, exec_lo, s23
	global_load_b64 v[22:23], v[22:23], off offset:1280
	v_dual_mov_b32 v78, 0 :: v_dual_mov_b32 v77, 0
	s_mov_b32 s23, exec_lo
	s_wait_loadcnt 0x0
	v_and_b32_e32 v16, 0xff, v22
	s_delay_alu instid0(VALU_DEP_1)
	v_cmpx_ne_u16_e32 0, v16
	s_cbranch_execz .LBB311_750
; %bb.745:                              ;   in Loop: Header=BB311_433 Depth=1
	v_bfrev_b32_e32 v77, 1
	s_mov_b32 s24, exec_lo
	v_cmpx_ne_u16_e32 0x80, v16
	s_cbranch_execz .LBB311_749
; %bb.746:                              ;   in Loop: Header=BB311_433 Depth=1
	v_and_b32_e32 v16, 0x7f, v22
	v_mov_b32_e32 v77, 0x7f800001
	s_mov_b32 s25, exec_lo
	s_delay_alu instid0(VALU_DEP_2)
	v_cmpx_ne_u32_e32 0x7f, v16
	s_cbranch_execz .LBB311_748
; %bb.747:                              ;   in Loop: Header=BB311_433 Depth=1
	v_dual_lshrrev_b32 v25, 3, v16 :: v_dual_bitop2_b32 v24, 7, v22 bitop3:0x40
	v_cmp_gt_u32_e64 s0, 8, v16
	s_delay_alu instid0(VALU_DEP_2) | instskip(NEXT) | instid1(VALU_DEP_1)
	v_clz_i32_u32_e32 v24, v24
	v_min_u32_e32 v24, 32, v24
	s_delay_alu instid0(VALU_DEP_1) | instskip(SKIP_1) | instid1(VALU_DEP_1)
	v_subrev_nc_u32_e32 v77, 28, v24
	v_sub_nc_u32_e32 v24, 29, v24
	v_dual_cndmask_b32 v16, v25, v24, s0 :: v_dual_cndmask_b32 v24, 0, v77, s0
	s_delay_alu instid0(VALU_DEP_1) | instskip(NEXT) | instid1(VALU_DEP_2)
	v_lshl_add_u32 v16, v16, 23, 0x3c000000
	v_lshlrev_b64_e32 v[24:25], v24, v[22:23]
	v_lshlrev_b32_e32 v25, 24, v22
	s_delay_alu instid0(VALU_DEP_1) | instskip(NEXT) | instid1(VALU_DEP_3)
	v_and_b32_e32 v25, 0x80000000, v25
	v_lshlrev_b32_e32 v24, 20, v24
	s_delay_alu instid0(VALU_DEP_1) | instskip(NEXT) | instid1(VALU_DEP_1)
	v_and_b32_e32 v24, 0x700000, v24
	v_or3_b32 v77, v24, v25, v16
.LBB311_748:                            ;   in Loop: Header=BB311_433 Depth=1
	s_or_b32 exec_lo, exec_lo, s25
.LBB311_749:                            ;   in Loop: Header=BB311_433 Depth=1
	s_delay_alu instid0(SALU_CYCLE_1)
	s_or_b32 exec_lo, exec_lo, s24
.LBB311_750:                            ;   in Loop: Header=BB311_433 Depth=1
	s_delay_alu instid0(SALU_CYCLE_1) | instskip(SKIP_2) | instid1(VALU_DEP_1)
	s_or_b32 exec_lo, exec_lo, s23
	v_lshrrev_b16 v16, 8, v22
	s_mov_b32 s23, exec_lo
	v_cmpx_ne_u16_e32 0, v16
	s_cbranch_execz .LBB311_758
; %bb.751:                              ;   in Loop: Header=BB311_433 Depth=1
	v_bfrev_b32_e32 v78, 1
	s_mov_b32 s24, exec_lo
	v_cmpx_ne_u16_e32 0x80, v16
	s_cbranch_execz .LBB311_757
; %bb.752:                              ;   in Loop: Header=BB311_433 Depth=1
	v_and_b32_e32 v16, 0xffff, v16
	v_mov_b32_e32 v78, 0x7f800001
	s_mov_b32 s25, exec_lo
	s_delay_alu instid0(VALU_DEP_2) | instskip(NEXT) | instid1(VALU_DEP_1)
	v_and_b32_e32 v25, 0x7f, v16
	v_cmpx_ne_u32_e32 0x7f, v25
	s_cbranch_execz .LBB311_756
; %bb.753:                              ;   in Loop: Header=BB311_433 Depth=1
	v_dual_lshrrev_b32 v24, 3, v25 :: v_dual_bitop2_b32 v16, 7, v16 bitop3:0x40
	s_mov_b32 s27, exec_lo
	v_cmpx_gt_u32_e32 8, v25
; %bb.754:                              ;   in Loop: Header=BB311_433 Depth=1
	s_delay_alu instid0(VALU_DEP_2) | instskip(NEXT) | instid1(VALU_DEP_1)
	v_clz_i32_u32_e32 v24, v16
	v_min_u32_e32 v24, 32, v24
	s_delay_alu instid0(VALU_DEP_1) | instskip(NEXT) | instid1(VALU_DEP_1)
	v_subrev_nc_u32_e32 v25, 28, v24
	v_lshlrev_b64_e32 v[78:79], v25, v[16:17]
	s_delay_alu instid0(VALU_DEP_1)
	v_dual_sub_nc_u32 v24, 29, v24 :: v_dual_bitop2_b32 v16, 7, v78 bitop3:0x40
; %bb.755:                              ;   in Loop: Header=BB311_433 Depth=1
	s_or_b32 exec_lo, exec_lo, s27
	s_delay_alu instid0(VALU_DEP_1) | instskip(NEXT) | instid1(VALU_DEP_2)
	v_dual_lshlrev_b32 v25, 16, v22 :: v_dual_lshlrev_b32 v16, 20, v16
	v_lshl_add_u32 v24, v24, 23, 0x3c000000
	s_delay_alu instid0(VALU_DEP_2) | instskip(NEXT) | instid1(VALU_DEP_1)
	v_and_b32_e32 v25, 0x80000000, v25
	v_or3_b32 v78, v16, v25, v24
.LBB311_756:                            ;   in Loop: Header=BB311_433 Depth=1
	s_or_b32 exec_lo, exec_lo, s25
.LBB311_757:                            ;   in Loop: Header=BB311_433 Depth=1
	s_delay_alu instid0(SALU_CYCLE_1)
	s_or_b32 exec_lo, exec_lo, s24
.LBB311_758:                            ;   in Loop: Header=BB311_433 Depth=1
	s_delay_alu instid0(SALU_CYCLE_1) | instskip(SKIP_3) | instid1(VALU_DEP_2)
	s_or_b32 exec_lo, exec_lo, s23
	v_dual_lshrrev_b32 v24, 16, v22 :: v_dual_mov_b32 v80, 0
	v_mov_b32_e32 v79, 0
	s_mov_b32 s23, exec_lo
	v_and_b32_e32 v16, 0xff, v24
	s_delay_alu instid0(VALU_DEP_1)
	v_cmpx_ne_u16_e32 0, v16
	s_cbranch_execz .LBB311_766
; %bb.759:                              ;   in Loop: Header=BB311_433 Depth=1
	v_bfrev_b32_e32 v79, 1
	s_mov_b32 s24, exec_lo
	v_cmpx_ne_u16_e32 0x80, v16
	s_cbranch_execz .LBB311_765
; %bb.760:                              ;   in Loop: Header=BB311_433 Depth=1
	v_bfe_u32 v81, v22, 16, 7
	v_mov_b32_e32 v79, 0x7f800001
	s_mov_b32 s25, exec_lo
	s_delay_alu instid0(VALU_DEP_2)
	v_cmpx_ne_u32_e32 0x7f, v81
	s_cbranch_execz .LBB311_764
; %bb.761:                              ;   in Loop: Header=BB311_433 Depth=1
	v_dual_lshrrev_b32 v25, 3, v81 :: v_dual_bitop2_b32 v16, 7, v24 bitop3:0x40
	s_mov_b32 s27, exec_lo
	v_cmpx_gt_u32_e32 8, v81
; %bb.762:                              ;   in Loop: Header=BB311_433 Depth=1
	s_delay_alu instid0(VALU_DEP_2) | instskip(NEXT) | instid1(VALU_DEP_1)
	v_clz_i32_u32_e32 v25, v16
	v_min_u32_e32 v25, 32, v25
	s_delay_alu instid0(VALU_DEP_1) | instskip(NEXT) | instid1(VALU_DEP_1)
	v_subrev_nc_u32_e32 v79, 28, v25
	v_lshlrev_b64_e32 v[82:83], v79, v[16:17]
	s_delay_alu instid0(VALU_DEP_1)
	v_dual_sub_nc_u32 v25, 29, v25 :: v_dual_bitop2_b32 v16, 7, v82 bitop3:0x40
; %bb.763:                              ;   in Loop: Header=BB311_433 Depth=1
	s_or_b32 exec_lo, exec_lo, s27
	v_lshlrev_b32_e32 v24, 24, v24
	s_delay_alu instid0(VALU_DEP_2) | instskip(NEXT) | instid1(VALU_DEP_3)
	v_lshlrev_b32_e32 v16, 20, v16
	v_lshl_add_u32 v25, v25, 23, 0x3c000000
	s_delay_alu instid0(VALU_DEP_3) | instskip(NEXT) | instid1(VALU_DEP_1)
	v_and_b32_e32 v24, 0x80000000, v24
	v_or3_b32 v79, v16, v24, v25
.LBB311_764:                            ;   in Loop: Header=BB311_433 Depth=1
	s_or_b32 exec_lo, exec_lo, s25
.LBB311_765:                            ;   in Loop: Header=BB311_433 Depth=1
	s_delay_alu instid0(SALU_CYCLE_1)
	s_or_b32 exec_lo, exec_lo, s24
.LBB311_766:                            ;   in Loop: Header=BB311_433 Depth=1
	s_delay_alu instid0(SALU_CYCLE_1) | instskip(NEXT) | instid1(SALU_CYCLE_1)
	s_or_b32 exec_lo, exec_lo, s23
	s_mov_b32 s23, exec_lo
	v_cmpx_lt_u32_e32 0xffffff, v22
	s_cbranch_execz .LBB311_774
; %bb.767:                              ;   in Loop: Header=BB311_433 Depth=1
	v_lshrrev_b32_e32 v24, 24, v22
	v_bfrev_b32_e32 v80, 1
	s_mov_b32 s24, exec_lo
	s_delay_alu instid0(VALU_DEP_2)
	v_cmpx_ne_u32_e32 0x80, v24
	s_cbranch_execz .LBB311_773
; %bb.768:                              ;   in Loop: Header=BB311_433 Depth=1
	v_bfe_u32 v81, v22, 24, 7
	v_mov_b32_e32 v80, 0x7f800001
	s_mov_b32 s25, exec_lo
	s_delay_alu instid0(VALU_DEP_2)
	v_cmpx_ne_u32_e32 0x7f, v81
	s_cbranch_execz .LBB311_772
; %bb.769:                              ;   in Loop: Header=BB311_433 Depth=1
	v_dual_lshrrev_b32 v25, 3, v81 :: v_dual_bitop2_b32 v16, 7, v24 bitop3:0x40
	s_mov_b32 s27, exec_lo
	v_cmpx_gt_u32_e32 8, v81
; %bb.770:                              ;   in Loop: Header=BB311_433 Depth=1
	s_delay_alu instid0(VALU_DEP_2) | instskip(NEXT) | instid1(VALU_DEP_1)
	v_clz_i32_u32_e32 v25, v16
	v_min_u32_e32 v25, 32, v25
	s_delay_alu instid0(VALU_DEP_1) | instskip(NEXT) | instid1(VALU_DEP_1)
	v_subrev_nc_u32_e32 v80, 28, v25
	v_lshlrev_b64_e32 v[80:81], v80, v[16:17]
	s_delay_alu instid0(VALU_DEP_1)
	v_dual_sub_nc_u32 v25, 29, v25 :: v_dual_bitop2_b32 v16, 7, v80 bitop3:0x40
; %bb.771:                              ;   in Loop: Header=BB311_433 Depth=1
	s_or_b32 exec_lo, exec_lo, s27
	v_lshlrev_b32_e32 v24, 24, v24
	s_delay_alu instid0(VALU_DEP_2) | instskip(NEXT) | instid1(VALU_DEP_3)
	v_lshlrev_b32_e32 v16, 20, v16
	v_lshl_add_u32 v25, v25, 23, 0x3c000000
	s_delay_alu instid0(VALU_DEP_3) | instskip(NEXT) | instid1(VALU_DEP_1)
	v_and_b32_e32 v24, 0x80000000, v24
	v_or3_b32 v80, v16, v24, v25
.LBB311_772:                            ;   in Loop: Header=BB311_433 Depth=1
	s_or_b32 exec_lo, exec_lo, s25
.LBB311_773:                            ;   in Loop: Header=BB311_433 Depth=1
	s_delay_alu instid0(SALU_CYCLE_1)
	s_or_b32 exec_lo, exec_lo, s24
.LBB311_774:                            ;   in Loop: Header=BB311_433 Depth=1
	s_delay_alu instid0(SALU_CYCLE_1) | instskip(SKIP_4) | instid1(VALU_DEP_3)
	s_or_b32 exec_lo, exec_lo, s23
	v_and_b32_e32 v25, 0xff, v23
	v_dual_mov_b32 v16, v23 :: v_dual_mov_b32 v24, 0
	v_mov_b32_e32 v81, 0
	s_mov_b32 s23, exec_lo
	v_cmpx_ne_u16_e32 0, v25
	s_cbranch_execz .LBB311_780
; %bb.775:                              ;   in Loop: Header=BB311_433 Depth=1
	v_bfrev_b32_e32 v81, 1
	s_mov_b32 s24, exec_lo
	v_cmpx_ne_u16_e32 0x80, v25
	s_cbranch_execz .LBB311_779
; %bb.776:                              ;   in Loop: Header=BB311_433 Depth=1
	v_and_b32_e32 v25, 0x7f, v23
	v_mov_b32_e32 v81, 0x7f800001
	s_mov_b32 s25, exec_lo
	s_delay_alu instid0(VALU_DEP_2)
	v_cmpx_ne_u32_e32 0x7f, v25
	s_cbranch_execz .LBB311_778
; %bb.777:                              ;   in Loop: Header=BB311_433 Depth=1
	v_dual_lshrrev_b32 v82, 3, v25 :: v_dual_bitop2_b32 v81, 7, v23 bitop3:0x40
	v_cmp_gt_u32_e64 s0, 8, v25
	s_delay_alu instid0(VALU_DEP_2) | instskip(NEXT) | instid1(VALU_DEP_1)
	v_clz_i32_u32_e32 v81, v81
	v_min_u32_e32 v81, 32, v81
	s_delay_alu instid0(VALU_DEP_1) | instskip(SKIP_1) | instid1(VALU_DEP_1)
	v_subrev_nc_u32_e32 v83, 28, v81
	v_sub_nc_u32_e32 v81, 29, v81
	v_dual_cndmask_b32 v25, v82, v81, s0 :: v_dual_cndmask_b32 v81, 0, v83, s0
	s_delay_alu instid0(VALU_DEP_1) | instskip(NEXT) | instid1(VALU_DEP_2)
	v_lshl_add_u32 v25, v25, 23, 0x3c000000
	v_lshlrev_b64_e32 v[82:83], v81, v[16:17]
	v_lshlrev_b32_e32 v81, 24, v16
	s_delay_alu instid0(VALU_DEP_1) | instskip(NEXT) | instid1(VALU_DEP_3)
	v_and_b32_e32 v81, 0x80000000, v81
	v_lshlrev_b32_e32 v82, 20, v82
	s_delay_alu instid0(VALU_DEP_1) | instskip(NEXT) | instid1(VALU_DEP_1)
	v_and_b32_e32 v82, 0x700000, v82
	v_or3_b32 v81, v82, v81, v25
.LBB311_778:                            ;   in Loop: Header=BB311_433 Depth=1
	s_or_b32 exec_lo, exec_lo, s25
.LBB311_779:                            ;   in Loop: Header=BB311_433 Depth=1
	s_delay_alu instid0(SALU_CYCLE_1)
	s_or_b32 exec_lo, exec_lo, s24
.LBB311_780:                            ;   in Loop: Header=BB311_433 Depth=1
	s_delay_alu instid0(SALU_CYCLE_1) | instskip(SKIP_2) | instid1(VALU_DEP_1)
	s_or_b32 exec_lo, exec_lo, s23
	v_lshrrev_b16 v25, 8, v16
	s_mov_b32 s23, exec_lo
	v_cmpx_ne_u16_e32 0, v25
	s_cbranch_execz .LBB311_788
; %bb.781:                              ;   in Loop: Header=BB311_433 Depth=1
	v_bfrev_b32_e32 v24, 1
	s_mov_b32 s24, exec_lo
	v_cmpx_ne_u16_e32 0x80, v25
	s_cbranch_execz .LBB311_787
; %bb.782:                              ;   in Loop: Header=BB311_433 Depth=1
	v_and_b32_e32 v25, 0xffff, v25
	v_mov_b32_e32 v24, 0x7f800001
	s_mov_b32 s25, exec_lo
	s_delay_alu instid0(VALU_DEP_2) | instskip(NEXT) | instid1(VALU_DEP_1)
	v_and_b32_e32 v83, 0x7f, v25
	v_cmpx_ne_u32_e32 0x7f, v83
	s_cbranch_execz .LBB311_786
; %bb.783:                              ;   in Loop: Header=BB311_433 Depth=1
	v_dual_mov_b32 v25, v17 :: v_dual_bitop2_b32 v24, 7, v25 bitop3:0x40
	v_lshrrev_b32_e32 v82, 3, v83
	s_mov_b32 s27, exec_lo
	v_cmpx_gt_u32_e32 8, v83
; %bb.784:                              ;   in Loop: Header=BB311_433 Depth=1
	s_delay_alu instid0(VALU_DEP_3) | instskip(NEXT) | instid1(VALU_DEP_1)
	v_clz_i32_u32_e32 v82, v24
	v_min_u32_e32 v82, 32, v82
	s_delay_alu instid0(VALU_DEP_1) | instskip(NEXT) | instid1(VALU_DEP_1)
	v_subrev_nc_u32_e32 v83, 28, v82
	v_lshlrev_b64_e32 v[24:25], v83, v[24:25]
	s_delay_alu instid0(VALU_DEP_1)
	v_dual_sub_nc_u32 v82, 29, v82 :: v_dual_bitop2_b32 v24, 7, v24 bitop3:0x40
; %bb.785:                              ;   in Loop: Header=BB311_433 Depth=1
	s_or_b32 exec_lo, exec_lo, s27
	v_lshlrev_b32_e32 v16, 16, v16
	s_delay_alu instid0(VALU_DEP_2) | instskip(NEXT) | instid1(VALU_DEP_3)
	v_lshlrev_b32_e32 v24, 20, v24
	v_lshl_add_u32 v25, v82, 23, 0x3c000000
	s_delay_alu instid0(VALU_DEP_3) | instskip(NEXT) | instid1(VALU_DEP_1)
	v_and_b32_e32 v16, 0x80000000, v16
	v_or3_b32 v24, v24, v16, v25
.LBB311_786:                            ;   in Loop: Header=BB311_433 Depth=1
	s_or_b32 exec_lo, exec_lo, s25
.LBB311_787:                            ;   in Loop: Header=BB311_433 Depth=1
	s_delay_alu instid0(SALU_CYCLE_1)
	s_or_b32 exec_lo, exec_lo, s24
.LBB311_788:                            ;   in Loop: Header=BB311_433 Depth=1
	s_delay_alu instid0(SALU_CYCLE_1) | instskip(SKIP_3) | instid1(VALU_DEP_2)
	s_or_b32 exec_lo, exec_lo, s23
	v_dual_lshrrev_b32 v83, 16, v23 :: v_dual_mov_b32 v25, 0
	v_mov_b32_e32 v82, 0
	s_mov_b32 s23, exec_lo
	v_and_b32_e32 v16, 0xff, v83
	s_delay_alu instid0(VALU_DEP_1)
	v_cmpx_ne_u16_e32 0, v16
	s_cbranch_execz .LBB311_796
; %bb.789:                              ;   in Loop: Header=BB311_433 Depth=1
	v_bfrev_b32_e32 v82, 1
	s_mov_b32 s24, exec_lo
	v_cmpx_ne_u16_e32 0x80, v16
	s_cbranch_execz .LBB311_795
; %bb.790:                              ;   in Loop: Header=BB311_433 Depth=1
	v_bfe_u32 v84, v23, 16, 7
	v_mov_b32_e32 v82, 0x7f800001
	s_mov_b32 s25, exec_lo
	s_delay_alu instid0(VALU_DEP_2)
	v_cmpx_ne_u32_e32 0x7f, v84
	s_cbranch_execz .LBB311_794
; %bb.791:                              ;   in Loop: Header=BB311_433 Depth=1
	v_dual_lshrrev_b32 v82, 3, v84 :: v_dual_bitop2_b32 v16, 7, v83 bitop3:0x40
	s_mov_b32 s27, exec_lo
	v_cmpx_gt_u32_e32 8, v84
; %bb.792:                              ;   in Loop: Header=BB311_433 Depth=1
	s_delay_alu instid0(VALU_DEP_2) | instskip(NEXT) | instid1(VALU_DEP_1)
	v_clz_i32_u32_e32 v82, v16
	v_min_u32_e32 v82, 32, v82
	s_delay_alu instid0(VALU_DEP_1) | instskip(NEXT) | instid1(VALU_DEP_1)
	v_subrev_nc_u32_e32 v84, 28, v82
	v_lshlrev_b64_e32 v[84:85], v84, v[16:17]
	s_delay_alu instid0(VALU_DEP_1)
	v_dual_sub_nc_u32 v82, 29, v82 :: v_dual_bitop2_b32 v16, 7, v84 bitop3:0x40
; %bb.793:                              ;   in Loop: Header=BB311_433 Depth=1
	s_or_b32 exec_lo, exec_lo, s27
	s_delay_alu instid0(VALU_DEP_1) | instskip(NEXT) | instid1(VALU_DEP_2)
	v_dual_lshlrev_b32 v83, 24, v83 :: v_dual_lshlrev_b32 v16, 20, v16
	v_lshl_add_u32 v82, v82, 23, 0x3c000000
	s_delay_alu instid0(VALU_DEP_2) | instskip(NEXT) | instid1(VALU_DEP_1)
	v_and_b32_e32 v83, 0x80000000, v83
	v_or3_b32 v82, v16, v83, v82
.LBB311_794:                            ;   in Loop: Header=BB311_433 Depth=1
	s_or_b32 exec_lo, exec_lo, s25
.LBB311_795:                            ;   in Loop: Header=BB311_433 Depth=1
	s_delay_alu instid0(SALU_CYCLE_1)
	s_or_b32 exec_lo, exec_lo, s24
.LBB311_796:                            ;   in Loop: Header=BB311_433 Depth=1
	s_delay_alu instid0(SALU_CYCLE_1) | instskip(NEXT) | instid1(SALU_CYCLE_1)
	s_or_b32 exec_lo, exec_lo, s23
	s_mov_b32 s23, exec_lo
	v_cmpx_lt_u64_e64 s[2:3], v[22:23]
	s_cbranch_execz .LBB311_804
; %bb.797:                              ;   in Loop: Header=BB311_433 Depth=1
	v_lshrrev_b32_e32 v22, 24, v23
	v_bfrev_b32_e32 v25, 1
	s_mov_b32 s24, exec_lo
	s_delay_alu instid0(VALU_DEP_2)
	v_cmpx_ne_u32_e32 0x80, v22
	s_cbranch_execz .LBB311_803
; %bb.798:                              ;   in Loop: Header=BB311_433 Depth=1
	v_bfe_u32 v83, v23, 24, 7
	v_mov_b32_e32 v25, 0x7f800001
	s_mov_b32 s25, exec_lo
	s_delay_alu instid0(VALU_DEP_2)
	v_cmpx_ne_u32_e32 0x7f, v83
	s_cbranch_execz .LBB311_802
; %bb.799:                              ;   in Loop: Header=BB311_433 Depth=1
	v_dual_lshrrev_b32 v23, 3, v83 :: v_dual_bitop2_b32 v16, 7, v22 bitop3:0x40
	s_mov_b32 s27, exec_lo
	v_cmpx_gt_u32_e32 8, v83
; %bb.800:                              ;   in Loop: Header=BB311_433 Depth=1
	s_delay_alu instid0(VALU_DEP_2) | instskip(NEXT) | instid1(VALU_DEP_1)
	v_clz_i32_u32_e32 v23, v16
	v_min_u32_e32 v23, 32, v23
	s_delay_alu instid0(VALU_DEP_1) | instskip(NEXT) | instid1(VALU_DEP_1)
	v_subrev_nc_u32_e32 v25, 28, v23
	v_lshlrev_b64_e32 v[84:85], v25, v[16:17]
	s_delay_alu instid0(VALU_DEP_1)
	v_dual_sub_nc_u32 v23, 29, v23 :: v_dual_bitop2_b32 v16, 7, v84 bitop3:0x40
; %bb.801:                              ;   in Loop: Header=BB311_433 Depth=1
	s_or_b32 exec_lo, exec_lo, s27
	s_delay_alu instid0(VALU_DEP_1) | instskip(NEXT) | instid1(VALU_DEP_2)
	v_dual_lshlrev_b32 v22, 24, v22 :: v_dual_lshlrev_b32 v16, 20, v16
	v_lshl_add_u32 v23, v23, 23, 0x3c000000
	s_delay_alu instid0(VALU_DEP_2) | instskip(NEXT) | instid1(VALU_DEP_1)
	v_and_b32_e32 v22, 0x80000000, v22
	v_or3_b32 v25, v16, v22, v23
.LBB311_802:                            ;   in Loop: Header=BB311_433 Depth=1
	s_or_b32 exec_lo, exec_lo, s25
.LBB311_803:                            ;   in Loop: Header=BB311_433 Depth=1
	s_delay_alu instid0(SALU_CYCLE_1)
	s_or_b32 exec_lo, exec_lo, s24
.LBB311_804:                            ;   in Loop: Header=BB311_433 Depth=1
	s_delay_alu instid0(SALU_CYCLE_1)
	s_or_b32 exec_lo, exec_lo, s23
	v_fma_mixlo_bf16 v16, s22, v24, 0
	v_fma_mixlo_bf16 v22, s22, v81, 0
	;; [unrolled: 1-line block ×8, first 2 shown]
	s_and_saveexec_b32 s0, vcc_lo
	s_cbranch_execz .LBB311_431
; %bb.805:                              ;   in Loop: Header=BB311_433 Depth=1
	v_cmp_gt_i32_e32 vcc_lo, s34, v26
	v_cndmask_b32_e32 v77, 0, v77, vcc_lo
	v_cmp_gt_i32_e32 vcc_lo, s34, v46
	v_cndmask_b32_e32 v78, 0, v78, vcc_lo
	;; [unrolled: 2-line block ×8, first 2 shown]
	s_branch .LBB311_431
.LBB311_806:
	s_or_b32 exec_lo, exec_lo, s18
.LBB311_807:
	s_delay_alu instid0(SALU_CYCLE_1) | instskip(SKIP_4) | instid1(VALU_DEP_2)
	s_or_b32 exec_lo, exec_lo, s1
	v_lshl_add_u32 v2, v30, 2, 0x1a0
	v_and_b32_e32 v3, 0x3c0, v0
	s_mov_b32 s0, exec_lo
	s_barrier_signal -1
	v_mad_u32_u24 v1, 0x300, v1, v2
	s_barrier_wait -1
	v_cmpx_eq_u32_e32 64, v3
	s_cbranch_execz .LBB311_809
; %bb.808:
	s_delay_alu instid0(VALU_DEP_2)
	v_add_nc_u32_e32 v3, 0xfffffa00, v1
	v_add_nc_u32_e32 v4, 0xfffffa80, v1
	;; [unrolled: 1-line block ×6, first 2 shown]
	ds_store_b32 v3, v10
	ds_store_b32 v4, v11
	;; [unrolled: 1-line block ×6, first 2 shown]
.LBB311_809:
	s_or_b32 exec_lo, exec_lo, s0
	s_delay_alu instid0(SALU_CYCLE_1)
	s_mov_b32 s0, exec_lo
	s_wait_dscnt 0x0
	s_barrier_signal -1
	s_barrier_wait -1
	v_cmpx_gt_u32_e32 64, v0
	s_cbranch_execz .LBB311_811
; %bb.810:
	ds_load_2addr_b32 v[4:5], v1 offset1:32
	ds_load_2addr_b32 v[6:7], v1 offset0:64 offset1:96
	ds_load_2addr_b32 v[8:9], v1 offset0:128 offset1:160
	s_wait_dscnt 0x2
	v_pk_add_f32 v[10:11], v[10:11], v[4:5]
	s_wait_dscnt 0x1
	v_pk_add_f32 v[12:13], v[12:13], v[6:7]
	;; [unrolled: 2-line block ×3, first 2 shown]
.LBB311_811:
	s_or_b32 exec_lo, exec_lo, s0
	v_and_b32_e32 v3, 0x3e0, v0
	s_mov_b32 s0, exec_lo
	s_barrier_signal -1
	s_barrier_wait -1
	s_delay_alu instid0(VALU_DEP_1)
	v_cmpx_eq_u32_e32 32, v3
	s_cbranch_execz .LBB311_813
; %bb.812:
	ds_store_2addr_b32 v2, v10, v11 offset1:32
	ds_store_2addr_b32 v2, v12, v13 offset0:64 offset1:96
	ds_store_2addr_b32 v2, v14, v15 offset0:128 offset1:160
.LBB311_813:
	s_or_b32 exec_lo, exec_lo, s0
	v_cmp_gt_u32_e32 vcc_lo, 32, v0
	s_wait_dscnt 0x0
	s_barrier_signal -1
	s_barrier_wait -1
	s_and_saveexec_b32 s0, vcc_lo
	s_cbranch_execz .LBB311_815
; %bb.814:
	ds_load_2addr_b32 v[2:3], v1 offset1:32
	ds_load_2addr_b32 v[4:5], v1 offset0:64 offset1:96
	ds_load_2addr_b32 v[6:7], v1 offset0:128 offset1:160
	s_wait_dscnt 0x2
	v_pk_add_f32 v[10:11], v[10:11], v[2:3]
	s_wait_dscnt 0x1
	v_pk_add_f32 v[12:13], v[12:13], v[4:5]
	;; [unrolled: 2-line block ×3, first 2 shown]
.LBB311_815:
	s_or_b32 exec_lo, exec_lo, s0
	s_barrier_signal -1
	s_barrier_wait -1
	s_and_saveexec_b32 s0, vcc_lo
	s_cbranch_execz .LBB311_817
; %bb.816:
	s_mul_i32 s1, s33, s7
	s_mul_i32 s0, s7, s6
	;; [unrolled: 1-line block ×3, first 2 shown]
	s_bfe_u32 s7, ttmp6, 0x40014
	s_mul_i32 s2, s1, 0xc0
	s_lshr_b32 s6, ttmp7, 16
	s_ashr_i32 s3, s2, 31
	s_add_co_i32 s7, s7, 1
	s_lshl_b64 s[2:3], s[2:3], 1
	s_ashr_i32 s1, s0, 31
	s_wait_kmcnt 0x0
	s_add_nc_u64 s[2:3], s[4:5], s[2:3]
	s_mul_i32 s4, s6, s7
	s_bfe_u32 s5, ttmp6, 0x40008
	s_lshl_b64 s[0:1], s[0:1], 1
	s_add_co_i32 s5, s5, s4
	s_cmp_eq_u32 s30, 0
	s_add_nc_u64 s[0:1], s[2:3], s[0:1]
	s_cselect_b32 s2, s6, s5
	s_mov_b32 s3, 0
	s_mulk_i32 s2, 0x180
	s_delay_alu instid0(SALU_CYCLE_1) | instskip(NEXT) | instid1(SALU_CYCLE_1)
	s_add_nc_u64 s[0:1], s[0:1], s[2:3]
	v_cvt_pk_bf16_f32 v1, v10, s0
	v_cvt_pk_bf16_f32 v2, v11, s0
	;; [unrolled: 1-line block ×6, first 2 shown]
	s_clause 0x5
	global_store_b16 v0, v1, s[0:1] scale_offset
	global_store_b16 v0, v2, s[0:1] offset:64 scale_offset
	global_store_b16 v0, v3, s[0:1] offset:128 scale_offset
	;; [unrolled: 1-line block ×5, first 2 shown]
.LBB311_817:
	s_sendmsg sendmsg(MSG_DEALLOC_VGPRS)
	s_endpgm
	.section	.rodata,"a",@progbits
	.p2align	6, 0x0
	.amdhsa_kernel _ZN4vllm25paged_attention_v1_kernelI14__hip_bfloat16hLi192ELi8ELi128ELNS_18Fp8KVCacheDataTypeE1ELb1EEEvPT_PKS3_PKT0_S9_ifPKiSB_iPKfiiiSD_SD_iiiii
		.amdhsa_group_segment_fixed_size 416
		.amdhsa_private_segment_fixed_size 0
		.amdhsa_kernarg_size 384
		.amdhsa_user_sgpr_count 2
		.amdhsa_user_sgpr_dispatch_ptr 0
		.amdhsa_user_sgpr_queue_ptr 0
		.amdhsa_user_sgpr_kernarg_segment_ptr 1
		.amdhsa_user_sgpr_dispatch_id 0
		.amdhsa_user_sgpr_kernarg_preload_length 0
		.amdhsa_user_sgpr_kernarg_preload_offset 0
		.amdhsa_user_sgpr_private_segment_size 0
		.amdhsa_wavefront_size32 1
		.amdhsa_uses_dynamic_stack 0
		.amdhsa_enable_private_segment 0
		.amdhsa_system_sgpr_workgroup_id_x 1
		.amdhsa_system_sgpr_workgroup_id_y 1
		.amdhsa_system_sgpr_workgroup_id_z 1
		.amdhsa_system_sgpr_workgroup_info 0
		.amdhsa_system_vgpr_workitem_id 0
		.amdhsa_next_free_vgpr 94
		.amdhsa_next_free_sgpr 46
		.amdhsa_named_barrier_count 0
		.amdhsa_reserve_vcc 1
		.amdhsa_float_round_mode_32 0
		.amdhsa_float_round_mode_16_64 0
		.amdhsa_float_denorm_mode_32 3
		.amdhsa_float_denorm_mode_16_64 3
		.amdhsa_fp16_overflow 0
		.amdhsa_memory_ordered 1
		.amdhsa_forward_progress 1
		.amdhsa_inst_pref_size 232
		.amdhsa_round_robin_scheduling 0
		.amdhsa_exception_fp_ieee_invalid_op 0
		.amdhsa_exception_fp_denorm_src 0
		.amdhsa_exception_fp_ieee_div_zero 0
		.amdhsa_exception_fp_ieee_overflow 0
		.amdhsa_exception_fp_ieee_underflow 0
		.amdhsa_exception_fp_ieee_inexact 0
		.amdhsa_exception_int_div_zero 0
	.end_amdhsa_kernel
	.section	.text._ZN4vllm25paged_attention_v1_kernelI14__hip_bfloat16hLi192ELi8ELi128ELNS_18Fp8KVCacheDataTypeE1ELb1EEEvPT_PKS3_PKT0_S9_ifPKiSB_iPKfiiiSD_SD_iiiii,"axG",@progbits,_ZN4vllm25paged_attention_v1_kernelI14__hip_bfloat16hLi192ELi8ELi128ELNS_18Fp8KVCacheDataTypeE1ELb1EEEvPT_PKS3_PKT0_S9_ifPKiSB_iPKfiiiSD_SD_iiiii,comdat
.Lfunc_end311:
	.size	_ZN4vllm25paged_attention_v1_kernelI14__hip_bfloat16hLi192ELi8ELi128ELNS_18Fp8KVCacheDataTypeE1ELb1EEEvPT_PKS3_PKT0_S9_ifPKiSB_iPKfiiiSD_SD_iiiii, .Lfunc_end311-_ZN4vllm25paged_attention_v1_kernelI14__hip_bfloat16hLi192ELi8ELi128ELNS_18Fp8KVCacheDataTypeE1ELb1EEEvPT_PKS3_PKT0_S9_ifPKiSB_iPKfiiiSD_SD_iiiii
                                        ; -- End function
	.set _ZN4vllm25paged_attention_v1_kernelI14__hip_bfloat16hLi192ELi8ELi128ELNS_18Fp8KVCacheDataTypeE1ELb1EEEvPT_PKS3_PKT0_S9_ifPKiSB_iPKfiiiSD_SD_iiiii.num_vgpr, 94
	.set _ZN4vllm25paged_attention_v1_kernelI14__hip_bfloat16hLi192ELi8ELi128ELNS_18Fp8KVCacheDataTypeE1ELb1EEEvPT_PKS3_PKT0_S9_ifPKiSB_iPKfiiiSD_SD_iiiii.num_agpr, 0
	.set _ZN4vllm25paged_attention_v1_kernelI14__hip_bfloat16hLi192ELi8ELi128ELNS_18Fp8KVCacheDataTypeE1ELb1EEEvPT_PKS3_PKT0_S9_ifPKiSB_iPKfiiiSD_SD_iiiii.numbered_sgpr, 46
	.set _ZN4vllm25paged_attention_v1_kernelI14__hip_bfloat16hLi192ELi8ELi128ELNS_18Fp8KVCacheDataTypeE1ELb1EEEvPT_PKS3_PKT0_S9_ifPKiSB_iPKfiiiSD_SD_iiiii.num_named_barrier, 0
	.set _ZN4vllm25paged_attention_v1_kernelI14__hip_bfloat16hLi192ELi8ELi128ELNS_18Fp8KVCacheDataTypeE1ELb1EEEvPT_PKS3_PKT0_S9_ifPKiSB_iPKfiiiSD_SD_iiiii.private_seg_size, 0
	.set _ZN4vllm25paged_attention_v1_kernelI14__hip_bfloat16hLi192ELi8ELi128ELNS_18Fp8KVCacheDataTypeE1ELb1EEEvPT_PKS3_PKT0_S9_ifPKiSB_iPKfiiiSD_SD_iiiii.uses_vcc, 1
	.set _ZN4vllm25paged_attention_v1_kernelI14__hip_bfloat16hLi192ELi8ELi128ELNS_18Fp8KVCacheDataTypeE1ELb1EEEvPT_PKS3_PKT0_S9_ifPKiSB_iPKfiiiSD_SD_iiiii.uses_flat_scratch, 0
	.set _ZN4vllm25paged_attention_v1_kernelI14__hip_bfloat16hLi192ELi8ELi128ELNS_18Fp8KVCacheDataTypeE1ELb1EEEvPT_PKS3_PKT0_S9_ifPKiSB_iPKfiiiSD_SD_iiiii.has_dyn_sized_stack, 0
	.set _ZN4vllm25paged_attention_v1_kernelI14__hip_bfloat16hLi192ELi8ELi128ELNS_18Fp8KVCacheDataTypeE1ELb1EEEvPT_PKS3_PKT0_S9_ifPKiSB_iPKfiiiSD_SD_iiiii.has_recursion, 0
	.set _ZN4vllm25paged_attention_v1_kernelI14__hip_bfloat16hLi192ELi8ELi128ELNS_18Fp8KVCacheDataTypeE1ELb1EEEvPT_PKS3_PKT0_S9_ifPKiSB_iPKfiiiSD_SD_iiiii.has_indirect_call, 0
	.section	.AMDGPU.csdata,"",@progbits
; Kernel info:
; codeLenInByte = 29600
; TotalNumSgprs: 48
; NumVgprs: 94
; ScratchSize: 0
; MemoryBound: 0
; FloatMode: 240
; IeeeMode: 1
; LDSByteSize: 416 bytes/workgroup (compile time only)
; SGPRBlocks: 0
; VGPRBlocks: 5
; NumSGPRsForWavesPerEU: 48
; NumVGPRsForWavesPerEU: 94
; NamedBarCnt: 0
; Occupancy: 10
; WaveLimiterHint : 1
; COMPUTE_PGM_RSRC2:SCRATCH_EN: 0
; COMPUTE_PGM_RSRC2:USER_SGPR: 2
; COMPUTE_PGM_RSRC2:TRAP_HANDLER: 0
; COMPUTE_PGM_RSRC2:TGID_X_EN: 1
; COMPUTE_PGM_RSRC2:TGID_Y_EN: 1
; COMPUTE_PGM_RSRC2:TGID_Z_EN: 1
; COMPUTE_PGM_RSRC2:TIDIG_COMP_CNT: 0
	.section	.text._ZN4vllm25paged_attention_v1_kernelI14__hip_bfloat16hLi256ELi8ELi128ELNS_18Fp8KVCacheDataTypeE1ELb1EEEvPT_PKS3_PKT0_S9_ifPKiSB_iPKfiiiSD_SD_iiiii,"axG",@progbits,_ZN4vllm25paged_attention_v1_kernelI14__hip_bfloat16hLi256ELi8ELi128ELNS_18Fp8KVCacheDataTypeE1ELb1EEEvPT_PKS3_PKT0_S9_ifPKiSB_iPKfiiiSD_SD_iiiii,comdat
	.protected	_ZN4vllm25paged_attention_v1_kernelI14__hip_bfloat16hLi256ELi8ELi128ELNS_18Fp8KVCacheDataTypeE1ELb1EEEvPT_PKS3_PKT0_S9_ifPKiSB_iPKfiiiSD_SD_iiiii ; -- Begin function _ZN4vllm25paged_attention_v1_kernelI14__hip_bfloat16hLi256ELi8ELi128ELNS_18Fp8KVCacheDataTypeE1ELb1EEEvPT_PKS3_PKT0_S9_ifPKiSB_iPKfiiiSD_SD_iiiii
	.globl	_ZN4vllm25paged_attention_v1_kernelI14__hip_bfloat16hLi256ELi8ELi128ELNS_18Fp8KVCacheDataTypeE1ELb1EEEvPT_PKS3_PKT0_S9_ifPKiSB_iPKfiiiSD_SD_iiiii
	.p2align	8
	.type	_ZN4vllm25paged_attention_v1_kernelI14__hip_bfloat16hLi256ELi8ELi128ELNS_18Fp8KVCacheDataTypeE1ELb1EEEvPT_PKS3_PKT0_S9_ifPKiSB_iPKfiiiSD_SD_iiiii,@function
_ZN4vllm25paged_attention_v1_kernelI14__hip_bfloat16hLi256ELi8ELi128ELNS_18Fp8KVCacheDataTypeE1ELb1EEEvPT_PKS3_PKT0_S9_ifPKiSB_iPKfiiiSD_SD_iiiii: ; @_ZN4vllm25paged_attention_v1_kernelI14__hip_bfloat16hLi256ELi8ELi128ELNS_18Fp8KVCacheDataTypeE1ELb1EEEvPT_PKS3_PKT0_S9_ifPKiSB_iPKfiiiSD_SD_iiiii
; %bb.0:
	s_load_b64 s[26:27], s[0:1], 0x20
	s_bfe_u32 s3, ttmp6, 0x4000c
	s_bfe_u32 s4, ttmp6, 0x40010
	s_and_b32 s6, ttmp7, 0xffff
	s_add_co_i32 s3, s3, 1
	s_add_co_i32 s4, s4, 1
	s_and_b32 s2, ttmp6, 15
	s_bfe_u32 s5, ttmp6, 0x40004
	s_mul_i32 s3, ttmp9, s3
	s_mul_i32 s4, s6, s4
	s_getreg_b32 s30, hwreg(HW_REG_IB_STS2, 6, 4)
	s_add_co_i32 s2, s2, s3
	s_add_co_i32 s3, s5, s4
	s_cmp_eq_u32 s30, 0
	s_clause 0x1
	s_load_b32 s31, s[0:1], 0x80
	s_load_b64 s[4:5], s[0:1], 0x30
	s_cselect_b32 s33, s6, s3
	s_cselect_b32 s2, ttmp9, s2
	s_wait_kmcnt 0x0
	s_abs_i32 s3, s26
	s_delay_alu instid0(SALU_CYCLE_1) | instskip(SKIP_1) | instid1(SALU_CYCLE_2)
	s_cvt_f32_u32 s6, s3
	s_sub_co_i32 s7, 0, s3
	v_rcp_iflag_f32_e32 v1, s6
	s_abs_i32 s8, s31
	v_nop
	s_delay_alu instid0(TRANS32_DEP_1) | instskip(SKIP_1) | instid1(SALU_CYCLE_3)
	v_readfirstlane_b32 s6, v1
	s_mul_f32 s6, s6, 0x4f7ffffe
	s_cvt_u32_f32 s6, s6
	s_delay_alu instid0(SALU_CYCLE_3) | instskip(NEXT) | instid1(SALU_CYCLE_1)
	s_mul_i32 s7, s7, s6
	s_mul_hi_u32 s7, s6, s7
	s_delay_alu instid0(SALU_CYCLE_1) | instskip(SKIP_4) | instid1(SALU_CYCLE_1)
	s_add_co_i32 s6, s6, s7
	s_xor_b32 s7, s31, s26
	s_mul_hi_u32 s6, s8, s6
	s_ashr_i32 s7, s7, 31
	s_mul_i32 s9, s6, s3
	s_sub_co_i32 s8, s8, s9
	s_add_co_i32 s9, s6, 1
	s_sub_co_i32 s10, s8, s3
	s_cmp_ge_u32 s8, s3
	s_cselect_b32 s6, s9, s6
	s_cselect_b32 s8, s10, s8
	s_add_co_i32 s9, s6, 1
	s_cmp_ge_u32 s8, s3
	s_load_b64 s[10:11], s[0:1], 0x40
	s_cselect_b32 s3, s9, s6
	s_mov_b32 s9, 0
	s_xor_b32 s3, s3, s7
	s_abs_i32 s8, s2
	s_sub_co_i32 s12, s3, s7
	s_mov_b32 s7, s9
	s_abs_i32 s19, s12
	s_mov_b32 s36, s9
	s_cvt_f32_u32 s3, s19
	s_sub_co_i32 s6, 0, s19
	s_delay_alu instid0(SALU_CYCLE_2) | instskip(SKIP_1) | instid1(TRANS32_DEP_1)
	v_rcp_iflag_f32_e32 v1, s3
	v_nop
	v_readfirstlane_b32 s3, v1
	s_mul_f32 s3, s3, 0x4f7ffffe
	s_delay_alu instid0(SALU_CYCLE_3) | instskip(NEXT) | instid1(SALU_CYCLE_3)
	s_cvt_u32_f32 s3, s3
	s_mul_i32 s6, s6, s3
	s_delay_alu instid0(SALU_CYCLE_1) | instskip(NEXT) | instid1(SALU_CYCLE_1)
	s_mul_hi_u32 s6, s3, s6
	s_add_co_i32 s6, s3, s6
	s_wait_kmcnt 0x0
	s_cmp_eq_u64 s[10:11], 0
	s_cbranch_scc1 .LBB312_2
; %bb.1:
	s_ashr_i32 s3, s2, 31
	s_delay_alu instid0(SALU_CYCLE_1) | instskip(NEXT) | instid1(SALU_CYCLE_1)
	s_lshl_b64 s[14:15], s[2:3], 2
	s_add_nc_u64 s[10:11], s[10:11], s[14:15]
	s_load_b32 s36, s[10:11], 0x0
.LBB312_2:
	s_load_b32 s34, s[4:5], s33 offset:0x0 scale_offset
	s_load_b96 s[16:18], s[0:1], 0x48
	v_and_b32_e32 v2, 3, v0
	s_wait_xcnt 0x0
	s_mul_u64 s[4:5], s[8:9], s[6:7]
	s_ashr_i32 s3, s2, 31
	s_ashr_i32 s10, s12, 31
	s_lshl_b32 s6, s2, 8
	s_mov_b32 s4, exec_lo
	v_cmpx_gt_u32_e32 0x80, v0
	s_cbranch_execz .LBB312_4
; %bb.3:
	s_load_b64 s[12:13], s[0:1], 0x8
	s_wait_kmcnt 0x0
	s_mul_i32 s14, s16, s33
	s_ashr_i32 s7, s6, 31
	s_ashr_i32 s15, s14, 31
	v_and_b32_e32 v3, 0x3fc, v0
	s_lshl_b64 s[14:15], s[14:15], 1
	s_delay_alu instid0(VALU_DEP_1) | instskip(SKIP_2) | instid1(SALU_CYCLE_1)
	v_lshl_add_u32 v3, v2, 7, v3
	s_add_nc_u64 s[12:13], s[12:13], s[14:15]
	s_lshl_b64 s[14:15], s[6:7], 1
	s_add_nc_u64 s[12:13], s[12:13], s[14:15]
	global_load_b32 v1, v0, s[12:13] scale_offset
	s_wait_loadcnt 0x0
	ds_store_b32 v3, v1
.LBB312_4:
	s_or_b32 exec_lo, exec_lo, s4
	s_load_b128 s[12:15], s[0:1], 0x68
	s_mul_i32 s4, s5, s19
	s_xor_b32 s3, s3, s10
	s_sub_co_i32 s4, s8, s4
	s_add_co_i32 s7, s5, 1
	s_sub_co_i32 s8, s4, s19
	s_cmp_ge_u32 s4, s19
	s_mov_b32 s9, -1
	s_cselect_b32 s5, s7, s5
	s_cselect_b32 s4, s8, s4
	s_add_co_i32 s8, s5, 1
	s_cmp_ge_u32 s4, s19
	s_load_b32 s7, s[0:1], 0x78
	s_cselect_b32 s4, s8, s5
	s_wait_kmcnt 0x0
	s_add_co_i32 s8, s34, -1
	s_xor_b32 s4, s4, s3
	s_wait_dscnt 0x0
	s_sub_co_i32 s3, s4, s3
	s_barrier_signal -1
	s_barrier_wait -1
	s_abs_i32 s16, s15
	s_delay_alu instid0(SALU_CYCLE_1) | instskip(NEXT) | instid1(SALU_CYCLE_3)
	s_cvt_f32_u32 s5, s16
                                        ; implicit-def: $sgpr35
	v_rcp_iflag_f32_e32 v1, s5
	v_nop
	s_delay_alu instid0(TRANS32_DEP_1) | instskip(SKIP_1) | instid1(SALU_CYCLE_3)
	v_readfirstlane_b32 s5, v1
	s_mul_f32 s4, s5, 0x4f7ffffe
	s_cvt_u32_f32 s10, s4
	s_sub_co_i32 s4, 0, s16
	s_delay_alu instid0(SALU_CYCLE_2)
	s_mul_i32 s5, s4, s10
	s_abs_i32 s4, s8
	s_mul_hi_u32 s11, s10, s5
	s_mov_b32 s5, 0
	s_add_co_i32 s20, s10, s11
	s_cmp_lt_i32 s7, 0
	s_mov_b32 s21, s5
	s_cbranch_scc0 .LBB312_6
; %bb.5:
	s_mul_i32 s9, s12, s26
	s_delay_alu instid0(SALU_CYCLE_1) | instskip(NEXT) | instid1(SALU_CYCLE_1)
	s_add_co_i32 s9, s3, s9
	s_mul_i32 s9, s9, s7
	s_delay_alu instid0(SALU_CYCLE_1)
	s_sub_co_i32 s35, 1, s9
	s_mov_b32 s9, s5
.LBB312_6:
	s_ashr_i32 s8, s8, 31
	s_ashr_i32 s15, s15, 31
	s_and_not1_b32 vcc_lo, exec_lo, s9
	s_mul_u64 s[28:29], s[4:5], s[20:21]
	s_cbranch_vccnz .LBB312_8
; %bb.7:
	s_mul_i32 s5, s31, s12
	s_delay_alu instid0(SALU_CYCLE_1) | instskip(NEXT) | instid1(SALU_CYCLE_1)
	s_add_co_i32 s2, s5, s2
	s_mul_i32 s2, s2, s7
	s_delay_alu instid0(SALU_CYCLE_1)
	s_add_co_i32 s35, s2, 1
.LBB312_8:
	s_clause 0x1
	s_load_b32 s2, s[0:1], 0x38
	s_load_b64 s[22:23], s[0:1], 0x28
	s_mul_i32 s7, s29, s16
	s_xor_b32 s5, s8, s15
	s_sub_co_i32 s4, s4, s7
	s_add_co_i32 s12, s29, 1
	s_clause 0x1
	s_load_b32 s7, s[0:1], 0x88
	s_load_b128 s[8:11], s[0:1], 0x58
	v_dual_lshrrev_b32 v1, 5, v0 :: v_dual_lshrrev_b32 v27, 3, v0
	v_mov_b32_e32 v41, 0xff7fffff
	v_mbcnt_lo_u32_b32 v38, -1, 0
	s_mul_i32 s18, s3, s18
	s_delay_alu instid0(VALU_DEP_3)
	v_lshlrev_b32_e32 v26, 3, v1
	s_wait_kmcnt 0x0
	s_mul_i32 s24, s2, s33
	s_sub_co_i32 s2, s4, s16
	s_ashr_i32 s25, s24, 31
	s_cmp_ge_u32 s4, s16
	s_cselect_b32 s12, s12, s29
	s_cselect_b32 s2, s2, s4
	s_add_co_i32 s4, s12, 1
	s_cmp_ge_u32 s2, s16
	s_cselect_b32 s2, s4, s12
	s_add_co_i32 s4, s34, 7
	s_delay_alu instid0(SALU_CYCLE_1) | instskip(NEXT) | instid1(SALU_CYCLE_1)
	s_ashr_i32 s12, s4, 31
	s_lshr_b32 s12, s12, 29
	s_delay_alu instid0(SALU_CYCLE_1) | instskip(NEXT) | instid1(SALU_CYCLE_1)
	s_add_co_i32 s4, s4, s12
	s_ashr_i32 s12, s4, 3
	s_xor_b32 s4, s2, s5
	v_cmp_gt_i32_e64 s2, s12, v1
	s_sub_co_i32 s26, s4, s5
	s_and_saveexec_b32 s37, s2
	s_cbranch_execz .LBB312_532
; %bb.9:
	s_load_b64 s[4:5], s[0:1], 0x10
	s_sub_co_i32 s38, s26, s13
	s_ashr_i32 s19, s18, 31
	s_cmp_neq_f32 s36, 0
	v_bfe_u32 v39, v0, 2, 3
	v_dual_mov_b32 v29, 0 :: v_dual_lshlrev_b32 v40, 7, v2
	s_cselect_b32 vcc_lo, -1, 0
	s_abs_i32 s39, s14
	s_delay_alu instid0(VALU_DEP_2)
	v_dual_lshlrev_b32 v30, 3, v1 :: v_dual_lshlrev_b32 v28, 4, v39
	s_cvt_f32_u32 s28, s39
	s_lshl_b64 s[40:41], s[24:25], 2
	v_cmp_eq_u32_e64 s3, 0, v2
	v_subrev_nc_u32_e32 v6, s34, v39
	v_rcp_iflag_f32_e32 v3, s28
	v_dual_mov_b32 v44, 0xff7fffff :: v_dual_mov_b32 v45, v1
	s_delay_alu instid0(VALU_DEP_2) | instskip(SKIP_3) | instid1(TRANS32_DEP_1)
	v_dual_mov_b32 v41, 0xff7fffff :: v_dual_add_nc_u32 v42, 1, v6
	s_wait_kmcnt 0x0
	s_add_nc_u64 s[4:5], s[4:5], s[18:19]
	s_mov_b32 s29, 0
	v_readfirstlane_b32 s28, v3
	v_add_nc_u64_e32 v[4:5], s[4:5], v[28:29]
	v_dual_lshlrev_b32 v3, 2, v39 :: v_dual_lshlrev_b32 v28, 1, v2
	s_add_nc_u64 s[4:5], s[22:23], s[40:41]
	s_mul_f32 s19, s28, 0x4f7ffffe
	s_sub_co_i32 s28, 0, s39
	s_delay_alu instid0(VALU_DEP_1) | instskip(NEXT) | instid1(VALU_DEP_3)
	v_lshl_or_b32 v2, v1, 5, v3
	v_add_nc_u64_e32 v[32:33], v[4:5], v[28:29]
	v_and_b32_e32 v28, 0x7c, v27
	s_cvt_u32_f32 s40, s19
	s_mov_b32 s19, s17
	v_add_nc_u32_e32 v43, 0x220, v2
	s_delay_alu instid0(VALU_DEP_2) | instskip(SKIP_1) | instid1(SALU_CYCLE_1)
	v_add_nc_u64_e32 v[34:35], s[4:5], v[28:29]
	s_mul_i32 s28, s28, s40
	s_mul_hi_u32 s28, s40, s28
	s_delay_alu instid0(SALU_CYCLE_1)
	s_add_co_i32 s28, s40, s28
	s_mov_b32 s40, s29
	s_branch .LBB312_12
.LBB312_10:                             ;   in Loop: Header=BB312_12 Depth=1
	s_or_b32 exec_lo, exec_lo, s41
.LBB312_11:                             ;   in Loop: Header=BB312_12 Depth=1
	s_delay_alu instid0(SALU_CYCLE_1) | instskip(SKIP_3) | instid1(VALU_DEP_3)
	s_or_b32 exec_lo, exec_lo, s5
	v_dual_add_nc_u32 v45, 4, v45 :: v_dual_add_nc_u32 v30, 32, v30
	v_add_nc_u64_e32 v[34:35], 16, v[34:35]
	v_add_nc_u32_e32 v43, 0x80, v43
	v_cmp_le_i32_e64 s4, s12, v45
	s_or_b32 s40, s4, s40
	s_delay_alu instid0(SALU_CYCLE_1)
	s_and_not1_b32 exec_lo, exec_lo, s40
	s_cbranch_execz .LBB312_531
.LBB312_12:                             ; =>This Inner Loop Header: Depth=1
	v_mov_b32_e32 v31, v29
	s_wait_dscnt 0x0
	s_delay_alu instid0(VALU_DEP_1) | instskip(NEXT) | instid1(VALU_DEP_1)
	v_mul_u64_e32 v[2:3], s[20:21], v[30:31]
	v_mul_lo_u32 v2, v3, s16
	s_delay_alu instid0(VALU_DEP_1) | instskip(NEXT) | instid1(VALU_DEP_1)
	v_sub_nc_u32_e32 v2, v30, v2
	v_subrev_nc_u32_e32 v5, s16, v2
	v_cmp_le_u32_e64 s4, s16, v2
	s_delay_alu instid0(VALU_DEP_1) | instskip(NEXT) | instid1(VALU_DEP_1)
	v_dual_add_nc_u32 v4, 1, v3 :: v_dual_cndmask_b32 v2, v2, v5, s4
	v_cndmask_b32_e64 v3, v3, v4, s4
	s_delay_alu instid0(VALU_DEP_2) | instskip(NEXT) | instid1(VALU_DEP_2)
	v_cmp_le_u32_e64 s4, s16, v2
	v_add_nc_u32_e32 v4, 1, v3
	s_delay_alu instid0(VALU_DEP_1) | instskip(NEXT) | instid1(VALU_DEP_1)
	v_cndmask_b32_e64 v2, v3, v4, s4
	v_xor_b32_e32 v2, s15, v2
	s_delay_alu instid0(VALU_DEP_1) | instskip(NEXT) | instid1(VALU_DEP_1)
	v_subrev_nc_u32_e32 v4, s15, v2
	v_add_nc_u32_e32 v5, s35, v4
	v_cmp_ge_i32_e64 s5, s38, v4
	s_delay_alu instid0(VALU_DEP_2) | instskip(NEXT) | instid1(VALU_DEP_1)
	v_sub_nc_u32_e32 v2, 0, v5
	v_dual_ashrrev_i32 v5, 31, v5 :: v_dual_max_i32 v28, v5, v2
	s_delay_alu instid0(VALU_DEP_1) | instskip(NEXT) | instid1(VALU_DEP_1)
	v_mul_u64_e32 v[2:3], s[28:29], v[28:29]
	v_mul_lo_u32 v2, v3, s39
	s_delay_alu instid0(VALU_DEP_1) | instskip(NEXT) | instid1(VALU_DEP_1)
	v_sub_nc_u32_e32 v2, v28, v2
	v_subrev_nc_u32_e32 v3, s39, v2
	v_cmp_le_u32_e64 s4, s39, v2
	s_delay_alu instid0(VALU_DEP_1) | instskip(NEXT) | instid1(VALU_DEP_1)
	v_cndmask_b32_e64 v2, v2, v3, s4
	v_subrev_nc_u32_e32 v3, s39, v2
	v_cmp_le_u32_e64 s4, s39, v2
	s_delay_alu instid0(VALU_DEP_1) | instskip(NEXT) | instid1(VALU_DEP_1)
	v_cndmask_b32_e64 v2, v2, v3, s4
	v_xor_b32_e32 v2, v2, v5
	s_delay_alu instid0(VALU_DEP_1) | instskip(NEXT) | instid1(VALU_DEP_1)
	v_sub_nc_u32_e32 v2, v2, v5
	v_cmp_ne_u32_e64 s4, 0, v2
	s_and_b32 s4, s4, s5
	s_delay_alu instid0(SALU_CYCLE_1) | instskip(NEXT) | instid1(SALU_CYCLE_1)
	s_and_saveexec_b32 s5, s4
	s_xor_b32 s4, exec_lo, s5
	s_cbranch_execz .LBB312_16
; %bb.13:                               ;   in Loop: Header=BB312_12 Depth=1
	s_and_saveexec_b32 s5, s3
; %bb.14:                               ;   in Loop: Header=BB312_12 Depth=1
	ds_store_b32 v43, v44
; %bb.15:                               ;   in Loop: Header=BB312_12 Depth=1
	s_or_b32 exec_lo, exec_lo, s5
.LBB312_16:                             ;   in Loop: Header=BB312_12 Depth=1
	s_and_not1_saveexec_b32 s5, s4
	s_cbranch_execz .LBB312_11
; %bb.17:                               ;   in Loop: Header=BB312_12 Depth=1
	global_load_b32 v2, v[34:35], off
	v_mov_b32_e32 v46, 0
	s_wait_loadcnt 0x0
	v_mad_nc_i64_i32 v[36:37], v2, s19, v[32:33]
	global_load_u16 v28, v[36:37], off
	ds_load_b128 v[22:25], v40
	ds_load_b128 v[18:21], v40 offset:16
	ds_load_b128 v[14:17], v40 offset:32
	;; [unrolled: 1-line block ×5, first 2 shown]
	ds_load_b32 v31, v40 offset:96
	s_load_b32 s41, s[8:9], 0x0
	s_wait_loadcnt 0x0
	v_and_b32_e32 v47, 0xff, v28
	v_and_b32_e32 v48, 0xffff, v28
	s_delay_alu instid0(VALU_DEP_2)
	v_cmp_ne_u16_e64 s4, 0, v47
	v_mov_b32_e32 v47, 0
	s_and_saveexec_b32 s42, s4
	s_cbranch_execz .LBB312_25
; %bb.18:                               ;   in Loop: Header=BB312_12 Depth=1
	v_and_b32_e32 v28, 0xff, v48
	v_bfrev_b32_e32 v47, 1
	s_mov_b32 s43, exec_lo
	s_delay_alu instid0(VALU_DEP_2)
	v_cmpx_ne_u16_e32 0x80, v28
	s_cbranch_execz .LBB312_24
; %bb.19:                               ;   in Loop: Header=BB312_12 Depth=1
	v_and_b32_e32 v49, 0x7f, v48
	v_mov_b32_e32 v47, 0x7f800001
	s_mov_b32 s44, exec_lo
	s_delay_alu instid0(VALU_DEP_2)
	v_cmpx_ne_u32_e32 0x7f, v49
	s_cbranch_execz .LBB312_23
; %bb.20:                               ;   in Loop: Header=BB312_12 Depth=1
	v_dual_lshrrev_b32 v47, 3, v49 :: v_dual_bitop2_b32 v28, 7, v48 bitop3:0x40
	s_mov_b32 s45, exec_lo
	v_cmpx_gt_u32_e32 8, v49
; %bb.21:                               ;   in Loop: Header=BB312_12 Depth=1
	s_delay_alu instid0(VALU_DEP_2) | instskip(NEXT) | instid1(VALU_DEP_1)
	v_clz_i32_u32_e32 v47, v28
	v_min_u32_e32 v47, 32, v47
	s_delay_alu instid0(VALU_DEP_1) | instskip(NEXT) | instid1(VALU_DEP_1)
	v_subrev_nc_u32_e32 v49, 28, v47
	v_lshlrev_b64_e32 v[50:51], v49, v[28:29]
	s_delay_alu instid0(VALU_DEP_1)
	v_dual_sub_nc_u32 v47, 29, v47 :: v_dual_bitop2_b32 v28, 7, v50 bitop3:0x40
; %bb.22:                               ;   in Loop: Header=BB312_12 Depth=1
	s_or_b32 exec_lo, exec_lo, s45
	v_lshlrev_b32_e32 v49, 24, v48
	s_delay_alu instid0(VALU_DEP_2) | instskip(NEXT) | instid1(VALU_DEP_3)
	v_lshlrev_b32_e32 v28, 20, v28
	v_lshl_add_u32 v47, v47, 23, 0x3c000000
	s_delay_alu instid0(VALU_DEP_3) | instskip(NEXT) | instid1(VALU_DEP_1)
	v_and_b32_e32 v49, 0x80000000, v49
	v_or3_b32 v47, v28, v49, v47
.LBB312_23:                             ;   in Loop: Header=BB312_12 Depth=1
	s_or_b32 exec_lo, exec_lo, s44
.LBB312_24:                             ;   in Loop: Header=BB312_12 Depth=1
	s_delay_alu instid0(SALU_CYCLE_1)
	s_or_b32 exec_lo, exec_lo, s43
.LBB312_25:                             ;   in Loop: Header=BB312_12 Depth=1
	s_delay_alu instid0(SALU_CYCLE_1) | instskip(SKIP_2) | instid1(VALU_DEP_1)
	s_or_b32 exec_lo, exec_lo, s42
	v_lshrrev_b16 v28, 8, v48
	s_mov_b32 s42, exec_lo
	v_cmpx_ne_u16_e32 0, v28
	s_cbranch_execz .LBB312_33
; %bb.26:                               ;   in Loop: Header=BB312_12 Depth=1
	v_bfrev_b32_e32 v46, 1
	s_mov_b32 s43, exec_lo
	v_cmpx_ne_u16_e32 0x80, v28
	s_cbranch_execz .LBB312_32
; %bb.27:                               ;   in Loop: Header=BB312_12 Depth=1
	v_and_b32_e32 v28, 0xffff, v28
	v_mov_b32_e32 v46, 0x7f800001
	s_mov_b32 s44, exec_lo
	s_delay_alu instid0(VALU_DEP_2) | instskip(NEXT) | instid1(VALU_DEP_1)
	v_and_b32_e32 v49, 0x7f, v28
	v_cmpx_ne_u32_e32 0x7f, v49
	s_cbranch_execz .LBB312_31
; %bb.28:                               ;   in Loop: Header=BB312_12 Depth=1
	v_dual_lshrrev_b32 v46, 3, v49 :: v_dual_bitop2_b32 v28, 7, v28 bitop3:0x40
	s_mov_b32 s45, exec_lo
	v_cmpx_gt_u32_e32 8, v49
; %bb.29:                               ;   in Loop: Header=BB312_12 Depth=1
	s_delay_alu instid0(VALU_DEP_2) | instskip(NEXT) | instid1(VALU_DEP_1)
	v_clz_i32_u32_e32 v46, v28
	v_min_u32_e32 v46, 32, v46
	s_delay_alu instid0(VALU_DEP_1) | instskip(SKIP_1) | instid1(VALU_DEP_2)
	v_subrev_nc_u32_e32 v49, 28, v46
	v_sub_nc_u32_e32 v46, 29, v46
	v_lshlrev_b64_e32 v[50:51], v49, v[28:29]
	s_delay_alu instid0(VALU_DEP_1)
	v_and_b32_e32 v28, 7, v50
; %bb.30:                               ;   in Loop: Header=BB312_12 Depth=1
	s_or_b32 exec_lo, exec_lo, s45
	v_lshlrev_b32_e32 v48, 16, v48
	s_delay_alu instid0(VALU_DEP_2) | instskip(SKIP_1) | instid1(VALU_DEP_3)
	v_lshlrev_b32_e32 v28, 20, v28
	v_lshl_add_u32 v46, v46, 23, 0x3c000000
	v_and_b32_e32 v48, 0x80000000, v48
	s_delay_alu instid0(VALU_DEP_1)
	v_or3_b32 v46, v28, v48, v46
.LBB312_31:                             ;   in Loop: Header=BB312_12 Depth=1
	s_or_b32 exec_lo, exec_lo, s44
.LBB312_32:                             ;   in Loop: Header=BB312_12 Depth=1
	s_delay_alu instid0(SALU_CYCLE_1)
	s_or_b32 exec_lo, exec_lo, s43
.LBB312_33:                             ;   in Loop: Header=BB312_12 Depth=1
	s_delay_alu instid0(SALU_CYCLE_1)
	s_or_b32 exec_lo, exec_lo, s42
	global_load_u16 v28, v[36:37], off offset:8
	v_mov_b32_e32 v48, 0
	s_wait_loadcnt 0x0
	v_and_b32_e32 v49, 0xff, v28
	v_and_b32_e32 v50, 0xffff, v28
	s_delay_alu instid0(VALU_DEP_2)
	v_cmp_ne_u16_e64 s4, 0, v49
	v_mov_b32_e32 v49, 0
	s_and_saveexec_b32 s42, s4
	s_cbranch_execz .LBB312_41
; %bb.34:                               ;   in Loop: Header=BB312_12 Depth=1
	v_and_b32_e32 v28, 0xff, v50
	v_bfrev_b32_e32 v49, 1
	s_mov_b32 s43, exec_lo
	s_delay_alu instid0(VALU_DEP_2)
	v_cmpx_ne_u16_e32 0x80, v28
	s_cbranch_execz .LBB312_40
; %bb.35:                               ;   in Loop: Header=BB312_12 Depth=1
	v_and_b32_e32 v51, 0x7f, v50
	v_mov_b32_e32 v49, 0x7f800001
	s_mov_b32 s44, exec_lo
	s_delay_alu instid0(VALU_DEP_2)
	v_cmpx_ne_u32_e32 0x7f, v51
	s_cbranch_execz .LBB312_39
; %bb.36:                               ;   in Loop: Header=BB312_12 Depth=1
	v_dual_lshrrev_b32 v49, 3, v51 :: v_dual_bitop2_b32 v28, 7, v50 bitop3:0x40
	s_mov_b32 s45, exec_lo
	v_cmpx_gt_u32_e32 8, v51
; %bb.37:                               ;   in Loop: Header=BB312_12 Depth=1
	s_delay_alu instid0(VALU_DEP_2) | instskip(NEXT) | instid1(VALU_DEP_1)
	v_clz_i32_u32_e32 v49, v28
	v_min_u32_e32 v49, 32, v49
	s_delay_alu instid0(VALU_DEP_1) | instskip(NEXT) | instid1(VALU_DEP_1)
	v_subrev_nc_u32_e32 v51, 28, v49
	v_lshlrev_b64_e32 v[52:53], v51, v[28:29]
	s_delay_alu instid0(VALU_DEP_1)
	v_dual_sub_nc_u32 v49, 29, v49 :: v_dual_bitop2_b32 v28, 7, v52 bitop3:0x40
; %bb.38:                               ;   in Loop: Header=BB312_12 Depth=1
	s_or_b32 exec_lo, exec_lo, s45
	s_delay_alu instid0(VALU_DEP_1) | instskip(NEXT) | instid1(VALU_DEP_2)
	v_dual_lshlrev_b32 v51, 24, v50 :: v_dual_lshlrev_b32 v28, 20, v28
	v_lshl_add_u32 v49, v49, 23, 0x3c000000
	s_delay_alu instid0(VALU_DEP_2) | instskip(NEXT) | instid1(VALU_DEP_1)
	v_and_b32_e32 v51, 0x80000000, v51
	v_or3_b32 v49, v28, v51, v49
.LBB312_39:                             ;   in Loop: Header=BB312_12 Depth=1
	s_or_b32 exec_lo, exec_lo, s44
.LBB312_40:                             ;   in Loop: Header=BB312_12 Depth=1
	s_delay_alu instid0(SALU_CYCLE_1)
	s_or_b32 exec_lo, exec_lo, s43
.LBB312_41:                             ;   in Loop: Header=BB312_12 Depth=1
	s_delay_alu instid0(SALU_CYCLE_1) | instskip(SKIP_2) | instid1(VALU_DEP_1)
	s_or_b32 exec_lo, exec_lo, s42
	v_lshrrev_b16 v28, 8, v50
	s_mov_b32 s42, exec_lo
	v_cmpx_ne_u16_e32 0, v28
	s_cbranch_execz .LBB312_49
; %bb.42:                               ;   in Loop: Header=BB312_12 Depth=1
	v_bfrev_b32_e32 v48, 1
	s_mov_b32 s43, exec_lo
	v_cmpx_ne_u16_e32 0x80, v28
	s_cbranch_execz .LBB312_48
; %bb.43:                               ;   in Loop: Header=BB312_12 Depth=1
	v_and_b32_e32 v28, 0xffff, v28
	v_mov_b32_e32 v48, 0x7f800001
	s_mov_b32 s44, exec_lo
	s_delay_alu instid0(VALU_DEP_2) | instskip(NEXT) | instid1(VALU_DEP_1)
	v_and_b32_e32 v51, 0x7f, v28
	v_cmpx_ne_u32_e32 0x7f, v51
	s_cbranch_execz .LBB312_47
; %bb.44:                               ;   in Loop: Header=BB312_12 Depth=1
	v_dual_lshrrev_b32 v48, 3, v51 :: v_dual_bitop2_b32 v28, 7, v28 bitop3:0x40
	s_mov_b32 s45, exec_lo
	v_cmpx_gt_u32_e32 8, v51
; %bb.45:                               ;   in Loop: Header=BB312_12 Depth=1
	s_delay_alu instid0(VALU_DEP_2) | instskip(NEXT) | instid1(VALU_DEP_1)
	v_clz_i32_u32_e32 v48, v28
	v_min_u32_e32 v48, 32, v48
	s_delay_alu instid0(VALU_DEP_1) | instskip(SKIP_1) | instid1(VALU_DEP_2)
	v_subrev_nc_u32_e32 v51, 28, v48
	v_sub_nc_u32_e32 v48, 29, v48
	v_lshlrev_b64_e32 v[52:53], v51, v[28:29]
	s_delay_alu instid0(VALU_DEP_1)
	v_and_b32_e32 v28, 7, v52
; %bb.46:                               ;   in Loop: Header=BB312_12 Depth=1
	s_or_b32 exec_lo, exec_lo, s45
	s_delay_alu instid0(VALU_DEP_1) | instskip(SKIP_1) | instid1(VALU_DEP_2)
	v_dual_lshlrev_b32 v50, 16, v50 :: v_dual_lshlrev_b32 v28, 20, v28
	v_lshl_add_u32 v48, v48, 23, 0x3c000000
	v_and_b32_e32 v50, 0x80000000, v50
	s_delay_alu instid0(VALU_DEP_1)
	v_or3_b32 v48, v28, v50, v48
.LBB312_47:                             ;   in Loop: Header=BB312_12 Depth=1
	s_or_b32 exec_lo, exec_lo, s44
.LBB312_48:                             ;   in Loop: Header=BB312_12 Depth=1
	s_delay_alu instid0(SALU_CYCLE_1)
	s_or_b32 exec_lo, exec_lo, s43
.LBB312_49:                             ;   in Loop: Header=BB312_12 Depth=1
	s_delay_alu instid0(SALU_CYCLE_1)
	s_or_b32 exec_lo, exec_lo, s42
	global_load_u16 v28, v[36:37], off offset:128
	v_mov_b32_e32 v50, 0
	s_wait_loadcnt 0x0
	v_and_b32_e32 v51, 0xff, v28
	v_and_b32_e32 v52, 0xffff, v28
	s_delay_alu instid0(VALU_DEP_2)
	v_cmp_ne_u16_e64 s4, 0, v51
	v_mov_b32_e32 v51, 0
	s_and_saveexec_b32 s42, s4
	s_cbranch_execz .LBB312_57
; %bb.50:                               ;   in Loop: Header=BB312_12 Depth=1
	v_and_b32_e32 v28, 0xff, v52
	v_bfrev_b32_e32 v51, 1
	s_mov_b32 s43, exec_lo
	s_delay_alu instid0(VALU_DEP_2)
	v_cmpx_ne_u16_e32 0x80, v28
	s_cbranch_execz .LBB312_56
; %bb.51:                               ;   in Loop: Header=BB312_12 Depth=1
	v_and_b32_e32 v53, 0x7f, v52
	v_mov_b32_e32 v51, 0x7f800001
	s_mov_b32 s44, exec_lo
	s_delay_alu instid0(VALU_DEP_2)
	v_cmpx_ne_u32_e32 0x7f, v53
	s_cbranch_execz .LBB312_55
; %bb.52:                               ;   in Loop: Header=BB312_12 Depth=1
	v_dual_lshrrev_b32 v51, 3, v53 :: v_dual_bitop2_b32 v28, 7, v52 bitop3:0x40
	s_mov_b32 s45, exec_lo
	v_cmpx_gt_u32_e32 8, v53
; %bb.53:                               ;   in Loop: Header=BB312_12 Depth=1
	s_delay_alu instid0(VALU_DEP_2) | instskip(NEXT) | instid1(VALU_DEP_1)
	v_clz_i32_u32_e32 v51, v28
	v_min_u32_e32 v51, 32, v51
	s_delay_alu instid0(VALU_DEP_1) | instskip(NEXT) | instid1(VALU_DEP_1)
	v_subrev_nc_u32_e32 v53, 28, v51
	v_lshlrev_b64_e32 v[54:55], v53, v[28:29]
	s_delay_alu instid0(VALU_DEP_1)
	v_dual_sub_nc_u32 v51, 29, v51 :: v_dual_bitop2_b32 v28, 7, v54 bitop3:0x40
; %bb.54:                               ;   in Loop: Header=BB312_12 Depth=1
	s_or_b32 exec_lo, exec_lo, s45
	v_lshlrev_b32_e32 v53, 24, v52
	s_delay_alu instid0(VALU_DEP_2) | instskip(NEXT) | instid1(VALU_DEP_3)
	v_lshlrev_b32_e32 v28, 20, v28
	v_lshl_add_u32 v51, v51, 23, 0x3c000000
	s_delay_alu instid0(VALU_DEP_3) | instskip(NEXT) | instid1(VALU_DEP_1)
	v_and_b32_e32 v53, 0x80000000, v53
	v_or3_b32 v51, v28, v53, v51
.LBB312_55:                             ;   in Loop: Header=BB312_12 Depth=1
	s_or_b32 exec_lo, exec_lo, s44
.LBB312_56:                             ;   in Loop: Header=BB312_12 Depth=1
	s_delay_alu instid0(SALU_CYCLE_1)
	s_or_b32 exec_lo, exec_lo, s43
.LBB312_57:                             ;   in Loop: Header=BB312_12 Depth=1
	s_delay_alu instid0(SALU_CYCLE_1) | instskip(SKIP_2) | instid1(VALU_DEP_1)
	s_or_b32 exec_lo, exec_lo, s42
	v_lshrrev_b16 v28, 8, v52
	s_mov_b32 s42, exec_lo
	v_cmpx_ne_u16_e32 0, v28
	s_cbranch_execz .LBB312_65
; %bb.58:                               ;   in Loop: Header=BB312_12 Depth=1
	v_bfrev_b32_e32 v50, 1
	s_mov_b32 s43, exec_lo
	v_cmpx_ne_u16_e32 0x80, v28
	s_cbranch_execz .LBB312_64
; %bb.59:                               ;   in Loop: Header=BB312_12 Depth=1
	v_and_b32_e32 v28, 0xffff, v28
	v_mov_b32_e32 v50, 0x7f800001
	s_mov_b32 s44, exec_lo
	s_delay_alu instid0(VALU_DEP_2) | instskip(NEXT) | instid1(VALU_DEP_1)
	v_and_b32_e32 v53, 0x7f, v28
	v_cmpx_ne_u32_e32 0x7f, v53
	s_cbranch_execz .LBB312_63
; %bb.60:                               ;   in Loop: Header=BB312_12 Depth=1
	v_dual_lshrrev_b32 v50, 3, v53 :: v_dual_bitop2_b32 v28, 7, v28 bitop3:0x40
	s_mov_b32 s45, exec_lo
	v_cmpx_gt_u32_e32 8, v53
; %bb.61:                               ;   in Loop: Header=BB312_12 Depth=1
	s_delay_alu instid0(VALU_DEP_2) | instskip(NEXT) | instid1(VALU_DEP_1)
	v_clz_i32_u32_e32 v50, v28
	v_min_u32_e32 v50, 32, v50
	s_delay_alu instid0(VALU_DEP_1) | instskip(SKIP_1) | instid1(VALU_DEP_2)
	v_subrev_nc_u32_e32 v53, 28, v50
	v_sub_nc_u32_e32 v50, 29, v50
	v_lshlrev_b64_e32 v[54:55], v53, v[28:29]
	s_delay_alu instid0(VALU_DEP_1)
	v_and_b32_e32 v28, 7, v54
; %bb.62:                               ;   in Loop: Header=BB312_12 Depth=1
	s_or_b32 exec_lo, exec_lo, s45
	v_lshlrev_b32_e32 v52, 16, v52
	s_delay_alu instid0(VALU_DEP_2) | instskip(SKIP_1) | instid1(VALU_DEP_3)
	v_lshlrev_b32_e32 v28, 20, v28
	v_lshl_add_u32 v50, v50, 23, 0x3c000000
	v_and_b32_e32 v52, 0x80000000, v52
	s_delay_alu instid0(VALU_DEP_1)
	v_or3_b32 v50, v28, v52, v50
.LBB312_63:                             ;   in Loop: Header=BB312_12 Depth=1
	s_or_b32 exec_lo, exec_lo, s44
.LBB312_64:                             ;   in Loop: Header=BB312_12 Depth=1
	s_delay_alu instid0(SALU_CYCLE_1)
	s_or_b32 exec_lo, exec_lo, s43
.LBB312_65:                             ;   in Loop: Header=BB312_12 Depth=1
	s_delay_alu instid0(SALU_CYCLE_1)
	s_or_b32 exec_lo, exec_lo, s42
	global_load_u16 v28, v[36:37], off offset:136
	v_mov_b32_e32 v52, 0
	s_wait_loadcnt 0x0
	v_and_b32_e32 v53, 0xff, v28
	v_and_b32_e32 v54, 0xffff, v28
	s_delay_alu instid0(VALU_DEP_2)
	v_cmp_ne_u16_e64 s4, 0, v53
	v_mov_b32_e32 v53, 0
	s_and_saveexec_b32 s42, s4
	s_cbranch_execz .LBB312_73
; %bb.66:                               ;   in Loop: Header=BB312_12 Depth=1
	v_and_b32_e32 v28, 0xff, v54
	v_bfrev_b32_e32 v53, 1
	s_mov_b32 s43, exec_lo
	s_delay_alu instid0(VALU_DEP_2)
	v_cmpx_ne_u16_e32 0x80, v28
	s_cbranch_execz .LBB312_72
; %bb.67:                               ;   in Loop: Header=BB312_12 Depth=1
	v_and_b32_e32 v55, 0x7f, v54
	v_mov_b32_e32 v53, 0x7f800001
	s_mov_b32 s44, exec_lo
	s_delay_alu instid0(VALU_DEP_2)
	v_cmpx_ne_u32_e32 0x7f, v55
	s_cbranch_execz .LBB312_71
; %bb.68:                               ;   in Loop: Header=BB312_12 Depth=1
	v_dual_lshrrev_b32 v53, 3, v55 :: v_dual_bitop2_b32 v28, 7, v54 bitop3:0x40
	s_mov_b32 s45, exec_lo
	v_cmpx_gt_u32_e32 8, v55
; %bb.69:                               ;   in Loop: Header=BB312_12 Depth=1
	s_delay_alu instid0(VALU_DEP_2) | instskip(NEXT) | instid1(VALU_DEP_1)
	v_clz_i32_u32_e32 v53, v28
	v_min_u32_e32 v53, 32, v53
	s_delay_alu instid0(VALU_DEP_1) | instskip(NEXT) | instid1(VALU_DEP_1)
	v_subrev_nc_u32_e32 v55, 28, v53
	v_lshlrev_b64_e32 v[56:57], v55, v[28:29]
	s_delay_alu instid0(VALU_DEP_1)
	v_dual_sub_nc_u32 v53, 29, v53 :: v_dual_bitop2_b32 v28, 7, v56 bitop3:0x40
; %bb.70:                               ;   in Loop: Header=BB312_12 Depth=1
	s_or_b32 exec_lo, exec_lo, s45
	s_delay_alu instid0(VALU_DEP_1) | instskip(NEXT) | instid1(VALU_DEP_2)
	v_dual_lshlrev_b32 v55, 24, v54 :: v_dual_lshlrev_b32 v28, 20, v28
	v_lshl_add_u32 v53, v53, 23, 0x3c000000
	s_delay_alu instid0(VALU_DEP_2) | instskip(NEXT) | instid1(VALU_DEP_1)
	v_and_b32_e32 v55, 0x80000000, v55
	v_or3_b32 v53, v28, v55, v53
.LBB312_71:                             ;   in Loop: Header=BB312_12 Depth=1
	s_or_b32 exec_lo, exec_lo, s44
.LBB312_72:                             ;   in Loop: Header=BB312_12 Depth=1
	s_delay_alu instid0(SALU_CYCLE_1)
	s_or_b32 exec_lo, exec_lo, s43
.LBB312_73:                             ;   in Loop: Header=BB312_12 Depth=1
	s_delay_alu instid0(SALU_CYCLE_1) | instskip(SKIP_2) | instid1(VALU_DEP_1)
	s_or_b32 exec_lo, exec_lo, s42
	v_lshrrev_b16 v28, 8, v54
	s_mov_b32 s42, exec_lo
	v_cmpx_ne_u16_e32 0, v28
	s_cbranch_execz .LBB312_81
; %bb.74:                               ;   in Loop: Header=BB312_12 Depth=1
	v_bfrev_b32_e32 v52, 1
	s_mov_b32 s43, exec_lo
	v_cmpx_ne_u16_e32 0x80, v28
	s_cbranch_execz .LBB312_80
; %bb.75:                               ;   in Loop: Header=BB312_12 Depth=1
	v_and_b32_e32 v28, 0xffff, v28
	v_mov_b32_e32 v52, 0x7f800001
	s_mov_b32 s44, exec_lo
	s_delay_alu instid0(VALU_DEP_2) | instskip(NEXT) | instid1(VALU_DEP_1)
	v_and_b32_e32 v55, 0x7f, v28
	v_cmpx_ne_u32_e32 0x7f, v55
	s_cbranch_execz .LBB312_79
; %bb.76:                               ;   in Loop: Header=BB312_12 Depth=1
	v_dual_lshrrev_b32 v52, 3, v55 :: v_dual_bitop2_b32 v28, 7, v28 bitop3:0x40
	s_mov_b32 s45, exec_lo
	v_cmpx_gt_u32_e32 8, v55
; %bb.77:                               ;   in Loop: Header=BB312_12 Depth=1
	s_delay_alu instid0(VALU_DEP_2) | instskip(NEXT) | instid1(VALU_DEP_1)
	v_clz_i32_u32_e32 v52, v28
	v_min_u32_e32 v52, 32, v52
	s_delay_alu instid0(VALU_DEP_1) | instskip(SKIP_1) | instid1(VALU_DEP_2)
	v_subrev_nc_u32_e32 v55, 28, v52
	v_sub_nc_u32_e32 v52, 29, v52
	v_lshlrev_b64_e32 v[56:57], v55, v[28:29]
	s_delay_alu instid0(VALU_DEP_1)
	v_and_b32_e32 v28, 7, v56
; %bb.78:                               ;   in Loop: Header=BB312_12 Depth=1
	s_or_b32 exec_lo, exec_lo, s45
	s_delay_alu instid0(VALU_DEP_1) | instskip(SKIP_1) | instid1(VALU_DEP_2)
	v_dual_lshlrev_b32 v54, 16, v54 :: v_dual_lshlrev_b32 v28, 20, v28
	v_lshl_add_u32 v52, v52, 23, 0x3c000000
	v_and_b32_e32 v54, 0x80000000, v54
	s_delay_alu instid0(VALU_DEP_1)
	v_or3_b32 v52, v28, v54, v52
.LBB312_79:                             ;   in Loop: Header=BB312_12 Depth=1
	s_or_b32 exec_lo, exec_lo, s44
.LBB312_80:                             ;   in Loop: Header=BB312_12 Depth=1
	s_delay_alu instid0(SALU_CYCLE_1)
	s_or_b32 exec_lo, exec_lo, s43
.LBB312_81:                             ;   in Loop: Header=BB312_12 Depth=1
	s_delay_alu instid0(SALU_CYCLE_1)
	s_or_b32 exec_lo, exec_lo, s42
	global_load_u16 v28, v[36:37], off offset:256
	v_mov_b32_e32 v54, 0
	s_wait_loadcnt 0x0
	v_and_b32_e32 v55, 0xff, v28
	v_and_b32_e32 v56, 0xffff, v28
	s_delay_alu instid0(VALU_DEP_2)
	v_cmp_ne_u16_e64 s4, 0, v55
	v_mov_b32_e32 v55, 0
	s_and_saveexec_b32 s42, s4
	s_cbranch_execz .LBB312_89
; %bb.82:                               ;   in Loop: Header=BB312_12 Depth=1
	v_and_b32_e32 v28, 0xff, v56
	v_bfrev_b32_e32 v55, 1
	s_mov_b32 s43, exec_lo
	s_delay_alu instid0(VALU_DEP_2)
	v_cmpx_ne_u16_e32 0x80, v28
	s_cbranch_execz .LBB312_88
; %bb.83:                               ;   in Loop: Header=BB312_12 Depth=1
	v_and_b32_e32 v57, 0x7f, v56
	v_mov_b32_e32 v55, 0x7f800001
	s_mov_b32 s44, exec_lo
	s_delay_alu instid0(VALU_DEP_2)
	v_cmpx_ne_u32_e32 0x7f, v57
	s_cbranch_execz .LBB312_87
; %bb.84:                               ;   in Loop: Header=BB312_12 Depth=1
	v_dual_lshrrev_b32 v55, 3, v57 :: v_dual_bitop2_b32 v28, 7, v56 bitop3:0x40
	s_mov_b32 s45, exec_lo
	v_cmpx_gt_u32_e32 8, v57
; %bb.85:                               ;   in Loop: Header=BB312_12 Depth=1
	s_delay_alu instid0(VALU_DEP_2) | instskip(NEXT) | instid1(VALU_DEP_1)
	v_clz_i32_u32_e32 v55, v28
	v_min_u32_e32 v55, 32, v55
	s_delay_alu instid0(VALU_DEP_1) | instskip(NEXT) | instid1(VALU_DEP_1)
	v_subrev_nc_u32_e32 v57, 28, v55
	v_lshlrev_b64_e32 v[58:59], v57, v[28:29]
	s_delay_alu instid0(VALU_DEP_1)
	v_dual_sub_nc_u32 v55, 29, v55 :: v_dual_bitop2_b32 v28, 7, v58 bitop3:0x40
; %bb.86:                               ;   in Loop: Header=BB312_12 Depth=1
	s_or_b32 exec_lo, exec_lo, s45
	v_lshlrev_b32_e32 v57, 24, v56
	s_delay_alu instid0(VALU_DEP_2) | instskip(NEXT) | instid1(VALU_DEP_3)
	v_lshlrev_b32_e32 v28, 20, v28
	v_lshl_add_u32 v55, v55, 23, 0x3c000000
	s_delay_alu instid0(VALU_DEP_3) | instskip(NEXT) | instid1(VALU_DEP_1)
	v_and_b32_e32 v57, 0x80000000, v57
	v_or3_b32 v55, v28, v57, v55
.LBB312_87:                             ;   in Loop: Header=BB312_12 Depth=1
	s_or_b32 exec_lo, exec_lo, s44
.LBB312_88:                             ;   in Loop: Header=BB312_12 Depth=1
	s_delay_alu instid0(SALU_CYCLE_1)
	s_or_b32 exec_lo, exec_lo, s43
.LBB312_89:                             ;   in Loop: Header=BB312_12 Depth=1
	s_delay_alu instid0(SALU_CYCLE_1) | instskip(SKIP_2) | instid1(VALU_DEP_1)
	s_or_b32 exec_lo, exec_lo, s42
	v_lshrrev_b16 v28, 8, v56
	s_mov_b32 s42, exec_lo
	v_cmpx_ne_u16_e32 0, v28
	s_cbranch_execz .LBB312_97
; %bb.90:                               ;   in Loop: Header=BB312_12 Depth=1
	v_bfrev_b32_e32 v54, 1
	s_mov_b32 s43, exec_lo
	v_cmpx_ne_u16_e32 0x80, v28
	s_cbranch_execz .LBB312_96
; %bb.91:                               ;   in Loop: Header=BB312_12 Depth=1
	v_and_b32_e32 v28, 0xffff, v28
	v_mov_b32_e32 v54, 0x7f800001
	s_mov_b32 s44, exec_lo
	s_delay_alu instid0(VALU_DEP_2) | instskip(NEXT) | instid1(VALU_DEP_1)
	v_and_b32_e32 v57, 0x7f, v28
	v_cmpx_ne_u32_e32 0x7f, v57
	s_cbranch_execz .LBB312_95
; %bb.92:                               ;   in Loop: Header=BB312_12 Depth=1
	v_dual_lshrrev_b32 v54, 3, v57 :: v_dual_bitop2_b32 v28, 7, v28 bitop3:0x40
	s_mov_b32 s45, exec_lo
	v_cmpx_gt_u32_e32 8, v57
; %bb.93:                               ;   in Loop: Header=BB312_12 Depth=1
	s_delay_alu instid0(VALU_DEP_2) | instskip(NEXT) | instid1(VALU_DEP_1)
	v_clz_i32_u32_e32 v54, v28
	v_min_u32_e32 v54, 32, v54
	s_delay_alu instid0(VALU_DEP_1) | instskip(SKIP_1) | instid1(VALU_DEP_2)
	v_subrev_nc_u32_e32 v57, 28, v54
	v_sub_nc_u32_e32 v54, 29, v54
	v_lshlrev_b64_e32 v[58:59], v57, v[28:29]
	s_delay_alu instid0(VALU_DEP_1)
	v_and_b32_e32 v28, 7, v58
; %bb.94:                               ;   in Loop: Header=BB312_12 Depth=1
	s_or_b32 exec_lo, exec_lo, s45
	v_lshlrev_b32_e32 v56, 16, v56
	s_delay_alu instid0(VALU_DEP_2) | instskip(SKIP_1) | instid1(VALU_DEP_3)
	v_lshlrev_b32_e32 v28, 20, v28
	v_lshl_add_u32 v54, v54, 23, 0x3c000000
	v_and_b32_e32 v56, 0x80000000, v56
	s_delay_alu instid0(VALU_DEP_1)
	v_or3_b32 v54, v28, v56, v54
.LBB312_95:                             ;   in Loop: Header=BB312_12 Depth=1
	s_or_b32 exec_lo, exec_lo, s44
.LBB312_96:                             ;   in Loop: Header=BB312_12 Depth=1
	s_delay_alu instid0(SALU_CYCLE_1)
	s_or_b32 exec_lo, exec_lo, s43
.LBB312_97:                             ;   in Loop: Header=BB312_12 Depth=1
	s_delay_alu instid0(SALU_CYCLE_1)
	s_or_b32 exec_lo, exec_lo, s42
	global_load_u16 v28, v[36:37], off offset:264
	v_mov_b32_e32 v56, 0
	s_wait_loadcnt 0x0
	v_and_b32_e32 v57, 0xff, v28
	v_and_b32_e32 v58, 0xffff, v28
	s_delay_alu instid0(VALU_DEP_2)
	v_cmp_ne_u16_e64 s4, 0, v57
	v_mov_b32_e32 v57, 0
	s_and_saveexec_b32 s42, s4
	s_cbranch_execz .LBB312_105
; %bb.98:                               ;   in Loop: Header=BB312_12 Depth=1
	v_and_b32_e32 v28, 0xff, v58
	v_bfrev_b32_e32 v57, 1
	s_mov_b32 s43, exec_lo
	s_delay_alu instid0(VALU_DEP_2)
	v_cmpx_ne_u16_e32 0x80, v28
	s_cbranch_execz .LBB312_104
; %bb.99:                               ;   in Loop: Header=BB312_12 Depth=1
	v_and_b32_e32 v59, 0x7f, v58
	v_mov_b32_e32 v57, 0x7f800001
	s_mov_b32 s44, exec_lo
	s_delay_alu instid0(VALU_DEP_2)
	v_cmpx_ne_u32_e32 0x7f, v59
	s_cbranch_execz .LBB312_103
; %bb.100:                              ;   in Loop: Header=BB312_12 Depth=1
	v_dual_lshrrev_b32 v57, 3, v59 :: v_dual_bitop2_b32 v28, 7, v58 bitop3:0x40
	s_mov_b32 s45, exec_lo
	v_cmpx_gt_u32_e32 8, v59
; %bb.101:                              ;   in Loop: Header=BB312_12 Depth=1
	s_delay_alu instid0(VALU_DEP_2) | instskip(NEXT) | instid1(VALU_DEP_1)
	v_clz_i32_u32_e32 v57, v28
	v_min_u32_e32 v57, 32, v57
	s_delay_alu instid0(VALU_DEP_1) | instskip(NEXT) | instid1(VALU_DEP_1)
	v_subrev_nc_u32_e32 v59, 28, v57
	v_lshlrev_b64_e32 v[60:61], v59, v[28:29]
	s_delay_alu instid0(VALU_DEP_1)
	v_dual_sub_nc_u32 v57, 29, v57 :: v_dual_bitop2_b32 v28, 7, v60 bitop3:0x40
; %bb.102:                              ;   in Loop: Header=BB312_12 Depth=1
	s_or_b32 exec_lo, exec_lo, s45
	s_delay_alu instid0(VALU_DEP_1) | instskip(NEXT) | instid1(VALU_DEP_2)
	v_dual_lshlrev_b32 v59, 24, v58 :: v_dual_lshlrev_b32 v28, 20, v28
	v_lshl_add_u32 v57, v57, 23, 0x3c000000
	s_delay_alu instid0(VALU_DEP_2) | instskip(NEXT) | instid1(VALU_DEP_1)
	v_and_b32_e32 v59, 0x80000000, v59
	v_or3_b32 v57, v28, v59, v57
.LBB312_103:                            ;   in Loop: Header=BB312_12 Depth=1
	s_or_b32 exec_lo, exec_lo, s44
.LBB312_104:                            ;   in Loop: Header=BB312_12 Depth=1
	s_delay_alu instid0(SALU_CYCLE_1)
	s_or_b32 exec_lo, exec_lo, s43
.LBB312_105:                            ;   in Loop: Header=BB312_12 Depth=1
	s_delay_alu instid0(SALU_CYCLE_1) | instskip(SKIP_2) | instid1(VALU_DEP_1)
	s_or_b32 exec_lo, exec_lo, s42
	v_lshrrev_b16 v28, 8, v58
	s_mov_b32 s42, exec_lo
	v_cmpx_ne_u16_e32 0, v28
	s_cbranch_execz .LBB312_113
; %bb.106:                              ;   in Loop: Header=BB312_12 Depth=1
	v_bfrev_b32_e32 v56, 1
	s_mov_b32 s43, exec_lo
	v_cmpx_ne_u16_e32 0x80, v28
	s_cbranch_execz .LBB312_112
; %bb.107:                              ;   in Loop: Header=BB312_12 Depth=1
	v_and_b32_e32 v28, 0xffff, v28
	v_mov_b32_e32 v56, 0x7f800001
	s_mov_b32 s44, exec_lo
	s_delay_alu instid0(VALU_DEP_2) | instskip(NEXT) | instid1(VALU_DEP_1)
	v_and_b32_e32 v59, 0x7f, v28
	v_cmpx_ne_u32_e32 0x7f, v59
	s_cbranch_execz .LBB312_111
; %bb.108:                              ;   in Loop: Header=BB312_12 Depth=1
	v_dual_lshrrev_b32 v56, 3, v59 :: v_dual_bitop2_b32 v28, 7, v28 bitop3:0x40
	s_mov_b32 s45, exec_lo
	v_cmpx_gt_u32_e32 8, v59
; %bb.109:                              ;   in Loop: Header=BB312_12 Depth=1
	s_delay_alu instid0(VALU_DEP_2) | instskip(NEXT) | instid1(VALU_DEP_1)
	v_clz_i32_u32_e32 v56, v28
	v_min_u32_e32 v56, 32, v56
	s_delay_alu instid0(VALU_DEP_1) | instskip(SKIP_1) | instid1(VALU_DEP_2)
	v_subrev_nc_u32_e32 v59, 28, v56
	v_sub_nc_u32_e32 v56, 29, v56
	v_lshlrev_b64_e32 v[60:61], v59, v[28:29]
	s_delay_alu instid0(VALU_DEP_1)
	v_and_b32_e32 v28, 7, v60
; %bb.110:                              ;   in Loop: Header=BB312_12 Depth=1
	s_or_b32 exec_lo, exec_lo, s45
	s_delay_alu instid0(VALU_DEP_1) | instskip(SKIP_1) | instid1(VALU_DEP_2)
	v_dual_lshlrev_b32 v58, 16, v58 :: v_dual_lshlrev_b32 v28, 20, v28
	v_lshl_add_u32 v56, v56, 23, 0x3c000000
	v_and_b32_e32 v58, 0x80000000, v58
	s_delay_alu instid0(VALU_DEP_1)
	v_or3_b32 v56, v28, v58, v56
.LBB312_111:                            ;   in Loop: Header=BB312_12 Depth=1
	s_or_b32 exec_lo, exec_lo, s44
.LBB312_112:                            ;   in Loop: Header=BB312_12 Depth=1
	s_delay_alu instid0(SALU_CYCLE_1)
	s_or_b32 exec_lo, exec_lo, s43
.LBB312_113:                            ;   in Loop: Header=BB312_12 Depth=1
	s_delay_alu instid0(SALU_CYCLE_1)
	s_or_b32 exec_lo, exec_lo, s42
	global_load_u16 v28, v[36:37], off offset:384
	v_mov_b32_e32 v58, 0
	s_wait_loadcnt 0x0
	v_and_b32_e32 v59, 0xff, v28
	v_and_b32_e32 v60, 0xffff, v28
	s_delay_alu instid0(VALU_DEP_2)
	v_cmp_ne_u16_e64 s4, 0, v59
	v_mov_b32_e32 v59, 0
	s_and_saveexec_b32 s42, s4
	s_cbranch_execz .LBB312_121
; %bb.114:                              ;   in Loop: Header=BB312_12 Depth=1
	v_and_b32_e32 v28, 0xff, v60
	v_bfrev_b32_e32 v59, 1
	s_mov_b32 s43, exec_lo
	s_delay_alu instid0(VALU_DEP_2)
	v_cmpx_ne_u16_e32 0x80, v28
	s_cbranch_execz .LBB312_120
; %bb.115:                              ;   in Loop: Header=BB312_12 Depth=1
	v_and_b32_e32 v61, 0x7f, v60
	v_mov_b32_e32 v59, 0x7f800001
	s_mov_b32 s44, exec_lo
	s_delay_alu instid0(VALU_DEP_2)
	v_cmpx_ne_u32_e32 0x7f, v61
	s_cbranch_execz .LBB312_119
; %bb.116:                              ;   in Loop: Header=BB312_12 Depth=1
	v_dual_lshrrev_b32 v59, 3, v61 :: v_dual_bitop2_b32 v28, 7, v60 bitop3:0x40
	s_mov_b32 s45, exec_lo
	v_cmpx_gt_u32_e32 8, v61
; %bb.117:                              ;   in Loop: Header=BB312_12 Depth=1
	s_delay_alu instid0(VALU_DEP_2) | instskip(NEXT) | instid1(VALU_DEP_1)
	v_clz_i32_u32_e32 v59, v28
	v_min_u32_e32 v59, 32, v59
	s_delay_alu instid0(VALU_DEP_1) | instskip(NEXT) | instid1(VALU_DEP_1)
	v_subrev_nc_u32_e32 v61, 28, v59
	v_lshlrev_b64_e32 v[62:63], v61, v[28:29]
	s_delay_alu instid0(VALU_DEP_1)
	v_dual_sub_nc_u32 v59, 29, v59 :: v_dual_bitop2_b32 v28, 7, v62 bitop3:0x40
; %bb.118:                              ;   in Loop: Header=BB312_12 Depth=1
	s_or_b32 exec_lo, exec_lo, s45
	v_lshlrev_b32_e32 v61, 24, v60
	s_delay_alu instid0(VALU_DEP_2) | instskip(NEXT) | instid1(VALU_DEP_3)
	v_lshlrev_b32_e32 v28, 20, v28
	v_lshl_add_u32 v59, v59, 23, 0x3c000000
	s_delay_alu instid0(VALU_DEP_3) | instskip(NEXT) | instid1(VALU_DEP_1)
	v_and_b32_e32 v61, 0x80000000, v61
	v_or3_b32 v59, v28, v61, v59
.LBB312_119:                            ;   in Loop: Header=BB312_12 Depth=1
	s_or_b32 exec_lo, exec_lo, s44
.LBB312_120:                            ;   in Loop: Header=BB312_12 Depth=1
	s_delay_alu instid0(SALU_CYCLE_1)
	s_or_b32 exec_lo, exec_lo, s43
.LBB312_121:                            ;   in Loop: Header=BB312_12 Depth=1
	s_delay_alu instid0(SALU_CYCLE_1) | instskip(SKIP_2) | instid1(VALU_DEP_1)
	s_or_b32 exec_lo, exec_lo, s42
	v_lshrrev_b16 v28, 8, v60
	s_mov_b32 s42, exec_lo
	v_cmpx_ne_u16_e32 0, v28
	s_cbranch_execz .LBB312_129
; %bb.122:                              ;   in Loop: Header=BB312_12 Depth=1
	v_bfrev_b32_e32 v58, 1
	s_mov_b32 s43, exec_lo
	v_cmpx_ne_u16_e32 0x80, v28
	s_cbranch_execz .LBB312_128
; %bb.123:                              ;   in Loop: Header=BB312_12 Depth=1
	v_and_b32_e32 v28, 0xffff, v28
	v_mov_b32_e32 v58, 0x7f800001
	s_mov_b32 s44, exec_lo
	s_delay_alu instid0(VALU_DEP_2) | instskip(NEXT) | instid1(VALU_DEP_1)
	v_and_b32_e32 v61, 0x7f, v28
	v_cmpx_ne_u32_e32 0x7f, v61
	s_cbranch_execz .LBB312_127
; %bb.124:                              ;   in Loop: Header=BB312_12 Depth=1
	v_dual_lshrrev_b32 v58, 3, v61 :: v_dual_bitop2_b32 v28, 7, v28 bitop3:0x40
	s_mov_b32 s45, exec_lo
	v_cmpx_gt_u32_e32 8, v61
; %bb.125:                              ;   in Loop: Header=BB312_12 Depth=1
	s_delay_alu instid0(VALU_DEP_2) | instskip(NEXT) | instid1(VALU_DEP_1)
	v_clz_i32_u32_e32 v58, v28
	v_min_u32_e32 v58, 32, v58
	s_delay_alu instid0(VALU_DEP_1) | instskip(SKIP_1) | instid1(VALU_DEP_2)
	v_subrev_nc_u32_e32 v61, 28, v58
	v_sub_nc_u32_e32 v58, 29, v58
	v_lshlrev_b64_e32 v[62:63], v61, v[28:29]
	s_delay_alu instid0(VALU_DEP_1)
	v_and_b32_e32 v28, 7, v62
; %bb.126:                              ;   in Loop: Header=BB312_12 Depth=1
	s_or_b32 exec_lo, exec_lo, s45
	v_lshlrev_b32_e32 v60, 16, v60
	s_delay_alu instid0(VALU_DEP_2) | instskip(SKIP_1) | instid1(VALU_DEP_3)
	v_lshlrev_b32_e32 v28, 20, v28
	v_lshl_add_u32 v58, v58, 23, 0x3c000000
	v_and_b32_e32 v60, 0x80000000, v60
	s_delay_alu instid0(VALU_DEP_1)
	v_or3_b32 v58, v28, v60, v58
.LBB312_127:                            ;   in Loop: Header=BB312_12 Depth=1
	s_or_b32 exec_lo, exec_lo, s44
.LBB312_128:                            ;   in Loop: Header=BB312_12 Depth=1
	s_delay_alu instid0(SALU_CYCLE_1)
	s_or_b32 exec_lo, exec_lo, s43
.LBB312_129:                            ;   in Loop: Header=BB312_12 Depth=1
	s_delay_alu instid0(SALU_CYCLE_1)
	s_or_b32 exec_lo, exec_lo, s42
	global_load_u16 v28, v[36:37], off offset:392
	v_mov_b32_e32 v60, 0
	s_wait_loadcnt 0x0
	v_and_b32_e32 v61, 0xff, v28
	v_and_b32_e32 v62, 0xffff, v28
	s_delay_alu instid0(VALU_DEP_2)
	v_cmp_ne_u16_e64 s4, 0, v61
	v_mov_b32_e32 v61, 0
	s_and_saveexec_b32 s42, s4
	s_cbranch_execz .LBB312_137
; %bb.130:                              ;   in Loop: Header=BB312_12 Depth=1
	v_and_b32_e32 v28, 0xff, v62
	v_bfrev_b32_e32 v61, 1
	s_mov_b32 s43, exec_lo
	s_delay_alu instid0(VALU_DEP_2)
	v_cmpx_ne_u16_e32 0x80, v28
	s_cbranch_execz .LBB312_136
; %bb.131:                              ;   in Loop: Header=BB312_12 Depth=1
	v_and_b32_e32 v63, 0x7f, v62
	v_mov_b32_e32 v61, 0x7f800001
	s_mov_b32 s44, exec_lo
	s_delay_alu instid0(VALU_DEP_2)
	v_cmpx_ne_u32_e32 0x7f, v63
	s_cbranch_execz .LBB312_135
; %bb.132:                              ;   in Loop: Header=BB312_12 Depth=1
	v_dual_lshrrev_b32 v61, 3, v63 :: v_dual_bitop2_b32 v28, 7, v62 bitop3:0x40
	s_mov_b32 s45, exec_lo
	v_cmpx_gt_u32_e32 8, v63
; %bb.133:                              ;   in Loop: Header=BB312_12 Depth=1
	s_delay_alu instid0(VALU_DEP_2) | instskip(NEXT) | instid1(VALU_DEP_1)
	v_clz_i32_u32_e32 v61, v28
	v_min_u32_e32 v61, 32, v61
	s_delay_alu instid0(VALU_DEP_1) | instskip(NEXT) | instid1(VALU_DEP_1)
	v_subrev_nc_u32_e32 v63, 28, v61
	v_lshlrev_b64_e32 v[64:65], v63, v[28:29]
	s_delay_alu instid0(VALU_DEP_1)
	v_dual_sub_nc_u32 v61, 29, v61 :: v_dual_bitop2_b32 v28, 7, v64 bitop3:0x40
; %bb.134:                              ;   in Loop: Header=BB312_12 Depth=1
	s_or_b32 exec_lo, exec_lo, s45
	s_delay_alu instid0(VALU_DEP_1) | instskip(NEXT) | instid1(VALU_DEP_2)
	v_dual_lshlrev_b32 v63, 24, v62 :: v_dual_lshlrev_b32 v28, 20, v28
	v_lshl_add_u32 v61, v61, 23, 0x3c000000
	s_delay_alu instid0(VALU_DEP_2) | instskip(NEXT) | instid1(VALU_DEP_1)
	v_and_b32_e32 v63, 0x80000000, v63
	v_or3_b32 v61, v28, v63, v61
.LBB312_135:                            ;   in Loop: Header=BB312_12 Depth=1
	s_or_b32 exec_lo, exec_lo, s44
.LBB312_136:                            ;   in Loop: Header=BB312_12 Depth=1
	s_delay_alu instid0(SALU_CYCLE_1)
	s_or_b32 exec_lo, exec_lo, s43
.LBB312_137:                            ;   in Loop: Header=BB312_12 Depth=1
	s_delay_alu instid0(SALU_CYCLE_1) | instskip(SKIP_2) | instid1(VALU_DEP_1)
	s_or_b32 exec_lo, exec_lo, s42
	v_lshrrev_b16 v28, 8, v62
	s_mov_b32 s42, exec_lo
	v_cmpx_ne_u16_e32 0, v28
	s_cbranch_execz .LBB312_145
; %bb.138:                              ;   in Loop: Header=BB312_12 Depth=1
	v_bfrev_b32_e32 v60, 1
	s_mov_b32 s43, exec_lo
	v_cmpx_ne_u16_e32 0x80, v28
	s_cbranch_execz .LBB312_144
; %bb.139:                              ;   in Loop: Header=BB312_12 Depth=1
	v_and_b32_e32 v28, 0xffff, v28
	v_mov_b32_e32 v60, 0x7f800001
	s_mov_b32 s44, exec_lo
	s_delay_alu instid0(VALU_DEP_2) | instskip(NEXT) | instid1(VALU_DEP_1)
	v_and_b32_e32 v63, 0x7f, v28
	v_cmpx_ne_u32_e32 0x7f, v63
	s_cbranch_execz .LBB312_143
; %bb.140:                              ;   in Loop: Header=BB312_12 Depth=1
	v_dual_lshrrev_b32 v60, 3, v63 :: v_dual_bitop2_b32 v28, 7, v28 bitop3:0x40
	s_mov_b32 s45, exec_lo
	v_cmpx_gt_u32_e32 8, v63
; %bb.141:                              ;   in Loop: Header=BB312_12 Depth=1
	s_delay_alu instid0(VALU_DEP_2) | instskip(NEXT) | instid1(VALU_DEP_1)
	v_clz_i32_u32_e32 v60, v28
	v_min_u32_e32 v60, 32, v60
	s_delay_alu instid0(VALU_DEP_1) | instskip(SKIP_1) | instid1(VALU_DEP_2)
	v_subrev_nc_u32_e32 v63, 28, v60
	v_sub_nc_u32_e32 v60, 29, v60
	v_lshlrev_b64_e32 v[64:65], v63, v[28:29]
	s_delay_alu instid0(VALU_DEP_1)
	v_and_b32_e32 v28, 7, v64
; %bb.142:                              ;   in Loop: Header=BB312_12 Depth=1
	s_or_b32 exec_lo, exec_lo, s45
	s_delay_alu instid0(VALU_DEP_1) | instskip(SKIP_1) | instid1(VALU_DEP_2)
	v_dual_lshlrev_b32 v62, 16, v62 :: v_dual_lshlrev_b32 v28, 20, v28
	v_lshl_add_u32 v60, v60, 23, 0x3c000000
	v_and_b32_e32 v62, 0x80000000, v62
	s_delay_alu instid0(VALU_DEP_1)
	v_or3_b32 v60, v28, v62, v60
.LBB312_143:                            ;   in Loop: Header=BB312_12 Depth=1
	s_or_b32 exec_lo, exec_lo, s44
.LBB312_144:                            ;   in Loop: Header=BB312_12 Depth=1
	s_delay_alu instid0(SALU_CYCLE_1)
	s_or_b32 exec_lo, exec_lo, s43
.LBB312_145:                            ;   in Loop: Header=BB312_12 Depth=1
	s_delay_alu instid0(SALU_CYCLE_1)
	s_or_b32 exec_lo, exec_lo, s42
	global_load_u16 v28, v[36:37], off offset:512
	v_mov_b32_e32 v62, 0
	s_wait_loadcnt 0x0
	v_and_b32_e32 v63, 0xff, v28
	v_and_b32_e32 v64, 0xffff, v28
	s_delay_alu instid0(VALU_DEP_2)
	v_cmp_ne_u16_e64 s4, 0, v63
	v_mov_b32_e32 v63, 0
	s_and_saveexec_b32 s42, s4
	s_cbranch_execz .LBB312_153
; %bb.146:                              ;   in Loop: Header=BB312_12 Depth=1
	v_and_b32_e32 v28, 0xff, v64
	v_bfrev_b32_e32 v63, 1
	s_mov_b32 s43, exec_lo
	s_delay_alu instid0(VALU_DEP_2)
	v_cmpx_ne_u16_e32 0x80, v28
	s_cbranch_execz .LBB312_152
; %bb.147:                              ;   in Loop: Header=BB312_12 Depth=1
	v_and_b32_e32 v65, 0x7f, v64
	v_mov_b32_e32 v63, 0x7f800001
	s_mov_b32 s44, exec_lo
	s_delay_alu instid0(VALU_DEP_2)
	v_cmpx_ne_u32_e32 0x7f, v65
	s_cbranch_execz .LBB312_151
; %bb.148:                              ;   in Loop: Header=BB312_12 Depth=1
	v_dual_lshrrev_b32 v63, 3, v65 :: v_dual_bitop2_b32 v28, 7, v64 bitop3:0x40
	s_mov_b32 s45, exec_lo
	v_cmpx_gt_u32_e32 8, v65
; %bb.149:                              ;   in Loop: Header=BB312_12 Depth=1
	s_delay_alu instid0(VALU_DEP_2) | instskip(NEXT) | instid1(VALU_DEP_1)
	v_clz_i32_u32_e32 v63, v28
	v_min_u32_e32 v63, 32, v63
	s_delay_alu instid0(VALU_DEP_1) | instskip(NEXT) | instid1(VALU_DEP_1)
	v_subrev_nc_u32_e32 v65, 28, v63
	v_lshlrev_b64_e32 v[66:67], v65, v[28:29]
	s_delay_alu instid0(VALU_DEP_1)
	v_dual_sub_nc_u32 v63, 29, v63 :: v_dual_bitop2_b32 v28, 7, v66 bitop3:0x40
; %bb.150:                              ;   in Loop: Header=BB312_12 Depth=1
	s_or_b32 exec_lo, exec_lo, s45
	v_lshlrev_b32_e32 v65, 24, v64
	s_delay_alu instid0(VALU_DEP_2) | instskip(NEXT) | instid1(VALU_DEP_3)
	v_lshlrev_b32_e32 v28, 20, v28
	v_lshl_add_u32 v63, v63, 23, 0x3c000000
	s_delay_alu instid0(VALU_DEP_3) | instskip(NEXT) | instid1(VALU_DEP_1)
	v_and_b32_e32 v65, 0x80000000, v65
	v_or3_b32 v63, v28, v65, v63
.LBB312_151:                            ;   in Loop: Header=BB312_12 Depth=1
	s_or_b32 exec_lo, exec_lo, s44
.LBB312_152:                            ;   in Loop: Header=BB312_12 Depth=1
	s_delay_alu instid0(SALU_CYCLE_1)
	s_or_b32 exec_lo, exec_lo, s43
.LBB312_153:                            ;   in Loop: Header=BB312_12 Depth=1
	s_delay_alu instid0(SALU_CYCLE_1) | instskip(SKIP_2) | instid1(VALU_DEP_1)
	s_or_b32 exec_lo, exec_lo, s42
	v_lshrrev_b16 v28, 8, v64
	s_mov_b32 s42, exec_lo
	v_cmpx_ne_u16_e32 0, v28
	s_cbranch_execz .LBB312_161
; %bb.154:                              ;   in Loop: Header=BB312_12 Depth=1
	v_bfrev_b32_e32 v62, 1
	s_mov_b32 s43, exec_lo
	v_cmpx_ne_u16_e32 0x80, v28
	s_cbranch_execz .LBB312_160
; %bb.155:                              ;   in Loop: Header=BB312_12 Depth=1
	v_and_b32_e32 v28, 0xffff, v28
	v_mov_b32_e32 v62, 0x7f800001
	s_mov_b32 s44, exec_lo
	s_delay_alu instid0(VALU_DEP_2) | instskip(NEXT) | instid1(VALU_DEP_1)
	v_and_b32_e32 v65, 0x7f, v28
	v_cmpx_ne_u32_e32 0x7f, v65
	s_cbranch_execz .LBB312_159
; %bb.156:                              ;   in Loop: Header=BB312_12 Depth=1
	v_dual_lshrrev_b32 v62, 3, v65 :: v_dual_bitop2_b32 v28, 7, v28 bitop3:0x40
	s_mov_b32 s45, exec_lo
	v_cmpx_gt_u32_e32 8, v65
; %bb.157:                              ;   in Loop: Header=BB312_12 Depth=1
	s_delay_alu instid0(VALU_DEP_2) | instskip(NEXT) | instid1(VALU_DEP_1)
	v_clz_i32_u32_e32 v62, v28
	v_min_u32_e32 v62, 32, v62
	s_delay_alu instid0(VALU_DEP_1) | instskip(SKIP_1) | instid1(VALU_DEP_2)
	v_subrev_nc_u32_e32 v65, 28, v62
	v_sub_nc_u32_e32 v62, 29, v62
	v_lshlrev_b64_e32 v[66:67], v65, v[28:29]
	s_delay_alu instid0(VALU_DEP_1)
	v_and_b32_e32 v28, 7, v66
; %bb.158:                              ;   in Loop: Header=BB312_12 Depth=1
	s_or_b32 exec_lo, exec_lo, s45
	v_lshlrev_b32_e32 v64, 16, v64
	s_delay_alu instid0(VALU_DEP_2) | instskip(SKIP_1) | instid1(VALU_DEP_3)
	v_lshlrev_b32_e32 v28, 20, v28
	v_lshl_add_u32 v62, v62, 23, 0x3c000000
	v_and_b32_e32 v64, 0x80000000, v64
	s_delay_alu instid0(VALU_DEP_1)
	v_or3_b32 v62, v28, v64, v62
.LBB312_159:                            ;   in Loop: Header=BB312_12 Depth=1
	s_or_b32 exec_lo, exec_lo, s44
.LBB312_160:                            ;   in Loop: Header=BB312_12 Depth=1
	s_delay_alu instid0(SALU_CYCLE_1)
	s_or_b32 exec_lo, exec_lo, s43
.LBB312_161:                            ;   in Loop: Header=BB312_12 Depth=1
	s_delay_alu instid0(SALU_CYCLE_1)
	s_or_b32 exec_lo, exec_lo, s42
	global_load_u16 v28, v[36:37], off offset:520
	v_mov_b32_e32 v64, 0
	s_wait_loadcnt 0x0
	v_and_b32_e32 v65, 0xff, v28
	v_and_b32_e32 v66, 0xffff, v28
	s_delay_alu instid0(VALU_DEP_2)
	v_cmp_ne_u16_e64 s4, 0, v65
	v_mov_b32_e32 v65, 0
	s_and_saveexec_b32 s42, s4
	s_cbranch_execz .LBB312_169
; %bb.162:                              ;   in Loop: Header=BB312_12 Depth=1
	v_and_b32_e32 v28, 0xff, v66
	v_bfrev_b32_e32 v65, 1
	s_mov_b32 s43, exec_lo
	s_delay_alu instid0(VALU_DEP_2)
	v_cmpx_ne_u16_e32 0x80, v28
	s_cbranch_execz .LBB312_168
; %bb.163:                              ;   in Loop: Header=BB312_12 Depth=1
	v_and_b32_e32 v67, 0x7f, v66
	v_mov_b32_e32 v65, 0x7f800001
	s_mov_b32 s44, exec_lo
	s_delay_alu instid0(VALU_DEP_2)
	v_cmpx_ne_u32_e32 0x7f, v67
	s_cbranch_execz .LBB312_167
; %bb.164:                              ;   in Loop: Header=BB312_12 Depth=1
	v_dual_lshrrev_b32 v65, 3, v67 :: v_dual_bitop2_b32 v28, 7, v66 bitop3:0x40
	s_mov_b32 s45, exec_lo
	v_cmpx_gt_u32_e32 8, v67
; %bb.165:                              ;   in Loop: Header=BB312_12 Depth=1
	s_delay_alu instid0(VALU_DEP_2) | instskip(NEXT) | instid1(VALU_DEP_1)
	v_clz_i32_u32_e32 v65, v28
	v_min_u32_e32 v65, 32, v65
	s_delay_alu instid0(VALU_DEP_1) | instskip(NEXT) | instid1(VALU_DEP_1)
	v_subrev_nc_u32_e32 v67, 28, v65
	v_lshlrev_b64_e32 v[68:69], v67, v[28:29]
	s_delay_alu instid0(VALU_DEP_1)
	v_dual_sub_nc_u32 v65, 29, v65 :: v_dual_bitop2_b32 v28, 7, v68 bitop3:0x40
; %bb.166:                              ;   in Loop: Header=BB312_12 Depth=1
	s_or_b32 exec_lo, exec_lo, s45
	s_delay_alu instid0(VALU_DEP_1) | instskip(NEXT) | instid1(VALU_DEP_2)
	v_dual_lshlrev_b32 v67, 24, v66 :: v_dual_lshlrev_b32 v28, 20, v28
	v_lshl_add_u32 v65, v65, 23, 0x3c000000
	s_delay_alu instid0(VALU_DEP_2) | instskip(NEXT) | instid1(VALU_DEP_1)
	v_and_b32_e32 v67, 0x80000000, v67
	v_or3_b32 v65, v28, v67, v65
.LBB312_167:                            ;   in Loop: Header=BB312_12 Depth=1
	s_or_b32 exec_lo, exec_lo, s44
.LBB312_168:                            ;   in Loop: Header=BB312_12 Depth=1
	s_delay_alu instid0(SALU_CYCLE_1)
	s_or_b32 exec_lo, exec_lo, s43
.LBB312_169:                            ;   in Loop: Header=BB312_12 Depth=1
	s_delay_alu instid0(SALU_CYCLE_1) | instskip(SKIP_2) | instid1(VALU_DEP_1)
	s_or_b32 exec_lo, exec_lo, s42
	v_lshrrev_b16 v28, 8, v66
	s_mov_b32 s42, exec_lo
	v_cmpx_ne_u16_e32 0, v28
	s_cbranch_execz .LBB312_177
; %bb.170:                              ;   in Loop: Header=BB312_12 Depth=1
	v_bfrev_b32_e32 v64, 1
	s_mov_b32 s43, exec_lo
	v_cmpx_ne_u16_e32 0x80, v28
	s_cbranch_execz .LBB312_176
; %bb.171:                              ;   in Loop: Header=BB312_12 Depth=1
	v_and_b32_e32 v28, 0xffff, v28
	v_mov_b32_e32 v64, 0x7f800001
	s_mov_b32 s44, exec_lo
	s_delay_alu instid0(VALU_DEP_2) | instskip(NEXT) | instid1(VALU_DEP_1)
	v_and_b32_e32 v67, 0x7f, v28
	v_cmpx_ne_u32_e32 0x7f, v67
	s_cbranch_execz .LBB312_175
; %bb.172:                              ;   in Loop: Header=BB312_12 Depth=1
	v_dual_lshrrev_b32 v64, 3, v67 :: v_dual_bitop2_b32 v28, 7, v28 bitop3:0x40
	s_mov_b32 s45, exec_lo
	v_cmpx_gt_u32_e32 8, v67
; %bb.173:                              ;   in Loop: Header=BB312_12 Depth=1
	s_delay_alu instid0(VALU_DEP_2) | instskip(NEXT) | instid1(VALU_DEP_1)
	v_clz_i32_u32_e32 v64, v28
	v_min_u32_e32 v64, 32, v64
	s_delay_alu instid0(VALU_DEP_1) | instskip(SKIP_1) | instid1(VALU_DEP_2)
	v_subrev_nc_u32_e32 v67, 28, v64
	v_sub_nc_u32_e32 v64, 29, v64
	v_lshlrev_b64_e32 v[68:69], v67, v[28:29]
	s_delay_alu instid0(VALU_DEP_1)
	v_and_b32_e32 v28, 7, v68
; %bb.174:                              ;   in Loop: Header=BB312_12 Depth=1
	s_or_b32 exec_lo, exec_lo, s45
	s_delay_alu instid0(VALU_DEP_1) | instskip(SKIP_1) | instid1(VALU_DEP_2)
	v_dual_lshlrev_b32 v66, 16, v66 :: v_dual_lshlrev_b32 v28, 20, v28
	v_lshl_add_u32 v64, v64, 23, 0x3c000000
	v_and_b32_e32 v66, 0x80000000, v66
	s_delay_alu instid0(VALU_DEP_1)
	v_or3_b32 v64, v28, v66, v64
.LBB312_175:                            ;   in Loop: Header=BB312_12 Depth=1
	s_or_b32 exec_lo, exec_lo, s44
.LBB312_176:                            ;   in Loop: Header=BB312_12 Depth=1
	s_delay_alu instid0(SALU_CYCLE_1)
	s_or_b32 exec_lo, exec_lo, s43
.LBB312_177:                            ;   in Loop: Header=BB312_12 Depth=1
	s_delay_alu instid0(SALU_CYCLE_1)
	s_or_b32 exec_lo, exec_lo, s42
	global_load_u16 v28, v[36:37], off offset:640
	v_mov_b32_e32 v66, 0
	s_wait_loadcnt 0x0
	v_and_b32_e32 v67, 0xff, v28
	v_and_b32_e32 v68, 0xffff, v28
	s_delay_alu instid0(VALU_DEP_2)
	v_cmp_ne_u16_e64 s4, 0, v67
	v_mov_b32_e32 v67, 0
	s_and_saveexec_b32 s42, s4
	s_cbranch_execz .LBB312_185
; %bb.178:                              ;   in Loop: Header=BB312_12 Depth=1
	v_and_b32_e32 v28, 0xff, v68
	v_bfrev_b32_e32 v67, 1
	s_mov_b32 s43, exec_lo
	s_delay_alu instid0(VALU_DEP_2)
	v_cmpx_ne_u16_e32 0x80, v28
	s_cbranch_execz .LBB312_184
; %bb.179:                              ;   in Loop: Header=BB312_12 Depth=1
	v_and_b32_e32 v69, 0x7f, v68
	v_mov_b32_e32 v67, 0x7f800001
	s_mov_b32 s44, exec_lo
	s_delay_alu instid0(VALU_DEP_2)
	v_cmpx_ne_u32_e32 0x7f, v69
	s_cbranch_execz .LBB312_183
; %bb.180:                              ;   in Loop: Header=BB312_12 Depth=1
	v_dual_lshrrev_b32 v67, 3, v69 :: v_dual_bitop2_b32 v28, 7, v68 bitop3:0x40
	s_mov_b32 s45, exec_lo
	v_cmpx_gt_u32_e32 8, v69
; %bb.181:                              ;   in Loop: Header=BB312_12 Depth=1
	s_delay_alu instid0(VALU_DEP_2) | instskip(NEXT) | instid1(VALU_DEP_1)
	v_clz_i32_u32_e32 v67, v28
	v_min_u32_e32 v67, 32, v67
	s_delay_alu instid0(VALU_DEP_1) | instskip(NEXT) | instid1(VALU_DEP_1)
	v_subrev_nc_u32_e32 v69, 28, v67
	v_lshlrev_b64_e32 v[70:71], v69, v[28:29]
	s_delay_alu instid0(VALU_DEP_1)
	v_dual_sub_nc_u32 v67, 29, v67 :: v_dual_bitop2_b32 v28, 7, v70 bitop3:0x40
; %bb.182:                              ;   in Loop: Header=BB312_12 Depth=1
	s_or_b32 exec_lo, exec_lo, s45
	v_lshlrev_b32_e32 v69, 24, v68
	s_delay_alu instid0(VALU_DEP_2) | instskip(NEXT) | instid1(VALU_DEP_3)
	v_lshlrev_b32_e32 v28, 20, v28
	v_lshl_add_u32 v67, v67, 23, 0x3c000000
	s_delay_alu instid0(VALU_DEP_3) | instskip(NEXT) | instid1(VALU_DEP_1)
	v_and_b32_e32 v69, 0x80000000, v69
	v_or3_b32 v67, v28, v69, v67
.LBB312_183:                            ;   in Loop: Header=BB312_12 Depth=1
	s_or_b32 exec_lo, exec_lo, s44
.LBB312_184:                            ;   in Loop: Header=BB312_12 Depth=1
	s_delay_alu instid0(SALU_CYCLE_1)
	s_or_b32 exec_lo, exec_lo, s43
.LBB312_185:                            ;   in Loop: Header=BB312_12 Depth=1
	s_delay_alu instid0(SALU_CYCLE_1) | instskip(SKIP_2) | instid1(VALU_DEP_1)
	s_or_b32 exec_lo, exec_lo, s42
	v_lshrrev_b16 v28, 8, v68
	s_mov_b32 s42, exec_lo
	v_cmpx_ne_u16_e32 0, v28
	s_cbranch_execz .LBB312_193
; %bb.186:                              ;   in Loop: Header=BB312_12 Depth=1
	v_bfrev_b32_e32 v66, 1
	s_mov_b32 s43, exec_lo
	v_cmpx_ne_u16_e32 0x80, v28
	s_cbranch_execz .LBB312_192
; %bb.187:                              ;   in Loop: Header=BB312_12 Depth=1
	v_and_b32_e32 v28, 0xffff, v28
	v_mov_b32_e32 v66, 0x7f800001
	s_mov_b32 s44, exec_lo
	s_delay_alu instid0(VALU_DEP_2) | instskip(NEXT) | instid1(VALU_DEP_1)
	v_and_b32_e32 v69, 0x7f, v28
	v_cmpx_ne_u32_e32 0x7f, v69
	s_cbranch_execz .LBB312_191
; %bb.188:                              ;   in Loop: Header=BB312_12 Depth=1
	v_dual_lshrrev_b32 v66, 3, v69 :: v_dual_bitop2_b32 v28, 7, v28 bitop3:0x40
	s_mov_b32 s45, exec_lo
	v_cmpx_gt_u32_e32 8, v69
; %bb.189:                              ;   in Loop: Header=BB312_12 Depth=1
	s_delay_alu instid0(VALU_DEP_2) | instskip(NEXT) | instid1(VALU_DEP_1)
	v_clz_i32_u32_e32 v66, v28
	v_min_u32_e32 v66, 32, v66
	s_delay_alu instid0(VALU_DEP_1) | instskip(SKIP_1) | instid1(VALU_DEP_2)
	v_subrev_nc_u32_e32 v69, 28, v66
	v_sub_nc_u32_e32 v66, 29, v66
	v_lshlrev_b64_e32 v[70:71], v69, v[28:29]
	s_delay_alu instid0(VALU_DEP_1)
	v_and_b32_e32 v28, 7, v70
; %bb.190:                              ;   in Loop: Header=BB312_12 Depth=1
	s_or_b32 exec_lo, exec_lo, s45
	v_lshlrev_b32_e32 v68, 16, v68
	s_delay_alu instid0(VALU_DEP_2) | instskip(SKIP_1) | instid1(VALU_DEP_3)
	v_lshlrev_b32_e32 v28, 20, v28
	v_lshl_add_u32 v66, v66, 23, 0x3c000000
	v_and_b32_e32 v68, 0x80000000, v68
	s_delay_alu instid0(VALU_DEP_1)
	v_or3_b32 v66, v28, v68, v66
.LBB312_191:                            ;   in Loop: Header=BB312_12 Depth=1
	s_or_b32 exec_lo, exec_lo, s44
.LBB312_192:                            ;   in Loop: Header=BB312_12 Depth=1
	s_delay_alu instid0(SALU_CYCLE_1)
	s_or_b32 exec_lo, exec_lo, s43
.LBB312_193:                            ;   in Loop: Header=BB312_12 Depth=1
	s_delay_alu instid0(SALU_CYCLE_1)
	s_or_b32 exec_lo, exec_lo, s42
	global_load_u16 v28, v[36:37], off offset:648
	v_mov_b32_e32 v68, 0
	s_wait_loadcnt 0x0
	v_and_b32_e32 v69, 0xff, v28
	v_and_b32_e32 v70, 0xffff, v28
	s_delay_alu instid0(VALU_DEP_2)
	v_cmp_ne_u16_e64 s4, 0, v69
	v_mov_b32_e32 v69, 0
	s_and_saveexec_b32 s42, s4
	s_cbranch_execz .LBB312_201
; %bb.194:                              ;   in Loop: Header=BB312_12 Depth=1
	v_and_b32_e32 v28, 0xff, v70
	v_bfrev_b32_e32 v69, 1
	s_mov_b32 s43, exec_lo
	s_delay_alu instid0(VALU_DEP_2)
	v_cmpx_ne_u16_e32 0x80, v28
	s_cbranch_execz .LBB312_200
; %bb.195:                              ;   in Loop: Header=BB312_12 Depth=1
	v_and_b32_e32 v71, 0x7f, v70
	v_mov_b32_e32 v69, 0x7f800001
	s_mov_b32 s44, exec_lo
	s_delay_alu instid0(VALU_DEP_2)
	v_cmpx_ne_u32_e32 0x7f, v71
	s_cbranch_execz .LBB312_199
; %bb.196:                              ;   in Loop: Header=BB312_12 Depth=1
	v_dual_lshrrev_b32 v69, 3, v71 :: v_dual_bitop2_b32 v28, 7, v70 bitop3:0x40
	s_mov_b32 s45, exec_lo
	v_cmpx_gt_u32_e32 8, v71
; %bb.197:                              ;   in Loop: Header=BB312_12 Depth=1
	s_delay_alu instid0(VALU_DEP_2) | instskip(NEXT) | instid1(VALU_DEP_1)
	v_clz_i32_u32_e32 v69, v28
	v_min_u32_e32 v69, 32, v69
	s_delay_alu instid0(VALU_DEP_1) | instskip(NEXT) | instid1(VALU_DEP_1)
	v_subrev_nc_u32_e32 v71, 28, v69
	v_lshlrev_b64_e32 v[72:73], v71, v[28:29]
	s_delay_alu instid0(VALU_DEP_1)
	v_dual_sub_nc_u32 v69, 29, v69 :: v_dual_bitop2_b32 v28, 7, v72 bitop3:0x40
; %bb.198:                              ;   in Loop: Header=BB312_12 Depth=1
	s_or_b32 exec_lo, exec_lo, s45
	s_delay_alu instid0(VALU_DEP_1) | instskip(NEXT) | instid1(VALU_DEP_2)
	v_dual_lshlrev_b32 v71, 24, v70 :: v_dual_lshlrev_b32 v28, 20, v28
	v_lshl_add_u32 v69, v69, 23, 0x3c000000
	s_delay_alu instid0(VALU_DEP_2) | instskip(NEXT) | instid1(VALU_DEP_1)
	v_and_b32_e32 v71, 0x80000000, v71
	v_or3_b32 v69, v28, v71, v69
.LBB312_199:                            ;   in Loop: Header=BB312_12 Depth=1
	s_or_b32 exec_lo, exec_lo, s44
.LBB312_200:                            ;   in Loop: Header=BB312_12 Depth=1
	s_delay_alu instid0(SALU_CYCLE_1)
	s_or_b32 exec_lo, exec_lo, s43
.LBB312_201:                            ;   in Loop: Header=BB312_12 Depth=1
	s_delay_alu instid0(SALU_CYCLE_1) | instskip(SKIP_2) | instid1(VALU_DEP_1)
	s_or_b32 exec_lo, exec_lo, s42
	v_lshrrev_b16 v28, 8, v70
	s_mov_b32 s42, exec_lo
	v_cmpx_ne_u16_e32 0, v28
	s_cbranch_execz .LBB312_209
; %bb.202:                              ;   in Loop: Header=BB312_12 Depth=1
	v_bfrev_b32_e32 v68, 1
	s_mov_b32 s43, exec_lo
	v_cmpx_ne_u16_e32 0x80, v28
	s_cbranch_execz .LBB312_208
; %bb.203:                              ;   in Loop: Header=BB312_12 Depth=1
	v_and_b32_e32 v28, 0xffff, v28
	v_mov_b32_e32 v68, 0x7f800001
	s_mov_b32 s44, exec_lo
	s_delay_alu instid0(VALU_DEP_2) | instskip(NEXT) | instid1(VALU_DEP_1)
	v_and_b32_e32 v71, 0x7f, v28
	v_cmpx_ne_u32_e32 0x7f, v71
	s_cbranch_execz .LBB312_207
; %bb.204:                              ;   in Loop: Header=BB312_12 Depth=1
	v_dual_lshrrev_b32 v68, 3, v71 :: v_dual_bitop2_b32 v28, 7, v28 bitop3:0x40
	s_mov_b32 s45, exec_lo
	v_cmpx_gt_u32_e32 8, v71
; %bb.205:                              ;   in Loop: Header=BB312_12 Depth=1
	s_delay_alu instid0(VALU_DEP_2) | instskip(NEXT) | instid1(VALU_DEP_1)
	v_clz_i32_u32_e32 v68, v28
	v_min_u32_e32 v68, 32, v68
	s_delay_alu instid0(VALU_DEP_1) | instskip(SKIP_1) | instid1(VALU_DEP_2)
	v_subrev_nc_u32_e32 v71, 28, v68
	v_sub_nc_u32_e32 v68, 29, v68
	v_lshlrev_b64_e32 v[72:73], v71, v[28:29]
	s_delay_alu instid0(VALU_DEP_1)
	v_and_b32_e32 v28, 7, v72
; %bb.206:                              ;   in Loop: Header=BB312_12 Depth=1
	s_or_b32 exec_lo, exec_lo, s45
	s_delay_alu instid0(VALU_DEP_1) | instskip(SKIP_1) | instid1(VALU_DEP_2)
	v_dual_lshlrev_b32 v70, 16, v70 :: v_dual_lshlrev_b32 v28, 20, v28
	v_lshl_add_u32 v68, v68, 23, 0x3c000000
	v_and_b32_e32 v70, 0x80000000, v70
	s_delay_alu instid0(VALU_DEP_1)
	v_or3_b32 v68, v28, v70, v68
.LBB312_207:                            ;   in Loop: Header=BB312_12 Depth=1
	s_or_b32 exec_lo, exec_lo, s44
.LBB312_208:                            ;   in Loop: Header=BB312_12 Depth=1
	s_delay_alu instid0(SALU_CYCLE_1)
	s_or_b32 exec_lo, exec_lo, s43
.LBB312_209:                            ;   in Loop: Header=BB312_12 Depth=1
	s_delay_alu instid0(SALU_CYCLE_1)
	s_or_b32 exec_lo, exec_lo, s42
	global_load_u16 v28, v[36:37], off offset:768
	v_mov_b32_e32 v70, 0
	s_wait_loadcnt 0x0
	v_and_b32_e32 v71, 0xff, v28
	v_and_b32_e32 v72, 0xffff, v28
	s_delay_alu instid0(VALU_DEP_2)
	v_cmp_ne_u16_e64 s4, 0, v71
	v_mov_b32_e32 v71, 0
	s_and_saveexec_b32 s42, s4
	s_cbranch_execz .LBB312_217
; %bb.210:                              ;   in Loop: Header=BB312_12 Depth=1
	v_and_b32_e32 v28, 0xff, v72
	v_bfrev_b32_e32 v71, 1
	s_mov_b32 s43, exec_lo
	s_delay_alu instid0(VALU_DEP_2)
	v_cmpx_ne_u16_e32 0x80, v28
	s_cbranch_execz .LBB312_216
; %bb.211:                              ;   in Loop: Header=BB312_12 Depth=1
	v_and_b32_e32 v73, 0x7f, v72
	v_mov_b32_e32 v71, 0x7f800001
	s_mov_b32 s44, exec_lo
	s_delay_alu instid0(VALU_DEP_2)
	v_cmpx_ne_u32_e32 0x7f, v73
	s_cbranch_execz .LBB312_215
; %bb.212:                              ;   in Loop: Header=BB312_12 Depth=1
	v_dual_lshrrev_b32 v71, 3, v73 :: v_dual_bitop2_b32 v28, 7, v72 bitop3:0x40
	s_mov_b32 s45, exec_lo
	v_cmpx_gt_u32_e32 8, v73
; %bb.213:                              ;   in Loop: Header=BB312_12 Depth=1
	s_delay_alu instid0(VALU_DEP_2) | instskip(NEXT) | instid1(VALU_DEP_1)
	v_clz_i32_u32_e32 v71, v28
	v_min_u32_e32 v71, 32, v71
	s_delay_alu instid0(VALU_DEP_1) | instskip(NEXT) | instid1(VALU_DEP_1)
	v_subrev_nc_u32_e32 v73, 28, v71
	v_lshlrev_b64_e32 v[74:75], v73, v[28:29]
	s_delay_alu instid0(VALU_DEP_1)
	v_dual_sub_nc_u32 v71, 29, v71 :: v_dual_bitop2_b32 v28, 7, v74 bitop3:0x40
; %bb.214:                              ;   in Loop: Header=BB312_12 Depth=1
	s_or_b32 exec_lo, exec_lo, s45
	v_lshlrev_b32_e32 v73, 24, v72
	s_delay_alu instid0(VALU_DEP_2) | instskip(NEXT) | instid1(VALU_DEP_3)
	v_lshlrev_b32_e32 v28, 20, v28
	v_lshl_add_u32 v71, v71, 23, 0x3c000000
	s_delay_alu instid0(VALU_DEP_3) | instskip(NEXT) | instid1(VALU_DEP_1)
	v_and_b32_e32 v73, 0x80000000, v73
	v_or3_b32 v71, v28, v73, v71
.LBB312_215:                            ;   in Loop: Header=BB312_12 Depth=1
	s_or_b32 exec_lo, exec_lo, s44
.LBB312_216:                            ;   in Loop: Header=BB312_12 Depth=1
	s_delay_alu instid0(SALU_CYCLE_1)
	s_or_b32 exec_lo, exec_lo, s43
.LBB312_217:                            ;   in Loop: Header=BB312_12 Depth=1
	s_delay_alu instid0(SALU_CYCLE_1) | instskip(SKIP_2) | instid1(VALU_DEP_1)
	s_or_b32 exec_lo, exec_lo, s42
	v_lshrrev_b16 v28, 8, v72
	s_mov_b32 s42, exec_lo
	v_cmpx_ne_u16_e32 0, v28
	s_cbranch_execz .LBB312_225
; %bb.218:                              ;   in Loop: Header=BB312_12 Depth=1
	v_bfrev_b32_e32 v70, 1
	s_mov_b32 s43, exec_lo
	v_cmpx_ne_u16_e32 0x80, v28
	s_cbranch_execz .LBB312_224
; %bb.219:                              ;   in Loop: Header=BB312_12 Depth=1
	v_and_b32_e32 v28, 0xffff, v28
	v_mov_b32_e32 v70, 0x7f800001
	s_mov_b32 s44, exec_lo
	s_delay_alu instid0(VALU_DEP_2) | instskip(NEXT) | instid1(VALU_DEP_1)
	v_and_b32_e32 v73, 0x7f, v28
	v_cmpx_ne_u32_e32 0x7f, v73
	s_cbranch_execz .LBB312_223
; %bb.220:                              ;   in Loop: Header=BB312_12 Depth=1
	v_dual_lshrrev_b32 v70, 3, v73 :: v_dual_bitop2_b32 v28, 7, v28 bitop3:0x40
	s_mov_b32 s45, exec_lo
	v_cmpx_gt_u32_e32 8, v73
; %bb.221:                              ;   in Loop: Header=BB312_12 Depth=1
	s_delay_alu instid0(VALU_DEP_2) | instskip(NEXT) | instid1(VALU_DEP_1)
	v_clz_i32_u32_e32 v70, v28
	v_min_u32_e32 v70, 32, v70
	s_delay_alu instid0(VALU_DEP_1) | instskip(SKIP_1) | instid1(VALU_DEP_2)
	v_subrev_nc_u32_e32 v73, 28, v70
	v_sub_nc_u32_e32 v70, 29, v70
	v_lshlrev_b64_e32 v[74:75], v73, v[28:29]
	s_delay_alu instid0(VALU_DEP_1)
	v_and_b32_e32 v28, 7, v74
; %bb.222:                              ;   in Loop: Header=BB312_12 Depth=1
	s_or_b32 exec_lo, exec_lo, s45
	v_lshlrev_b32_e32 v72, 16, v72
	s_delay_alu instid0(VALU_DEP_2) | instskip(SKIP_1) | instid1(VALU_DEP_3)
	v_lshlrev_b32_e32 v28, 20, v28
	v_lshl_add_u32 v70, v70, 23, 0x3c000000
	v_and_b32_e32 v72, 0x80000000, v72
	s_delay_alu instid0(VALU_DEP_1)
	v_or3_b32 v70, v28, v72, v70
.LBB312_223:                            ;   in Loop: Header=BB312_12 Depth=1
	s_or_b32 exec_lo, exec_lo, s44
.LBB312_224:                            ;   in Loop: Header=BB312_12 Depth=1
	s_delay_alu instid0(SALU_CYCLE_1)
	s_or_b32 exec_lo, exec_lo, s43
.LBB312_225:                            ;   in Loop: Header=BB312_12 Depth=1
	s_delay_alu instid0(SALU_CYCLE_1)
	s_or_b32 exec_lo, exec_lo, s42
	global_load_u16 v28, v[36:37], off offset:776
	v_mov_b32_e32 v72, 0
	s_wait_loadcnt 0x0
	v_and_b32_e32 v73, 0xff, v28
	v_and_b32_e32 v74, 0xffff, v28
	s_delay_alu instid0(VALU_DEP_2)
	v_cmp_ne_u16_e64 s4, 0, v73
	v_mov_b32_e32 v73, 0
	s_and_saveexec_b32 s42, s4
	s_cbranch_execz .LBB312_233
; %bb.226:                              ;   in Loop: Header=BB312_12 Depth=1
	v_and_b32_e32 v28, 0xff, v74
	v_bfrev_b32_e32 v73, 1
	s_mov_b32 s43, exec_lo
	s_delay_alu instid0(VALU_DEP_2)
	v_cmpx_ne_u16_e32 0x80, v28
	s_cbranch_execz .LBB312_232
; %bb.227:                              ;   in Loop: Header=BB312_12 Depth=1
	v_and_b32_e32 v75, 0x7f, v74
	v_mov_b32_e32 v73, 0x7f800001
	s_mov_b32 s44, exec_lo
	s_delay_alu instid0(VALU_DEP_2)
	v_cmpx_ne_u32_e32 0x7f, v75
	s_cbranch_execz .LBB312_231
; %bb.228:                              ;   in Loop: Header=BB312_12 Depth=1
	v_dual_lshrrev_b32 v73, 3, v75 :: v_dual_bitop2_b32 v28, 7, v74 bitop3:0x40
	s_mov_b32 s45, exec_lo
	v_cmpx_gt_u32_e32 8, v75
; %bb.229:                              ;   in Loop: Header=BB312_12 Depth=1
	s_delay_alu instid0(VALU_DEP_2) | instskip(NEXT) | instid1(VALU_DEP_1)
	v_clz_i32_u32_e32 v73, v28
	v_min_u32_e32 v73, 32, v73
	s_delay_alu instid0(VALU_DEP_1) | instskip(NEXT) | instid1(VALU_DEP_1)
	v_subrev_nc_u32_e32 v75, 28, v73
	v_lshlrev_b64_e32 v[76:77], v75, v[28:29]
	s_delay_alu instid0(VALU_DEP_1)
	v_dual_sub_nc_u32 v73, 29, v73 :: v_dual_bitop2_b32 v28, 7, v76 bitop3:0x40
; %bb.230:                              ;   in Loop: Header=BB312_12 Depth=1
	s_or_b32 exec_lo, exec_lo, s45
	s_delay_alu instid0(VALU_DEP_1) | instskip(NEXT) | instid1(VALU_DEP_2)
	v_dual_lshlrev_b32 v75, 24, v74 :: v_dual_lshlrev_b32 v28, 20, v28
	v_lshl_add_u32 v73, v73, 23, 0x3c000000
	s_delay_alu instid0(VALU_DEP_2) | instskip(NEXT) | instid1(VALU_DEP_1)
	v_and_b32_e32 v75, 0x80000000, v75
	v_or3_b32 v73, v28, v75, v73
.LBB312_231:                            ;   in Loop: Header=BB312_12 Depth=1
	s_or_b32 exec_lo, exec_lo, s44
.LBB312_232:                            ;   in Loop: Header=BB312_12 Depth=1
	s_delay_alu instid0(SALU_CYCLE_1)
	s_or_b32 exec_lo, exec_lo, s43
.LBB312_233:                            ;   in Loop: Header=BB312_12 Depth=1
	s_delay_alu instid0(SALU_CYCLE_1) | instskip(SKIP_2) | instid1(VALU_DEP_1)
	s_or_b32 exec_lo, exec_lo, s42
	v_lshrrev_b16 v28, 8, v74
	s_mov_b32 s42, exec_lo
	v_cmpx_ne_u16_e32 0, v28
	s_cbranch_execz .LBB312_241
; %bb.234:                              ;   in Loop: Header=BB312_12 Depth=1
	v_bfrev_b32_e32 v72, 1
	s_mov_b32 s43, exec_lo
	v_cmpx_ne_u16_e32 0x80, v28
	s_cbranch_execz .LBB312_240
; %bb.235:                              ;   in Loop: Header=BB312_12 Depth=1
	v_and_b32_e32 v28, 0xffff, v28
	v_mov_b32_e32 v72, 0x7f800001
	s_mov_b32 s44, exec_lo
	s_delay_alu instid0(VALU_DEP_2) | instskip(NEXT) | instid1(VALU_DEP_1)
	v_and_b32_e32 v75, 0x7f, v28
	v_cmpx_ne_u32_e32 0x7f, v75
	s_cbranch_execz .LBB312_239
; %bb.236:                              ;   in Loop: Header=BB312_12 Depth=1
	v_dual_lshrrev_b32 v72, 3, v75 :: v_dual_bitop2_b32 v28, 7, v28 bitop3:0x40
	s_mov_b32 s45, exec_lo
	v_cmpx_gt_u32_e32 8, v75
; %bb.237:                              ;   in Loop: Header=BB312_12 Depth=1
	s_delay_alu instid0(VALU_DEP_2) | instskip(NEXT) | instid1(VALU_DEP_1)
	v_clz_i32_u32_e32 v72, v28
	v_min_u32_e32 v72, 32, v72
	s_delay_alu instid0(VALU_DEP_1) | instskip(SKIP_1) | instid1(VALU_DEP_2)
	v_subrev_nc_u32_e32 v75, 28, v72
	v_sub_nc_u32_e32 v72, 29, v72
	v_lshlrev_b64_e32 v[76:77], v75, v[28:29]
	s_delay_alu instid0(VALU_DEP_1)
	v_and_b32_e32 v28, 7, v76
; %bb.238:                              ;   in Loop: Header=BB312_12 Depth=1
	s_or_b32 exec_lo, exec_lo, s45
	s_delay_alu instid0(VALU_DEP_1) | instskip(SKIP_1) | instid1(VALU_DEP_2)
	v_dual_lshlrev_b32 v74, 16, v74 :: v_dual_lshlrev_b32 v28, 20, v28
	v_lshl_add_u32 v72, v72, 23, 0x3c000000
	v_and_b32_e32 v74, 0x80000000, v74
	s_delay_alu instid0(VALU_DEP_1)
	v_or3_b32 v72, v28, v74, v72
.LBB312_239:                            ;   in Loop: Header=BB312_12 Depth=1
	s_or_b32 exec_lo, exec_lo, s44
.LBB312_240:                            ;   in Loop: Header=BB312_12 Depth=1
	s_delay_alu instid0(SALU_CYCLE_1)
	s_or_b32 exec_lo, exec_lo, s43
.LBB312_241:                            ;   in Loop: Header=BB312_12 Depth=1
	s_delay_alu instid0(SALU_CYCLE_1)
	s_or_b32 exec_lo, exec_lo, s42
	global_load_u16 v28, v[36:37], off offset:896
	v_mov_b32_e32 v74, 0
	s_wait_loadcnt 0x0
	v_and_b32_e32 v75, 0xff, v28
	v_and_b32_e32 v76, 0xffff, v28
	s_delay_alu instid0(VALU_DEP_2)
	v_cmp_ne_u16_e64 s4, 0, v75
	v_mov_b32_e32 v75, 0
	s_and_saveexec_b32 s42, s4
	s_cbranch_execz .LBB312_249
; %bb.242:                              ;   in Loop: Header=BB312_12 Depth=1
	v_and_b32_e32 v28, 0xff, v76
	v_bfrev_b32_e32 v75, 1
	s_mov_b32 s43, exec_lo
	s_delay_alu instid0(VALU_DEP_2)
	v_cmpx_ne_u16_e32 0x80, v28
	s_cbranch_execz .LBB312_248
; %bb.243:                              ;   in Loop: Header=BB312_12 Depth=1
	v_and_b32_e32 v77, 0x7f, v76
	v_mov_b32_e32 v75, 0x7f800001
	s_mov_b32 s44, exec_lo
	s_delay_alu instid0(VALU_DEP_2)
	v_cmpx_ne_u32_e32 0x7f, v77
	s_cbranch_execz .LBB312_247
; %bb.244:                              ;   in Loop: Header=BB312_12 Depth=1
	v_dual_lshrrev_b32 v75, 3, v77 :: v_dual_bitop2_b32 v28, 7, v76 bitop3:0x40
	s_mov_b32 s45, exec_lo
	v_cmpx_gt_u32_e32 8, v77
; %bb.245:                              ;   in Loop: Header=BB312_12 Depth=1
	s_delay_alu instid0(VALU_DEP_2) | instskip(NEXT) | instid1(VALU_DEP_1)
	v_clz_i32_u32_e32 v75, v28
	v_min_u32_e32 v75, 32, v75
	s_delay_alu instid0(VALU_DEP_1) | instskip(NEXT) | instid1(VALU_DEP_1)
	v_subrev_nc_u32_e32 v77, 28, v75
	v_lshlrev_b64_e32 v[78:79], v77, v[28:29]
	s_delay_alu instid0(VALU_DEP_1)
	v_dual_sub_nc_u32 v75, 29, v75 :: v_dual_bitop2_b32 v28, 7, v78 bitop3:0x40
; %bb.246:                              ;   in Loop: Header=BB312_12 Depth=1
	s_or_b32 exec_lo, exec_lo, s45
	v_lshlrev_b32_e32 v77, 24, v76
	s_delay_alu instid0(VALU_DEP_2) | instskip(NEXT) | instid1(VALU_DEP_3)
	v_lshlrev_b32_e32 v28, 20, v28
	v_lshl_add_u32 v75, v75, 23, 0x3c000000
	s_delay_alu instid0(VALU_DEP_3) | instskip(NEXT) | instid1(VALU_DEP_1)
	v_and_b32_e32 v77, 0x80000000, v77
	v_or3_b32 v75, v28, v77, v75
.LBB312_247:                            ;   in Loop: Header=BB312_12 Depth=1
	s_or_b32 exec_lo, exec_lo, s44
.LBB312_248:                            ;   in Loop: Header=BB312_12 Depth=1
	s_delay_alu instid0(SALU_CYCLE_1)
	s_or_b32 exec_lo, exec_lo, s43
.LBB312_249:                            ;   in Loop: Header=BB312_12 Depth=1
	s_delay_alu instid0(SALU_CYCLE_1) | instskip(SKIP_2) | instid1(VALU_DEP_1)
	s_or_b32 exec_lo, exec_lo, s42
	v_lshrrev_b16 v28, 8, v76
	s_mov_b32 s42, exec_lo
	v_cmpx_ne_u16_e32 0, v28
	s_cbranch_execz .LBB312_257
; %bb.250:                              ;   in Loop: Header=BB312_12 Depth=1
	v_bfrev_b32_e32 v74, 1
	s_mov_b32 s43, exec_lo
	v_cmpx_ne_u16_e32 0x80, v28
	s_cbranch_execz .LBB312_256
; %bb.251:                              ;   in Loop: Header=BB312_12 Depth=1
	v_and_b32_e32 v28, 0xffff, v28
	v_mov_b32_e32 v74, 0x7f800001
	s_mov_b32 s44, exec_lo
	s_delay_alu instid0(VALU_DEP_2) | instskip(NEXT) | instid1(VALU_DEP_1)
	v_and_b32_e32 v77, 0x7f, v28
	v_cmpx_ne_u32_e32 0x7f, v77
	s_cbranch_execz .LBB312_255
; %bb.252:                              ;   in Loop: Header=BB312_12 Depth=1
	v_dual_lshrrev_b32 v74, 3, v77 :: v_dual_bitop2_b32 v28, 7, v28 bitop3:0x40
	s_mov_b32 s45, exec_lo
	v_cmpx_gt_u32_e32 8, v77
; %bb.253:                              ;   in Loop: Header=BB312_12 Depth=1
	s_delay_alu instid0(VALU_DEP_2) | instskip(NEXT) | instid1(VALU_DEP_1)
	v_clz_i32_u32_e32 v74, v28
	v_min_u32_e32 v74, 32, v74
	s_delay_alu instid0(VALU_DEP_1) | instskip(SKIP_1) | instid1(VALU_DEP_2)
	v_subrev_nc_u32_e32 v77, 28, v74
	v_sub_nc_u32_e32 v74, 29, v74
	v_lshlrev_b64_e32 v[78:79], v77, v[28:29]
	s_delay_alu instid0(VALU_DEP_1)
	v_and_b32_e32 v28, 7, v78
; %bb.254:                              ;   in Loop: Header=BB312_12 Depth=1
	s_or_b32 exec_lo, exec_lo, s45
	v_lshlrev_b32_e32 v76, 16, v76
	s_delay_alu instid0(VALU_DEP_2) | instskip(SKIP_1) | instid1(VALU_DEP_3)
	v_lshlrev_b32_e32 v28, 20, v28
	v_lshl_add_u32 v74, v74, 23, 0x3c000000
	v_and_b32_e32 v76, 0x80000000, v76
	s_delay_alu instid0(VALU_DEP_1)
	v_or3_b32 v74, v28, v76, v74
.LBB312_255:                            ;   in Loop: Header=BB312_12 Depth=1
	s_or_b32 exec_lo, exec_lo, s44
.LBB312_256:                            ;   in Loop: Header=BB312_12 Depth=1
	s_delay_alu instid0(SALU_CYCLE_1)
	s_or_b32 exec_lo, exec_lo, s43
.LBB312_257:                            ;   in Loop: Header=BB312_12 Depth=1
	s_delay_alu instid0(SALU_CYCLE_1)
	s_or_b32 exec_lo, exec_lo, s42
	global_load_u16 v28, v[36:37], off offset:904
	v_mov_b32_e32 v76, 0
	s_wait_loadcnt 0x0
	v_and_b32_e32 v77, 0xff, v28
	v_and_b32_e32 v78, 0xffff, v28
	s_delay_alu instid0(VALU_DEP_2)
	v_cmp_ne_u16_e64 s4, 0, v77
	v_mov_b32_e32 v77, 0
	s_and_saveexec_b32 s42, s4
	s_cbranch_execz .LBB312_265
; %bb.258:                              ;   in Loop: Header=BB312_12 Depth=1
	v_and_b32_e32 v28, 0xff, v78
	v_bfrev_b32_e32 v77, 1
	s_mov_b32 s43, exec_lo
	s_delay_alu instid0(VALU_DEP_2)
	v_cmpx_ne_u16_e32 0x80, v28
	s_cbranch_execz .LBB312_264
; %bb.259:                              ;   in Loop: Header=BB312_12 Depth=1
	v_and_b32_e32 v79, 0x7f, v78
	v_mov_b32_e32 v77, 0x7f800001
	s_mov_b32 s44, exec_lo
	s_delay_alu instid0(VALU_DEP_2)
	v_cmpx_ne_u32_e32 0x7f, v79
	s_cbranch_execz .LBB312_263
; %bb.260:                              ;   in Loop: Header=BB312_12 Depth=1
	v_dual_lshrrev_b32 v77, 3, v79 :: v_dual_bitop2_b32 v28, 7, v78 bitop3:0x40
	s_mov_b32 s45, exec_lo
	v_cmpx_gt_u32_e32 8, v79
; %bb.261:                              ;   in Loop: Header=BB312_12 Depth=1
	s_delay_alu instid0(VALU_DEP_2) | instskip(NEXT) | instid1(VALU_DEP_1)
	v_clz_i32_u32_e32 v77, v28
	v_min_u32_e32 v77, 32, v77
	s_delay_alu instid0(VALU_DEP_1) | instskip(NEXT) | instid1(VALU_DEP_1)
	v_subrev_nc_u32_e32 v79, 28, v77
	v_lshlrev_b64_e32 v[80:81], v79, v[28:29]
	s_delay_alu instid0(VALU_DEP_1)
	v_dual_sub_nc_u32 v77, 29, v77 :: v_dual_bitop2_b32 v28, 7, v80 bitop3:0x40
; %bb.262:                              ;   in Loop: Header=BB312_12 Depth=1
	s_or_b32 exec_lo, exec_lo, s45
	s_delay_alu instid0(VALU_DEP_1) | instskip(NEXT) | instid1(VALU_DEP_2)
	v_dual_lshlrev_b32 v79, 24, v78 :: v_dual_lshlrev_b32 v28, 20, v28
	v_lshl_add_u32 v77, v77, 23, 0x3c000000
	s_delay_alu instid0(VALU_DEP_2) | instskip(NEXT) | instid1(VALU_DEP_1)
	v_and_b32_e32 v79, 0x80000000, v79
	v_or3_b32 v77, v28, v79, v77
.LBB312_263:                            ;   in Loop: Header=BB312_12 Depth=1
	s_or_b32 exec_lo, exec_lo, s44
.LBB312_264:                            ;   in Loop: Header=BB312_12 Depth=1
	s_delay_alu instid0(SALU_CYCLE_1)
	s_or_b32 exec_lo, exec_lo, s43
.LBB312_265:                            ;   in Loop: Header=BB312_12 Depth=1
	s_delay_alu instid0(SALU_CYCLE_1) | instskip(SKIP_2) | instid1(VALU_DEP_1)
	s_or_b32 exec_lo, exec_lo, s42
	v_lshrrev_b16 v28, 8, v78
	s_mov_b32 s42, exec_lo
	v_cmpx_ne_u16_e32 0, v28
	s_cbranch_execz .LBB312_273
; %bb.266:                              ;   in Loop: Header=BB312_12 Depth=1
	v_bfrev_b32_e32 v76, 1
	s_mov_b32 s43, exec_lo
	v_cmpx_ne_u16_e32 0x80, v28
	s_cbranch_execz .LBB312_272
; %bb.267:                              ;   in Loop: Header=BB312_12 Depth=1
	v_and_b32_e32 v28, 0xffff, v28
	v_mov_b32_e32 v76, 0x7f800001
	s_mov_b32 s44, exec_lo
	s_delay_alu instid0(VALU_DEP_2) | instskip(NEXT) | instid1(VALU_DEP_1)
	v_and_b32_e32 v79, 0x7f, v28
	v_cmpx_ne_u32_e32 0x7f, v79
	s_cbranch_execz .LBB312_271
; %bb.268:                              ;   in Loop: Header=BB312_12 Depth=1
	v_dual_lshrrev_b32 v76, 3, v79 :: v_dual_bitop2_b32 v28, 7, v28 bitop3:0x40
	s_mov_b32 s45, exec_lo
	v_cmpx_gt_u32_e32 8, v79
; %bb.269:                              ;   in Loop: Header=BB312_12 Depth=1
	s_delay_alu instid0(VALU_DEP_2) | instskip(NEXT) | instid1(VALU_DEP_1)
	v_clz_i32_u32_e32 v76, v28
	v_min_u32_e32 v76, 32, v76
	s_delay_alu instid0(VALU_DEP_1) | instskip(SKIP_1) | instid1(VALU_DEP_2)
	v_subrev_nc_u32_e32 v79, 28, v76
	v_sub_nc_u32_e32 v76, 29, v76
	v_lshlrev_b64_e32 v[80:81], v79, v[28:29]
	s_delay_alu instid0(VALU_DEP_1)
	v_and_b32_e32 v28, 7, v80
; %bb.270:                              ;   in Loop: Header=BB312_12 Depth=1
	s_or_b32 exec_lo, exec_lo, s45
	s_delay_alu instid0(VALU_DEP_1) | instskip(SKIP_1) | instid1(VALU_DEP_2)
	v_dual_lshlrev_b32 v78, 16, v78 :: v_dual_lshlrev_b32 v28, 20, v28
	v_lshl_add_u32 v76, v76, 23, 0x3c000000
	v_and_b32_e32 v78, 0x80000000, v78
	s_delay_alu instid0(VALU_DEP_1)
	v_or3_b32 v76, v28, v78, v76
.LBB312_271:                            ;   in Loop: Header=BB312_12 Depth=1
	s_or_b32 exec_lo, exec_lo, s44
.LBB312_272:                            ;   in Loop: Header=BB312_12 Depth=1
	s_delay_alu instid0(SALU_CYCLE_1)
	s_or_b32 exec_lo, exec_lo, s43
.LBB312_273:                            ;   in Loop: Header=BB312_12 Depth=1
	s_delay_alu instid0(SALU_CYCLE_1)
	s_or_b32 exec_lo, exec_lo, s42
	global_load_u16 v28, v[36:37], off offset:1024
	v_mov_b32_e32 v78, 0
	s_wait_loadcnt 0x0
	v_and_b32_e32 v79, 0xff, v28
	v_and_b32_e32 v80, 0xffff, v28
	s_delay_alu instid0(VALU_DEP_2)
	v_cmp_ne_u16_e64 s4, 0, v79
	v_mov_b32_e32 v79, 0
	s_and_saveexec_b32 s42, s4
	s_cbranch_execz .LBB312_281
; %bb.274:                              ;   in Loop: Header=BB312_12 Depth=1
	v_and_b32_e32 v28, 0xff, v80
	v_bfrev_b32_e32 v79, 1
	s_mov_b32 s43, exec_lo
	s_delay_alu instid0(VALU_DEP_2)
	v_cmpx_ne_u16_e32 0x80, v28
	s_cbranch_execz .LBB312_280
; %bb.275:                              ;   in Loop: Header=BB312_12 Depth=1
	v_and_b32_e32 v81, 0x7f, v80
	v_mov_b32_e32 v79, 0x7f800001
	s_mov_b32 s44, exec_lo
	s_delay_alu instid0(VALU_DEP_2)
	v_cmpx_ne_u32_e32 0x7f, v81
	s_cbranch_execz .LBB312_279
; %bb.276:                              ;   in Loop: Header=BB312_12 Depth=1
	v_dual_lshrrev_b32 v79, 3, v81 :: v_dual_bitop2_b32 v28, 7, v80 bitop3:0x40
	s_mov_b32 s45, exec_lo
	v_cmpx_gt_u32_e32 8, v81
; %bb.277:                              ;   in Loop: Header=BB312_12 Depth=1
	s_delay_alu instid0(VALU_DEP_2) | instskip(NEXT) | instid1(VALU_DEP_1)
	v_clz_i32_u32_e32 v79, v28
	v_min_u32_e32 v79, 32, v79
	s_delay_alu instid0(VALU_DEP_1) | instskip(NEXT) | instid1(VALU_DEP_1)
	v_subrev_nc_u32_e32 v81, 28, v79
	v_lshlrev_b64_e32 v[82:83], v81, v[28:29]
	s_delay_alu instid0(VALU_DEP_1)
	v_dual_sub_nc_u32 v79, 29, v79 :: v_dual_bitop2_b32 v28, 7, v82 bitop3:0x40
; %bb.278:                              ;   in Loop: Header=BB312_12 Depth=1
	s_or_b32 exec_lo, exec_lo, s45
	v_lshlrev_b32_e32 v81, 24, v80
	s_delay_alu instid0(VALU_DEP_2) | instskip(NEXT) | instid1(VALU_DEP_3)
	v_lshlrev_b32_e32 v28, 20, v28
	v_lshl_add_u32 v79, v79, 23, 0x3c000000
	s_delay_alu instid0(VALU_DEP_3) | instskip(NEXT) | instid1(VALU_DEP_1)
	v_and_b32_e32 v81, 0x80000000, v81
	v_or3_b32 v79, v28, v81, v79
.LBB312_279:                            ;   in Loop: Header=BB312_12 Depth=1
	s_or_b32 exec_lo, exec_lo, s44
.LBB312_280:                            ;   in Loop: Header=BB312_12 Depth=1
	s_delay_alu instid0(SALU_CYCLE_1)
	s_or_b32 exec_lo, exec_lo, s43
.LBB312_281:                            ;   in Loop: Header=BB312_12 Depth=1
	s_delay_alu instid0(SALU_CYCLE_1) | instskip(SKIP_2) | instid1(VALU_DEP_1)
	s_or_b32 exec_lo, exec_lo, s42
	v_lshrrev_b16 v28, 8, v80
	s_mov_b32 s42, exec_lo
	v_cmpx_ne_u16_e32 0, v28
	s_cbranch_execz .LBB312_289
; %bb.282:                              ;   in Loop: Header=BB312_12 Depth=1
	v_bfrev_b32_e32 v78, 1
	s_mov_b32 s43, exec_lo
	v_cmpx_ne_u16_e32 0x80, v28
	s_cbranch_execz .LBB312_288
; %bb.283:                              ;   in Loop: Header=BB312_12 Depth=1
	v_and_b32_e32 v28, 0xffff, v28
	v_mov_b32_e32 v78, 0x7f800001
	s_mov_b32 s44, exec_lo
	s_delay_alu instid0(VALU_DEP_2) | instskip(NEXT) | instid1(VALU_DEP_1)
	v_and_b32_e32 v81, 0x7f, v28
	v_cmpx_ne_u32_e32 0x7f, v81
	s_cbranch_execz .LBB312_287
; %bb.284:                              ;   in Loop: Header=BB312_12 Depth=1
	v_dual_lshrrev_b32 v78, 3, v81 :: v_dual_bitop2_b32 v28, 7, v28 bitop3:0x40
	s_mov_b32 s45, exec_lo
	v_cmpx_gt_u32_e32 8, v81
; %bb.285:                              ;   in Loop: Header=BB312_12 Depth=1
	s_delay_alu instid0(VALU_DEP_2) | instskip(NEXT) | instid1(VALU_DEP_1)
	v_clz_i32_u32_e32 v78, v28
	v_min_u32_e32 v78, 32, v78
	s_delay_alu instid0(VALU_DEP_1) | instskip(SKIP_1) | instid1(VALU_DEP_2)
	v_subrev_nc_u32_e32 v81, 28, v78
	v_sub_nc_u32_e32 v78, 29, v78
	v_lshlrev_b64_e32 v[82:83], v81, v[28:29]
	s_delay_alu instid0(VALU_DEP_1)
	v_and_b32_e32 v28, 7, v82
; %bb.286:                              ;   in Loop: Header=BB312_12 Depth=1
	s_or_b32 exec_lo, exec_lo, s45
	v_lshlrev_b32_e32 v80, 16, v80
	s_delay_alu instid0(VALU_DEP_2) | instskip(SKIP_1) | instid1(VALU_DEP_3)
	v_lshlrev_b32_e32 v28, 20, v28
	v_lshl_add_u32 v78, v78, 23, 0x3c000000
	v_and_b32_e32 v80, 0x80000000, v80
	s_delay_alu instid0(VALU_DEP_1)
	v_or3_b32 v78, v28, v80, v78
.LBB312_287:                            ;   in Loop: Header=BB312_12 Depth=1
	s_or_b32 exec_lo, exec_lo, s44
.LBB312_288:                            ;   in Loop: Header=BB312_12 Depth=1
	s_delay_alu instid0(SALU_CYCLE_1)
	s_or_b32 exec_lo, exec_lo, s43
.LBB312_289:                            ;   in Loop: Header=BB312_12 Depth=1
	s_delay_alu instid0(SALU_CYCLE_1)
	s_or_b32 exec_lo, exec_lo, s42
	global_load_u16 v28, v[36:37], off offset:1032
	v_mov_b32_e32 v80, 0
	s_wait_loadcnt 0x0
	v_and_b32_e32 v81, 0xff, v28
	v_and_b32_e32 v82, 0xffff, v28
	s_delay_alu instid0(VALU_DEP_2)
	v_cmp_ne_u16_e64 s4, 0, v81
	v_mov_b32_e32 v81, 0
	s_and_saveexec_b32 s42, s4
	s_cbranch_execz .LBB312_297
; %bb.290:                              ;   in Loop: Header=BB312_12 Depth=1
	v_and_b32_e32 v28, 0xff, v82
	v_bfrev_b32_e32 v81, 1
	s_mov_b32 s43, exec_lo
	s_delay_alu instid0(VALU_DEP_2)
	v_cmpx_ne_u16_e32 0x80, v28
	s_cbranch_execz .LBB312_296
; %bb.291:                              ;   in Loop: Header=BB312_12 Depth=1
	v_and_b32_e32 v83, 0x7f, v82
	v_mov_b32_e32 v81, 0x7f800001
	s_mov_b32 s44, exec_lo
	s_delay_alu instid0(VALU_DEP_2)
	v_cmpx_ne_u32_e32 0x7f, v83
	s_cbranch_execz .LBB312_295
; %bb.292:                              ;   in Loop: Header=BB312_12 Depth=1
	v_dual_lshrrev_b32 v81, 3, v83 :: v_dual_bitop2_b32 v28, 7, v82 bitop3:0x40
	s_mov_b32 s45, exec_lo
	v_cmpx_gt_u32_e32 8, v83
; %bb.293:                              ;   in Loop: Header=BB312_12 Depth=1
	s_delay_alu instid0(VALU_DEP_2) | instskip(NEXT) | instid1(VALU_DEP_1)
	v_clz_i32_u32_e32 v81, v28
	v_min_u32_e32 v81, 32, v81
	s_delay_alu instid0(VALU_DEP_1) | instskip(NEXT) | instid1(VALU_DEP_1)
	v_subrev_nc_u32_e32 v83, 28, v81
	v_lshlrev_b64_e32 v[84:85], v83, v[28:29]
	s_delay_alu instid0(VALU_DEP_1)
	v_dual_sub_nc_u32 v81, 29, v81 :: v_dual_bitop2_b32 v28, 7, v84 bitop3:0x40
; %bb.294:                              ;   in Loop: Header=BB312_12 Depth=1
	s_or_b32 exec_lo, exec_lo, s45
	s_delay_alu instid0(VALU_DEP_1) | instskip(NEXT) | instid1(VALU_DEP_2)
	v_dual_lshlrev_b32 v83, 24, v82 :: v_dual_lshlrev_b32 v28, 20, v28
	v_lshl_add_u32 v81, v81, 23, 0x3c000000
	s_delay_alu instid0(VALU_DEP_2) | instskip(NEXT) | instid1(VALU_DEP_1)
	v_and_b32_e32 v83, 0x80000000, v83
	v_or3_b32 v81, v28, v83, v81
.LBB312_295:                            ;   in Loop: Header=BB312_12 Depth=1
	s_or_b32 exec_lo, exec_lo, s44
.LBB312_296:                            ;   in Loop: Header=BB312_12 Depth=1
	s_delay_alu instid0(SALU_CYCLE_1)
	s_or_b32 exec_lo, exec_lo, s43
.LBB312_297:                            ;   in Loop: Header=BB312_12 Depth=1
	s_delay_alu instid0(SALU_CYCLE_1) | instskip(SKIP_2) | instid1(VALU_DEP_1)
	s_or_b32 exec_lo, exec_lo, s42
	v_lshrrev_b16 v28, 8, v82
	s_mov_b32 s42, exec_lo
	v_cmpx_ne_u16_e32 0, v28
	s_cbranch_execz .LBB312_305
; %bb.298:                              ;   in Loop: Header=BB312_12 Depth=1
	v_bfrev_b32_e32 v80, 1
	s_mov_b32 s43, exec_lo
	v_cmpx_ne_u16_e32 0x80, v28
	s_cbranch_execz .LBB312_304
; %bb.299:                              ;   in Loop: Header=BB312_12 Depth=1
	v_and_b32_e32 v28, 0xffff, v28
	v_mov_b32_e32 v80, 0x7f800001
	s_mov_b32 s44, exec_lo
	s_delay_alu instid0(VALU_DEP_2) | instskip(NEXT) | instid1(VALU_DEP_1)
	v_and_b32_e32 v83, 0x7f, v28
	v_cmpx_ne_u32_e32 0x7f, v83
	s_cbranch_execz .LBB312_303
; %bb.300:                              ;   in Loop: Header=BB312_12 Depth=1
	v_dual_lshrrev_b32 v80, 3, v83 :: v_dual_bitop2_b32 v28, 7, v28 bitop3:0x40
	s_mov_b32 s45, exec_lo
	v_cmpx_gt_u32_e32 8, v83
; %bb.301:                              ;   in Loop: Header=BB312_12 Depth=1
	s_delay_alu instid0(VALU_DEP_2) | instskip(NEXT) | instid1(VALU_DEP_1)
	v_clz_i32_u32_e32 v80, v28
	v_min_u32_e32 v80, 32, v80
	s_delay_alu instid0(VALU_DEP_1) | instskip(SKIP_1) | instid1(VALU_DEP_2)
	v_subrev_nc_u32_e32 v83, 28, v80
	v_sub_nc_u32_e32 v80, 29, v80
	v_lshlrev_b64_e32 v[84:85], v83, v[28:29]
	s_delay_alu instid0(VALU_DEP_1)
	v_and_b32_e32 v28, 7, v84
; %bb.302:                              ;   in Loop: Header=BB312_12 Depth=1
	s_or_b32 exec_lo, exec_lo, s45
	s_delay_alu instid0(VALU_DEP_1) | instskip(SKIP_1) | instid1(VALU_DEP_2)
	v_dual_lshlrev_b32 v82, 16, v82 :: v_dual_lshlrev_b32 v28, 20, v28
	v_lshl_add_u32 v80, v80, 23, 0x3c000000
	v_and_b32_e32 v82, 0x80000000, v82
	s_delay_alu instid0(VALU_DEP_1)
	v_or3_b32 v80, v28, v82, v80
.LBB312_303:                            ;   in Loop: Header=BB312_12 Depth=1
	s_or_b32 exec_lo, exec_lo, s44
.LBB312_304:                            ;   in Loop: Header=BB312_12 Depth=1
	s_delay_alu instid0(SALU_CYCLE_1)
	s_or_b32 exec_lo, exec_lo, s43
.LBB312_305:                            ;   in Loop: Header=BB312_12 Depth=1
	s_delay_alu instid0(SALU_CYCLE_1)
	s_or_b32 exec_lo, exec_lo, s42
	global_load_u16 v28, v[36:37], off offset:1152
	v_mov_b32_e32 v82, 0
	s_wait_loadcnt 0x0
	v_and_b32_e32 v83, 0xff, v28
	v_and_b32_e32 v84, 0xffff, v28
	s_delay_alu instid0(VALU_DEP_2)
	v_cmp_ne_u16_e64 s4, 0, v83
	v_mov_b32_e32 v83, 0
	s_and_saveexec_b32 s42, s4
	s_cbranch_execz .LBB312_313
; %bb.306:                              ;   in Loop: Header=BB312_12 Depth=1
	v_and_b32_e32 v28, 0xff, v84
	v_bfrev_b32_e32 v83, 1
	s_mov_b32 s43, exec_lo
	s_delay_alu instid0(VALU_DEP_2)
	v_cmpx_ne_u16_e32 0x80, v28
	s_cbranch_execz .LBB312_312
; %bb.307:                              ;   in Loop: Header=BB312_12 Depth=1
	v_and_b32_e32 v85, 0x7f, v84
	v_mov_b32_e32 v83, 0x7f800001
	s_mov_b32 s44, exec_lo
	s_delay_alu instid0(VALU_DEP_2)
	v_cmpx_ne_u32_e32 0x7f, v85
	s_cbranch_execz .LBB312_311
; %bb.308:                              ;   in Loop: Header=BB312_12 Depth=1
	v_dual_lshrrev_b32 v83, 3, v85 :: v_dual_bitop2_b32 v28, 7, v84 bitop3:0x40
	s_mov_b32 s45, exec_lo
	v_cmpx_gt_u32_e32 8, v85
; %bb.309:                              ;   in Loop: Header=BB312_12 Depth=1
	s_delay_alu instid0(VALU_DEP_2) | instskip(NEXT) | instid1(VALU_DEP_1)
	v_clz_i32_u32_e32 v83, v28
	v_min_u32_e32 v83, 32, v83
	s_delay_alu instid0(VALU_DEP_1) | instskip(NEXT) | instid1(VALU_DEP_1)
	v_subrev_nc_u32_e32 v85, 28, v83
	v_lshlrev_b64_e32 v[86:87], v85, v[28:29]
	s_delay_alu instid0(VALU_DEP_1)
	v_dual_sub_nc_u32 v83, 29, v83 :: v_dual_bitop2_b32 v28, 7, v86 bitop3:0x40
; %bb.310:                              ;   in Loop: Header=BB312_12 Depth=1
	s_or_b32 exec_lo, exec_lo, s45
	v_lshlrev_b32_e32 v85, 24, v84
	s_delay_alu instid0(VALU_DEP_2) | instskip(NEXT) | instid1(VALU_DEP_3)
	v_lshlrev_b32_e32 v28, 20, v28
	v_lshl_add_u32 v83, v83, 23, 0x3c000000
	s_delay_alu instid0(VALU_DEP_3) | instskip(NEXT) | instid1(VALU_DEP_1)
	v_and_b32_e32 v85, 0x80000000, v85
	v_or3_b32 v83, v28, v85, v83
.LBB312_311:                            ;   in Loop: Header=BB312_12 Depth=1
	s_or_b32 exec_lo, exec_lo, s44
.LBB312_312:                            ;   in Loop: Header=BB312_12 Depth=1
	s_delay_alu instid0(SALU_CYCLE_1)
	s_or_b32 exec_lo, exec_lo, s43
.LBB312_313:                            ;   in Loop: Header=BB312_12 Depth=1
	s_delay_alu instid0(SALU_CYCLE_1) | instskip(SKIP_2) | instid1(VALU_DEP_1)
	s_or_b32 exec_lo, exec_lo, s42
	v_lshrrev_b16 v28, 8, v84
	s_mov_b32 s42, exec_lo
	v_cmpx_ne_u16_e32 0, v28
	s_cbranch_execz .LBB312_321
; %bb.314:                              ;   in Loop: Header=BB312_12 Depth=1
	v_bfrev_b32_e32 v82, 1
	s_mov_b32 s43, exec_lo
	v_cmpx_ne_u16_e32 0x80, v28
	s_cbranch_execz .LBB312_320
; %bb.315:                              ;   in Loop: Header=BB312_12 Depth=1
	v_and_b32_e32 v28, 0xffff, v28
	v_mov_b32_e32 v82, 0x7f800001
	s_mov_b32 s44, exec_lo
	s_delay_alu instid0(VALU_DEP_2) | instskip(NEXT) | instid1(VALU_DEP_1)
	v_and_b32_e32 v85, 0x7f, v28
	v_cmpx_ne_u32_e32 0x7f, v85
	s_cbranch_execz .LBB312_319
; %bb.316:                              ;   in Loop: Header=BB312_12 Depth=1
	v_dual_lshrrev_b32 v82, 3, v85 :: v_dual_bitop2_b32 v28, 7, v28 bitop3:0x40
	s_mov_b32 s45, exec_lo
	v_cmpx_gt_u32_e32 8, v85
; %bb.317:                              ;   in Loop: Header=BB312_12 Depth=1
	s_delay_alu instid0(VALU_DEP_2) | instskip(NEXT) | instid1(VALU_DEP_1)
	v_clz_i32_u32_e32 v82, v28
	v_min_u32_e32 v82, 32, v82
	s_delay_alu instid0(VALU_DEP_1) | instskip(SKIP_1) | instid1(VALU_DEP_2)
	v_subrev_nc_u32_e32 v85, 28, v82
	v_sub_nc_u32_e32 v82, 29, v82
	v_lshlrev_b64_e32 v[86:87], v85, v[28:29]
	s_delay_alu instid0(VALU_DEP_1)
	v_and_b32_e32 v28, 7, v86
; %bb.318:                              ;   in Loop: Header=BB312_12 Depth=1
	s_or_b32 exec_lo, exec_lo, s45
	v_lshlrev_b32_e32 v84, 16, v84
	s_delay_alu instid0(VALU_DEP_2) | instskip(SKIP_1) | instid1(VALU_DEP_3)
	v_lshlrev_b32_e32 v28, 20, v28
	v_lshl_add_u32 v82, v82, 23, 0x3c000000
	v_and_b32_e32 v84, 0x80000000, v84
	s_delay_alu instid0(VALU_DEP_1)
	v_or3_b32 v82, v28, v84, v82
.LBB312_319:                            ;   in Loop: Header=BB312_12 Depth=1
	s_or_b32 exec_lo, exec_lo, s44
.LBB312_320:                            ;   in Loop: Header=BB312_12 Depth=1
	s_delay_alu instid0(SALU_CYCLE_1)
	s_or_b32 exec_lo, exec_lo, s43
.LBB312_321:                            ;   in Loop: Header=BB312_12 Depth=1
	s_delay_alu instid0(SALU_CYCLE_1)
	s_or_b32 exec_lo, exec_lo, s42
	global_load_u16 v28, v[36:37], off offset:1160
	v_mov_b32_e32 v84, 0
	s_wait_loadcnt 0x0
	v_and_b32_e32 v85, 0xff, v28
	v_and_b32_e32 v86, 0xffff, v28
	s_delay_alu instid0(VALU_DEP_2)
	v_cmp_ne_u16_e64 s4, 0, v85
	v_mov_b32_e32 v85, 0
	s_and_saveexec_b32 s42, s4
	s_cbranch_execz .LBB312_329
; %bb.322:                              ;   in Loop: Header=BB312_12 Depth=1
	v_and_b32_e32 v28, 0xff, v86
	v_bfrev_b32_e32 v85, 1
	s_mov_b32 s43, exec_lo
	s_delay_alu instid0(VALU_DEP_2)
	v_cmpx_ne_u16_e32 0x80, v28
	s_cbranch_execz .LBB312_328
; %bb.323:                              ;   in Loop: Header=BB312_12 Depth=1
	v_and_b32_e32 v87, 0x7f, v86
	v_mov_b32_e32 v85, 0x7f800001
	s_mov_b32 s44, exec_lo
	s_delay_alu instid0(VALU_DEP_2)
	v_cmpx_ne_u32_e32 0x7f, v87
	s_cbranch_execz .LBB312_327
; %bb.324:                              ;   in Loop: Header=BB312_12 Depth=1
	v_dual_lshrrev_b32 v85, 3, v87 :: v_dual_bitop2_b32 v28, 7, v86 bitop3:0x40
	s_mov_b32 s45, exec_lo
	v_cmpx_gt_u32_e32 8, v87
; %bb.325:                              ;   in Loop: Header=BB312_12 Depth=1
	s_delay_alu instid0(VALU_DEP_2) | instskip(NEXT) | instid1(VALU_DEP_1)
	v_clz_i32_u32_e32 v85, v28
	v_min_u32_e32 v85, 32, v85
	s_delay_alu instid0(VALU_DEP_1) | instskip(NEXT) | instid1(VALU_DEP_1)
	v_subrev_nc_u32_e32 v87, 28, v85
	v_lshlrev_b64_e32 v[88:89], v87, v[28:29]
	s_delay_alu instid0(VALU_DEP_1)
	v_dual_sub_nc_u32 v85, 29, v85 :: v_dual_bitop2_b32 v28, 7, v88 bitop3:0x40
; %bb.326:                              ;   in Loop: Header=BB312_12 Depth=1
	s_or_b32 exec_lo, exec_lo, s45
	s_delay_alu instid0(VALU_DEP_1) | instskip(NEXT) | instid1(VALU_DEP_2)
	v_dual_lshlrev_b32 v87, 24, v86 :: v_dual_lshlrev_b32 v28, 20, v28
	v_lshl_add_u32 v85, v85, 23, 0x3c000000
	s_delay_alu instid0(VALU_DEP_2) | instskip(NEXT) | instid1(VALU_DEP_1)
	v_and_b32_e32 v87, 0x80000000, v87
	v_or3_b32 v85, v28, v87, v85
.LBB312_327:                            ;   in Loop: Header=BB312_12 Depth=1
	s_or_b32 exec_lo, exec_lo, s44
.LBB312_328:                            ;   in Loop: Header=BB312_12 Depth=1
	s_delay_alu instid0(SALU_CYCLE_1)
	s_or_b32 exec_lo, exec_lo, s43
.LBB312_329:                            ;   in Loop: Header=BB312_12 Depth=1
	s_delay_alu instid0(SALU_CYCLE_1) | instskip(SKIP_2) | instid1(VALU_DEP_1)
	s_or_b32 exec_lo, exec_lo, s42
	v_lshrrev_b16 v28, 8, v86
	s_mov_b32 s42, exec_lo
	v_cmpx_ne_u16_e32 0, v28
	s_cbranch_execz .LBB312_337
; %bb.330:                              ;   in Loop: Header=BB312_12 Depth=1
	v_bfrev_b32_e32 v84, 1
	s_mov_b32 s43, exec_lo
	v_cmpx_ne_u16_e32 0x80, v28
	s_cbranch_execz .LBB312_336
; %bb.331:                              ;   in Loop: Header=BB312_12 Depth=1
	v_and_b32_e32 v28, 0xffff, v28
	v_mov_b32_e32 v84, 0x7f800001
	s_mov_b32 s44, exec_lo
	s_delay_alu instid0(VALU_DEP_2) | instskip(NEXT) | instid1(VALU_DEP_1)
	v_and_b32_e32 v87, 0x7f, v28
	v_cmpx_ne_u32_e32 0x7f, v87
	s_cbranch_execz .LBB312_335
; %bb.332:                              ;   in Loop: Header=BB312_12 Depth=1
	v_dual_lshrrev_b32 v84, 3, v87 :: v_dual_bitop2_b32 v28, 7, v28 bitop3:0x40
	s_mov_b32 s45, exec_lo
	v_cmpx_gt_u32_e32 8, v87
; %bb.333:                              ;   in Loop: Header=BB312_12 Depth=1
	s_delay_alu instid0(VALU_DEP_2) | instskip(NEXT) | instid1(VALU_DEP_1)
	v_clz_i32_u32_e32 v84, v28
	v_min_u32_e32 v84, 32, v84
	s_delay_alu instid0(VALU_DEP_1) | instskip(SKIP_1) | instid1(VALU_DEP_2)
	v_subrev_nc_u32_e32 v87, 28, v84
	v_sub_nc_u32_e32 v84, 29, v84
	v_lshlrev_b64_e32 v[88:89], v87, v[28:29]
	s_delay_alu instid0(VALU_DEP_1)
	v_and_b32_e32 v28, 7, v88
; %bb.334:                              ;   in Loop: Header=BB312_12 Depth=1
	s_or_b32 exec_lo, exec_lo, s45
	s_delay_alu instid0(VALU_DEP_1) | instskip(SKIP_1) | instid1(VALU_DEP_2)
	v_dual_lshlrev_b32 v86, 16, v86 :: v_dual_lshlrev_b32 v28, 20, v28
	v_lshl_add_u32 v84, v84, 23, 0x3c000000
	v_and_b32_e32 v86, 0x80000000, v86
	s_delay_alu instid0(VALU_DEP_1)
	v_or3_b32 v84, v28, v86, v84
.LBB312_335:                            ;   in Loop: Header=BB312_12 Depth=1
	s_or_b32 exec_lo, exec_lo, s44
.LBB312_336:                            ;   in Loop: Header=BB312_12 Depth=1
	s_delay_alu instid0(SALU_CYCLE_1)
	s_or_b32 exec_lo, exec_lo, s43
.LBB312_337:                            ;   in Loop: Header=BB312_12 Depth=1
	s_delay_alu instid0(SALU_CYCLE_1)
	s_or_b32 exec_lo, exec_lo, s42
	global_load_u16 v28, v[36:37], off offset:1280
	v_mov_b32_e32 v86, 0
	s_wait_loadcnt 0x0
	v_and_b32_e32 v87, 0xff, v28
	v_and_b32_e32 v88, 0xffff, v28
	s_delay_alu instid0(VALU_DEP_2)
	v_cmp_ne_u16_e64 s4, 0, v87
	v_mov_b32_e32 v87, 0
	s_and_saveexec_b32 s42, s4
	s_cbranch_execz .LBB312_345
; %bb.338:                              ;   in Loop: Header=BB312_12 Depth=1
	v_and_b32_e32 v28, 0xff, v88
	v_bfrev_b32_e32 v87, 1
	s_mov_b32 s43, exec_lo
	s_delay_alu instid0(VALU_DEP_2)
	v_cmpx_ne_u16_e32 0x80, v28
	s_cbranch_execz .LBB312_344
; %bb.339:                              ;   in Loop: Header=BB312_12 Depth=1
	v_and_b32_e32 v89, 0x7f, v88
	v_mov_b32_e32 v87, 0x7f800001
	s_mov_b32 s44, exec_lo
	s_delay_alu instid0(VALU_DEP_2)
	v_cmpx_ne_u32_e32 0x7f, v89
	s_cbranch_execz .LBB312_343
; %bb.340:                              ;   in Loop: Header=BB312_12 Depth=1
	v_dual_lshrrev_b32 v87, 3, v89 :: v_dual_bitop2_b32 v28, 7, v88 bitop3:0x40
	s_mov_b32 s45, exec_lo
	v_cmpx_gt_u32_e32 8, v89
; %bb.341:                              ;   in Loop: Header=BB312_12 Depth=1
	s_delay_alu instid0(VALU_DEP_2) | instskip(NEXT) | instid1(VALU_DEP_1)
	v_clz_i32_u32_e32 v87, v28
	v_min_u32_e32 v87, 32, v87
	s_delay_alu instid0(VALU_DEP_1) | instskip(NEXT) | instid1(VALU_DEP_1)
	v_subrev_nc_u32_e32 v89, 28, v87
	v_lshlrev_b64_e32 v[90:91], v89, v[28:29]
	s_delay_alu instid0(VALU_DEP_1)
	v_dual_sub_nc_u32 v87, 29, v87 :: v_dual_bitop2_b32 v28, 7, v90 bitop3:0x40
; %bb.342:                              ;   in Loop: Header=BB312_12 Depth=1
	s_or_b32 exec_lo, exec_lo, s45
	v_lshlrev_b32_e32 v89, 24, v88
	s_delay_alu instid0(VALU_DEP_2) | instskip(NEXT) | instid1(VALU_DEP_3)
	v_lshlrev_b32_e32 v28, 20, v28
	v_lshl_add_u32 v87, v87, 23, 0x3c000000
	s_delay_alu instid0(VALU_DEP_3) | instskip(NEXT) | instid1(VALU_DEP_1)
	v_and_b32_e32 v89, 0x80000000, v89
	v_or3_b32 v87, v28, v89, v87
.LBB312_343:                            ;   in Loop: Header=BB312_12 Depth=1
	s_or_b32 exec_lo, exec_lo, s44
.LBB312_344:                            ;   in Loop: Header=BB312_12 Depth=1
	s_delay_alu instid0(SALU_CYCLE_1)
	s_or_b32 exec_lo, exec_lo, s43
.LBB312_345:                            ;   in Loop: Header=BB312_12 Depth=1
	s_delay_alu instid0(SALU_CYCLE_1) | instskip(SKIP_2) | instid1(VALU_DEP_1)
	s_or_b32 exec_lo, exec_lo, s42
	v_lshrrev_b16 v28, 8, v88
	s_mov_b32 s42, exec_lo
	v_cmpx_ne_u16_e32 0, v28
	s_cbranch_execz .LBB312_353
; %bb.346:                              ;   in Loop: Header=BB312_12 Depth=1
	v_bfrev_b32_e32 v86, 1
	s_mov_b32 s43, exec_lo
	v_cmpx_ne_u16_e32 0x80, v28
	s_cbranch_execz .LBB312_352
; %bb.347:                              ;   in Loop: Header=BB312_12 Depth=1
	v_and_b32_e32 v28, 0xffff, v28
	v_mov_b32_e32 v86, 0x7f800001
	s_mov_b32 s44, exec_lo
	s_delay_alu instid0(VALU_DEP_2) | instskip(NEXT) | instid1(VALU_DEP_1)
	v_and_b32_e32 v89, 0x7f, v28
	v_cmpx_ne_u32_e32 0x7f, v89
	s_cbranch_execz .LBB312_351
; %bb.348:                              ;   in Loop: Header=BB312_12 Depth=1
	v_dual_lshrrev_b32 v86, 3, v89 :: v_dual_bitop2_b32 v28, 7, v28 bitop3:0x40
	s_mov_b32 s45, exec_lo
	v_cmpx_gt_u32_e32 8, v89
; %bb.349:                              ;   in Loop: Header=BB312_12 Depth=1
	s_delay_alu instid0(VALU_DEP_2) | instskip(NEXT) | instid1(VALU_DEP_1)
	v_clz_i32_u32_e32 v86, v28
	v_min_u32_e32 v86, 32, v86
	s_delay_alu instid0(VALU_DEP_1) | instskip(SKIP_1) | instid1(VALU_DEP_2)
	v_subrev_nc_u32_e32 v89, 28, v86
	v_sub_nc_u32_e32 v86, 29, v86
	v_lshlrev_b64_e32 v[90:91], v89, v[28:29]
	s_delay_alu instid0(VALU_DEP_1)
	v_and_b32_e32 v28, 7, v90
; %bb.350:                              ;   in Loop: Header=BB312_12 Depth=1
	s_or_b32 exec_lo, exec_lo, s45
	v_lshlrev_b32_e32 v88, 16, v88
	s_delay_alu instid0(VALU_DEP_2) | instskip(SKIP_1) | instid1(VALU_DEP_3)
	v_lshlrev_b32_e32 v28, 20, v28
	v_lshl_add_u32 v86, v86, 23, 0x3c000000
	v_and_b32_e32 v88, 0x80000000, v88
	s_delay_alu instid0(VALU_DEP_1)
	v_or3_b32 v86, v28, v88, v86
.LBB312_351:                            ;   in Loop: Header=BB312_12 Depth=1
	s_or_b32 exec_lo, exec_lo, s44
.LBB312_352:                            ;   in Loop: Header=BB312_12 Depth=1
	s_delay_alu instid0(SALU_CYCLE_1)
	s_or_b32 exec_lo, exec_lo, s43
.LBB312_353:                            ;   in Loop: Header=BB312_12 Depth=1
	s_delay_alu instid0(SALU_CYCLE_1)
	s_or_b32 exec_lo, exec_lo, s42
	global_load_u16 v28, v[36:37], off offset:1288
	v_mov_b32_e32 v88, 0
	s_wait_loadcnt 0x0
	v_and_b32_e32 v89, 0xff, v28
	v_and_b32_e32 v90, 0xffff, v28
	s_delay_alu instid0(VALU_DEP_2)
	v_cmp_ne_u16_e64 s4, 0, v89
	v_mov_b32_e32 v89, 0
	s_and_saveexec_b32 s42, s4
	s_cbranch_execz .LBB312_361
; %bb.354:                              ;   in Loop: Header=BB312_12 Depth=1
	v_and_b32_e32 v28, 0xff, v90
	v_bfrev_b32_e32 v89, 1
	s_mov_b32 s43, exec_lo
	s_delay_alu instid0(VALU_DEP_2)
	v_cmpx_ne_u16_e32 0x80, v28
	s_cbranch_execz .LBB312_360
; %bb.355:                              ;   in Loop: Header=BB312_12 Depth=1
	v_and_b32_e32 v91, 0x7f, v90
	v_mov_b32_e32 v89, 0x7f800001
	s_mov_b32 s44, exec_lo
	s_delay_alu instid0(VALU_DEP_2)
	v_cmpx_ne_u32_e32 0x7f, v91
	s_cbranch_execz .LBB312_359
; %bb.356:                              ;   in Loop: Header=BB312_12 Depth=1
	v_dual_lshrrev_b32 v89, 3, v91 :: v_dual_bitop2_b32 v28, 7, v90 bitop3:0x40
	s_mov_b32 s45, exec_lo
	v_cmpx_gt_u32_e32 8, v91
; %bb.357:                              ;   in Loop: Header=BB312_12 Depth=1
	s_delay_alu instid0(VALU_DEP_2) | instskip(NEXT) | instid1(VALU_DEP_1)
	v_clz_i32_u32_e32 v89, v28
	v_min_u32_e32 v89, 32, v89
	s_delay_alu instid0(VALU_DEP_1) | instskip(NEXT) | instid1(VALU_DEP_1)
	v_subrev_nc_u32_e32 v91, 28, v89
	v_lshlrev_b64_e32 v[92:93], v91, v[28:29]
	s_delay_alu instid0(VALU_DEP_1)
	v_dual_sub_nc_u32 v89, 29, v89 :: v_dual_bitop2_b32 v28, 7, v92 bitop3:0x40
; %bb.358:                              ;   in Loop: Header=BB312_12 Depth=1
	s_or_b32 exec_lo, exec_lo, s45
	s_delay_alu instid0(VALU_DEP_1) | instskip(NEXT) | instid1(VALU_DEP_2)
	v_dual_lshlrev_b32 v91, 24, v90 :: v_dual_lshlrev_b32 v28, 20, v28
	v_lshl_add_u32 v89, v89, 23, 0x3c000000
	s_delay_alu instid0(VALU_DEP_2) | instskip(NEXT) | instid1(VALU_DEP_1)
	v_and_b32_e32 v91, 0x80000000, v91
	v_or3_b32 v89, v28, v91, v89
.LBB312_359:                            ;   in Loop: Header=BB312_12 Depth=1
	s_or_b32 exec_lo, exec_lo, s44
.LBB312_360:                            ;   in Loop: Header=BB312_12 Depth=1
	s_delay_alu instid0(SALU_CYCLE_1)
	s_or_b32 exec_lo, exec_lo, s43
.LBB312_361:                            ;   in Loop: Header=BB312_12 Depth=1
	s_delay_alu instid0(SALU_CYCLE_1) | instskip(SKIP_2) | instid1(VALU_DEP_1)
	s_or_b32 exec_lo, exec_lo, s42
	v_lshrrev_b16 v28, 8, v90
	s_mov_b32 s42, exec_lo
	v_cmpx_ne_u16_e32 0, v28
	s_cbranch_execz .LBB312_369
; %bb.362:                              ;   in Loop: Header=BB312_12 Depth=1
	v_bfrev_b32_e32 v88, 1
	s_mov_b32 s43, exec_lo
	v_cmpx_ne_u16_e32 0x80, v28
	s_cbranch_execz .LBB312_368
; %bb.363:                              ;   in Loop: Header=BB312_12 Depth=1
	v_and_b32_e32 v28, 0xffff, v28
	v_mov_b32_e32 v88, 0x7f800001
	s_mov_b32 s44, exec_lo
	s_delay_alu instid0(VALU_DEP_2) | instskip(NEXT) | instid1(VALU_DEP_1)
	v_and_b32_e32 v91, 0x7f, v28
	v_cmpx_ne_u32_e32 0x7f, v91
	s_cbranch_execz .LBB312_367
; %bb.364:                              ;   in Loop: Header=BB312_12 Depth=1
	v_dual_lshrrev_b32 v88, 3, v91 :: v_dual_bitop2_b32 v28, 7, v28 bitop3:0x40
	s_mov_b32 s45, exec_lo
	v_cmpx_gt_u32_e32 8, v91
; %bb.365:                              ;   in Loop: Header=BB312_12 Depth=1
	s_delay_alu instid0(VALU_DEP_2) | instskip(NEXT) | instid1(VALU_DEP_1)
	v_clz_i32_u32_e32 v88, v28
	v_min_u32_e32 v88, 32, v88
	s_delay_alu instid0(VALU_DEP_1) | instskip(SKIP_1) | instid1(VALU_DEP_2)
	v_subrev_nc_u32_e32 v91, 28, v88
	v_sub_nc_u32_e32 v88, 29, v88
	v_lshlrev_b64_e32 v[92:93], v91, v[28:29]
	s_delay_alu instid0(VALU_DEP_1)
	v_and_b32_e32 v28, 7, v92
; %bb.366:                              ;   in Loop: Header=BB312_12 Depth=1
	s_or_b32 exec_lo, exec_lo, s45
	s_delay_alu instid0(VALU_DEP_1) | instskip(SKIP_1) | instid1(VALU_DEP_2)
	v_dual_lshlrev_b32 v90, 16, v90 :: v_dual_lshlrev_b32 v28, 20, v28
	v_lshl_add_u32 v88, v88, 23, 0x3c000000
	v_and_b32_e32 v90, 0x80000000, v90
	s_delay_alu instid0(VALU_DEP_1)
	v_or3_b32 v88, v28, v90, v88
.LBB312_367:                            ;   in Loop: Header=BB312_12 Depth=1
	s_or_b32 exec_lo, exec_lo, s44
.LBB312_368:                            ;   in Loop: Header=BB312_12 Depth=1
	s_delay_alu instid0(SALU_CYCLE_1)
	s_or_b32 exec_lo, exec_lo, s43
.LBB312_369:                            ;   in Loop: Header=BB312_12 Depth=1
	s_delay_alu instid0(SALU_CYCLE_1)
	s_or_b32 exec_lo, exec_lo, s42
	global_load_u16 v28, v[36:37], off offset:1408
	v_mov_b32_e32 v90, 0
	s_wait_loadcnt 0x0
	v_and_b32_e32 v91, 0xff, v28
	v_and_b32_e32 v92, 0xffff, v28
	s_delay_alu instid0(VALU_DEP_2)
	v_cmp_ne_u16_e64 s4, 0, v91
	v_mov_b32_e32 v91, 0
	s_and_saveexec_b32 s42, s4
	s_cbranch_execz .LBB312_377
; %bb.370:                              ;   in Loop: Header=BB312_12 Depth=1
	v_and_b32_e32 v28, 0xff, v92
	v_bfrev_b32_e32 v91, 1
	s_mov_b32 s43, exec_lo
	s_delay_alu instid0(VALU_DEP_2)
	v_cmpx_ne_u16_e32 0x80, v28
	s_cbranch_execz .LBB312_376
; %bb.371:                              ;   in Loop: Header=BB312_12 Depth=1
	v_and_b32_e32 v93, 0x7f, v92
	v_mov_b32_e32 v91, 0x7f800001
	s_mov_b32 s44, exec_lo
	s_delay_alu instid0(VALU_DEP_2)
	v_cmpx_ne_u32_e32 0x7f, v93
	s_cbranch_execz .LBB312_375
; %bb.372:                              ;   in Loop: Header=BB312_12 Depth=1
	v_dual_lshrrev_b32 v91, 3, v93 :: v_dual_bitop2_b32 v28, 7, v92 bitop3:0x40
	s_mov_b32 s45, exec_lo
	v_cmpx_gt_u32_e32 8, v93
; %bb.373:                              ;   in Loop: Header=BB312_12 Depth=1
	s_delay_alu instid0(VALU_DEP_2) | instskip(NEXT) | instid1(VALU_DEP_1)
	v_clz_i32_u32_e32 v91, v28
	v_min_u32_e32 v91, 32, v91
	s_delay_alu instid0(VALU_DEP_1) | instskip(NEXT) | instid1(VALU_DEP_1)
	v_subrev_nc_u32_e32 v93, 28, v91
	v_lshlrev_b64_e32 v[94:95], v93, v[28:29]
	s_delay_alu instid0(VALU_DEP_1)
	v_dual_sub_nc_u32 v91, 29, v91 :: v_dual_bitop2_b32 v28, 7, v94 bitop3:0x40
; %bb.374:                              ;   in Loop: Header=BB312_12 Depth=1
	s_or_b32 exec_lo, exec_lo, s45
	v_lshlrev_b32_e32 v93, 24, v92
	s_delay_alu instid0(VALU_DEP_2) | instskip(NEXT) | instid1(VALU_DEP_3)
	v_lshlrev_b32_e32 v28, 20, v28
	v_lshl_add_u32 v91, v91, 23, 0x3c000000
	s_delay_alu instid0(VALU_DEP_3) | instskip(NEXT) | instid1(VALU_DEP_1)
	v_and_b32_e32 v93, 0x80000000, v93
	v_or3_b32 v91, v28, v93, v91
.LBB312_375:                            ;   in Loop: Header=BB312_12 Depth=1
	s_or_b32 exec_lo, exec_lo, s44
.LBB312_376:                            ;   in Loop: Header=BB312_12 Depth=1
	s_delay_alu instid0(SALU_CYCLE_1)
	s_or_b32 exec_lo, exec_lo, s43
.LBB312_377:                            ;   in Loop: Header=BB312_12 Depth=1
	s_delay_alu instid0(SALU_CYCLE_1) | instskip(SKIP_2) | instid1(VALU_DEP_1)
	s_or_b32 exec_lo, exec_lo, s42
	v_lshrrev_b16 v28, 8, v92
	s_mov_b32 s42, exec_lo
	v_cmpx_ne_u16_e32 0, v28
	s_cbranch_execz .LBB312_385
; %bb.378:                              ;   in Loop: Header=BB312_12 Depth=1
	v_bfrev_b32_e32 v90, 1
	s_mov_b32 s43, exec_lo
	v_cmpx_ne_u16_e32 0x80, v28
	s_cbranch_execz .LBB312_384
; %bb.379:                              ;   in Loop: Header=BB312_12 Depth=1
	v_and_b32_e32 v28, 0xffff, v28
	v_mov_b32_e32 v90, 0x7f800001
	s_mov_b32 s44, exec_lo
	s_delay_alu instid0(VALU_DEP_2) | instskip(NEXT) | instid1(VALU_DEP_1)
	v_and_b32_e32 v93, 0x7f, v28
	v_cmpx_ne_u32_e32 0x7f, v93
	s_cbranch_execz .LBB312_383
; %bb.380:                              ;   in Loop: Header=BB312_12 Depth=1
	v_dual_lshrrev_b32 v90, 3, v93 :: v_dual_bitop2_b32 v28, 7, v28 bitop3:0x40
	s_mov_b32 s45, exec_lo
	v_cmpx_gt_u32_e32 8, v93
; %bb.381:                              ;   in Loop: Header=BB312_12 Depth=1
	s_delay_alu instid0(VALU_DEP_2) | instskip(NEXT) | instid1(VALU_DEP_1)
	v_clz_i32_u32_e32 v90, v28
	v_min_u32_e32 v90, 32, v90
	s_delay_alu instid0(VALU_DEP_1) | instskip(SKIP_1) | instid1(VALU_DEP_2)
	v_subrev_nc_u32_e32 v93, 28, v90
	v_sub_nc_u32_e32 v90, 29, v90
	v_lshlrev_b64_e32 v[94:95], v93, v[28:29]
	s_delay_alu instid0(VALU_DEP_1)
	v_and_b32_e32 v28, 7, v94
; %bb.382:                              ;   in Loop: Header=BB312_12 Depth=1
	s_or_b32 exec_lo, exec_lo, s45
	v_lshlrev_b32_e32 v92, 16, v92
	s_delay_alu instid0(VALU_DEP_2) | instskip(SKIP_1) | instid1(VALU_DEP_3)
	v_lshlrev_b32_e32 v28, 20, v28
	v_lshl_add_u32 v90, v90, 23, 0x3c000000
	v_and_b32_e32 v92, 0x80000000, v92
	s_delay_alu instid0(VALU_DEP_1)
	v_or3_b32 v90, v28, v92, v90
.LBB312_383:                            ;   in Loop: Header=BB312_12 Depth=1
	s_or_b32 exec_lo, exec_lo, s44
.LBB312_384:                            ;   in Loop: Header=BB312_12 Depth=1
	s_delay_alu instid0(SALU_CYCLE_1)
	s_or_b32 exec_lo, exec_lo, s43
.LBB312_385:                            ;   in Loop: Header=BB312_12 Depth=1
	s_delay_alu instid0(SALU_CYCLE_1)
	s_or_b32 exec_lo, exec_lo, s42
	global_load_u16 v28, v[36:37], off offset:1416
	v_mov_b32_e32 v92, 0
	s_wait_loadcnt 0x0
	v_and_b32_e32 v93, 0xff, v28
	v_and_b32_e32 v94, 0xffff, v28
	s_delay_alu instid0(VALU_DEP_2)
	v_cmp_ne_u16_e64 s4, 0, v93
	v_mov_b32_e32 v93, 0
	s_and_saveexec_b32 s42, s4
	s_cbranch_execz .LBB312_393
; %bb.386:                              ;   in Loop: Header=BB312_12 Depth=1
	v_and_b32_e32 v28, 0xff, v94
	v_bfrev_b32_e32 v93, 1
	s_mov_b32 s43, exec_lo
	s_delay_alu instid0(VALU_DEP_2)
	v_cmpx_ne_u16_e32 0x80, v28
	s_cbranch_execz .LBB312_392
; %bb.387:                              ;   in Loop: Header=BB312_12 Depth=1
	v_and_b32_e32 v95, 0x7f, v94
	v_mov_b32_e32 v93, 0x7f800001
	s_mov_b32 s44, exec_lo
	s_delay_alu instid0(VALU_DEP_2)
	v_cmpx_ne_u32_e32 0x7f, v95
	s_cbranch_execz .LBB312_391
; %bb.388:                              ;   in Loop: Header=BB312_12 Depth=1
	v_dual_lshrrev_b32 v93, 3, v95 :: v_dual_bitop2_b32 v28, 7, v94 bitop3:0x40
	s_mov_b32 s45, exec_lo
	v_cmpx_gt_u32_e32 8, v95
; %bb.389:                              ;   in Loop: Header=BB312_12 Depth=1
	s_delay_alu instid0(VALU_DEP_2) | instskip(NEXT) | instid1(VALU_DEP_1)
	v_clz_i32_u32_e32 v93, v28
	v_min_u32_e32 v93, 32, v93
	s_delay_alu instid0(VALU_DEP_1) | instskip(NEXT) | instid1(VALU_DEP_1)
	v_subrev_nc_u32_e32 v95, 28, v93
	v_lshlrev_b64_e32 v[96:97], v95, v[28:29]
	s_delay_alu instid0(VALU_DEP_1)
	v_dual_sub_nc_u32 v93, 29, v93 :: v_dual_bitop2_b32 v28, 7, v96 bitop3:0x40
; %bb.390:                              ;   in Loop: Header=BB312_12 Depth=1
	s_or_b32 exec_lo, exec_lo, s45
	s_delay_alu instid0(VALU_DEP_1) | instskip(NEXT) | instid1(VALU_DEP_2)
	v_dual_lshlrev_b32 v95, 24, v94 :: v_dual_lshlrev_b32 v28, 20, v28
	v_lshl_add_u32 v93, v93, 23, 0x3c000000
	s_delay_alu instid0(VALU_DEP_2) | instskip(NEXT) | instid1(VALU_DEP_1)
	v_and_b32_e32 v95, 0x80000000, v95
	v_or3_b32 v93, v28, v95, v93
.LBB312_391:                            ;   in Loop: Header=BB312_12 Depth=1
	s_or_b32 exec_lo, exec_lo, s44
.LBB312_392:                            ;   in Loop: Header=BB312_12 Depth=1
	s_delay_alu instid0(SALU_CYCLE_1)
	s_or_b32 exec_lo, exec_lo, s43
.LBB312_393:                            ;   in Loop: Header=BB312_12 Depth=1
	s_delay_alu instid0(SALU_CYCLE_1) | instskip(SKIP_2) | instid1(VALU_DEP_1)
	s_or_b32 exec_lo, exec_lo, s42
	v_lshrrev_b16 v28, 8, v94
	s_mov_b32 s42, exec_lo
	v_cmpx_ne_u16_e32 0, v28
	s_cbranch_execz .LBB312_401
; %bb.394:                              ;   in Loop: Header=BB312_12 Depth=1
	v_bfrev_b32_e32 v92, 1
	s_mov_b32 s43, exec_lo
	v_cmpx_ne_u16_e32 0x80, v28
	s_cbranch_execz .LBB312_400
; %bb.395:                              ;   in Loop: Header=BB312_12 Depth=1
	v_and_b32_e32 v28, 0xffff, v28
	v_mov_b32_e32 v92, 0x7f800001
	s_mov_b32 s44, exec_lo
	s_delay_alu instid0(VALU_DEP_2) | instskip(NEXT) | instid1(VALU_DEP_1)
	v_and_b32_e32 v95, 0x7f, v28
	v_cmpx_ne_u32_e32 0x7f, v95
	s_cbranch_execz .LBB312_399
; %bb.396:                              ;   in Loop: Header=BB312_12 Depth=1
	v_dual_lshrrev_b32 v92, 3, v95 :: v_dual_bitop2_b32 v28, 7, v28 bitop3:0x40
	s_mov_b32 s45, exec_lo
	v_cmpx_gt_u32_e32 8, v95
; %bb.397:                              ;   in Loop: Header=BB312_12 Depth=1
	s_delay_alu instid0(VALU_DEP_2) | instskip(NEXT) | instid1(VALU_DEP_1)
	v_clz_i32_u32_e32 v92, v28
	v_min_u32_e32 v92, 32, v92
	s_delay_alu instid0(VALU_DEP_1) | instskip(SKIP_1) | instid1(VALU_DEP_2)
	v_subrev_nc_u32_e32 v95, 28, v92
	v_sub_nc_u32_e32 v92, 29, v92
	v_lshlrev_b64_e32 v[96:97], v95, v[28:29]
	s_delay_alu instid0(VALU_DEP_1)
	v_and_b32_e32 v28, 7, v96
; %bb.398:                              ;   in Loop: Header=BB312_12 Depth=1
	s_or_b32 exec_lo, exec_lo, s45
	s_delay_alu instid0(VALU_DEP_1) | instskip(SKIP_1) | instid1(VALU_DEP_2)
	v_dual_lshlrev_b32 v94, 16, v94 :: v_dual_lshlrev_b32 v28, 20, v28
	v_lshl_add_u32 v92, v92, 23, 0x3c000000
	v_and_b32_e32 v94, 0x80000000, v94
	s_delay_alu instid0(VALU_DEP_1)
	v_or3_b32 v92, v28, v94, v92
.LBB312_399:                            ;   in Loop: Header=BB312_12 Depth=1
	s_or_b32 exec_lo, exec_lo, s44
.LBB312_400:                            ;   in Loop: Header=BB312_12 Depth=1
	s_delay_alu instid0(SALU_CYCLE_1)
	s_or_b32 exec_lo, exec_lo, s43
.LBB312_401:                            ;   in Loop: Header=BB312_12 Depth=1
	s_delay_alu instid0(SALU_CYCLE_1)
	s_or_b32 exec_lo, exec_lo, s42
	global_load_u16 v28, v[36:37], off offset:1536
	v_mov_b32_e32 v94, 0
	s_wait_loadcnt 0x0
	v_and_b32_e32 v95, 0xff, v28
	v_and_b32_e32 v96, 0xffff, v28
	s_delay_alu instid0(VALU_DEP_2)
	v_cmp_ne_u16_e64 s4, 0, v95
	v_mov_b32_e32 v95, 0
	s_and_saveexec_b32 s42, s4
	s_cbranch_execz .LBB312_409
; %bb.402:                              ;   in Loop: Header=BB312_12 Depth=1
	v_and_b32_e32 v28, 0xff, v96
	v_bfrev_b32_e32 v95, 1
	s_mov_b32 s43, exec_lo
	s_delay_alu instid0(VALU_DEP_2)
	v_cmpx_ne_u16_e32 0x80, v28
	s_cbranch_execz .LBB312_408
; %bb.403:                              ;   in Loop: Header=BB312_12 Depth=1
	v_and_b32_e32 v97, 0x7f, v96
	v_mov_b32_e32 v95, 0x7f800001
	s_mov_b32 s44, exec_lo
	s_delay_alu instid0(VALU_DEP_2)
	v_cmpx_ne_u32_e32 0x7f, v97
	s_cbranch_execz .LBB312_407
; %bb.404:                              ;   in Loop: Header=BB312_12 Depth=1
	v_dual_lshrrev_b32 v95, 3, v97 :: v_dual_bitop2_b32 v28, 7, v96 bitop3:0x40
	s_mov_b32 s45, exec_lo
	v_cmpx_gt_u32_e32 8, v97
; %bb.405:                              ;   in Loop: Header=BB312_12 Depth=1
	s_delay_alu instid0(VALU_DEP_2) | instskip(NEXT) | instid1(VALU_DEP_1)
	v_clz_i32_u32_e32 v95, v28
	v_min_u32_e32 v95, 32, v95
	s_delay_alu instid0(VALU_DEP_1) | instskip(NEXT) | instid1(VALU_DEP_1)
	v_subrev_nc_u32_e32 v97, 28, v95
	v_lshlrev_b64_e32 v[98:99], v97, v[28:29]
	s_delay_alu instid0(VALU_DEP_1)
	v_dual_sub_nc_u32 v95, 29, v95 :: v_dual_bitop2_b32 v28, 7, v98 bitop3:0x40
; %bb.406:                              ;   in Loop: Header=BB312_12 Depth=1
	s_or_b32 exec_lo, exec_lo, s45
	v_lshlrev_b32_e32 v97, 24, v96
	s_delay_alu instid0(VALU_DEP_2) | instskip(NEXT) | instid1(VALU_DEP_3)
	v_lshlrev_b32_e32 v28, 20, v28
	v_lshl_add_u32 v95, v95, 23, 0x3c000000
	s_delay_alu instid0(VALU_DEP_3) | instskip(NEXT) | instid1(VALU_DEP_1)
	v_and_b32_e32 v97, 0x80000000, v97
	v_or3_b32 v95, v28, v97, v95
.LBB312_407:                            ;   in Loop: Header=BB312_12 Depth=1
	s_or_b32 exec_lo, exec_lo, s44
.LBB312_408:                            ;   in Loop: Header=BB312_12 Depth=1
	s_delay_alu instid0(SALU_CYCLE_1)
	s_or_b32 exec_lo, exec_lo, s43
.LBB312_409:                            ;   in Loop: Header=BB312_12 Depth=1
	s_delay_alu instid0(SALU_CYCLE_1) | instskip(SKIP_2) | instid1(VALU_DEP_1)
	s_or_b32 exec_lo, exec_lo, s42
	v_lshrrev_b16 v28, 8, v96
	s_mov_b32 s42, exec_lo
	v_cmpx_ne_u16_e32 0, v28
	s_cbranch_execz .LBB312_417
; %bb.410:                              ;   in Loop: Header=BB312_12 Depth=1
	v_bfrev_b32_e32 v94, 1
	s_mov_b32 s43, exec_lo
	v_cmpx_ne_u16_e32 0x80, v28
	s_cbranch_execz .LBB312_416
; %bb.411:                              ;   in Loop: Header=BB312_12 Depth=1
	v_and_b32_e32 v28, 0xffff, v28
	v_mov_b32_e32 v94, 0x7f800001
	s_mov_b32 s44, exec_lo
	s_delay_alu instid0(VALU_DEP_2) | instskip(NEXT) | instid1(VALU_DEP_1)
	v_and_b32_e32 v97, 0x7f, v28
	v_cmpx_ne_u32_e32 0x7f, v97
	s_cbranch_execz .LBB312_415
; %bb.412:                              ;   in Loop: Header=BB312_12 Depth=1
	v_dual_lshrrev_b32 v94, 3, v97 :: v_dual_bitop2_b32 v28, 7, v28 bitop3:0x40
	s_mov_b32 s45, exec_lo
	v_cmpx_gt_u32_e32 8, v97
; %bb.413:                              ;   in Loop: Header=BB312_12 Depth=1
	s_delay_alu instid0(VALU_DEP_2) | instskip(NEXT) | instid1(VALU_DEP_1)
	v_clz_i32_u32_e32 v94, v28
	v_min_u32_e32 v94, 32, v94
	s_delay_alu instid0(VALU_DEP_1) | instskip(SKIP_1) | instid1(VALU_DEP_2)
	v_subrev_nc_u32_e32 v97, 28, v94
	v_sub_nc_u32_e32 v94, 29, v94
	v_lshlrev_b64_e32 v[98:99], v97, v[28:29]
	s_delay_alu instid0(VALU_DEP_1)
	v_and_b32_e32 v28, 7, v98
; %bb.414:                              ;   in Loop: Header=BB312_12 Depth=1
	s_or_b32 exec_lo, exec_lo, s45
	v_lshlrev_b32_e32 v96, 16, v96
	s_delay_alu instid0(VALU_DEP_2) | instskip(SKIP_1) | instid1(VALU_DEP_3)
	v_lshlrev_b32_e32 v28, 20, v28
	v_lshl_add_u32 v94, v94, 23, 0x3c000000
	v_and_b32_e32 v96, 0x80000000, v96
	s_delay_alu instid0(VALU_DEP_1)
	v_or3_b32 v94, v28, v96, v94
.LBB312_415:                            ;   in Loop: Header=BB312_12 Depth=1
	s_or_b32 exec_lo, exec_lo, s44
.LBB312_416:                            ;   in Loop: Header=BB312_12 Depth=1
	s_delay_alu instid0(SALU_CYCLE_1)
	s_or_b32 exec_lo, exec_lo, s43
.LBB312_417:                            ;   in Loop: Header=BB312_12 Depth=1
	s_delay_alu instid0(SALU_CYCLE_1)
	s_or_b32 exec_lo, exec_lo, s42
	global_load_u16 v28, v[36:37], off offset:1544
	v_mov_b32_e32 v96, 0
	s_wait_loadcnt 0x0
	v_and_b32_e32 v97, 0xff, v28
	v_and_b32_e32 v98, 0xffff, v28
	s_delay_alu instid0(VALU_DEP_2)
	v_cmp_ne_u16_e64 s4, 0, v97
	v_mov_b32_e32 v97, 0
	s_and_saveexec_b32 s42, s4
	s_cbranch_execz .LBB312_425
; %bb.418:                              ;   in Loop: Header=BB312_12 Depth=1
	v_and_b32_e32 v28, 0xff, v98
	v_bfrev_b32_e32 v97, 1
	s_mov_b32 s43, exec_lo
	s_delay_alu instid0(VALU_DEP_2)
	v_cmpx_ne_u16_e32 0x80, v28
	s_cbranch_execz .LBB312_424
; %bb.419:                              ;   in Loop: Header=BB312_12 Depth=1
	v_and_b32_e32 v99, 0x7f, v98
	v_mov_b32_e32 v97, 0x7f800001
	s_mov_b32 s44, exec_lo
	s_delay_alu instid0(VALU_DEP_2)
	v_cmpx_ne_u32_e32 0x7f, v99
	s_cbranch_execz .LBB312_423
; %bb.420:                              ;   in Loop: Header=BB312_12 Depth=1
	v_dual_lshrrev_b32 v97, 3, v99 :: v_dual_bitop2_b32 v28, 7, v98 bitop3:0x40
	s_mov_b32 s45, exec_lo
	v_cmpx_gt_u32_e32 8, v99
; %bb.421:                              ;   in Loop: Header=BB312_12 Depth=1
	s_delay_alu instid0(VALU_DEP_2) | instskip(NEXT) | instid1(VALU_DEP_1)
	v_clz_i32_u32_e32 v97, v28
	v_min_u32_e32 v97, 32, v97
	s_delay_alu instid0(VALU_DEP_1) | instskip(NEXT) | instid1(VALU_DEP_1)
	v_subrev_nc_u32_e32 v99, 28, v97
	v_lshlrev_b64_e32 v[100:101], v99, v[28:29]
	s_delay_alu instid0(VALU_DEP_1)
	v_dual_sub_nc_u32 v97, 29, v97 :: v_dual_bitop2_b32 v28, 7, v100 bitop3:0x40
; %bb.422:                              ;   in Loop: Header=BB312_12 Depth=1
	s_or_b32 exec_lo, exec_lo, s45
	s_delay_alu instid0(VALU_DEP_1) | instskip(NEXT) | instid1(VALU_DEP_2)
	v_dual_lshlrev_b32 v99, 24, v98 :: v_dual_lshlrev_b32 v28, 20, v28
	v_lshl_add_u32 v97, v97, 23, 0x3c000000
	s_delay_alu instid0(VALU_DEP_2) | instskip(NEXT) | instid1(VALU_DEP_1)
	v_and_b32_e32 v99, 0x80000000, v99
	v_or3_b32 v97, v28, v99, v97
.LBB312_423:                            ;   in Loop: Header=BB312_12 Depth=1
	s_or_b32 exec_lo, exec_lo, s44
.LBB312_424:                            ;   in Loop: Header=BB312_12 Depth=1
	s_delay_alu instid0(SALU_CYCLE_1)
	s_or_b32 exec_lo, exec_lo, s43
.LBB312_425:                            ;   in Loop: Header=BB312_12 Depth=1
	s_delay_alu instid0(SALU_CYCLE_1) | instskip(SKIP_2) | instid1(VALU_DEP_1)
	s_or_b32 exec_lo, exec_lo, s42
	v_lshrrev_b16 v28, 8, v98
	s_mov_b32 s42, exec_lo
	v_cmpx_ne_u16_e32 0, v28
	s_cbranch_execz .LBB312_433
; %bb.426:                              ;   in Loop: Header=BB312_12 Depth=1
	v_bfrev_b32_e32 v96, 1
	s_mov_b32 s43, exec_lo
	v_cmpx_ne_u16_e32 0x80, v28
	s_cbranch_execz .LBB312_432
; %bb.427:                              ;   in Loop: Header=BB312_12 Depth=1
	v_and_b32_e32 v28, 0xffff, v28
	v_mov_b32_e32 v96, 0x7f800001
	s_mov_b32 s44, exec_lo
	s_delay_alu instid0(VALU_DEP_2) | instskip(NEXT) | instid1(VALU_DEP_1)
	v_and_b32_e32 v99, 0x7f, v28
	v_cmpx_ne_u32_e32 0x7f, v99
	s_cbranch_execz .LBB312_431
; %bb.428:                              ;   in Loop: Header=BB312_12 Depth=1
	v_dual_lshrrev_b32 v96, 3, v99 :: v_dual_bitop2_b32 v28, 7, v28 bitop3:0x40
	s_mov_b32 s45, exec_lo
	v_cmpx_gt_u32_e32 8, v99
; %bb.429:                              ;   in Loop: Header=BB312_12 Depth=1
	s_delay_alu instid0(VALU_DEP_2) | instskip(NEXT) | instid1(VALU_DEP_1)
	v_clz_i32_u32_e32 v96, v28
	v_min_u32_e32 v96, 32, v96
	s_delay_alu instid0(VALU_DEP_1) | instskip(SKIP_1) | instid1(VALU_DEP_2)
	v_subrev_nc_u32_e32 v99, 28, v96
	v_sub_nc_u32_e32 v96, 29, v96
	v_lshlrev_b64_e32 v[100:101], v99, v[28:29]
	s_delay_alu instid0(VALU_DEP_1)
	v_and_b32_e32 v28, 7, v100
; %bb.430:                              ;   in Loop: Header=BB312_12 Depth=1
	s_or_b32 exec_lo, exec_lo, s45
	s_delay_alu instid0(VALU_DEP_1) | instskip(SKIP_1) | instid1(VALU_DEP_2)
	v_dual_lshlrev_b32 v98, 16, v98 :: v_dual_lshlrev_b32 v28, 20, v28
	v_lshl_add_u32 v96, v96, 23, 0x3c000000
	v_and_b32_e32 v98, 0x80000000, v98
	s_delay_alu instid0(VALU_DEP_1)
	v_or3_b32 v96, v28, v98, v96
.LBB312_431:                            ;   in Loop: Header=BB312_12 Depth=1
	s_or_b32 exec_lo, exec_lo, s44
.LBB312_432:                            ;   in Loop: Header=BB312_12 Depth=1
	s_delay_alu instid0(SALU_CYCLE_1)
	s_or_b32 exec_lo, exec_lo, s43
.LBB312_433:                            ;   in Loop: Header=BB312_12 Depth=1
	s_delay_alu instid0(SALU_CYCLE_1)
	s_or_b32 exec_lo, exec_lo, s42
	global_load_u16 v28, v[36:37], off offset:1664
	v_mov_b32_e32 v99, 0
	s_wait_loadcnt 0x0
	v_and_b32_e32 v98, 0xff, v28
	v_and_b32_e32 v100, 0xffff, v28
	s_delay_alu instid0(VALU_DEP_2)
	v_cmp_ne_u16_e64 s4, 0, v98
	v_mov_b32_e32 v98, 0
	s_and_saveexec_b32 s42, s4
	s_cbranch_execz .LBB312_441
; %bb.434:                              ;   in Loop: Header=BB312_12 Depth=1
	v_and_b32_e32 v28, 0xff, v100
	v_bfrev_b32_e32 v98, 1
	s_mov_b32 s43, exec_lo
	s_delay_alu instid0(VALU_DEP_2)
	v_cmpx_ne_u16_e32 0x80, v28
	s_cbranch_execz .LBB312_440
; %bb.435:                              ;   in Loop: Header=BB312_12 Depth=1
	v_and_b32_e32 v101, 0x7f, v100
	v_mov_b32_e32 v98, 0x7f800001
	s_mov_b32 s44, exec_lo
	s_delay_alu instid0(VALU_DEP_2)
	v_cmpx_ne_u32_e32 0x7f, v101
	s_cbranch_execz .LBB312_439
; %bb.436:                              ;   in Loop: Header=BB312_12 Depth=1
	v_dual_lshrrev_b32 v98, 3, v101 :: v_dual_bitop2_b32 v28, 7, v100 bitop3:0x40
	s_mov_b32 s45, exec_lo
	v_cmpx_gt_u32_e32 8, v101
; %bb.437:                              ;   in Loop: Header=BB312_12 Depth=1
	s_delay_alu instid0(VALU_DEP_2) | instskip(NEXT) | instid1(VALU_DEP_1)
	v_clz_i32_u32_e32 v98, v28
	v_min_u32_e32 v98, 32, v98
	s_delay_alu instid0(VALU_DEP_1) | instskip(SKIP_1) | instid1(VALU_DEP_2)
	v_subrev_nc_u32_e32 v101, 28, v98
	v_sub_nc_u32_e32 v98, 29, v98
	v_lshlrev_b64_e32 v[102:103], v101, v[28:29]
	s_delay_alu instid0(VALU_DEP_1)
	v_and_b32_e32 v28, 7, v102
; %bb.438:                              ;   in Loop: Header=BB312_12 Depth=1
	s_or_b32 exec_lo, exec_lo, s45
	v_lshlrev_b32_e32 v101, 24, v100
	s_delay_alu instid0(VALU_DEP_2) | instskip(SKIP_1) | instid1(VALU_DEP_3)
	v_lshlrev_b32_e32 v28, 20, v28
	v_lshl_add_u32 v98, v98, 23, 0x3c000000
	v_and_b32_e32 v101, 0x80000000, v101
	s_delay_alu instid0(VALU_DEP_1)
	v_or3_b32 v98, v28, v101, v98
.LBB312_439:                            ;   in Loop: Header=BB312_12 Depth=1
	s_or_b32 exec_lo, exec_lo, s44
.LBB312_440:                            ;   in Loop: Header=BB312_12 Depth=1
	s_delay_alu instid0(SALU_CYCLE_1)
	s_or_b32 exec_lo, exec_lo, s43
.LBB312_441:                            ;   in Loop: Header=BB312_12 Depth=1
	s_delay_alu instid0(SALU_CYCLE_1) | instskip(SKIP_2) | instid1(VALU_DEP_1)
	s_or_b32 exec_lo, exec_lo, s42
	v_lshrrev_b16 v28, 8, v100
	s_mov_b32 s42, exec_lo
	v_cmpx_ne_u16_e32 0, v28
	s_cbranch_execz .LBB312_449
; %bb.442:                              ;   in Loop: Header=BB312_12 Depth=1
	v_bfrev_b32_e32 v99, 1
	s_mov_b32 s43, exec_lo
	v_cmpx_ne_u16_e32 0x80, v28
	s_cbranch_execz .LBB312_448
; %bb.443:                              ;   in Loop: Header=BB312_12 Depth=1
	v_and_b32_e32 v28, 0xffff, v28
	v_mov_b32_e32 v99, 0x7f800001
	s_mov_b32 s44, exec_lo
	s_delay_alu instid0(VALU_DEP_2) | instskip(NEXT) | instid1(VALU_DEP_1)
	v_and_b32_e32 v101, 0x7f, v28
	v_cmpx_ne_u32_e32 0x7f, v101
	s_cbranch_execz .LBB312_447
; %bb.444:                              ;   in Loop: Header=BB312_12 Depth=1
	v_dual_lshrrev_b32 v99, 3, v101 :: v_dual_bitop2_b32 v28, 7, v28 bitop3:0x40
	s_mov_b32 s45, exec_lo
	v_cmpx_gt_u32_e32 8, v101
; %bb.445:                              ;   in Loop: Header=BB312_12 Depth=1
	s_delay_alu instid0(VALU_DEP_2) | instskip(NEXT) | instid1(VALU_DEP_1)
	v_clz_i32_u32_e32 v99, v28
	v_min_u32_e32 v99, 32, v99
	s_delay_alu instid0(VALU_DEP_1) | instskip(NEXT) | instid1(VALU_DEP_1)
	v_subrev_nc_u32_e32 v101, 28, v99
	v_lshlrev_b64_e32 v[102:103], v101, v[28:29]
	s_delay_alu instid0(VALU_DEP_1)
	v_dual_sub_nc_u32 v99, 29, v99 :: v_dual_bitop2_b32 v28, 7, v102 bitop3:0x40
; %bb.446:                              ;   in Loop: Header=BB312_12 Depth=1
	s_or_b32 exec_lo, exec_lo, s45
	v_lshlrev_b32_e32 v100, 16, v100
	s_delay_alu instid0(VALU_DEP_2) | instskip(NEXT) | instid1(VALU_DEP_3)
	v_lshlrev_b32_e32 v28, 20, v28
	v_lshl_add_u32 v99, v99, 23, 0x3c000000
	s_delay_alu instid0(VALU_DEP_3) | instskip(NEXT) | instid1(VALU_DEP_1)
	v_and_b32_e32 v100, 0x80000000, v100
	v_or3_b32 v99, v28, v100, v99
.LBB312_447:                            ;   in Loop: Header=BB312_12 Depth=1
	s_or_b32 exec_lo, exec_lo, s44
.LBB312_448:                            ;   in Loop: Header=BB312_12 Depth=1
	s_delay_alu instid0(SALU_CYCLE_1)
	s_or_b32 exec_lo, exec_lo, s43
.LBB312_449:                            ;   in Loop: Header=BB312_12 Depth=1
	s_delay_alu instid0(SALU_CYCLE_1)
	s_or_b32 exec_lo, exec_lo, s42
	global_load_u16 v28, v[36:37], off offset:1672
	v_mov_b32_e32 v100, 0
	s_wait_loadcnt 0x0
	v_and_b32_e32 v101, 0xff, v28
	v_and_b32_e32 v102, 0xffff, v28
	s_delay_alu instid0(VALU_DEP_2)
	v_cmp_ne_u16_e64 s4, 0, v101
	v_mov_b32_e32 v101, 0
	s_and_saveexec_b32 s42, s4
	s_cbranch_execz .LBB312_457
; %bb.450:                              ;   in Loop: Header=BB312_12 Depth=1
	v_and_b32_e32 v28, 0xff, v102
	v_bfrev_b32_e32 v101, 1
	s_mov_b32 s43, exec_lo
	s_delay_alu instid0(VALU_DEP_2)
	v_cmpx_ne_u16_e32 0x80, v28
	s_cbranch_execz .LBB312_456
; %bb.451:                              ;   in Loop: Header=BB312_12 Depth=1
	v_and_b32_e32 v103, 0x7f, v102
	v_mov_b32_e32 v101, 0x7f800001
	s_mov_b32 s44, exec_lo
	s_delay_alu instid0(VALU_DEP_2)
	v_cmpx_ne_u32_e32 0x7f, v103
	s_cbranch_execz .LBB312_455
; %bb.452:                              ;   in Loop: Header=BB312_12 Depth=1
	v_dual_lshrrev_b32 v101, 3, v103 :: v_dual_bitop2_b32 v28, 7, v102 bitop3:0x40
	s_mov_b32 s45, exec_lo
	v_cmpx_gt_u32_e32 8, v103
; %bb.453:                              ;   in Loop: Header=BB312_12 Depth=1
	s_delay_alu instid0(VALU_DEP_2) | instskip(NEXT) | instid1(VALU_DEP_1)
	v_clz_i32_u32_e32 v101, v28
	v_min_u32_e32 v101, 32, v101
	s_delay_alu instid0(VALU_DEP_1) | instskip(NEXT) | instid1(VALU_DEP_1)
	v_subrev_nc_u32_e32 v103, 28, v101
	v_lshlrev_b64_e32 v[104:105], v103, v[28:29]
	s_delay_alu instid0(VALU_DEP_1)
	v_dual_sub_nc_u32 v101, 29, v101 :: v_dual_bitop2_b32 v28, 7, v104 bitop3:0x40
; %bb.454:                              ;   in Loop: Header=BB312_12 Depth=1
	s_or_b32 exec_lo, exec_lo, s45
	s_delay_alu instid0(VALU_DEP_1) | instskip(NEXT) | instid1(VALU_DEP_2)
	v_dual_lshlrev_b32 v103, 24, v102 :: v_dual_lshlrev_b32 v28, 20, v28
	v_lshl_add_u32 v101, v101, 23, 0x3c000000
	s_delay_alu instid0(VALU_DEP_2) | instskip(NEXT) | instid1(VALU_DEP_1)
	v_and_b32_e32 v103, 0x80000000, v103
	v_or3_b32 v101, v28, v103, v101
.LBB312_455:                            ;   in Loop: Header=BB312_12 Depth=1
	s_or_b32 exec_lo, exec_lo, s44
.LBB312_456:                            ;   in Loop: Header=BB312_12 Depth=1
	s_delay_alu instid0(SALU_CYCLE_1)
	s_or_b32 exec_lo, exec_lo, s43
.LBB312_457:                            ;   in Loop: Header=BB312_12 Depth=1
	s_delay_alu instid0(SALU_CYCLE_1) | instskip(SKIP_2) | instid1(VALU_DEP_1)
	s_or_b32 exec_lo, exec_lo, s42
	v_lshrrev_b16 v28, 8, v102
	s_mov_b32 s42, exec_lo
	v_cmpx_ne_u16_e32 0, v28
	s_cbranch_execz .LBB312_465
; %bb.458:                              ;   in Loop: Header=BB312_12 Depth=1
	v_bfrev_b32_e32 v100, 1
	s_mov_b32 s43, exec_lo
	v_cmpx_ne_u16_e32 0x80, v28
	s_cbranch_execz .LBB312_464
; %bb.459:                              ;   in Loop: Header=BB312_12 Depth=1
	v_and_b32_e32 v28, 0xffff, v28
	v_mov_b32_e32 v100, 0x7f800001
	s_mov_b32 s44, exec_lo
	s_delay_alu instid0(VALU_DEP_2) | instskip(NEXT) | instid1(VALU_DEP_1)
	v_and_b32_e32 v103, 0x7f, v28
	v_cmpx_ne_u32_e32 0x7f, v103
	s_cbranch_execz .LBB312_463
; %bb.460:                              ;   in Loop: Header=BB312_12 Depth=1
	v_dual_lshrrev_b32 v100, 3, v103 :: v_dual_bitop2_b32 v28, 7, v28 bitop3:0x40
	s_mov_b32 s45, exec_lo
	v_cmpx_gt_u32_e32 8, v103
; %bb.461:                              ;   in Loop: Header=BB312_12 Depth=1
	s_delay_alu instid0(VALU_DEP_2) | instskip(NEXT) | instid1(VALU_DEP_1)
	v_clz_i32_u32_e32 v100, v28
	v_min_u32_e32 v100, 32, v100
	s_delay_alu instid0(VALU_DEP_1) | instskip(SKIP_1) | instid1(VALU_DEP_2)
	v_subrev_nc_u32_e32 v103, 28, v100
	v_sub_nc_u32_e32 v100, 29, v100
	v_lshlrev_b64_e32 v[104:105], v103, v[28:29]
	s_delay_alu instid0(VALU_DEP_1)
	v_and_b32_e32 v28, 7, v104
; %bb.462:                              ;   in Loop: Header=BB312_12 Depth=1
	s_or_b32 exec_lo, exec_lo, s45
	s_delay_alu instid0(VALU_DEP_1) | instskip(SKIP_1) | instid1(VALU_DEP_2)
	v_dual_lshlrev_b32 v102, 16, v102 :: v_dual_lshlrev_b32 v28, 20, v28
	v_lshl_add_u32 v100, v100, 23, 0x3c000000
	v_and_b32_e32 v102, 0x80000000, v102
	s_delay_alu instid0(VALU_DEP_1)
	v_or3_b32 v100, v28, v102, v100
.LBB312_463:                            ;   in Loop: Header=BB312_12 Depth=1
	s_or_b32 exec_lo, exec_lo, s44
.LBB312_464:                            ;   in Loop: Header=BB312_12 Depth=1
	s_delay_alu instid0(SALU_CYCLE_1)
	s_or_b32 exec_lo, exec_lo, s43
.LBB312_465:                            ;   in Loop: Header=BB312_12 Depth=1
	s_delay_alu instid0(SALU_CYCLE_1)
	s_or_b32 exec_lo, exec_lo, s42
	global_load_u16 v28, v[36:37], off offset:1792
	v_mov_b32_e32 v102, 0
	s_wait_loadcnt 0x0
	v_and_b32_e32 v103, 0xff, v28
	v_and_b32_e32 v104, 0xffff, v28
	s_delay_alu instid0(VALU_DEP_2)
	v_cmp_ne_u16_e64 s4, 0, v103
	v_mov_b32_e32 v103, 0
	s_and_saveexec_b32 s42, s4
	s_cbranch_execz .LBB312_473
; %bb.466:                              ;   in Loop: Header=BB312_12 Depth=1
	v_and_b32_e32 v28, 0xff, v104
	v_bfrev_b32_e32 v103, 1
	s_mov_b32 s43, exec_lo
	s_delay_alu instid0(VALU_DEP_2)
	v_cmpx_ne_u16_e32 0x80, v28
	s_cbranch_execz .LBB312_472
; %bb.467:                              ;   in Loop: Header=BB312_12 Depth=1
	v_and_b32_e32 v105, 0x7f, v104
	v_mov_b32_e32 v103, 0x7f800001
	s_mov_b32 s44, exec_lo
	s_delay_alu instid0(VALU_DEP_2)
	v_cmpx_ne_u32_e32 0x7f, v105
	s_cbranch_execz .LBB312_471
; %bb.468:                              ;   in Loop: Header=BB312_12 Depth=1
	v_dual_lshrrev_b32 v103, 3, v105 :: v_dual_bitop2_b32 v28, 7, v104 bitop3:0x40
	s_mov_b32 s45, exec_lo
	v_cmpx_gt_u32_e32 8, v105
; %bb.469:                              ;   in Loop: Header=BB312_12 Depth=1
	s_delay_alu instid0(VALU_DEP_2) | instskip(NEXT) | instid1(VALU_DEP_1)
	v_clz_i32_u32_e32 v103, v28
	v_min_u32_e32 v103, 32, v103
	s_delay_alu instid0(VALU_DEP_1) | instskip(NEXT) | instid1(VALU_DEP_1)
	v_subrev_nc_u32_e32 v105, 28, v103
	v_lshlrev_b64_e32 v[106:107], v105, v[28:29]
	s_delay_alu instid0(VALU_DEP_1)
	v_dual_sub_nc_u32 v103, 29, v103 :: v_dual_bitop2_b32 v28, 7, v106 bitop3:0x40
; %bb.470:                              ;   in Loop: Header=BB312_12 Depth=1
	s_or_b32 exec_lo, exec_lo, s45
	v_lshlrev_b32_e32 v105, 24, v104
	s_delay_alu instid0(VALU_DEP_2) | instskip(NEXT) | instid1(VALU_DEP_3)
	v_lshlrev_b32_e32 v28, 20, v28
	v_lshl_add_u32 v103, v103, 23, 0x3c000000
	s_delay_alu instid0(VALU_DEP_3) | instskip(NEXT) | instid1(VALU_DEP_1)
	v_and_b32_e32 v105, 0x80000000, v105
	v_or3_b32 v103, v28, v105, v103
.LBB312_471:                            ;   in Loop: Header=BB312_12 Depth=1
	s_or_b32 exec_lo, exec_lo, s44
.LBB312_472:                            ;   in Loop: Header=BB312_12 Depth=1
	s_delay_alu instid0(SALU_CYCLE_1)
	s_or_b32 exec_lo, exec_lo, s43
.LBB312_473:                            ;   in Loop: Header=BB312_12 Depth=1
	s_delay_alu instid0(SALU_CYCLE_1) | instskip(SKIP_2) | instid1(VALU_DEP_1)
	s_or_b32 exec_lo, exec_lo, s42
	v_lshrrev_b16 v28, 8, v104
	s_mov_b32 s42, exec_lo
	v_cmpx_ne_u16_e32 0, v28
	s_cbranch_execz .LBB312_481
; %bb.474:                              ;   in Loop: Header=BB312_12 Depth=1
	v_bfrev_b32_e32 v102, 1
	s_mov_b32 s43, exec_lo
	v_cmpx_ne_u16_e32 0x80, v28
	s_cbranch_execz .LBB312_480
; %bb.475:                              ;   in Loop: Header=BB312_12 Depth=1
	v_and_b32_e32 v28, 0xffff, v28
	v_mov_b32_e32 v102, 0x7f800001
	s_mov_b32 s44, exec_lo
	s_delay_alu instid0(VALU_DEP_2) | instskip(NEXT) | instid1(VALU_DEP_1)
	v_and_b32_e32 v105, 0x7f, v28
	v_cmpx_ne_u32_e32 0x7f, v105
	s_cbranch_execz .LBB312_479
; %bb.476:                              ;   in Loop: Header=BB312_12 Depth=1
	v_dual_lshrrev_b32 v102, 3, v105 :: v_dual_bitop2_b32 v28, 7, v28 bitop3:0x40
	s_mov_b32 s45, exec_lo
	v_cmpx_gt_u32_e32 8, v105
; %bb.477:                              ;   in Loop: Header=BB312_12 Depth=1
	s_delay_alu instid0(VALU_DEP_2) | instskip(NEXT) | instid1(VALU_DEP_1)
	v_clz_i32_u32_e32 v102, v28
	v_min_u32_e32 v102, 32, v102
	s_delay_alu instid0(VALU_DEP_1) | instskip(SKIP_1) | instid1(VALU_DEP_2)
	v_subrev_nc_u32_e32 v105, 28, v102
	v_sub_nc_u32_e32 v102, 29, v102
	v_lshlrev_b64_e32 v[106:107], v105, v[28:29]
	s_delay_alu instid0(VALU_DEP_1)
	v_and_b32_e32 v28, 7, v106
; %bb.478:                              ;   in Loop: Header=BB312_12 Depth=1
	s_or_b32 exec_lo, exec_lo, s45
	v_lshlrev_b32_e32 v104, 16, v104
	s_delay_alu instid0(VALU_DEP_2) | instskip(SKIP_1) | instid1(VALU_DEP_3)
	v_lshlrev_b32_e32 v28, 20, v28
	v_lshl_add_u32 v102, v102, 23, 0x3c000000
	v_and_b32_e32 v104, 0x80000000, v104
	s_delay_alu instid0(VALU_DEP_1)
	v_or3_b32 v102, v28, v104, v102
.LBB312_479:                            ;   in Loop: Header=BB312_12 Depth=1
	s_or_b32 exec_lo, exec_lo, s44
.LBB312_480:                            ;   in Loop: Header=BB312_12 Depth=1
	s_delay_alu instid0(SALU_CYCLE_1)
	s_or_b32 exec_lo, exec_lo, s43
.LBB312_481:                            ;   in Loop: Header=BB312_12 Depth=1
	s_delay_alu instid0(SALU_CYCLE_1)
	s_or_b32 exec_lo, exec_lo, s42
	global_load_u16 v28, v[36:37], off offset:1800
	v_mov_b32_e32 v104, 0
	s_wait_loadcnt 0x0
	v_and_b32_e32 v105, 0xff, v28
	v_and_b32_e32 v106, 0xffff, v28
	s_delay_alu instid0(VALU_DEP_2)
	v_cmp_ne_u16_e64 s4, 0, v105
	v_mov_b32_e32 v105, 0
	s_and_saveexec_b32 s42, s4
	s_cbranch_execz .LBB312_489
; %bb.482:                              ;   in Loop: Header=BB312_12 Depth=1
	v_and_b32_e32 v28, 0xff, v106
	v_bfrev_b32_e32 v105, 1
	s_mov_b32 s43, exec_lo
	s_delay_alu instid0(VALU_DEP_2)
	v_cmpx_ne_u16_e32 0x80, v28
	s_cbranch_execz .LBB312_488
; %bb.483:                              ;   in Loop: Header=BB312_12 Depth=1
	v_and_b32_e32 v107, 0x7f, v106
	v_mov_b32_e32 v105, 0x7f800001
	s_mov_b32 s44, exec_lo
	s_delay_alu instid0(VALU_DEP_2)
	v_cmpx_ne_u32_e32 0x7f, v107
	s_cbranch_execz .LBB312_487
; %bb.484:                              ;   in Loop: Header=BB312_12 Depth=1
	v_dual_lshrrev_b32 v105, 3, v107 :: v_dual_bitop2_b32 v28, 7, v106 bitop3:0x40
	s_mov_b32 s45, exec_lo
	v_cmpx_gt_u32_e32 8, v107
; %bb.485:                              ;   in Loop: Header=BB312_12 Depth=1
	s_delay_alu instid0(VALU_DEP_2) | instskip(NEXT) | instid1(VALU_DEP_1)
	v_clz_i32_u32_e32 v105, v28
	v_min_u32_e32 v105, 32, v105
	s_delay_alu instid0(VALU_DEP_1) | instskip(NEXT) | instid1(VALU_DEP_1)
	v_subrev_nc_u32_e32 v107, 28, v105
	v_lshlrev_b64_e32 v[108:109], v107, v[28:29]
	s_delay_alu instid0(VALU_DEP_1)
	v_dual_sub_nc_u32 v105, 29, v105 :: v_dual_bitop2_b32 v28, 7, v108 bitop3:0x40
; %bb.486:                              ;   in Loop: Header=BB312_12 Depth=1
	s_or_b32 exec_lo, exec_lo, s45
	s_delay_alu instid0(VALU_DEP_1) | instskip(NEXT) | instid1(VALU_DEP_2)
	v_dual_lshlrev_b32 v107, 24, v106 :: v_dual_lshlrev_b32 v28, 20, v28
	v_lshl_add_u32 v105, v105, 23, 0x3c000000
	s_delay_alu instid0(VALU_DEP_2) | instskip(NEXT) | instid1(VALU_DEP_1)
	v_and_b32_e32 v107, 0x80000000, v107
	v_or3_b32 v105, v28, v107, v105
.LBB312_487:                            ;   in Loop: Header=BB312_12 Depth=1
	s_or_b32 exec_lo, exec_lo, s44
.LBB312_488:                            ;   in Loop: Header=BB312_12 Depth=1
	s_delay_alu instid0(SALU_CYCLE_1)
	s_or_b32 exec_lo, exec_lo, s43
.LBB312_489:                            ;   in Loop: Header=BB312_12 Depth=1
	s_delay_alu instid0(SALU_CYCLE_1) | instskip(SKIP_2) | instid1(VALU_DEP_1)
	s_or_b32 exec_lo, exec_lo, s42
	v_lshrrev_b16 v28, 8, v106
	s_mov_b32 s42, exec_lo
	v_cmpx_ne_u16_e32 0, v28
	s_cbranch_execz .LBB312_497
; %bb.490:                              ;   in Loop: Header=BB312_12 Depth=1
	v_bfrev_b32_e32 v104, 1
	s_mov_b32 s43, exec_lo
	v_cmpx_ne_u16_e32 0x80, v28
	s_cbranch_execz .LBB312_496
; %bb.491:                              ;   in Loop: Header=BB312_12 Depth=1
	v_and_b32_e32 v28, 0xffff, v28
	v_mov_b32_e32 v104, 0x7f800001
	s_mov_b32 s44, exec_lo
	s_delay_alu instid0(VALU_DEP_2) | instskip(NEXT) | instid1(VALU_DEP_1)
	v_and_b32_e32 v107, 0x7f, v28
	v_cmpx_ne_u32_e32 0x7f, v107
	s_cbranch_execz .LBB312_495
; %bb.492:                              ;   in Loop: Header=BB312_12 Depth=1
	v_dual_lshrrev_b32 v104, 3, v107 :: v_dual_bitop2_b32 v28, 7, v28 bitop3:0x40
	s_mov_b32 s45, exec_lo
	v_cmpx_gt_u32_e32 8, v107
; %bb.493:                              ;   in Loop: Header=BB312_12 Depth=1
	s_delay_alu instid0(VALU_DEP_2) | instskip(NEXT) | instid1(VALU_DEP_1)
	v_clz_i32_u32_e32 v104, v28
	v_min_u32_e32 v104, 32, v104
	s_delay_alu instid0(VALU_DEP_1) | instskip(SKIP_1) | instid1(VALU_DEP_2)
	v_subrev_nc_u32_e32 v107, 28, v104
	v_sub_nc_u32_e32 v104, 29, v104
	v_lshlrev_b64_e32 v[108:109], v107, v[28:29]
	s_delay_alu instid0(VALU_DEP_1)
	v_and_b32_e32 v28, 7, v108
; %bb.494:                              ;   in Loop: Header=BB312_12 Depth=1
	s_or_b32 exec_lo, exec_lo, s45
	s_delay_alu instid0(VALU_DEP_1) | instskip(SKIP_1) | instid1(VALU_DEP_2)
	v_dual_lshlrev_b32 v106, 16, v106 :: v_dual_lshlrev_b32 v28, 20, v28
	v_lshl_add_u32 v104, v104, 23, 0x3c000000
	v_and_b32_e32 v106, 0x80000000, v106
	s_delay_alu instid0(VALU_DEP_1)
	v_or3_b32 v104, v28, v106, v104
.LBB312_495:                            ;   in Loop: Header=BB312_12 Depth=1
	s_or_b32 exec_lo, exec_lo, s44
.LBB312_496:                            ;   in Loop: Header=BB312_12 Depth=1
	s_delay_alu instid0(SALU_CYCLE_1)
	s_or_b32 exec_lo, exec_lo, s43
.LBB312_497:                            ;   in Loop: Header=BB312_12 Depth=1
	s_delay_alu instid0(SALU_CYCLE_1)
	s_or_b32 exec_lo, exec_lo, s42
	global_load_u16 v28, v[36:37], off offset:1920
	v_mov_b32_e32 v106, 0
	s_wait_loadcnt 0x0
	v_and_b32_e32 v107, 0xff, v28
	v_and_b32_e32 v108, 0xffff, v28
	s_delay_alu instid0(VALU_DEP_2)
	v_cmp_ne_u16_e64 s4, 0, v107
	v_mov_b32_e32 v107, 0
	s_and_saveexec_b32 s42, s4
	s_cbranch_execz .LBB312_505
; %bb.498:                              ;   in Loop: Header=BB312_12 Depth=1
	v_and_b32_e32 v28, 0xff, v108
	v_bfrev_b32_e32 v107, 1
	s_mov_b32 s43, exec_lo
	s_delay_alu instid0(VALU_DEP_2)
	v_cmpx_ne_u16_e32 0x80, v28
	s_cbranch_execz .LBB312_504
; %bb.499:                              ;   in Loop: Header=BB312_12 Depth=1
	v_and_b32_e32 v109, 0x7f, v108
	v_mov_b32_e32 v107, 0x7f800001
	s_mov_b32 s44, exec_lo
	s_delay_alu instid0(VALU_DEP_2)
	v_cmpx_ne_u32_e32 0x7f, v109
	s_cbranch_execz .LBB312_503
; %bb.500:                              ;   in Loop: Header=BB312_12 Depth=1
	v_dual_lshrrev_b32 v107, 3, v109 :: v_dual_bitop2_b32 v28, 7, v108 bitop3:0x40
	s_mov_b32 s45, exec_lo
	v_cmpx_gt_u32_e32 8, v109
; %bb.501:                              ;   in Loop: Header=BB312_12 Depth=1
	s_delay_alu instid0(VALU_DEP_2) | instskip(NEXT) | instid1(VALU_DEP_1)
	v_clz_i32_u32_e32 v107, v28
	v_min_u32_e32 v107, 32, v107
	s_delay_alu instid0(VALU_DEP_1) | instskip(NEXT) | instid1(VALU_DEP_1)
	v_subrev_nc_u32_e32 v109, 28, v107
	v_lshlrev_b64_e32 v[110:111], v109, v[28:29]
	s_delay_alu instid0(VALU_DEP_1)
	v_dual_sub_nc_u32 v107, 29, v107 :: v_dual_bitop2_b32 v28, 7, v110 bitop3:0x40
; %bb.502:                              ;   in Loop: Header=BB312_12 Depth=1
	s_or_b32 exec_lo, exec_lo, s45
	v_lshlrev_b32_e32 v109, 24, v108
	s_delay_alu instid0(VALU_DEP_2) | instskip(NEXT) | instid1(VALU_DEP_3)
	v_lshlrev_b32_e32 v28, 20, v28
	v_lshl_add_u32 v107, v107, 23, 0x3c000000
	s_delay_alu instid0(VALU_DEP_3) | instskip(NEXT) | instid1(VALU_DEP_1)
	v_and_b32_e32 v109, 0x80000000, v109
	v_or3_b32 v107, v28, v109, v107
.LBB312_503:                            ;   in Loop: Header=BB312_12 Depth=1
	s_or_b32 exec_lo, exec_lo, s44
.LBB312_504:                            ;   in Loop: Header=BB312_12 Depth=1
	s_delay_alu instid0(SALU_CYCLE_1)
	s_or_b32 exec_lo, exec_lo, s43
.LBB312_505:                            ;   in Loop: Header=BB312_12 Depth=1
	s_delay_alu instid0(SALU_CYCLE_1) | instskip(SKIP_2) | instid1(VALU_DEP_1)
	s_or_b32 exec_lo, exec_lo, s42
	v_lshrrev_b16 v28, 8, v108
	s_mov_b32 s42, exec_lo
	v_cmpx_ne_u16_e32 0, v28
	s_cbranch_execz .LBB312_513
; %bb.506:                              ;   in Loop: Header=BB312_12 Depth=1
	v_bfrev_b32_e32 v106, 1
	s_mov_b32 s43, exec_lo
	v_cmpx_ne_u16_e32 0x80, v28
	s_cbranch_execz .LBB312_512
; %bb.507:                              ;   in Loop: Header=BB312_12 Depth=1
	v_and_b32_e32 v28, 0xffff, v28
	v_mov_b32_e32 v106, 0x7f800001
	s_mov_b32 s44, exec_lo
	s_delay_alu instid0(VALU_DEP_2) | instskip(NEXT) | instid1(VALU_DEP_1)
	v_and_b32_e32 v109, 0x7f, v28
	v_cmpx_ne_u32_e32 0x7f, v109
	s_cbranch_execz .LBB312_511
; %bb.508:                              ;   in Loop: Header=BB312_12 Depth=1
	v_dual_lshrrev_b32 v106, 3, v109 :: v_dual_bitop2_b32 v28, 7, v28 bitop3:0x40
	s_mov_b32 s45, exec_lo
	v_cmpx_gt_u32_e32 8, v109
; %bb.509:                              ;   in Loop: Header=BB312_12 Depth=1
	s_delay_alu instid0(VALU_DEP_2) | instskip(NEXT) | instid1(VALU_DEP_1)
	v_clz_i32_u32_e32 v106, v28
	v_min_u32_e32 v106, 32, v106
	s_delay_alu instid0(VALU_DEP_1) | instskip(SKIP_1) | instid1(VALU_DEP_2)
	v_subrev_nc_u32_e32 v109, 28, v106
	v_sub_nc_u32_e32 v106, 29, v106
	v_lshlrev_b64_e32 v[110:111], v109, v[28:29]
	s_delay_alu instid0(VALU_DEP_1)
	v_and_b32_e32 v28, 7, v110
; %bb.510:                              ;   in Loop: Header=BB312_12 Depth=1
	s_or_b32 exec_lo, exec_lo, s45
	v_lshlrev_b32_e32 v108, 16, v108
	s_delay_alu instid0(VALU_DEP_2) | instskip(SKIP_1) | instid1(VALU_DEP_3)
	v_lshlrev_b32_e32 v28, 20, v28
	v_lshl_add_u32 v106, v106, 23, 0x3c000000
	v_and_b32_e32 v108, 0x80000000, v108
	s_delay_alu instid0(VALU_DEP_1)
	v_or3_b32 v106, v28, v108, v106
.LBB312_511:                            ;   in Loop: Header=BB312_12 Depth=1
	s_or_b32 exec_lo, exec_lo, s44
.LBB312_512:                            ;   in Loop: Header=BB312_12 Depth=1
	s_delay_alu instid0(SALU_CYCLE_1)
	s_or_b32 exec_lo, exec_lo, s43
.LBB312_513:                            ;   in Loop: Header=BB312_12 Depth=1
	s_delay_alu instid0(SALU_CYCLE_1)
	s_or_b32 exec_lo, exec_lo, s42
	global_load_u16 v28, v[36:37], off offset:1928
	s_wait_xcnt 0x0
	v_mov_b32_e32 v36, 0
	s_wait_loadcnt 0x0
	v_and_b32_e32 v37, 0xff, v28
	v_and_b32_e32 v108, 0xffff, v28
	s_delay_alu instid0(VALU_DEP_2)
	v_cmp_ne_u16_e64 s4, 0, v37
	v_mov_b32_e32 v37, 0
	s_and_saveexec_b32 s42, s4
	s_cbranch_execz .LBB312_521
; %bb.514:                              ;   in Loop: Header=BB312_12 Depth=1
	v_and_b32_e32 v28, 0xff, v108
	v_bfrev_b32_e32 v37, 1
	s_mov_b32 s43, exec_lo
	s_delay_alu instid0(VALU_DEP_2)
	v_cmpx_ne_u16_e32 0x80, v28
	s_cbranch_execz .LBB312_520
; %bb.515:                              ;   in Loop: Header=BB312_12 Depth=1
	v_and_b32_e32 v109, 0x7f, v108
	v_mov_b32_e32 v37, 0x7f800001
	s_mov_b32 s44, exec_lo
	s_delay_alu instid0(VALU_DEP_2)
	v_cmpx_ne_u32_e32 0x7f, v109
	s_cbranch_execz .LBB312_519
; %bb.516:                              ;   in Loop: Header=BB312_12 Depth=1
	v_dual_lshrrev_b32 v37, 3, v109 :: v_dual_bitop2_b32 v28, 7, v108 bitop3:0x40
	s_mov_b32 s45, exec_lo
	v_cmpx_gt_u32_e32 8, v109
; %bb.517:                              ;   in Loop: Header=BB312_12 Depth=1
	s_delay_alu instid0(VALU_DEP_2) | instskip(NEXT) | instid1(VALU_DEP_1)
	v_clz_i32_u32_e32 v37, v28
	v_min_u32_e32 v37, 32, v37
	s_delay_alu instid0(VALU_DEP_1) | instskip(NEXT) | instid1(VALU_DEP_1)
	v_subrev_nc_u32_e32 v109, 28, v37
	v_lshlrev_b64_e32 v[110:111], v109, v[28:29]
	s_delay_alu instid0(VALU_DEP_1)
	v_dual_sub_nc_u32 v37, 29, v37 :: v_dual_bitop2_b32 v28, 7, v110 bitop3:0x40
; %bb.518:                              ;   in Loop: Header=BB312_12 Depth=1
	s_or_b32 exec_lo, exec_lo, s45
	v_lshlrev_b32_e32 v109, 24, v108
	s_delay_alu instid0(VALU_DEP_2) | instskip(NEXT) | instid1(VALU_DEP_3)
	v_lshlrev_b32_e32 v28, 20, v28
	v_lshl_add_u32 v37, v37, 23, 0x3c000000
	s_delay_alu instid0(VALU_DEP_3) | instskip(NEXT) | instid1(VALU_DEP_1)
	v_and_b32_e32 v109, 0x80000000, v109
	v_or3_b32 v37, v28, v109, v37
.LBB312_519:                            ;   in Loop: Header=BB312_12 Depth=1
	s_or_b32 exec_lo, exec_lo, s44
.LBB312_520:                            ;   in Loop: Header=BB312_12 Depth=1
	s_delay_alu instid0(SALU_CYCLE_1)
	s_or_b32 exec_lo, exec_lo, s43
.LBB312_521:                            ;   in Loop: Header=BB312_12 Depth=1
	s_delay_alu instid0(SALU_CYCLE_1) | instskip(SKIP_2) | instid1(VALU_DEP_1)
	s_or_b32 exec_lo, exec_lo, s42
	v_lshrrev_b16 v28, 8, v108
	s_mov_b32 s42, exec_lo
	v_cmpx_ne_u16_e32 0, v28
	s_cbranch_execz .LBB312_529
; %bb.522:                              ;   in Loop: Header=BB312_12 Depth=1
	v_bfrev_b32_e32 v36, 1
	s_mov_b32 s43, exec_lo
	v_cmpx_ne_u16_e32 0x80, v28
	s_cbranch_execz .LBB312_528
; %bb.523:                              ;   in Loop: Header=BB312_12 Depth=1
	v_and_b32_e32 v28, 0xffff, v28
	v_mov_b32_e32 v36, 0x7f800001
	s_mov_b32 s44, exec_lo
	s_delay_alu instid0(VALU_DEP_2) | instskip(NEXT) | instid1(VALU_DEP_1)
	v_and_b32_e32 v109, 0x7f, v28
	v_cmpx_ne_u32_e32 0x7f, v109
	s_cbranch_execz .LBB312_527
; %bb.524:                              ;   in Loop: Header=BB312_12 Depth=1
	v_dual_lshrrev_b32 v36, 3, v109 :: v_dual_bitop2_b32 v28, 7, v28 bitop3:0x40
	s_mov_b32 s45, exec_lo
	v_cmpx_gt_u32_e32 8, v109
; %bb.525:                              ;   in Loop: Header=BB312_12 Depth=1
	s_delay_alu instid0(VALU_DEP_2) | instskip(NEXT) | instid1(VALU_DEP_1)
	v_clz_i32_u32_e32 v36, v28
	v_min_u32_e32 v36, 32, v36
	s_delay_alu instid0(VALU_DEP_1) | instskip(NEXT) | instid1(VALU_DEP_1)
	v_subrev_nc_u32_e32 v109, 28, v36
	v_lshlrev_b64_e32 v[110:111], v109, v[28:29]
	s_delay_alu instid0(VALU_DEP_1)
	v_dual_sub_nc_u32 v36, 29, v36 :: v_dual_bitop2_b32 v28, 7, v110 bitop3:0x40
; %bb.526:                              ;   in Loop: Header=BB312_12 Depth=1
	s_or_b32 exec_lo, exec_lo, s45
	v_lshlrev_b32_e32 v108, 16, v108
	s_delay_alu instid0(VALU_DEP_2) | instskip(NEXT) | instid1(VALU_DEP_3)
	v_lshlrev_b32_e32 v28, 20, v28
	v_lshl_add_u32 v36, v36, 23, 0x3c000000
	s_delay_alu instid0(VALU_DEP_3) | instskip(NEXT) | instid1(VALU_DEP_1)
	v_and_b32_e32 v108, 0x80000000, v108
	v_or3_b32 v36, v28, v108, v36
.LBB312_527:                            ;   in Loop: Header=BB312_12 Depth=1
	s_or_b32 exec_lo, exec_lo, s44
.LBB312_528:                            ;   in Loop: Header=BB312_12 Depth=1
	s_delay_alu instid0(SALU_CYCLE_1)
	s_or_b32 exec_lo, exec_lo, s43
.LBB312_529:                            ;   in Loop: Header=BB312_12 Depth=1
	s_delay_alu instid0(SALU_CYCLE_1)
	s_or_b32 exec_lo, exec_lo, s42
	s_wait_kmcnt 0x0
	v_fma_mixlo_bf16 v28, s41, v49, 0
	v_fma_mixlo_bf16 v48, s41, v48, 0
	s_wait_dscnt 0x6
	v_lshlrev_b32_e32 v49, 16, v23
	v_and_b32_e32 v23, 0xffff0000, v23
	v_fma_mixlo_bf16 v46, s41, v46, 0
	v_lshlrev_b32_e32 v28, 16, v28
	v_lshlrev_b32_e32 v48, 16, v48
	v_fma_mixlo_bf16 v47, s41, v47, 0
	s_delay_alu instid0(VALU_DEP_3) | instskip(NEXT) | instid1(VALU_DEP_3)
	v_mul_f32_e32 v28, v49, v28
	v_mul_f32_e32 v23, v23, v48
	v_fma_mixlo_bf16 v48, s41, v50, 0
	v_fma_mixlo_bf16 v49, s41, v51, 0
	s_delay_alu instid0(VALU_DEP_4) | instskip(NEXT) | instid1(VALU_DEP_4)
	v_fma_mix_f32_bf16 v28, v22, v47, v28 op_sel_hi:[1,1,0]
	v_fma_mix_f32_bf16 v22, v22, v46, v23 op_sel:[1,0,0] op_sel_hi:[1,1,0]
	v_fma_mixlo_bf16 v23, s41, v52, 0
	v_fma_mixlo_bf16 v46, s41, v53, 0
	v_fma_mixlo_bf16 v47, s41, v55, 0
	v_fma_mix_f32_bf16 v28, v24, v49, v28 op_sel_hi:[1,1,0]
	v_fma_mix_f32_bf16 v22, v24, v48, v22 op_sel:[1,0,0] op_sel_hi:[1,1,0]
	v_fma_mixlo_bf16 v24, s41, v54, 0
	s_delay_alu instid0(VALU_DEP_3) | instskip(NEXT) | instid1(VALU_DEP_3)
	v_fma_mix_f32_bf16 v28, v25, v46, v28 op_sel_hi:[1,1,0]
	v_fma_mix_f32_bf16 v22, v25, v23, v22 op_sel:[1,0,0] op_sel_hi:[1,1,0]
	v_fma_mixlo_bf16 v23, s41, v56, 0
	v_fma_mixlo_bf16 v25, s41, v57, 0
	s_wait_dscnt 0x5
	v_fma_mix_f32_bf16 v28, v18, v47, v28 op_sel_hi:[1,1,0]
	v_fma_mix_f32_bf16 v18, v18, v24, v22 op_sel:[1,0,0] op_sel_hi:[1,1,0]
	v_fma_mixlo_bf16 v22, s41, v58, 0
	v_fma_mixlo_bf16 v24, s41, v59, 0
	s_delay_alu instid0(VALU_DEP_4) | instskip(NEXT) | instid1(VALU_DEP_4)
	v_fma_mix_f32_bf16 v25, v19, v25, v28 op_sel_hi:[1,1,0]
	v_fma_mix_f32_bf16 v18, v19, v23, v18 op_sel:[1,0,0] op_sel_hi:[1,1,0]
	v_fma_mixlo_bf16 v19, s41, v60, 0
	v_fma_mixlo_bf16 v23, s41, v61, 0
	s_delay_alu instid0(VALU_DEP_4) | instskip(NEXT) | instid1(VALU_DEP_4)
	v_fma_mix_f32_bf16 v24, v20, v24, v25 op_sel_hi:[1,1,0]
	v_fma_mix_f32_bf16 v18, v20, v22, v18 op_sel:[1,0,0] op_sel_hi:[1,1,0]
	v_fma_mixlo_bf16 v20, s41, v62, 0
	v_fma_mixlo_bf16 v22, s41, v63, 0
	s_delay_alu instid0(VALU_DEP_4) | instskip(NEXT) | instid1(VALU_DEP_4)
	v_fma_mix_f32_bf16 v23, v21, v23, v24 op_sel_hi:[1,1,0]
	v_fma_mix_f32_bf16 v18, v21, v19, v18 op_sel:[1,0,0] op_sel_hi:[1,1,0]
	v_fma_mixlo_bf16 v19, s41, v64, 0
	v_fma_mixlo_bf16 v21, s41, v65, 0
	s_wait_dscnt 0x4
	v_fma_mix_f32_bf16 v22, v14, v22, v23 op_sel_hi:[1,1,0]
	v_fma_mix_f32_bf16 v14, v14, v20, v18 op_sel:[1,0,0] op_sel_hi:[1,1,0]
	v_fma_mixlo_bf16 v18, s41, v66, 0
	v_fma_mixlo_bf16 v20, s41, v67, 0
	s_delay_alu instid0(VALU_DEP_4) | instskip(NEXT) | instid1(VALU_DEP_4)
	v_fma_mix_f32_bf16 v21, v15, v21, v22 op_sel_hi:[1,1,0]
	v_fma_mix_f32_bf16 v14, v15, v19, v14 op_sel:[1,0,0] op_sel_hi:[1,1,0]
	v_fma_mixlo_bf16 v15, s41, v68, 0
	v_fma_mixlo_bf16 v19, s41, v69, 0
	s_delay_alu instid0(VALU_DEP_4) | instskip(NEXT) | instid1(VALU_DEP_4)
	v_fma_mix_f32_bf16 v20, v16, v20, v21 op_sel_hi:[1,1,0]
	v_fma_mix_f32_bf16 v14, v16, v18, v14 op_sel:[1,0,0] op_sel_hi:[1,1,0]
	v_fma_mixlo_bf16 v16, s41, v70, 0
	v_fma_mixlo_bf16 v18, s41, v71, 0
	s_delay_alu instid0(VALU_DEP_4) | instskip(NEXT) | instid1(VALU_DEP_4)
	;; [unrolled: 20-line block ×3, first 2 shown]
	v_fma_mix_f32_bf16 v15, v13, v15, v16 op_sel_hi:[1,1,0]
	v_fma_mix_f32_bf16 v10, v13, v11, v10 op_sel:[1,0,0] op_sel_hi:[1,1,0]
	v_fma_mixlo_bf16 v11, s41, v80, 0
	v_fma_mixlo_bf16 v13, s41, v81, 0
	s_wait_dscnt 0x2
	v_fma_mix_f32_bf16 v14, v6, v14, v15 op_sel_hi:[1,1,0]
	v_fma_mix_f32_bf16 v6, v6, v12, v10 op_sel:[1,0,0] op_sel_hi:[1,1,0]
	v_fma_mixlo_bf16 v10, s41, v82, 0
	v_fma_mixlo_bf16 v12, s41, v83, 0
	s_delay_alu instid0(VALU_DEP_4) | instskip(NEXT) | instid1(VALU_DEP_4)
	v_fma_mix_f32_bf16 v13, v7, v13, v14 op_sel_hi:[1,1,0]
	v_fma_mix_f32_bf16 v6, v7, v11, v6 op_sel:[1,0,0] op_sel_hi:[1,1,0]
	v_fma_mixlo_bf16 v7, s41, v84, 0
	v_fma_mixlo_bf16 v11, s41, v85, 0
	s_delay_alu instid0(VALU_DEP_4) | instskip(NEXT) | instid1(VALU_DEP_4)
	v_fma_mix_f32_bf16 v12, v8, v12, v13 op_sel_hi:[1,1,0]
	v_fma_mix_f32_bf16 v6, v8, v10, v6 op_sel:[1,0,0] op_sel_hi:[1,1,0]
	v_fma_mixlo_bf16 v8, s41, v86, 0
	v_fma_mixlo_bf16 v10, s41, v87, 0
	;; [unrolled: 1-line block ×3, first 2 shown]
	v_fma_mix_f32_bf16 v11, v9, v11, v12 op_sel_hi:[1,1,0]
	v_fma_mix_f32_bf16 v6, v9, v7, v6 op_sel:[1,0,0] op_sel_hi:[1,1,0]
	v_fma_mixlo_bf16 v9, s41, v88, 0
	v_fma_mixlo_bf16 v12, s41, v89, 0
	s_wait_dscnt 0x1
	v_fma_mix_f32_bf16 v10, v2, v10, v11 op_sel_hi:[1,1,0]
	v_fma_mix_f32_bf16 v2, v2, v8, v6 op_sel:[1,0,0] op_sel_hi:[1,1,0]
	v_fma_mixlo_bf16 v8, s41, v90, 0
	v_fma_mixlo_bf16 v11, s41, v91, 0
	ds_load_2addr_b32 v[6:7], v40 offset0:25 offset1:26
	v_fma_mix_f32_bf16 v10, v3, v12, v10 op_sel_hi:[1,1,0]
	v_fma_mix_f32_bf16 v2, v3, v9, v2 op_sel:[1,0,0] op_sel_hi:[1,1,0]
	v_fma_mixlo_bf16 v9, s41, v92, 0
	v_fma_mixlo_bf16 v12, s41, v93, 0
	s_delay_alu instid0(VALU_DEP_4) | instskip(NEXT) | instid1(VALU_DEP_4)
	v_fma_mix_f32_bf16 v10, v4, v11, v10 op_sel_hi:[1,1,0]
	v_fma_mix_f32_bf16 v4, v4, v8, v2 op_sel:[1,0,0] op_sel_hi:[1,1,0]
	v_fma_mixlo_bf16 v8, s41, v94, 0
	v_fma_mixlo_bf16 v11, s41, v95, 0
	ds_load_2addr_b32 v[2:3], v40 offset0:27 offset1:28
	v_fma_mix_f32_bf16 v10, v5, v12, v10 op_sel_hi:[1,1,0]
	v_fma_mix_f32_bf16 v4, v5, v9, v4 op_sel:[1,0,0] op_sel_hi:[1,1,0]
	v_fma_mixlo_bf16 v12, s41, v96, 0
	v_fma_mixlo_bf16 v9, s41, v99, 0
	s_wait_dscnt 0x2
	v_fma_mix_f32_bf16 v10, v31, v11, v10 op_sel_hi:[1,1,0]
	v_fma_mix_f32_bf16 v8, v31, v8, v4 op_sel:[1,0,0] op_sel_hi:[1,1,0]
	v_fma_mixlo_bf16 v11, s41, v98, 0
	ds_load_2addr_b32 v[4:5], v40 offset0:29 offset1:30
	ds_load_b32 v14, v40 offset:124
	s_wait_dscnt 0x3
	v_fma_mix_f32_bf16 v10, v13, v6, v10 op_sel_hi:[1,1,0]
	v_fma_mix_f32_bf16 v6, v12, v6, v8 op_sel:[0,1,0] op_sel_hi:[1,1,0]
	v_fma_mixlo_bf16 v8, s41, v100, 0
	v_fma_mixlo_bf16 v12, s41, v101, 0
	s_delay_alu instid0(VALU_DEP_4) | instskip(NEXT) | instid1(VALU_DEP_4)
	v_fma_mix_f32_bf16 v10, v11, v7, v10 op_sel_hi:[1,1,0]
	v_fma_mix_f32_bf16 v6, v9, v7, v6 op_sel:[0,1,0] op_sel_hi:[1,1,0]
	v_fma_mixlo_bf16 v7, s41, v102, 0
	v_fma_mixlo_bf16 v9, s41, v103, 0
	s_wait_dscnt 0x2
	v_fma_mix_f32_bf16 v10, v12, v2, v10 op_sel_hi:[1,1,0]
	v_fma_mix_f32_bf16 v2, v8, v2, v6 op_sel:[0,1,0] op_sel_hi:[1,1,0]
	v_fma_mixlo_bf16 v6, s41, v104, 0
	v_fma_mixlo_bf16 v8, s41, v105, 0
	s_delay_alu instid0(VALU_DEP_4) | instskip(NEXT) | instid1(VALU_DEP_4)
	v_fma_mix_f32_bf16 v9, v9, v3, v10 op_sel_hi:[1,1,0]
	v_fma_mix_f32_bf16 v2, v7, v3, v2 op_sel:[0,1,0] op_sel_hi:[1,1,0]
	v_fma_mixlo_bf16 v3, s41, v106, 0
	v_fma_mixlo_bf16 v7, s41, v107, 0
	s_wait_dscnt 0x1
	v_fma_mix_f32_bf16 v8, v8, v4, v9 op_sel_hi:[1,1,0]
	v_fma_mix_f32_bf16 v2, v6, v4, v2 op_sel:[0,1,0] op_sel_hi:[1,1,0]
	v_fma_mixlo_bf16 v4, s41, v37, 0
	v_xor_b32_e32 v6, 2, v38
	v_fma_mixlo_bf16 v9, s41, v36, 0
	v_fma_mix_f32_bf16 v7, v7, v5, v8 op_sel_hi:[1,1,0]
	v_fma_mix_f32_bf16 v2, v3, v5, v2 op_sel:[0,1,0] op_sel_hi:[1,1,0]
	s_delay_alu instid0(VALU_DEP_4) | instskip(SKIP_1) | instid1(VALU_DEP_3)
	v_cmp_gt_i32_e64 s4, 32, v6
	s_wait_dscnt 0x0
	v_fma_mix_f32_bf16 v4, v4, v14, v7 op_sel_hi:[1,1,0]
	s_delay_alu instid0(VALU_DEP_3) | instskip(NEXT) | instid1(VALU_DEP_3)
	v_fma_mix_f32_bf16 v2, v9, v14, v2 op_sel:[0,1,0] op_sel_hi:[1,1,0]
	v_cndmask_b32_e64 v3, v38, v6, s4
	s_delay_alu instid0(VALU_DEP_2) | instskip(NEXT) | instid1(VALU_DEP_2)
	v_add_f32_e32 v2, v4, v2
	v_dual_lshlrev_b32 v3, 2, v3 :: v_dual_bitop2_b32 v4, 1, v38 bitop3:0x14
	s_delay_alu instid0(VALU_DEP_1) | instskip(NEXT) | instid1(VALU_DEP_1)
	v_cmp_gt_i32_e64 s4, 32, v4
	v_cndmask_b32_e64 v4, v38, v4, s4
	ds_bpermute_b32 v3, v3, v2
	s_wait_dscnt 0x0
	v_dual_lshlrev_b32 v4, 2, v4 :: v_dual_add_f32 v2, v2, v3
	ds_bpermute_b32 v3, v4, v2
	s_and_saveexec_b32 s41, s3
	s_cbranch_execz .LBB312_10
; %bb.530:                              ;   in Loop: Header=BB312_12 Depth=1
	v_add_nc_u32_e32 v4, v42, v30
	s_wait_dscnt 0x0
	v_add_f32_e32 v2, v2, v3
	s_delay_alu instid0(VALU_DEP_2) | instskip(NEXT) | instid1(VALU_DEP_1)
	v_cvt_f32_i32_e32 v4, v4
	v_mul_f32_e32 v4, s36, v4
	s_delay_alu instid0(VALU_DEP_1) | instskip(NEXT) | instid1(VALU_DEP_1)
	v_dual_cndmask_b32 v3, 0, v4 :: v_dual_max_num_f32 v4, v41, v41
	v_fmac_f32_e32 v3, s27, v2
	v_add_nc_u32_e32 v2, v39, v30
	s_delay_alu instid0(VALU_DEP_1) | instskip(NEXT) | instid1(VALU_DEP_3)
	v_cmp_gt_i32_e64 s4, s34, v2
	v_max_num_f32_e32 v4, v4, v3
	s_delay_alu instid0(VALU_DEP_1)
	v_dual_cndmask_b32 v41, v41, v4, s4 :: v_dual_cndmask_b32 v2, 0, v3, s4
	ds_store_b32 v43, v2
	s_branch .LBB312_10
.LBB312_531:
	s_or_b32 exec_lo, exec_lo, s40
.LBB312_532:
	s_delay_alu instid0(SALU_CYCLE_1)
	s_or_b32 exec_lo, exec_lo, s37
	v_dual_max_num_f32 v5, v41, v41 :: v_dual_bitop2_b32 v2, 16, v38 bitop3:0x14
	v_xor_b32_e32 v4, 8, v38
	s_clause 0x1
	s_load_b64 s[4:5], s[0:1], 0x0
	s_load_b64 s[8:9], s[0:1], 0x18
	v_and_b32_e32 v32, 31, v0
	v_cmp_gt_i32_e32 vcc_lo, 32, v2
	v_cndmask_b32_e32 v2, v38, v2, vcc_lo
	v_cmp_gt_i32_e32 vcc_lo, 32, v4
	s_delay_alu instid0(VALU_DEP_2) | instskip(SKIP_4) | instid1(VALU_DEP_1)
	v_dual_cndmask_b32 v4, v38, v4, vcc_lo :: v_dual_lshlrev_b32 v2, 2, v2
	s_wait_dscnt 0x0
	ds_bpermute_b32 v3, v2, v41
	s_wait_dscnt 0x0
	v_dual_max_num_f32 v6, v3, v3 :: v_dual_lshlrev_b32 v3, 2, v4
	v_max_num_f32_e32 v4, v5, v6
	ds_bpermute_b32 v5, v3, v4
	s_wait_dscnt 0x0
	v_dual_max_num_f32 v5, v5, v5 :: v_dual_bitop2_b32 v6, 4, v38 bitop3:0x14
	s_delay_alu instid0(VALU_DEP_1) | instskip(NEXT) | instid1(VALU_DEP_2)
	v_max_num_f32_e32 v5, v4, v5
	v_cmp_gt_i32_e32 vcc_lo, 32, v6
	v_dual_lshlrev_b32 v4, 2, v1 :: v_dual_cndmask_b32 v6, v38, v6, vcc_lo
	v_cmp_eq_u32_e32 vcc_lo, 0, v32
	s_delay_alu instid0(VALU_DEP_2)
	v_lshlrev_b32_e32 v6, 2, v6
	ds_bpermute_b32 v7, v6, v5
	s_wait_xcnt 0x0
	s_and_saveexec_b32 s0, vcc_lo
	s_cbranch_execz .LBB312_534
; %bb.533:
	s_wait_dscnt 0x0
	v_dual_max_num_f32 v7, v7, v7 :: v_dual_max_num_f32 v5, v5, v5
	s_delay_alu instid0(VALU_DEP_1)
	v_max_num_f32_e32 v5, v5, v7
	ds_store_b32 v4, v5 offset:512
.LBB312_534:
	s_or_b32 exec_lo, exec_lo, s0
	v_cmp_gt_u32_e64 s0, 4, v32
	v_dual_mov_b32 v8, 0xff7fffff :: v_dual_lshlrev_b32 v5, 2, v32
	s_wait_dscnt 0x0
	s_barrier_signal -1
	s_barrier_wait -1
	s_and_saveexec_b32 s1, s0
; %bb.535:
	ds_load_b32 v8, v5 offset:512
; %bb.536:
	s_or_b32 exec_lo, exec_lo, s1
	s_wait_dscnt 0x0
	v_dual_max_num_f32 v11, v8, v8 :: v_dual_bitop2_b32 v7, 2, v38 bitop3:0x14
	v_xor_b32_e32 v10, 1, v38
	s_delay_alu instid0(VALU_DEP_2) | instskip(NEXT) | instid1(VALU_DEP_1)
	v_cmp_gt_i32_e64 s1, 32, v7
	v_cndmask_b32_e64 v7, v38, v7, s1
	s_delay_alu instid0(VALU_DEP_3) | instskip(NEXT) | instid1(VALU_DEP_2)
	v_cmp_gt_i32_e64 s1, 32, v10
	v_lshlrev_b32_e32 v7, 2, v7
	ds_bpermute_b32 v9, v7, v8
	v_cndmask_b32_e64 v8, v38, v10, s1
	s_lshl_b32 s1, s12, 3
	s_delay_alu instid0(SALU_CYCLE_1) | instskip(NEXT) | instid1(SALU_CYCLE_1)
	s_min_i32 s19, s1, s34
	v_cmp_gt_i32_e64 s1, s19, v0
	s_wait_dscnt 0x0
	v_dual_max_num_f32 v9, v9, v9 :: v_dual_lshlrev_b32 v8, 2, v8
	s_delay_alu instid0(VALU_DEP_1) | instskip(SKIP_3) | instid1(VALU_DEP_1)
	v_max_num_f32_e32 v9, v11, v9
	ds_bpermute_b32 v10, v8, v9
	s_wait_dscnt 0x0
	v_max_num_f32_e32 v10, v10, v10
	v_dual_max_num_f32 v10, v9, v10 :: v_dual_mov_b32 v9, 0
	ds_bpermute_b32 v10, v9, v10
	s_and_saveexec_b32 s27, s1
	s_cbranch_execz .LBB312_540
; %bb.537:
	v_lshl_add_u32 v11, v0, 2, 0x220
	v_dual_mov_b32 v9, 0 :: v_dual_mov_b32 v12, v0
	s_mov_b32 s28, 0
.LBB312_538:                            ; =>This Inner Loop Header: Depth=1
	ds_load_b32 v13, v11
	v_add_nc_u32_e32 v12, 0x80, v12
	s_delay_alu instid0(VALU_DEP_1) | instskip(SKIP_3) | instid1(VALU_DEP_1)
	v_cmp_le_i32_e64 s3, s19, v12
	s_or_b32 s28, s3, s28
	s_wait_dscnt 0x0
	v_sub_f32_e32 v13, v13, v10
	v_mul_f32_e32 v13, 0x3fb8aa3b, v13
	s_delay_alu instid0(VALU_DEP_1)
	v_exp_f32_e32 v13, v13
	ds_store_b32 v11, v13
	v_nop
	v_add_f32_e32 v9, v9, v13
	v_add_nc_u32_e32 v11, 0x200, v11
	s_and_not1_b32 exec_lo, exec_lo, s28
	s_cbranch_execnz .LBB312_538
; %bb.539:
	s_or_b32 exec_lo, exec_lo, s28
.LBB312_540:
	s_delay_alu instid0(SALU_CYCLE_1)
	s_or_b32 exec_lo, exec_lo, s27
	ds_bpermute_b32 v2, v2, v9
	s_wait_dscnt 0x0
	v_add_f32_e32 v2, v9, v2
	ds_bpermute_b32 v3, v3, v2
	s_wait_dscnt 0x0
	v_add_f32_e32 v2, v2, v3
	;; [unrolled: 3-line block ×5, first 2 shown]
	s_and_saveexec_b32 s3, vcc_lo
; %bb.541:
	ds_store_b32 v4, v2 offset:528
; %bb.542:
	s_or_b32 exec_lo, exec_lo, s3
	s_wait_dscnt 0x0
	s_barrier_signal -1
	s_barrier_wait -1
	s_and_saveexec_b32 s3, s0
; %bb.543:
	ds_load_b32 v2, v5 offset:528
; %bb.544:
	s_or_b32 exec_lo, exec_lo, s3
	s_wait_dscnt 0x0
	ds_bpermute_b32 v3, v7, v2
	s_wait_dscnt 0x0
	v_add_f32_e32 v2, v2, v3
	ds_bpermute_b32 v3, v8, v2
	s_wait_dscnt 0x0
	v_dual_add_f32 v2, v2, v3 :: v_dual_mov_b32 v3, 0
	ds_bpermute_b32 v2, v3, v2
	s_and_saveexec_b32 s0, s1
	s_cbranch_execz .LBB312_557
; %bb.545:
	s_wait_dscnt 0x0
	v_add_f32_e32 v2, 0x358637bd, v2
	s_mov_b32 s3, -1
	s_mov_b32 s1, exec_lo
	s_delay_alu instid0(VALU_DEP_1) | instskip(NEXT) | instid1(VALU_DEP_1)
	v_div_scale_f32 v3, null, v2, v2, 1.0
	v_rcp_f32_e32 v5, v3
	v_nop
	s_delay_alu instid0(TRANS32_DEP_1) | instskip(NEXT) | instid1(VALU_DEP_1)
	v_fma_f32 v4, -v3, v5, 1.0
	v_fmac_f32_e32 v5, v4, v5
	v_div_scale_f32 v6, vcc_lo, 1.0, v2, 1.0
	s_delay_alu instid0(VALU_DEP_1) | instskip(NEXT) | instid1(VALU_DEP_1)
	v_mul_f32_e32 v7, v6, v5
	v_fma_f32 v4, -v3, v7, v6
	s_delay_alu instid0(VALU_DEP_1) | instskip(SKIP_1) | instid1(VALU_DEP_2)
	v_fmac_f32_e32 v7, v4, v5
	v_xad_u32 v4, v0, -1, s19
	v_fma_f32 v3, -v3, v7, v6
	s_delay_alu instid0(VALU_DEP_1) | instskip(NEXT) | instid1(VALU_DEP_1)
	v_div_fmas_f32 v3, v3, v5, v7
	v_div_fixup_f32 v2, v3, v2, 1.0
	v_mov_b32_e32 v3, v0
	v_cmpx_lt_u32_e32 0x7f, v4
	s_cbranch_execz .LBB312_554
; %bb.546:
	s_delay_alu instid0(VALU_DEP_3) | instskip(NEXT) | instid1(VALU_DEP_1)
	v_dual_mov_b32 v3, v2 :: v_dual_lshrrev_b32 v4, 7, v4
	v_dual_mov_b32 v8, 0 :: v_dual_add_nc_u32 v5, -1, v4
	s_delay_alu instid0(VALU_DEP_1) | instskip(SKIP_1) | instid1(VALU_DEP_2)
	v_lshrrev_b32_e32 v6, 1, v5
	v_cmp_lt_u32_e32 vcc_lo, 13, v5
	v_add_nc_u32_e32 v5, 1, v6
	s_and_saveexec_b32 s3, vcc_lo
	s_cbranch_execz .LBB312_550
; %bb.547:
	s_delay_alu instid0(VALU_DEP_1)
	v_and_b32_e32 v6, -8, v5
	v_lshl_add_u32 v7, v0, 2, 0x220
	s_mov_b32 s27, 0
	s_mov_b32 s28, 0
.LBB312_548:                            ; =>This Inner Loop Header: Depth=1
	ds_load_2addr_stride64_b32 v[8:9], v7 offset1:2
	ds_load_2addr_stride64_b32 v[10:11], v7 offset0:4 offset1:6
	ds_load_2addr_stride64_b32 v[12:13], v7 offset0:8 offset1:10
	ds_load_2addr_stride64_b32 v[14:15], v7 offset0:12 offset1:14
	ds_load_2addr_stride64_b32 v[16:17], v7 offset0:16 offset1:18
	ds_load_2addr_stride64_b32 v[18:19], v7 offset0:20 offset1:22
	ds_load_2addr_stride64_b32 v[20:21], v7 offset0:24 offset1:26
	ds_load_2addr_stride64_b32 v[22:23], v7 offset0:28 offset1:30
	s_add_co_i32 s28, s28, 16
	v_add_nc_u32_e32 v6, -8, v6
	s_wait_dscnt 0x7
	v_pk_mul_f32 v[8:9], v[2:3], v[8:9]
	s_wait_dscnt 0x6
	v_pk_mul_f32 v[10:11], v[2:3], v[10:11]
	;; [unrolled: 2-line block ×8, first 2 shown]
	ds_store_2addr_stride64_b32 v7, v8, v9 offset1:2
	ds_store_2addr_stride64_b32 v7, v10, v11 offset0:4 offset1:6
	ds_store_2addr_stride64_b32 v7, v12, v13 offset0:8 offset1:10
	;; [unrolled: 1-line block ×7, first 2 shown]
	v_mov_b32_e32 v8, s28
	v_cmp_eq_u32_e32 vcc_lo, 0, v6
	v_add_nc_u32_e32 v7, 0x2000, v7
	s_or_b32 s27, vcc_lo, s27
	s_delay_alu instid0(SALU_CYCLE_1)
	s_and_not1_b32 exec_lo, exec_lo, s27
	s_cbranch_execnz .LBB312_548
; %bb.549:
	s_or_b32 exec_lo, exec_lo, s27
.LBB312_550:
	s_delay_alu instid0(SALU_CYCLE_1) | instskip(NEXT) | instid1(VALU_DEP_1)
	s_or_b32 exec_lo, exec_lo, s3
	v_and_b32_e32 v5, 7, v5
	s_mov_b32 s27, 0
	s_mov_b32 s3, exec_lo
	s_delay_alu instid0(VALU_DEP_1)
	v_cmpx_ne_u32_e32 0, v5
	s_cbranch_execz .LBB312_553
; %bb.551:
	v_lshlrev_b32_e32 v6, 9, v8
	v_lshlrev_b32_e32 v7, 2, v0
	s_delay_alu instid0(VALU_DEP_1)
	v_add3_u32 v6, v6, v7, 0x220
.LBB312_552:                            ; =>This Inner Loop Header: Depth=1
	ds_load_2addr_stride64_b32 v[8:9], v6 offset1:2
	v_add_nc_u32_e32 v5, -1, v5
	s_delay_alu instid0(VALU_DEP_1)
	v_cmp_eq_u32_e32 vcc_lo, 0, v5
	s_or_b32 s27, vcc_lo, s27
	s_wait_dscnt 0x0
	v_pk_mul_f32 v[8:9], v[2:3], v[8:9]
	ds_store_2addr_stride64_b32 v6, v8, v9 offset1:2
	v_add_nc_u32_e32 v6, 0x400, v6
	s_and_not1_b32 exec_lo, exec_lo, s27
	s_cbranch_execnz .LBB312_552
.LBB312_553:
	s_or_b32 exec_lo, exec_lo, s3
	v_add_nc_u32_e32 v3, 1, v4
	s_delay_alu instid0(VALU_DEP_1) | instskip(NEXT) | instid1(VALU_DEP_1)
	v_and_b32_e32 v4, 0x3fffffe, v3
	v_cmp_ne_u32_e32 vcc_lo, v3, v4
	v_lshl_add_u32 v3, v4, 7, v0
	s_or_not1_b32 s3, vcc_lo, exec_lo
.LBB312_554:
	s_or_b32 exec_lo, exec_lo, s1
	s_delay_alu instid0(SALU_CYCLE_1)
	s_and_b32 exec_lo, exec_lo, s3
	s_cbranch_execz .LBB312_557
; %bb.555:
	v_lshl_add_u32 v4, v3, 2, 0x220
	s_mov_b32 s1, 0
.LBB312_556:                            ; =>This Inner Loop Header: Depth=1
	ds_load_b32 v5, v4
	v_add_nc_u32_e32 v3, 0x80, v3
	s_delay_alu instid0(VALU_DEP_1)
	v_cmp_le_i32_e32 vcc_lo, s19, v3
	s_or_b32 s1, vcc_lo, s1
	s_wait_dscnt 0x0
	v_mul_f32_e32 v5, v2, v5
	ds_store_b32 v4, v5
	v_add_nc_u32_e32 v4, 0x200, v4
	s_and_not1_b32 exec_lo, exec_lo, s1
	s_cbranch_execnz .LBB312_556
.LBB312_557:
	s_or_b32 exec_lo, exec_lo, s0
	v_mov_b64_e32 v[16:17], 0
	v_mov_b64_e32 v[12:13], 0
	;; [unrolled: 1-line block ×4, first 2 shown]
	s_wait_dscnt 0x0
	s_barrier_signal -1
	s_barrier_wait -1
	s_and_saveexec_b32 s1, s2
	s_cbranch_execz .LBB312_1059
; %bb.558:
	s_abs_i32 s14, s14
	v_dual_mov_b32 v19, 0 :: v_dual_lshlrev_b32 v18, 3, v32
	s_cvt_f32_u32 s0, s14
	s_ashr_i32 s19, s18, 31
	s_lshl_b64 s[24:25], s[24:25], 2
	s_wait_kmcnt 0x0
	s_add_nc_u64 s[8:9], s[8:9], s[18:19]
	v_rcp_iflag_f32_e32 v2, s0
	v_add_nc_u64_e32 v[20:21], s[8:9], v[18:19]
	v_and_b32_e32 v18, 0x7c, v27
	s_add_nc_u64 s[8:9], s[22:23], s[24:25]
	s_sub_co_i32 s18, 0, s14
	v_mov_b64_e32 v[10:11], 0
	v_mov_b64_e32 v[14:15], 0
	v_readfirstlane_b32 s0, v2
	v_mov_b64_e32 v[12:13], 0
	v_mov_b64_e32 v[16:17], 0
	v_add_nc_u64_e32 v[22:23], s[8:9], v[18:19]
	v_lshl_add_u32 v33, v1, 5, 0x220
	s_mul_f32 s0, s0, 0x4f7ffffe
	v_mov_b32_e32 v34, v1
	s_mov_b32 s9, 0
	s_sub_co_i32 s13, s26, s13
	s_cvt_u32_f32 s0, s0
	s_add_co_i32 s26, s12, -1
	s_mov_b64 s[2:3], 0xffffffffffffff
	s_delay_alu instid0(SALU_CYCLE_1) | instskip(NEXT) | instid1(SALU_CYCLE_1)
	s_mul_i32 s18, s18, s0
	s_mul_hi_u32 s8, s0, s18
	s_mov_b32 s18, s9
	s_add_co_i32 s8, s0, s8
	s_branch .LBB312_561
.LBB312_559:                            ;   in Loop: Header=BB312_561 Depth=1
	s_or_b32 exec_lo, exec_lo, s0
	s_wait_dscnt 0x1
	v_cvt_pk_bf16_f32 v6, v6, v7
	v_perm_b32 v7, v93, v94, 0x5040100
	v_cvt_pk_bf16_f32 v8, v8, v9
	v_perm_b32 v9, v91, v92, 0x5040100
	s_wait_dscnt 0x0
	v_cvt_pk_bf16_f32 v42, v2, v3
	v_perm_b32 v2, v89, v90, 0x5040100
	v_pk_mul_bf16 v7, v6, v7
	v_cvt_pk_bf16_f32 v3, v4, v5
	v_pk_mul_bf16 v9, v8, v9
	v_perm_b32 v4, v31, v30, 0x5040100
	v_pk_mul_bf16 v2, v42, v2
	v_lshlrev_b32_e32 v43, 16, v7
	v_and_b32_e32 v7, 0xffff0000, v7
	v_lshlrev_b32_e32 v44, 16, v9
	v_and_b32_e32 v9, 0xffff0000, v9
	v_pk_mul_bf16 v4, v3, v4
	v_perm_b32 v30, v85, v86, 0x5040100
	v_add_f32_e32 v5, v43, v7
	v_perm_b32 v43, v77, v78, 0x5040100
	v_dual_add_f32 v7, v44, v9 :: v_dual_lshlrev_b32 v9, 16, v2
	v_and_b32_e32 v2, 0xffff0000, v2
	v_perm_b32 v47, v50, v49, 0x5040100
	s_delay_alu instid0(VALU_DEP_3) | instskip(SKIP_1) | instid1(VALU_DEP_4)
	v_add_f32_e32 v5, v7, v5
	v_perm_b32 v7, v87, v88, 0x5040100
	v_dual_add_f32 v2, v9, v2 :: v_dual_lshlrev_b32 v9, 16, v4
	v_and_b32_e32 v4, 0xffff0000, v4
	s_delay_alu instid0(VALU_DEP_3) | instskip(NEXT) | instid1(VALU_DEP_3)
	v_pk_mul_bf16 v7, v6, v7
	v_add_f32_e32 v2, v2, v5
	v_pk_mul_bf16 v5, v8, v30
	s_delay_alu instid0(VALU_DEP_4)
	v_add_f32_e32 v4, v9, v4
	v_perm_b32 v9, v83, v84, 0x5040100
	v_lshlrev_b32_e32 v30, 16, v7
	v_and_b32_e32 v7, 0xffff0000, v7
	v_lshlrev_b32_e32 v31, 16, v5
	v_and_b32_e32 v5, 0xffff0000, v5
	v_add_f32_e32 v2, v4, v2
	v_pk_mul_bf16 v4, v42, v9
	v_add_f32_e32 v7, v30, v7
	v_perm_b32 v30, v79, v80, 0x5040100
	v_add_f32_e32 v5, v31, v5
	v_perm_b32 v9, v82, v81, 0x5040100
	v_lshlrev_b32_e32 v31, 16, v4
	v_and_b32_e32 v4, 0xffff0000, v4
	v_pk_mul_bf16 v30, v6, v30
	v_add_f32_e32 v5, v5, v7
	v_pk_mul_bf16 v7, v8, v43
	v_pk_mul_bf16 v9, v3, v9
	v_add_f32_e32 v4, v31, v4
	v_perm_b32 v31, v75, v76, 0x5040100
	s_delay_alu instid0(VALU_DEP_4) | instskip(SKIP_2) | instid1(VALU_DEP_4)
	v_dual_lshlrev_b32 v43, 16, v30 :: v_dual_lshlrev_b32 v44, 16, v7
	v_and_b32_e32 v30, 0xffff0000, v30
	v_and_b32_e32 v7, 0xffff0000, v7
	v_pk_mul_bf16 v31, v42, v31
	v_add_f32_e32 v4, v4, v5
	v_perm_b32 v5, v74, v73, 0x5040100
	s_delay_alu instid0(VALU_DEP_4) | instskip(NEXT) | instid1(VALU_DEP_4)
	v_dual_add_f32 v30, v43, v30 :: v_dual_add_f32 v7, v44, v7
	v_dual_lshlrev_b32 v44, 16, v9 :: v_dual_lshlrev_b32 v43, 16, v31
	v_and_b32_e32 v31, 0xffff0000, v31
	s_delay_alu instid0(VALU_DEP_4) | instskip(SKIP_2) | instid1(VALU_DEP_4)
	v_pk_mul_bf16 v5, v3, v5
	v_and_b32_e32 v9, 0xffff0000, v9
	v_add_f32_e32 v7, v7, v30
	v_dual_add_f32 v2, v16, v2 :: v_dual_add_f32 v30, v43, v31
	s_delay_alu instid0(VALU_DEP_4)
	v_lshlrev_b32_e32 v31, 16, v5
	v_and_b32_e32 v5, 0xffff0000, v5
	v_add_f32_e32 v9, v44, v9
	v_perm_b32 v43, v71, v72, 0x5040100
	v_add_f32_e32 v7, v30, v7
	v_perm_b32 v30, v69, v70, 0x5040100
	v_add_f32_e32 v5, v31, v5
	s_delay_alu instid0(VALU_DEP_4) | instskip(SKIP_1) | instid1(VALU_DEP_4)
	v_pk_mul_bf16 v31, v6, v43
	v_add_f32_e32 v4, v9, v4
	v_pk_mul_bf16 v9, v8, v30
	s_delay_alu instid0(VALU_DEP_4)
	v_add_f32_e32 v5, v5, v7
	v_perm_b32 v7, v67, v68, 0x5040100
	v_lshlrev_b32_e32 v30, 16, v31
	v_and_b32_e32 v31, 0xffff0000, v31
	v_lshlrev_b32_e32 v43, 16, v9
	v_and_b32_e32 v9, 0xffff0000, v9
	v_dual_add_f32 v13, v13, v4 :: v_dual_add_f32 v12, v12, v5
	v_pk_mul_bf16 v4, v42, v7
	s_delay_alu instid0(VALU_DEP_3) | instskip(SKIP_2) | instid1(VALU_DEP_4)
	v_dual_add_f32 v5, v30, v31 :: v_dual_add_f32 v7, v43, v9
	v_perm_b32 v9, v63, v64, 0x5040100
	v_perm_b32 v31, v61, v62, 0x5040100
	v_lshlrev_b32_e32 v30, 16, v4
	v_and_b32_e32 v4, 0xffff0000, v4
	v_add_f32_e32 v5, v7, v5
	v_pk_mul_bf16 v9, v6, v9
	v_pk_mul_bf16 v7, v8, v31
	v_perm_b32 v43, v66, v65, 0x5040100
	v_add_f32_e32 v4, v30, v4
	v_perm_b32 v30, v59, v60, 0x5040100
	v_lshlrev_b32_e32 v31, 16, v9
	v_and_b32_e32 v9, 0xffff0000, v9
	s_delay_alu instid0(VALU_DEP_4)
	v_dual_add_f32 v45, v4, v5 :: v_dual_lshlrev_b32 v44, 16, v7
	v_and_b32_e32 v7, 0xffff0000, v7
	v_pk_mul_bf16 v30, v42, v30
	v_pk_mul_bf16 v43, v3, v43
	v_add_f32_e32 v4, v31, v9
	v_perm_b32 v31, v58, v57, 0x5040100
	s_delay_alu instid0(VALU_DEP_4) | instskip(SKIP_3) | instid1(VALU_DEP_3)
	v_dual_add_f32 v5, v44, v7 :: v_dual_lshlrev_b32 v7, 16, v30
	v_and_b32_e32 v9, 0xffff0000, v30
	v_lshlrev_b32_e32 v30, 16, v43
	v_and_b32_e32 v43, 0xffff0000, v43
	v_dual_add_f32 v4, v5, v4 :: v_dual_add_f32 v5, v7, v9
	v_perm_b32 v7, v55, v56, 0x5040100
	v_pk_mul_bf16 v9, v3, v31
	v_perm_b32 v31, v53, v54, 0x5040100
	s_delay_alu instid0(VALU_DEP_4) | instskip(NEXT) | instid1(VALU_DEP_4)
	v_dual_add_f32 v30, v30, v43 :: v_dual_add_f32 v43, v5, v4
	v_pk_mul_bf16 v4, v6, v7
	s_delay_alu instid0(VALU_DEP_4) | instskip(NEXT) | instid1(VALU_DEP_4)
	v_lshlrev_b32_e32 v5, 16, v9
	v_pk_mul_bf16 v7, v8, v31
	v_and_b32_e32 v9, 0xffff0000, v9
	v_perm_b32 v31, v51, v52, 0x5040100
	v_lshlrev_b32_e32 v44, 16, v4
	v_and_b32_e32 v4, 0xffff0000, v4
	s_delay_alu instid0(VALU_DEP_4) | instskip(SKIP_2) | instid1(VALU_DEP_4)
	v_dual_lshlrev_b32 v46, 16, v7 :: v_dual_add_f32 v48, v5, v9
	v_and_b32_e32 v7, 0xffff0000, v7
	v_pk_mul_bf16 v31, v42, v31
	v_add_f32_e32 v4, v44, v4
	v_perm_b32 v9, v40, v41, 0x5040100
	v_pk_mul_bf16 v44, v3, v47
	v_add_f32_e32 v5, v46, v7
	v_lshlrev_b32_e32 v7, 16, v31
	v_and_b32_e32 v31, 0xffff0000, v31
	v_pk_mul_bf16 v9, v6, v9
	s_delay_alu instid0(VALU_DEP_4) | instskip(SKIP_4) | instid1(VALU_DEP_4)
	v_add_f32_e32 v40, v5, v4
	v_perm_b32 v5, v36, v37, 0x5040100
	v_perm_b32 v4, v38, v39, 0x5040100
	v_dual_add_f32 v31, v7, v31 :: v_dual_lshlrev_b32 v36, 16, v44
	v_perm_b32 v7, v28, v97, 0x5040100
	v_pk_mul_bf16 v37, v42, v5
	v_perm_b32 v5, v96, v95, 0x5040100
	v_pk_mul_bf16 v4, v8, v4
	v_lshlrev_b32_e32 v38, 16, v9
	v_and_b32_e32 v39, 0xffff0000, v9
	v_perm_b32 v9, v18, v24, 0x5040100
	v_perm_b32 v18, v29, v25, 0x5040100
	v_pk_mul_bf16 v6, v6, v5
	v_pk_mul_bf16 v8, v8, v7
	v_lshlrev_b32_e32 v41, 16, v4
	v_and_b32_e32 v28, 0xffff0000, v4
	v_pk_mul_bf16 v24, v42, v9
	v_pk_mul_bf16 v18, v3, v18
	v_and_b32_e32 v5, 0xffff0000, v6
	v_dual_lshlrev_b32 v7, 16, v6 :: v_dual_lshlrev_b32 v6, 16, v8
	v_and_b32_e32 v4, 0xffff0000, v8
	v_and_b32_e32 v9, 0xffff0000, v24
	v_dual_lshlrev_b32 v25, 16, v24 :: v_dual_lshlrev_b32 v24, 16, v18
	v_and_b32_e32 v8, 0xffff0000, v18
	s_delay_alu instid0(VALU_DEP_4) | instskip(SKIP_2) | instid1(VALU_DEP_4)
	v_pk_add_f32 v[4:5], v[6:7], v[4:5]
	v_perm_b32 v18, v35, v27, 0x5040100
	v_dual_add_f32 v27, v38, v39 :: v_dual_add_f32 v28, v41, v28
	v_pk_add_f32 v[6:7], v[24:25], v[8:9]
	v_and_b32_e32 v8, 0xffff0000, v37
	v_add_f32_e32 v4, v4, v5
	v_lshlrev_b32_e32 v5, 16, v37
	v_pk_mul_bf16 v3, v3, v18
	v_and_b32_e32 v9, 0xffff0000, v44
	s_delay_alu instid0(VALU_DEP_3) | instskip(SKIP_1) | instid1(VALU_DEP_4)
	v_add_f32_e32 v5, v5, v8
	v_dual_add_f32 v4, v7, v4 :: v_dual_add_f32 v7, v28, v27
	v_lshlrev_b32_e32 v8, 16, v3
	v_and_b32_e32 v3, 0xffff0000, v3
	s_delay_alu instid0(VALU_DEP_3) | instskip(SKIP_2) | instid1(VALU_DEP_4)
	v_add_f32_e32 v4, v6, v4
	v_dual_add_f32 v6, v31, v40 :: v_dual_add_f32 v9, v36, v9
	v_add_f32_e32 v7, v5, v7
	v_add_f32_e32 v3, v8, v3
	s_delay_alu instid0(VALU_DEP_4) | instskip(SKIP_1) | instid1(VALU_DEP_3)
	v_pk_add_f32 v[4:5], v[16:17], v[4:5] op_sel_hi:[1,0]
	v_dual_add_f32 v4, v30, v45 :: v_dual_add_f32 v8, v48, v43
	v_dual_add_f32 v6, v9, v6 :: v_dual_add_f32 v7, v3, v7
	s_delay_alu instid0(VALU_DEP_2) | instskip(NEXT) | instid1(VALU_DEP_2)
	v_dual_mov_b32 v3, v5 :: v_dual_add_f32 v15, v15, v4
	v_dual_add_f32 v14, v14, v8 :: v_dual_add_f32 v11, v11, v6
	s_delay_alu instid0(VALU_DEP_3) | instskip(NEXT) | instid1(VALU_DEP_3)
	v_add_f32_e32 v10, v10, v7
	v_mov_b64_e32 v[16:17], v[2:3]
.LBB312_560:                            ;   in Loop: Header=BB312_561 Depth=1
	s_or_b32 exec_lo, exec_lo, s19
	v_add_nc_u32_e32 v34, 4, v34
	v_add_nc_u64_e32 v[22:23], 16, v[22:23]
	v_add_nc_u32_e32 v26, 32, v26
	v_add_nc_u32_e32 v33, 0x80, v33
	s_delay_alu instid0(VALU_DEP_4) | instskip(SKIP_1) | instid1(SALU_CYCLE_1)
	v_cmp_le_i32_e32 vcc_lo, s12, v34
	s_or_b32 s18, vcc_lo, s18
	s_and_not1_b32 exec_lo, exec_lo, s18
	s_cbranch_execz .LBB312_1058
.LBB312_561:                            ; =>This Inner Loop Header: Depth=1
	v_mov_b32_e32 v27, v19
	s_delay_alu instid0(VALU_DEP_1) | instskip(NEXT) | instid1(VALU_DEP_1)
	v_mul_u64_e32 v[2:3], s[20:21], v[26:27]
	v_mul_lo_u32 v2, v3, s16
	s_delay_alu instid0(VALU_DEP_1) | instskip(NEXT) | instid1(VALU_DEP_1)
	v_sub_nc_u32_e32 v2, v26, v2
	v_subrev_nc_u32_e32 v5, s16, v2
	v_cmp_le_u32_e32 vcc_lo, s16, v2
	s_delay_alu instid0(VALU_DEP_2) | instskip(NEXT) | instid1(VALU_DEP_1)
	v_dual_add_nc_u32 v4, 1, v3 :: v_dual_cndmask_b32 v2, v2, v5, vcc_lo
	v_cndmask_b32_e32 v3, v3, v4, vcc_lo
	s_delay_alu instid0(VALU_DEP_2) | instskip(NEXT) | instid1(VALU_DEP_2)
	v_cmp_le_u32_e32 vcc_lo, s16, v2
	v_add_nc_u32_e32 v4, 1, v3
	s_delay_alu instid0(VALU_DEP_1) | instskip(NEXT) | instid1(VALU_DEP_1)
	v_cndmask_b32_e32 v2, v3, v4, vcc_lo
	v_xor_b32_e32 v2, s15, v2
	s_delay_alu instid0(VALU_DEP_1) | instskip(NEXT) | instid1(VALU_DEP_1)
	v_subrev_nc_u32_e32 v4, s15, v2
	v_add_nc_u32_e32 v5, s35, v4
	v_cmp_lt_i32_e64 s0, s13, v4
	s_delay_alu instid0(VALU_DEP_2) | instskip(NEXT) | instid1(VALU_DEP_1)
	v_sub_nc_u32_e32 v2, 0, v5
	v_dual_ashrrev_i32 v5, 31, v5 :: v_dual_max_i32 v18, v5, v2
	s_delay_alu instid0(VALU_DEP_1) | instskip(NEXT) | instid1(VALU_DEP_1)
	v_mul_u64_e32 v[2:3], s[8:9], v[18:19]
	v_mul_lo_u32 v2, v3, s14
	s_delay_alu instid0(VALU_DEP_1) | instskip(NEXT) | instid1(VALU_DEP_1)
	v_sub_nc_u32_e32 v2, v18, v2
	v_subrev_nc_u32_e32 v3, s14, v2
	v_cmp_le_u32_e32 vcc_lo, s14, v2
	s_delay_alu instid0(VALU_DEP_2) | instskip(NEXT) | instid1(VALU_DEP_1)
	v_cndmask_b32_e32 v2, v2, v3, vcc_lo
	v_subrev_nc_u32_e32 v3, s14, v2
	v_cmp_le_u32_e32 vcc_lo, s14, v2
	s_delay_alu instid0(VALU_DEP_2) | instskip(NEXT) | instid1(VALU_DEP_1)
	v_cndmask_b32_e32 v2, v2, v3, vcc_lo
	v_xor_b32_e32 v2, v2, v5
	s_delay_alu instid0(VALU_DEP_1) | instskip(NEXT) | instid1(VALU_DEP_1)
	v_sub_nc_u32_e32 v2, v2, v5
	v_cmp_eq_u32_e32 vcc_lo, 0, v2
	s_or_b32 s0, vcc_lo, s0
	s_delay_alu instid0(SALU_CYCLE_1)
	s_and_saveexec_b32 s19, s0
	s_cbranch_execz .LBB312_560
; %bb.562:                              ;   in Loop: Header=BB312_561 Depth=1
	global_load_b32 v2, v[22:23], off
	v_dual_mov_b32 v35, 0 :: v_dual_mov_b32 v27, 0
	s_mov_b32 s0, exec_lo
	s_wait_loadcnt 0x0
	v_mad_nc_i64_i32 v[24:25], v2, s17, v[20:21]
	global_load_b64 v[28:29], v[24:25], off
	ds_load_2addr_b64 v[6:9], v33 offset1:1
	ds_load_2addr_b64 v[2:5], v33 offset0:2 offset1:3
	s_load_b32 s22, s[10:11], 0x0
	s_wait_loadcnt 0x0
	v_and_b32_e32 v18, 0xff, v28
	s_delay_alu instid0(VALU_DEP_1)
	v_cmpx_ne_u16_e32 0, v18
	s_cbranch_execz .LBB312_568
; %bb.563:                              ;   in Loop: Header=BB312_561 Depth=1
	v_bfrev_b32_e32 v27, 1
	s_mov_b32 s23, exec_lo
	v_cmpx_ne_u16_e32 0x80, v18
	s_cbranch_execz .LBB312_567
; %bb.564:                              ;   in Loop: Header=BB312_561 Depth=1
	v_and_b32_e32 v18, 0x7f, v28
	v_mov_b32_e32 v27, 0x7f800001
	s_mov_b32 s24, exec_lo
	s_delay_alu instid0(VALU_DEP_2)
	v_cmpx_ne_u32_e32 0x7f, v18
	s_cbranch_execz .LBB312_566
; %bb.565:                              ;   in Loop: Header=BB312_561 Depth=1
	v_dual_lshrrev_b32 v30, 3, v18 :: v_dual_bitop2_b32 v27, 7, v28 bitop3:0x40
	v_cmp_gt_u32_e32 vcc_lo, 8, v18
	s_delay_alu instid0(VALU_DEP_2) | instskip(NEXT) | instid1(VALU_DEP_1)
	v_clz_i32_u32_e32 v27, v27
	v_min_u32_e32 v27, 32, v27
	s_delay_alu instid0(VALU_DEP_1) | instskip(SKIP_1) | instid1(VALU_DEP_1)
	v_subrev_nc_u32_e32 v31, 28, v27
	v_sub_nc_u32_e32 v27, 29, v27
	v_cndmask_b32_e32 v18, v30, v27, vcc_lo
	s_delay_alu instid0(VALU_DEP_3) | instskip(NEXT) | instid1(VALU_DEP_1)
	v_cndmask_b32_e32 v27, 0, v31, vcc_lo
	v_lshlrev_b64_e32 v[30:31], v27, v[28:29]
	v_lshlrev_b32_e32 v27, 24, v28
	s_delay_alu instid0(VALU_DEP_4) | instskip(NEXT) | instid1(VALU_DEP_2)
	v_lshl_add_u32 v18, v18, 23, 0x3c000000
	v_and_b32_e32 v27, 0x80000000, v27
	s_delay_alu instid0(VALU_DEP_4) | instskip(NEXT) | instid1(VALU_DEP_1)
	v_lshlrev_b32_e32 v30, 20, v30
	v_and_b32_e32 v30, 0x700000, v30
	s_delay_alu instid0(VALU_DEP_1)
	v_or3_b32 v27, v30, v27, v18
.LBB312_566:                            ;   in Loop: Header=BB312_561 Depth=1
	s_or_b32 exec_lo, exec_lo, s24
.LBB312_567:                            ;   in Loop: Header=BB312_561 Depth=1
	s_delay_alu instid0(SALU_CYCLE_1)
	s_or_b32 exec_lo, exec_lo, s23
.LBB312_568:                            ;   in Loop: Header=BB312_561 Depth=1
	s_delay_alu instid0(SALU_CYCLE_1) | instskip(SKIP_2) | instid1(VALU_DEP_1)
	s_or_b32 exec_lo, exec_lo, s0
	v_lshrrev_b16 v18, 8, v28
	s_mov_b32 s0, exec_lo
	v_cmpx_ne_u16_e32 0, v18
	s_cbranch_execz .LBB312_576
; %bb.569:                              ;   in Loop: Header=BB312_561 Depth=1
	v_bfrev_b32_e32 v35, 1
	s_mov_b32 s23, exec_lo
	v_cmpx_ne_u16_e32 0x80, v18
	s_cbranch_execz .LBB312_575
; %bb.570:                              ;   in Loop: Header=BB312_561 Depth=1
	v_and_b32_e32 v18, 0xffff, v18
	v_mov_b32_e32 v35, 0x7f800001
	s_mov_b32 s24, exec_lo
	s_delay_alu instid0(VALU_DEP_2) | instskip(NEXT) | instid1(VALU_DEP_1)
	v_and_b32_e32 v31, 0x7f, v18
	v_cmpx_ne_u32_e32 0x7f, v31
	s_cbranch_execz .LBB312_574
; %bb.571:                              ;   in Loop: Header=BB312_561 Depth=1
	v_dual_lshrrev_b32 v30, 3, v31 :: v_dual_bitop2_b32 v18, 7, v18 bitop3:0x40
	s_mov_b32 s25, exec_lo
	v_cmpx_gt_u32_e32 8, v31
; %bb.572:                              ;   in Loop: Header=BB312_561 Depth=1
	s_delay_alu instid0(VALU_DEP_2) | instskip(NEXT) | instid1(VALU_DEP_1)
	v_clz_i32_u32_e32 v30, v18
	v_min_u32_e32 v30, 32, v30
	s_delay_alu instid0(VALU_DEP_1) | instskip(NEXT) | instid1(VALU_DEP_1)
	v_subrev_nc_u32_e32 v31, 28, v30
	v_lshlrev_b64_e32 v[36:37], v31, v[18:19]
	s_delay_alu instid0(VALU_DEP_1)
	v_dual_sub_nc_u32 v30, 29, v30 :: v_dual_bitop2_b32 v18, 7, v36 bitop3:0x40
; %bb.573:                              ;   in Loop: Header=BB312_561 Depth=1
	s_or_b32 exec_lo, exec_lo, s25
	s_delay_alu instid0(VALU_DEP_1) | instskip(NEXT) | instid1(VALU_DEP_2)
	v_dual_lshlrev_b32 v31, 16, v28 :: v_dual_lshlrev_b32 v18, 20, v18
	v_lshl_add_u32 v30, v30, 23, 0x3c000000
	s_delay_alu instid0(VALU_DEP_2) | instskip(NEXT) | instid1(VALU_DEP_1)
	v_and_b32_e32 v31, 0x80000000, v31
	v_or3_b32 v35, v18, v31, v30
.LBB312_574:                            ;   in Loop: Header=BB312_561 Depth=1
	s_or_b32 exec_lo, exec_lo, s24
.LBB312_575:                            ;   in Loop: Header=BB312_561 Depth=1
	s_delay_alu instid0(SALU_CYCLE_1)
	s_or_b32 exec_lo, exec_lo, s23
.LBB312_576:                            ;   in Loop: Header=BB312_561 Depth=1
	s_delay_alu instid0(SALU_CYCLE_1) | instskip(SKIP_3) | instid1(VALU_DEP_2)
	s_or_b32 exec_lo, exec_lo, s0
	v_dual_lshrrev_b32 v30, 16, v28 :: v_dual_mov_b32 v38, 0
	v_mov_b32_e32 v39, 0
	s_mov_b32 s0, exec_lo
	v_and_b32_e32 v18, 0xff, v30
	s_delay_alu instid0(VALU_DEP_1)
	v_cmpx_ne_u16_e32 0, v18
	s_cbranch_execz .LBB312_584
; %bb.577:                              ;   in Loop: Header=BB312_561 Depth=1
	v_bfrev_b32_e32 v39, 1
	s_mov_b32 s23, exec_lo
	v_cmpx_ne_u16_e32 0x80, v18
	s_cbranch_execz .LBB312_583
; %bb.578:                              ;   in Loop: Header=BB312_561 Depth=1
	v_bfe_u32 v36, v28, 16, 7
	v_mov_b32_e32 v39, 0x7f800001
	s_mov_b32 s24, exec_lo
	s_delay_alu instid0(VALU_DEP_2)
	v_cmpx_ne_u32_e32 0x7f, v36
	s_cbranch_execz .LBB312_582
; %bb.579:                              ;   in Loop: Header=BB312_561 Depth=1
	v_dual_lshrrev_b32 v31, 3, v36 :: v_dual_bitop2_b32 v18, 7, v30 bitop3:0x40
	s_mov_b32 s25, exec_lo
	v_cmpx_gt_u32_e32 8, v36
; %bb.580:                              ;   in Loop: Header=BB312_561 Depth=1
	s_delay_alu instid0(VALU_DEP_2) | instskip(NEXT) | instid1(VALU_DEP_1)
	v_clz_i32_u32_e32 v31, v18
	v_min_u32_e32 v31, 32, v31
	s_delay_alu instid0(VALU_DEP_1) | instskip(NEXT) | instid1(VALU_DEP_1)
	v_subrev_nc_u32_e32 v36, 28, v31
	v_lshlrev_b64_e32 v[36:37], v36, v[18:19]
	s_delay_alu instid0(VALU_DEP_1)
	v_dual_sub_nc_u32 v31, 29, v31 :: v_dual_bitop2_b32 v18, 7, v36 bitop3:0x40
; %bb.581:                              ;   in Loop: Header=BB312_561 Depth=1
	s_or_b32 exec_lo, exec_lo, s25
	v_lshlrev_b32_e32 v30, 24, v30
	s_delay_alu instid0(VALU_DEP_2) | instskip(NEXT) | instid1(VALU_DEP_3)
	v_lshlrev_b32_e32 v18, 20, v18
	v_lshl_add_u32 v31, v31, 23, 0x3c000000
	s_delay_alu instid0(VALU_DEP_3) | instskip(NEXT) | instid1(VALU_DEP_1)
	v_and_b32_e32 v30, 0x80000000, v30
	v_or3_b32 v39, v18, v30, v31
.LBB312_582:                            ;   in Loop: Header=BB312_561 Depth=1
	s_or_b32 exec_lo, exec_lo, s24
.LBB312_583:                            ;   in Loop: Header=BB312_561 Depth=1
	s_delay_alu instid0(SALU_CYCLE_1)
	s_or_b32 exec_lo, exec_lo, s23
.LBB312_584:                            ;   in Loop: Header=BB312_561 Depth=1
	s_delay_alu instid0(SALU_CYCLE_1) | instskip(NEXT) | instid1(SALU_CYCLE_1)
	s_or_b32 exec_lo, exec_lo, s0
	s_mov_b32 s0, exec_lo
	v_cmpx_lt_u32_e32 0xffffff, v28
	s_cbranch_execz .LBB312_592
; %bb.585:                              ;   in Loop: Header=BB312_561 Depth=1
	v_lshrrev_b32_e32 v30, 24, v28
	v_bfrev_b32_e32 v38, 1
	s_mov_b32 s23, exec_lo
	s_delay_alu instid0(VALU_DEP_2)
	v_cmpx_ne_u32_e32 0x80, v30
	s_cbranch_execz .LBB312_591
; %bb.586:                              ;   in Loop: Header=BB312_561 Depth=1
	v_bfe_u32 v36, v28, 24, 7
	v_mov_b32_e32 v38, 0x7f800001
	s_mov_b32 s24, exec_lo
	s_delay_alu instid0(VALU_DEP_2)
	v_cmpx_ne_u32_e32 0x7f, v36
	s_cbranch_execz .LBB312_590
; %bb.587:                              ;   in Loop: Header=BB312_561 Depth=1
	v_dual_lshrrev_b32 v31, 3, v36 :: v_dual_bitop2_b32 v18, 7, v30 bitop3:0x40
	s_mov_b32 s25, exec_lo
	v_cmpx_gt_u32_e32 8, v36
; %bb.588:                              ;   in Loop: Header=BB312_561 Depth=1
	s_delay_alu instid0(VALU_DEP_2) | instskip(NEXT) | instid1(VALU_DEP_1)
	v_clz_i32_u32_e32 v31, v18
	v_min_u32_e32 v31, 32, v31
	s_delay_alu instid0(VALU_DEP_1) | instskip(NEXT) | instid1(VALU_DEP_1)
	v_subrev_nc_u32_e32 v36, 28, v31
	v_lshlrev_b64_e32 v[36:37], v36, v[18:19]
	s_delay_alu instid0(VALU_DEP_1)
	v_dual_sub_nc_u32 v31, 29, v31 :: v_dual_bitop2_b32 v18, 7, v36 bitop3:0x40
; %bb.589:                              ;   in Loop: Header=BB312_561 Depth=1
	s_or_b32 exec_lo, exec_lo, s25
	v_lshlrev_b32_e32 v30, 24, v30
	s_delay_alu instid0(VALU_DEP_2) | instskip(NEXT) | instid1(VALU_DEP_3)
	v_lshlrev_b32_e32 v18, 20, v18
	v_lshl_add_u32 v31, v31, 23, 0x3c000000
	s_delay_alu instid0(VALU_DEP_3) | instskip(NEXT) | instid1(VALU_DEP_1)
	v_and_b32_e32 v30, 0x80000000, v30
	v_or3_b32 v38, v18, v30, v31
.LBB312_590:                            ;   in Loop: Header=BB312_561 Depth=1
	s_or_b32 exec_lo, exec_lo, s24
.LBB312_591:                            ;   in Loop: Header=BB312_561 Depth=1
	s_delay_alu instid0(SALU_CYCLE_1)
	s_or_b32 exec_lo, exec_lo, s23
.LBB312_592:                            ;   in Loop: Header=BB312_561 Depth=1
	s_delay_alu instid0(SALU_CYCLE_1) | instskip(SKIP_4) | instid1(VALU_DEP_3)
	s_or_b32 exec_lo, exec_lo, s0
	v_and_b32_e32 v31, 0xff, v29
	v_dual_mov_b32 v18, v29 :: v_dual_mov_b32 v30, 0
	v_mov_b32_e32 v37, 0
	s_mov_b32 s0, exec_lo
	v_cmpx_ne_u16_e32 0, v31
	s_cbranch_execz .LBB312_598
; %bb.593:                              ;   in Loop: Header=BB312_561 Depth=1
	v_bfrev_b32_e32 v37, 1
	s_mov_b32 s23, exec_lo
	v_cmpx_ne_u16_e32 0x80, v31
	s_cbranch_execz .LBB312_597
; %bb.594:                              ;   in Loop: Header=BB312_561 Depth=1
	v_and_b32_e32 v31, 0x7f, v29
	v_mov_b32_e32 v37, 0x7f800001
	s_mov_b32 s24, exec_lo
	s_delay_alu instid0(VALU_DEP_2)
	v_cmpx_ne_u32_e32 0x7f, v31
	s_cbranch_execz .LBB312_596
; %bb.595:                              ;   in Loop: Header=BB312_561 Depth=1
	v_dual_lshrrev_b32 v37, 3, v31 :: v_dual_bitop2_b32 v36, 7, v29 bitop3:0x40
	v_cmp_gt_u32_e32 vcc_lo, 8, v31
	s_delay_alu instid0(VALU_DEP_2) | instskip(NEXT) | instid1(VALU_DEP_1)
	v_clz_i32_u32_e32 v36, v36
	v_min_u32_e32 v36, 32, v36
	s_delay_alu instid0(VALU_DEP_1) | instskip(SKIP_1) | instid1(VALU_DEP_1)
	v_subrev_nc_u32_e32 v40, 28, v36
	v_sub_nc_u32_e32 v36, 29, v36
	v_cndmask_b32_e32 v31, v37, v36, vcc_lo
	s_delay_alu instid0(VALU_DEP_3) | instskip(NEXT) | instid1(VALU_DEP_1)
	v_cndmask_b32_e32 v36, 0, v40, vcc_lo
	v_lshlrev_b64_e32 v[36:37], v36, v[18:19]
	v_lshlrev_b32_e32 v37, 24, v18
	s_delay_alu instid0(VALU_DEP_1) | instskip(NEXT) | instid1(VALU_DEP_3)
	v_and_b32_e32 v37, 0x80000000, v37
	v_lshlrev_b32_e32 v36, 20, v36
	v_lshl_add_u32 v31, v31, 23, 0x3c000000
	s_delay_alu instid0(VALU_DEP_2) | instskip(NEXT) | instid1(VALU_DEP_1)
	v_and_b32_e32 v36, 0x700000, v36
	v_or3_b32 v37, v36, v37, v31
.LBB312_596:                            ;   in Loop: Header=BB312_561 Depth=1
	s_or_b32 exec_lo, exec_lo, s24
.LBB312_597:                            ;   in Loop: Header=BB312_561 Depth=1
	s_delay_alu instid0(SALU_CYCLE_1)
	s_or_b32 exec_lo, exec_lo, s23
.LBB312_598:                            ;   in Loop: Header=BB312_561 Depth=1
	s_delay_alu instid0(SALU_CYCLE_1) | instskip(SKIP_2) | instid1(VALU_DEP_1)
	s_or_b32 exec_lo, exec_lo, s0
	v_lshrrev_b16 v31, 8, v18
	s_mov_b32 s0, exec_lo
	v_cmpx_ne_u16_e32 0, v31
	s_cbranch_execz .LBB312_606
; %bb.599:                              ;   in Loop: Header=BB312_561 Depth=1
	v_bfrev_b32_e32 v30, 1
	s_mov_b32 s23, exec_lo
	v_cmpx_ne_u16_e32 0x80, v31
	s_cbranch_execz .LBB312_605
; %bb.600:                              ;   in Loop: Header=BB312_561 Depth=1
	v_and_b32_e32 v31, 0xffff, v31
	v_mov_b32_e32 v30, 0x7f800001
	s_mov_b32 s24, exec_lo
	s_delay_alu instid0(VALU_DEP_2) | instskip(NEXT) | instid1(VALU_DEP_1)
	v_and_b32_e32 v40, 0x7f, v31
	v_cmpx_ne_u32_e32 0x7f, v40
	s_cbranch_execz .LBB312_604
; %bb.601:                              ;   in Loop: Header=BB312_561 Depth=1
	v_dual_mov_b32 v31, v19 :: v_dual_bitop2_b32 v30, 7, v31 bitop3:0x40
	v_lshrrev_b32_e32 v36, 3, v40
	s_mov_b32 s25, exec_lo
	v_cmpx_gt_u32_e32 8, v40
; %bb.602:                              ;   in Loop: Header=BB312_561 Depth=1
	s_delay_alu instid0(VALU_DEP_3) | instskip(NEXT) | instid1(VALU_DEP_1)
	v_clz_i32_u32_e32 v36, v30
	v_min_u32_e32 v36, 32, v36
	s_delay_alu instid0(VALU_DEP_1) | instskip(NEXT) | instid1(VALU_DEP_1)
	v_subrev_nc_u32_e32 v40, 28, v36
	v_lshlrev_b64_e32 v[30:31], v40, v[30:31]
	s_delay_alu instid0(VALU_DEP_1)
	v_dual_sub_nc_u32 v36, 29, v36 :: v_dual_bitop2_b32 v30, 7, v30 bitop3:0x40
; %bb.603:                              ;   in Loop: Header=BB312_561 Depth=1
	s_or_b32 exec_lo, exec_lo, s25
	v_lshlrev_b32_e32 v18, 16, v18
	s_delay_alu instid0(VALU_DEP_2) | instskip(NEXT) | instid1(VALU_DEP_3)
	v_lshlrev_b32_e32 v30, 20, v30
	v_lshl_add_u32 v31, v36, 23, 0x3c000000
	s_delay_alu instid0(VALU_DEP_3) | instskip(NEXT) | instid1(VALU_DEP_1)
	v_and_b32_e32 v18, 0x80000000, v18
	v_or3_b32 v30, v30, v18, v31
.LBB312_604:                            ;   in Loop: Header=BB312_561 Depth=1
	s_or_b32 exec_lo, exec_lo, s24
.LBB312_605:                            ;   in Loop: Header=BB312_561 Depth=1
	s_delay_alu instid0(SALU_CYCLE_1)
	s_or_b32 exec_lo, exec_lo, s23
.LBB312_606:                            ;   in Loop: Header=BB312_561 Depth=1
	s_delay_alu instid0(SALU_CYCLE_1) | instskip(SKIP_3) | instid1(VALU_DEP_2)
	s_or_b32 exec_lo, exec_lo, s0
	v_dual_mov_b32 v31, 0 :: v_dual_lshrrev_b32 v36, 16, v29
	v_mov_b32_e32 v42, 0
	s_mov_b32 s0, exec_lo
	v_and_b32_e32 v18, 0xff, v36
	s_delay_alu instid0(VALU_DEP_1)
	v_cmpx_ne_u16_e32 0, v18
	s_cbranch_execz .LBB312_614
; %bb.607:                              ;   in Loop: Header=BB312_561 Depth=1
	v_bfrev_b32_e32 v42, 1
	s_mov_b32 s23, exec_lo
	v_cmpx_ne_u16_e32 0x80, v18
	s_cbranch_execz .LBB312_613
; %bb.608:                              ;   in Loop: Header=BB312_561 Depth=1
	v_bfe_u32 v41, v29, 16, 7
	v_mov_b32_e32 v42, 0x7f800001
	s_mov_b32 s24, exec_lo
	s_delay_alu instid0(VALU_DEP_2)
	v_cmpx_ne_u32_e32 0x7f, v41
	s_cbranch_execz .LBB312_612
; %bb.609:                              ;   in Loop: Header=BB312_561 Depth=1
	v_dual_lshrrev_b32 v40, 3, v41 :: v_dual_bitop2_b32 v18, 7, v36 bitop3:0x40
	s_mov_b32 s25, exec_lo
	v_cmpx_gt_u32_e32 8, v41
; %bb.610:                              ;   in Loop: Header=BB312_561 Depth=1
	s_delay_alu instid0(VALU_DEP_2) | instskip(NEXT) | instid1(VALU_DEP_1)
	v_clz_i32_u32_e32 v40, v18
	v_min_u32_e32 v40, 32, v40
	s_delay_alu instid0(VALU_DEP_1) | instskip(NEXT) | instid1(VALU_DEP_1)
	v_subrev_nc_u32_e32 v41, 28, v40
	v_lshlrev_b64_e32 v[42:43], v41, v[18:19]
	s_delay_alu instid0(VALU_DEP_1)
	v_dual_sub_nc_u32 v40, 29, v40 :: v_dual_bitop2_b32 v18, 7, v42 bitop3:0x40
; %bb.611:                              ;   in Loop: Header=BB312_561 Depth=1
	s_or_b32 exec_lo, exec_lo, s25
	s_delay_alu instid0(VALU_DEP_1) | instskip(NEXT) | instid1(VALU_DEP_2)
	v_dual_lshlrev_b32 v36, 24, v36 :: v_dual_lshlrev_b32 v18, 20, v18
	v_lshl_add_u32 v40, v40, 23, 0x3c000000
	s_delay_alu instid0(VALU_DEP_2) | instskip(NEXT) | instid1(VALU_DEP_1)
	v_and_b32_e32 v36, 0x80000000, v36
	v_or3_b32 v42, v18, v36, v40
.LBB312_612:                            ;   in Loop: Header=BB312_561 Depth=1
	s_or_b32 exec_lo, exec_lo, s24
.LBB312_613:                            ;   in Loop: Header=BB312_561 Depth=1
	s_delay_alu instid0(SALU_CYCLE_1)
	s_or_b32 exec_lo, exec_lo, s23
.LBB312_614:                            ;   in Loop: Header=BB312_561 Depth=1
	s_delay_alu instid0(SALU_CYCLE_1) | instskip(NEXT) | instid1(SALU_CYCLE_1)
	s_or_b32 exec_lo, exec_lo, s0
	s_mov_b32 s0, exec_lo
	v_cmpx_lt_u64_e64 s[2:3], v[28:29]
	s_cbranch_execz .LBB312_622
; %bb.615:                              ;   in Loop: Header=BB312_561 Depth=1
	v_lshrrev_b32_e32 v28, 24, v29
	v_bfrev_b32_e32 v31, 1
	s_mov_b32 s23, exec_lo
	s_delay_alu instid0(VALU_DEP_2)
	v_cmpx_ne_u32_e32 0x80, v28
	s_cbranch_execz .LBB312_621
; %bb.616:                              ;   in Loop: Header=BB312_561 Depth=1
	v_bfe_u32 v36, v29, 24, 7
	v_mov_b32_e32 v31, 0x7f800001
	s_mov_b32 s24, exec_lo
	s_delay_alu instid0(VALU_DEP_2)
	v_cmpx_ne_u32_e32 0x7f, v36
	s_cbranch_execz .LBB312_620
; %bb.617:                              ;   in Loop: Header=BB312_561 Depth=1
	v_and_b32_e32 v18, 7, v28
	v_lshrrev_b32_e32 v29, 3, v36
	s_mov_b32 s25, exec_lo
	v_cmpx_gt_u32_e32 8, v36
; %bb.618:                              ;   in Loop: Header=BB312_561 Depth=1
	s_delay_alu instid0(VALU_DEP_3) | instskip(NEXT) | instid1(VALU_DEP_1)
	v_clz_i32_u32_e32 v29, v18
	v_min_u32_e32 v29, 32, v29
	s_delay_alu instid0(VALU_DEP_1) | instskip(NEXT) | instid1(VALU_DEP_1)
	v_subrev_nc_u32_e32 v31, 28, v29
	v_lshlrev_b64_e32 v[40:41], v31, v[18:19]
	s_delay_alu instid0(VALU_DEP_1)
	v_dual_sub_nc_u32 v29, 29, v29 :: v_dual_bitop2_b32 v18, 7, v40 bitop3:0x40
; %bb.619:                              ;   in Loop: Header=BB312_561 Depth=1
	s_or_b32 exec_lo, exec_lo, s25
	s_delay_alu instid0(VALU_DEP_1) | instskip(NEXT) | instid1(VALU_DEP_2)
	v_dual_lshlrev_b32 v28, 24, v28 :: v_dual_lshlrev_b32 v18, 20, v18
	v_lshl_add_u32 v29, v29, 23, 0x3c000000
	s_delay_alu instid0(VALU_DEP_2) | instskip(NEXT) | instid1(VALU_DEP_1)
	v_and_b32_e32 v28, 0x80000000, v28
	v_or3_b32 v31, v18, v28, v29
.LBB312_620:                            ;   in Loop: Header=BB312_561 Depth=1
	s_or_b32 exec_lo, exec_lo, s24
.LBB312_621:                            ;   in Loop: Header=BB312_561 Depth=1
	s_delay_alu instid0(SALU_CYCLE_1)
	s_or_b32 exec_lo, exec_lo, s23
.LBB312_622:                            ;   in Loop: Header=BB312_561 Depth=1
	s_delay_alu instid0(SALU_CYCLE_1)
	s_or_b32 exec_lo, exec_lo, s0
	v_cmp_eq_u32_e32 vcc_lo, s26, v34
	s_wait_kmcnt 0x0
	v_fma_mixlo_bf16 v36, s22, v30, 0
	v_fma_mixlo_bf16 v37, s22, v37, 0
	;; [unrolled: 1-line block ×8, first 2 shown]
	v_dual_add_nc_u32 v48, 1, v26 :: v_dual_add_nc_u32 v47, 2, v26
	v_dual_add_nc_u32 v46, 3, v26 :: v_dual_add_nc_u32 v45, 4, v26
	v_dual_add_nc_u32 v44, 5, v26 :: v_dual_add_nc_u32 v43, 6, v26
	v_add_nc_u32_e32 v42, 7, v26
	s_and_saveexec_b32 s23, vcc_lo
	s_cbranch_execz .LBB312_624
; %bb.623:                              ;   in Loop: Header=BB312_561 Depth=1
	v_cmp_gt_i32_e64 s0, s34, v26
	s_delay_alu instid0(VALU_DEP_1) | instskip(SKIP_1) | instid1(VALU_DEP_1)
	v_cndmask_b32_e64 v41, 0, v41, s0
	v_cmp_gt_i32_e64 s0, s34, v48
	v_cndmask_b32_e64 v40, 0, v40, s0
	v_cmp_gt_i32_e64 s0, s34, v47
	s_delay_alu instid0(VALU_DEP_1) | instskip(SKIP_1) | instid1(VALU_DEP_1)
	v_cndmask_b32_e64 v39, 0, v39, s0
	v_cmp_gt_i32_e64 s0, s34, v46
	v_cndmask_b32_e64 v38, 0, v38, s0
	;; [unrolled: 5-line block ×4, first 2 shown]
.LBB312_624:                            ;   in Loop: Header=BB312_561 Depth=1
	s_or_b32 exec_lo, exec_lo, s23
	global_load_b64 v[28:29], v[24:25], off offset:256
	v_dual_mov_b32 v50, 0 :: v_dual_mov_b32 v49, 0
	s_mov_b32 s23, exec_lo
	s_wait_loadcnt 0x0
	v_and_b32_e32 v18, 0xff, v28
	s_delay_alu instid0(VALU_DEP_1)
	v_cmpx_ne_u16_e32 0, v18
	s_cbranch_execz .LBB312_630
; %bb.625:                              ;   in Loop: Header=BB312_561 Depth=1
	v_bfrev_b32_e32 v49, 1
	s_mov_b32 s24, exec_lo
	v_cmpx_ne_u16_e32 0x80, v18
	s_cbranch_execz .LBB312_629
; %bb.626:                              ;   in Loop: Header=BB312_561 Depth=1
	v_and_b32_e32 v18, 0x7f, v28
	v_mov_b32_e32 v49, 0x7f800001
	s_mov_b32 s25, exec_lo
	s_delay_alu instid0(VALU_DEP_2)
	v_cmpx_ne_u32_e32 0x7f, v18
	s_cbranch_execz .LBB312_628
; %bb.627:                              ;   in Loop: Header=BB312_561 Depth=1
	v_dual_lshrrev_b32 v31, 3, v18 :: v_dual_bitop2_b32 v30, 7, v28 bitop3:0x40
	v_cmp_gt_u32_e64 s0, 8, v18
	s_delay_alu instid0(VALU_DEP_2) | instskip(NEXT) | instid1(VALU_DEP_1)
	v_clz_i32_u32_e32 v30, v30
	v_min_u32_e32 v30, 32, v30
	s_delay_alu instid0(VALU_DEP_1) | instskip(SKIP_1) | instid1(VALU_DEP_1)
	v_subrev_nc_u32_e32 v49, 28, v30
	v_sub_nc_u32_e32 v30, 29, v30
	v_dual_cndmask_b32 v18, v31, v30, s0 :: v_dual_cndmask_b32 v30, 0, v49, s0
	s_delay_alu instid0(VALU_DEP_1) | instskip(NEXT) | instid1(VALU_DEP_2)
	v_lshl_add_u32 v18, v18, 23, 0x3c000000
	v_lshlrev_b64_e32 v[30:31], v30, v[28:29]
	v_lshlrev_b32_e32 v31, 24, v28
	s_delay_alu instid0(VALU_DEP_1) | instskip(NEXT) | instid1(VALU_DEP_3)
	v_and_b32_e32 v31, 0x80000000, v31
	v_lshlrev_b32_e32 v30, 20, v30
	s_delay_alu instid0(VALU_DEP_1) | instskip(NEXT) | instid1(VALU_DEP_1)
	v_and_b32_e32 v30, 0x700000, v30
	v_or3_b32 v49, v30, v31, v18
.LBB312_628:                            ;   in Loop: Header=BB312_561 Depth=1
	s_or_b32 exec_lo, exec_lo, s25
.LBB312_629:                            ;   in Loop: Header=BB312_561 Depth=1
	s_delay_alu instid0(SALU_CYCLE_1)
	s_or_b32 exec_lo, exec_lo, s24
.LBB312_630:                            ;   in Loop: Header=BB312_561 Depth=1
	s_delay_alu instid0(SALU_CYCLE_1) | instskip(SKIP_2) | instid1(VALU_DEP_1)
	s_or_b32 exec_lo, exec_lo, s23
	v_lshrrev_b16 v18, 8, v28
	s_mov_b32 s23, exec_lo
	v_cmpx_ne_u16_e32 0, v18
	s_cbranch_execz .LBB312_638
; %bb.631:                              ;   in Loop: Header=BB312_561 Depth=1
	v_bfrev_b32_e32 v50, 1
	s_mov_b32 s24, exec_lo
	v_cmpx_ne_u16_e32 0x80, v18
	s_cbranch_execz .LBB312_637
; %bb.632:                              ;   in Loop: Header=BB312_561 Depth=1
	v_and_b32_e32 v18, 0xffff, v18
	v_mov_b32_e32 v50, 0x7f800001
	s_mov_b32 s25, exec_lo
	s_delay_alu instid0(VALU_DEP_2) | instskip(NEXT) | instid1(VALU_DEP_1)
	v_and_b32_e32 v31, 0x7f, v18
	v_cmpx_ne_u32_e32 0x7f, v31
	s_cbranch_execz .LBB312_636
; %bb.633:                              ;   in Loop: Header=BB312_561 Depth=1
	v_dual_lshrrev_b32 v30, 3, v31 :: v_dual_bitop2_b32 v18, 7, v18 bitop3:0x40
	s_mov_b32 s27, exec_lo
	v_cmpx_gt_u32_e32 8, v31
; %bb.634:                              ;   in Loop: Header=BB312_561 Depth=1
	s_delay_alu instid0(VALU_DEP_2) | instskip(NEXT) | instid1(VALU_DEP_1)
	v_clz_i32_u32_e32 v30, v18
	v_min_u32_e32 v30, 32, v30
	s_delay_alu instid0(VALU_DEP_1) | instskip(SKIP_1) | instid1(VALU_DEP_2)
	v_subrev_nc_u32_e32 v31, 28, v30
	v_sub_nc_u32_e32 v30, 29, v30
	v_lshlrev_b64_e32 v[50:51], v31, v[18:19]
	s_delay_alu instid0(VALU_DEP_1)
	v_and_b32_e32 v18, 7, v50
; %bb.635:                              ;   in Loop: Header=BB312_561 Depth=1
	s_or_b32 exec_lo, exec_lo, s27
	s_delay_alu instid0(VALU_DEP_1) | instskip(SKIP_1) | instid1(VALU_DEP_2)
	v_dual_lshlrev_b32 v31, 16, v28 :: v_dual_lshlrev_b32 v18, 20, v18
	v_lshl_add_u32 v30, v30, 23, 0x3c000000
	v_and_b32_e32 v31, 0x80000000, v31
	s_delay_alu instid0(VALU_DEP_1)
	v_or3_b32 v50, v18, v31, v30
.LBB312_636:                            ;   in Loop: Header=BB312_561 Depth=1
	s_or_b32 exec_lo, exec_lo, s25
.LBB312_637:                            ;   in Loop: Header=BB312_561 Depth=1
	s_delay_alu instid0(SALU_CYCLE_1)
	s_or_b32 exec_lo, exec_lo, s24
.LBB312_638:                            ;   in Loop: Header=BB312_561 Depth=1
	s_delay_alu instid0(SALU_CYCLE_1) | instskip(SKIP_3) | instid1(VALU_DEP_2)
	s_or_b32 exec_lo, exec_lo, s23
	v_dual_mov_b32 v53, 0 :: v_dual_lshrrev_b32 v30, 16, v28
	v_mov_b32_e32 v54, 0
	s_mov_b32 s23, exec_lo
	v_and_b32_e32 v18, 0xff, v30
	s_delay_alu instid0(VALU_DEP_1)
	v_cmpx_ne_u16_e32 0, v18
	s_cbranch_execz .LBB312_646
; %bb.639:                              ;   in Loop: Header=BB312_561 Depth=1
	v_bfrev_b32_e32 v54, 1
	s_mov_b32 s24, exec_lo
	v_cmpx_ne_u16_e32 0x80, v18
	s_cbranch_execz .LBB312_645
; %bb.640:                              ;   in Loop: Header=BB312_561 Depth=1
	v_bfe_u32 v51, v28, 16, 7
	v_mov_b32_e32 v54, 0x7f800001
	s_mov_b32 s25, exec_lo
	s_delay_alu instid0(VALU_DEP_2)
	v_cmpx_ne_u32_e32 0x7f, v51
	s_cbranch_execz .LBB312_644
; %bb.641:                              ;   in Loop: Header=BB312_561 Depth=1
	v_dual_lshrrev_b32 v31, 3, v51 :: v_dual_bitop2_b32 v18, 7, v30 bitop3:0x40
	s_mov_b32 s27, exec_lo
	v_cmpx_gt_u32_e32 8, v51
; %bb.642:                              ;   in Loop: Header=BB312_561 Depth=1
	s_delay_alu instid0(VALU_DEP_2) | instskip(NEXT) | instid1(VALU_DEP_1)
	v_clz_i32_u32_e32 v31, v18
	v_min_u32_e32 v31, 32, v31
	s_delay_alu instid0(VALU_DEP_1) | instskip(NEXT) | instid1(VALU_DEP_1)
	v_subrev_nc_u32_e32 v51, 28, v31
	v_lshlrev_b64_e32 v[54:55], v51, v[18:19]
	s_delay_alu instid0(VALU_DEP_1)
	v_dual_sub_nc_u32 v31, 29, v31 :: v_dual_bitop2_b32 v18, 7, v54 bitop3:0x40
; %bb.643:                              ;   in Loop: Header=BB312_561 Depth=1
	s_or_b32 exec_lo, exec_lo, s27
	v_lshlrev_b32_e32 v30, 24, v30
	s_delay_alu instid0(VALU_DEP_2) | instskip(NEXT) | instid1(VALU_DEP_3)
	v_lshlrev_b32_e32 v18, 20, v18
	v_lshl_add_u32 v31, v31, 23, 0x3c000000
	s_delay_alu instid0(VALU_DEP_3) | instskip(NEXT) | instid1(VALU_DEP_1)
	v_and_b32_e32 v30, 0x80000000, v30
	v_or3_b32 v54, v18, v30, v31
.LBB312_644:                            ;   in Loop: Header=BB312_561 Depth=1
	s_or_b32 exec_lo, exec_lo, s25
.LBB312_645:                            ;   in Loop: Header=BB312_561 Depth=1
	s_delay_alu instid0(SALU_CYCLE_1)
	s_or_b32 exec_lo, exec_lo, s24
.LBB312_646:                            ;   in Loop: Header=BB312_561 Depth=1
	s_delay_alu instid0(SALU_CYCLE_1) | instskip(NEXT) | instid1(SALU_CYCLE_1)
	s_or_b32 exec_lo, exec_lo, s23
	s_mov_b32 s23, exec_lo
	v_cmpx_lt_u32_e32 0xffffff, v28
	s_cbranch_execz .LBB312_654
; %bb.647:                              ;   in Loop: Header=BB312_561 Depth=1
	v_lshrrev_b32_e32 v30, 24, v28
	v_bfrev_b32_e32 v53, 1
	s_mov_b32 s24, exec_lo
	s_delay_alu instid0(VALU_DEP_2)
	v_cmpx_ne_u32_e32 0x80, v30
	s_cbranch_execz .LBB312_653
; %bb.648:                              ;   in Loop: Header=BB312_561 Depth=1
	v_bfe_u32 v51, v28, 24, 7
	v_mov_b32_e32 v53, 0x7f800001
	s_mov_b32 s25, exec_lo
	s_delay_alu instid0(VALU_DEP_2)
	v_cmpx_ne_u32_e32 0x7f, v51
	s_cbranch_execz .LBB312_652
; %bb.649:                              ;   in Loop: Header=BB312_561 Depth=1
	v_dual_lshrrev_b32 v31, 3, v51 :: v_dual_bitop2_b32 v18, 7, v30 bitop3:0x40
	s_mov_b32 s27, exec_lo
	v_cmpx_gt_u32_e32 8, v51
; %bb.650:                              ;   in Loop: Header=BB312_561 Depth=1
	s_delay_alu instid0(VALU_DEP_2) | instskip(NEXT) | instid1(VALU_DEP_1)
	v_clz_i32_u32_e32 v31, v18
	v_min_u32_e32 v31, 32, v31
	s_delay_alu instid0(VALU_DEP_1) | instskip(NEXT) | instid1(VALU_DEP_1)
	v_subrev_nc_u32_e32 v51, 28, v31
	v_lshlrev_b64_e32 v[52:53], v51, v[18:19]
	s_delay_alu instid0(VALU_DEP_1)
	v_dual_sub_nc_u32 v31, 29, v31 :: v_dual_bitop2_b32 v18, 7, v52 bitop3:0x40
; %bb.651:                              ;   in Loop: Header=BB312_561 Depth=1
	s_or_b32 exec_lo, exec_lo, s27
	v_lshlrev_b32_e32 v30, 24, v30
	s_delay_alu instid0(VALU_DEP_2) | instskip(NEXT) | instid1(VALU_DEP_3)
	v_lshlrev_b32_e32 v18, 20, v18
	v_lshl_add_u32 v31, v31, 23, 0x3c000000
	s_delay_alu instid0(VALU_DEP_3) | instskip(NEXT) | instid1(VALU_DEP_1)
	v_and_b32_e32 v30, 0x80000000, v30
	v_or3_b32 v53, v18, v30, v31
.LBB312_652:                            ;   in Loop: Header=BB312_561 Depth=1
	s_or_b32 exec_lo, exec_lo, s25
.LBB312_653:                            ;   in Loop: Header=BB312_561 Depth=1
	s_delay_alu instid0(SALU_CYCLE_1)
	s_or_b32 exec_lo, exec_lo, s24
.LBB312_654:                            ;   in Loop: Header=BB312_561 Depth=1
	s_delay_alu instid0(SALU_CYCLE_1) | instskip(SKIP_4) | instid1(VALU_DEP_3)
	s_or_b32 exec_lo, exec_lo, s23
	v_and_b32_e32 v31, 0xff, v29
	v_dual_mov_b32 v18, v29 :: v_dual_mov_b32 v30, 0
	v_mov_b32_e32 v52, 0
	s_mov_b32 s23, exec_lo
	v_cmpx_ne_u16_e32 0, v31
	s_cbranch_execz .LBB312_660
; %bb.655:                              ;   in Loop: Header=BB312_561 Depth=1
	v_bfrev_b32_e32 v52, 1
	s_mov_b32 s24, exec_lo
	v_cmpx_ne_u16_e32 0x80, v31
	s_cbranch_execz .LBB312_659
; %bb.656:                              ;   in Loop: Header=BB312_561 Depth=1
	v_and_b32_e32 v31, 0x7f, v29
	v_mov_b32_e32 v52, 0x7f800001
	s_mov_b32 s25, exec_lo
	s_delay_alu instid0(VALU_DEP_2)
	v_cmpx_ne_u32_e32 0x7f, v31
	s_cbranch_execz .LBB312_658
; %bb.657:                              ;   in Loop: Header=BB312_561 Depth=1
	v_dual_lshrrev_b32 v52, 3, v31 :: v_dual_bitop2_b32 v51, 7, v29 bitop3:0x40
	v_cmp_gt_u32_e64 s0, 8, v31
	s_delay_alu instid0(VALU_DEP_2) | instskip(NEXT) | instid1(VALU_DEP_1)
	v_clz_i32_u32_e32 v51, v51
	v_min_u32_e32 v51, 32, v51
	s_delay_alu instid0(VALU_DEP_1) | instskip(SKIP_1) | instid1(VALU_DEP_1)
	v_subrev_nc_u32_e32 v55, 28, v51
	v_sub_nc_u32_e32 v51, 29, v51
	v_cndmask_b32_e64 v31, v52, v51, s0
	s_delay_alu instid0(VALU_DEP_3) | instskip(NEXT) | instid1(VALU_DEP_1)
	v_cndmask_b32_e64 v51, 0, v55, s0
	v_lshlrev_b64_e32 v[56:57], v51, v[18:19]
	v_lshlrev_b32_e32 v51, 24, v18
	s_delay_alu instid0(VALU_DEP_4) | instskip(NEXT) | instid1(VALU_DEP_2)
	v_lshl_add_u32 v31, v31, 23, 0x3c000000
	v_and_b32_e32 v51, 0x80000000, v51
	s_delay_alu instid0(VALU_DEP_4) | instskip(NEXT) | instid1(VALU_DEP_1)
	v_lshlrev_b32_e32 v52, 20, v56
	v_and_b32_e32 v52, 0x700000, v52
	s_delay_alu instid0(VALU_DEP_1)
	v_or3_b32 v52, v52, v51, v31
.LBB312_658:                            ;   in Loop: Header=BB312_561 Depth=1
	s_or_b32 exec_lo, exec_lo, s25
.LBB312_659:                            ;   in Loop: Header=BB312_561 Depth=1
	s_delay_alu instid0(SALU_CYCLE_1)
	s_or_b32 exec_lo, exec_lo, s24
.LBB312_660:                            ;   in Loop: Header=BB312_561 Depth=1
	s_delay_alu instid0(SALU_CYCLE_1) | instskip(SKIP_2) | instid1(VALU_DEP_1)
	s_or_b32 exec_lo, exec_lo, s23
	v_lshrrev_b16 v31, 8, v18
	s_mov_b32 s23, exec_lo
	v_cmpx_ne_u16_e32 0, v31
	s_cbranch_execz .LBB312_668
; %bb.661:                              ;   in Loop: Header=BB312_561 Depth=1
	v_bfrev_b32_e32 v30, 1
	s_mov_b32 s24, exec_lo
	v_cmpx_ne_u16_e32 0x80, v31
	s_cbranch_execz .LBB312_667
; %bb.662:                              ;   in Loop: Header=BB312_561 Depth=1
	v_and_b32_e32 v31, 0xffff, v31
	v_mov_b32_e32 v30, 0x7f800001
	s_mov_b32 s25, exec_lo
	s_delay_alu instid0(VALU_DEP_2) | instskip(NEXT) | instid1(VALU_DEP_1)
	v_and_b32_e32 v55, 0x7f, v31
	v_cmpx_ne_u32_e32 0x7f, v55
	s_cbranch_execz .LBB312_666
; %bb.663:                              ;   in Loop: Header=BB312_561 Depth=1
	v_dual_mov_b32 v31, v19 :: v_dual_bitop2_b32 v30, 7, v31 bitop3:0x40
	v_lshrrev_b32_e32 v51, 3, v55
	s_mov_b32 s27, exec_lo
	v_cmpx_gt_u32_e32 8, v55
; %bb.664:                              ;   in Loop: Header=BB312_561 Depth=1
	s_delay_alu instid0(VALU_DEP_3) | instskip(NEXT) | instid1(VALU_DEP_1)
	v_clz_i32_u32_e32 v51, v30
	v_min_u32_e32 v51, 32, v51
	s_delay_alu instid0(VALU_DEP_1) | instskip(NEXT) | instid1(VALU_DEP_1)
	v_subrev_nc_u32_e32 v55, 28, v51
	v_lshlrev_b64_e32 v[30:31], v55, v[30:31]
	s_delay_alu instid0(VALU_DEP_1)
	v_dual_sub_nc_u32 v51, 29, v51 :: v_dual_bitop2_b32 v30, 7, v30 bitop3:0x40
; %bb.665:                              ;   in Loop: Header=BB312_561 Depth=1
	s_or_b32 exec_lo, exec_lo, s27
	v_lshlrev_b32_e32 v18, 16, v18
	s_delay_alu instid0(VALU_DEP_2) | instskip(NEXT) | instid1(VALU_DEP_3)
	v_lshlrev_b32_e32 v30, 20, v30
	v_lshl_add_u32 v31, v51, 23, 0x3c000000
	s_delay_alu instid0(VALU_DEP_3) | instskip(NEXT) | instid1(VALU_DEP_1)
	v_and_b32_e32 v18, 0x80000000, v18
	v_or3_b32 v30, v30, v18, v31
.LBB312_666:                            ;   in Loop: Header=BB312_561 Depth=1
	s_or_b32 exec_lo, exec_lo, s25
.LBB312_667:                            ;   in Loop: Header=BB312_561 Depth=1
	s_delay_alu instid0(SALU_CYCLE_1)
	s_or_b32 exec_lo, exec_lo, s24
.LBB312_668:                            ;   in Loop: Header=BB312_561 Depth=1
	s_delay_alu instid0(SALU_CYCLE_1) | instskip(SKIP_3) | instid1(VALU_DEP_2)
	s_or_b32 exec_lo, exec_lo, s23
	v_dual_lshrrev_b32 v51, 16, v29 :: v_dual_mov_b32 v31, 0
	v_mov_b32_e32 v57, 0
	s_mov_b32 s23, exec_lo
	v_and_b32_e32 v18, 0xff, v51
	s_delay_alu instid0(VALU_DEP_1)
	v_cmpx_ne_u16_e32 0, v18
	s_cbranch_execz .LBB312_676
; %bb.669:                              ;   in Loop: Header=BB312_561 Depth=1
	v_bfrev_b32_e32 v57, 1
	s_mov_b32 s24, exec_lo
	v_cmpx_ne_u16_e32 0x80, v18
	s_cbranch_execz .LBB312_675
; %bb.670:                              ;   in Loop: Header=BB312_561 Depth=1
	v_bfe_u32 v56, v29, 16, 7
	v_mov_b32_e32 v57, 0x7f800001
	s_mov_b32 s25, exec_lo
	s_delay_alu instid0(VALU_DEP_2)
	v_cmpx_ne_u32_e32 0x7f, v56
	s_cbranch_execz .LBB312_674
; %bb.671:                              ;   in Loop: Header=BB312_561 Depth=1
	v_dual_lshrrev_b32 v55, 3, v56 :: v_dual_bitop2_b32 v18, 7, v51 bitop3:0x40
	s_mov_b32 s27, exec_lo
	v_cmpx_gt_u32_e32 8, v56
; %bb.672:                              ;   in Loop: Header=BB312_561 Depth=1
	s_delay_alu instid0(VALU_DEP_2) | instskip(NEXT) | instid1(VALU_DEP_1)
	v_clz_i32_u32_e32 v55, v18
	v_min_u32_e32 v55, 32, v55
	s_delay_alu instid0(VALU_DEP_1) | instskip(NEXT) | instid1(VALU_DEP_1)
	v_subrev_nc_u32_e32 v56, 28, v55
	v_lshlrev_b64_e32 v[56:57], v56, v[18:19]
	s_delay_alu instid0(VALU_DEP_1)
	v_dual_sub_nc_u32 v55, 29, v55 :: v_dual_bitop2_b32 v18, 7, v56 bitop3:0x40
; %bb.673:                              ;   in Loop: Header=BB312_561 Depth=1
	s_or_b32 exec_lo, exec_lo, s27
	s_delay_alu instid0(VALU_DEP_1) | instskip(NEXT) | instid1(VALU_DEP_2)
	v_dual_lshlrev_b32 v51, 24, v51 :: v_dual_lshlrev_b32 v18, 20, v18
	v_lshl_add_u32 v55, v55, 23, 0x3c000000
	s_delay_alu instid0(VALU_DEP_2) | instskip(NEXT) | instid1(VALU_DEP_1)
	v_and_b32_e32 v51, 0x80000000, v51
	v_or3_b32 v57, v18, v51, v55
.LBB312_674:                            ;   in Loop: Header=BB312_561 Depth=1
	s_or_b32 exec_lo, exec_lo, s25
.LBB312_675:                            ;   in Loop: Header=BB312_561 Depth=1
	s_delay_alu instid0(SALU_CYCLE_1)
	s_or_b32 exec_lo, exec_lo, s24
.LBB312_676:                            ;   in Loop: Header=BB312_561 Depth=1
	s_delay_alu instid0(SALU_CYCLE_1) | instskip(NEXT) | instid1(SALU_CYCLE_1)
	s_or_b32 exec_lo, exec_lo, s23
	s_mov_b32 s23, exec_lo
	v_cmpx_lt_u64_e64 s[2:3], v[28:29]
	s_cbranch_execz .LBB312_684
; %bb.677:                              ;   in Loop: Header=BB312_561 Depth=1
	v_lshrrev_b32_e32 v28, 24, v29
	v_bfrev_b32_e32 v31, 1
	s_mov_b32 s24, exec_lo
	s_delay_alu instid0(VALU_DEP_2)
	v_cmpx_ne_u32_e32 0x80, v28
	s_cbranch_execz .LBB312_683
; %bb.678:                              ;   in Loop: Header=BB312_561 Depth=1
	v_bfe_u32 v51, v29, 24, 7
	v_mov_b32_e32 v31, 0x7f800001
	s_mov_b32 s25, exec_lo
	s_delay_alu instid0(VALU_DEP_2)
	v_cmpx_ne_u32_e32 0x7f, v51
	s_cbranch_execz .LBB312_682
; %bb.679:                              ;   in Loop: Header=BB312_561 Depth=1
	v_dual_lshrrev_b32 v29, 3, v51 :: v_dual_bitop2_b32 v18, 7, v28 bitop3:0x40
	s_mov_b32 s27, exec_lo
	v_cmpx_gt_u32_e32 8, v51
; %bb.680:                              ;   in Loop: Header=BB312_561 Depth=1
	s_delay_alu instid0(VALU_DEP_2) | instskip(NEXT) | instid1(VALU_DEP_1)
	v_clz_i32_u32_e32 v29, v18
	v_min_u32_e32 v29, 32, v29
	s_delay_alu instid0(VALU_DEP_1) | instskip(NEXT) | instid1(VALU_DEP_1)
	v_subrev_nc_u32_e32 v31, 28, v29
	v_lshlrev_b64_e32 v[58:59], v31, v[18:19]
	s_delay_alu instid0(VALU_DEP_1)
	v_dual_sub_nc_u32 v29, 29, v29 :: v_dual_bitop2_b32 v18, 7, v58 bitop3:0x40
; %bb.681:                              ;   in Loop: Header=BB312_561 Depth=1
	s_or_b32 exec_lo, exec_lo, s27
	s_delay_alu instid0(VALU_DEP_1) | instskip(NEXT) | instid1(VALU_DEP_2)
	v_dual_lshlrev_b32 v28, 24, v28 :: v_dual_lshlrev_b32 v18, 20, v18
	v_lshl_add_u32 v29, v29, 23, 0x3c000000
	s_delay_alu instid0(VALU_DEP_2) | instskip(NEXT) | instid1(VALU_DEP_1)
	v_and_b32_e32 v28, 0x80000000, v28
	v_or3_b32 v31, v18, v28, v29
.LBB312_682:                            ;   in Loop: Header=BB312_561 Depth=1
	s_or_b32 exec_lo, exec_lo, s25
.LBB312_683:                            ;   in Loop: Header=BB312_561 Depth=1
	s_delay_alu instid0(SALU_CYCLE_1)
	s_or_b32 exec_lo, exec_lo, s24
.LBB312_684:                            ;   in Loop: Header=BB312_561 Depth=1
	s_delay_alu instid0(SALU_CYCLE_1)
	s_or_b32 exec_lo, exec_lo, s23
	v_fma_mixlo_bf16 v51, s22, v30, 0
	v_fma_mixlo_bf16 v52, s22, v52, 0
	;; [unrolled: 1-line block ×8, first 2 shown]
	s_and_saveexec_b32 s23, vcc_lo
	s_cbranch_execz .LBB312_686
; %bb.685:                              ;   in Loop: Header=BB312_561 Depth=1
	v_cmp_gt_i32_e64 s0, s34, v26
	s_delay_alu instid0(VALU_DEP_1) | instskip(SKIP_1) | instid1(VALU_DEP_1)
	v_cndmask_b32_e64 v56, 0, v56, s0
	v_cmp_gt_i32_e64 s0, s34, v48
	v_cndmask_b32_e64 v55, 0, v55, s0
	v_cmp_gt_i32_e64 s0, s34, v47
	s_delay_alu instid0(VALU_DEP_1) | instskip(SKIP_1) | instid1(VALU_DEP_1)
	v_cndmask_b32_e64 v54, 0, v54, s0
	v_cmp_gt_i32_e64 s0, s34, v46
	v_cndmask_b32_e64 v53, 0, v53, s0
	;; [unrolled: 5-line block ×4, first 2 shown]
.LBB312_686:                            ;   in Loop: Header=BB312_561 Depth=1
	s_or_b32 exec_lo, exec_lo, s23
	global_load_b64 v[28:29], v[24:25], off offset:512
	v_dual_mov_b32 v58, 0 :: v_dual_mov_b32 v57, 0
	s_mov_b32 s23, exec_lo
	s_wait_loadcnt 0x0
	v_and_b32_e32 v18, 0xff, v28
	s_delay_alu instid0(VALU_DEP_1)
	v_cmpx_ne_u16_e32 0, v18
	s_cbranch_execz .LBB312_692
; %bb.687:                              ;   in Loop: Header=BB312_561 Depth=1
	v_bfrev_b32_e32 v57, 1
	s_mov_b32 s24, exec_lo
	v_cmpx_ne_u16_e32 0x80, v18
	s_cbranch_execz .LBB312_691
; %bb.688:                              ;   in Loop: Header=BB312_561 Depth=1
	v_and_b32_e32 v18, 0x7f, v28
	v_mov_b32_e32 v57, 0x7f800001
	s_mov_b32 s25, exec_lo
	s_delay_alu instid0(VALU_DEP_2)
	v_cmpx_ne_u32_e32 0x7f, v18
	s_cbranch_execz .LBB312_690
; %bb.689:                              ;   in Loop: Header=BB312_561 Depth=1
	v_dual_lshrrev_b32 v31, 3, v18 :: v_dual_bitop2_b32 v30, 7, v28 bitop3:0x40
	v_cmp_gt_u32_e64 s0, 8, v18
	s_delay_alu instid0(VALU_DEP_2) | instskip(NEXT) | instid1(VALU_DEP_1)
	v_clz_i32_u32_e32 v30, v30
	v_min_u32_e32 v30, 32, v30
	s_delay_alu instid0(VALU_DEP_1) | instskip(SKIP_1) | instid1(VALU_DEP_1)
	v_subrev_nc_u32_e32 v57, 28, v30
	v_sub_nc_u32_e32 v30, 29, v30
	v_dual_cndmask_b32 v18, v31, v30, s0 :: v_dual_cndmask_b32 v30, 0, v57, s0
	s_delay_alu instid0(VALU_DEP_1) | instskip(NEXT) | instid1(VALU_DEP_2)
	v_lshl_add_u32 v18, v18, 23, 0x3c000000
	v_lshlrev_b64_e32 v[30:31], v30, v[28:29]
	v_lshlrev_b32_e32 v31, 24, v28
	s_delay_alu instid0(VALU_DEP_1) | instskip(NEXT) | instid1(VALU_DEP_3)
	v_and_b32_e32 v31, 0x80000000, v31
	v_lshlrev_b32_e32 v30, 20, v30
	s_delay_alu instid0(VALU_DEP_1) | instskip(NEXT) | instid1(VALU_DEP_1)
	v_and_b32_e32 v30, 0x700000, v30
	v_or3_b32 v57, v30, v31, v18
.LBB312_690:                            ;   in Loop: Header=BB312_561 Depth=1
	s_or_b32 exec_lo, exec_lo, s25
.LBB312_691:                            ;   in Loop: Header=BB312_561 Depth=1
	s_delay_alu instid0(SALU_CYCLE_1)
	s_or_b32 exec_lo, exec_lo, s24
.LBB312_692:                            ;   in Loop: Header=BB312_561 Depth=1
	s_delay_alu instid0(SALU_CYCLE_1) | instskip(SKIP_2) | instid1(VALU_DEP_1)
	s_or_b32 exec_lo, exec_lo, s23
	v_lshrrev_b16 v18, 8, v28
	s_mov_b32 s23, exec_lo
	v_cmpx_ne_u16_e32 0, v18
	s_cbranch_execz .LBB312_700
; %bb.693:                              ;   in Loop: Header=BB312_561 Depth=1
	v_bfrev_b32_e32 v58, 1
	s_mov_b32 s24, exec_lo
	v_cmpx_ne_u16_e32 0x80, v18
	s_cbranch_execz .LBB312_699
; %bb.694:                              ;   in Loop: Header=BB312_561 Depth=1
	v_and_b32_e32 v18, 0xffff, v18
	v_mov_b32_e32 v58, 0x7f800001
	s_mov_b32 s25, exec_lo
	s_delay_alu instid0(VALU_DEP_2) | instskip(NEXT) | instid1(VALU_DEP_1)
	v_and_b32_e32 v31, 0x7f, v18
	v_cmpx_ne_u32_e32 0x7f, v31
	s_cbranch_execz .LBB312_698
; %bb.695:                              ;   in Loop: Header=BB312_561 Depth=1
	v_dual_lshrrev_b32 v30, 3, v31 :: v_dual_bitop2_b32 v18, 7, v18 bitop3:0x40
	s_mov_b32 s27, exec_lo
	v_cmpx_gt_u32_e32 8, v31
; %bb.696:                              ;   in Loop: Header=BB312_561 Depth=1
	s_delay_alu instid0(VALU_DEP_2) | instskip(NEXT) | instid1(VALU_DEP_1)
	v_clz_i32_u32_e32 v30, v18
	v_min_u32_e32 v30, 32, v30
	s_delay_alu instid0(VALU_DEP_1) | instskip(SKIP_1) | instid1(VALU_DEP_2)
	v_subrev_nc_u32_e32 v31, 28, v30
	v_sub_nc_u32_e32 v30, 29, v30
	v_lshlrev_b64_e32 v[58:59], v31, v[18:19]
	s_delay_alu instid0(VALU_DEP_1)
	v_and_b32_e32 v18, 7, v58
; %bb.697:                              ;   in Loop: Header=BB312_561 Depth=1
	s_or_b32 exec_lo, exec_lo, s27
	s_delay_alu instid0(VALU_DEP_1) | instskip(SKIP_1) | instid1(VALU_DEP_2)
	v_dual_lshlrev_b32 v31, 16, v28 :: v_dual_lshlrev_b32 v18, 20, v18
	v_lshl_add_u32 v30, v30, 23, 0x3c000000
	v_and_b32_e32 v31, 0x80000000, v31
	s_delay_alu instid0(VALU_DEP_1)
	v_or3_b32 v58, v18, v31, v30
.LBB312_698:                            ;   in Loop: Header=BB312_561 Depth=1
	s_or_b32 exec_lo, exec_lo, s25
.LBB312_699:                            ;   in Loop: Header=BB312_561 Depth=1
	s_delay_alu instid0(SALU_CYCLE_1)
	s_or_b32 exec_lo, exec_lo, s24
.LBB312_700:                            ;   in Loop: Header=BB312_561 Depth=1
	s_delay_alu instid0(SALU_CYCLE_1) | instskip(SKIP_3) | instid1(VALU_DEP_2)
	s_or_b32 exec_lo, exec_lo, s23
	v_dual_mov_b32 v61, 0 :: v_dual_lshrrev_b32 v30, 16, v28
	v_mov_b32_e32 v62, 0
	s_mov_b32 s23, exec_lo
	v_and_b32_e32 v18, 0xff, v30
	s_delay_alu instid0(VALU_DEP_1)
	v_cmpx_ne_u16_e32 0, v18
	s_cbranch_execz .LBB312_708
; %bb.701:                              ;   in Loop: Header=BB312_561 Depth=1
	v_bfrev_b32_e32 v62, 1
	s_mov_b32 s24, exec_lo
	v_cmpx_ne_u16_e32 0x80, v18
	s_cbranch_execz .LBB312_707
; %bb.702:                              ;   in Loop: Header=BB312_561 Depth=1
	v_bfe_u32 v59, v28, 16, 7
	v_mov_b32_e32 v62, 0x7f800001
	s_mov_b32 s25, exec_lo
	s_delay_alu instid0(VALU_DEP_2)
	v_cmpx_ne_u32_e32 0x7f, v59
	s_cbranch_execz .LBB312_706
; %bb.703:                              ;   in Loop: Header=BB312_561 Depth=1
	v_dual_lshrrev_b32 v31, 3, v59 :: v_dual_bitop2_b32 v18, 7, v30 bitop3:0x40
	s_mov_b32 s27, exec_lo
	v_cmpx_gt_u32_e32 8, v59
; %bb.704:                              ;   in Loop: Header=BB312_561 Depth=1
	s_delay_alu instid0(VALU_DEP_2) | instskip(NEXT) | instid1(VALU_DEP_1)
	v_clz_i32_u32_e32 v31, v18
	v_min_u32_e32 v31, 32, v31
	s_delay_alu instid0(VALU_DEP_1) | instskip(NEXT) | instid1(VALU_DEP_1)
	v_subrev_nc_u32_e32 v59, 28, v31
	v_lshlrev_b64_e32 v[62:63], v59, v[18:19]
	s_delay_alu instid0(VALU_DEP_1)
	v_dual_sub_nc_u32 v31, 29, v31 :: v_dual_bitop2_b32 v18, 7, v62 bitop3:0x40
; %bb.705:                              ;   in Loop: Header=BB312_561 Depth=1
	s_or_b32 exec_lo, exec_lo, s27
	v_lshlrev_b32_e32 v30, 24, v30
	s_delay_alu instid0(VALU_DEP_2) | instskip(NEXT) | instid1(VALU_DEP_3)
	v_lshlrev_b32_e32 v18, 20, v18
	v_lshl_add_u32 v31, v31, 23, 0x3c000000
	s_delay_alu instid0(VALU_DEP_3) | instskip(NEXT) | instid1(VALU_DEP_1)
	v_and_b32_e32 v30, 0x80000000, v30
	v_or3_b32 v62, v18, v30, v31
.LBB312_706:                            ;   in Loop: Header=BB312_561 Depth=1
	s_or_b32 exec_lo, exec_lo, s25
.LBB312_707:                            ;   in Loop: Header=BB312_561 Depth=1
	s_delay_alu instid0(SALU_CYCLE_1)
	s_or_b32 exec_lo, exec_lo, s24
.LBB312_708:                            ;   in Loop: Header=BB312_561 Depth=1
	s_delay_alu instid0(SALU_CYCLE_1) | instskip(NEXT) | instid1(SALU_CYCLE_1)
	s_or_b32 exec_lo, exec_lo, s23
	s_mov_b32 s23, exec_lo
	v_cmpx_lt_u32_e32 0xffffff, v28
	s_cbranch_execz .LBB312_716
; %bb.709:                              ;   in Loop: Header=BB312_561 Depth=1
	v_lshrrev_b32_e32 v30, 24, v28
	v_bfrev_b32_e32 v61, 1
	s_mov_b32 s24, exec_lo
	s_delay_alu instid0(VALU_DEP_2)
	v_cmpx_ne_u32_e32 0x80, v30
	s_cbranch_execz .LBB312_715
; %bb.710:                              ;   in Loop: Header=BB312_561 Depth=1
	v_bfe_u32 v59, v28, 24, 7
	v_mov_b32_e32 v61, 0x7f800001
	s_mov_b32 s25, exec_lo
	s_delay_alu instid0(VALU_DEP_2)
	v_cmpx_ne_u32_e32 0x7f, v59
	s_cbranch_execz .LBB312_714
; %bb.711:                              ;   in Loop: Header=BB312_561 Depth=1
	v_dual_lshrrev_b32 v31, 3, v59 :: v_dual_bitop2_b32 v18, 7, v30 bitop3:0x40
	s_mov_b32 s27, exec_lo
	v_cmpx_gt_u32_e32 8, v59
; %bb.712:                              ;   in Loop: Header=BB312_561 Depth=1
	s_delay_alu instid0(VALU_DEP_2) | instskip(NEXT) | instid1(VALU_DEP_1)
	v_clz_i32_u32_e32 v31, v18
	v_min_u32_e32 v31, 32, v31
	s_delay_alu instid0(VALU_DEP_1) | instskip(NEXT) | instid1(VALU_DEP_1)
	v_subrev_nc_u32_e32 v59, 28, v31
	v_lshlrev_b64_e32 v[60:61], v59, v[18:19]
	s_delay_alu instid0(VALU_DEP_1)
	v_dual_sub_nc_u32 v31, 29, v31 :: v_dual_bitop2_b32 v18, 7, v60 bitop3:0x40
; %bb.713:                              ;   in Loop: Header=BB312_561 Depth=1
	s_or_b32 exec_lo, exec_lo, s27
	v_lshlrev_b32_e32 v30, 24, v30
	s_delay_alu instid0(VALU_DEP_2) | instskip(NEXT) | instid1(VALU_DEP_3)
	v_lshlrev_b32_e32 v18, 20, v18
	v_lshl_add_u32 v31, v31, 23, 0x3c000000
	s_delay_alu instid0(VALU_DEP_3) | instskip(NEXT) | instid1(VALU_DEP_1)
	v_and_b32_e32 v30, 0x80000000, v30
	v_or3_b32 v61, v18, v30, v31
.LBB312_714:                            ;   in Loop: Header=BB312_561 Depth=1
	s_or_b32 exec_lo, exec_lo, s25
.LBB312_715:                            ;   in Loop: Header=BB312_561 Depth=1
	s_delay_alu instid0(SALU_CYCLE_1)
	s_or_b32 exec_lo, exec_lo, s24
.LBB312_716:                            ;   in Loop: Header=BB312_561 Depth=1
	s_delay_alu instid0(SALU_CYCLE_1) | instskip(SKIP_4) | instid1(VALU_DEP_3)
	s_or_b32 exec_lo, exec_lo, s23
	v_and_b32_e32 v31, 0xff, v29
	v_dual_mov_b32 v18, v29 :: v_dual_mov_b32 v30, 0
	v_mov_b32_e32 v60, 0
	s_mov_b32 s23, exec_lo
	v_cmpx_ne_u16_e32 0, v31
	s_cbranch_execz .LBB312_722
; %bb.717:                              ;   in Loop: Header=BB312_561 Depth=1
	v_bfrev_b32_e32 v60, 1
	s_mov_b32 s24, exec_lo
	v_cmpx_ne_u16_e32 0x80, v31
	s_cbranch_execz .LBB312_721
; %bb.718:                              ;   in Loop: Header=BB312_561 Depth=1
	v_and_b32_e32 v31, 0x7f, v29
	v_mov_b32_e32 v60, 0x7f800001
	s_mov_b32 s25, exec_lo
	s_delay_alu instid0(VALU_DEP_2)
	v_cmpx_ne_u32_e32 0x7f, v31
	s_cbranch_execz .LBB312_720
; %bb.719:                              ;   in Loop: Header=BB312_561 Depth=1
	v_dual_lshrrev_b32 v60, 3, v31 :: v_dual_bitop2_b32 v59, 7, v29 bitop3:0x40
	v_cmp_gt_u32_e64 s0, 8, v31
	s_delay_alu instid0(VALU_DEP_2) | instskip(NEXT) | instid1(VALU_DEP_1)
	v_clz_i32_u32_e32 v59, v59
	v_min_u32_e32 v59, 32, v59
	s_delay_alu instid0(VALU_DEP_1) | instskip(SKIP_1) | instid1(VALU_DEP_1)
	v_subrev_nc_u32_e32 v63, 28, v59
	v_sub_nc_u32_e32 v59, 29, v59
	v_cndmask_b32_e64 v31, v60, v59, s0
	s_delay_alu instid0(VALU_DEP_3) | instskip(NEXT) | instid1(VALU_DEP_1)
	v_cndmask_b32_e64 v59, 0, v63, s0
	v_lshlrev_b64_e32 v[64:65], v59, v[18:19]
	v_lshlrev_b32_e32 v59, 24, v18
	s_delay_alu instid0(VALU_DEP_4) | instskip(NEXT) | instid1(VALU_DEP_2)
	v_lshl_add_u32 v31, v31, 23, 0x3c000000
	v_and_b32_e32 v59, 0x80000000, v59
	s_delay_alu instid0(VALU_DEP_4) | instskip(NEXT) | instid1(VALU_DEP_1)
	v_lshlrev_b32_e32 v60, 20, v64
	v_and_b32_e32 v60, 0x700000, v60
	s_delay_alu instid0(VALU_DEP_1)
	v_or3_b32 v60, v60, v59, v31
.LBB312_720:                            ;   in Loop: Header=BB312_561 Depth=1
	s_or_b32 exec_lo, exec_lo, s25
.LBB312_721:                            ;   in Loop: Header=BB312_561 Depth=1
	s_delay_alu instid0(SALU_CYCLE_1)
	s_or_b32 exec_lo, exec_lo, s24
.LBB312_722:                            ;   in Loop: Header=BB312_561 Depth=1
	s_delay_alu instid0(SALU_CYCLE_1) | instskip(SKIP_2) | instid1(VALU_DEP_1)
	s_or_b32 exec_lo, exec_lo, s23
	v_lshrrev_b16 v31, 8, v18
	s_mov_b32 s23, exec_lo
	v_cmpx_ne_u16_e32 0, v31
	s_cbranch_execz .LBB312_730
; %bb.723:                              ;   in Loop: Header=BB312_561 Depth=1
	v_bfrev_b32_e32 v30, 1
	s_mov_b32 s24, exec_lo
	v_cmpx_ne_u16_e32 0x80, v31
	s_cbranch_execz .LBB312_729
; %bb.724:                              ;   in Loop: Header=BB312_561 Depth=1
	v_and_b32_e32 v31, 0xffff, v31
	v_mov_b32_e32 v30, 0x7f800001
	s_mov_b32 s25, exec_lo
	s_delay_alu instid0(VALU_DEP_2) | instskip(NEXT) | instid1(VALU_DEP_1)
	v_and_b32_e32 v63, 0x7f, v31
	v_cmpx_ne_u32_e32 0x7f, v63
	s_cbranch_execz .LBB312_728
; %bb.725:                              ;   in Loop: Header=BB312_561 Depth=1
	v_dual_mov_b32 v31, v19 :: v_dual_bitop2_b32 v30, 7, v31 bitop3:0x40
	v_lshrrev_b32_e32 v59, 3, v63
	s_mov_b32 s27, exec_lo
	v_cmpx_gt_u32_e32 8, v63
; %bb.726:                              ;   in Loop: Header=BB312_561 Depth=1
	s_delay_alu instid0(VALU_DEP_3) | instskip(NEXT) | instid1(VALU_DEP_1)
	v_clz_i32_u32_e32 v59, v30
	v_min_u32_e32 v59, 32, v59
	s_delay_alu instid0(VALU_DEP_1) | instskip(NEXT) | instid1(VALU_DEP_1)
	v_subrev_nc_u32_e32 v63, 28, v59
	v_lshlrev_b64_e32 v[30:31], v63, v[30:31]
	s_delay_alu instid0(VALU_DEP_1)
	v_dual_sub_nc_u32 v59, 29, v59 :: v_dual_bitop2_b32 v30, 7, v30 bitop3:0x40
; %bb.727:                              ;   in Loop: Header=BB312_561 Depth=1
	s_or_b32 exec_lo, exec_lo, s27
	v_lshlrev_b32_e32 v18, 16, v18
	s_delay_alu instid0(VALU_DEP_2) | instskip(NEXT) | instid1(VALU_DEP_3)
	v_lshlrev_b32_e32 v30, 20, v30
	v_lshl_add_u32 v31, v59, 23, 0x3c000000
	s_delay_alu instid0(VALU_DEP_3) | instskip(NEXT) | instid1(VALU_DEP_1)
	v_and_b32_e32 v18, 0x80000000, v18
	v_or3_b32 v30, v30, v18, v31
.LBB312_728:                            ;   in Loop: Header=BB312_561 Depth=1
	s_or_b32 exec_lo, exec_lo, s25
.LBB312_729:                            ;   in Loop: Header=BB312_561 Depth=1
	s_delay_alu instid0(SALU_CYCLE_1)
	s_or_b32 exec_lo, exec_lo, s24
.LBB312_730:                            ;   in Loop: Header=BB312_561 Depth=1
	s_delay_alu instid0(SALU_CYCLE_1) | instskip(SKIP_3) | instid1(VALU_DEP_2)
	s_or_b32 exec_lo, exec_lo, s23
	v_dual_lshrrev_b32 v59, 16, v29 :: v_dual_mov_b32 v31, 0
	v_mov_b32_e32 v65, 0
	s_mov_b32 s23, exec_lo
	v_and_b32_e32 v18, 0xff, v59
	s_delay_alu instid0(VALU_DEP_1)
	v_cmpx_ne_u16_e32 0, v18
	s_cbranch_execz .LBB312_738
; %bb.731:                              ;   in Loop: Header=BB312_561 Depth=1
	v_bfrev_b32_e32 v65, 1
	s_mov_b32 s24, exec_lo
	v_cmpx_ne_u16_e32 0x80, v18
	s_cbranch_execz .LBB312_737
; %bb.732:                              ;   in Loop: Header=BB312_561 Depth=1
	v_bfe_u32 v64, v29, 16, 7
	v_mov_b32_e32 v65, 0x7f800001
	s_mov_b32 s25, exec_lo
	s_delay_alu instid0(VALU_DEP_2)
	v_cmpx_ne_u32_e32 0x7f, v64
	s_cbranch_execz .LBB312_736
; %bb.733:                              ;   in Loop: Header=BB312_561 Depth=1
	v_dual_lshrrev_b32 v63, 3, v64 :: v_dual_bitop2_b32 v18, 7, v59 bitop3:0x40
	s_mov_b32 s27, exec_lo
	v_cmpx_gt_u32_e32 8, v64
; %bb.734:                              ;   in Loop: Header=BB312_561 Depth=1
	s_delay_alu instid0(VALU_DEP_2) | instskip(NEXT) | instid1(VALU_DEP_1)
	v_clz_i32_u32_e32 v63, v18
	v_min_u32_e32 v63, 32, v63
	s_delay_alu instid0(VALU_DEP_1) | instskip(NEXT) | instid1(VALU_DEP_1)
	v_subrev_nc_u32_e32 v64, 28, v63
	v_lshlrev_b64_e32 v[64:65], v64, v[18:19]
	s_delay_alu instid0(VALU_DEP_1)
	v_dual_sub_nc_u32 v63, 29, v63 :: v_dual_bitop2_b32 v18, 7, v64 bitop3:0x40
; %bb.735:                              ;   in Loop: Header=BB312_561 Depth=1
	s_or_b32 exec_lo, exec_lo, s27
	s_delay_alu instid0(VALU_DEP_1) | instskip(NEXT) | instid1(VALU_DEP_2)
	v_dual_lshlrev_b32 v59, 24, v59 :: v_dual_lshlrev_b32 v18, 20, v18
	v_lshl_add_u32 v63, v63, 23, 0x3c000000
	s_delay_alu instid0(VALU_DEP_2) | instskip(NEXT) | instid1(VALU_DEP_1)
	v_and_b32_e32 v59, 0x80000000, v59
	v_or3_b32 v65, v18, v59, v63
.LBB312_736:                            ;   in Loop: Header=BB312_561 Depth=1
	s_or_b32 exec_lo, exec_lo, s25
.LBB312_737:                            ;   in Loop: Header=BB312_561 Depth=1
	s_delay_alu instid0(SALU_CYCLE_1)
	s_or_b32 exec_lo, exec_lo, s24
.LBB312_738:                            ;   in Loop: Header=BB312_561 Depth=1
	s_delay_alu instid0(SALU_CYCLE_1) | instskip(NEXT) | instid1(SALU_CYCLE_1)
	s_or_b32 exec_lo, exec_lo, s23
	s_mov_b32 s23, exec_lo
	v_cmpx_lt_u64_e64 s[2:3], v[28:29]
	s_cbranch_execz .LBB312_746
; %bb.739:                              ;   in Loop: Header=BB312_561 Depth=1
	v_lshrrev_b32_e32 v28, 24, v29
	v_bfrev_b32_e32 v31, 1
	s_mov_b32 s24, exec_lo
	s_delay_alu instid0(VALU_DEP_2)
	v_cmpx_ne_u32_e32 0x80, v28
	s_cbranch_execz .LBB312_745
; %bb.740:                              ;   in Loop: Header=BB312_561 Depth=1
	v_bfe_u32 v59, v29, 24, 7
	v_mov_b32_e32 v31, 0x7f800001
	s_mov_b32 s25, exec_lo
	s_delay_alu instid0(VALU_DEP_2)
	v_cmpx_ne_u32_e32 0x7f, v59
	s_cbranch_execz .LBB312_744
; %bb.741:                              ;   in Loop: Header=BB312_561 Depth=1
	v_dual_lshrrev_b32 v29, 3, v59 :: v_dual_bitop2_b32 v18, 7, v28 bitop3:0x40
	s_mov_b32 s27, exec_lo
	v_cmpx_gt_u32_e32 8, v59
; %bb.742:                              ;   in Loop: Header=BB312_561 Depth=1
	s_delay_alu instid0(VALU_DEP_2) | instskip(NEXT) | instid1(VALU_DEP_1)
	v_clz_i32_u32_e32 v29, v18
	v_min_u32_e32 v29, 32, v29
	s_delay_alu instid0(VALU_DEP_1) | instskip(NEXT) | instid1(VALU_DEP_1)
	v_subrev_nc_u32_e32 v31, 28, v29
	v_lshlrev_b64_e32 v[66:67], v31, v[18:19]
	s_delay_alu instid0(VALU_DEP_1)
	v_dual_sub_nc_u32 v29, 29, v29 :: v_dual_bitop2_b32 v18, 7, v66 bitop3:0x40
; %bb.743:                              ;   in Loop: Header=BB312_561 Depth=1
	s_or_b32 exec_lo, exec_lo, s27
	s_delay_alu instid0(VALU_DEP_1) | instskip(NEXT) | instid1(VALU_DEP_2)
	v_dual_lshlrev_b32 v28, 24, v28 :: v_dual_lshlrev_b32 v18, 20, v18
	v_lshl_add_u32 v29, v29, 23, 0x3c000000
	s_delay_alu instid0(VALU_DEP_2) | instskip(NEXT) | instid1(VALU_DEP_1)
	v_and_b32_e32 v28, 0x80000000, v28
	v_or3_b32 v31, v18, v28, v29
.LBB312_744:                            ;   in Loop: Header=BB312_561 Depth=1
	s_or_b32 exec_lo, exec_lo, s25
.LBB312_745:                            ;   in Loop: Header=BB312_561 Depth=1
	s_delay_alu instid0(SALU_CYCLE_1)
	s_or_b32 exec_lo, exec_lo, s24
.LBB312_746:                            ;   in Loop: Header=BB312_561 Depth=1
	s_delay_alu instid0(SALU_CYCLE_1)
	s_or_b32 exec_lo, exec_lo, s23
	v_fma_mixlo_bf16 v59, s22, v30, 0
	v_fma_mixlo_bf16 v60, s22, v60, 0
	;; [unrolled: 1-line block ×8, first 2 shown]
	s_and_saveexec_b32 s23, vcc_lo
	s_cbranch_execz .LBB312_748
; %bb.747:                              ;   in Loop: Header=BB312_561 Depth=1
	v_cmp_gt_i32_e64 s0, s34, v26
	s_delay_alu instid0(VALU_DEP_1) | instskip(SKIP_1) | instid1(VALU_DEP_1)
	v_cndmask_b32_e64 v64, 0, v64, s0
	v_cmp_gt_i32_e64 s0, s34, v48
	v_cndmask_b32_e64 v63, 0, v63, s0
	v_cmp_gt_i32_e64 s0, s34, v47
	s_delay_alu instid0(VALU_DEP_1) | instskip(SKIP_1) | instid1(VALU_DEP_1)
	v_cndmask_b32_e64 v62, 0, v62, s0
	v_cmp_gt_i32_e64 s0, s34, v46
	v_cndmask_b32_e64 v61, 0, v61, s0
	;; [unrolled: 5-line block ×4, first 2 shown]
.LBB312_748:                            ;   in Loop: Header=BB312_561 Depth=1
	s_or_b32 exec_lo, exec_lo, s23
	global_load_b64 v[28:29], v[24:25], off offset:768
	v_dual_mov_b32 v66, 0 :: v_dual_mov_b32 v65, 0
	s_mov_b32 s23, exec_lo
	s_wait_loadcnt 0x0
	v_and_b32_e32 v18, 0xff, v28
	s_delay_alu instid0(VALU_DEP_1)
	v_cmpx_ne_u16_e32 0, v18
	s_cbranch_execz .LBB312_754
; %bb.749:                              ;   in Loop: Header=BB312_561 Depth=1
	v_bfrev_b32_e32 v65, 1
	s_mov_b32 s24, exec_lo
	v_cmpx_ne_u16_e32 0x80, v18
	s_cbranch_execz .LBB312_753
; %bb.750:                              ;   in Loop: Header=BB312_561 Depth=1
	v_and_b32_e32 v18, 0x7f, v28
	v_mov_b32_e32 v65, 0x7f800001
	s_mov_b32 s25, exec_lo
	s_delay_alu instid0(VALU_DEP_2)
	v_cmpx_ne_u32_e32 0x7f, v18
	s_cbranch_execz .LBB312_752
; %bb.751:                              ;   in Loop: Header=BB312_561 Depth=1
	v_dual_lshrrev_b32 v31, 3, v18 :: v_dual_bitop2_b32 v30, 7, v28 bitop3:0x40
	v_cmp_gt_u32_e64 s0, 8, v18
	s_delay_alu instid0(VALU_DEP_2) | instskip(NEXT) | instid1(VALU_DEP_1)
	v_clz_i32_u32_e32 v30, v30
	v_min_u32_e32 v30, 32, v30
	s_delay_alu instid0(VALU_DEP_1) | instskip(SKIP_1) | instid1(VALU_DEP_1)
	v_subrev_nc_u32_e32 v65, 28, v30
	v_sub_nc_u32_e32 v30, 29, v30
	v_dual_cndmask_b32 v18, v31, v30, s0 :: v_dual_cndmask_b32 v30, 0, v65, s0
	s_delay_alu instid0(VALU_DEP_1) | instskip(NEXT) | instid1(VALU_DEP_2)
	v_lshl_add_u32 v18, v18, 23, 0x3c000000
	v_lshlrev_b64_e32 v[30:31], v30, v[28:29]
	v_lshlrev_b32_e32 v31, 24, v28
	s_delay_alu instid0(VALU_DEP_1) | instskip(NEXT) | instid1(VALU_DEP_3)
	v_and_b32_e32 v31, 0x80000000, v31
	v_lshlrev_b32_e32 v30, 20, v30
	s_delay_alu instid0(VALU_DEP_1) | instskip(NEXT) | instid1(VALU_DEP_1)
	v_and_b32_e32 v30, 0x700000, v30
	v_or3_b32 v65, v30, v31, v18
.LBB312_752:                            ;   in Loop: Header=BB312_561 Depth=1
	s_or_b32 exec_lo, exec_lo, s25
.LBB312_753:                            ;   in Loop: Header=BB312_561 Depth=1
	s_delay_alu instid0(SALU_CYCLE_1)
	s_or_b32 exec_lo, exec_lo, s24
.LBB312_754:                            ;   in Loop: Header=BB312_561 Depth=1
	s_delay_alu instid0(SALU_CYCLE_1) | instskip(SKIP_2) | instid1(VALU_DEP_1)
	s_or_b32 exec_lo, exec_lo, s23
	v_lshrrev_b16 v18, 8, v28
	s_mov_b32 s23, exec_lo
	v_cmpx_ne_u16_e32 0, v18
	s_cbranch_execz .LBB312_762
; %bb.755:                              ;   in Loop: Header=BB312_561 Depth=1
	v_bfrev_b32_e32 v66, 1
	s_mov_b32 s24, exec_lo
	v_cmpx_ne_u16_e32 0x80, v18
	s_cbranch_execz .LBB312_761
; %bb.756:                              ;   in Loop: Header=BB312_561 Depth=1
	v_and_b32_e32 v18, 0xffff, v18
	v_mov_b32_e32 v66, 0x7f800001
	s_mov_b32 s25, exec_lo
	s_delay_alu instid0(VALU_DEP_2) | instskip(NEXT) | instid1(VALU_DEP_1)
	v_and_b32_e32 v31, 0x7f, v18
	v_cmpx_ne_u32_e32 0x7f, v31
	s_cbranch_execz .LBB312_760
; %bb.757:                              ;   in Loop: Header=BB312_561 Depth=1
	v_dual_lshrrev_b32 v30, 3, v31 :: v_dual_bitop2_b32 v18, 7, v18 bitop3:0x40
	s_mov_b32 s27, exec_lo
	v_cmpx_gt_u32_e32 8, v31
; %bb.758:                              ;   in Loop: Header=BB312_561 Depth=1
	s_delay_alu instid0(VALU_DEP_2) | instskip(NEXT) | instid1(VALU_DEP_1)
	v_clz_i32_u32_e32 v30, v18
	v_min_u32_e32 v30, 32, v30
	s_delay_alu instid0(VALU_DEP_1) | instskip(SKIP_1) | instid1(VALU_DEP_2)
	v_subrev_nc_u32_e32 v31, 28, v30
	v_sub_nc_u32_e32 v30, 29, v30
	v_lshlrev_b64_e32 v[66:67], v31, v[18:19]
	s_delay_alu instid0(VALU_DEP_1)
	v_and_b32_e32 v18, 7, v66
; %bb.759:                              ;   in Loop: Header=BB312_561 Depth=1
	s_or_b32 exec_lo, exec_lo, s27
	s_delay_alu instid0(VALU_DEP_1) | instskip(SKIP_1) | instid1(VALU_DEP_2)
	v_dual_lshlrev_b32 v31, 16, v28 :: v_dual_lshlrev_b32 v18, 20, v18
	v_lshl_add_u32 v30, v30, 23, 0x3c000000
	v_and_b32_e32 v31, 0x80000000, v31
	s_delay_alu instid0(VALU_DEP_1)
	v_or3_b32 v66, v18, v31, v30
.LBB312_760:                            ;   in Loop: Header=BB312_561 Depth=1
	s_or_b32 exec_lo, exec_lo, s25
.LBB312_761:                            ;   in Loop: Header=BB312_561 Depth=1
	s_delay_alu instid0(SALU_CYCLE_1)
	s_or_b32 exec_lo, exec_lo, s24
.LBB312_762:                            ;   in Loop: Header=BB312_561 Depth=1
	s_delay_alu instid0(SALU_CYCLE_1) | instskip(SKIP_3) | instid1(VALU_DEP_2)
	s_or_b32 exec_lo, exec_lo, s23
	v_dual_mov_b32 v69, 0 :: v_dual_lshrrev_b32 v30, 16, v28
	v_mov_b32_e32 v70, 0
	s_mov_b32 s23, exec_lo
	v_and_b32_e32 v18, 0xff, v30
	s_delay_alu instid0(VALU_DEP_1)
	v_cmpx_ne_u16_e32 0, v18
	s_cbranch_execz .LBB312_770
; %bb.763:                              ;   in Loop: Header=BB312_561 Depth=1
	v_bfrev_b32_e32 v70, 1
	s_mov_b32 s24, exec_lo
	v_cmpx_ne_u16_e32 0x80, v18
	s_cbranch_execz .LBB312_769
; %bb.764:                              ;   in Loop: Header=BB312_561 Depth=1
	v_bfe_u32 v67, v28, 16, 7
	v_mov_b32_e32 v70, 0x7f800001
	s_mov_b32 s25, exec_lo
	s_delay_alu instid0(VALU_DEP_2)
	v_cmpx_ne_u32_e32 0x7f, v67
	s_cbranch_execz .LBB312_768
; %bb.765:                              ;   in Loop: Header=BB312_561 Depth=1
	v_dual_lshrrev_b32 v31, 3, v67 :: v_dual_bitop2_b32 v18, 7, v30 bitop3:0x40
	s_mov_b32 s27, exec_lo
	v_cmpx_gt_u32_e32 8, v67
; %bb.766:                              ;   in Loop: Header=BB312_561 Depth=1
	s_delay_alu instid0(VALU_DEP_2) | instskip(NEXT) | instid1(VALU_DEP_1)
	v_clz_i32_u32_e32 v31, v18
	v_min_u32_e32 v31, 32, v31
	s_delay_alu instid0(VALU_DEP_1) | instskip(NEXT) | instid1(VALU_DEP_1)
	v_subrev_nc_u32_e32 v67, 28, v31
	v_lshlrev_b64_e32 v[70:71], v67, v[18:19]
	s_delay_alu instid0(VALU_DEP_1)
	v_dual_sub_nc_u32 v31, 29, v31 :: v_dual_bitop2_b32 v18, 7, v70 bitop3:0x40
; %bb.767:                              ;   in Loop: Header=BB312_561 Depth=1
	s_or_b32 exec_lo, exec_lo, s27
	v_lshlrev_b32_e32 v30, 24, v30
	s_delay_alu instid0(VALU_DEP_2) | instskip(NEXT) | instid1(VALU_DEP_3)
	v_lshlrev_b32_e32 v18, 20, v18
	v_lshl_add_u32 v31, v31, 23, 0x3c000000
	s_delay_alu instid0(VALU_DEP_3) | instskip(NEXT) | instid1(VALU_DEP_1)
	v_and_b32_e32 v30, 0x80000000, v30
	v_or3_b32 v70, v18, v30, v31
.LBB312_768:                            ;   in Loop: Header=BB312_561 Depth=1
	s_or_b32 exec_lo, exec_lo, s25
.LBB312_769:                            ;   in Loop: Header=BB312_561 Depth=1
	s_delay_alu instid0(SALU_CYCLE_1)
	s_or_b32 exec_lo, exec_lo, s24
.LBB312_770:                            ;   in Loop: Header=BB312_561 Depth=1
	s_delay_alu instid0(SALU_CYCLE_1) | instskip(NEXT) | instid1(SALU_CYCLE_1)
	s_or_b32 exec_lo, exec_lo, s23
	s_mov_b32 s23, exec_lo
	v_cmpx_lt_u32_e32 0xffffff, v28
	s_cbranch_execz .LBB312_778
; %bb.771:                              ;   in Loop: Header=BB312_561 Depth=1
	v_lshrrev_b32_e32 v30, 24, v28
	v_bfrev_b32_e32 v69, 1
	s_mov_b32 s24, exec_lo
	s_delay_alu instid0(VALU_DEP_2)
	v_cmpx_ne_u32_e32 0x80, v30
	s_cbranch_execz .LBB312_777
; %bb.772:                              ;   in Loop: Header=BB312_561 Depth=1
	v_bfe_u32 v67, v28, 24, 7
	v_mov_b32_e32 v69, 0x7f800001
	s_mov_b32 s25, exec_lo
	s_delay_alu instid0(VALU_DEP_2)
	v_cmpx_ne_u32_e32 0x7f, v67
	s_cbranch_execz .LBB312_776
; %bb.773:                              ;   in Loop: Header=BB312_561 Depth=1
	v_dual_lshrrev_b32 v31, 3, v67 :: v_dual_bitop2_b32 v18, 7, v30 bitop3:0x40
	s_mov_b32 s27, exec_lo
	v_cmpx_gt_u32_e32 8, v67
; %bb.774:                              ;   in Loop: Header=BB312_561 Depth=1
	s_delay_alu instid0(VALU_DEP_2) | instskip(NEXT) | instid1(VALU_DEP_1)
	v_clz_i32_u32_e32 v31, v18
	v_min_u32_e32 v31, 32, v31
	s_delay_alu instid0(VALU_DEP_1) | instskip(NEXT) | instid1(VALU_DEP_1)
	v_subrev_nc_u32_e32 v67, 28, v31
	v_lshlrev_b64_e32 v[68:69], v67, v[18:19]
	s_delay_alu instid0(VALU_DEP_1)
	v_dual_sub_nc_u32 v31, 29, v31 :: v_dual_bitop2_b32 v18, 7, v68 bitop3:0x40
; %bb.775:                              ;   in Loop: Header=BB312_561 Depth=1
	s_or_b32 exec_lo, exec_lo, s27
	v_lshlrev_b32_e32 v30, 24, v30
	s_delay_alu instid0(VALU_DEP_2) | instskip(NEXT) | instid1(VALU_DEP_3)
	v_lshlrev_b32_e32 v18, 20, v18
	v_lshl_add_u32 v31, v31, 23, 0x3c000000
	s_delay_alu instid0(VALU_DEP_3) | instskip(NEXT) | instid1(VALU_DEP_1)
	v_and_b32_e32 v30, 0x80000000, v30
	v_or3_b32 v69, v18, v30, v31
.LBB312_776:                            ;   in Loop: Header=BB312_561 Depth=1
	s_or_b32 exec_lo, exec_lo, s25
.LBB312_777:                            ;   in Loop: Header=BB312_561 Depth=1
	s_delay_alu instid0(SALU_CYCLE_1)
	s_or_b32 exec_lo, exec_lo, s24
.LBB312_778:                            ;   in Loop: Header=BB312_561 Depth=1
	s_delay_alu instid0(SALU_CYCLE_1) | instskip(SKIP_4) | instid1(VALU_DEP_3)
	s_or_b32 exec_lo, exec_lo, s23
	v_and_b32_e32 v31, 0xff, v29
	v_dual_mov_b32 v18, v29 :: v_dual_mov_b32 v30, 0
	v_mov_b32_e32 v68, 0
	s_mov_b32 s23, exec_lo
	v_cmpx_ne_u16_e32 0, v31
	s_cbranch_execz .LBB312_784
; %bb.779:                              ;   in Loop: Header=BB312_561 Depth=1
	v_bfrev_b32_e32 v68, 1
	s_mov_b32 s24, exec_lo
	v_cmpx_ne_u16_e32 0x80, v31
	s_cbranch_execz .LBB312_783
; %bb.780:                              ;   in Loop: Header=BB312_561 Depth=1
	v_and_b32_e32 v31, 0x7f, v29
	v_mov_b32_e32 v68, 0x7f800001
	s_mov_b32 s25, exec_lo
	s_delay_alu instid0(VALU_DEP_2)
	v_cmpx_ne_u32_e32 0x7f, v31
	s_cbranch_execz .LBB312_782
; %bb.781:                              ;   in Loop: Header=BB312_561 Depth=1
	v_dual_lshrrev_b32 v68, 3, v31 :: v_dual_bitop2_b32 v67, 7, v29 bitop3:0x40
	v_cmp_gt_u32_e64 s0, 8, v31
	s_delay_alu instid0(VALU_DEP_2) | instskip(NEXT) | instid1(VALU_DEP_1)
	v_clz_i32_u32_e32 v67, v67
	v_min_u32_e32 v67, 32, v67
	s_delay_alu instid0(VALU_DEP_1) | instskip(SKIP_1) | instid1(VALU_DEP_1)
	v_subrev_nc_u32_e32 v71, 28, v67
	v_sub_nc_u32_e32 v67, 29, v67
	v_cndmask_b32_e64 v31, v68, v67, s0
	s_delay_alu instid0(VALU_DEP_3) | instskip(NEXT) | instid1(VALU_DEP_1)
	v_cndmask_b32_e64 v67, 0, v71, s0
	v_lshlrev_b64_e32 v[72:73], v67, v[18:19]
	v_lshlrev_b32_e32 v67, 24, v18
	s_delay_alu instid0(VALU_DEP_4) | instskip(NEXT) | instid1(VALU_DEP_2)
	v_lshl_add_u32 v31, v31, 23, 0x3c000000
	v_and_b32_e32 v67, 0x80000000, v67
	s_delay_alu instid0(VALU_DEP_4) | instskip(NEXT) | instid1(VALU_DEP_1)
	v_lshlrev_b32_e32 v68, 20, v72
	v_and_b32_e32 v68, 0x700000, v68
	s_delay_alu instid0(VALU_DEP_1)
	v_or3_b32 v68, v68, v67, v31
.LBB312_782:                            ;   in Loop: Header=BB312_561 Depth=1
	s_or_b32 exec_lo, exec_lo, s25
.LBB312_783:                            ;   in Loop: Header=BB312_561 Depth=1
	s_delay_alu instid0(SALU_CYCLE_1)
	s_or_b32 exec_lo, exec_lo, s24
.LBB312_784:                            ;   in Loop: Header=BB312_561 Depth=1
	s_delay_alu instid0(SALU_CYCLE_1) | instskip(SKIP_2) | instid1(VALU_DEP_1)
	s_or_b32 exec_lo, exec_lo, s23
	v_lshrrev_b16 v31, 8, v18
	s_mov_b32 s23, exec_lo
	v_cmpx_ne_u16_e32 0, v31
	s_cbranch_execz .LBB312_792
; %bb.785:                              ;   in Loop: Header=BB312_561 Depth=1
	v_bfrev_b32_e32 v30, 1
	s_mov_b32 s24, exec_lo
	v_cmpx_ne_u16_e32 0x80, v31
	s_cbranch_execz .LBB312_791
; %bb.786:                              ;   in Loop: Header=BB312_561 Depth=1
	v_and_b32_e32 v31, 0xffff, v31
	v_mov_b32_e32 v30, 0x7f800001
	s_mov_b32 s25, exec_lo
	s_delay_alu instid0(VALU_DEP_2) | instskip(NEXT) | instid1(VALU_DEP_1)
	v_and_b32_e32 v71, 0x7f, v31
	v_cmpx_ne_u32_e32 0x7f, v71
	s_cbranch_execz .LBB312_790
; %bb.787:                              ;   in Loop: Header=BB312_561 Depth=1
	v_dual_mov_b32 v31, v19 :: v_dual_bitop2_b32 v30, 7, v31 bitop3:0x40
	v_lshrrev_b32_e32 v67, 3, v71
	s_mov_b32 s27, exec_lo
	v_cmpx_gt_u32_e32 8, v71
; %bb.788:                              ;   in Loop: Header=BB312_561 Depth=1
	s_delay_alu instid0(VALU_DEP_3) | instskip(NEXT) | instid1(VALU_DEP_1)
	v_clz_i32_u32_e32 v67, v30
	v_min_u32_e32 v67, 32, v67
	s_delay_alu instid0(VALU_DEP_1) | instskip(NEXT) | instid1(VALU_DEP_1)
	v_subrev_nc_u32_e32 v71, 28, v67
	v_lshlrev_b64_e32 v[30:31], v71, v[30:31]
	s_delay_alu instid0(VALU_DEP_1)
	v_dual_sub_nc_u32 v67, 29, v67 :: v_dual_bitop2_b32 v30, 7, v30 bitop3:0x40
; %bb.789:                              ;   in Loop: Header=BB312_561 Depth=1
	s_or_b32 exec_lo, exec_lo, s27
	v_lshlrev_b32_e32 v18, 16, v18
	s_delay_alu instid0(VALU_DEP_2) | instskip(NEXT) | instid1(VALU_DEP_3)
	v_lshlrev_b32_e32 v30, 20, v30
	v_lshl_add_u32 v31, v67, 23, 0x3c000000
	s_delay_alu instid0(VALU_DEP_3) | instskip(NEXT) | instid1(VALU_DEP_1)
	v_and_b32_e32 v18, 0x80000000, v18
	v_or3_b32 v30, v30, v18, v31
.LBB312_790:                            ;   in Loop: Header=BB312_561 Depth=1
	s_or_b32 exec_lo, exec_lo, s25
.LBB312_791:                            ;   in Loop: Header=BB312_561 Depth=1
	s_delay_alu instid0(SALU_CYCLE_1)
	s_or_b32 exec_lo, exec_lo, s24
.LBB312_792:                            ;   in Loop: Header=BB312_561 Depth=1
	s_delay_alu instid0(SALU_CYCLE_1) | instskip(SKIP_3) | instid1(VALU_DEP_2)
	s_or_b32 exec_lo, exec_lo, s23
	v_dual_lshrrev_b32 v67, 16, v29 :: v_dual_mov_b32 v31, 0
	v_mov_b32_e32 v73, 0
	s_mov_b32 s23, exec_lo
	v_and_b32_e32 v18, 0xff, v67
	s_delay_alu instid0(VALU_DEP_1)
	v_cmpx_ne_u16_e32 0, v18
	s_cbranch_execz .LBB312_800
; %bb.793:                              ;   in Loop: Header=BB312_561 Depth=1
	v_bfrev_b32_e32 v73, 1
	s_mov_b32 s24, exec_lo
	v_cmpx_ne_u16_e32 0x80, v18
	s_cbranch_execz .LBB312_799
; %bb.794:                              ;   in Loop: Header=BB312_561 Depth=1
	v_bfe_u32 v72, v29, 16, 7
	v_mov_b32_e32 v73, 0x7f800001
	s_mov_b32 s25, exec_lo
	s_delay_alu instid0(VALU_DEP_2)
	v_cmpx_ne_u32_e32 0x7f, v72
	s_cbranch_execz .LBB312_798
; %bb.795:                              ;   in Loop: Header=BB312_561 Depth=1
	v_dual_lshrrev_b32 v71, 3, v72 :: v_dual_bitop2_b32 v18, 7, v67 bitop3:0x40
	s_mov_b32 s27, exec_lo
	v_cmpx_gt_u32_e32 8, v72
; %bb.796:                              ;   in Loop: Header=BB312_561 Depth=1
	s_delay_alu instid0(VALU_DEP_2) | instskip(NEXT) | instid1(VALU_DEP_1)
	v_clz_i32_u32_e32 v71, v18
	v_min_u32_e32 v71, 32, v71
	s_delay_alu instid0(VALU_DEP_1) | instskip(NEXT) | instid1(VALU_DEP_1)
	v_subrev_nc_u32_e32 v72, 28, v71
	v_lshlrev_b64_e32 v[72:73], v72, v[18:19]
	s_delay_alu instid0(VALU_DEP_1)
	v_dual_sub_nc_u32 v71, 29, v71 :: v_dual_bitop2_b32 v18, 7, v72 bitop3:0x40
; %bb.797:                              ;   in Loop: Header=BB312_561 Depth=1
	s_or_b32 exec_lo, exec_lo, s27
	s_delay_alu instid0(VALU_DEP_1) | instskip(NEXT) | instid1(VALU_DEP_2)
	v_dual_lshlrev_b32 v67, 24, v67 :: v_dual_lshlrev_b32 v18, 20, v18
	v_lshl_add_u32 v71, v71, 23, 0x3c000000
	s_delay_alu instid0(VALU_DEP_2) | instskip(NEXT) | instid1(VALU_DEP_1)
	v_and_b32_e32 v67, 0x80000000, v67
	v_or3_b32 v73, v18, v67, v71
.LBB312_798:                            ;   in Loop: Header=BB312_561 Depth=1
	s_or_b32 exec_lo, exec_lo, s25
.LBB312_799:                            ;   in Loop: Header=BB312_561 Depth=1
	s_delay_alu instid0(SALU_CYCLE_1)
	s_or_b32 exec_lo, exec_lo, s24
.LBB312_800:                            ;   in Loop: Header=BB312_561 Depth=1
	s_delay_alu instid0(SALU_CYCLE_1) | instskip(NEXT) | instid1(SALU_CYCLE_1)
	s_or_b32 exec_lo, exec_lo, s23
	s_mov_b32 s23, exec_lo
	v_cmpx_lt_u64_e64 s[2:3], v[28:29]
	s_cbranch_execz .LBB312_808
; %bb.801:                              ;   in Loop: Header=BB312_561 Depth=1
	v_lshrrev_b32_e32 v28, 24, v29
	v_bfrev_b32_e32 v31, 1
	s_mov_b32 s24, exec_lo
	s_delay_alu instid0(VALU_DEP_2)
	v_cmpx_ne_u32_e32 0x80, v28
	s_cbranch_execz .LBB312_807
; %bb.802:                              ;   in Loop: Header=BB312_561 Depth=1
	v_bfe_u32 v67, v29, 24, 7
	v_mov_b32_e32 v31, 0x7f800001
	s_mov_b32 s25, exec_lo
	s_delay_alu instid0(VALU_DEP_2)
	v_cmpx_ne_u32_e32 0x7f, v67
	s_cbranch_execz .LBB312_806
; %bb.803:                              ;   in Loop: Header=BB312_561 Depth=1
	v_dual_lshrrev_b32 v29, 3, v67 :: v_dual_bitop2_b32 v18, 7, v28 bitop3:0x40
	s_mov_b32 s27, exec_lo
	v_cmpx_gt_u32_e32 8, v67
; %bb.804:                              ;   in Loop: Header=BB312_561 Depth=1
	s_delay_alu instid0(VALU_DEP_2) | instskip(NEXT) | instid1(VALU_DEP_1)
	v_clz_i32_u32_e32 v29, v18
	v_min_u32_e32 v29, 32, v29
	s_delay_alu instid0(VALU_DEP_1) | instskip(NEXT) | instid1(VALU_DEP_1)
	v_subrev_nc_u32_e32 v31, 28, v29
	v_lshlrev_b64_e32 v[74:75], v31, v[18:19]
	s_delay_alu instid0(VALU_DEP_1)
	v_dual_sub_nc_u32 v29, 29, v29 :: v_dual_bitop2_b32 v18, 7, v74 bitop3:0x40
; %bb.805:                              ;   in Loop: Header=BB312_561 Depth=1
	s_or_b32 exec_lo, exec_lo, s27
	s_delay_alu instid0(VALU_DEP_1) | instskip(NEXT) | instid1(VALU_DEP_2)
	v_dual_lshlrev_b32 v28, 24, v28 :: v_dual_lshlrev_b32 v18, 20, v18
	v_lshl_add_u32 v29, v29, 23, 0x3c000000
	s_delay_alu instid0(VALU_DEP_2) | instskip(NEXT) | instid1(VALU_DEP_1)
	v_and_b32_e32 v28, 0x80000000, v28
	v_or3_b32 v31, v18, v28, v29
.LBB312_806:                            ;   in Loop: Header=BB312_561 Depth=1
	s_or_b32 exec_lo, exec_lo, s25
.LBB312_807:                            ;   in Loop: Header=BB312_561 Depth=1
	s_delay_alu instid0(SALU_CYCLE_1)
	s_or_b32 exec_lo, exec_lo, s24
.LBB312_808:                            ;   in Loop: Header=BB312_561 Depth=1
	s_delay_alu instid0(SALU_CYCLE_1)
	s_or_b32 exec_lo, exec_lo, s23
	v_fma_mixlo_bf16 v67, s22, v30, 0
	v_fma_mixlo_bf16 v68, s22, v68, 0
	;; [unrolled: 1-line block ×8, first 2 shown]
	s_and_saveexec_b32 s23, vcc_lo
	s_cbranch_execz .LBB312_810
; %bb.809:                              ;   in Loop: Header=BB312_561 Depth=1
	v_cmp_gt_i32_e64 s0, s34, v26
	s_delay_alu instid0(VALU_DEP_1) | instskip(SKIP_1) | instid1(VALU_DEP_1)
	v_cndmask_b32_e64 v72, 0, v72, s0
	v_cmp_gt_i32_e64 s0, s34, v48
	v_cndmask_b32_e64 v71, 0, v71, s0
	v_cmp_gt_i32_e64 s0, s34, v47
	s_delay_alu instid0(VALU_DEP_1) | instskip(SKIP_1) | instid1(VALU_DEP_1)
	v_cndmask_b32_e64 v70, 0, v70, s0
	v_cmp_gt_i32_e64 s0, s34, v46
	v_cndmask_b32_e64 v69, 0, v69, s0
	;; [unrolled: 5-line block ×4, first 2 shown]
.LBB312_810:                            ;   in Loop: Header=BB312_561 Depth=1
	s_or_b32 exec_lo, exec_lo, s23
	global_load_b64 v[28:29], v[24:25], off offset:1024
	v_dual_mov_b32 v74, 0 :: v_dual_mov_b32 v73, 0
	s_mov_b32 s23, exec_lo
	s_wait_loadcnt 0x0
	v_and_b32_e32 v18, 0xff, v28
	s_delay_alu instid0(VALU_DEP_1)
	v_cmpx_ne_u16_e32 0, v18
	s_cbranch_execz .LBB312_816
; %bb.811:                              ;   in Loop: Header=BB312_561 Depth=1
	v_bfrev_b32_e32 v73, 1
	s_mov_b32 s24, exec_lo
	v_cmpx_ne_u16_e32 0x80, v18
	s_cbranch_execz .LBB312_815
; %bb.812:                              ;   in Loop: Header=BB312_561 Depth=1
	v_and_b32_e32 v18, 0x7f, v28
	v_mov_b32_e32 v73, 0x7f800001
	s_mov_b32 s25, exec_lo
	s_delay_alu instid0(VALU_DEP_2)
	v_cmpx_ne_u32_e32 0x7f, v18
	s_cbranch_execz .LBB312_814
; %bb.813:                              ;   in Loop: Header=BB312_561 Depth=1
	v_dual_lshrrev_b32 v31, 3, v18 :: v_dual_bitop2_b32 v30, 7, v28 bitop3:0x40
	v_cmp_gt_u32_e64 s0, 8, v18
	s_delay_alu instid0(VALU_DEP_2) | instskip(NEXT) | instid1(VALU_DEP_1)
	v_clz_i32_u32_e32 v30, v30
	v_min_u32_e32 v30, 32, v30
	s_delay_alu instid0(VALU_DEP_1) | instskip(SKIP_1) | instid1(VALU_DEP_1)
	v_subrev_nc_u32_e32 v73, 28, v30
	v_sub_nc_u32_e32 v30, 29, v30
	v_dual_cndmask_b32 v18, v31, v30, s0 :: v_dual_cndmask_b32 v30, 0, v73, s0
	s_delay_alu instid0(VALU_DEP_1) | instskip(NEXT) | instid1(VALU_DEP_2)
	v_lshl_add_u32 v18, v18, 23, 0x3c000000
	v_lshlrev_b64_e32 v[30:31], v30, v[28:29]
	v_lshlrev_b32_e32 v31, 24, v28
	s_delay_alu instid0(VALU_DEP_1) | instskip(NEXT) | instid1(VALU_DEP_3)
	v_and_b32_e32 v31, 0x80000000, v31
	v_lshlrev_b32_e32 v30, 20, v30
	s_delay_alu instid0(VALU_DEP_1) | instskip(NEXT) | instid1(VALU_DEP_1)
	v_and_b32_e32 v30, 0x700000, v30
	v_or3_b32 v73, v30, v31, v18
.LBB312_814:                            ;   in Loop: Header=BB312_561 Depth=1
	s_or_b32 exec_lo, exec_lo, s25
.LBB312_815:                            ;   in Loop: Header=BB312_561 Depth=1
	s_delay_alu instid0(SALU_CYCLE_1)
	s_or_b32 exec_lo, exec_lo, s24
.LBB312_816:                            ;   in Loop: Header=BB312_561 Depth=1
	s_delay_alu instid0(SALU_CYCLE_1) | instskip(SKIP_2) | instid1(VALU_DEP_1)
	s_or_b32 exec_lo, exec_lo, s23
	v_lshrrev_b16 v18, 8, v28
	s_mov_b32 s23, exec_lo
	v_cmpx_ne_u16_e32 0, v18
	s_cbranch_execz .LBB312_824
; %bb.817:                              ;   in Loop: Header=BB312_561 Depth=1
	v_bfrev_b32_e32 v74, 1
	s_mov_b32 s24, exec_lo
	v_cmpx_ne_u16_e32 0x80, v18
	s_cbranch_execz .LBB312_823
; %bb.818:                              ;   in Loop: Header=BB312_561 Depth=1
	v_and_b32_e32 v18, 0xffff, v18
	v_mov_b32_e32 v74, 0x7f800001
	s_mov_b32 s25, exec_lo
	s_delay_alu instid0(VALU_DEP_2) | instskip(NEXT) | instid1(VALU_DEP_1)
	v_and_b32_e32 v31, 0x7f, v18
	v_cmpx_ne_u32_e32 0x7f, v31
	s_cbranch_execz .LBB312_822
; %bb.819:                              ;   in Loop: Header=BB312_561 Depth=1
	v_dual_lshrrev_b32 v30, 3, v31 :: v_dual_bitop2_b32 v18, 7, v18 bitop3:0x40
	s_mov_b32 s27, exec_lo
	v_cmpx_gt_u32_e32 8, v31
; %bb.820:                              ;   in Loop: Header=BB312_561 Depth=1
	s_delay_alu instid0(VALU_DEP_2) | instskip(NEXT) | instid1(VALU_DEP_1)
	v_clz_i32_u32_e32 v30, v18
	v_min_u32_e32 v30, 32, v30
	s_delay_alu instid0(VALU_DEP_1) | instskip(SKIP_1) | instid1(VALU_DEP_2)
	v_subrev_nc_u32_e32 v31, 28, v30
	v_sub_nc_u32_e32 v30, 29, v30
	v_lshlrev_b64_e32 v[74:75], v31, v[18:19]
	s_delay_alu instid0(VALU_DEP_1)
	v_and_b32_e32 v18, 7, v74
; %bb.821:                              ;   in Loop: Header=BB312_561 Depth=1
	s_or_b32 exec_lo, exec_lo, s27
	s_delay_alu instid0(VALU_DEP_1) | instskip(SKIP_1) | instid1(VALU_DEP_2)
	v_dual_lshlrev_b32 v31, 16, v28 :: v_dual_lshlrev_b32 v18, 20, v18
	v_lshl_add_u32 v30, v30, 23, 0x3c000000
	v_and_b32_e32 v31, 0x80000000, v31
	s_delay_alu instid0(VALU_DEP_1)
	v_or3_b32 v74, v18, v31, v30
.LBB312_822:                            ;   in Loop: Header=BB312_561 Depth=1
	s_or_b32 exec_lo, exec_lo, s25
.LBB312_823:                            ;   in Loop: Header=BB312_561 Depth=1
	s_delay_alu instid0(SALU_CYCLE_1)
	s_or_b32 exec_lo, exec_lo, s24
.LBB312_824:                            ;   in Loop: Header=BB312_561 Depth=1
	s_delay_alu instid0(SALU_CYCLE_1) | instskip(SKIP_3) | instid1(VALU_DEP_2)
	s_or_b32 exec_lo, exec_lo, s23
	v_dual_mov_b32 v77, 0 :: v_dual_lshrrev_b32 v30, 16, v28
	v_mov_b32_e32 v78, 0
	s_mov_b32 s23, exec_lo
	v_and_b32_e32 v18, 0xff, v30
	s_delay_alu instid0(VALU_DEP_1)
	v_cmpx_ne_u16_e32 0, v18
	s_cbranch_execz .LBB312_832
; %bb.825:                              ;   in Loop: Header=BB312_561 Depth=1
	v_bfrev_b32_e32 v78, 1
	s_mov_b32 s24, exec_lo
	v_cmpx_ne_u16_e32 0x80, v18
	s_cbranch_execz .LBB312_831
; %bb.826:                              ;   in Loop: Header=BB312_561 Depth=1
	v_bfe_u32 v75, v28, 16, 7
	v_mov_b32_e32 v78, 0x7f800001
	s_mov_b32 s25, exec_lo
	s_delay_alu instid0(VALU_DEP_2)
	v_cmpx_ne_u32_e32 0x7f, v75
	s_cbranch_execz .LBB312_830
; %bb.827:                              ;   in Loop: Header=BB312_561 Depth=1
	v_dual_lshrrev_b32 v31, 3, v75 :: v_dual_bitop2_b32 v18, 7, v30 bitop3:0x40
	s_mov_b32 s27, exec_lo
	v_cmpx_gt_u32_e32 8, v75
; %bb.828:                              ;   in Loop: Header=BB312_561 Depth=1
	s_delay_alu instid0(VALU_DEP_2) | instskip(NEXT) | instid1(VALU_DEP_1)
	v_clz_i32_u32_e32 v31, v18
	v_min_u32_e32 v31, 32, v31
	s_delay_alu instid0(VALU_DEP_1) | instskip(NEXT) | instid1(VALU_DEP_1)
	v_subrev_nc_u32_e32 v75, 28, v31
	v_lshlrev_b64_e32 v[78:79], v75, v[18:19]
	s_delay_alu instid0(VALU_DEP_1)
	v_dual_sub_nc_u32 v31, 29, v31 :: v_dual_bitop2_b32 v18, 7, v78 bitop3:0x40
; %bb.829:                              ;   in Loop: Header=BB312_561 Depth=1
	s_or_b32 exec_lo, exec_lo, s27
	v_lshlrev_b32_e32 v30, 24, v30
	s_delay_alu instid0(VALU_DEP_2) | instskip(NEXT) | instid1(VALU_DEP_3)
	v_lshlrev_b32_e32 v18, 20, v18
	v_lshl_add_u32 v31, v31, 23, 0x3c000000
	s_delay_alu instid0(VALU_DEP_3) | instskip(NEXT) | instid1(VALU_DEP_1)
	v_and_b32_e32 v30, 0x80000000, v30
	v_or3_b32 v78, v18, v30, v31
.LBB312_830:                            ;   in Loop: Header=BB312_561 Depth=1
	s_or_b32 exec_lo, exec_lo, s25
.LBB312_831:                            ;   in Loop: Header=BB312_561 Depth=1
	s_delay_alu instid0(SALU_CYCLE_1)
	s_or_b32 exec_lo, exec_lo, s24
.LBB312_832:                            ;   in Loop: Header=BB312_561 Depth=1
	s_delay_alu instid0(SALU_CYCLE_1) | instskip(NEXT) | instid1(SALU_CYCLE_1)
	s_or_b32 exec_lo, exec_lo, s23
	s_mov_b32 s23, exec_lo
	v_cmpx_lt_u32_e32 0xffffff, v28
	s_cbranch_execz .LBB312_840
; %bb.833:                              ;   in Loop: Header=BB312_561 Depth=1
	v_lshrrev_b32_e32 v30, 24, v28
	v_bfrev_b32_e32 v77, 1
	s_mov_b32 s24, exec_lo
	s_delay_alu instid0(VALU_DEP_2)
	v_cmpx_ne_u32_e32 0x80, v30
	s_cbranch_execz .LBB312_839
; %bb.834:                              ;   in Loop: Header=BB312_561 Depth=1
	v_bfe_u32 v75, v28, 24, 7
	v_mov_b32_e32 v77, 0x7f800001
	s_mov_b32 s25, exec_lo
	s_delay_alu instid0(VALU_DEP_2)
	v_cmpx_ne_u32_e32 0x7f, v75
	s_cbranch_execz .LBB312_838
; %bb.835:                              ;   in Loop: Header=BB312_561 Depth=1
	v_dual_lshrrev_b32 v31, 3, v75 :: v_dual_bitop2_b32 v18, 7, v30 bitop3:0x40
	s_mov_b32 s27, exec_lo
	v_cmpx_gt_u32_e32 8, v75
; %bb.836:                              ;   in Loop: Header=BB312_561 Depth=1
	s_delay_alu instid0(VALU_DEP_2) | instskip(NEXT) | instid1(VALU_DEP_1)
	v_clz_i32_u32_e32 v31, v18
	v_min_u32_e32 v31, 32, v31
	s_delay_alu instid0(VALU_DEP_1) | instskip(NEXT) | instid1(VALU_DEP_1)
	v_subrev_nc_u32_e32 v75, 28, v31
	v_lshlrev_b64_e32 v[76:77], v75, v[18:19]
	s_delay_alu instid0(VALU_DEP_1)
	v_dual_sub_nc_u32 v31, 29, v31 :: v_dual_bitop2_b32 v18, 7, v76 bitop3:0x40
; %bb.837:                              ;   in Loop: Header=BB312_561 Depth=1
	s_or_b32 exec_lo, exec_lo, s27
	v_lshlrev_b32_e32 v30, 24, v30
	s_delay_alu instid0(VALU_DEP_2) | instskip(NEXT) | instid1(VALU_DEP_3)
	v_lshlrev_b32_e32 v18, 20, v18
	v_lshl_add_u32 v31, v31, 23, 0x3c000000
	s_delay_alu instid0(VALU_DEP_3) | instskip(NEXT) | instid1(VALU_DEP_1)
	v_and_b32_e32 v30, 0x80000000, v30
	v_or3_b32 v77, v18, v30, v31
.LBB312_838:                            ;   in Loop: Header=BB312_561 Depth=1
	s_or_b32 exec_lo, exec_lo, s25
.LBB312_839:                            ;   in Loop: Header=BB312_561 Depth=1
	s_delay_alu instid0(SALU_CYCLE_1)
	s_or_b32 exec_lo, exec_lo, s24
.LBB312_840:                            ;   in Loop: Header=BB312_561 Depth=1
	s_delay_alu instid0(SALU_CYCLE_1) | instskip(SKIP_4) | instid1(VALU_DEP_3)
	s_or_b32 exec_lo, exec_lo, s23
	v_and_b32_e32 v31, 0xff, v29
	v_dual_mov_b32 v18, v29 :: v_dual_mov_b32 v30, 0
	v_mov_b32_e32 v76, 0
	s_mov_b32 s23, exec_lo
	v_cmpx_ne_u16_e32 0, v31
	s_cbranch_execz .LBB312_846
; %bb.841:                              ;   in Loop: Header=BB312_561 Depth=1
	v_bfrev_b32_e32 v76, 1
	s_mov_b32 s24, exec_lo
	v_cmpx_ne_u16_e32 0x80, v31
	s_cbranch_execz .LBB312_845
; %bb.842:                              ;   in Loop: Header=BB312_561 Depth=1
	v_and_b32_e32 v31, 0x7f, v29
	v_mov_b32_e32 v76, 0x7f800001
	s_mov_b32 s25, exec_lo
	s_delay_alu instid0(VALU_DEP_2)
	v_cmpx_ne_u32_e32 0x7f, v31
	s_cbranch_execz .LBB312_844
; %bb.843:                              ;   in Loop: Header=BB312_561 Depth=1
	v_dual_lshrrev_b32 v76, 3, v31 :: v_dual_bitop2_b32 v75, 7, v29 bitop3:0x40
	v_cmp_gt_u32_e64 s0, 8, v31
	s_delay_alu instid0(VALU_DEP_2) | instskip(NEXT) | instid1(VALU_DEP_1)
	v_clz_i32_u32_e32 v75, v75
	v_min_u32_e32 v75, 32, v75
	s_delay_alu instid0(VALU_DEP_1) | instskip(SKIP_1) | instid1(VALU_DEP_1)
	v_subrev_nc_u32_e32 v79, 28, v75
	v_sub_nc_u32_e32 v75, 29, v75
	v_cndmask_b32_e64 v31, v76, v75, s0
	s_delay_alu instid0(VALU_DEP_3) | instskip(NEXT) | instid1(VALU_DEP_1)
	v_cndmask_b32_e64 v75, 0, v79, s0
	v_lshlrev_b64_e32 v[80:81], v75, v[18:19]
	v_lshlrev_b32_e32 v75, 24, v18
	s_delay_alu instid0(VALU_DEP_4) | instskip(NEXT) | instid1(VALU_DEP_2)
	v_lshl_add_u32 v31, v31, 23, 0x3c000000
	v_and_b32_e32 v75, 0x80000000, v75
	s_delay_alu instid0(VALU_DEP_4) | instskip(NEXT) | instid1(VALU_DEP_1)
	v_lshlrev_b32_e32 v76, 20, v80
	v_and_b32_e32 v76, 0x700000, v76
	s_delay_alu instid0(VALU_DEP_1)
	v_or3_b32 v76, v76, v75, v31
.LBB312_844:                            ;   in Loop: Header=BB312_561 Depth=1
	s_or_b32 exec_lo, exec_lo, s25
.LBB312_845:                            ;   in Loop: Header=BB312_561 Depth=1
	s_delay_alu instid0(SALU_CYCLE_1)
	s_or_b32 exec_lo, exec_lo, s24
.LBB312_846:                            ;   in Loop: Header=BB312_561 Depth=1
	s_delay_alu instid0(SALU_CYCLE_1) | instskip(SKIP_2) | instid1(VALU_DEP_1)
	s_or_b32 exec_lo, exec_lo, s23
	v_lshrrev_b16 v31, 8, v18
	s_mov_b32 s23, exec_lo
	v_cmpx_ne_u16_e32 0, v31
	s_cbranch_execz .LBB312_854
; %bb.847:                              ;   in Loop: Header=BB312_561 Depth=1
	v_bfrev_b32_e32 v30, 1
	s_mov_b32 s24, exec_lo
	v_cmpx_ne_u16_e32 0x80, v31
	s_cbranch_execz .LBB312_853
; %bb.848:                              ;   in Loop: Header=BB312_561 Depth=1
	v_and_b32_e32 v31, 0xffff, v31
	v_mov_b32_e32 v30, 0x7f800001
	s_mov_b32 s25, exec_lo
	s_delay_alu instid0(VALU_DEP_2) | instskip(NEXT) | instid1(VALU_DEP_1)
	v_and_b32_e32 v79, 0x7f, v31
	v_cmpx_ne_u32_e32 0x7f, v79
	s_cbranch_execz .LBB312_852
; %bb.849:                              ;   in Loop: Header=BB312_561 Depth=1
	v_dual_mov_b32 v31, v19 :: v_dual_bitop2_b32 v30, 7, v31 bitop3:0x40
	v_lshrrev_b32_e32 v75, 3, v79
	s_mov_b32 s27, exec_lo
	v_cmpx_gt_u32_e32 8, v79
; %bb.850:                              ;   in Loop: Header=BB312_561 Depth=1
	s_delay_alu instid0(VALU_DEP_3) | instskip(NEXT) | instid1(VALU_DEP_1)
	v_clz_i32_u32_e32 v75, v30
	v_min_u32_e32 v75, 32, v75
	s_delay_alu instid0(VALU_DEP_1) | instskip(NEXT) | instid1(VALU_DEP_1)
	v_subrev_nc_u32_e32 v79, 28, v75
	v_lshlrev_b64_e32 v[30:31], v79, v[30:31]
	s_delay_alu instid0(VALU_DEP_1)
	v_dual_sub_nc_u32 v75, 29, v75 :: v_dual_bitop2_b32 v30, 7, v30 bitop3:0x40
; %bb.851:                              ;   in Loop: Header=BB312_561 Depth=1
	s_or_b32 exec_lo, exec_lo, s27
	v_lshlrev_b32_e32 v18, 16, v18
	s_delay_alu instid0(VALU_DEP_2) | instskip(NEXT) | instid1(VALU_DEP_3)
	v_lshlrev_b32_e32 v30, 20, v30
	v_lshl_add_u32 v31, v75, 23, 0x3c000000
	s_delay_alu instid0(VALU_DEP_3) | instskip(NEXT) | instid1(VALU_DEP_1)
	v_and_b32_e32 v18, 0x80000000, v18
	v_or3_b32 v30, v30, v18, v31
.LBB312_852:                            ;   in Loop: Header=BB312_561 Depth=1
	s_or_b32 exec_lo, exec_lo, s25
.LBB312_853:                            ;   in Loop: Header=BB312_561 Depth=1
	s_delay_alu instid0(SALU_CYCLE_1)
	s_or_b32 exec_lo, exec_lo, s24
.LBB312_854:                            ;   in Loop: Header=BB312_561 Depth=1
	s_delay_alu instid0(SALU_CYCLE_1) | instskip(SKIP_3) | instid1(VALU_DEP_2)
	s_or_b32 exec_lo, exec_lo, s23
	v_dual_lshrrev_b32 v75, 16, v29 :: v_dual_mov_b32 v31, 0
	v_mov_b32_e32 v81, 0
	s_mov_b32 s23, exec_lo
	v_and_b32_e32 v18, 0xff, v75
	s_delay_alu instid0(VALU_DEP_1)
	v_cmpx_ne_u16_e32 0, v18
	s_cbranch_execz .LBB312_862
; %bb.855:                              ;   in Loop: Header=BB312_561 Depth=1
	v_bfrev_b32_e32 v81, 1
	s_mov_b32 s24, exec_lo
	v_cmpx_ne_u16_e32 0x80, v18
	s_cbranch_execz .LBB312_861
; %bb.856:                              ;   in Loop: Header=BB312_561 Depth=1
	v_bfe_u32 v80, v29, 16, 7
	v_mov_b32_e32 v81, 0x7f800001
	s_mov_b32 s25, exec_lo
	s_delay_alu instid0(VALU_DEP_2)
	v_cmpx_ne_u32_e32 0x7f, v80
	s_cbranch_execz .LBB312_860
; %bb.857:                              ;   in Loop: Header=BB312_561 Depth=1
	v_dual_lshrrev_b32 v79, 3, v80 :: v_dual_bitop2_b32 v18, 7, v75 bitop3:0x40
	s_mov_b32 s27, exec_lo
	v_cmpx_gt_u32_e32 8, v80
; %bb.858:                              ;   in Loop: Header=BB312_561 Depth=1
	s_delay_alu instid0(VALU_DEP_2) | instskip(NEXT) | instid1(VALU_DEP_1)
	v_clz_i32_u32_e32 v79, v18
	v_min_u32_e32 v79, 32, v79
	s_delay_alu instid0(VALU_DEP_1) | instskip(NEXT) | instid1(VALU_DEP_1)
	v_subrev_nc_u32_e32 v80, 28, v79
	v_lshlrev_b64_e32 v[80:81], v80, v[18:19]
	s_delay_alu instid0(VALU_DEP_1)
	v_dual_sub_nc_u32 v79, 29, v79 :: v_dual_bitop2_b32 v18, 7, v80 bitop3:0x40
; %bb.859:                              ;   in Loop: Header=BB312_561 Depth=1
	s_or_b32 exec_lo, exec_lo, s27
	s_delay_alu instid0(VALU_DEP_1) | instskip(NEXT) | instid1(VALU_DEP_2)
	v_dual_lshlrev_b32 v75, 24, v75 :: v_dual_lshlrev_b32 v18, 20, v18
	v_lshl_add_u32 v79, v79, 23, 0x3c000000
	s_delay_alu instid0(VALU_DEP_2) | instskip(NEXT) | instid1(VALU_DEP_1)
	v_and_b32_e32 v75, 0x80000000, v75
	v_or3_b32 v81, v18, v75, v79
.LBB312_860:                            ;   in Loop: Header=BB312_561 Depth=1
	s_or_b32 exec_lo, exec_lo, s25
.LBB312_861:                            ;   in Loop: Header=BB312_561 Depth=1
	s_delay_alu instid0(SALU_CYCLE_1)
	s_or_b32 exec_lo, exec_lo, s24
.LBB312_862:                            ;   in Loop: Header=BB312_561 Depth=1
	s_delay_alu instid0(SALU_CYCLE_1) | instskip(NEXT) | instid1(SALU_CYCLE_1)
	s_or_b32 exec_lo, exec_lo, s23
	s_mov_b32 s23, exec_lo
	v_cmpx_lt_u64_e64 s[2:3], v[28:29]
	s_cbranch_execz .LBB312_870
; %bb.863:                              ;   in Loop: Header=BB312_561 Depth=1
	v_lshrrev_b32_e32 v28, 24, v29
	v_bfrev_b32_e32 v31, 1
	s_mov_b32 s24, exec_lo
	s_delay_alu instid0(VALU_DEP_2)
	v_cmpx_ne_u32_e32 0x80, v28
	s_cbranch_execz .LBB312_869
; %bb.864:                              ;   in Loop: Header=BB312_561 Depth=1
	v_bfe_u32 v75, v29, 24, 7
	v_mov_b32_e32 v31, 0x7f800001
	s_mov_b32 s25, exec_lo
	s_delay_alu instid0(VALU_DEP_2)
	v_cmpx_ne_u32_e32 0x7f, v75
	s_cbranch_execz .LBB312_868
; %bb.865:                              ;   in Loop: Header=BB312_561 Depth=1
	v_dual_lshrrev_b32 v29, 3, v75 :: v_dual_bitop2_b32 v18, 7, v28 bitop3:0x40
	s_mov_b32 s27, exec_lo
	v_cmpx_gt_u32_e32 8, v75
; %bb.866:                              ;   in Loop: Header=BB312_561 Depth=1
	s_delay_alu instid0(VALU_DEP_2) | instskip(NEXT) | instid1(VALU_DEP_1)
	v_clz_i32_u32_e32 v29, v18
	v_min_u32_e32 v29, 32, v29
	s_delay_alu instid0(VALU_DEP_1) | instskip(NEXT) | instid1(VALU_DEP_1)
	v_subrev_nc_u32_e32 v31, 28, v29
	v_lshlrev_b64_e32 v[82:83], v31, v[18:19]
	s_delay_alu instid0(VALU_DEP_1)
	v_dual_sub_nc_u32 v29, 29, v29 :: v_dual_bitop2_b32 v18, 7, v82 bitop3:0x40
; %bb.867:                              ;   in Loop: Header=BB312_561 Depth=1
	s_or_b32 exec_lo, exec_lo, s27
	s_delay_alu instid0(VALU_DEP_1) | instskip(NEXT) | instid1(VALU_DEP_2)
	v_dual_lshlrev_b32 v28, 24, v28 :: v_dual_lshlrev_b32 v18, 20, v18
	v_lshl_add_u32 v29, v29, 23, 0x3c000000
	s_delay_alu instid0(VALU_DEP_2) | instskip(NEXT) | instid1(VALU_DEP_1)
	v_and_b32_e32 v28, 0x80000000, v28
	v_or3_b32 v31, v18, v28, v29
.LBB312_868:                            ;   in Loop: Header=BB312_561 Depth=1
	s_or_b32 exec_lo, exec_lo, s25
.LBB312_869:                            ;   in Loop: Header=BB312_561 Depth=1
	s_delay_alu instid0(SALU_CYCLE_1)
	s_or_b32 exec_lo, exec_lo, s24
.LBB312_870:                            ;   in Loop: Header=BB312_561 Depth=1
	s_delay_alu instid0(SALU_CYCLE_1)
	s_or_b32 exec_lo, exec_lo, s23
	v_fma_mixlo_bf16 v75, s22, v30, 0
	v_fma_mixlo_bf16 v76, s22, v76, 0
	;; [unrolled: 1-line block ×8, first 2 shown]
	s_and_saveexec_b32 s23, vcc_lo
	s_cbranch_execz .LBB312_872
; %bb.871:                              ;   in Loop: Header=BB312_561 Depth=1
	v_cmp_gt_i32_e64 s0, s34, v26
	s_delay_alu instid0(VALU_DEP_1) | instskip(SKIP_1) | instid1(VALU_DEP_1)
	v_cndmask_b32_e64 v80, 0, v80, s0
	v_cmp_gt_i32_e64 s0, s34, v48
	v_cndmask_b32_e64 v79, 0, v79, s0
	v_cmp_gt_i32_e64 s0, s34, v47
	s_delay_alu instid0(VALU_DEP_1) | instskip(SKIP_1) | instid1(VALU_DEP_1)
	v_cndmask_b32_e64 v78, 0, v78, s0
	v_cmp_gt_i32_e64 s0, s34, v46
	v_cndmask_b32_e64 v77, 0, v77, s0
	;; [unrolled: 5-line block ×4, first 2 shown]
.LBB312_872:                            ;   in Loop: Header=BB312_561 Depth=1
	s_or_b32 exec_lo, exec_lo, s23
	global_load_b64 v[28:29], v[24:25], off offset:1280
	v_dual_mov_b32 v82, 0 :: v_dual_mov_b32 v81, 0
	s_mov_b32 s23, exec_lo
	s_wait_loadcnt 0x0
	v_and_b32_e32 v18, 0xff, v28
	s_delay_alu instid0(VALU_DEP_1)
	v_cmpx_ne_u16_e32 0, v18
	s_cbranch_execz .LBB312_878
; %bb.873:                              ;   in Loop: Header=BB312_561 Depth=1
	v_bfrev_b32_e32 v81, 1
	s_mov_b32 s24, exec_lo
	v_cmpx_ne_u16_e32 0x80, v18
	s_cbranch_execz .LBB312_877
; %bb.874:                              ;   in Loop: Header=BB312_561 Depth=1
	v_and_b32_e32 v18, 0x7f, v28
	v_mov_b32_e32 v81, 0x7f800001
	s_mov_b32 s25, exec_lo
	s_delay_alu instid0(VALU_DEP_2)
	v_cmpx_ne_u32_e32 0x7f, v18
	s_cbranch_execz .LBB312_876
; %bb.875:                              ;   in Loop: Header=BB312_561 Depth=1
	v_dual_lshrrev_b32 v31, 3, v18 :: v_dual_bitop2_b32 v30, 7, v28 bitop3:0x40
	v_cmp_gt_u32_e64 s0, 8, v18
	s_delay_alu instid0(VALU_DEP_2) | instskip(NEXT) | instid1(VALU_DEP_1)
	v_clz_i32_u32_e32 v30, v30
	v_min_u32_e32 v30, 32, v30
	s_delay_alu instid0(VALU_DEP_1) | instskip(SKIP_1) | instid1(VALU_DEP_1)
	v_subrev_nc_u32_e32 v81, 28, v30
	v_sub_nc_u32_e32 v30, 29, v30
	v_dual_cndmask_b32 v18, v31, v30, s0 :: v_dual_cndmask_b32 v30, 0, v81, s0
	s_delay_alu instid0(VALU_DEP_1) | instskip(NEXT) | instid1(VALU_DEP_2)
	v_lshl_add_u32 v18, v18, 23, 0x3c000000
	v_lshlrev_b64_e32 v[30:31], v30, v[28:29]
	v_lshlrev_b32_e32 v31, 24, v28
	s_delay_alu instid0(VALU_DEP_1) | instskip(NEXT) | instid1(VALU_DEP_3)
	v_and_b32_e32 v31, 0x80000000, v31
	v_lshlrev_b32_e32 v30, 20, v30
	s_delay_alu instid0(VALU_DEP_1) | instskip(NEXT) | instid1(VALU_DEP_1)
	v_and_b32_e32 v30, 0x700000, v30
	v_or3_b32 v81, v30, v31, v18
.LBB312_876:                            ;   in Loop: Header=BB312_561 Depth=1
	s_or_b32 exec_lo, exec_lo, s25
.LBB312_877:                            ;   in Loop: Header=BB312_561 Depth=1
	s_delay_alu instid0(SALU_CYCLE_1)
	s_or_b32 exec_lo, exec_lo, s24
.LBB312_878:                            ;   in Loop: Header=BB312_561 Depth=1
	s_delay_alu instid0(SALU_CYCLE_1) | instskip(SKIP_2) | instid1(VALU_DEP_1)
	s_or_b32 exec_lo, exec_lo, s23
	v_lshrrev_b16 v18, 8, v28
	s_mov_b32 s23, exec_lo
	v_cmpx_ne_u16_e32 0, v18
	s_cbranch_execz .LBB312_886
; %bb.879:                              ;   in Loop: Header=BB312_561 Depth=1
	v_bfrev_b32_e32 v82, 1
	s_mov_b32 s24, exec_lo
	v_cmpx_ne_u16_e32 0x80, v18
	s_cbranch_execz .LBB312_885
; %bb.880:                              ;   in Loop: Header=BB312_561 Depth=1
	v_and_b32_e32 v18, 0xffff, v18
	v_mov_b32_e32 v82, 0x7f800001
	s_mov_b32 s25, exec_lo
	s_delay_alu instid0(VALU_DEP_2) | instskip(NEXT) | instid1(VALU_DEP_1)
	v_and_b32_e32 v31, 0x7f, v18
	v_cmpx_ne_u32_e32 0x7f, v31
	s_cbranch_execz .LBB312_884
; %bb.881:                              ;   in Loop: Header=BB312_561 Depth=1
	v_dual_lshrrev_b32 v30, 3, v31 :: v_dual_bitop2_b32 v18, 7, v18 bitop3:0x40
	s_mov_b32 s27, exec_lo
	v_cmpx_gt_u32_e32 8, v31
; %bb.882:                              ;   in Loop: Header=BB312_561 Depth=1
	s_delay_alu instid0(VALU_DEP_2) | instskip(NEXT) | instid1(VALU_DEP_1)
	v_clz_i32_u32_e32 v30, v18
	v_min_u32_e32 v30, 32, v30
	s_delay_alu instid0(VALU_DEP_1) | instskip(SKIP_1) | instid1(VALU_DEP_2)
	v_subrev_nc_u32_e32 v31, 28, v30
	v_sub_nc_u32_e32 v30, 29, v30
	v_lshlrev_b64_e32 v[82:83], v31, v[18:19]
	s_delay_alu instid0(VALU_DEP_1)
	v_and_b32_e32 v18, 7, v82
; %bb.883:                              ;   in Loop: Header=BB312_561 Depth=1
	s_or_b32 exec_lo, exec_lo, s27
	s_delay_alu instid0(VALU_DEP_1) | instskip(SKIP_1) | instid1(VALU_DEP_2)
	v_dual_lshlrev_b32 v31, 16, v28 :: v_dual_lshlrev_b32 v18, 20, v18
	v_lshl_add_u32 v30, v30, 23, 0x3c000000
	v_and_b32_e32 v31, 0x80000000, v31
	s_delay_alu instid0(VALU_DEP_1)
	v_or3_b32 v82, v18, v31, v30
.LBB312_884:                            ;   in Loop: Header=BB312_561 Depth=1
	s_or_b32 exec_lo, exec_lo, s25
.LBB312_885:                            ;   in Loop: Header=BB312_561 Depth=1
	s_delay_alu instid0(SALU_CYCLE_1)
	s_or_b32 exec_lo, exec_lo, s24
.LBB312_886:                            ;   in Loop: Header=BB312_561 Depth=1
	s_delay_alu instid0(SALU_CYCLE_1) | instskip(SKIP_3) | instid1(VALU_DEP_2)
	s_or_b32 exec_lo, exec_lo, s23
	v_dual_mov_b32 v85, 0 :: v_dual_lshrrev_b32 v30, 16, v28
	v_mov_b32_e32 v86, 0
	s_mov_b32 s23, exec_lo
	v_and_b32_e32 v18, 0xff, v30
	s_delay_alu instid0(VALU_DEP_1)
	v_cmpx_ne_u16_e32 0, v18
	s_cbranch_execz .LBB312_894
; %bb.887:                              ;   in Loop: Header=BB312_561 Depth=1
	v_bfrev_b32_e32 v86, 1
	s_mov_b32 s24, exec_lo
	v_cmpx_ne_u16_e32 0x80, v18
	s_cbranch_execz .LBB312_893
; %bb.888:                              ;   in Loop: Header=BB312_561 Depth=1
	v_bfe_u32 v83, v28, 16, 7
	v_mov_b32_e32 v86, 0x7f800001
	s_mov_b32 s25, exec_lo
	s_delay_alu instid0(VALU_DEP_2)
	v_cmpx_ne_u32_e32 0x7f, v83
	s_cbranch_execz .LBB312_892
; %bb.889:                              ;   in Loop: Header=BB312_561 Depth=1
	v_dual_lshrrev_b32 v31, 3, v83 :: v_dual_bitop2_b32 v18, 7, v30 bitop3:0x40
	s_mov_b32 s27, exec_lo
	v_cmpx_gt_u32_e32 8, v83
; %bb.890:                              ;   in Loop: Header=BB312_561 Depth=1
	s_delay_alu instid0(VALU_DEP_2) | instskip(NEXT) | instid1(VALU_DEP_1)
	v_clz_i32_u32_e32 v31, v18
	v_min_u32_e32 v31, 32, v31
	s_delay_alu instid0(VALU_DEP_1) | instskip(NEXT) | instid1(VALU_DEP_1)
	v_subrev_nc_u32_e32 v83, 28, v31
	v_lshlrev_b64_e32 v[86:87], v83, v[18:19]
	s_delay_alu instid0(VALU_DEP_1)
	v_dual_sub_nc_u32 v31, 29, v31 :: v_dual_bitop2_b32 v18, 7, v86 bitop3:0x40
; %bb.891:                              ;   in Loop: Header=BB312_561 Depth=1
	s_or_b32 exec_lo, exec_lo, s27
	v_lshlrev_b32_e32 v30, 24, v30
	s_delay_alu instid0(VALU_DEP_2) | instskip(NEXT) | instid1(VALU_DEP_3)
	v_lshlrev_b32_e32 v18, 20, v18
	v_lshl_add_u32 v31, v31, 23, 0x3c000000
	s_delay_alu instid0(VALU_DEP_3) | instskip(NEXT) | instid1(VALU_DEP_1)
	v_and_b32_e32 v30, 0x80000000, v30
	v_or3_b32 v86, v18, v30, v31
.LBB312_892:                            ;   in Loop: Header=BB312_561 Depth=1
	s_or_b32 exec_lo, exec_lo, s25
.LBB312_893:                            ;   in Loop: Header=BB312_561 Depth=1
	s_delay_alu instid0(SALU_CYCLE_1)
	s_or_b32 exec_lo, exec_lo, s24
.LBB312_894:                            ;   in Loop: Header=BB312_561 Depth=1
	s_delay_alu instid0(SALU_CYCLE_1) | instskip(NEXT) | instid1(SALU_CYCLE_1)
	s_or_b32 exec_lo, exec_lo, s23
	s_mov_b32 s23, exec_lo
	v_cmpx_lt_u32_e32 0xffffff, v28
	s_cbranch_execz .LBB312_902
; %bb.895:                              ;   in Loop: Header=BB312_561 Depth=1
	v_lshrrev_b32_e32 v30, 24, v28
	v_bfrev_b32_e32 v85, 1
	s_mov_b32 s24, exec_lo
	s_delay_alu instid0(VALU_DEP_2)
	v_cmpx_ne_u32_e32 0x80, v30
	s_cbranch_execz .LBB312_901
; %bb.896:                              ;   in Loop: Header=BB312_561 Depth=1
	v_bfe_u32 v83, v28, 24, 7
	v_mov_b32_e32 v85, 0x7f800001
	s_mov_b32 s25, exec_lo
	s_delay_alu instid0(VALU_DEP_2)
	v_cmpx_ne_u32_e32 0x7f, v83
	s_cbranch_execz .LBB312_900
; %bb.897:                              ;   in Loop: Header=BB312_561 Depth=1
	v_dual_lshrrev_b32 v31, 3, v83 :: v_dual_bitop2_b32 v18, 7, v30 bitop3:0x40
	s_mov_b32 s27, exec_lo
	v_cmpx_gt_u32_e32 8, v83
; %bb.898:                              ;   in Loop: Header=BB312_561 Depth=1
	s_delay_alu instid0(VALU_DEP_2) | instskip(NEXT) | instid1(VALU_DEP_1)
	v_clz_i32_u32_e32 v31, v18
	v_min_u32_e32 v31, 32, v31
	s_delay_alu instid0(VALU_DEP_1) | instskip(NEXT) | instid1(VALU_DEP_1)
	v_subrev_nc_u32_e32 v83, 28, v31
	v_lshlrev_b64_e32 v[84:85], v83, v[18:19]
	s_delay_alu instid0(VALU_DEP_1)
	v_dual_sub_nc_u32 v31, 29, v31 :: v_dual_bitop2_b32 v18, 7, v84 bitop3:0x40
; %bb.899:                              ;   in Loop: Header=BB312_561 Depth=1
	s_or_b32 exec_lo, exec_lo, s27
	v_lshlrev_b32_e32 v30, 24, v30
	s_delay_alu instid0(VALU_DEP_2) | instskip(NEXT) | instid1(VALU_DEP_3)
	v_lshlrev_b32_e32 v18, 20, v18
	v_lshl_add_u32 v31, v31, 23, 0x3c000000
	s_delay_alu instid0(VALU_DEP_3) | instskip(NEXT) | instid1(VALU_DEP_1)
	v_and_b32_e32 v30, 0x80000000, v30
	v_or3_b32 v85, v18, v30, v31
.LBB312_900:                            ;   in Loop: Header=BB312_561 Depth=1
	s_or_b32 exec_lo, exec_lo, s25
.LBB312_901:                            ;   in Loop: Header=BB312_561 Depth=1
	s_delay_alu instid0(SALU_CYCLE_1)
	s_or_b32 exec_lo, exec_lo, s24
.LBB312_902:                            ;   in Loop: Header=BB312_561 Depth=1
	s_delay_alu instid0(SALU_CYCLE_1) | instskip(SKIP_4) | instid1(VALU_DEP_3)
	s_or_b32 exec_lo, exec_lo, s23
	v_and_b32_e32 v31, 0xff, v29
	v_dual_mov_b32 v18, v29 :: v_dual_mov_b32 v30, 0
	v_mov_b32_e32 v84, 0
	s_mov_b32 s23, exec_lo
	v_cmpx_ne_u16_e32 0, v31
	s_cbranch_execz .LBB312_908
; %bb.903:                              ;   in Loop: Header=BB312_561 Depth=1
	v_bfrev_b32_e32 v84, 1
	s_mov_b32 s24, exec_lo
	v_cmpx_ne_u16_e32 0x80, v31
	s_cbranch_execz .LBB312_907
; %bb.904:                              ;   in Loop: Header=BB312_561 Depth=1
	v_and_b32_e32 v31, 0x7f, v29
	v_mov_b32_e32 v84, 0x7f800001
	s_mov_b32 s25, exec_lo
	s_delay_alu instid0(VALU_DEP_2)
	v_cmpx_ne_u32_e32 0x7f, v31
	s_cbranch_execz .LBB312_906
; %bb.905:                              ;   in Loop: Header=BB312_561 Depth=1
	v_dual_lshrrev_b32 v84, 3, v31 :: v_dual_bitop2_b32 v83, 7, v29 bitop3:0x40
	v_cmp_gt_u32_e64 s0, 8, v31
	s_delay_alu instid0(VALU_DEP_2) | instskip(NEXT) | instid1(VALU_DEP_1)
	v_clz_i32_u32_e32 v83, v83
	v_min_u32_e32 v83, 32, v83
	s_delay_alu instid0(VALU_DEP_1) | instskip(SKIP_1) | instid1(VALU_DEP_1)
	v_subrev_nc_u32_e32 v87, 28, v83
	v_sub_nc_u32_e32 v83, 29, v83
	v_cndmask_b32_e64 v31, v84, v83, s0
	s_delay_alu instid0(VALU_DEP_3) | instskip(NEXT) | instid1(VALU_DEP_1)
	v_cndmask_b32_e64 v83, 0, v87, s0
	v_lshlrev_b64_e32 v[88:89], v83, v[18:19]
	v_lshlrev_b32_e32 v83, 24, v18
	s_delay_alu instid0(VALU_DEP_4) | instskip(NEXT) | instid1(VALU_DEP_2)
	v_lshl_add_u32 v31, v31, 23, 0x3c000000
	v_and_b32_e32 v83, 0x80000000, v83
	s_delay_alu instid0(VALU_DEP_4) | instskip(NEXT) | instid1(VALU_DEP_1)
	v_lshlrev_b32_e32 v84, 20, v88
	v_and_b32_e32 v84, 0x700000, v84
	s_delay_alu instid0(VALU_DEP_1)
	v_or3_b32 v84, v84, v83, v31
.LBB312_906:                            ;   in Loop: Header=BB312_561 Depth=1
	s_or_b32 exec_lo, exec_lo, s25
.LBB312_907:                            ;   in Loop: Header=BB312_561 Depth=1
	s_delay_alu instid0(SALU_CYCLE_1)
	s_or_b32 exec_lo, exec_lo, s24
.LBB312_908:                            ;   in Loop: Header=BB312_561 Depth=1
	s_delay_alu instid0(SALU_CYCLE_1) | instskip(SKIP_2) | instid1(VALU_DEP_1)
	s_or_b32 exec_lo, exec_lo, s23
	v_lshrrev_b16 v31, 8, v18
	s_mov_b32 s23, exec_lo
	v_cmpx_ne_u16_e32 0, v31
	s_cbranch_execz .LBB312_916
; %bb.909:                              ;   in Loop: Header=BB312_561 Depth=1
	v_bfrev_b32_e32 v30, 1
	s_mov_b32 s24, exec_lo
	v_cmpx_ne_u16_e32 0x80, v31
	s_cbranch_execz .LBB312_915
; %bb.910:                              ;   in Loop: Header=BB312_561 Depth=1
	v_and_b32_e32 v31, 0xffff, v31
	v_mov_b32_e32 v30, 0x7f800001
	s_mov_b32 s25, exec_lo
	s_delay_alu instid0(VALU_DEP_2) | instskip(NEXT) | instid1(VALU_DEP_1)
	v_and_b32_e32 v87, 0x7f, v31
	v_cmpx_ne_u32_e32 0x7f, v87
	s_cbranch_execz .LBB312_914
; %bb.911:                              ;   in Loop: Header=BB312_561 Depth=1
	v_dual_mov_b32 v31, v19 :: v_dual_bitop2_b32 v30, 7, v31 bitop3:0x40
	v_lshrrev_b32_e32 v83, 3, v87
	s_mov_b32 s27, exec_lo
	v_cmpx_gt_u32_e32 8, v87
; %bb.912:                              ;   in Loop: Header=BB312_561 Depth=1
	s_delay_alu instid0(VALU_DEP_3) | instskip(NEXT) | instid1(VALU_DEP_1)
	v_clz_i32_u32_e32 v83, v30
	v_min_u32_e32 v83, 32, v83
	s_delay_alu instid0(VALU_DEP_1) | instskip(NEXT) | instid1(VALU_DEP_1)
	v_subrev_nc_u32_e32 v87, 28, v83
	v_lshlrev_b64_e32 v[30:31], v87, v[30:31]
	s_delay_alu instid0(VALU_DEP_1)
	v_dual_sub_nc_u32 v83, 29, v83 :: v_dual_bitop2_b32 v30, 7, v30 bitop3:0x40
; %bb.913:                              ;   in Loop: Header=BB312_561 Depth=1
	s_or_b32 exec_lo, exec_lo, s27
	v_lshlrev_b32_e32 v18, 16, v18
	s_delay_alu instid0(VALU_DEP_2) | instskip(NEXT) | instid1(VALU_DEP_3)
	v_lshlrev_b32_e32 v30, 20, v30
	v_lshl_add_u32 v31, v83, 23, 0x3c000000
	s_delay_alu instid0(VALU_DEP_3) | instskip(NEXT) | instid1(VALU_DEP_1)
	v_and_b32_e32 v18, 0x80000000, v18
	v_or3_b32 v30, v30, v18, v31
.LBB312_914:                            ;   in Loop: Header=BB312_561 Depth=1
	s_or_b32 exec_lo, exec_lo, s25
.LBB312_915:                            ;   in Loop: Header=BB312_561 Depth=1
	s_delay_alu instid0(SALU_CYCLE_1)
	s_or_b32 exec_lo, exec_lo, s24
.LBB312_916:                            ;   in Loop: Header=BB312_561 Depth=1
	s_delay_alu instid0(SALU_CYCLE_1) | instskip(SKIP_3) | instid1(VALU_DEP_2)
	s_or_b32 exec_lo, exec_lo, s23
	v_dual_lshrrev_b32 v83, 16, v29 :: v_dual_mov_b32 v31, 0
	v_mov_b32_e32 v89, 0
	s_mov_b32 s23, exec_lo
	v_and_b32_e32 v18, 0xff, v83
	s_delay_alu instid0(VALU_DEP_1)
	v_cmpx_ne_u16_e32 0, v18
	s_cbranch_execz .LBB312_924
; %bb.917:                              ;   in Loop: Header=BB312_561 Depth=1
	v_bfrev_b32_e32 v89, 1
	s_mov_b32 s24, exec_lo
	v_cmpx_ne_u16_e32 0x80, v18
	s_cbranch_execz .LBB312_923
; %bb.918:                              ;   in Loop: Header=BB312_561 Depth=1
	v_bfe_u32 v88, v29, 16, 7
	v_mov_b32_e32 v89, 0x7f800001
	s_mov_b32 s25, exec_lo
	s_delay_alu instid0(VALU_DEP_2)
	v_cmpx_ne_u32_e32 0x7f, v88
	s_cbranch_execz .LBB312_922
; %bb.919:                              ;   in Loop: Header=BB312_561 Depth=1
	v_dual_lshrrev_b32 v87, 3, v88 :: v_dual_bitop2_b32 v18, 7, v83 bitop3:0x40
	s_mov_b32 s27, exec_lo
	v_cmpx_gt_u32_e32 8, v88
; %bb.920:                              ;   in Loop: Header=BB312_561 Depth=1
	s_delay_alu instid0(VALU_DEP_2) | instskip(NEXT) | instid1(VALU_DEP_1)
	v_clz_i32_u32_e32 v87, v18
	v_min_u32_e32 v87, 32, v87
	s_delay_alu instid0(VALU_DEP_1) | instskip(NEXT) | instid1(VALU_DEP_1)
	v_subrev_nc_u32_e32 v88, 28, v87
	v_lshlrev_b64_e32 v[88:89], v88, v[18:19]
	s_delay_alu instid0(VALU_DEP_1)
	v_dual_sub_nc_u32 v87, 29, v87 :: v_dual_bitop2_b32 v18, 7, v88 bitop3:0x40
; %bb.921:                              ;   in Loop: Header=BB312_561 Depth=1
	s_or_b32 exec_lo, exec_lo, s27
	s_delay_alu instid0(VALU_DEP_1) | instskip(NEXT) | instid1(VALU_DEP_2)
	v_dual_lshlrev_b32 v83, 24, v83 :: v_dual_lshlrev_b32 v18, 20, v18
	v_lshl_add_u32 v87, v87, 23, 0x3c000000
	s_delay_alu instid0(VALU_DEP_2) | instskip(NEXT) | instid1(VALU_DEP_1)
	v_and_b32_e32 v83, 0x80000000, v83
	v_or3_b32 v89, v18, v83, v87
.LBB312_922:                            ;   in Loop: Header=BB312_561 Depth=1
	s_or_b32 exec_lo, exec_lo, s25
.LBB312_923:                            ;   in Loop: Header=BB312_561 Depth=1
	s_delay_alu instid0(SALU_CYCLE_1)
	s_or_b32 exec_lo, exec_lo, s24
.LBB312_924:                            ;   in Loop: Header=BB312_561 Depth=1
	s_delay_alu instid0(SALU_CYCLE_1) | instskip(NEXT) | instid1(SALU_CYCLE_1)
	s_or_b32 exec_lo, exec_lo, s23
	s_mov_b32 s23, exec_lo
	v_cmpx_lt_u64_e64 s[2:3], v[28:29]
	s_cbranch_execz .LBB312_932
; %bb.925:                              ;   in Loop: Header=BB312_561 Depth=1
	v_lshrrev_b32_e32 v28, 24, v29
	v_bfrev_b32_e32 v31, 1
	s_mov_b32 s24, exec_lo
	s_delay_alu instid0(VALU_DEP_2)
	v_cmpx_ne_u32_e32 0x80, v28
	s_cbranch_execz .LBB312_931
; %bb.926:                              ;   in Loop: Header=BB312_561 Depth=1
	v_bfe_u32 v83, v29, 24, 7
	v_mov_b32_e32 v31, 0x7f800001
	s_mov_b32 s25, exec_lo
	s_delay_alu instid0(VALU_DEP_2)
	v_cmpx_ne_u32_e32 0x7f, v83
	s_cbranch_execz .LBB312_930
; %bb.927:                              ;   in Loop: Header=BB312_561 Depth=1
	v_dual_lshrrev_b32 v29, 3, v83 :: v_dual_bitop2_b32 v18, 7, v28 bitop3:0x40
	s_mov_b32 s27, exec_lo
	v_cmpx_gt_u32_e32 8, v83
; %bb.928:                              ;   in Loop: Header=BB312_561 Depth=1
	s_delay_alu instid0(VALU_DEP_2) | instskip(NEXT) | instid1(VALU_DEP_1)
	v_clz_i32_u32_e32 v29, v18
	v_min_u32_e32 v29, 32, v29
	s_delay_alu instid0(VALU_DEP_1) | instskip(NEXT) | instid1(VALU_DEP_1)
	v_subrev_nc_u32_e32 v31, 28, v29
	v_lshlrev_b64_e32 v[90:91], v31, v[18:19]
	s_delay_alu instid0(VALU_DEP_1)
	v_dual_sub_nc_u32 v29, 29, v29 :: v_dual_bitop2_b32 v18, 7, v90 bitop3:0x40
; %bb.929:                              ;   in Loop: Header=BB312_561 Depth=1
	s_or_b32 exec_lo, exec_lo, s27
	s_delay_alu instid0(VALU_DEP_1) | instskip(NEXT) | instid1(VALU_DEP_2)
	v_dual_lshlrev_b32 v28, 24, v28 :: v_dual_lshlrev_b32 v18, 20, v18
	v_lshl_add_u32 v29, v29, 23, 0x3c000000
	s_delay_alu instid0(VALU_DEP_2) | instskip(NEXT) | instid1(VALU_DEP_1)
	v_and_b32_e32 v28, 0x80000000, v28
	v_or3_b32 v31, v18, v28, v29
.LBB312_930:                            ;   in Loop: Header=BB312_561 Depth=1
	s_or_b32 exec_lo, exec_lo, s25
.LBB312_931:                            ;   in Loop: Header=BB312_561 Depth=1
	s_delay_alu instid0(SALU_CYCLE_1)
	s_or_b32 exec_lo, exec_lo, s24
.LBB312_932:                            ;   in Loop: Header=BB312_561 Depth=1
	s_delay_alu instid0(SALU_CYCLE_1)
	s_or_b32 exec_lo, exec_lo, s23
	v_fma_mixlo_bf16 v83, s22, v30, 0
	v_fma_mixlo_bf16 v84, s22, v84, 0
	;; [unrolled: 1-line block ×8, first 2 shown]
	s_and_saveexec_b32 s23, vcc_lo
	s_cbranch_execz .LBB312_934
; %bb.933:                              ;   in Loop: Header=BB312_561 Depth=1
	v_cmp_gt_i32_e64 s0, s34, v26
	s_delay_alu instid0(VALU_DEP_1) | instskip(SKIP_1) | instid1(VALU_DEP_1)
	v_cndmask_b32_e64 v88, 0, v88, s0
	v_cmp_gt_i32_e64 s0, s34, v48
	v_cndmask_b32_e64 v87, 0, v87, s0
	v_cmp_gt_i32_e64 s0, s34, v47
	s_delay_alu instid0(VALU_DEP_1) | instskip(SKIP_1) | instid1(VALU_DEP_1)
	v_cndmask_b32_e64 v86, 0, v86, s0
	v_cmp_gt_i32_e64 s0, s34, v46
	v_cndmask_b32_e64 v85, 0, v85, s0
	;; [unrolled: 5-line block ×4, first 2 shown]
.LBB312_934:                            ;   in Loop: Header=BB312_561 Depth=1
	s_or_b32 exec_lo, exec_lo, s23
	global_load_b64 v[28:29], v[24:25], off offset:1536
	v_dual_mov_b32 v93, 0 :: v_dual_mov_b32 v94, 0
	s_mov_b32 s23, exec_lo
	s_wait_loadcnt 0x0
	v_and_b32_e32 v18, 0xff, v28
	s_delay_alu instid0(VALU_DEP_1)
	v_cmpx_ne_u16_e32 0, v18
	s_cbranch_execz .LBB312_940
; %bb.935:                              ;   in Loop: Header=BB312_561 Depth=1
	v_bfrev_b32_e32 v94, 1
	s_mov_b32 s24, exec_lo
	v_cmpx_ne_u16_e32 0x80, v18
	s_cbranch_execz .LBB312_939
; %bb.936:                              ;   in Loop: Header=BB312_561 Depth=1
	v_and_b32_e32 v18, 0x7f, v28
	v_mov_b32_e32 v94, 0x7f800001
	s_mov_b32 s25, exec_lo
	s_delay_alu instid0(VALU_DEP_2)
	v_cmpx_ne_u32_e32 0x7f, v18
	s_cbranch_execz .LBB312_938
; %bb.937:                              ;   in Loop: Header=BB312_561 Depth=1
	v_dual_lshrrev_b32 v31, 3, v18 :: v_dual_bitop2_b32 v30, 7, v28 bitop3:0x40
	v_cmp_gt_u32_e64 s0, 8, v18
	s_delay_alu instid0(VALU_DEP_2) | instskip(NEXT) | instid1(VALU_DEP_1)
	v_clz_i32_u32_e32 v30, v30
	v_min_u32_e32 v30, 32, v30
	s_delay_alu instid0(VALU_DEP_1) | instskip(SKIP_1) | instid1(VALU_DEP_1)
	v_subrev_nc_u32_e32 v89, 28, v30
	v_sub_nc_u32_e32 v30, 29, v30
	v_dual_cndmask_b32 v18, v31, v30, s0 :: v_dual_cndmask_b32 v30, 0, v89, s0
	s_delay_alu instid0(VALU_DEP_1) | instskip(NEXT) | instid1(VALU_DEP_2)
	v_lshl_add_u32 v18, v18, 23, 0x3c000000
	v_lshlrev_b64_e32 v[30:31], v30, v[28:29]
	v_lshlrev_b32_e32 v31, 24, v28
	s_delay_alu instid0(VALU_DEP_1) | instskip(NEXT) | instid1(VALU_DEP_3)
	v_and_b32_e32 v31, 0x80000000, v31
	v_lshlrev_b32_e32 v30, 20, v30
	s_delay_alu instid0(VALU_DEP_1) | instskip(NEXT) | instid1(VALU_DEP_1)
	v_and_b32_e32 v30, 0x700000, v30
	v_or3_b32 v94, v30, v31, v18
.LBB312_938:                            ;   in Loop: Header=BB312_561 Depth=1
	s_or_b32 exec_lo, exec_lo, s25
.LBB312_939:                            ;   in Loop: Header=BB312_561 Depth=1
	s_delay_alu instid0(SALU_CYCLE_1)
	s_or_b32 exec_lo, exec_lo, s24
.LBB312_940:                            ;   in Loop: Header=BB312_561 Depth=1
	s_delay_alu instid0(SALU_CYCLE_1) | instskip(SKIP_2) | instid1(VALU_DEP_1)
	s_or_b32 exec_lo, exec_lo, s23
	v_lshrrev_b16 v18, 8, v28
	s_mov_b32 s23, exec_lo
	v_cmpx_ne_u16_e32 0, v18
	s_cbranch_execz .LBB312_948
; %bb.941:                              ;   in Loop: Header=BB312_561 Depth=1
	v_bfrev_b32_e32 v93, 1
	s_mov_b32 s24, exec_lo
	v_cmpx_ne_u16_e32 0x80, v18
	s_cbranch_execz .LBB312_947
; %bb.942:                              ;   in Loop: Header=BB312_561 Depth=1
	v_and_b32_e32 v18, 0xffff, v18
	v_mov_b32_e32 v93, 0x7f800001
	s_mov_b32 s25, exec_lo
	s_delay_alu instid0(VALU_DEP_2) | instskip(NEXT) | instid1(VALU_DEP_1)
	v_and_b32_e32 v31, 0x7f, v18
	v_cmpx_ne_u32_e32 0x7f, v31
	s_cbranch_execz .LBB312_946
; %bb.943:                              ;   in Loop: Header=BB312_561 Depth=1
	v_dual_lshrrev_b32 v30, 3, v31 :: v_dual_bitop2_b32 v18, 7, v18 bitop3:0x40
	s_mov_b32 s27, exec_lo
	v_cmpx_gt_u32_e32 8, v31
; %bb.944:                              ;   in Loop: Header=BB312_561 Depth=1
	s_delay_alu instid0(VALU_DEP_2) | instskip(NEXT) | instid1(VALU_DEP_1)
	v_clz_i32_u32_e32 v30, v18
	v_min_u32_e32 v30, 32, v30
	s_delay_alu instid0(VALU_DEP_1) | instskip(SKIP_1) | instid1(VALU_DEP_2)
	v_subrev_nc_u32_e32 v31, 28, v30
	v_sub_nc_u32_e32 v30, 29, v30
	v_lshlrev_b64_e32 v[90:91], v31, v[18:19]
	s_delay_alu instid0(VALU_DEP_1)
	v_and_b32_e32 v18, 7, v90
; %bb.945:                              ;   in Loop: Header=BB312_561 Depth=1
	s_or_b32 exec_lo, exec_lo, s27
	s_delay_alu instid0(VALU_DEP_1) | instskip(SKIP_1) | instid1(VALU_DEP_2)
	v_dual_lshlrev_b32 v31, 16, v28 :: v_dual_lshlrev_b32 v18, 20, v18
	v_lshl_add_u32 v30, v30, 23, 0x3c000000
	v_and_b32_e32 v31, 0x80000000, v31
	s_delay_alu instid0(VALU_DEP_1)
	v_or3_b32 v93, v18, v31, v30
.LBB312_946:                            ;   in Loop: Header=BB312_561 Depth=1
	s_or_b32 exec_lo, exec_lo, s25
.LBB312_947:                            ;   in Loop: Header=BB312_561 Depth=1
	s_delay_alu instid0(SALU_CYCLE_1)
	s_or_b32 exec_lo, exec_lo, s24
.LBB312_948:                            ;   in Loop: Header=BB312_561 Depth=1
	s_delay_alu instid0(SALU_CYCLE_1) | instskip(SKIP_3) | instid1(VALU_DEP_2)
	s_or_b32 exec_lo, exec_lo, s23
	v_dual_mov_b32 v91, 0 :: v_dual_lshrrev_b32 v30, 16, v28
	v_mov_b32_e32 v92, 0
	s_mov_b32 s23, exec_lo
	v_and_b32_e32 v18, 0xff, v30
	s_delay_alu instid0(VALU_DEP_1)
	v_cmpx_ne_u16_e32 0, v18
	s_cbranch_execz .LBB312_956
; %bb.949:                              ;   in Loop: Header=BB312_561 Depth=1
	v_bfrev_b32_e32 v92, 1
	s_mov_b32 s24, exec_lo
	v_cmpx_ne_u16_e32 0x80, v18
	s_cbranch_execz .LBB312_955
; %bb.950:                              ;   in Loop: Header=BB312_561 Depth=1
	v_bfe_u32 v89, v28, 16, 7
	v_mov_b32_e32 v92, 0x7f800001
	s_mov_b32 s25, exec_lo
	s_delay_alu instid0(VALU_DEP_2)
	v_cmpx_ne_u32_e32 0x7f, v89
	s_cbranch_execz .LBB312_954
; %bb.951:                              ;   in Loop: Header=BB312_561 Depth=1
	v_dual_lshrrev_b32 v31, 3, v89 :: v_dual_bitop2_b32 v18, 7, v30 bitop3:0x40
	s_mov_b32 s27, exec_lo
	v_cmpx_gt_u32_e32 8, v89
; %bb.952:                              ;   in Loop: Header=BB312_561 Depth=1
	s_delay_alu instid0(VALU_DEP_2) | instskip(NEXT) | instid1(VALU_DEP_1)
	v_clz_i32_u32_e32 v31, v18
	v_min_u32_e32 v31, 32, v31
	s_delay_alu instid0(VALU_DEP_1) | instskip(NEXT) | instid1(VALU_DEP_1)
	v_subrev_nc_u32_e32 v89, 28, v31
	v_lshlrev_b64_e32 v[96:97], v89, v[18:19]
	s_delay_alu instid0(VALU_DEP_1)
	v_dual_sub_nc_u32 v31, 29, v31 :: v_dual_bitop2_b32 v18, 7, v96 bitop3:0x40
; %bb.953:                              ;   in Loop: Header=BB312_561 Depth=1
	s_or_b32 exec_lo, exec_lo, s27
	v_lshlrev_b32_e32 v30, 24, v30
	s_delay_alu instid0(VALU_DEP_2) | instskip(NEXT) | instid1(VALU_DEP_3)
	v_lshlrev_b32_e32 v18, 20, v18
	v_lshl_add_u32 v31, v31, 23, 0x3c000000
	s_delay_alu instid0(VALU_DEP_3) | instskip(NEXT) | instid1(VALU_DEP_1)
	v_and_b32_e32 v30, 0x80000000, v30
	v_or3_b32 v92, v18, v30, v31
.LBB312_954:                            ;   in Loop: Header=BB312_561 Depth=1
	s_or_b32 exec_lo, exec_lo, s25
.LBB312_955:                            ;   in Loop: Header=BB312_561 Depth=1
	s_delay_alu instid0(SALU_CYCLE_1)
	s_or_b32 exec_lo, exec_lo, s24
.LBB312_956:                            ;   in Loop: Header=BB312_561 Depth=1
	s_delay_alu instid0(SALU_CYCLE_1) | instskip(NEXT) | instid1(SALU_CYCLE_1)
	s_or_b32 exec_lo, exec_lo, s23
	s_mov_b32 s23, exec_lo
	v_cmpx_lt_u32_e32 0xffffff, v28
	s_cbranch_execz .LBB312_964
; %bb.957:                              ;   in Loop: Header=BB312_561 Depth=1
	v_lshrrev_b32_e32 v30, 24, v28
	v_bfrev_b32_e32 v91, 1
	s_mov_b32 s24, exec_lo
	s_delay_alu instid0(VALU_DEP_2)
	v_cmpx_ne_u32_e32 0x80, v30
	s_cbranch_execz .LBB312_963
; %bb.958:                              ;   in Loop: Header=BB312_561 Depth=1
	v_bfe_u32 v89, v28, 24, 7
	v_mov_b32_e32 v91, 0x7f800001
	s_mov_b32 s25, exec_lo
	s_delay_alu instid0(VALU_DEP_2)
	v_cmpx_ne_u32_e32 0x7f, v89
	s_cbranch_execz .LBB312_962
; %bb.959:                              ;   in Loop: Header=BB312_561 Depth=1
	v_dual_lshrrev_b32 v31, 3, v89 :: v_dual_bitop2_b32 v18, 7, v30 bitop3:0x40
	s_mov_b32 s27, exec_lo
	v_cmpx_gt_u32_e32 8, v89
; %bb.960:                              ;   in Loop: Header=BB312_561 Depth=1
	s_delay_alu instid0(VALU_DEP_2) | instskip(NEXT) | instid1(VALU_DEP_1)
	v_clz_i32_u32_e32 v31, v18
	v_min_u32_e32 v31, 32, v31
	s_delay_alu instid0(VALU_DEP_1) | instskip(NEXT) | instid1(VALU_DEP_1)
	v_subrev_nc_u32_e32 v89, 28, v31
	v_lshlrev_b64_e32 v[90:91], v89, v[18:19]
	s_delay_alu instid0(VALU_DEP_1)
	v_dual_sub_nc_u32 v31, 29, v31 :: v_dual_bitop2_b32 v18, 7, v90 bitop3:0x40
; %bb.961:                              ;   in Loop: Header=BB312_561 Depth=1
	s_or_b32 exec_lo, exec_lo, s27
	v_lshlrev_b32_e32 v30, 24, v30
	s_delay_alu instid0(VALU_DEP_2) | instskip(NEXT) | instid1(VALU_DEP_3)
	v_lshlrev_b32_e32 v18, 20, v18
	v_lshl_add_u32 v31, v31, 23, 0x3c000000
	s_delay_alu instid0(VALU_DEP_3) | instskip(NEXT) | instid1(VALU_DEP_1)
	v_and_b32_e32 v30, 0x80000000, v30
	v_or3_b32 v91, v18, v30, v31
.LBB312_962:                            ;   in Loop: Header=BB312_561 Depth=1
	s_or_b32 exec_lo, exec_lo, s25
.LBB312_963:                            ;   in Loop: Header=BB312_561 Depth=1
	s_delay_alu instid0(SALU_CYCLE_1)
	s_or_b32 exec_lo, exec_lo, s24
.LBB312_964:                            ;   in Loop: Header=BB312_561 Depth=1
	s_delay_alu instid0(SALU_CYCLE_1) | instskip(SKIP_4) | instid1(VALU_DEP_3)
	s_or_b32 exec_lo, exec_lo, s23
	v_and_b32_e32 v31, 0xff, v29
	v_dual_mov_b32 v18, v29 :: v_dual_mov_b32 v30, 0
	v_mov_b32_e32 v90, 0
	s_mov_b32 s23, exec_lo
	v_cmpx_ne_u16_e32 0, v31
	s_cbranch_execz .LBB312_970
; %bb.965:                              ;   in Loop: Header=BB312_561 Depth=1
	v_bfrev_b32_e32 v90, 1
	s_mov_b32 s24, exec_lo
	v_cmpx_ne_u16_e32 0x80, v31
	s_cbranch_execz .LBB312_969
; %bb.966:                              ;   in Loop: Header=BB312_561 Depth=1
	v_and_b32_e32 v31, 0x7f, v29
	v_mov_b32_e32 v90, 0x7f800001
	s_mov_b32 s25, exec_lo
	s_delay_alu instid0(VALU_DEP_2)
	v_cmpx_ne_u32_e32 0x7f, v31
	s_cbranch_execz .LBB312_968
; %bb.967:                              ;   in Loop: Header=BB312_561 Depth=1
	v_dual_lshrrev_b32 v90, 3, v31 :: v_dual_bitop2_b32 v89, 7, v29 bitop3:0x40
	v_cmp_gt_u32_e64 s0, 8, v31
	s_delay_alu instid0(VALU_DEP_2) | instskip(NEXT) | instid1(VALU_DEP_1)
	v_clz_i32_u32_e32 v89, v89
	v_min_u32_e32 v89, 32, v89
	s_delay_alu instid0(VALU_DEP_1) | instskip(SKIP_1) | instid1(VALU_DEP_1)
	v_subrev_nc_u32_e32 v95, 28, v89
	v_sub_nc_u32_e32 v89, 29, v89
	v_dual_cndmask_b32 v31, v90, v89, s0 :: v_dual_cndmask_b32 v89, 0, v95, s0
	s_delay_alu instid0(VALU_DEP_1) | instskip(NEXT) | instid1(VALU_DEP_2)
	v_lshl_add_u32 v31, v31, 23, 0x3c000000
	v_lshlrev_b64_e32 v[96:97], v89, v[18:19]
	v_lshlrev_b32_e32 v89, 24, v18
	s_delay_alu instid0(VALU_DEP_1) | instskip(NEXT) | instid1(VALU_DEP_3)
	v_and_b32_e32 v89, 0x80000000, v89
	v_lshlrev_b32_e32 v90, 20, v96
	s_delay_alu instid0(VALU_DEP_1) | instskip(NEXT) | instid1(VALU_DEP_1)
	v_and_b32_e32 v90, 0x700000, v90
	v_or3_b32 v90, v90, v89, v31
.LBB312_968:                            ;   in Loop: Header=BB312_561 Depth=1
	s_or_b32 exec_lo, exec_lo, s25
.LBB312_969:                            ;   in Loop: Header=BB312_561 Depth=1
	s_delay_alu instid0(SALU_CYCLE_1)
	s_or_b32 exec_lo, exec_lo, s24
.LBB312_970:                            ;   in Loop: Header=BB312_561 Depth=1
	s_delay_alu instid0(SALU_CYCLE_1) | instskip(SKIP_2) | instid1(VALU_DEP_1)
	s_or_b32 exec_lo, exec_lo, s23
	v_lshrrev_b16 v31, 8, v18
	s_mov_b32 s23, exec_lo
	v_cmpx_ne_u16_e32 0, v31
	s_cbranch_execz .LBB312_978
; %bb.971:                              ;   in Loop: Header=BB312_561 Depth=1
	v_bfrev_b32_e32 v30, 1
	s_mov_b32 s24, exec_lo
	v_cmpx_ne_u16_e32 0x80, v31
	s_cbranch_execz .LBB312_977
; %bb.972:                              ;   in Loop: Header=BB312_561 Depth=1
	v_and_b32_e32 v31, 0xffff, v31
	v_mov_b32_e32 v30, 0x7f800001
	s_mov_b32 s25, exec_lo
	s_delay_alu instid0(VALU_DEP_2) | instskip(NEXT) | instid1(VALU_DEP_1)
	v_and_b32_e32 v95, 0x7f, v31
	v_cmpx_ne_u32_e32 0x7f, v95
	s_cbranch_execz .LBB312_976
; %bb.973:                              ;   in Loop: Header=BB312_561 Depth=1
	v_dual_mov_b32 v31, v19 :: v_dual_bitop2_b32 v30, 7, v31 bitop3:0x40
	v_lshrrev_b32_e32 v89, 3, v95
	s_mov_b32 s27, exec_lo
	v_cmpx_gt_u32_e32 8, v95
; %bb.974:                              ;   in Loop: Header=BB312_561 Depth=1
	s_delay_alu instid0(VALU_DEP_3) | instskip(NEXT) | instid1(VALU_DEP_1)
	v_clz_i32_u32_e32 v89, v30
	v_min_u32_e32 v89, 32, v89
	s_delay_alu instid0(VALU_DEP_1) | instskip(NEXT) | instid1(VALU_DEP_1)
	v_subrev_nc_u32_e32 v95, 28, v89
	v_lshlrev_b64_e32 v[30:31], v95, v[30:31]
	s_delay_alu instid0(VALU_DEP_1)
	v_dual_sub_nc_u32 v89, 29, v89 :: v_dual_bitop2_b32 v30, 7, v30 bitop3:0x40
; %bb.975:                              ;   in Loop: Header=BB312_561 Depth=1
	s_or_b32 exec_lo, exec_lo, s27
	v_lshlrev_b32_e32 v18, 16, v18
	s_delay_alu instid0(VALU_DEP_2) | instskip(NEXT) | instid1(VALU_DEP_3)
	v_lshlrev_b32_e32 v30, 20, v30
	v_lshl_add_u32 v31, v89, 23, 0x3c000000
	s_delay_alu instid0(VALU_DEP_3) | instskip(NEXT) | instid1(VALU_DEP_1)
	v_and_b32_e32 v18, 0x80000000, v18
	v_or3_b32 v30, v30, v18, v31
.LBB312_976:                            ;   in Loop: Header=BB312_561 Depth=1
	s_or_b32 exec_lo, exec_lo, s25
.LBB312_977:                            ;   in Loop: Header=BB312_561 Depth=1
	s_delay_alu instid0(SALU_CYCLE_1)
	s_or_b32 exec_lo, exec_lo, s24
.LBB312_978:                            ;   in Loop: Header=BB312_561 Depth=1
	s_delay_alu instid0(SALU_CYCLE_1) | instskip(SKIP_3) | instid1(VALU_DEP_2)
	s_or_b32 exec_lo, exec_lo, s23
	v_dual_lshrrev_b32 v89, 16, v29 :: v_dual_mov_b32 v31, 0
	v_mov_b32_e32 v95, 0
	s_mov_b32 s23, exec_lo
	v_and_b32_e32 v18, 0xff, v89
	s_delay_alu instid0(VALU_DEP_1)
	v_cmpx_ne_u16_e32 0, v18
	s_cbranch_execz .LBB312_986
; %bb.979:                              ;   in Loop: Header=BB312_561 Depth=1
	v_bfrev_b32_e32 v95, 1
	s_mov_b32 s24, exec_lo
	v_cmpx_ne_u16_e32 0x80, v18
	s_cbranch_execz .LBB312_985
; %bb.980:                              ;   in Loop: Header=BB312_561 Depth=1
	v_bfe_u32 v96, v29, 16, 7
	v_mov_b32_e32 v95, 0x7f800001
	s_mov_b32 s25, exec_lo
	s_delay_alu instid0(VALU_DEP_2)
	v_cmpx_ne_u32_e32 0x7f, v96
	s_cbranch_execz .LBB312_984
; %bb.981:                              ;   in Loop: Header=BB312_561 Depth=1
	v_dual_lshrrev_b32 v95, 3, v96 :: v_dual_bitop2_b32 v18, 7, v89 bitop3:0x40
	s_mov_b32 s27, exec_lo
	v_cmpx_gt_u32_e32 8, v96
; %bb.982:                              ;   in Loop: Header=BB312_561 Depth=1
	s_delay_alu instid0(VALU_DEP_2) | instskip(NEXT) | instid1(VALU_DEP_1)
	v_clz_i32_u32_e32 v95, v18
	v_min_u32_e32 v95, 32, v95
	s_delay_alu instid0(VALU_DEP_1) | instskip(NEXT) | instid1(VALU_DEP_1)
	v_subrev_nc_u32_e32 v96, 28, v95
	v_lshlrev_b64_e32 v[96:97], v96, v[18:19]
	s_delay_alu instid0(VALU_DEP_1)
	v_dual_sub_nc_u32 v95, 29, v95 :: v_dual_bitop2_b32 v18, 7, v96 bitop3:0x40
; %bb.983:                              ;   in Loop: Header=BB312_561 Depth=1
	s_or_b32 exec_lo, exec_lo, s27
	s_delay_alu instid0(VALU_DEP_1) | instskip(NEXT) | instid1(VALU_DEP_2)
	v_dual_lshlrev_b32 v89, 24, v89 :: v_dual_lshlrev_b32 v18, 20, v18
	v_lshl_add_u32 v95, v95, 23, 0x3c000000
	s_delay_alu instid0(VALU_DEP_2) | instskip(NEXT) | instid1(VALU_DEP_1)
	v_and_b32_e32 v89, 0x80000000, v89
	v_or3_b32 v95, v18, v89, v95
.LBB312_984:                            ;   in Loop: Header=BB312_561 Depth=1
	s_or_b32 exec_lo, exec_lo, s25
.LBB312_985:                            ;   in Loop: Header=BB312_561 Depth=1
	s_delay_alu instid0(SALU_CYCLE_1)
	s_or_b32 exec_lo, exec_lo, s24
.LBB312_986:                            ;   in Loop: Header=BB312_561 Depth=1
	s_delay_alu instid0(SALU_CYCLE_1) | instskip(NEXT) | instid1(SALU_CYCLE_1)
	s_or_b32 exec_lo, exec_lo, s23
	s_mov_b32 s23, exec_lo
	v_cmpx_lt_u64_e64 s[2:3], v[28:29]
	s_cbranch_execz .LBB312_994
; %bb.987:                              ;   in Loop: Header=BB312_561 Depth=1
	v_lshrrev_b32_e32 v28, 24, v29
	v_bfrev_b32_e32 v31, 1
	s_mov_b32 s24, exec_lo
	s_delay_alu instid0(VALU_DEP_2)
	v_cmpx_ne_u32_e32 0x80, v28
	s_cbranch_execz .LBB312_993
; %bb.988:                              ;   in Loop: Header=BB312_561 Depth=1
	v_bfe_u32 v89, v29, 24, 7
	v_mov_b32_e32 v31, 0x7f800001
	s_mov_b32 s25, exec_lo
	s_delay_alu instid0(VALU_DEP_2)
	v_cmpx_ne_u32_e32 0x7f, v89
	s_cbranch_execz .LBB312_992
; %bb.989:                              ;   in Loop: Header=BB312_561 Depth=1
	v_dual_lshrrev_b32 v29, 3, v89 :: v_dual_bitop2_b32 v18, 7, v28 bitop3:0x40
	s_mov_b32 s27, exec_lo
	v_cmpx_gt_u32_e32 8, v89
; %bb.990:                              ;   in Loop: Header=BB312_561 Depth=1
	s_delay_alu instid0(VALU_DEP_2) | instskip(NEXT) | instid1(VALU_DEP_1)
	v_clz_i32_u32_e32 v29, v18
	v_min_u32_e32 v29, 32, v29
	s_delay_alu instid0(VALU_DEP_1) | instskip(NEXT) | instid1(VALU_DEP_1)
	v_subrev_nc_u32_e32 v31, 28, v29
	v_lshlrev_b64_e32 v[96:97], v31, v[18:19]
	s_delay_alu instid0(VALU_DEP_1)
	v_dual_sub_nc_u32 v29, 29, v29 :: v_dual_bitop2_b32 v18, 7, v96 bitop3:0x40
; %bb.991:                              ;   in Loop: Header=BB312_561 Depth=1
	s_or_b32 exec_lo, exec_lo, s27
	s_delay_alu instid0(VALU_DEP_1) | instskip(NEXT) | instid1(VALU_DEP_2)
	v_dual_lshlrev_b32 v28, 24, v28 :: v_dual_lshlrev_b32 v18, 20, v18
	v_lshl_add_u32 v29, v29, 23, 0x3c000000
	s_delay_alu instid0(VALU_DEP_2) | instskip(NEXT) | instid1(VALU_DEP_1)
	v_and_b32_e32 v28, 0x80000000, v28
	v_or3_b32 v31, v18, v28, v29
.LBB312_992:                            ;   in Loop: Header=BB312_561 Depth=1
	s_or_b32 exec_lo, exec_lo, s25
.LBB312_993:                            ;   in Loop: Header=BB312_561 Depth=1
	s_delay_alu instid0(SALU_CYCLE_1)
	s_or_b32 exec_lo, exec_lo, s24
.LBB312_994:                            ;   in Loop: Header=BB312_561 Depth=1
	s_delay_alu instid0(SALU_CYCLE_1)
	s_or_b32 exec_lo, exec_lo, s23
	v_fma_mixlo_bf16 v89, s22, v30, 0
	v_fma_mixlo_bf16 v90, s22, v90, 0
	;; [unrolled: 1-line block ×8, first 2 shown]
	s_and_saveexec_b32 s23, vcc_lo
	s_cbranch_execz .LBB312_996
; %bb.995:                              ;   in Loop: Header=BB312_561 Depth=1
	v_cmp_gt_i32_e64 s0, s34, v26
	s_delay_alu instid0(VALU_DEP_1) | instskip(SKIP_1) | instid1(VALU_DEP_1)
	v_cndmask_b32_e64 v94, 0, v94, s0
	v_cmp_gt_i32_e64 s0, s34, v48
	v_cndmask_b32_e64 v93, 0, v93, s0
	v_cmp_gt_i32_e64 s0, s34, v47
	s_delay_alu instid0(VALU_DEP_1) | instskip(SKIP_1) | instid1(VALU_DEP_1)
	v_cndmask_b32_e64 v92, 0, v92, s0
	v_cmp_gt_i32_e64 s0, s34, v46
	v_cndmask_b32_e64 v91, 0, v91, s0
	;; [unrolled: 5-line block ×4, first 2 shown]
.LBB312_996:                            ;   in Loop: Header=BB312_561 Depth=1
	s_or_b32 exec_lo, exec_lo, s23
	global_load_b64 v[24:25], v[24:25], off offset:1792
	v_dual_mov_b32 v96, 0 :: v_dual_mov_b32 v95, 0
	s_mov_b32 s23, exec_lo
	s_wait_loadcnt 0x0
	v_and_b32_e32 v18, 0xff, v24
	s_delay_alu instid0(VALU_DEP_1)
	v_cmpx_ne_u16_e32 0, v18
	s_cbranch_execz .LBB312_1002
; %bb.997:                              ;   in Loop: Header=BB312_561 Depth=1
	v_bfrev_b32_e32 v95, 1
	s_mov_b32 s24, exec_lo
	v_cmpx_ne_u16_e32 0x80, v18
	s_cbranch_execz .LBB312_1001
; %bb.998:                              ;   in Loop: Header=BB312_561 Depth=1
	v_and_b32_e32 v18, 0x7f, v24
	v_mov_b32_e32 v95, 0x7f800001
	s_mov_b32 s25, exec_lo
	s_delay_alu instid0(VALU_DEP_2)
	v_cmpx_ne_u32_e32 0x7f, v18
	s_cbranch_execz .LBB312_1000
; %bb.999:                              ;   in Loop: Header=BB312_561 Depth=1
	v_dual_lshrrev_b32 v29, 3, v18 :: v_dual_bitop2_b32 v28, 7, v24 bitop3:0x40
	v_cmp_gt_u32_e64 s0, 8, v18
	s_delay_alu instid0(VALU_DEP_2) | instskip(NEXT) | instid1(VALU_DEP_1)
	v_clz_i32_u32_e32 v28, v28
	v_min_u32_e32 v28, 32, v28
	s_delay_alu instid0(VALU_DEP_1) | instskip(SKIP_1) | instid1(VALU_DEP_1)
	v_subrev_nc_u32_e32 v95, 28, v28
	v_sub_nc_u32_e32 v28, 29, v28
	v_dual_cndmask_b32 v18, v29, v28, s0 :: v_dual_cndmask_b32 v28, 0, v95, s0
	s_delay_alu instid0(VALU_DEP_1) | instskip(NEXT) | instid1(VALU_DEP_2)
	v_lshl_add_u32 v18, v18, 23, 0x3c000000
	v_lshlrev_b64_e32 v[28:29], v28, v[24:25]
	v_lshlrev_b32_e32 v29, 24, v24
	s_delay_alu instid0(VALU_DEP_1) | instskip(NEXT) | instid1(VALU_DEP_3)
	v_and_b32_e32 v29, 0x80000000, v29
	v_lshlrev_b32_e32 v28, 20, v28
	s_delay_alu instid0(VALU_DEP_1) | instskip(NEXT) | instid1(VALU_DEP_1)
	v_and_b32_e32 v28, 0x700000, v28
	v_or3_b32 v95, v28, v29, v18
.LBB312_1000:                           ;   in Loop: Header=BB312_561 Depth=1
	s_or_b32 exec_lo, exec_lo, s25
.LBB312_1001:                           ;   in Loop: Header=BB312_561 Depth=1
	s_delay_alu instid0(SALU_CYCLE_1)
	s_or_b32 exec_lo, exec_lo, s24
.LBB312_1002:                           ;   in Loop: Header=BB312_561 Depth=1
	s_delay_alu instid0(SALU_CYCLE_1) | instskip(SKIP_2) | instid1(VALU_DEP_1)
	s_or_b32 exec_lo, exec_lo, s23
	v_lshrrev_b16 v18, 8, v24
	s_mov_b32 s23, exec_lo
	v_cmpx_ne_u16_e32 0, v18
	s_cbranch_execz .LBB312_1010
; %bb.1003:                             ;   in Loop: Header=BB312_561 Depth=1
	v_bfrev_b32_e32 v96, 1
	s_mov_b32 s24, exec_lo
	v_cmpx_ne_u16_e32 0x80, v18
	s_cbranch_execz .LBB312_1009
; %bb.1004:                             ;   in Loop: Header=BB312_561 Depth=1
	v_and_b32_e32 v18, 0xffff, v18
	v_mov_b32_e32 v96, 0x7f800001
	s_mov_b32 s25, exec_lo
	s_delay_alu instid0(VALU_DEP_2) | instskip(NEXT) | instid1(VALU_DEP_1)
	v_and_b32_e32 v29, 0x7f, v18
	v_cmpx_ne_u32_e32 0x7f, v29
	s_cbranch_execz .LBB312_1008
; %bb.1005:                             ;   in Loop: Header=BB312_561 Depth=1
	v_dual_lshrrev_b32 v28, 3, v29 :: v_dual_bitop2_b32 v18, 7, v18 bitop3:0x40
	s_mov_b32 s27, exec_lo
	v_cmpx_gt_u32_e32 8, v29
; %bb.1006:                             ;   in Loop: Header=BB312_561 Depth=1
	s_delay_alu instid0(VALU_DEP_2) | instskip(NEXT) | instid1(VALU_DEP_1)
	v_clz_i32_u32_e32 v28, v18
	v_min_u32_e32 v28, 32, v28
	s_delay_alu instid0(VALU_DEP_1) | instskip(SKIP_1) | instid1(VALU_DEP_2)
	v_subrev_nc_u32_e32 v29, 28, v28
	v_sub_nc_u32_e32 v28, 29, v28
	v_lshlrev_b64_e32 v[96:97], v29, v[18:19]
	s_delay_alu instid0(VALU_DEP_1)
	v_and_b32_e32 v18, 7, v96
; %bb.1007:                             ;   in Loop: Header=BB312_561 Depth=1
	s_or_b32 exec_lo, exec_lo, s27
	s_delay_alu instid0(VALU_DEP_1) | instskip(SKIP_1) | instid1(VALU_DEP_2)
	v_dual_lshlrev_b32 v29, 16, v24 :: v_dual_lshlrev_b32 v18, 20, v18
	v_lshl_add_u32 v28, v28, 23, 0x3c000000
	v_and_b32_e32 v29, 0x80000000, v29
	s_delay_alu instid0(VALU_DEP_1)
	v_or3_b32 v96, v18, v29, v28
.LBB312_1008:                           ;   in Loop: Header=BB312_561 Depth=1
	s_or_b32 exec_lo, exec_lo, s25
.LBB312_1009:                           ;   in Loop: Header=BB312_561 Depth=1
	s_delay_alu instid0(SALU_CYCLE_1)
	s_or_b32 exec_lo, exec_lo, s24
.LBB312_1010:                           ;   in Loop: Header=BB312_561 Depth=1
	s_delay_alu instid0(SALU_CYCLE_1) | instskip(SKIP_3) | instid1(VALU_DEP_2)
	s_or_b32 exec_lo, exec_lo, s23
	v_dual_lshrrev_b32 v28, 16, v24 :: v_dual_mov_b32 v98, 0
	v_mov_b32_e32 v97, 0
	s_mov_b32 s23, exec_lo
	v_and_b32_e32 v18, 0xff, v28
	s_delay_alu instid0(VALU_DEP_1)
	v_cmpx_ne_u16_e32 0, v18
	s_cbranch_execz .LBB312_1018
; %bb.1011:                             ;   in Loop: Header=BB312_561 Depth=1
	v_bfrev_b32_e32 v97, 1
	s_mov_b32 s24, exec_lo
	v_cmpx_ne_u16_e32 0x80, v18
	s_cbranch_execz .LBB312_1017
; %bb.1012:                             ;   in Loop: Header=BB312_561 Depth=1
	v_bfe_u32 v99, v24, 16, 7
	v_mov_b32_e32 v97, 0x7f800001
	s_mov_b32 s25, exec_lo
	s_delay_alu instid0(VALU_DEP_2)
	v_cmpx_ne_u32_e32 0x7f, v99
	s_cbranch_execz .LBB312_1016
; %bb.1013:                             ;   in Loop: Header=BB312_561 Depth=1
	v_dual_lshrrev_b32 v29, 3, v99 :: v_dual_bitop2_b32 v18, 7, v28 bitop3:0x40
	s_mov_b32 s27, exec_lo
	v_cmpx_gt_u32_e32 8, v99
; %bb.1014:                             ;   in Loop: Header=BB312_561 Depth=1
	s_delay_alu instid0(VALU_DEP_2) | instskip(NEXT) | instid1(VALU_DEP_1)
	v_clz_i32_u32_e32 v29, v18
	v_min_u32_e32 v29, 32, v29
	s_delay_alu instid0(VALU_DEP_1) | instskip(NEXT) | instid1(VALU_DEP_1)
	v_subrev_nc_u32_e32 v97, 28, v29
	v_lshlrev_b64_e32 v[100:101], v97, v[18:19]
	s_delay_alu instid0(VALU_DEP_1)
	v_dual_sub_nc_u32 v29, 29, v29 :: v_dual_bitop2_b32 v18, 7, v100 bitop3:0x40
; %bb.1015:                             ;   in Loop: Header=BB312_561 Depth=1
	s_or_b32 exec_lo, exec_lo, s27
	s_delay_alu instid0(VALU_DEP_1) | instskip(NEXT) | instid1(VALU_DEP_2)
	v_dual_lshlrev_b32 v28, 24, v28 :: v_dual_lshlrev_b32 v18, 20, v18
	v_lshl_add_u32 v29, v29, 23, 0x3c000000
	s_delay_alu instid0(VALU_DEP_2) | instskip(NEXT) | instid1(VALU_DEP_1)
	v_and_b32_e32 v28, 0x80000000, v28
	v_or3_b32 v97, v18, v28, v29
.LBB312_1016:                           ;   in Loop: Header=BB312_561 Depth=1
	s_or_b32 exec_lo, exec_lo, s25
.LBB312_1017:                           ;   in Loop: Header=BB312_561 Depth=1
	s_delay_alu instid0(SALU_CYCLE_1)
	s_or_b32 exec_lo, exec_lo, s24
.LBB312_1018:                           ;   in Loop: Header=BB312_561 Depth=1
	s_delay_alu instid0(SALU_CYCLE_1) | instskip(NEXT) | instid1(SALU_CYCLE_1)
	s_or_b32 exec_lo, exec_lo, s23
	s_mov_b32 s23, exec_lo
	v_cmpx_lt_u32_e32 0xffffff, v24
	s_cbranch_execz .LBB312_1026
; %bb.1019:                             ;   in Loop: Header=BB312_561 Depth=1
	v_lshrrev_b32_e32 v28, 24, v24
	v_bfrev_b32_e32 v98, 1
	s_mov_b32 s24, exec_lo
	s_delay_alu instid0(VALU_DEP_2)
	v_cmpx_ne_u32_e32 0x80, v28
	s_cbranch_execz .LBB312_1025
; %bb.1020:                             ;   in Loop: Header=BB312_561 Depth=1
	v_bfe_u32 v99, v24, 24, 7
	v_mov_b32_e32 v98, 0x7f800001
	s_mov_b32 s25, exec_lo
	s_delay_alu instid0(VALU_DEP_2)
	v_cmpx_ne_u32_e32 0x7f, v99
	s_cbranch_execz .LBB312_1024
; %bb.1021:                             ;   in Loop: Header=BB312_561 Depth=1
	v_dual_lshrrev_b32 v29, 3, v99 :: v_dual_bitop2_b32 v18, 7, v28 bitop3:0x40
	s_mov_b32 s27, exec_lo
	v_cmpx_gt_u32_e32 8, v99
; %bb.1022:                             ;   in Loop: Header=BB312_561 Depth=1
	s_delay_alu instid0(VALU_DEP_2) | instskip(NEXT) | instid1(VALU_DEP_1)
	v_clz_i32_u32_e32 v29, v18
	v_min_u32_e32 v29, 32, v29
	s_delay_alu instid0(VALU_DEP_1) | instskip(NEXT) | instid1(VALU_DEP_1)
	v_subrev_nc_u32_e32 v98, 28, v29
	v_lshlrev_b64_e32 v[98:99], v98, v[18:19]
	s_delay_alu instid0(VALU_DEP_1)
	v_dual_sub_nc_u32 v29, 29, v29 :: v_dual_bitop2_b32 v18, 7, v98 bitop3:0x40
; %bb.1023:                             ;   in Loop: Header=BB312_561 Depth=1
	s_or_b32 exec_lo, exec_lo, s27
	s_delay_alu instid0(VALU_DEP_1) | instskip(NEXT) | instid1(VALU_DEP_2)
	v_dual_lshlrev_b32 v28, 24, v28 :: v_dual_lshlrev_b32 v18, 20, v18
	v_lshl_add_u32 v29, v29, 23, 0x3c000000
	s_delay_alu instid0(VALU_DEP_2) | instskip(NEXT) | instid1(VALU_DEP_1)
	v_and_b32_e32 v28, 0x80000000, v28
	v_or3_b32 v98, v18, v28, v29
.LBB312_1024:                           ;   in Loop: Header=BB312_561 Depth=1
	s_or_b32 exec_lo, exec_lo, s25
.LBB312_1025:                           ;   in Loop: Header=BB312_561 Depth=1
	s_delay_alu instid0(SALU_CYCLE_1)
	s_or_b32 exec_lo, exec_lo, s24
.LBB312_1026:                           ;   in Loop: Header=BB312_561 Depth=1
	s_delay_alu instid0(SALU_CYCLE_1) | instskip(SKIP_4) | instid1(VALU_DEP_3)
	s_or_b32 exec_lo, exec_lo, s23
	v_and_b32_e32 v29, 0xff, v25
	v_dual_mov_b32 v18, v25 :: v_dual_mov_b32 v28, 0
	v_mov_b32_e32 v99, 0
	s_mov_b32 s23, exec_lo
	v_cmpx_ne_u16_e32 0, v29
	s_cbranch_execz .LBB312_1032
; %bb.1027:                             ;   in Loop: Header=BB312_561 Depth=1
	v_bfrev_b32_e32 v99, 1
	s_mov_b32 s24, exec_lo
	v_cmpx_ne_u16_e32 0x80, v29
	s_cbranch_execz .LBB312_1031
; %bb.1028:                             ;   in Loop: Header=BB312_561 Depth=1
	v_and_b32_e32 v29, 0x7f, v25
	v_mov_b32_e32 v99, 0x7f800001
	s_mov_b32 s25, exec_lo
	s_delay_alu instid0(VALU_DEP_2)
	v_cmpx_ne_u32_e32 0x7f, v29
	s_cbranch_execz .LBB312_1030
; %bb.1029:                             ;   in Loop: Header=BB312_561 Depth=1
	v_and_b32_e32 v99, 7, v25
	v_cmp_gt_u32_e64 s0, 8, v29
	s_delay_alu instid0(VALU_DEP_2) | instskip(NEXT) | instid1(VALU_DEP_1)
	v_clz_i32_u32_e32 v99, v99
	v_min_u32_e32 v99, 32, v99
	v_lshrrev_b32_e32 v100, 3, v29
	s_delay_alu instid0(VALU_DEP_2) | instskip(SKIP_1) | instid1(VALU_DEP_1)
	v_subrev_nc_u32_e32 v101, 28, v99
	v_sub_nc_u32_e32 v99, 29, v99
	v_dual_cndmask_b32 v29, v100, v99, s0 :: v_dual_cndmask_b32 v99, 0, v101, s0
	s_delay_alu instid0(VALU_DEP_1) | instskip(NEXT) | instid1(VALU_DEP_2)
	v_lshl_add_u32 v29, v29, 23, 0x3c000000
	v_lshlrev_b64_e32 v[100:101], v99, v[18:19]
	v_lshlrev_b32_e32 v99, 24, v18
	s_delay_alu instid0(VALU_DEP_1) | instskip(NEXT) | instid1(VALU_DEP_3)
	v_and_b32_e32 v99, 0x80000000, v99
	v_lshlrev_b32_e32 v100, 20, v100
	s_delay_alu instid0(VALU_DEP_1) | instskip(NEXT) | instid1(VALU_DEP_1)
	v_and_b32_e32 v100, 0x700000, v100
	v_or3_b32 v99, v100, v99, v29
.LBB312_1030:                           ;   in Loop: Header=BB312_561 Depth=1
	s_or_b32 exec_lo, exec_lo, s25
.LBB312_1031:                           ;   in Loop: Header=BB312_561 Depth=1
	s_delay_alu instid0(SALU_CYCLE_1)
	s_or_b32 exec_lo, exec_lo, s24
.LBB312_1032:                           ;   in Loop: Header=BB312_561 Depth=1
	s_delay_alu instid0(SALU_CYCLE_1) | instskip(SKIP_2) | instid1(VALU_DEP_1)
	s_or_b32 exec_lo, exec_lo, s23
	v_lshrrev_b16 v29, 8, v18
	s_mov_b32 s23, exec_lo
	v_cmpx_ne_u16_e32 0, v29
	s_cbranch_execz .LBB312_1040
; %bb.1033:                             ;   in Loop: Header=BB312_561 Depth=1
	v_bfrev_b32_e32 v28, 1
	s_mov_b32 s24, exec_lo
	v_cmpx_ne_u16_e32 0x80, v29
	s_cbranch_execz .LBB312_1039
; %bb.1034:                             ;   in Loop: Header=BB312_561 Depth=1
	v_and_b32_e32 v29, 0xffff, v29
	v_mov_b32_e32 v28, 0x7f800001
	s_mov_b32 s25, exec_lo
	s_delay_alu instid0(VALU_DEP_2) | instskip(NEXT) | instid1(VALU_DEP_1)
	v_and_b32_e32 v101, 0x7f, v29
	v_cmpx_ne_u32_e32 0x7f, v101
	s_cbranch_execz .LBB312_1038
; %bb.1035:                             ;   in Loop: Header=BB312_561 Depth=1
	v_dual_mov_b32 v29, v19 :: v_dual_bitop2_b32 v28, 7, v29 bitop3:0x40
	v_lshrrev_b32_e32 v100, 3, v101
	s_mov_b32 s27, exec_lo
	v_cmpx_gt_u32_e32 8, v101
; %bb.1036:                             ;   in Loop: Header=BB312_561 Depth=1
	s_delay_alu instid0(VALU_DEP_3) | instskip(NEXT) | instid1(VALU_DEP_1)
	v_clz_i32_u32_e32 v100, v28
	v_min_u32_e32 v100, 32, v100
	s_delay_alu instid0(VALU_DEP_1) | instskip(SKIP_1) | instid1(VALU_DEP_2)
	v_subrev_nc_u32_e32 v101, 28, v100
	v_sub_nc_u32_e32 v100, 29, v100
	v_lshlrev_b64_e32 v[28:29], v101, v[28:29]
	s_delay_alu instid0(VALU_DEP_1)
	v_and_b32_e32 v28, 7, v28
; %bb.1037:                             ;   in Loop: Header=BB312_561 Depth=1
	s_or_b32 exec_lo, exec_lo, s27
	s_delay_alu instid0(VALU_DEP_1) | instskip(SKIP_1) | instid1(VALU_DEP_2)
	v_dual_lshlrev_b32 v18, 16, v18 :: v_dual_lshlrev_b32 v28, 20, v28
	v_lshl_add_u32 v29, v100, 23, 0x3c000000
	v_and_b32_e32 v18, 0x80000000, v18
	s_delay_alu instid0(VALU_DEP_1)
	v_or3_b32 v28, v28, v18, v29
.LBB312_1038:                           ;   in Loop: Header=BB312_561 Depth=1
	s_or_b32 exec_lo, exec_lo, s25
.LBB312_1039:                           ;   in Loop: Header=BB312_561 Depth=1
	s_delay_alu instid0(SALU_CYCLE_1)
	s_or_b32 exec_lo, exec_lo, s24
.LBB312_1040:                           ;   in Loop: Header=BB312_561 Depth=1
	s_delay_alu instid0(SALU_CYCLE_1) | instskip(SKIP_3) | instid1(VALU_DEP_2)
	s_or_b32 exec_lo, exec_lo, s23
	v_dual_lshrrev_b32 v101, 16, v25 :: v_dual_mov_b32 v29, 0
	v_mov_b32_e32 v100, 0
	s_mov_b32 s23, exec_lo
	v_and_b32_e32 v18, 0xff, v101
	s_delay_alu instid0(VALU_DEP_1)
	v_cmpx_ne_u16_e32 0, v18
	s_cbranch_execz .LBB312_1048
; %bb.1041:                             ;   in Loop: Header=BB312_561 Depth=1
	v_bfrev_b32_e32 v100, 1
	s_mov_b32 s24, exec_lo
	v_cmpx_ne_u16_e32 0x80, v18
	s_cbranch_execz .LBB312_1047
; %bb.1042:                             ;   in Loop: Header=BB312_561 Depth=1
	v_bfe_u32 v102, v25, 16, 7
	v_mov_b32_e32 v100, 0x7f800001
	s_mov_b32 s25, exec_lo
	s_delay_alu instid0(VALU_DEP_2)
	v_cmpx_ne_u32_e32 0x7f, v102
	s_cbranch_execz .LBB312_1046
; %bb.1043:                             ;   in Loop: Header=BB312_561 Depth=1
	v_dual_lshrrev_b32 v100, 3, v102 :: v_dual_bitop2_b32 v18, 7, v101 bitop3:0x40
	s_mov_b32 s27, exec_lo
	v_cmpx_gt_u32_e32 8, v102
; %bb.1044:                             ;   in Loop: Header=BB312_561 Depth=1
	s_delay_alu instid0(VALU_DEP_2) | instskip(NEXT) | instid1(VALU_DEP_1)
	v_clz_i32_u32_e32 v100, v18
	v_min_u32_e32 v100, 32, v100
	s_delay_alu instid0(VALU_DEP_1) | instskip(NEXT) | instid1(VALU_DEP_1)
	v_subrev_nc_u32_e32 v102, 28, v100
	v_lshlrev_b64_e32 v[102:103], v102, v[18:19]
	s_delay_alu instid0(VALU_DEP_1)
	v_dual_sub_nc_u32 v100, 29, v100 :: v_dual_bitop2_b32 v18, 7, v102 bitop3:0x40
; %bb.1045:                             ;   in Loop: Header=BB312_561 Depth=1
	s_or_b32 exec_lo, exec_lo, s27
	s_delay_alu instid0(VALU_DEP_1) | instskip(NEXT) | instid1(VALU_DEP_2)
	v_dual_lshlrev_b32 v101, 24, v101 :: v_dual_lshlrev_b32 v18, 20, v18
	v_lshl_add_u32 v100, v100, 23, 0x3c000000
	s_delay_alu instid0(VALU_DEP_2) | instskip(NEXT) | instid1(VALU_DEP_1)
	v_and_b32_e32 v101, 0x80000000, v101
	v_or3_b32 v100, v18, v101, v100
.LBB312_1046:                           ;   in Loop: Header=BB312_561 Depth=1
	s_or_b32 exec_lo, exec_lo, s25
.LBB312_1047:                           ;   in Loop: Header=BB312_561 Depth=1
	s_delay_alu instid0(SALU_CYCLE_1)
	s_or_b32 exec_lo, exec_lo, s24
.LBB312_1048:                           ;   in Loop: Header=BB312_561 Depth=1
	s_delay_alu instid0(SALU_CYCLE_1) | instskip(NEXT) | instid1(SALU_CYCLE_1)
	s_or_b32 exec_lo, exec_lo, s23
	s_mov_b32 s23, exec_lo
	v_cmpx_lt_u64_e64 s[2:3], v[24:25]
	s_cbranch_execz .LBB312_1056
; %bb.1049:                             ;   in Loop: Header=BB312_561 Depth=1
	v_lshrrev_b32_e32 v24, 24, v25
	v_bfrev_b32_e32 v29, 1
	s_mov_b32 s24, exec_lo
	s_delay_alu instid0(VALU_DEP_2)
	v_cmpx_ne_u32_e32 0x80, v24
	s_cbranch_execz .LBB312_1055
; %bb.1050:                             ;   in Loop: Header=BB312_561 Depth=1
	v_bfe_u32 v101, v25, 24, 7
	v_mov_b32_e32 v29, 0x7f800001
	s_mov_b32 s25, exec_lo
	s_delay_alu instid0(VALU_DEP_2)
	v_cmpx_ne_u32_e32 0x7f, v101
	s_cbranch_execz .LBB312_1054
; %bb.1051:                             ;   in Loop: Header=BB312_561 Depth=1
	v_dual_lshrrev_b32 v25, 3, v101 :: v_dual_bitop2_b32 v18, 7, v24 bitop3:0x40
	s_mov_b32 s27, exec_lo
	v_cmpx_gt_u32_e32 8, v101
; %bb.1052:                             ;   in Loop: Header=BB312_561 Depth=1
	s_delay_alu instid0(VALU_DEP_2) | instskip(NEXT) | instid1(VALU_DEP_1)
	v_clz_i32_u32_e32 v25, v18
	v_min_u32_e32 v25, 32, v25
	s_delay_alu instid0(VALU_DEP_1) | instskip(NEXT) | instid1(VALU_DEP_1)
	v_subrev_nc_u32_e32 v29, 28, v25
	v_lshlrev_b64_e32 v[102:103], v29, v[18:19]
	s_delay_alu instid0(VALU_DEP_1)
	v_dual_sub_nc_u32 v25, 29, v25 :: v_dual_bitop2_b32 v18, 7, v102 bitop3:0x40
; %bb.1053:                             ;   in Loop: Header=BB312_561 Depth=1
	s_or_b32 exec_lo, exec_lo, s27
	s_delay_alu instid0(VALU_DEP_1) | instskip(NEXT) | instid1(VALU_DEP_2)
	v_dual_lshlrev_b32 v24, 24, v24 :: v_dual_lshlrev_b32 v18, 20, v18
	v_lshl_add_u32 v25, v25, 23, 0x3c000000
	s_delay_alu instid0(VALU_DEP_2) | instskip(NEXT) | instid1(VALU_DEP_1)
	v_and_b32_e32 v24, 0x80000000, v24
	v_or3_b32 v29, v18, v24, v25
.LBB312_1054:                           ;   in Loop: Header=BB312_561 Depth=1
	s_or_b32 exec_lo, exec_lo, s25
.LBB312_1055:                           ;   in Loop: Header=BB312_561 Depth=1
	s_delay_alu instid0(SALU_CYCLE_1)
	s_or_b32 exec_lo, exec_lo, s24
.LBB312_1056:                           ;   in Loop: Header=BB312_561 Depth=1
	s_delay_alu instid0(SALU_CYCLE_1)
	s_or_b32 exec_lo, exec_lo, s23
	v_fma_mixlo_bf16 v18, s22, v28, 0
	v_fma_mixlo_bf16 v24, s22, v99, 0
	v_fma_mixlo_bf16 v28, s22, v98, 0
	v_fma_mixlo_bf16 v97, s22, v97, 0
	v_fma_mixlo_bf16 v96, s22, v96, 0
	v_fma_mixlo_bf16 v95, s22, v95, 0
	v_fma_mixlo_bf16 v25, s22, v100, 0
	v_fma_mixlo_bf16 v29, s22, v29, 0
	s_and_saveexec_b32 s0, vcc_lo
	s_cbranch_execz .LBB312_559
; %bb.1057:                             ;   in Loop: Header=BB312_561 Depth=1
	v_cmp_gt_i32_e32 vcc_lo, s34, v26
	v_cndmask_b32_e32 v95, 0, v95, vcc_lo
	v_cmp_gt_i32_e32 vcc_lo, s34, v48
	v_cndmask_b32_e32 v96, 0, v96, vcc_lo
	;; [unrolled: 2-line block ×8, first 2 shown]
	s_branch .LBB312_559
.LBB312_1058:
	s_or_b32 exec_lo, exec_lo, s18
.LBB312_1059:
	s_delay_alu instid0(SALU_CYCLE_1) | instskip(SKIP_4) | instid1(VALU_DEP_2)
	s_or_b32 exec_lo, exec_lo, s1
	v_lshl_add_u32 v2, v32, 2, 0x220
	v_and_b32_e32 v3, 0x3c0, v0
	s_mov_b32 s0, exec_lo
	s_barrier_signal -1
	v_lshl_add_u32 v1, v1, 10, v2
	s_barrier_wait -1
	v_cmpx_eq_u32_e32 64, v3
	s_cbranch_execz .LBB312_1061
; %bb.1060:
	s_delay_alu instid0(VALU_DEP_2)
	v_add_nc_u32_e32 v3, 0xfffff800, v1
	v_add_nc_u32_e32 v4, 0xfffff880, v1
	;; [unrolled: 1-line block ×8, first 2 shown]
	ds_store_b32 v3, v10
	ds_store_b32 v4, v11
	;; [unrolled: 1-line block ×8, first 2 shown]
.LBB312_1061:
	s_or_b32 exec_lo, exec_lo, s0
	s_delay_alu instid0(SALU_CYCLE_1)
	s_mov_b32 s0, exec_lo
	s_wait_dscnt 0x0
	s_barrier_signal -1
	s_barrier_wait -1
	v_cmpx_gt_u32_e32 64, v0
	s_cbranch_execz .LBB312_1063
; %bb.1062:
	ds_load_2addr_b32 v[4:5], v1 offset1:32
	ds_load_2addr_b32 v[6:7], v1 offset0:64 offset1:96
	ds_load_2addr_b32 v[8:9], v1 offset0:128 offset1:160
	;; [unrolled: 1-line block ×3, first 2 shown]
	s_wait_dscnt 0x3
	v_pk_add_f32 v[10:11], v[10:11], v[4:5]
	s_wait_dscnt 0x2
	v_pk_add_f32 v[14:15], v[14:15], v[6:7]
	;; [unrolled: 2-line block ×4, first 2 shown]
.LBB312_1063:
	s_or_b32 exec_lo, exec_lo, s0
	v_and_b32_e32 v3, 0x3e0, v0
	s_mov_b32 s0, exec_lo
	s_barrier_signal -1
	s_barrier_wait -1
	s_delay_alu instid0(VALU_DEP_1)
	v_cmpx_eq_u32_e32 32, v3
	s_cbranch_execz .LBB312_1065
; %bb.1064:
	ds_store_2addr_b32 v2, v10, v11 offset1:32
	ds_store_2addr_b32 v2, v14, v15 offset0:64 offset1:96
	ds_store_2addr_b32 v2, v12, v13 offset0:128 offset1:160
	;; [unrolled: 1-line block ×3, first 2 shown]
.LBB312_1065:
	s_or_b32 exec_lo, exec_lo, s0
	v_cmp_gt_u32_e32 vcc_lo, 32, v0
	s_wait_dscnt 0x0
	s_barrier_signal -1
	s_barrier_wait -1
	s_and_saveexec_b32 s0, vcc_lo
	s_cbranch_execz .LBB312_1067
; %bb.1066:
	ds_load_2addr_b32 v[2:3], v1 offset1:32
	ds_load_2addr_b32 v[4:5], v1 offset0:64 offset1:96
	ds_load_2addr_b32 v[6:7], v1 offset0:128 offset1:160
	;; [unrolled: 1-line block ×3, first 2 shown]
	s_wait_dscnt 0x3
	v_pk_add_f32 v[10:11], v[10:11], v[2:3]
	s_wait_dscnt 0x2
	v_pk_add_f32 v[14:15], v[14:15], v[4:5]
	;; [unrolled: 2-line block ×4, first 2 shown]
.LBB312_1067:
	s_or_b32 exec_lo, exec_lo, s0
	s_barrier_signal -1
	s_barrier_wait -1
	s_and_saveexec_b32 s0, vcc_lo
	s_cbranch_execz .LBB312_1069
; %bb.1068:
	s_mul_i32 s1, s33, s7
	s_mul_i32 s0, s7, s6
	s_mul_i32 s1, s1, s31
	s_bfe_u32 s7, ttmp6, 0x40014
	s_lshl_b32 s2, s1, 8
	s_lshr_b32 s6, ttmp7, 16
	s_ashr_i32 s3, s2, 31
	s_add_co_i32 s7, s7, 1
	s_lshl_b64 s[2:3], s[2:3], 1
	s_ashr_i32 s1, s0, 31
	s_wait_kmcnt 0x0
	s_add_nc_u64 s[2:3], s[4:5], s[2:3]
	s_mul_i32 s4, s6, s7
	s_bfe_u32 s5, ttmp6, 0x40008
	s_lshl_b64 s[0:1], s[0:1], 1
	s_add_co_i32 s5, s5, s4
	s_cmp_eq_u32 s30, 0
	s_add_nc_u64 s[0:1], s[2:3], s[0:1]
	s_cselect_b32 s2, s6, s5
	s_mov_b32 s3, 0
	s_lshl_b32 s2, s2, 9
	s_delay_alu instid0(SALU_CYCLE_1) | instskip(NEXT) | instid1(SALU_CYCLE_1)
	s_add_nc_u64 s[0:1], s[0:1], s[2:3]
	v_cvt_pk_bf16_f32 v1, v10, s0
	v_cvt_pk_bf16_f32 v2, v11, s0
	;; [unrolled: 1-line block ×8, first 2 shown]
	s_clause 0x7
	global_store_b16 v0, v1, s[0:1] scale_offset
	global_store_b16 v0, v2, s[0:1] offset:64 scale_offset
	global_store_b16 v0, v3, s[0:1] offset:128 scale_offset
	;; [unrolled: 1-line block ×7, first 2 shown]
.LBB312_1069:
	s_sendmsg sendmsg(MSG_DEALLOC_VGPRS)
	s_endpgm
	.section	.rodata,"a",@progbits
	.p2align	6, 0x0
	.amdhsa_kernel _ZN4vllm25paged_attention_v1_kernelI14__hip_bfloat16hLi256ELi8ELi128ELNS_18Fp8KVCacheDataTypeE1ELb1EEEvPT_PKS3_PKT0_S9_ifPKiSB_iPKfiiiSD_SD_iiiii
		.amdhsa_group_segment_fixed_size 544
		.amdhsa_private_segment_fixed_size 0
		.amdhsa_kernarg_size 384
		.amdhsa_user_sgpr_count 2
		.amdhsa_user_sgpr_dispatch_ptr 0
		.amdhsa_user_sgpr_queue_ptr 0
		.amdhsa_user_sgpr_kernarg_segment_ptr 1
		.amdhsa_user_sgpr_dispatch_id 0
		.amdhsa_user_sgpr_kernarg_preload_length 0
		.amdhsa_user_sgpr_kernarg_preload_offset 0
		.amdhsa_user_sgpr_private_segment_size 0
		.amdhsa_wavefront_size32 1
		.amdhsa_uses_dynamic_stack 0
		.amdhsa_enable_private_segment 0
		.amdhsa_system_sgpr_workgroup_id_x 1
		.amdhsa_system_sgpr_workgroup_id_y 1
		.amdhsa_system_sgpr_workgroup_id_z 1
		.amdhsa_system_sgpr_workgroup_info 0
		.amdhsa_system_vgpr_workitem_id 0
		.amdhsa_next_free_vgpr 112
		.amdhsa_next_free_sgpr 46
		.amdhsa_named_barrier_count 0
		.amdhsa_reserve_vcc 1
		.amdhsa_float_round_mode_32 0
		.amdhsa_float_round_mode_16_64 0
		.amdhsa_float_denorm_mode_32 3
		.amdhsa_float_denorm_mode_16_64 3
		.amdhsa_fp16_overflow 0
		.amdhsa_memory_ordered 1
		.amdhsa_forward_progress 1
		.amdhsa_inst_pref_size 255
		.amdhsa_round_robin_scheduling 0
		.amdhsa_exception_fp_ieee_invalid_op 0
		.amdhsa_exception_fp_denorm_src 0
		.amdhsa_exception_fp_ieee_div_zero 0
		.amdhsa_exception_fp_ieee_overflow 0
		.amdhsa_exception_fp_ieee_underflow 0
		.amdhsa_exception_fp_ieee_inexact 0
		.amdhsa_exception_int_div_zero 0
	.end_amdhsa_kernel
	.section	.text._ZN4vllm25paged_attention_v1_kernelI14__hip_bfloat16hLi256ELi8ELi128ELNS_18Fp8KVCacheDataTypeE1ELb1EEEvPT_PKS3_PKT0_S9_ifPKiSB_iPKfiiiSD_SD_iiiii,"axG",@progbits,_ZN4vllm25paged_attention_v1_kernelI14__hip_bfloat16hLi256ELi8ELi128ELNS_18Fp8KVCacheDataTypeE1ELb1EEEvPT_PKS3_PKT0_S9_ifPKiSB_iPKfiiiSD_SD_iiiii,comdat
.Lfunc_end312:
	.size	_ZN4vllm25paged_attention_v1_kernelI14__hip_bfloat16hLi256ELi8ELi128ELNS_18Fp8KVCacheDataTypeE1ELb1EEEvPT_PKS3_PKT0_S9_ifPKiSB_iPKfiiiSD_SD_iiiii, .Lfunc_end312-_ZN4vllm25paged_attention_v1_kernelI14__hip_bfloat16hLi256ELi8ELi128ELNS_18Fp8KVCacheDataTypeE1ELb1EEEvPT_PKS3_PKT0_S9_ifPKiSB_iPKfiiiSD_SD_iiiii
                                        ; -- End function
	.set _ZN4vllm25paged_attention_v1_kernelI14__hip_bfloat16hLi256ELi8ELi128ELNS_18Fp8KVCacheDataTypeE1ELb1EEEvPT_PKS3_PKT0_S9_ifPKiSB_iPKfiiiSD_SD_iiiii.num_vgpr, 112
	.set _ZN4vllm25paged_attention_v1_kernelI14__hip_bfloat16hLi256ELi8ELi128ELNS_18Fp8KVCacheDataTypeE1ELb1EEEvPT_PKS3_PKT0_S9_ifPKiSB_iPKfiiiSD_SD_iiiii.num_agpr, 0
	.set _ZN4vllm25paged_attention_v1_kernelI14__hip_bfloat16hLi256ELi8ELi128ELNS_18Fp8KVCacheDataTypeE1ELb1EEEvPT_PKS3_PKT0_S9_ifPKiSB_iPKfiiiSD_SD_iiiii.numbered_sgpr, 46
	.set _ZN4vllm25paged_attention_v1_kernelI14__hip_bfloat16hLi256ELi8ELi128ELNS_18Fp8KVCacheDataTypeE1ELb1EEEvPT_PKS3_PKT0_S9_ifPKiSB_iPKfiiiSD_SD_iiiii.num_named_barrier, 0
	.set _ZN4vllm25paged_attention_v1_kernelI14__hip_bfloat16hLi256ELi8ELi128ELNS_18Fp8KVCacheDataTypeE1ELb1EEEvPT_PKS3_PKT0_S9_ifPKiSB_iPKfiiiSD_SD_iiiii.private_seg_size, 0
	.set _ZN4vllm25paged_attention_v1_kernelI14__hip_bfloat16hLi256ELi8ELi128ELNS_18Fp8KVCacheDataTypeE1ELb1EEEvPT_PKS3_PKT0_S9_ifPKiSB_iPKfiiiSD_SD_iiiii.uses_vcc, 1
	.set _ZN4vllm25paged_attention_v1_kernelI14__hip_bfloat16hLi256ELi8ELi128ELNS_18Fp8KVCacheDataTypeE1ELb1EEEvPT_PKS3_PKT0_S9_ifPKiSB_iPKfiiiSD_SD_iiiii.uses_flat_scratch, 0
	.set _ZN4vllm25paged_attention_v1_kernelI14__hip_bfloat16hLi256ELi8ELi128ELNS_18Fp8KVCacheDataTypeE1ELb1EEEvPT_PKS3_PKT0_S9_ifPKiSB_iPKfiiiSD_SD_iiiii.has_dyn_sized_stack, 0
	.set _ZN4vllm25paged_attention_v1_kernelI14__hip_bfloat16hLi256ELi8ELi128ELNS_18Fp8KVCacheDataTypeE1ELb1EEEvPT_PKS3_PKT0_S9_ifPKiSB_iPKfiiiSD_SD_iiiii.has_recursion, 0
	.set _ZN4vllm25paged_attention_v1_kernelI14__hip_bfloat16hLi256ELi8ELi128ELNS_18Fp8KVCacheDataTypeE1ELb1EEEvPT_PKS3_PKT0_S9_ifPKiSB_iPKfiiiSD_SD_iiiii.has_indirect_call, 0
	.section	.AMDGPU.csdata,"",@progbits
; Kernel info:
; codeLenInByte = 38012
; TotalNumSgprs: 48
; NumVgprs: 112
; ScratchSize: 0
; MemoryBound: 0
; FloatMode: 240
; IeeeMode: 1
; LDSByteSize: 544 bytes/workgroup (compile time only)
; SGPRBlocks: 0
; VGPRBlocks: 6
; NumSGPRsForWavesPerEU: 48
; NumVGPRsForWavesPerEU: 112
; NamedBarCnt: 0
; Occupancy: 9
; WaveLimiterHint : 1
; COMPUTE_PGM_RSRC2:SCRATCH_EN: 0
; COMPUTE_PGM_RSRC2:USER_SGPR: 2
; COMPUTE_PGM_RSRC2:TRAP_HANDLER: 0
; COMPUTE_PGM_RSRC2:TGID_X_EN: 1
; COMPUTE_PGM_RSRC2:TGID_Y_EN: 1
; COMPUTE_PGM_RSRC2:TGID_Z_EN: 1
; COMPUTE_PGM_RSRC2:TIDIG_COMP_CNT: 0
	.section	.text._ZN4vllm25paged_attention_v1_kernelI14__hip_bfloat16hLi32ELi8ELi128ELNS_18Fp8KVCacheDataTypeE1ELb0EEEvPT_PKS3_PKT0_S9_ifPKiSB_iPKfiiiSD_SD_iiiii,"axG",@progbits,_ZN4vllm25paged_attention_v1_kernelI14__hip_bfloat16hLi32ELi8ELi128ELNS_18Fp8KVCacheDataTypeE1ELb0EEEvPT_PKS3_PKT0_S9_ifPKiSB_iPKfiiiSD_SD_iiiii,comdat
	.protected	_ZN4vllm25paged_attention_v1_kernelI14__hip_bfloat16hLi32ELi8ELi128ELNS_18Fp8KVCacheDataTypeE1ELb0EEEvPT_PKS3_PKT0_S9_ifPKiSB_iPKfiiiSD_SD_iiiii ; -- Begin function _ZN4vllm25paged_attention_v1_kernelI14__hip_bfloat16hLi32ELi8ELi128ELNS_18Fp8KVCacheDataTypeE1ELb0EEEvPT_PKS3_PKT0_S9_ifPKiSB_iPKfiiiSD_SD_iiiii
	.globl	_ZN4vllm25paged_attention_v1_kernelI14__hip_bfloat16hLi32ELi8ELi128ELNS_18Fp8KVCacheDataTypeE1ELb0EEEvPT_PKS3_PKT0_S9_ifPKiSB_iPKfiiiSD_SD_iiiii
	.p2align	8
	.type	_ZN4vllm25paged_attention_v1_kernelI14__hip_bfloat16hLi32ELi8ELi128ELNS_18Fp8KVCacheDataTypeE1ELb0EEEvPT_PKS3_PKT0_S9_ifPKiSB_iPKfiiiSD_SD_iiiii,@function
_ZN4vllm25paged_attention_v1_kernelI14__hip_bfloat16hLi32ELi8ELi128ELNS_18Fp8KVCacheDataTypeE1ELb0EEEvPT_PKS3_PKT0_S9_ifPKiSB_iPKfiiiSD_SD_iiiii: ; @_ZN4vllm25paged_attention_v1_kernelI14__hip_bfloat16hLi32ELi8ELi128ELNS_18Fp8KVCacheDataTypeE1ELb0EEEvPT_PKS3_PKT0_S9_ifPKiSB_iPKfiiiSD_SD_iiiii
; %bb.0:
	s_load_b64 s[18:19], s[0:1], 0x20
	s_bfe_u32 s3, ttmp6, 0x4000c
	s_bfe_u32 s5, ttmp6, 0x40010
	s_and_b32 s4, ttmp7, 0xffff
	s_add_co_i32 s3, s3, 1
	s_add_co_i32 s5, s5, 1
	s_and_b32 s2, ttmp6, 15
	s_bfe_u32 s6, ttmp6, 0x40004
	s_mul_i32 s3, ttmp9, s3
	s_mul_i32 s5, s4, s5
	s_getreg_b32 s20, hwreg(HW_REG_IB_STS2, 6, 4)
	s_add_co_i32 s2, s2, s3
	s_add_co_i32 s3, s6, s5
	s_cmp_eq_u32 s20, 0
	s_clause 0x1
	s_load_b32 s21, s[0:1], 0x80
	s_load_b64 s[6:7], s[0:1], 0x30
	s_cselect_b32 s22, s4, s3
	s_cselect_b32 s4, ttmp9, s2
	s_wait_kmcnt 0x0
	s_abs_i32 s2, s18
	s_delay_alu instid0(SALU_CYCLE_1) | instskip(SKIP_1) | instid1(SALU_CYCLE_2)
	s_cvt_f32_u32 s3, s2
	s_sub_co_i32 s5, 0, s2
	v_rcp_iflag_f32_e32 v1, s3
	s_abs_i32 s8, s21
	v_nop
	s_delay_alu instid0(TRANS32_DEP_1) | instskip(SKIP_1) | instid1(SALU_CYCLE_3)
	v_readfirstlane_b32 s3, v1
	s_mul_f32 s3, s3, 0x4f7ffffe
	s_cvt_u32_f32 s3, s3
	s_delay_alu instid0(SALU_CYCLE_3) | instskip(NEXT) | instid1(SALU_CYCLE_1)
	s_mul_i32 s5, s5, s3
	s_mul_hi_u32 s5, s3, s5
	s_delay_alu instid0(SALU_CYCLE_1) | instskip(SKIP_4) | instid1(SALU_CYCLE_1)
	s_add_co_i32 s3, s3, s5
	s_xor_b32 s5, s21, s18
	s_mul_hi_u32 s3, s8, s3
	s_ashr_i32 s5, s5, 31
	s_mul_i32 s9, s3, s2
	s_sub_co_i32 s8, s8, s9
	s_add_co_i32 s9, s3, 1
	s_sub_co_i32 s10, s8, s2
	s_cmp_ge_u32 s8, s2
	s_cselect_b32 s3, s9, s3
	s_cselect_b32 s8, s10, s8
	s_add_co_i32 s9, s3, 1
	s_cmp_ge_u32 s8, s2
	s_cselect_b32 s2, s9, s3
	s_load_b64 s[8:9], s[0:1], 0x40
	s_xor_b32 s2, s2, s5
	s_mov_b32 s3, 0
	s_sub_co_i32 s14, s2, s5
	s_mov_b32 s13, s3
	s_abs_i32 s11, s14
	s_mov_b32 s18, s3
	s_cvt_f32_u32 s2, s11
	s_delay_alu instid0(SALU_CYCLE_3) | instskip(SKIP_1) | instid1(TRANS32_DEP_1)
	v_rcp_iflag_f32_e32 v1, s2
	v_nop
	v_readfirstlane_b32 s2, v1
	s_mul_f32 s2, s2, 0x4f7ffffe
	s_delay_alu instid0(SALU_CYCLE_3) | instskip(SKIP_1) | instid1(SALU_CYCLE_2)
	s_cvt_u32_f32 s5, s2
	s_sub_co_i32 s2, 0, s11
	s_mul_i32 s2, s2, s5
	s_delay_alu instid0(SALU_CYCLE_1)
	s_mul_hi_u32 s10, s5, s2
	s_abs_i32 s2, s4
	s_add_co_i32 s12, s5, s10
	s_wait_kmcnt 0x0
	s_cmp_eq_u64 s[8:9], 0
	s_cbranch_scc1 .LBB313_2
; %bb.1:
	s_ashr_i32 s5, s4, 31
	s_delay_alu instid0(SALU_CYCLE_1) | instskip(NEXT) | instid1(SALU_CYCLE_1)
	s_lshl_b64 s[16:17], s[4:5], 2
	s_add_nc_u64 s[8:9], s[8:9], s[16:17]
	s_load_b32 s18, s[8:9], 0x0
.LBB313_2:
	s_load_b32 s23, s[6:7], s22 offset:0x0 scale_offset
	s_wait_xcnt 0x0
	s_load_b96 s[8:10], s[0:1], 0x48
	v_and_b32_e32 v4, 3, v0
	s_ashr_i32 s5, s4, 31
	s_ashr_i32 s14, s14, 31
	s_mul_u64 s[6:7], s[2:3], s[12:13]
	s_lshl_b32 s12, s4, 5
	s_mov_b32 s3, exec_lo
	v_cmpx_gt_u32_e32 16, v0
	s_cbranch_execz .LBB313_4
; %bb.3:
	s_load_b64 s[16:17], s[0:1], 0x8
	s_wait_kmcnt 0x0
	s_mul_i32 s24, s8, s22
	s_ashr_i32 s13, s12, 31
	s_ashr_i32 s25, s24, 31
	v_and_b32_e32 v2, 0x3fc, v0
	s_lshl_b64 s[24:25], s[24:25], 1
	s_delay_alu instid0(VALU_DEP_1) | instskip(SKIP_2) | instid1(SALU_CYCLE_1)
	v_lshl_add_u32 v2, v4, 4, v2
	s_add_nc_u64 s[16:17], s[16:17], s[24:25]
	s_lshl_b64 s[24:25], s[12:13], 1
	s_add_nc_u64 s[16:17], s[16:17], s[24:25]
	global_load_b32 v1, v0, s[16:17] scale_offset
	s_wait_loadcnt 0x0
	ds_store_b32 v2, v1
.LBB313_4:
	s_or_b32 exec_lo, exec_lo, s3
	s_wait_kmcnt 0x0
	s_add_co_i32 s3, s23, 7
	s_load_b32 s4, s[0:1], 0x38
	s_ashr_i32 s6, s3, 31
	s_mul_i32 s8, s7, s11
	s_lshr_b32 s6, s6, 29
	s_sub_co_i32 s2, s2, s8
	s_add_co_i32 s3, s3, s6
	s_xor_b32 s5, s5, s14
	s_ashr_i32 s13, s3, 3
	s_add_co_i32 s3, s7, 1
	s_sub_co_i32 s6, s2, s11
	s_cmp_ge_u32 s2, s11
	v_lshrrev_b32_e32 v1, 5, v0
	s_cselect_b32 s3, s3, s7
	s_cselect_b32 s2, s6, s2
	s_add_co_i32 s6, s3, 1
	s_cmp_ge_u32 s2, s11
	v_mbcnt_lo_u32_b32 v10, -1, 0
	s_cselect_b32 s2, s6, s3
	s_wait_dscnt 0x0
	s_xor_b32 s2, s2, s5
	s_wait_kmcnt 0x0
	s_mul_i32 s14, s4, s22
	s_sub_co_i32 s3, s2, s5
	v_cmp_gt_i32_e64 s2, s13, v1
	s_ashr_i32 s15, s14, 31
	s_mov_b32 s4, exec_lo
	s_barrier_signal -1
	s_barrier_wait -1
                                        ; implicit-def: $vgpr3
                                        ; implicit-def: $vgpr11
	v_cmpx_le_i32_e64 s13, v1
	s_xor_b32 s4, exec_lo, s4
; %bb.5:
	v_dual_mov_b32 v3, 0 :: v_dual_mov_b32 v11, 32
	v_mbcnt_lo_u32_b32 v10, -1, 0
                                        ; implicit-def: $vgpr4
; %bb.6:
	s_or_saveexec_b32 s24, s4
	s_clause 0x2
	s_load_b32 s8, s[0:1], 0x88
	s_load_b64 s[16:17], s[0:1], 0x28
	s_load_b128 s[4:7], s[0:1], 0x58
	v_mov_b32_e32 v12, 0xff7fffff
	v_lshrrev_b32_e32 v14, 3, v0
	s_mul_i32 s10, s3, s10
	s_xor_b32 exec_lo, exec_lo, s24
	s_cbranch_execz .LBB313_76
; %bb.7:
	v_dual_mov_b32 v3, 0 :: v_dual_lshlrev_b32 v2, 4, v4
	s_load_b64 s[26:27], s[0:1], 0x10
	v_bfe_u32 v12, v0, 2, 3
	v_xor_b32_e32 v5, 1, v10
	ds_load_b128 v[6:9], v2
	v_dual_mov_b32 v11, 32 :: v_dual_bitop2_b32 v2, 2, v10 bitop3:0x14
	s_ashr_i32 s11, s10, 31
	s_wait_kmcnt 0x0
	s_load_b32 s5, s[4:5], 0x0
	s_cmp_neq_f32 s18, 0
	v_cmp_gt_i32_e32 vcc_lo, 32, v2
	s_mov_b32 s25, s9
	v_mov_b32_e32 v26, v1
	s_cselect_b32 s3, -1, 0
	v_dual_cndmask_b32 v13, v10, v2 :: v_dual_lshlrev_b32 v2, 4, v12
	v_cmp_gt_i32_e32 vcc_lo, 32, v5
	s_add_nc_u64 s[26:27], s[26:27], s[10:11]
	v_cndmask_b32_e32 v5, v10, v5, vcc_lo
	s_delay_alu instid0(VALU_DEP_3)
	v_add_nc_u64_e32 v[24:25], s[26:27], v[2:3]
	v_dual_lshlrev_b32 v13, 2, v13 :: v_dual_lshlrev_b32 v2, 1, v4
	s_wait_dscnt 0x0
	v_dual_lshlrev_b32 v15, 16, v6 :: v_dual_lshlrev_b32 v17, 16, v7
	v_and_b32_e32 v16, 0xffff0000, v6
	v_dual_lshlrev_b32 v6, 2, v12 :: v_dual_lshlrev_b32 v23, 2, v5
	v_cmp_eq_u32_e32 vcc_lo, 0, v4
	v_add_nc_u64_e32 v[4:5], v[24:25], v[2:3]
	v_and_b32_e32 v2, 0x7c, v14
	s_delay_alu instid0(VALU_DEP_4)
	v_lshl_or_b32 v6, v1, 5, v6
	s_lshl_b64 s[26:27], s[14:15], 2
	v_and_b32_e32 v18, 0xffff0000, v7
	s_add_nc_u64 s[26:27], s[16:17], s[26:27]
	v_dual_lshlrev_b32 v19, 16, v8 :: v_dual_lshlrev_b32 v21, 16, v9
	v_add_nc_u32_e32 v25, 0x60, v6
	v_add_nc_u64_e32 v[6:7], s[26:27], v[2:3]
	v_and_b32_e32 v20, 0xffff0000, v8
	v_and_b32_e32 v22, 0xffff0000, v9
	v_lshl_or_b32 v24, v1, 3, v12
	v_mov_b32_e32 v12, 0xff7fffff
	s_mov_b32 s11, 0
	s_sub_co_i32 s26, 1, s23
	s_branch .LBB313_9
.LBB313_8:                              ;   in Loop: Header=BB313_9 Depth=1
	s_or_b32 exec_lo, exec_lo, s27
	v_dual_add_nc_u32 v26, 4, v26 :: v_dual_add_nc_u32 v24, 32, v24
	v_add_nc_u64_e32 v[6:7], 16, v[6:7]
	v_add_nc_u32_e32 v25, 0x80, v25
	s_delay_alu instid0(VALU_DEP_3) | instskip(SKIP_1) | instid1(SALU_CYCLE_1)
	v_cmp_le_i32_e64 s4, s13, v26
	s_or_b32 s11, s4, s11
	s_and_not1_b32 exec_lo, exec_lo, s11
	s_cbranch_execz .LBB313_75
.LBB313_9:                              ; =>This Inner Loop Header: Depth=1
	global_load_b32 v2, v[6:7], off
	v_mov_b32_e32 v27, 0
	s_wait_loadcnt_dscnt 0x0
	v_mad_nc_i64_i32 v[8:9], v2, s25, v[4:5]
	global_load_u16 v2, v[8:9], off
	s_wait_loadcnt 0x0
	v_and_b32_e32 v28, 0xff, v2
	v_and_b32_e32 v29, 0xffff, v2
	s_delay_alu instid0(VALU_DEP_2)
	v_cmp_ne_u16_e64 s4, 0, v28
	v_mov_b32_e32 v28, 0
	s_wait_xcnt 0x0
	s_and_saveexec_b32 s27, s4
	s_cbranch_execz .LBB313_17
; %bb.10:                               ;   in Loop: Header=BB313_9 Depth=1
	v_and_b32_e32 v2, 0xff, v29
	v_bfrev_b32_e32 v28, 1
	s_mov_b32 s28, exec_lo
	s_delay_alu instid0(VALU_DEP_2)
	v_cmpx_ne_u16_e32 0x80, v2
	s_cbranch_execz .LBB313_16
; %bb.11:                               ;   in Loop: Header=BB313_9 Depth=1
	v_and_b32_e32 v30, 0x7f, v29
	v_mov_b32_e32 v28, 0x7f800001
	s_mov_b32 s29, exec_lo
	s_delay_alu instid0(VALU_DEP_2)
	v_cmpx_ne_u32_e32 0x7f, v30
	s_cbranch_execz .LBB313_15
; %bb.12:                               ;   in Loop: Header=BB313_9 Depth=1
	v_dual_lshrrev_b32 v28, 3, v30 :: v_dual_bitop2_b32 v2, 7, v29 bitop3:0x40
	s_mov_b32 s30, exec_lo
	v_cmpx_gt_u32_e32 8, v30
; %bb.13:                               ;   in Loop: Header=BB313_9 Depth=1
	s_delay_alu instid0(VALU_DEP_2) | instskip(NEXT) | instid1(VALU_DEP_1)
	v_clz_i32_u32_e32 v28, v2
	v_min_u32_e32 v28, 32, v28
	s_delay_alu instid0(VALU_DEP_1) | instskip(NEXT) | instid1(VALU_DEP_1)
	v_subrev_nc_u32_e32 v30, 28, v28
	v_lshlrev_b64_e32 v[30:31], v30, v[2:3]
	s_delay_alu instid0(VALU_DEP_1)
	v_dual_sub_nc_u32 v28, 29, v28 :: v_dual_bitop2_b32 v2, 7, v30 bitop3:0x40
; %bb.14:                               ;   in Loop: Header=BB313_9 Depth=1
	s_or_b32 exec_lo, exec_lo, s30
	s_delay_alu instid0(VALU_DEP_1) | instskip(NEXT) | instid1(VALU_DEP_2)
	v_dual_lshlrev_b32 v30, 24, v29 :: v_dual_lshlrev_b32 v2, 20, v2
	v_lshl_add_u32 v28, v28, 23, 0x3c000000
	s_delay_alu instid0(VALU_DEP_2) | instskip(NEXT) | instid1(VALU_DEP_1)
	v_and_b32_e32 v30, 0x80000000, v30
	v_or3_b32 v28, v2, v30, v28
.LBB313_15:                             ;   in Loop: Header=BB313_9 Depth=1
	s_or_b32 exec_lo, exec_lo, s29
.LBB313_16:                             ;   in Loop: Header=BB313_9 Depth=1
	s_delay_alu instid0(SALU_CYCLE_1)
	s_or_b32 exec_lo, exec_lo, s28
.LBB313_17:                             ;   in Loop: Header=BB313_9 Depth=1
	s_delay_alu instid0(SALU_CYCLE_1) | instskip(SKIP_2) | instid1(VALU_DEP_1)
	s_or_b32 exec_lo, exec_lo, s27
	v_lshrrev_b16 v2, 8, v29
	s_mov_b32 s27, exec_lo
	v_cmpx_ne_u16_e32 0, v2
	s_cbranch_execz .LBB313_25
; %bb.18:                               ;   in Loop: Header=BB313_9 Depth=1
	v_bfrev_b32_e32 v27, 1
	s_mov_b32 s28, exec_lo
	v_cmpx_ne_u16_e32 0x80, v2
	s_cbranch_execz .LBB313_24
; %bb.19:                               ;   in Loop: Header=BB313_9 Depth=1
	v_and_b32_e32 v2, 0xffff, v2
	v_mov_b32_e32 v27, 0x7f800001
	s_mov_b32 s29, exec_lo
	s_delay_alu instid0(VALU_DEP_2) | instskip(NEXT) | instid1(VALU_DEP_1)
	v_and_b32_e32 v30, 0x7f, v2
	v_cmpx_ne_u32_e32 0x7f, v30
	s_cbranch_execz .LBB313_23
; %bb.20:                               ;   in Loop: Header=BB313_9 Depth=1
	v_and_b32_e32 v2, 7, v2
	v_lshrrev_b32_e32 v27, 3, v30
	s_mov_b32 s30, exec_lo
	v_cmpx_gt_u32_e32 8, v30
; %bb.21:                               ;   in Loop: Header=BB313_9 Depth=1
	s_delay_alu instid0(VALU_DEP_3) | instskip(NEXT) | instid1(VALU_DEP_1)
	v_clz_i32_u32_e32 v27, v2
	v_min_u32_e32 v27, 32, v27
	s_delay_alu instid0(VALU_DEP_1) | instskip(NEXT) | instid1(VALU_DEP_1)
	v_subrev_nc_u32_e32 v30, 28, v27
	v_lshlrev_b64_e32 v[30:31], v30, v[2:3]
	s_delay_alu instid0(VALU_DEP_1)
	v_dual_sub_nc_u32 v27, 29, v27 :: v_dual_bitop2_b32 v2, 7, v30 bitop3:0x40
; %bb.22:                               ;   in Loop: Header=BB313_9 Depth=1
	s_or_b32 exec_lo, exec_lo, s30
	s_delay_alu instid0(VALU_DEP_1) | instskip(NEXT) | instid1(VALU_DEP_2)
	v_dual_lshlrev_b32 v29, 16, v29 :: v_dual_lshlrev_b32 v2, 20, v2
	v_lshl_add_u32 v27, v27, 23, 0x3c000000
	s_delay_alu instid0(VALU_DEP_2) | instskip(NEXT) | instid1(VALU_DEP_1)
	v_and_b32_e32 v29, 0x80000000, v29
	v_or3_b32 v27, v2, v29, v27
.LBB313_23:                             ;   in Loop: Header=BB313_9 Depth=1
	s_or_b32 exec_lo, exec_lo, s29
.LBB313_24:                             ;   in Loop: Header=BB313_9 Depth=1
	s_delay_alu instid0(SALU_CYCLE_1)
	s_or_b32 exec_lo, exec_lo, s28
.LBB313_25:                             ;   in Loop: Header=BB313_9 Depth=1
	s_delay_alu instid0(SALU_CYCLE_1)
	s_or_b32 exec_lo, exec_lo, s27
	global_load_u16 v2, v[8:9], off offset:8
	v_mov_b32_e32 v29, 0
	s_wait_loadcnt 0x0
	v_and_b32_e32 v30, 0xff, v2
	v_and_b32_e32 v31, 0xffff, v2
	s_delay_alu instid0(VALU_DEP_2)
	v_cmp_ne_u16_e64 s4, 0, v30
	v_mov_b32_e32 v30, 0
	s_and_saveexec_b32 s27, s4
	s_cbranch_execz .LBB313_33
; %bb.26:                               ;   in Loop: Header=BB313_9 Depth=1
	v_and_b32_e32 v2, 0xff, v31
	v_bfrev_b32_e32 v30, 1
	s_mov_b32 s28, exec_lo
	s_delay_alu instid0(VALU_DEP_2)
	v_cmpx_ne_u16_e32 0x80, v2
	s_cbranch_execz .LBB313_32
; %bb.27:                               ;   in Loop: Header=BB313_9 Depth=1
	v_and_b32_e32 v32, 0x7f, v31
	v_mov_b32_e32 v30, 0x7f800001
	s_mov_b32 s29, exec_lo
	s_delay_alu instid0(VALU_DEP_2)
	v_cmpx_ne_u32_e32 0x7f, v32
	s_cbranch_execz .LBB313_31
; %bb.28:                               ;   in Loop: Header=BB313_9 Depth=1
	v_dual_lshrrev_b32 v30, 3, v32 :: v_dual_bitop2_b32 v2, 7, v31 bitop3:0x40
	s_mov_b32 s30, exec_lo
	v_cmpx_gt_u32_e32 8, v32
; %bb.29:                               ;   in Loop: Header=BB313_9 Depth=1
	s_delay_alu instid0(VALU_DEP_2) | instskip(NEXT) | instid1(VALU_DEP_1)
	v_clz_i32_u32_e32 v30, v2
	v_min_u32_e32 v30, 32, v30
	s_delay_alu instid0(VALU_DEP_1) | instskip(NEXT) | instid1(VALU_DEP_1)
	v_subrev_nc_u32_e32 v32, 28, v30
	v_lshlrev_b64_e32 v[32:33], v32, v[2:3]
	s_delay_alu instid0(VALU_DEP_1)
	v_dual_sub_nc_u32 v30, 29, v30 :: v_dual_bitop2_b32 v2, 7, v32 bitop3:0x40
; %bb.30:                               ;   in Loop: Header=BB313_9 Depth=1
	s_or_b32 exec_lo, exec_lo, s30
	s_delay_alu instid0(VALU_DEP_1) | instskip(NEXT) | instid1(VALU_DEP_2)
	v_dual_lshlrev_b32 v32, 24, v31 :: v_dual_lshlrev_b32 v2, 20, v2
	v_lshl_add_u32 v30, v30, 23, 0x3c000000
	s_delay_alu instid0(VALU_DEP_2) | instskip(NEXT) | instid1(VALU_DEP_1)
	v_and_b32_e32 v32, 0x80000000, v32
	v_or3_b32 v30, v2, v32, v30
.LBB313_31:                             ;   in Loop: Header=BB313_9 Depth=1
	s_or_b32 exec_lo, exec_lo, s29
.LBB313_32:                             ;   in Loop: Header=BB313_9 Depth=1
	s_delay_alu instid0(SALU_CYCLE_1)
	s_or_b32 exec_lo, exec_lo, s28
.LBB313_33:                             ;   in Loop: Header=BB313_9 Depth=1
	s_delay_alu instid0(SALU_CYCLE_1) | instskip(SKIP_2) | instid1(VALU_DEP_1)
	s_or_b32 exec_lo, exec_lo, s27
	v_lshrrev_b16 v2, 8, v31
	s_mov_b32 s27, exec_lo
	v_cmpx_ne_u16_e32 0, v2
	s_cbranch_execz .LBB313_41
; %bb.34:                               ;   in Loop: Header=BB313_9 Depth=1
	v_bfrev_b32_e32 v29, 1
	s_mov_b32 s28, exec_lo
	v_cmpx_ne_u16_e32 0x80, v2
	s_cbranch_execz .LBB313_40
; %bb.35:                               ;   in Loop: Header=BB313_9 Depth=1
	v_and_b32_e32 v2, 0xffff, v2
	v_mov_b32_e32 v29, 0x7f800001
	s_mov_b32 s29, exec_lo
	s_delay_alu instid0(VALU_DEP_2) | instskip(NEXT) | instid1(VALU_DEP_1)
	v_and_b32_e32 v32, 0x7f, v2
	v_cmpx_ne_u32_e32 0x7f, v32
	s_cbranch_execz .LBB313_39
; %bb.36:                               ;   in Loop: Header=BB313_9 Depth=1
	v_dual_lshrrev_b32 v29, 3, v32 :: v_dual_bitop2_b32 v2, 7, v2 bitop3:0x40
	s_mov_b32 s30, exec_lo
	v_cmpx_gt_u32_e32 8, v32
; %bb.37:                               ;   in Loop: Header=BB313_9 Depth=1
	s_delay_alu instid0(VALU_DEP_2) | instskip(NEXT) | instid1(VALU_DEP_1)
	v_clz_i32_u32_e32 v29, v2
	v_min_u32_e32 v29, 32, v29
	s_delay_alu instid0(VALU_DEP_1) | instskip(NEXT) | instid1(VALU_DEP_1)
	v_subrev_nc_u32_e32 v32, 28, v29
	v_lshlrev_b64_e32 v[32:33], v32, v[2:3]
	s_delay_alu instid0(VALU_DEP_1)
	v_dual_sub_nc_u32 v29, 29, v29 :: v_dual_bitop2_b32 v2, 7, v32 bitop3:0x40
; %bb.38:                               ;   in Loop: Header=BB313_9 Depth=1
	s_or_b32 exec_lo, exec_lo, s30
	s_delay_alu instid0(VALU_DEP_1) | instskip(NEXT) | instid1(VALU_DEP_2)
	v_dual_lshlrev_b32 v31, 16, v31 :: v_dual_lshlrev_b32 v2, 20, v2
	v_lshl_add_u32 v29, v29, 23, 0x3c000000
	s_delay_alu instid0(VALU_DEP_2) | instskip(NEXT) | instid1(VALU_DEP_1)
	v_and_b32_e32 v31, 0x80000000, v31
	v_or3_b32 v29, v2, v31, v29
.LBB313_39:                             ;   in Loop: Header=BB313_9 Depth=1
	s_or_b32 exec_lo, exec_lo, s29
.LBB313_40:                             ;   in Loop: Header=BB313_9 Depth=1
	s_delay_alu instid0(SALU_CYCLE_1)
	s_or_b32 exec_lo, exec_lo, s28
.LBB313_41:                             ;   in Loop: Header=BB313_9 Depth=1
	s_delay_alu instid0(SALU_CYCLE_1)
	s_or_b32 exec_lo, exec_lo, s27
	global_load_u16 v2, v[8:9], off offset:128
	v_mov_b32_e32 v31, 0
	s_wait_loadcnt 0x0
	v_and_b32_e32 v32, 0xff, v2
	v_and_b32_e32 v33, 0xffff, v2
	s_delay_alu instid0(VALU_DEP_2)
	v_cmp_ne_u16_e64 s4, 0, v32
	v_mov_b32_e32 v32, 0
	s_and_saveexec_b32 s27, s4
	s_cbranch_execz .LBB313_49
; %bb.42:                               ;   in Loop: Header=BB313_9 Depth=1
	v_and_b32_e32 v2, 0xff, v33
	v_bfrev_b32_e32 v32, 1
	s_mov_b32 s28, exec_lo
	s_delay_alu instid0(VALU_DEP_2)
	v_cmpx_ne_u16_e32 0x80, v2
	s_cbranch_execz .LBB313_48
; %bb.43:                               ;   in Loop: Header=BB313_9 Depth=1
	v_and_b32_e32 v34, 0x7f, v33
	v_mov_b32_e32 v32, 0x7f800001
	s_mov_b32 s29, exec_lo
	s_delay_alu instid0(VALU_DEP_2)
	v_cmpx_ne_u32_e32 0x7f, v34
	s_cbranch_execz .LBB313_47
; %bb.44:                               ;   in Loop: Header=BB313_9 Depth=1
	v_dual_lshrrev_b32 v32, 3, v34 :: v_dual_bitop2_b32 v2, 7, v33 bitop3:0x40
	s_mov_b32 s30, exec_lo
	v_cmpx_gt_u32_e32 8, v34
; %bb.45:                               ;   in Loop: Header=BB313_9 Depth=1
	s_delay_alu instid0(VALU_DEP_2) | instskip(NEXT) | instid1(VALU_DEP_1)
	v_clz_i32_u32_e32 v32, v2
	v_min_u32_e32 v32, 32, v32
	s_delay_alu instid0(VALU_DEP_1) | instskip(NEXT) | instid1(VALU_DEP_1)
	v_subrev_nc_u32_e32 v34, 28, v32
	v_lshlrev_b64_e32 v[34:35], v34, v[2:3]
	s_delay_alu instid0(VALU_DEP_1)
	v_dual_sub_nc_u32 v32, 29, v32 :: v_dual_bitop2_b32 v2, 7, v34 bitop3:0x40
; %bb.46:                               ;   in Loop: Header=BB313_9 Depth=1
	s_or_b32 exec_lo, exec_lo, s30
	s_delay_alu instid0(VALU_DEP_1) | instskip(NEXT) | instid1(VALU_DEP_2)
	v_dual_lshlrev_b32 v34, 24, v33 :: v_dual_lshlrev_b32 v2, 20, v2
	v_lshl_add_u32 v32, v32, 23, 0x3c000000
	s_delay_alu instid0(VALU_DEP_2) | instskip(NEXT) | instid1(VALU_DEP_1)
	v_and_b32_e32 v34, 0x80000000, v34
	v_or3_b32 v32, v2, v34, v32
.LBB313_47:                             ;   in Loop: Header=BB313_9 Depth=1
	s_or_b32 exec_lo, exec_lo, s29
.LBB313_48:                             ;   in Loop: Header=BB313_9 Depth=1
	s_delay_alu instid0(SALU_CYCLE_1)
	s_or_b32 exec_lo, exec_lo, s28
.LBB313_49:                             ;   in Loop: Header=BB313_9 Depth=1
	s_delay_alu instid0(SALU_CYCLE_1) | instskip(SKIP_2) | instid1(VALU_DEP_1)
	s_or_b32 exec_lo, exec_lo, s27
	v_lshrrev_b16 v2, 8, v33
	s_mov_b32 s27, exec_lo
	v_cmpx_ne_u16_e32 0, v2
	s_cbranch_execz .LBB313_57
; %bb.50:                               ;   in Loop: Header=BB313_9 Depth=1
	v_bfrev_b32_e32 v31, 1
	s_mov_b32 s28, exec_lo
	v_cmpx_ne_u16_e32 0x80, v2
	s_cbranch_execz .LBB313_56
; %bb.51:                               ;   in Loop: Header=BB313_9 Depth=1
	v_and_b32_e32 v2, 0xffff, v2
	v_mov_b32_e32 v31, 0x7f800001
	s_mov_b32 s29, exec_lo
	s_delay_alu instid0(VALU_DEP_2) | instskip(NEXT) | instid1(VALU_DEP_1)
	v_and_b32_e32 v34, 0x7f, v2
	v_cmpx_ne_u32_e32 0x7f, v34
	s_cbranch_execz .LBB313_55
; %bb.52:                               ;   in Loop: Header=BB313_9 Depth=1
	v_and_b32_e32 v2, 7, v2
	v_lshrrev_b32_e32 v31, 3, v34
	s_mov_b32 s30, exec_lo
	v_cmpx_gt_u32_e32 8, v34
; %bb.53:                               ;   in Loop: Header=BB313_9 Depth=1
	s_delay_alu instid0(VALU_DEP_3) | instskip(NEXT) | instid1(VALU_DEP_1)
	v_clz_i32_u32_e32 v31, v2
	v_min_u32_e32 v31, 32, v31
	s_delay_alu instid0(VALU_DEP_1) | instskip(NEXT) | instid1(VALU_DEP_1)
	v_subrev_nc_u32_e32 v34, 28, v31
	v_lshlrev_b64_e32 v[34:35], v34, v[2:3]
	s_delay_alu instid0(VALU_DEP_1)
	v_dual_sub_nc_u32 v31, 29, v31 :: v_dual_bitop2_b32 v2, 7, v34 bitop3:0x40
; %bb.54:                               ;   in Loop: Header=BB313_9 Depth=1
	s_or_b32 exec_lo, exec_lo, s30
	s_delay_alu instid0(VALU_DEP_1) | instskip(NEXT) | instid1(VALU_DEP_2)
	v_dual_lshlrev_b32 v33, 16, v33 :: v_dual_lshlrev_b32 v2, 20, v2
	v_lshl_add_u32 v31, v31, 23, 0x3c000000
	s_delay_alu instid0(VALU_DEP_2) | instskip(NEXT) | instid1(VALU_DEP_1)
	v_and_b32_e32 v33, 0x80000000, v33
	v_or3_b32 v31, v2, v33, v31
.LBB313_55:                             ;   in Loop: Header=BB313_9 Depth=1
	s_or_b32 exec_lo, exec_lo, s29
.LBB313_56:                             ;   in Loop: Header=BB313_9 Depth=1
	s_delay_alu instid0(SALU_CYCLE_1)
	s_or_b32 exec_lo, exec_lo, s28
.LBB313_57:                             ;   in Loop: Header=BB313_9 Depth=1
	s_delay_alu instid0(SALU_CYCLE_1)
	s_or_b32 exec_lo, exec_lo, s27
	global_load_u16 v2, v[8:9], off offset:136
	s_wait_xcnt 0x0
	v_mov_b32_e32 v9, 0
	s_wait_loadcnt 0x0
	v_and_b32_e32 v33, 0xff, v2
	v_and_b32_e32 v8, 0xffff, v2
	s_delay_alu instid0(VALU_DEP_2)
	v_cmp_ne_u16_e64 s4, 0, v33
	v_mov_b32_e32 v33, 0
	s_and_saveexec_b32 s27, s4
	s_cbranch_execz .LBB313_65
; %bb.58:                               ;   in Loop: Header=BB313_9 Depth=1
	v_and_b32_e32 v2, 0xff, v8
	v_bfrev_b32_e32 v33, 1
	s_mov_b32 s28, exec_lo
	s_delay_alu instid0(VALU_DEP_2)
	v_cmpx_ne_u16_e32 0x80, v2
	s_cbranch_execz .LBB313_64
; %bb.59:                               ;   in Loop: Header=BB313_9 Depth=1
	v_and_b32_e32 v34, 0x7f, v8
	v_mov_b32_e32 v33, 0x7f800001
	s_mov_b32 s29, exec_lo
	s_delay_alu instid0(VALU_DEP_2)
	v_cmpx_ne_u32_e32 0x7f, v34
	s_cbranch_execz .LBB313_63
; %bb.60:                               ;   in Loop: Header=BB313_9 Depth=1
	v_dual_lshrrev_b32 v33, 3, v34 :: v_dual_bitop2_b32 v2, 7, v8 bitop3:0x40
	s_mov_b32 s30, exec_lo
	v_cmpx_gt_u32_e32 8, v34
; %bb.61:                               ;   in Loop: Header=BB313_9 Depth=1
	s_delay_alu instid0(VALU_DEP_2) | instskip(NEXT) | instid1(VALU_DEP_1)
	v_clz_i32_u32_e32 v33, v2
	v_min_u32_e32 v33, 32, v33
	s_delay_alu instid0(VALU_DEP_1) | instskip(NEXT) | instid1(VALU_DEP_1)
	v_subrev_nc_u32_e32 v34, 28, v33
	v_lshlrev_b64_e32 v[34:35], v34, v[2:3]
	s_delay_alu instid0(VALU_DEP_1)
	v_dual_sub_nc_u32 v33, 29, v33 :: v_dual_bitop2_b32 v2, 7, v34 bitop3:0x40
; %bb.62:                               ;   in Loop: Header=BB313_9 Depth=1
	s_or_b32 exec_lo, exec_lo, s30
	s_delay_alu instid0(VALU_DEP_1) | instskip(NEXT) | instid1(VALU_DEP_2)
	v_dual_lshlrev_b32 v34, 24, v8 :: v_dual_lshlrev_b32 v2, 20, v2
	v_lshl_add_u32 v33, v33, 23, 0x3c000000
	s_delay_alu instid0(VALU_DEP_2) | instskip(NEXT) | instid1(VALU_DEP_1)
	v_and_b32_e32 v34, 0x80000000, v34
	v_or3_b32 v33, v2, v34, v33
.LBB313_63:                             ;   in Loop: Header=BB313_9 Depth=1
	s_or_b32 exec_lo, exec_lo, s29
.LBB313_64:                             ;   in Loop: Header=BB313_9 Depth=1
	s_delay_alu instid0(SALU_CYCLE_1)
	s_or_b32 exec_lo, exec_lo, s28
.LBB313_65:                             ;   in Loop: Header=BB313_9 Depth=1
	s_delay_alu instid0(SALU_CYCLE_1) | instskip(SKIP_2) | instid1(VALU_DEP_1)
	s_or_b32 exec_lo, exec_lo, s27
	v_lshrrev_b16 v2, 8, v8
	s_mov_b32 s27, exec_lo
	v_cmpx_ne_u16_e32 0, v2
	s_cbranch_execz .LBB313_73
; %bb.66:                               ;   in Loop: Header=BB313_9 Depth=1
	v_bfrev_b32_e32 v9, 1
	s_mov_b32 s28, exec_lo
	v_cmpx_ne_u16_e32 0x80, v2
	s_cbranch_execz .LBB313_72
; %bb.67:                               ;   in Loop: Header=BB313_9 Depth=1
	v_and_b32_e32 v2, 0xffff, v2
	v_mov_b32_e32 v9, 0x7f800001
	s_mov_b32 s29, exec_lo
	s_delay_alu instid0(VALU_DEP_2) | instskip(NEXT) | instid1(VALU_DEP_1)
	v_and_b32_e32 v34, 0x7f, v2
	v_cmpx_ne_u32_e32 0x7f, v34
	s_cbranch_execz .LBB313_71
; %bb.68:                               ;   in Loop: Header=BB313_9 Depth=1
	v_and_b32_e32 v2, 7, v2
	v_lshrrev_b32_e32 v9, 3, v34
	s_mov_b32 s30, exec_lo
	v_cmpx_gt_u32_e32 8, v34
; %bb.69:                               ;   in Loop: Header=BB313_9 Depth=1
	s_delay_alu instid0(VALU_DEP_3) | instskip(NEXT) | instid1(VALU_DEP_1)
	v_clz_i32_u32_e32 v9, v2
	v_min_u32_e32 v9, 32, v9
	s_delay_alu instid0(VALU_DEP_1) | instskip(NEXT) | instid1(VALU_DEP_1)
	v_subrev_nc_u32_e32 v34, 28, v9
	v_lshlrev_b64_e32 v[34:35], v34, v[2:3]
	s_delay_alu instid0(VALU_DEP_1)
	v_dual_sub_nc_u32 v9, 29, v9 :: v_dual_bitop2_b32 v2, 7, v34 bitop3:0x40
; %bb.70:                               ;   in Loop: Header=BB313_9 Depth=1
	s_or_b32 exec_lo, exec_lo, s30
	s_delay_alu instid0(VALU_DEP_1) | instskip(NEXT) | instid1(VALU_DEP_2)
	v_dual_lshlrev_b32 v8, 16, v8 :: v_dual_lshlrev_b32 v2, 20, v2
	v_lshl_add_u32 v9, v9, 23, 0x3c000000
	s_delay_alu instid0(VALU_DEP_2) | instskip(NEXT) | instid1(VALU_DEP_1)
	v_and_b32_e32 v8, 0x80000000, v8
	v_or3_b32 v9, v2, v8, v9
.LBB313_71:                             ;   in Loop: Header=BB313_9 Depth=1
	s_or_b32 exec_lo, exec_lo, s29
.LBB313_72:                             ;   in Loop: Header=BB313_9 Depth=1
	s_delay_alu instid0(SALU_CYCLE_1)
	s_or_b32 exec_lo, exec_lo, s28
.LBB313_73:                             ;   in Loop: Header=BB313_9 Depth=1
	s_delay_alu instid0(SALU_CYCLE_1)
	s_or_b32 exec_lo, exec_lo, s27
	s_wait_kmcnt 0x0
	v_fma_mixlo_bf16 v2, s5, v30, 0
	v_fma_mixlo_bf16 v8, s5, v29, 0
	;; [unrolled: 1-line block ×5, first 2 shown]
	s_delay_alu instid0(VALU_DEP_4) | instskip(SKIP_2) | instid1(VALU_DEP_3)
	v_dual_lshlrev_b32 v2, 16, v2 :: v_dual_lshlrev_b32 v8, 16, v8
	v_fma_mixlo_bf16 v30, s5, v32, 0
	v_fma_mixlo_bf16 v9, s5, v9, 0
	v_dual_mul_f32 v2, v17, v2 :: v_dual_mul_f32 v8, v18, v8
	s_delay_alu instid0(VALU_DEP_1) | instskip(NEXT) | instid1(VALU_DEP_2)
	v_fma_mix_f32_bf16 v2, v15, v28, v2 op_sel_hi:[0,1,0]
	v_fma_mix_f32_bf16 v8, v16, v27, v8 op_sel_hi:[0,1,0]
	v_fma_mixlo_bf16 v27, s5, v33, 0
	s_delay_alu instid0(VALU_DEP_3) | instskip(NEXT) | instid1(VALU_DEP_3)
	v_fma_mix_f32_bf16 v2, v19, v30, v2 op_sel_hi:[0,1,0]
	v_fma_mix_f32_bf16 v8, v20, v29, v8 op_sel_hi:[0,1,0]
	s_delay_alu instid0(VALU_DEP_2) | instskip(NEXT) | instid1(VALU_DEP_2)
	v_fma_mix_f32_bf16 v2, v21, v27, v2 op_sel_hi:[0,1,0]
	v_fma_mix_f32_bf16 v8, v22, v9, v8 op_sel_hi:[0,1,0]
	s_delay_alu instid0(VALU_DEP_1)
	v_add_f32_e32 v2, v2, v8
	ds_bpermute_b32 v8, v13, v2
	s_wait_dscnt 0x0
	v_add_f32_e32 v2, v2, v8
	ds_bpermute_b32 v8, v23, v2
	s_and_saveexec_b32 s27, vcc_lo
	s_cbranch_execz .LBB313_8
; %bb.74:                               ;   in Loop: Header=BB313_9 Depth=1
	s_wait_dscnt 0x0
	v_add_f32_e32 v2, v2, v8
	v_add_nc_u32_e32 v9, s26, v24
	v_cmp_gt_i32_e64 s4, s23, v24
	s_delay_alu instid0(VALU_DEP_2) | instskip(NEXT) | instid1(VALU_DEP_1)
	v_cvt_f32_i32_e32 v9, v9
	v_mul_f32_e32 v9, s18, v9
	s_delay_alu instid0(VALU_DEP_1) | instskip(NEXT) | instid1(VALU_DEP_1)
	v_dual_cndmask_b32 v8, 0, v9, s3 :: v_dual_max_num_f32 v9, v12, v12
	v_fmac_f32_e32 v8, s19, v2
	s_delay_alu instid0(VALU_DEP_1) | instskip(NEXT) | instid1(VALU_DEP_1)
	v_dual_max_num_f32 v2, v9, v8 :: v_dual_cndmask_b32 v8, 0, v8, s4
	v_cndmask_b32_e64 v12, v12, v2, s4
	ds_store_b32 v25, v8
	s_branch .LBB313_8
.LBB313_75:
	s_or_b32 exec_lo, exec_lo, s11
.LBB313_76:
	s_delay_alu instid0(SALU_CYCLE_1)
	s_or_b32 exec_lo, exec_lo, s24
	v_dual_max_num_f32 v6, v12, v12 :: v_dual_bitop2_b32 v2, 16, v10 bitop3:0x14
	v_xor_b32_e32 v5, 8, v10
	s_wait_kmcnt 0x0
	s_clause 0x1
	s_load_b64 s[4:5], s[0:1], 0x0
	s_load_b64 s[18:19], s[0:1], 0x18
	v_and_b32_e32 v18, 31, v0
	v_cmp_lt_i32_e32 vcc_lo, v2, v11
	v_cndmask_b32_e32 v2, v10, v2, vcc_lo
	v_cmp_lt_i32_e32 vcc_lo, v5, v11
	s_delay_alu instid0(VALU_DEP_2) | instskip(SKIP_3) | instid1(VALU_DEP_1)
	v_dual_cndmask_b32 v5, v10, v5 :: v_dual_lshlrev_b32 v2, 2, v2
	ds_bpermute_b32 v4, v2, v12
	s_wait_dscnt 0x0
	v_dual_max_num_f32 v7, v4, v4 :: v_dual_lshlrev_b32 v4, 2, v5
	v_dual_max_num_f32 v5, v6, v7 :: v_dual_bitop2_b32 v7, 4, v10 bitop3:0x14
	ds_bpermute_b32 v6, v4, v5
	s_wait_dscnt 0x0
	v_max_num_f32_e32 v6, v6, v6
	s_delay_alu instid0(VALU_DEP_1) | instskip(SKIP_3) | instid1(VALU_DEP_2)
	v_dual_max_num_f32 v6, v5, v6 :: v_dual_lshlrev_b32 v5, 2, v1
	v_cmp_lt_i32_e32 vcc_lo, v7, v11
	v_cndmask_b32_e32 v7, v10, v7, vcc_lo
	v_cmp_eq_u32_e32 vcc_lo, 0, v18
	v_lshlrev_b32_e32 v7, 2, v7
	ds_bpermute_b32 v8, v7, v6
	s_wait_xcnt 0x0
	s_and_saveexec_b32 s0, vcc_lo
	s_cbranch_execz .LBB313_78
; %bb.77:
	s_wait_dscnt 0x0
	v_dual_max_num_f32 v8, v8, v8 :: v_dual_max_num_f32 v6, v6, v6
	s_delay_alu instid0(VALU_DEP_1)
	v_max_num_f32_e32 v6, v6, v8
	ds_store_b32 v5, v6 offset:64
.LBB313_78:
	s_or_b32 exec_lo, exec_lo, s0
	v_cmp_gt_u32_e64 s0, 4, v18
	v_dual_mov_b32 v9, 0xff7fffff :: v_dual_lshlrev_b32 v6, 2, v18
	s_wait_dscnt 0x0
	s_barrier_signal -1
	s_barrier_wait -1
	s_and_saveexec_b32 s1, s0
; %bb.79:
	ds_load_b32 v9, v6 offset:64
; %bb.80:
	s_or_b32 exec_lo, exec_lo, s1
	s_wait_dscnt 0x0
	v_dual_max_num_f32 v15, v9, v9 :: v_dual_bitop2_b32 v8, 2, v10 bitop3:0x14
	v_dual_lshlrev_b32 v3, 2, v3 :: v_dual_bitop2_b32 v13, 1, v10 bitop3:0x14
	s_delay_alu instid0(VALU_DEP_2) | instskip(NEXT) | instid1(VALU_DEP_1)
	v_cmp_lt_i32_e64 s1, v8, v11
	v_cndmask_b32_e64 v8, v10, v8, s1
	s_delay_alu instid0(VALU_DEP_3) | instskip(NEXT) | instid1(VALU_DEP_2)
	v_cmp_lt_i32_e64 s1, v13, v11
	v_lshlrev_b32_e32 v8, 2, v8
	ds_bpermute_b32 v12, v8, v9
	v_cndmask_b32_e64 v9, v10, v13, s1
	s_lshl_b32 s1, s13, 3
	s_delay_alu instid0(SALU_CYCLE_1) | instskip(NEXT) | instid1(VALU_DEP_1)
	s_min_i32 s11, s1, s23
	v_lshlrev_b32_e32 v9, 2, v9
	v_cmp_gt_i32_e64 s1, s11, v0
	s_wait_dscnt 0x0
	v_max_num_f32_e32 v11, v12, v12
	s_delay_alu instid0(VALU_DEP_1) | instskip(SKIP_3) | instid1(VALU_DEP_1)
	v_max_num_f32_e32 v11, v15, v11
	ds_bpermute_b32 v12, v9, v11
	s_wait_dscnt 0x0
	v_max_num_f32_e32 v12, v12, v12
	v_max_num_f32_e32 v11, v11, v12
	ds_bpermute_b32 v11, v3, v11
	v_mov_b32_e32 v3, 0
	s_and_saveexec_b32 s24, s1
	s_cbranch_execz .LBB313_84
; %bb.81:
	v_lshl_add_u32 v12, v0, 2, 0x60
	v_dual_mov_b32 v3, 0 :: v_dual_mov_b32 v13, v0
	s_mov_b32 s25, 0
.LBB313_82:                             ; =>This Inner Loop Header: Depth=1
	ds_load_b32 v15, v12
	v_add_nc_u32_e32 v13, 0x80, v13
	s_delay_alu instid0(VALU_DEP_1) | instskip(SKIP_3) | instid1(VALU_DEP_1)
	v_cmp_le_i32_e64 s3, s11, v13
	s_or_b32 s25, s3, s25
	s_wait_dscnt 0x0
	v_sub_f32_e32 v15, v15, v11
	v_mul_f32_e32 v15, 0x3fb8aa3b, v15
	s_delay_alu instid0(VALU_DEP_1)
	v_exp_f32_e32 v15, v15
	ds_store_b32 v12, v15
	v_nop
	v_dual_add_f32 v3, v3, v15 :: v_dual_add_nc_u32 v12, 0x200, v12
	s_and_not1_b32 exec_lo, exec_lo, s25
	s_cbranch_execnz .LBB313_82
; %bb.83:
	s_or_b32 exec_lo, exec_lo, s25
.LBB313_84:
	s_delay_alu instid0(SALU_CYCLE_1)
	s_or_b32 exec_lo, exec_lo, s24
	ds_bpermute_b32 v2, v2, v3
	s_wait_dscnt 0x0
	v_add_f32_e32 v2, v3, v2
	ds_bpermute_b32 v3, v4, v2
	s_wait_dscnt 0x0
	v_add_f32_e32 v2, v2, v3
	;; [unrolled: 3-line block ×5, first 2 shown]
	s_and_saveexec_b32 s3, vcc_lo
; %bb.85:
	ds_store_b32 v5, v2 offset:80
; %bb.86:
	s_or_b32 exec_lo, exec_lo, s3
	s_wait_dscnt 0x0
	s_barrier_signal -1
	s_barrier_wait -1
	s_and_saveexec_b32 s3, s0
; %bb.87:
	ds_load_b32 v2, v6 offset:80
; %bb.88:
	s_or_b32 exec_lo, exec_lo, s3
	s_wait_dscnt 0x0
	ds_bpermute_b32 v3, v8, v2
	s_wait_dscnt 0x0
	v_dual_lshlrev_b32 v4, 2, v10 :: v_dual_add_f32 v2, v2, v3
	ds_bpermute_b32 v3, v9, v2
	s_wait_dscnt 0x0
	v_add_f32_e32 v2, v2, v3
	v_and_b32_e32 v3, 0xffffff80, v4
	ds_bpermute_b32 v2, v3, v2
	s_and_saveexec_b32 s0, s1
	s_cbranch_execz .LBB313_101
; %bb.89:
	s_wait_dscnt 0x0
	v_add_f32_e32 v2, 0x358637bd, v2
	s_mov_b32 s3, -1
	s_mov_b32 s1, exec_lo
	s_delay_alu instid0(VALU_DEP_1) | instskip(NEXT) | instid1(VALU_DEP_1)
	v_div_scale_f32 v3, null, v2, v2, 1.0
	v_rcp_f32_e32 v5, v3
	v_nop
	s_delay_alu instid0(TRANS32_DEP_1) | instskip(NEXT) | instid1(VALU_DEP_1)
	v_fma_f32 v4, -v3, v5, 1.0
	v_fmac_f32_e32 v5, v4, v5
	v_div_scale_f32 v6, vcc_lo, 1.0, v2, 1.0
	s_delay_alu instid0(VALU_DEP_1) | instskip(NEXT) | instid1(VALU_DEP_1)
	v_mul_f32_e32 v7, v6, v5
	v_fma_f32 v4, -v3, v7, v6
	s_delay_alu instid0(VALU_DEP_1) | instskip(SKIP_1) | instid1(VALU_DEP_2)
	v_fmac_f32_e32 v7, v4, v5
	v_xad_u32 v4, v0, -1, s11
	v_fma_f32 v3, -v3, v7, v6
	s_delay_alu instid0(VALU_DEP_1) | instskip(NEXT) | instid1(VALU_DEP_1)
	v_div_fmas_f32 v3, v3, v5, v7
	v_div_fixup_f32 v2, v3, v2, 1.0
	v_mov_b32_e32 v3, v0
	v_cmpx_lt_u32_e32 0x7f, v4
	s_cbranch_execz .LBB313_98
; %bb.90:
	s_delay_alu instid0(VALU_DEP_3) | instskip(NEXT) | instid1(VALU_DEP_1)
	v_dual_mov_b32 v3, v2 :: v_dual_lshrrev_b32 v4, 7, v4
	v_dual_mov_b32 v8, 0 :: v_dual_add_nc_u32 v5, -1, v4
	s_delay_alu instid0(VALU_DEP_1) | instskip(SKIP_1) | instid1(VALU_DEP_2)
	v_lshrrev_b32_e32 v6, 1, v5
	v_cmp_lt_u32_e32 vcc_lo, 13, v5
	v_add_nc_u32_e32 v5, 1, v6
	s_and_saveexec_b32 s3, vcc_lo
	s_cbranch_execz .LBB313_94
; %bb.91:
	s_delay_alu instid0(VALU_DEP_1)
	v_and_b32_e32 v6, -8, v5
	v_lshl_add_u32 v7, v0, 2, 0x60
	s_mov_b32 s24, 0
	s_mov_b32 s25, 0
.LBB313_92:                             ; =>This Inner Loop Header: Depth=1
	ds_load_2addr_stride64_b32 v[8:9], v7 offset1:2
	ds_load_2addr_stride64_b32 v[10:11], v7 offset0:4 offset1:6
	ds_load_2addr_stride64_b32 v[12:13], v7 offset0:8 offset1:10
	;; [unrolled: 1-line block ×7, first 2 shown]
	s_add_co_i32 s25, s25, 16
	v_add_nc_u32_e32 v6, -8, v6
	s_wait_dscnt 0x7
	v_pk_mul_f32 v[8:9], v[2:3], v[8:9]
	s_wait_dscnt 0x6
	v_pk_mul_f32 v[10:11], v[2:3], v[10:11]
	;; [unrolled: 2-line block ×8, first 2 shown]
	ds_store_2addr_stride64_b32 v7, v8, v9 offset1:2
	ds_store_2addr_stride64_b32 v7, v10, v11 offset0:4 offset1:6
	ds_store_2addr_stride64_b32 v7, v12, v13 offset0:8 offset1:10
	;; [unrolled: 1-line block ×7, first 2 shown]
	v_mov_b32_e32 v8, s25
	v_cmp_eq_u32_e32 vcc_lo, 0, v6
	v_add_nc_u32_e32 v7, 0x2000, v7
	s_or_b32 s24, vcc_lo, s24
	s_delay_alu instid0(SALU_CYCLE_1)
	s_and_not1_b32 exec_lo, exec_lo, s24
	s_cbranch_execnz .LBB313_92
; %bb.93:
	s_or_b32 exec_lo, exec_lo, s24
.LBB313_94:
	s_delay_alu instid0(SALU_CYCLE_1) | instskip(NEXT) | instid1(VALU_DEP_1)
	s_or_b32 exec_lo, exec_lo, s3
	v_and_b32_e32 v5, 7, v5
	s_mov_b32 s24, 0
	s_mov_b32 s3, exec_lo
	s_delay_alu instid0(VALU_DEP_1)
	v_cmpx_ne_u32_e32 0, v5
	s_cbranch_execz .LBB313_97
; %bb.95:
	v_lshlrev_b32_e32 v6, 9, v8
	v_lshlrev_b32_e32 v7, 2, v0
	s_delay_alu instid0(VALU_DEP_1)
	v_add3_u32 v6, v6, v7, 0x60
.LBB313_96:                             ; =>This Inner Loop Header: Depth=1
	ds_load_2addr_stride64_b32 v[8:9], v6 offset1:2
	v_add_nc_u32_e32 v5, -1, v5
	s_delay_alu instid0(VALU_DEP_1)
	v_cmp_eq_u32_e32 vcc_lo, 0, v5
	s_or_b32 s24, vcc_lo, s24
	s_wait_dscnt 0x0
	v_pk_mul_f32 v[8:9], v[2:3], v[8:9]
	ds_store_2addr_stride64_b32 v6, v8, v9 offset1:2
	v_add_nc_u32_e32 v6, 0x400, v6
	s_and_not1_b32 exec_lo, exec_lo, s24
	s_cbranch_execnz .LBB313_96
.LBB313_97:
	s_or_b32 exec_lo, exec_lo, s3
	v_add_nc_u32_e32 v3, 1, v4
	s_delay_alu instid0(VALU_DEP_1) | instskip(NEXT) | instid1(VALU_DEP_1)
	v_and_b32_e32 v4, 0x3fffffe, v3
	v_cmp_ne_u32_e32 vcc_lo, v3, v4
	v_lshl_add_u32 v3, v4, 7, v0
	s_or_not1_b32 s3, vcc_lo, exec_lo
.LBB313_98:
	s_or_b32 exec_lo, exec_lo, s1
	s_delay_alu instid0(SALU_CYCLE_1)
	s_and_b32 exec_lo, exec_lo, s3
	s_cbranch_execz .LBB313_101
; %bb.99:
	v_lshl_add_u32 v4, v3, 2, 0x60
	s_mov_b32 s1, 0
.LBB313_100:                            ; =>This Inner Loop Header: Depth=1
	ds_load_b32 v5, v4
	v_add_nc_u32_e32 v3, 0x80, v3
	s_delay_alu instid0(VALU_DEP_1)
	v_cmp_le_i32_e32 vcc_lo, s11, v3
	s_or_b32 s1, vcc_lo, s1
	s_wait_dscnt 0x0
	v_mul_f32_e32 v5, v2, v5
	ds_store_b32 v4, v5
	v_add_nc_u32_e32 v4, 0x200, v4
	s_and_not1_b32 exec_lo, exec_lo, s1
	s_cbranch_execnz .LBB313_100
.LBB313_101:
	s_or_b32 exec_lo, exec_lo, s0
	v_mov_b32_e32 v19, 0
	s_wait_dscnt 0x0
	s_barrier_signal -1
	s_barrier_wait -1
	s_and_saveexec_b32 s24, s2
	s_cbranch_execz .LBB313_171
; %bb.102:
	s_load_b32 s6, s[6:7], 0x0
	v_dual_mov_b32 v11, 0 :: v_dual_lshlrev_b32 v10, 3, v18
	s_ashr_i32 s11, s10, 31
	v_lshl_or_b32 v20, v1, 3, 7
	s_wait_kmcnt 0x0
	s_add_nc_u64 s[0:1], s[18:19], s[10:11]
	v_lshl_add_u32 v21, v1, 5, 0x60
	v_add_nc_u64_e32 v[12:13], s[0:1], v[10:11]
	v_and_b32_e32 v10, 0x7c, v14
	s_lshl_b64 s[0:1], s[14:15], 2
	v_bfrev_b32_e32 v22, 1
	s_add_nc_u64 s[0:1], s[16:17], s[0:1]
	v_dual_mov_b32 v23, v1 :: v_dual_mov_b32 v19, 0
	v_add_nc_u64_e32 v[14:15], s[0:1], v[10:11]
	s_mov_b64 s[2:3], 0x100000000000000
	s_mov_b32 s7, s9
	s_add_co_i32 s10, s13, -1
	s_mov_b32 s9, 0
	s_branch .LBB313_104
.LBB313_103:                            ;   in Loop: Header=BB313_104 Depth=1
	s_or_b32 exec_lo, exec_lo, s0
	s_wait_dscnt 0x1
	v_cvt_pk_bf16_f32 v6, v6, v7
	v_cvt_pk_bf16_f32 v7, v8, v9
	s_wait_dscnt 0x0
	v_cvt_pk_bf16_f32 v2, v2, v3
	v_perm_b32 v3, v25, v28, 0x5040100
	v_cvt_pk_bf16_f32 v4, v4, v5
	v_perm_b32 v5, v27, v26, 0x5040100
	v_perm_b32 v8, v10, v16, 0x5040100
	;; [unrolled: 1-line block ×3, first 2 shown]
	v_pk_mul_bf16 v6, v6, v3
	v_add_nc_u64_e32 v[14:15], 16, v[14:15]
	v_pk_mul_bf16 v7, v7, v5
	v_pk_mul_bf16 v8, v2, v8
	;; [unrolled: 1-line block ×3, first 2 shown]
	v_and_b32_e32 v3, 0xffff0000, v6
	s_delay_alu instid0(VALU_DEP_4) | instskip(SKIP_4) | instid1(VALU_DEP_4)
	v_dual_lshlrev_b32 v5, 16, v6 :: v_dual_lshlrev_b32 v4, 16, v7
	v_and_b32_e32 v2, 0xffff0000, v7
	v_and_b32_e32 v7, 0xffff0000, v8
	v_dual_lshlrev_b32 v9, 16, v8 :: v_dual_lshlrev_b32 v8, 16, v10
	v_and_b32_e32 v6, 0xffff0000, v10
	v_pk_add_f32 v[2:3], v[4:5], v[2:3]
	v_dual_add_nc_u32 v20, 32, v20 :: v_dual_add_nc_u32 v23, 4, v23
	v_add_nc_u32_e32 v21, 0x80, v21
	s_delay_alu instid0(VALU_DEP_4) | instskip(NEXT) | instid1(VALU_DEP_4)
	v_pk_add_f32 v[4:5], v[8:9], v[6:7]
	v_add_f32_e32 v2, v2, v3
	s_delay_alu instid0(VALU_DEP_4) | instskip(NEXT) | instid1(VALU_DEP_2)
	v_cmp_le_i32_e32 vcc_lo, s13, v23
	v_add_f32_e32 v2, v5, v2
	s_or_b32 s9, vcc_lo, s9
	s_delay_alu instid0(VALU_DEP_1) | instskip(NEXT) | instid1(VALU_DEP_1)
	v_add_f32_e32 v2, v4, v2
	v_add_f32_e32 v19, v19, v2
	s_and_not1_b32 exec_lo, exec_lo, s9
	s_cbranch_execz .LBB313_170
.LBB313_104:                            ; =>This Inner Loop Header: Depth=1
	global_load_b32 v2, v[14:15], off
	s_mov_b32 s1, 0
	s_mov_b32 s0, exec_lo
	s_wait_loadcnt 0x0
	v_mad_nc_i64_i32 v[2:3], v2, s7, v[12:13]
	global_load_b64 v[16:17], v[2:3], off
	ds_load_2addr_b64 v[6:9], v21 offset1:1
	s_wait_xcnt 0x0
	ds_load_2addr_b64 v[2:5], v21 offset0:2 offset1:3
	s_wait_loadcnt 0x0
	v_and_b32_e32 v10, 0xff, v16
	s_delay_alu instid0(VALU_DEP_1)
	v_cmpx_lt_i16_e32 0x7f, v10
	s_xor_b32 s0, exec_lo, s0
	s_cbranch_execnz .LBB313_107
; %bb.105:                              ;   in Loop: Header=BB313_104 Depth=1
	s_or_saveexec_b32 s0, s0
	v_bfrev_b32_e32 v24, 1
	s_xor_b32 exec_lo, exec_lo, s0
	s_cbranch_execnz .LBB313_110
.LBB313_106:                            ;   in Loop: Header=BB313_104 Depth=1
	s_or_b32 exec_lo, exec_lo, s0
	s_and_saveexec_b32 s0, s1
	s_cbranch_execnz .LBB313_111
	s_branch .LBB313_114
.LBB313_107:                            ;   in Loop: Header=BB313_104 Depth=1
	s_mov_b32 s1, -1
	s_mov_b32 s11, exec_lo
	v_cmpx_eq_u16_e32 0x80, v10
; %bb.108:                              ;   in Loop: Header=BB313_104 Depth=1
	s_xor_b32 s1, exec_lo, -1
; %bb.109:                              ;   in Loop: Header=BB313_104 Depth=1
	s_or_b32 exec_lo, exec_lo, s11
	s_delay_alu instid0(SALU_CYCLE_1)
	s_and_b32 s1, s1, exec_lo
                                        ; implicit-def: $vgpr10
	s_or_saveexec_b32 s0, s0
	v_bfrev_b32_e32 v24, 1
	s_xor_b32 exec_lo, exec_lo, s0
	s_cbranch_execz .LBB313_106
.LBB313_110:                            ;   in Loop: Header=BB313_104 Depth=1
	v_cmp_ne_u16_e32 vcc_lo, 0, v10
	v_mov_b32_e32 v24, 0
	s_and_not1_b32 s1, s1, exec_lo
	s_and_b32 s11, vcc_lo, exec_lo
	s_delay_alu instid0(SALU_CYCLE_1)
	s_or_b32 s1, s1, s11
	s_or_b32 exec_lo, exec_lo, s0
	s_and_saveexec_b32 s0, s1
	s_cbranch_execz .LBB313_114
.LBB313_111:                            ;   in Loop: Header=BB313_104 Depth=1
	v_and_b32_e32 v10, 0x7f, v16
	v_mov_b32_e32 v24, 0x7f800001
	s_mov_b32 s1, exec_lo
	s_delay_alu instid0(VALU_DEP_2)
	v_cmpx_ne_u32_e32 0x7f, v10
	s_cbranch_execz .LBB313_113
; %bb.112:                              ;   in Loop: Header=BB313_104 Depth=1
	v_dual_lshrrev_b32 v25, 3, v10 :: v_dual_bitop2_b32 v24, 7, v16 bitop3:0x40
	v_cmp_gt_u32_e32 vcc_lo, 8, v10
	s_delay_alu instid0(VALU_DEP_2) | instskip(NEXT) | instid1(VALU_DEP_1)
	v_clz_i32_u32_e32 v24, v24
	v_min_u32_e32 v24, 32, v24
	s_delay_alu instid0(VALU_DEP_1) | instskip(SKIP_1) | instid1(VALU_DEP_1)
	v_subrev_nc_u32_e32 v26, 28, v24
	v_sub_nc_u32_e32 v24, 29, v24
	v_dual_cndmask_b32 v10, v25, v24, vcc_lo :: v_dual_cndmask_b32 v24, 0, v26, vcc_lo
	s_delay_alu instid0(VALU_DEP_1) | instskip(NEXT) | instid1(VALU_DEP_2)
	v_lshl_add_u32 v10, v10, 23, 0x3c000000
	v_lshlrev_b64_e32 v[24:25], v24, v[16:17]
	v_lshlrev_b32_e32 v25, 24, v16
	s_delay_alu instid0(VALU_DEP_1) | instskip(NEXT) | instid1(VALU_DEP_3)
	v_and_b32_e32 v25, 0x80000000, v25
	v_lshlrev_b32_e32 v24, 20, v24
	s_delay_alu instid0(VALU_DEP_1) | instskip(NEXT) | instid1(VALU_DEP_1)
	v_and_b32_e32 v24, 0x700000, v24
	v_or3_b32 v24, v24, v25, v10
.LBB313_113:                            ;   in Loop: Header=BB313_104 Depth=1
	s_or_b32 exec_lo, exec_lo, s1
.LBB313_114:                            ;   in Loop: Header=BB313_104 Depth=1
	s_delay_alu instid0(SALU_CYCLE_1) | instskip(SKIP_3) | instid1(VALU_DEP_1)
	s_or_b32 exec_lo, exec_lo, s0
	v_lshrrev_b16 v26, 8, v16
	s_mov_b32 s1, 0
	s_mov_b32 s0, exec_lo
	v_cmpx_lt_i16_e32 0x7f, v26
	s_xor_b32 s0, exec_lo, s0
	s_cbranch_execnz .LBB313_117
; %bb.115:                              ;   in Loop: Header=BB313_104 Depth=1
	s_or_saveexec_b32 s0, s0
	v_bfrev_b32_e32 v25, 1
	s_xor_b32 exec_lo, exec_lo, s0
	s_cbranch_execnz .LBB313_120
.LBB313_116:                            ;   in Loop: Header=BB313_104 Depth=1
	s_or_b32 exec_lo, exec_lo, s0
	s_and_saveexec_b32 s0, s1
	s_cbranch_execnz .LBB313_121
	s_branch .LBB313_124
.LBB313_117:                            ;   in Loop: Header=BB313_104 Depth=1
	s_mov_b32 s1, -1
	s_mov_b32 s11, exec_lo
	v_cmpx_eq_u16_e32 0x80, v26
; %bb.118:                              ;   in Loop: Header=BB313_104 Depth=1
	s_xor_b32 s1, exec_lo, -1
; %bb.119:                              ;   in Loop: Header=BB313_104 Depth=1
	s_or_b32 exec_lo, exec_lo, s11
	s_delay_alu instid0(SALU_CYCLE_1)
	s_and_b32 s1, s1, exec_lo
	s_or_saveexec_b32 s0, s0
	v_bfrev_b32_e32 v25, 1
	s_xor_b32 exec_lo, exec_lo, s0
	s_cbranch_execz .LBB313_116
.LBB313_120:                            ;   in Loop: Header=BB313_104 Depth=1
	v_cmp_ne_u16_e32 vcc_lo, 0, v26
	v_mov_b32_e32 v25, 0
	s_and_not1_b32 s1, s1, exec_lo
	s_and_b32 s11, vcc_lo, exec_lo
	s_delay_alu instid0(SALU_CYCLE_1)
	s_or_b32 s1, s1, s11
	s_or_b32 exec_lo, exec_lo, s0
	s_and_saveexec_b32 s0, s1
	s_cbranch_execz .LBB313_124
.LBB313_121:                            ;   in Loop: Header=BB313_104 Depth=1
	v_and_b32_e32 v10, 0xffff, v26
	v_mov_b32_e32 v25, 0x7f800001
	s_mov_b32 s1, exec_lo
	s_delay_alu instid0(VALU_DEP_2) | instskip(NEXT) | instid1(VALU_DEP_1)
	v_and_b32_e32 v27, 0x7f, v10
	v_cmpx_ne_u32_e32 0x7f, v27
	s_cbranch_execz .LBB313_123
; %bb.122:                              ;   in Loop: Header=BB313_104 Depth=1
	v_and_b32_e32 v25, 7, v10
	v_cmp_gt_u32_e32 vcc_lo, 8, v27
	s_delay_alu instid0(VALU_DEP_2) | instskip(NEXT) | instid1(VALU_DEP_1)
	v_clz_i32_u32_e32 v28, v25
	v_min_u32_e32 v30, 32, v28
	s_delay_alu instid0(VALU_DEP_1) | instskip(NEXT) | instid1(VALU_DEP_1)
	v_subrev_nc_u32_e32 v28, 28, v30
	v_lshlrev_b64_e32 v[28:29], v28, v[10:11]
	v_dual_lshrrev_b32 v10, 3, v27 :: v_dual_sub_nc_u32 v29, 29, v30
	s_delay_alu instid0(VALU_DEP_2) | instskip(NEXT) | instid1(VALU_DEP_1)
	v_dual_lshlrev_b32 v26, 24, v26 :: v_dual_bitop2_b32 v27, 7, v28 bitop3:0x40
	v_dual_cndmask_b32 v10, v10, v29 :: v_dual_cndmask_b32 v25, v25, v27
	s_delay_alu instid0(VALU_DEP_2) | instskip(NEXT) | instid1(VALU_DEP_2)
	v_and_b32_e32 v26, 0x80000000, v26
	v_lshl_add_u32 v10, v10, 23, 0x3c000000
	s_delay_alu instid0(VALU_DEP_3) | instskip(NEXT) | instid1(VALU_DEP_1)
	v_lshlrev_b32_e32 v25, 20, v25
	v_or3_b32 v25, v25, v26, v10
.LBB313_123:                            ;   in Loop: Header=BB313_104 Depth=1
	s_or_b32 exec_lo, exec_lo, s1
.LBB313_124:                            ;   in Loop: Header=BB313_104 Depth=1
	s_delay_alu instid0(SALU_CYCLE_1) | instskip(SKIP_3) | instid1(VALU_DEP_1)
	s_or_b32 exec_lo, exec_lo, s0
	v_lshrrev_b32_e32 v10, 16, v16
	s_mov_b32 s1, 0
	s_mov_b32 s0, exec_lo
	v_and_b32_e32 v27, 0xff, v10
	s_delay_alu instid0(VALU_DEP_1)
	v_cmpx_lt_i16_e32 0x7f, v27
	s_xor_b32 s0, exec_lo, s0
	s_cbranch_execnz .LBB313_127
; %bb.125:                              ;   in Loop: Header=BB313_104 Depth=1
	s_or_saveexec_b32 s0, s0
	v_bfrev_b32_e32 v26, 1
	s_xor_b32 exec_lo, exec_lo, s0
	s_cbranch_execnz .LBB313_130
.LBB313_126:                            ;   in Loop: Header=BB313_104 Depth=1
	s_or_b32 exec_lo, exec_lo, s0
	s_and_saveexec_b32 s0, s1
	s_cbranch_execnz .LBB313_131
	s_branch .LBB313_134
.LBB313_127:                            ;   in Loop: Header=BB313_104 Depth=1
	s_mov_b32 s1, -1
	s_mov_b32 s11, exec_lo
	v_cmpx_eq_u16_e32 0x80, v27
; %bb.128:                              ;   in Loop: Header=BB313_104 Depth=1
	s_xor_b32 s1, exec_lo, -1
; %bb.129:                              ;   in Loop: Header=BB313_104 Depth=1
	s_or_b32 exec_lo, exec_lo, s11
	s_delay_alu instid0(SALU_CYCLE_1)
	s_and_b32 s1, s1, exec_lo
                                        ; implicit-def: $vgpr27
	s_or_saveexec_b32 s0, s0
	v_bfrev_b32_e32 v26, 1
	s_xor_b32 exec_lo, exec_lo, s0
	s_cbranch_execz .LBB313_126
.LBB313_130:                            ;   in Loop: Header=BB313_104 Depth=1
	v_cmp_ne_u16_e32 vcc_lo, 0, v27
	v_mov_b32_e32 v26, 0
	s_and_not1_b32 s1, s1, exec_lo
	s_and_b32 s11, vcc_lo, exec_lo
	s_delay_alu instid0(SALU_CYCLE_1)
	s_or_b32 s1, s1, s11
	s_or_b32 exec_lo, exec_lo, s0
	s_and_saveexec_b32 s0, s1
	s_cbranch_execz .LBB313_134
.LBB313_131:                            ;   in Loop: Header=BB313_104 Depth=1
	v_and_b32_e32 v27, 0x7f, v10
	v_mov_b32_e32 v26, 0x7f800001
	s_mov_b32 s1, exec_lo
	s_delay_alu instid0(VALU_DEP_2)
	v_cmpx_ne_u32_e32 0x7f, v27
	s_cbranch_execz .LBB313_133
; %bb.132:                              ;   in Loop: Header=BB313_104 Depth=1
	v_and_b32_e32 v26, 7, v10
	v_cmp_gt_u32_e32 vcc_lo, 8, v27
	s_delay_alu instid0(VALU_DEP_2) | instskip(NEXT) | instid1(VALU_DEP_1)
	v_clz_i32_u32_e32 v28, v26
	v_min_u32_e32 v30, 32, v28
	s_delay_alu instid0(VALU_DEP_1) | instskip(NEXT) | instid1(VALU_DEP_1)
	v_subrev_nc_u32_e32 v28, 28, v30
	v_lshlrev_b64_e32 v[28:29], v28, v[10:11]
	v_dual_lshrrev_b32 v29, 3, v27 :: v_dual_sub_nc_u32 v30, 29, v30
	s_delay_alu instid0(VALU_DEP_2) | instskip(NEXT) | instid1(VALU_DEP_1)
	v_dual_lshlrev_b32 v10, 24, v10 :: v_dual_bitop2_b32 v27, 7, v28 bitop3:0x40
	v_dual_cndmask_b32 v28, v29, v30, vcc_lo :: v_dual_cndmask_b32 v26, v26, v27, vcc_lo
	s_delay_alu instid0(VALU_DEP_2) | instskip(NEXT) | instid1(VALU_DEP_2)
	v_and_b32_e32 v10, 0x80000000, v10
	v_lshl_add_u32 v27, v28, 23, 0x3c000000
	s_delay_alu instid0(VALU_DEP_3) | instskip(NEXT) | instid1(VALU_DEP_1)
	v_lshlrev_b32_e32 v26, 20, v26
	v_or3_b32 v26, v26, v10, v27
.LBB313_133:                            ;   in Loop: Header=BB313_104 Depth=1
	s_or_b32 exec_lo, exec_lo, s1
.LBB313_134:                            ;   in Loop: Header=BB313_104 Depth=1
	s_delay_alu instid0(SALU_CYCLE_1) | instskip(SKIP_3) | instid1(VALU_DEP_3)
	s_or_b32 exec_lo, exec_lo, s0
	v_lshrrev_b32_e32 v10, 24, v16
	v_bfe_u32 v28, v16, 24, 7
	v_cmp_gt_u32_e64 s1, 0x1000000, v16
	v_cmp_eq_u32_e32 vcc_lo, 0x80, v10
	s_delay_alu instid0(VALU_DEP_3) | instskip(SKIP_2) | instid1(VALU_DEP_1)
	v_cmp_eq_u32_e64 s0, 0x7f, v28
	v_cndmask_b32_e32 v27, 0x7f800001, v22, vcc_lo
	s_or_b32 s0, vcc_lo, s0
	v_cndmask_b32_e64 v27, v27, 0, s1
	s_nor_b32 s1, s1, s0
	s_delay_alu instid0(SALU_CYCLE_1)
	s_and_saveexec_b32 s0, s1
	s_cbranch_execz .LBB313_136
; %bb.135:                              ;   in Loop: Header=BB313_104 Depth=1
	v_and_b32_e32 v27, 7, v10
	v_cmp_gt_u32_e32 vcc_lo, 8, v28
	s_delay_alu instid0(VALU_DEP_2) | instskip(NEXT) | instid1(VALU_DEP_1)
	v_clz_i32_u32_e32 v29, v27
	v_min_u32_e32 v29, 32, v29
	s_delay_alu instid0(VALU_DEP_1) | instskip(NEXT) | instid1(VALU_DEP_1)
	v_subrev_nc_u32_e32 v30, 28, v29
	v_lshlrev_b64_e32 v[30:31], v30, v[10:11]
	v_dual_lshrrev_b32 v31, 3, v28 :: v_dual_sub_nc_u32 v29, 29, v29
	s_delay_alu instid0(VALU_DEP_2) | instskip(NEXT) | instid1(VALU_DEP_2)
	v_and_b32_e32 v28, 7, v30
	v_dual_cndmask_b32 v29, v31, v29 :: v_dual_lshlrev_b32 v10, 24, v10
	s_delay_alu instid0(VALU_DEP_2) | instskip(NEXT) | instid1(VALU_DEP_2)
	v_cndmask_b32_e32 v27, v27, v28, vcc_lo
	v_and_b32_e32 v10, 0x80000000, v10
	s_delay_alu instid0(VALU_DEP_3) | instskip(NEXT) | instid1(VALU_DEP_3)
	v_lshl_add_u32 v28, v29, 23, 0x3c000000
	v_lshlrev_b32_e32 v27, 20, v27
	s_delay_alu instid0(VALU_DEP_1)
	v_or3_b32 v27, v27, v10, v28
.LBB313_136:                            ;   in Loop: Header=BB313_104 Depth=1
	s_or_b32 exec_lo, exec_lo, s0
	v_and_b32_e32 v29, 0xff, v17
	v_mov_b32_e32 v10, v17
	s_mov_b32 s1, 0
	s_mov_b32 s0, exec_lo
	s_delay_alu instid0(VALU_DEP_2)
	v_cmpx_lt_i16_e32 0x7f, v29
	s_xor_b32 s0, exec_lo, s0
	s_cbranch_execnz .LBB313_139
; %bb.137:                              ;   in Loop: Header=BB313_104 Depth=1
	s_or_saveexec_b32 s0, s0
	v_bfrev_b32_e32 v28, 1
	s_xor_b32 exec_lo, exec_lo, s0
	s_cbranch_execnz .LBB313_142
.LBB313_138:                            ;   in Loop: Header=BB313_104 Depth=1
	s_or_b32 exec_lo, exec_lo, s0
	s_and_saveexec_b32 s0, s1
	s_cbranch_execnz .LBB313_143
	s_branch .LBB313_146
.LBB313_139:                            ;   in Loop: Header=BB313_104 Depth=1
	s_mov_b32 s1, -1
	s_mov_b32 s11, exec_lo
	v_cmpx_eq_u16_e32 0x80, v29
; %bb.140:                              ;   in Loop: Header=BB313_104 Depth=1
	s_xor_b32 s1, exec_lo, -1
; %bb.141:                              ;   in Loop: Header=BB313_104 Depth=1
	s_or_b32 exec_lo, exec_lo, s11
	s_delay_alu instid0(SALU_CYCLE_1)
	s_and_b32 s1, s1, exec_lo
                                        ; implicit-def: $vgpr29
	s_or_saveexec_b32 s0, s0
	v_bfrev_b32_e32 v28, 1
	s_xor_b32 exec_lo, exec_lo, s0
	s_cbranch_execz .LBB313_138
.LBB313_142:                            ;   in Loop: Header=BB313_104 Depth=1
	v_cmp_ne_u16_e32 vcc_lo, 0, v29
	v_mov_b32_e32 v28, 0
	s_and_not1_b32 s1, s1, exec_lo
	s_and_b32 s11, vcc_lo, exec_lo
	s_delay_alu instid0(SALU_CYCLE_1)
	s_or_b32 s1, s1, s11
	s_or_b32 exec_lo, exec_lo, s0
	s_and_saveexec_b32 s0, s1
	s_cbranch_execz .LBB313_146
.LBB313_143:                            ;   in Loop: Header=BB313_104 Depth=1
	v_and_b32_e32 v29, 0x7f, v17
	v_mov_b32_e32 v28, 0x7f800001
	s_mov_b32 s1, exec_lo
	s_delay_alu instid0(VALU_DEP_2)
	v_cmpx_ne_u32_e32 0x7f, v29
	s_cbranch_execz .LBB313_145
; %bb.144:                              ;   in Loop: Header=BB313_104 Depth=1
	v_and_b32_e32 v28, 7, v17
	v_cmp_gt_u32_e32 vcc_lo, 8, v29
	s_delay_alu instid0(VALU_DEP_2) | instskip(NEXT) | instid1(VALU_DEP_1)
	v_clz_i32_u32_e32 v28, v28
	v_min_u32_e32 v28, 32, v28
	v_lshrrev_b32_e32 v30, 3, v29
	s_delay_alu instid0(VALU_DEP_2) | instskip(SKIP_1) | instid1(VALU_DEP_1)
	v_subrev_nc_u32_e32 v31, 28, v28
	v_sub_nc_u32_e32 v28, 29, v28
	v_dual_cndmask_b32 v30, v30, v28, vcc_lo :: v_dual_cndmask_b32 v28, 0, v31, vcc_lo
	s_delay_alu instid0(VALU_DEP_1) | instskip(NEXT) | instid1(VALU_DEP_2)
	v_lshl_add_u32 v30, v30, 23, 0x3c000000
	v_lshlrev_b64_e32 v[28:29], v28, v[10:11]
	v_lshlrev_b32_e32 v29, 24, v10
	s_delay_alu instid0(VALU_DEP_1) | instskip(NEXT) | instid1(VALU_DEP_3)
	v_and_b32_e32 v29, 0x80000000, v29
	v_lshlrev_b32_e32 v28, 20, v28
	s_delay_alu instid0(VALU_DEP_1) | instskip(NEXT) | instid1(VALU_DEP_1)
	v_and_b32_e32 v28, 0x700000, v28
	v_or3_b32 v28, v28, v29, v30
.LBB313_145:                            ;   in Loop: Header=BB313_104 Depth=1
	s_or_b32 exec_lo, exec_lo, s1
.LBB313_146:                            ;   in Loop: Header=BB313_104 Depth=1
	s_delay_alu instid0(SALU_CYCLE_1) | instskip(SKIP_3) | instid1(VALU_DEP_1)
	s_or_b32 exec_lo, exec_lo, s0
	v_lshrrev_b16 v30, 8, v10
	s_mov_b32 s1, 0
	s_mov_b32 s0, exec_lo
	v_cmpx_lt_i16_e32 0x7f, v30
	s_xor_b32 s0, exec_lo, s0
	s_cbranch_execnz .LBB313_149
; %bb.147:                              ;   in Loop: Header=BB313_104 Depth=1
	s_or_saveexec_b32 s0, s0
	v_bfrev_b32_e32 v29, 1
	s_xor_b32 exec_lo, exec_lo, s0
	s_cbranch_execnz .LBB313_152
.LBB313_148:                            ;   in Loop: Header=BB313_104 Depth=1
	s_or_b32 exec_lo, exec_lo, s0
	s_and_saveexec_b32 s0, s1
	s_cbranch_execnz .LBB313_153
	s_branch .LBB313_156
.LBB313_149:                            ;   in Loop: Header=BB313_104 Depth=1
	s_mov_b32 s1, -1
	s_mov_b32 s11, exec_lo
	v_cmpx_eq_u16_e32 0x80, v30
; %bb.150:                              ;   in Loop: Header=BB313_104 Depth=1
	s_xor_b32 s1, exec_lo, -1
; %bb.151:                              ;   in Loop: Header=BB313_104 Depth=1
	s_or_b32 exec_lo, exec_lo, s11
	s_delay_alu instid0(SALU_CYCLE_1)
	s_and_b32 s1, s1, exec_lo
	s_or_saveexec_b32 s0, s0
	v_bfrev_b32_e32 v29, 1
	s_xor_b32 exec_lo, exec_lo, s0
	s_cbranch_execz .LBB313_148
.LBB313_152:                            ;   in Loop: Header=BB313_104 Depth=1
	v_cmp_ne_u16_e32 vcc_lo, 0, v30
	v_mov_b32_e32 v29, 0
	s_and_not1_b32 s1, s1, exec_lo
	s_and_b32 s11, vcc_lo, exec_lo
	s_delay_alu instid0(SALU_CYCLE_1)
	s_or_b32 s1, s1, s11
	s_or_b32 exec_lo, exec_lo, s0
	s_and_saveexec_b32 s0, s1
	s_cbranch_execz .LBB313_156
.LBB313_153:                            ;   in Loop: Header=BB313_104 Depth=1
	v_and_b32_e32 v10, 0xffff, v30
	v_mov_b32_e32 v29, 0x7f800001
	s_mov_b32 s1, exec_lo
	s_delay_alu instid0(VALU_DEP_2) | instskip(NEXT) | instid1(VALU_DEP_1)
	v_and_b32_e32 v31, 0x7f, v10
	v_cmpx_ne_u32_e32 0x7f, v31
	s_cbranch_execz .LBB313_155
; %bb.154:                              ;   in Loop: Header=BB313_104 Depth=1
	v_and_b32_e32 v29, 7, v10
	v_cmp_gt_u32_e32 vcc_lo, 8, v31
	s_delay_alu instid0(VALU_DEP_2) | instskip(NEXT) | instid1(VALU_DEP_1)
	v_clz_i32_u32_e32 v32, v29
	v_min_u32_e32 v34, 32, v32
	s_delay_alu instid0(VALU_DEP_1) | instskip(NEXT) | instid1(VALU_DEP_1)
	v_subrev_nc_u32_e32 v32, 28, v34
	v_lshlrev_b64_e32 v[32:33], v32, v[10:11]
	v_dual_lshrrev_b32 v10, 3, v31 :: v_dual_sub_nc_u32 v33, 29, v34
	s_delay_alu instid0(VALU_DEP_2) | instskip(NEXT) | instid1(VALU_DEP_1)
	v_dual_lshlrev_b32 v30, 24, v30 :: v_dual_bitop2_b32 v31, 7, v32 bitop3:0x40
	v_dual_cndmask_b32 v10, v10, v33 :: v_dual_cndmask_b32 v29, v29, v31
	s_delay_alu instid0(VALU_DEP_2) | instskip(NEXT) | instid1(VALU_DEP_2)
	v_and_b32_e32 v30, 0x80000000, v30
	v_lshl_add_u32 v10, v10, 23, 0x3c000000
	s_delay_alu instid0(VALU_DEP_3) | instskip(NEXT) | instid1(VALU_DEP_1)
	v_lshlrev_b32_e32 v29, 20, v29
	v_or3_b32 v29, v29, v30, v10
.LBB313_155:                            ;   in Loop: Header=BB313_104 Depth=1
	s_or_b32 exec_lo, exec_lo, s1
.LBB313_156:                            ;   in Loop: Header=BB313_104 Depth=1
	s_delay_alu instid0(SALU_CYCLE_1) | instskip(SKIP_3) | instid1(VALU_DEP_1)
	s_or_b32 exec_lo, exec_lo, s0
	v_lshrrev_b32_e32 v10, 16, v17
	s_mov_b32 s1, 0
	s_mov_b32 s0, exec_lo
	v_and_b32_e32 v31, 0xff, v10
	s_delay_alu instid0(VALU_DEP_1)
	v_cmpx_lt_i16_e32 0x7f, v31
	s_xor_b32 s0, exec_lo, s0
	s_cbranch_execnz .LBB313_159
; %bb.157:                              ;   in Loop: Header=BB313_104 Depth=1
	s_or_saveexec_b32 s0, s0
	v_bfrev_b32_e32 v30, 1
	s_xor_b32 exec_lo, exec_lo, s0
	s_cbranch_execnz .LBB313_162
.LBB313_158:                            ;   in Loop: Header=BB313_104 Depth=1
	s_or_b32 exec_lo, exec_lo, s0
	s_and_saveexec_b32 s0, s1
	s_cbranch_execnz .LBB313_163
	s_branch .LBB313_166
.LBB313_159:                            ;   in Loop: Header=BB313_104 Depth=1
	s_mov_b32 s1, -1
	s_mov_b32 s11, exec_lo
	v_cmpx_eq_u16_e32 0x80, v31
; %bb.160:                              ;   in Loop: Header=BB313_104 Depth=1
	s_xor_b32 s1, exec_lo, -1
; %bb.161:                              ;   in Loop: Header=BB313_104 Depth=1
	s_or_b32 exec_lo, exec_lo, s11
	s_delay_alu instid0(SALU_CYCLE_1)
	s_and_b32 s1, s1, exec_lo
                                        ; implicit-def: $vgpr31
	s_or_saveexec_b32 s0, s0
	v_bfrev_b32_e32 v30, 1
	s_xor_b32 exec_lo, exec_lo, s0
	s_cbranch_execz .LBB313_158
.LBB313_162:                            ;   in Loop: Header=BB313_104 Depth=1
	v_cmp_ne_u16_e32 vcc_lo, 0, v31
	v_mov_b32_e32 v30, 0
	s_and_not1_b32 s1, s1, exec_lo
	s_and_b32 s11, vcc_lo, exec_lo
	s_delay_alu instid0(SALU_CYCLE_1)
	s_or_b32 s1, s1, s11
	s_or_b32 exec_lo, exec_lo, s0
	s_and_saveexec_b32 s0, s1
	s_cbranch_execz .LBB313_166
.LBB313_163:                            ;   in Loop: Header=BB313_104 Depth=1
	v_and_b32_e32 v31, 0x7f, v10
	v_mov_b32_e32 v30, 0x7f800001
	s_mov_b32 s1, exec_lo
	s_delay_alu instid0(VALU_DEP_2)
	v_cmpx_ne_u32_e32 0x7f, v31
	s_cbranch_execz .LBB313_165
; %bb.164:                              ;   in Loop: Header=BB313_104 Depth=1
	v_and_b32_e32 v30, 7, v10
	v_cmp_gt_u32_e32 vcc_lo, 8, v31
	s_delay_alu instid0(VALU_DEP_2) | instskip(NEXT) | instid1(VALU_DEP_1)
	v_clz_i32_u32_e32 v32, v30
	v_min_u32_e32 v34, 32, v32
	s_delay_alu instid0(VALU_DEP_1) | instskip(NEXT) | instid1(VALU_DEP_1)
	v_subrev_nc_u32_e32 v32, 28, v34
	v_lshlrev_b64_e32 v[32:33], v32, v[10:11]
	v_dual_lshrrev_b32 v33, 3, v31 :: v_dual_sub_nc_u32 v34, 29, v34
	s_delay_alu instid0(VALU_DEP_2) | instskip(NEXT) | instid1(VALU_DEP_1)
	v_dual_lshlrev_b32 v10, 24, v10 :: v_dual_bitop2_b32 v31, 7, v32 bitop3:0x40
	v_dual_cndmask_b32 v32, v33, v34, vcc_lo :: v_dual_cndmask_b32 v30, v30, v31, vcc_lo
	s_delay_alu instid0(VALU_DEP_2) | instskip(NEXT) | instid1(VALU_DEP_2)
	v_and_b32_e32 v10, 0x80000000, v10
	v_lshl_add_u32 v31, v32, 23, 0x3c000000
	s_delay_alu instid0(VALU_DEP_3) | instskip(NEXT) | instid1(VALU_DEP_1)
	v_lshlrev_b32_e32 v30, 20, v30
	v_or3_b32 v30, v30, v10, v31
.LBB313_165:                            ;   in Loop: Header=BB313_104 Depth=1
	s_or_b32 exec_lo, exec_lo, s1
.LBB313_166:                            ;   in Loop: Header=BB313_104 Depth=1
	s_delay_alu instid0(SALU_CYCLE_1) | instskip(SKIP_3) | instid1(VALU_DEP_3)
	s_or_b32 exec_lo, exec_lo, s0
	v_lshrrev_b32_e32 v10, 24, v17
	v_bfe_u32 v31, v17, 24, 7
	v_cmp_gt_u64_e64 s1, s[2:3], v[16:17]
	v_cmp_eq_u32_e64 s0, 0x80, v10
	s_delay_alu instid0(VALU_DEP_3) | instskip(NEXT) | instid1(VALU_DEP_2)
	v_cmp_eq_u32_e32 vcc_lo, 0x7f, v31
	v_cndmask_b32_e64 v32, 0x7f800001, v22, s0
	s_or_b32 s0, s0, vcc_lo
	s_delay_alu instid0(VALU_DEP_1) | instskip(SKIP_1) | instid1(SALU_CYCLE_1)
	v_cndmask_b32_e64 v32, v32, 0, s1
	s_nor_b32 s1, s1, s0
	s_and_saveexec_b32 s0, s1
	s_cbranch_execz .LBB313_168
; %bb.167:                              ;   in Loop: Header=BB313_104 Depth=1
	v_and_b32_e32 v32, 7, v10
	v_cmp_gt_u32_e32 vcc_lo, 8, v31
	s_delay_alu instid0(VALU_DEP_2) | instskip(NEXT) | instid1(VALU_DEP_1)
	v_clz_i32_u32_e32 v16, v32
	v_min_u32_e32 v33, 32, v16
	s_delay_alu instid0(VALU_DEP_1) | instskip(NEXT) | instid1(VALU_DEP_1)
	v_subrev_nc_u32_e32 v16, 28, v33
	v_lshlrev_b64_e32 v[16:17], v16, v[10:11]
	v_dual_lshrrev_b32 v17, 3, v31 :: v_dual_sub_nc_u32 v33, 29, v33
	s_delay_alu instid0(VALU_DEP_2) | instskip(NEXT) | instid1(VALU_DEP_1)
	v_dual_lshlrev_b32 v10, 24, v10 :: v_dual_bitop2_b32 v16, 7, v16 bitop3:0x40
	v_dual_cndmask_b32 v17, v17, v33 :: v_dual_cndmask_b32 v16, v32, v16
	s_delay_alu instid0(VALU_DEP_2) | instskip(NEXT) | instid1(VALU_DEP_2)
	v_and_b32_e32 v10, 0x80000000, v10
	v_lshl_add_u32 v17, v17, 23, 0x3c000000
	s_delay_alu instid0(VALU_DEP_3) | instskip(NEXT) | instid1(VALU_DEP_1)
	v_lshlrev_b32_e32 v16, 20, v16
	v_or3_b32 v32, v16, v10, v17
.LBB313_168:                            ;   in Loop: Header=BB313_104 Depth=1
	s_or_b32 exec_lo, exec_lo, s0
	v_fma_mixlo_bf16 v10, s6, v29, 0
	v_fma_mixlo_bf16 v16, s6, v28, 0
	;; [unrolled: 1-line block ×8, first 2 shown]
	s_mov_b32 s0, exec_lo
	v_cmpx_eq_u32_e64 s10, v23
	s_cbranch_execz .LBB313_103
; %bb.169:                              ;   in Loop: Header=BB313_104 Depth=1
	v_dual_add_nc_u32 v29, -7, v20 :: v_dual_add_nc_u32 v30, -6, v20
	s_delay_alu instid0(VALU_DEP_1) | instskip(SKIP_2) | instid1(VALU_DEP_4)
	v_cmp_gt_i32_e32 vcc_lo, s23, v29
	v_add_nc_u32_e32 v29, -4, v20
	v_cndmask_b32_e32 v28, 0, v28, vcc_lo
	v_cmp_gt_i32_e32 vcc_lo, s23, v30
	v_dual_add_nc_u32 v31, -5, v20 :: v_dual_add_nc_u32 v30, -3, v20
	v_cndmask_b32_e32 v25, 0, v25, vcc_lo
	s_delay_alu instid0(VALU_DEP_2)
	v_cmp_gt_i32_e32 vcc_lo, s23, v31
	v_cndmask_b32_e32 v26, 0, v26, vcc_lo
	v_cmp_gt_i32_e32 vcc_lo, s23, v29
	v_dual_add_nc_u32 v31, -2, v20 :: v_dual_cndmask_b32 v27, 0, v27, vcc_lo
	v_cmp_gt_i32_e32 vcc_lo, s23, v30
	v_cndmask_b32_e32 v16, 0, v16, vcc_lo
	s_delay_alu instid0(VALU_DEP_3) | instskip(SKIP_1) | instid1(VALU_DEP_1)
	v_cmp_gt_i32_e32 vcc_lo, s23, v31
	v_dual_cndmask_b32 v10, 0, v10 :: v_dual_add_nc_u32 v29, -1, v20
	v_cmp_gt_i32_e32 vcc_lo, s23, v29
	v_cndmask_b32_e32 v17, 0, v17, vcc_lo
	v_cmp_gt_i32_e32 vcc_lo, s23, v20
	v_cndmask_b32_e32 v24, 0, v24, vcc_lo
	s_branch .LBB313_103
.LBB313_170:
	s_or_b32 exec_lo, exec_lo, s9
.LBB313_171:
	s_delay_alu instid0(SALU_CYCLE_1)
	s_or_b32 exec_lo, exec_lo, s24
	v_and_b32_e32 v3, 0x3c0, v0
	v_lshl_add_u32 v2, v18, 2, 0x60
	s_mov_b32 s0, exec_lo
	s_barrier_signal -1
	s_barrier_wait -1
	v_cmpx_eq_u32_e32 64, v3
; %bb.172:
	v_lshlrev_b32_e32 v1, 7, v1
	s_delay_alu instid0(VALU_DEP_1)
	v_add3_u32 v1, v2, v1, 0xffffff00
	ds_store_b32 v1, v19
; %bb.173:
	s_or_b32 exec_lo, exec_lo, s0
	v_and_b32_e32 v3, 0x3e0, v0
	s_mov_b32 s0, exec_lo
	s_wait_dscnt 0x0
	s_barrier_signal -1
	s_barrier_wait -1
	v_lshl_add_u32 v1, v3, 2, v2
	v_cmpx_gt_u32_e32 64, v0
	s_cbranch_execz .LBB313_175
; %bb.174:
	ds_load_b32 v4, v1
	s_wait_dscnt 0x0
	v_add_f32_e32 v19, v19, v4
.LBB313_175:
	s_or_b32 exec_lo, exec_lo, s0
	s_delay_alu instid0(SALU_CYCLE_1)
	s_mov_b32 s0, exec_lo
	s_barrier_signal -1
	s_barrier_wait -1
	v_cmpx_eq_u32_e32 32, v3
; %bb.176:
	ds_store_b32 v2, v19
; %bb.177:
	s_or_b32 exec_lo, exec_lo, s0
	v_cmp_gt_u32_e32 vcc_lo, 32, v0
	s_wait_dscnt 0x0
	s_barrier_signal -1
	s_barrier_wait -1
	s_and_saveexec_b32 s0, vcc_lo
	s_cbranch_execz .LBB313_179
; %bb.178:
	ds_load_b32 v0, v1
	s_wait_dscnt 0x0
	v_add_f32_e32 v19, v19, v0
.LBB313_179:
	s_or_b32 exec_lo, exec_lo, s0
	s_barrier_signal -1
	s_barrier_wait -1
	s_and_saveexec_b32 s0, vcc_lo
	s_cbranch_execz .LBB313_181
; %bb.180:
	s_mul_i32 s1, s22, s8
	s_bfe_u32 s7, ttmp6, 0x40014
	s_mul_i32 s1, s1, s21
	s_mul_i32 s0, s8, s12
	s_lshl_b32 s2, s1, 5
	s_lshr_b32 s6, ttmp7, 16
	s_ashr_i32 s3, s2, 31
	s_add_co_i32 s7, s7, 1
	s_lshl_b64 s[2:3], s[2:3], 1
	s_ashr_i32 s1, s0, 31
	s_wait_kmcnt 0x0
	s_add_nc_u64 s[2:3], s[4:5], s[2:3]
	s_mul_i32 s4, s6, s7
	s_bfe_u32 s5, ttmp6, 0x40008
	s_lshl_b64 s[0:1], s[0:1], 1
	s_add_co_i32 s5, s5, s4
	s_cmp_eq_u32 s20, 0
	s_add_nc_u64 s[0:1], s[2:3], s[0:1]
	s_cselect_b32 s2, s6, s5
	v_cvt_pk_bf16_f32 v0, v19, s0
	s_mov_b32 s3, 0
	s_lshl_b32 s2, s2, 6
	s_delay_alu instid0(SALU_CYCLE_1)
	s_add_nc_u64 s[0:1], s[0:1], s[2:3]
	global_store_b16 v18, v0, s[0:1] scale_offset
.LBB313_181:
	s_endpgm
	.section	.rodata,"a",@progbits
	.p2align	6, 0x0
	.amdhsa_kernel _ZN4vllm25paged_attention_v1_kernelI14__hip_bfloat16hLi32ELi8ELi128ELNS_18Fp8KVCacheDataTypeE1ELb0EEEvPT_PKS3_PKT0_S9_ifPKiSB_iPKfiiiSD_SD_iiiii
		.amdhsa_group_segment_fixed_size 96
		.amdhsa_private_segment_fixed_size 0
		.amdhsa_kernarg_size 384
		.amdhsa_user_sgpr_count 2
		.amdhsa_user_sgpr_dispatch_ptr 0
		.amdhsa_user_sgpr_queue_ptr 0
		.amdhsa_user_sgpr_kernarg_segment_ptr 1
		.amdhsa_user_sgpr_dispatch_id 0
		.amdhsa_user_sgpr_kernarg_preload_length 0
		.amdhsa_user_sgpr_kernarg_preload_offset 0
		.amdhsa_user_sgpr_private_segment_size 0
		.amdhsa_wavefront_size32 1
		.amdhsa_uses_dynamic_stack 0
		.amdhsa_enable_private_segment 0
		.amdhsa_system_sgpr_workgroup_id_x 1
		.amdhsa_system_sgpr_workgroup_id_y 1
		.amdhsa_system_sgpr_workgroup_id_z 1
		.amdhsa_system_sgpr_workgroup_info 0
		.amdhsa_system_vgpr_workitem_id 0
		.amdhsa_next_free_vgpr 36
		.amdhsa_next_free_sgpr 31
		.amdhsa_named_barrier_count 0
		.amdhsa_reserve_vcc 1
		.amdhsa_float_round_mode_32 0
		.amdhsa_float_round_mode_16_64 0
		.amdhsa_float_denorm_mode_32 3
		.amdhsa_float_denorm_mode_16_64 3
		.amdhsa_fp16_overflow 0
		.amdhsa_memory_ordered 1
		.amdhsa_forward_progress 1
		.amdhsa_inst_pref_size 63
		.amdhsa_round_robin_scheduling 0
		.amdhsa_exception_fp_ieee_invalid_op 0
		.amdhsa_exception_fp_denorm_src 0
		.amdhsa_exception_fp_ieee_div_zero 0
		.amdhsa_exception_fp_ieee_overflow 0
		.amdhsa_exception_fp_ieee_underflow 0
		.amdhsa_exception_fp_ieee_inexact 0
		.amdhsa_exception_int_div_zero 0
	.end_amdhsa_kernel
	.section	.text._ZN4vllm25paged_attention_v1_kernelI14__hip_bfloat16hLi32ELi8ELi128ELNS_18Fp8KVCacheDataTypeE1ELb0EEEvPT_PKS3_PKT0_S9_ifPKiSB_iPKfiiiSD_SD_iiiii,"axG",@progbits,_ZN4vllm25paged_attention_v1_kernelI14__hip_bfloat16hLi32ELi8ELi128ELNS_18Fp8KVCacheDataTypeE1ELb0EEEvPT_PKS3_PKT0_S9_ifPKiSB_iPKfiiiSD_SD_iiiii,comdat
.Lfunc_end313:
	.size	_ZN4vllm25paged_attention_v1_kernelI14__hip_bfloat16hLi32ELi8ELi128ELNS_18Fp8KVCacheDataTypeE1ELb0EEEvPT_PKS3_PKT0_S9_ifPKiSB_iPKfiiiSD_SD_iiiii, .Lfunc_end313-_ZN4vllm25paged_attention_v1_kernelI14__hip_bfloat16hLi32ELi8ELi128ELNS_18Fp8KVCacheDataTypeE1ELb0EEEvPT_PKS3_PKT0_S9_ifPKiSB_iPKfiiiSD_SD_iiiii
                                        ; -- End function
	.set _ZN4vllm25paged_attention_v1_kernelI14__hip_bfloat16hLi32ELi8ELi128ELNS_18Fp8KVCacheDataTypeE1ELb0EEEvPT_PKS3_PKT0_S9_ifPKiSB_iPKfiiiSD_SD_iiiii.num_vgpr, 36
	.set _ZN4vllm25paged_attention_v1_kernelI14__hip_bfloat16hLi32ELi8ELi128ELNS_18Fp8KVCacheDataTypeE1ELb0EEEvPT_PKS3_PKT0_S9_ifPKiSB_iPKfiiiSD_SD_iiiii.num_agpr, 0
	.set _ZN4vllm25paged_attention_v1_kernelI14__hip_bfloat16hLi32ELi8ELi128ELNS_18Fp8KVCacheDataTypeE1ELb0EEEvPT_PKS3_PKT0_S9_ifPKiSB_iPKfiiiSD_SD_iiiii.numbered_sgpr, 31
	.set _ZN4vllm25paged_attention_v1_kernelI14__hip_bfloat16hLi32ELi8ELi128ELNS_18Fp8KVCacheDataTypeE1ELb0EEEvPT_PKS3_PKT0_S9_ifPKiSB_iPKfiiiSD_SD_iiiii.num_named_barrier, 0
	.set _ZN4vllm25paged_attention_v1_kernelI14__hip_bfloat16hLi32ELi8ELi128ELNS_18Fp8KVCacheDataTypeE1ELb0EEEvPT_PKS3_PKT0_S9_ifPKiSB_iPKfiiiSD_SD_iiiii.private_seg_size, 0
	.set _ZN4vllm25paged_attention_v1_kernelI14__hip_bfloat16hLi32ELi8ELi128ELNS_18Fp8KVCacheDataTypeE1ELb0EEEvPT_PKS3_PKT0_S9_ifPKiSB_iPKfiiiSD_SD_iiiii.uses_vcc, 1
	.set _ZN4vllm25paged_attention_v1_kernelI14__hip_bfloat16hLi32ELi8ELi128ELNS_18Fp8KVCacheDataTypeE1ELb0EEEvPT_PKS3_PKT0_S9_ifPKiSB_iPKfiiiSD_SD_iiiii.uses_flat_scratch, 0
	.set _ZN4vllm25paged_attention_v1_kernelI14__hip_bfloat16hLi32ELi8ELi128ELNS_18Fp8KVCacheDataTypeE1ELb0EEEvPT_PKS3_PKT0_S9_ifPKiSB_iPKfiiiSD_SD_iiiii.has_dyn_sized_stack, 0
	.set _ZN4vllm25paged_attention_v1_kernelI14__hip_bfloat16hLi32ELi8ELi128ELNS_18Fp8KVCacheDataTypeE1ELb0EEEvPT_PKS3_PKT0_S9_ifPKiSB_iPKfiiiSD_SD_iiiii.has_recursion, 0
	.set _ZN4vllm25paged_attention_v1_kernelI14__hip_bfloat16hLi32ELi8ELi128ELNS_18Fp8KVCacheDataTypeE1ELb0EEEvPT_PKS3_PKT0_S9_ifPKiSB_iPKfiiiSD_SD_iiiii.has_indirect_call, 0
	.section	.AMDGPU.csdata,"",@progbits
; Kernel info:
; codeLenInByte = 8012
; TotalNumSgprs: 33
; NumVgprs: 36
; ScratchSize: 0
; MemoryBound: 0
; FloatMode: 240
; IeeeMode: 1
; LDSByteSize: 96 bytes/workgroup (compile time only)
; SGPRBlocks: 0
; VGPRBlocks: 2
; NumSGPRsForWavesPerEU: 33
; NumVGPRsForWavesPerEU: 36
; NamedBarCnt: 0
; Occupancy: 16
; WaveLimiterHint : 1
; COMPUTE_PGM_RSRC2:SCRATCH_EN: 0
; COMPUTE_PGM_RSRC2:USER_SGPR: 2
; COMPUTE_PGM_RSRC2:TRAP_HANDLER: 0
; COMPUTE_PGM_RSRC2:TGID_X_EN: 1
; COMPUTE_PGM_RSRC2:TGID_Y_EN: 1
; COMPUTE_PGM_RSRC2:TGID_Z_EN: 1
; COMPUTE_PGM_RSRC2:TIDIG_COMP_CNT: 0
	.section	.text._ZN4vllm25paged_attention_v1_kernelI14__hip_bfloat16hLi64ELi8ELi128ELNS_18Fp8KVCacheDataTypeE1ELb0EEEvPT_PKS3_PKT0_S9_ifPKiSB_iPKfiiiSD_SD_iiiii,"axG",@progbits,_ZN4vllm25paged_attention_v1_kernelI14__hip_bfloat16hLi64ELi8ELi128ELNS_18Fp8KVCacheDataTypeE1ELb0EEEvPT_PKS3_PKT0_S9_ifPKiSB_iPKfiiiSD_SD_iiiii,comdat
	.protected	_ZN4vllm25paged_attention_v1_kernelI14__hip_bfloat16hLi64ELi8ELi128ELNS_18Fp8KVCacheDataTypeE1ELb0EEEvPT_PKS3_PKT0_S9_ifPKiSB_iPKfiiiSD_SD_iiiii ; -- Begin function _ZN4vllm25paged_attention_v1_kernelI14__hip_bfloat16hLi64ELi8ELi128ELNS_18Fp8KVCacheDataTypeE1ELb0EEEvPT_PKS3_PKT0_S9_ifPKiSB_iPKfiiiSD_SD_iiiii
	.globl	_ZN4vllm25paged_attention_v1_kernelI14__hip_bfloat16hLi64ELi8ELi128ELNS_18Fp8KVCacheDataTypeE1ELb0EEEvPT_PKS3_PKT0_S9_ifPKiSB_iPKfiiiSD_SD_iiiii
	.p2align	8
	.type	_ZN4vllm25paged_attention_v1_kernelI14__hip_bfloat16hLi64ELi8ELi128ELNS_18Fp8KVCacheDataTypeE1ELb0EEEvPT_PKS3_PKT0_S9_ifPKiSB_iPKfiiiSD_SD_iiiii,@function
_ZN4vllm25paged_attention_v1_kernelI14__hip_bfloat16hLi64ELi8ELi128ELNS_18Fp8KVCacheDataTypeE1ELb0EEEvPT_PKS3_PKT0_S9_ifPKiSB_iPKfiiiSD_SD_iiiii: ; @_ZN4vllm25paged_attention_v1_kernelI14__hip_bfloat16hLi64ELi8ELi128ELNS_18Fp8KVCacheDataTypeE1ELb0EEEvPT_PKS3_PKT0_S9_ifPKiSB_iPKfiiiSD_SD_iiiii
; %bb.0:
	s_load_b64 s[10:11], s[0:1], 0x20
	s_bfe_u32 s3, ttmp6, 0x4000c
	s_bfe_u32 s5, ttmp6, 0x40010
	s_and_b32 s4, ttmp7, 0xffff
	s_add_co_i32 s3, s3, 1
	s_add_co_i32 s5, s5, 1
	s_and_b32 s2, ttmp6, 15
	s_bfe_u32 s6, ttmp6, 0x40004
	s_mul_i32 s3, ttmp9, s3
	s_mul_i32 s5, s4, s5
	s_getreg_b32 s22, hwreg(HW_REG_IB_STS2, 6, 4)
	s_add_co_i32 s7, s2, s3
	s_add_co_i32 s6, s6, s5
	s_cmp_eq_u32 s22, 0
	s_clause 0x1
	s_load_b32 s23, s[0:1], 0x80
	s_load_b64 s[2:3], s[0:1], 0x30
	s_cselect_b32 s24, s4, s6
	s_cselect_b32 s6, ttmp9, s7
	s_wait_kmcnt 0x0
	s_abs_i32 s4, s10
	s_delay_alu instid0(SALU_CYCLE_1) | instskip(SKIP_1) | instid1(SALU_CYCLE_2)
	s_cvt_f32_u32 s5, s4
	s_sub_co_i32 s7, 0, s4
	v_rcp_iflag_f32_e32 v1, s5
	s_abs_i32 s8, s23
	v_nop
	s_delay_alu instid0(TRANS32_DEP_1) | instskip(SKIP_1) | instid1(SALU_CYCLE_3)
	v_readfirstlane_b32 s5, v1
	s_mul_f32 s5, s5, 0x4f7ffffe
	s_cvt_u32_f32 s5, s5
	s_delay_alu instid0(SALU_CYCLE_3) | instskip(NEXT) | instid1(SALU_CYCLE_1)
	s_mul_i32 s7, s7, s5
	s_mul_hi_u32 s7, s5, s7
	s_delay_alu instid0(SALU_CYCLE_1) | instskip(SKIP_4) | instid1(SALU_CYCLE_1)
	s_add_co_i32 s5, s5, s7
	s_xor_b32 s7, s23, s10
	s_mul_hi_u32 s5, s8, s5
	s_ashr_i32 s7, s7, 31
	s_mul_i32 s9, s5, s4
	s_sub_co_i32 s8, s8, s9
	s_add_co_i32 s9, s5, 1
	s_sub_co_i32 s10, s8, s4
	s_cmp_ge_u32 s8, s4
	s_cselect_b32 s5, s9, s5
	s_cselect_b32 s8, s10, s8
	s_add_co_i32 s9, s5, 1
	s_cmp_ge_u32 s8, s4
	s_cselect_b32 s4, s9, s5
	s_load_b64 s[8:9], s[0:1], 0x40
	s_xor_b32 s4, s4, s7
	s_mov_b32 s5, 0
	s_sub_co_i32 s14, s4, s7
	s_mov_b32 s13, s5
	s_abs_i32 s16, s14
	s_mov_b32 s20, s5
	s_cvt_f32_u32 s4, s16
	s_delay_alu instid0(SALU_CYCLE_3) | instskip(SKIP_1) | instid1(TRANS32_DEP_1)
	v_rcp_iflag_f32_e32 v1, s4
	v_nop
	v_readfirstlane_b32 s4, v1
	s_mul_f32 s4, s4, 0x4f7ffffe
	s_delay_alu instid0(SALU_CYCLE_3) | instskip(SKIP_1) | instid1(SALU_CYCLE_2)
	s_cvt_u32_f32 s7, s4
	s_sub_co_i32 s4, 0, s16
	s_mul_i32 s4, s4, s7
	s_delay_alu instid0(SALU_CYCLE_1)
	s_mul_hi_u32 s10, s7, s4
	s_abs_i32 s4, s6
	s_add_co_i32 s12, s7, s10
	s_wait_kmcnt 0x0
	s_cmp_eq_u64 s[8:9], 0
	s_cbranch_scc1 .LBB314_2
; %bb.1:
	s_ashr_i32 s7, s6, 31
	s_delay_alu instid0(SALU_CYCLE_1) | instskip(NEXT) | instid1(SALU_CYCLE_1)
	s_lshl_b64 s[18:19], s[6:7], 2
	s_add_nc_u64 s[8:9], s[8:9], s[18:19]
	s_load_b32 s20, s[8:9], 0x0
.LBB314_2:
	s_load_b32 s25, s[2:3], s24 offset:0x0 scale_offset
	s_wait_xcnt 0x0
	s_load_b96 s[8:10], s[0:1], 0x48
	v_and_b32_e32 v4, 3, v0
	v_cmp_gt_u32_e64 s2, 32, v0
	s_ashr_i32 s3, s6, 31
	s_ashr_i32 s7, s14, 31
	s_mul_u64 s[14:15], s[4:5], s[12:13]
	s_lshl_b32 s12, s6, 6
	s_and_saveexec_b32 s5, s2
	s_cbranch_execz .LBB314_4
; %bb.3:
	s_load_b64 s[18:19], s[0:1], 0x8
	s_wait_kmcnt 0x0
	s_mul_i32 s26, s8, s24
	s_ashr_i32 s13, s12, 31
	s_ashr_i32 s27, s26, 31
	v_and_b32_e32 v2, 0x3fc, v0
	s_lshl_b64 s[26:27], s[26:27], 1
	s_delay_alu instid0(VALU_DEP_1) | instskip(SKIP_2) | instid1(SALU_CYCLE_1)
	v_lshl_add_u32 v2, v4, 5, v2
	s_add_nc_u64 s[18:19], s[18:19], s[26:27]
	s_lshl_b64 s[26:27], s[12:13], 1
	s_add_nc_u64 s[18:19], s[18:19], s[26:27]
	global_load_b32 v1, v0, s[18:19] scale_offset
	s_wait_loadcnt 0x0
	ds_store_b32 v2, v1
.LBB314_4:
	s_or_b32 exec_lo, exec_lo, s5
	s_wait_kmcnt 0x0
	s_add_co_i32 s5, s25, 7
	s_load_b32 s6, s[0:1], 0x38
	s_ashr_i32 s8, s5, 31
	s_xor_b32 s3, s3, s7
	s_lshr_b32 s7, s8, 29
	s_mul_i32 s8, s15, s16
	s_add_co_i32 s5, s5, s7
	s_sub_co_i32 s4, s4, s8
	s_ashr_i32 s13, s5, 3
	s_add_co_i32 s5, s15, 1
	s_sub_co_i32 s7, s4, s16
	s_cmp_ge_u32 s4, s16
	v_lshrrev_b32_e32 v1, 5, v0
	s_cselect_b32 s5, s5, s15
	s_cselect_b32 s4, s7, s4
	s_add_co_i32 s7, s5, 1
	s_cmp_ge_u32 s4, s16
	v_mbcnt_lo_u32_b32 v10, -1, 0
	s_cselect_b32 s4, s7, s5
	s_wait_dscnt 0x0
	s_xor_b32 s4, s4, s3
	s_wait_kmcnt 0x0
	s_mul_i32 s14, s6, s24
	s_sub_co_i32 s18, s4, s3
	v_cmp_gt_i32_e64 s3, s13, v1
	s_ashr_i32 s15, s14, 31
	s_mov_b32 s4, exec_lo
	s_barrier_signal -1
	s_barrier_wait -1
                                        ; implicit-def: $vgpr3
                                        ; implicit-def: $vgpr11
	v_cmpx_le_i32_e64 s13, v1
	s_xor_b32 s4, exec_lo, s4
; %bb.5:
	v_dual_mov_b32 v3, 0 :: v_dual_mov_b32 v11, 32
	v_mbcnt_lo_u32_b32 v10, -1, 0
                                        ; implicit-def: $vgpr4
; %bb.6:
	s_or_saveexec_b32 s21, s4
	s_clause 0x2
	s_load_b32 s8, s[0:1], 0x88
	s_load_b64 s[16:17], s[0:1], 0x28
	s_load_b128 s[4:7], s[0:1], 0x58
	v_dual_mov_b32 v27, 0xff7fffff :: v_dual_lshrrev_b32 v16, 3, v0
	s_mul_i32 s18, s18, s10
	s_xor_b32 exec_lo, exec_lo, s21
	s_cbranch_execz .LBB314_140
; %bb.7:
	v_dual_mov_b32 v3, 0 :: v_dual_lshlrev_b32 v2, 5, v4
	s_load_b64 s[26:27], s[0:1], 0x10
	v_bfe_u32 v34, v0, 2, 3
	v_xor_b32_e32 v5, 2, v10
	ds_load_b128 v[6:9], v2
	ds_load_b128 v[24:27], v2 offset:16
	s_ashr_i32 s19, s18, 31
	v_lshlrev_b32_e32 v2, 4, v34
	s_wait_kmcnt 0x0
	s_load_b32 s10, s[4:5], 0x0
	s_cmp_neq_f32 s20, 0
	v_mov_b32_e32 v11, 32
	s_wait_xcnt 0x0
	s_cselect_b32 s4, -1, 0
	s_add_nc_u64 s[26:27], s[26:27], s[18:19]
	s_mov_b32 s19, 0
	s_wait_dscnt 0x1
	v_dual_lshlrev_b32 v12, 16, v6 :: v_dual_lshlrev_b32 v17, 16, v8
	v_and_b32_e32 v13, 0xffff0000, v6
	v_lshlrev_b32_e32 v14, 16, v7
	v_add_nc_u64_e32 v[32:33], s[26:27], v[2:3]
	s_wait_dscnt 0x0
	v_dual_lshlrev_b32 v2, 1, v4 :: v_dual_lshlrev_b32 v28, 16, v27
	v_xor_b32_e32 v6, 1, v10
	v_cmp_gt_i32_e32 vcc_lo, 32, v5
	v_and_b32_e32 v15, 0xffff0000, v7
	v_lshlrev_b32_e32 v7, 2, v34
	s_lshl_b64 s[26:27], s[14:15], 2
	v_and_b32_e32 v18, 0xffff0000, v8
	v_cndmask_b32_e32 v5, v10, v5, vcc_lo
	v_cmp_gt_i32_e32 vcc_lo, 32, v6
	s_add_nc_u64 s[26:27], s[16:17], s[26:27]
	v_dual_lshlrev_b32 v19, 16, v9 :: v_dual_lshlrev_b32 v21, 16, v24
	s_delay_alu instid0(VALU_DEP_3)
	v_dual_lshlrev_b32 v30, 2, v5 :: v_dual_cndmask_b32 v6, v10, v6, vcc_lo
	v_cmp_eq_u32_e32 vcc_lo, 0, v4
	v_add_nc_u64_e32 v[4:5], v[32:33], v[2:3]
	v_and_b32_e32 v2, 0x7c, v16
	v_lshl_or_b32 v32, v1, 3, v34
	v_dual_mov_b32 v34, v1 :: v_dual_lshlrev_b32 v31, 2, v6
	v_lshl_or_b32 v6, v1, 5, v7
	v_and_b32_e32 v20, 0xffff0000, v9
	v_and_b32_e32 v22, 0xffff0000, v24
	v_lshlrev_b32_e32 v23, 16, v25
	v_and_b32_e32 v24, 0xffff0000, v25
	v_add_nc_u32_e32 v33, 0xa0, v6
	v_add_nc_u64_e32 v[6:7], s[26:27], v[2:3]
	v_lshlrev_b32_e32 v25, 16, v26
	v_and_b32_e32 v26, 0xffff0000, v26
	v_and_b32_e32 v29, 0xffff0000, v27
	v_mov_b32_e32 v27, 0xff7fffff
	s_mov_b32 s26, s9
	s_sub_co_i32 s27, 1, s25
	s_branch .LBB314_9
.LBB314_8:                              ;   in Loop: Header=BB314_9 Depth=1
	s_or_b32 exec_lo, exec_lo, s28
	v_dual_add_nc_u32 v34, 4, v34 :: v_dual_add_nc_u32 v32, 32, v32
	v_add_nc_u64_e32 v[6:7], 16, v[6:7]
	v_add_nc_u32_e32 v33, 0x80, v33
	s_delay_alu instid0(VALU_DEP_3) | instskip(SKIP_1) | instid1(SALU_CYCLE_1)
	v_cmp_le_i32_e64 s5, s13, v34
	s_or_b32 s19, s5, s19
	s_and_not1_b32 exec_lo, exec_lo, s19
	s_cbranch_execz .LBB314_139
.LBB314_9:                              ; =>This Inner Loop Header: Depth=1
	global_load_b32 v2, v[6:7], off
	v_mov_b32_e32 v35, 0
	s_wait_loadcnt_dscnt 0x0
	v_mad_nc_i64_i32 v[8:9], v2, s26, v[4:5]
	global_load_u16 v2, v[8:9], off
	s_wait_loadcnt 0x0
	v_and_b32_e32 v36, 0xff, v2
	v_and_b32_e32 v37, 0xffff, v2
	s_delay_alu instid0(VALU_DEP_2)
	v_cmp_ne_u16_e64 s5, 0, v36
	v_mov_b32_e32 v36, 0
	s_wait_xcnt 0x0
	s_and_saveexec_b32 s28, s5
	s_cbranch_execz .LBB314_17
; %bb.10:                               ;   in Loop: Header=BB314_9 Depth=1
	v_and_b32_e32 v2, 0xff, v37
	v_bfrev_b32_e32 v36, 1
	s_mov_b32 s29, exec_lo
	s_delay_alu instid0(VALU_DEP_2)
	v_cmpx_ne_u16_e32 0x80, v2
	s_cbranch_execz .LBB314_16
; %bb.11:                               ;   in Loop: Header=BB314_9 Depth=1
	v_and_b32_e32 v38, 0x7f, v37
	v_mov_b32_e32 v36, 0x7f800001
	s_mov_b32 s30, exec_lo
	s_delay_alu instid0(VALU_DEP_2)
	v_cmpx_ne_u32_e32 0x7f, v38
	s_cbranch_execz .LBB314_15
; %bb.12:                               ;   in Loop: Header=BB314_9 Depth=1
	v_dual_lshrrev_b32 v36, 3, v38 :: v_dual_bitop2_b32 v2, 7, v37 bitop3:0x40
	s_mov_b32 s31, exec_lo
	v_cmpx_gt_u32_e32 8, v38
; %bb.13:                               ;   in Loop: Header=BB314_9 Depth=1
	s_delay_alu instid0(VALU_DEP_2) | instskip(NEXT) | instid1(VALU_DEP_1)
	v_clz_i32_u32_e32 v36, v2
	v_min_u32_e32 v36, 32, v36
	s_delay_alu instid0(VALU_DEP_1) | instskip(NEXT) | instid1(VALU_DEP_1)
	v_subrev_nc_u32_e32 v38, 28, v36
	v_lshlrev_b64_e32 v[38:39], v38, v[2:3]
	s_delay_alu instid0(VALU_DEP_1)
	v_dual_sub_nc_u32 v36, 29, v36 :: v_dual_bitop2_b32 v2, 7, v38 bitop3:0x40
; %bb.14:                               ;   in Loop: Header=BB314_9 Depth=1
	s_or_b32 exec_lo, exec_lo, s31
	s_delay_alu instid0(VALU_DEP_1) | instskip(NEXT) | instid1(VALU_DEP_2)
	v_dual_lshlrev_b32 v38, 24, v37 :: v_dual_lshlrev_b32 v2, 20, v2
	v_lshl_add_u32 v36, v36, 23, 0x3c000000
	s_delay_alu instid0(VALU_DEP_2) | instskip(NEXT) | instid1(VALU_DEP_1)
	v_and_b32_e32 v38, 0x80000000, v38
	v_or3_b32 v36, v2, v38, v36
.LBB314_15:                             ;   in Loop: Header=BB314_9 Depth=1
	s_or_b32 exec_lo, exec_lo, s30
.LBB314_16:                             ;   in Loop: Header=BB314_9 Depth=1
	s_delay_alu instid0(SALU_CYCLE_1)
	s_or_b32 exec_lo, exec_lo, s29
.LBB314_17:                             ;   in Loop: Header=BB314_9 Depth=1
	s_delay_alu instid0(SALU_CYCLE_1) | instskip(SKIP_2) | instid1(VALU_DEP_1)
	s_or_b32 exec_lo, exec_lo, s28
	v_lshrrev_b16 v2, 8, v37
	s_mov_b32 s28, exec_lo
	v_cmpx_ne_u16_e32 0, v2
	s_cbranch_execz .LBB314_25
; %bb.18:                               ;   in Loop: Header=BB314_9 Depth=1
	v_bfrev_b32_e32 v35, 1
	s_mov_b32 s29, exec_lo
	v_cmpx_ne_u16_e32 0x80, v2
	s_cbranch_execz .LBB314_24
; %bb.19:                               ;   in Loop: Header=BB314_9 Depth=1
	v_and_b32_e32 v2, 0xffff, v2
	v_mov_b32_e32 v35, 0x7f800001
	s_mov_b32 s30, exec_lo
	s_delay_alu instid0(VALU_DEP_2) | instskip(NEXT) | instid1(VALU_DEP_1)
	v_and_b32_e32 v38, 0x7f, v2
	v_cmpx_ne_u32_e32 0x7f, v38
	s_cbranch_execz .LBB314_23
; %bb.20:                               ;   in Loop: Header=BB314_9 Depth=1
	v_and_b32_e32 v2, 7, v2
	v_lshrrev_b32_e32 v35, 3, v38
	s_mov_b32 s31, exec_lo
	v_cmpx_gt_u32_e32 8, v38
; %bb.21:                               ;   in Loop: Header=BB314_9 Depth=1
	s_delay_alu instid0(VALU_DEP_3) | instskip(NEXT) | instid1(VALU_DEP_1)
	v_clz_i32_u32_e32 v35, v2
	v_min_u32_e32 v35, 32, v35
	s_delay_alu instid0(VALU_DEP_1) | instskip(NEXT) | instid1(VALU_DEP_1)
	v_subrev_nc_u32_e32 v38, 28, v35
	v_lshlrev_b64_e32 v[38:39], v38, v[2:3]
	s_delay_alu instid0(VALU_DEP_1)
	v_dual_sub_nc_u32 v35, 29, v35 :: v_dual_bitop2_b32 v2, 7, v38 bitop3:0x40
; %bb.22:                               ;   in Loop: Header=BB314_9 Depth=1
	s_or_b32 exec_lo, exec_lo, s31
	s_delay_alu instid0(VALU_DEP_1) | instskip(NEXT) | instid1(VALU_DEP_2)
	v_dual_lshlrev_b32 v37, 16, v37 :: v_dual_lshlrev_b32 v2, 20, v2
	v_lshl_add_u32 v35, v35, 23, 0x3c000000
	s_delay_alu instid0(VALU_DEP_2) | instskip(NEXT) | instid1(VALU_DEP_1)
	v_and_b32_e32 v37, 0x80000000, v37
	v_or3_b32 v35, v2, v37, v35
.LBB314_23:                             ;   in Loop: Header=BB314_9 Depth=1
	s_or_b32 exec_lo, exec_lo, s30
.LBB314_24:                             ;   in Loop: Header=BB314_9 Depth=1
	s_delay_alu instid0(SALU_CYCLE_1)
	s_or_b32 exec_lo, exec_lo, s29
.LBB314_25:                             ;   in Loop: Header=BB314_9 Depth=1
	s_delay_alu instid0(SALU_CYCLE_1)
	s_or_b32 exec_lo, exec_lo, s28
	global_load_u16 v2, v[8:9], off offset:8
	v_mov_b32_e32 v37, 0
	s_wait_loadcnt 0x0
	v_and_b32_e32 v38, 0xff, v2
	v_and_b32_e32 v39, 0xffff, v2
	s_delay_alu instid0(VALU_DEP_2)
	v_cmp_ne_u16_e64 s5, 0, v38
	v_mov_b32_e32 v38, 0
	s_and_saveexec_b32 s28, s5
	s_cbranch_execz .LBB314_33
; %bb.26:                               ;   in Loop: Header=BB314_9 Depth=1
	v_and_b32_e32 v2, 0xff, v39
	v_bfrev_b32_e32 v38, 1
	s_mov_b32 s29, exec_lo
	s_delay_alu instid0(VALU_DEP_2)
	v_cmpx_ne_u16_e32 0x80, v2
	s_cbranch_execz .LBB314_32
; %bb.27:                               ;   in Loop: Header=BB314_9 Depth=1
	v_and_b32_e32 v40, 0x7f, v39
	v_mov_b32_e32 v38, 0x7f800001
	s_mov_b32 s30, exec_lo
	s_delay_alu instid0(VALU_DEP_2)
	v_cmpx_ne_u32_e32 0x7f, v40
	s_cbranch_execz .LBB314_31
; %bb.28:                               ;   in Loop: Header=BB314_9 Depth=1
	v_dual_lshrrev_b32 v38, 3, v40 :: v_dual_bitop2_b32 v2, 7, v39 bitop3:0x40
	s_mov_b32 s31, exec_lo
	v_cmpx_gt_u32_e32 8, v40
; %bb.29:                               ;   in Loop: Header=BB314_9 Depth=1
	s_delay_alu instid0(VALU_DEP_2) | instskip(NEXT) | instid1(VALU_DEP_1)
	v_clz_i32_u32_e32 v38, v2
	v_min_u32_e32 v38, 32, v38
	s_delay_alu instid0(VALU_DEP_1) | instskip(NEXT) | instid1(VALU_DEP_1)
	v_subrev_nc_u32_e32 v40, 28, v38
	v_lshlrev_b64_e32 v[40:41], v40, v[2:3]
	s_delay_alu instid0(VALU_DEP_1)
	v_dual_sub_nc_u32 v38, 29, v38 :: v_dual_bitop2_b32 v2, 7, v40 bitop3:0x40
; %bb.30:                               ;   in Loop: Header=BB314_9 Depth=1
	s_or_b32 exec_lo, exec_lo, s31
	s_delay_alu instid0(VALU_DEP_1) | instskip(NEXT) | instid1(VALU_DEP_2)
	v_dual_lshlrev_b32 v40, 24, v39 :: v_dual_lshlrev_b32 v2, 20, v2
	v_lshl_add_u32 v38, v38, 23, 0x3c000000
	s_delay_alu instid0(VALU_DEP_2) | instskip(NEXT) | instid1(VALU_DEP_1)
	v_and_b32_e32 v40, 0x80000000, v40
	v_or3_b32 v38, v2, v40, v38
.LBB314_31:                             ;   in Loop: Header=BB314_9 Depth=1
	s_or_b32 exec_lo, exec_lo, s30
.LBB314_32:                             ;   in Loop: Header=BB314_9 Depth=1
	s_delay_alu instid0(SALU_CYCLE_1)
	s_or_b32 exec_lo, exec_lo, s29
.LBB314_33:                             ;   in Loop: Header=BB314_9 Depth=1
	s_delay_alu instid0(SALU_CYCLE_1) | instskip(SKIP_2) | instid1(VALU_DEP_1)
	s_or_b32 exec_lo, exec_lo, s28
	v_lshrrev_b16 v2, 8, v39
	s_mov_b32 s28, exec_lo
	v_cmpx_ne_u16_e32 0, v2
	s_cbranch_execz .LBB314_41
; %bb.34:                               ;   in Loop: Header=BB314_9 Depth=1
	v_bfrev_b32_e32 v37, 1
	s_mov_b32 s29, exec_lo
	v_cmpx_ne_u16_e32 0x80, v2
	s_cbranch_execz .LBB314_40
; %bb.35:                               ;   in Loop: Header=BB314_9 Depth=1
	v_and_b32_e32 v2, 0xffff, v2
	v_mov_b32_e32 v37, 0x7f800001
	s_mov_b32 s30, exec_lo
	s_delay_alu instid0(VALU_DEP_2) | instskip(NEXT) | instid1(VALU_DEP_1)
	v_and_b32_e32 v40, 0x7f, v2
	v_cmpx_ne_u32_e32 0x7f, v40
	s_cbranch_execz .LBB314_39
; %bb.36:                               ;   in Loop: Header=BB314_9 Depth=1
	v_dual_lshrrev_b32 v37, 3, v40 :: v_dual_bitop2_b32 v2, 7, v2 bitop3:0x40
	s_mov_b32 s31, exec_lo
	v_cmpx_gt_u32_e32 8, v40
; %bb.37:                               ;   in Loop: Header=BB314_9 Depth=1
	s_delay_alu instid0(VALU_DEP_2) | instskip(NEXT) | instid1(VALU_DEP_1)
	v_clz_i32_u32_e32 v37, v2
	v_min_u32_e32 v37, 32, v37
	s_delay_alu instid0(VALU_DEP_1) | instskip(NEXT) | instid1(VALU_DEP_1)
	v_subrev_nc_u32_e32 v40, 28, v37
	v_lshlrev_b64_e32 v[40:41], v40, v[2:3]
	s_delay_alu instid0(VALU_DEP_1)
	v_dual_sub_nc_u32 v37, 29, v37 :: v_dual_bitop2_b32 v2, 7, v40 bitop3:0x40
; %bb.38:                               ;   in Loop: Header=BB314_9 Depth=1
	s_or_b32 exec_lo, exec_lo, s31
	s_delay_alu instid0(VALU_DEP_1) | instskip(NEXT) | instid1(VALU_DEP_2)
	v_dual_lshlrev_b32 v39, 16, v39 :: v_dual_lshlrev_b32 v2, 20, v2
	v_lshl_add_u32 v37, v37, 23, 0x3c000000
	s_delay_alu instid0(VALU_DEP_2) | instskip(NEXT) | instid1(VALU_DEP_1)
	v_and_b32_e32 v39, 0x80000000, v39
	v_or3_b32 v37, v2, v39, v37
.LBB314_39:                             ;   in Loop: Header=BB314_9 Depth=1
	s_or_b32 exec_lo, exec_lo, s30
.LBB314_40:                             ;   in Loop: Header=BB314_9 Depth=1
	s_delay_alu instid0(SALU_CYCLE_1)
	s_or_b32 exec_lo, exec_lo, s29
.LBB314_41:                             ;   in Loop: Header=BB314_9 Depth=1
	s_delay_alu instid0(SALU_CYCLE_1)
	s_or_b32 exec_lo, exec_lo, s28
	global_load_u16 v2, v[8:9], off offset:128
	v_mov_b32_e32 v39, 0
	s_wait_loadcnt 0x0
	v_and_b32_e32 v40, 0xff, v2
	v_and_b32_e32 v41, 0xffff, v2
	s_delay_alu instid0(VALU_DEP_2)
	v_cmp_ne_u16_e64 s5, 0, v40
	v_mov_b32_e32 v40, 0
	s_and_saveexec_b32 s28, s5
	s_cbranch_execz .LBB314_49
; %bb.42:                               ;   in Loop: Header=BB314_9 Depth=1
	v_and_b32_e32 v2, 0xff, v41
	v_bfrev_b32_e32 v40, 1
	s_mov_b32 s29, exec_lo
	s_delay_alu instid0(VALU_DEP_2)
	v_cmpx_ne_u16_e32 0x80, v2
	s_cbranch_execz .LBB314_48
; %bb.43:                               ;   in Loop: Header=BB314_9 Depth=1
	v_and_b32_e32 v42, 0x7f, v41
	v_mov_b32_e32 v40, 0x7f800001
	s_mov_b32 s30, exec_lo
	s_delay_alu instid0(VALU_DEP_2)
	v_cmpx_ne_u32_e32 0x7f, v42
	s_cbranch_execz .LBB314_47
; %bb.44:                               ;   in Loop: Header=BB314_9 Depth=1
	v_dual_lshrrev_b32 v40, 3, v42 :: v_dual_bitop2_b32 v2, 7, v41 bitop3:0x40
	s_mov_b32 s31, exec_lo
	v_cmpx_gt_u32_e32 8, v42
; %bb.45:                               ;   in Loop: Header=BB314_9 Depth=1
	s_delay_alu instid0(VALU_DEP_2) | instskip(NEXT) | instid1(VALU_DEP_1)
	v_clz_i32_u32_e32 v40, v2
	v_min_u32_e32 v40, 32, v40
	s_delay_alu instid0(VALU_DEP_1) | instskip(NEXT) | instid1(VALU_DEP_1)
	v_subrev_nc_u32_e32 v42, 28, v40
	v_lshlrev_b64_e32 v[42:43], v42, v[2:3]
	s_delay_alu instid0(VALU_DEP_1)
	v_dual_sub_nc_u32 v40, 29, v40 :: v_dual_bitop2_b32 v2, 7, v42 bitop3:0x40
; %bb.46:                               ;   in Loop: Header=BB314_9 Depth=1
	s_or_b32 exec_lo, exec_lo, s31
	s_delay_alu instid0(VALU_DEP_1) | instskip(NEXT) | instid1(VALU_DEP_2)
	v_dual_lshlrev_b32 v42, 24, v41 :: v_dual_lshlrev_b32 v2, 20, v2
	v_lshl_add_u32 v40, v40, 23, 0x3c000000
	s_delay_alu instid0(VALU_DEP_2) | instskip(NEXT) | instid1(VALU_DEP_1)
	v_and_b32_e32 v42, 0x80000000, v42
	v_or3_b32 v40, v2, v42, v40
.LBB314_47:                             ;   in Loop: Header=BB314_9 Depth=1
	s_or_b32 exec_lo, exec_lo, s30
.LBB314_48:                             ;   in Loop: Header=BB314_9 Depth=1
	s_delay_alu instid0(SALU_CYCLE_1)
	s_or_b32 exec_lo, exec_lo, s29
.LBB314_49:                             ;   in Loop: Header=BB314_9 Depth=1
	s_delay_alu instid0(SALU_CYCLE_1) | instskip(SKIP_2) | instid1(VALU_DEP_1)
	s_or_b32 exec_lo, exec_lo, s28
	v_lshrrev_b16 v2, 8, v41
	s_mov_b32 s28, exec_lo
	v_cmpx_ne_u16_e32 0, v2
	s_cbranch_execz .LBB314_57
; %bb.50:                               ;   in Loop: Header=BB314_9 Depth=1
	v_bfrev_b32_e32 v39, 1
	s_mov_b32 s29, exec_lo
	v_cmpx_ne_u16_e32 0x80, v2
	s_cbranch_execz .LBB314_56
; %bb.51:                               ;   in Loop: Header=BB314_9 Depth=1
	v_and_b32_e32 v2, 0xffff, v2
	v_mov_b32_e32 v39, 0x7f800001
	s_mov_b32 s30, exec_lo
	s_delay_alu instid0(VALU_DEP_2) | instskip(NEXT) | instid1(VALU_DEP_1)
	v_and_b32_e32 v42, 0x7f, v2
	v_cmpx_ne_u32_e32 0x7f, v42
	s_cbranch_execz .LBB314_55
; %bb.52:                               ;   in Loop: Header=BB314_9 Depth=1
	v_and_b32_e32 v2, 7, v2
	v_lshrrev_b32_e32 v39, 3, v42
	s_mov_b32 s31, exec_lo
	v_cmpx_gt_u32_e32 8, v42
; %bb.53:                               ;   in Loop: Header=BB314_9 Depth=1
	s_delay_alu instid0(VALU_DEP_3) | instskip(NEXT) | instid1(VALU_DEP_1)
	v_clz_i32_u32_e32 v39, v2
	v_min_u32_e32 v39, 32, v39
	s_delay_alu instid0(VALU_DEP_1) | instskip(NEXT) | instid1(VALU_DEP_1)
	v_subrev_nc_u32_e32 v42, 28, v39
	v_lshlrev_b64_e32 v[42:43], v42, v[2:3]
	s_delay_alu instid0(VALU_DEP_1)
	v_dual_sub_nc_u32 v39, 29, v39 :: v_dual_bitop2_b32 v2, 7, v42 bitop3:0x40
; %bb.54:                               ;   in Loop: Header=BB314_9 Depth=1
	s_or_b32 exec_lo, exec_lo, s31
	s_delay_alu instid0(VALU_DEP_1) | instskip(NEXT) | instid1(VALU_DEP_2)
	v_dual_lshlrev_b32 v41, 16, v41 :: v_dual_lshlrev_b32 v2, 20, v2
	v_lshl_add_u32 v39, v39, 23, 0x3c000000
	s_delay_alu instid0(VALU_DEP_2) | instskip(NEXT) | instid1(VALU_DEP_1)
	v_and_b32_e32 v41, 0x80000000, v41
	v_or3_b32 v39, v2, v41, v39
.LBB314_55:                             ;   in Loop: Header=BB314_9 Depth=1
	s_or_b32 exec_lo, exec_lo, s30
.LBB314_56:                             ;   in Loop: Header=BB314_9 Depth=1
	s_delay_alu instid0(SALU_CYCLE_1)
	s_or_b32 exec_lo, exec_lo, s29
.LBB314_57:                             ;   in Loop: Header=BB314_9 Depth=1
	s_delay_alu instid0(SALU_CYCLE_1)
	s_or_b32 exec_lo, exec_lo, s28
	global_load_u16 v2, v[8:9], off offset:136
	v_mov_b32_e32 v41, 0
	s_wait_loadcnt 0x0
	v_and_b32_e32 v42, 0xff, v2
	v_and_b32_e32 v43, 0xffff, v2
	s_delay_alu instid0(VALU_DEP_2)
	v_cmp_ne_u16_e64 s5, 0, v42
	v_mov_b32_e32 v42, 0
	s_and_saveexec_b32 s28, s5
	s_cbranch_execz .LBB314_65
; %bb.58:                               ;   in Loop: Header=BB314_9 Depth=1
	v_and_b32_e32 v2, 0xff, v43
	v_bfrev_b32_e32 v42, 1
	s_mov_b32 s29, exec_lo
	s_delay_alu instid0(VALU_DEP_2)
	v_cmpx_ne_u16_e32 0x80, v2
	s_cbranch_execz .LBB314_64
; %bb.59:                               ;   in Loop: Header=BB314_9 Depth=1
	v_and_b32_e32 v44, 0x7f, v43
	v_mov_b32_e32 v42, 0x7f800001
	s_mov_b32 s30, exec_lo
	s_delay_alu instid0(VALU_DEP_2)
	v_cmpx_ne_u32_e32 0x7f, v44
	s_cbranch_execz .LBB314_63
; %bb.60:                               ;   in Loop: Header=BB314_9 Depth=1
	v_dual_lshrrev_b32 v42, 3, v44 :: v_dual_bitop2_b32 v2, 7, v43 bitop3:0x40
	s_mov_b32 s31, exec_lo
	v_cmpx_gt_u32_e32 8, v44
; %bb.61:                               ;   in Loop: Header=BB314_9 Depth=1
	s_delay_alu instid0(VALU_DEP_2) | instskip(NEXT) | instid1(VALU_DEP_1)
	v_clz_i32_u32_e32 v42, v2
	v_min_u32_e32 v42, 32, v42
	s_delay_alu instid0(VALU_DEP_1) | instskip(NEXT) | instid1(VALU_DEP_1)
	v_subrev_nc_u32_e32 v44, 28, v42
	v_lshlrev_b64_e32 v[44:45], v44, v[2:3]
	s_delay_alu instid0(VALU_DEP_1)
	v_dual_sub_nc_u32 v42, 29, v42 :: v_dual_bitop2_b32 v2, 7, v44 bitop3:0x40
; %bb.62:                               ;   in Loop: Header=BB314_9 Depth=1
	s_or_b32 exec_lo, exec_lo, s31
	s_delay_alu instid0(VALU_DEP_1) | instskip(NEXT) | instid1(VALU_DEP_2)
	v_dual_lshlrev_b32 v44, 24, v43 :: v_dual_lshlrev_b32 v2, 20, v2
	v_lshl_add_u32 v42, v42, 23, 0x3c000000
	s_delay_alu instid0(VALU_DEP_2) | instskip(NEXT) | instid1(VALU_DEP_1)
	v_and_b32_e32 v44, 0x80000000, v44
	v_or3_b32 v42, v2, v44, v42
.LBB314_63:                             ;   in Loop: Header=BB314_9 Depth=1
	s_or_b32 exec_lo, exec_lo, s30
.LBB314_64:                             ;   in Loop: Header=BB314_9 Depth=1
	s_delay_alu instid0(SALU_CYCLE_1)
	s_or_b32 exec_lo, exec_lo, s29
.LBB314_65:                             ;   in Loop: Header=BB314_9 Depth=1
	s_delay_alu instid0(SALU_CYCLE_1) | instskip(SKIP_2) | instid1(VALU_DEP_1)
	s_or_b32 exec_lo, exec_lo, s28
	v_lshrrev_b16 v2, 8, v43
	s_mov_b32 s28, exec_lo
	v_cmpx_ne_u16_e32 0, v2
	s_cbranch_execz .LBB314_73
; %bb.66:                               ;   in Loop: Header=BB314_9 Depth=1
	v_bfrev_b32_e32 v41, 1
	s_mov_b32 s29, exec_lo
	v_cmpx_ne_u16_e32 0x80, v2
	s_cbranch_execz .LBB314_72
; %bb.67:                               ;   in Loop: Header=BB314_9 Depth=1
	v_and_b32_e32 v2, 0xffff, v2
	v_mov_b32_e32 v41, 0x7f800001
	s_mov_b32 s30, exec_lo
	s_delay_alu instid0(VALU_DEP_2) | instskip(NEXT) | instid1(VALU_DEP_1)
	v_and_b32_e32 v44, 0x7f, v2
	v_cmpx_ne_u32_e32 0x7f, v44
	s_cbranch_execz .LBB314_71
; %bb.68:                               ;   in Loop: Header=BB314_9 Depth=1
	v_dual_lshrrev_b32 v41, 3, v44 :: v_dual_bitop2_b32 v2, 7, v2 bitop3:0x40
	s_mov_b32 s31, exec_lo
	v_cmpx_gt_u32_e32 8, v44
; %bb.69:                               ;   in Loop: Header=BB314_9 Depth=1
	s_delay_alu instid0(VALU_DEP_2) | instskip(NEXT) | instid1(VALU_DEP_1)
	v_clz_i32_u32_e32 v41, v2
	v_min_u32_e32 v41, 32, v41
	s_delay_alu instid0(VALU_DEP_1) | instskip(NEXT) | instid1(VALU_DEP_1)
	v_subrev_nc_u32_e32 v44, 28, v41
	v_lshlrev_b64_e32 v[44:45], v44, v[2:3]
	s_delay_alu instid0(VALU_DEP_1)
	v_dual_sub_nc_u32 v41, 29, v41 :: v_dual_bitop2_b32 v2, 7, v44 bitop3:0x40
; %bb.70:                               ;   in Loop: Header=BB314_9 Depth=1
	s_or_b32 exec_lo, exec_lo, s31
	s_delay_alu instid0(VALU_DEP_1) | instskip(NEXT) | instid1(VALU_DEP_2)
	v_dual_lshlrev_b32 v43, 16, v43 :: v_dual_lshlrev_b32 v2, 20, v2
	v_lshl_add_u32 v41, v41, 23, 0x3c000000
	s_delay_alu instid0(VALU_DEP_2) | instskip(NEXT) | instid1(VALU_DEP_1)
	v_and_b32_e32 v43, 0x80000000, v43
	v_or3_b32 v41, v2, v43, v41
.LBB314_71:                             ;   in Loop: Header=BB314_9 Depth=1
	s_or_b32 exec_lo, exec_lo, s30
.LBB314_72:                             ;   in Loop: Header=BB314_9 Depth=1
	s_delay_alu instid0(SALU_CYCLE_1)
	s_or_b32 exec_lo, exec_lo, s29
.LBB314_73:                             ;   in Loop: Header=BB314_9 Depth=1
	s_delay_alu instid0(SALU_CYCLE_1)
	s_or_b32 exec_lo, exec_lo, s28
	global_load_u16 v2, v[8:9], off offset:256
	v_mov_b32_e32 v43, 0
	s_wait_loadcnt 0x0
	v_and_b32_e32 v44, 0xff, v2
	v_and_b32_e32 v45, 0xffff, v2
	s_delay_alu instid0(VALU_DEP_2)
	v_cmp_ne_u16_e64 s5, 0, v44
	v_mov_b32_e32 v44, 0
	s_and_saveexec_b32 s28, s5
	s_cbranch_execz .LBB314_81
; %bb.74:                               ;   in Loop: Header=BB314_9 Depth=1
	v_and_b32_e32 v2, 0xff, v45
	v_bfrev_b32_e32 v44, 1
	s_mov_b32 s29, exec_lo
	s_delay_alu instid0(VALU_DEP_2)
	v_cmpx_ne_u16_e32 0x80, v2
	s_cbranch_execz .LBB314_80
; %bb.75:                               ;   in Loop: Header=BB314_9 Depth=1
	v_and_b32_e32 v46, 0x7f, v45
	v_mov_b32_e32 v44, 0x7f800001
	s_mov_b32 s30, exec_lo
	s_delay_alu instid0(VALU_DEP_2)
	v_cmpx_ne_u32_e32 0x7f, v46
	s_cbranch_execz .LBB314_79
; %bb.76:                               ;   in Loop: Header=BB314_9 Depth=1
	v_dual_lshrrev_b32 v44, 3, v46 :: v_dual_bitop2_b32 v2, 7, v45 bitop3:0x40
	s_mov_b32 s31, exec_lo
	v_cmpx_gt_u32_e32 8, v46
; %bb.77:                               ;   in Loop: Header=BB314_9 Depth=1
	s_delay_alu instid0(VALU_DEP_2) | instskip(NEXT) | instid1(VALU_DEP_1)
	v_clz_i32_u32_e32 v44, v2
	v_min_u32_e32 v44, 32, v44
	s_delay_alu instid0(VALU_DEP_1) | instskip(NEXT) | instid1(VALU_DEP_1)
	v_subrev_nc_u32_e32 v46, 28, v44
	v_lshlrev_b64_e32 v[46:47], v46, v[2:3]
	s_delay_alu instid0(VALU_DEP_1)
	v_dual_sub_nc_u32 v44, 29, v44 :: v_dual_bitop2_b32 v2, 7, v46 bitop3:0x40
; %bb.78:                               ;   in Loop: Header=BB314_9 Depth=1
	s_or_b32 exec_lo, exec_lo, s31
	s_delay_alu instid0(VALU_DEP_1) | instskip(NEXT) | instid1(VALU_DEP_2)
	v_dual_lshlrev_b32 v46, 24, v45 :: v_dual_lshlrev_b32 v2, 20, v2
	v_lshl_add_u32 v44, v44, 23, 0x3c000000
	s_delay_alu instid0(VALU_DEP_2) | instskip(NEXT) | instid1(VALU_DEP_1)
	v_and_b32_e32 v46, 0x80000000, v46
	v_or3_b32 v44, v2, v46, v44
.LBB314_79:                             ;   in Loop: Header=BB314_9 Depth=1
	s_or_b32 exec_lo, exec_lo, s30
.LBB314_80:                             ;   in Loop: Header=BB314_9 Depth=1
	s_delay_alu instid0(SALU_CYCLE_1)
	s_or_b32 exec_lo, exec_lo, s29
.LBB314_81:                             ;   in Loop: Header=BB314_9 Depth=1
	s_delay_alu instid0(SALU_CYCLE_1) | instskip(SKIP_2) | instid1(VALU_DEP_1)
	s_or_b32 exec_lo, exec_lo, s28
	v_lshrrev_b16 v2, 8, v45
	s_mov_b32 s28, exec_lo
	v_cmpx_ne_u16_e32 0, v2
	s_cbranch_execz .LBB314_89
; %bb.82:                               ;   in Loop: Header=BB314_9 Depth=1
	v_bfrev_b32_e32 v43, 1
	s_mov_b32 s29, exec_lo
	v_cmpx_ne_u16_e32 0x80, v2
	s_cbranch_execz .LBB314_88
; %bb.83:                               ;   in Loop: Header=BB314_9 Depth=1
	v_and_b32_e32 v2, 0xffff, v2
	v_mov_b32_e32 v43, 0x7f800001
	s_mov_b32 s30, exec_lo
	s_delay_alu instid0(VALU_DEP_2) | instskip(NEXT) | instid1(VALU_DEP_1)
	v_and_b32_e32 v46, 0x7f, v2
	v_cmpx_ne_u32_e32 0x7f, v46
	s_cbranch_execz .LBB314_87
; %bb.84:                               ;   in Loop: Header=BB314_9 Depth=1
	v_and_b32_e32 v2, 7, v2
	v_lshrrev_b32_e32 v43, 3, v46
	s_mov_b32 s31, exec_lo
	v_cmpx_gt_u32_e32 8, v46
; %bb.85:                               ;   in Loop: Header=BB314_9 Depth=1
	s_delay_alu instid0(VALU_DEP_3) | instskip(NEXT) | instid1(VALU_DEP_1)
	v_clz_i32_u32_e32 v43, v2
	v_min_u32_e32 v43, 32, v43
	s_delay_alu instid0(VALU_DEP_1) | instskip(NEXT) | instid1(VALU_DEP_1)
	v_subrev_nc_u32_e32 v46, 28, v43
	v_lshlrev_b64_e32 v[46:47], v46, v[2:3]
	s_delay_alu instid0(VALU_DEP_1)
	v_dual_sub_nc_u32 v43, 29, v43 :: v_dual_bitop2_b32 v2, 7, v46 bitop3:0x40
; %bb.86:                               ;   in Loop: Header=BB314_9 Depth=1
	s_or_b32 exec_lo, exec_lo, s31
	s_delay_alu instid0(VALU_DEP_1) | instskip(NEXT) | instid1(VALU_DEP_2)
	v_dual_lshlrev_b32 v45, 16, v45 :: v_dual_lshlrev_b32 v2, 20, v2
	v_lshl_add_u32 v43, v43, 23, 0x3c000000
	s_delay_alu instid0(VALU_DEP_2) | instskip(NEXT) | instid1(VALU_DEP_1)
	v_and_b32_e32 v45, 0x80000000, v45
	v_or3_b32 v43, v2, v45, v43
.LBB314_87:                             ;   in Loop: Header=BB314_9 Depth=1
	s_or_b32 exec_lo, exec_lo, s30
.LBB314_88:                             ;   in Loop: Header=BB314_9 Depth=1
	s_delay_alu instid0(SALU_CYCLE_1)
	s_or_b32 exec_lo, exec_lo, s29
.LBB314_89:                             ;   in Loop: Header=BB314_9 Depth=1
	s_delay_alu instid0(SALU_CYCLE_1)
	s_or_b32 exec_lo, exec_lo, s28
	global_load_u16 v2, v[8:9], off offset:264
	v_mov_b32_e32 v45, 0
	s_wait_loadcnt 0x0
	v_and_b32_e32 v46, 0xff, v2
	v_and_b32_e32 v47, 0xffff, v2
	s_delay_alu instid0(VALU_DEP_2)
	v_cmp_ne_u16_e64 s5, 0, v46
	v_mov_b32_e32 v46, 0
	s_and_saveexec_b32 s28, s5
	s_cbranch_execz .LBB314_97
; %bb.90:                               ;   in Loop: Header=BB314_9 Depth=1
	v_and_b32_e32 v2, 0xff, v47
	v_bfrev_b32_e32 v46, 1
	s_mov_b32 s29, exec_lo
	s_delay_alu instid0(VALU_DEP_2)
	v_cmpx_ne_u16_e32 0x80, v2
	s_cbranch_execz .LBB314_96
; %bb.91:                               ;   in Loop: Header=BB314_9 Depth=1
	v_and_b32_e32 v48, 0x7f, v47
	v_mov_b32_e32 v46, 0x7f800001
	s_mov_b32 s30, exec_lo
	s_delay_alu instid0(VALU_DEP_2)
	v_cmpx_ne_u32_e32 0x7f, v48
	s_cbranch_execz .LBB314_95
; %bb.92:                               ;   in Loop: Header=BB314_9 Depth=1
	v_dual_lshrrev_b32 v46, 3, v48 :: v_dual_bitop2_b32 v2, 7, v47 bitop3:0x40
	s_mov_b32 s31, exec_lo
	v_cmpx_gt_u32_e32 8, v48
; %bb.93:                               ;   in Loop: Header=BB314_9 Depth=1
	s_delay_alu instid0(VALU_DEP_2) | instskip(NEXT) | instid1(VALU_DEP_1)
	v_clz_i32_u32_e32 v46, v2
	v_min_u32_e32 v46, 32, v46
	s_delay_alu instid0(VALU_DEP_1) | instskip(NEXT) | instid1(VALU_DEP_1)
	v_subrev_nc_u32_e32 v48, 28, v46
	v_lshlrev_b64_e32 v[48:49], v48, v[2:3]
	s_delay_alu instid0(VALU_DEP_1)
	v_dual_sub_nc_u32 v46, 29, v46 :: v_dual_bitop2_b32 v2, 7, v48 bitop3:0x40
; %bb.94:                               ;   in Loop: Header=BB314_9 Depth=1
	s_or_b32 exec_lo, exec_lo, s31
	s_delay_alu instid0(VALU_DEP_1) | instskip(NEXT) | instid1(VALU_DEP_2)
	v_dual_lshlrev_b32 v48, 24, v47 :: v_dual_lshlrev_b32 v2, 20, v2
	v_lshl_add_u32 v46, v46, 23, 0x3c000000
	s_delay_alu instid0(VALU_DEP_2) | instskip(NEXT) | instid1(VALU_DEP_1)
	v_and_b32_e32 v48, 0x80000000, v48
	v_or3_b32 v46, v2, v48, v46
.LBB314_95:                             ;   in Loop: Header=BB314_9 Depth=1
	s_or_b32 exec_lo, exec_lo, s30
.LBB314_96:                             ;   in Loop: Header=BB314_9 Depth=1
	s_delay_alu instid0(SALU_CYCLE_1)
	s_or_b32 exec_lo, exec_lo, s29
.LBB314_97:                             ;   in Loop: Header=BB314_9 Depth=1
	s_delay_alu instid0(SALU_CYCLE_1) | instskip(SKIP_2) | instid1(VALU_DEP_1)
	s_or_b32 exec_lo, exec_lo, s28
	v_lshrrev_b16 v2, 8, v47
	s_mov_b32 s28, exec_lo
	v_cmpx_ne_u16_e32 0, v2
	s_cbranch_execz .LBB314_105
; %bb.98:                               ;   in Loop: Header=BB314_9 Depth=1
	v_bfrev_b32_e32 v45, 1
	s_mov_b32 s29, exec_lo
	v_cmpx_ne_u16_e32 0x80, v2
	s_cbranch_execz .LBB314_104
; %bb.99:                               ;   in Loop: Header=BB314_9 Depth=1
	v_and_b32_e32 v2, 0xffff, v2
	v_mov_b32_e32 v45, 0x7f800001
	s_mov_b32 s30, exec_lo
	s_delay_alu instid0(VALU_DEP_2) | instskip(NEXT) | instid1(VALU_DEP_1)
	v_and_b32_e32 v48, 0x7f, v2
	v_cmpx_ne_u32_e32 0x7f, v48
	s_cbranch_execz .LBB314_103
; %bb.100:                              ;   in Loop: Header=BB314_9 Depth=1
	v_dual_lshrrev_b32 v45, 3, v48 :: v_dual_bitop2_b32 v2, 7, v2 bitop3:0x40
	s_mov_b32 s31, exec_lo
	v_cmpx_gt_u32_e32 8, v48
; %bb.101:                              ;   in Loop: Header=BB314_9 Depth=1
	s_delay_alu instid0(VALU_DEP_2) | instskip(NEXT) | instid1(VALU_DEP_1)
	v_clz_i32_u32_e32 v45, v2
	v_min_u32_e32 v45, 32, v45
	s_delay_alu instid0(VALU_DEP_1) | instskip(NEXT) | instid1(VALU_DEP_1)
	v_subrev_nc_u32_e32 v48, 28, v45
	v_lshlrev_b64_e32 v[48:49], v48, v[2:3]
	s_delay_alu instid0(VALU_DEP_1)
	v_dual_sub_nc_u32 v45, 29, v45 :: v_dual_bitop2_b32 v2, 7, v48 bitop3:0x40
; %bb.102:                              ;   in Loop: Header=BB314_9 Depth=1
	s_or_b32 exec_lo, exec_lo, s31
	s_delay_alu instid0(VALU_DEP_1) | instskip(NEXT) | instid1(VALU_DEP_2)
	v_dual_lshlrev_b32 v47, 16, v47 :: v_dual_lshlrev_b32 v2, 20, v2
	v_lshl_add_u32 v45, v45, 23, 0x3c000000
	s_delay_alu instid0(VALU_DEP_2) | instskip(NEXT) | instid1(VALU_DEP_1)
	v_and_b32_e32 v47, 0x80000000, v47
	v_or3_b32 v45, v2, v47, v45
.LBB314_103:                            ;   in Loop: Header=BB314_9 Depth=1
	s_or_b32 exec_lo, exec_lo, s30
.LBB314_104:                            ;   in Loop: Header=BB314_9 Depth=1
	s_delay_alu instid0(SALU_CYCLE_1)
	s_or_b32 exec_lo, exec_lo, s29
.LBB314_105:                            ;   in Loop: Header=BB314_9 Depth=1
	s_delay_alu instid0(SALU_CYCLE_1)
	s_or_b32 exec_lo, exec_lo, s28
	global_load_u16 v2, v[8:9], off offset:384
	v_mov_b32_e32 v47, 0
	s_wait_loadcnt 0x0
	v_and_b32_e32 v48, 0xff, v2
	v_and_b32_e32 v49, 0xffff, v2
	s_delay_alu instid0(VALU_DEP_2)
	v_cmp_ne_u16_e64 s5, 0, v48
	v_mov_b32_e32 v48, 0
	s_and_saveexec_b32 s28, s5
	s_cbranch_execz .LBB314_113
; %bb.106:                              ;   in Loop: Header=BB314_9 Depth=1
	v_and_b32_e32 v2, 0xff, v49
	v_bfrev_b32_e32 v48, 1
	s_mov_b32 s29, exec_lo
	s_delay_alu instid0(VALU_DEP_2)
	v_cmpx_ne_u16_e32 0x80, v2
	s_cbranch_execz .LBB314_112
; %bb.107:                              ;   in Loop: Header=BB314_9 Depth=1
	v_and_b32_e32 v50, 0x7f, v49
	v_mov_b32_e32 v48, 0x7f800001
	s_mov_b32 s30, exec_lo
	s_delay_alu instid0(VALU_DEP_2)
	v_cmpx_ne_u32_e32 0x7f, v50
	s_cbranch_execz .LBB314_111
; %bb.108:                              ;   in Loop: Header=BB314_9 Depth=1
	v_dual_lshrrev_b32 v48, 3, v50 :: v_dual_bitop2_b32 v2, 7, v49 bitop3:0x40
	s_mov_b32 s31, exec_lo
	v_cmpx_gt_u32_e32 8, v50
; %bb.109:                              ;   in Loop: Header=BB314_9 Depth=1
	s_delay_alu instid0(VALU_DEP_2) | instskip(NEXT) | instid1(VALU_DEP_1)
	v_clz_i32_u32_e32 v48, v2
	v_min_u32_e32 v48, 32, v48
	s_delay_alu instid0(VALU_DEP_1) | instskip(NEXT) | instid1(VALU_DEP_1)
	v_subrev_nc_u32_e32 v50, 28, v48
	v_lshlrev_b64_e32 v[50:51], v50, v[2:3]
	s_delay_alu instid0(VALU_DEP_1)
	v_dual_sub_nc_u32 v48, 29, v48 :: v_dual_bitop2_b32 v2, 7, v50 bitop3:0x40
; %bb.110:                              ;   in Loop: Header=BB314_9 Depth=1
	s_or_b32 exec_lo, exec_lo, s31
	s_delay_alu instid0(VALU_DEP_1) | instskip(NEXT) | instid1(VALU_DEP_2)
	v_dual_lshlrev_b32 v50, 24, v49 :: v_dual_lshlrev_b32 v2, 20, v2
	v_lshl_add_u32 v48, v48, 23, 0x3c000000
	s_delay_alu instid0(VALU_DEP_2) | instskip(NEXT) | instid1(VALU_DEP_1)
	v_and_b32_e32 v50, 0x80000000, v50
	v_or3_b32 v48, v2, v50, v48
.LBB314_111:                            ;   in Loop: Header=BB314_9 Depth=1
	s_or_b32 exec_lo, exec_lo, s30
.LBB314_112:                            ;   in Loop: Header=BB314_9 Depth=1
	s_delay_alu instid0(SALU_CYCLE_1)
	s_or_b32 exec_lo, exec_lo, s29
.LBB314_113:                            ;   in Loop: Header=BB314_9 Depth=1
	s_delay_alu instid0(SALU_CYCLE_1) | instskip(SKIP_2) | instid1(VALU_DEP_1)
	s_or_b32 exec_lo, exec_lo, s28
	v_lshrrev_b16 v2, 8, v49
	s_mov_b32 s28, exec_lo
	v_cmpx_ne_u16_e32 0, v2
	s_cbranch_execz .LBB314_121
; %bb.114:                              ;   in Loop: Header=BB314_9 Depth=1
	v_bfrev_b32_e32 v47, 1
	s_mov_b32 s29, exec_lo
	v_cmpx_ne_u16_e32 0x80, v2
	s_cbranch_execz .LBB314_120
; %bb.115:                              ;   in Loop: Header=BB314_9 Depth=1
	v_and_b32_e32 v2, 0xffff, v2
	v_mov_b32_e32 v47, 0x7f800001
	s_mov_b32 s30, exec_lo
	s_delay_alu instid0(VALU_DEP_2) | instskip(NEXT) | instid1(VALU_DEP_1)
	v_and_b32_e32 v50, 0x7f, v2
	v_cmpx_ne_u32_e32 0x7f, v50
	s_cbranch_execz .LBB314_119
; %bb.116:                              ;   in Loop: Header=BB314_9 Depth=1
	v_and_b32_e32 v2, 7, v2
	v_lshrrev_b32_e32 v47, 3, v50
	s_mov_b32 s31, exec_lo
	v_cmpx_gt_u32_e32 8, v50
; %bb.117:                              ;   in Loop: Header=BB314_9 Depth=1
	s_delay_alu instid0(VALU_DEP_3) | instskip(NEXT) | instid1(VALU_DEP_1)
	v_clz_i32_u32_e32 v47, v2
	v_min_u32_e32 v47, 32, v47
	s_delay_alu instid0(VALU_DEP_1) | instskip(NEXT) | instid1(VALU_DEP_1)
	v_subrev_nc_u32_e32 v50, 28, v47
	v_lshlrev_b64_e32 v[50:51], v50, v[2:3]
	s_delay_alu instid0(VALU_DEP_1)
	v_dual_sub_nc_u32 v47, 29, v47 :: v_dual_bitop2_b32 v2, 7, v50 bitop3:0x40
; %bb.118:                              ;   in Loop: Header=BB314_9 Depth=1
	s_or_b32 exec_lo, exec_lo, s31
	s_delay_alu instid0(VALU_DEP_1) | instskip(NEXT) | instid1(VALU_DEP_2)
	v_dual_lshlrev_b32 v49, 16, v49 :: v_dual_lshlrev_b32 v2, 20, v2
	v_lshl_add_u32 v47, v47, 23, 0x3c000000
	s_delay_alu instid0(VALU_DEP_2) | instskip(NEXT) | instid1(VALU_DEP_1)
	v_and_b32_e32 v49, 0x80000000, v49
	v_or3_b32 v47, v2, v49, v47
.LBB314_119:                            ;   in Loop: Header=BB314_9 Depth=1
	s_or_b32 exec_lo, exec_lo, s30
.LBB314_120:                            ;   in Loop: Header=BB314_9 Depth=1
	s_delay_alu instid0(SALU_CYCLE_1)
	s_or_b32 exec_lo, exec_lo, s29
.LBB314_121:                            ;   in Loop: Header=BB314_9 Depth=1
	s_delay_alu instid0(SALU_CYCLE_1)
	s_or_b32 exec_lo, exec_lo, s28
	global_load_u16 v2, v[8:9], off offset:392
	s_wait_xcnt 0x0
	v_mov_b32_e32 v8, 0
	s_wait_loadcnt 0x0
	v_and_b32_e32 v9, 0xff, v2
	v_and_b32_e32 v49, 0xffff, v2
	s_delay_alu instid0(VALU_DEP_2)
	v_cmp_ne_u16_e64 s5, 0, v9
	v_mov_b32_e32 v9, 0
	s_and_saveexec_b32 s28, s5
	s_cbranch_execz .LBB314_129
; %bb.122:                              ;   in Loop: Header=BB314_9 Depth=1
	v_and_b32_e32 v2, 0xff, v49
	v_bfrev_b32_e32 v9, 1
	s_mov_b32 s29, exec_lo
	s_delay_alu instid0(VALU_DEP_2)
	v_cmpx_ne_u16_e32 0x80, v2
	s_cbranch_execz .LBB314_128
; %bb.123:                              ;   in Loop: Header=BB314_9 Depth=1
	v_and_b32_e32 v50, 0x7f, v49
	v_mov_b32_e32 v9, 0x7f800001
	s_mov_b32 s30, exec_lo
	s_delay_alu instid0(VALU_DEP_2)
	v_cmpx_ne_u32_e32 0x7f, v50
	s_cbranch_execz .LBB314_127
; %bb.124:                              ;   in Loop: Header=BB314_9 Depth=1
	v_dual_lshrrev_b32 v9, 3, v50 :: v_dual_bitop2_b32 v2, 7, v49 bitop3:0x40
	s_mov_b32 s31, exec_lo
	v_cmpx_gt_u32_e32 8, v50
; %bb.125:                              ;   in Loop: Header=BB314_9 Depth=1
	s_delay_alu instid0(VALU_DEP_2) | instskip(NEXT) | instid1(VALU_DEP_1)
	v_clz_i32_u32_e32 v9, v2
	v_min_u32_e32 v9, 32, v9
	s_delay_alu instid0(VALU_DEP_1) | instskip(NEXT) | instid1(VALU_DEP_1)
	v_subrev_nc_u32_e32 v50, 28, v9
	v_lshlrev_b64_e32 v[50:51], v50, v[2:3]
	s_delay_alu instid0(VALU_DEP_1)
	v_dual_sub_nc_u32 v9, 29, v9 :: v_dual_bitop2_b32 v2, 7, v50 bitop3:0x40
; %bb.126:                              ;   in Loop: Header=BB314_9 Depth=1
	s_or_b32 exec_lo, exec_lo, s31
	s_delay_alu instid0(VALU_DEP_1) | instskip(NEXT) | instid1(VALU_DEP_2)
	v_dual_lshlrev_b32 v50, 24, v49 :: v_dual_lshlrev_b32 v2, 20, v2
	v_lshl_add_u32 v9, v9, 23, 0x3c000000
	s_delay_alu instid0(VALU_DEP_2) | instskip(NEXT) | instid1(VALU_DEP_1)
	v_and_b32_e32 v50, 0x80000000, v50
	v_or3_b32 v9, v2, v50, v9
.LBB314_127:                            ;   in Loop: Header=BB314_9 Depth=1
	s_or_b32 exec_lo, exec_lo, s30
.LBB314_128:                            ;   in Loop: Header=BB314_9 Depth=1
	s_delay_alu instid0(SALU_CYCLE_1)
	s_or_b32 exec_lo, exec_lo, s29
.LBB314_129:                            ;   in Loop: Header=BB314_9 Depth=1
	s_delay_alu instid0(SALU_CYCLE_1) | instskip(SKIP_2) | instid1(VALU_DEP_1)
	s_or_b32 exec_lo, exec_lo, s28
	v_lshrrev_b16 v2, 8, v49
	s_mov_b32 s28, exec_lo
	v_cmpx_ne_u16_e32 0, v2
	s_cbranch_execz .LBB314_137
; %bb.130:                              ;   in Loop: Header=BB314_9 Depth=1
	v_bfrev_b32_e32 v8, 1
	s_mov_b32 s29, exec_lo
	v_cmpx_ne_u16_e32 0x80, v2
	s_cbranch_execz .LBB314_136
; %bb.131:                              ;   in Loop: Header=BB314_9 Depth=1
	v_and_b32_e32 v2, 0xffff, v2
	v_mov_b32_e32 v8, 0x7f800001
	s_mov_b32 s30, exec_lo
	s_delay_alu instid0(VALU_DEP_2) | instskip(NEXT) | instid1(VALU_DEP_1)
	v_and_b32_e32 v50, 0x7f, v2
	v_cmpx_ne_u32_e32 0x7f, v50
	s_cbranch_execz .LBB314_135
; %bb.132:                              ;   in Loop: Header=BB314_9 Depth=1
	v_and_b32_e32 v2, 7, v2
	v_lshrrev_b32_e32 v8, 3, v50
	s_mov_b32 s31, exec_lo
	v_cmpx_gt_u32_e32 8, v50
; %bb.133:                              ;   in Loop: Header=BB314_9 Depth=1
	s_delay_alu instid0(VALU_DEP_3) | instskip(NEXT) | instid1(VALU_DEP_1)
	v_clz_i32_u32_e32 v8, v2
	v_min_u32_e32 v8, 32, v8
	s_delay_alu instid0(VALU_DEP_1) | instskip(NEXT) | instid1(VALU_DEP_1)
	v_subrev_nc_u32_e32 v50, 28, v8
	v_lshlrev_b64_e32 v[50:51], v50, v[2:3]
	s_delay_alu instid0(VALU_DEP_1)
	v_dual_sub_nc_u32 v8, 29, v8 :: v_dual_bitop2_b32 v2, 7, v50 bitop3:0x40
; %bb.134:                              ;   in Loop: Header=BB314_9 Depth=1
	s_or_b32 exec_lo, exec_lo, s31
	s_delay_alu instid0(VALU_DEP_1) | instskip(NEXT) | instid1(VALU_DEP_2)
	v_dual_lshlrev_b32 v49, 16, v49 :: v_dual_lshlrev_b32 v2, 20, v2
	v_lshl_add_u32 v8, v8, 23, 0x3c000000
	s_delay_alu instid0(VALU_DEP_2) | instskip(NEXT) | instid1(VALU_DEP_1)
	v_and_b32_e32 v49, 0x80000000, v49
	v_or3_b32 v8, v2, v49, v8
.LBB314_135:                            ;   in Loop: Header=BB314_9 Depth=1
	s_or_b32 exec_lo, exec_lo, s30
.LBB314_136:                            ;   in Loop: Header=BB314_9 Depth=1
	s_delay_alu instid0(SALU_CYCLE_1)
	s_or_b32 exec_lo, exec_lo, s29
.LBB314_137:                            ;   in Loop: Header=BB314_9 Depth=1
	s_delay_alu instid0(SALU_CYCLE_1)
	s_or_b32 exec_lo, exec_lo, s28
	s_wait_kmcnt 0x0
	v_fma_mixlo_bf16 v2, s10, v38, 0
	v_fma_mixlo_bf16 v37, s10, v37, 0
	;; [unrolled: 1-line block ×5, first 2 shown]
	s_delay_alu instid0(VALU_DEP_4) | instskip(SKIP_3) | instid1(VALU_DEP_4)
	v_dual_lshlrev_b32 v2, 16, v2 :: v_dual_lshlrev_b32 v37, 16, v37
	v_fma_mixlo_bf16 v39, s10, v40, 0
	v_fma_mixlo_bf16 v9, s10, v9, 0
	;; [unrolled: 1-line block ×3, first 2 shown]
	v_dual_mul_f32 v2, v14, v2 :: v_dual_mul_f32 v37, v15, v37
	s_delay_alu instid0(VALU_DEP_1) | instskip(NEXT) | instid1(VALU_DEP_2)
	v_fma_mix_f32_bf16 v2, v12, v36, v2 op_sel_hi:[0,1,0]
	v_fma_mix_f32_bf16 v35, v13, v35, v37 op_sel_hi:[0,1,0]
	v_fma_mixlo_bf16 v36, s10, v41, 0
	v_fma_mixlo_bf16 v37, s10, v42, 0
	s_delay_alu instid0(VALU_DEP_4) | instskip(NEXT) | instid1(VALU_DEP_4)
	v_fma_mix_f32_bf16 v2, v17, v39, v2 op_sel_hi:[0,1,0]
	v_fma_mix_f32_bf16 v35, v18, v38, v35 op_sel_hi:[0,1,0]
	v_fma_mixlo_bf16 v38, s10, v43, 0
	v_fma_mixlo_bf16 v39, s10, v44, 0
	s_delay_alu instid0(VALU_DEP_4) | instskip(NEXT) | instid1(VALU_DEP_4)
	v_fma_mix_f32_bf16 v2, v19, v37, v2 op_sel_hi:[0,1,0]
	v_fma_mix_f32_bf16 v35, v20, v36, v35 op_sel_hi:[0,1,0]
	v_fma_mixlo_bf16 v36, s10, v45, 0
	v_fma_mixlo_bf16 v37, s10, v46, 0
	s_delay_alu instid0(VALU_DEP_4) | instskip(NEXT) | instid1(VALU_DEP_4)
	v_fma_mix_f32_bf16 v2, v21, v39, v2 op_sel_hi:[0,1,0]
	v_fma_mix_f32_bf16 v35, v22, v38, v35 op_sel_hi:[0,1,0]
	v_fma_mixlo_bf16 v38, s10, v47, 0
	v_fma_mixlo_bf16 v39, s10, v48, 0
	s_delay_alu instid0(VALU_DEP_4) | instskip(NEXT) | instid1(VALU_DEP_4)
	v_fma_mix_f32_bf16 v2, v23, v37, v2 op_sel_hi:[0,1,0]
	v_fma_mix_f32_bf16 v35, v24, v36, v35 op_sel_hi:[0,1,0]
	s_delay_alu instid0(VALU_DEP_2) | instskip(NEXT) | instid1(VALU_DEP_2)
	v_fma_mix_f32_bf16 v2, v25, v39, v2 op_sel_hi:[0,1,0]
	v_fma_mix_f32_bf16 v35, v26, v38, v35 op_sel_hi:[0,1,0]
	s_delay_alu instid0(VALU_DEP_2) | instskip(NEXT) | instid1(VALU_DEP_2)
	v_fma_mix_f32_bf16 v2, v28, v9, v2 op_sel_hi:[0,1,0]
	v_fma_mix_f32_bf16 v8, v29, v8, v35 op_sel_hi:[0,1,0]
	s_delay_alu instid0(VALU_DEP_1)
	v_add_f32_e32 v2, v2, v8
	ds_bpermute_b32 v8, v30, v2
	s_wait_dscnt 0x0
	v_add_f32_e32 v2, v2, v8
	ds_bpermute_b32 v8, v31, v2
	s_and_saveexec_b32 s28, vcc_lo
	s_cbranch_execz .LBB314_8
; %bb.138:                              ;   in Loop: Header=BB314_9 Depth=1
	s_wait_dscnt 0x0
	v_add_f32_e32 v2, v2, v8
	v_add_nc_u32_e32 v9, s27, v32
	v_cmp_gt_i32_e64 s5, s25, v32
	s_delay_alu instid0(VALU_DEP_2) | instskip(NEXT) | instid1(VALU_DEP_1)
	v_cvt_f32_i32_e32 v9, v9
	v_mul_f32_e32 v9, s20, v9
	s_delay_alu instid0(VALU_DEP_1) | instskip(NEXT) | instid1(VALU_DEP_1)
	v_dual_cndmask_b32 v8, 0, v9, s4 :: v_dual_max_num_f32 v9, v27, v27
	v_fmac_f32_e32 v8, s11, v2
	s_delay_alu instid0(VALU_DEP_1) | instskip(NEXT) | instid1(VALU_DEP_1)
	v_dual_max_num_f32 v2, v9, v8 :: v_dual_cndmask_b32 v8, 0, v8, s5
	v_cndmask_b32_e64 v27, v27, v2, s5
	ds_store_b32 v33, v8
	s_branch .LBB314_8
.LBB314_139:
	s_or_b32 exec_lo, exec_lo, s19
.LBB314_140:
	s_delay_alu instid0(SALU_CYCLE_1)
	s_or_b32 exec_lo, exec_lo, s21
	v_dual_max_num_f32 v6, v27, v27 :: v_dual_bitop2_b32 v2, 16, v10 bitop3:0x14
	v_xor_b32_e32 v5, 8, v10
	s_clause 0x1
	s_load_b64 s[10:11], s[0:1], 0x0
	s_load_b64 s[20:21], s[0:1], 0x18
	v_and_b32_e32 v24, 31, v0
	v_cmp_lt_i32_e32 vcc_lo, v2, v11
	v_cndmask_b32_e32 v2, v10, v2, vcc_lo
	v_cmp_lt_i32_e32 vcc_lo, v5, v11
	s_delay_alu instid0(VALU_DEP_2) | instskip(SKIP_3) | instid1(VALU_DEP_1)
	v_dual_cndmask_b32 v5, v10, v5 :: v_dual_lshlrev_b32 v2, 2, v2
	ds_bpermute_b32 v4, v2, v27
	s_wait_dscnt 0x0
	v_dual_max_num_f32 v7, v4, v4 :: v_dual_lshlrev_b32 v4, 2, v5
	v_dual_max_num_f32 v5, v6, v7 :: v_dual_bitop2_b32 v7, 4, v10 bitop3:0x14
	ds_bpermute_b32 v6, v4, v5
	s_wait_dscnt 0x0
	v_max_num_f32_e32 v6, v6, v6
	s_delay_alu instid0(VALU_DEP_1) | instskip(SKIP_3) | instid1(VALU_DEP_2)
	v_dual_max_num_f32 v6, v5, v6 :: v_dual_lshlrev_b32 v5, 2, v1
	v_cmp_lt_i32_e32 vcc_lo, v7, v11
	v_cndmask_b32_e32 v7, v10, v7, vcc_lo
	v_cmp_eq_u32_e32 vcc_lo, 0, v24
	v_lshlrev_b32_e32 v7, 2, v7
	ds_bpermute_b32 v8, v7, v6
	s_wait_xcnt 0x0
	s_and_saveexec_b32 s0, vcc_lo
	s_cbranch_execz .LBB314_142
; %bb.141:
	s_wait_dscnt 0x0
	v_dual_max_num_f32 v8, v8, v8 :: v_dual_max_num_f32 v6, v6, v6
	s_delay_alu instid0(VALU_DEP_1)
	v_max_num_f32_e32 v6, v6, v8
	ds_store_b32 v5, v6 offset:128
.LBB314_142:
	s_or_b32 exec_lo, exec_lo, s0
	v_cmp_gt_u32_e64 s0, 4, v24
	v_dual_mov_b32 v9, 0xff7fffff :: v_dual_lshlrev_b32 v6, 2, v24
	s_wait_dscnt 0x0
	s_barrier_signal -1
	s_barrier_wait -1
	s_and_saveexec_b32 s1, s0
; %bb.143:
	ds_load_b32 v9, v6 offset:128
; %bb.144:
	s_or_b32 exec_lo, exec_lo, s1
	s_wait_dscnt 0x0
	v_dual_max_num_f32 v14, v9, v9 :: v_dual_bitop2_b32 v8, 2, v10 bitop3:0x14
	v_dual_lshlrev_b32 v3, 2, v3 :: v_dual_bitop2_b32 v13, 1, v10 bitop3:0x14
	s_delay_alu instid0(VALU_DEP_2) | instskip(NEXT) | instid1(VALU_DEP_1)
	v_cmp_lt_i32_e64 s1, v8, v11
	v_cndmask_b32_e64 v8, v10, v8, s1
	s_delay_alu instid0(VALU_DEP_3) | instskip(NEXT) | instid1(VALU_DEP_2)
	v_cmp_lt_i32_e64 s1, v13, v11
	v_lshlrev_b32_e32 v8, 2, v8
	ds_bpermute_b32 v12, v8, v9
	v_cndmask_b32_e64 v9, v10, v13, s1
	s_lshl_b32 s1, s13, 3
	s_wait_kmcnt 0x0
	s_min_i32 s5, s1, s25
	s_delay_alu instid0(VALU_DEP_1) | instskip(SKIP_3) | instid1(VALU_DEP_1)
	v_lshlrev_b32_e32 v9, 2, v9
	v_cmp_gt_i32_e64 s1, s5, v0
	s_wait_dscnt 0x0
	v_max_num_f32_e32 v11, v12, v12
	v_max_num_f32_e32 v11, v14, v11
	ds_bpermute_b32 v12, v9, v11
	s_wait_dscnt 0x0
	v_max_num_f32_e32 v12, v12, v12
	s_delay_alu instid0(VALU_DEP_1)
	v_max_num_f32_e32 v11, v11, v12
	ds_bpermute_b32 v11, v3, v11
	v_mov_b32_e32 v3, 0
	s_and_saveexec_b32 s19, s1
	s_cbranch_execz .LBB314_148
; %bb.145:
	v_lshl_add_u32 v12, v0, 2, 0xa0
	v_dual_mov_b32 v3, 0 :: v_dual_mov_b32 v13, v0
	s_mov_b32 s26, 0
.LBB314_146:                            ; =>This Inner Loop Header: Depth=1
	ds_load_b32 v14, v12
	v_add_nc_u32_e32 v13, 0x80, v13
	s_delay_alu instid0(VALU_DEP_1) | instskip(SKIP_3) | instid1(VALU_DEP_1)
	v_cmp_le_i32_e64 s4, s5, v13
	s_or_b32 s26, s4, s26
	s_wait_dscnt 0x0
	v_sub_f32_e32 v14, v14, v11
	v_mul_f32_e32 v14, 0x3fb8aa3b, v14
	s_delay_alu instid0(VALU_DEP_1)
	v_exp_f32_e32 v14, v14
	ds_store_b32 v12, v14
	v_nop
	v_dual_add_f32 v3, v3, v14 :: v_dual_add_nc_u32 v12, 0x200, v12
	s_and_not1_b32 exec_lo, exec_lo, s26
	s_cbranch_execnz .LBB314_146
; %bb.147:
	s_or_b32 exec_lo, exec_lo, s26
.LBB314_148:
	s_delay_alu instid0(SALU_CYCLE_1)
	s_or_b32 exec_lo, exec_lo, s19
	ds_bpermute_b32 v2, v2, v3
	s_wait_dscnt 0x0
	v_add_f32_e32 v2, v3, v2
	ds_bpermute_b32 v3, v4, v2
	s_wait_dscnt 0x0
	v_add_f32_e32 v2, v2, v3
	;; [unrolled: 3-line block ×5, first 2 shown]
	s_and_saveexec_b32 s4, vcc_lo
; %bb.149:
	ds_store_b32 v5, v2 offset:144
; %bb.150:
	s_or_b32 exec_lo, exec_lo, s4
	s_wait_dscnt 0x0
	s_barrier_signal -1
	s_barrier_wait -1
	s_and_saveexec_b32 s4, s0
; %bb.151:
	ds_load_b32 v2, v6 offset:144
; %bb.152:
	s_or_b32 exec_lo, exec_lo, s4
	s_wait_dscnt 0x0
	ds_bpermute_b32 v3, v8, v2
	s_wait_dscnt 0x0
	v_dual_lshlrev_b32 v4, 2, v10 :: v_dual_add_f32 v2, v2, v3
	ds_bpermute_b32 v3, v9, v2
	s_wait_dscnt 0x0
	v_add_f32_e32 v2, v2, v3
	v_and_b32_e32 v3, 0xffffff80, v4
	ds_bpermute_b32 v2, v3, v2
	s_and_saveexec_b32 s0, s1
	s_cbranch_execz .LBB314_165
; %bb.153:
	s_wait_dscnt 0x0
	v_add_f32_e32 v2, 0x358637bd, v2
	s_mov_b32 s4, -1
	s_mov_b32 s1, exec_lo
	s_delay_alu instid0(VALU_DEP_1) | instskip(NEXT) | instid1(VALU_DEP_1)
	v_div_scale_f32 v3, null, v2, v2, 1.0
	v_rcp_f32_e32 v5, v3
	v_nop
	s_delay_alu instid0(TRANS32_DEP_1) | instskip(NEXT) | instid1(VALU_DEP_1)
	v_fma_f32 v4, -v3, v5, 1.0
	v_fmac_f32_e32 v5, v4, v5
	v_div_scale_f32 v6, vcc_lo, 1.0, v2, 1.0
	s_delay_alu instid0(VALU_DEP_1) | instskip(NEXT) | instid1(VALU_DEP_1)
	v_mul_f32_e32 v7, v6, v5
	v_fma_f32 v4, -v3, v7, v6
	s_delay_alu instid0(VALU_DEP_1) | instskip(SKIP_1) | instid1(VALU_DEP_2)
	v_fmac_f32_e32 v7, v4, v5
	v_xad_u32 v4, v0, -1, s5
	v_fma_f32 v3, -v3, v7, v6
	s_delay_alu instid0(VALU_DEP_1) | instskip(NEXT) | instid1(VALU_DEP_1)
	v_div_fmas_f32 v3, v3, v5, v7
	v_div_fixup_f32 v2, v3, v2, 1.0
	v_mov_b32_e32 v3, v0
	v_cmpx_lt_u32_e32 0x7f, v4
	s_cbranch_execz .LBB314_162
; %bb.154:
	s_delay_alu instid0(VALU_DEP_3) | instskip(NEXT) | instid1(VALU_DEP_1)
	v_dual_mov_b32 v3, v2 :: v_dual_lshrrev_b32 v4, 7, v4
	v_dual_mov_b32 v8, 0 :: v_dual_add_nc_u32 v5, -1, v4
	s_delay_alu instid0(VALU_DEP_1) | instskip(SKIP_1) | instid1(VALU_DEP_2)
	v_lshrrev_b32_e32 v6, 1, v5
	v_cmp_lt_u32_e32 vcc_lo, 13, v5
	v_add_nc_u32_e32 v5, 1, v6
	s_and_saveexec_b32 s4, vcc_lo
	s_cbranch_execz .LBB314_158
; %bb.155:
	s_delay_alu instid0(VALU_DEP_1)
	v_and_b32_e32 v6, -8, v5
	v_lshl_add_u32 v7, v0, 2, 0xa0
	s_mov_b32 s19, 0
	s_mov_b32 s26, 0
.LBB314_156:                            ; =>This Inner Loop Header: Depth=1
	ds_load_2addr_stride64_b32 v[8:9], v7 offset1:2
	ds_load_2addr_stride64_b32 v[10:11], v7 offset0:4 offset1:6
	ds_load_2addr_stride64_b32 v[12:13], v7 offset0:8 offset1:10
	;; [unrolled: 1-line block ×7, first 2 shown]
	s_add_co_i32 s26, s26, 16
	v_add_nc_u32_e32 v6, -8, v6
	s_wait_dscnt 0x7
	v_pk_mul_f32 v[8:9], v[2:3], v[8:9]
	s_wait_dscnt 0x6
	v_pk_mul_f32 v[10:11], v[2:3], v[10:11]
	;; [unrolled: 2-line block ×8, first 2 shown]
	ds_store_2addr_stride64_b32 v7, v8, v9 offset1:2
	ds_store_2addr_stride64_b32 v7, v10, v11 offset0:4 offset1:6
	ds_store_2addr_stride64_b32 v7, v12, v13 offset0:8 offset1:10
	;; [unrolled: 1-line block ×7, first 2 shown]
	v_mov_b32_e32 v8, s26
	v_cmp_eq_u32_e32 vcc_lo, 0, v6
	v_add_nc_u32_e32 v7, 0x2000, v7
	s_or_b32 s19, vcc_lo, s19
	s_delay_alu instid0(SALU_CYCLE_1)
	s_and_not1_b32 exec_lo, exec_lo, s19
	s_cbranch_execnz .LBB314_156
; %bb.157:
	s_or_b32 exec_lo, exec_lo, s19
.LBB314_158:
	s_delay_alu instid0(SALU_CYCLE_1) | instskip(NEXT) | instid1(VALU_DEP_1)
	s_or_b32 exec_lo, exec_lo, s4
	v_and_b32_e32 v5, 7, v5
	s_mov_b32 s19, 0
	s_mov_b32 s4, exec_lo
	s_delay_alu instid0(VALU_DEP_1)
	v_cmpx_ne_u32_e32 0, v5
	s_cbranch_execz .LBB314_161
; %bb.159:
	v_lshlrev_b32_e32 v6, 9, v8
	v_lshlrev_b32_e32 v7, 2, v0
	s_delay_alu instid0(VALU_DEP_1)
	v_add3_u32 v6, v6, v7, 0xa0
.LBB314_160:                            ; =>This Inner Loop Header: Depth=1
	ds_load_2addr_stride64_b32 v[8:9], v6 offset1:2
	v_add_nc_u32_e32 v5, -1, v5
	s_delay_alu instid0(VALU_DEP_1)
	v_cmp_eq_u32_e32 vcc_lo, 0, v5
	s_or_b32 s19, vcc_lo, s19
	s_wait_dscnt 0x0
	v_pk_mul_f32 v[8:9], v[2:3], v[8:9]
	ds_store_2addr_stride64_b32 v6, v8, v9 offset1:2
	v_add_nc_u32_e32 v6, 0x400, v6
	s_and_not1_b32 exec_lo, exec_lo, s19
	s_cbranch_execnz .LBB314_160
.LBB314_161:
	s_or_b32 exec_lo, exec_lo, s4
	v_add_nc_u32_e32 v3, 1, v4
	s_delay_alu instid0(VALU_DEP_1) | instskip(NEXT) | instid1(VALU_DEP_1)
	v_and_b32_e32 v4, 0x3fffffe, v3
	v_cmp_ne_u32_e32 vcc_lo, v3, v4
	v_lshl_add_u32 v3, v4, 7, v0
	s_or_not1_b32 s4, vcc_lo, exec_lo
.LBB314_162:
	s_or_b32 exec_lo, exec_lo, s1
	s_delay_alu instid0(SALU_CYCLE_1)
	s_and_b32 exec_lo, exec_lo, s4
	s_cbranch_execz .LBB314_165
; %bb.163:
	v_lshl_add_u32 v4, v3, 2, 0xa0
	s_mov_b32 s1, 0
.LBB314_164:                            ; =>This Inner Loop Header: Depth=1
	ds_load_b32 v5, v4
	v_add_nc_u32_e32 v3, 0x80, v3
	s_delay_alu instid0(VALU_DEP_1)
	v_cmp_le_i32_e32 vcc_lo, s5, v3
	s_or_b32 s1, vcc_lo, s1
	s_wait_dscnt 0x0
	v_mul_f32_e32 v5, v2, v5
	ds_store_b32 v4, v5
	v_add_nc_u32_e32 v4, 0x200, v4
	s_and_not1_b32 exec_lo, exec_lo, s1
	s_cbranch_execnz .LBB314_164
.LBB314_165:
	s_or_b32 exec_lo, exec_lo, s0
	v_mov_b64_e32 v[10:11], 0
	s_wait_dscnt 0x0
	s_barrier_signal -1
	s_barrier_wait -1
	s_and_saveexec_b32 s1, s3
	s_cbranch_execz .LBB314_293
; %bb.166:
	s_load_b32 s3, s[6:7], 0x0
	v_dual_mov_b32 v13, 0 :: v_dual_lshlrev_b32 v12, 3, v24
	s_ashr_i32 s19, s18, 31
	v_lshl_or_b32 v25, v1, 3, 7
	s_add_nc_u64 s[4:5], s[20:21], s[18:19]
	v_lshl_add_u32 v26, v1, 5, 0xa0
	v_add_nc_u64_e32 v[14:15], s[4:5], v[12:13]
	v_and_b32_e32 v12, 0x7c, v16
	s_lshl_b64 s[4:5], s[14:15], 2
	v_dual_mov_b32 v27, v1 :: v_dual_mov_b32 v10, v13
	s_add_nc_u64 s[4:5], s[16:17], s[4:5]
	v_mov_b32_e32 v11, v13
	v_add_nc_u64_e32 v[16:17], s[4:5], v[12:13]
	s_mov_b64 s[4:5], 0xffffffffffffff
	s_wait_xcnt 0x0
	s_mov_b32 s6, s9
	s_add_co_i32 s9, s13, -1
	s_mov_b32 s7, 0
	s_branch .LBB314_168
.LBB314_167:                            ;   in Loop: Header=BB314_168 Depth=1
	s_or_b32 exec_lo, exec_lo, s0
	s_wait_dscnt 0x1
	v_cvt_pk_bf16_f32 v6, v6, v7
	v_perm_b32 v7, v32, v33, 0x5040100
	s_wait_dscnt 0x0
	v_cvt_pk_bf16_f32 v3, v2, v3
	v_cvt_pk_bf16_f32 v8, v8, v9
	;; [unrolled: 1-line block ×3, first 2 shown]
	v_perm_b32 v5, v29, v31, 0x5040100
	v_pk_mul_bf16 v2, v6, v7
	v_perm_b32 v7, v22, v23, 0x5040100
	v_perm_b32 v9, v30, v28, 0x5040100
	;; [unrolled: 1-line block ×3, first 2 shown]
	v_pk_mul_bf16 v5, v8, v5
	v_dual_add_nc_u32 v27, 4, v27 :: v_dual_add_nc_u32 v25, 32, v25
	v_pk_mul_bf16 v28, v3, v7
	v_perm_b32 v7, v20, v43, 0x5040100
	v_pk_mul_bf16 v29, v4, v9
	v_perm_b32 v9, v12, v18, 0x5040100
	v_perm_b32 v12, v21, v19, 0x5040100
	v_pk_mul_bf16 v6, v6, v23
	v_pk_mul_bf16 v8, v8, v7
	v_lshlrev_b32_e32 v22, 16, v2
	v_and_b32_e32 v2, 0xffff0000, v2
	v_and_b32_e32 v20, 0xffff0000, v5
	v_pk_mul_bf16 v3, v3, v9
	v_pk_mul_bf16 v12, v4, v12
	v_lshlrev_b32_e32 v7, 16, v6
	v_dual_add_f32 v2, v2, v22 :: v_dual_lshlrev_b32 v22, 16, v5
	v_and_b32_e32 v5, 0xffff0000, v6
	v_and_b32_e32 v4, 0xffff0000, v8
	v_lshlrev_b32_e32 v6, 16, v8
	v_and_b32_e32 v9, 0xffff0000, v3
	v_lshlrev_b32_e32 v19, 16, v3
	;; [unrolled: 2-line block ×3, first 2 shown]
	v_pk_add_f32 v[4:5], v[6:7], v[4:5]
	v_lshlrev_b32_e32 v12, 16, v28
	v_and_b32_e32 v21, 0xffff0000, v28
	v_add_f32_e32 v6, v20, v22
	v_pk_add_f32 v[8:9], v[18:19], v[8:9]
	v_dual_mov_b32 v7, v4 :: v_dual_mov_b32 v3, v5
	v_and_b32_e32 v18, 0xffff0000, v29
	v_dual_add_f32 v4, v21, v12 :: v_dual_lshlrev_b32 v12, 16, v29
	s_delay_alu instid0(VALU_DEP_4) | instskip(NEXT) | instid1(VALU_DEP_4)
	v_mov_b32_e32 v5, v9
	v_pk_add_f32 v[2:3], v[6:7], v[2:3]
	v_mov_b32_e32 v7, v8
	v_cmp_le_i32_e32 vcc_lo, s13, v27
	v_add_f32_e32 v6, v18, v12
	v_add_nc_u64_e32 v[16:17], 16, v[16:17]
	v_pk_add_f32 v[2:3], v[4:5], v[2:3]
	v_add_nc_u32_e32 v26, 0x80, v26
	s_or_b32 s7, vcc_lo, s7
	s_delay_alu instid0(VALU_DEP_2) | instskip(NEXT) | instid1(VALU_DEP_1)
	v_pk_add_f32 v[2:3], v[6:7], v[2:3]
	v_pk_add_f32 v[10:11], v[10:11], v[2:3]
	s_and_not1_b32 exec_lo, exec_lo, s7
	s_cbranch_execz .LBB314_292
.LBB314_168:                            ; =>This Inner Loop Header: Depth=1
	global_load_b32 v2, v[16:17], off
	v_mov_b32_e32 v28, 0
	s_mov_b32 s0, exec_lo
	s_wait_loadcnt 0x0
	v_mad_nc_i64_i32 v[18:19], v2, s6, v[14:15]
	global_load_b64 v[20:21], v[18:19], off
	ds_load_2addr_b64 v[6:9], v26 offset1:1
	ds_load_2addr_b64 v[2:5], v26 offset0:2 offset1:3
	s_wait_loadcnt 0x0
	v_and_b32_e32 v12, 0xff, v20
	s_delay_alu instid0(VALU_DEP_1)
	v_cmpx_ne_u16_e32 0, v12
	s_cbranch_execz .LBB314_174
; %bb.169:                              ;   in Loop: Header=BB314_168 Depth=1
	v_bfrev_b32_e32 v28, 1
	s_mov_b32 s14, exec_lo
	v_cmpx_ne_u16_e32 0x80, v12
	s_cbranch_execz .LBB314_173
; %bb.170:                              ;   in Loop: Header=BB314_168 Depth=1
	v_and_b32_e32 v12, 0x7f, v20
	v_mov_b32_e32 v28, 0x7f800001
	s_mov_b32 s15, exec_lo
	s_delay_alu instid0(VALU_DEP_2)
	v_cmpx_ne_u32_e32 0x7f, v12
	s_cbranch_execz .LBB314_172
; %bb.171:                              ;   in Loop: Header=BB314_168 Depth=1
	v_and_b32_e32 v22, 7, v20
	v_cmp_gt_u32_e32 vcc_lo, 8, v12
	s_delay_alu instid0(VALU_DEP_2) | instskip(NEXT) | instid1(VALU_DEP_1)
	v_clz_i32_u32_e32 v22, v22
	v_min_u32_e32 v22, 32, v22
	v_lshrrev_b32_e32 v23, 3, v12
	s_delay_alu instid0(VALU_DEP_2) | instskip(SKIP_1) | instid1(VALU_DEP_1)
	v_subrev_nc_u32_e32 v28, 28, v22
	v_sub_nc_u32_e32 v22, 29, v22
	v_dual_cndmask_b32 v12, v23, v22, vcc_lo :: v_dual_cndmask_b32 v22, 0, v28, vcc_lo
	s_delay_alu instid0(VALU_DEP_1) | instskip(NEXT) | instid1(VALU_DEP_2)
	v_lshl_add_u32 v12, v12, 23, 0x3c000000
	v_lshlrev_b64_e32 v[22:23], v22, v[20:21]
	v_lshlrev_b32_e32 v23, 24, v20
	s_delay_alu instid0(VALU_DEP_1) | instskip(NEXT) | instid1(VALU_DEP_3)
	v_and_b32_e32 v23, 0x80000000, v23
	v_lshlrev_b32_e32 v22, 20, v22
	s_delay_alu instid0(VALU_DEP_1) | instskip(NEXT) | instid1(VALU_DEP_1)
	v_and_b32_e32 v22, 0x700000, v22
	v_or3_b32 v28, v22, v23, v12
.LBB314_172:                            ;   in Loop: Header=BB314_168 Depth=1
	s_or_b32 exec_lo, exec_lo, s15
.LBB314_173:                            ;   in Loop: Header=BB314_168 Depth=1
	s_delay_alu instid0(SALU_CYCLE_1)
	s_or_b32 exec_lo, exec_lo, s14
.LBB314_174:                            ;   in Loop: Header=BB314_168 Depth=1
	s_delay_alu instid0(SALU_CYCLE_1) | instskip(SKIP_3) | instid1(VALU_DEP_2)
	s_or_b32 exec_lo, exec_lo, s0
	v_lshrrev_b16 v12, 8, v20
	v_dual_mov_b32 v30, 0 :: v_dual_mov_b32 v32, 0
	s_mov_b32 s0, exec_lo
	v_cmpx_ne_u16_e32 0, v12
	s_cbranch_execz .LBB314_182
; %bb.175:                              ;   in Loop: Header=BB314_168 Depth=1
	v_bfrev_b32_e32 v32, 1
	s_mov_b32 s14, exec_lo
	v_cmpx_ne_u16_e32 0x80, v12
	s_cbranch_execz .LBB314_181
; %bb.176:                              ;   in Loop: Header=BB314_168 Depth=1
	v_and_b32_e32 v12, 0xffff, v12
	v_mov_b32_e32 v32, 0x7f800001
	s_mov_b32 s15, exec_lo
	s_delay_alu instid0(VALU_DEP_2) | instskip(NEXT) | instid1(VALU_DEP_1)
	v_and_b32_e32 v23, 0x7f, v12
	v_cmpx_ne_u32_e32 0x7f, v23
	s_cbranch_execz .LBB314_180
; %bb.177:                              ;   in Loop: Header=BB314_168 Depth=1
	v_dual_lshrrev_b32 v22, 3, v23 :: v_dual_bitop2_b32 v12, 7, v12 bitop3:0x40
	s_mov_b32 s16, exec_lo
	v_cmpx_gt_u32_e32 8, v23
; %bb.178:                              ;   in Loop: Header=BB314_168 Depth=1
	s_delay_alu instid0(VALU_DEP_2) | instskip(NEXT) | instid1(VALU_DEP_1)
	v_clz_i32_u32_e32 v22, v12
	v_min_u32_e32 v22, 32, v22
	s_delay_alu instid0(VALU_DEP_1) | instskip(NEXT) | instid1(VALU_DEP_1)
	v_subrev_nc_u32_e32 v23, 28, v22
	v_lshlrev_b64_e32 v[32:33], v23, v[12:13]
	s_delay_alu instid0(VALU_DEP_1)
	v_dual_sub_nc_u32 v22, 29, v22 :: v_dual_bitop2_b32 v12, 7, v32 bitop3:0x40
; %bb.179:                              ;   in Loop: Header=BB314_168 Depth=1
	s_or_b32 exec_lo, exec_lo, s16
	v_lshlrev_b32_e32 v23, 16, v20
	s_delay_alu instid0(VALU_DEP_2) | instskip(NEXT) | instid1(VALU_DEP_3)
	v_lshlrev_b32_e32 v12, 20, v12
	v_lshl_add_u32 v22, v22, 23, 0x3c000000
	s_delay_alu instid0(VALU_DEP_3) | instskip(NEXT) | instid1(VALU_DEP_1)
	v_and_b32_e32 v23, 0x80000000, v23
	v_or3_b32 v32, v12, v23, v22
.LBB314_180:                            ;   in Loop: Header=BB314_168 Depth=1
	s_or_b32 exec_lo, exec_lo, s15
.LBB314_181:                            ;   in Loop: Header=BB314_168 Depth=1
	s_delay_alu instid0(SALU_CYCLE_1)
	s_or_b32 exec_lo, exec_lo, s14
.LBB314_182:                            ;   in Loop: Header=BB314_168 Depth=1
	s_delay_alu instid0(SALU_CYCLE_1) | instskip(SKIP_2) | instid1(VALU_DEP_1)
	s_or_b32 exec_lo, exec_lo, s0
	v_lshrrev_b32_e32 v22, 16, v20
	s_mov_b32 s0, exec_lo
	v_and_b32_e32 v12, 0xff, v22
	s_delay_alu instid0(VALU_DEP_1)
	v_cmpx_ne_u16_e32 0, v12
	s_cbranch_execz .LBB314_190
; %bb.183:                              ;   in Loop: Header=BB314_168 Depth=1
	v_bfrev_b32_e32 v30, 1
	s_mov_b32 s14, exec_lo
	v_cmpx_ne_u16_e32 0x80, v12
	s_cbranch_execz .LBB314_189
; %bb.184:                              ;   in Loop: Header=BB314_168 Depth=1
	v_bfe_u32 v29, v20, 16, 7
	v_mov_b32_e32 v30, 0x7f800001
	s_mov_b32 s15, exec_lo
	s_delay_alu instid0(VALU_DEP_2)
	v_cmpx_ne_u32_e32 0x7f, v29
	s_cbranch_execz .LBB314_188
; %bb.185:                              ;   in Loop: Header=BB314_168 Depth=1
	v_dual_lshrrev_b32 v23, 3, v29 :: v_dual_bitop2_b32 v12, 7, v22 bitop3:0x40
	s_mov_b32 s16, exec_lo
	v_cmpx_gt_u32_e32 8, v29
; %bb.186:                              ;   in Loop: Header=BB314_168 Depth=1
	s_delay_alu instid0(VALU_DEP_2) | instskip(NEXT) | instid1(VALU_DEP_1)
	v_clz_i32_u32_e32 v23, v12
	v_min_u32_e32 v23, 32, v23
	s_delay_alu instid0(VALU_DEP_1) | instskip(NEXT) | instid1(VALU_DEP_1)
	v_subrev_nc_u32_e32 v29, 28, v23
	v_lshlrev_b64_e32 v[30:31], v29, v[12:13]
	s_delay_alu instid0(VALU_DEP_1)
	v_dual_sub_nc_u32 v23, 29, v23 :: v_dual_bitop2_b32 v12, 7, v30 bitop3:0x40
; %bb.187:                              ;   in Loop: Header=BB314_168 Depth=1
	s_or_b32 exec_lo, exec_lo, s16
	s_delay_alu instid0(VALU_DEP_1) | instskip(NEXT) | instid1(VALU_DEP_2)
	v_dual_lshlrev_b32 v22, 24, v22 :: v_dual_lshlrev_b32 v12, 20, v12
	v_lshl_add_u32 v23, v23, 23, 0x3c000000
	s_delay_alu instid0(VALU_DEP_2) | instskip(NEXT) | instid1(VALU_DEP_1)
	v_and_b32_e32 v22, 0x80000000, v22
	v_or3_b32 v30, v12, v22, v23
.LBB314_188:                            ;   in Loop: Header=BB314_168 Depth=1
	s_or_b32 exec_lo, exec_lo, s15
.LBB314_189:                            ;   in Loop: Header=BB314_168 Depth=1
	s_delay_alu instid0(SALU_CYCLE_1)
	s_or_b32 exec_lo, exec_lo, s14
.LBB314_190:                            ;   in Loop: Header=BB314_168 Depth=1
	s_delay_alu instid0(SALU_CYCLE_1)
	s_or_b32 exec_lo, exec_lo, s0
	v_dual_mov_b32 v29, 0 :: v_dual_mov_b32 v31, 0
	s_mov_b32 s0, exec_lo
	v_cmpx_lt_u32_e32 0xffffff, v20
	s_cbranch_execz .LBB314_198
; %bb.191:                              ;   in Loop: Header=BB314_168 Depth=1
	v_lshrrev_b32_e32 v22, 24, v20
	v_bfrev_b32_e32 v31, 1
	s_mov_b32 s14, exec_lo
	s_delay_alu instid0(VALU_DEP_2)
	v_cmpx_ne_u32_e32 0x80, v22
	s_cbranch_execz .LBB314_197
; %bb.192:                              ;   in Loop: Header=BB314_168 Depth=1
	v_bfe_u32 v33, v20, 24, 7
	v_mov_b32_e32 v31, 0x7f800001
	s_mov_b32 s15, exec_lo
	s_delay_alu instid0(VALU_DEP_2)
	v_cmpx_ne_u32_e32 0x7f, v33
	s_cbranch_execz .LBB314_196
; %bb.193:                              ;   in Loop: Header=BB314_168 Depth=1
	v_dual_lshrrev_b32 v23, 3, v33 :: v_dual_bitop2_b32 v12, 7, v22 bitop3:0x40
	s_mov_b32 s16, exec_lo
	v_cmpx_gt_u32_e32 8, v33
; %bb.194:                              ;   in Loop: Header=BB314_168 Depth=1
	s_delay_alu instid0(VALU_DEP_2) | instskip(NEXT) | instid1(VALU_DEP_1)
	v_clz_i32_u32_e32 v23, v12
	v_min_u32_e32 v23, 32, v23
	s_delay_alu instid0(VALU_DEP_1) | instskip(NEXT) | instid1(VALU_DEP_1)
	v_subrev_nc_u32_e32 v31, 28, v23
	v_lshlrev_b64_e32 v[34:35], v31, v[12:13]
	s_delay_alu instid0(VALU_DEP_1)
	v_dual_sub_nc_u32 v23, 29, v23 :: v_dual_bitop2_b32 v12, 7, v34 bitop3:0x40
; %bb.195:                              ;   in Loop: Header=BB314_168 Depth=1
	s_or_b32 exec_lo, exec_lo, s16
	s_delay_alu instid0(VALU_DEP_1) | instskip(NEXT) | instid1(VALU_DEP_2)
	v_dual_lshlrev_b32 v22, 24, v22 :: v_dual_lshlrev_b32 v12, 20, v12
	v_lshl_add_u32 v23, v23, 23, 0x3c000000
	s_delay_alu instid0(VALU_DEP_2) | instskip(NEXT) | instid1(VALU_DEP_1)
	v_and_b32_e32 v22, 0x80000000, v22
	v_or3_b32 v31, v12, v22, v23
.LBB314_196:                            ;   in Loop: Header=BB314_168 Depth=1
	s_or_b32 exec_lo, exec_lo, s15
.LBB314_197:                            ;   in Loop: Header=BB314_168 Depth=1
	s_delay_alu instid0(SALU_CYCLE_1)
	s_or_b32 exec_lo, exec_lo, s14
.LBB314_198:                            ;   in Loop: Header=BB314_168 Depth=1
	s_delay_alu instid0(SALU_CYCLE_1) | instskip(SKIP_3) | instid1(VALU_DEP_2)
	s_or_b32 exec_lo, exec_lo, s0
	v_and_b32_e32 v22, 0xff, v21
	v_mov_b32_e32 v12, v21
	s_mov_b32 s0, exec_lo
	v_cmpx_ne_u16_e32 0, v22
	s_cbranch_execz .LBB314_204
; %bb.199:                              ;   in Loop: Header=BB314_168 Depth=1
	v_bfrev_b32_e32 v29, 1
	s_mov_b32 s14, exec_lo
	v_cmpx_ne_u16_e32 0x80, v22
	s_cbranch_execz .LBB314_203
; %bb.200:                              ;   in Loop: Header=BB314_168 Depth=1
	v_and_b32_e32 v22, 0x7f, v21
	v_mov_b32_e32 v29, 0x7f800001
	s_mov_b32 s15, exec_lo
	s_delay_alu instid0(VALU_DEP_2)
	v_cmpx_ne_u32_e32 0x7f, v22
	s_cbranch_execz .LBB314_202
; %bb.201:                              ;   in Loop: Header=BB314_168 Depth=1
	v_dual_lshrrev_b32 v29, 3, v22 :: v_dual_bitop2_b32 v23, 7, v21 bitop3:0x40
	v_cmp_gt_u32_e32 vcc_lo, 8, v22
	s_delay_alu instid0(VALU_DEP_2) | instskip(NEXT) | instid1(VALU_DEP_1)
	v_clz_i32_u32_e32 v23, v23
	v_min_u32_e32 v23, 32, v23
	s_delay_alu instid0(VALU_DEP_1) | instskip(NEXT) | instid1(VALU_DEP_1)
	v_subrev_nc_u32_e32 v33, 28, v23
	v_dual_cndmask_b32 v22, 0, v33 :: v_dual_sub_nc_u32 v23, 29, v23
	s_delay_alu instid0(VALU_DEP_1) | instskip(NEXT) | instid1(VALU_DEP_2)
	v_cndmask_b32_e32 v29, v29, v23, vcc_lo
	v_lshlrev_b64_e32 v[22:23], v22, v[12:13]
	v_lshlrev_b32_e32 v23, 24, v12
	s_delay_alu instid0(VALU_DEP_3) | instskip(NEXT) | instid1(VALU_DEP_2)
	v_lshl_add_u32 v29, v29, 23, 0x3c000000
	v_and_b32_e32 v23, 0x80000000, v23
	s_delay_alu instid0(VALU_DEP_4) | instskip(NEXT) | instid1(VALU_DEP_1)
	v_lshlrev_b32_e32 v22, 20, v22
	v_and_b32_e32 v22, 0x700000, v22
	s_delay_alu instid0(VALU_DEP_1)
	v_or3_b32 v29, v22, v23, v29
.LBB314_202:                            ;   in Loop: Header=BB314_168 Depth=1
	s_or_b32 exec_lo, exec_lo, s15
.LBB314_203:                            ;   in Loop: Header=BB314_168 Depth=1
	s_delay_alu instid0(SALU_CYCLE_1)
	s_or_b32 exec_lo, exec_lo, s14
.LBB314_204:                            ;   in Loop: Header=BB314_168 Depth=1
	s_delay_alu instid0(SALU_CYCLE_1) | instskip(SKIP_3) | instid1(VALU_DEP_2)
	s_or_b32 exec_lo, exec_lo, s0
	v_lshrrev_b16 v23, 8, v12
	v_dual_mov_b32 v35, 0 :: v_dual_mov_b32 v22, 0
	s_mov_b32 s0, exec_lo
	v_cmpx_ne_u16_e32 0, v23
	s_cbranch_execz .LBB314_212
; %bb.205:                              ;   in Loop: Header=BB314_168 Depth=1
	v_bfrev_b32_e32 v22, 1
	s_mov_b32 s14, exec_lo
	v_cmpx_ne_u16_e32 0x80, v23
	s_cbranch_execz .LBB314_211
; %bb.206:                              ;   in Loop: Header=BB314_168 Depth=1
	v_and_b32_e32 v23, 0xffff, v23
	v_mov_b32_e32 v22, 0x7f800001
	s_mov_b32 s15, exec_lo
	s_delay_alu instid0(VALU_DEP_2) | instskip(NEXT) | instid1(VALU_DEP_1)
	v_and_b32_e32 v34, 0x7f, v23
	v_cmpx_ne_u32_e32 0x7f, v34
	s_cbranch_execz .LBB314_210
; %bb.207:                              ;   in Loop: Header=BB314_168 Depth=1
	v_dual_mov_b32 v23, v13 :: v_dual_bitop2_b32 v22, 7, v23 bitop3:0x40
	v_lshrrev_b32_e32 v33, 3, v34
	s_mov_b32 s16, exec_lo
	v_cmpx_gt_u32_e32 8, v34
; %bb.208:                              ;   in Loop: Header=BB314_168 Depth=1
	s_delay_alu instid0(VALU_DEP_3) | instskip(NEXT) | instid1(VALU_DEP_1)
	v_clz_i32_u32_e32 v33, v22
	v_min_u32_e32 v33, 32, v33
	s_delay_alu instid0(VALU_DEP_1) | instskip(NEXT) | instid1(VALU_DEP_1)
	v_subrev_nc_u32_e32 v34, 28, v33
	v_lshlrev_b64_e32 v[22:23], v34, v[22:23]
	s_delay_alu instid0(VALU_DEP_1)
	v_dual_sub_nc_u32 v33, 29, v33 :: v_dual_bitop2_b32 v22, 7, v22 bitop3:0x40
; %bb.209:                              ;   in Loop: Header=BB314_168 Depth=1
	s_or_b32 exec_lo, exec_lo, s16
	s_delay_alu instid0(VALU_DEP_1) | instskip(NEXT) | instid1(VALU_DEP_2)
	v_dual_lshlrev_b32 v12, 16, v12 :: v_dual_lshlrev_b32 v22, 20, v22
	v_lshl_add_u32 v23, v33, 23, 0x3c000000
	s_delay_alu instid0(VALU_DEP_2) | instskip(NEXT) | instid1(VALU_DEP_1)
	v_and_b32_e32 v12, 0x80000000, v12
	v_or3_b32 v22, v22, v12, v23
.LBB314_210:                            ;   in Loop: Header=BB314_168 Depth=1
	s_or_b32 exec_lo, exec_lo, s15
.LBB314_211:                            ;   in Loop: Header=BB314_168 Depth=1
	s_delay_alu instid0(SALU_CYCLE_1)
	s_or_b32 exec_lo, exec_lo, s14
.LBB314_212:                            ;   in Loop: Header=BB314_168 Depth=1
	s_delay_alu instid0(SALU_CYCLE_1) | instskip(SKIP_2) | instid1(VALU_DEP_1)
	s_or_b32 exec_lo, exec_lo, s0
	v_lshrrev_b32_e32 v23, 16, v21
	s_mov_b32 s0, exec_lo
	v_and_b32_e32 v12, 0xff, v23
	s_delay_alu instid0(VALU_DEP_1)
	v_cmpx_ne_u16_e32 0, v12
	s_cbranch_execz .LBB314_220
; %bb.213:                              ;   in Loop: Header=BB314_168 Depth=1
	v_bfrev_b32_e32 v35, 1
	s_mov_b32 s14, exec_lo
	v_cmpx_ne_u16_e32 0x80, v12
	s_cbranch_execz .LBB314_219
; %bb.214:                              ;   in Loop: Header=BB314_168 Depth=1
	v_bfe_u32 v34, v21, 16, 7
	v_mov_b32_e32 v35, 0x7f800001
	s_mov_b32 s15, exec_lo
	s_delay_alu instid0(VALU_DEP_2)
	v_cmpx_ne_u32_e32 0x7f, v34
	s_cbranch_execz .LBB314_218
; %bb.215:                              ;   in Loop: Header=BB314_168 Depth=1
	v_dual_lshrrev_b32 v33, 3, v34 :: v_dual_bitop2_b32 v12, 7, v23 bitop3:0x40
	s_mov_b32 s16, exec_lo
	v_cmpx_gt_u32_e32 8, v34
; %bb.216:                              ;   in Loop: Header=BB314_168 Depth=1
	s_delay_alu instid0(VALU_DEP_2) | instskip(NEXT) | instid1(VALU_DEP_1)
	v_clz_i32_u32_e32 v33, v12
	v_min_u32_e32 v33, 32, v33
	s_delay_alu instid0(VALU_DEP_1) | instskip(NEXT) | instid1(VALU_DEP_1)
	v_subrev_nc_u32_e32 v34, 28, v33
	v_lshlrev_b64_e32 v[34:35], v34, v[12:13]
	s_delay_alu instid0(VALU_DEP_1)
	v_dual_sub_nc_u32 v33, 29, v33 :: v_dual_bitop2_b32 v12, 7, v34 bitop3:0x40
; %bb.217:                              ;   in Loop: Header=BB314_168 Depth=1
	s_or_b32 exec_lo, exec_lo, s16
	s_delay_alu instid0(VALU_DEP_1) | instskip(NEXT) | instid1(VALU_DEP_2)
	v_dual_lshlrev_b32 v23, 24, v23 :: v_dual_lshlrev_b32 v12, 20, v12
	v_lshl_add_u32 v33, v33, 23, 0x3c000000
	s_delay_alu instid0(VALU_DEP_2) | instskip(NEXT) | instid1(VALU_DEP_1)
	v_and_b32_e32 v23, 0x80000000, v23
	v_or3_b32 v35, v12, v23, v33
.LBB314_218:                            ;   in Loop: Header=BB314_168 Depth=1
	s_or_b32 exec_lo, exec_lo, s15
.LBB314_219:                            ;   in Loop: Header=BB314_168 Depth=1
	s_delay_alu instid0(SALU_CYCLE_1)
	s_or_b32 exec_lo, exec_lo, s14
.LBB314_220:                            ;   in Loop: Header=BB314_168 Depth=1
	s_delay_alu instid0(SALU_CYCLE_1)
	s_or_b32 exec_lo, exec_lo, s0
	v_mov_b32_e32 v12, 0
	s_mov_b32 s0, exec_lo
	v_cmpx_lt_u64_e64 s[4:5], v[20:21]
	s_cbranch_execz .LBB314_228
; %bb.221:                              ;   in Loop: Header=BB314_168 Depth=1
	v_lshrrev_b32_e32 v20, 24, v21
	v_bfrev_b32_e32 v12, 1
	s_mov_b32 s14, exec_lo
	s_delay_alu instid0(VALU_DEP_2)
	v_cmpx_ne_u32_e32 0x80, v20
	s_cbranch_execz .LBB314_227
; %bb.222:                              ;   in Loop: Header=BB314_168 Depth=1
	v_bfe_u32 v23, v21, 24, 7
	v_mov_b32_e32 v12, 0x7f800001
	s_mov_b32 s15, exec_lo
	s_delay_alu instid0(VALU_DEP_2)
	v_cmpx_ne_u32_e32 0x7f, v23
	s_cbranch_execz .LBB314_226
; %bb.223:                              ;   in Loop: Header=BB314_168 Depth=1
	v_dual_lshrrev_b32 v21, 3, v23 :: v_dual_bitop2_b32 v12, 7, v20 bitop3:0x40
	s_mov_b32 s16, exec_lo
	v_cmpx_gt_u32_e32 8, v23
; %bb.224:                              ;   in Loop: Header=BB314_168 Depth=1
	s_delay_alu instid0(VALU_DEP_2) | instskip(NEXT) | instid1(VALU_DEP_1)
	v_clz_i32_u32_e32 v21, v12
	v_min_u32_e32 v21, 32, v21
	s_delay_alu instid0(VALU_DEP_1) | instskip(NEXT) | instid1(VALU_DEP_1)
	v_subrev_nc_u32_e32 v23, 28, v21
	v_lshlrev_b64_e32 v[36:37], v23, v[12:13]
	s_delay_alu instid0(VALU_DEP_1)
	v_dual_sub_nc_u32 v21, 29, v21 :: v_dual_bitop2_b32 v12, 7, v36 bitop3:0x40
; %bb.225:                              ;   in Loop: Header=BB314_168 Depth=1
	s_or_b32 exec_lo, exec_lo, s16
	v_lshlrev_b32_e32 v20, 24, v20
	s_delay_alu instid0(VALU_DEP_2) | instskip(NEXT) | instid1(VALU_DEP_3)
	v_lshlrev_b32_e32 v12, 20, v12
	v_lshl_add_u32 v21, v21, 23, 0x3c000000
	s_delay_alu instid0(VALU_DEP_3) | instskip(NEXT) | instid1(VALU_DEP_1)
	v_and_b32_e32 v20, 0x80000000, v20
	v_or3_b32 v12, v12, v20, v21
.LBB314_226:                            ;   in Loop: Header=BB314_168 Depth=1
	s_or_b32 exec_lo, exec_lo, s15
.LBB314_227:                            ;   in Loop: Header=BB314_168 Depth=1
	s_delay_alu instid0(SALU_CYCLE_1)
	s_or_b32 exec_lo, exec_lo, s14
.LBB314_228:                            ;   in Loop: Header=BB314_168 Depth=1
	s_delay_alu instid0(SALU_CYCLE_1)
	s_or_b32 exec_lo, exec_lo, s0
	v_dual_add_nc_u32 v34, -7, v25 :: v_dual_add_nc_u32 v40, -6, v25
	v_cmp_eq_u32_e32 vcc_lo, s9, v27
	s_wait_kmcnt 0x0
	v_fma_mixlo_bf16 v22, s3, v22, 0
	v_fma_mixlo_bf16 v23, s3, v29, 0
	;; [unrolled: 1-line block ×8, first 2 shown]
	v_dual_add_nc_u32 v39, -5, v25 :: v_dual_add_nc_u32 v38, -4, v25
	v_dual_add_nc_u32 v37, -3, v25 :: v_dual_add_nc_u32 v36, -2, v25
	v_add_nc_u32_e32 v35, -1, v25
	s_and_saveexec_b32 s14, vcc_lo
	s_cbranch_execz .LBB314_230
; %bb.229:                              ;   in Loop: Header=BB314_168 Depth=1
	v_cmp_gt_i32_e64 s0, s25, v34
	s_delay_alu instid0(VALU_DEP_1) | instskip(SKIP_1) | instid1(VALU_DEP_1)
	v_cndmask_b32_e64 v33, 0, v33, s0
	v_cmp_gt_i32_e64 s0, s25, v40
	v_cndmask_b32_e64 v32, 0, v32, s0
	v_cmp_gt_i32_e64 s0, s25, v39
	s_delay_alu instid0(VALU_DEP_1) | instskip(SKIP_1) | instid1(VALU_DEP_1)
	v_cndmask_b32_e64 v31, 0, v31, s0
	v_cmp_gt_i32_e64 s0, s25, v38
	v_cndmask_b32_e64 v29, 0, v29, s0
	;; [unrolled: 5-line block ×4, first 2 shown]
.LBB314_230:                            ;   in Loop: Header=BB314_168 Depth=1
	s_or_b32 exec_lo, exec_lo, s14
	global_load_b64 v[18:19], v[18:19], off offset:256
	v_dual_mov_b32 v42, 0 :: v_dual_mov_b32 v41, 0
	s_mov_b32 s14, exec_lo
	s_wait_loadcnt 0x0
	v_and_b32_e32 v12, 0xff, v18
	s_delay_alu instid0(VALU_DEP_1)
	v_cmpx_ne_u16_e32 0, v12
	s_cbranch_execz .LBB314_236
; %bb.231:                              ;   in Loop: Header=BB314_168 Depth=1
	v_bfrev_b32_e32 v41, 1
	s_mov_b32 s15, exec_lo
	v_cmpx_ne_u16_e32 0x80, v12
	s_cbranch_execz .LBB314_235
; %bb.232:                              ;   in Loop: Header=BB314_168 Depth=1
	v_and_b32_e32 v12, 0x7f, v18
	v_mov_b32_e32 v41, 0x7f800001
	s_mov_b32 s16, exec_lo
	s_delay_alu instid0(VALU_DEP_2)
	v_cmpx_ne_u32_e32 0x7f, v12
	s_cbranch_execz .LBB314_234
; %bb.233:                              ;   in Loop: Header=BB314_168 Depth=1
	v_dual_lshrrev_b32 v21, 3, v12 :: v_dual_bitop2_b32 v20, 7, v18 bitop3:0x40
	v_cmp_gt_u32_e64 s0, 8, v12
	s_delay_alu instid0(VALU_DEP_2) | instskip(NEXT) | instid1(VALU_DEP_1)
	v_clz_i32_u32_e32 v20, v20
	v_min_u32_e32 v20, 32, v20
	s_delay_alu instid0(VALU_DEP_1) | instskip(SKIP_1) | instid1(VALU_DEP_1)
	v_subrev_nc_u32_e32 v41, 28, v20
	v_sub_nc_u32_e32 v20, 29, v20
	v_dual_cndmask_b32 v12, v21, v20, s0 :: v_dual_cndmask_b32 v20, 0, v41, s0
	s_delay_alu instid0(VALU_DEP_1) | instskip(NEXT) | instid1(VALU_DEP_2)
	v_lshl_add_u32 v12, v12, 23, 0x3c000000
	v_lshlrev_b64_e32 v[20:21], v20, v[18:19]
	v_lshlrev_b32_e32 v21, 24, v18
	s_delay_alu instid0(VALU_DEP_1) | instskip(NEXT) | instid1(VALU_DEP_3)
	v_and_b32_e32 v21, 0x80000000, v21
	v_lshlrev_b32_e32 v20, 20, v20
	s_delay_alu instid0(VALU_DEP_1) | instskip(NEXT) | instid1(VALU_DEP_1)
	v_and_b32_e32 v20, 0x700000, v20
	v_or3_b32 v41, v20, v21, v12
.LBB314_234:                            ;   in Loop: Header=BB314_168 Depth=1
	s_or_b32 exec_lo, exec_lo, s16
.LBB314_235:                            ;   in Loop: Header=BB314_168 Depth=1
	s_delay_alu instid0(SALU_CYCLE_1)
	s_or_b32 exec_lo, exec_lo, s15
.LBB314_236:                            ;   in Loop: Header=BB314_168 Depth=1
	s_delay_alu instid0(SALU_CYCLE_1) | instskip(SKIP_2) | instid1(VALU_DEP_1)
	s_or_b32 exec_lo, exec_lo, s14
	v_lshrrev_b16 v12, 8, v18
	s_mov_b32 s14, exec_lo
	v_cmpx_ne_u16_e32 0, v12
	s_cbranch_execz .LBB314_244
; %bb.237:                              ;   in Loop: Header=BB314_168 Depth=1
	v_bfrev_b32_e32 v42, 1
	s_mov_b32 s15, exec_lo
	v_cmpx_ne_u16_e32 0x80, v12
	s_cbranch_execz .LBB314_243
; %bb.238:                              ;   in Loop: Header=BB314_168 Depth=1
	v_and_b32_e32 v12, 0xffff, v12
	v_mov_b32_e32 v42, 0x7f800001
	s_mov_b32 s16, exec_lo
	s_delay_alu instid0(VALU_DEP_2) | instskip(NEXT) | instid1(VALU_DEP_1)
	v_and_b32_e32 v21, 0x7f, v12
	v_cmpx_ne_u32_e32 0x7f, v21
	s_cbranch_execz .LBB314_242
; %bb.239:                              ;   in Loop: Header=BB314_168 Depth=1
	v_dual_lshrrev_b32 v20, 3, v21 :: v_dual_bitop2_b32 v12, 7, v12 bitop3:0x40
	s_mov_b32 s17, exec_lo
	v_cmpx_gt_u32_e32 8, v21
; %bb.240:                              ;   in Loop: Header=BB314_168 Depth=1
	s_delay_alu instid0(VALU_DEP_2) | instskip(NEXT) | instid1(VALU_DEP_1)
	v_clz_i32_u32_e32 v20, v12
	v_min_u32_e32 v20, 32, v20
	s_delay_alu instid0(VALU_DEP_1) | instskip(NEXT) | instid1(VALU_DEP_1)
	v_subrev_nc_u32_e32 v21, 28, v20
	v_lshlrev_b64_e32 v[42:43], v21, v[12:13]
	s_delay_alu instid0(VALU_DEP_1)
	v_dual_sub_nc_u32 v20, 29, v20 :: v_dual_bitop2_b32 v12, 7, v42 bitop3:0x40
; %bb.241:                              ;   in Loop: Header=BB314_168 Depth=1
	s_or_b32 exec_lo, exec_lo, s17
	s_delay_alu instid0(VALU_DEP_1) | instskip(NEXT) | instid1(VALU_DEP_2)
	v_dual_lshlrev_b32 v21, 16, v18 :: v_dual_lshlrev_b32 v12, 20, v12
	v_lshl_add_u32 v20, v20, 23, 0x3c000000
	s_delay_alu instid0(VALU_DEP_2) | instskip(NEXT) | instid1(VALU_DEP_1)
	v_and_b32_e32 v21, 0x80000000, v21
	v_or3_b32 v42, v12, v21, v20
.LBB314_242:                            ;   in Loop: Header=BB314_168 Depth=1
	s_or_b32 exec_lo, exec_lo, s16
.LBB314_243:                            ;   in Loop: Header=BB314_168 Depth=1
	s_delay_alu instid0(SALU_CYCLE_1)
	s_or_b32 exec_lo, exec_lo, s15
.LBB314_244:                            ;   in Loop: Header=BB314_168 Depth=1
	s_delay_alu instid0(SALU_CYCLE_1) | instskip(SKIP_3) | instid1(VALU_DEP_2)
	s_or_b32 exec_lo, exec_lo, s14
	v_dual_lshrrev_b32 v20, 16, v18 :: v_dual_mov_b32 v44, 0
	v_mov_b32_e32 v43, 0
	s_mov_b32 s14, exec_lo
	v_and_b32_e32 v12, 0xff, v20
	s_delay_alu instid0(VALU_DEP_1)
	v_cmpx_ne_u16_e32 0, v12
	s_cbranch_execz .LBB314_252
; %bb.245:                              ;   in Loop: Header=BB314_168 Depth=1
	v_bfrev_b32_e32 v43, 1
	s_mov_b32 s15, exec_lo
	v_cmpx_ne_u16_e32 0x80, v12
	s_cbranch_execz .LBB314_251
; %bb.246:                              ;   in Loop: Header=BB314_168 Depth=1
	v_bfe_u32 v45, v18, 16, 7
	v_mov_b32_e32 v43, 0x7f800001
	s_mov_b32 s16, exec_lo
	s_delay_alu instid0(VALU_DEP_2)
	v_cmpx_ne_u32_e32 0x7f, v45
	s_cbranch_execz .LBB314_250
; %bb.247:                              ;   in Loop: Header=BB314_168 Depth=1
	v_dual_lshrrev_b32 v21, 3, v45 :: v_dual_bitop2_b32 v12, 7, v20 bitop3:0x40
	s_mov_b32 s17, exec_lo
	v_cmpx_gt_u32_e32 8, v45
; %bb.248:                              ;   in Loop: Header=BB314_168 Depth=1
	s_delay_alu instid0(VALU_DEP_2) | instskip(NEXT) | instid1(VALU_DEP_1)
	v_clz_i32_u32_e32 v21, v12
	v_min_u32_e32 v21, 32, v21
	s_delay_alu instid0(VALU_DEP_1) | instskip(NEXT) | instid1(VALU_DEP_1)
	v_subrev_nc_u32_e32 v43, 28, v21
	v_lshlrev_b64_e32 v[46:47], v43, v[12:13]
	s_delay_alu instid0(VALU_DEP_1)
	v_dual_sub_nc_u32 v21, 29, v21 :: v_dual_bitop2_b32 v12, 7, v46 bitop3:0x40
; %bb.249:                              ;   in Loop: Header=BB314_168 Depth=1
	s_or_b32 exec_lo, exec_lo, s17
	v_lshlrev_b32_e32 v20, 24, v20
	s_delay_alu instid0(VALU_DEP_2) | instskip(NEXT) | instid1(VALU_DEP_3)
	v_lshlrev_b32_e32 v12, 20, v12
	v_lshl_add_u32 v21, v21, 23, 0x3c000000
	s_delay_alu instid0(VALU_DEP_3) | instskip(NEXT) | instid1(VALU_DEP_1)
	v_and_b32_e32 v20, 0x80000000, v20
	v_or3_b32 v43, v12, v20, v21
.LBB314_250:                            ;   in Loop: Header=BB314_168 Depth=1
	s_or_b32 exec_lo, exec_lo, s16
.LBB314_251:                            ;   in Loop: Header=BB314_168 Depth=1
	s_delay_alu instid0(SALU_CYCLE_1)
	s_or_b32 exec_lo, exec_lo, s15
.LBB314_252:                            ;   in Loop: Header=BB314_168 Depth=1
	s_delay_alu instid0(SALU_CYCLE_1) | instskip(NEXT) | instid1(SALU_CYCLE_1)
	s_or_b32 exec_lo, exec_lo, s14
	s_mov_b32 s14, exec_lo
	v_cmpx_lt_u32_e32 0xffffff, v18
	s_cbranch_execz .LBB314_260
; %bb.253:                              ;   in Loop: Header=BB314_168 Depth=1
	v_lshrrev_b32_e32 v20, 24, v18
	v_bfrev_b32_e32 v44, 1
	s_mov_b32 s15, exec_lo
	s_delay_alu instid0(VALU_DEP_2)
	v_cmpx_ne_u32_e32 0x80, v20
	s_cbranch_execz .LBB314_259
; %bb.254:                              ;   in Loop: Header=BB314_168 Depth=1
	v_bfe_u32 v45, v18, 24, 7
	v_mov_b32_e32 v44, 0x7f800001
	s_mov_b32 s16, exec_lo
	s_delay_alu instid0(VALU_DEP_2)
	v_cmpx_ne_u32_e32 0x7f, v45
	s_cbranch_execz .LBB314_258
; %bb.255:                              ;   in Loop: Header=BB314_168 Depth=1
	v_dual_lshrrev_b32 v21, 3, v45 :: v_dual_bitop2_b32 v12, 7, v20 bitop3:0x40
	s_mov_b32 s17, exec_lo
	v_cmpx_gt_u32_e32 8, v45
; %bb.256:                              ;   in Loop: Header=BB314_168 Depth=1
	s_delay_alu instid0(VALU_DEP_2) | instskip(NEXT) | instid1(VALU_DEP_1)
	v_clz_i32_u32_e32 v21, v12
	v_min_u32_e32 v21, 32, v21
	s_delay_alu instid0(VALU_DEP_1) | instskip(NEXT) | instid1(VALU_DEP_1)
	v_subrev_nc_u32_e32 v44, 28, v21
	v_lshlrev_b64_e32 v[44:45], v44, v[12:13]
	s_delay_alu instid0(VALU_DEP_1)
	v_dual_sub_nc_u32 v21, 29, v21 :: v_dual_bitop2_b32 v12, 7, v44 bitop3:0x40
; %bb.257:                              ;   in Loop: Header=BB314_168 Depth=1
	s_or_b32 exec_lo, exec_lo, s17
	v_lshlrev_b32_e32 v20, 24, v20
	s_delay_alu instid0(VALU_DEP_2) | instskip(NEXT) | instid1(VALU_DEP_3)
	v_lshlrev_b32_e32 v12, 20, v12
	v_lshl_add_u32 v21, v21, 23, 0x3c000000
	s_delay_alu instid0(VALU_DEP_3) | instskip(NEXT) | instid1(VALU_DEP_1)
	v_and_b32_e32 v20, 0x80000000, v20
	v_or3_b32 v44, v12, v20, v21
.LBB314_258:                            ;   in Loop: Header=BB314_168 Depth=1
	s_or_b32 exec_lo, exec_lo, s16
.LBB314_259:                            ;   in Loop: Header=BB314_168 Depth=1
	s_delay_alu instid0(SALU_CYCLE_1)
	s_or_b32 exec_lo, exec_lo, s15
.LBB314_260:                            ;   in Loop: Header=BB314_168 Depth=1
	s_delay_alu instid0(SALU_CYCLE_1) | instskip(SKIP_4) | instid1(VALU_DEP_3)
	s_or_b32 exec_lo, exec_lo, s14
	v_and_b32_e32 v21, 0xff, v19
	v_dual_mov_b32 v12, v19 :: v_dual_mov_b32 v20, 0
	v_mov_b32_e32 v45, 0
	s_mov_b32 s14, exec_lo
	v_cmpx_ne_u16_e32 0, v21
	s_cbranch_execz .LBB314_266
; %bb.261:                              ;   in Loop: Header=BB314_168 Depth=1
	v_bfrev_b32_e32 v45, 1
	s_mov_b32 s15, exec_lo
	v_cmpx_ne_u16_e32 0x80, v21
	s_cbranch_execz .LBB314_265
; %bb.262:                              ;   in Loop: Header=BB314_168 Depth=1
	v_and_b32_e32 v21, 0x7f, v19
	v_mov_b32_e32 v45, 0x7f800001
	s_mov_b32 s16, exec_lo
	s_delay_alu instid0(VALU_DEP_2)
	v_cmpx_ne_u32_e32 0x7f, v21
	s_cbranch_execz .LBB314_264
; %bb.263:                              ;   in Loop: Header=BB314_168 Depth=1
	v_dual_lshrrev_b32 v46, 3, v21 :: v_dual_bitop2_b32 v45, 7, v19 bitop3:0x40
	v_cmp_gt_u32_e64 s0, 8, v21
	s_delay_alu instid0(VALU_DEP_2) | instskip(NEXT) | instid1(VALU_DEP_1)
	v_clz_i32_u32_e32 v45, v45
	v_min_u32_e32 v45, 32, v45
	s_delay_alu instid0(VALU_DEP_1) | instskip(SKIP_1) | instid1(VALU_DEP_1)
	v_subrev_nc_u32_e32 v47, 28, v45
	v_sub_nc_u32_e32 v45, 29, v45
	v_dual_cndmask_b32 v21, v46, v45, s0 :: v_dual_cndmask_b32 v45, 0, v47, s0
	s_delay_alu instid0(VALU_DEP_1) | instskip(NEXT) | instid1(VALU_DEP_2)
	v_lshl_add_u32 v21, v21, 23, 0x3c000000
	v_lshlrev_b64_e32 v[46:47], v45, v[12:13]
	v_lshlrev_b32_e32 v45, 24, v12
	s_delay_alu instid0(VALU_DEP_1) | instskip(NEXT) | instid1(VALU_DEP_3)
	v_and_b32_e32 v45, 0x80000000, v45
	v_lshlrev_b32_e32 v46, 20, v46
	s_delay_alu instid0(VALU_DEP_1) | instskip(NEXT) | instid1(VALU_DEP_1)
	v_and_b32_e32 v46, 0x700000, v46
	v_or3_b32 v45, v46, v45, v21
.LBB314_264:                            ;   in Loop: Header=BB314_168 Depth=1
	s_or_b32 exec_lo, exec_lo, s16
.LBB314_265:                            ;   in Loop: Header=BB314_168 Depth=1
	s_delay_alu instid0(SALU_CYCLE_1)
	s_or_b32 exec_lo, exec_lo, s15
.LBB314_266:                            ;   in Loop: Header=BB314_168 Depth=1
	s_delay_alu instid0(SALU_CYCLE_1) | instskip(SKIP_2) | instid1(VALU_DEP_1)
	s_or_b32 exec_lo, exec_lo, s14
	v_lshrrev_b16 v21, 8, v12
	s_mov_b32 s14, exec_lo
	v_cmpx_ne_u16_e32 0, v21
	s_cbranch_execz .LBB314_274
; %bb.267:                              ;   in Loop: Header=BB314_168 Depth=1
	v_bfrev_b32_e32 v20, 1
	s_mov_b32 s15, exec_lo
	v_cmpx_ne_u16_e32 0x80, v21
	s_cbranch_execz .LBB314_273
; %bb.268:                              ;   in Loop: Header=BB314_168 Depth=1
	v_and_b32_e32 v21, 0xffff, v21
	v_mov_b32_e32 v20, 0x7f800001
	s_mov_b32 s16, exec_lo
	s_delay_alu instid0(VALU_DEP_2) | instskip(NEXT) | instid1(VALU_DEP_1)
	v_and_b32_e32 v47, 0x7f, v21
	v_cmpx_ne_u32_e32 0x7f, v47
	s_cbranch_execz .LBB314_272
; %bb.269:                              ;   in Loop: Header=BB314_168 Depth=1
	v_dual_mov_b32 v21, v13 :: v_dual_bitop2_b32 v20, 7, v21 bitop3:0x40
	v_lshrrev_b32_e32 v46, 3, v47
	s_mov_b32 s17, exec_lo
	v_cmpx_gt_u32_e32 8, v47
; %bb.270:                              ;   in Loop: Header=BB314_168 Depth=1
	s_delay_alu instid0(VALU_DEP_3) | instskip(NEXT) | instid1(VALU_DEP_1)
	v_clz_i32_u32_e32 v46, v20
	v_min_u32_e32 v46, 32, v46
	s_delay_alu instid0(VALU_DEP_1) | instskip(NEXT) | instid1(VALU_DEP_1)
	v_subrev_nc_u32_e32 v47, 28, v46
	v_lshlrev_b64_e32 v[20:21], v47, v[20:21]
	s_delay_alu instid0(VALU_DEP_1)
	v_dual_sub_nc_u32 v46, 29, v46 :: v_dual_bitop2_b32 v20, 7, v20 bitop3:0x40
; %bb.271:                              ;   in Loop: Header=BB314_168 Depth=1
	s_or_b32 exec_lo, exec_lo, s17
	v_lshlrev_b32_e32 v12, 16, v12
	s_delay_alu instid0(VALU_DEP_2) | instskip(NEXT) | instid1(VALU_DEP_3)
	v_lshlrev_b32_e32 v20, 20, v20
	v_lshl_add_u32 v21, v46, 23, 0x3c000000
	s_delay_alu instid0(VALU_DEP_3) | instskip(NEXT) | instid1(VALU_DEP_1)
	v_and_b32_e32 v12, 0x80000000, v12
	v_or3_b32 v20, v20, v12, v21
.LBB314_272:                            ;   in Loop: Header=BB314_168 Depth=1
	s_or_b32 exec_lo, exec_lo, s16
.LBB314_273:                            ;   in Loop: Header=BB314_168 Depth=1
	s_delay_alu instid0(SALU_CYCLE_1)
	s_or_b32 exec_lo, exec_lo, s15
.LBB314_274:                            ;   in Loop: Header=BB314_168 Depth=1
	s_delay_alu instid0(SALU_CYCLE_1) | instskip(SKIP_3) | instid1(VALU_DEP_2)
	s_or_b32 exec_lo, exec_lo, s14
	v_dual_lshrrev_b32 v47, 16, v19 :: v_dual_mov_b32 v21, 0
	v_mov_b32_e32 v46, 0
	s_mov_b32 s14, exec_lo
	v_and_b32_e32 v12, 0xff, v47
	s_delay_alu instid0(VALU_DEP_1)
	v_cmpx_ne_u16_e32 0, v12
	s_cbranch_execz .LBB314_282
; %bb.275:                              ;   in Loop: Header=BB314_168 Depth=1
	v_bfrev_b32_e32 v46, 1
	s_mov_b32 s15, exec_lo
	v_cmpx_ne_u16_e32 0x80, v12
	s_cbranch_execz .LBB314_281
; %bb.276:                              ;   in Loop: Header=BB314_168 Depth=1
	v_bfe_u32 v48, v19, 16, 7
	v_mov_b32_e32 v46, 0x7f800001
	s_mov_b32 s16, exec_lo
	s_delay_alu instid0(VALU_DEP_2)
	v_cmpx_ne_u32_e32 0x7f, v48
	s_cbranch_execz .LBB314_280
; %bb.277:                              ;   in Loop: Header=BB314_168 Depth=1
	v_dual_lshrrev_b32 v46, 3, v48 :: v_dual_bitop2_b32 v12, 7, v47 bitop3:0x40
	s_mov_b32 s17, exec_lo
	v_cmpx_gt_u32_e32 8, v48
; %bb.278:                              ;   in Loop: Header=BB314_168 Depth=1
	s_delay_alu instid0(VALU_DEP_2) | instskip(NEXT) | instid1(VALU_DEP_1)
	v_clz_i32_u32_e32 v46, v12
	v_min_u32_e32 v46, 32, v46
	s_delay_alu instid0(VALU_DEP_1) | instskip(NEXT) | instid1(VALU_DEP_1)
	v_subrev_nc_u32_e32 v48, 28, v46
	v_lshlrev_b64_e32 v[48:49], v48, v[12:13]
	s_delay_alu instid0(VALU_DEP_1)
	v_dual_sub_nc_u32 v46, 29, v46 :: v_dual_bitop2_b32 v12, 7, v48 bitop3:0x40
; %bb.279:                              ;   in Loop: Header=BB314_168 Depth=1
	s_or_b32 exec_lo, exec_lo, s17
	s_delay_alu instid0(VALU_DEP_1) | instskip(NEXT) | instid1(VALU_DEP_2)
	v_dual_lshlrev_b32 v47, 24, v47 :: v_dual_lshlrev_b32 v12, 20, v12
	v_lshl_add_u32 v46, v46, 23, 0x3c000000
	s_delay_alu instid0(VALU_DEP_2) | instskip(NEXT) | instid1(VALU_DEP_1)
	v_and_b32_e32 v47, 0x80000000, v47
	v_or3_b32 v46, v12, v47, v46
.LBB314_280:                            ;   in Loop: Header=BB314_168 Depth=1
	s_or_b32 exec_lo, exec_lo, s16
.LBB314_281:                            ;   in Loop: Header=BB314_168 Depth=1
	s_delay_alu instid0(SALU_CYCLE_1)
	s_or_b32 exec_lo, exec_lo, s15
.LBB314_282:                            ;   in Loop: Header=BB314_168 Depth=1
	s_delay_alu instid0(SALU_CYCLE_1) | instskip(NEXT) | instid1(SALU_CYCLE_1)
	s_or_b32 exec_lo, exec_lo, s14
	s_mov_b32 s14, exec_lo
	v_cmpx_lt_u64_e64 s[4:5], v[18:19]
	s_cbranch_execz .LBB314_290
; %bb.283:                              ;   in Loop: Header=BB314_168 Depth=1
	v_lshrrev_b32_e32 v18, 24, v19
	v_bfrev_b32_e32 v21, 1
	s_mov_b32 s15, exec_lo
	s_delay_alu instid0(VALU_DEP_2)
	v_cmpx_ne_u32_e32 0x80, v18
	s_cbranch_execz .LBB314_289
; %bb.284:                              ;   in Loop: Header=BB314_168 Depth=1
	v_bfe_u32 v47, v19, 24, 7
	v_mov_b32_e32 v21, 0x7f800001
	s_mov_b32 s16, exec_lo
	s_delay_alu instid0(VALU_DEP_2)
	v_cmpx_ne_u32_e32 0x7f, v47
	s_cbranch_execz .LBB314_288
; %bb.285:                              ;   in Loop: Header=BB314_168 Depth=1
	v_dual_lshrrev_b32 v19, 3, v47 :: v_dual_bitop2_b32 v12, 7, v18 bitop3:0x40
	s_mov_b32 s17, exec_lo
	v_cmpx_gt_u32_e32 8, v47
; %bb.286:                              ;   in Loop: Header=BB314_168 Depth=1
	s_delay_alu instid0(VALU_DEP_2) | instskip(NEXT) | instid1(VALU_DEP_1)
	v_clz_i32_u32_e32 v19, v12
	v_min_u32_e32 v19, 32, v19
	s_delay_alu instid0(VALU_DEP_1) | instskip(NEXT) | instid1(VALU_DEP_1)
	v_subrev_nc_u32_e32 v21, 28, v19
	v_lshlrev_b64_e32 v[48:49], v21, v[12:13]
	s_delay_alu instid0(VALU_DEP_1)
	v_dual_sub_nc_u32 v19, 29, v19 :: v_dual_bitop2_b32 v12, 7, v48 bitop3:0x40
; %bb.287:                              ;   in Loop: Header=BB314_168 Depth=1
	s_or_b32 exec_lo, exec_lo, s17
	s_delay_alu instid0(VALU_DEP_1) | instskip(NEXT) | instid1(VALU_DEP_2)
	v_dual_lshlrev_b32 v18, 24, v18 :: v_dual_lshlrev_b32 v12, 20, v12
	v_lshl_add_u32 v19, v19, 23, 0x3c000000
	s_delay_alu instid0(VALU_DEP_2) | instskip(NEXT) | instid1(VALU_DEP_1)
	v_and_b32_e32 v18, 0x80000000, v18
	v_or3_b32 v21, v12, v18, v19
.LBB314_288:                            ;   in Loop: Header=BB314_168 Depth=1
	s_or_b32 exec_lo, exec_lo, s16
.LBB314_289:                            ;   in Loop: Header=BB314_168 Depth=1
	s_delay_alu instid0(SALU_CYCLE_1)
	s_or_b32 exec_lo, exec_lo, s15
.LBB314_290:                            ;   in Loop: Header=BB314_168 Depth=1
	s_delay_alu instid0(SALU_CYCLE_1)
	s_or_b32 exec_lo, exec_lo, s14
	v_fma_mixlo_bf16 v12, s3, v20, 0
	v_fma_mixlo_bf16 v18, s3, v45, 0
	;; [unrolled: 1-line block ×8, first 2 shown]
	s_and_saveexec_b32 s0, vcc_lo
	s_cbranch_execz .LBB314_167
; %bb.291:                              ;   in Loop: Header=BB314_168 Depth=1
	v_cmp_gt_i32_e32 vcc_lo, s25, v34
	v_cndmask_b32_e32 v41, 0, v41, vcc_lo
	v_cmp_gt_i32_e32 vcc_lo, s25, v40
	v_cndmask_b32_e32 v42, 0, v42, vcc_lo
	v_cmp_gt_i32_e32 vcc_lo, s25, v39
	v_cndmask_b32_e32 v43, 0, v43, vcc_lo
	v_cmp_gt_i32_e32 vcc_lo, s25, v38
	v_cndmask_b32_e32 v20, 0, v20, vcc_lo
	v_cmp_gt_i32_e32 vcc_lo, s25, v37
	v_cndmask_b32_e32 v18, 0, v18, vcc_lo
	v_cmp_gt_i32_e32 vcc_lo, s25, v36
	v_cndmask_b32_e32 v12, 0, v12, vcc_lo
	v_cmp_gt_i32_e32 vcc_lo, s25, v35
	v_cndmask_b32_e32 v19, 0, v19, vcc_lo
	v_cmp_gt_i32_e32 vcc_lo, s25, v25
	v_cndmask_b32_e32 v21, 0, v21, vcc_lo
	s_branch .LBB314_167
.LBB314_292:
	s_or_b32 exec_lo, exec_lo, s7
.LBB314_293:
	s_delay_alu instid0(SALU_CYCLE_1) | instskip(SKIP_4) | instid1(VALU_DEP_2)
	s_or_b32 exec_lo, exec_lo, s1
	v_lshl_add_u32 v2, v24, 2, 0xa0
	v_and_b32_e32 v3, 0x3c0, v0
	s_mov_b32 s0, exec_lo
	s_barrier_signal -1
	v_lshl_add_u32 v1, v1, 8, v2
	s_barrier_wait -1
	v_cmpx_eq_u32_e32 64, v3
	s_cbranch_execz .LBB314_295
; %bb.294:
	s_delay_alu instid0(VALU_DEP_2)
	v_add_nc_u32_e32 v3, 0xfffffe00, v1
	v_add_nc_u32_e32 v4, 0xfffffe80, v1
	ds_store_b32 v3, v10
	ds_store_b32 v4, v11
.LBB314_295:
	s_or_b32 exec_lo, exec_lo, s0
	s_delay_alu instid0(SALU_CYCLE_1)
	s_mov_b32 s0, exec_lo
	s_wait_dscnt 0x0
	s_barrier_signal -1
	s_barrier_wait -1
	v_cmpx_gt_u32_e32 64, v0
	s_cbranch_execz .LBB314_297
; %bb.296:
	ds_load_2addr_b32 v[4:5], v1 offset1:32
	s_wait_dscnt 0x0
	v_pk_add_f32 v[10:11], v[10:11], v[4:5]
.LBB314_297:
	s_or_b32 exec_lo, exec_lo, s0
	v_and_b32_e32 v3, 0x3e0, v0
	s_mov_b32 s0, exec_lo
	s_barrier_signal -1
	s_barrier_wait -1
	s_delay_alu instid0(VALU_DEP_1)
	v_cmpx_eq_u32_e32 32, v3
; %bb.298:
	ds_store_2addr_b32 v2, v10, v11 offset1:32
; %bb.299:
	s_or_b32 exec_lo, exec_lo, s0
	s_wait_dscnt 0x0
	s_barrier_signal -1
	s_barrier_wait -1
	s_and_saveexec_b32 s0, s2
	s_cbranch_execz .LBB314_301
; %bb.300:
	ds_load_2addr_b32 v[2:3], v1 offset1:32
	s_wait_dscnt 0x0
	v_pk_add_f32 v[10:11], v[10:11], v[2:3]
.LBB314_301:
	s_or_b32 exec_lo, exec_lo, s0
	s_barrier_signal -1
	s_barrier_wait -1
	s_and_saveexec_b32 s0, s2
	s_cbranch_execz .LBB314_303
; %bb.302:
	s_mul_i32 s1, s24, s8
	s_bfe_u32 s5, ttmp6, 0x40014
	s_mul_i32 s1, s1, s23
	s_mul_i32 s0, s8, s12
	s_lshl_b32 s2, s1, 6
	s_lshr_b32 s4, ttmp7, 16
	s_ashr_i32 s3, s2, 31
	s_add_co_i32 s5, s5, 1
	s_ashr_i32 s1, s0, 31
	s_lshl_b64 s[2:3], s[2:3], 1
	s_mul_i32 s5, s4, s5
	s_bfe_u32 s6, ttmp6, 0x40008
	s_add_nc_u64 s[2:3], s[10:11], s[2:3]
	s_lshl_b64 s[0:1], s[0:1], 1
	s_add_co_i32 s6, s6, s5
	s_cmp_eq_u32 s22, 0
	s_add_nc_u64 s[0:1], s[2:3], s[0:1]
	s_cselect_b32 s2, s4, s6
	v_cvt_pk_bf16_f32 v1, v10, s0
	s_mov_b32 s3, 0
	s_lshl_b32 s2, s2, 7
	v_cvt_pk_bf16_f32 v2, v11, s0
	s_add_nc_u64 s[0:1], s[0:1], s[2:3]
	s_clause 0x1
	global_store_b16 v0, v1, s[0:1] scale_offset
	global_store_b16 v0, v2, s[0:1] offset:64 scale_offset
.LBB314_303:
	s_endpgm
	.section	.rodata,"a",@progbits
	.p2align	6, 0x0
	.amdhsa_kernel _ZN4vllm25paged_attention_v1_kernelI14__hip_bfloat16hLi64ELi8ELi128ELNS_18Fp8KVCacheDataTypeE1ELb0EEEvPT_PKS3_PKT0_S9_ifPKiSB_iPKfiiiSD_SD_iiiii
		.amdhsa_group_segment_fixed_size 160
		.amdhsa_private_segment_fixed_size 0
		.amdhsa_kernarg_size 384
		.amdhsa_user_sgpr_count 2
		.amdhsa_user_sgpr_dispatch_ptr 0
		.amdhsa_user_sgpr_queue_ptr 0
		.amdhsa_user_sgpr_kernarg_segment_ptr 1
		.amdhsa_user_sgpr_dispatch_id 0
		.amdhsa_user_sgpr_kernarg_preload_length 0
		.amdhsa_user_sgpr_kernarg_preload_offset 0
		.amdhsa_user_sgpr_private_segment_size 0
		.amdhsa_wavefront_size32 1
		.amdhsa_uses_dynamic_stack 0
		.amdhsa_enable_private_segment 0
		.amdhsa_system_sgpr_workgroup_id_x 1
		.amdhsa_system_sgpr_workgroup_id_y 1
		.amdhsa_system_sgpr_workgroup_id_z 1
		.amdhsa_system_sgpr_workgroup_info 0
		.amdhsa_system_vgpr_workitem_id 0
		.amdhsa_next_free_vgpr 52
		.amdhsa_next_free_sgpr 32
		.amdhsa_named_barrier_count 0
		.amdhsa_reserve_vcc 1
		.amdhsa_float_round_mode_32 0
		.amdhsa_float_round_mode_16_64 0
		.amdhsa_float_denorm_mode_32 3
		.amdhsa_float_denorm_mode_16_64 3
		.amdhsa_fp16_overflow 0
		.amdhsa_memory_ordered 1
		.amdhsa_forward_progress 1
		.amdhsa_inst_pref_size 92
		.amdhsa_round_robin_scheduling 0
		.amdhsa_exception_fp_ieee_invalid_op 0
		.amdhsa_exception_fp_denorm_src 0
		.amdhsa_exception_fp_ieee_div_zero 0
		.amdhsa_exception_fp_ieee_overflow 0
		.amdhsa_exception_fp_ieee_underflow 0
		.amdhsa_exception_fp_ieee_inexact 0
		.amdhsa_exception_int_div_zero 0
	.end_amdhsa_kernel
	.section	.text._ZN4vllm25paged_attention_v1_kernelI14__hip_bfloat16hLi64ELi8ELi128ELNS_18Fp8KVCacheDataTypeE1ELb0EEEvPT_PKS3_PKT0_S9_ifPKiSB_iPKfiiiSD_SD_iiiii,"axG",@progbits,_ZN4vllm25paged_attention_v1_kernelI14__hip_bfloat16hLi64ELi8ELi128ELNS_18Fp8KVCacheDataTypeE1ELb0EEEvPT_PKS3_PKT0_S9_ifPKiSB_iPKfiiiSD_SD_iiiii,comdat
.Lfunc_end314:
	.size	_ZN4vllm25paged_attention_v1_kernelI14__hip_bfloat16hLi64ELi8ELi128ELNS_18Fp8KVCacheDataTypeE1ELb0EEEvPT_PKS3_PKT0_S9_ifPKiSB_iPKfiiiSD_SD_iiiii, .Lfunc_end314-_ZN4vllm25paged_attention_v1_kernelI14__hip_bfloat16hLi64ELi8ELi128ELNS_18Fp8KVCacheDataTypeE1ELb0EEEvPT_PKS3_PKT0_S9_ifPKiSB_iPKfiiiSD_SD_iiiii
                                        ; -- End function
	.set _ZN4vllm25paged_attention_v1_kernelI14__hip_bfloat16hLi64ELi8ELi128ELNS_18Fp8KVCacheDataTypeE1ELb0EEEvPT_PKS3_PKT0_S9_ifPKiSB_iPKfiiiSD_SD_iiiii.num_vgpr, 52
	.set _ZN4vllm25paged_attention_v1_kernelI14__hip_bfloat16hLi64ELi8ELi128ELNS_18Fp8KVCacheDataTypeE1ELb0EEEvPT_PKS3_PKT0_S9_ifPKiSB_iPKfiiiSD_SD_iiiii.num_agpr, 0
	.set _ZN4vllm25paged_attention_v1_kernelI14__hip_bfloat16hLi64ELi8ELi128ELNS_18Fp8KVCacheDataTypeE1ELb0EEEvPT_PKS3_PKT0_S9_ifPKiSB_iPKfiiiSD_SD_iiiii.numbered_sgpr, 32
	.set _ZN4vllm25paged_attention_v1_kernelI14__hip_bfloat16hLi64ELi8ELi128ELNS_18Fp8KVCacheDataTypeE1ELb0EEEvPT_PKS3_PKT0_S9_ifPKiSB_iPKfiiiSD_SD_iiiii.num_named_barrier, 0
	.set _ZN4vllm25paged_attention_v1_kernelI14__hip_bfloat16hLi64ELi8ELi128ELNS_18Fp8KVCacheDataTypeE1ELb0EEEvPT_PKS3_PKT0_S9_ifPKiSB_iPKfiiiSD_SD_iiiii.private_seg_size, 0
	.set _ZN4vllm25paged_attention_v1_kernelI14__hip_bfloat16hLi64ELi8ELi128ELNS_18Fp8KVCacheDataTypeE1ELb0EEEvPT_PKS3_PKT0_S9_ifPKiSB_iPKfiiiSD_SD_iiiii.uses_vcc, 1
	.set _ZN4vllm25paged_attention_v1_kernelI14__hip_bfloat16hLi64ELi8ELi128ELNS_18Fp8KVCacheDataTypeE1ELb0EEEvPT_PKS3_PKT0_S9_ifPKiSB_iPKfiiiSD_SD_iiiii.uses_flat_scratch, 0
	.set _ZN4vllm25paged_attention_v1_kernelI14__hip_bfloat16hLi64ELi8ELi128ELNS_18Fp8KVCacheDataTypeE1ELb0EEEvPT_PKS3_PKT0_S9_ifPKiSB_iPKfiiiSD_SD_iiiii.has_dyn_sized_stack, 0
	.set _ZN4vllm25paged_attention_v1_kernelI14__hip_bfloat16hLi64ELi8ELi128ELNS_18Fp8KVCacheDataTypeE1ELb0EEEvPT_PKS3_PKT0_S9_ifPKiSB_iPKfiiiSD_SD_iiiii.has_recursion, 0
	.set _ZN4vllm25paged_attention_v1_kernelI14__hip_bfloat16hLi64ELi8ELi128ELNS_18Fp8KVCacheDataTypeE1ELb0EEEvPT_PKS3_PKT0_S9_ifPKiSB_iPKfiiiSD_SD_iiiii.has_indirect_call, 0
	.section	.AMDGPU.csdata,"",@progbits
; Kernel info:
; codeLenInByte = 11760
; TotalNumSgprs: 34
; NumVgprs: 52
; ScratchSize: 0
; MemoryBound: 0
; FloatMode: 240
; IeeeMode: 1
; LDSByteSize: 160 bytes/workgroup (compile time only)
; SGPRBlocks: 0
; VGPRBlocks: 3
; NumSGPRsForWavesPerEU: 34
; NumVGPRsForWavesPerEU: 52
; NamedBarCnt: 0
; Occupancy: 16
; WaveLimiterHint : 1
; COMPUTE_PGM_RSRC2:SCRATCH_EN: 0
; COMPUTE_PGM_RSRC2:USER_SGPR: 2
; COMPUTE_PGM_RSRC2:TRAP_HANDLER: 0
; COMPUTE_PGM_RSRC2:TGID_X_EN: 1
; COMPUTE_PGM_RSRC2:TGID_Y_EN: 1
; COMPUTE_PGM_RSRC2:TGID_Z_EN: 1
; COMPUTE_PGM_RSRC2:TIDIG_COMP_CNT: 0
	.section	.text._ZN4vllm25paged_attention_v1_kernelI14__hip_bfloat16hLi80ELi8ELi128ELNS_18Fp8KVCacheDataTypeE1ELb0EEEvPT_PKS3_PKT0_S9_ifPKiSB_iPKfiiiSD_SD_iiiii,"axG",@progbits,_ZN4vllm25paged_attention_v1_kernelI14__hip_bfloat16hLi80ELi8ELi128ELNS_18Fp8KVCacheDataTypeE1ELb0EEEvPT_PKS3_PKT0_S9_ifPKiSB_iPKfiiiSD_SD_iiiii,comdat
	.protected	_ZN4vllm25paged_attention_v1_kernelI14__hip_bfloat16hLi80ELi8ELi128ELNS_18Fp8KVCacheDataTypeE1ELb0EEEvPT_PKS3_PKT0_S9_ifPKiSB_iPKfiiiSD_SD_iiiii ; -- Begin function _ZN4vllm25paged_attention_v1_kernelI14__hip_bfloat16hLi80ELi8ELi128ELNS_18Fp8KVCacheDataTypeE1ELb0EEEvPT_PKS3_PKT0_S9_ifPKiSB_iPKfiiiSD_SD_iiiii
	.globl	_ZN4vllm25paged_attention_v1_kernelI14__hip_bfloat16hLi80ELi8ELi128ELNS_18Fp8KVCacheDataTypeE1ELb0EEEvPT_PKS3_PKT0_S9_ifPKiSB_iPKfiiiSD_SD_iiiii
	.p2align	8
	.type	_ZN4vllm25paged_attention_v1_kernelI14__hip_bfloat16hLi80ELi8ELi128ELNS_18Fp8KVCacheDataTypeE1ELb0EEEvPT_PKS3_PKT0_S9_ifPKiSB_iPKfiiiSD_SD_iiiii,@function
_ZN4vllm25paged_attention_v1_kernelI14__hip_bfloat16hLi80ELi8ELi128ELNS_18Fp8KVCacheDataTypeE1ELb0EEEvPT_PKS3_PKT0_S9_ifPKiSB_iPKfiiiSD_SD_iiiii: ; @_ZN4vllm25paged_attention_v1_kernelI14__hip_bfloat16hLi80ELi8ELi128ELNS_18Fp8KVCacheDataTypeE1ELb0EEEvPT_PKS3_PKT0_S9_ifPKiSB_iPKfiiiSD_SD_iiiii
; %bb.0:
	s_load_b64 s[18:19], s[0:1], 0x20
	s_bfe_u32 s3, ttmp6, 0x4000c
	s_bfe_u32 s5, ttmp6, 0x40010
	s_and_b32 s4, ttmp7, 0xffff
	s_add_co_i32 s3, s3, 1
	s_add_co_i32 s5, s5, 1
	s_and_b32 s2, ttmp6, 15
	s_bfe_u32 s6, ttmp6, 0x40004
	s_mul_i32 s3, ttmp9, s3
	s_mul_i32 s5, s4, s5
	s_getreg_b32 s20, hwreg(HW_REG_IB_STS2, 6, 4)
	s_add_co_i32 s2, s2, s3
	s_add_co_i32 s3, s6, s5
	s_cmp_eq_u32 s20, 0
	s_clause 0x1
	s_load_b32 s21, s[0:1], 0x80
	s_load_b64 s[6:7], s[0:1], 0x30
	s_cselect_b32 s22, s4, s3
	s_cselect_b32 s4, ttmp9, s2
	s_wait_kmcnt 0x0
	s_abs_i32 s2, s18
	s_delay_alu instid0(SALU_CYCLE_1) | instskip(SKIP_1) | instid1(SALU_CYCLE_2)
	s_cvt_f32_u32 s3, s2
	s_sub_co_i32 s5, 0, s2
	v_rcp_iflag_f32_e32 v1, s3
	s_abs_i32 s8, s21
	v_nop
	s_delay_alu instid0(TRANS32_DEP_1) | instskip(SKIP_1) | instid1(SALU_CYCLE_3)
	v_readfirstlane_b32 s3, v1
	s_mul_f32 s3, s3, 0x4f7ffffe
	s_cvt_u32_f32 s3, s3
	s_delay_alu instid0(SALU_CYCLE_3) | instskip(NEXT) | instid1(SALU_CYCLE_1)
	s_mul_i32 s5, s5, s3
	s_mul_hi_u32 s5, s3, s5
	s_delay_alu instid0(SALU_CYCLE_1) | instskip(SKIP_4) | instid1(SALU_CYCLE_1)
	s_add_co_i32 s3, s3, s5
	s_xor_b32 s5, s21, s18
	s_mul_hi_u32 s3, s8, s3
	s_ashr_i32 s5, s5, 31
	s_mul_i32 s9, s3, s2
	s_sub_co_i32 s8, s8, s9
	s_add_co_i32 s9, s3, 1
	s_sub_co_i32 s10, s8, s2
	s_cmp_ge_u32 s8, s2
	s_cselect_b32 s3, s9, s3
	s_cselect_b32 s8, s10, s8
	s_add_co_i32 s9, s3, 1
	s_cmp_ge_u32 s8, s2
	s_cselect_b32 s2, s9, s3
	s_load_b64 s[8:9], s[0:1], 0x40
	s_xor_b32 s2, s2, s5
	s_mov_b32 s3, 0
	s_sub_co_i32 s14, s2, s5
	s_mov_b32 s13, s3
	s_abs_i32 s11, s14
	s_mov_b32 s18, s3
	s_cvt_f32_u32 s2, s11
	s_delay_alu instid0(SALU_CYCLE_3) | instskip(SKIP_1) | instid1(TRANS32_DEP_1)
	v_rcp_iflag_f32_e32 v1, s2
	v_nop
	v_readfirstlane_b32 s2, v1
	s_mul_f32 s2, s2, 0x4f7ffffe
	s_delay_alu instid0(SALU_CYCLE_3) | instskip(SKIP_1) | instid1(SALU_CYCLE_2)
	s_cvt_u32_f32 s5, s2
	s_sub_co_i32 s2, 0, s11
	s_mul_i32 s2, s2, s5
	s_delay_alu instid0(SALU_CYCLE_1)
	s_mul_hi_u32 s10, s5, s2
	s_abs_i32 s2, s4
	s_add_co_i32 s12, s5, s10
	s_wait_kmcnt 0x0
	s_cmp_eq_u64 s[8:9], 0
	s_cbranch_scc1 .LBB315_2
; %bb.1:
	s_ashr_i32 s5, s4, 31
	s_delay_alu instid0(SALU_CYCLE_1) | instskip(NEXT) | instid1(SALU_CYCLE_1)
	s_lshl_b64 s[16:17], s[4:5], 2
	s_add_nc_u64 s[8:9], s[8:9], s[16:17]
	s_load_b32 s18, s[8:9], 0x0
.LBB315_2:
	s_load_b32 s23, s[6:7], s22 offset:0x0 scale_offset
	s_wait_xcnt 0x0
	s_load_b96 s[8:10], s[0:1], 0x48
	v_and_b32_e32 v4, 3, v0
	s_ashr_i32 s5, s4, 31
	s_ashr_i32 s14, s14, 31
	s_mul_u64 s[6:7], s[2:3], s[12:13]
	s_mul_i32 s12, s4, 0x50
	s_mov_b32 s3, exec_lo
	v_cmpx_gt_u32_e32 40, v0
	s_cbranch_execz .LBB315_4
; %bb.3:
	s_load_b64 s[16:17], s[0:1], 0x8
	s_wait_kmcnt 0x0
	s_mul_i32 s24, s8, s22
	s_ashr_i32 s13, s12, 31
	s_ashr_i32 s25, s24, 31
	v_and_b32_e32 v2, 0x3fc, v0
	s_lshl_b64 s[24:25], s[24:25], 1
	s_delay_alu instid0(VALU_DEP_1) | instskip(SKIP_2) | instid1(SALU_CYCLE_1)
	v_mad_u32_u24 v2, v4, 40, v2
	s_add_nc_u64 s[16:17], s[16:17], s[24:25]
	s_lshl_b64 s[24:25], s[12:13], 1
	s_add_nc_u64 s[16:17], s[16:17], s[24:25]
	global_load_b32 v1, v0, s[16:17] scale_offset
	s_wait_loadcnt 0x0
	ds_store_b32 v2, v1
.LBB315_4:
	s_or_b32 exec_lo, exec_lo, s3
	s_wait_kmcnt 0x0
	s_add_co_i32 s3, s23, 7
	s_load_b32 s4, s[0:1], 0x38
	s_ashr_i32 s6, s3, 31
	s_mul_i32 s8, s7, s11
	s_lshr_b32 s6, s6, 29
	s_sub_co_i32 s2, s2, s8
	s_add_co_i32 s3, s3, s6
	s_xor_b32 s5, s5, s14
	s_ashr_i32 s13, s3, 3
	s_add_co_i32 s3, s7, 1
	s_sub_co_i32 s6, s2, s11
	s_cmp_ge_u32 s2, s11
	v_lshrrev_b32_e32 v1, 5, v0
	s_cselect_b32 s3, s3, s7
	s_cselect_b32 s2, s6, s2
	s_add_co_i32 s6, s3, 1
	s_cmp_ge_u32 s2, s11
	v_mbcnt_lo_u32_b32 v10, -1, 0
	s_cselect_b32 s2, s6, s3
	s_wait_dscnt 0x0
	s_xor_b32 s2, s2, s5
	s_wait_kmcnt 0x0
	s_mul_i32 s14, s4, s22
	s_sub_co_i32 s3, s2, s5
	v_cmp_gt_i32_e64 s2, s13, v1
	s_ashr_i32 s15, s14, 31
	s_mov_b32 s4, exec_lo
	s_barrier_signal -1
	s_barrier_wait -1
                                        ; implicit-def: $vgpr3
                                        ; implicit-def: $vgpr11
	v_cmpx_le_i32_e64 s13, v1
	s_xor_b32 s4, exec_lo, s4
; %bb.5:
	v_dual_mov_b32 v3, 0 :: v_dual_mov_b32 v11, 32
	v_mbcnt_lo_u32_b32 v10, -1, 0
                                        ; implicit-def: $vgpr4
; %bb.6:
	s_or_saveexec_b32 s24, s4
	s_clause 0x2
	s_load_b32 s8, s[0:1], 0x88
	s_load_b64 s[16:17], s[0:1], 0x28
	s_load_b128 s[4:7], s[0:1], 0x58
	v_dual_mov_b32 v31, 0xff7fffff :: v_dual_lshrrev_b32 v12, 3, v0
	s_mul_i32 s10, s3, s10
	s_xor_b32 exec_lo, exec_lo, s24
	s_cbranch_execz .LBB315_172
; %bb.7:
	v_mul_u32_u24_e32 v5, 40, v4
	s_load_b64 s[26:27], s[0:1], 0x10
	v_bfe_u32 v38, v0, 2, 3
	v_mov_b32_e32 v3, 0
	s_ashr_i32 s11, s10, 31
	ds_load_2addr_b64 v[6:9], v5 offset1:1
	ds_load_2addr_b64 v[26:29], v5 offset0:2 offset1:3
	v_lshlrev_b32_e32 v2, 4, v38
	ds_load_b64 v[30:31], v5 offset:32
	s_wait_kmcnt 0x0
	s_load_b32 s5, s[4:5], 0x0
	s_cmp_neq_f32 s18, 0
	s_mov_b32 s25, s9
	v_xor_b32_e32 v5, 2, v10
	s_cselect_b32 s3, -1, 0
	s_delay_alu instid0(VALU_DEP_1)
	v_cmp_gt_i32_e32 vcc_lo, 32, v5
	s_add_nc_u64 s[26:27], s[26:27], s[10:11]
	s_mov_b32 s11, 0
	v_add_nc_u64_e32 v[36:37], s[26:27], v[2:3]
	s_wait_dscnt 0x2
	v_dual_lshlrev_b32 v2, 1, v4 :: v_dual_lshlrev_b32 v13, 16, v6
	s_wait_dscnt 0x1
	v_dual_lshlrev_b32 v23, 16, v27 :: v_dual_lshlrev_b32 v25, 16, v28
	v_and_b32_e32 v24, 0xffff0000, v27
	v_lshlrev_b32_e32 v27, 16, v29
	v_and_b32_e32 v14, 0xffff0000, v6
	v_dual_cndmask_b32 v5, v10, v5, vcc_lo :: v_dual_bitop2_b32 v6, 1, v10 bitop3:0x14
	v_dual_lshlrev_b32 v15, 16, v7 :: v_dual_lshlrev_b32 v17, 16, v8
	v_and_b32_e32 v16, 0xffff0000, v7
	s_delay_alu instid0(VALU_DEP_3)
	v_cmp_gt_i32_e32 vcc_lo, 32, v6
	v_mov_b32_e32 v11, 32
	s_lshl_b64 s[26:27], s[14:15], 2
	v_and_b32_e32 v18, 0xffff0000, v8
	v_dual_lshlrev_b32 v34, 2, v5 :: v_dual_lshlrev_b32 v7, 2, v38
	v_cndmask_b32_e32 v6, v10, v6, vcc_lo
	v_cmp_eq_u32_e32 vcc_lo, 0, v4
	v_add_nc_u64_e32 v[4:5], v[36:37], v[2:3]
	v_and_b32_e32 v2, 0x7c, v12
	s_add_nc_u64 s[26:27], s[16:17], s[26:27]
	v_lshlrev_b32_e32 v35, 2, v6
	v_lshl_or_b32 v6, v1, 5, v7
	v_dual_lshlrev_b32 v19, 16, v9 :: v_dual_lshlrev_b32 v21, 16, v26
	v_and_b32_e32 v20, 0xffff0000, v9
	v_and_b32_e32 v22, 0xffff0000, v26
	s_delay_alu instid0(VALU_DEP_4)
	v_add_nc_u32_e32 v37, 0xc0, v6
	v_add_nc_u64_e32 v[6:7], s[26:27], v[2:3]
	v_and_b32_e32 v26, 0xffff0000, v28
	v_and_b32_e32 v28, 0xffff0000, v29
	s_wait_dscnt 0x0
	v_dual_lshlrev_b32 v29, 16, v30 :: v_dual_lshlrev_b32 v32, 16, v31
	v_and_b32_e32 v30, 0xffff0000, v30
	v_and_b32_e32 v33, 0xffff0000, v31
	v_lshl_or_b32 v36, v1, 3, v38
	v_dual_mov_b32 v31, 0xff7fffff :: v_dual_mov_b32 v38, v1
	s_sub_co_i32 s26, 1, s23
	s_branch .LBB315_9
.LBB315_8:                              ;   in Loop: Header=BB315_9 Depth=1
	s_or_b32 exec_lo, exec_lo, s27
	v_dual_add_nc_u32 v38, 4, v38 :: v_dual_add_nc_u32 v36, 32, v36
	v_add_nc_u64_e32 v[6:7], 16, v[6:7]
	v_add_nc_u32_e32 v37, 0x80, v37
	s_delay_alu instid0(VALU_DEP_3) | instskip(SKIP_1) | instid1(SALU_CYCLE_1)
	v_cmp_le_i32_e64 s4, s13, v38
	s_or_b32 s11, s4, s11
	s_and_not1_b32 exec_lo, exec_lo, s11
	s_cbranch_execz .LBB315_171
.LBB315_9:                              ; =>This Inner Loop Header: Depth=1
	global_load_b32 v2, v[6:7], off
	v_mov_b32_e32 v39, 0
	s_wait_loadcnt_dscnt 0x0
	v_mad_nc_i64_i32 v[8:9], v2, s25, v[4:5]
	global_load_u16 v2, v[8:9], off
	s_wait_loadcnt 0x0
	v_and_b32_e32 v40, 0xff, v2
	v_and_b32_e32 v41, 0xffff, v2
	s_delay_alu instid0(VALU_DEP_2)
	v_cmp_ne_u16_e64 s4, 0, v40
	v_mov_b32_e32 v40, 0
	s_wait_xcnt 0x0
	s_and_saveexec_b32 s27, s4
	s_cbranch_execz .LBB315_17
; %bb.10:                               ;   in Loop: Header=BB315_9 Depth=1
	v_and_b32_e32 v2, 0xff, v41
	v_bfrev_b32_e32 v40, 1
	s_mov_b32 s28, exec_lo
	s_delay_alu instid0(VALU_DEP_2)
	v_cmpx_ne_u16_e32 0x80, v2
	s_cbranch_execz .LBB315_16
; %bb.11:                               ;   in Loop: Header=BB315_9 Depth=1
	v_and_b32_e32 v42, 0x7f, v41
	v_mov_b32_e32 v40, 0x7f800001
	s_mov_b32 s29, exec_lo
	s_delay_alu instid0(VALU_DEP_2)
	v_cmpx_ne_u32_e32 0x7f, v42
	s_cbranch_execz .LBB315_15
; %bb.12:                               ;   in Loop: Header=BB315_9 Depth=1
	v_dual_lshrrev_b32 v40, 3, v42 :: v_dual_bitop2_b32 v2, 7, v41 bitop3:0x40
	s_mov_b32 s30, exec_lo
	v_cmpx_gt_u32_e32 8, v42
; %bb.13:                               ;   in Loop: Header=BB315_9 Depth=1
	s_delay_alu instid0(VALU_DEP_2) | instskip(NEXT) | instid1(VALU_DEP_1)
	v_clz_i32_u32_e32 v40, v2
	v_min_u32_e32 v40, 32, v40
	s_delay_alu instid0(VALU_DEP_1) | instskip(NEXT) | instid1(VALU_DEP_1)
	v_subrev_nc_u32_e32 v42, 28, v40
	v_lshlrev_b64_e32 v[42:43], v42, v[2:3]
	s_delay_alu instid0(VALU_DEP_1)
	v_dual_sub_nc_u32 v40, 29, v40 :: v_dual_bitop2_b32 v2, 7, v42 bitop3:0x40
; %bb.14:                               ;   in Loop: Header=BB315_9 Depth=1
	s_or_b32 exec_lo, exec_lo, s30
	s_delay_alu instid0(VALU_DEP_1) | instskip(NEXT) | instid1(VALU_DEP_2)
	v_dual_lshlrev_b32 v42, 24, v41 :: v_dual_lshlrev_b32 v2, 20, v2
	v_lshl_add_u32 v40, v40, 23, 0x3c000000
	s_delay_alu instid0(VALU_DEP_2) | instskip(NEXT) | instid1(VALU_DEP_1)
	v_and_b32_e32 v42, 0x80000000, v42
	v_or3_b32 v40, v2, v42, v40
.LBB315_15:                             ;   in Loop: Header=BB315_9 Depth=1
	s_or_b32 exec_lo, exec_lo, s29
.LBB315_16:                             ;   in Loop: Header=BB315_9 Depth=1
	s_delay_alu instid0(SALU_CYCLE_1)
	s_or_b32 exec_lo, exec_lo, s28
.LBB315_17:                             ;   in Loop: Header=BB315_9 Depth=1
	s_delay_alu instid0(SALU_CYCLE_1) | instskip(SKIP_2) | instid1(VALU_DEP_1)
	s_or_b32 exec_lo, exec_lo, s27
	v_lshrrev_b16 v2, 8, v41
	s_mov_b32 s27, exec_lo
	v_cmpx_ne_u16_e32 0, v2
	s_cbranch_execz .LBB315_25
; %bb.18:                               ;   in Loop: Header=BB315_9 Depth=1
	v_bfrev_b32_e32 v39, 1
	s_mov_b32 s28, exec_lo
	v_cmpx_ne_u16_e32 0x80, v2
	s_cbranch_execz .LBB315_24
; %bb.19:                               ;   in Loop: Header=BB315_9 Depth=1
	v_and_b32_e32 v2, 0xffff, v2
	v_mov_b32_e32 v39, 0x7f800001
	s_mov_b32 s29, exec_lo
	s_delay_alu instid0(VALU_DEP_2) | instskip(NEXT) | instid1(VALU_DEP_1)
	v_and_b32_e32 v42, 0x7f, v2
	v_cmpx_ne_u32_e32 0x7f, v42
	s_cbranch_execz .LBB315_23
; %bb.20:                               ;   in Loop: Header=BB315_9 Depth=1
	v_and_b32_e32 v2, 7, v2
	v_lshrrev_b32_e32 v39, 3, v42
	s_mov_b32 s30, exec_lo
	v_cmpx_gt_u32_e32 8, v42
; %bb.21:                               ;   in Loop: Header=BB315_9 Depth=1
	s_delay_alu instid0(VALU_DEP_3) | instskip(NEXT) | instid1(VALU_DEP_1)
	v_clz_i32_u32_e32 v39, v2
	v_min_u32_e32 v39, 32, v39
	s_delay_alu instid0(VALU_DEP_1) | instskip(NEXT) | instid1(VALU_DEP_1)
	v_subrev_nc_u32_e32 v42, 28, v39
	v_lshlrev_b64_e32 v[42:43], v42, v[2:3]
	s_delay_alu instid0(VALU_DEP_1)
	v_dual_sub_nc_u32 v39, 29, v39 :: v_dual_bitop2_b32 v2, 7, v42 bitop3:0x40
; %bb.22:                               ;   in Loop: Header=BB315_9 Depth=1
	s_or_b32 exec_lo, exec_lo, s30
	s_delay_alu instid0(VALU_DEP_1) | instskip(NEXT) | instid1(VALU_DEP_2)
	v_dual_lshlrev_b32 v41, 16, v41 :: v_dual_lshlrev_b32 v2, 20, v2
	v_lshl_add_u32 v39, v39, 23, 0x3c000000
	s_delay_alu instid0(VALU_DEP_2) | instskip(NEXT) | instid1(VALU_DEP_1)
	v_and_b32_e32 v41, 0x80000000, v41
	v_or3_b32 v39, v2, v41, v39
.LBB315_23:                             ;   in Loop: Header=BB315_9 Depth=1
	s_or_b32 exec_lo, exec_lo, s29
.LBB315_24:                             ;   in Loop: Header=BB315_9 Depth=1
	s_delay_alu instid0(SALU_CYCLE_1)
	s_or_b32 exec_lo, exec_lo, s28
.LBB315_25:                             ;   in Loop: Header=BB315_9 Depth=1
	s_delay_alu instid0(SALU_CYCLE_1)
	s_or_b32 exec_lo, exec_lo, s27
	global_load_u16 v2, v[8:9], off offset:8
	v_mov_b32_e32 v41, 0
	s_wait_loadcnt 0x0
	v_and_b32_e32 v42, 0xff, v2
	v_and_b32_e32 v43, 0xffff, v2
	s_delay_alu instid0(VALU_DEP_2)
	v_cmp_ne_u16_e64 s4, 0, v42
	v_mov_b32_e32 v42, 0
	s_and_saveexec_b32 s27, s4
	s_cbranch_execz .LBB315_33
; %bb.26:                               ;   in Loop: Header=BB315_9 Depth=1
	v_and_b32_e32 v2, 0xff, v43
	v_bfrev_b32_e32 v42, 1
	s_mov_b32 s28, exec_lo
	s_delay_alu instid0(VALU_DEP_2)
	v_cmpx_ne_u16_e32 0x80, v2
	s_cbranch_execz .LBB315_32
; %bb.27:                               ;   in Loop: Header=BB315_9 Depth=1
	v_and_b32_e32 v44, 0x7f, v43
	v_mov_b32_e32 v42, 0x7f800001
	s_mov_b32 s29, exec_lo
	s_delay_alu instid0(VALU_DEP_2)
	v_cmpx_ne_u32_e32 0x7f, v44
	s_cbranch_execz .LBB315_31
; %bb.28:                               ;   in Loop: Header=BB315_9 Depth=1
	v_dual_lshrrev_b32 v42, 3, v44 :: v_dual_bitop2_b32 v2, 7, v43 bitop3:0x40
	s_mov_b32 s30, exec_lo
	v_cmpx_gt_u32_e32 8, v44
; %bb.29:                               ;   in Loop: Header=BB315_9 Depth=1
	s_delay_alu instid0(VALU_DEP_2) | instskip(NEXT) | instid1(VALU_DEP_1)
	v_clz_i32_u32_e32 v42, v2
	v_min_u32_e32 v42, 32, v42
	s_delay_alu instid0(VALU_DEP_1) | instskip(NEXT) | instid1(VALU_DEP_1)
	v_subrev_nc_u32_e32 v44, 28, v42
	v_lshlrev_b64_e32 v[44:45], v44, v[2:3]
	s_delay_alu instid0(VALU_DEP_1)
	v_dual_sub_nc_u32 v42, 29, v42 :: v_dual_bitop2_b32 v2, 7, v44 bitop3:0x40
; %bb.30:                               ;   in Loop: Header=BB315_9 Depth=1
	s_or_b32 exec_lo, exec_lo, s30
	s_delay_alu instid0(VALU_DEP_1) | instskip(NEXT) | instid1(VALU_DEP_2)
	v_dual_lshlrev_b32 v44, 24, v43 :: v_dual_lshlrev_b32 v2, 20, v2
	v_lshl_add_u32 v42, v42, 23, 0x3c000000
	s_delay_alu instid0(VALU_DEP_2) | instskip(NEXT) | instid1(VALU_DEP_1)
	v_and_b32_e32 v44, 0x80000000, v44
	v_or3_b32 v42, v2, v44, v42
.LBB315_31:                             ;   in Loop: Header=BB315_9 Depth=1
	s_or_b32 exec_lo, exec_lo, s29
.LBB315_32:                             ;   in Loop: Header=BB315_9 Depth=1
	s_delay_alu instid0(SALU_CYCLE_1)
	s_or_b32 exec_lo, exec_lo, s28
.LBB315_33:                             ;   in Loop: Header=BB315_9 Depth=1
	s_delay_alu instid0(SALU_CYCLE_1) | instskip(SKIP_2) | instid1(VALU_DEP_1)
	s_or_b32 exec_lo, exec_lo, s27
	v_lshrrev_b16 v2, 8, v43
	s_mov_b32 s27, exec_lo
	v_cmpx_ne_u16_e32 0, v2
	s_cbranch_execz .LBB315_41
; %bb.34:                               ;   in Loop: Header=BB315_9 Depth=1
	v_bfrev_b32_e32 v41, 1
	s_mov_b32 s28, exec_lo
	v_cmpx_ne_u16_e32 0x80, v2
	s_cbranch_execz .LBB315_40
; %bb.35:                               ;   in Loop: Header=BB315_9 Depth=1
	v_and_b32_e32 v2, 0xffff, v2
	v_mov_b32_e32 v41, 0x7f800001
	s_mov_b32 s29, exec_lo
	s_delay_alu instid0(VALU_DEP_2) | instskip(NEXT) | instid1(VALU_DEP_1)
	v_and_b32_e32 v44, 0x7f, v2
	v_cmpx_ne_u32_e32 0x7f, v44
	s_cbranch_execz .LBB315_39
; %bb.36:                               ;   in Loop: Header=BB315_9 Depth=1
	v_dual_lshrrev_b32 v41, 3, v44 :: v_dual_bitop2_b32 v2, 7, v2 bitop3:0x40
	s_mov_b32 s30, exec_lo
	v_cmpx_gt_u32_e32 8, v44
; %bb.37:                               ;   in Loop: Header=BB315_9 Depth=1
	s_delay_alu instid0(VALU_DEP_2) | instskip(NEXT) | instid1(VALU_DEP_1)
	v_clz_i32_u32_e32 v41, v2
	v_min_u32_e32 v41, 32, v41
	s_delay_alu instid0(VALU_DEP_1) | instskip(NEXT) | instid1(VALU_DEP_1)
	v_subrev_nc_u32_e32 v44, 28, v41
	v_lshlrev_b64_e32 v[44:45], v44, v[2:3]
	s_delay_alu instid0(VALU_DEP_1)
	v_dual_sub_nc_u32 v41, 29, v41 :: v_dual_bitop2_b32 v2, 7, v44 bitop3:0x40
; %bb.38:                               ;   in Loop: Header=BB315_9 Depth=1
	s_or_b32 exec_lo, exec_lo, s30
	s_delay_alu instid0(VALU_DEP_1) | instskip(NEXT) | instid1(VALU_DEP_2)
	v_dual_lshlrev_b32 v43, 16, v43 :: v_dual_lshlrev_b32 v2, 20, v2
	v_lshl_add_u32 v41, v41, 23, 0x3c000000
	s_delay_alu instid0(VALU_DEP_2) | instskip(NEXT) | instid1(VALU_DEP_1)
	v_and_b32_e32 v43, 0x80000000, v43
	v_or3_b32 v41, v2, v43, v41
.LBB315_39:                             ;   in Loop: Header=BB315_9 Depth=1
	s_or_b32 exec_lo, exec_lo, s29
.LBB315_40:                             ;   in Loop: Header=BB315_9 Depth=1
	s_delay_alu instid0(SALU_CYCLE_1)
	s_or_b32 exec_lo, exec_lo, s28
.LBB315_41:                             ;   in Loop: Header=BB315_9 Depth=1
	s_delay_alu instid0(SALU_CYCLE_1)
	s_or_b32 exec_lo, exec_lo, s27
	global_load_u16 v2, v[8:9], off offset:128
	v_mov_b32_e32 v43, 0
	s_wait_loadcnt 0x0
	v_and_b32_e32 v44, 0xff, v2
	v_and_b32_e32 v45, 0xffff, v2
	s_delay_alu instid0(VALU_DEP_2)
	v_cmp_ne_u16_e64 s4, 0, v44
	v_mov_b32_e32 v44, 0
	s_and_saveexec_b32 s27, s4
	s_cbranch_execz .LBB315_49
; %bb.42:                               ;   in Loop: Header=BB315_9 Depth=1
	v_and_b32_e32 v2, 0xff, v45
	v_bfrev_b32_e32 v44, 1
	s_mov_b32 s28, exec_lo
	s_delay_alu instid0(VALU_DEP_2)
	v_cmpx_ne_u16_e32 0x80, v2
	s_cbranch_execz .LBB315_48
; %bb.43:                               ;   in Loop: Header=BB315_9 Depth=1
	v_and_b32_e32 v46, 0x7f, v45
	v_mov_b32_e32 v44, 0x7f800001
	s_mov_b32 s29, exec_lo
	s_delay_alu instid0(VALU_DEP_2)
	v_cmpx_ne_u32_e32 0x7f, v46
	s_cbranch_execz .LBB315_47
; %bb.44:                               ;   in Loop: Header=BB315_9 Depth=1
	v_dual_lshrrev_b32 v44, 3, v46 :: v_dual_bitop2_b32 v2, 7, v45 bitop3:0x40
	s_mov_b32 s30, exec_lo
	v_cmpx_gt_u32_e32 8, v46
; %bb.45:                               ;   in Loop: Header=BB315_9 Depth=1
	s_delay_alu instid0(VALU_DEP_2) | instskip(NEXT) | instid1(VALU_DEP_1)
	v_clz_i32_u32_e32 v44, v2
	v_min_u32_e32 v44, 32, v44
	s_delay_alu instid0(VALU_DEP_1) | instskip(NEXT) | instid1(VALU_DEP_1)
	v_subrev_nc_u32_e32 v46, 28, v44
	v_lshlrev_b64_e32 v[46:47], v46, v[2:3]
	s_delay_alu instid0(VALU_DEP_1)
	v_dual_sub_nc_u32 v44, 29, v44 :: v_dual_bitop2_b32 v2, 7, v46 bitop3:0x40
; %bb.46:                               ;   in Loop: Header=BB315_9 Depth=1
	s_or_b32 exec_lo, exec_lo, s30
	s_delay_alu instid0(VALU_DEP_1) | instskip(NEXT) | instid1(VALU_DEP_2)
	v_dual_lshlrev_b32 v46, 24, v45 :: v_dual_lshlrev_b32 v2, 20, v2
	v_lshl_add_u32 v44, v44, 23, 0x3c000000
	s_delay_alu instid0(VALU_DEP_2) | instskip(NEXT) | instid1(VALU_DEP_1)
	v_and_b32_e32 v46, 0x80000000, v46
	v_or3_b32 v44, v2, v46, v44
.LBB315_47:                             ;   in Loop: Header=BB315_9 Depth=1
	s_or_b32 exec_lo, exec_lo, s29
.LBB315_48:                             ;   in Loop: Header=BB315_9 Depth=1
	s_delay_alu instid0(SALU_CYCLE_1)
	s_or_b32 exec_lo, exec_lo, s28
.LBB315_49:                             ;   in Loop: Header=BB315_9 Depth=1
	s_delay_alu instid0(SALU_CYCLE_1) | instskip(SKIP_2) | instid1(VALU_DEP_1)
	s_or_b32 exec_lo, exec_lo, s27
	v_lshrrev_b16 v2, 8, v45
	s_mov_b32 s27, exec_lo
	v_cmpx_ne_u16_e32 0, v2
	s_cbranch_execz .LBB315_57
; %bb.50:                               ;   in Loop: Header=BB315_9 Depth=1
	v_bfrev_b32_e32 v43, 1
	s_mov_b32 s28, exec_lo
	v_cmpx_ne_u16_e32 0x80, v2
	s_cbranch_execz .LBB315_56
; %bb.51:                               ;   in Loop: Header=BB315_9 Depth=1
	v_and_b32_e32 v2, 0xffff, v2
	v_mov_b32_e32 v43, 0x7f800001
	s_mov_b32 s29, exec_lo
	s_delay_alu instid0(VALU_DEP_2) | instskip(NEXT) | instid1(VALU_DEP_1)
	v_and_b32_e32 v46, 0x7f, v2
	v_cmpx_ne_u32_e32 0x7f, v46
	s_cbranch_execz .LBB315_55
; %bb.52:                               ;   in Loop: Header=BB315_9 Depth=1
	v_and_b32_e32 v2, 7, v2
	v_lshrrev_b32_e32 v43, 3, v46
	s_mov_b32 s30, exec_lo
	v_cmpx_gt_u32_e32 8, v46
; %bb.53:                               ;   in Loop: Header=BB315_9 Depth=1
	s_delay_alu instid0(VALU_DEP_3) | instskip(NEXT) | instid1(VALU_DEP_1)
	v_clz_i32_u32_e32 v43, v2
	v_min_u32_e32 v43, 32, v43
	s_delay_alu instid0(VALU_DEP_1) | instskip(NEXT) | instid1(VALU_DEP_1)
	v_subrev_nc_u32_e32 v46, 28, v43
	v_lshlrev_b64_e32 v[46:47], v46, v[2:3]
	s_delay_alu instid0(VALU_DEP_1)
	v_dual_sub_nc_u32 v43, 29, v43 :: v_dual_bitop2_b32 v2, 7, v46 bitop3:0x40
; %bb.54:                               ;   in Loop: Header=BB315_9 Depth=1
	s_or_b32 exec_lo, exec_lo, s30
	s_delay_alu instid0(VALU_DEP_1) | instskip(NEXT) | instid1(VALU_DEP_2)
	v_dual_lshlrev_b32 v45, 16, v45 :: v_dual_lshlrev_b32 v2, 20, v2
	v_lshl_add_u32 v43, v43, 23, 0x3c000000
	s_delay_alu instid0(VALU_DEP_2) | instskip(NEXT) | instid1(VALU_DEP_1)
	v_and_b32_e32 v45, 0x80000000, v45
	v_or3_b32 v43, v2, v45, v43
.LBB315_55:                             ;   in Loop: Header=BB315_9 Depth=1
	s_or_b32 exec_lo, exec_lo, s29
.LBB315_56:                             ;   in Loop: Header=BB315_9 Depth=1
	s_delay_alu instid0(SALU_CYCLE_1)
	s_or_b32 exec_lo, exec_lo, s28
.LBB315_57:                             ;   in Loop: Header=BB315_9 Depth=1
	s_delay_alu instid0(SALU_CYCLE_1)
	s_or_b32 exec_lo, exec_lo, s27
	global_load_u16 v2, v[8:9], off offset:136
	v_mov_b32_e32 v45, 0
	s_wait_loadcnt 0x0
	v_and_b32_e32 v46, 0xff, v2
	v_and_b32_e32 v47, 0xffff, v2
	s_delay_alu instid0(VALU_DEP_2)
	v_cmp_ne_u16_e64 s4, 0, v46
	v_mov_b32_e32 v46, 0
	s_and_saveexec_b32 s27, s4
	s_cbranch_execz .LBB315_65
; %bb.58:                               ;   in Loop: Header=BB315_9 Depth=1
	v_and_b32_e32 v2, 0xff, v47
	v_bfrev_b32_e32 v46, 1
	s_mov_b32 s28, exec_lo
	s_delay_alu instid0(VALU_DEP_2)
	v_cmpx_ne_u16_e32 0x80, v2
	s_cbranch_execz .LBB315_64
; %bb.59:                               ;   in Loop: Header=BB315_9 Depth=1
	v_and_b32_e32 v48, 0x7f, v47
	v_mov_b32_e32 v46, 0x7f800001
	s_mov_b32 s29, exec_lo
	s_delay_alu instid0(VALU_DEP_2)
	v_cmpx_ne_u32_e32 0x7f, v48
	s_cbranch_execz .LBB315_63
; %bb.60:                               ;   in Loop: Header=BB315_9 Depth=1
	v_dual_lshrrev_b32 v46, 3, v48 :: v_dual_bitop2_b32 v2, 7, v47 bitop3:0x40
	s_mov_b32 s30, exec_lo
	v_cmpx_gt_u32_e32 8, v48
; %bb.61:                               ;   in Loop: Header=BB315_9 Depth=1
	s_delay_alu instid0(VALU_DEP_2) | instskip(NEXT) | instid1(VALU_DEP_1)
	v_clz_i32_u32_e32 v46, v2
	v_min_u32_e32 v46, 32, v46
	s_delay_alu instid0(VALU_DEP_1) | instskip(NEXT) | instid1(VALU_DEP_1)
	v_subrev_nc_u32_e32 v48, 28, v46
	v_lshlrev_b64_e32 v[48:49], v48, v[2:3]
	s_delay_alu instid0(VALU_DEP_1)
	v_dual_sub_nc_u32 v46, 29, v46 :: v_dual_bitop2_b32 v2, 7, v48 bitop3:0x40
; %bb.62:                               ;   in Loop: Header=BB315_9 Depth=1
	s_or_b32 exec_lo, exec_lo, s30
	s_delay_alu instid0(VALU_DEP_1) | instskip(NEXT) | instid1(VALU_DEP_2)
	v_dual_lshlrev_b32 v48, 24, v47 :: v_dual_lshlrev_b32 v2, 20, v2
	v_lshl_add_u32 v46, v46, 23, 0x3c000000
	s_delay_alu instid0(VALU_DEP_2) | instskip(NEXT) | instid1(VALU_DEP_1)
	v_and_b32_e32 v48, 0x80000000, v48
	v_or3_b32 v46, v2, v48, v46
.LBB315_63:                             ;   in Loop: Header=BB315_9 Depth=1
	s_or_b32 exec_lo, exec_lo, s29
.LBB315_64:                             ;   in Loop: Header=BB315_9 Depth=1
	s_delay_alu instid0(SALU_CYCLE_1)
	s_or_b32 exec_lo, exec_lo, s28
.LBB315_65:                             ;   in Loop: Header=BB315_9 Depth=1
	s_delay_alu instid0(SALU_CYCLE_1) | instskip(SKIP_2) | instid1(VALU_DEP_1)
	s_or_b32 exec_lo, exec_lo, s27
	v_lshrrev_b16 v2, 8, v47
	s_mov_b32 s27, exec_lo
	v_cmpx_ne_u16_e32 0, v2
	s_cbranch_execz .LBB315_73
; %bb.66:                               ;   in Loop: Header=BB315_9 Depth=1
	v_bfrev_b32_e32 v45, 1
	s_mov_b32 s28, exec_lo
	v_cmpx_ne_u16_e32 0x80, v2
	s_cbranch_execz .LBB315_72
; %bb.67:                               ;   in Loop: Header=BB315_9 Depth=1
	v_and_b32_e32 v2, 0xffff, v2
	v_mov_b32_e32 v45, 0x7f800001
	s_mov_b32 s29, exec_lo
	s_delay_alu instid0(VALU_DEP_2) | instskip(NEXT) | instid1(VALU_DEP_1)
	v_and_b32_e32 v48, 0x7f, v2
	v_cmpx_ne_u32_e32 0x7f, v48
	s_cbranch_execz .LBB315_71
; %bb.68:                               ;   in Loop: Header=BB315_9 Depth=1
	v_dual_lshrrev_b32 v45, 3, v48 :: v_dual_bitop2_b32 v2, 7, v2 bitop3:0x40
	s_mov_b32 s30, exec_lo
	v_cmpx_gt_u32_e32 8, v48
; %bb.69:                               ;   in Loop: Header=BB315_9 Depth=1
	s_delay_alu instid0(VALU_DEP_2) | instskip(NEXT) | instid1(VALU_DEP_1)
	v_clz_i32_u32_e32 v45, v2
	v_min_u32_e32 v45, 32, v45
	s_delay_alu instid0(VALU_DEP_1) | instskip(NEXT) | instid1(VALU_DEP_1)
	v_subrev_nc_u32_e32 v48, 28, v45
	v_lshlrev_b64_e32 v[48:49], v48, v[2:3]
	s_delay_alu instid0(VALU_DEP_1)
	v_dual_sub_nc_u32 v45, 29, v45 :: v_dual_bitop2_b32 v2, 7, v48 bitop3:0x40
; %bb.70:                               ;   in Loop: Header=BB315_9 Depth=1
	s_or_b32 exec_lo, exec_lo, s30
	s_delay_alu instid0(VALU_DEP_1) | instskip(NEXT) | instid1(VALU_DEP_2)
	v_dual_lshlrev_b32 v47, 16, v47 :: v_dual_lshlrev_b32 v2, 20, v2
	v_lshl_add_u32 v45, v45, 23, 0x3c000000
	s_delay_alu instid0(VALU_DEP_2) | instskip(NEXT) | instid1(VALU_DEP_1)
	v_and_b32_e32 v47, 0x80000000, v47
	v_or3_b32 v45, v2, v47, v45
.LBB315_71:                             ;   in Loop: Header=BB315_9 Depth=1
	s_or_b32 exec_lo, exec_lo, s29
.LBB315_72:                             ;   in Loop: Header=BB315_9 Depth=1
	s_delay_alu instid0(SALU_CYCLE_1)
	s_or_b32 exec_lo, exec_lo, s28
.LBB315_73:                             ;   in Loop: Header=BB315_9 Depth=1
	s_delay_alu instid0(SALU_CYCLE_1)
	s_or_b32 exec_lo, exec_lo, s27
	global_load_u16 v2, v[8:9], off offset:256
	v_mov_b32_e32 v47, 0
	s_wait_loadcnt 0x0
	v_and_b32_e32 v48, 0xff, v2
	v_and_b32_e32 v49, 0xffff, v2
	s_delay_alu instid0(VALU_DEP_2)
	v_cmp_ne_u16_e64 s4, 0, v48
	v_mov_b32_e32 v48, 0
	s_and_saveexec_b32 s27, s4
	s_cbranch_execz .LBB315_81
; %bb.74:                               ;   in Loop: Header=BB315_9 Depth=1
	v_and_b32_e32 v2, 0xff, v49
	v_bfrev_b32_e32 v48, 1
	s_mov_b32 s28, exec_lo
	s_delay_alu instid0(VALU_DEP_2)
	v_cmpx_ne_u16_e32 0x80, v2
	s_cbranch_execz .LBB315_80
; %bb.75:                               ;   in Loop: Header=BB315_9 Depth=1
	v_and_b32_e32 v50, 0x7f, v49
	v_mov_b32_e32 v48, 0x7f800001
	s_mov_b32 s29, exec_lo
	s_delay_alu instid0(VALU_DEP_2)
	v_cmpx_ne_u32_e32 0x7f, v50
	s_cbranch_execz .LBB315_79
; %bb.76:                               ;   in Loop: Header=BB315_9 Depth=1
	v_dual_lshrrev_b32 v48, 3, v50 :: v_dual_bitop2_b32 v2, 7, v49 bitop3:0x40
	s_mov_b32 s30, exec_lo
	v_cmpx_gt_u32_e32 8, v50
; %bb.77:                               ;   in Loop: Header=BB315_9 Depth=1
	s_delay_alu instid0(VALU_DEP_2) | instskip(NEXT) | instid1(VALU_DEP_1)
	v_clz_i32_u32_e32 v48, v2
	v_min_u32_e32 v48, 32, v48
	s_delay_alu instid0(VALU_DEP_1) | instskip(NEXT) | instid1(VALU_DEP_1)
	v_subrev_nc_u32_e32 v50, 28, v48
	v_lshlrev_b64_e32 v[50:51], v50, v[2:3]
	s_delay_alu instid0(VALU_DEP_1)
	v_dual_sub_nc_u32 v48, 29, v48 :: v_dual_bitop2_b32 v2, 7, v50 bitop3:0x40
; %bb.78:                               ;   in Loop: Header=BB315_9 Depth=1
	s_or_b32 exec_lo, exec_lo, s30
	s_delay_alu instid0(VALU_DEP_1) | instskip(NEXT) | instid1(VALU_DEP_2)
	v_dual_lshlrev_b32 v50, 24, v49 :: v_dual_lshlrev_b32 v2, 20, v2
	v_lshl_add_u32 v48, v48, 23, 0x3c000000
	s_delay_alu instid0(VALU_DEP_2) | instskip(NEXT) | instid1(VALU_DEP_1)
	v_and_b32_e32 v50, 0x80000000, v50
	v_or3_b32 v48, v2, v50, v48
.LBB315_79:                             ;   in Loop: Header=BB315_9 Depth=1
	s_or_b32 exec_lo, exec_lo, s29
.LBB315_80:                             ;   in Loop: Header=BB315_9 Depth=1
	s_delay_alu instid0(SALU_CYCLE_1)
	s_or_b32 exec_lo, exec_lo, s28
.LBB315_81:                             ;   in Loop: Header=BB315_9 Depth=1
	s_delay_alu instid0(SALU_CYCLE_1) | instskip(SKIP_2) | instid1(VALU_DEP_1)
	s_or_b32 exec_lo, exec_lo, s27
	v_lshrrev_b16 v2, 8, v49
	s_mov_b32 s27, exec_lo
	v_cmpx_ne_u16_e32 0, v2
	s_cbranch_execz .LBB315_89
; %bb.82:                               ;   in Loop: Header=BB315_9 Depth=1
	v_bfrev_b32_e32 v47, 1
	s_mov_b32 s28, exec_lo
	v_cmpx_ne_u16_e32 0x80, v2
	s_cbranch_execz .LBB315_88
; %bb.83:                               ;   in Loop: Header=BB315_9 Depth=1
	v_and_b32_e32 v2, 0xffff, v2
	v_mov_b32_e32 v47, 0x7f800001
	s_mov_b32 s29, exec_lo
	s_delay_alu instid0(VALU_DEP_2) | instskip(NEXT) | instid1(VALU_DEP_1)
	v_and_b32_e32 v50, 0x7f, v2
	v_cmpx_ne_u32_e32 0x7f, v50
	s_cbranch_execz .LBB315_87
; %bb.84:                               ;   in Loop: Header=BB315_9 Depth=1
	v_and_b32_e32 v2, 7, v2
	v_lshrrev_b32_e32 v47, 3, v50
	s_mov_b32 s30, exec_lo
	v_cmpx_gt_u32_e32 8, v50
; %bb.85:                               ;   in Loop: Header=BB315_9 Depth=1
	s_delay_alu instid0(VALU_DEP_3) | instskip(NEXT) | instid1(VALU_DEP_1)
	v_clz_i32_u32_e32 v47, v2
	v_min_u32_e32 v47, 32, v47
	s_delay_alu instid0(VALU_DEP_1) | instskip(NEXT) | instid1(VALU_DEP_1)
	v_subrev_nc_u32_e32 v50, 28, v47
	v_lshlrev_b64_e32 v[50:51], v50, v[2:3]
	s_delay_alu instid0(VALU_DEP_1)
	v_dual_sub_nc_u32 v47, 29, v47 :: v_dual_bitop2_b32 v2, 7, v50 bitop3:0x40
; %bb.86:                               ;   in Loop: Header=BB315_9 Depth=1
	s_or_b32 exec_lo, exec_lo, s30
	s_delay_alu instid0(VALU_DEP_1) | instskip(NEXT) | instid1(VALU_DEP_2)
	v_dual_lshlrev_b32 v49, 16, v49 :: v_dual_lshlrev_b32 v2, 20, v2
	v_lshl_add_u32 v47, v47, 23, 0x3c000000
	s_delay_alu instid0(VALU_DEP_2) | instskip(NEXT) | instid1(VALU_DEP_1)
	v_and_b32_e32 v49, 0x80000000, v49
	v_or3_b32 v47, v2, v49, v47
.LBB315_87:                             ;   in Loop: Header=BB315_9 Depth=1
	s_or_b32 exec_lo, exec_lo, s29
.LBB315_88:                             ;   in Loop: Header=BB315_9 Depth=1
	s_delay_alu instid0(SALU_CYCLE_1)
	s_or_b32 exec_lo, exec_lo, s28
.LBB315_89:                             ;   in Loop: Header=BB315_9 Depth=1
	s_delay_alu instid0(SALU_CYCLE_1)
	s_or_b32 exec_lo, exec_lo, s27
	global_load_u16 v2, v[8:9], off offset:264
	v_mov_b32_e32 v49, 0
	s_wait_loadcnt 0x0
	v_and_b32_e32 v50, 0xff, v2
	v_and_b32_e32 v51, 0xffff, v2
	s_delay_alu instid0(VALU_DEP_2)
	v_cmp_ne_u16_e64 s4, 0, v50
	v_mov_b32_e32 v50, 0
	s_and_saveexec_b32 s27, s4
	s_cbranch_execz .LBB315_97
; %bb.90:                               ;   in Loop: Header=BB315_9 Depth=1
	v_and_b32_e32 v2, 0xff, v51
	v_bfrev_b32_e32 v50, 1
	s_mov_b32 s28, exec_lo
	s_delay_alu instid0(VALU_DEP_2)
	v_cmpx_ne_u16_e32 0x80, v2
	s_cbranch_execz .LBB315_96
; %bb.91:                               ;   in Loop: Header=BB315_9 Depth=1
	v_and_b32_e32 v52, 0x7f, v51
	v_mov_b32_e32 v50, 0x7f800001
	s_mov_b32 s29, exec_lo
	s_delay_alu instid0(VALU_DEP_2)
	v_cmpx_ne_u32_e32 0x7f, v52
	s_cbranch_execz .LBB315_95
; %bb.92:                               ;   in Loop: Header=BB315_9 Depth=1
	v_dual_lshrrev_b32 v50, 3, v52 :: v_dual_bitop2_b32 v2, 7, v51 bitop3:0x40
	s_mov_b32 s30, exec_lo
	v_cmpx_gt_u32_e32 8, v52
; %bb.93:                               ;   in Loop: Header=BB315_9 Depth=1
	s_delay_alu instid0(VALU_DEP_2) | instskip(NEXT) | instid1(VALU_DEP_1)
	v_clz_i32_u32_e32 v50, v2
	v_min_u32_e32 v50, 32, v50
	s_delay_alu instid0(VALU_DEP_1) | instskip(NEXT) | instid1(VALU_DEP_1)
	v_subrev_nc_u32_e32 v52, 28, v50
	v_lshlrev_b64_e32 v[52:53], v52, v[2:3]
	s_delay_alu instid0(VALU_DEP_1)
	v_dual_sub_nc_u32 v50, 29, v50 :: v_dual_bitop2_b32 v2, 7, v52 bitop3:0x40
; %bb.94:                               ;   in Loop: Header=BB315_9 Depth=1
	s_or_b32 exec_lo, exec_lo, s30
	s_delay_alu instid0(VALU_DEP_1) | instskip(NEXT) | instid1(VALU_DEP_2)
	v_dual_lshlrev_b32 v52, 24, v51 :: v_dual_lshlrev_b32 v2, 20, v2
	v_lshl_add_u32 v50, v50, 23, 0x3c000000
	s_delay_alu instid0(VALU_DEP_2) | instskip(NEXT) | instid1(VALU_DEP_1)
	v_and_b32_e32 v52, 0x80000000, v52
	v_or3_b32 v50, v2, v52, v50
.LBB315_95:                             ;   in Loop: Header=BB315_9 Depth=1
	s_or_b32 exec_lo, exec_lo, s29
.LBB315_96:                             ;   in Loop: Header=BB315_9 Depth=1
	s_delay_alu instid0(SALU_CYCLE_1)
	s_or_b32 exec_lo, exec_lo, s28
.LBB315_97:                             ;   in Loop: Header=BB315_9 Depth=1
	s_delay_alu instid0(SALU_CYCLE_1) | instskip(SKIP_2) | instid1(VALU_DEP_1)
	s_or_b32 exec_lo, exec_lo, s27
	v_lshrrev_b16 v2, 8, v51
	s_mov_b32 s27, exec_lo
	v_cmpx_ne_u16_e32 0, v2
	s_cbranch_execz .LBB315_105
; %bb.98:                               ;   in Loop: Header=BB315_9 Depth=1
	v_bfrev_b32_e32 v49, 1
	s_mov_b32 s28, exec_lo
	v_cmpx_ne_u16_e32 0x80, v2
	s_cbranch_execz .LBB315_104
; %bb.99:                               ;   in Loop: Header=BB315_9 Depth=1
	v_and_b32_e32 v2, 0xffff, v2
	v_mov_b32_e32 v49, 0x7f800001
	s_mov_b32 s29, exec_lo
	s_delay_alu instid0(VALU_DEP_2) | instskip(NEXT) | instid1(VALU_DEP_1)
	v_and_b32_e32 v52, 0x7f, v2
	v_cmpx_ne_u32_e32 0x7f, v52
	s_cbranch_execz .LBB315_103
; %bb.100:                              ;   in Loop: Header=BB315_9 Depth=1
	v_dual_lshrrev_b32 v49, 3, v52 :: v_dual_bitop2_b32 v2, 7, v2 bitop3:0x40
	s_mov_b32 s30, exec_lo
	v_cmpx_gt_u32_e32 8, v52
; %bb.101:                              ;   in Loop: Header=BB315_9 Depth=1
	s_delay_alu instid0(VALU_DEP_2) | instskip(NEXT) | instid1(VALU_DEP_1)
	v_clz_i32_u32_e32 v49, v2
	v_min_u32_e32 v49, 32, v49
	s_delay_alu instid0(VALU_DEP_1) | instskip(NEXT) | instid1(VALU_DEP_1)
	v_subrev_nc_u32_e32 v52, 28, v49
	v_lshlrev_b64_e32 v[52:53], v52, v[2:3]
	s_delay_alu instid0(VALU_DEP_1)
	v_dual_sub_nc_u32 v49, 29, v49 :: v_dual_bitop2_b32 v2, 7, v52 bitop3:0x40
; %bb.102:                              ;   in Loop: Header=BB315_9 Depth=1
	s_or_b32 exec_lo, exec_lo, s30
	s_delay_alu instid0(VALU_DEP_1) | instskip(NEXT) | instid1(VALU_DEP_2)
	v_dual_lshlrev_b32 v51, 16, v51 :: v_dual_lshlrev_b32 v2, 20, v2
	v_lshl_add_u32 v49, v49, 23, 0x3c000000
	s_delay_alu instid0(VALU_DEP_2) | instskip(NEXT) | instid1(VALU_DEP_1)
	v_and_b32_e32 v51, 0x80000000, v51
	v_or3_b32 v49, v2, v51, v49
.LBB315_103:                            ;   in Loop: Header=BB315_9 Depth=1
	s_or_b32 exec_lo, exec_lo, s29
.LBB315_104:                            ;   in Loop: Header=BB315_9 Depth=1
	s_delay_alu instid0(SALU_CYCLE_1)
	s_or_b32 exec_lo, exec_lo, s28
.LBB315_105:                            ;   in Loop: Header=BB315_9 Depth=1
	s_delay_alu instid0(SALU_CYCLE_1)
	s_or_b32 exec_lo, exec_lo, s27
	global_load_u16 v2, v[8:9], off offset:384
	v_mov_b32_e32 v51, 0
	s_wait_loadcnt 0x0
	v_and_b32_e32 v52, 0xff, v2
	v_and_b32_e32 v53, 0xffff, v2
	s_delay_alu instid0(VALU_DEP_2)
	v_cmp_ne_u16_e64 s4, 0, v52
	v_mov_b32_e32 v52, 0
	s_and_saveexec_b32 s27, s4
	s_cbranch_execz .LBB315_113
; %bb.106:                              ;   in Loop: Header=BB315_9 Depth=1
	v_and_b32_e32 v2, 0xff, v53
	v_bfrev_b32_e32 v52, 1
	s_mov_b32 s28, exec_lo
	s_delay_alu instid0(VALU_DEP_2)
	v_cmpx_ne_u16_e32 0x80, v2
	s_cbranch_execz .LBB315_112
; %bb.107:                              ;   in Loop: Header=BB315_9 Depth=1
	v_and_b32_e32 v54, 0x7f, v53
	v_mov_b32_e32 v52, 0x7f800001
	s_mov_b32 s29, exec_lo
	s_delay_alu instid0(VALU_DEP_2)
	v_cmpx_ne_u32_e32 0x7f, v54
	s_cbranch_execz .LBB315_111
; %bb.108:                              ;   in Loop: Header=BB315_9 Depth=1
	v_dual_lshrrev_b32 v52, 3, v54 :: v_dual_bitop2_b32 v2, 7, v53 bitop3:0x40
	s_mov_b32 s30, exec_lo
	v_cmpx_gt_u32_e32 8, v54
; %bb.109:                              ;   in Loop: Header=BB315_9 Depth=1
	s_delay_alu instid0(VALU_DEP_2) | instskip(NEXT) | instid1(VALU_DEP_1)
	v_clz_i32_u32_e32 v52, v2
	v_min_u32_e32 v52, 32, v52
	s_delay_alu instid0(VALU_DEP_1) | instskip(NEXT) | instid1(VALU_DEP_1)
	v_subrev_nc_u32_e32 v54, 28, v52
	v_lshlrev_b64_e32 v[54:55], v54, v[2:3]
	s_delay_alu instid0(VALU_DEP_1)
	v_dual_sub_nc_u32 v52, 29, v52 :: v_dual_bitop2_b32 v2, 7, v54 bitop3:0x40
; %bb.110:                              ;   in Loop: Header=BB315_9 Depth=1
	s_or_b32 exec_lo, exec_lo, s30
	s_delay_alu instid0(VALU_DEP_1) | instskip(NEXT) | instid1(VALU_DEP_2)
	v_dual_lshlrev_b32 v54, 24, v53 :: v_dual_lshlrev_b32 v2, 20, v2
	v_lshl_add_u32 v52, v52, 23, 0x3c000000
	s_delay_alu instid0(VALU_DEP_2) | instskip(NEXT) | instid1(VALU_DEP_1)
	v_and_b32_e32 v54, 0x80000000, v54
	v_or3_b32 v52, v2, v54, v52
.LBB315_111:                            ;   in Loop: Header=BB315_9 Depth=1
	s_or_b32 exec_lo, exec_lo, s29
.LBB315_112:                            ;   in Loop: Header=BB315_9 Depth=1
	s_delay_alu instid0(SALU_CYCLE_1)
	s_or_b32 exec_lo, exec_lo, s28
.LBB315_113:                            ;   in Loop: Header=BB315_9 Depth=1
	s_delay_alu instid0(SALU_CYCLE_1) | instskip(SKIP_2) | instid1(VALU_DEP_1)
	s_or_b32 exec_lo, exec_lo, s27
	v_lshrrev_b16 v2, 8, v53
	s_mov_b32 s27, exec_lo
	v_cmpx_ne_u16_e32 0, v2
	s_cbranch_execz .LBB315_121
; %bb.114:                              ;   in Loop: Header=BB315_9 Depth=1
	v_bfrev_b32_e32 v51, 1
	s_mov_b32 s28, exec_lo
	v_cmpx_ne_u16_e32 0x80, v2
	s_cbranch_execz .LBB315_120
; %bb.115:                              ;   in Loop: Header=BB315_9 Depth=1
	v_and_b32_e32 v2, 0xffff, v2
	v_mov_b32_e32 v51, 0x7f800001
	s_mov_b32 s29, exec_lo
	s_delay_alu instid0(VALU_DEP_2) | instskip(NEXT) | instid1(VALU_DEP_1)
	v_and_b32_e32 v54, 0x7f, v2
	v_cmpx_ne_u32_e32 0x7f, v54
	s_cbranch_execz .LBB315_119
; %bb.116:                              ;   in Loop: Header=BB315_9 Depth=1
	v_and_b32_e32 v2, 7, v2
	v_lshrrev_b32_e32 v51, 3, v54
	s_mov_b32 s30, exec_lo
	v_cmpx_gt_u32_e32 8, v54
; %bb.117:                              ;   in Loop: Header=BB315_9 Depth=1
	s_delay_alu instid0(VALU_DEP_3) | instskip(NEXT) | instid1(VALU_DEP_1)
	v_clz_i32_u32_e32 v51, v2
	v_min_u32_e32 v51, 32, v51
	s_delay_alu instid0(VALU_DEP_1) | instskip(NEXT) | instid1(VALU_DEP_1)
	v_subrev_nc_u32_e32 v54, 28, v51
	v_lshlrev_b64_e32 v[54:55], v54, v[2:3]
	s_delay_alu instid0(VALU_DEP_1)
	v_dual_sub_nc_u32 v51, 29, v51 :: v_dual_bitop2_b32 v2, 7, v54 bitop3:0x40
; %bb.118:                              ;   in Loop: Header=BB315_9 Depth=1
	s_or_b32 exec_lo, exec_lo, s30
	s_delay_alu instid0(VALU_DEP_1) | instskip(NEXT) | instid1(VALU_DEP_2)
	v_dual_lshlrev_b32 v53, 16, v53 :: v_dual_lshlrev_b32 v2, 20, v2
	v_lshl_add_u32 v51, v51, 23, 0x3c000000
	s_delay_alu instid0(VALU_DEP_2) | instskip(NEXT) | instid1(VALU_DEP_1)
	v_and_b32_e32 v53, 0x80000000, v53
	v_or3_b32 v51, v2, v53, v51
.LBB315_119:                            ;   in Loop: Header=BB315_9 Depth=1
	s_or_b32 exec_lo, exec_lo, s29
.LBB315_120:                            ;   in Loop: Header=BB315_9 Depth=1
	s_delay_alu instid0(SALU_CYCLE_1)
	s_or_b32 exec_lo, exec_lo, s28
.LBB315_121:                            ;   in Loop: Header=BB315_9 Depth=1
	s_delay_alu instid0(SALU_CYCLE_1)
	s_or_b32 exec_lo, exec_lo, s27
	global_load_u16 v2, v[8:9], off offset:392
	v_mov_b32_e32 v53, 0
	s_wait_loadcnt 0x0
	v_and_b32_e32 v54, 0xff, v2
	v_and_b32_e32 v55, 0xffff, v2
	s_delay_alu instid0(VALU_DEP_2)
	v_cmp_ne_u16_e64 s4, 0, v54
	v_mov_b32_e32 v54, 0
	s_and_saveexec_b32 s27, s4
	s_cbranch_execz .LBB315_129
; %bb.122:                              ;   in Loop: Header=BB315_9 Depth=1
	v_and_b32_e32 v2, 0xff, v55
	v_bfrev_b32_e32 v54, 1
	s_mov_b32 s28, exec_lo
	s_delay_alu instid0(VALU_DEP_2)
	v_cmpx_ne_u16_e32 0x80, v2
	s_cbranch_execz .LBB315_128
; %bb.123:                              ;   in Loop: Header=BB315_9 Depth=1
	v_and_b32_e32 v56, 0x7f, v55
	v_mov_b32_e32 v54, 0x7f800001
	s_mov_b32 s29, exec_lo
	s_delay_alu instid0(VALU_DEP_2)
	v_cmpx_ne_u32_e32 0x7f, v56
	s_cbranch_execz .LBB315_127
; %bb.124:                              ;   in Loop: Header=BB315_9 Depth=1
	v_dual_lshrrev_b32 v54, 3, v56 :: v_dual_bitop2_b32 v2, 7, v55 bitop3:0x40
	s_mov_b32 s30, exec_lo
	v_cmpx_gt_u32_e32 8, v56
; %bb.125:                              ;   in Loop: Header=BB315_9 Depth=1
	s_delay_alu instid0(VALU_DEP_2) | instskip(NEXT) | instid1(VALU_DEP_1)
	v_clz_i32_u32_e32 v54, v2
	v_min_u32_e32 v54, 32, v54
	s_delay_alu instid0(VALU_DEP_1) | instskip(NEXT) | instid1(VALU_DEP_1)
	v_subrev_nc_u32_e32 v56, 28, v54
	v_lshlrev_b64_e32 v[56:57], v56, v[2:3]
	s_delay_alu instid0(VALU_DEP_1)
	v_dual_sub_nc_u32 v54, 29, v54 :: v_dual_bitop2_b32 v2, 7, v56 bitop3:0x40
; %bb.126:                              ;   in Loop: Header=BB315_9 Depth=1
	s_or_b32 exec_lo, exec_lo, s30
	s_delay_alu instid0(VALU_DEP_1) | instskip(NEXT) | instid1(VALU_DEP_2)
	v_dual_lshlrev_b32 v56, 24, v55 :: v_dual_lshlrev_b32 v2, 20, v2
	v_lshl_add_u32 v54, v54, 23, 0x3c000000
	s_delay_alu instid0(VALU_DEP_2) | instskip(NEXT) | instid1(VALU_DEP_1)
	v_and_b32_e32 v56, 0x80000000, v56
	v_or3_b32 v54, v2, v56, v54
.LBB315_127:                            ;   in Loop: Header=BB315_9 Depth=1
	s_or_b32 exec_lo, exec_lo, s29
.LBB315_128:                            ;   in Loop: Header=BB315_9 Depth=1
	s_delay_alu instid0(SALU_CYCLE_1)
	s_or_b32 exec_lo, exec_lo, s28
.LBB315_129:                            ;   in Loop: Header=BB315_9 Depth=1
	s_delay_alu instid0(SALU_CYCLE_1) | instskip(SKIP_2) | instid1(VALU_DEP_1)
	s_or_b32 exec_lo, exec_lo, s27
	v_lshrrev_b16 v2, 8, v55
	s_mov_b32 s27, exec_lo
	v_cmpx_ne_u16_e32 0, v2
	s_cbranch_execz .LBB315_137
; %bb.130:                              ;   in Loop: Header=BB315_9 Depth=1
	v_bfrev_b32_e32 v53, 1
	s_mov_b32 s28, exec_lo
	v_cmpx_ne_u16_e32 0x80, v2
	s_cbranch_execz .LBB315_136
; %bb.131:                              ;   in Loop: Header=BB315_9 Depth=1
	v_and_b32_e32 v2, 0xffff, v2
	v_mov_b32_e32 v53, 0x7f800001
	s_mov_b32 s29, exec_lo
	s_delay_alu instid0(VALU_DEP_2) | instskip(NEXT) | instid1(VALU_DEP_1)
	v_and_b32_e32 v56, 0x7f, v2
	v_cmpx_ne_u32_e32 0x7f, v56
	s_cbranch_execz .LBB315_135
; %bb.132:                              ;   in Loop: Header=BB315_9 Depth=1
	v_dual_lshrrev_b32 v53, 3, v56 :: v_dual_bitop2_b32 v2, 7, v2 bitop3:0x40
	s_mov_b32 s30, exec_lo
	v_cmpx_gt_u32_e32 8, v56
; %bb.133:                              ;   in Loop: Header=BB315_9 Depth=1
	s_delay_alu instid0(VALU_DEP_2) | instskip(NEXT) | instid1(VALU_DEP_1)
	v_clz_i32_u32_e32 v53, v2
	v_min_u32_e32 v53, 32, v53
	s_delay_alu instid0(VALU_DEP_1) | instskip(NEXT) | instid1(VALU_DEP_1)
	v_subrev_nc_u32_e32 v56, 28, v53
	v_lshlrev_b64_e32 v[56:57], v56, v[2:3]
	s_delay_alu instid0(VALU_DEP_1)
	v_dual_sub_nc_u32 v53, 29, v53 :: v_dual_bitop2_b32 v2, 7, v56 bitop3:0x40
; %bb.134:                              ;   in Loop: Header=BB315_9 Depth=1
	s_or_b32 exec_lo, exec_lo, s30
	s_delay_alu instid0(VALU_DEP_1) | instskip(NEXT) | instid1(VALU_DEP_2)
	v_dual_lshlrev_b32 v55, 16, v55 :: v_dual_lshlrev_b32 v2, 20, v2
	v_lshl_add_u32 v53, v53, 23, 0x3c000000
	s_delay_alu instid0(VALU_DEP_2) | instskip(NEXT) | instid1(VALU_DEP_1)
	v_and_b32_e32 v55, 0x80000000, v55
	v_or3_b32 v53, v2, v55, v53
.LBB315_135:                            ;   in Loop: Header=BB315_9 Depth=1
	s_or_b32 exec_lo, exec_lo, s29
.LBB315_136:                            ;   in Loop: Header=BB315_9 Depth=1
	s_delay_alu instid0(SALU_CYCLE_1)
	s_or_b32 exec_lo, exec_lo, s28
.LBB315_137:                            ;   in Loop: Header=BB315_9 Depth=1
	s_delay_alu instid0(SALU_CYCLE_1)
	s_or_b32 exec_lo, exec_lo, s27
	global_load_u16 v2, v[8:9], off offset:512
	v_mov_b32_e32 v55, 0
	s_wait_loadcnt 0x0
	v_and_b32_e32 v56, 0xff, v2
	v_and_b32_e32 v57, 0xffff, v2
	s_delay_alu instid0(VALU_DEP_2)
	v_cmp_ne_u16_e64 s4, 0, v56
	v_mov_b32_e32 v56, 0
	s_and_saveexec_b32 s27, s4
	s_cbranch_execz .LBB315_145
; %bb.138:                              ;   in Loop: Header=BB315_9 Depth=1
	v_and_b32_e32 v2, 0xff, v57
	v_bfrev_b32_e32 v56, 1
	s_mov_b32 s28, exec_lo
	s_delay_alu instid0(VALU_DEP_2)
	v_cmpx_ne_u16_e32 0x80, v2
	s_cbranch_execz .LBB315_144
; %bb.139:                              ;   in Loop: Header=BB315_9 Depth=1
	v_and_b32_e32 v58, 0x7f, v57
	v_mov_b32_e32 v56, 0x7f800001
	s_mov_b32 s29, exec_lo
	s_delay_alu instid0(VALU_DEP_2)
	v_cmpx_ne_u32_e32 0x7f, v58
	s_cbranch_execz .LBB315_143
; %bb.140:                              ;   in Loop: Header=BB315_9 Depth=1
	v_dual_lshrrev_b32 v56, 3, v58 :: v_dual_bitop2_b32 v2, 7, v57 bitop3:0x40
	s_mov_b32 s30, exec_lo
	v_cmpx_gt_u32_e32 8, v58
; %bb.141:                              ;   in Loop: Header=BB315_9 Depth=1
	s_delay_alu instid0(VALU_DEP_2) | instskip(NEXT) | instid1(VALU_DEP_1)
	v_clz_i32_u32_e32 v56, v2
	v_min_u32_e32 v56, 32, v56
	s_delay_alu instid0(VALU_DEP_1) | instskip(NEXT) | instid1(VALU_DEP_1)
	v_subrev_nc_u32_e32 v58, 28, v56
	v_lshlrev_b64_e32 v[58:59], v58, v[2:3]
	s_delay_alu instid0(VALU_DEP_1)
	v_dual_sub_nc_u32 v56, 29, v56 :: v_dual_bitop2_b32 v2, 7, v58 bitop3:0x40
; %bb.142:                              ;   in Loop: Header=BB315_9 Depth=1
	s_or_b32 exec_lo, exec_lo, s30
	s_delay_alu instid0(VALU_DEP_1) | instskip(NEXT) | instid1(VALU_DEP_2)
	v_dual_lshlrev_b32 v58, 24, v57 :: v_dual_lshlrev_b32 v2, 20, v2
	v_lshl_add_u32 v56, v56, 23, 0x3c000000
	s_delay_alu instid0(VALU_DEP_2) | instskip(NEXT) | instid1(VALU_DEP_1)
	v_and_b32_e32 v58, 0x80000000, v58
	v_or3_b32 v56, v2, v58, v56
.LBB315_143:                            ;   in Loop: Header=BB315_9 Depth=1
	s_or_b32 exec_lo, exec_lo, s29
.LBB315_144:                            ;   in Loop: Header=BB315_9 Depth=1
	s_delay_alu instid0(SALU_CYCLE_1)
	s_or_b32 exec_lo, exec_lo, s28
.LBB315_145:                            ;   in Loop: Header=BB315_9 Depth=1
	s_delay_alu instid0(SALU_CYCLE_1) | instskip(SKIP_2) | instid1(VALU_DEP_1)
	s_or_b32 exec_lo, exec_lo, s27
	v_lshrrev_b16 v2, 8, v57
	s_mov_b32 s27, exec_lo
	v_cmpx_ne_u16_e32 0, v2
	s_cbranch_execz .LBB315_153
; %bb.146:                              ;   in Loop: Header=BB315_9 Depth=1
	v_bfrev_b32_e32 v55, 1
	s_mov_b32 s28, exec_lo
	v_cmpx_ne_u16_e32 0x80, v2
	s_cbranch_execz .LBB315_152
; %bb.147:                              ;   in Loop: Header=BB315_9 Depth=1
	v_and_b32_e32 v2, 0xffff, v2
	v_mov_b32_e32 v55, 0x7f800001
	s_mov_b32 s29, exec_lo
	s_delay_alu instid0(VALU_DEP_2) | instskip(NEXT) | instid1(VALU_DEP_1)
	v_and_b32_e32 v58, 0x7f, v2
	v_cmpx_ne_u32_e32 0x7f, v58
	s_cbranch_execz .LBB315_151
; %bb.148:                              ;   in Loop: Header=BB315_9 Depth=1
	v_and_b32_e32 v2, 7, v2
	v_lshrrev_b32_e32 v55, 3, v58
	s_mov_b32 s30, exec_lo
	v_cmpx_gt_u32_e32 8, v58
; %bb.149:                              ;   in Loop: Header=BB315_9 Depth=1
	s_delay_alu instid0(VALU_DEP_3) | instskip(NEXT) | instid1(VALU_DEP_1)
	v_clz_i32_u32_e32 v55, v2
	v_min_u32_e32 v55, 32, v55
	s_delay_alu instid0(VALU_DEP_1) | instskip(NEXT) | instid1(VALU_DEP_1)
	v_subrev_nc_u32_e32 v58, 28, v55
	v_lshlrev_b64_e32 v[58:59], v58, v[2:3]
	s_delay_alu instid0(VALU_DEP_1)
	v_dual_sub_nc_u32 v55, 29, v55 :: v_dual_bitop2_b32 v2, 7, v58 bitop3:0x40
; %bb.150:                              ;   in Loop: Header=BB315_9 Depth=1
	s_or_b32 exec_lo, exec_lo, s30
	s_delay_alu instid0(VALU_DEP_1) | instskip(NEXT) | instid1(VALU_DEP_2)
	v_dual_lshlrev_b32 v57, 16, v57 :: v_dual_lshlrev_b32 v2, 20, v2
	v_lshl_add_u32 v55, v55, 23, 0x3c000000
	s_delay_alu instid0(VALU_DEP_2) | instskip(NEXT) | instid1(VALU_DEP_1)
	v_and_b32_e32 v57, 0x80000000, v57
	v_or3_b32 v55, v2, v57, v55
.LBB315_151:                            ;   in Loop: Header=BB315_9 Depth=1
	s_or_b32 exec_lo, exec_lo, s29
.LBB315_152:                            ;   in Loop: Header=BB315_9 Depth=1
	s_delay_alu instid0(SALU_CYCLE_1)
	s_or_b32 exec_lo, exec_lo, s28
.LBB315_153:                            ;   in Loop: Header=BB315_9 Depth=1
	s_delay_alu instid0(SALU_CYCLE_1)
	s_or_b32 exec_lo, exec_lo, s27
	global_load_u16 v2, v[8:9], off offset:520
	s_wait_xcnt 0x0
	v_mov_b32_e32 v8, 0
	s_wait_loadcnt 0x0
	v_and_b32_e32 v9, 0xff, v2
	v_and_b32_e32 v57, 0xffff, v2
	s_delay_alu instid0(VALU_DEP_2)
	v_cmp_ne_u16_e64 s4, 0, v9
	v_mov_b32_e32 v9, 0
	s_and_saveexec_b32 s27, s4
	s_cbranch_execz .LBB315_161
; %bb.154:                              ;   in Loop: Header=BB315_9 Depth=1
	v_and_b32_e32 v2, 0xff, v57
	v_bfrev_b32_e32 v9, 1
	s_mov_b32 s28, exec_lo
	s_delay_alu instid0(VALU_DEP_2)
	v_cmpx_ne_u16_e32 0x80, v2
	s_cbranch_execz .LBB315_160
; %bb.155:                              ;   in Loop: Header=BB315_9 Depth=1
	v_and_b32_e32 v58, 0x7f, v57
	v_mov_b32_e32 v9, 0x7f800001
	s_mov_b32 s29, exec_lo
	s_delay_alu instid0(VALU_DEP_2)
	v_cmpx_ne_u32_e32 0x7f, v58
	s_cbranch_execz .LBB315_159
; %bb.156:                              ;   in Loop: Header=BB315_9 Depth=1
	v_dual_lshrrev_b32 v9, 3, v58 :: v_dual_bitop2_b32 v2, 7, v57 bitop3:0x40
	s_mov_b32 s30, exec_lo
	v_cmpx_gt_u32_e32 8, v58
; %bb.157:                              ;   in Loop: Header=BB315_9 Depth=1
	s_delay_alu instid0(VALU_DEP_2) | instskip(NEXT) | instid1(VALU_DEP_1)
	v_clz_i32_u32_e32 v9, v2
	v_min_u32_e32 v9, 32, v9
	s_delay_alu instid0(VALU_DEP_1) | instskip(NEXT) | instid1(VALU_DEP_1)
	v_subrev_nc_u32_e32 v58, 28, v9
	v_lshlrev_b64_e32 v[58:59], v58, v[2:3]
	s_delay_alu instid0(VALU_DEP_1)
	v_dual_sub_nc_u32 v9, 29, v9 :: v_dual_bitop2_b32 v2, 7, v58 bitop3:0x40
; %bb.158:                              ;   in Loop: Header=BB315_9 Depth=1
	s_or_b32 exec_lo, exec_lo, s30
	s_delay_alu instid0(VALU_DEP_1) | instskip(NEXT) | instid1(VALU_DEP_2)
	v_dual_lshlrev_b32 v58, 24, v57 :: v_dual_lshlrev_b32 v2, 20, v2
	v_lshl_add_u32 v9, v9, 23, 0x3c000000
	s_delay_alu instid0(VALU_DEP_2) | instskip(NEXT) | instid1(VALU_DEP_1)
	v_and_b32_e32 v58, 0x80000000, v58
	v_or3_b32 v9, v2, v58, v9
.LBB315_159:                            ;   in Loop: Header=BB315_9 Depth=1
	s_or_b32 exec_lo, exec_lo, s29
.LBB315_160:                            ;   in Loop: Header=BB315_9 Depth=1
	s_delay_alu instid0(SALU_CYCLE_1)
	s_or_b32 exec_lo, exec_lo, s28
.LBB315_161:                            ;   in Loop: Header=BB315_9 Depth=1
	s_delay_alu instid0(SALU_CYCLE_1) | instskip(SKIP_2) | instid1(VALU_DEP_1)
	s_or_b32 exec_lo, exec_lo, s27
	v_lshrrev_b16 v2, 8, v57
	s_mov_b32 s27, exec_lo
	v_cmpx_ne_u16_e32 0, v2
	s_cbranch_execz .LBB315_169
; %bb.162:                              ;   in Loop: Header=BB315_9 Depth=1
	v_bfrev_b32_e32 v8, 1
	s_mov_b32 s28, exec_lo
	v_cmpx_ne_u16_e32 0x80, v2
	s_cbranch_execz .LBB315_168
; %bb.163:                              ;   in Loop: Header=BB315_9 Depth=1
	v_and_b32_e32 v2, 0xffff, v2
	v_mov_b32_e32 v8, 0x7f800001
	s_mov_b32 s29, exec_lo
	s_delay_alu instid0(VALU_DEP_2) | instskip(NEXT) | instid1(VALU_DEP_1)
	v_and_b32_e32 v58, 0x7f, v2
	v_cmpx_ne_u32_e32 0x7f, v58
	s_cbranch_execz .LBB315_167
; %bb.164:                              ;   in Loop: Header=BB315_9 Depth=1
	v_and_b32_e32 v2, 7, v2
	v_lshrrev_b32_e32 v8, 3, v58
	s_mov_b32 s30, exec_lo
	v_cmpx_gt_u32_e32 8, v58
; %bb.165:                              ;   in Loop: Header=BB315_9 Depth=1
	s_delay_alu instid0(VALU_DEP_3) | instskip(NEXT) | instid1(VALU_DEP_1)
	v_clz_i32_u32_e32 v8, v2
	v_min_u32_e32 v8, 32, v8
	s_delay_alu instid0(VALU_DEP_1) | instskip(NEXT) | instid1(VALU_DEP_1)
	v_subrev_nc_u32_e32 v58, 28, v8
	v_lshlrev_b64_e32 v[58:59], v58, v[2:3]
	s_delay_alu instid0(VALU_DEP_1)
	v_dual_sub_nc_u32 v8, 29, v8 :: v_dual_bitop2_b32 v2, 7, v58 bitop3:0x40
; %bb.166:                              ;   in Loop: Header=BB315_9 Depth=1
	s_or_b32 exec_lo, exec_lo, s30
	s_delay_alu instid0(VALU_DEP_1) | instskip(NEXT) | instid1(VALU_DEP_2)
	v_dual_lshlrev_b32 v57, 16, v57 :: v_dual_lshlrev_b32 v2, 20, v2
	v_lshl_add_u32 v8, v8, 23, 0x3c000000
	s_delay_alu instid0(VALU_DEP_2) | instskip(NEXT) | instid1(VALU_DEP_1)
	v_and_b32_e32 v57, 0x80000000, v57
	v_or3_b32 v8, v2, v57, v8
.LBB315_167:                            ;   in Loop: Header=BB315_9 Depth=1
	s_or_b32 exec_lo, exec_lo, s29
.LBB315_168:                            ;   in Loop: Header=BB315_9 Depth=1
	s_delay_alu instid0(SALU_CYCLE_1)
	s_or_b32 exec_lo, exec_lo, s28
.LBB315_169:                            ;   in Loop: Header=BB315_9 Depth=1
	s_delay_alu instid0(SALU_CYCLE_1)
	s_or_b32 exec_lo, exec_lo, s27
	s_wait_kmcnt 0x0
	v_fma_mixlo_bf16 v2, s5, v42, 0
	v_fma_mixlo_bf16 v41, s5, v41, 0
	;; [unrolled: 1-line block ×5, first 2 shown]
	s_delay_alu instid0(VALU_DEP_4) | instskip(SKIP_3) | instid1(VALU_DEP_4)
	v_dual_lshlrev_b32 v2, 16, v2 :: v_dual_lshlrev_b32 v41, 16, v41
	v_fma_mixlo_bf16 v43, s5, v44, 0
	v_fma_mixlo_bf16 v9, s5, v9, 0
	;; [unrolled: 1-line block ×3, first 2 shown]
	v_dual_mul_f32 v2, v15, v2 :: v_dual_mul_f32 v41, v16, v41
	s_delay_alu instid0(VALU_DEP_1) | instskip(NEXT) | instid1(VALU_DEP_2)
	v_fma_mix_f32_bf16 v2, v13, v40, v2 op_sel_hi:[0,1,0]
	v_fma_mix_f32_bf16 v39, v14, v39, v41 op_sel_hi:[0,1,0]
	v_fma_mixlo_bf16 v40, s5, v45, 0
	v_fma_mixlo_bf16 v41, s5, v46, 0
	s_delay_alu instid0(VALU_DEP_4) | instskip(NEXT) | instid1(VALU_DEP_4)
	v_fma_mix_f32_bf16 v2, v17, v43, v2 op_sel_hi:[0,1,0]
	v_fma_mix_f32_bf16 v39, v18, v42, v39 op_sel_hi:[0,1,0]
	v_fma_mixlo_bf16 v42, s5, v47, 0
	v_fma_mixlo_bf16 v43, s5, v48, 0
	s_delay_alu instid0(VALU_DEP_4) | instskip(NEXT) | instid1(VALU_DEP_4)
	;; [unrolled: 5-line block ×6, first 2 shown]
	v_fma_mix_f32_bf16 v2, v27, v41, v2 op_sel_hi:[0,1,0]
	v_fma_mix_f32_bf16 v39, v28, v40, v39 op_sel_hi:[0,1,0]
	s_delay_alu instid0(VALU_DEP_2) | instskip(NEXT) | instid1(VALU_DEP_2)
	v_fma_mix_f32_bf16 v2, v29, v43, v2 op_sel_hi:[0,1,0]
	v_fma_mix_f32_bf16 v39, v30, v42, v39 op_sel_hi:[0,1,0]
	s_delay_alu instid0(VALU_DEP_2) | instskip(NEXT) | instid1(VALU_DEP_2)
	v_fma_mix_f32_bf16 v2, v32, v9, v2 op_sel_hi:[0,1,0]
	v_fma_mix_f32_bf16 v8, v33, v8, v39 op_sel_hi:[0,1,0]
	s_delay_alu instid0(VALU_DEP_1)
	v_add_f32_e32 v2, v2, v8
	ds_bpermute_b32 v8, v34, v2
	s_wait_dscnt 0x0
	v_add_f32_e32 v2, v2, v8
	ds_bpermute_b32 v8, v35, v2
	s_and_saveexec_b32 s27, vcc_lo
	s_cbranch_execz .LBB315_8
; %bb.170:                              ;   in Loop: Header=BB315_9 Depth=1
	s_wait_dscnt 0x0
	v_add_f32_e32 v2, v2, v8
	v_add_nc_u32_e32 v9, s26, v36
	v_cmp_gt_i32_e64 s4, s23, v36
	s_delay_alu instid0(VALU_DEP_2) | instskip(NEXT) | instid1(VALU_DEP_1)
	v_cvt_f32_i32_e32 v9, v9
	v_mul_f32_e32 v9, s18, v9
	s_delay_alu instid0(VALU_DEP_1) | instskip(NEXT) | instid1(VALU_DEP_1)
	v_dual_cndmask_b32 v8, 0, v9, s3 :: v_dual_max_num_f32 v9, v31, v31
	v_fmac_f32_e32 v8, s19, v2
	s_delay_alu instid0(VALU_DEP_1) | instskip(NEXT) | instid1(VALU_DEP_1)
	v_dual_max_num_f32 v2, v9, v8 :: v_dual_cndmask_b32 v8, 0, v8, s4
	v_cndmask_b32_e64 v31, v31, v2, s4
	ds_store_b32 v37, v8
	s_branch .LBB315_8
.LBB315_171:
	s_or_b32 exec_lo, exec_lo, s11
.LBB315_172:
	s_delay_alu instid0(SALU_CYCLE_1)
	s_or_b32 exec_lo, exec_lo, s24
	v_dual_max_num_f32 v6, v31, v31 :: v_dual_bitop2_b32 v2, 16, v10 bitop3:0x14
	v_xor_b32_e32 v5, 8, v10
	s_wait_kmcnt 0x0
	s_clause 0x1
	s_load_b64 s[4:5], s[0:1], 0x0
	s_load_b64 s[18:19], s[0:1], 0x18
	v_and_b32_e32 v28, 31, v0
	v_cmp_lt_i32_e32 vcc_lo, v2, v11
	v_cndmask_b32_e32 v2, v10, v2, vcc_lo
	v_cmp_lt_i32_e32 vcc_lo, v5, v11
	s_delay_alu instid0(VALU_DEP_2) | instskip(SKIP_3) | instid1(VALU_DEP_1)
	v_dual_cndmask_b32 v5, v10, v5 :: v_dual_lshlrev_b32 v2, 2, v2
	ds_bpermute_b32 v4, v2, v31
	s_wait_dscnt 0x0
	v_dual_max_num_f32 v7, v4, v4 :: v_dual_lshlrev_b32 v4, 2, v5
	v_dual_max_num_f32 v5, v6, v7 :: v_dual_bitop2_b32 v7, 4, v10 bitop3:0x14
	ds_bpermute_b32 v6, v4, v5
	s_wait_dscnt 0x0
	v_max_num_f32_e32 v6, v6, v6
	s_delay_alu instid0(VALU_DEP_1) | instskip(SKIP_3) | instid1(VALU_DEP_2)
	v_dual_max_num_f32 v6, v5, v6 :: v_dual_lshlrev_b32 v5, 2, v1
	v_cmp_lt_i32_e32 vcc_lo, v7, v11
	v_cndmask_b32_e32 v7, v10, v7, vcc_lo
	v_cmp_eq_u32_e32 vcc_lo, 0, v28
	v_lshlrev_b32_e32 v7, 2, v7
	ds_bpermute_b32 v8, v7, v6
	s_wait_xcnt 0x0
	s_and_saveexec_b32 s0, vcc_lo
	s_cbranch_execz .LBB315_174
; %bb.173:
	s_wait_dscnt 0x0
	v_dual_max_num_f32 v8, v8, v8 :: v_dual_max_num_f32 v6, v6, v6
	s_delay_alu instid0(VALU_DEP_1)
	v_max_num_f32_e32 v6, v6, v8
	ds_store_b32 v5, v6 offset:160
.LBB315_174:
	s_or_b32 exec_lo, exec_lo, s0
	v_cmp_gt_u32_e64 s0, 4, v28
	v_dual_mov_b32 v9, 0xff7fffff :: v_dual_lshlrev_b32 v6, 2, v28
	s_wait_dscnt 0x0
	s_barrier_signal -1
	s_barrier_wait -1
	s_and_saveexec_b32 s1, s0
; %bb.175:
	ds_load_b32 v9, v6 offset:160
; %bb.176:
	s_or_b32 exec_lo, exec_lo, s1
	s_wait_dscnt 0x0
	v_dual_max_num_f32 v15, v9, v9 :: v_dual_bitop2_b32 v8, 2, v10 bitop3:0x14
	v_lshl_add_u32 v29, v0, 2, 0xc0
	v_dual_lshlrev_b32 v3, 2, v3 :: v_dual_bitop2_b32 v14, 1, v10 bitop3:0x14
	s_delay_alu instid0(VALU_DEP_3) | instskip(NEXT) | instid1(VALU_DEP_1)
	v_cmp_lt_i32_e64 s1, v8, v11
	v_cndmask_b32_e64 v8, v10, v8, s1
	s_delay_alu instid0(VALU_DEP_3) | instskip(NEXT) | instid1(VALU_DEP_2)
	v_cmp_lt_i32_e64 s1, v14, v11
	v_lshlrev_b32_e32 v8, 2, v8
	ds_bpermute_b32 v13, v8, v9
	v_cndmask_b32_e64 v9, v10, v14, s1
	s_lshl_b32 s1, s13, 3
	s_delay_alu instid0(SALU_CYCLE_1) | instskip(NEXT) | instid1(SALU_CYCLE_1)
	s_min_i32 s11, s1, s23
	v_cmp_gt_i32_e64 s1, s11, v0
	s_wait_dscnt 0x0
	v_max_num_f32_e32 v11, v13, v13
	s_delay_alu instid0(VALU_DEP_1) | instskip(SKIP_3) | instid1(VALU_DEP_1)
	v_dual_lshlrev_b32 v9, 2, v9 :: v_dual_max_num_f32 v11, v15, v11
	ds_bpermute_b32 v13, v9, v11
	s_wait_dscnt 0x0
	v_max_num_f32_e32 v13, v13, v13
	v_max_num_f32_e32 v11, v11, v13
	ds_bpermute_b32 v11, v3, v11
	v_mov_b32_e32 v3, 0
	s_and_saveexec_b32 s24, s1
	s_cbranch_execz .LBB315_180
; %bb.177:
	v_lshl_add_u32 v13, v0, 2, 0xc0
	v_dual_mov_b32 v3, 0 :: v_dual_mov_b32 v14, v0
	s_mov_b32 s25, 0
.LBB315_178:                            ; =>This Inner Loop Header: Depth=1
	ds_load_b32 v15, v13
	v_add_nc_u32_e32 v14, 0x80, v14
	s_delay_alu instid0(VALU_DEP_1) | instskip(SKIP_3) | instid1(VALU_DEP_1)
	v_cmp_le_i32_e64 s3, s11, v14
	s_or_b32 s25, s3, s25
	s_wait_dscnt 0x0
	v_sub_f32_e32 v15, v15, v11
	v_mul_f32_e32 v15, 0x3fb8aa3b, v15
	s_delay_alu instid0(VALU_DEP_1)
	v_exp_f32_e32 v15, v15
	ds_store_b32 v13, v15
	v_nop
	v_add_f32_e32 v3, v3, v15
	v_add_nc_u32_e32 v13, 0x200, v13
	s_and_not1_b32 exec_lo, exec_lo, s25
	s_cbranch_execnz .LBB315_178
; %bb.179:
	s_or_b32 exec_lo, exec_lo, s25
.LBB315_180:
	s_delay_alu instid0(SALU_CYCLE_1)
	s_or_b32 exec_lo, exec_lo, s24
	ds_bpermute_b32 v2, v2, v3
	s_wait_dscnt 0x0
	v_add_f32_e32 v2, v3, v2
	ds_bpermute_b32 v3, v4, v2
	s_wait_dscnt 0x0
	v_add_f32_e32 v2, v2, v3
	;; [unrolled: 3-line block ×5, first 2 shown]
	s_and_saveexec_b32 s3, vcc_lo
; %bb.181:
	ds_store_b32 v5, v2 offset:176
; %bb.182:
	s_or_b32 exec_lo, exec_lo, s3
	s_wait_dscnt 0x0
	s_barrier_signal -1
	s_barrier_wait -1
	s_and_saveexec_b32 s3, s0
; %bb.183:
	ds_load_b32 v2, v6 offset:176
; %bb.184:
	s_or_b32 exec_lo, exec_lo, s3
	s_wait_dscnt 0x0
	ds_bpermute_b32 v3, v8, v2
	s_wait_dscnt 0x0
	v_dual_lshlrev_b32 v4, 2, v10 :: v_dual_add_f32 v2, v2, v3
	ds_bpermute_b32 v3, v9, v2
	s_wait_dscnt 0x0
	v_add_f32_e32 v2, v2, v3
	v_and_b32_e32 v3, 0xffffff80, v4
	ds_bpermute_b32 v2, v3, v2
	s_and_saveexec_b32 s0, s1
	s_cbranch_execz .LBB315_197
; %bb.185:
	s_wait_dscnt 0x0
	v_add_f32_e32 v2, 0x358637bd, v2
	s_mov_b32 s3, -1
	s_mov_b32 s1, exec_lo
	s_delay_alu instid0(VALU_DEP_1) | instskip(NEXT) | instid1(VALU_DEP_1)
	v_div_scale_f32 v3, null, v2, v2, 1.0
	v_rcp_f32_e32 v5, v3
	v_nop
	s_delay_alu instid0(TRANS32_DEP_1) | instskip(NEXT) | instid1(VALU_DEP_1)
	v_fma_f32 v4, -v3, v5, 1.0
	v_fmac_f32_e32 v5, v4, v5
	v_div_scale_f32 v6, vcc_lo, 1.0, v2, 1.0
	s_delay_alu instid0(VALU_DEP_1) | instskip(NEXT) | instid1(VALU_DEP_1)
	v_mul_f32_e32 v7, v6, v5
	v_fma_f32 v4, -v3, v7, v6
	s_delay_alu instid0(VALU_DEP_1) | instskip(SKIP_1) | instid1(VALU_DEP_2)
	v_fmac_f32_e32 v7, v4, v5
	v_xad_u32 v4, v0, -1, s11
	v_fma_f32 v3, -v3, v7, v6
	s_delay_alu instid0(VALU_DEP_1) | instskip(NEXT) | instid1(VALU_DEP_1)
	v_div_fmas_f32 v3, v3, v5, v7
	v_div_fixup_f32 v2, v3, v2, 1.0
	v_mov_b32_e32 v3, v0
	v_cmpx_lt_u32_e32 0x7f, v4
	s_cbranch_execz .LBB315_194
; %bb.186:
	s_delay_alu instid0(VALU_DEP_3) | instskip(NEXT) | instid1(VALU_DEP_1)
	v_dual_mov_b32 v3, v2 :: v_dual_lshrrev_b32 v4, 7, v4
	v_dual_mov_b32 v8, 0 :: v_dual_add_nc_u32 v5, -1, v4
	s_delay_alu instid0(VALU_DEP_1) | instskip(SKIP_1) | instid1(VALU_DEP_2)
	v_lshrrev_b32_e32 v6, 1, v5
	v_cmp_lt_u32_e32 vcc_lo, 13, v5
	v_add_nc_u32_e32 v5, 1, v6
	s_and_saveexec_b32 s3, vcc_lo
	s_cbranch_execz .LBB315_190
; %bb.187:
	s_delay_alu instid0(VALU_DEP_1)
	v_dual_mov_b32 v7, v29 :: v_dual_bitop2_b32 v6, -8, v5 bitop3:0x40
	s_mov_b32 s24, 0
	s_mov_b32 s25, 0
.LBB315_188:                            ; =>This Inner Loop Header: Depth=1
	ds_load_2addr_stride64_b32 v[8:9], v7 offset1:2
	ds_load_2addr_stride64_b32 v[10:11], v7 offset0:4 offset1:6
	ds_load_2addr_stride64_b32 v[14:15], v7 offset0:8 offset1:10
	;; [unrolled: 1-line block ×7, first 2 shown]
	s_add_co_i32 s25, s25, 16
	v_add_nc_u32_e32 v6, -8, v6
	s_wait_dscnt 0x7
	v_pk_mul_f32 v[8:9], v[2:3], v[8:9]
	s_wait_dscnt 0x6
	v_pk_mul_f32 v[10:11], v[2:3], v[10:11]
	;; [unrolled: 2-line block ×8, first 2 shown]
	ds_store_2addr_stride64_b32 v7, v8, v9 offset1:2
	ds_store_2addr_stride64_b32 v7, v10, v11 offset0:4 offset1:6
	ds_store_2addr_stride64_b32 v7, v14, v15 offset0:8 offset1:10
	;; [unrolled: 1-line block ×7, first 2 shown]
	v_mov_b32_e32 v8, s25
	v_cmp_eq_u32_e32 vcc_lo, 0, v6
	v_add_nc_u32_e32 v7, 0x2000, v7
	s_or_b32 s24, vcc_lo, s24
	s_delay_alu instid0(SALU_CYCLE_1)
	s_and_not1_b32 exec_lo, exec_lo, s24
	s_cbranch_execnz .LBB315_188
; %bb.189:
	s_or_b32 exec_lo, exec_lo, s24
.LBB315_190:
	s_delay_alu instid0(SALU_CYCLE_1) | instskip(NEXT) | instid1(VALU_DEP_1)
	s_or_b32 exec_lo, exec_lo, s3
	v_and_b32_e32 v5, 7, v5
	s_mov_b32 s24, 0
	s_mov_b32 s3, exec_lo
	s_delay_alu instid0(VALU_DEP_1)
	v_cmpx_ne_u32_e32 0, v5
	s_cbranch_execz .LBB315_193
; %bb.191:
	v_lshlrev_b32_e32 v6, 9, v8
	v_lshlrev_b32_e32 v7, 2, v0
	s_delay_alu instid0(VALU_DEP_1)
	v_add3_u32 v6, v6, v7, 0xc0
.LBB315_192:                            ; =>This Inner Loop Header: Depth=1
	ds_load_2addr_stride64_b32 v[8:9], v6 offset1:2
	v_add_nc_u32_e32 v5, -1, v5
	s_delay_alu instid0(VALU_DEP_1)
	v_cmp_eq_u32_e32 vcc_lo, 0, v5
	s_or_b32 s24, vcc_lo, s24
	s_wait_dscnt 0x0
	v_pk_mul_f32 v[8:9], v[2:3], v[8:9]
	ds_store_2addr_stride64_b32 v6, v8, v9 offset1:2
	v_add_nc_u32_e32 v6, 0x400, v6
	s_and_not1_b32 exec_lo, exec_lo, s24
	s_cbranch_execnz .LBB315_192
.LBB315_193:
	s_or_b32 exec_lo, exec_lo, s3
	v_add_nc_u32_e32 v3, 1, v4
	s_delay_alu instid0(VALU_DEP_1) | instskip(NEXT) | instid1(VALU_DEP_1)
	v_and_b32_e32 v4, 0x3fffffe, v3
	v_cmp_ne_u32_e32 vcc_lo, v3, v4
	v_lshl_add_u32 v3, v4, 7, v0
	s_or_not1_b32 s3, vcc_lo, exec_lo
.LBB315_194:
	s_or_b32 exec_lo, exec_lo, s1
	s_delay_alu instid0(SALU_CYCLE_1)
	s_and_b32 exec_lo, exec_lo, s3
	s_cbranch_execz .LBB315_197
; %bb.195:
	v_lshl_add_u32 v4, v3, 2, 0xc0
	s_mov_b32 s1, 0
.LBB315_196:                            ; =>This Inner Loop Header: Depth=1
	ds_load_b32 v5, v4
	v_add_nc_u32_e32 v3, 0x80, v3
	s_delay_alu instid0(VALU_DEP_1)
	v_cmp_le_i32_e32 vcc_lo, s11, v3
	s_or_b32 s1, vcc_lo, s1
	s_wait_dscnt 0x0
	v_mul_f32_e32 v5, v2, v5
	ds_store_b32 v4, v5
	v_add_nc_u32_e32 v4, 0x200, v4
	s_and_not1_b32 exec_lo, exec_lo, s1
	s_cbranch_execnz .LBB315_196
.LBB315_197:
	s_or_b32 exec_lo, exec_lo, s0
	v_mov_b64_e32 v[10:11], 0
	v_dual_mov_b32 v30, 0 :: v_dual_bitop2_b32 v31, 64, v28 bitop3:0x54
	s_wait_dscnt 0x0
	s_barrier_signal -1
	s_barrier_wait -1
	s_and_saveexec_b32 s24, s2
	s_cbranch_execz .LBB315_389
; %bb.198:
	s_load_b32 s25, s[6:7], 0x0
	v_dual_mov_b32 v13, 0 :: v_dual_lshlrev_b32 v14, 3, v28
	v_and_b32_e32 v12, 0x7c, v12
	s_lshl_b64 s[0:1], s[14:15], 2
	s_delay_alu instid0(VALU_DEP_2)
	v_dual_mov_b32 v15, v13 :: v_dual_lshlrev_b32 v16, 3, v31
	s_add_nc_u64 s[0:1], s[16:17], s[0:1]
	v_dual_mov_b32 v17, v13 :: v_dual_mov_b32 v30, 0
	v_add_nc_u64_e32 v[18:19], s[0:1], v[12:13]
	v_lshl_or_b32 v32, v1, 3, 7
	v_lshl_add_u32 v33, v1, 5, 0xc0
	v_dual_mov_b32 v11, 0 :: v_dual_mov_b32 v10, 0
	v_mov_b32_e32 v34, v1
	s_ashr_i32 s11, s10, 31
	s_mov_b64 s[2:3], 0xffffffffffffff
	s_wait_kmcnt 0x0
	s_add_nc_u64 s[6:7], s[18:19], s[10:11]
	s_add_co_i32 s11, s13, -1
	s_mov_b32 s10, 0
	v_cmp_gt_u32_e32 vcc_lo, 0x50, v31
	s_branch .LBB315_201
.LBB315_199:                            ;   in Loop: Header=BB315_201 Depth=1
	s_or_b32 exec_lo, exec_lo, s1
	v_perm_b32 v9, v20, v9, 0x5040100
	v_perm_b32 v12, v12, v21, 0x5040100
	;; [unrolled: 1-line block ×4, first 2 shown]
	s_delay_alu instid0(VALU_DEP_4) | instskip(NEXT) | instid1(VALU_DEP_4)
	v_pk_mul_bf16 v3, v46, v9
	v_pk_mul_bf16 v9, v8, v12
	s_delay_alu instid0(VALU_DEP_4) | instskip(NEXT) | instid1(VALU_DEP_4)
	v_pk_mul_bf16 v2, v7, v2
	v_pk_mul_bf16 v4, v6, v4
	s_delay_alu instid0(VALU_DEP_3) | instskip(SKIP_4) | instid1(VALU_DEP_1)
	v_dual_lshlrev_b32 v5, 16, v3 :: v_dual_lshlrev_b32 v12, 16, v9
	v_and_b32_e32 v3, 0xffff0000, v3
	v_and_b32_e32 v9, 0xffff0000, v9
	v_lshlrev_b32_e32 v20, 16, v2
	v_and_b32_e32 v2, 0xffff0000, v2
	v_dual_add_f32 v3, v3, v5 :: v_dual_add_f32 v2, v2, v20
	s_delay_alu instid0(VALU_DEP_4) | instskip(SKIP_2) | instid1(VALU_DEP_3)
	v_add_f32_e32 v5, v9, v12
	v_lshlrev_b32_e32 v9, 16, v4
	v_and_b32_e32 v4, 0xffff0000, v4
	v_add_f32_e32 v3, v5, v3
	s_delay_alu instid0(VALU_DEP_1) | instskip(NEXT) | instid1(VALU_DEP_1)
	v_dual_add_f32 v2, v2, v3 :: v_dual_add_f32 v3, v4, v9
	v_add_f32_e32 v2, v3, v2
	s_delay_alu instid0(VALU_DEP_1)
	v_add_f32_e32 v30, v30, v2
.LBB315_200:                            ;   in Loop: Header=BB315_201 Depth=1
	s_or_b32 exec_lo, exec_lo, s14
	v_perm_b32 v2, v44, v45, 0x5040100
	v_perm_b32 v3, v42, v43, 0x5040100
	;; [unrolled: 1-line block ×5, first 2 shown]
	v_pk_mul_bf16 v2, v46, v2
	v_pk_mul_bf16 v3, v8, v3
	;; [unrolled: 1-line block ×5, first 2 shown]
	s_delay_alu instid0(VALU_DEP_4) | instskip(SKIP_4) | instid1(VALU_DEP_4)
	v_dual_lshlrev_b32 v12, 16, v2 :: v_dual_lshlrev_b32 v20, 16, v3
	v_and_b32_e32 v2, 0xffff0000, v2
	v_and_b32_e32 v3, 0xffff0000, v3
	v_perm_b32 v5, v25, v24, 0x5040100
	v_add_nc_u64_e32 v[18:19], 16, v[18:19]
	v_dual_add_f32 v2, v12, v2 :: v_dual_add_nc_u32 v33, 0x80, v33
	s_delay_alu instid0(VALU_DEP_4) | instskip(SKIP_3) | instid1(VALU_DEP_4)
	v_dual_add_f32 v3, v20, v3 :: v_dual_lshlrev_b32 v12, 16, v4
	v_lshlrev_b32_e32 v20, 16, v9
	v_and_b32_e32 v4, 0xffff0000, v4
	v_and_b32_e32 v9, 0xffff0000, v9
	v_dual_add_f32 v2, v3, v2 :: v_dual_lshlrev_b32 v21, 16, v8
	v_perm_b32 v3, v35, v36, 0x5040100
	v_and_b32_e32 v8, 0xffff0000, v8
	v_pk_mul_bf16 v5, v6, v5
	v_dual_add_f32 v9, v20, v9 :: v_dual_add_nc_u32 v32, 32, v32
	s_delay_alu instid0(VALU_DEP_4) | instskip(SKIP_2) | instid1(VALU_DEP_3)
	v_pk_mul_bf16 v3, v7, v3
	v_perm_b32 v7, v27, v26, 0x5040100
	v_add_f32_e32 v4, v12, v4
	v_dual_add_f32 v8, v21, v8 :: v_dual_lshlrev_b32 v12, 16, v3
	v_and_b32_e32 v3, 0xffff0000, v3
	s_delay_alu instid0(VALU_DEP_4) | instskip(SKIP_3) | instid1(VALU_DEP_4)
	v_pk_mul_bf16 v6, v6, v7
	v_lshlrev_b32_e32 v7, 16, v5
	v_and_b32_e32 v5, 0xffff0000, v5
	v_add_f32_e32 v8, v8, v9
	v_dual_add_f32 v3, v12, v3 :: v_dual_lshlrev_b32 v9, 16, v6
	v_and_b32_e32 v6, 0xffff0000, v6
	s_delay_alu instid0(VALU_DEP_4) | instskip(NEXT) | instid1(VALU_DEP_2)
	v_dual_add_f32 v2, v4, v2 :: v_dual_add_f32 v4, v7, v5
	v_dual_add_f32 v3, v3, v8 :: v_dual_add_f32 v5, v9, v6
	s_delay_alu instid0(VALU_DEP_1) | instskip(SKIP_1) | instid1(VALU_DEP_2)
	v_dual_add_f32 v2, v4, v2 :: v_dual_add_f32 v3, v5, v3
	v_add_nc_u32_e32 v34, 4, v34
	v_dual_add_f32 v11, v11, v2 :: v_dual_add_f32 v10, v10, v3
	s_delay_alu instid0(VALU_DEP_2) | instskip(SKIP_1) | instid1(SALU_CYCLE_1)
	v_cmp_le_i32_e64 s0, s13, v34
	s_or_b32 s10, s0, s10
	s_and_not1_b32 exec_lo, exec_lo, s10
	s_cbranch_execz .LBB315_388
.LBB315_201:                            ; =>This Inner Loop Header: Depth=1
	global_load_b32 v2, v[18:19], off
	v_mov_b32_e32 v40, 0
	s_mov_b32 s1, exec_lo
	s_wait_loadcnt 0x0
	v_mad_nc_i64_i32 v[20:21], v2, s9, s[6:7]
	s_delay_alu instid0(VALU_DEP_1)
	v_add_nc_u64_e32 v[22:23], v[20:21], v[14:15]
	global_load_b64 v[24:25], v[22:23], off
	ds_load_2addr_b64 v[6:9], v33 offset1:1
	ds_load_2addr_b64 v[2:5], v33 offset0:2 offset1:3
	s_wait_loadcnt 0x0
	v_and_b32_e32 v12, 0xff, v24
	s_delay_alu instid0(VALU_DEP_1)
	v_cmpx_ne_u16_e32 0, v12
	s_cbranch_execz .LBB315_207
; %bb.202:                              ;   in Loop: Header=BB315_201 Depth=1
	v_bfrev_b32_e32 v40, 1
	s_mov_b32 s14, exec_lo
	v_cmpx_ne_u16_e32 0x80, v12
	s_cbranch_execz .LBB315_206
; %bb.203:                              ;   in Loop: Header=BB315_201 Depth=1
	v_and_b32_e32 v12, 0x7f, v24
	v_mov_b32_e32 v40, 0x7f800001
	s_mov_b32 s15, exec_lo
	s_delay_alu instid0(VALU_DEP_2)
	v_cmpx_ne_u32_e32 0x7f, v12
	s_cbranch_execz .LBB315_205
; %bb.204:                              ;   in Loop: Header=BB315_201 Depth=1
	v_and_b32_e32 v26, 7, v24
	v_cmp_gt_u32_e64 s0, 8, v12
	s_delay_alu instid0(VALU_DEP_2) | instskip(NEXT) | instid1(VALU_DEP_1)
	v_clz_i32_u32_e32 v26, v26
	v_min_u32_e32 v26, 32, v26
	v_lshrrev_b32_e32 v27, 3, v12
	s_delay_alu instid0(VALU_DEP_2) | instskip(SKIP_1) | instid1(VALU_DEP_1)
	v_subrev_nc_u32_e32 v35, 28, v26
	v_sub_nc_u32_e32 v26, 29, v26
	v_dual_cndmask_b32 v12, v27, v26, s0 :: v_dual_cndmask_b32 v26, 0, v35, s0
	s_delay_alu instid0(VALU_DEP_1) | instskip(NEXT) | instid1(VALU_DEP_2)
	v_lshl_add_u32 v12, v12, 23, 0x3c000000
	v_lshlrev_b64_e32 v[26:27], v26, v[24:25]
	v_lshlrev_b32_e32 v27, 24, v24
	s_delay_alu instid0(VALU_DEP_1) | instskip(NEXT) | instid1(VALU_DEP_3)
	v_and_b32_e32 v27, 0x80000000, v27
	v_lshlrev_b32_e32 v26, 20, v26
	s_delay_alu instid0(VALU_DEP_1) | instskip(NEXT) | instid1(VALU_DEP_1)
	v_and_b32_e32 v26, 0x700000, v26
	v_or3_b32 v40, v26, v27, v12
.LBB315_205:                            ;   in Loop: Header=BB315_201 Depth=1
	s_or_b32 exec_lo, exec_lo, s15
.LBB315_206:                            ;   in Loop: Header=BB315_201 Depth=1
	s_delay_alu instid0(SALU_CYCLE_1)
	s_or_b32 exec_lo, exec_lo, s14
.LBB315_207:                            ;   in Loop: Header=BB315_201 Depth=1
	s_delay_alu instid0(SALU_CYCLE_1) | instskip(SKIP_3) | instid1(VALU_DEP_2)
	s_or_b32 exec_lo, exec_lo, s1
	v_lshrrev_b16 v12, 8, v24
	v_dual_mov_b32 v38, 0 :: v_dual_mov_b32 v39, 0
	s_mov_b32 s1, exec_lo
	v_cmpx_ne_u16_e32 0, v12
	s_cbranch_execz .LBB315_215
; %bb.208:                              ;   in Loop: Header=BB315_201 Depth=1
	v_bfrev_b32_e32 v39, 1
	s_mov_b32 s14, exec_lo
	v_cmpx_ne_u16_e32 0x80, v12
	s_cbranch_execz .LBB315_214
; %bb.209:                              ;   in Loop: Header=BB315_201 Depth=1
	v_and_b32_e32 v12, 0xffff, v12
	v_mov_b32_e32 v39, 0x7f800001
	s_mov_b32 s15, exec_lo
	s_delay_alu instid0(VALU_DEP_2) | instskip(NEXT) | instid1(VALU_DEP_1)
	v_and_b32_e32 v27, 0x7f, v12
	v_cmpx_ne_u32_e32 0x7f, v27
	s_cbranch_execz .LBB315_213
; %bb.210:                              ;   in Loop: Header=BB315_201 Depth=1
	v_dual_lshrrev_b32 v26, 3, v27 :: v_dual_bitop2_b32 v12, 7, v12 bitop3:0x40
	s_mov_b32 s16, exec_lo
	v_cmpx_gt_u32_e32 8, v27
; %bb.211:                              ;   in Loop: Header=BB315_201 Depth=1
	s_delay_alu instid0(VALU_DEP_2) | instskip(NEXT) | instid1(VALU_DEP_1)
	v_clz_i32_u32_e32 v26, v12
	v_min_u32_e32 v26, 32, v26
	s_delay_alu instid0(VALU_DEP_1) | instskip(NEXT) | instid1(VALU_DEP_1)
	v_subrev_nc_u32_e32 v27, 28, v26
	v_lshlrev_b64_e32 v[36:37], v27, v[12:13]
	s_delay_alu instid0(VALU_DEP_1)
	v_dual_sub_nc_u32 v26, 29, v26 :: v_dual_bitop2_b32 v12, 7, v36 bitop3:0x40
; %bb.212:                              ;   in Loop: Header=BB315_201 Depth=1
	s_or_b32 exec_lo, exec_lo, s16
	v_lshlrev_b32_e32 v27, 16, v24
	s_delay_alu instid0(VALU_DEP_2) | instskip(NEXT) | instid1(VALU_DEP_3)
	v_lshlrev_b32_e32 v12, 20, v12
	v_lshl_add_u32 v26, v26, 23, 0x3c000000
	s_delay_alu instid0(VALU_DEP_3) | instskip(NEXT) | instid1(VALU_DEP_1)
	v_and_b32_e32 v27, 0x80000000, v27
	v_or3_b32 v39, v12, v27, v26
.LBB315_213:                            ;   in Loop: Header=BB315_201 Depth=1
	s_or_b32 exec_lo, exec_lo, s15
.LBB315_214:                            ;   in Loop: Header=BB315_201 Depth=1
	s_delay_alu instid0(SALU_CYCLE_1)
	s_or_b32 exec_lo, exec_lo, s14
.LBB315_215:                            ;   in Loop: Header=BB315_201 Depth=1
	s_delay_alu instid0(SALU_CYCLE_1) | instskip(SKIP_2) | instid1(VALU_DEP_1)
	s_or_b32 exec_lo, exec_lo, s1
	v_lshrrev_b32_e32 v26, 16, v24
	s_mov_b32 s1, exec_lo
	v_and_b32_e32 v12, 0xff, v26
	s_delay_alu instid0(VALU_DEP_1)
	v_cmpx_ne_u16_e32 0, v12
	s_cbranch_execz .LBB315_223
; %bb.216:                              ;   in Loop: Header=BB315_201 Depth=1
	v_bfrev_b32_e32 v38, 1
	s_mov_b32 s14, exec_lo
	v_cmpx_ne_u16_e32 0x80, v12
	s_cbranch_execz .LBB315_222
; %bb.217:                              ;   in Loop: Header=BB315_201 Depth=1
	v_bfe_u32 v35, v24, 16, 7
	v_mov_b32_e32 v38, 0x7f800001
	s_mov_b32 s15, exec_lo
	s_delay_alu instid0(VALU_DEP_2)
	v_cmpx_ne_u32_e32 0x7f, v35
	s_cbranch_execz .LBB315_221
; %bb.218:                              ;   in Loop: Header=BB315_201 Depth=1
	v_dual_lshrrev_b32 v27, 3, v35 :: v_dual_bitop2_b32 v12, 7, v26 bitop3:0x40
	s_mov_b32 s16, exec_lo
	v_cmpx_gt_u32_e32 8, v35
; %bb.219:                              ;   in Loop: Header=BB315_201 Depth=1
	s_delay_alu instid0(VALU_DEP_2) | instskip(NEXT) | instid1(VALU_DEP_1)
	v_clz_i32_u32_e32 v27, v12
	v_min_u32_e32 v27, 32, v27
	s_delay_alu instid0(VALU_DEP_1) | instskip(NEXT) | instid1(VALU_DEP_1)
	v_subrev_nc_u32_e32 v35, 28, v27
	v_lshlrev_b64_e32 v[36:37], v35, v[12:13]
	s_delay_alu instid0(VALU_DEP_1)
	v_dual_sub_nc_u32 v27, 29, v27 :: v_dual_bitop2_b32 v12, 7, v36 bitop3:0x40
; %bb.220:                              ;   in Loop: Header=BB315_201 Depth=1
	s_or_b32 exec_lo, exec_lo, s16
	s_delay_alu instid0(VALU_DEP_1) | instskip(NEXT) | instid1(VALU_DEP_2)
	v_dual_lshlrev_b32 v26, 24, v26 :: v_dual_lshlrev_b32 v12, 20, v12
	v_lshl_add_u32 v27, v27, 23, 0x3c000000
	s_delay_alu instid0(VALU_DEP_2) | instskip(NEXT) | instid1(VALU_DEP_1)
	v_and_b32_e32 v26, 0x80000000, v26
	v_or3_b32 v38, v12, v26, v27
.LBB315_221:                            ;   in Loop: Header=BB315_201 Depth=1
	s_or_b32 exec_lo, exec_lo, s15
.LBB315_222:                            ;   in Loop: Header=BB315_201 Depth=1
	s_delay_alu instid0(SALU_CYCLE_1)
	s_or_b32 exec_lo, exec_lo, s14
.LBB315_223:                            ;   in Loop: Header=BB315_201 Depth=1
	s_delay_alu instid0(SALU_CYCLE_1)
	s_or_b32 exec_lo, exec_lo, s1
	v_dual_mov_b32 v36, 0 :: v_dual_mov_b32 v37, 0
	s_mov_b32 s1, exec_lo
	v_cmpx_lt_u32_e32 0xffffff, v24
	s_cbranch_execz .LBB315_231
; %bb.224:                              ;   in Loop: Header=BB315_201 Depth=1
	v_lshrrev_b32_e32 v26, 24, v24
	v_bfrev_b32_e32 v37, 1
	s_mov_b32 s14, exec_lo
	s_delay_alu instid0(VALU_DEP_2)
	v_cmpx_ne_u32_e32 0x80, v26
	s_cbranch_execz .LBB315_230
; %bb.225:                              ;   in Loop: Header=BB315_201 Depth=1
	v_bfe_u32 v35, v24, 24, 7
	v_mov_b32_e32 v37, 0x7f800001
	s_mov_b32 s15, exec_lo
	s_delay_alu instid0(VALU_DEP_2)
	v_cmpx_ne_u32_e32 0x7f, v35
	s_cbranch_execz .LBB315_229
; %bb.226:                              ;   in Loop: Header=BB315_201 Depth=1
	v_dual_lshrrev_b32 v27, 3, v35 :: v_dual_bitop2_b32 v12, 7, v26 bitop3:0x40
	s_mov_b32 s16, exec_lo
	v_cmpx_gt_u32_e32 8, v35
; %bb.227:                              ;   in Loop: Header=BB315_201 Depth=1
	s_delay_alu instid0(VALU_DEP_2) | instskip(NEXT) | instid1(VALU_DEP_1)
	v_clz_i32_u32_e32 v27, v12
	v_min_u32_e32 v27, 32, v27
	s_delay_alu instid0(VALU_DEP_1) | instskip(NEXT) | instid1(VALU_DEP_1)
	v_subrev_nc_u32_e32 v35, 28, v27
	v_lshlrev_b64_e32 v[42:43], v35, v[12:13]
	s_delay_alu instid0(VALU_DEP_1)
	v_dual_sub_nc_u32 v27, 29, v27 :: v_dual_bitop2_b32 v12, 7, v42 bitop3:0x40
; %bb.228:                              ;   in Loop: Header=BB315_201 Depth=1
	s_or_b32 exec_lo, exec_lo, s16
	s_delay_alu instid0(VALU_DEP_1) | instskip(NEXT) | instid1(VALU_DEP_2)
	v_dual_lshlrev_b32 v26, 24, v26 :: v_dual_lshlrev_b32 v12, 20, v12
	v_lshl_add_u32 v27, v27, 23, 0x3c000000
	s_delay_alu instid0(VALU_DEP_2) | instskip(NEXT) | instid1(VALU_DEP_1)
	v_and_b32_e32 v26, 0x80000000, v26
	v_or3_b32 v37, v12, v26, v27
.LBB315_229:                            ;   in Loop: Header=BB315_201 Depth=1
	s_or_b32 exec_lo, exec_lo, s15
.LBB315_230:                            ;   in Loop: Header=BB315_201 Depth=1
	s_delay_alu instid0(SALU_CYCLE_1)
	s_or_b32 exec_lo, exec_lo, s14
.LBB315_231:                            ;   in Loop: Header=BB315_201 Depth=1
	s_delay_alu instid0(SALU_CYCLE_1) | instskip(SKIP_3) | instid1(VALU_DEP_2)
	s_or_b32 exec_lo, exec_lo, s1
	v_and_b32_e32 v26, 0xff, v25
	v_mov_b32_e32 v12, v25
	s_mov_b32 s1, exec_lo
	v_cmpx_ne_u16_e32 0, v26
	s_cbranch_execz .LBB315_237
; %bb.232:                              ;   in Loop: Header=BB315_201 Depth=1
	v_bfrev_b32_e32 v36, 1
	s_mov_b32 s14, exec_lo
	v_cmpx_ne_u16_e32 0x80, v26
	s_cbranch_execz .LBB315_236
; %bb.233:                              ;   in Loop: Header=BB315_201 Depth=1
	v_and_b32_e32 v26, 0x7f, v25
	v_mov_b32_e32 v36, 0x7f800001
	s_mov_b32 s15, exec_lo
	s_delay_alu instid0(VALU_DEP_2)
	v_cmpx_ne_u32_e32 0x7f, v26
	s_cbranch_execz .LBB315_235
; %bb.234:                              ;   in Loop: Header=BB315_201 Depth=1
	v_dual_lshrrev_b32 v35, 3, v26 :: v_dual_bitop2_b32 v27, 7, v25 bitop3:0x40
	v_cmp_gt_u32_e64 s0, 8, v26
	s_delay_alu instid0(VALU_DEP_2) | instskip(NEXT) | instid1(VALU_DEP_1)
	v_clz_i32_u32_e32 v27, v27
	v_min_u32_e32 v27, 32, v27
	s_delay_alu instid0(VALU_DEP_1) | instskip(NEXT) | instid1(VALU_DEP_1)
	v_subrev_nc_u32_e32 v36, 28, v27
	v_dual_sub_nc_u32 v27, 29, v27 :: v_dual_cndmask_b32 v26, 0, v36, s0
	s_delay_alu instid0(VALU_DEP_1) | instskip(NEXT) | instid1(VALU_DEP_2)
	v_cndmask_b32_e64 v35, v35, v27, s0
	v_lshlrev_b64_e32 v[26:27], v26, v[12:13]
	v_lshlrev_b32_e32 v27, 24, v12
	s_delay_alu instid0(VALU_DEP_3) | instskip(NEXT) | instid1(VALU_DEP_2)
	v_lshl_add_u32 v35, v35, 23, 0x3c000000
	v_and_b32_e32 v27, 0x80000000, v27
	s_delay_alu instid0(VALU_DEP_4) | instskip(NEXT) | instid1(VALU_DEP_1)
	v_lshlrev_b32_e32 v26, 20, v26
	v_and_b32_e32 v26, 0x700000, v26
	s_delay_alu instid0(VALU_DEP_1)
	v_or3_b32 v36, v26, v27, v35
.LBB315_235:                            ;   in Loop: Header=BB315_201 Depth=1
	s_or_b32 exec_lo, exec_lo, s15
.LBB315_236:                            ;   in Loop: Header=BB315_201 Depth=1
	s_delay_alu instid0(SALU_CYCLE_1)
	s_or_b32 exec_lo, exec_lo, s14
.LBB315_237:                            ;   in Loop: Header=BB315_201 Depth=1
	s_delay_alu instid0(SALU_CYCLE_1) | instskip(SKIP_3) | instid1(VALU_DEP_2)
	s_or_b32 exec_lo, exec_lo, s1
	v_lshrrev_b16 v27, 8, v12
	v_dual_mov_b32 v42, 0 :: v_dual_mov_b32 v26, 0
	s_mov_b32 s1, exec_lo
	v_cmpx_ne_u16_e32 0, v27
	s_cbranch_execz .LBB315_245
; %bb.238:                              ;   in Loop: Header=BB315_201 Depth=1
	v_bfrev_b32_e32 v26, 1
	s_mov_b32 s14, exec_lo
	v_cmpx_ne_u16_e32 0x80, v27
	s_cbranch_execz .LBB315_244
; %bb.239:                              ;   in Loop: Header=BB315_201 Depth=1
	v_and_b32_e32 v27, 0xffff, v27
	v_mov_b32_e32 v26, 0x7f800001
	s_mov_b32 s15, exec_lo
	s_delay_alu instid0(VALU_DEP_2) | instskip(NEXT) | instid1(VALU_DEP_1)
	v_and_b32_e32 v41, 0x7f, v27
	v_cmpx_ne_u32_e32 0x7f, v41
	s_cbranch_execz .LBB315_243
; %bb.240:                              ;   in Loop: Header=BB315_201 Depth=1
	v_dual_mov_b32 v27, v13 :: v_dual_bitop2_b32 v26, 7, v27 bitop3:0x40
	v_lshrrev_b32_e32 v35, 3, v41
	s_mov_b32 s16, exec_lo
	v_cmpx_gt_u32_e32 8, v41
; %bb.241:                              ;   in Loop: Header=BB315_201 Depth=1
	s_delay_alu instid0(VALU_DEP_3) | instskip(NEXT) | instid1(VALU_DEP_1)
	v_clz_i32_u32_e32 v35, v26
	v_min_u32_e32 v35, 32, v35
	s_delay_alu instid0(VALU_DEP_1) | instskip(NEXT) | instid1(VALU_DEP_1)
	v_subrev_nc_u32_e32 v41, 28, v35
	v_lshlrev_b64_e32 v[26:27], v41, v[26:27]
	s_delay_alu instid0(VALU_DEP_1)
	v_dual_sub_nc_u32 v35, 29, v35 :: v_dual_bitop2_b32 v26, 7, v26 bitop3:0x40
; %bb.242:                              ;   in Loop: Header=BB315_201 Depth=1
	s_or_b32 exec_lo, exec_lo, s16
	s_delay_alu instid0(VALU_DEP_1) | instskip(NEXT) | instid1(VALU_DEP_2)
	v_dual_lshlrev_b32 v12, 16, v12 :: v_dual_lshlrev_b32 v26, 20, v26
	v_lshl_add_u32 v27, v35, 23, 0x3c000000
	s_delay_alu instid0(VALU_DEP_2) | instskip(NEXT) | instid1(VALU_DEP_1)
	v_and_b32_e32 v12, 0x80000000, v12
	v_or3_b32 v26, v26, v12, v27
.LBB315_243:                            ;   in Loop: Header=BB315_201 Depth=1
	s_or_b32 exec_lo, exec_lo, s15
.LBB315_244:                            ;   in Loop: Header=BB315_201 Depth=1
	s_delay_alu instid0(SALU_CYCLE_1)
	s_or_b32 exec_lo, exec_lo, s14
.LBB315_245:                            ;   in Loop: Header=BB315_201 Depth=1
	s_delay_alu instid0(SALU_CYCLE_1) | instskip(SKIP_2) | instid1(VALU_DEP_1)
	s_or_b32 exec_lo, exec_lo, s1
	v_lshrrev_b32_e32 v27, 16, v25
	s_mov_b32 s1, exec_lo
	v_and_b32_e32 v12, 0xff, v27
	s_delay_alu instid0(VALU_DEP_1)
	v_cmpx_ne_u16_e32 0, v12
	s_cbranch_execz .LBB315_253
; %bb.246:                              ;   in Loop: Header=BB315_201 Depth=1
	v_bfrev_b32_e32 v42, 1
	s_mov_b32 s14, exec_lo
	v_cmpx_ne_u16_e32 0x80, v12
	s_cbranch_execz .LBB315_252
; %bb.247:                              ;   in Loop: Header=BB315_201 Depth=1
	v_bfe_u32 v41, v25, 16, 7
	v_mov_b32_e32 v42, 0x7f800001
	s_mov_b32 s15, exec_lo
	s_delay_alu instid0(VALU_DEP_2)
	v_cmpx_ne_u32_e32 0x7f, v41
	s_cbranch_execz .LBB315_251
; %bb.248:                              ;   in Loop: Header=BB315_201 Depth=1
	v_dual_lshrrev_b32 v35, 3, v41 :: v_dual_bitop2_b32 v12, 7, v27 bitop3:0x40
	s_mov_b32 s16, exec_lo
	v_cmpx_gt_u32_e32 8, v41
; %bb.249:                              ;   in Loop: Header=BB315_201 Depth=1
	s_delay_alu instid0(VALU_DEP_2) | instskip(NEXT) | instid1(VALU_DEP_1)
	v_clz_i32_u32_e32 v35, v12
	v_min_u32_e32 v35, 32, v35
	s_delay_alu instid0(VALU_DEP_1) | instskip(NEXT) | instid1(VALU_DEP_1)
	v_subrev_nc_u32_e32 v41, 28, v35
	v_lshlrev_b64_e32 v[42:43], v41, v[12:13]
	s_delay_alu instid0(VALU_DEP_1)
	v_dual_sub_nc_u32 v35, 29, v35 :: v_dual_bitop2_b32 v12, 7, v42 bitop3:0x40
; %bb.250:                              ;   in Loop: Header=BB315_201 Depth=1
	s_or_b32 exec_lo, exec_lo, s16
	s_delay_alu instid0(VALU_DEP_1) | instskip(NEXT) | instid1(VALU_DEP_2)
	v_dual_lshlrev_b32 v27, 24, v27 :: v_dual_lshlrev_b32 v12, 20, v12
	v_lshl_add_u32 v35, v35, 23, 0x3c000000
	s_delay_alu instid0(VALU_DEP_2) | instskip(NEXT) | instid1(VALU_DEP_1)
	v_and_b32_e32 v27, 0x80000000, v27
	v_or3_b32 v42, v12, v27, v35
.LBB315_251:                            ;   in Loop: Header=BB315_201 Depth=1
	s_or_b32 exec_lo, exec_lo, s15
.LBB315_252:                            ;   in Loop: Header=BB315_201 Depth=1
	s_delay_alu instid0(SALU_CYCLE_1)
	s_or_b32 exec_lo, exec_lo, s14
.LBB315_253:                            ;   in Loop: Header=BB315_201 Depth=1
	s_delay_alu instid0(SALU_CYCLE_1)
	s_or_b32 exec_lo, exec_lo, s1
	v_mov_b32_e32 v12, 0
	s_mov_b32 s1, exec_lo
	v_cmpx_lt_u64_e64 s[2:3], v[24:25]
	s_cbranch_execz .LBB315_261
; %bb.254:                              ;   in Loop: Header=BB315_201 Depth=1
	v_lshrrev_b32_e32 v24, 24, v25
	v_bfrev_b32_e32 v12, 1
	s_mov_b32 s14, exec_lo
	s_delay_alu instid0(VALU_DEP_2)
	v_cmpx_ne_u32_e32 0x80, v24
	s_cbranch_execz .LBB315_260
; %bb.255:                              ;   in Loop: Header=BB315_201 Depth=1
	v_bfe_u32 v27, v25, 24, 7
	v_mov_b32_e32 v12, 0x7f800001
	s_mov_b32 s15, exec_lo
	s_delay_alu instid0(VALU_DEP_2)
	v_cmpx_ne_u32_e32 0x7f, v27
	s_cbranch_execz .LBB315_259
; %bb.256:                              ;   in Loop: Header=BB315_201 Depth=1
	v_dual_lshrrev_b32 v25, 3, v27 :: v_dual_bitop2_b32 v12, 7, v24 bitop3:0x40
	s_mov_b32 s16, exec_lo
	v_cmpx_gt_u32_e32 8, v27
; %bb.257:                              ;   in Loop: Header=BB315_201 Depth=1
	s_delay_alu instid0(VALU_DEP_2) | instskip(NEXT) | instid1(VALU_DEP_1)
	v_clz_i32_u32_e32 v25, v12
	v_min_u32_e32 v25, 32, v25
	s_delay_alu instid0(VALU_DEP_1) | instskip(NEXT) | instid1(VALU_DEP_1)
	v_subrev_nc_u32_e32 v27, 28, v25
	v_lshlrev_b64_e32 v[44:45], v27, v[12:13]
	s_delay_alu instid0(VALU_DEP_1)
	v_dual_sub_nc_u32 v25, 29, v25 :: v_dual_bitop2_b32 v12, 7, v44 bitop3:0x40
; %bb.258:                              ;   in Loop: Header=BB315_201 Depth=1
	s_or_b32 exec_lo, exec_lo, s16
	v_lshlrev_b32_e32 v24, 24, v24
	s_delay_alu instid0(VALU_DEP_2) | instskip(NEXT) | instid1(VALU_DEP_3)
	v_lshlrev_b32_e32 v12, 20, v12
	v_lshl_add_u32 v25, v25, 23, 0x3c000000
	s_delay_alu instid0(VALU_DEP_3) | instskip(NEXT) | instid1(VALU_DEP_1)
	v_and_b32_e32 v24, 0x80000000, v24
	v_or3_b32 v12, v12, v24, v25
.LBB315_259:                            ;   in Loop: Header=BB315_201 Depth=1
	s_or_b32 exec_lo, exec_lo, s15
.LBB315_260:                            ;   in Loop: Header=BB315_201 Depth=1
	s_delay_alu instid0(SALU_CYCLE_1)
	s_or_b32 exec_lo, exec_lo, s14
.LBB315_261:                            ;   in Loop: Header=BB315_201 Depth=1
	s_delay_alu instid0(SALU_CYCLE_1)
	s_or_b32 exec_lo, exec_lo, s1
	v_add_nc_u32_e32 v41, -7, v32
	v_cmp_eq_u32_e64 s0, s11, v34
	v_fma_mixlo_bf16 v35, s25, v26, 0
	v_fma_mixlo_bf16 v36, s25, v36, 0
	v_fma_mixlo_bf16 v37, s25, v37, 0
	v_fma_mixlo_bf16 v38, s25, v38, 0
	v_fma_mixlo_bf16 v39, s25, v39, 0
	v_fma_mixlo_bf16 v40, s25, v40, 0
	v_fma_mixlo_bf16 v26, s25, v42, 0
	v_fma_mixlo_bf16 v27, s25, v12, 0
	s_and_saveexec_b32 s14, s0
	s_cbranch_execz .LBB315_263
; %bb.262:                              ;   in Loop: Header=BB315_201 Depth=1
	v_dual_add_nc_u32 v12, -6, v32 :: v_dual_add_nc_u32 v24, -5, v32
	v_cmp_gt_i32_e64 s1, s23, v41
	v_add_nc_u32_e32 v25, -2, v32
	s_delay_alu instid0(VALU_DEP_2) | instskip(NEXT) | instid1(VALU_DEP_4)
	v_cndmask_b32_e64 v40, 0, v40, s1
	v_cmp_gt_i32_e64 s1, s23, v12
	s_delay_alu instid0(VALU_DEP_1) | instskip(SKIP_2) | instid1(VALU_DEP_2)
	v_cndmask_b32_e64 v39, 0, v39, s1
	v_cmp_gt_i32_e64 s1, s23, v24
	v_dual_add_nc_u32 v12, -4, v32 :: v_dual_add_nc_u32 v24, -3, v32
	v_cndmask_b32_e64 v38, 0, v38, s1
	s_delay_alu instid0(VALU_DEP_2) | instskip(NEXT) | instid1(VALU_DEP_1)
	v_cmp_gt_i32_e64 s1, s23, v12
	v_dual_add_nc_u32 v12, -1, v32 :: v_dual_cndmask_b32 v37, 0, v37, s1
	s_delay_alu instid0(VALU_DEP_4) | instskip(NEXT) | instid1(VALU_DEP_1)
	v_cmp_gt_i32_e64 s1, s23, v24
	v_cndmask_b32_e64 v36, 0, v36, s1
	v_cmp_gt_i32_e64 s1, s23, v25
	s_delay_alu instid0(VALU_DEP_1) | instskip(SKIP_1) | instid1(VALU_DEP_1)
	v_cndmask_b32_e64 v35, 0, v35, s1
	v_cmp_gt_i32_e64 s1, s23, v12
	v_cndmask_b32_e64 v26, 0, v26, s1
	v_cmp_gt_i32_e64 s1, s23, v32
	s_delay_alu instid0(VALU_DEP_1)
	v_cndmask_b32_e64 v27, 0, v27, s1
.LBB315_263:                            ;   in Loop: Header=BB315_201 Depth=1
	s_or_b32 exec_lo, exec_lo, s14
	global_load_b64 v[22:23], v[22:23], off offset:256
	v_dual_mov_b32 v44, 0 :: v_dual_mov_b32 v45, 0
	s_mov_b32 s14, exec_lo
	s_wait_loadcnt 0x0
	v_and_b32_e32 v12, 0xff, v22
	s_delay_alu instid0(VALU_DEP_1)
	v_cmpx_ne_u16_e32 0, v12
	s_cbranch_execz .LBB315_269
; %bb.264:                              ;   in Loop: Header=BB315_201 Depth=1
	v_bfrev_b32_e32 v45, 1
	s_mov_b32 s15, exec_lo
	v_cmpx_ne_u16_e32 0x80, v12
	s_cbranch_execz .LBB315_268
; %bb.265:                              ;   in Loop: Header=BB315_201 Depth=1
	v_and_b32_e32 v12, 0x7f, v22
	v_mov_b32_e32 v45, 0x7f800001
	s_mov_b32 s16, exec_lo
	s_delay_alu instid0(VALU_DEP_2)
	v_cmpx_ne_u32_e32 0x7f, v12
	s_cbranch_execz .LBB315_267
; %bb.266:                              ;   in Loop: Header=BB315_201 Depth=1
	v_dual_lshrrev_b32 v25, 3, v12 :: v_dual_bitop2_b32 v24, 7, v22 bitop3:0x40
	v_cmp_gt_u32_e64 s1, 8, v12
	s_delay_alu instid0(VALU_DEP_2) | instskip(NEXT) | instid1(VALU_DEP_1)
	v_clz_i32_u32_e32 v24, v24
	v_min_u32_e32 v24, 32, v24
	s_delay_alu instid0(VALU_DEP_1) | instskip(SKIP_1) | instid1(VALU_DEP_1)
	v_subrev_nc_u32_e32 v42, 28, v24
	v_sub_nc_u32_e32 v24, 29, v24
	v_dual_cndmask_b32 v12, v25, v24, s1 :: v_dual_cndmask_b32 v24, 0, v42, s1
	s_delay_alu instid0(VALU_DEP_1) | instskip(NEXT) | instid1(VALU_DEP_2)
	v_lshl_add_u32 v12, v12, 23, 0x3c000000
	v_lshlrev_b64_e32 v[24:25], v24, v[22:23]
	v_lshlrev_b32_e32 v25, 24, v22
	s_delay_alu instid0(VALU_DEP_1) | instskip(NEXT) | instid1(VALU_DEP_3)
	v_and_b32_e32 v25, 0x80000000, v25
	v_lshlrev_b32_e32 v24, 20, v24
	s_delay_alu instid0(VALU_DEP_1) | instskip(NEXT) | instid1(VALU_DEP_1)
	v_and_b32_e32 v24, 0x700000, v24
	v_or3_b32 v45, v24, v25, v12
.LBB315_267:                            ;   in Loop: Header=BB315_201 Depth=1
	s_or_b32 exec_lo, exec_lo, s16
.LBB315_268:                            ;   in Loop: Header=BB315_201 Depth=1
	s_delay_alu instid0(SALU_CYCLE_1)
	s_or_b32 exec_lo, exec_lo, s15
.LBB315_269:                            ;   in Loop: Header=BB315_201 Depth=1
	s_delay_alu instid0(SALU_CYCLE_1) | instskip(SKIP_2) | instid1(VALU_DEP_1)
	s_or_b32 exec_lo, exec_lo, s14
	v_lshrrev_b16 v12, 8, v22
	s_mov_b32 s14, exec_lo
	v_cmpx_ne_u16_e32 0, v12
	s_cbranch_execz .LBB315_277
; %bb.270:                              ;   in Loop: Header=BB315_201 Depth=1
	v_bfrev_b32_e32 v44, 1
	s_mov_b32 s15, exec_lo
	v_cmpx_ne_u16_e32 0x80, v12
	s_cbranch_execz .LBB315_276
; %bb.271:                              ;   in Loop: Header=BB315_201 Depth=1
	v_and_b32_e32 v12, 0xffff, v12
	v_mov_b32_e32 v44, 0x7f800001
	s_mov_b32 s16, exec_lo
	s_delay_alu instid0(VALU_DEP_2) | instskip(NEXT) | instid1(VALU_DEP_1)
	v_and_b32_e32 v25, 0x7f, v12
	v_cmpx_ne_u32_e32 0x7f, v25
	s_cbranch_execz .LBB315_275
; %bb.272:                              ;   in Loop: Header=BB315_201 Depth=1
	v_dual_lshrrev_b32 v24, 3, v25 :: v_dual_bitop2_b32 v12, 7, v12 bitop3:0x40
	s_mov_b32 s17, exec_lo
	v_cmpx_gt_u32_e32 8, v25
; %bb.273:                              ;   in Loop: Header=BB315_201 Depth=1
	s_delay_alu instid0(VALU_DEP_2) | instskip(NEXT) | instid1(VALU_DEP_1)
	v_clz_i32_u32_e32 v24, v12
	v_min_u32_e32 v24, 32, v24
	s_delay_alu instid0(VALU_DEP_1) | instskip(NEXT) | instid1(VALU_DEP_1)
	v_subrev_nc_u32_e32 v25, 28, v24
	v_lshlrev_b64_e32 v[42:43], v25, v[12:13]
	s_delay_alu instid0(VALU_DEP_1)
	v_dual_sub_nc_u32 v24, 29, v24 :: v_dual_bitop2_b32 v12, 7, v42 bitop3:0x40
; %bb.274:                              ;   in Loop: Header=BB315_201 Depth=1
	s_or_b32 exec_lo, exec_lo, s17
	s_delay_alu instid0(VALU_DEP_1) | instskip(NEXT) | instid1(VALU_DEP_2)
	v_dual_lshlrev_b32 v25, 16, v22 :: v_dual_lshlrev_b32 v12, 20, v12
	v_lshl_add_u32 v24, v24, 23, 0x3c000000
	s_delay_alu instid0(VALU_DEP_2) | instskip(NEXT) | instid1(VALU_DEP_1)
	v_and_b32_e32 v25, 0x80000000, v25
	v_or3_b32 v44, v12, v25, v24
.LBB315_275:                            ;   in Loop: Header=BB315_201 Depth=1
	s_or_b32 exec_lo, exec_lo, s16
.LBB315_276:                            ;   in Loop: Header=BB315_201 Depth=1
	s_delay_alu instid0(SALU_CYCLE_1)
	s_or_b32 exec_lo, exec_lo, s15
.LBB315_277:                            ;   in Loop: Header=BB315_201 Depth=1
	s_delay_alu instid0(SALU_CYCLE_1) | instskip(SKIP_3) | instid1(VALU_DEP_2)
	s_or_b32 exec_lo, exec_lo, s14
	v_dual_lshrrev_b32 v24, 16, v22 :: v_dual_mov_b32 v42, 0
	v_mov_b32_e32 v43, 0
	s_mov_b32 s14, exec_lo
	v_and_b32_e32 v12, 0xff, v24
	s_delay_alu instid0(VALU_DEP_1)
	v_cmpx_ne_u16_e32 0, v12
	s_cbranch_execz .LBB315_285
; %bb.278:                              ;   in Loop: Header=BB315_201 Depth=1
	v_bfrev_b32_e32 v43, 1
	s_mov_b32 s15, exec_lo
	v_cmpx_ne_u16_e32 0x80, v12
	s_cbranch_execz .LBB315_284
; %bb.279:                              ;   in Loop: Header=BB315_201 Depth=1
	v_bfe_u32 v46, v22, 16, 7
	v_mov_b32_e32 v43, 0x7f800001
	s_mov_b32 s16, exec_lo
	s_delay_alu instid0(VALU_DEP_2)
	v_cmpx_ne_u32_e32 0x7f, v46
	s_cbranch_execz .LBB315_283
; %bb.280:                              ;   in Loop: Header=BB315_201 Depth=1
	v_dual_lshrrev_b32 v25, 3, v46 :: v_dual_bitop2_b32 v12, 7, v24 bitop3:0x40
	s_mov_b32 s17, exec_lo
	v_cmpx_gt_u32_e32 8, v46
; %bb.281:                              ;   in Loop: Header=BB315_201 Depth=1
	s_delay_alu instid0(VALU_DEP_2) | instskip(NEXT) | instid1(VALU_DEP_1)
	v_clz_i32_u32_e32 v25, v12
	v_min_u32_e32 v25, 32, v25
	s_delay_alu instid0(VALU_DEP_1) | instskip(NEXT) | instid1(VALU_DEP_1)
	v_subrev_nc_u32_e32 v43, 28, v25
	v_lshlrev_b64_e32 v[46:47], v43, v[12:13]
	s_delay_alu instid0(VALU_DEP_1)
	v_dual_sub_nc_u32 v25, 29, v25 :: v_dual_bitop2_b32 v12, 7, v46 bitop3:0x40
; %bb.282:                              ;   in Loop: Header=BB315_201 Depth=1
	s_or_b32 exec_lo, exec_lo, s17
	v_lshlrev_b32_e32 v24, 24, v24
	s_delay_alu instid0(VALU_DEP_2) | instskip(NEXT) | instid1(VALU_DEP_3)
	v_lshlrev_b32_e32 v12, 20, v12
	v_lshl_add_u32 v25, v25, 23, 0x3c000000
	s_delay_alu instid0(VALU_DEP_3) | instskip(NEXT) | instid1(VALU_DEP_1)
	v_and_b32_e32 v24, 0x80000000, v24
	v_or3_b32 v43, v12, v24, v25
.LBB315_283:                            ;   in Loop: Header=BB315_201 Depth=1
	s_or_b32 exec_lo, exec_lo, s16
.LBB315_284:                            ;   in Loop: Header=BB315_201 Depth=1
	s_delay_alu instid0(SALU_CYCLE_1)
	s_or_b32 exec_lo, exec_lo, s15
.LBB315_285:                            ;   in Loop: Header=BB315_201 Depth=1
	s_delay_alu instid0(SALU_CYCLE_1) | instskip(NEXT) | instid1(SALU_CYCLE_1)
	s_or_b32 exec_lo, exec_lo, s14
	s_mov_b32 s14, exec_lo
	v_cmpx_lt_u32_e32 0xffffff, v22
	s_cbranch_execz .LBB315_293
; %bb.286:                              ;   in Loop: Header=BB315_201 Depth=1
	v_lshrrev_b32_e32 v24, 24, v22
	v_bfrev_b32_e32 v42, 1
	s_mov_b32 s15, exec_lo
	s_delay_alu instid0(VALU_DEP_2)
	v_cmpx_ne_u32_e32 0x80, v24
	s_cbranch_execz .LBB315_292
; %bb.287:                              ;   in Loop: Header=BB315_201 Depth=1
	v_bfe_u32 v46, v22, 24, 7
	v_mov_b32_e32 v42, 0x7f800001
	s_mov_b32 s16, exec_lo
	s_delay_alu instid0(VALU_DEP_2)
	v_cmpx_ne_u32_e32 0x7f, v46
	s_cbranch_execz .LBB315_291
; %bb.288:                              ;   in Loop: Header=BB315_201 Depth=1
	v_dual_lshrrev_b32 v25, 3, v46 :: v_dual_bitop2_b32 v12, 7, v24 bitop3:0x40
	s_mov_b32 s17, exec_lo
	v_cmpx_gt_u32_e32 8, v46
; %bb.289:                              ;   in Loop: Header=BB315_201 Depth=1
	s_delay_alu instid0(VALU_DEP_2) | instskip(NEXT) | instid1(VALU_DEP_1)
	v_clz_i32_u32_e32 v25, v12
	v_min_u32_e32 v25, 32, v25
	s_delay_alu instid0(VALU_DEP_1) | instskip(NEXT) | instid1(VALU_DEP_1)
	v_subrev_nc_u32_e32 v42, 28, v25
	v_lshlrev_b64_e32 v[46:47], v42, v[12:13]
	s_delay_alu instid0(VALU_DEP_1)
	v_dual_sub_nc_u32 v25, 29, v25 :: v_dual_bitop2_b32 v12, 7, v46 bitop3:0x40
; %bb.290:                              ;   in Loop: Header=BB315_201 Depth=1
	s_or_b32 exec_lo, exec_lo, s17
	v_lshlrev_b32_e32 v24, 24, v24
	s_delay_alu instid0(VALU_DEP_2) | instskip(NEXT) | instid1(VALU_DEP_3)
	v_lshlrev_b32_e32 v12, 20, v12
	v_lshl_add_u32 v25, v25, 23, 0x3c000000
	s_delay_alu instid0(VALU_DEP_3) | instskip(NEXT) | instid1(VALU_DEP_1)
	v_and_b32_e32 v24, 0x80000000, v24
	v_or3_b32 v42, v12, v24, v25
.LBB315_291:                            ;   in Loop: Header=BB315_201 Depth=1
	s_or_b32 exec_lo, exec_lo, s16
.LBB315_292:                            ;   in Loop: Header=BB315_201 Depth=1
	s_delay_alu instid0(SALU_CYCLE_1)
	s_or_b32 exec_lo, exec_lo, s15
.LBB315_293:                            ;   in Loop: Header=BB315_201 Depth=1
	s_delay_alu instid0(SALU_CYCLE_1) | instskip(SKIP_4) | instid1(VALU_DEP_3)
	s_or_b32 exec_lo, exec_lo, s14
	v_and_b32_e32 v25, 0xff, v23
	v_dual_mov_b32 v12, v23 :: v_dual_mov_b32 v24, 0
	v_mov_b32_e32 v46, 0
	s_mov_b32 s14, exec_lo
	v_cmpx_ne_u16_e32 0, v25
	s_cbranch_execz .LBB315_299
; %bb.294:                              ;   in Loop: Header=BB315_201 Depth=1
	v_bfrev_b32_e32 v46, 1
	s_mov_b32 s15, exec_lo
	v_cmpx_ne_u16_e32 0x80, v25
	s_cbranch_execz .LBB315_298
; %bb.295:                              ;   in Loop: Header=BB315_201 Depth=1
	v_and_b32_e32 v25, 0x7f, v23
	v_mov_b32_e32 v46, 0x7f800001
	s_mov_b32 s16, exec_lo
	s_delay_alu instid0(VALU_DEP_2)
	v_cmpx_ne_u32_e32 0x7f, v25
	s_cbranch_execz .LBB315_297
; %bb.296:                              ;   in Loop: Header=BB315_201 Depth=1
	v_dual_lshrrev_b32 v47, 3, v25 :: v_dual_bitop2_b32 v46, 7, v23 bitop3:0x40
	v_cmp_gt_u32_e64 s1, 8, v25
	s_delay_alu instid0(VALU_DEP_2) | instskip(NEXT) | instid1(VALU_DEP_1)
	v_clz_i32_u32_e32 v46, v46
	v_min_u32_e32 v46, 32, v46
	s_delay_alu instid0(VALU_DEP_1) | instskip(SKIP_1) | instid1(VALU_DEP_1)
	v_subrev_nc_u32_e32 v48, 28, v46
	v_sub_nc_u32_e32 v46, 29, v46
	v_dual_cndmask_b32 v25, v47, v46, s1 :: v_dual_cndmask_b32 v46, 0, v48, s1
	s_delay_alu instid0(VALU_DEP_1) | instskip(NEXT) | instid1(VALU_DEP_2)
	v_lshl_add_u32 v25, v25, 23, 0x3c000000
	v_lshlrev_b64_e32 v[46:47], v46, v[12:13]
	v_lshlrev_b32_e32 v47, 24, v12
	s_delay_alu instid0(VALU_DEP_1) | instskip(NEXT) | instid1(VALU_DEP_3)
	v_and_b32_e32 v47, 0x80000000, v47
	v_lshlrev_b32_e32 v46, 20, v46
	s_delay_alu instid0(VALU_DEP_1) | instskip(NEXT) | instid1(VALU_DEP_1)
	v_and_b32_e32 v46, 0x700000, v46
	v_or3_b32 v46, v46, v47, v25
.LBB315_297:                            ;   in Loop: Header=BB315_201 Depth=1
	s_or_b32 exec_lo, exec_lo, s16
.LBB315_298:                            ;   in Loop: Header=BB315_201 Depth=1
	s_delay_alu instid0(SALU_CYCLE_1)
	s_or_b32 exec_lo, exec_lo, s15
.LBB315_299:                            ;   in Loop: Header=BB315_201 Depth=1
	s_delay_alu instid0(SALU_CYCLE_1) | instskip(SKIP_2) | instid1(VALU_DEP_1)
	s_or_b32 exec_lo, exec_lo, s14
	v_lshrrev_b16 v25, 8, v12
	s_mov_b32 s14, exec_lo
	v_cmpx_ne_u16_e32 0, v25
	s_cbranch_execz .LBB315_307
; %bb.300:                              ;   in Loop: Header=BB315_201 Depth=1
	v_bfrev_b32_e32 v24, 1
	s_mov_b32 s15, exec_lo
	v_cmpx_ne_u16_e32 0x80, v25
	s_cbranch_execz .LBB315_306
; %bb.301:                              ;   in Loop: Header=BB315_201 Depth=1
	v_and_b32_e32 v25, 0xffff, v25
	v_mov_b32_e32 v24, 0x7f800001
	s_mov_b32 s16, exec_lo
	s_delay_alu instid0(VALU_DEP_2) | instskip(NEXT) | instid1(VALU_DEP_1)
	v_and_b32_e32 v48, 0x7f, v25
	v_cmpx_ne_u32_e32 0x7f, v48
	s_cbranch_execz .LBB315_305
; %bb.302:                              ;   in Loop: Header=BB315_201 Depth=1
	v_dual_mov_b32 v25, v13 :: v_dual_bitop2_b32 v24, 7, v25 bitop3:0x40
	v_lshrrev_b32_e32 v47, 3, v48
	s_mov_b32 s17, exec_lo
	v_cmpx_gt_u32_e32 8, v48
; %bb.303:                              ;   in Loop: Header=BB315_201 Depth=1
	s_delay_alu instid0(VALU_DEP_3) | instskip(NEXT) | instid1(VALU_DEP_1)
	v_clz_i32_u32_e32 v47, v24
	v_min_u32_e32 v47, 32, v47
	s_delay_alu instid0(VALU_DEP_1) | instskip(NEXT) | instid1(VALU_DEP_1)
	v_subrev_nc_u32_e32 v48, 28, v47
	v_lshlrev_b64_e32 v[24:25], v48, v[24:25]
	s_delay_alu instid0(VALU_DEP_1)
	v_dual_sub_nc_u32 v47, 29, v47 :: v_dual_bitop2_b32 v24, 7, v24 bitop3:0x40
; %bb.304:                              ;   in Loop: Header=BB315_201 Depth=1
	s_or_b32 exec_lo, exec_lo, s17
	v_lshlrev_b32_e32 v12, 16, v12
	s_delay_alu instid0(VALU_DEP_2) | instskip(NEXT) | instid1(VALU_DEP_3)
	v_lshlrev_b32_e32 v24, 20, v24
	v_lshl_add_u32 v25, v47, 23, 0x3c000000
	s_delay_alu instid0(VALU_DEP_3) | instskip(NEXT) | instid1(VALU_DEP_1)
	v_and_b32_e32 v12, 0x80000000, v12
	v_or3_b32 v24, v24, v12, v25
.LBB315_305:                            ;   in Loop: Header=BB315_201 Depth=1
	s_or_b32 exec_lo, exec_lo, s16
.LBB315_306:                            ;   in Loop: Header=BB315_201 Depth=1
	s_delay_alu instid0(SALU_CYCLE_1)
	s_or_b32 exec_lo, exec_lo, s15
.LBB315_307:                            ;   in Loop: Header=BB315_201 Depth=1
	s_delay_alu instid0(SALU_CYCLE_1) | instskip(SKIP_3) | instid1(VALU_DEP_2)
	s_or_b32 exec_lo, exec_lo, s14
	v_dual_mov_b32 v25, 0 :: v_dual_lshrrev_b32 v48, 16, v23
	v_mov_b32_e32 v47, 0
	s_mov_b32 s14, exec_lo
	v_and_b32_e32 v12, 0xff, v48
	s_delay_alu instid0(VALU_DEP_1)
	v_cmpx_ne_u16_e32 0, v12
	s_cbranch_execz .LBB315_315
; %bb.308:                              ;   in Loop: Header=BB315_201 Depth=1
	v_bfrev_b32_e32 v47, 1
	s_mov_b32 s15, exec_lo
	v_cmpx_ne_u16_e32 0x80, v12
	s_cbranch_execz .LBB315_314
; %bb.309:                              ;   in Loop: Header=BB315_201 Depth=1
	v_bfe_u32 v49, v23, 16, 7
	v_mov_b32_e32 v47, 0x7f800001
	s_mov_b32 s16, exec_lo
	s_delay_alu instid0(VALU_DEP_2)
	v_cmpx_ne_u32_e32 0x7f, v49
	s_cbranch_execz .LBB315_313
; %bb.310:                              ;   in Loop: Header=BB315_201 Depth=1
	v_dual_lshrrev_b32 v47, 3, v49 :: v_dual_bitop2_b32 v12, 7, v48 bitop3:0x40
	s_mov_b32 s17, exec_lo
	v_cmpx_gt_u32_e32 8, v49
; %bb.311:                              ;   in Loop: Header=BB315_201 Depth=1
	s_delay_alu instid0(VALU_DEP_2) | instskip(NEXT) | instid1(VALU_DEP_1)
	v_clz_i32_u32_e32 v47, v12
	v_min_u32_e32 v47, 32, v47
	s_delay_alu instid0(VALU_DEP_1) | instskip(NEXT) | instid1(VALU_DEP_1)
	v_subrev_nc_u32_e32 v49, 28, v47
	v_lshlrev_b64_e32 v[50:51], v49, v[12:13]
	s_delay_alu instid0(VALU_DEP_1)
	v_dual_sub_nc_u32 v47, 29, v47 :: v_dual_bitop2_b32 v12, 7, v50 bitop3:0x40
; %bb.312:                              ;   in Loop: Header=BB315_201 Depth=1
	s_or_b32 exec_lo, exec_lo, s17
	v_lshlrev_b32_e32 v48, 24, v48
	s_delay_alu instid0(VALU_DEP_2) | instskip(NEXT) | instid1(VALU_DEP_3)
	v_lshlrev_b32_e32 v12, 20, v12
	v_lshl_add_u32 v47, v47, 23, 0x3c000000
	s_delay_alu instid0(VALU_DEP_3) | instskip(NEXT) | instid1(VALU_DEP_1)
	v_and_b32_e32 v48, 0x80000000, v48
	v_or3_b32 v47, v12, v48, v47
.LBB315_313:                            ;   in Loop: Header=BB315_201 Depth=1
	s_or_b32 exec_lo, exec_lo, s16
.LBB315_314:                            ;   in Loop: Header=BB315_201 Depth=1
	s_delay_alu instid0(SALU_CYCLE_1)
	s_or_b32 exec_lo, exec_lo, s15
.LBB315_315:                            ;   in Loop: Header=BB315_201 Depth=1
	s_delay_alu instid0(SALU_CYCLE_1) | instskip(NEXT) | instid1(SALU_CYCLE_1)
	s_or_b32 exec_lo, exec_lo, s14
	s_mov_b32 s14, exec_lo
	v_cmpx_lt_u64_e64 s[2:3], v[22:23]
	s_cbranch_execz .LBB315_323
; %bb.316:                              ;   in Loop: Header=BB315_201 Depth=1
	v_lshrrev_b32_e32 v22, 24, v23
	v_bfrev_b32_e32 v25, 1
	s_mov_b32 s15, exec_lo
	s_delay_alu instid0(VALU_DEP_2)
	v_cmpx_ne_u32_e32 0x80, v22
	s_cbranch_execz .LBB315_322
; %bb.317:                              ;   in Loop: Header=BB315_201 Depth=1
	v_bfe_u32 v48, v23, 24, 7
	v_mov_b32_e32 v25, 0x7f800001
	s_mov_b32 s16, exec_lo
	s_delay_alu instid0(VALU_DEP_2)
	v_cmpx_ne_u32_e32 0x7f, v48
	s_cbranch_execz .LBB315_321
; %bb.318:                              ;   in Loop: Header=BB315_201 Depth=1
	v_dual_lshrrev_b32 v23, 3, v48 :: v_dual_bitop2_b32 v12, 7, v22 bitop3:0x40
	s_mov_b32 s17, exec_lo
	v_cmpx_gt_u32_e32 8, v48
; %bb.319:                              ;   in Loop: Header=BB315_201 Depth=1
	s_delay_alu instid0(VALU_DEP_2) | instskip(NEXT) | instid1(VALU_DEP_1)
	v_clz_i32_u32_e32 v23, v12
	v_min_u32_e32 v23, 32, v23
	s_delay_alu instid0(VALU_DEP_1) | instskip(NEXT) | instid1(VALU_DEP_1)
	v_subrev_nc_u32_e32 v25, 28, v23
	v_lshlrev_b64_e32 v[48:49], v25, v[12:13]
	s_delay_alu instid0(VALU_DEP_1)
	v_dual_sub_nc_u32 v23, 29, v23 :: v_dual_bitop2_b32 v12, 7, v48 bitop3:0x40
; %bb.320:                              ;   in Loop: Header=BB315_201 Depth=1
	s_or_b32 exec_lo, exec_lo, s17
	s_delay_alu instid0(VALU_DEP_1) | instskip(NEXT) | instid1(VALU_DEP_2)
	v_dual_lshlrev_b32 v22, 24, v22 :: v_dual_lshlrev_b32 v12, 20, v12
	v_lshl_add_u32 v23, v23, 23, 0x3c000000
	s_delay_alu instid0(VALU_DEP_2) | instskip(NEXT) | instid1(VALU_DEP_1)
	v_and_b32_e32 v22, 0x80000000, v22
	v_or3_b32 v25, v12, v22, v23
.LBB315_321:                            ;   in Loop: Header=BB315_201 Depth=1
	s_or_b32 exec_lo, exec_lo, s16
.LBB315_322:                            ;   in Loop: Header=BB315_201 Depth=1
	s_delay_alu instid0(SALU_CYCLE_1)
	s_or_b32 exec_lo, exec_lo, s15
.LBB315_323:                            ;   in Loop: Header=BB315_201 Depth=1
	s_delay_alu instid0(SALU_CYCLE_1)
	s_or_b32 exec_lo, exec_lo, s14
	v_fma_mixlo_bf16 v22, s25, v24, 0
	v_fma_mixlo_bf16 v23, s25, v46, 0
	;; [unrolled: 1-line block ×8, first 2 shown]
	s_and_saveexec_b32 s14, s0
	s_cbranch_execz .LBB315_325
; %bb.324:                              ;   in Loop: Header=BB315_201 Depth=1
	v_dual_add_nc_u32 v12, -6, v32 :: v_dual_add_nc_u32 v46, -5, v32
	v_cmp_gt_i32_e64 s1, s23, v41
	s_delay_alu instid0(VALU_DEP_1) | instskip(NEXT) | instid1(VALU_DEP_3)
	v_dual_add_nc_u32 v47, -2, v32 :: v_dual_cndmask_b32 v45, 0, v45, s1
	v_cmp_gt_i32_e64 s1, s23, v12
	s_delay_alu instid0(VALU_DEP_1) | instskip(SKIP_2) | instid1(VALU_DEP_2)
	v_cndmask_b32_e64 v44, 0, v44, s1
	v_cmp_gt_i32_e64 s1, s23, v46
	v_dual_add_nc_u32 v12, -4, v32 :: v_dual_add_nc_u32 v46, -3, v32
	v_cndmask_b32_e64 v43, 0, v43, s1
	s_delay_alu instid0(VALU_DEP_2) | instskip(NEXT) | instid1(VALU_DEP_1)
	v_cmp_gt_i32_e64 s1, s23, v12
	v_dual_add_nc_u32 v12, -1, v32 :: v_dual_cndmask_b32 v42, 0, v42, s1
	s_delay_alu instid0(VALU_DEP_4) | instskip(NEXT) | instid1(VALU_DEP_1)
	v_cmp_gt_i32_e64 s1, s23, v46
	v_cndmask_b32_e64 v23, 0, v23, s1
	v_cmp_gt_i32_e64 s1, s23, v47
	s_delay_alu instid0(VALU_DEP_1) | instskip(SKIP_1) | instid1(VALU_DEP_1)
	v_cndmask_b32_e64 v22, 0, v22, s1
	v_cmp_gt_i32_e64 s1, s23, v12
	v_cndmask_b32_e64 v24, 0, v24, s1
	v_cmp_gt_i32_e64 s1, s23, v32
	s_delay_alu instid0(VALU_DEP_1)
	v_cndmask_b32_e64 v25, 0, v25, s1
.LBB315_325:                            ;   in Loop: Header=BB315_201 Depth=1
	s_or_b32 exec_lo, exec_lo, s14
	s_wait_dscnt 0x1
	v_cvt_pk_bf16_f32 v46, v6, v7
	v_cvt_pk_bf16_f32 v8, v8, v9
	s_wait_dscnt 0x0
	v_cvt_pk_bf16_f32 v7, v2, v3
	v_cvt_pk_bf16_f32 v6, v4, v5
	s_and_saveexec_b32 s14, vcc_lo
	s_cbranch_execz .LBB315_200
; %bb.326:                              ;   in Loop: Header=BB315_201 Depth=1
	v_add_nc_u64_e32 v[2:3], v[20:21], v[16:17]
	v_dual_mov_b32 v20, 0 :: v_dual_mov_b32 v9, 0
	s_mov_b32 s15, exec_lo
	global_load_b64 v[2:3], v[2:3], off
	s_wait_loadcnt 0x0
	v_and_b32_e32 v4, 0xff, v2
	s_delay_alu instid0(VALU_DEP_1)
	v_cmpx_ne_u16_e32 0, v4
	s_cbranch_execz .LBB315_332
; %bb.327:                              ;   in Loop: Header=BB315_201 Depth=1
	v_bfrev_b32_e32 v9, 1
	s_mov_b32 s16, exec_lo
	v_cmpx_ne_u16_e32 0x80, v4
	s_cbranch_execz .LBB315_331
; %bb.328:                              ;   in Loop: Header=BB315_201 Depth=1
	v_and_b32_e32 v4, 0x7f, v2
	v_mov_b32_e32 v9, 0x7f800001
	s_mov_b32 s17, exec_lo
	s_delay_alu instid0(VALU_DEP_2)
	v_cmpx_ne_u32_e32 0x7f, v4
	s_cbranch_execz .LBB315_330
; %bb.329:                              ;   in Loop: Header=BB315_201 Depth=1
	v_dual_lshrrev_b32 v9, 3, v4 :: v_dual_bitop2_b32 v5, 7, v2 bitop3:0x40
	v_cmp_gt_u32_e64 s1, 8, v4
	s_delay_alu instid0(VALU_DEP_2) | instskip(NEXT) | instid1(VALU_DEP_1)
	v_clz_i32_u32_e32 v5, v5
	v_min_u32_e32 v5, 32, v5
	s_delay_alu instid0(VALU_DEP_1) | instskip(NEXT) | instid1(VALU_DEP_1)
	v_subrev_nc_u32_e32 v12, 28, v5
	v_dual_sub_nc_u32 v5, 29, v5 :: v_dual_cndmask_b32 v4, 0, v12, s1
	s_delay_alu instid0(VALU_DEP_1) | instskip(NEXT) | instid1(VALU_DEP_2)
	v_cndmask_b32_e64 v9, v9, v5, s1
	v_lshlrev_b64_e32 v[4:5], v4, v[2:3]
	v_lshlrev_b32_e32 v5, 24, v2
	s_delay_alu instid0(VALU_DEP_3) | instskip(NEXT) | instid1(VALU_DEP_2)
	v_lshl_add_u32 v9, v9, 23, 0x3c000000
	v_and_b32_e32 v5, 0x80000000, v5
	s_delay_alu instid0(VALU_DEP_4) | instskip(NEXT) | instid1(VALU_DEP_1)
	v_lshlrev_b32_e32 v4, 20, v4
	v_and_b32_e32 v4, 0x700000, v4
	s_delay_alu instid0(VALU_DEP_1)
	v_or3_b32 v9, v4, v5, v9
.LBB315_330:                            ;   in Loop: Header=BB315_201 Depth=1
	s_or_b32 exec_lo, exec_lo, s17
.LBB315_331:                            ;   in Loop: Header=BB315_201 Depth=1
	s_delay_alu instid0(SALU_CYCLE_1)
	s_or_b32 exec_lo, exec_lo, s16
.LBB315_332:                            ;   in Loop: Header=BB315_201 Depth=1
	s_delay_alu instid0(SALU_CYCLE_1) | instskip(SKIP_2) | instid1(VALU_DEP_1)
	s_or_b32 exec_lo, exec_lo, s15
	v_lshrrev_b16 v4, 8, v2
	s_mov_b32 s15, exec_lo
	v_cmpx_ne_u16_e32 0, v4
	s_cbranch_execz .LBB315_340
; %bb.333:                              ;   in Loop: Header=BB315_201 Depth=1
	v_bfrev_b32_e32 v20, 1
	s_mov_b32 s16, exec_lo
	v_cmpx_ne_u16_e32 0x80, v4
	s_cbranch_execz .LBB315_339
; %bb.334:                              ;   in Loop: Header=BB315_201 Depth=1
	v_and_b32_e32 v4, 0xffff, v4
	v_mov_b32_e32 v20, 0x7f800001
	s_mov_b32 s17, exec_lo
	s_delay_alu instid0(VALU_DEP_2) | instskip(NEXT) | instid1(VALU_DEP_1)
	v_and_b32_e32 v5, 0x7f, v4
	v_cmpx_ne_u32_e32 0x7f, v5
	s_cbranch_execz .LBB315_338
; %bb.335:                              ;   in Loop: Header=BB315_201 Depth=1
	v_dual_lshrrev_b32 v4, 3, v5 :: v_dual_bitop2_b32 v12, 7, v4 bitop3:0x40
	s_mov_b32 s18, exec_lo
	v_cmpx_gt_u32_e32 8, v5
; %bb.336:                              ;   in Loop: Header=BB315_201 Depth=1
	s_delay_alu instid0(VALU_DEP_2) | instskip(NEXT) | instid1(VALU_DEP_1)
	v_clz_i32_u32_e32 v4, v12
	v_min_u32_e32 v4, 32, v4
	s_delay_alu instid0(VALU_DEP_1) | instskip(SKIP_1) | instid1(VALU_DEP_2)
	v_subrev_nc_u32_e32 v5, 28, v4
	v_sub_nc_u32_e32 v4, 29, v4
	v_lshlrev_b64_e32 v[20:21], v5, v[12:13]
	s_delay_alu instid0(VALU_DEP_1)
	v_and_b32_e32 v12, 7, v20
; %bb.337:                              ;   in Loop: Header=BB315_201 Depth=1
	s_or_b32 exec_lo, exec_lo, s18
	s_delay_alu instid0(VALU_DEP_1) | instskip(SKIP_1) | instid1(VALU_DEP_2)
	v_dual_lshlrev_b32 v5, 16, v2 :: v_dual_lshlrev_b32 v12, 20, v12
	v_lshl_add_u32 v4, v4, 23, 0x3c000000
	v_and_b32_e32 v5, 0x80000000, v5
	s_delay_alu instid0(VALU_DEP_1)
	v_or3_b32 v20, v12, v5, v4
.LBB315_338:                            ;   in Loop: Header=BB315_201 Depth=1
	s_or_b32 exec_lo, exec_lo, s17
.LBB315_339:                            ;   in Loop: Header=BB315_201 Depth=1
	s_delay_alu instid0(SALU_CYCLE_1)
	s_or_b32 exec_lo, exec_lo, s16
.LBB315_340:                            ;   in Loop: Header=BB315_201 Depth=1
	s_delay_alu instid0(SALU_CYCLE_1) | instskip(SKIP_3) | instid1(VALU_DEP_2)
	s_or_b32 exec_lo, exec_lo, s15
	v_dual_mov_b32 v47, 0 :: v_dual_lshrrev_b32 v4, 16, v2
	v_mov_b32_e32 v21, 0
	s_mov_b32 s15, exec_lo
	v_and_b32_e32 v5, 0xff, v4
	s_delay_alu instid0(VALU_DEP_1)
	v_cmpx_ne_u16_e32 0, v5
	s_cbranch_execz .LBB315_348
; %bb.341:                              ;   in Loop: Header=BB315_201 Depth=1
	v_bfrev_b32_e32 v21, 1
	s_mov_b32 s16, exec_lo
	v_cmpx_ne_u16_e32 0x80, v5
	s_cbranch_execz .LBB315_347
; %bb.342:                              ;   in Loop: Header=BB315_201 Depth=1
	v_bfe_u32 v48, v2, 16, 7
	v_mov_b32_e32 v21, 0x7f800001
	s_mov_b32 s17, exec_lo
	s_delay_alu instid0(VALU_DEP_2)
	v_cmpx_ne_u32_e32 0x7f, v48
	s_cbranch_execz .LBB315_346
; %bb.343:                              ;   in Loop: Header=BB315_201 Depth=1
	v_and_b32_e32 v12, 7, v4
	v_lshrrev_b32_e32 v5, 3, v48
	s_mov_b32 s18, exec_lo
	v_cmpx_gt_u32_e32 8, v48
; %bb.344:                              ;   in Loop: Header=BB315_201 Depth=1
	s_delay_alu instid0(VALU_DEP_3) | instskip(NEXT) | instid1(VALU_DEP_1)
	v_clz_i32_u32_e32 v5, v12
	v_min_u32_e32 v5, 32, v5
	s_delay_alu instid0(VALU_DEP_1) | instskip(NEXT) | instid1(VALU_DEP_1)
	v_subrev_nc_u32_e32 v21, 28, v5
	v_lshlrev_b64_e32 v[48:49], v21, v[12:13]
	s_delay_alu instid0(VALU_DEP_1)
	v_dual_sub_nc_u32 v5, 29, v5 :: v_dual_bitop2_b32 v12, 7, v48 bitop3:0x40
; %bb.345:                              ;   in Loop: Header=BB315_201 Depth=1
	s_or_b32 exec_lo, exec_lo, s18
	v_lshlrev_b32_e32 v4, 24, v4
	s_delay_alu instid0(VALU_DEP_2) | instskip(NEXT) | instid1(VALU_DEP_3)
	v_lshlrev_b32_e32 v12, 20, v12
	v_lshl_add_u32 v5, v5, 23, 0x3c000000
	s_delay_alu instid0(VALU_DEP_3) | instskip(NEXT) | instid1(VALU_DEP_1)
	v_and_b32_e32 v4, 0x80000000, v4
	v_or3_b32 v21, v12, v4, v5
.LBB315_346:                            ;   in Loop: Header=BB315_201 Depth=1
	s_or_b32 exec_lo, exec_lo, s17
.LBB315_347:                            ;   in Loop: Header=BB315_201 Depth=1
	s_delay_alu instid0(SALU_CYCLE_1)
	s_or_b32 exec_lo, exec_lo, s16
.LBB315_348:                            ;   in Loop: Header=BB315_201 Depth=1
	s_delay_alu instid0(SALU_CYCLE_1) | instskip(NEXT) | instid1(SALU_CYCLE_1)
	s_or_b32 exec_lo, exec_lo, s15
	s_mov_b32 s15, exec_lo
	v_cmpx_lt_u32_e32 0xffffff, v2
	s_cbranch_execz .LBB315_356
; %bb.349:                              ;   in Loop: Header=BB315_201 Depth=1
	v_lshrrev_b32_e32 v4, 24, v2
	v_bfrev_b32_e32 v47, 1
	s_mov_b32 s16, exec_lo
	s_delay_alu instid0(VALU_DEP_2)
	v_cmpx_ne_u32_e32 0x80, v4
	s_cbranch_execz .LBB315_355
; %bb.350:                              ;   in Loop: Header=BB315_201 Depth=1
	v_bfe_u32 v48, v2, 24, 7
	v_mov_b32_e32 v47, 0x7f800001
	s_mov_b32 s17, exec_lo
	s_delay_alu instid0(VALU_DEP_2)
	v_cmpx_ne_u32_e32 0x7f, v48
	s_cbranch_execz .LBB315_354
; %bb.351:                              ;   in Loop: Header=BB315_201 Depth=1
	v_and_b32_e32 v12, 7, v4
	v_lshrrev_b32_e32 v5, 3, v48
	s_mov_b32 s18, exec_lo
	v_cmpx_gt_u32_e32 8, v48
; %bb.352:                              ;   in Loop: Header=BB315_201 Depth=1
	s_delay_alu instid0(VALU_DEP_3) | instskip(NEXT) | instid1(VALU_DEP_1)
	v_clz_i32_u32_e32 v5, v12
	v_min_u32_e32 v5, 32, v5
	s_delay_alu instid0(VALU_DEP_1) | instskip(NEXT) | instid1(VALU_DEP_1)
	v_subrev_nc_u32_e32 v47, 28, v5
	v_lshlrev_b64_e32 v[48:49], v47, v[12:13]
	s_delay_alu instid0(VALU_DEP_1)
	v_dual_sub_nc_u32 v5, 29, v5 :: v_dual_bitop2_b32 v12, 7, v48 bitop3:0x40
; %bb.353:                              ;   in Loop: Header=BB315_201 Depth=1
	s_or_b32 exec_lo, exec_lo, s18
	v_lshlrev_b32_e32 v4, 24, v4
	s_delay_alu instid0(VALU_DEP_2) | instskip(NEXT) | instid1(VALU_DEP_3)
	v_lshlrev_b32_e32 v12, 20, v12
	v_lshl_add_u32 v5, v5, 23, 0x3c000000
	s_delay_alu instid0(VALU_DEP_3) | instskip(NEXT) | instid1(VALU_DEP_1)
	v_and_b32_e32 v4, 0x80000000, v4
	v_or3_b32 v47, v12, v4, v5
.LBB315_354:                            ;   in Loop: Header=BB315_201 Depth=1
	s_or_b32 exec_lo, exec_lo, s17
.LBB315_355:                            ;   in Loop: Header=BB315_201 Depth=1
	s_delay_alu instid0(SALU_CYCLE_1)
	s_or_b32 exec_lo, exec_lo, s16
.LBB315_356:                            ;   in Loop: Header=BB315_201 Depth=1
	s_delay_alu instid0(SALU_CYCLE_1) | instskip(SKIP_4) | instid1(VALU_DEP_3)
	s_or_b32 exec_lo, exec_lo, s15
	v_and_b32_e32 v5, 0xff, v3
	v_dual_mov_b32 v12, v3 :: v_dual_mov_b32 v4, 0
	v_mov_b32_e32 v48, 0
	s_mov_b32 s15, exec_lo
	v_cmpx_ne_u16_e32 0, v5
	s_cbranch_execz .LBB315_362
; %bb.357:                              ;   in Loop: Header=BB315_201 Depth=1
	v_bfrev_b32_e32 v48, 1
	s_mov_b32 s16, exec_lo
	v_cmpx_ne_u16_e32 0x80, v5
	s_cbranch_execz .LBB315_361
; %bb.358:                              ;   in Loop: Header=BB315_201 Depth=1
	v_and_b32_e32 v5, 0x7f, v3
	v_mov_b32_e32 v48, 0x7f800001
	s_mov_b32 s17, exec_lo
	s_delay_alu instid0(VALU_DEP_2)
	v_cmpx_ne_u32_e32 0x7f, v5
	s_cbranch_execz .LBB315_360
; %bb.359:                              ;   in Loop: Header=BB315_201 Depth=1
	v_dual_lshrrev_b32 v49, 3, v5 :: v_dual_bitop2_b32 v48, 7, v3 bitop3:0x40
	v_cmp_gt_u32_e64 s1, 8, v5
	s_delay_alu instid0(VALU_DEP_2) | instskip(NEXT) | instid1(VALU_DEP_1)
	v_clz_i32_u32_e32 v48, v48
	v_min_u32_e32 v48, 32, v48
	s_delay_alu instid0(VALU_DEP_1) | instskip(SKIP_1) | instid1(VALU_DEP_1)
	v_subrev_nc_u32_e32 v50, 28, v48
	v_sub_nc_u32_e32 v48, 29, v48
	v_dual_cndmask_b32 v5, v49, v48, s1 :: v_dual_cndmask_b32 v48, 0, v50, s1
	s_delay_alu instid0(VALU_DEP_1) | instskip(NEXT) | instid1(VALU_DEP_2)
	v_lshl_add_u32 v5, v5, 23, 0x3c000000
	v_lshlrev_b64_e32 v[48:49], v48, v[12:13]
	v_lshlrev_b32_e32 v49, 24, v12
	s_delay_alu instid0(VALU_DEP_1) | instskip(NEXT) | instid1(VALU_DEP_3)
	v_and_b32_e32 v49, 0x80000000, v49
	v_lshlrev_b32_e32 v48, 20, v48
	s_delay_alu instid0(VALU_DEP_1) | instskip(NEXT) | instid1(VALU_DEP_1)
	v_and_b32_e32 v48, 0x700000, v48
	v_or3_b32 v48, v48, v49, v5
.LBB315_360:                            ;   in Loop: Header=BB315_201 Depth=1
	s_or_b32 exec_lo, exec_lo, s17
.LBB315_361:                            ;   in Loop: Header=BB315_201 Depth=1
	s_delay_alu instid0(SALU_CYCLE_1)
	s_or_b32 exec_lo, exec_lo, s16
.LBB315_362:                            ;   in Loop: Header=BB315_201 Depth=1
	s_delay_alu instid0(SALU_CYCLE_1) | instskip(SKIP_2) | instid1(VALU_DEP_1)
	s_or_b32 exec_lo, exec_lo, s15
	v_lshrrev_b16 v5, 8, v12
	s_mov_b32 s15, exec_lo
	v_cmpx_ne_u16_e32 0, v5
	s_cbranch_execz .LBB315_370
; %bb.363:                              ;   in Loop: Header=BB315_201 Depth=1
	v_bfrev_b32_e32 v4, 1
	s_mov_b32 s16, exec_lo
	v_cmpx_ne_u16_e32 0x80, v5
	s_cbranch_execz .LBB315_369
; %bb.364:                              ;   in Loop: Header=BB315_201 Depth=1
	v_and_b32_e32 v5, 0xffff, v5
	v_mov_b32_e32 v4, 0x7f800001
	s_mov_b32 s17, exec_lo
	s_delay_alu instid0(VALU_DEP_2) | instskip(NEXT) | instid1(VALU_DEP_1)
	v_and_b32_e32 v50, 0x7f, v5
	v_cmpx_ne_u32_e32 0x7f, v50
	s_cbranch_execz .LBB315_368
; %bb.365:                              ;   in Loop: Header=BB315_201 Depth=1
	v_dual_mov_b32 v5, v13 :: v_dual_bitop2_b32 v4, 7, v5 bitop3:0x40
	v_lshrrev_b32_e32 v49, 3, v50
	s_mov_b32 s18, exec_lo
	v_cmpx_gt_u32_e32 8, v50
; %bb.366:                              ;   in Loop: Header=BB315_201 Depth=1
	s_delay_alu instid0(VALU_DEP_3) | instskip(NEXT) | instid1(VALU_DEP_1)
	v_clz_i32_u32_e32 v49, v4
	v_min_u32_e32 v49, 32, v49
	s_delay_alu instid0(VALU_DEP_1) | instskip(NEXT) | instid1(VALU_DEP_1)
	v_subrev_nc_u32_e32 v50, 28, v49
	v_lshlrev_b64_e32 v[4:5], v50, v[4:5]
	s_delay_alu instid0(VALU_DEP_1)
	v_dual_sub_nc_u32 v49, 29, v49 :: v_dual_bitop2_b32 v4, 7, v4 bitop3:0x40
; %bb.367:                              ;   in Loop: Header=BB315_201 Depth=1
	s_or_b32 exec_lo, exec_lo, s18
	v_lshlrev_b32_e32 v5, 16, v12
	s_delay_alu instid0(VALU_DEP_2) | instskip(NEXT) | instid1(VALU_DEP_3)
	v_lshlrev_b32_e32 v4, 20, v4
	v_lshl_add_u32 v12, v49, 23, 0x3c000000
	s_delay_alu instid0(VALU_DEP_3) | instskip(NEXT) | instid1(VALU_DEP_1)
	v_and_b32_e32 v5, 0x80000000, v5
	v_or3_b32 v4, v4, v5, v12
.LBB315_368:                            ;   in Loop: Header=BB315_201 Depth=1
	s_or_b32 exec_lo, exec_lo, s17
.LBB315_369:                            ;   in Loop: Header=BB315_201 Depth=1
	s_delay_alu instid0(SALU_CYCLE_1)
	s_or_b32 exec_lo, exec_lo, s16
.LBB315_370:                            ;   in Loop: Header=BB315_201 Depth=1
	s_delay_alu instid0(SALU_CYCLE_1) | instskip(SKIP_3) | instid1(VALU_DEP_2)
	s_or_b32 exec_lo, exec_lo, s15
	v_dual_mov_b32 v5, 0 :: v_dual_lshrrev_b32 v50, 16, v3
	v_mov_b32_e32 v49, 0
	s_mov_b32 s15, exec_lo
	v_and_b32_e32 v12, 0xff, v50
	s_delay_alu instid0(VALU_DEP_1)
	v_cmpx_ne_u16_e32 0, v12
	s_cbranch_execz .LBB315_378
; %bb.371:                              ;   in Loop: Header=BB315_201 Depth=1
	v_bfrev_b32_e32 v49, 1
	s_mov_b32 s16, exec_lo
	v_cmpx_ne_u16_e32 0x80, v12
	s_cbranch_execz .LBB315_377
; %bb.372:                              ;   in Loop: Header=BB315_201 Depth=1
	v_bfe_u32 v51, v3, 16, 7
	v_mov_b32_e32 v49, 0x7f800001
	s_mov_b32 s17, exec_lo
	s_delay_alu instid0(VALU_DEP_2)
	v_cmpx_ne_u32_e32 0x7f, v51
	s_cbranch_execz .LBB315_376
; %bb.373:                              ;   in Loop: Header=BB315_201 Depth=1
	v_dual_lshrrev_b32 v49, 3, v51 :: v_dual_bitop2_b32 v12, 7, v50 bitop3:0x40
	s_mov_b32 s18, exec_lo
	v_cmpx_gt_u32_e32 8, v51
; %bb.374:                              ;   in Loop: Header=BB315_201 Depth=1
	s_delay_alu instid0(VALU_DEP_2) | instskip(NEXT) | instid1(VALU_DEP_1)
	v_clz_i32_u32_e32 v49, v12
	v_min_u32_e32 v49, 32, v49
	s_delay_alu instid0(VALU_DEP_1) | instskip(NEXT) | instid1(VALU_DEP_1)
	v_subrev_nc_u32_e32 v51, 28, v49
	v_lshlrev_b64_e32 v[52:53], v51, v[12:13]
	s_delay_alu instid0(VALU_DEP_1)
	v_dual_sub_nc_u32 v49, 29, v49 :: v_dual_bitop2_b32 v12, 7, v52 bitop3:0x40
; %bb.375:                              ;   in Loop: Header=BB315_201 Depth=1
	s_or_b32 exec_lo, exec_lo, s18
	s_delay_alu instid0(VALU_DEP_1) | instskip(NEXT) | instid1(VALU_DEP_2)
	v_dual_lshlrev_b32 v50, 24, v50 :: v_dual_lshlrev_b32 v12, 20, v12
	v_lshl_add_u32 v49, v49, 23, 0x3c000000
	s_delay_alu instid0(VALU_DEP_2) | instskip(NEXT) | instid1(VALU_DEP_1)
	v_and_b32_e32 v50, 0x80000000, v50
	v_or3_b32 v49, v12, v50, v49
.LBB315_376:                            ;   in Loop: Header=BB315_201 Depth=1
	s_or_b32 exec_lo, exec_lo, s17
.LBB315_377:                            ;   in Loop: Header=BB315_201 Depth=1
	s_delay_alu instid0(SALU_CYCLE_1)
	s_or_b32 exec_lo, exec_lo, s16
.LBB315_378:                            ;   in Loop: Header=BB315_201 Depth=1
	s_delay_alu instid0(SALU_CYCLE_1) | instskip(NEXT) | instid1(SALU_CYCLE_1)
	s_or_b32 exec_lo, exec_lo, s15
	s_mov_b32 s15, exec_lo
	v_cmpx_lt_u64_e64 s[2:3], v[2:3]
	s_cbranch_execz .LBB315_386
; %bb.379:                              ;   in Loop: Header=BB315_201 Depth=1
	v_lshrrev_b32_e32 v2, 24, v3
	v_bfrev_b32_e32 v5, 1
	s_mov_b32 s16, exec_lo
	s_delay_alu instid0(VALU_DEP_2)
	v_cmpx_ne_u32_e32 0x80, v2
	s_cbranch_execz .LBB315_385
; %bb.380:                              ;   in Loop: Header=BB315_201 Depth=1
	v_bfe_u32 v50, v3, 24, 7
	v_mov_b32_e32 v5, 0x7f800001
	s_mov_b32 s17, exec_lo
	s_delay_alu instid0(VALU_DEP_2)
	v_cmpx_ne_u32_e32 0x7f, v50
	s_cbranch_execz .LBB315_384
; %bb.381:                              ;   in Loop: Header=BB315_201 Depth=1
	v_and_b32_e32 v12, 7, v2
	v_lshrrev_b32_e32 v3, 3, v50
	s_mov_b32 s18, exec_lo
	v_cmpx_gt_u32_e32 8, v50
; %bb.382:                              ;   in Loop: Header=BB315_201 Depth=1
	s_delay_alu instid0(VALU_DEP_3) | instskip(NEXT) | instid1(VALU_DEP_1)
	v_clz_i32_u32_e32 v3, v12
	v_min_u32_e32 v3, 32, v3
	s_delay_alu instid0(VALU_DEP_1) | instskip(NEXT) | instid1(VALU_DEP_1)
	v_subrev_nc_u32_e32 v5, 28, v3
	v_lshlrev_b64_e32 v[50:51], v5, v[12:13]
	s_delay_alu instid0(VALU_DEP_1)
	v_dual_sub_nc_u32 v3, 29, v3 :: v_dual_bitop2_b32 v12, 7, v50 bitop3:0x40
; %bb.383:                              ;   in Loop: Header=BB315_201 Depth=1
	s_or_b32 exec_lo, exec_lo, s18
	s_delay_alu instid0(VALU_DEP_1) | instskip(NEXT) | instid1(VALU_DEP_2)
	v_dual_lshlrev_b32 v2, 24, v2 :: v_dual_lshlrev_b32 v5, 20, v12
	v_lshl_add_u32 v3, v3, 23, 0x3c000000
	s_delay_alu instid0(VALU_DEP_2) | instskip(NEXT) | instid1(VALU_DEP_1)
	v_and_b32_e32 v2, 0x80000000, v2
	v_or3_b32 v5, v5, v2, v3
.LBB315_384:                            ;   in Loop: Header=BB315_201 Depth=1
	s_or_b32 exec_lo, exec_lo, s17
.LBB315_385:                            ;   in Loop: Header=BB315_201 Depth=1
	s_delay_alu instid0(SALU_CYCLE_1)
	s_or_b32 exec_lo, exec_lo, s16
.LBB315_386:                            ;   in Loop: Header=BB315_201 Depth=1
	s_delay_alu instid0(SALU_CYCLE_1)
	s_or_b32 exec_lo, exec_lo, s15
	v_fma_mixlo_bf16 v2, s25, v4, 0
	v_fma_mixlo_bf16 v3, s25, v48, 0
	;; [unrolled: 1-line block ×8, first 2 shown]
	s_and_saveexec_b32 s1, s0
	s_cbranch_execz .LBB315_199
; %bb.387:                              ;   in Loop: Header=BB315_201 Depth=1
	v_dual_add_nc_u32 v47, -6, v32 :: v_dual_add_nc_u32 v48, -5, v32
	v_cmp_gt_i32_e64 s0, s23, v41
	s_delay_alu instid0(VALU_DEP_1) | instskip(NEXT) | instid1(VALU_DEP_3)
	v_cndmask_b32_e64 v9, 0, v9, s0
	v_cmp_gt_i32_e64 s0, s23, v47
	v_add_nc_u32_e32 v47, -3, v32
	s_delay_alu instid0(VALU_DEP_2) | instskip(SKIP_2) | instid1(VALU_DEP_2)
	v_cndmask_b32_e64 v20, 0, v20, s0
	v_cmp_gt_i32_e64 s0, s23, v48
	v_dual_add_nc_u32 v41, -4, v32 :: v_dual_add_nc_u32 v48, -2, v32
	v_cndmask_b32_e64 v21, 0, v21, s0
	s_delay_alu instid0(VALU_DEP_2) | instskip(NEXT) | instid1(VALU_DEP_1)
	v_cmp_gt_i32_e64 s0, s23, v41
	v_cndmask_b32_e64 v12, 0, v12, s0
	v_cmp_gt_i32_e64 s0, s23, v47
	s_delay_alu instid0(VALU_DEP_1) | instskip(SKIP_1) | instid1(VALU_DEP_1)
	v_cndmask_b32_e64 v3, 0, v3, s0
	v_cmp_gt_i32_e64 s0, s23, v48
	v_dual_add_nc_u32 v41, -1, v32 :: v_dual_cndmask_b32 v2, 0, v2, s0
	s_delay_alu instid0(VALU_DEP_1) | instskip(NEXT) | instid1(VALU_DEP_1)
	v_cmp_gt_i32_e64 s0, s23, v41
	v_cndmask_b32_e64 v4, 0, v4, s0
	v_cmp_gt_i32_e64 s0, s23, v32
	s_delay_alu instid0(VALU_DEP_1)
	v_cndmask_b32_e64 v5, 0, v5, s0
	s_branch .LBB315_199
.LBB315_388:
	s_or_b32 exec_lo, exec_lo, s10
.LBB315_389:
	s_delay_alu instid0(SALU_CYCLE_1)
	s_or_b32 exec_lo, exec_lo, s24
	s_movk_i32 s0, 0x140
	v_and_b32_e32 v2, 0x3c0, v0
	v_mad_u32_u24 v1, v1, s0, 0xc0
	s_mov_b32 s0, exec_lo
	s_barrier_signal -1
	s_barrier_wait -1
	v_cmpx_eq_u32_e32 64, v2
	s_cbranch_execz .LBB315_392
; %bb.390:
	v_add_nc_u32_e32 v2, 0xfffffd80, v1
	v_cmp_gt_u32_e32 vcc_lo, 0x50, v31
	s_delay_alu instid0(VALU_DEP_2)
	v_lshl_add_u32 v3, v28, 2, v2
	ds_store_2addr_b32 v3, v10, v11 offset1:32
	s_and_b32 exec_lo, exec_lo, vcc_lo
; %bb.391:
	v_lshl_add_u32 v2, v31, 2, v2
	ds_store_b32 v2, v30
.LBB315_392:
	s_or_b32 exec_lo, exec_lo, s0
	v_lshl_add_u32 v4, v28, 2, v1
	s_mov_b32 s0, exec_lo
	s_wait_dscnt 0x0
	s_barrier_signal -1
	s_barrier_wait -1
	v_cmpx_gt_u32_e32 64, v0
	s_cbranch_execz .LBB315_396
; %bb.393:
	v_lshl_or_b32 v2, v0, 2, 0x80
	s_mov_b32 s1, exec_lo
	s_delay_alu instid0(VALU_DEP_1)
	v_add_nc_u32_e32 v3, v1, v2
	ds_load_b32 v2, v4
	ds_load_b32 v3, v3
	v_cmpx_gt_u32_e32 0x50, v31
	s_cbranch_execz .LBB315_395
; %bb.394:
	ds_load_b32 v5, v4 offset:256
	s_wait_dscnt 0x0
	v_add_f32_e32 v30, v30, v5
.LBB315_395:
	s_or_b32 exec_lo, exec_lo, s1
	s_wait_dscnt 0x0
	v_pk_add_f32 v[10:11], v[10:11], v[2:3]
.LBB315_396:
	s_or_b32 exec_lo, exec_lo, s0
	v_and_b32_e32 v2, 0x3e0, v0
	s_mov_b32 s0, exec_lo
	s_barrier_signal -1
	s_barrier_wait -1
	s_delay_alu instid0(VALU_DEP_1)
	v_cmpx_eq_u32_e32 32, v2
	s_cbranch_execz .LBB315_399
; %bb.397:
	v_lshl_add_u32 v2, v28, 2, 0xc0
	v_cmp_gt_u32_e32 vcc_lo, 0x50, v31
	ds_store_b32 v2, v10
	ds_store_b32 v29, v11
	s_and_b32 exec_lo, exec_lo, vcc_lo
; %bb.398:
	ds_store_b32 v2, v30 offset:256
.LBB315_399:
	s_or_b32 exec_lo, exec_lo, s0
	v_cmp_gt_u32_e32 vcc_lo, 32, v0
	v_or_b32_e32 v5, 64, v0
	s_wait_dscnt 0x0
	s_barrier_signal -1
	s_barrier_wait -1
	s_and_saveexec_b32 s1, vcc_lo
	s_cbranch_execz .LBB315_403
; %bb.400:
	v_lshl_add_u32 v1, v0, 2, v1
	s_mov_b32 s2, exec_lo
	ds_load_b32 v2, v4
	ds_load_b32 v3, v1 offset:128
	v_cmpx_gt_u32_e32 0x50, v5
	s_cbranch_execz .LBB315_402
; %bb.401:
	ds_load_b32 v1, v1 offset:256
	s_wait_dscnt 0x0
	v_add_f32_e32 v30, v30, v1
.LBB315_402:
	s_or_b32 exec_lo, exec_lo, s2
	s_wait_dscnt 0x0
	v_pk_add_f32 v[10:11], v[10:11], v[2:3]
.LBB315_403:
	s_or_b32 exec_lo, exec_lo, s1
	s_barrier_signal -1
	s_barrier_wait -1
	s_and_saveexec_b32 s0, vcc_lo
	s_cbranch_execz .LBB315_406
; %bb.404:
	s_mul_i32 s1, s22, s8
	s_bfe_u32 s7, ttmp6, 0x40014
	s_mul_i32 s1, s1, s21
	s_mul_i32 s0, s8, s12
	;; [unrolled: 1-line block ×3, first 2 shown]
	s_lshr_b32 s6, ttmp7, 16
	s_ashr_i32 s3, s2, 31
	s_add_co_i32 s7, s7, 1
	s_lshl_b64 s[2:3], s[2:3], 1
	s_ashr_i32 s1, s0, 31
	s_wait_kmcnt 0x0
	s_add_nc_u64 s[2:3], s[4:5], s[2:3]
	s_mul_i32 s4, s6, s7
	s_bfe_u32 s5, ttmp6, 0x40008
	s_lshl_b64 s[0:1], s[0:1], 1
	s_add_co_i32 s5, s5, s4
	s_cmp_eq_u32 s20, 0
	s_add_nc_u64 s[0:1], s[2:3], s[0:1]
	s_cselect_b32 s2, s6, s5
	v_cvt_pk_bf16_f32 v1, v10, s0
	v_cmp_gt_u32_e32 vcc_lo, 0x50, v5
	s_mov_b32 s3, 0
	s_mulk_i32 s2, 0xa0
	v_cvt_pk_bf16_f32 v2, v11, s0
	s_add_nc_u64 s[0:1], s[0:1], s[2:3]
	s_clause 0x1
	global_store_b16 v0, v1, s[0:1] scale_offset
	global_store_b16 v0, v2, s[0:1] offset:64 scale_offset
	s_wait_xcnt 0x0
	s_and_b32 exec_lo, exec_lo, vcc_lo
	s_cbranch_execz .LBB315_406
; %bb.405:
	v_dual_mov_b32 v1, 0 :: v_dual_lshlrev_b32 v0, 1, v0
	v_cvt_pk_bf16_f32 v2, v30, s0
	s_delay_alu instid0(VALU_DEP_2)
	v_add_nc_u64_e32 v[0:1], s[0:1], v[0:1]
	global_store_b16 v[0:1], v2, off offset:128
.LBB315_406:
	s_endpgm
	.section	.rodata,"a",@progbits
	.p2align	6, 0x0
	.amdhsa_kernel _ZN4vllm25paged_attention_v1_kernelI14__hip_bfloat16hLi80ELi8ELi128ELNS_18Fp8KVCacheDataTypeE1ELb0EEEvPT_PKS3_PKT0_S9_ifPKiSB_iPKfiiiSD_SD_iiiii
		.amdhsa_group_segment_fixed_size 192
		.amdhsa_private_segment_fixed_size 0
		.amdhsa_kernarg_size 384
		.amdhsa_user_sgpr_count 2
		.amdhsa_user_sgpr_dispatch_ptr 0
		.amdhsa_user_sgpr_queue_ptr 0
		.amdhsa_user_sgpr_kernarg_segment_ptr 1
		.amdhsa_user_sgpr_dispatch_id 0
		.amdhsa_user_sgpr_kernarg_preload_length 0
		.amdhsa_user_sgpr_kernarg_preload_offset 0
		.amdhsa_user_sgpr_private_segment_size 0
		.amdhsa_wavefront_size32 1
		.amdhsa_uses_dynamic_stack 0
		.amdhsa_enable_private_segment 0
		.amdhsa_system_sgpr_workgroup_id_x 1
		.amdhsa_system_sgpr_workgroup_id_y 1
		.amdhsa_system_sgpr_workgroup_id_z 1
		.amdhsa_system_sgpr_workgroup_info 0
		.amdhsa_system_vgpr_workitem_id 0
		.amdhsa_next_free_vgpr 60
		.amdhsa_next_free_sgpr 31
		.amdhsa_named_barrier_count 0
		.amdhsa_reserve_vcc 1
		.amdhsa_float_round_mode_32 0
		.amdhsa_float_round_mode_16_64 0
		.amdhsa_float_denorm_mode_32 3
		.amdhsa_float_denorm_mode_16_64 3
		.amdhsa_fp16_overflow 0
		.amdhsa_memory_ordered 1
		.amdhsa_forward_progress 1
		.amdhsa_inst_pref_size 122
		.amdhsa_round_robin_scheduling 0
		.amdhsa_exception_fp_ieee_invalid_op 0
		.amdhsa_exception_fp_denorm_src 0
		.amdhsa_exception_fp_ieee_div_zero 0
		.amdhsa_exception_fp_ieee_overflow 0
		.amdhsa_exception_fp_ieee_underflow 0
		.amdhsa_exception_fp_ieee_inexact 0
		.amdhsa_exception_int_div_zero 0
	.end_amdhsa_kernel
	.section	.text._ZN4vllm25paged_attention_v1_kernelI14__hip_bfloat16hLi80ELi8ELi128ELNS_18Fp8KVCacheDataTypeE1ELb0EEEvPT_PKS3_PKT0_S9_ifPKiSB_iPKfiiiSD_SD_iiiii,"axG",@progbits,_ZN4vllm25paged_attention_v1_kernelI14__hip_bfloat16hLi80ELi8ELi128ELNS_18Fp8KVCacheDataTypeE1ELb0EEEvPT_PKS3_PKT0_S9_ifPKiSB_iPKfiiiSD_SD_iiiii,comdat
.Lfunc_end315:
	.size	_ZN4vllm25paged_attention_v1_kernelI14__hip_bfloat16hLi80ELi8ELi128ELNS_18Fp8KVCacheDataTypeE1ELb0EEEvPT_PKS3_PKT0_S9_ifPKiSB_iPKfiiiSD_SD_iiiii, .Lfunc_end315-_ZN4vllm25paged_attention_v1_kernelI14__hip_bfloat16hLi80ELi8ELi128ELNS_18Fp8KVCacheDataTypeE1ELb0EEEvPT_PKS3_PKT0_S9_ifPKiSB_iPKfiiiSD_SD_iiiii
                                        ; -- End function
	.set _ZN4vllm25paged_attention_v1_kernelI14__hip_bfloat16hLi80ELi8ELi128ELNS_18Fp8KVCacheDataTypeE1ELb0EEEvPT_PKS3_PKT0_S9_ifPKiSB_iPKfiiiSD_SD_iiiii.num_vgpr, 60
	.set _ZN4vllm25paged_attention_v1_kernelI14__hip_bfloat16hLi80ELi8ELi128ELNS_18Fp8KVCacheDataTypeE1ELb0EEEvPT_PKS3_PKT0_S9_ifPKiSB_iPKfiiiSD_SD_iiiii.num_agpr, 0
	.set _ZN4vllm25paged_attention_v1_kernelI14__hip_bfloat16hLi80ELi8ELi128ELNS_18Fp8KVCacheDataTypeE1ELb0EEEvPT_PKS3_PKT0_S9_ifPKiSB_iPKfiiiSD_SD_iiiii.numbered_sgpr, 31
	.set _ZN4vllm25paged_attention_v1_kernelI14__hip_bfloat16hLi80ELi8ELi128ELNS_18Fp8KVCacheDataTypeE1ELb0EEEvPT_PKS3_PKT0_S9_ifPKiSB_iPKfiiiSD_SD_iiiii.num_named_barrier, 0
	.set _ZN4vllm25paged_attention_v1_kernelI14__hip_bfloat16hLi80ELi8ELi128ELNS_18Fp8KVCacheDataTypeE1ELb0EEEvPT_PKS3_PKT0_S9_ifPKiSB_iPKfiiiSD_SD_iiiii.private_seg_size, 0
	.set _ZN4vllm25paged_attention_v1_kernelI14__hip_bfloat16hLi80ELi8ELi128ELNS_18Fp8KVCacheDataTypeE1ELb0EEEvPT_PKS3_PKT0_S9_ifPKiSB_iPKfiiiSD_SD_iiiii.uses_vcc, 1
	.set _ZN4vllm25paged_attention_v1_kernelI14__hip_bfloat16hLi80ELi8ELi128ELNS_18Fp8KVCacheDataTypeE1ELb0EEEvPT_PKS3_PKT0_S9_ifPKiSB_iPKfiiiSD_SD_iiiii.uses_flat_scratch, 0
	.set _ZN4vllm25paged_attention_v1_kernelI14__hip_bfloat16hLi80ELi8ELi128ELNS_18Fp8KVCacheDataTypeE1ELb0EEEvPT_PKS3_PKT0_S9_ifPKiSB_iPKfiiiSD_SD_iiiii.has_dyn_sized_stack, 0
	.set _ZN4vllm25paged_attention_v1_kernelI14__hip_bfloat16hLi80ELi8ELi128ELNS_18Fp8KVCacheDataTypeE1ELb0EEEvPT_PKS3_PKT0_S9_ifPKiSB_iPKfiiiSD_SD_iiiii.has_recursion, 0
	.set _ZN4vllm25paged_attention_v1_kernelI14__hip_bfloat16hLi80ELi8ELi128ELNS_18Fp8KVCacheDataTypeE1ELb0EEEvPT_PKS3_PKT0_S9_ifPKiSB_iPKfiiiSD_SD_iiiii.has_indirect_call, 0
	.section	.AMDGPU.csdata,"",@progbits
; Kernel info:
; codeLenInByte = 15492
; TotalNumSgprs: 33
; NumVgprs: 60
; ScratchSize: 0
; MemoryBound: 0
; FloatMode: 240
; IeeeMode: 1
; LDSByteSize: 192 bytes/workgroup (compile time only)
; SGPRBlocks: 0
; VGPRBlocks: 3
; NumSGPRsForWavesPerEU: 33
; NumVGPRsForWavesPerEU: 60
; NamedBarCnt: 0
; Occupancy: 16
; WaveLimiterHint : 1
; COMPUTE_PGM_RSRC2:SCRATCH_EN: 0
; COMPUTE_PGM_RSRC2:USER_SGPR: 2
; COMPUTE_PGM_RSRC2:TRAP_HANDLER: 0
; COMPUTE_PGM_RSRC2:TGID_X_EN: 1
; COMPUTE_PGM_RSRC2:TGID_Y_EN: 1
; COMPUTE_PGM_RSRC2:TGID_Z_EN: 1
; COMPUTE_PGM_RSRC2:TIDIG_COMP_CNT: 0
	.section	.text._ZN4vllm25paged_attention_v1_kernelI14__hip_bfloat16hLi96ELi8ELi128ELNS_18Fp8KVCacheDataTypeE1ELb0EEEvPT_PKS3_PKT0_S9_ifPKiSB_iPKfiiiSD_SD_iiiii,"axG",@progbits,_ZN4vllm25paged_attention_v1_kernelI14__hip_bfloat16hLi96ELi8ELi128ELNS_18Fp8KVCacheDataTypeE1ELb0EEEvPT_PKS3_PKT0_S9_ifPKiSB_iPKfiiiSD_SD_iiiii,comdat
	.protected	_ZN4vllm25paged_attention_v1_kernelI14__hip_bfloat16hLi96ELi8ELi128ELNS_18Fp8KVCacheDataTypeE1ELb0EEEvPT_PKS3_PKT0_S9_ifPKiSB_iPKfiiiSD_SD_iiiii ; -- Begin function _ZN4vllm25paged_attention_v1_kernelI14__hip_bfloat16hLi96ELi8ELi128ELNS_18Fp8KVCacheDataTypeE1ELb0EEEvPT_PKS3_PKT0_S9_ifPKiSB_iPKfiiiSD_SD_iiiii
	.globl	_ZN4vllm25paged_attention_v1_kernelI14__hip_bfloat16hLi96ELi8ELi128ELNS_18Fp8KVCacheDataTypeE1ELb0EEEvPT_PKS3_PKT0_S9_ifPKiSB_iPKfiiiSD_SD_iiiii
	.p2align	8
	.type	_ZN4vllm25paged_attention_v1_kernelI14__hip_bfloat16hLi96ELi8ELi128ELNS_18Fp8KVCacheDataTypeE1ELb0EEEvPT_PKS3_PKT0_S9_ifPKiSB_iPKfiiiSD_SD_iiiii,@function
_ZN4vllm25paged_attention_v1_kernelI14__hip_bfloat16hLi96ELi8ELi128ELNS_18Fp8KVCacheDataTypeE1ELb0EEEvPT_PKS3_PKT0_S9_ifPKiSB_iPKfiiiSD_SD_iiiii: ; @_ZN4vllm25paged_attention_v1_kernelI14__hip_bfloat16hLi96ELi8ELi128ELNS_18Fp8KVCacheDataTypeE1ELb0EEEvPT_PKS3_PKT0_S9_ifPKiSB_iPKfiiiSD_SD_iiiii
; %bb.0:
	s_load_b64 s[18:19], s[0:1], 0x20
	s_bfe_u32 s3, ttmp6, 0x4000c
	s_bfe_u32 s5, ttmp6, 0x40010
	s_and_b32 s4, ttmp7, 0xffff
	s_add_co_i32 s3, s3, 1
	s_add_co_i32 s5, s5, 1
	s_and_b32 s2, ttmp6, 15
	s_bfe_u32 s6, ttmp6, 0x40004
	s_mul_i32 s3, ttmp9, s3
	s_mul_i32 s5, s4, s5
	s_getreg_b32 s20, hwreg(HW_REG_IB_STS2, 6, 4)
	s_add_co_i32 s2, s2, s3
	s_add_co_i32 s3, s6, s5
	s_cmp_eq_u32 s20, 0
	s_clause 0x1
	s_load_b32 s21, s[0:1], 0x80
	s_load_b64 s[6:7], s[0:1], 0x30
	s_cselect_b32 s22, s4, s3
	s_cselect_b32 s4, ttmp9, s2
	s_wait_kmcnt 0x0
	s_abs_i32 s2, s18
	s_delay_alu instid0(SALU_CYCLE_1) | instskip(SKIP_1) | instid1(SALU_CYCLE_2)
	s_cvt_f32_u32 s3, s2
	s_sub_co_i32 s5, 0, s2
	v_rcp_iflag_f32_e32 v1, s3
	s_abs_i32 s8, s21
	v_nop
	s_delay_alu instid0(TRANS32_DEP_1) | instskip(SKIP_1) | instid1(SALU_CYCLE_3)
	v_readfirstlane_b32 s3, v1
	s_mul_f32 s3, s3, 0x4f7ffffe
	s_cvt_u32_f32 s3, s3
	s_delay_alu instid0(SALU_CYCLE_3) | instskip(NEXT) | instid1(SALU_CYCLE_1)
	s_mul_i32 s5, s5, s3
	s_mul_hi_u32 s5, s3, s5
	s_delay_alu instid0(SALU_CYCLE_1) | instskip(SKIP_4) | instid1(SALU_CYCLE_1)
	s_add_co_i32 s3, s3, s5
	s_xor_b32 s5, s21, s18
	s_mul_hi_u32 s3, s8, s3
	s_ashr_i32 s5, s5, 31
	s_mul_i32 s9, s3, s2
	s_sub_co_i32 s8, s8, s9
	s_add_co_i32 s9, s3, 1
	s_sub_co_i32 s10, s8, s2
	s_cmp_ge_u32 s8, s2
	s_cselect_b32 s3, s9, s3
	s_cselect_b32 s8, s10, s8
	s_add_co_i32 s9, s3, 1
	s_cmp_ge_u32 s8, s2
	s_cselect_b32 s2, s9, s3
	s_load_b64 s[8:9], s[0:1], 0x40
	s_xor_b32 s2, s2, s5
	s_mov_b32 s3, 0
	s_sub_co_i32 s14, s2, s5
	s_mov_b32 s13, s3
	s_abs_i32 s11, s14
	s_mov_b32 s18, s3
	s_cvt_f32_u32 s2, s11
	s_delay_alu instid0(SALU_CYCLE_3) | instskip(SKIP_1) | instid1(TRANS32_DEP_1)
	v_rcp_iflag_f32_e32 v1, s2
	v_nop
	v_readfirstlane_b32 s2, v1
	s_mul_f32 s2, s2, 0x4f7ffffe
	s_delay_alu instid0(SALU_CYCLE_3) | instskip(SKIP_1) | instid1(SALU_CYCLE_2)
	s_cvt_u32_f32 s5, s2
	s_sub_co_i32 s2, 0, s11
	s_mul_i32 s2, s2, s5
	s_delay_alu instid0(SALU_CYCLE_1)
	s_mul_hi_u32 s10, s5, s2
	s_abs_i32 s2, s4
	s_add_co_i32 s12, s5, s10
	s_wait_kmcnt 0x0
	s_cmp_eq_u64 s[8:9], 0
	s_cbranch_scc1 .LBB316_2
; %bb.1:
	s_ashr_i32 s5, s4, 31
	s_delay_alu instid0(SALU_CYCLE_1) | instskip(NEXT) | instid1(SALU_CYCLE_1)
	s_lshl_b64 s[16:17], s[4:5], 2
	s_add_nc_u64 s[8:9], s[8:9], s[16:17]
	s_load_b32 s18, s[8:9], 0x0
.LBB316_2:
	s_load_b32 s23, s[6:7], s22 offset:0x0 scale_offset
	s_wait_xcnt 0x0
	s_load_b96 s[8:10], s[0:1], 0x48
	v_and_b32_e32 v4, 3, v0
	s_ashr_i32 s5, s4, 31
	s_ashr_i32 s14, s14, 31
	s_mul_u64 s[6:7], s[2:3], s[12:13]
	s_mul_i32 s12, s4, 0x60
	s_mov_b32 s3, exec_lo
	v_cmpx_gt_u32_e32 48, v0
	s_cbranch_execz .LBB316_4
; %bb.3:
	s_load_b64 s[16:17], s[0:1], 0x8
	s_wait_kmcnt 0x0
	s_mul_i32 s24, s8, s22
	s_ashr_i32 s13, s12, 31
	s_ashr_i32 s25, s24, 31
	v_and_b32_e32 v2, 0x3fc, v0
	s_lshl_b64 s[24:25], s[24:25], 1
	s_delay_alu instid0(VALU_DEP_1) | instskip(SKIP_2) | instid1(SALU_CYCLE_1)
	v_mad_u32_u24 v2, v4, 48, v2
	s_add_nc_u64 s[16:17], s[16:17], s[24:25]
	s_lshl_b64 s[24:25], s[12:13], 1
	s_add_nc_u64 s[16:17], s[16:17], s[24:25]
	global_load_b32 v1, v0, s[16:17] scale_offset
	s_wait_loadcnt 0x0
	ds_store_b32 v2, v1
.LBB316_4:
	s_or_b32 exec_lo, exec_lo, s3
	s_wait_kmcnt 0x0
	s_add_co_i32 s3, s23, 7
	s_load_b32 s4, s[0:1], 0x38
	s_ashr_i32 s6, s3, 31
	s_mul_i32 s8, s7, s11
	s_lshr_b32 s6, s6, 29
	s_sub_co_i32 s2, s2, s8
	s_add_co_i32 s3, s3, s6
	s_xor_b32 s5, s5, s14
	s_ashr_i32 s13, s3, 3
	s_add_co_i32 s3, s7, 1
	s_sub_co_i32 s6, s2, s11
	s_cmp_ge_u32 s2, s11
	v_lshrrev_b32_e32 v1, 5, v0
	s_cselect_b32 s3, s3, s7
	s_cselect_b32 s2, s6, s2
	s_add_co_i32 s6, s3, 1
	s_cmp_ge_u32 s2, s11
	v_mbcnt_lo_u32_b32 v10, -1, 0
	s_cselect_b32 s2, s6, s3
	s_wait_dscnt 0x0
	s_xor_b32 s2, s2, s5
	s_wait_kmcnt 0x0
	s_mul_i32 s14, s4, s22
	s_sub_co_i32 s3, s2, s5
	v_cmp_gt_i32_e64 s2, s13, v1
	s_ashr_i32 s15, s14, 31
	s_mov_b32 s4, exec_lo
	s_barrier_signal -1
	s_barrier_wait -1
                                        ; implicit-def: $vgpr3
                                        ; implicit-def: $vgpr11
	v_cmpx_le_i32_e64 s13, v1
	s_xor_b32 s4, exec_lo, s4
; %bb.5:
	v_dual_mov_b32 v3, 0 :: v_dual_mov_b32 v11, 32
	v_mbcnt_lo_u32_b32 v10, -1, 0
                                        ; implicit-def: $vgpr4
; %bb.6:
	s_or_saveexec_b32 s24, s4
	s_clause 0x2
	s_load_b32 s8, s[0:1], 0x88
	s_load_b64 s[16:17], s[0:1], 0x28
	s_load_b128 s[4:7], s[0:1], 0x58
	v_dual_mov_b32 v35, 0xff7fffff :: v_dual_lshrrev_b32 v16, 3, v0
	s_mul_i32 s10, s3, s10
	s_xor_b32 exec_lo, exec_lo, s24
	s_cbranch_execz .LBB316_204
; %bb.7:
	v_mul_u32_u24_e32 v5, 48, v4
	s_load_b64 s[26:27], s[0:1], 0x10
	v_bfe_u32 v42, v0, 2, 3
	v_mov_b32_e32 v3, 0
	s_ashr_i32 s11, s10, 31
	ds_load_b128 v[32:35], v5 offset:32
	ds_load_b128 v[6:9], v5
	ds_load_b128 v[26:29], v5 offset:16
	v_lshlrev_b32_e32 v2, 4, v42
	s_wait_kmcnt 0x0
	s_load_b32 s5, s[4:5], 0x0
	s_cmp_neq_f32 s18, 0
	s_mov_b32 s25, s9
	v_xor_b32_e32 v5, 2, v10
	s_cselect_b32 s3, -1, 0
	s_delay_alu instid0(VALU_DEP_1)
	v_cmp_gt_i32_e32 vcc_lo, 32, v5
	s_add_nc_u64 s[26:27], s[26:27], s[10:11]
	s_mov_b32 s11, 0
	v_add_nc_u64_e32 v[40:41], s[26:27], v[2:3]
	s_wait_dscnt 0x2
	v_dual_lshlrev_b32 v2, 1, v4 :: v_dual_lshlrev_b32 v31, 16, v33
	s_wait_dscnt 0x1
	v_lshlrev_b32_e32 v12, 16, v6
	v_and_b32_e32 v13, 0xffff0000, v6
	v_dual_cndmask_b32 v5, v10, v5, vcc_lo :: v_dual_bitop2_b32 v6, 1, v10 bitop3:0x14
	v_dual_lshlrev_b32 v14, 16, v7 :: v_dual_lshlrev_b32 v17, 16, v8
	v_and_b32_e32 v15, 0xffff0000, v7
	s_delay_alu instid0(VALU_DEP_3)
	v_cmp_gt_i32_e32 vcc_lo, 32, v6
	v_mov_b32_e32 v11, 32
	s_lshl_b64 s[26:27], s[14:15], 2
	v_and_b32_e32 v18, 0xffff0000, v8
	s_add_nc_u64 s[26:27], s[16:17], s[26:27]
	s_wait_dscnt 0x0
	v_dual_lshlrev_b32 v19, 16, v9 :: v_dual_lshlrev_b32 v21, 16, v26
	v_dual_cndmask_b32 v6, v10, v6, vcc_lo :: v_dual_lshlrev_b32 v38, 2, v5
	v_lshlrev_b32_e32 v7, 2, v42
	v_cmp_eq_u32_e32 vcc_lo, 0, v4
	v_add_nc_u64_e32 v[4:5], v[40:41], v[2:3]
	s_delay_alu instid0(VALU_DEP_4)
	v_lshlrev_b32_e32 v39, 2, v6
	v_and_b32_e32 v2, 0x7c, v16
	v_lshl_or_b32 v6, v1, 5, v7
	v_and_b32_e32 v20, 0xffff0000, v9
	v_and_b32_e32 v22, 0xffff0000, v26
	v_dual_lshlrev_b32 v23, 16, v27 :: v_dual_lshlrev_b32 v25, 16, v28
	s_delay_alu instid0(VALU_DEP_4)
	v_add_nc_u32_e32 v41, 0xe0, v6
	v_add_nc_u64_e32 v[6:7], s[26:27], v[2:3]
	v_and_b32_e32 v24, 0xffff0000, v27
	v_and_b32_e32 v26, 0xffff0000, v28
	v_lshlrev_b32_e32 v27, 16, v29
	v_and_b32_e32 v28, 0xffff0000, v29
	v_lshlrev_b32_e32 v29, 16, v32
	v_and_b32_e32 v30, 0xffff0000, v32
	v_and_b32_e32 v32, 0xffff0000, v33
	v_dual_lshlrev_b32 v33, 16, v34 :: v_dual_lshlrev_b32 v36, 16, v35
	v_and_b32_e32 v34, 0xffff0000, v34
	v_and_b32_e32 v37, 0xffff0000, v35
	v_lshl_or_b32 v40, v1, 3, v42
	v_dual_mov_b32 v35, 0xff7fffff :: v_dual_mov_b32 v42, v1
	s_sub_co_i32 s26, 1, s23
	s_branch .LBB316_9
.LBB316_8:                              ;   in Loop: Header=BB316_9 Depth=1
	s_or_b32 exec_lo, exec_lo, s27
	v_dual_add_nc_u32 v42, 4, v42 :: v_dual_add_nc_u32 v40, 32, v40
	v_add_nc_u64_e32 v[6:7], 16, v[6:7]
	v_add_nc_u32_e32 v41, 0x80, v41
	s_delay_alu instid0(VALU_DEP_3) | instskip(SKIP_1) | instid1(SALU_CYCLE_1)
	v_cmp_le_i32_e64 s4, s13, v42
	s_or_b32 s11, s4, s11
	s_and_not1_b32 exec_lo, exec_lo, s11
	s_cbranch_execz .LBB316_203
.LBB316_9:                              ; =>This Inner Loop Header: Depth=1
	global_load_b32 v2, v[6:7], off
	v_mov_b32_e32 v43, 0
	s_wait_loadcnt_dscnt 0x0
	v_mad_nc_i64_i32 v[8:9], v2, s25, v[4:5]
	global_load_u16 v2, v[8:9], off
	s_wait_loadcnt 0x0
	v_and_b32_e32 v44, 0xff, v2
	v_and_b32_e32 v45, 0xffff, v2
	s_delay_alu instid0(VALU_DEP_2)
	v_cmp_ne_u16_e64 s4, 0, v44
	v_mov_b32_e32 v44, 0
	s_wait_xcnt 0x0
	s_and_saveexec_b32 s27, s4
	s_cbranch_execz .LBB316_17
; %bb.10:                               ;   in Loop: Header=BB316_9 Depth=1
	v_and_b32_e32 v2, 0xff, v45
	v_bfrev_b32_e32 v44, 1
	s_mov_b32 s28, exec_lo
	s_delay_alu instid0(VALU_DEP_2)
	v_cmpx_ne_u16_e32 0x80, v2
	s_cbranch_execz .LBB316_16
; %bb.11:                               ;   in Loop: Header=BB316_9 Depth=1
	v_and_b32_e32 v46, 0x7f, v45
	v_mov_b32_e32 v44, 0x7f800001
	s_mov_b32 s29, exec_lo
	s_delay_alu instid0(VALU_DEP_2)
	v_cmpx_ne_u32_e32 0x7f, v46
	s_cbranch_execz .LBB316_15
; %bb.12:                               ;   in Loop: Header=BB316_9 Depth=1
	v_dual_lshrrev_b32 v44, 3, v46 :: v_dual_bitop2_b32 v2, 7, v45 bitop3:0x40
	s_mov_b32 s30, exec_lo
	v_cmpx_gt_u32_e32 8, v46
; %bb.13:                               ;   in Loop: Header=BB316_9 Depth=1
	s_delay_alu instid0(VALU_DEP_2) | instskip(NEXT) | instid1(VALU_DEP_1)
	v_clz_i32_u32_e32 v44, v2
	v_min_u32_e32 v44, 32, v44
	s_delay_alu instid0(VALU_DEP_1) | instskip(NEXT) | instid1(VALU_DEP_1)
	v_subrev_nc_u32_e32 v46, 28, v44
	v_lshlrev_b64_e32 v[46:47], v46, v[2:3]
	s_delay_alu instid0(VALU_DEP_1)
	v_dual_sub_nc_u32 v44, 29, v44 :: v_dual_bitop2_b32 v2, 7, v46 bitop3:0x40
; %bb.14:                               ;   in Loop: Header=BB316_9 Depth=1
	s_or_b32 exec_lo, exec_lo, s30
	s_delay_alu instid0(VALU_DEP_1) | instskip(NEXT) | instid1(VALU_DEP_2)
	v_dual_lshlrev_b32 v46, 24, v45 :: v_dual_lshlrev_b32 v2, 20, v2
	v_lshl_add_u32 v44, v44, 23, 0x3c000000
	s_delay_alu instid0(VALU_DEP_2) | instskip(NEXT) | instid1(VALU_DEP_1)
	v_and_b32_e32 v46, 0x80000000, v46
	v_or3_b32 v44, v2, v46, v44
.LBB316_15:                             ;   in Loop: Header=BB316_9 Depth=1
	s_or_b32 exec_lo, exec_lo, s29
.LBB316_16:                             ;   in Loop: Header=BB316_9 Depth=1
	s_delay_alu instid0(SALU_CYCLE_1)
	s_or_b32 exec_lo, exec_lo, s28
.LBB316_17:                             ;   in Loop: Header=BB316_9 Depth=1
	s_delay_alu instid0(SALU_CYCLE_1) | instskip(SKIP_2) | instid1(VALU_DEP_1)
	s_or_b32 exec_lo, exec_lo, s27
	v_lshrrev_b16 v2, 8, v45
	s_mov_b32 s27, exec_lo
	v_cmpx_ne_u16_e32 0, v2
	s_cbranch_execz .LBB316_25
; %bb.18:                               ;   in Loop: Header=BB316_9 Depth=1
	v_bfrev_b32_e32 v43, 1
	s_mov_b32 s28, exec_lo
	v_cmpx_ne_u16_e32 0x80, v2
	s_cbranch_execz .LBB316_24
; %bb.19:                               ;   in Loop: Header=BB316_9 Depth=1
	v_and_b32_e32 v2, 0xffff, v2
	v_mov_b32_e32 v43, 0x7f800001
	s_mov_b32 s29, exec_lo
	s_delay_alu instid0(VALU_DEP_2) | instskip(NEXT) | instid1(VALU_DEP_1)
	v_and_b32_e32 v46, 0x7f, v2
	v_cmpx_ne_u32_e32 0x7f, v46
	s_cbranch_execz .LBB316_23
; %bb.20:                               ;   in Loop: Header=BB316_9 Depth=1
	v_and_b32_e32 v2, 7, v2
	v_lshrrev_b32_e32 v43, 3, v46
	s_mov_b32 s30, exec_lo
	v_cmpx_gt_u32_e32 8, v46
; %bb.21:                               ;   in Loop: Header=BB316_9 Depth=1
	s_delay_alu instid0(VALU_DEP_3) | instskip(NEXT) | instid1(VALU_DEP_1)
	v_clz_i32_u32_e32 v43, v2
	v_min_u32_e32 v43, 32, v43
	s_delay_alu instid0(VALU_DEP_1) | instskip(NEXT) | instid1(VALU_DEP_1)
	v_subrev_nc_u32_e32 v46, 28, v43
	v_lshlrev_b64_e32 v[46:47], v46, v[2:3]
	s_delay_alu instid0(VALU_DEP_1)
	v_dual_sub_nc_u32 v43, 29, v43 :: v_dual_bitop2_b32 v2, 7, v46 bitop3:0x40
; %bb.22:                               ;   in Loop: Header=BB316_9 Depth=1
	s_or_b32 exec_lo, exec_lo, s30
	s_delay_alu instid0(VALU_DEP_1) | instskip(NEXT) | instid1(VALU_DEP_2)
	v_dual_lshlrev_b32 v45, 16, v45 :: v_dual_lshlrev_b32 v2, 20, v2
	v_lshl_add_u32 v43, v43, 23, 0x3c000000
	s_delay_alu instid0(VALU_DEP_2) | instskip(NEXT) | instid1(VALU_DEP_1)
	v_and_b32_e32 v45, 0x80000000, v45
	v_or3_b32 v43, v2, v45, v43
.LBB316_23:                             ;   in Loop: Header=BB316_9 Depth=1
	s_or_b32 exec_lo, exec_lo, s29
.LBB316_24:                             ;   in Loop: Header=BB316_9 Depth=1
	s_delay_alu instid0(SALU_CYCLE_1)
	s_or_b32 exec_lo, exec_lo, s28
.LBB316_25:                             ;   in Loop: Header=BB316_9 Depth=1
	s_delay_alu instid0(SALU_CYCLE_1)
	s_or_b32 exec_lo, exec_lo, s27
	global_load_u16 v2, v[8:9], off offset:8
	v_mov_b32_e32 v45, 0
	s_wait_loadcnt 0x0
	v_and_b32_e32 v46, 0xff, v2
	v_and_b32_e32 v47, 0xffff, v2
	s_delay_alu instid0(VALU_DEP_2)
	v_cmp_ne_u16_e64 s4, 0, v46
	v_mov_b32_e32 v46, 0
	s_and_saveexec_b32 s27, s4
	s_cbranch_execz .LBB316_33
; %bb.26:                               ;   in Loop: Header=BB316_9 Depth=1
	v_and_b32_e32 v2, 0xff, v47
	v_bfrev_b32_e32 v46, 1
	s_mov_b32 s28, exec_lo
	s_delay_alu instid0(VALU_DEP_2)
	v_cmpx_ne_u16_e32 0x80, v2
	s_cbranch_execz .LBB316_32
; %bb.27:                               ;   in Loop: Header=BB316_9 Depth=1
	v_and_b32_e32 v48, 0x7f, v47
	v_mov_b32_e32 v46, 0x7f800001
	s_mov_b32 s29, exec_lo
	s_delay_alu instid0(VALU_DEP_2)
	v_cmpx_ne_u32_e32 0x7f, v48
	s_cbranch_execz .LBB316_31
; %bb.28:                               ;   in Loop: Header=BB316_9 Depth=1
	v_dual_lshrrev_b32 v46, 3, v48 :: v_dual_bitop2_b32 v2, 7, v47 bitop3:0x40
	s_mov_b32 s30, exec_lo
	v_cmpx_gt_u32_e32 8, v48
; %bb.29:                               ;   in Loop: Header=BB316_9 Depth=1
	s_delay_alu instid0(VALU_DEP_2) | instskip(NEXT) | instid1(VALU_DEP_1)
	v_clz_i32_u32_e32 v46, v2
	v_min_u32_e32 v46, 32, v46
	s_delay_alu instid0(VALU_DEP_1) | instskip(NEXT) | instid1(VALU_DEP_1)
	v_subrev_nc_u32_e32 v48, 28, v46
	v_lshlrev_b64_e32 v[48:49], v48, v[2:3]
	s_delay_alu instid0(VALU_DEP_1)
	v_dual_sub_nc_u32 v46, 29, v46 :: v_dual_bitop2_b32 v2, 7, v48 bitop3:0x40
; %bb.30:                               ;   in Loop: Header=BB316_9 Depth=1
	s_or_b32 exec_lo, exec_lo, s30
	s_delay_alu instid0(VALU_DEP_1) | instskip(NEXT) | instid1(VALU_DEP_2)
	v_dual_lshlrev_b32 v48, 24, v47 :: v_dual_lshlrev_b32 v2, 20, v2
	v_lshl_add_u32 v46, v46, 23, 0x3c000000
	s_delay_alu instid0(VALU_DEP_2) | instskip(NEXT) | instid1(VALU_DEP_1)
	v_and_b32_e32 v48, 0x80000000, v48
	v_or3_b32 v46, v2, v48, v46
.LBB316_31:                             ;   in Loop: Header=BB316_9 Depth=1
	s_or_b32 exec_lo, exec_lo, s29
.LBB316_32:                             ;   in Loop: Header=BB316_9 Depth=1
	s_delay_alu instid0(SALU_CYCLE_1)
	s_or_b32 exec_lo, exec_lo, s28
.LBB316_33:                             ;   in Loop: Header=BB316_9 Depth=1
	s_delay_alu instid0(SALU_CYCLE_1) | instskip(SKIP_2) | instid1(VALU_DEP_1)
	s_or_b32 exec_lo, exec_lo, s27
	v_lshrrev_b16 v2, 8, v47
	s_mov_b32 s27, exec_lo
	v_cmpx_ne_u16_e32 0, v2
	s_cbranch_execz .LBB316_41
; %bb.34:                               ;   in Loop: Header=BB316_9 Depth=1
	v_bfrev_b32_e32 v45, 1
	s_mov_b32 s28, exec_lo
	v_cmpx_ne_u16_e32 0x80, v2
	s_cbranch_execz .LBB316_40
; %bb.35:                               ;   in Loop: Header=BB316_9 Depth=1
	v_and_b32_e32 v2, 0xffff, v2
	v_mov_b32_e32 v45, 0x7f800001
	s_mov_b32 s29, exec_lo
	s_delay_alu instid0(VALU_DEP_2) | instskip(NEXT) | instid1(VALU_DEP_1)
	v_and_b32_e32 v48, 0x7f, v2
	v_cmpx_ne_u32_e32 0x7f, v48
	s_cbranch_execz .LBB316_39
; %bb.36:                               ;   in Loop: Header=BB316_9 Depth=1
	v_dual_lshrrev_b32 v45, 3, v48 :: v_dual_bitop2_b32 v2, 7, v2 bitop3:0x40
	s_mov_b32 s30, exec_lo
	v_cmpx_gt_u32_e32 8, v48
; %bb.37:                               ;   in Loop: Header=BB316_9 Depth=1
	s_delay_alu instid0(VALU_DEP_2) | instskip(NEXT) | instid1(VALU_DEP_1)
	v_clz_i32_u32_e32 v45, v2
	v_min_u32_e32 v45, 32, v45
	s_delay_alu instid0(VALU_DEP_1) | instskip(NEXT) | instid1(VALU_DEP_1)
	v_subrev_nc_u32_e32 v48, 28, v45
	v_lshlrev_b64_e32 v[48:49], v48, v[2:3]
	s_delay_alu instid0(VALU_DEP_1)
	v_dual_sub_nc_u32 v45, 29, v45 :: v_dual_bitop2_b32 v2, 7, v48 bitop3:0x40
; %bb.38:                               ;   in Loop: Header=BB316_9 Depth=1
	s_or_b32 exec_lo, exec_lo, s30
	s_delay_alu instid0(VALU_DEP_1) | instskip(NEXT) | instid1(VALU_DEP_2)
	v_dual_lshlrev_b32 v47, 16, v47 :: v_dual_lshlrev_b32 v2, 20, v2
	v_lshl_add_u32 v45, v45, 23, 0x3c000000
	s_delay_alu instid0(VALU_DEP_2) | instskip(NEXT) | instid1(VALU_DEP_1)
	v_and_b32_e32 v47, 0x80000000, v47
	v_or3_b32 v45, v2, v47, v45
.LBB316_39:                             ;   in Loop: Header=BB316_9 Depth=1
	s_or_b32 exec_lo, exec_lo, s29
.LBB316_40:                             ;   in Loop: Header=BB316_9 Depth=1
	s_delay_alu instid0(SALU_CYCLE_1)
	s_or_b32 exec_lo, exec_lo, s28
.LBB316_41:                             ;   in Loop: Header=BB316_9 Depth=1
	s_delay_alu instid0(SALU_CYCLE_1)
	s_or_b32 exec_lo, exec_lo, s27
	global_load_u16 v2, v[8:9], off offset:128
	v_mov_b32_e32 v47, 0
	s_wait_loadcnt 0x0
	v_and_b32_e32 v48, 0xff, v2
	v_and_b32_e32 v49, 0xffff, v2
	s_delay_alu instid0(VALU_DEP_2)
	v_cmp_ne_u16_e64 s4, 0, v48
	v_mov_b32_e32 v48, 0
	s_and_saveexec_b32 s27, s4
	s_cbranch_execz .LBB316_49
; %bb.42:                               ;   in Loop: Header=BB316_9 Depth=1
	v_and_b32_e32 v2, 0xff, v49
	v_bfrev_b32_e32 v48, 1
	s_mov_b32 s28, exec_lo
	s_delay_alu instid0(VALU_DEP_2)
	v_cmpx_ne_u16_e32 0x80, v2
	s_cbranch_execz .LBB316_48
; %bb.43:                               ;   in Loop: Header=BB316_9 Depth=1
	v_and_b32_e32 v50, 0x7f, v49
	v_mov_b32_e32 v48, 0x7f800001
	s_mov_b32 s29, exec_lo
	s_delay_alu instid0(VALU_DEP_2)
	v_cmpx_ne_u32_e32 0x7f, v50
	s_cbranch_execz .LBB316_47
; %bb.44:                               ;   in Loop: Header=BB316_9 Depth=1
	v_dual_lshrrev_b32 v48, 3, v50 :: v_dual_bitop2_b32 v2, 7, v49 bitop3:0x40
	s_mov_b32 s30, exec_lo
	v_cmpx_gt_u32_e32 8, v50
; %bb.45:                               ;   in Loop: Header=BB316_9 Depth=1
	s_delay_alu instid0(VALU_DEP_2) | instskip(NEXT) | instid1(VALU_DEP_1)
	v_clz_i32_u32_e32 v48, v2
	v_min_u32_e32 v48, 32, v48
	s_delay_alu instid0(VALU_DEP_1) | instskip(NEXT) | instid1(VALU_DEP_1)
	v_subrev_nc_u32_e32 v50, 28, v48
	v_lshlrev_b64_e32 v[50:51], v50, v[2:3]
	s_delay_alu instid0(VALU_DEP_1)
	v_dual_sub_nc_u32 v48, 29, v48 :: v_dual_bitop2_b32 v2, 7, v50 bitop3:0x40
; %bb.46:                               ;   in Loop: Header=BB316_9 Depth=1
	s_or_b32 exec_lo, exec_lo, s30
	s_delay_alu instid0(VALU_DEP_1) | instskip(NEXT) | instid1(VALU_DEP_2)
	v_dual_lshlrev_b32 v50, 24, v49 :: v_dual_lshlrev_b32 v2, 20, v2
	v_lshl_add_u32 v48, v48, 23, 0x3c000000
	s_delay_alu instid0(VALU_DEP_2) | instskip(NEXT) | instid1(VALU_DEP_1)
	v_and_b32_e32 v50, 0x80000000, v50
	v_or3_b32 v48, v2, v50, v48
.LBB316_47:                             ;   in Loop: Header=BB316_9 Depth=1
	s_or_b32 exec_lo, exec_lo, s29
.LBB316_48:                             ;   in Loop: Header=BB316_9 Depth=1
	s_delay_alu instid0(SALU_CYCLE_1)
	s_or_b32 exec_lo, exec_lo, s28
.LBB316_49:                             ;   in Loop: Header=BB316_9 Depth=1
	s_delay_alu instid0(SALU_CYCLE_1) | instskip(SKIP_2) | instid1(VALU_DEP_1)
	s_or_b32 exec_lo, exec_lo, s27
	v_lshrrev_b16 v2, 8, v49
	s_mov_b32 s27, exec_lo
	v_cmpx_ne_u16_e32 0, v2
	s_cbranch_execz .LBB316_57
; %bb.50:                               ;   in Loop: Header=BB316_9 Depth=1
	v_bfrev_b32_e32 v47, 1
	s_mov_b32 s28, exec_lo
	v_cmpx_ne_u16_e32 0x80, v2
	s_cbranch_execz .LBB316_56
; %bb.51:                               ;   in Loop: Header=BB316_9 Depth=1
	v_and_b32_e32 v2, 0xffff, v2
	v_mov_b32_e32 v47, 0x7f800001
	s_mov_b32 s29, exec_lo
	s_delay_alu instid0(VALU_DEP_2) | instskip(NEXT) | instid1(VALU_DEP_1)
	v_and_b32_e32 v50, 0x7f, v2
	v_cmpx_ne_u32_e32 0x7f, v50
	s_cbranch_execz .LBB316_55
; %bb.52:                               ;   in Loop: Header=BB316_9 Depth=1
	v_and_b32_e32 v2, 7, v2
	v_lshrrev_b32_e32 v47, 3, v50
	s_mov_b32 s30, exec_lo
	v_cmpx_gt_u32_e32 8, v50
; %bb.53:                               ;   in Loop: Header=BB316_9 Depth=1
	s_delay_alu instid0(VALU_DEP_3) | instskip(NEXT) | instid1(VALU_DEP_1)
	v_clz_i32_u32_e32 v47, v2
	v_min_u32_e32 v47, 32, v47
	s_delay_alu instid0(VALU_DEP_1) | instskip(NEXT) | instid1(VALU_DEP_1)
	v_subrev_nc_u32_e32 v50, 28, v47
	v_lshlrev_b64_e32 v[50:51], v50, v[2:3]
	s_delay_alu instid0(VALU_DEP_1)
	v_dual_sub_nc_u32 v47, 29, v47 :: v_dual_bitop2_b32 v2, 7, v50 bitop3:0x40
; %bb.54:                               ;   in Loop: Header=BB316_9 Depth=1
	s_or_b32 exec_lo, exec_lo, s30
	s_delay_alu instid0(VALU_DEP_1) | instskip(NEXT) | instid1(VALU_DEP_2)
	v_dual_lshlrev_b32 v49, 16, v49 :: v_dual_lshlrev_b32 v2, 20, v2
	v_lshl_add_u32 v47, v47, 23, 0x3c000000
	s_delay_alu instid0(VALU_DEP_2) | instskip(NEXT) | instid1(VALU_DEP_1)
	v_and_b32_e32 v49, 0x80000000, v49
	v_or3_b32 v47, v2, v49, v47
.LBB316_55:                             ;   in Loop: Header=BB316_9 Depth=1
	s_or_b32 exec_lo, exec_lo, s29
.LBB316_56:                             ;   in Loop: Header=BB316_9 Depth=1
	s_delay_alu instid0(SALU_CYCLE_1)
	s_or_b32 exec_lo, exec_lo, s28
.LBB316_57:                             ;   in Loop: Header=BB316_9 Depth=1
	s_delay_alu instid0(SALU_CYCLE_1)
	s_or_b32 exec_lo, exec_lo, s27
	global_load_u16 v2, v[8:9], off offset:136
	v_mov_b32_e32 v49, 0
	s_wait_loadcnt 0x0
	v_and_b32_e32 v50, 0xff, v2
	v_and_b32_e32 v51, 0xffff, v2
	s_delay_alu instid0(VALU_DEP_2)
	v_cmp_ne_u16_e64 s4, 0, v50
	v_mov_b32_e32 v50, 0
	s_and_saveexec_b32 s27, s4
	s_cbranch_execz .LBB316_65
; %bb.58:                               ;   in Loop: Header=BB316_9 Depth=1
	v_and_b32_e32 v2, 0xff, v51
	v_bfrev_b32_e32 v50, 1
	s_mov_b32 s28, exec_lo
	s_delay_alu instid0(VALU_DEP_2)
	v_cmpx_ne_u16_e32 0x80, v2
	s_cbranch_execz .LBB316_64
; %bb.59:                               ;   in Loop: Header=BB316_9 Depth=1
	v_and_b32_e32 v52, 0x7f, v51
	v_mov_b32_e32 v50, 0x7f800001
	s_mov_b32 s29, exec_lo
	s_delay_alu instid0(VALU_DEP_2)
	v_cmpx_ne_u32_e32 0x7f, v52
	s_cbranch_execz .LBB316_63
; %bb.60:                               ;   in Loop: Header=BB316_9 Depth=1
	v_dual_lshrrev_b32 v50, 3, v52 :: v_dual_bitop2_b32 v2, 7, v51 bitop3:0x40
	s_mov_b32 s30, exec_lo
	v_cmpx_gt_u32_e32 8, v52
; %bb.61:                               ;   in Loop: Header=BB316_9 Depth=1
	s_delay_alu instid0(VALU_DEP_2) | instskip(NEXT) | instid1(VALU_DEP_1)
	v_clz_i32_u32_e32 v50, v2
	v_min_u32_e32 v50, 32, v50
	s_delay_alu instid0(VALU_DEP_1) | instskip(NEXT) | instid1(VALU_DEP_1)
	v_subrev_nc_u32_e32 v52, 28, v50
	v_lshlrev_b64_e32 v[52:53], v52, v[2:3]
	s_delay_alu instid0(VALU_DEP_1)
	v_dual_sub_nc_u32 v50, 29, v50 :: v_dual_bitop2_b32 v2, 7, v52 bitop3:0x40
; %bb.62:                               ;   in Loop: Header=BB316_9 Depth=1
	s_or_b32 exec_lo, exec_lo, s30
	s_delay_alu instid0(VALU_DEP_1) | instskip(NEXT) | instid1(VALU_DEP_2)
	v_dual_lshlrev_b32 v52, 24, v51 :: v_dual_lshlrev_b32 v2, 20, v2
	v_lshl_add_u32 v50, v50, 23, 0x3c000000
	s_delay_alu instid0(VALU_DEP_2) | instskip(NEXT) | instid1(VALU_DEP_1)
	v_and_b32_e32 v52, 0x80000000, v52
	v_or3_b32 v50, v2, v52, v50
.LBB316_63:                             ;   in Loop: Header=BB316_9 Depth=1
	s_or_b32 exec_lo, exec_lo, s29
.LBB316_64:                             ;   in Loop: Header=BB316_9 Depth=1
	s_delay_alu instid0(SALU_CYCLE_1)
	s_or_b32 exec_lo, exec_lo, s28
.LBB316_65:                             ;   in Loop: Header=BB316_9 Depth=1
	s_delay_alu instid0(SALU_CYCLE_1) | instskip(SKIP_2) | instid1(VALU_DEP_1)
	s_or_b32 exec_lo, exec_lo, s27
	v_lshrrev_b16 v2, 8, v51
	s_mov_b32 s27, exec_lo
	v_cmpx_ne_u16_e32 0, v2
	s_cbranch_execz .LBB316_73
; %bb.66:                               ;   in Loop: Header=BB316_9 Depth=1
	v_bfrev_b32_e32 v49, 1
	s_mov_b32 s28, exec_lo
	v_cmpx_ne_u16_e32 0x80, v2
	s_cbranch_execz .LBB316_72
; %bb.67:                               ;   in Loop: Header=BB316_9 Depth=1
	v_and_b32_e32 v2, 0xffff, v2
	v_mov_b32_e32 v49, 0x7f800001
	s_mov_b32 s29, exec_lo
	s_delay_alu instid0(VALU_DEP_2) | instskip(NEXT) | instid1(VALU_DEP_1)
	v_and_b32_e32 v52, 0x7f, v2
	v_cmpx_ne_u32_e32 0x7f, v52
	s_cbranch_execz .LBB316_71
; %bb.68:                               ;   in Loop: Header=BB316_9 Depth=1
	v_dual_lshrrev_b32 v49, 3, v52 :: v_dual_bitop2_b32 v2, 7, v2 bitop3:0x40
	s_mov_b32 s30, exec_lo
	v_cmpx_gt_u32_e32 8, v52
; %bb.69:                               ;   in Loop: Header=BB316_9 Depth=1
	s_delay_alu instid0(VALU_DEP_2) | instskip(NEXT) | instid1(VALU_DEP_1)
	v_clz_i32_u32_e32 v49, v2
	v_min_u32_e32 v49, 32, v49
	s_delay_alu instid0(VALU_DEP_1) | instskip(NEXT) | instid1(VALU_DEP_1)
	v_subrev_nc_u32_e32 v52, 28, v49
	v_lshlrev_b64_e32 v[52:53], v52, v[2:3]
	s_delay_alu instid0(VALU_DEP_1)
	v_dual_sub_nc_u32 v49, 29, v49 :: v_dual_bitop2_b32 v2, 7, v52 bitop3:0x40
; %bb.70:                               ;   in Loop: Header=BB316_9 Depth=1
	s_or_b32 exec_lo, exec_lo, s30
	s_delay_alu instid0(VALU_DEP_1) | instskip(NEXT) | instid1(VALU_DEP_2)
	v_dual_lshlrev_b32 v51, 16, v51 :: v_dual_lshlrev_b32 v2, 20, v2
	v_lshl_add_u32 v49, v49, 23, 0x3c000000
	s_delay_alu instid0(VALU_DEP_2) | instskip(NEXT) | instid1(VALU_DEP_1)
	v_and_b32_e32 v51, 0x80000000, v51
	v_or3_b32 v49, v2, v51, v49
.LBB316_71:                             ;   in Loop: Header=BB316_9 Depth=1
	s_or_b32 exec_lo, exec_lo, s29
.LBB316_72:                             ;   in Loop: Header=BB316_9 Depth=1
	s_delay_alu instid0(SALU_CYCLE_1)
	s_or_b32 exec_lo, exec_lo, s28
.LBB316_73:                             ;   in Loop: Header=BB316_9 Depth=1
	s_delay_alu instid0(SALU_CYCLE_1)
	s_or_b32 exec_lo, exec_lo, s27
	global_load_u16 v2, v[8:9], off offset:256
	v_mov_b32_e32 v51, 0
	s_wait_loadcnt 0x0
	v_and_b32_e32 v52, 0xff, v2
	v_and_b32_e32 v53, 0xffff, v2
	s_delay_alu instid0(VALU_DEP_2)
	v_cmp_ne_u16_e64 s4, 0, v52
	v_mov_b32_e32 v52, 0
	s_and_saveexec_b32 s27, s4
	s_cbranch_execz .LBB316_81
; %bb.74:                               ;   in Loop: Header=BB316_9 Depth=1
	v_and_b32_e32 v2, 0xff, v53
	v_bfrev_b32_e32 v52, 1
	s_mov_b32 s28, exec_lo
	s_delay_alu instid0(VALU_DEP_2)
	v_cmpx_ne_u16_e32 0x80, v2
	s_cbranch_execz .LBB316_80
; %bb.75:                               ;   in Loop: Header=BB316_9 Depth=1
	v_and_b32_e32 v54, 0x7f, v53
	v_mov_b32_e32 v52, 0x7f800001
	s_mov_b32 s29, exec_lo
	s_delay_alu instid0(VALU_DEP_2)
	v_cmpx_ne_u32_e32 0x7f, v54
	s_cbranch_execz .LBB316_79
; %bb.76:                               ;   in Loop: Header=BB316_9 Depth=1
	v_dual_lshrrev_b32 v52, 3, v54 :: v_dual_bitop2_b32 v2, 7, v53 bitop3:0x40
	s_mov_b32 s30, exec_lo
	v_cmpx_gt_u32_e32 8, v54
; %bb.77:                               ;   in Loop: Header=BB316_9 Depth=1
	s_delay_alu instid0(VALU_DEP_2) | instskip(NEXT) | instid1(VALU_DEP_1)
	v_clz_i32_u32_e32 v52, v2
	v_min_u32_e32 v52, 32, v52
	s_delay_alu instid0(VALU_DEP_1) | instskip(NEXT) | instid1(VALU_DEP_1)
	v_subrev_nc_u32_e32 v54, 28, v52
	v_lshlrev_b64_e32 v[54:55], v54, v[2:3]
	s_delay_alu instid0(VALU_DEP_1)
	v_dual_sub_nc_u32 v52, 29, v52 :: v_dual_bitop2_b32 v2, 7, v54 bitop3:0x40
; %bb.78:                               ;   in Loop: Header=BB316_9 Depth=1
	s_or_b32 exec_lo, exec_lo, s30
	s_delay_alu instid0(VALU_DEP_1) | instskip(NEXT) | instid1(VALU_DEP_2)
	v_dual_lshlrev_b32 v54, 24, v53 :: v_dual_lshlrev_b32 v2, 20, v2
	v_lshl_add_u32 v52, v52, 23, 0x3c000000
	s_delay_alu instid0(VALU_DEP_2) | instskip(NEXT) | instid1(VALU_DEP_1)
	v_and_b32_e32 v54, 0x80000000, v54
	v_or3_b32 v52, v2, v54, v52
.LBB316_79:                             ;   in Loop: Header=BB316_9 Depth=1
	s_or_b32 exec_lo, exec_lo, s29
.LBB316_80:                             ;   in Loop: Header=BB316_9 Depth=1
	s_delay_alu instid0(SALU_CYCLE_1)
	s_or_b32 exec_lo, exec_lo, s28
.LBB316_81:                             ;   in Loop: Header=BB316_9 Depth=1
	s_delay_alu instid0(SALU_CYCLE_1) | instskip(SKIP_2) | instid1(VALU_DEP_1)
	s_or_b32 exec_lo, exec_lo, s27
	v_lshrrev_b16 v2, 8, v53
	s_mov_b32 s27, exec_lo
	v_cmpx_ne_u16_e32 0, v2
	s_cbranch_execz .LBB316_89
; %bb.82:                               ;   in Loop: Header=BB316_9 Depth=1
	v_bfrev_b32_e32 v51, 1
	s_mov_b32 s28, exec_lo
	v_cmpx_ne_u16_e32 0x80, v2
	s_cbranch_execz .LBB316_88
; %bb.83:                               ;   in Loop: Header=BB316_9 Depth=1
	v_and_b32_e32 v2, 0xffff, v2
	v_mov_b32_e32 v51, 0x7f800001
	s_mov_b32 s29, exec_lo
	s_delay_alu instid0(VALU_DEP_2) | instskip(NEXT) | instid1(VALU_DEP_1)
	v_and_b32_e32 v54, 0x7f, v2
	v_cmpx_ne_u32_e32 0x7f, v54
	s_cbranch_execz .LBB316_87
; %bb.84:                               ;   in Loop: Header=BB316_9 Depth=1
	v_and_b32_e32 v2, 7, v2
	v_lshrrev_b32_e32 v51, 3, v54
	s_mov_b32 s30, exec_lo
	v_cmpx_gt_u32_e32 8, v54
; %bb.85:                               ;   in Loop: Header=BB316_9 Depth=1
	s_delay_alu instid0(VALU_DEP_3) | instskip(NEXT) | instid1(VALU_DEP_1)
	v_clz_i32_u32_e32 v51, v2
	v_min_u32_e32 v51, 32, v51
	s_delay_alu instid0(VALU_DEP_1) | instskip(NEXT) | instid1(VALU_DEP_1)
	v_subrev_nc_u32_e32 v54, 28, v51
	v_lshlrev_b64_e32 v[54:55], v54, v[2:3]
	s_delay_alu instid0(VALU_DEP_1)
	v_dual_sub_nc_u32 v51, 29, v51 :: v_dual_bitop2_b32 v2, 7, v54 bitop3:0x40
; %bb.86:                               ;   in Loop: Header=BB316_9 Depth=1
	s_or_b32 exec_lo, exec_lo, s30
	s_delay_alu instid0(VALU_DEP_1) | instskip(NEXT) | instid1(VALU_DEP_2)
	v_dual_lshlrev_b32 v53, 16, v53 :: v_dual_lshlrev_b32 v2, 20, v2
	v_lshl_add_u32 v51, v51, 23, 0x3c000000
	s_delay_alu instid0(VALU_DEP_2) | instskip(NEXT) | instid1(VALU_DEP_1)
	v_and_b32_e32 v53, 0x80000000, v53
	v_or3_b32 v51, v2, v53, v51
.LBB316_87:                             ;   in Loop: Header=BB316_9 Depth=1
	s_or_b32 exec_lo, exec_lo, s29
.LBB316_88:                             ;   in Loop: Header=BB316_9 Depth=1
	s_delay_alu instid0(SALU_CYCLE_1)
	s_or_b32 exec_lo, exec_lo, s28
.LBB316_89:                             ;   in Loop: Header=BB316_9 Depth=1
	s_delay_alu instid0(SALU_CYCLE_1)
	s_or_b32 exec_lo, exec_lo, s27
	global_load_u16 v2, v[8:9], off offset:264
	v_mov_b32_e32 v53, 0
	s_wait_loadcnt 0x0
	v_and_b32_e32 v54, 0xff, v2
	v_and_b32_e32 v55, 0xffff, v2
	s_delay_alu instid0(VALU_DEP_2)
	v_cmp_ne_u16_e64 s4, 0, v54
	v_mov_b32_e32 v54, 0
	s_and_saveexec_b32 s27, s4
	s_cbranch_execz .LBB316_97
; %bb.90:                               ;   in Loop: Header=BB316_9 Depth=1
	v_and_b32_e32 v2, 0xff, v55
	v_bfrev_b32_e32 v54, 1
	s_mov_b32 s28, exec_lo
	s_delay_alu instid0(VALU_DEP_2)
	v_cmpx_ne_u16_e32 0x80, v2
	s_cbranch_execz .LBB316_96
; %bb.91:                               ;   in Loop: Header=BB316_9 Depth=1
	v_and_b32_e32 v56, 0x7f, v55
	v_mov_b32_e32 v54, 0x7f800001
	s_mov_b32 s29, exec_lo
	s_delay_alu instid0(VALU_DEP_2)
	v_cmpx_ne_u32_e32 0x7f, v56
	s_cbranch_execz .LBB316_95
; %bb.92:                               ;   in Loop: Header=BB316_9 Depth=1
	v_dual_lshrrev_b32 v54, 3, v56 :: v_dual_bitop2_b32 v2, 7, v55 bitop3:0x40
	s_mov_b32 s30, exec_lo
	v_cmpx_gt_u32_e32 8, v56
; %bb.93:                               ;   in Loop: Header=BB316_9 Depth=1
	s_delay_alu instid0(VALU_DEP_2) | instskip(NEXT) | instid1(VALU_DEP_1)
	v_clz_i32_u32_e32 v54, v2
	v_min_u32_e32 v54, 32, v54
	s_delay_alu instid0(VALU_DEP_1) | instskip(NEXT) | instid1(VALU_DEP_1)
	v_subrev_nc_u32_e32 v56, 28, v54
	v_lshlrev_b64_e32 v[56:57], v56, v[2:3]
	s_delay_alu instid0(VALU_DEP_1)
	v_dual_sub_nc_u32 v54, 29, v54 :: v_dual_bitop2_b32 v2, 7, v56 bitop3:0x40
; %bb.94:                               ;   in Loop: Header=BB316_9 Depth=1
	s_or_b32 exec_lo, exec_lo, s30
	s_delay_alu instid0(VALU_DEP_1) | instskip(NEXT) | instid1(VALU_DEP_2)
	v_dual_lshlrev_b32 v56, 24, v55 :: v_dual_lshlrev_b32 v2, 20, v2
	v_lshl_add_u32 v54, v54, 23, 0x3c000000
	s_delay_alu instid0(VALU_DEP_2) | instskip(NEXT) | instid1(VALU_DEP_1)
	v_and_b32_e32 v56, 0x80000000, v56
	v_or3_b32 v54, v2, v56, v54
.LBB316_95:                             ;   in Loop: Header=BB316_9 Depth=1
	s_or_b32 exec_lo, exec_lo, s29
.LBB316_96:                             ;   in Loop: Header=BB316_9 Depth=1
	s_delay_alu instid0(SALU_CYCLE_1)
	s_or_b32 exec_lo, exec_lo, s28
.LBB316_97:                             ;   in Loop: Header=BB316_9 Depth=1
	s_delay_alu instid0(SALU_CYCLE_1) | instskip(SKIP_2) | instid1(VALU_DEP_1)
	s_or_b32 exec_lo, exec_lo, s27
	v_lshrrev_b16 v2, 8, v55
	s_mov_b32 s27, exec_lo
	v_cmpx_ne_u16_e32 0, v2
	s_cbranch_execz .LBB316_105
; %bb.98:                               ;   in Loop: Header=BB316_9 Depth=1
	v_bfrev_b32_e32 v53, 1
	s_mov_b32 s28, exec_lo
	v_cmpx_ne_u16_e32 0x80, v2
	s_cbranch_execz .LBB316_104
; %bb.99:                               ;   in Loop: Header=BB316_9 Depth=1
	v_and_b32_e32 v2, 0xffff, v2
	v_mov_b32_e32 v53, 0x7f800001
	s_mov_b32 s29, exec_lo
	s_delay_alu instid0(VALU_DEP_2) | instskip(NEXT) | instid1(VALU_DEP_1)
	v_and_b32_e32 v56, 0x7f, v2
	v_cmpx_ne_u32_e32 0x7f, v56
	s_cbranch_execz .LBB316_103
; %bb.100:                              ;   in Loop: Header=BB316_9 Depth=1
	v_dual_lshrrev_b32 v53, 3, v56 :: v_dual_bitop2_b32 v2, 7, v2 bitop3:0x40
	s_mov_b32 s30, exec_lo
	v_cmpx_gt_u32_e32 8, v56
; %bb.101:                              ;   in Loop: Header=BB316_9 Depth=1
	s_delay_alu instid0(VALU_DEP_2) | instskip(NEXT) | instid1(VALU_DEP_1)
	v_clz_i32_u32_e32 v53, v2
	v_min_u32_e32 v53, 32, v53
	s_delay_alu instid0(VALU_DEP_1) | instskip(NEXT) | instid1(VALU_DEP_1)
	v_subrev_nc_u32_e32 v56, 28, v53
	v_lshlrev_b64_e32 v[56:57], v56, v[2:3]
	s_delay_alu instid0(VALU_DEP_1)
	v_dual_sub_nc_u32 v53, 29, v53 :: v_dual_bitop2_b32 v2, 7, v56 bitop3:0x40
; %bb.102:                              ;   in Loop: Header=BB316_9 Depth=1
	s_or_b32 exec_lo, exec_lo, s30
	s_delay_alu instid0(VALU_DEP_1) | instskip(NEXT) | instid1(VALU_DEP_2)
	v_dual_lshlrev_b32 v55, 16, v55 :: v_dual_lshlrev_b32 v2, 20, v2
	v_lshl_add_u32 v53, v53, 23, 0x3c000000
	s_delay_alu instid0(VALU_DEP_2) | instskip(NEXT) | instid1(VALU_DEP_1)
	v_and_b32_e32 v55, 0x80000000, v55
	v_or3_b32 v53, v2, v55, v53
.LBB316_103:                            ;   in Loop: Header=BB316_9 Depth=1
	s_or_b32 exec_lo, exec_lo, s29
.LBB316_104:                            ;   in Loop: Header=BB316_9 Depth=1
	s_delay_alu instid0(SALU_CYCLE_1)
	s_or_b32 exec_lo, exec_lo, s28
.LBB316_105:                            ;   in Loop: Header=BB316_9 Depth=1
	s_delay_alu instid0(SALU_CYCLE_1)
	s_or_b32 exec_lo, exec_lo, s27
	global_load_u16 v2, v[8:9], off offset:384
	v_mov_b32_e32 v55, 0
	s_wait_loadcnt 0x0
	v_and_b32_e32 v56, 0xff, v2
	v_and_b32_e32 v57, 0xffff, v2
	s_delay_alu instid0(VALU_DEP_2)
	v_cmp_ne_u16_e64 s4, 0, v56
	v_mov_b32_e32 v56, 0
	s_and_saveexec_b32 s27, s4
	s_cbranch_execz .LBB316_113
; %bb.106:                              ;   in Loop: Header=BB316_9 Depth=1
	v_and_b32_e32 v2, 0xff, v57
	v_bfrev_b32_e32 v56, 1
	s_mov_b32 s28, exec_lo
	s_delay_alu instid0(VALU_DEP_2)
	v_cmpx_ne_u16_e32 0x80, v2
	s_cbranch_execz .LBB316_112
; %bb.107:                              ;   in Loop: Header=BB316_9 Depth=1
	v_and_b32_e32 v58, 0x7f, v57
	v_mov_b32_e32 v56, 0x7f800001
	s_mov_b32 s29, exec_lo
	s_delay_alu instid0(VALU_DEP_2)
	v_cmpx_ne_u32_e32 0x7f, v58
	s_cbranch_execz .LBB316_111
; %bb.108:                              ;   in Loop: Header=BB316_9 Depth=1
	v_dual_lshrrev_b32 v56, 3, v58 :: v_dual_bitop2_b32 v2, 7, v57 bitop3:0x40
	s_mov_b32 s30, exec_lo
	v_cmpx_gt_u32_e32 8, v58
; %bb.109:                              ;   in Loop: Header=BB316_9 Depth=1
	s_delay_alu instid0(VALU_DEP_2) | instskip(NEXT) | instid1(VALU_DEP_1)
	v_clz_i32_u32_e32 v56, v2
	v_min_u32_e32 v56, 32, v56
	s_delay_alu instid0(VALU_DEP_1) | instskip(NEXT) | instid1(VALU_DEP_1)
	v_subrev_nc_u32_e32 v58, 28, v56
	v_lshlrev_b64_e32 v[58:59], v58, v[2:3]
	s_delay_alu instid0(VALU_DEP_1)
	v_dual_sub_nc_u32 v56, 29, v56 :: v_dual_bitop2_b32 v2, 7, v58 bitop3:0x40
; %bb.110:                              ;   in Loop: Header=BB316_9 Depth=1
	s_or_b32 exec_lo, exec_lo, s30
	s_delay_alu instid0(VALU_DEP_1) | instskip(NEXT) | instid1(VALU_DEP_2)
	v_dual_lshlrev_b32 v58, 24, v57 :: v_dual_lshlrev_b32 v2, 20, v2
	v_lshl_add_u32 v56, v56, 23, 0x3c000000
	s_delay_alu instid0(VALU_DEP_2) | instskip(NEXT) | instid1(VALU_DEP_1)
	v_and_b32_e32 v58, 0x80000000, v58
	v_or3_b32 v56, v2, v58, v56
.LBB316_111:                            ;   in Loop: Header=BB316_9 Depth=1
	s_or_b32 exec_lo, exec_lo, s29
.LBB316_112:                            ;   in Loop: Header=BB316_9 Depth=1
	s_delay_alu instid0(SALU_CYCLE_1)
	s_or_b32 exec_lo, exec_lo, s28
.LBB316_113:                            ;   in Loop: Header=BB316_9 Depth=1
	s_delay_alu instid0(SALU_CYCLE_1) | instskip(SKIP_2) | instid1(VALU_DEP_1)
	s_or_b32 exec_lo, exec_lo, s27
	v_lshrrev_b16 v2, 8, v57
	s_mov_b32 s27, exec_lo
	v_cmpx_ne_u16_e32 0, v2
	s_cbranch_execz .LBB316_121
; %bb.114:                              ;   in Loop: Header=BB316_9 Depth=1
	v_bfrev_b32_e32 v55, 1
	s_mov_b32 s28, exec_lo
	v_cmpx_ne_u16_e32 0x80, v2
	s_cbranch_execz .LBB316_120
; %bb.115:                              ;   in Loop: Header=BB316_9 Depth=1
	v_and_b32_e32 v2, 0xffff, v2
	v_mov_b32_e32 v55, 0x7f800001
	s_mov_b32 s29, exec_lo
	s_delay_alu instid0(VALU_DEP_2) | instskip(NEXT) | instid1(VALU_DEP_1)
	v_and_b32_e32 v58, 0x7f, v2
	v_cmpx_ne_u32_e32 0x7f, v58
	s_cbranch_execz .LBB316_119
; %bb.116:                              ;   in Loop: Header=BB316_9 Depth=1
	v_and_b32_e32 v2, 7, v2
	v_lshrrev_b32_e32 v55, 3, v58
	s_mov_b32 s30, exec_lo
	v_cmpx_gt_u32_e32 8, v58
; %bb.117:                              ;   in Loop: Header=BB316_9 Depth=1
	s_delay_alu instid0(VALU_DEP_3) | instskip(NEXT) | instid1(VALU_DEP_1)
	v_clz_i32_u32_e32 v55, v2
	v_min_u32_e32 v55, 32, v55
	s_delay_alu instid0(VALU_DEP_1) | instskip(NEXT) | instid1(VALU_DEP_1)
	v_subrev_nc_u32_e32 v58, 28, v55
	v_lshlrev_b64_e32 v[58:59], v58, v[2:3]
	s_delay_alu instid0(VALU_DEP_1)
	v_dual_sub_nc_u32 v55, 29, v55 :: v_dual_bitop2_b32 v2, 7, v58 bitop3:0x40
; %bb.118:                              ;   in Loop: Header=BB316_9 Depth=1
	s_or_b32 exec_lo, exec_lo, s30
	s_delay_alu instid0(VALU_DEP_1) | instskip(NEXT) | instid1(VALU_DEP_2)
	v_dual_lshlrev_b32 v57, 16, v57 :: v_dual_lshlrev_b32 v2, 20, v2
	v_lshl_add_u32 v55, v55, 23, 0x3c000000
	s_delay_alu instid0(VALU_DEP_2) | instskip(NEXT) | instid1(VALU_DEP_1)
	v_and_b32_e32 v57, 0x80000000, v57
	v_or3_b32 v55, v2, v57, v55
.LBB316_119:                            ;   in Loop: Header=BB316_9 Depth=1
	s_or_b32 exec_lo, exec_lo, s29
.LBB316_120:                            ;   in Loop: Header=BB316_9 Depth=1
	s_delay_alu instid0(SALU_CYCLE_1)
	s_or_b32 exec_lo, exec_lo, s28
.LBB316_121:                            ;   in Loop: Header=BB316_9 Depth=1
	s_delay_alu instid0(SALU_CYCLE_1)
	s_or_b32 exec_lo, exec_lo, s27
	global_load_u16 v2, v[8:9], off offset:392
	v_mov_b32_e32 v57, 0
	s_wait_loadcnt 0x0
	v_and_b32_e32 v58, 0xff, v2
	v_and_b32_e32 v59, 0xffff, v2
	s_delay_alu instid0(VALU_DEP_2)
	v_cmp_ne_u16_e64 s4, 0, v58
	v_mov_b32_e32 v58, 0
	s_and_saveexec_b32 s27, s4
	s_cbranch_execz .LBB316_129
; %bb.122:                              ;   in Loop: Header=BB316_9 Depth=1
	v_and_b32_e32 v2, 0xff, v59
	v_bfrev_b32_e32 v58, 1
	s_mov_b32 s28, exec_lo
	s_delay_alu instid0(VALU_DEP_2)
	v_cmpx_ne_u16_e32 0x80, v2
	s_cbranch_execz .LBB316_128
; %bb.123:                              ;   in Loop: Header=BB316_9 Depth=1
	v_and_b32_e32 v60, 0x7f, v59
	v_mov_b32_e32 v58, 0x7f800001
	s_mov_b32 s29, exec_lo
	s_delay_alu instid0(VALU_DEP_2)
	v_cmpx_ne_u32_e32 0x7f, v60
	s_cbranch_execz .LBB316_127
; %bb.124:                              ;   in Loop: Header=BB316_9 Depth=1
	v_dual_lshrrev_b32 v58, 3, v60 :: v_dual_bitop2_b32 v2, 7, v59 bitop3:0x40
	s_mov_b32 s30, exec_lo
	v_cmpx_gt_u32_e32 8, v60
; %bb.125:                              ;   in Loop: Header=BB316_9 Depth=1
	s_delay_alu instid0(VALU_DEP_2) | instskip(NEXT) | instid1(VALU_DEP_1)
	v_clz_i32_u32_e32 v58, v2
	v_min_u32_e32 v58, 32, v58
	s_delay_alu instid0(VALU_DEP_1) | instskip(NEXT) | instid1(VALU_DEP_1)
	v_subrev_nc_u32_e32 v60, 28, v58
	v_lshlrev_b64_e32 v[60:61], v60, v[2:3]
	s_delay_alu instid0(VALU_DEP_1)
	v_dual_sub_nc_u32 v58, 29, v58 :: v_dual_bitop2_b32 v2, 7, v60 bitop3:0x40
; %bb.126:                              ;   in Loop: Header=BB316_9 Depth=1
	s_or_b32 exec_lo, exec_lo, s30
	s_delay_alu instid0(VALU_DEP_1) | instskip(NEXT) | instid1(VALU_DEP_2)
	v_dual_lshlrev_b32 v60, 24, v59 :: v_dual_lshlrev_b32 v2, 20, v2
	v_lshl_add_u32 v58, v58, 23, 0x3c000000
	s_delay_alu instid0(VALU_DEP_2) | instskip(NEXT) | instid1(VALU_DEP_1)
	v_and_b32_e32 v60, 0x80000000, v60
	v_or3_b32 v58, v2, v60, v58
.LBB316_127:                            ;   in Loop: Header=BB316_9 Depth=1
	s_or_b32 exec_lo, exec_lo, s29
.LBB316_128:                            ;   in Loop: Header=BB316_9 Depth=1
	s_delay_alu instid0(SALU_CYCLE_1)
	s_or_b32 exec_lo, exec_lo, s28
.LBB316_129:                            ;   in Loop: Header=BB316_9 Depth=1
	s_delay_alu instid0(SALU_CYCLE_1) | instskip(SKIP_2) | instid1(VALU_DEP_1)
	s_or_b32 exec_lo, exec_lo, s27
	v_lshrrev_b16 v2, 8, v59
	s_mov_b32 s27, exec_lo
	v_cmpx_ne_u16_e32 0, v2
	s_cbranch_execz .LBB316_137
; %bb.130:                              ;   in Loop: Header=BB316_9 Depth=1
	v_bfrev_b32_e32 v57, 1
	s_mov_b32 s28, exec_lo
	v_cmpx_ne_u16_e32 0x80, v2
	s_cbranch_execz .LBB316_136
; %bb.131:                              ;   in Loop: Header=BB316_9 Depth=1
	v_and_b32_e32 v2, 0xffff, v2
	v_mov_b32_e32 v57, 0x7f800001
	s_mov_b32 s29, exec_lo
	s_delay_alu instid0(VALU_DEP_2) | instskip(NEXT) | instid1(VALU_DEP_1)
	v_and_b32_e32 v60, 0x7f, v2
	v_cmpx_ne_u32_e32 0x7f, v60
	s_cbranch_execz .LBB316_135
; %bb.132:                              ;   in Loop: Header=BB316_9 Depth=1
	v_dual_lshrrev_b32 v57, 3, v60 :: v_dual_bitop2_b32 v2, 7, v2 bitop3:0x40
	s_mov_b32 s30, exec_lo
	v_cmpx_gt_u32_e32 8, v60
; %bb.133:                              ;   in Loop: Header=BB316_9 Depth=1
	s_delay_alu instid0(VALU_DEP_2) | instskip(NEXT) | instid1(VALU_DEP_1)
	v_clz_i32_u32_e32 v57, v2
	v_min_u32_e32 v57, 32, v57
	s_delay_alu instid0(VALU_DEP_1) | instskip(NEXT) | instid1(VALU_DEP_1)
	v_subrev_nc_u32_e32 v60, 28, v57
	v_lshlrev_b64_e32 v[60:61], v60, v[2:3]
	s_delay_alu instid0(VALU_DEP_1)
	v_dual_sub_nc_u32 v57, 29, v57 :: v_dual_bitop2_b32 v2, 7, v60 bitop3:0x40
; %bb.134:                              ;   in Loop: Header=BB316_9 Depth=1
	s_or_b32 exec_lo, exec_lo, s30
	s_delay_alu instid0(VALU_DEP_1) | instskip(NEXT) | instid1(VALU_DEP_2)
	v_dual_lshlrev_b32 v59, 16, v59 :: v_dual_lshlrev_b32 v2, 20, v2
	v_lshl_add_u32 v57, v57, 23, 0x3c000000
	s_delay_alu instid0(VALU_DEP_2) | instskip(NEXT) | instid1(VALU_DEP_1)
	v_and_b32_e32 v59, 0x80000000, v59
	v_or3_b32 v57, v2, v59, v57
.LBB316_135:                            ;   in Loop: Header=BB316_9 Depth=1
	s_or_b32 exec_lo, exec_lo, s29
.LBB316_136:                            ;   in Loop: Header=BB316_9 Depth=1
	s_delay_alu instid0(SALU_CYCLE_1)
	s_or_b32 exec_lo, exec_lo, s28
.LBB316_137:                            ;   in Loop: Header=BB316_9 Depth=1
	s_delay_alu instid0(SALU_CYCLE_1)
	s_or_b32 exec_lo, exec_lo, s27
	global_load_u16 v2, v[8:9], off offset:512
	v_mov_b32_e32 v59, 0
	s_wait_loadcnt 0x0
	v_and_b32_e32 v60, 0xff, v2
	v_and_b32_e32 v61, 0xffff, v2
	s_delay_alu instid0(VALU_DEP_2)
	v_cmp_ne_u16_e64 s4, 0, v60
	v_mov_b32_e32 v60, 0
	s_and_saveexec_b32 s27, s4
	s_cbranch_execz .LBB316_145
; %bb.138:                              ;   in Loop: Header=BB316_9 Depth=1
	v_and_b32_e32 v2, 0xff, v61
	v_bfrev_b32_e32 v60, 1
	s_mov_b32 s28, exec_lo
	s_delay_alu instid0(VALU_DEP_2)
	v_cmpx_ne_u16_e32 0x80, v2
	s_cbranch_execz .LBB316_144
; %bb.139:                              ;   in Loop: Header=BB316_9 Depth=1
	v_and_b32_e32 v62, 0x7f, v61
	v_mov_b32_e32 v60, 0x7f800001
	s_mov_b32 s29, exec_lo
	s_delay_alu instid0(VALU_DEP_2)
	v_cmpx_ne_u32_e32 0x7f, v62
	s_cbranch_execz .LBB316_143
; %bb.140:                              ;   in Loop: Header=BB316_9 Depth=1
	v_dual_lshrrev_b32 v60, 3, v62 :: v_dual_bitop2_b32 v2, 7, v61 bitop3:0x40
	s_mov_b32 s30, exec_lo
	v_cmpx_gt_u32_e32 8, v62
; %bb.141:                              ;   in Loop: Header=BB316_9 Depth=1
	s_delay_alu instid0(VALU_DEP_2) | instskip(NEXT) | instid1(VALU_DEP_1)
	v_clz_i32_u32_e32 v60, v2
	v_min_u32_e32 v60, 32, v60
	s_delay_alu instid0(VALU_DEP_1) | instskip(NEXT) | instid1(VALU_DEP_1)
	v_subrev_nc_u32_e32 v62, 28, v60
	v_lshlrev_b64_e32 v[62:63], v62, v[2:3]
	s_delay_alu instid0(VALU_DEP_1)
	v_dual_sub_nc_u32 v60, 29, v60 :: v_dual_bitop2_b32 v2, 7, v62 bitop3:0x40
; %bb.142:                              ;   in Loop: Header=BB316_9 Depth=1
	s_or_b32 exec_lo, exec_lo, s30
	s_delay_alu instid0(VALU_DEP_1) | instskip(NEXT) | instid1(VALU_DEP_2)
	v_dual_lshlrev_b32 v62, 24, v61 :: v_dual_lshlrev_b32 v2, 20, v2
	v_lshl_add_u32 v60, v60, 23, 0x3c000000
	s_delay_alu instid0(VALU_DEP_2) | instskip(NEXT) | instid1(VALU_DEP_1)
	v_and_b32_e32 v62, 0x80000000, v62
	v_or3_b32 v60, v2, v62, v60
.LBB316_143:                            ;   in Loop: Header=BB316_9 Depth=1
	s_or_b32 exec_lo, exec_lo, s29
.LBB316_144:                            ;   in Loop: Header=BB316_9 Depth=1
	s_delay_alu instid0(SALU_CYCLE_1)
	s_or_b32 exec_lo, exec_lo, s28
.LBB316_145:                            ;   in Loop: Header=BB316_9 Depth=1
	s_delay_alu instid0(SALU_CYCLE_1) | instskip(SKIP_2) | instid1(VALU_DEP_1)
	s_or_b32 exec_lo, exec_lo, s27
	v_lshrrev_b16 v2, 8, v61
	s_mov_b32 s27, exec_lo
	v_cmpx_ne_u16_e32 0, v2
	s_cbranch_execz .LBB316_153
; %bb.146:                              ;   in Loop: Header=BB316_9 Depth=1
	v_bfrev_b32_e32 v59, 1
	s_mov_b32 s28, exec_lo
	v_cmpx_ne_u16_e32 0x80, v2
	s_cbranch_execz .LBB316_152
; %bb.147:                              ;   in Loop: Header=BB316_9 Depth=1
	v_and_b32_e32 v2, 0xffff, v2
	v_mov_b32_e32 v59, 0x7f800001
	s_mov_b32 s29, exec_lo
	s_delay_alu instid0(VALU_DEP_2) | instskip(NEXT) | instid1(VALU_DEP_1)
	v_and_b32_e32 v62, 0x7f, v2
	v_cmpx_ne_u32_e32 0x7f, v62
	s_cbranch_execz .LBB316_151
; %bb.148:                              ;   in Loop: Header=BB316_9 Depth=1
	v_and_b32_e32 v2, 7, v2
	v_lshrrev_b32_e32 v59, 3, v62
	s_mov_b32 s30, exec_lo
	v_cmpx_gt_u32_e32 8, v62
; %bb.149:                              ;   in Loop: Header=BB316_9 Depth=1
	s_delay_alu instid0(VALU_DEP_3) | instskip(NEXT) | instid1(VALU_DEP_1)
	v_clz_i32_u32_e32 v59, v2
	v_min_u32_e32 v59, 32, v59
	s_delay_alu instid0(VALU_DEP_1) | instskip(NEXT) | instid1(VALU_DEP_1)
	v_subrev_nc_u32_e32 v62, 28, v59
	v_lshlrev_b64_e32 v[62:63], v62, v[2:3]
	s_delay_alu instid0(VALU_DEP_1)
	v_dual_sub_nc_u32 v59, 29, v59 :: v_dual_bitop2_b32 v2, 7, v62 bitop3:0x40
; %bb.150:                              ;   in Loop: Header=BB316_9 Depth=1
	s_or_b32 exec_lo, exec_lo, s30
	s_delay_alu instid0(VALU_DEP_1) | instskip(NEXT) | instid1(VALU_DEP_2)
	v_dual_lshlrev_b32 v61, 16, v61 :: v_dual_lshlrev_b32 v2, 20, v2
	v_lshl_add_u32 v59, v59, 23, 0x3c000000
	s_delay_alu instid0(VALU_DEP_2) | instskip(NEXT) | instid1(VALU_DEP_1)
	v_and_b32_e32 v61, 0x80000000, v61
	v_or3_b32 v59, v2, v61, v59
.LBB316_151:                            ;   in Loop: Header=BB316_9 Depth=1
	s_or_b32 exec_lo, exec_lo, s29
.LBB316_152:                            ;   in Loop: Header=BB316_9 Depth=1
	s_delay_alu instid0(SALU_CYCLE_1)
	s_or_b32 exec_lo, exec_lo, s28
.LBB316_153:                            ;   in Loop: Header=BB316_9 Depth=1
	s_delay_alu instid0(SALU_CYCLE_1)
	s_or_b32 exec_lo, exec_lo, s27
	global_load_u16 v2, v[8:9], off offset:520
	v_mov_b32_e32 v61, 0
	s_wait_loadcnt 0x0
	v_and_b32_e32 v62, 0xff, v2
	v_and_b32_e32 v63, 0xffff, v2
	s_delay_alu instid0(VALU_DEP_2)
	v_cmp_ne_u16_e64 s4, 0, v62
	v_mov_b32_e32 v62, 0
	s_and_saveexec_b32 s27, s4
	s_cbranch_execz .LBB316_161
; %bb.154:                              ;   in Loop: Header=BB316_9 Depth=1
	v_and_b32_e32 v2, 0xff, v63
	v_bfrev_b32_e32 v62, 1
	s_mov_b32 s28, exec_lo
	s_delay_alu instid0(VALU_DEP_2)
	v_cmpx_ne_u16_e32 0x80, v2
	s_cbranch_execz .LBB316_160
; %bb.155:                              ;   in Loop: Header=BB316_9 Depth=1
	v_and_b32_e32 v64, 0x7f, v63
	v_mov_b32_e32 v62, 0x7f800001
	s_mov_b32 s29, exec_lo
	s_delay_alu instid0(VALU_DEP_2)
	v_cmpx_ne_u32_e32 0x7f, v64
	s_cbranch_execz .LBB316_159
; %bb.156:                              ;   in Loop: Header=BB316_9 Depth=1
	v_dual_lshrrev_b32 v62, 3, v64 :: v_dual_bitop2_b32 v2, 7, v63 bitop3:0x40
	s_mov_b32 s30, exec_lo
	v_cmpx_gt_u32_e32 8, v64
; %bb.157:                              ;   in Loop: Header=BB316_9 Depth=1
	s_delay_alu instid0(VALU_DEP_2) | instskip(NEXT) | instid1(VALU_DEP_1)
	v_clz_i32_u32_e32 v62, v2
	v_min_u32_e32 v62, 32, v62
	s_delay_alu instid0(VALU_DEP_1) | instskip(NEXT) | instid1(VALU_DEP_1)
	v_subrev_nc_u32_e32 v64, 28, v62
	v_lshlrev_b64_e32 v[64:65], v64, v[2:3]
	s_delay_alu instid0(VALU_DEP_1)
	v_dual_sub_nc_u32 v62, 29, v62 :: v_dual_bitop2_b32 v2, 7, v64 bitop3:0x40
; %bb.158:                              ;   in Loop: Header=BB316_9 Depth=1
	s_or_b32 exec_lo, exec_lo, s30
	s_delay_alu instid0(VALU_DEP_1) | instskip(NEXT) | instid1(VALU_DEP_2)
	v_dual_lshlrev_b32 v64, 24, v63 :: v_dual_lshlrev_b32 v2, 20, v2
	v_lshl_add_u32 v62, v62, 23, 0x3c000000
	s_delay_alu instid0(VALU_DEP_2) | instskip(NEXT) | instid1(VALU_DEP_1)
	v_and_b32_e32 v64, 0x80000000, v64
	v_or3_b32 v62, v2, v64, v62
.LBB316_159:                            ;   in Loop: Header=BB316_9 Depth=1
	s_or_b32 exec_lo, exec_lo, s29
.LBB316_160:                            ;   in Loop: Header=BB316_9 Depth=1
	s_delay_alu instid0(SALU_CYCLE_1)
	s_or_b32 exec_lo, exec_lo, s28
.LBB316_161:                            ;   in Loop: Header=BB316_9 Depth=1
	s_delay_alu instid0(SALU_CYCLE_1) | instskip(SKIP_2) | instid1(VALU_DEP_1)
	s_or_b32 exec_lo, exec_lo, s27
	v_lshrrev_b16 v2, 8, v63
	s_mov_b32 s27, exec_lo
	v_cmpx_ne_u16_e32 0, v2
	s_cbranch_execz .LBB316_169
; %bb.162:                              ;   in Loop: Header=BB316_9 Depth=1
	v_bfrev_b32_e32 v61, 1
	s_mov_b32 s28, exec_lo
	v_cmpx_ne_u16_e32 0x80, v2
	s_cbranch_execz .LBB316_168
; %bb.163:                              ;   in Loop: Header=BB316_9 Depth=1
	v_and_b32_e32 v2, 0xffff, v2
	v_mov_b32_e32 v61, 0x7f800001
	s_mov_b32 s29, exec_lo
	s_delay_alu instid0(VALU_DEP_2) | instskip(NEXT) | instid1(VALU_DEP_1)
	v_and_b32_e32 v64, 0x7f, v2
	v_cmpx_ne_u32_e32 0x7f, v64
	s_cbranch_execz .LBB316_167
; %bb.164:                              ;   in Loop: Header=BB316_9 Depth=1
	v_dual_lshrrev_b32 v61, 3, v64 :: v_dual_bitop2_b32 v2, 7, v2 bitop3:0x40
	s_mov_b32 s30, exec_lo
	v_cmpx_gt_u32_e32 8, v64
; %bb.165:                              ;   in Loop: Header=BB316_9 Depth=1
	s_delay_alu instid0(VALU_DEP_2) | instskip(NEXT) | instid1(VALU_DEP_1)
	v_clz_i32_u32_e32 v61, v2
	v_min_u32_e32 v61, 32, v61
	s_delay_alu instid0(VALU_DEP_1) | instskip(NEXT) | instid1(VALU_DEP_1)
	v_subrev_nc_u32_e32 v64, 28, v61
	v_lshlrev_b64_e32 v[64:65], v64, v[2:3]
	s_delay_alu instid0(VALU_DEP_1)
	v_dual_sub_nc_u32 v61, 29, v61 :: v_dual_bitop2_b32 v2, 7, v64 bitop3:0x40
; %bb.166:                              ;   in Loop: Header=BB316_9 Depth=1
	s_or_b32 exec_lo, exec_lo, s30
	s_delay_alu instid0(VALU_DEP_1) | instskip(NEXT) | instid1(VALU_DEP_2)
	v_dual_lshlrev_b32 v63, 16, v63 :: v_dual_lshlrev_b32 v2, 20, v2
	v_lshl_add_u32 v61, v61, 23, 0x3c000000
	s_delay_alu instid0(VALU_DEP_2) | instskip(NEXT) | instid1(VALU_DEP_1)
	v_and_b32_e32 v63, 0x80000000, v63
	v_or3_b32 v61, v2, v63, v61
.LBB316_167:                            ;   in Loop: Header=BB316_9 Depth=1
	s_or_b32 exec_lo, exec_lo, s29
.LBB316_168:                            ;   in Loop: Header=BB316_9 Depth=1
	s_delay_alu instid0(SALU_CYCLE_1)
	s_or_b32 exec_lo, exec_lo, s28
.LBB316_169:                            ;   in Loop: Header=BB316_9 Depth=1
	s_delay_alu instid0(SALU_CYCLE_1)
	s_or_b32 exec_lo, exec_lo, s27
	global_load_u16 v2, v[8:9], off offset:640
	v_mov_b32_e32 v63, 0
	s_wait_loadcnt 0x0
	v_and_b32_e32 v64, 0xff, v2
	v_and_b32_e32 v65, 0xffff, v2
	s_delay_alu instid0(VALU_DEP_2)
	v_cmp_ne_u16_e64 s4, 0, v64
	v_mov_b32_e32 v64, 0
	s_and_saveexec_b32 s27, s4
	s_cbranch_execz .LBB316_177
; %bb.170:                              ;   in Loop: Header=BB316_9 Depth=1
	v_and_b32_e32 v2, 0xff, v65
	v_bfrev_b32_e32 v64, 1
	s_mov_b32 s28, exec_lo
	s_delay_alu instid0(VALU_DEP_2)
	v_cmpx_ne_u16_e32 0x80, v2
	s_cbranch_execz .LBB316_176
; %bb.171:                              ;   in Loop: Header=BB316_9 Depth=1
	v_and_b32_e32 v66, 0x7f, v65
	v_mov_b32_e32 v64, 0x7f800001
	s_mov_b32 s29, exec_lo
	s_delay_alu instid0(VALU_DEP_2)
	v_cmpx_ne_u32_e32 0x7f, v66
	s_cbranch_execz .LBB316_175
; %bb.172:                              ;   in Loop: Header=BB316_9 Depth=1
	v_dual_lshrrev_b32 v64, 3, v66 :: v_dual_bitop2_b32 v2, 7, v65 bitop3:0x40
	s_mov_b32 s30, exec_lo
	v_cmpx_gt_u32_e32 8, v66
; %bb.173:                              ;   in Loop: Header=BB316_9 Depth=1
	s_delay_alu instid0(VALU_DEP_2) | instskip(NEXT) | instid1(VALU_DEP_1)
	v_clz_i32_u32_e32 v64, v2
	v_min_u32_e32 v64, 32, v64
	s_delay_alu instid0(VALU_DEP_1) | instskip(NEXT) | instid1(VALU_DEP_1)
	v_subrev_nc_u32_e32 v66, 28, v64
	v_lshlrev_b64_e32 v[66:67], v66, v[2:3]
	s_delay_alu instid0(VALU_DEP_1)
	v_dual_sub_nc_u32 v64, 29, v64 :: v_dual_bitop2_b32 v2, 7, v66 bitop3:0x40
; %bb.174:                              ;   in Loop: Header=BB316_9 Depth=1
	s_or_b32 exec_lo, exec_lo, s30
	s_delay_alu instid0(VALU_DEP_1) | instskip(NEXT) | instid1(VALU_DEP_2)
	v_dual_lshlrev_b32 v66, 24, v65 :: v_dual_lshlrev_b32 v2, 20, v2
	v_lshl_add_u32 v64, v64, 23, 0x3c000000
	s_delay_alu instid0(VALU_DEP_2) | instskip(NEXT) | instid1(VALU_DEP_1)
	v_and_b32_e32 v66, 0x80000000, v66
	v_or3_b32 v64, v2, v66, v64
.LBB316_175:                            ;   in Loop: Header=BB316_9 Depth=1
	s_or_b32 exec_lo, exec_lo, s29
.LBB316_176:                            ;   in Loop: Header=BB316_9 Depth=1
	s_delay_alu instid0(SALU_CYCLE_1)
	s_or_b32 exec_lo, exec_lo, s28
.LBB316_177:                            ;   in Loop: Header=BB316_9 Depth=1
	s_delay_alu instid0(SALU_CYCLE_1) | instskip(SKIP_2) | instid1(VALU_DEP_1)
	s_or_b32 exec_lo, exec_lo, s27
	v_lshrrev_b16 v2, 8, v65
	s_mov_b32 s27, exec_lo
	v_cmpx_ne_u16_e32 0, v2
	s_cbranch_execz .LBB316_185
; %bb.178:                              ;   in Loop: Header=BB316_9 Depth=1
	v_bfrev_b32_e32 v63, 1
	s_mov_b32 s28, exec_lo
	v_cmpx_ne_u16_e32 0x80, v2
	s_cbranch_execz .LBB316_184
; %bb.179:                              ;   in Loop: Header=BB316_9 Depth=1
	v_and_b32_e32 v2, 0xffff, v2
	v_mov_b32_e32 v63, 0x7f800001
	s_mov_b32 s29, exec_lo
	s_delay_alu instid0(VALU_DEP_2) | instskip(NEXT) | instid1(VALU_DEP_1)
	v_and_b32_e32 v66, 0x7f, v2
	v_cmpx_ne_u32_e32 0x7f, v66
	s_cbranch_execz .LBB316_183
; %bb.180:                              ;   in Loop: Header=BB316_9 Depth=1
	v_and_b32_e32 v2, 7, v2
	v_lshrrev_b32_e32 v63, 3, v66
	s_mov_b32 s30, exec_lo
	v_cmpx_gt_u32_e32 8, v66
; %bb.181:                              ;   in Loop: Header=BB316_9 Depth=1
	s_delay_alu instid0(VALU_DEP_3) | instskip(NEXT) | instid1(VALU_DEP_1)
	v_clz_i32_u32_e32 v63, v2
	v_min_u32_e32 v63, 32, v63
	s_delay_alu instid0(VALU_DEP_1) | instskip(NEXT) | instid1(VALU_DEP_1)
	v_subrev_nc_u32_e32 v66, 28, v63
	v_lshlrev_b64_e32 v[66:67], v66, v[2:3]
	s_delay_alu instid0(VALU_DEP_1)
	v_dual_sub_nc_u32 v63, 29, v63 :: v_dual_bitop2_b32 v2, 7, v66 bitop3:0x40
; %bb.182:                              ;   in Loop: Header=BB316_9 Depth=1
	s_or_b32 exec_lo, exec_lo, s30
	s_delay_alu instid0(VALU_DEP_1) | instskip(NEXT) | instid1(VALU_DEP_2)
	v_dual_lshlrev_b32 v65, 16, v65 :: v_dual_lshlrev_b32 v2, 20, v2
	v_lshl_add_u32 v63, v63, 23, 0x3c000000
	s_delay_alu instid0(VALU_DEP_2) | instskip(NEXT) | instid1(VALU_DEP_1)
	v_and_b32_e32 v65, 0x80000000, v65
	v_or3_b32 v63, v2, v65, v63
.LBB316_183:                            ;   in Loop: Header=BB316_9 Depth=1
	s_or_b32 exec_lo, exec_lo, s29
.LBB316_184:                            ;   in Loop: Header=BB316_9 Depth=1
	s_delay_alu instid0(SALU_CYCLE_1)
	s_or_b32 exec_lo, exec_lo, s28
.LBB316_185:                            ;   in Loop: Header=BB316_9 Depth=1
	s_delay_alu instid0(SALU_CYCLE_1)
	s_or_b32 exec_lo, exec_lo, s27
	global_load_u16 v2, v[8:9], off offset:648
	s_wait_xcnt 0x0
	v_mov_b32_e32 v8, 0
	s_wait_loadcnt 0x0
	v_and_b32_e32 v9, 0xff, v2
	v_and_b32_e32 v65, 0xffff, v2
	s_delay_alu instid0(VALU_DEP_2)
	v_cmp_ne_u16_e64 s4, 0, v9
	v_mov_b32_e32 v9, 0
	s_and_saveexec_b32 s27, s4
	s_cbranch_execz .LBB316_193
; %bb.186:                              ;   in Loop: Header=BB316_9 Depth=1
	v_and_b32_e32 v2, 0xff, v65
	v_bfrev_b32_e32 v9, 1
	s_mov_b32 s28, exec_lo
	s_delay_alu instid0(VALU_DEP_2)
	v_cmpx_ne_u16_e32 0x80, v2
	s_cbranch_execz .LBB316_192
; %bb.187:                              ;   in Loop: Header=BB316_9 Depth=1
	v_and_b32_e32 v66, 0x7f, v65
	v_mov_b32_e32 v9, 0x7f800001
	s_mov_b32 s29, exec_lo
	s_delay_alu instid0(VALU_DEP_2)
	v_cmpx_ne_u32_e32 0x7f, v66
	s_cbranch_execz .LBB316_191
; %bb.188:                              ;   in Loop: Header=BB316_9 Depth=1
	v_dual_lshrrev_b32 v9, 3, v66 :: v_dual_bitop2_b32 v2, 7, v65 bitop3:0x40
	s_mov_b32 s30, exec_lo
	v_cmpx_gt_u32_e32 8, v66
; %bb.189:                              ;   in Loop: Header=BB316_9 Depth=1
	s_delay_alu instid0(VALU_DEP_2) | instskip(NEXT) | instid1(VALU_DEP_1)
	v_clz_i32_u32_e32 v9, v2
	v_min_u32_e32 v9, 32, v9
	s_delay_alu instid0(VALU_DEP_1) | instskip(NEXT) | instid1(VALU_DEP_1)
	v_subrev_nc_u32_e32 v66, 28, v9
	v_lshlrev_b64_e32 v[66:67], v66, v[2:3]
	s_delay_alu instid0(VALU_DEP_1)
	v_dual_sub_nc_u32 v9, 29, v9 :: v_dual_bitop2_b32 v2, 7, v66 bitop3:0x40
; %bb.190:                              ;   in Loop: Header=BB316_9 Depth=1
	s_or_b32 exec_lo, exec_lo, s30
	s_delay_alu instid0(VALU_DEP_1) | instskip(NEXT) | instid1(VALU_DEP_2)
	v_dual_lshlrev_b32 v66, 24, v65 :: v_dual_lshlrev_b32 v2, 20, v2
	v_lshl_add_u32 v9, v9, 23, 0x3c000000
	s_delay_alu instid0(VALU_DEP_2) | instskip(NEXT) | instid1(VALU_DEP_1)
	v_and_b32_e32 v66, 0x80000000, v66
	v_or3_b32 v9, v2, v66, v9
.LBB316_191:                            ;   in Loop: Header=BB316_9 Depth=1
	s_or_b32 exec_lo, exec_lo, s29
.LBB316_192:                            ;   in Loop: Header=BB316_9 Depth=1
	s_delay_alu instid0(SALU_CYCLE_1)
	s_or_b32 exec_lo, exec_lo, s28
.LBB316_193:                            ;   in Loop: Header=BB316_9 Depth=1
	s_delay_alu instid0(SALU_CYCLE_1) | instskip(SKIP_2) | instid1(VALU_DEP_1)
	s_or_b32 exec_lo, exec_lo, s27
	v_lshrrev_b16 v2, 8, v65
	s_mov_b32 s27, exec_lo
	v_cmpx_ne_u16_e32 0, v2
	s_cbranch_execz .LBB316_201
; %bb.194:                              ;   in Loop: Header=BB316_9 Depth=1
	v_bfrev_b32_e32 v8, 1
	s_mov_b32 s28, exec_lo
	v_cmpx_ne_u16_e32 0x80, v2
	s_cbranch_execz .LBB316_200
; %bb.195:                              ;   in Loop: Header=BB316_9 Depth=1
	v_and_b32_e32 v2, 0xffff, v2
	v_mov_b32_e32 v8, 0x7f800001
	s_mov_b32 s29, exec_lo
	s_delay_alu instid0(VALU_DEP_2) | instskip(NEXT) | instid1(VALU_DEP_1)
	v_and_b32_e32 v66, 0x7f, v2
	v_cmpx_ne_u32_e32 0x7f, v66
	s_cbranch_execz .LBB316_199
; %bb.196:                              ;   in Loop: Header=BB316_9 Depth=1
	v_and_b32_e32 v2, 7, v2
	v_lshrrev_b32_e32 v8, 3, v66
	s_mov_b32 s30, exec_lo
	v_cmpx_gt_u32_e32 8, v66
; %bb.197:                              ;   in Loop: Header=BB316_9 Depth=1
	s_delay_alu instid0(VALU_DEP_3) | instskip(NEXT) | instid1(VALU_DEP_1)
	v_clz_i32_u32_e32 v8, v2
	v_min_u32_e32 v8, 32, v8
	s_delay_alu instid0(VALU_DEP_1) | instskip(NEXT) | instid1(VALU_DEP_1)
	v_subrev_nc_u32_e32 v66, 28, v8
	v_lshlrev_b64_e32 v[66:67], v66, v[2:3]
	s_delay_alu instid0(VALU_DEP_1)
	v_dual_sub_nc_u32 v8, 29, v8 :: v_dual_bitop2_b32 v2, 7, v66 bitop3:0x40
; %bb.198:                              ;   in Loop: Header=BB316_9 Depth=1
	s_or_b32 exec_lo, exec_lo, s30
	s_delay_alu instid0(VALU_DEP_1) | instskip(NEXT) | instid1(VALU_DEP_2)
	v_dual_lshlrev_b32 v65, 16, v65 :: v_dual_lshlrev_b32 v2, 20, v2
	v_lshl_add_u32 v8, v8, 23, 0x3c000000
	s_delay_alu instid0(VALU_DEP_2) | instskip(NEXT) | instid1(VALU_DEP_1)
	v_and_b32_e32 v65, 0x80000000, v65
	v_or3_b32 v8, v2, v65, v8
.LBB316_199:                            ;   in Loop: Header=BB316_9 Depth=1
	s_or_b32 exec_lo, exec_lo, s29
.LBB316_200:                            ;   in Loop: Header=BB316_9 Depth=1
	s_delay_alu instid0(SALU_CYCLE_1)
	s_or_b32 exec_lo, exec_lo, s28
.LBB316_201:                            ;   in Loop: Header=BB316_9 Depth=1
	s_delay_alu instid0(SALU_CYCLE_1)
	s_or_b32 exec_lo, exec_lo, s27
	s_wait_kmcnt 0x0
	v_fma_mixlo_bf16 v2, s5, v46, 0
	v_fma_mixlo_bf16 v45, s5, v45, 0
	;; [unrolled: 1-line block ×5, first 2 shown]
	s_delay_alu instid0(VALU_DEP_4) | instskip(SKIP_3) | instid1(VALU_DEP_4)
	v_dual_lshlrev_b32 v2, 16, v2 :: v_dual_lshlrev_b32 v45, 16, v45
	v_fma_mixlo_bf16 v47, s5, v48, 0
	v_fma_mixlo_bf16 v9, s5, v9, 0
	;; [unrolled: 1-line block ×3, first 2 shown]
	v_dual_mul_f32 v2, v14, v2 :: v_dual_mul_f32 v45, v15, v45
	s_delay_alu instid0(VALU_DEP_1) | instskip(NEXT) | instid1(VALU_DEP_2)
	v_fma_mix_f32_bf16 v2, v12, v44, v2 op_sel_hi:[0,1,0]
	v_fma_mix_f32_bf16 v43, v13, v43, v45 op_sel_hi:[0,1,0]
	v_fma_mixlo_bf16 v44, s5, v49, 0
	v_fma_mixlo_bf16 v45, s5, v50, 0
	s_delay_alu instid0(VALU_DEP_4) | instskip(NEXT) | instid1(VALU_DEP_4)
	v_fma_mix_f32_bf16 v2, v17, v47, v2 op_sel_hi:[0,1,0]
	v_fma_mix_f32_bf16 v43, v18, v46, v43 op_sel_hi:[0,1,0]
	v_fma_mixlo_bf16 v46, s5, v51, 0
	v_fma_mixlo_bf16 v47, s5, v52, 0
	s_delay_alu instid0(VALU_DEP_4) | instskip(NEXT) | instid1(VALU_DEP_4)
	;; [unrolled: 5-line block ×8, first 2 shown]
	v_fma_mix_f32_bf16 v2, v31, v45, v2 op_sel_hi:[0,1,0]
	v_fma_mix_f32_bf16 v43, v32, v44, v43 op_sel_hi:[0,1,0]
	s_delay_alu instid0(VALU_DEP_2) | instskip(NEXT) | instid1(VALU_DEP_2)
	v_fma_mix_f32_bf16 v2, v33, v47, v2 op_sel_hi:[0,1,0]
	v_fma_mix_f32_bf16 v43, v34, v46, v43 op_sel_hi:[0,1,0]
	s_delay_alu instid0(VALU_DEP_2) | instskip(NEXT) | instid1(VALU_DEP_2)
	v_fma_mix_f32_bf16 v2, v36, v9, v2 op_sel_hi:[0,1,0]
	v_fma_mix_f32_bf16 v8, v37, v8, v43 op_sel_hi:[0,1,0]
	s_delay_alu instid0(VALU_DEP_1)
	v_add_f32_e32 v2, v2, v8
	ds_bpermute_b32 v8, v38, v2
	s_wait_dscnt 0x0
	v_add_f32_e32 v2, v2, v8
	ds_bpermute_b32 v8, v39, v2
	s_and_saveexec_b32 s27, vcc_lo
	s_cbranch_execz .LBB316_8
; %bb.202:                              ;   in Loop: Header=BB316_9 Depth=1
	s_wait_dscnt 0x0
	v_add_f32_e32 v2, v2, v8
	v_add_nc_u32_e32 v9, s26, v40
	v_cmp_gt_i32_e64 s4, s23, v40
	s_delay_alu instid0(VALU_DEP_2) | instskip(NEXT) | instid1(VALU_DEP_1)
	v_cvt_f32_i32_e32 v9, v9
	v_mul_f32_e32 v9, s18, v9
	s_delay_alu instid0(VALU_DEP_1) | instskip(NEXT) | instid1(VALU_DEP_1)
	v_dual_cndmask_b32 v8, 0, v9, s3 :: v_dual_max_num_f32 v9, v35, v35
	v_fmac_f32_e32 v8, s19, v2
	s_delay_alu instid0(VALU_DEP_1) | instskip(NEXT) | instid1(VALU_DEP_1)
	v_dual_max_num_f32 v2, v9, v8 :: v_dual_cndmask_b32 v8, 0, v8, s4
	v_cndmask_b32_e64 v35, v35, v2, s4
	ds_store_b32 v41, v8
	s_branch .LBB316_8
.LBB316_203:
	s_or_b32 exec_lo, exec_lo, s11
.LBB316_204:
	s_delay_alu instid0(SALU_CYCLE_1)
	s_or_b32 exec_lo, exec_lo, s24
	v_dual_max_num_f32 v6, v35, v35 :: v_dual_bitop2_b32 v2, 16, v10 bitop3:0x14
	v_xor_b32_e32 v5, 8, v10
	s_wait_kmcnt 0x0
	s_clause 0x1
	s_load_b64 s[4:5], s[0:1], 0x0
	s_load_b64 s[18:19], s[0:1], 0x18
	v_and_b32_e32 v24, 31, v0
	v_cmp_lt_i32_e32 vcc_lo, v2, v11
	v_cndmask_b32_e32 v2, v10, v2, vcc_lo
	v_cmp_lt_i32_e32 vcc_lo, v5, v11
	s_delay_alu instid0(VALU_DEP_2) | instskip(SKIP_3) | instid1(VALU_DEP_1)
	v_dual_cndmask_b32 v5, v10, v5 :: v_dual_lshlrev_b32 v2, 2, v2
	ds_bpermute_b32 v4, v2, v35
	s_wait_dscnt 0x0
	v_dual_max_num_f32 v7, v4, v4 :: v_dual_lshlrev_b32 v4, 2, v5
	v_dual_max_num_f32 v5, v6, v7 :: v_dual_bitop2_b32 v7, 4, v10 bitop3:0x14
	ds_bpermute_b32 v6, v4, v5
	s_wait_dscnt 0x0
	v_max_num_f32_e32 v6, v6, v6
	s_delay_alu instid0(VALU_DEP_1) | instskip(SKIP_3) | instid1(VALU_DEP_2)
	v_dual_max_num_f32 v6, v5, v6 :: v_dual_lshlrev_b32 v5, 2, v1
	v_cmp_lt_i32_e32 vcc_lo, v7, v11
	v_cndmask_b32_e32 v7, v10, v7, vcc_lo
	v_cmp_eq_u32_e32 vcc_lo, 0, v24
	v_lshlrev_b32_e32 v7, 2, v7
	ds_bpermute_b32 v8, v7, v6
	s_wait_xcnt 0x0
	s_and_saveexec_b32 s0, vcc_lo
	s_cbranch_execz .LBB316_206
; %bb.205:
	s_wait_dscnt 0x0
	v_dual_max_num_f32 v8, v8, v8 :: v_dual_max_num_f32 v6, v6, v6
	s_delay_alu instid0(VALU_DEP_1)
	v_max_num_f32_e32 v6, v6, v8
	ds_store_b32 v5, v6 offset:192
.LBB316_206:
	s_or_b32 exec_lo, exec_lo, s0
	v_cmp_gt_u32_e64 s0, 4, v24
	v_dual_mov_b32 v9, 0xff7fffff :: v_dual_lshlrev_b32 v6, 2, v24
	s_wait_dscnt 0x0
	s_barrier_signal -1
	s_barrier_wait -1
	s_and_saveexec_b32 s1, s0
; %bb.207:
	ds_load_b32 v9, v6 offset:192
; %bb.208:
	s_or_b32 exec_lo, exec_lo, s1
	s_wait_dscnt 0x0
	v_dual_max_num_f32 v14, v9, v9 :: v_dual_bitop2_b32 v8, 2, v10 bitop3:0x14
	v_dual_lshlrev_b32 v3, 2, v3 :: v_dual_bitop2_b32 v13, 1, v10 bitop3:0x14
	s_delay_alu instid0(VALU_DEP_2) | instskip(NEXT) | instid1(VALU_DEP_1)
	v_cmp_lt_i32_e64 s1, v8, v11
	v_cndmask_b32_e64 v8, v10, v8, s1
	s_delay_alu instid0(VALU_DEP_3) | instskip(NEXT) | instid1(VALU_DEP_2)
	v_cmp_lt_i32_e64 s1, v13, v11
	v_lshlrev_b32_e32 v8, 2, v8
	ds_bpermute_b32 v12, v8, v9
	v_cndmask_b32_e64 v9, v10, v13, s1
	s_lshl_b32 s1, s13, 3
	s_delay_alu instid0(SALU_CYCLE_1) | instskip(NEXT) | instid1(VALU_DEP_1)
	s_min_i32 s11, s1, s23
	v_lshlrev_b32_e32 v9, 2, v9
	v_cmp_gt_i32_e64 s1, s11, v0
	s_wait_dscnt 0x0
	v_max_num_f32_e32 v11, v12, v12
	s_delay_alu instid0(VALU_DEP_1) | instskip(SKIP_3) | instid1(VALU_DEP_1)
	v_max_num_f32_e32 v11, v14, v11
	ds_bpermute_b32 v12, v9, v11
	s_wait_dscnt 0x0
	v_max_num_f32_e32 v12, v12, v12
	v_max_num_f32_e32 v11, v11, v12
	ds_bpermute_b32 v11, v3, v11
	v_mov_b32_e32 v3, 0
	s_and_saveexec_b32 s24, s1
	s_cbranch_execz .LBB316_212
; %bb.209:
	v_lshl_add_u32 v12, v0, 2, 0xe0
	v_dual_mov_b32 v3, 0 :: v_dual_mov_b32 v13, v0
	s_mov_b32 s25, 0
.LBB316_210:                            ; =>This Inner Loop Header: Depth=1
	ds_load_b32 v14, v12
	v_add_nc_u32_e32 v13, 0x80, v13
	s_delay_alu instid0(VALU_DEP_1) | instskip(SKIP_3) | instid1(VALU_DEP_1)
	v_cmp_le_i32_e64 s3, s11, v13
	s_or_b32 s25, s3, s25
	s_wait_dscnt 0x0
	v_sub_f32_e32 v14, v14, v11
	v_mul_f32_e32 v14, 0x3fb8aa3b, v14
	s_delay_alu instid0(VALU_DEP_1)
	v_exp_f32_e32 v14, v14
	ds_store_b32 v12, v14
	v_nop
	v_dual_add_f32 v3, v3, v14 :: v_dual_add_nc_u32 v12, 0x200, v12
	s_and_not1_b32 exec_lo, exec_lo, s25
	s_cbranch_execnz .LBB316_210
; %bb.211:
	s_or_b32 exec_lo, exec_lo, s25
.LBB316_212:
	s_delay_alu instid0(SALU_CYCLE_1)
	s_or_b32 exec_lo, exec_lo, s24
	ds_bpermute_b32 v2, v2, v3
	s_wait_dscnt 0x0
	v_add_f32_e32 v2, v3, v2
	ds_bpermute_b32 v3, v4, v2
	s_wait_dscnt 0x0
	v_add_f32_e32 v2, v2, v3
	;; [unrolled: 3-line block ×5, first 2 shown]
	s_and_saveexec_b32 s3, vcc_lo
; %bb.213:
	ds_store_b32 v5, v2 offset:208
; %bb.214:
	s_or_b32 exec_lo, exec_lo, s3
	s_wait_dscnt 0x0
	s_barrier_signal -1
	s_barrier_wait -1
	s_and_saveexec_b32 s3, s0
; %bb.215:
	ds_load_b32 v2, v6 offset:208
; %bb.216:
	s_or_b32 exec_lo, exec_lo, s3
	s_wait_dscnt 0x0
	ds_bpermute_b32 v3, v8, v2
	s_wait_dscnt 0x0
	v_dual_lshlrev_b32 v4, 2, v10 :: v_dual_add_f32 v2, v2, v3
	ds_bpermute_b32 v3, v9, v2
	s_wait_dscnt 0x0
	v_add_f32_e32 v2, v2, v3
	v_and_b32_e32 v3, 0xffffff80, v4
	ds_bpermute_b32 v2, v3, v2
	s_and_saveexec_b32 s0, s1
	s_cbranch_execz .LBB316_229
; %bb.217:
	s_wait_dscnt 0x0
	v_add_f32_e32 v2, 0x358637bd, v2
	s_mov_b32 s3, -1
	s_mov_b32 s1, exec_lo
	s_delay_alu instid0(VALU_DEP_1) | instskip(NEXT) | instid1(VALU_DEP_1)
	v_div_scale_f32 v3, null, v2, v2, 1.0
	v_rcp_f32_e32 v5, v3
	v_nop
	s_delay_alu instid0(TRANS32_DEP_1) | instskip(NEXT) | instid1(VALU_DEP_1)
	v_fma_f32 v4, -v3, v5, 1.0
	v_fmac_f32_e32 v5, v4, v5
	v_div_scale_f32 v6, vcc_lo, 1.0, v2, 1.0
	s_delay_alu instid0(VALU_DEP_1) | instskip(NEXT) | instid1(VALU_DEP_1)
	v_mul_f32_e32 v7, v6, v5
	v_fma_f32 v4, -v3, v7, v6
	s_delay_alu instid0(VALU_DEP_1) | instskip(SKIP_1) | instid1(VALU_DEP_2)
	v_fmac_f32_e32 v7, v4, v5
	v_xad_u32 v4, v0, -1, s11
	v_fma_f32 v3, -v3, v7, v6
	s_delay_alu instid0(VALU_DEP_1) | instskip(NEXT) | instid1(VALU_DEP_1)
	v_div_fmas_f32 v3, v3, v5, v7
	v_div_fixup_f32 v2, v3, v2, 1.0
	v_mov_b32_e32 v3, v0
	v_cmpx_lt_u32_e32 0x7f, v4
	s_cbranch_execz .LBB316_226
; %bb.218:
	s_delay_alu instid0(VALU_DEP_3) | instskip(NEXT) | instid1(VALU_DEP_1)
	v_dual_mov_b32 v3, v2 :: v_dual_lshrrev_b32 v4, 7, v4
	v_dual_mov_b32 v8, 0 :: v_dual_add_nc_u32 v5, -1, v4
	s_delay_alu instid0(VALU_DEP_1) | instskip(SKIP_1) | instid1(VALU_DEP_2)
	v_lshrrev_b32_e32 v6, 1, v5
	v_cmp_lt_u32_e32 vcc_lo, 13, v5
	v_add_nc_u32_e32 v5, 1, v6
	s_and_saveexec_b32 s3, vcc_lo
	s_cbranch_execz .LBB316_222
; %bb.219:
	s_delay_alu instid0(VALU_DEP_1)
	v_and_b32_e32 v6, -8, v5
	v_lshl_add_u32 v7, v0, 2, 0xe0
	s_mov_b32 s24, 0
	s_mov_b32 s25, 0
.LBB316_220:                            ; =>This Inner Loop Header: Depth=1
	ds_load_2addr_stride64_b32 v[8:9], v7 offset1:2
	ds_load_2addr_stride64_b32 v[10:11], v7 offset0:4 offset1:6
	ds_load_2addr_stride64_b32 v[12:13], v7 offset0:8 offset1:10
	;; [unrolled: 1-line block ×7, first 2 shown]
	s_add_co_i32 s25, s25, 16
	v_add_nc_u32_e32 v6, -8, v6
	s_wait_dscnt 0x7
	v_pk_mul_f32 v[8:9], v[2:3], v[8:9]
	s_wait_dscnt 0x6
	v_pk_mul_f32 v[10:11], v[2:3], v[10:11]
	;; [unrolled: 2-line block ×8, first 2 shown]
	ds_store_2addr_stride64_b32 v7, v8, v9 offset1:2
	ds_store_2addr_stride64_b32 v7, v10, v11 offset0:4 offset1:6
	ds_store_2addr_stride64_b32 v7, v12, v13 offset0:8 offset1:10
	;; [unrolled: 1-line block ×7, first 2 shown]
	v_mov_b32_e32 v8, s25
	v_cmp_eq_u32_e32 vcc_lo, 0, v6
	v_add_nc_u32_e32 v7, 0x2000, v7
	s_or_b32 s24, vcc_lo, s24
	s_delay_alu instid0(SALU_CYCLE_1)
	s_and_not1_b32 exec_lo, exec_lo, s24
	s_cbranch_execnz .LBB316_220
; %bb.221:
	s_or_b32 exec_lo, exec_lo, s24
.LBB316_222:
	s_delay_alu instid0(SALU_CYCLE_1) | instskip(NEXT) | instid1(VALU_DEP_1)
	s_or_b32 exec_lo, exec_lo, s3
	v_and_b32_e32 v5, 7, v5
	s_mov_b32 s24, 0
	s_mov_b32 s3, exec_lo
	s_delay_alu instid0(VALU_DEP_1)
	v_cmpx_ne_u32_e32 0, v5
	s_cbranch_execz .LBB316_225
; %bb.223:
	v_lshlrev_b32_e32 v6, 9, v8
	v_lshlrev_b32_e32 v7, 2, v0
	s_delay_alu instid0(VALU_DEP_1)
	v_add3_u32 v6, v6, v7, 0xe0
.LBB316_224:                            ; =>This Inner Loop Header: Depth=1
	ds_load_2addr_stride64_b32 v[8:9], v6 offset1:2
	v_add_nc_u32_e32 v5, -1, v5
	s_delay_alu instid0(VALU_DEP_1)
	v_cmp_eq_u32_e32 vcc_lo, 0, v5
	s_or_b32 s24, vcc_lo, s24
	s_wait_dscnt 0x0
	v_pk_mul_f32 v[8:9], v[2:3], v[8:9]
	ds_store_2addr_stride64_b32 v6, v8, v9 offset1:2
	v_add_nc_u32_e32 v6, 0x400, v6
	s_and_not1_b32 exec_lo, exec_lo, s24
	s_cbranch_execnz .LBB316_224
.LBB316_225:
	s_or_b32 exec_lo, exec_lo, s3
	v_add_nc_u32_e32 v3, 1, v4
	s_delay_alu instid0(VALU_DEP_1) | instskip(NEXT) | instid1(VALU_DEP_1)
	v_and_b32_e32 v4, 0x3fffffe, v3
	v_cmp_ne_u32_e32 vcc_lo, v3, v4
	v_lshl_add_u32 v3, v4, 7, v0
	s_or_not1_b32 s3, vcc_lo, exec_lo
.LBB316_226:
	s_or_b32 exec_lo, exec_lo, s1
	s_delay_alu instid0(SALU_CYCLE_1)
	s_and_b32 exec_lo, exec_lo, s3
	s_cbranch_execz .LBB316_229
; %bb.227:
	v_lshl_add_u32 v4, v3, 2, 0xe0
	s_mov_b32 s1, 0
.LBB316_228:                            ; =>This Inner Loop Header: Depth=1
	ds_load_b32 v5, v4
	v_add_nc_u32_e32 v3, 0x80, v3
	s_delay_alu instid0(VALU_DEP_1)
	v_cmp_le_i32_e32 vcc_lo, s11, v3
	s_or_b32 s1, vcc_lo, s1
	s_wait_dscnt 0x0
	v_mul_f32_e32 v5, v2, v5
	ds_store_b32 v4, v5
	v_add_nc_u32_e32 v4, 0x200, v4
	s_and_not1_b32 exec_lo, exec_lo, s1
	s_cbranch_execnz .LBB316_228
.LBB316_229:
	s_or_b32 exec_lo, exec_lo, s0
	v_mov_b64_e32 v[10:11], 0
	v_mov_b32_e32 v25, 0
	s_wait_dscnt 0x0
	s_barrier_signal -1
	s_barrier_wait -1
	s_and_saveexec_b32 s1, s2
	s_cbranch_execz .LBB316_419
; %bb.230:
	s_load_b32 s6, s[6:7], 0x0
	v_dual_mov_b32 v13, 0 :: v_dual_lshlrev_b32 v12, 3, v24
	s_ashr_i32 s11, s10, 31
	v_lshl_or_b32 v26, v1, 3, 7
	s_wait_kmcnt 0x0
	s_add_nc_u64 s[2:3], s[18:19], s[10:11]
	v_lshl_add_u32 v27, v1, 5, 0xe0
	v_add_nc_u64_e32 v[14:15], s[2:3], v[12:13]
	v_and_b32_e32 v12, 0x7c, v16
	s_lshl_b64 s[2:3], s[14:15], 2
	v_dual_mov_b32 v25, 0 :: v_dual_mov_b32 v11, 0
	s_add_nc_u64 s[2:3], s[16:17], s[2:3]
	v_dual_mov_b32 v10, 0 :: v_dual_mov_b32 v28, v1
	v_add_nc_u64_e32 v[16:17], s[2:3], v[12:13]
	s_mov_b64 s[2:3], 0xffffffffffffff
	s_mov_b32 s7, s9
	s_add_co_i32 s10, s13, -1
	s_mov_b32 s9, 0
	s_branch .LBB316_232
.LBB316_231:                            ;   in Loop: Header=BB316_232 Depth=1
	s_or_b32 exec_lo, exec_lo, s0
	s_wait_dscnt 0x1
	v_cvt_pk_bf16_f32 v6, v6, v7
	v_perm_b32 v7, v48, v49, 0x5040100
	v_cvt_pk_bf16_f32 v8, v8, v9
	v_perm_b32 v9, v46, v47, 0x5040100
	s_wait_dscnt 0x0
	v_cvt_pk_bf16_f32 v2, v2, v3
	v_cvt_pk_bf16_f32 v3, v4, v5
	v_pk_mul_bf16 v7, v6, v7
	v_perm_b32 v22, v22, v23, 0x5040100
	v_pk_mul_bf16 v9, v8, v9
	v_perm_b32 v23, v45, v44, 0x5040100
	v_perm_b32 v35, v35, v36, 0x5040100
	v_lshlrev_b32_e32 v4, 16, v7
	v_and_b32_e32 v5, 0xffff0000, v7
	v_lshlrev_b32_e32 v7, 16, v9
	v_and_b32_e32 v9, 0xffff0000, v9
	v_add_nc_u64_e32 v[16:17], 16, v[16:17]
	s_delay_alu instid0(VALU_DEP_4) | instskip(SKIP_1) | instid1(VALU_DEP_4)
	v_dual_add_nc_u32 v26, 32, v26 :: v_dual_add_f32 v4, v4, v5
	v_add_nc_u32_e32 v27, 0x80, v27
	v_add_f32_e32 v5, v7, v9
	v_perm_b32 v7, v33, v34, 0x5040100
	v_pk_mul_bf16 v9, v2, v22
	v_pk_mul_bf16 v22, v3, v23
	;; [unrolled: 1-line block ×3, first 2 shown]
	v_add_f32_e32 v33, v5, v4
	v_pk_mul_bf16 v4, v8, v7
	v_lshlrev_b32_e32 v5, 16, v9
	v_and_b32_e32 v7, 0xffff0000, v9
	v_lshlrev_b32_e32 v9, 16, v23
	v_and_b32_e32 v23, 0xffff0000, v23
	;; [unrolled: 2-line block ×3, first 2 shown]
	v_add_f32_e32 v35, v5, v7
	v_perm_b32 v7, v32, v31, 0x5040100
	v_dual_add_f32 v9, v9, v23 :: v_dual_lshlrev_b32 v23, 16, v22
	s_delay_alu instid0(VALU_DEP_4) | instskip(SKIP_1) | instid1(VALU_DEP_4)
	v_add_f32_e32 v4, v34, v4
	v_perm_b32 v5, v29, v30, 0x5040100
	v_pk_mul_bf16 v29, v3, v7
	v_perm_b32 v7, v20, v52, 0x5040100
	v_and_b32_e32 v22, 0xffff0000, v22
	v_add_f32_e32 v30, v4, v9
	v_perm_b32 v4, v51, v50, 0x5040100
	v_pk_mul_bf16 v5, v2, v5
	v_perm_b32 v9, v12, v18, 0x5040100
	v_perm_b32 v12, v21, v19, 0x5040100
	v_and_b32_e32 v19, 0xffff0000, v29
	v_pk_mul_bf16 v4, v6, v4
	v_pk_mul_bf16 v6, v8, v7
	v_lshlrev_b32_e32 v31, 16, v5
	v_and_b32_e32 v18, 0xffff0000, v5
	v_pk_mul_bf16 v8, v2, v9
	v_pk_mul_bf16 v12, v3, v12
	v_and_b32_e32 v3, 0xffff0000, v4
	v_lshlrev_b32_e32 v5, 16, v4
	v_and_b32_e32 v2, 0xffff0000, v6
	v_lshlrev_b32_e32 v4, 16, v6
	v_and_b32_e32 v7, 0xffff0000, v8
	v_lshlrev_b32_e32 v9, 16, v8
	v_and_b32_e32 v6, 0xffff0000, v12
	v_lshlrev_b32_e32 v8, 16, v12
	v_pk_add_f32 v[2:3], v[4:5], v[2:3]
	v_dual_add_f32 v12, v31, v18 :: v_dual_lshlrev_b32 v18, 16, v29
	v_add_nc_u32_e32 v28, 4, v28
	s_delay_alu instid0(VALU_DEP_4) | instskip(NEXT) | instid1(VALU_DEP_4)
	v_pk_add_f32 v[4:5], v[8:9], v[6:7]
	v_dual_add_f32 v2, v2, v3 :: v_dual_add_f32 v3, v35, v33
	s_delay_alu instid0(VALU_DEP_4) | instskip(SKIP_2) | instid1(VALU_DEP_3)
	v_dual_add_f32 v6, v23, v22 :: v_dual_add_f32 v8, v18, v19
	v_add_f32_e32 v7, v12, v30
	v_cmp_le_i32_e32 vcc_lo, s13, v28
	v_dual_add_f32 v3, v6, v3 :: v_dual_add_f32 v2, v5, v2
	s_delay_alu instid0(VALU_DEP_3) | instskip(SKIP_1) | instid1(VALU_DEP_2)
	v_add_f32_e32 v5, v8, v7
	s_or_b32 s9, vcc_lo, s9
	v_dual_add_f32 v11, v11, v3 :: v_dual_add_f32 v2, v4, v2
	s_delay_alu instid0(VALU_DEP_1)
	v_dual_add_f32 v10, v10, v5 :: v_dual_add_f32 v25, v25, v2
	s_and_not1_b32 exec_lo, exec_lo, s9
	s_cbranch_execz .LBB316_418
.LBB316_232:                            ; =>This Inner Loop Header: Depth=1
	global_load_b32 v2, v[16:17], off
	v_mov_b32_e32 v31, 0
	s_mov_b32 s0, exec_lo
	s_wait_loadcnt 0x0
	v_mad_nc_i64_i32 v[18:19], v2, s7, v[14:15]
	global_load_b64 v[20:21], v[18:19], off
	ds_load_2addr_b64 v[6:9], v27 offset1:1
	ds_load_2addr_b64 v[2:5], v27 offset0:2 offset1:3
	s_wait_loadcnt 0x0
	v_and_b32_e32 v12, 0xff, v20
	s_delay_alu instid0(VALU_DEP_1)
	v_cmpx_ne_u16_e32 0, v12
	s_cbranch_execz .LBB316_238
; %bb.233:                              ;   in Loop: Header=BB316_232 Depth=1
	v_bfrev_b32_e32 v31, 1
	s_mov_b32 s11, exec_lo
	v_cmpx_ne_u16_e32 0x80, v12
	s_cbranch_execz .LBB316_237
; %bb.234:                              ;   in Loop: Header=BB316_232 Depth=1
	v_and_b32_e32 v12, 0x7f, v20
	v_mov_b32_e32 v31, 0x7f800001
	s_mov_b32 s14, exec_lo
	s_delay_alu instid0(VALU_DEP_2)
	v_cmpx_ne_u32_e32 0x7f, v12
	s_cbranch_execz .LBB316_236
; %bb.235:                              ;   in Loop: Header=BB316_232 Depth=1
	v_and_b32_e32 v22, 7, v20
	v_cmp_gt_u32_e32 vcc_lo, 8, v12
	s_delay_alu instid0(VALU_DEP_2) | instskip(NEXT) | instid1(VALU_DEP_1)
	v_clz_i32_u32_e32 v22, v22
	v_min_u32_e32 v22, 32, v22
	v_lshrrev_b32_e32 v23, 3, v12
	s_delay_alu instid0(VALU_DEP_2) | instskip(SKIP_1) | instid1(VALU_DEP_1)
	v_subrev_nc_u32_e32 v29, 28, v22
	v_sub_nc_u32_e32 v22, 29, v22
	v_dual_cndmask_b32 v12, v23, v22, vcc_lo :: v_dual_cndmask_b32 v22, 0, v29, vcc_lo
	s_delay_alu instid0(VALU_DEP_1) | instskip(NEXT) | instid1(VALU_DEP_2)
	v_lshl_add_u32 v12, v12, 23, 0x3c000000
	v_lshlrev_b64_e32 v[22:23], v22, v[20:21]
	v_lshlrev_b32_e32 v23, 24, v20
	s_delay_alu instid0(VALU_DEP_1) | instskip(NEXT) | instid1(VALU_DEP_3)
	v_and_b32_e32 v23, 0x80000000, v23
	v_lshlrev_b32_e32 v22, 20, v22
	s_delay_alu instid0(VALU_DEP_1) | instskip(NEXT) | instid1(VALU_DEP_1)
	v_and_b32_e32 v22, 0x700000, v22
	v_or3_b32 v31, v22, v23, v12
.LBB316_236:                            ;   in Loop: Header=BB316_232 Depth=1
	s_or_b32 exec_lo, exec_lo, s14
.LBB316_237:                            ;   in Loop: Header=BB316_232 Depth=1
	s_delay_alu instid0(SALU_CYCLE_1)
	s_or_b32 exec_lo, exec_lo, s11
.LBB316_238:                            ;   in Loop: Header=BB316_232 Depth=1
	s_delay_alu instid0(SALU_CYCLE_1) | instskip(SKIP_3) | instid1(VALU_DEP_2)
	s_or_b32 exec_lo, exec_lo, s0
	v_lshrrev_b16 v12, 8, v20
	v_dual_mov_b32 v32, 0 :: v_dual_mov_b32 v35, 0
	s_mov_b32 s0, exec_lo
	v_cmpx_ne_u16_e32 0, v12
	s_cbranch_execz .LBB316_246
; %bb.239:                              ;   in Loop: Header=BB316_232 Depth=1
	v_bfrev_b32_e32 v35, 1
	s_mov_b32 s11, exec_lo
	v_cmpx_ne_u16_e32 0x80, v12
	s_cbranch_execz .LBB316_245
; %bb.240:                              ;   in Loop: Header=BB316_232 Depth=1
	v_and_b32_e32 v12, 0xffff, v12
	v_mov_b32_e32 v35, 0x7f800001
	s_mov_b32 s14, exec_lo
	s_delay_alu instid0(VALU_DEP_2) | instskip(NEXT) | instid1(VALU_DEP_1)
	v_and_b32_e32 v23, 0x7f, v12
	v_cmpx_ne_u32_e32 0x7f, v23
	s_cbranch_execz .LBB316_244
; %bb.241:                              ;   in Loop: Header=BB316_232 Depth=1
	v_dual_lshrrev_b32 v22, 3, v23 :: v_dual_bitop2_b32 v12, 7, v12 bitop3:0x40
	s_mov_b32 s15, exec_lo
	v_cmpx_gt_u32_e32 8, v23
; %bb.242:                              ;   in Loop: Header=BB316_232 Depth=1
	s_delay_alu instid0(VALU_DEP_2) | instskip(NEXT) | instid1(VALU_DEP_1)
	v_clz_i32_u32_e32 v22, v12
	v_min_u32_e32 v22, 32, v22
	s_delay_alu instid0(VALU_DEP_1) | instskip(SKIP_1) | instid1(VALU_DEP_2)
	v_subrev_nc_u32_e32 v23, 28, v22
	v_sub_nc_u32_e32 v22, 29, v22
	v_lshlrev_b64_e32 v[34:35], v23, v[12:13]
	s_delay_alu instid0(VALU_DEP_1)
	v_and_b32_e32 v12, 7, v34
; %bb.243:                              ;   in Loop: Header=BB316_232 Depth=1
	s_or_b32 exec_lo, exec_lo, s15
	v_lshlrev_b32_e32 v23, 16, v20
	s_delay_alu instid0(VALU_DEP_2) | instskip(SKIP_1) | instid1(VALU_DEP_3)
	v_lshlrev_b32_e32 v12, 20, v12
	v_lshl_add_u32 v22, v22, 23, 0x3c000000
	v_and_b32_e32 v23, 0x80000000, v23
	s_delay_alu instid0(VALU_DEP_1)
	v_or3_b32 v35, v12, v23, v22
.LBB316_244:                            ;   in Loop: Header=BB316_232 Depth=1
	s_or_b32 exec_lo, exec_lo, s14
.LBB316_245:                            ;   in Loop: Header=BB316_232 Depth=1
	s_delay_alu instid0(SALU_CYCLE_1)
	s_or_b32 exec_lo, exec_lo, s11
.LBB316_246:                            ;   in Loop: Header=BB316_232 Depth=1
	s_delay_alu instid0(SALU_CYCLE_1) | instskip(SKIP_2) | instid1(VALU_DEP_1)
	s_or_b32 exec_lo, exec_lo, s0
	v_lshrrev_b32_e32 v22, 16, v20
	s_mov_b32 s0, exec_lo
	v_and_b32_e32 v12, 0xff, v22
	s_delay_alu instid0(VALU_DEP_1)
	v_cmpx_ne_u16_e32 0, v12
	s_cbranch_execz .LBB316_254
; %bb.247:                              ;   in Loop: Header=BB316_232 Depth=1
	v_bfrev_b32_e32 v32, 1
	s_mov_b32 s11, exec_lo
	v_cmpx_ne_u16_e32 0x80, v12
	s_cbranch_execz .LBB316_253
; %bb.248:                              ;   in Loop: Header=BB316_232 Depth=1
	v_bfe_u32 v29, v20, 16, 7
	v_mov_b32_e32 v32, 0x7f800001
	s_mov_b32 s14, exec_lo
	s_delay_alu instid0(VALU_DEP_2)
	v_cmpx_ne_u32_e32 0x7f, v29
	s_cbranch_execz .LBB316_252
; %bb.249:                              ;   in Loop: Header=BB316_232 Depth=1
	v_dual_lshrrev_b32 v23, 3, v29 :: v_dual_bitop2_b32 v12, 7, v22 bitop3:0x40
	s_mov_b32 s15, exec_lo
	v_cmpx_gt_u32_e32 8, v29
; %bb.250:                              ;   in Loop: Header=BB316_232 Depth=1
	s_delay_alu instid0(VALU_DEP_2) | instskip(NEXT) | instid1(VALU_DEP_1)
	v_clz_i32_u32_e32 v23, v12
	v_min_u32_e32 v23, 32, v23
	s_delay_alu instid0(VALU_DEP_1) | instskip(NEXT) | instid1(VALU_DEP_1)
	v_subrev_nc_u32_e32 v29, 28, v23
	v_lshlrev_b64_e32 v[32:33], v29, v[12:13]
	s_delay_alu instid0(VALU_DEP_1)
	v_dual_sub_nc_u32 v23, 29, v23 :: v_dual_bitop2_b32 v12, 7, v32 bitop3:0x40
; %bb.251:                              ;   in Loop: Header=BB316_232 Depth=1
	s_or_b32 exec_lo, exec_lo, s15
	s_delay_alu instid0(VALU_DEP_1) | instskip(NEXT) | instid1(VALU_DEP_2)
	v_dual_lshlrev_b32 v22, 24, v22 :: v_dual_lshlrev_b32 v12, 20, v12
	v_lshl_add_u32 v23, v23, 23, 0x3c000000
	s_delay_alu instid0(VALU_DEP_2) | instskip(NEXT) | instid1(VALU_DEP_1)
	v_and_b32_e32 v22, 0x80000000, v22
	v_or3_b32 v32, v12, v22, v23
.LBB316_252:                            ;   in Loop: Header=BB316_232 Depth=1
	s_or_b32 exec_lo, exec_lo, s14
.LBB316_253:                            ;   in Loop: Header=BB316_232 Depth=1
	s_delay_alu instid0(SALU_CYCLE_1)
	s_or_b32 exec_lo, exec_lo, s11
.LBB316_254:                            ;   in Loop: Header=BB316_232 Depth=1
	s_delay_alu instid0(SALU_CYCLE_1)
	s_or_b32 exec_lo, exec_lo, s0
	v_dual_mov_b32 v30, 0 :: v_dual_mov_b32 v33, 0
	s_mov_b32 s0, exec_lo
	v_cmpx_lt_u32_e32 0xffffff, v20
	s_cbranch_execz .LBB316_262
; %bb.255:                              ;   in Loop: Header=BB316_232 Depth=1
	v_lshrrev_b32_e32 v22, 24, v20
	v_bfrev_b32_e32 v33, 1
	s_mov_b32 s11, exec_lo
	s_delay_alu instid0(VALU_DEP_2)
	v_cmpx_ne_u32_e32 0x80, v22
	s_cbranch_execz .LBB316_261
; %bb.256:                              ;   in Loop: Header=BB316_232 Depth=1
	v_bfe_u32 v29, v20, 24, 7
	v_mov_b32_e32 v33, 0x7f800001
	s_mov_b32 s14, exec_lo
	s_delay_alu instid0(VALU_DEP_2)
	v_cmpx_ne_u32_e32 0x7f, v29
	s_cbranch_execz .LBB316_260
; %bb.257:                              ;   in Loop: Header=BB316_232 Depth=1
	v_dual_lshrrev_b32 v23, 3, v29 :: v_dual_bitop2_b32 v12, 7, v22 bitop3:0x40
	s_mov_b32 s15, exec_lo
	v_cmpx_gt_u32_e32 8, v29
; %bb.258:                              ;   in Loop: Header=BB316_232 Depth=1
	s_delay_alu instid0(VALU_DEP_2) | instskip(NEXT) | instid1(VALU_DEP_1)
	v_clz_i32_u32_e32 v23, v12
	v_min_u32_e32 v23, 32, v23
	s_delay_alu instid0(VALU_DEP_1) | instskip(NEXT) | instid1(VALU_DEP_1)
	v_subrev_nc_u32_e32 v29, 28, v23
	v_lshlrev_b64_e32 v[36:37], v29, v[12:13]
	s_delay_alu instid0(VALU_DEP_1)
	v_dual_sub_nc_u32 v23, 29, v23 :: v_dual_bitop2_b32 v12, 7, v36 bitop3:0x40
; %bb.259:                              ;   in Loop: Header=BB316_232 Depth=1
	s_or_b32 exec_lo, exec_lo, s15
	s_delay_alu instid0(VALU_DEP_1) | instskip(NEXT) | instid1(VALU_DEP_2)
	v_dual_lshlrev_b32 v22, 24, v22 :: v_dual_lshlrev_b32 v12, 20, v12
	v_lshl_add_u32 v23, v23, 23, 0x3c000000
	s_delay_alu instid0(VALU_DEP_2) | instskip(NEXT) | instid1(VALU_DEP_1)
	v_and_b32_e32 v22, 0x80000000, v22
	v_or3_b32 v33, v12, v22, v23
.LBB316_260:                            ;   in Loop: Header=BB316_232 Depth=1
	s_or_b32 exec_lo, exec_lo, s14
.LBB316_261:                            ;   in Loop: Header=BB316_232 Depth=1
	s_delay_alu instid0(SALU_CYCLE_1)
	s_or_b32 exec_lo, exec_lo, s11
.LBB316_262:                            ;   in Loop: Header=BB316_232 Depth=1
	s_delay_alu instid0(SALU_CYCLE_1) | instskip(SKIP_3) | instid1(VALU_DEP_2)
	s_or_b32 exec_lo, exec_lo, s0
	v_and_b32_e32 v22, 0xff, v21
	v_mov_b32_e32 v12, v21
	s_mov_b32 s0, exec_lo
	v_cmpx_ne_u16_e32 0, v22
	s_cbranch_execz .LBB316_268
; %bb.263:                              ;   in Loop: Header=BB316_232 Depth=1
	v_bfrev_b32_e32 v30, 1
	s_mov_b32 s11, exec_lo
	v_cmpx_ne_u16_e32 0x80, v22
	s_cbranch_execz .LBB316_267
; %bb.264:                              ;   in Loop: Header=BB316_232 Depth=1
	v_and_b32_e32 v22, 0x7f, v21
	v_mov_b32_e32 v30, 0x7f800001
	s_mov_b32 s14, exec_lo
	s_delay_alu instid0(VALU_DEP_2)
	v_cmpx_ne_u32_e32 0x7f, v22
	s_cbranch_execz .LBB316_266
; %bb.265:                              ;   in Loop: Header=BB316_232 Depth=1
	v_dual_lshrrev_b32 v29, 3, v22 :: v_dual_bitop2_b32 v23, 7, v21 bitop3:0x40
	v_cmp_gt_u32_e32 vcc_lo, 8, v22
	s_delay_alu instid0(VALU_DEP_2) | instskip(NEXT) | instid1(VALU_DEP_1)
	v_clz_i32_u32_e32 v23, v23
	v_min_u32_e32 v23, 32, v23
	s_delay_alu instid0(VALU_DEP_1) | instskip(NEXT) | instid1(VALU_DEP_1)
	v_subrev_nc_u32_e32 v30, 28, v23
	v_dual_cndmask_b32 v22, 0, v30 :: v_dual_sub_nc_u32 v23, 29, v23
	s_delay_alu instid0(VALU_DEP_1) | instskip(NEXT) | instid1(VALU_DEP_2)
	v_cndmask_b32_e32 v29, v29, v23, vcc_lo
	v_lshlrev_b64_e32 v[22:23], v22, v[12:13]
	v_lshlrev_b32_e32 v23, 24, v12
	s_delay_alu instid0(VALU_DEP_3) | instskip(NEXT) | instid1(VALU_DEP_2)
	v_lshl_add_u32 v29, v29, 23, 0x3c000000
	v_and_b32_e32 v23, 0x80000000, v23
	s_delay_alu instid0(VALU_DEP_4) | instskip(NEXT) | instid1(VALU_DEP_1)
	v_lshlrev_b32_e32 v22, 20, v22
	v_and_b32_e32 v22, 0x700000, v22
	s_delay_alu instid0(VALU_DEP_1)
	v_or3_b32 v30, v22, v23, v29
.LBB316_266:                            ;   in Loop: Header=BB316_232 Depth=1
	s_or_b32 exec_lo, exec_lo, s14
.LBB316_267:                            ;   in Loop: Header=BB316_232 Depth=1
	s_delay_alu instid0(SALU_CYCLE_1)
	s_or_b32 exec_lo, exec_lo, s11
.LBB316_268:                            ;   in Loop: Header=BB316_232 Depth=1
	s_delay_alu instid0(SALU_CYCLE_1) | instskip(SKIP_3) | instid1(VALU_DEP_2)
	s_or_b32 exec_lo, exec_lo, s0
	v_lshrrev_b16 v23, 8, v12
	v_dual_mov_b32 v38, 0 :: v_dual_mov_b32 v22, 0
	s_mov_b32 s0, exec_lo
	v_cmpx_ne_u16_e32 0, v23
	s_cbranch_execz .LBB316_276
; %bb.269:                              ;   in Loop: Header=BB316_232 Depth=1
	v_bfrev_b32_e32 v22, 1
	s_mov_b32 s11, exec_lo
	v_cmpx_ne_u16_e32 0x80, v23
	s_cbranch_execz .LBB316_275
; %bb.270:                              ;   in Loop: Header=BB316_232 Depth=1
	v_and_b32_e32 v23, 0xffff, v23
	v_mov_b32_e32 v22, 0x7f800001
	s_mov_b32 s14, exec_lo
	s_delay_alu instid0(VALU_DEP_2) | instskip(NEXT) | instid1(VALU_DEP_1)
	v_and_b32_e32 v34, 0x7f, v23
	v_cmpx_ne_u32_e32 0x7f, v34
	s_cbranch_execz .LBB316_274
; %bb.271:                              ;   in Loop: Header=BB316_232 Depth=1
	v_dual_mov_b32 v23, v13 :: v_dual_bitop2_b32 v22, 7, v23 bitop3:0x40
	v_lshrrev_b32_e32 v29, 3, v34
	s_mov_b32 s15, exec_lo
	v_cmpx_gt_u32_e32 8, v34
; %bb.272:                              ;   in Loop: Header=BB316_232 Depth=1
	s_delay_alu instid0(VALU_DEP_3) | instskip(NEXT) | instid1(VALU_DEP_1)
	v_clz_i32_u32_e32 v29, v22
	v_min_u32_e32 v29, 32, v29
	s_delay_alu instid0(VALU_DEP_1) | instskip(NEXT) | instid1(VALU_DEP_1)
	v_subrev_nc_u32_e32 v34, 28, v29
	v_lshlrev_b64_e32 v[22:23], v34, v[22:23]
	s_delay_alu instid0(VALU_DEP_1)
	v_dual_sub_nc_u32 v29, 29, v29 :: v_dual_bitop2_b32 v22, 7, v22 bitop3:0x40
; %bb.273:                              ;   in Loop: Header=BB316_232 Depth=1
	s_or_b32 exec_lo, exec_lo, s15
	s_delay_alu instid0(VALU_DEP_1) | instskip(NEXT) | instid1(VALU_DEP_2)
	v_dual_lshlrev_b32 v12, 16, v12 :: v_dual_lshlrev_b32 v22, 20, v22
	v_lshl_add_u32 v23, v29, 23, 0x3c000000
	s_delay_alu instid0(VALU_DEP_2) | instskip(NEXT) | instid1(VALU_DEP_1)
	v_and_b32_e32 v12, 0x80000000, v12
	v_or3_b32 v22, v22, v12, v23
.LBB316_274:                            ;   in Loop: Header=BB316_232 Depth=1
	s_or_b32 exec_lo, exec_lo, s14
.LBB316_275:                            ;   in Loop: Header=BB316_232 Depth=1
	s_delay_alu instid0(SALU_CYCLE_1)
	s_or_b32 exec_lo, exec_lo, s11
.LBB316_276:                            ;   in Loop: Header=BB316_232 Depth=1
	s_delay_alu instid0(SALU_CYCLE_1) | instskip(SKIP_2) | instid1(VALU_DEP_1)
	s_or_b32 exec_lo, exec_lo, s0
	v_lshrrev_b32_e32 v23, 16, v21
	s_mov_b32 s0, exec_lo
	v_and_b32_e32 v12, 0xff, v23
	s_delay_alu instid0(VALU_DEP_1)
	v_cmpx_ne_u16_e32 0, v12
	s_cbranch_execz .LBB316_284
; %bb.277:                              ;   in Loop: Header=BB316_232 Depth=1
	v_bfrev_b32_e32 v38, 1
	s_mov_b32 s11, exec_lo
	v_cmpx_ne_u16_e32 0x80, v12
	s_cbranch_execz .LBB316_283
; %bb.278:                              ;   in Loop: Header=BB316_232 Depth=1
	v_bfe_u32 v34, v21, 16, 7
	v_mov_b32_e32 v38, 0x7f800001
	s_mov_b32 s14, exec_lo
	s_delay_alu instid0(VALU_DEP_2)
	v_cmpx_ne_u32_e32 0x7f, v34
	s_cbranch_execz .LBB316_282
; %bb.279:                              ;   in Loop: Header=BB316_232 Depth=1
	v_dual_lshrrev_b32 v29, 3, v34 :: v_dual_bitop2_b32 v12, 7, v23 bitop3:0x40
	s_mov_b32 s15, exec_lo
	v_cmpx_gt_u32_e32 8, v34
; %bb.280:                              ;   in Loop: Header=BB316_232 Depth=1
	s_delay_alu instid0(VALU_DEP_2) | instskip(NEXT) | instid1(VALU_DEP_1)
	v_clz_i32_u32_e32 v29, v12
	v_min_u32_e32 v29, 32, v29
	s_delay_alu instid0(VALU_DEP_1) | instskip(NEXT) | instid1(VALU_DEP_1)
	v_subrev_nc_u32_e32 v34, 28, v29
	v_lshlrev_b64_e32 v[36:37], v34, v[12:13]
	s_delay_alu instid0(VALU_DEP_1)
	v_dual_sub_nc_u32 v29, 29, v29 :: v_dual_bitop2_b32 v12, 7, v36 bitop3:0x40
; %bb.281:                              ;   in Loop: Header=BB316_232 Depth=1
	s_or_b32 exec_lo, exec_lo, s15
	s_delay_alu instid0(VALU_DEP_1) | instskip(NEXT) | instid1(VALU_DEP_2)
	v_dual_lshlrev_b32 v23, 24, v23 :: v_dual_lshlrev_b32 v12, 20, v12
	v_lshl_add_u32 v29, v29, 23, 0x3c000000
	s_delay_alu instid0(VALU_DEP_2) | instskip(NEXT) | instid1(VALU_DEP_1)
	v_and_b32_e32 v23, 0x80000000, v23
	v_or3_b32 v38, v12, v23, v29
.LBB316_282:                            ;   in Loop: Header=BB316_232 Depth=1
	s_or_b32 exec_lo, exec_lo, s14
.LBB316_283:                            ;   in Loop: Header=BB316_232 Depth=1
	s_delay_alu instid0(SALU_CYCLE_1)
	s_or_b32 exec_lo, exec_lo, s11
.LBB316_284:                            ;   in Loop: Header=BB316_232 Depth=1
	s_delay_alu instid0(SALU_CYCLE_1)
	s_or_b32 exec_lo, exec_lo, s0
	v_mov_b32_e32 v12, 0
	s_mov_b32 s0, exec_lo
	v_cmpx_lt_u64_e64 s[2:3], v[20:21]
	s_cbranch_execz .LBB316_292
; %bb.285:                              ;   in Loop: Header=BB316_232 Depth=1
	v_lshrrev_b32_e32 v20, 24, v21
	v_bfrev_b32_e32 v12, 1
	s_mov_b32 s11, exec_lo
	s_delay_alu instid0(VALU_DEP_2)
	v_cmpx_ne_u32_e32 0x80, v20
	s_cbranch_execz .LBB316_291
; %bb.286:                              ;   in Loop: Header=BB316_232 Depth=1
	v_bfe_u32 v23, v21, 24, 7
	v_mov_b32_e32 v12, 0x7f800001
	s_mov_b32 s14, exec_lo
	s_delay_alu instid0(VALU_DEP_2)
	v_cmpx_ne_u32_e32 0x7f, v23
	s_cbranch_execz .LBB316_290
; %bb.287:                              ;   in Loop: Header=BB316_232 Depth=1
	v_dual_lshrrev_b32 v21, 3, v23 :: v_dual_bitop2_b32 v12, 7, v20 bitop3:0x40
	s_mov_b32 s15, exec_lo
	v_cmpx_gt_u32_e32 8, v23
; %bb.288:                              ;   in Loop: Header=BB316_232 Depth=1
	s_delay_alu instid0(VALU_DEP_2) | instskip(NEXT) | instid1(VALU_DEP_1)
	v_clz_i32_u32_e32 v21, v12
	v_min_u32_e32 v21, 32, v21
	s_delay_alu instid0(VALU_DEP_1) | instskip(NEXT) | instid1(VALU_DEP_1)
	v_subrev_nc_u32_e32 v23, 28, v21
	v_lshlrev_b64_e32 v[36:37], v23, v[12:13]
	s_delay_alu instid0(VALU_DEP_1)
	v_dual_sub_nc_u32 v21, 29, v21 :: v_dual_bitop2_b32 v12, 7, v36 bitop3:0x40
; %bb.289:                              ;   in Loop: Header=BB316_232 Depth=1
	s_or_b32 exec_lo, exec_lo, s15
	v_lshlrev_b32_e32 v20, 24, v20
	s_delay_alu instid0(VALU_DEP_2) | instskip(NEXT) | instid1(VALU_DEP_3)
	v_lshlrev_b32_e32 v12, 20, v12
	v_lshl_add_u32 v21, v21, 23, 0x3c000000
	s_delay_alu instid0(VALU_DEP_3) | instskip(NEXT) | instid1(VALU_DEP_1)
	v_and_b32_e32 v20, 0x80000000, v20
	v_or3_b32 v12, v12, v20, v21
.LBB316_290:                            ;   in Loop: Header=BB316_232 Depth=1
	s_or_b32 exec_lo, exec_lo, s14
.LBB316_291:                            ;   in Loop: Header=BB316_232 Depth=1
	s_delay_alu instid0(SALU_CYCLE_1)
	s_or_b32 exec_lo, exec_lo, s11
.LBB316_292:                            ;   in Loop: Header=BB316_232 Depth=1
	s_delay_alu instid0(SALU_CYCLE_1)
	s_or_b32 exec_lo, exec_lo, s0
	v_dual_add_nc_u32 v37, -7, v26 :: v_dual_add_nc_u32 v43, -6, v26
	v_cmp_eq_u32_e32 vcc_lo, s10, v28
	v_fma_mixlo_bf16 v29, s6, v22, 0
	v_fma_mixlo_bf16 v30, s6, v30, 0
	;; [unrolled: 1-line block ×8, first 2 shown]
	v_dual_add_nc_u32 v42, -5, v26 :: v_dual_add_nc_u32 v41, -4, v26
	v_dual_add_nc_u32 v40, -3, v26 :: v_dual_add_nc_u32 v39, -2, v26
	v_add_nc_u32_e32 v38, -1, v26
	s_and_saveexec_b32 s11, vcc_lo
	s_cbranch_execz .LBB316_294
; %bb.293:                              ;   in Loop: Header=BB316_232 Depth=1
	v_cmp_gt_i32_e64 s0, s23, v37
	s_delay_alu instid0(VALU_DEP_1) | instskip(SKIP_1) | instid1(VALU_DEP_1)
	v_cndmask_b32_e64 v36, 0, v36, s0
	v_cmp_gt_i32_e64 s0, s23, v43
	v_cndmask_b32_e64 v35, 0, v35, s0
	v_cmp_gt_i32_e64 s0, s23, v42
	s_delay_alu instid0(VALU_DEP_1) | instskip(SKIP_1) | instid1(VALU_DEP_1)
	v_cndmask_b32_e64 v34, 0, v34, s0
	v_cmp_gt_i32_e64 s0, s23, v41
	v_cndmask_b32_e64 v33, 0, v33, s0
	;; [unrolled: 5-line block ×4, first 2 shown]
.LBB316_294:                            ;   in Loop: Header=BB316_232 Depth=1
	s_or_b32 exec_lo, exec_lo, s11
	global_load_b64 v[20:21], v[18:19], off offset:256
	v_dual_mov_b32 v45, 0 :: v_dual_mov_b32 v44, 0
	s_mov_b32 s11, exec_lo
	s_wait_loadcnt 0x0
	v_and_b32_e32 v12, 0xff, v20
	s_delay_alu instid0(VALU_DEP_1)
	v_cmpx_ne_u16_e32 0, v12
	s_cbranch_execz .LBB316_300
; %bb.295:                              ;   in Loop: Header=BB316_232 Depth=1
	v_bfrev_b32_e32 v44, 1
	s_mov_b32 s14, exec_lo
	v_cmpx_ne_u16_e32 0x80, v12
	s_cbranch_execz .LBB316_299
; %bb.296:                              ;   in Loop: Header=BB316_232 Depth=1
	v_and_b32_e32 v12, 0x7f, v20
	v_mov_b32_e32 v44, 0x7f800001
	s_mov_b32 s15, exec_lo
	s_delay_alu instid0(VALU_DEP_2)
	v_cmpx_ne_u32_e32 0x7f, v12
	s_cbranch_execz .LBB316_298
; %bb.297:                              ;   in Loop: Header=BB316_232 Depth=1
	v_and_b32_e32 v22, 7, v20
	v_cmp_gt_u32_e64 s0, 8, v12
	s_delay_alu instid0(VALU_DEP_2) | instskip(NEXT) | instid1(VALU_DEP_1)
	v_clz_i32_u32_e32 v22, v22
	v_min_u32_e32 v22, 32, v22
	v_lshrrev_b32_e32 v23, 3, v12
	s_delay_alu instid0(VALU_DEP_2) | instskip(SKIP_1) | instid1(VALU_DEP_1)
	v_subrev_nc_u32_e32 v44, 28, v22
	v_sub_nc_u32_e32 v22, 29, v22
	v_dual_cndmask_b32 v12, v23, v22, s0 :: v_dual_cndmask_b32 v22, 0, v44, s0
	s_delay_alu instid0(VALU_DEP_1) | instskip(NEXT) | instid1(VALU_DEP_2)
	v_lshl_add_u32 v12, v12, 23, 0x3c000000
	v_lshlrev_b64_e32 v[22:23], v22, v[20:21]
	v_lshlrev_b32_e32 v23, 24, v20
	s_delay_alu instid0(VALU_DEP_1) | instskip(NEXT) | instid1(VALU_DEP_3)
	v_and_b32_e32 v23, 0x80000000, v23
	v_lshlrev_b32_e32 v22, 20, v22
	s_delay_alu instid0(VALU_DEP_1) | instskip(NEXT) | instid1(VALU_DEP_1)
	v_and_b32_e32 v22, 0x700000, v22
	v_or3_b32 v44, v22, v23, v12
.LBB316_298:                            ;   in Loop: Header=BB316_232 Depth=1
	s_or_b32 exec_lo, exec_lo, s15
.LBB316_299:                            ;   in Loop: Header=BB316_232 Depth=1
	s_delay_alu instid0(SALU_CYCLE_1)
	s_or_b32 exec_lo, exec_lo, s14
.LBB316_300:                            ;   in Loop: Header=BB316_232 Depth=1
	s_delay_alu instid0(SALU_CYCLE_1) | instskip(SKIP_2) | instid1(VALU_DEP_1)
	s_or_b32 exec_lo, exec_lo, s11
	v_lshrrev_b16 v12, 8, v20
	s_mov_b32 s11, exec_lo
	v_cmpx_ne_u16_e32 0, v12
	s_cbranch_execz .LBB316_308
; %bb.301:                              ;   in Loop: Header=BB316_232 Depth=1
	v_bfrev_b32_e32 v45, 1
	s_mov_b32 s14, exec_lo
	v_cmpx_ne_u16_e32 0x80, v12
	s_cbranch_execz .LBB316_307
; %bb.302:                              ;   in Loop: Header=BB316_232 Depth=1
	v_and_b32_e32 v12, 0xffff, v12
	v_mov_b32_e32 v45, 0x7f800001
	s_mov_b32 s15, exec_lo
	s_delay_alu instid0(VALU_DEP_2) | instskip(NEXT) | instid1(VALU_DEP_1)
	v_and_b32_e32 v23, 0x7f, v12
	v_cmpx_ne_u32_e32 0x7f, v23
	s_cbranch_execz .LBB316_306
; %bb.303:                              ;   in Loop: Header=BB316_232 Depth=1
	v_dual_lshrrev_b32 v22, 3, v23 :: v_dual_bitop2_b32 v12, 7, v12 bitop3:0x40
	s_mov_b32 s16, exec_lo
	v_cmpx_gt_u32_e32 8, v23
; %bb.304:                              ;   in Loop: Header=BB316_232 Depth=1
	s_delay_alu instid0(VALU_DEP_2) | instskip(NEXT) | instid1(VALU_DEP_1)
	v_clz_i32_u32_e32 v22, v12
	v_min_u32_e32 v22, 32, v22
	s_delay_alu instid0(VALU_DEP_1) | instskip(SKIP_1) | instid1(VALU_DEP_2)
	v_subrev_nc_u32_e32 v23, 28, v22
	v_sub_nc_u32_e32 v22, 29, v22
	v_lshlrev_b64_e32 v[46:47], v23, v[12:13]
	s_delay_alu instid0(VALU_DEP_1)
	v_and_b32_e32 v12, 7, v46
; %bb.305:                              ;   in Loop: Header=BB316_232 Depth=1
	s_or_b32 exec_lo, exec_lo, s16
	v_lshlrev_b32_e32 v23, 16, v20
	s_delay_alu instid0(VALU_DEP_2) | instskip(SKIP_1) | instid1(VALU_DEP_3)
	v_lshlrev_b32_e32 v12, 20, v12
	v_lshl_add_u32 v22, v22, 23, 0x3c000000
	v_and_b32_e32 v23, 0x80000000, v23
	s_delay_alu instid0(VALU_DEP_1)
	v_or3_b32 v45, v12, v23, v22
.LBB316_306:                            ;   in Loop: Header=BB316_232 Depth=1
	s_or_b32 exec_lo, exec_lo, s15
.LBB316_307:                            ;   in Loop: Header=BB316_232 Depth=1
	s_delay_alu instid0(SALU_CYCLE_1)
	s_or_b32 exec_lo, exec_lo, s14
.LBB316_308:                            ;   in Loop: Header=BB316_232 Depth=1
	s_delay_alu instid0(SALU_CYCLE_1) | instskip(SKIP_3) | instid1(VALU_DEP_2)
	s_or_b32 exec_lo, exec_lo, s11
	v_dual_lshrrev_b32 v22, 16, v20 :: v_dual_mov_b32 v46, 0
	v_mov_b32_e32 v47, 0
	s_mov_b32 s11, exec_lo
	v_and_b32_e32 v12, 0xff, v22
	s_delay_alu instid0(VALU_DEP_1)
	v_cmpx_ne_u16_e32 0, v12
	s_cbranch_execz .LBB316_316
; %bb.309:                              ;   in Loop: Header=BB316_232 Depth=1
	v_bfrev_b32_e32 v47, 1
	s_mov_b32 s14, exec_lo
	v_cmpx_ne_u16_e32 0x80, v12
	s_cbranch_execz .LBB316_315
; %bb.310:                              ;   in Loop: Header=BB316_232 Depth=1
	v_bfe_u32 v48, v20, 16, 7
	v_mov_b32_e32 v47, 0x7f800001
	s_mov_b32 s15, exec_lo
	s_delay_alu instid0(VALU_DEP_2)
	v_cmpx_ne_u32_e32 0x7f, v48
	s_cbranch_execz .LBB316_314
; %bb.311:                              ;   in Loop: Header=BB316_232 Depth=1
	v_dual_lshrrev_b32 v23, 3, v48 :: v_dual_bitop2_b32 v12, 7, v22 bitop3:0x40
	s_mov_b32 s16, exec_lo
	v_cmpx_gt_u32_e32 8, v48
; %bb.312:                              ;   in Loop: Header=BB316_232 Depth=1
	s_delay_alu instid0(VALU_DEP_2) | instskip(NEXT) | instid1(VALU_DEP_1)
	v_clz_i32_u32_e32 v23, v12
	v_min_u32_e32 v23, 32, v23
	s_delay_alu instid0(VALU_DEP_1) | instskip(NEXT) | instid1(VALU_DEP_1)
	v_subrev_nc_u32_e32 v47, 28, v23
	v_lshlrev_b64_e32 v[48:49], v47, v[12:13]
	s_delay_alu instid0(VALU_DEP_1)
	v_dual_sub_nc_u32 v23, 29, v23 :: v_dual_bitop2_b32 v12, 7, v48 bitop3:0x40
; %bb.313:                              ;   in Loop: Header=BB316_232 Depth=1
	s_or_b32 exec_lo, exec_lo, s16
	s_delay_alu instid0(VALU_DEP_1) | instskip(NEXT) | instid1(VALU_DEP_2)
	v_dual_lshlrev_b32 v22, 24, v22 :: v_dual_lshlrev_b32 v12, 20, v12
	v_lshl_add_u32 v23, v23, 23, 0x3c000000
	s_delay_alu instid0(VALU_DEP_2) | instskip(NEXT) | instid1(VALU_DEP_1)
	v_and_b32_e32 v22, 0x80000000, v22
	v_or3_b32 v47, v12, v22, v23
.LBB316_314:                            ;   in Loop: Header=BB316_232 Depth=1
	s_or_b32 exec_lo, exec_lo, s15
.LBB316_315:                            ;   in Loop: Header=BB316_232 Depth=1
	s_delay_alu instid0(SALU_CYCLE_1)
	s_or_b32 exec_lo, exec_lo, s14
.LBB316_316:                            ;   in Loop: Header=BB316_232 Depth=1
	s_delay_alu instid0(SALU_CYCLE_1) | instskip(NEXT) | instid1(SALU_CYCLE_1)
	s_or_b32 exec_lo, exec_lo, s11
	s_mov_b32 s11, exec_lo
	v_cmpx_lt_u32_e32 0xffffff, v20
	s_cbranch_execz .LBB316_324
; %bb.317:                              ;   in Loop: Header=BB316_232 Depth=1
	v_lshrrev_b32_e32 v22, 24, v20
	v_bfrev_b32_e32 v46, 1
	s_mov_b32 s14, exec_lo
	s_delay_alu instid0(VALU_DEP_2)
	v_cmpx_ne_u32_e32 0x80, v22
	s_cbranch_execz .LBB316_323
; %bb.318:                              ;   in Loop: Header=BB316_232 Depth=1
	v_bfe_u32 v48, v20, 24, 7
	v_mov_b32_e32 v46, 0x7f800001
	s_mov_b32 s15, exec_lo
	s_delay_alu instid0(VALU_DEP_2)
	v_cmpx_ne_u32_e32 0x7f, v48
	s_cbranch_execz .LBB316_322
; %bb.319:                              ;   in Loop: Header=BB316_232 Depth=1
	v_dual_lshrrev_b32 v23, 3, v48 :: v_dual_bitop2_b32 v12, 7, v22 bitop3:0x40
	s_mov_b32 s16, exec_lo
	v_cmpx_gt_u32_e32 8, v48
; %bb.320:                              ;   in Loop: Header=BB316_232 Depth=1
	s_delay_alu instid0(VALU_DEP_2) | instskip(NEXT) | instid1(VALU_DEP_1)
	v_clz_i32_u32_e32 v23, v12
	v_min_u32_e32 v23, 32, v23
	s_delay_alu instid0(VALU_DEP_1) | instskip(NEXT) | instid1(VALU_DEP_1)
	v_subrev_nc_u32_e32 v46, 28, v23
	v_lshlrev_b64_e32 v[48:49], v46, v[12:13]
	s_delay_alu instid0(VALU_DEP_1)
	v_dual_sub_nc_u32 v23, 29, v23 :: v_dual_bitop2_b32 v12, 7, v48 bitop3:0x40
; %bb.321:                              ;   in Loop: Header=BB316_232 Depth=1
	s_or_b32 exec_lo, exec_lo, s16
	s_delay_alu instid0(VALU_DEP_1) | instskip(NEXT) | instid1(VALU_DEP_2)
	v_dual_lshlrev_b32 v22, 24, v22 :: v_dual_lshlrev_b32 v12, 20, v12
	v_lshl_add_u32 v23, v23, 23, 0x3c000000
	s_delay_alu instid0(VALU_DEP_2) | instskip(NEXT) | instid1(VALU_DEP_1)
	v_and_b32_e32 v22, 0x80000000, v22
	v_or3_b32 v46, v12, v22, v23
.LBB316_322:                            ;   in Loop: Header=BB316_232 Depth=1
	s_or_b32 exec_lo, exec_lo, s15
.LBB316_323:                            ;   in Loop: Header=BB316_232 Depth=1
	s_delay_alu instid0(SALU_CYCLE_1)
	s_or_b32 exec_lo, exec_lo, s14
.LBB316_324:                            ;   in Loop: Header=BB316_232 Depth=1
	s_delay_alu instid0(SALU_CYCLE_1) | instskip(SKIP_4) | instid1(VALU_DEP_3)
	s_or_b32 exec_lo, exec_lo, s11
	v_and_b32_e32 v23, 0xff, v21
	v_dual_mov_b32 v12, v21 :: v_dual_mov_b32 v22, 0
	v_mov_b32_e32 v48, 0
	s_mov_b32 s11, exec_lo
	v_cmpx_ne_u16_e32 0, v23
	s_cbranch_execz .LBB316_330
; %bb.325:                              ;   in Loop: Header=BB316_232 Depth=1
	v_bfrev_b32_e32 v48, 1
	s_mov_b32 s14, exec_lo
	v_cmpx_ne_u16_e32 0x80, v23
	s_cbranch_execz .LBB316_329
; %bb.326:                              ;   in Loop: Header=BB316_232 Depth=1
	v_and_b32_e32 v23, 0x7f, v21
	v_mov_b32_e32 v48, 0x7f800001
	s_mov_b32 s15, exec_lo
	s_delay_alu instid0(VALU_DEP_2)
	v_cmpx_ne_u32_e32 0x7f, v23
	s_cbranch_execz .LBB316_328
; %bb.327:                              ;   in Loop: Header=BB316_232 Depth=1
	v_dual_lshrrev_b32 v49, 3, v23 :: v_dual_bitop2_b32 v48, 7, v21 bitop3:0x40
	v_cmp_gt_u32_e64 s0, 8, v23
	s_delay_alu instid0(VALU_DEP_2) | instskip(NEXT) | instid1(VALU_DEP_1)
	v_clz_i32_u32_e32 v48, v48
	v_min_u32_e32 v48, 32, v48
	s_delay_alu instid0(VALU_DEP_1) | instskip(SKIP_1) | instid1(VALU_DEP_1)
	v_subrev_nc_u32_e32 v50, 28, v48
	v_sub_nc_u32_e32 v48, 29, v48
	v_dual_cndmask_b32 v23, v49, v48, s0 :: v_dual_cndmask_b32 v48, 0, v50, s0
	s_delay_alu instid0(VALU_DEP_1) | instskip(NEXT) | instid1(VALU_DEP_2)
	v_lshl_add_u32 v23, v23, 23, 0x3c000000
	v_lshlrev_b64_e32 v[48:49], v48, v[12:13]
	v_lshlrev_b32_e32 v49, 24, v12
	s_delay_alu instid0(VALU_DEP_1) | instskip(NEXT) | instid1(VALU_DEP_3)
	v_and_b32_e32 v49, 0x80000000, v49
	v_lshlrev_b32_e32 v48, 20, v48
	s_delay_alu instid0(VALU_DEP_1) | instskip(NEXT) | instid1(VALU_DEP_1)
	v_and_b32_e32 v48, 0x700000, v48
	v_or3_b32 v48, v48, v49, v23
.LBB316_328:                            ;   in Loop: Header=BB316_232 Depth=1
	s_or_b32 exec_lo, exec_lo, s15
.LBB316_329:                            ;   in Loop: Header=BB316_232 Depth=1
	s_delay_alu instid0(SALU_CYCLE_1)
	s_or_b32 exec_lo, exec_lo, s14
.LBB316_330:                            ;   in Loop: Header=BB316_232 Depth=1
	s_delay_alu instid0(SALU_CYCLE_1) | instskip(SKIP_2) | instid1(VALU_DEP_1)
	s_or_b32 exec_lo, exec_lo, s11
	v_lshrrev_b16 v23, 8, v12
	s_mov_b32 s11, exec_lo
	v_cmpx_ne_u16_e32 0, v23
	s_cbranch_execz .LBB316_338
; %bb.331:                              ;   in Loop: Header=BB316_232 Depth=1
	v_bfrev_b32_e32 v22, 1
	s_mov_b32 s14, exec_lo
	v_cmpx_ne_u16_e32 0x80, v23
	s_cbranch_execz .LBB316_337
; %bb.332:                              ;   in Loop: Header=BB316_232 Depth=1
	v_and_b32_e32 v23, 0xffff, v23
	v_mov_b32_e32 v22, 0x7f800001
	s_mov_b32 s15, exec_lo
	s_delay_alu instid0(VALU_DEP_2) | instskip(NEXT) | instid1(VALU_DEP_1)
	v_and_b32_e32 v50, 0x7f, v23
	v_cmpx_ne_u32_e32 0x7f, v50
	s_cbranch_execz .LBB316_336
; %bb.333:                              ;   in Loop: Header=BB316_232 Depth=1
	v_dual_mov_b32 v23, v13 :: v_dual_bitop2_b32 v22, 7, v23 bitop3:0x40
	v_lshrrev_b32_e32 v49, 3, v50
	s_mov_b32 s16, exec_lo
	v_cmpx_gt_u32_e32 8, v50
; %bb.334:                              ;   in Loop: Header=BB316_232 Depth=1
	s_delay_alu instid0(VALU_DEP_3) | instskip(NEXT) | instid1(VALU_DEP_1)
	v_clz_i32_u32_e32 v49, v22
	v_min_u32_e32 v49, 32, v49
	s_delay_alu instid0(VALU_DEP_1) | instskip(NEXT) | instid1(VALU_DEP_1)
	v_subrev_nc_u32_e32 v50, 28, v49
	v_lshlrev_b64_e32 v[22:23], v50, v[22:23]
	s_delay_alu instid0(VALU_DEP_1)
	v_dual_sub_nc_u32 v49, 29, v49 :: v_dual_bitop2_b32 v22, 7, v22 bitop3:0x40
; %bb.335:                              ;   in Loop: Header=BB316_232 Depth=1
	s_or_b32 exec_lo, exec_lo, s16
	s_delay_alu instid0(VALU_DEP_1) | instskip(NEXT) | instid1(VALU_DEP_2)
	v_dual_lshlrev_b32 v12, 16, v12 :: v_dual_lshlrev_b32 v22, 20, v22
	v_lshl_add_u32 v23, v49, 23, 0x3c000000
	s_delay_alu instid0(VALU_DEP_2) | instskip(NEXT) | instid1(VALU_DEP_1)
	v_and_b32_e32 v12, 0x80000000, v12
	v_or3_b32 v22, v22, v12, v23
.LBB316_336:                            ;   in Loop: Header=BB316_232 Depth=1
	s_or_b32 exec_lo, exec_lo, s15
.LBB316_337:                            ;   in Loop: Header=BB316_232 Depth=1
	s_delay_alu instid0(SALU_CYCLE_1)
	s_or_b32 exec_lo, exec_lo, s14
.LBB316_338:                            ;   in Loop: Header=BB316_232 Depth=1
	s_delay_alu instid0(SALU_CYCLE_1) | instskip(SKIP_3) | instid1(VALU_DEP_2)
	s_or_b32 exec_lo, exec_lo, s11
	v_dual_mov_b32 v50, 0 :: v_dual_lshrrev_b32 v23, 16, v21
	v_mov_b32_e32 v51, 0
	s_mov_b32 s11, exec_lo
	v_and_b32_e32 v12, 0xff, v23
	s_delay_alu instid0(VALU_DEP_1)
	v_cmpx_ne_u16_e32 0, v12
	s_cbranch_execz .LBB316_346
; %bb.339:                              ;   in Loop: Header=BB316_232 Depth=1
	v_bfrev_b32_e32 v51, 1
	s_mov_b32 s14, exec_lo
	v_cmpx_ne_u16_e32 0x80, v12
	s_cbranch_execz .LBB316_345
; %bb.340:                              ;   in Loop: Header=BB316_232 Depth=1
	v_bfe_u32 v52, v21, 16, 7
	v_mov_b32_e32 v51, 0x7f800001
	s_mov_b32 s15, exec_lo
	s_delay_alu instid0(VALU_DEP_2)
	v_cmpx_ne_u32_e32 0x7f, v52
	s_cbranch_execz .LBB316_344
; %bb.341:                              ;   in Loop: Header=BB316_232 Depth=1
	v_dual_lshrrev_b32 v49, 3, v52 :: v_dual_bitop2_b32 v12, 7, v23 bitop3:0x40
	s_mov_b32 s16, exec_lo
	v_cmpx_gt_u32_e32 8, v52
; %bb.342:                              ;   in Loop: Header=BB316_232 Depth=1
	s_delay_alu instid0(VALU_DEP_2) | instskip(NEXT) | instid1(VALU_DEP_1)
	v_clz_i32_u32_e32 v49, v12
	v_min_u32_e32 v49, 32, v49
	s_delay_alu instid0(VALU_DEP_1) | instskip(NEXT) | instid1(VALU_DEP_1)
	v_subrev_nc_u32_e32 v51, 28, v49
	v_lshlrev_b64_e32 v[52:53], v51, v[12:13]
	s_delay_alu instid0(VALU_DEP_1)
	v_dual_sub_nc_u32 v49, 29, v49 :: v_dual_bitop2_b32 v12, 7, v52 bitop3:0x40
; %bb.343:                              ;   in Loop: Header=BB316_232 Depth=1
	s_or_b32 exec_lo, exec_lo, s16
	s_delay_alu instid0(VALU_DEP_1) | instskip(NEXT) | instid1(VALU_DEP_2)
	v_dual_lshlrev_b32 v23, 24, v23 :: v_dual_lshlrev_b32 v12, 20, v12
	v_lshl_add_u32 v49, v49, 23, 0x3c000000
	s_delay_alu instid0(VALU_DEP_2) | instskip(NEXT) | instid1(VALU_DEP_1)
	v_and_b32_e32 v23, 0x80000000, v23
	v_or3_b32 v51, v12, v23, v49
.LBB316_344:                            ;   in Loop: Header=BB316_232 Depth=1
	s_or_b32 exec_lo, exec_lo, s15
.LBB316_345:                            ;   in Loop: Header=BB316_232 Depth=1
	s_delay_alu instid0(SALU_CYCLE_1)
	s_or_b32 exec_lo, exec_lo, s14
.LBB316_346:                            ;   in Loop: Header=BB316_232 Depth=1
	s_delay_alu instid0(SALU_CYCLE_1) | instskip(NEXT) | instid1(SALU_CYCLE_1)
	s_or_b32 exec_lo, exec_lo, s11
	s_mov_b32 s11, exec_lo
	v_cmpx_lt_u64_e64 s[2:3], v[20:21]
	s_cbranch_execz .LBB316_354
; %bb.347:                              ;   in Loop: Header=BB316_232 Depth=1
	v_lshrrev_b32_e32 v20, 24, v21
	v_bfrev_b32_e32 v50, 1
	s_mov_b32 s14, exec_lo
	s_delay_alu instid0(VALU_DEP_2)
	v_cmpx_ne_u32_e32 0x80, v20
	s_cbranch_execz .LBB316_353
; %bb.348:                              ;   in Loop: Header=BB316_232 Depth=1
	v_bfe_u32 v23, v21, 24, 7
	v_mov_b32_e32 v50, 0x7f800001
	s_mov_b32 s15, exec_lo
	s_delay_alu instid0(VALU_DEP_2)
	v_cmpx_ne_u32_e32 0x7f, v23
	s_cbranch_execz .LBB316_352
; %bb.349:                              ;   in Loop: Header=BB316_232 Depth=1
	v_dual_lshrrev_b32 v21, 3, v23 :: v_dual_bitop2_b32 v12, 7, v20 bitop3:0x40
	s_mov_b32 s16, exec_lo
	v_cmpx_gt_u32_e32 8, v23
; %bb.350:                              ;   in Loop: Header=BB316_232 Depth=1
	s_delay_alu instid0(VALU_DEP_2) | instskip(NEXT) | instid1(VALU_DEP_1)
	v_clz_i32_u32_e32 v21, v12
	v_min_u32_e32 v21, 32, v21
	s_delay_alu instid0(VALU_DEP_1) | instskip(NEXT) | instid1(VALU_DEP_1)
	v_subrev_nc_u32_e32 v23, 28, v21
	v_lshlrev_b64_e32 v[52:53], v23, v[12:13]
	s_delay_alu instid0(VALU_DEP_1)
	v_dual_sub_nc_u32 v21, 29, v21 :: v_dual_bitop2_b32 v12, 7, v52 bitop3:0x40
; %bb.351:                              ;   in Loop: Header=BB316_232 Depth=1
	s_or_b32 exec_lo, exec_lo, s16
	v_lshlrev_b32_e32 v20, 24, v20
	s_delay_alu instid0(VALU_DEP_2) | instskip(NEXT) | instid1(VALU_DEP_3)
	v_lshlrev_b32_e32 v12, 20, v12
	v_lshl_add_u32 v21, v21, 23, 0x3c000000
	s_delay_alu instid0(VALU_DEP_3) | instskip(NEXT) | instid1(VALU_DEP_1)
	v_and_b32_e32 v20, 0x80000000, v20
	v_or3_b32 v50, v12, v20, v21
.LBB316_352:                            ;   in Loop: Header=BB316_232 Depth=1
	s_or_b32 exec_lo, exec_lo, s15
.LBB316_353:                            ;   in Loop: Header=BB316_232 Depth=1
	s_delay_alu instid0(SALU_CYCLE_1)
	s_or_b32 exec_lo, exec_lo, s14
.LBB316_354:                            ;   in Loop: Header=BB316_232 Depth=1
	s_delay_alu instid0(SALU_CYCLE_1)
	s_or_b32 exec_lo, exec_lo, s11
	v_fma_mixlo_bf16 v22, s6, v22, 0
	v_fma_mixlo_bf16 v23, s6, v48, 0
	;; [unrolled: 1-line block ×8, first 2 shown]
	s_and_saveexec_b32 s11, vcc_lo
	s_cbranch_execz .LBB316_356
; %bb.355:                              ;   in Loop: Header=BB316_232 Depth=1
	v_cmp_gt_i32_e64 s0, s23, v37
	s_delay_alu instid0(VALU_DEP_1) | instskip(SKIP_1) | instid1(VALU_DEP_1)
	v_cndmask_b32_e64 v49, 0, v49, s0
	v_cmp_gt_i32_e64 s0, s23, v43
	v_cndmask_b32_e64 v48, 0, v48, s0
	v_cmp_gt_i32_e64 s0, s23, v42
	s_delay_alu instid0(VALU_DEP_1) | instskip(SKIP_1) | instid1(VALU_DEP_1)
	v_cndmask_b32_e64 v47, 0, v47, s0
	v_cmp_gt_i32_e64 s0, s23, v41
	v_cndmask_b32_e64 v46, 0, v46, s0
	;; [unrolled: 5-line block ×4, first 2 shown]
.LBB316_356:                            ;   in Loop: Header=BB316_232 Depth=1
	s_or_b32 exec_lo, exec_lo, s11
	global_load_b64 v[18:19], v[18:19], off offset:512
	v_dual_mov_b32 v51, 0 :: v_dual_mov_b32 v50, 0
	s_mov_b32 s11, exec_lo
	s_wait_loadcnt 0x0
	v_and_b32_e32 v12, 0xff, v18
	s_delay_alu instid0(VALU_DEP_1)
	v_cmpx_ne_u16_e32 0, v12
	s_cbranch_execz .LBB316_362
; %bb.357:                              ;   in Loop: Header=BB316_232 Depth=1
	v_bfrev_b32_e32 v50, 1
	s_mov_b32 s14, exec_lo
	v_cmpx_ne_u16_e32 0x80, v12
	s_cbranch_execz .LBB316_361
; %bb.358:                              ;   in Loop: Header=BB316_232 Depth=1
	v_and_b32_e32 v12, 0x7f, v18
	v_mov_b32_e32 v50, 0x7f800001
	s_mov_b32 s15, exec_lo
	s_delay_alu instid0(VALU_DEP_2)
	v_cmpx_ne_u32_e32 0x7f, v12
	s_cbranch_execz .LBB316_360
; %bb.359:                              ;   in Loop: Header=BB316_232 Depth=1
	v_dual_lshrrev_b32 v21, 3, v12 :: v_dual_bitop2_b32 v20, 7, v18 bitop3:0x40
	v_cmp_gt_u32_e64 s0, 8, v12
	s_delay_alu instid0(VALU_DEP_2) | instskip(NEXT) | instid1(VALU_DEP_1)
	v_clz_i32_u32_e32 v20, v20
	v_min_u32_e32 v20, 32, v20
	s_delay_alu instid0(VALU_DEP_1) | instskip(SKIP_1) | instid1(VALU_DEP_1)
	v_subrev_nc_u32_e32 v50, 28, v20
	v_sub_nc_u32_e32 v20, 29, v20
	v_dual_cndmask_b32 v12, v21, v20, s0 :: v_dual_cndmask_b32 v20, 0, v50, s0
	s_delay_alu instid0(VALU_DEP_1) | instskip(NEXT) | instid1(VALU_DEP_2)
	v_lshl_add_u32 v12, v12, 23, 0x3c000000
	v_lshlrev_b64_e32 v[20:21], v20, v[18:19]
	v_lshlrev_b32_e32 v21, 24, v18
	s_delay_alu instid0(VALU_DEP_1) | instskip(NEXT) | instid1(VALU_DEP_3)
	v_and_b32_e32 v21, 0x80000000, v21
	v_lshlrev_b32_e32 v20, 20, v20
	s_delay_alu instid0(VALU_DEP_1) | instskip(NEXT) | instid1(VALU_DEP_1)
	v_and_b32_e32 v20, 0x700000, v20
	v_or3_b32 v50, v20, v21, v12
.LBB316_360:                            ;   in Loop: Header=BB316_232 Depth=1
	s_or_b32 exec_lo, exec_lo, s15
.LBB316_361:                            ;   in Loop: Header=BB316_232 Depth=1
	s_delay_alu instid0(SALU_CYCLE_1)
	s_or_b32 exec_lo, exec_lo, s14
.LBB316_362:                            ;   in Loop: Header=BB316_232 Depth=1
	s_delay_alu instid0(SALU_CYCLE_1) | instskip(SKIP_2) | instid1(VALU_DEP_1)
	s_or_b32 exec_lo, exec_lo, s11
	v_lshrrev_b16 v12, 8, v18
	s_mov_b32 s11, exec_lo
	v_cmpx_ne_u16_e32 0, v12
	s_cbranch_execz .LBB316_370
; %bb.363:                              ;   in Loop: Header=BB316_232 Depth=1
	v_bfrev_b32_e32 v51, 1
	s_mov_b32 s14, exec_lo
	v_cmpx_ne_u16_e32 0x80, v12
	s_cbranch_execz .LBB316_369
; %bb.364:                              ;   in Loop: Header=BB316_232 Depth=1
	v_and_b32_e32 v12, 0xffff, v12
	v_mov_b32_e32 v51, 0x7f800001
	s_mov_b32 s15, exec_lo
	s_delay_alu instid0(VALU_DEP_2) | instskip(NEXT) | instid1(VALU_DEP_1)
	v_and_b32_e32 v21, 0x7f, v12
	v_cmpx_ne_u32_e32 0x7f, v21
	s_cbranch_execz .LBB316_368
; %bb.365:                              ;   in Loop: Header=BB316_232 Depth=1
	v_dual_lshrrev_b32 v20, 3, v21 :: v_dual_bitop2_b32 v12, 7, v12 bitop3:0x40
	s_mov_b32 s16, exec_lo
	v_cmpx_gt_u32_e32 8, v21
; %bb.366:                              ;   in Loop: Header=BB316_232 Depth=1
	s_delay_alu instid0(VALU_DEP_2) | instskip(NEXT) | instid1(VALU_DEP_1)
	v_clz_i32_u32_e32 v20, v12
	v_min_u32_e32 v20, 32, v20
	s_delay_alu instid0(VALU_DEP_1) | instskip(SKIP_1) | instid1(VALU_DEP_2)
	v_subrev_nc_u32_e32 v21, 28, v20
	v_sub_nc_u32_e32 v20, 29, v20
	v_lshlrev_b64_e32 v[52:53], v21, v[12:13]
	s_delay_alu instid0(VALU_DEP_1)
	v_and_b32_e32 v12, 7, v52
; %bb.367:                              ;   in Loop: Header=BB316_232 Depth=1
	s_or_b32 exec_lo, exec_lo, s16
	s_delay_alu instid0(VALU_DEP_1) | instskip(SKIP_1) | instid1(VALU_DEP_2)
	v_dual_lshlrev_b32 v21, 16, v18 :: v_dual_lshlrev_b32 v12, 20, v12
	v_lshl_add_u32 v20, v20, 23, 0x3c000000
	v_and_b32_e32 v21, 0x80000000, v21
	s_delay_alu instid0(VALU_DEP_1)
	v_or3_b32 v51, v12, v21, v20
.LBB316_368:                            ;   in Loop: Header=BB316_232 Depth=1
	s_or_b32 exec_lo, exec_lo, s15
.LBB316_369:                            ;   in Loop: Header=BB316_232 Depth=1
	s_delay_alu instid0(SALU_CYCLE_1)
	s_or_b32 exec_lo, exec_lo, s14
.LBB316_370:                            ;   in Loop: Header=BB316_232 Depth=1
	s_delay_alu instid0(SALU_CYCLE_1) | instskip(SKIP_3) | instid1(VALU_DEP_2)
	s_or_b32 exec_lo, exec_lo, s11
	v_dual_mov_b32 v53, 0 :: v_dual_lshrrev_b32 v20, 16, v18
	v_mov_b32_e32 v52, 0
	s_mov_b32 s11, exec_lo
	v_and_b32_e32 v12, 0xff, v20
	s_delay_alu instid0(VALU_DEP_1)
	v_cmpx_ne_u16_e32 0, v12
	s_cbranch_execz .LBB316_378
; %bb.371:                              ;   in Loop: Header=BB316_232 Depth=1
	v_bfrev_b32_e32 v52, 1
	s_mov_b32 s14, exec_lo
	v_cmpx_ne_u16_e32 0x80, v12
	s_cbranch_execz .LBB316_377
; %bb.372:                              ;   in Loop: Header=BB316_232 Depth=1
	v_bfe_u32 v54, v18, 16, 7
	v_mov_b32_e32 v52, 0x7f800001
	s_mov_b32 s15, exec_lo
	s_delay_alu instid0(VALU_DEP_2)
	v_cmpx_ne_u32_e32 0x7f, v54
	s_cbranch_execz .LBB316_376
; %bb.373:                              ;   in Loop: Header=BB316_232 Depth=1
	v_dual_lshrrev_b32 v21, 3, v54 :: v_dual_bitop2_b32 v12, 7, v20 bitop3:0x40
	s_mov_b32 s16, exec_lo
	v_cmpx_gt_u32_e32 8, v54
; %bb.374:                              ;   in Loop: Header=BB316_232 Depth=1
	s_delay_alu instid0(VALU_DEP_2) | instskip(NEXT) | instid1(VALU_DEP_1)
	v_clz_i32_u32_e32 v21, v12
	v_min_u32_e32 v21, 32, v21
	s_delay_alu instid0(VALU_DEP_1) | instskip(NEXT) | instid1(VALU_DEP_1)
	v_subrev_nc_u32_e32 v52, 28, v21
	v_lshlrev_b64_e32 v[54:55], v52, v[12:13]
	s_delay_alu instid0(VALU_DEP_1)
	v_dual_sub_nc_u32 v21, 29, v21 :: v_dual_bitop2_b32 v12, 7, v54 bitop3:0x40
; %bb.375:                              ;   in Loop: Header=BB316_232 Depth=1
	s_or_b32 exec_lo, exec_lo, s16
	v_lshlrev_b32_e32 v20, 24, v20
	s_delay_alu instid0(VALU_DEP_2) | instskip(NEXT) | instid1(VALU_DEP_3)
	v_lshlrev_b32_e32 v12, 20, v12
	v_lshl_add_u32 v21, v21, 23, 0x3c000000
	s_delay_alu instid0(VALU_DEP_3) | instskip(NEXT) | instid1(VALU_DEP_1)
	v_and_b32_e32 v20, 0x80000000, v20
	v_or3_b32 v52, v12, v20, v21
.LBB316_376:                            ;   in Loop: Header=BB316_232 Depth=1
	s_or_b32 exec_lo, exec_lo, s15
.LBB316_377:                            ;   in Loop: Header=BB316_232 Depth=1
	s_delay_alu instid0(SALU_CYCLE_1)
	s_or_b32 exec_lo, exec_lo, s14
.LBB316_378:                            ;   in Loop: Header=BB316_232 Depth=1
	s_delay_alu instid0(SALU_CYCLE_1) | instskip(NEXT) | instid1(SALU_CYCLE_1)
	s_or_b32 exec_lo, exec_lo, s11
	s_mov_b32 s11, exec_lo
	v_cmpx_lt_u32_e32 0xffffff, v18
	s_cbranch_execz .LBB316_386
; %bb.379:                              ;   in Loop: Header=BB316_232 Depth=1
	v_lshrrev_b32_e32 v20, 24, v18
	v_bfrev_b32_e32 v53, 1
	s_mov_b32 s14, exec_lo
	s_delay_alu instid0(VALU_DEP_2)
	v_cmpx_ne_u32_e32 0x80, v20
	s_cbranch_execz .LBB316_385
; %bb.380:                              ;   in Loop: Header=BB316_232 Depth=1
	v_bfe_u32 v54, v18, 24, 7
	v_mov_b32_e32 v53, 0x7f800001
	s_mov_b32 s15, exec_lo
	s_delay_alu instid0(VALU_DEP_2)
	v_cmpx_ne_u32_e32 0x7f, v54
	s_cbranch_execz .LBB316_384
; %bb.381:                              ;   in Loop: Header=BB316_232 Depth=1
	v_dual_lshrrev_b32 v21, 3, v54 :: v_dual_bitop2_b32 v12, 7, v20 bitop3:0x40
	s_mov_b32 s16, exec_lo
	v_cmpx_gt_u32_e32 8, v54
; %bb.382:                              ;   in Loop: Header=BB316_232 Depth=1
	s_delay_alu instid0(VALU_DEP_2) | instskip(NEXT) | instid1(VALU_DEP_1)
	v_clz_i32_u32_e32 v21, v12
	v_min_u32_e32 v21, 32, v21
	s_delay_alu instid0(VALU_DEP_1) | instskip(NEXT) | instid1(VALU_DEP_1)
	v_subrev_nc_u32_e32 v53, 28, v21
	v_lshlrev_b64_e32 v[54:55], v53, v[12:13]
	s_delay_alu instid0(VALU_DEP_1)
	v_dual_sub_nc_u32 v21, 29, v21 :: v_dual_bitop2_b32 v12, 7, v54 bitop3:0x40
; %bb.383:                              ;   in Loop: Header=BB316_232 Depth=1
	s_or_b32 exec_lo, exec_lo, s16
	v_lshlrev_b32_e32 v20, 24, v20
	s_delay_alu instid0(VALU_DEP_2) | instskip(NEXT) | instid1(VALU_DEP_3)
	v_lshlrev_b32_e32 v12, 20, v12
	v_lshl_add_u32 v21, v21, 23, 0x3c000000
	s_delay_alu instid0(VALU_DEP_3) | instskip(NEXT) | instid1(VALU_DEP_1)
	v_and_b32_e32 v20, 0x80000000, v20
	v_or3_b32 v53, v12, v20, v21
.LBB316_384:                            ;   in Loop: Header=BB316_232 Depth=1
	s_or_b32 exec_lo, exec_lo, s15
.LBB316_385:                            ;   in Loop: Header=BB316_232 Depth=1
	s_delay_alu instid0(SALU_CYCLE_1)
	s_or_b32 exec_lo, exec_lo, s14
.LBB316_386:                            ;   in Loop: Header=BB316_232 Depth=1
	s_delay_alu instid0(SALU_CYCLE_1) | instskip(SKIP_4) | instid1(VALU_DEP_3)
	s_or_b32 exec_lo, exec_lo, s11
	v_and_b32_e32 v21, 0xff, v19
	v_dual_mov_b32 v12, v19 :: v_dual_mov_b32 v20, 0
	v_mov_b32_e32 v54, 0
	s_mov_b32 s11, exec_lo
	v_cmpx_ne_u16_e32 0, v21
	s_cbranch_execz .LBB316_392
; %bb.387:                              ;   in Loop: Header=BB316_232 Depth=1
	v_bfrev_b32_e32 v54, 1
	s_mov_b32 s14, exec_lo
	v_cmpx_ne_u16_e32 0x80, v21
	s_cbranch_execz .LBB316_391
; %bb.388:                              ;   in Loop: Header=BB316_232 Depth=1
	v_and_b32_e32 v21, 0x7f, v19
	v_mov_b32_e32 v54, 0x7f800001
	s_mov_b32 s15, exec_lo
	s_delay_alu instid0(VALU_DEP_2)
	v_cmpx_ne_u32_e32 0x7f, v21
	s_cbranch_execz .LBB316_390
; %bb.389:                              ;   in Loop: Header=BB316_232 Depth=1
	v_dual_lshrrev_b32 v55, 3, v21 :: v_dual_bitop2_b32 v54, 7, v19 bitop3:0x40
	v_cmp_gt_u32_e64 s0, 8, v21
	s_delay_alu instid0(VALU_DEP_2) | instskip(NEXT) | instid1(VALU_DEP_1)
	v_clz_i32_u32_e32 v54, v54
	v_min_u32_e32 v54, 32, v54
	s_delay_alu instid0(VALU_DEP_1) | instskip(SKIP_1) | instid1(VALU_DEP_1)
	v_subrev_nc_u32_e32 v56, 28, v54
	v_sub_nc_u32_e32 v54, 29, v54
	v_dual_cndmask_b32 v21, v55, v54, s0 :: v_dual_cndmask_b32 v54, 0, v56, s0
	s_delay_alu instid0(VALU_DEP_1) | instskip(NEXT) | instid1(VALU_DEP_2)
	v_lshl_add_u32 v21, v21, 23, 0x3c000000
	v_lshlrev_b64_e32 v[54:55], v54, v[12:13]
	v_lshlrev_b32_e32 v55, 24, v12
	s_delay_alu instid0(VALU_DEP_1) | instskip(NEXT) | instid1(VALU_DEP_3)
	v_and_b32_e32 v55, 0x80000000, v55
	v_lshlrev_b32_e32 v54, 20, v54
	s_delay_alu instid0(VALU_DEP_1) | instskip(NEXT) | instid1(VALU_DEP_1)
	v_and_b32_e32 v54, 0x700000, v54
	v_or3_b32 v54, v54, v55, v21
.LBB316_390:                            ;   in Loop: Header=BB316_232 Depth=1
	s_or_b32 exec_lo, exec_lo, s15
.LBB316_391:                            ;   in Loop: Header=BB316_232 Depth=1
	s_delay_alu instid0(SALU_CYCLE_1)
	s_or_b32 exec_lo, exec_lo, s14
.LBB316_392:                            ;   in Loop: Header=BB316_232 Depth=1
	s_delay_alu instid0(SALU_CYCLE_1) | instskip(SKIP_2) | instid1(VALU_DEP_1)
	s_or_b32 exec_lo, exec_lo, s11
	v_lshrrev_b16 v21, 8, v12
	s_mov_b32 s11, exec_lo
	v_cmpx_ne_u16_e32 0, v21
	s_cbranch_execz .LBB316_400
; %bb.393:                              ;   in Loop: Header=BB316_232 Depth=1
	v_bfrev_b32_e32 v20, 1
	s_mov_b32 s14, exec_lo
	v_cmpx_ne_u16_e32 0x80, v21
	s_cbranch_execz .LBB316_399
; %bb.394:                              ;   in Loop: Header=BB316_232 Depth=1
	v_and_b32_e32 v21, 0xffff, v21
	v_mov_b32_e32 v20, 0x7f800001
	s_mov_b32 s15, exec_lo
	s_delay_alu instid0(VALU_DEP_2) | instskip(NEXT) | instid1(VALU_DEP_1)
	v_and_b32_e32 v56, 0x7f, v21
	v_cmpx_ne_u32_e32 0x7f, v56
	s_cbranch_execz .LBB316_398
; %bb.395:                              ;   in Loop: Header=BB316_232 Depth=1
	v_dual_mov_b32 v21, v13 :: v_dual_bitop2_b32 v20, 7, v21 bitop3:0x40
	v_lshrrev_b32_e32 v55, 3, v56
	s_mov_b32 s16, exec_lo
	v_cmpx_gt_u32_e32 8, v56
; %bb.396:                              ;   in Loop: Header=BB316_232 Depth=1
	s_delay_alu instid0(VALU_DEP_3) | instskip(NEXT) | instid1(VALU_DEP_1)
	v_clz_i32_u32_e32 v55, v20
	v_min_u32_e32 v55, 32, v55
	s_delay_alu instid0(VALU_DEP_1) | instskip(NEXT) | instid1(VALU_DEP_1)
	v_subrev_nc_u32_e32 v56, 28, v55
	v_lshlrev_b64_e32 v[20:21], v56, v[20:21]
	s_delay_alu instid0(VALU_DEP_1)
	v_dual_sub_nc_u32 v55, 29, v55 :: v_dual_bitop2_b32 v20, 7, v20 bitop3:0x40
; %bb.397:                              ;   in Loop: Header=BB316_232 Depth=1
	s_or_b32 exec_lo, exec_lo, s16
	v_lshlrev_b32_e32 v12, 16, v12
	s_delay_alu instid0(VALU_DEP_2) | instskip(NEXT) | instid1(VALU_DEP_3)
	v_lshlrev_b32_e32 v20, 20, v20
	v_lshl_add_u32 v21, v55, 23, 0x3c000000
	s_delay_alu instid0(VALU_DEP_3) | instskip(NEXT) | instid1(VALU_DEP_1)
	v_and_b32_e32 v12, 0x80000000, v12
	v_or3_b32 v20, v20, v12, v21
.LBB316_398:                            ;   in Loop: Header=BB316_232 Depth=1
	s_or_b32 exec_lo, exec_lo, s15
.LBB316_399:                            ;   in Loop: Header=BB316_232 Depth=1
	s_delay_alu instid0(SALU_CYCLE_1)
	s_or_b32 exec_lo, exec_lo, s14
.LBB316_400:                            ;   in Loop: Header=BB316_232 Depth=1
	s_delay_alu instid0(SALU_CYCLE_1) | instskip(SKIP_3) | instid1(VALU_DEP_2)
	s_or_b32 exec_lo, exec_lo, s11
	v_dual_mov_b32 v21, 0 :: v_dual_lshrrev_b32 v56, 16, v19
	v_mov_b32_e32 v55, 0
	s_mov_b32 s11, exec_lo
	v_and_b32_e32 v12, 0xff, v56
	s_delay_alu instid0(VALU_DEP_1)
	v_cmpx_ne_u16_e32 0, v12
	s_cbranch_execz .LBB316_408
; %bb.401:                              ;   in Loop: Header=BB316_232 Depth=1
	v_bfrev_b32_e32 v55, 1
	s_mov_b32 s14, exec_lo
	v_cmpx_ne_u16_e32 0x80, v12
	s_cbranch_execz .LBB316_407
; %bb.402:                              ;   in Loop: Header=BB316_232 Depth=1
	v_bfe_u32 v57, v19, 16, 7
	v_mov_b32_e32 v55, 0x7f800001
	s_mov_b32 s15, exec_lo
	s_delay_alu instid0(VALU_DEP_2)
	v_cmpx_ne_u32_e32 0x7f, v57
	s_cbranch_execz .LBB316_406
; %bb.403:                              ;   in Loop: Header=BB316_232 Depth=1
	v_dual_lshrrev_b32 v55, 3, v57 :: v_dual_bitop2_b32 v12, 7, v56 bitop3:0x40
	s_mov_b32 s16, exec_lo
	v_cmpx_gt_u32_e32 8, v57
; %bb.404:                              ;   in Loop: Header=BB316_232 Depth=1
	s_delay_alu instid0(VALU_DEP_2) | instskip(NEXT) | instid1(VALU_DEP_1)
	v_clz_i32_u32_e32 v55, v12
	v_min_u32_e32 v55, 32, v55
	s_delay_alu instid0(VALU_DEP_1) | instskip(NEXT) | instid1(VALU_DEP_1)
	v_subrev_nc_u32_e32 v57, 28, v55
	v_lshlrev_b64_e32 v[58:59], v57, v[12:13]
	s_delay_alu instid0(VALU_DEP_1)
	v_dual_sub_nc_u32 v55, 29, v55 :: v_dual_bitop2_b32 v12, 7, v58 bitop3:0x40
; %bb.405:                              ;   in Loop: Header=BB316_232 Depth=1
	s_or_b32 exec_lo, exec_lo, s16
	v_lshlrev_b32_e32 v56, 24, v56
	s_delay_alu instid0(VALU_DEP_2) | instskip(NEXT) | instid1(VALU_DEP_3)
	v_lshlrev_b32_e32 v12, 20, v12
	v_lshl_add_u32 v55, v55, 23, 0x3c000000
	s_delay_alu instid0(VALU_DEP_3) | instskip(NEXT) | instid1(VALU_DEP_1)
	v_and_b32_e32 v56, 0x80000000, v56
	v_or3_b32 v55, v12, v56, v55
.LBB316_406:                            ;   in Loop: Header=BB316_232 Depth=1
	s_or_b32 exec_lo, exec_lo, s15
.LBB316_407:                            ;   in Loop: Header=BB316_232 Depth=1
	s_delay_alu instid0(SALU_CYCLE_1)
	s_or_b32 exec_lo, exec_lo, s14
.LBB316_408:                            ;   in Loop: Header=BB316_232 Depth=1
	s_delay_alu instid0(SALU_CYCLE_1) | instskip(NEXT) | instid1(SALU_CYCLE_1)
	s_or_b32 exec_lo, exec_lo, s11
	s_mov_b32 s11, exec_lo
	v_cmpx_lt_u64_e64 s[2:3], v[18:19]
	s_cbranch_execz .LBB316_416
; %bb.409:                              ;   in Loop: Header=BB316_232 Depth=1
	v_lshrrev_b32_e32 v18, 24, v19
	v_bfrev_b32_e32 v21, 1
	s_mov_b32 s14, exec_lo
	s_delay_alu instid0(VALU_DEP_2)
	v_cmpx_ne_u32_e32 0x80, v18
	s_cbranch_execz .LBB316_415
; %bb.410:                              ;   in Loop: Header=BB316_232 Depth=1
	v_bfe_u32 v56, v19, 24, 7
	v_mov_b32_e32 v21, 0x7f800001
	s_mov_b32 s15, exec_lo
	s_delay_alu instid0(VALU_DEP_2)
	v_cmpx_ne_u32_e32 0x7f, v56
	s_cbranch_execz .LBB316_414
; %bb.411:                              ;   in Loop: Header=BB316_232 Depth=1
	v_dual_lshrrev_b32 v19, 3, v56 :: v_dual_bitop2_b32 v12, 7, v18 bitop3:0x40
	s_mov_b32 s16, exec_lo
	v_cmpx_gt_u32_e32 8, v56
; %bb.412:                              ;   in Loop: Header=BB316_232 Depth=1
	s_delay_alu instid0(VALU_DEP_2) | instskip(NEXT) | instid1(VALU_DEP_1)
	v_clz_i32_u32_e32 v19, v12
	v_min_u32_e32 v19, 32, v19
	s_delay_alu instid0(VALU_DEP_1) | instskip(NEXT) | instid1(VALU_DEP_1)
	v_subrev_nc_u32_e32 v21, 28, v19
	v_lshlrev_b64_e32 v[56:57], v21, v[12:13]
	s_delay_alu instid0(VALU_DEP_1)
	v_dual_sub_nc_u32 v19, 29, v19 :: v_dual_bitop2_b32 v12, 7, v56 bitop3:0x40
; %bb.413:                              ;   in Loop: Header=BB316_232 Depth=1
	s_or_b32 exec_lo, exec_lo, s16
	s_delay_alu instid0(VALU_DEP_1) | instskip(NEXT) | instid1(VALU_DEP_2)
	v_dual_lshlrev_b32 v18, 24, v18 :: v_dual_lshlrev_b32 v12, 20, v12
	v_lshl_add_u32 v19, v19, 23, 0x3c000000
	s_delay_alu instid0(VALU_DEP_2) | instskip(NEXT) | instid1(VALU_DEP_1)
	v_and_b32_e32 v18, 0x80000000, v18
	v_or3_b32 v21, v12, v18, v19
.LBB316_414:                            ;   in Loop: Header=BB316_232 Depth=1
	s_or_b32 exec_lo, exec_lo, s15
.LBB316_415:                            ;   in Loop: Header=BB316_232 Depth=1
	s_delay_alu instid0(SALU_CYCLE_1)
	s_or_b32 exec_lo, exec_lo, s14
.LBB316_416:                            ;   in Loop: Header=BB316_232 Depth=1
	s_delay_alu instid0(SALU_CYCLE_1)
	s_or_b32 exec_lo, exec_lo, s11
	v_fma_mixlo_bf16 v12, s6, v20, 0
	v_fma_mixlo_bf16 v18, s6, v54, 0
	;; [unrolled: 1-line block ×8, first 2 shown]
	s_and_saveexec_b32 s0, vcc_lo
	s_cbranch_execz .LBB316_231
; %bb.417:                              ;   in Loop: Header=BB316_232 Depth=1
	v_cmp_gt_i32_e32 vcc_lo, s23, v37
	v_cndmask_b32_e32 v50, 0, v50, vcc_lo
	v_cmp_gt_i32_e32 vcc_lo, s23, v43
	v_cndmask_b32_e32 v51, 0, v51, vcc_lo
	;; [unrolled: 2-line block ×8, first 2 shown]
	s_branch .LBB316_231
.LBB316_418:
	s_or_b32 exec_lo, exec_lo, s9
.LBB316_419:
	s_delay_alu instid0(SALU_CYCLE_1) | instskip(SKIP_4) | instid1(VALU_DEP_2)
	s_or_b32 exec_lo, exec_lo, s1
	v_lshl_add_u32 v2, v24, 2, 0xe0
	v_and_b32_e32 v3, 0x3c0, v0
	s_mov_b32 s0, exec_lo
	s_barrier_signal -1
	v_mad_u32_u24 v1, 0x180, v1, v2
	s_barrier_wait -1
	v_cmpx_eq_u32_e32 64, v3
	s_cbranch_execz .LBB316_421
; %bb.420:
	s_delay_alu instid0(VALU_DEP_2)
	v_add_nc_u32_e32 v3, 0xfffffd00, v1
	v_add_nc_u32_e32 v4, 0xfffffd80, v1
	;; [unrolled: 1-line block ×3, first 2 shown]
	ds_store_b32 v3, v10
	ds_store_b32 v4, v11
	ds_store_b32 v5, v25
.LBB316_421:
	s_or_b32 exec_lo, exec_lo, s0
	s_delay_alu instid0(SALU_CYCLE_1)
	s_mov_b32 s0, exec_lo
	s_wait_dscnt 0x0
	s_barrier_signal -1
	s_barrier_wait -1
	v_cmpx_gt_u32_e32 64, v0
	s_cbranch_execz .LBB316_423
; %bb.422:
	ds_load_2addr_b32 v[4:5], v1 offset1:32
	ds_load_b32 v3, v1 offset:256
	s_wait_dscnt 0x1
	v_pk_add_f32 v[10:11], v[10:11], v[4:5]
	s_wait_dscnt 0x0
	v_add_f32_e32 v25, v25, v3
.LBB316_423:
	s_or_b32 exec_lo, exec_lo, s0
	v_and_b32_e32 v3, 0x3e0, v0
	s_mov_b32 s0, exec_lo
	s_barrier_signal -1
	s_barrier_wait -1
	s_delay_alu instid0(VALU_DEP_1)
	v_cmpx_eq_u32_e32 32, v3
	s_cbranch_execz .LBB316_425
; %bb.424:
	ds_store_2addr_b32 v2, v10, v11 offset1:32
	ds_store_b32 v2, v25 offset:256
.LBB316_425:
	s_or_b32 exec_lo, exec_lo, s0
	v_cmp_gt_u32_e32 vcc_lo, 32, v0
	s_wait_dscnt 0x0
	s_barrier_signal -1
	s_barrier_wait -1
	s_and_saveexec_b32 s0, vcc_lo
	s_cbranch_execz .LBB316_427
; %bb.426:
	ds_load_2addr_b32 v[2:3], v1 offset1:32
	ds_load_b32 v1, v1 offset:256
	s_wait_dscnt 0x1
	v_pk_add_f32 v[10:11], v[10:11], v[2:3]
	s_wait_dscnt 0x0
	v_add_f32_e32 v25, v25, v1
.LBB316_427:
	s_or_b32 exec_lo, exec_lo, s0
	s_barrier_signal -1
	s_barrier_wait -1
	s_and_saveexec_b32 s0, vcc_lo
	s_cbranch_execz .LBB316_429
; %bb.428:
	s_mul_i32 s1, s22, s8
	s_bfe_u32 s7, ttmp6, 0x40014
	s_mul_i32 s1, s1, s21
	s_mul_i32 s0, s8, s12
	;; [unrolled: 1-line block ×3, first 2 shown]
	s_lshr_b32 s6, ttmp7, 16
	s_ashr_i32 s3, s2, 31
	s_add_co_i32 s7, s7, 1
	s_lshl_b64 s[2:3], s[2:3], 1
	s_ashr_i32 s1, s0, 31
	s_wait_kmcnt 0x0
	s_add_nc_u64 s[2:3], s[4:5], s[2:3]
	s_mul_i32 s4, s6, s7
	s_bfe_u32 s5, ttmp6, 0x40008
	s_lshl_b64 s[0:1], s[0:1], 1
	s_add_co_i32 s5, s5, s4
	s_cmp_eq_u32 s20, 0
	s_add_nc_u64 s[0:1], s[2:3], s[0:1]
	s_cselect_b32 s2, s6, s5
	v_cvt_pk_bf16_f32 v1, v10, s0
	s_mov_b32 s3, 0
	s_mulk_i32 s2, 0xc0
	v_cvt_pk_bf16_f32 v2, v11, s0
	v_cvt_pk_bf16_f32 v3, v25, s0
	s_add_nc_u64 s[0:1], s[0:1], s[2:3]
	s_clause 0x2
	global_store_b16 v0, v1, s[0:1] scale_offset
	global_store_b16 v0, v2, s[0:1] offset:64 scale_offset
	global_store_b16 v0, v3, s[0:1] offset:128 scale_offset
.LBB316_429:
	s_sendmsg sendmsg(MSG_DEALLOC_VGPRS)
	s_endpgm
	.section	.rodata,"a",@progbits
	.p2align	6, 0x0
	.amdhsa_kernel _ZN4vllm25paged_attention_v1_kernelI14__hip_bfloat16hLi96ELi8ELi128ELNS_18Fp8KVCacheDataTypeE1ELb0EEEvPT_PKS3_PKT0_S9_ifPKiSB_iPKfiiiSD_SD_iiiii
		.amdhsa_group_segment_fixed_size 224
		.amdhsa_private_segment_fixed_size 0
		.amdhsa_kernarg_size 384
		.amdhsa_user_sgpr_count 2
		.amdhsa_user_sgpr_dispatch_ptr 0
		.amdhsa_user_sgpr_queue_ptr 0
		.amdhsa_user_sgpr_kernarg_segment_ptr 1
		.amdhsa_user_sgpr_dispatch_id 0
		.amdhsa_user_sgpr_kernarg_preload_length 0
		.amdhsa_user_sgpr_kernarg_preload_offset 0
		.amdhsa_user_sgpr_private_segment_size 0
		.amdhsa_wavefront_size32 1
		.amdhsa_uses_dynamic_stack 0
		.amdhsa_enable_private_segment 0
		.amdhsa_system_sgpr_workgroup_id_x 1
		.amdhsa_system_sgpr_workgroup_id_y 1
		.amdhsa_system_sgpr_workgroup_id_z 1
		.amdhsa_system_sgpr_workgroup_info 0
		.amdhsa_system_vgpr_workitem_id 0
		.amdhsa_next_free_vgpr 68
		.amdhsa_next_free_sgpr 31
		.amdhsa_named_barrier_count 0
		.amdhsa_reserve_vcc 1
		.amdhsa_float_round_mode_32 0
		.amdhsa_float_round_mode_16_64 0
		.amdhsa_float_denorm_mode_32 3
		.amdhsa_float_denorm_mode_16_64 3
		.amdhsa_fp16_overflow 0
		.amdhsa_memory_ordered 1
		.amdhsa_forward_progress 1
		.amdhsa_inst_pref_size 126
		.amdhsa_round_robin_scheduling 0
		.amdhsa_exception_fp_ieee_invalid_op 0
		.amdhsa_exception_fp_denorm_src 0
		.amdhsa_exception_fp_ieee_div_zero 0
		.amdhsa_exception_fp_ieee_overflow 0
		.amdhsa_exception_fp_ieee_underflow 0
		.amdhsa_exception_fp_ieee_inexact 0
		.amdhsa_exception_int_div_zero 0
	.end_amdhsa_kernel
	.section	.text._ZN4vllm25paged_attention_v1_kernelI14__hip_bfloat16hLi96ELi8ELi128ELNS_18Fp8KVCacheDataTypeE1ELb0EEEvPT_PKS3_PKT0_S9_ifPKiSB_iPKfiiiSD_SD_iiiii,"axG",@progbits,_ZN4vllm25paged_attention_v1_kernelI14__hip_bfloat16hLi96ELi8ELi128ELNS_18Fp8KVCacheDataTypeE1ELb0EEEvPT_PKS3_PKT0_S9_ifPKiSB_iPKfiiiSD_SD_iiiii,comdat
.Lfunc_end316:
	.size	_ZN4vllm25paged_attention_v1_kernelI14__hip_bfloat16hLi96ELi8ELi128ELNS_18Fp8KVCacheDataTypeE1ELb0EEEvPT_PKS3_PKT0_S9_ifPKiSB_iPKfiiiSD_SD_iiiii, .Lfunc_end316-_ZN4vllm25paged_attention_v1_kernelI14__hip_bfloat16hLi96ELi8ELi128ELNS_18Fp8KVCacheDataTypeE1ELb0EEEvPT_PKS3_PKT0_S9_ifPKiSB_iPKfiiiSD_SD_iiiii
                                        ; -- End function
	.set _ZN4vllm25paged_attention_v1_kernelI14__hip_bfloat16hLi96ELi8ELi128ELNS_18Fp8KVCacheDataTypeE1ELb0EEEvPT_PKS3_PKT0_S9_ifPKiSB_iPKfiiiSD_SD_iiiii.num_vgpr, 68
	.set _ZN4vllm25paged_attention_v1_kernelI14__hip_bfloat16hLi96ELi8ELi128ELNS_18Fp8KVCacheDataTypeE1ELb0EEEvPT_PKS3_PKT0_S9_ifPKiSB_iPKfiiiSD_SD_iiiii.num_agpr, 0
	.set _ZN4vllm25paged_attention_v1_kernelI14__hip_bfloat16hLi96ELi8ELi128ELNS_18Fp8KVCacheDataTypeE1ELb0EEEvPT_PKS3_PKT0_S9_ifPKiSB_iPKfiiiSD_SD_iiiii.numbered_sgpr, 31
	.set _ZN4vllm25paged_attention_v1_kernelI14__hip_bfloat16hLi96ELi8ELi128ELNS_18Fp8KVCacheDataTypeE1ELb0EEEvPT_PKS3_PKT0_S9_ifPKiSB_iPKfiiiSD_SD_iiiii.num_named_barrier, 0
	.set _ZN4vllm25paged_attention_v1_kernelI14__hip_bfloat16hLi96ELi8ELi128ELNS_18Fp8KVCacheDataTypeE1ELb0EEEvPT_PKS3_PKT0_S9_ifPKiSB_iPKfiiiSD_SD_iiiii.private_seg_size, 0
	.set _ZN4vllm25paged_attention_v1_kernelI14__hip_bfloat16hLi96ELi8ELi128ELNS_18Fp8KVCacheDataTypeE1ELb0EEEvPT_PKS3_PKT0_S9_ifPKiSB_iPKfiiiSD_SD_iiiii.uses_vcc, 1
	.set _ZN4vllm25paged_attention_v1_kernelI14__hip_bfloat16hLi96ELi8ELi128ELNS_18Fp8KVCacheDataTypeE1ELb0EEEvPT_PKS3_PKT0_S9_ifPKiSB_iPKfiiiSD_SD_iiiii.uses_flat_scratch, 0
	.set _ZN4vllm25paged_attention_v1_kernelI14__hip_bfloat16hLi96ELi8ELi128ELNS_18Fp8KVCacheDataTypeE1ELb0EEEvPT_PKS3_PKT0_S9_ifPKiSB_iPKfiiiSD_SD_iiiii.has_dyn_sized_stack, 0
	.set _ZN4vllm25paged_attention_v1_kernelI14__hip_bfloat16hLi96ELi8ELi128ELNS_18Fp8KVCacheDataTypeE1ELb0EEEvPT_PKS3_PKT0_S9_ifPKiSB_iPKfiiiSD_SD_iiiii.has_recursion, 0
	.set _ZN4vllm25paged_attention_v1_kernelI14__hip_bfloat16hLi96ELi8ELi128ELNS_18Fp8KVCacheDataTypeE1ELb0EEEvPT_PKS3_PKT0_S9_ifPKiSB_iPKfiiiSD_SD_iiiii.has_indirect_call, 0
	.section	.AMDGPU.csdata,"",@progbits
; Kernel info:
; codeLenInByte = 16112
; TotalNumSgprs: 33
; NumVgprs: 68
; ScratchSize: 0
; MemoryBound: 0
; FloatMode: 240
; IeeeMode: 1
; LDSByteSize: 224 bytes/workgroup (compile time only)
; SGPRBlocks: 0
; VGPRBlocks: 4
; NumSGPRsForWavesPerEU: 33
; NumVGPRsForWavesPerEU: 68
; NamedBarCnt: 0
; Occupancy: 12
; WaveLimiterHint : 1
; COMPUTE_PGM_RSRC2:SCRATCH_EN: 0
; COMPUTE_PGM_RSRC2:USER_SGPR: 2
; COMPUTE_PGM_RSRC2:TRAP_HANDLER: 0
; COMPUTE_PGM_RSRC2:TGID_X_EN: 1
; COMPUTE_PGM_RSRC2:TGID_Y_EN: 1
; COMPUTE_PGM_RSRC2:TGID_Z_EN: 1
; COMPUTE_PGM_RSRC2:TIDIG_COMP_CNT: 0
	.section	.text._ZN4vllm25paged_attention_v1_kernelI14__hip_bfloat16hLi112ELi8ELi128ELNS_18Fp8KVCacheDataTypeE1ELb0EEEvPT_PKS3_PKT0_S9_ifPKiSB_iPKfiiiSD_SD_iiiii,"axG",@progbits,_ZN4vllm25paged_attention_v1_kernelI14__hip_bfloat16hLi112ELi8ELi128ELNS_18Fp8KVCacheDataTypeE1ELb0EEEvPT_PKS3_PKT0_S9_ifPKiSB_iPKfiiiSD_SD_iiiii,comdat
	.protected	_ZN4vllm25paged_attention_v1_kernelI14__hip_bfloat16hLi112ELi8ELi128ELNS_18Fp8KVCacheDataTypeE1ELb0EEEvPT_PKS3_PKT0_S9_ifPKiSB_iPKfiiiSD_SD_iiiii ; -- Begin function _ZN4vllm25paged_attention_v1_kernelI14__hip_bfloat16hLi112ELi8ELi128ELNS_18Fp8KVCacheDataTypeE1ELb0EEEvPT_PKS3_PKT0_S9_ifPKiSB_iPKfiiiSD_SD_iiiii
	.globl	_ZN4vllm25paged_attention_v1_kernelI14__hip_bfloat16hLi112ELi8ELi128ELNS_18Fp8KVCacheDataTypeE1ELb0EEEvPT_PKS3_PKT0_S9_ifPKiSB_iPKfiiiSD_SD_iiiii
	.p2align	8
	.type	_ZN4vllm25paged_attention_v1_kernelI14__hip_bfloat16hLi112ELi8ELi128ELNS_18Fp8KVCacheDataTypeE1ELb0EEEvPT_PKS3_PKT0_S9_ifPKiSB_iPKfiiiSD_SD_iiiii,@function
_ZN4vllm25paged_attention_v1_kernelI14__hip_bfloat16hLi112ELi8ELi128ELNS_18Fp8KVCacheDataTypeE1ELb0EEEvPT_PKS3_PKT0_S9_ifPKiSB_iPKfiiiSD_SD_iiiii: ; @_ZN4vllm25paged_attention_v1_kernelI14__hip_bfloat16hLi112ELi8ELi128ELNS_18Fp8KVCacheDataTypeE1ELb0EEEvPT_PKS3_PKT0_S9_ifPKiSB_iPKfiiiSD_SD_iiiii
; %bb.0:
	s_load_b64 s[18:19], s[0:1], 0x20
	s_bfe_u32 s3, ttmp6, 0x4000c
	s_bfe_u32 s5, ttmp6, 0x40010
	s_and_b32 s4, ttmp7, 0xffff
	s_add_co_i32 s3, s3, 1
	s_add_co_i32 s5, s5, 1
	s_and_b32 s2, ttmp6, 15
	s_bfe_u32 s6, ttmp6, 0x40004
	s_mul_i32 s3, ttmp9, s3
	s_mul_i32 s5, s4, s5
	s_getreg_b32 s20, hwreg(HW_REG_IB_STS2, 6, 4)
	s_add_co_i32 s2, s2, s3
	s_add_co_i32 s3, s6, s5
	s_cmp_eq_u32 s20, 0
	s_clause 0x1
	s_load_b32 s21, s[0:1], 0x80
	s_load_b64 s[6:7], s[0:1], 0x30
	s_cselect_b32 s22, s4, s3
	s_cselect_b32 s4, ttmp9, s2
	s_wait_kmcnt 0x0
	s_abs_i32 s2, s18
	s_delay_alu instid0(SALU_CYCLE_1) | instskip(SKIP_1) | instid1(SALU_CYCLE_2)
	s_cvt_f32_u32 s3, s2
	s_sub_co_i32 s5, 0, s2
	v_rcp_iflag_f32_e32 v1, s3
	s_abs_i32 s8, s21
	v_nop
	s_delay_alu instid0(TRANS32_DEP_1) | instskip(SKIP_1) | instid1(SALU_CYCLE_3)
	v_readfirstlane_b32 s3, v1
	s_mul_f32 s3, s3, 0x4f7ffffe
	s_cvt_u32_f32 s3, s3
	s_delay_alu instid0(SALU_CYCLE_3) | instskip(NEXT) | instid1(SALU_CYCLE_1)
	s_mul_i32 s5, s5, s3
	s_mul_hi_u32 s5, s3, s5
	s_delay_alu instid0(SALU_CYCLE_1) | instskip(SKIP_4) | instid1(SALU_CYCLE_1)
	s_add_co_i32 s3, s3, s5
	s_xor_b32 s5, s21, s18
	s_mul_hi_u32 s3, s8, s3
	s_ashr_i32 s5, s5, 31
	s_mul_i32 s9, s3, s2
	s_sub_co_i32 s8, s8, s9
	s_add_co_i32 s9, s3, 1
	s_sub_co_i32 s10, s8, s2
	s_cmp_ge_u32 s8, s2
	s_cselect_b32 s3, s9, s3
	s_cselect_b32 s8, s10, s8
	s_add_co_i32 s9, s3, 1
	s_cmp_ge_u32 s8, s2
	s_cselect_b32 s2, s9, s3
	s_load_b64 s[8:9], s[0:1], 0x40
	s_xor_b32 s2, s2, s5
	s_mov_b32 s3, 0
	s_sub_co_i32 s14, s2, s5
	s_mov_b32 s13, s3
	s_abs_i32 s11, s14
	s_mov_b32 s18, s3
	s_cvt_f32_u32 s2, s11
	s_delay_alu instid0(SALU_CYCLE_3) | instskip(SKIP_1) | instid1(TRANS32_DEP_1)
	v_rcp_iflag_f32_e32 v1, s2
	v_nop
	v_readfirstlane_b32 s2, v1
	s_mul_f32 s2, s2, 0x4f7ffffe
	s_delay_alu instid0(SALU_CYCLE_3) | instskip(SKIP_1) | instid1(SALU_CYCLE_2)
	s_cvt_u32_f32 s5, s2
	s_sub_co_i32 s2, 0, s11
	s_mul_i32 s2, s2, s5
	s_delay_alu instid0(SALU_CYCLE_1)
	s_mul_hi_u32 s10, s5, s2
	s_abs_i32 s2, s4
	s_add_co_i32 s12, s5, s10
	s_wait_kmcnt 0x0
	s_cmp_eq_u64 s[8:9], 0
	s_cbranch_scc1 .LBB317_2
; %bb.1:
	s_ashr_i32 s5, s4, 31
	s_delay_alu instid0(SALU_CYCLE_1) | instskip(NEXT) | instid1(SALU_CYCLE_1)
	s_lshl_b64 s[16:17], s[4:5], 2
	s_add_nc_u64 s[8:9], s[8:9], s[16:17]
	s_load_b32 s18, s[8:9], 0x0
.LBB317_2:
	s_load_b32 s23, s[6:7], s22 offset:0x0 scale_offset
	s_wait_xcnt 0x0
	s_load_b96 s[8:10], s[0:1], 0x48
	v_and_b32_e32 v4, 3, v0
	s_ashr_i32 s5, s4, 31
	s_ashr_i32 s14, s14, 31
	s_mul_u64 s[6:7], s[2:3], s[12:13]
	s_mul_i32 s12, s4, 0x70
	s_mov_b32 s3, exec_lo
	v_cmpx_gt_u32_e32 56, v0
	s_cbranch_execz .LBB317_4
; %bb.3:
	s_load_b64 s[16:17], s[0:1], 0x8
	s_wait_kmcnt 0x0
	s_mul_i32 s24, s8, s22
	s_ashr_i32 s13, s12, 31
	s_ashr_i32 s25, s24, 31
	v_and_b32_e32 v2, 0x3fc, v0
	s_lshl_b64 s[24:25], s[24:25], 1
	s_delay_alu instid0(VALU_DEP_1) | instskip(SKIP_2) | instid1(SALU_CYCLE_1)
	v_mad_u32_u24 v2, v4, 56, v2
	s_add_nc_u64 s[16:17], s[16:17], s[24:25]
	s_lshl_b64 s[24:25], s[12:13], 1
	s_add_nc_u64 s[16:17], s[16:17], s[24:25]
	global_load_b32 v1, v0, s[16:17] scale_offset
	s_wait_loadcnt 0x0
	ds_store_b32 v2, v1
.LBB317_4:
	s_or_b32 exec_lo, exec_lo, s3
	s_wait_kmcnt 0x0
	s_add_co_i32 s3, s23, 7
	s_load_b32 s4, s[0:1], 0x38
	s_ashr_i32 s6, s3, 31
	s_mul_i32 s8, s7, s11
	s_lshr_b32 s6, s6, 29
	s_sub_co_i32 s2, s2, s8
	s_add_co_i32 s3, s3, s6
	s_xor_b32 s5, s5, s14
	s_ashr_i32 s13, s3, 3
	s_add_co_i32 s3, s7, 1
	s_sub_co_i32 s6, s2, s11
	s_cmp_ge_u32 s2, s11
	v_lshrrev_b32_e32 v1, 5, v0
	s_cselect_b32 s3, s3, s7
	s_cselect_b32 s2, s6, s2
	s_add_co_i32 s6, s3, 1
	s_cmp_ge_u32 s2, s11
	v_mbcnt_lo_u32_b32 v10, -1, 0
	s_cselect_b32 s2, s6, s3
	s_wait_dscnt 0x0
	s_xor_b32 s2, s2, s5
	s_wait_kmcnt 0x0
	s_mul_i32 s14, s4, s22
	s_sub_co_i32 s3, s2, s5
	v_cmp_gt_i32_e64 s2, s13, v1
	s_ashr_i32 s15, s14, 31
	s_mov_b32 s4, exec_lo
	s_barrier_signal -1
	s_barrier_wait -1
                                        ; implicit-def: $vgpr3
                                        ; implicit-def: $vgpr11
	v_cmpx_le_i32_e64 s13, v1
	s_xor_b32 s4, exec_lo, s4
; %bb.5:
	v_dual_mov_b32 v3, 0 :: v_dual_mov_b32 v11, 32
	v_mbcnt_lo_u32_b32 v10, -1, 0
                                        ; implicit-def: $vgpr4
; %bb.6:
	s_or_saveexec_b32 s24, s4
	s_clause 0x2
	s_load_b32 s8, s[0:1], 0x88
	s_load_b64 s[16:17], s[0:1], 0x28
	s_load_b128 s[4:7], s[0:1], 0x58
	v_dual_mov_b32 v39, 0xff7fffff :: v_dual_lshrrev_b32 v12, 3, v0
	s_mul_i32 s10, s3, s10
	s_xor_b32 exec_lo, exec_lo, s24
	s_cbranch_execz .LBB317_236
; %bb.7:
	v_mul_u32_u24_e32 v5, 56, v4
	s_load_b64 s[26:27], s[0:1], 0x10
	v_bfe_u32 v46, v0, 2, 3
	v_mov_b32_e32 v3, 0
	s_ashr_i32 s11, s10, 31
	ds_load_2addr_b64 v[6:9], v5 offset1:1
	ds_load_2addr_b64 v[26:29], v5 offset0:2 offset1:3
	ds_load_2addr_b64 v[34:37], v5 offset0:4 offset1:5
	ds_load_b64 v[38:39], v5 offset:48
	v_lshlrev_b32_e32 v2, 4, v46
	s_wait_kmcnt 0x0
	s_load_b32 s5, s[4:5], 0x0
	s_cmp_neq_f32 s18, 0
	s_mov_b32 s25, s9
	v_xor_b32_e32 v5, 2, v10
	s_cselect_b32 s3, -1, 0
	s_delay_alu instid0(VALU_DEP_1)
	v_cmp_gt_i32_e32 vcc_lo, 32, v5
	s_add_nc_u64 s[26:27], s[26:27], s[10:11]
	s_mov_b32 s11, 0
	v_add_nc_u64_e32 v[44:45], s[26:27], v[2:3]
	s_wait_dscnt 0x3
	v_dual_lshlrev_b32 v2, 1, v4 :: v_dual_lshlrev_b32 v13, 16, v6
	s_wait_dscnt 0x1
	v_dual_lshlrev_b32 v31, 16, v35 :: v_dual_lshlrev_b32 v33, 16, v36
	v_and_b32_e32 v32, 0xffff0000, v35
	v_lshlrev_b32_e32 v35, 16, v37
	v_and_b32_e32 v14, 0xffff0000, v6
	v_dual_cndmask_b32 v5, v10, v5, vcc_lo :: v_dual_bitop2_b32 v6, 1, v10 bitop3:0x14
	v_dual_lshlrev_b32 v15, 16, v7 :: v_dual_lshlrev_b32 v17, 16, v8
	v_and_b32_e32 v16, 0xffff0000, v7
	s_delay_alu instid0(VALU_DEP_3)
	v_cmp_gt_i32_e32 vcc_lo, 32, v6
	v_mov_b32_e32 v11, 32
	s_lshl_b64 s[26:27], s[14:15], 2
	v_dual_lshlrev_b32 v42, 2, v5 :: v_dual_lshlrev_b32 v7, 2, v46
	v_cndmask_b32_e32 v6, v10, v6, vcc_lo
	v_cmp_eq_u32_e32 vcc_lo, 0, v4
	v_add_nc_u64_e32 v[4:5], v[44:45], v[2:3]
	v_and_b32_e32 v2, 0x7c, v12
	s_add_nc_u64 s[26:27], s[16:17], s[26:27]
	v_lshlrev_b32_e32 v43, 2, v6
	v_lshl_or_b32 v6, v1, 5, v7
	v_and_b32_e32 v18, 0xffff0000, v8
	v_dual_lshlrev_b32 v19, 16, v9 :: v_dual_lshlrev_b32 v21, 16, v26
	v_and_b32_e32 v20, 0xffff0000, v9
	s_delay_alu instid0(VALU_DEP_4)
	v_add_nc_u32_e32 v45, 0x100, v6
	v_add_nc_u64_e32 v[6:7], s[26:27], v[2:3]
	v_and_b32_e32 v22, 0xffff0000, v26
	v_dual_lshlrev_b32 v23, 16, v27 :: v_dual_lshlrev_b32 v25, 16, v28
	v_and_b32_e32 v24, 0xffff0000, v27
	v_and_b32_e32 v26, 0xffff0000, v28
	v_lshlrev_b32_e32 v27, 16, v29
	v_and_b32_e32 v28, 0xffff0000, v29
	v_lshlrev_b32_e32 v29, 16, v34
	v_and_b32_e32 v30, 0xffff0000, v34
	v_and_b32_e32 v34, 0xffff0000, v36
	;; [unrolled: 1-line block ×3, first 2 shown]
	s_wait_dscnt 0x0
	v_dual_lshlrev_b32 v37, 16, v38 :: v_dual_lshlrev_b32 v40, 16, v39
	v_and_b32_e32 v38, 0xffff0000, v38
	v_and_b32_e32 v41, 0xffff0000, v39
	v_lshl_or_b32 v44, v1, 3, v46
	v_dual_mov_b32 v39, 0xff7fffff :: v_dual_mov_b32 v46, v1
	s_sub_co_i32 s26, 1, s23
	s_branch .LBB317_9
.LBB317_8:                              ;   in Loop: Header=BB317_9 Depth=1
	s_or_b32 exec_lo, exec_lo, s27
	v_dual_add_nc_u32 v46, 4, v46 :: v_dual_add_nc_u32 v44, 32, v44
	v_add_nc_u64_e32 v[6:7], 16, v[6:7]
	v_add_nc_u32_e32 v45, 0x80, v45
	s_delay_alu instid0(VALU_DEP_3) | instskip(SKIP_1) | instid1(SALU_CYCLE_1)
	v_cmp_le_i32_e64 s4, s13, v46
	s_or_b32 s11, s4, s11
	s_and_not1_b32 exec_lo, exec_lo, s11
	s_cbranch_execz .LBB317_235
.LBB317_9:                              ; =>This Inner Loop Header: Depth=1
	global_load_b32 v2, v[6:7], off
	v_mov_b32_e32 v47, 0
	s_wait_loadcnt_dscnt 0x0
	v_mad_nc_i64_i32 v[8:9], v2, s25, v[4:5]
	global_load_u16 v2, v[8:9], off
	s_wait_loadcnt 0x0
	v_and_b32_e32 v48, 0xff, v2
	v_and_b32_e32 v49, 0xffff, v2
	s_delay_alu instid0(VALU_DEP_2)
	v_cmp_ne_u16_e64 s4, 0, v48
	v_mov_b32_e32 v48, 0
	s_wait_xcnt 0x0
	s_and_saveexec_b32 s27, s4
	s_cbranch_execz .LBB317_17
; %bb.10:                               ;   in Loop: Header=BB317_9 Depth=1
	v_and_b32_e32 v2, 0xff, v49
	v_bfrev_b32_e32 v48, 1
	s_mov_b32 s28, exec_lo
	s_delay_alu instid0(VALU_DEP_2)
	v_cmpx_ne_u16_e32 0x80, v2
	s_cbranch_execz .LBB317_16
; %bb.11:                               ;   in Loop: Header=BB317_9 Depth=1
	v_and_b32_e32 v50, 0x7f, v49
	v_mov_b32_e32 v48, 0x7f800001
	s_mov_b32 s29, exec_lo
	s_delay_alu instid0(VALU_DEP_2)
	v_cmpx_ne_u32_e32 0x7f, v50
	s_cbranch_execz .LBB317_15
; %bb.12:                               ;   in Loop: Header=BB317_9 Depth=1
	v_dual_lshrrev_b32 v48, 3, v50 :: v_dual_bitop2_b32 v2, 7, v49 bitop3:0x40
	s_mov_b32 s30, exec_lo
	v_cmpx_gt_u32_e32 8, v50
; %bb.13:                               ;   in Loop: Header=BB317_9 Depth=1
	s_delay_alu instid0(VALU_DEP_2) | instskip(NEXT) | instid1(VALU_DEP_1)
	v_clz_i32_u32_e32 v48, v2
	v_min_u32_e32 v48, 32, v48
	s_delay_alu instid0(VALU_DEP_1) | instskip(NEXT) | instid1(VALU_DEP_1)
	v_subrev_nc_u32_e32 v50, 28, v48
	v_lshlrev_b64_e32 v[50:51], v50, v[2:3]
	s_delay_alu instid0(VALU_DEP_1)
	v_dual_sub_nc_u32 v48, 29, v48 :: v_dual_bitop2_b32 v2, 7, v50 bitop3:0x40
; %bb.14:                               ;   in Loop: Header=BB317_9 Depth=1
	s_or_b32 exec_lo, exec_lo, s30
	s_delay_alu instid0(VALU_DEP_1) | instskip(NEXT) | instid1(VALU_DEP_2)
	v_dual_lshlrev_b32 v50, 24, v49 :: v_dual_lshlrev_b32 v2, 20, v2
	v_lshl_add_u32 v48, v48, 23, 0x3c000000
	s_delay_alu instid0(VALU_DEP_2) | instskip(NEXT) | instid1(VALU_DEP_1)
	v_and_b32_e32 v50, 0x80000000, v50
	v_or3_b32 v48, v2, v50, v48
.LBB317_15:                             ;   in Loop: Header=BB317_9 Depth=1
	s_or_b32 exec_lo, exec_lo, s29
.LBB317_16:                             ;   in Loop: Header=BB317_9 Depth=1
	s_delay_alu instid0(SALU_CYCLE_1)
	s_or_b32 exec_lo, exec_lo, s28
.LBB317_17:                             ;   in Loop: Header=BB317_9 Depth=1
	s_delay_alu instid0(SALU_CYCLE_1) | instskip(SKIP_2) | instid1(VALU_DEP_1)
	s_or_b32 exec_lo, exec_lo, s27
	v_lshrrev_b16 v2, 8, v49
	s_mov_b32 s27, exec_lo
	v_cmpx_ne_u16_e32 0, v2
	s_cbranch_execz .LBB317_25
; %bb.18:                               ;   in Loop: Header=BB317_9 Depth=1
	v_bfrev_b32_e32 v47, 1
	s_mov_b32 s28, exec_lo
	v_cmpx_ne_u16_e32 0x80, v2
	s_cbranch_execz .LBB317_24
; %bb.19:                               ;   in Loop: Header=BB317_9 Depth=1
	v_and_b32_e32 v2, 0xffff, v2
	v_mov_b32_e32 v47, 0x7f800001
	s_mov_b32 s29, exec_lo
	s_delay_alu instid0(VALU_DEP_2) | instskip(NEXT) | instid1(VALU_DEP_1)
	v_and_b32_e32 v50, 0x7f, v2
	v_cmpx_ne_u32_e32 0x7f, v50
	s_cbranch_execz .LBB317_23
; %bb.20:                               ;   in Loop: Header=BB317_9 Depth=1
	v_and_b32_e32 v2, 7, v2
	v_lshrrev_b32_e32 v47, 3, v50
	s_mov_b32 s30, exec_lo
	v_cmpx_gt_u32_e32 8, v50
; %bb.21:                               ;   in Loop: Header=BB317_9 Depth=1
	s_delay_alu instid0(VALU_DEP_3) | instskip(NEXT) | instid1(VALU_DEP_1)
	v_clz_i32_u32_e32 v47, v2
	v_min_u32_e32 v47, 32, v47
	s_delay_alu instid0(VALU_DEP_1) | instskip(NEXT) | instid1(VALU_DEP_1)
	v_subrev_nc_u32_e32 v50, 28, v47
	v_lshlrev_b64_e32 v[50:51], v50, v[2:3]
	s_delay_alu instid0(VALU_DEP_1)
	v_dual_sub_nc_u32 v47, 29, v47 :: v_dual_bitop2_b32 v2, 7, v50 bitop3:0x40
; %bb.22:                               ;   in Loop: Header=BB317_9 Depth=1
	s_or_b32 exec_lo, exec_lo, s30
	s_delay_alu instid0(VALU_DEP_1) | instskip(NEXT) | instid1(VALU_DEP_2)
	v_dual_lshlrev_b32 v49, 16, v49 :: v_dual_lshlrev_b32 v2, 20, v2
	v_lshl_add_u32 v47, v47, 23, 0x3c000000
	s_delay_alu instid0(VALU_DEP_2) | instskip(NEXT) | instid1(VALU_DEP_1)
	v_and_b32_e32 v49, 0x80000000, v49
	v_or3_b32 v47, v2, v49, v47
.LBB317_23:                             ;   in Loop: Header=BB317_9 Depth=1
	s_or_b32 exec_lo, exec_lo, s29
.LBB317_24:                             ;   in Loop: Header=BB317_9 Depth=1
	s_delay_alu instid0(SALU_CYCLE_1)
	s_or_b32 exec_lo, exec_lo, s28
.LBB317_25:                             ;   in Loop: Header=BB317_9 Depth=1
	s_delay_alu instid0(SALU_CYCLE_1)
	s_or_b32 exec_lo, exec_lo, s27
	global_load_u16 v2, v[8:9], off offset:8
	v_mov_b32_e32 v49, 0
	s_wait_loadcnt 0x0
	v_and_b32_e32 v50, 0xff, v2
	v_and_b32_e32 v51, 0xffff, v2
	s_delay_alu instid0(VALU_DEP_2)
	v_cmp_ne_u16_e64 s4, 0, v50
	v_mov_b32_e32 v50, 0
	s_and_saveexec_b32 s27, s4
	s_cbranch_execz .LBB317_33
; %bb.26:                               ;   in Loop: Header=BB317_9 Depth=1
	v_and_b32_e32 v2, 0xff, v51
	v_bfrev_b32_e32 v50, 1
	s_mov_b32 s28, exec_lo
	s_delay_alu instid0(VALU_DEP_2)
	v_cmpx_ne_u16_e32 0x80, v2
	s_cbranch_execz .LBB317_32
; %bb.27:                               ;   in Loop: Header=BB317_9 Depth=1
	v_and_b32_e32 v52, 0x7f, v51
	v_mov_b32_e32 v50, 0x7f800001
	s_mov_b32 s29, exec_lo
	s_delay_alu instid0(VALU_DEP_2)
	v_cmpx_ne_u32_e32 0x7f, v52
	s_cbranch_execz .LBB317_31
; %bb.28:                               ;   in Loop: Header=BB317_9 Depth=1
	v_dual_lshrrev_b32 v50, 3, v52 :: v_dual_bitop2_b32 v2, 7, v51 bitop3:0x40
	s_mov_b32 s30, exec_lo
	v_cmpx_gt_u32_e32 8, v52
; %bb.29:                               ;   in Loop: Header=BB317_9 Depth=1
	s_delay_alu instid0(VALU_DEP_2) | instskip(NEXT) | instid1(VALU_DEP_1)
	v_clz_i32_u32_e32 v50, v2
	v_min_u32_e32 v50, 32, v50
	s_delay_alu instid0(VALU_DEP_1) | instskip(NEXT) | instid1(VALU_DEP_1)
	v_subrev_nc_u32_e32 v52, 28, v50
	v_lshlrev_b64_e32 v[52:53], v52, v[2:3]
	s_delay_alu instid0(VALU_DEP_1)
	v_dual_sub_nc_u32 v50, 29, v50 :: v_dual_bitop2_b32 v2, 7, v52 bitop3:0x40
; %bb.30:                               ;   in Loop: Header=BB317_9 Depth=1
	s_or_b32 exec_lo, exec_lo, s30
	s_delay_alu instid0(VALU_DEP_1) | instskip(NEXT) | instid1(VALU_DEP_2)
	v_dual_lshlrev_b32 v52, 24, v51 :: v_dual_lshlrev_b32 v2, 20, v2
	v_lshl_add_u32 v50, v50, 23, 0x3c000000
	s_delay_alu instid0(VALU_DEP_2) | instskip(NEXT) | instid1(VALU_DEP_1)
	v_and_b32_e32 v52, 0x80000000, v52
	v_or3_b32 v50, v2, v52, v50
.LBB317_31:                             ;   in Loop: Header=BB317_9 Depth=1
	s_or_b32 exec_lo, exec_lo, s29
.LBB317_32:                             ;   in Loop: Header=BB317_9 Depth=1
	s_delay_alu instid0(SALU_CYCLE_1)
	s_or_b32 exec_lo, exec_lo, s28
.LBB317_33:                             ;   in Loop: Header=BB317_9 Depth=1
	s_delay_alu instid0(SALU_CYCLE_1) | instskip(SKIP_2) | instid1(VALU_DEP_1)
	s_or_b32 exec_lo, exec_lo, s27
	v_lshrrev_b16 v2, 8, v51
	s_mov_b32 s27, exec_lo
	v_cmpx_ne_u16_e32 0, v2
	s_cbranch_execz .LBB317_41
; %bb.34:                               ;   in Loop: Header=BB317_9 Depth=1
	v_bfrev_b32_e32 v49, 1
	s_mov_b32 s28, exec_lo
	v_cmpx_ne_u16_e32 0x80, v2
	s_cbranch_execz .LBB317_40
; %bb.35:                               ;   in Loop: Header=BB317_9 Depth=1
	v_and_b32_e32 v2, 0xffff, v2
	v_mov_b32_e32 v49, 0x7f800001
	s_mov_b32 s29, exec_lo
	s_delay_alu instid0(VALU_DEP_2) | instskip(NEXT) | instid1(VALU_DEP_1)
	v_and_b32_e32 v52, 0x7f, v2
	v_cmpx_ne_u32_e32 0x7f, v52
	s_cbranch_execz .LBB317_39
; %bb.36:                               ;   in Loop: Header=BB317_9 Depth=1
	v_dual_lshrrev_b32 v49, 3, v52 :: v_dual_bitop2_b32 v2, 7, v2 bitop3:0x40
	s_mov_b32 s30, exec_lo
	v_cmpx_gt_u32_e32 8, v52
; %bb.37:                               ;   in Loop: Header=BB317_9 Depth=1
	s_delay_alu instid0(VALU_DEP_2) | instskip(NEXT) | instid1(VALU_DEP_1)
	v_clz_i32_u32_e32 v49, v2
	v_min_u32_e32 v49, 32, v49
	s_delay_alu instid0(VALU_DEP_1) | instskip(NEXT) | instid1(VALU_DEP_1)
	v_subrev_nc_u32_e32 v52, 28, v49
	v_lshlrev_b64_e32 v[52:53], v52, v[2:3]
	s_delay_alu instid0(VALU_DEP_1)
	v_dual_sub_nc_u32 v49, 29, v49 :: v_dual_bitop2_b32 v2, 7, v52 bitop3:0x40
; %bb.38:                               ;   in Loop: Header=BB317_9 Depth=1
	s_or_b32 exec_lo, exec_lo, s30
	s_delay_alu instid0(VALU_DEP_1) | instskip(NEXT) | instid1(VALU_DEP_2)
	v_dual_lshlrev_b32 v51, 16, v51 :: v_dual_lshlrev_b32 v2, 20, v2
	v_lshl_add_u32 v49, v49, 23, 0x3c000000
	s_delay_alu instid0(VALU_DEP_2) | instskip(NEXT) | instid1(VALU_DEP_1)
	v_and_b32_e32 v51, 0x80000000, v51
	v_or3_b32 v49, v2, v51, v49
.LBB317_39:                             ;   in Loop: Header=BB317_9 Depth=1
	s_or_b32 exec_lo, exec_lo, s29
.LBB317_40:                             ;   in Loop: Header=BB317_9 Depth=1
	s_delay_alu instid0(SALU_CYCLE_1)
	s_or_b32 exec_lo, exec_lo, s28
.LBB317_41:                             ;   in Loop: Header=BB317_9 Depth=1
	s_delay_alu instid0(SALU_CYCLE_1)
	s_or_b32 exec_lo, exec_lo, s27
	global_load_u16 v2, v[8:9], off offset:128
	v_mov_b32_e32 v51, 0
	s_wait_loadcnt 0x0
	v_and_b32_e32 v52, 0xff, v2
	v_and_b32_e32 v53, 0xffff, v2
	s_delay_alu instid0(VALU_DEP_2)
	v_cmp_ne_u16_e64 s4, 0, v52
	v_mov_b32_e32 v52, 0
	s_and_saveexec_b32 s27, s4
	s_cbranch_execz .LBB317_49
; %bb.42:                               ;   in Loop: Header=BB317_9 Depth=1
	v_and_b32_e32 v2, 0xff, v53
	v_bfrev_b32_e32 v52, 1
	s_mov_b32 s28, exec_lo
	s_delay_alu instid0(VALU_DEP_2)
	v_cmpx_ne_u16_e32 0x80, v2
	s_cbranch_execz .LBB317_48
; %bb.43:                               ;   in Loop: Header=BB317_9 Depth=1
	v_and_b32_e32 v54, 0x7f, v53
	v_mov_b32_e32 v52, 0x7f800001
	s_mov_b32 s29, exec_lo
	s_delay_alu instid0(VALU_DEP_2)
	v_cmpx_ne_u32_e32 0x7f, v54
	s_cbranch_execz .LBB317_47
; %bb.44:                               ;   in Loop: Header=BB317_9 Depth=1
	v_dual_lshrrev_b32 v52, 3, v54 :: v_dual_bitop2_b32 v2, 7, v53 bitop3:0x40
	s_mov_b32 s30, exec_lo
	v_cmpx_gt_u32_e32 8, v54
; %bb.45:                               ;   in Loop: Header=BB317_9 Depth=1
	s_delay_alu instid0(VALU_DEP_2) | instskip(NEXT) | instid1(VALU_DEP_1)
	v_clz_i32_u32_e32 v52, v2
	v_min_u32_e32 v52, 32, v52
	s_delay_alu instid0(VALU_DEP_1) | instskip(NEXT) | instid1(VALU_DEP_1)
	v_subrev_nc_u32_e32 v54, 28, v52
	v_lshlrev_b64_e32 v[54:55], v54, v[2:3]
	s_delay_alu instid0(VALU_DEP_1)
	v_dual_sub_nc_u32 v52, 29, v52 :: v_dual_bitop2_b32 v2, 7, v54 bitop3:0x40
; %bb.46:                               ;   in Loop: Header=BB317_9 Depth=1
	s_or_b32 exec_lo, exec_lo, s30
	s_delay_alu instid0(VALU_DEP_1) | instskip(NEXT) | instid1(VALU_DEP_2)
	v_dual_lshlrev_b32 v54, 24, v53 :: v_dual_lshlrev_b32 v2, 20, v2
	v_lshl_add_u32 v52, v52, 23, 0x3c000000
	s_delay_alu instid0(VALU_DEP_2) | instskip(NEXT) | instid1(VALU_DEP_1)
	v_and_b32_e32 v54, 0x80000000, v54
	v_or3_b32 v52, v2, v54, v52
.LBB317_47:                             ;   in Loop: Header=BB317_9 Depth=1
	s_or_b32 exec_lo, exec_lo, s29
.LBB317_48:                             ;   in Loop: Header=BB317_9 Depth=1
	s_delay_alu instid0(SALU_CYCLE_1)
	s_or_b32 exec_lo, exec_lo, s28
.LBB317_49:                             ;   in Loop: Header=BB317_9 Depth=1
	s_delay_alu instid0(SALU_CYCLE_1) | instskip(SKIP_2) | instid1(VALU_DEP_1)
	s_or_b32 exec_lo, exec_lo, s27
	v_lshrrev_b16 v2, 8, v53
	s_mov_b32 s27, exec_lo
	v_cmpx_ne_u16_e32 0, v2
	s_cbranch_execz .LBB317_57
; %bb.50:                               ;   in Loop: Header=BB317_9 Depth=1
	v_bfrev_b32_e32 v51, 1
	s_mov_b32 s28, exec_lo
	v_cmpx_ne_u16_e32 0x80, v2
	s_cbranch_execz .LBB317_56
; %bb.51:                               ;   in Loop: Header=BB317_9 Depth=1
	v_and_b32_e32 v2, 0xffff, v2
	v_mov_b32_e32 v51, 0x7f800001
	s_mov_b32 s29, exec_lo
	s_delay_alu instid0(VALU_DEP_2) | instskip(NEXT) | instid1(VALU_DEP_1)
	v_and_b32_e32 v54, 0x7f, v2
	v_cmpx_ne_u32_e32 0x7f, v54
	s_cbranch_execz .LBB317_55
; %bb.52:                               ;   in Loop: Header=BB317_9 Depth=1
	v_and_b32_e32 v2, 7, v2
	v_lshrrev_b32_e32 v51, 3, v54
	s_mov_b32 s30, exec_lo
	v_cmpx_gt_u32_e32 8, v54
; %bb.53:                               ;   in Loop: Header=BB317_9 Depth=1
	s_delay_alu instid0(VALU_DEP_3) | instskip(NEXT) | instid1(VALU_DEP_1)
	v_clz_i32_u32_e32 v51, v2
	v_min_u32_e32 v51, 32, v51
	s_delay_alu instid0(VALU_DEP_1) | instskip(NEXT) | instid1(VALU_DEP_1)
	v_subrev_nc_u32_e32 v54, 28, v51
	v_lshlrev_b64_e32 v[54:55], v54, v[2:3]
	s_delay_alu instid0(VALU_DEP_1)
	v_dual_sub_nc_u32 v51, 29, v51 :: v_dual_bitop2_b32 v2, 7, v54 bitop3:0x40
; %bb.54:                               ;   in Loop: Header=BB317_9 Depth=1
	s_or_b32 exec_lo, exec_lo, s30
	s_delay_alu instid0(VALU_DEP_1) | instskip(NEXT) | instid1(VALU_DEP_2)
	v_dual_lshlrev_b32 v53, 16, v53 :: v_dual_lshlrev_b32 v2, 20, v2
	v_lshl_add_u32 v51, v51, 23, 0x3c000000
	s_delay_alu instid0(VALU_DEP_2) | instskip(NEXT) | instid1(VALU_DEP_1)
	v_and_b32_e32 v53, 0x80000000, v53
	v_or3_b32 v51, v2, v53, v51
.LBB317_55:                             ;   in Loop: Header=BB317_9 Depth=1
	s_or_b32 exec_lo, exec_lo, s29
.LBB317_56:                             ;   in Loop: Header=BB317_9 Depth=1
	s_delay_alu instid0(SALU_CYCLE_1)
	s_or_b32 exec_lo, exec_lo, s28
.LBB317_57:                             ;   in Loop: Header=BB317_9 Depth=1
	s_delay_alu instid0(SALU_CYCLE_1)
	s_or_b32 exec_lo, exec_lo, s27
	global_load_u16 v2, v[8:9], off offset:136
	v_mov_b32_e32 v53, 0
	s_wait_loadcnt 0x0
	v_and_b32_e32 v54, 0xff, v2
	v_and_b32_e32 v55, 0xffff, v2
	s_delay_alu instid0(VALU_DEP_2)
	v_cmp_ne_u16_e64 s4, 0, v54
	v_mov_b32_e32 v54, 0
	s_and_saveexec_b32 s27, s4
	s_cbranch_execz .LBB317_65
; %bb.58:                               ;   in Loop: Header=BB317_9 Depth=1
	v_and_b32_e32 v2, 0xff, v55
	v_bfrev_b32_e32 v54, 1
	s_mov_b32 s28, exec_lo
	s_delay_alu instid0(VALU_DEP_2)
	v_cmpx_ne_u16_e32 0x80, v2
	s_cbranch_execz .LBB317_64
; %bb.59:                               ;   in Loop: Header=BB317_9 Depth=1
	v_and_b32_e32 v56, 0x7f, v55
	v_mov_b32_e32 v54, 0x7f800001
	s_mov_b32 s29, exec_lo
	s_delay_alu instid0(VALU_DEP_2)
	v_cmpx_ne_u32_e32 0x7f, v56
	s_cbranch_execz .LBB317_63
; %bb.60:                               ;   in Loop: Header=BB317_9 Depth=1
	v_dual_lshrrev_b32 v54, 3, v56 :: v_dual_bitop2_b32 v2, 7, v55 bitop3:0x40
	s_mov_b32 s30, exec_lo
	v_cmpx_gt_u32_e32 8, v56
; %bb.61:                               ;   in Loop: Header=BB317_9 Depth=1
	s_delay_alu instid0(VALU_DEP_2) | instskip(NEXT) | instid1(VALU_DEP_1)
	v_clz_i32_u32_e32 v54, v2
	v_min_u32_e32 v54, 32, v54
	s_delay_alu instid0(VALU_DEP_1) | instskip(NEXT) | instid1(VALU_DEP_1)
	v_subrev_nc_u32_e32 v56, 28, v54
	v_lshlrev_b64_e32 v[56:57], v56, v[2:3]
	s_delay_alu instid0(VALU_DEP_1)
	v_dual_sub_nc_u32 v54, 29, v54 :: v_dual_bitop2_b32 v2, 7, v56 bitop3:0x40
; %bb.62:                               ;   in Loop: Header=BB317_9 Depth=1
	s_or_b32 exec_lo, exec_lo, s30
	s_delay_alu instid0(VALU_DEP_1) | instskip(NEXT) | instid1(VALU_DEP_2)
	v_dual_lshlrev_b32 v56, 24, v55 :: v_dual_lshlrev_b32 v2, 20, v2
	v_lshl_add_u32 v54, v54, 23, 0x3c000000
	s_delay_alu instid0(VALU_DEP_2) | instskip(NEXT) | instid1(VALU_DEP_1)
	v_and_b32_e32 v56, 0x80000000, v56
	v_or3_b32 v54, v2, v56, v54
.LBB317_63:                             ;   in Loop: Header=BB317_9 Depth=1
	s_or_b32 exec_lo, exec_lo, s29
.LBB317_64:                             ;   in Loop: Header=BB317_9 Depth=1
	s_delay_alu instid0(SALU_CYCLE_1)
	s_or_b32 exec_lo, exec_lo, s28
.LBB317_65:                             ;   in Loop: Header=BB317_9 Depth=1
	s_delay_alu instid0(SALU_CYCLE_1) | instskip(SKIP_2) | instid1(VALU_DEP_1)
	s_or_b32 exec_lo, exec_lo, s27
	v_lshrrev_b16 v2, 8, v55
	s_mov_b32 s27, exec_lo
	v_cmpx_ne_u16_e32 0, v2
	s_cbranch_execz .LBB317_73
; %bb.66:                               ;   in Loop: Header=BB317_9 Depth=1
	v_bfrev_b32_e32 v53, 1
	s_mov_b32 s28, exec_lo
	v_cmpx_ne_u16_e32 0x80, v2
	s_cbranch_execz .LBB317_72
; %bb.67:                               ;   in Loop: Header=BB317_9 Depth=1
	v_and_b32_e32 v2, 0xffff, v2
	v_mov_b32_e32 v53, 0x7f800001
	s_mov_b32 s29, exec_lo
	s_delay_alu instid0(VALU_DEP_2) | instskip(NEXT) | instid1(VALU_DEP_1)
	v_and_b32_e32 v56, 0x7f, v2
	v_cmpx_ne_u32_e32 0x7f, v56
	s_cbranch_execz .LBB317_71
; %bb.68:                               ;   in Loop: Header=BB317_9 Depth=1
	v_dual_lshrrev_b32 v53, 3, v56 :: v_dual_bitop2_b32 v2, 7, v2 bitop3:0x40
	s_mov_b32 s30, exec_lo
	v_cmpx_gt_u32_e32 8, v56
; %bb.69:                               ;   in Loop: Header=BB317_9 Depth=1
	s_delay_alu instid0(VALU_DEP_2) | instskip(NEXT) | instid1(VALU_DEP_1)
	v_clz_i32_u32_e32 v53, v2
	v_min_u32_e32 v53, 32, v53
	s_delay_alu instid0(VALU_DEP_1) | instskip(NEXT) | instid1(VALU_DEP_1)
	v_subrev_nc_u32_e32 v56, 28, v53
	v_lshlrev_b64_e32 v[56:57], v56, v[2:3]
	s_delay_alu instid0(VALU_DEP_1)
	v_dual_sub_nc_u32 v53, 29, v53 :: v_dual_bitop2_b32 v2, 7, v56 bitop3:0x40
; %bb.70:                               ;   in Loop: Header=BB317_9 Depth=1
	s_or_b32 exec_lo, exec_lo, s30
	s_delay_alu instid0(VALU_DEP_1) | instskip(NEXT) | instid1(VALU_DEP_2)
	v_dual_lshlrev_b32 v55, 16, v55 :: v_dual_lshlrev_b32 v2, 20, v2
	v_lshl_add_u32 v53, v53, 23, 0x3c000000
	s_delay_alu instid0(VALU_DEP_2) | instskip(NEXT) | instid1(VALU_DEP_1)
	v_and_b32_e32 v55, 0x80000000, v55
	v_or3_b32 v53, v2, v55, v53
.LBB317_71:                             ;   in Loop: Header=BB317_9 Depth=1
	s_or_b32 exec_lo, exec_lo, s29
.LBB317_72:                             ;   in Loop: Header=BB317_9 Depth=1
	s_delay_alu instid0(SALU_CYCLE_1)
	s_or_b32 exec_lo, exec_lo, s28
.LBB317_73:                             ;   in Loop: Header=BB317_9 Depth=1
	s_delay_alu instid0(SALU_CYCLE_1)
	s_or_b32 exec_lo, exec_lo, s27
	global_load_u16 v2, v[8:9], off offset:256
	v_mov_b32_e32 v55, 0
	s_wait_loadcnt 0x0
	v_and_b32_e32 v56, 0xff, v2
	v_and_b32_e32 v57, 0xffff, v2
	s_delay_alu instid0(VALU_DEP_2)
	v_cmp_ne_u16_e64 s4, 0, v56
	v_mov_b32_e32 v56, 0
	s_and_saveexec_b32 s27, s4
	s_cbranch_execz .LBB317_81
; %bb.74:                               ;   in Loop: Header=BB317_9 Depth=1
	v_and_b32_e32 v2, 0xff, v57
	v_bfrev_b32_e32 v56, 1
	s_mov_b32 s28, exec_lo
	s_delay_alu instid0(VALU_DEP_2)
	v_cmpx_ne_u16_e32 0x80, v2
	s_cbranch_execz .LBB317_80
; %bb.75:                               ;   in Loop: Header=BB317_9 Depth=1
	v_and_b32_e32 v58, 0x7f, v57
	v_mov_b32_e32 v56, 0x7f800001
	s_mov_b32 s29, exec_lo
	s_delay_alu instid0(VALU_DEP_2)
	v_cmpx_ne_u32_e32 0x7f, v58
	s_cbranch_execz .LBB317_79
; %bb.76:                               ;   in Loop: Header=BB317_9 Depth=1
	v_dual_lshrrev_b32 v56, 3, v58 :: v_dual_bitop2_b32 v2, 7, v57 bitop3:0x40
	s_mov_b32 s30, exec_lo
	v_cmpx_gt_u32_e32 8, v58
; %bb.77:                               ;   in Loop: Header=BB317_9 Depth=1
	s_delay_alu instid0(VALU_DEP_2) | instskip(NEXT) | instid1(VALU_DEP_1)
	v_clz_i32_u32_e32 v56, v2
	v_min_u32_e32 v56, 32, v56
	s_delay_alu instid0(VALU_DEP_1) | instskip(NEXT) | instid1(VALU_DEP_1)
	v_subrev_nc_u32_e32 v58, 28, v56
	v_lshlrev_b64_e32 v[58:59], v58, v[2:3]
	s_delay_alu instid0(VALU_DEP_1)
	v_dual_sub_nc_u32 v56, 29, v56 :: v_dual_bitop2_b32 v2, 7, v58 bitop3:0x40
; %bb.78:                               ;   in Loop: Header=BB317_9 Depth=1
	s_or_b32 exec_lo, exec_lo, s30
	s_delay_alu instid0(VALU_DEP_1) | instskip(NEXT) | instid1(VALU_DEP_2)
	v_dual_lshlrev_b32 v58, 24, v57 :: v_dual_lshlrev_b32 v2, 20, v2
	v_lshl_add_u32 v56, v56, 23, 0x3c000000
	s_delay_alu instid0(VALU_DEP_2) | instskip(NEXT) | instid1(VALU_DEP_1)
	v_and_b32_e32 v58, 0x80000000, v58
	v_or3_b32 v56, v2, v58, v56
.LBB317_79:                             ;   in Loop: Header=BB317_9 Depth=1
	s_or_b32 exec_lo, exec_lo, s29
.LBB317_80:                             ;   in Loop: Header=BB317_9 Depth=1
	s_delay_alu instid0(SALU_CYCLE_1)
	s_or_b32 exec_lo, exec_lo, s28
.LBB317_81:                             ;   in Loop: Header=BB317_9 Depth=1
	s_delay_alu instid0(SALU_CYCLE_1) | instskip(SKIP_2) | instid1(VALU_DEP_1)
	s_or_b32 exec_lo, exec_lo, s27
	v_lshrrev_b16 v2, 8, v57
	s_mov_b32 s27, exec_lo
	v_cmpx_ne_u16_e32 0, v2
	s_cbranch_execz .LBB317_89
; %bb.82:                               ;   in Loop: Header=BB317_9 Depth=1
	v_bfrev_b32_e32 v55, 1
	s_mov_b32 s28, exec_lo
	v_cmpx_ne_u16_e32 0x80, v2
	s_cbranch_execz .LBB317_88
; %bb.83:                               ;   in Loop: Header=BB317_9 Depth=1
	v_and_b32_e32 v2, 0xffff, v2
	v_mov_b32_e32 v55, 0x7f800001
	s_mov_b32 s29, exec_lo
	s_delay_alu instid0(VALU_DEP_2) | instskip(NEXT) | instid1(VALU_DEP_1)
	v_and_b32_e32 v58, 0x7f, v2
	v_cmpx_ne_u32_e32 0x7f, v58
	s_cbranch_execz .LBB317_87
; %bb.84:                               ;   in Loop: Header=BB317_9 Depth=1
	v_and_b32_e32 v2, 7, v2
	v_lshrrev_b32_e32 v55, 3, v58
	s_mov_b32 s30, exec_lo
	v_cmpx_gt_u32_e32 8, v58
; %bb.85:                               ;   in Loop: Header=BB317_9 Depth=1
	s_delay_alu instid0(VALU_DEP_3) | instskip(NEXT) | instid1(VALU_DEP_1)
	v_clz_i32_u32_e32 v55, v2
	v_min_u32_e32 v55, 32, v55
	s_delay_alu instid0(VALU_DEP_1) | instskip(NEXT) | instid1(VALU_DEP_1)
	v_subrev_nc_u32_e32 v58, 28, v55
	v_lshlrev_b64_e32 v[58:59], v58, v[2:3]
	s_delay_alu instid0(VALU_DEP_1)
	v_dual_sub_nc_u32 v55, 29, v55 :: v_dual_bitop2_b32 v2, 7, v58 bitop3:0x40
; %bb.86:                               ;   in Loop: Header=BB317_9 Depth=1
	s_or_b32 exec_lo, exec_lo, s30
	s_delay_alu instid0(VALU_DEP_1) | instskip(NEXT) | instid1(VALU_DEP_2)
	v_dual_lshlrev_b32 v57, 16, v57 :: v_dual_lshlrev_b32 v2, 20, v2
	v_lshl_add_u32 v55, v55, 23, 0x3c000000
	s_delay_alu instid0(VALU_DEP_2) | instskip(NEXT) | instid1(VALU_DEP_1)
	v_and_b32_e32 v57, 0x80000000, v57
	v_or3_b32 v55, v2, v57, v55
.LBB317_87:                             ;   in Loop: Header=BB317_9 Depth=1
	s_or_b32 exec_lo, exec_lo, s29
.LBB317_88:                             ;   in Loop: Header=BB317_9 Depth=1
	s_delay_alu instid0(SALU_CYCLE_1)
	s_or_b32 exec_lo, exec_lo, s28
.LBB317_89:                             ;   in Loop: Header=BB317_9 Depth=1
	s_delay_alu instid0(SALU_CYCLE_1)
	s_or_b32 exec_lo, exec_lo, s27
	global_load_u16 v2, v[8:9], off offset:264
	v_mov_b32_e32 v57, 0
	s_wait_loadcnt 0x0
	v_and_b32_e32 v58, 0xff, v2
	v_and_b32_e32 v59, 0xffff, v2
	s_delay_alu instid0(VALU_DEP_2)
	v_cmp_ne_u16_e64 s4, 0, v58
	v_mov_b32_e32 v58, 0
	s_and_saveexec_b32 s27, s4
	s_cbranch_execz .LBB317_97
; %bb.90:                               ;   in Loop: Header=BB317_9 Depth=1
	v_and_b32_e32 v2, 0xff, v59
	v_bfrev_b32_e32 v58, 1
	s_mov_b32 s28, exec_lo
	s_delay_alu instid0(VALU_DEP_2)
	v_cmpx_ne_u16_e32 0x80, v2
	s_cbranch_execz .LBB317_96
; %bb.91:                               ;   in Loop: Header=BB317_9 Depth=1
	v_and_b32_e32 v60, 0x7f, v59
	v_mov_b32_e32 v58, 0x7f800001
	s_mov_b32 s29, exec_lo
	s_delay_alu instid0(VALU_DEP_2)
	v_cmpx_ne_u32_e32 0x7f, v60
	s_cbranch_execz .LBB317_95
; %bb.92:                               ;   in Loop: Header=BB317_9 Depth=1
	v_dual_lshrrev_b32 v58, 3, v60 :: v_dual_bitop2_b32 v2, 7, v59 bitop3:0x40
	s_mov_b32 s30, exec_lo
	v_cmpx_gt_u32_e32 8, v60
; %bb.93:                               ;   in Loop: Header=BB317_9 Depth=1
	s_delay_alu instid0(VALU_DEP_2) | instskip(NEXT) | instid1(VALU_DEP_1)
	v_clz_i32_u32_e32 v58, v2
	v_min_u32_e32 v58, 32, v58
	s_delay_alu instid0(VALU_DEP_1) | instskip(NEXT) | instid1(VALU_DEP_1)
	v_subrev_nc_u32_e32 v60, 28, v58
	v_lshlrev_b64_e32 v[60:61], v60, v[2:3]
	s_delay_alu instid0(VALU_DEP_1)
	v_dual_sub_nc_u32 v58, 29, v58 :: v_dual_bitop2_b32 v2, 7, v60 bitop3:0x40
; %bb.94:                               ;   in Loop: Header=BB317_9 Depth=1
	s_or_b32 exec_lo, exec_lo, s30
	s_delay_alu instid0(VALU_DEP_1) | instskip(NEXT) | instid1(VALU_DEP_2)
	v_dual_lshlrev_b32 v60, 24, v59 :: v_dual_lshlrev_b32 v2, 20, v2
	v_lshl_add_u32 v58, v58, 23, 0x3c000000
	s_delay_alu instid0(VALU_DEP_2) | instskip(NEXT) | instid1(VALU_DEP_1)
	v_and_b32_e32 v60, 0x80000000, v60
	v_or3_b32 v58, v2, v60, v58
.LBB317_95:                             ;   in Loop: Header=BB317_9 Depth=1
	s_or_b32 exec_lo, exec_lo, s29
.LBB317_96:                             ;   in Loop: Header=BB317_9 Depth=1
	s_delay_alu instid0(SALU_CYCLE_1)
	s_or_b32 exec_lo, exec_lo, s28
.LBB317_97:                             ;   in Loop: Header=BB317_9 Depth=1
	s_delay_alu instid0(SALU_CYCLE_1) | instskip(SKIP_2) | instid1(VALU_DEP_1)
	s_or_b32 exec_lo, exec_lo, s27
	v_lshrrev_b16 v2, 8, v59
	s_mov_b32 s27, exec_lo
	v_cmpx_ne_u16_e32 0, v2
	s_cbranch_execz .LBB317_105
; %bb.98:                               ;   in Loop: Header=BB317_9 Depth=1
	v_bfrev_b32_e32 v57, 1
	s_mov_b32 s28, exec_lo
	v_cmpx_ne_u16_e32 0x80, v2
	s_cbranch_execz .LBB317_104
; %bb.99:                               ;   in Loop: Header=BB317_9 Depth=1
	v_and_b32_e32 v2, 0xffff, v2
	v_mov_b32_e32 v57, 0x7f800001
	s_mov_b32 s29, exec_lo
	s_delay_alu instid0(VALU_DEP_2) | instskip(NEXT) | instid1(VALU_DEP_1)
	v_and_b32_e32 v60, 0x7f, v2
	v_cmpx_ne_u32_e32 0x7f, v60
	s_cbranch_execz .LBB317_103
; %bb.100:                              ;   in Loop: Header=BB317_9 Depth=1
	v_dual_lshrrev_b32 v57, 3, v60 :: v_dual_bitop2_b32 v2, 7, v2 bitop3:0x40
	s_mov_b32 s30, exec_lo
	v_cmpx_gt_u32_e32 8, v60
; %bb.101:                              ;   in Loop: Header=BB317_9 Depth=1
	s_delay_alu instid0(VALU_DEP_2) | instskip(NEXT) | instid1(VALU_DEP_1)
	v_clz_i32_u32_e32 v57, v2
	v_min_u32_e32 v57, 32, v57
	s_delay_alu instid0(VALU_DEP_1) | instskip(NEXT) | instid1(VALU_DEP_1)
	v_subrev_nc_u32_e32 v60, 28, v57
	v_lshlrev_b64_e32 v[60:61], v60, v[2:3]
	s_delay_alu instid0(VALU_DEP_1)
	v_dual_sub_nc_u32 v57, 29, v57 :: v_dual_bitop2_b32 v2, 7, v60 bitop3:0x40
; %bb.102:                              ;   in Loop: Header=BB317_9 Depth=1
	s_or_b32 exec_lo, exec_lo, s30
	s_delay_alu instid0(VALU_DEP_1) | instskip(NEXT) | instid1(VALU_DEP_2)
	v_dual_lshlrev_b32 v59, 16, v59 :: v_dual_lshlrev_b32 v2, 20, v2
	v_lshl_add_u32 v57, v57, 23, 0x3c000000
	s_delay_alu instid0(VALU_DEP_2) | instskip(NEXT) | instid1(VALU_DEP_1)
	v_and_b32_e32 v59, 0x80000000, v59
	v_or3_b32 v57, v2, v59, v57
.LBB317_103:                            ;   in Loop: Header=BB317_9 Depth=1
	s_or_b32 exec_lo, exec_lo, s29
.LBB317_104:                            ;   in Loop: Header=BB317_9 Depth=1
	s_delay_alu instid0(SALU_CYCLE_1)
	s_or_b32 exec_lo, exec_lo, s28
.LBB317_105:                            ;   in Loop: Header=BB317_9 Depth=1
	s_delay_alu instid0(SALU_CYCLE_1)
	s_or_b32 exec_lo, exec_lo, s27
	global_load_u16 v2, v[8:9], off offset:384
	v_mov_b32_e32 v59, 0
	s_wait_loadcnt 0x0
	v_and_b32_e32 v60, 0xff, v2
	v_and_b32_e32 v61, 0xffff, v2
	s_delay_alu instid0(VALU_DEP_2)
	v_cmp_ne_u16_e64 s4, 0, v60
	v_mov_b32_e32 v60, 0
	s_and_saveexec_b32 s27, s4
	s_cbranch_execz .LBB317_113
; %bb.106:                              ;   in Loop: Header=BB317_9 Depth=1
	v_and_b32_e32 v2, 0xff, v61
	v_bfrev_b32_e32 v60, 1
	s_mov_b32 s28, exec_lo
	s_delay_alu instid0(VALU_DEP_2)
	v_cmpx_ne_u16_e32 0x80, v2
	s_cbranch_execz .LBB317_112
; %bb.107:                              ;   in Loop: Header=BB317_9 Depth=1
	v_and_b32_e32 v62, 0x7f, v61
	v_mov_b32_e32 v60, 0x7f800001
	s_mov_b32 s29, exec_lo
	s_delay_alu instid0(VALU_DEP_2)
	v_cmpx_ne_u32_e32 0x7f, v62
	s_cbranch_execz .LBB317_111
; %bb.108:                              ;   in Loop: Header=BB317_9 Depth=1
	v_dual_lshrrev_b32 v60, 3, v62 :: v_dual_bitop2_b32 v2, 7, v61 bitop3:0x40
	s_mov_b32 s30, exec_lo
	v_cmpx_gt_u32_e32 8, v62
; %bb.109:                              ;   in Loop: Header=BB317_9 Depth=1
	s_delay_alu instid0(VALU_DEP_2) | instskip(NEXT) | instid1(VALU_DEP_1)
	v_clz_i32_u32_e32 v60, v2
	v_min_u32_e32 v60, 32, v60
	s_delay_alu instid0(VALU_DEP_1) | instskip(NEXT) | instid1(VALU_DEP_1)
	v_subrev_nc_u32_e32 v62, 28, v60
	v_lshlrev_b64_e32 v[62:63], v62, v[2:3]
	s_delay_alu instid0(VALU_DEP_1)
	v_dual_sub_nc_u32 v60, 29, v60 :: v_dual_bitop2_b32 v2, 7, v62 bitop3:0x40
; %bb.110:                              ;   in Loop: Header=BB317_9 Depth=1
	s_or_b32 exec_lo, exec_lo, s30
	s_delay_alu instid0(VALU_DEP_1) | instskip(NEXT) | instid1(VALU_DEP_2)
	v_dual_lshlrev_b32 v62, 24, v61 :: v_dual_lshlrev_b32 v2, 20, v2
	v_lshl_add_u32 v60, v60, 23, 0x3c000000
	s_delay_alu instid0(VALU_DEP_2) | instskip(NEXT) | instid1(VALU_DEP_1)
	v_and_b32_e32 v62, 0x80000000, v62
	v_or3_b32 v60, v2, v62, v60
.LBB317_111:                            ;   in Loop: Header=BB317_9 Depth=1
	s_or_b32 exec_lo, exec_lo, s29
.LBB317_112:                            ;   in Loop: Header=BB317_9 Depth=1
	s_delay_alu instid0(SALU_CYCLE_1)
	s_or_b32 exec_lo, exec_lo, s28
.LBB317_113:                            ;   in Loop: Header=BB317_9 Depth=1
	s_delay_alu instid0(SALU_CYCLE_1) | instskip(SKIP_2) | instid1(VALU_DEP_1)
	s_or_b32 exec_lo, exec_lo, s27
	v_lshrrev_b16 v2, 8, v61
	s_mov_b32 s27, exec_lo
	v_cmpx_ne_u16_e32 0, v2
	s_cbranch_execz .LBB317_121
; %bb.114:                              ;   in Loop: Header=BB317_9 Depth=1
	v_bfrev_b32_e32 v59, 1
	s_mov_b32 s28, exec_lo
	v_cmpx_ne_u16_e32 0x80, v2
	s_cbranch_execz .LBB317_120
; %bb.115:                              ;   in Loop: Header=BB317_9 Depth=1
	v_and_b32_e32 v2, 0xffff, v2
	v_mov_b32_e32 v59, 0x7f800001
	s_mov_b32 s29, exec_lo
	s_delay_alu instid0(VALU_DEP_2) | instskip(NEXT) | instid1(VALU_DEP_1)
	v_and_b32_e32 v62, 0x7f, v2
	v_cmpx_ne_u32_e32 0x7f, v62
	s_cbranch_execz .LBB317_119
; %bb.116:                              ;   in Loop: Header=BB317_9 Depth=1
	v_and_b32_e32 v2, 7, v2
	v_lshrrev_b32_e32 v59, 3, v62
	s_mov_b32 s30, exec_lo
	v_cmpx_gt_u32_e32 8, v62
; %bb.117:                              ;   in Loop: Header=BB317_9 Depth=1
	s_delay_alu instid0(VALU_DEP_3) | instskip(NEXT) | instid1(VALU_DEP_1)
	v_clz_i32_u32_e32 v59, v2
	v_min_u32_e32 v59, 32, v59
	s_delay_alu instid0(VALU_DEP_1) | instskip(NEXT) | instid1(VALU_DEP_1)
	v_subrev_nc_u32_e32 v62, 28, v59
	v_lshlrev_b64_e32 v[62:63], v62, v[2:3]
	s_delay_alu instid0(VALU_DEP_1)
	v_dual_sub_nc_u32 v59, 29, v59 :: v_dual_bitop2_b32 v2, 7, v62 bitop3:0x40
; %bb.118:                              ;   in Loop: Header=BB317_9 Depth=1
	s_or_b32 exec_lo, exec_lo, s30
	s_delay_alu instid0(VALU_DEP_1) | instskip(NEXT) | instid1(VALU_DEP_2)
	v_dual_lshlrev_b32 v61, 16, v61 :: v_dual_lshlrev_b32 v2, 20, v2
	v_lshl_add_u32 v59, v59, 23, 0x3c000000
	s_delay_alu instid0(VALU_DEP_2) | instskip(NEXT) | instid1(VALU_DEP_1)
	v_and_b32_e32 v61, 0x80000000, v61
	v_or3_b32 v59, v2, v61, v59
.LBB317_119:                            ;   in Loop: Header=BB317_9 Depth=1
	s_or_b32 exec_lo, exec_lo, s29
.LBB317_120:                            ;   in Loop: Header=BB317_9 Depth=1
	s_delay_alu instid0(SALU_CYCLE_1)
	s_or_b32 exec_lo, exec_lo, s28
.LBB317_121:                            ;   in Loop: Header=BB317_9 Depth=1
	s_delay_alu instid0(SALU_CYCLE_1)
	s_or_b32 exec_lo, exec_lo, s27
	global_load_u16 v2, v[8:9], off offset:392
	v_mov_b32_e32 v61, 0
	s_wait_loadcnt 0x0
	v_and_b32_e32 v62, 0xff, v2
	v_and_b32_e32 v63, 0xffff, v2
	s_delay_alu instid0(VALU_DEP_2)
	v_cmp_ne_u16_e64 s4, 0, v62
	v_mov_b32_e32 v62, 0
	s_and_saveexec_b32 s27, s4
	s_cbranch_execz .LBB317_129
; %bb.122:                              ;   in Loop: Header=BB317_9 Depth=1
	v_and_b32_e32 v2, 0xff, v63
	v_bfrev_b32_e32 v62, 1
	s_mov_b32 s28, exec_lo
	s_delay_alu instid0(VALU_DEP_2)
	v_cmpx_ne_u16_e32 0x80, v2
	s_cbranch_execz .LBB317_128
; %bb.123:                              ;   in Loop: Header=BB317_9 Depth=1
	v_and_b32_e32 v64, 0x7f, v63
	v_mov_b32_e32 v62, 0x7f800001
	s_mov_b32 s29, exec_lo
	s_delay_alu instid0(VALU_DEP_2)
	v_cmpx_ne_u32_e32 0x7f, v64
	s_cbranch_execz .LBB317_127
; %bb.124:                              ;   in Loop: Header=BB317_9 Depth=1
	v_dual_lshrrev_b32 v62, 3, v64 :: v_dual_bitop2_b32 v2, 7, v63 bitop3:0x40
	s_mov_b32 s30, exec_lo
	v_cmpx_gt_u32_e32 8, v64
; %bb.125:                              ;   in Loop: Header=BB317_9 Depth=1
	s_delay_alu instid0(VALU_DEP_2) | instskip(NEXT) | instid1(VALU_DEP_1)
	v_clz_i32_u32_e32 v62, v2
	v_min_u32_e32 v62, 32, v62
	s_delay_alu instid0(VALU_DEP_1) | instskip(NEXT) | instid1(VALU_DEP_1)
	v_subrev_nc_u32_e32 v64, 28, v62
	v_lshlrev_b64_e32 v[64:65], v64, v[2:3]
	s_delay_alu instid0(VALU_DEP_1)
	v_dual_sub_nc_u32 v62, 29, v62 :: v_dual_bitop2_b32 v2, 7, v64 bitop3:0x40
; %bb.126:                              ;   in Loop: Header=BB317_9 Depth=1
	s_or_b32 exec_lo, exec_lo, s30
	s_delay_alu instid0(VALU_DEP_1) | instskip(NEXT) | instid1(VALU_DEP_2)
	v_dual_lshlrev_b32 v64, 24, v63 :: v_dual_lshlrev_b32 v2, 20, v2
	v_lshl_add_u32 v62, v62, 23, 0x3c000000
	s_delay_alu instid0(VALU_DEP_2) | instskip(NEXT) | instid1(VALU_DEP_1)
	v_and_b32_e32 v64, 0x80000000, v64
	v_or3_b32 v62, v2, v64, v62
.LBB317_127:                            ;   in Loop: Header=BB317_9 Depth=1
	s_or_b32 exec_lo, exec_lo, s29
.LBB317_128:                            ;   in Loop: Header=BB317_9 Depth=1
	s_delay_alu instid0(SALU_CYCLE_1)
	s_or_b32 exec_lo, exec_lo, s28
.LBB317_129:                            ;   in Loop: Header=BB317_9 Depth=1
	s_delay_alu instid0(SALU_CYCLE_1) | instskip(SKIP_2) | instid1(VALU_DEP_1)
	s_or_b32 exec_lo, exec_lo, s27
	v_lshrrev_b16 v2, 8, v63
	s_mov_b32 s27, exec_lo
	v_cmpx_ne_u16_e32 0, v2
	s_cbranch_execz .LBB317_137
; %bb.130:                              ;   in Loop: Header=BB317_9 Depth=1
	v_bfrev_b32_e32 v61, 1
	s_mov_b32 s28, exec_lo
	v_cmpx_ne_u16_e32 0x80, v2
	s_cbranch_execz .LBB317_136
; %bb.131:                              ;   in Loop: Header=BB317_9 Depth=1
	v_and_b32_e32 v2, 0xffff, v2
	v_mov_b32_e32 v61, 0x7f800001
	s_mov_b32 s29, exec_lo
	s_delay_alu instid0(VALU_DEP_2) | instskip(NEXT) | instid1(VALU_DEP_1)
	v_and_b32_e32 v64, 0x7f, v2
	v_cmpx_ne_u32_e32 0x7f, v64
	s_cbranch_execz .LBB317_135
; %bb.132:                              ;   in Loop: Header=BB317_9 Depth=1
	v_dual_lshrrev_b32 v61, 3, v64 :: v_dual_bitop2_b32 v2, 7, v2 bitop3:0x40
	s_mov_b32 s30, exec_lo
	v_cmpx_gt_u32_e32 8, v64
; %bb.133:                              ;   in Loop: Header=BB317_9 Depth=1
	s_delay_alu instid0(VALU_DEP_2) | instskip(NEXT) | instid1(VALU_DEP_1)
	v_clz_i32_u32_e32 v61, v2
	v_min_u32_e32 v61, 32, v61
	s_delay_alu instid0(VALU_DEP_1) | instskip(NEXT) | instid1(VALU_DEP_1)
	v_subrev_nc_u32_e32 v64, 28, v61
	v_lshlrev_b64_e32 v[64:65], v64, v[2:3]
	s_delay_alu instid0(VALU_DEP_1)
	v_dual_sub_nc_u32 v61, 29, v61 :: v_dual_bitop2_b32 v2, 7, v64 bitop3:0x40
; %bb.134:                              ;   in Loop: Header=BB317_9 Depth=1
	s_or_b32 exec_lo, exec_lo, s30
	s_delay_alu instid0(VALU_DEP_1) | instskip(NEXT) | instid1(VALU_DEP_2)
	v_dual_lshlrev_b32 v63, 16, v63 :: v_dual_lshlrev_b32 v2, 20, v2
	v_lshl_add_u32 v61, v61, 23, 0x3c000000
	s_delay_alu instid0(VALU_DEP_2) | instskip(NEXT) | instid1(VALU_DEP_1)
	v_and_b32_e32 v63, 0x80000000, v63
	v_or3_b32 v61, v2, v63, v61
.LBB317_135:                            ;   in Loop: Header=BB317_9 Depth=1
	s_or_b32 exec_lo, exec_lo, s29
.LBB317_136:                            ;   in Loop: Header=BB317_9 Depth=1
	s_delay_alu instid0(SALU_CYCLE_1)
	s_or_b32 exec_lo, exec_lo, s28
.LBB317_137:                            ;   in Loop: Header=BB317_9 Depth=1
	s_delay_alu instid0(SALU_CYCLE_1)
	s_or_b32 exec_lo, exec_lo, s27
	global_load_u16 v2, v[8:9], off offset:512
	v_mov_b32_e32 v63, 0
	s_wait_loadcnt 0x0
	v_and_b32_e32 v64, 0xff, v2
	v_and_b32_e32 v65, 0xffff, v2
	s_delay_alu instid0(VALU_DEP_2)
	v_cmp_ne_u16_e64 s4, 0, v64
	v_mov_b32_e32 v64, 0
	s_and_saveexec_b32 s27, s4
	s_cbranch_execz .LBB317_145
; %bb.138:                              ;   in Loop: Header=BB317_9 Depth=1
	v_and_b32_e32 v2, 0xff, v65
	v_bfrev_b32_e32 v64, 1
	s_mov_b32 s28, exec_lo
	s_delay_alu instid0(VALU_DEP_2)
	v_cmpx_ne_u16_e32 0x80, v2
	s_cbranch_execz .LBB317_144
; %bb.139:                              ;   in Loop: Header=BB317_9 Depth=1
	v_and_b32_e32 v66, 0x7f, v65
	v_mov_b32_e32 v64, 0x7f800001
	s_mov_b32 s29, exec_lo
	s_delay_alu instid0(VALU_DEP_2)
	v_cmpx_ne_u32_e32 0x7f, v66
	s_cbranch_execz .LBB317_143
; %bb.140:                              ;   in Loop: Header=BB317_9 Depth=1
	v_dual_lshrrev_b32 v64, 3, v66 :: v_dual_bitop2_b32 v2, 7, v65 bitop3:0x40
	s_mov_b32 s30, exec_lo
	v_cmpx_gt_u32_e32 8, v66
; %bb.141:                              ;   in Loop: Header=BB317_9 Depth=1
	s_delay_alu instid0(VALU_DEP_2) | instskip(NEXT) | instid1(VALU_DEP_1)
	v_clz_i32_u32_e32 v64, v2
	v_min_u32_e32 v64, 32, v64
	s_delay_alu instid0(VALU_DEP_1) | instskip(NEXT) | instid1(VALU_DEP_1)
	v_subrev_nc_u32_e32 v66, 28, v64
	v_lshlrev_b64_e32 v[66:67], v66, v[2:3]
	s_delay_alu instid0(VALU_DEP_1)
	v_dual_sub_nc_u32 v64, 29, v64 :: v_dual_bitop2_b32 v2, 7, v66 bitop3:0x40
; %bb.142:                              ;   in Loop: Header=BB317_9 Depth=1
	s_or_b32 exec_lo, exec_lo, s30
	s_delay_alu instid0(VALU_DEP_1) | instskip(NEXT) | instid1(VALU_DEP_2)
	v_dual_lshlrev_b32 v66, 24, v65 :: v_dual_lshlrev_b32 v2, 20, v2
	v_lshl_add_u32 v64, v64, 23, 0x3c000000
	s_delay_alu instid0(VALU_DEP_2) | instskip(NEXT) | instid1(VALU_DEP_1)
	v_and_b32_e32 v66, 0x80000000, v66
	v_or3_b32 v64, v2, v66, v64
.LBB317_143:                            ;   in Loop: Header=BB317_9 Depth=1
	s_or_b32 exec_lo, exec_lo, s29
.LBB317_144:                            ;   in Loop: Header=BB317_9 Depth=1
	s_delay_alu instid0(SALU_CYCLE_1)
	s_or_b32 exec_lo, exec_lo, s28
.LBB317_145:                            ;   in Loop: Header=BB317_9 Depth=1
	s_delay_alu instid0(SALU_CYCLE_1) | instskip(SKIP_2) | instid1(VALU_DEP_1)
	s_or_b32 exec_lo, exec_lo, s27
	v_lshrrev_b16 v2, 8, v65
	s_mov_b32 s27, exec_lo
	v_cmpx_ne_u16_e32 0, v2
	s_cbranch_execz .LBB317_153
; %bb.146:                              ;   in Loop: Header=BB317_9 Depth=1
	v_bfrev_b32_e32 v63, 1
	s_mov_b32 s28, exec_lo
	v_cmpx_ne_u16_e32 0x80, v2
	s_cbranch_execz .LBB317_152
; %bb.147:                              ;   in Loop: Header=BB317_9 Depth=1
	v_and_b32_e32 v2, 0xffff, v2
	v_mov_b32_e32 v63, 0x7f800001
	s_mov_b32 s29, exec_lo
	s_delay_alu instid0(VALU_DEP_2) | instskip(NEXT) | instid1(VALU_DEP_1)
	v_and_b32_e32 v66, 0x7f, v2
	v_cmpx_ne_u32_e32 0x7f, v66
	s_cbranch_execz .LBB317_151
; %bb.148:                              ;   in Loop: Header=BB317_9 Depth=1
	v_and_b32_e32 v2, 7, v2
	v_lshrrev_b32_e32 v63, 3, v66
	s_mov_b32 s30, exec_lo
	v_cmpx_gt_u32_e32 8, v66
; %bb.149:                              ;   in Loop: Header=BB317_9 Depth=1
	s_delay_alu instid0(VALU_DEP_3) | instskip(NEXT) | instid1(VALU_DEP_1)
	v_clz_i32_u32_e32 v63, v2
	v_min_u32_e32 v63, 32, v63
	s_delay_alu instid0(VALU_DEP_1) | instskip(NEXT) | instid1(VALU_DEP_1)
	v_subrev_nc_u32_e32 v66, 28, v63
	v_lshlrev_b64_e32 v[66:67], v66, v[2:3]
	s_delay_alu instid0(VALU_DEP_1)
	v_dual_sub_nc_u32 v63, 29, v63 :: v_dual_bitop2_b32 v2, 7, v66 bitop3:0x40
; %bb.150:                              ;   in Loop: Header=BB317_9 Depth=1
	s_or_b32 exec_lo, exec_lo, s30
	s_delay_alu instid0(VALU_DEP_1) | instskip(NEXT) | instid1(VALU_DEP_2)
	v_dual_lshlrev_b32 v65, 16, v65 :: v_dual_lshlrev_b32 v2, 20, v2
	v_lshl_add_u32 v63, v63, 23, 0x3c000000
	s_delay_alu instid0(VALU_DEP_2) | instskip(NEXT) | instid1(VALU_DEP_1)
	v_and_b32_e32 v65, 0x80000000, v65
	v_or3_b32 v63, v2, v65, v63
.LBB317_151:                            ;   in Loop: Header=BB317_9 Depth=1
	s_or_b32 exec_lo, exec_lo, s29
.LBB317_152:                            ;   in Loop: Header=BB317_9 Depth=1
	s_delay_alu instid0(SALU_CYCLE_1)
	s_or_b32 exec_lo, exec_lo, s28
.LBB317_153:                            ;   in Loop: Header=BB317_9 Depth=1
	s_delay_alu instid0(SALU_CYCLE_1)
	s_or_b32 exec_lo, exec_lo, s27
	global_load_u16 v2, v[8:9], off offset:520
	v_mov_b32_e32 v65, 0
	s_wait_loadcnt 0x0
	v_and_b32_e32 v66, 0xff, v2
	v_and_b32_e32 v67, 0xffff, v2
	s_delay_alu instid0(VALU_DEP_2)
	v_cmp_ne_u16_e64 s4, 0, v66
	v_mov_b32_e32 v66, 0
	s_and_saveexec_b32 s27, s4
	s_cbranch_execz .LBB317_161
; %bb.154:                              ;   in Loop: Header=BB317_9 Depth=1
	v_and_b32_e32 v2, 0xff, v67
	v_bfrev_b32_e32 v66, 1
	s_mov_b32 s28, exec_lo
	s_delay_alu instid0(VALU_DEP_2)
	v_cmpx_ne_u16_e32 0x80, v2
	s_cbranch_execz .LBB317_160
; %bb.155:                              ;   in Loop: Header=BB317_9 Depth=1
	v_and_b32_e32 v68, 0x7f, v67
	v_mov_b32_e32 v66, 0x7f800001
	s_mov_b32 s29, exec_lo
	s_delay_alu instid0(VALU_DEP_2)
	v_cmpx_ne_u32_e32 0x7f, v68
	s_cbranch_execz .LBB317_159
; %bb.156:                              ;   in Loop: Header=BB317_9 Depth=1
	v_dual_lshrrev_b32 v66, 3, v68 :: v_dual_bitop2_b32 v2, 7, v67 bitop3:0x40
	s_mov_b32 s30, exec_lo
	v_cmpx_gt_u32_e32 8, v68
; %bb.157:                              ;   in Loop: Header=BB317_9 Depth=1
	s_delay_alu instid0(VALU_DEP_2) | instskip(NEXT) | instid1(VALU_DEP_1)
	v_clz_i32_u32_e32 v66, v2
	v_min_u32_e32 v66, 32, v66
	s_delay_alu instid0(VALU_DEP_1) | instskip(NEXT) | instid1(VALU_DEP_1)
	v_subrev_nc_u32_e32 v68, 28, v66
	v_lshlrev_b64_e32 v[68:69], v68, v[2:3]
	s_delay_alu instid0(VALU_DEP_1)
	v_dual_sub_nc_u32 v66, 29, v66 :: v_dual_bitop2_b32 v2, 7, v68 bitop3:0x40
; %bb.158:                              ;   in Loop: Header=BB317_9 Depth=1
	s_or_b32 exec_lo, exec_lo, s30
	s_delay_alu instid0(VALU_DEP_1) | instskip(NEXT) | instid1(VALU_DEP_2)
	v_dual_lshlrev_b32 v68, 24, v67 :: v_dual_lshlrev_b32 v2, 20, v2
	v_lshl_add_u32 v66, v66, 23, 0x3c000000
	s_delay_alu instid0(VALU_DEP_2) | instskip(NEXT) | instid1(VALU_DEP_1)
	v_and_b32_e32 v68, 0x80000000, v68
	v_or3_b32 v66, v2, v68, v66
.LBB317_159:                            ;   in Loop: Header=BB317_9 Depth=1
	s_or_b32 exec_lo, exec_lo, s29
.LBB317_160:                            ;   in Loop: Header=BB317_9 Depth=1
	s_delay_alu instid0(SALU_CYCLE_1)
	s_or_b32 exec_lo, exec_lo, s28
.LBB317_161:                            ;   in Loop: Header=BB317_9 Depth=1
	s_delay_alu instid0(SALU_CYCLE_1) | instskip(SKIP_2) | instid1(VALU_DEP_1)
	s_or_b32 exec_lo, exec_lo, s27
	v_lshrrev_b16 v2, 8, v67
	s_mov_b32 s27, exec_lo
	v_cmpx_ne_u16_e32 0, v2
	s_cbranch_execz .LBB317_169
; %bb.162:                              ;   in Loop: Header=BB317_9 Depth=1
	v_bfrev_b32_e32 v65, 1
	s_mov_b32 s28, exec_lo
	v_cmpx_ne_u16_e32 0x80, v2
	s_cbranch_execz .LBB317_168
; %bb.163:                              ;   in Loop: Header=BB317_9 Depth=1
	v_and_b32_e32 v2, 0xffff, v2
	v_mov_b32_e32 v65, 0x7f800001
	s_mov_b32 s29, exec_lo
	s_delay_alu instid0(VALU_DEP_2) | instskip(NEXT) | instid1(VALU_DEP_1)
	v_and_b32_e32 v68, 0x7f, v2
	v_cmpx_ne_u32_e32 0x7f, v68
	s_cbranch_execz .LBB317_167
; %bb.164:                              ;   in Loop: Header=BB317_9 Depth=1
	v_dual_lshrrev_b32 v65, 3, v68 :: v_dual_bitop2_b32 v2, 7, v2 bitop3:0x40
	s_mov_b32 s30, exec_lo
	v_cmpx_gt_u32_e32 8, v68
; %bb.165:                              ;   in Loop: Header=BB317_9 Depth=1
	s_delay_alu instid0(VALU_DEP_2) | instskip(NEXT) | instid1(VALU_DEP_1)
	v_clz_i32_u32_e32 v65, v2
	v_min_u32_e32 v65, 32, v65
	s_delay_alu instid0(VALU_DEP_1) | instskip(NEXT) | instid1(VALU_DEP_1)
	v_subrev_nc_u32_e32 v68, 28, v65
	v_lshlrev_b64_e32 v[68:69], v68, v[2:3]
	s_delay_alu instid0(VALU_DEP_1)
	v_dual_sub_nc_u32 v65, 29, v65 :: v_dual_bitop2_b32 v2, 7, v68 bitop3:0x40
; %bb.166:                              ;   in Loop: Header=BB317_9 Depth=1
	s_or_b32 exec_lo, exec_lo, s30
	s_delay_alu instid0(VALU_DEP_1) | instskip(NEXT) | instid1(VALU_DEP_2)
	v_dual_lshlrev_b32 v67, 16, v67 :: v_dual_lshlrev_b32 v2, 20, v2
	v_lshl_add_u32 v65, v65, 23, 0x3c000000
	s_delay_alu instid0(VALU_DEP_2) | instskip(NEXT) | instid1(VALU_DEP_1)
	v_and_b32_e32 v67, 0x80000000, v67
	v_or3_b32 v65, v2, v67, v65
.LBB317_167:                            ;   in Loop: Header=BB317_9 Depth=1
	s_or_b32 exec_lo, exec_lo, s29
.LBB317_168:                            ;   in Loop: Header=BB317_9 Depth=1
	s_delay_alu instid0(SALU_CYCLE_1)
	s_or_b32 exec_lo, exec_lo, s28
.LBB317_169:                            ;   in Loop: Header=BB317_9 Depth=1
	s_delay_alu instid0(SALU_CYCLE_1)
	s_or_b32 exec_lo, exec_lo, s27
	global_load_u16 v2, v[8:9], off offset:640
	v_mov_b32_e32 v67, 0
	s_wait_loadcnt 0x0
	v_and_b32_e32 v68, 0xff, v2
	v_and_b32_e32 v69, 0xffff, v2
	s_delay_alu instid0(VALU_DEP_2)
	v_cmp_ne_u16_e64 s4, 0, v68
	v_mov_b32_e32 v68, 0
	s_and_saveexec_b32 s27, s4
	s_cbranch_execz .LBB317_177
; %bb.170:                              ;   in Loop: Header=BB317_9 Depth=1
	v_and_b32_e32 v2, 0xff, v69
	v_bfrev_b32_e32 v68, 1
	s_mov_b32 s28, exec_lo
	s_delay_alu instid0(VALU_DEP_2)
	v_cmpx_ne_u16_e32 0x80, v2
	s_cbranch_execz .LBB317_176
; %bb.171:                              ;   in Loop: Header=BB317_9 Depth=1
	v_and_b32_e32 v70, 0x7f, v69
	v_mov_b32_e32 v68, 0x7f800001
	s_mov_b32 s29, exec_lo
	s_delay_alu instid0(VALU_DEP_2)
	v_cmpx_ne_u32_e32 0x7f, v70
	s_cbranch_execz .LBB317_175
; %bb.172:                              ;   in Loop: Header=BB317_9 Depth=1
	v_dual_lshrrev_b32 v68, 3, v70 :: v_dual_bitop2_b32 v2, 7, v69 bitop3:0x40
	s_mov_b32 s30, exec_lo
	v_cmpx_gt_u32_e32 8, v70
; %bb.173:                              ;   in Loop: Header=BB317_9 Depth=1
	s_delay_alu instid0(VALU_DEP_2) | instskip(NEXT) | instid1(VALU_DEP_1)
	v_clz_i32_u32_e32 v68, v2
	v_min_u32_e32 v68, 32, v68
	s_delay_alu instid0(VALU_DEP_1) | instskip(NEXT) | instid1(VALU_DEP_1)
	v_subrev_nc_u32_e32 v70, 28, v68
	v_lshlrev_b64_e32 v[70:71], v70, v[2:3]
	s_delay_alu instid0(VALU_DEP_1)
	v_dual_sub_nc_u32 v68, 29, v68 :: v_dual_bitop2_b32 v2, 7, v70 bitop3:0x40
; %bb.174:                              ;   in Loop: Header=BB317_9 Depth=1
	s_or_b32 exec_lo, exec_lo, s30
	s_delay_alu instid0(VALU_DEP_1) | instskip(NEXT) | instid1(VALU_DEP_2)
	v_dual_lshlrev_b32 v70, 24, v69 :: v_dual_lshlrev_b32 v2, 20, v2
	v_lshl_add_u32 v68, v68, 23, 0x3c000000
	s_delay_alu instid0(VALU_DEP_2) | instskip(NEXT) | instid1(VALU_DEP_1)
	v_and_b32_e32 v70, 0x80000000, v70
	v_or3_b32 v68, v2, v70, v68
.LBB317_175:                            ;   in Loop: Header=BB317_9 Depth=1
	s_or_b32 exec_lo, exec_lo, s29
.LBB317_176:                            ;   in Loop: Header=BB317_9 Depth=1
	s_delay_alu instid0(SALU_CYCLE_1)
	s_or_b32 exec_lo, exec_lo, s28
.LBB317_177:                            ;   in Loop: Header=BB317_9 Depth=1
	s_delay_alu instid0(SALU_CYCLE_1) | instskip(SKIP_2) | instid1(VALU_DEP_1)
	s_or_b32 exec_lo, exec_lo, s27
	v_lshrrev_b16 v2, 8, v69
	s_mov_b32 s27, exec_lo
	v_cmpx_ne_u16_e32 0, v2
	s_cbranch_execz .LBB317_185
; %bb.178:                              ;   in Loop: Header=BB317_9 Depth=1
	v_bfrev_b32_e32 v67, 1
	s_mov_b32 s28, exec_lo
	v_cmpx_ne_u16_e32 0x80, v2
	s_cbranch_execz .LBB317_184
; %bb.179:                              ;   in Loop: Header=BB317_9 Depth=1
	v_and_b32_e32 v2, 0xffff, v2
	v_mov_b32_e32 v67, 0x7f800001
	s_mov_b32 s29, exec_lo
	s_delay_alu instid0(VALU_DEP_2) | instskip(NEXT) | instid1(VALU_DEP_1)
	v_and_b32_e32 v70, 0x7f, v2
	v_cmpx_ne_u32_e32 0x7f, v70
	s_cbranch_execz .LBB317_183
; %bb.180:                              ;   in Loop: Header=BB317_9 Depth=1
	v_and_b32_e32 v2, 7, v2
	v_lshrrev_b32_e32 v67, 3, v70
	s_mov_b32 s30, exec_lo
	v_cmpx_gt_u32_e32 8, v70
; %bb.181:                              ;   in Loop: Header=BB317_9 Depth=1
	s_delay_alu instid0(VALU_DEP_3) | instskip(NEXT) | instid1(VALU_DEP_1)
	v_clz_i32_u32_e32 v67, v2
	v_min_u32_e32 v67, 32, v67
	s_delay_alu instid0(VALU_DEP_1) | instskip(NEXT) | instid1(VALU_DEP_1)
	v_subrev_nc_u32_e32 v70, 28, v67
	v_lshlrev_b64_e32 v[70:71], v70, v[2:3]
	s_delay_alu instid0(VALU_DEP_1)
	v_dual_sub_nc_u32 v67, 29, v67 :: v_dual_bitop2_b32 v2, 7, v70 bitop3:0x40
; %bb.182:                              ;   in Loop: Header=BB317_9 Depth=1
	s_or_b32 exec_lo, exec_lo, s30
	s_delay_alu instid0(VALU_DEP_1) | instskip(NEXT) | instid1(VALU_DEP_2)
	v_dual_lshlrev_b32 v69, 16, v69 :: v_dual_lshlrev_b32 v2, 20, v2
	v_lshl_add_u32 v67, v67, 23, 0x3c000000
	s_delay_alu instid0(VALU_DEP_2) | instskip(NEXT) | instid1(VALU_DEP_1)
	v_and_b32_e32 v69, 0x80000000, v69
	v_or3_b32 v67, v2, v69, v67
.LBB317_183:                            ;   in Loop: Header=BB317_9 Depth=1
	s_or_b32 exec_lo, exec_lo, s29
.LBB317_184:                            ;   in Loop: Header=BB317_9 Depth=1
	s_delay_alu instid0(SALU_CYCLE_1)
	s_or_b32 exec_lo, exec_lo, s28
.LBB317_185:                            ;   in Loop: Header=BB317_9 Depth=1
	s_delay_alu instid0(SALU_CYCLE_1)
	s_or_b32 exec_lo, exec_lo, s27
	global_load_u16 v2, v[8:9], off offset:648
	v_mov_b32_e32 v69, 0
	s_wait_loadcnt 0x0
	v_and_b32_e32 v70, 0xff, v2
	v_and_b32_e32 v71, 0xffff, v2
	s_delay_alu instid0(VALU_DEP_2)
	v_cmp_ne_u16_e64 s4, 0, v70
	v_mov_b32_e32 v70, 0
	s_and_saveexec_b32 s27, s4
	s_cbranch_execz .LBB317_193
; %bb.186:                              ;   in Loop: Header=BB317_9 Depth=1
	v_and_b32_e32 v2, 0xff, v71
	v_bfrev_b32_e32 v70, 1
	s_mov_b32 s28, exec_lo
	s_delay_alu instid0(VALU_DEP_2)
	v_cmpx_ne_u16_e32 0x80, v2
	s_cbranch_execz .LBB317_192
; %bb.187:                              ;   in Loop: Header=BB317_9 Depth=1
	v_and_b32_e32 v72, 0x7f, v71
	v_mov_b32_e32 v70, 0x7f800001
	s_mov_b32 s29, exec_lo
	s_delay_alu instid0(VALU_DEP_2)
	v_cmpx_ne_u32_e32 0x7f, v72
	s_cbranch_execz .LBB317_191
; %bb.188:                              ;   in Loop: Header=BB317_9 Depth=1
	v_dual_lshrrev_b32 v70, 3, v72 :: v_dual_bitop2_b32 v2, 7, v71 bitop3:0x40
	s_mov_b32 s30, exec_lo
	v_cmpx_gt_u32_e32 8, v72
; %bb.189:                              ;   in Loop: Header=BB317_9 Depth=1
	s_delay_alu instid0(VALU_DEP_2) | instskip(NEXT) | instid1(VALU_DEP_1)
	v_clz_i32_u32_e32 v70, v2
	v_min_u32_e32 v70, 32, v70
	s_delay_alu instid0(VALU_DEP_1) | instskip(NEXT) | instid1(VALU_DEP_1)
	v_subrev_nc_u32_e32 v72, 28, v70
	v_lshlrev_b64_e32 v[72:73], v72, v[2:3]
	s_delay_alu instid0(VALU_DEP_1)
	v_dual_sub_nc_u32 v70, 29, v70 :: v_dual_bitop2_b32 v2, 7, v72 bitop3:0x40
; %bb.190:                              ;   in Loop: Header=BB317_9 Depth=1
	s_or_b32 exec_lo, exec_lo, s30
	s_delay_alu instid0(VALU_DEP_1) | instskip(NEXT) | instid1(VALU_DEP_2)
	v_dual_lshlrev_b32 v72, 24, v71 :: v_dual_lshlrev_b32 v2, 20, v2
	v_lshl_add_u32 v70, v70, 23, 0x3c000000
	s_delay_alu instid0(VALU_DEP_2) | instskip(NEXT) | instid1(VALU_DEP_1)
	v_and_b32_e32 v72, 0x80000000, v72
	v_or3_b32 v70, v2, v72, v70
.LBB317_191:                            ;   in Loop: Header=BB317_9 Depth=1
	s_or_b32 exec_lo, exec_lo, s29
.LBB317_192:                            ;   in Loop: Header=BB317_9 Depth=1
	s_delay_alu instid0(SALU_CYCLE_1)
	s_or_b32 exec_lo, exec_lo, s28
.LBB317_193:                            ;   in Loop: Header=BB317_9 Depth=1
	s_delay_alu instid0(SALU_CYCLE_1) | instskip(SKIP_2) | instid1(VALU_DEP_1)
	s_or_b32 exec_lo, exec_lo, s27
	v_lshrrev_b16 v2, 8, v71
	s_mov_b32 s27, exec_lo
	v_cmpx_ne_u16_e32 0, v2
	s_cbranch_execz .LBB317_201
; %bb.194:                              ;   in Loop: Header=BB317_9 Depth=1
	v_bfrev_b32_e32 v69, 1
	s_mov_b32 s28, exec_lo
	v_cmpx_ne_u16_e32 0x80, v2
	s_cbranch_execz .LBB317_200
; %bb.195:                              ;   in Loop: Header=BB317_9 Depth=1
	v_and_b32_e32 v2, 0xffff, v2
	v_mov_b32_e32 v69, 0x7f800001
	s_mov_b32 s29, exec_lo
	s_delay_alu instid0(VALU_DEP_2) | instskip(NEXT) | instid1(VALU_DEP_1)
	v_and_b32_e32 v72, 0x7f, v2
	v_cmpx_ne_u32_e32 0x7f, v72
	s_cbranch_execz .LBB317_199
; %bb.196:                              ;   in Loop: Header=BB317_9 Depth=1
	v_dual_lshrrev_b32 v69, 3, v72 :: v_dual_bitop2_b32 v2, 7, v2 bitop3:0x40
	s_mov_b32 s30, exec_lo
	v_cmpx_gt_u32_e32 8, v72
; %bb.197:                              ;   in Loop: Header=BB317_9 Depth=1
	s_delay_alu instid0(VALU_DEP_2) | instskip(NEXT) | instid1(VALU_DEP_1)
	v_clz_i32_u32_e32 v69, v2
	v_min_u32_e32 v69, 32, v69
	s_delay_alu instid0(VALU_DEP_1) | instskip(NEXT) | instid1(VALU_DEP_1)
	v_subrev_nc_u32_e32 v72, 28, v69
	v_lshlrev_b64_e32 v[72:73], v72, v[2:3]
	s_delay_alu instid0(VALU_DEP_1)
	v_dual_sub_nc_u32 v69, 29, v69 :: v_dual_bitop2_b32 v2, 7, v72 bitop3:0x40
; %bb.198:                              ;   in Loop: Header=BB317_9 Depth=1
	s_or_b32 exec_lo, exec_lo, s30
	s_delay_alu instid0(VALU_DEP_1) | instskip(NEXT) | instid1(VALU_DEP_2)
	v_dual_lshlrev_b32 v71, 16, v71 :: v_dual_lshlrev_b32 v2, 20, v2
	v_lshl_add_u32 v69, v69, 23, 0x3c000000
	s_delay_alu instid0(VALU_DEP_2) | instskip(NEXT) | instid1(VALU_DEP_1)
	v_and_b32_e32 v71, 0x80000000, v71
	v_or3_b32 v69, v2, v71, v69
.LBB317_199:                            ;   in Loop: Header=BB317_9 Depth=1
	s_or_b32 exec_lo, exec_lo, s29
.LBB317_200:                            ;   in Loop: Header=BB317_9 Depth=1
	s_delay_alu instid0(SALU_CYCLE_1)
	s_or_b32 exec_lo, exec_lo, s28
.LBB317_201:                            ;   in Loop: Header=BB317_9 Depth=1
	s_delay_alu instid0(SALU_CYCLE_1)
	s_or_b32 exec_lo, exec_lo, s27
	global_load_u16 v2, v[8:9], off offset:768
	v_mov_b32_e32 v71, 0
	s_wait_loadcnt 0x0
	v_and_b32_e32 v72, 0xff, v2
	v_and_b32_e32 v73, 0xffff, v2
	s_delay_alu instid0(VALU_DEP_2)
	v_cmp_ne_u16_e64 s4, 0, v72
	v_mov_b32_e32 v72, 0
	s_and_saveexec_b32 s27, s4
	s_cbranch_execz .LBB317_209
; %bb.202:                              ;   in Loop: Header=BB317_9 Depth=1
	v_and_b32_e32 v2, 0xff, v73
	v_bfrev_b32_e32 v72, 1
	s_mov_b32 s28, exec_lo
	s_delay_alu instid0(VALU_DEP_2)
	v_cmpx_ne_u16_e32 0x80, v2
	s_cbranch_execz .LBB317_208
; %bb.203:                              ;   in Loop: Header=BB317_9 Depth=1
	v_and_b32_e32 v74, 0x7f, v73
	v_mov_b32_e32 v72, 0x7f800001
	s_mov_b32 s29, exec_lo
	s_delay_alu instid0(VALU_DEP_2)
	v_cmpx_ne_u32_e32 0x7f, v74
	s_cbranch_execz .LBB317_207
; %bb.204:                              ;   in Loop: Header=BB317_9 Depth=1
	v_dual_lshrrev_b32 v72, 3, v74 :: v_dual_bitop2_b32 v2, 7, v73 bitop3:0x40
	s_mov_b32 s30, exec_lo
	v_cmpx_gt_u32_e32 8, v74
; %bb.205:                              ;   in Loop: Header=BB317_9 Depth=1
	s_delay_alu instid0(VALU_DEP_2) | instskip(NEXT) | instid1(VALU_DEP_1)
	v_clz_i32_u32_e32 v72, v2
	v_min_u32_e32 v72, 32, v72
	s_delay_alu instid0(VALU_DEP_1) | instskip(NEXT) | instid1(VALU_DEP_1)
	v_subrev_nc_u32_e32 v74, 28, v72
	v_lshlrev_b64_e32 v[74:75], v74, v[2:3]
	s_delay_alu instid0(VALU_DEP_1)
	v_dual_sub_nc_u32 v72, 29, v72 :: v_dual_bitop2_b32 v2, 7, v74 bitop3:0x40
; %bb.206:                              ;   in Loop: Header=BB317_9 Depth=1
	s_or_b32 exec_lo, exec_lo, s30
	s_delay_alu instid0(VALU_DEP_1) | instskip(NEXT) | instid1(VALU_DEP_2)
	v_dual_lshlrev_b32 v74, 24, v73 :: v_dual_lshlrev_b32 v2, 20, v2
	v_lshl_add_u32 v72, v72, 23, 0x3c000000
	s_delay_alu instid0(VALU_DEP_2) | instskip(NEXT) | instid1(VALU_DEP_1)
	v_and_b32_e32 v74, 0x80000000, v74
	v_or3_b32 v72, v2, v74, v72
.LBB317_207:                            ;   in Loop: Header=BB317_9 Depth=1
	s_or_b32 exec_lo, exec_lo, s29
.LBB317_208:                            ;   in Loop: Header=BB317_9 Depth=1
	s_delay_alu instid0(SALU_CYCLE_1)
	s_or_b32 exec_lo, exec_lo, s28
.LBB317_209:                            ;   in Loop: Header=BB317_9 Depth=1
	s_delay_alu instid0(SALU_CYCLE_1) | instskip(SKIP_2) | instid1(VALU_DEP_1)
	s_or_b32 exec_lo, exec_lo, s27
	v_lshrrev_b16 v2, 8, v73
	s_mov_b32 s27, exec_lo
	v_cmpx_ne_u16_e32 0, v2
	s_cbranch_execz .LBB317_217
; %bb.210:                              ;   in Loop: Header=BB317_9 Depth=1
	v_bfrev_b32_e32 v71, 1
	s_mov_b32 s28, exec_lo
	v_cmpx_ne_u16_e32 0x80, v2
	s_cbranch_execz .LBB317_216
; %bb.211:                              ;   in Loop: Header=BB317_9 Depth=1
	v_and_b32_e32 v2, 0xffff, v2
	v_mov_b32_e32 v71, 0x7f800001
	s_mov_b32 s29, exec_lo
	s_delay_alu instid0(VALU_DEP_2) | instskip(NEXT) | instid1(VALU_DEP_1)
	v_and_b32_e32 v74, 0x7f, v2
	v_cmpx_ne_u32_e32 0x7f, v74
	s_cbranch_execz .LBB317_215
; %bb.212:                              ;   in Loop: Header=BB317_9 Depth=1
	v_and_b32_e32 v2, 7, v2
	v_lshrrev_b32_e32 v71, 3, v74
	s_mov_b32 s30, exec_lo
	v_cmpx_gt_u32_e32 8, v74
; %bb.213:                              ;   in Loop: Header=BB317_9 Depth=1
	s_delay_alu instid0(VALU_DEP_3) | instskip(NEXT) | instid1(VALU_DEP_1)
	v_clz_i32_u32_e32 v71, v2
	v_min_u32_e32 v71, 32, v71
	s_delay_alu instid0(VALU_DEP_1) | instskip(NEXT) | instid1(VALU_DEP_1)
	v_subrev_nc_u32_e32 v74, 28, v71
	v_lshlrev_b64_e32 v[74:75], v74, v[2:3]
	s_delay_alu instid0(VALU_DEP_1)
	v_dual_sub_nc_u32 v71, 29, v71 :: v_dual_bitop2_b32 v2, 7, v74 bitop3:0x40
; %bb.214:                              ;   in Loop: Header=BB317_9 Depth=1
	s_or_b32 exec_lo, exec_lo, s30
	s_delay_alu instid0(VALU_DEP_1) | instskip(NEXT) | instid1(VALU_DEP_2)
	v_dual_lshlrev_b32 v73, 16, v73 :: v_dual_lshlrev_b32 v2, 20, v2
	v_lshl_add_u32 v71, v71, 23, 0x3c000000
	s_delay_alu instid0(VALU_DEP_2) | instskip(NEXT) | instid1(VALU_DEP_1)
	v_and_b32_e32 v73, 0x80000000, v73
	v_or3_b32 v71, v2, v73, v71
.LBB317_215:                            ;   in Loop: Header=BB317_9 Depth=1
	s_or_b32 exec_lo, exec_lo, s29
.LBB317_216:                            ;   in Loop: Header=BB317_9 Depth=1
	s_delay_alu instid0(SALU_CYCLE_1)
	s_or_b32 exec_lo, exec_lo, s28
.LBB317_217:                            ;   in Loop: Header=BB317_9 Depth=1
	s_delay_alu instid0(SALU_CYCLE_1)
	s_or_b32 exec_lo, exec_lo, s27
	global_load_u16 v2, v[8:9], off offset:776
	s_wait_xcnt 0x0
	v_mov_b32_e32 v8, 0
	s_wait_loadcnt 0x0
	v_and_b32_e32 v9, 0xff, v2
	v_and_b32_e32 v73, 0xffff, v2
	s_delay_alu instid0(VALU_DEP_2)
	v_cmp_ne_u16_e64 s4, 0, v9
	v_mov_b32_e32 v9, 0
	s_and_saveexec_b32 s27, s4
	s_cbranch_execz .LBB317_225
; %bb.218:                              ;   in Loop: Header=BB317_9 Depth=1
	v_and_b32_e32 v2, 0xff, v73
	v_bfrev_b32_e32 v9, 1
	s_mov_b32 s28, exec_lo
	s_delay_alu instid0(VALU_DEP_2)
	v_cmpx_ne_u16_e32 0x80, v2
	s_cbranch_execz .LBB317_224
; %bb.219:                              ;   in Loop: Header=BB317_9 Depth=1
	v_and_b32_e32 v74, 0x7f, v73
	v_mov_b32_e32 v9, 0x7f800001
	s_mov_b32 s29, exec_lo
	s_delay_alu instid0(VALU_DEP_2)
	v_cmpx_ne_u32_e32 0x7f, v74
	s_cbranch_execz .LBB317_223
; %bb.220:                              ;   in Loop: Header=BB317_9 Depth=1
	v_dual_lshrrev_b32 v9, 3, v74 :: v_dual_bitop2_b32 v2, 7, v73 bitop3:0x40
	s_mov_b32 s30, exec_lo
	v_cmpx_gt_u32_e32 8, v74
; %bb.221:                              ;   in Loop: Header=BB317_9 Depth=1
	s_delay_alu instid0(VALU_DEP_2) | instskip(NEXT) | instid1(VALU_DEP_1)
	v_clz_i32_u32_e32 v9, v2
	v_min_u32_e32 v9, 32, v9
	s_delay_alu instid0(VALU_DEP_1) | instskip(NEXT) | instid1(VALU_DEP_1)
	v_subrev_nc_u32_e32 v74, 28, v9
	v_lshlrev_b64_e32 v[74:75], v74, v[2:3]
	s_delay_alu instid0(VALU_DEP_1)
	v_dual_sub_nc_u32 v9, 29, v9 :: v_dual_bitop2_b32 v2, 7, v74 bitop3:0x40
; %bb.222:                              ;   in Loop: Header=BB317_9 Depth=1
	s_or_b32 exec_lo, exec_lo, s30
	s_delay_alu instid0(VALU_DEP_1) | instskip(NEXT) | instid1(VALU_DEP_2)
	v_dual_lshlrev_b32 v74, 24, v73 :: v_dual_lshlrev_b32 v2, 20, v2
	v_lshl_add_u32 v9, v9, 23, 0x3c000000
	s_delay_alu instid0(VALU_DEP_2) | instskip(NEXT) | instid1(VALU_DEP_1)
	v_and_b32_e32 v74, 0x80000000, v74
	v_or3_b32 v9, v2, v74, v9
.LBB317_223:                            ;   in Loop: Header=BB317_9 Depth=1
	s_or_b32 exec_lo, exec_lo, s29
.LBB317_224:                            ;   in Loop: Header=BB317_9 Depth=1
	s_delay_alu instid0(SALU_CYCLE_1)
	s_or_b32 exec_lo, exec_lo, s28
.LBB317_225:                            ;   in Loop: Header=BB317_9 Depth=1
	s_delay_alu instid0(SALU_CYCLE_1) | instskip(SKIP_2) | instid1(VALU_DEP_1)
	s_or_b32 exec_lo, exec_lo, s27
	v_lshrrev_b16 v2, 8, v73
	s_mov_b32 s27, exec_lo
	v_cmpx_ne_u16_e32 0, v2
	s_cbranch_execz .LBB317_233
; %bb.226:                              ;   in Loop: Header=BB317_9 Depth=1
	v_bfrev_b32_e32 v8, 1
	s_mov_b32 s28, exec_lo
	v_cmpx_ne_u16_e32 0x80, v2
	s_cbranch_execz .LBB317_232
; %bb.227:                              ;   in Loop: Header=BB317_9 Depth=1
	v_and_b32_e32 v2, 0xffff, v2
	v_mov_b32_e32 v8, 0x7f800001
	s_mov_b32 s29, exec_lo
	s_delay_alu instid0(VALU_DEP_2) | instskip(NEXT) | instid1(VALU_DEP_1)
	v_and_b32_e32 v74, 0x7f, v2
	v_cmpx_ne_u32_e32 0x7f, v74
	s_cbranch_execz .LBB317_231
; %bb.228:                              ;   in Loop: Header=BB317_9 Depth=1
	v_and_b32_e32 v2, 7, v2
	v_lshrrev_b32_e32 v8, 3, v74
	s_mov_b32 s30, exec_lo
	v_cmpx_gt_u32_e32 8, v74
; %bb.229:                              ;   in Loop: Header=BB317_9 Depth=1
	s_delay_alu instid0(VALU_DEP_3) | instskip(NEXT) | instid1(VALU_DEP_1)
	v_clz_i32_u32_e32 v8, v2
	v_min_u32_e32 v8, 32, v8
	s_delay_alu instid0(VALU_DEP_1) | instskip(NEXT) | instid1(VALU_DEP_1)
	v_subrev_nc_u32_e32 v74, 28, v8
	v_lshlrev_b64_e32 v[74:75], v74, v[2:3]
	s_delay_alu instid0(VALU_DEP_1)
	v_dual_sub_nc_u32 v8, 29, v8 :: v_dual_bitop2_b32 v2, 7, v74 bitop3:0x40
; %bb.230:                              ;   in Loop: Header=BB317_9 Depth=1
	s_or_b32 exec_lo, exec_lo, s30
	s_delay_alu instid0(VALU_DEP_1) | instskip(NEXT) | instid1(VALU_DEP_2)
	v_dual_lshlrev_b32 v73, 16, v73 :: v_dual_lshlrev_b32 v2, 20, v2
	v_lshl_add_u32 v8, v8, 23, 0x3c000000
	s_delay_alu instid0(VALU_DEP_2) | instskip(NEXT) | instid1(VALU_DEP_1)
	v_and_b32_e32 v73, 0x80000000, v73
	v_or3_b32 v8, v2, v73, v8
.LBB317_231:                            ;   in Loop: Header=BB317_9 Depth=1
	s_or_b32 exec_lo, exec_lo, s29
.LBB317_232:                            ;   in Loop: Header=BB317_9 Depth=1
	s_delay_alu instid0(SALU_CYCLE_1)
	s_or_b32 exec_lo, exec_lo, s28
.LBB317_233:                            ;   in Loop: Header=BB317_9 Depth=1
	s_delay_alu instid0(SALU_CYCLE_1)
	s_or_b32 exec_lo, exec_lo, s27
	s_wait_kmcnt 0x0
	v_fma_mixlo_bf16 v2, s5, v50, 0
	v_fma_mixlo_bf16 v49, s5, v49, 0
	;; [unrolled: 1-line block ×5, first 2 shown]
	s_delay_alu instid0(VALU_DEP_4) | instskip(SKIP_3) | instid1(VALU_DEP_4)
	v_dual_lshlrev_b32 v2, 16, v2 :: v_dual_lshlrev_b32 v49, 16, v49
	v_fma_mixlo_bf16 v51, s5, v52, 0
	v_fma_mixlo_bf16 v9, s5, v9, 0
	;; [unrolled: 1-line block ×3, first 2 shown]
	v_dual_mul_f32 v2, v15, v2 :: v_dual_mul_f32 v49, v16, v49
	s_delay_alu instid0(VALU_DEP_1) | instskip(NEXT) | instid1(VALU_DEP_2)
	v_fma_mix_f32_bf16 v2, v13, v48, v2 op_sel_hi:[0,1,0]
	v_fma_mix_f32_bf16 v47, v14, v47, v49 op_sel_hi:[0,1,0]
	v_fma_mixlo_bf16 v48, s5, v53, 0
	v_fma_mixlo_bf16 v49, s5, v54, 0
	s_delay_alu instid0(VALU_DEP_4) | instskip(NEXT) | instid1(VALU_DEP_4)
	v_fma_mix_f32_bf16 v2, v17, v51, v2 op_sel_hi:[0,1,0]
	v_fma_mix_f32_bf16 v47, v18, v50, v47 op_sel_hi:[0,1,0]
	v_fma_mixlo_bf16 v50, s5, v55, 0
	v_fma_mixlo_bf16 v51, s5, v56, 0
	s_delay_alu instid0(VALU_DEP_4) | instskip(NEXT) | instid1(VALU_DEP_4)
	v_fma_mix_f32_bf16 v2, v19, v49, v2 op_sel_hi:[0,1,0]
	v_fma_mix_f32_bf16 v47, v20, v48, v47 op_sel_hi:[0,1,0]
	v_fma_mixlo_bf16 v48, s5, v57, 0
	v_fma_mixlo_bf16 v49, s5, v58, 0
	s_delay_alu instid0(VALU_DEP_4) | instskip(NEXT) | instid1(VALU_DEP_4)
	v_fma_mix_f32_bf16 v2, v21, v51, v2 op_sel_hi:[0,1,0]
	v_fma_mix_f32_bf16 v47, v22, v50, v47 op_sel_hi:[0,1,0]
	v_fma_mixlo_bf16 v50, s5, v59, 0
	v_fma_mixlo_bf16 v51, s5, v60, 0
	s_delay_alu instid0(VALU_DEP_4) | instskip(NEXT) | instid1(VALU_DEP_4)
	v_fma_mix_f32_bf16 v2, v23, v49, v2 op_sel_hi:[0,1,0]
	v_fma_mix_f32_bf16 v47, v24, v48, v47 op_sel_hi:[0,1,0]
	v_fma_mixlo_bf16 v48, s5, v61, 0
	v_fma_mixlo_bf16 v49, s5, v62, 0
	s_delay_alu instid0(VALU_DEP_4) | instskip(NEXT) | instid1(VALU_DEP_4)
	v_fma_mix_f32_bf16 v2, v25, v51, v2 op_sel_hi:[0,1,0]
	v_fma_mix_f32_bf16 v47, v26, v50, v47 op_sel_hi:[0,1,0]
	v_fma_mixlo_bf16 v50, s5, v63, 0
	v_fma_mixlo_bf16 v51, s5, v64, 0
	s_delay_alu instid0(VALU_DEP_4) | instskip(NEXT) | instid1(VALU_DEP_4)
	v_fma_mix_f32_bf16 v2, v27, v49, v2 op_sel_hi:[0,1,0]
	v_fma_mix_f32_bf16 v47, v28, v48, v47 op_sel_hi:[0,1,0]
	v_fma_mixlo_bf16 v48, s5, v65, 0
	v_fma_mixlo_bf16 v49, s5, v66, 0
	s_delay_alu instid0(VALU_DEP_4) | instskip(NEXT) | instid1(VALU_DEP_4)
	v_fma_mix_f32_bf16 v2, v29, v51, v2 op_sel_hi:[0,1,0]
	v_fma_mix_f32_bf16 v47, v30, v50, v47 op_sel_hi:[0,1,0]
	v_fma_mixlo_bf16 v50, s5, v67, 0
	v_fma_mixlo_bf16 v51, s5, v68, 0
	s_delay_alu instid0(VALU_DEP_4) | instskip(NEXT) | instid1(VALU_DEP_4)
	v_fma_mix_f32_bf16 v2, v31, v49, v2 op_sel_hi:[0,1,0]
	v_fma_mix_f32_bf16 v47, v32, v48, v47 op_sel_hi:[0,1,0]
	v_fma_mixlo_bf16 v48, s5, v69, 0
	v_fma_mixlo_bf16 v49, s5, v70, 0
	s_delay_alu instid0(VALU_DEP_4) | instskip(NEXT) | instid1(VALU_DEP_4)
	v_fma_mix_f32_bf16 v2, v33, v51, v2 op_sel_hi:[0,1,0]
	v_fma_mix_f32_bf16 v47, v34, v50, v47 op_sel_hi:[0,1,0]
	v_fma_mixlo_bf16 v50, s5, v71, 0
	v_fma_mixlo_bf16 v51, s5, v72, 0
	s_delay_alu instid0(VALU_DEP_4) | instskip(NEXT) | instid1(VALU_DEP_4)
	v_fma_mix_f32_bf16 v2, v35, v49, v2 op_sel_hi:[0,1,0]
	v_fma_mix_f32_bf16 v47, v36, v48, v47 op_sel_hi:[0,1,0]
	s_delay_alu instid0(VALU_DEP_2) | instskip(NEXT) | instid1(VALU_DEP_2)
	v_fma_mix_f32_bf16 v2, v37, v51, v2 op_sel_hi:[0,1,0]
	v_fma_mix_f32_bf16 v47, v38, v50, v47 op_sel_hi:[0,1,0]
	s_delay_alu instid0(VALU_DEP_2) | instskip(NEXT) | instid1(VALU_DEP_2)
	v_fma_mix_f32_bf16 v2, v40, v9, v2 op_sel_hi:[0,1,0]
	v_fma_mix_f32_bf16 v8, v41, v8, v47 op_sel_hi:[0,1,0]
	s_delay_alu instid0(VALU_DEP_1)
	v_add_f32_e32 v2, v2, v8
	ds_bpermute_b32 v8, v42, v2
	s_wait_dscnt 0x0
	v_add_f32_e32 v2, v2, v8
	ds_bpermute_b32 v8, v43, v2
	s_and_saveexec_b32 s27, vcc_lo
	s_cbranch_execz .LBB317_8
; %bb.234:                              ;   in Loop: Header=BB317_9 Depth=1
	s_wait_dscnt 0x0
	v_add_f32_e32 v2, v2, v8
	v_add_nc_u32_e32 v9, s26, v44
	v_cmp_gt_i32_e64 s4, s23, v44
	s_delay_alu instid0(VALU_DEP_2) | instskip(NEXT) | instid1(VALU_DEP_1)
	v_cvt_f32_i32_e32 v9, v9
	v_mul_f32_e32 v9, s18, v9
	s_delay_alu instid0(VALU_DEP_1) | instskip(NEXT) | instid1(VALU_DEP_1)
	v_dual_cndmask_b32 v8, 0, v9, s3 :: v_dual_max_num_f32 v9, v39, v39
	v_fmac_f32_e32 v8, s19, v2
	s_delay_alu instid0(VALU_DEP_1) | instskip(NEXT) | instid1(VALU_DEP_1)
	v_dual_max_num_f32 v2, v9, v8 :: v_dual_cndmask_b32 v8, 0, v8, s4
	v_cndmask_b32_e64 v39, v39, v2, s4
	ds_store_b32 v45, v8
	s_branch .LBB317_8
.LBB317_235:
	s_or_b32 exec_lo, exec_lo, s11
.LBB317_236:
	s_delay_alu instid0(SALU_CYCLE_1)
	s_or_b32 exec_lo, exec_lo, s24
	v_dual_max_num_f32 v6, v39, v39 :: v_dual_bitop2_b32 v2, 16, v10 bitop3:0x14
	v_xor_b32_e32 v5, 8, v10
	s_wait_kmcnt 0x0
	s_clause 0x1
	s_load_b64 s[4:5], s[0:1], 0x0
	s_load_b64 s[18:19], s[0:1], 0x18
	v_and_b32_e32 v28, 31, v0
	v_cmp_lt_i32_e32 vcc_lo, v2, v11
	v_cndmask_b32_e32 v2, v10, v2, vcc_lo
	v_cmp_lt_i32_e32 vcc_lo, v5, v11
	s_delay_alu instid0(VALU_DEP_2) | instskip(SKIP_3) | instid1(VALU_DEP_1)
	v_dual_cndmask_b32 v5, v10, v5 :: v_dual_lshlrev_b32 v2, 2, v2
	ds_bpermute_b32 v4, v2, v39
	s_wait_dscnt 0x0
	v_dual_max_num_f32 v7, v4, v4 :: v_dual_lshlrev_b32 v4, 2, v5
	v_dual_max_num_f32 v5, v6, v7 :: v_dual_bitop2_b32 v7, 4, v10 bitop3:0x14
	ds_bpermute_b32 v6, v4, v5
	s_wait_dscnt 0x0
	v_max_num_f32_e32 v6, v6, v6
	s_delay_alu instid0(VALU_DEP_1) | instskip(SKIP_3) | instid1(VALU_DEP_2)
	v_dual_max_num_f32 v6, v5, v6 :: v_dual_lshlrev_b32 v5, 2, v1
	v_cmp_lt_i32_e32 vcc_lo, v7, v11
	v_cndmask_b32_e32 v7, v10, v7, vcc_lo
	v_cmp_eq_u32_e32 vcc_lo, 0, v28
	v_lshlrev_b32_e32 v7, 2, v7
	ds_bpermute_b32 v8, v7, v6
	s_wait_xcnt 0x0
	s_and_saveexec_b32 s0, vcc_lo
	s_cbranch_execz .LBB317_238
; %bb.237:
	s_wait_dscnt 0x0
	v_dual_max_num_f32 v8, v8, v8 :: v_dual_max_num_f32 v6, v6, v6
	s_delay_alu instid0(VALU_DEP_1)
	v_max_num_f32_e32 v6, v6, v8
	ds_store_b32 v5, v6 offset:224
.LBB317_238:
	s_or_b32 exec_lo, exec_lo, s0
	v_cmp_gt_u32_e64 s0, 4, v28
	v_dual_mov_b32 v9, 0xff7fffff :: v_dual_lshlrev_b32 v6, 2, v28
	s_wait_dscnt 0x0
	s_barrier_signal -1
	s_barrier_wait -1
	s_and_saveexec_b32 s1, s0
; %bb.239:
	ds_load_b32 v9, v6 offset:224
; %bb.240:
	s_or_b32 exec_lo, exec_lo, s1
	s_wait_dscnt 0x0
	v_dual_max_num_f32 v15, v9, v9 :: v_dual_bitop2_b32 v8, 2, v10 bitop3:0x14
	v_lshl_add_u32 v29, v0, 2, 0x100
	v_dual_lshlrev_b32 v3, 2, v3 :: v_dual_bitop2_b32 v14, 1, v10 bitop3:0x14
	s_delay_alu instid0(VALU_DEP_3) | instskip(NEXT) | instid1(VALU_DEP_1)
	v_cmp_lt_i32_e64 s1, v8, v11
	v_cndmask_b32_e64 v8, v10, v8, s1
	s_delay_alu instid0(VALU_DEP_3) | instskip(NEXT) | instid1(VALU_DEP_2)
	v_cmp_lt_i32_e64 s1, v14, v11
	v_lshlrev_b32_e32 v8, 2, v8
	ds_bpermute_b32 v13, v8, v9
	v_cndmask_b32_e64 v9, v10, v14, s1
	s_lshl_b32 s1, s13, 3
	s_delay_alu instid0(SALU_CYCLE_1) | instskip(NEXT) | instid1(SALU_CYCLE_1)
	s_min_i32 s11, s1, s23
	v_cmp_gt_i32_e64 s1, s11, v0
	s_wait_dscnt 0x0
	v_max_num_f32_e32 v11, v13, v13
	s_delay_alu instid0(VALU_DEP_1) | instskip(SKIP_3) | instid1(VALU_DEP_1)
	v_dual_lshlrev_b32 v9, 2, v9 :: v_dual_max_num_f32 v11, v15, v11
	ds_bpermute_b32 v13, v9, v11
	s_wait_dscnt 0x0
	v_max_num_f32_e32 v13, v13, v13
	v_max_num_f32_e32 v11, v11, v13
	ds_bpermute_b32 v11, v3, v11
	v_mov_b32_e32 v3, 0
	s_and_saveexec_b32 s24, s1
	s_cbranch_execz .LBB317_244
; %bb.241:
	v_lshl_add_u32 v13, v0, 2, 0x100
	v_dual_mov_b32 v3, 0 :: v_dual_mov_b32 v14, v0
	s_mov_b32 s25, 0
.LBB317_242:                            ; =>This Inner Loop Header: Depth=1
	ds_load_b32 v15, v13
	v_add_nc_u32_e32 v14, 0x80, v14
	s_delay_alu instid0(VALU_DEP_1) | instskip(SKIP_3) | instid1(VALU_DEP_1)
	v_cmp_le_i32_e64 s3, s11, v14
	s_or_b32 s25, s3, s25
	s_wait_dscnt 0x0
	v_sub_f32_e32 v15, v15, v11
	v_mul_f32_e32 v15, 0x3fb8aa3b, v15
	s_delay_alu instid0(VALU_DEP_1)
	v_exp_f32_e32 v15, v15
	ds_store_b32 v13, v15
	v_nop
	v_add_f32_e32 v3, v3, v15
	v_add_nc_u32_e32 v13, 0x200, v13
	s_and_not1_b32 exec_lo, exec_lo, s25
	s_cbranch_execnz .LBB317_242
; %bb.243:
	s_or_b32 exec_lo, exec_lo, s25
.LBB317_244:
	s_delay_alu instid0(SALU_CYCLE_1)
	s_or_b32 exec_lo, exec_lo, s24
	ds_bpermute_b32 v2, v2, v3
	s_wait_dscnt 0x0
	v_add_f32_e32 v2, v3, v2
	ds_bpermute_b32 v3, v4, v2
	s_wait_dscnt 0x0
	v_add_f32_e32 v2, v2, v3
	;; [unrolled: 3-line block ×5, first 2 shown]
	s_and_saveexec_b32 s3, vcc_lo
; %bb.245:
	ds_store_b32 v5, v2 offset:240
; %bb.246:
	s_or_b32 exec_lo, exec_lo, s3
	s_wait_dscnt 0x0
	s_barrier_signal -1
	s_barrier_wait -1
	s_and_saveexec_b32 s3, s0
; %bb.247:
	ds_load_b32 v2, v6 offset:240
; %bb.248:
	s_or_b32 exec_lo, exec_lo, s3
	s_wait_dscnt 0x0
	ds_bpermute_b32 v3, v8, v2
	s_wait_dscnt 0x0
	v_dual_lshlrev_b32 v4, 2, v10 :: v_dual_add_f32 v2, v2, v3
	ds_bpermute_b32 v3, v9, v2
	s_wait_dscnt 0x0
	v_add_f32_e32 v2, v2, v3
	v_and_b32_e32 v3, 0xffffff80, v4
	ds_bpermute_b32 v2, v3, v2
	s_and_saveexec_b32 s0, s1
	s_cbranch_execz .LBB317_261
; %bb.249:
	s_wait_dscnt 0x0
	v_add_f32_e32 v2, 0x358637bd, v2
	s_mov_b32 s3, -1
	s_mov_b32 s1, exec_lo
	s_delay_alu instid0(VALU_DEP_1) | instskip(NEXT) | instid1(VALU_DEP_1)
	v_div_scale_f32 v3, null, v2, v2, 1.0
	v_rcp_f32_e32 v5, v3
	v_nop
	s_delay_alu instid0(TRANS32_DEP_1) | instskip(NEXT) | instid1(VALU_DEP_1)
	v_fma_f32 v4, -v3, v5, 1.0
	v_fmac_f32_e32 v5, v4, v5
	v_div_scale_f32 v6, vcc_lo, 1.0, v2, 1.0
	s_delay_alu instid0(VALU_DEP_1) | instskip(NEXT) | instid1(VALU_DEP_1)
	v_mul_f32_e32 v7, v6, v5
	v_fma_f32 v4, -v3, v7, v6
	s_delay_alu instid0(VALU_DEP_1) | instskip(SKIP_1) | instid1(VALU_DEP_2)
	v_fmac_f32_e32 v7, v4, v5
	v_xad_u32 v4, v0, -1, s11
	v_fma_f32 v3, -v3, v7, v6
	s_delay_alu instid0(VALU_DEP_1) | instskip(NEXT) | instid1(VALU_DEP_1)
	v_div_fmas_f32 v3, v3, v5, v7
	v_div_fixup_f32 v2, v3, v2, 1.0
	v_mov_b32_e32 v3, v0
	v_cmpx_lt_u32_e32 0x7f, v4
	s_cbranch_execz .LBB317_258
; %bb.250:
	s_delay_alu instid0(VALU_DEP_3) | instskip(NEXT) | instid1(VALU_DEP_1)
	v_dual_mov_b32 v3, v2 :: v_dual_lshrrev_b32 v4, 7, v4
	v_dual_mov_b32 v8, 0 :: v_dual_add_nc_u32 v5, -1, v4
	s_delay_alu instid0(VALU_DEP_1) | instskip(SKIP_1) | instid1(VALU_DEP_2)
	v_lshrrev_b32_e32 v6, 1, v5
	v_cmp_lt_u32_e32 vcc_lo, 13, v5
	v_add_nc_u32_e32 v5, 1, v6
	s_and_saveexec_b32 s3, vcc_lo
	s_cbranch_execz .LBB317_254
; %bb.251:
	s_delay_alu instid0(VALU_DEP_1)
	v_dual_mov_b32 v7, v29 :: v_dual_bitop2_b32 v6, -8, v5 bitop3:0x40
	s_mov_b32 s24, 0
	s_mov_b32 s25, 0
.LBB317_252:                            ; =>This Inner Loop Header: Depth=1
	ds_load_2addr_stride64_b32 v[8:9], v7 offset1:2
	ds_load_2addr_stride64_b32 v[10:11], v7 offset0:4 offset1:6
	ds_load_2addr_stride64_b32 v[14:15], v7 offset0:8 offset1:10
	;; [unrolled: 1-line block ×7, first 2 shown]
	s_add_co_i32 s25, s25, 16
	v_add_nc_u32_e32 v6, -8, v6
	s_wait_dscnt 0x7
	v_pk_mul_f32 v[8:9], v[2:3], v[8:9]
	s_wait_dscnt 0x6
	v_pk_mul_f32 v[10:11], v[2:3], v[10:11]
	;; [unrolled: 2-line block ×8, first 2 shown]
	ds_store_2addr_stride64_b32 v7, v8, v9 offset1:2
	ds_store_2addr_stride64_b32 v7, v10, v11 offset0:4 offset1:6
	ds_store_2addr_stride64_b32 v7, v14, v15 offset0:8 offset1:10
	;; [unrolled: 1-line block ×7, first 2 shown]
	v_mov_b32_e32 v8, s25
	v_cmp_eq_u32_e32 vcc_lo, 0, v6
	v_add_nc_u32_e32 v7, 0x2000, v7
	s_or_b32 s24, vcc_lo, s24
	s_delay_alu instid0(SALU_CYCLE_1)
	s_and_not1_b32 exec_lo, exec_lo, s24
	s_cbranch_execnz .LBB317_252
; %bb.253:
	s_or_b32 exec_lo, exec_lo, s24
.LBB317_254:
	s_delay_alu instid0(SALU_CYCLE_1) | instskip(NEXT) | instid1(VALU_DEP_1)
	s_or_b32 exec_lo, exec_lo, s3
	v_and_b32_e32 v5, 7, v5
	s_mov_b32 s24, 0
	s_mov_b32 s3, exec_lo
	s_delay_alu instid0(VALU_DEP_1)
	v_cmpx_ne_u32_e32 0, v5
	s_cbranch_execz .LBB317_257
; %bb.255:
	v_lshlrev_b32_e32 v6, 9, v8
	v_lshlrev_b32_e32 v7, 2, v0
	s_delay_alu instid0(VALU_DEP_1)
	v_add3_u32 v6, v6, v7, 0x100
.LBB317_256:                            ; =>This Inner Loop Header: Depth=1
	ds_load_2addr_stride64_b32 v[8:9], v6 offset1:2
	v_add_nc_u32_e32 v5, -1, v5
	s_delay_alu instid0(VALU_DEP_1)
	v_cmp_eq_u32_e32 vcc_lo, 0, v5
	s_or_b32 s24, vcc_lo, s24
	s_wait_dscnt 0x0
	v_pk_mul_f32 v[8:9], v[2:3], v[8:9]
	ds_store_2addr_stride64_b32 v6, v8, v9 offset1:2
	v_add_nc_u32_e32 v6, 0x400, v6
	s_and_not1_b32 exec_lo, exec_lo, s24
	s_cbranch_execnz .LBB317_256
.LBB317_257:
	s_or_b32 exec_lo, exec_lo, s3
	v_add_nc_u32_e32 v3, 1, v4
	s_delay_alu instid0(VALU_DEP_1) | instskip(NEXT) | instid1(VALU_DEP_1)
	v_and_b32_e32 v4, 0x3fffffe, v3
	v_cmp_ne_u32_e32 vcc_lo, v3, v4
	v_lshl_add_u32 v3, v4, 7, v0
	s_or_not1_b32 s3, vcc_lo, exec_lo
.LBB317_258:
	s_or_b32 exec_lo, exec_lo, s1
	s_delay_alu instid0(SALU_CYCLE_1)
	s_and_b32 exec_lo, exec_lo, s3
	s_cbranch_execz .LBB317_261
; %bb.259:
	v_lshl_add_u32 v4, v3, 2, 0x100
	s_mov_b32 s1, 0
.LBB317_260:                            ; =>This Inner Loop Header: Depth=1
	ds_load_b32 v5, v4
	v_add_nc_u32_e32 v3, 0x80, v3
	s_delay_alu instid0(VALU_DEP_1)
	v_cmp_le_i32_e32 vcc_lo, s11, v3
	s_or_b32 s1, vcc_lo, s1
	s_wait_dscnt 0x0
	v_mul_f32_e32 v5, v2, v5
	ds_store_b32 v4, v5
	v_add_nc_u32_e32 v4, 0x200, v4
	s_and_not1_b32 exec_lo, exec_lo, s1
	s_cbranch_execnz .LBB317_260
.LBB317_261:
	s_or_b32 exec_lo, exec_lo, s0
	v_mov_b64_e32 v[10:11], 0
	v_dual_mov_b32 v31, 0 :: v_dual_mov_b32 v30, 0
	s_wait_dscnt 0x0
	s_barrier_signal -1
	s_barrier_wait -1
	s_and_saveexec_b32 s24, s2
	s_cbranch_execz .LBB317_515
; %bb.262:
	s_load_b32 s25, s[6:7], 0x0
	v_dual_mov_b32 v13, 0 :: v_dual_lshlrev_b32 v14, 3, v28
	v_and_b32_e32 v12, 0x7c, v12
	s_lshl_b64 s[0:1], s[14:15], 2
	v_or_b32_e32 v2, 0x60, v28
	s_add_nc_u64 s[0:1], s[16:17], s[0:1]
	v_mov_b32_e32 v15, v13
	v_add_nc_u64_e32 v[18:19], s[0:1], v[12:13]
	v_dual_mov_b32 v17, v13 :: v_dual_mov_b32 v30, 0
	v_lshlrev_b32_e32 v16, 3, v2
	v_lshl_or_b32 v32, v1, 3, 7
	v_lshl_add_u32 v33, v1, 5, 0x100
	v_dual_mov_b32 v31, 0 :: v_dual_mov_b32 v11, 0
	v_dual_mov_b32 v10, 0 :: v_dual_mov_b32 v34, v1
	s_ashr_i32 s11, s10, 31
	s_mov_b64 s[2:3], 0xffffffffffffff
	s_wait_kmcnt 0x0
	s_add_nc_u64 s[6:7], s[18:19], s[10:11]
	s_add_co_i32 s11, s13, -1
	s_mov_b32 s10, 0
	v_cmp_gt_u32_e32 vcc_lo, 0x70, v2
	s_branch .LBB317_265
.LBB317_263:                            ;   in Loop: Header=BB317_265 Depth=1
	s_or_b32 exec_lo, exec_lo, s1
	v_perm_b32 v9, v20, v9, 0x5040100
	v_perm_b32 v12, v12, v21, 0x5040100
	;; [unrolled: 1-line block ×4, first 2 shown]
	s_delay_alu instid0(VALU_DEP_4) | instskip(NEXT) | instid1(VALU_DEP_4)
	v_pk_mul_bf16 v3, v52, v9
	v_pk_mul_bf16 v9, v8, v12
	s_delay_alu instid0(VALU_DEP_4) | instskip(NEXT) | instid1(VALU_DEP_4)
	v_pk_mul_bf16 v2, v7, v2
	v_pk_mul_bf16 v4, v6, v4
	s_delay_alu instid0(VALU_DEP_3) | instskip(SKIP_4) | instid1(VALU_DEP_1)
	v_dual_lshlrev_b32 v5, 16, v3 :: v_dual_lshlrev_b32 v12, 16, v9
	v_and_b32_e32 v3, 0xffff0000, v3
	v_and_b32_e32 v9, 0xffff0000, v9
	v_lshlrev_b32_e32 v20, 16, v2
	v_and_b32_e32 v2, 0xffff0000, v2
	v_dual_add_f32 v3, v3, v5 :: v_dual_add_f32 v2, v2, v20
	s_delay_alu instid0(VALU_DEP_4) | instskip(SKIP_2) | instid1(VALU_DEP_3)
	v_add_f32_e32 v5, v9, v12
	v_lshlrev_b32_e32 v9, 16, v4
	v_and_b32_e32 v4, 0xffff0000, v4
	v_add_f32_e32 v3, v5, v3
	s_delay_alu instid0(VALU_DEP_1) | instskip(NEXT) | instid1(VALU_DEP_1)
	v_dual_add_f32 v2, v2, v3 :: v_dual_add_f32 v3, v4, v9
	v_add_f32_e32 v2, v3, v2
	s_delay_alu instid0(VALU_DEP_1)
	v_add_f32_e32 v30, v30, v2
.LBB317_264:                            ;   in Loop: Header=BB317_265 Depth=1
	s_or_b32 exec_lo, exec_lo, s14
	v_perm_b32 v2, v53, v54, 0x5040100
	v_perm_b32 v3, v50, v51, 0x5040100
	;; [unrolled: 1-line block ×5, first 2 shown]
	v_pk_mul_bf16 v2, v52, v2
	v_pk_mul_bf16 v3, v8, v3
	;; [unrolled: 1-line block ×4, first 2 shown]
	v_perm_b32 v22, v45, v44, 0x5040100
	s_delay_alu instid0(VALU_DEP_4)
	v_dual_lshlrev_b32 v9, 16, v2 :: v_dual_lshlrev_b32 v12, 16, v3
	v_and_b32_e32 v2, 0xffff0000, v2
	v_and_b32_e32 v3, 0xffff0000, v3
	v_lshlrev_b32_e32 v21, 16, v4
	v_and_b32_e32 v4, 0xffff0000, v4
	v_pk_mul_bf16 v22, v6, v22
	s_delay_alu instid0(VALU_DEP_4)
	v_dual_add_f32 v2, v9, v2 :: v_dual_add_f32 v3, v12, v3
	v_perm_b32 v9, v46, v47, 0x5040100
	v_pk_mul_bf16 v12, v52, v20
	v_add_f32_e32 v4, v21, v4
	v_perm_b32 v21, v26, v27, 0x5040100
	v_add_f32_e32 v2, v3, v2
	v_pk_mul_bf16 v3, v8, v9
	v_dual_lshlrev_b32 v9, 16, v5 :: v_dual_lshlrev_b32 v20, 16, v12
	v_and_b32_e32 v12, 0xffff0000, v12
	s_delay_alu instid0(VALU_DEP_3) | instskip(SKIP_2) | instid1(VALU_DEP_4)
	v_dual_add_f32 v2, v4, v2 :: v_dual_lshlrev_b32 v4, 16, v3
	v_and_b32_e32 v3, 0xffff0000, v3
	v_and_b32_e32 v5, 0xffff0000, v5
	v_add_f32_e32 v12, v20, v12
	v_pk_mul_bf16 v20, v7, v21
	v_perm_b32 v21, v39, v40, 0x5040100
	v_add_f32_e32 v3, v4, v3
	v_perm_b32 v4, v41, v42, 0x5040100
	v_add_nc_u64_e32 v[18:19], 16, v[18:19]
	v_add_nc_u32_e32 v33, 0x80, v33
	v_pk_mul_bf16 v8, v8, v21
	v_perm_b32 v21, v37, v38, 0x5040100
	v_pk_mul_bf16 v4, v52, v4
	v_dual_add_f32 v5, v9, v5 :: v_dual_add_nc_u32 v34, 4, v34
	v_add_nc_u32_e32 v32, 32, v32
	s_delay_alu instid0(VALU_DEP_4)
	v_pk_mul_bf16 v7, v7, v21
	v_add_f32_e32 v3, v3, v12
	v_lshlrev_b32_e32 v12, 16, v20
	v_and_b32_e32 v20, 0xffff0000, v20
	v_lshlrev_b32_e32 v23, 16, v4
	v_and_b32_e32 v4, 0xffff0000, v4
	;; [unrolled: 2-line block ×4, first 2 shown]
	v_add_f32_e32 v12, v12, v20
	v_perm_b32 v20, v36, v35, 0x5040100
	v_add_f32_e32 v7, v21, v7
	s_delay_alu instid0(VALU_DEP_4) | instskip(SKIP_1) | instid1(VALU_DEP_4)
	v_dual_add_f32 v2, v5, v2 :: v_dual_add_f32 v8, v24, v8
	v_cmp_le_i32_e64 s0, s13, v34
	v_pk_mul_bf16 v6, v6, v20
	v_dual_lshlrev_b32 v20, 16, v22 :: v_dual_add_f32 v4, v23, v4
	v_and_b32_e32 v22, 0xffff0000, v22
	s_or_b32 s10, s0, s10
	s_delay_alu instid0(VALU_DEP_2) | instskip(SKIP_1) | instid1(VALU_DEP_1)
	v_dual_add_f32 v4, v8, v4 :: v_dual_lshlrev_b32 v8, 16, v6
	v_and_b32_e32 v6, 0xffff0000, v6
	v_add_f32_e32 v6, v8, v6
	s_delay_alu instid0(VALU_DEP_3) | instskip(NEXT) | instid1(VALU_DEP_1)
	v_dual_add_f32 v3, v12, v3 :: v_dual_add_f32 v4, v7, v4
	v_dual_add_f32 v9, v20, v22 :: v_dual_add_f32 v4, v6, v4
	s_delay_alu instid0(VALU_DEP_1) | instskip(NEXT) | instid1(VALU_DEP_1)
	v_dual_add_f32 v3, v9, v3 :: v_dual_add_f32 v31, v31, v2
	v_dual_add_f32 v10, v10, v4 :: v_dual_add_f32 v11, v11, v3
	s_and_not1_b32 exec_lo, exec_lo, s10
	s_cbranch_execz .LBB317_514
.LBB317_265:                            ; =>This Inner Loop Header: Depth=1
	global_load_b32 v2, v[18:19], off
	v_mov_b32_e32 v35, 0
	s_mov_b32 s1, exec_lo
	s_wait_loadcnt 0x0
	v_mad_nc_i64_i32 v[20:21], v2, s9, s[6:7]
	s_delay_alu instid0(VALU_DEP_1)
	v_add_nc_u64_e32 v[22:23], v[20:21], v[14:15]
	global_load_b64 v[24:25], v[22:23], off
	ds_load_2addr_b64 v[6:9], v33 offset1:1
	ds_load_2addr_b64 v[2:5], v33 offset0:2 offset1:3
	s_wait_loadcnt 0x0
	v_and_b32_e32 v12, 0xff, v24
	s_delay_alu instid0(VALU_DEP_1)
	v_cmpx_ne_u16_e32 0, v12
	s_cbranch_execz .LBB317_271
; %bb.266:                              ;   in Loop: Header=BB317_265 Depth=1
	v_bfrev_b32_e32 v35, 1
	s_mov_b32 s14, exec_lo
	v_cmpx_ne_u16_e32 0x80, v12
	s_cbranch_execz .LBB317_270
; %bb.267:                              ;   in Loop: Header=BB317_265 Depth=1
	v_and_b32_e32 v12, 0x7f, v24
	v_mov_b32_e32 v35, 0x7f800001
	s_mov_b32 s15, exec_lo
	s_delay_alu instid0(VALU_DEP_2)
	v_cmpx_ne_u32_e32 0x7f, v12
	s_cbranch_execz .LBB317_269
; %bb.268:                              ;   in Loop: Header=BB317_265 Depth=1
	v_and_b32_e32 v26, 7, v24
	v_cmp_gt_u32_e64 s0, 8, v12
	s_delay_alu instid0(VALU_DEP_2) | instskip(NEXT) | instid1(VALU_DEP_1)
	v_clz_i32_u32_e32 v26, v26
	v_min_u32_e32 v26, 32, v26
	v_lshrrev_b32_e32 v27, 3, v12
	s_delay_alu instid0(VALU_DEP_2) | instskip(SKIP_1) | instid1(VALU_DEP_1)
	v_subrev_nc_u32_e32 v35, 28, v26
	v_sub_nc_u32_e32 v26, 29, v26
	v_dual_cndmask_b32 v12, v27, v26, s0 :: v_dual_cndmask_b32 v26, 0, v35, s0
	s_delay_alu instid0(VALU_DEP_1) | instskip(NEXT) | instid1(VALU_DEP_2)
	v_lshl_add_u32 v12, v12, 23, 0x3c000000
	v_lshlrev_b64_e32 v[26:27], v26, v[24:25]
	v_lshlrev_b32_e32 v27, 24, v24
	s_delay_alu instid0(VALU_DEP_1) | instskip(NEXT) | instid1(VALU_DEP_3)
	v_and_b32_e32 v27, 0x80000000, v27
	v_lshlrev_b32_e32 v26, 20, v26
	s_delay_alu instid0(VALU_DEP_1) | instskip(NEXT) | instid1(VALU_DEP_1)
	v_and_b32_e32 v26, 0x700000, v26
	v_or3_b32 v35, v26, v27, v12
.LBB317_269:                            ;   in Loop: Header=BB317_265 Depth=1
	s_or_b32 exec_lo, exec_lo, s15
.LBB317_270:                            ;   in Loop: Header=BB317_265 Depth=1
	s_delay_alu instid0(SALU_CYCLE_1)
	s_or_b32 exec_lo, exec_lo, s14
.LBB317_271:                            ;   in Loop: Header=BB317_265 Depth=1
	s_delay_alu instid0(SALU_CYCLE_1) | instskip(SKIP_3) | instid1(VALU_DEP_2)
	s_or_b32 exec_lo, exec_lo, s1
	v_lshrrev_b16 v12, 8, v24
	v_dual_mov_b32 v36, 0 :: v_dual_mov_b32 v41, 0
	s_mov_b32 s1, exec_lo
	v_cmpx_ne_u16_e32 0, v12
	s_cbranch_execz .LBB317_279
; %bb.272:                              ;   in Loop: Header=BB317_265 Depth=1
	v_bfrev_b32_e32 v41, 1
	s_mov_b32 s14, exec_lo
	v_cmpx_ne_u16_e32 0x80, v12
	s_cbranch_execz .LBB317_278
; %bb.273:                              ;   in Loop: Header=BB317_265 Depth=1
	v_and_b32_e32 v12, 0xffff, v12
	v_mov_b32_e32 v41, 0x7f800001
	s_mov_b32 s15, exec_lo
	s_delay_alu instid0(VALU_DEP_2) | instskip(NEXT) | instid1(VALU_DEP_1)
	v_and_b32_e32 v27, 0x7f, v12
	v_cmpx_ne_u32_e32 0x7f, v27
	s_cbranch_execz .LBB317_277
; %bb.274:                              ;   in Loop: Header=BB317_265 Depth=1
	v_dual_lshrrev_b32 v26, 3, v27 :: v_dual_bitop2_b32 v12, 7, v12 bitop3:0x40
	s_mov_b32 s16, exec_lo
	v_cmpx_gt_u32_e32 8, v27
; %bb.275:                              ;   in Loop: Header=BB317_265 Depth=1
	s_delay_alu instid0(VALU_DEP_2) | instskip(NEXT) | instid1(VALU_DEP_1)
	v_clz_i32_u32_e32 v26, v12
	v_min_u32_e32 v26, 32, v26
	s_delay_alu instid0(VALU_DEP_1) | instskip(SKIP_1) | instid1(VALU_DEP_2)
	v_subrev_nc_u32_e32 v27, 28, v26
	v_sub_nc_u32_e32 v26, 29, v26
	v_lshlrev_b64_e32 v[38:39], v27, v[12:13]
	s_delay_alu instid0(VALU_DEP_1)
	v_and_b32_e32 v12, 7, v38
; %bb.276:                              ;   in Loop: Header=BB317_265 Depth=1
	s_or_b32 exec_lo, exec_lo, s16
	v_lshlrev_b32_e32 v27, 16, v24
	s_delay_alu instid0(VALU_DEP_2) | instskip(SKIP_1) | instid1(VALU_DEP_3)
	v_lshlrev_b32_e32 v12, 20, v12
	v_lshl_add_u32 v26, v26, 23, 0x3c000000
	v_and_b32_e32 v27, 0x80000000, v27
	s_delay_alu instid0(VALU_DEP_1)
	v_or3_b32 v41, v12, v27, v26
.LBB317_277:                            ;   in Loop: Header=BB317_265 Depth=1
	s_or_b32 exec_lo, exec_lo, s15
.LBB317_278:                            ;   in Loop: Header=BB317_265 Depth=1
	s_delay_alu instid0(SALU_CYCLE_1)
	s_or_b32 exec_lo, exec_lo, s14
.LBB317_279:                            ;   in Loop: Header=BB317_265 Depth=1
	s_delay_alu instid0(SALU_CYCLE_1) | instskip(SKIP_2) | instid1(VALU_DEP_1)
	s_or_b32 exec_lo, exec_lo, s1
	v_lshrrev_b32_e32 v26, 16, v24
	s_mov_b32 s1, exec_lo
	v_and_b32_e32 v12, 0xff, v26
	s_delay_alu instid0(VALU_DEP_1)
	v_cmpx_ne_u16_e32 0, v12
	s_cbranch_execz .LBB317_287
; %bb.280:                              ;   in Loop: Header=BB317_265 Depth=1
	v_bfrev_b32_e32 v36, 1
	s_mov_b32 s14, exec_lo
	v_cmpx_ne_u16_e32 0x80, v12
	s_cbranch_execz .LBB317_286
; %bb.281:                              ;   in Loop: Header=BB317_265 Depth=1
	v_bfe_u32 v37, v24, 16, 7
	v_mov_b32_e32 v36, 0x7f800001
	s_mov_b32 s15, exec_lo
	s_delay_alu instid0(VALU_DEP_2)
	v_cmpx_ne_u32_e32 0x7f, v37
	s_cbranch_execz .LBB317_285
; %bb.282:                              ;   in Loop: Header=BB317_265 Depth=1
	v_dual_lshrrev_b32 v27, 3, v37 :: v_dual_bitop2_b32 v12, 7, v26 bitop3:0x40
	s_mov_b32 s16, exec_lo
	v_cmpx_gt_u32_e32 8, v37
; %bb.283:                              ;   in Loop: Header=BB317_265 Depth=1
	s_delay_alu instid0(VALU_DEP_2) | instskip(NEXT) | instid1(VALU_DEP_1)
	v_clz_i32_u32_e32 v27, v12
	v_min_u32_e32 v27, 32, v27
	s_delay_alu instid0(VALU_DEP_1) | instskip(NEXT) | instid1(VALU_DEP_1)
	v_subrev_nc_u32_e32 v36, 28, v27
	v_lshlrev_b64_e32 v[36:37], v36, v[12:13]
	s_delay_alu instid0(VALU_DEP_1)
	v_dual_sub_nc_u32 v27, 29, v27 :: v_dual_bitop2_b32 v12, 7, v36 bitop3:0x40
; %bb.284:                              ;   in Loop: Header=BB317_265 Depth=1
	s_or_b32 exec_lo, exec_lo, s16
	s_delay_alu instid0(VALU_DEP_1) | instskip(NEXT) | instid1(VALU_DEP_2)
	v_dual_lshlrev_b32 v26, 24, v26 :: v_dual_lshlrev_b32 v12, 20, v12
	v_lshl_add_u32 v27, v27, 23, 0x3c000000
	s_delay_alu instid0(VALU_DEP_2) | instskip(NEXT) | instid1(VALU_DEP_1)
	v_and_b32_e32 v26, 0x80000000, v26
	v_or3_b32 v36, v12, v26, v27
.LBB317_285:                            ;   in Loop: Header=BB317_265 Depth=1
	s_or_b32 exec_lo, exec_lo, s15
.LBB317_286:                            ;   in Loop: Header=BB317_265 Depth=1
	s_delay_alu instid0(SALU_CYCLE_1)
	s_or_b32 exec_lo, exec_lo, s14
.LBB317_287:                            ;   in Loop: Header=BB317_265 Depth=1
	s_delay_alu instid0(SALU_CYCLE_1)
	s_or_b32 exec_lo, exec_lo, s1
	v_dual_mov_b32 v38, 0 :: v_dual_mov_b32 v39, 0
	s_mov_b32 s1, exec_lo
	v_cmpx_lt_u32_e32 0xffffff, v24
	s_cbranch_execz .LBB317_295
; %bb.288:                              ;   in Loop: Header=BB317_265 Depth=1
	v_lshrrev_b32_e32 v26, 24, v24
	v_bfrev_b32_e32 v39, 1
	s_mov_b32 s14, exec_lo
	s_delay_alu instid0(VALU_DEP_2)
	v_cmpx_ne_u32_e32 0x80, v26
	s_cbranch_execz .LBB317_294
; %bb.289:                              ;   in Loop: Header=BB317_265 Depth=1
	v_bfe_u32 v37, v24, 24, 7
	v_mov_b32_e32 v39, 0x7f800001
	s_mov_b32 s15, exec_lo
	s_delay_alu instid0(VALU_DEP_2)
	v_cmpx_ne_u32_e32 0x7f, v37
	s_cbranch_execz .LBB317_293
; %bb.290:                              ;   in Loop: Header=BB317_265 Depth=1
	v_dual_lshrrev_b32 v27, 3, v37 :: v_dual_bitop2_b32 v12, 7, v26 bitop3:0x40
	s_mov_b32 s16, exec_lo
	v_cmpx_gt_u32_e32 8, v37
; %bb.291:                              ;   in Loop: Header=BB317_265 Depth=1
	s_delay_alu instid0(VALU_DEP_2) | instskip(NEXT) | instid1(VALU_DEP_1)
	v_clz_i32_u32_e32 v27, v12
	v_min_u32_e32 v27, 32, v27
	s_delay_alu instid0(VALU_DEP_1) | instskip(NEXT) | instid1(VALU_DEP_1)
	v_subrev_nc_u32_e32 v37, 28, v27
	v_lshlrev_b64_e32 v[42:43], v37, v[12:13]
	s_delay_alu instid0(VALU_DEP_1)
	v_dual_sub_nc_u32 v27, 29, v27 :: v_dual_bitop2_b32 v12, 7, v42 bitop3:0x40
; %bb.292:                              ;   in Loop: Header=BB317_265 Depth=1
	s_or_b32 exec_lo, exec_lo, s16
	s_delay_alu instid0(VALU_DEP_1) | instskip(NEXT) | instid1(VALU_DEP_2)
	v_dual_lshlrev_b32 v26, 24, v26 :: v_dual_lshlrev_b32 v12, 20, v12
	v_lshl_add_u32 v27, v27, 23, 0x3c000000
	s_delay_alu instid0(VALU_DEP_2) | instskip(NEXT) | instid1(VALU_DEP_1)
	v_and_b32_e32 v26, 0x80000000, v26
	v_or3_b32 v39, v12, v26, v27
.LBB317_293:                            ;   in Loop: Header=BB317_265 Depth=1
	s_or_b32 exec_lo, exec_lo, s15
.LBB317_294:                            ;   in Loop: Header=BB317_265 Depth=1
	s_delay_alu instid0(SALU_CYCLE_1)
	s_or_b32 exec_lo, exec_lo, s14
.LBB317_295:                            ;   in Loop: Header=BB317_265 Depth=1
	s_delay_alu instid0(SALU_CYCLE_1) | instskip(SKIP_3) | instid1(VALU_DEP_2)
	s_or_b32 exec_lo, exec_lo, s1
	v_and_b32_e32 v26, 0xff, v25
	v_mov_b32_e32 v12, v25
	s_mov_b32 s1, exec_lo
	v_cmpx_ne_u16_e32 0, v26
	s_cbranch_execz .LBB317_301
; %bb.296:                              ;   in Loop: Header=BB317_265 Depth=1
	v_bfrev_b32_e32 v38, 1
	s_mov_b32 s14, exec_lo
	v_cmpx_ne_u16_e32 0x80, v26
	s_cbranch_execz .LBB317_300
; %bb.297:                              ;   in Loop: Header=BB317_265 Depth=1
	v_and_b32_e32 v26, 0x7f, v25
	v_mov_b32_e32 v38, 0x7f800001
	s_mov_b32 s15, exec_lo
	s_delay_alu instid0(VALU_DEP_2)
	v_cmpx_ne_u32_e32 0x7f, v26
	s_cbranch_execz .LBB317_299
; %bb.298:                              ;   in Loop: Header=BB317_265 Depth=1
	v_dual_lshrrev_b32 v37, 3, v26 :: v_dual_bitop2_b32 v27, 7, v25 bitop3:0x40
	v_cmp_gt_u32_e64 s0, 8, v26
	s_delay_alu instid0(VALU_DEP_2) | instskip(NEXT) | instid1(VALU_DEP_1)
	v_clz_i32_u32_e32 v27, v27
	v_min_u32_e32 v27, 32, v27
	s_delay_alu instid0(VALU_DEP_1) | instskip(NEXT) | instid1(VALU_DEP_1)
	v_subrev_nc_u32_e32 v38, 28, v27
	v_dual_sub_nc_u32 v27, 29, v27 :: v_dual_cndmask_b32 v26, 0, v38, s0
	s_delay_alu instid0(VALU_DEP_1) | instskip(NEXT) | instid1(VALU_DEP_2)
	v_cndmask_b32_e64 v37, v37, v27, s0
	v_lshlrev_b64_e32 v[26:27], v26, v[12:13]
	v_lshlrev_b32_e32 v27, 24, v12
	s_delay_alu instid0(VALU_DEP_3) | instskip(NEXT) | instid1(VALU_DEP_2)
	v_lshl_add_u32 v37, v37, 23, 0x3c000000
	v_and_b32_e32 v27, 0x80000000, v27
	s_delay_alu instid0(VALU_DEP_4) | instskip(NEXT) | instid1(VALU_DEP_1)
	v_lshlrev_b32_e32 v26, 20, v26
	v_and_b32_e32 v26, 0x700000, v26
	s_delay_alu instid0(VALU_DEP_1)
	v_or3_b32 v38, v26, v27, v37
.LBB317_299:                            ;   in Loop: Header=BB317_265 Depth=1
	s_or_b32 exec_lo, exec_lo, s15
.LBB317_300:                            ;   in Loop: Header=BB317_265 Depth=1
	s_delay_alu instid0(SALU_CYCLE_1)
	s_or_b32 exec_lo, exec_lo, s14
.LBB317_301:                            ;   in Loop: Header=BB317_265 Depth=1
	s_delay_alu instid0(SALU_CYCLE_1) | instskip(SKIP_3) | instid1(VALU_DEP_2)
	s_or_b32 exec_lo, exec_lo, s1
	v_lshrrev_b16 v27, 8, v12
	v_dual_mov_b32 v44, 0 :: v_dual_mov_b32 v26, 0
	s_mov_b32 s1, exec_lo
	v_cmpx_ne_u16_e32 0, v27
	s_cbranch_execz .LBB317_309
; %bb.302:                              ;   in Loop: Header=BB317_265 Depth=1
	v_bfrev_b32_e32 v26, 1
	s_mov_b32 s14, exec_lo
	v_cmpx_ne_u16_e32 0x80, v27
	s_cbranch_execz .LBB317_308
; %bb.303:                              ;   in Loop: Header=BB317_265 Depth=1
	v_and_b32_e32 v27, 0xffff, v27
	v_mov_b32_e32 v26, 0x7f800001
	s_mov_b32 s15, exec_lo
	s_delay_alu instid0(VALU_DEP_2) | instskip(NEXT) | instid1(VALU_DEP_1)
	v_and_b32_e32 v40, 0x7f, v27
	v_cmpx_ne_u32_e32 0x7f, v40
	s_cbranch_execz .LBB317_307
; %bb.304:                              ;   in Loop: Header=BB317_265 Depth=1
	v_dual_mov_b32 v27, v13 :: v_dual_bitop2_b32 v26, 7, v27 bitop3:0x40
	v_lshrrev_b32_e32 v37, 3, v40
	s_mov_b32 s16, exec_lo
	v_cmpx_gt_u32_e32 8, v40
; %bb.305:                              ;   in Loop: Header=BB317_265 Depth=1
	s_delay_alu instid0(VALU_DEP_3) | instskip(NEXT) | instid1(VALU_DEP_1)
	v_clz_i32_u32_e32 v37, v26
	v_min_u32_e32 v37, 32, v37
	s_delay_alu instid0(VALU_DEP_1) | instskip(NEXT) | instid1(VALU_DEP_1)
	v_subrev_nc_u32_e32 v40, 28, v37
	v_lshlrev_b64_e32 v[26:27], v40, v[26:27]
	s_delay_alu instid0(VALU_DEP_1)
	v_dual_sub_nc_u32 v37, 29, v37 :: v_dual_bitop2_b32 v26, 7, v26 bitop3:0x40
; %bb.306:                              ;   in Loop: Header=BB317_265 Depth=1
	s_or_b32 exec_lo, exec_lo, s16
	s_delay_alu instid0(VALU_DEP_1) | instskip(NEXT) | instid1(VALU_DEP_2)
	v_dual_lshlrev_b32 v12, 16, v12 :: v_dual_lshlrev_b32 v26, 20, v26
	v_lshl_add_u32 v27, v37, 23, 0x3c000000
	s_delay_alu instid0(VALU_DEP_2) | instskip(NEXT) | instid1(VALU_DEP_1)
	v_and_b32_e32 v12, 0x80000000, v12
	v_or3_b32 v26, v26, v12, v27
.LBB317_307:                            ;   in Loop: Header=BB317_265 Depth=1
	s_or_b32 exec_lo, exec_lo, s15
.LBB317_308:                            ;   in Loop: Header=BB317_265 Depth=1
	s_delay_alu instid0(SALU_CYCLE_1)
	s_or_b32 exec_lo, exec_lo, s14
.LBB317_309:                            ;   in Loop: Header=BB317_265 Depth=1
	s_delay_alu instid0(SALU_CYCLE_1) | instskip(SKIP_2) | instid1(VALU_DEP_1)
	s_or_b32 exec_lo, exec_lo, s1
	v_lshrrev_b32_e32 v27, 16, v25
	s_mov_b32 s1, exec_lo
	v_and_b32_e32 v12, 0xff, v27
	s_delay_alu instid0(VALU_DEP_1)
	v_cmpx_ne_u16_e32 0, v12
	s_cbranch_execz .LBB317_317
; %bb.310:                              ;   in Loop: Header=BB317_265 Depth=1
	v_bfrev_b32_e32 v44, 1
	s_mov_b32 s14, exec_lo
	v_cmpx_ne_u16_e32 0x80, v12
	s_cbranch_execz .LBB317_316
; %bb.311:                              ;   in Loop: Header=BB317_265 Depth=1
	v_bfe_u32 v40, v25, 16, 7
	v_mov_b32_e32 v44, 0x7f800001
	s_mov_b32 s15, exec_lo
	s_delay_alu instid0(VALU_DEP_2)
	v_cmpx_ne_u32_e32 0x7f, v40
	s_cbranch_execz .LBB317_315
; %bb.312:                              ;   in Loop: Header=BB317_265 Depth=1
	v_dual_lshrrev_b32 v37, 3, v40 :: v_dual_bitop2_b32 v12, 7, v27 bitop3:0x40
	s_mov_b32 s16, exec_lo
	v_cmpx_gt_u32_e32 8, v40
; %bb.313:                              ;   in Loop: Header=BB317_265 Depth=1
	s_delay_alu instid0(VALU_DEP_2) | instskip(NEXT) | instid1(VALU_DEP_1)
	v_clz_i32_u32_e32 v37, v12
	v_min_u32_e32 v37, 32, v37
	s_delay_alu instid0(VALU_DEP_1) | instskip(NEXT) | instid1(VALU_DEP_1)
	v_subrev_nc_u32_e32 v40, 28, v37
	v_lshlrev_b64_e32 v[42:43], v40, v[12:13]
	s_delay_alu instid0(VALU_DEP_1)
	v_dual_sub_nc_u32 v37, 29, v37 :: v_dual_bitop2_b32 v12, 7, v42 bitop3:0x40
; %bb.314:                              ;   in Loop: Header=BB317_265 Depth=1
	s_or_b32 exec_lo, exec_lo, s16
	s_delay_alu instid0(VALU_DEP_1) | instskip(NEXT) | instid1(VALU_DEP_2)
	v_dual_lshlrev_b32 v27, 24, v27 :: v_dual_lshlrev_b32 v12, 20, v12
	v_lshl_add_u32 v37, v37, 23, 0x3c000000
	s_delay_alu instid0(VALU_DEP_2) | instskip(NEXT) | instid1(VALU_DEP_1)
	v_and_b32_e32 v27, 0x80000000, v27
	v_or3_b32 v44, v12, v27, v37
.LBB317_315:                            ;   in Loop: Header=BB317_265 Depth=1
	s_or_b32 exec_lo, exec_lo, s15
.LBB317_316:                            ;   in Loop: Header=BB317_265 Depth=1
	s_delay_alu instid0(SALU_CYCLE_1)
	s_or_b32 exec_lo, exec_lo, s14
.LBB317_317:                            ;   in Loop: Header=BB317_265 Depth=1
	s_delay_alu instid0(SALU_CYCLE_1)
	s_or_b32 exec_lo, exec_lo, s1
	v_mov_b32_e32 v12, 0
	s_mov_b32 s1, exec_lo
	v_cmpx_lt_u64_e64 s[2:3], v[24:25]
	s_cbranch_execz .LBB317_325
; %bb.318:                              ;   in Loop: Header=BB317_265 Depth=1
	v_lshrrev_b32_e32 v24, 24, v25
	v_bfrev_b32_e32 v12, 1
	s_mov_b32 s14, exec_lo
	s_delay_alu instid0(VALU_DEP_2)
	v_cmpx_ne_u32_e32 0x80, v24
	s_cbranch_execz .LBB317_324
; %bb.319:                              ;   in Loop: Header=BB317_265 Depth=1
	v_bfe_u32 v27, v25, 24, 7
	v_mov_b32_e32 v12, 0x7f800001
	s_mov_b32 s15, exec_lo
	s_delay_alu instid0(VALU_DEP_2)
	v_cmpx_ne_u32_e32 0x7f, v27
	s_cbranch_execz .LBB317_323
; %bb.320:                              ;   in Loop: Header=BB317_265 Depth=1
	v_dual_lshrrev_b32 v25, 3, v27 :: v_dual_bitop2_b32 v12, 7, v24 bitop3:0x40
	s_mov_b32 s16, exec_lo
	v_cmpx_gt_u32_e32 8, v27
; %bb.321:                              ;   in Loop: Header=BB317_265 Depth=1
	s_delay_alu instid0(VALU_DEP_2) | instskip(NEXT) | instid1(VALU_DEP_1)
	v_clz_i32_u32_e32 v25, v12
	v_min_u32_e32 v25, 32, v25
	s_delay_alu instid0(VALU_DEP_1) | instskip(NEXT) | instid1(VALU_DEP_1)
	v_subrev_nc_u32_e32 v27, 28, v25
	v_lshlrev_b64_e32 v[42:43], v27, v[12:13]
	s_delay_alu instid0(VALU_DEP_1)
	v_dual_sub_nc_u32 v25, 29, v25 :: v_dual_bitop2_b32 v12, 7, v42 bitop3:0x40
; %bb.322:                              ;   in Loop: Header=BB317_265 Depth=1
	s_or_b32 exec_lo, exec_lo, s16
	v_lshlrev_b32_e32 v24, 24, v24
	s_delay_alu instid0(VALU_DEP_2) | instskip(NEXT) | instid1(VALU_DEP_3)
	v_lshlrev_b32_e32 v12, 20, v12
	v_lshl_add_u32 v25, v25, 23, 0x3c000000
	s_delay_alu instid0(VALU_DEP_3) | instskip(NEXT) | instid1(VALU_DEP_1)
	v_and_b32_e32 v24, 0x80000000, v24
	v_or3_b32 v12, v12, v24, v25
.LBB317_323:                            ;   in Loop: Header=BB317_265 Depth=1
	s_or_b32 exec_lo, exec_lo, s15
.LBB317_324:                            ;   in Loop: Header=BB317_265 Depth=1
	s_delay_alu instid0(SALU_CYCLE_1)
	s_or_b32 exec_lo, exec_lo, s14
.LBB317_325:                            ;   in Loop: Header=BB317_265 Depth=1
	s_delay_alu instid0(SALU_CYCLE_1)
	s_or_b32 exec_lo, exec_lo, s1
	v_add_nc_u32_e32 v43, -7, v32
	v_cmp_eq_u32_e64 s0, s11, v34
	v_fma_mixlo_bf16 v37, s25, v26, 0
	v_fma_mixlo_bf16 v38, s25, v38, 0
	;; [unrolled: 1-line block ×8, first 2 shown]
	s_and_saveexec_b32 s14, s0
	s_cbranch_execz .LBB317_327
; %bb.326:                              ;   in Loop: Header=BB317_265 Depth=1
	v_dual_add_nc_u32 v12, -6, v32 :: v_dual_add_nc_u32 v24, -5, v32
	v_cmp_gt_i32_e64 s1, s23, v43
	s_delay_alu instid0(VALU_DEP_1) | instskip(NEXT) | instid1(VALU_DEP_3)
	v_dual_add_nc_u32 v25, -2, v32 :: v_dual_cndmask_b32 v42, 0, v42, s1
	v_cmp_gt_i32_e64 s1, s23, v12
	s_delay_alu instid0(VALU_DEP_1) | instskip(SKIP_2) | instid1(VALU_DEP_2)
	v_dual_add_nc_u32 v12, -4, v32 :: v_dual_cndmask_b32 v41, 0, v41, s1
	v_cmp_gt_i32_e64 s1, s23, v24
	v_add_nc_u32_e32 v24, -3, v32
	v_cndmask_b32_e64 v40, 0, v40, s1
	s_delay_alu instid0(VALU_DEP_4) | instskip(NEXT) | instid1(VALU_DEP_1)
	v_cmp_gt_i32_e64 s1, s23, v12
	v_dual_add_nc_u32 v12, -1, v32 :: v_dual_cndmask_b32 v39, 0, v39, s1
	s_delay_alu instid0(VALU_DEP_4) | instskip(NEXT) | instid1(VALU_DEP_1)
	v_cmp_gt_i32_e64 s1, s23, v24
	v_cndmask_b32_e64 v38, 0, v38, s1
	v_cmp_gt_i32_e64 s1, s23, v25
	s_delay_alu instid0(VALU_DEP_1) | instskip(SKIP_1) | instid1(VALU_DEP_1)
	v_cndmask_b32_e64 v37, 0, v37, s1
	v_cmp_gt_i32_e64 s1, s23, v12
	v_cndmask_b32_e64 v35, 0, v35, s1
	v_cmp_gt_i32_e64 s1, s23, v32
	s_delay_alu instid0(VALU_DEP_1)
	v_cndmask_b32_e64 v36, 0, v36, s1
.LBB317_327:                            ;   in Loop: Header=BB317_265 Depth=1
	s_or_b32 exec_lo, exec_lo, s14
	global_load_b64 v[24:25], v[22:23], off offset:256
	v_dual_mov_b32 v45, 0 :: v_dual_mov_b32 v44, 0
	s_mov_b32 s14, exec_lo
	s_wait_loadcnt 0x0
	v_and_b32_e32 v12, 0xff, v24
	s_delay_alu instid0(VALU_DEP_1)
	v_cmpx_ne_u16_e32 0, v12
	s_cbranch_execz .LBB317_333
; %bb.328:                              ;   in Loop: Header=BB317_265 Depth=1
	v_bfrev_b32_e32 v44, 1
	s_mov_b32 s15, exec_lo
	v_cmpx_ne_u16_e32 0x80, v12
	s_cbranch_execz .LBB317_332
; %bb.329:                              ;   in Loop: Header=BB317_265 Depth=1
	v_and_b32_e32 v12, 0x7f, v24
	v_mov_b32_e32 v44, 0x7f800001
	s_mov_b32 s16, exec_lo
	s_delay_alu instid0(VALU_DEP_2)
	v_cmpx_ne_u32_e32 0x7f, v12
	s_cbranch_execz .LBB317_331
; %bb.330:                              ;   in Loop: Header=BB317_265 Depth=1
	v_and_b32_e32 v26, 7, v24
	v_cmp_gt_u32_e64 s1, 8, v12
	s_delay_alu instid0(VALU_DEP_2) | instskip(NEXT) | instid1(VALU_DEP_1)
	v_clz_i32_u32_e32 v26, v26
	v_min_u32_e32 v26, 32, v26
	v_lshrrev_b32_e32 v27, 3, v12
	s_delay_alu instid0(VALU_DEP_2) | instskip(SKIP_1) | instid1(VALU_DEP_1)
	v_subrev_nc_u32_e32 v44, 28, v26
	v_sub_nc_u32_e32 v26, 29, v26
	v_dual_cndmask_b32 v12, v27, v26, s1 :: v_dual_cndmask_b32 v26, 0, v44, s1
	s_delay_alu instid0(VALU_DEP_1) | instskip(NEXT) | instid1(VALU_DEP_2)
	v_lshl_add_u32 v12, v12, 23, 0x3c000000
	v_lshlrev_b64_e32 v[26:27], v26, v[24:25]
	v_lshlrev_b32_e32 v27, 24, v24
	s_delay_alu instid0(VALU_DEP_1) | instskip(NEXT) | instid1(VALU_DEP_3)
	v_and_b32_e32 v27, 0x80000000, v27
	v_lshlrev_b32_e32 v26, 20, v26
	s_delay_alu instid0(VALU_DEP_1) | instskip(NEXT) | instid1(VALU_DEP_1)
	v_and_b32_e32 v26, 0x700000, v26
	v_or3_b32 v44, v26, v27, v12
.LBB317_331:                            ;   in Loop: Header=BB317_265 Depth=1
	s_or_b32 exec_lo, exec_lo, s16
.LBB317_332:                            ;   in Loop: Header=BB317_265 Depth=1
	s_delay_alu instid0(SALU_CYCLE_1)
	s_or_b32 exec_lo, exec_lo, s15
.LBB317_333:                            ;   in Loop: Header=BB317_265 Depth=1
	s_delay_alu instid0(SALU_CYCLE_1) | instskip(SKIP_2) | instid1(VALU_DEP_1)
	s_or_b32 exec_lo, exec_lo, s14
	v_lshrrev_b16 v12, 8, v24
	s_mov_b32 s14, exec_lo
	v_cmpx_ne_u16_e32 0, v12
	s_cbranch_execz .LBB317_341
; %bb.334:                              ;   in Loop: Header=BB317_265 Depth=1
	v_bfrev_b32_e32 v45, 1
	s_mov_b32 s15, exec_lo
	v_cmpx_ne_u16_e32 0x80, v12
	s_cbranch_execz .LBB317_340
; %bb.335:                              ;   in Loop: Header=BB317_265 Depth=1
	v_and_b32_e32 v12, 0xffff, v12
	v_mov_b32_e32 v45, 0x7f800001
	s_mov_b32 s16, exec_lo
	s_delay_alu instid0(VALU_DEP_2) | instskip(NEXT) | instid1(VALU_DEP_1)
	v_and_b32_e32 v27, 0x7f, v12
	v_cmpx_ne_u32_e32 0x7f, v27
	s_cbranch_execz .LBB317_339
; %bb.336:                              ;   in Loop: Header=BB317_265 Depth=1
	v_dual_lshrrev_b32 v26, 3, v27 :: v_dual_bitop2_b32 v12, 7, v12 bitop3:0x40
	s_mov_b32 s17, exec_lo
	v_cmpx_gt_u32_e32 8, v27
; %bb.337:                              ;   in Loop: Header=BB317_265 Depth=1
	s_delay_alu instid0(VALU_DEP_2) | instskip(NEXT) | instid1(VALU_DEP_1)
	v_clz_i32_u32_e32 v26, v12
	v_min_u32_e32 v26, 32, v26
	s_delay_alu instid0(VALU_DEP_1) | instskip(SKIP_1) | instid1(VALU_DEP_2)
	v_subrev_nc_u32_e32 v27, 28, v26
	v_sub_nc_u32_e32 v26, 29, v26
	v_lshlrev_b64_e32 v[46:47], v27, v[12:13]
	s_delay_alu instid0(VALU_DEP_1)
	v_and_b32_e32 v12, 7, v46
; %bb.338:                              ;   in Loop: Header=BB317_265 Depth=1
	s_or_b32 exec_lo, exec_lo, s17
	v_lshlrev_b32_e32 v27, 16, v24
	s_delay_alu instid0(VALU_DEP_2) | instskip(SKIP_1) | instid1(VALU_DEP_3)
	v_lshlrev_b32_e32 v12, 20, v12
	v_lshl_add_u32 v26, v26, 23, 0x3c000000
	v_and_b32_e32 v27, 0x80000000, v27
	s_delay_alu instid0(VALU_DEP_1)
	v_or3_b32 v45, v12, v27, v26
.LBB317_339:                            ;   in Loop: Header=BB317_265 Depth=1
	s_or_b32 exec_lo, exec_lo, s16
.LBB317_340:                            ;   in Loop: Header=BB317_265 Depth=1
	s_delay_alu instid0(SALU_CYCLE_1)
	s_or_b32 exec_lo, exec_lo, s15
.LBB317_341:                            ;   in Loop: Header=BB317_265 Depth=1
	s_delay_alu instid0(SALU_CYCLE_1) | instskip(SKIP_3) | instid1(VALU_DEP_2)
	s_or_b32 exec_lo, exec_lo, s14
	v_dual_lshrrev_b32 v26, 16, v24 :: v_dual_mov_b32 v46, 0
	v_mov_b32_e32 v47, 0
	s_mov_b32 s14, exec_lo
	v_and_b32_e32 v12, 0xff, v26
	s_delay_alu instid0(VALU_DEP_1)
	v_cmpx_ne_u16_e32 0, v12
	s_cbranch_execz .LBB317_349
; %bb.342:                              ;   in Loop: Header=BB317_265 Depth=1
	v_bfrev_b32_e32 v47, 1
	s_mov_b32 s15, exec_lo
	v_cmpx_ne_u16_e32 0x80, v12
	s_cbranch_execz .LBB317_348
; %bb.343:                              ;   in Loop: Header=BB317_265 Depth=1
	v_bfe_u32 v48, v24, 16, 7
	v_mov_b32_e32 v47, 0x7f800001
	s_mov_b32 s16, exec_lo
	s_delay_alu instid0(VALU_DEP_2)
	v_cmpx_ne_u32_e32 0x7f, v48
	s_cbranch_execz .LBB317_347
; %bb.344:                              ;   in Loop: Header=BB317_265 Depth=1
	v_dual_lshrrev_b32 v27, 3, v48 :: v_dual_bitop2_b32 v12, 7, v26 bitop3:0x40
	s_mov_b32 s17, exec_lo
	v_cmpx_gt_u32_e32 8, v48
; %bb.345:                              ;   in Loop: Header=BB317_265 Depth=1
	s_delay_alu instid0(VALU_DEP_2) | instskip(NEXT) | instid1(VALU_DEP_1)
	v_clz_i32_u32_e32 v27, v12
	v_min_u32_e32 v27, 32, v27
	s_delay_alu instid0(VALU_DEP_1) | instskip(NEXT) | instid1(VALU_DEP_1)
	v_subrev_nc_u32_e32 v47, 28, v27
	v_lshlrev_b64_e32 v[48:49], v47, v[12:13]
	s_delay_alu instid0(VALU_DEP_1)
	v_dual_sub_nc_u32 v27, 29, v27 :: v_dual_bitop2_b32 v12, 7, v48 bitop3:0x40
; %bb.346:                              ;   in Loop: Header=BB317_265 Depth=1
	s_or_b32 exec_lo, exec_lo, s17
	s_delay_alu instid0(VALU_DEP_1) | instskip(NEXT) | instid1(VALU_DEP_2)
	v_dual_lshlrev_b32 v26, 24, v26 :: v_dual_lshlrev_b32 v12, 20, v12
	v_lshl_add_u32 v27, v27, 23, 0x3c000000
	s_delay_alu instid0(VALU_DEP_2) | instskip(NEXT) | instid1(VALU_DEP_1)
	v_and_b32_e32 v26, 0x80000000, v26
	v_or3_b32 v47, v12, v26, v27
.LBB317_347:                            ;   in Loop: Header=BB317_265 Depth=1
	s_or_b32 exec_lo, exec_lo, s16
.LBB317_348:                            ;   in Loop: Header=BB317_265 Depth=1
	s_delay_alu instid0(SALU_CYCLE_1)
	s_or_b32 exec_lo, exec_lo, s15
.LBB317_349:                            ;   in Loop: Header=BB317_265 Depth=1
	s_delay_alu instid0(SALU_CYCLE_1) | instskip(NEXT) | instid1(SALU_CYCLE_1)
	s_or_b32 exec_lo, exec_lo, s14
	s_mov_b32 s14, exec_lo
	v_cmpx_lt_u32_e32 0xffffff, v24
	s_cbranch_execz .LBB317_357
; %bb.350:                              ;   in Loop: Header=BB317_265 Depth=1
	v_lshrrev_b32_e32 v26, 24, v24
	v_bfrev_b32_e32 v46, 1
	s_mov_b32 s15, exec_lo
	s_delay_alu instid0(VALU_DEP_2)
	v_cmpx_ne_u32_e32 0x80, v26
	s_cbranch_execz .LBB317_356
; %bb.351:                              ;   in Loop: Header=BB317_265 Depth=1
	v_bfe_u32 v48, v24, 24, 7
	v_mov_b32_e32 v46, 0x7f800001
	s_mov_b32 s16, exec_lo
	s_delay_alu instid0(VALU_DEP_2)
	v_cmpx_ne_u32_e32 0x7f, v48
	s_cbranch_execz .LBB317_355
; %bb.352:                              ;   in Loop: Header=BB317_265 Depth=1
	v_dual_lshrrev_b32 v27, 3, v48 :: v_dual_bitop2_b32 v12, 7, v26 bitop3:0x40
	s_mov_b32 s17, exec_lo
	v_cmpx_gt_u32_e32 8, v48
; %bb.353:                              ;   in Loop: Header=BB317_265 Depth=1
	s_delay_alu instid0(VALU_DEP_2) | instskip(NEXT) | instid1(VALU_DEP_1)
	v_clz_i32_u32_e32 v27, v12
	v_min_u32_e32 v27, 32, v27
	s_delay_alu instid0(VALU_DEP_1) | instskip(NEXT) | instid1(VALU_DEP_1)
	v_subrev_nc_u32_e32 v46, 28, v27
	v_lshlrev_b64_e32 v[48:49], v46, v[12:13]
	s_delay_alu instid0(VALU_DEP_1)
	v_dual_sub_nc_u32 v27, 29, v27 :: v_dual_bitop2_b32 v12, 7, v48 bitop3:0x40
; %bb.354:                              ;   in Loop: Header=BB317_265 Depth=1
	s_or_b32 exec_lo, exec_lo, s17
	s_delay_alu instid0(VALU_DEP_1) | instskip(NEXT) | instid1(VALU_DEP_2)
	v_dual_lshlrev_b32 v26, 24, v26 :: v_dual_lshlrev_b32 v12, 20, v12
	v_lshl_add_u32 v27, v27, 23, 0x3c000000
	s_delay_alu instid0(VALU_DEP_2) | instskip(NEXT) | instid1(VALU_DEP_1)
	v_and_b32_e32 v26, 0x80000000, v26
	v_or3_b32 v46, v12, v26, v27
.LBB317_355:                            ;   in Loop: Header=BB317_265 Depth=1
	s_or_b32 exec_lo, exec_lo, s16
.LBB317_356:                            ;   in Loop: Header=BB317_265 Depth=1
	s_delay_alu instid0(SALU_CYCLE_1)
	s_or_b32 exec_lo, exec_lo, s15
.LBB317_357:                            ;   in Loop: Header=BB317_265 Depth=1
	s_delay_alu instid0(SALU_CYCLE_1) | instskip(SKIP_4) | instid1(VALU_DEP_3)
	s_or_b32 exec_lo, exec_lo, s14
	v_and_b32_e32 v27, 0xff, v25
	v_dual_mov_b32 v12, v25 :: v_dual_mov_b32 v26, 0
	v_mov_b32_e32 v48, 0
	s_mov_b32 s14, exec_lo
	v_cmpx_ne_u16_e32 0, v27
	s_cbranch_execz .LBB317_363
; %bb.358:                              ;   in Loop: Header=BB317_265 Depth=1
	v_bfrev_b32_e32 v48, 1
	s_mov_b32 s15, exec_lo
	v_cmpx_ne_u16_e32 0x80, v27
	s_cbranch_execz .LBB317_362
; %bb.359:                              ;   in Loop: Header=BB317_265 Depth=1
	v_and_b32_e32 v27, 0x7f, v25
	v_mov_b32_e32 v48, 0x7f800001
	s_mov_b32 s16, exec_lo
	s_delay_alu instid0(VALU_DEP_2)
	v_cmpx_ne_u32_e32 0x7f, v27
	s_cbranch_execz .LBB317_361
; %bb.360:                              ;   in Loop: Header=BB317_265 Depth=1
	v_dual_lshrrev_b32 v49, 3, v27 :: v_dual_bitop2_b32 v48, 7, v25 bitop3:0x40
	v_cmp_gt_u32_e64 s1, 8, v27
	s_delay_alu instid0(VALU_DEP_2) | instskip(NEXT) | instid1(VALU_DEP_1)
	v_clz_i32_u32_e32 v48, v48
	v_min_u32_e32 v48, 32, v48
	s_delay_alu instid0(VALU_DEP_1) | instskip(SKIP_1) | instid1(VALU_DEP_1)
	v_subrev_nc_u32_e32 v50, 28, v48
	v_sub_nc_u32_e32 v48, 29, v48
	v_dual_cndmask_b32 v27, v49, v48, s1 :: v_dual_cndmask_b32 v48, 0, v50, s1
	s_delay_alu instid0(VALU_DEP_1) | instskip(NEXT) | instid1(VALU_DEP_2)
	v_lshl_add_u32 v27, v27, 23, 0x3c000000
	v_lshlrev_b64_e32 v[48:49], v48, v[12:13]
	v_lshlrev_b32_e32 v49, 24, v12
	s_delay_alu instid0(VALU_DEP_1) | instskip(NEXT) | instid1(VALU_DEP_3)
	v_and_b32_e32 v49, 0x80000000, v49
	v_lshlrev_b32_e32 v48, 20, v48
	s_delay_alu instid0(VALU_DEP_1) | instskip(NEXT) | instid1(VALU_DEP_1)
	v_and_b32_e32 v48, 0x700000, v48
	v_or3_b32 v48, v48, v49, v27
.LBB317_361:                            ;   in Loop: Header=BB317_265 Depth=1
	s_or_b32 exec_lo, exec_lo, s16
.LBB317_362:                            ;   in Loop: Header=BB317_265 Depth=1
	s_delay_alu instid0(SALU_CYCLE_1)
	s_or_b32 exec_lo, exec_lo, s15
.LBB317_363:                            ;   in Loop: Header=BB317_265 Depth=1
	s_delay_alu instid0(SALU_CYCLE_1) | instskip(SKIP_2) | instid1(VALU_DEP_1)
	s_or_b32 exec_lo, exec_lo, s14
	v_lshrrev_b16 v27, 8, v12
	s_mov_b32 s14, exec_lo
	v_cmpx_ne_u16_e32 0, v27
	s_cbranch_execz .LBB317_371
; %bb.364:                              ;   in Loop: Header=BB317_265 Depth=1
	v_bfrev_b32_e32 v26, 1
	s_mov_b32 s15, exec_lo
	v_cmpx_ne_u16_e32 0x80, v27
	s_cbranch_execz .LBB317_370
; %bb.365:                              ;   in Loop: Header=BB317_265 Depth=1
	v_and_b32_e32 v27, 0xffff, v27
	v_mov_b32_e32 v26, 0x7f800001
	s_mov_b32 s16, exec_lo
	s_delay_alu instid0(VALU_DEP_2) | instskip(NEXT) | instid1(VALU_DEP_1)
	v_and_b32_e32 v50, 0x7f, v27
	v_cmpx_ne_u32_e32 0x7f, v50
	s_cbranch_execz .LBB317_369
; %bb.366:                              ;   in Loop: Header=BB317_265 Depth=1
	v_dual_mov_b32 v27, v13 :: v_dual_bitop2_b32 v26, 7, v27 bitop3:0x40
	v_lshrrev_b32_e32 v49, 3, v50
	s_mov_b32 s17, exec_lo
	v_cmpx_gt_u32_e32 8, v50
; %bb.367:                              ;   in Loop: Header=BB317_265 Depth=1
	s_delay_alu instid0(VALU_DEP_3) | instskip(NEXT) | instid1(VALU_DEP_1)
	v_clz_i32_u32_e32 v49, v26
	v_min_u32_e32 v49, 32, v49
	s_delay_alu instid0(VALU_DEP_1) | instskip(NEXT) | instid1(VALU_DEP_1)
	v_subrev_nc_u32_e32 v50, 28, v49
	v_lshlrev_b64_e32 v[26:27], v50, v[26:27]
	s_delay_alu instid0(VALU_DEP_1)
	v_dual_sub_nc_u32 v49, 29, v49 :: v_dual_bitop2_b32 v26, 7, v26 bitop3:0x40
; %bb.368:                              ;   in Loop: Header=BB317_265 Depth=1
	s_or_b32 exec_lo, exec_lo, s17
	s_delay_alu instid0(VALU_DEP_1) | instskip(NEXT) | instid1(VALU_DEP_2)
	v_dual_lshlrev_b32 v12, 16, v12 :: v_dual_lshlrev_b32 v26, 20, v26
	v_lshl_add_u32 v27, v49, 23, 0x3c000000
	s_delay_alu instid0(VALU_DEP_2) | instskip(NEXT) | instid1(VALU_DEP_1)
	v_and_b32_e32 v12, 0x80000000, v12
	v_or3_b32 v26, v26, v12, v27
.LBB317_369:                            ;   in Loop: Header=BB317_265 Depth=1
	s_or_b32 exec_lo, exec_lo, s16
.LBB317_370:                            ;   in Loop: Header=BB317_265 Depth=1
	s_delay_alu instid0(SALU_CYCLE_1)
	s_or_b32 exec_lo, exec_lo, s15
.LBB317_371:                            ;   in Loop: Header=BB317_265 Depth=1
	s_delay_alu instid0(SALU_CYCLE_1) | instskip(SKIP_3) | instid1(VALU_DEP_2)
	s_or_b32 exec_lo, exec_lo, s14
	v_dual_mov_b32 v50, 0 :: v_dual_lshrrev_b32 v27, 16, v25
	v_mov_b32_e32 v51, 0
	s_mov_b32 s14, exec_lo
	v_and_b32_e32 v12, 0xff, v27
	s_delay_alu instid0(VALU_DEP_1)
	v_cmpx_ne_u16_e32 0, v12
	s_cbranch_execz .LBB317_379
; %bb.372:                              ;   in Loop: Header=BB317_265 Depth=1
	v_bfrev_b32_e32 v51, 1
	s_mov_b32 s15, exec_lo
	v_cmpx_ne_u16_e32 0x80, v12
	s_cbranch_execz .LBB317_378
; %bb.373:                              ;   in Loop: Header=BB317_265 Depth=1
	v_bfe_u32 v52, v25, 16, 7
	v_mov_b32_e32 v51, 0x7f800001
	s_mov_b32 s16, exec_lo
	s_delay_alu instid0(VALU_DEP_2)
	v_cmpx_ne_u32_e32 0x7f, v52
	s_cbranch_execz .LBB317_377
; %bb.374:                              ;   in Loop: Header=BB317_265 Depth=1
	v_dual_lshrrev_b32 v49, 3, v52 :: v_dual_bitop2_b32 v12, 7, v27 bitop3:0x40
	s_mov_b32 s17, exec_lo
	v_cmpx_gt_u32_e32 8, v52
; %bb.375:                              ;   in Loop: Header=BB317_265 Depth=1
	s_delay_alu instid0(VALU_DEP_2) | instskip(NEXT) | instid1(VALU_DEP_1)
	v_clz_i32_u32_e32 v49, v12
	v_min_u32_e32 v49, 32, v49
	s_delay_alu instid0(VALU_DEP_1) | instskip(NEXT) | instid1(VALU_DEP_1)
	v_subrev_nc_u32_e32 v51, 28, v49
	v_lshlrev_b64_e32 v[52:53], v51, v[12:13]
	s_delay_alu instid0(VALU_DEP_1)
	v_dual_sub_nc_u32 v49, 29, v49 :: v_dual_bitop2_b32 v12, 7, v52 bitop3:0x40
; %bb.376:                              ;   in Loop: Header=BB317_265 Depth=1
	s_or_b32 exec_lo, exec_lo, s17
	s_delay_alu instid0(VALU_DEP_1) | instskip(NEXT) | instid1(VALU_DEP_2)
	v_dual_lshlrev_b32 v27, 24, v27 :: v_dual_lshlrev_b32 v12, 20, v12
	v_lshl_add_u32 v49, v49, 23, 0x3c000000
	s_delay_alu instid0(VALU_DEP_2) | instskip(NEXT) | instid1(VALU_DEP_1)
	v_and_b32_e32 v27, 0x80000000, v27
	v_or3_b32 v51, v12, v27, v49
.LBB317_377:                            ;   in Loop: Header=BB317_265 Depth=1
	s_or_b32 exec_lo, exec_lo, s16
.LBB317_378:                            ;   in Loop: Header=BB317_265 Depth=1
	s_delay_alu instid0(SALU_CYCLE_1)
	s_or_b32 exec_lo, exec_lo, s15
.LBB317_379:                            ;   in Loop: Header=BB317_265 Depth=1
	s_delay_alu instid0(SALU_CYCLE_1) | instskip(NEXT) | instid1(SALU_CYCLE_1)
	s_or_b32 exec_lo, exec_lo, s14
	s_mov_b32 s14, exec_lo
	v_cmpx_lt_u64_e64 s[2:3], v[24:25]
	s_cbranch_execz .LBB317_387
; %bb.380:                              ;   in Loop: Header=BB317_265 Depth=1
	v_lshrrev_b32_e32 v24, 24, v25
	v_bfrev_b32_e32 v50, 1
	s_mov_b32 s15, exec_lo
	s_delay_alu instid0(VALU_DEP_2)
	v_cmpx_ne_u32_e32 0x80, v24
	s_cbranch_execz .LBB317_386
; %bb.381:                              ;   in Loop: Header=BB317_265 Depth=1
	v_bfe_u32 v27, v25, 24, 7
	v_mov_b32_e32 v50, 0x7f800001
	s_mov_b32 s16, exec_lo
	s_delay_alu instid0(VALU_DEP_2)
	v_cmpx_ne_u32_e32 0x7f, v27
	s_cbranch_execz .LBB317_385
; %bb.382:                              ;   in Loop: Header=BB317_265 Depth=1
	v_dual_lshrrev_b32 v25, 3, v27 :: v_dual_bitop2_b32 v12, 7, v24 bitop3:0x40
	s_mov_b32 s17, exec_lo
	v_cmpx_gt_u32_e32 8, v27
; %bb.383:                              ;   in Loop: Header=BB317_265 Depth=1
	s_delay_alu instid0(VALU_DEP_2) | instskip(NEXT) | instid1(VALU_DEP_1)
	v_clz_i32_u32_e32 v25, v12
	v_min_u32_e32 v25, 32, v25
	s_delay_alu instid0(VALU_DEP_1) | instskip(NEXT) | instid1(VALU_DEP_1)
	v_subrev_nc_u32_e32 v27, 28, v25
	v_lshlrev_b64_e32 v[52:53], v27, v[12:13]
	s_delay_alu instid0(VALU_DEP_1)
	v_dual_sub_nc_u32 v25, 29, v25 :: v_dual_bitop2_b32 v12, 7, v52 bitop3:0x40
; %bb.384:                              ;   in Loop: Header=BB317_265 Depth=1
	s_or_b32 exec_lo, exec_lo, s17
	v_lshlrev_b32_e32 v24, 24, v24
	s_delay_alu instid0(VALU_DEP_2) | instskip(NEXT) | instid1(VALU_DEP_3)
	v_lshlrev_b32_e32 v12, 20, v12
	v_lshl_add_u32 v25, v25, 23, 0x3c000000
	s_delay_alu instid0(VALU_DEP_3) | instskip(NEXT) | instid1(VALU_DEP_1)
	v_and_b32_e32 v24, 0x80000000, v24
	v_or3_b32 v50, v12, v24, v25
.LBB317_385:                            ;   in Loop: Header=BB317_265 Depth=1
	s_or_b32 exec_lo, exec_lo, s16
.LBB317_386:                            ;   in Loop: Header=BB317_265 Depth=1
	s_delay_alu instid0(SALU_CYCLE_1)
	s_or_b32 exec_lo, exec_lo, s15
.LBB317_387:                            ;   in Loop: Header=BB317_265 Depth=1
	s_delay_alu instid0(SALU_CYCLE_1)
	s_or_b32 exec_lo, exec_lo, s14
	v_fma_mixlo_bf16 v26, s25, v26, 0
	v_fma_mixlo_bf16 v27, s25, v48, 0
	;; [unrolled: 1-line block ×8, first 2 shown]
	s_and_saveexec_b32 s14, s0
	s_cbranch_execz .LBB317_389
; %bb.388:                              ;   in Loop: Header=BB317_265 Depth=1
	v_dual_add_nc_u32 v12, -6, v32 :: v_dual_add_nc_u32 v24, -5, v32
	v_cmp_gt_i32_e64 s1, s23, v43
	s_delay_alu instid0(VALU_DEP_1) | instskip(NEXT) | instid1(VALU_DEP_3)
	v_dual_add_nc_u32 v25, -2, v32 :: v_dual_cndmask_b32 v49, 0, v49, s1
	v_cmp_gt_i32_e64 s1, s23, v12
	s_delay_alu instid0(VALU_DEP_1) | instskip(SKIP_2) | instid1(VALU_DEP_2)
	v_cndmask_b32_e64 v48, 0, v48, s1
	v_cmp_gt_i32_e64 s1, s23, v24
	v_dual_add_nc_u32 v12, -4, v32 :: v_dual_add_nc_u32 v24, -3, v32
	v_cndmask_b32_e64 v47, 0, v47, s1
	s_delay_alu instid0(VALU_DEP_2) | instskip(NEXT) | instid1(VALU_DEP_1)
	v_cmp_gt_i32_e64 s1, s23, v12
	v_dual_add_nc_u32 v12, -1, v32 :: v_dual_cndmask_b32 v46, 0, v46, s1
	s_delay_alu instid0(VALU_DEP_4) | instskip(NEXT) | instid1(VALU_DEP_1)
	v_cmp_gt_i32_e64 s1, s23, v24
	v_cndmask_b32_e64 v27, 0, v27, s1
	v_cmp_gt_i32_e64 s1, s23, v25
	s_delay_alu instid0(VALU_DEP_1) | instskip(SKIP_1) | instid1(VALU_DEP_1)
	v_cndmask_b32_e64 v26, 0, v26, s1
	v_cmp_gt_i32_e64 s1, s23, v12
	v_cndmask_b32_e64 v44, 0, v44, s1
	v_cmp_gt_i32_e64 s1, s23, v32
	s_delay_alu instid0(VALU_DEP_1)
	v_cndmask_b32_e64 v45, 0, v45, s1
.LBB317_389:                            ;   in Loop: Header=BB317_265 Depth=1
	s_or_b32 exec_lo, exec_lo, s14
	global_load_b64 v[22:23], v[22:23], off offset:512
	v_dual_mov_b32 v53, 0 :: v_dual_mov_b32 v52, 0
	s_mov_b32 s14, exec_lo
	s_wait_loadcnt 0x0
	v_and_b32_e32 v12, 0xff, v22
	s_delay_alu instid0(VALU_DEP_1)
	v_cmpx_ne_u16_e32 0, v12
	s_cbranch_execz .LBB317_395
; %bb.390:                              ;   in Loop: Header=BB317_265 Depth=1
	v_bfrev_b32_e32 v52, 1
	s_mov_b32 s15, exec_lo
	v_cmpx_ne_u16_e32 0x80, v12
	s_cbranch_execz .LBB317_394
; %bb.391:                              ;   in Loop: Header=BB317_265 Depth=1
	v_and_b32_e32 v12, 0x7f, v22
	v_mov_b32_e32 v52, 0x7f800001
	s_mov_b32 s16, exec_lo
	s_delay_alu instid0(VALU_DEP_2)
	v_cmpx_ne_u32_e32 0x7f, v12
	s_cbranch_execz .LBB317_393
; %bb.392:                              ;   in Loop: Header=BB317_265 Depth=1
	v_dual_lshrrev_b32 v25, 3, v12 :: v_dual_bitop2_b32 v24, 7, v22 bitop3:0x40
	v_cmp_gt_u32_e64 s1, 8, v12
	s_delay_alu instid0(VALU_DEP_2) | instskip(NEXT) | instid1(VALU_DEP_1)
	v_clz_i32_u32_e32 v24, v24
	v_min_u32_e32 v24, 32, v24
	s_delay_alu instid0(VALU_DEP_1) | instskip(SKIP_1) | instid1(VALU_DEP_1)
	v_subrev_nc_u32_e32 v50, 28, v24
	v_sub_nc_u32_e32 v24, 29, v24
	v_dual_cndmask_b32 v12, v25, v24, s1 :: v_dual_cndmask_b32 v24, 0, v50, s1
	s_delay_alu instid0(VALU_DEP_1) | instskip(NEXT) | instid1(VALU_DEP_2)
	v_lshl_add_u32 v12, v12, 23, 0x3c000000
	v_lshlrev_b64_e32 v[24:25], v24, v[22:23]
	v_lshlrev_b32_e32 v25, 24, v22
	s_delay_alu instid0(VALU_DEP_1) | instskip(NEXT) | instid1(VALU_DEP_3)
	v_and_b32_e32 v25, 0x80000000, v25
	v_lshlrev_b32_e32 v24, 20, v24
	s_delay_alu instid0(VALU_DEP_1) | instskip(NEXT) | instid1(VALU_DEP_1)
	v_and_b32_e32 v24, 0x700000, v24
	v_or3_b32 v52, v24, v25, v12
.LBB317_393:                            ;   in Loop: Header=BB317_265 Depth=1
	s_or_b32 exec_lo, exec_lo, s16
.LBB317_394:                            ;   in Loop: Header=BB317_265 Depth=1
	s_delay_alu instid0(SALU_CYCLE_1)
	s_or_b32 exec_lo, exec_lo, s15
.LBB317_395:                            ;   in Loop: Header=BB317_265 Depth=1
	s_delay_alu instid0(SALU_CYCLE_1) | instskip(SKIP_2) | instid1(VALU_DEP_1)
	s_or_b32 exec_lo, exec_lo, s14
	v_lshrrev_b16 v12, 8, v22
	s_mov_b32 s14, exec_lo
	v_cmpx_ne_u16_e32 0, v12
	s_cbranch_execz .LBB317_403
; %bb.396:                              ;   in Loop: Header=BB317_265 Depth=1
	v_bfrev_b32_e32 v53, 1
	s_mov_b32 s15, exec_lo
	v_cmpx_ne_u16_e32 0x80, v12
	s_cbranch_execz .LBB317_402
; %bb.397:                              ;   in Loop: Header=BB317_265 Depth=1
	v_and_b32_e32 v12, 0xffff, v12
	v_mov_b32_e32 v53, 0x7f800001
	s_mov_b32 s16, exec_lo
	s_delay_alu instid0(VALU_DEP_2) | instskip(NEXT) | instid1(VALU_DEP_1)
	v_and_b32_e32 v25, 0x7f, v12
	v_cmpx_ne_u32_e32 0x7f, v25
	s_cbranch_execz .LBB317_401
; %bb.398:                              ;   in Loop: Header=BB317_265 Depth=1
	v_dual_lshrrev_b32 v24, 3, v25 :: v_dual_bitop2_b32 v12, 7, v12 bitop3:0x40
	s_mov_b32 s17, exec_lo
	v_cmpx_gt_u32_e32 8, v25
; %bb.399:                              ;   in Loop: Header=BB317_265 Depth=1
	s_delay_alu instid0(VALU_DEP_2) | instskip(NEXT) | instid1(VALU_DEP_1)
	v_clz_i32_u32_e32 v24, v12
	v_min_u32_e32 v24, 32, v24
	s_delay_alu instid0(VALU_DEP_1) | instskip(NEXT) | instid1(VALU_DEP_1)
	v_subrev_nc_u32_e32 v25, 28, v24
	v_lshlrev_b64_e32 v[50:51], v25, v[12:13]
	s_delay_alu instid0(VALU_DEP_1)
	v_dual_sub_nc_u32 v24, 29, v24 :: v_dual_bitop2_b32 v12, 7, v50 bitop3:0x40
; %bb.400:                              ;   in Loop: Header=BB317_265 Depth=1
	s_or_b32 exec_lo, exec_lo, s17
	s_delay_alu instid0(VALU_DEP_1) | instskip(NEXT) | instid1(VALU_DEP_2)
	v_dual_lshlrev_b32 v25, 16, v22 :: v_dual_lshlrev_b32 v12, 20, v12
	v_lshl_add_u32 v24, v24, 23, 0x3c000000
	s_delay_alu instid0(VALU_DEP_2) | instskip(NEXT) | instid1(VALU_DEP_1)
	v_and_b32_e32 v25, 0x80000000, v25
	v_or3_b32 v53, v12, v25, v24
.LBB317_401:                            ;   in Loop: Header=BB317_265 Depth=1
	s_or_b32 exec_lo, exec_lo, s16
.LBB317_402:                            ;   in Loop: Header=BB317_265 Depth=1
	s_delay_alu instid0(SALU_CYCLE_1)
	s_or_b32 exec_lo, exec_lo, s15
.LBB317_403:                            ;   in Loop: Header=BB317_265 Depth=1
	s_delay_alu instid0(SALU_CYCLE_1) | instskip(SKIP_3) | instid1(VALU_DEP_2)
	s_or_b32 exec_lo, exec_lo, s14
	v_dual_lshrrev_b32 v24, 16, v22 :: v_dual_mov_b32 v50, 0
	v_mov_b32_e32 v51, 0
	s_mov_b32 s14, exec_lo
	v_and_b32_e32 v12, 0xff, v24
	s_delay_alu instid0(VALU_DEP_1)
	v_cmpx_ne_u16_e32 0, v12
	s_cbranch_execz .LBB317_411
; %bb.404:                              ;   in Loop: Header=BB317_265 Depth=1
	v_bfrev_b32_e32 v51, 1
	s_mov_b32 s15, exec_lo
	v_cmpx_ne_u16_e32 0x80, v12
	s_cbranch_execz .LBB317_410
; %bb.405:                              ;   in Loop: Header=BB317_265 Depth=1
	v_bfe_u32 v54, v22, 16, 7
	v_mov_b32_e32 v51, 0x7f800001
	s_mov_b32 s16, exec_lo
	s_delay_alu instid0(VALU_DEP_2)
	v_cmpx_ne_u32_e32 0x7f, v54
	s_cbranch_execz .LBB317_409
; %bb.406:                              ;   in Loop: Header=BB317_265 Depth=1
	v_dual_lshrrev_b32 v25, 3, v54 :: v_dual_bitop2_b32 v12, 7, v24 bitop3:0x40
	s_mov_b32 s17, exec_lo
	v_cmpx_gt_u32_e32 8, v54
; %bb.407:                              ;   in Loop: Header=BB317_265 Depth=1
	s_delay_alu instid0(VALU_DEP_2) | instskip(NEXT) | instid1(VALU_DEP_1)
	v_clz_i32_u32_e32 v25, v12
	v_min_u32_e32 v25, 32, v25
	s_delay_alu instid0(VALU_DEP_1) | instskip(NEXT) | instid1(VALU_DEP_1)
	v_subrev_nc_u32_e32 v51, 28, v25
	v_lshlrev_b64_e32 v[54:55], v51, v[12:13]
	s_delay_alu instid0(VALU_DEP_1)
	v_dual_sub_nc_u32 v25, 29, v25 :: v_dual_bitop2_b32 v12, 7, v54 bitop3:0x40
; %bb.408:                              ;   in Loop: Header=BB317_265 Depth=1
	s_or_b32 exec_lo, exec_lo, s17
	v_lshlrev_b32_e32 v24, 24, v24
	s_delay_alu instid0(VALU_DEP_2) | instskip(NEXT) | instid1(VALU_DEP_3)
	v_lshlrev_b32_e32 v12, 20, v12
	v_lshl_add_u32 v25, v25, 23, 0x3c000000
	s_delay_alu instid0(VALU_DEP_3) | instskip(NEXT) | instid1(VALU_DEP_1)
	v_and_b32_e32 v24, 0x80000000, v24
	v_or3_b32 v51, v12, v24, v25
.LBB317_409:                            ;   in Loop: Header=BB317_265 Depth=1
	s_or_b32 exec_lo, exec_lo, s16
.LBB317_410:                            ;   in Loop: Header=BB317_265 Depth=1
	s_delay_alu instid0(SALU_CYCLE_1)
	s_or_b32 exec_lo, exec_lo, s15
.LBB317_411:                            ;   in Loop: Header=BB317_265 Depth=1
	s_delay_alu instid0(SALU_CYCLE_1) | instskip(NEXT) | instid1(SALU_CYCLE_1)
	s_or_b32 exec_lo, exec_lo, s14
	s_mov_b32 s14, exec_lo
	v_cmpx_lt_u32_e32 0xffffff, v22
	s_cbranch_execz .LBB317_419
; %bb.412:                              ;   in Loop: Header=BB317_265 Depth=1
	v_lshrrev_b32_e32 v24, 24, v22
	v_bfrev_b32_e32 v50, 1
	s_mov_b32 s15, exec_lo
	s_delay_alu instid0(VALU_DEP_2)
	v_cmpx_ne_u32_e32 0x80, v24
	s_cbranch_execz .LBB317_418
; %bb.413:                              ;   in Loop: Header=BB317_265 Depth=1
	v_bfe_u32 v54, v22, 24, 7
	v_mov_b32_e32 v50, 0x7f800001
	s_mov_b32 s16, exec_lo
	s_delay_alu instid0(VALU_DEP_2)
	v_cmpx_ne_u32_e32 0x7f, v54
	s_cbranch_execz .LBB317_417
; %bb.414:                              ;   in Loop: Header=BB317_265 Depth=1
	v_dual_lshrrev_b32 v25, 3, v54 :: v_dual_bitop2_b32 v12, 7, v24 bitop3:0x40
	s_mov_b32 s17, exec_lo
	v_cmpx_gt_u32_e32 8, v54
; %bb.415:                              ;   in Loop: Header=BB317_265 Depth=1
	s_delay_alu instid0(VALU_DEP_2) | instskip(NEXT) | instid1(VALU_DEP_1)
	v_clz_i32_u32_e32 v25, v12
	v_min_u32_e32 v25, 32, v25
	s_delay_alu instid0(VALU_DEP_1) | instskip(NEXT) | instid1(VALU_DEP_1)
	v_subrev_nc_u32_e32 v50, 28, v25
	v_lshlrev_b64_e32 v[54:55], v50, v[12:13]
	s_delay_alu instid0(VALU_DEP_1)
	v_dual_sub_nc_u32 v25, 29, v25 :: v_dual_bitop2_b32 v12, 7, v54 bitop3:0x40
; %bb.416:                              ;   in Loop: Header=BB317_265 Depth=1
	s_or_b32 exec_lo, exec_lo, s17
	v_lshlrev_b32_e32 v24, 24, v24
	s_delay_alu instid0(VALU_DEP_2) | instskip(NEXT) | instid1(VALU_DEP_3)
	v_lshlrev_b32_e32 v12, 20, v12
	v_lshl_add_u32 v25, v25, 23, 0x3c000000
	s_delay_alu instid0(VALU_DEP_3) | instskip(NEXT) | instid1(VALU_DEP_1)
	v_and_b32_e32 v24, 0x80000000, v24
	v_or3_b32 v50, v12, v24, v25
.LBB317_417:                            ;   in Loop: Header=BB317_265 Depth=1
	s_or_b32 exec_lo, exec_lo, s16
.LBB317_418:                            ;   in Loop: Header=BB317_265 Depth=1
	s_delay_alu instid0(SALU_CYCLE_1)
	s_or_b32 exec_lo, exec_lo, s15
.LBB317_419:                            ;   in Loop: Header=BB317_265 Depth=1
	s_delay_alu instid0(SALU_CYCLE_1) | instskip(SKIP_4) | instid1(VALU_DEP_3)
	s_or_b32 exec_lo, exec_lo, s14
	v_and_b32_e32 v25, 0xff, v23
	v_dual_mov_b32 v12, v23 :: v_dual_mov_b32 v24, 0
	v_mov_b32_e32 v54, 0
	s_mov_b32 s14, exec_lo
	v_cmpx_ne_u16_e32 0, v25
	s_cbranch_execz .LBB317_425
; %bb.420:                              ;   in Loop: Header=BB317_265 Depth=1
	v_bfrev_b32_e32 v54, 1
	s_mov_b32 s15, exec_lo
	v_cmpx_ne_u16_e32 0x80, v25
	s_cbranch_execz .LBB317_424
; %bb.421:                              ;   in Loop: Header=BB317_265 Depth=1
	v_and_b32_e32 v25, 0x7f, v23
	v_mov_b32_e32 v54, 0x7f800001
	s_mov_b32 s16, exec_lo
	s_delay_alu instid0(VALU_DEP_2)
	v_cmpx_ne_u32_e32 0x7f, v25
	s_cbranch_execz .LBB317_423
; %bb.422:                              ;   in Loop: Header=BB317_265 Depth=1
	v_dual_lshrrev_b32 v55, 3, v25 :: v_dual_bitop2_b32 v54, 7, v23 bitop3:0x40
	v_cmp_gt_u32_e64 s1, 8, v25
	s_delay_alu instid0(VALU_DEP_2) | instskip(NEXT) | instid1(VALU_DEP_1)
	v_clz_i32_u32_e32 v54, v54
	v_min_u32_e32 v54, 32, v54
	s_delay_alu instid0(VALU_DEP_1) | instskip(SKIP_1) | instid1(VALU_DEP_1)
	v_subrev_nc_u32_e32 v56, 28, v54
	v_sub_nc_u32_e32 v54, 29, v54
	v_dual_cndmask_b32 v25, v55, v54, s1 :: v_dual_cndmask_b32 v54, 0, v56, s1
	s_delay_alu instid0(VALU_DEP_1) | instskip(NEXT) | instid1(VALU_DEP_2)
	v_lshl_add_u32 v25, v25, 23, 0x3c000000
	v_lshlrev_b64_e32 v[54:55], v54, v[12:13]
	v_lshlrev_b32_e32 v55, 24, v12
	s_delay_alu instid0(VALU_DEP_1) | instskip(NEXT) | instid1(VALU_DEP_3)
	v_and_b32_e32 v55, 0x80000000, v55
	v_lshlrev_b32_e32 v54, 20, v54
	s_delay_alu instid0(VALU_DEP_1) | instskip(NEXT) | instid1(VALU_DEP_1)
	v_and_b32_e32 v54, 0x700000, v54
	v_or3_b32 v54, v54, v55, v25
.LBB317_423:                            ;   in Loop: Header=BB317_265 Depth=1
	s_or_b32 exec_lo, exec_lo, s16
.LBB317_424:                            ;   in Loop: Header=BB317_265 Depth=1
	s_delay_alu instid0(SALU_CYCLE_1)
	s_or_b32 exec_lo, exec_lo, s15
.LBB317_425:                            ;   in Loop: Header=BB317_265 Depth=1
	s_delay_alu instid0(SALU_CYCLE_1) | instskip(SKIP_2) | instid1(VALU_DEP_1)
	s_or_b32 exec_lo, exec_lo, s14
	v_lshrrev_b16 v25, 8, v12
	s_mov_b32 s14, exec_lo
	v_cmpx_ne_u16_e32 0, v25
	s_cbranch_execz .LBB317_433
; %bb.426:                              ;   in Loop: Header=BB317_265 Depth=1
	v_bfrev_b32_e32 v24, 1
	s_mov_b32 s15, exec_lo
	v_cmpx_ne_u16_e32 0x80, v25
	s_cbranch_execz .LBB317_432
; %bb.427:                              ;   in Loop: Header=BB317_265 Depth=1
	v_and_b32_e32 v25, 0xffff, v25
	v_mov_b32_e32 v24, 0x7f800001
	s_mov_b32 s16, exec_lo
	s_delay_alu instid0(VALU_DEP_2) | instskip(NEXT) | instid1(VALU_DEP_1)
	v_and_b32_e32 v56, 0x7f, v25
	v_cmpx_ne_u32_e32 0x7f, v56
	s_cbranch_execz .LBB317_431
; %bb.428:                              ;   in Loop: Header=BB317_265 Depth=1
	v_dual_mov_b32 v25, v13 :: v_dual_bitop2_b32 v24, 7, v25 bitop3:0x40
	v_lshrrev_b32_e32 v55, 3, v56
	s_mov_b32 s17, exec_lo
	v_cmpx_gt_u32_e32 8, v56
; %bb.429:                              ;   in Loop: Header=BB317_265 Depth=1
	s_delay_alu instid0(VALU_DEP_3) | instskip(NEXT) | instid1(VALU_DEP_1)
	v_clz_i32_u32_e32 v55, v24
	v_min_u32_e32 v55, 32, v55
	s_delay_alu instid0(VALU_DEP_1) | instskip(NEXT) | instid1(VALU_DEP_1)
	v_subrev_nc_u32_e32 v56, 28, v55
	v_lshlrev_b64_e32 v[24:25], v56, v[24:25]
	s_delay_alu instid0(VALU_DEP_1)
	v_dual_sub_nc_u32 v55, 29, v55 :: v_dual_bitop2_b32 v24, 7, v24 bitop3:0x40
; %bb.430:                              ;   in Loop: Header=BB317_265 Depth=1
	s_or_b32 exec_lo, exec_lo, s17
	v_lshlrev_b32_e32 v12, 16, v12
	s_delay_alu instid0(VALU_DEP_2) | instskip(NEXT) | instid1(VALU_DEP_3)
	v_lshlrev_b32_e32 v24, 20, v24
	v_lshl_add_u32 v25, v55, 23, 0x3c000000
	s_delay_alu instid0(VALU_DEP_3) | instskip(NEXT) | instid1(VALU_DEP_1)
	v_and_b32_e32 v12, 0x80000000, v12
	v_or3_b32 v24, v24, v12, v25
.LBB317_431:                            ;   in Loop: Header=BB317_265 Depth=1
	s_or_b32 exec_lo, exec_lo, s16
.LBB317_432:                            ;   in Loop: Header=BB317_265 Depth=1
	s_delay_alu instid0(SALU_CYCLE_1)
	s_or_b32 exec_lo, exec_lo, s15
.LBB317_433:                            ;   in Loop: Header=BB317_265 Depth=1
	s_delay_alu instid0(SALU_CYCLE_1) | instskip(SKIP_3) | instid1(VALU_DEP_2)
	s_or_b32 exec_lo, exec_lo, s14
	v_dual_mov_b32 v25, 0 :: v_dual_lshrrev_b32 v56, 16, v23
	v_mov_b32_e32 v55, 0
	s_mov_b32 s14, exec_lo
	v_and_b32_e32 v12, 0xff, v56
	s_delay_alu instid0(VALU_DEP_1)
	v_cmpx_ne_u16_e32 0, v12
	s_cbranch_execz .LBB317_441
; %bb.434:                              ;   in Loop: Header=BB317_265 Depth=1
	v_bfrev_b32_e32 v55, 1
	s_mov_b32 s15, exec_lo
	v_cmpx_ne_u16_e32 0x80, v12
	s_cbranch_execz .LBB317_440
; %bb.435:                              ;   in Loop: Header=BB317_265 Depth=1
	v_bfe_u32 v57, v23, 16, 7
	v_mov_b32_e32 v55, 0x7f800001
	s_mov_b32 s16, exec_lo
	s_delay_alu instid0(VALU_DEP_2)
	v_cmpx_ne_u32_e32 0x7f, v57
	s_cbranch_execz .LBB317_439
; %bb.436:                              ;   in Loop: Header=BB317_265 Depth=1
	v_dual_lshrrev_b32 v55, 3, v57 :: v_dual_bitop2_b32 v12, 7, v56 bitop3:0x40
	s_mov_b32 s17, exec_lo
	v_cmpx_gt_u32_e32 8, v57
; %bb.437:                              ;   in Loop: Header=BB317_265 Depth=1
	s_delay_alu instid0(VALU_DEP_2) | instskip(NEXT) | instid1(VALU_DEP_1)
	v_clz_i32_u32_e32 v55, v12
	v_min_u32_e32 v55, 32, v55
	s_delay_alu instid0(VALU_DEP_1) | instskip(NEXT) | instid1(VALU_DEP_1)
	v_subrev_nc_u32_e32 v57, 28, v55
	v_lshlrev_b64_e32 v[58:59], v57, v[12:13]
	s_delay_alu instid0(VALU_DEP_1)
	v_dual_sub_nc_u32 v55, 29, v55 :: v_dual_bitop2_b32 v12, 7, v58 bitop3:0x40
; %bb.438:                              ;   in Loop: Header=BB317_265 Depth=1
	s_or_b32 exec_lo, exec_lo, s17
	v_lshlrev_b32_e32 v56, 24, v56
	s_delay_alu instid0(VALU_DEP_2) | instskip(NEXT) | instid1(VALU_DEP_3)
	v_lshlrev_b32_e32 v12, 20, v12
	v_lshl_add_u32 v55, v55, 23, 0x3c000000
	s_delay_alu instid0(VALU_DEP_3) | instskip(NEXT) | instid1(VALU_DEP_1)
	v_and_b32_e32 v56, 0x80000000, v56
	v_or3_b32 v55, v12, v56, v55
.LBB317_439:                            ;   in Loop: Header=BB317_265 Depth=1
	s_or_b32 exec_lo, exec_lo, s16
.LBB317_440:                            ;   in Loop: Header=BB317_265 Depth=1
	s_delay_alu instid0(SALU_CYCLE_1)
	s_or_b32 exec_lo, exec_lo, s15
.LBB317_441:                            ;   in Loop: Header=BB317_265 Depth=1
	s_delay_alu instid0(SALU_CYCLE_1) | instskip(NEXT) | instid1(SALU_CYCLE_1)
	s_or_b32 exec_lo, exec_lo, s14
	s_mov_b32 s14, exec_lo
	v_cmpx_lt_u64_e64 s[2:3], v[22:23]
	s_cbranch_execz .LBB317_449
; %bb.442:                              ;   in Loop: Header=BB317_265 Depth=1
	v_lshrrev_b32_e32 v22, 24, v23
	v_bfrev_b32_e32 v25, 1
	s_mov_b32 s15, exec_lo
	s_delay_alu instid0(VALU_DEP_2)
	v_cmpx_ne_u32_e32 0x80, v22
	s_cbranch_execz .LBB317_448
; %bb.443:                              ;   in Loop: Header=BB317_265 Depth=1
	v_bfe_u32 v56, v23, 24, 7
	v_mov_b32_e32 v25, 0x7f800001
	s_mov_b32 s16, exec_lo
	s_delay_alu instid0(VALU_DEP_2)
	v_cmpx_ne_u32_e32 0x7f, v56
	s_cbranch_execz .LBB317_447
; %bb.444:                              ;   in Loop: Header=BB317_265 Depth=1
	v_dual_lshrrev_b32 v23, 3, v56 :: v_dual_bitop2_b32 v12, 7, v22 bitop3:0x40
	s_mov_b32 s17, exec_lo
	v_cmpx_gt_u32_e32 8, v56
; %bb.445:                              ;   in Loop: Header=BB317_265 Depth=1
	s_delay_alu instid0(VALU_DEP_2) | instskip(NEXT) | instid1(VALU_DEP_1)
	v_clz_i32_u32_e32 v23, v12
	v_min_u32_e32 v23, 32, v23
	s_delay_alu instid0(VALU_DEP_1) | instskip(NEXT) | instid1(VALU_DEP_1)
	v_subrev_nc_u32_e32 v25, 28, v23
	v_lshlrev_b64_e32 v[56:57], v25, v[12:13]
	s_delay_alu instid0(VALU_DEP_1)
	v_dual_sub_nc_u32 v23, 29, v23 :: v_dual_bitop2_b32 v12, 7, v56 bitop3:0x40
; %bb.446:                              ;   in Loop: Header=BB317_265 Depth=1
	s_or_b32 exec_lo, exec_lo, s17
	s_delay_alu instid0(VALU_DEP_1) | instskip(NEXT) | instid1(VALU_DEP_2)
	v_dual_lshlrev_b32 v22, 24, v22 :: v_dual_lshlrev_b32 v12, 20, v12
	v_lshl_add_u32 v23, v23, 23, 0x3c000000
	s_delay_alu instid0(VALU_DEP_2) | instskip(NEXT) | instid1(VALU_DEP_1)
	v_and_b32_e32 v22, 0x80000000, v22
	v_or3_b32 v25, v12, v22, v23
.LBB317_447:                            ;   in Loop: Header=BB317_265 Depth=1
	s_or_b32 exec_lo, exec_lo, s16
.LBB317_448:                            ;   in Loop: Header=BB317_265 Depth=1
	s_delay_alu instid0(SALU_CYCLE_1)
	s_or_b32 exec_lo, exec_lo, s15
.LBB317_449:                            ;   in Loop: Header=BB317_265 Depth=1
	s_delay_alu instid0(SALU_CYCLE_1)
	s_or_b32 exec_lo, exec_lo, s14
	v_fma_mixlo_bf16 v22, s25, v24, 0
	v_fma_mixlo_bf16 v23, s25, v54, 0
	;; [unrolled: 1-line block ×8, first 2 shown]
	s_and_saveexec_b32 s14, s0
	s_cbranch_execz .LBB317_451
; %bb.450:                              ;   in Loop: Header=BB317_265 Depth=1
	v_dual_add_nc_u32 v12, -6, v32 :: v_dual_add_nc_u32 v52, -5, v32
	v_cmp_gt_i32_e64 s1, s23, v43
	s_delay_alu instid0(VALU_DEP_1) | instskip(NEXT) | instid1(VALU_DEP_3)
	v_dual_add_nc_u32 v55, -2, v32 :: v_dual_cndmask_b32 v54, 0, v54, s1
	v_cmp_gt_i32_e64 s1, s23, v12
	s_delay_alu instid0(VALU_DEP_1) | instskip(SKIP_2) | instid1(VALU_DEP_2)
	v_cndmask_b32_e64 v53, 0, v53, s1
	v_cmp_gt_i32_e64 s1, s23, v52
	v_dual_add_nc_u32 v12, -4, v32 :: v_dual_add_nc_u32 v52, -3, v32
	v_cndmask_b32_e64 v51, 0, v51, s1
	s_delay_alu instid0(VALU_DEP_2) | instskip(NEXT) | instid1(VALU_DEP_1)
	v_cmp_gt_i32_e64 s1, s23, v12
	v_dual_add_nc_u32 v12, -1, v32 :: v_dual_cndmask_b32 v50, 0, v50, s1
	s_delay_alu instid0(VALU_DEP_4) | instskip(NEXT) | instid1(VALU_DEP_1)
	v_cmp_gt_i32_e64 s1, s23, v52
	v_cndmask_b32_e64 v23, 0, v23, s1
	v_cmp_gt_i32_e64 s1, s23, v55
	s_delay_alu instid0(VALU_DEP_1) | instskip(SKIP_1) | instid1(VALU_DEP_1)
	v_cndmask_b32_e64 v22, 0, v22, s1
	v_cmp_gt_i32_e64 s1, s23, v12
	v_cndmask_b32_e64 v24, 0, v24, s1
	v_cmp_gt_i32_e64 s1, s23, v32
	s_delay_alu instid0(VALU_DEP_1)
	v_cndmask_b32_e64 v25, 0, v25, s1
.LBB317_451:                            ;   in Loop: Header=BB317_265 Depth=1
	s_or_b32 exec_lo, exec_lo, s14
	s_wait_dscnt 0x1
	v_cvt_pk_bf16_f32 v52, v6, v7
	v_cvt_pk_bf16_f32 v8, v8, v9
	s_wait_dscnt 0x0
	v_cvt_pk_bf16_f32 v7, v2, v3
	v_cvt_pk_bf16_f32 v6, v4, v5
	s_and_saveexec_b32 s14, vcc_lo
	s_cbranch_execz .LBB317_264
; %bb.452:                              ;   in Loop: Header=BB317_265 Depth=1
	v_add_nc_u64_e32 v[2:3], v[20:21], v[16:17]
	v_dual_mov_b32 v20, 0 :: v_dual_mov_b32 v9, 0
	s_mov_b32 s15, exec_lo
	global_load_b64 v[2:3], v[2:3], off
	s_wait_loadcnt 0x0
	v_and_b32_e32 v4, 0xff, v2
	s_delay_alu instid0(VALU_DEP_1)
	v_cmpx_ne_u16_e32 0, v4
	s_cbranch_execz .LBB317_458
; %bb.453:                              ;   in Loop: Header=BB317_265 Depth=1
	v_bfrev_b32_e32 v9, 1
	s_mov_b32 s16, exec_lo
	v_cmpx_ne_u16_e32 0x80, v4
	s_cbranch_execz .LBB317_457
; %bb.454:                              ;   in Loop: Header=BB317_265 Depth=1
	v_and_b32_e32 v4, 0x7f, v2
	v_mov_b32_e32 v9, 0x7f800001
	s_mov_b32 s17, exec_lo
	s_delay_alu instid0(VALU_DEP_2)
	v_cmpx_ne_u32_e32 0x7f, v4
	s_cbranch_execz .LBB317_456
; %bb.455:                              ;   in Loop: Header=BB317_265 Depth=1
	v_dual_lshrrev_b32 v9, 3, v4 :: v_dual_bitop2_b32 v5, 7, v2 bitop3:0x40
	v_cmp_gt_u32_e64 s1, 8, v4
	s_delay_alu instid0(VALU_DEP_2) | instskip(NEXT) | instid1(VALU_DEP_1)
	v_clz_i32_u32_e32 v5, v5
	v_min_u32_e32 v5, 32, v5
	s_delay_alu instid0(VALU_DEP_1) | instskip(NEXT) | instid1(VALU_DEP_1)
	v_subrev_nc_u32_e32 v12, 28, v5
	v_dual_sub_nc_u32 v5, 29, v5 :: v_dual_cndmask_b32 v4, 0, v12, s1
	s_delay_alu instid0(VALU_DEP_1) | instskip(NEXT) | instid1(VALU_DEP_2)
	v_cndmask_b32_e64 v9, v9, v5, s1
	v_lshlrev_b64_e32 v[4:5], v4, v[2:3]
	v_lshlrev_b32_e32 v5, 24, v2
	s_delay_alu instid0(VALU_DEP_3) | instskip(NEXT) | instid1(VALU_DEP_2)
	v_lshl_add_u32 v9, v9, 23, 0x3c000000
	v_and_b32_e32 v5, 0x80000000, v5
	s_delay_alu instid0(VALU_DEP_4) | instskip(NEXT) | instid1(VALU_DEP_1)
	v_lshlrev_b32_e32 v4, 20, v4
	v_and_b32_e32 v4, 0x700000, v4
	s_delay_alu instid0(VALU_DEP_1)
	v_or3_b32 v9, v4, v5, v9
.LBB317_456:                            ;   in Loop: Header=BB317_265 Depth=1
	s_or_b32 exec_lo, exec_lo, s17
.LBB317_457:                            ;   in Loop: Header=BB317_265 Depth=1
	s_delay_alu instid0(SALU_CYCLE_1)
	s_or_b32 exec_lo, exec_lo, s16
.LBB317_458:                            ;   in Loop: Header=BB317_265 Depth=1
	s_delay_alu instid0(SALU_CYCLE_1) | instskip(SKIP_2) | instid1(VALU_DEP_1)
	s_or_b32 exec_lo, exec_lo, s15
	v_lshrrev_b16 v4, 8, v2
	s_mov_b32 s15, exec_lo
	v_cmpx_ne_u16_e32 0, v4
	s_cbranch_execz .LBB317_466
; %bb.459:                              ;   in Loop: Header=BB317_265 Depth=1
	v_bfrev_b32_e32 v20, 1
	s_mov_b32 s16, exec_lo
	v_cmpx_ne_u16_e32 0x80, v4
	s_cbranch_execz .LBB317_465
; %bb.460:                              ;   in Loop: Header=BB317_265 Depth=1
	v_and_b32_e32 v4, 0xffff, v4
	v_mov_b32_e32 v20, 0x7f800001
	s_mov_b32 s17, exec_lo
	s_delay_alu instid0(VALU_DEP_2) | instskip(NEXT) | instid1(VALU_DEP_1)
	v_and_b32_e32 v5, 0x7f, v4
	v_cmpx_ne_u32_e32 0x7f, v5
	s_cbranch_execz .LBB317_464
; %bb.461:                              ;   in Loop: Header=BB317_265 Depth=1
	v_dual_lshrrev_b32 v4, 3, v5 :: v_dual_bitop2_b32 v12, 7, v4 bitop3:0x40
	s_mov_b32 s18, exec_lo
	v_cmpx_gt_u32_e32 8, v5
; %bb.462:                              ;   in Loop: Header=BB317_265 Depth=1
	s_delay_alu instid0(VALU_DEP_2) | instskip(NEXT) | instid1(VALU_DEP_1)
	v_clz_i32_u32_e32 v4, v12
	v_min_u32_e32 v4, 32, v4
	s_delay_alu instid0(VALU_DEP_1) | instskip(SKIP_1) | instid1(VALU_DEP_2)
	v_subrev_nc_u32_e32 v5, 28, v4
	v_sub_nc_u32_e32 v4, 29, v4
	v_lshlrev_b64_e32 v[20:21], v5, v[12:13]
	s_delay_alu instid0(VALU_DEP_1)
	v_and_b32_e32 v12, 7, v20
; %bb.463:                              ;   in Loop: Header=BB317_265 Depth=1
	s_or_b32 exec_lo, exec_lo, s18
	s_delay_alu instid0(VALU_DEP_1) | instskip(SKIP_1) | instid1(VALU_DEP_2)
	v_dual_lshlrev_b32 v5, 16, v2 :: v_dual_lshlrev_b32 v12, 20, v12
	v_lshl_add_u32 v4, v4, 23, 0x3c000000
	v_and_b32_e32 v5, 0x80000000, v5
	s_delay_alu instid0(VALU_DEP_1)
	v_or3_b32 v20, v12, v5, v4
.LBB317_464:                            ;   in Loop: Header=BB317_265 Depth=1
	s_or_b32 exec_lo, exec_lo, s17
.LBB317_465:                            ;   in Loop: Header=BB317_265 Depth=1
	s_delay_alu instid0(SALU_CYCLE_1)
	s_or_b32 exec_lo, exec_lo, s16
.LBB317_466:                            ;   in Loop: Header=BB317_265 Depth=1
	s_delay_alu instid0(SALU_CYCLE_1) | instskip(SKIP_3) | instid1(VALU_DEP_2)
	s_or_b32 exec_lo, exec_lo, s15
	v_dual_mov_b32 v55, 0 :: v_dual_lshrrev_b32 v4, 16, v2
	v_mov_b32_e32 v21, 0
	s_mov_b32 s15, exec_lo
	v_and_b32_e32 v5, 0xff, v4
	s_delay_alu instid0(VALU_DEP_1)
	v_cmpx_ne_u16_e32 0, v5
	s_cbranch_execz .LBB317_474
; %bb.467:                              ;   in Loop: Header=BB317_265 Depth=1
	v_bfrev_b32_e32 v21, 1
	s_mov_b32 s16, exec_lo
	v_cmpx_ne_u16_e32 0x80, v5
	s_cbranch_execz .LBB317_473
; %bb.468:                              ;   in Loop: Header=BB317_265 Depth=1
	v_bfe_u32 v56, v2, 16, 7
	v_mov_b32_e32 v21, 0x7f800001
	s_mov_b32 s17, exec_lo
	s_delay_alu instid0(VALU_DEP_2)
	v_cmpx_ne_u32_e32 0x7f, v56
	s_cbranch_execz .LBB317_472
; %bb.469:                              ;   in Loop: Header=BB317_265 Depth=1
	v_and_b32_e32 v12, 7, v4
	v_lshrrev_b32_e32 v5, 3, v56
	s_mov_b32 s18, exec_lo
	v_cmpx_gt_u32_e32 8, v56
; %bb.470:                              ;   in Loop: Header=BB317_265 Depth=1
	s_delay_alu instid0(VALU_DEP_3) | instskip(NEXT) | instid1(VALU_DEP_1)
	v_clz_i32_u32_e32 v5, v12
	v_min_u32_e32 v5, 32, v5
	s_delay_alu instid0(VALU_DEP_1) | instskip(NEXT) | instid1(VALU_DEP_1)
	v_subrev_nc_u32_e32 v21, 28, v5
	v_lshlrev_b64_e32 v[56:57], v21, v[12:13]
	s_delay_alu instid0(VALU_DEP_1)
	v_dual_sub_nc_u32 v5, 29, v5 :: v_dual_bitop2_b32 v12, 7, v56 bitop3:0x40
; %bb.471:                              ;   in Loop: Header=BB317_265 Depth=1
	s_or_b32 exec_lo, exec_lo, s18
	v_lshlrev_b32_e32 v4, 24, v4
	s_delay_alu instid0(VALU_DEP_2) | instskip(NEXT) | instid1(VALU_DEP_3)
	v_lshlrev_b32_e32 v12, 20, v12
	v_lshl_add_u32 v5, v5, 23, 0x3c000000
	s_delay_alu instid0(VALU_DEP_3) | instskip(NEXT) | instid1(VALU_DEP_1)
	v_and_b32_e32 v4, 0x80000000, v4
	v_or3_b32 v21, v12, v4, v5
.LBB317_472:                            ;   in Loop: Header=BB317_265 Depth=1
	s_or_b32 exec_lo, exec_lo, s17
.LBB317_473:                            ;   in Loop: Header=BB317_265 Depth=1
	s_delay_alu instid0(SALU_CYCLE_1)
	s_or_b32 exec_lo, exec_lo, s16
.LBB317_474:                            ;   in Loop: Header=BB317_265 Depth=1
	s_delay_alu instid0(SALU_CYCLE_1) | instskip(NEXT) | instid1(SALU_CYCLE_1)
	s_or_b32 exec_lo, exec_lo, s15
	s_mov_b32 s15, exec_lo
	v_cmpx_lt_u32_e32 0xffffff, v2
	s_cbranch_execz .LBB317_482
; %bb.475:                              ;   in Loop: Header=BB317_265 Depth=1
	v_lshrrev_b32_e32 v4, 24, v2
	v_bfrev_b32_e32 v55, 1
	s_mov_b32 s16, exec_lo
	s_delay_alu instid0(VALU_DEP_2)
	v_cmpx_ne_u32_e32 0x80, v4
	s_cbranch_execz .LBB317_481
; %bb.476:                              ;   in Loop: Header=BB317_265 Depth=1
	v_bfe_u32 v56, v2, 24, 7
	v_mov_b32_e32 v55, 0x7f800001
	s_mov_b32 s17, exec_lo
	s_delay_alu instid0(VALU_DEP_2)
	v_cmpx_ne_u32_e32 0x7f, v56
	s_cbranch_execz .LBB317_480
; %bb.477:                              ;   in Loop: Header=BB317_265 Depth=1
	v_and_b32_e32 v12, 7, v4
	v_lshrrev_b32_e32 v5, 3, v56
	s_mov_b32 s18, exec_lo
	v_cmpx_gt_u32_e32 8, v56
; %bb.478:                              ;   in Loop: Header=BB317_265 Depth=1
	s_delay_alu instid0(VALU_DEP_3) | instskip(NEXT) | instid1(VALU_DEP_1)
	v_clz_i32_u32_e32 v5, v12
	v_min_u32_e32 v5, 32, v5
	s_delay_alu instid0(VALU_DEP_1) | instskip(NEXT) | instid1(VALU_DEP_1)
	v_subrev_nc_u32_e32 v55, 28, v5
	v_lshlrev_b64_e32 v[56:57], v55, v[12:13]
	s_delay_alu instid0(VALU_DEP_1)
	v_dual_sub_nc_u32 v5, 29, v5 :: v_dual_bitop2_b32 v12, 7, v56 bitop3:0x40
; %bb.479:                              ;   in Loop: Header=BB317_265 Depth=1
	s_or_b32 exec_lo, exec_lo, s18
	v_lshlrev_b32_e32 v4, 24, v4
	s_delay_alu instid0(VALU_DEP_2) | instskip(NEXT) | instid1(VALU_DEP_3)
	v_lshlrev_b32_e32 v12, 20, v12
	v_lshl_add_u32 v5, v5, 23, 0x3c000000
	s_delay_alu instid0(VALU_DEP_3) | instskip(NEXT) | instid1(VALU_DEP_1)
	v_and_b32_e32 v4, 0x80000000, v4
	v_or3_b32 v55, v12, v4, v5
.LBB317_480:                            ;   in Loop: Header=BB317_265 Depth=1
	s_or_b32 exec_lo, exec_lo, s17
.LBB317_481:                            ;   in Loop: Header=BB317_265 Depth=1
	s_delay_alu instid0(SALU_CYCLE_1)
	s_or_b32 exec_lo, exec_lo, s16
.LBB317_482:                            ;   in Loop: Header=BB317_265 Depth=1
	s_delay_alu instid0(SALU_CYCLE_1) | instskip(SKIP_4) | instid1(VALU_DEP_3)
	s_or_b32 exec_lo, exec_lo, s15
	v_and_b32_e32 v5, 0xff, v3
	v_dual_mov_b32 v12, v3 :: v_dual_mov_b32 v4, 0
	v_mov_b32_e32 v56, 0
	s_mov_b32 s15, exec_lo
	v_cmpx_ne_u16_e32 0, v5
	s_cbranch_execz .LBB317_488
; %bb.483:                              ;   in Loop: Header=BB317_265 Depth=1
	v_bfrev_b32_e32 v56, 1
	s_mov_b32 s16, exec_lo
	v_cmpx_ne_u16_e32 0x80, v5
	s_cbranch_execz .LBB317_487
; %bb.484:                              ;   in Loop: Header=BB317_265 Depth=1
	v_and_b32_e32 v5, 0x7f, v3
	v_mov_b32_e32 v56, 0x7f800001
	s_mov_b32 s17, exec_lo
	s_delay_alu instid0(VALU_DEP_2)
	v_cmpx_ne_u32_e32 0x7f, v5
	s_cbranch_execz .LBB317_486
; %bb.485:                              ;   in Loop: Header=BB317_265 Depth=1
	v_dual_lshrrev_b32 v57, 3, v5 :: v_dual_bitop2_b32 v56, 7, v3 bitop3:0x40
	v_cmp_gt_u32_e64 s1, 8, v5
	s_delay_alu instid0(VALU_DEP_2) | instskip(NEXT) | instid1(VALU_DEP_1)
	v_clz_i32_u32_e32 v56, v56
	v_min_u32_e32 v56, 32, v56
	s_delay_alu instid0(VALU_DEP_1) | instskip(SKIP_1) | instid1(VALU_DEP_1)
	v_subrev_nc_u32_e32 v58, 28, v56
	v_sub_nc_u32_e32 v56, 29, v56
	v_dual_cndmask_b32 v5, v57, v56, s1 :: v_dual_cndmask_b32 v56, 0, v58, s1
	s_delay_alu instid0(VALU_DEP_1) | instskip(NEXT) | instid1(VALU_DEP_2)
	v_lshl_add_u32 v5, v5, 23, 0x3c000000
	v_lshlrev_b64_e32 v[56:57], v56, v[12:13]
	v_lshlrev_b32_e32 v57, 24, v12
	s_delay_alu instid0(VALU_DEP_1) | instskip(NEXT) | instid1(VALU_DEP_3)
	v_and_b32_e32 v57, 0x80000000, v57
	v_lshlrev_b32_e32 v56, 20, v56
	s_delay_alu instid0(VALU_DEP_1) | instskip(NEXT) | instid1(VALU_DEP_1)
	v_and_b32_e32 v56, 0x700000, v56
	v_or3_b32 v56, v56, v57, v5
.LBB317_486:                            ;   in Loop: Header=BB317_265 Depth=1
	s_or_b32 exec_lo, exec_lo, s17
.LBB317_487:                            ;   in Loop: Header=BB317_265 Depth=1
	s_delay_alu instid0(SALU_CYCLE_1)
	s_or_b32 exec_lo, exec_lo, s16
.LBB317_488:                            ;   in Loop: Header=BB317_265 Depth=1
	s_delay_alu instid0(SALU_CYCLE_1) | instskip(SKIP_2) | instid1(VALU_DEP_1)
	s_or_b32 exec_lo, exec_lo, s15
	v_lshrrev_b16 v5, 8, v12
	s_mov_b32 s15, exec_lo
	v_cmpx_ne_u16_e32 0, v5
	s_cbranch_execz .LBB317_496
; %bb.489:                              ;   in Loop: Header=BB317_265 Depth=1
	v_bfrev_b32_e32 v4, 1
	s_mov_b32 s16, exec_lo
	v_cmpx_ne_u16_e32 0x80, v5
	s_cbranch_execz .LBB317_495
; %bb.490:                              ;   in Loop: Header=BB317_265 Depth=1
	v_and_b32_e32 v5, 0xffff, v5
	v_mov_b32_e32 v4, 0x7f800001
	s_mov_b32 s17, exec_lo
	s_delay_alu instid0(VALU_DEP_2) | instskip(NEXT) | instid1(VALU_DEP_1)
	v_and_b32_e32 v58, 0x7f, v5
	v_cmpx_ne_u32_e32 0x7f, v58
	s_cbranch_execz .LBB317_494
; %bb.491:                              ;   in Loop: Header=BB317_265 Depth=1
	v_dual_mov_b32 v5, v13 :: v_dual_bitop2_b32 v4, 7, v5 bitop3:0x40
	v_lshrrev_b32_e32 v57, 3, v58
	s_mov_b32 s18, exec_lo
	v_cmpx_gt_u32_e32 8, v58
; %bb.492:                              ;   in Loop: Header=BB317_265 Depth=1
	s_delay_alu instid0(VALU_DEP_3) | instskip(NEXT) | instid1(VALU_DEP_1)
	v_clz_i32_u32_e32 v57, v4
	v_min_u32_e32 v57, 32, v57
	s_delay_alu instid0(VALU_DEP_1) | instskip(NEXT) | instid1(VALU_DEP_1)
	v_subrev_nc_u32_e32 v58, 28, v57
	v_lshlrev_b64_e32 v[4:5], v58, v[4:5]
	s_delay_alu instid0(VALU_DEP_1)
	v_dual_sub_nc_u32 v57, 29, v57 :: v_dual_bitop2_b32 v4, 7, v4 bitop3:0x40
; %bb.493:                              ;   in Loop: Header=BB317_265 Depth=1
	s_or_b32 exec_lo, exec_lo, s18
	v_lshlrev_b32_e32 v5, 16, v12
	s_delay_alu instid0(VALU_DEP_2) | instskip(NEXT) | instid1(VALU_DEP_3)
	v_lshlrev_b32_e32 v4, 20, v4
	v_lshl_add_u32 v12, v57, 23, 0x3c000000
	s_delay_alu instid0(VALU_DEP_3) | instskip(NEXT) | instid1(VALU_DEP_1)
	v_and_b32_e32 v5, 0x80000000, v5
	v_or3_b32 v4, v4, v5, v12
.LBB317_494:                            ;   in Loop: Header=BB317_265 Depth=1
	s_or_b32 exec_lo, exec_lo, s17
.LBB317_495:                            ;   in Loop: Header=BB317_265 Depth=1
	s_delay_alu instid0(SALU_CYCLE_1)
	s_or_b32 exec_lo, exec_lo, s16
.LBB317_496:                            ;   in Loop: Header=BB317_265 Depth=1
	s_delay_alu instid0(SALU_CYCLE_1) | instskip(SKIP_3) | instid1(VALU_DEP_2)
	s_or_b32 exec_lo, exec_lo, s15
	v_dual_mov_b32 v5, 0 :: v_dual_lshrrev_b32 v58, 16, v3
	v_mov_b32_e32 v57, 0
	s_mov_b32 s15, exec_lo
	v_and_b32_e32 v12, 0xff, v58
	s_delay_alu instid0(VALU_DEP_1)
	v_cmpx_ne_u16_e32 0, v12
	s_cbranch_execz .LBB317_504
; %bb.497:                              ;   in Loop: Header=BB317_265 Depth=1
	v_bfrev_b32_e32 v57, 1
	s_mov_b32 s16, exec_lo
	v_cmpx_ne_u16_e32 0x80, v12
	s_cbranch_execz .LBB317_503
; %bb.498:                              ;   in Loop: Header=BB317_265 Depth=1
	v_bfe_u32 v59, v3, 16, 7
	v_mov_b32_e32 v57, 0x7f800001
	s_mov_b32 s17, exec_lo
	s_delay_alu instid0(VALU_DEP_2)
	v_cmpx_ne_u32_e32 0x7f, v59
	s_cbranch_execz .LBB317_502
; %bb.499:                              ;   in Loop: Header=BB317_265 Depth=1
	v_dual_lshrrev_b32 v57, 3, v59 :: v_dual_bitop2_b32 v12, 7, v58 bitop3:0x40
	s_mov_b32 s18, exec_lo
	v_cmpx_gt_u32_e32 8, v59
; %bb.500:                              ;   in Loop: Header=BB317_265 Depth=1
	s_delay_alu instid0(VALU_DEP_2) | instskip(NEXT) | instid1(VALU_DEP_1)
	v_clz_i32_u32_e32 v57, v12
	v_min_u32_e32 v57, 32, v57
	s_delay_alu instid0(VALU_DEP_1) | instskip(NEXT) | instid1(VALU_DEP_1)
	v_subrev_nc_u32_e32 v59, 28, v57
	v_lshlrev_b64_e32 v[60:61], v59, v[12:13]
	s_delay_alu instid0(VALU_DEP_1)
	v_dual_sub_nc_u32 v57, 29, v57 :: v_dual_bitop2_b32 v12, 7, v60 bitop3:0x40
; %bb.501:                              ;   in Loop: Header=BB317_265 Depth=1
	s_or_b32 exec_lo, exec_lo, s18
	s_delay_alu instid0(VALU_DEP_1) | instskip(NEXT) | instid1(VALU_DEP_2)
	v_dual_lshlrev_b32 v58, 24, v58 :: v_dual_lshlrev_b32 v12, 20, v12
	v_lshl_add_u32 v57, v57, 23, 0x3c000000
	s_delay_alu instid0(VALU_DEP_2) | instskip(NEXT) | instid1(VALU_DEP_1)
	v_and_b32_e32 v58, 0x80000000, v58
	v_or3_b32 v57, v12, v58, v57
.LBB317_502:                            ;   in Loop: Header=BB317_265 Depth=1
	s_or_b32 exec_lo, exec_lo, s17
.LBB317_503:                            ;   in Loop: Header=BB317_265 Depth=1
	s_delay_alu instid0(SALU_CYCLE_1)
	s_or_b32 exec_lo, exec_lo, s16
.LBB317_504:                            ;   in Loop: Header=BB317_265 Depth=1
	s_delay_alu instid0(SALU_CYCLE_1) | instskip(NEXT) | instid1(SALU_CYCLE_1)
	s_or_b32 exec_lo, exec_lo, s15
	s_mov_b32 s15, exec_lo
	v_cmpx_lt_u64_e64 s[2:3], v[2:3]
	s_cbranch_execz .LBB317_512
; %bb.505:                              ;   in Loop: Header=BB317_265 Depth=1
	v_lshrrev_b32_e32 v2, 24, v3
	v_bfrev_b32_e32 v5, 1
	s_mov_b32 s16, exec_lo
	s_delay_alu instid0(VALU_DEP_2)
	v_cmpx_ne_u32_e32 0x80, v2
	s_cbranch_execz .LBB317_511
; %bb.506:                              ;   in Loop: Header=BB317_265 Depth=1
	v_bfe_u32 v58, v3, 24, 7
	v_mov_b32_e32 v5, 0x7f800001
	s_mov_b32 s17, exec_lo
	s_delay_alu instid0(VALU_DEP_2)
	v_cmpx_ne_u32_e32 0x7f, v58
	s_cbranch_execz .LBB317_510
; %bb.507:                              ;   in Loop: Header=BB317_265 Depth=1
	v_and_b32_e32 v12, 7, v2
	v_lshrrev_b32_e32 v3, 3, v58
	s_mov_b32 s18, exec_lo
	v_cmpx_gt_u32_e32 8, v58
; %bb.508:                              ;   in Loop: Header=BB317_265 Depth=1
	s_delay_alu instid0(VALU_DEP_3) | instskip(NEXT) | instid1(VALU_DEP_1)
	v_clz_i32_u32_e32 v3, v12
	v_min_u32_e32 v3, 32, v3
	s_delay_alu instid0(VALU_DEP_1) | instskip(NEXT) | instid1(VALU_DEP_1)
	v_subrev_nc_u32_e32 v5, 28, v3
	v_lshlrev_b64_e32 v[58:59], v5, v[12:13]
	s_delay_alu instid0(VALU_DEP_1)
	v_dual_sub_nc_u32 v3, 29, v3 :: v_dual_bitop2_b32 v12, 7, v58 bitop3:0x40
; %bb.509:                              ;   in Loop: Header=BB317_265 Depth=1
	s_or_b32 exec_lo, exec_lo, s18
	s_delay_alu instid0(VALU_DEP_1) | instskip(NEXT) | instid1(VALU_DEP_2)
	v_dual_lshlrev_b32 v2, 24, v2 :: v_dual_lshlrev_b32 v5, 20, v12
	v_lshl_add_u32 v3, v3, 23, 0x3c000000
	s_delay_alu instid0(VALU_DEP_2) | instskip(NEXT) | instid1(VALU_DEP_1)
	v_and_b32_e32 v2, 0x80000000, v2
	v_or3_b32 v5, v5, v2, v3
.LBB317_510:                            ;   in Loop: Header=BB317_265 Depth=1
	s_or_b32 exec_lo, exec_lo, s17
.LBB317_511:                            ;   in Loop: Header=BB317_265 Depth=1
	s_delay_alu instid0(SALU_CYCLE_1)
	s_or_b32 exec_lo, exec_lo, s16
.LBB317_512:                            ;   in Loop: Header=BB317_265 Depth=1
	s_delay_alu instid0(SALU_CYCLE_1)
	s_or_b32 exec_lo, exec_lo, s15
	v_fma_mixlo_bf16 v2, s25, v4, 0
	v_fma_mixlo_bf16 v3, s25, v56, 0
	;; [unrolled: 1-line block ×8, first 2 shown]
	s_and_saveexec_b32 s1, s0
	s_cbranch_execz .LBB317_263
; %bb.513:                              ;   in Loop: Header=BB317_265 Depth=1
	v_dual_add_nc_u32 v55, -6, v32 :: v_dual_add_nc_u32 v56, -5, v32
	v_cmp_gt_i32_e64 s0, s23, v43
	s_delay_alu instid0(VALU_DEP_1) | instskip(NEXT) | instid1(VALU_DEP_3)
	v_cndmask_b32_e64 v9, 0, v9, s0
	v_cmp_gt_i32_e64 s0, s23, v55
	v_add_nc_u32_e32 v55, -3, v32
	s_delay_alu instid0(VALU_DEP_2) | instskip(SKIP_2) | instid1(VALU_DEP_2)
	v_cndmask_b32_e64 v20, 0, v20, s0
	v_cmp_gt_i32_e64 s0, s23, v56
	v_dual_add_nc_u32 v43, -4, v32 :: v_dual_add_nc_u32 v56, -2, v32
	v_cndmask_b32_e64 v21, 0, v21, s0
	s_delay_alu instid0(VALU_DEP_2) | instskip(NEXT) | instid1(VALU_DEP_1)
	v_cmp_gt_i32_e64 s0, s23, v43
	v_cndmask_b32_e64 v12, 0, v12, s0
	v_cmp_gt_i32_e64 s0, s23, v55
	s_delay_alu instid0(VALU_DEP_1) | instskip(SKIP_1) | instid1(VALU_DEP_1)
	v_cndmask_b32_e64 v3, 0, v3, s0
	v_cmp_gt_i32_e64 s0, s23, v56
	v_dual_add_nc_u32 v43, -1, v32 :: v_dual_cndmask_b32 v2, 0, v2, s0
	s_delay_alu instid0(VALU_DEP_1) | instskip(NEXT) | instid1(VALU_DEP_1)
	v_cmp_gt_i32_e64 s0, s23, v43
	v_cndmask_b32_e64 v4, 0, v4, s0
	v_cmp_gt_i32_e64 s0, s23, v32
	s_delay_alu instid0(VALU_DEP_1)
	v_cndmask_b32_e64 v5, 0, v5, s0
	s_branch .LBB317_263
.LBB317_514:
	s_or_b32 exec_lo, exec_lo, s10
.LBB317_515:
	s_delay_alu instid0(SALU_CYCLE_1)
	s_or_b32 exec_lo, exec_lo, s24
	s_movk_i32 s0, 0x1c0
	v_and_b32_e32 v2, 0x3c0, v0
	v_mad_u32_u24 v6, v1, s0, 0x100
	v_or_b32_e32 v1, 0x60, v0
	s_mov_b32 s0, exec_lo
	s_barrier_signal -1
	s_barrier_wait -1
	v_cmpx_eq_u32_e32 64, v2
	s_cbranch_execz .LBB317_518
; %bb.516:
	v_add_nc_u32_e32 v2, 0xfffffc80, v6
	v_cmp_gt_u32_e32 vcc_lo, 0x70, v1
	s_delay_alu instid0(VALU_DEP_2)
	v_lshl_add_u32 v3, v28, 2, v2
	ds_store_2addr_b32 v3, v10, v11 offset1:32
	ds_store_b32 v3, v31 offset:256
	s_and_b32 exec_lo, exec_lo, vcc_lo
; %bb.517:
	v_lshl_add_u32 v2, v1, 2, v2
	ds_store_b32 v2, v30
.LBB317_518:
	s_or_b32 exec_lo, exec_lo, s0
	v_lshl_add_u32 v7, v28, 2, v6
	s_mov_b32 s0, exec_lo
	s_wait_dscnt 0x0
	s_barrier_signal -1
	s_barrier_wait -1
	v_cmpx_gt_u32_e32 64, v0
	s_cbranch_execz .LBB317_522
; %bb.519:
	v_lshl_or_b32 v4, v0, 2, 0x80
	ds_load_2addr_stride64_b32 v[2:3], v7 offset1:1
	s_mov_b32 s1, exec_lo
	v_add_nc_u32_e32 v4, v6, v4
	ds_load_b32 v5, v4
	s_wait_dscnt 0x1
	v_mov_b32_e32 v4, v2
	v_cmpx_gt_u32_e32 0x70, v1
	s_cbranch_execz .LBB317_521
; %bb.520:
	v_lshl_add_u32 v2, v1, 2, v6
	ds_load_b32 v2, v2
	s_wait_dscnt 0x0
	v_add_f32_e32 v30, v30, v2
.LBB317_521:
	s_or_b32 exec_lo, exec_lo, s1
	s_wait_dscnt 0x0
	v_pk_add_f32 v[10:11], v[10:11], v[4:5]
	v_add_f32_e32 v31, v31, v3
.LBB317_522:
	s_or_b32 exec_lo, exec_lo, s0
	v_and_b32_e32 v2, 0x3e0, v0
	s_mov_b32 s0, exec_lo
	s_barrier_signal -1
	s_barrier_wait -1
	s_delay_alu instid0(VALU_DEP_1)
	v_cmpx_eq_u32_e32 32, v2
	s_cbranch_execz .LBB317_525
; %bb.523:
	v_lshl_add_u32 v2, v28, 2, 0x100
	v_cmp_gt_u32_e32 vcc_lo, 0x70, v1
	ds_store_b32 v2, v10
	ds_store_b32 v29, v11
	ds_store_b32 v2, v31 offset:256
	s_and_b32 exec_lo, exec_lo, vcc_lo
; %bb.524:
	v_lshl_add_u32 v2, v1, 2, 0x100
	ds_store_b32 v2, v30
.LBB317_525:
	s_or_b32 exec_lo, exec_lo, s0
	v_cmp_gt_u32_e32 vcc_lo, 32, v0
	s_wait_dscnt 0x0
	s_barrier_signal -1
	s_barrier_wait -1
	s_and_saveexec_b32 s1, vcc_lo
	s_cbranch_execz .LBB317_529
; %bb.526:
	v_lshl_add_u32 v6, v0, 2, v6
	s_mov_b32 s2, exec_lo
	ds_load_2addr_b32 v[2:3], v6 offset0:32 offset1:64
	ds_load_b32 v4, v7
	s_wait_dscnt 0x1
	v_mov_b32_e32 v5, v2
	v_cmpx_gt_u32_e32 0x70, v1
	s_cbranch_execz .LBB317_528
; %bb.527:
	ds_load_b32 v2, v6 offset:384
	s_wait_dscnt 0x0
	v_add_f32_e32 v30, v30, v2
.LBB317_528:
	s_or_b32 exec_lo, exec_lo, s2
	s_wait_dscnt 0x0
	v_pk_add_f32 v[10:11], v[10:11], v[4:5]
	v_add_f32_e32 v31, v31, v3
.LBB317_529:
	s_or_b32 exec_lo, exec_lo, s1
	s_barrier_signal -1
	s_barrier_wait -1
	s_and_saveexec_b32 s0, vcc_lo
	s_cbranch_execz .LBB317_532
; %bb.530:
	s_mul_i32 s1, s22, s8
	s_bfe_u32 s7, ttmp6, 0x40014
	s_mul_i32 s1, s1, s21
	s_mul_i32 s0, s8, s12
	;; [unrolled: 1-line block ×3, first 2 shown]
	s_lshr_b32 s6, ttmp7, 16
	s_ashr_i32 s3, s2, 31
	s_add_co_i32 s7, s7, 1
	s_lshl_b64 s[2:3], s[2:3], 1
	s_ashr_i32 s1, s0, 31
	s_wait_kmcnt 0x0
	s_add_nc_u64 s[2:3], s[4:5], s[2:3]
	s_mul_i32 s4, s6, s7
	s_bfe_u32 s5, ttmp6, 0x40008
	s_lshl_b64 s[0:1], s[0:1], 1
	s_add_co_i32 s5, s5, s4
	s_cmp_eq_u32 s20, 0
	s_add_nc_u64 s[0:1], s[2:3], s[0:1]
	s_cselect_b32 s2, s6, s5
	s_mov_b32 s3, 0
	s_mulk_i32 s2, 0xe0
	v_cmp_gt_u32_e32 vcc_lo, 0x70, v1
	s_add_nc_u64 s[0:1], s[0:1], s[2:3]
	s_delay_alu instid0(SALU_CYCLE_1)
	v_cvt_pk_bf16_f32 v2, v10, s0
	v_cvt_pk_bf16_f32 v3, v11, s0
	v_cvt_pk_bf16_f32 v4, v31, s0
	s_clause 0x2
	global_store_b16 v0, v2, s[0:1] scale_offset
	global_store_b16 v0, v3, s[0:1] offset:64 scale_offset
	global_store_b16 v0, v4, s[0:1] offset:128 scale_offset
	s_wait_xcnt 0x0
	s_and_b32 exec_lo, exec_lo, vcc_lo
	s_cbranch_execz .LBB317_532
; %bb.531:
	v_dual_mov_b32 v1, 0 :: v_dual_lshlrev_b32 v0, 1, v0
	v_cvt_pk_bf16_f32 v2, v30, s0
	s_delay_alu instid0(VALU_DEP_2)
	v_add_nc_u64_e32 v[0:1], s[0:1], v[0:1]
	global_store_b16 v[0:1], v2, off offset:192
.LBB317_532:
	s_sendmsg sendmsg(MSG_DEALLOC_VGPRS)
	s_endpgm
	.section	.rodata,"a",@progbits
	.p2align	6, 0x0
	.amdhsa_kernel _ZN4vllm25paged_attention_v1_kernelI14__hip_bfloat16hLi112ELi8ELi128ELNS_18Fp8KVCacheDataTypeE1ELb0EEEvPT_PKS3_PKT0_S9_ifPKiSB_iPKfiiiSD_SD_iiiii
		.amdhsa_group_segment_fixed_size 256
		.amdhsa_private_segment_fixed_size 0
		.amdhsa_kernarg_size 384
		.amdhsa_user_sgpr_count 2
		.amdhsa_user_sgpr_dispatch_ptr 0
		.amdhsa_user_sgpr_queue_ptr 0
		.amdhsa_user_sgpr_kernarg_segment_ptr 1
		.amdhsa_user_sgpr_dispatch_id 0
		.amdhsa_user_sgpr_kernarg_preload_length 0
		.amdhsa_user_sgpr_kernarg_preload_offset 0
		.amdhsa_user_sgpr_private_segment_size 0
		.amdhsa_wavefront_size32 1
		.amdhsa_uses_dynamic_stack 0
		.amdhsa_enable_private_segment 0
		.amdhsa_system_sgpr_workgroup_id_x 1
		.amdhsa_system_sgpr_workgroup_id_y 1
		.amdhsa_system_sgpr_workgroup_id_z 1
		.amdhsa_system_sgpr_workgroup_info 0
		.amdhsa_system_vgpr_workitem_id 0
		.amdhsa_next_free_vgpr 76
		.amdhsa_next_free_sgpr 31
		.amdhsa_named_barrier_count 0
		.amdhsa_reserve_vcc 1
		.amdhsa_float_round_mode_32 0
		.amdhsa_float_round_mode_16_64 0
		.amdhsa_float_denorm_mode_32 3
		.amdhsa_float_denorm_mode_16_64 3
		.amdhsa_fp16_overflow 0
		.amdhsa_memory_ordered 1
		.amdhsa_forward_progress 1
		.amdhsa_inst_pref_size 156
		.amdhsa_round_robin_scheduling 0
		.amdhsa_exception_fp_ieee_invalid_op 0
		.amdhsa_exception_fp_denorm_src 0
		.amdhsa_exception_fp_ieee_div_zero 0
		.amdhsa_exception_fp_ieee_overflow 0
		.amdhsa_exception_fp_ieee_underflow 0
		.amdhsa_exception_fp_ieee_inexact 0
		.amdhsa_exception_int_div_zero 0
	.end_amdhsa_kernel
	.section	.text._ZN4vllm25paged_attention_v1_kernelI14__hip_bfloat16hLi112ELi8ELi128ELNS_18Fp8KVCacheDataTypeE1ELb0EEEvPT_PKS3_PKT0_S9_ifPKiSB_iPKfiiiSD_SD_iiiii,"axG",@progbits,_ZN4vllm25paged_attention_v1_kernelI14__hip_bfloat16hLi112ELi8ELi128ELNS_18Fp8KVCacheDataTypeE1ELb0EEEvPT_PKS3_PKT0_S9_ifPKiSB_iPKfiiiSD_SD_iiiii,comdat
.Lfunc_end317:
	.size	_ZN4vllm25paged_attention_v1_kernelI14__hip_bfloat16hLi112ELi8ELi128ELNS_18Fp8KVCacheDataTypeE1ELb0EEEvPT_PKS3_PKT0_S9_ifPKiSB_iPKfiiiSD_SD_iiiii, .Lfunc_end317-_ZN4vllm25paged_attention_v1_kernelI14__hip_bfloat16hLi112ELi8ELi128ELNS_18Fp8KVCacheDataTypeE1ELb0EEEvPT_PKS3_PKT0_S9_ifPKiSB_iPKfiiiSD_SD_iiiii
                                        ; -- End function
	.set _ZN4vllm25paged_attention_v1_kernelI14__hip_bfloat16hLi112ELi8ELi128ELNS_18Fp8KVCacheDataTypeE1ELb0EEEvPT_PKS3_PKT0_S9_ifPKiSB_iPKfiiiSD_SD_iiiii.num_vgpr, 76
	.set _ZN4vllm25paged_attention_v1_kernelI14__hip_bfloat16hLi112ELi8ELi128ELNS_18Fp8KVCacheDataTypeE1ELb0EEEvPT_PKS3_PKT0_S9_ifPKiSB_iPKfiiiSD_SD_iiiii.num_agpr, 0
	.set _ZN4vllm25paged_attention_v1_kernelI14__hip_bfloat16hLi112ELi8ELi128ELNS_18Fp8KVCacheDataTypeE1ELb0EEEvPT_PKS3_PKT0_S9_ifPKiSB_iPKfiiiSD_SD_iiiii.numbered_sgpr, 31
	.set _ZN4vllm25paged_attention_v1_kernelI14__hip_bfloat16hLi112ELi8ELi128ELNS_18Fp8KVCacheDataTypeE1ELb0EEEvPT_PKS3_PKT0_S9_ifPKiSB_iPKfiiiSD_SD_iiiii.num_named_barrier, 0
	.set _ZN4vllm25paged_attention_v1_kernelI14__hip_bfloat16hLi112ELi8ELi128ELNS_18Fp8KVCacheDataTypeE1ELb0EEEvPT_PKS3_PKT0_S9_ifPKiSB_iPKfiiiSD_SD_iiiii.private_seg_size, 0
	.set _ZN4vllm25paged_attention_v1_kernelI14__hip_bfloat16hLi112ELi8ELi128ELNS_18Fp8KVCacheDataTypeE1ELb0EEEvPT_PKS3_PKT0_S9_ifPKiSB_iPKfiiiSD_SD_iiiii.uses_vcc, 1
	.set _ZN4vllm25paged_attention_v1_kernelI14__hip_bfloat16hLi112ELi8ELi128ELNS_18Fp8KVCacheDataTypeE1ELb0EEEvPT_PKS3_PKT0_S9_ifPKiSB_iPKfiiiSD_SD_iiiii.uses_flat_scratch, 0
	.set _ZN4vllm25paged_attention_v1_kernelI14__hip_bfloat16hLi112ELi8ELi128ELNS_18Fp8KVCacheDataTypeE1ELb0EEEvPT_PKS3_PKT0_S9_ifPKiSB_iPKfiiiSD_SD_iiiii.has_dyn_sized_stack, 0
	.set _ZN4vllm25paged_attention_v1_kernelI14__hip_bfloat16hLi112ELi8ELi128ELNS_18Fp8KVCacheDataTypeE1ELb0EEEvPT_PKS3_PKT0_S9_ifPKiSB_iPKfiiiSD_SD_iiiii.has_recursion, 0
	.set _ZN4vllm25paged_attention_v1_kernelI14__hip_bfloat16hLi112ELi8ELi128ELNS_18Fp8KVCacheDataTypeE1ELb0EEEvPT_PKS3_PKT0_S9_ifPKiSB_iPKfiiiSD_SD_iiiii.has_indirect_call, 0
	.section	.AMDGPU.csdata,"",@progbits
; Kernel info:
; codeLenInByte = 19880
; TotalNumSgprs: 33
; NumVgprs: 76
; ScratchSize: 0
; MemoryBound: 0
; FloatMode: 240
; IeeeMode: 1
; LDSByteSize: 256 bytes/workgroup (compile time only)
; SGPRBlocks: 0
; VGPRBlocks: 4
; NumSGPRsForWavesPerEU: 33
; NumVGPRsForWavesPerEU: 76
; NamedBarCnt: 0
; Occupancy: 12
; WaveLimiterHint : 1
; COMPUTE_PGM_RSRC2:SCRATCH_EN: 0
; COMPUTE_PGM_RSRC2:USER_SGPR: 2
; COMPUTE_PGM_RSRC2:TRAP_HANDLER: 0
; COMPUTE_PGM_RSRC2:TGID_X_EN: 1
; COMPUTE_PGM_RSRC2:TGID_Y_EN: 1
; COMPUTE_PGM_RSRC2:TGID_Z_EN: 1
; COMPUTE_PGM_RSRC2:TIDIG_COMP_CNT: 0
	.section	.text._ZN4vllm25paged_attention_v1_kernelI14__hip_bfloat16hLi120ELi8ELi128ELNS_18Fp8KVCacheDataTypeE1ELb0EEEvPT_PKS3_PKT0_S9_ifPKiSB_iPKfiiiSD_SD_iiiii,"axG",@progbits,_ZN4vllm25paged_attention_v1_kernelI14__hip_bfloat16hLi120ELi8ELi128ELNS_18Fp8KVCacheDataTypeE1ELb0EEEvPT_PKS3_PKT0_S9_ifPKiSB_iPKfiiiSD_SD_iiiii,comdat
	.protected	_ZN4vllm25paged_attention_v1_kernelI14__hip_bfloat16hLi120ELi8ELi128ELNS_18Fp8KVCacheDataTypeE1ELb0EEEvPT_PKS3_PKT0_S9_ifPKiSB_iPKfiiiSD_SD_iiiii ; -- Begin function _ZN4vllm25paged_attention_v1_kernelI14__hip_bfloat16hLi120ELi8ELi128ELNS_18Fp8KVCacheDataTypeE1ELb0EEEvPT_PKS3_PKT0_S9_ifPKiSB_iPKfiiiSD_SD_iiiii
	.globl	_ZN4vllm25paged_attention_v1_kernelI14__hip_bfloat16hLi120ELi8ELi128ELNS_18Fp8KVCacheDataTypeE1ELb0EEEvPT_PKS3_PKT0_S9_ifPKiSB_iPKfiiiSD_SD_iiiii
	.p2align	8
	.type	_ZN4vllm25paged_attention_v1_kernelI14__hip_bfloat16hLi120ELi8ELi128ELNS_18Fp8KVCacheDataTypeE1ELb0EEEvPT_PKS3_PKT0_S9_ifPKiSB_iPKfiiiSD_SD_iiiii,@function
_ZN4vllm25paged_attention_v1_kernelI14__hip_bfloat16hLi120ELi8ELi128ELNS_18Fp8KVCacheDataTypeE1ELb0EEEvPT_PKS3_PKT0_S9_ifPKiSB_iPKfiiiSD_SD_iiiii: ; @_ZN4vllm25paged_attention_v1_kernelI14__hip_bfloat16hLi120ELi8ELi128ELNS_18Fp8KVCacheDataTypeE1ELb0EEEvPT_PKS3_PKT0_S9_ifPKiSB_iPKfiiiSD_SD_iiiii
; %bb.0:
	s_load_b64 s[18:19], s[0:1], 0x20
	s_bfe_u32 s3, ttmp6, 0x4000c
	s_bfe_u32 s5, ttmp6, 0x40010
	s_and_b32 s4, ttmp7, 0xffff
	s_add_co_i32 s3, s3, 1
	s_add_co_i32 s5, s5, 1
	s_and_b32 s2, ttmp6, 15
	s_bfe_u32 s6, ttmp6, 0x40004
	s_mul_i32 s3, ttmp9, s3
	s_mul_i32 s5, s4, s5
	s_getreg_b32 s20, hwreg(HW_REG_IB_STS2, 6, 4)
	s_add_co_i32 s2, s2, s3
	s_add_co_i32 s3, s6, s5
	s_cmp_eq_u32 s20, 0
	s_clause 0x1
	s_load_b32 s21, s[0:1], 0x80
	s_load_b64 s[6:7], s[0:1], 0x30
	s_cselect_b32 s22, s4, s3
	s_cselect_b32 s4, ttmp9, s2
	s_wait_kmcnt 0x0
	s_abs_i32 s2, s18
	s_delay_alu instid0(SALU_CYCLE_1) | instskip(SKIP_1) | instid1(SALU_CYCLE_2)
	s_cvt_f32_u32 s3, s2
	s_sub_co_i32 s5, 0, s2
	v_rcp_iflag_f32_e32 v1, s3
	s_abs_i32 s8, s21
	v_nop
	s_delay_alu instid0(TRANS32_DEP_1) | instskip(SKIP_1) | instid1(SALU_CYCLE_3)
	v_readfirstlane_b32 s3, v1
	s_mul_f32 s3, s3, 0x4f7ffffe
	s_cvt_u32_f32 s3, s3
	s_delay_alu instid0(SALU_CYCLE_3) | instskip(NEXT) | instid1(SALU_CYCLE_1)
	s_mul_i32 s5, s5, s3
	s_mul_hi_u32 s5, s3, s5
	s_delay_alu instid0(SALU_CYCLE_1) | instskip(SKIP_4) | instid1(SALU_CYCLE_1)
	s_add_co_i32 s3, s3, s5
	s_xor_b32 s5, s21, s18
	s_mul_hi_u32 s3, s8, s3
	s_ashr_i32 s5, s5, 31
	s_mul_i32 s9, s3, s2
	s_sub_co_i32 s8, s8, s9
	s_add_co_i32 s9, s3, 1
	s_sub_co_i32 s10, s8, s2
	s_cmp_ge_u32 s8, s2
	s_cselect_b32 s3, s9, s3
	s_cselect_b32 s8, s10, s8
	s_add_co_i32 s9, s3, 1
	s_cmp_ge_u32 s8, s2
	s_cselect_b32 s2, s9, s3
	s_load_b64 s[8:9], s[0:1], 0x40
	s_xor_b32 s2, s2, s5
	s_mov_b32 s3, 0
	s_sub_co_i32 s14, s2, s5
	s_mov_b32 s13, s3
	s_abs_i32 s11, s14
	s_mov_b32 s18, s3
	s_cvt_f32_u32 s2, s11
	s_delay_alu instid0(SALU_CYCLE_3) | instskip(SKIP_1) | instid1(TRANS32_DEP_1)
	v_rcp_iflag_f32_e32 v1, s2
	v_nop
	v_readfirstlane_b32 s2, v1
	s_mul_f32 s2, s2, 0x4f7ffffe
	s_delay_alu instid0(SALU_CYCLE_3) | instskip(SKIP_1) | instid1(SALU_CYCLE_2)
	s_cvt_u32_f32 s5, s2
	s_sub_co_i32 s2, 0, s11
	s_mul_i32 s2, s2, s5
	s_delay_alu instid0(SALU_CYCLE_1)
	s_mul_hi_u32 s10, s5, s2
	s_abs_i32 s2, s4
	s_add_co_i32 s12, s5, s10
	s_wait_kmcnt 0x0
	s_cmp_eq_u64 s[8:9], 0
	s_cbranch_scc1 .LBB318_2
; %bb.1:
	s_ashr_i32 s5, s4, 31
	s_delay_alu instid0(SALU_CYCLE_1) | instskip(NEXT) | instid1(SALU_CYCLE_1)
	s_lshl_b64 s[16:17], s[4:5], 2
	s_add_nc_u64 s[8:9], s[8:9], s[16:17]
	s_load_b32 s18, s[8:9], 0x0
.LBB318_2:
	s_load_b32 s23, s[6:7], s22 offset:0x0 scale_offset
	s_wait_xcnt 0x0
	s_load_b96 s[8:10], s[0:1], 0x48
	v_and_b32_e32 v4, 3, v0
	s_ashr_i32 s5, s4, 31
	s_ashr_i32 s14, s14, 31
	s_mul_u64 s[6:7], s[2:3], s[12:13]
	s_mul_i32 s12, s4, 0x78
	s_mov_b32 s3, exec_lo
	v_cmpx_gt_u32_e32 60, v0
	s_cbranch_execz .LBB318_4
; %bb.3:
	s_load_b64 s[16:17], s[0:1], 0x8
	s_wait_kmcnt 0x0
	s_mul_i32 s24, s8, s22
	s_ashr_i32 s13, s12, 31
	s_ashr_i32 s25, s24, 31
	v_and_b32_e32 v2, 0x3fc, v0
	s_lshl_b64 s[24:25], s[24:25], 1
	s_delay_alu instid0(VALU_DEP_1) | instskip(SKIP_2) | instid1(SALU_CYCLE_1)
	v_mad_u32_u24 v2, v4, 60, v2
	s_add_nc_u64 s[16:17], s[16:17], s[24:25]
	s_lshl_b64 s[24:25], s[12:13], 1
	s_add_nc_u64 s[16:17], s[16:17], s[24:25]
	global_load_b32 v1, v0, s[16:17] scale_offset
	s_wait_loadcnt 0x0
	ds_store_b32 v2, v1
.LBB318_4:
	s_or_b32 exec_lo, exec_lo, s3
	s_wait_kmcnt 0x0
	s_add_co_i32 s3, s23, 7
	s_load_b32 s4, s[0:1], 0x38
	s_ashr_i32 s6, s3, 31
	s_mul_i32 s8, s7, s11
	s_lshr_b32 s6, s6, 29
	s_sub_co_i32 s2, s2, s8
	s_add_co_i32 s3, s3, s6
	s_xor_b32 s5, s5, s14
	s_ashr_i32 s13, s3, 3
	s_add_co_i32 s3, s7, 1
	s_sub_co_i32 s6, s2, s11
	s_cmp_ge_u32 s2, s11
	v_lshrrev_b32_e32 v1, 5, v0
	s_cselect_b32 s3, s3, s7
	s_cselect_b32 s2, s6, s2
	s_add_co_i32 s6, s3, 1
	s_cmp_ge_u32 s2, s11
	v_mbcnt_lo_u32_b32 v10, -1, 0
	s_cselect_b32 s2, s6, s3
	s_wait_dscnt 0x0
	s_xor_b32 s2, s2, s5
	s_wait_kmcnt 0x0
	s_mul_i32 s14, s4, s22
	s_sub_co_i32 s3, s2, s5
	v_cmp_gt_i32_e64 s2, s13, v1
	s_ashr_i32 s15, s14, 31
	s_mov_b32 s4, exec_lo
	s_barrier_signal -1
	s_barrier_wait -1
                                        ; implicit-def: $vgpr3
                                        ; implicit-def: $vgpr11
	v_cmpx_le_i32_e64 s13, v1
	s_xor_b32 s4, exec_lo, s4
; %bb.5:
	v_dual_mov_b32 v3, 0 :: v_dual_mov_b32 v11, 32
	v_mbcnt_lo_u32_b32 v10, -1, 0
                                        ; implicit-def: $vgpr4
; %bb.6:
	s_or_saveexec_b32 s24, s4
	s_clause 0x2
	s_load_b32 s8, s[0:1], 0x88
	s_load_b64 s[16:17], s[0:1], 0x28
	s_load_b128 s[4:7], s[0:1], 0x58
	v_dual_mov_b32 v41, 0xff7fffff :: v_dual_lshrrev_b32 v12, 3, v0
	s_mul_i32 s10, s3, s10
	s_xor_b32 exec_lo, exec_lo, s24
	s_cbranch_execz .LBB318_252
; %bb.7:
	v_mul_u32_u24_e32 v5, 60, v4
	s_load_b64 s[26:27], s[0:1], 0x10
	v_bfe_u32 v48, v0, 2, 3
	v_mov_b32_e32 v3, 0
	s_ashr_i32 s11, s10, 31
	ds_load_2addr_b32 v[6:7], v5 offset1:1
	ds_load_2addr_b32 v[8:9], v5 offset0:2 offset1:3
	ds_load_2addr_b32 v[24:25], v5 offset0:4 offset1:5
	;; [unrolled: 1-line block ×6, first 2 shown]
	ds_load_b32 v5, v5 offset:56
	v_lshlrev_b32_e32 v2, 4, v48
	s_wait_kmcnt 0x0
	s_load_b32 s5, s[4:5], 0x0
	s_cmp_neq_f32 s18, 0
	s_mov_b32 s25, s9
	v_mov_b32_e32 v11, 32
	s_cselect_b32 s3, -1, 0
	s_add_nc_u64 s[26:27], s[26:27], s[10:11]
	s_mov_b32 s11, 0
	v_add_nc_u64_e32 v[46:47], s[26:27], v[2:3]
	s_wait_dscnt 0x7
	v_dual_lshlrev_b32 v2, 1, v4 :: v_dual_lshlrev_b32 v13, 16, v6
	v_and_b32_e32 v14, 0xffff0000, v6
	s_wait_dscnt 0x1
	v_dual_lshlrev_b32 v39, 16, v41 :: v_dual_bitop2_b32 v6, 2, v10 bitop3:0x14
	v_dual_lshlrev_b32 v15, 16, v7 :: v_dual_lshlrev_b32 v17, 16, v8
	v_and_b32_e32 v16, 0xffff0000, v7
	s_wait_dscnt 0x0
	v_dual_lshlrev_b32 v42, 16, v5 :: v_dual_bitop2_b32 v7, 1, v10 bitop3:0x14
	v_cmp_gt_i32_e32 vcc_lo, 32, v6
	v_and_b32_e32 v43, 0xffff0000, v5
	s_lshl_b64 s[26:27], s[14:15], 2
	v_and_b32_e32 v18, 0xffff0000, v8
	s_add_nc_u64 s[26:27], s[16:17], s[26:27]
	v_cndmask_b32_e32 v6, v10, v6, vcc_lo
	v_cmp_gt_i32_e32 vcc_lo, 32, v7
	v_dual_lshlrev_b32 v19, 16, v9 :: v_dual_lshlrev_b32 v21, 16, v24
	v_and_b32_e32 v20, 0xffff0000, v9
	s_delay_alu instid0(VALU_DEP_4)
	v_dual_cndmask_b32 v5, v10, v7 :: v_dual_lshlrev_b32 v44, 2, v6
	v_lshlrev_b32_e32 v6, 2, v48
	v_cmp_eq_u32_e32 vcc_lo, 0, v4
	v_and_b32_e32 v22, 0xffff0000, v24
	v_lshlrev_b32_e32 v23, 16, v25
	v_lshlrev_b32_e32 v45, 2, v5
	v_add_nc_u64_e32 v[4:5], v[46:47], v[2:3]
	v_lshl_or_b32 v6, v1, 5, v6
	v_and_b32_e32 v2, 0x7c, v12
	v_and_b32_e32 v24, 0xffff0000, v25
	v_lshlrev_b32_e32 v25, 16, v28
	v_and_b32_e32 v26, 0xffff0000, v28
	v_add_nc_u32_e32 v47, 0x110, v6
	v_add_nc_u64_e32 v[6:7], s[26:27], v[2:3]
	v_lshlrev_b32_e32 v27, 16, v29
	v_and_b32_e32 v28, 0xffff0000, v29
	v_lshlrev_b32_e32 v29, 16, v32
	v_and_b32_e32 v30, 0xffff0000, v32
	;; [unrolled: 2-line block ×6, first 2 shown]
	v_and_b32_e32 v40, 0xffff0000, v41
	v_lshl_or_b32 v46, v1, 3, v48
	v_dual_mov_b32 v41, 0xff7fffff :: v_dual_mov_b32 v48, v1
	s_sub_co_i32 s26, 1, s23
	s_branch .LBB318_9
.LBB318_8:                              ;   in Loop: Header=BB318_9 Depth=1
	s_or_b32 exec_lo, exec_lo, s27
	v_dual_add_nc_u32 v48, 4, v48 :: v_dual_add_nc_u32 v46, 32, v46
	v_add_nc_u64_e32 v[6:7], 16, v[6:7]
	v_add_nc_u32_e32 v47, 0x80, v47
	s_delay_alu instid0(VALU_DEP_3) | instskip(SKIP_1) | instid1(SALU_CYCLE_1)
	v_cmp_le_i32_e64 s4, s13, v48
	s_or_b32 s11, s4, s11
	s_and_not1_b32 exec_lo, exec_lo, s11
	s_cbranch_execz .LBB318_251
.LBB318_9:                              ; =>This Inner Loop Header: Depth=1
	global_load_b32 v2, v[6:7], off
	v_mov_b32_e32 v49, 0
	s_wait_loadcnt_dscnt 0x0
	v_mad_nc_i64_i32 v[8:9], v2, s25, v[4:5]
	global_load_u16 v2, v[8:9], off
	s_wait_loadcnt 0x0
	v_and_b32_e32 v50, 0xff, v2
	v_and_b32_e32 v51, 0xffff, v2
	s_delay_alu instid0(VALU_DEP_2)
	v_cmp_ne_u16_e64 s4, 0, v50
	v_mov_b32_e32 v50, 0
	s_wait_xcnt 0x0
	s_and_saveexec_b32 s27, s4
	s_cbranch_execz .LBB318_17
; %bb.10:                               ;   in Loop: Header=BB318_9 Depth=1
	v_and_b32_e32 v2, 0xff, v51
	v_bfrev_b32_e32 v50, 1
	s_mov_b32 s28, exec_lo
	s_delay_alu instid0(VALU_DEP_2)
	v_cmpx_ne_u16_e32 0x80, v2
	s_cbranch_execz .LBB318_16
; %bb.11:                               ;   in Loop: Header=BB318_9 Depth=1
	v_and_b32_e32 v52, 0x7f, v51
	v_mov_b32_e32 v50, 0x7f800001
	s_mov_b32 s29, exec_lo
	s_delay_alu instid0(VALU_DEP_2)
	v_cmpx_ne_u32_e32 0x7f, v52
	s_cbranch_execz .LBB318_15
; %bb.12:                               ;   in Loop: Header=BB318_9 Depth=1
	v_dual_lshrrev_b32 v50, 3, v52 :: v_dual_bitop2_b32 v2, 7, v51 bitop3:0x40
	s_mov_b32 s30, exec_lo
	v_cmpx_gt_u32_e32 8, v52
; %bb.13:                               ;   in Loop: Header=BB318_9 Depth=1
	s_delay_alu instid0(VALU_DEP_2) | instskip(NEXT) | instid1(VALU_DEP_1)
	v_clz_i32_u32_e32 v50, v2
	v_min_u32_e32 v50, 32, v50
	s_delay_alu instid0(VALU_DEP_1) | instskip(NEXT) | instid1(VALU_DEP_1)
	v_subrev_nc_u32_e32 v52, 28, v50
	v_lshlrev_b64_e32 v[52:53], v52, v[2:3]
	s_delay_alu instid0(VALU_DEP_1)
	v_dual_sub_nc_u32 v50, 29, v50 :: v_dual_bitop2_b32 v2, 7, v52 bitop3:0x40
; %bb.14:                               ;   in Loop: Header=BB318_9 Depth=1
	s_or_b32 exec_lo, exec_lo, s30
	s_delay_alu instid0(VALU_DEP_1) | instskip(NEXT) | instid1(VALU_DEP_2)
	v_dual_lshlrev_b32 v52, 24, v51 :: v_dual_lshlrev_b32 v2, 20, v2
	v_lshl_add_u32 v50, v50, 23, 0x3c000000
	s_delay_alu instid0(VALU_DEP_2) | instskip(NEXT) | instid1(VALU_DEP_1)
	v_and_b32_e32 v52, 0x80000000, v52
	v_or3_b32 v50, v2, v52, v50
.LBB318_15:                             ;   in Loop: Header=BB318_9 Depth=1
	s_or_b32 exec_lo, exec_lo, s29
.LBB318_16:                             ;   in Loop: Header=BB318_9 Depth=1
	s_delay_alu instid0(SALU_CYCLE_1)
	s_or_b32 exec_lo, exec_lo, s28
.LBB318_17:                             ;   in Loop: Header=BB318_9 Depth=1
	s_delay_alu instid0(SALU_CYCLE_1) | instskip(SKIP_2) | instid1(VALU_DEP_1)
	s_or_b32 exec_lo, exec_lo, s27
	v_lshrrev_b16 v2, 8, v51
	s_mov_b32 s27, exec_lo
	v_cmpx_ne_u16_e32 0, v2
	s_cbranch_execz .LBB318_25
; %bb.18:                               ;   in Loop: Header=BB318_9 Depth=1
	v_bfrev_b32_e32 v49, 1
	s_mov_b32 s28, exec_lo
	v_cmpx_ne_u16_e32 0x80, v2
	s_cbranch_execz .LBB318_24
; %bb.19:                               ;   in Loop: Header=BB318_9 Depth=1
	v_and_b32_e32 v2, 0xffff, v2
	v_mov_b32_e32 v49, 0x7f800001
	s_mov_b32 s29, exec_lo
	s_delay_alu instid0(VALU_DEP_2) | instskip(NEXT) | instid1(VALU_DEP_1)
	v_and_b32_e32 v52, 0x7f, v2
	v_cmpx_ne_u32_e32 0x7f, v52
	s_cbranch_execz .LBB318_23
; %bb.20:                               ;   in Loop: Header=BB318_9 Depth=1
	v_dual_lshrrev_b32 v49, 3, v52 :: v_dual_bitop2_b32 v2, 7, v2 bitop3:0x40
	s_mov_b32 s30, exec_lo
	v_cmpx_gt_u32_e32 8, v52
; %bb.21:                               ;   in Loop: Header=BB318_9 Depth=1
	s_delay_alu instid0(VALU_DEP_2) | instskip(NEXT) | instid1(VALU_DEP_1)
	v_clz_i32_u32_e32 v49, v2
	v_min_u32_e32 v49, 32, v49
	s_delay_alu instid0(VALU_DEP_1) | instskip(NEXT) | instid1(VALU_DEP_1)
	v_subrev_nc_u32_e32 v52, 28, v49
	v_lshlrev_b64_e32 v[52:53], v52, v[2:3]
	s_delay_alu instid0(VALU_DEP_1)
	v_dual_sub_nc_u32 v49, 29, v49 :: v_dual_bitop2_b32 v2, 7, v52 bitop3:0x40
; %bb.22:                               ;   in Loop: Header=BB318_9 Depth=1
	s_or_b32 exec_lo, exec_lo, s30
	s_delay_alu instid0(VALU_DEP_1) | instskip(NEXT) | instid1(VALU_DEP_2)
	v_dual_lshlrev_b32 v51, 16, v51 :: v_dual_lshlrev_b32 v2, 20, v2
	v_lshl_add_u32 v49, v49, 23, 0x3c000000
	s_delay_alu instid0(VALU_DEP_2) | instskip(NEXT) | instid1(VALU_DEP_1)
	v_and_b32_e32 v51, 0x80000000, v51
	v_or3_b32 v49, v2, v51, v49
.LBB318_23:                             ;   in Loop: Header=BB318_9 Depth=1
	s_or_b32 exec_lo, exec_lo, s29
.LBB318_24:                             ;   in Loop: Header=BB318_9 Depth=1
	s_delay_alu instid0(SALU_CYCLE_1)
	s_or_b32 exec_lo, exec_lo, s28
.LBB318_25:                             ;   in Loop: Header=BB318_9 Depth=1
	s_delay_alu instid0(SALU_CYCLE_1)
	s_or_b32 exec_lo, exec_lo, s27
	global_load_u16 v2, v[8:9], off offset:8
	v_mov_b32_e32 v51, 0
	s_wait_loadcnt 0x0
	v_and_b32_e32 v52, 0xff, v2
	v_and_b32_e32 v53, 0xffff, v2
	s_delay_alu instid0(VALU_DEP_2)
	v_cmp_ne_u16_e64 s4, 0, v52
	v_mov_b32_e32 v52, 0
	s_and_saveexec_b32 s27, s4
	s_cbranch_execz .LBB318_33
; %bb.26:                               ;   in Loop: Header=BB318_9 Depth=1
	v_and_b32_e32 v2, 0xff, v53
	v_bfrev_b32_e32 v52, 1
	s_mov_b32 s28, exec_lo
	s_delay_alu instid0(VALU_DEP_2)
	v_cmpx_ne_u16_e32 0x80, v2
	s_cbranch_execz .LBB318_32
; %bb.27:                               ;   in Loop: Header=BB318_9 Depth=1
	v_and_b32_e32 v54, 0x7f, v53
	v_mov_b32_e32 v52, 0x7f800001
	s_mov_b32 s29, exec_lo
	s_delay_alu instid0(VALU_DEP_2)
	v_cmpx_ne_u32_e32 0x7f, v54
	s_cbranch_execz .LBB318_31
; %bb.28:                               ;   in Loop: Header=BB318_9 Depth=1
	v_dual_lshrrev_b32 v52, 3, v54 :: v_dual_bitop2_b32 v2, 7, v53 bitop3:0x40
	s_mov_b32 s30, exec_lo
	v_cmpx_gt_u32_e32 8, v54
; %bb.29:                               ;   in Loop: Header=BB318_9 Depth=1
	s_delay_alu instid0(VALU_DEP_2) | instskip(NEXT) | instid1(VALU_DEP_1)
	v_clz_i32_u32_e32 v52, v2
	v_min_u32_e32 v52, 32, v52
	s_delay_alu instid0(VALU_DEP_1) | instskip(NEXT) | instid1(VALU_DEP_1)
	v_subrev_nc_u32_e32 v54, 28, v52
	v_lshlrev_b64_e32 v[54:55], v54, v[2:3]
	s_delay_alu instid0(VALU_DEP_1)
	v_dual_sub_nc_u32 v52, 29, v52 :: v_dual_bitop2_b32 v2, 7, v54 bitop3:0x40
; %bb.30:                               ;   in Loop: Header=BB318_9 Depth=1
	s_or_b32 exec_lo, exec_lo, s30
	s_delay_alu instid0(VALU_DEP_1) | instskip(NEXT) | instid1(VALU_DEP_2)
	v_dual_lshlrev_b32 v54, 24, v53 :: v_dual_lshlrev_b32 v2, 20, v2
	v_lshl_add_u32 v52, v52, 23, 0x3c000000
	s_delay_alu instid0(VALU_DEP_2) | instskip(NEXT) | instid1(VALU_DEP_1)
	v_and_b32_e32 v54, 0x80000000, v54
	v_or3_b32 v52, v2, v54, v52
.LBB318_31:                             ;   in Loop: Header=BB318_9 Depth=1
	s_or_b32 exec_lo, exec_lo, s29
.LBB318_32:                             ;   in Loop: Header=BB318_9 Depth=1
	s_delay_alu instid0(SALU_CYCLE_1)
	s_or_b32 exec_lo, exec_lo, s28
.LBB318_33:                             ;   in Loop: Header=BB318_9 Depth=1
	s_delay_alu instid0(SALU_CYCLE_1) | instskip(SKIP_2) | instid1(VALU_DEP_1)
	s_or_b32 exec_lo, exec_lo, s27
	v_lshrrev_b16 v2, 8, v53
	s_mov_b32 s27, exec_lo
	v_cmpx_ne_u16_e32 0, v2
	s_cbranch_execz .LBB318_41
; %bb.34:                               ;   in Loop: Header=BB318_9 Depth=1
	v_bfrev_b32_e32 v51, 1
	s_mov_b32 s28, exec_lo
	v_cmpx_ne_u16_e32 0x80, v2
	s_cbranch_execz .LBB318_40
; %bb.35:                               ;   in Loop: Header=BB318_9 Depth=1
	v_and_b32_e32 v2, 0xffff, v2
	v_mov_b32_e32 v51, 0x7f800001
	s_mov_b32 s29, exec_lo
	s_delay_alu instid0(VALU_DEP_2) | instskip(NEXT) | instid1(VALU_DEP_1)
	v_and_b32_e32 v54, 0x7f, v2
	v_cmpx_ne_u32_e32 0x7f, v54
	s_cbranch_execz .LBB318_39
; %bb.36:                               ;   in Loop: Header=BB318_9 Depth=1
	v_and_b32_e32 v2, 7, v2
	v_lshrrev_b32_e32 v51, 3, v54
	s_mov_b32 s30, exec_lo
	v_cmpx_gt_u32_e32 8, v54
; %bb.37:                               ;   in Loop: Header=BB318_9 Depth=1
	s_delay_alu instid0(VALU_DEP_3) | instskip(NEXT) | instid1(VALU_DEP_1)
	v_clz_i32_u32_e32 v51, v2
	v_min_u32_e32 v51, 32, v51
	s_delay_alu instid0(VALU_DEP_1) | instskip(NEXT) | instid1(VALU_DEP_1)
	v_subrev_nc_u32_e32 v54, 28, v51
	v_lshlrev_b64_e32 v[54:55], v54, v[2:3]
	s_delay_alu instid0(VALU_DEP_1)
	v_dual_sub_nc_u32 v51, 29, v51 :: v_dual_bitop2_b32 v2, 7, v54 bitop3:0x40
; %bb.38:                               ;   in Loop: Header=BB318_9 Depth=1
	s_or_b32 exec_lo, exec_lo, s30
	s_delay_alu instid0(VALU_DEP_1) | instskip(NEXT) | instid1(VALU_DEP_2)
	v_dual_lshlrev_b32 v53, 16, v53 :: v_dual_lshlrev_b32 v2, 20, v2
	v_lshl_add_u32 v51, v51, 23, 0x3c000000
	s_delay_alu instid0(VALU_DEP_2) | instskip(NEXT) | instid1(VALU_DEP_1)
	v_and_b32_e32 v53, 0x80000000, v53
	v_or3_b32 v51, v2, v53, v51
.LBB318_39:                             ;   in Loop: Header=BB318_9 Depth=1
	s_or_b32 exec_lo, exec_lo, s29
.LBB318_40:                             ;   in Loop: Header=BB318_9 Depth=1
	s_delay_alu instid0(SALU_CYCLE_1)
	s_or_b32 exec_lo, exec_lo, s28
.LBB318_41:                             ;   in Loop: Header=BB318_9 Depth=1
	s_delay_alu instid0(SALU_CYCLE_1)
	s_or_b32 exec_lo, exec_lo, s27
	global_load_u16 v2, v[8:9], off offset:128
	v_mov_b32_e32 v53, 0
	s_wait_loadcnt 0x0
	v_and_b32_e32 v54, 0xff, v2
	v_and_b32_e32 v55, 0xffff, v2
	s_delay_alu instid0(VALU_DEP_2)
	v_cmp_ne_u16_e64 s4, 0, v54
	v_mov_b32_e32 v54, 0
	s_and_saveexec_b32 s27, s4
	s_cbranch_execz .LBB318_49
; %bb.42:                               ;   in Loop: Header=BB318_9 Depth=1
	v_and_b32_e32 v2, 0xff, v55
	v_bfrev_b32_e32 v54, 1
	s_mov_b32 s28, exec_lo
	s_delay_alu instid0(VALU_DEP_2)
	v_cmpx_ne_u16_e32 0x80, v2
	s_cbranch_execz .LBB318_48
; %bb.43:                               ;   in Loop: Header=BB318_9 Depth=1
	v_and_b32_e32 v56, 0x7f, v55
	v_mov_b32_e32 v54, 0x7f800001
	s_mov_b32 s29, exec_lo
	s_delay_alu instid0(VALU_DEP_2)
	v_cmpx_ne_u32_e32 0x7f, v56
	s_cbranch_execz .LBB318_47
; %bb.44:                               ;   in Loop: Header=BB318_9 Depth=1
	v_dual_lshrrev_b32 v54, 3, v56 :: v_dual_bitop2_b32 v2, 7, v55 bitop3:0x40
	s_mov_b32 s30, exec_lo
	v_cmpx_gt_u32_e32 8, v56
; %bb.45:                               ;   in Loop: Header=BB318_9 Depth=1
	s_delay_alu instid0(VALU_DEP_2) | instskip(NEXT) | instid1(VALU_DEP_1)
	v_clz_i32_u32_e32 v54, v2
	v_min_u32_e32 v54, 32, v54
	s_delay_alu instid0(VALU_DEP_1) | instskip(NEXT) | instid1(VALU_DEP_1)
	v_subrev_nc_u32_e32 v56, 28, v54
	v_lshlrev_b64_e32 v[56:57], v56, v[2:3]
	s_delay_alu instid0(VALU_DEP_1)
	v_dual_sub_nc_u32 v54, 29, v54 :: v_dual_bitop2_b32 v2, 7, v56 bitop3:0x40
; %bb.46:                               ;   in Loop: Header=BB318_9 Depth=1
	s_or_b32 exec_lo, exec_lo, s30
	s_delay_alu instid0(VALU_DEP_1) | instskip(NEXT) | instid1(VALU_DEP_2)
	v_dual_lshlrev_b32 v56, 24, v55 :: v_dual_lshlrev_b32 v2, 20, v2
	v_lshl_add_u32 v54, v54, 23, 0x3c000000
	s_delay_alu instid0(VALU_DEP_2) | instskip(NEXT) | instid1(VALU_DEP_1)
	v_and_b32_e32 v56, 0x80000000, v56
	v_or3_b32 v54, v2, v56, v54
.LBB318_47:                             ;   in Loop: Header=BB318_9 Depth=1
	s_or_b32 exec_lo, exec_lo, s29
.LBB318_48:                             ;   in Loop: Header=BB318_9 Depth=1
	s_delay_alu instid0(SALU_CYCLE_1)
	s_or_b32 exec_lo, exec_lo, s28
.LBB318_49:                             ;   in Loop: Header=BB318_9 Depth=1
	s_delay_alu instid0(SALU_CYCLE_1) | instskip(SKIP_2) | instid1(VALU_DEP_1)
	s_or_b32 exec_lo, exec_lo, s27
	v_lshrrev_b16 v2, 8, v55
	s_mov_b32 s27, exec_lo
	v_cmpx_ne_u16_e32 0, v2
	s_cbranch_execz .LBB318_57
; %bb.50:                               ;   in Loop: Header=BB318_9 Depth=1
	v_bfrev_b32_e32 v53, 1
	s_mov_b32 s28, exec_lo
	v_cmpx_ne_u16_e32 0x80, v2
	s_cbranch_execz .LBB318_56
; %bb.51:                               ;   in Loop: Header=BB318_9 Depth=1
	v_and_b32_e32 v2, 0xffff, v2
	v_mov_b32_e32 v53, 0x7f800001
	s_mov_b32 s29, exec_lo
	s_delay_alu instid0(VALU_DEP_2) | instskip(NEXT) | instid1(VALU_DEP_1)
	v_and_b32_e32 v56, 0x7f, v2
	v_cmpx_ne_u32_e32 0x7f, v56
	s_cbranch_execz .LBB318_55
; %bb.52:                               ;   in Loop: Header=BB318_9 Depth=1
	v_dual_lshrrev_b32 v53, 3, v56 :: v_dual_bitop2_b32 v2, 7, v2 bitop3:0x40
	s_mov_b32 s30, exec_lo
	v_cmpx_gt_u32_e32 8, v56
; %bb.53:                               ;   in Loop: Header=BB318_9 Depth=1
	s_delay_alu instid0(VALU_DEP_2) | instskip(NEXT) | instid1(VALU_DEP_1)
	v_clz_i32_u32_e32 v53, v2
	v_min_u32_e32 v53, 32, v53
	s_delay_alu instid0(VALU_DEP_1) | instskip(NEXT) | instid1(VALU_DEP_1)
	v_subrev_nc_u32_e32 v56, 28, v53
	v_lshlrev_b64_e32 v[56:57], v56, v[2:3]
	s_delay_alu instid0(VALU_DEP_1)
	v_dual_sub_nc_u32 v53, 29, v53 :: v_dual_bitop2_b32 v2, 7, v56 bitop3:0x40
; %bb.54:                               ;   in Loop: Header=BB318_9 Depth=1
	s_or_b32 exec_lo, exec_lo, s30
	s_delay_alu instid0(VALU_DEP_1) | instskip(NEXT) | instid1(VALU_DEP_2)
	v_dual_lshlrev_b32 v55, 16, v55 :: v_dual_lshlrev_b32 v2, 20, v2
	v_lshl_add_u32 v53, v53, 23, 0x3c000000
	s_delay_alu instid0(VALU_DEP_2) | instskip(NEXT) | instid1(VALU_DEP_1)
	v_and_b32_e32 v55, 0x80000000, v55
	v_or3_b32 v53, v2, v55, v53
.LBB318_55:                             ;   in Loop: Header=BB318_9 Depth=1
	s_or_b32 exec_lo, exec_lo, s29
.LBB318_56:                             ;   in Loop: Header=BB318_9 Depth=1
	s_delay_alu instid0(SALU_CYCLE_1)
	s_or_b32 exec_lo, exec_lo, s28
.LBB318_57:                             ;   in Loop: Header=BB318_9 Depth=1
	s_delay_alu instid0(SALU_CYCLE_1)
	s_or_b32 exec_lo, exec_lo, s27
	global_load_u16 v2, v[8:9], off offset:136
	v_mov_b32_e32 v55, 0
	s_wait_loadcnt 0x0
	v_and_b32_e32 v56, 0xff, v2
	v_and_b32_e32 v57, 0xffff, v2
	s_delay_alu instid0(VALU_DEP_2)
	v_cmp_ne_u16_e64 s4, 0, v56
	v_mov_b32_e32 v56, 0
	s_and_saveexec_b32 s27, s4
	s_cbranch_execz .LBB318_65
; %bb.58:                               ;   in Loop: Header=BB318_9 Depth=1
	v_and_b32_e32 v2, 0xff, v57
	v_bfrev_b32_e32 v56, 1
	s_mov_b32 s28, exec_lo
	s_delay_alu instid0(VALU_DEP_2)
	v_cmpx_ne_u16_e32 0x80, v2
	s_cbranch_execz .LBB318_64
; %bb.59:                               ;   in Loop: Header=BB318_9 Depth=1
	v_and_b32_e32 v58, 0x7f, v57
	v_mov_b32_e32 v56, 0x7f800001
	s_mov_b32 s29, exec_lo
	s_delay_alu instid0(VALU_DEP_2)
	v_cmpx_ne_u32_e32 0x7f, v58
	s_cbranch_execz .LBB318_63
; %bb.60:                               ;   in Loop: Header=BB318_9 Depth=1
	v_dual_lshrrev_b32 v56, 3, v58 :: v_dual_bitop2_b32 v2, 7, v57 bitop3:0x40
	s_mov_b32 s30, exec_lo
	v_cmpx_gt_u32_e32 8, v58
; %bb.61:                               ;   in Loop: Header=BB318_9 Depth=1
	s_delay_alu instid0(VALU_DEP_2) | instskip(NEXT) | instid1(VALU_DEP_1)
	v_clz_i32_u32_e32 v56, v2
	v_min_u32_e32 v56, 32, v56
	s_delay_alu instid0(VALU_DEP_1) | instskip(NEXT) | instid1(VALU_DEP_1)
	v_subrev_nc_u32_e32 v58, 28, v56
	v_lshlrev_b64_e32 v[58:59], v58, v[2:3]
	s_delay_alu instid0(VALU_DEP_1)
	v_dual_sub_nc_u32 v56, 29, v56 :: v_dual_bitop2_b32 v2, 7, v58 bitop3:0x40
; %bb.62:                               ;   in Loop: Header=BB318_9 Depth=1
	s_or_b32 exec_lo, exec_lo, s30
	s_delay_alu instid0(VALU_DEP_1) | instskip(NEXT) | instid1(VALU_DEP_2)
	v_dual_lshlrev_b32 v58, 24, v57 :: v_dual_lshlrev_b32 v2, 20, v2
	v_lshl_add_u32 v56, v56, 23, 0x3c000000
	s_delay_alu instid0(VALU_DEP_2) | instskip(NEXT) | instid1(VALU_DEP_1)
	v_and_b32_e32 v58, 0x80000000, v58
	v_or3_b32 v56, v2, v58, v56
.LBB318_63:                             ;   in Loop: Header=BB318_9 Depth=1
	s_or_b32 exec_lo, exec_lo, s29
.LBB318_64:                             ;   in Loop: Header=BB318_9 Depth=1
	s_delay_alu instid0(SALU_CYCLE_1)
	s_or_b32 exec_lo, exec_lo, s28
.LBB318_65:                             ;   in Loop: Header=BB318_9 Depth=1
	s_delay_alu instid0(SALU_CYCLE_1) | instskip(SKIP_2) | instid1(VALU_DEP_1)
	s_or_b32 exec_lo, exec_lo, s27
	v_lshrrev_b16 v2, 8, v57
	s_mov_b32 s27, exec_lo
	v_cmpx_ne_u16_e32 0, v2
	s_cbranch_execz .LBB318_73
; %bb.66:                               ;   in Loop: Header=BB318_9 Depth=1
	v_bfrev_b32_e32 v55, 1
	s_mov_b32 s28, exec_lo
	v_cmpx_ne_u16_e32 0x80, v2
	s_cbranch_execz .LBB318_72
; %bb.67:                               ;   in Loop: Header=BB318_9 Depth=1
	v_and_b32_e32 v2, 0xffff, v2
	v_mov_b32_e32 v55, 0x7f800001
	s_mov_b32 s29, exec_lo
	s_delay_alu instid0(VALU_DEP_2) | instskip(NEXT) | instid1(VALU_DEP_1)
	v_and_b32_e32 v58, 0x7f, v2
	v_cmpx_ne_u32_e32 0x7f, v58
	s_cbranch_execz .LBB318_71
; %bb.68:                               ;   in Loop: Header=BB318_9 Depth=1
	v_and_b32_e32 v2, 7, v2
	v_lshrrev_b32_e32 v55, 3, v58
	s_mov_b32 s30, exec_lo
	v_cmpx_gt_u32_e32 8, v58
; %bb.69:                               ;   in Loop: Header=BB318_9 Depth=1
	s_delay_alu instid0(VALU_DEP_3) | instskip(NEXT) | instid1(VALU_DEP_1)
	v_clz_i32_u32_e32 v55, v2
	v_min_u32_e32 v55, 32, v55
	s_delay_alu instid0(VALU_DEP_1) | instskip(NEXT) | instid1(VALU_DEP_1)
	v_subrev_nc_u32_e32 v58, 28, v55
	v_lshlrev_b64_e32 v[58:59], v58, v[2:3]
	s_delay_alu instid0(VALU_DEP_1)
	v_dual_sub_nc_u32 v55, 29, v55 :: v_dual_bitop2_b32 v2, 7, v58 bitop3:0x40
; %bb.70:                               ;   in Loop: Header=BB318_9 Depth=1
	s_or_b32 exec_lo, exec_lo, s30
	s_delay_alu instid0(VALU_DEP_1) | instskip(NEXT) | instid1(VALU_DEP_2)
	v_dual_lshlrev_b32 v57, 16, v57 :: v_dual_lshlrev_b32 v2, 20, v2
	v_lshl_add_u32 v55, v55, 23, 0x3c000000
	s_delay_alu instid0(VALU_DEP_2) | instskip(NEXT) | instid1(VALU_DEP_1)
	v_and_b32_e32 v57, 0x80000000, v57
	v_or3_b32 v55, v2, v57, v55
.LBB318_71:                             ;   in Loop: Header=BB318_9 Depth=1
	s_or_b32 exec_lo, exec_lo, s29
.LBB318_72:                             ;   in Loop: Header=BB318_9 Depth=1
	s_delay_alu instid0(SALU_CYCLE_1)
	s_or_b32 exec_lo, exec_lo, s28
.LBB318_73:                             ;   in Loop: Header=BB318_9 Depth=1
	s_delay_alu instid0(SALU_CYCLE_1)
	s_or_b32 exec_lo, exec_lo, s27
	global_load_u16 v2, v[8:9], off offset:256
	v_mov_b32_e32 v57, 0
	s_wait_loadcnt 0x0
	v_and_b32_e32 v58, 0xff, v2
	v_and_b32_e32 v59, 0xffff, v2
	s_delay_alu instid0(VALU_DEP_2)
	v_cmp_ne_u16_e64 s4, 0, v58
	v_mov_b32_e32 v58, 0
	s_and_saveexec_b32 s27, s4
	s_cbranch_execz .LBB318_81
; %bb.74:                               ;   in Loop: Header=BB318_9 Depth=1
	v_and_b32_e32 v2, 0xff, v59
	v_bfrev_b32_e32 v58, 1
	s_mov_b32 s28, exec_lo
	s_delay_alu instid0(VALU_DEP_2)
	v_cmpx_ne_u16_e32 0x80, v2
	s_cbranch_execz .LBB318_80
; %bb.75:                               ;   in Loop: Header=BB318_9 Depth=1
	v_and_b32_e32 v60, 0x7f, v59
	v_mov_b32_e32 v58, 0x7f800001
	s_mov_b32 s29, exec_lo
	s_delay_alu instid0(VALU_DEP_2)
	v_cmpx_ne_u32_e32 0x7f, v60
	s_cbranch_execz .LBB318_79
; %bb.76:                               ;   in Loop: Header=BB318_9 Depth=1
	v_dual_lshrrev_b32 v58, 3, v60 :: v_dual_bitop2_b32 v2, 7, v59 bitop3:0x40
	s_mov_b32 s30, exec_lo
	v_cmpx_gt_u32_e32 8, v60
; %bb.77:                               ;   in Loop: Header=BB318_9 Depth=1
	s_delay_alu instid0(VALU_DEP_2) | instskip(NEXT) | instid1(VALU_DEP_1)
	v_clz_i32_u32_e32 v58, v2
	v_min_u32_e32 v58, 32, v58
	s_delay_alu instid0(VALU_DEP_1) | instskip(NEXT) | instid1(VALU_DEP_1)
	v_subrev_nc_u32_e32 v60, 28, v58
	v_lshlrev_b64_e32 v[60:61], v60, v[2:3]
	s_delay_alu instid0(VALU_DEP_1)
	v_dual_sub_nc_u32 v58, 29, v58 :: v_dual_bitop2_b32 v2, 7, v60 bitop3:0x40
; %bb.78:                               ;   in Loop: Header=BB318_9 Depth=1
	s_or_b32 exec_lo, exec_lo, s30
	s_delay_alu instid0(VALU_DEP_1) | instskip(NEXT) | instid1(VALU_DEP_2)
	v_dual_lshlrev_b32 v60, 24, v59 :: v_dual_lshlrev_b32 v2, 20, v2
	v_lshl_add_u32 v58, v58, 23, 0x3c000000
	s_delay_alu instid0(VALU_DEP_2) | instskip(NEXT) | instid1(VALU_DEP_1)
	v_and_b32_e32 v60, 0x80000000, v60
	v_or3_b32 v58, v2, v60, v58
.LBB318_79:                             ;   in Loop: Header=BB318_9 Depth=1
	s_or_b32 exec_lo, exec_lo, s29
.LBB318_80:                             ;   in Loop: Header=BB318_9 Depth=1
	s_delay_alu instid0(SALU_CYCLE_1)
	s_or_b32 exec_lo, exec_lo, s28
.LBB318_81:                             ;   in Loop: Header=BB318_9 Depth=1
	s_delay_alu instid0(SALU_CYCLE_1) | instskip(SKIP_2) | instid1(VALU_DEP_1)
	s_or_b32 exec_lo, exec_lo, s27
	v_lshrrev_b16 v2, 8, v59
	s_mov_b32 s27, exec_lo
	v_cmpx_ne_u16_e32 0, v2
	s_cbranch_execz .LBB318_89
; %bb.82:                               ;   in Loop: Header=BB318_9 Depth=1
	v_bfrev_b32_e32 v57, 1
	s_mov_b32 s28, exec_lo
	v_cmpx_ne_u16_e32 0x80, v2
	s_cbranch_execz .LBB318_88
; %bb.83:                               ;   in Loop: Header=BB318_9 Depth=1
	v_and_b32_e32 v2, 0xffff, v2
	v_mov_b32_e32 v57, 0x7f800001
	s_mov_b32 s29, exec_lo
	s_delay_alu instid0(VALU_DEP_2) | instskip(NEXT) | instid1(VALU_DEP_1)
	v_and_b32_e32 v60, 0x7f, v2
	v_cmpx_ne_u32_e32 0x7f, v60
	s_cbranch_execz .LBB318_87
; %bb.84:                               ;   in Loop: Header=BB318_9 Depth=1
	v_dual_lshrrev_b32 v57, 3, v60 :: v_dual_bitop2_b32 v2, 7, v2 bitop3:0x40
	s_mov_b32 s30, exec_lo
	v_cmpx_gt_u32_e32 8, v60
; %bb.85:                               ;   in Loop: Header=BB318_9 Depth=1
	s_delay_alu instid0(VALU_DEP_2) | instskip(NEXT) | instid1(VALU_DEP_1)
	v_clz_i32_u32_e32 v57, v2
	v_min_u32_e32 v57, 32, v57
	s_delay_alu instid0(VALU_DEP_1) | instskip(NEXT) | instid1(VALU_DEP_1)
	v_subrev_nc_u32_e32 v60, 28, v57
	v_lshlrev_b64_e32 v[60:61], v60, v[2:3]
	s_delay_alu instid0(VALU_DEP_1)
	v_dual_sub_nc_u32 v57, 29, v57 :: v_dual_bitop2_b32 v2, 7, v60 bitop3:0x40
; %bb.86:                               ;   in Loop: Header=BB318_9 Depth=1
	s_or_b32 exec_lo, exec_lo, s30
	s_delay_alu instid0(VALU_DEP_1) | instskip(NEXT) | instid1(VALU_DEP_2)
	v_dual_lshlrev_b32 v59, 16, v59 :: v_dual_lshlrev_b32 v2, 20, v2
	v_lshl_add_u32 v57, v57, 23, 0x3c000000
	s_delay_alu instid0(VALU_DEP_2) | instskip(NEXT) | instid1(VALU_DEP_1)
	v_and_b32_e32 v59, 0x80000000, v59
	v_or3_b32 v57, v2, v59, v57
.LBB318_87:                             ;   in Loop: Header=BB318_9 Depth=1
	s_or_b32 exec_lo, exec_lo, s29
.LBB318_88:                             ;   in Loop: Header=BB318_9 Depth=1
	s_delay_alu instid0(SALU_CYCLE_1)
	s_or_b32 exec_lo, exec_lo, s28
.LBB318_89:                             ;   in Loop: Header=BB318_9 Depth=1
	s_delay_alu instid0(SALU_CYCLE_1)
	s_or_b32 exec_lo, exec_lo, s27
	global_load_u16 v2, v[8:9], off offset:264
	v_mov_b32_e32 v59, 0
	s_wait_loadcnt 0x0
	v_and_b32_e32 v60, 0xff, v2
	v_and_b32_e32 v61, 0xffff, v2
	s_delay_alu instid0(VALU_DEP_2)
	v_cmp_ne_u16_e64 s4, 0, v60
	v_mov_b32_e32 v60, 0
	s_and_saveexec_b32 s27, s4
	s_cbranch_execz .LBB318_97
; %bb.90:                               ;   in Loop: Header=BB318_9 Depth=1
	v_and_b32_e32 v2, 0xff, v61
	v_bfrev_b32_e32 v60, 1
	s_mov_b32 s28, exec_lo
	s_delay_alu instid0(VALU_DEP_2)
	v_cmpx_ne_u16_e32 0x80, v2
	s_cbranch_execz .LBB318_96
; %bb.91:                               ;   in Loop: Header=BB318_9 Depth=1
	v_and_b32_e32 v62, 0x7f, v61
	v_mov_b32_e32 v60, 0x7f800001
	s_mov_b32 s29, exec_lo
	s_delay_alu instid0(VALU_DEP_2)
	v_cmpx_ne_u32_e32 0x7f, v62
	s_cbranch_execz .LBB318_95
; %bb.92:                               ;   in Loop: Header=BB318_9 Depth=1
	v_dual_lshrrev_b32 v60, 3, v62 :: v_dual_bitop2_b32 v2, 7, v61 bitop3:0x40
	s_mov_b32 s30, exec_lo
	v_cmpx_gt_u32_e32 8, v62
; %bb.93:                               ;   in Loop: Header=BB318_9 Depth=1
	s_delay_alu instid0(VALU_DEP_2) | instskip(NEXT) | instid1(VALU_DEP_1)
	v_clz_i32_u32_e32 v60, v2
	v_min_u32_e32 v60, 32, v60
	s_delay_alu instid0(VALU_DEP_1) | instskip(NEXT) | instid1(VALU_DEP_1)
	v_subrev_nc_u32_e32 v62, 28, v60
	v_lshlrev_b64_e32 v[62:63], v62, v[2:3]
	s_delay_alu instid0(VALU_DEP_1)
	v_dual_sub_nc_u32 v60, 29, v60 :: v_dual_bitop2_b32 v2, 7, v62 bitop3:0x40
; %bb.94:                               ;   in Loop: Header=BB318_9 Depth=1
	s_or_b32 exec_lo, exec_lo, s30
	s_delay_alu instid0(VALU_DEP_1) | instskip(NEXT) | instid1(VALU_DEP_2)
	v_dual_lshlrev_b32 v62, 24, v61 :: v_dual_lshlrev_b32 v2, 20, v2
	v_lshl_add_u32 v60, v60, 23, 0x3c000000
	s_delay_alu instid0(VALU_DEP_2) | instskip(NEXT) | instid1(VALU_DEP_1)
	v_and_b32_e32 v62, 0x80000000, v62
	v_or3_b32 v60, v2, v62, v60
.LBB318_95:                             ;   in Loop: Header=BB318_9 Depth=1
	s_or_b32 exec_lo, exec_lo, s29
.LBB318_96:                             ;   in Loop: Header=BB318_9 Depth=1
	s_delay_alu instid0(SALU_CYCLE_1)
	s_or_b32 exec_lo, exec_lo, s28
.LBB318_97:                             ;   in Loop: Header=BB318_9 Depth=1
	s_delay_alu instid0(SALU_CYCLE_1) | instskip(SKIP_2) | instid1(VALU_DEP_1)
	s_or_b32 exec_lo, exec_lo, s27
	v_lshrrev_b16 v2, 8, v61
	s_mov_b32 s27, exec_lo
	v_cmpx_ne_u16_e32 0, v2
	s_cbranch_execz .LBB318_105
; %bb.98:                               ;   in Loop: Header=BB318_9 Depth=1
	v_bfrev_b32_e32 v59, 1
	s_mov_b32 s28, exec_lo
	v_cmpx_ne_u16_e32 0x80, v2
	s_cbranch_execz .LBB318_104
; %bb.99:                               ;   in Loop: Header=BB318_9 Depth=1
	v_and_b32_e32 v2, 0xffff, v2
	v_mov_b32_e32 v59, 0x7f800001
	s_mov_b32 s29, exec_lo
	s_delay_alu instid0(VALU_DEP_2) | instskip(NEXT) | instid1(VALU_DEP_1)
	v_and_b32_e32 v62, 0x7f, v2
	v_cmpx_ne_u32_e32 0x7f, v62
	s_cbranch_execz .LBB318_103
; %bb.100:                              ;   in Loop: Header=BB318_9 Depth=1
	v_and_b32_e32 v2, 7, v2
	v_lshrrev_b32_e32 v59, 3, v62
	s_mov_b32 s30, exec_lo
	v_cmpx_gt_u32_e32 8, v62
; %bb.101:                              ;   in Loop: Header=BB318_9 Depth=1
	s_delay_alu instid0(VALU_DEP_3) | instskip(NEXT) | instid1(VALU_DEP_1)
	v_clz_i32_u32_e32 v59, v2
	v_min_u32_e32 v59, 32, v59
	s_delay_alu instid0(VALU_DEP_1) | instskip(NEXT) | instid1(VALU_DEP_1)
	v_subrev_nc_u32_e32 v62, 28, v59
	v_lshlrev_b64_e32 v[62:63], v62, v[2:3]
	s_delay_alu instid0(VALU_DEP_1)
	v_dual_sub_nc_u32 v59, 29, v59 :: v_dual_bitop2_b32 v2, 7, v62 bitop3:0x40
; %bb.102:                              ;   in Loop: Header=BB318_9 Depth=1
	s_or_b32 exec_lo, exec_lo, s30
	s_delay_alu instid0(VALU_DEP_1) | instskip(NEXT) | instid1(VALU_DEP_2)
	v_dual_lshlrev_b32 v61, 16, v61 :: v_dual_lshlrev_b32 v2, 20, v2
	v_lshl_add_u32 v59, v59, 23, 0x3c000000
	s_delay_alu instid0(VALU_DEP_2) | instskip(NEXT) | instid1(VALU_DEP_1)
	v_and_b32_e32 v61, 0x80000000, v61
	v_or3_b32 v59, v2, v61, v59
.LBB318_103:                            ;   in Loop: Header=BB318_9 Depth=1
	s_or_b32 exec_lo, exec_lo, s29
.LBB318_104:                            ;   in Loop: Header=BB318_9 Depth=1
	s_delay_alu instid0(SALU_CYCLE_1)
	s_or_b32 exec_lo, exec_lo, s28
.LBB318_105:                            ;   in Loop: Header=BB318_9 Depth=1
	s_delay_alu instid0(SALU_CYCLE_1)
	s_or_b32 exec_lo, exec_lo, s27
	global_load_u16 v2, v[8:9], off offset:384
	v_mov_b32_e32 v61, 0
	s_wait_loadcnt 0x0
	v_and_b32_e32 v62, 0xff, v2
	v_and_b32_e32 v63, 0xffff, v2
	s_delay_alu instid0(VALU_DEP_2)
	v_cmp_ne_u16_e64 s4, 0, v62
	v_mov_b32_e32 v62, 0
	s_and_saveexec_b32 s27, s4
	s_cbranch_execz .LBB318_113
; %bb.106:                              ;   in Loop: Header=BB318_9 Depth=1
	v_and_b32_e32 v2, 0xff, v63
	v_bfrev_b32_e32 v62, 1
	s_mov_b32 s28, exec_lo
	s_delay_alu instid0(VALU_DEP_2)
	v_cmpx_ne_u16_e32 0x80, v2
	s_cbranch_execz .LBB318_112
; %bb.107:                              ;   in Loop: Header=BB318_9 Depth=1
	v_and_b32_e32 v64, 0x7f, v63
	v_mov_b32_e32 v62, 0x7f800001
	s_mov_b32 s29, exec_lo
	s_delay_alu instid0(VALU_DEP_2)
	v_cmpx_ne_u32_e32 0x7f, v64
	s_cbranch_execz .LBB318_111
; %bb.108:                              ;   in Loop: Header=BB318_9 Depth=1
	v_dual_lshrrev_b32 v62, 3, v64 :: v_dual_bitop2_b32 v2, 7, v63 bitop3:0x40
	s_mov_b32 s30, exec_lo
	v_cmpx_gt_u32_e32 8, v64
; %bb.109:                              ;   in Loop: Header=BB318_9 Depth=1
	s_delay_alu instid0(VALU_DEP_2) | instskip(NEXT) | instid1(VALU_DEP_1)
	v_clz_i32_u32_e32 v62, v2
	v_min_u32_e32 v62, 32, v62
	s_delay_alu instid0(VALU_DEP_1) | instskip(NEXT) | instid1(VALU_DEP_1)
	v_subrev_nc_u32_e32 v64, 28, v62
	v_lshlrev_b64_e32 v[64:65], v64, v[2:3]
	s_delay_alu instid0(VALU_DEP_1)
	v_dual_sub_nc_u32 v62, 29, v62 :: v_dual_bitop2_b32 v2, 7, v64 bitop3:0x40
; %bb.110:                              ;   in Loop: Header=BB318_9 Depth=1
	s_or_b32 exec_lo, exec_lo, s30
	s_delay_alu instid0(VALU_DEP_1) | instskip(NEXT) | instid1(VALU_DEP_2)
	v_dual_lshlrev_b32 v64, 24, v63 :: v_dual_lshlrev_b32 v2, 20, v2
	v_lshl_add_u32 v62, v62, 23, 0x3c000000
	s_delay_alu instid0(VALU_DEP_2) | instskip(NEXT) | instid1(VALU_DEP_1)
	v_and_b32_e32 v64, 0x80000000, v64
	v_or3_b32 v62, v2, v64, v62
.LBB318_111:                            ;   in Loop: Header=BB318_9 Depth=1
	s_or_b32 exec_lo, exec_lo, s29
.LBB318_112:                            ;   in Loop: Header=BB318_9 Depth=1
	s_delay_alu instid0(SALU_CYCLE_1)
	s_or_b32 exec_lo, exec_lo, s28
.LBB318_113:                            ;   in Loop: Header=BB318_9 Depth=1
	s_delay_alu instid0(SALU_CYCLE_1) | instskip(SKIP_2) | instid1(VALU_DEP_1)
	s_or_b32 exec_lo, exec_lo, s27
	v_lshrrev_b16 v2, 8, v63
	s_mov_b32 s27, exec_lo
	v_cmpx_ne_u16_e32 0, v2
	s_cbranch_execz .LBB318_121
; %bb.114:                              ;   in Loop: Header=BB318_9 Depth=1
	v_bfrev_b32_e32 v61, 1
	s_mov_b32 s28, exec_lo
	v_cmpx_ne_u16_e32 0x80, v2
	s_cbranch_execz .LBB318_120
; %bb.115:                              ;   in Loop: Header=BB318_9 Depth=1
	v_and_b32_e32 v2, 0xffff, v2
	v_mov_b32_e32 v61, 0x7f800001
	s_mov_b32 s29, exec_lo
	s_delay_alu instid0(VALU_DEP_2) | instskip(NEXT) | instid1(VALU_DEP_1)
	v_and_b32_e32 v64, 0x7f, v2
	v_cmpx_ne_u32_e32 0x7f, v64
	s_cbranch_execz .LBB318_119
; %bb.116:                              ;   in Loop: Header=BB318_9 Depth=1
	v_dual_lshrrev_b32 v61, 3, v64 :: v_dual_bitop2_b32 v2, 7, v2 bitop3:0x40
	s_mov_b32 s30, exec_lo
	v_cmpx_gt_u32_e32 8, v64
; %bb.117:                              ;   in Loop: Header=BB318_9 Depth=1
	s_delay_alu instid0(VALU_DEP_2) | instskip(NEXT) | instid1(VALU_DEP_1)
	v_clz_i32_u32_e32 v61, v2
	v_min_u32_e32 v61, 32, v61
	s_delay_alu instid0(VALU_DEP_1) | instskip(NEXT) | instid1(VALU_DEP_1)
	v_subrev_nc_u32_e32 v64, 28, v61
	v_lshlrev_b64_e32 v[64:65], v64, v[2:3]
	s_delay_alu instid0(VALU_DEP_1)
	v_dual_sub_nc_u32 v61, 29, v61 :: v_dual_bitop2_b32 v2, 7, v64 bitop3:0x40
; %bb.118:                              ;   in Loop: Header=BB318_9 Depth=1
	s_or_b32 exec_lo, exec_lo, s30
	s_delay_alu instid0(VALU_DEP_1) | instskip(NEXT) | instid1(VALU_DEP_2)
	v_dual_lshlrev_b32 v63, 16, v63 :: v_dual_lshlrev_b32 v2, 20, v2
	v_lshl_add_u32 v61, v61, 23, 0x3c000000
	s_delay_alu instid0(VALU_DEP_2) | instskip(NEXT) | instid1(VALU_DEP_1)
	v_and_b32_e32 v63, 0x80000000, v63
	v_or3_b32 v61, v2, v63, v61
.LBB318_119:                            ;   in Loop: Header=BB318_9 Depth=1
	s_or_b32 exec_lo, exec_lo, s29
.LBB318_120:                            ;   in Loop: Header=BB318_9 Depth=1
	s_delay_alu instid0(SALU_CYCLE_1)
	s_or_b32 exec_lo, exec_lo, s28
.LBB318_121:                            ;   in Loop: Header=BB318_9 Depth=1
	s_delay_alu instid0(SALU_CYCLE_1)
	s_or_b32 exec_lo, exec_lo, s27
	global_load_u16 v2, v[8:9], off offset:392
	v_mov_b32_e32 v63, 0
	s_wait_loadcnt 0x0
	v_and_b32_e32 v64, 0xff, v2
	v_and_b32_e32 v65, 0xffff, v2
	s_delay_alu instid0(VALU_DEP_2)
	v_cmp_ne_u16_e64 s4, 0, v64
	v_mov_b32_e32 v64, 0
	s_and_saveexec_b32 s27, s4
	s_cbranch_execz .LBB318_129
; %bb.122:                              ;   in Loop: Header=BB318_9 Depth=1
	v_and_b32_e32 v2, 0xff, v65
	v_bfrev_b32_e32 v64, 1
	s_mov_b32 s28, exec_lo
	s_delay_alu instid0(VALU_DEP_2)
	v_cmpx_ne_u16_e32 0x80, v2
	s_cbranch_execz .LBB318_128
; %bb.123:                              ;   in Loop: Header=BB318_9 Depth=1
	v_and_b32_e32 v66, 0x7f, v65
	v_mov_b32_e32 v64, 0x7f800001
	s_mov_b32 s29, exec_lo
	s_delay_alu instid0(VALU_DEP_2)
	v_cmpx_ne_u32_e32 0x7f, v66
	s_cbranch_execz .LBB318_127
; %bb.124:                              ;   in Loop: Header=BB318_9 Depth=1
	v_dual_lshrrev_b32 v64, 3, v66 :: v_dual_bitop2_b32 v2, 7, v65 bitop3:0x40
	s_mov_b32 s30, exec_lo
	v_cmpx_gt_u32_e32 8, v66
; %bb.125:                              ;   in Loop: Header=BB318_9 Depth=1
	s_delay_alu instid0(VALU_DEP_2) | instskip(NEXT) | instid1(VALU_DEP_1)
	v_clz_i32_u32_e32 v64, v2
	v_min_u32_e32 v64, 32, v64
	s_delay_alu instid0(VALU_DEP_1) | instskip(NEXT) | instid1(VALU_DEP_1)
	v_subrev_nc_u32_e32 v66, 28, v64
	v_lshlrev_b64_e32 v[66:67], v66, v[2:3]
	s_delay_alu instid0(VALU_DEP_1)
	v_dual_sub_nc_u32 v64, 29, v64 :: v_dual_bitop2_b32 v2, 7, v66 bitop3:0x40
; %bb.126:                              ;   in Loop: Header=BB318_9 Depth=1
	s_or_b32 exec_lo, exec_lo, s30
	s_delay_alu instid0(VALU_DEP_1) | instskip(NEXT) | instid1(VALU_DEP_2)
	v_dual_lshlrev_b32 v66, 24, v65 :: v_dual_lshlrev_b32 v2, 20, v2
	v_lshl_add_u32 v64, v64, 23, 0x3c000000
	s_delay_alu instid0(VALU_DEP_2) | instskip(NEXT) | instid1(VALU_DEP_1)
	v_and_b32_e32 v66, 0x80000000, v66
	v_or3_b32 v64, v2, v66, v64
.LBB318_127:                            ;   in Loop: Header=BB318_9 Depth=1
	s_or_b32 exec_lo, exec_lo, s29
.LBB318_128:                            ;   in Loop: Header=BB318_9 Depth=1
	s_delay_alu instid0(SALU_CYCLE_1)
	s_or_b32 exec_lo, exec_lo, s28
.LBB318_129:                            ;   in Loop: Header=BB318_9 Depth=1
	s_delay_alu instid0(SALU_CYCLE_1) | instskip(SKIP_2) | instid1(VALU_DEP_1)
	s_or_b32 exec_lo, exec_lo, s27
	v_lshrrev_b16 v2, 8, v65
	s_mov_b32 s27, exec_lo
	v_cmpx_ne_u16_e32 0, v2
	s_cbranch_execz .LBB318_137
; %bb.130:                              ;   in Loop: Header=BB318_9 Depth=1
	v_bfrev_b32_e32 v63, 1
	s_mov_b32 s28, exec_lo
	v_cmpx_ne_u16_e32 0x80, v2
	s_cbranch_execz .LBB318_136
; %bb.131:                              ;   in Loop: Header=BB318_9 Depth=1
	v_and_b32_e32 v2, 0xffff, v2
	v_mov_b32_e32 v63, 0x7f800001
	s_mov_b32 s29, exec_lo
	s_delay_alu instid0(VALU_DEP_2) | instskip(NEXT) | instid1(VALU_DEP_1)
	v_and_b32_e32 v66, 0x7f, v2
	v_cmpx_ne_u32_e32 0x7f, v66
	s_cbranch_execz .LBB318_135
; %bb.132:                              ;   in Loop: Header=BB318_9 Depth=1
	v_and_b32_e32 v2, 7, v2
	v_lshrrev_b32_e32 v63, 3, v66
	s_mov_b32 s30, exec_lo
	v_cmpx_gt_u32_e32 8, v66
; %bb.133:                              ;   in Loop: Header=BB318_9 Depth=1
	s_delay_alu instid0(VALU_DEP_3) | instskip(NEXT) | instid1(VALU_DEP_1)
	v_clz_i32_u32_e32 v63, v2
	v_min_u32_e32 v63, 32, v63
	s_delay_alu instid0(VALU_DEP_1) | instskip(NEXT) | instid1(VALU_DEP_1)
	v_subrev_nc_u32_e32 v66, 28, v63
	v_lshlrev_b64_e32 v[66:67], v66, v[2:3]
	s_delay_alu instid0(VALU_DEP_1)
	v_dual_sub_nc_u32 v63, 29, v63 :: v_dual_bitop2_b32 v2, 7, v66 bitop3:0x40
; %bb.134:                              ;   in Loop: Header=BB318_9 Depth=1
	s_or_b32 exec_lo, exec_lo, s30
	s_delay_alu instid0(VALU_DEP_1) | instskip(NEXT) | instid1(VALU_DEP_2)
	v_dual_lshlrev_b32 v65, 16, v65 :: v_dual_lshlrev_b32 v2, 20, v2
	v_lshl_add_u32 v63, v63, 23, 0x3c000000
	s_delay_alu instid0(VALU_DEP_2) | instskip(NEXT) | instid1(VALU_DEP_1)
	v_and_b32_e32 v65, 0x80000000, v65
	v_or3_b32 v63, v2, v65, v63
.LBB318_135:                            ;   in Loop: Header=BB318_9 Depth=1
	s_or_b32 exec_lo, exec_lo, s29
.LBB318_136:                            ;   in Loop: Header=BB318_9 Depth=1
	s_delay_alu instid0(SALU_CYCLE_1)
	s_or_b32 exec_lo, exec_lo, s28
.LBB318_137:                            ;   in Loop: Header=BB318_9 Depth=1
	s_delay_alu instid0(SALU_CYCLE_1)
	s_or_b32 exec_lo, exec_lo, s27
	global_load_u16 v2, v[8:9], off offset:512
	v_mov_b32_e32 v65, 0
	s_wait_loadcnt 0x0
	v_and_b32_e32 v66, 0xff, v2
	v_and_b32_e32 v67, 0xffff, v2
	s_delay_alu instid0(VALU_DEP_2)
	v_cmp_ne_u16_e64 s4, 0, v66
	v_mov_b32_e32 v66, 0
	s_and_saveexec_b32 s27, s4
	s_cbranch_execz .LBB318_145
; %bb.138:                              ;   in Loop: Header=BB318_9 Depth=1
	v_and_b32_e32 v2, 0xff, v67
	v_bfrev_b32_e32 v66, 1
	s_mov_b32 s28, exec_lo
	s_delay_alu instid0(VALU_DEP_2)
	v_cmpx_ne_u16_e32 0x80, v2
	s_cbranch_execz .LBB318_144
; %bb.139:                              ;   in Loop: Header=BB318_9 Depth=1
	v_and_b32_e32 v68, 0x7f, v67
	v_mov_b32_e32 v66, 0x7f800001
	s_mov_b32 s29, exec_lo
	s_delay_alu instid0(VALU_DEP_2)
	v_cmpx_ne_u32_e32 0x7f, v68
	s_cbranch_execz .LBB318_143
; %bb.140:                              ;   in Loop: Header=BB318_9 Depth=1
	v_dual_lshrrev_b32 v66, 3, v68 :: v_dual_bitop2_b32 v2, 7, v67 bitop3:0x40
	s_mov_b32 s30, exec_lo
	v_cmpx_gt_u32_e32 8, v68
; %bb.141:                              ;   in Loop: Header=BB318_9 Depth=1
	s_delay_alu instid0(VALU_DEP_2) | instskip(NEXT) | instid1(VALU_DEP_1)
	v_clz_i32_u32_e32 v66, v2
	v_min_u32_e32 v66, 32, v66
	s_delay_alu instid0(VALU_DEP_1) | instskip(NEXT) | instid1(VALU_DEP_1)
	v_subrev_nc_u32_e32 v68, 28, v66
	v_lshlrev_b64_e32 v[68:69], v68, v[2:3]
	s_delay_alu instid0(VALU_DEP_1)
	v_dual_sub_nc_u32 v66, 29, v66 :: v_dual_bitop2_b32 v2, 7, v68 bitop3:0x40
; %bb.142:                              ;   in Loop: Header=BB318_9 Depth=1
	s_or_b32 exec_lo, exec_lo, s30
	s_delay_alu instid0(VALU_DEP_1) | instskip(NEXT) | instid1(VALU_DEP_2)
	v_dual_lshlrev_b32 v68, 24, v67 :: v_dual_lshlrev_b32 v2, 20, v2
	v_lshl_add_u32 v66, v66, 23, 0x3c000000
	s_delay_alu instid0(VALU_DEP_2) | instskip(NEXT) | instid1(VALU_DEP_1)
	v_and_b32_e32 v68, 0x80000000, v68
	v_or3_b32 v66, v2, v68, v66
.LBB318_143:                            ;   in Loop: Header=BB318_9 Depth=1
	s_or_b32 exec_lo, exec_lo, s29
.LBB318_144:                            ;   in Loop: Header=BB318_9 Depth=1
	s_delay_alu instid0(SALU_CYCLE_1)
	s_or_b32 exec_lo, exec_lo, s28
.LBB318_145:                            ;   in Loop: Header=BB318_9 Depth=1
	s_delay_alu instid0(SALU_CYCLE_1) | instskip(SKIP_2) | instid1(VALU_DEP_1)
	s_or_b32 exec_lo, exec_lo, s27
	v_lshrrev_b16 v2, 8, v67
	s_mov_b32 s27, exec_lo
	v_cmpx_ne_u16_e32 0, v2
	s_cbranch_execz .LBB318_153
; %bb.146:                              ;   in Loop: Header=BB318_9 Depth=1
	v_bfrev_b32_e32 v65, 1
	s_mov_b32 s28, exec_lo
	v_cmpx_ne_u16_e32 0x80, v2
	s_cbranch_execz .LBB318_152
; %bb.147:                              ;   in Loop: Header=BB318_9 Depth=1
	v_and_b32_e32 v2, 0xffff, v2
	v_mov_b32_e32 v65, 0x7f800001
	s_mov_b32 s29, exec_lo
	s_delay_alu instid0(VALU_DEP_2) | instskip(NEXT) | instid1(VALU_DEP_1)
	v_and_b32_e32 v68, 0x7f, v2
	v_cmpx_ne_u32_e32 0x7f, v68
	s_cbranch_execz .LBB318_151
; %bb.148:                              ;   in Loop: Header=BB318_9 Depth=1
	v_dual_lshrrev_b32 v65, 3, v68 :: v_dual_bitop2_b32 v2, 7, v2 bitop3:0x40
	s_mov_b32 s30, exec_lo
	v_cmpx_gt_u32_e32 8, v68
; %bb.149:                              ;   in Loop: Header=BB318_9 Depth=1
	s_delay_alu instid0(VALU_DEP_2) | instskip(NEXT) | instid1(VALU_DEP_1)
	v_clz_i32_u32_e32 v65, v2
	v_min_u32_e32 v65, 32, v65
	s_delay_alu instid0(VALU_DEP_1) | instskip(NEXT) | instid1(VALU_DEP_1)
	v_subrev_nc_u32_e32 v68, 28, v65
	v_lshlrev_b64_e32 v[68:69], v68, v[2:3]
	s_delay_alu instid0(VALU_DEP_1)
	v_dual_sub_nc_u32 v65, 29, v65 :: v_dual_bitop2_b32 v2, 7, v68 bitop3:0x40
; %bb.150:                              ;   in Loop: Header=BB318_9 Depth=1
	s_or_b32 exec_lo, exec_lo, s30
	s_delay_alu instid0(VALU_DEP_1) | instskip(NEXT) | instid1(VALU_DEP_2)
	v_dual_lshlrev_b32 v67, 16, v67 :: v_dual_lshlrev_b32 v2, 20, v2
	v_lshl_add_u32 v65, v65, 23, 0x3c000000
	s_delay_alu instid0(VALU_DEP_2) | instskip(NEXT) | instid1(VALU_DEP_1)
	v_and_b32_e32 v67, 0x80000000, v67
	v_or3_b32 v65, v2, v67, v65
.LBB318_151:                            ;   in Loop: Header=BB318_9 Depth=1
	s_or_b32 exec_lo, exec_lo, s29
.LBB318_152:                            ;   in Loop: Header=BB318_9 Depth=1
	s_delay_alu instid0(SALU_CYCLE_1)
	s_or_b32 exec_lo, exec_lo, s28
.LBB318_153:                            ;   in Loop: Header=BB318_9 Depth=1
	s_delay_alu instid0(SALU_CYCLE_1)
	s_or_b32 exec_lo, exec_lo, s27
	global_load_u16 v2, v[8:9], off offset:520
	v_mov_b32_e32 v67, 0
	s_wait_loadcnt 0x0
	v_and_b32_e32 v68, 0xff, v2
	v_and_b32_e32 v69, 0xffff, v2
	s_delay_alu instid0(VALU_DEP_2)
	v_cmp_ne_u16_e64 s4, 0, v68
	v_mov_b32_e32 v68, 0
	s_and_saveexec_b32 s27, s4
	s_cbranch_execz .LBB318_161
; %bb.154:                              ;   in Loop: Header=BB318_9 Depth=1
	v_and_b32_e32 v2, 0xff, v69
	v_bfrev_b32_e32 v68, 1
	s_mov_b32 s28, exec_lo
	s_delay_alu instid0(VALU_DEP_2)
	v_cmpx_ne_u16_e32 0x80, v2
	s_cbranch_execz .LBB318_160
; %bb.155:                              ;   in Loop: Header=BB318_9 Depth=1
	v_and_b32_e32 v70, 0x7f, v69
	v_mov_b32_e32 v68, 0x7f800001
	s_mov_b32 s29, exec_lo
	s_delay_alu instid0(VALU_DEP_2)
	v_cmpx_ne_u32_e32 0x7f, v70
	s_cbranch_execz .LBB318_159
; %bb.156:                              ;   in Loop: Header=BB318_9 Depth=1
	v_dual_lshrrev_b32 v68, 3, v70 :: v_dual_bitop2_b32 v2, 7, v69 bitop3:0x40
	s_mov_b32 s30, exec_lo
	v_cmpx_gt_u32_e32 8, v70
; %bb.157:                              ;   in Loop: Header=BB318_9 Depth=1
	s_delay_alu instid0(VALU_DEP_2) | instskip(NEXT) | instid1(VALU_DEP_1)
	v_clz_i32_u32_e32 v68, v2
	v_min_u32_e32 v68, 32, v68
	s_delay_alu instid0(VALU_DEP_1) | instskip(NEXT) | instid1(VALU_DEP_1)
	v_subrev_nc_u32_e32 v70, 28, v68
	v_lshlrev_b64_e32 v[70:71], v70, v[2:3]
	s_delay_alu instid0(VALU_DEP_1)
	v_dual_sub_nc_u32 v68, 29, v68 :: v_dual_bitop2_b32 v2, 7, v70 bitop3:0x40
; %bb.158:                              ;   in Loop: Header=BB318_9 Depth=1
	s_or_b32 exec_lo, exec_lo, s30
	s_delay_alu instid0(VALU_DEP_1) | instskip(NEXT) | instid1(VALU_DEP_2)
	v_dual_lshlrev_b32 v70, 24, v69 :: v_dual_lshlrev_b32 v2, 20, v2
	v_lshl_add_u32 v68, v68, 23, 0x3c000000
	s_delay_alu instid0(VALU_DEP_2) | instskip(NEXT) | instid1(VALU_DEP_1)
	v_and_b32_e32 v70, 0x80000000, v70
	v_or3_b32 v68, v2, v70, v68
.LBB318_159:                            ;   in Loop: Header=BB318_9 Depth=1
	s_or_b32 exec_lo, exec_lo, s29
.LBB318_160:                            ;   in Loop: Header=BB318_9 Depth=1
	s_delay_alu instid0(SALU_CYCLE_1)
	s_or_b32 exec_lo, exec_lo, s28
.LBB318_161:                            ;   in Loop: Header=BB318_9 Depth=1
	s_delay_alu instid0(SALU_CYCLE_1) | instskip(SKIP_2) | instid1(VALU_DEP_1)
	s_or_b32 exec_lo, exec_lo, s27
	v_lshrrev_b16 v2, 8, v69
	s_mov_b32 s27, exec_lo
	v_cmpx_ne_u16_e32 0, v2
	s_cbranch_execz .LBB318_169
; %bb.162:                              ;   in Loop: Header=BB318_9 Depth=1
	v_bfrev_b32_e32 v67, 1
	s_mov_b32 s28, exec_lo
	v_cmpx_ne_u16_e32 0x80, v2
	s_cbranch_execz .LBB318_168
; %bb.163:                              ;   in Loop: Header=BB318_9 Depth=1
	v_and_b32_e32 v2, 0xffff, v2
	v_mov_b32_e32 v67, 0x7f800001
	s_mov_b32 s29, exec_lo
	s_delay_alu instid0(VALU_DEP_2) | instskip(NEXT) | instid1(VALU_DEP_1)
	v_and_b32_e32 v70, 0x7f, v2
	v_cmpx_ne_u32_e32 0x7f, v70
	s_cbranch_execz .LBB318_167
; %bb.164:                              ;   in Loop: Header=BB318_9 Depth=1
	v_and_b32_e32 v2, 7, v2
	v_lshrrev_b32_e32 v67, 3, v70
	s_mov_b32 s30, exec_lo
	v_cmpx_gt_u32_e32 8, v70
; %bb.165:                              ;   in Loop: Header=BB318_9 Depth=1
	s_delay_alu instid0(VALU_DEP_3) | instskip(NEXT) | instid1(VALU_DEP_1)
	v_clz_i32_u32_e32 v67, v2
	v_min_u32_e32 v67, 32, v67
	s_delay_alu instid0(VALU_DEP_1) | instskip(NEXT) | instid1(VALU_DEP_1)
	v_subrev_nc_u32_e32 v70, 28, v67
	v_lshlrev_b64_e32 v[70:71], v70, v[2:3]
	s_delay_alu instid0(VALU_DEP_1)
	v_dual_sub_nc_u32 v67, 29, v67 :: v_dual_bitop2_b32 v2, 7, v70 bitop3:0x40
; %bb.166:                              ;   in Loop: Header=BB318_9 Depth=1
	s_or_b32 exec_lo, exec_lo, s30
	s_delay_alu instid0(VALU_DEP_1) | instskip(NEXT) | instid1(VALU_DEP_2)
	v_dual_lshlrev_b32 v69, 16, v69 :: v_dual_lshlrev_b32 v2, 20, v2
	v_lshl_add_u32 v67, v67, 23, 0x3c000000
	s_delay_alu instid0(VALU_DEP_2) | instskip(NEXT) | instid1(VALU_DEP_1)
	v_and_b32_e32 v69, 0x80000000, v69
	v_or3_b32 v67, v2, v69, v67
.LBB318_167:                            ;   in Loop: Header=BB318_9 Depth=1
	s_or_b32 exec_lo, exec_lo, s29
.LBB318_168:                            ;   in Loop: Header=BB318_9 Depth=1
	s_delay_alu instid0(SALU_CYCLE_1)
	s_or_b32 exec_lo, exec_lo, s28
.LBB318_169:                            ;   in Loop: Header=BB318_9 Depth=1
	s_delay_alu instid0(SALU_CYCLE_1)
	s_or_b32 exec_lo, exec_lo, s27
	global_load_u16 v2, v[8:9], off offset:640
	v_mov_b32_e32 v69, 0
	s_wait_loadcnt 0x0
	v_and_b32_e32 v70, 0xff, v2
	v_and_b32_e32 v71, 0xffff, v2
	s_delay_alu instid0(VALU_DEP_2)
	v_cmp_ne_u16_e64 s4, 0, v70
	v_mov_b32_e32 v70, 0
	s_and_saveexec_b32 s27, s4
	s_cbranch_execz .LBB318_177
; %bb.170:                              ;   in Loop: Header=BB318_9 Depth=1
	v_and_b32_e32 v2, 0xff, v71
	v_bfrev_b32_e32 v70, 1
	s_mov_b32 s28, exec_lo
	s_delay_alu instid0(VALU_DEP_2)
	v_cmpx_ne_u16_e32 0x80, v2
	s_cbranch_execz .LBB318_176
; %bb.171:                              ;   in Loop: Header=BB318_9 Depth=1
	v_and_b32_e32 v72, 0x7f, v71
	v_mov_b32_e32 v70, 0x7f800001
	s_mov_b32 s29, exec_lo
	s_delay_alu instid0(VALU_DEP_2)
	v_cmpx_ne_u32_e32 0x7f, v72
	s_cbranch_execz .LBB318_175
; %bb.172:                              ;   in Loop: Header=BB318_9 Depth=1
	v_dual_lshrrev_b32 v70, 3, v72 :: v_dual_bitop2_b32 v2, 7, v71 bitop3:0x40
	s_mov_b32 s30, exec_lo
	v_cmpx_gt_u32_e32 8, v72
; %bb.173:                              ;   in Loop: Header=BB318_9 Depth=1
	s_delay_alu instid0(VALU_DEP_2) | instskip(NEXT) | instid1(VALU_DEP_1)
	v_clz_i32_u32_e32 v70, v2
	v_min_u32_e32 v70, 32, v70
	s_delay_alu instid0(VALU_DEP_1) | instskip(NEXT) | instid1(VALU_DEP_1)
	v_subrev_nc_u32_e32 v72, 28, v70
	v_lshlrev_b64_e32 v[72:73], v72, v[2:3]
	s_delay_alu instid0(VALU_DEP_1)
	v_dual_sub_nc_u32 v70, 29, v70 :: v_dual_bitop2_b32 v2, 7, v72 bitop3:0x40
; %bb.174:                              ;   in Loop: Header=BB318_9 Depth=1
	s_or_b32 exec_lo, exec_lo, s30
	s_delay_alu instid0(VALU_DEP_1) | instskip(NEXT) | instid1(VALU_DEP_2)
	v_dual_lshlrev_b32 v72, 24, v71 :: v_dual_lshlrev_b32 v2, 20, v2
	v_lshl_add_u32 v70, v70, 23, 0x3c000000
	s_delay_alu instid0(VALU_DEP_2) | instskip(NEXT) | instid1(VALU_DEP_1)
	v_and_b32_e32 v72, 0x80000000, v72
	v_or3_b32 v70, v2, v72, v70
.LBB318_175:                            ;   in Loop: Header=BB318_9 Depth=1
	s_or_b32 exec_lo, exec_lo, s29
.LBB318_176:                            ;   in Loop: Header=BB318_9 Depth=1
	s_delay_alu instid0(SALU_CYCLE_1)
	s_or_b32 exec_lo, exec_lo, s28
.LBB318_177:                            ;   in Loop: Header=BB318_9 Depth=1
	s_delay_alu instid0(SALU_CYCLE_1) | instskip(SKIP_2) | instid1(VALU_DEP_1)
	s_or_b32 exec_lo, exec_lo, s27
	v_lshrrev_b16 v2, 8, v71
	s_mov_b32 s27, exec_lo
	v_cmpx_ne_u16_e32 0, v2
	s_cbranch_execz .LBB318_185
; %bb.178:                              ;   in Loop: Header=BB318_9 Depth=1
	v_bfrev_b32_e32 v69, 1
	s_mov_b32 s28, exec_lo
	v_cmpx_ne_u16_e32 0x80, v2
	s_cbranch_execz .LBB318_184
; %bb.179:                              ;   in Loop: Header=BB318_9 Depth=1
	v_and_b32_e32 v2, 0xffff, v2
	v_mov_b32_e32 v69, 0x7f800001
	s_mov_b32 s29, exec_lo
	s_delay_alu instid0(VALU_DEP_2) | instskip(NEXT) | instid1(VALU_DEP_1)
	v_and_b32_e32 v72, 0x7f, v2
	v_cmpx_ne_u32_e32 0x7f, v72
	s_cbranch_execz .LBB318_183
; %bb.180:                              ;   in Loop: Header=BB318_9 Depth=1
	v_dual_lshrrev_b32 v69, 3, v72 :: v_dual_bitop2_b32 v2, 7, v2 bitop3:0x40
	s_mov_b32 s30, exec_lo
	v_cmpx_gt_u32_e32 8, v72
; %bb.181:                              ;   in Loop: Header=BB318_9 Depth=1
	s_delay_alu instid0(VALU_DEP_2) | instskip(NEXT) | instid1(VALU_DEP_1)
	v_clz_i32_u32_e32 v69, v2
	v_min_u32_e32 v69, 32, v69
	s_delay_alu instid0(VALU_DEP_1) | instskip(NEXT) | instid1(VALU_DEP_1)
	v_subrev_nc_u32_e32 v72, 28, v69
	v_lshlrev_b64_e32 v[72:73], v72, v[2:3]
	s_delay_alu instid0(VALU_DEP_1)
	v_dual_sub_nc_u32 v69, 29, v69 :: v_dual_bitop2_b32 v2, 7, v72 bitop3:0x40
; %bb.182:                              ;   in Loop: Header=BB318_9 Depth=1
	s_or_b32 exec_lo, exec_lo, s30
	s_delay_alu instid0(VALU_DEP_1) | instskip(NEXT) | instid1(VALU_DEP_2)
	v_dual_lshlrev_b32 v71, 16, v71 :: v_dual_lshlrev_b32 v2, 20, v2
	v_lshl_add_u32 v69, v69, 23, 0x3c000000
	s_delay_alu instid0(VALU_DEP_2) | instskip(NEXT) | instid1(VALU_DEP_1)
	v_and_b32_e32 v71, 0x80000000, v71
	v_or3_b32 v69, v2, v71, v69
.LBB318_183:                            ;   in Loop: Header=BB318_9 Depth=1
	s_or_b32 exec_lo, exec_lo, s29
.LBB318_184:                            ;   in Loop: Header=BB318_9 Depth=1
	s_delay_alu instid0(SALU_CYCLE_1)
	s_or_b32 exec_lo, exec_lo, s28
.LBB318_185:                            ;   in Loop: Header=BB318_9 Depth=1
	s_delay_alu instid0(SALU_CYCLE_1)
	s_or_b32 exec_lo, exec_lo, s27
	global_load_u16 v2, v[8:9], off offset:648
	v_mov_b32_e32 v71, 0
	s_wait_loadcnt 0x0
	v_and_b32_e32 v72, 0xff, v2
	v_and_b32_e32 v73, 0xffff, v2
	s_delay_alu instid0(VALU_DEP_2)
	v_cmp_ne_u16_e64 s4, 0, v72
	v_mov_b32_e32 v72, 0
	s_and_saveexec_b32 s27, s4
	s_cbranch_execz .LBB318_193
; %bb.186:                              ;   in Loop: Header=BB318_9 Depth=1
	v_and_b32_e32 v2, 0xff, v73
	v_bfrev_b32_e32 v72, 1
	s_mov_b32 s28, exec_lo
	s_delay_alu instid0(VALU_DEP_2)
	v_cmpx_ne_u16_e32 0x80, v2
	s_cbranch_execz .LBB318_192
; %bb.187:                              ;   in Loop: Header=BB318_9 Depth=1
	v_and_b32_e32 v74, 0x7f, v73
	v_mov_b32_e32 v72, 0x7f800001
	s_mov_b32 s29, exec_lo
	s_delay_alu instid0(VALU_DEP_2)
	v_cmpx_ne_u32_e32 0x7f, v74
	s_cbranch_execz .LBB318_191
; %bb.188:                              ;   in Loop: Header=BB318_9 Depth=1
	v_dual_lshrrev_b32 v72, 3, v74 :: v_dual_bitop2_b32 v2, 7, v73 bitop3:0x40
	s_mov_b32 s30, exec_lo
	v_cmpx_gt_u32_e32 8, v74
; %bb.189:                              ;   in Loop: Header=BB318_9 Depth=1
	s_delay_alu instid0(VALU_DEP_2) | instskip(NEXT) | instid1(VALU_DEP_1)
	v_clz_i32_u32_e32 v72, v2
	v_min_u32_e32 v72, 32, v72
	s_delay_alu instid0(VALU_DEP_1) | instskip(NEXT) | instid1(VALU_DEP_1)
	v_subrev_nc_u32_e32 v74, 28, v72
	v_lshlrev_b64_e32 v[74:75], v74, v[2:3]
	s_delay_alu instid0(VALU_DEP_1)
	v_dual_sub_nc_u32 v72, 29, v72 :: v_dual_bitop2_b32 v2, 7, v74 bitop3:0x40
; %bb.190:                              ;   in Loop: Header=BB318_9 Depth=1
	s_or_b32 exec_lo, exec_lo, s30
	s_delay_alu instid0(VALU_DEP_1) | instskip(NEXT) | instid1(VALU_DEP_2)
	v_dual_lshlrev_b32 v74, 24, v73 :: v_dual_lshlrev_b32 v2, 20, v2
	v_lshl_add_u32 v72, v72, 23, 0x3c000000
	s_delay_alu instid0(VALU_DEP_2) | instskip(NEXT) | instid1(VALU_DEP_1)
	v_and_b32_e32 v74, 0x80000000, v74
	v_or3_b32 v72, v2, v74, v72
.LBB318_191:                            ;   in Loop: Header=BB318_9 Depth=1
	s_or_b32 exec_lo, exec_lo, s29
.LBB318_192:                            ;   in Loop: Header=BB318_9 Depth=1
	s_delay_alu instid0(SALU_CYCLE_1)
	s_or_b32 exec_lo, exec_lo, s28
.LBB318_193:                            ;   in Loop: Header=BB318_9 Depth=1
	s_delay_alu instid0(SALU_CYCLE_1) | instskip(SKIP_2) | instid1(VALU_DEP_1)
	s_or_b32 exec_lo, exec_lo, s27
	v_lshrrev_b16 v2, 8, v73
	s_mov_b32 s27, exec_lo
	v_cmpx_ne_u16_e32 0, v2
	s_cbranch_execz .LBB318_201
; %bb.194:                              ;   in Loop: Header=BB318_9 Depth=1
	v_bfrev_b32_e32 v71, 1
	s_mov_b32 s28, exec_lo
	v_cmpx_ne_u16_e32 0x80, v2
	s_cbranch_execz .LBB318_200
; %bb.195:                              ;   in Loop: Header=BB318_9 Depth=1
	v_and_b32_e32 v2, 0xffff, v2
	v_mov_b32_e32 v71, 0x7f800001
	s_mov_b32 s29, exec_lo
	s_delay_alu instid0(VALU_DEP_2) | instskip(NEXT) | instid1(VALU_DEP_1)
	v_and_b32_e32 v74, 0x7f, v2
	v_cmpx_ne_u32_e32 0x7f, v74
	s_cbranch_execz .LBB318_199
; %bb.196:                              ;   in Loop: Header=BB318_9 Depth=1
	v_and_b32_e32 v2, 7, v2
	v_lshrrev_b32_e32 v71, 3, v74
	s_mov_b32 s30, exec_lo
	v_cmpx_gt_u32_e32 8, v74
; %bb.197:                              ;   in Loop: Header=BB318_9 Depth=1
	s_delay_alu instid0(VALU_DEP_3) | instskip(NEXT) | instid1(VALU_DEP_1)
	v_clz_i32_u32_e32 v71, v2
	v_min_u32_e32 v71, 32, v71
	s_delay_alu instid0(VALU_DEP_1) | instskip(NEXT) | instid1(VALU_DEP_1)
	v_subrev_nc_u32_e32 v74, 28, v71
	v_lshlrev_b64_e32 v[74:75], v74, v[2:3]
	s_delay_alu instid0(VALU_DEP_1)
	v_dual_sub_nc_u32 v71, 29, v71 :: v_dual_bitop2_b32 v2, 7, v74 bitop3:0x40
; %bb.198:                              ;   in Loop: Header=BB318_9 Depth=1
	s_or_b32 exec_lo, exec_lo, s30
	s_delay_alu instid0(VALU_DEP_1) | instskip(NEXT) | instid1(VALU_DEP_2)
	v_dual_lshlrev_b32 v73, 16, v73 :: v_dual_lshlrev_b32 v2, 20, v2
	v_lshl_add_u32 v71, v71, 23, 0x3c000000
	s_delay_alu instid0(VALU_DEP_2) | instskip(NEXT) | instid1(VALU_DEP_1)
	v_and_b32_e32 v73, 0x80000000, v73
	v_or3_b32 v71, v2, v73, v71
.LBB318_199:                            ;   in Loop: Header=BB318_9 Depth=1
	s_or_b32 exec_lo, exec_lo, s29
.LBB318_200:                            ;   in Loop: Header=BB318_9 Depth=1
	s_delay_alu instid0(SALU_CYCLE_1)
	s_or_b32 exec_lo, exec_lo, s28
.LBB318_201:                            ;   in Loop: Header=BB318_9 Depth=1
	s_delay_alu instid0(SALU_CYCLE_1)
	s_or_b32 exec_lo, exec_lo, s27
	global_load_u16 v2, v[8:9], off offset:768
	v_mov_b32_e32 v73, 0
	s_wait_loadcnt 0x0
	v_and_b32_e32 v74, 0xff, v2
	v_and_b32_e32 v75, 0xffff, v2
	s_delay_alu instid0(VALU_DEP_2)
	v_cmp_ne_u16_e64 s4, 0, v74
	v_mov_b32_e32 v74, 0
	s_and_saveexec_b32 s27, s4
	s_cbranch_execz .LBB318_209
; %bb.202:                              ;   in Loop: Header=BB318_9 Depth=1
	v_and_b32_e32 v2, 0xff, v75
	v_bfrev_b32_e32 v74, 1
	s_mov_b32 s28, exec_lo
	s_delay_alu instid0(VALU_DEP_2)
	v_cmpx_ne_u16_e32 0x80, v2
	s_cbranch_execz .LBB318_208
; %bb.203:                              ;   in Loop: Header=BB318_9 Depth=1
	v_and_b32_e32 v76, 0x7f, v75
	v_mov_b32_e32 v74, 0x7f800001
	s_mov_b32 s29, exec_lo
	s_delay_alu instid0(VALU_DEP_2)
	v_cmpx_ne_u32_e32 0x7f, v76
	s_cbranch_execz .LBB318_207
; %bb.204:                              ;   in Loop: Header=BB318_9 Depth=1
	v_dual_lshrrev_b32 v74, 3, v76 :: v_dual_bitop2_b32 v2, 7, v75 bitop3:0x40
	s_mov_b32 s30, exec_lo
	v_cmpx_gt_u32_e32 8, v76
; %bb.205:                              ;   in Loop: Header=BB318_9 Depth=1
	s_delay_alu instid0(VALU_DEP_2) | instskip(NEXT) | instid1(VALU_DEP_1)
	v_clz_i32_u32_e32 v74, v2
	v_min_u32_e32 v74, 32, v74
	s_delay_alu instid0(VALU_DEP_1) | instskip(NEXT) | instid1(VALU_DEP_1)
	v_subrev_nc_u32_e32 v76, 28, v74
	v_lshlrev_b64_e32 v[76:77], v76, v[2:3]
	s_delay_alu instid0(VALU_DEP_1)
	v_dual_sub_nc_u32 v74, 29, v74 :: v_dual_bitop2_b32 v2, 7, v76 bitop3:0x40
; %bb.206:                              ;   in Loop: Header=BB318_9 Depth=1
	s_or_b32 exec_lo, exec_lo, s30
	s_delay_alu instid0(VALU_DEP_1) | instskip(NEXT) | instid1(VALU_DEP_2)
	v_dual_lshlrev_b32 v76, 24, v75 :: v_dual_lshlrev_b32 v2, 20, v2
	v_lshl_add_u32 v74, v74, 23, 0x3c000000
	s_delay_alu instid0(VALU_DEP_2) | instskip(NEXT) | instid1(VALU_DEP_1)
	v_and_b32_e32 v76, 0x80000000, v76
	v_or3_b32 v74, v2, v76, v74
.LBB318_207:                            ;   in Loop: Header=BB318_9 Depth=1
	s_or_b32 exec_lo, exec_lo, s29
.LBB318_208:                            ;   in Loop: Header=BB318_9 Depth=1
	s_delay_alu instid0(SALU_CYCLE_1)
	s_or_b32 exec_lo, exec_lo, s28
.LBB318_209:                            ;   in Loop: Header=BB318_9 Depth=1
	s_delay_alu instid0(SALU_CYCLE_1) | instskip(SKIP_2) | instid1(VALU_DEP_1)
	s_or_b32 exec_lo, exec_lo, s27
	v_lshrrev_b16 v2, 8, v75
	s_mov_b32 s27, exec_lo
	v_cmpx_ne_u16_e32 0, v2
	s_cbranch_execz .LBB318_217
; %bb.210:                              ;   in Loop: Header=BB318_9 Depth=1
	v_bfrev_b32_e32 v73, 1
	s_mov_b32 s28, exec_lo
	v_cmpx_ne_u16_e32 0x80, v2
	s_cbranch_execz .LBB318_216
; %bb.211:                              ;   in Loop: Header=BB318_9 Depth=1
	v_and_b32_e32 v2, 0xffff, v2
	v_mov_b32_e32 v73, 0x7f800001
	s_mov_b32 s29, exec_lo
	s_delay_alu instid0(VALU_DEP_2) | instskip(NEXT) | instid1(VALU_DEP_1)
	v_and_b32_e32 v76, 0x7f, v2
	v_cmpx_ne_u32_e32 0x7f, v76
	s_cbranch_execz .LBB318_215
; %bb.212:                              ;   in Loop: Header=BB318_9 Depth=1
	v_dual_lshrrev_b32 v73, 3, v76 :: v_dual_bitop2_b32 v2, 7, v2 bitop3:0x40
	s_mov_b32 s30, exec_lo
	v_cmpx_gt_u32_e32 8, v76
; %bb.213:                              ;   in Loop: Header=BB318_9 Depth=1
	s_delay_alu instid0(VALU_DEP_2) | instskip(NEXT) | instid1(VALU_DEP_1)
	v_clz_i32_u32_e32 v73, v2
	v_min_u32_e32 v73, 32, v73
	s_delay_alu instid0(VALU_DEP_1) | instskip(NEXT) | instid1(VALU_DEP_1)
	v_subrev_nc_u32_e32 v76, 28, v73
	v_lshlrev_b64_e32 v[76:77], v76, v[2:3]
	s_delay_alu instid0(VALU_DEP_1)
	v_dual_sub_nc_u32 v73, 29, v73 :: v_dual_bitop2_b32 v2, 7, v76 bitop3:0x40
; %bb.214:                              ;   in Loop: Header=BB318_9 Depth=1
	s_or_b32 exec_lo, exec_lo, s30
	s_delay_alu instid0(VALU_DEP_1) | instskip(NEXT) | instid1(VALU_DEP_2)
	v_dual_lshlrev_b32 v75, 16, v75 :: v_dual_lshlrev_b32 v2, 20, v2
	v_lshl_add_u32 v73, v73, 23, 0x3c000000
	s_delay_alu instid0(VALU_DEP_2) | instskip(NEXT) | instid1(VALU_DEP_1)
	v_and_b32_e32 v75, 0x80000000, v75
	v_or3_b32 v73, v2, v75, v73
.LBB318_215:                            ;   in Loop: Header=BB318_9 Depth=1
	s_or_b32 exec_lo, exec_lo, s29
.LBB318_216:                            ;   in Loop: Header=BB318_9 Depth=1
	s_delay_alu instid0(SALU_CYCLE_1)
	s_or_b32 exec_lo, exec_lo, s28
.LBB318_217:                            ;   in Loop: Header=BB318_9 Depth=1
	s_delay_alu instid0(SALU_CYCLE_1)
	s_or_b32 exec_lo, exec_lo, s27
	global_load_u16 v2, v[8:9], off offset:776
	v_mov_b32_e32 v75, 0
	s_wait_loadcnt 0x0
	v_and_b32_e32 v76, 0xff, v2
	v_and_b32_e32 v77, 0xffff, v2
	s_delay_alu instid0(VALU_DEP_2)
	v_cmp_ne_u16_e64 s4, 0, v76
	v_mov_b32_e32 v76, 0
	s_and_saveexec_b32 s27, s4
	s_cbranch_execz .LBB318_225
; %bb.218:                              ;   in Loop: Header=BB318_9 Depth=1
	v_and_b32_e32 v2, 0xff, v77
	v_bfrev_b32_e32 v76, 1
	s_mov_b32 s28, exec_lo
	s_delay_alu instid0(VALU_DEP_2)
	v_cmpx_ne_u16_e32 0x80, v2
	s_cbranch_execz .LBB318_224
; %bb.219:                              ;   in Loop: Header=BB318_9 Depth=1
	v_and_b32_e32 v78, 0x7f, v77
	v_mov_b32_e32 v76, 0x7f800001
	s_mov_b32 s29, exec_lo
	s_delay_alu instid0(VALU_DEP_2)
	v_cmpx_ne_u32_e32 0x7f, v78
	s_cbranch_execz .LBB318_223
; %bb.220:                              ;   in Loop: Header=BB318_9 Depth=1
	v_dual_lshrrev_b32 v76, 3, v78 :: v_dual_bitop2_b32 v2, 7, v77 bitop3:0x40
	s_mov_b32 s30, exec_lo
	v_cmpx_gt_u32_e32 8, v78
; %bb.221:                              ;   in Loop: Header=BB318_9 Depth=1
	s_delay_alu instid0(VALU_DEP_2) | instskip(NEXT) | instid1(VALU_DEP_1)
	v_clz_i32_u32_e32 v76, v2
	v_min_u32_e32 v76, 32, v76
	s_delay_alu instid0(VALU_DEP_1) | instskip(NEXT) | instid1(VALU_DEP_1)
	v_subrev_nc_u32_e32 v78, 28, v76
	v_lshlrev_b64_e32 v[78:79], v78, v[2:3]
	s_delay_alu instid0(VALU_DEP_1)
	v_dual_sub_nc_u32 v76, 29, v76 :: v_dual_bitop2_b32 v2, 7, v78 bitop3:0x40
; %bb.222:                              ;   in Loop: Header=BB318_9 Depth=1
	s_or_b32 exec_lo, exec_lo, s30
	s_delay_alu instid0(VALU_DEP_1) | instskip(NEXT) | instid1(VALU_DEP_2)
	v_dual_lshlrev_b32 v78, 24, v77 :: v_dual_lshlrev_b32 v2, 20, v2
	v_lshl_add_u32 v76, v76, 23, 0x3c000000
	s_delay_alu instid0(VALU_DEP_2) | instskip(NEXT) | instid1(VALU_DEP_1)
	v_and_b32_e32 v78, 0x80000000, v78
	v_or3_b32 v76, v2, v78, v76
.LBB318_223:                            ;   in Loop: Header=BB318_9 Depth=1
	s_or_b32 exec_lo, exec_lo, s29
.LBB318_224:                            ;   in Loop: Header=BB318_9 Depth=1
	s_delay_alu instid0(SALU_CYCLE_1)
	s_or_b32 exec_lo, exec_lo, s28
.LBB318_225:                            ;   in Loop: Header=BB318_9 Depth=1
	s_delay_alu instid0(SALU_CYCLE_1) | instskip(SKIP_2) | instid1(VALU_DEP_1)
	s_or_b32 exec_lo, exec_lo, s27
	v_lshrrev_b16 v2, 8, v77
	s_mov_b32 s27, exec_lo
	v_cmpx_ne_u16_e32 0, v2
	s_cbranch_execz .LBB318_233
; %bb.226:                              ;   in Loop: Header=BB318_9 Depth=1
	v_bfrev_b32_e32 v75, 1
	s_mov_b32 s28, exec_lo
	v_cmpx_ne_u16_e32 0x80, v2
	s_cbranch_execz .LBB318_232
; %bb.227:                              ;   in Loop: Header=BB318_9 Depth=1
	v_and_b32_e32 v2, 0xffff, v2
	v_mov_b32_e32 v75, 0x7f800001
	s_mov_b32 s29, exec_lo
	s_delay_alu instid0(VALU_DEP_2) | instskip(NEXT) | instid1(VALU_DEP_1)
	v_and_b32_e32 v78, 0x7f, v2
	v_cmpx_ne_u32_e32 0x7f, v78
	s_cbranch_execz .LBB318_231
; %bb.228:                              ;   in Loop: Header=BB318_9 Depth=1
	v_and_b32_e32 v2, 7, v2
	v_lshrrev_b32_e32 v75, 3, v78
	s_mov_b32 s30, exec_lo
	v_cmpx_gt_u32_e32 8, v78
; %bb.229:                              ;   in Loop: Header=BB318_9 Depth=1
	s_delay_alu instid0(VALU_DEP_3) | instskip(NEXT) | instid1(VALU_DEP_1)
	v_clz_i32_u32_e32 v75, v2
	v_min_u32_e32 v75, 32, v75
	s_delay_alu instid0(VALU_DEP_1) | instskip(NEXT) | instid1(VALU_DEP_1)
	v_subrev_nc_u32_e32 v78, 28, v75
	v_lshlrev_b64_e32 v[78:79], v78, v[2:3]
	s_delay_alu instid0(VALU_DEP_1)
	v_dual_sub_nc_u32 v75, 29, v75 :: v_dual_bitop2_b32 v2, 7, v78 bitop3:0x40
; %bb.230:                              ;   in Loop: Header=BB318_9 Depth=1
	s_or_b32 exec_lo, exec_lo, s30
	s_delay_alu instid0(VALU_DEP_1) | instskip(NEXT) | instid1(VALU_DEP_2)
	v_dual_lshlrev_b32 v77, 16, v77 :: v_dual_lshlrev_b32 v2, 20, v2
	v_lshl_add_u32 v75, v75, 23, 0x3c000000
	s_delay_alu instid0(VALU_DEP_2) | instskip(NEXT) | instid1(VALU_DEP_1)
	v_and_b32_e32 v77, 0x80000000, v77
	v_or3_b32 v75, v2, v77, v75
.LBB318_231:                            ;   in Loop: Header=BB318_9 Depth=1
	s_or_b32 exec_lo, exec_lo, s29
.LBB318_232:                            ;   in Loop: Header=BB318_9 Depth=1
	s_delay_alu instid0(SALU_CYCLE_1)
	s_or_b32 exec_lo, exec_lo, s28
.LBB318_233:                            ;   in Loop: Header=BB318_9 Depth=1
	s_delay_alu instid0(SALU_CYCLE_1)
	s_or_b32 exec_lo, exec_lo, s27
	global_load_u16 v2, v[8:9], off offset:896
	s_wait_xcnt 0x0
	v_mov_b32_e32 v8, 0
	s_wait_loadcnt 0x0
	v_and_b32_e32 v9, 0xff, v2
	v_and_b32_e32 v77, 0xffff, v2
	s_delay_alu instid0(VALU_DEP_2)
	v_cmp_ne_u16_e64 s4, 0, v9
	v_mov_b32_e32 v9, 0
	s_and_saveexec_b32 s27, s4
	s_cbranch_execz .LBB318_241
; %bb.234:                              ;   in Loop: Header=BB318_9 Depth=1
	v_and_b32_e32 v2, 0xff, v77
	v_bfrev_b32_e32 v9, 1
	s_mov_b32 s28, exec_lo
	s_delay_alu instid0(VALU_DEP_2)
	v_cmpx_ne_u16_e32 0x80, v2
	s_cbranch_execz .LBB318_240
; %bb.235:                              ;   in Loop: Header=BB318_9 Depth=1
	v_and_b32_e32 v78, 0x7f, v77
	v_mov_b32_e32 v9, 0x7f800001
	s_mov_b32 s29, exec_lo
	s_delay_alu instid0(VALU_DEP_2)
	v_cmpx_ne_u32_e32 0x7f, v78
	s_cbranch_execz .LBB318_239
; %bb.236:                              ;   in Loop: Header=BB318_9 Depth=1
	v_dual_lshrrev_b32 v9, 3, v78 :: v_dual_bitop2_b32 v2, 7, v77 bitop3:0x40
	s_mov_b32 s30, exec_lo
	v_cmpx_gt_u32_e32 8, v78
; %bb.237:                              ;   in Loop: Header=BB318_9 Depth=1
	s_delay_alu instid0(VALU_DEP_2) | instskip(NEXT) | instid1(VALU_DEP_1)
	v_clz_i32_u32_e32 v9, v2
	v_min_u32_e32 v9, 32, v9
	s_delay_alu instid0(VALU_DEP_1) | instskip(NEXT) | instid1(VALU_DEP_1)
	v_subrev_nc_u32_e32 v78, 28, v9
	v_lshlrev_b64_e32 v[78:79], v78, v[2:3]
	s_delay_alu instid0(VALU_DEP_1)
	v_dual_sub_nc_u32 v9, 29, v9 :: v_dual_bitop2_b32 v2, 7, v78 bitop3:0x40
; %bb.238:                              ;   in Loop: Header=BB318_9 Depth=1
	s_or_b32 exec_lo, exec_lo, s30
	s_delay_alu instid0(VALU_DEP_1) | instskip(NEXT) | instid1(VALU_DEP_2)
	v_dual_lshlrev_b32 v78, 24, v77 :: v_dual_lshlrev_b32 v2, 20, v2
	v_lshl_add_u32 v9, v9, 23, 0x3c000000
	s_delay_alu instid0(VALU_DEP_2) | instskip(NEXT) | instid1(VALU_DEP_1)
	v_and_b32_e32 v78, 0x80000000, v78
	v_or3_b32 v9, v2, v78, v9
.LBB318_239:                            ;   in Loop: Header=BB318_9 Depth=1
	s_or_b32 exec_lo, exec_lo, s29
.LBB318_240:                            ;   in Loop: Header=BB318_9 Depth=1
	s_delay_alu instid0(SALU_CYCLE_1)
	s_or_b32 exec_lo, exec_lo, s28
.LBB318_241:                            ;   in Loop: Header=BB318_9 Depth=1
	s_delay_alu instid0(SALU_CYCLE_1) | instskip(SKIP_2) | instid1(VALU_DEP_1)
	s_or_b32 exec_lo, exec_lo, s27
	v_lshrrev_b16 v2, 8, v77
	s_mov_b32 s27, exec_lo
	v_cmpx_ne_u16_e32 0, v2
	s_cbranch_execz .LBB318_249
; %bb.242:                              ;   in Loop: Header=BB318_9 Depth=1
	v_bfrev_b32_e32 v8, 1
	s_mov_b32 s28, exec_lo
	v_cmpx_ne_u16_e32 0x80, v2
	s_cbranch_execz .LBB318_248
; %bb.243:                              ;   in Loop: Header=BB318_9 Depth=1
	v_and_b32_e32 v2, 0xffff, v2
	v_mov_b32_e32 v8, 0x7f800001
	s_mov_b32 s29, exec_lo
	s_delay_alu instid0(VALU_DEP_2) | instskip(NEXT) | instid1(VALU_DEP_1)
	v_and_b32_e32 v78, 0x7f, v2
	v_cmpx_ne_u32_e32 0x7f, v78
	s_cbranch_execz .LBB318_247
; %bb.244:                              ;   in Loop: Header=BB318_9 Depth=1
	v_and_b32_e32 v2, 7, v2
	v_lshrrev_b32_e32 v8, 3, v78
	s_mov_b32 s30, exec_lo
	v_cmpx_gt_u32_e32 8, v78
; %bb.245:                              ;   in Loop: Header=BB318_9 Depth=1
	s_delay_alu instid0(VALU_DEP_3) | instskip(NEXT) | instid1(VALU_DEP_1)
	v_clz_i32_u32_e32 v8, v2
	v_min_u32_e32 v8, 32, v8
	s_delay_alu instid0(VALU_DEP_1) | instskip(NEXT) | instid1(VALU_DEP_1)
	v_subrev_nc_u32_e32 v78, 28, v8
	v_lshlrev_b64_e32 v[78:79], v78, v[2:3]
	s_delay_alu instid0(VALU_DEP_1)
	v_dual_sub_nc_u32 v8, 29, v8 :: v_dual_bitop2_b32 v2, 7, v78 bitop3:0x40
; %bb.246:                              ;   in Loop: Header=BB318_9 Depth=1
	s_or_b32 exec_lo, exec_lo, s30
	s_delay_alu instid0(VALU_DEP_1) | instskip(NEXT) | instid1(VALU_DEP_2)
	v_dual_lshlrev_b32 v77, 16, v77 :: v_dual_lshlrev_b32 v2, 20, v2
	v_lshl_add_u32 v8, v8, 23, 0x3c000000
	s_delay_alu instid0(VALU_DEP_2) | instskip(NEXT) | instid1(VALU_DEP_1)
	v_and_b32_e32 v77, 0x80000000, v77
	v_or3_b32 v8, v2, v77, v8
.LBB318_247:                            ;   in Loop: Header=BB318_9 Depth=1
	s_or_b32 exec_lo, exec_lo, s29
.LBB318_248:                            ;   in Loop: Header=BB318_9 Depth=1
	s_delay_alu instid0(SALU_CYCLE_1)
	s_or_b32 exec_lo, exec_lo, s28
.LBB318_249:                            ;   in Loop: Header=BB318_9 Depth=1
	s_delay_alu instid0(SALU_CYCLE_1)
	s_or_b32 exec_lo, exec_lo, s27
	s_wait_kmcnt 0x0
	v_fma_mixlo_bf16 v2, s5, v52, 0
	v_fma_mixlo_bf16 v51, s5, v51, 0
	;; [unrolled: 1-line block ×5, first 2 shown]
	s_delay_alu instid0(VALU_DEP_4) | instskip(SKIP_3) | instid1(VALU_DEP_4)
	v_dual_lshlrev_b32 v2, 16, v2 :: v_dual_lshlrev_b32 v51, 16, v51
	v_fma_mixlo_bf16 v53, s5, v54, 0
	v_fma_mixlo_bf16 v9, s5, v9, 0
	;; [unrolled: 1-line block ×3, first 2 shown]
	v_dual_mul_f32 v2, v15, v2 :: v_dual_mul_f32 v51, v16, v51
	s_delay_alu instid0(VALU_DEP_1) | instskip(NEXT) | instid1(VALU_DEP_2)
	v_fma_mix_f32_bf16 v2, v13, v50, v2 op_sel_hi:[0,1,0]
	v_fma_mix_f32_bf16 v49, v14, v49, v51 op_sel_hi:[0,1,0]
	v_fma_mixlo_bf16 v50, s5, v55, 0
	v_fma_mixlo_bf16 v51, s5, v56, 0
	s_delay_alu instid0(VALU_DEP_4) | instskip(NEXT) | instid1(VALU_DEP_4)
	v_fma_mix_f32_bf16 v2, v17, v53, v2 op_sel_hi:[0,1,0]
	v_fma_mix_f32_bf16 v49, v18, v52, v49 op_sel_hi:[0,1,0]
	v_fma_mixlo_bf16 v52, s5, v57, 0
	v_fma_mixlo_bf16 v53, s5, v58, 0
	s_delay_alu instid0(VALU_DEP_4) | instskip(NEXT) | instid1(VALU_DEP_4)
	;; [unrolled: 5-line block ×11, first 2 shown]
	v_fma_mix_f32_bf16 v2, v37, v53, v2 op_sel_hi:[0,1,0]
	v_fma_mix_f32_bf16 v49, v38, v52, v49 op_sel_hi:[0,1,0]
	s_delay_alu instid0(VALU_DEP_2) | instskip(NEXT) | instid1(VALU_DEP_2)
	v_fma_mix_f32_bf16 v2, v39, v51, v2 op_sel_hi:[0,1,0]
	v_fma_mix_f32_bf16 v49, v40, v50, v49 op_sel_hi:[0,1,0]
	s_delay_alu instid0(VALU_DEP_2) | instskip(NEXT) | instid1(VALU_DEP_2)
	v_fma_mix_f32_bf16 v2, v42, v9, v2 op_sel_hi:[0,1,0]
	v_fma_mix_f32_bf16 v8, v43, v8, v49 op_sel_hi:[0,1,0]
	s_delay_alu instid0(VALU_DEP_1)
	v_add_f32_e32 v2, v2, v8
	ds_bpermute_b32 v8, v44, v2
	s_wait_dscnt 0x0
	v_add_f32_e32 v2, v2, v8
	ds_bpermute_b32 v8, v45, v2
	s_and_saveexec_b32 s27, vcc_lo
	s_cbranch_execz .LBB318_8
; %bb.250:                              ;   in Loop: Header=BB318_9 Depth=1
	s_wait_dscnt 0x0
	v_dual_add_f32 v2, v2, v8 :: v_dual_add_nc_u32 v9, s26, v46
	v_cmp_gt_i32_e64 s4, s23, v46
	s_delay_alu instid0(VALU_DEP_2) | instskip(NEXT) | instid1(VALU_DEP_1)
	v_cvt_f32_i32_e32 v9, v9
	v_mul_f32_e32 v9, s18, v9
	s_delay_alu instid0(VALU_DEP_1) | instskip(NEXT) | instid1(VALU_DEP_1)
	v_cndmask_b32_e64 v8, 0, v9, s3
	v_dual_fmac_f32 v8, s19, v2 :: v_dual_max_num_f32 v9, v41, v41
	s_delay_alu instid0(VALU_DEP_1) | instskip(NEXT) | instid1(VALU_DEP_1)
	v_dual_max_num_f32 v2, v9, v8 :: v_dual_cndmask_b32 v8, 0, v8, s4
	v_cndmask_b32_e64 v41, v41, v2, s4
	ds_store_b32 v47, v8
	s_branch .LBB318_8
.LBB318_251:
	s_or_b32 exec_lo, exec_lo, s11
.LBB318_252:
	s_delay_alu instid0(SALU_CYCLE_1)
	s_or_b32 exec_lo, exec_lo, s24
	v_dual_max_num_f32 v6, v41, v41 :: v_dual_bitop2_b32 v2, 16, v10 bitop3:0x14
	v_xor_b32_e32 v5, 8, v10
	s_wait_kmcnt 0x0
	s_clause 0x1
	s_load_b64 s[4:5], s[0:1], 0x0
	s_load_b64 s[18:19], s[0:1], 0x18
	v_and_b32_e32 v28, 31, v0
	v_cmp_lt_i32_e32 vcc_lo, v2, v11
	v_cndmask_b32_e32 v2, v10, v2, vcc_lo
	v_cmp_lt_i32_e32 vcc_lo, v5, v11
	s_delay_alu instid0(VALU_DEP_2) | instskip(SKIP_3) | instid1(VALU_DEP_1)
	v_dual_cndmask_b32 v5, v10, v5 :: v_dual_lshlrev_b32 v2, 2, v2
	ds_bpermute_b32 v4, v2, v41
	s_wait_dscnt 0x0
	v_dual_max_num_f32 v7, v4, v4 :: v_dual_lshlrev_b32 v4, 2, v5
	v_dual_max_num_f32 v5, v6, v7 :: v_dual_bitop2_b32 v7, 4, v10 bitop3:0x14
	ds_bpermute_b32 v6, v4, v5
	s_wait_dscnt 0x0
	v_max_num_f32_e32 v6, v6, v6
	s_delay_alu instid0(VALU_DEP_1) | instskip(SKIP_3) | instid1(VALU_DEP_2)
	v_dual_max_num_f32 v6, v5, v6 :: v_dual_lshlrev_b32 v5, 2, v1
	v_cmp_lt_i32_e32 vcc_lo, v7, v11
	v_cndmask_b32_e32 v7, v10, v7, vcc_lo
	v_cmp_eq_u32_e32 vcc_lo, 0, v28
	v_lshlrev_b32_e32 v7, 2, v7
	ds_bpermute_b32 v8, v7, v6
	s_wait_xcnt 0x0
	s_and_saveexec_b32 s0, vcc_lo
	s_cbranch_execz .LBB318_254
; %bb.253:
	s_wait_dscnt 0x0
	v_dual_max_num_f32 v8, v8, v8 :: v_dual_max_num_f32 v6, v6, v6
	s_delay_alu instid0(VALU_DEP_1)
	v_max_num_f32_e32 v6, v6, v8
	ds_store_b32 v5, v6 offset:240
.LBB318_254:
	s_or_b32 exec_lo, exec_lo, s0
	v_cmp_gt_u32_e64 s0, 4, v28
	v_dual_mov_b32 v9, 0xff7fffff :: v_dual_lshlrev_b32 v6, 2, v28
	s_wait_dscnt 0x0
	s_barrier_signal -1
	s_barrier_wait -1
	s_and_saveexec_b32 s1, s0
; %bb.255:
	ds_load_b32 v9, v6 offset:240
; %bb.256:
	s_or_b32 exec_lo, exec_lo, s1
	s_wait_dscnt 0x0
	v_dual_max_num_f32 v15, v9, v9 :: v_dual_bitop2_b32 v8, 2, v10 bitop3:0x14
	v_lshl_add_u32 v29, v0, 2, 0x110
	v_dual_lshlrev_b32 v3, 2, v3 :: v_dual_bitop2_b32 v14, 1, v10 bitop3:0x14
	s_delay_alu instid0(VALU_DEP_3) | instskip(NEXT) | instid1(VALU_DEP_1)
	v_cmp_lt_i32_e64 s1, v8, v11
	v_cndmask_b32_e64 v8, v10, v8, s1
	s_delay_alu instid0(VALU_DEP_3) | instskip(NEXT) | instid1(VALU_DEP_2)
	v_cmp_lt_i32_e64 s1, v14, v11
	v_lshlrev_b32_e32 v8, 2, v8
	ds_bpermute_b32 v13, v8, v9
	v_cndmask_b32_e64 v9, v10, v14, s1
	s_lshl_b32 s1, s13, 3
	s_delay_alu instid0(SALU_CYCLE_1) | instskip(NEXT) | instid1(SALU_CYCLE_1)
	s_min_i32 s11, s1, s23
	v_cmp_gt_i32_e64 s1, s11, v0
	s_wait_dscnt 0x0
	v_max_num_f32_e32 v11, v13, v13
	s_delay_alu instid0(VALU_DEP_1) | instskip(SKIP_3) | instid1(VALU_DEP_1)
	v_dual_lshlrev_b32 v9, 2, v9 :: v_dual_max_num_f32 v11, v15, v11
	ds_bpermute_b32 v13, v9, v11
	s_wait_dscnt 0x0
	v_max_num_f32_e32 v13, v13, v13
	v_max_num_f32_e32 v11, v11, v13
	ds_bpermute_b32 v11, v3, v11
	v_mov_b32_e32 v3, 0
	s_and_saveexec_b32 s24, s1
	s_cbranch_execz .LBB318_260
; %bb.257:
	v_lshl_add_u32 v13, v0, 2, 0x110
	v_dual_mov_b32 v3, 0 :: v_dual_mov_b32 v14, v0
	s_mov_b32 s25, 0
.LBB318_258:                            ; =>This Inner Loop Header: Depth=1
	ds_load_b32 v15, v13
	v_add_nc_u32_e32 v14, 0x80, v14
	s_delay_alu instid0(VALU_DEP_1) | instskip(SKIP_3) | instid1(VALU_DEP_1)
	v_cmp_le_i32_e64 s3, s11, v14
	s_or_b32 s25, s3, s25
	s_wait_dscnt 0x0
	v_sub_f32_e32 v15, v15, v11
	v_mul_f32_e32 v15, 0x3fb8aa3b, v15
	s_delay_alu instid0(VALU_DEP_1)
	v_exp_f32_e32 v15, v15
	ds_store_b32 v13, v15
	v_nop
	v_add_f32_e32 v3, v3, v15
	v_add_nc_u32_e32 v13, 0x200, v13
	s_and_not1_b32 exec_lo, exec_lo, s25
	s_cbranch_execnz .LBB318_258
; %bb.259:
	s_or_b32 exec_lo, exec_lo, s25
.LBB318_260:
	s_delay_alu instid0(SALU_CYCLE_1)
	s_or_b32 exec_lo, exec_lo, s24
	ds_bpermute_b32 v2, v2, v3
	s_wait_dscnt 0x0
	v_add_f32_e32 v2, v3, v2
	ds_bpermute_b32 v3, v4, v2
	s_wait_dscnt 0x0
	v_add_f32_e32 v2, v2, v3
	;; [unrolled: 3-line block ×5, first 2 shown]
	s_and_saveexec_b32 s3, vcc_lo
; %bb.261:
	ds_store_b32 v5, v2 offset:256
; %bb.262:
	s_or_b32 exec_lo, exec_lo, s3
	s_wait_dscnt 0x0
	s_barrier_signal -1
	s_barrier_wait -1
	s_and_saveexec_b32 s3, s0
; %bb.263:
	ds_load_b32 v2, v6 offset:256
; %bb.264:
	s_or_b32 exec_lo, exec_lo, s3
	s_wait_dscnt 0x0
	ds_bpermute_b32 v3, v8, v2
	s_wait_dscnt 0x0
	v_dual_lshlrev_b32 v4, 2, v10 :: v_dual_add_f32 v2, v2, v3
	ds_bpermute_b32 v3, v9, v2
	s_wait_dscnt 0x0
	v_add_f32_e32 v2, v2, v3
	v_and_b32_e32 v3, 0xffffff80, v4
	ds_bpermute_b32 v2, v3, v2
	s_and_saveexec_b32 s0, s1
	s_cbranch_execz .LBB318_277
; %bb.265:
	s_wait_dscnt 0x0
	v_add_f32_e32 v2, 0x358637bd, v2
	s_mov_b32 s3, -1
	s_mov_b32 s1, exec_lo
	s_delay_alu instid0(VALU_DEP_1) | instskip(NEXT) | instid1(VALU_DEP_1)
	v_div_scale_f32 v3, null, v2, v2, 1.0
	v_rcp_f32_e32 v5, v3
	v_nop
	s_delay_alu instid0(TRANS32_DEP_1) | instskip(NEXT) | instid1(VALU_DEP_1)
	v_fma_f32 v4, -v3, v5, 1.0
	v_fmac_f32_e32 v5, v4, v5
	v_div_scale_f32 v6, vcc_lo, 1.0, v2, 1.0
	s_delay_alu instid0(VALU_DEP_1) | instskip(NEXT) | instid1(VALU_DEP_1)
	v_mul_f32_e32 v7, v6, v5
	v_fma_f32 v4, -v3, v7, v6
	s_delay_alu instid0(VALU_DEP_1) | instskip(SKIP_1) | instid1(VALU_DEP_2)
	v_fmac_f32_e32 v7, v4, v5
	v_xad_u32 v4, v0, -1, s11
	v_fma_f32 v3, -v3, v7, v6
	s_delay_alu instid0(VALU_DEP_1) | instskip(NEXT) | instid1(VALU_DEP_1)
	v_div_fmas_f32 v3, v3, v5, v7
	v_div_fixup_f32 v2, v3, v2, 1.0
	v_mov_b32_e32 v3, v0
	v_cmpx_lt_u32_e32 0x7f, v4
	s_cbranch_execz .LBB318_274
; %bb.266:
	s_delay_alu instid0(VALU_DEP_3) | instskip(NEXT) | instid1(VALU_DEP_1)
	v_dual_mov_b32 v3, v2 :: v_dual_lshrrev_b32 v4, 7, v4
	v_dual_mov_b32 v8, 0 :: v_dual_add_nc_u32 v5, -1, v4
	s_delay_alu instid0(VALU_DEP_1) | instskip(SKIP_1) | instid1(VALU_DEP_2)
	v_lshrrev_b32_e32 v6, 1, v5
	v_cmp_lt_u32_e32 vcc_lo, 13, v5
	v_add_nc_u32_e32 v5, 1, v6
	s_and_saveexec_b32 s3, vcc_lo
	s_cbranch_execz .LBB318_270
; %bb.267:
	s_delay_alu instid0(VALU_DEP_1)
	v_dual_mov_b32 v7, v29 :: v_dual_bitop2_b32 v6, -8, v5 bitop3:0x40
	s_mov_b32 s24, 0
	s_mov_b32 s25, 0
.LBB318_268:                            ; =>This Inner Loop Header: Depth=1
	ds_load_2addr_stride64_b32 v[8:9], v7 offset1:2
	ds_load_2addr_stride64_b32 v[10:11], v7 offset0:4 offset1:6
	ds_load_2addr_stride64_b32 v[14:15], v7 offset0:8 offset1:10
	;; [unrolled: 1-line block ×7, first 2 shown]
	s_add_co_i32 s25, s25, 16
	v_add_nc_u32_e32 v6, -8, v6
	s_wait_dscnt 0x7
	v_pk_mul_f32 v[8:9], v[2:3], v[8:9]
	s_wait_dscnt 0x6
	v_pk_mul_f32 v[10:11], v[2:3], v[10:11]
	s_wait_dscnt 0x5
	v_pk_mul_f32 v[14:15], v[2:3], v[14:15]
	s_wait_dscnt 0x4
	v_pk_mul_f32 v[16:17], v[2:3], v[16:17]
	s_wait_dscnt 0x3
	v_pk_mul_f32 v[18:19], v[2:3], v[18:19]
	s_wait_dscnt 0x2
	v_pk_mul_f32 v[20:21], v[2:3], v[20:21]
	s_wait_dscnt 0x1
	v_pk_mul_f32 v[22:23], v[2:3], v[22:23]
	s_wait_dscnt 0x0
	v_pk_mul_f32 v[24:25], v[2:3], v[24:25]
	ds_store_2addr_stride64_b32 v7, v8, v9 offset1:2
	ds_store_2addr_stride64_b32 v7, v10, v11 offset0:4 offset1:6
	ds_store_2addr_stride64_b32 v7, v14, v15 offset0:8 offset1:10
	ds_store_2addr_stride64_b32 v7, v16, v17 offset0:12 offset1:14
	ds_store_2addr_stride64_b32 v7, v18, v19 offset0:16 offset1:18
	ds_store_2addr_stride64_b32 v7, v20, v21 offset0:20 offset1:22
	ds_store_2addr_stride64_b32 v7, v22, v23 offset0:24 offset1:26
	ds_store_2addr_stride64_b32 v7, v24, v25 offset0:28 offset1:30
	v_mov_b32_e32 v8, s25
	v_cmp_eq_u32_e32 vcc_lo, 0, v6
	v_add_nc_u32_e32 v7, 0x2000, v7
	s_or_b32 s24, vcc_lo, s24
	s_delay_alu instid0(SALU_CYCLE_1)
	s_and_not1_b32 exec_lo, exec_lo, s24
	s_cbranch_execnz .LBB318_268
; %bb.269:
	s_or_b32 exec_lo, exec_lo, s24
.LBB318_270:
	s_delay_alu instid0(SALU_CYCLE_1) | instskip(NEXT) | instid1(VALU_DEP_1)
	s_or_b32 exec_lo, exec_lo, s3
	v_and_b32_e32 v5, 7, v5
	s_mov_b32 s24, 0
	s_mov_b32 s3, exec_lo
	s_delay_alu instid0(VALU_DEP_1)
	v_cmpx_ne_u32_e32 0, v5
	s_cbranch_execz .LBB318_273
; %bb.271:
	v_lshlrev_b32_e32 v6, 9, v8
	v_lshlrev_b32_e32 v7, 2, v0
	s_delay_alu instid0(VALU_DEP_1)
	v_add3_u32 v6, v6, v7, 0x110
.LBB318_272:                            ; =>This Inner Loop Header: Depth=1
	ds_load_2addr_stride64_b32 v[8:9], v6 offset1:2
	v_add_nc_u32_e32 v5, -1, v5
	s_delay_alu instid0(VALU_DEP_1)
	v_cmp_eq_u32_e32 vcc_lo, 0, v5
	s_or_b32 s24, vcc_lo, s24
	s_wait_dscnt 0x0
	v_pk_mul_f32 v[8:9], v[2:3], v[8:9]
	ds_store_2addr_stride64_b32 v6, v8, v9 offset1:2
	v_add_nc_u32_e32 v6, 0x400, v6
	s_and_not1_b32 exec_lo, exec_lo, s24
	s_cbranch_execnz .LBB318_272
.LBB318_273:
	s_or_b32 exec_lo, exec_lo, s3
	v_add_nc_u32_e32 v3, 1, v4
	s_delay_alu instid0(VALU_DEP_1) | instskip(NEXT) | instid1(VALU_DEP_1)
	v_and_b32_e32 v4, 0x3fffffe, v3
	v_cmp_ne_u32_e32 vcc_lo, v3, v4
	v_lshl_add_u32 v3, v4, 7, v0
	s_or_not1_b32 s3, vcc_lo, exec_lo
.LBB318_274:
	s_or_b32 exec_lo, exec_lo, s1
	s_delay_alu instid0(SALU_CYCLE_1)
	s_and_b32 exec_lo, exec_lo, s3
	s_cbranch_execz .LBB318_277
; %bb.275:
	v_lshl_add_u32 v4, v3, 2, 0x110
	s_mov_b32 s1, 0
.LBB318_276:                            ; =>This Inner Loop Header: Depth=1
	ds_load_b32 v5, v4
	v_add_nc_u32_e32 v3, 0x80, v3
	s_delay_alu instid0(VALU_DEP_1)
	v_cmp_le_i32_e32 vcc_lo, s11, v3
	s_or_b32 s1, vcc_lo, s1
	s_wait_dscnt 0x0
	v_mul_f32_e32 v5, v2, v5
	ds_store_b32 v4, v5
	v_add_nc_u32_e32 v4, 0x200, v4
	s_and_not1_b32 exec_lo, exec_lo, s1
	s_cbranch_execnz .LBB318_276
.LBB318_277:
	s_or_b32 exec_lo, exec_lo, s0
	v_mov_b64_e32 v[10:11], 0
	v_dual_mov_b32 v31, 0 :: v_dual_mov_b32 v30, 0
	s_wait_dscnt 0x0
	s_barrier_signal -1
	s_barrier_wait -1
	s_and_saveexec_b32 s24, s2
	s_cbranch_execz .LBB318_531
; %bb.278:
	s_load_b32 s25, s[6:7], 0x0
	v_dual_mov_b32 v13, 0 :: v_dual_lshlrev_b32 v14, 3, v28
	v_and_b32_e32 v12, 0x7c, v12
	s_lshl_b64 s[0:1], s[14:15], 2
	v_or_b32_e32 v2, 0x60, v28
	s_add_nc_u64 s[0:1], s[16:17], s[0:1]
	v_mov_b32_e32 v15, v13
	v_add_nc_u64_e32 v[18:19], s[0:1], v[12:13]
	v_dual_mov_b32 v17, v13 :: v_dual_mov_b32 v30, 0
	v_lshlrev_b32_e32 v16, 3, v2
	v_lshl_or_b32 v32, v1, 3, 7
	v_lshl_add_u32 v33, v1, 5, 0x110
	v_dual_mov_b32 v31, 0 :: v_dual_mov_b32 v11, 0
	v_dual_mov_b32 v10, 0 :: v_dual_mov_b32 v34, v1
	s_ashr_i32 s11, s10, 31
	s_mov_b64 s[2:3], 0xffffffffffffff
	s_wait_kmcnt 0x0
	s_add_nc_u64 s[6:7], s[18:19], s[10:11]
	s_add_co_i32 s11, s13, -1
	s_mov_b32 s10, 0
	v_cmp_gt_u32_e32 vcc_lo, 0x78, v2
	s_branch .LBB318_281
.LBB318_279:                            ;   in Loop: Header=BB318_281 Depth=1
	s_or_b32 exec_lo, exec_lo, s1
	v_perm_b32 v9, v20, v9, 0x5040100
	v_perm_b32 v12, v12, v21, 0x5040100
	;; [unrolled: 1-line block ×4, first 2 shown]
	s_delay_alu instid0(VALU_DEP_4) | instskip(NEXT) | instid1(VALU_DEP_4)
	v_pk_mul_bf16 v3, v52, v9
	v_pk_mul_bf16 v9, v8, v12
	s_delay_alu instid0(VALU_DEP_4) | instskip(NEXT) | instid1(VALU_DEP_4)
	v_pk_mul_bf16 v2, v7, v2
	v_pk_mul_bf16 v4, v6, v4
	s_delay_alu instid0(VALU_DEP_3) | instskip(SKIP_4) | instid1(VALU_DEP_1)
	v_dual_lshlrev_b32 v5, 16, v3 :: v_dual_lshlrev_b32 v12, 16, v9
	v_and_b32_e32 v3, 0xffff0000, v3
	v_and_b32_e32 v9, 0xffff0000, v9
	v_lshlrev_b32_e32 v20, 16, v2
	v_and_b32_e32 v2, 0xffff0000, v2
	v_dual_add_f32 v3, v3, v5 :: v_dual_add_f32 v2, v2, v20
	s_delay_alu instid0(VALU_DEP_4) | instskip(SKIP_2) | instid1(VALU_DEP_3)
	v_add_f32_e32 v5, v9, v12
	v_lshlrev_b32_e32 v9, 16, v4
	v_and_b32_e32 v4, 0xffff0000, v4
	v_add_f32_e32 v3, v5, v3
	s_delay_alu instid0(VALU_DEP_1) | instskip(NEXT) | instid1(VALU_DEP_1)
	v_dual_add_f32 v2, v2, v3 :: v_dual_add_f32 v3, v4, v9
	v_add_f32_e32 v2, v3, v2
	s_delay_alu instid0(VALU_DEP_1)
	v_add_f32_e32 v30, v30, v2
.LBB318_280:                            ;   in Loop: Header=BB318_281 Depth=1
	s_or_b32 exec_lo, exec_lo, s14
	v_perm_b32 v2, v53, v54, 0x5040100
	v_perm_b32 v3, v50, v51, 0x5040100
	;; [unrolled: 1-line block ×5, first 2 shown]
	v_pk_mul_bf16 v2, v52, v2
	v_pk_mul_bf16 v3, v8, v3
	;; [unrolled: 1-line block ×4, first 2 shown]
	v_perm_b32 v22, v45, v44, 0x5040100
	s_delay_alu instid0(VALU_DEP_4)
	v_dual_lshlrev_b32 v9, 16, v2 :: v_dual_lshlrev_b32 v12, 16, v3
	v_and_b32_e32 v2, 0xffff0000, v2
	v_and_b32_e32 v3, 0xffff0000, v3
	v_lshlrev_b32_e32 v21, 16, v4
	v_and_b32_e32 v4, 0xffff0000, v4
	v_pk_mul_bf16 v22, v6, v22
	s_delay_alu instid0(VALU_DEP_4)
	v_dual_add_f32 v2, v9, v2 :: v_dual_add_f32 v3, v12, v3
	v_perm_b32 v9, v46, v47, 0x5040100
	v_pk_mul_bf16 v12, v52, v20
	v_add_f32_e32 v4, v21, v4
	v_perm_b32 v21, v26, v27, 0x5040100
	v_add_f32_e32 v2, v3, v2
	v_pk_mul_bf16 v3, v8, v9
	v_dual_lshlrev_b32 v9, 16, v5 :: v_dual_lshlrev_b32 v20, 16, v12
	v_and_b32_e32 v12, 0xffff0000, v12
	s_delay_alu instid0(VALU_DEP_3) | instskip(SKIP_2) | instid1(VALU_DEP_4)
	v_dual_add_f32 v2, v4, v2 :: v_dual_lshlrev_b32 v4, 16, v3
	v_and_b32_e32 v3, 0xffff0000, v3
	v_and_b32_e32 v5, 0xffff0000, v5
	v_add_f32_e32 v12, v20, v12
	v_pk_mul_bf16 v20, v7, v21
	v_perm_b32 v21, v39, v40, 0x5040100
	v_add_f32_e32 v3, v4, v3
	v_perm_b32 v4, v41, v42, 0x5040100
	v_add_nc_u64_e32 v[18:19], 16, v[18:19]
	v_add_nc_u32_e32 v33, 0x80, v33
	v_pk_mul_bf16 v8, v8, v21
	v_perm_b32 v21, v37, v38, 0x5040100
	v_pk_mul_bf16 v4, v52, v4
	v_dual_add_f32 v5, v9, v5 :: v_dual_add_nc_u32 v34, 4, v34
	v_add_nc_u32_e32 v32, 32, v32
	s_delay_alu instid0(VALU_DEP_4)
	v_pk_mul_bf16 v7, v7, v21
	v_add_f32_e32 v3, v3, v12
	v_lshlrev_b32_e32 v12, 16, v20
	v_and_b32_e32 v20, 0xffff0000, v20
	v_lshlrev_b32_e32 v23, 16, v4
	v_and_b32_e32 v4, 0xffff0000, v4
	;; [unrolled: 2-line block ×4, first 2 shown]
	v_add_f32_e32 v12, v12, v20
	v_perm_b32 v20, v36, v35, 0x5040100
	v_add_f32_e32 v7, v21, v7
	s_delay_alu instid0(VALU_DEP_4) | instskip(SKIP_1) | instid1(VALU_DEP_4)
	v_dual_add_f32 v2, v5, v2 :: v_dual_add_f32 v8, v24, v8
	v_cmp_le_i32_e64 s0, s13, v34
	v_pk_mul_bf16 v6, v6, v20
	v_dual_lshlrev_b32 v20, 16, v22 :: v_dual_add_f32 v4, v23, v4
	v_and_b32_e32 v22, 0xffff0000, v22
	s_or_b32 s10, s0, s10
	s_delay_alu instid0(VALU_DEP_2) | instskip(SKIP_1) | instid1(VALU_DEP_1)
	v_dual_add_f32 v4, v8, v4 :: v_dual_lshlrev_b32 v8, 16, v6
	v_and_b32_e32 v6, 0xffff0000, v6
	v_add_f32_e32 v6, v8, v6
	s_delay_alu instid0(VALU_DEP_3) | instskip(NEXT) | instid1(VALU_DEP_1)
	v_dual_add_f32 v3, v12, v3 :: v_dual_add_f32 v4, v7, v4
	v_dual_add_f32 v9, v20, v22 :: v_dual_add_f32 v4, v6, v4
	s_delay_alu instid0(VALU_DEP_1) | instskip(NEXT) | instid1(VALU_DEP_1)
	v_dual_add_f32 v3, v9, v3 :: v_dual_add_f32 v31, v31, v2
	v_dual_add_f32 v10, v10, v4 :: v_dual_add_f32 v11, v11, v3
	s_and_not1_b32 exec_lo, exec_lo, s10
	s_cbranch_execz .LBB318_530
.LBB318_281:                            ; =>This Inner Loop Header: Depth=1
	global_load_b32 v2, v[18:19], off
	v_mov_b32_e32 v35, 0
	s_mov_b32 s1, exec_lo
	s_wait_loadcnt 0x0
	v_mad_nc_i64_i32 v[20:21], v2, s9, s[6:7]
	s_delay_alu instid0(VALU_DEP_1)
	v_add_nc_u64_e32 v[22:23], v[20:21], v[14:15]
	global_load_b64 v[24:25], v[22:23], off
	ds_load_2addr_b64 v[6:9], v33 offset1:1
	ds_load_2addr_b64 v[2:5], v33 offset0:2 offset1:3
	s_wait_loadcnt 0x0
	v_and_b32_e32 v12, 0xff, v24
	s_delay_alu instid0(VALU_DEP_1)
	v_cmpx_ne_u16_e32 0, v12
	s_cbranch_execz .LBB318_287
; %bb.282:                              ;   in Loop: Header=BB318_281 Depth=1
	v_bfrev_b32_e32 v35, 1
	s_mov_b32 s14, exec_lo
	v_cmpx_ne_u16_e32 0x80, v12
	s_cbranch_execz .LBB318_286
; %bb.283:                              ;   in Loop: Header=BB318_281 Depth=1
	v_and_b32_e32 v12, 0x7f, v24
	v_mov_b32_e32 v35, 0x7f800001
	s_mov_b32 s15, exec_lo
	s_delay_alu instid0(VALU_DEP_2)
	v_cmpx_ne_u32_e32 0x7f, v12
	s_cbranch_execz .LBB318_285
; %bb.284:                              ;   in Loop: Header=BB318_281 Depth=1
	v_and_b32_e32 v26, 7, v24
	v_cmp_gt_u32_e64 s0, 8, v12
	s_delay_alu instid0(VALU_DEP_2) | instskip(NEXT) | instid1(VALU_DEP_1)
	v_clz_i32_u32_e32 v26, v26
	v_min_u32_e32 v26, 32, v26
	v_lshrrev_b32_e32 v27, 3, v12
	s_delay_alu instid0(VALU_DEP_2) | instskip(SKIP_1) | instid1(VALU_DEP_1)
	v_subrev_nc_u32_e32 v35, 28, v26
	v_sub_nc_u32_e32 v26, 29, v26
	v_dual_cndmask_b32 v12, v27, v26, s0 :: v_dual_cndmask_b32 v26, 0, v35, s0
	s_delay_alu instid0(VALU_DEP_1) | instskip(NEXT) | instid1(VALU_DEP_2)
	v_lshl_add_u32 v12, v12, 23, 0x3c000000
	v_lshlrev_b64_e32 v[26:27], v26, v[24:25]
	v_lshlrev_b32_e32 v27, 24, v24
	s_delay_alu instid0(VALU_DEP_1) | instskip(NEXT) | instid1(VALU_DEP_3)
	v_and_b32_e32 v27, 0x80000000, v27
	v_lshlrev_b32_e32 v26, 20, v26
	s_delay_alu instid0(VALU_DEP_1) | instskip(NEXT) | instid1(VALU_DEP_1)
	v_and_b32_e32 v26, 0x700000, v26
	v_or3_b32 v35, v26, v27, v12
.LBB318_285:                            ;   in Loop: Header=BB318_281 Depth=1
	s_or_b32 exec_lo, exec_lo, s15
.LBB318_286:                            ;   in Loop: Header=BB318_281 Depth=1
	s_delay_alu instid0(SALU_CYCLE_1)
	s_or_b32 exec_lo, exec_lo, s14
.LBB318_287:                            ;   in Loop: Header=BB318_281 Depth=1
	s_delay_alu instid0(SALU_CYCLE_1) | instskip(SKIP_3) | instid1(VALU_DEP_2)
	s_or_b32 exec_lo, exec_lo, s1
	v_lshrrev_b16 v12, 8, v24
	v_dual_mov_b32 v36, 0 :: v_dual_mov_b32 v41, 0
	s_mov_b32 s1, exec_lo
	v_cmpx_ne_u16_e32 0, v12
	s_cbranch_execz .LBB318_295
; %bb.288:                              ;   in Loop: Header=BB318_281 Depth=1
	v_bfrev_b32_e32 v41, 1
	s_mov_b32 s14, exec_lo
	v_cmpx_ne_u16_e32 0x80, v12
	s_cbranch_execz .LBB318_294
; %bb.289:                              ;   in Loop: Header=BB318_281 Depth=1
	v_and_b32_e32 v12, 0xffff, v12
	v_mov_b32_e32 v41, 0x7f800001
	s_mov_b32 s15, exec_lo
	s_delay_alu instid0(VALU_DEP_2) | instskip(NEXT) | instid1(VALU_DEP_1)
	v_and_b32_e32 v27, 0x7f, v12
	v_cmpx_ne_u32_e32 0x7f, v27
	s_cbranch_execz .LBB318_293
; %bb.290:                              ;   in Loop: Header=BB318_281 Depth=1
	v_dual_lshrrev_b32 v26, 3, v27 :: v_dual_bitop2_b32 v12, 7, v12 bitop3:0x40
	s_mov_b32 s16, exec_lo
	v_cmpx_gt_u32_e32 8, v27
; %bb.291:                              ;   in Loop: Header=BB318_281 Depth=1
	s_delay_alu instid0(VALU_DEP_2) | instskip(NEXT) | instid1(VALU_DEP_1)
	v_clz_i32_u32_e32 v26, v12
	v_min_u32_e32 v26, 32, v26
	s_delay_alu instid0(VALU_DEP_1) | instskip(SKIP_1) | instid1(VALU_DEP_2)
	v_subrev_nc_u32_e32 v27, 28, v26
	v_sub_nc_u32_e32 v26, 29, v26
	v_lshlrev_b64_e32 v[38:39], v27, v[12:13]
	s_delay_alu instid0(VALU_DEP_1)
	v_and_b32_e32 v12, 7, v38
; %bb.292:                              ;   in Loop: Header=BB318_281 Depth=1
	s_or_b32 exec_lo, exec_lo, s16
	v_lshlrev_b32_e32 v27, 16, v24
	s_delay_alu instid0(VALU_DEP_2) | instskip(SKIP_1) | instid1(VALU_DEP_3)
	v_lshlrev_b32_e32 v12, 20, v12
	v_lshl_add_u32 v26, v26, 23, 0x3c000000
	v_and_b32_e32 v27, 0x80000000, v27
	s_delay_alu instid0(VALU_DEP_1)
	v_or3_b32 v41, v12, v27, v26
.LBB318_293:                            ;   in Loop: Header=BB318_281 Depth=1
	s_or_b32 exec_lo, exec_lo, s15
.LBB318_294:                            ;   in Loop: Header=BB318_281 Depth=1
	s_delay_alu instid0(SALU_CYCLE_1)
	s_or_b32 exec_lo, exec_lo, s14
.LBB318_295:                            ;   in Loop: Header=BB318_281 Depth=1
	s_delay_alu instid0(SALU_CYCLE_1) | instskip(SKIP_2) | instid1(VALU_DEP_1)
	s_or_b32 exec_lo, exec_lo, s1
	v_lshrrev_b32_e32 v26, 16, v24
	s_mov_b32 s1, exec_lo
	v_and_b32_e32 v12, 0xff, v26
	s_delay_alu instid0(VALU_DEP_1)
	v_cmpx_ne_u16_e32 0, v12
	s_cbranch_execz .LBB318_303
; %bb.296:                              ;   in Loop: Header=BB318_281 Depth=1
	v_bfrev_b32_e32 v36, 1
	s_mov_b32 s14, exec_lo
	v_cmpx_ne_u16_e32 0x80, v12
	s_cbranch_execz .LBB318_302
; %bb.297:                              ;   in Loop: Header=BB318_281 Depth=1
	v_bfe_u32 v37, v24, 16, 7
	v_mov_b32_e32 v36, 0x7f800001
	s_mov_b32 s15, exec_lo
	s_delay_alu instid0(VALU_DEP_2)
	v_cmpx_ne_u32_e32 0x7f, v37
	s_cbranch_execz .LBB318_301
; %bb.298:                              ;   in Loop: Header=BB318_281 Depth=1
	v_dual_lshrrev_b32 v27, 3, v37 :: v_dual_bitop2_b32 v12, 7, v26 bitop3:0x40
	s_mov_b32 s16, exec_lo
	v_cmpx_gt_u32_e32 8, v37
; %bb.299:                              ;   in Loop: Header=BB318_281 Depth=1
	s_delay_alu instid0(VALU_DEP_2) | instskip(NEXT) | instid1(VALU_DEP_1)
	v_clz_i32_u32_e32 v27, v12
	v_min_u32_e32 v27, 32, v27
	s_delay_alu instid0(VALU_DEP_1) | instskip(NEXT) | instid1(VALU_DEP_1)
	v_subrev_nc_u32_e32 v36, 28, v27
	v_lshlrev_b64_e32 v[36:37], v36, v[12:13]
	s_delay_alu instid0(VALU_DEP_1)
	v_dual_sub_nc_u32 v27, 29, v27 :: v_dual_bitop2_b32 v12, 7, v36 bitop3:0x40
; %bb.300:                              ;   in Loop: Header=BB318_281 Depth=1
	s_or_b32 exec_lo, exec_lo, s16
	s_delay_alu instid0(VALU_DEP_1) | instskip(NEXT) | instid1(VALU_DEP_2)
	v_dual_lshlrev_b32 v26, 24, v26 :: v_dual_lshlrev_b32 v12, 20, v12
	v_lshl_add_u32 v27, v27, 23, 0x3c000000
	s_delay_alu instid0(VALU_DEP_2) | instskip(NEXT) | instid1(VALU_DEP_1)
	v_and_b32_e32 v26, 0x80000000, v26
	v_or3_b32 v36, v12, v26, v27
.LBB318_301:                            ;   in Loop: Header=BB318_281 Depth=1
	s_or_b32 exec_lo, exec_lo, s15
.LBB318_302:                            ;   in Loop: Header=BB318_281 Depth=1
	s_delay_alu instid0(SALU_CYCLE_1)
	s_or_b32 exec_lo, exec_lo, s14
.LBB318_303:                            ;   in Loop: Header=BB318_281 Depth=1
	s_delay_alu instid0(SALU_CYCLE_1)
	s_or_b32 exec_lo, exec_lo, s1
	v_dual_mov_b32 v38, 0 :: v_dual_mov_b32 v39, 0
	s_mov_b32 s1, exec_lo
	v_cmpx_lt_u32_e32 0xffffff, v24
	s_cbranch_execz .LBB318_311
; %bb.304:                              ;   in Loop: Header=BB318_281 Depth=1
	v_lshrrev_b32_e32 v26, 24, v24
	v_bfrev_b32_e32 v39, 1
	s_mov_b32 s14, exec_lo
	s_delay_alu instid0(VALU_DEP_2)
	v_cmpx_ne_u32_e32 0x80, v26
	s_cbranch_execz .LBB318_310
; %bb.305:                              ;   in Loop: Header=BB318_281 Depth=1
	v_bfe_u32 v37, v24, 24, 7
	v_mov_b32_e32 v39, 0x7f800001
	s_mov_b32 s15, exec_lo
	s_delay_alu instid0(VALU_DEP_2)
	v_cmpx_ne_u32_e32 0x7f, v37
	s_cbranch_execz .LBB318_309
; %bb.306:                              ;   in Loop: Header=BB318_281 Depth=1
	v_dual_lshrrev_b32 v27, 3, v37 :: v_dual_bitop2_b32 v12, 7, v26 bitop3:0x40
	s_mov_b32 s16, exec_lo
	v_cmpx_gt_u32_e32 8, v37
; %bb.307:                              ;   in Loop: Header=BB318_281 Depth=1
	s_delay_alu instid0(VALU_DEP_2) | instskip(NEXT) | instid1(VALU_DEP_1)
	v_clz_i32_u32_e32 v27, v12
	v_min_u32_e32 v27, 32, v27
	s_delay_alu instid0(VALU_DEP_1) | instskip(NEXT) | instid1(VALU_DEP_1)
	v_subrev_nc_u32_e32 v37, 28, v27
	v_lshlrev_b64_e32 v[42:43], v37, v[12:13]
	s_delay_alu instid0(VALU_DEP_1)
	v_dual_sub_nc_u32 v27, 29, v27 :: v_dual_bitop2_b32 v12, 7, v42 bitop3:0x40
; %bb.308:                              ;   in Loop: Header=BB318_281 Depth=1
	s_or_b32 exec_lo, exec_lo, s16
	s_delay_alu instid0(VALU_DEP_1) | instskip(NEXT) | instid1(VALU_DEP_2)
	v_dual_lshlrev_b32 v26, 24, v26 :: v_dual_lshlrev_b32 v12, 20, v12
	v_lshl_add_u32 v27, v27, 23, 0x3c000000
	s_delay_alu instid0(VALU_DEP_2) | instskip(NEXT) | instid1(VALU_DEP_1)
	v_and_b32_e32 v26, 0x80000000, v26
	v_or3_b32 v39, v12, v26, v27
.LBB318_309:                            ;   in Loop: Header=BB318_281 Depth=1
	s_or_b32 exec_lo, exec_lo, s15
.LBB318_310:                            ;   in Loop: Header=BB318_281 Depth=1
	s_delay_alu instid0(SALU_CYCLE_1)
	s_or_b32 exec_lo, exec_lo, s14
.LBB318_311:                            ;   in Loop: Header=BB318_281 Depth=1
	s_delay_alu instid0(SALU_CYCLE_1) | instskip(SKIP_3) | instid1(VALU_DEP_2)
	s_or_b32 exec_lo, exec_lo, s1
	v_and_b32_e32 v26, 0xff, v25
	v_mov_b32_e32 v12, v25
	s_mov_b32 s1, exec_lo
	v_cmpx_ne_u16_e32 0, v26
	s_cbranch_execz .LBB318_317
; %bb.312:                              ;   in Loop: Header=BB318_281 Depth=1
	v_bfrev_b32_e32 v38, 1
	s_mov_b32 s14, exec_lo
	v_cmpx_ne_u16_e32 0x80, v26
	s_cbranch_execz .LBB318_316
; %bb.313:                              ;   in Loop: Header=BB318_281 Depth=1
	v_and_b32_e32 v26, 0x7f, v25
	v_mov_b32_e32 v38, 0x7f800001
	s_mov_b32 s15, exec_lo
	s_delay_alu instid0(VALU_DEP_2)
	v_cmpx_ne_u32_e32 0x7f, v26
	s_cbranch_execz .LBB318_315
; %bb.314:                              ;   in Loop: Header=BB318_281 Depth=1
	v_dual_lshrrev_b32 v37, 3, v26 :: v_dual_bitop2_b32 v27, 7, v25 bitop3:0x40
	v_cmp_gt_u32_e64 s0, 8, v26
	s_delay_alu instid0(VALU_DEP_2) | instskip(NEXT) | instid1(VALU_DEP_1)
	v_clz_i32_u32_e32 v27, v27
	v_min_u32_e32 v27, 32, v27
	s_delay_alu instid0(VALU_DEP_1) | instskip(NEXT) | instid1(VALU_DEP_1)
	v_subrev_nc_u32_e32 v38, 28, v27
	v_dual_sub_nc_u32 v27, 29, v27 :: v_dual_cndmask_b32 v26, 0, v38, s0
	s_delay_alu instid0(VALU_DEP_1) | instskip(NEXT) | instid1(VALU_DEP_2)
	v_cndmask_b32_e64 v37, v37, v27, s0
	v_lshlrev_b64_e32 v[26:27], v26, v[12:13]
	v_lshlrev_b32_e32 v27, 24, v12
	s_delay_alu instid0(VALU_DEP_3) | instskip(NEXT) | instid1(VALU_DEP_2)
	v_lshl_add_u32 v37, v37, 23, 0x3c000000
	v_and_b32_e32 v27, 0x80000000, v27
	s_delay_alu instid0(VALU_DEP_4) | instskip(NEXT) | instid1(VALU_DEP_1)
	v_lshlrev_b32_e32 v26, 20, v26
	v_and_b32_e32 v26, 0x700000, v26
	s_delay_alu instid0(VALU_DEP_1)
	v_or3_b32 v38, v26, v27, v37
.LBB318_315:                            ;   in Loop: Header=BB318_281 Depth=1
	s_or_b32 exec_lo, exec_lo, s15
.LBB318_316:                            ;   in Loop: Header=BB318_281 Depth=1
	s_delay_alu instid0(SALU_CYCLE_1)
	s_or_b32 exec_lo, exec_lo, s14
.LBB318_317:                            ;   in Loop: Header=BB318_281 Depth=1
	s_delay_alu instid0(SALU_CYCLE_1) | instskip(SKIP_3) | instid1(VALU_DEP_2)
	s_or_b32 exec_lo, exec_lo, s1
	v_lshrrev_b16 v27, 8, v12
	v_dual_mov_b32 v44, 0 :: v_dual_mov_b32 v26, 0
	s_mov_b32 s1, exec_lo
	v_cmpx_ne_u16_e32 0, v27
	s_cbranch_execz .LBB318_325
; %bb.318:                              ;   in Loop: Header=BB318_281 Depth=1
	v_bfrev_b32_e32 v26, 1
	s_mov_b32 s14, exec_lo
	v_cmpx_ne_u16_e32 0x80, v27
	s_cbranch_execz .LBB318_324
; %bb.319:                              ;   in Loop: Header=BB318_281 Depth=1
	v_and_b32_e32 v27, 0xffff, v27
	v_mov_b32_e32 v26, 0x7f800001
	s_mov_b32 s15, exec_lo
	s_delay_alu instid0(VALU_DEP_2) | instskip(NEXT) | instid1(VALU_DEP_1)
	v_and_b32_e32 v40, 0x7f, v27
	v_cmpx_ne_u32_e32 0x7f, v40
	s_cbranch_execz .LBB318_323
; %bb.320:                              ;   in Loop: Header=BB318_281 Depth=1
	v_dual_mov_b32 v27, v13 :: v_dual_bitop2_b32 v26, 7, v27 bitop3:0x40
	v_lshrrev_b32_e32 v37, 3, v40
	s_mov_b32 s16, exec_lo
	v_cmpx_gt_u32_e32 8, v40
; %bb.321:                              ;   in Loop: Header=BB318_281 Depth=1
	s_delay_alu instid0(VALU_DEP_3) | instskip(NEXT) | instid1(VALU_DEP_1)
	v_clz_i32_u32_e32 v37, v26
	v_min_u32_e32 v37, 32, v37
	s_delay_alu instid0(VALU_DEP_1) | instskip(NEXT) | instid1(VALU_DEP_1)
	v_subrev_nc_u32_e32 v40, 28, v37
	v_lshlrev_b64_e32 v[26:27], v40, v[26:27]
	s_delay_alu instid0(VALU_DEP_1)
	v_dual_sub_nc_u32 v37, 29, v37 :: v_dual_bitop2_b32 v26, 7, v26 bitop3:0x40
; %bb.322:                              ;   in Loop: Header=BB318_281 Depth=1
	s_or_b32 exec_lo, exec_lo, s16
	s_delay_alu instid0(VALU_DEP_1) | instskip(NEXT) | instid1(VALU_DEP_2)
	v_dual_lshlrev_b32 v12, 16, v12 :: v_dual_lshlrev_b32 v26, 20, v26
	v_lshl_add_u32 v27, v37, 23, 0x3c000000
	s_delay_alu instid0(VALU_DEP_2) | instskip(NEXT) | instid1(VALU_DEP_1)
	v_and_b32_e32 v12, 0x80000000, v12
	v_or3_b32 v26, v26, v12, v27
.LBB318_323:                            ;   in Loop: Header=BB318_281 Depth=1
	s_or_b32 exec_lo, exec_lo, s15
.LBB318_324:                            ;   in Loop: Header=BB318_281 Depth=1
	s_delay_alu instid0(SALU_CYCLE_1)
	s_or_b32 exec_lo, exec_lo, s14
.LBB318_325:                            ;   in Loop: Header=BB318_281 Depth=1
	s_delay_alu instid0(SALU_CYCLE_1) | instskip(SKIP_2) | instid1(VALU_DEP_1)
	s_or_b32 exec_lo, exec_lo, s1
	v_lshrrev_b32_e32 v27, 16, v25
	s_mov_b32 s1, exec_lo
	v_and_b32_e32 v12, 0xff, v27
	s_delay_alu instid0(VALU_DEP_1)
	v_cmpx_ne_u16_e32 0, v12
	s_cbranch_execz .LBB318_333
; %bb.326:                              ;   in Loop: Header=BB318_281 Depth=1
	v_bfrev_b32_e32 v44, 1
	s_mov_b32 s14, exec_lo
	v_cmpx_ne_u16_e32 0x80, v12
	s_cbranch_execz .LBB318_332
; %bb.327:                              ;   in Loop: Header=BB318_281 Depth=1
	v_bfe_u32 v40, v25, 16, 7
	v_mov_b32_e32 v44, 0x7f800001
	s_mov_b32 s15, exec_lo
	s_delay_alu instid0(VALU_DEP_2)
	v_cmpx_ne_u32_e32 0x7f, v40
	s_cbranch_execz .LBB318_331
; %bb.328:                              ;   in Loop: Header=BB318_281 Depth=1
	v_dual_lshrrev_b32 v37, 3, v40 :: v_dual_bitop2_b32 v12, 7, v27 bitop3:0x40
	s_mov_b32 s16, exec_lo
	v_cmpx_gt_u32_e32 8, v40
; %bb.329:                              ;   in Loop: Header=BB318_281 Depth=1
	s_delay_alu instid0(VALU_DEP_2) | instskip(NEXT) | instid1(VALU_DEP_1)
	v_clz_i32_u32_e32 v37, v12
	v_min_u32_e32 v37, 32, v37
	s_delay_alu instid0(VALU_DEP_1) | instskip(NEXT) | instid1(VALU_DEP_1)
	v_subrev_nc_u32_e32 v40, 28, v37
	v_lshlrev_b64_e32 v[42:43], v40, v[12:13]
	s_delay_alu instid0(VALU_DEP_1)
	v_dual_sub_nc_u32 v37, 29, v37 :: v_dual_bitop2_b32 v12, 7, v42 bitop3:0x40
; %bb.330:                              ;   in Loop: Header=BB318_281 Depth=1
	s_or_b32 exec_lo, exec_lo, s16
	s_delay_alu instid0(VALU_DEP_1) | instskip(NEXT) | instid1(VALU_DEP_2)
	v_dual_lshlrev_b32 v27, 24, v27 :: v_dual_lshlrev_b32 v12, 20, v12
	v_lshl_add_u32 v37, v37, 23, 0x3c000000
	s_delay_alu instid0(VALU_DEP_2) | instskip(NEXT) | instid1(VALU_DEP_1)
	v_and_b32_e32 v27, 0x80000000, v27
	v_or3_b32 v44, v12, v27, v37
.LBB318_331:                            ;   in Loop: Header=BB318_281 Depth=1
	s_or_b32 exec_lo, exec_lo, s15
.LBB318_332:                            ;   in Loop: Header=BB318_281 Depth=1
	s_delay_alu instid0(SALU_CYCLE_1)
	s_or_b32 exec_lo, exec_lo, s14
.LBB318_333:                            ;   in Loop: Header=BB318_281 Depth=1
	s_delay_alu instid0(SALU_CYCLE_1)
	s_or_b32 exec_lo, exec_lo, s1
	v_mov_b32_e32 v12, 0
	s_mov_b32 s1, exec_lo
	v_cmpx_lt_u64_e64 s[2:3], v[24:25]
	s_cbranch_execz .LBB318_341
; %bb.334:                              ;   in Loop: Header=BB318_281 Depth=1
	v_lshrrev_b32_e32 v24, 24, v25
	v_bfrev_b32_e32 v12, 1
	s_mov_b32 s14, exec_lo
	s_delay_alu instid0(VALU_DEP_2)
	v_cmpx_ne_u32_e32 0x80, v24
	s_cbranch_execz .LBB318_340
; %bb.335:                              ;   in Loop: Header=BB318_281 Depth=1
	v_bfe_u32 v27, v25, 24, 7
	v_mov_b32_e32 v12, 0x7f800001
	s_mov_b32 s15, exec_lo
	s_delay_alu instid0(VALU_DEP_2)
	v_cmpx_ne_u32_e32 0x7f, v27
	s_cbranch_execz .LBB318_339
; %bb.336:                              ;   in Loop: Header=BB318_281 Depth=1
	v_dual_lshrrev_b32 v25, 3, v27 :: v_dual_bitop2_b32 v12, 7, v24 bitop3:0x40
	s_mov_b32 s16, exec_lo
	v_cmpx_gt_u32_e32 8, v27
; %bb.337:                              ;   in Loop: Header=BB318_281 Depth=1
	s_delay_alu instid0(VALU_DEP_2) | instskip(NEXT) | instid1(VALU_DEP_1)
	v_clz_i32_u32_e32 v25, v12
	v_min_u32_e32 v25, 32, v25
	s_delay_alu instid0(VALU_DEP_1) | instskip(NEXT) | instid1(VALU_DEP_1)
	v_subrev_nc_u32_e32 v27, 28, v25
	v_lshlrev_b64_e32 v[42:43], v27, v[12:13]
	s_delay_alu instid0(VALU_DEP_1)
	v_dual_sub_nc_u32 v25, 29, v25 :: v_dual_bitop2_b32 v12, 7, v42 bitop3:0x40
; %bb.338:                              ;   in Loop: Header=BB318_281 Depth=1
	s_or_b32 exec_lo, exec_lo, s16
	v_lshlrev_b32_e32 v24, 24, v24
	s_delay_alu instid0(VALU_DEP_2) | instskip(NEXT) | instid1(VALU_DEP_3)
	v_lshlrev_b32_e32 v12, 20, v12
	v_lshl_add_u32 v25, v25, 23, 0x3c000000
	s_delay_alu instid0(VALU_DEP_3) | instskip(NEXT) | instid1(VALU_DEP_1)
	v_and_b32_e32 v24, 0x80000000, v24
	v_or3_b32 v12, v12, v24, v25
.LBB318_339:                            ;   in Loop: Header=BB318_281 Depth=1
	s_or_b32 exec_lo, exec_lo, s15
.LBB318_340:                            ;   in Loop: Header=BB318_281 Depth=1
	s_delay_alu instid0(SALU_CYCLE_1)
	s_or_b32 exec_lo, exec_lo, s14
.LBB318_341:                            ;   in Loop: Header=BB318_281 Depth=1
	s_delay_alu instid0(SALU_CYCLE_1)
	s_or_b32 exec_lo, exec_lo, s1
	v_add_nc_u32_e32 v43, -7, v32
	v_cmp_eq_u32_e64 s0, s11, v34
	v_fma_mixlo_bf16 v37, s25, v26, 0
	v_fma_mixlo_bf16 v38, s25, v38, 0
	;; [unrolled: 1-line block ×8, first 2 shown]
	s_and_saveexec_b32 s14, s0
	s_cbranch_execz .LBB318_343
; %bb.342:                              ;   in Loop: Header=BB318_281 Depth=1
	v_dual_add_nc_u32 v12, -6, v32 :: v_dual_add_nc_u32 v24, -5, v32
	v_cmp_gt_i32_e64 s1, s23, v43
	s_delay_alu instid0(VALU_DEP_1) | instskip(NEXT) | instid1(VALU_DEP_3)
	v_dual_add_nc_u32 v25, -2, v32 :: v_dual_cndmask_b32 v42, 0, v42, s1
	v_cmp_gt_i32_e64 s1, s23, v12
	s_delay_alu instid0(VALU_DEP_1) | instskip(SKIP_2) | instid1(VALU_DEP_2)
	v_dual_add_nc_u32 v12, -4, v32 :: v_dual_cndmask_b32 v41, 0, v41, s1
	v_cmp_gt_i32_e64 s1, s23, v24
	v_add_nc_u32_e32 v24, -3, v32
	v_cndmask_b32_e64 v40, 0, v40, s1
	s_delay_alu instid0(VALU_DEP_4) | instskip(NEXT) | instid1(VALU_DEP_1)
	v_cmp_gt_i32_e64 s1, s23, v12
	v_dual_add_nc_u32 v12, -1, v32 :: v_dual_cndmask_b32 v39, 0, v39, s1
	s_delay_alu instid0(VALU_DEP_4) | instskip(NEXT) | instid1(VALU_DEP_1)
	v_cmp_gt_i32_e64 s1, s23, v24
	v_cndmask_b32_e64 v38, 0, v38, s1
	v_cmp_gt_i32_e64 s1, s23, v25
	s_delay_alu instid0(VALU_DEP_1) | instskip(SKIP_1) | instid1(VALU_DEP_1)
	v_cndmask_b32_e64 v37, 0, v37, s1
	v_cmp_gt_i32_e64 s1, s23, v12
	v_cndmask_b32_e64 v35, 0, v35, s1
	v_cmp_gt_i32_e64 s1, s23, v32
	s_delay_alu instid0(VALU_DEP_1)
	v_cndmask_b32_e64 v36, 0, v36, s1
.LBB318_343:                            ;   in Loop: Header=BB318_281 Depth=1
	s_or_b32 exec_lo, exec_lo, s14
	global_load_b64 v[24:25], v[22:23], off offset:256
	v_dual_mov_b32 v45, 0 :: v_dual_mov_b32 v44, 0
	s_mov_b32 s14, exec_lo
	s_wait_loadcnt 0x0
	v_and_b32_e32 v12, 0xff, v24
	s_delay_alu instid0(VALU_DEP_1)
	v_cmpx_ne_u16_e32 0, v12
	s_cbranch_execz .LBB318_349
; %bb.344:                              ;   in Loop: Header=BB318_281 Depth=1
	v_bfrev_b32_e32 v44, 1
	s_mov_b32 s15, exec_lo
	v_cmpx_ne_u16_e32 0x80, v12
	s_cbranch_execz .LBB318_348
; %bb.345:                              ;   in Loop: Header=BB318_281 Depth=1
	v_and_b32_e32 v12, 0x7f, v24
	v_mov_b32_e32 v44, 0x7f800001
	s_mov_b32 s16, exec_lo
	s_delay_alu instid0(VALU_DEP_2)
	v_cmpx_ne_u32_e32 0x7f, v12
	s_cbranch_execz .LBB318_347
; %bb.346:                              ;   in Loop: Header=BB318_281 Depth=1
	v_and_b32_e32 v26, 7, v24
	v_cmp_gt_u32_e64 s1, 8, v12
	s_delay_alu instid0(VALU_DEP_2) | instskip(NEXT) | instid1(VALU_DEP_1)
	v_clz_i32_u32_e32 v26, v26
	v_min_u32_e32 v26, 32, v26
	v_lshrrev_b32_e32 v27, 3, v12
	s_delay_alu instid0(VALU_DEP_2) | instskip(SKIP_1) | instid1(VALU_DEP_1)
	v_subrev_nc_u32_e32 v44, 28, v26
	v_sub_nc_u32_e32 v26, 29, v26
	v_dual_cndmask_b32 v12, v27, v26, s1 :: v_dual_cndmask_b32 v26, 0, v44, s1
	s_delay_alu instid0(VALU_DEP_1) | instskip(NEXT) | instid1(VALU_DEP_2)
	v_lshl_add_u32 v12, v12, 23, 0x3c000000
	v_lshlrev_b64_e32 v[26:27], v26, v[24:25]
	v_lshlrev_b32_e32 v27, 24, v24
	s_delay_alu instid0(VALU_DEP_1) | instskip(NEXT) | instid1(VALU_DEP_3)
	v_and_b32_e32 v27, 0x80000000, v27
	v_lshlrev_b32_e32 v26, 20, v26
	s_delay_alu instid0(VALU_DEP_1) | instskip(NEXT) | instid1(VALU_DEP_1)
	v_and_b32_e32 v26, 0x700000, v26
	v_or3_b32 v44, v26, v27, v12
.LBB318_347:                            ;   in Loop: Header=BB318_281 Depth=1
	s_or_b32 exec_lo, exec_lo, s16
.LBB318_348:                            ;   in Loop: Header=BB318_281 Depth=1
	s_delay_alu instid0(SALU_CYCLE_1)
	s_or_b32 exec_lo, exec_lo, s15
.LBB318_349:                            ;   in Loop: Header=BB318_281 Depth=1
	s_delay_alu instid0(SALU_CYCLE_1) | instskip(SKIP_2) | instid1(VALU_DEP_1)
	s_or_b32 exec_lo, exec_lo, s14
	v_lshrrev_b16 v12, 8, v24
	s_mov_b32 s14, exec_lo
	v_cmpx_ne_u16_e32 0, v12
	s_cbranch_execz .LBB318_357
; %bb.350:                              ;   in Loop: Header=BB318_281 Depth=1
	v_bfrev_b32_e32 v45, 1
	s_mov_b32 s15, exec_lo
	v_cmpx_ne_u16_e32 0x80, v12
	s_cbranch_execz .LBB318_356
; %bb.351:                              ;   in Loop: Header=BB318_281 Depth=1
	v_and_b32_e32 v12, 0xffff, v12
	v_mov_b32_e32 v45, 0x7f800001
	s_mov_b32 s16, exec_lo
	s_delay_alu instid0(VALU_DEP_2) | instskip(NEXT) | instid1(VALU_DEP_1)
	v_and_b32_e32 v27, 0x7f, v12
	v_cmpx_ne_u32_e32 0x7f, v27
	s_cbranch_execz .LBB318_355
; %bb.352:                              ;   in Loop: Header=BB318_281 Depth=1
	v_dual_lshrrev_b32 v26, 3, v27 :: v_dual_bitop2_b32 v12, 7, v12 bitop3:0x40
	s_mov_b32 s17, exec_lo
	v_cmpx_gt_u32_e32 8, v27
; %bb.353:                              ;   in Loop: Header=BB318_281 Depth=1
	s_delay_alu instid0(VALU_DEP_2) | instskip(NEXT) | instid1(VALU_DEP_1)
	v_clz_i32_u32_e32 v26, v12
	v_min_u32_e32 v26, 32, v26
	s_delay_alu instid0(VALU_DEP_1) | instskip(SKIP_1) | instid1(VALU_DEP_2)
	v_subrev_nc_u32_e32 v27, 28, v26
	v_sub_nc_u32_e32 v26, 29, v26
	v_lshlrev_b64_e32 v[46:47], v27, v[12:13]
	s_delay_alu instid0(VALU_DEP_1)
	v_and_b32_e32 v12, 7, v46
; %bb.354:                              ;   in Loop: Header=BB318_281 Depth=1
	s_or_b32 exec_lo, exec_lo, s17
	v_lshlrev_b32_e32 v27, 16, v24
	s_delay_alu instid0(VALU_DEP_2) | instskip(SKIP_1) | instid1(VALU_DEP_3)
	v_lshlrev_b32_e32 v12, 20, v12
	v_lshl_add_u32 v26, v26, 23, 0x3c000000
	v_and_b32_e32 v27, 0x80000000, v27
	s_delay_alu instid0(VALU_DEP_1)
	v_or3_b32 v45, v12, v27, v26
.LBB318_355:                            ;   in Loop: Header=BB318_281 Depth=1
	s_or_b32 exec_lo, exec_lo, s16
.LBB318_356:                            ;   in Loop: Header=BB318_281 Depth=1
	s_delay_alu instid0(SALU_CYCLE_1)
	s_or_b32 exec_lo, exec_lo, s15
.LBB318_357:                            ;   in Loop: Header=BB318_281 Depth=1
	s_delay_alu instid0(SALU_CYCLE_1) | instskip(SKIP_3) | instid1(VALU_DEP_2)
	s_or_b32 exec_lo, exec_lo, s14
	v_dual_lshrrev_b32 v26, 16, v24 :: v_dual_mov_b32 v46, 0
	v_mov_b32_e32 v47, 0
	s_mov_b32 s14, exec_lo
	v_and_b32_e32 v12, 0xff, v26
	s_delay_alu instid0(VALU_DEP_1)
	v_cmpx_ne_u16_e32 0, v12
	s_cbranch_execz .LBB318_365
; %bb.358:                              ;   in Loop: Header=BB318_281 Depth=1
	v_bfrev_b32_e32 v47, 1
	s_mov_b32 s15, exec_lo
	v_cmpx_ne_u16_e32 0x80, v12
	s_cbranch_execz .LBB318_364
; %bb.359:                              ;   in Loop: Header=BB318_281 Depth=1
	v_bfe_u32 v48, v24, 16, 7
	v_mov_b32_e32 v47, 0x7f800001
	s_mov_b32 s16, exec_lo
	s_delay_alu instid0(VALU_DEP_2)
	v_cmpx_ne_u32_e32 0x7f, v48
	s_cbranch_execz .LBB318_363
; %bb.360:                              ;   in Loop: Header=BB318_281 Depth=1
	v_dual_lshrrev_b32 v27, 3, v48 :: v_dual_bitop2_b32 v12, 7, v26 bitop3:0x40
	s_mov_b32 s17, exec_lo
	v_cmpx_gt_u32_e32 8, v48
; %bb.361:                              ;   in Loop: Header=BB318_281 Depth=1
	s_delay_alu instid0(VALU_DEP_2) | instskip(NEXT) | instid1(VALU_DEP_1)
	v_clz_i32_u32_e32 v27, v12
	v_min_u32_e32 v27, 32, v27
	s_delay_alu instid0(VALU_DEP_1) | instskip(NEXT) | instid1(VALU_DEP_1)
	v_subrev_nc_u32_e32 v47, 28, v27
	v_lshlrev_b64_e32 v[48:49], v47, v[12:13]
	s_delay_alu instid0(VALU_DEP_1)
	v_dual_sub_nc_u32 v27, 29, v27 :: v_dual_bitop2_b32 v12, 7, v48 bitop3:0x40
; %bb.362:                              ;   in Loop: Header=BB318_281 Depth=1
	s_or_b32 exec_lo, exec_lo, s17
	s_delay_alu instid0(VALU_DEP_1) | instskip(NEXT) | instid1(VALU_DEP_2)
	v_dual_lshlrev_b32 v26, 24, v26 :: v_dual_lshlrev_b32 v12, 20, v12
	v_lshl_add_u32 v27, v27, 23, 0x3c000000
	s_delay_alu instid0(VALU_DEP_2) | instskip(NEXT) | instid1(VALU_DEP_1)
	v_and_b32_e32 v26, 0x80000000, v26
	v_or3_b32 v47, v12, v26, v27
.LBB318_363:                            ;   in Loop: Header=BB318_281 Depth=1
	s_or_b32 exec_lo, exec_lo, s16
.LBB318_364:                            ;   in Loop: Header=BB318_281 Depth=1
	s_delay_alu instid0(SALU_CYCLE_1)
	s_or_b32 exec_lo, exec_lo, s15
.LBB318_365:                            ;   in Loop: Header=BB318_281 Depth=1
	s_delay_alu instid0(SALU_CYCLE_1) | instskip(NEXT) | instid1(SALU_CYCLE_1)
	s_or_b32 exec_lo, exec_lo, s14
	s_mov_b32 s14, exec_lo
	v_cmpx_lt_u32_e32 0xffffff, v24
	s_cbranch_execz .LBB318_373
; %bb.366:                              ;   in Loop: Header=BB318_281 Depth=1
	v_lshrrev_b32_e32 v26, 24, v24
	v_bfrev_b32_e32 v46, 1
	s_mov_b32 s15, exec_lo
	s_delay_alu instid0(VALU_DEP_2)
	v_cmpx_ne_u32_e32 0x80, v26
	s_cbranch_execz .LBB318_372
; %bb.367:                              ;   in Loop: Header=BB318_281 Depth=1
	v_bfe_u32 v48, v24, 24, 7
	v_mov_b32_e32 v46, 0x7f800001
	s_mov_b32 s16, exec_lo
	s_delay_alu instid0(VALU_DEP_2)
	v_cmpx_ne_u32_e32 0x7f, v48
	s_cbranch_execz .LBB318_371
; %bb.368:                              ;   in Loop: Header=BB318_281 Depth=1
	v_dual_lshrrev_b32 v27, 3, v48 :: v_dual_bitop2_b32 v12, 7, v26 bitop3:0x40
	s_mov_b32 s17, exec_lo
	v_cmpx_gt_u32_e32 8, v48
; %bb.369:                              ;   in Loop: Header=BB318_281 Depth=1
	s_delay_alu instid0(VALU_DEP_2) | instskip(NEXT) | instid1(VALU_DEP_1)
	v_clz_i32_u32_e32 v27, v12
	v_min_u32_e32 v27, 32, v27
	s_delay_alu instid0(VALU_DEP_1) | instskip(NEXT) | instid1(VALU_DEP_1)
	v_subrev_nc_u32_e32 v46, 28, v27
	v_lshlrev_b64_e32 v[48:49], v46, v[12:13]
	s_delay_alu instid0(VALU_DEP_1)
	v_dual_sub_nc_u32 v27, 29, v27 :: v_dual_bitop2_b32 v12, 7, v48 bitop3:0x40
; %bb.370:                              ;   in Loop: Header=BB318_281 Depth=1
	s_or_b32 exec_lo, exec_lo, s17
	s_delay_alu instid0(VALU_DEP_1) | instskip(NEXT) | instid1(VALU_DEP_2)
	v_dual_lshlrev_b32 v26, 24, v26 :: v_dual_lshlrev_b32 v12, 20, v12
	v_lshl_add_u32 v27, v27, 23, 0x3c000000
	s_delay_alu instid0(VALU_DEP_2) | instskip(NEXT) | instid1(VALU_DEP_1)
	v_and_b32_e32 v26, 0x80000000, v26
	v_or3_b32 v46, v12, v26, v27
.LBB318_371:                            ;   in Loop: Header=BB318_281 Depth=1
	s_or_b32 exec_lo, exec_lo, s16
.LBB318_372:                            ;   in Loop: Header=BB318_281 Depth=1
	s_delay_alu instid0(SALU_CYCLE_1)
	s_or_b32 exec_lo, exec_lo, s15
.LBB318_373:                            ;   in Loop: Header=BB318_281 Depth=1
	s_delay_alu instid0(SALU_CYCLE_1) | instskip(SKIP_4) | instid1(VALU_DEP_3)
	s_or_b32 exec_lo, exec_lo, s14
	v_and_b32_e32 v27, 0xff, v25
	v_dual_mov_b32 v12, v25 :: v_dual_mov_b32 v26, 0
	v_mov_b32_e32 v48, 0
	s_mov_b32 s14, exec_lo
	v_cmpx_ne_u16_e32 0, v27
	s_cbranch_execz .LBB318_379
; %bb.374:                              ;   in Loop: Header=BB318_281 Depth=1
	v_bfrev_b32_e32 v48, 1
	s_mov_b32 s15, exec_lo
	v_cmpx_ne_u16_e32 0x80, v27
	s_cbranch_execz .LBB318_378
; %bb.375:                              ;   in Loop: Header=BB318_281 Depth=1
	v_and_b32_e32 v27, 0x7f, v25
	v_mov_b32_e32 v48, 0x7f800001
	s_mov_b32 s16, exec_lo
	s_delay_alu instid0(VALU_DEP_2)
	v_cmpx_ne_u32_e32 0x7f, v27
	s_cbranch_execz .LBB318_377
; %bb.376:                              ;   in Loop: Header=BB318_281 Depth=1
	v_dual_lshrrev_b32 v49, 3, v27 :: v_dual_bitop2_b32 v48, 7, v25 bitop3:0x40
	v_cmp_gt_u32_e64 s1, 8, v27
	s_delay_alu instid0(VALU_DEP_2) | instskip(NEXT) | instid1(VALU_DEP_1)
	v_clz_i32_u32_e32 v48, v48
	v_min_u32_e32 v48, 32, v48
	s_delay_alu instid0(VALU_DEP_1) | instskip(SKIP_1) | instid1(VALU_DEP_1)
	v_subrev_nc_u32_e32 v50, 28, v48
	v_sub_nc_u32_e32 v48, 29, v48
	v_dual_cndmask_b32 v27, v49, v48, s1 :: v_dual_cndmask_b32 v48, 0, v50, s1
	s_delay_alu instid0(VALU_DEP_1) | instskip(NEXT) | instid1(VALU_DEP_2)
	v_lshl_add_u32 v27, v27, 23, 0x3c000000
	v_lshlrev_b64_e32 v[48:49], v48, v[12:13]
	v_lshlrev_b32_e32 v49, 24, v12
	s_delay_alu instid0(VALU_DEP_1) | instskip(NEXT) | instid1(VALU_DEP_3)
	v_and_b32_e32 v49, 0x80000000, v49
	v_lshlrev_b32_e32 v48, 20, v48
	s_delay_alu instid0(VALU_DEP_1) | instskip(NEXT) | instid1(VALU_DEP_1)
	v_and_b32_e32 v48, 0x700000, v48
	v_or3_b32 v48, v48, v49, v27
.LBB318_377:                            ;   in Loop: Header=BB318_281 Depth=1
	s_or_b32 exec_lo, exec_lo, s16
.LBB318_378:                            ;   in Loop: Header=BB318_281 Depth=1
	s_delay_alu instid0(SALU_CYCLE_1)
	s_or_b32 exec_lo, exec_lo, s15
.LBB318_379:                            ;   in Loop: Header=BB318_281 Depth=1
	s_delay_alu instid0(SALU_CYCLE_1) | instskip(SKIP_2) | instid1(VALU_DEP_1)
	s_or_b32 exec_lo, exec_lo, s14
	v_lshrrev_b16 v27, 8, v12
	s_mov_b32 s14, exec_lo
	v_cmpx_ne_u16_e32 0, v27
	s_cbranch_execz .LBB318_387
; %bb.380:                              ;   in Loop: Header=BB318_281 Depth=1
	v_bfrev_b32_e32 v26, 1
	s_mov_b32 s15, exec_lo
	v_cmpx_ne_u16_e32 0x80, v27
	s_cbranch_execz .LBB318_386
; %bb.381:                              ;   in Loop: Header=BB318_281 Depth=1
	v_and_b32_e32 v27, 0xffff, v27
	v_mov_b32_e32 v26, 0x7f800001
	s_mov_b32 s16, exec_lo
	s_delay_alu instid0(VALU_DEP_2) | instskip(NEXT) | instid1(VALU_DEP_1)
	v_and_b32_e32 v50, 0x7f, v27
	v_cmpx_ne_u32_e32 0x7f, v50
	s_cbranch_execz .LBB318_385
; %bb.382:                              ;   in Loop: Header=BB318_281 Depth=1
	v_dual_mov_b32 v27, v13 :: v_dual_bitop2_b32 v26, 7, v27 bitop3:0x40
	v_lshrrev_b32_e32 v49, 3, v50
	s_mov_b32 s17, exec_lo
	v_cmpx_gt_u32_e32 8, v50
; %bb.383:                              ;   in Loop: Header=BB318_281 Depth=1
	s_delay_alu instid0(VALU_DEP_3) | instskip(NEXT) | instid1(VALU_DEP_1)
	v_clz_i32_u32_e32 v49, v26
	v_min_u32_e32 v49, 32, v49
	s_delay_alu instid0(VALU_DEP_1) | instskip(NEXT) | instid1(VALU_DEP_1)
	v_subrev_nc_u32_e32 v50, 28, v49
	v_lshlrev_b64_e32 v[26:27], v50, v[26:27]
	s_delay_alu instid0(VALU_DEP_1)
	v_dual_sub_nc_u32 v49, 29, v49 :: v_dual_bitop2_b32 v26, 7, v26 bitop3:0x40
; %bb.384:                              ;   in Loop: Header=BB318_281 Depth=1
	s_or_b32 exec_lo, exec_lo, s17
	s_delay_alu instid0(VALU_DEP_1) | instskip(NEXT) | instid1(VALU_DEP_2)
	v_dual_lshlrev_b32 v12, 16, v12 :: v_dual_lshlrev_b32 v26, 20, v26
	v_lshl_add_u32 v27, v49, 23, 0x3c000000
	s_delay_alu instid0(VALU_DEP_2) | instskip(NEXT) | instid1(VALU_DEP_1)
	v_and_b32_e32 v12, 0x80000000, v12
	v_or3_b32 v26, v26, v12, v27
.LBB318_385:                            ;   in Loop: Header=BB318_281 Depth=1
	s_or_b32 exec_lo, exec_lo, s16
.LBB318_386:                            ;   in Loop: Header=BB318_281 Depth=1
	s_delay_alu instid0(SALU_CYCLE_1)
	s_or_b32 exec_lo, exec_lo, s15
.LBB318_387:                            ;   in Loop: Header=BB318_281 Depth=1
	s_delay_alu instid0(SALU_CYCLE_1) | instskip(SKIP_3) | instid1(VALU_DEP_2)
	s_or_b32 exec_lo, exec_lo, s14
	v_dual_mov_b32 v50, 0 :: v_dual_lshrrev_b32 v27, 16, v25
	v_mov_b32_e32 v51, 0
	s_mov_b32 s14, exec_lo
	v_and_b32_e32 v12, 0xff, v27
	s_delay_alu instid0(VALU_DEP_1)
	v_cmpx_ne_u16_e32 0, v12
	s_cbranch_execz .LBB318_395
; %bb.388:                              ;   in Loop: Header=BB318_281 Depth=1
	v_bfrev_b32_e32 v51, 1
	s_mov_b32 s15, exec_lo
	v_cmpx_ne_u16_e32 0x80, v12
	s_cbranch_execz .LBB318_394
; %bb.389:                              ;   in Loop: Header=BB318_281 Depth=1
	v_bfe_u32 v52, v25, 16, 7
	v_mov_b32_e32 v51, 0x7f800001
	s_mov_b32 s16, exec_lo
	s_delay_alu instid0(VALU_DEP_2)
	v_cmpx_ne_u32_e32 0x7f, v52
	s_cbranch_execz .LBB318_393
; %bb.390:                              ;   in Loop: Header=BB318_281 Depth=1
	v_dual_lshrrev_b32 v49, 3, v52 :: v_dual_bitop2_b32 v12, 7, v27 bitop3:0x40
	s_mov_b32 s17, exec_lo
	v_cmpx_gt_u32_e32 8, v52
; %bb.391:                              ;   in Loop: Header=BB318_281 Depth=1
	s_delay_alu instid0(VALU_DEP_2) | instskip(NEXT) | instid1(VALU_DEP_1)
	v_clz_i32_u32_e32 v49, v12
	v_min_u32_e32 v49, 32, v49
	s_delay_alu instid0(VALU_DEP_1) | instskip(NEXT) | instid1(VALU_DEP_1)
	v_subrev_nc_u32_e32 v51, 28, v49
	v_lshlrev_b64_e32 v[52:53], v51, v[12:13]
	s_delay_alu instid0(VALU_DEP_1)
	v_dual_sub_nc_u32 v49, 29, v49 :: v_dual_bitop2_b32 v12, 7, v52 bitop3:0x40
; %bb.392:                              ;   in Loop: Header=BB318_281 Depth=1
	s_or_b32 exec_lo, exec_lo, s17
	s_delay_alu instid0(VALU_DEP_1) | instskip(NEXT) | instid1(VALU_DEP_2)
	v_dual_lshlrev_b32 v27, 24, v27 :: v_dual_lshlrev_b32 v12, 20, v12
	v_lshl_add_u32 v49, v49, 23, 0x3c000000
	s_delay_alu instid0(VALU_DEP_2) | instskip(NEXT) | instid1(VALU_DEP_1)
	v_and_b32_e32 v27, 0x80000000, v27
	v_or3_b32 v51, v12, v27, v49
.LBB318_393:                            ;   in Loop: Header=BB318_281 Depth=1
	s_or_b32 exec_lo, exec_lo, s16
.LBB318_394:                            ;   in Loop: Header=BB318_281 Depth=1
	s_delay_alu instid0(SALU_CYCLE_1)
	s_or_b32 exec_lo, exec_lo, s15
.LBB318_395:                            ;   in Loop: Header=BB318_281 Depth=1
	s_delay_alu instid0(SALU_CYCLE_1) | instskip(NEXT) | instid1(SALU_CYCLE_1)
	s_or_b32 exec_lo, exec_lo, s14
	s_mov_b32 s14, exec_lo
	v_cmpx_lt_u64_e64 s[2:3], v[24:25]
	s_cbranch_execz .LBB318_403
; %bb.396:                              ;   in Loop: Header=BB318_281 Depth=1
	v_lshrrev_b32_e32 v24, 24, v25
	v_bfrev_b32_e32 v50, 1
	s_mov_b32 s15, exec_lo
	s_delay_alu instid0(VALU_DEP_2)
	v_cmpx_ne_u32_e32 0x80, v24
	s_cbranch_execz .LBB318_402
; %bb.397:                              ;   in Loop: Header=BB318_281 Depth=1
	v_bfe_u32 v27, v25, 24, 7
	v_mov_b32_e32 v50, 0x7f800001
	s_mov_b32 s16, exec_lo
	s_delay_alu instid0(VALU_DEP_2)
	v_cmpx_ne_u32_e32 0x7f, v27
	s_cbranch_execz .LBB318_401
; %bb.398:                              ;   in Loop: Header=BB318_281 Depth=1
	v_dual_lshrrev_b32 v25, 3, v27 :: v_dual_bitop2_b32 v12, 7, v24 bitop3:0x40
	s_mov_b32 s17, exec_lo
	v_cmpx_gt_u32_e32 8, v27
; %bb.399:                              ;   in Loop: Header=BB318_281 Depth=1
	s_delay_alu instid0(VALU_DEP_2) | instskip(NEXT) | instid1(VALU_DEP_1)
	v_clz_i32_u32_e32 v25, v12
	v_min_u32_e32 v25, 32, v25
	s_delay_alu instid0(VALU_DEP_1) | instskip(NEXT) | instid1(VALU_DEP_1)
	v_subrev_nc_u32_e32 v27, 28, v25
	v_lshlrev_b64_e32 v[52:53], v27, v[12:13]
	s_delay_alu instid0(VALU_DEP_1)
	v_dual_sub_nc_u32 v25, 29, v25 :: v_dual_bitop2_b32 v12, 7, v52 bitop3:0x40
; %bb.400:                              ;   in Loop: Header=BB318_281 Depth=1
	s_or_b32 exec_lo, exec_lo, s17
	v_lshlrev_b32_e32 v24, 24, v24
	s_delay_alu instid0(VALU_DEP_2) | instskip(NEXT) | instid1(VALU_DEP_3)
	v_lshlrev_b32_e32 v12, 20, v12
	v_lshl_add_u32 v25, v25, 23, 0x3c000000
	s_delay_alu instid0(VALU_DEP_3) | instskip(NEXT) | instid1(VALU_DEP_1)
	v_and_b32_e32 v24, 0x80000000, v24
	v_or3_b32 v50, v12, v24, v25
.LBB318_401:                            ;   in Loop: Header=BB318_281 Depth=1
	s_or_b32 exec_lo, exec_lo, s16
.LBB318_402:                            ;   in Loop: Header=BB318_281 Depth=1
	s_delay_alu instid0(SALU_CYCLE_1)
	s_or_b32 exec_lo, exec_lo, s15
.LBB318_403:                            ;   in Loop: Header=BB318_281 Depth=1
	s_delay_alu instid0(SALU_CYCLE_1)
	s_or_b32 exec_lo, exec_lo, s14
	v_fma_mixlo_bf16 v26, s25, v26, 0
	v_fma_mixlo_bf16 v27, s25, v48, 0
	;; [unrolled: 1-line block ×8, first 2 shown]
	s_and_saveexec_b32 s14, s0
	s_cbranch_execz .LBB318_405
; %bb.404:                              ;   in Loop: Header=BB318_281 Depth=1
	v_dual_add_nc_u32 v12, -6, v32 :: v_dual_add_nc_u32 v24, -5, v32
	v_cmp_gt_i32_e64 s1, s23, v43
	s_delay_alu instid0(VALU_DEP_1) | instskip(NEXT) | instid1(VALU_DEP_3)
	v_dual_add_nc_u32 v25, -2, v32 :: v_dual_cndmask_b32 v49, 0, v49, s1
	v_cmp_gt_i32_e64 s1, s23, v12
	s_delay_alu instid0(VALU_DEP_1) | instskip(SKIP_2) | instid1(VALU_DEP_2)
	v_cndmask_b32_e64 v48, 0, v48, s1
	v_cmp_gt_i32_e64 s1, s23, v24
	v_dual_add_nc_u32 v12, -4, v32 :: v_dual_add_nc_u32 v24, -3, v32
	v_cndmask_b32_e64 v47, 0, v47, s1
	s_delay_alu instid0(VALU_DEP_2) | instskip(NEXT) | instid1(VALU_DEP_1)
	v_cmp_gt_i32_e64 s1, s23, v12
	v_dual_add_nc_u32 v12, -1, v32 :: v_dual_cndmask_b32 v46, 0, v46, s1
	s_delay_alu instid0(VALU_DEP_4) | instskip(NEXT) | instid1(VALU_DEP_1)
	v_cmp_gt_i32_e64 s1, s23, v24
	v_cndmask_b32_e64 v27, 0, v27, s1
	v_cmp_gt_i32_e64 s1, s23, v25
	s_delay_alu instid0(VALU_DEP_1) | instskip(SKIP_1) | instid1(VALU_DEP_1)
	v_cndmask_b32_e64 v26, 0, v26, s1
	v_cmp_gt_i32_e64 s1, s23, v12
	v_cndmask_b32_e64 v44, 0, v44, s1
	v_cmp_gt_i32_e64 s1, s23, v32
	s_delay_alu instid0(VALU_DEP_1)
	v_cndmask_b32_e64 v45, 0, v45, s1
.LBB318_405:                            ;   in Loop: Header=BB318_281 Depth=1
	s_or_b32 exec_lo, exec_lo, s14
	global_load_b64 v[22:23], v[22:23], off offset:512
	v_dual_mov_b32 v53, 0 :: v_dual_mov_b32 v52, 0
	s_mov_b32 s14, exec_lo
	s_wait_loadcnt 0x0
	v_and_b32_e32 v12, 0xff, v22
	s_delay_alu instid0(VALU_DEP_1)
	v_cmpx_ne_u16_e32 0, v12
	s_cbranch_execz .LBB318_411
; %bb.406:                              ;   in Loop: Header=BB318_281 Depth=1
	v_bfrev_b32_e32 v52, 1
	s_mov_b32 s15, exec_lo
	v_cmpx_ne_u16_e32 0x80, v12
	s_cbranch_execz .LBB318_410
; %bb.407:                              ;   in Loop: Header=BB318_281 Depth=1
	v_and_b32_e32 v12, 0x7f, v22
	v_mov_b32_e32 v52, 0x7f800001
	s_mov_b32 s16, exec_lo
	s_delay_alu instid0(VALU_DEP_2)
	v_cmpx_ne_u32_e32 0x7f, v12
	s_cbranch_execz .LBB318_409
; %bb.408:                              ;   in Loop: Header=BB318_281 Depth=1
	v_dual_lshrrev_b32 v25, 3, v12 :: v_dual_bitop2_b32 v24, 7, v22 bitop3:0x40
	v_cmp_gt_u32_e64 s1, 8, v12
	s_delay_alu instid0(VALU_DEP_2) | instskip(NEXT) | instid1(VALU_DEP_1)
	v_clz_i32_u32_e32 v24, v24
	v_min_u32_e32 v24, 32, v24
	s_delay_alu instid0(VALU_DEP_1) | instskip(SKIP_1) | instid1(VALU_DEP_1)
	v_subrev_nc_u32_e32 v50, 28, v24
	v_sub_nc_u32_e32 v24, 29, v24
	v_dual_cndmask_b32 v12, v25, v24, s1 :: v_dual_cndmask_b32 v24, 0, v50, s1
	s_delay_alu instid0(VALU_DEP_1) | instskip(NEXT) | instid1(VALU_DEP_2)
	v_lshl_add_u32 v12, v12, 23, 0x3c000000
	v_lshlrev_b64_e32 v[24:25], v24, v[22:23]
	v_lshlrev_b32_e32 v25, 24, v22
	s_delay_alu instid0(VALU_DEP_1) | instskip(NEXT) | instid1(VALU_DEP_3)
	v_and_b32_e32 v25, 0x80000000, v25
	v_lshlrev_b32_e32 v24, 20, v24
	s_delay_alu instid0(VALU_DEP_1) | instskip(NEXT) | instid1(VALU_DEP_1)
	v_and_b32_e32 v24, 0x700000, v24
	v_or3_b32 v52, v24, v25, v12
.LBB318_409:                            ;   in Loop: Header=BB318_281 Depth=1
	s_or_b32 exec_lo, exec_lo, s16
.LBB318_410:                            ;   in Loop: Header=BB318_281 Depth=1
	s_delay_alu instid0(SALU_CYCLE_1)
	s_or_b32 exec_lo, exec_lo, s15
.LBB318_411:                            ;   in Loop: Header=BB318_281 Depth=1
	s_delay_alu instid0(SALU_CYCLE_1) | instskip(SKIP_2) | instid1(VALU_DEP_1)
	s_or_b32 exec_lo, exec_lo, s14
	v_lshrrev_b16 v12, 8, v22
	s_mov_b32 s14, exec_lo
	v_cmpx_ne_u16_e32 0, v12
	s_cbranch_execz .LBB318_419
; %bb.412:                              ;   in Loop: Header=BB318_281 Depth=1
	v_bfrev_b32_e32 v53, 1
	s_mov_b32 s15, exec_lo
	v_cmpx_ne_u16_e32 0x80, v12
	s_cbranch_execz .LBB318_418
; %bb.413:                              ;   in Loop: Header=BB318_281 Depth=1
	v_and_b32_e32 v12, 0xffff, v12
	v_mov_b32_e32 v53, 0x7f800001
	s_mov_b32 s16, exec_lo
	s_delay_alu instid0(VALU_DEP_2) | instskip(NEXT) | instid1(VALU_DEP_1)
	v_and_b32_e32 v25, 0x7f, v12
	v_cmpx_ne_u32_e32 0x7f, v25
	s_cbranch_execz .LBB318_417
; %bb.414:                              ;   in Loop: Header=BB318_281 Depth=1
	v_dual_lshrrev_b32 v24, 3, v25 :: v_dual_bitop2_b32 v12, 7, v12 bitop3:0x40
	s_mov_b32 s17, exec_lo
	v_cmpx_gt_u32_e32 8, v25
; %bb.415:                              ;   in Loop: Header=BB318_281 Depth=1
	s_delay_alu instid0(VALU_DEP_2) | instskip(NEXT) | instid1(VALU_DEP_1)
	v_clz_i32_u32_e32 v24, v12
	v_min_u32_e32 v24, 32, v24
	s_delay_alu instid0(VALU_DEP_1) | instskip(NEXT) | instid1(VALU_DEP_1)
	v_subrev_nc_u32_e32 v25, 28, v24
	v_lshlrev_b64_e32 v[50:51], v25, v[12:13]
	s_delay_alu instid0(VALU_DEP_1)
	v_dual_sub_nc_u32 v24, 29, v24 :: v_dual_bitop2_b32 v12, 7, v50 bitop3:0x40
; %bb.416:                              ;   in Loop: Header=BB318_281 Depth=1
	s_or_b32 exec_lo, exec_lo, s17
	s_delay_alu instid0(VALU_DEP_1) | instskip(NEXT) | instid1(VALU_DEP_2)
	v_dual_lshlrev_b32 v25, 16, v22 :: v_dual_lshlrev_b32 v12, 20, v12
	v_lshl_add_u32 v24, v24, 23, 0x3c000000
	s_delay_alu instid0(VALU_DEP_2) | instskip(NEXT) | instid1(VALU_DEP_1)
	v_and_b32_e32 v25, 0x80000000, v25
	v_or3_b32 v53, v12, v25, v24
.LBB318_417:                            ;   in Loop: Header=BB318_281 Depth=1
	s_or_b32 exec_lo, exec_lo, s16
.LBB318_418:                            ;   in Loop: Header=BB318_281 Depth=1
	s_delay_alu instid0(SALU_CYCLE_1)
	s_or_b32 exec_lo, exec_lo, s15
.LBB318_419:                            ;   in Loop: Header=BB318_281 Depth=1
	s_delay_alu instid0(SALU_CYCLE_1) | instskip(SKIP_3) | instid1(VALU_DEP_2)
	s_or_b32 exec_lo, exec_lo, s14
	v_dual_lshrrev_b32 v24, 16, v22 :: v_dual_mov_b32 v50, 0
	v_mov_b32_e32 v51, 0
	s_mov_b32 s14, exec_lo
	v_and_b32_e32 v12, 0xff, v24
	s_delay_alu instid0(VALU_DEP_1)
	v_cmpx_ne_u16_e32 0, v12
	s_cbranch_execz .LBB318_427
; %bb.420:                              ;   in Loop: Header=BB318_281 Depth=1
	v_bfrev_b32_e32 v51, 1
	s_mov_b32 s15, exec_lo
	v_cmpx_ne_u16_e32 0x80, v12
	s_cbranch_execz .LBB318_426
; %bb.421:                              ;   in Loop: Header=BB318_281 Depth=1
	v_bfe_u32 v54, v22, 16, 7
	v_mov_b32_e32 v51, 0x7f800001
	s_mov_b32 s16, exec_lo
	s_delay_alu instid0(VALU_DEP_2)
	v_cmpx_ne_u32_e32 0x7f, v54
	s_cbranch_execz .LBB318_425
; %bb.422:                              ;   in Loop: Header=BB318_281 Depth=1
	v_dual_lshrrev_b32 v25, 3, v54 :: v_dual_bitop2_b32 v12, 7, v24 bitop3:0x40
	s_mov_b32 s17, exec_lo
	v_cmpx_gt_u32_e32 8, v54
; %bb.423:                              ;   in Loop: Header=BB318_281 Depth=1
	s_delay_alu instid0(VALU_DEP_2) | instskip(NEXT) | instid1(VALU_DEP_1)
	v_clz_i32_u32_e32 v25, v12
	v_min_u32_e32 v25, 32, v25
	s_delay_alu instid0(VALU_DEP_1) | instskip(NEXT) | instid1(VALU_DEP_1)
	v_subrev_nc_u32_e32 v51, 28, v25
	v_lshlrev_b64_e32 v[54:55], v51, v[12:13]
	s_delay_alu instid0(VALU_DEP_1)
	v_dual_sub_nc_u32 v25, 29, v25 :: v_dual_bitop2_b32 v12, 7, v54 bitop3:0x40
; %bb.424:                              ;   in Loop: Header=BB318_281 Depth=1
	s_or_b32 exec_lo, exec_lo, s17
	v_lshlrev_b32_e32 v24, 24, v24
	s_delay_alu instid0(VALU_DEP_2) | instskip(NEXT) | instid1(VALU_DEP_3)
	v_lshlrev_b32_e32 v12, 20, v12
	v_lshl_add_u32 v25, v25, 23, 0x3c000000
	s_delay_alu instid0(VALU_DEP_3) | instskip(NEXT) | instid1(VALU_DEP_1)
	v_and_b32_e32 v24, 0x80000000, v24
	v_or3_b32 v51, v12, v24, v25
.LBB318_425:                            ;   in Loop: Header=BB318_281 Depth=1
	s_or_b32 exec_lo, exec_lo, s16
.LBB318_426:                            ;   in Loop: Header=BB318_281 Depth=1
	s_delay_alu instid0(SALU_CYCLE_1)
	s_or_b32 exec_lo, exec_lo, s15
.LBB318_427:                            ;   in Loop: Header=BB318_281 Depth=1
	s_delay_alu instid0(SALU_CYCLE_1) | instskip(NEXT) | instid1(SALU_CYCLE_1)
	s_or_b32 exec_lo, exec_lo, s14
	s_mov_b32 s14, exec_lo
	v_cmpx_lt_u32_e32 0xffffff, v22
	s_cbranch_execz .LBB318_435
; %bb.428:                              ;   in Loop: Header=BB318_281 Depth=1
	v_lshrrev_b32_e32 v24, 24, v22
	v_bfrev_b32_e32 v50, 1
	s_mov_b32 s15, exec_lo
	s_delay_alu instid0(VALU_DEP_2)
	v_cmpx_ne_u32_e32 0x80, v24
	s_cbranch_execz .LBB318_434
; %bb.429:                              ;   in Loop: Header=BB318_281 Depth=1
	v_bfe_u32 v54, v22, 24, 7
	v_mov_b32_e32 v50, 0x7f800001
	s_mov_b32 s16, exec_lo
	s_delay_alu instid0(VALU_DEP_2)
	v_cmpx_ne_u32_e32 0x7f, v54
	s_cbranch_execz .LBB318_433
; %bb.430:                              ;   in Loop: Header=BB318_281 Depth=1
	v_dual_lshrrev_b32 v25, 3, v54 :: v_dual_bitop2_b32 v12, 7, v24 bitop3:0x40
	s_mov_b32 s17, exec_lo
	v_cmpx_gt_u32_e32 8, v54
; %bb.431:                              ;   in Loop: Header=BB318_281 Depth=1
	s_delay_alu instid0(VALU_DEP_2) | instskip(NEXT) | instid1(VALU_DEP_1)
	v_clz_i32_u32_e32 v25, v12
	v_min_u32_e32 v25, 32, v25
	s_delay_alu instid0(VALU_DEP_1) | instskip(NEXT) | instid1(VALU_DEP_1)
	v_subrev_nc_u32_e32 v50, 28, v25
	v_lshlrev_b64_e32 v[54:55], v50, v[12:13]
	s_delay_alu instid0(VALU_DEP_1)
	v_dual_sub_nc_u32 v25, 29, v25 :: v_dual_bitop2_b32 v12, 7, v54 bitop3:0x40
; %bb.432:                              ;   in Loop: Header=BB318_281 Depth=1
	s_or_b32 exec_lo, exec_lo, s17
	v_lshlrev_b32_e32 v24, 24, v24
	s_delay_alu instid0(VALU_DEP_2) | instskip(NEXT) | instid1(VALU_DEP_3)
	v_lshlrev_b32_e32 v12, 20, v12
	v_lshl_add_u32 v25, v25, 23, 0x3c000000
	s_delay_alu instid0(VALU_DEP_3) | instskip(NEXT) | instid1(VALU_DEP_1)
	v_and_b32_e32 v24, 0x80000000, v24
	v_or3_b32 v50, v12, v24, v25
.LBB318_433:                            ;   in Loop: Header=BB318_281 Depth=1
	s_or_b32 exec_lo, exec_lo, s16
.LBB318_434:                            ;   in Loop: Header=BB318_281 Depth=1
	s_delay_alu instid0(SALU_CYCLE_1)
	s_or_b32 exec_lo, exec_lo, s15
.LBB318_435:                            ;   in Loop: Header=BB318_281 Depth=1
	s_delay_alu instid0(SALU_CYCLE_1) | instskip(SKIP_4) | instid1(VALU_DEP_3)
	s_or_b32 exec_lo, exec_lo, s14
	v_and_b32_e32 v25, 0xff, v23
	v_dual_mov_b32 v12, v23 :: v_dual_mov_b32 v24, 0
	v_mov_b32_e32 v54, 0
	s_mov_b32 s14, exec_lo
	v_cmpx_ne_u16_e32 0, v25
	s_cbranch_execz .LBB318_441
; %bb.436:                              ;   in Loop: Header=BB318_281 Depth=1
	v_bfrev_b32_e32 v54, 1
	s_mov_b32 s15, exec_lo
	v_cmpx_ne_u16_e32 0x80, v25
	s_cbranch_execz .LBB318_440
; %bb.437:                              ;   in Loop: Header=BB318_281 Depth=1
	v_and_b32_e32 v25, 0x7f, v23
	v_mov_b32_e32 v54, 0x7f800001
	s_mov_b32 s16, exec_lo
	s_delay_alu instid0(VALU_DEP_2)
	v_cmpx_ne_u32_e32 0x7f, v25
	s_cbranch_execz .LBB318_439
; %bb.438:                              ;   in Loop: Header=BB318_281 Depth=1
	v_dual_lshrrev_b32 v55, 3, v25 :: v_dual_bitop2_b32 v54, 7, v23 bitop3:0x40
	v_cmp_gt_u32_e64 s1, 8, v25
	s_delay_alu instid0(VALU_DEP_2) | instskip(NEXT) | instid1(VALU_DEP_1)
	v_clz_i32_u32_e32 v54, v54
	v_min_u32_e32 v54, 32, v54
	s_delay_alu instid0(VALU_DEP_1) | instskip(SKIP_1) | instid1(VALU_DEP_1)
	v_subrev_nc_u32_e32 v56, 28, v54
	v_sub_nc_u32_e32 v54, 29, v54
	v_dual_cndmask_b32 v25, v55, v54, s1 :: v_dual_cndmask_b32 v54, 0, v56, s1
	s_delay_alu instid0(VALU_DEP_1) | instskip(NEXT) | instid1(VALU_DEP_2)
	v_lshl_add_u32 v25, v25, 23, 0x3c000000
	v_lshlrev_b64_e32 v[54:55], v54, v[12:13]
	v_lshlrev_b32_e32 v55, 24, v12
	s_delay_alu instid0(VALU_DEP_1) | instskip(NEXT) | instid1(VALU_DEP_3)
	v_and_b32_e32 v55, 0x80000000, v55
	v_lshlrev_b32_e32 v54, 20, v54
	s_delay_alu instid0(VALU_DEP_1) | instskip(NEXT) | instid1(VALU_DEP_1)
	v_and_b32_e32 v54, 0x700000, v54
	v_or3_b32 v54, v54, v55, v25
.LBB318_439:                            ;   in Loop: Header=BB318_281 Depth=1
	s_or_b32 exec_lo, exec_lo, s16
.LBB318_440:                            ;   in Loop: Header=BB318_281 Depth=1
	s_delay_alu instid0(SALU_CYCLE_1)
	s_or_b32 exec_lo, exec_lo, s15
.LBB318_441:                            ;   in Loop: Header=BB318_281 Depth=1
	s_delay_alu instid0(SALU_CYCLE_1) | instskip(SKIP_2) | instid1(VALU_DEP_1)
	s_or_b32 exec_lo, exec_lo, s14
	v_lshrrev_b16 v25, 8, v12
	s_mov_b32 s14, exec_lo
	v_cmpx_ne_u16_e32 0, v25
	s_cbranch_execz .LBB318_449
; %bb.442:                              ;   in Loop: Header=BB318_281 Depth=1
	v_bfrev_b32_e32 v24, 1
	s_mov_b32 s15, exec_lo
	v_cmpx_ne_u16_e32 0x80, v25
	s_cbranch_execz .LBB318_448
; %bb.443:                              ;   in Loop: Header=BB318_281 Depth=1
	v_and_b32_e32 v25, 0xffff, v25
	v_mov_b32_e32 v24, 0x7f800001
	s_mov_b32 s16, exec_lo
	s_delay_alu instid0(VALU_DEP_2) | instskip(NEXT) | instid1(VALU_DEP_1)
	v_and_b32_e32 v56, 0x7f, v25
	v_cmpx_ne_u32_e32 0x7f, v56
	s_cbranch_execz .LBB318_447
; %bb.444:                              ;   in Loop: Header=BB318_281 Depth=1
	v_dual_mov_b32 v25, v13 :: v_dual_bitop2_b32 v24, 7, v25 bitop3:0x40
	v_lshrrev_b32_e32 v55, 3, v56
	s_mov_b32 s17, exec_lo
	v_cmpx_gt_u32_e32 8, v56
; %bb.445:                              ;   in Loop: Header=BB318_281 Depth=1
	s_delay_alu instid0(VALU_DEP_3) | instskip(NEXT) | instid1(VALU_DEP_1)
	v_clz_i32_u32_e32 v55, v24
	v_min_u32_e32 v55, 32, v55
	s_delay_alu instid0(VALU_DEP_1) | instskip(NEXT) | instid1(VALU_DEP_1)
	v_subrev_nc_u32_e32 v56, 28, v55
	v_lshlrev_b64_e32 v[24:25], v56, v[24:25]
	s_delay_alu instid0(VALU_DEP_1)
	v_dual_sub_nc_u32 v55, 29, v55 :: v_dual_bitop2_b32 v24, 7, v24 bitop3:0x40
; %bb.446:                              ;   in Loop: Header=BB318_281 Depth=1
	s_or_b32 exec_lo, exec_lo, s17
	v_lshlrev_b32_e32 v12, 16, v12
	s_delay_alu instid0(VALU_DEP_2) | instskip(NEXT) | instid1(VALU_DEP_3)
	v_lshlrev_b32_e32 v24, 20, v24
	v_lshl_add_u32 v25, v55, 23, 0x3c000000
	s_delay_alu instid0(VALU_DEP_3) | instskip(NEXT) | instid1(VALU_DEP_1)
	v_and_b32_e32 v12, 0x80000000, v12
	v_or3_b32 v24, v24, v12, v25
.LBB318_447:                            ;   in Loop: Header=BB318_281 Depth=1
	s_or_b32 exec_lo, exec_lo, s16
.LBB318_448:                            ;   in Loop: Header=BB318_281 Depth=1
	s_delay_alu instid0(SALU_CYCLE_1)
	s_or_b32 exec_lo, exec_lo, s15
.LBB318_449:                            ;   in Loop: Header=BB318_281 Depth=1
	s_delay_alu instid0(SALU_CYCLE_1) | instskip(SKIP_3) | instid1(VALU_DEP_2)
	s_or_b32 exec_lo, exec_lo, s14
	v_dual_mov_b32 v25, 0 :: v_dual_lshrrev_b32 v56, 16, v23
	v_mov_b32_e32 v55, 0
	s_mov_b32 s14, exec_lo
	v_and_b32_e32 v12, 0xff, v56
	s_delay_alu instid0(VALU_DEP_1)
	v_cmpx_ne_u16_e32 0, v12
	s_cbranch_execz .LBB318_457
; %bb.450:                              ;   in Loop: Header=BB318_281 Depth=1
	v_bfrev_b32_e32 v55, 1
	s_mov_b32 s15, exec_lo
	v_cmpx_ne_u16_e32 0x80, v12
	s_cbranch_execz .LBB318_456
; %bb.451:                              ;   in Loop: Header=BB318_281 Depth=1
	v_bfe_u32 v57, v23, 16, 7
	v_mov_b32_e32 v55, 0x7f800001
	s_mov_b32 s16, exec_lo
	s_delay_alu instid0(VALU_DEP_2)
	v_cmpx_ne_u32_e32 0x7f, v57
	s_cbranch_execz .LBB318_455
; %bb.452:                              ;   in Loop: Header=BB318_281 Depth=1
	v_dual_lshrrev_b32 v55, 3, v57 :: v_dual_bitop2_b32 v12, 7, v56 bitop3:0x40
	s_mov_b32 s17, exec_lo
	v_cmpx_gt_u32_e32 8, v57
; %bb.453:                              ;   in Loop: Header=BB318_281 Depth=1
	s_delay_alu instid0(VALU_DEP_2) | instskip(NEXT) | instid1(VALU_DEP_1)
	v_clz_i32_u32_e32 v55, v12
	v_min_u32_e32 v55, 32, v55
	s_delay_alu instid0(VALU_DEP_1) | instskip(NEXT) | instid1(VALU_DEP_1)
	v_subrev_nc_u32_e32 v57, 28, v55
	v_lshlrev_b64_e32 v[58:59], v57, v[12:13]
	s_delay_alu instid0(VALU_DEP_1)
	v_dual_sub_nc_u32 v55, 29, v55 :: v_dual_bitop2_b32 v12, 7, v58 bitop3:0x40
; %bb.454:                              ;   in Loop: Header=BB318_281 Depth=1
	s_or_b32 exec_lo, exec_lo, s17
	v_lshlrev_b32_e32 v56, 24, v56
	s_delay_alu instid0(VALU_DEP_2) | instskip(NEXT) | instid1(VALU_DEP_3)
	v_lshlrev_b32_e32 v12, 20, v12
	v_lshl_add_u32 v55, v55, 23, 0x3c000000
	s_delay_alu instid0(VALU_DEP_3) | instskip(NEXT) | instid1(VALU_DEP_1)
	v_and_b32_e32 v56, 0x80000000, v56
	v_or3_b32 v55, v12, v56, v55
.LBB318_455:                            ;   in Loop: Header=BB318_281 Depth=1
	s_or_b32 exec_lo, exec_lo, s16
.LBB318_456:                            ;   in Loop: Header=BB318_281 Depth=1
	s_delay_alu instid0(SALU_CYCLE_1)
	s_or_b32 exec_lo, exec_lo, s15
.LBB318_457:                            ;   in Loop: Header=BB318_281 Depth=1
	s_delay_alu instid0(SALU_CYCLE_1) | instskip(NEXT) | instid1(SALU_CYCLE_1)
	s_or_b32 exec_lo, exec_lo, s14
	s_mov_b32 s14, exec_lo
	v_cmpx_lt_u64_e64 s[2:3], v[22:23]
	s_cbranch_execz .LBB318_465
; %bb.458:                              ;   in Loop: Header=BB318_281 Depth=1
	v_lshrrev_b32_e32 v22, 24, v23
	v_bfrev_b32_e32 v25, 1
	s_mov_b32 s15, exec_lo
	s_delay_alu instid0(VALU_DEP_2)
	v_cmpx_ne_u32_e32 0x80, v22
	s_cbranch_execz .LBB318_464
; %bb.459:                              ;   in Loop: Header=BB318_281 Depth=1
	v_bfe_u32 v56, v23, 24, 7
	v_mov_b32_e32 v25, 0x7f800001
	s_mov_b32 s16, exec_lo
	s_delay_alu instid0(VALU_DEP_2)
	v_cmpx_ne_u32_e32 0x7f, v56
	s_cbranch_execz .LBB318_463
; %bb.460:                              ;   in Loop: Header=BB318_281 Depth=1
	v_dual_lshrrev_b32 v23, 3, v56 :: v_dual_bitop2_b32 v12, 7, v22 bitop3:0x40
	s_mov_b32 s17, exec_lo
	v_cmpx_gt_u32_e32 8, v56
; %bb.461:                              ;   in Loop: Header=BB318_281 Depth=1
	s_delay_alu instid0(VALU_DEP_2) | instskip(NEXT) | instid1(VALU_DEP_1)
	v_clz_i32_u32_e32 v23, v12
	v_min_u32_e32 v23, 32, v23
	s_delay_alu instid0(VALU_DEP_1) | instskip(NEXT) | instid1(VALU_DEP_1)
	v_subrev_nc_u32_e32 v25, 28, v23
	v_lshlrev_b64_e32 v[56:57], v25, v[12:13]
	s_delay_alu instid0(VALU_DEP_1)
	v_dual_sub_nc_u32 v23, 29, v23 :: v_dual_bitop2_b32 v12, 7, v56 bitop3:0x40
; %bb.462:                              ;   in Loop: Header=BB318_281 Depth=1
	s_or_b32 exec_lo, exec_lo, s17
	s_delay_alu instid0(VALU_DEP_1) | instskip(NEXT) | instid1(VALU_DEP_2)
	v_dual_lshlrev_b32 v22, 24, v22 :: v_dual_lshlrev_b32 v12, 20, v12
	v_lshl_add_u32 v23, v23, 23, 0x3c000000
	s_delay_alu instid0(VALU_DEP_2) | instskip(NEXT) | instid1(VALU_DEP_1)
	v_and_b32_e32 v22, 0x80000000, v22
	v_or3_b32 v25, v12, v22, v23
.LBB318_463:                            ;   in Loop: Header=BB318_281 Depth=1
	s_or_b32 exec_lo, exec_lo, s16
.LBB318_464:                            ;   in Loop: Header=BB318_281 Depth=1
	s_delay_alu instid0(SALU_CYCLE_1)
	s_or_b32 exec_lo, exec_lo, s15
.LBB318_465:                            ;   in Loop: Header=BB318_281 Depth=1
	s_delay_alu instid0(SALU_CYCLE_1)
	s_or_b32 exec_lo, exec_lo, s14
	v_fma_mixlo_bf16 v22, s25, v24, 0
	v_fma_mixlo_bf16 v23, s25, v54, 0
	;; [unrolled: 1-line block ×8, first 2 shown]
	s_and_saveexec_b32 s14, s0
	s_cbranch_execz .LBB318_467
; %bb.466:                              ;   in Loop: Header=BB318_281 Depth=1
	v_dual_add_nc_u32 v12, -6, v32 :: v_dual_add_nc_u32 v52, -5, v32
	v_cmp_gt_i32_e64 s1, s23, v43
	s_delay_alu instid0(VALU_DEP_1) | instskip(NEXT) | instid1(VALU_DEP_3)
	v_dual_add_nc_u32 v55, -2, v32 :: v_dual_cndmask_b32 v54, 0, v54, s1
	v_cmp_gt_i32_e64 s1, s23, v12
	s_delay_alu instid0(VALU_DEP_1) | instskip(SKIP_2) | instid1(VALU_DEP_2)
	v_cndmask_b32_e64 v53, 0, v53, s1
	v_cmp_gt_i32_e64 s1, s23, v52
	v_dual_add_nc_u32 v12, -4, v32 :: v_dual_add_nc_u32 v52, -3, v32
	v_cndmask_b32_e64 v51, 0, v51, s1
	s_delay_alu instid0(VALU_DEP_2) | instskip(NEXT) | instid1(VALU_DEP_1)
	v_cmp_gt_i32_e64 s1, s23, v12
	v_dual_add_nc_u32 v12, -1, v32 :: v_dual_cndmask_b32 v50, 0, v50, s1
	s_delay_alu instid0(VALU_DEP_4) | instskip(NEXT) | instid1(VALU_DEP_1)
	v_cmp_gt_i32_e64 s1, s23, v52
	v_cndmask_b32_e64 v23, 0, v23, s1
	v_cmp_gt_i32_e64 s1, s23, v55
	s_delay_alu instid0(VALU_DEP_1) | instskip(SKIP_1) | instid1(VALU_DEP_1)
	v_cndmask_b32_e64 v22, 0, v22, s1
	v_cmp_gt_i32_e64 s1, s23, v12
	v_cndmask_b32_e64 v24, 0, v24, s1
	v_cmp_gt_i32_e64 s1, s23, v32
	s_delay_alu instid0(VALU_DEP_1)
	v_cndmask_b32_e64 v25, 0, v25, s1
.LBB318_467:                            ;   in Loop: Header=BB318_281 Depth=1
	s_or_b32 exec_lo, exec_lo, s14
	s_wait_dscnt 0x1
	v_cvt_pk_bf16_f32 v52, v6, v7
	v_cvt_pk_bf16_f32 v8, v8, v9
	s_wait_dscnt 0x0
	v_cvt_pk_bf16_f32 v7, v2, v3
	v_cvt_pk_bf16_f32 v6, v4, v5
	s_and_saveexec_b32 s14, vcc_lo
	s_cbranch_execz .LBB318_280
; %bb.468:                              ;   in Loop: Header=BB318_281 Depth=1
	v_add_nc_u64_e32 v[2:3], v[20:21], v[16:17]
	v_dual_mov_b32 v20, 0 :: v_dual_mov_b32 v9, 0
	s_mov_b32 s15, exec_lo
	global_load_b64 v[2:3], v[2:3], off
	s_wait_loadcnt 0x0
	v_and_b32_e32 v4, 0xff, v2
	s_delay_alu instid0(VALU_DEP_1)
	v_cmpx_ne_u16_e32 0, v4
	s_cbranch_execz .LBB318_474
; %bb.469:                              ;   in Loop: Header=BB318_281 Depth=1
	v_bfrev_b32_e32 v9, 1
	s_mov_b32 s16, exec_lo
	v_cmpx_ne_u16_e32 0x80, v4
	s_cbranch_execz .LBB318_473
; %bb.470:                              ;   in Loop: Header=BB318_281 Depth=1
	v_and_b32_e32 v4, 0x7f, v2
	v_mov_b32_e32 v9, 0x7f800001
	s_mov_b32 s17, exec_lo
	s_delay_alu instid0(VALU_DEP_2)
	v_cmpx_ne_u32_e32 0x7f, v4
	s_cbranch_execz .LBB318_472
; %bb.471:                              ;   in Loop: Header=BB318_281 Depth=1
	v_dual_lshrrev_b32 v9, 3, v4 :: v_dual_bitop2_b32 v5, 7, v2 bitop3:0x40
	v_cmp_gt_u32_e64 s1, 8, v4
	s_delay_alu instid0(VALU_DEP_2) | instskip(NEXT) | instid1(VALU_DEP_1)
	v_clz_i32_u32_e32 v5, v5
	v_min_u32_e32 v5, 32, v5
	s_delay_alu instid0(VALU_DEP_1) | instskip(NEXT) | instid1(VALU_DEP_1)
	v_subrev_nc_u32_e32 v12, 28, v5
	v_dual_sub_nc_u32 v5, 29, v5 :: v_dual_cndmask_b32 v4, 0, v12, s1
	s_delay_alu instid0(VALU_DEP_1) | instskip(NEXT) | instid1(VALU_DEP_2)
	v_cndmask_b32_e64 v9, v9, v5, s1
	v_lshlrev_b64_e32 v[4:5], v4, v[2:3]
	v_lshlrev_b32_e32 v5, 24, v2
	s_delay_alu instid0(VALU_DEP_3) | instskip(NEXT) | instid1(VALU_DEP_2)
	v_lshl_add_u32 v9, v9, 23, 0x3c000000
	v_and_b32_e32 v5, 0x80000000, v5
	s_delay_alu instid0(VALU_DEP_4) | instskip(NEXT) | instid1(VALU_DEP_1)
	v_lshlrev_b32_e32 v4, 20, v4
	v_and_b32_e32 v4, 0x700000, v4
	s_delay_alu instid0(VALU_DEP_1)
	v_or3_b32 v9, v4, v5, v9
.LBB318_472:                            ;   in Loop: Header=BB318_281 Depth=1
	s_or_b32 exec_lo, exec_lo, s17
.LBB318_473:                            ;   in Loop: Header=BB318_281 Depth=1
	s_delay_alu instid0(SALU_CYCLE_1)
	s_or_b32 exec_lo, exec_lo, s16
.LBB318_474:                            ;   in Loop: Header=BB318_281 Depth=1
	s_delay_alu instid0(SALU_CYCLE_1) | instskip(SKIP_2) | instid1(VALU_DEP_1)
	s_or_b32 exec_lo, exec_lo, s15
	v_lshrrev_b16 v4, 8, v2
	s_mov_b32 s15, exec_lo
	v_cmpx_ne_u16_e32 0, v4
	s_cbranch_execz .LBB318_482
; %bb.475:                              ;   in Loop: Header=BB318_281 Depth=1
	v_bfrev_b32_e32 v20, 1
	s_mov_b32 s16, exec_lo
	v_cmpx_ne_u16_e32 0x80, v4
	s_cbranch_execz .LBB318_481
; %bb.476:                              ;   in Loop: Header=BB318_281 Depth=1
	v_and_b32_e32 v4, 0xffff, v4
	v_mov_b32_e32 v20, 0x7f800001
	s_mov_b32 s17, exec_lo
	s_delay_alu instid0(VALU_DEP_2) | instskip(NEXT) | instid1(VALU_DEP_1)
	v_and_b32_e32 v5, 0x7f, v4
	v_cmpx_ne_u32_e32 0x7f, v5
	s_cbranch_execz .LBB318_480
; %bb.477:                              ;   in Loop: Header=BB318_281 Depth=1
	v_dual_lshrrev_b32 v4, 3, v5 :: v_dual_bitop2_b32 v12, 7, v4 bitop3:0x40
	s_mov_b32 s18, exec_lo
	v_cmpx_gt_u32_e32 8, v5
; %bb.478:                              ;   in Loop: Header=BB318_281 Depth=1
	s_delay_alu instid0(VALU_DEP_2) | instskip(NEXT) | instid1(VALU_DEP_1)
	v_clz_i32_u32_e32 v4, v12
	v_min_u32_e32 v4, 32, v4
	s_delay_alu instid0(VALU_DEP_1) | instskip(SKIP_1) | instid1(VALU_DEP_2)
	v_subrev_nc_u32_e32 v5, 28, v4
	v_sub_nc_u32_e32 v4, 29, v4
	v_lshlrev_b64_e32 v[20:21], v5, v[12:13]
	s_delay_alu instid0(VALU_DEP_1)
	v_and_b32_e32 v12, 7, v20
; %bb.479:                              ;   in Loop: Header=BB318_281 Depth=1
	s_or_b32 exec_lo, exec_lo, s18
	s_delay_alu instid0(VALU_DEP_1) | instskip(SKIP_1) | instid1(VALU_DEP_2)
	v_dual_lshlrev_b32 v5, 16, v2 :: v_dual_lshlrev_b32 v12, 20, v12
	v_lshl_add_u32 v4, v4, 23, 0x3c000000
	v_and_b32_e32 v5, 0x80000000, v5
	s_delay_alu instid0(VALU_DEP_1)
	v_or3_b32 v20, v12, v5, v4
.LBB318_480:                            ;   in Loop: Header=BB318_281 Depth=1
	s_or_b32 exec_lo, exec_lo, s17
.LBB318_481:                            ;   in Loop: Header=BB318_281 Depth=1
	s_delay_alu instid0(SALU_CYCLE_1)
	s_or_b32 exec_lo, exec_lo, s16
.LBB318_482:                            ;   in Loop: Header=BB318_281 Depth=1
	s_delay_alu instid0(SALU_CYCLE_1) | instskip(SKIP_3) | instid1(VALU_DEP_2)
	s_or_b32 exec_lo, exec_lo, s15
	v_dual_mov_b32 v55, 0 :: v_dual_lshrrev_b32 v4, 16, v2
	v_mov_b32_e32 v21, 0
	s_mov_b32 s15, exec_lo
	v_and_b32_e32 v5, 0xff, v4
	s_delay_alu instid0(VALU_DEP_1)
	v_cmpx_ne_u16_e32 0, v5
	s_cbranch_execz .LBB318_490
; %bb.483:                              ;   in Loop: Header=BB318_281 Depth=1
	v_bfrev_b32_e32 v21, 1
	s_mov_b32 s16, exec_lo
	v_cmpx_ne_u16_e32 0x80, v5
	s_cbranch_execz .LBB318_489
; %bb.484:                              ;   in Loop: Header=BB318_281 Depth=1
	v_bfe_u32 v56, v2, 16, 7
	v_mov_b32_e32 v21, 0x7f800001
	s_mov_b32 s17, exec_lo
	s_delay_alu instid0(VALU_DEP_2)
	v_cmpx_ne_u32_e32 0x7f, v56
	s_cbranch_execz .LBB318_488
; %bb.485:                              ;   in Loop: Header=BB318_281 Depth=1
	v_and_b32_e32 v12, 7, v4
	v_lshrrev_b32_e32 v5, 3, v56
	s_mov_b32 s18, exec_lo
	v_cmpx_gt_u32_e32 8, v56
; %bb.486:                              ;   in Loop: Header=BB318_281 Depth=1
	s_delay_alu instid0(VALU_DEP_3) | instskip(NEXT) | instid1(VALU_DEP_1)
	v_clz_i32_u32_e32 v5, v12
	v_min_u32_e32 v5, 32, v5
	s_delay_alu instid0(VALU_DEP_1) | instskip(NEXT) | instid1(VALU_DEP_1)
	v_subrev_nc_u32_e32 v21, 28, v5
	v_lshlrev_b64_e32 v[56:57], v21, v[12:13]
	s_delay_alu instid0(VALU_DEP_1)
	v_dual_sub_nc_u32 v5, 29, v5 :: v_dual_bitop2_b32 v12, 7, v56 bitop3:0x40
; %bb.487:                              ;   in Loop: Header=BB318_281 Depth=1
	s_or_b32 exec_lo, exec_lo, s18
	v_lshlrev_b32_e32 v4, 24, v4
	s_delay_alu instid0(VALU_DEP_2) | instskip(NEXT) | instid1(VALU_DEP_3)
	v_lshlrev_b32_e32 v12, 20, v12
	v_lshl_add_u32 v5, v5, 23, 0x3c000000
	s_delay_alu instid0(VALU_DEP_3) | instskip(NEXT) | instid1(VALU_DEP_1)
	v_and_b32_e32 v4, 0x80000000, v4
	v_or3_b32 v21, v12, v4, v5
.LBB318_488:                            ;   in Loop: Header=BB318_281 Depth=1
	s_or_b32 exec_lo, exec_lo, s17
.LBB318_489:                            ;   in Loop: Header=BB318_281 Depth=1
	s_delay_alu instid0(SALU_CYCLE_1)
	s_or_b32 exec_lo, exec_lo, s16
.LBB318_490:                            ;   in Loop: Header=BB318_281 Depth=1
	s_delay_alu instid0(SALU_CYCLE_1) | instskip(NEXT) | instid1(SALU_CYCLE_1)
	s_or_b32 exec_lo, exec_lo, s15
	s_mov_b32 s15, exec_lo
	v_cmpx_lt_u32_e32 0xffffff, v2
	s_cbranch_execz .LBB318_498
; %bb.491:                              ;   in Loop: Header=BB318_281 Depth=1
	v_lshrrev_b32_e32 v4, 24, v2
	v_bfrev_b32_e32 v55, 1
	s_mov_b32 s16, exec_lo
	s_delay_alu instid0(VALU_DEP_2)
	v_cmpx_ne_u32_e32 0x80, v4
	s_cbranch_execz .LBB318_497
; %bb.492:                              ;   in Loop: Header=BB318_281 Depth=1
	v_bfe_u32 v56, v2, 24, 7
	v_mov_b32_e32 v55, 0x7f800001
	s_mov_b32 s17, exec_lo
	s_delay_alu instid0(VALU_DEP_2)
	v_cmpx_ne_u32_e32 0x7f, v56
	s_cbranch_execz .LBB318_496
; %bb.493:                              ;   in Loop: Header=BB318_281 Depth=1
	v_and_b32_e32 v12, 7, v4
	v_lshrrev_b32_e32 v5, 3, v56
	s_mov_b32 s18, exec_lo
	v_cmpx_gt_u32_e32 8, v56
; %bb.494:                              ;   in Loop: Header=BB318_281 Depth=1
	s_delay_alu instid0(VALU_DEP_3) | instskip(NEXT) | instid1(VALU_DEP_1)
	v_clz_i32_u32_e32 v5, v12
	v_min_u32_e32 v5, 32, v5
	s_delay_alu instid0(VALU_DEP_1) | instskip(NEXT) | instid1(VALU_DEP_1)
	v_subrev_nc_u32_e32 v55, 28, v5
	v_lshlrev_b64_e32 v[56:57], v55, v[12:13]
	s_delay_alu instid0(VALU_DEP_1)
	v_dual_sub_nc_u32 v5, 29, v5 :: v_dual_bitop2_b32 v12, 7, v56 bitop3:0x40
; %bb.495:                              ;   in Loop: Header=BB318_281 Depth=1
	s_or_b32 exec_lo, exec_lo, s18
	v_lshlrev_b32_e32 v4, 24, v4
	s_delay_alu instid0(VALU_DEP_2) | instskip(NEXT) | instid1(VALU_DEP_3)
	v_lshlrev_b32_e32 v12, 20, v12
	v_lshl_add_u32 v5, v5, 23, 0x3c000000
	s_delay_alu instid0(VALU_DEP_3) | instskip(NEXT) | instid1(VALU_DEP_1)
	v_and_b32_e32 v4, 0x80000000, v4
	v_or3_b32 v55, v12, v4, v5
.LBB318_496:                            ;   in Loop: Header=BB318_281 Depth=1
	s_or_b32 exec_lo, exec_lo, s17
.LBB318_497:                            ;   in Loop: Header=BB318_281 Depth=1
	s_delay_alu instid0(SALU_CYCLE_1)
	s_or_b32 exec_lo, exec_lo, s16
.LBB318_498:                            ;   in Loop: Header=BB318_281 Depth=1
	s_delay_alu instid0(SALU_CYCLE_1) | instskip(SKIP_4) | instid1(VALU_DEP_3)
	s_or_b32 exec_lo, exec_lo, s15
	v_and_b32_e32 v5, 0xff, v3
	v_dual_mov_b32 v12, v3 :: v_dual_mov_b32 v4, 0
	v_mov_b32_e32 v56, 0
	s_mov_b32 s15, exec_lo
	v_cmpx_ne_u16_e32 0, v5
	s_cbranch_execz .LBB318_504
; %bb.499:                              ;   in Loop: Header=BB318_281 Depth=1
	v_bfrev_b32_e32 v56, 1
	s_mov_b32 s16, exec_lo
	v_cmpx_ne_u16_e32 0x80, v5
	s_cbranch_execz .LBB318_503
; %bb.500:                              ;   in Loop: Header=BB318_281 Depth=1
	v_and_b32_e32 v5, 0x7f, v3
	v_mov_b32_e32 v56, 0x7f800001
	s_mov_b32 s17, exec_lo
	s_delay_alu instid0(VALU_DEP_2)
	v_cmpx_ne_u32_e32 0x7f, v5
	s_cbranch_execz .LBB318_502
; %bb.501:                              ;   in Loop: Header=BB318_281 Depth=1
	v_dual_lshrrev_b32 v57, 3, v5 :: v_dual_bitop2_b32 v56, 7, v3 bitop3:0x40
	v_cmp_gt_u32_e64 s1, 8, v5
	s_delay_alu instid0(VALU_DEP_2) | instskip(NEXT) | instid1(VALU_DEP_1)
	v_clz_i32_u32_e32 v56, v56
	v_min_u32_e32 v56, 32, v56
	s_delay_alu instid0(VALU_DEP_1) | instskip(SKIP_1) | instid1(VALU_DEP_1)
	v_subrev_nc_u32_e32 v58, 28, v56
	v_sub_nc_u32_e32 v56, 29, v56
	v_dual_cndmask_b32 v5, v57, v56, s1 :: v_dual_cndmask_b32 v56, 0, v58, s1
	s_delay_alu instid0(VALU_DEP_1) | instskip(NEXT) | instid1(VALU_DEP_2)
	v_lshl_add_u32 v5, v5, 23, 0x3c000000
	v_lshlrev_b64_e32 v[56:57], v56, v[12:13]
	v_lshlrev_b32_e32 v57, 24, v12
	s_delay_alu instid0(VALU_DEP_1) | instskip(NEXT) | instid1(VALU_DEP_3)
	v_and_b32_e32 v57, 0x80000000, v57
	v_lshlrev_b32_e32 v56, 20, v56
	s_delay_alu instid0(VALU_DEP_1) | instskip(NEXT) | instid1(VALU_DEP_1)
	v_and_b32_e32 v56, 0x700000, v56
	v_or3_b32 v56, v56, v57, v5
.LBB318_502:                            ;   in Loop: Header=BB318_281 Depth=1
	s_or_b32 exec_lo, exec_lo, s17
.LBB318_503:                            ;   in Loop: Header=BB318_281 Depth=1
	s_delay_alu instid0(SALU_CYCLE_1)
	s_or_b32 exec_lo, exec_lo, s16
.LBB318_504:                            ;   in Loop: Header=BB318_281 Depth=1
	s_delay_alu instid0(SALU_CYCLE_1) | instskip(SKIP_2) | instid1(VALU_DEP_1)
	s_or_b32 exec_lo, exec_lo, s15
	v_lshrrev_b16 v5, 8, v12
	s_mov_b32 s15, exec_lo
	v_cmpx_ne_u16_e32 0, v5
	s_cbranch_execz .LBB318_512
; %bb.505:                              ;   in Loop: Header=BB318_281 Depth=1
	v_bfrev_b32_e32 v4, 1
	s_mov_b32 s16, exec_lo
	v_cmpx_ne_u16_e32 0x80, v5
	s_cbranch_execz .LBB318_511
; %bb.506:                              ;   in Loop: Header=BB318_281 Depth=1
	v_and_b32_e32 v5, 0xffff, v5
	v_mov_b32_e32 v4, 0x7f800001
	s_mov_b32 s17, exec_lo
	s_delay_alu instid0(VALU_DEP_2) | instskip(NEXT) | instid1(VALU_DEP_1)
	v_and_b32_e32 v58, 0x7f, v5
	v_cmpx_ne_u32_e32 0x7f, v58
	s_cbranch_execz .LBB318_510
; %bb.507:                              ;   in Loop: Header=BB318_281 Depth=1
	v_dual_mov_b32 v5, v13 :: v_dual_bitop2_b32 v4, 7, v5 bitop3:0x40
	v_lshrrev_b32_e32 v57, 3, v58
	s_mov_b32 s18, exec_lo
	v_cmpx_gt_u32_e32 8, v58
; %bb.508:                              ;   in Loop: Header=BB318_281 Depth=1
	s_delay_alu instid0(VALU_DEP_3) | instskip(NEXT) | instid1(VALU_DEP_1)
	v_clz_i32_u32_e32 v57, v4
	v_min_u32_e32 v57, 32, v57
	s_delay_alu instid0(VALU_DEP_1) | instskip(NEXT) | instid1(VALU_DEP_1)
	v_subrev_nc_u32_e32 v58, 28, v57
	v_lshlrev_b64_e32 v[4:5], v58, v[4:5]
	s_delay_alu instid0(VALU_DEP_1)
	v_dual_sub_nc_u32 v57, 29, v57 :: v_dual_bitop2_b32 v4, 7, v4 bitop3:0x40
; %bb.509:                              ;   in Loop: Header=BB318_281 Depth=1
	s_or_b32 exec_lo, exec_lo, s18
	v_lshlrev_b32_e32 v5, 16, v12
	s_delay_alu instid0(VALU_DEP_2) | instskip(NEXT) | instid1(VALU_DEP_3)
	v_lshlrev_b32_e32 v4, 20, v4
	v_lshl_add_u32 v12, v57, 23, 0x3c000000
	s_delay_alu instid0(VALU_DEP_3) | instskip(NEXT) | instid1(VALU_DEP_1)
	v_and_b32_e32 v5, 0x80000000, v5
	v_or3_b32 v4, v4, v5, v12
.LBB318_510:                            ;   in Loop: Header=BB318_281 Depth=1
	s_or_b32 exec_lo, exec_lo, s17
.LBB318_511:                            ;   in Loop: Header=BB318_281 Depth=1
	s_delay_alu instid0(SALU_CYCLE_1)
	s_or_b32 exec_lo, exec_lo, s16
.LBB318_512:                            ;   in Loop: Header=BB318_281 Depth=1
	s_delay_alu instid0(SALU_CYCLE_1) | instskip(SKIP_3) | instid1(VALU_DEP_2)
	s_or_b32 exec_lo, exec_lo, s15
	v_dual_mov_b32 v5, 0 :: v_dual_lshrrev_b32 v58, 16, v3
	v_mov_b32_e32 v57, 0
	s_mov_b32 s15, exec_lo
	v_and_b32_e32 v12, 0xff, v58
	s_delay_alu instid0(VALU_DEP_1)
	v_cmpx_ne_u16_e32 0, v12
	s_cbranch_execz .LBB318_520
; %bb.513:                              ;   in Loop: Header=BB318_281 Depth=1
	v_bfrev_b32_e32 v57, 1
	s_mov_b32 s16, exec_lo
	v_cmpx_ne_u16_e32 0x80, v12
	s_cbranch_execz .LBB318_519
; %bb.514:                              ;   in Loop: Header=BB318_281 Depth=1
	v_bfe_u32 v59, v3, 16, 7
	v_mov_b32_e32 v57, 0x7f800001
	s_mov_b32 s17, exec_lo
	s_delay_alu instid0(VALU_DEP_2)
	v_cmpx_ne_u32_e32 0x7f, v59
	s_cbranch_execz .LBB318_518
; %bb.515:                              ;   in Loop: Header=BB318_281 Depth=1
	v_dual_lshrrev_b32 v57, 3, v59 :: v_dual_bitop2_b32 v12, 7, v58 bitop3:0x40
	s_mov_b32 s18, exec_lo
	v_cmpx_gt_u32_e32 8, v59
; %bb.516:                              ;   in Loop: Header=BB318_281 Depth=1
	s_delay_alu instid0(VALU_DEP_2) | instskip(NEXT) | instid1(VALU_DEP_1)
	v_clz_i32_u32_e32 v57, v12
	v_min_u32_e32 v57, 32, v57
	s_delay_alu instid0(VALU_DEP_1) | instskip(NEXT) | instid1(VALU_DEP_1)
	v_subrev_nc_u32_e32 v59, 28, v57
	v_lshlrev_b64_e32 v[60:61], v59, v[12:13]
	s_delay_alu instid0(VALU_DEP_1)
	v_dual_sub_nc_u32 v57, 29, v57 :: v_dual_bitop2_b32 v12, 7, v60 bitop3:0x40
; %bb.517:                              ;   in Loop: Header=BB318_281 Depth=1
	s_or_b32 exec_lo, exec_lo, s18
	s_delay_alu instid0(VALU_DEP_1) | instskip(NEXT) | instid1(VALU_DEP_2)
	v_dual_lshlrev_b32 v58, 24, v58 :: v_dual_lshlrev_b32 v12, 20, v12
	v_lshl_add_u32 v57, v57, 23, 0x3c000000
	s_delay_alu instid0(VALU_DEP_2) | instskip(NEXT) | instid1(VALU_DEP_1)
	v_and_b32_e32 v58, 0x80000000, v58
	v_or3_b32 v57, v12, v58, v57
.LBB318_518:                            ;   in Loop: Header=BB318_281 Depth=1
	s_or_b32 exec_lo, exec_lo, s17
.LBB318_519:                            ;   in Loop: Header=BB318_281 Depth=1
	s_delay_alu instid0(SALU_CYCLE_1)
	s_or_b32 exec_lo, exec_lo, s16
.LBB318_520:                            ;   in Loop: Header=BB318_281 Depth=1
	s_delay_alu instid0(SALU_CYCLE_1) | instskip(NEXT) | instid1(SALU_CYCLE_1)
	s_or_b32 exec_lo, exec_lo, s15
	s_mov_b32 s15, exec_lo
	v_cmpx_lt_u64_e64 s[2:3], v[2:3]
	s_cbranch_execz .LBB318_528
; %bb.521:                              ;   in Loop: Header=BB318_281 Depth=1
	v_lshrrev_b32_e32 v2, 24, v3
	v_bfrev_b32_e32 v5, 1
	s_mov_b32 s16, exec_lo
	s_delay_alu instid0(VALU_DEP_2)
	v_cmpx_ne_u32_e32 0x80, v2
	s_cbranch_execz .LBB318_527
; %bb.522:                              ;   in Loop: Header=BB318_281 Depth=1
	v_bfe_u32 v58, v3, 24, 7
	v_mov_b32_e32 v5, 0x7f800001
	s_mov_b32 s17, exec_lo
	s_delay_alu instid0(VALU_DEP_2)
	v_cmpx_ne_u32_e32 0x7f, v58
	s_cbranch_execz .LBB318_526
; %bb.523:                              ;   in Loop: Header=BB318_281 Depth=1
	v_and_b32_e32 v12, 7, v2
	v_lshrrev_b32_e32 v3, 3, v58
	s_mov_b32 s18, exec_lo
	v_cmpx_gt_u32_e32 8, v58
; %bb.524:                              ;   in Loop: Header=BB318_281 Depth=1
	s_delay_alu instid0(VALU_DEP_3) | instskip(NEXT) | instid1(VALU_DEP_1)
	v_clz_i32_u32_e32 v3, v12
	v_min_u32_e32 v3, 32, v3
	s_delay_alu instid0(VALU_DEP_1) | instskip(NEXT) | instid1(VALU_DEP_1)
	v_subrev_nc_u32_e32 v5, 28, v3
	v_lshlrev_b64_e32 v[58:59], v5, v[12:13]
	s_delay_alu instid0(VALU_DEP_1)
	v_dual_sub_nc_u32 v3, 29, v3 :: v_dual_bitop2_b32 v12, 7, v58 bitop3:0x40
; %bb.525:                              ;   in Loop: Header=BB318_281 Depth=1
	s_or_b32 exec_lo, exec_lo, s18
	s_delay_alu instid0(VALU_DEP_1) | instskip(NEXT) | instid1(VALU_DEP_2)
	v_dual_lshlrev_b32 v2, 24, v2 :: v_dual_lshlrev_b32 v5, 20, v12
	v_lshl_add_u32 v3, v3, 23, 0x3c000000
	s_delay_alu instid0(VALU_DEP_2) | instskip(NEXT) | instid1(VALU_DEP_1)
	v_and_b32_e32 v2, 0x80000000, v2
	v_or3_b32 v5, v5, v2, v3
.LBB318_526:                            ;   in Loop: Header=BB318_281 Depth=1
	s_or_b32 exec_lo, exec_lo, s17
.LBB318_527:                            ;   in Loop: Header=BB318_281 Depth=1
	s_delay_alu instid0(SALU_CYCLE_1)
	s_or_b32 exec_lo, exec_lo, s16
.LBB318_528:                            ;   in Loop: Header=BB318_281 Depth=1
	s_delay_alu instid0(SALU_CYCLE_1)
	s_or_b32 exec_lo, exec_lo, s15
	v_fma_mixlo_bf16 v2, s25, v4, 0
	v_fma_mixlo_bf16 v3, s25, v56, 0
	;; [unrolled: 1-line block ×8, first 2 shown]
	s_and_saveexec_b32 s1, s0
	s_cbranch_execz .LBB318_279
; %bb.529:                              ;   in Loop: Header=BB318_281 Depth=1
	v_dual_add_nc_u32 v55, -6, v32 :: v_dual_add_nc_u32 v56, -5, v32
	v_cmp_gt_i32_e64 s0, s23, v43
	s_delay_alu instid0(VALU_DEP_1) | instskip(NEXT) | instid1(VALU_DEP_3)
	v_cndmask_b32_e64 v9, 0, v9, s0
	v_cmp_gt_i32_e64 s0, s23, v55
	v_add_nc_u32_e32 v55, -3, v32
	s_delay_alu instid0(VALU_DEP_2) | instskip(SKIP_2) | instid1(VALU_DEP_2)
	v_cndmask_b32_e64 v20, 0, v20, s0
	v_cmp_gt_i32_e64 s0, s23, v56
	v_dual_add_nc_u32 v43, -4, v32 :: v_dual_add_nc_u32 v56, -2, v32
	v_cndmask_b32_e64 v21, 0, v21, s0
	s_delay_alu instid0(VALU_DEP_2) | instskip(NEXT) | instid1(VALU_DEP_1)
	v_cmp_gt_i32_e64 s0, s23, v43
	v_cndmask_b32_e64 v12, 0, v12, s0
	v_cmp_gt_i32_e64 s0, s23, v55
	s_delay_alu instid0(VALU_DEP_1) | instskip(SKIP_1) | instid1(VALU_DEP_1)
	v_cndmask_b32_e64 v3, 0, v3, s0
	v_cmp_gt_i32_e64 s0, s23, v56
	v_dual_add_nc_u32 v43, -1, v32 :: v_dual_cndmask_b32 v2, 0, v2, s0
	s_delay_alu instid0(VALU_DEP_1) | instskip(NEXT) | instid1(VALU_DEP_1)
	v_cmp_gt_i32_e64 s0, s23, v43
	v_cndmask_b32_e64 v4, 0, v4, s0
	v_cmp_gt_i32_e64 s0, s23, v32
	s_delay_alu instid0(VALU_DEP_1)
	v_cndmask_b32_e64 v5, 0, v5, s0
	s_branch .LBB318_279
.LBB318_530:
	s_or_b32 exec_lo, exec_lo, s10
.LBB318_531:
	s_delay_alu instid0(SALU_CYCLE_1)
	s_or_b32 exec_lo, exec_lo, s24
	s_movk_i32 s0, 0x1e0
	v_and_b32_e32 v2, 0x3c0, v0
	v_mad_u32_u24 v6, v1, s0, 0x110
	v_or_b32_e32 v1, 0x60, v0
	s_mov_b32 s0, exec_lo
	s_barrier_signal -1
	s_barrier_wait -1
	v_cmpx_eq_u32_e32 64, v2
	s_cbranch_execz .LBB318_534
; %bb.532:
	v_add_nc_u32_e32 v2, 0xfffffc40, v6
	v_cmp_gt_u32_e32 vcc_lo, 0x78, v1
	s_delay_alu instid0(VALU_DEP_2)
	v_lshl_add_u32 v3, v28, 2, v2
	ds_store_2addr_b32 v3, v10, v11 offset1:32
	ds_store_b32 v3, v31 offset:256
	s_and_b32 exec_lo, exec_lo, vcc_lo
; %bb.533:
	v_lshl_add_u32 v2, v1, 2, v2
	ds_store_b32 v2, v30
.LBB318_534:
	s_or_b32 exec_lo, exec_lo, s0
	v_lshl_add_u32 v7, v28, 2, v6
	s_mov_b32 s0, exec_lo
	s_wait_dscnt 0x0
	s_barrier_signal -1
	s_barrier_wait -1
	v_cmpx_gt_u32_e32 64, v0
	s_cbranch_execz .LBB318_538
; %bb.535:
	v_lshl_or_b32 v4, v0, 2, 0x80
	ds_load_2addr_stride64_b32 v[2:3], v7 offset1:1
	s_mov_b32 s1, exec_lo
	v_add_nc_u32_e32 v4, v6, v4
	ds_load_b32 v5, v4
	s_wait_dscnt 0x1
	v_mov_b32_e32 v4, v2
	v_cmpx_gt_u32_e32 0x78, v1
	s_cbranch_execz .LBB318_537
; %bb.536:
	v_lshl_add_u32 v2, v1, 2, v6
	ds_load_b32 v2, v2
	s_wait_dscnt 0x0
	v_add_f32_e32 v30, v30, v2
.LBB318_537:
	s_or_b32 exec_lo, exec_lo, s1
	s_wait_dscnt 0x0
	v_pk_add_f32 v[10:11], v[10:11], v[4:5]
	v_add_f32_e32 v31, v31, v3
.LBB318_538:
	s_or_b32 exec_lo, exec_lo, s0
	v_and_b32_e32 v2, 0x3e0, v0
	s_mov_b32 s0, exec_lo
	s_barrier_signal -1
	s_barrier_wait -1
	s_delay_alu instid0(VALU_DEP_1)
	v_cmpx_eq_u32_e32 32, v2
	s_cbranch_execz .LBB318_541
; %bb.539:
	v_lshl_add_u32 v2, v28, 2, 0x110
	v_cmp_gt_u32_e32 vcc_lo, 0x78, v1
	ds_store_b32 v2, v10
	ds_store_b32 v29, v11
	ds_store_b32 v2, v31 offset:256
	s_and_b32 exec_lo, exec_lo, vcc_lo
; %bb.540:
	v_lshl_add_u32 v2, v1, 2, 0x110
	ds_store_b32 v2, v30
.LBB318_541:
	s_or_b32 exec_lo, exec_lo, s0
	v_cmp_gt_u32_e32 vcc_lo, 32, v0
	s_wait_dscnt 0x0
	s_barrier_signal -1
	s_barrier_wait -1
	s_and_saveexec_b32 s1, vcc_lo
	s_cbranch_execz .LBB318_545
; %bb.542:
	v_lshl_add_u32 v6, v0, 2, v6
	s_mov_b32 s2, exec_lo
	ds_load_2addr_b32 v[2:3], v6 offset0:32 offset1:64
	ds_load_b32 v4, v7
	s_wait_dscnt 0x1
	v_mov_b32_e32 v5, v2
	v_cmpx_gt_u32_e32 0x78, v1
	s_cbranch_execz .LBB318_544
; %bb.543:
	ds_load_b32 v2, v6 offset:384
	s_wait_dscnt 0x0
	v_add_f32_e32 v30, v30, v2
.LBB318_544:
	s_or_b32 exec_lo, exec_lo, s2
	s_wait_dscnt 0x0
	v_pk_add_f32 v[10:11], v[10:11], v[4:5]
	v_add_f32_e32 v31, v31, v3
.LBB318_545:
	s_or_b32 exec_lo, exec_lo, s1
	s_barrier_signal -1
	s_barrier_wait -1
	s_and_saveexec_b32 s0, vcc_lo
	s_cbranch_execz .LBB318_548
; %bb.546:
	s_mul_i32 s1, s22, s8
	s_bfe_u32 s7, ttmp6, 0x40014
	s_mul_i32 s1, s1, s21
	s_mul_i32 s0, s8, s12
	;; [unrolled: 1-line block ×3, first 2 shown]
	s_lshr_b32 s6, ttmp7, 16
	s_ashr_i32 s3, s2, 31
	s_add_co_i32 s7, s7, 1
	s_lshl_b64 s[2:3], s[2:3], 1
	s_ashr_i32 s1, s0, 31
	s_wait_kmcnt 0x0
	s_add_nc_u64 s[2:3], s[4:5], s[2:3]
	s_mul_i32 s4, s6, s7
	s_bfe_u32 s5, ttmp6, 0x40008
	s_lshl_b64 s[0:1], s[0:1], 1
	s_add_co_i32 s5, s5, s4
	s_cmp_eq_u32 s20, 0
	s_add_nc_u64 s[0:1], s[2:3], s[0:1]
	s_cselect_b32 s2, s6, s5
	s_mov_b32 s3, 0
	s_mulk_i32 s2, 0xf0
	v_cmp_gt_u32_e32 vcc_lo, 0x78, v1
	s_add_nc_u64 s[0:1], s[0:1], s[2:3]
	s_delay_alu instid0(SALU_CYCLE_1)
	v_cvt_pk_bf16_f32 v2, v10, s0
	v_cvt_pk_bf16_f32 v3, v11, s0
	;; [unrolled: 1-line block ×3, first 2 shown]
	s_clause 0x2
	global_store_b16 v0, v2, s[0:1] scale_offset
	global_store_b16 v0, v3, s[0:1] offset:64 scale_offset
	global_store_b16 v0, v4, s[0:1] offset:128 scale_offset
	s_wait_xcnt 0x0
	s_and_b32 exec_lo, exec_lo, vcc_lo
	s_cbranch_execz .LBB318_548
; %bb.547:
	v_dual_mov_b32 v1, 0 :: v_dual_lshlrev_b32 v0, 1, v0
	v_cvt_pk_bf16_f32 v2, v30, s0
	s_delay_alu instid0(VALU_DEP_2)
	v_add_nc_u64_e32 v[0:1], s[0:1], v[0:1]
	global_store_b16 v[0:1], v2, off offset:192
.LBB318_548:
	s_sendmsg sendmsg(MSG_DEALLOC_VGPRS)
	s_endpgm
	.section	.rodata,"a",@progbits
	.p2align	6, 0x0
	.amdhsa_kernel _ZN4vllm25paged_attention_v1_kernelI14__hip_bfloat16hLi120ELi8ELi128ELNS_18Fp8KVCacheDataTypeE1ELb0EEEvPT_PKS3_PKT0_S9_ifPKiSB_iPKfiiiSD_SD_iiiii
		.amdhsa_group_segment_fixed_size 272
		.amdhsa_private_segment_fixed_size 0
		.amdhsa_kernarg_size 384
		.amdhsa_user_sgpr_count 2
		.amdhsa_user_sgpr_dispatch_ptr 0
		.amdhsa_user_sgpr_queue_ptr 0
		.amdhsa_user_sgpr_kernarg_segment_ptr 1
		.amdhsa_user_sgpr_dispatch_id 0
		.amdhsa_user_sgpr_kernarg_preload_length 0
		.amdhsa_user_sgpr_kernarg_preload_offset 0
		.amdhsa_user_sgpr_private_segment_size 0
		.amdhsa_wavefront_size32 1
		.amdhsa_uses_dynamic_stack 0
		.amdhsa_enable_private_segment 0
		.amdhsa_system_sgpr_workgroup_id_x 1
		.amdhsa_system_sgpr_workgroup_id_y 1
		.amdhsa_system_sgpr_workgroup_id_z 1
		.amdhsa_system_sgpr_workgroup_info 0
		.amdhsa_system_vgpr_workitem_id 0
		.amdhsa_next_free_vgpr 80
		.amdhsa_next_free_sgpr 31
		.amdhsa_named_barrier_count 0
		.amdhsa_reserve_vcc 1
		.amdhsa_float_round_mode_32 0
		.amdhsa_float_round_mode_16_64 0
		.amdhsa_float_denorm_mode_32 3
		.amdhsa_float_denorm_mode_16_64 3
		.amdhsa_fp16_overflow 0
		.amdhsa_memory_ordered 1
		.amdhsa_forward_progress 1
		.amdhsa_inst_pref_size 160
		.amdhsa_round_robin_scheduling 0
		.amdhsa_exception_fp_ieee_invalid_op 0
		.amdhsa_exception_fp_denorm_src 0
		.amdhsa_exception_fp_ieee_div_zero 0
		.amdhsa_exception_fp_ieee_overflow 0
		.amdhsa_exception_fp_ieee_underflow 0
		.amdhsa_exception_fp_ieee_inexact 0
		.amdhsa_exception_int_div_zero 0
	.end_amdhsa_kernel
	.section	.text._ZN4vllm25paged_attention_v1_kernelI14__hip_bfloat16hLi120ELi8ELi128ELNS_18Fp8KVCacheDataTypeE1ELb0EEEvPT_PKS3_PKT0_S9_ifPKiSB_iPKfiiiSD_SD_iiiii,"axG",@progbits,_ZN4vllm25paged_attention_v1_kernelI14__hip_bfloat16hLi120ELi8ELi128ELNS_18Fp8KVCacheDataTypeE1ELb0EEEvPT_PKS3_PKT0_S9_ifPKiSB_iPKfiiiSD_SD_iiiii,comdat
.Lfunc_end318:
	.size	_ZN4vllm25paged_attention_v1_kernelI14__hip_bfloat16hLi120ELi8ELi128ELNS_18Fp8KVCacheDataTypeE1ELb0EEEvPT_PKS3_PKT0_S9_ifPKiSB_iPKfiiiSD_SD_iiiii, .Lfunc_end318-_ZN4vllm25paged_attention_v1_kernelI14__hip_bfloat16hLi120ELi8ELi128ELNS_18Fp8KVCacheDataTypeE1ELb0EEEvPT_PKS3_PKT0_S9_ifPKiSB_iPKfiiiSD_SD_iiiii
                                        ; -- End function
	.set _ZN4vllm25paged_attention_v1_kernelI14__hip_bfloat16hLi120ELi8ELi128ELNS_18Fp8KVCacheDataTypeE1ELb0EEEvPT_PKS3_PKT0_S9_ifPKiSB_iPKfiiiSD_SD_iiiii.num_vgpr, 80
	.set _ZN4vllm25paged_attention_v1_kernelI14__hip_bfloat16hLi120ELi8ELi128ELNS_18Fp8KVCacheDataTypeE1ELb0EEEvPT_PKS3_PKT0_S9_ifPKiSB_iPKfiiiSD_SD_iiiii.num_agpr, 0
	.set _ZN4vllm25paged_attention_v1_kernelI14__hip_bfloat16hLi120ELi8ELi128ELNS_18Fp8KVCacheDataTypeE1ELb0EEEvPT_PKS3_PKT0_S9_ifPKiSB_iPKfiiiSD_SD_iiiii.numbered_sgpr, 31
	.set _ZN4vllm25paged_attention_v1_kernelI14__hip_bfloat16hLi120ELi8ELi128ELNS_18Fp8KVCacheDataTypeE1ELb0EEEvPT_PKS3_PKT0_S9_ifPKiSB_iPKfiiiSD_SD_iiiii.num_named_barrier, 0
	.set _ZN4vllm25paged_attention_v1_kernelI14__hip_bfloat16hLi120ELi8ELi128ELNS_18Fp8KVCacheDataTypeE1ELb0EEEvPT_PKS3_PKT0_S9_ifPKiSB_iPKfiiiSD_SD_iiiii.private_seg_size, 0
	.set _ZN4vllm25paged_attention_v1_kernelI14__hip_bfloat16hLi120ELi8ELi128ELNS_18Fp8KVCacheDataTypeE1ELb0EEEvPT_PKS3_PKT0_S9_ifPKiSB_iPKfiiiSD_SD_iiiii.uses_vcc, 1
	.set _ZN4vllm25paged_attention_v1_kernelI14__hip_bfloat16hLi120ELi8ELi128ELNS_18Fp8KVCacheDataTypeE1ELb0EEEvPT_PKS3_PKT0_S9_ifPKiSB_iPKfiiiSD_SD_iiiii.uses_flat_scratch, 0
	.set _ZN4vllm25paged_attention_v1_kernelI14__hip_bfloat16hLi120ELi8ELi128ELNS_18Fp8KVCacheDataTypeE1ELb0EEEvPT_PKS3_PKT0_S9_ifPKiSB_iPKfiiiSD_SD_iiiii.has_dyn_sized_stack, 0
	.set _ZN4vllm25paged_attention_v1_kernelI14__hip_bfloat16hLi120ELi8ELi128ELNS_18Fp8KVCacheDataTypeE1ELb0EEEvPT_PKS3_PKT0_S9_ifPKiSB_iPKfiiiSD_SD_iiiii.has_recursion, 0
	.set _ZN4vllm25paged_attention_v1_kernelI14__hip_bfloat16hLi120ELi8ELi128ELNS_18Fp8KVCacheDataTypeE1ELb0EEEvPT_PKS3_PKT0_S9_ifPKiSB_iPKfiiiSD_SD_iiiii.has_indirect_call, 0
	.section	.AMDGPU.csdata,"",@progbits
; Kernel info:
; codeLenInByte = 20416
; TotalNumSgprs: 33
; NumVgprs: 80
; ScratchSize: 0
; MemoryBound: 0
; FloatMode: 240
; IeeeMode: 1
; LDSByteSize: 272 bytes/workgroup (compile time only)
; SGPRBlocks: 0
; VGPRBlocks: 4
; NumSGPRsForWavesPerEU: 33
; NumVGPRsForWavesPerEU: 80
; NamedBarCnt: 0
; Occupancy: 12
; WaveLimiterHint : 1
; COMPUTE_PGM_RSRC2:SCRATCH_EN: 0
; COMPUTE_PGM_RSRC2:USER_SGPR: 2
; COMPUTE_PGM_RSRC2:TRAP_HANDLER: 0
; COMPUTE_PGM_RSRC2:TGID_X_EN: 1
; COMPUTE_PGM_RSRC2:TGID_Y_EN: 1
; COMPUTE_PGM_RSRC2:TGID_Z_EN: 1
; COMPUTE_PGM_RSRC2:TIDIG_COMP_CNT: 0
	.section	.text._ZN4vllm25paged_attention_v1_kernelI14__hip_bfloat16hLi128ELi8ELi128ELNS_18Fp8KVCacheDataTypeE1ELb0EEEvPT_PKS3_PKT0_S9_ifPKiSB_iPKfiiiSD_SD_iiiii,"axG",@progbits,_ZN4vllm25paged_attention_v1_kernelI14__hip_bfloat16hLi128ELi8ELi128ELNS_18Fp8KVCacheDataTypeE1ELb0EEEvPT_PKS3_PKT0_S9_ifPKiSB_iPKfiiiSD_SD_iiiii,comdat
	.protected	_ZN4vllm25paged_attention_v1_kernelI14__hip_bfloat16hLi128ELi8ELi128ELNS_18Fp8KVCacheDataTypeE1ELb0EEEvPT_PKS3_PKT0_S9_ifPKiSB_iPKfiiiSD_SD_iiiii ; -- Begin function _ZN4vllm25paged_attention_v1_kernelI14__hip_bfloat16hLi128ELi8ELi128ELNS_18Fp8KVCacheDataTypeE1ELb0EEEvPT_PKS3_PKT0_S9_ifPKiSB_iPKfiiiSD_SD_iiiii
	.globl	_ZN4vllm25paged_attention_v1_kernelI14__hip_bfloat16hLi128ELi8ELi128ELNS_18Fp8KVCacheDataTypeE1ELb0EEEvPT_PKS3_PKT0_S9_ifPKiSB_iPKfiiiSD_SD_iiiii
	.p2align	8
	.type	_ZN4vllm25paged_attention_v1_kernelI14__hip_bfloat16hLi128ELi8ELi128ELNS_18Fp8KVCacheDataTypeE1ELb0EEEvPT_PKS3_PKT0_S9_ifPKiSB_iPKfiiiSD_SD_iiiii,@function
_ZN4vllm25paged_attention_v1_kernelI14__hip_bfloat16hLi128ELi8ELi128ELNS_18Fp8KVCacheDataTypeE1ELb0EEEvPT_PKS3_PKT0_S9_ifPKiSB_iPKfiiiSD_SD_iiiii: ; @_ZN4vllm25paged_attention_v1_kernelI14__hip_bfloat16hLi128ELi8ELi128ELNS_18Fp8KVCacheDataTypeE1ELb0EEEvPT_PKS3_PKT0_S9_ifPKiSB_iPKfiiiSD_SD_iiiii
; %bb.0:
	s_load_b64 s[10:11], s[0:1], 0x20
	s_bfe_u32 s3, ttmp6, 0x4000c
	s_bfe_u32 s5, ttmp6, 0x40010
	s_and_b32 s4, ttmp7, 0xffff
	s_add_co_i32 s3, s3, 1
	s_add_co_i32 s5, s5, 1
	s_and_b32 s2, ttmp6, 15
	s_bfe_u32 s6, ttmp6, 0x40004
	s_mul_i32 s3, ttmp9, s3
	s_mul_i32 s5, s4, s5
	s_getreg_b32 s22, hwreg(HW_REG_IB_STS2, 6, 4)
	s_add_co_i32 s7, s2, s3
	s_add_co_i32 s6, s6, s5
	s_cmp_eq_u32 s22, 0
	s_clause 0x1
	s_load_b32 s23, s[0:1], 0x80
	s_load_b64 s[2:3], s[0:1], 0x30
	s_cselect_b32 s24, s4, s6
	s_cselect_b32 s6, ttmp9, s7
	s_wait_kmcnt 0x0
	s_abs_i32 s4, s10
	s_delay_alu instid0(SALU_CYCLE_1) | instskip(SKIP_1) | instid1(SALU_CYCLE_2)
	s_cvt_f32_u32 s5, s4
	s_sub_co_i32 s7, 0, s4
	v_rcp_iflag_f32_e32 v1, s5
	s_abs_i32 s8, s23
	v_nop
	s_delay_alu instid0(TRANS32_DEP_1) | instskip(SKIP_1) | instid1(SALU_CYCLE_3)
	v_readfirstlane_b32 s5, v1
	s_mul_f32 s5, s5, 0x4f7ffffe
	s_cvt_u32_f32 s5, s5
	s_delay_alu instid0(SALU_CYCLE_3) | instskip(NEXT) | instid1(SALU_CYCLE_1)
	s_mul_i32 s7, s7, s5
	s_mul_hi_u32 s7, s5, s7
	s_delay_alu instid0(SALU_CYCLE_1) | instskip(SKIP_4) | instid1(SALU_CYCLE_1)
	s_add_co_i32 s5, s5, s7
	s_xor_b32 s7, s23, s10
	s_mul_hi_u32 s5, s8, s5
	s_ashr_i32 s7, s7, 31
	s_mul_i32 s9, s5, s4
	s_sub_co_i32 s8, s8, s9
	s_add_co_i32 s9, s5, 1
	s_sub_co_i32 s10, s8, s4
	s_cmp_ge_u32 s8, s4
	s_cselect_b32 s5, s9, s5
	s_cselect_b32 s8, s10, s8
	s_add_co_i32 s9, s5, 1
	s_cmp_ge_u32 s8, s4
	s_cselect_b32 s4, s9, s5
	s_load_b64 s[8:9], s[0:1], 0x40
	s_xor_b32 s4, s4, s7
	s_mov_b32 s5, 0
	s_sub_co_i32 s14, s4, s7
	s_mov_b32 s13, s5
	s_abs_i32 s16, s14
	s_mov_b32 s20, s5
	s_cvt_f32_u32 s4, s16
	s_delay_alu instid0(SALU_CYCLE_3) | instskip(SKIP_1) | instid1(TRANS32_DEP_1)
	v_rcp_iflag_f32_e32 v1, s4
	v_nop
	v_readfirstlane_b32 s4, v1
	s_mul_f32 s4, s4, 0x4f7ffffe
	s_delay_alu instid0(SALU_CYCLE_3) | instskip(SKIP_1) | instid1(SALU_CYCLE_2)
	s_cvt_u32_f32 s7, s4
	s_sub_co_i32 s4, 0, s16
	s_mul_i32 s4, s4, s7
	s_delay_alu instid0(SALU_CYCLE_1)
	s_mul_hi_u32 s10, s7, s4
	s_abs_i32 s4, s6
	s_add_co_i32 s12, s7, s10
	s_wait_kmcnt 0x0
	s_cmp_eq_u64 s[8:9], 0
	s_cbranch_scc1 .LBB319_2
; %bb.1:
	s_ashr_i32 s7, s6, 31
	s_delay_alu instid0(SALU_CYCLE_1) | instskip(NEXT) | instid1(SALU_CYCLE_1)
	s_lshl_b64 s[18:19], s[6:7], 2
	s_add_nc_u64 s[8:9], s[8:9], s[18:19]
	s_load_b32 s20, s[8:9], 0x0
.LBB319_2:
	s_load_b32 s25, s[2:3], s24 offset:0x0 scale_offset
	s_wait_xcnt 0x0
	s_load_b96 s[8:10], s[0:1], 0x48
	v_and_b32_e32 v4, 3, v0
	v_cmp_gt_u32_e64 s2, 64, v0
	s_ashr_i32 s3, s6, 31
	s_ashr_i32 s7, s14, 31
	s_mul_u64 s[14:15], s[4:5], s[12:13]
	s_lshl_b32 s12, s6, 7
	s_and_saveexec_b32 s5, s2
	s_cbranch_execz .LBB319_4
; %bb.3:
	s_load_b64 s[18:19], s[0:1], 0x8
	s_wait_kmcnt 0x0
	s_mul_i32 s26, s8, s24
	s_ashr_i32 s13, s12, 31
	s_ashr_i32 s27, s26, 31
	v_and_b32_e32 v2, 0x3fc, v0
	s_lshl_b64 s[26:27], s[26:27], 1
	s_delay_alu instid0(VALU_DEP_1) | instskip(SKIP_2) | instid1(SALU_CYCLE_1)
	v_lshl_add_u32 v2, v4, 6, v2
	s_add_nc_u64 s[18:19], s[18:19], s[26:27]
	s_lshl_b64 s[26:27], s[12:13], 1
	s_add_nc_u64 s[18:19], s[18:19], s[26:27]
	global_load_b32 v1, v0, s[18:19] scale_offset
	s_wait_loadcnt 0x0
	ds_store_b32 v2, v1
.LBB319_4:
	s_or_b32 exec_lo, exec_lo, s5
	s_wait_kmcnt 0x0
	s_add_co_i32 s5, s25, 7
	s_load_b32 s6, s[0:1], 0x38
	s_ashr_i32 s8, s5, 31
	s_xor_b32 s3, s3, s7
	s_lshr_b32 s7, s8, 29
	s_mul_i32 s8, s15, s16
	s_add_co_i32 s5, s5, s7
	s_sub_co_i32 s4, s4, s8
	s_ashr_i32 s13, s5, 3
	s_add_co_i32 s5, s15, 1
	s_sub_co_i32 s7, s4, s16
	s_cmp_ge_u32 s4, s16
	v_lshrrev_b32_e32 v1, 5, v0
	s_cselect_b32 s5, s5, s15
	s_cselect_b32 s4, s7, s4
	s_add_co_i32 s7, s5, 1
	s_cmp_ge_u32 s4, s16
	v_mbcnt_lo_u32_b32 v10, -1, 0
	s_cselect_b32 s4, s7, s5
	s_wait_dscnt 0x0
	s_xor_b32 s4, s4, s3
	s_wait_kmcnt 0x0
	s_mul_i32 s14, s6, s24
	s_sub_co_i32 s18, s4, s3
	v_cmp_gt_i32_e64 s3, s13, v1
	s_ashr_i32 s15, s14, 31
	s_mov_b32 s4, exec_lo
	s_barrier_signal -1
	s_barrier_wait -1
                                        ; implicit-def: $vgpr3
                                        ; implicit-def: $vgpr11
	v_cmpx_le_i32_e64 s13, v1
	s_xor_b32 s4, exec_lo, s4
; %bb.5:
	v_dual_mov_b32 v3, 0 :: v_dual_mov_b32 v11, 32
	v_mbcnt_lo_u32_b32 v10, -1, 0
                                        ; implicit-def: $vgpr4
; %bb.6:
	s_or_saveexec_b32 s21, s4
	s_clause 0x2
	s_load_b32 s8, s[0:1], 0x88
	s_load_b64 s[16:17], s[0:1], 0x28
	s_load_b128 s[4:7], s[0:1], 0x58
	v_dual_mov_b32 v43, 0xff7fffff :: v_dual_lshrrev_b32 v18, 3, v0
	s_mul_i32 s18, s18, s10
	s_xor_b32 exec_lo, exec_lo, s21
	s_cbranch_execz .LBB319_268
; %bb.7:
	v_dual_lshlrev_b32 v5, 6, v4 :: v_dual_mov_b32 v3, 0
	s_load_b64 s[26:27], s[0:1], 0x10
	v_bfe_u32 v50, v0, 2, 3
	s_ashr_i32 s19, s18, 31
	ds_load_b128 v[6:9], v5
	ds_load_b128 v[26:29], v5 offset:16
	ds_load_b128 v[34:37], v5 offset:32
	;; [unrolled: 1-line block ×3, first 2 shown]
	v_lshlrev_b32_e32 v2, 4, v50
	v_xor_b32_e32 v5, 2, v10
	s_wait_kmcnt 0x0
	s_load_b32 s10, s[4:5], 0x0
	s_cmp_neq_f32 s20, 0
	v_mov_b32_e32 v11, 32
	s_wait_xcnt 0x0
	s_cselect_b32 s4, -1, 0
	s_add_nc_u64 s[26:27], s[26:27], s[18:19]
	s_mov_b32 s19, 0
	s_wait_dscnt 0x3
	v_lshlrev_b32_e32 v12, 16, v6
	v_and_b32_e32 v13, 0xffff0000, v6
	v_lshlrev_b32_e32 v14, 16, v7
	v_add_nc_u64_e32 v[48:49], s[26:27], v[2:3]
	s_wait_dscnt 0x0
	v_dual_lshlrev_b32 v2, 1, v4 :: v_dual_lshlrev_b32 v44, 16, v43
	v_xor_b32_e32 v6, 1, v10
	v_cmp_gt_i32_e32 vcc_lo, 32, v5
	v_dual_lshlrev_b32 v21, 16, v26 :: v_dual_lshlrev_b32 v23, 16, v27
	v_and_b32_e32 v22, 0xffff0000, v26
	v_and_b32_e32 v24, 0xffff0000, v27
	v_dual_lshlrev_b32 v25, 16, v28 :: v_dual_lshlrev_b32 v27, 16, v29
	v_and_b32_e32 v26, 0xffff0000, v28
	v_and_b32_e32 v28, 0xffff0000, v29
	;; [unrolled: 3-line block ×5, first 2 shown]
	v_dual_lshlrev_b32 v41, 16, v42 :: v_dual_cndmask_b32 v5, v10, v5, vcc_lo
	v_cmp_gt_i32_e32 vcc_lo, 32, v6
	v_and_b32_e32 v15, 0xffff0000, v7
	v_lshlrev_b32_e32 v7, 2, v50
	s_lshl_b64 s[26:27], s[14:15], 2
	v_dual_lshlrev_b32 v46, 2, v5 :: v_dual_cndmask_b32 v6, v10, v6, vcc_lo
	v_cmp_eq_u32_e32 vcc_lo, 0, v4
	v_add_nc_u64_e32 v[4:5], v[48:49], v[2:3]
	v_and_b32_e32 v2, 0x7c, v18
	v_lshl_or_b32 v48, v1, 3, v50
	v_dual_mov_b32 v50, v1 :: v_dual_lshlrev_b32 v47, 2, v6
	v_lshl_or_b32 v6, v1, 5, v7
	s_add_nc_u64 s[26:27], s[16:17], s[26:27]
	v_dual_lshlrev_b32 v16, 16, v8 :: v_dual_lshlrev_b32 v19, 16, v9
	v_and_b32_e32 v17, 0xffff0000, v8
	s_delay_alu instid0(VALU_DEP_3)
	v_add_nc_u32_e32 v49, 0x120, v6
	v_add_nc_u64_e32 v[6:7], s[26:27], v[2:3]
	v_and_b32_e32 v20, 0xffff0000, v9
	v_and_b32_e32 v42, 0xffff0000, v42
	;; [unrolled: 1-line block ×3, first 2 shown]
	v_mov_b32_e32 v43, 0xff7fffff
	s_mov_b32 s26, s9
	s_sub_co_i32 s27, 1, s25
	s_branch .LBB319_9
.LBB319_8:                              ;   in Loop: Header=BB319_9 Depth=1
	s_or_b32 exec_lo, exec_lo, s28
	v_dual_add_nc_u32 v50, 4, v50 :: v_dual_add_nc_u32 v48, 32, v48
	v_add_nc_u64_e32 v[6:7], 16, v[6:7]
	v_add_nc_u32_e32 v49, 0x80, v49
	s_delay_alu instid0(VALU_DEP_3) | instskip(SKIP_1) | instid1(SALU_CYCLE_1)
	v_cmp_le_i32_e64 s5, s13, v50
	s_or_b32 s19, s5, s19
	s_and_not1_b32 exec_lo, exec_lo, s19
	s_cbranch_execz .LBB319_267
.LBB319_9:                              ; =>This Inner Loop Header: Depth=1
	global_load_b32 v2, v[6:7], off
	v_mov_b32_e32 v51, 0
	s_wait_loadcnt_dscnt 0x0
	v_mad_nc_i64_i32 v[8:9], v2, s26, v[4:5]
	global_load_u16 v2, v[8:9], off
	s_wait_loadcnt 0x0
	v_and_b32_e32 v52, 0xff, v2
	v_and_b32_e32 v53, 0xffff, v2
	s_delay_alu instid0(VALU_DEP_2)
	v_cmp_ne_u16_e64 s5, 0, v52
	v_mov_b32_e32 v52, 0
	s_wait_xcnt 0x0
	s_and_saveexec_b32 s28, s5
	s_cbranch_execz .LBB319_17
; %bb.10:                               ;   in Loop: Header=BB319_9 Depth=1
	v_and_b32_e32 v2, 0xff, v53
	v_bfrev_b32_e32 v52, 1
	s_mov_b32 s29, exec_lo
	s_delay_alu instid0(VALU_DEP_2)
	v_cmpx_ne_u16_e32 0x80, v2
	s_cbranch_execz .LBB319_16
; %bb.11:                               ;   in Loop: Header=BB319_9 Depth=1
	v_and_b32_e32 v54, 0x7f, v53
	v_mov_b32_e32 v52, 0x7f800001
	s_mov_b32 s30, exec_lo
	s_delay_alu instid0(VALU_DEP_2)
	v_cmpx_ne_u32_e32 0x7f, v54
	s_cbranch_execz .LBB319_15
; %bb.12:                               ;   in Loop: Header=BB319_9 Depth=1
	v_dual_lshrrev_b32 v52, 3, v54 :: v_dual_bitop2_b32 v2, 7, v53 bitop3:0x40
	s_mov_b32 s31, exec_lo
	v_cmpx_gt_u32_e32 8, v54
; %bb.13:                               ;   in Loop: Header=BB319_9 Depth=1
	s_delay_alu instid0(VALU_DEP_2) | instskip(NEXT) | instid1(VALU_DEP_1)
	v_clz_i32_u32_e32 v52, v2
	v_min_u32_e32 v52, 32, v52
	s_delay_alu instid0(VALU_DEP_1) | instskip(NEXT) | instid1(VALU_DEP_1)
	v_subrev_nc_u32_e32 v54, 28, v52
	v_lshlrev_b64_e32 v[54:55], v54, v[2:3]
	s_delay_alu instid0(VALU_DEP_1)
	v_dual_sub_nc_u32 v52, 29, v52 :: v_dual_bitop2_b32 v2, 7, v54 bitop3:0x40
; %bb.14:                               ;   in Loop: Header=BB319_9 Depth=1
	s_or_b32 exec_lo, exec_lo, s31
	s_delay_alu instid0(VALU_DEP_1) | instskip(NEXT) | instid1(VALU_DEP_2)
	v_dual_lshlrev_b32 v54, 24, v53 :: v_dual_lshlrev_b32 v2, 20, v2
	v_lshl_add_u32 v52, v52, 23, 0x3c000000
	s_delay_alu instid0(VALU_DEP_2) | instskip(NEXT) | instid1(VALU_DEP_1)
	v_and_b32_e32 v54, 0x80000000, v54
	v_or3_b32 v52, v2, v54, v52
.LBB319_15:                             ;   in Loop: Header=BB319_9 Depth=1
	s_or_b32 exec_lo, exec_lo, s30
.LBB319_16:                             ;   in Loop: Header=BB319_9 Depth=1
	s_delay_alu instid0(SALU_CYCLE_1)
	s_or_b32 exec_lo, exec_lo, s29
.LBB319_17:                             ;   in Loop: Header=BB319_9 Depth=1
	s_delay_alu instid0(SALU_CYCLE_1) | instskip(SKIP_2) | instid1(VALU_DEP_1)
	s_or_b32 exec_lo, exec_lo, s28
	v_lshrrev_b16 v2, 8, v53
	s_mov_b32 s28, exec_lo
	v_cmpx_ne_u16_e32 0, v2
	s_cbranch_execz .LBB319_25
; %bb.18:                               ;   in Loop: Header=BB319_9 Depth=1
	v_bfrev_b32_e32 v51, 1
	s_mov_b32 s29, exec_lo
	v_cmpx_ne_u16_e32 0x80, v2
	s_cbranch_execz .LBB319_24
; %bb.19:                               ;   in Loop: Header=BB319_9 Depth=1
	v_and_b32_e32 v2, 0xffff, v2
	v_mov_b32_e32 v51, 0x7f800001
	s_mov_b32 s30, exec_lo
	s_delay_alu instid0(VALU_DEP_2) | instskip(NEXT) | instid1(VALU_DEP_1)
	v_and_b32_e32 v54, 0x7f, v2
	v_cmpx_ne_u32_e32 0x7f, v54
	s_cbranch_execz .LBB319_23
; %bb.20:                               ;   in Loop: Header=BB319_9 Depth=1
	v_and_b32_e32 v2, 7, v2
	v_lshrrev_b32_e32 v51, 3, v54
	s_mov_b32 s31, exec_lo
	v_cmpx_gt_u32_e32 8, v54
; %bb.21:                               ;   in Loop: Header=BB319_9 Depth=1
	s_delay_alu instid0(VALU_DEP_3) | instskip(NEXT) | instid1(VALU_DEP_1)
	v_clz_i32_u32_e32 v51, v2
	v_min_u32_e32 v51, 32, v51
	s_delay_alu instid0(VALU_DEP_1) | instskip(NEXT) | instid1(VALU_DEP_1)
	v_subrev_nc_u32_e32 v54, 28, v51
	v_lshlrev_b64_e32 v[54:55], v54, v[2:3]
	s_delay_alu instid0(VALU_DEP_1)
	v_dual_sub_nc_u32 v51, 29, v51 :: v_dual_bitop2_b32 v2, 7, v54 bitop3:0x40
; %bb.22:                               ;   in Loop: Header=BB319_9 Depth=1
	s_or_b32 exec_lo, exec_lo, s31
	s_delay_alu instid0(VALU_DEP_1) | instskip(NEXT) | instid1(VALU_DEP_2)
	v_dual_lshlrev_b32 v53, 16, v53 :: v_dual_lshlrev_b32 v2, 20, v2
	v_lshl_add_u32 v51, v51, 23, 0x3c000000
	s_delay_alu instid0(VALU_DEP_2) | instskip(NEXT) | instid1(VALU_DEP_1)
	v_and_b32_e32 v53, 0x80000000, v53
	v_or3_b32 v51, v2, v53, v51
.LBB319_23:                             ;   in Loop: Header=BB319_9 Depth=1
	s_or_b32 exec_lo, exec_lo, s30
.LBB319_24:                             ;   in Loop: Header=BB319_9 Depth=1
	s_delay_alu instid0(SALU_CYCLE_1)
	s_or_b32 exec_lo, exec_lo, s29
.LBB319_25:                             ;   in Loop: Header=BB319_9 Depth=1
	s_delay_alu instid0(SALU_CYCLE_1)
	s_or_b32 exec_lo, exec_lo, s28
	global_load_u16 v2, v[8:9], off offset:8
	v_mov_b32_e32 v53, 0
	s_wait_loadcnt 0x0
	v_and_b32_e32 v54, 0xff, v2
	v_and_b32_e32 v55, 0xffff, v2
	s_delay_alu instid0(VALU_DEP_2)
	v_cmp_ne_u16_e64 s5, 0, v54
	v_mov_b32_e32 v54, 0
	s_and_saveexec_b32 s28, s5
	s_cbranch_execz .LBB319_33
; %bb.26:                               ;   in Loop: Header=BB319_9 Depth=1
	v_and_b32_e32 v2, 0xff, v55
	v_bfrev_b32_e32 v54, 1
	s_mov_b32 s29, exec_lo
	s_delay_alu instid0(VALU_DEP_2)
	v_cmpx_ne_u16_e32 0x80, v2
	s_cbranch_execz .LBB319_32
; %bb.27:                               ;   in Loop: Header=BB319_9 Depth=1
	v_and_b32_e32 v56, 0x7f, v55
	v_mov_b32_e32 v54, 0x7f800001
	s_mov_b32 s30, exec_lo
	s_delay_alu instid0(VALU_DEP_2)
	v_cmpx_ne_u32_e32 0x7f, v56
	s_cbranch_execz .LBB319_31
; %bb.28:                               ;   in Loop: Header=BB319_9 Depth=1
	v_dual_lshrrev_b32 v54, 3, v56 :: v_dual_bitop2_b32 v2, 7, v55 bitop3:0x40
	s_mov_b32 s31, exec_lo
	v_cmpx_gt_u32_e32 8, v56
; %bb.29:                               ;   in Loop: Header=BB319_9 Depth=1
	s_delay_alu instid0(VALU_DEP_2) | instskip(NEXT) | instid1(VALU_DEP_1)
	v_clz_i32_u32_e32 v54, v2
	v_min_u32_e32 v54, 32, v54
	s_delay_alu instid0(VALU_DEP_1) | instskip(NEXT) | instid1(VALU_DEP_1)
	v_subrev_nc_u32_e32 v56, 28, v54
	v_lshlrev_b64_e32 v[56:57], v56, v[2:3]
	s_delay_alu instid0(VALU_DEP_1)
	v_dual_sub_nc_u32 v54, 29, v54 :: v_dual_bitop2_b32 v2, 7, v56 bitop3:0x40
; %bb.30:                               ;   in Loop: Header=BB319_9 Depth=1
	s_or_b32 exec_lo, exec_lo, s31
	s_delay_alu instid0(VALU_DEP_1) | instskip(NEXT) | instid1(VALU_DEP_2)
	v_dual_lshlrev_b32 v56, 24, v55 :: v_dual_lshlrev_b32 v2, 20, v2
	v_lshl_add_u32 v54, v54, 23, 0x3c000000
	s_delay_alu instid0(VALU_DEP_2) | instskip(NEXT) | instid1(VALU_DEP_1)
	v_and_b32_e32 v56, 0x80000000, v56
	v_or3_b32 v54, v2, v56, v54
.LBB319_31:                             ;   in Loop: Header=BB319_9 Depth=1
	s_or_b32 exec_lo, exec_lo, s30
.LBB319_32:                             ;   in Loop: Header=BB319_9 Depth=1
	s_delay_alu instid0(SALU_CYCLE_1)
	s_or_b32 exec_lo, exec_lo, s29
.LBB319_33:                             ;   in Loop: Header=BB319_9 Depth=1
	s_delay_alu instid0(SALU_CYCLE_1) | instskip(SKIP_2) | instid1(VALU_DEP_1)
	s_or_b32 exec_lo, exec_lo, s28
	v_lshrrev_b16 v2, 8, v55
	s_mov_b32 s28, exec_lo
	v_cmpx_ne_u16_e32 0, v2
	s_cbranch_execz .LBB319_41
; %bb.34:                               ;   in Loop: Header=BB319_9 Depth=1
	v_bfrev_b32_e32 v53, 1
	s_mov_b32 s29, exec_lo
	v_cmpx_ne_u16_e32 0x80, v2
	s_cbranch_execz .LBB319_40
; %bb.35:                               ;   in Loop: Header=BB319_9 Depth=1
	v_and_b32_e32 v2, 0xffff, v2
	v_mov_b32_e32 v53, 0x7f800001
	s_mov_b32 s30, exec_lo
	s_delay_alu instid0(VALU_DEP_2) | instskip(NEXT) | instid1(VALU_DEP_1)
	v_and_b32_e32 v56, 0x7f, v2
	v_cmpx_ne_u32_e32 0x7f, v56
	s_cbranch_execz .LBB319_39
; %bb.36:                               ;   in Loop: Header=BB319_9 Depth=1
	v_dual_lshrrev_b32 v53, 3, v56 :: v_dual_bitop2_b32 v2, 7, v2 bitop3:0x40
	s_mov_b32 s31, exec_lo
	v_cmpx_gt_u32_e32 8, v56
; %bb.37:                               ;   in Loop: Header=BB319_9 Depth=1
	s_delay_alu instid0(VALU_DEP_2) | instskip(NEXT) | instid1(VALU_DEP_1)
	v_clz_i32_u32_e32 v53, v2
	v_min_u32_e32 v53, 32, v53
	s_delay_alu instid0(VALU_DEP_1) | instskip(NEXT) | instid1(VALU_DEP_1)
	v_subrev_nc_u32_e32 v56, 28, v53
	v_lshlrev_b64_e32 v[56:57], v56, v[2:3]
	s_delay_alu instid0(VALU_DEP_1)
	v_dual_sub_nc_u32 v53, 29, v53 :: v_dual_bitop2_b32 v2, 7, v56 bitop3:0x40
; %bb.38:                               ;   in Loop: Header=BB319_9 Depth=1
	s_or_b32 exec_lo, exec_lo, s31
	s_delay_alu instid0(VALU_DEP_1) | instskip(NEXT) | instid1(VALU_DEP_2)
	v_dual_lshlrev_b32 v55, 16, v55 :: v_dual_lshlrev_b32 v2, 20, v2
	v_lshl_add_u32 v53, v53, 23, 0x3c000000
	s_delay_alu instid0(VALU_DEP_2) | instskip(NEXT) | instid1(VALU_DEP_1)
	v_and_b32_e32 v55, 0x80000000, v55
	v_or3_b32 v53, v2, v55, v53
.LBB319_39:                             ;   in Loop: Header=BB319_9 Depth=1
	s_or_b32 exec_lo, exec_lo, s30
.LBB319_40:                             ;   in Loop: Header=BB319_9 Depth=1
	s_delay_alu instid0(SALU_CYCLE_1)
	s_or_b32 exec_lo, exec_lo, s29
.LBB319_41:                             ;   in Loop: Header=BB319_9 Depth=1
	s_delay_alu instid0(SALU_CYCLE_1)
	s_or_b32 exec_lo, exec_lo, s28
	global_load_u16 v2, v[8:9], off offset:128
	v_mov_b32_e32 v55, 0
	s_wait_loadcnt 0x0
	v_and_b32_e32 v56, 0xff, v2
	v_and_b32_e32 v57, 0xffff, v2
	s_delay_alu instid0(VALU_DEP_2)
	v_cmp_ne_u16_e64 s5, 0, v56
	v_mov_b32_e32 v56, 0
	s_and_saveexec_b32 s28, s5
	s_cbranch_execz .LBB319_49
; %bb.42:                               ;   in Loop: Header=BB319_9 Depth=1
	v_and_b32_e32 v2, 0xff, v57
	v_bfrev_b32_e32 v56, 1
	s_mov_b32 s29, exec_lo
	s_delay_alu instid0(VALU_DEP_2)
	v_cmpx_ne_u16_e32 0x80, v2
	s_cbranch_execz .LBB319_48
; %bb.43:                               ;   in Loop: Header=BB319_9 Depth=1
	v_and_b32_e32 v58, 0x7f, v57
	v_mov_b32_e32 v56, 0x7f800001
	s_mov_b32 s30, exec_lo
	s_delay_alu instid0(VALU_DEP_2)
	v_cmpx_ne_u32_e32 0x7f, v58
	s_cbranch_execz .LBB319_47
; %bb.44:                               ;   in Loop: Header=BB319_9 Depth=1
	v_dual_lshrrev_b32 v56, 3, v58 :: v_dual_bitop2_b32 v2, 7, v57 bitop3:0x40
	s_mov_b32 s31, exec_lo
	v_cmpx_gt_u32_e32 8, v58
; %bb.45:                               ;   in Loop: Header=BB319_9 Depth=1
	s_delay_alu instid0(VALU_DEP_2) | instskip(NEXT) | instid1(VALU_DEP_1)
	v_clz_i32_u32_e32 v56, v2
	v_min_u32_e32 v56, 32, v56
	s_delay_alu instid0(VALU_DEP_1) | instskip(NEXT) | instid1(VALU_DEP_1)
	v_subrev_nc_u32_e32 v58, 28, v56
	v_lshlrev_b64_e32 v[58:59], v58, v[2:3]
	s_delay_alu instid0(VALU_DEP_1)
	v_dual_sub_nc_u32 v56, 29, v56 :: v_dual_bitop2_b32 v2, 7, v58 bitop3:0x40
; %bb.46:                               ;   in Loop: Header=BB319_9 Depth=1
	s_or_b32 exec_lo, exec_lo, s31
	s_delay_alu instid0(VALU_DEP_1) | instskip(NEXT) | instid1(VALU_DEP_2)
	v_dual_lshlrev_b32 v58, 24, v57 :: v_dual_lshlrev_b32 v2, 20, v2
	v_lshl_add_u32 v56, v56, 23, 0x3c000000
	s_delay_alu instid0(VALU_DEP_2) | instskip(NEXT) | instid1(VALU_DEP_1)
	v_and_b32_e32 v58, 0x80000000, v58
	v_or3_b32 v56, v2, v58, v56
.LBB319_47:                             ;   in Loop: Header=BB319_9 Depth=1
	s_or_b32 exec_lo, exec_lo, s30
.LBB319_48:                             ;   in Loop: Header=BB319_9 Depth=1
	s_delay_alu instid0(SALU_CYCLE_1)
	s_or_b32 exec_lo, exec_lo, s29
.LBB319_49:                             ;   in Loop: Header=BB319_9 Depth=1
	s_delay_alu instid0(SALU_CYCLE_1) | instskip(SKIP_2) | instid1(VALU_DEP_1)
	s_or_b32 exec_lo, exec_lo, s28
	v_lshrrev_b16 v2, 8, v57
	s_mov_b32 s28, exec_lo
	v_cmpx_ne_u16_e32 0, v2
	s_cbranch_execz .LBB319_57
; %bb.50:                               ;   in Loop: Header=BB319_9 Depth=1
	v_bfrev_b32_e32 v55, 1
	s_mov_b32 s29, exec_lo
	v_cmpx_ne_u16_e32 0x80, v2
	s_cbranch_execz .LBB319_56
; %bb.51:                               ;   in Loop: Header=BB319_9 Depth=1
	v_and_b32_e32 v2, 0xffff, v2
	v_mov_b32_e32 v55, 0x7f800001
	s_mov_b32 s30, exec_lo
	s_delay_alu instid0(VALU_DEP_2) | instskip(NEXT) | instid1(VALU_DEP_1)
	v_and_b32_e32 v58, 0x7f, v2
	v_cmpx_ne_u32_e32 0x7f, v58
	s_cbranch_execz .LBB319_55
; %bb.52:                               ;   in Loop: Header=BB319_9 Depth=1
	v_and_b32_e32 v2, 7, v2
	v_lshrrev_b32_e32 v55, 3, v58
	s_mov_b32 s31, exec_lo
	v_cmpx_gt_u32_e32 8, v58
; %bb.53:                               ;   in Loop: Header=BB319_9 Depth=1
	s_delay_alu instid0(VALU_DEP_3) | instskip(NEXT) | instid1(VALU_DEP_1)
	v_clz_i32_u32_e32 v55, v2
	v_min_u32_e32 v55, 32, v55
	s_delay_alu instid0(VALU_DEP_1) | instskip(NEXT) | instid1(VALU_DEP_1)
	v_subrev_nc_u32_e32 v58, 28, v55
	v_lshlrev_b64_e32 v[58:59], v58, v[2:3]
	s_delay_alu instid0(VALU_DEP_1)
	v_dual_sub_nc_u32 v55, 29, v55 :: v_dual_bitop2_b32 v2, 7, v58 bitop3:0x40
; %bb.54:                               ;   in Loop: Header=BB319_9 Depth=1
	s_or_b32 exec_lo, exec_lo, s31
	s_delay_alu instid0(VALU_DEP_1) | instskip(NEXT) | instid1(VALU_DEP_2)
	v_dual_lshlrev_b32 v57, 16, v57 :: v_dual_lshlrev_b32 v2, 20, v2
	v_lshl_add_u32 v55, v55, 23, 0x3c000000
	s_delay_alu instid0(VALU_DEP_2) | instskip(NEXT) | instid1(VALU_DEP_1)
	v_and_b32_e32 v57, 0x80000000, v57
	v_or3_b32 v55, v2, v57, v55
.LBB319_55:                             ;   in Loop: Header=BB319_9 Depth=1
	s_or_b32 exec_lo, exec_lo, s30
.LBB319_56:                             ;   in Loop: Header=BB319_9 Depth=1
	s_delay_alu instid0(SALU_CYCLE_1)
	s_or_b32 exec_lo, exec_lo, s29
.LBB319_57:                             ;   in Loop: Header=BB319_9 Depth=1
	s_delay_alu instid0(SALU_CYCLE_1)
	s_or_b32 exec_lo, exec_lo, s28
	global_load_u16 v2, v[8:9], off offset:136
	v_mov_b32_e32 v57, 0
	s_wait_loadcnt 0x0
	v_and_b32_e32 v58, 0xff, v2
	v_and_b32_e32 v59, 0xffff, v2
	s_delay_alu instid0(VALU_DEP_2)
	v_cmp_ne_u16_e64 s5, 0, v58
	v_mov_b32_e32 v58, 0
	s_and_saveexec_b32 s28, s5
	s_cbranch_execz .LBB319_65
; %bb.58:                               ;   in Loop: Header=BB319_9 Depth=1
	v_and_b32_e32 v2, 0xff, v59
	v_bfrev_b32_e32 v58, 1
	s_mov_b32 s29, exec_lo
	s_delay_alu instid0(VALU_DEP_2)
	v_cmpx_ne_u16_e32 0x80, v2
	s_cbranch_execz .LBB319_64
; %bb.59:                               ;   in Loop: Header=BB319_9 Depth=1
	v_and_b32_e32 v60, 0x7f, v59
	v_mov_b32_e32 v58, 0x7f800001
	s_mov_b32 s30, exec_lo
	s_delay_alu instid0(VALU_DEP_2)
	v_cmpx_ne_u32_e32 0x7f, v60
	s_cbranch_execz .LBB319_63
; %bb.60:                               ;   in Loop: Header=BB319_9 Depth=1
	v_dual_lshrrev_b32 v58, 3, v60 :: v_dual_bitop2_b32 v2, 7, v59 bitop3:0x40
	s_mov_b32 s31, exec_lo
	v_cmpx_gt_u32_e32 8, v60
; %bb.61:                               ;   in Loop: Header=BB319_9 Depth=1
	s_delay_alu instid0(VALU_DEP_2) | instskip(NEXT) | instid1(VALU_DEP_1)
	v_clz_i32_u32_e32 v58, v2
	v_min_u32_e32 v58, 32, v58
	s_delay_alu instid0(VALU_DEP_1) | instskip(NEXT) | instid1(VALU_DEP_1)
	v_subrev_nc_u32_e32 v60, 28, v58
	v_lshlrev_b64_e32 v[60:61], v60, v[2:3]
	s_delay_alu instid0(VALU_DEP_1)
	v_dual_sub_nc_u32 v58, 29, v58 :: v_dual_bitop2_b32 v2, 7, v60 bitop3:0x40
; %bb.62:                               ;   in Loop: Header=BB319_9 Depth=1
	s_or_b32 exec_lo, exec_lo, s31
	s_delay_alu instid0(VALU_DEP_1) | instskip(NEXT) | instid1(VALU_DEP_2)
	v_dual_lshlrev_b32 v60, 24, v59 :: v_dual_lshlrev_b32 v2, 20, v2
	v_lshl_add_u32 v58, v58, 23, 0x3c000000
	s_delay_alu instid0(VALU_DEP_2) | instskip(NEXT) | instid1(VALU_DEP_1)
	v_and_b32_e32 v60, 0x80000000, v60
	v_or3_b32 v58, v2, v60, v58
.LBB319_63:                             ;   in Loop: Header=BB319_9 Depth=1
	s_or_b32 exec_lo, exec_lo, s30
.LBB319_64:                             ;   in Loop: Header=BB319_9 Depth=1
	s_delay_alu instid0(SALU_CYCLE_1)
	s_or_b32 exec_lo, exec_lo, s29
.LBB319_65:                             ;   in Loop: Header=BB319_9 Depth=1
	s_delay_alu instid0(SALU_CYCLE_1) | instskip(SKIP_2) | instid1(VALU_DEP_1)
	s_or_b32 exec_lo, exec_lo, s28
	v_lshrrev_b16 v2, 8, v59
	s_mov_b32 s28, exec_lo
	v_cmpx_ne_u16_e32 0, v2
	s_cbranch_execz .LBB319_73
; %bb.66:                               ;   in Loop: Header=BB319_9 Depth=1
	v_bfrev_b32_e32 v57, 1
	s_mov_b32 s29, exec_lo
	v_cmpx_ne_u16_e32 0x80, v2
	s_cbranch_execz .LBB319_72
; %bb.67:                               ;   in Loop: Header=BB319_9 Depth=1
	v_and_b32_e32 v2, 0xffff, v2
	v_mov_b32_e32 v57, 0x7f800001
	s_mov_b32 s30, exec_lo
	s_delay_alu instid0(VALU_DEP_2) | instskip(NEXT) | instid1(VALU_DEP_1)
	v_and_b32_e32 v60, 0x7f, v2
	v_cmpx_ne_u32_e32 0x7f, v60
	s_cbranch_execz .LBB319_71
; %bb.68:                               ;   in Loop: Header=BB319_9 Depth=1
	v_dual_lshrrev_b32 v57, 3, v60 :: v_dual_bitop2_b32 v2, 7, v2 bitop3:0x40
	s_mov_b32 s31, exec_lo
	v_cmpx_gt_u32_e32 8, v60
; %bb.69:                               ;   in Loop: Header=BB319_9 Depth=1
	s_delay_alu instid0(VALU_DEP_2) | instskip(NEXT) | instid1(VALU_DEP_1)
	v_clz_i32_u32_e32 v57, v2
	v_min_u32_e32 v57, 32, v57
	s_delay_alu instid0(VALU_DEP_1) | instskip(NEXT) | instid1(VALU_DEP_1)
	v_subrev_nc_u32_e32 v60, 28, v57
	v_lshlrev_b64_e32 v[60:61], v60, v[2:3]
	s_delay_alu instid0(VALU_DEP_1)
	v_dual_sub_nc_u32 v57, 29, v57 :: v_dual_bitop2_b32 v2, 7, v60 bitop3:0x40
; %bb.70:                               ;   in Loop: Header=BB319_9 Depth=1
	s_or_b32 exec_lo, exec_lo, s31
	s_delay_alu instid0(VALU_DEP_1) | instskip(NEXT) | instid1(VALU_DEP_2)
	v_dual_lshlrev_b32 v59, 16, v59 :: v_dual_lshlrev_b32 v2, 20, v2
	v_lshl_add_u32 v57, v57, 23, 0x3c000000
	s_delay_alu instid0(VALU_DEP_2) | instskip(NEXT) | instid1(VALU_DEP_1)
	v_and_b32_e32 v59, 0x80000000, v59
	v_or3_b32 v57, v2, v59, v57
.LBB319_71:                             ;   in Loop: Header=BB319_9 Depth=1
	s_or_b32 exec_lo, exec_lo, s30
.LBB319_72:                             ;   in Loop: Header=BB319_9 Depth=1
	s_delay_alu instid0(SALU_CYCLE_1)
	s_or_b32 exec_lo, exec_lo, s29
.LBB319_73:                             ;   in Loop: Header=BB319_9 Depth=1
	s_delay_alu instid0(SALU_CYCLE_1)
	s_or_b32 exec_lo, exec_lo, s28
	global_load_u16 v2, v[8:9], off offset:256
	v_mov_b32_e32 v59, 0
	s_wait_loadcnt 0x0
	v_and_b32_e32 v60, 0xff, v2
	v_and_b32_e32 v61, 0xffff, v2
	s_delay_alu instid0(VALU_DEP_2)
	v_cmp_ne_u16_e64 s5, 0, v60
	v_mov_b32_e32 v60, 0
	s_and_saveexec_b32 s28, s5
	s_cbranch_execz .LBB319_81
; %bb.74:                               ;   in Loop: Header=BB319_9 Depth=1
	v_and_b32_e32 v2, 0xff, v61
	v_bfrev_b32_e32 v60, 1
	s_mov_b32 s29, exec_lo
	s_delay_alu instid0(VALU_DEP_2)
	v_cmpx_ne_u16_e32 0x80, v2
	s_cbranch_execz .LBB319_80
; %bb.75:                               ;   in Loop: Header=BB319_9 Depth=1
	v_and_b32_e32 v62, 0x7f, v61
	v_mov_b32_e32 v60, 0x7f800001
	s_mov_b32 s30, exec_lo
	s_delay_alu instid0(VALU_DEP_2)
	v_cmpx_ne_u32_e32 0x7f, v62
	s_cbranch_execz .LBB319_79
; %bb.76:                               ;   in Loop: Header=BB319_9 Depth=1
	v_dual_lshrrev_b32 v60, 3, v62 :: v_dual_bitop2_b32 v2, 7, v61 bitop3:0x40
	s_mov_b32 s31, exec_lo
	v_cmpx_gt_u32_e32 8, v62
; %bb.77:                               ;   in Loop: Header=BB319_9 Depth=1
	s_delay_alu instid0(VALU_DEP_2) | instskip(NEXT) | instid1(VALU_DEP_1)
	v_clz_i32_u32_e32 v60, v2
	v_min_u32_e32 v60, 32, v60
	s_delay_alu instid0(VALU_DEP_1) | instskip(NEXT) | instid1(VALU_DEP_1)
	v_subrev_nc_u32_e32 v62, 28, v60
	v_lshlrev_b64_e32 v[62:63], v62, v[2:3]
	s_delay_alu instid0(VALU_DEP_1)
	v_dual_sub_nc_u32 v60, 29, v60 :: v_dual_bitop2_b32 v2, 7, v62 bitop3:0x40
; %bb.78:                               ;   in Loop: Header=BB319_9 Depth=1
	s_or_b32 exec_lo, exec_lo, s31
	s_delay_alu instid0(VALU_DEP_1) | instskip(NEXT) | instid1(VALU_DEP_2)
	v_dual_lshlrev_b32 v62, 24, v61 :: v_dual_lshlrev_b32 v2, 20, v2
	v_lshl_add_u32 v60, v60, 23, 0x3c000000
	s_delay_alu instid0(VALU_DEP_2) | instskip(NEXT) | instid1(VALU_DEP_1)
	v_and_b32_e32 v62, 0x80000000, v62
	v_or3_b32 v60, v2, v62, v60
.LBB319_79:                             ;   in Loop: Header=BB319_9 Depth=1
	s_or_b32 exec_lo, exec_lo, s30
.LBB319_80:                             ;   in Loop: Header=BB319_9 Depth=1
	s_delay_alu instid0(SALU_CYCLE_1)
	s_or_b32 exec_lo, exec_lo, s29
.LBB319_81:                             ;   in Loop: Header=BB319_9 Depth=1
	s_delay_alu instid0(SALU_CYCLE_1) | instskip(SKIP_2) | instid1(VALU_DEP_1)
	s_or_b32 exec_lo, exec_lo, s28
	v_lshrrev_b16 v2, 8, v61
	s_mov_b32 s28, exec_lo
	v_cmpx_ne_u16_e32 0, v2
	s_cbranch_execz .LBB319_89
; %bb.82:                               ;   in Loop: Header=BB319_9 Depth=1
	v_bfrev_b32_e32 v59, 1
	s_mov_b32 s29, exec_lo
	v_cmpx_ne_u16_e32 0x80, v2
	s_cbranch_execz .LBB319_88
; %bb.83:                               ;   in Loop: Header=BB319_9 Depth=1
	v_and_b32_e32 v2, 0xffff, v2
	v_mov_b32_e32 v59, 0x7f800001
	s_mov_b32 s30, exec_lo
	s_delay_alu instid0(VALU_DEP_2) | instskip(NEXT) | instid1(VALU_DEP_1)
	v_and_b32_e32 v62, 0x7f, v2
	v_cmpx_ne_u32_e32 0x7f, v62
	s_cbranch_execz .LBB319_87
; %bb.84:                               ;   in Loop: Header=BB319_9 Depth=1
	v_and_b32_e32 v2, 7, v2
	v_lshrrev_b32_e32 v59, 3, v62
	s_mov_b32 s31, exec_lo
	v_cmpx_gt_u32_e32 8, v62
; %bb.85:                               ;   in Loop: Header=BB319_9 Depth=1
	s_delay_alu instid0(VALU_DEP_3) | instskip(NEXT) | instid1(VALU_DEP_1)
	v_clz_i32_u32_e32 v59, v2
	v_min_u32_e32 v59, 32, v59
	s_delay_alu instid0(VALU_DEP_1) | instskip(NEXT) | instid1(VALU_DEP_1)
	v_subrev_nc_u32_e32 v62, 28, v59
	v_lshlrev_b64_e32 v[62:63], v62, v[2:3]
	s_delay_alu instid0(VALU_DEP_1)
	v_dual_sub_nc_u32 v59, 29, v59 :: v_dual_bitop2_b32 v2, 7, v62 bitop3:0x40
; %bb.86:                               ;   in Loop: Header=BB319_9 Depth=1
	s_or_b32 exec_lo, exec_lo, s31
	s_delay_alu instid0(VALU_DEP_1) | instskip(NEXT) | instid1(VALU_DEP_2)
	v_dual_lshlrev_b32 v61, 16, v61 :: v_dual_lshlrev_b32 v2, 20, v2
	v_lshl_add_u32 v59, v59, 23, 0x3c000000
	s_delay_alu instid0(VALU_DEP_2) | instskip(NEXT) | instid1(VALU_DEP_1)
	v_and_b32_e32 v61, 0x80000000, v61
	v_or3_b32 v59, v2, v61, v59
.LBB319_87:                             ;   in Loop: Header=BB319_9 Depth=1
	s_or_b32 exec_lo, exec_lo, s30
.LBB319_88:                             ;   in Loop: Header=BB319_9 Depth=1
	s_delay_alu instid0(SALU_CYCLE_1)
	s_or_b32 exec_lo, exec_lo, s29
.LBB319_89:                             ;   in Loop: Header=BB319_9 Depth=1
	s_delay_alu instid0(SALU_CYCLE_1)
	s_or_b32 exec_lo, exec_lo, s28
	global_load_u16 v2, v[8:9], off offset:264
	v_mov_b32_e32 v61, 0
	s_wait_loadcnt 0x0
	v_and_b32_e32 v62, 0xff, v2
	v_and_b32_e32 v63, 0xffff, v2
	s_delay_alu instid0(VALU_DEP_2)
	v_cmp_ne_u16_e64 s5, 0, v62
	v_mov_b32_e32 v62, 0
	s_and_saveexec_b32 s28, s5
	s_cbranch_execz .LBB319_97
; %bb.90:                               ;   in Loop: Header=BB319_9 Depth=1
	v_and_b32_e32 v2, 0xff, v63
	v_bfrev_b32_e32 v62, 1
	s_mov_b32 s29, exec_lo
	s_delay_alu instid0(VALU_DEP_2)
	v_cmpx_ne_u16_e32 0x80, v2
	s_cbranch_execz .LBB319_96
; %bb.91:                               ;   in Loop: Header=BB319_9 Depth=1
	v_and_b32_e32 v64, 0x7f, v63
	v_mov_b32_e32 v62, 0x7f800001
	s_mov_b32 s30, exec_lo
	s_delay_alu instid0(VALU_DEP_2)
	v_cmpx_ne_u32_e32 0x7f, v64
	s_cbranch_execz .LBB319_95
; %bb.92:                               ;   in Loop: Header=BB319_9 Depth=1
	v_dual_lshrrev_b32 v62, 3, v64 :: v_dual_bitop2_b32 v2, 7, v63 bitop3:0x40
	s_mov_b32 s31, exec_lo
	v_cmpx_gt_u32_e32 8, v64
; %bb.93:                               ;   in Loop: Header=BB319_9 Depth=1
	s_delay_alu instid0(VALU_DEP_2) | instskip(NEXT) | instid1(VALU_DEP_1)
	v_clz_i32_u32_e32 v62, v2
	v_min_u32_e32 v62, 32, v62
	s_delay_alu instid0(VALU_DEP_1) | instskip(NEXT) | instid1(VALU_DEP_1)
	v_subrev_nc_u32_e32 v64, 28, v62
	v_lshlrev_b64_e32 v[64:65], v64, v[2:3]
	s_delay_alu instid0(VALU_DEP_1)
	v_dual_sub_nc_u32 v62, 29, v62 :: v_dual_bitop2_b32 v2, 7, v64 bitop3:0x40
; %bb.94:                               ;   in Loop: Header=BB319_9 Depth=1
	s_or_b32 exec_lo, exec_lo, s31
	s_delay_alu instid0(VALU_DEP_1) | instskip(NEXT) | instid1(VALU_DEP_2)
	v_dual_lshlrev_b32 v64, 24, v63 :: v_dual_lshlrev_b32 v2, 20, v2
	v_lshl_add_u32 v62, v62, 23, 0x3c000000
	s_delay_alu instid0(VALU_DEP_2) | instskip(NEXT) | instid1(VALU_DEP_1)
	v_and_b32_e32 v64, 0x80000000, v64
	v_or3_b32 v62, v2, v64, v62
.LBB319_95:                             ;   in Loop: Header=BB319_9 Depth=1
	s_or_b32 exec_lo, exec_lo, s30
.LBB319_96:                             ;   in Loop: Header=BB319_9 Depth=1
	s_delay_alu instid0(SALU_CYCLE_1)
	s_or_b32 exec_lo, exec_lo, s29
.LBB319_97:                             ;   in Loop: Header=BB319_9 Depth=1
	s_delay_alu instid0(SALU_CYCLE_1) | instskip(SKIP_2) | instid1(VALU_DEP_1)
	s_or_b32 exec_lo, exec_lo, s28
	v_lshrrev_b16 v2, 8, v63
	s_mov_b32 s28, exec_lo
	v_cmpx_ne_u16_e32 0, v2
	s_cbranch_execz .LBB319_105
; %bb.98:                               ;   in Loop: Header=BB319_9 Depth=1
	v_bfrev_b32_e32 v61, 1
	s_mov_b32 s29, exec_lo
	v_cmpx_ne_u16_e32 0x80, v2
	s_cbranch_execz .LBB319_104
; %bb.99:                               ;   in Loop: Header=BB319_9 Depth=1
	v_and_b32_e32 v2, 0xffff, v2
	v_mov_b32_e32 v61, 0x7f800001
	s_mov_b32 s30, exec_lo
	s_delay_alu instid0(VALU_DEP_2) | instskip(NEXT) | instid1(VALU_DEP_1)
	v_and_b32_e32 v64, 0x7f, v2
	v_cmpx_ne_u32_e32 0x7f, v64
	s_cbranch_execz .LBB319_103
; %bb.100:                              ;   in Loop: Header=BB319_9 Depth=1
	v_dual_lshrrev_b32 v61, 3, v64 :: v_dual_bitop2_b32 v2, 7, v2 bitop3:0x40
	s_mov_b32 s31, exec_lo
	v_cmpx_gt_u32_e32 8, v64
; %bb.101:                              ;   in Loop: Header=BB319_9 Depth=1
	s_delay_alu instid0(VALU_DEP_2) | instskip(NEXT) | instid1(VALU_DEP_1)
	v_clz_i32_u32_e32 v61, v2
	v_min_u32_e32 v61, 32, v61
	s_delay_alu instid0(VALU_DEP_1) | instskip(NEXT) | instid1(VALU_DEP_1)
	v_subrev_nc_u32_e32 v64, 28, v61
	v_lshlrev_b64_e32 v[64:65], v64, v[2:3]
	s_delay_alu instid0(VALU_DEP_1)
	v_dual_sub_nc_u32 v61, 29, v61 :: v_dual_bitop2_b32 v2, 7, v64 bitop3:0x40
; %bb.102:                              ;   in Loop: Header=BB319_9 Depth=1
	s_or_b32 exec_lo, exec_lo, s31
	s_delay_alu instid0(VALU_DEP_1) | instskip(NEXT) | instid1(VALU_DEP_2)
	v_dual_lshlrev_b32 v63, 16, v63 :: v_dual_lshlrev_b32 v2, 20, v2
	v_lshl_add_u32 v61, v61, 23, 0x3c000000
	s_delay_alu instid0(VALU_DEP_2) | instskip(NEXT) | instid1(VALU_DEP_1)
	v_and_b32_e32 v63, 0x80000000, v63
	v_or3_b32 v61, v2, v63, v61
.LBB319_103:                            ;   in Loop: Header=BB319_9 Depth=1
	s_or_b32 exec_lo, exec_lo, s30
.LBB319_104:                            ;   in Loop: Header=BB319_9 Depth=1
	s_delay_alu instid0(SALU_CYCLE_1)
	s_or_b32 exec_lo, exec_lo, s29
.LBB319_105:                            ;   in Loop: Header=BB319_9 Depth=1
	s_delay_alu instid0(SALU_CYCLE_1)
	s_or_b32 exec_lo, exec_lo, s28
	global_load_u16 v2, v[8:9], off offset:384
	v_mov_b32_e32 v63, 0
	s_wait_loadcnt 0x0
	v_and_b32_e32 v64, 0xff, v2
	v_and_b32_e32 v65, 0xffff, v2
	s_delay_alu instid0(VALU_DEP_2)
	v_cmp_ne_u16_e64 s5, 0, v64
	v_mov_b32_e32 v64, 0
	s_and_saveexec_b32 s28, s5
	s_cbranch_execz .LBB319_113
; %bb.106:                              ;   in Loop: Header=BB319_9 Depth=1
	v_and_b32_e32 v2, 0xff, v65
	v_bfrev_b32_e32 v64, 1
	s_mov_b32 s29, exec_lo
	s_delay_alu instid0(VALU_DEP_2)
	v_cmpx_ne_u16_e32 0x80, v2
	s_cbranch_execz .LBB319_112
; %bb.107:                              ;   in Loop: Header=BB319_9 Depth=1
	v_and_b32_e32 v66, 0x7f, v65
	v_mov_b32_e32 v64, 0x7f800001
	s_mov_b32 s30, exec_lo
	s_delay_alu instid0(VALU_DEP_2)
	v_cmpx_ne_u32_e32 0x7f, v66
	s_cbranch_execz .LBB319_111
; %bb.108:                              ;   in Loop: Header=BB319_9 Depth=1
	v_dual_lshrrev_b32 v64, 3, v66 :: v_dual_bitop2_b32 v2, 7, v65 bitop3:0x40
	s_mov_b32 s31, exec_lo
	v_cmpx_gt_u32_e32 8, v66
; %bb.109:                              ;   in Loop: Header=BB319_9 Depth=1
	s_delay_alu instid0(VALU_DEP_2) | instskip(NEXT) | instid1(VALU_DEP_1)
	v_clz_i32_u32_e32 v64, v2
	v_min_u32_e32 v64, 32, v64
	s_delay_alu instid0(VALU_DEP_1) | instskip(NEXT) | instid1(VALU_DEP_1)
	v_subrev_nc_u32_e32 v66, 28, v64
	v_lshlrev_b64_e32 v[66:67], v66, v[2:3]
	s_delay_alu instid0(VALU_DEP_1)
	v_dual_sub_nc_u32 v64, 29, v64 :: v_dual_bitop2_b32 v2, 7, v66 bitop3:0x40
; %bb.110:                              ;   in Loop: Header=BB319_9 Depth=1
	s_or_b32 exec_lo, exec_lo, s31
	s_delay_alu instid0(VALU_DEP_1) | instskip(NEXT) | instid1(VALU_DEP_2)
	v_dual_lshlrev_b32 v66, 24, v65 :: v_dual_lshlrev_b32 v2, 20, v2
	v_lshl_add_u32 v64, v64, 23, 0x3c000000
	s_delay_alu instid0(VALU_DEP_2) | instskip(NEXT) | instid1(VALU_DEP_1)
	v_and_b32_e32 v66, 0x80000000, v66
	v_or3_b32 v64, v2, v66, v64
.LBB319_111:                            ;   in Loop: Header=BB319_9 Depth=1
	s_or_b32 exec_lo, exec_lo, s30
.LBB319_112:                            ;   in Loop: Header=BB319_9 Depth=1
	s_delay_alu instid0(SALU_CYCLE_1)
	s_or_b32 exec_lo, exec_lo, s29
.LBB319_113:                            ;   in Loop: Header=BB319_9 Depth=1
	s_delay_alu instid0(SALU_CYCLE_1) | instskip(SKIP_2) | instid1(VALU_DEP_1)
	s_or_b32 exec_lo, exec_lo, s28
	v_lshrrev_b16 v2, 8, v65
	s_mov_b32 s28, exec_lo
	v_cmpx_ne_u16_e32 0, v2
	s_cbranch_execz .LBB319_121
; %bb.114:                              ;   in Loop: Header=BB319_9 Depth=1
	v_bfrev_b32_e32 v63, 1
	s_mov_b32 s29, exec_lo
	v_cmpx_ne_u16_e32 0x80, v2
	s_cbranch_execz .LBB319_120
; %bb.115:                              ;   in Loop: Header=BB319_9 Depth=1
	v_and_b32_e32 v2, 0xffff, v2
	v_mov_b32_e32 v63, 0x7f800001
	s_mov_b32 s30, exec_lo
	s_delay_alu instid0(VALU_DEP_2) | instskip(NEXT) | instid1(VALU_DEP_1)
	v_and_b32_e32 v66, 0x7f, v2
	v_cmpx_ne_u32_e32 0x7f, v66
	s_cbranch_execz .LBB319_119
; %bb.116:                              ;   in Loop: Header=BB319_9 Depth=1
	v_and_b32_e32 v2, 7, v2
	v_lshrrev_b32_e32 v63, 3, v66
	s_mov_b32 s31, exec_lo
	v_cmpx_gt_u32_e32 8, v66
; %bb.117:                              ;   in Loop: Header=BB319_9 Depth=1
	s_delay_alu instid0(VALU_DEP_3) | instskip(NEXT) | instid1(VALU_DEP_1)
	v_clz_i32_u32_e32 v63, v2
	v_min_u32_e32 v63, 32, v63
	s_delay_alu instid0(VALU_DEP_1) | instskip(NEXT) | instid1(VALU_DEP_1)
	v_subrev_nc_u32_e32 v66, 28, v63
	v_lshlrev_b64_e32 v[66:67], v66, v[2:3]
	s_delay_alu instid0(VALU_DEP_1)
	v_dual_sub_nc_u32 v63, 29, v63 :: v_dual_bitop2_b32 v2, 7, v66 bitop3:0x40
; %bb.118:                              ;   in Loop: Header=BB319_9 Depth=1
	s_or_b32 exec_lo, exec_lo, s31
	s_delay_alu instid0(VALU_DEP_1) | instskip(NEXT) | instid1(VALU_DEP_2)
	v_dual_lshlrev_b32 v65, 16, v65 :: v_dual_lshlrev_b32 v2, 20, v2
	v_lshl_add_u32 v63, v63, 23, 0x3c000000
	s_delay_alu instid0(VALU_DEP_2) | instskip(NEXT) | instid1(VALU_DEP_1)
	v_and_b32_e32 v65, 0x80000000, v65
	v_or3_b32 v63, v2, v65, v63
.LBB319_119:                            ;   in Loop: Header=BB319_9 Depth=1
	s_or_b32 exec_lo, exec_lo, s30
.LBB319_120:                            ;   in Loop: Header=BB319_9 Depth=1
	s_delay_alu instid0(SALU_CYCLE_1)
	s_or_b32 exec_lo, exec_lo, s29
.LBB319_121:                            ;   in Loop: Header=BB319_9 Depth=1
	s_delay_alu instid0(SALU_CYCLE_1)
	s_or_b32 exec_lo, exec_lo, s28
	global_load_u16 v2, v[8:9], off offset:392
	v_mov_b32_e32 v65, 0
	s_wait_loadcnt 0x0
	v_and_b32_e32 v66, 0xff, v2
	v_and_b32_e32 v67, 0xffff, v2
	s_delay_alu instid0(VALU_DEP_2)
	v_cmp_ne_u16_e64 s5, 0, v66
	v_mov_b32_e32 v66, 0
	s_and_saveexec_b32 s28, s5
	s_cbranch_execz .LBB319_129
; %bb.122:                              ;   in Loop: Header=BB319_9 Depth=1
	v_and_b32_e32 v2, 0xff, v67
	v_bfrev_b32_e32 v66, 1
	s_mov_b32 s29, exec_lo
	s_delay_alu instid0(VALU_DEP_2)
	v_cmpx_ne_u16_e32 0x80, v2
	s_cbranch_execz .LBB319_128
; %bb.123:                              ;   in Loop: Header=BB319_9 Depth=1
	v_and_b32_e32 v68, 0x7f, v67
	v_mov_b32_e32 v66, 0x7f800001
	s_mov_b32 s30, exec_lo
	s_delay_alu instid0(VALU_DEP_2)
	v_cmpx_ne_u32_e32 0x7f, v68
	s_cbranch_execz .LBB319_127
; %bb.124:                              ;   in Loop: Header=BB319_9 Depth=1
	v_dual_lshrrev_b32 v66, 3, v68 :: v_dual_bitop2_b32 v2, 7, v67 bitop3:0x40
	s_mov_b32 s31, exec_lo
	v_cmpx_gt_u32_e32 8, v68
; %bb.125:                              ;   in Loop: Header=BB319_9 Depth=1
	s_delay_alu instid0(VALU_DEP_2) | instskip(NEXT) | instid1(VALU_DEP_1)
	v_clz_i32_u32_e32 v66, v2
	v_min_u32_e32 v66, 32, v66
	s_delay_alu instid0(VALU_DEP_1) | instskip(NEXT) | instid1(VALU_DEP_1)
	v_subrev_nc_u32_e32 v68, 28, v66
	v_lshlrev_b64_e32 v[68:69], v68, v[2:3]
	s_delay_alu instid0(VALU_DEP_1)
	v_dual_sub_nc_u32 v66, 29, v66 :: v_dual_bitop2_b32 v2, 7, v68 bitop3:0x40
; %bb.126:                              ;   in Loop: Header=BB319_9 Depth=1
	s_or_b32 exec_lo, exec_lo, s31
	s_delay_alu instid0(VALU_DEP_1) | instskip(NEXT) | instid1(VALU_DEP_2)
	v_dual_lshlrev_b32 v68, 24, v67 :: v_dual_lshlrev_b32 v2, 20, v2
	v_lshl_add_u32 v66, v66, 23, 0x3c000000
	s_delay_alu instid0(VALU_DEP_2) | instskip(NEXT) | instid1(VALU_DEP_1)
	v_and_b32_e32 v68, 0x80000000, v68
	v_or3_b32 v66, v2, v68, v66
.LBB319_127:                            ;   in Loop: Header=BB319_9 Depth=1
	s_or_b32 exec_lo, exec_lo, s30
.LBB319_128:                            ;   in Loop: Header=BB319_9 Depth=1
	s_delay_alu instid0(SALU_CYCLE_1)
	s_or_b32 exec_lo, exec_lo, s29
.LBB319_129:                            ;   in Loop: Header=BB319_9 Depth=1
	s_delay_alu instid0(SALU_CYCLE_1) | instskip(SKIP_2) | instid1(VALU_DEP_1)
	s_or_b32 exec_lo, exec_lo, s28
	v_lshrrev_b16 v2, 8, v67
	s_mov_b32 s28, exec_lo
	v_cmpx_ne_u16_e32 0, v2
	s_cbranch_execz .LBB319_137
; %bb.130:                              ;   in Loop: Header=BB319_9 Depth=1
	v_bfrev_b32_e32 v65, 1
	s_mov_b32 s29, exec_lo
	v_cmpx_ne_u16_e32 0x80, v2
	s_cbranch_execz .LBB319_136
; %bb.131:                              ;   in Loop: Header=BB319_9 Depth=1
	v_and_b32_e32 v2, 0xffff, v2
	v_mov_b32_e32 v65, 0x7f800001
	s_mov_b32 s30, exec_lo
	s_delay_alu instid0(VALU_DEP_2) | instskip(NEXT) | instid1(VALU_DEP_1)
	v_and_b32_e32 v68, 0x7f, v2
	v_cmpx_ne_u32_e32 0x7f, v68
	s_cbranch_execz .LBB319_135
; %bb.132:                              ;   in Loop: Header=BB319_9 Depth=1
	v_dual_lshrrev_b32 v65, 3, v68 :: v_dual_bitop2_b32 v2, 7, v2 bitop3:0x40
	s_mov_b32 s31, exec_lo
	v_cmpx_gt_u32_e32 8, v68
; %bb.133:                              ;   in Loop: Header=BB319_9 Depth=1
	s_delay_alu instid0(VALU_DEP_2) | instskip(NEXT) | instid1(VALU_DEP_1)
	v_clz_i32_u32_e32 v65, v2
	v_min_u32_e32 v65, 32, v65
	s_delay_alu instid0(VALU_DEP_1) | instskip(NEXT) | instid1(VALU_DEP_1)
	v_subrev_nc_u32_e32 v68, 28, v65
	v_lshlrev_b64_e32 v[68:69], v68, v[2:3]
	s_delay_alu instid0(VALU_DEP_1)
	v_dual_sub_nc_u32 v65, 29, v65 :: v_dual_bitop2_b32 v2, 7, v68 bitop3:0x40
; %bb.134:                              ;   in Loop: Header=BB319_9 Depth=1
	s_or_b32 exec_lo, exec_lo, s31
	s_delay_alu instid0(VALU_DEP_1) | instskip(NEXT) | instid1(VALU_DEP_2)
	v_dual_lshlrev_b32 v67, 16, v67 :: v_dual_lshlrev_b32 v2, 20, v2
	v_lshl_add_u32 v65, v65, 23, 0x3c000000
	s_delay_alu instid0(VALU_DEP_2) | instskip(NEXT) | instid1(VALU_DEP_1)
	v_and_b32_e32 v67, 0x80000000, v67
	v_or3_b32 v65, v2, v67, v65
.LBB319_135:                            ;   in Loop: Header=BB319_9 Depth=1
	s_or_b32 exec_lo, exec_lo, s30
.LBB319_136:                            ;   in Loop: Header=BB319_9 Depth=1
	s_delay_alu instid0(SALU_CYCLE_1)
	s_or_b32 exec_lo, exec_lo, s29
.LBB319_137:                            ;   in Loop: Header=BB319_9 Depth=1
	s_delay_alu instid0(SALU_CYCLE_1)
	s_or_b32 exec_lo, exec_lo, s28
	global_load_u16 v2, v[8:9], off offset:512
	v_mov_b32_e32 v67, 0
	s_wait_loadcnt 0x0
	v_and_b32_e32 v68, 0xff, v2
	v_and_b32_e32 v69, 0xffff, v2
	s_delay_alu instid0(VALU_DEP_2)
	v_cmp_ne_u16_e64 s5, 0, v68
	v_mov_b32_e32 v68, 0
	s_and_saveexec_b32 s28, s5
	s_cbranch_execz .LBB319_145
; %bb.138:                              ;   in Loop: Header=BB319_9 Depth=1
	v_and_b32_e32 v2, 0xff, v69
	v_bfrev_b32_e32 v68, 1
	s_mov_b32 s29, exec_lo
	s_delay_alu instid0(VALU_DEP_2)
	v_cmpx_ne_u16_e32 0x80, v2
	s_cbranch_execz .LBB319_144
; %bb.139:                              ;   in Loop: Header=BB319_9 Depth=1
	v_and_b32_e32 v70, 0x7f, v69
	v_mov_b32_e32 v68, 0x7f800001
	s_mov_b32 s30, exec_lo
	s_delay_alu instid0(VALU_DEP_2)
	v_cmpx_ne_u32_e32 0x7f, v70
	s_cbranch_execz .LBB319_143
; %bb.140:                              ;   in Loop: Header=BB319_9 Depth=1
	v_dual_lshrrev_b32 v68, 3, v70 :: v_dual_bitop2_b32 v2, 7, v69 bitop3:0x40
	s_mov_b32 s31, exec_lo
	v_cmpx_gt_u32_e32 8, v70
; %bb.141:                              ;   in Loop: Header=BB319_9 Depth=1
	s_delay_alu instid0(VALU_DEP_2) | instskip(NEXT) | instid1(VALU_DEP_1)
	v_clz_i32_u32_e32 v68, v2
	v_min_u32_e32 v68, 32, v68
	s_delay_alu instid0(VALU_DEP_1) | instskip(NEXT) | instid1(VALU_DEP_1)
	v_subrev_nc_u32_e32 v70, 28, v68
	v_lshlrev_b64_e32 v[70:71], v70, v[2:3]
	s_delay_alu instid0(VALU_DEP_1)
	v_dual_sub_nc_u32 v68, 29, v68 :: v_dual_bitop2_b32 v2, 7, v70 bitop3:0x40
; %bb.142:                              ;   in Loop: Header=BB319_9 Depth=1
	s_or_b32 exec_lo, exec_lo, s31
	s_delay_alu instid0(VALU_DEP_1) | instskip(NEXT) | instid1(VALU_DEP_2)
	v_dual_lshlrev_b32 v70, 24, v69 :: v_dual_lshlrev_b32 v2, 20, v2
	v_lshl_add_u32 v68, v68, 23, 0x3c000000
	s_delay_alu instid0(VALU_DEP_2) | instskip(NEXT) | instid1(VALU_DEP_1)
	v_and_b32_e32 v70, 0x80000000, v70
	v_or3_b32 v68, v2, v70, v68
.LBB319_143:                            ;   in Loop: Header=BB319_9 Depth=1
	s_or_b32 exec_lo, exec_lo, s30
.LBB319_144:                            ;   in Loop: Header=BB319_9 Depth=1
	s_delay_alu instid0(SALU_CYCLE_1)
	s_or_b32 exec_lo, exec_lo, s29
.LBB319_145:                            ;   in Loop: Header=BB319_9 Depth=1
	s_delay_alu instid0(SALU_CYCLE_1) | instskip(SKIP_2) | instid1(VALU_DEP_1)
	s_or_b32 exec_lo, exec_lo, s28
	v_lshrrev_b16 v2, 8, v69
	s_mov_b32 s28, exec_lo
	v_cmpx_ne_u16_e32 0, v2
	s_cbranch_execz .LBB319_153
; %bb.146:                              ;   in Loop: Header=BB319_9 Depth=1
	v_bfrev_b32_e32 v67, 1
	s_mov_b32 s29, exec_lo
	v_cmpx_ne_u16_e32 0x80, v2
	s_cbranch_execz .LBB319_152
; %bb.147:                              ;   in Loop: Header=BB319_9 Depth=1
	v_and_b32_e32 v2, 0xffff, v2
	v_mov_b32_e32 v67, 0x7f800001
	s_mov_b32 s30, exec_lo
	s_delay_alu instid0(VALU_DEP_2) | instskip(NEXT) | instid1(VALU_DEP_1)
	v_and_b32_e32 v70, 0x7f, v2
	v_cmpx_ne_u32_e32 0x7f, v70
	s_cbranch_execz .LBB319_151
; %bb.148:                              ;   in Loop: Header=BB319_9 Depth=1
	v_and_b32_e32 v2, 7, v2
	v_lshrrev_b32_e32 v67, 3, v70
	s_mov_b32 s31, exec_lo
	v_cmpx_gt_u32_e32 8, v70
; %bb.149:                              ;   in Loop: Header=BB319_9 Depth=1
	s_delay_alu instid0(VALU_DEP_3) | instskip(NEXT) | instid1(VALU_DEP_1)
	v_clz_i32_u32_e32 v67, v2
	v_min_u32_e32 v67, 32, v67
	s_delay_alu instid0(VALU_DEP_1) | instskip(NEXT) | instid1(VALU_DEP_1)
	v_subrev_nc_u32_e32 v70, 28, v67
	v_lshlrev_b64_e32 v[70:71], v70, v[2:3]
	s_delay_alu instid0(VALU_DEP_1)
	v_dual_sub_nc_u32 v67, 29, v67 :: v_dual_bitop2_b32 v2, 7, v70 bitop3:0x40
; %bb.150:                              ;   in Loop: Header=BB319_9 Depth=1
	s_or_b32 exec_lo, exec_lo, s31
	s_delay_alu instid0(VALU_DEP_1) | instskip(NEXT) | instid1(VALU_DEP_2)
	v_dual_lshlrev_b32 v69, 16, v69 :: v_dual_lshlrev_b32 v2, 20, v2
	v_lshl_add_u32 v67, v67, 23, 0x3c000000
	s_delay_alu instid0(VALU_DEP_2) | instskip(NEXT) | instid1(VALU_DEP_1)
	v_and_b32_e32 v69, 0x80000000, v69
	v_or3_b32 v67, v2, v69, v67
.LBB319_151:                            ;   in Loop: Header=BB319_9 Depth=1
	s_or_b32 exec_lo, exec_lo, s30
.LBB319_152:                            ;   in Loop: Header=BB319_9 Depth=1
	s_delay_alu instid0(SALU_CYCLE_1)
	s_or_b32 exec_lo, exec_lo, s29
.LBB319_153:                            ;   in Loop: Header=BB319_9 Depth=1
	s_delay_alu instid0(SALU_CYCLE_1)
	s_or_b32 exec_lo, exec_lo, s28
	global_load_u16 v2, v[8:9], off offset:520
	v_mov_b32_e32 v69, 0
	s_wait_loadcnt 0x0
	v_and_b32_e32 v70, 0xff, v2
	v_and_b32_e32 v71, 0xffff, v2
	s_delay_alu instid0(VALU_DEP_2)
	v_cmp_ne_u16_e64 s5, 0, v70
	v_mov_b32_e32 v70, 0
	s_and_saveexec_b32 s28, s5
	s_cbranch_execz .LBB319_161
; %bb.154:                              ;   in Loop: Header=BB319_9 Depth=1
	v_and_b32_e32 v2, 0xff, v71
	v_bfrev_b32_e32 v70, 1
	s_mov_b32 s29, exec_lo
	s_delay_alu instid0(VALU_DEP_2)
	v_cmpx_ne_u16_e32 0x80, v2
	s_cbranch_execz .LBB319_160
; %bb.155:                              ;   in Loop: Header=BB319_9 Depth=1
	v_and_b32_e32 v72, 0x7f, v71
	v_mov_b32_e32 v70, 0x7f800001
	s_mov_b32 s30, exec_lo
	s_delay_alu instid0(VALU_DEP_2)
	v_cmpx_ne_u32_e32 0x7f, v72
	s_cbranch_execz .LBB319_159
; %bb.156:                              ;   in Loop: Header=BB319_9 Depth=1
	v_dual_lshrrev_b32 v70, 3, v72 :: v_dual_bitop2_b32 v2, 7, v71 bitop3:0x40
	s_mov_b32 s31, exec_lo
	v_cmpx_gt_u32_e32 8, v72
; %bb.157:                              ;   in Loop: Header=BB319_9 Depth=1
	s_delay_alu instid0(VALU_DEP_2) | instskip(NEXT) | instid1(VALU_DEP_1)
	v_clz_i32_u32_e32 v70, v2
	v_min_u32_e32 v70, 32, v70
	s_delay_alu instid0(VALU_DEP_1) | instskip(NEXT) | instid1(VALU_DEP_1)
	v_subrev_nc_u32_e32 v72, 28, v70
	v_lshlrev_b64_e32 v[72:73], v72, v[2:3]
	s_delay_alu instid0(VALU_DEP_1)
	v_dual_sub_nc_u32 v70, 29, v70 :: v_dual_bitop2_b32 v2, 7, v72 bitop3:0x40
; %bb.158:                              ;   in Loop: Header=BB319_9 Depth=1
	s_or_b32 exec_lo, exec_lo, s31
	s_delay_alu instid0(VALU_DEP_1) | instskip(NEXT) | instid1(VALU_DEP_2)
	v_dual_lshlrev_b32 v72, 24, v71 :: v_dual_lshlrev_b32 v2, 20, v2
	v_lshl_add_u32 v70, v70, 23, 0x3c000000
	s_delay_alu instid0(VALU_DEP_2) | instskip(NEXT) | instid1(VALU_DEP_1)
	v_and_b32_e32 v72, 0x80000000, v72
	v_or3_b32 v70, v2, v72, v70
.LBB319_159:                            ;   in Loop: Header=BB319_9 Depth=1
	s_or_b32 exec_lo, exec_lo, s30
.LBB319_160:                            ;   in Loop: Header=BB319_9 Depth=1
	s_delay_alu instid0(SALU_CYCLE_1)
	s_or_b32 exec_lo, exec_lo, s29
.LBB319_161:                            ;   in Loop: Header=BB319_9 Depth=1
	s_delay_alu instid0(SALU_CYCLE_1) | instskip(SKIP_2) | instid1(VALU_DEP_1)
	s_or_b32 exec_lo, exec_lo, s28
	v_lshrrev_b16 v2, 8, v71
	s_mov_b32 s28, exec_lo
	v_cmpx_ne_u16_e32 0, v2
	s_cbranch_execz .LBB319_169
; %bb.162:                              ;   in Loop: Header=BB319_9 Depth=1
	v_bfrev_b32_e32 v69, 1
	s_mov_b32 s29, exec_lo
	v_cmpx_ne_u16_e32 0x80, v2
	s_cbranch_execz .LBB319_168
; %bb.163:                              ;   in Loop: Header=BB319_9 Depth=1
	v_and_b32_e32 v2, 0xffff, v2
	v_mov_b32_e32 v69, 0x7f800001
	s_mov_b32 s30, exec_lo
	s_delay_alu instid0(VALU_DEP_2) | instskip(NEXT) | instid1(VALU_DEP_1)
	v_and_b32_e32 v72, 0x7f, v2
	v_cmpx_ne_u32_e32 0x7f, v72
	s_cbranch_execz .LBB319_167
; %bb.164:                              ;   in Loop: Header=BB319_9 Depth=1
	v_dual_lshrrev_b32 v69, 3, v72 :: v_dual_bitop2_b32 v2, 7, v2 bitop3:0x40
	s_mov_b32 s31, exec_lo
	v_cmpx_gt_u32_e32 8, v72
; %bb.165:                              ;   in Loop: Header=BB319_9 Depth=1
	s_delay_alu instid0(VALU_DEP_2) | instskip(NEXT) | instid1(VALU_DEP_1)
	v_clz_i32_u32_e32 v69, v2
	v_min_u32_e32 v69, 32, v69
	s_delay_alu instid0(VALU_DEP_1) | instskip(NEXT) | instid1(VALU_DEP_1)
	v_subrev_nc_u32_e32 v72, 28, v69
	v_lshlrev_b64_e32 v[72:73], v72, v[2:3]
	s_delay_alu instid0(VALU_DEP_1)
	v_dual_sub_nc_u32 v69, 29, v69 :: v_dual_bitop2_b32 v2, 7, v72 bitop3:0x40
; %bb.166:                              ;   in Loop: Header=BB319_9 Depth=1
	s_or_b32 exec_lo, exec_lo, s31
	s_delay_alu instid0(VALU_DEP_1) | instskip(NEXT) | instid1(VALU_DEP_2)
	v_dual_lshlrev_b32 v71, 16, v71 :: v_dual_lshlrev_b32 v2, 20, v2
	v_lshl_add_u32 v69, v69, 23, 0x3c000000
	s_delay_alu instid0(VALU_DEP_2) | instskip(NEXT) | instid1(VALU_DEP_1)
	v_and_b32_e32 v71, 0x80000000, v71
	v_or3_b32 v69, v2, v71, v69
.LBB319_167:                            ;   in Loop: Header=BB319_9 Depth=1
	s_or_b32 exec_lo, exec_lo, s30
.LBB319_168:                            ;   in Loop: Header=BB319_9 Depth=1
	s_delay_alu instid0(SALU_CYCLE_1)
	s_or_b32 exec_lo, exec_lo, s29
.LBB319_169:                            ;   in Loop: Header=BB319_9 Depth=1
	s_delay_alu instid0(SALU_CYCLE_1)
	s_or_b32 exec_lo, exec_lo, s28
	global_load_u16 v2, v[8:9], off offset:640
	v_mov_b32_e32 v71, 0
	s_wait_loadcnt 0x0
	v_and_b32_e32 v72, 0xff, v2
	v_and_b32_e32 v73, 0xffff, v2
	s_delay_alu instid0(VALU_DEP_2)
	v_cmp_ne_u16_e64 s5, 0, v72
	v_mov_b32_e32 v72, 0
	s_and_saveexec_b32 s28, s5
	s_cbranch_execz .LBB319_177
; %bb.170:                              ;   in Loop: Header=BB319_9 Depth=1
	v_and_b32_e32 v2, 0xff, v73
	v_bfrev_b32_e32 v72, 1
	s_mov_b32 s29, exec_lo
	s_delay_alu instid0(VALU_DEP_2)
	v_cmpx_ne_u16_e32 0x80, v2
	s_cbranch_execz .LBB319_176
; %bb.171:                              ;   in Loop: Header=BB319_9 Depth=1
	v_and_b32_e32 v74, 0x7f, v73
	v_mov_b32_e32 v72, 0x7f800001
	s_mov_b32 s30, exec_lo
	s_delay_alu instid0(VALU_DEP_2)
	v_cmpx_ne_u32_e32 0x7f, v74
	s_cbranch_execz .LBB319_175
; %bb.172:                              ;   in Loop: Header=BB319_9 Depth=1
	v_dual_lshrrev_b32 v72, 3, v74 :: v_dual_bitop2_b32 v2, 7, v73 bitop3:0x40
	s_mov_b32 s31, exec_lo
	v_cmpx_gt_u32_e32 8, v74
; %bb.173:                              ;   in Loop: Header=BB319_9 Depth=1
	s_delay_alu instid0(VALU_DEP_2) | instskip(NEXT) | instid1(VALU_DEP_1)
	v_clz_i32_u32_e32 v72, v2
	v_min_u32_e32 v72, 32, v72
	s_delay_alu instid0(VALU_DEP_1) | instskip(NEXT) | instid1(VALU_DEP_1)
	v_subrev_nc_u32_e32 v74, 28, v72
	v_lshlrev_b64_e32 v[74:75], v74, v[2:3]
	s_delay_alu instid0(VALU_DEP_1)
	v_dual_sub_nc_u32 v72, 29, v72 :: v_dual_bitop2_b32 v2, 7, v74 bitop3:0x40
; %bb.174:                              ;   in Loop: Header=BB319_9 Depth=1
	s_or_b32 exec_lo, exec_lo, s31
	s_delay_alu instid0(VALU_DEP_1) | instskip(NEXT) | instid1(VALU_DEP_2)
	v_dual_lshlrev_b32 v74, 24, v73 :: v_dual_lshlrev_b32 v2, 20, v2
	v_lshl_add_u32 v72, v72, 23, 0x3c000000
	s_delay_alu instid0(VALU_DEP_2) | instskip(NEXT) | instid1(VALU_DEP_1)
	v_and_b32_e32 v74, 0x80000000, v74
	v_or3_b32 v72, v2, v74, v72
.LBB319_175:                            ;   in Loop: Header=BB319_9 Depth=1
	s_or_b32 exec_lo, exec_lo, s30
.LBB319_176:                            ;   in Loop: Header=BB319_9 Depth=1
	s_delay_alu instid0(SALU_CYCLE_1)
	s_or_b32 exec_lo, exec_lo, s29
.LBB319_177:                            ;   in Loop: Header=BB319_9 Depth=1
	s_delay_alu instid0(SALU_CYCLE_1) | instskip(SKIP_2) | instid1(VALU_DEP_1)
	s_or_b32 exec_lo, exec_lo, s28
	v_lshrrev_b16 v2, 8, v73
	s_mov_b32 s28, exec_lo
	v_cmpx_ne_u16_e32 0, v2
	s_cbranch_execz .LBB319_185
; %bb.178:                              ;   in Loop: Header=BB319_9 Depth=1
	v_bfrev_b32_e32 v71, 1
	s_mov_b32 s29, exec_lo
	v_cmpx_ne_u16_e32 0x80, v2
	s_cbranch_execz .LBB319_184
; %bb.179:                              ;   in Loop: Header=BB319_9 Depth=1
	v_and_b32_e32 v2, 0xffff, v2
	v_mov_b32_e32 v71, 0x7f800001
	s_mov_b32 s30, exec_lo
	s_delay_alu instid0(VALU_DEP_2) | instskip(NEXT) | instid1(VALU_DEP_1)
	v_and_b32_e32 v74, 0x7f, v2
	v_cmpx_ne_u32_e32 0x7f, v74
	s_cbranch_execz .LBB319_183
; %bb.180:                              ;   in Loop: Header=BB319_9 Depth=1
	v_and_b32_e32 v2, 7, v2
	v_lshrrev_b32_e32 v71, 3, v74
	s_mov_b32 s31, exec_lo
	v_cmpx_gt_u32_e32 8, v74
; %bb.181:                              ;   in Loop: Header=BB319_9 Depth=1
	s_delay_alu instid0(VALU_DEP_3) | instskip(NEXT) | instid1(VALU_DEP_1)
	v_clz_i32_u32_e32 v71, v2
	v_min_u32_e32 v71, 32, v71
	s_delay_alu instid0(VALU_DEP_1) | instskip(NEXT) | instid1(VALU_DEP_1)
	v_subrev_nc_u32_e32 v74, 28, v71
	v_lshlrev_b64_e32 v[74:75], v74, v[2:3]
	s_delay_alu instid0(VALU_DEP_1)
	v_dual_sub_nc_u32 v71, 29, v71 :: v_dual_bitop2_b32 v2, 7, v74 bitop3:0x40
; %bb.182:                              ;   in Loop: Header=BB319_9 Depth=1
	s_or_b32 exec_lo, exec_lo, s31
	s_delay_alu instid0(VALU_DEP_1) | instskip(NEXT) | instid1(VALU_DEP_2)
	v_dual_lshlrev_b32 v73, 16, v73 :: v_dual_lshlrev_b32 v2, 20, v2
	v_lshl_add_u32 v71, v71, 23, 0x3c000000
	s_delay_alu instid0(VALU_DEP_2) | instskip(NEXT) | instid1(VALU_DEP_1)
	v_and_b32_e32 v73, 0x80000000, v73
	v_or3_b32 v71, v2, v73, v71
.LBB319_183:                            ;   in Loop: Header=BB319_9 Depth=1
	s_or_b32 exec_lo, exec_lo, s30
.LBB319_184:                            ;   in Loop: Header=BB319_9 Depth=1
	s_delay_alu instid0(SALU_CYCLE_1)
	s_or_b32 exec_lo, exec_lo, s29
.LBB319_185:                            ;   in Loop: Header=BB319_9 Depth=1
	s_delay_alu instid0(SALU_CYCLE_1)
	s_or_b32 exec_lo, exec_lo, s28
	global_load_u16 v2, v[8:9], off offset:648
	v_mov_b32_e32 v73, 0
	s_wait_loadcnt 0x0
	v_and_b32_e32 v74, 0xff, v2
	v_and_b32_e32 v75, 0xffff, v2
	s_delay_alu instid0(VALU_DEP_2)
	v_cmp_ne_u16_e64 s5, 0, v74
	v_mov_b32_e32 v74, 0
	s_and_saveexec_b32 s28, s5
	s_cbranch_execz .LBB319_193
; %bb.186:                              ;   in Loop: Header=BB319_9 Depth=1
	v_and_b32_e32 v2, 0xff, v75
	v_bfrev_b32_e32 v74, 1
	s_mov_b32 s29, exec_lo
	s_delay_alu instid0(VALU_DEP_2)
	v_cmpx_ne_u16_e32 0x80, v2
	s_cbranch_execz .LBB319_192
; %bb.187:                              ;   in Loop: Header=BB319_9 Depth=1
	v_and_b32_e32 v76, 0x7f, v75
	v_mov_b32_e32 v74, 0x7f800001
	s_mov_b32 s30, exec_lo
	s_delay_alu instid0(VALU_DEP_2)
	v_cmpx_ne_u32_e32 0x7f, v76
	s_cbranch_execz .LBB319_191
; %bb.188:                              ;   in Loop: Header=BB319_9 Depth=1
	v_dual_lshrrev_b32 v74, 3, v76 :: v_dual_bitop2_b32 v2, 7, v75 bitop3:0x40
	s_mov_b32 s31, exec_lo
	v_cmpx_gt_u32_e32 8, v76
; %bb.189:                              ;   in Loop: Header=BB319_9 Depth=1
	s_delay_alu instid0(VALU_DEP_2) | instskip(NEXT) | instid1(VALU_DEP_1)
	v_clz_i32_u32_e32 v74, v2
	v_min_u32_e32 v74, 32, v74
	s_delay_alu instid0(VALU_DEP_1) | instskip(NEXT) | instid1(VALU_DEP_1)
	v_subrev_nc_u32_e32 v76, 28, v74
	v_lshlrev_b64_e32 v[76:77], v76, v[2:3]
	s_delay_alu instid0(VALU_DEP_1)
	v_dual_sub_nc_u32 v74, 29, v74 :: v_dual_bitop2_b32 v2, 7, v76 bitop3:0x40
; %bb.190:                              ;   in Loop: Header=BB319_9 Depth=1
	s_or_b32 exec_lo, exec_lo, s31
	s_delay_alu instid0(VALU_DEP_1) | instskip(NEXT) | instid1(VALU_DEP_2)
	v_dual_lshlrev_b32 v76, 24, v75 :: v_dual_lshlrev_b32 v2, 20, v2
	v_lshl_add_u32 v74, v74, 23, 0x3c000000
	s_delay_alu instid0(VALU_DEP_2) | instskip(NEXT) | instid1(VALU_DEP_1)
	v_and_b32_e32 v76, 0x80000000, v76
	v_or3_b32 v74, v2, v76, v74
.LBB319_191:                            ;   in Loop: Header=BB319_9 Depth=1
	s_or_b32 exec_lo, exec_lo, s30
.LBB319_192:                            ;   in Loop: Header=BB319_9 Depth=1
	s_delay_alu instid0(SALU_CYCLE_1)
	s_or_b32 exec_lo, exec_lo, s29
.LBB319_193:                            ;   in Loop: Header=BB319_9 Depth=1
	s_delay_alu instid0(SALU_CYCLE_1) | instskip(SKIP_2) | instid1(VALU_DEP_1)
	s_or_b32 exec_lo, exec_lo, s28
	v_lshrrev_b16 v2, 8, v75
	s_mov_b32 s28, exec_lo
	v_cmpx_ne_u16_e32 0, v2
	s_cbranch_execz .LBB319_201
; %bb.194:                              ;   in Loop: Header=BB319_9 Depth=1
	v_bfrev_b32_e32 v73, 1
	s_mov_b32 s29, exec_lo
	v_cmpx_ne_u16_e32 0x80, v2
	s_cbranch_execz .LBB319_200
; %bb.195:                              ;   in Loop: Header=BB319_9 Depth=1
	v_and_b32_e32 v2, 0xffff, v2
	v_mov_b32_e32 v73, 0x7f800001
	s_mov_b32 s30, exec_lo
	s_delay_alu instid0(VALU_DEP_2) | instskip(NEXT) | instid1(VALU_DEP_1)
	v_and_b32_e32 v76, 0x7f, v2
	v_cmpx_ne_u32_e32 0x7f, v76
	s_cbranch_execz .LBB319_199
; %bb.196:                              ;   in Loop: Header=BB319_9 Depth=1
	v_dual_lshrrev_b32 v73, 3, v76 :: v_dual_bitop2_b32 v2, 7, v2 bitop3:0x40
	s_mov_b32 s31, exec_lo
	v_cmpx_gt_u32_e32 8, v76
; %bb.197:                              ;   in Loop: Header=BB319_9 Depth=1
	s_delay_alu instid0(VALU_DEP_2) | instskip(NEXT) | instid1(VALU_DEP_1)
	v_clz_i32_u32_e32 v73, v2
	v_min_u32_e32 v73, 32, v73
	s_delay_alu instid0(VALU_DEP_1) | instskip(NEXT) | instid1(VALU_DEP_1)
	v_subrev_nc_u32_e32 v76, 28, v73
	v_lshlrev_b64_e32 v[76:77], v76, v[2:3]
	s_delay_alu instid0(VALU_DEP_1)
	v_dual_sub_nc_u32 v73, 29, v73 :: v_dual_bitop2_b32 v2, 7, v76 bitop3:0x40
; %bb.198:                              ;   in Loop: Header=BB319_9 Depth=1
	s_or_b32 exec_lo, exec_lo, s31
	s_delay_alu instid0(VALU_DEP_1) | instskip(NEXT) | instid1(VALU_DEP_2)
	v_dual_lshlrev_b32 v75, 16, v75 :: v_dual_lshlrev_b32 v2, 20, v2
	v_lshl_add_u32 v73, v73, 23, 0x3c000000
	s_delay_alu instid0(VALU_DEP_2) | instskip(NEXT) | instid1(VALU_DEP_1)
	v_and_b32_e32 v75, 0x80000000, v75
	v_or3_b32 v73, v2, v75, v73
.LBB319_199:                            ;   in Loop: Header=BB319_9 Depth=1
	s_or_b32 exec_lo, exec_lo, s30
.LBB319_200:                            ;   in Loop: Header=BB319_9 Depth=1
	s_delay_alu instid0(SALU_CYCLE_1)
	s_or_b32 exec_lo, exec_lo, s29
.LBB319_201:                            ;   in Loop: Header=BB319_9 Depth=1
	s_delay_alu instid0(SALU_CYCLE_1)
	s_or_b32 exec_lo, exec_lo, s28
	global_load_u16 v2, v[8:9], off offset:768
	v_mov_b32_e32 v75, 0
	s_wait_loadcnt 0x0
	v_and_b32_e32 v76, 0xff, v2
	v_and_b32_e32 v77, 0xffff, v2
	s_delay_alu instid0(VALU_DEP_2)
	v_cmp_ne_u16_e64 s5, 0, v76
	v_mov_b32_e32 v76, 0
	s_and_saveexec_b32 s28, s5
	s_cbranch_execz .LBB319_209
; %bb.202:                              ;   in Loop: Header=BB319_9 Depth=1
	v_and_b32_e32 v2, 0xff, v77
	v_bfrev_b32_e32 v76, 1
	s_mov_b32 s29, exec_lo
	s_delay_alu instid0(VALU_DEP_2)
	v_cmpx_ne_u16_e32 0x80, v2
	s_cbranch_execz .LBB319_208
; %bb.203:                              ;   in Loop: Header=BB319_9 Depth=1
	v_and_b32_e32 v78, 0x7f, v77
	v_mov_b32_e32 v76, 0x7f800001
	s_mov_b32 s30, exec_lo
	s_delay_alu instid0(VALU_DEP_2)
	v_cmpx_ne_u32_e32 0x7f, v78
	s_cbranch_execz .LBB319_207
; %bb.204:                              ;   in Loop: Header=BB319_9 Depth=1
	v_dual_lshrrev_b32 v76, 3, v78 :: v_dual_bitop2_b32 v2, 7, v77 bitop3:0x40
	s_mov_b32 s31, exec_lo
	v_cmpx_gt_u32_e32 8, v78
; %bb.205:                              ;   in Loop: Header=BB319_9 Depth=1
	s_delay_alu instid0(VALU_DEP_2) | instskip(NEXT) | instid1(VALU_DEP_1)
	v_clz_i32_u32_e32 v76, v2
	v_min_u32_e32 v76, 32, v76
	s_delay_alu instid0(VALU_DEP_1) | instskip(NEXT) | instid1(VALU_DEP_1)
	v_subrev_nc_u32_e32 v78, 28, v76
	v_lshlrev_b64_e32 v[78:79], v78, v[2:3]
	s_delay_alu instid0(VALU_DEP_1)
	v_dual_sub_nc_u32 v76, 29, v76 :: v_dual_bitop2_b32 v2, 7, v78 bitop3:0x40
; %bb.206:                              ;   in Loop: Header=BB319_9 Depth=1
	s_or_b32 exec_lo, exec_lo, s31
	s_delay_alu instid0(VALU_DEP_1) | instskip(NEXT) | instid1(VALU_DEP_2)
	v_dual_lshlrev_b32 v78, 24, v77 :: v_dual_lshlrev_b32 v2, 20, v2
	v_lshl_add_u32 v76, v76, 23, 0x3c000000
	s_delay_alu instid0(VALU_DEP_2) | instskip(NEXT) | instid1(VALU_DEP_1)
	v_and_b32_e32 v78, 0x80000000, v78
	v_or3_b32 v76, v2, v78, v76
.LBB319_207:                            ;   in Loop: Header=BB319_9 Depth=1
	s_or_b32 exec_lo, exec_lo, s30
.LBB319_208:                            ;   in Loop: Header=BB319_9 Depth=1
	s_delay_alu instid0(SALU_CYCLE_1)
	s_or_b32 exec_lo, exec_lo, s29
.LBB319_209:                            ;   in Loop: Header=BB319_9 Depth=1
	s_delay_alu instid0(SALU_CYCLE_1) | instskip(SKIP_2) | instid1(VALU_DEP_1)
	s_or_b32 exec_lo, exec_lo, s28
	v_lshrrev_b16 v2, 8, v77
	s_mov_b32 s28, exec_lo
	v_cmpx_ne_u16_e32 0, v2
	s_cbranch_execz .LBB319_217
; %bb.210:                              ;   in Loop: Header=BB319_9 Depth=1
	v_bfrev_b32_e32 v75, 1
	s_mov_b32 s29, exec_lo
	v_cmpx_ne_u16_e32 0x80, v2
	s_cbranch_execz .LBB319_216
; %bb.211:                              ;   in Loop: Header=BB319_9 Depth=1
	v_and_b32_e32 v2, 0xffff, v2
	v_mov_b32_e32 v75, 0x7f800001
	s_mov_b32 s30, exec_lo
	s_delay_alu instid0(VALU_DEP_2) | instskip(NEXT) | instid1(VALU_DEP_1)
	v_and_b32_e32 v78, 0x7f, v2
	v_cmpx_ne_u32_e32 0x7f, v78
	s_cbranch_execz .LBB319_215
; %bb.212:                              ;   in Loop: Header=BB319_9 Depth=1
	v_and_b32_e32 v2, 7, v2
	v_lshrrev_b32_e32 v75, 3, v78
	s_mov_b32 s31, exec_lo
	v_cmpx_gt_u32_e32 8, v78
; %bb.213:                              ;   in Loop: Header=BB319_9 Depth=1
	s_delay_alu instid0(VALU_DEP_3) | instskip(NEXT) | instid1(VALU_DEP_1)
	v_clz_i32_u32_e32 v75, v2
	v_min_u32_e32 v75, 32, v75
	s_delay_alu instid0(VALU_DEP_1) | instskip(NEXT) | instid1(VALU_DEP_1)
	v_subrev_nc_u32_e32 v78, 28, v75
	v_lshlrev_b64_e32 v[78:79], v78, v[2:3]
	s_delay_alu instid0(VALU_DEP_1)
	v_dual_sub_nc_u32 v75, 29, v75 :: v_dual_bitop2_b32 v2, 7, v78 bitop3:0x40
; %bb.214:                              ;   in Loop: Header=BB319_9 Depth=1
	s_or_b32 exec_lo, exec_lo, s31
	s_delay_alu instid0(VALU_DEP_1) | instskip(NEXT) | instid1(VALU_DEP_2)
	v_dual_lshlrev_b32 v77, 16, v77 :: v_dual_lshlrev_b32 v2, 20, v2
	v_lshl_add_u32 v75, v75, 23, 0x3c000000
	s_delay_alu instid0(VALU_DEP_2) | instskip(NEXT) | instid1(VALU_DEP_1)
	v_and_b32_e32 v77, 0x80000000, v77
	v_or3_b32 v75, v2, v77, v75
.LBB319_215:                            ;   in Loop: Header=BB319_9 Depth=1
	s_or_b32 exec_lo, exec_lo, s30
.LBB319_216:                            ;   in Loop: Header=BB319_9 Depth=1
	s_delay_alu instid0(SALU_CYCLE_1)
	s_or_b32 exec_lo, exec_lo, s29
.LBB319_217:                            ;   in Loop: Header=BB319_9 Depth=1
	s_delay_alu instid0(SALU_CYCLE_1)
	s_or_b32 exec_lo, exec_lo, s28
	global_load_u16 v2, v[8:9], off offset:776
	v_mov_b32_e32 v77, 0
	s_wait_loadcnt 0x0
	v_and_b32_e32 v78, 0xff, v2
	v_and_b32_e32 v79, 0xffff, v2
	s_delay_alu instid0(VALU_DEP_2)
	v_cmp_ne_u16_e64 s5, 0, v78
	v_mov_b32_e32 v78, 0
	s_and_saveexec_b32 s28, s5
	s_cbranch_execz .LBB319_225
; %bb.218:                              ;   in Loop: Header=BB319_9 Depth=1
	v_and_b32_e32 v2, 0xff, v79
	v_bfrev_b32_e32 v78, 1
	s_mov_b32 s29, exec_lo
	s_delay_alu instid0(VALU_DEP_2)
	v_cmpx_ne_u16_e32 0x80, v2
	s_cbranch_execz .LBB319_224
; %bb.219:                              ;   in Loop: Header=BB319_9 Depth=1
	v_and_b32_e32 v80, 0x7f, v79
	v_mov_b32_e32 v78, 0x7f800001
	s_mov_b32 s30, exec_lo
	s_delay_alu instid0(VALU_DEP_2)
	v_cmpx_ne_u32_e32 0x7f, v80
	s_cbranch_execz .LBB319_223
; %bb.220:                              ;   in Loop: Header=BB319_9 Depth=1
	v_dual_lshrrev_b32 v78, 3, v80 :: v_dual_bitop2_b32 v2, 7, v79 bitop3:0x40
	s_mov_b32 s31, exec_lo
	v_cmpx_gt_u32_e32 8, v80
; %bb.221:                              ;   in Loop: Header=BB319_9 Depth=1
	s_delay_alu instid0(VALU_DEP_2) | instskip(NEXT) | instid1(VALU_DEP_1)
	v_clz_i32_u32_e32 v78, v2
	v_min_u32_e32 v78, 32, v78
	s_delay_alu instid0(VALU_DEP_1) | instskip(NEXT) | instid1(VALU_DEP_1)
	v_subrev_nc_u32_e32 v80, 28, v78
	v_lshlrev_b64_e32 v[80:81], v80, v[2:3]
	s_delay_alu instid0(VALU_DEP_1)
	v_dual_sub_nc_u32 v78, 29, v78 :: v_dual_bitop2_b32 v2, 7, v80 bitop3:0x40
; %bb.222:                              ;   in Loop: Header=BB319_9 Depth=1
	s_or_b32 exec_lo, exec_lo, s31
	s_delay_alu instid0(VALU_DEP_1) | instskip(NEXT) | instid1(VALU_DEP_2)
	v_dual_lshlrev_b32 v80, 24, v79 :: v_dual_lshlrev_b32 v2, 20, v2
	v_lshl_add_u32 v78, v78, 23, 0x3c000000
	s_delay_alu instid0(VALU_DEP_2) | instskip(NEXT) | instid1(VALU_DEP_1)
	v_and_b32_e32 v80, 0x80000000, v80
	v_or3_b32 v78, v2, v80, v78
.LBB319_223:                            ;   in Loop: Header=BB319_9 Depth=1
	s_or_b32 exec_lo, exec_lo, s30
.LBB319_224:                            ;   in Loop: Header=BB319_9 Depth=1
	s_delay_alu instid0(SALU_CYCLE_1)
	s_or_b32 exec_lo, exec_lo, s29
.LBB319_225:                            ;   in Loop: Header=BB319_9 Depth=1
	s_delay_alu instid0(SALU_CYCLE_1) | instskip(SKIP_2) | instid1(VALU_DEP_1)
	s_or_b32 exec_lo, exec_lo, s28
	v_lshrrev_b16 v2, 8, v79
	s_mov_b32 s28, exec_lo
	v_cmpx_ne_u16_e32 0, v2
	s_cbranch_execz .LBB319_233
; %bb.226:                              ;   in Loop: Header=BB319_9 Depth=1
	v_bfrev_b32_e32 v77, 1
	s_mov_b32 s29, exec_lo
	v_cmpx_ne_u16_e32 0x80, v2
	s_cbranch_execz .LBB319_232
; %bb.227:                              ;   in Loop: Header=BB319_9 Depth=1
	v_and_b32_e32 v2, 0xffff, v2
	v_mov_b32_e32 v77, 0x7f800001
	s_mov_b32 s30, exec_lo
	s_delay_alu instid0(VALU_DEP_2) | instskip(NEXT) | instid1(VALU_DEP_1)
	v_and_b32_e32 v80, 0x7f, v2
	v_cmpx_ne_u32_e32 0x7f, v80
	s_cbranch_execz .LBB319_231
; %bb.228:                              ;   in Loop: Header=BB319_9 Depth=1
	v_dual_lshrrev_b32 v77, 3, v80 :: v_dual_bitop2_b32 v2, 7, v2 bitop3:0x40
	s_mov_b32 s31, exec_lo
	v_cmpx_gt_u32_e32 8, v80
; %bb.229:                              ;   in Loop: Header=BB319_9 Depth=1
	s_delay_alu instid0(VALU_DEP_2) | instskip(NEXT) | instid1(VALU_DEP_1)
	v_clz_i32_u32_e32 v77, v2
	v_min_u32_e32 v77, 32, v77
	s_delay_alu instid0(VALU_DEP_1) | instskip(NEXT) | instid1(VALU_DEP_1)
	v_subrev_nc_u32_e32 v80, 28, v77
	v_lshlrev_b64_e32 v[80:81], v80, v[2:3]
	s_delay_alu instid0(VALU_DEP_1)
	v_dual_sub_nc_u32 v77, 29, v77 :: v_dual_bitop2_b32 v2, 7, v80 bitop3:0x40
; %bb.230:                              ;   in Loop: Header=BB319_9 Depth=1
	s_or_b32 exec_lo, exec_lo, s31
	s_delay_alu instid0(VALU_DEP_1) | instskip(NEXT) | instid1(VALU_DEP_2)
	v_dual_lshlrev_b32 v79, 16, v79 :: v_dual_lshlrev_b32 v2, 20, v2
	v_lshl_add_u32 v77, v77, 23, 0x3c000000
	s_delay_alu instid0(VALU_DEP_2) | instskip(NEXT) | instid1(VALU_DEP_1)
	v_and_b32_e32 v79, 0x80000000, v79
	v_or3_b32 v77, v2, v79, v77
.LBB319_231:                            ;   in Loop: Header=BB319_9 Depth=1
	s_or_b32 exec_lo, exec_lo, s30
.LBB319_232:                            ;   in Loop: Header=BB319_9 Depth=1
	s_delay_alu instid0(SALU_CYCLE_1)
	s_or_b32 exec_lo, exec_lo, s29
.LBB319_233:                            ;   in Loop: Header=BB319_9 Depth=1
	s_delay_alu instid0(SALU_CYCLE_1)
	s_or_b32 exec_lo, exec_lo, s28
	global_load_u16 v2, v[8:9], off offset:896
	v_mov_b32_e32 v79, 0
	s_wait_loadcnt 0x0
	v_and_b32_e32 v80, 0xff, v2
	v_and_b32_e32 v81, 0xffff, v2
	s_delay_alu instid0(VALU_DEP_2)
	v_cmp_ne_u16_e64 s5, 0, v80
	v_mov_b32_e32 v80, 0
	s_and_saveexec_b32 s28, s5
	s_cbranch_execz .LBB319_241
; %bb.234:                              ;   in Loop: Header=BB319_9 Depth=1
	v_and_b32_e32 v2, 0xff, v81
	v_bfrev_b32_e32 v80, 1
	s_mov_b32 s29, exec_lo
	s_delay_alu instid0(VALU_DEP_2)
	v_cmpx_ne_u16_e32 0x80, v2
	s_cbranch_execz .LBB319_240
; %bb.235:                              ;   in Loop: Header=BB319_9 Depth=1
	v_and_b32_e32 v82, 0x7f, v81
	v_mov_b32_e32 v80, 0x7f800001
	s_mov_b32 s30, exec_lo
	s_delay_alu instid0(VALU_DEP_2)
	v_cmpx_ne_u32_e32 0x7f, v82
	s_cbranch_execz .LBB319_239
; %bb.236:                              ;   in Loop: Header=BB319_9 Depth=1
	v_dual_lshrrev_b32 v80, 3, v82 :: v_dual_bitop2_b32 v2, 7, v81 bitop3:0x40
	s_mov_b32 s31, exec_lo
	v_cmpx_gt_u32_e32 8, v82
; %bb.237:                              ;   in Loop: Header=BB319_9 Depth=1
	s_delay_alu instid0(VALU_DEP_2) | instskip(NEXT) | instid1(VALU_DEP_1)
	v_clz_i32_u32_e32 v80, v2
	v_min_u32_e32 v80, 32, v80
	s_delay_alu instid0(VALU_DEP_1) | instskip(NEXT) | instid1(VALU_DEP_1)
	v_subrev_nc_u32_e32 v82, 28, v80
	v_lshlrev_b64_e32 v[82:83], v82, v[2:3]
	s_delay_alu instid0(VALU_DEP_1)
	v_dual_sub_nc_u32 v80, 29, v80 :: v_dual_bitop2_b32 v2, 7, v82 bitop3:0x40
; %bb.238:                              ;   in Loop: Header=BB319_9 Depth=1
	s_or_b32 exec_lo, exec_lo, s31
	s_delay_alu instid0(VALU_DEP_1) | instskip(NEXT) | instid1(VALU_DEP_2)
	v_dual_lshlrev_b32 v82, 24, v81 :: v_dual_lshlrev_b32 v2, 20, v2
	v_lshl_add_u32 v80, v80, 23, 0x3c000000
	s_delay_alu instid0(VALU_DEP_2) | instskip(NEXT) | instid1(VALU_DEP_1)
	v_and_b32_e32 v82, 0x80000000, v82
	v_or3_b32 v80, v2, v82, v80
.LBB319_239:                            ;   in Loop: Header=BB319_9 Depth=1
	s_or_b32 exec_lo, exec_lo, s30
.LBB319_240:                            ;   in Loop: Header=BB319_9 Depth=1
	s_delay_alu instid0(SALU_CYCLE_1)
	s_or_b32 exec_lo, exec_lo, s29
.LBB319_241:                            ;   in Loop: Header=BB319_9 Depth=1
	s_delay_alu instid0(SALU_CYCLE_1) | instskip(SKIP_2) | instid1(VALU_DEP_1)
	s_or_b32 exec_lo, exec_lo, s28
	v_lshrrev_b16 v2, 8, v81
	s_mov_b32 s28, exec_lo
	v_cmpx_ne_u16_e32 0, v2
	s_cbranch_execz .LBB319_249
; %bb.242:                              ;   in Loop: Header=BB319_9 Depth=1
	v_bfrev_b32_e32 v79, 1
	s_mov_b32 s29, exec_lo
	v_cmpx_ne_u16_e32 0x80, v2
	s_cbranch_execz .LBB319_248
; %bb.243:                              ;   in Loop: Header=BB319_9 Depth=1
	v_and_b32_e32 v2, 0xffff, v2
	v_mov_b32_e32 v79, 0x7f800001
	s_mov_b32 s30, exec_lo
	s_delay_alu instid0(VALU_DEP_2) | instskip(NEXT) | instid1(VALU_DEP_1)
	v_and_b32_e32 v82, 0x7f, v2
	v_cmpx_ne_u32_e32 0x7f, v82
	s_cbranch_execz .LBB319_247
; %bb.244:                              ;   in Loop: Header=BB319_9 Depth=1
	v_and_b32_e32 v2, 7, v2
	v_lshrrev_b32_e32 v79, 3, v82
	s_mov_b32 s31, exec_lo
	v_cmpx_gt_u32_e32 8, v82
; %bb.245:                              ;   in Loop: Header=BB319_9 Depth=1
	s_delay_alu instid0(VALU_DEP_3) | instskip(NEXT) | instid1(VALU_DEP_1)
	v_clz_i32_u32_e32 v79, v2
	v_min_u32_e32 v79, 32, v79
	s_delay_alu instid0(VALU_DEP_1) | instskip(NEXT) | instid1(VALU_DEP_1)
	v_subrev_nc_u32_e32 v82, 28, v79
	v_lshlrev_b64_e32 v[82:83], v82, v[2:3]
	s_delay_alu instid0(VALU_DEP_1)
	v_dual_sub_nc_u32 v79, 29, v79 :: v_dual_bitop2_b32 v2, 7, v82 bitop3:0x40
; %bb.246:                              ;   in Loop: Header=BB319_9 Depth=1
	s_or_b32 exec_lo, exec_lo, s31
	s_delay_alu instid0(VALU_DEP_1) | instskip(NEXT) | instid1(VALU_DEP_2)
	v_dual_lshlrev_b32 v81, 16, v81 :: v_dual_lshlrev_b32 v2, 20, v2
	v_lshl_add_u32 v79, v79, 23, 0x3c000000
	s_delay_alu instid0(VALU_DEP_2) | instskip(NEXT) | instid1(VALU_DEP_1)
	v_and_b32_e32 v81, 0x80000000, v81
	v_or3_b32 v79, v2, v81, v79
.LBB319_247:                            ;   in Loop: Header=BB319_9 Depth=1
	s_or_b32 exec_lo, exec_lo, s30
.LBB319_248:                            ;   in Loop: Header=BB319_9 Depth=1
	s_delay_alu instid0(SALU_CYCLE_1)
	s_or_b32 exec_lo, exec_lo, s29
.LBB319_249:                            ;   in Loop: Header=BB319_9 Depth=1
	s_delay_alu instid0(SALU_CYCLE_1)
	s_or_b32 exec_lo, exec_lo, s28
	global_load_u16 v2, v[8:9], off offset:904
	s_wait_xcnt 0x0
	v_mov_b32_e32 v8, 0
	s_wait_loadcnt 0x0
	v_and_b32_e32 v9, 0xff, v2
	v_and_b32_e32 v81, 0xffff, v2
	s_delay_alu instid0(VALU_DEP_2)
	v_cmp_ne_u16_e64 s5, 0, v9
	v_mov_b32_e32 v9, 0
	s_and_saveexec_b32 s28, s5
	s_cbranch_execz .LBB319_257
; %bb.250:                              ;   in Loop: Header=BB319_9 Depth=1
	v_and_b32_e32 v2, 0xff, v81
	v_bfrev_b32_e32 v9, 1
	s_mov_b32 s29, exec_lo
	s_delay_alu instid0(VALU_DEP_2)
	v_cmpx_ne_u16_e32 0x80, v2
	s_cbranch_execz .LBB319_256
; %bb.251:                              ;   in Loop: Header=BB319_9 Depth=1
	v_and_b32_e32 v82, 0x7f, v81
	v_mov_b32_e32 v9, 0x7f800001
	s_mov_b32 s30, exec_lo
	s_delay_alu instid0(VALU_DEP_2)
	v_cmpx_ne_u32_e32 0x7f, v82
	s_cbranch_execz .LBB319_255
; %bb.252:                              ;   in Loop: Header=BB319_9 Depth=1
	v_dual_lshrrev_b32 v9, 3, v82 :: v_dual_bitop2_b32 v2, 7, v81 bitop3:0x40
	s_mov_b32 s31, exec_lo
	v_cmpx_gt_u32_e32 8, v82
; %bb.253:                              ;   in Loop: Header=BB319_9 Depth=1
	s_delay_alu instid0(VALU_DEP_2) | instskip(NEXT) | instid1(VALU_DEP_1)
	v_clz_i32_u32_e32 v9, v2
	v_min_u32_e32 v9, 32, v9
	s_delay_alu instid0(VALU_DEP_1) | instskip(NEXT) | instid1(VALU_DEP_1)
	v_subrev_nc_u32_e32 v82, 28, v9
	v_lshlrev_b64_e32 v[82:83], v82, v[2:3]
	s_delay_alu instid0(VALU_DEP_1)
	v_dual_sub_nc_u32 v9, 29, v9 :: v_dual_bitop2_b32 v2, 7, v82 bitop3:0x40
; %bb.254:                              ;   in Loop: Header=BB319_9 Depth=1
	s_or_b32 exec_lo, exec_lo, s31
	s_delay_alu instid0(VALU_DEP_1) | instskip(NEXT) | instid1(VALU_DEP_2)
	v_dual_lshlrev_b32 v82, 24, v81 :: v_dual_lshlrev_b32 v2, 20, v2
	v_lshl_add_u32 v9, v9, 23, 0x3c000000
	s_delay_alu instid0(VALU_DEP_2) | instskip(NEXT) | instid1(VALU_DEP_1)
	v_and_b32_e32 v82, 0x80000000, v82
	v_or3_b32 v9, v2, v82, v9
.LBB319_255:                            ;   in Loop: Header=BB319_9 Depth=1
	s_or_b32 exec_lo, exec_lo, s30
.LBB319_256:                            ;   in Loop: Header=BB319_9 Depth=1
	s_delay_alu instid0(SALU_CYCLE_1)
	s_or_b32 exec_lo, exec_lo, s29
.LBB319_257:                            ;   in Loop: Header=BB319_9 Depth=1
	s_delay_alu instid0(SALU_CYCLE_1) | instskip(SKIP_2) | instid1(VALU_DEP_1)
	s_or_b32 exec_lo, exec_lo, s28
	v_lshrrev_b16 v2, 8, v81
	s_mov_b32 s28, exec_lo
	v_cmpx_ne_u16_e32 0, v2
	s_cbranch_execz .LBB319_265
; %bb.258:                              ;   in Loop: Header=BB319_9 Depth=1
	v_bfrev_b32_e32 v8, 1
	s_mov_b32 s29, exec_lo
	v_cmpx_ne_u16_e32 0x80, v2
	s_cbranch_execz .LBB319_264
; %bb.259:                              ;   in Loop: Header=BB319_9 Depth=1
	v_and_b32_e32 v2, 0xffff, v2
	v_mov_b32_e32 v8, 0x7f800001
	s_mov_b32 s30, exec_lo
	s_delay_alu instid0(VALU_DEP_2) | instskip(NEXT) | instid1(VALU_DEP_1)
	v_and_b32_e32 v82, 0x7f, v2
	v_cmpx_ne_u32_e32 0x7f, v82
	s_cbranch_execz .LBB319_263
; %bb.260:                              ;   in Loop: Header=BB319_9 Depth=1
	v_and_b32_e32 v2, 7, v2
	v_lshrrev_b32_e32 v8, 3, v82
	s_mov_b32 s31, exec_lo
	v_cmpx_gt_u32_e32 8, v82
; %bb.261:                              ;   in Loop: Header=BB319_9 Depth=1
	s_delay_alu instid0(VALU_DEP_3) | instskip(NEXT) | instid1(VALU_DEP_1)
	v_clz_i32_u32_e32 v8, v2
	v_min_u32_e32 v8, 32, v8
	s_delay_alu instid0(VALU_DEP_1) | instskip(NEXT) | instid1(VALU_DEP_1)
	v_subrev_nc_u32_e32 v82, 28, v8
	v_lshlrev_b64_e32 v[82:83], v82, v[2:3]
	s_delay_alu instid0(VALU_DEP_1)
	v_dual_sub_nc_u32 v8, 29, v8 :: v_dual_bitop2_b32 v2, 7, v82 bitop3:0x40
; %bb.262:                              ;   in Loop: Header=BB319_9 Depth=1
	s_or_b32 exec_lo, exec_lo, s31
	s_delay_alu instid0(VALU_DEP_1) | instskip(NEXT) | instid1(VALU_DEP_2)
	v_dual_lshlrev_b32 v81, 16, v81 :: v_dual_lshlrev_b32 v2, 20, v2
	v_lshl_add_u32 v8, v8, 23, 0x3c000000
	s_delay_alu instid0(VALU_DEP_2) | instskip(NEXT) | instid1(VALU_DEP_1)
	v_and_b32_e32 v81, 0x80000000, v81
	v_or3_b32 v8, v2, v81, v8
.LBB319_263:                            ;   in Loop: Header=BB319_9 Depth=1
	s_or_b32 exec_lo, exec_lo, s30
.LBB319_264:                            ;   in Loop: Header=BB319_9 Depth=1
	s_delay_alu instid0(SALU_CYCLE_1)
	s_or_b32 exec_lo, exec_lo, s29
.LBB319_265:                            ;   in Loop: Header=BB319_9 Depth=1
	s_delay_alu instid0(SALU_CYCLE_1)
	s_or_b32 exec_lo, exec_lo, s28
	s_wait_kmcnt 0x0
	v_fma_mixlo_bf16 v2, s10, v54, 0
	v_fma_mixlo_bf16 v53, s10, v53, 0
	;; [unrolled: 1-line block ×5, first 2 shown]
	s_delay_alu instid0(VALU_DEP_4) | instskip(SKIP_3) | instid1(VALU_DEP_4)
	v_dual_lshlrev_b32 v2, 16, v2 :: v_dual_lshlrev_b32 v53, 16, v53
	v_fma_mixlo_bf16 v55, s10, v56, 0
	v_fma_mixlo_bf16 v9, s10, v9, 0
	;; [unrolled: 1-line block ×3, first 2 shown]
	v_dual_mul_f32 v2, v14, v2 :: v_dual_mul_f32 v53, v15, v53
	s_delay_alu instid0(VALU_DEP_1) | instskip(NEXT) | instid1(VALU_DEP_2)
	v_fma_mix_f32_bf16 v2, v12, v52, v2 op_sel_hi:[0,1,0]
	v_fma_mix_f32_bf16 v51, v13, v51, v53 op_sel_hi:[0,1,0]
	v_fma_mixlo_bf16 v52, s10, v57, 0
	v_fma_mixlo_bf16 v53, s10, v58, 0
	s_delay_alu instid0(VALU_DEP_4) | instskip(NEXT) | instid1(VALU_DEP_4)
	v_fma_mix_f32_bf16 v2, v16, v55, v2 op_sel_hi:[0,1,0]
	v_fma_mix_f32_bf16 v51, v17, v54, v51 op_sel_hi:[0,1,0]
	v_fma_mixlo_bf16 v54, s10, v59, 0
	v_fma_mixlo_bf16 v55, s10, v60, 0
	s_delay_alu instid0(VALU_DEP_4) | instskip(NEXT) | instid1(VALU_DEP_4)
	;; [unrolled: 5-line block ×12, first 2 shown]
	v_fma_mix_f32_bf16 v2, v39, v53, v2 op_sel_hi:[0,1,0]
	v_fma_mix_f32_bf16 v51, v40, v52, v51 op_sel_hi:[0,1,0]
	s_delay_alu instid0(VALU_DEP_2) | instskip(NEXT) | instid1(VALU_DEP_2)
	v_fma_mix_f32_bf16 v2, v41, v55, v2 op_sel_hi:[0,1,0]
	v_fma_mix_f32_bf16 v51, v42, v54, v51 op_sel_hi:[0,1,0]
	s_delay_alu instid0(VALU_DEP_2) | instskip(NEXT) | instid1(VALU_DEP_2)
	v_fma_mix_f32_bf16 v2, v44, v9, v2 op_sel_hi:[0,1,0]
	v_fma_mix_f32_bf16 v8, v45, v8, v51 op_sel_hi:[0,1,0]
	s_delay_alu instid0(VALU_DEP_1)
	v_add_f32_e32 v2, v2, v8
	ds_bpermute_b32 v8, v46, v2
	s_wait_dscnt 0x0
	v_add_f32_e32 v2, v2, v8
	ds_bpermute_b32 v8, v47, v2
	s_and_saveexec_b32 s28, vcc_lo
	s_cbranch_execz .LBB319_8
; %bb.266:                              ;   in Loop: Header=BB319_9 Depth=1
	s_wait_dscnt 0x0
	v_add_f32_e32 v2, v2, v8
	v_add_nc_u32_e32 v9, s27, v48
	v_cmp_gt_i32_e64 s5, s25, v48
	s_delay_alu instid0(VALU_DEP_2) | instskip(NEXT) | instid1(VALU_DEP_1)
	v_cvt_f32_i32_e32 v9, v9
	v_mul_f32_e32 v9, s20, v9
	s_delay_alu instid0(VALU_DEP_1) | instskip(NEXT) | instid1(VALU_DEP_1)
	v_dual_cndmask_b32 v8, 0, v9, s4 :: v_dual_max_num_f32 v9, v43, v43
	v_fmac_f32_e32 v8, s11, v2
	s_delay_alu instid0(VALU_DEP_1) | instskip(NEXT) | instid1(VALU_DEP_1)
	v_dual_max_num_f32 v2, v9, v8 :: v_dual_cndmask_b32 v8, 0, v8, s5
	v_cndmask_b32_e64 v43, v43, v2, s5
	ds_store_b32 v49, v8
	s_branch .LBB319_8
.LBB319_267:
	s_or_b32 exec_lo, exec_lo, s19
.LBB319_268:
	s_delay_alu instid0(SALU_CYCLE_1)
	s_or_b32 exec_lo, exec_lo, s21
	v_dual_max_num_f32 v6, v43, v43 :: v_dual_bitop2_b32 v2, 16, v10 bitop3:0x14
	v_xor_b32_e32 v5, 8, v10
	s_clause 0x1
	s_load_b64 s[10:11], s[0:1], 0x0
	s_load_b64 s[20:21], s[0:1], 0x18
	v_and_b32_e32 v26, 31, v0
	v_cmp_lt_i32_e32 vcc_lo, v2, v11
	v_cndmask_b32_e32 v2, v10, v2, vcc_lo
	v_cmp_lt_i32_e32 vcc_lo, v5, v11
	s_delay_alu instid0(VALU_DEP_2) | instskip(SKIP_3) | instid1(VALU_DEP_1)
	v_dual_cndmask_b32 v5, v10, v5 :: v_dual_lshlrev_b32 v2, 2, v2
	ds_bpermute_b32 v4, v2, v43
	s_wait_dscnt 0x0
	v_dual_max_num_f32 v7, v4, v4 :: v_dual_lshlrev_b32 v4, 2, v5
	v_dual_max_num_f32 v5, v6, v7 :: v_dual_bitop2_b32 v7, 4, v10 bitop3:0x14
	ds_bpermute_b32 v6, v4, v5
	s_wait_dscnt 0x0
	v_max_num_f32_e32 v6, v6, v6
	s_delay_alu instid0(VALU_DEP_1) | instskip(SKIP_3) | instid1(VALU_DEP_2)
	v_dual_max_num_f32 v6, v5, v6 :: v_dual_lshlrev_b32 v5, 2, v1
	v_cmp_lt_i32_e32 vcc_lo, v7, v11
	v_cndmask_b32_e32 v7, v10, v7, vcc_lo
	v_cmp_eq_u32_e32 vcc_lo, 0, v26
	v_lshlrev_b32_e32 v7, 2, v7
	ds_bpermute_b32 v8, v7, v6
	s_wait_xcnt 0x0
	s_and_saveexec_b32 s0, vcc_lo
	s_cbranch_execz .LBB319_270
; %bb.269:
	s_wait_dscnt 0x0
	v_dual_max_num_f32 v8, v8, v8 :: v_dual_max_num_f32 v6, v6, v6
	s_delay_alu instid0(VALU_DEP_1)
	v_max_num_f32_e32 v6, v6, v8
	ds_store_b32 v5, v6 offset:256
.LBB319_270:
	s_or_b32 exec_lo, exec_lo, s0
	v_cmp_gt_u32_e64 s0, 4, v26
	v_dual_mov_b32 v9, 0xff7fffff :: v_dual_lshlrev_b32 v6, 2, v26
	s_wait_dscnt 0x0
	s_barrier_signal -1
	s_barrier_wait -1
	s_and_saveexec_b32 s1, s0
; %bb.271:
	ds_load_b32 v9, v6 offset:256
; %bb.272:
	s_or_b32 exec_lo, exec_lo, s1
	s_wait_dscnt 0x0
	v_dual_max_num_f32 v14, v9, v9 :: v_dual_bitop2_b32 v8, 2, v10 bitop3:0x14
	v_dual_lshlrev_b32 v3, 2, v3 :: v_dual_bitop2_b32 v13, 1, v10 bitop3:0x14
	s_delay_alu instid0(VALU_DEP_2) | instskip(NEXT) | instid1(VALU_DEP_1)
	v_cmp_lt_i32_e64 s1, v8, v11
	v_cndmask_b32_e64 v8, v10, v8, s1
	s_delay_alu instid0(VALU_DEP_3) | instskip(NEXT) | instid1(VALU_DEP_2)
	v_cmp_lt_i32_e64 s1, v13, v11
	v_lshlrev_b32_e32 v8, 2, v8
	ds_bpermute_b32 v12, v8, v9
	v_cndmask_b32_e64 v9, v10, v13, s1
	s_lshl_b32 s1, s13, 3
	s_wait_kmcnt 0x0
	s_min_i32 s5, s1, s25
	s_delay_alu instid0(VALU_DEP_1) | instskip(SKIP_3) | instid1(VALU_DEP_1)
	v_lshlrev_b32_e32 v9, 2, v9
	v_cmp_gt_i32_e64 s1, s5, v0
	s_wait_dscnt 0x0
	v_max_num_f32_e32 v11, v12, v12
	v_max_num_f32_e32 v11, v14, v11
	ds_bpermute_b32 v12, v9, v11
	s_wait_dscnt 0x0
	v_max_num_f32_e32 v12, v12, v12
	s_delay_alu instid0(VALU_DEP_1)
	v_max_num_f32_e32 v11, v11, v12
	ds_bpermute_b32 v11, v3, v11
	v_mov_b32_e32 v3, 0
	s_and_saveexec_b32 s19, s1
	s_cbranch_execz .LBB319_276
; %bb.273:
	v_lshl_add_u32 v12, v0, 2, 0x120
	v_dual_mov_b32 v3, 0 :: v_dual_mov_b32 v13, v0
	s_mov_b32 s26, 0
.LBB319_274:                            ; =>This Inner Loop Header: Depth=1
	ds_load_b32 v14, v12
	v_add_nc_u32_e32 v13, 0x80, v13
	s_delay_alu instid0(VALU_DEP_1) | instskip(SKIP_3) | instid1(VALU_DEP_1)
	v_cmp_le_i32_e64 s4, s5, v13
	s_or_b32 s26, s4, s26
	s_wait_dscnt 0x0
	v_sub_f32_e32 v14, v14, v11
	v_mul_f32_e32 v14, 0x3fb8aa3b, v14
	s_delay_alu instid0(VALU_DEP_1)
	v_exp_f32_e32 v14, v14
	ds_store_b32 v12, v14
	v_nop
	v_dual_add_f32 v3, v3, v14 :: v_dual_add_nc_u32 v12, 0x200, v12
	s_and_not1_b32 exec_lo, exec_lo, s26
	s_cbranch_execnz .LBB319_274
; %bb.275:
	s_or_b32 exec_lo, exec_lo, s26
.LBB319_276:
	s_delay_alu instid0(SALU_CYCLE_1)
	s_or_b32 exec_lo, exec_lo, s19
	ds_bpermute_b32 v2, v2, v3
	s_wait_dscnt 0x0
	v_add_f32_e32 v2, v3, v2
	ds_bpermute_b32 v3, v4, v2
	s_wait_dscnt 0x0
	v_add_f32_e32 v2, v2, v3
	ds_bpermute_b32 v3, v7, v2
	s_wait_dscnt 0x0
	v_add_f32_e32 v2, v2, v3
	ds_bpermute_b32 v3, v8, v2
	s_wait_dscnt 0x0
	v_add_f32_e32 v2, v2, v3
	ds_bpermute_b32 v3, v9, v2
	s_wait_dscnt 0x0
	v_add_f32_e32 v2, v2, v3
	s_and_saveexec_b32 s4, vcc_lo
; %bb.277:
	ds_store_b32 v5, v2 offset:272
; %bb.278:
	s_or_b32 exec_lo, exec_lo, s4
	s_wait_dscnt 0x0
	s_barrier_signal -1
	s_barrier_wait -1
	s_and_saveexec_b32 s4, s0
; %bb.279:
	ds_load_b32 v2, v6 offset:272
; %bb.280:
	s_or_b32 exec_lo, exec_lo, s4
	s_wait_dscnt 0x0
	ds_bpermute_b32 v3, v8, v2
	s_wait_dscnt 0x0
	v_dual_lshlrev_b32 v4, 2, v10 :: v_dual_add_f32 v2, v2, v3
	ds_bpermute_b32 v3, v9, v2
	s_wait_dscnt 0x0
	v_add_f32_e32 v2, v2, v3
	v_and_b32_e32 v3, 0xffffff80, v4
	ds_bpermute_b32 v2, v3, v2
	s_and_saveexec_b32 s0, s1
	s_cbranch_execz .LBB319_293
; %bb.281:
	s_wait_dscnt 0x0
	v_add_f32_e32 v2, 0x358637bd, v2
	s_mov_b32 s4, -1
	s_mov_b32 s1, exec_lo
	s_delay_alu instid0(VALU_DEP_1) | instskip(NEXT) | instid1(VALU_DEP_1)
	v_div_scale_f32 v3, null, v2, v2, 1.0
	v_rcp_f32_e32 v5, v3
	v_nop
	s_delay_alu instid0(TRANS32_DEP_1) | instskip(NEXT) | instid1(VALU_DEP_1)
	v_fma_f32 v4, -v3, v5, 1.0
	v_fmac_f32_e32 v5, v4, v5
	v_div_scale_f32 v6, vcc_lo, 1.0, v2, 1.0
	s_delay_alu instid0(VALU_DEP_1) | instskip(NEXT) | instid1(VALU_DEP_1)
	v_mul_f32_e32 v7, v6, v5
	v_fma_f32 v4, -v3, v7, v6
	s_delay_alu instid0(VALU_DEP_1) | instskip(SKIP_1) | instid1(VALU_DEP_2)
	v_fmac_f32_e32 v7, v4, v5
	v_xad_u32 v4, v0, -1, s5
	v_fma_f32 v3, -v3, v7, v6
	s_delay_alu instid0(VALU_DEP_1) | instskip(NEXT) | instid1(VALU_DEP_1)
	v_div_fmas_f32 v3, v3, v5, v7
	v_div_fixup_f32 v2, v3, v2, 1.0
	v_mov_b32_e32 v3, v0
	v_cmpx_lt_u32_e32 0x7f, v4
	s_cbranch_execz .LBB319_290
; %bb.282:
	s_delay_alu instid0(VALU_DEP_3) | instskip(NEXT) | instid1(VALU_DEP_1)
	v_dual_mov_b32 v3, v2 :: v_dual_lshrrev_b32 v4, 7, v4
	v_dual_mov_b32 v8, 0 :: v_dual_add_nc_u32 v5, -1, v4
	s_delay_alu instid0(VALU_DEP_1) | instskip(SKIP_1) | instid1(VALU_DEP_2)
	v_lshrrev_b32_e32 v6, 1, v5
	v_cmp_lt_u32_e32 vcc_lo, 13, v5
	v_add_nc_u32_e32 v5, 1, v6
	s_and_saveexec_b32 s4, vcc_lo
	s_cbranch_execz .LBB319_286
; %bb.283:
	s_delay_alu instid0(VALU_DEP_1)
	v_and_b32_e32 v6, -8, v5
	v_lshl_add_u32 v7, v0, 2, 0x120
	s_mov_b32 s19, 0
	s_mov_b32 s26, 0
.LBB319_284:                            ; =>This Inner Loop Header: Depth=1
	ds_load_2addr_stride64_b32 v[8:9], v7 offset1:2
	ds_load_2addr_stride64_b32 v[10:11], v7 offset0:4 offset1:6
	ds_load_2addr_stride64_b32 v[12:13], v7 offset0:8 offset1:10
	;; [unrolled: 1-line block ×7, first 2 shown]
	s_add_co_i32 s26, s26, 16
	v_add_nc_u32_e32 v6, -8, v6
	s_wait_dscnt 0x7
	v_pk_mul_f32 v[8:9], v[2:3], v[8:9]
	s_wait_dscnt 0x6
	v_pk_mul_f32 v[10:11], v[2:3], v[10:11]
	s_wait_dscnt 0x5
	v_pk_mul_f32 v[12:13], v[2:3], v[12:13]
	s_wait_dscnt 0x4
	v_pk_mul_f32 v[14:15], v[2:3], v[14:15]
	s_wait_dscnt 0x3
	v_pk_mul_f32 v[16:17], v[2:3], v[16:17]
	s_wait_dscnt 0x2
	v_pk_mul_f32 v[20:21], v[2:3], v[20:21]
	s_wait_dscnt 0x1
	v_pk_mul_f32 v[22:23], v[2:3], v[22:23]
	s_wait_dscnt 0x0
	v_pk_mul_f32 v[24:25], v[2:3], v[24:25]
	ds_store_2addr_stride64_b32 v7, v8, v9 offset1:2
	ds_store_2addr_stride64_b32 v7, v10, v11 offset0:4 offset1:6
	ds_store_2addr_stride64_b32 v7, v12, v13 offset0:8 offset1:10
	ds_store_2addr_stride64_b32 v7, v14, v15 offset0:12 offset1:14
	ds_store_2addr_stride64_b32 v7, v16, v17 offset0:16 offset1:18
	ds_store_2addr_stride64_b32 v7, v20, v21 offset0:20 offset1:22
	ds_store_2addr_stride64_b32 v7, v22, v23 offset0:24 offset1:26
	ds_store_2addr_stride64_b32 v7, v24, v25 offset0:28 offset1:30
	v_mov_b32_e32 v8, s26
	v_cmp_eq_u32_e32 vcc_lo, 0, v6
	v_add_nc_u32_e32 v7, 0x2000, v7
	s_or_b32 s19, vcc_lo, s19
	s_delay_alu instid0(SALU_CYCLE_1)
	s_and_not1_b32 exec_lo, exec_lo, s19
	s_cbranch_execnz .LBB319_284
; %bb.285:
	s_or_b32 exec_lo, exec_lo, s19
.LBB319_286:
	s_delay_alu instid0(SALU_CYCLE_1) | instskip(NEXT) | instid1(VALU_DEP_1)
	s_or_b32 exec_lo, exec_lo, s4
	v_and_b32_e32 v5, 7, v5
	s_mov_b32 s19, 0
	s_mov_b32 s4, exec_lo
	s_delay_alu instid0(VALU_DEP_1)
	v_cmpx_ne_u32_e32 0, v5
	s_cbranch_execz .LBB319_289
; %bb.287:
	v_lshlrev_b32_e32 v6, 9, v8
	v_lshlrev_b32_e32 v7, 2, v0
	s_delay_alu instid0(VALU_DEP_1)
	v_add3_u32 v6, v6, v7, 0x120
.LBB319_288:                            ; =>This Inner Loop Header: Depth=1
	ds_load_2addr_stride64_b32 v[8:9], v6 offset1:2
	v_add_nc_u32_e32 v5, -1, v5
	s_delay_alu instid0(VALU_DEP_1)
	v_cmp_eq_u32_e32 vcc_lo, 0, v5
	s_or_b32 s19, vcc_lo, s19
	s_wait_dscnt 0x0
	v_pk_mul_f32 v[8:9], v[2:3], v[8:9]
	ds_store_2addr_stride64_b32 v6, v8, v9 offset1:2
	v_add_nc_u32_e32 v6, 0x400, v6
	s_and_not1_b32 exec_lo, exec_lo, s19
	s_cbranch_execnz .LBB319_288
.LBB319_289:
	s_or_b32 exec_lo, exec_lo, s4
	v_add_nc_u32_e32 v3, 1, v4
	s_delay_alu instid0(VALU_DEP_1) | instskip(NEXT) | instid1(VALU_DEP_1)
	v_and_b32_e32 v4, 0x3fffffe, v3
	v_cmp_ne_u32_e32 vcc_lo, v3, v4
	v_lshl_add_u32 v3, v4, 7, v0
	s_or_not1_b32 s4, vcc_lo, exec_lo
.LBB319_290:
	s_or_b32 exec_lo, exec_lo, s1
	s_delay_alu instid0(SALU_CYCLE_1)
	s_and_b32 exec_lo, exec_lo, s4
	s_cbranch_execz .LBB319_293
; %bb.291:
	v_lshl_add_u32 v4, v3, 2, 0x120
	s_mov_b32 s1, 0
.LBB319_292:                            ; =>This Inner Loop Header: Depth=1
	ds_load_b32 v5, v4
	v_add_nc_u32_e32 v3, 0x80, v3
	s_delay_alu instid0(VALU_DEP_1)
	v_cmp_le_i32_e32 vcc_lo, s5, v3
	s_or_b32 s1, vcc_lo, s1
	s_wait_dscnt 0x0
	v_mul_f32_e32 v5, v2, v5
	ds_store_b32 v4, v5
	v_add_nc_u32_e32 v4, 0x200, v4
	s_and_not1_b32 exec_lo, exec_lo, s1
	s_cbranch_execnz .LBB319_292
.LBB319_293:
	s_or_b32 exec_lo, exec_lo, s0
	v_mov_b64_e32 v[10:11], 0
	v_mov_b64_e32 v[12:13], 0
	s_wait_dscnt 0x0
	s_barrier_signal -1
	s_barrier_wait -1
	s_and_saveexec_b32 s1, s3
	s_cbranch_execz .LBB319_545
; %bb.294:
	s_load_b32 s3, s[6:7], 0x0
	v_dual_mov_b32 v15, 0 :: v_dual_lshlrev_b32 v14, 3, v26
	s_ashr_i32 s19, s18, 31
	v_lshl_or_b32 v27, v1, 3, 7
	s_add_nc_u64 s[4:5], s[20:21], s[18:19]
	v_lshl_add_u32 v28, v1, 5, 0x120
	v_add_nc_u64_e32 v[16:17], s[4:5], v[14:15]
	v_and_b32_e32 v14, 0x7c, v18
	s_lshl_b64 s[4:5], s[14:15], 2
	v_dual_mov_b32 v11, 0 :: v_dual_mov_b32 v10, 0
	s_add_nc_u64 s[4:5], s[16:17], s[4:5]
	v_dual_mov_b32 v13, 0 :: v_dual_mov_b32 v12, 0
	v_add_nc_u64_e32 v[18:19], s[4:5], v[14:15]
	v_mov_b32_e32 v29, v1
	s_mov_b64 s[4:5], 0xffffffffffffff
	s_wait_xcnt 0x0
	s_mov_b32 s6, s9
	s_add_co_i32 s9, s13, -1
	s_mov_b32 s7, 0
	s_branch .LBB319_296
.LBB319_295:                            ;   in Loop: Header=BB319_296 Depth=1
	s_or_b32 exec_lo, exec_lo, s0
	s_wait_dscnt 0x1
	v_cvt_pk_bf16_f32 v6, v6, v7
	v_perm_b32 v7, v57, v58, 0x5040100
	v_cvt_pk_bf16_f32 v8, v8, v9
	v_perm_b32 v9, v55, v56, 0x5040100
	s_wait_dscnt 0x0
	v_cvt_pk_bf16_f32 v2, v2, v3
	v_perm_b32 v3, v53, v54, 0x5040100
	v_pk_mul_bf16 v7, v6, v7
	v_cvt_pk_bf16_f32 v4, v4, v5
	v_pk_mul_bf16 v9, v8, v9
	v_perm_b32 v5, v25, v24, 0x5040100
	v_pk_mul_bf16 v3, v2, v3
	v_lshlrev_b32_e32 v38, 16, v7
	v_and_b32_e32 v7, 0xffff0000, v7
	v_lshlrev_b32_e32 v39, 16, v9
	v_and_b32_e32 v9, 0xffff0000, v9
	v_pk_mul_bf16 v5, v4, v5
	v_lshlrev_b32_e32 v24, 16, v3
	v_add_f32_e32 v7, v38, v7
	v_and_b32_e32 v3, 0xffff0000, v3
	v_add_f32_e32 v9, v39, v9
	v_lshlrev_b32_e32 v25, 16, v5
	v_and_b32_e32 v5, 0xffff0000, v5
	v_perm_b32 v39, v48, v47, 0x5040100
	v_add_f32_e32 v3, v24, v3
	v_add_f32_e32 v7, v9, v7
	v_perm_b32 v9, v51, v52, 0x5040100
	v_perm_b32 v24, v49, v50, 0x5040100
	v_add_f32_e32 v25, v25, v5
	v_add_nc_u64_e32 v[18:19], 16, v[18:19]
	v_add_nc_u32_e32 v28, 0x80, v28
	v_pk_mul_bf16 v9, v6, v9
	v_pk_mul_bf16 v24, v8, v24
	v_dual_add_f32 v38, v3, v7 :: v_dual_add_nc_u32 v29, 4, v29
	s_delay_alu instid0(VALU_DEP_3) | instskip(SKIP_1) | instid1(VALU_DEP_4)
	v_dual_add_nc_u32 v27, 32, v27 :: v_dual_lshlrev_b32 v3, 16, v9
	v_and_b32_e32 v5, 0xffff0000, v9
	v_lshlrev_b32_e32 v7, 16, v24
	v_and_b32_e32 v9, 0xffff0000, v24
	v_perm_b32 v24, v45, v46, 0x5040100
	v_cmp_le_i32_e32 vcc_lo, s13, v29
	s_delay_alu instid0(VALU_DEP_3) | instskip(SKIP_1) | instid1(VALU_DEP_4)
	v_add_f32_e32 v7, v7, v9
	v_perm_b32 v9, v34, v35, 0x5040100
	v_pk_mul_bf16 v24, v2, v24
	v_add_f32_e32 v3, v3, v5
	v_perm_b32 v5, v36, v37, 0x5040100
	v_pk_mul_bf16 v34, v4, v39
	s_or_b32 s7, vcc_lo, s7
	s_delay_alu instid0(VALU_DEP_2)
	v_pk_mul_bf16 v5, v6, v5
	v_add_f32_e32 v35, v7, v3
	v_pk_mul_bf16 v3, v8, v9
	v_lshlrev_b32_e32 v7, 16, v24
	v_and_b32_e32 v9, 0xffff0000, v24
	v_lshlrev_b32_e32 v24, 16, v5
	v_and_b32_e32 v5, 0xffff0000, v5
	;; [unrolled: 2-line block ×3, first 2 shown]
	v_add_f32_e32 v37, v7, v9
	v_perm_b32 v7, v30, v31, 0x5040100
	v_dual_add_f32 v5, v24, v5 :: v_dual_lshlrev_b32 v24, 16, v34
	s_delay_alu instid0(VALU_DEP_4) | instskip(SKIP_1) | instid1(VALU_DEP_4)
	v_add_f32_e32 v3, v36, v3
	v_perm_b32 v9, v33, v32, 0x5040100
	v_pk_mul_bf16 v7, v2, v7
	v_and_b32_e32 v30, 0xffff0000, v34
	s_delay_alu instid0(VALU_DEP_4)
	v_add_f32_e32 v32, v3, v5
	v_perm_b32 v3, v60, v59, 0x5040100
	v_perm_b32 v5, v22, v61, 0x5040100
	v_pk_mul_bf16 v31, v4, v9
	v_lshlrev_b32_e32 v33, 16, v7
	v_perm_b32 v9, v14, v20, 0x5040100
	v_perm_b32 v14, v23, v21, 0x5040100
	v_pk_mul_bf16 v6, v6, v3
	v_and_b32_e32 v20, 0xffff0000, v7
	v_pk_mul_bf16 v7, v8, v5
	v_pk_mul_bf16 v8, v2, v9
	;; [unrolled: 1-line block ×3, first 2 shown]
	v_and_b32_e32 v3, 0xffff0000, v6
	s_delay_alu instid0(VALU_DEP_4) | instskip(SKIP_4) | instid1(VALU_DEP_4)
	v_dual_lshlrev_b32 v5, 16, v6 :: v_dual_lshlrev_b32 v4, 16, v7
	v_and_b32_e32 v2, 0xffff0000, v7
	v_and_b32_e32 v7, 0xffff0000, v8
	v_dual_lshlrev_b32 v9, 16, v8 :: v_dual_lshlrev_b32 v8, 16, v14
	v_and_b32_e32 v6, 0xffff0000, v14
	v_pk_add_f32 v[2:3], v[4:5], v[2:3]
	v_dual_add_f32 v14, v33, v20 :: v_dual_lshlrev_b32 v20, 16, v31
	v_and_b32_e32 v21, 0xffff0000, v31
	s_delay_alu instid0(VALU_DEP_4) | instskip(NEXT) | instid1(VALU_DEP_4)
	v_pk_add_f32 v[4:5], v[8:9], v[6:7]
	v_dual_add_f32 v2, v2, v3 :: v_dual_add_f32 v6, v24, v30
	s_delay_alu instid0(VALU_DEP_4) | instskip(NEXT) | instid1(VALU_DEP_2)
	v_dual_add_f32 v3, v37, v35 :: v_dual_add_f32 v7, v14, v32
	v_dual_add_f32 v8, v20, v21 :: v_dual_add_f32 v2, v5, v2
	s_delay_alu instid0(VALU_DEP_2) | instskip(NEXT) | instid1(VALU_DEP_2)
	v_dual_add_f32 v5, v25, v38 :: v_dual_add_f32 v3, v6, v3
	v_add_f32_e32 v6, v8, v7
	s_delay_alu instid0(VALU_DEP_2) | instskip(NEXT) | instid1(VALU_DEP_2)
	v_dual_add_f32 v2, v4, v2 :: v_dual_add_f32 v10, v10, v5
	v_dual_add_f32 v13, v13, v3 :: v_dual_add_f32 v12, v12, v6
	s_delay_alu instid0(VALU_DEP_2)
	v_add_f32_e32 v11, v11, v2
	s_and_not1_b32 exec_lo, exec_lo, s7
	s_cbranch_execz .LBB319_544
.LBB319_296:                            ; =>This Inner Loop Header: Depth=1
	global_load_b32 v2, v[18:19], off
	v_mov_b32_e32 v32, 0
	s_mov_b32 s0, exec_lo
	s_wait_loadcnt 0x0
	v_mad_nc_i64_i32 v[20:21], v2, s6, v[16:17]
	global_load_b64 v[22:23], v[20:21], off
	ds_load_2addr_b64 v[6:9], v28 offset1:1
	ds_load_2addr_b64 v[2:5], v28 offset0:2 offset1:3
	s_wait_loadcnt 0x0
	v_and_b32_e32 v14, 0xff, v22
	s_delay_alu instid0(VALU_DEP_1)
	v_cmpx_ne_u16_e32 0, v14
	s_cbranch_execz .LBB319_302
; %bb.297:                              ;   in Loop: Header=BB319_296 Depth=1
	v_bfrev_b32_e32 v32, 1
	s_mov_b32 s14, exec_lo
	v_cmpx_ne_u16_e32 0x80, v14
	s_cbranch_execz .LBB319_301
; %bb.298:                              ;   in Loop: Header=BB319_296 Depth=1
	v_and_b32_e32 v14, 0x7f, v22
	v_mov_b32_e32 v32, 0x7f800001
	s_mov_b32 s15, exec_lo
	s_delay_alu instid0(VALU_DEP_2)
	v_cmpx_ne_u32_e32 0x7f, v14
	s_cbranch_execz .LBB319_300
; %bb.299:                              ;   in Loop: Header=BB319_296 Depth=1
	v_and_b32_e32 v24, 7, v22
	v_cmp_gt_u32_e32 vcc_lo, 8, v14
	s_delay_alu instid0(VALU_DEP_2) | instskip(NEXT) | instid1(VALU_DEP_1)
	v_clz_i32_u32_e32 v24, v24
	v_min_u32_e32 v24, 32, v24
	v_lshrrev_b32_e32 v25, 3, v14
	s_delay_alu instid0(VALU_DEP_2) | instskip(SKIP_1) | instid1(VALU_DEP_1)
	v_subrev_nc_u32_e32 v30, 28, v24
	v_sub_nc_u32_e32 v24, 29, v24
	v_dual_cndmask_b32 v14, v25, v24, vcc_lo :: v_dual_cndmask_b32 v24, 0, v30, vcc_lo
	s_delay_alu instid0(VALU_DEP_1) | instskip(NEXT) | instid1(VALU_DEP_2)
	v_lshl_add_u32 v14, v14, 23, 0x3c000000
	v_lshlrev_b64_e32 v[24:25], v24, v[22:23]
	v_lshlrev_b32_e32 v25, 24, v22
	s_delay_alu instid0(VALU_DEP_1) | instskip(NEXT) | instid1(VALU_DEP_3)
	v_and_b32_e32 v25, 0x80000000, v25
	v_lshlrev_b32_e32 v24, 20, v24
	s_delay_alu instid0(VALU_DEP_1) | instskip(NEXT) | instid1(VALU_DEP_1)
	v_and_b32_e32 v24, 0x700000, v24
	v_or3_b32 v32, v24, v25, v14
.LBB319_300:                            ;   in Loop: Header=BB319_296 Depth=1
	s_or_b32 exec_lo, exec_lo, s15
.LBB319_301:                            ;   in Loop: Header=BB319_296 Depth=1
	s_delay_alu instid0(SALU_CYCLE_1)
	s_or_b32 exec_lo, exec_lo, s14
.LBB319_302:                            ;   in Loop: Header=BB319_296 Depth=1
	s_delay_alu instid0(SALU_CYCLE_1) | instskip(SKIP_3) | instid1(VALU_DEP_2)
	s_or_b32 exec_lo, exec_lo, s0
	v_lshrrev_b16 v14, 8, v22
	v_dual_mov_b32 v33, 0 :: v_dual_mov_b32 v36, 0
	s_mov_b32 s0, exec_lo
	v_cmpx_ne_u16_e32 0, v14
	s_cbranch_execz .LBB319_310
; %bb.303:                              ;   in Loop: Header=BB319_296 Depth=1
	v_bfrev_b32_e32 v36, 1
	s_mov_b32 s14, exec_lo
	v_cmpx_ne_u16_e32 0x80, v14
	s_cbranch_execz .LBB319_309
; %bb.304:                              ;   in Loop: Header=BB319_296 Depth=1
	v_and_b32_e32 v14, 0xffff, v14
	v_mov_b32_e32 v36, 0x7f800001
	s_mov_b32 s15, exec_lo
	s_delay_alu instid0(VALU_DEP_2) | instskip(NEXT) | instid1(VALU_DEP_1)
	v_and_b32_e32 v25, 0x7f, v14
	v_cmpx_ne_u32_e32 0x7f, v25
	s_cbranch_execz .LBB319_308
; %bb.305:                              ;   in Loop: Header=BB319_296 Depth=1
	v_dual_lshrrev_b32 v24, 3, v25 :: v_dual_bitop2_b32 v14, 7, v14 bitop3:0x40
	s_mov_b32 s16, exec_lo
	v_cmpx_gt_u32_e32 8, v25
; %bb.306:                              ;   in Loop: Header=BB319_296 Depth=1
	s_delay_alu instid0(VALU_DEP_2) | instskip(NEXT) | instid1(VALU_DEP_1)
	v_clz_i32_u32_e32 v24, v14
	v_min_u32_e32 v24, 32, v24
	s_delay_alu instid0(VALU_DEP_1) | instskip(NEXT) | instid1(VALU_DEP_1)
	v_subrev_nc_u32_e32 v25, 28, v24
	v_lshlrev_b64_e32 v[30:31], v25, v[14:15]
	s_delay_alu instid0(VALU_DEP_1)
	v_dual_sub_nc_u32 v24, 29, v24 :: v_dual_bitop2_b32 v14, 7, v30 bitop3:0x40
; %bb.307:                              ;   in Loop: Header=BB319_296 Depth=1
	s_or_b32 exec_lo, exec_lo, s16
	v_lshlrev_b32_e32 v25, 16, v22
	s_delay_alu instid0(VALU_DEP_2) | instskip(NEXT) | instid1(VALU_DEP_3)
	v_lshlrev_b32_e32 v14, 20, v14
	v_lshl_add_u32 v24, v24, 23, 0x3c000000
	s_delay_alu instid0(VALU_DEP_3) | instskip(NEXT) | instid1(VALU_DEP_1)
	v_and_b32_e32 v25, 0x80000000, v25
	v_or3_b32 v36, v14, v25, v24
.LBB319_308:                            ;   in Loop: Header=BB319_296 Depth=1
	s_or_b32 exec_lo, exec_lo, s15
.LBB319_309:                            ;   in Loop: Header=BB319_296 Depth=1
	s_delay_alu instid0(SALU_CYCLE_1)
	s_or_b32 exec_lo, exec_lo, s14
.LBB319_310:                            ;   in Loop: Header=BB319_296 Depth=1
	s_delay_alu instid0(SALU_CYCLE_1) | instskip(SKIP_2) | instid1(VALU_DEP_1)
	s_or_b32 exec_lo, exec_lo, s0
	v_lshrrev_b32_e32 v24, 16, v22
	s_mov_b32 s0, exec_lo
	v_and_b32_e32 v14, 0xff, v24
	s_delay_alu instid0(VALU_DEP_1)
	v_cmpx_ne_u16_e32 0, v14
	s_cbranch_execz .LBB319_318
; %bb.311:                              ;   in Loop: Header=BB319_296 Depth=1
	v_bfrev_b32_e32 v33, 1
	s_mov_b32 s14, exec_lo
	v_cmpx_ne_u16_e32 0x80, v14
	s_cbranch_execz .LBB319_317
; %bb.312:                              ;   in Loop: Header=BB319_296 Depth=1
	v_bfe_u32 v30, v22, 16, 7
	v_mov_b32_e32 v33, 0x7f800001
	s_mov_b32 s15, exec_lo
	s_delay_alu instid0(VALU_DEP_2)
	v_cmpx_ne_u32_e32 0x7f, v30
	s_cbranch_execz .LBB319_316
; %bb.313:                              ;   in Loop: Header=BB319_296 Depth=1
	v_dual_lshrrev_b32 v25, 3, v30 :: v_dual_bitop2_b32 v14, 7, v24 bitop3:0x40
	s_mov_b32 s16, exec_lo
	v_cmpx_gt_u32_e32 8, v30
; %bb.314:                              ;   in Loop: Header=BB319_296 Depth=1
	s_delay_alu instid0(VALU_DEP_2) | instskip(NEXT) | instid1(VALU_DEP_1)
	v_clz_i32_u32_e32 v25, v14
	v_min_u32_e32 v25, 32, v25
	s_delay_alu instid0(VALU_DEP_1) | instskip(NEXT) | instid1(VALU_DEP_1)
	v_subrev_nc_u32_e32 v30, 28, v25
	v_lshlrev_b64_e32 v[30:31], v30, v[14:15]
	s_delay_alu instid0(VALU_DEP_1)
	v_dual_sub_nc_u32 v25, 29, v25 :: v_dual_bitop2_b32 v14, 7, v30 bitop3:0x40
; %bb.315:                              ;   in Loop: Header=BB319_296 Depth=1
	s_or_b32 exec_lo, exec_lo, s16
	s_delay_alu instid0(VALU_DEP_1) | instskip(NEXT) | instid1(VALU_DEP_2)
	v_dual_lshlrev_b32 v24, 24, v24 :: v_dual_lshlrev_b32 v14, 20, v14
	v_lshl_add_u32 v25, v25, 23, 0x3c000000
	s_delay_alu instid0(VALU_DEP_2) | instskip(NEXT) | instid1(VALU_DEP_1)
	v_and_b32_e32 v24, 0x80000000, v24
	v_or3_b32 v33, v14, v24, v25
.LBB319_316:                            ;   in Loop: Header=BB319_296 Depth=1
	s_or_b32 exec_lo, exec_lo, s15
.LBB319_317:                            ;   in Loop: Header=BB319_296 Depth=1
	s_delay_alu instid0(SALU_CYCLE_1)
	s_or_b32 exec_lo, exec_lo, s14
.LBB319_318:                            ;   in Loop: Header=BB319_296 Depth=1
	s_delay_alu instid0(SALU_CYCLE_1)
	s_or_b32 exec_lo, exec_lo, s0
	v_dual_mov_b32 v31, 0 :: v_dual_mov_b32 v34, 0
	s_mov_b32 s0, exec_lo
	v_cmpx_lt_u32_e32 0xffffff, v22
	s_cbranch_execz .LBB319_326
; %bb.319:                              ;   in Loop: Header=BB319_296 Depth=1
	v_lshrrev_b32_e32 v24, 24, v22
	v_bfrev_b32_e32 v34, 1
	s_mov_b32 s14, exec_lo
	s_delay_alu instid0(VALU_DEP_2)
	v_cmpx_ne_u32_e32 0x80, v24
	s_cbranch_execz .LBB319_325
; %bb.320:                              ;   in Loop: Header=BB319_296 Depth=1
	v_bfe_u32 v30, v22, 24, 7
	v_mov_b32_e32 v34, 0x7f800001
	s_mov_b32 s15, exec_lo
	s_delay_alu instid0(VALU_DEP_2)
	v_cmpx_ne_u32_e32 0x7f, v30
	s_cbranch_execz .LBB319_324
; %bb.321:                              ;   in Loop: Header=BB319_296 Depth=1
	v_dual_lshrrev_b32 v25, 3, v30 :: v_dual_bitop2_b32 v14, 7, v24 bitop3:0x40
	s_mov_b32 s16, exec_lo
	v_cmpx_gt_u32_e32 8, v30
; %bb.322:                              ;   in Loop: Header=BB319_296 Depth=1
	s_delay_alu instid0(VALU_DEP_2) | instskip(NEXT) | instid1(VALU_DEP_1)
	v_clz_i32_u32_e32 v25, v14
	v_min_u32_e32 v25, 32, v25
	s_delay_alu instid0(VALU_DEP_1) | instskip(NEXT) | instid1(VALU_DEP_1)
	v_subrev_nc_u32_e32 v30, 28, v25
	v_lshlrev_b64_e32 v[34:35], v30, v[14:15]
	s_delay_alu instid0(VALU_DEP_1)
	v_dual_sub_nc_u32 v25, 29, v25 :: v_dual_bitop2_b32 v14, 7, v34 bitop3:0x40
; %bb.323:                              ;   in Loop: Header=BB319_296 Depth=1
	s_or_b32 exec_lo, exec_lo, s16
	s_delay_alu instid0(VALU_DEP_1) | instskip(NEXT) | instid1(VALU_DEP_2)
	v_dual_lshlrev_b32 v24, 24, v24 :: v_dual_lshlrev_b32 v14, 20, v14
	v_lshl_add_u32 v25, v25, 23, 0x3c000000
	s_delay_alu instid0(VALU_DEP_2) | instskip(NEXT) | instid1(VALU_DEP_1)
	v_and_b32_e32 v24, 0x80000000, v24
	v_or3_b32 v34, v14, v24, v25
.LBB319_324:                            ;   in Loop: Header=BB319_296 Depth=1
	s_or_b32 exec_lo, exec_lo, s15
.LBB319_325:                            ;   in Loop: Header=BB319_296 Depth=1
	s_delay_alu instid0(SALU_CYCLE_1)
	s_or_b32 exec_lo, exec_lo, s14
.LBB319_326:                            ;   in Loop: Header=BB319_296 Depth=1
	s_delay_alu instid0(SALU_CYCLE_1) | instskip(SKIP_3) | instid1(VALU_DEP_2)
	s_or_b32 exec_lo, exec_lo, s0
	v_and_b32_e32 v24, 0xff, v23
	v_mov_b32_e32 v14, v23
	s_mov_b32 s0, exec_lo
	v_cmpx_ne_u16_e32 0, v24
	s_cbranch_execz .LBB319_332
; %bb.327:                              ;   in Loop: Header=BB319_296 Depth=1
	v_bfrev_b32_e32 v31, 1
	s_mov_b32 s14, exec_lo
	v_cmpx_ne_u16_e32 0x80, v24
	s_cbranch_execz .LBB319_331
; %bb.328:                              ;   in Loop: Header=BB319_296 Depth=1
	v_and_b32_e32 v24, 0x7f, v23
	v_mov_b32_e32 v31, 0x7f800001
	s_mov_b32 s15, exec_lo
	s_delay_alu instid0(VALU_DEP_2)
	v_cmpx_ne_u32_e32 0x7f, v24
	s_cbranch_execz .LBB319_330
; %bb.329:                              ;   in Loop: Header=BB319_296 Depth=1
	v_dual_lshrrev_b32 v30, 3, v24 :: v_dual_bitop2_b32 v25, 7, v23 bitop3:0x40
	v_cmp_gt_u32_e32 vcc_lo, 8, v24
	s_delay_alu instid0(VALU_DEP_2) | instskip(NEXT) | instid1(VALU_DEP_1)
	v_clz_i32_u32_e32 v25, v25
	v_min_u32_e32 v25, 32, v25
	s_delay_alu instid0(VALU_DEP_1) | instskip(NEXT) | instid1(VALU_DEP_1)
	v_subrev_nc_u32_e32 v31, 28, v25
	v_dual_cndmask_b32 v24, 0, v31 :: v_dual_sub_nc_u32 v25, 29, v25
	s_delay_alu instid0(VALU_DEP_1) | instskip(NEXT) | instid1(VALU_DEP_2)
	v_cndmask_b32_e32 v30, v30, v25, vcc_lo
	v_lshlrev_b64_e32 v[24:25], v24, v[14:15]
	v_lshlrev_b32_e32 v25, 24, v14
	s_delay_alu instid0(VALU_DEP_3) | instskip(NEXT) | instid1(VALU_DEP_2)
	v_lshl_add_u32 v30, v30, 23, 0x3c000000
	v_and_b32_e32 v25, 0x80000000, v25
	s_delay_alu instid0(VALU_DEP_4) | instskip(NEXT) | instid1(VALU_DEP_1)
	v_lshlrev_b32_e32 v24, 20, v24
	v_and_b32_e32 v24, 0x700000, v24
	s_delay_alu instid0(VALU_DEP_1)
	v_or3_b32 v31, v24, v25, v30
.LBB319_330:                            ;   in Loop: Header=BB319_296 Depth=1
	s_or_b32 exec_lo, exec_lo, s15
.LBB319_331:                            ;   in Loop: Header=BB319_296 Depth=1
	s_delay_alu instid0(SALU_CYCLE_1)
	s_or_b32 exec_lo, exec_lo, s14
.LBB319_332:                            ;   in Loop: Header=BB319_296 Depth=1
	s_delay_alu instid0(SALU_CYCLE_1) | instskip(SKIP_3) | instid1(VALU_DEP_2)
	s_or_b32 exec_lo, exec_lo, s0
	v_lshrrev_b16 v25, 8, v14
	v_dual_mov_b32 v39, 0 :: v_dual_mov_b32 v24, 0
	s_mov_b32 s0, exec_lo
	v_cmpx_ne_u16_e32 0, v25
	s_cbranch_execz .LBB319_340
; %bb.333:                              ;   in Loop: Header=BB319_296 Depth=1
	v_bfrev_b32_e32 v24, 1
	s_mov_b32 s14, exec_lo
	v_cmpx_ne_u16_e32 0x80, v25
	s_cbranch_execz .LBB319_339
; %bb.334:                              ;   in Loop: Header=BB319_296 Depth=1
	v_and_b32_e32 v25, 0xffff, v25
	v_mov_b32_e32 v24, 0x7f800001
	s_mov_b32 s15, exec_lo
	s_delay_alu instid0(VALU_DEP_2) | instskip(NEXT) | instid1(VALU_DEP_1)
	v_and_b32_e32 v35, 0x7f, v25
	v_cmpx_ne_u32_e32 0x7f, v35
	s_cbranch_execz .LBB319_338
; %bb.335:                              ;   in Loop: Header=BB319_296 Depth=1
	v_dual_mov_b32 v25, v15 :: v_dual_bitop2_b32 v24, 7, v25 bitop3:0x40
	v_lshrrev_b32_e32 v30, 3, v35
	s_mov_b32 s16, exec_lo
	v_cmpx_gt_u32_e32 8, v35
; %bb.336:                              ;   in Loop: Header=BB319_296 Depth=1
	s_delay_alu instid0(VALU_DEP_3) | instskip(NEXT) | instid1(VALU_DEP_1)
	v_clz_i32_u32_e32 v30, v24
	v_min_u32_e32 v30, 32, v30
	s_delay_alu instid0(VALU_DEP_1) | instskip(NEXT) | instid1(VALU_DEP_1)
	v_subrev_nc_u32_e32 v35, 28, v30
	v_lshlrev_b64_e32 v[24:25], v35, v[24:25]
	s_delay_alu instid0(VALU_DEP_1)
	v_dual_sub_nc_u32 v30, 29, v30 :: v_dual_bitop2_b32 v24, 7, v24 bitop3:0x40
; %bb.337:                              ;   in Loop: Header=BB319_296 Depth=1
	s_or_b32 exec_lo, exec_lo, s16
	s_delay_alu instid0(VALU_DEP_1) | instskip(NEXT) | instid1(VALU_DEP_2)
	v_dual_lshlrev_b32 v14, 16, v14 :: v_dual_lshlrev_b32 v24, 20, v24
	v_lshl_add_u32 v25, v30, 23, 0x3c000000
	s_delay_alu instid0(VALU_DEP_2) | instskip(NEXT) | instid1(VALU_DEP_1)
	v_and_b32_e32 v14, 0x80000000, v14
	v_or3_b32 v24, v24, v14, v25
.LBB319_338:                            ;   in Loop: Header=BB319_296 Depth=1
	s_or_b32 exec_lo, exec_lo, s15
.LBB319_339:                            ;   in Loop: Header=BB319_296 Depth=1
	s_delay_alu instid0(SALU_CYCLE_1)
	s_or_b32 exec_lo, exec_lo, s14
.LBB319_340:                            ;   in Loop: Header=BB319_296 Depth=1
	s_delay_alu instid0(SALU_CYCLE_1) | instskip(SKIP_2) | instid1(VALU_DEP_1)
	s_or_b32 exec_lo, exec_lo, s0
	v_lshrrev_b32_e32 v25, 16, v23
	s_mov_b32 s0, exec_lo
	v_and_b32_e32 v14, 0xff, v25
	s_delay_alu instid0(VALU_DEP_1)
	v_cmpx_ne_u16_e32 0, v14
	s_cbranch_execz .LBB319_348
; %bb.341:                              ;   in Loop: Header=BB319_296 Depth=1
	v_bfrev_b32_e32 v39, 1
	s_mov_b32 s14, exec_lo
	v_cmpx_ne_u16_e32 0x80, v14
	s_cbranch_execz .LBB319_347
; %bb.342:                              ;   in Loop: Header=BB319_296 Depth=1
	v_bfe_u32 v35, v23, 16, 7
	v_mov_b32_e32 v39, 0x7f800001
	s_mov_b32 s15, exec_lo
	s_delay_alu instid0(VALU_DEP_2)
	v_cmpx_ne_u32_e32 0x7f, v35
	s_cbranch_execz .LBB319_346
; %bb.343:                              ;   in Loop: Header=BB319_296 Depth=1
	v_dual_lshrrev_b32 v30, 3, v35 :: v_dual_bitop2_b32 v14, 7, v25 bitop3:0x40
	s_mov_b32 s16, exec_lo
	v_cmpx_gt_u32_e32 8, v35
; %bb.344:                              ;   in Loop: Header=BB319_296 Depth=1
	s_delay_alu instid0(VALU_DEP_2) | instskip(NEXT) | instid1(VALU_DEP_1)
	v_clz_i32_u32_e32 v30, v14
	v_min_u32_e32 v30, 32, v30
	s_delay_alu instid0(VALU_DEP_1) | instskip(SKIP_1) | instid1(VALU_DEP_2)
	v_subrev_nc_u32_e32 v35, 28, v30
	v_sub_nc_u32_e32 v30, 29, v30
	v_lshlrev_b64_e32 v[38:39], v35, v[14:15]
	s_delay_alu instid0(VALU_DEP_1)
	v_and_b32_e32 v14, 7, v38
; %bb.345:                              ;   in Loop: Header=BB319_296 Depth=1
	s_or_b32 exec_lo, exec_lo, s16
	s_delay_alu instid0(VALU_DEP_1) | instskip(SKIP_1) | instid1(VALU_DEP_2)
	v_dual_lshlrev_b32 v25, 24, v25 :: v_dual_lshlrev_b32 v14, 20, v14
	v_lshl_add_u32 v30, v30, 23, 0x3c000000
	v_and_b32_e32 v25, 0x80000000, v25
	s_delay_alu instid0(VALU_DEP_1)
	v_or3_b32 v39, v14, v25, v30
.LBB319_346:                            ;   in Loop: Header=BB319_296 Depth=1
	s_or_b32 exec_lo, exec_lo, s15
.LBB319_347:                            ;   in Loop: Header=BB319_296 Depth=1
	s_delay_alu instid0(SALU_CYCLE_1)
	s_or_b32 exec_lo, exec_lo, s14
.LBB319_348:                            ;   in Loop: Header=BB319_296 Depth=1
	s_delay_alu instid0(SALU_CYCLE_1)
	s_or_b32 exec_lo, exec_lo, s0
	v_mov_b32_e32 v14, 0
	s_mov_b32 s0, exec_lo
	v_cmpx_lt_u64_e64 s[4:5], v[22:23]
	s_cbranch_execz .LBB319_356
; %bb.349:                              ;   in Loop: Header=BB319_296 Depth=1
	v_lshrrev_b32_e32 v22, 24, v23
	v_bfrev_b32_e32 v14, 1
	s_mov_b32 s14, exec_lo
	s_delay_alu instid0(VALU_DEP_2)
	v_cmpx_ne_u32_e32 0x80, v22
	s_cbranch_execz .LBB319_355
; %bb.350:                              ;   in Loop: Header=BB319_296 Depth=1
	v_bfe_u32 v25, v23, 24, 7
	v_mov_b32_e32 v14, 0x7f800001
	s_mov_b32 s15, exec_lo
	s_delay_alu instid0(VALU_DEP_2)
	v_cmpx_ne_u32_e32 0x7f, v25
	s_cbranch_execz .LBB319_354
; %bb.351:                              ;   in Loop: Header=BB319_296 Depth=1
	v_dual_lshrrev_b32 v23, 3, v25 :: v_dual_bitop2_b32 v14, 7, v22 bitop3:0x40
	s_mov_b32 s16, exec_lo
	v_cmpx_gt_u32_e32 8, v25
; %bb.352:                              ;   in Loop: Header=BB319_296 Depth=1
	s_delay_alu instid0(VALU_DEP_2) | instskip(NEXT) | instid1(VALU_DEP_1)
	v_clz_i32_u32_e32 v23, v14
	v_min_u32_e32 v23, 32, v23
	s_delay_alu instid0(VALU_DEP_1) | instskip(NEXT) | instid1(VALU_DEP_1)
	v_subrev_nc_u32_e32 v25, 28, v23
	v_lshlrev_b64_e32 v[40:41], v25, v[14:15]
	s_delay_alu instid0(VALU_DEP_1)
	v_dual_sub_nc_u32 v23, 29, v23 :: v_dual_bitop2_b32 v14, 7, v40 bitop3:0x40
; %bb.353:                              ;   in Loop: Header=BB319_296 Depth=1
	s_or_b32 exec_lo, exec_lo, s16
	v_lshlrev_b32_e32 v22, 24, v22
	s_delay_alu instid0(VALU_DEP_2) | instskip(NEXT) | instid1(VALU_DEP_3)
	v_lshlrev_b32_e32 v14, 20, v14
	v_lshl_add_u32 v23, v23, 23, 0x3c000000
	s_delay_alu instid0(VALU_DEP_3) | instskip(NEXT) | instid1(VALU_DEP_1)
	v_and_b32_e32 v22, 0x80000000, v22
	v_or3_b32 v14, v14, v22, v23
.LBB319_354:                            ;   in Loop: Header=BB319_296 Depth=1
	s_or_b32 exec_lo, exec_lo, s15
.LBB319_355:                            ;   in Loop: Header=BB319_296 Depth=1
	s_delay_alu instid0(SALU_CYCLE_1)
	s_or_b32 exec_lo, exec_lo, s14
.LBB319_356:                            ;   in Loop: Header=BB319_296 Depth=1
	s_delay_alu instid0(SALU_CYCLE_1)
	s_or_b32 exec_lo, exec_lo, s0
	v_dual_add_nc_u32 v38, -7, v27 :: v_dual_add_nc_u32 v44, -6, v27
	v_cmp_eq_u32_e32 vcc_lo, s9, v29
	s_wait_kmcnt 0x0
	v_fma_mixlo_bf16 v30, s3, v24, 0
	v_fma_mixlo_bf16 v31, s3, v31, 0
	;; [unrolled: 1-line block ×8, first 2 shown]
	v_dual_add_nc_u32 v43, -5, v27 :: v_dual_add_nc_u32 v42, -4, v27
	v_dual_add_nc_u32 v41, -3, v27 :: v_dual_add_nc_u32 v40, -2, v27
	v_add_nc_u32_e32 v39, -1, v27
	s_and_saveexec_b32 s14, vcc_lo
	s_cbranch_execz .LBB319_358
; %bb.357:                              ;   in Loop: Header=BB319_296 Depth=1
	v_cmp_gt_i32_e64 s0, s25, v38
	s_delay_alu instid0(VALU_DEP_1) | instskip(SKIP_1) | instid1(VALU_DEP_1)
	v_cndmask_b32_e64 v37, 0, v37, s0
	v_cmp_gt_i32_e64 s0, s25, v44
	v_cndmask_b32_e64 v36, 0, v36, s0
	v_cmp_gt_i32_e64 s0, s25, v43
	s_delay_alu instid0(VALU_DEP_1) | instskip(SKIP_1) | instid1(VALU_DEP_1)
	v_cndmask_b32_e64 v35, 0, v35, s0
	v_cmp_gt_i32_e64 s0, s25, v42
	v_cndmask_b32_e64 v34, 0, v34, s0
	;; [unrolled: 5-line block ×4, first 2 shown]
.LBB319_358:                            ;   in Loop: Header=BB319_296 Depth=1
	s_or_b32 exec_lo, exec_lo, s14
	global_load_b64 v[22:23], v[20:21], off offset:256
	v_dual_mov_b32 v48, 0 :: v_dual_mov_b32 v47, 0
	s_mov_b32 s14, exec_lo
	s_wait_loadcnt 0x0
	v_and_b32_e32 v14, 0xff, v22
	s_delay_alu instid0(VALU_DEP_1)
	v_cmpx_ne_u16_e32 0, v14
	s_cbranch_execz .LBB319_364
; %bb.359:                              ;   in Loop: Header=BB319_296 Depth=1
	v_bfrev_b32_e32 v47, 1
	s_mov_b32 s15, exec_lo
	v_cmpx_ne_u16_e32 0x80, v14
	s_cbranch_execz .LBB319_363
; %bb.360:                              ;   in Loop: Header=BB319_296 Depth=1
	v_and_b32_e32 v14, 0x7f, v22
	v_mov_b32_e32 v47, 0x7f800001
	s_mov_b32 s16, exec_lo
	s_delay_alu instid0(VALU_DEP_2)
	v_cmpx_ne_u32_e32 0x7f, v14
	s_cbranch_execz .LBB319_362
; %bb.361:                              ;   in Loop: Header=BB319_296 Depth=1
	v_and_b32_e32 v24, 7, v22
	v_cmp_gt_u32_e64 s0, 8, v14
	s_delay_alu instid0(VALU_DEP_2) | instskip(NEXT) | instid1(VALU_DEP_1)
	v_clz_i32_u32_e32 v24, v24
	v_min_u32_e32 v24, 32, v24
	v_lshrrev_b32_e32 v25, 3, v14
	s_delay_alu instid0(VALU_DEP_2) | instskip(SKIP_1) | instid1(VALU_DEP_1)
	v_subrev_nc_u32_e32 v45, 28, v24
	v_sub_nc_u32_e32 v24, 29, v24
	v_dual_cndmask_b32 v14, v25, v24, s0 :: v_dual_cndmask_b32 v24, 0, v45, s0
	s_delay_alu instid0(VALU_DEP_1) | instskip(NEXT) | instid1(VALU_DEP_2)
	v_lshl_add_u32 v14, v14, 23, 0x3c000000
	v_lshlrev_b64_e32 v[24:25], v24, v[22:23]
	v_lshlrev_b32_e32 v25, 24, v22
	s_delay_alu instid0(VALU_DEP_1) | instskip(NEXT) | instid1(VALU_DEP_3)
	v_and_b32_e32 v25, 0x80000000, v25
	v_lshlrev_b32_e32 v24, 20, v24
	s_delay_alu instid0(VALU_DEP_1) | instskip(NEXT) | instid1(VALU_DEP_1)
	v_and_b32_e32 v24, 0x700000, v24
	v_or3_b32 v47, v24, v25, v14
.LBB319_362:                            ;   in Loop: Header=BB319_296 Depth=1
	s_or_b32 exec_lo, exec_lo, s16
.LBB319_363:                            ;   in Loop: Header=BB319_296 Depth=1
	s_delay_alu instid0(SALU_CYCLE_1)
	s_or_b32 exec_lo, exec_lo, s15
.LBB319_364:                            ;   in Loop: Header=BB319_296 Depth=1
	s_delay_alu instid0(SALU_CYCLE_1) | instskip(SKIP_2) | instid1(VALU_DEP_1)
	s_or_b32 exec_lo, exec_lo, s14
	v_lshrrev_b16 v14, 8, v22
	s_mov_b32 s14, exec_lo
	v_cmpx_ne_u16_e32 0, v14
	s_cbranch_execz .LBB319_372
; %bb.365:                              ;   in Loop: Header=BB319_296 Depth=1
	v_bfrev_b32_e32 v48, 1
	s_mov_b32 s15, exec_lo
	v_cmpx_ne_u16_e32 0x80, v14
	s_cbranch_execz .LBB319_371
; %bb.366:                              ;   in Loop: Header=BB319_296 Depth=1
	v_and_b32_e32 v14, 0xffff, v14
	v_mov_b32_e32 v48, 0x7f800001
	s_mov_b32 s16, exec_lo
	s_delay_alu instid0(VALU_DEP_2) | instskip(NEXT) | instid1(VALU_DEP_1)
	v_and_b32_e32 v25, 0x7f, v14
	v_cmpx_ne_u32_e32 0x7f, v25
	s_cbranch_execz .LBB319_370
; %bb.367:                              ;   in Loop: Header=BB319_296 Depth=1
	v_dual_lshrrev_b32 v24, 3, v25 :: v_dual_bitop2_b32 v14, 7, v14 bitop3:0x40
	s_mov_b32 s17, exec_lo
	v_cmpx_gt_u32_e32 8, v25
; %bb.368:                              ;   in Loop: Header=BB319_296 Depth=1
	s_delay_alu instid0(VALU_DEP_2) | instskip(NEXT) | instid1(VALU_DEP_1)
	v_clz_i32_u32_e32 v24, v14
	v_min_u32_e32 v24, 32, v24
	s_delay_alu instid0(VALU_DEP_1) | instskip(SKIP_1) | instid1(VALU_DEP_2)
	v_subrev_nc_u32_e32 v25, 28, v24
	v_sub_nc_u32_e32 v24, 29, v24
	v_lshlrev_b64_e32 v[48:49], v25, v[14:15]
	s_delay_alu instid0(VALU_DEP_1)
	v_and_b32_e32 v14, 7, v48
; %bb.369:                              ;   in Loop: Header=BB319_296 Depth=1
	s_or_b32 exec_lo, exec_lo, s17
	v_lshlrev_b32_e32 v25, 16, v22
	s_delay_alu instid0(VALU_DEP_2) | instskip(SKIP_1) | instid1(VALU_DEP_3)
	v_lshlrev_b32_e32 v14, 20, v14
	v_lshl_add_u32 v24, v24, 23, 0x3c000000
	v_and_b32_e32 v25, 0x80000000, v25
	s_delay_alu instid0(VALU_DEP_1)
	v_or3_b32 v48, v14, v25, v24
.LBB319_370:                            ;   in Loop: Header=BB319_296 Depth=1
	s_or_b32 exec_lo, exec_lo, s16
.LBB319_371:                            ;   in Loop: Header=BB319_296 Depth=1
	s_delay_alu instid0(SALU_CYCLE_1)
	s_or_b32 exec_lo, exec_lo, s15
.LBB319_372:                            ;   in Loop: Header=BB319_296 Depth=1
	s_delay_alu instid0(SALU_CYCLE_1) | instskip(SKIP_3) | instid1(VALU_DEP_2)
	s_or_b32 exec_lo, exec_lo, s14
	v_dual_mov_b32 v49, 0 :: v_dual_lshrrev_b32 v24, 16, v22
	v_mov_b32_e32 v50, 0
	s_mov_b32 s14, exec_lo
	v_and_b32_e32 v14, 0xff, v24
	s_delay_alu instid0(VALU_DEP_1)
	v_cmpx_ne_u16_e32 0, v14
	s_cbranch_execz .LBB319_380
; %bb.373:                              ;   in Loop: Header=BB319_296 Depth=1
	v_bfrev_b32_e32 v50, 1
	s_mov_b32 s15, exec_lo
	v_cmpx_ne_u16_e32 0x80, v14
	s_cbranch_execz .LBB319_379
; %bb.374:                              ;   in Loop: Header=BB319_296 Depth=1
	v_bfe_u32 v45, v22, 16, 7
	v_mov_b32_e32 v50, 0x7f800001
	s_mov_b32 s16, exec_lo
	s_delay_alu instid0(VALU_DEP_2)
	v_cmpx_ne_u32_e32 0x7f, v45
	s_cbranch_execz .LBB319_378
; %bb.375:                              ;   in Loop: Header=BB319_296 Depth=1
	v_dual_lshrrev_b32 v25, 3, v45 :: v_dual_bitop2_b32 v14, 7, v24 bitop3:0x40
	s_mov_b32 s17, exec_lo
	v_cmpx_gt_u32_e32 8, v45
; %bb.376:                              ;   in Loop: Header=BB319_296 Depth=1
	s_delay_alu instid0(VALU_DEP_2) | instskip(NEXT) | instid1(VALU_DEP_1)
	v_clz_i32_u32_e32 v25, v14
	v_min_u32_e32 v25, 32, v25
	s_delay_alu instid0(VALU_DEP_1) | instskip(NEXT) | instid1(VALU_DEP_1)
	v_subrev_nc_u32_e32 v45, 28, v25
	v_lshlrev_b64_e32 v[50:51], v45, v[14:15]
	s_delay_alu instid0(VALU_DEP_1)
	v_dual_sub_nc_u32 v25, 29, v25 :: v_dual_bitop2_b32 v14, 7, v50 bitop3:0x40
; %bb.377:                              ;   in Loop: Header=BB319_296 Depth=1
	s_or_b32 exec_lo, exec_lo, s17
	s_delay_alu instid0(VALU_DEP_1) | instskip(NEXT) | instid1(VALU_DEP_2)
	v_dual_lshlrev_b32 v24, 24, v24 :: v_dual_lshlrev_b32 v14, 20, v14
	v_lshl_add_u32 v25, v25, 23, 0x3c000000
	s_delay_alu instid0(VALU_DEP_2) | instskip(NEXT) | instid1(VALU_DEP_1)
	v_and_b32_e32 v24, 0x80000000, v24
	v_or3_b32 v50, v14, v24, v25
.LBB319_378:                            ;   in Loop: Header=BB319_296 Depth=1
	s_or_b32 exec_lo, exec_lo, s16
.LBB319_379:                            ;   in Loop: Header=BB319_296 Depth=1
	s_delay_alu instid0(SALU_CYCLE_1)
	s_or_b32 exec_lo, exec_lo, s15
.LBB319_380:                            ;   in Loop: Header=BB319_296 Depth=1
	s_delay_alu instid0(SALU_CYCLE_1) | instskip(NEXT) | instid1(SALU_CYCLE_1)
	s_or_b32 exec_lo, exec_lo, s14
	s_mov_b32 s14, exec_lo
	v_cmpx_lt_u32_e32 0xffffff, v22
	s_cbranch_execz .LBB319_388
; %bb.381:                              ;   in Loop: Header=BB319_296 Depth=1
	v_lshrrev_b32_e32 v24, 24, v22
	v_bfrev_b32_e32 v49, 1
	s_mov_b32 s15, exec_lo
	s_delay_alu instid0(VALU_DEP_2)
	v_cmpx_ne_u32_e32 0x80, v24
	s_cbranch_execz .LBB319_387
; %bb.382:                              ;   in Loop: Header=BB319_296 Depth=1
	v_bfe_u32 v45, v22, 24, 7
	v_mov_b32_e32 v49, 0x7f800001
	s_mov_b32 s16, exec_lo
	s_delay_alu instid0(VALU_DEP_2)
	v_cmpx_ne_u32_e32 0x7f, v45
	s_cbranch_execz .LBB319_386
; %bb.383:                              ;   in Loop: Header=BB319_296 Depth=1
	v_dual_lshrrev_b32 v25, 3, v45 :: v_dual_bitop2_b32 v14, 7, v24 bitop3:0x40
	s_mov_b32 s17, exec_lo
	v_cmpx_gt_u32_e32 8, v45
; %bb.384:                              ;   in Loop: Header=BB319_296 Depth=1
	s_delay_alu instid0(VALU_DEP_2) | instskip(NEXT) | instid1(VALU_DEP_1)
	v_clz_i32_u32_e32 v25, v14
	v_min_u32_e32 v25, 32, v25
	s_delay_alu instid0(VALU_DEP_1) | instskip(NEXT) | instid1(VALU_DEP_1)
	v_subrev_nc_u32_e32 v45, 28, v25
	v_lshlrev_b64_e32 v[52:53], v45, v[14:15]
	s_delay_alu instid0(VALU_DEP_1)
	v_dual_sub_nc_u32 v25, 29, v25 :: v_dual_bitop2_b32 v14, 7, v52 bitop3:0x40
; %bb.385:                              ;   in Loop: Header=BB319_296 Depth=1
	s_or_b32 exec_lo, exec_lo, s17
	s_delay_alu instid0(VALU_DEP_1) | instskip(NEXT) | instid1(VALU_DEP_2)
	v_dual_lshlrev_b32 v24, 24, v24 :: v_dual_lshlrev_b32 v14, 20, v14
	v_lshl_add_u32 v25, v25, 23, 0x3c000000
	s_delay_alu instid0(VALU_DEP_2) | instskip(NEXT) | instid1(VALU_DEP_1)
	v_and_b32_e32 v24, 0x80000000, v24
	v_or3_b32 v49, v14, v24, v25
.LBB319_386:                            ;   in Loop: Header=BB319_296 Depth=1
	s_or_b32 exec_lo, exec_lo, s16
.LBB319_387:                            ;   in Loop: Header=BB319_296 Depth=1
	s_delay_alu instid0(SALU_CYCLE_1)
	s_or_b32 exec_lo, exec_lo, s15
.LBB319_388:                            ;   in Loop: Header=BB319_296 Depth=1
	s_delay_alu instid0(SALU_CYCLE_1) | instskip(SKIP_4) | instid1(VALU_DEP_3)
	s_or_b32 exec_lo, exec_lo, s14
	v_and_b32_e32 v25, 0xff, v23
	v_dual_mov_b32 v14, v23 :: v_dual_mov_b32 v24, 0
	v_mov_b32_e32 v46, 0
	s_mov_b32 s14, exec_lo
	v_cmpx_ne_u16_e32 0, v25
	s_cbranch_execz .LBB319_394
; %bb.389:                              ;   in Loop: Header=BB319_296 Depth=1
	v_bfrev_b32_e32 v46, 1
	s_mov_b32 s15, exec_lo
	v_cmpx_ne_u16_e32 0x80, v25
	s_cbranch_execz .LBB319_393
; %bb.390:                              ;   in Loop: Header=BB319_296 Depth=1
	v_and_b32_e32 v25, 0x7f, v23
	v_mov_b32_e32 v46, 0x7f800001
	s_mov_b32 s16, exec_lo
	s_delay_alu instid0(VALU_DEP_2)
	v_cmpx_ne_u32_e32 0x7f, v25
	s_cbranch_execz .LBB319_392
; %bb.391:                              ;   in Loop: Header=BB319_296 Depth=1
	v_dual_lshrrev_b32 v46, 3, v25 :: v_dual_bitop2_b32 v45, 7, v23 bitop3:0x40
	v_cmp_gt_u32_e64 s0, 8, v25
	s_delay_alu instid0(VALU_DEP_2) | instskip(NEXT) | instid1(VALU_DEP_1)
	v_clz_i32_u32_e32 v45, v45
	v_min_u32_e32 v45, 32, v45
	s_delay_alu instid0(VALU_DEP_1) | instskip(SKIP_1) | instid1(VALU_DEP_1)
	v_subrev_nc_u32_e32 v51, 28, v45
	v_sub_nc_u32_e32 v45, 29, v45
	v_dual_cndmask_b32 v25, v46, v45, s0 :: v_dual_cndmask_b32 v45, 0, v51, s0
	s_delay_alu instid0(VALU_DEP_1) | instskip(NEXT) | instid1(VALU_DEP_2)
	v_lshl_add_u32 v25, v25, 23, 0x3c000000
	v_lshlrev_b64_e32 v[52:53], v45, v[14:15]
	v_lshlrev_b32_e32 v45, 24, v14
	s_delay_alu instid0(VALU_DEP_1) | instskip(NEXT) | instid1(VALU_DEP_3)
	v_and_b32_e32 v45, 0x80000000, v45
	v_lshlrev_b32_e32 v46, 20, v52
	s_delay_alu instid0(VALU_DEP_1) | instskip(NEXT) | instid1(VALU_DEP_1)
	v_and_b32_e32 v46, 0x700000, v46
	v_or3_b32 v46, v46, v45, v25
.LBB319_392:                            ;   in Loop: Header=BB319_296 Depth=1
	s_or_b32 exec_lo, exec_lo, s16
.LBB319_393:                            ;   in Loop: Header=BB319_296 Depth=1
	s_delay_alu instid0(SALU_CYCLE_1)
	s_or_b32 exec_lo, exec_lo, s15
.LBB319_394:                            ;   in Loop: Header=BB319_296 Depth=1
	s_delay_alu instid0(SALU_CYCLE_1) | instskip(SKIP_2) | instid1(VALU_DEP_1)
	s_or_b32 exec_lo, exec_lo, s14
	v_lshrrev_b16 v25, 8, v14
	s_mov_b32 s14, exec_lo
	v_cmpx_ne_u16_e32 0, v25
	s_cbranch_execz .LBB319_402
; %bb.395:                              ;   in Loop: Header=BB319_296 Depth=1
	v_bfrev_b32_e32 v24, 1
	s_mov_b32 s15, exec_lo
	v_cmpx_ne_u16_e32 0x80, v25
	s_cbranch_execz .LBB319_401
; %bb.396:                              ;   in Loop: Header=BB319_296 Depth=1
	v_and_b32_e32 v25, 0xffff, v25
	v_mov_b32_e32 v24, 0x7f800001
	s_mov_b32 s16, exec_lo
	s_delay_alu instid0(VALU_DEP_2) | instskip(NEXT) | instid1(VALU_DEP_1)
	v_and_b32_e32 v51, 0x7f, v25
	v_cmpx_ne_u32_e32 0x7f, v51
	s_cbranch_execz .LBB319_400
; %bb.397:                              ;   in Loop: Header=BB319_296 Depth=1
	v_dual_mov_b32 v25, v15 :: v_dual_bitop2_b32 v24, 7, v25 bitop3:0x40
	v_lshrrev_b32_e32 v45, 3, v51
	s_mov_b32 s17, exec_lo
	v_cmpx_gt_u32_e32 8, v51
; %bb.398:                              ;   in Loop: Header=BB319_296 Depth=1
	s_delay_alu instid0(VALU_DEP_3) | instskip(NEXT) | instid1(VALU_DEP_1)
	v_clz_i32_u32_e32 v45, v24
	v_min_u32_e32 v45, 32, v45
	s_delay_alu instid0(VALU_DEP_1) | instskip(NEXT) | instid1(VALU_DEP_1)
	v_subrev_nc_u32_e32 v51, 28, v45
	v_lshlrev_b64_e32 v[24:25], v51, v[24:25]
	s_delay_alu instid0(VALU_DEP_1)
	v_dual_sub_nc_u32 v45, 29, v45 :: v_dual_bitop2_b32 v24, 7, v24 bitop3:0x40
; %bb.399:                              ;   in Loop: Header=BB319_296 Depth=1
	s_or_b32 exec_lo, exec_lo, s17
	s_delay_alu instid0(VALU_DEP_1) | instskip(NEXT) | instid1(VALU_DEP_2)
	v_dual_lshlrev_b32 v14, 16, v14 :: v_dual_lshlrev_b32 v24, 20, v24
	v_lshl_add_u32 v25, v45, 23, 0x3c000000
	s_delay_alu instid0(VALU_DEP_2) | instskip(NEXT) | instid1(VALU_DEP_1)
	v_and_b32_e32 v14, 0x80000000, v14
	v_or3_b32 v24, v24, v14, v25
.LBB319_400:                            ;   in Loop: Header=BB319_296 Depth=1
	s_or_b32 exec_lo, exec_lo, s16
.LBB319_401:                            ;   in Loop: Header=BB319_296 Depth=1
	s_delay_alu instid0(SALU_CYCLE_1)
	s_or_b32 exec_lo, exec_lo, s15
.LBB319_402:                            ;   in Loop: Header=BB319_296 Depth=1
	s_delay_alu instid0(SALU_CYCLE_1) | instskip(SKIP_3) | instid1(VALU_DEP_2)
	s_or_b32 exec_lo, exec_lo, s14
	v_dual_lshrrev_b32 v45, 16, v23 :: v_dual_mov_b32 v25, 0
	v_mov_b32_e32 v53, 0
	s_mov_b32 s14, exec_lo
	v_and_b32_e32 v14, 0xff, v45
	s_delay_alu instid0(VALU_DEP_1)
	v_cmpx_ne_u16_e32 0, v14
	s_cbranch_execz .LBB319_410
; %bb.403:                              ;   in Loop: Header=BB319_296 Depth=1
	v_bfrev_b32_e32 v53, 1
	s_mov_b32 s15, exec_lo
	v_cmpx_ne_u16_e32 0x80, v14
	s_cbranch_execz .LBB319_409
; %bb.404:                              ;   in Loop: Header=BB319_296 Depth=1
	v_bfe_u32 v52, v23, 16, 7
	v_mov_b32_e32 v53, 0x7f800001
	s_mov_b32 s16, exec_lo
	s_delay_alu instid0(VALU_DEP_2)
	v_cmpx_ne_u32_e32 0x7f, v52
	s_cbranch_execz .LBB319_408
; %bb.405:                              ;   in Loop: Header=BB319_296 Depth=1
	v_dual_lshrrev_b32 v51, 3, v52 :: v_dual_bitop2_b32 v14, 7, v45 bitop3:0x40
	s_mov_b32 s17, exec_lo
	v_cmpx_gt_u32_e32 8, v52
; %bb.406:                              ;   in Loop: Header=BB319_296 Depth=1
	s_delay_alu instid0(VALU_DEP_2) | instskip(NEXT) | instid1(VALU_DEP_1)
	v_clz_i32_u32_e32 v51, v14
	v_min_u32_e32 v51, 32, v51
	s_delay_alu instid0(VALU_DEP_1) | instskip(NEXT) | instid1(VALU_DEP_1)
	v_subrev_nc_u32_e32 v52, 28, v51
	v_lshlrev_b64_e32 v[52:53], v52, v[14:15]
	s_delay_alu instid0(VALU_DEP_1)
	v_dual_sub_nc_u32 v51, 29, v51 :: v_dual_bitop2_b32 v14, 7, v52 bitop3:0x40
; %bb.407:                              ;   in Loop: Header=BB319_296 Depth=1
	s_or_b32 exec_lo, exec_lo, s17
	s_delay_alu instid0(VALU_DEP_1) | instskip(NEXT) | instid1(VALU_DEP_2)
	v_dual_lshlrev_b32 v45, 24, v45 :: v_dual_lshlrev_b32 v14, 20, v14
	v_lshl_add_u32 v51, v51, 23, 0x3c000000
	s_delay_alu instid0(VALU_DEP_2) | instskip(NEXT) | instid1(VALU_DEP_1)
	v_and_b32_e32 v45, 0x80000000, v45
	v_or3_b32 v53, v14, v45, v51
.LBB319_408:                            ;   in Loop: Header=BB319_296 Depth=1
	s_or_b32 exec_lo, exec_lo, s16
.LBB319_409:                            ;   in Loop: Header=BB319_296 Depth=1
	s_delay_alu instid0(SALU_CYCLE_1)
	s_or_b32 exec_lo, exec_lo, s15
.LBB319_410:                            ;   in Loop: Header=BB319_296 Depth=1
	s_delay_alu instid0(SALU_CYCLE_1) | instskip(NEXT) | instid1(SALU_CYCLE_1)
	s_or_b32 exec_lo, exec_lo, s14
	s_mov_b32 s14, exec_lo
	v_cmpx_lt_u64_e64 s[4:5], v[22:23]
	s_cbranch_execz .LBB319_418
; %bb.411:                              ;   in Loop: Header=BB319_296 Depth=1
	v_lshrrev_b32_e32 v22, 24, v23
	v_bfrev_b32_e32 v25, 1
	s_mov_b32 s15, exec_lo
	s_delay_alu instid0(VALU_DEP_2)
	v_cmpx_ne_u32_e32 0x80, v22
	s_cbranch_execz .LBB319_417
; %bb.412:                              ;   in Loop: Header=BB319_296 Depth=1
	v_bfe_u32 v45, v23, 24, 7
	v_mov_b32_e32 v25, 0x7f800001
	s_mov_b32 s16, exec_lo
	s_delay_alu instid0(VALU_DEP_2)
	v_cmpx_ne_u32_e32 0x7f, v45
	s_cbranch_execz .LBB319_416
; %bb.413:                              ;   in Loop: Header=BB319_296 Depth=1
	v_dual_lshrrev_b32 v23, 3, v45 :: v_dual_bitop2_b32 v14, 7, v22 bitop3:0x40
	s_mov_b32 s17, exec_lo
	v_cmpx_gt_u32_e32 8, v45
; %bb.414:                              ;   in Loop: Header=BB319_296 Depth=1
	s_delay_alu instid0(VALU_DEP_2) | instskip(NEXT) | instid1(VALU_DEP_1)
	v_clz_i32_u32_e32 v23, v14
	v_min_u32_e32 v23, 32, v23
	s_delay_alu instid0(VALU_DEP_1) | instskip(NEXT) | instid1(VALU_DEP_1)
	v_subrev_nc_u32_e32 v25, 28, v23
	v_lshlrev_b64_e32 v[54:55], v25, v[14:15]
	s_delay_alu instid0(VALU_DEP_1)
	v_dual_sub_nc_u32 v23, 29, v23 :: v_dual_bitop2_b32 v14, 7, v54 bitop3:0x40
; %bb.415:                              ;   in Loop: Header=BB319_296 Depth=1
	s_or_b32 exec_lo, exec_lo, s17
	v_lshlrev_b32_e32 v22, 24, v22
	s_delay_alu instid0(VALU_DEP_2) | instskip(NEXT) | instid1(VALU_DEP_3)
	v_lshlrev_b32_e32 v14, 20, v14
	v_lshl_add_u32 v23, v23, 23, 0x3c000000
	s_delay_alu instid0(VALU_DEP_3) | instskip(NEXT) | instid1(VALU_DEP_1)
	v_and_b32_e32 v22, 0x80000000, v22
	v_or3_b32 v25, v14, v22, v23
.LBB319_416:                            ;   in Loop: Header=BB319_296 Depth=1
	s_or_b32 exec_lo, exec_lo, s16
.LBB319_417:                            ;   in Loop: Header=BB319_296 Depth=1
	s_delay_alu instid0(SALU_CYCLE_1)
	s_or_b32 exec_lo, exec_lo, s15
.LBB319_418:                            ;   in Loop: Header=BB319_296 Depth=1
	s_delay_alu instid0(SALU_CYCLE_1)
	s_or_b32 exec_lo, exec_lo, s14
	v_fma_mixlo_bf16 v45, s3, v24, 0
	v_fma_mixlo_bf16 v46, s3, v46, 0
	;; [unrolled: 1-line block ×8, first 2 shown]
	s_and_saveexec_b32 s14, vcc_lo
	s_cbranch_execz .LBB319_420
; %bb.419:                              ;   in Loop: Header=BB319_296 Depth=1
	v_cmp_gt_i32_e64 s0, s25, v38
	s_delay_alu instid0(VALU_DEP_1) | instskip(SKIP_1) | instid1(VALU_DEP_1)
	v_cndmask_b32_e64 v52, 0, v52, s0
	v_cmp_gt_i32_e64 s0, s25, v44
	v_cndmask_b32_e64 v51, 0, v51, s0
	v_cmp_gt_i32_e64 s0, s25, v43
	s_delay_alu instid0(VALU_DEP_1) | instskip(SKIP_1) | instid1(VALU_DEP_1)
	v_cndmask_b32_e64 v50, 0, v50, s0
	v_cmp_gt_i32_e64 s0, s25, v42
	v_cndmask_b32_e64 v49, 0, v49, s0
	v_cmp_gt_i32_e64 s0, s25, v41
	s_delay_alu instid0(VALU_DEP_1) | instskip(SKIP_1) | instid1(VALU_DEP_1)
	v_cndmask_b32_e64 v46, 0, v46, s0
	v_cmp_gt_i32_e64 s0, s25, v40
	v_cndmask_b32_e64 v45, 0, v45, s0
	v_cmp_gt_i32_e64 s0, s25, v39
	s_delay_alu instid0(VALU_DEP_1) | instskip(SKIP_1) | instid1(VALU_DEP_1)
	v_cndmask_b32_e64 v47, 0, v47, s0
	v_cmp_gt_i32_e64 s0, s25, v27
	v_cndmask_b32_e64 v48, 0, v48, s0
.LBB319_420:                            ;   in Loop: Header=BB319_296 Depth=1
	s_or_b32 exec_lo, exec_lo, s14
	global_load_b64 v[22:23], v[20:21], off offset:512
	v_dual_mov_b32 v57, 0 :: v_dual_mov_b32 v58, 0
	s_mov_b32 s14, exec_lo
	s_wait_loadcnt 0x0
	v_and_b32_e32 v14, 0xff, v22
	s_delay_alu instid0(VALU_DEP_1)
	v_cmpx_ne_u16_e32 0, v14
	s_cbranch_execz .LBB319_426
; %bb.421:                              ;   in Loop: Header=BB319_296 Depth=1
	v_bfrev_b32_e32 v58, 1
	s_mov_b32 s15, exec_lo
	v_cmpx_ne_u16_e32 0x80, v14
	s_cbranch_execz .LBB319_425
; %bb.422:                              ;   in Loop: Header=BB319_296 Depth=1
	v_and_b32_e32 v14, 0x7f, v22
	v_mov_b32_e32 v58, 0x7f800001
	s_mov_b32 s16, exec_lo
	s_delay_alu instid0(VALU_DEP_2)
	v_cmpx_ne_u32_e32 0x7f, v14
	s_cbranch_execz .LBB319_424
; %bb.423:                              ;   in Loop: Header=BB319_296 Depth=1
	v_and_b32_e32 v24, 7, v22
	v_cmp_gt_u32_e64 s0, 8, v14
	s_delay_alu instid0(VALU_DEP_2) | instskip(NEXT) | instid1(VALU_DEP_1)
	v_clz_i32_u32_e32 v24, v24
	v_min_u32_e32 v24, 32, v24
	v_lshrrev_b32_e32 v25, 3, v14
	s_delay_alu instid0(VALU_DEP_2) | instskip(SKIP_1) | instid1(VALU_DEP_1)
	v_subrev_nc_u32_e32 v53, 28, v24
	v_sub_nc_u32_e32 v24, 29, v24
	v_dual_cndmask_b32 v14, v25, v24, s0 :: v_dual_cndmask_b32 v24, 0, v53, s0
	s_delay_alu instid0(VALU_DEP_1) | instskip(NEXT) | instid1(VALU_DEP_2)
	v_lshl_add_u32 v14, v14, 23, 0x3c000000
	v_lshlrev_b64_e32 v[24:25], v24, v[22:23]
	v_lshlrev_b32_e32 v25, 24, v22
	s_delay_alu instid0(VALU_DEP_1) | instskip(NEXT) | instid1(VALU_DEP_3)
	v_and_b32_e32 v25, 0x80000000, v25
	v_lshlrev_b32_e32 v24, 20, v24
	s_delay_alu instid0(VALU_DEP_1) | instskip(NEXT) | instid1(VALU_DEP_1)
	v_and_b32_e32 v24, 0x700000, v24
	v_or3_b32 v58, v24, v25, v14
.LBB319_424:                            ;   in Loop: Header=BB319_296 Depth=1
	s_or_b32 exec_lo, exec_lo, s16
.LBB319_425:                            ;   in Loop: Header=BB319_296 Depth=1
	s_delay_alu instid0(SALU_CYCLE_1)
	s_or_b32 exec_lo, exec_lo, s15
.LBB319_426:                            ;   in Loop: Header=BB319_296 Depth=1
	s_delay_alu instid0(SALU_CYCLE_1) | instskip(SKIP_2) | instid1(VALU_DEP_1)
	s_or_b32 exec_lo, exec_lo, s14
	v_lshrrev_b16 v14, 8, v22
	s_mov_b32 s14, exec_lo
	v_cmpx_ne_u16_e32 0, v14
	s_cbranch_execz .LBB319_434
; %bb.427:                              ;   in Loop: Header=BB319_296 Depth=1
	v_bfrev_b32_e32 v57, 1
	s_mov_b32 s15, exec_lo
	v_cmpx_ne_u16_e32 0x80, v14
	s_cbranch_execz .LBB319_433
; %bb.428:                              ;   in Loop: Header=BB319_296 Depth=1
	v_and_b32_e32 v14, 0xffff, v14
	v_mov_b32_e32 v57, 0x7f800001
	s_mov_b32 s16, exec_lo
	s_delay_alu instid0(VALU_DEP_2) | instskip(NEXT) | instid1(VALU_DEP_1)
	v_and_b32_e32 v25, 0x7f, v14
	v_cmpx_ne_u32_e32 0x7f, v25
	s_cbranch_execz .LBB319_432
; %bb.429:                              ;   in Loop: Header=BB319_296 Depth=1
	v_dual_lshrrev_b32 v24, 3, v25 :: v_dual_bitop2_b32 v14, 7, v14 bitop3:0x40
	s_mov_b32 s17, exec_lo
	v_cmpx_gt_u32_e32 8, v25
; %bb.430:                              ;   in Loop: Header=BB319_296 Depth=1
	s_delay_alu instid0(VALU_DEP_2) | instskip(NEXT) | instid1(VALU_DEP_1)
	v_clz_i32_u32_e32 v24, v14
	v_min_u32_e32 v24, 32, v24
	s_delay_alu instid0(VALU_DEP_1) | instskip(NEXT) | instid1(VALU_DEP_1)
	v_subrev_nc_u32_e32 v25, 28, v24
	v_lshlrev_b64_e32 v[54:55], v25, v[14:15]
	s_delay_alu instid0(VALU_DEP_1)
	v_dual_sub_nc_u32 v24, 29, v24 :: v_dual_bitop2_b32 v14, 7, v54 bitop3:0x40
; %bb.431:                              ;   in Loop: Header=BB319_296 Depth=1
	s_or_b32 exec_lo, exec_lo, s17
	v_lshlrev_b32_e32 v25, 16, v22
	s_delay_alu instid0(VALU_DEP_2) | instskip(NEXT) | instid1(VALU_DEP_3)
	v_lshlrev_b32_e32 v14, 20, v14
	v_lshl_add_u32 v24, v24, 23, 0x3c000000
	s_delay_alu instid0(VALU_DEP_3) | instskip(NEXT) | instid1(VALU_DEP_1)
	v_and_b32_e32 v25, 0x80000000, v25
	v_or3_b32 v57, v14, v25, v24
.LBB319_432:                            ;   in Loop: Header=BB319_296 Depth=1
	s_or_b32 exec_lo, exec_lo, s16
.LBB319_433:                            ;   in Loop: Header=BB319_296 Depth=1
	s_delay_alu instid0(SALU_CYCLE_1)
	s_or_b32 exec_lo, exec_lo, s15
.LBB319_434:                            ;   in Loop: Header=BB319_296 Depth=1
	s_delay_alu instid0(SALU_CYCLE_1) | instskip(SKIP_3) | instid1(VALU_DEP_2)
	s_or_b32 exec_lo, exec_lo, s14
	v_dual_mov_b32 v55, 0 :: v_dual_lshrrev_b32 v24, 16, v22
	v_mov_b32_e32 v56, 0
	s_mov_b32 s14, exec_lo
	v_and_b32_e32 v14, 0xff, v24
	s_delay_alu instid0(VALU_DEP_1)
	v_cmpx_ne_u16_e32 0, v14
	s_cbranch_execz .LBB319_442
; %bb.435:                              ;   in Loop: Header=BB319_296 Depth=1
	v_bfrev_b32_e32 v56, 1
	s_mov_b32 s15, exec_lo
	v_cmpx_ne_u16_e32 0x80, v14
	s_cbranch_execz .LBB319_441
; %bb.436:                              ;   in Loop: Header=BB319_296 Depth=1
	v_bfe_u32 v53, v22, 16, 7
	v_mov_b32_e32 v56, 0x7f800001
	s_mov_b32 s16, exec_lo
	s_delay_alu instid0(VALU_DEP_2)
	v_cmpx_ne_u32_e32 0x7f, v53
	s_cbranch_execz .LBB319_440
; %bb.437:                              ;   in Loop: Header=BB319_296 Depth=1
	v_dual_lshrrev_b32 v25, 3, v53 :: v_dual_bitop2_b32 v14, 7, v24 bitop3:0x40
	s_mov_b32 s17, exec_lo
	v_cmpx_gt_u32_e32 8, v53
; %bb.438:                              ;   in Loop: Header=BB319_296 Depth=1
	s_delay_alu instid0(VALU_DEP_2) | instskip(NEXT) | instid1(VALU_DEP_1)
	v_clz_i32_u32_e32 v25, v14
	v_min_u32_e32 v25, 32, v25
	s_delay_alu instid0(VALU_DEP_1) | instskip(NEXT) | instid1(VALU_DEP_1)
	v_subrev_nc_u32_e32 v53, 28, v25
	v_lshlrev_b64_e32 v[60:61], v53, v[14:15]
	s_delay_alu instid0(VALU_DEP_1)
	v_dual_sub_nc_u32 v25, 29, v25 :: v_dual_bitop2_b32 v14, 7, v60 bitop3:0x40
; %bb.439:                              ;   in Loop: Header=BB319_296 Depth=1
	s_or_b32 exec_lo, exec_lo, s17
	s_delay_alu instid0(VALU_DEP_1) | instskip(NEXT) | instid1(VALU_DEP_2)
	v_dual_lshlrev_b32 v24, 24, v24 :: v_dual_lshlrev_b32 v14, 20, v14
	v_lshl_add_u32 v25, v25, 23, 0x3c000000
	s_delay_alu instid0(VALU_DEP_2) | instskip(NEXT) | instid1(VALU_DEP_1)
	v_and_b32_e32 v24, 0x80000000, v24
	v_or3_b32 v56, v14, v24, v25
.LBB319_440:                            ;   in Loop: Header=BB319_296 Depth=1
	s_or_b32 exec_lo, exec_lo, s16
.LBB319_441:                            ;   in Loop: Header=BB319_296 Depth=1
	s_delay_alu instid0(SALU_CYCLE_1)
	s_or_b32 exec_lo, exec_lo, s15
.LBB319_442:                            ;   in Loop: Header=BB319_296 Depth=1
	s_delay_alu instid0(SALU_CYCLE_1) | instskip(NEXT) | instid1(SALU_CYCLE_1)
	s_or_b32 exec_lo, exec_lo, s14
	s_mov_b32 s14, exec_lo
	v_cmpx_lt_u32_e32 0xffffff, v22
	s_cbranch_execz .LBB319_450
; %bb.443:                              ;   in Loop: Header=BB319_296 Depth=1
	v_lshrrev_b32_e32 v24, 24, v22
	v_bfrev_b32_e32 v55, 1
	s_mov_b32 s15, exec_lo
	s_delay_alu instid0(VALU_DEP_2)
	v_cmpx_ne_u32_e32 0x80, v24
	s_cbranch_execz .LBB319_449
; %bb.444:                              ;   in Loop: Header=BB319_296 Depth=1
	v_bfe_u32 v53, v22, 24, 7
	v_mov_b32_e32 v55, 0x7f800001
	s_mov_b32 s16, exec_lo
	s_delay_alu instid0(VALU_DEP_2)
	v_cmpx_ne_u32_e32 0x7f, v53
	s_cbranch_execz .LBB319_448
; %bb.445:                              ;   in Loop: Header=BB319_296 Depth=1
	v_dual_lshrrev_b32 v25, 3, v53 :: v_dual_bitop2_b32 v14, 7, v24 bitop3:0x40
	s_mov_b32 s17, exec_lo
	v_cmpx_gt_u32_e32 8, v53
; %bb.446:                              ;   in Loop: Header=BB319_296 Depth=1
	s_delay_alu instid0(VALU_DEP_2) | instskip(NEXT) | instid1(VALU_DEP_1)
	v_clz_i32_u32_e32 v25, v14
	v_min_u32_e32 v25, 32, v25
	s_delay_alu instid0(VALU_DEP_1) | instskip(NEXT) | instid1(VALU_DEP_1)
	v_subrev_nc_u32_e32 v53, 28, v25
	v_lshlrev_b64_e32 v[54:55], v53, v[14:15]
	s_delay_alu instid0(VALU_DEP_1)
	v_dual_sub_nc_u32 v25, 29, v25 :: v_dual_bitop2_b32 v14, 7, v54 bitop3:0x40
; %bb.447:                              ;   in Loop: Header=BB319_296 Depth=1
	s_or_b32 exec_lo, exec_lo, s17
	s_delay_alu instid0(VALU_DEP_1) | instskip(NEXT) | instid1(VALU_DEP_2)
	v_dual_lshlrev_b32 v24, 24, v24 :: v_dual_lshlrev_b32 v14, 20, v14
	v_lshl_add_u32 v25, v25, 23, 0x3c000000
	s_delay_alu instid0(VALU_DEP_2) | instskip(NEXT) | instid1(VALU_DEP_1)
	v_and_b32_e32 v24, 0x80000000, v24
	v_or3_b32 v55, v14, v24, v25
.LBB319_448:                            ;   in Loop: Header=BB319_296 Depth=1
	s_or_b32 exec_lo, exec_lo, s16
.LBB319_449:                            ;   in Loop: Header=BB319_296 Depth=1
	s_delay_alu instid0(SALU_CYCLE_1)
	s_or_b32 exec_lo, exec_lo, s15
.LBB319_450:                            ;   in Loop: Header=BB319_296 Depth=1
	s_delay_alu instid0(SALU_CYCLE_1) | instskip(SKIP_4) | instid1(VALU_DEP_3)
	s_or_b32 exec_lo, exec_lo, s14
	v_and_b32_e32 v25, 0xff, v23
	v_dual_mov_b32 v14, v23 :: v_dual_mov_b32 v24, 0
	v_mov_b32_e32 v54, 0
	s_mov_b32 s14, exec_lo
	v_cmpx_ne_u16_e32 0, v25
	s_cbranch_execz .LBB319_456
; %bb.451:                              ;   in Loop: Header=BB319_296 Depth=1
	v_bfrev_b32_e32 v54, 1
	s_mov_b32 s15, exec_lo
	v_cmpx_ne_u16_e32 0x80, v25
	s_cbranch_execz .LBB319_455
; %bb.452:                              ;   in Loop: Header=BB319_296 Depth=1
	v_and_b32_e32 v25, 0x7f, v23
	v_mov_b32_e32 v54, 0x7f800001
	s_mov_b32 s16, exec_lo
	s_delay_alu instid0(VALU_DEP_2)
	v_cmpx_ne_u32_e32 0x7f, v25
	s_cbranch_execz .LBB319_454
; %bb.453:                              ;   in Loop: Header=BB319_296 Depth=1
	v_dual_lshrrev_b32 v54, 3, v25 :: v_dual_bitop2_b32 v53, 7, v23 bitop3:0x40
	v_cmp_gt_u32_e64 s0, 8, v25
	s_delay_alu instid0(VALU_DEP_2) | instskip(NEXT) | instid1(VALU_DEP_1)
	v_clz_i32_u32_e32 v53, v53
	v_min_u32_e32 v53, 32, v53
	s_delay_alu instid0(VALU_DEP_1) | instskip(SKIP_1) | instid1(VALU_DEP_1)
	v_subrev_nc_u32_e32 v59, 28, v53
	v_sub_nc_u32_e32 v53, 29, v53
	v_dual_cndmask_b32 v25, v54, v53, s0 :: v_dual_cndmask_b32 v53, 0, v59, s0
	s_delay_alu instid0(VALU_DEP_1) | instskip(NEXT) | instid1(VALU_DEP_2)
	v_lshl_add_u32 v25, v25, 23, 0x3c000000
	v_lshlrev_b64_e32 v[60:61], v53, v[14:15]
	v_lshlrev_b32_e32 v53, 24, v14
	s_delay_alu instid0(VALU_DEP_1) | instskip(NEXT) | instid1(VALU_DEP_3)
	v_and_b32_e32 v53, 0x80000000, v53
	v_lshlrev_b32_e32 v54, 20, v60
	s_delay_alu instid0(VALU_DEP_1) | instskip(NEXT) | instid1(VALU_DEP_1)
	v_and_b32_e32 v54, 0x700000, v54
	v_or3_b32 v54, v54, v53, v25
.LBB319_454:                            ;   in Loop: Header=BB319_296 Depth=1
	s_or_b32 exec_lo, exec_lo, s16
.LBB319_455:                            ;   in Loop: Header=BB319_296 Depth=1
	s_delay_alu instid0(SALU_CYCLE_1)
	s_or_b32 exec_lo, exec_lo, s15
.LBB319_456:                            ;   in Loop: Header=BB319_296 Depth=1
	s_delay_alu instid0(SALU_CYCLE_1) | instskip(SKIP_2) | instid1(VALU_DEP_1)
	s_or_b32 exec_lo, exec_lo, s14
	v_lshrrev_b16 v25, 8, v14
	s_mov_b32 s14, exec_lo
	v_cmpx_ne_u16_e32 0, v25
	s_cbranch_execz .LBB319_464
; %bb.457:                              ;   in Loop: Header=BB319_296 Depth=1
	v_bfrev_b32_e32 v24, 1
	s_mov_b32 s15, exec_lo
	v_cmpx_ne_u16_e32 0x80, v25
	s_cbranch_execz .LBB319_463
; %bb.458:                              ;   in Loop: Header=BB319_296 Depth=1
	v_and_b32_e32 v25, 0xffff, v25
	v_mov_b32_e32 v24, 0x7f800001
	s_mov_b32 s16, exec_lo
	s_delay_alu instid0(VALU_DEP_2) | instskip(NEXT) | instid1(VALU_DEP_1)
	v_and_b32_e32 v59, 0x7f, v25
	v_cmpx_ne_u32_e32 0x7f, v59
	s_cbranch_execz .LBB319_462
; %bb.459:                              ;   in Loop: Header=BB319_296 Depth=1
	v_dual_mov_b32 v25, v15 :: v_dual_bitop2_b32 v24, 7, v25 bitop3:0x40
	v_lshrrev_b32_e32 v53, 3, v59
	s_mov_b32 s17, exec_lo
	v_cmpx_gt_u32_e32 8, v59
; %bb.460:                              ;   in Loop: Header=BB319_296 Depth=1
	s_delay_alu instid0(VALU_DEP_3) | instskip(NEXT) | instid1(VALU_DEP_1)
	v_clz_i32_u32_e32 v53, v24
	v_min_u32_e32 v53, 32, v53
	s_delay_alu instid0(VALU_DEP_1) | instskip(NEXT) | instid1(VALU_DEP_1)
	v_subrev_nc_u32_e32 v59, 28, v53
	v_lshlrev_b64_e32 v[24:25], v59, v[24:25]
	s_delay_alu instid0(VALU_DEP_1)
	v_dual_sub_nc_u32 v53, 29, v53 :: v_dual_bitop2_b32 v24, 7, v24 bitop3:0x40
; %bb.461:                              ;   in Loop: Header=BB319_296 Depth=1
	s_or_b32 exec_lo, exec_lo, s17
	s_delay_alu instid0(VALU_DEP_1) | instskip(NEXT) | instid1(VALU_DEP_2)
	v_dual_lshlrev_b32 v14, 16, v14 :: v_dual_lshlrev_b32 v24, 20, v24
	v_lshl_add_u32 v25, v53, 23, 0x3c000000
	s_delay_alu instid0(VALU_DEP_2) | instskip(NEXT) | instid1(VALU_DEP_1)
	v_and_b32_e32 v14, 0x80000000, v14
	v_or3_b32 v24, v24, v14, v25
.LBB319_462:                            ;   in Loop: Header=BB319_296 Depth=1
	s_or_b32 exec_lo, exec_lo, s16
.LBB319_463:                            ;   in Loop: Header=BB319_296 Depth=1
	s_delay_alu instid0(SALU_CYCLE_1)
	s_or_b32 exec_lo, exec_lo, s15
.LBB319_464:                            ;   in Loop: Header=BB319_296 Depth=1
	s_delay_alu instid0(SALU_CYCLE_1) | instskip(SKIP_3) | instid1(VALU_DEP_2)
	s_or_b32 exec_lo, exec_lo, s14
	v_dual_lshrrev_b32 v53, 16, v23 :: v_dual_mov_b32 v25, 0
	v_mov_b32_e32 v59, 0
	s_mov_b32 s14, exec_lo
	v_and_b32_e32 v14, 0xff, v53
	s_delay_alu instid0(VALU_DEP_1)
	v_cmpx_ne_u16_e32 0, v14
	s_cbranch_execz .LBB319_472
; %bb.465:                              ;   in Loop: Header=BB319_296 Depth=1
	v_bfrev_b32_e32 v59, 1
	s_mov_b32 s15, exec_lo
	v_cmpx_ne_u16_e32 0x80, v14
	s_cbranch_execz .LBB319_471
; %bb.466:                              ;   in Loop: Header=BB319_296 Depth=1
	v_bfe_u32 v60, v23, 16, 7
	v_mov_b32_e32 v59, 0x7f800001
	s_mov_b32 s16, exec_lo
	s_delay_alu instid0(VALU_DEP_2)
	v_cmpx_ne_u32_e32 0x7f, v60
	s_cbranch_execz .LBB319_470
; %bb.467:                              ;   in Loop: Header=BB319_296 Depth=1
	v_dual_lshrrev_b32 v59, 3, v60 :: v_dual_bitop2_b32 v14, 7, v53 bitop3:0x40
	s_mov_b32 s17, exec_lo
	v_cmpx_gt_u32_e32 8, v60
; %bb.468:                              ;   in Loop: Header=BB319_296 Depth=1
	s_delay_alu instid0(VALU_DEP_2) | instskip(NEXT) | instid1(VALU_DEP_1)
	v_clz_i32_u32_e32 v59, v14
	v_min_u32_e32 v59, 32, v59
	s_delay_alu instid0(VALU_DEP_1) | instskip(NEXT) | instid1(VALU_DEP_1)
	v_subrev_nc_u32_e32 v60, 28, v59
	v_lshlrev_b64_e32 v[60:61], v60, v[14:15]
	s_delay_alu instid0(VALU_DEP_1)
	v_dual_sub_nc_u32 v59, 29, v59 :: v_dual_bitop2_b32 v14, 7, v60 bitop3:0x40
; %bb.469:                              ;   in Loop: Header=BB319_296 Depth=1
	s_or_b32 exec_lo, exec_lo, s17
	s_delay_alu instid0(VALU_DEP_1) | instskip(NEXT) | instid1(VALU_DEP_2)
	v_dual_lshlrev_b32 v53, 24, v53 :: v_dual_lshlrev_b32 v14, 20, v14
	v_lshl_add_u32 v59, v59, 23, 0x3c000000
	s_delay_alu instid0(VALU_DEP_2) | instskip(NEXT) | instid1(VALU_DEP_1)
	v_and_b32_e32 v53, 0x80000000, v53
	v_or3_b32 v59, v14, v53, v59
.LBB319_470:                            ;   in Loop: Header=BB319_296 Depth=1
	s_or_b32 exec_lo, exec_lo, s16
.LBB319_471:                            ;   in Loop: Header=BB319_296 Depth=1
	s_delay_alu instid0(SALU_CYCLE_1)
	s_or_b32 exec_lo, exec_lo, s15
.LBB319_472:                            ;   in Loop: Header=BB319_296 Depth=1
	s_delay_alu instid0(SALU_CYCLE_1) | instskip(NEXT) | instid1(SALU_CYCLE_1)
	s_or_b32 exec_lo, exec_lo, s14
	s_mov_b32 s14, exec_lo
	v_cmpx_lt_u64_e64 s[4:5], v[22:23]
	s_cbranch_execz .LBB319_480
; %bb.473:                              ;   in Loop: Header=BB319_296 Depth=1
	v_lshrrev_b32_e32 v22, 24, v23
	v_bfrev_b32_e32 v25, 1
	s_mov_b32 s15, exec_lo
	s_delay_alu instid0(VALU_DEP_2)
	v_cmpx_ne_u32_e32 0x80, v22
	s_cbranch_execz .LBB319_479
; %bb.474:                              ;   in Loop: Header=BB319_296 Depth=1
	v_bfe_u32 v53, v23, 24, 7
	v_mov_b32_e32 v25, 0x7f800001
	s_mov_b32 s16, exec_lo
	s_delay_alu instid0(VALU_DEP_2)
	v_cmpx_ne_u32_e32 0x7f, v53
	s_cbranch_execz .LBB319_478
; %bb.475:                              ;   in Loop: Header=BB319_296 Depth=1
	v_dual_lshrrev_b32 v23, 3, v53 :: v_dual_bitop2_b32 v14, 7, v22 bitop3:0x40
	s_mov_b32 s17, exec_lo
	v_cmpx_gt_u32_e32 8, v53
; %bb.476:                              ;   in Loop: Header=BB319_296 Depth=1
	s_delay_alu instid0(VALU_DEP_2) | instskip(NEXT) | instid1(VALU_DEP_1)
	v_clz_i32_u32_e32 v23, v14
	v_min_u32_e32 v23, 32, v23
	s_delay_alu instid0(VALU_DEP_1) | instskip(NEXT) | instid1(VALU_DEP_1)
	v_subrev_nc_u32_e32 v25, 28, v23
	v_lshlrev_b64_e32 v[60:61], v25, v[14:15]
	s_delay_alu instid0(VALU_DEP_1)
	v_dual_sub_nc_u32 v23, 29, v23 :: v_dual_bitop2_b32 v14, 7, v60 bitop3:0x40
; %bb.477:                              ;   in Loop: Header=BB319_296 Depth=1
	s_or_b32 exec_lo, exec_lo, s17
	v_lshlrev_b32_e32 v22, 24, v22
	s_delay_alu instid0(VALU_DEP_2) | instskip(NEXT) | instid1(VALU_DEP_3)
	v_lshlrev_b32_e32 v14, 20, v14
	v_lshl_add_u32 v23, v23, 23, 0x3c000000
	s_delay_alu instid0(VALU_DEP_3) | instskip(NEXT) | instid1(VALU_DEP_1)
	v_and_b32_e32 v22, 0x80000000, v22
	v_or3_b32 v25, v14, v22, v23
.LBB319_478:                            ;   in Loop: Header=BB319_296 Depth=1
	s_or_b32 exec_lo, exec_lo, s16
.LBB319_479:                            ;   in Loop: Header=BB319_296 Depth=1
	s_delay_alu instid0(SALU_CYCLE_1)
	s_or_b32 exec_lo, exec_lo, s15
.LBB319_480:                            ;   in Loop: Header=BB319_296 Depth=1
	s_delay_alu instid0(SALU_CYCLE_1)
	s_or_b32 exec_lo, exec_lo, s14
	v_fma_mixlo_bf16 v53, s3, v24, 0
	v_fma_mixlo_bf16 v54, s3, v54, 0
	;; [unrolled: 1-line block ×8, first 2 shown]
	s_and_saveexec_b32 s14, vcc_lo
	s_cbranch_execz .LBB319_482
; %bb.481:                              ;   in Loop: Header=BB319_296 Depth=1
	v_cmp_gt_i32_e64 s0, s25, v38
	s_delay_alu instid0(VALU_DEP_1) | instskip(SKIP_1) | instid1(VALU_DEP_1)
	v_cndmask_b32_e64 v58, 0, v58, s0
	v_cmp_gt_i32_e64 s0, s25, v44
	v_cndmask_b32_e64 v57, 0, v57, s0
	v_cmp_gt_i32_e64 s0, s25, v43
	s_delay_alu instid0(VALU_DEP_1) | instskip(SKIP_1) | instid1(VALU_DEP_1)
	v_cndmask_b32_e64 v56, 0, v56, s0
	v_cmp_gt_i32_e64 s0, s25, v42
	v_cndmask_b32_e64 v55, 0, v55, s0
	;; [unrolled: 5-line block ×4, first 2 shown]
.LBB319_482:                            ;   in Loop: Header=BB319_296 Depth=1
	s_or_b32 exec_lo, exec_lo, s14
	global_load_b64 v[20:21], v[20:21], off offset:768
	v_dual_mov_b32 v60, 0 :: v_dual_mov_b32 v59, 0
	s_mov_b32 s14, exec_lo
	s_wait_loadcnt 0x0
	v_and_b32_e32 v14, 0xff, v20
	s_delay_alu instid0(VALU_DEP_1)
	v_cmpx_ne_u16_e32 0, v14
	s_cbranch_execz .LBB319_488
; %bb.483:                              ;   in Loop: Header=BB319_296 Depth=1
	v_bfrev_b32_e32 v59, 1
	s_mov_b32 s15, exec_lo
	v_cmpx_ne_u16_e32 0x80, v14
	s_cbranch_execz .LBB319_487
; %bb.484:                              ;   in Loop: Header=BB319_296 Depth=1
	v_and_b32_e32 v14, 0x7f, v20
	v_mov_b32_e32 v59, 0x7f800001
	s_mov_b32 s16, exec_lo
	s_delay_alu instid0(VALU_DEP_2)
	v_cmpx_ne_u32_e32 0x7f, v14
	s_cbranch_execz .LBB319_486
; %bb.485:                              ;   in Loop: Header=BB319_296 Depth=1
	v_dual_lshrrev_b32 v23, 3, v14 :: v_dual_bitop2_b32 v22, 7, v20 bitop3:0x40
	v_cmp_gt_u32_e64 s0, 8, v14
	s_delay_alu instid0(VALU_DEP_2) | instskip(NEXT) | instid1(VALU_DEP_1)
	v_clz_i32_u32_e32 v22, v22
	v_min_u32_e32 v22, 32, v22
	s_delay_alu instid0(VALU_DEP_1) | instskip(SKIP_1) | instid1(VALU_DEP_1)
	v_subrev_nc_u32_e32 v59, 28, v22
	v_sub_nc_u32_e32 v22, 29, v22
	v_dual_cndmask_b32 v14, v23, v22, s0 :: v_dual_cndmask_b32 v22, 0, v59, s0
	s_delay_alu instid0(VALU_DEP_1) | instskip(NEXT) | instid1(VALU_DEP_2)
	v_lshl_add_u32 v14, v14, 23, 0x3c000000
	v_lshlrev_b64_e32 v[22:23], v22, v[20:21]
	v_lshlrev_b32_e32 v23, 24, v20
	s_delay_alu instid0(VALU_DEP_1) | instskip(NEXT) | instid1(VALU_DEP_3)
	v_and_b32_e32 v23, 0x80000000, v23
	v_lshlrev_b32_e32 v22, 20, v22
	s_delay_alu instid0(VALU_DEP_1) | instskip(NEXT) | instid1(VALU_DEP_1)
	v_and_b32_e32 v22, 0x700000, v22
	v_or3_b32 v59, v22, v23, v14
.LBB319_486:                            ;   in Loop: Header=BB319_296 Depth=1
	s_or_b32 exec_lo, exec_lo, s16
.LBB319_487:                            ;   in Loop: Header=BB319_296 Depth=1
	s_delay_alu instid0(SALU_CYCLE_1)
	s_or_b32 exec_lo, exec_lo, s15
.LBB319_488:                            ;   in Loop: Header=BB319_296 Depth=1
	s_delay_alu instid0(SALU_CYCLE_1) | instskip(SKIP_2) | instid1(VALU_DEP_1)
	s_or_b32 exec_lo, exec_lo, s14
	v_lshrrev_b16 v14, 8, v20
	s_mov_b32 s14, exec_lo
	v_cmpx_ne_u16_e32 0, v14
	s_cbranch_execz .LBB319_496
; %bb.489:                              ;   in Loop: Header=BB319_296 Depth=1
	v_bfrev_b32_e32 v60, 1
	s_mov_b32 s15, exec_lo
	v_cmpx_ne_u16_e32 0x80, v14
	s_cbranch_execz .LBB319_495
; %bb.490:                              ;   in Loop: Header=BB319_296 Depth=1
	v_and_b32_e32 v14, 0xffff, v14
	v_mov_b32_e32 v60, 0x7f800001
	s_mov_b32 s16, exec_lo
	s_delay_alu instid0(VALU_DEP_2) | instskip(NEXT) | instid1(VALU_DEP_1)
	v_and_b32_e32 v23, 0x7f, v14
	v_cmpx_ne_u32_e32 0x7f, v23
	s_cbranch_execz .LBB319_494
; %bb.491:                              ;   in Loop: Header=BB319_296 Depth=1
	v_dual_lshrrev_b32 v22, 3, v23 :: v_dual_bitop2_b32 v14, 7, v14 bitop3:0x40
	s_mov_b32 s17, exec_lo
	v_cmpx_gt_u32_e32 8, v23
; %bb.492:                              ;   in Loop: Header=BB319_296 Depth=1
	s_delay_alu instid0(VALU_DEP_2) | instskip(NEXT) | instid1(VALU_DEP_1)
	v_clz_i32_u32_e32 v22, v14
	v_min_u32_e32 v22, 32, v22
	s_delay_alu instid0(VALU_DEP_1) | instskip(NEXT) | instid1(VALU_DEP_1)
	v_subrev_nc_u32_e32 v23, 28, v22
	v_lshlrev_b64_e32 v[60:61], v23, v[14:15]
	s_delay_alu instid0(VALU_DEP_1)
	v_dual_sub_nc_u32 v22, 29, v22 :: v_dual_bitop2_b32 v14, 7, v60 bitop3:0x40
; %bb.493:                              ;   in Loop: Header=BB319_296 Depth=1
	s_or_b32 exec_lo, exec_lo, s17
	s_delay_alu instid0(VALU_DEP_1) | instskip(NEXT) | instid1(VALU_DEP_2)
	v_dual_lshlrev_b32 v23, 16, v20 :: v_dual_lshlrev_b32 v14, 20, v14
	v_lshl_add_u32 v22, v22, 23, 0x3c000000
	s_delay_alu instid0(VALU_DEP_2) | instskip(NEXT) | instid1(VALU_DEP_1)
	v_and_b32_e32 v23, 0x80000000, v23
	v_or3_b32 v60, v14, v23, v22
.LBB319_494:                            ;   in Loop: Header=BB319_296 Depth=1
	s_or_b32 exec_lo, exec_lo, s16
.LBB319_495:                            ;   in Loop: Header=BB319_296 Depth=1
	s_delay_alu instid0(SALU_CYCLE_1)
	s_or_b32 exec_lo, exec_lo, s15
.LBB319_496:                            ;   in Loop: Header=BB319_296 Depth=1
	s_delay_alu instid0(SALU_CYCLE_1) | instskip(SKIP_3) | instid1(VALU_DEP_2)
	s_or_b32 exec_lo, exec_lo, s14
	v_dual_lshrrev_b32 v22, 16, v20 :: v_dual_mov_b32 v62, 0
	v_mov_b32_e32 v61, 0
	s_mov_b32 s14, exec_lo
	v_and_b32_e32 v14, 0xff, v22
	s_delay_alu instid0(VALU_DEP_1)
	v_cmpx_ne_u16_e32 0, v14
	s_cbranch_execz .LBB319_504
; %bb.497:                              ;   in Loop: Header=BB319_296 Depth=1
	v_bfrev_b32_e32 v61, 1
	s_mov_b32 s15, exec_lo
	v_cmpx_ne_u16_e32 0x80, v14
	s_cbranch_execz .LBB319_503
; %bb.498:                              ;   in Loop: Header=BB319_296 Depth=1
	v_bfe_u32 v63, v20, 16, 7
	v_mov_b32_e32 v61, 0x7f800001
	s_mov_b32 s16, exec_lo
	s_delay_alu instid0(VALU_DEP_2)
	v_cmpx_ne_u32_e32 0x7f, v63
	s_cbranch_execz .LBB319_502
; %bb.499:                              ;   in Loop: Header=BB319_296 Depth=1
	v_dual_lshrrev_b32 v23, 3, v63 :: v_dual_bitop2_b32 v14, 7, v22 bitop3:0x40
	s_mov_b32 s17, exec_lo
	v_cmpx_gt_u32_e32 8, v63
; %bb.500:                              ;   in Loop: Header=BB319_296 Depth=1
	s_delay_alu instid0(VALU_DEP_2) | instskip(NEXT) | instid1(VALU_DEP_1)
	v_clz_i32_u32_e32 v23, v14
	v_min_u32_e32 v23, 32, v23
	s_delay_alu instid0(VALU_DEP_1) | instskip(NEXT) | instid1(VALU_DEP_1)
	v_subrev_nc_u32_e32 v61, 28, v23
	v_lshlrev_b64_e32 v[64:65], v61, v[14:15]
	s_delay_alu instid0(VALU_DEP_1)
	v_dual_sub_nc_u32 v23, 29, v23 :: v_dual_bitop2_b32 v14, 7, v64 bitop3:0x40
; %bb.501:                              ;   in Loop: Header=BB319_296 Depth=1
	s_or_b32 exec_lo, exec_lo, s17
	v_lshlrev_b32_e32 v22, 24, v22
	s_delay_alu instid0(VALU_DEP_2) | instskip(NEXT) | instid1(VALU_DEP_3)
	v_lshlrev_b32_e32 v14, 20, v14
	v_lshl_add_u32 v23, v23, 23, 0x3c000000
	s_delay_alu instid0(VALU_DEP_3) | instskip(NEXT) | instid1(VALU_DEP_1)
	v_and_b32_e32 v22, 0x80000000, v22
	v_or3_b32 v61, v14, v22, v23
.LBB319_502:                            ;   in Loop: Header=BB319_296 Depth=1
	s_or_b32 exec_lo, exec_lo, s16
.LBB319_503:                            ;   in Loop: Header=BB319_296 Depth=1
	s_delay_alu instid0(SALU_CYCLE_1)
	s_or_b32 exec_lo, exec_lo, s15
.LBB319_504:                            ;   in Loop: Header=BB319_296 Depth=1
	s_delay_alu instid0(SALU_CYCLE_1) | instskip(NEXT) | instid1(SALU_CYCLE_1)
	s_or_b32 exec_lo, exec_lo, s14
	s_mov_b32 s14, exec_lo
	v_cmpx_lt_u32_e32 0xffffff, v20
	s_cbranch_execz .LBB319_512
; %bb.505:                              ;   in Loop: Header=BB319_296 Depth=1
	v_lshrrev_b32_e32 v22, 24, v20
	v_bfrev_b32_e32 v62, 1
	s_mov_b32 s15, exec_lo
	s_delay_alu instid0(VALU_DEP_2)
	v_cmpx_ne_u32_e32 0x80, v22
	s_cbranch_execz .LBB319_511
; %bb.506:                              ;   in Loop: Header=BB319_296 Depth=1
	v_bfe_u32 v63, v20, 24, 7
	v_mov_b32_e32 v62, 0x7f800001
	s_mov_b32 s16, exec_lo
	s_delay_alu instid0(VALU_DEP_2)
	v_cmpx_ne_u32_e32 0x7f, v63
	s_cbranch_execz .LBB319_510
; %bb.507:                              ;   in Loop: Header=BB319_296 Depth=1
	v_dual_lshrrev_b32 v23, 3, v63 :: v_dual_bitop2_b32 v14, 7, v22 bitop3:0x40
	s_mov_b32 s17, exec_lo
	v_cmpx_gt_u32_e32 8, v63
; %bb.508:                              ;   in Loop: Header=BB319_296 Depth=1
	s_delay_alu instid0(VALU_DEP_2) | instskip(NEXT) | instid1(VALU_DEP_1)
	v_clz_i32_u32_e32 v23, v14
	v_min_u32_e32 v23, 32, v23
	s_delay_alu instid0(VALU_DEP_1) | instskip(NEXT) | instid1(VALU_DEP_1)
	v_subrev_nc_u32_e32 v62, 28, v23
	v_lshlrev_b64_e32 v[62:63], v62, v[14:15]
	s_delay_alu instid0(VALU_DEP_1)
	v_dual_sub_nc_u32 v23, 29, v23 :: v_dual_bitop2_b32 v14, 7, v62 bitop3:0x40
; %bb.509:                              ;   in Loop: Header=BB319_296 Depth=1
	s_or_b32 exec_lo, exec_lo, s17
	v_lshlrev_b32_e32 v22, 24, v22
	s_delay_alu instid0(VALU_DEP_2) | instskip(NEXT) | instid1(VALU_DEP_3)
	v_lshlrev_b32_e32 v14, 20, v14
	v_lshl_add_u32 v23, v23, 23, 0x3c000000
	s_delay_alu instid0(VALU_DEP_3) | instskip(NEXT) | instid1(VALU_DEP_1)
	v_and_b32_e32 v22, 0x80000000, v22
	v_or3_b32 v62, v14, v22, v23
.LBB319_510:                            ;   in Loop: Header=BB319_296 Depth=1
	s_or_b32 exec_lo, exec_lo, s16
.LBB319_511:                            ;   in Loop: Header=BB319_296 Depth=1
	s_delay_alu instid0(SALU_CYCLE_1)
	s_or_b32 exec_lo, exec_lo, s15
.LBB319_512:                            ;   in Loop: Header=BB319_296 Depth=1
	s_delay_alu instid0(SALU_CYCLE_1) | instskip(SKIP_4) | instid1(VALU_DEP_3)
	s_or_b32 exec_lo, exec_lo, s14
	v_and_b32_e32 v23, 0xff, v21
	v_dual_mov_b32 v14, v21 :: v_dual_mov_b32 v22, 0
	v_mov_b32_e32 v63, 0
	s_mov_b32 s14, exec_lo
	v_cmpx_ne_u16_e32 0, v23
	s_cbranch_execz .LBB319_518
; %bb.513:                              ;   in Loop: Header=BB319_296 Depth=1
	v_bfrev_b32_e32 v63, 1
	s_mov_b32 s15, exec_lo
	v_cmpx_ne_u16_e32 0x80, v23
	s_cbranch_execz .LBB319_517
; %bb.514:                              ;   in Loop: Header=BB319_296 Depth=1
	v_and_b32_e32 v23, 0x7f, v21
	v_mov_b32_e32 v63, 0x7f800001
	s_mov_b32 s16, exec_lo
	s_delay_alu instid0(VALU_DEP_2)
	v_cmpx_ne_u32_e32 0x7f, v23
	s_cbranch_execz .LBB319_516
; %bb.515:                              ;   in Loop: Header=BB319_296 Depth=1
	v_dual_lshrrev_b32 v64, 3, v23 :: v_dual_bitop2_b32 v63, 7, v21 bitop3:0x40
	v_cmp_gt_u32_e64 s0, 8, v23
	s_delay_alu instid0(VALU_DEP_2) | instskip(NEXT) | instid1(VALU_DEP_1)
	v_clz_i32_u32_e32 v63, v63
	v_min_u32_e32 v63, 32, v63
	s_delay_alu instid0(VALU_DEP_1) | instskip(SKIP_1) | instid1(VALU_DEP_1)
	v_subrev_nc_u32_e32 v65, 28, v63
	v_sub_nc_u32_e32 v63, 29, v63
	v_dual_cndmask_b32 v23, v64, v63, s0 :: v_dual_cndmask_b32 v63, 0, v65, s0
	s_delay_alu instid0(VALU_DEP_1) | instskip(NEXT) | instid1(VALU_DEP_2)
	v_lshl_add_u32 v23, v23, 23, 0x3c000000
	v_lshlrev_b64_e32 v[64:65], v63, v[14:15]
	v_lshlrev_b32_e32 v63, 24, v14
	s_delay_alu instid0(VALU_DEP_1) | instskip(NEXT) | instid1(VALU_DEP_3)
	v_and_b32_e32 v63, 0x80000000, v63
	v_lshlrev_b32_e32 v64, 20, v64
	s_delay_alu instid0(VALU_DEP_1) | instskip(NEXT) | instid1(VALU_DEP_1)
	v_and_b32_e32 v64, 0x700000, v64
	v_or3_b32 v63, v64, v63, v23
.LBB319_516:                            ;   in Loop: Header=BB319_296 Depth=1
	s_or_b32 exec_lo, exec_lo, s16
.LBB319_517:                            ;   in Loop: Header=BB319_296 Depth=1
	s_delay_alu instid0(SALU_CYCLE_1)
	s_or_b32 exec_lo, exec_lo, s15
.LBB319_518:                            ;   in Loop: Header=BB319_296 Depth=1
	s_delay_alu instid0(SALU_CYCLE_1) | instskip(SKIP_2) | instid1(VALU_DEP_1)
	s_or_b32 exec_lo, exec_lo, s14
	v_lshrrev_b16 v23, 8, v14
	s_mov_b32 s14, exec_lo
	v_cmpx_ne_u16_e32 0, v23
	s_cbranch_execz .LBB319_526
; %bb.519:                              ;   in Loop: Header=BB319_296 Depth=1
	v_bfrev_b32_e32 v22, 1
	s_mov_b32 s15, exec_lo
	v_cmpx_ne_u16_e32 0x80, v23
	s_cbranch_execz .LBB319_525
; %bb.520:                              ;   in Loop: Header=BB319_296 Depth=1
	v_and_b32_e32 v23, 0xffff, v23
	v_mov_b32_e32 v22, 0x7f800001
	s_mov_b32 s16, exec_lo
	s_delay_alu instid0(VALU_DEP_2) | instskip(NEXT) | instid1(VALU_DEP_1)
	v_and_b32_e32 v65, 0x7f, v23
	v_cmpx_ne_u32_e32 0x7f, v65
	s_cbranch_execz .LBB319_524
; %bb.521:                              ;   in Loop: Header=BB319_296 Depth=1
	v_dual_mov_b32 v23, v15 :: v_dual_bitop2_b32 v22, 7, v23 bitop3:0x40
	v_lshrrev_b32_e32 v64, 3, v65
	s_mov_b32 s17, exec_lo
	v_cmpx_gt_u32_e32 8, v65
; %bb.522:                              ;   in Loop: Header=BB319_296 Depth=1
	s_delay_alu instid0(VALU_DEP_3) | instskip(NEXT) | instid1(VALU_DEP_1)
	v_clz_i32_u32_e32 v64, v22
	v_min_u32_e32 v64, 32, v64
	s_delay_alu instid0(VALU_DEP_1) | instskip(NEXT) | instid1(VALU_DEP_1)
	v_subrev_nc_u32_e32 v65, 28, v64
	v_lshlrev_b64_e32 v[22:23], v65, v[22:23]
	s_delay_alu instid0(VALU_DEP_1)
	v_dual_sub_nc_u32 v64, 29, v64 :: v_dual_bitop2_b32 v22, 7, v22 bitop3:0x40
; %bb.523:                              ;   in Loop: Header=BB319_296 Depth=1
	s_or_b32 exec_lo, exec_lo, s17
	v_lshlrev_b32_e32 v14, 16, v14
	s_delay_alu instid0(VALU_DEP_2) | instskip(NEXT) | instid1(VALU_DEP_3)
	v_lshlrev_b32_e32 v22, 20, v22
	v_lshl_add_u32 v23, v64, 23, 0x3c000000
	s_delay_alu instid0(VALU_DEP_3) | instskip(NEXT) | instid1(VALU_DEP_1)
	v_and_b32_e32 v14, 0x80000000, v14
	v_or3_b32 v22, v22, v14, v23
.LBB319_524:                            ;   in Loop: Header=BB319_296 Depth=1
	s_or_b32 exec_lo, exec_lo, s16
.LBB319_525:                            ;   in Loop: Header=BB319_296 Depth=1
	s_delay_alu instid0(SALU_CYCLE_1)
	s_or_b32 exec_lo, exec_lo, s15
.LBB319_526:                            ;   in Loop: Header=BB319_296 Depth=1
	s_delay_alu instid0(SALU_CYCLE_1) | instskip(SKIP_3) | instid1(VALU_DEP_2)
	s_or_b32 exec_lo, exec_lo, s14
	v_dual_lshrrev_b32 v65, 16, v21 :: v_dual_mov_b32 v23, 0
	v_mov_b32_e32 v64, 0
	s_mov_b32 s14, exec_lo
	v_and_b32_e32 v14, 0xff, v65
	s_delay_alu instid0(VALU_DEP_1)
	v_cmpx_ne_u16_e32 0, v14
	s_cbranch_execz .LBB319_534
; %bb.527:                              ;   in Loop: Header=BB319_296 Depth=1
	v_bfrev_b32_e32 v64, 1
	s_mov_b32 s15, exec_lo
	v_cmpx_ne_u16_e32 0x80, v14
	s_cbranch_execz .LBB319_533
; %bb.528:                              ;   in Loop: Header=BB319_296 Depth=1
	v_bfe_u32 v66, v21, 16, 7
	v_mov_b32_e32 v64, 0x7f800001
	s_mov_b32 s16, exec_lo
	s_delay_alu instid0(VALU_DEP_2)
	v_cmpx_ne_u32_e32 0x7f, v66
	s_cbranch_execz .LBB319_532
; %bb.529:                              ;   in Loop: Header=BB319_296 Depth=1
	v_dual_lshrrev_b32 v64, 3, v66 :: v_dual_bitop2_b32 v14, 7, v65 bitop3:0x40
	s_mov_b32 s17, exec_lo
	v_cmpx_gt_u32_e32 8, v66
; %bb.530:                              ;   in Loop: Header=BB319_296 Depth=1
	s_delay_alu instid0(VALU_DEP_2) | instskip(NEXT) | instid1(VALU_DEP_1)
	v_clz_i32_u32_e32 v64, v14
	v_min_u32_e32 v64, 32, v64
	s_delay_alu instid0(VALU_DEP_1) | instskip(NEXT) | instid1(VALU_DEP_1)
	v_subrev_nc_u32_e32 v66, 28, v64
	v_lshlrev_b64_e32 v[66:67], v66, v[14:15]
	s_delay_alu instid0(VALU_DEP_1)
	v_dual_sub_nc_u32 v64, 29, v64 :: v_dual_bitop2_b32 v14, 7, v66 bitop3:0x40
; %bb.531:                              ;   in Loop: Header=BB319_296 Depth=1
	s_or_b32 exec_lo, exec_lo, s17
	s_delay_alu instid0(VALU_DEP_1) | instskip(NEXT) | instid1(VALU_DEP_2)
	v_dual_lshlrev_b32 v65, 24, v65 :: v_dual_lshlrev_b32 v14, 20, v14
	v_lshl_add_u32 v64, v64, 23, 0x3c000000
	s_delay_alu instid0(VALU_DEP_2) | instskip(NEXT) | instid1(VALU_DEP_1)
	v_and_b32_e32 v65, 0x80000000, v65
	v_or3_b32 v64, v14, v65, v64
.LBB319_532:                            ;   in Loop: Header=BB319_296 Depth=1
	s_or_b32 exec_lo, exec_lo, s16
.LBB319_533:                            ;   in Loop: Header=BB319_296 Depth=1
	s_delay_alu instid0(SALU_CYCLE_1)
	s_or_b32 exec_lo, exec_lo, s15
.LBB319_534:                            ;   in Loop: Header=BB319_296 Depth=1
	s_delay_alu instid0(SALU_CYCLE_1) | instskip(NEXT) | instid1(SALU_CYCLE_1)
	s_or_b32 exec_lo, exec_lo, s14
	s_mov_b32 s14, exec_lo
	v_cmpx_lt_u64_e64 s[4:5], v[20:21]
	s_cbranch_execz .LBB319_542
; %bb.535:                              ;   in Loop: Header=BB319_296 Depth=1
	v_lshrrev_b32_e32 v20, 24, v21
	v_bfrev_b32_e32 v23, 1
	s_mov_b32 s15, exec_lo
	s_delay_alu instid0(VALU_DEP_2)
	v_cmpx_ne_u32_e32 0x80, v20
	s_cbranch_execz .LBB319_541
; %bb.536:                              ;   in Loop: Header=BB319_296 Depth=1
	v_bfe_u32 v65, v21, 24, 7
	v_mov_b32_e32 v23, 0x7f800001
	s_mov_b32 s16, exec_lo
	s_delay_alu instid0(VALU_DEP_2)
	v_cmpx_ne_u32_e32 0x7f, v65
	s_cbranch_execz .LBB319_540
; %bb.537:                              ;   in Loop: Header=BB319_296 Depth=1
	v_dual_lshrrev_b32 v21, 3, v65 :: v_dual_bitop2_b32 v14, 7, v20 bitop3:0x40
	s_mov_b32 s17, exec_lo
	v_cmpx_gt_u32_e32 8, v65
; %bb.538:                              ;   in Loop: Header=BB319_296 Depth=1
	s_delay_alu instid0(VALU_DEP_2) | instskip(NEXT) | instid1(VALU_DEP_1)
	v_clz_i32_u32_e32 v21, v14
	v_min_u32_e32 v21, 32, v21
	s_delay_alu instid0(VALU_DEP_1) | instskip(NEXT) | instid1(VALU_DEP_1)
	v_subrev_nc_u32_e32 v23, 28, v21
	v_lshlrev_b64_e32 v[66:67], v23, v[14:15]
	s_delay_alu instid0(VALU_DEP_1)
	v_dual_sub_nc_u32 v21, 29, v21 :: v_dual_bitop2_b32 v14, 7, v66 bitop3:0x40
; %bb.539:                              ;   in Loop: Header=BB319_296 Depth=1
	s_or_b32 exec_lo, exec_lo, s17
	s_delay_alu instid0(VALU_DEP_1) | instskip(NEXT) | instid1(VALU_DEP_2)
	v_dual_lshlrev_b32 v20, 24, v20 :: v_dual_lshlrev_b32 v14, 20, v14
	v_lshl_add_u32 v21, v21, 23, 0x3c000000
	s_delay_alu instid0(VALU_DEP_2) | instskip(NEXT) | instid1(VALU_DEP_1)
	v_and_b32_e32 v20, 0x80000000, v20
	v_or3_b32 v23, v14, v20, v21
.LBB319_540:                            ;   in Loop: Header=BB319_296 Depth=1
	s_or_b32 exec_lo, exec_lo, s16
.LBB319_541:                            ;   in Loop: Header=BB319_296 Depth=1
	s_delay_alu instid0(SALU_CYCLE_1)
	s_or_b32 exec_lo, exec_lo, s15
.LBB319_542:                            ;   in Loop: Header=BB319_296 Depth=1
	s_delay_alu instid0(SALU_CYCLE_1)
	s_or_b32 exec_lo, exec_lo, s14
	v_fma_mixlo_bf16 v14, s3, v22, 0
	v_fma_mixlo_bf16 v20, s3, v63, 0
	;; [unrolled: 1-line block ×8, first 2 shown]
	s_and_saveexec_b32 s0, vcc_lo
	s_cbranch_execz .LBB319_295
; %bb.543:                              ;   in Loop: Header=BB319_296 Depth=1
	v_cmp_gt_i32_e32 vcc_lo, s25, v38
	v_cndmask_b32_e32 v59, 0, v59, vcc_lo
	v_cmp_gt_i32_e32 vcc_lo, s25, v44
	v_cndmask_b32_e32 v60, 0, v60, vcc_lo
	;; [unrolled: 2-line block ×8, first 2 shown]
	s_branch .LBB319_295
.LBB319_544:
	s_or_b32 exec_lo, exec_lo, s7
.LBB319_545:
	s_delay_alu instid0(SALU_CYCLE_1) | instskip(SKIP_4) | instid1(VALU_DEP_2)
	s_or_b32 exec_lo, exec_lo, s1
	v_lshl_add_u32 v2, v26, 2, 0x120
	v_and_b32_e32 v3, 0x3c0, v0
	s_mov_b32 s0, exec_lo
	s_barrier_signal -1
	v_lshl_add_u32 v1, v1, 9, v2
	s_barrier_wait -1
	v_cmpx_eq_u32_e32 64, v3
	s_cbranch_execz .LBB319_547
; %bb.546:
	s_delay_alu instid0(VALU_DEP_2)
	v_add_nc_u32_e32 v3, 0xfffffc00, v1
	v_add_nc_u32_e32 v4, 0xfffffc80, v1
	v_add_nc_u32_e32 v5, 0xfffffd00, v1
	v_add_nc_u32_e32 v6, 0xfffffd80, v1
	ds_store_b32 v3, v12
	ds_store_b32 v4, v13
	;; [unrolled: 1-line block ×4, first 2 shown]
.LBB319_547:
	s_or_b32 exec_lo, exec_lo, s0
	s_wait_dscnt 0x0
	s_barrier_signal -1
	s_barrier_wait -1
	s_and_saveexec_b32 s0, s2
	s_cbranch_execz .LBB319_549
; %bb.548:
	ds_load_2addr_b32 v[4:5], v1 offset1:32
	ds_load_2addr_b32 v[6:7], v1 offset0:64 offset1:96
	s_wait_dscnt 0x1
	v_pk_add_f32 v[12:13], v[12:13], v[4:5]
	s_wait_dscnt 0x0
	v_pk_add_f32 v[10:11], v[10:11], v[6:7]
.LBB319_549:
	s_or_b32 exec_lo, exec_lo, s0
	v_and_b32_e32 v3, 0x3e0, v0
	s_mov_b32 s0, exec_lo
	s_barrier_signal -1
	s_barrier_wait -1
	s_delay_alu instid0(VALU_DEP_1)
	v_cmpx_eq_u32_e32 32, v3
	s_cbranch_execz .LBB319_551
; %bb.550:
	ds_store_2addr_b32 v2, v12, v13 offset1:32
	ds_store_2addr_b32 v2, v10, v11 offset0:64 offset1:96
.LBB319_551:
	s_or_b32 exec_lo, exec_lo, s0
	v_cmp_gt_u32_e32 vcc_lo, 32, v0
	s_wait_dscnt 0x0
	s_barrier_signal -1
	s_barrier_wait -1
	s_and_saveexec_b32 s0, vcc_lo
	s_cbranch_execz .LBB319_553
; %bb.552:
	ds_load_2addr_b32 v[2:3], v1 offset1:32
	ds_load_2addr_b32 v[4:5], v1 offset0:64 offset1:96
	s_wait_dscnt 0x1
	v_pk_add_f32 v[12:13], v[12:13], v[2:3]
	s_wait_dscnt 0x0
	v_pk_add_f32 v[10:11], v[10:11], v[4:5]
.LBB319_553:
	s_or_b32 exec_lo, exec_lo, s0
	s_barrier_signal -1
	s_barrier_wait -1
	s_and_saveexec_b32 s0, vcc_lo
	s_cbranch_execz .LBB319_555
; %bb.554:
	s_mul_i32 s1, s24, s8
	s_bfe_u32 s5, ttmp6, 0x40014
	s_mul_i32 s1, s1, s23
	s_mul_i32 s0, s8, s12
	s_lshl_b32 s2, s1, 7
	s_lshr_b32 s4, ttmp7, 16
	s_add_co_i32 s5, s5, 1
	s_ashr_i32 s3, s2, 31
	s_ashr_i32 s1, s0, 31
	s_mul_i32 s5, s4, s5
	s_bfe_u32 s6, ttmp6, 0x40008
	s_lshl_b64 s[2:3], s[2:3], 1
	s_lshl_b64 s[0:1], s[0:1], 1
	s_add_co_i32 s6, s6, s5
	s_add_nc_u64 s[2:3], s[10:11], s[2:3]
	s_cmp_eq_u32 s22, 0
	s_add_nc_u64 s[0:1], s[2:3], s[0:1]
	s_cselect_b32 s2, s4, s6
	s_mov_b32 s3, 0
	s_lshl_b32 s2, s2, 8
	s_delay_alu instid0(SALU_CYCLE_1) | instskip(NEXT) | instid1(SALU_CYCLE_1)
	s_add_nc_u64 s[0:1], s[0:1], s[2:3]
	v_cvt_pk_bf16_f32 v1, v12, s0
	v_cvt_pk_bf16_f32 v2, v13, s0
	;; [unrolled: 1-line block ×4, first 2 shown]
	s_clause 0x3
	global_store_b16 v0, v1, s[0:1] scale_offset
	global_store_b16 v0, v2, s[0:1] offset:64 scale_offset
	global_store_b16 v0, v3, s[0:1] offset:128 scale_offset
	global_store_b16 v0, v4, s[0:1] offset:192 scale_offset
.LBB319_555:
	s_sendmsg sendmsg(MSG_DEALLOC_VGPRS)
	s_endpgm
	.section	.rodata,"a",@progbits
	.p2align	6, 0x0
	.amdhsa_kernel _ZN4vllm25paged_attention_v1_kernelI14__hip_bfloat16hLi128ELi8ELi128ELNS_18Fp8KVCacheDataTypeE1ELb0EEEvPT_PKS3_PKT0_S9_ifPKiSB_iPKfiiiSD_SD_iiiii
		.amdhsa_group_segment_fixed_size 288
		.amdhsa_private_segment_fixed_size 0
		.amdhsa_kernarg_size 384
		.amdhsa_user_sgpr_count 2
		.amdhsa_user_sgpr_dispatch_ptr 0
		.amdhsa_user_sgpr_queue_ptr 0
		.amdhsa_user_sgpr_kernarg_segment_ptr 1
		.amdhsa_user_sgpr_dispatch_id 0
		.amdhsa_user_sgpr_kernarg_preload_length 0
		.amdhsa_user_sgpr_kernarg_preload_offset 0
		.amdhsa_user_sgpr_private_segment_size 0
		.amdhsa_wavefront_size32 1
		.amdhsa_uses_dynamic_stack 0
		.amdhsa_enable_private_segment 0
		.amdhsa_system_sgpr_workgroup_id_x 1
		.amdhsa_system_sgpr_workgroup_id_y 1
		.amdhsa_system_sgpr_workgroup_id_z 1
		.amdhsa_system_sgpr_workgroup_info 0
		.amdhsa_system_vgpr_workitem_id 0
		.amdhsa_next_free_vgpr 84
		.amdhsa_next_free_sgpr 32
		.amdhsa_named_barrier_count 0
		.amdhsa_reserve_vcc 1
		.amdhsa_float_round_mode_32 0
		.amdhsa_float_round_mode_16_64 0
		.amdhsa_float_denorm_mode_32 3
		.amdhsa_float_denorm_mode_16_64 3
		.amdhsa_fp16_overflow 0
		.amdhsa_memory_ordered 1
		.amdhsa_forward_progress 1
		.amdhsa_inst_pref_size 160
		.amdhsa_round_robin_scheduling 0
		.amdhsa_exception_fp_ieee_invalid_op 0
		.amdhsa_exception_fp_denorm_src 0
		.amdhsa_exception_fp_ieee_div_zero 0
		.amdhsa_exception_fp_ieee_overflow 0
		.amdhsa_exception_fp_ieee_underflow 0
		.amdhsa_exception_fp_ieee_inexact 0
		.amdhsa_exception_int_div_zero 0
	.end_amdhsa_kernel
	.section	.text._ZN4vllm25paged_attention_v1_kernelI14__hip_bfloat16hLi128ELi8ELi128ELNS_18Fp8KVCacheDataTypeE1ELb0EEEvPT_PKS3_PKT0_S9_ifPKiSB_iPKfiiiSD_SD_iiiii,"axG",@progbits,_ZN4vllm25paged_attention_v1_kernelI14__hip_bfloat16hLi128ELi8ELi128ELNS_18Fp8KVCacheDataTypeE1ELb0EEEvPT_PKS3_PKT0_S9_ifPKiSB_iPKfiiiSD_SD_iiiii,comdat
.Lfunc_end319:
	.size	_ZN4vllm25paged_attention_v1_kernelI14__hip_bfloat16hLi128ELi8ELi128ELNS_18Fp8KVCacheDataTypeE1ELb0EEEvPT_PKS3_PKT0_S9_ifPKiSB_iPKfiiiSD_SD_iiiii, .Lfunc_end319-_ZN4vllm25paged_attention_v1_kernelI14__hip_bfloat16hLi128ELi8ELi128ELNS_18Fp8KVCacheDataTypeE1ELb0EEEvPT_PKS3_PKT0_S9_ifPKiSB_iPKfiiiSD_SD_iiiii
                                        ; -- End function
	.set _ZN4vllm25paged_attention_v1_kernelI14__hip_bfloat16hLi128ELi8ELi128ELNS_18Fp8KVCacheDataTypeE1ELb0EEEvPT_PKS3_PKT0_S9_ifPKiSB_iPKfiiiSD_SD_iiiii.num_vgpr, 84
	.set _ZN4vllm25paged_attention_v1_kernelI14__hip_bfloat16hLi128ELi8ELi128ELNS_18Fp8KVCacheDataTypeE1ELb0EEEvPT_PKS3_PKT0_S9_ifPKiSB_iPKfiiiSD_SD_iiiii.num_agpr, 0
	.set _ZN4vllm25paged_attention_v1_kernelI14__hip_bfloat16hLi128ELi8ELi128ELNS_18Fp8KVCacheDataTypeE1ELb0EEEvPT_PKS3_PKT0_S9_ifPKiSB_iPKfiiiSD_SD_iiiii.numbered_sgpr, 32
	.set _ZN4vllm25paged_attention_v1_kernelI14__hip_bfloat16hLi128ELi8ELi128ELNS_18Fp8KVCacheDataTypeE1ELb0EEEvPT_PKS3_PKT0_S9_ifPKiSB_iPKfiiiSD_SD_iiiii.num_named_barrier, 0
	.set _ZN4vllm25paged_attention_v1_kernelI14__hip_bfloat16hLi128ELi8ELi128ELNS_18Fp8KVCacheDataTypeE1ELb0EEEvPT_PKS3_PKT0_S9_ifPKiSB_iPKfiiiSD_SD_iiiii.private_seg_size, 0
	.set _ZN4vllm25paged_attention_v1_kernelI14__hip_bfloat16hLi128ELi8ELi128ELNS_18Fp8KVCacheDataTypeE1ELb0EEEvPT_PKS3_PKT0_S9_ifPKiSB_iPKfiiiSD_SD_iiiii.uses_vcc, 1
	.set _ZN4vllm25paged_attention_v1_kernelI14__hip_bfloat16hLi128ELi8ELi128ELNS_18Fp8KVCacheDataTypeE1ELb0EEEvPT_PKS3_PKT0_S9_ifPKiSB_iPKfiiiSD_SD_iiiii.uses_flat_scratch, 0
	.set _ZN4vllm25paged_attention_v1_kernelI14__hip_bfloat16hLi128ELi8ELi128ELNS_18Fp8KVCacheDataTypeE1ELb0EEEvPT_PKS3_PKT0_S9_ifPKiSB_iPKfiiiSD_SD_iiiii.has_dyn_sized_stack, 0
	.set _ZN4vllm25paged_attention_v1_kernelI14__hip_bfloat16hLi128ELi8ELi128ELNS_18Fp8KVCacheDataTypeE1ELb0EEEvPT_PKS3_PKT0_S9_ifPKiSB_iPKfiiiSD_SD_iiiii.has_recursion, 0
	.set _ZN4vllm25paged_attention_v1_kernelI14__hip_bfloat16hLi128ELi8ELi128ELNS_18Fp8KVCacheDataTypeE1ELb0EEEvPT_PKS3_PKT0_S9_ifPKiSB_iPKfiiiSD_SD_iiiii.has_indirect_call, 0
	.section	.AMDGPU.csdata,"",@progbits
; Kernel info:
; codeLenInByte = 20436
; TotalNumSgprs: 34
; NumVgprs: 84
; ScratchSize: 0
; MemoryBound: 0
; FloatMode: 240
; IeeeMode: 1
; LDSByteSize: 288 bytes/workgroup (compile time only)
; SGPRBlocks: 0
; VGPRBlocks: 5
; NumSGPRsForWavesPerEU: 34
; NumVGPRsForWavesPerEU: 84
; NamedBarCnt: 0
; Occupancy: 10
; WaveLimiterHint : 1
; COMPUTE_PGM_RSRC2:SCRATCH_EN: 0
; COMPUTE_PGM_RSRC2:USER_SGPR: 2
; COMPUTE_PGM_RSRC2:TRAP_HANDLER: 0
; COMPUTE_PGM_RSRC2:TGID_X_EN: 1
; COMPUTE_PGM_RSRC2:TGID_Y_EN: 1
; COMPUTE_PGM_RSRC2:TGID_Z_EN: 1
; COMPUTE_PGM_RSRC2:TIDIG_COMP_CNT: 0
	.section	.text._ZN4vllm25paged_attention_v1_kernelI14__hip_bfloat16hLi192ELi8ELi128ELNS_18Fp8KVCacheDataTypeE1ELb0EEEvPT_PKS3_PKT0_S9_ifPKiSB_iPKfiiiSD_SD_iiiii,"axG",@progbits,_ZN4vllm25paged_attention_v1_kernelI14__hip_bfloat16hLi192ELi8ELi128ELNS_18Fp8KVCacheDataTypeE1ELb0EEEvPT_PKS3_PKT0_S9_ifPKiSB_iPKfiiiSD_SD_iiiii,comdat
	.protected	_ZN4vllm25paged_attention_v1_kernelI14__hip_bfloat16hLi192ELi8ELi128ELNS_18Fp8KVCacheDataTypeE1ELb0EEEvPT_PKS3_PKT0_S9_ifPKiSB_iPKfiiiSD_SD_iiiii ; -- Begin function _ZN4vllm25paged_attention_v1_kernelI14__hip_bfloat16hLi192ELi8ELi128ELNS_18Fp8KVCacheDataTypeE1ELb0EEEvPT_PKS3_PKT0_S9_ifPKiSB_iPKfiiiSD_SD_iiiii
	.globl	_ZN4vllm25paged_attention_v1_kernelI14__hip_bfloat16hLi192ELi8ELi128ELNS_18Fp8KVCacheDataTypeE1ELb0EEEvPT_PKS3_PKT0_S9_ifPKiSB_iPKfiiiSD_SD_iiiii
	.p2align	8
	.type	_ZN4vllm25paged_attention_v1_kernelI14__hip_bfloat16hLi192ELi8ELi128ELNS_18Fp8KVCacheDataTypeE1ELb0EEEvPT_PKS3_PKT0_S9_ifPKiSB_iPKfiiiSD_SD_iiiii,@function
_ZN4vllm25paged_attention_v1_kernelI14__hip_bfloat16hLi192ELi8ELi128ELNS_18Fp8KVCacheDataTypeE1ELb0EEEvPT_PKS3_PKT0_S9_ifPKiSB_iPKfiiiSD_SD_iiiii: ; @_ZN4vllm25paged_attention_v1_kernelI14__hip_bfloat16hLi192ELi8ELi128ELNS_18Fp8KVCacheDataTypeE1ELb0EEEvPT_PKS3_PKT0_S9_ifPKiSB_iPKfiiiSD_SD_iiiii
; %bb.0:
	s_load_b64 s[18:19], s[0:1], 0x20
	s_bfe_u32 s3, ttmp6, 0x4000c
	s_bfe_u32 s5, ttmp6, 0x40010
	s_and_b32 s4, ttmp7, 0xffff
	s_add_co_i32 s3, s3, 1
	s_add_co_i32 s5, s5, 1
	s_and_b32 s2, ttmp6, 15
	s_bfe_u32 s6, ttmp6, 0x40004
	s_mul_i32 s3, ttmp9, s3
	s_mul_i32 s5, s4, s5
	s_getreg_b32 s22, hwreg(HW_REG_IB_STS2, 6, 4)
	s_add_co_i32 s2, s2, s3
	s_add_co_i32 s3, s6, s5
	s_cmp_eq_u32 s22, 0
	s_clause 0x1
	s_load_b32 s23, s[0:1], 0x80
	s_load_b64 s[6:7], s[0:1], 0x30
	s_cselect_b32 s24, s4, s3
	s_cselect_b32 s4, ttmp9, s2
	s_wait_kmcnt 0x0
	s_abs_i32 s2, s18
	s_delay_alu instid0(SALU_CYCLE_1) | instskip(SKIP_1) | instid1(SALU_CYCLE_2)
	s_cvt_f32_u32 s3, s2
	s_sub_co_i32 s5, 0, s2
	v_rcp_iflag_f32_e32 v1, s3
	s_abs_i32 s8, s23
	v_nop
	s_delay_alu instid0(TRANS32_DEP_1) | instskip(SKIP_1) | instid1(SALU_CYCLE_3)
	v_readfirstlane_b32 s3, v1
	s_mul_f32 s3, s3, 0x4f7ffffe
	s_cvt_u32_f32 s3, s3
	s_delay_alu instid0(SALU_CYCLE_3) | instskip(NEXT) | instid1(SALU_CYCLE_1)
	s_mul_i32 s5, s5, s3
	s_mul_hi_u32 s5, s3, s5
	s_delay_alu instid0(SALU_CYCLE_1) | instskip(SKIP_4) | instid1(SALU_CYCLE_1)
	s_add_co_i32 s3, s3, s5
	s_xor_b32 s5, s23, s18
	s_mul_hi_u32 s3, s8, s3
	s_ashr_i32 s5, s5, 31
	s_mul_i32 s9, s3, s2
	s_sub_co_i32 s8, s8, s9
	s_add_co_i32 s9, s3, 1
	s_sub_co_i32 s10, s8, s2
	s_cmp_ge_u32 s8, s2
	s_cselect_b32 s3, s9, s3
	s_cselect_b32 s8, s10, s8
	s_add_co_i32 s9, s3, 1
	s_cmp_ge_u32 s8, s2
	s_cselect_b32 s2, s9, s3
	s_load_b64 s[8:9], s[0:1], 0x40
	s_xor_b32 s2, s2, s5
	s_mov_b32 s3, 0
	s_sub_co_i32 s14, s2, s5
	s_mov_b32 s13, s3
	s_abs_i32 s11, s14
	s_mov_b32 s18, s3
	s_cvt_f32_u32 s2, s11
	s_delay_alu instid0(SALU_CYCLE_3) | instskip(SKIP_1) | instid1(TRANS32_DEP_1)
	v_rcp_iflag_f32_e32 v1, s2
	v_nop
	v_readfirstlane_b32 s2, v1
	s_mul_f32 s2, s2, 0x4f7ffffe
	s_delay_alu instid0(SALU_CYCLE_3) | instskip(SKIP_1) | instid1(SALU_CYCLE_2)
	s_cvt_u32_f32 s5, s2
	s_sub_co_i32 s2, 0, s11
	s_mul_i32 s2, s2, s5
	s_delay_alu instid0(SALU_CYCLE_1)
	s_mul_hi_u32 s10, s5, s2
	s_abs_i32 s2, s4
	s_add_co_i32 s12, s5, s10
	s_wait_kmcnt 0x0
	s_cmp_eq_u64 s[8:9], 0
	s_cbranch_scc1 .LBB320_2
; %bb.1:
	s_ashr_i32 s5, s4, 31
	s_delay_alu instid0(SALU_CYCLE_1) | instskip(NEXT) | instid1(SALU_CYCLE_1)
	s_lshl_b64 s[16:17], s[4:5], 2
	s_add_nc_u64 s[8:9], s[8:9], s[16:17]
	s_load_b32 s18, s[8:9], 0x0
.LBB320_2:
	s_load_b32 s25, s[6:7], s24 offset:0x0 scale_offset
	s_wait_xcnt 0x0
	s_load_b96 s[8:10], s[0:1], 0x48
	v_and_b32_e32 v4, 3, v0
	s_ashr_i32 s5, s4, 31
	s_ashr_i32 s14, s14, 31
	s_mul_u64 s[6:7], s[2:3], s[12:13]
	s_mul_i32 s12, s4, 0xc0
	s_mov_b32 s3, exec_lo
	v_cmpx_gt_u32_e32 0x60, v0
	s_cbranch_execz .LBB320_4
; %bb.3:
	s_load_b64 s[16:17], s[0:1], 0x8
	s_wait_kmcnt 0x0
	s_mul_i32 s20, s8, s24
	s_ashr_i32 s13, s12, 31
	s_ashr_i32 s21, s20, 31
	v_and_b32_e32 v2, 0x3fc, v0
	s_lshl_b64 s[20:21], s[20:21], 1
	s_delay_alu instid0(VALU_DEP_1) | instskip(SKIP_2) | instid1(SALU_CYCLE_1)
	v_mad_u32_u24 v2, 0x60, v4, v2
	s_add_nc_u64 s[16:17], s[16:17], s[20:21]
	s_lshl_b64 s[20:21], s[12:13], 1
	s_add_nc_u64 s[16:17], s[16:17], s[20:21]
	global_load_b32 v1, v0, s[16:17] scale_offset
	s_wait_loadcnt 0x0
	ds_store_b32 v2, v1
.LBB320_4:
	s_or_b32 exec_lo, exec_lo, s3
	s_wait_kmcnt 0x0
	s_add_co_i32 s3, s25, 7
	s_load_b32 s4, s[0:1], 0x38
	s_ashr_i32 s6, s3, 31
	s_mul_i32 s8, s7, s11
	s_lshr_b32 s6, s6, 29
	s_sub_co_i32 s2, s2, s8
	s_add_co_i32 s3, s3, s6
	s_xor_b32 s5, s5, s14
	s_ashr_i32 s13, s3, 3
	s_add_co_i32 s3, s7, 1
	s_sub_co_i32 s6, s2, s11
	s_cmp_ge_u32 s2, s11
	v_lshrrev_b32_e32 v1, 5, v0
	s_cselect_b32 s3, s3, s7
	s_cselect_b32 s2, s6, s2
	s_add_co_i32 s6, s3, 1
	s_cmp_ge_u32 s2, s11
	v_mbcnt_lo_u32_b32 v10, -1, 0
	s_cselect_b32 s2, s6, s3
	s_wait_dscnt 0x0
	s_xor_b32 s2, s2, s5
	s_wait_kmcnt 0x0
	s_mul_i32 s14, s4, s24
	s_sub_co_i32 s3, s2, s5
	v_cmp_gt_i32_e64 s2, s13, v1
	s_ashr_i32 s15, s14, 31
	s_mov_b32 s4, exec_lo
	s_barrier_signal -1
	s_barrier_wait -1
                                        ; implicit-def: $vgpr3
                                        ; implicit-def: $vgpr11
	v_cmpx_le_i32_e64 s13, v1
	s_xor_b32 s4, exec_lo, s4
; %bb.5:
	v_dual_mov_b32 v3, 0 :: v_dual_mov_b32 v11, 32
	v_mbcnt_lo_u32_b32 v10, -1, 0
                                        ; implicit-def: $vgpr4
; %bb.6:
	s_or_saveexec_b32 s26, s4
	s_clause 0x2
	s_load_b32 s8, s[0:1], 0x88
	s_load_b64 s[16:17], s[0:1], 0x28
	s_load_b128 s[4:7], s[0:1], 0x58
	v_mov_b32_e32 v62, 0xff7fffff
	v_lshrrev_b32_e32 v20, 3, v0
	s_mul_i32 s10, s3, s10
	s_xor_b32 exec_lo, exec_lo, s26
	s_cbranch_execz .LBB320_396
; %bb.7:
	v_mul_u32_u24_e32 v5, 0x60, v4
	s_load_b64 s[20:21], s[0:1], 0x10
	v_bfe_u32 v11, v0, 2, 3
	v_mov_b32_e32 v3, 0
	s_ashr_i32 s11, s10, 31
	ds_load_b128 v[6:9], v5
	ds_load_b128 v[26:29], v5 offset:16
	ds_load_b128 v[34:37], v5 offset:32
	ds_load_b128 v[42:45], v5 offset:48
	ds_load_b128 v[50:53], v5 offset:64
	v_lshlrev_b32_e32 v2, 4, v11
	s_wait_kmcnt 0x0
	s_load_b32 s5, s[4:5], 0x0
	s_cmp_neq_f32 s18, 0
	v_lshl_or_b32 v64, v1, 3, v11
	v_mov_b32_e32 v62, 0xff7fffff
	v_mov_b32_e32 v66, v1
	s_cselect_b32 s3, -1, 0
	s_add_nc_u64 s[20:21], s[20:21], s[10:11]
	s_mov_b32 s11, 0
	s_wait_dscnt 0x4
	v_dual_lshlrev_b32 v12, 16, v6 :: v_dual_lshlrev_b32 v14, 16, v7
	v_and_b32_e32 v13, 0xffff0000, v6
	v_and_b32_e32 v15, 0xffff0000, v7
	v_dual_lshlrev_b32 v16, 16, v8 :: v_dual_lshlrev_b32 v18, 16, v9
	v_and_b32_e32 v17, 0xffff0000, v8
	v_and_b32_e32 v19, 0xffff0000, v9
	ds_load_b128 v[6:9], v5 offset:80
	v_xor_b32_e32 v5, 2, v10
	s_wait_dscnt 0x4
	v_dual_lshlrev_b32 v21, 16, v26 :: v_dual_lshlrev_b32 v23, 16, v27
	v_and_b32_e32 v22, 0xffff0000, v26
	v_and_b32_e32 v24, 0xffff0000, v27
	v_cmp_gt_i32_e32 vcc_lo, 32, v5
	v_dual_lshlrev_b32 v25, 16, v28 :: v_dual_lshlrev_b32 v27, 16, v29
	v_and_b32_e32 v26, 0xffff0000, v28
	v_and_b32_e32 v28, 0xffff0000, v29
	s_wait_dscnt 0x3
	v_dual_lshlrev_b32 v29, 16, v34 :: v_dual_lshlrev_b32 v31, 16, v35
	v_and_b32_e32 v30, 0xffff0000, v34
	v_and_b32_e32 v32, 0xffff0000, v35
	v_dual_lshlrev_b32 v33, 16, v36 :: v_dual_lshlrev_b32 v35, 16, v37
	v_and_b32_e32 v34, 0xffff0000, v36
	v_and_b32_e32 v36, 0xffff0000, v37
	s_wait_dscnt 0x2
	v_dual_lshlrev_b32 v37, 16, v42 :: v_dual_lshlrev_b32 v39, 16, v43
	s_wait_dscnt 0x0
	v_lshlrev_b32_e32 v57, 16, v8
	v_and_b32_e32 v58, 0xffff0000, v8
	v_dual_lshlrev_b32 v59, 16, v9 :: v_dual_bitop2_b32 v8, 1, v10 bitop3:0x14
	v_cndmask_b32_e32 v5, v10, v5, vcc_lo
	v_and_b32_e32 v38, 0xffff0000, v42
	v_and_b32_e32 v40, 0xffff0000, v43
	v_dual_lshlrev_b32 v41, 16, v44 :: v_dual_lshlrev_b32 v43, 16, v45
	v_cmp_gt_i32_e32 vcc_lo, 32, v8
	v_and_b32_e32 v42, 0xffff0000, v44
	v_and_b32_e32 v44, 0xffff0000, v45
	v_dual_lshlrev_b32 v45, 16, v50 :: v_dual_lshlrev_b32 v47, 16, v51
	v_and_b32_e32 v46, 0xffff0000, v50
	v_and_b32_e32 v48, 0xffff0000, v51
	v_dual_lshlrev_b32 v49, 16, v52 :: v_dual_lshlrev_b32 v51, 16, v53
	;; [unrolled: 3-line block ×3, first 2 shown]
	v_and_b32_e32 v54, 0xffff0000, v6
	v_and_b32_e32 v56, 0xffff0000, v7
	v_add_nc_u64_e32 v[6:7], s[20:21], v[2:3]
	v_cndmask_b32_e32 v8, v10, v8, vcc_lo
	v_dual_lshlrev_b32 v2, 1, v4 :: v_dual_lshlrev_b32 v61, 2, v5
	v_lshlrev_b32_e32 v5, 2, v11
	v_cmp_eq_u32_e32 vcc_lo, 0, v4
	s_delay_alu instid0(VALU_DEP_4)
	v_lshlrev_b32_e32 v63, 2, v8
	s_lshl_b64 s[20:21], s[14:15], 2
	v_and_b32_e32 v60, 0xffff0000, v9
	v_lshl_or_b32 v8, v1, 5, v5
	v_add_nc_u64_e32 v[4:5], v[6:7], v[2:3]
	v_and_b32_e32 v2, 0x7c, v20
	s_add_nc_u64 s[20:21], s[16:17], s[20:21]
	v_mov_b32_e32 v11, 32
	v_add_nc_u32_e32 v65, 0x1a0, v8
	s_delay_alu instid0(VALU_DEP_3)
	v_add_nc_u64_e32 v[6:7], s[20:21], v[2:3]
	s_mov_b32 s20, s9
	s_sub_co_i32 s21, 1, s25
	s_branch .LBB320_9
.LBB320_8:                              ;   in Loop: Header=BB320_9 Depth=1
	s_or_b32 exec_lo, exec_lo, s27
	v_dual_add_nc_u32 v66, 4, v66 :: v_dual_add_nc_u32 v64, 32, v64
	v_add_nc_u64_e32 v[6:7], 16, v[6:7]
	v_add_nc_u32_e32 v65, 0x80, v65
	s_delay_alu instid0(VALU_DEP_3) | instskip(SKIP_1) | instid1(SALU_CYCLE_1)
	v_cmp_le_i32_e64 s4, s13, v66
	s_or_b32 s11, s4, s11
	s_and_not1_b32 exec_lo, exec_lo, s11
	s_cbranch_execz .LBB320_395
.LBB320_9:                              ; =>This Inner Loop Header: Depth=1
	global_load_b32 v2, v[6:7], off
	v_mov_b32_e32 v67, 0
	s_wait_loadcnt_dscnt 0x0
	v_mad_nc_i64_i32 v[8:9], v2, s20, v[4:5]
	global_load_u16 v2, v[8:9], off
	s_wait_loadcnt 0x0
	v_and_b32_e32 v68, 0xff, v2
	v_and_b32_e32 v69, 0xffff, v2
	s_delay_alu instid0(VALU_DEP_2)
	v_cmp_ne_u16_e64 s4, 0, v68
	v_mov_b32_e32 v68, 0
	s_wait_xcnt 0x0
	s_and_saveexec_b32 s27, s4
	s_cbranch_execz .LBB320_17
; %bb.10:                               ;   in Loop: Header=BB320_9 Depth=1
	v_and_b32_e32 v2, 0xff, v69
	v_bfrev_b32_e32 v68, 1
	s_mov_b32 s28, exec_lo
	s_delay_alu instid0(VALU_DEP_2)
	v_cmpx_ne_u16_e32 0x80, v2
	s_cbranch_execz .LBB320_16
; %bb.11:                               ;   in Loop: Header=BB320_9 Depth=1
	v_and_b32_e32 v70, 0x7f, v69
	v_mov_b32_e32 v68, 0x7f800001
	s_mov_b32 s29, exec_lo
	s_delay_alu instid0(VALU_DEP_2)
	v_cmpx_ne_u32_e32 0x7f, v70
	s_cbranch_execz .LBB320_15
; %bb.12:                               ;   in Loop: Header=BB320_9 Depth=1
	v_dual_lshrrev_b32 v68, 3, v70 :: v_dual_bitop2_b32 v2, 7, v69 bitop3:0x40
	s_mov_b32 s30, exec_lo
	v_cmpx_gt_u32_e32 8, v70
; %bb.13:                               ;   in Loop: Header=BB320_9 Depth=1
	s_delay_alu instid0(VALU_DEP_2) | instskip(NEXT) | instid1(VALU_DEP_1)
	v_clz_i32_u32_e32 v68, v2
	v_min_u32_e32 v68, 32, v68
	s_delay_alu instid0(VALU_DEP_1) | instskip(NEXT) | instid1(VALU_DEP_1)
	v_subrev_nc_u32_e32 v70, 28, v68
	v_lshlrev_b64_e32 v[70:71], v70, v[2:3]
	s_delay_alu instid0(VALU_DEP_1)
	v_dual_sub_nc_u32 v68, 29, v68 :: v_dual_bitop2_b32 v2, 7, v70 bitop3:0x40
; %bb.14:                               ;   in Loop: Header=BB320_9 Depth=1
	s_or_b32 exec_lo, exec_lo, s30
	s_delay_alu instid0(VALU_DEP_1) | instskip(NEXT) | instid1(VALU_DEP_2)
	v_dual_lshlrev_b32 v70, 24, v69 :: v_dual_lshlrev_b32 v2, 20, v2
	v_lshl_add_u32 v68, v68, 23, 0x3c000000
	s_delay_alu instid0(VALU_DEP_2) | instskip(NEXT) | instid1(VALU_DEP_1)
	v_and_b32_e32 v70, 0x80000000, v70
	v_or3_b32 v68, v2, v70, v68
.LBB320_15:                             ;   in Loop: Header=BB320_9 Depth=1
	s_or_b32 exec_lo, exec_lo, s29
.LBB320_16:                             ;   in Loop: Header=BB320_9 Depth=1
	s_delay_alu instid0(SALU_CYCLE_1)
	s_or_b32 exec_lo, exec_lo, s28
.LBB320_17:                             ;   in Loop: Header=BB320_9 Depth=1
	s_delay_alu instid0(SALU_CYCLE_1) | instskip(SKIP_2) | instid1(VALU_DEP_1)
	s_or_b32 exec_lo, exec_lo, s27
	v_lshrrev_b16 v2, 8, v69
	s_mov_b32 s27, exec_lo
	v_cmpx_ne_u16_e32 0, v2
	s_cbranch_execz .LBB320_25
; %bb.18:                               ;   in Loop: Header=BB320_9 Depth=1
	v_bfrev_b32_e32 v67, 1
	s_mov_b32 s28, exec_lo
	v_cmpx_ne_u16_e32 0x80, v2
	s_cbranch_execz .LBB320_24
; %bb.19:                               ;   in Loop: Header=BB320_9 Depth=1
	v_and_b32_e32 v2, 0xffff, v2
	v_mov_b32_e32 v67, 0x7f800001
	s_mov_b32 s29, exec_lo
	s_delay_alu instid0(VALU_DEP_2) | instskip(NEXT) | instid1(VALU_DEP_1)
	v_and_b32_e32 v70, 0x7f, v2
	v_cmpx_ne_u32_e32 0x7f, v70
	s_cbranch_execz .LBB320_23
; %bb.20:                               ;   in Loop: Header=BB320_9 Depth=1
	v_and_b32_e32 v2, 7, v2
	v_lshrrev_b32_e32 v67, 3, v70
	s_mov_b32 s30, exec_lo
	v_cmpx_gt_u32_e32 8, v70
; %bb.21:                               ;   in Loop: Header=BB320_9 Depth=1
	s_delay_alu instid0(VALU_DEP_3) | instskip(NEXT) | instid1(VALU_DEP_1)
	v_clz_i32_u32_e32 v67, v2
	v_min_u32_e32 v67, 32, v67
	s_delay_alu instid0(VALU_DEP_1) | instskip(NEXT) | instid1(VALU_DEP_1)
	v_subrev_nc_u32_e32 v70, 28, v67
	v_lshlrev_b64_e32 v[70:71], v70, v[2:3]
	s_delay_alu instid0(VALU_DEP_1)
	v_dual_sub_nc_u32 v67, 29, v67 :: v_dual_bitop2_b32 v2, 7, v70 bitop3:0x40
; %bb.22:                               ;   in Loop: Header=BB320_9 Depth=1
	s_or_b32 exec_lo, exec_lo, s30
	s_delay_alu instid0(VALU_DEP_1) | instskip(NEXT) | instid1(VALU_DEP_2)
	v_dual_lshlrev_b32 v69, 16, v69 :: v_dual_lshlrev_b32 v2, 20, v2
	v_lshl_add_u32 v67, v67, 23, 0x3c000000
	s_delay_alu instid0(VALU_DEP_2) | instskip(NEXT) | instid1(VALU_DEP_1)
	v_and_b32_e32 v69, 0x80000000, v69
	v_or3_b32 v67, v2, v69, v67
.LBB320_23:                             ;   in Loop: Header=BB320_9 Depth=1
	s_or_b32 exec_lo, exec_lo, s29
.LBB320_24:                             ;   in Loop: Header=BB320_9 Depth=1
	s_delay_alu instid0(SALU_CYCLE_1)
	s_or_b32 exec_lo, exec_lo, s28
.LBB320_25:                             ;   in Loop: Header=BB320_9 Depth=1
	s_delay_alu instid0(SALU_CYCLE_1)
	s_or_b32 exec_lo, exec_lo, s27
	global_load_u16 v2, v[8:9], off offset:8
	v_mov_b32_e32 v69, 0
	s_wait_loadcnt 0x0
	v_and_b32_e32 v70, 0xff, v2
	v_and_b32_e32 v71, 0xffff, v2
	s_delay_alu instid0(VALU_DEP_2)
	v_cmp_ne_u16_e64 s4, 0, v70
	v_mov_b32_e32 v70, 0
	s_and_saveexec_b32 s27, s4
	s_cbranch_execz .LBB320_33
; %bb.26:                               ;   in Loop: Header=BB320_9 Depth=1
	v_and_b32_e32 v2, 0xff, v71
	v_bfrev_b32_e32 v70, 1
	s_mov_b32 s28, exec_lo
	s_delay_alu instid0(VALU_DEP_2)
	v_cmpx_ne_u16_e32 0x80, v2
	s_cbranch_execz .LBB320_32
; %bb.27:                               ;   in Loop: Header=BB320_9 Depth=1
	v_and_b32_e32 v72, 0x7f, v71
	v_mov_b32_e32 v70, 0x7f800001
	s_mov_b32 s29, exec_lo
	s_delay_alu instid0(VALU_DEP_2)
	v_cmpx_ne_u32_e32 0x7f, v72
	s_cbranch_execz .LBB320_31
; %bb.28:                               ;   in Loop: Header=BB320_9 Depth=1
	v_dual_lshrrev_b32 v70, 3, v72 :: v_dual_bitop2_b32 v2, 7, v71 bitop3:0x40
	s_mov_b32 s30, exec_lo
	v_cmpx_gt_u32_e32 8, v72
; %bb.29:                               ;   in Loop: Header=BB320_9 Depth=1
	s_delay_alu instid0(VALU_DEP_2) | instskip(NEXT) | instid1(VALU_DEP_1)
	v_clz_i32_u32_e32 v70, v2
	v_min_u32_e32 v70, 32, v70
	s_delay_alu instid0(VALU_DEP_1) | instskip(NEXT) | instid1(VALU_DEP_1)
	v_subrev_nc_u32_e32 v72, 28, v70
	v_lshlrev_b64_e32 v[72:73], v72, v[2:3]
	s_delay_alu instid0(VALU_DEP_1)
	v_dual_sub_nc_u32 v70, 29, v70 :: v_dual_bitop2_b32 v2, 7, v72 bitop3:0x40
; %bb.30:                               ;   in Loop: Header=BB320_9 Depth=1
	s_or_b32 exec_lo, exec_lo, s30
	s_delay_alu instid0(VALU_DEP_1) | instskip(NEXT) | instid1(VALU_DEP_2)
	v_dual_lshlrev_b32 v72, 24, v71 :: v_dual_lshlrev_b32 v2, 20, v2
	v_lshl_add_u32 v70, v70, 23, 0x3c000000
	s_delay_alu instid0(VALU_DEP_2) | instskip(NEXT) | instid1(VALU_DEP_1)
	v_and_b32_e32 v72, 0x80000000, v72
	v_or3_b32 v70, v2, v72, v70
.LBB320_31:                             ;   in Loop: Header=BB320_9 Depth=1
	s_or_b32 exec_lo, exec_lo, s29
.LBB320_32:                             ;   in Loop: Header=BB320_9 Depth=1
	s_delay_alu instid0(SALU_CYCLE_1)
	s_or_b32 exec_lo, exec_lo, s28
.LBB320_33:                             ;   in Loop: Header=BB320_9 Depth=1
	s_delay_alu instid0(SALU_CYCLE_1) | instskip(SKIP_2) | instid1(VALU_DEP_1)
	s_or_b32 exec_lo, exec_lo, s27
	v_lshrrev_b16 v2, 8, v71
	s_mov_b32 s27, exec_lo
	v_cmpx_ne_u16_e32 0, v2
	s_cbranch_execz .LBB320_41
; %bb.34:                               ;   in Loop: Header=BB320_9 Depth=1
	v_bfrev_b32_e32 v69, 1
	s_mov_b32 s28, exec_lo
	v_cmpx_ne_u16_e32 0x80, v2
	s_cbranch_execz .LBB320_40
; %bb.35:                               ;   in Loop: Header=BB320_9 Depth=1
	v_and_b32_e32 v2, 0xffff, v2
	v_mov_b32_e32 v69, 0x7f800001
	s_mov_b32 s29, exec_lo
	s_delay_alu instid0(VALU_DEP_2) | instskip(NEXT) | instid1(VALU_DEP_1)
	v_and_b32_e32 v72, 0x7f, v2
	v_cmpx_ne_u32_e32 0x7f, v72
	s_cbranch_execz .LBB320_39
; %bb.36:                               ;   in Loop: Header=BB320_9 Depth=1
	v_dual_lshrrev_b32 v69, 3, v72 :: v_dual_bitop2_b32 v2, 7, v2 bitop3:0x40
	s_mov_b32 s30, exec_lo
	v_cmpx_gt_u32_e32 8, v72
; %bb.37:                               ;   in Loop: Header=BB320_9 Depth=1
	s_delay_alu instid0(VALU_DEP_2) | instskip(NEXT) | instid1(VALU_DEP_1)
	v_clz_i32_u32_e32 v69, v2
	v_min_u32_e32 v69, 32, v69
	s_delay_alu instid0(VALU_DEP_1) | instskip(NEXT) | instid1(VALU_DEP_1)
	v_subrev_nc_u32_e32 v72, 28, v69
	v_lshlrev_b64_e32 v[72:73], v72, v[2:3]
	s_delay_alu instid0(VALU_DEP_1)
	v_dual_sub_nc_u32 v69, 29, v69 :: v_dual_bitop2_b32 v2, 7, v72 bitop3:0x40
; %bb.38:                               ;   in Loop: Header=BB320_9 Depth=1
	s_or_b32 exec_lo, exec_lo, s30
	s_delay_alu instid0(VALU_DEP_1) | instskip(NEXT) | instid1(VALU_DEP_2)
	v_dual_lshlrev_b32 v71, 16, v71 :: v_dual_lshlrev_b32 v2, 20, v2
	v_lshl_add_u32 v69, v69, 23, 0x3c000000
	s_delay_alu instid0(VALU_DEP_2) | instskip(NEXT) | instid1(VALU_DEP_1)
	v_and_b32_e32 v71, 0x80000000, v71
	v_or3_b32 v69, v2, v71, v69
.LBB320_39:                             ;   in Loop: Header=BB320_9 Depth=1
	s_or_b32 exec_lo, exec_lo, s29
.LBB320_40:                             ;   in Loop: Header=BB320_9 Depth=1
	s_delay_alu instid0(SALU_CYCLE_1)
	s_or_b32 exec_lo, exec_lo, s28
.LBB320_41:                             ;   in Loop: Header=BB320_9 Depth=1
	s_delay_alu instid0(SALU_CYCLE_1)
	s_or_b32 exec_lo, exec_lo, s27
	global_load_u16 v2, v[8:9], off offset:128
	v_mov_b32_e32 v71, 0
	s_wait_loadcnt 0x0
	v_and_b32_e32 v72, 0xff, v2
	v_and_b32_e32 v73, 0xffff, v2
	s_delay_alu instid0(VALU_DEP_2)
	v_cmp_ne_u16_e64 s4, 0, v72
	v_mov_b32_e32 v72, 0
	s_and_saveexec_b32 s27, s4
	s_cbranch_execz .LBB320_49
; %bb.42:                               ;   in Loop: Header=BB320_9 Depth=1
	v_and_b32_e32 v2, 0xff, v73
	v_bfrev_b32_e32 v72, 1
	s_mov_b32 s28, exec_lo
	s_delay_alu instid0(VALU_DEP_2)
	v_cmpx_ne_u16_e32 0x80, v2
	s_cbranch_execz .LBB320_48
; %bb.43:                               ;   in Loop: Header=BB320_9 Depth=1
	v_and_b32_e32 v74, 0x7f, v73
	v_mov_b32_e32 v72, 0x7f800001
	s_mov_b32 s29, exec_lo
	s_delay_alu instid0(VALU_DEP_2)
	v_cmpx_ne_u32_e32 0x7f, v74
	s_cbranch_execz .LBB320_47
; %bb.44:                               ;   in Loop: Header=BB320_9 Depth=1
	v_dual_lshrrev_b32 v72, 3, v74 :: v_dual_bitop2_b32 v2, 7, v73 bitop3:0x40
	s_mov_b32 s30, exec_lo
	v_cmpx_gt_u32_e32 8, v74
; %bb.45:                               ;   in Loop: Header=BB320_9 Depth=1
	s_delay_alu instid0(VALU_DEP_2) | instskip(NEXT) | instid1(VALU_DEP_1)
	v_clz_i32_u32_e32 v72, v2
	v_min_u32_e32 v72, 32, v72
	s_delay_alu instid0(VALU_DEP_1) | instskip(NEXT) | instid1(VALU_DEP_1)
	v_subrev_nc_u32_e32 v74, 28, v72
	v_lshlrev_b64_e32 v[74:75], v74, v[2:3]
	s_delay_alu instid0(VALU_DEP_1)
	v_dual_sub_nc_u32 v72, 29, v72 :: v_dual_bitop2_b32 v2, 7, v74 bitop3:0x40
; %bb.46:                               ;   in Loop: Header=BB320_9 Depth=1
	s_or_b32 exec_lo, exec_lo, s30
	s_delay_alu instid0(VALU_DEP_1) | instskip(NEXT) | instid1(VALU_DEP_2)
	v_dual_lshlrev_b32 v74, 24, v73 :: v_dual_lshlrev_b32 v2, 20, v2
	v_lshl_add_u32 v72, v72, 23, 0x3c000000
	s_delay_alu instid0(VALU_DEP_2) | instskip(NEXT) | instid1(VALU_DEP_1)
	v_and_b32_e32 v74, 0x80000000, v74
	v_or3_b32 v72, v2, v74, v72
.LBB320_47:                             ;   in Loop: Header=BB320_9 Depth=1
	s_or_b32 exec_lo, exec_lo, s29
.LBB320_48:                             ;   in Loop: Header=BB320_9 Depth=1
	s_delay_alu instid0(SALU_CYCLE_1)
	s_or_b32 exec_lo, exec_lo, s28
.LBB320_49:                             ;   in Loop: Header=BB320_9 Depth=1
	s_delay_alu instid0(SALU_CYCLE_1) | instskip(SKIP_2) | instid1(VALU_DEP_1)
	s_or_b32 exec_lo, exec_lo, s27
	v_lshrrev_b16 v2, 8, v73
	s_mov_b32 s27, exec_lo
	v_cmpx_ne_u16_e32 0, v2
	s_cbranch_execz .LBB320_57
; %bb.50:                               ;   in Loop: Header=BB320_9 Depth=1
	v_bfrev_b32_e32 v71, 1
	s_mov_b32 s28, exec_lo
	v_cmpx_ne_u16_e32 0x80, v2
	s_cbranch_execz .LBB320_56
; %bb.51:                               ;   in Loop: Header=BB320_9 Depth=1
	v_and_b32_e32 v2, 0xffff, v2
	v_mov_b32_e32 v71, 0x7f800001
	s_mov_b32 s29, exec_lo
	s_delay_alu instid0(VALU_DEP_2) | instskip(NEXT) | instid1(VALU_DEP_1)
	v_and_b32_e32 v74, 0x7f, v2
	v_cmpx_ne_u32_e32 0x7f, v74
	s_cbranch_execz .LBB320_55
; %bb.52:                               ;   in Loop: Header=BB320_9 Depth=1
	v_and_b32_e32 v2, 7, v2
	v_lshrrev_b32_e32 v71, 3, v74
	s_mov_b32 s30, exec_lo
	v_cmpx_gt_u32_e32 8, v74
; %bb.53:                               ;   in Loop: Header=BB320_9 Depth=1
	s_delay_alu instid0(VALU_DEP_3) | instskip(NEXT) | instid1(VALU_DEP_1)
	v_clz_i32_u32_e32 v71, v2
	v_min_u32_e32 v71, 32, v71
	s_delay_alu instid0(VALU_DEP_1) | instskip(NEXT) | instid1(VALU_DEP_1)
	v_subrev_nc_u32_e32 v74, 28, v71
	v_lshlrev_b64_e32 v[74:75], v74, v[2:3]
	s_delay_alu instid0(VALU_DEP_1)
	v_dual_sub_nc_u32 v71, 29, v71 :: v_dual_bitop2_b32 v2, 7, v74 bitop3:0x40
; %bb.54:                               ;   in Loop: Header=BB320_9 Depth=1
	s_or_b32 exec_lo, exec_lo, s30
	s_delay_alu instid0(VALU_DEP_1) | instskip(NEXT) | instid1(VALU_DEP_2)
	v_dual_lshlrev_b32 v73, 16, v73 :: v_dual_lshlrev_b32 v2, 20, v2
	v_lshl_add_u32 v71, v71, 23, 0x3c000000
	s_delay_alu instid0(VALU_DEP_2) | instskip(NEXT) | instid1(VALU_DEP_1)
	v_and_b32_e32 v73, 0x80000000, v73
	v_or3_b32 v71, v2, v73, v71
.LBB320_55:                             ;   in Loop: Header=BB320_9 Depth=1
	s_or_b32 exec_lo, exec_lo, s29
.LBB320_56:                             ;   in Loop: Header=BB320_9 Depth=1
	s_delay_alu instid0(SALU_CYCLE_1)
	s_or_b32 exec_lo, exec_lo, s28
.LBB320_57:                             ;   in Loop: Header=BB320_9 Depth=1
	s_delay_alu instid0(SALU_CYCLE_1)
	s_or_b32 exec_lo, exec_lo, s27
	global_load_u16 v2, v[8:9], off offset:136
	v_mov_b32_e32 v73, 0
	s_wait_loadcnt 0x0
	v_and_b32_e32 v74, 0xff, v2
	v_and_b32_e32 v75, 0xffff, v2
	s_delay_alu instid0(VALU_DEP_2)
	v_cmp_ne_u16_e64 s4, 0, v74
	v_mov_b32_e32 v74, 0
	s_and_saveexec_b32 s27, s4
	s_cbranch_execz .LBB320_65
; %bb.58:                               ;   in Loop: Header=BB320_9 Depth=1
	v_and_b32_e32 v2, 0xff, v75
	v_bfrev_b32_e32 v74, 1
	s_mov_b32 s28, exec_lo
	s_delay_alu instid0(VALU_DEP_2)
	v_cmpx_ne_u16_e32 0x80, v2
	s_cbranch_execz .LBB320_64
; %bb.59:                               ;   in Loop: Header=BB320_9 Depth=1
	v_and_b32_e32 v76, 0x7f, v75
	v_mov_b32_e32 v74, 0x7f800001
	s_mov_b32 s29, exec_lo
	s_delay_alu instid0(VALU_DEP_2)
	v_cmpx_ne_u32_e32 0x7f, v76
	s_cbranch_execz .LBB320_63
; %bb.60:                               ;   in Loop: Header=BB320_9 Depth=1
	v_dual_lshrrev_b32 v74, 3, v76 :: v_dual_bitop2_b32 v2, 7, v75 bitop3:0x40
	s_mov_b32 s30, exec_lo
	v_cmpx_gt_u32_e32 8, v76
; %bb.61:                               ;   in Loop: Header=BB320_9 Depth=1
	s_delay_alu instid0(VALU_DEP_2) | instskip(NEXT) | instid1(VALU_DEP_1)
	v_clz_i32_u32_e32 v74, v2
	v_min_u32_e32 v74, 32, v74
	s_delay_alu instid0(VALU_DEP_1) | instskip(NEXT) | instid1(VALU_DEP_1)
	v_subrev_nc_u32_e32 v76, 28, v74
	v_lshlrev_b64_e32 v[76:77], v76, v[2:3]
	s_delay_alu instid0(VALU_DEP_1)
	v_dual_sub_nc_u32 v74, 29, v74 :: v_dual_bitop2_b32 v2, 7, v76 bitop3:0x40
; %bb.62:                               ;   in Loop: Header=BB320_9 Depth=1
	s_or_b32 exec_lo, exec_lo, s30
	s_delay_alu instid0(VALU_DEP_1) | instskip(NEXT) | instid1(VALU_DEP_2)
	v_dual_lshlrev_b32 v76, 24, v75 :: v_dual_lshlrev_b32 v2, 20, v2
	v_lshl_add_u32 v74, v74, 23, 0x3c000000
	s_delay_alu instid0(VALU_DEP_2) | instskip(NEXT) | instid1(VALU_DEP_1)
	v_and_b32_e32 v76, 0x80000000, v76
	v_or3_b32 v74, v2, v76, v74
.LBB320_63:                             ;   in Loop: Header=BB320_9 Depth=1
	s_or_b32 exec_lo, exec_lo, s29
.LBB320_64:                             ;   in Loop: Header=BB320_9 Depth=1
	s_delay_alu instid0(SALU_CYCLE_1)
	s_or_b32 exec_lo, exec_lo, s28
.LBB320_65:                             ;   in Loop: Header=BB320_9 Depth=1
	s_delay_alu instid0(SALU_CYCLE_1) | instskip(SKIP_2) | instid1(VALU_DEP_1)
	s_or_b32 exec_lo, exec_lo, s27
	v_lshrrev_b16 v2, 8, v75
	s_mov_b32 s27, exec_lo
	v_cmpx_ne_u16_e32 0, v2
	s_cbranch_execz .LBB320_73
; %bb.66:                               ;   in Loop: Header=BB320_9 Depth=1
	v_bfrev_b32_e32 v73, 1
	s_mov_b32 s28, exec_lo
	v_cmpx_ne_u16_e32 0x80, v2
	s_cbranch_execz .LBB320_72
; %bb.67:                               ;   in Loop: Header=BB320_9 Depth=1
	v_and_b32_e32 v2, 0xffff, v2
	v_mov_b32_e32 v73, 0x7f800001
	s_mov_b32 s29, exec_lo
	s_delay_alu instid0(VALU_DEP_2) | instskip(NEXT) | instid1(VALU_DEP_1)
	v_and_b32_e32 v76, 0x7f, v2
	v_cmpx_ne_u32_e32 0x7f, v76
	s_cbranch_execz .LBB320_71
; %bb.68:                               ;   in Loop: Header=BB320_9 Depth=1
	v_dual_lshrrev_b32 v73, 3, v76 :: v_dual_bitop2_b32 v2, 7, v2 bitop3:0x40
	s_mov_b32 s30, exec_lo
	v_cmpx_gt_u32_e32 8, v76
; %bb.69:                               ;   in Loop: Header=BB320_9 Depth=1
	s_delay_alu instid0(VALU_DEP_2) | instskip(NEXT) | instid1(VALU_DEP_1)
	v_clz_i32_u32_e32 v73, v2
	v_min_u32_e32 v73, 32, v73
	s_delay_alu instid0(VALU_DEP_1) | instskip(NEXT) | instid1(VALU_DEP_1)
	v_subrev_nc_u32_e32 v76, 28, v73
	v_lshlrev_b64_e32 v[76:77], v76, v[2:3]
	s_delay_alu instid0(VALU_DEP_1)
	v_dual_sub_nc_u32 v73, 29, v73 :: v_dual_bitop2_b32 v2, 7, v76 bitop3:0x40
; %bb.70:                               ;   in Loop: Header=BB320_9 Depth=1
	s_or_b32 exec_lo, exec_lo, s30
	s_delay_alu instid0(VALU_DEP_1) | instskip(NEXT) | instid1(VALU_DEP_2)
	v_dual_lshlrev_b32 v75, 16, v75 :: v_dual_lshlrev_b32 v2, 20, v2
	v_lshl_add_u32 v73, v73, 23, 0x3c000000
	s_delay_alu instid0(VALU_DEP_2) | instskip(NEXT) | instid1(VALU_DEP_1)
	v_and_b32_e32 v75, 0x80000000, v75
	v_or3_b32 v73, v2, v75, v73
.LBB320_71:                             ;   in Loop: Header=BB320_9 Depth=1
	s_or_b32 exec_lo, exec_lo, s29
.LBB320_72:                             ;   in Loop: Header=BB320_9 Depth=1
	s_delay_alu instid0(SALU_CYCLE_1)
	s_or_b32 exec_lo, exec_lo, s28
.LBB320_73:                             ;   in Loop: Header=BB320_9 Depth=1
	s_delay_alu instid0(SALU_CYCLE_1)
	s_or_b32 exec_lo, exec_lo, s27
	global_load_u16 v2, v[8:9], off offset:256
	v_mov_b32_e32 v75, 0
	s_wait_loadcnt 0x0
	v_and_b32_e32 v76, 0xff, v2
	v_and_b32_e32 v77, 0xffff, v2
	s_delay_alu instid0(VALU_DEP_2)
	v_cmp_ne_u16_e64 s4, 0, v76
	v_mov_b32_e32 v76, 0
	s_and_saveexec_b32 s27, s4
	s_cbranch_execz .LBB320_81
; %bb.74:                               ;   in Loop: Header=BB320_9 Depth=1
	v_and_b32_e32 v2, 0xff, v77
	v_bfrev_b32_e32 v76, 1
	s_mov_b32 s28, exec_lo
	s_delay_alu instid0(VALU_DEP_2)
	v_cmpx_ne_u16_e32 0x80, v2
	s_cbranch_execz .LBB320_80
; %bb.75:                               ;   in Loop: Header=BB320_9 Depth=1
	v_and_b32_e32 v78, 0x7f, v77
	v_mov_b32_e32 v76, 0x7f800001
	s_mov_b32 s29, exec_lo
	s_delay_alu instid0(VALU_DEP_2)
	v_cmpx_ne_u32_e32 0x7f, v78
	s_cbranch_execz .LBB320_79
; %bb.76:                               ;   in Loop: Header=BB320_9 Depth=1
	v_dual_lshrrev_b32 v76, 3, v78 :: v_dual_bitop2_b32 v2, 7, v77 bitop3:0x40
	s_mov_b32 s30, exec_lo
	v_cmpx_gt_u32_e32 8, v78
; %bb.77:                               ;   in Loop: Header=BB320_9 Depth=1
	s_delay_alu instid0(VALU_DEP_2) | instskip(NEXT) | instid1(VALU_DEP_1)
	v_clz_i32_u32_e32 v76, v2
	v_min_u32_e32 v76, 32, v76
	s_delay_alu instid0(VALU_DEP_1) | instskip(NEXT) | instid1(VALU_DEP_1)
	v_subrev_nc_u32_e32 v78, 28, v76
	v_lshlrev_b64_e32 v[78:79], v78, v[2:3]
	s_delay_alu instid0(VALU_DEP_1)
	v_dual_sub_nc_u32 v76, 29, v76 :: v_dual_bitop2_b32 v2, 7, v78 bitop3:0x40
; %bb.78:                               ;   in Loop: Header=BB320_9 Depth=1
	s_or_b32 exec_lo, exec_lo, s30
	s_delay_alu instid0(VALU_DEP_1) | instskip(NEXT) | instid1(VALU_DEP_2)
	v_dual_lshlrev_b32 v78, 24, v77 :: v_dual_lshlrev_b32 v2, 20, v2
	v_lshl_add_u32 v76, v76, 23, 0x3c000000
	s_delay_alu instid0(VALU_DEP_2) | instskip(NEXT) | instid1(VALU_DEP_1)
	v_and_b32_e32 v78, 0x80000000, v78
	v_or3_b32 v76, v2, v78, v76
.LBB320_79:                             ;   in Loop: Header=BB320_9 Depth=1
	s_or_b32 exec_lo, exec_lo, s29
.LBB320_80:                             ;   in Loop: Header=BB320_9 Depth=1
	s_delay_alu instid0(SALU_CYCLE_1)
	s_or_b32 exec_lo, exec_lo, s28
.LBB320_81:                             ;   in Loop: Header=BB320_9 Depth=1
	s_delay_alu instid0(SALU_CYCLE_1) | instskip(SKIP_2) | instid1(VALU_DEP_1)
	s_or_b32 exec_lo, exec_lo, s27
	v_lshrrev_b16 v2, 8, v77
	s_mov_b32 s27, exec_lo
	v_cmpx_ne_u16_e32 0, v2
	s_cbranch_execz .LBB320_89
; %bb.82:                               ;   in Loop: Header=BB320_9 Depth=1
	v_bfrev_b32_e32 v75, 1
	s_mov_b32 s28, exec_lo
	v_cmpx_ne_u16_e32 0x80, v2
	s_cbranch_execz .LBB320_88
; %bb.83:                               ;   in Loop: Header=BB320_9 Depth=1
	v_and_b32_e32 v2, 0xffff, v2
	v_mov_b32_e32 v75, 0x7f800001
	s_mov_b32 s29, exec_lo
	s_delay_alu instid0(VALU_DEP_2) | instskip(NEXT) | instid1(VALU_DEP_1)
	v_and_b32_e32 v78, 0x7f, v2
	v_cmpx_ne_u32_e32 0x7f, v78
	s_cbranch_execz .LBB320_87
; %bb.84:                               ;   in Loop: Header=BB320_9 Depth=1
	v_and_b32_e32 v2, 7, v2
	v_lshrrev_b32_e32 v75, 3, v78
	s_mov_b32 s30, exec_lo
	v_cmpx_gt_u32_e32 8, v78
; %bb.85:                               ;   in Loop: Header=BB320_9 Depth=1
	s_delay_alu instid0(VALU_DEP_3) | instskip(NEXT) | instid1(VALU_DEP_1)
	v_clz_i32_u32_e32 v75, v2
	v_min_u32_e32 v75, 32, v75
	s_delay_alu instid0(VALU_DEP_1) | instskip(NEXT) | instid1(VALU_DEP_1)
	v_subrev_nc_u32_e32 v78, 28, v75
	v_lshlrev_b64_e32 v[78:79], v78, v[2:3]
	s_delay_alu instid0(VALU_DEP_1)
	v_dual_sub_nc_u32 v75, 29, v75 :: v_dual_bitop2_b32 v2, 7, v78 bitop3:0x40
; %bb.86:                               ;   in Loop: Header=BB320_9 Depth=1
	s_or_b32 exec_lo, exec_lo, s30
	s_delay_alu instid0(VALU_DEP_1) | instskip(NEXT) | instid1(VALU_DEP_2)
	v_dual_lshlrev_b32 v77, 16, v77 :: v_dual_lshlrev_b32 v2, 20, v2
	v_lshl_add_u32 v75, v75, 23, 0x3c000000
	s_delay_alu instid0(VALU_DEP_2) | instskip(NEXT) | instid1(VALU_DEP_1)
	v_and_b32_e32 v77, 0x80000000, v77
	v_or3_b32 v75, v2, v77, v75
.LBB320_87:                             ;   in Loop: Header=BB320_9 Depth=1
	s_or_b32 exec_lo, exec_lo, s29
.LBB320_88:                             ;   in Loop: Header=BB320_9 Depth=1
	s_delay_alu instid0(SALU_CYCLE_1)
	s_or_b32 exec_lo, exec_lo, s28
.LBB320_89:                             ;   in Loop: Header=BB320_9 Depth=1
	s_delay_alu instid0(SALU_CYCLE_1)
	s_or_b32 exec_lo, exec_lo, s27
	global_load_u16 v2, v[8:9], off offset:264
	v_mov_b32_e32 v77, 0
	s_wait_loadcnt 0x0
	v_and_b32_e32 v78, 0xff, v2
	v_and_b32_e32 v79, 0xffff, v2
	s_delay_alu instid0(VALU_DEP_2)
	v_cmp_ne_u16_e64 s4, 0, v78
	v_mov_b32_e32 v78, 0
	s_and_saveexec_b32 s27, s4
	s_cbranch_execz .LBB320_97
; %bb.90:                               ;   in Loop: Header=BB320_9 Depth=1
	v_and_b32_e32 v2, 0xff, v79
	v_bfrev_b32_e32 v78, 1
	s_mov_b32 s28, exec_lo
	s_delay_alu instid0(VALU_DEP_2)
	v_cmpx_ne_u16_e32 0x80, v2
	s_cbranch_execz .LBB320_96
; %bb.91:                               ;   in Loop: Header=BB320_9 Depth=1
	v_and_b32_e32 v80, 0x7f, v79
	v_mov_b32_e32 v78, 0x7f800001
	s_mov_b32 s29, exec_lo
	s_delay_alu instid0(VALU_DEP_2)
	v_cmpx_ne_u32_e32 0x7f, v80
	s_cbranch_execz .LBB320_95
; %bb.92:                               ;   in Loop: Header=BB320_9 Depth=1
	v_dual_lshrrev_b32 v78, 3, v80 :: v_dual_bitop2_b32 v2, 7, v79 bitop3:0x40
	s_mov_b32 s30, exec_lo
	v_cmpx_gt_u32_e32 8, v80
; %bb.93:                               ;   in Loop: Header=BB320_9 Depth=1
	s_delay_alu instid0(VALU_DEP_2) | instskip(NEXT) | instid1(VALU_DEP_1)
	v_clz_i32_u32_e32 v78, v2
	v_min_u32_e32 v78, 32, v78
	s_delay_alu instid0(VALU_DEP_1) | instskip(NEXT) | instid1(VALU_DEP_1)
	v_subrev_nc_u32_e32 v80, 28, v78
	v_lshlrev_b64_e32 v[80:81], v80, v[2:3]
	s_delay_alu instid0(VALU_DEP_1)
	v_dual_sub_nc_u32 v78, 29, v78 :: v_dual_bitop2_b32 v2, 7, v80 bitop3:0x40
; %bb.94:                               ;   in Loop: Header=BB320_9 Depth=1
	s_or_b32 exec_lo, exec_lo, s30
	s_delay_alu instid0(VALU_DEP_1) | instskip(NEXT) | instid1(VALU_DEP_2)
	v_dual_lshlrev_b32 v80, 24, v79 :: v_dual_lshlrev_b32 v2, 20, v2
	v_lshl_add_u32 v78, v78, 23, 0x3c000000
	s_delay_alu instid0(VALU_DEP_2) | instskip(NEXT) | instid1(VALU_DEP_1)
	v_and_b32_e32 v80, 0x80000000, v80
	v_or3_b32 v78, v2, v80, v78
.LBB320_95:                             ;   in Loop: Header=BB320_9 Depth=1
	s_or_b32 exec_lo, exec_lo, s29
.LBB320_96:                             ;   in Loop: Header=BB320_9 Depth=1
	s_delay_alu instid0(SALU_CYCLE_1)
	s_or_b32 exec_lo, exec_lo, s28
.LBB320_97:                             ;   in Loop: Header=BB320_9 Depth=1
	s_delay_alu instid0(SALU_CYCLE_1) | instskip(SKIP_2) | instid1(VALU_DEP_1)
	s_or_b32 exec_lo, exec_lo, s27
	v_lshrrev_b16 v2, 8, v79
	s_mov_b32 s27, exec_lo
	v_cmpx_ne_u16_e32 0, v2
	s_cbranch_execz .LBB320_105
; %bb.98:                               ;   in Loop: Header=BB320_9 Depth=1
	v_bfrev_b32_e32 v77, 1
	s_mov_b32 s28, exec_lo
	v_cmpx_ne_u16_e32 0x80, v2
	s_cbranch_execz .LBB320_104
; %bb.99:                               ;   in Loop: Header=BB320_9 Depth=1
	v_and_b32_e32 v2, 0xffff, v2
	v_mov_b32_e32 v77, 0x7f800001
	s_mov_b32 s29, exec_lo
	s_delay_alu instid0(VALU_DEP_2) | instskip(NEXT) | instid1(VALU_DEP_1)
	v_and_b32_e32 v80, 0x7f, v2
	v_cmpx_ne_u32_e32 0x7f, v80
	s_cbranch_execz .LBB320_103
; %bb.100:                              ;   in Loop: Header=BB320_9 Depth=1
	v_dual_lshrrev_b32 v77, 3, v80 :: v_dual_bitop2_b32 v2, 7, v2 bitop3:0x40
	s_mov_b32 s30, exec_lo
	v_cmpx_gt_u32_e32 8, v80
; %bb.101:                              ;   in Loop: Header=BB320_9 Depth=1
	s_delay_alu instid0(VALU_DEP_2) | instskip(NEXT) | instid1(VALU_DEP_1)
	v_clz_i32_u32_e32 v77, v2
	v_min_u32_e32 v77, 32, v77
	s_delay_alu instid0(VALU_DEP_1) | instskip(NEXT) | instid1(VALU_DEP_1)
	v_subrev_nc_u32_e32 v80, 28, v77
	v_lshlrev_b64_e32 v[80:81], v80, v[2:3]
	s_delay_alu instid0(VALU_DEP_1)
	v_dual_sub_nc_u32 v77, 29, v77 :: v_dual_bitop2_b32 v2, 7, v80 bitop3:0x40
; %bb.102:                              ;   in Loop: Header=BB320_9 Depth=1
	s_or_b32 exec_lo, exec_lo, s30
	s_delay_alu instid0(VALU_DEP_1) | instskip(NEXT) | instid1(VALU_DEP_2)
	v_dual_lshlrev_b32 v79, 16, v79 :: v_dual_lshlrev_b32 v2, 20, v2
	v_lshl_add_u32 v77, v77, 23, 0x3c000000
	s_delay_alu instid0(VALU_DEP_2) | instskip(NEXT) | instid1(VALU_DEP_1)
	v_and_b32_e32 v79, 0x80000000, v79
	v_or3_b32 v77, v2, v79, v77
.LBB320_103:                            ;   in Loop: Header=BB320_9 Depth=1
	s_or_b32 exec_lo, exec_lo, s29
.LBB320_104:                            ;   in Loop: Header=BB320_9 Depth=1
	s_delay_alu instid0(SALU_CYCLE_1)
	s_or_b32 exec_lo, exec_lo, s28
.LBB320_105:                            ;   in Loop: Header=BB320_9 Depth=1
	s_delay_alu instid0(SALU_CYCLE_1)
	s_or_b32 exec_lo, exec_lo, s27
	global_load_u16 v2, v[8:9], off offset:384
	v_mov_b32_e32 v79, 0
	s_wait_loadcnt 0x0
	v_and_b32_e32 v80, 0xff, v2
	v_and_b32_e32 v81, 0xffff, v2
	s_delay_alu instid0(VALU_DEP_2)
	v_cmp_ne_u16_e64 s4, 0, v80
	v_mov_b32_e32 v80, 0
	s_and_saveexec_b32 s27, s4
	s_cbranch_execz .LBB320_113
; %bb.106:                              ;   in Loop: Header=BB320_9 Depth=1
	v_and_b32_e32 v2, 0xff, v81
	v_bfrev_b32_e32 v80, 1
	s_mov_b32 s28, exec_lo
	s_delay_alu instid0(VALU_DEP_2)
	v_cmpx_ne_u16_e32 0x80, v2
	s_cbranch_execz .LBB320_112
; %bb.107:                              ;   in Loop: Header=BB320_9 Depth=1
	v_and_b32_e32 v82, 0x7f, v81
	v_mov_b32_e32 v80, 0x7f800001
	s_mov_b32 s29, exec_lo
	s_delay_alu instid0(VALU_DEP_2)
	v_cmpx_ne_u32_e32 0x7f, v82
	s_cbranch_execz .LBB320_111
; %bb.108:                              ;   in Loop: Header=BB320_9 Depth=1
	v_dual_lshrrev_b32 v80, 3, v82 :: v_dual_bitop2_b32 v2, 7, v81 bitop3:0x40
	s_mov_b32 s30, exec_lo
	v_cmpx_gt_u32_e32 8, v82
; %bb.109:                              ;   in Loop: Header=BB320_9 Depth=1
	s_delay_alu instid0(VALU_DEP_2) | instskip(NEXT) | instid1(VALU_DEP_1)
	v_clz_i32_u32_e32 v80, v2
	v_min_u32_e32 v80, 32, v80
	s_delay_alu instid0(VALU_DEP_1) | instskip(NEXT) | instid1(VALU_DEP_1)
	v_subrev_nc_u32_e32 v82, 28, v80
	v_lshlrev_b64_e32 v[82:83], v82, v[2:3]
	s_delay_alu instid0(VALU_DEP_1)
	v_dual_sub_nc_u32 v80, 29, v80 :: v_dual_bitop2_b32 v2, 7, v82 bitop3:0x40
; %bb.110:                              ;   in Loop: Header=BB320_9 Depth=1
	s_or_b32 exec_lo, exec_lo, s30
	s_delay_alu instid0(VALU_DEP_1) | instskip(NEXT) | instid1(VALU_DEP_2)
	v_dual_lshlrev_b32 v82, 24, v81 :: v_dual_lshlrev_b32 v2, 20, v2
	v_lshl_add_u32 v80, v80, 23, 0x3c000000
	s_delay_alu instid0(VALU_DEP_2) | instskip(NEXT) | instid1(VALU_DEP_1)
	v_and_b32_e32 v82, 0x80000000, v82
	v_or3_b32 v80, v2, v82, v80
.LBB320_111:                            ;   in Loop: Header=BB320_9 Depth=1
	s_or_b32 exec_lo, exec_lo, s29
.LBB320_112:                            ;   in Loop: Header=BB320_9 Depth=1
	s_delay_alu instid0(SALU_CYCLE_1)
	s_or_b32 exec_lo, exec_lo, s28
.LBB320_113:                            ;   in Loop: Header=BB320_9 Depth=1
	s_delay_alu instid0(SALU_CYCLE_1) | instskip(SKIP_2) | instid1(VALU_DEP_1)
	s_or_b32 exec_lo, exec_lo, s27
	v_lshrrev_b16 v2, 8, v81
	s_mov_b32 s27, exec_lo
	v_cmpx_ne_u16_e32 0, v2
	s_cbranch_execz .LBB320_121
; %bb.114:                              ;   in Loop: Header=BB320_9 Depth=1
	v_bfrev_b32_e32 v79, 1
	s_mov_b32 s28, exec_lo
	v_cmpx_ne_u16_e32 0x80, v2
	s_cbranch_execz .LBB320_120
; %bb.115:                              ;   in Loop: Header=BB320_9 Depth=1
	v_and_b32_e32 v2, 0xffff, v2
	v_mov_b32_e32 v79, 0x7f800001
	s_mov_b32 s29, exec_lo
	s_delay_alu instid0(VALU_DEP_2) | instskip(NEXT) | instid1(VALU_DEP_1)
	v_and_b32_e32 v82, 0x7f, v2
	v_cmpx_ne_u32_e32 0x7f, v82
	s_cbranch_execz .LBB320_119
; %bb.116:                              ;   in Loop: Header=BB320_9 Depth=1
	v_and_b32_e32 v2, 7, v2
	v_lshrrev_b32_e32 v79, 3, v82
	s_mov_b32 s30, exec_lo
	v_cmpx_gt_u32_e32 8, v82
; %bb.117:                              ;   in Loop: Header=BB320_9 Depth=1
	s_delay_alu instid0(VALU_DEP_3) | instskip(NEXT) | instid1(VALU_DEP_1)
	v_clz_i32_u32_e32 v79, v2
	v_min_u32_e32 v79, 32, v79
	s_delay_alu instid0(VALU_DEP_1) | instskip(NEXT) | instid1(VALU_DEP_1)
	v_subrev_nc_u32_e32 v82, 28, v79
	v_lshlrev_b64_e32 v[82:83], v82, v[2:3]
	s_delay_alu instid0(VALU_DEP_1)
	v_dual_sub_nc_u32 v79, 29, v79 :: v_dual_bitop2_b32 v2, 7, v82 bitop3:0x40
; %bb.118:                              ;   in Loop: Header=BB320_9 Depth=1
	s_or_b32 exec_lo, exec_lo, s30
	s_delay_alu instid0(VALU_DEP_1) | instskip(NEXT) | instid1(VALU_DEP_2)
	v_dual_lshlrev_b32 v81, 16, v81 :: v_dual_lshlrev_b32 v2, 20, v2
	v_lshl_add_u32 v79, v79, 23, 0x3c000000
	s_delay_alu instid0(VALU_DEP_2) | instskip(NEXT) | instid1(VALU_DEP_1)
	v_and_b32_e32 v81, 0x80000000, v81
	v_or3_b32 v79, v2, v81, v79
.LBB320_119:                            ;   in Loop: Header=BB320_9 Depth=1
	s_or_b32 exec_lo, exec_lo, s29
.LBB320_120:                            ;   in Loop: Header=BB320_9 Depth=1
	s_delay_alu instid0(SALU_CYCLE_1)
	s_or_b32 exec_lo, exec_lo, s28
.LBB320_121:                            ;   in Loop: Header=BB320_9 Depth=1
	s_delay_alu instid0(SALU_CYCLE_1)
	s_or_b32 exec_lo, exec_lo, s27
	global_load_u16 v2, v[8:9], off offset:392
	v_mov_b32_e32 v81, 0
	s_wait_loadcnt 0x0
	v_and_b32_e32 v82, 0xff, v2
	v_and_b32_e32 v83, 0xffff, v2
	s_delay_alu instid0(VALU_DEP_2)
	v_cmp_ne_u16_e64 s4, 0, v82
	v_mov_b32_e32 v82, 0
	s_and_saveexec_b32 s27, s4
	s_cbranch_execz .LBB320_129
; %bb.122:                              ;   in Loop: Header=BB320_9 Depth=1
	v_and_b32_e32 v2, 0xff, v83
	v_bfrev_b32_e32 v82, 1
	s_mov_b32 s28, exec_lo
	s_delay_alu instid0(VALU_DEP_2)
	v_cmpx_ne_u16_e32 0x80, v2
	s_cbranch_execz .LBB320_128
; %bb.123:                              ;   in Loop: Header=BB320_9 Depth=1
	v_and_b32_e32 v84, 0x7f, v83
	v_mov_b32_e32 v82, 0x7f800001
	s_mov_b32 s29, exec_lo
	s_delay_alu instid0(VALU_DEP_2)
	v_cmpx_ne_u32_e32 0x7f, v84
	s_cbranch_execz .LBB320_127
; %bb.124:                              ;   in Loop: Header=BB320_9 Depth=1
	v_dual_lshrrev_b32 v82, 3, v84 :: v_dual_bitop2_b32 v2, 7, v83 bitop3:0x40
	s_mov_b32 s30, exec_lo
	v_cmpx_gt_u32_e32 8, v84
; %bb.125:                              ;   in Loop: Header=BB320_9 Depth=1
	s_delay_alu instid0(VALU_DEP_2) | instskip(NEXT) | instid1(VALU_DEP_1)
	v_clz_i32_u32_e32 v82, v2
	v_min_u32_e32 v82, 32, v82
	s_delay_alu instid0(VALU_DEP_1) | instskip(NEXT) | instid1(VALU_DEP_1)
	v_subrev_nc_u32_e32 v84, 28, v82
	v_lshlrev_b64_e32 v[84:85], v84, v[2:3]
	s_delay_alu instid0(VALU_DEP_1)
	v_dual_sub_nc_u32 v82, 29, v82 :: v_dual_bitop2_b32 v2, 7, v84 bitop3:0x40
; %bb.126:                              ;   in Loop: Header=BB320_9 Depth=1
	s_or_b32 exec_lo, exec_lo, s30
	s_delay_alu instid0(VALU_DEP_1) | instskip(NEXT) | instid1(VALU_DEP_2)
	v_dual_lshlrev_b32 v84, 24, v83 :: v_dual_lshlrev_b32 v2, 20, v2
	v_lshl_add_u32 v82, v82, 23, 0x3c000000
	s_delay_alu instid0(VALU_DEP_2) | instskip(NEXT) | instid1(VALU_DEP_1)
	v_and_b32_e32 v84, 0x80000000, v84
	v_or3_b32 v82, v2, v84, v82
.LBB320_127:                            ;   in Loop: Header=BB320_9 Depth=1
	s_or_b32 exec_lo, exec_lo, s29
.LBB320_128:                            ;   in Loop: Header=BB320_9 Depth=1
	s_delay_alu instid0(SALU_CYCLE_1)
	s_or_b32 exec_lo, exec_lo, s28
.LBB320_129:                            ;   in Loop: Header=BB320_9 Depth=1
	s_delay_alu instid0(SALU_CYCLE_1) | instskip(SKIP_2) | instid1(VALU_DEP_1)
	s_or_b32 exec_lo, exec_lo, s27
	v_lshrrev_b16 v2, 8, v83
	s_mov_b32 s27, exec_lo
	v_cmpx_ne_u16_e32 0, v2
	s_cbranch_execz .LBB320_137
; %bb.130:                              ;   in Loop: Header=BB320_9 Depth=1
	v_bfrev_b32_e32 v81, 1
	s_mov_b32 s28, exec_lo
	v_cmpx_ne_u16_e32 0x80, v2
	s_cbranch_execz .LBB320_136
; %bb.131:                              ;   in Loop: Header=BB320_9 Depth=1
	v_and_b32_e32 v2, 0xffff, v2
	v_mov_b32_e32 v81, 0x7f800001
	s_mov_b32 s29, exec_lo
	s_delay_alu instid0(VALU_DEP_2) | instskip(NEXT) | instid1(VALU_DEP_1)
	v_and_b32_e32 v84, 0x7f, v2
	v_cmpx_ne_u32_e32 0x7f, v84
	s_cbranch_execz .LBB320_135
; %bb.132:                              ;   in Loop: Header=BB320_9 Depth=1
	v_dual_lshrrev_b32 v81, 3, v84 :: v_dual_bitop2_b32 v2, 7, v2 bitop3:0x40
	s_mov_b32 s30, exec_lo
	v_cmpx_gt_u32_e32 8, v84
; %bb.133:                              ;   in Loop: Header=BB320_9 Depth=1
	s_delay_alu instid0(VALU_DEP_2) | instskip(NEXT) | instid1(VALU_DEP_1)
	v_clz_i32_u32_e32 v81, v2
	v_min_u32_e32 v81, 32, v81
	s_delay_alu instid0(VALU_DEP_1) | instskip(NEXT) | instid1(VALU_DEP_1)
	v_subrev_nc_u32_e32 v84, 28, v81
	v_lshlrev_b64_e32 v[84:85], v84, v[2:3]
	s_delay_alu instid0(VALU_DEP_1)
	v_dual_sub_nc_u32 v81, 29, v81 :: v_dual_bitop2_b32 v2, 7, v84 bitop3:0x40
; %bb.134:                              ;   in Loop: Header=BB320_9 Depth=1
	s_or_b32 exec_lo, exec_lo, s30
	s_delay_alu instid0(VALU_DEP_1) | instskip(NEXT) | instid1(VALU_DEP_2)
	v_dual_lshlrev_b32 v83, 16, v83 :: v_dual_lshlrev_b32 v2, 20, v2
	v_lshl_add_u32 v81, v81, 23, 0x3c000000
	s_delay_alu instid0(VALU_DEP_2) | instskip(NEXT) | instid1(VALU_DEP_1)
	v_and_b32_e32 v83, 0x80000000, v83
	v_or3_b32 v81, v2, v83, v81
.LBB320_135:                            ;   in Loop: Header=BB320_9 Depth=1
	s_or_b32 exec_lo, exec_lo, s29
.LBB320_136:                            ;   in Loop: Header=BB320_9 Depth=1
	s_delay_alu instid0(SALU_CYCLE_1)
	s_or_b32 exec_lo, exec_lo, s28
.LBB320_137:                            ;   in Loop: Header=BB320_9 Depth=1
	s_delay_alu instid0(SALU_CYCLE_1)
	s_or_b32 exec_lo, exec_lo, s27
	global_load_u16 v2, v[8:9], off offset:512
	v_mov_b32_e32 v83, 0
	s_wait_loadcnt 0x0
	v_and_b32_e32 v84, 0xff, v2
	v_and_b32_e32 v85, 0xffff, v2
	s_delay_alu instid0(VALU_DEP_2)
	v_cmp_ne_u16_e64 s4, 0, v84
	v_mov_b32_e32 v84, 0
	s_and_saveexec_b32 s27, s4
	s_cbranch_execz .LBB320_145
; %bb.138:                              ;   in Loop: Header=BB320_9 Depth=1
	v_and_b32_e32 v2, 0xff, v85
	v_bfrev_b32_e32 v84, 1
	s_mov_b32 s28, exec_lo
	s_delay_alu instid0(VALU_DEP_2)
	v_cmpx_ne_u16_e32 0x80, v2
	s_cbranch_execz .LBB320_144
; %bb.139:                              ;   in Loop: Header=BB320_9 Depth=1
	v_and_b32_e32 v86, 0x7f, v85
	v_mov_b32_e32 v84, 0x7f800001
	s_mov_b32 s29, exec_lo
	s_delay_alu instid0(VALU_DEP_2)
	v_cmpx_ne_u32_e32 0x7f, v86
	s_cbranch_execz .LBB320_143
; %bb.140:                              ;   in Loop: Header=BB320_9 Depth=1
	v_dual_lshrrev_b32 v84, 3, v86 :: v_dual_bitop2_b32 v2, 7, v85 bitop3:0x40
	s_mov_b32 s30, exec_lo
	v_cmpx_gt_u32_e32 8, v86
; %bb.141:                              ;   in Loop: Header=BB320_9 Depth=1
	s_delay_alu instid0(VALU_DEP_2) | instskip(NEXT) | instid1(VALU_DEP_1)
	v_clz_i32_u32_e32 v84, v2
	v_min_u32_e32 v84, 32, v84
	s_delay_alu instid0(VALU_DEP_1) | instskip(NEXT) | instid1(VALU_DEP_1)
	v_subrev_nc_u32_e32 v86, 28, v84
	v_lshlrev_b64_e32 v[86:87], v86, v[2:3]
	s_delay_alu instid0(VALU_DEP_1)
	v_dual_sub_nc_u32 v84, 29, v84 :: v_dual_bitop2_b32 v2, 7, v86 bitop3:0x40
; %bb.142:                              ;   in Loop: Header=BB320_9 Depth=1
	s_or_b32 exec_lo, exec_lo, s30
	s_delay_alu instid0(VALU_DEP_1) | instskip(NEXT) | instid1(VALU_DEP_2)
	v_dual_lshlrev_b32 v86, 24, v85 :: v_dual_lshlrev_b32 v2, 20, v2
	v_lshl_add_u32 v84, v84, 23, 0x3c000000
	s_delay_alu instid0(VALU_DEP_2) | instskip(NEXT) | instid1(VALU_DEP_1)
	v_and_b32_e32 v86, 0x80000000, v86
	v_or3_b32 v84, v2, v86, v84
.LBB320_143:                            ;   in Loop: Header=BB320_9 Depth=1
	s_or_b32 exec_lo, exec_lo, s29
.LBB320_144:                            ;   in Loop: Header=BB320_9 Depth=1
	s_delay_alu instid0(SALU_CYCLE_1)
	s_or_b32 exec_lo, exec_lo, s28
.LBB320_145:                            ;   in Loop: Header=BB320_9 Depth=1
	s_delay_alu instid0(SALU_CYCLE_1) | instskip(SKIP_2) | instid1(VALU_DEP_1)
	s_or_b32 exec_lo, exec_lo, s27
	v_lshrrev_b16 v2, 8, v85
	s_mov_b32 s27, exec_lo
	v_cmpx_ne_u16_e32 0, v2
	s_cbranch_execz .LBB320_153
; %bb.146:                              ;   in Loop: Header=BB320_9 Depth=1
	v_bfrev_b32_e32 v83, 1
	s_mov_b32 s28, exec_lo
	v_cmpx_ne_u16_e32 0x80, v2
	s_cbranch_execz .LBB320_152
; %bb.147:                              ;   in Loop: Header=BB320_9 Depth=1
	v_and_b32_e32 v2, 0xffff, v2
	v_mov_b32_e32 v83, 0x7f800001
	s_mov_b32 s29, exec_lo
	s_delay_alu instid0(VALU_DEP_2) | instskip(NEXT) | instid1(VALU_DEP_1)
	v_and_b32_e32 v86, 0x7f, v2
	v_cmpx_ne_u32_e32 0x7f, v86
	s_cbranch_execz .LBB320_151
; %bb.148:                              ;   in Loop: Header=BB320_9 Depth=1
	v_and_b32_e32 v2, 7, v2
	v_lshrrev_b32_e32 v83, 3, v86
	s_mov_b32 s30, exec_lo
	v_cmpx_gt_u32_e32 8, v86
; %bb.149:                              ;   in Loop: Header=BB320_9 Depth=1
	s_delay_alu instid0(VALU_DEP_3) | instskip(NEXT) | instid1(VALU_DEP_1)
	v_clz_i32_u32_e32 v83, v2
	v_min_u32_e32 v83, 32, v83
	s_delay_alu instid0(VALU_DEP_1) | instskip(NEXT) | instid1(VALU_DEP_1)
	v_subrev_nc_u32_e32 v86, 28, v83
	v_lshlrev_b64_e32 v[86:87], v86, v[2:3]
	s_delay_alu instid0(VALU_DEP_1)
	v_dual_sub_nc_u32 v83, 29, v83 :: v_dual_bitop2_b32 v2, 7, v86 bitop3:0x40
; %bb.150:                              ;   in Loop: Header=BB320_9 Depth=1
	s_or_b32 exec_lo, exec_lo, s30
	s_delay_alu instid0(VALU_DEP_1) | instskip(NEXT) | instid1(VALU_DEP_2)
	v_dual_lshlrev_b32 v85, 16, v85 :: v_dual_lshlrev_b32 v2, 20, v2
	v_lshl_add_u32 v83, v83, 23, 0x3c000000
	s_delay_alu instid0(VALU_DEP_2) | instskip(NEXT) | instid1(VALU_DEP_1)
	v_and_b32_e32 v85, 0x80000000, v85
	v_or3_b32 v83, v2, v85, v83
.LBB320_151:                            ;   in Loop: Header=BB320_9 Depth=1
	s_or_b32 exec_lo, exec_lo, s29
.LBB320_152:                            ;   in Loop: Header=BB320_9 Depth=1
	s_delay_alu instid0(SALU_CYCLE_1)
	s_or_b32 exec_lo, exec_lo, s28
.LBB320_153:                            ;   in Loop: Header=BB320_9 Depth=1
	s_delay_alu instid0(SALU_CYCLE_1)
	s_or_b32 exec_lo, exec_lo, s27
	global_load_u16 v2, v[8:9], off offset:520
	v_mov_b32_e32 v85, 0
	s_wait_loadcnt 0x0
	v_and_b32_e32 v86, 0xff, v2
	v_and_b32_e32 v87, 0xffff, v2
	s_delay_alu instid0(VALU_DEP_2)
	v_cmp_ne_u16_e64 s4, 0, v86
	v_mov_b32_e32 v86, 0
	s_and_saveexec_b32 s27, s4
	s_cbranch_execz .LBB320_161
; %bb.154:                              ;   in Loop: Header=BB320_9 Depth=1
	v_and_b32_e32 v2, 0xff, v87
	v_bfrev_b32_e32 v86, 1
	s_mov_b32 s28, exec_lo
	s_delay_alu instid0(VALU_DEP_2)
	v_cmpx_ne_u16_e32 0x80, v2
	s_cbranch_execz .LBB320_160
; %bb.155:                              ;   in Loop: Header=BB320_9 Depth=1
	v_and_b32_e32 v88, 0x7f, v87
	v_mov_b32_e32 v86, 0x7f800001
	s_mov_b32 s29, exec_lo
	s_delay_alu instid0(VALU_DEP_2)
	v_cmpx_ne_u32_e32 0x7f, v88
	s_cbranch_execz .LBB320_159
; %bb.156:                              ;   in Loop: Header=BB320_9 Depth=1
	v_dual_lshrrev_b32 v86, 3, v88 :: v_dual_bitop2_b32 v2, 7, v87 bitop3:0x40
	s_mov_b32 s30, exec_lo
	v_cmpx_gt_u32_e32 8, v88
; %bb.157:                              ;   in Loop: Header=BB320_9 Depth=1
	s_delay_alu instid0(VALU_DEP_2) | instskip(NEXT) | instid1(VALU_DEP_1)
	v_clz_i32_u32_e32 v86, v2
	v_min_u32_e32 v86, 32, v86
	s_delay_alu instid0(VALU_DEP_1) | instskip(NEXT) | instid1(VALU_DEP_1)
	v_subrev_nc_u32_e32 v88, 28, v86
	v_lshlrev_b64_e32 v[88:89], v88, v[2:3]
	s_delay_alu instid0(VALU_DEP_1)
	v_dual_sub_nc_u32 v86, 29, v86 :: v_dual_bitop2_b32 v2, 7, v88 bitop3:0x40
; %bb.158:                              ;   in Loop: Header=BB320_9 Depth=1
	s_or_b32 exec_lo, exec_lo, s30
	s_delay_alu instid0(VALU_DEP_1) | instskip(NEXT) | instid1(VALU_DEP_2)
	v_dual_lshlrev_b32 v88, 24, v87 :: v_dual_lshlrev_b32 v2, 20, v2
	v_lshl_add_u32 v86, v86, 23, 0x3c000000
	s_delay_alu instid0(VALU_DEP_2) | instskip(NEXT) | instid1(VALU_DEP_1)
	v_and_b32_e32 v88, 0x80000000, v88
	v_or3_b32 v86, v2, v88, v86
.LBB320_159:                            ;   in Loop: Header=BB320_9 Depth=1
	s_or_b32 exec_lo, exec_lo, s29
.LBB320_160:                            ;   in Loop: Header=BB320_9 Depth=1
	s_delay_alu instid0(SALU_CYCLE_1)
	s_or_b32 exec_lo, exec_lo, s28
.LBB320_161:                            ;   in Loop: Header=BB320_9 Depth=1
	s_delay_alu instid0(SALU_CYCLE_1) | instskip(SKIP_2) | instid1(VALU_DEP_1)
	s_or_b32 exec_lo, exec_lo, s27
	v_lshrrev_b16 v2, 8, v87
	s_mov_b32 s27, exec_lo
	v_cmpx_ne_u16_e32 0, v2
	s_cbranch_execz .LBB320_169
; %bb.162:                              ;   in Loop: Header=BB320_9 Depth=1
	v_bfrev_b32_e32 v85, 1
	s_mov_b32 s28, exec_lo
	v_cmpx_ne_u16_e32 0x80, v2
	s_cbranch_execz .LBB320_168
; %bb.163:                              ;   in Loop: Header=BB320_9 Depth=1
	v_and_b32_e32 v2, 0xffff, v2
	v_mov_b32_e32 v85, 0x7f800001
	s_mov_b32 s29, exec_lo
	s_delay_alu instid0(VALU_DEP_2) | instskip(NEXT) | instid1(VALU_DEP_1)
	v_and_b32_e32 v88, 0x7f, v2
	v_cmpx_ne_u32_e32 0x7f, v88
	s_cbranch_execz .LBB320_167
; %bb.164:                              ;   in Loop: Header=BB320_9 Depth=1
	v_dual_lshrrev_b32 v85, 3, v88 :: v_dual_bitop2_b32 v2, 7, v2 bitop3:0x40
	s_mov_b32 s30, exec_lo
	v_cmpx_gt_u32_e32 8, v88
; %bb.165:                              ;   in Loop: Header=BB320_9 Depth=1
	s_delay_alu instid0(VALU_DEP_2) | instskip(NEXT) | instid1(VALU_DEP_1)
	v_clz_i32_u32_e32 v85, v2
	v_min_u32_e32 v85, 32, v85
	s_delay_alu instid0(VALU_DEP_1) | instskip(NEXT) | instid1(VALU_DEP_1)
	v_subrev_nc_u32_e32 v88, 28, v85
	v_lshlrev_b64_e32 v[88:89], v88, v[2:3]
	s_delay_alu instid0(VALU_DEP_1)
	v_dual_sub_nc_u32 v85, 29, v85 :: v_dual_bitop2_b32 v2, 7, v88 bitop3:0x40
; %bb.166:                              ;   in Loop: Header=BB320_9 Depth=1
	s_or_b32 exec_lo, exec_lo, s30
	s_delay_alu instid0(VALU_DEP_1) | instskip(NEXT) | instid1(VALU_DEP_2)
	v_dual_lshlrev_b32 v87, 16, v87 :: v_dual_lshlrev_b32 v2, 20, v2
	v_lshl_add_u32 v85, v85, 23, 0x3c000000
	s_delay_alu instid0(VALU_DEP_2) | instskip(NEXT) | instid1(VALU_DEP_1)
	v_and_b32_e32 v87, 0x80000000, v87
	v_or3_b32 v85, v2, v87, v85
.LBB320_167:                            ;   in Loop: Header=BB320_9 Depth=1
	s_or_b32 exec_lo, exec_lo, s29
.LBB320_168:                            ;   in Loop: Header=BB320_9 Depth=1
	s_delay_alu instid0(SALU_CYCLE_1)
	s_or_b32 exec_lo, exec_lo, s28
.LBB320_169:                            ;   in Loop: Header=BB320_9 Depth=1
	s_delay_alu instid0(SALU_CYCLE_1)
	s_or_b32 exec_lo, exec_lo, s27
	global_load_u16 v2, v[8:9], off offset:640
	v_mov_b32_e32 v87, 0
	s_wait_loadcnt 0x0
	v_and_b32_e32 v88, 0xff, v2
	v_and_b32_e32 v89, 0xffff, v2
	s_delay_alu instid0(VALU_DEP_2)
	v_cmp_ne_u16_e64 s4, 0, v88
	v_mov_b32_e32 v88, 0
	s_and_saveexec_b32 s27, s4
	s_cbranch_execz .LBB320_177
; %bb.170:                              ;   in Loop: Header=BB320_9 Depth=1
	v_and_b32_e32 v2, 0xff, v89
	v_bfrev_b32_e32 v88, 1
	s_mov_b32 s28, exec_lo
	s_delay_alu instid0(VALU_DEP_2)
	v_cmpx_ne_u16_e32 0x80, v2
	s_cbranch_execz .LBB320_176
; %bb.171:                              ;   in Loop: Header=BB320_9 Depth=1
	v_and_b32_e32 v90, 0x7f, v89
	v_mov_b32_e32 v88, 0x7f800001
	s_mov_b32 s29, exec_lo
	s_delay_alu instid0(VALU_DEP_2)
	v_cmpx_ne_u32_e32 0x7f, v90
	s_cbranch_execz .LBB320_175
; %bb.172:                              ;   in Loop: Header=BB320_9 Depth=1
	v_dual_lshrrev_b32 v88, 3, v90 :: v_dual_bitop2_b32 v2, 7, v89 bitop3:0x40
	s_mov_b32 s30, exec_lo
	v_cmpx_gt_u32_e32 8, v90
; %bb.173:                              ;   in Loop: Header=BB320_9 Depth=1
	s_delay_alu instid0(VALU_DEP_2) | instskip(NEXT) | instid1(VALU_DEP_1)
	v_clz_i32_u32_e32 v88, v2
	v_min_u32_e32 v88, 32, v88
	s_delay_alu instid0(VALU_DEP_1) | instskip(NEXT) | instid1(VALU_DEP_1)
	v_subrev_nc_u32_e32 v90, 28, v88
	v_lshlrev_b64_e32 v[90:91], v90, v[2:3]
	s_delay_alu instid0(VALU_DEP_1)
	v_dual_sub_nc_u32 v88, 29, v88 :: v_dual_bitop2_b32 v2, 7, v90 bitop3:0x40
; %bb.174:                              ;   in Loop: Header=BB320_9 Depth=1
	s_or_b32 exec_lo, exec_lo, s30
	s_delay_alu instid0(VALU_DEP_1) | instskip(NEXT) | instid1(VALU_DEP_2)
	v_dual_lshlrev_b32 v90, 24, v89 :: v_dual_lshlrev_b32 v2, 20, v2
	v_lshl_add_u32 v88, v88, 23, 0x3c000000
	s_delay_alu instid0(VALU_DEP_2) | instskip(NEXT) | instid1(VALU_DEP_1)
	v_and_b32_e32 v90, 0x80000000, v90
	v_or3_b32 v88, v2, v90, v88
.LBB320_175:                            ;   in Loop: Header=BB320_9 Depth=1
	s_or_b32 exec_lo, exec_lo, s29
.LBB320_176:                            ;   in Loop: Header=BB320_9 Depth=1
	s_delay_alu instid0(SALU_CYCLE_1)
	s_or_b32 exec_lo, exec_lo, s28
.LBB320_177:                            ;   in Loop: Header=BB320_9 Depth=1
	s_delay_alu instid0(SALU_CYCLE_1) | instskip(SKIP_2) | instid1(VALU_DEP_1)
	s_or_b32 exec_lo, exec_lo, s27
	v_lshrrev_b16 v2, 8, v89
	s_mov_b32 s27, exec_lo
	v_cmpx_ne_u16_e32 0, v2
	s_cbranch_execz .LBB320_185
; %bb.178:                              ;   in Loop: Header=BB320_9 Depth=1
	v_bfrev_b32_e32 v87, 1
	s_mov_b32 s28, exec_lo
	v_cmpx_ne_u16_e32 0x80, v2
	s_cbranch_execz .LBB320_184
; %bb.179:                              ;   in Loop: Header=BB320_9 Depth=1
	v_and_b32_e32 v2, 0xffff, v2
	v_mov_b32_e32 v87, 0x7f800001
	s_mov_b32 s29, exec_lo
	s_delay_alu instid0(VALU_DEP_2) | instskip(NEXT) | instid1(VALU_DEP_1)
	v_and_b32_e32 v90, 0x7f, v2
	v_cmpx_ne_u32_e32 0x7f, v90
	s_cbranch_execz .LBB320_183
; %bb.180:                              ;   in Loop: Header=BB320_9 Depth=1
	v_and_b32_e32 v2, 7, v2
	v_lshrrev_b32_e32 v87, 3, v90
	s_mov_b32 s30, exec_lo
	v_cmpx_gt_u32_e32 8, v90
; %bb.181:                              ;   in Loop: Header=BB320_9 Depth=1
	s_delay_alu instid0(VALU_DEP_3) | instskip(NEXT) | instid1(VALU_DEP_1)
	v_clz_i32_u32_e32 v87, v2
	v_min_u32_e32 v87, 32, v87
	s_delay_alu instid0(VALU_DEP_1) | instskip(NEXT) | instid1(VALU_DEP_1)
	v_subrev_nc_u32_e32 v90, 28, v87
	v_lshlrev_b64_e32 v[90:91], v90, v[2:3]
	s_delay_alu instid0(VALU_DEP_1)
	v_dual_sub_nc_u32 v87, 29, v87 :: v_dual_bitop2_b32 v2, 7, v90 bitop3:0x40
; %bb.182:                              ;   in Loop: Header=BB320_9 Depth=1
	s_or_b32 exec_lo, exec_lo, s30
	s_delay_alu instid0(VALU_DEP_1) | instskip(NEXT) | instid1(VALU_DEP_2)
	v_dual_lshlrev_b32 v89, 16, v89 :: v_dual_lshlrev_b32 v2, 20, v2
	v_lshl_add_u32 v87, v87, 23, 0x3c000000
	s_delay_alu instid0(VALU_DEP_2) | instskip(NEXT) | instid1(VALU_DEP_1)
	v_and_b32_e32 v89, 0x80000000, v89
	v_or3_b32 v87, v2, v89, v87
.LBB320_183:                            ;   in Loop: Header=BB320_9 Depth=1
	s_or_b32 exec_lo, exec_lo, s29
.LBB320_184:                            ;   in Loop: Header=BB320_9 Depth=1
	s_delay_alu instid0(SALU_CYCLE_1)
	s_or_b32 exec_lo, exec_lo, s28
.LBB320_185:                            ;   in Loop: Header=BB320_9 Depth=1
	s_delay_alu instid0(SALU_CYCLE_1)
	s_or_b32 exec_lo, exec_lo, s27
	global_load_u16 v2, v[8:9], off offset:648
	v_mov_b32_e32 v89, 0
	s_wait_loadcnt 0x0
	v_and_b32_e32 v90, 0xff, v2
	v_and_b32_e32 v91, 0xffff, v2
	s_delay_alu instid0(VALU_DEP_2)
	v_cmp_ne_u16_e64 s4, 0, v90
	v_mov_b32_e32 v90, 0
	s_and_saveexec_b32 s27, s4
	s_cbranch_execz .LBB320_193
; %bb.186:                              ;   in Loop: Header=BB320_9 Depth=1
	v_and_b32_e32 v2, 0xff, v91
	v_bfrev_b32_e32 v90, 1
	s_mov_b32 s28, exec_lo
	s_delay_alu instid0(VALU_DEP_2)
	v_cmpx_ne_u16_e32 0x80, v2
	s_cbranch_execz .LBB320_192
; %bb.187:                              ;   in Loop: Header=BB320_9 Depth=1
	v_and_b32_e32 v92, 0x7f, v91
	v_mov_b32_e32 v90, 0x7f800001
	s_mov_b32 s29, exec_lo
	s_delay_alu instid0(VALU_DEP_2)
	v_cmpx_ne_u32_e32 0x7f, v92
	s_cbranch_execz .LBB320_191
; %bb.188:                              ;   in Loop: Header=BB320_9 Depth=1
	v_dual_lshrrev_b32 v90, 3, v92 :: v_dual_bitop2_b32 v2, 7, v91 bitop3:0x40
	s_mov_b32 s30, exec_lo
	v_cmpx_gt_u32_e32 8, v92
; %bb.189:                              ;   in Loop: Header=BB320_9 Depth=1
	s_delay_alu instid0(VALU_DEP_2) | instskip(NEXT) | instid1(VALU_DEP_1)
	v_clz_i32_u32_e32 v90, v2
	v_min_u32_e32 v90, 32, v90
	s_delay_alu instid0(VALU_DEP_1) | instskip(NEXT) | instid1(VALU_DEP_1)
	v_subrev_nc_u32_e32 v92, 28, v90
	v_lshlrev_b64_e32 v[92:93], v92, v[2:3]
	s_delay_alu instid0(VALU_DEP_1)
	v_dual_sub_nc_u32 v90, 29, v90 :: v_dual_bitop2_b32 v2, 7, v92 bitop3:0x40
; %bb.190:                              ;   in Loop: Header=BB320_9 Depth=1
	s_or_b32 exec_lo, exec_lo, s30
	s_delay_alu instid0(VALU_DEP_1) | instskip(NEXT) | instid1(VALU_DEP_2)
	v_dual_lshlrev_b32 v92, 24, v91 :: v_dual_lshlrev_b32 v2, 20, v2
	v_lshl_add_u32 v90, v90, 23, 0x3c000000
	s_delay_alu instid0(VALU_DEP_2) | instskip(NEXT) | instid1(VALU_DEP_1)
	v_and_b32_e32 v92, 0x80000000, v92
	v_or3_b32 v90, v2, v92, v90
.LBB320_191:                            ;   in Loop: Header=BB320_9 Depth=1
	s_or_b32 exec_lo, exec_lo, s29
.LBB320_192:                            ;   in Loop: Header=BB320_9 Depth=1
	s_delay_alu instid0(SALU_CYCLE_1)
	s_or_b32 exec_lo, exec_lo, s28
.LBB320_193:                            ;   in Loop: Header=BB320_9 Depth=1
	s_delay_alu instid0(SALU_CYCLE_1) | instskip(SKIP_2) | instid1(VALU_DEP_1)
	s_or_b32 exec_lo, exec_lo, s27
	v_lshrrev_b16 v2, 8, v91
	s_mov_b32 s27, exec_lo
	v_cmpx_ne_u16_e32 0, v2
	s_cbranch_execz .LBB320_201
; %bb.194:                              ;   in Loop: Header=BB320_9 Depth=1
	v_bfrev_b32_e32 v89, 1
	s_mov_b32 s28, exec_lo
	v_cmpx_ne_u16_e32 0x80, v2
	s_cbranch_execz .LBB320_200
; %bb.195:                              ;   in Loop: Header=BB320_9 Depth=1
	v_and_b32_e32 v2, 0xffff, v2
	v_mov_b32_e32 v89, 0x7f800001
	s_mov_b32 s29, exec_lo
	s_delay_alu instid0(VALU_DEP_2) | instskip(NEXT) | instid1(VALU_DEP_1)
	v_and_b32_e32 v92, 0x7f, v2
	v_cmpx_ne_u32_e32 0x7f, v92
	s_cbranch_execz .LBB320_199
; %bb.196:                              ;   in Loop: Header=BB320_9 Depth=1
	v_dual_lshrrev_b32 v89, 3, v92 :: v_dual_bitop2_b32 v2, 7, v2 bitop3:0x40
	s_mov_b32 s30, exec_lo
	v_cmpx_gt_u32_e32 8, v92
; %bb.197:                              ;   in Loop: Header=BB320_9 Depth=1
	s_delay_alu instid0(VALU_DEP_2) | instskip(NEXT) | instid1(VALU_DEP_1)
	v_clz_i32_u32_e32 v89, v2
	v_min_u32_e32 v89, 32, v89
	s_delay_alu instid0(VALU_DEP_1) | instskip(NEXT) | instid1(VALU_DEP_1)
	v_subrev_nc_u32_e32 v92, 28, v89
	v_lshlrev_b64_e32 v[92:93], v92, v[2:3]
	s_delay_alu instid0(VALU_DEP_1)
	v_dual_sub_nc_u32 v89, 29, v89 :: v_dual_bitop2_b32 v2, 7, v92 bitop3:0x40
; %bb.198:                              ;   in Loop: Header=BB320_9 Depth=1
	s_or_b32 exec_lo, exec_lo, s30
	s_delay_alu instid0(VALU_DEP_1) | instskip(NEXT) | instid1(VALU_DEP_2)
	v_dual_lshlrev_b32 v91, 16, v91 :: v_dual_lshlrev_b32 v2, 20, v2
	v_lshl_add_u32 v89, v89, 23, 0x3c000000
	s_delay_alu instid0(VALU_DEP_2) | instskip(NEXT) | instid1(VALU_DEP_1)
	v_and_b32_e32 v91, 0x80000000, v91
	v_or3_b32 v89, v2, v91, v89
.LBB320_199:                            ;   in Loop: Header=BB320_9 Depth=1
	s_or_b32 exec_lo, exec_lo, s29
.LBB320_200:                            ;   in Loop: Header=BB320_9 Depth=1
	s_delay_alu instid0(SALU_CYCLE_1)
	s_or_b32 exec_lo, exec_lo, s28
.LBB320_201:                            ;   in Loop: Header=BB320_9 Depth=1
	s_delay_alu instid0(SALU_CYCLE_1)
	s_or_b32 exec_lo, exec_lo, s27
	global_load_u16 v2, v[8:9], off offset:768
	v_mov_b32_e32 v91, 0
	s_wait_loadcnt 0x0
	v_and_b32_e32 v92, 0xff, v2
	v_and_b32_e32 v93, 0xffff, v2
	s_delay_alu instid0(VALU_DEP_2)
	v_cmp_ne_u16_e64 s4, 0, v92
	v_mov_b32_e32 v92, 0
	s_and_saveexec_b32 s27, s4
	s_cbranch_execz .LBB320_209
; %bb.202:                              ;   in Loop: Header=BB320_9 Depth=1
	v_and_b32_e32 v2, 0xff, v93
	v_bfrev_b32_e32 v92, 1
	s_mov_b32 s28, exec_lo
	s_delay_alu instid0(VALU_DEP_2)
	v_cmpx_ne_u16_e32 0x80, v2
	s_cbranch_execz .LBB320_208
; %bb.203:                              ;   in Loop: Header=BB320_9 Depth=1
	v_and_b32_e32 v94, 0x7f, v93
	v_mov_b32_e32 v92, 0x7f800001
	s_mov_b32 s29, exec_lo
	s_delay_alu instid0(VALU_DEP_2)
	v_cmpx_ne_u32_e32 0x7f, v94
	s_cbranch_execz .LBB320_207
; %bb.204:                              ;   in Loop: Header=BB320_9 Depth=1
	v_dual_lshrrev_b32 v92, 3, v94 :: v_dual_bitop2_b32 v2, 7, v93 bitop3:0x40
	s_mov_b32 s30, exec_lo
	v_cmpx_gt_u32_e32 8, v94
; %bb.205:                              ;   in Loop: Header=BB320_9 Depth=1
	s_delay_alu instid0(VALU_DEP_2) | instskip(NEXT) | instid1(VALU_DEP_1)
	v_clz_i32_u32_e32 v92, v2
	v_min_u32_e32 v92, 32, v92
	s_delay_alu instid0(VALU_DEP_1) | instskip(NEXT) | instid1(VALU_DEP_1)
	v_subrev_nc_u32_e32 v94, 28, v92
	v_lshlrev_b64_e32 v[94:95], v94, v[2:3]
	s_delay_alu instid0(VALU_DEP_1)
	v_dual_sub_nc_u32 v92, 29, v92 :: v_dual_bitop2_b32 v2, 7, v94 bitop3:0x40
; %bb.206:                              ;   in Loop: Header=BB320_9 Depth=1
	s_or_b32 exec_lo, exec_lo, s30
	s_delay_alu instid0(VALU_DEP_1) | instskip(NEXT) | instid1(VALU_DEP_2)
	v_dual_lshlrev_b32 v94, 24, v93 :: v_dual_lshlrev_b32 v2, 20, v2
	v_lshl_add_u32 v92, v92, 23, 0x3c000000
	s_delay_alu instid0(VALU_DEP_2) | instskip(NEXT) | instid1(VALU_DEP_1)
	v_and_b32_e32 v94, 0x80000000, v94
	v_or3_b32 v92, v2, v94, v92
.LBB320_207:                            ;   in Loop: Header=BB320_9 Depth=1
	s_or_b32 exec_lo, exec_lo, s29
.LBB320_208:                            ;   in Loop: Header=BB320_9 Depth=1
	s_delay_alu instid0(SALU_CYCLE_1)
	s_or_b32 exec_lo, exec_lo, s28
.LBB320_209:                            ;   in Loop: Header=BB320_9 Depth=1
	s_delay_alu instid0(SALU_CYCLE_1) | instskip(SKIP_2) | instid1(VALU_DEP_1)
	s_or_b32 exec_lo, exec_lo, s27
	v_lshrrev_b16 v2, 8, v93
	s_mov_b32 s27, exec_lo
	v_cmpx_ne_u16_e32 0, v2
	s_cbranch_execz .LBB320_217
; %bb.210:                              ;   in Loop: Header=BB320_9 Depth=1
	v_bfrev_b32_e32 v91, 1
	s_mov_b32 s28, exec_lo
	v_cmpx_ne_u16_e32 0x80, v2
	s_cbranch_execz .LBB320_216
; %bb.211:                              ;   in Loop: Header=BB320_9 Depth=1
	v_and_b32_e32 v2, 0xffff, v2
	v_mov_b32_e32 v91, 0x7f800001
	s_mov_b32 s29, exec_lo
	s_delay_alu instid0(VALU_DEP_2) | instskip(NEXT) | instid1(VALU_DEP_1)
	v_and_b32_e32 v94, 0x7f, v2
	v_cmpx_ne_u32_e32 0x7f, v94
	s_cbranch_execz .LBB320_215
; %bb.212:                              ;   in Loop: Header=BB320_9 Depth=1
	v_and_b32_e32 v2, 7, v2
	v_lshrrev_b32_e32 v91, 3, v94
	s_mov_b32 s30, exec_lo
	v_cmpx_gt_u32_e32 8, v94
; %bb.213:                              ;   in Loop: Header=BB320_9 Depth=1
	s_delay_alu instid0(VALU_DEP_3) | instskip(NEXT) | instid1(VALU_DEP_1)
	v_clz_i32_u32_e32 v91, v2
	v_min_u32_e32 v91, 32, v91
	s_delay_alu instid0(VALU_DEP_1) | instskip(NEXT) | instid1(VALU_DEP_1)
	v_subrev_nc_u32_e32 v94, 28, v91
	v_lshlrev_b64_e32 v[94:95], v94, v[2:3]
	s_delay_alu instid0(VALU_DEP_1)
	v_dual_sub_nc_u32 v91, 29, v91 :: v_dual_bitop2_b32 v2, 7, v94 bitop3:0x40
; %bb.214:                              ;   in Loop: Header=BB320_9 Depth=1
	s_or_b32 exec_lo, exec_lo, s30
	s_delay_alu instid0(VALU_DEP_1) | instskip(NEXT) | instid1(VALU_DEP_2)
	v_dual_lshlrev_b32 v93, 16, v93 :: v_dual_lshlrev_b32 v2, 20, v2
	v_lshl_add_u32 v91, v91, 23, 0x3c000000
	s_delay_alu instid0(VALU_DEP_2) | instskip(NEXT) | instid1(VALU_DEP_1)
	v_and_b32_e32 v93, 0x80000000, v93
	v_or3_b32 v91, v2, v93, v91
.LBB320_215:                            ;   in Loop: Header=BB320_9 Depth=1
	s_or_b32 exec_lo, exec_lo, s29
.LBB320_216:                            ;   in Loop: Header=BB320_9 Depth=1
	s_delay_alu instid0(SALU_CYCLE_1)
	s_or_b32 exec_lo, exec_lo, s28
.LBB320_217:                            ;   in Loop: Header=BB320_9 Depth=1
	s_delay_alu instid0(SALU_CYCLE_1)
	s_or_b32 exec_lo, exec_lo, s27
	global_load_u16 v2, v[8:9], off offset:776
	v_mov_b32_e32 v93, 0
	s_wait_loadcnt 0x0
	v_and_b32_e32 v94, 0xff, v2
	v_and_b32_e32 v95, 0xffff, v2
	s_delay_alu instid0(VALU_DEP_2)
	v_cmp_ne_u16_e64 s4, 0, v94
	v_mov_b32_e32 v94, 0
	s_and_saveexec_b32 s27, s4
	s_cbranch_execz .LBB320_225
; %bb.218:                              ;   in Loop: Header=BB320_9 Depth=1
	v_and_b32_e32 v2, 0xff, v95
	v_bfrev_b32_e32 v94, 1
	s_mov_b32 s28, exec_lo
	s_delay_alu instid0(VALU_DEP_2)
	v_cmpx_ne_u16_e32 0x80, v2
	s_cbranch_execz .LBB320_224
; %bb.219:                              ;   in Loop: Header=BB320_9 Depth=1
	v_and_b32_e32 v96, 0x7f, v95
	v_mov_b32_e32 v94, 0x7f800001
	s_mov_b32 s29, exec_lo
	s_delay_alu instid0(VALU_DEP_2)
	v_cmpx_ne_u32_e32 0x7f, v96
	s_cbranch_execz .LBB320_223
; %bb.220:                              ;   in Loop: Header=BB320_9 Depth=1
	v_dual_lshrrev_b32 v94, 3, v96 :: v_dual_bitop2_b32 v2, 7, v95 bitop3:0x40
	s_mov_b32 s30, exec_lo
	v_cmpx_gt_u32_e32 8, v96
; %bb.221:                              ;   in Loop: Header=BB320_9 Depth=1
	s_delay_alu instid0(VALU_DEP_2) | instskip(NEXT) | instid1(VALU_DEP_1)
	v_clz_i32_u32_e32 v94, v2
	v_min_u32_e32 v94, 32, v94
	s_delay_alu instid0(VALU_DEP_1) | instskip(NEXT) | instid1(VALU_DEP_1)
	v_subrev_nc_u32_e32 v96, 28, v94
	v_lshlrev_b64_e32 v[96:97], v96, v[2:3]
	s_delay_alu instid0(VALU_DEP_1)
	v_dual_sub_nc_u32 v94, 29, v94 :: v_dual_bitop2_b32 v2, 7, v96 bitop3:0x40
; %bb.222:                              ;   in Loop: Header=BB320_9 Depth=1
	s_or_b32 exec_lo, exec_lo, s30
	s_delay_alu instid0(VALU_DEP_1) | instskip(NEXT) | instid1(VALU_DEP_2)
	v_dual_lshlrev_b32 v96, 24, v95 :: v_dual_lshlrev_b32 v2, 20, v2
	v_lshl_add_u32 v94, v94, 23, 0x3c000000
	s_delay_alu instid0(VALU_DEP_2) | instskip(NEXT) | instid1(VALU_DEP_1)
	v_and_b32_e32 v96, 0x80000000, v96
	v_or3_b32 v94, v2, v96, v94
.LBB320_223:                            ;   in Loop: Header=BB320_9 Depth=1
	s_or_b32 exec_lo, exec_lo, s29
.LBB320_224:                            ;   in Loop: Header=BB320_9 Depth=1
	s_delay_alu instid0(SALU_CYCLE_1)
	s_or_b32 exec_lo, exec_lo, s28
.LBB320_225:                            ;   in Loop: Header=BB320_9 Depth=1
	s_delay_alu instid0(SALU_CYCLE_1) | instskip(SKIP_2) | instid1(VALU_DEP_1)
	s_or_b32 exec_lo, exec_lo, s27
	v_lshrrev_b16 v2, 8, v95
	s_mov_b32 s27, exec_lo
	v_cmpx_ne_u16_e32 0, v2
	s_cbranch_execz .LBB320_233
; %bb.226:                              ;   in Loop: Header=BB320_9 Depth=1
	v_bfrev_b32_e32 v93, 1
	s_mov_b32 s28, exec_lo
	v_cmpx_ne_u16_e32 0x80, v2
	s_cbranch_execz .LBB320_232
; %bb.227:                              ;   in Loop: Header=BB320_9 Depth=1
	v_and_b32_e32 v2, 0xffff, v2
	v_mov_b32_e32 v93, 0x7f800001
	s_mov_b32 s29, exec_lo
	s_delay_alu instid0(VALU_DEP_2) | instskip(NEXT) | instid1(VALU_DEP_1)
	v_and_b32_e32 v96, 0x7f, v2
	v_cmpx_ne_u32_e32 0x7f, v96
	s_cbranch_execz .LBB320_231
; %bb.228:                              ;   in Loop: Header=BB320_9 Depth=1
	v_dual_lshrrev_b32 v93, 3, v96 :: v_dual_bitop2_b32 v2, 7, v2 bitop3:0x40
	s_mov_b32 s30, exec_lo
	v_cmpx_gt_u32_e32 8, v96
; %bb.229:                              ;   in Loop: Header=BB320_9 Depth=1
	s_delay_alu instid0(VALU_DEP_2) | instskip(NEXT) | instid1(VALU_DEP_1)
	v_clz_i32_u32_e32 v93, v2
	v_min_u32_e32 v93, 32, v93
	s_delay_alu instid0(VALU_DEP_1) | instskip(NEXT) | instid1(VALU_DEP_1)
	v_subrev_nc_u32_e32 v96, 28, v93
	v_lshlrev_b64_e32 v[96:97], v96, v[2:3]
	s_delay_alu instid0(VALU_DEP_1)
	v_dual_sub_nc_u32 v93, 29, v93 :: v_dual_bitop2_b32 v2, 7, v96 bitop3:0x40
; %bb.230:                              ;   in Loop: Header=BB320_9 Depth=1
	s_or_b32 exec_lo, exec_lo, s30
	s_delay_alu instid0(VALU_DEP_1) | instskip(NEXT) | instid1(VALU_DEP_2)
	v_dual_lshlrev_b32 v95, 16, v95 :: v_dual_lshlrev_b32 v2, 20, v2
	v_lshl_add_u32 v93, v93, 23, 0x3c000000
	s_delay_alu instid0(VALU_DEP_2) | instskip(NEXT) | instid1(VALU_DEP_1)
	v_and_b32_e32 v95, 0x80000000, v95
	v_or3_b32 v93, v2, v95, v93
.LBB320_231:                            ;   in Loop: Header=BB320_9 Depth=1
	s_or_b32 exec_lo, exec_lo, s29
.LBB320_232:                            ;   in Loop: Header=BB320_9 Depth=1
	s_delay_alu instid0(SALU_CYCLE_1)
	s_or_b32 exec_lo, exec_lo, s28
.LBB320_233:                            ;   in Loop: Header=BB320_9 Depth=1
	s_delay_alu instid0(SALU_CYCLE_1)
	s_or_b32 exec_lo, exec_lo, s27
	global_load_u16 v2, v[8:9], off offset:896
	v_mov_b32_e32 v95, 0
	s_wait_loadcnt 0x0
	v_and_b32_e32 v96, 0xff, v2
	v_and_b32_e32 v97, 0xffff, v2
	s_delay_alu instid0(VALU_DEP_2)
	v_cmp_ne_u16_e64 s4, 0, v96
	v_mov_b32_e32 v96, 0
	s_and_saveexec_b32 s27, s4
	s_cbranch_execz .LBB320_241
; %bb.234:                              ;   in Loop: Header=BB320_9 Depth=1
	v_and_b32_e32 v2, 0xff, v97
	v_bfrev_b32_e32 v96, 1
	s_mov_b32 s28, exec_lo
	s_delay_alu instid0(VALU_DEP_2)
	v_cmpx_ne_u16_e32 0x80, v2
	s_cbranch_execz .LBB320_240
; %bb.235:                              ;   in Loop: Header=BB320_9 Depth=1
	v_and_b32_e32 v98, 0x7f, v97
	v_mov_b32_e32 v96, 0x7f800001
	s_mov_b32 s29, exec_lo
	s_delay_alu instid0(VALU_DEP_2)
	v_cmpx_ne_u32_e32 0x7f, v98
	s_cbranch_execz .LBB320_239
; %bb.236:                              ;   in Loop: Header=BB320_9 Depth=1
	v_dual_lshrrev_b32 v96, 3, v98 :: v_dual_bitop2_b32 v2, 7, v97 bitop3:0x40
	s_mov_b32 s30, exec_lo
	v_cmpx_gt_u32_e32 8, v98
; %bb.237:                              ;   in Loop: Header=BB320_9 Depth=1
	s_delay_alu instid0(VALU_DEP_2) | instskip(NEXT) | instid1(VALU_DEP_1)
	v_clz_i32_u32_e32 v96, v2
	v_min_u32_e32 v96, 32, v96
	s_delay_alu instid0(VALU_DEP_1) | instskip(NEXT) | instid1(VALU_DEP_1)
	v_subrev_nc_u32_e32 v98, 28, v96
	v_lshlrev_b64_e32 v[98:99], v98, v[2:3]
	s_delay_alu instid0(VALU_DEP_1)
	v_dual_sub_nc_u32 v96, 29, v96 :: v_dual_bitop2_b32 v2, 7, v98 bitop3:0x40
; %bb.238:                              ;   in Loop: Header=BB320_9 Depth=1
	s_or_b32 exec_lo, exec_lo, s30
	s_delay_alu instid0(VALU_DEP_1) | instskip(NEXT) | instid1(VALU_DEP_2)
	v_dual_lshlrev_b32 v98, 24, v97 :: v_dual_lshlrev_b32 v2, 20, v2
	v_lshl_add_u32 v96, v96, 23, 0x3c000000
	s_delay_alu instid0(VALU_DEP_2) | instskip(NEXT) | instid1(VALU_DEP_1)
	v_and_b32_e32 v98, 0x80000000, v98
	v_or3_b32 v96, v2, v98, v96
.LBB320_239:                            ;   in Loop: Header=BB320_9 Depth=1
	s_or_b32 exec_lo, exec_lo, s29
.LBB320_240:                            ;   in Loop: Header=BB320_9 Depth=1
	s_delay_alu instid0(SALU_CYCLE_1)
	s_or_b32 exec_lo, exec_lo, s28
.LBB320_241:                            ;   in Loop: Header=BB320_9 Depth=1
	s_delay_alu instid0(SALU_CYCLE_1) | instskip(SKIP_2) | instid1(VALU_DEP_1)
	s_or_b32 exec_lo, exec_lo, s27
	v_lshrrev_b16 v2, 8, v97
	s_mov_b32 s27, exec_lo
	v_cmpx_ne_u16_e32 0, v2
	s_cbranch_execz .LBB320_249
; %bb.242:                              ;   in Loop: Header=BB320_9 Depth=1
	v_bfrev_b32_e32 v95, 1
	s_mov_b32 s28, exec_lo
	v_cmpx_ne_u16_e32 0x80, v2
	s_cbranch_execz .LBB320_248
; %bb.243:                              ;   in Loop: Header=BB320_9 Depth=1
	v_and_b32_e32 v2, 0xffff, v2
	v_mov_b32_e32 v95, 0x7f800001
	s_mov_b32 s29, exec_lo
	s_delay_alu instid0(VALU_DEP_2) | instskip(NEXT) | instid1(VALU_DEP_1)
	v_and_b32_e32 v98, 0x7f, v2
	v_cmpx_ne_u32_e32 0x7f, v98
	s_cbranch_execz .LBB320_247
; %bb.244:                              ;   in Loop: Header=BB320_9 Depth=1
	v_and_b32_e32 v2, 7, v2
	v_lshrrev_b32_e32 v95, 3, v98
	s_mov_b32 s30, exec_lo
	v_cmpx_gt_u32_e32 8, v98
; %bb.245:                              ;   in Loop: Header=BB320_9 Depth=1
	s_delay_alu instid0(VALU_DEP_3) | instskip(NEXT) | instid1(VALU_DEP_1)
	v_clz_i32_u32_e32 v95, v2
	v_min_u32_e32 v95, 32, v95
	s_delay_alu instid0(VALU_DEP_1) | instskip(NEXT) | instid1(VALU_DEP_1)
	v_subrev_nc_u32_e32 v98, 28, v95
	v_lshlrev_b64_e32 v[98:99], v98, v[2:3]
	s_delay_alu instid0(VALU_DEP_1)
	v_dual_sub_nc_u32 v95, 29, v95 :: v_dual_bitop2_b32 v2, 7, v98 bitop3:0x40
; %bb.246:                              ;   in Loop: Header=BB320_9 Depth=1
	s_or_b32 exec_lo, exec_lo, s30
	s_delay_alu instid0(VALU_DEP_1) | instskip(NEXT) | instid1(VALU_DEP_2)
	v_dual_lshlrev_b32 v97, 16, v97 :: v_dual_lshlrev_b32 v2, 20, v2
	v_lshl_add_u32 v95, v95, 23, 0x3c000000
	s_delay_alu instid0(VALU_DEP_2) | instskip(NEXT) | instid1(VALU_DEP_1)
	v_and_b32_e32 v97, 0x80000000, v97
	v_or3_b32 v95, v2, v97, v95
.LBB320_247:                            ;   in Loop: Header=BB320_9 Depth=1
	s_or_b32 exec_lo, exec_lo, s29
.LBB320_248:                            ;   in Loop: Header=BB320_9 Depth=1
	s_delay_alu instid0(SALU_CYCLE_1)
	s_or_b32 exec_lo, exec_lo, s28
.LBB320_249:                            ;   in Loop: Header=BB320_9 Depth=1
	s_delay_alu instid0(SALU_CYCLE_1)
	s_or_b32 exec_lo, exec_lo, s27
	global_load_u16 v2, v[8:9], off offset:904
	v_mov_b32_e32 v97, 0
	s_wait_loadcnt 0x0
	v_and_b32_e32 v98, 0xff, v2
	v_and_b32_e32 v99, 0xffff, v2
	s_delay_alu instid0(VALU_DEP_2)
	v_cmp_ne_u16_e64 s4, 0, v98
	v_mov_b32_e32 v98, 0
	s_and_saveexec_b32 s27, s4
	s_cbranch_execz .LBB320_257
; %bb.250:                              ;   in Loop: Header=BB320_9 Depth=1
	v_and_b32_e32 v2, 0xff, v99
	v_bfrev_b32_e32 v98, 1
	s_mov_b32 s28, exec_lo
	s_delay_alu instid0(VALU_DEP_2)
	v_cmpx_ne_u16_e32 0x80, v2
	s_cbranch_execz .LBB320_256
; %bb.251:                              ;   in Loop: Header=BB320_9 Depth=1
	v_and_b32_e32 v100, 0x7f, v99
	v_mov_b32_e32 v98, 0x7f800001
	s_mov_b32 s29, exec_lo
	s_delay_alu instid0(VALU_DEP_2)
	v_cmpx_ne_u32_e32 0x7f, v100
	s_cbranch_execz .LBB320_255
; %bb.252:                              ;   in Loop: Header=BB320_9 Depth=1
	v_dual_lshrrev_b32 v98, 3, v100 :: v_dual_bitop2_b32 v2, 7, v99 bitop3:0x40
	s_mov_b32 s30, exec_lo
	v_cmpx_gt_u32_e32 8, v100
; %bb.253:                              ;   in Loop: Header=BB320_9 Depth=1
	s_delay_alu instid0(VALU_DEP_2) | instskip(NEXT) | instid1(VALU_DEP_1)
	v_clz_i32_u32_e32 v98, v2
	v_min_u32_e32 v98, 32, v98
	s_delay_alu instid0(VALU_DEP_1) | instskip(NEXT) | instid1(VALU_DEP_1)
	v_subrev_nc_u32_e32 v100, 28, v98
	v_lshlrev_b64_e32 v[100:101], v100, v[2:3]
	s_delay_alu instid0(VALU_DEP_1)
	v_dual_sub_nc_u32 v98, 29, v98 :: v_dual_bitop2_b32 v2, 7, v100 bitop3:0x40
; %bb.254:                              ;   in Loop: Header=BB320_9 Depth=1
	s_or_b32 exec_lo, exec_lo, s30
	s_delay_alu instid0(VALU_DEP_1) | instskip(NEXT) | instid1(VALU_DEP_2)
	v_dual_lshlrev_b32 v100, 24, v99 :: v_dual_lshlrev_b32 v2, 20, v2
	v_lshl_add_u32 v98, v98, 23, 0x3c000000
	s_delay_alu instid0(VALU_DEP_2) | instskip(NEXT) | instid1(VALU_DEP_1)
	v_and_b32_e32 v100, 0x80000000, v100
	v_or3_b32 v98, v2, v100, v98
.LBB320_255:                            ;   in Loop: Header=BB320_9 Depth=1
	s_or_b32 exec_lo, exec_lo, s29
.LBB320_256:                            ;   in Loop: Header=BB320_9 Depth=1
	s_delay_alu instid0(SALU_CYCLE_1)
	s_or_b32 exec_lo, exec_lo, s28
.LBB320_257:                            ;   in Loop: Header=BB320_9 Depth=1
	s_delay_alu instid0(SALU_CYCLE_1) | instskip(SKIP_2) | instid1(VALU_DEP_1)
	s_or_b32 exec_lo, exec_lo, s27
	v_lshrrev_b16 v2, 8, v99
	s_mov_b32 s27, exec_lo
	v_cmpx_ne_u16_e32 0, v2
	s_cbranch_execz .LBB320_265
; %bb.258:                              ;   in Loop: Header=BB320_9 Depth=1
	v_bfrev_b32_e32 v97, 1
	s_mov_b32 s28, exec_lo
	v_cmpx_ne_u16_e32 0x80, v2
	s_cbranch_execz .LBB320_264
; %bb.259:                              ;   in Loop: Header=BB320_9 Depth=1
	v_and_b32_e32 v2, 0xffff, v2
	v_mov_b32_e32 v97, 0x7f800001
	s_mov_b32 s29, exec_lo
	s_delay_alu instid0(VALU_DEP_2) | instskip(NEXT) | instid1(VALU_DEP_1)
	v_and_b32_e32 v100, 0x7f, v2
	v_cmpx_ne_u32_e32 0x7f, v100
	s_cbranch_execz .LBB320_263
; %bb.260:                              ;   in Loop: Header=BB320_9 Depth=1
	v_dual_lshrrev_b32 v97, 3, v100 :: v_dual_bitop2_b32 v2, 7, v2 bitop3:0x40
	s_mov_b32 s30, exec_lo
	v_cmpx_gt_u32_e32 8, v100
; %bb.261:                              ;   in Loop: Header=BB320_9 Depth=1
	s_delay_alu instid0(VALU_DEP_2) | instskip(NEXT) | instid1(VALU_DEP_1)
	v_clz_i32_u32_e32 v97, v2
	v_min_u32_e32 v97, 32, v97
	s_delay_alu instid0(VALU_DEP_1) | instskip(NEXT) | instid1(VALU_DEP_1)
	v_subrev_nc_u32_e32 v100, 28, v97
	v_lshlrev_b64_e32 v[100:101], v100, v[2:3]
	s_delay_alu instid0(VALU_DEP_1)
	v_dual_sub_nc_u32 v97, 29, v97 :: v_dual_bitop2_b32 v2, 7, v100 bitop3:0x40
; %bb.262:                              ;   in Loop: Header=BB320_9 Depth=1
	s_or_b32 exec_lo, exec_lo, s30
	s_delay_alu instid0(VALU_DEP_1) | instskip(NEXT) | instid1(VALU_DEP_2)
	v_dual_lshlrev_b32 v99, 16, v99 :: v_dual_lshlrev_b32 v2, 20, v2
	v_lshl_add_u32 v97, v97, 23, 0x3c000000
	s_delay_alu instid0(VALU_DEP_2) | instskip(NEXT) | instid1(VALU_DEP_1)
	v_and_b32_e32 v99, 0x80000000, v99
	v_or3_b32 v97, v2, v99, v97
.LBB320_263:                            ;   in Loop: Header=BB320_9 Depth=1
	s_or_b32 exec_lo, exec_lo, s29
.LBB320_264:                            ;   in Loop: Header=BB320_9 Depth=1
	s_delay_alu instid0(SALU_CYCLE_1)
	s_or_b32 exec_lo, exec_lo, s28
.LBB320_265:                            ;   in Loop: Header=BB320_9 Depth=1
	s_delay_alu instid0(SALU_CYCLE_1)
	s_or_b32 exec_lo, exec_lo, s27
	global_load_u16 v2, v[8:9], off offset:1024
	v_mov_b32_e32 v99, 0
	s_wait_loadcnt 0x0
	v_and_b32_e32 v100, 0xff, v2
	v_and_b32_e32 v101, 0xffff, v2
	s_delay_alu instid0(VALU_DEP_2)
	v_cmp_ne_u16_e64 s4, 0, v100
	v_mov_b32_e32 v100, 0
	s_and_saveexec_b32 s27, s4
	s_cbranch_execz .LBB320_273
; %bb.266:                              ;   in Loop: Header=BB320_9 Depth=1
	v_and_b32_e32 v2, 0xff, v101
	v_bfrev_b32_e32 v100, 1
	s_mov_b32 s28, exec_lo
	s_delay_alu instid0(VALU_DEP_2)
	v_cmpx_ne_u16_e32 0x80, v2
	s_cbranch_execz .LBB320_272
; %bb.267:                              ;   in Loop: Header=BB320_9 Depth=1
	v_and_b32_e32 v102, 0x7f, v101
	v_mov_b32_e32 v100, 0x7f800001
	s_mov_b32 s29, exec_lo
	s_delay_alu instid0(VALU_DEP_2)
	v_cmpx_ne_u32_e32 0x7f, v102
	s_cbranch_execz .LBB320_271
; %bb.268:                              ;   in Loop: Header=BB320_9 Depth=1
	v_dual_lshrrev_b32 v100, 3, v102 :: v_dual_bitop2_b32 v2, 7, v101 bitop3:0x40
	s_mov_b32 s30, exec_lo
	v_cmpx_gt_u32_e32 8, v102
; %bb.269:                              ;   in Loop: Header=BB320_9 Depth=1
	s_delay_alu instid0(VALU_DEP_2) | instskip(NEXT) | instid1(VALU_DEP_1)
	v_clz_i32_u32_e32 v100, v2
	v_min_u32_e32 v100, 32, v100
	s_delay_alu instid0(VALU_DEP_1) | instskip(NEXT) | instid1(VALU_DEP_1)
	v_subrev_nc_u32_e32 v102, 28, v100
	v_lshlrev_b64_e32 v[102:103], v102, v[2:3]
	s_delay_alu instid0(VALU_DEP_1)
	v_dual_sub_nc_u32 v100, 29, v100 :: v_dual_bitop2_b32 v2, 7, v102 bitop3:0x40
; %bb.270:                              ;   in Loop: Header=BB320_9 Depth=1
	s_or_b32 exec_lo, exec_lo, s30
	s_delay_alu instid0(VALU_DEP_1) | instskip(NEXT) | instid1(VALU_DEP_2)
	v_dual_lshlrev_b32 v102, 24, v101 :: v_dual_lshlrev_b32 v2, 20, v2
	v_lshl_add_u32 v100, v100, 23, 0x3c000000
	s_delay_alu instid0(VALU_DEP_2) | instskip(NEXT) | instid1(VALU_DEP_1)
	v_and_b32_e32 v102, 0x80000000, v102
	v_or3_b32 v100, v2, v102, v100
.LBB320_271:                            ;   in Loop: Header=BB320_9 Depth=1
	s_or_b32 exec_lo, exec_lo, s29
.LBB320_272:                            ;   in Loop: Header=BB320_9 Depth=1
	s_delay_alu instid0(SALU_CYCLE_1)
	s_or_b32 exec_lo, exec_lo, s28
.LBB320_273:                            ;   in Loop: Header=BB320_9 Depth=1
	s_delay_alu instid0(SALU_CYCLE_1) | instskip(SKIP_2) | instid1(VALU_DEP_1)
	s_or_b32 exec_lo, exec_lo, s27
	v_lshrrev_b16 v2, 8, v101
	s_mov_b32 s27, exec_lo
	v_cmpx_ne_u16_e32 0, v2
	s_cbranch_execz .LBB320_281
; %bb.274:                              ;   in Loop: Header=BB320_9 Depth=1
	v_bfrev_b32_e32 v99, 1
	s_mov_b32 s28, exec_lo
	v_cmpx_ne_u16_e32 0x80, v2
	s_cbranch_execz .LBB320_280
; %bb.275:                              ;   in Loop: Header=BB320_9 Depth=1
	v_and_b32_e32 v2, 0xffff, v2
	v_mov_b32_e32 v99, 0x7f800001
	s_mov_b32 s29, exec_lo
	s_delay_alu instid0(VALU_DEP_2) | instskip(NEXT) | instid1(VALU_DEP_1)
	v_and_b32_e32 v102, 0x7f, v2
	v_cmpx_ne_u32_e32 0x7f, v102
	s_cbranch_execz .LBB320_279
; %bb.276:                              ;   in Loop: Header=BB320_9 Depth=1
	v_and_b32_e32 v2, 7, v2
	v_lshrrev_b32_e32 v99, 3, v102
	s_mov_b32 s30, exec_lo
	v_cmpx_gt_u32_e32 8, v102
; %bb.277:                              ;   in Loop: Header=BB320_9 Depth=1
	s_delay_alu instid0(VALU_DEP_3) | instskip(NEXT) | instid1(VALU_DEP_1)
	v_clz_i32_u32_e32 v99, v2
	v_min_u32_e32 v99, 32, v99
	s_delay_alu instid0(VALU_DEP_1) | instskip(NEXT) | instid1(VALU_DEP_1)
	v_subrev_nc_u32_e32 v102, 28, v99
	v_lshlrev_b64_e32 v[102:103], v102, v[2:3]
	s_delay_alu instid0(VALU_DEP_1)
	v_dual_sub_nc_u32 v99, 29, v99 :: v_dual_bitop2_b32 v2, 7, v102 bitop3:0x40
; %bb.278:                              ;   in Loop: Header=BB320_9 Depth=1
	s_or_b32 exec_lo, exec_lo, s30
	s_delay_alu instid0(VALU_DEP_1) | instskip(NEXT) | instid1(VALU_DEP_2)
	v_dual_lshlrev_b32 v101, 16, v101 :: v_dual_lshlrev_b32 v2, 20, v2
	v_lshl_add_u32 v99, v99, 23, 0x3c000000
	s_delay_alu instid0(VALU_DEP_2) | instskip(NEXT) | instid1(VALU_DEP_1)
	v_and_b32_e32 v101, 0x80000000, v101
	v_or3_b32 v99, v2, v101, v99
.LBB320_279:                            ;   in Loop: Header=BB320_9 Depth=1
	s_or_b32 exec_lo, exec_lo, s29
.LBB320_280:                            ;   in Loop: Header=BB320_9 Depth=1
	s_delay_alu instid0(SALU_CYCLE_1)
	s_or_b32 exec_lo, exec_lo, s28
.LBB320_281:                            ;   in Loop: Header=BB320_9 Depth=1
	s_delay_alu instid0(SALU_CYCLE_1)
	s_or_b32 exec_lo, exec_lo, s27
	global_load_u16 v2, v[8:9], off offset:1032
	v_mov_b32_e32 v101, 0
	s_wait_loadcnt 0x0
	v_and_b32_e32 v102, 0xff, v2
	v_and_b32_e32 v103, 0xffff, v2
	s_delay_alu instid0(VALU_DEP_2)
	v_cmp_ne_u16_e64 s4, 0, v102
	v_mov_b32_e32 v102, 0
	s_and_saveexec_b32 s27, s4
	s_cbranch_execz .LBB320_289
; %bb.282:                              ;   in Loop: Header=BB320_9 Depth=1
	v_and_b32_e32 v2, 0xff, v103
	v_bfrev_b32_e32 v102, 1
	s_mov_b32 s28, exec_lo
	s_delay_alu instid0(VALU_DEP_2)
	v_cmpx_ne_u16_e32 0x80, v2
	s_cbranch_execz .LBB320_288
; %bb.283:                              ;   in Loop: Header=BB320_9 Depth=1
	v_and_b32_e32 v104, 0x7f, v103
	v_mov_b32_e32 v102, 0x7f800001
	s_mov_b32 s29, exec_lo
	s_delay_alu instid0(VALU_DEP_2)
	v_cmpx_ne_u32_e32 0x7f, v104
	s_cbranch_execz .LBB320_287
; %bb.284:                              ;   in Loop: Header=BB320_9 Depth=1
	v_dual_lshrrev_b32 v102, 3, v104 :: v_dual_bitop2_b32 v2, 7, v103 bitop3:0x40
	s_mov_b32 s30, exec_lo
	v_cmpx_gt_u32_e32 8, v104
; %bb.285:                              ;   in Loop: Header=BB320_9 Depth=1
	s_delay_alu instid0(VALU_DEP_2) | instskip(NEXT) | instid1(VALU_DEP_1)
	v_clz_i32_u32_e32 v102, v2
	v_min_u32_e32 v102, 32, v102
	s_delay_alu instid0(VALU_DEP_1) | instskip(NEXT) | instid1(VALU_DEP_1)
	v_subrev_nc_u32_e32 v104, 28, v102
	v_lshlrev_b64_e32 v[104:105], v104, v[2:3]
	s_delay_alu instid0(VALU_DEP_1)
	v_dual_sub_nc_u32 v102, 29, v102 :: v_dual_bitop2_b32 v2, 7, v104 bitop3:0x40
; %bb.286:                              ;   in Loop: Header=BB320_9 Depth=1
	s_or_b32 exec_lo, exec_lo, s30
	s_delay_alu instid0(VALU_DEP_1) | instskip(NEXT) | instid1(VALU_DEP_2)
	v_dual_lshlrev_b32 v104, 24, v103 :: v_dual_lshlrev_b32 v2, 20, v2
	v_lshl_add_u32 v102, v102, 23, 0x3c000000
	s_delay_alu instid0(VALU_DEP_2) | instskip(NEXT) | instid1(VALU_DEP_1)
	v_and_b32_e32 v104, 0x80000000, v104
	v_or3_b32 v102, v2, v104, v102
.LBB320_287:                            ;   in Loop: Header=BB320_9 Depth=1
	s_or_b32 exec_lo, exec_lo, s29
.LBB320_288:                            ;   in Loop: Header=BB320_9 Depth=1
	s_delay_alu instid0(SALU_CYCLE_1)
	s_or_b32 exec_lo, exec_lo, s28
.LBB320_289:                            ;   in Loop: Header=BB320_9 Depth=1
	s_delay_alu instid0(SALU_CYCLE_1) | instskip(SKIP_2) | instid1(VALU_DEP_1)
	s_or_b32 exec_lo, exec_lo, s27
	v_lshrrev_b16 v2, 8, v103
	s_mov_b32 s27, exec_lo
	v_cmpx_ne_u16_e32 0, v2
	s_cbranch_execz .LBB320_297
; %bb.290:                              ;   in Loop: Header=BB320_9 Depth=1
	v_bfrev_b32_e32 v101, 1
	s_mov_b32 s28, exec_lo
	v_cmpx_ne_u16_e32 0x80, v2
	s_cbranch_execz .LBB320_296
; %bb.291:                              ;   in Loop: Header=BB320_9 Depth=1
	v_and_b32_e32 v2, 0xffff, v2
	v_mov_b32_e32 v101, 0x7f800001
	s_mov_b32 s29, exec_lo
	s_delay_alu instid0(VALU_DEP_2) | instskip(NEXT) | instid1(VALU_DEP_1)
	v_and_b32_e32 v104, 0x7f, v2
	v_cmpx_ne_u32_e32 0x7f, v104
	s_cbranch_execz .LBB320_295
; %bb.292:                              ;   in Loop: Header=BB320_9 Depth=1
	v_dual_lshrrev_b32 v101, 3, v104 :: v_dual_bitop2_b32 v2, 7, v2 bitop3:0x40
	s_mov_b32 s30, exec_lo
	v_cmpx_gt_u32_e32 8, v104
; %bb.293:                              ;   in Loop: Header=BB320_9 Depth=1
	s_delay_alu instid0(VALU_DEP_2) | instskip(NEXT) | instid1(VALU_DEP_1)
	v_clz_i32_u32_e32 v101, v2
	v_min_u32_e32 v101, 32, v101
	s_delay_alu instid0(VALU_DEP_1) | instskip(NEXT) | instid1(VALU_DEP_1)
	v_subrev_nc_u32_e32 v104, 28, v101
	v_lshlrev_b64_e32 v[104:105], v104, v[2:3]
	s_delay_alu instid0(VALU_DEP_1)
	v_dual_sub_nc_u32 v101, 29, v101 :: v_dual_bitop2_b32 v2, 7, v104 bitop3:0x40
; %bb.294:                              ;   in Loop: Header=BB320_9 Depth=1
	s_or_b32 exec_lo, exec_lo, s30
	s_delay_alu instid0(VALU_DEP_1) | instskip(NEXT) | instid1(VALU_DEP_2)
	v_dual_lshlrev_b32 v103, 16, v103 :: v_dual_lshlrev_b32 v2, 20, v2
	v_lshl_add_u32 v101, v101, 23, 0x3c000000
	s_delay_alu instid0(VALU_DEP_2) | instskip(NEXT) | instid1(VALU_DEP_1)
	v_and_b32_e32 v103, 0x80000000, v103
	v_or3_b32 v101, v2, v103, v101
.LBB320_295:                            ;   in Loop: Header=BB320_9 Depth=1
	s_or_b32 exec_lo, exec_lo, s29
.LBB320_296:                            ;   in Loop: Header=BB320_9 Depth=1
	s_delay_alu instid0(SALU_CYCLE_1)
	s_or_b32 exec_lo, exec_lo, s28
.LBB320_297:                            ;   in Loop: Header=BB320_9 Depth=1
	s_delay_alu instid0(SALU_CYCLE_1)
	s_or_b32 exec_lo, exec_lo, s27
	global_load_u16 v2, v[8:9], off offset:1152
	v_mov_b32_e32 v103, 0
	s_wait_loadcnt 0x0
	v_and_b32_e32 v104, 0xff, v2
	v_and_b32_e32 v105, 0xffff, v2
	s_delay_alu instid0(VALU_DEP_2)
	v_cmp_ne_u16_e64 s4, 0, v104
	v_mov_b32_e32 v104, 0
	s_and_saveexec_b32 s27, s4
	s_cbranch_execz .LBB320_305
; %bb.298:                              ;   in Loop: Header=BB320_9 Depth=1
	v_and_b32_e32 v2, 0xff, v105
	v_bfrev_b32_e32 v104, 1
	s_mov_b32 s28, exec_lo
	s_delay_alu instid0(VALU_DEP_2)
	v_cmpx_ne_u16_e32 0x80, v2
	s_cbranch_execz .LBB320_304
; %bb.299:                              ;   in Loop: Header=BB320_9 Depth=1
	v_and_b32_e32 v106, 0x7f, v105
	v_mov_b32_e32 v104, 0x7f800001
	s_mov_b32 s29, exec_lo
	s_delay_alu instid0(VALU_DEP_2)
	v_cmpx_ne_u32_e32 0x7f, v106
	s_cbranch_execz .LBB320_303
; %bb.300:                              ;   in Loop: Header=BB320_9 Depth=1
	v_dual_lshrrev_b32 v104, 3, v106 :: v_dual_bitop2_b32 v2, 7, v105 bitop3:0x40
	s_mov_b32 s30, exec_lo
	v_cmpx_gt_u32_e32 8, v106
; %bb.301:                              ;   in Loop: Header=BB320_9 Depth=1
	s_delay_alu instid0(VALU_DEP_2) | instskip(NEXT) | instid1(VALU_DEP_1)
	v_clz_i32_u32_e32 v104, v2
	v_min_u32_e32 v104, 32, v104
	s_delay_alu instid0(VALU_DEP_1) | instskip(NEXT) | instid1(VALU_DEP_1)
	v_subrev_nc_u32_e32 v106, 28, v104
	v_lshlrev_b64_e32 v[106:107], v106, v[2:3]
	s_delay_alu instid0(VALU_DEP_1)
	v_dual_sub_nc_u32 v104, 29, v104 :: v_dual_bitop2_b32 v2, 7, v106 bitop3:0x40
; %bb.302:                              ;   in Loop: Header=BB320_9 Depth=1
	s_or_b32 exec_lo, exec_lo, s30
	s_delay_alu instid0(VALU_DEP_1) | instskip(NEXT) | instid1(VALU_DEP_2)
	v_dual_lshlrev_b32 v106, 24, v105 :: v_dual_lshlrev_b32 v2, 20, v2
	v_lshl_add_u32 v104, v104, 23, 0x3c000000
	s_delay_alu instid0(VALU_DEP_2) | instskip(NEXT) | instid1(VALU_DEP_1)
	v_and_b32_e32 v106, 0x80000000, v106
	v_or3_b32 v104, v2, v106, v104
.LBB320_303:                            ;   in Loop: Header=BB320_9 Depth=1
	s_or_b32 exec_lo, exec_lo, s29
.LBB320_304:                            ;   in Loop: Header=BB320_9 Depth=1
	s_delay_alu instid0(SALU_CYCLE_1)
	s_or_b32 exec_lo, exec_lo, s28
.LBB320_305:                            ;   in Loop: Header=BB320_9 Depth=1
	s_delay_alu instid0(SALU_CYCLE_1) | instskip(SKIP_2) | instid1(VALU_DEP_1)
	s_or_b32 exec_lo, exec_lo, s27
	v_lshrrev_b16 v2, 8, v105
	s_mov_b32 s27, exec_lo
	v_cmpx_ne_u16_e32 0, v2
	s_cbranch_execz .LBB320_313
; %bb.306:                              ;   in Loop: Header=BB320_9 Depth=1
	v_bfrev_b32_e32 v103, 1
	s_mov_b32 s28, exec_lo
	v_cmpx_ne_u16_e32 0x80, v2
	s_cbranch_execz .LBB320_312
; %bb.307:                              ;   in Loop: Header=BB320_9 Depth=1
	v_and_b32_e32 v2, 0xffff, v2
	v_mov_b32_e32 v103, 0x7f800001
	s_mov_b32 s29, exec_lo
	s_delay_alu instid0(VALU_DEP_2) | instskip(NEXT) | instid1(VALU_DEP_1)
	v_and_b32_e32 v106, 0x7f, v2
	v_cmpx_ne_u32_e32 0x7f, v106
	s_cbranch_execz .LBB320_311
; %bb.308:                              ;   in Loop: Header=BB320_9 Depth=1
	v_and_b32_e32 v2, 7, v2
	v_lshrrev_b32_e32 v103, 3, v106
	s_mov_b32 s30, exec_lo
	v_cmpx_gt_u32_e32 8, v106
; %bb.309:                              ;   in Loop: Header=BB320_9 Depth=1
	s_delay_alu instid0(VALU_DEP_3) | instskip(NEXT) | instid1(VALU_DEP_1)
	v_clz_i32_u32_e32 v103, v2
	v_min_u32_e32 v103, 32, v103
	s_delay_alu instid0(VALU_DEP_1) | instskip(NEXT) | instid1(VALU_DEP_1)
	v_subrev_nc_u32_e32 v106, 28, v103
	v_lshlrev_b64_e32 v[106:107], v106, v[2:3]
	s_delay_alu instid0(VALU_DEP_1)
	v_dual_sub_nc_u32 v103, 29, v103 :: v_dual_bitop2_b32 v2, 7, v106 bitop3:0x40
; %bb.310:                              ;   in Loop: Header=BB320_9 Depth=1
	s_or_b32 exec_lo, exec_lo, s30
	s_delay_alu instid0(VALU_DEP_1) | instskip(NEXT) | instid1(VALU_DEP_2)
	v_dual_lshlrev_b32 v105, 16, v105 :: v_dual_lshlrev_b32 v2, 20, v2
	v_lshl_add_u32 v103, v103, 23, 0x3c000000
	s_delay_alu instid0(VALU_DEP_2) | instskip(NEXT) | instid1(VALU_DEP_1)
	v_and_b32_e32 v105, 0x80000000, v105
	v_or3_b32 v103, v2, v105, v103
.LBB320_311:                            ;   in Loop: Header=BB320_9 Depth=1
	s_or_b32 exec_lo, exec_lo, s29
.LBB320_312:                            ;   in Loop: Header=BB320_9 Depth=1
	s_delay_alu instid0(SALU_CYCLE_1)
	s_or_b32 exec_lo, exec_lo, s28
.LBB320_313:                            ;   in Loop: Header=BB320_9 Depth=1
	s_delay_alu instid0(SALU_CYCLE_1)
	s_or_b32 exec_lo, exec_lo, s27
	global_load_u16 v2, v[8:9], off offset:1160
	v_mov_b32_e32 v105, 0
	s_wait_loadcnt 0x0
	v_and_b32_e32 v106, 0xff, v2
	v_and_b32_e32 v107, 0xffff, v2
	s_delay_alu instid0(VALU_DEP_2)
	v_cmp_ne_u16_e64 s4, 0, v106
	v_mov_b32_e32 v106, 0
	s_and_saveexec_b32 s27, s4
	s_cbranch_execz .LBB320_321
; %bb.314:                              ;   in Loop: Header=BB320_9 Depth=1
	v_and_b32_e32 v2, 0xff, v107
	v_bfrev_b32_e32 v106, 1
	s_mov_b32 s28, exec_lo
	s_delay_alu instid0(VALU_DEP_2)
	v_cmpx_ne_u16_e32 0x80, v2
	s_cbranch_execz .LBB320_320
; %bb.315:                              ;   in Loop: Header=BB320_9 Depth=1
	v_and_b32_e32 v108, 0x7f, v107
	v_mov_b32_e32 v106, 0x7f800001
	s_mov_b32 s29, exec_lo
	s_delay_alu instid0(VALU_DEP_2)
	v_cmpx_ne_u32_e32 0x7f, v108
	s_cbranch_execz .LBB320_319
; %bb.316:                              ;   in Loop: Header=BB320_9 Depth=1
	v_dual_lshrrev_b32 v106, 3, v108 :: v_dual_bitop2_b32 v2, 7, v107 bitop3:0x40
	s_mov_b32 s30, exec_lo
	v_cmpx_gt_u32_e32 8, v108
; %bb.317:                              ;   in Loop: Header=BB320_9 Depth=1
	s_delay_alu instid0(VALU_DEP_2) | instskip(NEXT) | instid1(VALU_DEP_1)
	v_clz_i32_u32_e32 v106, v2
	v_min_u32_e32 v106, 32, v106
	s_delay_alu instid0(VALU_DEP_1) | instskip(NEXT) | instid1(VALU_DEP_1)
	v_subrev_nc_u32_e32 v108, 28, v106
	v_lshlrev_b64_e32 v[108:109], v108, v[2:3]
	s_delay_alu instid0(VALU_DEP_1)
	v_dual_sub_nc_u32 v106, 29, v106 :: v_dual_bitop2_b32 v2, 7, v108 bitop3:0x40
; %bb.318:                              ;   in Loop: Header=BB320_9 Depth=1
	s_or_b32 exec_lo, exec_lo, s30
	s_delay_alu instid0(VALU_DEP_1) | instskip(NEXT) | instid1(VALU_DEP_2)
	v_dual_lshlrev_b32 v108, 24, v107 :: v_dual_lshlrev_b32 v2, 20, v2
	v_lshl_add_u32 v106, v106, 23, 0x3c000000
	s_delay_alu instid0(VALU_DEP_2) | instskip(NEXT) | instid1(VALU_DEP_1)
	v_and_b32_e32 v108, 0x80000000, v108
	v_or3_b32 v106, v2, v108, v106
.LBB320_319:                            ;   in Loop: Header=BB320_9 Depth=1
	s_or_b32 exec_lo, exec_lo, s29
.LBB320_320:                            ;   in Loop: Header=BB320_9 Depth=1
	s_delay_alu instid0(SALU_CYCLE_1)
	s_or_b32 exec_lo, exec_lo, s28
.LBB320_321:                            ;   in Loop: Header=BB320_9 Depth=1
	s_delay_alu instid0(SALU_CYCLE_1) | instskip(SKIP_2) | instid1(VALU_DEP_1)
	s_or_b32 exec_lo, exec_lo, s27
	v_lshrrev_b16 v2, 8, v107
	s_mov_b32 s27, exec_lo
	v_cmpx_ne_u16_e32 0, v2
	s_cbranch_execz .LBB320_329
; %bb.322:                              ;   in Loop: Header=BB320_9 Depth=1
	v_bfrev_b32_e32 v105, 1
	s_mov_b32 s28, exec_lo
	v_cmpx_ne_u16_e32 0x80, v2
	s_cbranch_execz .LBB320_328
; %bb.323:                              ;   in Loop: Header=BB320_9 Depth=1
	v_and_b32_e32 v2, 0xffff, v2
	v_mov_b32_e32 v105, 0x7f800001
	s_mov_b32 s29, exec_lo
	s_delay_alu instid0(VALU_DEP_2) | instskip(NEXT) | instid1(VALU_DEP_1)
	v_and_b32_e32 v108, 0x7f, v2
	v_cmpx_ne_u32_e32 0x7f, v108
	s_cbranch_execz .LBB320_327
; %bb.324:                              ;   in Loop: Header=BB320_9 Depth=1
	v_dual_lshrrev_b32 v105, 3, v108 :: v_dual_bitop2_b32 v2, 7, v2 bitop3:0x40
	s_mov_b32 s30, exec_lo
	v_cmpx_gt_u32_e32 8, v108
; %bb.325:                              ;   in Loop: Header=BB320_9 Depth=1
	s_delay_alu instid0(VALU_DEP_2) | instskip(NEXT) | instid1(VALU_DEP_1)
	v_clz_i32_u32_e32 v105, v2
	v_min_u32_e32 v105, 32, v105
	s_delay_alu instid0(VALU_DEP_1) | instskip(NEXT) | instid1(VALU_DEP_1)
	v_subrev_nc_u32_e32 v108, 28, v105
	v_lshlrev_b64_e32 v[108:109], v108, v[2:3]
	s_delay_alu instid0(VALU_DEP_1)
	v_dual_sub_nc_u32 v105, 29, v105 :: v_dual_bitop2_b32 v2, 7, v108 bitop3:0x40
; %bb.326:                              ;   in Loop: Header=BB320_9 Depth=1
	s_or_b32 exec_lo, exec_lo, s30
	s_delay_alu instid0(VALU_DEP_1) | instskip(NEXT) | instid1(VALU_DEP_2)
	v_dual_lshlrev_b32 v107, 16, v107 :: v_dual_lshlrev_b32 v2, 20, v2
	v_lshl_add_u32 v105, v105, 23, 0x3c000000
	s_delay_alu instid0(VALU_DEP_2) | instskip(NEXT) | instid1(VALU_DEP_1)
	v_and_b32_e32 v107, 0x80000000, v107
	v_or3_b32 v105, v2, v107, v105
.LBB320_327:                            ;   in Loop: Header=BB320_9 Depth=1
	s_or_b32 exec_lo, exec_lo, s29
.LBB320_328:                            ;   in Loop: Header=BB320_9 Depth=1
	s_delay_alu instid0(SALU_CYCLE_1)
	s_or_b32 exec_lo, exec_lo, s28
.LBB320_329:                            ;   in Loop: Header=BB320_9 Depth=1
	s_delay_alu instid0(SALU_CYCLE_1)
	s_or_b32 exec_lo, exec_lo, s27
	global_load_u16 v2, v[8:9], off offset:1280
	v_mov_b32_e32 v107, 0
	s_wait_loadcnt 0x0
	v_and_b32_e32 v108, 0xff, v2
	v_and_b32_e32 v109, 0xffff, v2
	s_delay_alu instid0(VALU_DEP_2)
	v_cmp_ne_u16_e64 s4, 0, v108
	v_mov_b32_e32 v108, 0
	s_and_saveexec_b32 s27, s4
	s_cbranch_execz .LBB320_337
; %bb.330:                              ;   in Loop: Header=BB320_9 Depth=1
	v_and_b32_e32 v2, 0xff, v109
	v_bfrev_b32_e32 v108, 1
	s_mov_b32 s28, exec_lo
	s_delay_alu instid0(VALU_DEP_2)
	v_cmpx_ne_u16_e32 0x80, v2
	s_cbranch_execz .LBB320_336
; %bb.331:                              ;   in Loop: Header=BB320_9 Depth=1
	v_and_b32_e32 v110, 0x7f, v109
	v_mov_b32_e32 v108, 0x7f800001
	s_mov_b32 s29, exec_lo
	s_delay_alu instid0(VALU_DEP_2)
	v_cmpx_ne_u32_e32 0x7f, v110
	s_cbranch_execz .LBB320_335
; %bb.332:                              ;   in Loop: Header=BB320_9 Depth=1
	v_dual_lshrrev_b32 v108, 3, v110 :: v_dual_bitop2_b32 v2, 7, v109 bitop3:0x40
	s_mov_b32 s30, exec_lo
	v_cmpx_gt_u32_e32 8, v110
; %bb.333:                              ;   in Loop: Header=BB320_9 Depth=1
	s_delay_alu instid0(VALU_DEP_2) | instskip(NEXT) | instid1(VALU_DEP_1)
	v_clz_i32_u32_e32 v108, v2
	v_min_u32_e32 v108, 32, v108
	s_delay_alu instid0(VALU_DEP_1) | instskip(NEXT) | instid1(VALU_DEP_1)
	v_subrev_nc_u32_e32 v110, 28, v108
	v_lshlrev_b64_e32 v[110:111], v110, v[2:3]
	s_delay_alu instid0(VALU_DEP_1)
	v_dual_sub_nc_u32 v108, 29, v108 :: v_dual_bitop2_b32 v2, 7, v110 bitop3:0x40
; %bb.334:                              ;   in Loop: Header=BB320_9 Depth=1
	s_or_b32 exec_lo, exec_lo, s30
	s_delay_alu instid0(VALU_DEP_1) | instskip(NEXT) | instid1(VALU_DEP_2)
	v_dual_lshlrev_b32 v110, 24, v109 :: v_dual_lshlrev_b32 v2, 20, v2
	v_lshl_add_u32 v108, v108, 23, 0x3c000000
	s_delay_alu instid0(VALU_DEP_2) | instskip(NEXT) | instid1(VALU_DEP_1)
	v_and_b32_e32 v110, 0x80000000, v110
	v_or3_b32 v108, v2, v110, v108
.LBB320_335:                            ;   in Loop: Header=BB320_9 Depth=1
	s_or_b32 exec_lo, exec_lo, s29
.LBB320_336:                            ;   in Loop: Header=BB320_9 Depth=1
	s_delay_alu instid0(SALU_CYCLE_1)
	s_or_b32 exec_lo, exec_lo, s28
.LBB320_337:                            ;   in Loop: Header=BB320_9 Depth=1
	s_delay_alu instid0(SALU_CYCLE_1) | instskip(SKIP_2) | instid1(VALU_DEP_1)
	s_or_b32 exec_lo, exec_lo, s27
	v_lshrrev_b16 v2, 8, v109
	s_mov_b32 s27, exec_lo
	v_cmpx_ne_u16_e32 0, v2
	s_cbranch_execz .LBB320_345
; %bb.338:                              ;   in Loop: Header=BB320_9 Depth=1
	v_bfrev_b32_e32 v107, 1
	s_mov_b32 s28, exec_lo
	v_cmpx_ne_u16_e32 0x80, v2
	s_cbranch_execz .LBB320_344
; %bb.339:                              ;   in Loop: Header=BB320_9 Depth=1
	v_and_b32_e32 v2, 0xffff, v2
	v_mov_b32_e32 v107, 0x7f800001
	s_mov_b32 s29, exec_lo
	s_delay_alu instid0(VALU_DEP_2) | instskip(NEXT) | instid1(VALU_DEP_1)
	v_and_b32_e32 v110, 0x7f, v2
	v_cmpx_ne_u32_e32 0x7f, v110
	s_cbranch_execz .LBB320_343
; %bb.340:                              ;   in Loop: Header=BB320_9 Depth=1
	v_and_b32_e32 v2, 7, v2
	v_lshrrev_b32_e32 v107, 3, v110
	s_mov_b32 s30, exec_lo
	v_cmpx_gt_u32_e32 8, v110
; %bb.341:                              ;   in Loop: Header=BB320_9 Depth=1
	s_delay_alu instid0(VALU_DEP_3) | instskip(NEXT) | instid1(VALU_DEP_1)
	v_clz_i32_u32_e32 v107, v2
	v_min_u32_e32 v107, 32, v107
	s_delay_alu instid0(VALU_DEP_1) | instskip(NEXT) | instid1(VALU_DEP_1)
	v_subrev_nc_u32_e32 v110, 28, v107
	v_lshlrev_b64_e32 v[110:111], v110, v[2:3]
	s_delay_alu instid0(VALU_DEP_1)
	v_dual_sub_nc_u32 v107, 29, v107 :: v_dual_bitop2_b32 v2, 7, v110 bitop3:0x40
; %bb.342:                              ;   in Loop: Header=BB320_9 Depth=1
	s_or_b32 exec_lo, exec_lo, s30
	s_delay_alu instid0(VALU_DEP_1) | instskip(NEXT) | instid1(VALU_DEP_2)
	v_dual_lshlrev_b32 v109, 16, v109 :: v_dual_lshlrev_b32 v2, 20, v2
	v_lshl_add_u32 v107, v107, 23, 0x3c000000
	s_delay_alu instid0(VALU_DEP_2) | instskip(NEXT) | instid1(VALU_DEP_1)
	v_and_b32_e32 v109, 0x80000000, v109
	v_or3_b32 v107, v2, v109, v107
.LBB320_343:                            ;   in Loop: Header=BB320_9 Depth=1
	s_or_b32 exec_lo, exec_lo, s29
.LBB320_344:                            ;   in Loop: Header=BB320_9 Depth=1
	s_delay_alu instid0(SALU_CYCLE_1)
	s_or_b32 exec_lo, exec_lo, s28
.LBB320_345:                            ;   in Loop: Header=BB320_9 Depth=1
	s_delay_alu instid0(SALU_CYCLE_1)
	s_or_b32 exec_lo, exec_lo, s27
	global_load_u16 v2, v[8:9], off offset:1288
	v_mov_b32_e32 v109, 0
	s_wait_loadcnt 0x0
	v_and_b32_e32 v110, 0xff, v2
	v_and_b32_e32 v111, 0xffff, v2
	s_delay_alu instid0(VALU_DEP_2)
	v_cmp_ne_u16_e64 s4, 0, v110
	v_mov_b32_e32 v110, 0
	s_and_saveexec_b32 s27, s4
	s_cbranch_execz .LBB320_353
; %bb.346:                              ;   in Loop: Header=BB320_9 Depth=1
	v_and_b32_e32 v2, 0xff, v111
	v_bfrev_b32_e32 v110, 1
	s_mov_b32 s28, exec_lo
	s_delay_alu instid0(VALU_DEP_2)
	v_cmpx_ne_u16_e32 0x80, v2
	s_cbranch_execz .LBB320_352
; %bb.347:                              ;   in Loop: Header=BB320_9 Depth=1
	v_and_b32_e32 v112, 0x7f, v111
	v_mov_b32_e32 v110, 0x7f800001
	s_mov_b32 s29, exec_lo
	s_delay_alu instid0(VALU_DEP_2)
	v_cmpx_ne_u32_e32 0x7f, v112
	s_cbranch_execz .LBB320_351
; %bb.348:                              ;   in Loop: Header=BB320_9 Depth=1
	v_dual_lshrrev_b32 v110, 3, v112 :: v_dual_bitop2_b32 v2, 7, v111 bitop3:0x40
	s_mov_b32 s30, exec_lo
	v_cmpx_gt_u32_e32 8, v112
; %bb.349:                              ;   in Loop: Header=BB320_9 Depth=1
	s_delay_alu instid0(VALU_DEP_2) | instskip(NEXT) | instid1(VALU_DEP_1)
	v_clz_i32_u32_e32 v110, v2
	v_min_u32_e32 v110, 32, v110
	s_delay_alu instid0(VALU_DEP_1) | instskip(NEXT) | instid1(VALU_DEP_1)
	v_subrev_nc_u32_e32 v112, 28, v110
	v_lshlrev_b64_e32 v[112:113], v112, v[2:3]
	s_delay_alu instid0(VALU_DEP_1)
	v_dual_sub_nc_u32 v110, 29, v110 :: v_dual_bitop2_b32 v2, 7, v112 bitop3:0x40
; %bb.350:                              ;   in Loop: Header=BB320_9 Depth=1
	s_or_b32 exec_lo, exec_lo, s30
	s_delay_alu instid0(VALU_DEP_1) | instskip(NEXT) | instid1(VALU_DEP_2)
	v_dual_lshlrev_b32 v112, 24, v111 :: v_dual_lshlrev_b32 v2, 20, v2
	v_lshl_add_u32 v110, v110, 23, 0x3c000000
	s_delay_alu instid0(VALU_DEP_2) | instskip(NEXT) | instid1(VALU_DEP_1)
	v_and_b32_e32 v112, 0x80000000, v112
	v_or3_b32 v110, v2, v112, v110
.LBB320_351:                            ;   in Loop: Header=BB320_9 Depth=1
	s_or_b32 exec_lo, exec_lo, s29
.LBB320_352:                            ;   in Loop: Header=BB320_9 Depth=1
	s_delay_alu instid0(SALU_CYCLE_1)
	s_or_b32 exec_lo, exec_lo, s28
.LBB320_353:                            ;   in Loop: Header=BB320_9 Depth=1
	s_delay_alu instid0(SALU_CYCLE_1) | instskip(SKIP_2) | instid1(VALU_DEP_1)
	s_or_b32 exec_lo, exec_lo, s27
	v_lshrrev_b16 v2, 8, v111
	s_mov_b32 s27, exec_lo
	v_cmpx_ne_u16_e32 0, v2
	s_cbranch_execz .LBB320_361
; %bb.354:                              ;   in Loop: Header=BB320_9 Depth=1
	v_bfrev_b32_e32 v109, 1
	s_mov_b32 s28, exec_lo
	v_cmpx_ne_u16_e32 0x80, v2
	s_cbranch_execz .LBB320_360
; %bb.355:                              ;   in Loop: Header=BB320_9 Depth=1
	v_and_b32_e32 v2, 0xffff, v2
	v_mov_b32_e32 v109, 0x7f800001
	s_mov_b32 s29, exec_lo
	s_delay_alu instid0(VALU_DEP_2) | instskip(NEXT) | instid1(VALU_DEP_1)
	v_and_b32_e32 v112, 0x7f, v2
	v_cmpx_ne_u32_e32 0x7f, v112
	s_cbranch_execz .LBB320_359
; %bb.356:                              ;   in Loop: Header=BB320_9 Depth=1
	v_dual_lshrrev_b32 v109, 3, v112 :: v_dual_bitop2_b32 v2, 7, v2 bitop3:0x40
	s_mov_b32 s30, exec_lo
	v_cmpx_gt_u32_e32 8, v112
; %bb.357:                              ;   in Loop: Header=BB320_9 Depth=1
	s_delay_alu instid0(VALU_DEP_2) | instskip(NEXT) | instid1(VALU_DEP_1)
	v_clz_i32_u32_e32 v109, v2
	v_min_u32_e32 v109, 32, v109
	s_delay_alu instid0(VALU_DEP_1) | instskip(NEXT) | instid1(VALU_DEP_1)
	v_subrev_nc_u32_e32 v112, 28, v109
	v_lshlrev_b64_e32 v[112:113], v112, v[2:3]
	s_delay_alu instid0(VALU_DEP_1)
	v_dual_sub_nc_u32 v109, 29, v109 :: v_dual_bitop2_b32 v2, 7, v112 bitop3:0x40
; %bb.358:                              ;   in Loop: Header=BB320_9 Depth=1
	s_or_b32 exec_lo, exec_lo, s30
	s_delay_alu instid0(VALU_DEP_1) | instskip(NEXT) | instid1(VALU_DEP_2)
	v_dual_lshlrev_b32 v111, 16, v111 :: v_dual_lshlrev_b32 v2, 20, v2
	v_lshl_add_u32 v109, v109, 23, 0x3c000000
	s_delay_alu instid0(VALU_DEP_2) | instskip(NEXT) | instid1(VALU_DEP_1)
	v_and_b32_e32 v111, 0x80000000, v111
	v_or3_b32 v109, v2, v111, v109
.LBB320_359:                            ;   in Loop: Header=BB320_9 Depth=1
	s_or_b32 exec_lo, exec_lo, s29
.LBB320_360:                            ;   in Loop: Header=BB320_9 Depth=1
	s_delay_alu instid0(SALU_CYCLE_1)
	s_or_b32 exec_lo, exec_lo, s28
.LBB320_361:                            ;   in Loop: Header=BB320_9 Depth=1
	s_delay_alu instid0(SALU_CYCLE_1)
	s_or_b32 exec_lo, exec_lo, s27
	global_load_u16 v2, v[8:9], off offset:1408
	v_mov_b32_e32 v111, 0
	s_wait_loadcnt 0x0
	v_and_b32_e32 v112, 0xff, v2
	v_and_b32_e32 v113, 0xffff, v2
	s_delay_alu instid0(VALU_DEP_2)
	v_cmp_ne_u16_e64 s4, 0, v112
	v_mov_b32_e32 v112, 0
	s_and_saveexec_b32 s27, s4
	s_cbranch_execz .LBB320_369
; %bb.362:                              ;   in Loop: Header=BB320_9 Depth=1
	v_and_b32_e32 v2, 0xff, v113
	v_bfrev_b32_e32 v112, 1
	s_mov_b32 s28, exec_lo
	s_delay_alu instid0(VALU_DEP_2)
	v_cmpx_ne_u16_e32 0x80, v2
	s_cbranch_execz .LBB320_368
; %bb.363:                              ;   in Loop: Header=BB320_9 Depth=1
	v_and_b32_e32 v114, 0x7f, v113
	v_mov_b32_e32 v112, 0x7f800001
	s_mov_b32 s29, exec_lo
	s_delay_alu instid0(VALU_DEP_2)
	v_cmpx_ne_u32_e32 0x7f, v114
	s_cbranch_execz .LBB320_367
; %bb.364:                              ;   in Loop: Header=BB320_9 Depth=1
	v_dual_lshrrev_b32 v112, 3, v114 :: v_dual_bitop2_b32 v2, 7, v113 bitop3:0x40
	s_mov_b32 s30, exec_lo
	v_cmpx_gt_u32_e32 8, v114
; %bb.365:                              ;   in Loop: Header=BB320_9 Depth=1
	s_delay_alu instid0(VALU_DEP_2) | instskip(NEXT) | instid1(VALU_DEP_1)
	v_clz_i32_u32_e32 v112, v2
	v_min_u32_e32 v112, 32, v112
	s_delay_alu instid0(VALU_DEP_1) | instskip(NEXT) | instid1(VALU_DEP_1)
	v_subrev_nc_u32_e32 v114, 28, v112
	v_lshlrev_b64_e32 v[114:115], v114, v[2:3]
	s_delay_alu instid0(VALU_DEP_1)
	v_dual_sub_nc_u32 v112, 29, v112 :: v_dual_bitop2_b32 v2, 7, v114 bitop3:0x40
; %bb.366:                              ;   in Loop: Header=BB320_9 Depth=1
	s_or_b32 exec_lo, exec_lo, s30
	s_delay_alu instid0(VALU_DEP_1) | instskip(NEXT) | instid1(VALU_DEP_2)
	v_dual_lshlrev_b32 v114, 24, v113 :: v_dual_lshlrev_b32 v2, 20, v2
	v_lshl_add_u32 v112, v112, 23, 0x3c000000
	s_delay_alu instid0(VALU_DEP_2) | instskip(NEXT) | instid1(VALU_DEP_1)
	v_and_b32_e32 v114, 0x80000000, v114
	v_or3_b32 v112, v2, v114, v112
.LBB320_367:                            ;   in Loop: Header=BB320_9 Depth=1
	s_or_b32 exec_lo, exec_lo, s29
.LBB320_368:                            ;   in Loop: Header=BB320_9 Depth=1
	s_delay_alu instid0(SALU_CYCLE_1)
	s_or_b32 exec_lo, exec_lo, s28
.LBB320_369:                            ;   in Loop: Header=BB320_9 Depth=1
	s_delay_alu instid0(SALU_CYCLE_1) | instskip(SKIP_2) | instid1(VALU_DEP_1)
	s_or_b32 exec_lo, exec_lo, s27
	v_lshrrev_b16 v2, 8, v113
	s_mov_b32 s27, exec_lo
	v_cmpx_ne_u16_e32 0, v2
	s_cbranch_execz .LBB320_377
; %bb.370:                              ;   in Loop: Header=BB320_9 Depth=1
	v_bfrev_b32_e32 v111, 1
	s_mov_b32 s28, exec_lo
	v_cmpx_ne_u16_e32 0x80, v2
	s_cbranch_execz .LBB320_376
; %bb.371:                              ;   in Loop: Header=BB320_9 Depth=1
	v_and_b32_e32 v2, 0xffff, v2
	v_mov_b32_e32 v111, 0x7f800001
	s_mov_b32 s29, exec_lo
	s_delay_alu instid0(VALU_DEP_2) | instskip(NEXT) | instid1(VALU_DEP_1)
	v_and_b32_e32 v114, 0x7f, v2
	v_cmpx_ne_u32_e32 0x7f, v114
	s_cbranch_execz .LBB320_375
; %bb.372:                              ;   in Loop: Header=BB320_9 Depth=1
	v_and_b32_e32 v2, 7, v2
	v_lshrrev_b32_e32 v111, 3, v114
	s_mov_b32 s30, exec_lo
	v_cmpx_gt_u32_e32 8, v114
; %bb.373:                              ;   in Loop: Header=BB320_9 Depth=1
	s_delay_alu instid0(VALU_DEP_3) | instskip(NEXT) | instid1(VALU_DEP_1)
	v_clz_i32_u32_e32 v111, v2
	v_min_u32_e32 v111, 32, v111
	s_delay_alu instid0(VALU_DEP_1) | instskip(NEXT) | instid1(VALU_DEP_1)
	v_subrev_nc_u32_e32 v114, 28, v111
	v_lshlrev_b64_e32 v[114:115], v114, v[2:3]
	s_delay_alu instid0(VALU_DEP_1)
	v_dual_sub_nc_u32 v111, 29, v111 :: v_dual_bitop2_b32 v2, 7, v114 bitop3:0x40
; %bb.374:                              ;   in Loop: Header=BB320_9 Depth=1
	s_or_b32 exec_lo, exec_lo, s30
	s_delay_alu instid0(VALU_DEP_1) | instskip(NEXT) | instid1(VALU_DEP_2)
	v_dual_lshlrev_b32 v113, 16, v113 :: v_dual_lshlrev_b32 v2, 20, v2
	v_lshl_add_u32 v111, v111, 23, 0x3c000000
	s_delay_alu instid0(VALU_DEP_2) | instskip(NEXT) | instid1(VALU_DEP_1)
	v_and_b32_e32 v113, 0x80000000, v113
	v_or3_b32 v111, v2, v113, v111
.LBB320_375:                            ;   in Loop: Header=BB320_9 Depth=1
	s_or_b32 exec_lo, exec_lo, s29
.LBB320_376:                            ;   in Loop: Header=BB320_9 Depth=1
	s_delay_alu instid0(SALU_CYCLE_1)
	s_or_b32 exec_lo, exec_lo, s28
.LBB320_377:                            ;   in Loop: Header=BB320_9 Depth=1
	s_delay_alu instid0(SALU_CYCLE_1)
	s_or_b32 exec_lo, exec_lo, s27
	global_load_u16 v2, v[8:9], off offset:1416
	s_wait_xcnt 0x0
	v_mov_b32_e32 v8, 0
	s_wait_loadcnt 0x0
	v_and_b32_e32 v9, 0xff, v2
	v_and_b32_e32 v113, 0xffff, v2
	s_delay_alu instid0(VALU_DEP_2)
	v_cmp_ne_u16_e64 s4, 0, v9
	v_mov_b32_e32 v9, 0
	s_and_saveexec_b32 s27, s4
	s_cbranch_execz .LBB320_385
; %bb.378:                              ;   in Loop: Header=BB320_9 Depth=1
	v_and_b32_e32 v2, 0xff, v113
	v_bfrev_b32_e32 v9, 1
	s_mov_b32 s28, exec_lo
	s_delay_alu instid0(VALU_DEP_2)
	v_cmpx_ne_u16_e32 0x80, v2
	s_cbranch_execz .LBB320_384
; %bb.379:                              ;   in Loop: Header=BB320_9 Depth=1
	v_and_b32_e32 v114, 0x7f, v113
	v_mov_b32_e32 v9, 0x7f800001
	s_mov_b32 s29, exec_lo
	s_delay_alu instid0(VALU_DEP_2)
	v_cmpx_ne_u32_e32 0x7f, v114
	s_cbranch_execz .LBB320_383
; %bb.380:                              ;   in Loop: Header=BB320_9 Depth=1
	v_dual_lshrrev_b32 v9, 3, v114 :: v_dual_bitop2_b32 v2, 7, v113 bitop3:0x40
	s_mov_b32 s30, exec_lo
	v_cmpx_gt_u32_e32 8, v114
; %bb.381:                              ;   in Loop: Header=BB320_9 Depth=1
	s_delay_alu instid0(VALU_DEP_2) | instskip(NEXT) | instid1(VALU_DEP_1)
	v_clz_i32_u32_e32 v9, v2
	v_min_u32_e32 v9, 32, v9
	s_delay_alu instid0(VALU_DEP_1) | instskip(NEXT) | instid1(VALU_DEP_1)
	v_subrev_nc_u32_e32 v114, 28, v9
	v_lshlrev_b64_e32 v[114:115], v114, v[2:3]
	s_delay_alu instid0(VALU_DEP_1)
	v_dual_sub_nc_u32 v9, 29, v9 :: v_dual_bitop2_b32 v2, 7, v114 bitop3:0x40
; %bb.382:                              ;   in Loop: Header=BB320_9 Depth=1
	s_or_b32 exec_lo, exec_lo, s30
	s_delay_alu instid0(VALU_DEP_1) | instskip(NEXT) | instid1(VALU_DEP_2)
	v_dual_lshlrev_b32 v114, 24, v113 :: v_dual_lshlrev_b32 v2, 20, v2
	v_lshl_add_u32 v9, v9, 23, 0x3c000000
	s_delay_alu instid0(VALU_DEP_2) | instskip(NEXT) | instid1(VALU_DEP_1)
	v_and_b32_e32 v114, 0x80000000, v114
	v_or3_b32 v9, v2, v114, v9
.LBB320_383:                            ;   in Loop: Header=BB320_9 Depth=1
	s_or_b32 exec_lo, exec_lo, s29
.LBB320_384:                            ;   in Loop: Header=BB320_9 Depth=1
	s_delay_alu instid0(SALU_CYCLE_1)
	s_or_b32 exec_lo, exec_lo, s28
.LBB320_385:                            ;   in Loop: Header=BB320_9 Depth=1
	s_delay_alu instid0(SALU_CYCLE_1) | instskip(SKIP_2) | instid1(VALU_DEP_1)
	s_or_b32 exec_lo, exec_lo, s27
	v_lshrrev_b16 v2, 8, v113
	s_mov_b32 s27, exec_lo
	v_cmpx_ne_u16_e32 0, v2
	s_cbranch_execz .LBB320_393
; %bb.386:                              ;   in Loop: Header=BB320_9 Depth=1
	v_bfrev_b32_e32 v8, 1
	s_mov_b32 s28, exec_lo
	v_cmpx_ne_u16_e32 0x80, v2
	s_cbranch_execz .LBB320_392
; %bb.387:                              ;   in Loop: Header=BB320_9 Depth=1
	v_and_b32_e32 v2, 0xffff, v2
	v_mov_b32_e32 v8, 0x7f800001
	s_mov_b32 s29, exec_lo
	s_delay_alu instid0(VALU_DEP_2) | instskip(NEXT) | instid1(VALU_DEP_1)
	v_and_b32_e32 v114, 0x7f, v2
	v_cmpx_ne_u32_e32 0x7f, v114
	s_cbranch_execz .LBB320_391
; %bb.388:                              ;   in Loop: Header=BB320_9 Depth=1
	v_and_b32_e32 v2, 7, v2
	v_lshrrev_b32_e32 v8, 3, v114
	s_mov_b32 s30, exec_lo
	v_cmpx_gt_u32_e32 8, v114
; %bb.389:                              ;   in Loop: Header=BB320_9 Depth=1
	s_delay_alu instid0(VALU_DEP_3) | instskip(NEXT) | instid1(VALU_DEP_1)
	v_clz_i32_u32_e32 v8, v2
	v_min_u32_e32 v8, 32, v8
	s_delay_alu instid0(VALU_DEP_1) | instskip(NEXT) | instid1(VALU_DEP_1)
	v_subrev_nc_u32_e32 v114, 28, v8
	v_lshlrev_b64_e32 v[114:115], v114, v[2:3]
	s_delay_alu instid0(VALU_DEP_1)
	v_dual_sub_nc_u32 v8, 29, v8 :: v_dual_bitop2_b32 v2, 7, v114 bitop3:0x40
; %bb.390:                              ;   in Loop: Header=BB320_9 Depth=1
	s_or_b32 exec_lo, exec_lo, s30
	s_delay_alu instid0(VALU_DEP_1) | instskip(NEXT) | instid1(VALU_DEP_2)
	v_dual_lshlrev_b32 v113, 16, v113 :: v_dual_lshlrev_b32 v2, 20, v2
	v_lshl_add_u32 v8, v8, 23, 0x3c000000
	s_delay_alu instid0(VALU_DEP_2) | instskip(NEXT) | instid1(VALU_DEP_1)
	v_and_b32_e32 v113, 0x80000000, v113
	v_or3_b32 v8, v2, v113, v8
.LBB320_391:                            ;   in Loop: Header=BB320_9 Depth=1
	s_or_b32 exec_lo, exec_lo, s29
.LBB320_392:                            ;   in Loop: Header=BB320_9 Depth=1
	s_delay_alu instid0(SALU_CYCLE_1)
	s_or_b32 exec_lo, exec_lo, s28
.LBB320_393:                            ;   in Loop: Header=BB320_9 Depth=1
	s_delay_alu instid0(SALU_CYCLE_1)
	s_or_b32 exec_lo, exec_lo, s27
	s_wait_kmcnt 0x0
	v_fma_mixlo_bf16 v2, s5, v70, 0
	v_fma_mixlo_bf16 v69, s5, v69, 0
	;; [unrolled: 1-line block ×5, first 2 shown]
	s_delay_alu instid0(VALU_DEP_4) | instskip(SKIP_3) | instid1(VALU_DEP_4)
	v_dual_lshlrev_b32 v2, 16, v2 :: v_dual_lshlrev_b32 v69, 16, v69
	v_fma_mixlo_bf16 v71, s5, v72, 0
	v_fma_mixlo_bf16 v9, s5, v9, 0
	;; [unrolled: 1-line block ×3, first 2 shown]
	v_dual_mul_f32 v2, v14, v2 :: v_dual_mul_f32 v69, v15, v69
	s_delay_alu instid0(VALU_DEP_1) | instskip(NEXT) | instid1(VALU_DEP_2)
	v_fma_mix_f32_bf16 v2, v12, v68, v2 op_sel_hi:[0,1,0]
	v_fma_mix_f32_bf16 v67, v13, v67, v69 op_sel_hi:[0,1,0]
	v_fma_mixlo_bf16 v68, s5, v73, 0
	v_fma_mixlo_bf16 v69, s5, v74, 0
	s_delay_alu instid0(VALU_DEP_4) | instskip(NEXT) | instid1(VALU_DEP_4)
	v_fma_mix_f32_bf16 v2, v16, v71, v2 op_sel_hi:[0,1,0]
	v_fma_mix_f32_bf16 v67, v17, v70, v67 op_sel_hi:[0,1,0]
	v_fma_mixlo_bf16 v70, s5, v75, 0
	v_fma_mixlo_bf16 v71, s5, v76, 0
	s_delay_alu instid0(VALU_DEP_4) | instskip(NEXT) | instid1(VALU_DEP_4)
	;; [unrolled: 5-line block ×20, first 2 shown]
	v_fma_mix_f32_bf16 v2, v55, v69, v2 op_sel_hi:[0,1,0]
	v_fma_mix_f32_bf16 v67, v56, v68, v67 op_sel_hi:[0,1,0]
	s_delay_alu instid0(VALU_DEP_2) | instskip(NEXT) | instid1(VALU_DEP_2)
	v_fma_mix_f32_bf16 v2, v57, v71, v2 op_sel_hi:[0,1,0]
	v_fma_mix_f32_bf16 v67, v58, v70, v67 op_sel_hi:[0,1,0]
	s_delay_alu instid0(VALU_DEP_2) | instskip(NEXT) | instid1(VALU_DEP_2)
	v_fma_mix_f32_bf16 v2, v59, v9, v2 op_sel_hi:[0,1,0]
	v_fma_mix_f32_bf16 v8, v60, v8, v67 op_sel_hi:[0,1,0]
	s_delay_alu instid0(VALU_DEP_1)
	v_add_f32_e32 v2, v2, v8
	ds_bpermute_b32 v8, v61, v2
	s_wait_dscnt 0x0
	v_add_f32_e32 v2, v2, v8
	ds_bpermute_b32 v8, v63, v2
	s_and_saveexec_b32 s27, vcc_lo
	s_cbranch_execz .LBB320_8
; %bb.394:                              ;   in Loop: Header=BB320_9 Depth=1
	s_wait_dscnt 0x0
	v_add_f32_e32 v2, v2, v8
	v_add_nc_u32_e32 v9, s21, v64
	v_cmp_gt_i32_e64 s4, s25, v64
	s_delay_alu instid0(VALU_DEP_2) | instskip(NEXT) | instid1(VALU_DEP_1)
	v_cvt_f32_i32_e32 v9, v9
	v_mul_f32_e32 v9, s18, v9
	s_delay_alu instid0(VALU_DEP_1) | instskip(NEXT) | instid1(VALU_DEP_1)
	v_dual_cndmask_b32 v8, 0, v9, s3 :: v_dual_max_num_f32 v9, v62, v62
	v_fmac_f32_e32 v8, s19, v2
	s_delay_alu instid0(VALU_DEP_1) | instskip(NEXT) | instid1(VALU_DEP_1)
	v_dual_max_num_f32 v2, v9, v8 :: v_dual_cndmask_b32 v8, 0, v8, s4
	v_cndmask_b32_e64 v62, v62, v2, s4
	ds_store_b32 v65, v8
	s_branch .LBB320_8
.LBB320_395:
	s_or_b32 exec_lo, exec_lo, s11
.LBB320_396:
	s_delay_alu instid0(SALU_CYCLE_1)
	s_or_b32 exec_lo, exec_lo, s26
	v_xor_b32_e32 v5, 8, v10
	v_xor_b32_e32 v2, 16, v10
	v_max_num_f32_e32 v6, v62, v62
	s_wait_kmcnt 0x0
	s_clause 0x1
	s_load_b64 s[4:5], s[0:1], 0x0
	s_load_b64 s[18:19], s[0:1], 0x18
	v_and_b32_e32 v28, 31, v0
	v_cmp_lt_i32_e32 vcc_lo, v2, v11
	v_cndmask_b32_e32 v2, v10, v2, vcc_lo
	v_cmp_lt_i32_e32 vcc_lo, v5, v11
	s_delay_alu instid0(VALU_DEP_2) | instskip(SKIP_3) | instid1(VALU_DEP_1)
	v_dual_cndmask_b32 v5, v10, v5 :: v_dual_lshlrev_b32 v2, 2, v2
	ds_bpermute_b32 v4, v2, v62
	s_wait_dscnt 0x0
	v_dual_max_num_f32 v7, v4, v4 :: v_dual_lshlrev_b32 v4, 2, v5
	v_dual_max_num_f32 v5, v6, v7 :: v_dual_bitop2_b32 v7, 4, v10 bitop3:0x14
	ds_bpermute_b32 v6, v4, v5
	v_cmp_lt_i32_e32 vcc_lo, v7, v11
	v_cndmask_b32_e32 v7, v10, v7, vcc_lo
	v_cmp_eq_u32_e32 vcc_lo, 0, v28
	s_wait_dscnt 0x0
	s_delay_alu instid0(VALU_DEP_2) | instskip(NEXT) | instid1(VALU_DEP_1)
	v_dual_max_num_f32 v6, v6, v6 :: v_dual_lshlrev_b32 v7, 2, v7
	v_dual_max_num_f32 v6, v5, v6 :: v_dual_lshlrev_b32 v5, 2, v1
	ds_bpermute_b32 v8, v7, v6
	s_wait_xcnt 0x0
	s_and_saveexec_b32 s0, vcc_lo
	s_cbranch_execz .LBB320_398
; %bb.397:
	s_wait_dscnt 0x0
	v_dual_max_num_f32 v8, v8, v8 :: v_dual_max_num_f32 v6, v6, v6
	s_delay_alu instid0(VALU_DEP_1)
	v_max_num_f32_e32 v6, v6, v8
	ds_store_b32 v5, v6 offset:384
.LBB320_398:
	s_or_b32 exec_lo, exec_lo, s0
	v_cmp_gt_u32_e64 s0, 4, v28
	v_dual_mov_b32 v9, 0xff7fffff :: v_dual_lshlrev_b32 v6, 2, v28
	s_wait_dscnt 0x0
	s_barrier_signal -1
	s_barrier_wait -1
	s_and_saveexec_b32 s1, s0
; %bb.399:
	ds_load_b32 v9, v6 offset:384
; %bb.400:
	s_or_b32 exec_lo, exec_lo, s1
	s_wait_dscnt 0x0
	v_dual_max_num_f32 v14, v9, v9 :: v_dual_bitop2_b32 v8, 2, v10 bitop3:0x14
	v_dual_lshlrev_b32 v3, 2, v3 :: v_dual_bitop2_b32 v13, 1, v10 bitop3:0x14
	s_delay_alu instid0(VALU_DEP_2) | instskip(NEXT) | instid1(VALU_DEP_1)
	v_cmp_lt_i32_e64 s1, v8, v11
	v_cndmask_b32_e64 v8, v10, v8, s1
	s_delay_alu instid0(VALU_DEP_3) | instskip(NEXT) | instid1(VALU_DEP_2)
	v_cmp_lt_i32_e64 s1, v13, v11
	v_lshlrev_b32_e32 v8, 2, v8
	ds_bpermute_b32 v12, v8, v9
	v_cndmask_b32_e64 v9, v10, v13, s1
	s_lshl_b32 s1, s13, 3
	s_delay_alu instid0(SALU_CYCLE_1) | instskip(NEXT) | instid1(VALU_DEP_1)
	s_min_i32 s11, s1, s25
	v_lshlrev_b32_e32 v9, 2, v9
	v_cmp_gt_i32_e64 s1, s11, v0
	s_wait_dscnt 0x0
	v_max_num_f32_e32 v11, v12, v12
	s_delay_alu instid0(VALU_DEP_1) | instskip(SKIP_3) | instid1(VALU_DEP_1)
	v_max_num_f32_e32 v11, v14, v11
	ds_bpermute_b32 v12, v9, v11
	s_wait_dscnt 0x0
	v_max_num_f32_e32 v12, v12, v12
	v_max_num_f32_e32 v11, v11, v12
	ds_bpermute_b32 v11, v3, v11
	v_mov_b32_e32 v3, 0
	s_and_saveexec_b32 s20, s1
	s_cbranch_execz .LBB320_404
; %bb.401:
	v_lshl_add_u32 v12, v0, 2, 0x1a0
	v_dual_mov_b32 v3, 0 :: v_dual_mov_b32 v13, v0
	s_mov_b32 s21, 0
.LBB320_402:                            ; =>This Inner Loop Header: Depth=1
	ds_load_b32 v14, v12
	v_add_nc_u32_e32 v13, 0x80, v13
	s_delay_alu instid0(VALU_DEP_1) | instskip(SKIP_3) | instid1(VALU_DEP_1)
	v_cmp_le_i32_e64 s3, s11, v13
	s_or_b32 s21, s3, s21
	s_wait_dscnt 0x0
	v_sub_f32_e32 v14, v14, v11
	v_mul_f32_e32 v14, 0x3fb8aa3b, v14
	s_delay_alu instid0(VALU_DEP_1)
	v_exp_f32_e32 v14, v14
	ds_store_b32 v12, v14
	v_nop
	v_dual_add_f32 v3, v3, v14 :: v_dual_add_nc_u32 v12, 0x200, v12
	s_and_not1_b32 exec_lo, exec_lo, s21
	s_cbranch_execnz .LBB320_402
; %bb.403:
	s_or_b32 exec_lo, exec_lo, s21
.LBB320_404:
	s_delay_alu instid0(SALU_CYCLE_1)
	s_or_b32 exec_lo, exec_lo, s20
	ds_bpermute_b32 v2, v2, v3
	s_wait_dscnt 0x0
	v_add_f32_e32 v2, v3, v2
	ds_bpermute_b32 v3, v4, v2
	s_wait_dscnt 0x0
	v_add_f32_e32 v2, v2, v3
	;; [unrolled: 3-line block ×5, first 2 shown]
	s_and_saveexec_b32 s3, vcc_lo
; %bb.405:
	ds_store_b32 v5, v2 offset:400
; %bb.406:
	s_or_b32 exec_lo, exec_lo, s3
	s_wait_dscnt 0x0
	s_barrier_signal -1
	s_barrier_wait -1
	s_and_saveexec_b32 s3, s0
; %bb.407:
	ds_load_b32 v2, v6 offset:400
; %bb.408:
	s_or_b32 exec_lo, exec_lo, s3
	s_wait_dscnt 0x0
	ds_bpermute_b32 v3, v8, v2
	s_wait_dscnt 0x0
	v_dual_lshlrev_b32 v4, 2, v10 :: v_dual_add_f32 v2, v2, v3
	ds_bpermute_b32 v3, v9, v2
	s_wait_dscnt 0x0
	v_add_f32_e32 v2, v2, v3
	v_and_b32_e32 v3, 0xffffff80, v4
	ds_bpermute_b32 v2, v3, v2
	s_and_saveexec_b32 s0, s1
	s_cbranch_execz .LBB320_421
; %bb.409:
	s_wait_dscnt 0x0
	v_add_f32_e32 v2, 0x358637bd, v2
	s_mov_b32 s3, -1
	s_mov_b32 s1, exec_lo
	s_delay_alu instid0(VALU_DEP_1) | instskip(NEXT) | instid1(VALU_DEP_1)
	v_div_scale_f32 v3, null, v2, v2, 1.0
	v_rcp_f32_e32 v5, v3
	v_nop
	s_delay_alu instid0(TRANS32_DEP_1) | instskip(NEXT) | instid1(VALU_DEP_1)
	v_fma_f32 v4, -v3, v5, 1.0
	v_fmac_f32_e32 v5, v4, v5
	v_div_scale_f32 v6, vcc_lo, 1.0, v2, 1.0
	s_delay_alu instid0(VALU_DEP_1) | instskip(NEXT) | instid1(VALU_DEP_1)
	v_mul_f32_e32 v7, v6, v5
	v_fma_f32 v4, -v3, v7, v6
	s_delay_alu instid0(VALU_DEP_1) | instskip(SKIP_1) | instid1(VALU_DEP_2)
	v_fmac_f32_e32 v7, v4, v5
	v_xad_u32 v4, v0, -1, s11
	v_fma_f32 v3, -v3, v7, v6
	s_delay_alu instid0(VALU_DEP_1) | instskip(NEXT) | instid1(VALU_DEP_1)
	v_div_fmas_f32 v3, v3, v5, v7
	v_div_fixup_f32 v2, v3, v2, 1.0
	v_mov_b32_e32 v3, v0
	v_cmpx_lt_u32_e32 0x7f, v4
	s_cbranch_execz .LBB320_418
; %bb.410:
	s_delay_alu instid0(VALU_DEP_3) | instskip(NEXT) | instid1(VALU_DEP_1)
	v_dual_mov_b32 v3, v2 :: v_dual_lshrrev_b32 v4, 7, v4
	v_dual_mov_b32 v8, 0 :: v_dual_add_nc_u32 v5, -1, v4
	s_delay_alu instid0(VALU_DEP_1) | instskip(SKIP_1) | instid1(VALU_DEP_2)
	v_lshrrev_b32_e32 v6, 1, v5
	v_cmp_lt_u32_e32 vcc_lo, 13, v5
	v_add_nc_u32_e32 v5, 1, v6
	s_and_saveexec_b32 s3, vcc_lo
	s_cbranch_execz .LBB320_414
; %bb.411:
	s_delay_alu instid0(VALU_DEP_1)
	v_and_b32_e32 v6, -8, v5
	v_lshl_add_u32 v7, v0, 2, 0x1a0
	s_mov_b32 s20, 0
	s_mov_b32 s21, 0
.LBB320_412:                            ; =>This Inner Loop Header: Depth=1
	ds_load_2addr_stride64_b32 v[8:9], v7 offset1:2
	ds_load_2addr_stride64_b32 v[10:11], v7 offset0:4 offset1:6
	ds_load_2addr_stride64_b32 v[12:13], v7 offset0:8 offset1:10
	;; [unrolled: 1-line block ×7, first 2 shown]
	s_add_co_i32 s21, s21, 16
	v_add_nc_u32_e32 v6, -8, v6
	s_wait_dscnt 0x7
	v_pk_mul_f32 v[8:9], v[2:3], v[8:9]
	s_wait_dscnt 0x6
	v_pk_mul_f32 v[10:11], v[2:3], v[10:11]
	;; [unrolled: 2-line block ×8, first 2 shown]
	ds_store_2addr_stride64_b32 v7, v8, v9 offset1:2
	ds_store_2addr_stride64_b32 v7, v10, v11 offset0:4 offset1:6
	ds_store_2addr_stride64_b32 v7, v12, v13 offset0:8 offset1:10
	;; [unrolled: 1-line block ×7, first 2 shown]
	v_mov_b32_e32 v8, s21
	v_cmp_eq_u32_e32 vcc_lo, 0, v6
	v_add_nc_u32_e32 v7, 0x2000, v7
	s_or_b32 s20, vcc_lo, s20
	s_delay_alu instid0(SALU_CYCLE_1)
	s_and_not1_b32 exec_lo, exec_lo, s20
	s_cbranch_execnz .LBB320_412
; %bb.413:
	s_or_b32 exec_lo, exec_lo, s20
.LBB320_414:
	s_delay_alu instid0(SALU_CYCLE_1) | instskip(NEXT) | instid1(VALU_DEP_1)
	s_or_b32 exec_lo, exec_lo, s3
	v_and_b32_e32 v5, 7, v5
	s_mov_b32 s20, 0
	s_mov_b32 s3, exec_lo
	s_delay_alu instid0(VALU_DEP_1)
	v_cmpx_ne_u32_e32 0, v5
	s_cbranch_execz .LBB320_417
; %bb.415:
	v_lshlrev_b32_e32 v6, 9, v8
	v_lshlrev_b32_e32 v7, 2, v0
	s_delay_alu instid0(VALU_DEP_1)
	v_add3_u32 v6, v6, v7, 0x1a0
.LBB320_416:                            ; =>This Inner Loop Header: Depth=1
	ds_load_2addr_stride64_b32 v[8:9], v6 offset1:2
	v_add_nc_u32_e32 v5, -1, v5
	s_delay_alu instid0(VALU_DEP_1)
	v_cmp_eq_u32_e32 vcc_lo, 0, v5
	s_or_b32 s20, vcc_lo, s20
	s_wait_dscnt 0x0
	v_pk_mul_f32 v[8:9], v[2:3], v[8:9]
	ds_store_2addr_stride64_b32 v6, v8, v9 offset1:2
	v_add_nc_u32_e32 v6, 0x400, v6
	s_and_not1_b32 exec_lo, exec_lo, s20
	s_cbranch_execnz .LBB320_416
.LBB320_417:
	s_or_b32 exec_lo, exec_lo, s3
	v_add_nc_u32_e32 v3, 1, v4
	s_delay_alu instid0(VALU_DEP_1) | instskip(NEXT) | instid1(VALU_DEP_1)
	v_and_b32_e32 v4, 0x3fffffe, v3
	v_cmp_ne_u32_e32 vcc_lo, v3, v4
	v_lshl_add_u32 v3, v4, 7, v0
	s_or_not1_b32 s3, vcc_lo, exec_lo
.LBB320_418:
	s_or_b32 exec_lo, exec_lo, s1
	s_delay_alu instid0(SALU_CYCLE_1)
	s_and_b32 exec_lo, exec_lo, s3
	s_cbranch_execz .LBB320_421
; %bb.419:
	v_lshl_add_u32 v4, v3, 2, 0x1a0
	s_mov_b32 s1, 0
.LBB320_420:                            ; =>This Inner Loop Header: Depth=1
	ds_load_b32 v5, v4
	v_add_nc_u32_e32 v3, 0x80, v3
	s_delay_alu instid0(VALU_DEP_1)
	v_cmp_le_i32_e32 vcc_lo, s11, v3
	s_or_b32 s1, vcc_lo, s1
	s_wait_dscnt 0x0
	v_mul_f32_e32 v5, v2, v5
	ds_store_b32 v4, v5
	v_add_nc_u32_e32 v4, 0x200, v4
	s_and_not1_b32 exec_lo, exec_lo, s1
	s_cbranch_execnz .LBB320_420
.LBB320_421:
	s_or_b32 exec_lo, exec_lo, s0
	v_mov_b64_e32 v[10:11], 0
	v_mov_b64_e32 v[12:13], 0
	v_mov_b64_e32 v[14:15], 0
	s_wait_dscnt 0x0
	s_barrier_signal -1
	s_barrier_wait -1
	s_and_saveexec_b32 s1, s2
	s_cbranch_execz .LBB320_797
; %bb.422:
	s_load_b32 s6, s[6:7], 0x0
	v_dual_mov_b32 v17, 0 :: v_dual_lshlrev_b32 v16, 3, v28
	s_ashr_i32 s11, s10, 31
	v_lshl_or_b32 v29, v1, 3, 7
	s_wait_kmcnt 0x0
	s_add_nc_u64 s[2:3], s[18:19], s[10:11]
	v_lshl_add_u32 v30, v1, 5, 0x1a0
	v_add_nc_u64_e32 v[18:19], s[2:3], v[16:17]
	v_and_b32_e32 v16, 0x7c, v20
	s_lshl_b64 s[2:3], s[14:15], 2
	v_dual_mov_b32 v11, 0 :: v_dual_mov_b32 v10, 0
	s_add_nc_u64 s[2:3], s[16:17], s[2:3]
	v_dual_mov_b32 v13, 0 :: v_dual_mov_b32 v12, 0
	v_add_nc_u64_e32 v[20:21], s[2:3], v[16:17]
	v_dual_mov_b32 v15, 0 :: v_dual_mov_b32 v14, 0
	v_mov_b32_e32 v31, v1
	s_mov_b64 s[2:3], 0xffffffffffffff
	s_mov_b32 s7, s9
	s_add_co_i32 s10, s13, -1
	s_mov_b32 s9, 0
	s_branch .LBB320_424
.LBB320_423:                            ;   in Loop: Header=BB320_424 Depth=1
	s_or_b32 exec_lo, exec_lo, s0
	s_wait_dscnt 0x1
	v_cvt_pk_bf16_f32 v6, v6, v7
	v_perm_b32 v7, v75, v76, 0x5040100
	v_cvt_pk_bf16_f32 v8, v8, v9
	v_perm_b32 v9, v73, v74, 0x5040100
	s_wait_dscnt 0x0
	v_cvt_pk_bf16_f32 v2, v2, v3
	v_perm_b32 v3, v71, v72, 0x5040100
	v_pk_mul_bf16 v7, v6, v7
	v_cvt_pk_bf16_f32 v4, v4, v5
	v_pk_mul_bf16 v9, v8, v9
	v_perm_b32 v5, v27, v26, 0x5040100
	v_pk_mul_bf16 v3, v2, v3
	v_lshlrev_b32_e32 v40, 16, v7
	v_and_b32_e32 v7, 0xffff0000, v7
	v_lshlrev_b32_e32 v41, 16, v9
	v_and_b32_e32 v9, 0xffff0000, v9
	v_perm_b32 v27, v69, v70, 0x5040100
	v_pk_mul_bf16 v5, v4, v5
	v_add_f32_e32 v7, v40, v7
	v_perm_b32 v40, v67, v68, 0x5040100
	v_add_f32_e32 v9, v41, v9
	v_add_nc_u64_e32 v[20:21], 16, v[20:21]
	v_add_nc_u32_e32 v30, 0x80, v30
	s_delay_alu instid0(VALU_DEP_3)
	v_dual_add_nc_u32 v29, 32, v29 :: v_dual_add_f32 v7, v9, v7
	v_pk_mul_bf16 v9, v6, v27
	v_lshlrev_b32_e32 v26, 16, v3
	v_and_b32_e32 v3, 0xffff0000, v3
	v_pk_mul_bf16 v27, v8, v40
	v_perm_b32 v40, v65, v66, 0x5040100
	v_lshlrev_b32_e32 v41, 16, v9
	v_and_b32_e32 v9, 0xffff0000, v9
	v_dual_add_f32 v3, v26, v3 :: v_dual_lshlrev_b32 v26, 16, v5
	v_and_b32_e32 v5, 0xffff0000, v5
	v_pk_mul_bf16 v40, v2, v40
	v_lshlrev_b32_e32 v42, 16, v27
	v_and_b32_e32 v27, 0xffff0000, v27
	s_delay_alu instid0(VALU_DEP_4) | instskip(NEXT) | instid1(VALU_DEP_4)
	v_dual_add_f32 v5, v26, v5 :: v_dual_add_f32 v3, v3, v7
	v_dual_add_f32 v7, v41, v9 :: v_dual_lshlrev_b32 v26, 16, v40
	s_delay_alu instid0(VALU_DEP_2) | instskip(SKIP_1) | instid1(VALU_DEP_2)
	v_add_f32_e32 v3, v5, v3
	v_perm_b32 v5, v64, v63, 0x5040100
	v_add_f32_e32 v10, v10, v3
	s_delay_alu instid0(VALU_DEP_2) | instskip(SKIP_3) | instid1(VALU_DEP_3)
	v_pk_mul_bf16 v5, v4, v5
	v_add_f32_e32 v9, v42, v27
	v_and_b32_e32 v27, 0xffff0000, v40
	v_perm_b32 v42, v56, v55, 0x5040100
	v_add_f32_e32 v7, v9, v7
	v_perm_b32 v9, v61, v62, 0x5040100
	s_delay_alu instid0(VALU_DEP_4) | instskip(SKIP_1) | instid1(VALU_DEP_3)
	v_add_f32_e32 v26, v26, v27
	v_perm_b32 v27, v59, v60, 0x5040100
	v_pk_mul_bf16 v3, v6, v9
	s_delay_alu instid0(VALU_DEP_2) | instskip(SKIP_1) | instid1(VALU_DEP_3)
	v_pk_mul_bf16 v9, v8, v27
	v_perm_b32 v27, v57, v58, 0x5040100
	v_lshlrev_b32_e32 v40, 16, v3
	v_and_b32_e32 v3, 0xffff0000, v3
	s_delay_alu instid0(VALU_DEP_4) | instskip(SKIP_2) | instid1(VALU_DEP_2)
	v_lshlrev_b32_e32 v41, 16, v9
	v_and_b32_e32 v9, 0xffff0000, v9
	v_pk_mul_bf16 v27, v2, v27
	v_dual_add_f32 v9, v41, v9 :: v_dual_add_f32 v7, v26, v7
	v_lshlrev_b32_e32 v26, 16, v5
	v_and_b32_e32 v5, 0xffff0000, v5
	s_delay_alu instid0(VALU_DEP_1) | instskip(SKIP_1) | instid1(VALU_DEP_1)
	v_add_f32_e32 v5, v26, v5
	v_pk_mul_bf16 v26, v4, v42
	v_lshlrev_b32_e32 v41, 16, v26
	v_and_b32_e32 v26, 0xffff0000, v26
	s_delay_alu instid0(VALU_DEP_1) | instskip(NEXT) | instid1(VALU_DEP_1)
	v_dual_add_f32 v3, v40, v3 :: v_dual_add_f32 v26, v41, v26
	v_add_f32_e32 v3, v9, v3
	v_perm_b32 v9, v53, v54, 0x5040100
	v_perm_b32 v41, v50, v49, 0x5040100
	s_delay_alu instid0(VALU_DEP_2) | instskip(SKIP_2) | instid1(VALU_DEP_1)
	v_pk_mul_bf16 v9, v6, v9
	v_lshlrev_b32_e32 v40, 16, v27
	v_and_b32_e32 v27, 0xffff0000, v27
	v_add_f32_e32 v27, v40, v27
	v_perm_b32 v40, v51, v52, 0x5040100
	s_delay_alu instid0(VALU_DEP_2) | instskip(SKIP_1) | instid1(VALU_DEP_3)
	v_dual_add_f32 v27, v27, v3 :: v_dual_lshlrev_b32 v3, 16, v9
	v_add_f32_e32 v42, v5, v7
	v_pk_mul_bf16 v5, v8, v40
	v_and_b32_e32 v7, 0xffff0000, v9
	v_perm_b32 v40, v47, v48, 0x5040100
	s_delay_alu instid0(VALU_DEP_3) | instskip(SKIP_1) | instid1(VALU_DEP_4)
	v_lshlrev_b32_e32 v9, 16, v5
	v_and_b32_e32 v5, 0xffff0000, v5
	v_add_f32_e32 v3, v3, v7
	v_perm_b32 v7, v38, v39, 0x5040100
	v_add_f32_e32 v13, v13, v42
	s_delay_alu instid0(VALU_DEP_4)
	v_add_f32_e32 v5, v9, v5
	v_perm_b32 v9, v36, v37, 0x5040100
	v_pk_mul_bf16 v36, v2, v40
	v_pk_mul_bf16 v7, v6, v7
	;; [unrolled: 1-line block ×3, first 2 shown]
	v_add_f32_e32 v38, v5, v3
	v_pk_mul_bf16 v3, v8, v9
	v_lshlrev_b32_e32 v5, 16, v36
	v_and_b32_e32 v9, 0xffff0000, v36
	v_lshlrev_b32_e32 v36, 16, v7
	v_and_b32_e32 v7, 0xffff0000, v7
	;; [unrolled: 2-line block ×3, first 2 shown]
	v_add_f32_e32 v40, v5, v9
	v_perm_b32 v5, v32, v33, 0x5040100
	v_dual_add_f32 v7, v36, v7 :: v_dual_lshlrev_b32 v32, 16, v37
	v_perm_b32 v9, v35, v34, 0x5040100
	v_and_b32_e32 v33, 0xffff0000, v37
	s_delay_alu instid0(VALU_DEP_4) | instskip(SKIP_1) | instid1(VALU_DEP_4)
	v_pk_mul_bf16 v5, v2, v5
	v_add_f32_e32 v3, v39, v3
	v_pk_mul_bf16 v34, v4, v9
	v_perm_b32 v9, v16, v22, 0x5040100
	s_delay_alu instid0(VALU_DEP_3)
	v_dual_add_f32 v35, v3, v7 :: v_dual_lshlrev_b32 v36, 16, v5
	v_perm_b32 v3, v78, v77, 0x5040100
	v_perm_b32 v7, v24, v79, 0x5040100
	;; [unrolled: 1-line block ×3, first 2 shown]
	v_and_b32_e32 v22, 0xffff0000, v5
	v_and_b32_e32 v23, 0xffff0000, v34
	v_pk_mul_bf16 v6, v6, v3
	v_pk_mul_bf16 v7, v8, v7
	;; [unrolled: 1-line block ×4, first 2 shown]
	s_delay_alu instid0(VALU_DEP_4)
	v_and_b32_e32 v3, 0xffff0000, v6
	v_lshlrev_b32_e32 v5, 16, v6
	v_and_b32_e32 v2, 0xffff0000, v7
	v_dual_lshlrev_b32 v4, 16, v7 :: v_dual_lshlrev_b32 v9, 16, v8
	v_and_b32_e32 v7, 0xffff0000, v8
	v_and_b32_e32 v6, 0xffff0000, v16
	v_dual_lshlrev_b32 v8, 16, v16 :: v_dual_add_f32 v16, v36, v22
	s_delay_alu instid0(VALU_DEP_4) | instskip(SKIP_1) | instid1(VALU_DEP_3)
	v_pk_add_f32 v[2:3], v[4:5], v[2:3]
	v_lshlrev_b32_e32 v22, 16, v34
	v_pk_add_f32 v[4:5], v[8:9], v[6:7]
	s_delay_alu instid0(VALU_DEP_4) | instskip(NEXT) | instid1(VALU_DEP_4)
	v_add_f32_e32 v7, v16, v35
	v_dual_add_f32 v2, v2, v3 :: v_dual_add_f32 v6, v32, v33
	s_delay_alu instid0(VALU_DEP_4) | instskip(NEXT) | instid1(VALU_DEP_2)
	v_dual_add_f32 v3, v40, v38 :: v_dual_add_f32 v8, v22, v23
	v_dual_add_f32 v2, v5, v2 :: v_dual_add_f32 v5, v26, v27
	s_delay_alu instid0(VALU_DEP_1) | instskip(NEXT) | instid1(VALU_DEP_2)
	v_dual_add_f32 v2, v4, v2 :: v_dual_add_f32 v3, v6, v3
	v_add_f32_e32 v12, v12, v5
	s_delay_alu instid0(VALU_DEP_2) | instskip(SKIP_1) | instid1(VALU_DEP_2)
	v_dual_add_f32 v6, v8, v7 :: v_dual_add_f32 v11, v11, v2
	v_add_nc_u32_e32 v31, 4, v31
	v_dual_add_f32 v15, v15, v3 :: v_dual_add_f32 v14, v14, v6
	s_delay_alu instid0(VALU_DEP_2) | instskip(SKIP_1) | instid1(SALU_CYCLE_1)
	v_cmp_le_i32_e32 vcc_lo, s13, v31
	s_or_b32 s9, vcc_lo, s9
	s_and_not1_b32 exec_lo, exec_lo, s9
	s_cbranch_execz .LBB320_796
.LBB320_424:                            ; =>This Inner Loop Header: Depth=1
	global_load_b32 v2, v[20:21], off
	v_mov_b32_e32 v34, 0
	s_mov_b32 s0, exec_lo
	s_wait_loadcnt 0x0
	v_mad_nc_i64_i32 v[22:23], v2, s7, v[18:19]
	global_load_b64 v[24:25], v[22:23], off
	ds_load_2addr_b64 v[6:9], v30 offset1:1
	ds_load_2addr_b64 v[2:5], v30 offset0:2 offset1:3
	s_wait_loadcnt 0x0
	v_and_b32_e32 v16, 0xff, v24
	s_delay_alu instid0(VALU_DEP_1)
	v_cmpx_ne_u16_e32 0, v16
	s_cbranch_execz .LBB320_430
; %bb.425:                              ;   in Loop: Header=BB320_424 Depth=1
	v_bfrev_b32_e32 v34, 1
	s_mov_b32 s11, exec_lo
	v_cmpx_ne_u16_e32 0x80, v16
	s_cbranch_execz .LBB320_429
; %bb.426:                              ;   in Loop: Header=BB320_424 Depth=1
	v_and_b32_e32 v16, 0x7f, v24
	v_mov_b32_e32 v34, 0x7f800001
	s_mov_b32 s14, exec_lo
	s_delay_alu instid0(VALU_DEP_2)
	v_cmpx_ne_u32_e32 0x7f, v16
	s_cbranch_execz .LBB320_428
; %bb.427:                              ;   in Loop: Header=BB320_424 Depth=1
	v_and_b32_e32 v26, 7, v24
	v_cmp_gt_u32_e32 vcc_lo, 8, v16
	s_delay_alu instid0(VALU_DEP_2) | instskip(NEXT) | instid1(VALU_DEP_1)
	v_clz_i32_u32_e32 v26, v26
	v_min_u32_e32 v26, 32, v26
	v_lshrrev_b32_e32 v27, 3, v16
	s_delay_alu instid0(VALU_DEP_2) | instskip(SKIP_1) | instid1(VALU_DEP_1)
	v_subrev_nc_u32_e32 v32, 28, v26
	v_sub_nc_u32_e32 v26, 29, v26
	v_dual_cndmask_b32 v16, v27, v26, vcc_lo :: v_dual_cndmask_b32 v26, 0, v32, vcc_lo
	s_delay_alu instid0(VALU_DEP_1) | instskip(NEXT) | instid1(VALU_DEP_2)
	v_lshl_add_u32 v16, v16, 23, 0x3c000000
	v_lshlrev_b64_e32 v[26:27], v26, v[24:25]
	v_lshlrev_b32_e32 v27, 24, v24
	s_delay_alu instid0(VALU_DEP_1) | instskip(NEXT) | instid1(VALU_DEP_3)
	v_and_b32_e32 v27, 0x80000000, v27
	v_lshlrev_b32_e32 v26, 20, v26
	s_delay_alu instid0(VALU_DEP_1) | instskip(NEXT) | instid1(VALU_DEP_1)
	v_and_b32_e32 v26, 0x700000, v26
	v_or3_b32 v34, v26, v27, v16
.LBB320_428:                            ;   in Loop: Header=BB320_424 Depth=1
	s_or_b32 exec_lo, exec_lo, s14
.LBB320_429:                            ;   in Loop: Header=BB320_424 Depth=1
	s_delay_alu instid0(SALU_CYCLE_1)
	s_or_b32 exec_lo, exec_lo, s11
.LBB320_430:                            ;   in Loop: Header=BB320_424 Depth=1
	s_delay_alu instid0(SALU_CYCLE_1) | instskip(SKIP_3) | instid1(VALU_DEP_2)
	s_or_b32 exec_lo, exec_lo, s0
	v_lshrrev_b16 v16, 8, v24
	v_dual_mov_b32 v35, 0 :: v_dual_mov_b32 v38, 0
	s_mov_b32 s0, exec_lo
	v_cmpx_ne_u16_e32 0, v16
	s_cbranch_execz .LBB320_438
; %bb.431:                              ;   in Loop: Header=BB320_424 Depth=1
	v_bfrev_b32_e32 v38, 1
	s_mov_b32 s11, exec_lo
	v_cmpx_ne_u16_e32 0x80, v16
	s_cbranch_execz .LBB320_437
; %bb.432:                              ;   in Loop: Header=BB320_424 Depth=1
	v_and_b32_e32 v16, 0xffff, v16
	v_mov_b32_e32 v38, 0x7f800001
	s_mov_b32 s14, exec_lo
	s_delay_alu instid0(VALU_DEP_2) | instskip(NEXT) | instid1(VALU_DEP_1)
	v_and_b32_e32 v27, 0x7f, v16
	v_cmpx_ne_u32_e32 0x7f, v27
	s_cbranch_execz .LBB320_436
; %bb.433:                              ;   in Loop: Header=BB320_424 Depth=1
	v_dual_lshrrev_b32 v26, 3, v27 :: v_dual_bitop2_b32 v16, 7, v16 bitop3:0x40
	s_mov_b32 s15, exec_lo
	v_cmpx_gt_u32_e32 8, v27
; %bb.434:                              ;   in Loop: Header=BB320_424 Depth=1
	s_delay_alu instid0(VALU_DEP_2) | instskip(NEXT) | instid1(VALU_DEP_1)
	v_clz_i32_u32_e32 v26, v16
	v_min_u32_e32 v26, 32, v26
	s_delay_alu instid0(VALU_DEP_1) | instskip(NEXT) | instid1(VALU_DEP_1)
	v_subrev_nc_u32_e32 v27, 28, v26
	v_lshlrev_b64_e32 v[32:33], v27, v[16:17]
	s_delay_alu instid0(VALU_DEP_1)
	v_dual_sub_nc_u32 v26, 29, v26 :: v_dual_bitop2_b32 v16, 7, v32 bitop3:0x40
; %bb.435:                              ;   in Loop: Header=BB320_424 Depth=1
	s_or_b32 exec_lo, exec_lo, s15
	v_lshlrev_b32_e32 v27, 16, v24
	s_delay_alu instid0(VALU_DEP_2) | instskip(NEXT) | instid1(VALU_DEP_3)
	v_lshlrev_b32_e32 v16, 20, v16
	v_lshl_add_u32 v26, v26, 23, 0x3c000000
	s_delay_alu instid0(VALU_DEP_3) | instskip(NEXT) | instid1(VALU_DEP_1)
	v_and_b32_e32 v27, 0x80000000, v27
	v_or3_b32 v38, v16, v27, v26
.LBB320_436:                            ;   in Loop: Header=BB320_424 Depth=1
	s_or_b32 exec_lo, exec_lo, s14
.LBB320_437:                            ;   in Loop: Header=BB320_424 Depth=1
	s_delay_alu instid0(SALU_CYCLE_1)
	s_or_b32 exec_lo, exec_lo, s11
.LBB320_438:                            ;   in Loop: Header=BB320_424 Depth=1
	s_delay_alu instid0(SALU_CYCLE_1) | instskip(SKIP_2) | instid1(VALU_DEP_1)
	s_or_b32 exec_lo, exec_lo, s0
	v_lshrrev_b32_e32 v26, 16, v24
	s_mov_b32 s0, exec_lo
	v_and_b32_e32 v16, 0xff, v26
	s_delay_alu instid0(VALU_DEP_1)
	v_cmpx_ne_u16_e32 0, v16
	s_cbranch_execz .LBB320_446
; %bb.439:                              ;   in Loop: Header=BB320_424 Depth=1
	v_bfrev_b32_e32 v35, 1
	s_mov_b32 s11, exec_lo
	v_cmpx_ne_u16_e32 0x80, v16
	s_cbranch_execz .LBB320_445
; %bb.440:                              ;   in Loop: Header=BB320_424 Depth=1
	v_bfe_u32 v32, v24, 16, 7
	v_mov_b32_e32 v35, 0x7f800001
	s_mov_b32 s14, exec_lo
	s_delay_alu instid0(VALU_DEP_2)
	v_cmpx_ne_u32_e32 0x7f, v32
	s_cbranch_execz .LBB320_444
; %bb.441:                              ;   in Loop: Header=BB320_424 Depth=1
	v_dual_lshrrev_b32 v27, 3, v32 :: v_dual_bitop2_b32 v16, 7, v26 bitop3:0x40
	s_mov_b32 s15, exec_lo
	v_cmpx_gt_u32_e32 8, v32
; %bb.442:                              ;   in Loop: Header=BB320_424 Depth=1
	s_delay_alu instid0(VALU_DEP_2) | instskip(NEXT) | instid1(VALU_DEP_1)
	v_clz_i32_u32_e32 v27, v16
	v_min_u32_e32 v27, 32, v27
	s_delay_alu instid0(VALU_DEP_1) | instskip(NEXT) | instid1(VALU_DEP_1)
	v_subrev_nc_u32_e32 v32, 28, v27
	v_lshlrev_b64_e32 v[32:33], v32, v[16:17]
	s_delay_alu instid0(VALU_DEP_1)
	v_dual_sub_nc_u32 v27, 29, v27 :: v_dual_bitop2_b32 v16, 7, v32 bitop3:0x40
; %bb.443:                              ;   in Loop: Header=BB320_424 Depth=1
	s_or_b32 exec_lo, exec_lo, s15
	s_delay_alu instid0(VALU_DEP_1) | instskip(NEXT) | instid1(VALU_DEP_2)
	v_dual_lshlrev_b32 v26, 24, v26 :: v_dual_lshlrev_b32 v16, 20, v16
	v_lshl_add_u32 v27, v27, 23, 0x3c000000
	s_delay_alu instid0(VALU_DEP_2) | instskip(NEXT) | instid1(VALU_DEP_1)
	v_and_b32_e32 v26, 0x80000000, v26
	v_or3_b32 v35, v16, v26, v27
.LBB320_444:                            ;   in Loop: Header=BB320_424 Depth=1
	s_or_b32 exec_lo, exec_lo, s14
.LBB320_445:                            ;   in Loop: Header=BB320_424 Depth=1
	s_delay_alu instid0(SALU_CYCLE_1)
	s_or_b32 exec_lo, exec_lo, s11
.LBB320_446:                            ;   in Loop: Header=BB320_424 Depth=1
	s_delay_alu instid0(SALU_CYCLE_1)
	s_or_b32 exec_lo, exec_lo, s0
	v_dual_mov_b32 v33, 0 :: v_dual_mov_b32 v36, 0
	s_mov_b32 s0, exec_lo
	v_cmpx_lt_u32_e32 0xffffff, v24
	s_cbranch_execz .LBB320_454
; %bb.447:                              ;   in Loop: Header=BB320_424 Depth=1
	v_lshrrev_b32_e32 v26, 24, v24
	v_bfrev_b32_e32 v36, 1
	s_mov_b32 s11, exec_lo
	s_delay_alu instid0(VALU_DEP_2)
	v_cmpx_ne_u32_e32 0x80, v26
	s_cbranch_execz .LBB320_453
; %bb.448:                              ;   in Loop: Header=BB320_424 Depth=1
	v_bfe_u32 v32, v24, 24, 7
	v_mov_b32_e32 v36, 0x7f800001
	s_mov_b32 s14, exec_lo
	s_delay_alu instid0(VALU_DEP_2)
	v_cmpx_ne_u32_e32 0x7f, v32
	s_cbranch_execz .LBB320_452
; %bb.449:                              ;   in Loop: Header=BB320_424 Depth=1
	v_dual_lshrrev_b32 v27, 3, v32 :: v_dual_bitop2_b32 v16, 7, v26 bitop3:0x40
	s_mov_b32 s15, exec_lo
	v_cmpx_gt_u32_e32 8, v32
; %bb.450:                              ;   in Loop: Header=BB320_424 Depth=1
	s_delay_alu instid0(VALU_DEP_2) | instskip(NEXT) | instid1(VALU_DEP_1)
	v_clz_i32_u32_e32 v27, v16
	v_min_u32_e32 v27, 32, v27
	s_delay_alu instid0(VALU_DEP_1) | instskip(NEXT) | instid1(VALU_DEP_1)
	v_subrev_nc_u32_e32 v32, 28, v27
	v_lshlrev_b64_e32 v[36:37], v32, v[16:17]
	s_delay_alu instid0(VALU_DEP_1)
	v_dual_sub_nc_u32 v27, 29, v27 :: v_dual_bitop2_b32 v16, 7, v36 bitop3:0x40
; %bb.451:                              ;   in Loop: Header=BB320_424 Depth=1
	s_or_b32 exec_lo, exec_lo, s15
	s_delay_alu instid0(VALU_DEP_1) | instskip(NEXT) | instid1(VALU_DEP_2)
	v_dual_lshlrev_b32 v26, 24, v26 :: v_dual_lshlrev_b32 v16, 20, v16
	v_lshl_add_u32 v27, v27, 23, 0x3c000000
	s_delay_alu instid0(VALU_DEP_2) | instskip(NEXT) | instid1(VALU_DEP_1)
	v_and_b32_e32 v26, 0x80000000, v26
	v_or3_b32 v36, v16, v26, v27
.LBB320_452:                            ;   in Loop: Header=BB320_424 Depth=1
	s_or_b32 exec_lo, exec_lo, s14
.LBB320_453:                            ;   in Loop: Header=BB320_424 Depth=1
	s_delay_alu instid0(SALU_CYCLE_1)
	s_or_b32 exec_lo, exec_lo, s11
.LBB320_454:                            ;   in Loop: Header=BB320_424 Depth=1
	s_delay_alu instid0(SALU_CYCLE_1) | instskip(SKIP_3) | instid1(VALU_DEP_2)
	s_or_b32 exec_lo, exec_lo, s0
	v_and_b32_e32 v26, 0xff, v25
	v_mov_b32_e32 v16, v25
	s_mov_b32 s0, exec_lo
	v_cmpx_ne_u16_e32 0, v26
	s_cbranch_execz .LBB320_460
; %bb.455:                              ;   in Loop: Header=BB320_424 Depth=1
	v_bfrev_b32_e32 v33, 1
	s_mov_b32 s11, exec_lo
	v_cmpx_ne_u16_e32 0x80, v26
	s_cbranch_execz .LBB320_459
; %bb.456:                              ;   in Loop: Header=BB320_424 Depth=1
	v_and_b32_e32 v26, 0x7f, v25
	v_mov_b32_e32 v33, 0x7f800001
	s_mov_b32 s14, exec_lo
	s_delay_alu instid0(VALU_DEP_2)
	v_cmpx_ne_u32_e32 0x7f, v26
	s_cbranch_execz .LBB320_458
; %bb.457:                              ;   in Loop: Header=BB320_424 Depth=1
	v_dual_lshrrev_b32 v32, 3, v26 :: v_dual_bitop2_b32 v27, 7, v25 bitop3:0x40
	v_cmp_gt_u32_e32 vcc_lo, 8, v26
	s_delay_alu instid0(VALU_DEP_2) | instskip(NEXT) | instid1(VALU_DEP_1)
	v_clz_i32_u32_e32 v27, v27
	v_min_u32_e32 v27, 32, v27
	s_delay_alu instid0(VALU_DEP_1) | instskip(NEXT) | instid1(VALU_DEP_1)
	v_subrev_nc_u32_e32 v33, 28, v27
	v_dual_cndmask_b32 v26, 0, v33 :: v_dual_sub_nc_u32 v27, 29, v27
	s_delay_alu instid0(VALU_DEP_1) | instskip(NEXT) | instid1(VALU_DEP_2)
	v_cndmask_b32_e32 v32, v32, v27, vcc_lo
	v_lshlrev_b64_e32 v[26:27], v26, v[16:17]
	v_lshlrev_b32_e32 v27, 24, v16
	s_delay_alu instid0(VALU_DEP_3) | instskip(NEXT) | instid1(VALU_DEP_2)
	v_lshl_add_u32 v32, v32, 23, 0x3c000000
	v_and_b32_e32 v27, 0x80000000, v27
	s_delay_alu instid0(VALU_DEP_4) | instskip(NEXT) | instid1(VALU_DEP_1)
	v_lshlrev_b32_e32 v26, 20, v26
	v_and_b32_e32 v26, 0x700000, v26
	s_delay_alu instid0(VALU_DEP_1)
	v_or3_b32 v33, v26, v27, v32
.LBB320_458:                            ;   in Loop: Header=BB320_424 Depth=1
	s_or_b32 exec_lo, exec_lo, s14
.LBB320_459:                            ;   in Loop: Header=BB320_424 Depth=1
	s_delay_alu instid0(SALU_CYCLE_1)
	s_or_b32 exec_lo, exec_lo, s11
.LBB320_460:                            ;   in Loop: Header=BB320_424 Depth=1
	s_delay_alu instid0(SALU_CYCLE_1) | instskip(SKIP_3) | instid1(VALU_DEP_2)
	s_or_b32 exec_lo, exec_lo, s0
	v_lshrrev_b16 v27, 8, v16
	v_dual_mov_b32 v41, 0 :: v_dual_mov_b32 v26, 0
	s_mov_b32 s0, exec_lo
	v_cmpx_ne_u16_e32 0, v27
	s_cbranch_execz .LBB320_468
; %bb.461:                              ;   in Loop: Header=BB320_424 Depth=1
	v_bfrev_b32_e32 v26, 1
	s_mov_b32 s11, exec_lo
	v_cmpx_ne_u16_e32 0x80, v27
	s_cbranch_execz .LBB320_467
; %bb.462:                              ;   in Loop: Header=BB320_424 Depth=1
	v_and_b32_e32 v27, 0xffff, v27
	v_mov_b32_e32 v26, 0x7f800001
	s_mov_b32 s14, exec_lo
	s_delay_alu instid0(VALU_DEP_2) | instskip(NEXT) | instid1(VALU_DEP_1)
	v_and_b32_e32 v37, 0x7f, v27
	v_cmpx_ne_u32_e32 0x7f, v37
	s_cbranch_execz .LBB320_466
; %bb.463:                              ;   in Loop: Header=BB320_424 Depth=1
	v_dual_mov_b32 v27, v17 :: v_dual_bitop2_b32 v26, 7, v27 bitop3:0x40
	v_lshrrev_b32_e32 v32, 3, v37
	s_mov_b32 s15, exec_lo
	v_cmpx_gt_u32_e32 8, v37
; %bb.464:                              ;   in Loop: Header=BB320_424 Depth=1
	s_delay_alu instid0(VALU_DEP_3) | instskip(NEXT) | instid1(VALU_DEP_1)
	v_clz_i32_u32_e32 v32, v26
	v_min_u32_e32 v32, 32, v32
	s_delay_alu instid0(VALU_DEP_1) | instskip(NEXT) | instid1(VALU_DEP_1)
	v_subrev_nc_u32_e32 v37, 28, v32
	v_lshlrev_b64_e32 v[26:27], v37, v[26:27]
	s_delay_alu instid0(VALU_DEP_1)
	v_dual_sub_nc_u32 v32, 29, v32 :: v_dual_bitop2_b32 v26, 7, v26 bitop3:0x40
; %bb.465:                              ;   in Loop: Header=BB320_424 Depth=1
	s_or_b32 exec_lo, exec_lo, s15
	s_delay_alu instid0(VALU_DEP_1) | instskip(NEXT) | instid1(VALU_DEP_2)
	v_dual_lshlrev_b32 v16, 16, v16 :: v_dual_lshlrev_b32 v26, 20, v26
	v_lshl_add_u32 v27, v32, 23, 0x3c000000
	s_delay_alu instid0(VALU_DEP_2) | instskip(NEXT) | instid1(VALU_DEP_1)
	v_and_b32_e32 v16, 0x80000000, v16
	v_or3_b32 v26, v26, v16, v27
.LBB320_466:                            ;   in Loop: Header=BB320_424 Depth=1
	s_or_b32 exec_lo, exec_lo, s14
.LBB320_467:                            ;   in Loop: Header=BB320_424 Depth=1
	s_delay_alu instid0(SALU_CYCLE_1)
	s_or_b32 exec_lo, exec_lo, s11
.LBB320_468:                            ;   in Loop: Header=BB320_424 Depth=1
	s_delay_alu instid0(SALU_CYCLE_1) | instskip(SKIP_2) | instid1(VALU_DEP_1)
	s_or_b32 exec_lo, exec_lo, s0
	v_lshrrev_b32_e32 v27, 16, v25
	s_mov_b32 s0, exec_lo
	v_and_b32_e32 v16, 0xff, v27
	s_delay_alu instid0(VALU_DEP_1)
	v_cmpx_ne_u16_e32 0, v16
	s_cbranch_execz .LBB320_476
; %bb.469:                              ;   in Loop: Header=BB320_424 Depth=1
	v_bfrev_b32_e32 v41, 1
	s_mov_b32 s11, exec_lo
	v_cmpx_ne_u16_e32 0x80, v16
	s_cbranch_execz .LBB320_475
; %bb.470:                              ;   in Loop: Header=BB320_424 Depth=1
	v_bfe_u32 v37, v25, 16, 7
	v_mov_b32_e32 v41, 0x7f800001
	s_mov_b32 s14, exec_lo
	s_delay_alu instid0(VALU_DEP_2)
	v_cmpx_ne_u32_e32 0x7f, v37
	s_cbranch_execz .LBB320_474
; %bb.471:                              ;   in Loop: Header=BB320_424 Depth=1
	v_dual_lshrrev_b32 v32, 3, v37 :: v_dual_bitop2_b32 v16, 7, v27 bitop3:0x40
	s_mov_b32 s15, exec_lo
	v_cmpx_gt_u32_e32 8, v37
; %bb.472:                              ;   in Loop: Header=BB320_424 Depth=1
	s_delay_alu instid0(VALU_DEP_2) | instskip(NEXT) | instid1(VALU_DEP_1)
	v_clz_i32_u32_e32 v32, v16
	v_min_u32_e32 v32, 32, v32
	s_delay_alu instid0(VALU_DEP_1) | instskip(SKIP_1) | instid1(VALU_DEP_2)
	v_subrev_nc_u32_e32 v37, 28, v32
	v_sub_nc_u32_e32 v32, 29, v32
	v_lshlrev_b64_e32 v[40:41], v37, v[16:17]
	s_delay_alu instid0(VALU_DEP_1)
	v_and_b32_e32 v16, 7, v40
; %bb.473:                              ;   in Loop: Header=BB320_424 Depth=1
	s_or_b32 exec_lo, exec_lo, s15
	s_delay_alu instid0(VALU_DEP_1) | instskip(SKIP_1) | instid1(VALU_DEP_2)
	v_dual_lshlrev_b32 v27, 24, v27 :: v_dual_lshlrev_b32 v16, 20, v16
	v_lshl_add_u32 v32, v32, 23, 0x3c000000
	v_and_b32_e32 v27, 0x80000000, v27
	s_delay_alu instid0(VALU_DEP_1)
	v_or3_b32 v41, v16, v27, v32
.LBB320_474:                            ;   in Loop: Header=BB320_424 Depth=1
	s_or_b32 exec_lo, exec_lo, s14
.LBB320_475:                            ;   in Loop: Header=BB320_424 Depth=1
	s_delay_alu instid0(SALU_CYCLE_1)
	s_or_b32 exec_lo, exec_lo, s11
.LBB320_476:                            ;   in Loop: Header=BB320_424 Depth=1
	s_delay_alu instid0(SALU_CYCLE_1)
	s_or_b32 exec_lo, exec_lo, s0
	v_mov_b32_e32 v16, 0
	s_mov_b32 s0, exec_lo
	v_cmpx_lt_u64_e64 s[2:3], v[24:25]
	s_cbranch_execz .LBB320_484
; %bb.477:                              ;   in Loop: Header=BB320_424 Depth=1
	v_lshrrev_b32_e32 v24, 24, v25
	v_bfrev_b32_e32 v16, 1
	s_mov_b32 s11, exec_lo
	s_delay_alu instid0(VALU_DEP_2)
	v_cmpx_ne_u32_e32 0x80, v24
	s_cbranch_execz .LBB320_483
; %bb.478:                              ;   in Loop: Header=BB320_424 Depth=1
	v_bfe_u32 v27, v25, 24, 7
	v_mov_b32_e32 v16, 0x7f800001
	s_mov_b32 s14, exec_lo
	s_delay_alu instid0(VALU_DEP_2)
	v_cmpx_ne_u32_e32 0x7f, v27
	s_cbranch_execz .LBB320_482
; %bb.479:                              ;   in Loop: Header=BB320_424 Depth=1
	v_dual_lshrrev_b32 v25, 3, v27 :: v_dual_bitop2_b32 v16, 7, v24 bitop3:0x40
	s_mov_b32 s15, exec_lo
	v_cmpx_gt_u32_e32 8, v27
; %bb.480:                              ;   in Loop: Header=BB320_424 Depth=1
	s_delay_alu instid0(VALU_DEP_2) | instskip(NEXT) | instid1(VALU_DEP_1)
	v_clz_i32_u32_e32 v25, v16
	v_min_u32_e32 v25, 32, v25
	s_delay_alu instid0(VALU_DEP_1) | instskip(NEXT) | instid1(VALU_DEP_1)
	v_subrev_nc_u32_e32 v27, 28, v25
	v_lshlrev_b64_e32 v[42:43], v27, v[16:17]
	s_delay_alu instid0(VALU_DEP_1)
	v_dual_sub_nc_u32 v25, 29, v25 :: v_dual_bitop2_b32 v16, 7, v42 bitop3:0x40
; %bb.481:                              ;   in Loop: Header=BB320_424 Depth=1
	s_or_b32 exec_lo, exec_lo, s15
	v_lshlrev_b32_e32 v24, 24, v24
	s_delay_alu instid0(VALU_DEP_2) | instskip(NEXT) | instid1(VALU_DEP_3)
	v_lshlrev_b32_e32 v16, 20, v16
	v_lshl_add_u32 v25, v25, 23, 0x3c000000
	s_delay_alu instid0(VALU_DEP_3) | instskip(NEXT) | instid1(VALU_DEP_1)
	v_and_b32_e32 v24, 0x80000000, v24
	v_or3_b32 v16, v16, v24, v25
.LBB320_482:                            ;   in Loop: Header=BB320_424 Depth=1
	s_or_b32 exec_lo, exec_lo, s14
.LBB320_483:                            ;   in Loop: Header=BB320_424 Depth=1
	s_delay_alu instid0(SALU_CYCLE_1)
	s_or_b32 exec_lo, exec_lo, s11
.LBB320_484:                            ;   in Loop: Header=BB320_424 Depth=1
	s_delay_alu instid0(SALU_CYCLE_1)
	s_or_b32 exec_lo, exec_lo, s0
	v_dual_add_nc_u32 v40, -7, v29 :: v_dual_add_nc_u32 v46, -6, v29
	v_cmp_eq_u32_e32 vcc_lo, s10, v31
	v_fma_mixlo_bf16 v32, s6, v26, 0
	v_fma_mixlo_bf16 v33, s6, v33, 0
	;; [unrolled: 1-line block ×8, first 2 shown]
	v_dual_add_nc_u32 v45, -5, v29 :: v_dual_add_nc_u32 v44, -4, v29
	v_dual_add_nc_u32 v43, -3, v29 :: v_dual_add_nc_u32 v42, -2, v29
	v_add_nc_u32_e32 v41, -1, v29
	s_and_saveexec_b32 s11, vcc_lo
	s_cbranch_execz .LBB320_486
; %bb.485:                              ;   in Loop: Header=BB320_424 Depth=1
	v_cmp_gt_i32_e64 s0, s25, v40
	s_delay_alu instid0(VALU_DEP_1) | instskip(SKIP_1) | instid1(VALU_DEP_1)
	v_cndmask_b32_e64 v39, 0, v39, s0
	v_cmp_gt_i32_e64 s0, s25, v46
	v_cndmask_b32_e64 v38, 0, v38, s0
	v_cmp_gt_i32_e64 s0, s25, v45
	s_delay_alu instid0(VALU_DEP_1) | instskip(SKIP_1) | instid1(VALU_DEP_1)
	v_cndmask_b32_e64 v37, 0, v37, s0
	v_cmp_gt_i32_e64 s0, s25, v44
	v_cndmask_b32_e64 v36, 0, v36, s0
	;; [unrolled: 5-line block ×4, first 2 shown]
.LBB320_486:                            ;   in Loop: Header=BB320_424 Depth=1
	s_or_b32 exec_lo, exec_lo, s11
	global_load_b64 v[24:25], v[22:23], off offset:256
	v_dual_mov_b32 v50, 0 :: v_dual_mov_b32 v49, 0
	s_mov_b32 s11, exec_lo
	s_wait_loadcnt 0x0
	v_and_b32_e32 v16, 0xff, v24
	s_delay_alu instid0(VALU_DEP_1)
	v_cmpx_ne_u16_e32 0, v16
	s_cbranch_execz .LBB320_492
; %bb.487:                              ;   in Loop: Header=BB320_424 Depth=1
	v_bfrev_b32_e32 v49, 1
	s_mov_b32 s14, exec_lo
	v_cmpx_ne_u16_e32 0x80, v16
	s_cbranch_execz .LBB320_491
; %bb.488:                              ;   in Loop: Header=BB320_424 Depth=1
	v_and_b32_e32 v16, 0x7f, v24
	v_mov_b32_e32 v49, 0x7f800001
	s_mov_b32 s15, exec_lo
	s_delay_alu instid0(VALU_DEP_2)
	v_cmpx_ne_u32_e32 0x7f, v16
	s_cbranch_execz .LBB320_490
; %bb.489:                              ;   in Loop: Header=BB320_424 Depth=1
	v_and_b32_e32 v26, 7, v24
	v_cmp_gt_u32_e64 s0, 8, v16
	s_delay_alu instid0(VALU_DEP_2) | instskip(NEXT) | instid1(VALU_DEP_1)
	v_clz_i32_u32_e32 v26, v26
	v_min_u32_e32 v26, 32, v26
	v_lshrrev_b32_e32 v27, 3, v16
	s_delay_alu instid0(VALU_DEP_2) | instskip(SKIP_1) | instid1(VALU_DEP_1)
	v_subrev_nc_u32_e32 v47, 28, v26
	v_sub_nc_u32_e32 v26, 29, v26
	v_dual_cndmask_b32 v16, v27, v26, s0 :: v_dual_cndmask_b32 v26, 0, v47, s0
	s_delay_alu instid0(VALU_DEP_1) | instskip(NEXT) | instid1(VALU_DEP_2)
	v_lshl_add_u32 v16, v16, 23, 0x3c000000
	v_lshlrev_b64_e32 v[26:27], v26, v[24:25]
	v_lshlrev_b32_e32 v27, 24, v24
	s_delay_alu instid0(VALU_DEP_1) | instskip(NEXT) | instid1(VALU_DEP_3)
	v_and_b32_e32 v27, 0x80000000, v27
	v_lshlrev_b32_e32 v26, 20, v26
	s_delay_alu instid0(VALU_DEP_1) | instskip(NEXT) | instid1(VALU_DEP_1)
	v_and_b32_e32 v26, 0x700000, v26
	v_or3_b32 v49, v26, v27, v16
.LBB320_490:                            ;   in Loop: Header=BB320_424 Depth=1
	s_or_b32 exec_lo, exec_lo, s15
.LBB320_491:                            ;   in Loop: Header=BB320_424 Depth=1
	s_delay_alu instid0(SALU_CYCLE_1)
	s_or_b32 exec_lo, exec_lo, s14
.LBB320_492:                            ;   in Loop: Header=BB320_424 Depth=1
	s_delay_alu instid0(SALU_CYCLE_1) | instskip(SKIP_2) | instid1(VALU_DEP_1)
	s_or_b32 exec_lo, exec_lo, s11
	v_lshrrev_b16 v16, 8, v24
	s_mov_b32 s11, exec_lo
	v_cmpx_ne_u16_e32 0, v16
	s_cbranch_execz .LBB320_500
; %bb.493:                              ;   in Loop: Header=BB320_424 Depth=1
	v_bfrev_b32_e32 v50, 1
	s_mov_b32 s14, exec_lo
	v_cmpx_ne_u16_e32 0x80, v16
	s_cbranch_execz .LBB320_499
; %bb.494:                              ;   in Loop: Header=BB320_424 Depth=1
	v_and_b32_e32 v16, 0xffff, v16
	v_mov_b32_e32 v50, 0x7f800001
	s_mov_b32 s15, exec_lo
	s_delay_alu instid0(VALU_DEP_2) | instskip(NEXT) | instid1(VALU_DEP_1)
	v_and_b32_e32 v27, 0x7f, v16
	v_cmpx_ne_u32_e32 0x7f, v27
	s_cbranch_execz .LBB320_498
; %bb.495:                              ;   in Loop: Header=BB320_424 Depth=1
	v_dual_lshrrev_b32 v26, 3, v27 :: v_dual_bitop2_b32 v16, 7, v16 bitop3:0x40
	s_mov_b32 s16, exec_lo
	v_cmpx_gt_u32_e32 8, v27
; %bb.496:                              ;   in Loop: Header=BB320_424 Depth=1
	s_delay_alu instid0(VALU_DEP_2) | instskip(NEXT) | instid1(VALU_DEP_1)
	v_clz_i32_u32_e32 v26, v16
	v_min_u32_e32 v26, 32, v26
	s_delay_alu instid0(VALU_DEP_1) | instskip(SKIP_1) | instid1(VALU_DEP_2)
	v_subrev_nc_u32_e32 v27, 28, v26
	v_sub_nc_u32_e32 v26, 29, v26
	v_lshlrev_b64_e32 v[50:51], v27, v[16:17]
	s_delay_alu instid0(VALU_DEP_1)
	v_and_b32_e32 v16, 7, v50
; %bb.497:                              ;   in Loop: Header=BB320_424 Depth=1
	s_or_b32 exec_lo, exec_lo, s16
	v_lshlrev_b32_e32 v27, 16, v24
	s_delay_alu instid0(VALU_DEP_2) | instskip(SKIP_1) | instid1(VALU_DEP_3)
	v_lshlrev_b32_e32 v16, 20, v16
	v_lshl_add_u32 v26, v26, 23, 0x3c000000
	v_and_b32_e32 v27, 0x80000000, v27
	s_delay_alu instid0(VALU_DEP_1)
	v_or3_b32 v50, v16, v27, v26
.LBB320_498:                            ;   in Loop: Header=BB320_424 Depth=1
	s_or_b32 exec_lo, exec_lo, s15
.LBB320_499:                            ;   in Loop: Header=BB320_424 Depth=1
	s_delay_alu instid0(SALU_CYCLE_1)
	s_or_b32 exec_lo, exec_lo, s14
.LBB320_500:                            ;   in Loop: Header=BB320_424 Depth=1
	s_delay_alu instid0(SALU_CYCLE_1) | instskip(SKIP_3) | instid1(VALU_DEP_2)
	s_or_b32 exec_lo, exec_lo, s11
	v_dual_mov_b32 v51, 0 :: v_dual_lshrrev_b32 v26, 16, v24
	v_mov_b32_e32 v52, 0
	s_mov_b32 s11, exec_lo
	v_and_b32_e32 v16, 0xff, v26
	s_delay_alu instid0(VALU_DEP_1)
	v_cmpx_ne_u16_e32 0, v16
	s_cbranch_execz .LBB320_508
; %bb.501:                              ;   in Loop: Header=BB320_424 Depth=1
	v_bfrev_b32_e32 v52, 1
	s_mov_b32 s14, exec_lo
	v_cmpx_ne_u16_e32 0x80, v16
	s_cbranch_execz .LBB320_507
; %bb.502:                              ;   in Loop: Header=BB320_424 Depth=1
	v_bfe_u32 v47, v24, 16, 7
	v_mov_b32_e32 v52, 0x7f800001
	s_mov_b32 s15, exec_lo
	s_delay_alu instid0(VALU_DEP_2)
	v_cmpx_ne_u32_e32 0x7f, v47
	s_cbranch_execz .LBB320_506
; %bb.503:                              ;   in Loop: Header=BB320_424 Depth=1
	v_dual_lshrrev_b32 v27, 3, v47 :: v_dual_bitop2_b32 v16, 7, v26 bitop3:0x40
	s_mov_b32 s16, exec_lo
	v_cmpx_gt_u32_e32 8, v47
; %bb.504:                              ;   in Loop: Header=BB320_424 Depth=1
	s_delay_alu instid0(VALU_DEP_2) | instskip(NEXT) | instid1(VALU_DEP_1)
	v_clz_i32_u32_e32 v27, v16
	v_min_u32_e32 v27, 32, v27
	s_delay_alu instid0(VALU_DEP_1) | instskip(NEXT) | instid1(VALU_DEP_1)
	v_subrev_nc_u32_e32 v47, 28, v27
	v_lshlrev_b64_e32 v[52:53], v47, v[16:17]
	s_delay_alu instid0(VALU_DEP_1)
	v_dual_sub_nc_u32 v27, 29, v27 :: v_dual_bitop2_b32 v16, 7, v52 bitop3:0x40
; %bb.505:                              ;   in Loop: Header=BB320_424 Depth=1
	s_or_b32 exec_lo, exec_lo, s16
	s_delay_alu instid0(VALU_DEP_1) | instskip(NEXT) | instid1(VALU_DEP_2)
	v_dual_lshlrev_b32 v26, 24, v26 :: v_dual_lshlrev_b32 v16, 20, v16
	v_lshl_add_u32 v27, v27, 23, 0x3c000000
	s_delay_alu instid0(VALU_DEP_2) | instskip(NEXT) | instid1(VALU_DEP_1)
	v_and_b32_e32 v26, 0x80000000, v26
	v_or3_b32 v52, v16, v26, v27
.LBB320_506:                            ;   in Loop: Header=BB320_424 Depth=1
	s_or_b32 exec_lo, exec_lo, s15
.LBB320_507:                            ;   in Loop: Header=BB320_424 Depth=1
	s_delay_alu instid0(SALU_CYCLE_1)
	s_or_b32 exec_lo, exec_lo, s14
.LBB320_508:                            ;   in Loop: Header=BB320_424 Depth=1
	s_delay_alu instid0(SALU_CYCLE_1) | instskip(NEXT) | instid1(SALU_CYCLE_1)
	s_or_b32 exec_lo, exec_lo, s11
	s_mov_b32 s11, exec_lo
	v_cmpx_lt_u32_e32 0xffffff, v24
	s_cbranch_execz .LBB320_516
; %bb.509:                              ;   in Loop: Header=BB320_424 Depth=1
	v_lshrrev_b32_e32 v26, 24, v24
	v_bfrev_b32_e32 v51, 1
	s_mov_b32 s14, exec_lo
	s_delay_alu instid0(VALU_DEP_2)
	v_cmpx_ne_u32_e32 0x80, v26
	s_cbranch_execz .LBB320_515
; %bb.510:                              ;   in Loop: Header=BB320_424 Depth=1
	v_bfe_u32 v47, v24, 24, 7
	v_mov_b32_e32 v51, 0x7f800001
	s_mov_b32 s15, exec_lo
	s_delay_alu instid0(VALU_DEP_2)
	v_cmpx_ne_u32_e32 0x7f, v47
	s_cbranch_execz .LBB320_514
; %bb.511:                              ;   in Loop: Header=BB320_424 Depth=1
	v_dual_lshrrev_b32 v27, 3, v47 :: v_dual_bitop2_b32 v16, 7, v26 bitop3:0x40
	s_mov_b32 s16, exec_lo
	v_cmpx_gt_u32_e32 8, v47
; %bb.512:                              ;   in Loop: Header=BB320_424 Depth=1
	s_delay_alu instid0(VALU_DEP_2) | instskip(NEXT) | instid1(VALU_DEP_1)
	v_clz_i32_u32_e32 v27, v16
	v_min_u32_e32 v27, 32, v27
	s_delay_alu instid0(VALU_DEP_1) | instskip(NEXT) | instid1(VALU_DEP_1)
	v_subrev_nc_u32_e32 v47, 28, v27
	v_lshlrev_b64_e32 v[54:55], v47, v[16:17]
	s_delay_alu instid0(VALU_DEP_1)
	v_dual_sub_nc_u32 v27, 29, v27 :: v_dual_bitop2_b32 v16, 7, v54 bitop3:0x40
; %bb.513:                              ;   in Loop: Header=BB320_424 Depth=1
	s_or_b32 exec_lo, exec_lo, s16
	s_delay_alu instid0(VALU_DEP_1) | instskip(NEXT) | instid1(VALU_DEP_2)
	v_dual_lshlrev_b32 v26, 24, v26 :: v_dual_lshlrev_b32 v16, 20, v16
	v_lshl_add_u32 v27, v27, 23, 0x3c000000
	s_delay_alu instid0(VALU_DEP_2) | instskip(NEXT) | instid1(VALU_DEP_1)
	v_and_b32_e32 v26, 0x80000000, v26
	v_or3_b32 v51, v16, v26, v27
.LBB320_514:                            ;   in Loop: Header=BB320_424 Depth=1
	s_or_b32 exec_lo, exec_lo, s15
.LBB320_515:                            ;   in Loop: Header=BB320_424 Depth=1
	s_delay_alu instid0(SALU_CYCLE_1)
	s_or_b32 exec_lo, exec_lo, s14
.LBB320_516:                            ;   in Loop: Header=BB320_424 Depth=1
	s_delay_alu instid0(SALU_CYCLE_1) | instskip(SKIP_4) | instid1(VALU_DEP_3)
	s_or_b32 exec_lo, exec_lo, s11
	v_and_b32_e32 v27, 0xff, v25
	v_dual_mov_b32 v16, v25 :: v_dual_mov_b32 v26, 0
	v_mov_b32_e32 v48, 0
	s_mov_b32 s11, exec_lo
	v_cmpx_ne_u16_e32 0, v27
	s_cbranch_execz .LBB320_522
; %bb.517:                              ;   in Loop: Header=BB320_424 Depth=1
	v_bfrev_b32_e32 v48, 1
	s_mov_b32 s14, exec_lo
	v_cmpx_ne_u16_e32 0x80, v27
	s_cbranch_execz .LBB320_521
; %bb.518:                              ;   in Loop: Header=BB320_424 Depth=1
	v_and_b32_e32 v27, 0x7f, v25
	v_mov_b32_e32 v48, 0x7f800001
	s_mov_b32 s15, exec_lo
	s_delay_alu instid0(VALU_DEP_2)
	v_cmpx_ne_u32_e32 0x7f, v27
	s_cbranch_execz .LBB320_520
; %bb.519:                              ;   in Loop: Header=BB320_424 Depth=1
	v_dual_lshrrev_b32 v48, 3, v27 :: v_dual_bitop2_b32 v47, 7, v25 bitop3:0x40
	v_cmp_gt_u32_e64 s0, 8, v27
	s_delay_alu instid0(VALU_DEP_2) | instskip(NEXT) | instid1(VALU_DEP_1)
	v_clz_i32_u32_e32 v47, v47
	v_min_u32_e32 v47, 32, v47
	s_delay_alu instid0(VALU_DEP_1) | instskip(SKIP_1) | instid1(VALU_DEP_1)
	v_subrev_nc_u32_e32 v53, 28, v47
	v_sub_nc_u32_e32 v47, 29, v47
	v_dual_cndmask_b32 v27, v48, v47, s0 :: v_dual_cndmask_b32 v47, 0, v53, s0
	s_delay_alu instid0(VALU_DEP_1) | instskip(NEXT) | instid1(VALU_DEP_2)
	v_lshl_add_u32 v27, v27, 23, 0x3c000000
	v_lshlrev_b64_e32 v[54:55], v47, v[16:17]
	v_lshlrev_b32_e32 v47, 24, v16
	s_delay_alu instid0(VALU_DEP_1) | instskip(NEXT) | instid1(VALU_DEP_3)
	v_and_b32_e32 v47, 0x80000000, v47
	v_lshlrev_b32_e32 v48, 20, v54
	s_delay_alu instid0(VALU_DEP_1) | instskip(NEXT) | instid1(VALU_DEP_1)
	v_and_b32_e32 v48, 0x700000, v48
	v_or3_b32 v48, v48, v47, v27
.LBB320_520:                            ;   in Loop: Header=BB320_424 Depth=1
	s_or_b32 exec_lo, exec_lo, s15
.LBB320_521:                            ;   in Loop: Header=BB320_424 Depth=1
	s_delay_alu instid0(SALU_CYCLE_1)
	s_or_b32 exec_lo, exec_lo, s14
.LBB320_522:                            ;   in Loop: Header=BB320_424 Depth=1
	s_delay_alu instid0(SALU_CYCLE_1) | instskip(SKIP_2) | instid1(VALU_DEP_1)
	s_or_b32 exec_lo, exec_lo, s11
	v_lshrrev_b16 v27, 8, v16
	s_mov_b32 s11, exec_lo
	v_cmpx_ne_u16_e32 0, v27
	s_cbranch_execz .LBB320_530
; %bb.523:                              ;   in Loop: Header=BB320_424 Depth=1
	v_bfrev_b32_e32 v26, 1
	s_mov_b32 s14, exec_lo
	v_cmpx_ne_u16_e32 0x80, v27
	s_cbranch_execz .LBB320_529
; %bb.524:                              ;   in Loop: Header=BB320_424 Depth=1
	v_and_b32_e32 v27, 0xffff, v27
	v_mov_b32_e32 v26, 0x7f800001
	s_mov_b32 s15, exec_lo
	s_delay_alu instid0(VALU_DEP_2) | instskip(NEXT) | instid1(VALU_DEP_1)
	v_and_b32_e32 v53, 0x7f, v27
	v_cmpx_ne_u32_e32 0x7f, v53
	s_cbranch_execz .LBB320_528
; %bb.525:                              ;   in Loop: Header=BB320_424 Depth=1
	v_dual_mov_b32 v27, v17 :: v_dual_bitop2_b32 v26, 7, v27 bitop3:0x40
	v_lshrrev_b32_e32 v47, 3, v53
	s_mov_b32 s16, exec_lo
	v_cmpx_gt_u32_e32 8, v53
; %bb.526:                              ;   in Loop: Header=BB320_424 Depth=1
	s_delay_alu instid0(VALU_DEP_3) | instskip(NEXT) | instid1(VALU_DEP_1)
	v_clz_i32_u32_e32 v47, v26
	v_min_u32_e32 v47, 32, v47
	s_delay_alu instid0(VALU_DEP_1) | instskip(NEXT) | instid1(VALU_DEP_1)
	v_subrev_nc_u32_e32 v53, 28, v47
	v_lshlrev_b64_e32 v[26:27], v53, v[26:27]
	s_delay_alu instid0(VALU_DEP_1)
	v_dual_sub_nc_u32 v47, 29, v47 :: v_dual_bitop2_b32 v26, 7, v26 bitop3:0x40
; %bb.527:                              ;   in Loop: Header=BB320_424 Depth=1
	s_or_b32 exec_lo, exec_lo, s16
	s_delay_alu instid0(VALU_DEP_1) | instskip(NEXT) | instid1(VALU_DEP_2)
	v_dual_lshlrev_b32 v16, 16, v16 :: v_dual_lshlrev_b32 v26, 20, v26
	v_lshl_add_u32 v27, v47, 23, 0x3c000000
	s_delay_alu instid0(VALU_DEP_2) | instskip(NEXT) | instid1(VALU_DEP_1)
	v_and_b32_e32 v16, 0x80000000, v16
	v_or3_b32 v26, v26, v16, v27
.LBB320_528:                            ;   in Loop: Header=BB320_424 Depth=1
	s_or_b32 exec_lo, exec_lo, s15
.LBB320_529:                            ;   in Loop: Header=BB320_424 Depth=1
	s_delay_alu instid0(SALU_CYCLE_1)
	s_or_b32 exec_lo, exec_lo, s14
.LBB320_530:                            ;   in Loop: Header=BB320_424 Depth=1
	s_delay_alu instid0(SALU_CYCLE_1) | instskip(SKIP_3) | instid1(VALU_DEP_2)
	s_or_b32 exec_lo, exec_lo, s11
	v_dual_lshrrev_b32 v47, 16, v25 :: v_dual_mov_b32 v27, 0
	v_mov_b32_e32 v55, 0
	s_mov_b32 s11, exec_lo
	v_and_b32_e32 v16, 0xff, v47
	s_delay_alu instid0(VALU_DEP_1)
	v_cmpx_ne_u16_e32 0, v16
	s_cbranch_execz .LBB320_538
; %bb.531:                              ;   in Loop: Header=BB320_424 Depth=1
	v_bfrev_b32_e32 v55, 1
	s_mov_b32 s14, exec_lo
	v_cmpx_ne_u16_e32 0x80, v16
	s_cbranch_execz .LBB320_537
; %bb.532:                              ;   in Loop: Header=BB320_424 Depth=1
	v_bfe_u32 v54, v25, 16, 7
	v_mov_b32_e32 v55, 0x7f800001
	s_mov_b32 s15, exec_lo
	s_delay_alu instid0(VALU_DEP_2)
	v_cmpx_ne_u32_e32 0x7f, v54
	s_cbranch_execz .LBB320_536
; %bb.533:                              ;   in Loop: Header=BB320_424 Depth=1
	v_dual_lshrrev_b32 v53, 3, v54 :: v_dual_bitop2_b32 v16, 7, v47 bitop3:0x40
	s_mov_b32 s16, exec_lo
	v_cmpx_gt_u32_e32 8, v54
; %bb.534:                              ;   in Loop: Header=BB320_424 Depth=1
	s_delay_alu instid0(VALU_DEP_2) | instskip(NEXT) | instid1(VALU_DEP_1)
	v_clz_i32_u32_e32 v53, v16
	v_min_u32_e32 v53, 32, v53
	s_delay_alu instid0(VALU_DEP_1) | instskip(NEXT) | instid1(VALU_DEP_1)
	v_subrev_nc_u32_e32 v54, 28, v53
	v_lshlrev_b64_e32 v[54:55], v54, v[16:17]
	s_delay_alu instid0(VALU_DEP_1)
	v_dual_sub_nc_u32 v53, 29, v53 :: v_dual_bitop2_b32 v16, 7, v54 bitop3:0x40
; %bb.535:                              ;   in Loop: Header=BB320_424 Depth=1
	s_or_b32 exec_lo, exec_lo, s16
	s_delay_alu instid0(VALU_DEP_1) | instskip(NEXT) | instid1(VALU_DEP_2)
	v_dual_lshlrev_b32 v47, 24, v47 :: v_dual_lshlrev_b32 v16, 20, v16
	v_lshl_add_u32 v53, v53, 23, 0x3c000000
	s_delay_alu instid0(VALU_DEP_2) | instskip(NEXT) | instid1(VALU_DEP_1)
	v_and_b32_e32 v47, 0x80000000, v47
	v_or3_b32 v55, v16, v47, v53
.LBB320_536:                            ;   in Loop: Header=BB320_424 Depth=1
	s_or_b32 exec_lo, exec_lo, s15
.LBB320_537:                            ;   in Loop: Header=BB320_424 Depth=1
	s_delay_alu instid0(SALU_CYCLE_1)
	s_or_b32 exec_lo, exec_lo, s14
.LBB320_538:                            ;   in Loop: Header=BB320_424 Depth=1
	s_delay_alu instid0(SALU_CYCLE_1) | instskip(NEXT) | instid1(SALU_CYCLE_1)
	s_or_b32 exec_lo, exec_lo, s11
	s_mov_b32 s11, exec_lo
	v_cmpx_lt_u64_e64 s[2:3], v[24:25]
	s_cbranch_execz .LBB320_546
; %bb.539:                              ;   in Loop: Header=BB320_424 Depth=1
	v_lshrrev_b32_e32 v24, 24, v25
	v_bfrev_b32_e32 v27, 1
	s_mov_b32 s14, exec_lo
	s_delay_alu instid0(VALU_DEP_2)
	v_cmpx_ne_u32_e32 0x80, v24
	s_cbranch_execz .LBB320_545
; %bb.540:                              ;   in Loop: Header=BB320_424 Depth=1
	v_bfe_u32 v47, v25, 24, 7
	v_mov_b32_e32 v27, 0x7f800001
	s_mov_b32 s15, exec_lo
	s_delay_alu instid0(VALU_DEP_2)
	v_cmpx_ne_u32_e32 0x7f, v47
	s_cbranch_execz .LBB320_544
; %bb.541:                              ;   in Loop: Header=BB320_424 Depth=1
	v_dual_lshrrev_b32 v25, 3, v47 :: v_dual_bitop2_b32 v16, 7, v24 bitop3:0x40
	s_mov_b32 s16, exec_lo
	v_cmpx_gt_u32_e32 8, v47
; %bb.542:                              ;   in Loop: Header=BB320_424 Depth=1
	s_delay_alu instid0(VALU_DEP_2) | instskip(NEXT) | instid1(VALU_DEP_1)
	v_clz_i32_u32_e32 v25, v16
	v_min_u32_e32 v25, 32, v25
	s_delay_alu instid0(VALU_DEP_1) | instskip(NEXT) | instid1(VALU_DEP_1)
	v_subrev_nc_u32_e32 v27, 28, v25
	v_lshlrev_b64_e32 v[56:57], v27, v[16:17]
	s_delay_alu instid0(VALU_DEP_1)
	v_dual_sub_nc_u32 v25, 29, v25 :: v_dual_bitop2_b32 v16, 7, v56 bitop3:0x40
; %bb.543:                              ;   in Loop: Header=BB320_424 Depth=1
	s_or_b32 exec_lo, exec_lo, s16
	v_lshlrev_b32_e32 v24, 24, v24
	s_delay_alu instid0(VALU_DEP_2) | instskip(NEXT) | instid1(VALU_DEP_3)
	v_lshlrev_b32_e32 v16, 20, v16
	v_lshl_add_u32 v25, v25, 23, 0x3c000000
	s_delay_alu instid0(VALU_DEP_3) | instskip(NEXT) | instid1(VALU_DEP_1)
	v_and_b32_e32 v24, 0x80000000, v24
	v_or3_b32 v27, v16, v24, v25
.LBB320_544:                            ;   in Loop: Header=BB320_424 Depth=1
	s_or_b32 exec_lo, exec_lo, s15
.LBB320_545:                            ;   in Loop: Header=BB320_424 Depth=1
	s_delay_alu instid0(SALU_CYCLE_1)
	s_or_b32 exec_lo, exec_lo, s14
.LBB320_546:                            ;   in Loop: Header=BB320_424 Depth=1
	s_delay_alu instid0(SALU_CYCLE_1)
	s_or_b32 exec_lo, exec_lo, s11
	v_fma_mixlo_bf16 v47, s6, v26, 0
	v_fma_mixlo_bf16 v48, s6, v48, 0
	;; [unrolled: 1-line block ×8, first 2 shown]
	s_and_saveexec_b32 s11, vcc_lo
	s_cbranch_execz .LBB320_548
; %bb.547:                              ;   in Loop: Header=BB320_424 Depth=1
	v_cmp_gt_i32_e64 s0, s25, v40
	s_delay_alu instid0(VALU_DEP_1) | instskip(SKIP_1) | instid1(VALU_DEP_1)
	v_cndmask_b32_e64 v54, 0, v54, s0
	v_cmp_gt_i32_e64 s0, s25, v46
	v_cndmask_b32_e64 v53, 0, v53, s0
	v_cmp_gt_i32_e64 s0, s25, v45
	s_delay_alu instid0(VALU_DEP_1) | instskip(SKIP_1) | instid1(VALU_DEP_1)
	v_cndmask_b32_e64 v52, 0, v52, s0
	v_cmp_gt_i32_e64 s0, s25, v44
	v_cndmask_b32_e64 v51, 0, v51, s0
	v_cmp_gt_i32_e64 s0, s25, v43
	s_delay_alu instid0(VALU_DEP_1) | instskip(SKIP_1) | instid1(VALU_DEP_1)
	v_cndmask_b32_e64 v48, 0, v48, s0
	v_cmp_gt_i32_e64 s0, s25, v42
	v_cndmask_b32_e64 v47, 0, v47, s0
	v_cmp_gt_i32_e64 s0, s25, v41
	s_delay_alu instid0(VALU_DEP_1) | instskip(SKIP_1) | instid1(VALU_DEP_1)
	v_cndmask_b32_e64 v49, 0, v49, s0
	v_cmp_gt_i32_e64 s0, s25, v29
	v_cndmask_b32_e64 v50, 0, v50, s0
.LBB320_548:                            ;   in Loop: Header=BB320_424 Depth=1
	s_or_b32 exec_lo, exec_lo, s11
	global_load_b64 v[24:25], v[22:23], off offset:512
	v_dual_mov_b32 v56, 0 :: v_dual_mov_b32 v55, 0
	s_mov_b32 s11, exec_lo
	s_wait_loadcnt 0x0
	v_and_b32_e32 v16, 0xff, v24
	s_delay_alu instid0(VALU_DEP_1)
	v_cmpx_ne_u16_e32 0, v16
	s_cbranch_execz .LBB320_554
; %bb.549:                              ;   in Loop: Header=BB320_424 Depth=1
	v_bfrev_b32_e32 v55, 1
	s_mov_b32 s14, exec_lo
	v_cmpx_ne_u16_e32 0x80, v16
	s_cbranch_execz .LBB320_553
; %bb.550:                              ;   in Loop: Header=BB320_424 Depth=1
	v_and_b32_e32 v16, 0x7f, v24
	v_mov_b32_e32 v55, 0x7f800001
	s_mov_b32 s15, exec_lo
	s_delay_alu instid0(VALU_DEP_2)
	v_cmpx_ne_u32_e32 0x7f, v16
	s_cbranch_execz .LBB320_552
; %bb.551:                              ;   in Loop: Header=BB320_424 Depth=1
	v_and_b32_e32 v26, 7, v24
	v_cmp_gt_u32_e64 s0, 8, v16
	s_delay_alu instid0(VALU_DEP_2) | instskip(NEXT) | instid1(VALU_DEP_1)
	v_clz_i32_u32_e32 v26, v26
	v_min_u32_e32 v26, 32, v26
	v_lshrrev_b32_e32 v27, 3, v16
	s_delay_alu instid0(VALU_DEP_2) | instskip(SKIP_1) | instid1(VALU_DEP_1)
	v_subrev_nc_u32_e32 v55, 28, v26
	v_sub_nc_u32_e32 v26, 29, v26
	v_dual_cndmask_b32 v16, v27, v26, s0 :: v_dual_cndmask_b32 v26, 0, v55, s0
	s_delay_alu instid0(VALU_DEP_1) | instskip(NEXT) | instid1(VALU_DEP_2)
	v_lshl_add_u32 v16, v16, 23, 0x3c000000
	v_lshlrev_b64_e32 v[26:27], v26, v[24:25]
	v_lshlrev_b32_e32 v27, 24, v24
	s_delay_alu instid0(VALU_DEP_1) | instskip(NEXT) | instid1(VALU_DEP_3)
	v_and_b32_e32 v27, 0x80000000, v27
	v_lshlrev_b32_e32 v26, 20, v26
	s_delay_alu instid0(VALU_DEP_1) | instskip(NEXT) | instid1(VALU_DEP_1)
	v_and_b32_e32 v26, 0x700000, v26
	v_or3_b32 v55, v26, v27, v16
.LBB320_552:                            ;   in Loop: Header=BB320_424 Depth=1
	s_or_b32 exec_lo, exec_lo, s15
.LBB320_553:                            ;   in Loop: Header=BB320_424 Depth=1
	s_delay_alu instid0(SALU_CYCLE_1)
	s_or_b32 exec_lo, exec_lo, s14
.LBB320_554:                            ;   in Loop: Header=BB320_424 Depth=1
	s_delay_alu instid0(SALU_CYCLE_1) | instskip(SKIP_2) | instid1(VALU_DEP_1)
	s_or_b32 exec_lo, exec_lo, s11
	v_lshrrev_b16 v16, 8, v24
	s_mov_b32 s11, exec_lo
	v_cmpx_ne_u16_e32 0, v16
	s_cbranch_execz .LBB320_562
; %bb.555:                              ;   in Loop: Header=BB320_424 Depth=1
	v_bfrev_b32_e32 v56, 1
	s_mov_b32 s14, exec_lo
	v_cmpx_ne_u16_e32 0x80, v16
	s_cbranch_execz .LBB320_561
; %bb.556:                              ;   in Loop: Header=BB320_424 Depth=1
	v_and_b32_e32 v16, 0xffff, v16
	v_mov_b32_e32 v56, 0x7f800001
	s_mov_b32 s15, exec_lo
	s_delay_alu instid0(VALU_DEP_2) | instskip(NEXT) | instid1(VALU_DEP_1)
	v_and_b32_e32 v27, 0x7f, v16
	v_cmpx_ne_u32_e32 0x7f, v27
	s_cbranch_execz .LBB320_560
; %bb.557:                              ;   in Loop: Header=BB320_424 Depth=1
	v_dual_lshrrev_b32 v26, 3, v27 :: v_dual_bitop2_b32 v16, 7, v16 bitop3:0x40
	s_mov_b32 s16, exec_lo
	v_cmpx_gt_u32_e32 8, v27
; %bb.558:                              ;   in Loop: Header=BB320_424 Depth=1
	s_delay_alu instid0(VALU_DEP_2) | instskip(NEXT) | instid1(VALU_DEP_1)
	v_clz_i32_u32_e32 v26, v16
	v_min_u32_e32 v26, 32, v26
	s_delay_alu instid0(VALU_DEP_1) | instskip(NEXT) | instid1(VALU_DEP_1)
	v_subrev_nc_u32_e32 v27, 28, v26
	v_lshlrev_b64_e32 v[56:57], v27, v[16:17]
	s_delay_alu instid0(VALU_DEP_1)
	v_dual_sub_nc_u32 v26, 29, v26 :: v_dual_bitop2_b32 v16, 7, v56 bitop3:0x40
; %bb.559:                              ;   in Loop: Header=BB320_424 Depth=1
	s_or_b32 exec_lo, exec_lo, s16
	v_lshlrev_b32_e32 v27, 16, v24
	s_delay_alu instid0(VALU_DEP_2) | instskip(NEXT) | instid1(VALU_DEP_3)
	v_lshlrev_b32_e32 v16, 20, v16
	v_lshl_add_u32 v26, v26, 23, 0x3c000000
	s_delay_alu instid0(VALU_DEP_3) | instskip(NEXT) | instid1(VALU_DEP_1)
	v_and_b32_e32 v27, 0x80000000, v27
	v_or3_b32 v56, v16, v27, v26
.LBB320_560:                            ;   in Loop: Header=BB320_424 Depth=1
	s_or_b32 exec_lo, exec_lo, s15
.LBB320_561:                            ;   in Loop: Header=BB320_424 Depth=1
	s_delay_alu instid0(SALU_CYCLE_1)
	s_or_b32 exec_lo, exec_lo, s14
.LBB320_562:                            ;   in Loop: Header=BB320_424 Depth=1
	s_delay_alu instid0(SALU_CYCLE_1) | instskip(SKIP_3) | instid1(VALU_DEP_2)
	s_or_b32 exec_lo, exec_lo, s11
	v_dual_mov_b32 v59, 0 :: v_dual_lshrrev_b32 v26, 16, v24
	v_mov_b32_e32 v60, 0
	s_mov_b32 s11, exec_lo
	v_and_b32_e32 v16, 0xff, v26
	s_delay_alu instid0(VALU_DEP_1)
	v_cmpx_ne_u16_e32 0, v16
	s_cbranch_execz .LBB320_570
; %bb.563:                              ;   in Loop: Header=BB320_424 Depth=1
	v_bfrev_b32_e32 v60, 1
	s_mov_b32 s14, exec_lo
	v_cmpx_ne_u16_e32 0x80, v16
	s_cbranch_execz .LBB320_569
; %bb.564:                              ;   in Loop: Header=BB320_424 Depth=1
	v_bfe_u32 v57, v24, 16, 7
	v_mov_b32_e32 v60, 0x7f800001
	s_mov_b32 s15, exec_lo
	s_delay_alu instid0(VALU_DEP_2)
	v_cmpx_ne_u32_e32 0x7f, v57
	s_cbranch_execz .LBB320_568
; %bb.565:                              ;   in Loop: Header=BB320_424 Depth=1
	v_dual_lshrrev_b32 v27, 3, v57 :: v_dual_bitop2_b32 v16, 7, v26 bitop3:0x40
	s_mov_b32 s16, exec_lo
	v_cmpx_gt_u32_e32 8, v57
; %bb.566:                              ;   in Loop: Header=BB320_424 Depth=1
	s_delay_alu instid0(VALU_DEP_2) | instskip(NEXT) | instid1(VALU_DEP_1)
	v_clz_i32_u32_e32 v27, v16
	v_min_u32_e32 v27, 32, v27
	s_delay_alu instid0(VALU_DEP_1) | instskip(NEXT) | instid1(VALU_DEP_1)
	v_subrev_nc_u32_e32 v57, 28, v27
	v_lshlrev_b64_e32 v[60:61], v57, v[16:17]
	s_delay_alu instid0(VALU_DEP_1)
	v_dual_sub_nc_u32 v27, 29, v27 :: v_dual_bitop2_b32 v16, 7, v60 bitop3:0x40
; %bb.567:                              ;   in Loop: Header=BB320_424 Depth=1
	s_or_b32 exec_lo, exec_lo, s16
	s_delay_alu instid0(VALU_DEP_1) | instskip(NEXT) | instid1(VALU_DEP_2)
	v_dual_lshlrev_b32 v26, 24, v26 :: v_dual_lshlrev_b32 v16, 20, v16
	v_lshl_add_u32 v27, v27, 23, 0x3c000000
	s_delay_alu instid0(VALU_DEP_2) | instskip(NEXT) | instid1(VALU_DEP_1)
	v_and_b32_e32 v26, 0x80000000, v26
	v_or3_b32 v60, v16, v26, v27
.LBB320_568:                            ;   in Loop: Header=BB320_424 Depth=1
	s_or_b32 exec_lo, exec_lo, s15
.LBB320_569:                            ;   in Loop: Header=BB320_424 Depth=1
	s_delay_alu instid0(SALU_CYCLE_1)
	s_or_b32 exec_lo, exec_lo, s14
.LBB320_570:                            ;   in Loop: Header=BB320_424 Depth=1
	s_delay_alu instid0(SALU_CYCLE_1) | instskip(NEXT) | instid1(SALU_CYCLE_1)
	s_or_b32 exec_lo, exec_lo, s11
	s_mov_b32 s11, exec_lo
	v_cmpx_lt_u32_e32 0xffffff, v24
	s_cbranch_execz .LBB320_578
; %bb.571:                              ;   in Loop: Header=BB320_424 Depth=1
	v_lshrrev_b32_e32 v26, 24, v24
	v_bfrev_b32_e32 v59, 1
	s_mov_b32 s14, exec_lo
	s_delay_alu instid0(VALU_DEP_2)
	v_cmpx_ne_u32_e32 0x80, v26
	s_cbranch_execz .LBB320_577
; %bb.572:                              ;   in Loop: Header=BB320_424 Depth=1
	v_bfe_u32 v57, v24, 24, 7
	v_mov_b32_e32 v59, 0x7f800001
	s_mov_b32 s15, exec_lo
	s_delay_alu instid0(VALU_DEP_2)
	v_cmpx_ne_u32_e32 0x7f, v57
	s_cbranch_execz .LBB320_576
; %bb.573:                              ;   in Loop: Header=BB320_424 Depth=1
	v_dual_lshrrev_b32 v27, 3, v57 :: v_dual_bitop2_b32 v16, 7, v26 bitop3:0x40
	s_mov_b32 s16, exec_lo
	v_cmpx_gt_u32_e32 8, v57
; %bb.574:                              ;   in Loop: Header=BB320_424 Depth=1
	s_delay_alu instid0(VALU_DEP_2) | instskip(NEXT) | instid1(VALU_DEP_1)
	v_clz_i32_u32_e32 v27, v16
	v_min_u32_e32 v27, 32, v27
	s_delay_alu instid0(VALU_DEP_1) | instskip(NEXT) | instid1(VALU_DEP_1)
	v_subrev_nc_u32_e32 v57, 28, v27
	v_lshlrev_b64_e32 v[58:59], v57, v[16:17]
	s_delay_alu instid0(VALU_DEP_1)
	v_dual_sub_nc_u32 v27, 29, v27 :: v_dual_bitop2_b32 v16, 7, v58 bitop3:0x40
; %bb.575:                              ;   in Loop: Header=BB320_424 Depth=1
	s_or_b32 exec_lo, exec_lo, s16
	s_delay_alu instid0(VALU_DEP_1) | instskip(NEXT) | instid1(VALU_DEP_2)
	v_dual_lshlrev_b32 v26, 24, v26 :: v_dual_lshlrev_b32 v16, 20, v16
	v_lshl_add_u32 v27, v27, 23, 0x3c000000
	s_delay_alu instid0(VALU_DEP_2) | instskip(NEXT) | instid1(VALU_DEP_1)
	v_and_b32_e32 v26, 0x80000000, v26
	v_or3_b32 v59, v16, v26, v27
.LBB320_576:                            ;   in Loop: Header=BB320_424 Depth=1
	s_or_b32 exec_lo, exec_lo, s15
.LBB320_577:                            ;   in Loop: Header=BB320_424 Depth=1
	s_delay_alu instid0(SALU_CYCLE_1)
	s_or_b32 exec_lo, exec_lo, s14
.LBB320_578:                            ;   in Loop: Header=BB320_424 Depth=1
	s_delay_alu instid0(SALU_CYCLE_1) | instskip(SKIP_4) | instid1(VALU_DEP_3)
	s_or_b32 exec_lo, exec_lo, s11
	v_and_b32_e32 v27, 0xff, v25
	v_dual_mov_b32 v16, v25 :: v_dual_mov_b32 v26, 0
	v_mov_b32_e32 v58, 0
	s_mov_b32 s11, exec_lo
	v_cmpx_ne_u16_e32 0, v27
	s_cbranch_execz .LBB320_584
; %bb.579:                              ;   in Loop: Header=BB320_424 Depth=1
	v_bfrev_b32_e32 v58, 1
	s_mov_b32 s14, exec_lo
	v_cmpx_ne_u16_e32 0x80, v27
	s_cbranch_execz .LBB320_583
; %bb.580:                              ;   in Loop: Header=BB320_424 Depth=1
	v_and_b32_e32 v27, 0x7f, v25
	v_mov_b32_e32 v58, 0x7f800001
	s_mov_b32 s15, exec_lo
	s_delay_alu instid0(VALU_DEP_2)
	v_cmpx_ne_u32_e32 0x7f, v27
	s_cbranch_execz .LBB320_582
; %bb.581:                              ;   in Loop: Header=BB320_424 Depth=1
	v_dual_lshrrev_b32 v58, 3, v27 :: v_dual_bitop2_b32 v57, 7, v25 bitop3:0x40
	v_cmp_gt_u32_e64 s0, 8, v27
	s_delay_alu instid0(VALU_DEP_2) | instskip(NEXT) | instid1(VALU_DEP_1)
	v_clz_i32_u32_e32 v57, v57
	v_min_u32_e32 v57, 32, v57
	s_delay_alu instid0(VALU_DEP_1) | instskip(SKIP_1) | instid1(VALU_DEP_1)
	v_subrev_nc_u32_e32 v61, 28, v57
	v_sub_nc_u32_e32 v57, 29, v57
	v_cndmask_b32_e64 v27, v58, v57, s0
	s_delay_alu instid0(VALU_DEP_3) | instskip(NEXT) | instid1(VALU_DEP_1)
	v_cndmask_b32_e64 v57, 0, v61, s0
	v_lshlrev_b64_e32 v[62:63], v57, v[16:17]
	v_lshlrev_b32_e32 v57, 24, v16
	s_delay_alu instid0(VALU_DEP_4) | instskip(NEXT) | instid1(VALU_DEP_2)
	v_lshl_add_u32 v27, v27, 23, 0x3c000000
	v_and_b32_e32 v57, 0x80000000, v57
	s_delay_alu instid0(VALU_DEP_4) | instskip(NEXT) | instid1(VALU_DEP_1)
	v_lshlrev_b32_e32 v58, 20, v62
	v_and_b32_e32 v58, 0x700000, v58
	s_delay_alu instid0(VALU_DEP_1)
	v_or3_b32 v58, v58, v57, v27
.LBB320_582:                            ;   in Loop: Header=BB320_424 Depth=1
	s_or_b32 exec_lo, exec_lo, s15
.LBB320_583:                            ;   in Loop: Header=BB320_424 Depth=1
	s_delay_alu instid0(SALU_CYCLE_1)
	s_or_b32 exec_lo, exec_lo, s14
.LBB320_584:                            ;   in Loop: Header=BB320_424 Depth=1
	s_delay_alu instid0(SALU_CYCLE_1) | instskip(SKIP_2) | instid1(VALU_DEP_1)
	s_or_b32 exec_lo, exec_lo, s11
	v_lshrrev_b16 v27, 8, v16
	s_mov_b32 s11, exec_lo
	v_cmpx_ne_u16_e32 0, v27
	s_cbranch_execz .LBB320_592
; %bb.585:                              ;   in Loop: Header=BB320_424 Depth=1
	v_bfrev_b32_e32 v26, 1
	s_mov_b32 s14, exec_lo
	v_cmpx_ne_u16_e32 0x80, v27
	s_cbranch_execz .LBB320_591
; %bb.586:                              ;   in Loop: Header=BB320_424 Depth=1
	v_and_b32_e32 v27, 0xffff, v27
	v_mov_b32_e32 v26, 0x7f800001
	s_mov_b32 s15, exec_lo
	s_delay_alu instid0(VALU_DEP_2) | instskip(NEXT) | instid1(VALU_DEP_1)
	v_and_b32_e32 v61, 0x7f, v27
	v_cmpx_ne_u32_e32 0x7f, v61
	s_cbranch_execz .LBB320_590
; %bb.587:                              ;   in Loop: Header=BB320_424 Depth=1
	v_dual_mov_b32 v27, v17 :: v_dual_bitop2_b32 v26, 7, v27 bitop3:0x40
	v_lshrrev_b32_e32 v57, 3, v61
	s_mov_b32 s16, exec_lo
	v_cmpx_gt_u32_e32 8, v61
; %bb.588:                              ;   in Loop: Header=BB320_424 Depth=1
	s_delay_alu instid0(VALU_DEP_3) | instskip(NEXT) | instid1(VALU_DEP_1)
	v_clz_i32_u32_e32 v57, v26
	v_min_u32_e32 v57, 32, v57
	s_delay_alu instid0(VALU_DEP_1) | instskip(NEXT) | instid1(VALU_DEP_1)
	v_subrev_nc_u32_e32 v61, 28, v57
	v_lshlrev_b64_e32 v[26:27], v61, v[26:27]
	s_delay_alu instid0(VALU_DEP_1)
	v_dual_sub_nc_u32 v57, 29, v57 :: v_dual_bitop2_b32 v26, 7, v26 bitop3:0x40
; %bb.589:                              ;   in Loop: Header=BB320_424 Depth=1
	s_or_b32 exec_lo, exec_lo, s16
	s_delay_alu instid0(VALU_DEP_1) | instskip(NEXT) | instid1(VALU_DEP_2)
	v_dual_lshlrev_b32 v16, 16, v16 :: v_dual_lshlrev_b32 v26, 20, v26
	v_lshl_add_u32 v27, v57, 23, 0x3c000000
	s_delay_alu instid0(VALU_DEP_2) | instskip(NEXT) | instid1(VALU_DEP_1)
	v_and_b32_e32 v16, 0x80000000, v16
	v_or3_b32 v26, v26, v16, v27
.LBB320_590:                            ;   in Loop: Header=BB320_424 Depth=1
	s_or_b32 exec_lo, exec_lo, s15
.LBB320_591:                            ;   in Loop: Header=BB320_424 Depth=1
	s_delay_alu instid0(SALU_CYCLE_1)
	s_or_b32 exec_lo, exec_lo, s14
.LBB320_592:                            ;   in Loop: Header=BB320_424 Depth=1
	s_delay_alu instid0(SALU_CYCLE_1) | instskip(SKIP_3) | instid1(VALU_DEP_2)
	s_or_b32 exec_lo, exec_lo, s11
	v_dual_lshrrev_b32 v57, 16, v25 :: v_dual_mov_b32 v27, 0
	v_mov_b32_e32 v63, 0
	s_mov_b32 s11, exec_lo
	v_and_b32_e32 v16, 0xff, v57
	s_delay_alu instid0(VALU_DEP_1)
	v_cmpx_ne_u16_e32 0, v16
	s_cbranch_execz .LBB320_600
; %bb.593:                              ;   in Loop: Header=BB320_424 Depth=1
	v_bfrev_b32_e32 v63, 1
	s_mov_b32 s14, exec_lo
	v_cmpx_ne_u16_e32 0x80, v16
	s_cbranch_execz .LBB320_599
; %bb.594:                              ;   in Loop: Header=BB320_424 Depth=1
	v_bfe_u32 v62, v25, 16, 7
	v_mov_b32_e32 v63, 0x7f800001
	s_mov_b32 s15, exec_lo
	s_delay_alu instid0(VALU_DEP_2)
	v_cmpx_ne_u32_e32 0x7f, v62
	s_cbranch_execz .LBB320_598
; %bb.595:                              ;   in Loop: Header=BB320_424 Depth=1
	v_dual_lshrrev_b32 v61, 3, v62 :: v_dual_bitop2_b32 v16, 7, v57 bitop3:0x40
	s_mov_b32 s16, exec_lo
	v_cmpx_gt_u32_e32 8, v62
; %bb.596:                              ;   in Loop: Header=BB320_424 Depth=1
	s_delay_alu instid0(VALU_DEP_2) | instskip(NEXT) | instid1(VALU_DEP_1)
	v_clz_i32_u32_e32 v61, v16
	v_min_u32_e32 v61, 32, v61
	s_delay_alu instid0(VALU_DEP_1) | instskip(NEXT) | instid1(VALU_DEP_1)
	v_subrev_nc_u32_e32 v62, 28, v61
	v_lshlrev_b64_e32 v[62:63], v62, v[16:17]
	s_delay_alu instid0(VALU_DEP_1)
	v_dual_sub_nc_u32 v61, 29, v61 :: v_dual_bitop2_b32 v16, 7, v62 bitop3:0x40
; %bb.597:                              ;   in Loop: Header=BB320_424 Depth=1
	s_or_b32 exec_lo, exec_lo, s16
	s_delay_alu instid0(VALU_DEP_1) | instskip(NEXT) | instid1(VALU_DEP_2)
	v_dual_lshlrev_b32 v57, 24, v57 :: v_dual_lshlrev_b32 v16, 20, v16
	v_lshl_add_u32 v61, v61, 23, 0x3c000000
	s_delay_alu instid0(VALU_DEP_2) | instskip(NEXT) | instid1(VALU_DEP_1)
	v_and_b32_e32 v57, 0x80000000, v57
	v_or3_b32 v63, v16, v57, v61
.LBB320_598:                            ;   in Loop: Header=BB320_424 Depth=1
	s_or_b32 exec_lo, exec_lo, s15
.LBB320_599:                            ;   in Loop: Header=BB320_424 Depth=1
	s_delay_alu instid0(SALU_CYCLE_1)
	s_or_b32 exec_lo, exec_lo, s14
.LBB320_600:                            ;   in Loop: Header=BB320_424 Depth=1
	s_delay_alu instid0(SALU_CYCLE_1) | instskip(NEXT) | instid1(SALU_CYCLE_1)
	s_or_b32 exec_lo, exec_lo, s11
	s_mov_b32 s11, exec_lo
	v_cmpx_lt_u64_e64 s[2:3], v[24:25]
	s_cbranch_execz .LBB320_608
; %bb.601:                              ;   in Loop: Header=BB320_424 Depth=1
	v_lshrrev_b32_e32 v24, 24, v25
	v_bfrev_b32_e32 v27, 1
	s_mov_b32 s14, exec_lo
	s_delay_alu instid0(VALU_DEP_2)
	v_cmpx_ne_u32_e32 0x80, v24
	s_cbranch_execz .LBB320_607
; %bb.602:                              ;   in Loop: Header=BB320_424 Depth=1
	v_bfe_u32 v57, v25, 24, 7
	v_mov_b32_e32 v27, 0x7f800001
	s_mov_b32 s15, exec_lo
	s_delay_alu instid0(VALU_DEP_2)
	v_cmpx_ne_u32_e32 0x7f, v57
	s_cbranch_execz .LBB320_606
; %bb.603:                              ;   in Loop: Header=BB320_424 Depth=1
	v_dual_lshrrev_b32 v25, 3, v57 :: v_dual_bitop2_b32 v16, 7, v24 bitop3:0x40
	s_mov_b32 s16, exec_lo
	v_cmpx_gt_u32_e32 8, v57
; %bb.604:                              ;   in Loop: Header=BB320_424 Depth=1
	s_delay_alu instid0(VALU_DEP_2) | instskip(NEXT) | instid1(VALU_DEP_1)
	v_clz_i32_u32_e32 v25, v16
	v_min_u32_e32 v25, 32, v25
	s_delay_alu instid0(VALU_DEP_1) | instskip(NEXT) | instid1(VALU_DEP_1)
	v_subrev_nc_u32_e32 v27, 28, v25
	v_lshlrev_b64_e32 v[64:65], v27, v[16:17]
	s_delay_alu instid0(VALU_DEP_1)
	v_dual_sub_nc_u32 v25, 29, v25 :: v_dual_bitop2_b32 v16, 7, v64 bitop3:0x40
; %bb.605:                              ;   in Loop: Header=BB320_424 Depth=1
	s_or_b32 exec_lo, exec_lo, s16
	v_lshlrev_b32_e32 v24, 24, v24
	s_delay_alu instid0(VALU_DEP_2) | instskip(NEXT) | instid1(VALU_DEP_3)
	v_lshlrev_b32_e32 v16, 20, v16
	v_lshl_add_u32 v25, v25, 23, 0x3c000000
	s_delay_alu instid0(VALU_DEP_3) | instskip(NEXT) | instid1(VALU_DEP_1)
	v_and_b32_e32 v24, 0x80000000, v24
	v_or3_b32 v27, v16, v24, v25
.LBB320_606:                            ;   in Loop: Header=BB320_424 Depth=1
	s_or_b32 exec_lo, exec_lo, s15
.LBB320_607:                            ;   in Loop: Header=BB320_424 Depth=1
	s_delay_alu instid0(SALU_CYCLE_1)
	s_or_b32 exec_lo, exec_lo, s14
.LBB320_608:                            ;   in Loop: Header=BB320_424 Depth=1
	s_delay_alu instid0(SALU_CYCLE_1)
	s_or_b32 exec_lo, exec_lo, s11
	v_fma_mixlo_bf16 v57, s6, v26, 0
	v_fma_mixlo_bf16 v58, s6, v58, 0
	;; [unrolled: 1-line block ×8, first 2 shown]
	s_and_saveexec_b32 s11, vcc_lo
	s_cbranch_execz .LBB320_610
; %bb.609:                              ;   in Loop: Header=BB320_424 Depth=1
	v_cmp_gt_i32_e64 s0, s25, v40
	s_delay_alu instid0(VALU_DEP_1) | instskip(SKIP_1) | instid1(VALU_DEP_1)
	v_cndmask_b32_e64 v62, 0, v62, s0
	v_cmp_gt_i32_e64 s0, s25, v46
	v_cndmask_b32_e64 v61, 0, v61, s0
	v_cmp_gt_i32_e64 s0, s25, v45
	s_delay_alu instid0(VALU_DEP_1) | instskip(SKIP_1) | instid1(VALU_DEP_1)
	v_cndmask_b32_e64 v60, 0, v60, s0
	v_cmp_gt_i32_e64 s0, s25, v44
	v_cndmask_b32_e64 v59, 0, v59, s0
	;; [unrolled: 5-line block ×4, first 2 shown]
.LBB320_610:                            ;   in Loop: Header=BB320_424 Depth=1
	s_or_b32 exec_lo, exec_lo, s11
	global_load_b64 v[24:25], v[22:23], off offset:768
	v_dual_mov_b32 v64, 0 :: v_dual_mov_b32 v63, 0
	s_mov_b32 s11, exec_lo
	s_wait_loadcnt 0x0
	v_and_b32_e32 v16, 0xff, v24
	s_delay_alu instid0(VALU_DEP_1)
	v_cmpx_ne_u16_e32 0, v16
	s_cbranch_execz .LBB320_616
; %bb.611:                              ;   in Loop: Header=BB320_424 Depth=1
	v_bfrev_b32_e32 v63, 1
	s_mov_b32 s14, exec_lo
	v_cmpx_ne_u16_e32 0x80, v16
	s_cbranch_execz .LBB320_615
; %bb.612:                              ;   in Loop: Header=BB320_424 Depth=1
	v_and_b32_e32 v16, 0x7f, v24
	v_mov_b32_e32 v63, 0x7f800001
	s_mov_b32 s15, exec_lo
	s_delay_alu instid0(VALU_DEP_2)
	v_cmpx_ne_u32_e32 0x7f, v16
	s_cbranch_execz .LBB320_614
; %bb.613:                              ;   in Loop: Header=BB320_424 Depth=1
	v_and_b32_e32 v26, 7, v24
	v_cmp_gt_u32_e64 s0, 8, v16
	s_delay_alu instid0(VALU_DEP_2) | instskip(NEXT) | instid1(VALU_DEP_1)
	v_clz_i32_u32_e32 v26, v26
	v_min_u32_e32 v26, 32, v26
	v_lshrrev_b32_e32 v27, 3, v16
	s_delay_alu instid0(VALU_DEP_2) | instskip(SKIP_1) | instid1(VALU_DEP_1)
	v_subrev_nc_u32_e32 v63, 28, v26
	v_sub_nc_u32_e32 v26, 29, v26
	v_dual_cndmask_b32 v16, v27, v26, s0 :: v_dual_cndmask_b32 v26, 0, v63, s0
	s_delay_alu instid0(VALU_DEP_1) | instskip(NEXT) | instid1(VALU_DEP_2)
	v_lshl_add_u32 v16, v16, 23, 0x3c000000
	v_lshlrev_b64_e32 v[26:27], v26, v[24:25]
	v_lshlrev_b32_e32 v27, 24, v24
	s_delay_alu instid0(VALU_DEP_1) | instskip(NEXT) | instid1(VALU_DEP_3)
	v_and_b32_e32 v27, 0x80000000, v27
	v_lshlrev_b32_e32 v26, 20, v26
	s_delay_alu instid0(VALU_DEP_1) | instskip(NEXT) | instid1(VALU_DEP_1)
	v_and_b32_e32 v26, 0x700000, v26
	v_or3_b32 v63, v26, v27, v16
.LBB320_614:                            ;   in Loop: Header=BB320_424 Depth=1
	s_or_b32 exec_lo, exec_lo, s15
.LBB320_615:                            ;   in Loop: Header=BB320_424 Depth=1
	s_delay_alu instid0(SALU_CYCLE_1)
	s_or_b32 exec_lo, exec_lo, s14
.LBB320_616:                            ;   in Loop: Header=BB320_424 Depth=1
	s_delay_alu instid0(SALU_CYCLE_1) | instskip(SKIP_2) | instid1(VALU_DEP_1)
	s_or_b32 exec_lo, exec_lo, s11
	v_lshrrev_b16 v16, 8, v24
	s_mov_b32 s11, exec_lo
	v_cmpx_ne_u16_e32 0, v16
	s_cbranch_execz .LBB320_624
; %bb.617:                              ;   in Loop: Header=BB320_424 Depth=1
	v_bfrev_b32_e32 v64, 1
	s_mov_b32 s14, exec_lo
	v_cmpx_ne_u16_e32 0x80, v16
	s_cbranch_execz .LBB320_623
; %bb.618:                              ;   in Loop: Header=BB320_424 Depth=1
	v_and_b32_e32 v16, 0xffff, v16
	v_mov_b32_e32 v64, 0x7f800001
	s_mov_b32 s15, exec_lo
	s_delay_alu instid0(VALU_DEP_2) | instskip(NEXT) | instid1(VALU_DEP_1)
	v_and_b32_e32 v27, 0x7f, v16
	v_cmpx_ne_u32_e32 0x7f, v27
	s_cbranch_execz .LBB320_622
; %bb.619:                              ;   in Loop: Header=BB320_424 Depth=1
	v_dual_lshrrev_b32 v26, 3, v27 :: v_dual_bitop2_b32 v16, 7, v16 bitop3:0x40
	s_mov_b32 s16, exec_lo
	v_cmpx_gt_u32_e32 8, v27
; %bb.620:                              ;   in Loop: Header=BB320_424 Depth=1
	s_delay_alu instid0(VALU_DEP_2) | instskip(NEXT) | instid1(VALU_DEP_1)
	v_clz_i32_u32_e32 v26, v16
	v_min_u32_e32 v26, 32, v26
	s_delay_alu instid0(VALU_DEP_1) | instskip(NEXT) | instid1(VALU_DEP_1)
	v_subrev_nc_u32_e32 v27, 28, v26
	v_lshlrev_b64_e32 v[64:65], v27, v[16:17]
	s_delay_alu instid0(VALU_DEP_1)
	v_dual_sub_nc_u32 v26, 29, v26 :: v_dual_bitop2_b32 v16, 7, v64 bitop3:0x40
; %bb.621:                              ;   in Loop: Header=BB320_424 Depth=1
	s_or_b32 exec_lo, exec_lo, s16
	v_lshlrev_b32_e32 v27, 16, v24
	s_delay_alu instid0(VALU_DEP_2) | instskip(NEXT) | instid1(VALU_DEP_3)
	v_lshlrev_b32_e32 v16, 20, v16
	v_lshl_add_u32 v26, v26, 23, 0x3c000000
	s_delay_alu instid0(VALU_DEP_3) | instskip(NEXT) | instid1(VALU_DEP_1)
	v_and_b32_e32 v27, 0x80000000, v27
	v_or3_b32 v64, v16, v27, v26
.LBB320_622:                            ;   in Loop: Header=BB320_424 Depth=1
	s_or_b32 exec_lo, exec_lo, s15
.LBB320_623:                            ;   in Loop: Header=BB320_424 Depth=1
	s_delay_alu instid0(SALU_CYCLE_1)
	s_or_b32 exec_lo, exec_lo, s14
.LBB320_624:                            ;   in Loop: Header=BB320_424 Depth=1
	s_delay_alu instid0(SALU_CYCLE_1) | instskip(SKIP_3) | instid1(VALU_DEP_2)
	s_or_b32 exec_lo, exec_lo, s11
	v_dual_mov_b32 v67, 0 :: v_dual_lshrrev_b32 v26, 16, v24
	v_mov_b32_e32 v68, 0
	s_mov_b32 s11, exec_lo
	v_and_b32_e32 v16, 0xff, v26
	s_delay_alu instid0(VALU_DEP_1)
	v_cmpx_ne_u16_e32 0, v16
	s_cbranch_execz .LBB320_632
; %bb.625:                              ;   in Loop: Header=BB320_424 Depth=1
	v_bfrev_b32_e32 v68, 1
	s_mov_b32 s14, exec_lo
	v_cmpx_ne_u16_e32 0x80, v16
	s_cbranch_execz .LBB320_631
; %bb.626:                              ;   in Loop: Header=BB320_424 Depth=1
	v_bfe_u32 v65, v24, 16, 7
	v_mov_b32_e32 v68, 0x7f800001
	s_mov_b32 s15, exec_lo
	s_delay_alu instid0(VALU_DEP_2)
	v_cmpx_ne_u32_e32 0x7f, v65
	s_cbranch_execz .LBB320_630
; %bb.627:                              ;   in Loop: Header=BB320_424 Depth=1
	v_dual_lshrrev_b32 v27, 3, v65 :: v_dual_bitop2_b32 v16, 7, v26 bitop3:0x40
	s_mov_b32 s16, exec_lo
	v_cmpx_gt_u32_e32 8, v65
; %bb.628:                              ;   in Loop: Header=BB320_424 Depth=1
	s_delay_alu instid0(VALU_DEP_2) | instskip(NEXT) | instid1(VALU_DEP_1)
	v_clz_i32_u32_e32 v27, v16
	v_min_u32_e32 v27, 32, v27
	s_delay_alu instid0(VALU_DEP_1) | instskip(NEXT) | instid1(VALU_DEP_1)
	v_subrev_nc_u32_e32 v65, 28, v27
	v_lshlrev_b64_e32 v[68:69], v65, v[16:17]
	s_delay_alu instid0(VALU_DEP_1)
	v_dual_sub_nc_u32 v27, 29, v27 :: v_dual_bitop2_b32 v16, 7, v68 bitop3:0x40
; %bb.629:                              ;   in Loop: Header=BB320_424 Depth=1
	s_or_b32 exec_lo, exec_lo, s16
	s_delay_alu instid0(VALU_DEP_1) | instskip(NEXT) | instid1(VALU_DEP_2)
	v_dual_lshlrev_b32 v26, 24, v26 :: v_dual_lshlrev_b32 v16, 20, v16
	v_lshl_add_u32 v27, v27, 23, 0x3c000000
	s_delay_alu instid0(VALU_DEP_2) | instskip(NEXT) | instid1(VALU_DEP_1)
	v_and_b32_e32 v26, 0x80000000, v26
	v_or3_b32 v68, v16, v26, v27
.LBB320_630:                            ;   in Loop: Header=BB320_424 Depth=1
	s_or_b32 exec_lo, exec_lo, s15
.LBB320_631:                            ;   in Loop: Header=BB320_424 Depth=1
	s_delay_alu instid0(SALU_CYCLE_1)
	s_or_b32 exec_lo, exec_lo, s14
.LBB320_632:                            ;   in Loop: Header=BB320_424 Depth=1
	s_delay_alu instid0(SALU_CYCLE_1) | instskip(NEXT) | instid1(SALU_CYCLE_1)
	s_or_b32 exec_lo, exec_lo, s11
	s_mov_b32 s11, exec_lo
	v_cmpx_lt_u32_e32 0xffffff, v24
	s_cbranch_execz .LBB320_640
; %bb.633:                              ;   in Loop: Header=BB320_424 Depth=1
	v_lshrrev_b32_e32 v26, 24, v24
	v_bfrev_b32_e32 v67, 1
	s_mov_b32 s14, exec_lo
	s_delay_alu instid0(VALU_DEP_2)
	v_cmpx_ne_u32_e32 0x80, v26
	s_cbranch_execz .LBB320_639
; %bb.634:                              ;   in Loop: Header=BB320_424 Depth=1
	v_bfe_u32 v65, v24, 24, 7
	v_mov_b32_e32 v67, 0x7f800001
	s_mov_b32 s15, exec_lo
	s_delay_alu instid0(VALU_DEP_2)
	v_cmpx_ne_u32_e32 0x7f, v65
	s_cbranch_execz .LBB320_638
; %bb.635:                              ;   in Loop: Header=BB320_424 Depth=1
	v_dual_lshrrev_b32 v27, 3, v65 :: v_dual_bitop2_b32 v16, 7, v26 bitop3:0x40
	s_mov_b32 s16, exec_lo
	v_cmpx_gt_u32_e32 8, v65
; %bb.636:                              ;   in Loop: Header=BB320_424 Depth=1
	s_delay_alu instid0(VALU_DEP_2) | instskip(NEXT) | instid1(VALU_DEP_1)
	v_clz_i32_u32_e32 v27, v16
	v_min_u32_e32 v27, 32, v27
	s_delay_alu instid0(VALU_DEP_1) | instskip(NEXT) | instid1(VALU_DEP_1)
	v_subrev_nc_u32_e32 v65, 28, v27
	v_lshlrev_b64_e32 v[66:67], v65, v[16:17]
	s_delay_alu instid0(VALU_DEP_1)
	v_dual_sub_nc_u32 v27, 29, v27 :: v_dual_bitop2_b32 v16, 7, v66 bitop3:0x40
; %bb.637:                              ;   in Loop: Header=BB320_424 Depth=1
	s_or_b32 exec_lo, exec_lo, s16
	s_delay_alu instid0(VALU_DEP_1) | instskip(NEXT) | instid1(VALU_DEP_2)
	v_dual_lshlrev_b32 v26, 24, v26 :: v_dual_lshlrev_b32 v16, 20, v16
	v_lshl_add_u32 v27, v27, 23, 0x3c000000
	s_delay_alu instid0(VALU_DEP_2) | instskip(NEXT) | instid1(VALU_DEP_1)
	v_and_b32_e32 v26, 0x80000000, v26
	v_or3_b32 v67, v16, v26, v27
.LBB320_638:                            ;   in Loop: Header=BB320_424 Depth=1
	s_or_b32 exec_lo, exec_lo, s15
.LBB320_639:                            ;   in Loop: Header=BB320_424 Depth=1
	s_delay_alu instid0(SALU_CYCLE_1)
	s_or_b32 exec_lo, exec_lo, s14
.LBB320_640:                            ;   in Loop: Header=BB320_424 Depth=1
	s_delay_alu instid0(SALU_CYCLE_1) | instskip(SKIP_4) | instid1(VALU_DEP_3)
	s_or_b32 exec_lo, exec_lo, s11
	v_and_b32_e32 v27, 0xff, v25
	v_dual_mov_b32 v16, v25 :: v_dual_mov_b32 v26, 0
	v_mov_b32_e32 v66, 0
	s_mov_b32 s11, exec_lo
	v_cmpx_ne_u16_e32 0, v27
	s_cbranch_execz .LBB320_646
; %bb.641:                              ;   in Loop: Header=BB320_424 Depth=1
	v_bfrev_b32_e32 v66, 1
	s_mov_b32 s14, exec_lo
	v_cmpx_ne_u16_e32 0x80, v27
	s_cbranch_execz .LBB320_645
; %bb.642:                              ;   in Loop: Header=BB320_424 Depth=1
	v_and_b32_e32 v27, 0x7f, v25
	v_mov_b32_e32 v66, 0x7f800001
	s_mov_b32 s15, exec_lo
	s_delay_alu instid0(VALU_DEP_2)
	v_cmpx_ne_u32_e32 0x7f, v27
	s_cbranch_execz .LBB320_644
; %bb.643:                              ;   in Loop: Header=BB320_424 Depth=1
	v_dual_lshrrev_b32 v66, 3, v27 :: v_dual_bitop2_b32 v65, 7, v25 bitop3:0x40
	v_cmp_gt_u32_e64 s0, 8, v27
	s_delay_alu instid0(VALU_DEP_2) | instskip(NEXT) | instid1(VALU_DEP_1)
	v_clz_i32_u32_e32 v65, v65
	v_min_u32_e32 v65, 32, v65
	s_delay_alu instid0(VALU_DEP_1) | instskip(SKIP_1) | instid1(VALU_DEP_1)
	v_subrev_nc_u32_e32 v69, 28, v65
	v_sub_nc_u32_e32 v65, 29, v65
	v_cndmask_b32_e64 v27, v66, v65, s0
	s_delay_alu instid0(VALU_DEP_3) | instskip(NEXT) | instid1(VALU_DEP_1)
	v_cndmask_b32_e64 v65, 0, v69, s0
	v_lshlrev_b64_e32 v[70:71], v65, v[16:17]
	v_lshlrev_b32_e32 v65, 24, v16
	s_delay_alu instid0(VALU_DEP_4) | instskip(NEXT) | instid1(VALU_DEP_2)
	v_lshl_add_u32 v27, v27, 23, 0x3c000000
	v_and_b32_e32 v65, 0x80000000, v65
	s_delay_alu instid0(VALU_DEP_4) | instskip(NEXT) | instid1(VALU_DEP_1)
	v_lshlrev_b32_e32 v66, 20, v70
	v_and_b32_e32 v66, 0x700000, v66
	s_delay_alu instid0(VALU_DEP_1)
	v_or3_b32 v66, v66, v65, v27
.LBB320_644:                            ;   in Loop: Header=BB320_424 Depth=1
	s_or_b32 exec_lo, exec_lo, s15
.LBB320_645:                            ;   in Loop: Header=BB320_424 Depth=1
	s_delay_alu instid0(SALU_CYCLE_1)
	s_or_b32 exec_lo, exec_lo, s14
.LBB320_646:                            ;   in Loop: Header=BB320_424 Depth=1
	s_delay_alu instid0(SALU_CYCLE_1) | instskip(SKIP_2) | instid1(VALU_DEP_1)
	s_or_b32 exec_lo, exec_lo, s11
	v_lshrrev_b16 v27, 8, v16
	s_mov_b32 s11, exec_lo
	v_cmpx_ne_u16_e32 0, v27
	s_cbranch_execz .LBB320_654
; %bb.647:                              ;   in Loop: Header=BB320_424 Depth=1
	v_bfrev_b32_e32 v26, 1
	s_mov_b32 s14, exec_lo
	v_cmpx_ne_u16_e32 0x80, v27
	s_cbranch_execz .LBB320_653
; %bb.648:                              ;   in Loop: Header=BB320_424 Depth=1
	v_and_b32_e32 v27, 0xffff, v27
	v_mov_b32_e32 v26, 0x7f800001
	s_mov_b32 s15, exec_lo
	s_delay_alu instid0(VALU_DEP_2) | instskip(NEXT) | instid1(VALU_DEP_1)
	v_and_b32_e32 v69, 0x7f, v27
	v_cmpx_ne_u32_e32 0x7f, v69
	s_cbranch_execz .LBB320_652
; %bb.649:                              ;   in Loop: Header=BB320_424 Depth=1
	v_dual_mov_b32 v27, v17 :: v_dual_bitop2_b32 v26, 7, v27 bitop3:0x40
	v_lshrrev_b32_e32 v65, 3, v69
	s_mov_b32 s16, exec_lo
	v_cmpx_gt_u32_e32 8, v69
; %bb.650:                              ;   in Loop: Header=BB320_424 Depth=1
	s_delay_alu instid0(VALU_DEP_3) | instskip(NEXT) | instid1(VALU_DEP_1)
	v_clz_i32_u32_e32 v65, v26
	v_min_u32_e32 v65, 32, v65
	s_delay_alu instid0(VALU_DEP_1) | instskip(NEXT) | instid1(VALU_DEP_1)
	v_subrev_nc_u32_e32 v69, 28, v65
	v_lshlrev_b64_e32 v[26:27], v69, v[26:27]
	s_delay_alu instid0(VALU_DEP_1)
	v_dual_sub_nc_u32 v65, 29, v65 :: v_dual_bitop2_b32 v26, 7, v26 bitop3:0x40
; %bb.651:                              ;   in Loop: Header=BB320_424 Depth=1
	s_or_b32 exec_lo, exec_lo, s16
	s_delay_alu instid0(VALU_DEP_1) | instskip(NEXT) | instid1(VALU_DEP_2)
	v_dual_lshlrev_b32 v16, 16, v16 :: v_dual_lshlrev_b32 v26, 20, v26
	v_lshl_add_u32 v27, v65, 23, 0x3c000000
	s_delay_alu instid0(VALU_DEP_2) | instskip(NEXT) | instid1(VALU_DEP_1)
	v_and_b32_e32 v16, 0x80000000, v16
	v_or3_b32 v26, v26, v16, v27
.LBB320_652:                            ;   in Loop: Header=BB320_424 Depth=1
	s_or_b32 exec_lo, exec_lo, s15
.LBB320_653:                            ;   in Loop: Header=BB320_424 Depth=1
	s_delay_alu instid0(SALU_CYCLE_1)
	s_or_b32 exec_lo, exec_lo, s14
.LBB320_654:                            ;   in Loop: Header=BB320_424 Depth=1
	s_delay_alu instid0(SALU_CYCLE_1) | instskip(SKIP_3) | instid1(VALU_DEP_2)
	s_or_b32 exec_lo, exec_lo, s11
	v_dual_lshrrev_b32 v65, 16, v25 :: v_dual_mov_b32 v27, 0
	v_mov_b32_e32 v71, 0
	s_mov_b32 s11, exec_lo
	v_and_b32_e32 v16, 0xff, v65
	s_delay_alu instid0(VALU_DEP_1)
	v_cmpx_ne_u16_e32 0, v16
	s_cbranch_execz .LBB320_662
; %bb.655:                              ;   in Loop: Header=BB320_424 Depth=1
	v_bfrev_b32_e32 v71, 1
	s_mov_b32 s14, exec_lo
	v_cmpx_ne_u16_e32 0x80, v16
	s_cbranch_execz .LBB320_661
; %bb.656:                              ;   in Loop: Header=BB320_424 Depth=1
	v_bfe_u32 v70, v25, 16, 7
	v_mov_b32_e32 v71, 0x7f800001
	s_mov_b32 s15, exec_lo
	s_delay_alu instid0(VALU_DEP_2)
	v_cmpx_ne_u32_e32 0x7f, v70
	s_cbranch_execz .LBB320_660
; %bb.657:                              ;   in Loop: Header=BB320_424 Depth=1
	v_dual_lshrrev_b32 v69, 3, v70 :: v_dual_bitop2_b32 v16, 7, v65 bitop3:0x40
	s_mov_b32 s16, exec_lo
	v_cmpx_gt_u32_e32 8, v70
; %bb.658:                              ;   in Loop: Header=BB320_424 Depth=1
	s_delay_alu instid0(VALU_DEP_2) | instskip(NEXT) | instid1(VALU_DEP_1)
	v_clz_i32_u32_e32 v69, v16
	v_min_u32_e32 v69, 32, v69
	s_delay_alu instid0(VALU_DEP_1) | instskip(NEXT) | instid1(VALU_DEP_1)
	v_subrev_nc_u32_e32 v70, 28, v69
	v_lshlrev_b64_e32 v[70:71], v70, v[16:17]
	s_delay_alu instid0(VALU_DEP_1)
	v_dual_sub_nc_u32 v69, 29, v69 :: v_dual_bitop2_b32 v16, 7, v70 bitop3:0x40
; %bb.659:                              ;   in Loop: Header=BB320_424 Depth=1
	s_or_b32 exec_lo, exec_lo, s16
	s_delay_alu instid0(VALU_DEP_1) | instskip(NEXT) | instid1(VALU_DEP_2)
	v_dual_lshlrev_b32 v65, 24, v65 :: v_dual_lshlrev_b32 v16, 20, v16
	v_lshl_add_u32 v69, v69, 23, 0x3c000000
	s_delay_alu instid0(VALU_DEP_2) | instskip(NEXT) | instid1(VALU_DEP_1)
	v_and_b32_e32 v65, 0x80000000, v65
	v_or3_b32 v71, v16, v65, v69
.LBB320_660:                            ;   in Loop: Header=BB320_424 Depth=1
	s_or_b32 exec_lo, exec_lo, s15
.LBB320_661:                            ;   in Loop: Header=BB320_424 Depth=1
	s_delay_alu instid0(SALU_CYCLE_1)
	s_or_b32 exec_lo, exec_lo, s14
.LBB320_662:                            ;   in Loop: Header=BB320_424 Depth=1
	s_delay_alu instid0(SALU_CYCLE_1) | instskip(NEXT) | instid1(SALU_CYCLE_1)
	s_or_b32 exec_lo, exec_lo, s11
	s_mov_b32 s11, exec_lo
	v_cmpx_lt_u64_e64 s[2:3], v[24:25]
	s_cbranch_execz .LBB320_670
; %bb.663:                              ;   in Loop: Header=BB320_424 Depth=1
	v_lshrrev_b32_e32 v24, 24, v25
	v_bfrev_b32_e32 v27, 1
	s_mov_b32 s14, exec_lo
	s_delay_alu instid0(VALU_DEP_2)
	v_cmpx_ne_u32_e32 0x80, v24
	s_cbranch_execz .LBB320_669
; %bb.664:                              ;   in Loop: Header=BB320_424 Depth=1
	v_bfe_u32 v65, v25, 24, 7
	v_mov_b32_e32 v27, 0x7f800001
	s_mov_b32 s15, exec_lo
	s_delay_alu instid0(VALU_DEP_2)
	v_cmpx_ne_u32_e32 0x7f, v65
	s_cbranch_execz .LBB320_668
; %bb.665:                              ;   in Loop: Header=BB320_424 Depth=1
	v_dual_lshrrev_b32 v25, 3, v65 :: v_dual_bitop2_b32 v16, 7, v24 bitop3:0x40
	s_mov_b32 s16, exec_lo
	v_cmpx_gt_u32_e32 8, v65
; %bb.666:                              ;   in Loop: Header=BB320_424 Depth=1
	s_delay_alu instid0(VALU_DEP_2) | instskip(NEXT) | instid1(VALU_DEP_1)
	v_clz_i32_u32_e32 v25, v16
	v_min_u32_e32 v25, 32, v25
	s_delay_alu instid0(VALU_DEP_1) | instskip(NEXT) | instid1(VALU_DEP_1)
	v_subrev_nc_u32_e32 v27, 28, v25
	v_lshlrev_b64_e32 v[72:73], v27, v[16:17]
	s_delay_alu instid0(VALU_DEP_1)
	v_dual_sub_nc_u32 v25, 29, v25 :: v_dual_bitop2_b32 v16, 7, v72 bitop3:0x40
; %bb.667:                              ;   in Loop: Header=BB320_424 Depth=1
	s_or_b32 exec_lo, exec_lo, s16
	v_lshlrev_b32_e32 v24, 24, v24
	s_delay_alu instid0(VALU_DEP_2) | instskip(NEXT) | instid1(VALU_DEP_3)
	v_lshlrev_b32_e32 v16, 20, v16
	v_lshl_add_u32 v25, v25, 23, 0x3c000000
	s_delay_alu instid0(VALU_DEP_3) | instskip(NEXT) | instid1(VALU_DEP_1)
	v_and_b32_e32 v24, 0x80000000, v24
	v_or3_b32 v27, v16, v24, v25
.LBB320_668:                            ;   in Loop: Header=BB320_424 Depth=1
	s_or_b32 exec_lo, exec_lo, s15
.LBB320_669:                            ;   in Loop: Header=BB320_424 Depth=1
	s_delay_alu instid0(SALU_CYCLE_1)
	s_or_b32 exec_lo, exec_lo, s14
.LBB320_670:                            ;   in Loop: Header=BB320_424 Depth=1
	s_delay_alu instid0(SALU_CYCLE_1)
	s_or_b32 exec_lo, exec_lo, s11
	v_fma_mixlo_bf16 v65, s6, v26, 0
	v_fma_mixlo_bf16 v66, s6, v66, 0
	;; [unrolled: 1-line block ×8, first 2 shown]
	s_and_saveexec_b32 s11, vcc_lo
	s_cbranch_execz .LBB320_672
; %bb.671:                              ;   in Loop: Header=BB320_424 Depth=1
	v_cmp_gt_i32_e64 s0, s25, v40
	s_delay_alu instid0(VALU_DEP_1) | instskip(SKIP_1) | instid1(VALU_DEP_1)
	v_cndmask_b32_e64 v70, 0, v70, s0
	v_cmp_gt_i32_e64 s0, s25, v46
	v_cndmask_b32_e64 v69, 0, v69, s0
	v_cmp_gt_i32_e64 s0, s25, v45
	s_delay_alu instid0(VALU_DEP_1) | instskip(SKIP_1) | instid1(VALU_DEP_1)
	v_cndmask_b32_e64 v68, 0, v68, s0
	v_cmp_gt_i32_e64 s0, s25, v44
	v_cndmask_b32_e64 v67, 0, v67, s0
	;; [unrolled: 5-line block ×4, first 2 shown]
.LBB320_672:                            ;   in Loop: Header=BB320_424 Depth=1
	s_or_b32 exec_lo, exec_lo, s11
	global_load_b64 v[24:25], v[22:23], off offset:1024
	v_dual_mov_b32 v75, 0 :: v_dual_mov_b32 v76, 0
	s_mov_b32 s11, exec_lo
	s_wait_loadcnt 0x0
	v_and_b32_e32 v16, 0xff, v24
	s_delay_alu instid0(VALU_DEP_1)
	v_cmpx_ne_u16_e32 0, v16
	s_cbranch_execz .LBB320_678
; %bb.673:                              ;   in Loop: Header=BB320_424 Depth=1
	v_bfrev_b32_e32 v76, 1
	s_mov_b32 s14, exec_lo
	v_cmpx_ne_u16_e32 0x80, v16
	s_cbranch_execz .LBB320_677
; %bb.674:                              ;   in Loop: Header=BB320_424 Depth=1
	v_and_b32_e32 v16, 0x7f, v24
	v_mov_b32_e32 v76, 0x7f800001
	s_mov_b32 s15, exec_lo
	s_delay_alu instid0(VALU_DEP_2)
	v_cmpx_ne_u32_e32 0x7f, v16
	s_cbranch_execz .LBB320_676
; %bb.675:                              ;   in Loop: Header=BB320_424 Depth=1
	v_and_b32_e32 v26, 7, v24
	v_cmp_gt_u32_e64 s0, 8, v16
	s_delay_alu instid0(VALU_DEP_2) | instskip(NEXT) | instid1(VALU_DEP_1)
	v_clz_i32_u32_e32 v26, v26
	v_min_u32_e32 v26, 32, v26
	v_lshrrev_b32_e32 v27, 3, v16
	s_delay_alu instid0(VALU_DEP_2) | instskip(SKIP_1) | instid1(VALU_DEP_1)
	v_subrev_nc_u32_e32 v71, 28, v26
	v_sub_nc_u32_e32 v26, 29, v26
	v_dual_cndmask_b32 v16, v27, v26, s0 :: v_dual_cndmask_b32 v26, 0, v71, s0
	s_delay_alu instid0(VALU_DEP_1) | instskip(NEXT) | instid1(VALU_DEP_2)
	v_lshl_add_u32 v16, v16, 23, 0x3c000000
	v_lshlrev_b64_e32 v[26:27], v26, v[24:25]
	v_lshlrev_b32_e32 v27, 24, v24
	s_delay_alu instid0(VALU_DEP_1) | instskip(NEXT) | instid1(VALU_DEP_3)
	v_and_b32_e32 v27, 0x80000000, v27
	v_lshlrev_b32_e32 v26, 20, v26
	s_delay_alu instid0(VALU_DEP_1) | instskip(NEXT) | instid1(VALU_DEP_1)
	v_and_b32_e32 v26, 0x700000, v26
	v_or3_b32 v76, v26, v27, v16
.LBB320_676:                            ;   in Loop: Header=BB320_424 Depth=1
	s_or_b32 exec_lo, exec_lo, s15
.LBB320_677:                            ;   in Loop: Header=BB320_424 Depth=1
	s_delay_alu instid0(SALU_CYCLE_1)
	s_or_b32 exec_lo, exec_lo, s14
.LBB320_678:                            ;   in Loop: Header=BB320_424 Depth=1
	s_delay_alu instid0(SALU_CYCLE_1) | instskip(SKIP_2) | instid1(VALU_DEP_1)
	s_or_b32 exec_lo, exec_lo, s11
	v_lshrrev_b16 v16, 8, v24
	s_mov_b32 s11, exec_lo
	v_cmpx_ne_u16_e32 0, v16
	s_cbranch_execz .LBB320_686
; %bb.679:                              ;   in Loop: Header=BB320_424 Depth=1
	v_bfrev_b32_e32 v75, 1
	s_mov_b32 s14, exec_lo
	v_cmpx_ne_u16_e32 0x80, v16
	s_cbranch_execz .LBB320_685
; %bb.680:                              ;   in Loop: Header=BB320_424 Depth=1
	v_and_b32_e32 v16, 0xffff, v16
	v_mov_b32_e32 v75, 0x7f800001
	s_mov_b32 s15, exec_lo
	s_delay_alu instid0(VALU_DEP_2) | instskip(NEXT) | instid1(VALU_DEP_1)
	v_and_b32_e32 v27, 0x7f, v16
	v_cmpx_ne_u32_e32 0x7f, v27
	s_cbranch_execz .LBB320_684
; %bb.681:                              ;   in Loop: Header=BB320_424 Depth=1
	v_dual_lshrrev_b32 v26, 3, v27 :: v_dual_bitop2_b32 v16, 7, v16 bitop3:0x40
	s_mov_b32 s16, exec_lo
	v_cmpx_gt_u32_e32 8, v27
; %bb.682:                              ;   in Loop: Header=BB320_424 Depth=1
	s_delay_alu instid0(VALU_DEP_2) | instskip(NEXT) | instid1(VALU_DEP_1)
	v_clz_i32_u32_e32 v26, v16
	v_min_u32_e32 v26, 32, v26
	s_delay_alu instid0(VALU_DEP_1) | instskip(NEXT) | instid1(VALU_DEP_1)
	v_subrev_nc_u32_e32 v27, 28, v26
	v_lshlrev_b64_e32 v[72:73], v27, v[16:17]
	s_delay_alu instid0(VALU_DEP_1)
	v_dual_sub_nc_u32 v26, 29, v26 :: v_dual_bitop2_b32 v16, 7, v72 bitop3:0x40
; %bb.683:                              ;   in Loop: Header=BB320_424 Depth=1
	s_or_b32 exec_lo, exec_lo, s16
	v_lshlrev_b32_e32 v27, 16, v24
	s_delay_alu instid0(VALU_DEP_2) | instskip(NEXT) | instid1(VALU_DEP_3)
	v_lshlrev_b32_e32 v16, 20, v16
	v_lshl_add_u32 v26, v26, 23, 0x3c000000
	s_delay_alu instid0(VALU_DEP_3) | instskip(NEXT) | instid1(VALU_DEP_1)
	v_and_b32_e32 v27, 0x80000000, v27
	v_or3_b32 v75, v16, v27, v26
.LBB320_684:                            ;   in Loop: Header=BB320_424 Depth=1
	s_or_b32 exec_lo, exec_lo, s15
.LBB320_685:                            ;   in Loop: Header=BB320_424 Depth=1
	s_delay_alu instid0(SALU_CYCLE_1)
	s_or_b32 exec_lo, exec_lo, s14
.LBB320_686:                            ;   in Loop: Header=BB320_424 Depth=1
	s_delay_alu instid0(SALU_CYCLE_1) | instskip(SKIP_3) | instid1(VALU_DEP_2)
	s_or_b32 exec_lo, exec_lo, s11
	v_dual_mov_b32 v73, 0 :: v_dual_lshrrev_b32 v26, 16, v24
	v_mov_b32_e32 v74, 0
	s_mov_b32 s11, exec_lo
	v_and_b32_e32 v16, 0xff, v26
	s_delay_alu instid0(VALU_DEP_1)
	v_cmpx_ne_u16_e32 0, v16
	s_cbranch_execz .LBB320_694
; %bb.687:                              ;   in Loop: Header=BB320_424 Depth=1
	v_bfrev_b32_e32 v74, 1
	s_mov_b32 s14, exec_lo
	v_cmpx_ne_u16_e32 0x80, v16
	s_cbranch_execz .LBB320_693
; %bb.688:                              ;   in Loop: Header=BB320_424 Depth=1
	v_bfe_u32 v71, v24, 16, 7
	v_mov_b32_e32 v74, 0x7f800001
	s_mov_b32 s15, exec_lo
	s_delay_alu instid0(VALU_DEP_2)
	v_cmpx_ne_u32_e32 0x7f, v71
	s_cbranch_execz .LBB320_692
; %bb.689:                              ;   in Loop: Header=BB320_424 Depth=1
	v_dual_lshrrev_b32 v27, 3, v71 :: v_dual_bitop2_b32 v16, 7, v26 bitop3:0x40
	s_mov_b32 s16, exec_lo
	v_cmpx_gt_u32_e32 8, v71
; %bb.690:                              ;   in Loop: Header=BB320_424 Depth=1
	s_delay_alu instid0(VALU_DEP_2) | instskip(NEXT) | instid1(VALU_DEP_1)
	v_clz_i32_u32_e32 v27, v16
	v_min_u32_e32 v27, 32, v27
	s_delay_alu instid0(VALU_DEP_1) | instskip(NEXT) | instid1(VALU_DEP_1)
	v_subrev_nc_u32_e32 v71, 28, v27
	v_lshlrev_b64_e32 v[78:79], v71, v[16:17]
	s_delay_alu instid0(VALU_DEP_1)
	v_dual_sub_nc_u32 v27, 29, v27 :: v_dual_bitop2_b32 v16, 7, v78 bitop3:0x40
; %bb.691:                              ;   in Loop: Header=BB320_424 Depth=1
	s_or_b32 exec_lo, exec_lo, s16
	s_delay_alu instid0(VALU_DEP_1) | instskip(NEXT) | instid1(VALU_DEP_2)
	v_dual_lshlrev_b32 v26, 24, v26 :: v_dual_lshlrev_b32 v16, 20, v16
	v_lshl_add_u32 v27, v27, 23, 0x3c000000
	s_delay_alu instid0(VALU_DEP_2) | instskip(NEXT) | instid1(VALU_DEP_1)
	v_and_b32_e32 v26, 0x80000000, v26
	v_or3_b32 v74, v16, v26, v27
.LBB320_692:                            ;   in Loop: Header=BB320_424 Depth=1
	s_or_b32 exec_lo, exec_lo, s15
.LBB320_693:                            ;   in Loop: Header=BB320_424 Depth=1
	s_delay_alu instid0(SALU_CYCLE_1)
	s_or_b32 exec_lo, exec_lo, s14
.LBB320_694:                            ;   in Loop: Header=BB320_424 Depth=1
	s_delay_alu instid0(SALU_CYCLE_1) | instskip(NEXT) | instid1(SALU_CYCLE_1)
	s_or_b32 exec_lo, exec_lo, s11
	s_mov_b32 s11, exec_lo
	v_cmpx_lt_u32_e32 0xffffff, v24
	s_cbranch_execz .LBB320_702
; %bb.695:                              ;   in Loop: Header=BB320_424 Depth=1
	v_lshrrev_b32_e32 v26, 24, v24
	v_bfrev_b32_e32 v73, 1
	s_mov_b32 s14, exec_lo
	s_delay_alu instid0(VALU_DEP_2)
	v_cmpx_ne_u32_e32 0x80, v26
	s_cbranch_execz .LBB320_701
; %bb.696:                              ;   in Loop: Header=BB320_424 Depth=1
	v_bfe_u32 v71, v24, 24, 7
	v_mov_b32_e32 v73, 0x7f800001
	s_mov_b32 s15, exec_lo
	s_delay_alu instid0(VALU_DEP_2)
	v_cmpx_ne_u32_e32 0x7f, v71
	s_cbranch_execz .LBB320_700
; %bb.697:                              ;   in Loop: Header=BB320_424 Depth=1
	v_dual_lshrrev_b32 v27, 3, v71 :: v_dual_bitop2_b32 v16, 7, v26 bitop3:0x40
	s_mov_b32 s16, exec_lo
	v_cmpx_gt_u32_e32 8, v71
; %bb.698:                              ;   in Loop: Header=BB320_424 Depth=1
	s_delay_alu instid0(VALU_DEP_2) | instskip(NEXT) | instid1(VALU_DEP_1)
	v_clz_i32_u32_e32 v27, v16
	v_min_u32_e32 v27, 32, v27
	s_delay_alu instid0(VALU_DEP_1) | instskip(NEXT) | instid1(VALU_DEP_1)
	v_subrev_nc_u32_e32 v71, 28, v27
	v_lshlrev_b64_e32 v[72:73], v71, v[16:17]
	s_delay_alu instid0(VALU_DEP_1)
	v_dual_sub_nc_u32 v27, 29, v27 :: v_dual_bitop2_b32 v16, 7, v72 bitop3:0x40
; %bb.699:                              ;   in Loop: Header=BB320_424 Depth=1
	s_or_b32 exec_lo, exec_lo, s16
	s_delay_alu instid0(VALU_DEP_1) | instskip(NEXT) | instid1(VALU_DEP_2)
	v_dual_lshlrev_b32 v26, 24, v26 :: v_dual_lshlrev_b32 v16, 20, v16
	v_lshl_add_u32 v27, v27, 23, 0x3c000000
	s_delay_alu instid0(VALU_DEP_2) | instskip(NEXT) | instid1(VALU_DEP_1)
	v_and_b32_e32 v26, 0x80000000, v26
	v_or3_b32 v73, v16, v26, v27
.LBB320_700:                            ;   in Loop: Header=BB320_424 Depth=1
	s_or_b32 exec_lo, exec_lo, s15
.LBB320_701:                            ;   in Loop: Header=BB320_424 Depth=1
	s_delay_alu instid0(SALU_CYCLE_1)
	s_or_b32 exec_lo, exec_lo, s14
.LBB320_702:                            ;   in Loop: Header=BB320_424 Depth=1
	s_delay_alu instid0(SALU_CYCLE_1) | instskip(SKIP_4) | instid1(VALU_DEP_3)
	s_or_b32 exec_lo, exec_lo, s11
	v_and_b32_e32 v27, 0xff, v25
	v_dual_mov_b32 v16, v25 :: v_dual_mov_b32 v26, 0
	v_mov_b32_e32 v72, 0
	s_mov_b32 s11, exec_lo
	v_cmpx_ne_u16_e32 0, v27
	s_cbranch_execz .LBB320_708
; %bb.703:                              ;   in Loop: Header=BB320_424 Depth=1
	v_bfrev_b32_e32 v72, 1
	s_mov_b32 s14, exec_lo
	v_cmpx_ne_u16_e32 0x80, v27
	s_cbranch_execz .LBB320_707
; %bb.704:                              ;   in Loop: Header=BB320_424 Depth=1
	v_and_b32_e32 v27, 0x7f, v25
	v_mov_b32_e32 v72, 0x7f800001
	s_mov_b32 s15, exec_lo
	s_delay_alu instid0(VALU_DEP_2)
	v_cmpx_ne_u32_e32 0x7f, v27
	s_cbranch_execz .LBB320_706
; %bb.705:                              ;   in Loop: Header=BB320_424 Depth=1
	v_dual_lshrrev_b32 v72, 3, v27 :: v_dual_bitop2_b32 v71, 7, v25 bitop3:0x40
	v_cmp_gt_u32_e64 s0, 8, v27
	s_delay_alu instid0(VALU_DEP_2) | instskip(NEXT) | instid1(VALU_DEP_1)
	v_clz_i32_u32_e32 v71, v71
	v_min_u32_e32 v71, 32, v71
	s_delay_alu instid0(VALU_DEP_1) | instskip(SKIP_1) | instid1(VALU_DEP_1)
	v_subrev_nc_u32_e32 v77, 28, v71
	v_sub_nc_u32_e32 v71, 29, v71
	v_dual_cndmask_b32 v27, v72, v71, s0 :: v_dual_cndmask_b32 v71, 0, v77, s0
	s_delay_alu instid0(VALU_DEP_1) | instskip(NEXT) | instid1(VALU_DEP_2)
	v_lshl_add_u32 v27, v27, 23, 0x3c000000
	v_lshlrev_b64_e32 v[78:79], v71, v[16:17]
	v_lshlrev_b32_e32 v71, 24, v16
	s_delay_alu instid0(VALU_DEP_1) | instskip(NEXT) | instid1(VALU_DEP_3)
	v_and_b32_e32 v71, 0x80000000, v71
	v_lshlrev_b32_e32 v72, 20, v78
	s_delay_alu instid0(VALU_DEP_1) | instskip(NEXT) | instid1(VALU_DEP_1)
	v_and_b32_e32 v72, 0x700000, v72
	v_or3_b32 v72, v72, v71, v27
.LBB320_706:                            ;   in Loop: Header=BB320_424 Depth=1
	s_or_b32 exec_lo, exec_lo, s15
.LBB320_707:                            ;   in Loop: Header=BB320_424 Depth=1
	s_delay_alu instid0(SALU_CYCLE_1)
	s_or_b32 exec_lo, exec_lo, s14
.LBB320_708:                            ;   in Loop: Header=BB320_424 Depth=1
	s_delay_alu instid0(SALU_CYCLE_1) | instskip(SKIP_2) | instid1(VALU_DEP_1)
	s_or_b32 exec_lo, exec_lo, s11
	v_lshrrev_b16 v27, 8, v16
	s_mov_b32 s11, exec_lo
	v_cmpx_ne_u16_e32 0, v27
	s_cbranch_execz .LBB320_716
; %bb.709:                              ;   in Loop: Header=BB320_424 Depth=1
	v_bfrev_b32_e32 v26, 1
	s_mov_b32 s14, exec_lo
	v_cmpx_ne_u16_e32 0x80, v27
	s_cbranch_execz .LBB320_715
; %bb.710:                              ;   in Loop: Header=BB320_424 Depth=1
	v_and_b32_e32 v27, 0xffff, v27
	v_mov_b32_e32 v26, 0x7f800001
	s_mov_b32 s15, exec_lo
	s_delay_alu instid0(VALU_DEP_2) | instskip(NEXT) | instid1(VALU_DEP_1)
	v_and_b32_e32 v77, 0x7f, v27
	v_cmpx_ne_u32_e32 0x7f, v77
	s_cbranch_execz .LBB320_714
; %bb.711:                              ;   in Loop: Header=BB320_424 Depth=1
	v_dual_mov_b32 v27, v17 :: v_dual_bitop2_b32 v26, 7, v27 bitop3:0x40
	v_lshrrev_b32_e32 v71, 3, v77
	s_mov_b32 s16, exec_lo
	v_cmpx_gt_u32_e32 8, v77
; %bb.712:                              ;   in Loop: Header=BB320_424 Depth=1
	s_delay_alu instid0(VALU_DEP_3) | instskip(NEXT) | instid1(VALU_DEP_1)
	v_clz_i32_u32_e32 v71, v26
	v_min_u32_e32 v71, 32, v71
	s_delay_alu instid0(VALU_DEP_1) | instskip(NEXT) | instid1(VALU_DEP_1)
	v_subrev_nc_u32_e32 v77, 28, v71
	v_lshlrev_b64_e32 v[26:27], v77, v[26:27]
	s_delay_alu instid0(VALU_DEP_1)
	v_dual_sub_nc_u32 v71, 29, v71 :: v_dual_bitop2_b32 v26, 7, v26 bitop3:0x40
; %bb.713:                              ;   in Loop: Header=BB320_424 Depth=1
	s_or_b32 exec_lo, exec_lo, s16
	s_delay_alu instid0(VALU_DEP_1) | instskip(NEXT) | instid1(VALU_DEP_2)
	v_dual_lshlrev_b32 v16, 16, v16 :: v_dual_lshlrev_b32 v26, 20, v26
	v_lshl_add_u32 v27, v71, 23, 0x3c000000
	s_delay_alu instid0(VALU_DEP_2) | instskip(NEXT) | instid1(VALU_DEP_1)
	v_and_b32_e32 v16, 0x80000000, v16
	v_or3_b32 v26, v26, v16, v27
.LBB320_714:                            ;   in Loop: Header=BB320_424 Depth=1
	s_or_b32 exec_lo, exec_lo, s15
.LBB320_715:                            ;   in Loop: Header=BB320_424 Depth=1
	s_delay_alu instid0(SALU_CYCLE_1)
	s_or_b32 exec_lo, exec_lo, s14
.LBB320_716:                            ;   in Loop: Header=BB320_424 Depth=1
	s_delay_alu instid0(SALU_CYCLE_1) | instskip(SKIP_3) | instid1(VALU_DEP_2)
	s_or_b32 exec_lo, exec_lo, s11
	v_dual_lshrrev_b32 v71, 16, v25 :: v_dual_mov_b32 v27, 0
	v_mov_b32_e32 v77, 0
	s_mov_b32 s11, exec_lo
	v_and_b32_e32 v16, 0xff, v71
	s_delay_alu instid0(VALU_DEP_1)
	v_cmpx_ne_u16_e32 0, v16
	s_cbranch_execz .LBB320_724
; %bb.717:                              ;   in Loop: Header=BB320_424 Depth=1
	v_bfrev_b32_e32 v77, 1
	s_mov_b32 s14, exec_lo
	v_cmpx_ne_u16_e32 0x80, v16
	s_cbranch_execz .LBB320_723
; %bb.718:                              ;   in Loop: Header=BB320_424 Depth=1
	v_bfe_u32 v78, v25, 16, 7
	v_mov_b32_e32 v77, 0x7f800001
	s_mov_b32 s15, exec_lo
	s_delay_alu instid0(VALU_DEP_2)
	v_cmpx_ne_u32_e32 0x7f, v78
	s_cbranch_execz .LBB320_722
; %bb.719:                              ;   in Loop: Header=BB320_424 Depth=1
	v_dual_lshrrev_b32 v77, 3, v78 :: v_dual_bitop2_b32 v16, 7, v71 bitop3:0x40
	s_mov_b32 s16, exec_lo
	v_cmpx_gt_u32_e32 8, v78
; %bb.720:                              ;   in Loop: Header=BB320_424 Depth=1
	s_delay_alu instid0(VALU_DEP_2) | instskip(NEXT) | instid1(VALU_DEP_1)
	v_clz_i32_u32_e32 v77, v16
	v_min_u32_e32 v77, 32, v77
	s_delay_alu instid0(VALU_DEP_1) | instskip(NEXT) | instid1(VALU_DEP_1)
	v_subrev_nc_u32_e32 v78, 28, v77
	v_lshlrev_b64_e32 v[78:79], v78, v[16:17]
	s_delay_alu instid0(VALU_DEP_1)
	v_dual_sub_nc_u32 v77, 29, v77 :: v_dual_bitop2_b32 v16, 7, v78 bitop3:0x40
; %bb.721:                              ;   in Loop: Header=BB320_424 Depth=1
	s_or_b32 exec_lo, exec_lo, s16
	s_delay_alu instid0(VALU_DEP_1) | instskip(NEXT) | instid1(VALU_DEP_2)
	v_dual_lshlrev_b32 v71, 24, v71 :: v_dual_lshlrev_b32 v16, 20, v16
	v_lshl_add_u32 v77, v77, 23, 0x3c000000
	s_delay_alu instid0(VALU_DEP_2) | instskip(NEXT) | instid1(VALU_DEP_1)
	v_and_b32_e32 v71, 0x80000000, v71
	v_or3_b32 v77, v16, v71, v77
.LBB320_722:                            ;   in Loop: Header=BB320_424 Depth=1
	s_or_b32 exec_lo, exec_lo, s15
.LBB320_723:                            ;   in Loop: Header=BB320_424 Depth=1
	s_delay_alu instid0(SALU_CYCLE_1)
	s_or_b32 exec_lo, exec_lo, s14
.LBB320_724:                            ;   in Loop: Header=BB320_424 Depth=1
	s_delay_alu instid0(SALU_CYCLE_1) | instskip(NEXT) | instid1(SALU_CYCLE_1)
	s_or_b32 exec_lo, exec_lo, s11
	s_mov_b32 s11, exec_lo
	v_cmpx_lt_u64_e64 s[2:3], v[24:25]
	s_cbranch_execz .LBB320_732
; %bb.725:                              ;   in Loop: Header=BB320_424 Depth=1
	v_lshrrev_b32_e32 v24, 24, v25
	v_bfrev_b32_e32 v27, 1
	s_mov_b32 s14, exec_lo
	s_delay_alu instid0(VALU_DEP_2)
	v_cmpx_ne_u32_e32 0x80, v24
	s_cbranch_execz .LBB320_731
; %bb.726:                              ;   in Loop: Header=BB320_424 Depth=1
	v_bfe_u32 v71, v25, 24, 7
	v_mov_b32_e32 v27, 0x7f800001
	s_mov_b32 s15, exec_lo
	s_delay_alu instid0(VALU_DEP_2)
	v_cmpx_ne_u32_e32 0x7f, v71
	s_cbranch_execz .LBB320_730
; %bb.727:                              ;   in Loop: Header=BB320_424 Depth=1
	v_dual_lshrrev_b32 v25, 3, v71 :: v_dual_bitop2_b32 v16, 7, v24 bitop3:0x40
	s_mov_b32 s16, exec_lo
	v_cmpx_gt_u32_e32 8, v71
; %bb.728:                              ;   in Loop: Header=BB320_424 Depth=1
	s_delay_alu instid0(VALU_DEP_2) | instskip(NEXT) | instid1(VALU_DEP_1)
	v_clz_i32_u32_e32 v25, v16
	v_min_u32_e32 v25, 32, v25
	s_delay_alu instid0(VALU_DEP_1) | instskip(NEXT) | instid1(VALU_DEP_1)
	v_subrev_nc_u32_e32 v27, 28, v25
	v_lshlrev_b64_e32 v[78:79], v27, v[16:17]
	s_delay_alu instid0(VALU_DEP_1)
	v_dual_sub_nc_u32 v25, 29, v25 :: v_dual_bitop2_b32 v16, 7, v78 bitop3:0x40
; %bb.729:                              ;   in Loop: Header=BB320_424 Depth=1
	s_or_b32 exec_lo, exec_lo, s16
	v_lshlrev_b32_e32 v24, 24, v24
	s_delay_alu instid0(VALU_DEP_2) | instskip(NEXT) | instid1(VALU_DEP_3)
	v_lshlrev_b32_e32 v16, 20, v16
	v_lshl_add_u32 v25, v25, 23, 0x3c000000
	s_delay_alu instid0(VALU_DEP_3) | instskip(NEXT) | instid1(VALU_DEP_1)
	v_and_b32_e32 v24, 0x80000000, v24
	v_or3_b32 v27, v16, v24, v25
.LBB320_730:                            ;   in Loop: Header=BB320_424 Depth=1
	s_or_b32 exec_lo, exec_lo, s15
.LBB320_731:                            ;   in Loop: Header=BB320_424 Depth=1
	s_delay_alu instid0(SALU_CYCLE_1)
	s_or_b32 exec_lo, exec_lo, s14
.LBB320_732:                            ;   in Loop: Header=BB320_424 Depth=1
	s_delay_alu instid0(SALU_CYCLE_1)
	s_or_b32 exec_lo, exec_lo, s11
	v_fma_mixlo_bf16 v71, s6, v26, 0
	v_fma_mixlo_bf16 v72, s6, v72, 0
	;; [unrolled: 1-line block ×8, first 2 shown]
	s_and_saveexec_b32 s11, vcc_lo
	s_cbranch_execz .LBB320_734
; %bb.733:                              ;   in Loop: Header=BB320_424 Depth=1
	v_cmp_gt_i32_e64 s0, s25, v40
	s_delay_alu instid0(VALU_DEP_1) | instskip(SKIP_1) | instid1(VALU_DEP_1)
	v_cndmask_b32_e64 v76, 0, v76, s0
	v_cmp_gt_i32_e64 s0, s25, v46
	v_cndmask_b32_e64 v75, 0, v75, s0
	v_cmp_gt_i32_e64 s0, s25, v45
	s_delay_alu instid0(VALU_DEP_1) | instskip(SKIP_1) | instid1(VALU_DEP_1)
	v_cndmask_b32_e64 v74, 0, v74, s0
	v_cmp_gt_i32_e64 s0, s25, v44
	v_cndmask_b32_e64 v73, 0, v73, s0
	v_cmp_gt_i32_e64 s0, s25, v43
	s_delay_alu instid0(VALU_DEP_1) | instskip(SKIP_1) | instid1(VALU_DEP_1)
	v_cndmask_b32_e64 v72, 0, v72, s0
	v_cmp_gt_i32_e64 s0, s25, v42
	v_cndmask_b32_e64 v71, 0, v71, s0
	v_cmp_gt_i32_e64 s0, s25, v41
	s_delay_alu instid0(VALU_DEP_1) | instskip(SKIP_1) | instid1(VALU_DEP_1)
	v_cndmask_b32_e64 v26, 0, v26, s0
	v_cmp_gt_i32_e64 s0, s25, v29
	v_cndmask_b32_e64 v27, 0, v27, s0
.LBB320_734:                            ;   in Loop: Header=BB320_424 Depth=1
	s_or_b32 exec_lo, exec_lo, s11
	global_load_b64 v[22:23], v[22:23], off offset:1280
	v_dual_mov_b32 v78, 0 :: v_dual_mov_b32 v77, 0
	s_mov_b32 s11, exec_lo
	s_wait_loadcnt 0x0
	v_and_b32_e32 v16, 0xff, v22
	s_delay_alu instid0(VALU_DEP_1)
	v_cmpx_ne_u16_e32 0, v16
	s_cbranch_execz .LBB320_740
; %bb.735:                              ;   in Loop: Header=BB320_424 Depth=1
	v_bfrev_b32_e32 v77, 1
	s_mov_b32 s14, exec_lo
	v_cmpx_ne_u16_e32 0x80, v16
	s_cbranch_execz .LBB320_739
; %bb.736:                              ;   in Loop: Header=BB320_424 Depth=1
	v_and_b32_e32 v16, 0x7f, v22
	v_mov_b32_e32 v77, 0x7f800001
	s_mov_b32 s15, exec_lo
	s_delay_alu instid0(VALU_DEP_2)
	v_cmpx_ne_u32_e32 0x7f, v16
	s_cbranch_execz .LBB320_738
; %bb.737:                              ;   in Loop: Header=BB320_424 Depth=1
	v_dual_lshrrev_b32 v25, 3, v16 :: v_dual_bitop2_b32 v24, 7, v22 bitop3:0x40
	v_cmp_gt_u32_e64 s0, 8, v16
	s_delay_alu instid0(VALU_DEP_2) | instskip(NEXT) | instid1(VALU_DEP_1)
	v_clz_i32_u32_e32 v24, v24
	v_min_u32_e32 v24, 32, v24
	s_delay_alu instid0(VALU_DEP_1) | instskip(SKIP_1) | instid1(VALU_DEP_1)
	v_subrev_nc_u32_e32 v77, 28, v24
	v_sub_nc_u32_e32 v24, 29, v24
	v_dual_cndmask_b32 v16, v25, v24, s0 :: v_dual_cndmask_b32 v24, 0, v77, s0
	s_delay_alu instid0(VALU_DEP_1) | instskip(NEXT) | instid1(VALU_DEP_2)
	v_lshl_add_u32 v16, v16, 23, 0x3c000000
	v_lshlrev_b64_e32 v[24:25], v24, v[22:23]
	v_lshlrev_b32_e32 v25, 24, v22
	s_delay_alu instid0(VALU_DEP_1) | instskip(NEXT) | instid1(VALU_DEP_3)
	v_and_b32_e32 v25, 0x80000000, v25
	v_lshlrev_b32_e32 v24, 20, v24
	s_delay_alu instid0(VALU_DEP_1) | instskip(NEXT) | instid1(VALU_DEP_1)
	v_and_b32_e32 v24, 0x700000, v24
	v_or3_b32 v77, v24, v25, v16
.LBB320_738:                            ;   in Loop: Header=BB320_424 Depth=1
	s_or_b32 exec_lo, exec_lo, s15
.LBB320_739:                            ;   in Loop: Header=BB320_424 Depth=1
	s_delay_alu instid0(SALU_CYCLE_1)
	s_or_b32 exec_lo, exec_lo, s14
.LBB320_740:                            ;   in Loop: Header=BB320_424 Depth=1
	s_delay_alu instid0(SALU_CYCLE_1) | instskip(SKIP_2) | instid1(VALU_DEP_1)
	s_or_b32 exec_lo, exec_lo, s11
	v_lshrrev_b16 v16, 8, v22
	s_mov_b32 s11, exec_lo
	v_cmpx_ne_u16_e32 0, v16
	s_cbranch_execz .LBB320_748
; %bb.741:                              ;   in Loop: Header=BB320_424 Depth=1
	v_bfrev_b32_e32 v78, 1
	s_mov_b32 s14, exec_lo
	v_cmpx_ne_u16_e32 0x80, v16
	s_cbranch_execz .LBB320_747
; %bb.742:                              ;   in Loop: Header=BB320_424 Depth=1
	v_and_b32_e32 v16, 0xffff, v16
	v_mov_b32_e32 v78, 0x7f800001
	s_mov_b32 s15, exec_lo
	s_delay_alu instid0(VALU_DEP_2) | instskip(NEXT) | instid1(VALU_DEP_1)
	v_and_b32_e32 v25, 0x7f, v16
	v_cmpx_ne_u32_e32 0x7f, v25
	s_cbranch_execz .LBB320_746
; %bb.743:                              ;   in Loop: Header=BB320_424 Depth=1
	v_dual_lshrrev_b32 v24, 3, v25 :: v_dual_bitop2_b32 v16, 7, v16 bitop3:0x40
	s_mov_b32 s16, exec_lo
	v_cmpx_gt_u32_e32 8, v25
; %bb.744:                              ;   in Loop: Header=BB320_424 Depth=1
	s_delay_alu instid0(VALU_DEP_2) | instskip(NEXT) | instid1(VALU_DEP_1)
	v_clz_i32_u32_e32 v24, v16
	v_min_u32_e32 v24, 32, v24
	s_delay_alu instid0(VALU_DEP_1) | instskip(NEXT) | instid1(VALU_DEP_1)
	v_subrev_nc_u32_e32 v25, 28, v24
	v_lshlrev_b64_e32 v[78:79], v25, v[16:17]
	s_delay_alu instid0(VALU_DEP_1)
	v_dual_sub_nc_u32 v24, 29, v24 :: v_dual_bitop2_b32 v16, 7, v78 bitop3:0x40
; %bb.745:                              ;   in Loop: Header=BB320_424 Depth=1
	s_or_b32 exec_lo, exec_lo, s16
	s_delay_alu instid0(VALU_DEP_1) | instskip(NEXT) | instid1(VALU_DEP_2)
	v_dual_lshlrev_b32 v25, 16, v22 :: v_dual_lshlrev_b32 v16, 20, v16
	v_lshl_add_u32 v24, v24, 23, 0x3c000000
	s_delay_alu instid0(VALU_DEP_2) | instskip(NEXT) | instid1(VALU_DEP_1)
	v_and_b32_e32 v25, 0x80000000, v25
	v_or3_b32 v78, v16, v25, v24
.LBB320_746:                            ;   in Loop: Header=BB320_424 Depth=1
	s_or_b32 exec_lo, exec_lo, s15
.LBB320_747:                            ;   in Loop: Header=BB320_424 Depth=1
	s_delay_alu instid0(SALU_CYCLE_1)
	s_or_b32 exec_lo, exec_lo, s14
.LBB320_748:                            ;   in Loop: Header=BB320_424 Depth=1
	s_delay_alu instid0(SALU_CYCLE_1) | instskip(SKIP_3) | instid1(VALU_DEP_2)
	s_or_b32 exec_lo, exec_lo, s11
	v_dual_lshrrev_b32 v24, 16, v22 :: v_dual_mov_b32 v80, 0
	v_mov_b32_e32 v79, 0
	s_mov_b32 s11, exec_lo
	v_and_b32_e32 v16, 0xff, v24
	s_delay_alu instid0(VALU_DEP_1)
	v_cmpx_ne_u16_e32 0, v16
	s_cbranch_execz .LBB320_756
; %bb.749:                              ;   in Loop: Header=BB320_424 Depth=1
	v_bfrev_b32_e32 v79, 1
	s_mov_b32 s14, exec_lo
	v_cmpx_ne_u16_e32 0x80, v16
	s_cbranch_execz .LBB320_755
; %bb.750:                              ;   in Loop: Header=BB320_424 Depth=1
	v_bfe_u32 v81, v22, 16, 7
	v_mov_b32_e32 v79, 0x7f800001
	s_mov_b32 s15, exec_lo
	s_delay_alu instid0(VALU_DEP_2)
	v_cmpx_ne_u32_e32 0x7f, v81
	s_cbranch_execz .LBB320_754
; %bb.751:                              ;   in Loop: Header=BB320_424 Depth=1
	v_dual_lshrrev_b32 v25, 3, v81 :: v_dual_bitop2_b32 v16, 7, v24 bitop3:0x40
	s_mov_b32 s16, exec_lo
	v_cmpx_gt_u32_e32 8, v81
; %bb.752:                              ;   in Loop: Header=BB320_424 Depth=1
	s_delay_alu instid0(VALU_DEP_2) | instskip(NEXT) | instid1(VALU_DEP_1)
	v_clz_i32_u32_e32 v25, v16
	v_min_u32_e32 v25, 32, v25
	s_delay_alu instid0(VALU_DEP_1) | instskip(NEXT) | instid1(VALU_DEP_1)
	v_subrev_nc_u32_e32 v79, 28, v25
	v_lshlrev_b64_e32 v[82:83], v79, v[16:17]
	s_delay_alu instid0(VALU_DEP_1)
	v_dual_sub_nc_u32 v25, 29, v25 :: v_dual_bitop2_b32 v16, 7, v82 bitop3:0x40
; %bb.753:                              ;   in Loop: Header=BB320_424 Depth=1
	s_or_b32 exec_lo, exec_lo, s16
	v_lshlrev_b32_e32 v24, 24, v24
	s_delay_alu instid0(VALU_DEP_2) | instskip(NEXT) | instid1(VALU_DEP_3)
	v_lshlrev_b32_e32 v16, 20, v16
	v_lshl_add_u32 v25, v25, 23, 0x3c000000
	s_delay_alu instid0(VALU_DEP_3) | instskip(NEXT) | instid1(VALU_DEP_1)
	v_and_b32_e32 v24, 0x80000000, v24
	v_or3_b32 v79, v16, v24, v25
.LBB320_754:                            ;   in Loop: Header=BB320_424 Depth=1
	s_or_b32 exec_lo, exec_lo, s15
.LBB320_755:                            ;   in Loop: Header=BB320_424 Depth=1
	s_delay_alu instid0(SALU_CYCLE_1)
	s_or_b32 exec_lo, exec_lo, s14
.LBB320_756:                            ;   in Loop: Header=BB320_424 Depth=1
	s_delay_alu instid0(SALU_CYCLE_1) | instskip(NEXT) | instid1(SALU_CYCLE_1)
	s_or_b32 exec_lo, exec_lo, s11
	s_mov_b32 s11, exec_lo
	v_cmpx_lt_u32_e32 0xffffff, v22
	s_cbranch_execz .LBB320_764
; %bb.757:                              ;   in Loop: Header=BB320_424 Depth=1
	v_lshrrev_b32_e32 v24, 24, v22
	v_bfrev_b32_e32 v80, 1
	s_mov_b32 s14, exec_lo
	s_delay_alu instid0(VALU_DEP_2)
	v_cmpx_ne_u32_e32 0x80, v24
	s_cbranch_execz .LBB320_763
; %bb.758:                              ;   in Loop: Header=BB320_424 Depth=1
	v_bfe_u32 v81, v22, 24, 7
	v_mov_b32_e32 v80, 0x7f800001
	s_mov_b32 s15, exec_lo
	s_delay_alu instid0(VALU_DEP_2)
	v_cmpx_ne_u32_e32 0x7f, v81
	s_cbranch_execz .LBB320_762
; %bb.759:                              ;   in Loop: Header=BB320_424 Depth=1
	v_dual_lshrrev_b32 v25, 3, v81 :: v_dual_bitop2_b32 v16, 7, v24 bitop3:0x40
	s_mov_b32 s16, exec_lo
	v_cmpx_gt_u32_e32 8, v81
; %bb.760:                              ;   in Loop: Header=BB320_424 Depth=1
	s_delay_alu instid0(VALU_DEP_2) | instskip(NEXT) | instid1(VALU_DEP_1)
	v_clz_i32_u32_e32 v25, v16
	v_min_u32_e32 v25, 32, v25
	s_delay_alu instid0(VALU_DEP_1) | instskip(NEXT) | instid1(VALU_DEP_1)
	v_subrev_nc_u32_e32 v80, 28, v25
	v_lshlrev_b64_e32 v[80:81], v80, v[16:17]
	s_delay_alu instid0(VALU_DEP_1)
	v_dual_sub_nc_u32 v25, 29, v25 :: v_dual_bitop2_b32 v16, 7, v80 bitop3:0x40
; %bb.761:                              ;   in Loop: Header=BB320_424 Depth=1
	s_or_b32 exec_lo, exec_lo, s16
	v_lshlrev_b32_e32 v24, 24, v24
	s_delay_alu instid0(VALU_DEP_2) | instskip(NEXT) | instid1(VALU_DEP_3)
	v_lshlrev_b32_e32 v16, 20, v16
	v_lshl_add_u32 v25, v25, 23, 0x3c000000
	s_delay_alu instid0(VALU_DEP_3) | instskip(NEXT) | instid1(VALU_DEP_1)
	v_and_b32_e32 v24, 0x80000000, v24
	v_or3_b32 v80, v16, v24, v25
.LBB320_762:                            ;   in Loop: Header=BB320_424 Depth=1
	s_or_b32 exec_lo, exec_lo, s15
.LBB320_763:                            ;   in Loop: Header=BB320_424 Depth=1
	s_delay_alu instid0(SALU_CYCLE_1)
	s_or_b32 exec_lo, exec_lo, s14
.LBB320_764:                            ;   in Loop: Header=BB320_424 Depth=1
	s_delay_alu instid0(SALU_CYCLE_1) | instskip(SKIP_4) | instid1(VALU_DEP_3)
	s_or_b32 exec_lo, exec_lo, s11
	v_and_b32_e32 v25, 0xff, v23
	v_dual_mov_b32 v16, v23 :: v_dual_mov_b32 v24, 0
	v_mov_b32_e32 v81, 0
	s_mov_b32 s11, exec_lo
	v_cmpx_ne_u16_e32 0, v25
	s_cbranch_execz .LBB320_770
; %bb.765:                              ;   in Loop: Header=BB320_424 Depth=1
	v_bfrev_b32_e32 v81, 1
	s_mov_b32 s14, exec_lo
	v_cmpx_ne_u16_e32 0x80, v25
	s_cbranch_execz .LBB320_769
; %bb.766:                              ;   in Loop: Header=BB320_424 Depth=1
	v_and_b32_e32 v25, 0x7f, v23
	v_mov_b32_e32 v81, 0x7f800001
	s_mov_b32 s15, exec_lo
	s_delay_alu instid0(VALU_DEP_2)
	v_cmpx_ne_u32_e32 0x7f, v25
	s_cbranch_execz .LBB320_768
; %bb.767:                              ;   in Loop: Header=BB320_424 Depth=1
	v_dual_lshrrev_b32 v82, 3, v25 :: v_dual_bitop2_b32 v81, 7, v23 bitop3:0x40
	v_cmp_gt_u32_e64 s0, 8, v25
	s_delay_alu instid0(VALU_DEP_2) | instskip(NEXT) | instid1(VALU_DEP_1)
	v_clz_i32_u32_e32 v81, v81
	v_min_u32_e32 v81, 32, v81
	s_delay_alu instid0(VALU_DEP_1) | instskip(SKIP_1) | instid1(VALU_DEP_1)
	v_subrev_nc_u32_e32 v83, 28, v81
	v_sub_nc_u32_e32 v81, 29, v81
	v_dual_cndmask_b32 v25, v82, v81, s0 :: v_dual_cndmask_b32 v81, 0, v83, s0
	s_delay_alu instid0(VALU_DEP_1) | instskip(NEXT) | instid1(VALU_DEP_2)
	v_lshl_add_u32 v25, v25, 23, 0x3c000000
	v_lshlrev_b64_e32 v[82:83], v81, v[16:17]
	v_lshlrev_b32_e32 v81, 24, v16
	s_delay_alu instid0(VALU_DEP_1) | instskip(NEXT) | instid1(VALU_DEP_3)
	v_and_b32_e32 v81, 0x80000000, v81
	v_lshlrev_b32_e32 v82, 20, v82
	s_delay_alu instid0(VALU_DEP_1) | instskip(NEXT) | instid1(VALU_DEP_1)
	v_and_b32_e32 v82, 0x700000, v82
	v_or3_b32 v81, v82, v81, v25
.LBB320_768:                            ;   in Loop: Header=BB320_424 Depth=1
	s_or_b32 exec_lo, exec_lo, s15
.LBB320_769:                            ;   in Loop: Header=BB320_424 Depth=1
	s_delay_alu instid0(SALU_CYCLE_1)
	s_or_b32 exec_lo, exec_lo, s14
.LBB320_770:                            ;   in Loop: Header=BB320_424 Depth=1
	s_delay_alu instid0(SALU_CYCLE_1) | instskip(SKIP_2) | instid1(VALU_DEP_1)
	s_or_b32 exec_lo, exec_lo, s11
	v_lshrrev_b16 v25, 8, v16
	s_mov_b32 s11, exec_lo
	v_cmpx_ne_u16_e32 0, v25
	s_cbranch_execz .LBB320_778
; %bb.771:                              ;   in Loop: Header=BB320_424 Depth=1
	v_bfrev_b32_e32 v24, 1
	s_mov_b32 s14, exec_lo
	v_cmpx_ne_u16_e32 0x80, v25
	s_cbranch_execz .LBB320_777
; %bb.772:                              ;   in Loop: Header=BB320_424 Depth=1
	v_and_b32_e32 v25, 0xffff, v25
	v_mov_b32_e32 v24, 0x7f800001
	s_mov_b32 s15, exec_lo
	s_delay_alu instid0(VALU_DEP_2) | instskip(NEXT) | instid1(VALU_DEP_1)
	v_and_b32_e32 v83, 0x7f, v25
	v_cmpx_ne_u32_e32 0x7f, v83
	s_cbranch_execz .LBB320_776
; %bb.773:                              ;   in Loop: Header=BB320_424 Depth=1
	v_dual_mov_b32 v25, v17 :: v_dual_bitop2_b32 v24, 7, v25 bitop3:0x40
	v_lshrrev_b32_e32 v82, 3, v83
	s_mov_b32 s16, exec_lo
	v_cmpx_gt_u32_e32 8, v83
; %bb.774:                              ;   in Loop: Header=BB320_424 Depth=1
	s_delay_alu instid0(VALU_DEP_3) | instskip(NEXT) | instid1(VALU_DEP_1)
	v_clz_i32_u32_e32 v82, v24
	v_min_u32_e32 v82, 32, v82
	s_delay_alu instid0(VALU_DEP_1) | instskip(NEXT) | instid1(VALU_DEP_1)
	v_subrev_nc_u32_e32 v83, 28, v82
	v_lshlrev_b64_e32 v[24:25], v83, v[24:25]
	s_delay_alu instid0(VALU_DEP_1)
	v_dual_sub_nc_u32 v82, 29, v82 :: v_dual_bitop2_b32 v24, 7, v24 bitop3:0x40
; %bb.775:                              ;   in Loop: Header=BB320_424 Depth=1
	s_or_b32 exec_lo, exec_lo, s16
	v_lshlrev_b32_e32 v16, 16, v16
	s_delay_alu instid0(VALU_DEP_2) | instskip(NEXT) | instid1(VALU_DEP_3)
	v_lshlrev_b32_e32 v24, 20, v24
	v_lshl_add_u32 v25, v82, 23, 0x3c000000
	s_delay_alu instid0(VALU_DEP_3) | instskip(NEXT) | instid1(VALU_DEP_1)
	v_and_b32_e32 v16, 0x80000000, v16
	v_or3_b32 v24, v24, v16, v25
.LBB320_776:                            ;   in Loop: Header=BB320_424 Depth=1
	s_or_b32 exec_lo, exec_lo, s15
.LBB320_777:                            ;   in Loop: Header=BB320_424 Depth=1
	s_delay_alu instid0(SALU_CYCLE_1)
	s_or_b32 exec_lo, exec_lo, s14
.LBB320_778:                            ;   in Loop: Header=BB320_424 Depth=1
	s_delay_alu instid0(SALU_CYCLE_1) | instskip(SKIP_3) | instid1(VALU_DEP_2)
	s_or_b32 exec_lo, exec_lo, s11
	v_dual_lshrrev_b32 v83, 16, v23 :: v_dual_mov_b32 v25, 0
	v_mov_b32_e32 v82, 0
	s_mov_b32 s11, exec_lo
	v_and_b32_e32 v16, 0xff, v83
	s_delay_alu instid0(VALU_DEP_1)
	v_cmpx_ne_u16_e32 0, v16
	s_cbranch_execz .LBB320_786
; %bb.779:                              ;   in Loop: Header=BB320_424 Depth=1
	v_bfrev_b32_e32 v82, 1
	s_mov_b32 s14, exec_lo
	v_cmpx_ne_u16_e32 0x80, v16
	s_cbranch_execz .LBB320_785
; %bb.780:                              ;   in Loop: Header=BB320_424 Depth=1
	v_bfe_u32 v84, v23, 16, 7
	v_mov_b32_e32 v82, 0x7f800001
	s_mov_b32 s15, exec_lo
	s_delay_alu instid0(VALU_DEP_2)
	v_cmpx_ne_u32_e32 0x7f, v84
	s_cbranch_execz .LBB320_784
; %bb.781:                              ;   in Loop: Header=BB320_424 Depth=1
	v_dual_lshrrev_b32 v82, 3, v84 :: v_dual_bitop2_b32 v16, 7, v83 bitop3:0x40
	s_mov_b32 s16, exec_lo
	v_cmpx_gt_u32_e32 8, v84
; %bb.782:                              ;   in Loop: Header=BB320_424 Depth=1
	s_delay_alu instid0(VALU_DEP_2) | instskip(NEXT) | instid1(VALU_DEP_1)
	v_clz_i32_u32_e32 v82, v16
	v_min_u32_e32 v82, 32, v82
	s_delay_alu instid0(VALU_DEP_1) | instskip(NEXT) | instid1(VALU_DEP_1)
	v_subrev_nc_u32_e32 v84, 28, v82
	v_lshlrev_b64_e32 v[84:85], v84, v[16:17]
	s_delay_alu instid0(VALU_DEP_1)
	v_dual_sub_nc_u32 v82, 29, v82 :: v_dual_bitop2_b32 v16, 7, v84 bitop3:0x40
; %bb.783:                              ;   in Loop: Header=BB320_424 Depth=1
	s_or_b32 exec_lo, exec_lo, s16
	s_delay_alu instid0(VALU_DEP_1) | instskip(NEXT) | instid1(VALU_DEP_2)
	v_dual_lshlrev_b32 v83, 24, v83 :: v_dual_lshlrev_b32 v16, 20, v16
	v_lshl_add_u32 v82, v82, 23, 0x3c000000
	s_delay_alu instid0(VALU_DEP_2) | instskip(NEXT) | instid1(VALU_DEP_1)
	v_and_b32_e32 v83, 0x80000000, v83
	v_or3_b32 v82, v16, v83, v82
.LBB320_784:                            ;   in Loop: Header=BB320_424 Depth=1
	s_or_b32 exec_lo, exec_lo, s15
.LBB320_785:                            ;   in Loop: Header=BB320_424 Depth=1
	s_delay_alu instid0(SALU_CYCLE_1)
	s_or_b32 exec_lo, exec_lo, s14
.LBB320_786:                            ;   in Loop: Header=BB320_424 Depth=1
	s_delay_alu instid0(SALU_CYCLE_1) | instskip(NEXT) | instid1(SALU_CYCLE_1)
	s_or_b32 exec_lo, exec_lo, s11
	s_mov_b32 s11, exec_lo
	v_cmpx_lt_u64_e64 s[2:3], v[22:23]
	s_cbranch_execz .LBB320_794
; %bb.787:                              ;   in Loop: Header=BB320_424 Depth=1
	v_lshrrev_b32_e32 v22, 24, v23
	v_bfrev_b32_e32 v25, 1
	s_mov_b32 s14, exec_lo
	s_delay_alu instid0(VALU_DEP_2)
	v_cmpx_ne_u32_e32 0x80, v22
	s_cbranch_execz .LBB320_793
; %bb.788:                              ;   in Loop: Header=BB320_424 Depth=1
	v_bfe_u32 v83, v23, 24, 7
	v_mov_b32_e32 v25, 0x7f800001
	s_mov_b32 s15, exec_lo
	s_delay_alu instid0(VALU_DEP_2)
	v_cmpx_ne_u32_e32 0x7f, v83
	s_cbranch_execz .LBB320_792
; %bb.789:                              ;   in Loop: Header=BB320_424 Depth=1
	v_dual_lshrrev_b32 v23, 3, v83 :: v_dual_bitop2_b32 v16, 7, v22 bitop3:0x40
	s_mov_b32 s16, exec_lo
	v_cmpx_gt_u32_e32 8, v83
; %bb.790:                              ;   in Loop: Header=BB320_424 Depth=1
	s_delay_alu instid0(VALU_DEP_2) | instskip(NEXT) | instid1(VALU_DEP_1)
	v_clz_i32_u32_e32 v23, v16
	v_min_u32_e32 v23, 32, v23
	s_delay_alu instid0(VALU_DEP_1) | instskip(NEXT) | instid1(VALU_DEP_1)
	v_subrev_nc_u32_e32 v25, 28, v23
	v_lshlrev_b64_e32 v[84:85], v25, v[16:17]
	s_delay_alu instid0(VALU_DEP_1)
	v_dual_sub_nc_u32 v23, 29, v23 :: v_dual_bitop2_b32 v16, 7, v84 bitop3:0x40
; %bb.791:                              ;   in Loop: Header=BB320_424 Depth=1
	s_or_b32 exec_lo, exec_lo, s16
	s_delay_alu instid0(VALU_DEP_1) | instskip(NEXT) | instid1(VALU_DEP_2)
	v_dual_lshlrev_b32 v22, 24, v22 :: v_dual_lshlrev_b32 v16, 20, v16
	v_lshl_add_u32 v23, v23, 23, 0x3c000000
	s_delay_alu instid0(VALU_DEP_2) | instskip(NEXT) | instid1(VALU_DEP_1)
	v_and_b32_e32 v22, 0x80000000, v22
	v_or3_b32 v25, v16, v22, v23
.LBB320_792:                            ;   in Loop: Header=BB320_424 Depth=1
	s_or_b32 exec_lo, exec_lo, s15
.LBB320_793:                            ;   in Loop: Header=BB320_424 Depth=1
	s_delay_alu instid0(SALU_CYCLE_1)
	s_or_b32 exec_lo, exec_lo, s14
.LBB320_794:                            ;   in Loop: Header=BB320_424 Depth=1
	s_delay_alu instid0(SALU_CYCLE_1)
	s_or_b32 exec_lo, exec_lo, s11
	v_fma_mixlo_bf16 v16, s6, v24, 0
	v_fma_mixlo_bf16 v22, s6, v81, 0
	;; [unrolled: 1-line block ×8, first 2 shown]
	s_and_saveexec_b32 s0, vcc_lo
	s_cbranch_execz .LBB320_423
; %bb.795:                              ;   in Loop: Header=BB320_424 Depth=1
	v_cmp_gt_i32_e32 vcc_lo, s25, v40
	v_cndmask_b32_e32 v77, 0, v77, vcc_lo
	v_cmp_gt_i32_e32 vcc_lo, s25, v46
	v_cndmask_b32_e32 v78, 0, v78, vcc_lo
	v_cmp_gt_i32_e32 vcc_lo, s25, v45
	v_cndmask_b32_e32 v79, 0, v79, vcc_lo
	v_cmp_gt_i32_e32 vcc_lo, s25, v44
	v_cndmask_b32_e32 v24, 0, v24, vcc_lo
	v_cmp_gt_i32_e32 vcc_lo, s25, v43
	v_cndmask_b32_e32 v22, 0, v22, vcc_lo
	v_cmp_gt_i32_e32 vcc_lo, s25, v42
	v_cndmask_b32_e32 v16, 0, v16, vcc_lo
	v_cmp_gt_i32_e32 vcc_lo, s25, v41
	v_cndmask_b32_e32 v23, 0, v23, vcc_lo
	v_cmp_gt_i32_e32 vcc_lo, s25, v29
	v_cndmask_b32_e32 v25, 0, v25, vcc_lo
	s_branch .LBB320_423
.LBB320_796:
	s_or_b32 exec_lo, exec_lo, s9
.LBB320_797:
	s_delay_alu instid0(SALU_CYCLE_1) | instskip(SKIP_4) | instid1(VALU_DEP_2)
	s_or_b32 exec_lo, exec_lo, s1
	v_lshl_add_u32 v2, v28, 2, 0x1a0
	v_and_b32_e32 v3, 0x3c0, v0
	s_mov_b32 s0, exec_lo
	s_barrier_signal -1
	v_mad_u32_u24 v1, 0x300, v1, v2
	s_barrier_wait -1
	v_cmpx_eq_u32_e32 64, v3
	s_cbranch_execz .LBB320_799
; %bb.798:
	s_delay_alu instid0(VALU_DEP_2)
	v_add_nc_u32_e32 v3, 0xfffffa00, v1
	v_add_nc_u32_e32 v4, 0xfffffa80, v1
	;; [unrolled: 1-line block ×6, first 2 shown]
	ds_store_b32 v3, v14
	ds_store_b32 v4, v15
	ds_store_b32 v5, v12
	ds_store_b32 v6, v13
	ds_store_b32 v7, v10
	ds_store_b32 v8, v11
.LBB320_799:
	s_or_b32 exec_lo, exec_lo, s0
	s_delay_alu instid0(SALU_CYCLE_1)
	s_mov_b32 s0, exec_lo
	s_wait_dscnt 0x0
	s_barrier_signal -1
	s_barrier_wait -1
	v_cmpx_gt_u32_e32 64, v0
	s_cbranch_execz .LBB320_801
; %bb.800:
	ds_load_2addr_b32 v[4:5], v1 offset1:32
	ds_load_2addr_b32 v[6:7], v1 offset0:64 offset1:96
	ds_load_2addr_b32 v[8:9], v1 offset0:128 offset1:160
	s_wait_dscnt 0x2
	v_pk_add_f32 v[14:15], v[14:15], v[4:5]
	s_wait_dscnt 0x1
	v_pk_add_f32 v[12:13], v[12:13], v[6:7]
	;; [unrolled: 2-line block ×3, first 2 shown]
.LBB320_801:
	s_or_b32 exec_lo, exec_lo, s0
	v_and_b32_e32 v3, 0x3e0, v0
	s_mov_b32 s0, exec_lo
	s_barrier_signal -1
	s_barrier_wait -1
	s_delay_alu instid0(VALU_DEP_1)
	v_cmpx_eq_u32_e32 32, v3
	s_cbranch_execz .LBB320_803
; %bb.802:
	ds_store_2addr_b32 v2, v14, v15 offset1:32
	ds_store_2addr_b32 v2, v12, v13 offset0:64 offset1:96
	ds_store_2addr_b32 v2, v10, v11 offset0:128 offset1:160
.LBB320_803:
	s_or_b32 exec_lo, exec_lo, s0
	v_cmp_gt_u32_e32 vcc_lo, 32, v0
	s_wait_dscnt 0x0
	s_barrier_signal -1
	s_barrier_wait -1
	s_and_saveexec_b32 s0, vcc_lo
	s_cbranch_execz .LBB320_805
; %bb.804:
	ds_load_2addr_b32 v[2:3], v1 offset1:32
	ds_load_2addr_b32 v[4:5], v1 offset0:64 offset1:96
	ds_load_2addr_b32 v[6:7], v1 offset0:128 offset1:160
	s_wait_dscnt 0x2
	v_pk_add_f32 v[14:15], v[14:15], v[2:3]
	s_wait_dscnt 0x1
	v_pk_add_f32 v[12:13], v[12:13], v[4:5]
	;; [unrolled: 2-line block ×3, first 2 shown]
.LBB320_805:
	s_or_b32 exec_lo, exec_lo, s0
	s_barrier_signal -1
	s_barrier_wait -1
	s_and_saveexec_b32 s0, vcc_lo
	s_cbranch_execz .LBB320_807
; %bb.806:
	s_mul_i32 s1, s24, s8
	s_bfe_u32 s7, ttmp6, 0x40014
	s_mul_i32 s1, s1, s23
	s_mul_i32 s0, s8, s12
	;; [unrolled: 1-line block ×3, first 2 shown]
	s_lshr_b32 s6, ttmp7, 16
	s_ashr_i32 s3, s2, 31
	s_add_co_i32 s7, s7, 1
	s_lshl_b64 s[2:3], s[2:3], 1
	s_ashr_i32 s1, s0, 31
	s_wait_kmcnt 0x0
	s_add_nc_u64 s[2:3], s[4:5], s[2:3]
	s_mul_i32 s4, s6, s7
	s_bfe_u32 s5, ttmp6, 0x40008
	s_lshl_b64 s[0:1], s[0:1], 1
	s_add_co_i32 s5, s5, s4
	s_cmp_eq_u32 s22, 0
	s_add_nc_u64 s[0:1], s[2:3], s[0:1]
	s_cselect_b32 s2, s6, s5
	s_mov_b32 s3, 0
	s_mulk_i32 s2, 0x180
	s_delay_alu instid0(SALU_CYCLE_1) | instskip(NEXT) | instid1(SALU_CYCLE_1)
	s_add_nc_u64 s[0:1], s[0:1], s[2:3]
	v_cvt_pk_bf16_f32 v1, v14, s0
	v_cvt_pk_bf16_f32 v2, v15, s0
	;; [unrolled: 1-line block ×6, first 2 shown]
	s_clause 0x5
	global_store_b16 v0, v1, s[0:1] scale_offset
	global_store_b16 v0, v2, s[0:1] offset:64 scale_offset
	global_store_b16 v0, v3, s[0:1] offset:128 scale_offset
	;; [unrolled: 1-line block ×5, first 2 shown]
.LBB320_807:
	s_sendmsg sendmsg(MSG_DEALLOC_VGPRS)
	s_endpgm
	.section	.rodata,"a",@progbits
	.p2align	6, 0x0
	.amdhsa_kernel _ZN4vllm25paged_attention_v1_kernelI14__hip_bfloat16hLi192ELi8ELi128ELNS_18Fp8KVCacheDataTypeE1ELb0EEEvPT_PKS3_PKT0_S9_ifPKiSB_iPKfiiiSD_SD_iiiii
		.amdhsa_group_segment_fixed_size 416
		.amdhsa_private_segment_fixed_size 0
		.amdhsa_kernarg_size 384
		.amdhsa_user_sgpr_count 2
		.amdhsa_user_sgpr_dispatch_ptr 0
		.amdhsa_user_sgpr_queue_ptr 0
		.amdhsa_user_sgpr_kernarg_segment_ptr 1
		.amdhsa_user_sgpr_dispatch_id 0
		.amdhsa_user_sgpr_kernarg_preload_length 0
		.amdhsa_user_sgpr_kernarg_preload_offset 0
		.amdhsa_user_sgpr_private_segment_size 0
		.amdhsa_wavefront_size32 1
		.amdhsa_uses_dynamic_stack 0
		.amdhsa_enable_private_segment 0
		.amdhsa_system_sgpr_workgroup_id_x 1
		.amdhsa_system_sgpr_workgroup_id_y 1
		.amdhsa_system_sgpr_workgroup_id_z 1
		.amdhsa_system_sgpr_workgroup_info 0
		.amdhsa_system_vgpr_workitem_id 0
		.amdhsa_next_free_vgpr 116
		.amdhsa_next_free_sgpr 31
		.amdhsa_named_barrier_count 0
		.amdhsa_reserve_vcc 1
		.amdhsa_float_round_mode_32 0
		.amdhsa_float_round_mode_16_64 0
		.amdhsa_float_denorm_mode_32 3
		.amdhsa_float_denorm_mode_16_64 3
		.amdhsa_fp16_overflow 0
		.amdhsa_memory_ordered 1
		.amdhsa_forward_progress 1
		.amdhsa_inst_pref_size 228
		.amdhsa_round_robin_scheduling 0
		.amdhsa_exception_fp_ieee_invalid_op 0
		.amdhsa_exception_fp_denorm_src 0
		.amdhsa_exception_fp_ieee_div_zero 0
		.amdhsa_exception_fp_ieee_overflow 0
		.amdhsa_exception_fp_ieee_underflow 0
		.amdhsa_exception_fp_ieee_inexact 0
		.amdhsa_exception_int_div_zero 0
	.end_amdhsa_kernel
	.section	.text._ZN4vllm25paged_attention_v1_kernelI14__hip_bfloat16hLi192ELi8ELi128ELNS_18Fp8KVCacheDataTypeE1ELb0EEEvPT_PKS3_PKT0_S9_ifPKiSB_iPKfiiiSD_SD_iiiii,"axG",@progbits,_ZN4vllm25paged_attention_v1_kernelI14__hip_bfloat16hLi192ELi8ELi128ELNS_18Fp8KVCacheDataTypeE1ELb0EEEvPT_PKS3_PKT0_S9_ifPKiSB_iPKfiiiSD_SD_iiiii,comdat
.Lfunc_end320:
	.size	_ZN4vllm25paged_attention_v1_kernelI14__hip_bfloat16hLi192ELi8ELi128ELNS_18Fp8KVCacheDataTypeE1ELb0EEEvPT_PKS3_PKT0_S9_ifPKiSB_iPKfiiiSD_SD_iiiii, .Lfunc_end320-_ZN4vllm25paged_attention_v1_kernelI14__hip_bfloat16hLi192ELi8ELi128ELNS_18Fp8KVCacheDataTypeE1ELb0EEEvPT_PKS3_PKT0_S9_ifPKiSB_iPKfiiiSD_SD_iiiii
                                        ; -- End function
	.set _ZN4vllm25paged_attention_v1_kernelI14__hip_bfloat16hLi192ELi8ELi128ELNS_18Fp8KVCacheDataTypeE1ELb0EEEvPT_PKS3_PKT0_S9_ifPKiSB_iPKfiiiSD_SD_iiiii.num_vgpr, 116
	.set _ZN4vllm25paged_attention_v1_kernelI14__hip_bfloat16hLi192ELi8ELi128ELNS_18Fp8KVCacheDataTypeE1ELb0EEEvPT_PKS3_PKT0_S9_ifPKiSB_iPKfiiiSD_SD_iiiii.num_agpr, 0
	.set _ZN4vllm25paged_attention_v1_kernelI14__hip_bfloat16hLi192ELi8ELi128ELNS_18Fp8KVCacheDataTypeE1ELb0EEEvPT_PKS3_PKT0_S9_ifPKiSB_iPKfiiiSD_SD_iiiii.numbered_sgpr, 31
	.set _ZN4vllm25paged_attention_v1_kernelI14__hip_bfloat16hLi192ELi8ELi128ELNS_18Fp8KVCacheDataTypeE1ELb0EEEvPT_PKS3_PKT0_S9_ifPKiSB_iPKfiiiSD_SD_iiiii.num_named_barrier, 0
	.set _ZN4vllm25paged_attention_v1_kernelI14__hip_bfloat16hLi192ELi8ELi128ELNS_18Fp8KVCacheDataTypeE1ELb0EEEvPT_PKS3_PKT0_S9_ifPKiSB_iPKfiiiSD_SD_iiiii.private_seg_size, 0
	.set _ZN4vllm25paged_attention_v1_kernelI14__hip_bfloat16hLi192ELi8ELi128ELNS_18Fp8KVCacheDataTypeE1ELb0EEEvPT_PKS3_PKT0_S9_ifPKiSB_iPKfiiiSD_SD_iiiii.uses_vcc, 1
	.set _ZN4vllm25paged_attention_v1_kernelI14__hip_bfloat16hLi192ELi8ELi128ELNS_18Fp8KVCacheDataTypeE1ELb0EEEvPT_PKS3_PKT0_S9_ifPKiSB_iPKfiiiSD_SD_iiiii.uses_flat_scratch, 0
	.set _ZN4vllm25paged_attention_v1_kernelI14__hip_bfloat16hLi192ELi8ELi128ELNS_18Fp8KVCacheDataTypeE1ELb0EEEvPT_PKS3_PKT0_S9_ifPKiSB_iPKfiiiSD_SD_iiiii.has_dyn_sized_stack, 0
	.set _ZN4vllm25paged_attention_v1_kernelI14__hip_bfloat16hLi192ELi8ELi128ELNS_18Fp8KVCacheDataTypeE1ELb0EEEvPT_PKS3_PKT0_S9_ifPKiSB_iPKfiiiSD_SD_iiiii.has_recursion, 0
	.set _ZN4vllm25paged_attention_v1_kernelI14__hip_bfloat16hLi192ELi8ELi128ELNS_18Fp8KVCacheDataTypeE1ELb0EEEvPT_PKS3_PKT0_S9_ifPKiSB_iPKfiiiSD_SD_iiiii.has_indirect_call, 0
	.section	.AMDGPU.csdata,"",@progbits
; Kernel info:
; codeLenInByte = 29156
; TotalNumSgprs: 33
; NumVgprs: 116
; ScratchSize: 0
; MemoryBound: 0
; FloatMode: 240
; IeeeMode: 1
; LDSByteSize: 416 bytes/workgroup (compile time only)
; SGPRBlocks: 0
; VGPRBlocks: 7
; NumSGPRsForWavesPerEU: 33
; NumVGPRsForWavesPerEU: 116
; NamedBarCnt: 0
; Occupancy: 8
; WaveLimiterHint : 1
; COMPUTE_PGM_RSRC2:SCRATCH_EN: 0
; COMPUTE_PGM_RSRC2:USER_SGPR: 2
; COMPUTE_PGM_RSRC2:TRAP_HANDLER: 0
; COMPUTE_PGM_RSRC2:TGID_X_EN: 1
; COMPUTE_PGM_RSRC2:TGID_Y_EN: 1
; COMPUTE_PGM_RSRC2:TGID_Z_EN: 1
; COMPUTE_PGM_RSRC2:TIDIG_COMP_CNT: 0
	.section	.text._ZN4vllm25paged_attention_v1_kernelI14__hip_bfloat16hLi256ELi8ELi128ELNS_18Fp8KVCacheDataTypeE1ELb0EEEvPT_PKS3_PKT0_S9_ifPKiSB_iPKfiiiSD_SD_iiiii,"axG",@progbits,_ZN4vllm25paged_attention_v1_kernelI14__hip_bfloat16hLi256ELi8ELi128ELNS_18Fp8KVCacheDataTypeE1ELb0EEEvPT_PKS3_PKT0_S9_ifPKiSB_iPKfiiiSD_SD_iiiii,comdat
	.protected	_ZN4vllm25paged_attention_v1_kernelI14__hip_bfloat16hLi256ELi8ELi128ELNS_18Fp8KVCacheDataTypeE1ELb0EEEvPT_PKS3_PKT0_S9_ifPKiSB_iPKfiiiSD_SD_iiiii ; -- Begin function _ZN4vllm25paged_attention_v1_kernelI14__hip_bfloat16hLi256ELi8ELi128ELNS_18Fp8KVCacheDataTypeE1ELb0EEEvPT_PKS3_PKT0_S9_ifPKiSB_iPKfiiiSD_SD_iiiii
	.globl	_ZN4vllm25paged_attention_v1_kernelI14__hip_bfloat16hLi256ELi8ELi128ELNS_18Fp8KVCacheDataTypeE1ELb0EEEvPT_PKS3_PKT0_S9_ifPKiSB_iPKfiiiSD_SD_iiiii
	.p2align	8
	.type	_ZN4vllm25paged_attention_v1_kernelI14__hip_bfloat16hLi256ELi8ELi128ELNS_18Fp8KVCacheDataTypeE1ELb0EEEvPT_PKS3_PKT0_S9_ifPKiSB_iPKfiiiSD_SD_iiiii,@function
_ZN4vllm25paged_attention_v1_kernelI14__hip_bfloat16hLi256ELi8ELi128ELNS_18Fp8KVCacheDataTypeE1ELb0EEEvPT_PKS3_PKT0_S9_ifPKiSB_iPKfiiiSD_SD_iiiii: ; @_ZN4vllm25paged_attention_v1_kernelI14__hip_bfloat16hLi256ELi8ELi128ELNS_18Fp8KVCacheDataTypeE1ELb0EEEvPT_PKS3_PKT0_S9_ifPKiSB_iPKfiiiSD_SD_iiiii
; %bb.0:
	s_load_b64 s[18:19], s[0:1], 0x20
	s_bfe_u32 s3, ttmp6, 0x4000c
	s_bfe_u32 s5, ttmp6, 0x40010
	s_and_b32 s4, ttmp7, 0xffff
	s_add_co_i32 s3, s3, 1
	s_add_co_i32 s5, s5, 1
	s_and_b32 s2, ttmp6, 15
	s_bfe_u32 s6, ttmp6, 0x40004
	s_mul_i32 s3, ttmp9, s3
	s_mul_i32 s5, s4, s5
	s_getreg_b32 s20, hwreg(HW_REG_IB_STS2, 6, 4)
	s_add_co_i32 s2, s2, s3
	s_add_co_i32 s3, s6, s5
	s_cmp_eq_u32 s20, 0
	v_mov_b32_e32 v22, v0
	s_cselect_b32 s22, s4, s3
	s_cselect_b32 s4, ttmp9, s2
	s_clause 0x1
	s_load_b32 s21, s[0:1], 0x80
	s_load_b64 s[6:7], s[0:1], 0x30
	s_wait_kmcnt 0x0
	s_abs_i32 s2, s18
	s_delay_alu instid0(SALU_CYCLE_1) | instskip(SKIP_1) | instid1(SALU_CYCLE_2)
	s_cvt_f32_u32 s3, s2
	s_sub_co_i32 s5, 0, s2
	v_rcp_iflag_f32_e32 v0, s3
	v_nop
	s_delay_alu instid0(TRANS32_DEP_1) | instskip(SKIP_2) | instid1(SALU_CYCLE_3)
	v_readfirstlane_b32 s3, v0
	s_abs_i32 s8, s21
	s_mul_f32 s3, s3, 0x4f7ffffe
	s_cvt_u32_f32 s3, s3
	s_delay_alu instid0(SALU_CYCLE_3) | instskip(NEXT) | instid1(SALU_CYCLE_1)
	s_mul_i32 s5, s5, s3
	s_mul_hi_u32 s5, s3, s5
	s_delay_alu instid0(SALU_CYCLE_1) | instskip(SKIP_4) | instid1(SALU_CYCLE_1)
	s_add_co_i32 s3, s3, s5
	s_xor_b32 s5, s21, s18
	s_mul_hi_u32 s3, s8, s3
	s_ashr_i32 s5, s5, 31
	s_mul_i32 s9, s3, s2
	s_sub_co_i32 s8, s8, s9
	s_add_co_i32 s9, s3, 1
	s_sub_co_i32 s10, s8, s2
	s_cmp_ge_u32 s8, s2
	s_cselect_b32 s3, s9, s3
	s_cselect_b32 s8, s10, s8
	s_add_co_i32 s9, s3, 1
	s_cmp_ge_u32 s8, s2
	s_cselect_b32 s2, s9, s3
	s_load_b64 s[8:9], s[0:1], 0x40
	s_xor_b32 s2, s2, s5
	s_mov_b32 s3, 0
	s_sub_co_i32 s14, s2, s5
	s_mov_b32 s13, s3
	s_abs_i32 s11, s14
	s_mov_b32 s18, s3
	s_cvt_f32_u32 s2, s11
	s_delay_alu instid0(SALU_CYCLE_3) | instskip(SKIP_1) | instid1(TRANS32_DEP_1)
	v_rcp_iflag_f32_e32 v0, s2
	v_nop
	v_readfirstlane_b32 s2, v0
	s_mul_f32 s2, s2, 0x4f7ffffe
	s_delay_alu instid0(SALU_CYCLE_3) | instskip(SKIP_1) | instid1(SALU_CYCLE_2)
	s_cvt_u32_f32 s5, s2
	s_sub_co_i32 s2, 0, s11
	s_mul_i32 s2, s2, s5
	s_delay_alu instid0(SALU_CYCLE_1)
	s_mul_hi_u32 s10, s5, s2
	s_abs_i32 s2, s4
	s_add_co_i32 s12, s5, s10
	s_wait_kmcnt 0x0
	s_cmp_eq_u64 s[8:9], 0
	s_cbranch_scc1 .LBB321_2
; %bb.1:
	s_ashr_i32 s5, s4, 31
	s_delay_alu instid0(SALU_CYCLE_1) | instskip(NEXT) | instid1(SALU_CYCLE_1)
	s_lshl_b64 s[16:17], s[4:5], 2
	s_add_nc_u64 s[8:9], s[8:9], s[16:17]
	s_load_b32 s18, s[8:9], 0x0
.LBB321_2:
	s_load_b32 s23, s[6:7], s22 offset:0x0 scale_offset
	s_wait_xcnt 0x0
	s_load_b96 s[8:10], s[0:1], 0x48
	v_and_b32_e32 v0, 3, v22
	s_ashr_i32 s5, s4, 31
	s_ashr_i32 s14, s14, 31
	s_mul_u64 s[6:7], s[2:3], s[12:13]
	s_lshl_b32 s12, s4, 8
	s_mov_b32 s3, exec_lo
	v_cmpx_gt_u32_e32 0x80, v22
	s_cbranch_execz .LBB321_4
; %bb.3:
	s_load_b64 s[16:17], s[0:1], 0x8
	s_wait_kmcnt 0x0
	s_mul_i32 s24, s8, s22
	s_ashr_i32 s13, s12, 31
	s_ashr_i32 s25, s24, 31
	v_and_b32_e32 v2, 0x3fc, v22
	s_lshl_b64 s[24:25], s[24:25], 1
	s_delay_alu instid0(VALU_DEP_1) | instskip(SKIP_2) | instid1(SALU_CYCLE_1)
	v_lshl_add_u32 v2, v0, 7, v2
	s_add_nc_u64 s[16:17], s[16:17], s[24:25]
	s_lshl_b64 s[24:25], s[12:13], 1
	s_add_nc_u64 s[16:17], s[16:17], s[24:25]
	global_load_b32 v1, v22, s[16:17] scale_offset
	s_wait_loadcnt 0x0
	ds_store_b32 v2, v1
.LBB321_4:
	s_or_b32 exec_lo, exec_lo, s3
	s_wait_kmcnt 0x0
	s_add_co_i32 s3, s23, 7
	s_load_b32 s4, s[0:1], 0x38
	s_ashr_i32 s6, s3, 31
	s_mul_i32 s8, s7, s11
	s_lshr_b32 s6, s6, 29
	s_sub_co_i32 s2, s2, s8
	s_add_co_i32 s3, s3, s6
	s_xor_b32 s5, s5, s14
	s_ashr_i32 s13, s3, 3
	s_add_co_i32 s3, s7, 1
	s_sub_co_i32 s6, s2, s11
	s_cmp_ge_u32 s2, s11
	v_lshrrev_b32_e32 v82, 5, v22
	s_cselect_b32 s3, s3, s7
	s_cselect_b32 s2, s6, s2
	s_add_co_i32 s6, s3, 1
	s_cmp_ge_u32 s2, s11
	v_mbcnt_lo_u32_b32 v24, -1, 0
	s_cselect_b32 s2, s6, s3
	s_wait_dscnt 0x0
	s_xor_b32 s2, s2, s5
	s_wait_kmcnt 0x0
	s_mul_i32 s14, s4, s22
	s_sub_co_i32 s3, s2, s5
	v_cmp_gt_i32_e64 s2, s13, v82
	s_ashr_i32 s15, s14, 31
	s_mov_b32 s4, exec_lo
	s_barrier_signal -1
	s_barrier_wait -1
                                        ; implicit-def: $vgpr3
                                        ; implicit-def: $vgpr11
	v_cmpx_le_i32_e64 s13, v82
	s_xor_b32 s4, exec_lo, s4
; %bb.5:
	v_dual_mov_b32 v3, 0 :: v_dual_mov_b32 v11, 32
	v_mbcnt_lo_u32_b32 v24, -1, 0
                                        ; implicit-def: $vgpr0
; %bb.6:
	s_or_saveexec_b32 s24, s4
	s_clause 0x2
	s_load_b32 s8, s[0:1], 0x88
	s_load_b64 s[16:17], s[0:1], 0x28
	s_load_b128 s[4:7], s[0:1], 0x58
	v_mov_b32_e32 v77, 0xff7fffff
	v_lshrrev_b32_e32 v23, 3, v22
	s_mul_i32 s10, s3, s10
	s_xor_b32 exec_lo, exec_lo, s24
	s_cbranch_execz .LBB321_524
; %bb.7:
	v_lshlrev_b32_e32 v1, 7, v0
	s_load_b64 s[26:27], s[0:1], 0x10
	s_ashr_i32 s11, s10, 31
	v_cmp_eq_u32_e32 vcc_lo, 0, v0
	s_cmp_neq_f32 s18, 0
	ds_load_b128 v[2:5], v1
	ds_load_b128 v[6:9], v1 offset:16
	ds_load_b128 v[10:13], v1 offset:32
	;; [unrolled: 1-line block ×4, first 2 shown]
	s_wait_kmcnt 0x0
	s_load_b32 s5, s[4:5], 0x0
	v_mov_b32_e32 v77, 0xff7fffff
	s_mov_b32 s25, s9
	s_clause 0x3
	scratch_store_b32 off, v22, off offset:64
	scratch_store_b32 off, v82, off offset:68
	;; [unrolled: 1-line block ×4, first 2 shown]
	s_wait_dscnt 0x4
	v_lshlrev_b32_e32 v25, 16, v2
	v_and_b32_e32 v2, 0xffff0000, v2
	s_wait_dscnt 0x2
	v_dual_lshlrev_b32 v28, 16, v10 :: v_dual_lshlrev_b32 v30, 16, v11
	v_and_b32_e32 v29, 0xffff0000, v10
	s_clause 0x1
	scratch_store_b32 off, v25, off
	scratch_store_b32 off, v2, off offset:4
	s_wait_xcnt 0x0
	v_lshlrev_b32_e32 v2, 16, v3
	v_and_b32_e32 v31, 0xffff0000, v11
	v_and_b32_e32 v33, 0xffff0000, v12
	;; [unrolled: 1-line block ×3, first 2 shown]
	s_add_nc_u64 s[26:27], s[26:27], s[10:11]
	scratch_store_b32 off, v2, off offset:8 ; 4-byte Folded Spill
	s_wait_xcnt 0x0
	v_and_b32_e32 v2, 0xffff0000, v3
	s_wait_dscnt 0x1
	v_and_b32_e32 v37, 0xffff0000, v14
	v_and_b32_e32 v39, 0xffff0000, v15
	;; [unrolled: 1-line block ×3, first 2 shown]
	s_wait_dscnt 0x0
	v_dual_lshlrev_b32 v43, 16, v17 :: v_dual_lshlrev_b32 v45, 16, v18
	scratch_store_b32 off, v2, off offset:12 ; 4-byte Folded Spill
	s_wait_xcnt 0x0
	v_lshlrev_b32_e32 v2, 16, v4
	v_and_b32_e32 v44, 0xffff0000, v17
	v_and_b32_e32 v46, 0xffff0000, v18
	v_dual_lshlrev_b32 v47, 16, v19 :: v_dual_lshlrev_b32 v49, 16, v20
	scratch_store_b32 off, v2, off offset:16 ; 4-byte Folded Spill
	s_wait_xcnt 0x0
	v_and_b32_e32 v2, 0xffff0000, v4
	v_lshlrev_b32_e32 v32, 16, v12
	v_and_b32_e32 v48, 0xffff0000, v19
	v_and_b32_e32 v50, 0xffff0000, v20
	;; [unrolled: 1-line block ×3, first 2 shown]
	scratch_store_b32 off, v2, off offset:20 ; 4-byte Folded Spill
	s_wait_xcnt 0x0
	v_lshlrev_b32_e32 v2, 16, v5
	s_mov_b32 s11, 0
	v_lshlrev_b32_e32 v34, 16, v13
	ds_load_b128 v[10:13], v1 offset:112
	v_lshlrev_b32_e32 v36, 16, v14
	scratch_store_b32 off, v2, off offset:24 ; 4-byte Folded Spill
	s_wait_xcnt 0x0
	v_and_b32_e32 v2, 0xffff0000, v5
	v_dual_lshlrev_b32 v38, 16, v15 :: v_dual_lshlrev_b32 v40, 16, v16
	scratch_store_b32 off, v2, off offset:28 ; 4-byte Folded Spill
	s_wait_xcnt 0x0
	v_lshlrev_b32_e32 v2, 16, v6
	scratch_store_b32 off, v2, off offset:32 ; 4-byte Folded Spill
	s_wait_xcnt 0x0
	v_and_b32_e32 v2, 0xffff0000, v6
	scratch_store_b32 off, v2, off offset:36 ; 4-byte Folded Spill
	s_wait_xcnt 0x0
	v_lshlrev_b32_e32 v2, 16, v7
	s_wait_dscnt 0x0
	v_and_b32_e32 v70, 0xffff0000, v10
	v_dual_lshlrev_b32 v71, 16, v11 :: v_dual_lshlrev_b32 v73, 16, v12
	v_and_b32_e32 v72, 0xffff0000, v11
	scratch_store_b32 off, v2, off offset:40 ; 4-byte Folded Spill
	s_wait_xcnt 0x0
	v_and_b32_e32 v2, 0xffff0000, v7
	v_and_b32_e32 v74, 0xffff0000, v12
	;; [unrolled: 1-line block ×3, first 2 shown]
	v_lshlrev_b32_e32 v69, 16, v10
	scratch_store_b32 off, v2, off offset:44 ; 4-byte Folded Spill
	s_wait_xcnt 0x0
	v_lshlrev_b32_e32 v2, 16, v8
	scratch_store_b32 off, v2, off offset:48 ; 4-byte Folded Spill
	s_wait_xcnt 0x0
	v_and_b32_e32 v2, 0xffff0000, v8
	scratch_store_b32 off, v2, off offset:52 ; 4-byte Folded Spill
	s_wait_xcnt 0x0
	v_lshlrev_b32_e32 v2, 16, v9
	scratch_store_b32 off, v2, off offset:56 ; 4-byte Folded Spill
	s_wait_xcnt 0x0
	v_and_b32_e32 v2, 0xffff0000, v9
	ds_load_b128 v[6:9], v1 offset:96
	v_lshlrev_b32_e32 v75, 16, v13
	scratch_store_b32 off, v2, off offset:60 ; 4-byte Folded Spill
	s_wait_xcnt 0x0
	ds_load_b128 v[2:5], v1 offset:80
	v_bfe_u32 v1, v22, 2, 3
	v_lshlrev_b32_e32 v51, 16, v21
	s_delay_alu instid0(VALU_DEP_2)
	v_lshl_or_b32 v80, v82, 3, v1
	s_wait_dscnt 0x1
	v_lshlrev_b32_e32 v61, 16, v6
	v_and_b32_e32 v62, 0xffff0000, v6
	v_dual_lshlrev_b32 v63, 16, v7 :: v_dual_bitop2_b32 v6, 2, v24 bitop3:0x14
	s_wait_dscnt 0x0
	v_dual_lshlrev_b32 v65, 16, v8 :: v_dual_lshlrev_b32 v53, 16, v2
	v_and_b32_e32 v54, 0xffff0000, v2
	v_lshlrev_b32_e32 v59, 16, v5
	v_dual_lshlrev_b32 v2, 4, v1 :: v_dual_lshlrev_b32 v55, 16, v3
	v_lshlrev_b32_e32 v57, 16, v4
	v_and_b32_e32 v56, 0xffff0000, v3
	v_and_b32_e32 v64, 0xffff0000, v7
	v_mov_b32_e32 v3, 0
	v_cmp_gt_i32_e64 s3, 32, v6
	v_xor_b32_e32 v7, 1, v24
	v_and_b32_e32 v58, 0xffff0000, v4
	v_and_b32_e32 v60, 0xffff0000, v5
	v_add_nc_u64_e32 v[4:5], s[26:27], v[2:3]
	v_dual_lshlrev_b32 v2, 1, v0 :: v_dual_cndmask_b32 v0, v24, v6, s3
	v_cmp_gt_i32_e64 s3, 32, v7
	v_and_b32_e32 v66, 0xffff0000, v8
	v_lshlrev_b32_e32 v67, 16, v9
	v_and_b32_e32 v68, 0xffff0000, v9
	s_delay_alu instid0(VALU_DEP_4)
	v_dual_lshlrev_b32 v78, 2, v0 :: v_dual_cndmask_b32 v6, v24, v7, s3
	v_lshlrev_b32_e32 v7, 2, v1
	v_add_nc_u64_e32 v[4:5], v[4:5], v[2:3]
	v_and_b32_e32 v2, 0x7c, v23
	s_cselect_b32 s3, -1, 0
	s_lshl_b64 s[26:27], s[14:15], 2
	v_lshl_or_b32 v0, v82, 5, v7
	s_add_nc_u64 s[26:27], s[16:17], s[26:27]
	v_lshlrev_b32_e32 v79, 2, v6
	v_add_nc_u64_e32 v[6:7], s[26:27], v[2:3]
	s_sub_co_i32 s26, 1, s23
	v_add_nc_u32_e32 v81, 0x220, v0
	s_branch .LBB321_9
.LBB321_8:                              ;   in Loop: Header=BB321_9 Depth=1
	s_or_b32 exec_lo, exec_lo, s27
	v_dual_add_nc_u32 v82, 4, v82 :: v_dual_add_nc_u32 v80, 32, v80
	v_add_nc_u64_e32 v[6:7], 16, v[6:7]
	v_add_nc_u32_e32 v81, 0x80, v81
	s_delay_alu instid0(VALU_DEP_3) | instskip(SKIP_1) | instid1(SALU_CYCLE_1)
	v_cmp_le_i32_e64 s4, s13, v82
	s_or_b32 s11, s4, s11
	s_and_not1_b32 exec_lo, exec_lo, s11
	s_cbranch_execz .LBB321_523
.LBB321_9:                              ; =>This Inner Loop Header: Depth=1
	global_load_b32 v0, v[6:7], off
	v_dual_mov_b32 v83, 0 :: v_dual_mov_b32 v84, 0
	s_mov_b32 s27, exec_lo
	s_wait_loadcnt 0x0
	v_mad_nc_i64_i32 v[8:9], v0, s25, v[4:5]
	global_load_u16 v0, v[8:9], off
	s_wait_loadcnt_dscnt 0x0
	v_and_b32_e32 v1, 0xff, v0
	v_and_b32_e32 v0, 0xffff, v0
	s_wait_xcnt 0x0
	s_delay_alu instid0(VALU_DEP_2)
	v_cmpx_ne_u16_e32 0, v1
	s_cbranch_execz .LBB321_17
; %bb.10:                               ;   in Loop: Header=BB321_9 Depth=1
	s_delay_alu instid0(VALU_DEP_2) | instskip(SKIP_2) | instid1(VALU_DEP_2)
	v_and_b32_e32 v1, 0xff, v0
	v_bfrev_b32_e32 v84, 1
	s_mov_b32 s28, exec_lo
	v_cmpx_ne_u16_e32 0x80, v1
	s_cbranch_execz .LBB321_16
; %bb.11:                               ;   in Loop: Header=BB321_9 Depth=1
	v_and_b32_e32 v10, 0x7f, v0
	v_mov_b32_e32 v84, 0x7f800001
	s_mov_b32 s29, exec_lo
	s_delay_alu instid0(VALU_DEP_2)
	v_cmpx_ne_u32_e32 0x7f, v10
	s_cbranch_execz .LBB321_15
; %bb.12:                               ;   in Loop: Header=BB321_9 Depth=1
	v_dual_lshrrev_b32 v1, 3, v10 :: v_dual_bitop2_b32 v2, 7, v0 bitop3:0x40
	s_mov_b32 s30, exec_lo
	v_cmpx_gt_u32_e32 8, v10
; %bb.13:                               ;   in Loop: Header=BB321_9 Depth=1
	s_delay_alu instid0(VALU_DEP_2) | instskip(NEXT) | instid1(VALU_DEP_1)
	v_clz_i32_u32_e32 v1, v2
	v_min_u32_e32 v1, 32, v1
	s_delay_alu instid0(VALU_DEP_1) | instskip(NEXT) | instid1(VALU_DEP_1)
	v_subrev_nc_u32_e32 v10, 28, v1
	v_lshlrev_b64_e32 v[10:11], v10, v[2:3]
	s_delay_alu instid0(VALU_DEP_1)
	v_dual_sub_nc_u32 v1, 29, v1 :: v_dual_bitop2_b32 v2, 7, v10 bitop3:0x40
; %bb.14:                               ;   in Loop: Header=BB321_9 Depth=1
	s_or_b32 exec_lo, exec_lo, s30
	s_delay_alu instid0(VALU_DEP_1) | instskip(NEXT) | instid1(VALU_DEP_2)
	v_dual_lshlrev_b32 v10, 24, v0 :: v_dual_lshlrev_b32 v2, 20, v2
	v_lshl_add_u32 v1, v1, 23, 0x3c000000
	s_delay_alu instid0(VALU_DEP_2) | instskip(NEXT) | instid1(VALU_DEP_1)
	v_and_b32_e32 v10, 0x80000000, v10
	v_or3_b32 v84, v2, v10, v1
.LBB321_15:                             ;   in Loop: Header=BB321_9 Depth=1
	s_or_b32 exec_lo, exec_lo, s29
.LBB321_16:                             ;   in Loop: Header=BB321_9 Depth=1
	s_delay_alu instid0(SALU_CYCLE_1)
	s_or_b32 exec_lo, exec_lo, s28
.LBB321_17:                             ;   in Loop: Header=BB321_9 Depth=1
	s_delay_alu instid0(SALU_CYCLE_1) | instskip(SKIP_2) | instid1(VALU_DEP_1)
	s_or_b32 exec_lo, exec_lo, s27
	v_lshrrev_b16 v1, 8, v0
	s_mov_b32 s27, exec_lo
	v_cmpx_ne_u16_e32 0, v1
	s_cbranch_execz .LBB321_25
; %bb.18:                               ;   in Loop: Header=BB321_9 Depth=1
	v_bfrev_b32_e32 v83, 1
	s_mov_b32 s28, exec_lo
	v_cmpx_ne_u16_e32 0x80, v1
	s_cbranch_execz .LBB321_24
; %bb.19:                               ;   in Loop: Header=BB321_9 Depth=1
	v_and_b32_e32 v1, 0xffff, v1
	v_mov_b32_e32 v83, 0x7f800001
	s_mov_b32 s29, exec_lo
	s_delay_alu instid0(VALU_DEP_2) | instskip(NEXT) | instid1(VALU_DEP_1)
	v_and_b32_e32 v10, 0x7f, v1
	v_cmpx_ne_u32_e32 0x7f, v10
	s_cbranch_execz .LBB321_23
; %bb.20:                               ;   in Loop: Header=BB321_9 Depth=1
	v_dual_lshrrev_b32 v1, 3, v10 :: v_dual_bitop2_b32 v2, 7, v1 bitop3:0x40
	s_mov_b32 s30, exec_lo
	v_cmpx_gt_u32_e32 8, v10
; %bb.21:                               ;   in Loop: Header=BB321_9 Depth=1
	s_delay_alu instid0(VALU_DEP_2) | instskip(NEXT) | instid1(VALU_DEP_1)
	v_clz_i32_u32_e32 v1, v2
	v_min_u32_e32 v1, 32, v1
	s_delay_alu instid0(VALU_DEP_1) | instskip(NEXT) | instid1(VALU_DEP_1)
	v_subrev_nc_u32_e32 v10, 28, v1
	v_lshlrev_b64_e32 v[10:11], v10, v[2:3]
	s_delay_alu instid0(VALU_DEP_1)
	v_dual_sub_nc_u32 v1, 29, v1 :: v_dual_bitop2_b32 v2, 7, v10 bitop3:0x40
; %bb.22:                               ;   in Loop: Header=BB321_9 Depth=1
	s_or_b32 exec_lo, exec_lo, s30
	s_delay_alu instid0(VALU_DEP_1) | instskip(NEXT) | instid1(VALU_DEP_2)
	v_dual_lshlrev_b32 v0, 16, v0 :: v_dual_lshlrev_b32 v2, 20, v2
	v_lshl_add_u32 v1, v1, 23, 0x3c000000
	s_delay_alu instid0(VALU_DEP_2) | instskip(NEXT) | instid1(VALU_DEP_1)
	v_and_b32_e32 v0, 0x80000000, v0
	v_or3_b32 v83, v2, v0, v1
.LBB321_23:                             ;   in Loop: Header=BB321_9 Depth=1
	s_or_b32 exec_lo, exec_lo, s29
.LBB321_24:                             ;   in Loop: Header=BB321_9 Depth=1
	s_delay_alu instid0(SALU_CYCLE_1)
	s_or_b32 exec_lo, exec_lo, s28
.LBB321_25:                             ;   in Loop: Header=BB321_9 Depth=1
	s_delay_alu instid0(SALU_CYCLE_1)
	s_or_b32 exec_lo, exec_lo, s27
	global_load_u16 v0, v[8:9], off offset:8
	v_dual_mov_b32 v85, 0 :: v_dual_mov_b32 v86, 0
	s_mov_b32 s27, exec_lo
	s_wait_loadcnt 0x0
	v_and_b32_e32 v1, 0xff, v0
	v_and_b32_e32 v0, 0xffff, v0
	s_wait_xcnt 0x0
	s_delay_alu instid0(VALU_DEP_2)
	v_cmpx_ne_u16_e32 0, v1
	s_cbranch_execz .LBB321_33
; %bb.26:                               ;   in Loop: Header=BB321_9 Depth=1
	s_delay_alu instid0(VALU_DEP_2) | instskip(SKIP_2) | instid1(VALU_DEP_2)
	v_and_b32_e32 v1, 0xff, v0
	v_bfrev_b32_e32 v86, 1
	s_mov_b32 s28, exec_lo
	v_cmpx_ne_u16_e32 0x80, v1
	s_cbranch_execz .LBB321_32
; %bb.27:                               ;   in Loop: Header=BB321_9 Depth=1
	v_and_b32_e32 v10, 0x7f, v0
	v_mov_b32_e32 v86, 0x7f800001
	s_mov_b32 s29, exec_lo
	s_delay_alu instid0(VALU_DEP_2)
	v_cmpx_ne_u32_e32 0x7f, v10
	s_cbranch_execz .LBB321_31
; %bb.28:                               ;   in Loop: Header=BB321_9 Depth=1
	v_dual_lshrrev_b32 v1, 3, v10 :: v_dual_bitop2_b32 v2, 7, v0 bitop3:0x40
	s_mov_b32 s30, exec_lo
	v_cmpx_gt_u32_e32 8, v10
; %bb.29:                               ;   in Loop: Header=BB321_9 Depth=1
	s_delay_alu instid0(VALU_DEP_2) | instskip(NEXT) | instid1(VALU_DEP_1)
	v_clz_i32_u32_e32 v1, v2
	v_min_u32_e32 v1, 32, v1
	s_delay_alu instid0(VALU_DEP_1) | instskip(NEXT) | instid1(VALU_DEP_1)
	v_subrev_nc_u32_e32 v10, 28, v1
	v_lshlrev_b64_e32 v[10:11], v10, v[2:3]
	s_delay_alu instid0(VALU_DEP_1)
	v_dual_sub_nc_u32 v1, 29, v1 :: v_dual_bitop2_b32 v2, 7, v10 bitop3:0x40
; %bb.30:                               ;   in Loop: Header=BB321_9 Depth=1
	s_or_b32 exec_lo, exec_lo, s30
	s_delay_alu instid0(VALU_DEP_1) | instskip(NEXT) | instid1(VALU_DEP_2)
	v_dual_lshlrev_b32 v10, 24, v0 :: v_dual_lshlrev_b32 v2, 20, v2
	v_lshl_add_u32 v1, v1, 23, 0x3c000000
	s_delay_alu instid0(VALU_DEP_2) | instskip(NEXT) | instid1(VALU_DEP_1)
	v_and_b32_e32 v10, 0x80000000, v10
	v_or3_b32 v86, v2, v10, v1
.LBB321_31:                             ;   in Loop: Header=BB321_9 Depth=1
	s_or_b32 exec_lo, exec_lo, s29
.LBB321_32:                             ;   in Loop: Header=BB321_9 Depth=1
	s_delay_alu instid0(SALU_CYCLE_1)
	s_or_b32 exec_lo, exec_lo, s28
.LBB321_33:                             ;   in Loop: Header=BB321_9 Depth=1
	s_delay_alu instid0(SALU_CYCLE_1) | instskip(SKIP_2) | instid1(VALU_DEP_1)
	s_or_b32 exec_lo, exec_lo, s27
	v_lshrrev_b16 v1, 8, v0
	s_mov_b32 s27, exec_lo
	v_cmpx_ne_u16_e32 0, v1
	s_cbranch_execz .LBB321_41
; %bb.34:                               ;   in Loop: Header=BB321_9 Depth=1
	v_bfrev_b32_e32 v85, 1
	s_mov_b32 s28, exec_lo
	v_cmpx_ne_u16_e32 0x80, v1
	s_cbranch_execz .LBB321_40
; %bb.35:                               ;   in Loop: Header=BB321_9 Depth=1
	v_and_b32_e32 v1, 0xffff, v1
	v_mov_b32_e32 v85, 0x7f800001
	s_mov_b32 s29, exec_lo
	s_delay_alu instid0(VALU_DEP_2) | instskip(NEXT) | instid1(VALU_DEP_1)
	v_and_b32_e32 v10, 0x7f, v1
	v_cmpx_ne_u32_e32 0x7f, v10
	s_cbranch_execz .LBB321_39
; %bb.36:                               ;   in Loop: Header=BB321_9 Depth=1
	v_dual_lshrrev_b32 v1, 3, v10 :: v_dual_bitop2_b32 v2, 7, v1 bitop3:0x40
	s_mov_b32 s30, exec_lo
	v_cmpx_gt_u32_e32 8, v10
; %bb.37:                               ;   in Loop: Header=BB321_9 Depth=1
	s_delay_alu instid0(VALU_DEP_2) | instskip(NEXT) | instid1(VALU_DEP_1)
	v_clz_i32_u32_e32 v1, v2
	v_min_u32_e32 v1, 32, v1
	s_delay_alu instid0(VALU_DEP_1) | instskip(NEXT) | instid1(VALU_DEP_1)
	v_subrev_nc_u32_e32 v10, 28, v1
	v_lshlrev_b64_e32 v[10:11], v10, v[2:3]
	s_delay_alu instid0(VALU_DEP_1)
	v_dual_sub_nc_u32 v1, 29, v1 :: v_dual_bitop2_b32 v2, 7, v10 bitop3:0x40
; %bb.38:                               ;   in Loop: Header=BB321_9 Depth=1
	s_or_b32 exec_lo, exec_lo, s30
	s_delay_alu instid0(VALU_DEP_1) | instskip(NEXT) | instid1(VALU_DEP_2)
	v_dual_lshlrev_b32 v0, 16, v0 :: v_dual_lshlrev_b32 v2, 20, v2
	v_lshl_add_u32 v1, v1, 23, 0x3c000000
	s_delay_alu instid0(VALU_DEP_2) | instskip(NEXT) | instid1(VALU_DEP_1)
	v_and_b32_e32 v0, 0x80000000, v0
	v_or3_b32 v85, v2, v0, v1
.LBB321_39:                             ;   in Loop: Header=BB321_9 Depth=1
	s_or_b32 exec_lo, exec_lo, s29
.LBB321_40:                             ;   in Loop: Header=BB321_9 Depth=1
	s_delay_alu instid0(SALU_CYCLE_1)
	s_or_b32 exec_lo, exec_lo, s28
.LBB321_41:                             ;   in Loop: Header=BB321_9 Depth=1
	s_delay_alu instid0(SALU_CYCLE_1)
	s_or_b32 exec_lo, exec_lo, s27
	global_load_u16 v0, v[8:9], off offset:128
	v_dual_mov_b32 v87, 0 :: v_dual_mov_b32 v88, 0
	s_mov_b32 s27, exec_lo
	s_wait_loadcnt 0x0
	v_and_b32_e32 v1, 0xff, v0
	v_and_b32_e32 v0, 0xffff, v0
	s_wait_xcnt 0x0
	s_delay_alu instid0(VALU_DEP_2)
	v_cmpx_ne_u16_e32 0, v1
	s_cbranch_execz .LBB321_49
; %bb.42:                               ;   in Loop: Header=BB321_9 Depth=1
	s_delay_alu instid0(VALU_DEP_2) | instskip(SKIP_2) | instid1(VALU_DEP_2)
	v_and_b32_e32 v1, 0xff, v0
	v_bfrev_b32_e32 v88, 1
	s_mov_b32 s28, exec_lo
	v_cmpx_ne_u16_e32 0x80, v1
	s_cbranch_execz .LBB321_48
; %bb.43:                               ;   in Loop: Header=BB321_9 Depth=1
	v_and_b32_e32 v10, 0x7f, v0
	v_mov_b32_e32 v88, 0x7f800001
	s_mov_b32 s29, exec_lo
	s_delay_alu instid0(VALU_DEP_2)
	v_cmpx_ne_u32_e32 0x7f, v10
	s_cbranch_execz .LBB321_47
; %bb.44:                               ;   in Loop: Header=BB321_9 Depth=1
	v_dual_lshrrev_b32 v1, 3, v10 :: v_dual_bitop2_b32 v2, 7, v0 bitop3:0x40
	s_mov_b32 s30, exec_lo
	v_cmpx_gt_u32_e32 8, v10
; %bb.45:                               ;   in Loop: Header=BB321_9 Depth=1
	s_delay_alu instid0(VALU_DEP_2) | instskip(NEXT) | instid1(VALU_DEP_1)
	v_clz_i32_u32_e32 v1, v2
	v_min_u32_e32 v1, 32, v1
	s_delay_alu instid0(VALU_DEP_1) | instskip(NEXT) | instid1(VALU_DEP_1)
	v_subrev_nc_u32_e32 v10, 28, v1
	v_lshlrev_b64_e32 v[10:11], v10, v[2:3]
	s_delay_alu instid0(VALU_DEP_1)
	v_dual_sub_nc_u32 v1, 29, v1 :: v_dual_bitop2_b32 v2, 7, v10 bitop3:0x40
; %bb.46:                               ;   in Loop: Header=BB321_9 Depth=1
	s_or_b32 exec_lo, exec_lo, s30
	s_delay_alu instid0(VALU_DEP_1) | instskip(NEXT) | instid1(VALU_DEP_2)
	v_dual_lshlrev_b32 v10, 24, v0 :: v_dual_lshlrev_b32 v2, 20, v2
	v_lshl_add_u32 v1, v1, 23, 0x3c000000
	s_delay_alu instid0(VALU_DEP_2) | instskip(NEXT) | instid1(VALU_DEP_1)
	v_and_b32_e32 v10, 0x80000000, v10
	v_or3_b32 v88, v2, v10, v1
.LBB321_47:                             ;   in Loop: Header=BB321_9 Depth=1
	s_or_b32 exec_lo, exec_lo, s29
.LBB321_48:                             ;   in Loop: Header=BB321_9 Depth=1
	s_delay_alu instid0(SALU_CYCLE_1)
	s_or_b32 exec_lo, exec_lo, s28
.LBB321_49:                             ;   in Loop: Header=BB321_9 Depth=1
	s_delay_alu instid0(SALU_CYCLE_1) | instskip(SKIP_2) | instid1(VALU_DEP_1)
	s_or_b32 exec_lo, exec_lo, s27
	v_lshrrev_b16 v1, 8, v0
	s_mov_b32 s27, exec_lo
	v_cmpx_ne_u16_e32 0, v1
	s_cbranch_execz .LBB321_57
; %bb.50:                               ;   in Loop: Header=BB321_9 Depth=1
	v_bfrev_b32_e32 v87, 1
	s_mov_b32 s28, exec_lo
	v_cmpx_ne_u16_e32 0x80, v1
	s_cbranch_execz .LBB321_56
; %bb.51:                               ;   in Loop: Header=BB321_9 Depth=1
	v_and_b32_e32 v1, 0xffff, v1
	v_mov_b32_e32 v87, 0x7f800001
	s_mov_b32 s29, exec_lo
	s_delay_alu instid0(VALU_DEP_2) | instskip(NEXT) | instid1(VALU_DEP_1)
	v_and_b32_e32 v10, 0x7f, v1
	v_cmpx_ne_u32_e32 0x7f, v10
	s_cbranch_execz .LBB321_55
; %bb.52:                               ;   in Loop: Header=BB321_9 Depth=1
	v_dual_lshrrev_b32 v1, 3, v10 :: v_dual_bitop2_b32 v2, 7, v1 bitop3:0x40
	s_mov_b32 s30, exec_lo
	v_cmpx_gt_u32_e32 8, v10
; %bb.53:                               ;   in Loop: Header=BB321_9 Depth=1
	s_delay_alu instid0(VALU_DEP_2) | instskip(NEXT) | instid1(VALU_DEP_1)
	v_clz_i32_u32_e32 v1, v2
	v_min_u32_e32 v1, 32, v1
	s_delay_alu instid0(VALU_DEP_1) | instskip(NEXT) | instid1(VALU_DEP_1)
	v_subrev_nc_u32_e32 v10, 28, v1
	v_lshlrev_b64_e32 v[10:11], v10, v[2:3]
	s_delay_alu instid0(VALU_DEP_1)
	v_dual_sub_nc_u32 v1, 29, v1 :: v_dual_bitop2_b32 v2, 7, v10 bitop3:0x40
; %bb.54:                               ;   in Loop: Header=BB321_9 Depth=1
	s_or_b32 exec_lo, exec_lo, s30
	s_delay_alu instid0(VALU_DEP_1) | instskip(NEXT) | instid1(VALU_DEP_2)
	v_dual_lshlrev_b32 v0, 16, v0 :: v_dual_lshlrev_b32 v2, 20, v2
	v_lshl_add_u32 v1, v1, 23, 0x3c000000
	s_delay_alu instid0(VALU_DEP_2) | instskip(NEXT) | instid1(VALU_DEP_1)
	v_and_b32_e32 v0, 0x80000000, v0
	v_or3_b32 v87, v2, v0, v1
.LBB321_55:                             ;   in Loop: Header=BB321_9 Depth=1
	s_or_b32 exec_lo, exec_lo, s29
.LBB321_56:                             ;   in Loop: Header=BB321_9 Depth=1
	s_delay_alu instid0(SALU_CYCLE_1)
	s_or_b32 exec_lo, exec_lo, s28
.LBB321_57:                             ;   in Loop: Header=BB321_9 Depth=1
	s_delay_alu instid0(SALU_CYCLE_1)
	s_or_b32 exec_lo, exec_lo, s27
	global_load_u16 v0, v[8:9], off offset:136
	v_dual_mov_b32 v89, 0 :: v_dual_mov_b32 v90, 0
	s_mov_b32 s27, exec_lo
	s_wait_loadcnt 0x0
	v_and_b32_e32 v1, 0xff, v0
	v_and_b32_e32 v0, 0xffff, v0
	s_wait_xcnt 0x0
	s_delay_alu instid0(VALU_DEP_2)
	v_cmpx_ne_u16_e32 0, v1
	s_cbranch_execz .LBB321_65
; %bb.58:                               ;   in Loop: Header=BB321_9 Depth=1
	s_delay_alu instid0(VALU_DEP_2) | instskip(SKIP_2) | instid1(VALU_DEP_2)
	v_and_b32_e32 v1, 0xff, v0
	v_bfrev_b32_e32 v90, 1
	s_mov_b32 s28, exec_lo
	v_cmpx_ne_u16_e32 0x80, v1
	s_cbranch_execz .LBB321_64
; %bb.59:                               ;   in Loop: Header=BB321_9 Depth=1
	v_and_b32_e32 v10, 0x7f, v0
	v_mov_b32_e32 v90, 0x7f800001
	s_mov_b32 s29, exec_lo
	s_delay_alu instid0(VALU_DEP_2)
	v_cmpx_ne_u32_e32 0x7f, v10
	s_cbranch_execz .LBB321_63
; %bb.60:                               ;   in Loop: Header=BB321_9 Depth=1
	v_dual_lshrrev_b32 v1, 3, v10 :: v_dual_bitop2_b32 v2, 7, v0 bitop3:0x40
	s_mov_b32 s30, exec_lo
	v_cmpx_gt_u32_e32 8, v10
; %bb.61:                               ;   in Loop: Header=BB321_9 Depth=1
	s_delay_alu instid0(VALU_DEP_2) | instskip(NEXT) | instid1(VALU_DEP_1)
	v_clz_i32_u32_e32 v1, v2
	v_min_u32_e32 v1, 32, v1
	s_delay_alu instid0(VALU_DEP_1) | instskip(NEXT) | instid1(VALU_DEP_1)
	v_subrev_nc_u32_e32 v10, 28, v1
	v_lshlrev_b64_e32 v[10:11], v10, v[2:3]
	s_delay_alu instid0(VALU_DEP_1)
	v_dual_sub_nc_u32 v1, 29, v1 :: v_dual_bitop2_b32 v2, 7, v10 bitop3:0x40
; %bb.62:                               ;   in Loop: Header=BB321_9 Depth=1
	s_or_b32 exec_lo, exec_lo, s30
	s_delay_alu instid0(VALU_DEP_1) | instskip(NEXT) | instid1(VALU_DEP_2)
	v_dual_lshlrev_b32 v10, 24, v0 :: v_dual_lshlrev_b32 v2, 20, v2
	v_lshl_add_u32 v1, v1, 23, 0x3c000000
	s_delay_alu instid0(VALU_DEP_2) | instskip(NEXT) | instid1(VALU_DEP_1)
	v_and_b32_e32 v10, 0x80000000, v10
	v_or3_b32 v90, v2, v10, v1
.LBB321_63:                             ;   in Loop: Header=BB321_9 Depth=1
	s_or_b32 exec_lo, exec_lo, s29
.LBB321_64:                             ;   in Loop: Header=BB321_9 Depth=1
	s_delay_alu instid0(SALU_CYCLE_1)
	s_or_b32 exec_lo, exec_lo, s28
.LBB321_65:                             ;   in Loop: Header=BB321_9 Depth=1
	s_delay_alu instid0(SALU_CYCLE_1) | instskip(SKIP_2) | instid1(VALU_DEP_1)
	s_or_b32 exec_lo, exec_lo, s27
	v_lshrrev_b16 v1, 8, v0
	s_mov_b32 s27, exec_lo
	v_cmpx_ne_u16_e32 0, v1
	s_cbranch_execz .LBB321_73
; %bb.66:                               ;   in Loop: Header=BB321_9 Depth=1
	v_bfrev_b32_e32 v89, 1
	s_mov_b32 s28, exec_lo
	v_cmpx_ne_u16_e32 0x80, v1
	s_cbranch_execz .LBB321_72
; %bb.67:                               ;   in Loop: Header=BB321_9 Depth=1
	v_and_b32_e32 v1, 0xffff, v1
	v_mov_b32_e32 v89, 0x7f800001
	s_mov_b32 s29, exec_lo
	s_delay_alu instid0(VALU_DEP_2) | instskip(NEXT) | instid1(VALU_DEP_1)
	v_and_b32_e32 v10, 0x7f, v1
	v_cmpx_ne_u32_e32 0x7f, v10
	s_cbranch_execz .LBB321_71
; %bb.68:                               ;   in Loop: Header=BB321_9 Depth=1
	v_dual_lshrrev_b32 v1, 3, v10 :: v_dual_bitop2_b32 v2, 7, v1 bitop3:0x40
	s_mov_b32 s30, exec_lo
	v_cmpx_gt_u32_e32 8, v10
; %bb.69:                               ;   in Loop: Header=BB321_9 Depth=1
	s_delay_alu instid0(VALU_DEP_2) | instskip(NEXT) | instid1(VALU_DEP_1)
	v_clz_i32_u32_e32 v1, v2
	v_min_u32_e32 v1, 32, v1
	s_delay_alu instid0(VALU_DEP_1) | instskip(NEXT) | instid1(VALU_DEP_1)
	v_subrev_nc_u32_e32 v10, 28, v1
	v_lshlrev_b64_e32 v[10:11], v10, v[2:3]
	s_delay_alu instid0(VALU_DEP_1)
	v_dual_sub_nc_u32 v1, 29, v1 :: v_dual_bitop2_b32 v2, 7, v10 bitop3:0x40
; %bb.70:                               ;   in Loop: Header=BB321_9 Depth=1
	s_or_b32 exec_lo, exec_lo, s30
	s_delay_alu instid0(VALU_DEP_1) | instskip(NEXT) | instid1(VALU_DEP_2)
	v_dual_lshlrev_b32 v0, 16, v0 :: v_dual_lshlrev_b32 v2, 20, v2
	v_lshl_add_u32 v1, v1, 23, 0x3c000000
	s_delay_alu instid0(VALU_DEP_2) | instskip(NEXT) | instid1(VALU_DEP_1)
	v_and_b32_e32 v0, 0x80000000, v0
	v_or3_b32 v89, v2, v0, v1
.LBB321_71:                             ;   in Loop: Header=BB321_9 Depth=1
	s_or_b32 exec_lo, exec_lo, s29
.LBB321_72:                             ;   in Loop: Header=BB321_9 Depth=1
	s_delay_alu instid0(SALU_CYCLE_1)
	s_or_b32 exec_lo, exec_lo, s28
.LBB321_73:                             ;   in Loop: Header=BB321_9 Depth=1
	s_delay_alu instid0(SALU_CYCLE_1)
	s_or_b32 exec_lo, exec_lo, s27
	global_load_u16 v0, v[8:9], off offset:256
	v_dual_mov_b32 v91, 0 :: v_dual_mov_b32 v92, 0
	s_mov_b32 s27, exec_lo
	s_wait_loadcnt 0x0
	v_and_b32_e32 v1, 0xff, v0
	v_and_b32_e32 v0, 0xffff, v0
	s_wait_xcnt 0x0
	s_delay_alu instid0(VALU_DEP_2)
	v_cmpx_ne_u16_e32 0, v1
	s_cbranch_execz .LBB321_81
; %bb.74:                               ;   in Loop: Header=BB321_9 Depth=1
	s_delay_alu instid0(VALU_DEP_2) | instskip(SKIP_2) | instid1(VALU_DEP_2)
	v_and_b32_e32 v1, 0xff, v0
	v_bfrev_b32_e32 v92, 1
	s_mov_b32 s28, exec_lo
	v_cmpx_ne_u16_e32 0x80, v1
	s_cbranch_execz .LBB321_80
; %bb.75:                               ;   in Loop: Header=BB321_9 Depth=1
	v_and_b32_e32 v10, 0x7f, v0
	v_mov_b32_e32 v92, 0x7f800001
	s_mov_b32 s29, exec_lo
	s_delay_alu instid0(VALU_DEP_2)
	v_cmpx_ne_u32_e32 0x7f, v10
	s_cbranch_execz .LBB321_79
; %bb.76:                               ;   in Loop: Header=BB321_9 Depth=1
	v_dual_lshrrev_b32 v1, 3, v10 :: v_dual_bitop2_b32 v2, 7, v0 bitop3:0x40
	s_mov_b32 s30, exec_lo
	v_cmpx_gt_u32_e32 8, v10
; %bb.77:                               ;   in Loop: Header=BB321_9 Depth=1
	s_delay_alu instid0(VALU_DEP_2) | instskip(NEXT) | instid1(VALU_DEP_1)
	v_clz_i32_u32_e32 v1, v2
	v_min_u32_e32 v1, 32, v1
	s_delay_alu instid0(VALU_DEP_1) | instskip(NEXT) | instid1(VALU_DEP_1)
	v_subrev_nc_u32_e32 v10, 28, v1
	v_lshlrev_b64_e32 v[10:11], v10, v[2:3]
	s_delay_alu instid0(VALU_DEP_1)
	v_dual_sub_nc_u32 v1, 29, v1 :: v_dual_bitop2_b32 v2, 7, v10 bitop3:0x40
; %bb.78:                               ;   in Loop: Header=BB321_9 Depth=1
	s_or_b32 exec_lo, exec_lo, s30
	s_delay_alu instid0(VALU_DEP_1) | instskip(NEXT) | instid1(VALU_DEP_2)
	v_dual_lshlrev_b32 v10, 24, v0 :: v_dual_lshlrev_b32 v2, 20, v2
	v_lshl_add_u32 v1, v1, 23, 0x3c000000
	s_delay_alu instid0(VALU_DEP_2) | instskip(NEXT) | instid1(VALU_DEP_1)
	v_and_b32_e32 v10, 0x80000000, v10
	v_or3_b32 v92, v2, v10, v1
.LBB321_79:                             ;   in Loop: Header=BB321_9 Depth=1
	s_or_b32 exec_lo, exec_lo, s29
.LBB321_80:                             ;   in Loop: Header=BB321_9 Depth=1
	s_delay_alu instid0(SALU_CYCLE_1)
	s_or_b32 exec_lo, exec_lo, s28
.LBB321_81:                             ;   in Loop: Header=BB321_9 Depth=1
	s_delay_alu instid0(SALU_CYCLE_1) | instskip(SKIP_2) | instid1(VALU_DEP_1)
	s_or_b32 exec_lo, exec_lo, s27
	v_lshrrev_b16 v1, 8, v0
	s_mov_b32 s27, exec_lo
	v_cmpx_ne_u16_e32 0, v1
	s_cbranch_execz .LBB321_89
; %bb.82:                               ;   in Loop: Header=BB321_9 Depth=1
	v_bfrev_b32_e32 v91, 1
	s_mov_b32 s28, exec_lo
	v_cmpx_ne_u16_e32 0x80, v1
	s_cbranch_execz .LBB321_88
; %bb.83:                               ;   in Loop: Header=BB321_9 Depth=1
	v_and_b32_e32 v1, 0xffff, v1
	v_mov_b32_e32 v91, 0x7f800001
	s_mov_b32 s29, exec_lo
	s_delay_alu instid0(VALU_DEP_2) | instskip(NEXT) | instid1(VALU_DEP_1)
	v_and_b32_e32 v10, 0x7f, v1
	v_cmpx_ne_u32_e32 0x7f, v10
	s_cbranch_execz .LBB321_87
; %bb.84:                               ;   in Loop: Header=BB321_9 Depth=1
	v_dual_lshrrev_b32 v1, 3, v10 :: v_dual_bitop2_b32 v2, 7, v1 bitop3:0x40
	s_mov_b32 s30, exec_lo
	v_cmpx_gt_u32_e32 8, v10
; %bb.85:                               ;   in Loop: Header=BB321_9 Depth=1
	s_delay_alu instid0(VALU_DEP_2) | instskip(NEXT) | instid1(VALU_DEP_1)
	v_clz_i32_u32_e32 v1, v2
	v_min_u32_e32 v1, 32, v1
	s_delay_alu instid0(VALU_DEP_1) | instskip(NEXT) | instid1(VALU_DEP_1)
	v_subrev_nc_u32_e32 v10, 28, v1
	v_lshlrev_b64_e32 v[10:11], v10, v[2:3]
	s_delay_alu instid0(VALU_DEP_1)
	v_dual_sub_nc_u32 v1, 29, v1 :: v_dual_bitop2_b32 v2, 7, v10 bitop3:0x40
; %bb.86:                               ;   in Loop: Header=BB321_9 Depth=1
	s_or_b32 exec_lo, exec_lo, s30
	s_delay_alu instid0(VALU_DEP_1) | instskip(NEXT) | instid1(VALU_DEP_2)
	v_dual_lshlrev_b32 v0, 16, v0 :: v_dual_lshlrev_b32 v2, 20, v2
	v_lshl_add_u32 v1, v1, 23, 0x3c000000
	s_delay_alu instid0(VALU_DEP_2) | instskip(NEXT) | instid1(VALU_DEP_1)
	v_and_b32_e32 v0, 0x80000000, v0
	v_or3_b32 v91, v2, v0, v1
.LBB321_87:                             ;   in Loop: Header=BB321_9 Depth=1
	s_or_b32 exec_lo, exec_lo, s29
.LBB321_88:                             ;   in Loop: Header=BB321_9 Depth=1
	s_delay_alu instid0(SALU_CYCLE_1)
	s_or_b32 exec_lo, exec_lo, s28
.LBB321_89:                             ;   in Loop: Header=BB321_9 Depth=1
	s_delay_alu instid0(SALU_CYCLE_1)
	s_or_b32 exec_lo, exec_lo, s27
	global_load_u16 v0, v[8:9], off offset:264
	v_dual_mov_b32 v93, 0 :: v_dual_mov_b32 v94, 0
	s_mov_b32 s27, exec_lo
	s_wait_loadcnt 0x0
	v_and_b32_e32 v1, 0xff, v0
	v_and_b32_e32 v0, 0xffff, v0
	s_wait_xcnt 0x0
	s_delay_alu instid0(VALU_DEP_2)
	v_cmpx_ne_u16_e32 0, v1
	s_cbranch_execz .LBB321_97
; %bb.90:                               ;   in Loop: Header=BB321_9 Depth=1
	s_delay_alu instid0(VALU_DEP_2) | instskip(SKIP_2) | instid1(VALU_DEP_2)
	v_and_b32_e32 v1, 0xff, v0
	v_bfrev_b32_e32 v94, 1
	s_mov_b32 s28, exec_lo
	v_cmpx_ne_u16_e32 0x80, v1
	s_cbranch_execz .LBB321_96
; %bb.91:                               ;   in Loop: Header=BB321_9 Depth=1
	v_and_b32_e32 v10, 0x7f, v0
	v_mov_b32_e32 v94, 0x7f800001
	s_mov_b32 s29, exec_lo
	s_delay_alu instid0(VALU_DEP_2)
	v_cmpx_ne_u32_e32 0x7f, v10
	s_cbranch_execz .LBB321_95
; %bb.92:                               ;   in Loop: Header=BB321_9 Depth=1
	v_dual_lshrrev_b32 v1, 3, v10 :: v_dual_bitop2_b32 v2, 7, v0 bitop3:0x40
	s_mov_b32 s30, exec_lo
	v_cmpx_gt_u32_e32 8, v10
; %bb.93:                               ;   in Loop: Header=BB321_9 Depth=1
	s_delay_alu instid0(VALU_DEP_2) | instskip(NEXT) | instid1(VALU_DEP_1)
	v_clz_i32_u32_e32 v1, v2
	v_min_u32_e32 v1, 32, v1
	s_delay_alu instid0(VALU_DEP_1) | instskip(NEXT) | instid1(VALU_DEP_1)
	v_subrev_nc_u32_e32 v10, 28, v1
	v_lshlrev_b64_e32 v[10:11], v10, v[2:3]
	s_delay_alu instid0(VALU_DEP_1)
	v_dual_sub_nc_u32 v1, 29, v1 :: v_dual_bitop2_b32 v2, 7, v10 bitop3:0x40
; %bb.94:                               ;   in Loop: Header=BB321_9 Depth=1
	s_or_b32 exec_lo, exec_lo, s30
	s_delay_alu instid0(VALU_DEP_1) | instskip(NEXT) | instid1(VALU_DEP_2)
	v_dual_lshlrev_b32 v10, 24, v0 :: v_dual_lshlrev_b32 v2, 20, v2
	v_lshl_add_u32 v1, v1, 23, 0x3c000000
	s_delay_alu instid0(VALU_DEP_2) | instskip(NEXT) | instid1(VALU_DEP_1)
	v_and_b32_e32 v10, 0x80000000, v10
	v_or3_b32 v94, v2, v10, v1
.LBB321_95:                             ;   in Loop: Header=BB321_9 Depth=1
	s_or_b32 exec_lo, exec_lo, s29
.LBB321_96:                             ;   in Loop: Header=BB321_9 Depth=1
	s_delay_alu instid0(SALU_CYCLE_1)
	s_or_b32 exec_lo, exec_lo, s28
.LBB321_97:                             ;   in Loop: Header=BB321_9 Depth=1
	s_delay_alu instid0(SALU_CYCLE_1) | instskip(SKIP_2) | instid1(VALU_DEP_1)
	s_or_b32 exec_lo, exec_lo, s27
	v_lshrrev_b16 v1, 8, v0
	s_mov_b32 s27, exec_lo
	v_cmpx_ne_u16_e32 0, v1
	s_cbranch_execz .LBB321_105
; %bb.98:                               ;   in Loop: Header=BB321_9 Depth=1
	v_bfrev_b32_e32 v93, 1
	s_mov_b32 s28, exec_lo
	v_cmpx_ne_u16_e32 0x80, v1
	s_cbranch_execz .LBB321_104
; %bb.99:                               ;   in Loop: Header=BB321_9 Depth=1
	v_and_b32_e32 v1, 0xffff, v1
	v_mov_b32_e32 v93, 0x7f800001
	s_mov_b32 s29, exec_lo
	s_delay_alu instid0(VALU_DEP_2) | instskip(NEXT) | instid1(VALU_DEP_1)
	v_and_b32_e32 v10, 0x7f, v1
	v_cmpx_ne_u32_e32 0x7f, v10
	s_cbranch_execz .LBB321_103
; %bb.100:                              ;   in Loop: Header=BB321_9 Depth=1
	v_dual_lshrrev_b32 v1, 3, v10 :: v_dual_bitop2_b32 v2, 7, v1 bitop3:0x40
	s_mov_b32 s30, exec_lo
	v_cmpx_gt_u32_e32 8, v10
; %bb.101:                              ;   in Loop: Header=BB321_9 Depth=1
	s_delay_alu instid0(VALU_DEP_2) | instskip(NEXT) | instid1(VALU_DEP_1)
	v_clz_i32_u32_e32 v1, v2
	v_min_u32_e32 v1, 32, v1
	s_delay_alu instid0(VALU_DEP_1) | instskip(NEXT) | instid1(VALU_DEP_1)
	v_subrev_nc_u32_e32 v10, 28, v1
	v_lshlrev_b64_e32 v[10:11], v10, v[2:3]
	s_delay_alu instid0(VALU_DEP_1)
	v_dual_sub_nc_u32 v1, 29, v1 :: v_dual_bitop2_b32 v2, 7, v10 bitop3:0x40
; %bb.102:                              ;   in Loop: Header=BB321_9 Depth=1
	s_or_b32 exec_lo, exec_lo, s30
	s_delay_alu instid0(VALU_DEP_1) | instskip(NEXT) | instid1(VALU_DEP_2)
	v_dual_lshlrev_b32 v0, 16, v0 :: v_dual_lshlrev_b32 v2, 20, v2
	v_lshl_add_u32 v1, v1, 23, 0x3c000000
	s_delay_alu instid0(VALU_DEP_2) | instskip(NEXT) | instid1(VALU_DEP_1)
	v_and_b32_e32 v0, 0x80000000, v0
	v_or3_b32 v93, v2, v0, v1
.LBB321_103:                            ;   in Loop: Header=BB321_9 Depth=1
	s_or_b32 exec_lo, exec_lo, s29
.LBB321_104:                            ;   in Loop: Header=BB321_9 Depth=1
	s_delay_alu instid0(SALU_CYCLE_1)
	s_or_b32 exec_lo, exec_lo, s28
.LBB321_105:                            ;   in Loop: Header=BB321_9 Depth=1
	s_delay_alu instid0(SALU_CYCLE_1)
	s_or_b32 exec_lo, exec_lo, s27
	global_load_u16 v0, v[8:9], off offset:384
	v_dual_mov_b32 v95, 0 :: v_dual_mov_b32 v96, 0
	s_mov_b32 s27, exec_lo
	s_wait_loadcnt 0x0
	v_and_b32_e32 v1, 0xff, v0
	v_and_b32_e32 v0, 0xffff, v0
	s_wait_xcnt 0x0
	s_delay_alu instid0(VALU_DEP_2)
	v_cmpx_ne_u16_e32 0, v1
	s_cbranch_execz .LBB321_113
; %bb.106:                              ;   in Loop: Header=BB321_9 Depth=1
	s_delay_alu instid0(VALU_DEP_2) | instskip(SKIP_2) | instid1(VALU_DEP_2)
	v_and_b32_e32 v1, 0xff, v0
	v_bfrev_b32_e32 v96, 1
	s_mov_b32 s28, exec_lo
	v_cmpx_ne_u16_e32 0x80, v1
	s_cbranch_execz .LBB321_112
; %bb.107:                              ;   in Loop: Header=BB321_9 Depth=1
	v_and_b32_e32 v10, 0x7f, v0
	v_mov_b32_e32 v96, 0x7f800001
	s_mov_b32 s29, exec_lo
	s_delay_alu instid0(VALU_DEP_2)
	v_cmpx_ne_u32_e32 0x7f, v10
	s_cbranch_execz .LBB321_111
; %bb.108:                              ;   in Loop: Header=BB321_9 Depth=1
	v_dual_lshrrev_b32 v1, 3, v10 :: v_dual_bitop2_b32 v2, 7, v0 bitop3:0x40
	s_mov_b32 s30, exec_lo
	v_cmpx_gt_u32_e32 8, v10
; %bb.109:                              ;   in Loop: Header=BB321_9 Depth=1
	s_delay_alu instid0(VALU_DEP_2) | instskip(NEXT) | instid1(VALU_DEP_1)
	v_clz_i32_u32_e32 v1, v2
	v_min_u32_e32 v1, 32, v1
	s_delay_alu instid0(VALU_DEP_1) | instskip(NEXT) | instid1(VALU_DEP_1)
	v_subrev_nc_u32_e32 v10, 28, v1
	v_lshlrev_b64_e32 v[10:11], v10, v[2:3]
	s_delay_alu instid0(VALU_DEP_1)
	v_dual_sub_nc_u32 v1, 29, v1 :: v_dual_bitop2_b32 v2, 7, v10 bitop3:0x40
; %bb.110:                              ;   in Loop: Header=BB321_9 Depth=1
	s_or_b32 exec_lo, exec_lo, s30
	s_delay_alu instid0(VALU_DEP_1) | instskip(NEXT) | instid1(VALU_DEP_2)
	v_dual_lshlrev_b32 v10, 24, v0 :: v_dual_lshlrev_b32 v2, 20, v2
	v_lshl_add_u32 v1, v1, 23, 0x3c000000
	s_delay_alu instid0(VALU_DEP_2) | instskip(NEXT) | instid1(VALU_DEP_1)
	v_and_b32_e32 v10, 0x80000000, v10
	v_or3_b32 v96, v2, v10, v1
.LBB321_111:                            ;   in Loop: Header=BB321_9 Depth=1
	s_or_b32 exec_lo, exec_lo, s29
.LBB321_112:                            ;   in Loop: Header=BB321_9 Depth=1
	s_delay_alu instid0(SALU_CYCLE_1)
	s_or_b32 exec_lo, exec_lo, s28
.LBB321_113:                            ;   in Loop: Header=BB321_9 Depth=1
	s_delay_alu instid0(SALU_CYCLE_1) | instskip(SKIP_2) | instid1(VALU_DEP_1)
	s_or_b32 exec_lo, exec_lo, s27
	v_lshrrev_b16 v1, 8, v0
	s_mov_b32 s27, exec_lo
	v_cmpx_ne_u16_e32 0, v1
	s_cbranch_execz .LBB321_121
; %bb.114:                              ;   in Loop: Header=BB321_9 Depth=1
	v_bfrev_b32_e32 v95, 1
	s_mov_b32 s28, exec_lo
	v_cmpx_ne_u16_e32 0x80, v1
	s_cbranch_execz .LBB321_120
; %bb.115:                              ;   in Loop: Header=BB321_9 Depth=1
	v_and_b32_e32 v1, 0xffff, v1
	v_mov_b32_e32 v95, 0x7f800001
	s_mov_b32 s29, exec_lo
	s_delay_alu instid0(VALU_DEP_2) | instskip(NEXT) | instid1(VALU_DEP_1)
	v_and_b32_e32 v10, 0x7f, v1
	v_cmpx_ne_u32_e32 0x7f, v10
	s_cbranch_execz .LBB321_119
; %bb.116:                              ;   in Loop: Header=BB321_9 Depth=1
	v_dual_lshrrev_b32 v1, 3, v10 :: v_dual_bitop2_b32 v2, 7, v1 bitop3:0x40
	s_mov_b32 s30, exec_lo
	v_cmpx_gt_u32_e32 8, v10
; %bb.117:                              ;   in Loop: Header=BB321_9 Depth=1
	s_delay_alu instid0(VALU_DEP_2) | instskip(NEXT) | instid1(VALU_DEP_1)
	v_clz_i32_u32_e32 v1, v2
	v_min_u32_e32 v1, 32, v1
	s_delay_alu instid0(VALU_DEP_1) | instskip(NEXT) | instid1(VALU_DEP_1)
	v_subrev_nc_u32_e32 v10, 28, v1
	v_lshlrev_b64_e32 v[10:11], v10, v[2:3]
	s_delay_alu instid0(VALU_DEP_1)
	v_dual_sub_nc_u32 v1, 29, v1 :: v_dual_bitop2_b32 v2, 7, v10 bitop3:0x40
; %bb.118:                              ;   in Loop: Header=BB321_9 Depth=1
	s_or_b32 exec_lo, exec_lo, s30
	s_delay_alu instid0(VALU_DEP_1) | instskip(NEXT) | instid1(VALU_DEP_2)
	v_dual_lshlrev_b32 v0, 16, v0 :: v_dual_lshlrev_b32 v2, 20, v2
	v_lshl_add_u32 v1, v1, 23, 0x3c000000
	s_delay_alu instid0(VALU_DEP_2) | instskip(NEXT) | instid1(VALU_DEP_1)
	v_and_b32_e32 v0, 0x80000000, v0
	v_or3_b32 v95, v2, v0, v1
.LBB321_119:                            ;   in Loop: Header=BB321_9 Depth=1
	s_or_b32 exec_lo, exec_lo, s29
.LBB321_120:                            ;   in Loop: Header=BB321_9 Depth=1
	s_delay_alu instid0(SALU_CYCLE_1)
	s_or_b32 exec_lo, exec_lo, s28
.LBB321_121:                            ;   in Loop: Header=BB321_9 Depth=1
	s_delay_alu instid0(SALU_CYCLE_1)
	s_or_b32 exec_lo, exec_lo, s27
	global_load_u16 v0, v[8:9], off offset:392
	v_dual_mov_b32 v97, 0 :: v_dual_mov_b32 v98, 0
	s_mov_b32 s27, exec_lo
	s_wait_loadcnt 0x0
	v_and_b32_e32 v1, 0xff, v0
	v_and_b32_e32 v0, 0xffff, v0
	s_wait_xcnt 0x0
	s_delay_alu instid0(VALU_DEP_2)
	v_cmpx_ne_u16_e32 0, v1
	s_cbranch_execz .LBB321_129
; %bb.122:                              ;   in Loop: Header=BB321_9 Depth=1
	s_delay_alu instid0(VALU_DEP_2) | instskip(SKIP_2) | instid1(VALU_DEP_2)
	v_and_b32_e32 v1, 0xff, v0
	v_bfrev_b32_e32 v98, 1
	s_mov_b32 s28, exec_lo
	v_cmpx_ne_u16_e32 0x80, v1
	s_cbranch_execz .LBB321_128
; %bb.123:                              ;   in Loop: Header=BB321_9 Depth=1
	v_and_b32_e32 v10, 0x7f, v0
	v_mov_b32_e32 v98, 0x7f800001
	s_mov_b32 s29, exec_lo
	s_delay_alu instid0(VALU_DEP_2)
	v_cmpx_ne_u32_e32 0x7f, v10
	s_cbranch_execz .LBB321_127
; %bb.124:                              ;   in Loop: Header=BB321_9 Depth=1
	v_dual_lshrrev_b32 v1, 3, v10 :: v_dual_bitop2_b32 v2, 7, v0 bitop3:0x40
	s_mov_b32 s30, exec_lo
	v_cmpx_gt_u32_e32 8, v10
; %bb.125:                              ;   in Loop: Header=BB321_9 Depth=1
	s_delay_alu instid0(VALU_DEP_2) | instskip(NEXT) | instid1(VALU_DEP_1)
	v_clz_i32_u32_e32 v1, v2
	v_min_u32_e32 v1, 32, v1
	s_delay_alu instid0(VALU_DEP_1) | instskip(NEXT) | instid1(VALU_DEP_1)
	v_subrev_nc_u32_e32 v10, 28, v1
	v_lshlrev_b64_e32 v[10:11], v10, v[2:3]
	s_delay_alu instid0(VALU_DEP_1)
	v_dual_sub_nc_u32 v1, 29, v1 :: v_dual_bitop2_b32 v2, 7, v10 bitop3:0x40
; %bb.126:                              ;   in Loop: Header=BB321_9 Depth=1
	s_or_b32 exec_lo, exec_lo, s30
	s_delay_alu instid0(VALU_DEP_1) | instskip(NEXT) | instid1(VALU_DEP_2)
	v_dual_lshlrev_b32 v10, 24, v0 :: v_dual_lshlrev_b32 v2, 20, v2
	v_lshl_add_u32 v1, v1, 23, 0x3c000000
	s_delay_alu instid0(VALU_DEP_2) | instskip(NEXT) | instid1(VALU_DEP_1)
	v_and_b32_e32 v10, 0x80000000, v10
	v_or3_b32 v98, v2, v10, v1
.LBB321_127:                            ;   in Loop: Header=BB321_9 Depth=1
	s_or_b32 exec_lo, exec_lo, s29
.LBB321_128:                            ;   in Loop: Header=BB321_9 Depth=1
	s_delay_alu instid0(SALU_CYCLE_1)
	s_or_b32 exec_lo, exec_lo, s28
.LBB321_129:                            ;   in Loop: Header=BB321_9 Depth=1
	s_delay_alu instid0(SALU_CYCLE_1) | instskip(SKIP_2) | instid1(VALU_DEP_1)
	s_or_b32 exec_lo, exec_lo, s27
	v_lshrrev_b16 v1, 8, v0
	s_mov_b32 s27, exec_lo
	v_cmpx_ne_u16_e32 0, v1
	s_cbranch_execz .LBB321_137
; %bb.130:                              ;   in Loop: Header=BB321_9 Depth=1
	v_bfrev_b32_e32 v97, 1
	s_mov_b32 s28, exec_lo
	v_cmpx_ne_u16_e32 0x80, v1
	s_cbranch_execz .LBB321_136
; %bb.131:                              ;   in Loop: Header=BB321_9 Depth=1
	v_and_b32_e32 v1, 0xffff, v1
	v_mov_b32_e32 v97, 0x7f800001
	s_mov_b32 s29, exec_lo
	s_delay_alu instid0(VALU_DEP_2) | instskip(NEXT) | instid1(VALU_DEP_1)
	v_and_b32_e32 v10, 0x7f, v1
	v_cmpx_ne_u32_e32 0x7f, v10
	s_cbranch_execz .LBB321_135
; %bb.132:                              ;   in Loop: Header=BB321_9 Depth=1
	v_dual_lshrrev_b32 v1, 3, v10 :: v_dual_bitop2_b32 v2, 7, v1 bitop3:0x40
	s_mov_b32 s30, exec_lo
	v_cmpx_gt_u32_e32 8, v10
; %bb.133:                              ;   in Loop: Header=BB321_9 Depth=1
	s_delay_alu instid0(VALU_DEP_2) | instskip(NEXT) | instid1(VALU_DEP_1)
	v_clz_i32_u32_e32 v1, v2
	v_min_u32_e32 v1, 32, v1
	s_delay_alu instid0(VALU_DEP_1) | instskip(NEXT) | instid1(VALU_DEP_1)
	v_subrev_nc_u32_e32 v10, 28, v1
	v_lshlrev_b64_e32 v[10:11], v10, v[2:3]
	s_delay_alu instid0(VALU_DEP_1)
	v_dual_sub_nc_u32 v1, 29, v1 :: v_dual_bitop2_b32 v2, 7, v10 bitop3:0x40
; %bb.134:                              ;   in Loop: Header=BB321_9 Depth=1
	s_or_b32 exec_lo, exec_lo, s30
	s_delay_alu instid0(VALU_DEP_1) | instskip(NEXT) | instid1(VALU_DEP_2)
	v_dual_lshlrev_b32 v0, 16, v0 :: v_dual_lshlrev_b32 v2, 20, v2
	v_lshl_add_u32 v1, v1, 23, 0x3c000000
	s_delay_alu instid0(VALU_DEP_2) | instskip(NEXT) | instid1(VALU_DEP_1)
	v_and_b32_e32 v0, 0x80000000, v0
	v_or3_b32 v97, v2, v0, v1
.LBB321_135:                            ;   in Loop: Header=BB321_9 Depth=1
	s_or_b32 exec_lo, exec_lo, s29
.LBB321_136:                            ;   in Loop: Header=BB321_9 Depth=1
	s_delay_alu instid0(SALU_CYCLE_1)
	s_or_b32 exec_lo, exec_lo, s28
.LBB321_137:                            ;   in Loop: Header=BB321_9 Depth=1
	s_delay_alu instid0(SALU_CYCLE_1)
	s_or_b32 exec_lo, exec_lo, s27
	global_load_u16 v0, v[8:9], off offset:512
	v_dual_mov_b32 v99, 0 :: v_dual_mov_b32 v100, 0
	s_mov_b32 s27, exec_lo
	s_wait_loadcnt 0x0
	v_and_b32_e32 v1, 0xff, v0
	v_and_b32_e32 v0, 0xffff, v0
	s_wait_xcnt 0x0
	s_delay_alu instid0(VALU_DEP_2)
	v_cmpx_ne_u16_e32 0, v1
	s_cbranch_execz .LBB321_145
; %bb.138:                              ;   in Loop: Header=BB321_9 Depth=1
	s_delay_alu instid0(VALU_DEP_2) | instskip(SKIP_2) | instid1(VALU_DEP_2)
	v_and_b32_e32 v1, 0xff, v0
	v_bfrev_b32_e32 v100, 1
	s_mov_b32 s28, exec_lo
	v_cmpx_ne_u16_e32 0x80, v1
	s_cbranch_execz .LBB321_144
; %bb.139:                              ;   in Loop: Header=BB321_9 Depth=1
	v_and_b32_e32 v10, 0x7f, v0
	v_mov_b32_e32 v100, 0x7f800001
	s_mov_b32 s29, exec_lo
	s_delay_alu instid0(VALU_DEP_2)
	v_cmpx_ne_u32_e32 0x7f, v10
	s_cbranch_execz .LBB321_143
; %bb.140:                              ;   in Loop: Header=BB321_9 Depth=1
	v_dual_lshrrev_b32 v1, 3, v10 :: v_dual_bitop2_b32 v2, 7, v0 bitop3:0x40
	s_mov_b32 s30, exec_lo
	v_cmpx_gt_u32_e32 8, v10
; %bb.141:                              ;   in Loop: Header=BB321_9 Depth=1
	s_delay_alu instid0(VALU_DEP_2) | instskip(NEXT) | instid1(VALU_DEP_1)
	v_clz_i32_u32_e32 v1, v2
	v_min_u32_e32 v1, 32, v1
	s_delay_alu instid0(VALU_DEP_1) | instskip(NEXT) | instid1(VALU_DEP_1)
	v_subrev_nc_u32_e32 v10, 28, v1
	v_lshlrev_b64_e32 v[10:11], v10, v[2:3]
	s_delay_alu instid0(VALU_DEP_1)
	v_dual_sub_nc_u32 v1, 29, v1 :: v_dual_bitop2_b32 v2, 7, v10 bitop3:0x40
; %bb.142:                              ;   in Loop: Header=BB321_9 Depth=1
	s_or_b32 exec_lo, exec_lo, s30
	s_delay_alu instid0(VALU_DEP_1) | instskip(NEXT) | instid1(VALU_DEP_2)
	v_dual_lshlrev_b32 v10, 24, v0 :: v_dual_lshlrev_b32 v2, 20, v2
	v_lshl_add_u32 v1, v1, 23, 0x3c000000
	s_delay_alu instid0(VALU_DEP_2) | instskip(NEXT) | instid1(VALU_DEP_1)
	v_and_b32_e32 v10, 0x80000000, v10
	v_or3_b32 v100, v2, v10, v1
.LBB321_143:                            ;   in Loop: Header=BB321_9 Depth=1
	s_or_b32 exec_lo, exec_lo, s29
.LBB321_144:                            ;   in Loop: Header=BB321_9 Depth=1
	s_delay_alu instid0(SALU_CYCLE_1)
	s_or_b32 exec_lo, exec_lo, s28
.LBB321_145:                            ;   in Loop: Header=BB321_9 Depth=1
	s_delay_alu instid0(SALU_CYCLE_1) | instskip(SKIP_2) | instid1(VALU_DEP_1)
	s_or_b32 exec_lo, exec_lo, s27
	v_lshrrev_b16 v1, 8, v0
	s_mov_b32 s27, exec_lo
	v_cmpx_ne_u16_e32 0, v1
	s_cbranch_execz .LBB321_153
; %bb.146:                              ;   in Loop: Header=BB321_9 Depth=1
	v_bfrev_b32_e32 v99, 1
	s_mov_b32 s28, exec_lo
	v_cmpx_ne_u16_e32 0x80, v1
	s_cbranch_execz .LBB321_152
; %bb.147:                              ;   in Loop: Header=BB321_9 Depth=1
	v_and_b32_e32 v1, 0xffff, v1
	v_mov_b32_e32 v99, 0x7f800001
	s_mov_b32 s29, exec_lo
	s_delay_alu instid0(VALU_DEP_2) | instskip(NEXT) | instid1(VALU_DEP_1)
	v_and_b32_e32 v10, 0x7f, v1
	v_cmpx_ne_u32_e32 0x7f, v10
	s_cbranch_execz .LBB321_151
; %bb.148:                              ;   in Loop: Header=BB321_9 Depth=1
	v_dual_lshrrev_b32 v1, 3, v10 :: v_dual_bitop2_b32 v2, 7, v1 bitop3:0x40
	s_mov_b32 s30, exec_lo
	v_cmpx_gt_u32_e32 8, v10
; %bb.149:                              ;   in Loop: Header=BB321_9 Depth=1
	s_delay_alu instid0(VALU_DEP_2) | instskip(NEXT) | instid1(VALU_DEP_1)
	v_clz_i32_u32_e32 v1, v2
	v_min_u32_e32 v1, 32, v1
	s_delay_alu instid0(VALU_DEP_1) | instskip(NEXT) | instid1(VALU_DEP_1)
	v_subrev_nc_u32_e32 v10, 28, v1
	v_lshlrev_b64_e32 v[10:11], v10, v[2:3]
	s_delay_alu instid0(VALU_DEP_1)
	v_dual_sub_nc_u32 v1, 29, v1 :: v_dual_bitop2_b32 v2, 7, v10 bitop3:0x40
; %bb.150:                              ;   in Loop: Header=BB321_9 Depth=1
	s_or_b32 exec_lo, exec_lo, s30
	s_delay_alu instid0(VALU_DEP_1) | instskip(NEXT) | instid1(VALU_DEP_2)
	v_dual_lshlrev_b32 v0, 16, v0 :: v_dual_lshlrev_b32 v2, 20, v2
	v_lshl_add_u32 v1, v1, 23, 0x3c000000
	s_delay_alu instid0(VALU_DEP_2) | instskip(NEXT) | instid1(VALU_DEP_1)
	v_and_b32_e32 v0, 0x80000000, v0
	v_or3_b32 v99, v2, v0, v1
.LBB321_151:                            ;   in Loop: Header=BB321_9 Depth=1
	s_or_b32 exec_lo, exec_lo, s29
.LBB321_152:                            ;   in Loop: Header=BB321_9 Depth=1
	s_delay_alu instid0(SALU_CYCLE_1)
	s_or_b32 exec_lo, exec_lo, s28
.LBB321_153:                            ;   in Loop: Header=BB321_9 Depth=1
	s_delay_alu instid0(SALU_CYCLE_1)
	s_or_b32 exec_lo, exec_lo, s27
	global_load_u16 v0, v[8:9], off offset:520
	v_dual_mov_b32 v101, 0 :: v_dual_mov_b32 v102, 0
	s_mov_b32 s27, exec_lo
	s_wait_loadcnt 0x0
	v_and_b32_e32 v1, 0xff, v0
	v_and_b32_e32 v0, 0xffff, v0
	s_wait_xcnt 0x0
	s_delay_alu instid0(VALU_DEP_2)
	v_cmpx_ne_u16_e32 0, v1
	s_cbranch_execz .LBB321_161
; %bb.154:                              ;   in Loop: Header=BB321_9 Depth=1
	s_delay_alu instid0(VALU_DEP_2) | instskip(SKIP_2) | instid1(VALU_DEP_2)
	v_and_b32_e32 v1, 0xff, v0
	v_bfrev_b32_e32 v102, 1
	s_mov_b32 s28, exec_lo
	v_cmpx_ne_u16_e32 0x80, v1
	s_cbranch_execz .LBB321_160
; %bb.155:                              ;   in Loop: Header=BB321_9 Depth=1
	v_and_b32_e32 v10, 0x7f, v0
	v_mov_b32_e32 v102, 0x7f800001
	s_mov_b32 s29, exec_lo
	s_delay_alu instid0(VALU_DEP_2)
	v_cmpx_ne_u32_e32 0x7f, v10
	s_cbranch_execz .LBB321_159
; %bb.156:                              ;   in Loop: Header=BB321_9 Depth=1
	v_dual_lshrrev_b32 v1, 3, v10 :: v_dual_bitop2_b32 v2, 7, v0 bitop3:0x40
	s_mov_b32 s30, exec_lo
	v_cmpx_gt_u32_e32 8, v10
; %bb.157:                              ;   in Loop: Header=BB321_9 Depth=1
	s_delay_alu instid0(VALU_DEP_2) | instskip(NEXT) | instid1(VALU_DEP_1)
	v_clz_i32_u32_e32 v1, v2
	v_min_u32_e32 v1, 32, v1
	s_delay_alu instid0(VALU_DEP_1) | instskip(NEXT) | instid1(VALU_DEP_1)
	v_subrev_nc_u32_e32 v10, 28, v1
	v_lshlrev_b64_e32 v[10:11], v10, v[2:3]
	s_delay_alu instid0(VALU_DEP_1)
	v_dual_sub_nc_u32 v1, 29, v1 :: v_dual_bitop2_b32 v2, 7, v10 bitop3:0x40
; %bb.158:                              ;   in Loop: Header=BB321_9 Depth=1
	s_or_b32 exec_lo, exec_lo, s30
	s_delay_alu instid0(VALU_DEP_1) | instskip(NEXT) | instid1(VALU_DEP_2)
	v_dual_lshlrev_b32 v10, 24, v0 :: v_dual_lshlrev_b32 v2, 20, v2
	v_lshl_add_u32 v1, v1, 23, 0x3c000000
	s_delay_alu instid0(VALU_DEP_2) | instskip(NEXT) | instid1(VALU_DEP_1)
	v_and_b32_e32 v10, 0x80000000, v10
	v_or3_b32 v102, v2, v10, v1
.LBB321_159:                            ;   in Loop: Header=BB321_9 Depth=1
	s_or_b32 exec_lo, exec_lo, s29
.LBB321_160:                            ;   in Loop: Header=BB321_9 Depth=1
	s_delay_alu instid0(SALU_CYCLE_1)
	s_or_b32 exec_lo, exec_lo, s28
.LBB321_161:                            ;   in Loop: Header=BB321_9 Depth=1
	s_delay_alu instid0(SALU_CYCLE_1) | instskip(SKIP_2) | instid1(VALU_DEP_1)
	s_or_b32 exec_lo, exec_lo, s27
	v_lshrrev_b16 v1, 8, v0
	s_mov_b32 s27, exec_lo
	v_cmpx_ne_u16_e32 0, v1
	s_cbranch_execz .LBB321_169
; %bb.162:                              ;   in Loop: Header=BB321_9 Depth=1
	v_bfrev_b32_e32 v101, 1
	s_mov_b32 s28, exec_lo
	v_cmpx_ne_u16_e32 0x80, v1
	s_cbranch_execz .LBB321_168
; %bb.163:                              ;   in Loop: Header=BB321_9 Depth=1
	v_and_b32_e32 v1, 0xffff, v1
	v_mov_b32_e32 v101, 0x7f800001
	s_mov_b32 s29, exec_lo
	s_delay_alu instid0(VALU_DEP_2) | instskip(NEXT) | instid1(VALU_DEP_1)
	v_and_b32_e32 v10, 0x7f, v1
	v_cmpx_ne_u32_e32 0x7f, v10
	s_cbranch_execz .LBB321_167
; %bb.164:                              ;   in Loop: Header=BB321_9 Depth=1
	v_dual_lshrrev_b32 v1, 3, v10 :: v_dual_bitop2_b32 v2, 7, v1 bitop3:0x40
	s_mov_b32 s30, exec_lo
	v_cmpx_gt_u32_e32 8, v10
; %bb.165:                              ;   in Loop: Header=BB321_9 Depth=1
	s_delay_alu instid0(VALU_DEP_2) | instskip(NEXT) | instid1(VALU_DEP_1)
	v_clz_i32_u32_e32 v1, v2
	v_min_u32_e32 v1, 32, v1
	s_delay_alu instid0(VALU_DEP_1) | instskip(NEXT) | instid1(VALU_DEP_1)
	v_subrev_nc_u32_e32 v10, 28, v1
	v_lshlrev_b64_e32 v[10:11], v10, v[2:3]
	s_delay_alu instid0(VALU_DEP_1)
	v_dual_sub_nc_u32 v1, 29, v1 :: v_dual_bitop2_b32 v2, 7, v10 bitop3:0x40
; %bb.166:                              ;   in Loop: Header=BB321_9 Depth=1
	s_or_b32 exec_lo, exec_lo, s30
	s_delay_alu instid0(VALU_DEP_1) | instskip(NEXT) | instid1(VALU_DEP_2)
	v_dual_lshlrev_b32 v0, 16, v0 :: v_dual_lshlrev_b32 v2, 20, v2
	v_lshl_add_u32 v1, v1, 23, 0x3c000000
	s_delay_alu instid0(VALU_DEP_2) | instskip(NEXT) | instid1(VALU_DEP_1)
	v_and_b32_e32 v0, 0x80000000, v0
	v_or3_b32 v101, v2, v0, v1
.LBB321_167:                            ;   in Loop: Header=BB321_9 Depth=1
	s_or_b32 exec_lo, exec_lo, s29
.LBB321_168:                            ;   in Loop: Header=BB321_9 Depth=1
	s_delay_alu instid0(SALU_CYCLE_1)
	s_or_b32 exec_lo, exec_lo, s28
.LBB321_169:                            ;   in Loop: Header=BB321_9 Depth=1
	s_delay_alu instid0(SALU_CYCLE_1)
	s_or_b32 exec_lo, exec_lo, s27
	global_load_u16 v0, v[8:9], off offset:640
	v_dual_mov_b32 v103, 0 :: v_dual_mov_b32 v104, 0
	s_mov_b32 s27, exec_lo
	s_wait_loadcnt 0x0
	v_and_b32_e32 v1, 0xff, v0
	v_and_b32_e32 v0, 0xffff, v0
	s_wait_xcnt 0x0
	s_delay_alu instid0(VALU_DEP_2)
	v_cmpx_ne_u16_e32 0, v1
	s_cbranch_execz .LBB321_177
; %bb.170:                              ;   in Loop: Header=BB321_9 Depth=1
	s_delay_alu instid0(VALU_DEP_2) | instskip(SKIP_2) | instid1(VALU_DEP_2)
	v_and_b32_e32 v1, 0xff, v0
	v_bfrev_b32_e32 v104, 1
	s_mov_b32 s28, exec_lo
	v_cmpx_ne_u16_e32 0x80, v1
	s_cbranch_execz .LBB321_176
; %bb.171:                              ;   in Loop: Header=BB321_9 Depth=1
	v_and_b32_e32 v10, 0x7f, v0
	v_mov_b32_e32 v104, 0x7f800001
	s_mov_b32 s29, exec_lo
	s_delay_alu instid0(VALU_DEP_2)
	v_cmpx_ne_u32_e32 0x7f, v10
	s_cbranch_execz .LBB321_175
; %bb.172:                              ;   in Loop: Header=BB321_9 Depth=1
	v_dual_lshrrev_b32 v1, 3, v10 :: v_dual_bitop2_b32 v2, 7, v0 bitop3:0x40
	s_mov_b32 s30, exec_lo
	v_cmpx_gt_u32_e32 8, v10
; %bb.173:                              ;   in Loop: Header=BB321_9 Depth=1
	s_delay_alu instid0(VALU_DEP_2) | instskip(NEXT) | instid1(VALU_DEP_1)
	v_clz_i32_u32_e32 v1, v2
	v_min_u32_e32 v1, 32, v1
	s_delay_alu instid0(VALU_DEP_1) | instskip(NEXT) | instid1(VALU_DEP_1)
	v_subrev_nc_u32_e32 v10, 28, v1
	v_lshlrev_b64_e32 v[10:11], v10, v[2:3]
	s_delay_alu instid0(VALU_DEP_1)
	v_dual_sub_nc_u32 v1, 29, v1 :: v_dual_bitop2_b32 v2, 7, v10 bitop3:0x40
; %bb.174:                              ;   in Loop: Header=BB321_9 Depth=1
	s_or_b32 exec_lo, exec_lo, s30
	s_delay_alu instid0(VALU_DEP_1) | instskip(NEXT) | instid1(VALU_DEP_2)
	v_dual_lshlrev_b32 v10, 24, v0 :: v_dual_lshlrev_b32 v2, 20, v2
	v_lshl_add_u32 v1, v1, 23, 0x3c000000
	s_delay_alu instid0(VALU_DEP_2) | instskip(NEXT) | instid1(VALU_DEP_1)
	v_and_b32_e32 v10, 0x80000000, v10
	v_or3_b32 v104, v2, v10, v1
.LBB321_175:                            ;   in Loop: Header=BB321_9 Depth=1
	s_or_b32 exec_lo, exec_lo, s29
.LBB321_176:                            ;   in Loop: Header=BB321_9 Depth=1
	s_delay_alu instid0(SALU_CYCLE_1)
	s_or_b32 exec_lo, exec_lo, s28
.LBB321_177:                            ;   in Loop: Header=BB321_9 Depth=1
	s_delay_alu instid0(SALU_CYCLE_1) | instskip(SKIP_2) | instid1(VALU_DEP_1)
	s_or_b32 exec_lo, exec_lo, s27
	v_lshrrev_b16 v1, 8, v0
	s_mov_b32 s27, exec_lo
	v_cmpx_ne_u16_e32 0, v1
	s_cbranch_execz .LBB321_185
; %bb.178:                              ;   in Loop: Header=BB321_9 Depth=1
	v_bfrev_b32_e32 v103, 1
	s_mov_b32 s28, exec_lo
	v_cmpx_ne_u16_e32 0x80, v1
	s_cbranch_execz .LBB321_184
; %bb.179:                              ;   in Loop: Header=BB321_9 Depth=1
	v_and_b32_e32 v1, 0xffff, v1
	v_mov_b32_e32 v103, 0x7f800001
	s_mov_b32 s29, exec_lo
	s_delay_alu instid0(VALU_DEP_2) | instskip(NEXT) | instid1(VALU_DEP_1)
	v_and_b32_e32 v10, 0x7f, v1
	v_cmpx_ne_u32_e32 0x7f, v10
	s_cbranch_execz .LBB321_183
; %bb.180:                              ;   in Loop: Header=BB321_9 Depth=1
	v_dual_lshrrev_b32 v1, 3, v10 :: v_dual_bitop2_b32 v2, 7, v1 bitop3:0x40
	s_mov_b32 s30, exec_lo
	v_cmpx_gt_u32_e32 8, v10
; %bb.181:                              ;   in Loop: Header=BB321_9 Depth=1
	s_delay_alu instid0(VALU_DEP_2) | instskip(NEXT) | instid1(VALU_DEP_1)
	v_clz_i32_u32_e32 v1, v2
	v_min_u32_e32 v1, 32, v1
	s_delay_alu instid0(VALU_DEP_1) | instskip(NEXT) | instid1(VALU_DEP_1)
	v_subrev_nc_u32_e32 v10, 28, v1
	v_lshlrev_b64_e32 v[10:11], v10, v[2:3]
	s_delay_alu instid0(VALU_DEP_1)
	v_dual_sub_nc_u32 v1, 29, v1 :: v_dual_bitop2_b32 v2, 7, v10 bitop3:0x40
; %bb.182:                              ;   in Loop: Header=BB321_9 Depth=1
	s_or_b32 exec_lo, exec_lo, s30
	s_delay_alu instid0(VALU_DEP_1) | instskip(NEXT) | instid1(VALU_DEP_2)
	v_dual_lshlrev_b32 v0, 16, v0 :: v_dual_lshlrev_b32 v2, 20, v2
	v_lshl_add_u32 v1, v1, 23, 0x3c000000
	s_delay_alu instid0(VALU_DEP_2) | instskip(NEXT) | instid1(VALU_DEP_1)
	v_and_b32_e32 v0, 0x80000000, v0
	v_or3_b32 v103, v2, v0, v1
.LBB321_183:                            ;   in Loop: Header=BB321_9 Depth=1
	s_or_b32 exec_lo, exec_lo, s29
.LBB321_184:                            ;   in Loop: Header=BB321_9 Depth=1
	s_delay_alu instid0(SALU_CYCLE_1)
	s_or_b32 exec_lo, exec_lo, s28
.LBB321_185:                            ;   in Loop: Header=BB321_9 Depth=1
	s_delay_alu instid0(SALU_CYCLE_1)
	s_or_b32 exec_lo, exec_lo, s27
	global_load_u16 v0, v[8:9], off offset:648
	v_dual_mov_b32 v105, 0 :: v_dual_mov_b32 v106, 0
	s_mov_b32 s27, exec_lo
	s_wait_loadcnt 0x0
	v_and_b32_e32 v1, 0xff, v0
	v_and_b32_e32 v0, 0xffff, v0
	s_wait_xcnt 0x0
	s_delay_alu instid0(VALU_DEP_2)
	v_cmpx_ne_u16_e32 0, v1
	s_cbranch_execz .LBB321_193
; %bb.186:                              ;   in Loop: Header=BB321_9 Depth=1
	s_delay_alu instid0(VALU_DEP_2) | instskip(SKIP_2) | instid1(VALU_DEP_2)
	v_and_b32_e32 v1, 0xff, v0
	v_bfrev_b32_e32 v106, 1
	s_mov_b32 s28, exec_lo
	v_cmpx_ne_u16_e32 0x80, v1
	s_cbranch_execz .LBB321_192
; %bb.187:                              ;   in Loop: Header=BB321_9 Depth=1
	v_and_b32_e32 v10, 0x7f, v0
	v_mov_b32_e32 v106, 0x7f800001
	s_mov_b32 s29, exec_lo
	s_delay_alu instid0(VALU_DEP_2)
	v_cmpx_ne_u32_e32 0x7f, v10
	s_cbranch_execz .LBB321_191
; %bb.188:                              ;   in Loop: Header=BB321_9 Depth=1
	v_dual_lshrrev_b32 v1, 3, v10 :: v_dual_bitop2_b32 v2, 7, v0 bitop3:0x40
	s_mov_b32 s30, exec_lo
	v_cmpx_gt_u32_e32 8, v10
; %bb.189:                              ;   in Loop: Header=BB321_9 Depth=1
	s_delay_alu instid0(VALU_DEP_2) | instskip(NEXT) | instid1(VALU_DEP_1)
	v_clz_i32_u32_e32 v1, v2
	v_min_u32_e32 v1, 32, v1
	s_delay_alu instid0(VALU_DEP_1) | instskip(NEXT) | instid1(VALU_DEP_1)
	v_subrev_nc_u32_e32 v10, 28, v1
	v_lshlrev_b64_e32 v[10:11], v10, v[2:3]
	s_delay_alu instid0(VALU_DEP_1)
	v_dual_sub_nc_u32 v1, 29, v1 :: v_dual_bitop2_b32 v2, 7, v10 bitop3:0x40
; %bb.190:                              ;   in Loop: Header=BB321_9 Depth=1
	s_or_b32 exec_lo, exec_lo, s30
	s_delay_alu instid0(VALU_DEP_1) | instskip(NEXT) | instid1(VALU_DEP_2)
	v_dual_lshlrev_b32 v10, 24, v0 :: v_dual_lshlrev_b32 v2, 20, v2
	v_lshl_add_u32 v1, v1, 23, 0x3c000000
	s_delay_alu instid0(VALU_DEP_2) | instskip(NEXT) | instid1(VALU_DEP_1)
	v_and_b32_e32 v10, 0x80000000, v10
	v_or3_b32 v106, v2, v10, v1
.LBB321_191:                            ;   in Loop: Header=BB321_9 Depth=1
	s_or_b32 exec_lo, exec_lo, s29
.LBB321_192:                            ;   in Loop: Header=BB321_9 Depth=1
	s_delay_alu instid0(SALU_CYCLE_1)
	s_or_b32 exec_lo, exec_lo, s28
.LBB321_193:                            ;   in Loop: Header=BB321_9 Depth=1
	s_delay_alu instid0(SALU_CYCLE_1) | instskip(SKIP_2) | instid1(VALU_DEP_1)
	s_or_b32 exec_lo, exec_lo, s27
	v_lshrrev_b16 v1, 8, v0
	s_mov_b32 s27, exec_lo
	v_cmpx_ne_u16_e32 0, v1
	s_cbranch_execz .LBB321_201
; %bb.194:                              ;   in Loop: Header=BB321_9 Depth=1
	v_bfrev_b32_e32 v105, 1
	s_mov_b32 s28, exec_lo
	v_cmpx_ne_u16_e32 0x80, v1
	s_cbranch_execz .LBB321_200
; %bb.195:                              ;   in Loop: Header=BB321_9 Depth=1
	v_and_b32_e32 v1, 0xffff, v1
	v_mov_b32_e32 v105, 0x7f800001
	s_mov_b32 s29, exec_lo
	s_delay_alu instid0(VALU_DEP_2) | instskip(NEXT) | instid1(VALU_DEP_1)
	v_and_b32_e32 v10, 0x7f, v1
	v_cmpx_ne_u32_e32 0x7f, v10
	s_cbranch_execz .LBB321_199
; %bb.196:                              ;   in Loop: Header=BB321_9 Depth=1
	v_dual_lshrrev_b32 v1, 3, v10 :: v_dual_bitop2_b32 v2, 7, v1 bitop3:0x40
	s_mov_b32 s30, exec_lo
	v_cmpx_gt_u32_e32 8, v10
; %bb.197:                              ;   in Loop: Header=BB321_9 Depth=1
	s_delay_alu instid0(VALU_DEP_2) | instskip(NEXT) | instid1(VALU_DEP_1)
	v_clz_i32_u32_e32 v1, v2
	v_min_u32_e32 v1, 32, v1
	s_delay_alu instid0(VALU_DEP_1) | instskip(NEXT) | instid1(VALU_DEP_1)
	v_subrev_nc_u32_e32 v10, 28, v1
	v_lshlrev_b64_e32 v[10:11], v10, v[2:3]
	s_delay_alu instid0(VALU_DEP_1)
	v_dual_sub_nc_u32 v1, 29, v1 :: v_dual_bitop2_b32 v2, 7, v10 bitop3:0x40
; %bb.198:                              ;   in Loop: Header=BB321_9 Depth=1
	s_or_b32 exec_lo, exec_lo, s30
	s_delay_alu instid0(VALU_DEP_1) | instskip(NEXT) | instid1(VALU_DEP_2)
	v_dual_lshlrev_b32 v0, 16, v0 :: v_dual_lshlrev_b32 v2, 20, v2
	v_lshl_add_u32 v1, v1, 23, 0x3c000000
	s_delay_alu instid0(VALU_DEP_2) | instskip(NEXT) | instid1(VALU_DEP_1)
	v_and_b32_e32 v0, 0x80000000, v0
	v_or3_b32 v105, v2, v0, v1
.LBB321_199:                            ;   in Loop: Header=BB321_9 Depth=1
	s_or_b32 exec_lo, exec_lo, s29
.LBB321_200:                            ;   in Loop: Header=BB321_9 Depth=1
	s_delay_alu instid0(SALU_CYCLE_1)
	s_or_b32 exec_lo, exec_lo, s28
.LBB321_201:                            ;   in Loop: Header=BB321_9 Depth=1
	s_delay_alu instid0(SALU_CYCLE_1)
	s_or_b32 exec_lo, exec_lo, s27
	global_load_u16 v0, v[8:9], off offset:768
	v_dual_mov_b32 v107, 0 :: v_dual_mov_b32 v108, 0
	s_mov_b32 s27, exec_lo
	s_wait_loadcnt 0x0
	v_and_b32_e32 v1, 0xff, v0
	v_and_b32_e32 v0, 0xffff, v0
	s_wait_xcnt 0x0
	s_delay_alu instid0(VALU_DEP_2)
	v_cmpx_ne_u16_e32 0, v1
	s_cbranch_execz .LBB321_209
; %bb.202:                              ;   in Loop: Header=BB321_9 Depth=1
	s_delay_alu instid0(VALU_DEP_2) | instskip(SKIP_2) | instid1(VALU_DEP_2)
	v_and_b32_e32 v1, 0xff, v0
	v_bfrev_b32_e32 v108, 1
	s_mov_b32 s28, exec_lo
	v_cmpx_ne_u16_e32 0x80, v1
	s_cbranch_execz .LBB321_208
; %bb.203:                              ;   in Loop: Header=BB321_9 Depth=1
	v_and_b32_e32 v10, 0x7f, v0
	v_mov_b32_e32 v108, 0x7f800001
	s_mov_b32 s29, exec_lo
	s_delay_alu instid0(VALU_DEP_2)
	v_cmpx_ne_u32_e32 0x7f, v10
	s_cbranch_execz .LBB321_207
; %bb.204:                              ;   in Loop: Header=BB321_9 Depth=1
	v_dual_lshrrev_b32 v1, 3, v10 :: v_dual_bitop2_b32 v2, 7, v0 bitop3:0x40
	s_mov_b32 s30, exec_lo
	v_cmpx_gt_u32_e32 8, v10
; %bb.205:                              ;   in Loop: Header=BB321_9 Depth=1
	s_delay_alu instid0(VALU_DEP_2) | instskip(NEXT) | instid1(VALU_DEP_1)
	v_clz_i32_u32_e32 v1, v2
	v_min_u32_e32 v1, 32, v1
	s_delay_alu instid0(VALU_DEP_1) | instskip(NEXT) | instid1(VALU_DEP_1)
	v_subrev_nc_u32_e32 v10, 28, v1
	v_lshlrev_b64_e32 v[10:11], v10, v[2:3]
	s_delay_alu instid0(VALU_DEP_1)
	v_dual_sub_nc_u32 v1, 29, v1 :: v_dual_bitop2_b32 v2, 7, v10 bitop3:0x40
; %bb.206:                              ;   in Loop: Header=BB321_9 Depth=1
	s_or_b32 exec_lo, exec_lo, s30
	s_delay_alu instid0(VALU_DEP_1) | instskip(NEXT) | instid1(VALU_DEP_2)
	v_dual_lshlrev_b32 v10, 24, v0 :: v_dual_lshlrev_b32 v2, 20, v2
	v_lshl_add_u32 v1, v1, 23, 0x3c000000
	s_delay_alu instid0(VALU_DEP_2) | instskip(NEXT) | instid1(VALU_DEP_1)
	v_and_b32_e32 v10, 0x80000000, v10
	v_or3_b32 v108, v2, v10, v1
.LBB321_207:                            ;   in Loop: Header=BB321_9 Depth=1
	s_or_b32 exec_lo, exec_lo, s29
.LBB321_208:                            ;   in Loop: Header=BB321_9 Depth=1
	s_delay_alu instid0(SALU_CYCLE_1)
	s_or_b32 exec_lo, exec_lo, s28
.LBB321_209:                            ;   in Loop: Header=BB321_9 Depth=1
	s_delay_alu instid0(SALU_CYCLE_1) | instskip(SKIP_2) | instid1(VALU_DEP_1)
	s_or_b32 exec_lo, exec_lo, s27
	v_lshrrev_b16 v1, 8, v0
	s_mov_b32 s27, exec_lo
	v_cmpx_ne_u16_e32 0, v1
	s_cbranch_execz .LBB321_217
; %bb.210:                              ;   in Loop: Header=BB321_9 Depth=1
	v_bfrev_b32_e32 v107, 1
	s_mov_b32 s28, exec_lo
	v_cmpx_ne_u16_e32 0x80, v1
	s_cbranch_execz .LBB321_216
; %bb.211:                              ;   in Loop: Header=BB321_9 Depth=1
	v_and_b32_e32 v1, 0xffff, v1
	v_mov_b32_e32 v107, 0x7f800001
	s_mov_b32 s29, exec_lo
	s_delay_alu instid0(VALU_DEP_2) | instskip(NEXT) | instid1(VALU_DEP_1)
	v_and_b32_e32 v10, 0x7f, v1
	v_cmpx_ne_u32_e32 0x7f, v10
	s_cbranch_execz .LBB321_215
; %bb.212:                              ;   in Loop: Header=BB321_9 Depth=1
	v_dual_lshrrev_b32 v1, 3, v10 :: v_dual_bitop2_b32 v2, 7, v1 bitop3:0x40
	s_mov_b32 s30, exec_lo
	v_cmpx_gt_u32_e32 8, v10
; %bb.213:                              ;   in Loop: Header=BB321_9 Depth=1
	s_delay_alu instid0(VALU_DEP_2) | instskip(NEXT) | instid1(VALU_DEP_1)
	v_clz_i32_u32_e32 v1, v2
	v_min_u32_e32 v1, 32, v1
	s_delay_alu instid0(VALU_DEP_1) | instskip(NEXT) | instid1(VALU_DEP_1)
	v_subrev_nc_u32_e32 v10, 28, v1
	v_lshlrev_b64_e32 v[10:11], v10, v[2:3]
	s_delay_alu instid0(VALU_DEP_1)
	v_dual_sub_nc_u32 v1, 29, v1 :: v_dual_bitop2_b32 v2, 7, v10 bitop3:0x40
; %bb.214:                              ;   in Loop: Header=BB321_9 Depth=1
	s_or_b32 exec_lo, exec_lo, s30
	s_delay_alu instid0(VALU_DEP_1) | instskip(NEXT) | instid1(VALU_DEP_2)
	v_dual_lshlrev_b32 v0, 16, v0 :: v_dual_lshlrev_b32 v2, 20, v2
	v_lshl_add_u32 v1, v1, 23, 0x3c000000
	s_delay_alu instid0(VALU_DEP_2) | instskip(NEXT) | instid1(VALU_DEP_1)
	v_and_b32_e32 v0, 0x80000000, v0
	v_or3_b32 v107, v2, v0, v1
.LBB321_215:                            ;   in Loop: Header=BB321_9 Depth=1
	s_or_b32 exec_lo, exec_lo, s29
.LBB321_216:                            ;   in Loop: Header=BB321_9 Depth=1
	s_delay_alu instid0(SALU_CYCLE_1)
	s_or_b32 exec_lo, exec_lo, s28
.LBB321_217:                            ;   in Loop: Header=BB321_9 Depth=1
	s_delay_alu instid0(SALU_CYCLE_1)
	s_or_b32 exec_lo, exec_lo, s27
	global_load_u16 v0, v[8:9], off offset:776
	v_dual_mov_b32 v109, 0 :: v_dual_mov_b32 v110, 0
	s_mov_b32 s27, exec_lo
	s_wait_loadcnt 0x0
	v_and_b32_e32 v1, 0xff, v0
	v_and_b32_e32 v0, 0xffff, v0
	s_wait_xcnt 0x0
	s_delay_alu instid0(VALU_DEP_2)
	v_cmpx_ne_u16_e32 0, v1
	s_cbranch_execz .LBB321_225
; %bb.218:                              ;   in Loop: Header=BB321_9 Depth=1
	s_delay_alu instid0(VALU_DEP_2) | instskip(SKIP_2) | instid1(VALU_DEP_2)
	v_and_b32_e32 v1, 0xff, v0
	v_bfrev_b32_e32 v110, 1
	s_mov_b32 s28, exec_lo
	v_cmpx_ne_u16_e32 0x80, v1
	s_cbranch_execz .LBB321_224
; %bb.219:                              ;   in Loop: Header=BB321_9 Depth=1
	v_and_b32_e32 v10, 0x7f, v0
	v_mov_b32_e32 v110, 0x7f800001
	s_mov_b32 s29, exec_lo
	s_delay_alu instid0(VALU_DEP_2)
	v_cmpx_ne_u32_e32 0x7f, v10
	s_cbranch_execz .LBB321_223
; %bb.220:                              ;   in Loop: Header=BB321_9 Depth=1
	v_dual_lshrrev_b32 v1, 3, v10 :: v_dual_bitop2_b32 v2, 7, v0 bitop3:0x40
	s_mov_b32 s30, exec_lo
	v_cmpx_gt_u32_e32 8, v10
; %bb.221:                              ;   in Loop: Header=BB321_9 Depth=1
	s_delay_alu instid0(VALU_DEP_2) | instskip(NEXT) | instid1(VALU_DEP_1)
	v_clz_i32_u32_e32 v1, v2
	v_min_u32_e32 v1, 32, v1
	s_delay_alu instid0(VALU_DEP_1) | instskip(NEXT) | instid1(VALU_DEP_1)
	v_subrev_nc_u32_e32 v10, 28, v1
	v_lshlrev_b64_e32 v[10:11], v10, v[2:3]
	s_delay_alu instid0(VALU_DEP_1)
	v_dual_sub_nc_u32 v1, 29, v1 :: v_dual_bitop2_b32 v2, 7, v10 bitop3:0x40
; %bb.222:                              ;   in Loop: Header=BB321_9 Depth=1
	s_or_b32 exec_lo, exec_lo, s30
	s_delay_alu instid0(VALU_DEP_1) | instskip(NEXT) | instid1(VALU_DEP_2)
	v_dual_lshlrev_b32 v10, 24, v0 :: v_dual_lshlrev_b32 v2, 20, v2
	v_lshl_add_u32 v1, v1, 23, 0x3c000000
	s_delay_alu instid0(VALU_DEP_2) | instskip(NEXT) | instid1(VALU_DEP_1)
	v_and_b32_e32 v10, 0x80000000, v10
	v_or3_b32 v110, v2, v10, v1
.LBB321_223:                            ;   in Loop: Header=BB321_9 Depth=1
	s_or_b32 exec_lo, exec_lo, s29
.LBB321_224:                            ;   in Loop: Header=BB321_9 Depth=1
	s_delay_alu instid0(SALU_CYCLE_1)
	s_or_b32 exec_lo, exec_lo, s28
.LBB321_225:                            ;   in Loop: Header=BB321_9 Depth=1
	s_delay_alu instid0(SALU_CYCLE_1) | instskip(SKIP_2) | instid1(VALU_DEP_1)
	s_or_b32 exec_lo, exec_lo, s27
	v_lshrrev_b16 v1, 8, v0
	s_mov_b32 s27, exec_lo
	v_cmpx_ne_u16_e32 0, v1
	s_cbranch_execz .LBB321_233
; %bb.226:                              ;   in Loop: Header=BB321_9 Depth=1
	v_bfrev_b32_e32 v109, 1
	s_mov_b32 s28, exec_lo
	v_cmpx_ne_u16_e32 0x80, v1
	s_cbranch_execz .LBB321_232
; %bb.227:                              ;   in Loop: Header=BB321_9 Depth=1
	v_and_b32_e32 v1, 0xffff, v1
	v_mov_b32_e32 v109, 0x7f800001
	s_mov_b32 s29, exec_lo
	s_delay_alu instid0(VALU_DEP_2) | instskip(NEXT) | instid1(VALU_DEP_1)
	v_and_b32_e32 v10, 0x7f, v1
	v_cmpx_ne_u32_e32 0x7f, v10
	s_cbranch_execz .LBB321_231
; %bb.228:                              ;   in Loop: Header=BB321_9 Depth=1
	v_dual_lshrrev_b32 v1, 3, v10 :: v_dual_bitop2_b32 v2, 7, v1 bitop3:0x40
	s_mov_b32 s30, exec_lo
	v_cmpx_gt_u32_e32 8, v10
; %bb.229:                              ;   in Loop: Header=BB321_9 Depth=1
	s_delay_alu instid0(VALU_DEP_2) | instskip(NEXT) | instid1(VALU_DEP_1)
	v_clz_i32_u32_e32 v1, v2
	v_min_u32_e32 v1, 32, v1
	s_delay_alu instid0(VALU_DEP_1) | instskip(NEXT) | instid1(VALU_DEP_1)
	v_subrev_nc_u32_e32 v10, 28, v1
	v_lshlrev_b64_e32 v[10:11], v10, v[2:3]
	s_delay_alu instid0(VALU_DEP_1)
	v_dual_sub_nc_u32 v1, 29, v1 :: v_dual_bitop2_b32 v2, 7, v10 bitop3:0x40
; %bb.230:                              ;   in Loop: Header=BB321_9 Depth=1
	s_or_b32 exec_lo, exec_lo, s30
	s_delay_alu instid0(VALU_DEP_1) | instskip(NEXT) | instid1(VALU_DEP_2)
	v_dual_lshlrev_b32 v0, 16, v0 :: v_dual_lshlrev_b32 v2, 20, v2
	v_lshl_add_u32 v1, v1, 23, 0x3c000000
	s_delay_alu instid0(VALU_DEP_2) | instskip(NEXT) | instid1(VALU_DEP_1)
	v_and_b32_e32 v0, 0x80000000, v0
	v_or3_b32 v109, v2, v0, v1
.LBB321_231:                            ;   in Loop: Header=BB321_9 Depth=1
	s_or_b32 exec_lo, exec_lo, s29
.LBB321_232:                            ;   in Loop: Header=BB321_9 Depth=1
	s_delay_alu instid0(SALU_CYCLE_1)
	s_or_b32 exec_lo, exec_lo, s28
.LBB321_233:                            ;   in Loop: Header=BB321_9 Depth=1
	s_delay_alu instid0(SALU_CYCLE_1)
	s_or_b32 exec_lo, exec_lo, s27
	global_load_u16 v0, v[8:9], off offset:896
	v_dual_mov_b32 v111, 0 :: v_dual_mov_b32 v112, 0
	s_mov_b32 s27, exec_lo
	s_wait_loadcnt 0x0
	v_and_b32_e32 v1, 0xff, v0
	v_and_b32_e32 v0, 0xffff, v0
	s_wait_xcnt 0x0
	s_delay_alu instid0(VALU_DEP_2)
	v_cmpx_ne_u16_e32 0, v1
	s_cbranch_execz .LBB321_241
; %bb.234:                              ;   in Loop: Header=BB321_9 Depth=1
	s_delay_alu instid0(VALU_DEP_2) | instskip(SKIP_2) | instid1(VALU_DEP_2)
	v_and_b32_e32 v1, 0xff, v0
	v_bfrev_b32_e32 v112, 1
	s_mov_b32 s28, exec_lo
	v_cmpx_ne_u16_e32 0x80, v1
	s_cbranch_execz .LBB321_240
; %bb.235:                              ;   in Loop: Header=BB321_9 Depth=1
	v_and_b32_e32 v10, 0x7f, v0
	v_mov_b32_e32 v112, 0x7f800001
	s_mov_b32 s29, exec_lo
	s_delay_alu instid0(VALU_DEP_2)
	v_cmpx_ne_u32_e32 0x7f, v10
	s_cbranch_execz .LBB321_239
; %bb.236:                              ;   in Loop: Header=BB321_9 Depth=1
	v_dual_lshrrev_b32 v1, 3, v10 :: v_dual_bitop2_b32 v2, 7, v0 bitop3:0x40
	s_mov_b32 s30, exec_lo
	v_cmpx_gt_u32_e32 8, v10
; %bb.237:                              ;   in Loop: Header=BB321_9 Depth=1
	s_delay_alu instid0(VALU_DEP_2) | instskip(NEXT) | instid1(VALU_DEP_1)
	v_clz_i32_u32_e32 v1, v2
	v_min_u32_e32 v1, 32, v1
	s_delay_alu instid0(VALU_DEP_1) | instskip(NEXT) | instid1(VALU_DEP_1)
	v_subrev_nc_u32_e32 v10, 28, v1
	v_lshlrev_b64_e32 v[10:11], v10, v[2:3]
	s_delay_alu instid0(VALU_DEP_1)
	v_dual_sub_nc_u32 v1, 29, v1 :: v_dual_bitop2_b32 v2, 7, v10 bitop3:0x40
; %bb.238:                              ;   in Loop: Header=BB321_9 Depth=1
	s_or_b32 exec_lo, exec_lo, s30
	s_delay_alu instid0(VALU_DEP_1) | instskip(NEXT) | instid1(VALU_DEP_2)
	v_dual_lshlrev_b32 v10, 24, v0 :: v_dual_lshlrev_b32 v2, 20, v2
	v_lshl_add_u32 v1, v1, 23, 0x3c000000
	s_delay_alu instid0(VALU_DEP_2) | instskip(NEXT) | instid1(VALU_DEP_1)
	v_and_b32_e32 v10, 0x80000000, v10
	v_or3_b32 v112, v2, v10, v1
.LBB321_239:                            ;   in Loop: Header=BB321_9 Depth=1
	s_or_b32 exec_lo, exec_lo, s29
.LBB321_240:                            ;   in Loop: Header=BB321_9 Depth=1
	s_delay_alu instid0(SALU_CYCLE_1)
	s_or_b32 exec_lo, exec_lo, s28
.LBB321_241:                            ;   in Loop: Header=BB321_9 Depth=1
	s_delay_alu instid0(SALU_CYCLE_1) | instskip(SKIP_2) | instid1(VALU_DEP_1)
	s_or_b32 exec_lo, exec_lo, s27
	v_lshrrev_b16 v1, 8, v0
	s_mov_b32 s27, exec_lo
	v_cmpx_ne_u16_e32 0, v1
	s_cbranch_execz .LBB321_249
; %bb.242:                              ;   in Loop: Header=BB321_9 Depth=1
	v_bfrev_b32_e32 v111, 1
	s_mov_b32 s28, exec_lo
	v_cmpx_ne_u16_e32 0x80, v1
	s_cbranch_execz .LBB321_248
; %bb.243:                              ;   in Loop: Header=BB321_9 Depth=1
	v_and_b32_e32 v1, 0xffff, v1
	v_mov_b32_e32 v111, 0x7f800001
	s_mov_b32 s29, exec_lo
	s_delay_alu instid0(VALU_DEP_2) | instskip(NEXT) | instid1(VALU_DEP_1)
	v_and_b32_e32 v10, 0x7f, v1
	v_cmpx_ne_u32_e32 0x7f, v10
	s_cbranch_execz .LBB321_247
; %bb.244:                              ;   in Loop: Header=BB321_9 Depth=1
	v_dual_lshrrev_b32 v1, 3, v10 :: v_dual_bitop2_b32 v2, 7, v1 bitop3:0x40
	s_mov_b32 s30, exec_lo
	v_cmpx_gt_u32_e32 8, v10
; %bb.245:                              ;   in Loop: Header=BB321_9 Depth=1
	s_delay_alu instid0(VALU_DEP_2) | instskip(NEXT) | instid1(VALU_DEP_1)
	v_clz_i32_u32_e32 v1, v2
	v_min_u32_e32 v1, 32, v1
	s_delay_alu instid0(VALU_DEP_1) | instskip(NEXT) | instid1(VALU_DEP_1)
	v_subrev_nc_u32_e32 v10, 28, v1
	v_lshlrev_b64_e32 v[10:11], v10, v[2:3]
	s_delay_alu instid0(VALU_DEP_1)
	v_dual_sub_nc_u32 v1, 29, v1 :: v_dual_bitop2_b32 v2, 7, v10 bitop3:0x40
; %bb.246:                              ;   in Loop: Header=BB321_9 Depth=1
	s_or_b32 exec_lo, exec_lo, s30
	s_delay_alu instid0(VALU_DEP_1) | instskip(NEXT) | instid1(VALU_DEP_2)
	v_dual_lshlrev_b32 v0, 16, v0 :: v_dual_lshlrev_b32 v2, 20, v2
	v_lshl_add_u32 v1, v1, 23, 0x3c000000
	s_delay_alu instid0(VALU_DEP_2) | instskip(NEXT) | instid1(VALU_DEP_1)
	v_and_b32_e32 v0, 0x80000000, v0
	v_or3_b32 v111, v2, v0, v1
.LBB321_247:                            ;   in Loop: Header=BB321_9 Depth=1
	s_or_b32 exec_lo, exec_lo, s29
.LBB321_248:                            ;   in Loop: Header=BB321_9 Depth=1
	s_delay_alu instid0(SALU_CYCLE_1)
	s_or_b32 exec_lo, exec_lo, s28
.LBB321_249:                            ;   in Loop: Header=BB321_9 Depth=1
	s_delay_alu instid0(SALU_CYCLE_1)
	s_or_b32 exec_lo, exec_lo, s27
	global_load_u16 v0, v[8:9], off offset:904
	v_dual_mov_b32 v113, 0 :: v_dual_mov_b32 v114, 0
	s_mov_b32 s27, exec_lo
	s_wait_loadcnt 0x0
	v_and_b32_e32 v1, 0xff, v0
	v_and_b32_e32 v0, 0xffff, v0
	s_wait_xcnt 0x0
	s_delay_alu instid0(VALU_DEP_2)
	v_cmpx_ne_u16_e32 0, v1
	s_cbranch_execz .LBB321_257
; %bb.250:                              ;   in Loop: Header=BB321_9 Depth=1
	s_delay_alu instid0(VALU_DEP_2) | instskip(SKIP_2) | instid1(VALU_DEP_2)
	v_and_b32_e32 v1, 0xff, v0
	v_bfrev_b32_e32 v114, 1
	s_mov_b32 s28, exec_lo
	v_cmpx_ne_u16_e32 0x80, v1
	s_cbranch_execz .LBB321_256
; %bb.251:                              ;   in Loop: Header=BB321_9 Depth=1
	v_and_b32_e32 v10, 0x7f, v0
	v_mov_b32_e32 v114, 0x7f800001
	s_mov_b32 s29, exec_lo
	s_delay_alu instid0(VALU_DEP_2)
	v_cmpx_ne_u32_e32 0x7f, v10
	s_cbranch_execz .LBB321_255
; %bb.252:                              ;   in Loop: Header=BB321_9 Depth=1
	v_dual_lshrrev_b32 v1, 3, v10 :: v_dual_bitop2_b32 v2, 7, v0 bitop3:0x40
	s_mov_b32 s30, exec_lo
	v_cmpx_gt_u32_e32 8, v10
; %bb.253:                              ;   in Loop: Header=BB321_9 Depth=1
	s_delay_alu instid0(VALU_DEP_2) | instskip(NEXT) | instid1(VALU_DEP_1)
	v_clz_i32_u32_e32 v1, v2
	v_min_u32_e32 v1, 32, v1
	s_delay_alu instid0(VALU_DEP_1) | instskip(NEXT) | instid1(VALU_DEP_1)
	v_subrev_nc_u32_e32 v10, 28, v1
	v_lshlrev_b64_e32 v[10:11], v10, v[2:3]
	s_delay_alu instid0(VALU_DEP_1)
	v_dual_sub_nc_u32 v1, 29, v1 :: v_dual_bitop2_b32 v2, 7, v10 bitop3:0x40
; %bb.254:                              ;   in Loop: Header=BB321_9 Depth=1
	s_or_b32 exec_lo, exec_lo, s30
	s_delay_alu instid0(VALU_DEP_1) | instskip(NEXT) | instid1(VALU_DEP_2)
	v_dual_lshlrev_b32 v10, 24, v0 :: v_dual_lshlrev_b32 v2, 20, v2
	v_lshl_add_u32 v1, v1, 23, 0x3c000000
	s_delay_alu instid0(VALU_DEP_2) | instskip(NEXT) | instid1(VALU_DEP_1)
	v_and_b32_e32 v10, 0x80000000, v10
	v_or3_b32 v114, v2, v10, v1
.LBB321_255:                            ;   in Loop: Header=BB321_9 Depth=1
	s_or_b32 exec_lo, exec_lo, s29
.LBB321_256:                            ;   in Loop: Header=BB321_9 Depth=1
	s_delay_alu instid0(SALU_CYCLE_1)
	s_or_b32 exec_lo, exec_lo, s28
.LBB321_257:                            ;   in Loop: Header=BB321_9 Depth=1
	s_delay_alu instid0(SALU_CYCLE_1) | instskip(SKIP_2) | instid1(VALU_DEP_1)
	s_or_b32 exec_lo, exec_lo, s27
	v_lshrrev_b16 v1, 8, v0
	s_mov_b32 s27, exec_lo
	v_cmpx_ne_u16_e32 0, v1
	s_cbranch_execz .LBB321_265
; %bb.258:                              ;   in Loop: Header=BB321_9 Depth=1
	v_bfrev_b32_e32 v113, 1
	s_mov_b32 s28, exec_lo
	v_cmpx_ne_u16_e32 0x80, v1
	s_cbranch_execz .LBB321_264
; %bb.259:                              ;   in Loop: Header=BB321_9 Depth=1
	v_and_b32_e32 v1, 0xffff, v1
	v_mov_b32_e32 v113, 0x7f800001
	s_mov_b32 s29, exec_lo
	s_delay_alu instid0(VALU_DEP_2) | instskip(NEXT) | instid1(VALU_DEP_1)
	v_and_b32_e32 v10, 0x7f, v1
	v_cmpx_ne_u32_e32 0x7f, v10
	s_cbranch_execz .LBB321_263
; %bb.260:                              ;   in Loop: Header=BB321_9 Depth=1
	v_dual_lshrrev_b32 v1, 3, v10 :: v_dual_bitop2_b32 v2, 7, v1 bitop3:0x40
	s_mov_b32 s30, exec_lo
	v_cmpx_gt_u32_e32 8, v10
; %bb.261:                              ;   in Loop: Header=BB321_9 Depth=1
	s_delay_alu instid0(VALU_DEP_2) | instskip(NEXT) | instid1(VALU_DEP_1)
	v_clz_i32_u32_e32 v1, v2
	v_min_u32_e32 v1, 32, v1
	s_delay_alu instid0(VALU_DEP_1) | instskip(NEXT) | instid1(VALU_DEP_1)
	v_subrev_nc_u32_e32 v10, 28, v1
	v_lshlrev_b64_e32 v[10:11], v10, v[2:3]
	s_delay_alu instid0(VALU_DEP_1)
	v_dual_sub_nc_u32 v1, 29, v1 :: v_dual_bitop2_b32 v2, 7, v10 bitop3:0x40
; %bb.262:                              ;   in Loop: Header=BB321_9 Depth=1
	s_or_b32 exec_lo, exec_lo, s30
	s_delay_alu instid0(VALU_DEP_1) | instskip(NEXT) | instid1(VALU_DEP_2)
	v_dual_lshlrev_b32 v0, 16, v0 :: v_dual_lshlrev_b32 v2, 20, v2
	v_lshl_add_u32 v1, v1, 23, 0x3c000000
	s_delay_alu instid0(VALU_DEP_2) | instskip(NEXT) | instid1(VALU_DEP_1)
	v_and_b32_e32 v0, 0x80000000, v0
	v_or3_b32 v113, v2, v0, v1
.LBB321_263:                            ;   in Loop: Header=BB321_9 Depth=1
	s_or_b32 exec_lo, exec_lo, s29
.LBB321_264:                            ;   in Loop: Header=BB321_9 Depth=1
	s_delay_alu instid0(SALU_CYCLE_1)
	s_or_b32 exec_lo, exec_lo, s28
.LBB321_265:                            ;   in Loop: Header=BB321_9 Depth=1
	s_delay_alu instid0(SALU_CYCLE_1)
	s_or_b32 exec_lo, exec_lo, s27
	global_load_u16 v0, v[8:9], off offset:1024
	v_dual_mov_b32 v115, 0 :: v_dual_mov_b32 v116, 0
	s_mov_b32 s27, exec_lo
	s_wait_loadcnt 0x0
	v_and_b32_e32 v1, 0xff, v0
	v_and_b32_e32 v0, 0xffff, v0
	s_wait_xcnt 0x0
	s_delay_alu instid0(VALU_DEP_2)
	v_cmpx_ne_u16_e32 0, v1
	s_cbranch_execz .LBB321_273
; %bb.266:                              ;   in Loop: Header=BB321_9 Depth=1
	s_delay_alu instid0(VALU_DEP_2) | instskip(SKIP_2) | instid1(VALU_DEP_2)
	v_and_b32_e32 v1, 0xff, v0
	v_bfrev_b32_e32 v116, 1
	s_mov_b32 s28, exec_lo
	v_cmpx_ne_u16_e32 0x80, v1
	s_cbranch_execz .LBB321_272
; %bb.267:                              ;   in Loop: Header=BB321_9 Depth=1
	v_and_b32_e32 v10, 0x7f, v0
	v_mov_b32_e32 v116, 0x7f800001
	s_mov_b32 s29, exec_lo
	s_delay_alu instid0(VALU_DEP_2)
	v_cmpx_ne_u32_e32 0x7f, v10
	s_cbranch_execz .LBB321_271
; %bb.268:                              ;   in Loop: Header=BB321_9 Depth=1
	v_dual_lshrrev_b32 v1, 3, v10 :: v_dual_bitop2_b32 v2, 7, v0 bitop3:0x40
	s_mov_b32 s30, exec_lo
	v_cmpx_gt_u32_e32 8, v10
; %bb.269:                              ;   in Loop: Header=BB321_9 Depth=1
	s_delay_alu instid0(VALU_DEP_2) | instskip(NEXT) | instid1(VALU_DEP_1)
	v_clz_i32_u32_e32 v1, v2
	v_min_u32_e32 v1, 32, v1
	s_delay_alu instid0(VALU_DEP_1) | instskip(NEXT) | instid1(VALU_DEP_1)
	v_subrev_nc_u32_e32 v10, 28, v1
	v_lshlrev_b64_e32 v[10:11], v10, v[2:3]
	s_delay_alu instid0(VALU_DEP_1)
	v_dual_sub_nc_u32 v1, 29, v1 :: v_dual_bitop2_b32 v2, 7, v10 bitop3:0x40
; %bb.270:                              ;   in Loop: Header=BB321_9 Depth=1
	s_or_b32 exec_lo, exec_lo, s30
	s_delay_alu instid0(VALU_DEP_1) | instskip(NEXT) | instid1(VALU_DEP_2)
	v_dual_lshlrev_b32 v10, 24, v0 :: v_dual_lshlrev_b32 v2, 20, v2
	v_lshl_add_u32 v1, v1, 23, 0x3c000000
	s_delay_alu instid0(VALU_DEP_2) | instskip(NEXT) | instid1(VALU_DEP_1)
	v_and_b32_e32 v10, 0x80000000, v10
	v_or3_b32 v116, v2, v10, v1
.LBB321_271:                            ;   in Loop: Header=BB321_9 Depth=1
	s_or_b32 exec_lo, exec_lo, s29
.LBB321_272:                            ;   in Loop: Header=BB321_9 Depth=1
	s_delay_alu instid0(SALU_CYCLE_1)
	s_or_b32 exec_lo, exec_lo, s28
.LBB321_273:                            ;   in Loop: Header=BB321_9 Depth=1
	s_delay_alu instid0(SALU_CYCLE_1) | instskip(SKIP_2) | instid1(VALU_DEP_1)
	s_or_b32 exec_lo, exec_lo, s27
	v_lshrrev_b16 v1, 8, v0
	s_mov_b32 s27, exec_lo
	v_cmpx_ne_u16_e32 0, v1
	s_cbranch_execz .LBB321_281
; %bb.274:                              ;   in Loop: Header=BB321_9 Depth=1
	v_bfrev_b32_e32 v115, 1
	s_mov_b32 s28, exec_lo
	v_cmpx_ne_u16_e32 0x80, v1
	s_cbranch_execz .LBB321_280
; %bb.275:                              ;   in Loop: Header=BB321_9 Depth=1
	v_and_b32_e32 v1, 0xffff, v1
	v_mov_b32_e32 v115, 0x7f800001
	s_mov_b32 s29, exec_lo
	s_delay_alu instid0(VALU_DEP_2) | instskip(NEXT) | instid1(VALU_DEP_1)
	v_and_b32_e32 v10, 0x7f, v1
	v_cmpx_ne_u32_e32 0x7f, v10
	s_cbranch_execz .LBB321_279
; %bb.276:                              ;   in Loop: Header=BB321_9 Depth=1
	v_dual_lshrrev_b32 v1, 3, v10 :: v_dual_bitop2_b32 v2, 7, v1 bitop3:0x40
	s_mov_b32 s30, exec_lo
	v_cmpx_gt_u32_e32 8, v10
; %bb.277:                              ;   in Loop: Header=BB321_9 Depth=1
	s_delay_alu instid0(VALU_DEP_2) | instskip(NEXT) | instid1(VALU_DEP_1)
	v_clz_i32_u32_e32 v1, v2
	v_min_u32_e32 v1, 32, v1
	s_delay_alu instid0(VALU_DEP_1) | instskip(NEXT) | instid1(VALU_DEP_1)
	v_subrev_nc_u32_e32 v10, 28, v1
	v_lshlrev_b64_e32 v[10:11], v10, v[2:3]
	s_delay_alu instid0(VALU_DEP_1)
	v_dual_sub_nc_u32 v1, 29, v1 :: v_dual_bitop2_b32 v2, 7, v10 bitop3:0x40
; %bb.278:                              ;   in Loop: Header=BB321_9 Depth=1
	s_or_b32 exec_lo, exec_lo, s30
	s_delay_alu instid0(VALU_DEP_1) | instskip(NEXT) | instid1(VALU_DEP_2)
	v_dual_lshlrev_b32 v0, 16, v0 :: v_dual_lshlrev_b32 v2, 20, v2
	v_lshl_add_u32 v1, v1, 23, 0x3c000000
	s_delay_alu instid0(VALU_DEP_2) | instskip(NEXT) | instid1(VALU_DEP_1)
	v_and_b32_e32 v0, 0x80000000, v0
	v_or3_b32 v115, v2, v0, v1
.LBB321_279:                            ;   in Loop: Header=BB321_9 Depth=1
	s_or_b32 exec_lo, exec_lo, s29
.LBB321_280:                            ;   in Loop: Header=BB321_9 Depth=1
	s_delay_alu instid0(SALU_CYCLE_1)
	s_or_b32 exec_lo, exec_lo, s28
.LBB321_281:                            ;   in Loop: Header=BB321_9 Depth=1
	s_delay_alu instid0(SALU_CYCLE_1)
	s_or_b32 exec_lo, exec_lo, s27
	global_load_u16 v0, v[8:9], off offset:1032
	v_dual_mov_b32 v117, 0 :: v_dual_mov_b32 v118, 0
	s_mov_b32 s27, exec_lo
	s_wait_loadcnt 0x0
	v_and_b32_e32 v1, 0xff, v0
	v_and_b32_e32 v0, 0xffff, v0
	s_wait_xcnt 0x0
	s_delay_alu instid0(VALU_DEP_2)
	v_cmpx_ne_u16_e32 0, v1
	s_cbranch_execz .LBB321_289
; %bb.282:                              ;   in Loop: Header=BB321_9 Depth=1
	s_delay_alu instid0(VALU_DEP_2) | instskip(SKIP_2) | instid1(VALU_DEP_2)
	v_and_b32_e32 v1, 0xff, v0
	v_bfrev_b32_e32 v118, 1
	s_mov_b32 s28, exec_lo
	v_cmpx_ne_u16_e32 0x80, v1
	s_cbranch_execz .LBB321_288
; %bb.283:                              ;   in Loop: Header=BB321_9 Depth=1
	v_and_b32_e32 v10, 0x7f, v0
	v_mov_b32_e32 v118, 0x7f800001
	s_mov_b32 s29, exec_lo
	s_delay_alu instid0(VALU_DEP_2)
	v_cmpx_ne_u32_e32 0x7f, v10
	s_cbranch_execz .LBB321_287
; %bb.284:                              ;   in Loop: Header=BB321_9 Depth=1
	v_dual_lshrrev_b32 v1, 3, v10 :: v_dual_bitop2_b32 v2, 7, v0 bitop3:0x40
	s_mov_b32 s30, exec_lo
	v_cmpx_gt_u32_e32 8, v10
; %bb.285:                              ;   in Loop: Header=BB321_9 Depth=1
	s_delay_alu instid0(VALU_DEP_2) | instskip(NEXT) | instid1(VALU_DEP_1)
	v_clz_i32_u32_e32 v1, v2
	v_min_u32_e32 v1, 32, v1
	s_delay_alu instid0(VALU_DEP_1) | instskip(NEXT) | instid1(VALU_DEP_1)
	v_subrev_nc_u32_e32 v10, 28, v1
	v_lshlrev_b64_e32 v[10:11], v10, v[2:3]
	s_delay_alu instid0(VALU_DEP_1)
	v_dual_sub_nc_u32 v1, 29, v1 :: v_dual_bitop2_b32 v2, 7, v10 bitop3:0x40
; %bb.286:                              ;   in Loop: Header=BB321_9 Depth=1
	s_or_b32 exec_lo, exec_lo, s30
	s_delay_alu instid0(VALU_DEP_1) | instskip(NEXT) | instid1(VALU_DEP_2)
	v_dual_lshlrev_b32 v10, 24, v0 :: v_dual_lshlrev_b32 v2, 20, v2
	v_lshl_add_u32 v1, v1, 23, 0x3c000000
	s_delay_alu instid0(VALU_DEP_2) | instskip(NEXT) | instid1(VALU_DEP_1)
	v_and_b32_e32 v10, 0x80000000, v10
	v_or3_b32 v118, v2, v10, v1
.LBB321_287:                            ;   in Loop: Header=BB321_9 Depth=1
	s_or_b32 exec_lo, exec_lo, s29
.LBB321_288:                            ;   in Loop: Header=BB321_9 Depth=1
	s_delay_alu instid0(SALU_CYCLE_1)
	s_or_b32 exec_lo, exec_lo, s28
.LBB321_289:                            ;   in Loop: Header=BB321_9 Depth=1
	s_delay_alu instid0(SALU_CYCLE_1) | instskip(SKIP_2) | instid1(VALU_DEP_1)
	s_or_b32 exec_lo, exec_lo, s27
	v_lshrrev_b16 v1, 8, v0
	s_mov_b32 s27, exec_lo
	v_cmpx_ne_u16_e32 0, v1
	s_cbranch_execz .LBB321_297
; %bb.290:                              ;   in Loop: Header=BB321_9 Depth=1
	v_bfrev_b32_e32 v117, 1
	s_mov_b32 s28, exec_lo
	v_cmpx_ne_u16_e32 0x80, v1
	s_cbranch_execz .LBB321_296
; %bb.291:                              ;   in Loop: Header=BB321_9 Depth=1
	v_and_b32_e32 v1, 0xffff, v1
	v_mov_b32_e32 v117, 0x7f800001
	s_mov_b32 s29, exec_lo
	s_delay_alu instid0(VALU_DEP_2) | instskip(NEXT) | instid1(VALU_DEP_1)
	v_and_b32_e32 v10, 0x7f, v1
	v_cmpx_ne_u32_e32 0x7f, v10
	s_cbranch_execz .LBB321_295
; %bb.292:                              ;   in Loop: Header=BB321_9 Depth=1
	v_dual_lshrrev_b32 v1, 3, v10 :: v_dual_bitop2_b32 v2, 7, v1 bitop3:0x40
	s_mov_b32 s30, exec_lo
	v_cmpx_gt_u32_e32 8, v10
; %bb.293:                              ;   in Loop: Header=BB321_9 Depth=1
	s_delay_alu instid0(VALU_DEP_2) | instskip(NEXT) | instid1(VALU_DEP_1)
	v_clz_i32_u32_e32 v1, v2
	v_min_u32_e32 v1, 32, v1
	s_delay_alu instid0(VALU_DEP_1) | instskip(NEXT) | instid1(VALU_DEP_1)
	v_subrev_nc_u32_e32 v10, 28, v1
	v_lshlrev_b64_e32 v[10:11], v10, v[2:3]
	s_delay_alu instid0(VALU_DEP_1)
	v_dual_sub_nc_u32 v1, 29, v1 :: v_dual_bitop2_b32 v2, 7, v10 bitop3:0x40
; %bb.294:                              ;   in Loop: Header=BB321_9 Depth=1
	s_or_b32 exec_lo, exec_lo, s30
	s_delay_alu instid0(VALU_DEP_1) | instskip(NEXT) | instid1(VALU_DEP_2)
	v_dual_lshlrev_b32 v0, 16, v0 :: v_dual_lshlrev_b32 v2, 20, v2
	v_lshl_add_u32 v1, v1, 23, 0x3c000000
	s_delay_alu instid0(VALU_DEP_2) | instskip(NEXT) | instid1(VALU_DEP_1)
	v_and_b32_e32 v0, 0x80000000, v0
	v_or3_b32 v117, v2, v0, v1
.LBB321_295:                            ;   in Loop: Header=BB321_9 Depth=1
	s_or_b32 exec_lo, exec_lo, s29
.LBB321_296:                            ;   in Loop: Header=BB321_9 Depth=1
	s_delay_alu instid0(SALU_CYCLE_1)
	s_or_b32 exec_lo, exec_lo, s28
.LBB321_297:                            ;   in Loop: Header=BB321_9 Depth=1
	s_delay_alu instid0(SALU_CYCLE_1)
	s_or_b32 exec_lo, exec_lo, s27
	global_load_u16 v0, v[8:9], off offset:1152
	v_dual_mov_b32 v119, 0 :: v_dual_mov_b32 v120, 0
	s_mov_b32 s27, exec_lo
	s_wait_loadcnt 0x0
	v_and_b32_e32 v1, 0xff, v0
	v_and_b32_e32 v0, 0xffff, v0
	s_wait_xcnt 0x0
	s_delay_alu instid0(VALU_DEP_2)
	v_cmpx_ne_u16_e32 0, v1
	s_cbranch_execz .LBB321_305
; %bb.298:                              ;   in Loop: Header=BB321_9 Depth=1
	s_delay_alu instid0(VALU_DEP_2) | instskip(SKIP_2) | instid1(VALU_DEP_2)
	v_and_b32_e32 v1, 0xff, v0
	v_bfrev_b32_e32 v120, 1
	s_mov_b32 s28, exec_lo
	v_cmpx_ne_u16_e32 0x80, v1
	s_cbranch_execz .LBB321_304
; %bb.299:                              ;   in Loop: Header=BB321_9 Depth=1
	v_and_b32_e32 v10, 0x7f, v0
	v_mov_b32_e32 v120, 0x7f800001
	s_mov_b32 s29, exec_lo
	s_delay_alu instid0(VALU_DEP_2)
	v_cmpx_ne_u32_e32 0x7f, v10
	s_cbranch_execz .LBB321_303
; %bb.300:                              ;   in Loop: Header=BB321_9 Depth=1
	v_dual_lshrrev_b32 v1, 3, v10 :: v_dual_bitop2_b32 v2, 7, v0 bitop3:0x40
	s_mov_b32 s30, exec_lo
	v_cmpx_gt_u32_e32 8, v10
; %bb.301:                              ;   in Loop: Header=BB321_9 Depth=1
	s_delay_alu instid0(VALU_DEP_2) | instskip(NEXT) | instid1(VALU_DEP_1)
	v_clz_i32_u32_e32 v1, v2
	v_min_u32_e32 v1, 32, v1
	s_delay_alu instid0(VALU_DEP_1) | instskip(NEXT) | instid1(VALU_DEP_1)
	v_subrev_nc_u32_e32 v10, 28, v1
	v_lshlrev_b64_e32 v[10:11], v10, v[2:3]
	s_delay_alu instid0(VALU_DEP_1)
	v_dual_sub_nc_u32 v1, 29, v1 :: v_dual_bitop2_b32 v2, 7, v10 bitop3:0x40
; %bb.302:                              ;   in Loop: Header=BB321_9 Depth=1
	s_or_b32 exec_lo, exec_lo, s30
	s_delay_alu instid0(VALU_DEP_1) | instskip(NEXT) | instid1(VALU_DEP_2)
	v_dual_lshlrev_b32 v10, 24, v0 :: v_dual_lshlrev_b32 v2, 20, v2
	v_lshl_add_u32 v1, v1, 23, 0x3c000000
	s_delay_alu instid0(VALU_DEP_2) | instskip(NEXT) | instid1(VALU_DEP_1)
	v_and_b32_e32 v10, 0x80000000, v10
	v_or3_b32 v120, v2, v10, v1
.LBB321_303:                            ;   in Loop: Header=BB321_9 Depth=1
	s_or_b32 exec_lo, exec_lo, s29
.LBB321_304:                            ;   in Loop: Header=BB321_9 Depth=1
	s_delay_alu instid0(SALU_CYCLE_1)
	s_or_b32 exec_lo, exec_lo, s28
.LBB321_305:                            ;   in Loop: Header=BB321_9 Depth=1
	s_delay_alu instid0(SALU_CYCLE_1) | instskip(SKIP_2) | instid1(VALU_DEP_1)
	s_or_b32 exec_lo, exec_lo, s27
	v_lshrrev_b16 v1, 8, v0
	s_mov_b32 s27, exec_lo
	v_cmpx_ne_u16_e32 0, v1
	s_cbranch_execz .LBB321_313
; %bb.306:                              ;   in Loop: Header=BB321_9 Depth=1
	v_bfrev_b32_e32 v119, 1
	s_mov_b32 s28, exec_lo
	v_cmpx_ne_u16_e32 0x80, v1
	s_cbranch_execz .LBB321_312
; %bb.307:                              ;   in Loop: Header=BB321_9 Depth=1
	v_and_b32_e32 v1, 0xffff, v1
	v_mov_b32_e32 v119, 0x7f800001
	s_mov_b32 s29, exec_lo
	s_delay_alu instid0(VALU_DEP_2) | instskip(NEXT) | instid1(VALU_DEP_1)
	v_and_b32_e32 v10, 0x7f, v1
	v_cmpx_ne_u32_e32 0x7f, v10
	s_cbranch_execz .LBB321_311
; %bb.308:                              ;   in Loop: Header=BB321_9 Depth=1
	v_dual_lshrrev_b32 v1, 3, v10 :: v_dual_bitop2_b32 v2, 7, v1 bitop3:0x40
	s_mov_b32 s30, exec_lo
	v_cmpx_gt_u32_e32 8, v10
; %bb.309:                              ;   in Loop: Header=BB321_9 Depth=1
	s_delay_alu instid0(VALU_DEP_2) | instskip(NEXT) | instid1(VALU_DEP_1)
	v_clz_i32_u32_e32 v1, v2
	v_min_u32_e32 v1, 32, v1
	s_delay_alu instid0(VALU_DEP_1) | instskip(NEXT) | instid1(VALU_DEP_1)
	v_subrev_nc_u32_e32 v10, 28, v1
	v_lshlrev_b64_e32 v[10:11], v10, v[2:3]
	s_delay_alu instid0(VALU_DEP_1)
	v_dual_sub_nc_u32 v1, 29, v1 :: v_dual_bitop2_b32 v2, 7, v10 bitop3:0x40
; %bb.310:                              ;   in Loop: Header=BB321_9 Depth=1
	s_or_b32 exec_lo, exec_lo, s30
	s_delay_alu instid0(VALU_DEP_1) | instskip(NEXT) | instid1(VALU_DEP_2)
	v_dual_lshlrev_b32 v0, 16, v0 :: v_dual_lshlrev_b32 v2, 20, v2
	v_lshl_add_u32 v1, v1, 23, 0x3c000000
	s_delay_alu instid0(VALU_DEP_2) | instskip(NEXT) | instid1(VALU_DEP_1)
	v_and_b32_e32 v0, 0x80000000, v0
	v_or3_b32 v119, v2, v0, v1
.LBB321_311:                            ;   in Loop: Header=BB321_9 Depth=1
	s_or_b32 exec_lo, exec_lo, s29
.LBB321_312:                            ;   in Loop: Header=BB321_9 Depth=1
	s_delay_alu instid0(SALU_CYCLE_1)
	s_or_b32 exec_lo, exec_lo, s28
.LBB321_313:                            ;   in Loop: Header=BB321_9 Depth=1
	s_delay_alu instid0(SALU_CYCLE_1)
	s_or_b32 exec_lo, exec_lo, s27
	global_load_u16 v0, v[8:9], off offset:1160
	v_dual_mov_b32 v121, 0 :: v_dual_mov_b32 v122, 0
	s_mov_b32 s27, exec_lo
	s_wait_loadcnt 0x0
	v_and_b32_e32 v1, 0xff, v0
	v_and_b32_e32 v0, 0xffff, v0
	s_wait_xcnt 0x0
	s_delay_alu instid0(VALU_DEP_2)
	v_cmpx_ne_u16_e32 0, v1
	s_cbranch_execz .LBB321_321
; %bb.314:                              ;   in Loop: Header=BB321_9 Depth=1
	s_delay_alu instid0(VALU_DEP_2) | instskip(SKIP_2) | instid1(VALU_DEP_2)
	v_and_b32_e32 v1, 0xff, v0
	v_bfrev_b32_e32 v122, 1
	s_mov_b32 s28, exec_lo
	v_cmpx_ne_u16_e32 0x80, v1
	s_cbranch_execz .LBB321_320
; %bb.315:                              ;   in Loop: Header=BB321_9 Depth=1
	v_and_b32_e32 v10, 0x7f, v0
	v_mov_b32_e32 v122, 0x7f800001
	s_mov_b32 s29, exec_lo
	s_delay_alu instid0(VALU_DEP_2)
	v_cmpx_ne_u32_e32 0x7f, v10
	s_cbranch_execz .LBB321_319
; %bb.316:                              ;   in Loop: Header=BB321_9 Depth=1
	v_dual_lshrrev_b32 v1, 3, v10 :: v_dual_bitop2_b32 v2, 7, v0 bitop3:0x40
	s_mov_b32 s30, exec_lo
	v_cmpx_gt_u32_e32 8, v10
; %bb.317:                              ;   in Loop: Header=BB321_9 Depth=1
	s_delay_alu instid0(VALU_DEP_2) | instskip(NEXT) | instid1(VALU_DEP_1)
	v_clz_i32_u32_e32 v1, v2
	v_min_u32_e32 v1, 32, v1
	s_delay_alu instid0(VALU_DEP_1) | instskip(NEXT) | instid1(VALU_DEP_1)
	v_subrev_nc_u32_e32 v10, 28, v1
	v_lshlrev_b64_e32 v[10:11], v10, v[2:3]
	s_delay_alu instid0(VALU_DEP_1)
	v_dual_sub_nc_u32 v1, 29, v1 :: v_dual_bitop2_b32 v2, 7, v10 bitop3:0x40
; %bb.318:                              ;   in Loop: Header=BB321_9 Depth=1
	s_or_b32 exec_lo, exec_lo, s30
	s_delay_alu instid0(VALU_DEP_1) | instskip(NEXT) | instid1(VALU_DEP_2)
	v_dual_lshlrev_b32 v10, 24, v0 :: v_dual_lshlrev_b32 v2, 20, v2
	v_lshl_add_u32 v1, v1, 23, 0x3c000000
	s_delay_alu instid0(VALU_DEP_2) | instskip(NEXT) | instid1(VALU_DEP_1)
	v_and_b32_e32 v10, 0x80000000, v10
	v_or3_b32 v122, v2, v10, v1
.LBB321_319:                            ;   in Loop: Header=BB321_9 Depth=1
	s_or_b32 exec_lo, exec_lo, s29
.LBB321_320:                            ;   in Loop: Header=BB321_9 Depth=1
	s_delay_alu instid0(SALU_CYCLE_1)
	s_or_b32 exec_lo, exec_lo, s28
.LBB321_321:                            ;   in Loop: Header=BB321_9 Depth=1
	s_delay_alu instid0(SALU_CYCLE_1) | instskip(SKIP_2) | instid1(VALU_DEP_1)
	s_or_b32 exec_lo, exec_lo, s27
	v_lshrrev_b16 v1, 8, v0
	s_mov_b32 s27, exec_lo
	v_cmpx_ne_u16_e32 0, v1
	s_cbranch_execz .LBB321_329
; %bb.322:                              ;   in Loop: Header=BB321_9 Depth=1
	v_bfrev_b32_e32 v121, 1
	s_mov_b32 s28, exec_lo
	v_cmpx_ne_u16_e32 0x80, v1
	s_cbranch_execz .LBB321_328
; %bb.323:                              ;   in Loop: Header=BB321_9 Depth=1
	v_and_b32_e32 v1, 0xffff, v1
	v_mov_b32_e32 v121, 0x7f800001
	s_mov_b32 s29, exec_lo
	s_delay_alu instid0(VALU_DEP_2) | instskip(NEXT) | instid1(VALU_DEP_1)
	v_and_b32_e32 v10, 0x7f, v1
	v_cmpx_ne_u32_e32 0x7f, v10
	s_cbranch_execz .LBB321_327
; %bb.324:                              ;   in Loop: Header=BB321_9 Depth=1
	v_dual_lshrrev_b32 v1, 3, v10 :: v_dual_bitop2_b32 v2, 7, v1 bitop3:0x40
	s_mov_b32 s30, exec_lo
	v_cmpx_gt_u32_e32 8, v10
; %bb.325:                              ;   in Loop: Header=BB321_9 Depth=1
	s_delay_alu instid0(VALU_DEP_2) | instskip(NEXT) | instid1(VALU_DEP_1)
	v_clz_i32_u32_e32 v1, v2
	v_min_u32_e32 v1, 32, v1
	s_delay_alu instid0(VALU_DEP_1) | instskip(NEXT) | instid1(VALU_DEP_1)
	v_subrev_nc_u32_e32 v10, 28, v1
	v_lshlrev_b64_e32 v[10:11], v10, v[2:3]
	s_delay_alu instid0(VALU_DEP_1)
	v_dual_sub_nc_u32 v1, 29, v1 :: v_dual_bitop2_b32 v2, 7, v10 bitop3:0x40
; %bb.326:                              ;   in Loop: Header=BB321_9 Depth=1
	s_or_b32 exec_lo, exec_lo, s30
	s_delay_alu instid0(VALU_DEP_1) | instskip(NEXT) | instid1(VALU_DEP_2)
	v_dual_lshlrev_b32 v0, 16, v0 :: v_dual_lshlrev_b32 v2, 20, v2
	v_lshl_add_u32 v1, v1, 23, 0x3c000000
	s_delay_alu instid0(VALU_DEP_2) | instskip(NEXT) | instid1(VALU_DEP_1)
	v_and_b32_e32 v0, 0x80000000, v0
	v_or3_b32 v121, v2, v0, v1
.LBB321_327:                            ;   in Loop: Header=BB321_9 Depth=1
	s_or_b32 exec_lo, exec_lo, s29
.LBB321_328:                            ;   in Loop: Header=BB321_9 Depth=1
	s_delay_alu instid0(SALU_CYCLE_1)
	s_or_b32 exec_lo, exec_lo, s28
.LBB321_329:                            ;   in Loop: Header=BB321_9 Depth=1
	s_delay_alu instid0(SALU_CYCLE_1)
	s_or_b32 exec_lo, exec_lo, s27
	global_load_u16 v0, v[8:9], off offset:1280
	v_dual_mov_b32 v123, 0 :: v_dual_mov_b32 v124, 0
	s_mov_b32 s27, exec_lo
	s_wait_loadcnt 0x0
	v_and_b32_e32 v1, 0xff, v0
	v_and_b32_e32 v0, 0xffff, v0
	s_wait_xcnt 0x0
	s_delay_alu instid0(VALU_DEP_2)
	v_cmpx_ne_u16_e32 0, v1
	s_cbranch_execz .LBB321_337
; %bb.330:                              ;   in Loop: Header=BB321_9 Depth=1
	s_delay_alu instid0(VALU_DEP_2) | instskip(SKIP_2) | instid1(VALU_DEP_2)
	v_and_b32_e32 v1, 0xff, v0
	v_bfrev_b32_e32 v124, 1
	s_mov_b32 s28, exec_lo
	v_cmpx_ne_u16_e32 0x80, v1
	s_cbranch_execz .LBB321_336
; %bb.331:                              ;   in Loop: Header=BB321_9 Depth=1
	v_and_b32_e32 v10, 0x7f, v0
	v_mov_b32_e32 v124, 0x7f800001
	s_mov_b32 s29, exec_lo
	s_delay_alu instid0(VALU_DEP_2)
	v_cmpx_ne_u32_e32 0x7f, v10
	s_cbranch_execz .LBB321_335
; %bb.332:                              ;   in Loop: Header=BB321_9 Depth=1
	v_dual_lshrrev_b32 v1, 3, v10 :: v_dual_bitop2_b32 v2, 7, v0 bitop3:0x40
	s_mov_b32 s30, exec_lo
	v_cmpx_gt_u32_e32 8, v10
; %bb.333:                              ;   in Loop: Header=BB321_9 Depth=1
	s_delay_alu instid0(VALU_DEP_2) | instskip(NEXT) | instid1(VALU_DEP_1)
	v_clz_i32_u32_e32 v1, v2
	v_min_u32_e32 v1, 32, v1
	s_delay_alu instid0(VALU_DEP_1) | instskip(NEXT) | instid1(VALU_DEP_1)
	v_subrev_nc_u32_e32 v10, 28, v1
	v_lshlrev_b64_e32 v[10:11], v10, v[2:3]
	s_delay_alu instid0(VALU_DEP_1)
	v_dual_sub_nc_u32 v1, 29, v1 :: v_dual_bitop2_b32 v2, 7, v10 bitop3:0x40
; %bb.334:                              ;   in Loop: Header=BB321_9 Depth=1
	s_or_b32 exec_lo, exec_lo, s30
	s_delay_alu instid0(VALU_DEP_1) | instskip(NEXT) | instid1(VALU_DEP_2)
	v_dual_lshlrev_b32 v10, 24, v0 :: v_dual_lshlrev_b32 v2, 20, v2
	v_lshl_add_u32 v1, v1, 23, 0x3c000000
	s_delay_alu instid0(VALU_DEP_2) | instskip(NEXT) | instid1(VALU_DEP_1)
	v_and_b32_e32 v10, 0x80000000, v10
	v_or3_b32 v124, v2, v10, v1
.LBB321_335:                            ;   in Loop: Header=BB321_9 Depth=1
	s_or_b32 exec_lo, exec_lo, s29
.LBB321_336:                            ;   in Loop: Header=BB321_9 Depth=1
	s_delay_alu instid0(SALU_CYCLE_1)
	s_or_b32 exec_lo, exec_lo, s28
.LBB321_337:                            ;   in Loop: Header=BB321_9 Depth=1
	s_delay_alu instid0(SALU_CYCLE_1) | instskip(SKIP_2) | instid1(VALU_DEP_1)
	s_or_b32 exec_lo, exec_lo, s27
	v_lshrrev_b16 v1, 8, v0
	s_mov_b32 s27, exec_lo
	v_cmpx_ne_u16_e32 0, v1
	s_cbranch_execz .LBB321_345
; %bb.338:                              ;   in Loop: Header=BB321_9 Depth=1
	v_bfrev_b32_e32 v123, 1
	s_mov_b32 s28, exec_lo
	v_cmpx_ne_u16_e32 0x80, v1
	s_cbranch_execz .LBB321_344
; %bb.339:                              ;   in Loop: Header=BB321_9 Depth=1
	v_and_b32_e32 v1, 0xffff, v1
	v_mov_b32_e32 v123, 0x7f800001
	s_mov_b32 s29, exec_lo
	s_delay_alu instid0(VALU_DEP_2) | instskip(NEXT) | instid1(VALU_DEP_1)
	v_and_b32_e32 v10, 0x7f, v1
	v_cmpx_ne_u32_e32 0x7f, v10
	s_cbranch_execz .LBB321_343
; %bb.340:                              ;   in Loop: Header=BB321_9 Depth=1
	v_dual_lshrrev_b32 v1, 3, v10 :: v_dual_bitop2_b32 v2, 7, v1 bitop3:0x40
	s_mov_b32 s30, exec_lo
	v_cmpx_gt_u32_e32 8, v10
; %bb.341:                              ;   in Loop: Header=BB321_9 Depth=1
	s_delay_alu instid0(VALU_DEP_2) | instskip(NEXT) | instid1(VALU_DEP_1)
	v_clz_i32_u32_e32 v1, v2
	v_min_u32_e32 v1, 32, v1
	s_delay_alu instid0(VALU_DEP_1) | instskip(NEXT) | instid1(VALU_DEP_1)
	v_subrev_nc_u32_e32 v10, 28, v1
	v_lshlrev_b64_e32 v[10:11], v10, v[2:3]
	s_delay_alu instid0(VALU_DEP_1)
	v_dual_sub_nc_u32 v1, 29, v1 :: v_dual_bitop2_b32 v2, 7, v10 bitop3:0x40
; %bb.342:                              ;   in Loop: Header=BB321_9 Depth=1
	s_or_b32 exec_lo, exec_lo, s30
	s_delay_alu instid0(VALU_DEP_1) | instskip(NEXT) | instid1(VALU_DEP_2)
	v_dual_lshlrev_b32 v0, 16, v0 :: v_dual_lshlrev_b32 v2, 20, v2
	v_lshl_add_u32 v1, v1, 23, 0x3c000000
	s_delay_alu instid0(VALU_DEP_2) | instskip(NEXT) | instid1(VALU_DEP_1)
	v_and_b32_e32 v0, 0x80000000, v0
	v_or3_b32 v123, v2, v0, v1
.LBB321_343:                            ;   in Loop: Header=BB321_9 Depth=1
	s_or_b32 exec_lo, exec_lo, s29
.LBB321_344:                            ;   in Loop: Header=BB321_9 Depth=1
	s_delay_alu instid0(SALU_CYCLE_1)
	s_or_b32 exec_lo, exec_lo, s28
.LBB321_345:                            ;   in Loop: Header=BB321_9 Depth=1
	s_delay_alu instid0(SALU_CYCLE_1)
	s_or_b32 exec_lo, exec_lo, s27
	global_load_u16 v0, v[8:9], off offset:1288
	v_dual_mov_b32 v125, 0 :: v_dual_mov_b32 v126, 0
	s_mov_b32 s27, exec_lo
	s_wait_loadcnt 0x0
	v_and_b32_e32 v1, 0xff, v0
	v_and_b32_e32 v0, 0xffff, v0
	s_wait_xcnt 0x0
	s_delay_alu instid0(VALU_DEP_2)
	v_cmpx_ne_u16_e32 0, v1
	s_cbranch_execz .LBB321_353
; %bb.346:                              ;   in Loop: Header=BB321_9 Depth=1
	s_delay_alu instid0(VALU_DEP_2) | instskip(SKIP_2) | instid1(VALU_DEP_2)
	v_and_b32_e32 v1, 0xff, v0
	v_bfrev_b32_e32 v126, 1
	s_mov_b32 s28, exec_lo
	v_cmpx_ne_u16_e32 0x80, v1
	s_cbranch_execz .LBB321_352
; %bb.347:                              ;   in Loop: Header=BB321_9 Depth=1
	v_and_b32_e32 v10, 0x7f, v0
	v_mov_b32_e32 v126, 0x7f800001
	s_mov_b32 s29, exec_lo
	s_delay_alu instid0(VALU_DEP_2)
	v_cmpx_ne_u32_e32 0x7f, v10
	s_cbranch_execz .LBB321_351
; %bb.348:                              ;   in Loop: Header=BB321_9 Depth=1
	v_dual_lshrrev_b32 v1, 3, v10 :: v_dual_bitop2_b32 v2, 7, v0 bitop3:0x40
	s_mov_b32 s30, exec_lo
	v_cmpx_gt_u32_e32 8, v10
; %bb.349:                              ;   in Loop: Header=BB321_9 Depth=1
	s_delay_alu instid0(VALU_DEP_2) | instskip(NEXT) | instid1(VALU_DEP_1)
	v_clz_i32_u32_e32 v1, v2
	v_min_u32_e32 v1, 32, v1
	s_delay_alu instid0(VALU_DEP_1) | instskip(NEXT) | instid1(VALU_DEP_1)
	v_subrev_nc_u32_e32 v10, 28, v1
	v_lshlrev_b64_e32 v[10:11], v10, v[2:3]
	s_delay_alu instid0(VALU_DEP_1)
	v_dual_sub_nc_u32 v1, 29, v1 :: v_dual_bitop2_b32 v2, 7, v10 bitop3:0x40
; %bb.350:                              ;   in Loop: Header=BB321_9 Depth=1
	s_or_b32 exec_lo, exec_lo, s30
	s_delay_alu instid0(VALU_DEP_1) | instskip(NEXT) | instid1(VALU_DEP_2)
	v_dual_lshlrev_b32 v10, 24, v0 :: v_dual_lshlrev_b32 v2, 20, v2
	v_lshl_add_u32 v1, v1, 23, 0x3c000000
	s_delay_alu instid0(VALU_DEP_2) | instskip(NEXT) | instid1(VALU_DEP_1)
	v_and_b32_e32 v10, 0x80000000, v10
	v_or3_b32 v126, v2, v10, v1
.LBB321_351:                            ;   in Loop: Header=BB321_9 Depth=1
	s_or_b32 exec_lo, exec_lo, s29
.LBB321_352:                            ;   in Loop: Header=BB321_9 Depth=1
	s_delay_alu instid0(SALU_CYCLE_1)
	s_or_b32 exec_lo, exec_lo, s28
.LBB321_353:                            ;   in Loop: Header=BB321_9 Depth=1
	s_delay_alu instid0(SALU_CYCLE_1) | instskip(SKIP_2) | instid1(VALU_DEP_1)
	s_or_b32 exec_lo, exec_lo, s27
	v_lshrrev_b16 v1, 8, v0
	s_mov_b32 s27, exec_lo
	v_cmpx_ne_u16_e32 0, v1
	s_cbranch_execz .LBB321_361
; %bb.354:                              ;   in Loop: Header=BB321_9 Depth=1
	v_bfrev_b32_e32 v125, 1
	s_mov_b32 s28, exec_lo
	v_cmpx_ne_u16_e32 0x80, v1
	s_cbranch_execz .LBB321_360
; %bb.355:                              ;   in Loop: Header=BB321_9 Depth=1
	v_and_b32_e32 v1, 0xffff, v1
	v_mov_b32_e32 v125, 0x7f800001
	s_mov_b32 s29, exec_lo
	s_delay_alu instid0(VALU_DEP_2) | instskip(NEXT) | instid1(VALU_DEP_1)
	v_and_b32_e32 v10, 0x7f, v1
	v_cmpx_ne_u32_e32 0x7f, v10
	s_cbranch_execz .LBB321_359
; %bb.356:                              ;   in Loop: Header=BB321_9 Depth=1
	v_dual_lshrrev_b32 v1, 3, v10 :: v_dual_bitop2_b32 v2, 7, v1 bitop3:0x40
	s_mov_b32 s30, exec_lo
	v_cmpx_gt_u32_e32 8, v10
; %bb.357:                              ;   in Loop: Header=BB321_9 Depth=1
	s_delay_alu instid0(VALU_DEP_2) | instskip(NEXT) | instid1(VALU_DEP_1)
	v_clz_i32_u32_e32 v1, v2
	v_min_u32_e32 v1, 32, v1
	s_delay_alu instid0(VALU_DEP_1) | instskip(NEXT) | instid1(VALU_DEP_1)
	v_subrev_nc_u32_e32 v10, 28, v1
	v_lshlrev_b64_e32 v[10:11], v10, v[2:3]
	s_delay_alu instid0(VALU_DEP_1)
	v_dual_sub_nc_u32 v1, 29, v1 :: v_dual_bitop2_b32 v2, 7, v10 bitop3:0x40
; %bb.358:                              ;   in Loop: Header=BB321_9 Depth=1
	s_or_b32 exec_lo, exec_lo, s30
	s_delay_alu instid0(VALU_DEP_1) | instskip(NEXT) | instid1(VALU_DEP_2)
	v_dual_lshlrev_b32 v0, 16, v0 :: v_dual_lshlrev_b32 v2, 20, v2
	v_lshl_add_u32 v1, v1, 23, 0x3c000000
	s_delay_alu instid0(VALU_DEP_2) | instskip(NEXT) | instid1(VALU_DEP_1)
	v_and_b32_e32 v0, 0x80000000, v0
	v_or3_b32 v125, v2, v0, v1
.LBB321_359:                            ;   in Loop: Header=BB321_9 Depth=1
	s_or_b32 exec_lo, exec_lo, s29
.LBB321_360:                            ;   in Loop: Header=BB321_9 Depth=1
	s_delay_alu instid0(SALU_CYCLE_1)
	s_or_b32 exec_lo, exec_lo, s28
.LBB321_361:                            ;   in Loop: Header=BB321_9 Depth=1
	s_delay_alu instid0(SALU_CYCLE_1)
	s_or_b32 exec_lo, exec_lo, s27
	global_load_u16 v1, v[8:9], off offset:1408
	v_dual_mov_b32 v127, 0 :: v_dual_mov_b32 v22, 0
	s_mov_b32 s27, exec_lo
	s_wait_loadcnt 0x0
	v_and_b32_e32 v0, 0xffff, v1
	v_and_b32_e32 v1, 0xff, v1
	s_wait_xcnt 0x0
	s_delay_alu instid0(VALU_DEP_1)
	v_cmpx_ne_u16_e32 0, v1
	s_cbranch_execz .LBB321_369
; %bb.362:                              ;   in Loop: Header=BB321_9 Depth=1
	v_and_b32_e32 v1, 0xff, v0
	v_bfrev_b32_e32 v22, 1
	s_mov_b32 s28, exec_lo
	s_delay_alu instid0(VALU_DEP_2)
	v_cmpx_ne_u16_e32 0x80, v1
	s_cbranch_execz .LBB321_368
; %bb.363:                              ;   in Loop: Header=BB321_9 Depth=1
	v_and_b32_e32 v10, 0x7f, v0
	v_mov_b32_e32 v22, 0x7f800001
	s_mov_b32 s29, exec_lo
	s_delay_alu instid0(VALU_DEP_2)
	v_cmpx_ne_u32_e32 0x7f, v10
	s_cbranch_execz .LBB321_367
; %bb.364:                              ;   in Loop: Header=BB321_9 Depth=1
	v_dual_lshrrev_b32 v1, 3, v10 :: v_dual_bitop2_b32 v2, 7, v0 bitop3:0x40
	s_mov_b32 s30, exec_lo
	v_cmpx_gt_u32_e32 8, v10
; %bb.365:                              ;   in Loop: Header=BB321_9 Depth=1
	s_delay_alu instid0(VALU_DEP_2) | instskip(NEXT) | instid1(VALU_DEP_1)
	v_clz_i32_u32_e32 v1, v2
	v_min_u32_e32 v1, 32, v1
	s_delay_alu instid0(VALU_DEP_1) | instskip(NEXT) | instid1(VALU_DEP_1)
	v_subrev_nc_u32_e32 v10, 28, v1
	v_lshlrev_b64_e32 v[10:11], v10, v[2:3]
	s_delay_alu instid0(VALU_DEP_1)
	v_dual_sub_nc_u32 v1, 29, v1 :: v_dual_bitop2_b32 v2, 7, v10 bitop3:0x40
; %bb.366:                              ;   in Loop: Header=BB321_9 Depth=1
	s_or_b32 exec_lo, exec_lo, s30
	s_delay_alu instid0(VALU_DEP_1) | instskip(NEXT) | instid1(VALU_DEP_2)
	v_dual_lshlrev_b32 v10, 24, v0 :: v_dual_lshlrev_b32 v2, 20, v2
	v_lshl_add_u32 v1, v1, 23, 0x3c000000
	s_delay_alu instid0(VALU_DEP_2) | instskip(NEXT) | instid1(VALU_DEP_1)
	v_and_b32_e32 v10, 0x80000000, v10
	v_or3_b32 v22, v2, v10, v1
.LBB321_367:                            ;   in Loop: Header=BB321_9 Depth=1
	s_or_b32 exec_lo, exec_lo, s29
.LBB321_368:                            ;   in Loop: Header=BB321_9 Depth=1
	s_delay_alu instid0(SALU_CYCLE_1)
	s_or_b32 exec_lo, exec_lo, s28
.LBB321_369:                            ;   in Loop: Header=BB321_9 Depth=1
	s_delay_alu instid0(SALU_CYCLE_1) | instskip(SKIP_2) | instid1(VALU_DEP_1)
	s_or_b32 exec_lo, exec_lo, s27
	v_lshrrev_b16 v1, 8, v0
	s_mov_b32 s27, exec_lo
	v_cmpx_ne_u16_e32 0, v1
	s_cbranch_execz .LBB321_377
; %bb.370:                              ;   in Loop: Header=BB321_9 Depth=1
	v_bfrev_b32_e32 v127, 1
	s_mov_b32 s28, exec_lo
	v_cmpx_ne_u16_e32 0x80, v1
	s_cbranch_execz .LBB321_376
; %bb.371:                              ;   in Loop: Header=BB321_9 Depth=1
	v_and_b32_e32 v1, 0xffff, v1
	v_mov_b32_e32 v127, 0x7f800001
	s_mov_b32 s29, exec_lo
	s_delay_alu instid0(VALU_DEP_2) | instskip(NEXT) | instid1(VALU_DEP_1)
	v_and_b32_e32 v10, 0x7f, v1
	v_cmpx_ne_u32_e32 0x7f, v10
	s_cbranch_execz .LBB321_375
; %bb.372:                              ;   in Loop: Header=BB321_9 Depth=1
	v_dual_lshrrev_b32 v1, 3, v10 :: v_dual_bitop2_b32 v2, 7, v1 bitop3:0x40
	s_mov_b32 s30, exec_lo
	v_cmpx_gt_u32_e32 8, v10
; %bb.373:                              ;   in Loop: Header=BB321_9 Depth=1
	s_delay_alu instid0(VALU_DEP_2) | instskip(NEXT) | instid1(VALU_DEP_1)
	v_clz_i32_u32_e32 v1, v2
	v_min_u32_e32 v1, 32, v1
	s_delay_alu instid0(VALU_DEP_1) | instskip(NEXT) | instid1(VALU_DEP_1)
	v_subrev_nc_u32_e32 v10, 28, v1
	v_lshlrev_b64_e32 v[10:11], v10, v[2:3]
	s_delay_alu instid0(VALU_DEP_1)
	v_dual_sub_nc_u32 v1, 29, v1 :: v_dual_bitop2_b32 v2, 7, v10 bitop3:0x40
; %bb.374:                              ;   in Loop: Header=BB321_9 Depth=1
	s_or_b32 exec_lo, exec_lo, s30
	s_delay_alu instid0(VALU_DEP_1) | instskip(NEXT) | instid1(VALU_DEP_2)
	v_dual_lshlrev_b32 v0, 16, v0 :: v_dual_lshlrev_b32 v2, 20, v2
	v_lshl_add_u32 v1, v1, 23, 0x3c000000
	s_delay_alu instid0(VALU_DEP_2) | instskip(NEXT) | instid1(VALU_DEP_1)
	v_and_b32_e32 v0, 0x80000000, v0
	v_or3_b32 v127, v2, v0, v1
.LBB321_375:                            ;   in Loop: Header=BB321_9 Depth=1
	s_or_b32 exec_lo, exec_lo, s29
.LBB321_376:                            ;   in Loop: Header=BB321_9 Depth=1
	s_delay_alu instid0(SALU_CYCLE_1)
	s_or_b32 exec_lo, exec_lo, s28
.LBB321_377:                            ;   in Loop: Header=BB321_9 Depth=1
	s_delay_alu instid0(SALU_CYCLE_1)
	s_or_b32 exec_lo, exec_lo, s27
	global_load_u16 v1, v[8:9], off offset:1416
	v_mov_b32_e32 v42, 0
	s_wait_loadcnt 0x0
	v_and_b32_e32 v0, 0xffff, v1
	v_and_b32_e32 v1, 0xff, v1
	s_delay_alu instid0(VALU_DEP_1)
	v_cmp_ne_u16_e64 s4, 0, v1
	v_mov_b32_e32 v1, 0
	s_wait_xcnt 0x0
	s_and_saveexec_b32 s27, s4
	s_cbranch_execz .LBB321_385
; %bb.378:                              ;   in Loop: Header=BB321_9 Depth=1
	v_and_b32_e32 v2, 0xff, v0
	v_bfrev_b32_e32 v42, 1
	s_mov_b32 s28, exec_lo
	s_delay_alu instid0(VALU_DEP_2)
	v_cmpx_ne_u16_e32 0x80, v2
	s_cbranch_execz .LBB321_384
; %bb.379:                              ;   in Loop: Header=BB321_9 Depth=1
	v_and_b32_e32 v11, 0x7f, v0
	v_mov_b32_e32 v42, 0x7f800001
	s_mov_b32 s29, exec_lo
	s_delay_alu instid0(VALU_DEP_2)
	v_cmpx_ne_u32_e32 0x7f, v11
	s_cbranch_execz .LBB321_383
; %bb.380:                              ;   in Loop: Header=BB321_9 Depth=1
	v_dual_lshrrev_b32 v10, 3, v11 :: v_dual_bitop2_b32 v2, 7, v0 bitop3:0x40
	s_mov_b32 s30, exec_lo
	v_cmpx_gt_u32_e32 8, v11
; %bb.381:                              ;   in Loop: Header=BB321_9 Depth=1
	s_delay_alu instid0(VALU_DEP_2) | instskip(NEXT) | instid1(VALU_DEP_1)
	v_clz_i32_u32_e32 v10, v2
	v_min_u32_e32 v10, 32, v10
	s_delay_alu instid0(VALU_DEP_1) | instskip(NEXT) | instid1(VALU_DEP_1)
	v_subrev_nc_u32_e32 v11, 28, v10
	v_lshlrev_b64_e32 v[12:13], v11, v[2:3]
	s_delay_alu instid0(VALU_DEP_1)
	v_dual_sub_nc_u32 v10, 29, v10 :: v_dual_bitop2_b32 v2, 7, v12 bitop3:0x40
; %bb.382:                              ;   in Loop: Header=BB321_9 Depth=1
	s_or_b32 exec_lo, exec_lo, s30
	s_delay_alu instid0(VALU_DEP_1) | instskip(NEXT) | instid1(VALU_DEP_2)
	v_dual_lshlrev_b32 v11, 24, v0 :: v_dual_lshlrev_b32 v2, 20, v2
	v_lshl_add_u32 v10, v10, 23, 0x3c000000
	s_delay_alu instid0(VALU_DEP_2) | instskip(NEXT) | instid1(VALU_DEP_1)
	v_and_b32_e32 v11, 0x80000000, v11
	v_or3_b32 v42, v2, v11, v10
.LBB321_383:                            ;   in Loop: Header=BB321_9 Depth=1
	s_or_b32 exec_lo, exec_lo, s29
.LBB321_384:                            ;   in Loop: Header=BB321_9 Depth=1
	s_delay_alu instid0(SALU_CYCLE_1)
	s_or_b32 exec_lo, exec_lo, s28
.LBB321_385:                            ;   in Loop: Header=BB321_9 Depth=1
	s_delay_alu instid0(SALU_CYCLE_1) | instskip(SKIP_2) | instid1(VALU_DEP_1)
	s_or_b32 exec_lo, exec_lo, s27
	v_lshrrev_b16 v2, 8, v0
	s_mov_b32 s27, exec_lo
	v_cmpx_ne_u16_e32 0, v2
	s_cbranch_execz .LBB321_393
; %bb.386:                              ;   in Loop: Header=BB321_9 Depth=1
	v_bfrev_b32_e32 v1, 1
	s_mov_b32 s28, exec_lo
	v_cmpx_ne_u16_e32 0x80, v2
	s_cbranch_execz .LBB321_392
; %bb.387:                              ;   in Loop: Header=BB321_9 Depth=1
	v_and_b32_e32 v2, 0xffff, v2
	v_mov_b32_e32 v1, 0x7f800001
	s_mov_b32 s29, exec_lo
	s_delay_alu instid0(VALU_DEP_2) | instskip(NEXT) | instid1(VALU_DEP_1)
	v_and_b32_e32 v10, 0x7f, v2
	v_cmpx_ne_u32_e32 0x7f, v10
	s_cbranch_execz .LBB321_391
; %bb.388:                              ;   in Loop: Header=BB321_9 Depth=1
	v_and_b32_e32 v2, 7, v2
	v_lshrrev_b32_e32 v1, 3, v10
	s_mov_b32 s30, exec_lo
	v_cmpx_gt_u32_e32 8, v10
; %bb.389:                              ;   in Loop: Header=BB321_9 Depth=1
	s_delay_alu instid0(VALU_DEP_3) | instskip(NEXT) | instid1(VALU_DEP_1)
	v_clz_i32_u32_e32 v1, v2
	v_min_u32_e32 v1, 32, v1
	s_delay_alu instid0(VALU_DEP_1) | instskip(NEXT) | instid1(VALU_DEP_1)
	v_subrev_nc_u32_e32 v10, 28, v1
	v_lshlrev_b64_e32 v[10:11], v10, v[2:3]
	s_delay_alu instid0(VALU_DEP_1)
	v_dual_sub_nc_u32 v1, 29, v1 :: v_dual_bitop2_b32 v2, 7, v10 bitop3:0x40
; %bb.390:                              ;   in Loop: Header=BB321_9 Depth=1
	s_or_b32 exec_lo, exec_lo, s30
	s_delay_alu instid0(VALU_DEP_1) | instskip(NEXT) | instid1(VALU_DEP_2)
	v_dual_lshlrev_b32 v0, 16, v0 :: v_dual_lshlrev_b32 v2, 20, v2
	v_lshl_add_u32 v1, v1, 23, 0x3c000000
	s_delay_alu instid0(VALU_DEP_2) | instskip(NEXT) | instid1(VALU_DEP_1)
	v_and_b32_e32 v0, 0x80000000, v0
	v_or3_b32 v1, v2, v0, v1
.LBB321_391:                            ;   in Loop: Header=BB321_9 Depth=1
	s_or_b32 exec_lo, exec_lo, s29
.LBB321_392:                            ;   in Loop: Header=BB321_9 Depth=1
	s_delay_alu instid0(SALU_CYCLE_1)
	s_or_b32 exec_lo, exec_lo, s28
.LBB321_393:                            ;   in Loop: Header=BB321_9 Depth=1
	s_delay_alu instid0(SALU_CYCLE_1)
	s_or_b32 exec_lo, exec_lo, s27
	global_load_u16 v0, v[8:9], off offset:1536
	v_mov_b32_e32 v10, 0
	s_wait_loadcnt 0x0
	v_and_b32_e32 v11, 0xffff, v0
	v_and_b32_e32 v0, 0xff, v0
	s_delay_alu instid0(VALU_DEP_1)
	v_cmp_ne_u16_e64 s4, 0, v0
	v_mov_b32_e32 v0, 0
	s_wait_xcnt 0x0
	s_and_saveexec_b32 s27, s4
	s_cbranch_execz .LBB321_401
; %bb.394:                              ;   in Loop: Header=BB321_9 Depth=1
	v_and_b32_e32 v0, 0xff, v11
	s_delay_alu instid0(VALU_DEP_1)
	v_cmp_ne_u16_e64 s4, 0x80, v0
	v_bfrev_b32_e32 v0, 1
	s_and_saveexec_b32 s28, s4
	s_cbranch_execz .LBB321_400
; %bb.395:                              ;   in Loop: Header=BB321_9 Depth=1
	v_and_b32_e32 v12, 0x7f, v11
	v_mov_b32_e32 v0, 0x7f800001
	s_mov_b32 s29, exec_lo
	s_delay_alu instid0(VALU_DEP_2)
	v_cmpx_ne_u32_e32 0x7f, v12
	s_cbranch_execz .LBB321_399
; %bb.396:                              ;   in Loop: Header=BB321_9 Depth=1
	v_dual_lshrrev_b32 v0, 3, v12 :: v_dual_bitop2_b32 v2, 7, v11 bitop3:0x40
	s_mov_b32 s30, exec_lo
	v_cmpx_gt_u32_e32 8, v12
; %bb.397:                              ;   in Loop: Header=BB321_9 Depth=1
	s_delay_alu instid0(VALU_DEP_2) | instskip(NEXT) | instid1(VALU_DEP_1)
	v_clz_i32_u32_e32 v0, v2
	v_min_u32_e32 v0, 32, v0
	s_delay_alu instid0(VALU_DEP_1) | instskip(SKIP_1) | instid1(VALU_DEP_2)
	v_subrev_nc_u32_e32 v12, 28, v0
	v_sub_nc_u32_e32 v0, 29, v0
	v_lshlrev_b64_e32 v[12:13], v12, v[2:3]
	s_delay_alu instid0(VALU_DEP_1)
	v_and_b32_e32 v2, 7, v12
; %bb.398:                              ;   in Loop: Header=BB321_9 Depth=1
	s_or_b32 exec_lo, exec_lo, s30
	s_delay_alu instid0(VALU_DEP_1) | instskip(SKIP_1) | instid1(VALU_DEP_2)
	v_dual_lshlrev_b32 v12, 24, v11 :: v_dual_lshlrev_b32 v2, 20, v2
	v_lshl_add_u32 v0, v0, 23, 0x3c000000
	v_and_b32_e32 v12, 0x80000000, v12
	s_delay_alu instid0(VALU_DEP_1)
	v_or3_b32 v0, v2, v12, v0
.LBB321_399:                            ;   in Loop: Header=BB321_9 Depth=1
	s_or_b32 exec_lo, exec_lo, s29
.LBB321_400:                            ;   in Loop: Header=BB321_9 Depth=1
	s_delay_alu instid0(SALU_CYCLE_1)
	s_or_b32 exec_lo, exec_lo, s28
.LBB321_401:                            ;   in Loop: Header=BB321_9 Depth=1
	s_delay_alu instid0(SALU_CYCLE_1) | instskip(SKIP_2) | instid1(VALU_DEP_1)
	s_or_b32 exec_lo, exec_lo, s27
	v_lshrrev_b16 v2, 8, v11
	s_mov_b32 s27, exec_lo
	v_cmpx_ne_u16_e32 0, v2
	s_cbranch_execz .LBB321_409
; %bb.402:                              ;   in Loop: Header=BB321_9 Depth=1
	v_bfrev_b32_e32 v10, 1
	s_mov_b32 s28, exec_lo
	v_cmpx_ne_u16_e32 0x80, v2
	s_cbranch_execz .LBB321_408
; %bb.403:                              ;   in Loop: Header=BB321_9 Depth=1
	v_and_b32_e32 v2, 0xffff, v2
	v_mov_b32_e32 v10, 0x7f800001
	s_mov_b32 s29, exec_lo
	s_delay_alu instid0(VALU_DEP_2) | instskip(NEXT) | instid1(VALU_DEP_1)
	v_and_b32_e32 v12, 0x7f, v2
	v_cmpx_ne_u32_e32 0x7f, v12
	s_cbranch_execz .LBB321_407
; %bb.404:                              ;   in Loop: Header=BB321_9 Depth=1
	v_dual_lshrrev_b32 v10, 3, v12 :: v_dual_bitop2_b32 v2, 7, v2 bitop3:0x40
	s_mov_b32 s30, exec_lo
	v_cmpx_gt_u32_e32 8, v12
; %bb.405:                              ;   in Loop: Header=BB321_9 Depth=1
	s_delay_alu instid0(VALU_DEP_2) | instskip(NEXT) | instid1(VALU_DEP_1)
	v_clz_i32_u32_e32 v10, v2
	v_min_u32_e32 v10, 32, v10
	s_delay_alu instid0(VALU_DEP_1) | instskip(NEXT) | instid1(VALU_DEP_1)
	v_subrev_nc_u32_e32 v12, 28, v10
	v_lshlrev_b64_e32 v[12:13], v12, v[2:3]
	s_delay_alu instid0(VALU_DEP_1)
	v_dual_sub_nc_u32 v10, 29, v10 :: v_dual_bitop2_b32 v2, 7, v12 bitop3:0x40
; %bb.406:                              ;   in Loop: Header=BB321_9 Depth=1
	s_or_b32 exec_lo, exec_lo, s30
	s_delay_alu instid0(VALU_DEP_1) | instskip(NEXT) | instid1(VALU_DEP_2)
	v_dual_lshlrev_b32 v11, 16, v11 :: v_dual_lshlrev_b32 v2, 20, v2
	v_lshl_add_u32 v10, v10, 23, 0x3c000000
	s_delay_alu instid0(VALU_DEP_2) | instskip(NEXT) | instid1(VALU_DEP_1)
	v_and_b32_e32 v11, 0x80000000, v11
	v_or3_b32 v10, v2, v11, v10
.LBB321_407:                            ;   in Loop: Header=BB321_9 Depth=1
	s_or_b32 exec_lo, exec_lo, s29
.LBB321_408:                            ;   in Loop: Header=BB321_9 Depth=1
	s_delay_alu instid0(SALU_CYCLE_1)
	s_or_b32 exec_lo, exec_lo, s28
.LBB321_409:                            ;   in Loop: Header=BB321_9 Depth=1
	s_delay_alu instid0(SALU_CYCLE_1)
	s_or_b32 exec_lo, exec_lo, s27
	global_load_u16 v2, v[8:9], off offset:1544
	v_dual_mov_b32 v11, 0 :: v_dual_mov_b32 v12, 0
	s_mov_b32 s27, exec_lo
	s_wait_loadcnt 0x0
	v_and_b32_e32 v13, 0xffff, v2
	v_and_b32_e32 v2, 0xff, v2
	s_wait_xcnt 0x0
	s_delay_alu instid0(VALU_DEP_1)
	v_cmpx_ne_u16_e32 0, v2
	s_cbranch_execz .LBB321_417
; %bb.410:                              ;   in Loop: Header=BB321_9 Depth=1
	v_and_b32_e32 v2, 0xff, v13
	v_bfrev_b32_e32 v12, 1
	s_mov_b32 s28, exec_lo
	s_delay_alu instid0(VALU_DEP_2)
	v_cmpx_ne_u16_e32 0x80, v2
	s_cbranch_execz .LBB321_416
; %bb.411:                              ;   in Loop: Header=BB321_9 Depth=1
	v_and_b32_e32 v14, 0x7f, v13
	v_mov_b32_e32 v12, 0x7f800001
	s_mov_b32 s29, exec_lo
	s_delay_alu instid0(VALU_DEP_2)
	v_cmpx_ne_u32_e32 0x7f, v14
	s_cbranch_execz .LBB321_415
; %bb.412:                              ;   in Loop: Header=BB321_9 Depth=1
	v_dual_lshrrev_b32 v12, 3, v14 :: v_dual_bitop2_b32 v2, 7, v13 bitop3:0x40
	s_mov_b32 s30, exec_lo
	v_cmpx_gt_u32_e32 8, v14
; %bb.413:                              ;   in Loop: Header=BB321_9 Depth=1
	s_delay_alu instid0(VALU_DEP_2) | instskip(NEXT) | instid1(VALU_DEP_1)
	v_clz_i32_u32_e32 v12, v2
	v_min_u32_e32 v12, 32, v12
	s_delay_alu instid0(VALU_DEP_1) | instskip(NEXT) | instid1(VALU_DEP_1)
	v_subrev_nc_u32_e32 v14, 28, v12
	v_lshlrev_b64_e32 v[14:15], v14, v[2:3]
	s_delay_alu instid0(VALU_DEP_1)
	v_dual_sub_nc_u32 v12, 29, v12 :: v_dual_bitop2_b32 v2, 7, v14 bitop3:0x40
; %bb.414:                              ;   in Loop: Header=BB321_9 Depth=1
	s_or_b32 exec_lo, exec_lo, s30
	s_delay_alu instid0(VALU_DEP_1) | instskip(NEXT) | instid1(VALU_DEP_2)
	v_dual_lshlrev_b32 v14, 24, v13 :: v_dual_lshlrev_b32 v2, 20, v2
	v_lshl_add_u32 v12, v12, 23, 0x3c000000
	s_delay_alu instid0(VALU_DEP_2) | instskip(NEXT) | instid1(VALU_DEP_1)
	v_and_b32_e32 v14, 0x80000000, v14
	v_or3_b32 v12, v2, v14, v12
.LBB321_415:                            ;   in Loop: Header=BB321_9 Depth=1
	s_or_b32 exec_lo, exec_lo, s29
.LBB321_416:                            ;   in Loop: Header=BB321_9 Depth=1
	s_delay_alu instid0(SALU_CYCLE_1)
	s_or_b32 exec_lo, exec_lo, s28
.LBB321_417:                            ;   in Loop: Header=BB321_9 Depth=1
	s_delay_alu instid0(SALU_CYCLE_1) | instskip(SKIP_2) | instid1(VALU_DEP_1)
	s_or_b32 exec_lo, exec_lo, s27
	v_lshrrev_b16 v2, 8, v13
	s_mov_b32 s27, exec_lo
	v_cmpx_ne_u16_e32 0, v2
	s_cbranch_execz .LBB321_425
; %bb.418:                              ;   in Loop: Header=BB321_9 Depth=1
	v_bfrev_b32_e32 v11, 1
	s_mov_b32 s28, exec_lo
	v_cmpx_ne_u16_e32 0x80, v2
	s_cbranch_execz .LBB321_424
; %bb.419:                              ;   in Loop: Header=BB321_9 Depth=1
	v_and_b32_e32 v2, 0xffff, v2
	v_mov_b32_e32 v11, 0x7f800001
	s_mov_b32 s29, exec_lo
	s_delay_alu instid0(VALU_DEP_2) | instskip(NEXT) | instid1(VALU_DEP_1)
	v_and_b32_e32 v14, 0x7f, v2
	v_cmpx_ne_u32_e32 0x7f, v14
	s_cbranch_execz .LBB321_423
; %bb.420:                              ;   in Loop: Header=BB321_9 Depth=1
	v_and_b32_e32 v2, 7, v2
	v_lshrrev_b32_e32 v11, 3, v14
	s_mov_b32 s30, exec_lo
	v_cmpx_gt_u32_e32 8, v14
; %bb.421:                              ;   in Loop: Header=BB321_9 Depth=1
	s_delay_alu instid0(VALU_DEP_3) | instskip(NEXT) | instid1(VALU_DEP_1)
	v_clz_i32_u32_e32 v11, v2
	v_min_u32_e32 v11, 32, v11
	s_delay_alu instid0(VALU_DEP_1) | instskip(NEXT) | instid1(VALU_DEP_1)
	v_subrev_nc_u32_e32 v14, 28, v11
	v_lshlrev_b64_e32 v[14:15], v14, v[2:3]
	s_delay_alu instid0(VALU_DEP_1)
	v_dual_sub_nc_u32 v11, 29, v11 :: v_dual_bitop2_b32 v2, 7, v14 bitop3:0x40
; %bb.422:                              ;   in Loop: Header=BB321_9 Depth=1
	s_or_b32 exec_lo, exec_lo, s30
	s_delay_alu instid0(VALU_DEP_1) | instskip(NEXT) | instid1(VALU_DEP_2)
	v_dual_lshlrev_b32 v13, 16, v13 :: v_dual_lshlrev_b32 v2, 20, v2
	v_lshl_add_u32 v11, v11, 23, 0x3c000000
	s_delay_alu instid0(VALU_DEP_2) | instskip(NEXT) | instid1(VALU_DEP_1)
	v_and_b32_e32 v13, 0x80000000, v13
	v_or3_b32 v11, v2, v13, v11
.LBB321_423:                            ;   in Loop: Header=BB321_9 Depth=1
	s_or_b32 exec_lo, exec_lo, s29
.LBB321_424:                            ;   in Loop: Header=BB321_9 Depth=1
	s_delay_alu instid0(SALU_CYCLE_1)
	s_or_b32 exec_lo, exec_lo, s28
.LBB321_425:                            ;   in Loop: Header=BB321_9 Depth=1
	s_delay_alu instid0(SALU_CYCLE_1)
	s_or_b32 exec_lo, exec_lo, s27
	global_load_u16 v2, v[8:9], off offset:1664
	v_dual_mov_b32 v13, 0 :: v_dual_mov_b32 v14, 0
	s_mov_b32 s27, exec_lo
	s_wait_loadcnt 0x0
	v_and_b32_e32 v15, 0xffff, v2
	v_and_b32_e32 v2, 0xff, v2
	s_wait_xcnt 0x0
	s_delay_alu instid0(VALU_DEP_1)
	v_cmpx_ne_u16_e32 0, v2
	s_cbranch_execz .LBB321_433
; %bb.426:                              ;   in Loop: Header=BB321_9 Depth=1
	v_and_b32_e32 v2, 0xff, v15
	v_bfrev_b32_e32 v14, 1
	s_mov_b32 s28, exec_lo
	s_delay_alu instid0(VALU_DEP_2)
	v_cmpx_ne_u16_e32 0x80, v2
	s_cbranch_execz .LBB321_432
; %bb.427:                              ;   in Loop: Header=BB321_9 Depth=1
	v_and_b32_e32 v16, 0x7f, v15
	v_mov_b32_e32 v14, 0x7f800001
	s_mov_b32 s29, exec_lo
	s_delay_alu instid0(VALU_DEP_2)
	v_cmpx_ne_u32_e32 0x7f, v16
	s_cbranch_execz .LBB321_431
; %bb.428:                              ;   in Loop: Header=BB321_9 Depth=1
	v_dual_lshrrev_b32 v14, 3, v16 :: v_dual_bitop2_b32 v2, 7, v15 bitop3:0x40
	s_mov_b32 s30, exec_lo
	v_cmpx_gt_u32_e32 8, v16
; %bb.429:                              ;   in Loop: Header=BB321_9 Depth=1
	s_delay_alu instid0(VALU_DEP_2) | instskip(NEXT) | instid1(VALU_DEP_1)
	v_clz_i32_u32_e32 v14, v2
	v_min_u32_e32 v14, 32, v14
	s_delay_alu instid0(VALU_DEP_1) | instskip(NEXT) | instid1(VALU_DEP_1)
	v_subrev_nc_u32_e32 v16, 28, v14
	v_lshlrev_b64_e32 v[16:17], v16, v[2:3]
	s_delay_alu instid0(VALU_DEP_1)
	v_dual_sub_nc_u32 v14, 29, v14 :: v_dual_bitop2_b32 v2, 7, v16 bitop3:0x40
; %bb.430:                              ;   in Loop: Header=BB321_9 Depth=1
	s_or_b32 exec_lo, exec_lo, s30
	s_delay_alu instid0(VALU_DEP_1) | instskip(NEXT) | instid1(VALU_DEP_2)
	v_dual_lshlrev_b32 v16, 24, v15 :: v_dual_lshlrev_b32 v2, 20, v2
	v_lshl_add_u32 v14, v14, 23, 0x3c000000
	s_delay_alu instid0(VALU_DEP_2) | instskip(NEXT) | instid1(VALU_DEP_1)
	v_and_b32_e32 v16, 0x80000000, v16
	v_or3_b32 v14, v2, v16, v14
.LBB321_431:                            ;   in Loop: Header=BB321_9 Depth=1
	s_or_b32 exec_lo, exec_lo, s29
.LBB321_432:                            ;   in Loop: Header=BB321_9 Depth=1
	s_delay_alu instid0(SALU_CYCLE_1)
	s_or_b32 exec_lo, exec_lo, s28
.LBB321_433:                            ;   in Loop: Header=BB321_9 Depth=1
	s_delay_alu instid0(SALU_CYCLE_1) | instskip(SKIP_2) | instid1(VALU_DEP_1)
	s_or_b32 exec_lo, exec_lo, s27
	v_lshrrev_b16 v2, 8, v15
	s_mov_b32 s27, exec_lo
	v_cmpx_ne_u16_e32 0, v2
	s_cbranch_execz .LBB321_441
; %bb.434:                              ;   in Loop: Header=BB321_9 Depth=1
	v_bfrev_b32_e32 v13, 1
	s_mov_b32 s28, exec_lo
	v_cmpx_ne_u16_e32 0x80, v2
	s_cbranch_execz .LBB321_440
; %bb.435:                              ;   in Loop: Header=BB321_9 Depth=1
	v_and_b32_e32 v2, 0xffff, v2
	v_mov_b32_e32 v13, 0x7f800001
	s_mov_b32 s29, exec_lo
	s_delay_alu instid0(VALU_DEP_2) | instskip(NEXT) | instid1(VALU_DEP_1)
	v_and_b32_e32 v16, 0x7f, v2
	v_cmpx_ne_u32_e32 0x7f, v16
	s_cbranch_execz .LBB321_439
; %bb.436:                              ;   in Loop: Header=BB321_9 Depth=1
	v_dual_lshrrev_b32 v13, 3, v16 :: v_dual_bitop2_b32 v2, 7, v2 bitop3:0x40
	s_mov_b32 s30, exec_lo
	v_cmpx_gt_u32_e32 8, v16
; %bb.437:                              ;   in Loop: Header=BB321_9 Depth=1
	s_delay_alu instid0(VALU_DEP_2) | instskip(NEXT) | instid1(VALU_DEP_1)
	v_clz_i32_u32_e32 v13, v2
	v_min_u32_e32 v13, 32, v13
	s_delay_alu instid0(VALU_DEP_1) | instskip(NEXT) | instid1(VALU_DEP_1)
	v_subrev_nc_u32_e32 v16, 28, v13
	v_lshlrev_b64_e32 v[16:17], v16, v[2:3]
	s_delay_alu instid0(VALU_DEP_1)
	v_dual_sub_nc_u32 v13, 29, v13 :: v_dual_bitop2_b32 v2, 7, v16 bitop3:0x40
; %bb.438:                              ;   in Loop: Header=BB321_9 Depth=1
	s_or_b32 exec_lo, exec_lo, s30
	s_delay_alu instid0(VALU_DEP_1) | instskip(NEXT) | instid1(VALU_DEP_2)
	v_dual_lshlrev_b32 v15, 16, v15 :: v_dual_lshlrev_b32 v2, 20, v2
	v_lshl_add_u32 v13, v13, 23, 0x3c000000
	s_delay_alu instid0(VALU_DEP_2) | instskip(NEXT) | instid1(VALU_DEP_1)
	v_and_b32_e32 v15, 0x80000000, v15
	v_or3_b32 v13, v2, v15, v13
.LBB321_439:                            ;   in Loop: Header=BB321_9 Depth=1
	s_or_b32 exec_lo, exec_lo, s29
.LBB321_440:                            ;   in Loop: Header=BB321_9 Depth=1
	s_delay_alu instid0(SALU_CYCLE_1)
	s_or_b32 exec_lo, exec_lo, s28
.LBB321_441:                            ;   in Loop: Header=BB321_9 Depth=1
	s_delay_alu instid0(SALU_CYCLE_1)
	s_or_b32 exec_lo, exec_lo, s27
	global_load_u16 v2, v[8:9], off offset:1672
	v_dual_mov_b32 v15, 0 :: v_dual_mov_b32 v16, 0
	s_mov_b32 s27, exec_lo
	s_wait_loadcnt 0x0
	v_and_b32_e32 v17, 0xffff, v2
	v_and_b32_e32 v2, 0xff, v2
	s_wait_xcnt 0x0
	s_delay_alu instid0(VALU_DEP_1)
	v_cmpx_ne_u16_e32 0, v2
	s_cbranch_execz .LBB321_449
; %bb.442:                              ;   in Loop: Header=BB321_9 Depth=1
	v_and_b32_e32 v2, 0xff, v17
	v_bfrev_b32_e32 v16, 1
	s_mov_b32 s28, exec_lo
	s_delay_alu instid0(VALU_DEP_2)
	v_cmpx_ne_u16_e32 0x80, v2
	s_cbranch_execz .LBB321_448
; %bb.443:                              ;   in Loop: Header=BB321_9 Depth=1
	v_and_b32_e32 v18, 0x7f, v17
	v_mov_b32_e32 v16, 0x7f800001
	s_mov_b32 s29, exec_lo
	s_delay_alu instid0(VALU_DEP_2)
	v_cmpx_ne_u32_e32 0x7f, v18
	s_cbranch_execz .LBB321_447
; %bb.444:                              ;   in Loop: Header=BB321_9 Depth=1
	v_dual_lshrrev_b32 v16, 3, v18 :: v_dual_bitop2_b32 v2, 7, v17 bitop3:0x40
	s_mov_b32 s30, exec_lo
	v_cmpx_gt_u32_e32 8, v18
; %bb.445:                              ;   in Loop: Header=BB321_9 Depth=1
	s_delay_alu instid0(VALU_DEP_2) | instskip(NEXT) | instid1(VALU_DEP_1)
	v_clz_i32_u32_e32 v16, v2
	v_min_u32_e32 v16, 32, v16
	s_delay_alu instid0(VALU_DEP_1) | instskip(NEXT) | instid1(VALU_DEP_1)
	v_subrev_nc_u32_e32 v18, 28, v16
	v_lshlrev_b64_e32 v[18:19], v18, v[2:3]
	s_delay_alu instid0(VALU_DEP_1)
	v_dual_sub_nc_u32 v16, 29, v16 :: v_dual_bitop2_b32 v2, 7, v18 bitop3:0x40
; %bb.446:                              ;   in Loop: Header=BB321_9 Depth=1
	s_or_b32 exec_lo, exec_lo, s30
	s_delay_alu instid0(VALU_DEP_1) | instskip(NEXT) | instid1(VALU_DEP_2)
	v_dual_lshlrev_b32 v18, 24, v17 :: v_dual_lshlrev_b32 v2, 20, v2
	v_lshl_add_u32 v16, v16, 23, 0x3c000000
	s_delay_alu instid0(VALU_DEP_2) | instskip(NEXT) | instid1(VALU_DEP_1)
	v_and_b32_e32 v18, 0x80000000, v18
	v_or3_b32 v16, v2, v18, v16
.LBB321_447:                            ;   in Loop: Header=BB321_9 Depth=1
	s_or_b32 exec_lo, exec_lo, s29
.LBB321_448:                            ;   in Loop: Header=BB321_9 Depth=1
	s_delay_alu instid0(SALU_CYCLE_1)
	s_or_b32 exec_lo, exec_lo, s28
.LBB321_449:                            ;   in Loop: Header=BB321_9 Depth=1
	s_delay_alu instid0(SALU_CYCLE_1) | instskip(SKIP_2) | instid1(VALU_DEP_1)
	s_or_b32 exec_lo, exec_lo, s27
	v_lshrrev_b16 v2, 8, v17
	s_mov_b32 s27, exec_lo
	v_cmpx_ne_u16_e32 0, v2
	s_cbranch_execz .LBB321_457
; %bb.450:                              ;   in Loop: Header=BB321_9 Depth=1
	v_bfrev_b32_e32 v15, 1
	s_mov_b32 s28, exec_lo
	v_cmpx_ne_u16_e32 0x80, v2
	s_cbranch_execz .LBB321_456
; %bb.451:                              ;   in Loop: Header=BB321_9 Depth=1
	v_and_b32_e32 v2, 0xffff, v2
	v_mov_b32_e32 v15, 0x7f800001
	s_mov_b32 s29, exec_lo
	s_delay_alu instid0(VALU_DEP_2) | instskip(NEXT) | instid1(VALU_DEP_1)
	v_and_b32_e32 v18, 0x7f, v2
	v_cmpx_ne_u32_e32 0x7f, v18
	s_cbranch_execz .LBB321_455
; %bb.452:                              ;   in Loop: Header=BB321_9 Depth=1
	v_and_b32_e32 v2, 7, v2
	v_lshrrev_b32_e32 v15, 3, v18
	s_mov_b32 s30, exec_lo
	v_cmpx_gt_u32_e32 8, v18
; %bb.453:                              ;   in Loop: Header=BB321_9 Depth=1
	s_delay_alu instid0(VALU_DEP_3) | instskip(NEXT) | instid1(VALU_DEP_1)
	v_clz_i32_u32_e32 v15, v2
	v_min_u32_e32 v15, 32, v15
	s_delay_alu instid0(VALU_DEP_1) | instskip(NEXT) | instid1(VALU_DEP_1)
	v_subrev_nc_u32_e32 v18, 28, v15
	v_lshlrev_b64_e32 v[18:19], v18, v[2:3]
	s_delay_alu instid0(VALU_DEP_1)
	v_dual_sub_nc_u32 v15, 29, v15 :: v_dual_bitop2_b32 v2, 7, v18 bitop3:0x40
; %bb.454:                              ;   in Loop: Header=BB321_9 Depth=1
	s_or_b32 exec_lo, exec_lo, s30
	s_delay_alu instid0(VALU_DEP_1) | instskip(NEXT) | instid1(VALU_DEP_2)
	v_dual_lshlrev_b32 v17, 16, v17 :: v_dual_lshlrev_b32 v2, 20, v2
	v_lshl_add_u32 v15, v15, 23, 0x3c000000
	s_delay_alu instid0(VALU_DEP_2) | instskip(NEXT) | instid1(VALU_DEP_1)
	v_and_b32_e32 v17, 0x80000000, v17
	v_or3_b32 v15, v2, v17, v15
.LBB321_455:                            ;   in Loop: Header=BB321_9 Depth=1
	s_or_b32 exec_lo, exec_lo, s29
.LBB321_456:                            ;   in Loop: Header=BB321_9 Depth=1
	s_delay_alu instid0(SALU_CYCLE_1)
	s_or_b32 exec_lo, exec_lo, s28
.LBB321_457:                            ;   in Loop: Header=BB321_9 Depth=1
	s_delay_alu instid0(SALU_CYCLE_1)
	s_or_b32 exec_lo, exec_lo, s27
	global_load_u16 v2, v[8:9], off offset:1792
	v_dual_mov_b32 v17, 0 :: v_dual_mov_b32 v18, 0
	s_mov_b32 s27, exec_lo
	s_wait_loadcnt 0x0
	v_and_b32_e32 v19, 0xffff, v2
	v_and_b32_e32 v2, 0xff, v2
	s_wait_xcnt 0x0
	s_delay_alu instid0(VALU_DEP_1)
	v_cmpx_ne_u16_e32 0, v2
	s_cbranch_execz .LBB321_465
; %bb.458:                              ;   in Loop: Header=BB321_9 Depth=1
	v_and_b32_e32 v2, 0xff, v19
	v_bfrev_b32_e32 v18, 1
	s_mov_b32 s28, exec_lo
	s_delay_alu instid0(VALU_DEP_2)
	v_cmpx_ne_u16_e32 0x80, v2
	s_cbranch_execz .LBB321_464
; %bb.459:                              ;   in Loop: Header=BB321_9 Depth=1
	v_and_b32_e32 v20, 0x7f, v19
	v_mov_b32_e32 v18, 0x7f800001
	s_mov_b32 s29, exec_lo
	s_delay_alu instid0(VALU_DEP_2)
	v_cmpx_ne_u32_e32 0x7f, v20
	s_cbranch_execz .LBB321_463
; %bb.460:                              ;   in Loop: Header=BB321_9 Depth=1
	v_dual_lshrrev_b32 v18, 3, v20 :: v_dual_bitop2_b32 v2, 7, v19 bitop3:0x40
	s_mov_b32 s30, exec_lo
	v_cmpx_gt_u32_e32 8, v20
; %bb.461:                              ;   in Loop: Header=BB321_9 Depth=1
	s_delay_alu instid0(VALU_DEP_2) | instskip(NEXT) | instid1(VALU_DEP_1)
	v_clz_i32_u32_e32 v18, v2
	v_min_u32_e32 v18, 32, v18
	s_delay_alu instid0(VALU_DEP_1) | instskip(NEXT) | instid1(VALU_DEP_1)
	v_subrev_nc_u32_e32 v20, 28, v18
	v_lshlrev_b64_e32 v[20:21], v20, v[2:3]
	s_delay_alu instid0(VALU_DEP_1)
	v_dual_sub_nc_u32 v18, 29, v18 :: v_dual_bitop2_b32 v2, 7, v20 bitop3:0x40
; %bb.462:                              ;   in Loop: Header=BB321_9 Depth=1
	s_or_b32 exec_lo, exec_lo, s30
	s_delay_alu instid0(VALU_DEP_1) | instskip(NEXT) | instid1(VALU_DEP_2)
	v_dual_lshlrev_b32 v20, 24, v19 :: v_dual_lshlrev_b32 v2, 20, v2
	v_lshl_add_u32 v18, v18, 23, 0x3c000000
	s_delay_alu instid0(VALU_DEP_2) | instskip(NEXT) | instid1(VALU_DEP_1)
	v_and_b32_e32 v20, 0x80000000, v20
	v_or3_b32 v18, v2, v20, v18
.LBB321_463:                            ;   in Loop: Header=BB321_9 Depth=1
	s_or_b32 exec_lo, exec_lo, s29
.LBB321_464:                            ;   in Loop: Header=BB321_9 Depth=1
	s_delay_alu instid0(SALU_CYCLE_1)
	s_or_b32 exec_lo, exec_lo, s28
.LBB321_465:                            ;   in Loop: Header=BB321_9 Depth=1
	s_delay_alu instid0(SALU_CYCLE_1) | instskip(SKIP_2) | instid1(VALU_DEP_1)
	s_or_b32 exec_lo, exec_lo, s27
	v_lshrrev_b16 v2, 8, v19
	s_mov_b32 s27, exec_lo
	v_cmpx_ne_u16_e32 0, v2
	s_cbranch_execz .LBB321_473
; %bb.466:                              ;   in Loop: Header=BB321_9 Depth=1
	v_bfrev_b32_e32 v17, 1
	s_mov_b32 s28, exec_lo
	v_cmpx_ne_u16_e32 0x80, v2
	s_cbranch_execz .LBB321_472
; %bb.467:                              ;   in Loop: Header=BB321_9 Depth=1
	v_and_b32_e32 v2, 0xffff, v2
	v_mov_b32_e32 v17, 0x7f800001
	s_mov_b32 s29, exec_lo
	s_delay_alu instid0(VALU_DEP_2) | instskip(NEXT) | instid1(VALU_DEP_1)
	v_and_b32_e32 v20, 0x7f, v2
	v_cmpx_ne_u32_e32 0x7f, v20
	s_cbranch_execz .LBB321_471
; %bb.468:                              ;   in Loop: Header=BB321_9 Depth=1
	v_dual_lshrrev_b32 v17, 3, v20 :: v_dual_bitop2_b32 v2, 7, v2 bitop3:0x40
	s_mov_b32 s30, exec_lo
	v_cmpx_gt_u32_e32 8, v20
; %bb.469:                              ;   in Loop: Header=BB321_9 Depth=1
	s_delay_alu instid0(VALU_DEP_2) | instskip(NEXT) | instid1(VALU_DEP_1)
	v_clz_i32_u32_e32 v17, v2
	v_min_u32_e32 v17, 32, v17
	s_delay_alu instid0(VALU_DEP_1) | instskip(NEXT) | instid1(VALU_DEP_1)
	v_subrev_nc_u32_e32 v20, 28, v17
	v_lshlrev_b64_e32 v[20:21], v20, v[2:3]
	s_delay_alu instid0(VALU_DEP_1)
	v_dual_sub_nc_u32 v17, 29, v17 :: v_dual_bitop2_b32 v2, 7, v20 bitop3:0x40
; %bb.470:                              ;   in Loop: Header=BB321_9 Depth=1
	s_or_b32 exec_lo, exec_lo, s30
	s_delay_alu instid0(VALU_DEP_1) | instskip(NEXT) | instid1(VALU_DEP_2)
	v_dual_lshlrev_b32 v19, 16, v19 :: v_dual_lshlrev_b32 v2, 20, v2
	v_lshl_add_u32 v17, v17, 23, 0x3c000000
	s_delay_alu instid0(VALU_DEP_2) | instskip(NEXT) | instid1(VALU_DEP_1)
	v_and_b32_e32 v19, 0x80000000, v19
	v_or3_b32 v17, v2, v19, v17
.LBB321_471:                            ;   in Loop: Header=BB321_9 Depth=1
	s_or_b32 exec_lo, exec_lo, s29
.LBB321_472:                            ;   in Loop: Header=BB321_9 Depth=1
	s_delay_alu instid0(SALU_CYCLE_1)
	s_or_b32 exec_lo, exec_lo, s28
.LBB321_473:                            ;   in Loop: Header=BB321_9 Depth=1
	s_delay_alu instid0(SALU_CYCLE_1)
	s_or_b32 exec_lo, exec_lo, s27
	global_load_u16 v2, v[8:9], off offset:1800
	v_dual_mov_b32 v19, 0 :: v_dual_mov_b32 v20, 0
	s_mov_b32 s27, exec_lo
	s_wait_loadcnt 0x0
	v_and_b32_e32 v21, 0xffff, v2
	v_and_b32_e32 v2, 0xff, v2
	s_wait_xcnt 0x0
	s_delay_alu instid0(VALU_DEP_1)
	v_cmpx_ne_u16_e32 0, v2
	s_cbranch_execz .LBB321_481
; %bb.474:                              ;   in Loop: Header=BB321_9 Depth=1
	v_and_b32_e32 v2, 0xff, v21
	v_bfrev_b32_e32 v20, 1
	s_mov_b32 s28, exec_lo
	s_delay_alu instid0(VALU_DEP_2)
	v_cmpx_ne_u16_e32 0x80, v2
	s_cbranch_execz .LBB321_480
; %bb.475:                              ;   in Loop: Header=BB321_9 Depth=1
	v_and_b32_e32 v23, 0x7f, v21
	v_mov_b32_e32 v20, 0x7f800001
	s_mov_b32 s29, exec_lo
	s_delay_alu instid0(VALU_DEP_2)
	v_cmpx_ne_u32_e32 0x7f, v23
	s_cbranch_execz .LBB321_479
; %bb.476:                              ;   in Loop: Header=BB321_9 Depth=1
	v_dual_lshrrev_b32 v20, 3, v23 :: v_dual_bitop2_b32 v2, 7, v21 bitop3:0x40
	s_mov_b32 s30, exec_lo
	v_cmpx_gt_u32_e32 8, v23
; %bb.477:                              ;   in Loop: Header=BB321_9 Depth=1
	s_delay_alu instid0(VALU_DEP_2) | instskip(NEXT) | instid1(VALU_DEP_1)
	v_clz_i32_u32_e32 v20, v2
	v_min_u32_e32 v20, 32, v20
	s_delay_alu instid0(VALU_DEP_1) | instskip(SKIP_1) | instid1(VALU_DEP_2)
	v_subrev_nc_u32_e32 v23, 28, v20
	v_sub_nc_u32_e32 v20, 29, v20
	v_lshlrev_b64_e32 v[24:25], v23, v[2:3]
	s_delay_alu instid0(VALU_DEP_1)
	v_and_b32_e32 v2, 7, v24
; %bb.478:                              ;   in Loop: Header=BB321_9 Depth=1
	s_or_b32 exec_lo, exec_lo, s30
	s_delay_alu instid0(VALU_DEP_1) | instskip(SKIP_1) | instid1(VALU_DEP_2)
	v_dual_lshlrev_b32 v23, 24, v21 :: v_dual_lshlrev_b32 v2, 20, v2
	v_lshl_add_u32 v20, v20, 23, 0x3c000000
	v_and_b32_e32 v23, 0x80000000, v23
	s_delay_alu instid0(VALU_DEP_1)
	v_or3_b32 v20, v2, v23, v20
.LBB321_479:                            ;   in Loop: Header=BB321_9 Depth=1
	s_or_b32 exec_lo, exec_lo, s29
.LBB321_480:                            ;   in Loop: Header=BB321_9 Depth=1
	s_delay_alu instid0(SALU_CYCLE_1)
	s_or_b32 exec_lo, exec_lo, s28
.LBB321_481:                            ;   in Loop: Header=BB321_9 Depth=1
	s_delay_alu instid0(SALU_CYCLE_1) | instskip(SKIP_2) | instid1(VALU_DEP_1)
	s_or_b32 exec_lo, exec_lo, s27
	v_lshrrev_b16 v2, 8, v21
	s_mov_b32 s27, exec_lo
	v_cmpx_ne_u16_e32 0, v2
	s_cbranch_execz .LBB321_489
; %bb.482:                              ;   in Loop: Header=BB321_9 Depth=1
	v_bfrev_b32_e32 v19, 1
	s_mov_b32 s28, exec_lo
	v_cmpx_ne_u16_e32 0x80, v2
	s_cbranch_execz .LBB321_488
; %bb.483:                              ;   in Loop: Header=BB321_9 Depth=1
	v_and_b32_e32 v2, 0xffff, v2
	v_mov_b32_e32 v19, 0x7f800001
	s_mov_b32 s29, exec_lo
	s_delay_alu instid0(VALU_DEP_2) | instskip(NEXT) | instid1(VALU_DEP_1)
	v_and_b32_e32 v23, 0x7f, v2
	v_cmpx_ne_u32_e32 0x7f, v23
	s_cbranch_execz .LBB321_487
; %bb.484:                              ;   in Loop: Header=BB321_9 Depth=1
	v_dual_lshrrev_b32 v19, 3, v23 :: v_dual_bitop2_b32 v2, 7, v2 bitop3:0x40
	s_mov_b32 s30, exec_lo
	v_cmpx_gt_u32_e32 8, v23
; %bb.485:                              ;   in Loop: Header=BB321_9 Depth=1
	s_delay_alu instid0(VALU_DEP_2) | instskip(NEXT) | instid1(VALU_DEP_1)
	v_clz_i32_u32_e32 v19, v2
	v_min_u32_e32 v19, 32, v19
	s_delay_alu instid0(VALU_DEP_1) | instskip(NEXT) | instid1(VALU_DEP_1)
	v_subrev_nc_u32_e32 v23, 28, v19
	v_lshlrev_b64_e32 v[24:25], v23, v[2:3]
	s_delay_alu instid0(VALU_DEP_1)
	v_dual_sub_nc_u32 v19, 29, v19 :: v_dual_bitop2_b32 v2, 7, v24 bitop3:0x40
; %bb.486:                              ;   in Loop: Header=BB321_9 Depth=1
	s_or_b32 exec_lo, exec_lo, s30
	s_delay_alu instid0(VALU_DEP_1) | instskip(NEXT) | instid1(VALU_DEP_2)
	v_dual_lshlrev_b32 v21, 16, v21 :: v_dual_lshlrev_b32 v2, 20, v2
	v_lshl_add_u32 v19, v19, 23, 0x3c000000
	s_delay_alu instid0(VALU_DEP_2) | instskip(NEXT) | instid1(VALU_DEP_1)
	v_and_b32_e32 v21, 0x80000000, v21
	v_or3_b32 v19, v2, v21, v19
.LBB321_487:                            ;   in Loop: Header=BB321_9 Depth=1
	s_or_b32 exec_lo, exec_lo, s29
.LBB321_488:                            ;   in Loop: Header=BB321_9 Depth=1
	s_delay_alu instid0(SALU_CYCLE_1)
	s_or_b32 exec_lo, exec_lo, s28
.LBB321_489:                            ;   in Loop: Header=BB321_9 Depth=1
	s_delay_alu instid0(SALU_CYCLE_1)
	s_or_b32 exec_lo, exec_lo, s27
	global_load_u16 v2, v[8:9], off offset:1920
	v_dual_mov_b32 v21, 0 :: v_dual_mov_b32 v23, 0
	s_mov_b32 s27, exec_lo
	s_wait_loadcnt 0x0
	v_and_b32_e32 v24, 0xffff, v2
	v_and_b32_e32 v2, 0xff, v2
	s_wait_xcnt 0x0
	s_delay_alu instid0(VALU_DEP_1)
	v_cmpx_ne_u16_e32 0, v2
	s_cbranch_execz .LBB321_497
; %bb.490:                              ;   in Loop: Header=BB321_9 Depth=1
	v_and_b32_e32 v2, 0xff, v24
	v_bfrev_b32_e32 v23, 1
	s_mov_b32 s28, exec_lo
	s_delay_alu instid0(VALU_DEP_2)
	v_cmpx_ne_u16_e32 0x80, v2
	s_cbranch_execz .LBB321_496
; %bb.491:                              ;   in Loop: Header=BB321_9 Depth=1
	v_and_b32_e32 v25, 0x7f, v24
	v_mov_b32_e32 v23, 0x7f800001
	s_mov_b32 s29, exec_lo
	s_delay_alu instid0(VALU_DEP_2)
	v_cmpx_ne_u32_e32 0x7f, v25
	s_cbranch_execz .LBB321_495
; %bb.492:                              ;   in Loop: Header=BB321_9 Depth=1
	v_dual_lshrrev_b32 v23, 3, v25 :: v_dual_bitop2_b32 v2, 7, v24 bitop3:0x40
	s_mov_b32 s30, exec_lo
	v_cmpx_gt_u32_e32 8, v25
; %bb.493:                              ;   in Loop: Header=BB321_9 Depth=1
	s_delay_alu instid0(VALU_DEP_2) | instskip(NEXT) | instid1(VALU_DEP_1)
	v_clz_i32_u32_e32 v23, v2
	v_min_u32_e32 v23, 32, v23
	s_delay_alu instid0(VALU_DEP_1) | instskip(NEXT) | instid1(VALU_DEP_1)
	v_subrev_nc_u32_e32 v25, 28, v23
	v_lshlrev_b64_e32 v[26:27], v25, v[2:3]
	s_delay_alu instid0(VALU_DEP_1)
	v_dual_sub_nc_u32 v23, 29, v23 :: v_dual_bitop2_b32 v2, 7, v26 bitop3:0x40
; %bb.494:                              ;   in Loop: Header=BB321_9 Depth=1
	s_or_b32 exec_lo, exec_lo, s30
	s_delay_alu instid0(VALU_DEP_1) | instskip(NEXT) | instid1(VALU_DEP_2)
	v_dual_lshlrev_b32 v25, 24, v24 :: v_dual_lshlrev_b32 v2, 20, v2
	v_lshl_add_u32 v23, v23, 23, 0x3c000000
	s_delay_alu instid0(VALU_DEP_2) | instskip(NEXT) | instid1(VALU_DEP_1)
	v_and_b32_e32 v25, 0x80000000, v25
	v_or3_b32 v23, v2, v25, v23
.LBB321_495:                            ;   in Loop: Header=BB321_9 Depth=1
	s_or_b32 exec_lo, exec_lo, s29
.LBB321_496:                            ;   in Loop: Header=BB321_9 Depth=1
	s_delay_alu instid0(SALU_CYCLE_1)
	s_or_b32 exec_lo, exec_lo, s28
.LBB321_497:                            ;   in Loop: Header=BB321_9 Depth=1
	s_delay_alu instid0(SALU_CYCLE_1) | instskip(SKIP_2) | instid1(VALU_DEP_1)
	s_or_b32 exec_lo, exec_lo, s27
	v_lshrrev_b16 v2, 8, v24
	s_mov_b32 s27, exec_lo
	v_cmpx_ne_u16_e32 0, v2
	s_cbranch_execz .LBB321_505
; %bb.498:                              ;   in Loop: Header=BB321_9 Depth=1
	v_bfrev_b32_e32 v21, 1
	s_mov_b32 s28, exec_lo
	v_cmpx_ne_u16_e32 0x80, v2
	s_cbranch_execz .LBB321_504
; %bb.499:                              ;   in Loop: Header=BB321_9 Depth=1
	v_and_b32_e32 v2, 0xffff, v2
	v_mov_b32_e32 v21, 0x7f800001
	s_mov_b32 s29, exec_lo
	s_delay_alu instid0(VALU_DEP_2) | instskip(NEXT) | instid1(VALU_DEP_1)
	v_and_b32_e32 v25, 0x7f, v2
	v_cmpx_ne_u32_e32 0x7f, v25
	s_cbranch_execz .LBB321_503
; %bb.500:                              ;   in Loop: Header=BB321_9 Depth=1
	v_dual_lshrrev_b32 v21, 3, v25 :: v_dual_bitop2_b32 v2, 7, v2 bitop3:0x40
	s_mov_b32 s30, exec_lo
	v_cmpx_gt_u32_e32 8, v25
; %bb.501:                              ;   in Loop: Header=BB321_9 Depth=1
	s_delay_alu instid0(VALU_DEP_2) | instskip(NEXT) | instid1(VALU_DEP_1)
	v_clz_i32_u32_e32 v21, v2
	v_min_u32_e32 v21, 32, v21
	s_delay_alu instid0(VALU_DEP_1) | instskip(NEXT) | instid1(VALU_DEP_1)
	v_subrev_nc_u32_e32 v25, 28, v21
	v_lshlrev_b64_e32 v[26:27], v25, v[2:3]
	s_delay_alu instid0(VALU_DEP_1)
	v_dual_sub_nc_u32 v21, 29, v21 :: v_dual_bitop2_b32 v2, 7, v26 bitop3:0x40
; %bb.502:                              ;   in Loop: Header=BB321_9 Depth=1
	s_or_b32 exec_lo, exec_lo, s30
	s_delay_alu instid0(VALU_DEP_1) | instskip(NEXT) | instid1(VALU_DEP_2)
	v_dual_lshlrev_b32 v24, 16, v24 :: v_dual_lshlrev_b32 v2, 20, v2
	v_lshl_add_u32 v21, v21, 23, 0x3c000000
	s_delay_alu instid0(VALU_DEP_2) | instskip(NEXT) | instid1(VALU_DEP_1)
	v_and_b32_e32 v24, 0x80000000, v24
	v_or3_b32 v21, v2, v24, v21
.LBB321_503:                            ;   in Loop: Header=BB321_9 Depth=1
	s_or_b32 exec_lo, exec_lo, s29
.LBB321_504:                            ;   in Loop: Header=BB321_9 Depth=1
	s_delay_alu instid0(SALU_CYCLE_1)
	s_or_b32 exec_lo, exec_lo, s28
.LBB321_505:                            ;   in Loop: Header=BB321_9 Depth=1
	s_delay_alu instid0(SALU_CYCLE_1)
	s_or_b32 exec_lo, exec_lo, s27
	global_load_u16 v2, v[8:9], off offset:1928
	s_wait_xcnt 0x0
	v_dual_mov_b32 v8, 0 :: v_dual_mov_b32 v9, 0
	s_mov_b32 s27, exec_lo
	s_wait_loadcnt 0x0
	v_and_b32_e32 v24, 0xffff, v2
	v_and_b32_e32 v2, 0xff, v2
	s_delay_alu instid0(VALU_DEP_1)
	v_cmpx_ne_u16_e32 0, v2
	s_cbranch_execz .LBB321_513
; %bb.506:                              ;   in Loop: Header=BB321_9 Depth=1
	s_delay_alu instid0(VALU_DEP_3) | instskip(SKIP_2) | instid1(VALU_DEP_2)
	v_and_b32_e32 v2, 0xff, v24
	v_bfrev_b32_e32 v9, 1
	s_mov_b32 s28, exec_lo
	v_cmpx_ne_u16_e32 0x80, v2
	s_cbranch_execz .LBB321_512
; %bb.507:                              ;   in Loop: Header=BB321_9 Depth=1
	v_and_b32_e32 v25, 0x7f, v24
	v_mov_b32_e32 v9, 0x7f800001
	s_mov_b32 s29, exec_lo
	s_delay_alu instid0(VALU_DEP_2)
	v_cmpx_ne_u32_e32 0x7f, v25
	s_cbranch_execz .LBB321_511
; %bb.508:                              ;   in Loop: Header=BB321_9 Depth=1
	v_dual_lshrrev_b32 v9, 3, v25 :: v_dual_bitop2_b32 v2, 7, v24 bitop3:0x40
	s_mov_b32 s30, exec_lo
	v_cmpx_gt_u32_e32 8, v25
; %bb.509:                              ;   in Loop: Header=BB321_9 Depth=1
	s_delay_alu instid0(VALU_DEP_2) | instskip(NEXT) | instid1(VALU_DEP_1)
	v_clz_i32_u32_e32 v9, v2
	v_min_u32_e32 v9, 32, v9
	s_delay_alu instid0(VALU_DEP_1) | instskip(NEXT) | instid1(VALU_DEP_1)
	v_subrev_nc_u32_e32 v25, 28, v9
	v_lshlrev_b64_e32 v[26:27], v25, v[2:3]
	s_delay_alu instid0(VALU_DEP_1)
	v_dual_sub_nc_u32 v9, 29, v9 :: v_dual_bitop2_b32 v2, 7, v26 bitop3:0x40
; %bb.510:                              ;   in Loop: Header=BB321_9 Depth=1
	s_or_b32 exec_lo, exec_lo, s30
	s_delay_alu instid0(VALU_DEP_1) | instskip(NEXT) | instid1(VALU_DEP_2)
	v_dual_lshlrev_b32 v25, 24, v24 :: v_dual_lshlrev_b32 v2, 20, v2
	v_lshl_add_u32 v9, v9, 23, 0x3c000000
	s_delay_alu instid0(VALU_DEP_2) | instskip(NEXT) | instid1(VALU_DEP_1)
	v_and_b32_e32 v25, 0x80000000, v25
	v_or3_b32 v9, v2, v25, v9
.LBB321_511:                            ;   in Loop: Header=BB321_9 Depth=1
	s_or_b32 exec_lo, exec_lo, s29
.LBB321_512:                            ;   in Loop: Header=BB321_9 Depth=1
	s_delay_alu instid0(SALU_CYCLE_1)
	s_or_b32 exec_lo, exec_lo, s28
.LBB321_513:                            ;   in Loop: Header=BB321_9 Depth=1
	s_delay_alu instid0(SALU_CYCLE_1) | instskip(SKIP_2) | instid1(VALU_DEP_1)
	s_or_b32 exec_lo, exec_lo, s27
	v_lshrrev_b16 v2, 8, v24
	s_mov_b32 s27, exec_lo
	v_cmpx_ne_u16_e32 0, v2
	s_cbranch_execz .LBB321_521
; %bb.514:                              ;   in Loop: Header=BB321_9 Depth=1
	v_bfrev_b32_e32 v8, 1
	s_mov_b32 s28, exec_lo
	v_cmpx_ne_u16_e32 0x80, v2
	s_cbranch_execz .LBB321_520
; %bb.515:                              ;   in Loop: Header=BB321_9 Depth=1
	v_and_b32_e32 v2, 0xffff, v2
	v_mov_b32_e32 v8, 0x7f800001
	s_mov_b32 s29, exec_lo
	s_delay_alu instid0(VALU_DEP_2) | instskip(NEXT) | instid1(VALU_DEP_1)
	v_and_b32_e32 v25, 0x7f, v2
	v_cmpx_ne_u32_e32 0x7f, v25
	s_cbranch_execz .LBB321_519
; %bb.516:                              ;   in Loop: Header=BB321_9 Depth=1
	v_dual_lshrrev_b32 v8, 3, v25 :: v_dual_bitop2_b32 v2, 7, v2 bitop3:0x40
	s_mov_b32 s30, exec_lo
	v_cmpx_gt_u32_e32 8, v25
; %bb.517:                              ;   in Loop: Header=BB321_9 Depth=1
	s_delay_alu instid0(VALU_DEP_2) | instskip(NEXT) | instid1(VALU_DEP_1)
	v_clz_i32_u32_e32 v8, v2
	v_min_u32_e32 v8, 32, v8
	s_delay_alu instid0(VALU_DEP_1) | instskip(NEXT) | instid1(VALU_DEP_1)
	v_subrev_nc_u32_e32 v25, 28, v8
	v_lshlrev_b64_e32 v[26:27], v25, v[2:3]
	s_delay_alu instid0(VALU_DEP_1)
	v_dual_sub_nc_u32 v8, 29, v8 :: v_dual_bitop2_b32 v2, 7, v26 bitop3:0x40
; %bb.518:                              ;   in Loop: Header=BB321_9 Depth=1
	s_or_b32 exec_lo, exec_lo, s30
	s_delay_alu instid0(VALU_DEP_1) | instskip(NEXT) | instid1(VALU_DEP_2)
	v_dual_lshlrev_b32 v24, 16, v24 :: v_dual_lshlrev_b32 v2, 20, v2
	v_lshl_add_u32 v8, v8, 23, 0x3c000000
	s_delay_alu instid0(VALU_DEP_2) | instskip(NEXT) | instid1(VALU_DEP_1)
	v_and_b32_e32 v24, 0x80000000, v24
	v_or3_b32 v8, v2, v24, v8
.LBB321_519:                            ;   in Loop: Header=BB321_9 Depth=1
	s_or_b32 exec_lo, exec_lo, s29
.LBB321_520:                            ;   in Loop: Header=BB321_9 Depth=1
	s_delay_alu instid0(SALU_CYCLE_1)
	s_or_b32 exec_lo, exec_lo, s28
.LBB321_521:                            ;   in Loop: Header=BB321_9 Depth=1
	s_delay_alu instid0(SALU_CYCLE_1)
	s_or_b32 exec_lo, exec_lo, s27
	scratch_load_b32 v25, off, off offset:8 ; 4-byte Folded Reload
	s_wait_kmcnt 0x0
	v_fma_mixlo_bf16 v2, s5, v86, 0
	v_fma_mixlo_bf16 v24, s5, v84, 0
	;; [unrolled: 1-line block ×5, first 2 shown]
	v_lshlrev_b32_e32 v2, 16, v2
	v_fma_mixlo_bf16 v10, s5, v10, 0
	v_fma_mixlo_bf16 v0, s5, v0, 0
	;; [unrolled: 1-line block ×6, first 2 shown]
	s_clause 0x1
	scratch_load_b32 v26, off, off offset:12
	scratch_load_b32 v84, off, off offset:32
	s_wait_loadcnt 0x2
	v_mul_f32_e32 v2, v25, v2
	scratch_load_b32 v25, off, off          ; 4-byte Folded Reload
	s_wait_loadcnt 0x0
	v_fma_mix_f32_bf16 v2, v25, v24, v2 op_sel_hi:[0,1,0]
	v_fma_mixlo_bf16 v24, s5, v85, 0
	v_fma_mixlo_bf16 v25, s5, v83, 0
	;; [unrolled: 1-line block ×3, first 2 shown]
	s_delay_alu instid0(VALU_DEP_3) | instskip(NEXT) | instid1(VALU_DEP_1)
	v_lshlrev_b32_e32 v24, 16, v24
	v_mul_f32_e32 v24, v26, v24
	scratch_load_b32 v26, off, off offset:4 ; 4-byte Folded Reload
	s_wait_loadcnt 0x0
	v_fma_mix_f32_bf16 v24, v26, v25, v24 op_sel_hi:[0,1,0]
	scratch_load_b32 v26, off, off offset:16 ; 4-byte Folded Reload
	v_fma_mixlo_bf16 v25, s5, v88, 0
	s_wait_loadcnt 0x0
	s_delay_alu instid0(VALU_DEP_1) | instskip(SKIP_3) | instid1(VALU_DEP_1)
	v_fma_mix_f32_bf16 v2, v26, v25, v2 op_sel_hi:[0,1,0]
	scratch_load_b32 v26, off, off offset:20 ; 4-byte Folded Reload
	v_fma_mixlo_bf16 v25, s5, v87, 0
	s_wait_loadcnt 0x0
	v_fma_mix_f32_bf16 v24, v26, v25, v24 op_sel_hi:[0,1,0]
	scratch_load_b32 v26, off, off offset:24 ; 4-byte Folded Reload
	v_fma_mixlo_bf16 v25, s5, v90, 0
	s_wait_loadcnt 0x0
	s_delay_alu instid0(VALU_DEP_1) | instskip(SKIP_3) | instid1(VALU_DEP_1)
	v_fma_mix_f32_bf16 v2, v26, v25, v2 op_sel_hi:[0,1,0]
	scratch_load_b32 v26, off, off offset:28 ; 4-byte Folded Reload
	v_fma_mixlo_bf16 v25, s5, v89, 0
	s_wait_loadcnt 0x0
	v_fma_mix_f32_bf16 v24, v26, v25, v24 op_sel_hi:[0,1,0]
	v_fma_mixlo_bf16 v25, s5, v92, 0
	v_fma_mixlo_bf16 v26, s5, v91, 0
	s_delay_alu instid0(VALU_DEP_2)
	v_fma_mix_f32_bf16 v2, v84, v25, v2 op_sel_hi:[0,1,0]
	s_clause 0x1
	scratch_load_b32 v25, off, off offset:36
	scratch_load_b32 v84, off, off offset:40
	s_wait_loadcnt 0x1
	v_fma_mix_f32_bf16 v24, v25, v26, v24 op_sel_hi:[0,1,0]
	s_wait_loadcnt 0x0
	v_fma_mix_f32_bf16 v2, v84, v83, v2 op_sel_hi:[0,1,0]
	s_clause 0x1
	scratch_load_b32 v83, off, off offset:44
	scratch_load_b32 v84, off, off offset:48
	v_fma_mixlo_bf16 v26, s5, v96, 0
	v_fma_mixlo_bf16 v25, s5, v95, 0
	s_wait_loadcnt 0x1
	v_fma_mix_f32_bf16 v24, v83, v27, v24 op_sel_hi:[0,1,0]
	s_wait_loadcnt 0x0
	v_fma_mix_f32_bf16 v2, v84, v26, v2 op_sel_hi:[0,1,0]
	s_clause 0x1
	scratch_load_b32 v26, off, off offset:52
	scratch_load_b32 v84, off, off offset:56
	v_fma_mixlo_bf16 v83, s5, v98, 0
	v_fma_mixlo_bf16 v27, s5, v97, 0
	s_wait_loadcnt 0x1
	v_fma_mix_f32_bf16 v24, v26, v25, v24 op_sel_hi:[0,1,0]
	s_wait_loadcnt 0x0
	v_fma_mix_f32_bf16 v2, v84, v83, v2 op_sel_hi:[0,1,0]
	scratch_load_b32 v83, off, off offset:60 ; 4-byte Folded Reload
	v_fma_mixlo_bf16 v25, s5, v99, 0
	v_fma_mixlo_bf16 v26, s5, v100, 0
	s_delay_alu instid0(VALU_DEP_1)
	v_fma_mix_f32_bf16 v2, v28, v26, v2 op_sel_hi:[0,1,0]
	v_fma_mixlo_bf16 v26, s5, v104, 0
	s_wait_loadcnt 0x0
	v_fma_mix_f32_bf16 v24, v83, v27, v24 op_sel_hi:[0,1,0]
	v_fma_mixlo_bf16 v27, s5, v101, 0
	v_fma_mixlo_bf16 v83, s5, v102, 0
	s_delay_alu instid0(VALU_DEP_3) | instskip(SKIP_1) | instid1(VALU_DEP_3)
	v_fma_mix_f32_bf16 v24, v29, v25, v24 op_sel_hi:[0,1,0]
	v_fma_mixlo_bf16 v25, s5, v103, 0
	v_fma_mix_f32_bf16 v2, v30, v83, v2 op_sel_hi:[0,1,0]
	v_fma_mixlo_bf16 v83, s5, v106, 0
	s_delay_alu instid0(VALU_DEP_4) | instskip(SKIP_1) | instid1(VALU_DEP_4)
	v_fma_mix_f32_bf16 v24, v31, v27, v24 op_sel_hi:[0,1,0]
	v_fma_mixlo_bf16 v27, s5, v105, 0
	v_fma_mix_f32_bf16 v2, v32, v26, v2 op_sel_hi:[0,1,0]
	v_fma_mixlo_bf16 v26, s5, v108, 0
	s_delay_alu instid0(VALU_DEP_4) | instskip(SKIP_1) | instid1(VALU_DEP_4)
	;; [unrolled: 5-line block ×12, first 2 shown]
	v_fma_mix_f32_bf16 v24, v54, v25, v24 op_sel_hi:[0,1,0]
	v_fma_mixlo_bf16 v25, s5, v127, 0
	v_fma_mix_f32_bf16 v2, v55, v83, v2 op_sel_hi:[0,1,0]
	s_delay_alu instid0(VALU_DEP_3) | instskip(NEXT) | instid1(VALU_DEP_2)
	v_fma_mix_f32_bf16 v24, v56, v27, v24 op_sel_hi:[0,1,0]
	v_fma_mix_f32_bf16 v2, v57, v22, v2 op_sel_hi:[0,1,0]
	s_delay_alu instid0(VALU_DEP_2) | instskip(NEXT) | instid1(VALU_DEP_2)
	v_fma_mix_f32_bf16 v22, v58, v25, v24 op_sel_hi:[0,1,0]
	v_fma_mix_f32_bf16 v2, v59, v26, v2 op_sel_hi:[0,1,0]
	s_delay_alu instid0(VALU_DEP_2) | instskip(NEXT) | instid1(VALU_DEP_2)
	v_fma_mix_f32_bf16 v1, v60, v1, v22 op_sel_hi:[0,1,0]
	v_fma_mix_f32_bf16 v0, v61, v0, v2 op_sel_hi:[0,1,0]
	v_fma_mixlo_bf16 v2, s5, v13, 0
	s_delay_alu instid0(VALU_DEP_3) | instskip(SKIP_1) | instid1(VALU_DEP_4)
	v_fma_mix_f32_bf16 v1, v62, v10, v1 op_sel_hi:[0,1,0]
	v_fma_mixlo_bf16 v10, s5, v14, 0
	v_fma_mix_f32_bf16 v0, v63, v12, v0 op_sel_hi:[0,1,0]
	v_fma_mixlo_bf16 v12, s5, v16, 0
	s_delay_alu instid0(VALU_DEP_4) | instskip(SKIP_1) | instid1(VALU_DEP_4)
	v_fma_mix_f32_bf16 v1, v64, v11, v1 op_sel_hi:[0,1,0]
	v_fma_mixlo_bf16 v11, s5, v15, 0
	v_fma_mix_f32_bf16 v0, v65, v10, v0 op_sel_hi:[0,1,0]
	v_fma_mixlo_bf16 v10, s5, v18, 0
	s_delay_alu instid0(VALU_DEP_4) | instskip(SKIP_1) | instid1(VALU_DEP_4)
	;; [unrolled: 5-line block ×4, first 2 shown]
	v_fma_mix_f32_bf16 v1, v70, v2, v1 op_sel_hi:[0,1,0]
	v_fma_mixlo_bf16 v2, s5, v21, 0
	v_fma_mix_f32_bf16 v0, v71, v12, v0 op_sel_hi:[0,1,0]
	s_delay_alu instid0(VALU_DEP_3) | instskip(NEXT) | instid1(VALU_DEP_2)
	v_fma_mix_f32_bf16 v1, v72, v11, v1 op_sel_hi:[0,1,0]
	v_fma_mix_f32_bf16 v0, v73, v10, v0 op_sel_hi:[0,1,0]
	s_delay_alu instid0(VALU_DEP_2) | instskip(NEXT) | instid1(VALU_DEP_2)
	v_fma_mix_f32_bf16 v1, v74, v2, v1 op_sel_hi:[0,1,0]
	v_fma_mix_f32_bf16 v0, v75, v9, v0 op_sel_hi:[0,1,0]
	s_delay_alu instid0(VALU_DEP_2) | instskip(NEXT) | instid1(VALU_DEP_1)
	v_fma_mix_f32_bf16 v1, v76, v8, v1 op_sel_hi:[0,1,0]
	v_add_f32_e32 v0, v0, v1
	ds_bpermute_b32 v1, v78, v0
	s_wait_dscnt 0x0
	v_add_f32_e32 v0, v0, v1
	ds_bpermute_b32 v1, v79, v0
	s_wait_xcnt 0x0
	s_and_saveexec_b32 s27, vcc_lo
	s_cbranch_execz .LBB321_8
; %bb.522:                              ;   in Loop: Header=BB321_9 Depth=1
	s_wait_dscnt 0x0
	v_dual_add_nc_u32 v2, s26, v80 :: v_dual_add_f32 v0, v0, v1
	v_cmp_gt_i32_e64 s4, s23, v80
	s_delay_alu instid0(VALU_DEP_2) | instskip(NEXT) | instid1(VALU_DEP_1)
	v_cvt_f32_i32_e32 v2, v2
	v_mul_f32_e32 v2, s18, v2
	s_delay_alu instid0(VALU_DEP_1) | instskip(NEXT) | instid1(VALU_DEP_1)
	v_dual_cndmask_b32 v1, 0, v2, s3 :: v_dual_max_num_f32 v2, v77, v77
	v_fmac_f32_e32 v1, s19, v0
	s_delay_alu instid0(VALU_DEP_1) | instskip(NEXT) | instid1(VALU_DEP_1)
	v_dual_max_num_f32 v0, v2, v1 :: v_dual_cndmask_b32 v1, 0, v1, s4
	v_cndmask_b32_e64 v77, v77, v0, s4
	ds_store_b32 v81, v1
	s_branch .LBB321_8
.LBB321_523:
	s_or_b32 exec_lo, exec_lo, s11
	s_clause 0x3
	scratch_load_b32 v22, off, off offset:64
	scratch_load_b32 v82, off, off offset:68
	;; [unrolled: 1-line block ×4, first 2 shown]
	v_mov_b32_e32 v11, 32
.LBB321_524:
	s_wait_xcnt 0x0
	s_or_b32 exec_lo, exec_lo, s24
	s_wait_loadcnt 0x0
	v_dual_max_num_f32 v4, v77, v77 :: v_dual_bitop2_b32 v0, 16, v24 bitop3:0x14
	v_xor_b32_e32 v2, 8, v24
	s_wait_kmcnt 0x0
	s_clause 0x1
	s_load_b64 s[4:5], s[0:1], 0x0
	s_load_b64 s[18:19], s[0:1], 0x18
	v_and_b32_e32 v30, 31, v22
	v_cmp_lt_i32_e32 vcc_lo, v0, v11
	v_cndmask_b32_e32 v0, v24, v0, vcc_lo
	v_cmp_lt_i32_e32 vcc_lo, v2, v11
	s_delay_alu instid0(VALU_DEP_2) | instskip(SKIP_4) | instid1(VALU_DEP_1)
	v_dual_cndmask_b32 v2, v24, v2, vcc_lo :: v_dual_lshlrev_b32 v0, 2, v0
	s_wait_dscnt 0x0
	ds_bpermute_b32 v1, v0, v77
	s_wait_dscnt 0x0
	v_dual_max_num_f32 v5, v1, v1 :: v_dual_lshlrev_b32 v1, 2, v2
	v_dual_max_num_f32 v2, v4, v5 :: v_dual_bitop2_b32 v5, 4, v24 bitop3:0x14
	ds_bpermute_b32 v4, v1, v2
	s_wait_dscnt 0x0
	v_max_num_f32_e32 v4, v4, v4
	s_delay_alu instid0(VALU_DEP_1) | instskip(SKIP_3) | instid1(VALU_DEP_2)
	v_dual_max_num_f32 v4, v2, v4 :: v_dual_lshlrev_b32 v2, 2, v82
	v_cmp_lt_i32_e32 vcc_lo, v5, v11
	v_cndmask_b32_e32 v5, v24, v5, vcc_lo
	v_cmp_eq_u32_e32 vcc_lo, 0, v30
	v_lshlrev_b32_e32 v5, 2, v5
	ds_bpermute_b32 v6, v5, v4
	s_wait_xcnt 0x0
	s_and_saveexec_b32 s0, vcc_lo
	s_cbranch_execz .LBB321_526
; %bb.525:
	s_wait_dscnt 0x0
	v_dual_max_num_f32 v6, v6, v6 :: v_dual_max_num_f32 v4, v4, v4
	s_delay_alu instid0(VALU_DEP_1)
	v_max_num_f32_e32 v4, v4, v6
	ds_store_b32 v2, v4 offset:512
.LBB321_526:
	s_or_b32 exec_lo, exec_lo, s0
	v_cmp_gt_u32_e64 s0, 4, v30
	v_dual_mov_b32 v7, 0xff7fffff :: v_dual_lshlrev_b32 v4, 2, v30
	s_wait_storecnt_dscnt 0x0
	s_barrier_signal -1
	s_barrier_wait -1
	s_and_saveexec_b32 s1, s0
; %bb.527:
	ds_load_b32 v7, v4 offset:512
; %bb.528:
	s_or_b32 exec_lo, exec_lo, s1
	s_wait_dscnt 0x0
	v_dual_max_num_f32 v10, v7, v7 :: v_dual_bitop2_b32 v6, 2, v24 bitop3:0x14
	v_dual_lshlrev_b32 v3, 2, v3 :: v_dual_bitop2_b32 v9, 1, v24 bitop3:0x14
	s_delay_alu instid0(VALU_DEP_2) | instskip(NEXT) | instid1(VALU_DEP_1)
	v_cmp_lt_i32_e64 s1, v6, v11
	v_cndmask_b32_e64 v6, v24, v6, s1
	s_delay_alu instid0(VALU_DEP_3) | instskip(NEXT) | instid1(VALU_DEP_2)
	v_cmp_lt_i32_e64 s1, v9, v11
	v_lshlrev_b32_e32 v6, 2, v6
	ds_bpermute_b32 v8, v6, v7
	v_cndmask_b32_e64 v7, v24, v9, s1
	s_lshl_b32 s1, s13, 3
	s_delay_alu instid0(SALU_CYCLE_1) | instskip(NEXT) | instid1(VALU_DEP_1)
	s_min_i32 s11, s1, s23
	v_lshlrev_b32_e32 v7, 2, v7
	v_cmp_gt_i32_e64 s1, s11, v22
	s_wait_dscnt 0x0
	v_max_num_f32_e32 v8, v8, v8
	s_delay_alu instid0(VALU_DEP_1) | instskip(SKIP_3) | instid1(VALU_DEP_1)
	v_max_num_f32_e32 v8, v10, v8
	ds_bpermute_b32 v9, v7, v8
	s_wait_dscnt 0x0
	v_max_num_f32_e32 v9, v9, v9
	v_max_num_f32_e32 v8, v8, v9
	ds_bpermute_b32 v8, v3, v8
	v_mov_b32_e32 v3, 0
	s_and_saveexec_b32 s24, s1
	s_cbranch_execz .LBB321_532
; %bb.529:
	v_lshl_add_u32 v9, v22, 2, 0x220
	v_dual_mov_b32 v3, 0 :: v_dual_mov_b32 v10, v22
	s_mov_b32 s25, 0
.LBB321_530:                            ; =>This Inner Loop Header: Depth=1
	ds_load_b32 v11, v9
	v_add_nc_u32_e32 v10, 0x80, v10
	s_delay_alu instid0(VALU_DEP_1) | instskip(SKIP_3) | instid1(VALU_DEP_1)
	v_cmp_le_i32_e64 s3, s11, v10
	s_or_b32 s25, s3, s25
	s_wait_dscnt 0x0
	v_sub_f32_e32 v11, v11, v8
	v_mul_f32_e32 v11, 0x3fb8aa3b, v11
	s_delay_alu instid0(VALU_DEP_1)
	v_exp_f32_e32 v11, v11
	ds_store_b32 v9, v11
	v_nop
	v_add_f32_e32 v3, v3, v11
	v_add_nc_u32_e32 v9, 0x200, v9
	s_and_not1_b32 exec_lo, exec_lo, s25
	s_cbranch_execnz .LBB321_530
; %bb.531:
	s_or_b32 exec_lo, exec_lo, s25
.LBB321_532:
	s_delay_alu instid0(SALU_CYCLE_1)
	s_or_b32 exec_lo, exec_lo, s24
	ds_bpermute_b32 v0, v0, v3
	s_wait_dscnt 0x0
	v_add_f32_e32 v0, v3, v0
	ds_bpermute_b32 v1, v1, v0
	s_wait_dscnt 0x0
	v_add_f32_e32 v0, v0, v1
	;; [unrolled: 3-line block ×5, first 2 shown]
	s_and_saveexec_b32 s3, vcc_lo
; %bb.533:
	ds_store_b32 v2, v0 offset:528
; %bb.534:
	s_or_b32 exec_lo, exec_lo, s3
	s_wait_dscnt 0x0
	s_barrier_signal -1
	s_barrier_wait -1
	s_and_saveexec_b32 s3, s0
; %bb.535:
	ds_load_b32 v0, v4 offset:528
; %bb.536:
	s_or_b32 exec_lo, exec_lo, s3
	s_wait_dscnt 0x0
	ds_bpermute_b32 v1, v6, v0
	s_wait_dscnt 0x0
	v_dual_lshlrev_b32 v2, 2, v24 :: v_dual_add_f32 v0, v0, v1
	ds_bpermute_b32 v1, v7, v0
	s_wait_dscnt 0x0
	v_add_f32_e32 v0, v0, v1
	v_and_b32_e32 v1, 0xffffff80, v2
	ds_bpermute_b32 v0, v1, v0
	s_and_saveexec_b32 s0, s1
	s_cbranch_execz .LBB321_549
; %bb.537:
	s_wait_dscnt 0x0
	v_add_f32_e32 v0, 0x358637bd, v0
	s_mov_b32 s3, -1
	s_mov_b32 s1, exec_lo
	s_delay_alu instid0(VALU_DEP_1) | instskip(SKIP_1) | instid1(VALU_DEP_2)
	v_div_scale_f32 v1, null, v0, v0, 1.0
	v_div_scale_f32 v4, vcc_lo, 1.0, v0, 1.0
	v_rcp_f32_e32 v2, v1
	v_nop
	s_delay_alu instid0(TRANS32_DEP_1) | instskip(NEXT) | instid1(VALU_DEP_1)
	v_fma_f32 v3, -v1, v2, 1.0
	v_fmac_f32_e32 v2, v3, v2
	s_delay_alu instid0(VALU_DEP_1) | instskip(NEXT) | instid1(VALU_DEP_1)
	v_mul_f32_e32 v3, v4, v2
	v_fma_f32 v5, -v1, v3, v4
	s_delay_alu instid0(VALU_DEP_1) | instskip(NEXT) | instid1(VALU_DEP_1)
	v_fmac_f32_e32 v3, v5, v2
	v_fma_f32 v4, -v1, v3, v4
	v_xad_u32 v1, v22, -1, s11
	s_delay_alu instid0(VALU_DEP_2) | instskip(NEXT) | instid1(VALU_DEP_1)
	v_div_fmas_f32 v2, v4, v2, v3
	v_div_fixup_f32 v2, v2, v0, 1.0
	v_mov_b32_e32 v0, v22
	s_delay_alu instid0(VALU_DEP_4)
	v_cmpx_lt_u32_e32 0x7f, v1
	s_cbranch_execz .LBB321_546
; %bb.538:
	s_delay_alu instid0(VALU_DEP_3) | instskip(NEXT) | instid1(VALU_DEP_1)
	v_dual_mov_b32 v3, v2 :: v_dual_lshrrev_b32 v0, 7, v1
	v_dual_mov_b32 v6, 0 :: v_dual_add_nc_u32 v1, -1, v0
	s_delay_alu instid0(VALU_DEP_1) | instskip(SKIP_1) | instid1(VALU_DEP_2)
	v_lshrrev_b32_e32 v4, 1, v1
	v_cmp_lt_u32_e32 vcc_lo, 13, v1
	v_add_nc_u32_e32 v1, 1, v4
	s_and_saveexec_b32 s3, vcc_lo
	s_cbranch_execz .LBB321_542
; %bb.539:
	s_delay_alu instid0(VALU_DEP_1)
	v_and_b32_e32 v4, -8, v1
	v_lshl_add_u32 v5, v22, 2, 0x220
	s_mov_b32 s24, 0
	s_mov_b32 s25, 0
.LBB321_540:                            ; =>This Inner Loop Header: Depth=1
	ds_load_2addr_stride64_b32 v[6:7], v5 offset1:2
	ds_load_2addr_stride64_b32 v[8:9], v5 offset0:4 offset1:6
	ds_load_2addr_stride64_b32 v[10:11], v5 offset0:8 offset1:10
	ds_load_2addr_stride64_b32 v[12:13], v5 offset0:12 offset1:14
	ds_load_2addr_stride64_b32 v[14:15], v5 offset0:16 offset1:18
	ds_load_2addr_stride64_b32 v[16:17], v5 offset0:20 offset1:22
	ds_load_2addr_stride64_b32 v[18:19], v5 offset0:24 offset1:26
	ds_load_2addr_stride64_b32 v[20:21], v5 offset0:28 offset1:30
	s_add_co_i32 s25, s25, 16
	v_add_nc_u32_e32 v4, -8, v4
	s_wait_dscnt 0x7
	v_pk_mul_f32 v[6:7], v[2:3], v[6:7]
	s_wait_dscnt 0x6
	v_pk_mul_f32 v[8:9], v[2:3], v[8:9]
	;; [unrolled: 2-line block ×8, first 2 shown]
	ds_store_2addr_stride64_b32 v5, v6, v7 offset1:2
	ds_store_2addr_stride64_b32 v5, v8, v9 offset0:4 offset1:6
	ds_store_2addr_stride64_b32 v5, v10, v11 offset0:8 offset1:10
	;; [unrolled: 1-line block ×7, first 2 shown]
	v_mov_b32_e32 v6, s25
	v_cmp_eq_u32_e32 vcc_lo, 0, v4
	v_add_nc_u32_e32 v5, 0x2000, v5
	s_or_b32 s24, vcc_lo, s24
	s_delay_alu instid0(SALU_CYCLE_1)
	s_and_not1_b32 exec_lo, exec_lo, s24
	s_cbranch_execnz .LBB321_540
; %bb.541:
	s_or_b32 exec_lo, exec_lo, s24
.LBB321_542:
	s_delay_alu instid0(SALU_CYCLE_1) | instskip(NEXT) | instid1(VALU_DEP_1)
	s_or_b32 exec_lo, exec_lo, s3
	v_and_b32_e32 v1, 7, v1
	s_mov_b32 s24, 0
	s_mov_b32 s3, exec_lo
	s_delay_alu instid0(VALU_DEP_1)
	v_cmpx_ne_u32_e32 0, v1
	s_cbranch_execz .LBB321_545
; %bb.543:
	v_lshlrev_b32_e32 v4, 9, v6
	v_lshlrev_b32_e32 v5, 2, v22
	s_delay_alu instid0(VALU_DEP_1)
	v_add3_u32 v4, v4, v5, 0x220
.LBB321_544:                            ; =>This Inner Loop Header: Depth=1
	ds_load_2addr_stride64_b32 v[6:7], v4 offset1:2
	v_add_nc_u32_e32 v1, -1, v1
	s_delay_alu instid0(VALU_DEP_1)
	v_cmp_eq_u32_e32 vcc_lo, 0, v1
	s_or_b32 s24, vcc_lo, s24
	s_wait_dscnt 0x0
	v_pk_mul_f32 v[6:7], v[2:3], v[6:7]
	ds_store_2addr_stride64_b32 v4, v6, v7 offset1:2
	v_add_nc_u32_e32 v4, 0x400, v4
	s_and_not1_b32 exec_lo, exec_lo, s24
	s_cbranch_execnz .LBB321_544
.LBB321_545:
	s_or_b32 exec_lo, exec_lo, s3
	v_add_nc_u32_e32 v0, 1, v0
	s_delay_alu instid0(VALU_DEP_1) | instskip(NEXT) | instid1(VALU_DEP_1)
	v_and_b32_e32 v1, 0x3fffffe, v0
	v_cmp_ne_u32_e32 vcc_lo, v0, v1
	v_lshl_add_u32 v0, v1, 7, v22
	s_or_not1_b32 s3, vcc_lo, exec_lo
.LBB321_546:
	s_or_b32 exec_lo, exec_lo, s1
	s_delay_alu instid0(SALU_CYCLE_1)
	s_and_b32 exec_lo, exec_lo, s3
	s_cbranch_execz .LBB321_549
; %bb.547:
	v_lshl_add_u32 v1, v0, 2, 0x220
	s_mov_b32 s1, 0
.LBB321_548:                            ; =>This Inner Loop Header: Depth=1
	ds_load_b32 v3, v1
	s_wait_dscnt 0x0
	v_dual_mul_f32 v3, v2, v3 :: v_dual_add_nc_u32 v0, 0x80, v0
	s_delay_alu instid0(VALU_DEP_1) | instskip(SKIP_3) | instid1(SALU_CYCLE_1)
	v_cmp_le_i32_e32 vcc_lo, s11, v0
	ds_store_b32 v1, v3
	v_add_nc_u32_e32 v1, 0x200, v1
	s_or_b32 s1, vcc_lo, s1
	s_and_not1_b32 exec_lo, exec_lo, s1
	s_cbranch_execnz .LBB321_548
.LBB321_549:
	s_or_b32 exec_lo, exec_lo, s0
	v_mov_b64_e32 v[10:11], 0
	v_mov_b64_e32 v[12:13], 0
	;; [unrolled: 1-line block ×4, first 2 shown]
	s_wait_dscnt 0x0
	s_barrier_signal -1
	s_barrier_wait -1
	s_and_saveexec_b32 s1, s2
	s_cbranch_execz .LBB321_1049
; %bb.550:
	s_load_b32 s6, s[6:7], 0x0
	v_dual_mov_b32 v102, v22 :: v_dual_lshlrev_b32 v18, 3, v30
	v_dual_mov_b32 v19, 0 :: v_dual_mov_b32 v11, 0
	s_ashr_i32 s11, s10, 31
	v_lshl_or_b32 v31, v82, 3, 7
	s_wait_kmcnt 0x0
	s_add_nc_u64 s[2:3], s[18:19], s[10:11]
	v_lshl_add_u32 v32, v82, 5, 0x220
	v_add_nc_u64_e32 v[20:21], s[2:3], v[18:19]
	v_and_b32_e32 v18, 0x7c, v23
	s_lshl_b64 s[2:3], s[14:15], 2
	v_dual_mov_b32 v10, 0 :: v_dual_mov_b32 v13, 0
	s_add_nc_u64 s[2:3], s[16:17], s[2:3]
	v_dual_mov_b32 v12, 0 :: v_dual_mov_b32 v15, 0
	v_add_nc_u64_e32 v[22:23], s[2:3], v[18:19]
	v_dual_mov_b32 v14, 0 :: v_dual_mov_b32 v17, 0
	v_dual_mov_b32 v16, 0 :: v_dual_mov_b32 v103, v82
	v_mov_b32_e32 v33, v82
	s_mov_b64 s[2:3], 0xffffffffffffff
	s_mov_b32 s7, s9
	s_add_co_i32 s10, s13, -1
	s_mov_b32 s9, 0
	s_branch .LBB321_552
.LBB321_551:                            ;   in Loop: Header=BB321_552 Depth=1
	s_or_b32 exec_lo, exec_lo, s0
	s_wait_dscnt 0x1
	v_cvt_pk_bf16_f32 v6, v6, v7
	v_perm_b32 v42, v91, v92, 0x5040100
	v_cvt_pk_bf16_f32 v7, v8, v9
	v_perm_b32 v8, v89, v90, 0x5040100
	s_wait_dscnt 0x0
	v_cvt_pk_bf16_f32 v2, v2, v3
	v_perm_b32 v3, v87, v88, 0x5040100
	v_pk_mul_bf16 v9, v6, v42
	v_cvt_pk_bf16_f32 v4, v4, v5
	v_pk_mul_bf16 v8, v7, v8
	v_perm_b32 v5, v29, v28, 0x5040100
	v_pk_mul_bf16 v3, v2, v3
	v_lshlrev_b32_e32 v42, 16, v9
	v_and_b32_e32 v9, 0xffff0000, v9
	v_lshlrev_b32_e32 v43, 16, v8
	v_and_b32_e32 v8, 0xffff0000, v8
	v_perm_b32 v29, v85, v86, 0x5040100
	v_pk_mul_bf16 v5, v4, v5
	v_add_f32_e32 v9, v42, v9
	v_perm_b32 v42, v83, v84, 0x5040100
	v_dual_add_f32 v8, v43, v8 :: v_dual_lshlrev_b32 v28, 16, v3
	v_and_b32_e32 v3, 0xffff0000, v3
	v_perm_b32 v0, v1, v0, 0x5040100
	v_add_nc_u64_e32 v[22:23], 16, v[22:23]
	s_delay_alu instid0(VALU_DEP_4) | instskip(SKIP_4) | instid1(VALU_DEP_4)
	v_add_f32_e32 v8, v8, v9
	v_pk_mul_bf16 v9, v6, v29
	v_dual_add_f32 v3, v28, v3 :: v_dual_lshlrev_b32 v29, 16, v5
	v_pk_mul_bf16 v28, v7, v42
	v_perm_b32 v42, v81, v82, 0x5040100
	v_lshlrev_b32_e32 v43, 16, v9
	v_and_b32_e32 v9, 0xffff0000, v9
	v_and_b32_e32 v5, 0xffff0000, v5
	v_lshlrev_b32_e32 v44, 16, v28
	v_and_b32_e32 v28, 0xffff0000, v28
	v_pk_mul_bf16 v42, v2, v42
	v_add_f32_e32 v1, v43, v9
	v_pk_mul_bf16 v0, v4, v0
	v_add_f32_e32 v3, v3, v8
	s_delay_alu instid0(VALU_DEP_4) | instskip(SKIP_2) | instid1(VALU_DEP_3)
	v_dual_add_f32 v9, v44, v28 :: v_dual_lshlrev_b32 v28, 16, v42
	v_and_b32_e32 v42, 0xffff0000, v42
	v_dual_add_f32 v5, v29, v5 :: v_dual_add_nc_u32 v32, 0x80, v32
	v_dual_add_f32 v1, v9, v1 :: v_dual_lshlrev_b32 v9, 16, v0
	s_delay_alu instid0(VALU_DEP_3) | instskip(SKIP_1) | instid1(VALU_DEP_4)
	v_add_f32_e32 v8, v28, v42
	v_and_b32_e32 v0, 0xffff0000, v0
	v_add_f32_e32 v3, v5, v3
	v_perm_b32 v5, v79, v80, 0x5040100
	v_perm_b32 v28, v69, v70, 0x5040100
	v_add_f32_e32 v1, v8, v1
	v_perm_b32 v8, v77, v78, 0x5040100
	v_dual_add_f32 v0, v9, v0 :: v_dual_add_f32 v10, v10, v3
	v_pk_mul_bf16 v5, v6, v5
	v_add_nc_u32_e32 v31, 32, v31
	s_delay_alu instid0(VALU_DEP_4) | instskip(NEXT) | instid1(VALU_DEP_4)
	v_pk_mul_bf16 v3, v7, v8
	v_add_f32_e32 v0, v0, v1
	v_perm_b32 v1, v75, v76, 0x5040100
	s_delay_alu instid0(VALU_DEP_3) | instskip(NEXT) | instid1(VALU_DEP_3)
	v_dual_lshlrev_b32 v9, 16, v3 :: v_dual_lshlrev_b32 v8, 16, v5
	v_add_f32_e32 v13, v13, v0
	v_and_b32_e32 v5, 0xffff0000, v5
	v_and_b32_e32 v3, 0xffff0000, v3
	v_pk_mul_bf16 v1, v2, v1
	v_perm_b32 v0, v74, v73, 0x5040100
	s_delay_alu instid0(VALU_DEP_3) | instskip(SKIP_1) | instid1(VALU_DEP_3)
	v_dual_add_f32 v5, v8, v5 :: v_dual_add_f32 v3, v9, v3
	v_perm_b32 v9, v71, v72, 0x5040100
	v_pk_mul_bf16 v0, v4, v0
	s_delay_alu instid0(VALU_DEP_3)
	v_add_f32_e32 v3, v3, v5
	v_lshlrev_b32_e32 v8, 16, v1
	v_and_b32_e32 v1, 0xffff0000, v1
	v_pk_mul_bf16 v5, v6, v9
	v_pk_mul_bf16 v9, v7, v28
	v_perm_b32 v28, v67, v68, 0x5040100
	s_delay_alu instid0(VALU_DEP_4) | instskip(SKIP_1) | instid1(VALU_DEP_3)
	v_dual_add_f32 v1, v8, v1 :: v_dual_lshlrev_b32 v8, 16, v0
	v_and_b32_e32 v0, 0xffff0000, v0
	v_pk_mul_bf16 v28, v2, v28
	v_lshlrev_b32_e32 v29, 16, v5
	v_and_b32_e32 v5, 0xffff0000, v5
	s_delay_alu instid0(VALU_DEP_4) | instskip(NEXT) | instid1(VALU_DEP_1)
	v_dual_add_f32 v0, v8, v0 :: v_dual_add_f32 v1, v1, v3
	v_dual_lshlrev_b32 v8, 16, v28 :: v_dual_add_f32 v0, v0, v1
	s_delay_alu instid0(VALU_DEP_3) | instskip(SKIP_1) | instid1(VALU_DEP_3)
	v_add_f32_e32 v3, v29, v5
	v_perm_b32 v1, v66, v65, 0x5040100
	v_dual_add_f32 v12, v12, v0 :: v_dual_lshlrev_b32 v42, 16, v9
	v_and_b32_e32 v9, 0xffff0000, v9
	s_delay_alu instid0(VALU_DEP_3) | instskip(NEXT) | instid1(VALU_DEP_2)
	v_pk_mul_bf16 v1, v4, v1
	v_add_f32_e32 v5, v42, v9
	v_and_b32_e32 v9, 0xffff0000, v28
	v_perm_b32 v42, v58, v57, 0x5040100
	s_delay_alu instid0(VALU_DEP_2) | instskip(SKIP_2) | instid1(VALU_DEP_2)
	v_dual_add_f32 v8, v8, v9 :: v_dual_add_f32 v3, v5, v3
	v_perm_b32 v5, v63, v64, 0x5040100
	v_perm_b32 v9, v61, v62, 0x5040100
	v_pk_mul_bf16 v0, v6, v5
	s_delay_alu instid0(VALU_DEP_2) | instskip(SKIP_2) | instid1(VALU_DEP_4)
	v_pk_mul_bf16 v5, v7, v9
	v_dual_add_f32 v3, v8, v3 :: v_dual_lshlrev_b32 v8, 16, v1
	v_perm_b32 v9, v59, v60, 0x5040100
	v_lshlrev_b32_e32 v28, 16, v0
	v_and_b32_e32 v0, 0xffff0000, v0
	v_lshlrev_b32_e32 v29, 16, v5
	v_and_b32_e32 v5, 0xffff0000, v5
	v_and_b32_e32 v1, 0xffff0000, v1
	v_pk_mul_bf16 v9, v2, v9
	v_add_f32_e32 v0, v28, v0
	s_delay_alu instid0(VALU_DEP_3) | instskip(SKIP_1) | instid1(VALU_DEP_1)
	v_add_f32_e32 v1, v8, v1
	v_pk_mul_bf16 v8, v4, v42
	v_dual_add_f32 v5, v29, v5 :: v_dual_lshlrev_b32 v29, 16, v8
	s_delay_alu instid0(VALU_DEP_1) | instskip(SKIP_3) | instid1(VALU_DEP_3)
	v_dual_lshlrev_b32 v28, 16, v9 :: v_dual_add_f32 v0, v5, v0
	v_and_b32_e32 v9, 0xffff0000, v9
	v_perm_b32 v5, v55, v56, 0x5040100
	v_and_b32_e32 v8, 0xffff0000, v8
	v_add_f32_e32 v9, v28, v9
	v_perm_b32 v28, v53, v54, 0x5040100
	s_delay_alu instid0(VALU_DEP_4) | instskip(NEXT) | instid1(VALU_DEP_4)
	v_pk_mul_bf16 v5, v6, v5
	v_add_f32_e32 v8, v29, v8
	v_perm_b32 v29, v52, v51, 0x5040100
	v_add_f32_e32 v9, v9, v0
	v_add_f32_e32 v42, v1, v3
	v_pk_mul_bf16 v1, v7, v28
	v_lshlrev_b32_e32 v0, 16, v5
	v_and_b32_e32 v3, 0xffff0000, v5
	v_perm_b32 v28, v49, v50, 0x5040100
	v_pk_mul_bf16 v29, v4, v29
	v_lshlrev_b32_e32 v5, 16, v1
	v_and_b32_e32 v1, 0xffff0000, v1
	v_add_f32_e32 v0, v0, v3
	v_perm_b32 v3, v40, v41, 0x5040100
	v_pk_mul_bf16 v28, v2, v28
	v_add_f32_e32 v15, v15, v42
	s_delay_alu instid0(VALU_DEP_3) | instskip(SKIP_2) | instid1(VALU_DEP_2)
	v_pk_mul_bf16 v3, v6, v3
	v_add_f32_e32 v1, v5, v1
	v_perm_b32 v5, v38, v39, 0x5040100
	v_add_f32_e32 v38, v1, v0
	s_delay_alu instid0(VALU_DEP_2)
	v_pk_mul_bf16 v0, v7, v5
	v_lshlrev_b32_e32 v1, 16, v28
	v_and_b32_e32 v5, 0xffff0000, v28
	v_lshlrev_b32_e32 v28, 16, v3
	v_and_b32_e32 v3, 0xffff0000, v3
	;; [unrolled: 2-line block ×3, first 2 shown]
	s_delay_alu instid0(VALU_DEP_3) | instskip(NEXT) | instid1(VALU_DEP_2)
	v_dual_add_f32 v3, v28, v3 :: v_dual_add_f32 v40, v1, v5
	v_add_f32_e32 v0, v39, v0
	v_perm_b32 v1, v34, v35, 0x5040100
	v_perm_b32 v5, v37, v36, 0x5040100
	v_lshlrev_b32_e32 v28, 16, v29
	v_and_b32_e32 v29, 0xffff0000, v29
	v_add_f32_e32 v35, v0, v3
	v_perm_b32 v0, v94, v93, 0x5040100
	v_perm_b32 v3, v26, v95, 0x5040100
	v_pk_mul_bf16 v1, v2, v1
	v_pk_mul_bf16 v34, v4, v5
	v_perm_b32 v5, v18, v24, 0x5040100
	v_perm_b32 v18, v27, v25, 0x5040100
	v_pk_mul_bf16 v0, v6, v0
	v_pk_mul_bf16 v6, v7, v3
	v_lshlrev_b32_e32 v36, 16, v1
	v_and_b32_e32 v24, 0xffff0000, v1
	v_pk_mul_bf16 v7, v2, v5
	v_pk_mul_bf16 v18, v4, v18
	v_and_b32_e32 v1, 0xffff0000, v0
	v_lshlrev_b32_e32 v3, 16, v0
	v_and_b32_e32 v0, 0xffff0000, v6
	v_lshlrev_b32_e32 v2, 16, v6
	;; [unrolled: 2-line block ×3, first 2 shown]
	v_and_b32_e32 v4, 0xffff0000, v18
	v_dual_lshlrev_b32 v6, 16, v18 :: v_dual_add_f32 v18, v36, v24
	v_pk_add_f32 v[0:1], v[2:3], v[0:1]
	v_lshlrev_b32_e32 v24, 16, v34
	v_and_b32_e32 v25, 0xffff0000, v34
	s_delay_alu instid0(VALU_DEP_4) | instskip(NEXT) | instid1(VALU_DEP_4)
	v_pk_add_f32 v[2:3], v[6:7], v[4:5]
	v_dual_add_f32 v5, v18, v35 :: v_dual_add_f32 v0, v0, v1
	v_add_f32_e32 v4, v28, v29
	v_add_f32_e32 v1, v40, v38
	s_delay_alu instid0(VALU_DEP_3) | instskip(NEXT) | instid1(VALU_DEP_1)
	v_dual_add_f32 v6, v24, v25 :: v_dual_add_f32 v0, v3, v0
	v_dual_add_f32 v3, v8, v9 :: v_dual_add_f32 v0, v2, v0
	s_delay_alu instid0(VALU_DEP_1) | instskip(NEXT) | instid1(VALU_DEP_2)
	v_dual_add_f32 v1, v4, v1 :: v_dual_add_f32 v14, v14, v3
	v_dual_add_f32 v4, v6, v5 :: v_dual_add_f32 v11, v11, v0
	v_add_nc_u32_e32 v33, 4, v33
	s_delay_alu instid0(VALU_DEP_2) | instskip(NEXT) | instid1(VALU_DEP_2)
	v_dual_add_f32 v17, v17, v1 :: v_dual_add_f32 v16, v16, v4
	v_cmp_le_i32_e32 vcc_lo, s13, v33
	s_or_b32 s9, vcc_lo, s9
	s_delay_alu instid0(SALU_CYCLE_1)
	s_and_not1_b32 exec_lo, exec_lo, s9
	s_cbranch_execz .LBB321_1048
.LBB321_552:                            ; =>This Inner Loop Header: Depth=1
	global_load_b32 v0, v[22:23], off
	s_mov_b32 s0, exec_lo
	s_wait_loadcnt 0x0
	v_mad_nc_i64_i32 v[24:25], v0, s7, v[20:21]
	v_mov_b32_e32 v0, 0
	global_load_b64 v[26:27], v[24:25], off
	ds_load_2addr_b64 v[6:9], v32 offset1:1
	ds_load_2addr_b64 v[2:5], v32 offset0:2 offset1:3
	s_wait_loadcnt 0x0
	v_and_b32_e32 v1, 0xff, v26
	s_delay_alu instid0(VALU_DEP_1)
	v_cmpx_ne_u16_e32 0, v1
	s_cbranch_execz .LBB321_558
; %bb.553:                              ;   in Loop: Header=BB321_552 Depth=1
	v_bfrev_b32_e32 v0, 1
	s_mov_b32 s11, exec_lo
	v_cmpx_ne_u16_e32 0x80, v1
	s_cbranch_execz .LBB321_557
; %bb.554:                              ;   in Loop: Header=BB321_552 Depth=1
	v_and_b32_e32 v1, 0x7f, v26
	v_mov_b32_e32 v0, 0x7f800001
	s_mov_b32 s14, exec_lo
	s_delay_alu instid0(VALU_DEP_2)
	v_cmpx_ne_u32_e32 0x7f, v1
	s_cbranch_execz .LBB321_556
; %bb.555:                              ;   in Loop: Header=BB321_552 Depth=1
	v_dual_lshrrev_b32 v18, 3, v1 :: v_dual_bitop2_b32 v0, 7, v26 bitop3:0x40
	v_cmp_gt_u32_e32 vcc_lo, 8, v1
	s_delay_alu instid0(VALU_DEP_2) | instskip(NEXT) | instid1(VALU_DEP_1)
	v_clz_i32_u32_e32 v0, v0
	v_min_u32_e32 v0, 32, v0
	s_delay_alu instid0(VALU_DEP_1) | instskip(SKIP_1) | instid1(VALU_DEP_1)
	v_subrev_nc_u32_e32 v28, 28, v0
	v_sub_nc_u32_e32 v0, 29, v0
	v_cndmask_b32_e32 v18, v18, v0, vcc_lo
	s_delay_alu instid0(VALU_DEP_3) | instskip(NEXT) | instid1(VALU_DEP_1)
	v_cndmask_b32_e32 v0, 0, v28, vcc_lo
	v_lshlrev_b64_e32 v[0:1], v0, v[26:27]
	v_lshlrev_b32_e32 v1, 24, v26
	s_delay_alu instid0(VALU_DEP_1) | instskip(NEXT) | instid1(VALU_DEP_3)
	v_and_b32_e32 v1, 0x80000000, v1
	v_lshlrev_b32_e32 v0, 20, v0
	v_lshl_add_u32 v18, v18, 23, 0x3c000000
	s_delay_alu instid0(VALU_DEP_2) | instskip(NEXT) | instid1(VALU_DEP_1)
	v_and_b32_e32 v0, 0x700000, v0
	v_or3_b32 v0, v0, v1, v18
.LBB321_556:                            ;   in Loop: Header=BB321_552 Depth=1
	s_or_b32 exec_lo, exec_lo, s14
.LBB321_557:                            ;   in Loop: Header=BB321_552 Depth=1
	s_delay_alu instid0(SALU_CYCLE_1)
	s_or_b32 exec_lo, exec_lo, s11
.LBB321_558:                            ;   in Loop: Header=BB321_552 Depth=1
	s_delay_alu instid0(SALU_CYCLE_1) | instskip(SKIP_3) | instid1(VALU_DEP_2)
	s_or_b32 exec_lo, exec_lo, s0
	v_lshrrev_b16 v18, 8, v26
	v_dual_mov_b32 v1, 0 :: v_dual_mov_b32 v36, 0
	s_mov_b32 s0, exec_lo
	v_cmpx_ne_u16_e32 0, v18
	s_cbranch_execz .LBB321_566
; %bb.559:                              ;   in Loop: Header=BB321_552 Depth=1
	v_bfrev_b32_e32 v36, 1
	s_mov_b32 s11, exec_lo
	v_cmpx_ne_u16_e32 0x80, v18
	s_cbranch_execz .LBB321_565
; %bb.560:                              ;   in Loop: Header=BB321_552 Depth=1
	v_and_b32_e32 v18, 0xffff, v18
	v_mov_b32_e32 v36, 0x7f800001
	s_mov_b32 s14, exec_lo
	s_delay_alu instid0(VALU_DEP_2) | instskip(NEXT) | instid1(VALU_DEP_1)
	v_and_b32_e32 v29, 0x7f, v18
	v_cmpx_ne_u32_e32 0x7f, v29
	s_cbranch_execz .LBB321_564
; %bb.561:                              ;   in Loop: Header=BB321_552 Depth=1
	v_dual_lshrrev_b32 v28, 3, v29 :: v_dual_bitop2_b32 v18, 7, v18 bitop3:0x40
	s_mov_b32 s15, exec_lo
	v_cmpx_gt_u32_e32 8, v29
; %bb.562:                              ;   in Loop: Header=BB321_552 Depth=1
	s_delay_alu instid0(VALU_DEP_2) | instskip(NEXT) | instid1(VALU_DEP_1)
	v_clz_i32_u32_e32 v28, v18
	v_min_u32_e32 v28, 32, v28
	s_delay_alu instid0(VALU_DEP_1) | instskip(NEXT) | instid1(VALU_DEP_1)
	v_subrev_nc_u32_e32 v29, 28, v28
	v_lshlrev_b64_e32 v[34:35], v29, v[18:19]
	s_delay_alu instid0(VALU_DEP_1)
	v_dual_sub_nc_u32 v28, 29, v28 :: v_dual_bitop2_b32 v18, 7, v34 bitop3:0x40
; %bb.563:                              ;   in Loop: Header=BB321_552 Depth=1
	s_or_b32 exec_lo, exec_lo, s15
	v_lshlrev_b32_e32 v29, 16, v26
	s_delay_alu instid0(VALU_DEP_2) | instskip(NEXT) | instid1(VALU_DEP_3)
	v_lshlrev_b32_e32 v18, 20, v18
	v_lshl_add_u32 v28, v28, 23, 0x3c000000
	s_delay_alu instid0(VALU_DEP_3) | instskip(NEXT) | instid1(VALU_DEP_1)
	v_and_b32_e32 v29, 0x80000000, v29
	v_or3_b32 v36, v18, v29, v28
.LBB321_564:                            ;   in Loop: Header=BB321_552 Depth=1
	s_or_b32 exec_lo, exec_lo, s14
.LBB321_565:                            ;   in Loop: Header=BB321_552 Depth=1
	s_delay_alu instid0(SALU_CYCLE_1)
	s_or_b32 exec_lo, exec_lo, s11
.LBB321_566:                            ;   in Loop: Header=BB321_552 Depth=1
	s_delay_alu instid0(SALU_CYCLE_1) | instskip(SKIP_2) | instid1(VALU_DEP_1)
	s_or_b32 exec_lo, exec_lo, s0
	v_lshrrev_b32_e32 v28, 16, v26
	s_mov_b32 s0, exec_lo
	v_and_b32_e32 v18, 0xff, v28
	s_delay_alu instid0(VALU_DEP_1)
	v_cmpx_ne_u16_e32 0, v18
	s_cbranch_execz .LBB321_574
; %bb.567:                              ;   in Loop: Header=BB321_552 Depth=1
	v_bfrev_b32_e32 v1, 1
	s_mov_b32 s11, exec_lo
	v_cmpx_ne_u16_e32 0x80, v18
	s_cbranch_execz .LBB321_573
; %bb.568:                              ;   in Loop: Header=BB321_552 Depth=1
	v_bfe_u32 v29, v26, 16, 7
	v_mov_b32_e32 v1, 0x7f800001
	s_mov_b32 s14, exec_lo
	s_delay_alu instid0(VALU_DEP_2)
	v_cmpx_ne_u32_e32 0x7f, v29
	s_cbranch_execz .LBB321_572
; %bb.569:                              ;   in Loop: Header=BB321_552 Depth=1
	v_dual_lshrrev_b32 v1, 3, v29 :: v_dual_bitop2_b32 v18, 7, v28 bitop3:0x40
	s_mov_b32 s15, exec_lo
	v_cmpx_gt_u32_e32 8, v29
; %bb.570:                              ;   in Loop: Header=BB321_552 Depth=1
	s_delay_alu instid0(VALU_DEP_2) | instskip(NEXT) | instid1(VALU_DEP_1)
	v_clz_i32_u32_e32 v1, v18
	v_min_u32_e32 v1, 32, v1
	s_delay_alu instid0(VALU_DEP_1) | instskip(NEXT) | instid1(VALU_DEP_1)
	v_subrev_nc_u32_e32 v29, 28, v1
	v_lshlrev_b64_e32 v[34:35], v29, v[18:19]
	s_delay_alu instid0(VALU_DEP_1)
	v_dual_sub_nc_u32 v1, 29, v1 :: v_dual_bitop2_b32 v18, 7, v34 bitop3:0x40
; %bb.571:                              ;   in Loop: Header=BB321_552 Depth=1
	s_or_b32 exec_lo, exec_lo, s15
	s_delay_alu instid0(VALU_DEP_1) | instskip(NEXT) | instid1(VALU_DEP_2)
	v_dual_lshlrev_b32 v28, 24, v28 :: v_dual_lshlrev_b32 v18, 20, v18
	v_lshl_add_u32 v1, v1, 23, 0x3c000000
	s_delay_alu instid0(VALU_DEP_2) | instskip(NEXT) | instid1(VALU_DEP_1)
	v_and_b32_e32 v28, 0x80000000, v28
	v_or3_b32 v1, v18, v28, v1
.LBB321_572:                            ;   in Loop: Header=BB321_552 Depth=1
	s_or_b32 exec_lo, exec_lo, s14
.LBB321_573:                            ;   in Loop: Header=BB321_552 Depth=1
	s_delay_alu instid0(SALU_CYCLE_1)
	s_or_b32 exec_lo, exec_lo, s11
.LBB321_574:                            ;   in Loop: Header=BB321_552 Depth=1
	s_delay_alu instid0(SALU_CYCLE_1)
	s_or_b32 exec_lo, exec_lo, s0
	v_dual_mov_b32 v35, 0 :: v_dual_mov_b32 v37, 0
	s_mov_b32 s0, exec_lo
	v_cmpx_lt_u32_e32 0xffffff, v26
	s_cbranch_execz .LBB321_582
; %bb.575:                              ;   in Loop: Header=BB321_552 Depth=1
	v_lshrrev_b32_e32 v28, 24, v26
	v_bfrev_b32_e32 v37, 1
	s_mov_b32 s11, exec_lo
	s_delay_alu instid0(VALU_DEP_2)
	v_cmpx_ne_u32_e32 0x80, v28
	s_cbranch_execz .LBB321_581
; %bb.576:                              ;   in Loop: Header=BB321_552 Depth=1
	v_bfe_u32 v34, v26, 24, 7
	v_mov_b32_e32 v37, 0x7f800001
	s_mov_b32 s14, exec_lo
	s_delay_alu instid0(VALU_DEP_2)
	v_cmpx_ne_u32_e32 0x7f, v34
	s_cbranch_execz .LBB321_580
; %bb.577:                              ;   in Loop: Header=BB321_552 Depth=1
	v_dual_lshrrev_b32 v29, 3, v34 :: v_dual_bitop2_b32 v18, 7, v28 bitop3:0x40
	s_mov_b32 s15, exec_lo
	v_cmpx_gt_u32_e32 8, v34
; %bb.578:                              ;   in Loop: Header=BB321_552 Depth=1
	s_delay_alu instid0(VALU_DEP_2) | instskip(NEXT) | instid1(VALU_DEP_1)
	v_clz_i32_u32_e32 v29, v18
	v_min_u32_e32 v29, 32, v29
	s_delay_alu instid0(VALU_DEP_1) | instskip(NEXT) | instid1(VALU_DEP_1)
	v_subrev_nc_u32_e32 v34, 28, v29
	v_lshlrev_b64_e32 v[38:39], v34, v[18:19]
	s_delay_alu instid0(VALU_DEP_1)
	v_dual_sub_nc_u32 v29, 29, v29 :: v_dual_bitop2_b32 v18, 7, v38 bitop3:0x40
; %bb.579:                              ;   in Loop: Header=BB321_552 Depth=1
	s_or_b32 exec_lo, exec_lo, s15
	s_delay_alu instid0(VALU_DEP_1) | instskip(NEXT) | instid1(VALU_DEP_2)
	v_dual_lshlrev_b32 v28, 24, v28 :: v_dual_lshlrev_b32 v18, 20, v18
	v_lshl_add_u32 v29, v29, 23, 0x3c000000
	s_delay_alu instid0(VALU_DEP_2) | instskip(NEXT) | instid1(VALU_DEP_1)
	v_and_b32_e32 v28, 0x80000000, v28
	v_or3_b32 v37, v18, v28, v29
.LBB321_580:                            ;   in Loop: Header=BB321_552 Depth=1
	s_or_b32 exec_lo, exec_lo, s14
.LBB321_581:                            ;   in Loop: Header=BB321_552 Depth=1
	s_delay_alu instid0(SALU_CYCLE_1)
	s_or_b32 exec_lo, exec_lo, s11
.LBB321_582:                            ;   in Loop: Header=BB321_552 Depth=1
	s_delay_alu instid0(SALU_CYCLE_1) | instskip(SKIP_3) | instid1(VALU_DEP_2)
	s_or_b32 exec_lo, exec_lo, s0
	v_and_b32_e32 v28, 0xff, v27
	v_mov_b32_e32 v18, v27
	s_mov_b32 s0, exec_lo
	v_cmpx_ne_u16_e32 0, v28
	s_cbranch_execz .LBB321_588
; %bb.583:                              ;   in Loop: Header=BB321_552 Depth=1
	v_bfrev_b32_e32 v35, 1
	s_mov_b32 s11, exec_lo
	v_cmpx_ne_u16_e32 0x80, v28
	s_cbranch_execz .LBB321_587
; %bb.584:                              ;   in Loop: Header=BB321_552 Depth=1
	v_and_b32_e32 v28, 0x7f, v27
	v_mov_b32_e32 v35, 0x7f800001
	s_mov_b32 s14, exec_lo
	s_delay_alu instid0(VALU_DEP_2)
	v_cmpx_ne_u32_e32 0x7f, v28
	s_cbranch_execz .LBB321_586
; %bb.585:                              ;   in Loop: Header=BB321_552 Depth=1
	v_dual_lshrrev_b32 v34, 3, v28 :: v_dual_bitop2_b32 v29, 7, v27 bitop3:0x40
	v_cmp_gt_u32_e32 vcc_lo, 8, v28
	s_delay_alu instid0(VALU_DEP_2) | instskip(NEXT) | instid1(VALU_DEP_1)
	v_clz_i32_u32_e32 v29, v29
	v_min_u32_e32 v29, 32, v29
	s_delay_alu instid0(VALU_DEP_1) | instskip(NEXT) | instid1(VALU_DEP_1)
	v_subrev_nc_u32_e32 v35, 28, v29
	v_dual_cndmask_b32 v28, 0, v35 :: v_dual_sub_nc_u32 v29, 29, v29
	s_delay_alu instid0(VALU_DEP_1) | instskip(NEXT) | instid1(VALU_DEP_2)
	v_cndmask_b32_e32 v34, v34, v29, vcc_lo
	v_lshlrev_b64_e32 v[28:29], v28, v[18:19]
	v_lshlrev_b32_e32 v29, 24, v18
	s_delay_alu instid0(VALU_DEP_3) | instskip(NEXT) | instid1(VALU_DEP_2)
	v_lshl_add_u32 v34, v34, 23, 0x3c000000
	v_and_b32_e32 v29, 0x80000000, v29
	s_delay_alu instid0(VALU_DEP_4) | instskip(NEXT) | instid1(VALU_DEP_1)
	v_lshlrev_b32_e32 v28, 20, v28
	v_and_b32_e32 v28, 0x700000, v28
	s_delay_alu instid0(VALU_DEP_1)
	v_or3_b32 v35, v28, v29, v34
.LBB321_586:                            ;   in Loop: Header=BB321_552 Depth=1
	s_or_b32 exec_lo, exec_lo, s14
.LBB321_587:                            ;   in Loop: Header=BB321_552 Depth=1
	s_delay_alu instid0(SALU_CYCLE_1)
	s_or_b32 exec_lo, exec_lo, s11
.LBB321_588:                            ;   in Loop: Header=BB321_552 Depth=1
	s_delay_alu instid0(SALU_CYCLE_1) | instskip(SKIP_3) | instid1(VALU_DEP_2)
	s_or_b32 exec_lo, exec_lo, s0
	v_lshrrev_b16 v29, 8, v18
	v_dual_mov_b32 v43, 0 :: v_dual_mov_b32 v28, 0
	s_mov_b32 s0, exec_lo
	v_cmpx_ne_u16_e32 0, v29
	s_cbranch_execz .LBB321_596
; %bb.589:                              ;   in Loop: Header=BB321_552 Depth=1
	v_bfrev_b32_e32 v28, 1
	s_mov_b32 s11, exec_lo
	v_cmpx_ne_u16_e32 0x80, v29
	s_cbranch_execz .LBB321_595
; %bb.590:                              ;   in Loop: Header=BB321_552 Depth=1
	v_and_b32_e32 v29, 0xffff, v29
	v_mov_b32_e32 v28, 0x7f800001
	s_mov_b32 s14, exec_lo
	s_delay_alu instid0(VALU_DEP_2) | instskip(NEXT) | instid1(VALU_DEP_1)
	v_and_b32_e32 v38, 0x7f, v29
	v_cmpx_ne_u32_e32 0x7f, v38
	s_cbranch_execz .LBB321_594
; %bb.591:                              ;   in Loop: Header=BB321_552 Depth=1
	v_dual_mov_b32 v29, v19 :: v_dual_bitop2_b32 v28, 7, v29 bitop3:0x40
	v_lshrrev_b32_e32 v34, 3, v38
	s_mov_b32 s15, exec_lo
	v_cmpx_gt_u32_e32 8, v38
; %bb.592:                              ;   in Loop: Header=BB321_552 Depth=1
	s_delay_alu instid0(VALU_DEP_3) | instskip(NEXT) | instid1(VALU_DEP_1)
	v_clz_i32_u32_e32 v34, v28
	v_min_u32_e32 v34, 32, v34
	s_delay_alu instid0(VALU_DEP_1) | instskip(NEXT) | instid1(VALU_DEP_1)
	v_subrev_nc_u32_e32 v38, 28, v34
	v_lshlrev_b64_e32 v[28:29], v38, v[28:29]
	s_delay_alu instid0(VALU_DEP_1)
	v_dual_sub_nc_u32 v34, 29, v34 :: v_dual_bitop2_b32 v28, 7, v28 bitop3:0x40
; %bb.593:                              ;   in Loop: Header=BB321_552 Depth=1
	s_or_b32 exec_lo, exec_lo, s15
	s_delay_alu instid0(VALU_DEP_1) | instskip(NEXT) | instid1(VALU_DEP_2)
	v_dual_lshlrev_b32 v18, 16, v18 :: v_dual_lshlrev_b32 v28, 20, v28
	v_lshl_add_u32 v29, v34, 23, 0x3c000000
	s_delay_alu instid0(VALU_DEP_2) | instskip(NEXT) | instid1(VALU_DEP_1)
	v_and_b32_e32 v18, 0x80000000, v18
	v_or3_b32 v28, v28, v18, v29
.LBB321_594:                            ;   in Loop: Header=BB321_552 Depth=1
	s_or_b32 exec_lo, exec_lo, s14
.LBB321_595:                            ;   in Loop: Header=BB321_552 Depth=1
	s_delay_alu instid0(SALU_CYCLE_1)
	s_or_b32 exec_lo, exec_lo, s11
.LBB321_596:                            ;   in Loop: Header=BB321_552 Depth=1
	s_delay_alu instid0(SALU_CYCLE_1) | instskip(SKIP_2) | instid1(VALU_DEP_1)
	s_or_b32 exec_lo, exec_lo, s0
	v_lshrrev_b32_e32 v29, 16, v27
	s_mov_b32 s0, exec_lo
	v_and_b32_e32 v18, 0xff, v29
	s_delay_alu instid0(VALU_DEP_1)
	v_cmpx_ne_u16_e32 0, v18
	s_cbranch_execz .LBB321_604
; %bb.597:                              ;   in Loop: Header=BB321_552 Depth=1
	v_bfrev_b32_e32 v43, 1
	s_mov_b32 s11, exec_lo
	v_cmpx_ne_u16_e32 0x80, v18
	s_cbranch_execz .LBB321_603
; %bb.598:                              ;   in Loop: Header=BB321_552 Depth=1
	v_bfe_u32 v38, v27, 16, 7
	v_mov_b32_e32 v43, 0x7f800001
	s_mov_b32 s14, exec_lo
	s_delay_alu instid0(VALU_DEP_2)
	v_cmpx_ne_u32_e32 0x7f, v38
	s_cbranch_execz .LBB321_602
; %bb.599:                              ;   in Loop: Header=BB321_552 Depth=1
	v_dual_lshrrev_b32 v34, 3, v38 :: v_dual_bitop2_b32 v18, 7, v29 bitop3:0x40
	s_mov_b32 s15, exec_lo
	v_cmpx_gt_u32_e32 8, v38
; %bb.600:                              ;   in Loop: Header=BB321_552 Depth=1
	s_delay_alu instid0(VALU_DEP_2) | instskip(NEXT) | instid1(VALU_DEP_1)
	v_clz_i32_u32_e32 v34, v18
	v_min_u32_e32 v34, 32, v34
	s_delay_alu instid0(VALU_DEP_1) | instskip(SKIP_1) | instid1(VALU_DEP_2)
	v_subrev_nc_u32_e32 v38, 28, v34
	v_sub_nc_u32_e32 v34, 29, v34
	v_lshlrev_b64_e32 v[38:39], v38, v[18:19]
	s_delay_alu instid0(VALU_DEP_1)
	v_and_b32_e32 v18, 7, v38
; %bb.601:                              ;   in Loop: Header=BB321_552 Depth=1
	s_or_b32 exec_lo, exec_lo, s15
	s_delay_alu instid0(VALU_DEP_1) | instskip(SKIP_1) | instid1(VALU_DEP_2)
	v_dual_lshlrev_b32 v29, 24, v29 :: v_dual_lshlrev_b32 v18, 20, v18
	v_lshl_add_u32 v34, v34, 23, 0x3c000000
	v_and_b32_e32 v29, 0x80000000, v29
	s_delay_alu instid0(VALU_DEP_1)
	v_or3_b32 v43, v18, v29, v34
.LBB321_602:                            ;   in Loop: Header=BB321_552 Depth=1
	s_or_b32 exec_lo, exec_lo, s14
.LBB321_603:                            ;   in Loop: Header=BB321_552 Depth=1
	s_delay_alu instid0(SALU_CYCLE_1)
	s_or_b32 exec_lo, exec_lo, s11
.LBB321_604:                            ;   in Loop: Header=BB321_552 Depth=1
	s_delay_alu instid0(SALU_CYCLE_1)
	s_or_b32 exec_lo, exec_lo, s0
	v_mov_b32_e32 v18, 0
	s_mov_b32 s0, exec_lo
	v_cmpx_lt_u64_e64 s[2:3], v[26:27]
	s_cbranch_execz .LBB321_612
; %bb.605:                              ;   in Loop: Header=BB321_552 Depth=1
	v_lshrrev_b32_e32 v26, 24, v27
	v_bfrev_b32_e32 v18, 1
	s_mov_b32 s11, exec_lo
	s_delay_alu instid0(VALU_DEP_2)
	v_cmpx_ne_u32_e32 0x80, v26
	s_cbranch_execz .LBB321_611
; %bb.606:                              ;   in Loop: Header=BB321_552 Depth=1
	v_bfe_u32 v29, v27, 24, 7
	v_mov_b32_e32 v18, 0x7f800001
	s_mov_b32 s14, exec_lo
	s_delay_alu instid0(VALU_DEP_2)
	v_cmpx_ne_u32_e32 0x7f, v29
	s_cbranch_execz .LBB321_610
; %bb.607:                              ;   in Loop: Header=BB321_552 Depth=1
	v_dual_lshrrev_b32 v27, 3, v29 :: v_dual_bitop2_b32 v18, 7, v26 bitop3:0x40
	s_mov_b32 s15, exec_lo
	v_cmpx_gt_u32_e32 8, v29
; %bb.608:                              ;   in Loop: Header=BB321_552 Depth=1
	s_delay_alu instid0(VALU_DEP_2) | instskip(NEXT) | instid1(VALU_DEP_1)
	v_clz_i32_u32_e32 v27, v18
	v_min_u32_e32 v27, 32, v27
	s_delay_alu instid0(VALU_DEP_1) | instskip(NEXT) | instid1(VALU_DEP_1)
	v_subrev_nc_u32_e32 v29, 28, v27
	v_lshlrev_b64_e32 v[38:39], v29, v[18:19]
	s_delay_alu instid0(VALU_DEP_1)
	v_dual_sub_nc_u32 v27, 29, v27 :: v_dual_bitop2_b32 v18, 7, v38 bitop3:0x40
; %bb.609:                              ;   in Loop: Header=BB321_552 Depth=1
	s_or_b32 exec_lo, exec_lo, s15
	v_lshlrev_b32_e32 v26, 24, v26
	s_delay_alu instid0(VALU_DEP_2) | instskip(NEXT) | instid1(VALU_DEP_3)
	v_lshlrev_b32_e32 v18, 20, v18
	v_lshl_add_u32 v27, v27, 23, 0x3c000000
	s_delay_alu instid0(VALU_DEP_3) | instskip(NEXT) | instid1(VALU_DEP_1)
	v_and_b32_e32 v26, 0x80000000, v26
	v_or3_b32 v18, v18, v26, v27
.LBB321_610:                            ;   in Loop: Header=BB321_552 Depth=1
	s_or_b32 exec_lo, exec_lo, s14
.LBB321_611:                            ;   in Loop: Header=BB321_552 Depth=1
	s_delay_alu instid0(SALU_CYCLE_1)
	s_or_b32 exec_lo, exec_lo, s11
.LBB321_612:                            ;   in Loop: Header=BB321_552 Depth=1
	s_delay_alu instid0(SALU_CYCLE_1)
	s_or_b32 exec_lo, exec_lo, s0
	v_dual_add_nc_u32 v42, -7, v31 :: v_dual_add_nc_u32 v48, -6, v31
	v_cmp_eq_u32_e32 vcc_lo, s10, v33
	v_fma_mixlo_bf16 v34, s6, v28, 0
	v_fma_mixlo_bf16 v35, s6, v35, 0
	;; [unrolled: 1-line block ×8, first 2 shown]
	v_dual_add_nc_u32 v47, -5, v31 :: v_dual_add_nc_u32 v46, -4, v31
	v_dual_add_nc_u32 v45, -3, v31 :: v_dual_add_nc_u32 v44, -2, v31
	v_add_nc_u32_e32 v43, -1, v31
	s_and_saveexec_b32 s11, vcc_lo
	s_cbranch_execz .LBB321_614
; %bb.613:                              ;   in Loop: Header=BB321_552 Depth=1
	v_cmp_gt_i32_e64 s0, s23, v42
	s_delay_alu instid0(VALU_DEP_1) | instskip(SKIP_1) | instid1(VALU_DEP_1)
	v_cndmask_b32_e64 v41, 0, v41, s0
	v_cmp_gt_i32_e64 s0, s23, v48
	v_cndmask_b32_e64 v40, 0, v40, s0
	v_cmp_gt_i32_e64 s0, s23, v47
	s_delay_alu instid0(VALU_DEP_1) | instskip(SKIP_1) | instid1(VALU_DEP_1)
	v_cndmask_b32_e64 v39, 0, v39, s0
	v_cmp_gt_i32_e64 s0, s23, v46
	v_cndmask_b32_e64 v38, 0, v38, s0
	;; [unrolled: 5-line block ×4, first 2 shown]
.LBB321_614:                            ;   in Loop: Header=BB321_552 Depth=1
	s_or_b32 exec_lo, exec_lo, s11
	global_load_b64 v[26:27], v[24:25], off offset:256
	v_dual_mov_b32 v1, 0 :: v_dual_mov_b32 v0, 0
	s_mov_b32 s11, exec_lo
	s_wait_loadcnt 0x0
	v_and_b32_e32 v18, 0xff, v26
	s_delay_alu instid0(VALU_DEP_1)
	v_cmpx_ne_u16_e32 0, v18
	s_cbranch_execz .LBB321_620
; %bb.615:                              ;   in Loop: Header=BB321_552 Depth=1
	v_bfrev_b32_e32 v0, 1
	s_mov_b32 s14, exec_lo
	v_cmpx_ne_u16_e32 0x80, v18
	s_cbranch_execz .LBB321_619
; %bb.616:                              ;   in Loop: Header=BB321_552 Depth=1
	v_and_b32_e32 v18, 0x7f, v26
	v_mov_b32_e32 v0, 0x7f800001
	s_mov_b32 s15, exec_lo
	s_delay_alu instid0(VALU_DEP_2)
	v_cmpx_ne_u32_e32 0x7f, v18
	s_cbranch_execz .LBB321_618
; %bb.617:                              ;   in Loop: Header=BB321_552 Depth=1
	v_cmp_gt_u32_e64 s0, 8, v18
	v_and_b32_e32 v0, 7, v26
	s_delay_alu instid0(VALU_DEP_1) | instskip(NEXT) | instid1(VALU_DEP_1)
	v_clz_i32_u32_e32 v0, v0
	v_min_u32_e32 v0, 32, v0
	v_lshrrev_b32_e32 v28, 3, v18
	s_delay_alu instid0(VALU_DEP_2) | instskip(NEXT) | instid1(VALU_DEP_1)
	v_subrev_nc_u32_e32 v29, 28, v0
	v_dual_sub_nc_u32 v0, 29, v0 :: v_dual_cndmask_b32 v18, 0, v29, s0
	s_delay_alu instid0(VALU_DEP_1) | instskip(NEXT) | instid1(VALU_DEP_2)
	v_cndmask_b32_e64 v0, v28, v0, s0
	v_lshlrev_b64_e32 v[28:29], v18, v[26:27]
	v_lshlrev_b32_e32 v18, 24, v26
	s_delay_alu instid0(VALU_DEP_3) | instskip(NEXT) | instid1(VALU_DEP_2)
	v_lshl_add_u32 v0, v0, 23, 0x3c000000
	v_and_b32_e32 v18, 0x80000000, v18
	s_delay_alu instid0(VALU_DEP_4) | instskip(NEXT) | instid1(VALU_DEP_1)
	v_lshlrev_b32_e32 v28, 20, v28
	v_and_b32_e32 v28, 0x700000, v28
	s_delay_alu instid0(VALU_DEP_1)
	v_or3_b32 v0, v28, v18, v0
.LBB321_618:                            ;   in Loop: Header=BB321_552 Depth=1
	s_or_b32 exec_lo, exec_lo, s15
.LBB321_619:                            ;   in Loop: Header=BB321_552 Depth=1
	s_delay_alu instid0(SALU_CYCLE_1)
	s_or_b32 exec_lo, exec_lo, s14
.LBB321_620:                            ;   in Loop: Header=BB321_552 Depth=1
	s_delay_alu instid0(SALU_CYCLE_1) | instskip(SKIP_2) | instid1(VALU_DEP_1)
	s_or_b32 exec_lo, exec_lo, s11
	v_lshrrev_b16 v18, 8, v26
	s_mov_b32 s11, exec_lo
	v_cmpx_ne_u16_e32 0, v18
	s_cbranch_execz .LBB321_628
; %bb.621:                              ;   in Loop: Header=BB321_552 Depth=1
	v_bfrev_b32_e32 v1, 1
	s_mov_b32 s14, exec_lo
	v_cmpx_ne_u16_e32 0x80, v18
	s_cbranch_execz .LBB321_627
; %bb.622:                              ;   in Loop: Header=BB321_552 Depth=1
	v_and_b32_e32 v18, 0xffff, v18
	v_mov_b32_e32 v1, 0x7f800001
	s_mov_b32 s15, exec_lo
	s_delay_alu instid0(VALU_DEP_2) | instskip(NEXT) | instid1(VALU_DEP_1)
	v_and_b32_e32 v28, 0x7f, v18
	v_cmpx_ne_u32_e32 0x7f, v28
	s_cbranch_execz .LBB321_626
; %bb.623:                              ;   in Loop: Header=BB321_552 Depth=1
	v_dual_lshrrev_b32 v1, 3, v28 :: v_dual_bitop2_b32 v18, 7, v18 bitop3:0x40
	s_mov_b32 s16, exec_lo
	v_cmpx_gt_u32_e32 8, v28
; %bb.624:                              ;   in Loop: Header=BB321_552 Depth=1
	s_delay_alu instid0(VALU_DEP_2) | instskip(NEXT) | instid1(VALU_DEP_1)
	v_clz_i32_u32_e32 v1, v18
	v_min_u32_e32 v1, 32, v1
	s_delay_alu instid0(VALU_DEP_1) | instskip(NEXT) | instid1(VALU_DEP_1)
	v_subrev_nc_u32_e32 v28, 28, v1
	v_lshlrev_b64_e32 v[28:29], v28, v[18:19]
	s_delay_alu instid0(VALU_DEP_1)
	v_dual_sub_nc_u32 v1, 29, v1 :: v_dual_bitop2_b32 v18, 7, v28 bitop3:0x40
; %bb.625:                              ;   in Loop: Header=BB321_552 Depth=1
	s_or_b32 exec_lo, exec_lo, s16
	v_lshlrev_b32_e32 v28, 16, v26
	s_delay_alu instid0(VALU_DEP_2) | instskip(NEXT) | instid1(VALU_DEP_3)
	v_lshlrev_b32_e32 v18, 20, v18
	v_lshl_add_u32 v1, v1, 23, 0x3c000000
	s_delay_alu instid0(VALU_DEP_3) | instskip(NEXT) | instid1(VALU_DEP_1)
	v_and_b32_e32 v28, 0x80000000, v28
	v_or3_b32 v1, v18, v28, v1
.LBB321_626:                            ;   in Loop: Header=BB321_552 Depth=1
	s_or_b32 exec_lo, exec_lo, s15
.LBB321_627:                            ;   in Loop: Header=BB321_552 Depth=1
	s_delay_alu instid0(SALU_CYCLE_1)
	s_or_b32 exec_lo, exec_lo, s14
.LBB321_628:                            ;   in Loop: Header=BB321_552 Depth=1
	s_delay_alu instid0(SALU_CYCLE_1) | instskip(SKIP_3) | instid1(VALU_DEP_2)
	s_or_b32 exec_lo, exec_lo, s11
	v_dual_lshrrev_b32 v28, 16, v26 :: v_dual_mov_b32 v52, 0
	v_mov_b32_e32 v51, 0
	s_mov_b32 s11, exec_lo
	v_and_b32_e32 v18, 0xff, v28
	s_delay_alu instid0(VALU_DEP_1)
	v_cmpx_ne_u16_e32 0, v18
	s_cbranch_execz .LBB321_636
; %bb.629:                              ;   in Loop: Header=BB321_552 Depth=1
	v_bfrev_b32_e32 v51, 1
	s_mov_b32 s14, exec_lo
	v_cmpx_ne_u16_e32 0x80, v18
	s_cbranch_execz .LBB321_635
; %bb.630:                              ;   in Loop: Header=BB321_552 Depth=1
	v_bfe_u32 v49, v26, 16, 7
	v_mov_b32_e32 v51, 0x7f800001
	s_mov_b32 s15, exec_lo
	s_delay_alu instid0(VALU_DEP_2)
	v_cmpx_ne_u32_e32 0x7f, v49
	s_cbranch_execz .LBB321_634
; %bb.631:                              ;   in Loop: Header=BB321_552 Depth=1
	v_dual_lshrrev_b32 v29, 3, v49 :: v_dual_bitop2_b32 v18, 7, v28 bitop3:0x40
	s_mov_b32 s16, exec_lo
	v_cmpx_gt_u32_e32 8, v49
; %bb.632:                              ;   in Loop: Header=BB321_552 Depth=1
	s_delay_alu instid0(VALU_DEP_2) | instskip(NEXT) | instid1(VALU_DEP_1)
	v_clz_i32_u32_e32 v29, v18
	v_min_u32_e32 v29, 32, v29
	s_delay_alu instid0(VALU_DEP_1) | instskip(NEXT) | instid1(VALU_DEP_1)
	v_subrev_nc_u32_e32 v49, 28, v29
	v_lshlrev_b64_e32 v[50:51], v49, v[18:19]
	s_delay_alu instid0(VALU_DEP_1)
	v_dual_sub_nc_u32 v29, 29, v29 :: v_dual_bitop2_b32 v18, 7, v50 bitop3:0x40
; %bb.633:                              ;   in Loop: Header=BB321_552 Depth=1
	s_or_b32 exec_lo, exec_lo, s16
	s_delay_alu instid0(VALU_DEP_1) | instskip(NEXT) | instid1(VALU_DEP_2)
	v_dual_lshlrev_b32 v28, 24, v28 :: v_dual_lshlrev_b32 v18, 20, v18
	v_lshl_add_u32 v29, v29, 23, 0x3c000000
	s_delay_alu instid0(VALU_DEP_2) | instskip(NEXT) | instid1(VALU_DEP_1)
	v_and_b32_e32 v28, 0x80000000, v28
	v_or3_b32 v51, v18, v28, v29
.LBB321_634:                            ;   in Loop: Header=BB321_552 Depth=1
	s_or_b32 exec_lo, exec_lo, s15
.LBB321_635:                            ;   in Loop: Header=BB321_552 Depth=1
	s_delay_alu instid0(SALU_CYCLE_1)
	s_or_b32 exec_lo, exec_lo, s14
.LBB321_636:                            ;   in Loop: Header=BB321_552 Depth=1
	s_delay_alu instid0(SALU_CYCLE_1) | instskip(NEXT) | instid1(SALU_CYCLE_1)
	s_or_b32 exec_lo, exec_lo, s11
	s_mov_b32 s11, exec_lo
	v_cmpx_lt_u32_e32 0xffffff, v26
	s_cbranch_execz .LBB321_644
; %bb.637:                              ;   in Loop: Header=BB321_552 Depth=1
	v_lshrrev_b32_e32 v28, 24, v26
	v_bfrev_b32_e32 v52, 1
	s_mov_b32 s14, exec_lo
	s_delay_alu instid0(VALU_DEP_2)
	v_cmpx_ne_u32_e32 0x80, v28
	s_cbranch_execz .LBB321_643
; %bb.638:                              ;   in Loop: Header=BB321_552 Depth=1
	v_bfe_u32 v49, v26, 24, 7
	v_mov_b32_e32 v52, 0x7f800001
	s_mov_b32 s15, exec_lo
	s_delay_alu instid0(VALU_DEP_2)
	v_cmpx_ne_u32_e32 0x7f, v49
	s_cbranch_execz .LBB321_642
; %bb.639:                              ;   in Loop: Header=BB321_552 Depth=1
	v_dual_lshrrev_b32 v29, 3, v49 :: v_dual_bitop2_b32 v18, 7, v28 bitop3:0x40
	s_mov_b32 s16, exec_lo
	v_cmpx_gt_u32_e32 8, v49
; %bb.640:                              ;   in Loop: Header=BB321_552 Depth=1
	s_delay_alu instid0(VALU_DEP_2) | instskip(NEXT) | instid1(VALU_DEP_1)
	v_clz_i32_u32_e32 v29, v18
	v_min_u32_e32 v29, 32, v29
	s_delay_alu instid0(VALU_DEP_1) | instskip(NEXT) | instid1(VALU_DEP_1)
	v_subrev_nc_u32_e32 v49, 28, v29
	v_lshlrev_b64_e32 v[52:53], v49, v[18:19]
	s_delay_alu instid0(VALU_DEP_1)
	v_dual_sub_nc_u32 v29, 29, v29 :: v_dual_bitop2_b32 v18, 7, v52 bitop3:0x40
; %bb.641:                              ;   in Loop: Header=BB321_552 Depth=1
	s_or_b32 exec_lo, exec_lo, s16
	s_delay_alu instid0(VALU_DEP_1) | instskip(NEXT) | instid1(VALU_DEP_2)
	v_dual_lshlrev_b32 v28, 24, v28 :: v_dual_lshlrev_b32 v18, 20, v18
	v_lshl_add_u32 v29, v29, 23, 0x3c000000
	s_delay_alu instid0(VALU_DEP_2) | instskip(NEXT) | instid1(VALU_DEP_1)
	v_and_b32_e32 v28, 0x80000000, v28
	v_or3_b32 v52, v18, v28, v29
.LBB321_642:                            ;   in Loop: Header=BB321_552 Depth=1
	s_or_b32 exec_lo, exec_lo, s15
.LBB321_643:                            ;   in Loop: Header=BB321_552 Depth=1
	s_delay_alu instid0(SALU_CYCLE_1)
	s_or_b32 exec_lo, exec_lo, s14
.LBB321_644:                            ;   in Loop: Header=BB321_552 Depth=1
	s_delay_alu instid0(SALU_CYCLE_1) | instskip(SKIP_4) | instid1(VALU_DEP_3)
	s_or_b32 exec_lo, exec_lo, s11
	v_and_b32_e32 v29, 0xff, v27
	v_dual_mov_b32 v18, v27 :: v_dual_mov_b32 v28, 0
	v_mov_b32_e32 v50, 0
	s_mov_b32 s11, exec_lo
	v_cmpx_ne_u16_e32 0, v29
	s_cbranch_execz .LBB321_650
; %bb.645:                              ;   in Loop: Header=BB321_552 Depth=1
	v_bfrev_b32_e32 v50, 1
	s_mov_b32 s14, exec_lo
	v_cmpx_ne_u16_e32 0x80, v29
	s_cbranch_execz .LBB321_649
; %bb.646:                              ;   in Loop: Header=BB321_552 Depth=1
	v_and_b32_e32 v29, 0x7f, v27
	v_mov_b32_e32 v50, 0x7f800001
	s_mov_b32 s15, exec_lo
	s_delay_alu instid0(VALU_DEP_2)
	v_cmpx_ne_u32_e32 0x7f, v29
	s_cbranch_execz .LBB321_648
; %bb.647:                              ;   in Loop: Header=BB321_552 Depth=1
	v_dual_lshrrev_b32 v50, 3, v29 :: v_dual_bitop2_b32 v49, 7, v27 bitop3:0x40
	v_cmp_gt_u32_e64 s0, 8, v29
	s_delay_alu instid0(VALU_DEP_2) | instskip(NEXT) | instid1(VALU_DEP_1)
	v_clz_i32_u32_e32 v49, v49
	v_min_u32_e32 v49, 32, v49
	s_delay_alu instid0(VALU_DEP_1) | instskip(SKIP_1) | instid1(VALU_DEP_1)
	v_subrev_nc_u32_e32 v53, 28, v49
	v_sub_nc_u32_e32 v49, 29, v49
	v_cndmask_b32_e64 v29, v50, v49, s0
	s_delay_alu instid0(VALU_DEP_3) | instskip(NEXT) | instid1(VALU_DEP_1)
	v_cndmask_b32_e64 v49, 0, v53, s0
	v_lshlrev_b64_e32 v[54:55], v49, v[18:19]
	v_lshlrev_b32_e32 v49, 24, v18
	s_delay_alu instid0(VALU_DEP_4) | instskip(NEXT) | instid1(VALU_DEP_2)
	v_lshl_add_u32 v29, v29, 23, 0x3c000000
	v_and_b32_e32 v49, 0x80000000, v49
	s_delay_alu instid0(VALU_DEP_4) | instskip(NEXT) | instid1(VALU_DEP_1)
	v_lshlrev_b32_e32 v50, 20, v54
	v_and_b32_e32 v50, 0x700000, v50
	s_delay_alu instid0(VALU_DEP_1)
	v_or3_b32 v50, v50, v49, v29
.LBB321_648:                            ;   in Loop: Header=BB321_552 Depth=1
	s_or_b32 exec_lo, exec_lo, s15
.LBB321_649:                            ;   in Loop: Header=BB321_552 Depth=1
	s_delay_alu instid0(SALU_CYCLE_1)
	s_or_b32 exec_lo, exec_lo, s14
.LBB321_650:                            ;   in Loop: Header=BB321_552 Depth=1
	s_delay_alu instid0(SALU_CYCLE_1) | instskip(SKIP_2) | instid1(VALU_DEP_1)
	s_or_b32 exec_lo, exec_lo, s11
	v_lshrrev_b16 v29, 8, v18
	s_mov_b32 s11, exec_lo
	v_cmpx_ne_u16_e32 0, v29
	s_cbranch_execz .LBB321_658
; %bb.651:                              ;   in Loop: Header=BB321_552 Depth=1
	v_bfrev_b32_e32 v28, 1
	s_mov_b32 s14, exec_lo
	v_cmpx_ne_u16_e32 0x80, v29
	s_cbranch_execz .LBB321_657
; %bb.652:                              ;   in Loop: Header=BB321_552 Depth=1
	v_and_b32_e32 v29, 0xffff, v29
	v_mov_b32_e32 v28, 0x7f800001
	s_mov_b32 s15, exec_lo
	s_delay_alu instid0(VALU_DEP_2) | instskip(NEXT) | instid1(VALU_DEP_1)
	v_and_b32_e32 v53, 0x7f, v29
	v_cmpx_ne_u32_e32 0x7f, v53
	s_cbranch_execz .LBB321_656
; %bb.653:                              ;   in Loop: Header=BB321_552 Depth=1
	v_dual_mov_b32 v29, v19 :: v_dual_bitop2_b32 v28, 7, v29 bitop3:0x40
	v_lshrrev_b32_e32 v49, 3, v53
	s_mov_b32 s16, exec_lo
	v_cmpx_gt_u32_e32 8, v53
; %bb.654:                              ;   in Loop: Header=BB321_552 Depth=1
	s_delay_alu instid0(VALU_DEP_3) | instskip(NEXT) | instid1(VALU_DEP_1)
	v_clz_i32_u32_e32 v49, v28
	v_min_u32_e32 v49, 32, v49
	s_delay_alu instid0(VALU_DEP_1) | instskip(NEXT) | instid1(VALU_DEP_1)
	v_subrev_nc_u32_e32 v53, 28, v49
	v_lshlrev_b64_e32 v[28:29], v53, v[28:29]
	s_delay_alu instid0(VALU_DEP_1)
	v_dual_sub_nc_u32 v49, 29, v49 :: v_dual_bitop2_b32 v28, 7, v28 bitop3:0x40
; %bb.655:                              ;   in Loop: Header=BB321_552 Depth=1
	s_or_b32 exec_lo, exec_lo, s16
	s_delay_alu instid0(VALU_DEP_1) | instskip(NEXT) | instid1(VALU_DEP_2)
	v_dual_lshlrev_b32 v18, 16, v18 :: v_dual_lshlrev_b32 v28, 20, v28
	v_lshl_add_u32 v29, v49, 23, 0x3c000000
	s_delay_alu instid0(VALU_DEP_2) | instskip(NEXT) | instid1(VALU_DEP_1)
	v_and_b32_e32 v18, 0x80000000, v18
	v_or3_b32 v28, v28, v18, v29
.LBB321_656:                            ;   in Loop: Header=BB321_552 Depth=1
	s_or_b32 exec_lo, exec_lo, s15
.LBB321_657:                            ;   in Loop: Header=BB321_552 Depth=1
	s_delay_alu instid0(SALU_CYCLE_1)
	s_or_b32 exec_lo, exec_lo, s14
.LBB321_658:                            ;   in Loop: Header=BB321_552 Depth=1
	s_delay_alu instid0(SALU_CYCLE_1) | instskip(SKIP_3) | instid1(VALU_DEP_2)
	s_or_b32 exec_lo, exec_lo, s11
	v_dual_lshrrev_b32 v49, 16, v27 :: v_dual_mov_b32 v29, 0
	v_mov_b32_e32 v57, 0
	s_mov_b32 s11, exec_lo
	v_and_b32_e32 v18, 0xff, v49
	s_delay_alu instid0(VALU_DEP_1)
	v_cmpx_ne_u16_e32 0, v18
	s_cbranch_execz .LBB321_666
; %bb.659:                              ;   in Loop: Header=BB321_552 Depth=1
	v_bfrev_b32_e32 v57, 1
	s_mov_b32 s14, exec_lo
	v_cmpx_ne_u16_e32 0x80, v18
	s_cbranch_execz .LBB321_665
; %bb.660:                              ;   in Loop: Header=BB321_552 Depth=1
	v_bfe_u32 v54, v27, 16, 7
	v_mov_b32_e32 v57, 0x7f800001
	s_mov_b32 s15, exec_lo
	s_delay_alu instid0(VALU_DEP_2)
	v_cmpx_ne_u32_e32 0x7f, v54
	s_cbranch_execz .LBB321_664
; %bb.661:                              ;   in Loop: Header=BB321_552 Depth=1
	v_dual_lshrrev_b32 v53, 3, v54 :: v_dual_bitop2_b32 v18, 7, v49 bitop3:0x40
	s_mov_b32 s16, exec_lo
	v_cmpx_gt_u32_e32 8, v54
; %bb.662:                              ;   in Loop: Header=BB321_552 Depth=1
	s_delay_alu instid0(VALU_DEP_2) | instskip(NEXT) | instid1(VALU_DEP_1)
	v_clz_i32_u32_e32 v53, v18
	v_min_u32_e32 v53, 32, v53
	s_delay_alu instid0(VALU_DEP_1) | instskip(NEXT) | instid1(VALU_DEP_1)
	v_subrev_nc_u32_e32 v54, 28, v53
	v_lshlrev_b64_e32 v[54:55], v54, v[18:19]
	s_delay_alu instid0(VALU_DEP_1)
	v_dual_sub_nc_u32 v53, 29, v53 :: v_dual_bitop2_b32 v18, 7, v54 bitop3:0x40
; %bb.663:                              ;   in Loop: Header=BB321_552 Depth=1
	s_or_b32 exec_lo, exec_lo, s16
	s_delay_alu instid0(VALU_DEP_1) | instskip(NEXT) | instid1(VALU_DEP_2)
	v_dual_lshlrev_b32 v49, 24, v49 :: v_dual_lshlrev_b32 v18, 20, v18
	v_lshl_add_u32 v53, v53, 23, 0x3c000000
	s_delay_alu instid0(VALU_DEP_2) | instskip(NEXT) | instid1(VALU_DEP_1)
	v_and_b32_e32 v49, 0x80000000, v49
	v_or3_b32 v57, v18, v49, v53
.LBB321_664:                            ;   in Loop: Header=BB321_552 Depth=1
	s_or_b32 exec_lo, exec_lo, s15
.LBB321_665:                            ;   in Loop: Header=BB321_552 Depth=1
	s_delay_alu instid0(SALU_CYCLE_1)
	s_or_b32 exec_lo, exec_lo, s14
.LBB321_666:                            ;   in Loop: Header=BB321_552 Depth=1
	s_delay_alu instid0(SALU_CYCLE_1) | instskip(NEXT) | instid1(SALU_CYCLE_1)
	s_or_b32 exec_lo, exec_lo, s11
	s_mov_b32 s11, exec_lo
	v_cmpx_lt_u64_e64 s[2:3], v[26:27]
	s_cbranch_execz .LBB321_674
; %bb.667:                              ;   in Loop: Header=BB321_552 Depth=1
	v_lshrrev_b32_e32 v26, 24, v27
	v_bfrev_b32_e32 v29, 1
	s_mov_b32 s14, exec_lo
	s_delay_alu instid0(VALU_DEP_2)
	v_cmpx_ne_u32_e32 0x80, v26
	s_cbranch_execz .LBB321_673
; %bb.668:                              ;   in Loop: Header=BB321_552 Depth=1
	v_bfe_u32 v49, v27, 24, 7
	v_mov_b32_e32 v29, 0x7f800001
	s_mov_b32 s15, exec_lo
	s_delay_alu instid0(VALU_DEP_2)
	v_cmpx_ne_u32_e32 0x7f, v49
	s_cbranch_execz .LBB321_672
; %bb.669:                              ;   in Loop: Header=BB321_552 Depth=1
	v_dual_lshrrev_b32 v27, 3, v49 :: v_dual_bitop2_b32 v18, 7, v26 bitop3:0x40
	s_mov_b32 s16, exec_lo
	v_cmpx_gt_u32_e32 8, v49
; %bb.670:                              ;   in Loop: Header=BB321_552 Depth=1
	s_delay_alu instid0(VALU_DEP_2) | instskip(NEXT) | instid1(VALU_DEP_1)
	v_clz_i32_u32_e32 v27, v18
	v_min_u32_e32 v27, 32, v27
	s_delay_alu instid0(VALU_DEP_1) | instskip(NEXT) | instid1(VALU_DEP_1)
	v_subrev_nc_u32_e32 v29, 28, v27
	v_lshlrev_b64_e32 v[54:55], v29, v[18:19]
	s_delay_alu instid0(VALU_DEP_1)
	v_dual_sub_nc_u32 v27, 29, v27 :: v_dual_bitop2_b32 v18, 7, v54 bitop3:0x40
; %bb.671:                              ;   in Loop: Header=BB321_552 Depth=1
	s_or_b32 exec_lo, exec_lo, s16
	v_lshlrev_b32_e32 v26, 24, v26
	s_delay_alu instid0(VALU_DEP_2) | instskip(NEXT) | instid1(VALU_DEP_3)
	v_lshlrev_b32_e32 v18, 20, v18
	v_lshl_add_u32 v27, v27, 23, 0x3c000000
	s_delay_alu instid0(VALU_DEP_3) | instskip(NEXT) | instid1(VALU_DEP_1)
	v_and_b32_e32 v26, 0x80000000, v26
	v_or3_b32 v29, v18, v26, v27
.LBB321_672:                            ;   in Loop: Header=BB321_552 Depth=1
	s_or_b32 exec_lo, exec_lo, s15
.LBB321_673:                            ;   in Loop: Header=BB321_552 Depth=1
	s_delay_alu instid0(SALU_CYCLE_1)
	s_or_b32 exec_lo, exec_lo, s14
.LBB321_674:                            ;   in Loop: Header=BB321_552 Depth=1
	s_delay_alu instid0(SALU_CYCLE_1)
	s_or_b32 exec_lo, exec_lo, s11
	v_fma_mixlo_bf16 v49, s6, v28, 0
	v_fma_mixlo_bf16 v50, s6, v50, 0
	;; [unrolled: 1-line block ×8, first 2 shown]
	s_and_saveexec_b32 s11, vcc_lo
	s_cbranch_execz .LBB321_676
; %bb.675:                              ;   in Loop: Header=BB321_552 Depth=1
	v_cmp_gt_i32_e64 s0, s23, v42
	s_delay_alu instid0(VALU_DEP_1) | instskip(SKIP_1) | instid1(VALU_DEP_1)
	v_cndmask_b32_e64 v56, 0, v56, s0
	v_cmp_gt_i32_e64 s0, s23, v48
	v_cndmask_b32_e64 v55, 0, v55, s0
	v_cmp_gt_i32_e64 s0, s23, v47
	s_delay_alu instid0(VALU_DEP_1) | instskip(SKIP_1) | instid1(VALU_DEP_1)
	v_cndmask_b32_e64 v54, 0, v54, s0
	v_cmp_gt_i32_e64 s0, s23, v46
	v_cndmask_b32_e64 v53, 0, v53, s0
	;; [unrolled: 5-line block ×4, first 2 shown]
.LBB321_676:                            ;   in Loop: Header=BB321_552 Depth=1
	s_or_b32 exec_lo, exec_lo, s11
	global_load_b64 v[26:27], v[24:25], off offset:512
	v_dual_mov_b32 v1, 0 :: v_dual_mov_b32 v0, 0
	s_mov_b32 s11, exec_lo
	s_wait_loadcnt 0x0
	v_and_b32_e32 v18, 0xff, v26
	s_delay_alu instid0(VALU_DEP_1)
	v_cmpx_ne_u16_e32 0, v18
	s_cbranch_execz .LBB321_682
; %bb.677:                              ;   in Loop: Header=BB321_552 Depth=1
	v_bfrev_b32_e32 v0, 1
	s_mov_b32 s14, exec_lo
	v_cmpx_ne_u16_e32 0x80, v18
	s_cbranch_execz .LBB321_681
; %bb.678:                              ;   in Loop: Header=BB321_552 Depth=1
	v_and_b32_e32 v18, 0x7f, v26
	v_mov_b32_e32 v0, 0x7f800001
	s_mov_b32 s15, exec_lo
	s_delay_alu instid0(VALU_DEP_2)
	v_cmpx_ne_u32_e32 0x7f, v18
	s_cbranch_execz .LBB321_680
; %bb.679:                              ;   in Loop: Header=BB321_552 Depth=1
	v_cmp_gt_u32_e64 s0, 8, v18
	v_and_b32_e32 v0, 7, v26
	s_delay_alu instid0(VALU_DEP_1) | instskip(NEXT) | instid1(VALU_DEP_1)
	v_clz_i32_u32_e32 v0, v0
	v_min_u32_e32 v0, 32, v0
	v_lshrrev_b32_e32 v28, 3, v18
	s_delay_alu instid0(VALU_DEP_2) | instskip(NEXT) | instid1(VALU_DEP_1)
	v_subrev_nc_u32_e32 v29, 28, v0
	v_dual_sub_nc_u32 v0, 29, v0 :: v_dual_cndmask_b32 v18, 0, v29, s0
	s_delay_alu instid0(VALU_DEP_1) | instskip(NEXT) | instid1(VALU_DEP_2)
	v_cndmask_b32_e64 v0, v28, v0, s0
	v_lshlrev_b64_e32 v[28:29], v18, v[26:27]
	v_lshlrev_b32_e32 v18, 24, v26
	s_delay_alu instid0(VALU_DEP_3) | instskip(NEXT) | instid1(VALU_DEP_2)
	v_lshl_add_u32 v0, v0, 23, 0x3c000000
	v_and_b32_e32 v18, 0x80000000, v18
	s_delay_alu instid0(VALU_DEP_4) | instskip(NEXT) | instid1(VALU_DEP_1)
	v_lshlrev_b32_e32 v28, 20, v28
	v_and_b32_e32 v28, 0x700000, v28
	s_delay_alu instid0(VALU_DEP_1)
	v_or3_b32 v0, v28, v18, v0
.LBB321_680:                            ;   in Loop: Header=BB321_552 Depth=1
	s_or_b32 exec_lo, exec_lo, s15
.LBB321_681:                            ;   in Loop: Header=BB321_552 Depth=1
	s_delay_alu instid0(SALU_CYCLE_1)
	s_or_b32 exec_lo, exec_lo, s14
.LBB321_682:                            ;   in Loop: Header=BB321_552 Depth=1
	s_delay_alu instid0(SALU_CYCLE_1) | instskip(SKIP_2) | instid1(VALU_DEP_1)
	s_or_b32 exec_lo, exec_lo, s11
	v_lshrrev_b16 v18, 8, v26
	s_mov_b32 s11, exec_lo
	v_cmpx_ne_u16_e32 0, v18
	s_cbranch_execz .LBB321_690
; %bb.683:                              ;   in Loop: Header=BB321_552 Depth=1
	v_bfrev_b32_e32 v1, 1
	s_mov_b32 s14, exec_lo
	v_cmpx_ne_u16_e32 0x80, v18
	s_cbranch_execz .LBB321_689
; %bb.684:                              ;   in Loop: Header=BB321_552 Depth=1
	v_and_b32_e32 v18, 0xffff, v18
	v_mov_b32_e32 v1, 0x7f800001
	s_mov_b32 s15, exec_lo
	s_delay_alu instid0(VALU_DEP_2) | instskip(NEXT) | instid1(VALU_DEP_1)
	v_and_b32_e32 v28, 0x7f, v18
	v_cmpx_ne_u32_e32 0x7f, v28
	s_cbranch_execz .LBB321_688
; %bb.685:                              ;   in Loop: Header=BB321_552 Depth=1
	v_dual_lshrrev_b32 v1, 3, v28 :: v_dual_bitop2_b32 v18, 7, v18 bitop3:0x40
	s_mov_b32 s16, exec_lo
	v_cmpx_gt_u32_e32 8, v28
; %bb.686:                              ;   in Loop: Header=BB321_552 Depth=1
	s_delay_alu instid0(VALU_DEP_2) | instskip(NEXT) | instid1(VALU_DEP_1)
	v_clz_i32_u32_e32 v1, v18
	v_min_u32_e32 v1, 32, v1
	s_delay_alu instid0(VALU_DEP_1) | instskip(NEXT) | instid1(VALU_DEP_1)
	v_subrev_nc_u32_e32 v28, 28, v1
	v_lshlrev_b64_e32 v[28:29], v28, v[18:19]
	s_delay_alu instid0(VALU_DEP_1)
	v_dual_sub_nc_u32 v1, 29, v1 :: v_dual_bitop2_b32 v18, 7, v28 bitop3:0x40
; %bb.687:                              ;   in Loop: Header=BB321_552 Depth=1
	s_or_b32 exec_lo, exec_lo, s16
	v_lshlrev_b32_e32 v28, 16, v26
	s_delay_alu instid0(VALU_DEP_2) | instskip(NEXT) | instid1(VALU_DEP_3)
	v_lshlrev_b32_e32 v18, 20, v18
	v_lshl_add_u32 v1, v1, 23, 0x3c000000
	s_delay_alu instid0(VALU_DEP_3) | instskip(NEXT) | instid1(VALU_DEP_1)
	v_and_b32_e32 v28, 0x80000000, v28
	v_or3_b32 v1, v18, v28, v1
.LBB321_688:                            ;   in Loop: Header=BB321_552 Depth=1
	s_or_b32 exec_lo, exec_lo, s15
.LBB321_689:                            ;   in Loop: Header=BB321_552 Depth=1
	s_delay_alu instid0(SALU_CYCLE_1)
	s_or_b32 exec_lo, exec_lo, s14
.LBB321_690:                            ;   in Loop: Header=BB321_552 Depth=1
	s_delay_alu instid0(SALU_CYCLE_1) | instskip(SKIP_3) | instid1(VALU_DEP_2)
	s_or_b32 exec_lo, exec_lo, s11
	v_dual_lshrrev_b32 v28, 16, v26 :: v_dual_mov_b32 v58, 0
	v_mov_b32_e32 v57, 0
	s_mov_b32 s11, exec_lo
	v_and_b32_e32 v18, 0xff, v28
	s_delay_alu instid0(VALU_DEP_1)
	v_cmpx_ne_u16_e32 0, v18
	s_cbranch_execz .LBB321_698
; %bb.691:                              ;   in Loop: Header=BB321_552 Depth=1
	v_bfrev_b32_e32 v57, 1
	s_mov_b32 s14, exec_lo
	v_cmpx_ne_u16_e32 0x80, v18
	s_cbranch_execz .LBB321_697
; %bb.692:                              ;   in Loop: Header=BB321_552 Depth=1
	v_bfe_u32 v59, v26, 16, 7
	v_mov_b32_e32 v57, 0x7f800001
	s_mov_b32 s15, exec_lo
	s_delay_alu instid0(VALU_DEP_2)
	v_cmpx_ne_u32_e32 0x7f, v59
	s_cbranch_execz .LBB321_696
; %bb.693:                              ;   in Loop: Header=BB321_552 Depth=1
	v_dual_lshrrev_b32 v29, 3, v59 :: v_dual_bitop2_b32 v18, 7, v28 bitop3:0x40
	s_mov_b32 s16, exec_lo
	v_cmpx_gt_u32_e32 8, v59
; %bb.694:                              ;   in Loop: Header=BB321_552 Depth=1
	s_delay_alu instid0(VALU_DEP_2) | instskip(NEXT) | instid1(VALU_DEP_1)
	v_clz_i32_u32_e32 v29, v18
	v_min_u32_e32 v29, 32, v29
	s_delay_alu instid0(VALU_DEP_1) | instskip(NEXT) | instid1(VALU_DEP_1)
	v_subrev_nc_u32_e32 v57, 28, v29
	v_lshlrev_b64_e32 v[60:61], v57, v[18:19]
	s_delay_alu instid0(VALU_DEP_1)
	v_dual_sub_nc_u32 v29, 29, v29 :: v_dual_bitop2_b32 v18, 7, v60 bitop3:0x40
; %bb.695:                              ;   in Loop: Header=BB321_552 Depth=1
	s_or_b32 exec_lo, exec_lo, s16
	s_delay_alu instid0(VALU_DEP_1) | instskip(NEXT) | instid1(VALU_DEP_2)
	v_dual_lshlrev_b32 v28, 24, v28 :: v_dual_lshlrev_b32 v18, 20, v18
	v_lshl_add_u32 v29, v29, 23, 0x3c000000
	s_delay_alu instid0(VALU_DEP_2) | instskip(NEXT) | instid1(VALU_DEP_1)
	v_and_b32_e32 v28, 0x80000000, v28
	v_or3_b32 v57, v18, v28, v29
.LBB321_696:                            ;   in Loop: Header=BB321_552 Depth=1
	s_or_b32 exec_lo, exec_lo, s15
.LBB321_697:                            ;   in Loop: Header=BB321_552 Depth=1
	s_delay_alu instid0(SALU_CYCLE_1)
	s_or_b32 exec_lo, exec_lo, s14
.LBB321_698:                            ;   in Loop: Header=BB321_552 Depth=1
	s_delay_alu instid0(SALU_CYCLE_1) | instskip(NEXT) | instid1(SALU_CYCLE_1)
	s_or_b32 exec_lo, exec_lo, s11
	s_mov_b32 s11, exec_lo
	v_cmpx_lt_u32_e32 0xffffff, v26
	s_cbranch_execz .LBB321_706
; %bb.699:                              ;   in Loop: Header=BB321_552 Depth=1
	v_lshrrev_b32_e32 v28, 24, v26
	v_bfrev_b32_e32 v58, 1
	s_mov_b32 s14, exec_lo
	s_delay_alu instid0(VALU_DEP_2)
	v_cmpx_ne_u32_e32 0x80, v28
	s_cbranch_execz .LBB321_705
; %bb.700:                              ;   in Loop: Header=BB321_552 Depth=1
	v_bfe_u32 v59, v26, 24, 7
	v_mov_b32_e32 v58, 0x7f800001
	s_mov_b32 s15, exec_lo
	s_delay_alu instid0(VALU_DEP_2)
	v_cmpx_ne_u32_e32 0x7f, v59
	s_cbranch_execz .LBB321_704
; %bb.701:                              ;   in Loop: Header=BB321_552 Depth=1
	v_dual_lshrrev_b32 v29, 3, v59 :: v_dual_bitop2_b32 v18, 7, v28 bitop3:0x40
	s_mov_b32 s16, exec_lo
	v_cmpx_gt_u32_e32 8, v59
; %bb.702:                              ;   in Loop: Header=BB321_552 Depth=1
	s_delay_alu instid0(VALU_DEP_2) | instskip(NEXT) | instid1(VALU_DEP_1)
	v_clz_i32_u32_e32 v29, v18
	v_min_u32_e32 v29, 32, v29
	s_delay_alu instid0(VALU_DEP_1) | instskip(NEXT) | instid1(VALU_DEP_1)
	v_subrev_nc_u32_e32 v58, 28, v29
	v_lshlrev_b64_e32 v[58:59], v58, v[18:19]
	s_delay_alu instid0(VALU_DEP_1)
	v_dual_sub_nc_u32 v29, 29, v29 :: v_dual_bitop2_b32 v18, 7, v58 bitop3:0x40
; %bb.703:                              ;   in Loop: Header=BB321_552 Depth=1
	s_or_b32 exec_lo, exec_lo, s16
	s_delay_alu instid0(VALU_DEP_1) | instskip(NEXT) | instid1(VALU_DEP_2)
	v_dual_lshlrev_b32 v28, 24, v28 :: v_dual_lshlrev_b32 v18, 20, v18
	v_lshl_add_u32 v29, v29, 23, 0x3c000000
	s_delay_alu instid0(VALU_DEP_2) | instskip(NEXT) | instid1(VALU_DEP_1)
	v_and_b32_e32 v28, 0x80000000, v28
	v_or3_b32 v58, v18, v28, v29
.LBB321_704:                            ;   in Loop: Header=BB321_552 Depth=1
	s_or_b32 exec_lo, exec_lo, s15
.LBB321_705:                            ;   in Loop: Header=BB321_552 Depth=1
	s_delay_alu instid0(SALU_CYCLE_1)
	s_or_b32 exec_lo, exec_lo, s14
.LBB321_706:                            ;   in Loop: Header=BB321_552 Depth=1
	s_delay_alu instid0(SALU_CYCLE_1) | instskip(SKIP_4) | instid1(VALU_DEP_3)
	s_or_b32 exec_lo, exec_lo, s11
	v_and_b32_e32 v29, 0xff, v27
	v_dual_mov_b32 v18, v27 :: v_dual_mov_b32 v28, 0
	v_mov_b32_e32 v60, 0
	s_mov_b32 s11, exec_lo
	v_cmpx_ne_u16_e32 0, v29
	s_cbranch_execz .LBB321_712
; %bb.707:                              ;   in Loop: Header=BB321_552 Depth=1
	v_bfrev_b32_e32 v60, 1
	s_mov_b32 s14, exec_lo
	v_cmpx_ne_u16_e32 0x80, v29
	s_cbranch_execz .LBB321_711
; %bb.708:                              ;   in Loop: Header=BB321_552 Depth=1
	v_and_b32_e32 v29, 0x7f, v27
	v_mov_b32_e32 v60, 0x7f800001
	s_mov_b32 s15, exec_lo
	s_delay_alu instid0(VALU_DEP_2)
	v_cmpx_ne_u32_e32 0x7f, v29
	s_cbranch_execz .LBB321_710
; %bb.709:                              ;   in Loop: Header=BB321_552 Depth=1
	v_dual_lshrrev_b32 v60, 3, v29 :: v_dual_bitop2_b32 v59, 7, v27 bitop3:0x40
	v_cmp_gt_u32_e64 s0, 8, v29
	s_delay_alu instid0(VALU_DEP_2) | instskip(NEXT) | instid1(VALU_DEP_1)
	v_clz_i32_u32_e32 v59, v59
	v_min_u32_e32 v59, 32, v59
	s_delay_alu instid0(VALU_DEP_1) | instskip(SKIP_1) | instid1(VALU_DEP_1)
	v_subrev_nc_u32_e32 v61, 28, v59
	v_sub_nc_u32_e32 v59, 29, v59
	v_dual_cndmask_b32 v29, v60, v59, s0 :: v_dual_cndmask_b32 v59, 0, v61, s0
	s_delay_alu instid0(VALU_DEP_1) | instskip(NEXT) | instid1(VALU_DEP_2)
	v_lshl_add_u32 v29, v29, 23, 0x3c000000
	v_lshlrev_b64_e32 v[60:61], v59, v[18:19]
	v_lshlrev_b32_e32 v59, 24, v18
	s_delay_alu instid0(VALU_DEP_1) | instskip(NEXT) | instid1(VALU_DEP_3)
	v_and_b32_e32 v59, 0x80000000, v59
	v_lshlrev_b32_e32 v60, 20, v60
	s_delay_alu instid0(VALU_DEP_1) | instskip(NEXT) | instid1(VALU_DEP_1)
	v_and_b32_e32 v60, 0x700000, v60
	v_or3_b32 v60, v60, v59, v29
.LBB321_710:                            ;   in Loop: Header=BB321_552 Depth=1
	s_or_b32 exec_lo, exec_lo, s15
.LBB321_711:                            ;   in Loop: Header=BB321_552 Depth=1
	s_delay_alu instid0(SALU_CYCLE_1)
	s_or_b32 exec_lo, exec_lo, s14
.LBB321_712:                            ;   in Loop: Header=BB321_552 Depth=1
	s_delay_alu instid0(SALU_CYCLE_1) | instskip(SKIP_2) | instid1(VALU_DEP_1)
	s_or_b32 exec_lo, exec_lo, s11
	v_lshrrev_b16 v29, 8, v18
	s_mov_b32 s11, exec_lo
	v_cmpx_ne_u16_e32 0, v29
	s_cbranch_execz .LBB321_720
; %bb.713:                              ;   in Loop: Header=BB321_552 Depth=1
	v_bfrev_b32_e32 v28, 1
	s_mov_b32 s14, exec_lo
	v_cmpx_ne_u16_e32 0x80, v29
	s_cbranch_execz .LBB321_719
; %bb.714:                              ;   in Loop: Header=BB321_552 Depth=1
	v_and_b32_e32 v29, 0xffff, v29
	v_mov_b32_e32 v28, 0x7f800001
	s_mov_b32 s15, exec_lo
	s_delay_alu instid0(VALU_DEP_2) | instskip(NEXT) | instid1(VALU_DEP_1)
	v_and_b32_e32 v61, 0x7f, v29
	v_cmpx_ne_u32_e32 0x7f, v61
	s_cbranch_execz .LBB321_718
; %bb.715:                              ;   in Loop: Header=BB321_552 Depth=1
	v_dual_mov_b32 v29, v19 :: v_dual_bitop2_b32 v28, 7, v29 bitop3:0x40
	v_lshrrev_b32_e32 v59, 3, v61
	s_mov_b32 s16, exec_lo
	v_cmpx_gt_u32_e32 8, v61
; %bb.716:                              ;   in Loop: Header=BB321_552 Depth=1
	s_delay_alu instid0(VALU_DEP_3) | instskip(NEXT) | instid1(VALU_DEP_1)
	v_clz_i32_u32_e32 v59, v28
	v_min_u32_e32 v59, 32, v59
	s_delay_alu instid0(VALU_DEP_1) | instskip(NEXT) | instid1(VALU_DEP_1)
	v_subrev_nc_u32_e32 v61, 28, v59
	v_lshlrev_b64_e32 v[28:29], v61, v[28:29]
	s_delay_alu instid0(VALU_DEP_1)
	v_dual_sub_nc_u32 v59, 29, v59 :: v_dual_bitop2_b32 v28, 7, v28 bitop3:0x40
; %bb.717:                              ;   in Loop: Header=BB321_552 Depth=1
	s_or_b32 exec_lo, exec_lo, s16
	s_delay_alu instid0(VALU_DEP_1) | instskip(NEXT) | instid1(VALU_DEP_2)
	v_dual_lshlrev_b32 v18, 16, v18 :: v_dual_lshlrev_b32 v28, 20, v28
	v_lshl_add_u32 v29, v59, 23, 0x3c000000
	s_delay_alu instid0(VALU_DEP_2) | instskip(NEXT) | instid1(VALU_DEP_1)
	v_and_b32_e32 v18, 0x80000000, v18
	v_or3_b32 v28, v28, v18, v29
.LBB321_718:                            ;   in Loop: Header=BB321_552 Depth=1
	s_or_b32 exec_lo, exec_lo, s15
.LBB321_719:                            ;   in Loop: Header=BB321_552 Depth=1
	s_delay_alu instid0(SALU_CYCLE_1)
	s_or_b32 exec_lo, exec_lo, s14
.LBB321_720:                            ;   in Loop: Header=BB321_552 Depth=1
	s_delay_alu instid0(SALU_CYCLE_1) | instskip(SKIP_3) | instid1(VALU_DEP_2)
	s_or_b32 exec_lo, exec_lo, s11
	v_dual_lshrrev_b32 v59, 16, v27 :: v_dual_mov_b32 v29, 0
	v_mov_b32_e32 v65, 0
	s_mov_b32 s11, exec_lo
	v_and_b32_e32 v18, 0xff, v59
	s_delay_alu instid0(VALU_DEP_1)
	v_cmpx_ne_u16_e32 0, v18
	s_cbranch_execz .LBB321_728
; %bb.721:                              ;   in Loop: Header=BB321_552 Depth=1
	v_bfrev_b32_e32 v65, 1
	s_mov_b32 s14, exec_lo
	v_cmpx_ne_u16_e32 0x80, v18
	s_cbranch_execz .LBB321_727
; %bb.722:                              ;   in Loop: Header=BB321_552 Depth=1
	v_bfe_u32 v62, v27, 16, 7
	v_mov_b32_e32 v65, 0x7f800001
	s_mov_b32 s15, exec_lo
	s_delay_alu instid0(VALU_DEP_2)
	v_cmpx_ne_u32_e32 0x7f, v62
	s_cbranch_execz .LBB321_726
; %bb.723:                              ;   in Loop: Header=BB321_552 Depth=1
	v_dual_lshrrev_b32 v61, 3, v62 :: v_dual_bitop2_b32 v18, 7, v59 bitop3:0x40
	s_mov_b32 s16, exec_lo
	v_cmpx_gt_u32_e32 8, v62
; %bb.724:                              ;   in Loop: Header=BB321_552 Depth=1
	s_delay_alu instid0(VALU_DEP_2) | instskip(NEXT) | instid1(VALU_DEP_1)
	v_clz_i32_u32_e32 v61, v18
	v_min_u32_e32 v61, 32, v61
	s_delay_alu instid0(VALU_DEP_1) | instskip(NEXT) | instid1(VALU_DEP_1)
	v_subrev_nc_u32_e32 v62, 28, v61
	v_lshlrev_b64_e32 v[62:63], v62, v[18:19]
	s_delay_alu instid0(VALU_DEP_1)
	v_dual_sub_nc_u32 v61, 29, v61 :: v_dual_bitop2_b32 v18, 7, v62 bitop3:0x40
; %bb.725:                              ;   in Loop: Header=BB321_552 Depth=1
	s_or_b32 exec_lo, exec_lo, s16
	s_delay_alu instid0(VALU_DEP_1) | instskip(NEXT) | instid1(VALU_DEP_2)
	v_dual_lshlrev_b32 v59, 24, v59 :: v_dual_lshlrev_b32 v18, 20, v18
	v_lshl_add_u32 v61, v61, 23, 0x3c000000
	s_delay_alu instid0(VALU_DEP_2) | instskip(NEXT) | instid1(VALU_DEP_1)
	v_and_b32_e32 v59, 0x80000000, v59
	v_or3_b32 v65, v18, v59, v61
.LBB321_726:                            ;   in Loop: Header=BB321_552 Depth=1
	s_or_b32 exec_lo, exec_lo, s15
.LBB321_727:                            ;   in Loop: Header=BB321_552 Depth=1
	s_delay_alu instid0(SALU_CYCLE_1)
	s_or_b32 exec_lo, exec_lo, s14
.LBB321_728:                            ;   in Loop: Header=BB321_552 Depth=1
	s_delay_alu instid0(SALU_CYCLE_1) | instskip(NEXT) | instid1(SALU_CYCLE_1)
	s_or_b32 exec_lo, exec_lo, s11
	s_mov_b32 s11, exec_lo
	v_cmpx_lt_u64_e64 s[2:3], v[26:27]
	s_cbranch_execz .LBB321_736
; %bb.729:                              ;   in Loop: Header=BB321_552 Depth=1
	v_lshrrev_b32_e32 v26, 24, v27
	v_bfrev_b32_e32 v29, 1
	s_mov_b32 s14, exec_lo
	s_delay_alu instid0(VALU_DEP_2)
	v_cmpx_ne_u32_e32 0x80, v26
	s_cbranch_execz .LBB321_735
; %bb.730:                              ;   in Loop: Header=BB321_552 Depth=1
	v_bfe_u32 v59, v27, 24, 7
	v_mov_b32_e32 v29, 0x7f800001
	s_mov_b32 s15, exec_lo
	s_delay_alu instid0(VALU_DEP_2)
	v_cmpx_ne_u32_e32 0x7f, v59
	s_cbranch_execz .LBB321_734
; %bb.731:                              ;   in Loop: Header=BB321_552 Depth=1
	v_dual_lshrrev_b32 v27, 3, v59 :: v_dual_bitop2_b32 v18, 7, v26 bitop3:0x40
	s_mov_b32 s16, exec_lo
	v_cmpx_gt_u32_e32 8, v59
; %bb.732:                              ;   in Loop: Header=BB321_552 Depth=1
	s_delay_alu instid0(VALU_DEP_2) | instskip(NEXT) | instid1(VALU_DEP_1)
	v_clz_i32_u32_e32 v27, v18
	v_min_u32_e32 v27, 32, v27
	s_delay_alu instid0(VALU_DEP_1) | instskip(NEXT) | instid1(VALU_DEP_1)
	v_subrev_nc_u32_e32 v29, 28, v27
	v_lshlrev_b64_e32 v[62:63], v29, v[18:19]
	s_delay_alu instid0(VALU_DEP_1)
	v_dual_sub_nc_u32 v27, 29, v27 :: v_dual_bitop2_b32 v18, 7, v62 bitop3:0x40
; %bb.733:                              ;   in Loop: Header=BB321_552 Depth=1
	s_or_b32 exec_lo, exec_lo, s16
	v_lshlrev_b32_e32 v26, 24, v26
	s_delay_alu instid0(VALU_DEP_2) | instskip(NEXT) | instid1(VALU_DEP_3)
	v_lshlrev_b32_e32 v18, 20, v18
	v_lshl_add_u32 v27, v27, 23, 0x3c000000
	s_delay_alu instid0(VALU_DEP_3) | instskip(NEXT) | instid1(VALU_DEP_1)
	v_and_b32_e32 v26, 0x80000000, v26
	v_or3_b32 v29, v18, v26, v27
.LBB321_734:                            ;   in Loop: Header=BB321_552 Depth=1
	s_or_b32 exec_lo, exec_lo, s15
.LBB321_735:                            ;   in Loop: Header=BB321_552 Depth=1
	s_delay_alu instid0(SALU_CYCLE_1)
	s_or_b32 exec_lo, exec_lo, s14
.LBB321_736:                            ;   in Loop: Header=BB321_552 Depth=1
	s_delay_alu instid0(SALU_CYCLE_1)
	s_or_b32 exec_lo, exec_lo, s11
	v_fma_mixlo_bf16 v59, s6, v28, 0
	v_fma_mixlo_bf16 v60, s6, v60, 0
	;; [unrolled: 1-line block ×8, first 2 shown]
	s_and_saveexec_b32 s11, vcc_lo
	s_cbranch_execz .LBB321_738
; %bb.737:                              ;   in Loop: Header=BB321_552 Depth=1
	v_cmp_gt_i32_e64 s0, s23, v42
	s_delay_alu instid0(VALU_DEP_1) | instskip(SKIP_1) | instid1(VALU_DEP_1)
	v_cndmask_b32_e64 v64, 0, v64, s0
	v_cmp_gt_i32_e64 s0, s23, v48
	v_cndmask_b32_e64 v63, 0, v63, s0
	v_cmp_gt_i32_e64 s0, s23, v47
	s_delay_alu instid0(VALU_DEP_1) | instskip(SKIP_1) | instid1(VALU_DEP_1)
	v_cndmask_b32_e64 v62, 0, v62, s0
	v_cmp_gt_i32_e64 s0, s23, v46
	v_cndmask_b32_e64 v61, 0, v61, s0
	;; [unrolled: 5-line block ×4, first 2 shown]
.LBB321_738:                            ;   in Loop: Header=BB321_552 Depth=1
	s_or_b32 exec_lo, exec_lo, s11
	global_load_b64 v[26:27], v[24:25], off offset:768
	v_dual_mov_b32 v1, 0 :: v_dual_mov_b32 v0, 0
	s_mov_b32 s11, exec_lo
	s_wait_loadcnt 0x0
	v_and_b32_e32 v18, 0xff, v26
	s_delay_alu instid0(VALU_DEP_1)
	v_cmpx_ne_u16_e32 0, v18
	s_cbranch_execz .LBB321_744
; %bb.739:                              ;   in Loop: Header=BB321_552 Depth=1
	v_bfrev_b32_e32 v0, 1
	s_mov_b32 s14, exec_lo
	v_cmpx_ne_u16_e32 0x80, v18
	s_cbranch_execz .LBB321_743
; %bb.740:                              ;   in Loop: Header=BB321_552 Depth=1
	v_and_b32_e32 v18, 0x7f, v26
	v_mov_b32_e32 v0, 0x7f800001
	s_mov_b32 s15, exec_lo
	s_delay_alu instid0(VALU_DEP_2)
	v_cmpx_ne_u32_e32 0x7f, v18
	s_cbranch_execz .LBB321_742
; %bb.741:                              ;   in Loop: Header=BB321_552 Depth=1
	v_cmp_gt_u32_e64 s0, 8, v18
	v_and_b32_e32 v0, 7, v26
	s_delay_alu instid0(VALU_DEP_1) | instskip(NEXT) | instid1(VALU_DEP_1)
	v_clz_i32_u32_e32 v0, v0
	v_min_u32_e32 v0, 32, v0
	v_lshrrev_b32_e32 v28, 3, v18
	s_delay_alu instid0(VALU_DEP_2) | instskip(NEXT) | instid1(VALU_DEP_1)
	v_subrev_nc_u32_e32 v29, 28, v0
	v_dual_sub_nc_u32 v0, 29, v0 :: v_dual_cndmask_b32 v18, 0, v29, s0
	s_delay_alu instid0(VALU_DEP_1) | instskip(NEXT) | instid1(VALU_DEP_2)
	v_cndmask_b32_e64 v0, v28, v0, s0
	v_lshlrev_b64_e32 v[28:29], v18, v[26:27]
	v_lshlrev_b32_e32 v18, 24, v26
	s_delay_alu instid0(VALU_DEP_3) | instskip(NEXT) | instid1(VALU_DEP_2)
	v_lshl_add_u32 v0, v0, 23, 0x3c000000
	v_and_b32_e32 v18, 0x80000000, v18
	s_delay_alu instid0(VALU_DEP_4) | instskip(NEXT) | instid1(VALU_DEP_1)
	v_lshlrev_b32_e32 v28, 20, v28
	v_and_b32_e32 v28, 0x700000, v28
	s_delay_alu instid0(VALU_DEP_1)
	v_or3_b32 v0, v28, v18, v0
.LBB321_742:                            ;   in Loop: Header=BB321_552 Depth=1
	s_or_b32 exec_lo, exec_lo, s15
.LBB321_743:                            ;   in Loop: Header=BB321_552 Depth=1
	s_delay_alu instid0(SALU_CYCLE_1)
	s_or_b32 exec_lo, exec_lo, s14
.LBB321_744:                            ;   in Loop: Header=BB321_552 Depth=1
	s_delay_alu instid0(SALU_CYCLE_1) | instskip(SKIP_2) | instid1(VALU_DEP_1)
	s_or_b32 exec_lo, exec_lo, s11
	v_lshrrev_b16 v18, 8, v26
	s_mov_b32 s11, exec_lo
	v_cmpx_ne_u16_e32 0, v18
	s_cbranch_execz .LBB321_752
; %bb.745:                              ;   in Loop: Header=BB321_552 Depth=1
	v_bfrev_b32_e32 v1, 1
	s_mov_b32 s14, exec_lo
	v_cmpx_ne_u16_e32 0x80, v18
	s_cbranch_execz .LBB321_751
; %bb.746:                              ;   in Loop: Header=BB321_552 Depth=1
	v_and_b32_e32 v18, 0xffff, v18
	v_mov_b32_e32 v1, 0x7f800001
	s_mov_b32 s15, exec_lo
	s_delay_alu instid0(VALU_DEP_2) | instskip(NEXT) | instid1(VALU_DEP_1)
	v_and_b32_e32 v28, 0x7f, v18
	v_cmpx_ne_u32_e32 0x7f, v28
	s_cbranch_execz .LBB321_750
; %bb.747:                              ;   in Loop: Header=BB321_552 Depth=1
	v_dual_lshrrev_b32 v1, 3, v28 :: v_dual_bitop2_b32 v18, 7, v18 bitop3:0x40
	s_mov_b32 s16, exec_lo
	v_cmpx_gt_u32_e32 8, v28
; %bb.748:                              ;   in Loop: Header=BB321_552 Depth=1
	s_delay_alu instid0(VALU_DEP_2) | instskip(NEXT) | instid1(VALU_DEP_1)
	v_clz_i32_u32_e32 v1, v18
	v_min_u32_e32 v1, 32, v1
	s_delay_alu instid0(VALU_DEP_1) | instskip(NEXT) | instid1(VALU_DEP_1)
	v_subrev_nc_u32_e32 v28, 28, v1
	v_lshlrev_b64_e32 v[28:29], v28, v[18:19]
	s_delay_alu instid0(VALU_DEP_1)
	v_dual_sub_nc_u32 v1, 29, v1 :: v_dual_bitop2_b32 v18, 7, v28 bitop3:0x40
; %bb.749:                              ;   in Loop: Header=BB321_552 Depth=1
	s_or_b32 exec_lo, exec_lo, s16
	v_lshlrev_b32_e32 v28, 16, v26
	s_delay_alu instid0(VALU_DEP_2) | instskip(NEXT) | instid1(VALU_DEP_3)
	v_lshlrev_b32_e32 v18, 20, v18
	v_lshl_add_u32 v1, v1, 23, 0x3c000000
	s_delay_alu instid0(VALU_DEP_3) | instskip(NEXT) | instid1(VALU_DEP_1)
	v_and_b32_e32 v28, 0x80000000, v28
	v_or3_b32 v1, v18, v28, v1
.LBB321_750:                            ;   in Loop: Header=BB321_552 Depth=1
	s_or_b32 exec_lo, exec_lo, s15
.LBB321_751:                            ;   in Loop: Header=BB321_552 Depth=1
	s_delay_alu instid0(SALU_CYCLE_1)
	s_or_b32 exec_lo, exec_lo, s14
.LBB321_752:                            ;   in Loop: Header=BB321_552 Depth=1
	s_delay_alu instid0(SALU_CYCLE_1) | instskip(SKIP_3) | instid1(VALU_DEP_2)
	s_or_b32 exec_lo, exec_lo, s11
	v_dual_lshrrev_b32 v28, 16, v26 :: v_dual_mov_b32 v66, 0
	v_mov_b32_e32 v65, 0
	s_mov_b32 s11, exec_lo
	v_and_b32_e32 v18, 0xff, v28
	s_delay_alu instid0(VALU_DEP_1)
	v_cmpx_ne_u16_e32 0, v18
	s_cbranch_execz .LBB321_760
; %bb.753:                              ;   in Loop: Header=BB321_552 Depth=1
	v_bfrev_b32_e32 v65, 1
	s_mov_b32 s14, exec_lo
	v_cmpx_ne_u16_e32 0x80, v18
	s_cbranch_execz .LBB321_759
; %bb.754:                              ;   in Loop: Header=BB321_552 Depth=1
	v_bfe_u32 v67, v26, 16, 7
	v_mov_b32_e32 v65, 0x7f800001
	s_mov_b32 s15, exec_lo
	s_delay_alu instid0(VALU_DEP_2)
	v_cmpx_ne_u32_e32 0x7f, v67
	s_cbranch_execz .LBB321_758
; %bb.755:                              ;   in Loop: Header=BB321_552 Depth=1
	v_dual_lshrrev_b32 v29, 3, v67 :: v_dual_bitop2_b32 v18, 7, v28 bitop3:0x40
	s_mov_b32 s16, exec_lo
	v_cmpx_gt_u32_e32 8, v67
; %bb.756:                              ;   in Loop: Header=BB321_552 Depth=1
	s_delay_alu instid0(VALU_DEP_2) | instskip(NEXT) | instid1(VALU_DEP_1)
	v_clz_i32_u32_e32 v29, v18
	v_min_u32_e32 v29, 32, v29
	s_delay_alu instid0(VALU_DEP_1) | instskip(NEXT) | instid1(VALU_DEP_1)
	v_subrev_nc_u32_e32 v65, 28, v29
	v_lshlrev_b64_e32 v[68:69], v65, v[18:19]
	s_delay_alu instid0(VALU_DEP_1)
	v_dual_sub_nc_u32 v29, 29, v29 :: v_dual_bitop2_b32 v18, 7, v68 bitop3:0x40
; %bb.757:                              ;   in Loop: Header=BB321_552 Depth=1
	s_or_b32 exec_lo, exec_lo, s16
	s_delay_alu instid0(VALU_DEP_1) | instskip(NEXT) | instid1(VALU_DEP_2)
	v_dual_lshlrev_b32 v28, 24, v28 :: v_dual_lshlrev_b32 v18, 20, v18
	v_lshl_add_u32 v29, v29, 23, 0x3c000000
	s_delay_alu instid0(VALU_DEP_2) | instskip(NEXT) | instid1(VALU_DEP_1)
	v_and_b32_e32 v28, 0x80000000, v28
	v_or3_b32 v65, v18, v28, v29
.LBB321_758:                            ;   in Loop: Header=BB321_552 Depth=1
	s_or_b32 exec_lo, exec_lo, s15
.LBB321_759:                            ;   in Loop: Header=BB321_552 Depth=1
	s_delay_alu instid0(SALU_CYCLE_1)
	s_or_b32 exec_lo, exec_lo, s14
.LBB321_760:                            ;   in Loop: Header=BB321_552 Depth=1
	s_delay_alu instid0(SALU_CYCLE_1) | instskip(NEXT) | instid1(SALU_CYCLE_1)
	s_or_b32 exec_lo, exec_lo, s11
	s_mov_b32 s11, exec_lo
	v_cmpx_lt_u32_e32 0xffffff, v26
	s_cbranch_execz .LBB321_768
; %bb.761:                              ;   in Loop: Header=BB321_552 Depth=1
	v_lshrrev_b32_e32 v28, 24, v26
	v_bfrev_b32_e32 v66, 1
	s_mov_b32 s14, exec_lo
	s_delay_alu instid0(VALU_DEP_2)
	v_cmpx_ne_u32_e32 0x80, v28
	s_cbranch_execz .LBB321_767
; %bb.762:                              ;   in Loop: Header=BB321_552 Depth=1
	v_bfe_u32 v67, v26, 24, 7
	v_mov_b32_e32 v66, 0x7f800001
	s_mov_b32 s15, exec_lo
	s_delay_alu instid0(VALU_DEP_2)
	v_cmpx_ne_u32_e32 0x7f, v67
	s_cbranch_execz .LBB321_766
; %bb.763:                              ;   in Loop: Header=BB321_552 Depth=1
	v_dual_lshrrev_b32 v29, 3, v67 :: v_dual_bitop2_b32 v18, 7, v28 bitop3:0x40
	s_mov_b32 s16, exec_lo
	v_cmpx_gt_u32_e32 8, v67
; %bb.764:                              ;   in Loop: Header=BB321_552 Depth=1
	s_delay_alu instid0(VALU_DEP_2) | instskip(NEXT) | instid1(VALU_DEP_1)
	v_clz_i32_u32_e32 v29, v18
	v_min_u32_e32 v29, 32, v29
	s_delay_alu instid0(VALU_DEP_1) | instskip(NEXT) | instid1(VALU_DEP_1)
	v_subrev_nc_u32_e32 v66, 28, v29
	v_lshlrev_b64_e32 v[66:67], v66, v[18:19]
	s_delay_alu instid0(VALU_DEP_1)
	v_dual_sub_nc_u32 v29, 29, v29 :: v_dual_bitop2_b32 v18, 7, v66 bitop3:0x40
; %bb.765:                              ;   in Loop: Header=BB321_552 Depth=1
	s_or_b32 exec_lo, exec_lo, s16
	s_delay_alu instid0(VALU_DEP_1) | instskip(NEXT) | instid1(VALU_DEP_2)
	v_dual_lshlrev_b32 v28, 24, v28 :: v_dual_lshlrev_b32 v18, 20, v18
	v_lshl_add_u32 v29, v29, 23, 0x3c000000
	s_delay_alu instid0(VALU_DEP_2) | instskip(NEXT) | instid1(VALU_DEP_1)
	v_and_b32_e32 v28, 0x80000000, v28
	v_or3_b32 v66, v18, v28, v29
.LBB321_766:                            ;   in Loop: Header=BB321_552 Depth=1
	s_or_b32 exec_lo, exec_lo, s15
.LBB321_767:                            ;   in Loop: Header=BB321_552 Depth=1
	s_delay_alu instid0(SALU_CYCLE_1)
	s_or_b32 exec_lo, exec_lo, s14
.LBB321_768:                            ;   in Loop: Header=BB321_552 Depth=1
	s_delay_alu instid0(SALU_CYCLE_1) | instskip(SKIP_4) | instid1(VALU_DEP_3)
	s_or_b32 exec_lo, exec_lo, s11
	v_and_b32_e32 v29, 0xff, v27
	v_dual_mov_b32 v18, v27 :: v_dual_mov_b32 v28, 0
	v_mov_b32_e32 v68, 0
	s_mov_b32 s11, exec_lo
	v_cmpx_ne_u16_e32 0, v29
	s_cbranch_execz .LBB321_774
; %bb.769:                              ;   in Loop: Header=BB321_552 Depth=1
	v_bfrev_b32_e32 v68, 1
	s_mov_b32 s14, exec_lo
	v_cmpx_ne_u16_e32 0x80, v29
	s_cbranch_execz .LBB321_773
; %bb.770:                              ;   in Loop: Header=BB321_552 Depth=1
	v_and_b32_e32 v29, 0x7f, v27
	v_mov_b32_e32 v68, 0x7f800001
	s_mov_b32 s15, exec_lo
	s_delay_alu instid0(VALU_DEP_2)
	v_cmpx_ne_u32_e32 0x7f, v29
	s_cbranch_execz .LBB321_772
; %bb.771:                              ;   in Loop: Header=BB321_552 Depth=1
	v_dual_lshrrev_b32 v68, 3, v29 :: v_dual_bitop2_b32 v67, 7, v27 bitop3:0x40
	v_cmp_gt_u32_e64 s0, 8, v29
	s_delay_alu instid0(VALU_DEP_2) | instskip(NEXT) | instid1(VALU_DEP_1)
	v_clz_i32_u32_e32 v67, v67
	v_min_u32_e32 v67, 32, v67
	s_delay_alu instid0(VALU_DEP_1) | instskip(SKIP_1) | instid1(VALU_DEP_1)
	v_subrev_nc_u32_e32 v69, 28, v67
	v_sub_nc_u32_e32 v67, 29, v67
	v_dual_cndmask_b32 v29, v68, v67, s0 :: v_dual_cndmask_b32 v67, 0, v69, s0
	s_delay_alu instid0(VALU_DEP_1) | instskip(NEXT) | instid1(VALU_DEP_2)
	v_lshl_add_u32 v29, v29, 23, 0x3c000000
	v_lshlrev_b64_e32 v[68:69], v67, v[18:19]
	v_lshlrev_b32_e32 v67, 24, v18
	s_delay_alu instid0(VALU_DEP_1) | instskip(NEXT) | instid1(VALU_DEP_3)
	v_and_b32_e32 v67, 0x80000000, v67
	v_lshlrev_b32_e32 v68, 20, v68
	s_delay_alu instid0(VALU_DEP_1) | instskip(NEXT) | instid1(VALU_DEP_1)
	v_and_b32_e32 v68, 0x700000, v68
	v_or3_b32 v68, v68, v67, v29
.LBB321_772:                            ;   in Loop: Header=BB321_552 Depth=1
	s_or_b32 exec_lo, exec_lo, s15
.LBB321_773:                            ;   in Loop: Header=BB321_552 Depth=1
	s_delay_alu instid0(SALU_CYCLE_1)
	s_or_b32 exec_lo, exec_lo, s14
.LBB321_774:                            ;   in Loop: Header=BB321_552 Depth=1
	s_delay_alu instid0(SALU_CYCLE_1) | instskip(SKIP_2) | instid1(VALU_DEP_1)
	s_or_b32 exec_lo, exec_lo, s11
	v_lshrrev_b16 v29, 8, v18
	s_mov_b32 s11, exec_lo
	v_cmpx_ne_u16_e32 0, v29
	s_cbranch_execz .LBB321_782
; %bb.775:                              ;   in Loop: Header=BB321_552 Depth=1
	v_bfrev_b32_e32 v28, 1
	s_mov_b32 s14, exec_lo
	v_cmpx_ne_u16_e32 0x80, v29
	s_cbranch_execz .LBB321_781
; %bb.776:                              ;   in Loop: Header=BB321_552 Depth=1
	v_and_b32_e32 v29, 0xffff, v29
	v_mov_b32_e32 v28, 0x7f800001
	s_mov_b32 s15, exec_lo
	s_delay_alu instid0(VALU_DEP_2) | instskip(NEXT) | instid1(VALU_DEP_1)
	v_and_b32_e32 v69, 0x7f, v29
	v_cmpx_ne_u32_e32 0x7f, v69
	s_cbranch_execz .LBB321_780
; %bb.777:                              ;   in Loop: Header=BB321_552 Depth=1
	v_dual_mov_b32 v29, v19 :: v_dual_bitop2_b32 v28, 7, v29 bitop3:0x40
	v_lshrrev_b32_e32 v67, 3, v69
	s_mov_b32 s16, exec_lo
	v_cmpx_gt_u32_e32 8, v69
; %bb.778:                              ;   in Loop: Header=BB321_552 Depth=1
	s_delay_alu instid0(VALU_DEP_3) | instskip(NEXT) | instid1(VALU_DEP_1)
	v_clz_i32_u32_e32 v67, v28
	v_min_u32_e32 v67, 32, v67
	s_delay_alu instid0(VALU_DEP_1) | instskip(NEXT) | instid1(VALU_DEP_1)
	v_subrev_nc_u32_e32 v69, 28, v67
	v_lshlrev_b64_e32 v[28:29], v69, v[28:29]
	s_delay_alu instid0(VALU_DEP_1)
	v_dual_sub_nc_u32 v67, 29, v67 :: v_dual_bitop2_b32 v28, 7, v28 bitop3:0x40
; %bb.779:                              ;   in Loop: Header=BB321_552 Depth=1
	s_or_b32 exec_lo, exec_lo, s16
	s_delay_alu instid0(VALU_DEP_1) | instskip(NEXT) | instid1(VALU_DEP_2)
	v_dual_lshlrev_b32 v18, 16, v18 :: v_dual_lshlrev_b32 v28, 20, v28
	v_lshl_add_u32 v29, v67, 23, 0x3c000000
	s_delay_alu instid0(VALU_DEP_2) | instskip(NEXT) | instid1(VALU_DEP_1)
	v_and_b32_e32 v18, 0x80000000, v18
	v_or3_b32 v28, v28, v18, v29
.LBB321_780:                            ;   in Loop: Header=BB321_552 Depth=1
	s_or_b32 exec_lo, exec_lo, s15
.LBB321_781:                            ;   in Loop: Header=BB321_552 Depth=1
	s_delay_alu instid0(SALU_CYCLE_1)
	s_or_b32 exec_lo, exec_lo, s14
.LBB321_782:                            ;   in Loop: Header=BB321_552 Depth=1
	s_delay_alu instid0(SALU_CYCLE_1) | instskip(SKIP_3) | instid1(VALU_DEP_2)
	s_or_b32 exec_lo, exec_lo, s11
	v_dual_lshrrev_b32 v67, 16, v27 :: v_dual_mov_b32 v29, 0
	v_mov_b32_e32 v73, 0
	s_mov_b32 s11, exec_lo
	v_and_b32_e32 v18, 0xff, v67
	s_delay_alu instid0(VALU_DEP_1)
	v_cmpx_ne_u16_e32 0, v18
	s_cbranch_execz .LBB321_790
; %bb.783:                              ;   in Loop: Header=BB321_552 Depth=1
	v_bfrev_b32_e32 v73, 1
	s_mov_b32 s14, exec_lo
	v_cmpx_ne_u16_e32 0x80, v18
	s_cbranch_execz .LBB321_789
; %bb.784:                              ;   in Loop: Header=BB321_552 Depth=1
	v_bfe_u32 v70, v27, 16, 7
	v_mov_b32_e32 v73, 0x7f800001
	s_mov_b32 s15, exec_lo
	s_delay_alu instid0(VALU_DEP_2)
	v_cmpx_ne_u32_e32 0x7f, v70
	s_cbranch_execz .LBB321_788
; %bb.785:                              ;   in Loop: Header=BB321_552 Depth=1
	v_dual_lshrrev_b32 v69, 3, v70 :: v_dual_bitop2_b32 v18, 7, v67 bitop3:0x40
	s_mov_b32 s16, exec_lo
	v_cmpx_gt_u32_e32 8, v70
; %bb.786:                              ;   in Loop: Header=BB321_552 Depth=1
	s_delay_alu instid0(VALU_DEP_2) | instskip(NEXT) | instid1(VALU_DEP_1)
	v_clz_i32_u32_e32 v69, v18
	v_min_u32_e32 v69, 32, v69
	s_delay_alu instid0(VALU_DEP_1) | instskip(NEXT) | instid1(VALU_DEP_1)
	v_subrev_nc_u32_e32 v70, 28, v69
	v_lshlrev_b64_e32 v[70:71], v70, v[18:19]
	s_delay_alu instid0(VALU_DEP_1)
	v_dual_sub_nc_u32 v69, 29, v69 :: v_dual_bitop2_b32 v18, 7, v70 bitop3:0x40
; %bb.787:                              ;   in Loop: Header=BB321_552 Depth=1
	s_or_b32 exec_lo, exec_lo, s16
	s_delay_alu instid0(VALU_DEP_1) | instskip(NEXT) | instid1(VALU_DEP_2)
	v_dual_lshlrev_b32 v67, 24, v67 :: v_dual_lshlrev_b32 v18, 20, v18
	v_lshl_add_u32 v69, v69, 23, 0x3c000000
	s_delay_alu instid0(VALU_DEP_2) | instskip(NEXT) | instid1(VALU_DEP_1)
	v_and_b32_e32 v67, 0x80000000, v67
	v_or3_b32 v73, v18, v67, v69
.LBB321_788:                            ;   in Loop: Header=BB321_552 Depth=1
	s_or_b32 exec_lo, exec_lo, s15
.LBB321_789:                            ;   in Loop: Header=BB321_552 Depth=1
	s_delay_alu instid0(SALU_CYCLE_1)
	s_or_b32 exec_lo, exec_lo, s14
.LBB321_790:                            ;   in Loop: Header=BB321_552 Depth=1
	s_delay_alu instid0(SALU_CYCLE_1) | instskip(NEXT) | instid1(SALU_CYCLE_1)
	s_or_b32 exec_lo, exec_lo, s11
	s_mov_b32 s11, exec_lo
	v_cmpx_lt_u64_e64 s[2:3], v[26:27]
	s_cbranch_execz .LBB321_798
; %bb.791:                              ;   in Loop: Header=BB321_552 Depth=1
	v_lshrrev_b32_e32 v26, 24, v27
	v_bfrev_b32_e32 v29, 1
	s_mov_b32 s14, exec_lo
	s_delay_alu instid0(VALU_DEP_2)
	v_cmpx_ne_u32_e32 0x80, v26
	s_cbranch_execz .LBB321_797
; %bb.792:                              ;   in Loop: Header=BB321_552 Depth=1
	v_bfe_u32 v67, v27, 24, 7
	v_mov_b32_e32 v29, 0x7f800001
	s_mov_b32 s15, exec_lo
	s_delay_alu instid0(VALU_DEP_2)
	v_cmpx_ne_u32_e32 0x7f, v67
	s_cbranch_execz .LBB321_796
; %bb.793:                              ;   in Loop: Header=BB321_552 Depth=1
	v_dual_lshrrev_b32 v27, 3, v67 :: v_dual_bitop2_b32 v18, 7, v26 bitop3:0x40
	s_mov_b32 s16, exec_lo
	v_cmpx_gt_u32_e32 8, v67
; %bb.794:                              ;   in Loop: Header=BB321_552 Depth=1
	s_delay_alu instid0(VALU_DEP_2) | instskip(NEXT) | instid1(VALU_DEP_1)
	v_clz_i32_u32_e32 v27, v18
	v_min_u32_e32 v27, 32, v27
	s_delay_alu instid0(VALU_DEP_1) | instskip(NEXT) | instid1(VALU_DEP_1)
	v_subrev_nc_u32_e32 v29, 28, v27
	v_lshlrev_b64_e32 v[70:71], v29, v[18:19]
	s_delay_alu instid0(VALU_DEP_1)
	v_dual_sub_nc_u32 v27, 29, v27 :: v_dual_bitop2_b32 v18, 7, v70 bitop3:0x40
; %bb.795:                              ;   in Loop: Header=BB321_552 Depth=1
	s_or_b32 exec_lo, exec_lo, s16
	v_lshlrev_b32_e32 v26, 24, v26
	s_delay_alu instid0(VALU_DEP_2) | instskip(NEXT) | instid1(VALU_DEP_3)
	v_lshlrev_b32_e32 v18, 20, v18
	v_lshl_add_u32 v27, v27, 23, 0x3c000000
	s_delay_alu instid0(VALU_DEP_3) | instskip(NEXT) | instid1(VALU_DEP_1)
	v_and_b32_e32 v26, 0x80000000, v26
	v_or3_b32 v29, v18, v26, v27
.LBB321_796:                            ;   in Loop: Header=BB321_552 Depth=1
	s_or_b32 exec_lo, exec_lo, s15
.LBB321_797:                            ;   in Loop: Header=BB321_552 Depth=1
	s_delay_alu instid0(SALU_CYCLE_1)
	s_or_b32 exec_lo, exec_lo, s14
.LBB321_798:                            ;   in Loop: Header=BB321_552 Depth=1
	s_delay_alu instid0(SALU_CYCLE_1)
	s_or_b32 exec_lo, exec_lo, s11
	v_fma_mixlo_bf16 v67, s6, v28, 0
	v_fma_mixlo_bf16 v68, s6, v68, 0
	;; [unrolled: 1-line block ×8, first 2 shown]
	s_and_saveexec_b32 s11, vcc_lo
	s_cbranch_execz .LBB321_800
; %bb.799:                              ;   in Loop: Header=BB321_552 Depth=1
	v_cmp_gt_i32_e64 s0, s23, v42
	s_delay_alu instid0(VALU_DEP_1) | instskip(SKIP_1) | instid1(VALU_DEP_1)
	v_cndmask_b32_e64 v72, 0, v72, s0
	v_cmp_gt_i32_e64 s0, s23, v48
	v_cndmask_b32_e64 v71, 0, v71, s0
	v_cmp_gt_i32_e64 s0, s23, v47
	s_delay_alu instid0(VALU_DEP_1) | instskip(SKIP_1) | instid1(VALU_DEP_1)
	v_cndmask_b32_e64 v70, 0, v70, s0
	v_cmp_gt_i32_e64 s0, s23, v46
	v_cndmask_b32_e64 v69, 0, v69, s0
	;; [unrolled: 5-line block ×4, first 2 shown]
.LBB321_800:                            ;   in Loop: Header=BB321_552 Depth=1
	s_or_b32 exec_lo, exec_lo, s11
	global_load_b64 v[26:27], v[24:25], off offset:1024
	v_dual_mov_b32 v1, 0 :: v_dual_mov_b32 v0, 0
	s_mov_b32 s11, exec_lo
	s_wait_loadcnt 0x0
	v_and_b32_e32 v18, 0xff, v26
	s_delay_alu instid0(VALU_DEP_1)
	v_cmpx_ne_u16_e32 0, v18
	s_cbranch_execz .LBB321_806
; %bb.801:                              ;   in Loop: Header=BB321_552 Depth=1
	v_bfrev_b32_e32 v0, 1
	s_mov_b32 s14, exec_lo
	v_cmpx_ne_u16_e32 0x80, v18
	s_cbranch_execz .LBB321_805
; %bb.802:                              ;   in Loop: Header=BB321_552 Depth=1
	v_and_b32_e32 v18, 0x7f, v26
	v_mov_b32_e32 v0, 0x7f800001
	s_mov_b32 s15, exec_lo
	s_delay_alu instid0(VALU_DEP_2)
	v_cmpx_ne_u32_e32 0x7f, v18
	s_cbranch_execz .LBB321_804
; %bb.803:                              ;   in Loop: Header=BB321_552 Depth=1
	v_cmp_gt_u32_e64 s0, 8, v18
	v_and_b32_e32 v0, 7, v26
	s_delay_alu instid0(VALU_DEP_1) | instskip(NEXT) | instid1(VALU_DEP_1)
	v_clz_i32_u32_e32 v0, v0
	v_min_u32_e32 v0, 32, v0
	v_lshrrev_b32_e32 v28, 3, v18
	s_delay_alu instid0(VALU_DEP_2) | instskip(NEXT) | instid1(VALU_DEP_1)
	v_subrev_nc_u32_e32 v29, 28, v0
	v_dual_sub_nc_u32 v0, 29, v0 :: v_dual_cndmask_b32 v18, 0, v29, s0
	s_delay_alu instid0(VALU_DEP_1) | instskip(NEXT) | instid1(VALU_DEP_2)
	v_cndmask_b32_e64 v0, v28, v0, s0
	v_lshlrev_b64_e32 v[28:29], v18, v[26:27]
	v_lshlrev_b32_e32 v18, 24, v26
	s_delay_alu instid0(VALU_DEP_3) | instskip(NEXT) | instid1(VALU_DEP_2)
	v_lshl_add_u32 v0, v0, 23, 0x3c000000
	v_and_b32_e32 v18, 0x80000000, v18
	s_delay_alu instid0(VALU_DEP_4) | instskip(NEXT) | instid1(VALU_DEP_1)
	v_lshlrev_b32_e32 v28, 20, v28
	v_and_b32_e32 v28, 0x700000, v28
	s_delay_alu instid0(VALU_DEP_1)
	v_or3_b32 v0, v28, v18, v0
.LBB321_804:                            ;   in Loop: Header=BB321_552 Depth=1
	s_or_b32 exec_lo, exec_lo, s15
.LBB321_805:                            ;   in Loop: Header=BB321_552 Depth=1
	s_delay_alu instid0(SALU_CYCLE_1)
	s_or_b32 exec_lo, exec_lo, s14
.LBB321_806:                            ;   in Loop: Header=BB321_552 Depth=1
	s_delay_alu instid0(SALU_CYCLE_1) | instskip(SKIP_2) | instid1(VALU_DEP_1)
	s_or_b32 exec_lo, exec_lo, s11
	v_lshrrev_b16 v18, 8, v26
	s_mov_b32 s11, exec_lo
	v_cmpx_ne_u16_e32 0, v18
	s_cbranch_execz .LBB321_814
; %bb.807:                              ;   in Loop: Header=BB321_552 Depth=1
	v_bfrev_b32_e32 v1, 1
	s_mov_b32 s14, exec_lo
	v_cmpx_ne_u16_e32 0x80, v18
	s_cbranch_execz .LBB321_813
; %bb.808:                              ;   in Loop: Header=BB321_552 Depth=1
	v_and_b32_e32 v18, 0xffff, v18
	v_mov_b32_e32 v1, 0x7f800001
	s_mov_b32 s15, exec_lo
	s_delay_alu instid0(VALU_DEP_2) | instskip(NEXT) | instid1(VALU_DEP_1)
	v_and_b32_e32 v28, 0x7f, v18
	v_cmpx_ne_u32_e32 0x7f, v28
	s_cbranch_execz .LBB321_812
; %bb.809:                              ;   in Loop: Header=BB321_552 Depth=1
	v_dual_lshrrev_b32 v1, 3, v28 :: v_dual_bitop2_b32 v18, 7, v18 bitop3:0x40
	s_mov_b32 s16, exec_lo
	v_cmpx_gt_u32_e32 8, v28
; %bb.810:                              ;   in Loop: Header=BB321_552 Depth=1
	s_delay_alu instid0(VALU_DEP_2) | instskip(NEXT) | instid1(VALU_DEP_1)
	v_clz_i32_u32_e32 v1, v18
	v_min_u32_e32 v1, 32, v1
	s_delay_alu instid0(VALU_DEP_1) | instskip(NEXT) | instid1(VALU_DEP_1)
	v_subrev_nc_u32_e32 v28, 28, v1
	v_lshlrev_b64_e32 v[28:29], v28, v[18:19]
	s_delay_alu instid0(VALU_DEP_1)
	v_dual_sub_nc_u32 v1, 29, v1 :: v_dual_bitop2_b32 v18, 7, v28 bitop3:0x40
; %bb.811:                              ;   in Loop: Header=BB321_552 Depth=1
	s_or_b32 exec_lo, exec_lo, s16
	v_lshlrev_b32_e32 v28, 16, v26
	s_delay_alu instid0(VALU_DEP_2) | instskip(NEXT) | instid1(VALU_DEP_3)
	v_lshlrev_b32_e32 v18, 20, v18
	v_lshl_add_u32 v1, v1, 23, 0x3c000000
	s_delay_alu instid0(VALU_DEP_3) | instskip(NEXT) | instid1(VALU_DEP_1)
	v_and_b32_e32 v28, 0x80000000, v28
	v_or3_b32 v1, v18, v28, v1
.LBB321_812:                            ;   in Loop: Header=BB321_552 Depth=1
	s_or_b32 exec_lo, exec_lo, s15
.LBB321_813:                            ;   in Loop: Header=BB321_552 Depth=1
	s_delay_alu instid0(SALU_CYCLE_1)
	s_or_b32 exec_lo, exec_lo, s14
.LBB321_814:                            ;   in Loop: Header=BB321_552 Depth=1
	s_delay_alu instid0(SALU_CYCLE_1) | instskip(SKIP_3) | instid1(VALU_DEP_2)
	s_or_b32 exec_lo, exec_lo, s11
	v_dual_lshrrev_b32 v28, 16, v26 :: v_dual_mov_b32 v74, 0
	v_mov_b32_e32 v73, 0
	s_mov_b32 s11, exec_lo
	v_and_b32_e32 v18, 0xff, v28
	s_delay_alu instid0(VALU_DEP_1)
	v_cmpx_ne_u16_e32 0, v18
	s_cbranch_execz .LBB321_822
; %bb.815:                              ;   in Loop: Header=BB321_552 Depth=1
	v_bfrev_b32_e32 v73, 1
	s_mov_b32 s14, exec_lo
	v_cmpx_ne_u16_e32 0x80, v18
	s_cbranch_execz .LBB321_821
; %bb.816:                              ;   in Loop: Header=BB321_552 Depth=1
	v_bfe_u32 v75, v26, 16, 7
	v_mov_b32_e32 v73, 0x7f800001
	s_mov_b32 s15, exec_lo
	s_delay_alu instid0(VALU_DEP_2)
	v_cmpx_ne_u32_e32 0x7f, v75
	s_cbranch_execz .LBB321_820
; %bb.817:                              ;   in Loop: Header=BB321_552 Depth=1
	v_dual_lshrrev_b32 v29, 3, v75 :: v_dual_bitop2_b32 v18, 7, v28 bitop3:0x40
	s_mov_b32 s16, exec_lo
	v_cmpx_gt_u32_e32 8, v75
; %bb.818:                              ;   in Loop: Header=BB321_552 Depth=1
	s_delay_alu instid0(VALU_DEP_2) | instskip(NEXT) | instid1(VALU_DEP_1)
	v_clz_i32_u32_e32 v29, v18
	v_min_u32_e32 v29, 32, v29
	s_delay_alu instid0(VALU_DEP_1) | instskip(NEXT) | instid1(VALU_DEP_1)
	v_subrev_nc_u32_e32 v73, 28, v29
	v_lshlrev_b64_e32 v[76:77], v73, v[18:19]
	s_delay_alu instid0(VALU_DEP_1)
	v_dual_sub_nc_u32 v29, 29, v29 :: v_dual_bitop2_b32 v18, 7, v76 bitop3:0x40
; %bb.819:                              ;   in Loop: Header=BB321_552 Depth=1
	s_or_b32 exec_lo, exec_lo, s16
	s_delay_alu instid0(VALU_DEP_1) | instskip(NEXT) | instid1(VALU_DEP_2)
	v_dual_lshlrev_b32 v28, 24, v28 :: v_dual_lshlrev_b32 v18, 20, v18
	v_lshl_add_u32 v29, v29, 23, 0x3c000000
	s_delay_alu instid0(VALU_DEP_2) | instskip(NEXT) | instid1(VALU_DEP_1)
	v_and_b32_e32 v28, 0x80000000, v28
	v_or3_b32 v73, v18, v28, v29
.LBB321_820:                            ;   in Loop: Header=BB321_552 Depth=1
	s_or_b32 exec_lo, exec_lo, s15
.LBB321_821:                            ;   in Loop: Header=BB321_552 Depth=1
	s_delay_alu instid0(SALU_CYCLE_1)
	s_or_b32 exec_lo, exec_lo, s14
.LBB321_822:                            ;   in Loop: Header=BB321_552 Depth=1
	s_delay_alu instid0(SALU_CYCLE_1) | instskip(NEXT) | instid1(SALU_CYCLE_1)
	s_or_b32 exec_lo, exec_lo, s11
	s_mov_b32 s11, exec_lo
	v_cmpx_lt_u32_e32 0xffffff, v26
	s_cbranch_execz .LBB321_830
; %bb.823:                              ;   in Loop: Header=BB321_552 Depth=1
	v_lshrrev_b32_e32 v28, 24, v26
	v_bfrev_b32_e32 v74, 1
	s_mov_b32 s14, exec_lo
	s_delay_alu instid0(VALU_DEP_2)
	v_cmpx_ne_u32_e32 0x80, v28
	s_cbranch_execz .LBB321_829
; %bb.824:                              ;   in Loop: Header=BB321_552 Depth=1
	v_bfe_u32 v75, v26, 24, 7
	v_mov_b32_e32 v74, 0x7f800001
	s_mov_b32 s15, exec_lo
	s_delay_alu instid0(VALU_DEP_2)
	v_cmpx_ne_u32_e32 0x7f, v75
	s_cbranch_execz .LBB321_828
; %bb.825:                              ;   in Loop: Header=BB321_552 Depth=1
	v_dual_lshrrev_b32 v29, 3, v75 :: v_dual_bitop2_b32 v18, 7, v28 bitop3:0x40
	s_mov_b32 s16, exec_lo
	v_cmpx_gt_u32_e32 8, v75
; %bb.826:                              ;   in Loop: Header=BB321_552 Depth=1
	s_delay_alu instid0(VALU_DEP_2) | instskip(NEXT) | instid1(VALU_DEP_1)
	v_clz_i32_u32_e32 v29, v18
	v_min_u32_e32 v29, 32, v29
	s_delay_alu instid0(VALU_DEP_1) | instskip(NEXT) | instid1(VALU_DEP_1)
	v_subrev_nc_u32_e32 v74, 28, v29
	v_lshlrev_b64_e32 v[74:75], v74, v[18:19]
	s_delay_alu instid0(VALU_DEP_1)
	v_dual_sub_nc_u32 v29, 29, v29 :: v_dual_bitop2_b32 v18, 7, v74 bitop3:0x40
; %bb.827:                              ;   in Loop: Header=BB321_552 Depth=1
	s_or_b32 exec_lo, exec_lo, s16
	s_delay_alu instid0(VALU_DEP_1) | instskip(NEXT) | instid1(VALU_DEP_2)
	v_dual_lshlrev_b32 v28, 24, v28 :: v_dual_lshlrev_b32 v18, 20, v18
	v_lshl_add_u32 v29, v29, 23, 0x3c000000
	s_delay_alu instid0(VALU_DEP_2) | instskip(NEXT) | instid1(VALU_DEP_1)
	v_and_b32_e32 v28, 0x80000000, v28
	v_or3_b32 v74, v18, v28, v29
.LBB321_828:                            ;   in Loop: Header=BB321_552 Depth=1
	s_or_b32 exec_lo, exec_lo, s15
.LBB321_829:                            ;   in Loop: Header=BB321_552 Depth=1
	s_delay_alu instid0(SALU_CYCLE_1)
	s_or_b32 exec_lo, exec_lo, s14
.LBB321_830:                            ;   in Loop: Header=BB321_552 Depth=1
	s_delay_alu instid0(SALU_CYCLE_1) | instskip(SKIP_4) | instid1(VALU_DEP_3)
	s_or_b32 exec_lo, exec_lo, s11
	v_and_b32_e32 v29, 0xff, v27
	v_dual_mov_b32 v18, v27 :: v_dual_mov_b32 v28, 0
	v_mov_b32_e32 v76, 0
	s_mov_b32 s11, exec_lo
	v_cmpx_ne_u16_e32 0, v29
	s_cbranch_execz .LBB321_836
; %bb.831:                              ;   in Loop: Header=BB321_552 Depth=1
	v_bfrev_b32_e32 v76, 1
	s_mov_b32 s14, exec_lo
	v_cmpx_ne_u16_e32 0x80, v29
	s_cbranch_execz .LBB321_835
; %bb.832:                              ;   in Loop: Header=BB321_552 Depth=1
	v_and_b32_e32 v29, 0x7f, v27
	v_mov_b32_e32 v76, 0x7f800001
	s_mov_b32 s15, exec_lo
	s_delay_alu instid0(VALU_DEP_2)
	v_cmpx_ne_u32_e32 0x7f, v29
	s_cbranch_execz .LBB321_834
; %bb.833:                              ;   in Loop: Header=BB321_552 Depth=1
	v_dual_lshrrev_b32 v76, 3, v29 :: v_dual_bitop2_b32 v75, 7, v27 bitop3:0x40
	v_cmp_gt_u32_e64 s0, 8, v29
	s_delay_alu instid0(VALU_DEP_2) | instskip(NEXT) | instid1(VALU_DEP_1)
	v_clz_i32_u32_e32 v75, v75
	v_min_u32_e32 v75, 32, v75
	s_delay_alu instid0(VALU_DEP_1) | instskip(SKIP_1) | instid1(VALU_DEP_1)
	v_subrev_nc_u32_e32 v77, 28, v75
	v_sub_nc_u32_e32 v75, 29, v75
	v_dual_cndmask_b32 v29, v76, v75, s0 :: v_dual_cndmask_b32 v75, 0, v77, s0
	s_delay_alu instid0(VALU_DEP_1) | instskip(NEXT) | instid1(VALU_DEP_2)
	v_lshl_add_u32 v29, v29, 23, 0x3c000000
	v_lshlrev_b64_e32 v[76:77], v75, v[18:19]
	v_lshlrev_b32_e32 v75, 24, v18
	s_delay_alu instid0(VALU_DEP_1) | instskip(NEXT) | instid1(VALU_DEP_3)
	v_and_b32_e32 v75, 0x80000000, v75
	v_lshlrev_b32_e32 v76, 20, v76
	s_delay_alu instid0(VALU_DEP_1) | instskip(NEXT) | instid1(VALU_DEP_1)
	v_and_b32_e32 v76, 0x700000, v76
	v_or3_b32 v76, v76, v75, v29
.LBB321_834:                            ;   in Loop: Header=BB321_552 Depth=1
	s_or_b32 exec_lo, exec_lo, s15
.LBB321_835:                            ;   in Loop: Header=BB321_552 Depth=1
	s_delay_alu instid0(SALU_CYCLE_1)
	s_or_b32 exec_lo, exec_lo, s14
.LBB321_836:                            ;   in Loop: Header=BB321_552 Depth=1
	s_delay_alu instid0(SALU_CYCLE_1) | instskip(SKIP_2) | instid1(VALU_DEP_1)
	s_or_b32 exec_lo, exec_lo, s11
	v_lshrrev_b16 v29, 8, v18
	s_mov_b32 s11, exec_lo
	v_cmpx_ne_u16_e32 0, v29
	s_cbranch_execz .LBB321_844
; %bb.837:                              ;   in Loop: Header=BB321_552 Depth=1
	v_bfrev_b32_e32 v28, 1
	s_mov_b32 s14, exec_lo
	v_cmpx_ne_u16_e32 0x80, v29
	s_cbranch_execz .LBB321_843
; %bb.838:                              ;   in Loop: Header=BB321_552 Depth=1
	v_and_b32_e32 v29, 0xffff, v29
	v_mov_b32_e32 v28, 0x7f800001
	s_mov_b32 s15, exec_lo
	s_delay_alu instid0(VALU_DEP_2) | instskip(NEXT) | instid1(VALU_DEP_1)
	v_and_b32_e32 v77, 0x7f, v29
	v_cmpx_ne_u32_e32 0x7f, v77
	s_cbranch_execz .LBB321_842
; %bb.839:                              ;   in Loop: Header=BB321_552 Depth=1
	v_dual_mov_b32 v29, v19 :: v_dual_bitop2_b32 v28, 7, v29 bitop3:0x40
	v_lshrrev_b32_e32 v75, 3, v77
	s_mov_b32 s16, exec_lo
	v_cmpx_gt_u32_e32 8, v77
; %bb.840:                              ;   in Loop: Header=BB321_552 Depth=1
	s_delay_alu instid0(VALU_DEP_3) | instskip(NEXT) | instid1(VALU_DEP_1)
	v_clz_i32_u32_e32 v75, v28
	v_min_u32_e32 v75, 32, v75
	s_delay_alu instid0(VALU_DEP_1) | instskip(NEXT) | instid1(VALU_DEP_1)
	v_subrev_nc_u32_e32 v77, 28, v75
	v_lshlrev_b64_e32 v[28:29], v77, v[28:29]
	s_delay_alu instid0(VALU_DEP_1)
	v_dual_sub_nc_u32 v75, 29, v75 :: v_dual_bitop2_b32 v28, 7, v28 bitop3:0x40
; %bb.841:                              ;   in Loop: Header=BB321_552 Depth=1
	s_or_b32 exec_lo, exec_lo, s16
	s_delay_alu instid0(VALU_DEP_1) | instskip(NEXT) | instid1(VALU_DEP_2)
	v_dual_lshlrev_b32 v18, 16, v18 :: v_dual_lshlrev_b32 v28, 20, v28
	v_lshl_add_u32 v29, v75, 23, 0x3c000000
	s_delay_alu instid0(VALU_DEP_2) | instskip(NEXT) | instid1(VALU_DEP_1)
	v_and_b32_e32 v18, 0x80000000, v18
	v_or3_b32 v28, v28, v18, v29
.LBB321_842:                            ;   in Loop: Header=BB321_552 Depth=1
	s_or_b32 exec_lo, exec_lo, s15
.LBB321_843:                            ;   in Loop: Header=BB321_552 Depth=1
	s_delay_alu instid0(SALU_CYCLE_1)
	s_or_b32 exec_lo, exec_lo, s14
.LBB321_844:                            ;   in Loop: Header=BB321_552 Depth=1
	s_delay_alu instid0(SALU_CYCLE_1) | instskip(SKIP_3) | instid1(VALU_DEP_2)
	s_or_b32 exec_lo, exec_lo, s11
	v_dual_lshrrev_b32 v75, 16, v27 :: v_dual_mov_b32 v29, 0
	v_mov_b32_e32 v81, 0
	s_mov_b32 s11, exec_lo
	v_and_b32_e32 v18, 0xff, v75
	s_delay_alu instid0(VALU_DEP_1)
	v_cmpx_ne_u16_e32 0, v18
	s_cbranch_execz .LBB321_852
; %bb.845:                              ;   in Loop: Header=BB321_552 Depth=1
	v_bfrev_b32_e32 v81, 1
	s_mov_b32 s14, exec_lo
	v_cmpx_ne_u16_e32 0x80, v18
	s_cbranch_execz .LBB321_851
; %bb.846:                              ;   in Loop: Header=BB321_552 Depth=1
	v_bfe_u32 v78, v27, 16, 7
	v_mov_b32_e32 v81, 0x7f800001
	s_mov_b32 s15, exec_lo
	s_delay_alu instid0(VALU_DEP_2)
	v_cmpx_ne_u32_e32 0x7f, v78
	s_cbranch_execz .LBB321_850
; %bb.847:                              ;   in Loop: Header=BB321_552 Depth=1
	v_dual_lshrrev_b32 v77, 3, v78 :: v_dual_bitop2_b32 v18, 7, v75 bitop3:0x40
	s_mov_b32 s16, exec_lo
	v_cmpx_gt_u32_e32 8, v78
; %bb.848:                              ;   in Loop: Header=BB321_552 Depth=1
	s_delay_alu instid0(VALU_DEP_2) | instskip(NEXT) | instid1(VALU_DEP_1)
	v_clz_i32_u32_e32 v77, v18
	v_min_u32_e32 v77, 32, v77
	s_delay_alu instid0(VALU_DEP_1) | instskip(NEXT) | instid1(VALU_DEP_1)
	v_subrev_nc_u32_e32 v78, 28, v77
	v_lshlrev_b64_e32 v[78:79], v78, v[18:19]
	s_delay_alu instid0(VALU_DEP_1)
	v_dual_sub_nc_u32 v77, 29, v77 :: v_dual_bitop2_b32 v18, 7, v78 bitop3:0x40
; %bb.849:                              ;   in Loop: Header=BB321_552 Depth=1
	s_or_b32 exec_lo, exec_lo, s16
	s_delay_alu instid0(VALU_DEP_1) | instskip(NEXT) | instid1(VALU_DEP_2)
	v_dual_lshlrev_b32 v75, 24, v75 :: v_dual_lshlrev_b32 v18, 20, v18
	v_lshl_add_u32 v77, v77, 23, 0x3c000000
	s_delay_alu instid0(VALU_DEP_2) | instskip(NEXT) | instid1(VALU_DEP_1)
	v_and_b32_e32 v75, 0x80000000, v75
	v_or3_b32 v81, v18, v75, v77
.LBB321_850:                            ;   in Loop: Header=BB321_552 Depth=1
	s_or_b32 exec_lo, exec_lo, s15
.LBB321_851:                            ;   in Loop: Header=BB321_552 Depth=1
	s_delay_alu instid0(SALU_CYCLE_1)
	s_or_b32 exec_lo, exec_lo, s14
.LBB321_852:                            ;   in Loop: Header=BB321_552 Depth=1
	s_delay_alu instid0(SALU_CYCLE_1) | instskip(NEXT) | instid1(SALU_CYCLE_1)
	s_or_b32 exec_lo, exec_lo, s11
	s_mov_b32 s11, exec_lo
	v_cmpx_lt_u64_e64 s[2:3], v[26:27]
	s_cbranch_execz .LBB321_860
; %bb.853:                              ;   in Loop: Header=BB321_552 Depth=1
	v_lshrrev_b32_e32 v26, 24, v27
	v_bfrev_b32_e32 v29, 1
	s_mov_b32 s14, exec_lo
	s_delay_alu instid0(VALU_DEP_2)
	v_cmpx_ne_u32_e32 0x80, v26
	s_cbranch_execz .LBB321_859
; %bb.854:                              ;   in Loop: Header=BB321_552 Depth=1
	v_bfe_u32 v75, v27, 24, 7
	v_mov_b32_e32 v29, 0x7f800001
	s_mov_b32 s15, exec_lo
	s_delay_alu instid0(VALU_DEP_2)
	v_cmpx_ne_u32_e32 0x7f, v75
	s_cbranch_execz .LBB321_858
; %bb.855:                              ;   in Loop: Header=BB321_552 Depth=1
	v_dual_lshrrev_b32 v27, 3, v75 :: v_dual_bitop2_b32 v18, 7, v26 bitop3:0x40
	s_mov_b32 s16, exec_lo
	v_cmpx_gt_u32_e32 8, v75
; %bb.856:                              ;   in Loop: Header=BB321_552 Depth=1
	s_delay_alu instid0(VALU_DEP_2) | instskip(NEXT) | instid1(VALU_DEP_1)
	v_clz_i32_u32_e32 v27, v18
	v_min_u32_e32 v27, 32, v27
	s_delay_alu instid0(VALU_DEP_1) | instskip(NEXT) | instid1(VALU_DEP_1)
	v_subrev_nc_u32_e32 v29, 28, v27
	v_lshlrev_b64_e32 v[78:79], v29, v[18:19]
	s_delay_alu instid0(VALU_DEP_1)
	v_dual_sub_nc_u32 v27, 29, v27 :: v_dual_bitop2_b32 v18, 7, v78 bitop3:0x40
; %bb.857:                              ;   in Loop: Header=BB321_552 Depth=1
	s_or_b32 exec_lo, exec_lo, s16
	v_lshlrev_b32_e32 v26, 24, v26
	s_delay_alu instid0(VALU_DEP_2) | instskip(NEXT) | instid1(VALU_DEP_3)
	v_lshlrev_b32_e32 v18, 20, v18
	v_lshl_add_u32 v27, v27, 23, 0x3c000000
	s_delay_alu instid0(VALU_DEP_3) | instskip(NEXT) | instid1(VALU_DEP_1)
	v_and_b32_e32 v26, 0x80000000, v26
	v_or3_b32 v29, v18, v26, v27
.LBB321_858:                            ;   in Loop: Header=BB321_552 Depth=1
	s_or_b32 exec_lo, exec_lo, s15
.LBB321_859:                            ;   in Loop: Header=BB321_552 Depth=1
	s_delay_alu instid0(SALU_CYCLE_1)
	s_or_b32 exec_lo, exec_lo, s14
.LBB321_860:                            ;   in Loop: Header=BB321_552 Depth=1
	s_delay_alu instid0(SALU_CYCLE_1)
	s_or_b32 exec_lo, exec_lo, s11
	v_fma_mixlo_bf16 v75, s6, v28, 0
	v_fma_mixlo_bf16 v76, s6, v76, 0
	;; [unrolled: 1-line block ×8, first 2 shown]
	s_and_saveexec_b32 s11, vcc_lo
	s_cbranch_execz .LBB321_862
; %bb.861:                              ;   in Loop: Header=BB321_552 Depth=1
	v_cmp_gt_i32_e64 s0, s23, v42
	s_delay_alu instid0(VALU_DEP_1) | instskip(SKIP_1) | instid1(VALU_DEP_1)
	v_cndmask_b32_e64 v80, 0, v80, s0
	v_cmp_gt_i32_e64 s0, s23, v48
	v_cndmask_b32_e64 v79, 0, v79, s0
	v_cmp_gt_i32_e64 s0, s23, v47
	s_delay_alu instid0(VALU_DEP_1) | instskip(SKIP_1) | instid1(VALU_DEP_1)
	v_cndmask_b32_e64 v78, 0, v78, s0
	v_cmp_gt_i32_e64 s0, s23, v46
	v_cndmask_b32_e64 v77, 0, v77, s0
	;; [unrolled: 5-line block ×4, first 2 shown]
.LBB321_862:                            ;   in Loop: Header=BB321_552 Depth=1
	s_or_b32 exec_lo, exec_lo, s11
	global_load_b64 v[26:27], v[24:25], off offset:1280
	v_dual_mov_b32 v1, 0 :: v_dual_mov_b32 v0, 0
	s_mov_b32 s11, exec_lo
	s_wait_loadcnt 0x0
	v_and_b32_e32 v18, 0xff, v26
	s_delay_alu instid0(VALU_DEP_1)
	v_cmpx_ne_u16_e32 0, v18
	s_cbranch_execz .LBB321_868
; %bb.863:                              ;   in Loop: Header=BB321_552 Depth=1
	v_bfrev_b32_e32 v0, 1
	s_mov_b32 s14, exec_lo
	v_cmpx_ne_u16_e32 0x80, v18
	s_cbranch_execz .LBB321_867
; %bb.864:                              ;   in Loop: Header=BB321_552 Depth=1
	v_and_b32_e32 v18, 0x7f, v26
	v_mov_b32_e32 v0, 0x7f800001
	s_mov_b32 s15, exec_lo
	s_delay_alu instid0(VALU_DEP_2)
	v_cmpx_ne_u32_e32 0x7f, v18
	s_cbranch_execz .LBB321_866
; %bb.865:                              ;   in Loop: Header=BB321_552 Depth=1
	v_cmp_gt_u32_e64 s0, 8, v18
	v_and_b32_e32 v0, 7, v26
	s_delay_alu instid0(VALU_DEP_1) | instskip(NEXT) | instid1(VALU_DEP_1)
	v_clz_i32_u32_e32 v0, v0
	v_min_u32_e32 v0, 32, v0
	v_lshrrev_b32_e32 v28, 3, v18
	s_delay_alu instid0(VALU_DEP_2) | instskip(NEXT) | instid1(VALU_DEP_1)
	v_subrev_nc_u32_e32 v29, 28, v0
	v_dual_sub_nc_u32 v0, 29, v0 :: v_dual_cndmask_b32 v18, 0, v29, s0
	s_delay_alu instid0(VALU_DEP_1) | instskip(NEXT) | instid1(VALU_DEP_2)
	v_cndmask_b32_e64 v0, v28, v0, s0
	v_lshlrev_b64_e32 v[28:29], v18, v[26:27]
	v_lshlrev_b32_e32 v18, 24, v26
	s_delay_alu instid0(VALU_DEP_3) | instskip(NEXT) | instid1(VALU_DEP_2)
	v_lshl_add_u32 v0, v0, 23, 0x3c000000
	v_and_b32_e32 v18, 0x80000000, v18
	s_delay_alu instid0(VALU_DEP_4) | instskip(NEXT) | instid1(VALU_DEP_1)
	v_lshlrev_b32_e32 v28, 20, v28
	v_and_b32_e32 v28, 0x700000, v28
	s_delay_alu instid0(VALU_DEP_1)
	v_or3_b32 v0, v28, v18, v0
.LBB321_866:                            ;   in Loop: Header=BB321_552 Depth=1
	s_or_b32 exec_lo, exec_lo, s15
.LBB321_867:                            ;   in Loop: Header=BB321_552 Depth=1
	s_delay_alu instid0(SALU_CYCLE_1)
	s_or_b32 exec_lo, exec_lo, s14
.LBB321_868:                            ;   in Loop: Header=BB321_552 Depth=1
	s_delay_alu instid0(SALU_CYCLE_1) | instskip(SKIP_2) | instid1(VALU_DEP_1)
	s_or_b32 exec_lo, exec_lo, s11
	v_lshrrev_b16 v18, 8, v26
	s_mov_b32 s11, exec_lo
	v_cmpx_ne_u16_e32 0, v18
	s_cbranch_execz .LBB321_876
; %bb.869:                              ;   in Loop: Header=BB321_552 Depth=1
	v_bfrev_b32_e32 v1, 1
	s_mov_b32 s14, exec_lo
	v_cmpx_ne_u16_e32 0x80, v18
	s_cbranch_execz .LBB321_875
; %bb.870:                              ;   in Loop: Header=BB321_552 Depth=1
	v_and_b32_e32 v18, 0xffff, v18
	v_mov_b32_e32 v1, 0x7f800001
	s_mov_b32 s15, exec_lo
	s_delay_alu instid0(VALU_DEP_2) | instskip(NEXT) | instid1(VALU_DEP_1)
	v_and_b32_e32 v28, 0x7f, v18
	v_cmpx_ne_u32_e32 0x7f, v28
	s_cbranch_execz .LBB321_874
; %bb.871:                              ;   in Loop: Header=BB321_552 Depth=1
	v_dual_lshrrev_b32 v1, 3, v28 :: v_dual_bitop2_b32 v18, 7, v18 bitop3:0x40
	s_mov_b32 s16, exec_lo
	v_cmpx_gt_u32_e32 8, v28
; %bb.872:                              ;   in Loop: Header=BB321_552 Depth=1
	s_delay_alu instid0(VALU_DEP_2) | instskip(NEXT) | instid1(VALU_DEP_1)
	v_clz_i32_u32_e32 v1, v18
	v_min_u32_e32 v1, 32, v1
	s_delay_alu instid0(VALU_DEP_1) | instskip(NEXT) | instid1(VALU_DEP_1)
	v_subrev_nc_u32_e32 v28, 28, v1
	v_lshlrev_b64_e32 v[28:29], v28, v[18:19]
	s_delay_alu instid0(VALU_DEP_1)
	v_dual_sub_nc_u32 v1, 29, v1 :: v_dual_bitop2_b32 v18, 7, v28 bitop3:0x40
; %bb.873:                              ;   in Loop: Header=BB321_552 Depth=1
	s_or_b32 exec_lo, exec_lo, s16
	v_lshlrev_b32_e32 v28, 16, v26
	s_delay_alu instid0(VALU_DEP_2) | instskip(NEXT) | instid1(VALU_DEP_3)
	v_lshlrev_b32_e32 v18, 20, v18
	v_lshl_add_u32 v1, v1, 23, 0x3c000000
	s_delay_alu instid0(VALU_DEP_3) | instskip(NEXT) | instid1(VALU_DEP_1)
	v_and_b32_e32 v28, 0x80000000, v28
	v_or3_b32 v1, v18, v28, v1
.LBB321_874:                            ;   in Loop: Header=BB321_552 Depth=1
	s_or_b32 exec_lo, exec_lo, s15
.LBB321_875:                            ;   in Loop: Header=BB321_552 Depth=1
	s_delay_alu instid0(SALU_CYCLE_1)
	s_or_b32 exec_lo, exec_lo, s14
.LBB321_876:                            ;   in Loop: Header=BB321_552 Depth=1
	s_delay_alu instid0(SALU_CYCLE_1) | instskip(SKIP_3) | instid1(VALU_DEP_2)
	s_or_b32 exec_lo, exec_lo, s11
	v_dual_mov_b32 v83, 0 :: v_dual_lshrrev_b32 v28, 16, v26
	v_mov_b32_e32 v84, 0
	s_mov_b32 s11, exec_lo
	v_and_b32_e32 v18, 0xff, v28
	s_delay_alu instid0(VALU_DEP_1)
	v_cmpx_ne_u16_e32 0, v18
	s_cbranch_execz .LBB321_884
; %bb.877:                              ;   in Loop: Header=BB321_552 Depth=1
	v_bfrev_b32_e32 v84, 1
	s_mov_b32 s14, exec_lo
	v_cmpx_ne_u16_e32 0x80, v18
	s_cbranch_execz .LBB321_883
; %bb.878:                              ;   in Loop: Header=BB321_552 Depth=1
	v_bfe_u32 v81, v26, 16, 7
	v_mov_b32_e32 v84, 0x7f800001
	s_mov_b32 s15, exec_lo
	s_delay_alu instid0(VALU_DEP_2)
	v_cmpx_ne_u32_e32 0x7f, v81
	s_cbranch_execz .LBB321_882
; %bb.879:                              ;   in Loop: Header=BB321_552 Depth=1
	v_dual_lshrrev_b32 v29, 3, v81 :: v_dual_bitop2_b32 v18, 7, v28 bitop3:0x40
	s_mov_b32 s16, exec_lo
	v_cmpx_gt_u32_e32 8, v81
; %bb.880:                              ;   in Loop: Header=BB321_552 Depth=1
	s_delay_alu instid0(VALU_DEP_2) | instskip(NEXT) | instid1(VALU_DEP_1)
	v_clz_i32_u32_e32 v29, v18
	v_min_u32_e32 v29, 32, v29
	s_delay_alu instid0(VALU_DEP_1) | instskip(NEXT) | instid1(VALU_DEP_1)
	v_subrev_nc_u32_e32 v81, 28, v29
	v_lshlrev_b64_e32 v[84:85], v81, v[18:19]
	s_delay_alu instid0(VALU_DEP_1)
	v_dual_sub_nc_u32 v29, 29, v29 :: v_dual_bitop2_b32 v18, 7, v84 bitop3:0x40
; %bb.881:                              ;   in Loop: Header=BB321_552 Depth=1
	s_or_b32 exec_lo, exec_lo, s16
	s_delay_alu instid0(VALU_DEP_1) | instskip(NEXT) | instid1(VALU_DEP_2)
	v_dual_lshlrev_b32 v28, 24, v28 :: v_dual_lshlrev_b32 v18, 20, v18
	v_lshl_add_u32 v29, v29, 23, 0x3c000000
	s_delay_alu instid0(VALU_DEP_2) | instskip(NEXT) | instid1(VALU_DEP_1)
	v_and_b32_e32 v28, 0x80000000, v28
	v_or3_b32 v84, v18, v28, v29
.LBB321_882:                            ;   in Loop: Header=BB321_552 Depth=1
	s_or_b32 exec_lo, exec_lo, s15
.LBB321_883:                            ;   in Loop: Header=BB321_552 Depth=1
	s_delay_alu instid0(SALU_CYCLE_1)
	s_or_b32 exec_lo, exec_lo, s14
.LBB321_884:                            ;   in Loop: Header=BB321_552 Depth=1
	s_delay_alu instid0(SALU_CYCLE_1) | instskip(NEXT) | instid1(SALU_CYCLE_1)
	s_or_b32 exec_lo, exec_lo, s11
	s_mov_b32 s11, exec_lo
	v_cmpx_lt_u32_e32 0xffffff, v26
	s_cbranch_execz .LBB321_892
; %bb.885:                              ;   in Loop: Header=BB321_552 Depth=1
	v_lshrrev_b32_e32 v28, 24, v26
	v_bfrev_b32_e32 v83, 1
	s_mov_b32 s14, exec_lo
	s_delay_alu instid0(VALU_DEP_2)
	v_cmpx_ne_u32_e32 0x80, v28
	s_cbranch_execz .LBB321_891
; %bb.886:                              ;   in Loop: Header=BB321_552 Depth=1
	v_bfe_u32 v81, v26, 24, 7
	v_mov_b32_e32 v83, 0x7f800001
	s_mov_b32 s15, exec_lo
	s_delay_alu instid0(VALU_DEP_2)
	v_cmpx_ne_u32_e32 0x7f, v81
	s_cbranch_execz .LBB321_890
; %bb.887:                              ;   in Loop: Header=BB321_552 Depth=1
	v_dual_lshrrev_b32 v29, 3, v81 :: v_dual_bitop2_b32 v18, 7, v28 bitop3:0x40
	s_mov_b32 s16, exec_lo
	v_cmpx_gt_u32_e32 8, v81
; %bb.888:                              ;   in Loop: Header=BB321_552 Depth=1
	s_delay_alu instid0(VALU_DEP_2) | instskip(NEXT) | instid1(VALU_DEP_1)
	v_clz_i32_u32_e32 v29, v18
	v_min_u32_e32 v29, 32, v29
	s_delay_alu instid0(VALU_DEP_1) | instskip(NEXT) | instid1(VALU_DEP_1)
	v_subrev_nc_u32_e32 v81, 28, v29
	v_lshlrev_b64_e32 v[82:83], v81, v[18:19]
	s_delay_alu instid0(VALU_DEP_1)
	v_dual_sub_nc_u32 v29, 29, v29 :: v_dual_bitop2_b32 v18, 7, v82 bitop3:0x40
; %bb.889:                              ;   in Loop: Header=BB321_552 Depth=1
	s_or_b32 exec_lo, exec_lo, s16
	s_delay_alu instid0(VALU_DEP_1) | instskip(NEXT) | instid1(VALU_DEP_2)
	v_dual_lshlrev_b32 v28, 24, v28 :: v_dual_lshlrev_b32 v18, 20, v18
	v_lshl_add_u32 v29, v29, 23, 0x3c000000
	s_delay_alu instid0(VALU_DEP_2) | instskip(NEXT) | instid1(VALU_DEP_1)
	v_and_b32_e32 v28, 0x80000000, v28
	v_or3_b32 v83, v18, v28, v29
.LBB321_890:                            ;   in Loop: Header=BB321_552 Depth=1
	s_or_b32 exec_lo, exec_lo, s15
.LBB321_891:                            ;   in Loop: Header=BB321_552 Depth=1
	s_delay_alu instid0(SALU_CYCLE_1)
	s_or_b32 exec_lo, exec_lo, s14
.LBB321_892:                            ;   in Loop: Header=BB321_552 Depth=1
	s_delay_alu instid0(SALU_CYCLE_1) | instskip(SKIP_4) | instid1(VALU_DEP_3)
	s_or_b32 exec_lo, exec_lo, s11
	v_and_b32_e32 v29, 0xff, v27
	v_dual_mov_b32 v18, v27 :: v_dual_mov_b32 v28, 0
	v_mov_b32_e32 v82, 0
	s_mov_b32 s11, exec_lo
	v_cmpx_ne_u16_e32 0, v29
	s_cbranch_execz .LBB321_898
; %bb.893:                              ;   in Loop: Header=BB321_552 Depth=1
	v_bfrev_b32_e32 v82, 1
	s_mov_b32 s14, exec_lo
	v_cmpx_ne_u16_e32 0x80, v29
	s_cbranch_execz .LBB321_897
; %bb.894:                              ;   in Loop: Header=BB321_552 Depth=1
	v_and_b32_e32 v29, 0x7f, v27
	v_mov_b32_e32 v82, 0x7f800001
	s_mov_b32 s15, exec_lo
	s_delay_alu instid0(VALU_DEP_2)
	v_cmpx_ne_u32_e32 0x7f, v29
	s_cbranch_execz .LBB321_896
; %bb.895:                              ;   in Loop: Header=BB321_552 Depth=1
	v_dual_lshrrev_b32 v82, 3, v29 :: v_dual_bitop2_b32 v81, 7, v27 bitop3:0x40
	v_cmp_gt_u32_e64 s0, 8, v29
	s_delay_alu instid0(VALU_DEP_2) | instskip(NEXT) | instid1(VALU_DEP_1)
	v_clz_i32_u32_e32 v81, v81
	v_min_u32_e32 v81, 32, v81
	s_delay_alu instid0(VALU_DEP_1) | instskip(SKIP_1) | instid1(VALU_DEP_1)
	v_subrev_nc_u32_e32 v85, 28, v81
	v_sub_nc_u32_e32 v81, 29, v81
	v_cndmask_b32_e64 v29, v82, v81, s0
	s_delay_alu instid0(VALU_DEP_3) | instskip(NEXT) | instid1(VALU_DEP_1)
	v_cndmask_b32_e64 v81, 0, v85, s0
	v_lshlrev_b64_e32 v[86:87], v81, v[18:19]
	v_lshlrev_b32_e32 v81, 24, v18
	s_delay_alu instid0(VALU_DEP_4) | instskip(NEXT) | instid1(VALU_DEP_2)
	v_lshl_add_u32 v29, v29, 23, 0x3c000000
	v_and_b32_e32 v81, 0x80000000, v81
	s_delay_alu instid0(VALU_DEP_4) | instskip(NEXT) | instid1(VALU_DEP_1)
	v_lshlrev_b32_e32 v82, 20, v86
	v_and_b32_e32 v82, 0x700000, v82
	s_delay_alu instid0(VALU_DEP_1)
	v_or3_b32 v82, v82, v81, v29
.LBB321_896:                            ;   in Loop: Header=BB321_552 Depth=1
	s_or_b32 exec_lo, exec_lo, s15
.LBB321_897:                            ;   in Loop: Header=BB321_552 Depth=1
	s_delay_alu instid0(SALU_CYCLE_1)
	s_or_b32 exec_lo, exec_lo, s14
.LBB321_898:                            ;   in Loop: Header=BB321_552 Depth=1
	s_delay_alu instid0(SALU_CYCLE_1) | instskip(SKIP_2) | instid1(VALU_DEP_1)
	s_or_b32 exec_lo, exec_lo, s11
	v_lshrrev_b16 v29, 8, v18
	s_mov_b32 s11, exec_lo
	v_cmpx_ne_u16_e32 0, v29
	s_cbranch_execz .LBB321_906
; %bb.899:                              ;   in Loop: Header=BB321_552 Depth=1
	v_bfrev_b32_e32 v28, 1
	s_mov_b32 s14, exec_lo
	v_cmpx_ne_u16_e32 0x80, v29
	s_cbranch_execz .LBB321_905
; %bb.900:                              ;   in Loop: Header=BB321_552 Depth=1
	v_and_b32_e32 v29, 0xffff, v29
	v_mov_b32_e32 v28, 0x7f800001
	s_mov_b32 s15, exec_lo
	s_delay_alu instid0(VALU_DEP_2) | instskip(NEXT) | instid1(VALU_DEP_1)
	v_and_b32_e32 v85, 0x7f, v29
	v_cmpx_ne_u32_e32 0x7f, v85
	s_cbranch_execz .LBB321_904
; %bb.901:                              ;   in Loop: Header=BB321_552 Depth=1
	v_dual_mov_b32 v29, v19 :: v_dual_bitop2_b32 v28, 7, v29 bitop3:0x40
	v_lshrrev_b32_e32 v81, 3, v85
	s_mov_b32 s16, exec_lo
	v_cmpx_gt_u32_e32 8, v85
; %bb.902:                              ;   in Loop: Header=BB321_552 Depth=1
	s_delay_alu instid0(VALU_DEP_3) | instskip(NEXT) | instid1(VALU_DEP_1)
	v_clz_i32_u32_e32 v81, v28
	v_min_u32_e32 v81, 32, v81
	s_delay_alu instid0(VALU_DEP_1) | instskip(NEXT) | instid1(VALU_DEP_1)
	v_subrev_nc_u32_e32 v85, 28, v81
	v_lshlrev_b64_e32 v[28:29], v85, v[28:29]
	s_delay_alu instid0(VALU_DEP_1)
	v_dual_sub_nc_u32 v81, 29, v81 :: v_dual_bitop2_b32 v28, 7, v28 bitop3:0x40
; %bb.903:                              ;   in Loop: Header=BB321_552 Depth=1
	s_or_b32 exec_lo, exec_lo, s16
	s_delay_alu instid0(VALU_DEP_1) | instskip(NEXT) | instid1(VALU_DEP_2)
	v_dual_lshlrev_b32 v18, 16, v18 :: v_dual_lshlrev_b32 v28, 20, v28
	v_lshl_add_u32 v29, v81, 23, 0x3c000000
	s_delay_alu instid0(VALU_DEP_2) | instskip(NEXT) | instid1(VALU_DEP_1)
	v_and_b32_e32 v18, 0x80000000, v18
	v_or3_b32 v28, v28, v18, v29
.LBB321_904:                            ;   in Loop: Header=BB321_552 Depth=1
	s_or_b32 exec_lo, exec_lo, s15
.LBB321_905:                            ;   in Loop: Header=BB321_552 Depth=1
	s_delay_alu instid0(SALU_CYCLE_1)
	s_or_b32 exec_lo, exec_lo, s14
.LBB321_906:                            ;   in Loop: Header=BB321_552 Depth=1
	s_delay_alu instid0(SALU_CYCLE_1) | instskip(SKIP_3) | instid1(VALU_DEP_2)
	s_or_b32 exec_lo, exec_lo, s11
	v_dual_lshrrev_b32 v81, 16, v27 :: v_dual_mov_b32 v29, 0
	v_mov_b32_e32 v87, 0
	s_mov_b32 s11, exec_lo
	v_and_b32_e32 v18, 0xff, v81
	s_delay_alu instid0(VALU_DEP_1)
	v_cmpx_ne_u16_e32 0, v18
	s_cbranch_execz .LBB321_914
; %bb.907:                              ;   in Loop: Header=BB321_552 Depth=1
	v_bfrev_b32_e32 v87, 1
	s_mov_b32 s14, exec_lo
	v_cmpx_ne_u16_e32 0x80, v18
	s_cbranch_execz .LBB321_913
; %bb.908:                              ;   in Loop: Header=BB321_552 Depth=1
	v_bfe_u32 v86, v27, 16, 7
	v_mov_b32_e32 v87, 0x7f800001
	s_mov_b32 s15, exec_lo
	s_delay_alu instid0(VALU_DEP_2)
	v_cmpx_ne_u32_e32 0x7f, v86
	s_cbranch_execz .LBB321_912
; %bb.909:                              ;   in Loop: Header=BB321_552 Depth=1
	v_dual_lshrrev_b32 v85, 3, v86 :: v_dual_bitop2_b32 v18, 7, v81 bitop3:0x40
	s_mov_b32 s16, exec_lo
	v_cmpx_gt_u32_e32 8, v86
; %bb.910:                              ;   in Loop: Header=BB321_552 Depth=1
	s_delay_alu instid0(VALU_DEP_2) | instskip(NEXT) | instid1(VALU_DEP_1)
	v_clz_i32_u32_e32 v85, v18
	v_min_u32_e32 v85, 32, v85
	s_delay_alu instid0(VALU_DEP_1) | instskip(NEXT) | instid1(VALU_DEP_1)
	v_subrev_nc_u32_e32 v86, 28, v85
	v_lshlrev_b64_e32 v[86:87], v86, v[18:19]
	s_delay_alu instid0(VALU_DEP_1)
	v_dual_sub_nc_u32 v85, 29, v85 :: v_dual_bitop2_b32 v18, 7, v86 bitop3:0x40
; %bb.911:                              ;   in Loop: Header=BB321_552 Depth=1
	s_or_b32 exec_lo, exec_lo, s16
	s_delay_alu instid0(VALU_DEP_1) | instskip(NEXT) | instid1(VALU_DEP_2)
	v_dual_lshlrev_b32 v81, 24, v81 :: v_dual_lshlrev_b32 v18, 20, v18
	v_lshl_add_u32 v85, v85, 23, 0x3c000000
	s_delay_alu instid0(VALU_DEP_2) | instskip(NEXT) | instid1(VALU_DEP_1)
	v_and_b32_e32 v81, 0x80000000, v81
	v_or3_b32 v87, v18, v81, v85
.LBB321_912:                            ;   in Loop: Header=BB321_552 Depth=1
	s_or_b32 exec_lo, exec_lo, s15
.LBB321_913:                            ;   in Loop: Header=BB321_552 Depth=1
	s_delay_alu instid0(SALU_CYCLE_1)
	s_or_b32 exec_lo, exec_lo, s14
.LBB321_914:                            ;   in Loop: Header=BB321_552 Depth=1
	s_delay_alu instid0(SALU_CYCLE_1) | instskip(NEXT) | instid1(SALU_CYCLE_1)
	s_or_b32 exec_lo, exec_lo, s11
	s_mov_b32 s11, exec_lo
	v_cmpx_lt_u64_e64 s[2:3], v[26:27]
	s_cbranch_execz .LBB321_922
; %bb.915:                              ;   in Loop: Header=BB321_552 Depth=1
	v_lshrrev_b32_e32 v26, 24, v27
	v_bfrev_b32_e32 v29, 1
	s_mov_b32 s14, exec_lo
	s_delay_alu instid0(VALU_DEP_2)
	v_cmpx_ne_u32_e32 0x80, v26
	s_cbranch_execz .LBB321_921
; %bb.916:                              ;   in Loop: Header=BB321_552 Depth=1
	v_bfe_u32 v81, v27, 24, 7
	v_mov_b32_e32 v29, 0x7f800001
	s_mov_b32 s15, exec_lo
	s_delay_alu instid0(VALU_DEP_2)
	v_cmpx_ne_u32_e32 0x7f, v81
	s_cbranch_execz .LBB321_920
; %bb.917:                              ;   in Loop: Header=BB321_552 Depth=1
	v_dual_lshrrev_b32 v27, 3, v81 :: v_dual_bitop2_b32 v18, 7, v26 bitop3:0x40
	s_mov_b32 s16, exec_lo
	v_cmpx_gt_u32_e32 8, v81
; %bb.918:                              ;   in Loop: Header=BB321_552 Depth=1
	s_delay_alu instid0(VALU_DEP_2) | instskip(NEXT) | instid1(VALU_DEP_1)
	v_clz_i32_u32_e32 v27, v18
	v_min_u32_e32 v27, 32, v27
	s_delay_alu instid0(VALU_DEP_1) | instskip(NEXT) | instid1(VALU_DEP_1)
	v_subrev_nc_u32_e32 v29, 28, v27
	v_lshlrev_b64_e32 v[88:89], v29, v[18:19]
	s_delay_alu instid0(VALU_DEP_1)
	v_dual_sub_nc_u32 v27, 29, v27 :: v_dual_bitop2_b32 v18, 7, v88 bitop3:0x40
; %bb.919:                              ;   in Loop: Header=BB321_552 Depth=1
	s_or_b32 exec_lo, exec_lo, s16
	v_lshlrev_b32_e32 v26, 24, v26
	s_delay_alu instid0(VALU_DEP_2) | instskip(NEXT) | instid1(VALU_DEP_3)
	v_lshlrev_b32_e32 v18, 20, v18
	v_lshl_add_u32 v27, v27, 23, 0x3c000000
	s_delay_alu instid0(VALU_DEP_3) | instskip(NEXT) | instid1(VALU_DEP_1)
	v_and_b32_e32 v26, 0x80000000, v26
	v_or3_b32 v29, v18, v26, v27
.LBB321_920:                            ;   in Loop: Header=BB321_552 Depth=1
	s_or_b32 exec_lo, exec_lo, s15
.LBB321_921:                            ;   in Loop: Header=BB321_552 Depth=1
	s_delay_alu instid0(SALU_CYCLE_1)
	s_or_b32 exec_lo, exec_lo, s14
.LBB321_922:                            ;   in Loop: Header=BB321_552 Depth=1
	s_delay_alu instid0(SALU_CYCLE_1)
	s_or_b32 exec_lo, exec_lo, s11
	v_fma_mixlo_bf16 v81, s6, v28, 0
	v_fma_mixlo_bf16 v82, s6, v82, 0
	;; [unrolled: 1-line block ×8, first 2 shown]
	s_and_saveexec_b32 s11, vcc_lo
	s_cbranch_execz .LBB321_924
; %bb.923:                              ;   in Loop: Header=BB321_552 Depth=1
	v_cmp_gt_i32_e64 s0, s23, v42
	s_delay_alu instid0(VALU_DEP_1) | instskip(SKIP_1) | instid1(VALU_DEP_1)
	v_cndmask_b32_e64 v86, 0, v86, s0
	v_cmp_gt_i32_e64 s0, s23, v48
	v_cndmask_b32_e64 v85, 0, v85, s0
	v_cmp_gt_i32_e64 s0, s23, v47
	s_delay_alu instid0(VALU_DEP_1) | instskip(SKIP_1) | instid1(VALU_DEP_1)
	v_cndmask_b32_e64 v84, 0, v84, s0
	v_cmp_gt_i32_e64 s0, s23, v46
	v_cndmask_b32_e64 v83, 0, v83, s0
	v_cmp_gt_i32_e64 s0, s23, v45
	s_delay_alu instid0(VALU_DEP_1) | instskip(SKIP_1) | instid1(VALU_DEP_1)
	v_cndmask_b32_e64 v82, 0, v82, s0
	v_cmp_gt_i32_e64 s0, s23, v44
	v_cndmask_b32_e64 v81, 0, v81, s0
	v_cmp_gt_i32_e64 s0, s23, v43
	s_delay_alu instid0(VALU_DEP_1) | instskip(SKIP_1) | instid1(VALU_DEP_1)
	v_cndmask_b32_e64 v0, 0, v0, s0
	v_cmp_gt_i32_e64 s0, s23, v31
	v_cndmask_b32_e64 v1, 0, v1, s0
.LBB321_924:                            ;   in Loop: Header=BB321_552 Depth=1
	s_or_b32 exec_lo, exec_lo, s11
	global_load_b64 v[26:27], v[24:25], off offset:1536
	v_dual_mov_b32 v91, 0 :: v_dual_mov_b32 v92, 0
	s_mov_b32 s11, exec_lo
	s_wait_loadcnt 0x0
	v_and_b32_e32 v18, 0xff, v26
	s_delay_alu instid0(VALU_DEP_1)
	v_cmpx_ne_u16_e32 0, v18
	s_cbranch_execz .LBB321_930
; %bb.925:                              ;   in Loop: Header=BB321_552 Depth=1
	v_bfrev_b32_e32 v92, 1
	s_mov_b32 s14, exec_lo
	v_cmpx_ne_u16_e32 0x80, v18
	s_cbranch_execz .LBB321_929
; %bb.926:                              ;   in Loop: Header=BB321_552 Depth=1
	v_and_b32_e32 v18, 0x7f, v26
	v_mov_b32_e32 v92, 0x7f800001
	s_mov_b32 s15, exec_lo
	s_delay_alu instid0(VALU_DEP_2)
	v_cmpx_ne_u32_e32 0x7f, v18
	s_cbranch_execz .LBB321_928
; %bb.927:                              ;   in Loop: Header=BB321_552 Depth=1
	v_and_b32_e32 v28, 7, v26
	v_cmp_gt_u32_e64 s0, 8, v18
	s_delay_alu instid0(VALU_DEP_2) | instskip(NEXT) | instid1(VALU_DEP_1)
	v_clz_i32_u32_e32 v28, v28
	v_min_u32_e32 v28, 32, v28
	v_lshrrev_b32_e32 v29, 3, v18
	s_delay_alu instid0(VALU_DEP_2) | instskip(SKIP_1) | instid1(VALU_DEP_1)
	v_subrev_nc_u32_e32 v87, 28, v28
	v_sub_nc_u32_e32 v28, 29, v28
	v_dual_cndmask_b32 v18, v29, v28, s0 :: v_dual_cndmask_b32 v28, 0, v87, s0
	s_delay_alu instid0(VALU_DEP_1) | instskip(NEXT) | instid1(VALU_DEP_2)
	v_lshl_add_u32 v18, v18, 23, 0x3c000000
	v_lshlrev_b64_e32 v[28:29], v28, v[26:27]
	v_lshlrev_b32_e32 v29, 24, v26
	s_delay_alu instid0(VALU_DEP_1) | instskip(NEXT) | instid1(VALU_DEP_3)
	v_and_b32_e32 v29, 0x80000000, v29
	v_lshlrev_b32_e32 v28, 20, v28
	s_delay_alu instid0(VALU_DEP_1) | instskip(NEXT) | instid1(VALU_DEP_1)
	v_and_b32_e32 v28, 0x700000, v28
	v_or3_b32 v92, v28, v29, v18
.LBB321_928:                            ;   in Loop: Header=BB321_552 Depth=1
	s_or_b32 exec_lo, exec_lo, s15
.LBB321_929:                            ;   in Loop: Header=BB321_552 Depth=1
	s_delay_alu instid0(SALU_CYCLE_1)
	s_or_b32 exec_lo, exec_lo, s14
.LBB321_930:                            ;   in Loop: Header=BB321_552 Depth=1
	s_delay_alu instid0(SALU_CYCLE_1) | instskip(SKIP_2) | instid1(VALU_DEP_1)
	s_or_b32 exec_lo, exec_lo, s11
	v_lshrrev_b16 v18, 8, v26
	s_mov_b32 s11, exec_lo
	v_cmpx_ne_u16_e32 0, v18
	s_cbranch_execz .LBB321_938
; %bb.931:                              ;   in Loop: Header=BB321_552 Depth=1
	v_bfrev_b32_e32 v91, 1
	s_mov_b32 s14, exec_lo
	v_cmpx_ne_u16_e32 0x80, v18
	s_cbranch_execz .LBB321_937
; %bb.932:                              ;   in Loop: Header=BB321_552 Depth=1
	v_and_b32_e32 v18, 0xffff, v18
	v_mov_b32_e32 v91, 0x7f800001
	s_mov_b32 s15, exec_lo
	s_delay_alu instid0(VALU_DEP_2) | instskip(NEXT) | instid1(VALU_DEP_1)
	v_and_b32_e32 v29, 0x7f, v18
	v_cmpx_ne_u32_e32 0x7f, v29
	s_cbranch_execz .LBB321_936
; %bb.933:                              ;   in Loop: Header=BB321_552 Depth=1
	v_dual_lshrrev_b32 v28, 3, v29 :: v_dual_bitop2_b32 v18, 7, v18 bitop3:0x40
	s_mov_b32 s16, exec_lo
	v_cmpx_gt_u32_e32 8, v29
; %bb.934:                              ;   in Loop: Header=BB321_552 Depth=1
	s_delay_alu instid0(VALU_DEP_2) | instskip(NEXT) | instid1(VALU_DEP_1)
	v_clz_i32_u32_e32 v28, v18
	v_min_u32_e32 v28, 32, v28
	s_delay_alu instid0(VALU_DEP_1) | instskip(SKIP_1) | instid1(VALU_DEP_2)
	v_subrev_nc_u32_e32 v29, 28, v28
	v_sub_nc_u32_e32 v28, 29, v28
	v_lshlrev_b64_e32 v[88:89], v29, v[18:19]
	s_delay_alu instid0(VALU_DEP_1)
	v_and_b32_e32 v18, 7, v88
; %bb.935:                              ;   in Loop: Header=BB321_552 Depth=1
	s_or_b32 exec_lo, exec_lo, s16
	v_lshlrev_b32_e32 v29, 16, v26
	s_delay_alu instid0(VALU_DEP_2) | instskip(SKIP_1) | instid1(VALU_DEP_3)
	v_lshlrev_b32_e32 v18, 20, v18
	v_lshl_add_u32 v28, v28, 23, 0x3c000000
	v_and_b32_e32 v29, 0x80000000, v29
	s_delay_alu instid0(VALU_DEP_1)
	v_or3_b32 v91, v18, v29, v28
.LBB321_936:                            ;   in Loop: Header=BB321_552 Depth=1
	s_or_b32 exec_lo, exec_lo, s15
.LBB321_937:                            ;   in Loop: Header=BB321_552 Depth=1
	s_delay_alu instid0(SALU_CYCLE_1)
	s_or_b32 exec_lo, exec_lo, s14
.LBB321_938:                            ;   in Loop: Header=BB321_552 Depth=1
	s_delay_alu instid0(SALU_CYCLE_1) | instskip(SKIP_3) | instid1(VALU_DEP_2)
	s_or_b32 exec_lo, exec_lo, s11
	v_dual_mov_b32 v89, 0 :: v_dual_lshrrev_b32 v28, 16, v26
	v_mov_b32_e32 v90, 0
	s_mov_b32 s11, exec_lo
	v_and_b32_e32 v18, 0xff, v28
	s_delay_alu instid0(VALU_DEP_1)
	v_cmpx_ne_u16_e32 0, v18
	s_cbranch_execz .LBB321_946
; %bb.939:                              ;   in Loop: Header=BB321_552 Depth=1
	v_bfrev_b32_e32 v90, 1
	s_mov_b32 s14, exec_lo
	v_cmpx_ne_u16_e32 0x80, v18
	s_cbranch_execz .LBB321_945
; %bb.940:                              ;   in Loop: Header=BB321_552 Depth=1
	v_bfe_u32 v87, v26, 16, 7
	v_mov_b32_e32 v90, 0x7f800001
	s_mov_b32 s15, exec_lo
	s_delay_alu instid0(VALU_DEP_2)
	v_cmpx_ne_u32_e32 0x7f, v87
	s_cbranch_execz .LBB321_944
; %bb.941:                              ;   in Loop: Header=BB321_552 Depth=1
	v_dual_lshrrev_b32 v29, 3, v87 :: v_dual_bitop2_b32 v18, 7, v28 bitop3:0x40
	s_mov_b32 s16, exec_lo
	v_cmpx_gt_u32_e32 8, v87
; %bb.942:                              ;   in Loop: Header=BB321_552 Depth=1
	s_delay_alu instid0(VALU_DEP_2) | instskip(NEXT) | instid1(VALU_DEP_1)
	v_clz_i32_u32_e32 v29, v18
	v_min_u32_e32 v29, 32, v29
	s_delay_alu instid0(VALU_DEP_1) | instskip(NEXT) | instid1(VALU_DEP_1)
	v_subrev_nc_u32_e32 v87, 28, v29
	v_lshlrev_b64_e32 v[94:95], v87, v[18:19]
	s_delay_alu instid0(VALU_DEP_1)
	v_dual_sub_nc_u32 v29, 29, v29 :: v_dual_bitop2_b32 v18, 7, v94 bitop3:0x40
; %bb.943:                              ;   in Loop: Header=BB321_552 Depth=1
	s_or_b32 exec_lo, exec_lo, s16
	s_delay_alu instid0(VALU_DEP_1) | instskip(NEXT) | instid1(VALU_DEP_2)
	v_dual_lshlrev_b32 v28, 24, v28 :: v_dual_lshlrev_b32 v18, 20, v18
	v_lshl_add_u32 v29, v29, 23, 0x3c000000
	s_delay_alu instid0(VALU_DEP_2) | instskip(NEXT) | instid1(VALU_DEP_1)
	v_and_b32_e32 v28, 0x80000000, v28
	v_or3_b32 v90, v18, v28, v29
.LBB321_944:                            ;   in Loop: Header=BB321_552 Depth=1
	s_or_b32 exec_lo, exec_lo, s15
.LBB321_945:                            ;   in Loop: Header=BB321_552 Depth=1
	s_delay_alu instid0(SALU_CYCLE_1)
	s_or_b32 exec_lo, exec_lo, s14
.LBB321_946:                            ;   in Loop: Header=BB321_552 Depth=1
	s_delay_alu instid0(SALU_CYCLE_1) | instskip(NEXT) | instid1(SALU_CYCLE_1)
	s_or_b32 exec_lo, exec_lo, s11
	s_mov_b32 s11, exec_lo
	v_cmpx_lt_u32_e32 0xffffff, v26
	s_cbranch_execz .LBB321_954
; %bb.947:                              ;   in Loop: Header=BB321_552 Depth=1
	v_lshrrev_b32_e32 v28, 24, v26
	v_bfrev_b32_e32 v89, 1
	s_mov_b32 s14, exec_lo
	s_delay_alu instid0(VALU_DEP_2)
	v_cmpx_ne_u32_e32 0x80, v28
	s_cbranch_execz .LBB321_953
; %bb.948:                              ;   in Loop: Header=BB321_552 Depth=1
	v_bfe_u32 v87, v26, 24, 7
	v_mov_b32_e32 v89, 0x7f800001
	s_mov_b32 s15, exec_lo
	s_delay_alu instid0(VALU_DEP_2)
	v_cmpx_ne_u32_e32 0x7f, v87
	s_cbranch_execz .LBB321_952
; %bb.949:                              ;   in Loop: Header=BB321_552 Depth=1
	v_dual_lshrrev_b32 v29, 3, v87 :: v_dual_bitop2_b32 v18, 7, v28 bitop3:0x40
	s_mov_b32 s16, exec_lo
	v_cmpx_gt_u32_e32 8, v87
; %bb.950:                              ;   in Loop: Header=BB321_552 Depth=1
	s_delay_alu instid0(VALU_DEP_2) | instskip(NEXT) | instid1(VALU_DEP_1)
	v_clz_i32_u32_e32 v29, v18
	v_min_u32_e32 v29, 32, v29
	s_delay_alu instid0(VALU_DEP_1) | instskip(NEXT) | instid1(VALU_DEP_1)
	v_subrev_nc_u32_e32 v87, 28, v29
	v_lshlrev_b64_e32 v[88:89], v87, v[18:19]
	s_delay_alu instid0(VALU_DEP_1)
	v_dual_sub_nc_u32 v29, 29, v29 :: v_dual_bitop2_b32 v18, 7, v88 bitop3:0x40
; %bb.951:                              ;   in Loop: Header=BB321_552 Depth=1
	s_or_b32 exec_lo, exec_lo, s16
	s_delay_alu instid0(VALU_DEP_1) | instskip(NEXT) | instid1(VALU_DEP_2)
	v_dual_lshlrev_b32 v28, 24, v28 :: v_dual_lshlrev_b32 v18, 20, v18
	v_lshl_add_u32 v29, v29, 23, 0x3c000000
	s_delay_alu instid0(VALU_DEP_2) | instskip(NEXT) | instid1(VALU_DEP_1)
	v_and_b32_e32 v28, 0x80000000, v28
	v_or3_b32 v89, v18, v28, v29
.LBB321_952:                            ;   in Loop: Header=BB321_552 Depth=1
	s_or_b32 exec_lo, exec_lo, s15
.LBB321_953:                            ;   in Loop: Header=BB321_552 Depth=1
	s_delay_alu instid0(SALU_CYCLE_1)
	s_or_b32 exec_lo, exec_lo, s14
.LBB321_954:                            ;   in Loop: Header=BB321_552 Depth=1
	s_delay_alu instid0(SALU_CYCLE_1) | instskip(SKIP_4) | instid1(VALU_DEP_3)
	s_or_b32 exec_lo, exec_lo, s11
	v_and_b32_e32 v29, 0xff, v27
	v_dual_mov_b32 v18, v27 :: v_dual_mov_b32 v28, 0
	v_mov_b32_e32 v88, 0
	s_mov_b32 s11, exec_lo
	v_cmpx_ne_u16_e32 0, v29
	s_cbranch_execz .LBB321_960
; %bb.955:                              ;   in Loop: Header=BB321_552 Depth=1
	v_bfrev_b32_e32 v88, 1
	s_mov_b32 s14, exec_lo
	v_cmpx_ne_u16_e32 0x80, v29
	s_cbranch_execz .LBB321_959
; %bb.956:                              ;   in Loop: Header=BB321_552 Depth=1
	v_and_b32_e32 v29, 0x7f, v27
	v_mov_b32_e32 v88, 0x7f800001
	s_mov_b32 s15, exec_lo
	s_delay_alu instid0(VALU_DEP_2)
	v_cmpx_ne_u32_e32 0x7f, v29
	s_cbranch_execz .LBB321_958
; %bb.957:                              ;   in Loop: Header=BB321_552 Depth=1
	v_dual_lshrrev_b32 v88, 3, v29 :: v_dual_bitop2_b32 v87, 7, v27 bitop3:0x40
	v_cmp_gt_u32_e64 s0, 8, v29
	s_delay_alu instid0(VALU_DEP_2) | instskip(NEXT) | instid1(VALU_DEP_1)
	v_clz_i32_u32_e32 v87, v87
	v_min_u32_e32 v87, 32, v87
	s_delay_alu instid0(VALU_DEP_1) | instskip(SKIP_1) | instid1(VALU_DEP_1)
	v_subrev_nc_u32_e32 v93, 28, v87
	v_sub_nc_u32_e32 v87, 29, v87
	v_dual_cndmask_b32 v29, v88, v87, s0 :: v_dual_cndmask_b32 v87, 0, v93, s0
	s_delay_alu instid0(VALU_DEP_1) | instskip(NEXT) | instid1(VALU_DEP_2)
	v_lshl_add_u32 v29, v29, 23, 0x3c000000
	v_lshlrev_b64_e32 v[94:95], v87, v[18:19]
	v_lshlrev_b32_e32 v87, 24, v18
	s_delay_alu instid0(VALU_DEP_1) | instskip(NEXT) | instid1(VALU_DEP_3)
	v_and_b32_e32 v87, 0x80000000, v87
	v_lshlrev_b32_e32 v88, 20, v94
	s_delay_alu instid0(VALU_DEP_1) | instskip(NEXT) | instid1(VALU_DEP_1)
	v_and_b32_e32 v88, 0x700000, v88
	v_or3_b32 v88, v88, v87, v29
.LBB321_958:                            ;   in Loop: Header=BB321_552 Depth=1
	s_or_b32 exec_lo, exec_lo, s15
.LBB321_959:                            ;   in Loop: Header=BB321_552 Depth=1
	s_delay_alu instid0(SALU_CYCLE_1)
	s_or_b32 exec_lo, exec_lo, s14
.LBB321_960:                            ;   in Loop: Header=BB321_552 Depth=1
	s_delay_alu instid0(SALU_CYCLE_1) | instskip(SKIP_2) | instid1(VALU_DEP_1)
	s_or_b32 exec_lo, exec_lo, s11
	v_lshrrev_b16 v29, 8, v18
	s_mov_b32 s11, exec_lo
	v_cmpx_ne_u16_e32 0, v29
	s_cbranch_execz .LBB321_968
; %bb.961:                              ;   in Loop: Header=BB321_552 Depth=1
	v_bfrev_b32_e32 v28, 1
	s_mov_b32 s14, exec_lo
	v_cmpx_ne_u16_e32 0x80, v29
	s_cbranch_execz .LBB321_967
; %bb.962:                              ;   in Loop: Header=BB321_552 Depth=1
	v_and_b32_e32 v29, 0xffff, v29
	v_mov_b32_e32 v28, 0x7f800001
	s_mov_b32 s15, exec_lo
	s_delay_alu instid0(VALU_DEP_2) | instskip(NEXT) | instid1(VALU_DEP_1)
	v_and_b32_e32 v93, 0x7f, v29
	v_cmpx_ne_u32_e32 0x7f, v93
	s_cbranch_execz .LBB321_966
; %bb.963:                              ;   in Loop: Header=BB321_552 Depth=1
	v_dual_mov_b32 v29, v19 :: v_dual_bitop2_b32 v28, 7, v29 bitop3:0x40
	v_lshrrev_b32_e32 v87, 3, v93
	s_mov_b32 s16, exec_lo
	v_cmpx_gt_u32_e32 8, v93
; %bb.964:                              ;   in Loop: Header=BB321_552 Depth=1
	s_delay_alu instid0(VALU_DEP_3) | instskip(NEXT) | instid1(VALU_DEP_1)
	v_clz_i32_u32_e32 v87, v28
	v_min_u32_e32 v87, 32, v87
	s_delay_alu instid0(VALU_DEP_1) | instskip(NEXT) | instid1(VALU_DEP_1)
	v_subrev_nc_u32_e32 v93, 28, v87
	v_lshlrev_b64_e32 v[28:29], v93, v[28:29]
	s_delay_alu instid0(VALU_DEP_1)
	v_dual_sub_nc_u32 v87, 29, v87 :: v_dual_bitop2_b32 v28, 7, v28 bitop3:0x40
; %bb.965:                              ;   in Loop: Header=BB321_552 Depth=1
	s_or_b32 exec_lo, exec_lo, s16
	s_delay_alu instid0(VALU_DEP_1) | instskip(NEXT) | instid1(VALU_DEP_2)
	v_dual_lshlrev_b32 v18, 16, v18 :: v_dual_lshlrev_b32 v28, 20, v28
	v_lshl_add_u32 v29, v87, 23, 0x3c000000
	s_delay_alu instid0(VALU_DEP_2) | instskip(NEXT) | instid1(VALU_DEP_1)
	v_and_b32_e32 v18, 0x80000000, v18
	v_or3_b32 v28, v28, v18, v29
.LBB321_966:                            ;   in Loop: Header=BB321_552 Depth=1
	s_or_b32 exec_lo, exec_lo, s15
.LBB321_967:                            ;   in Loop: Header=BB321_552 Depth=1
	s_delay_alu instid0(SALU_CYCLE_1)
	s_or_b32 exec_lo, exec_lo, s14
.LBB321_968:                            ;   in Loop: Header=BB321_552 Depth=1
	s_delay_alu instid0(SALU_CYCLE_1) | instskip(SKIP_3) | instid1(VALU_DEP_2)
	s_or_b32 exec_lo, exec_lo, s11
	v_dual_lshrrev_b32 v87, 16, v27 :: v_dual_mov_b32 v29, 0
	v_mov_b32_e32 v93, 0
	s_mov_b32 s11, exec_lo
	v_and_b32_e32 v18, 0xff, v87
	s_delay_alu instid0(VALU_DEP_1)
	v_cmpx_ne_u16_e32 0, v18
	s_cbranch_execz .LBB321_976
; %bb.969:                              ;   in Loop: Header=BB321_552 Depth=1
	v_bfrev_b32_e32 v93, 1
	s_mov_b32 s14, exec_lo
	v_cmpx_ne_u16_e32 0x80, v18
	s_cbranch_execz .LBB321_975
; %bb.970:                              ;   in Loop: Header=BB321_552 Depth=1
	v_bfe_u32 v94, v27, 16, 7
	v_mov_b32_e32 v93, 0x7f800001
	s_mov_b32 s15, exec_lo
	s_delay_alu instid0(VALU_DEP_2)
	v_cmpx_ne_u32_e32 0x7f, v94
	s_cbranch_execz .LBB321_974
; %bb.971:                              ;   in Loop: Header=BB321_552 Depth=1
	v_dual_lshrrev_b32 v93, 3, v94 :: v_dual_bitop2_b32 v18, 7, v87 bitop3:0x40
	s_mov_b32 s16, exec_lo
	v_cmpx_gt_u32_e32 8, v94
; %bb.972:                              ;   in Loop: Header=BB321_552 Depth=1
	s_delay_alu instid0(VALU_DEP_2) | instskip(NEXT) | instid1(VALU_DEP_1)
	v_clz_i32_u32_e32 v93, v18
	v_min_u32_e32 v93, 32, v93
	s_delay_alu instid0(VALU_DEP_1) | instskip(NEXT) | instid1(VALU_DEP_1)
	v_subrev_nc_u32_e32 v94, 28, v93
	v_lshlrev_b64_e32 v[94:95], v94, v[18:19]
	s_delay_alu instid0(VALU_DEP_1)
	v_dual_sub_nc_u32 v93, 29, v93 :: v_dual_bitop2_b32 v18, 7, v94 bitop3:0x40
; %bb.973:                              ;   in Loop: Header=BB321_552 Depth=1
	s_or_b32 exec_lo, exec_lo, s16
	s_delay_alu instid0(VALU_DEP_1) | instskip(NEXT) | instid1(VALU_DEP_2)
	v_dual_lshlrev_b32 v87, 24, v87 :: v_dual_lshlrev_b32 v18, 20, v18
	v_lshl_add_u32 v93, v93, 23, 0x3c000000
	s_delay_alu instid0(VALU_DEP_2) | instskip(NEXT) | instid1(VALU_DEP_1)
	v_and_b32_e32 v87, 0x80000000, v87
	v_or3_b32 v93, v18, v87, v93
.LBB321_974:                            ;   in Loop: Header=BB321_552 Depth=1
	s_or_b32 exec_lo, exec_lo, s15
.LBB321_975:                            ;   in Loop: Header=BB321_552 Depth=1
	s_delay_alu instid0(SALU_CYCLE_1)
	s_or_b32 exec_lo, exec_lo, s14
.LBB321_976:                            ;   in Loop: Header=BB321_552 Depth=1
	s_delay_alu instid0(SALU_CYCLE_1) | instskip(NEXT) | instid1(SALU_CYCLE_1)
	s_or_b32 exec_lo, exec_lo, s11
	s_mov_b32 s11, exec_lo
	v_cmpx_lt_u64_e64 s[2:3], v[26:27]
	s_cbranch_execz .LBB321_984
; %bb.977:                              ;   in Loop: Header=BB321_552 Depth=1
	v_lshrrev_b32_e32 v26, 24, v27
	v_bfrev_b32_e32 v29, 1
	s_mov_b32 s14, exec_lo
	s_delay_alu instid0(VALU_DEP_2)
	v_cmpx_ne_u32_e32 0x80, v26
	s_cbranch_execz .LBB321_983
; %bb.978:                              ;   in Loop: Header=BB321_552 Depth=1
	v_bfe_u32 v87, v27, 24, 7
	v_mov_b32_e32 v29, 0x7f800001
	s_mov_b32 s15, exec_lo
	s_delay_alu instid0(VALU_DEP_2)
	v_cmpx_ne_u32_e32 0x7f, v87
	s_cbranch_execz .LBB321_982
; %bb.979:                              ;   in Loop: Header=BB321_552 Depth=1
	v_dual_lshrrev_b32 v27, 3, v87 :: v_dual_bitop2_b32 v18, 7, v26 bitop3:0x40
	s_mov_b32 s16, exec_lo
	v_cmpx_gt_u32_e32 8, v87
; %bb.980:                              ;   in Loop: Header=BB321_552 Depth=1
	s_delay_alu instid0(VALU_DEP_2) | instskip(NEXT) | instid1(VALU_DEP_1)
	v_clz_i32_u32_e32 v27, v18
	v_min_u32_e32 v27, 32, v27
	s_delay_alu instid0(VALU_DEP_1) | instskip(NEXT) | instid1(VALU_DEP_1)
	v_subrev_nc_u32_e32 v29, 28, v27
	v_lshlrev_b64_e32 v[94:95], v29, v[18:19]
	s_delay_alu instid0(VALU_DEP_1)
	v_dual_sub_nc_u32 v27, 29, v27 :: v_dual_bitop2_b32 v18, 7, v94 bitop3:0x40
; %bb.981:                              ;   in Loop: Header=BB321_552 Depth=1
	s_or_b32 exec_lo, exec_lo, s16
	v_lshlrev_b32_e32 v26, 24, v26
	s_delay_alu instid0(VALU_DEP_2) | instskip(NEXT) | instid1(VALU_DEP_3)
	v_lshlrev_b32_e32 v18, 20, v18
	v_lshl_add_u32 v27, v27, 23, 0x3c000000
	s_delay_alu instid0(VALU_DEP_3) | instskip(NEXT) | instid1(VALU_DEP_1)
	v_and_b32_e32 v26, 0x80000000, v26
	v_or3_b32 v29, v18, v26, v27
.LBB321_982:                            ;   in Loop: Header=BB321_552 Depth=1
	s_or_b32 exec_lo, exec_lo, s15
.LBB321_983:                            ;   in Loop: Header=BB321_552 Depth=1
	s_delay_alu instid0(SALU_CYCLE_1)
	s_or_b32 exec_lo, exec_lo, s14
.LBB321_984:                            ;   in Loop: Header=BB321_552 Depth=1
	s_delay_alu instid0(SALU_CYCLE_1)
	s_or_b32 exec_lo, exec_lo, s11
	v_fma_mixlo_bf16 v87, s6, v28, 0
	v_fma_mixlo_bf16 v88, s6, v88, 0
	;; [unrolled: 1-line block ×8, first 2 shown]
	s_and_saveexec_b32 s11, vcc_lo
	s_cbranch_execz .LBB321_986
; %bb.985:                              ;   in Loop: Header=BB321_552 Depth=1
	v_cmp_gt_i32_e64 s0, s23, v42
	s_delay_alu instid0(VALU_DEP_1) | instskip(SKIP_1) | instid1(VALU_DEP_1)
	v_cndmask_b32_e64 v92, 0, v92, s0
	v_cmp_gt_i32_e64 s0, s23, v48
	v_cndmask_b32_e64 v91, 0, v91, s0
	v_cmp_gt_i32_e64 s0, s23, v47
	s_delay_alu instid0(VALU_DEP_1) | instskip(SKIP_1) | instid1(VALU_DEP_1)
	v_cndmask_b32_e64 v90, 0, v90, s0
	v_cmp_gt_i32_e64 s0, s23, v46
	v_cndmask_b32_e64 v89, 0, v89, s0
	;; [unrolled: 5-line block ×4, first 2 shown]
.LBB321_986:                            ;   in Loop: Header=BB321_552 Depth=1
	s_or_b32 exec_lo, exec_lo, s11
	global_load_b64 v[24:25], v[24:25], off offset:1792
	v_dual_mov_b32 v94, 0 :: v_dual_mov_b32 v93, 0
	s_mov_b32 s11, exec_lo
	s_wait_loadcnt 0x0
	v_and_b32_e32 v18, 0xff, v24
	s_delay_alu instid0(VALU_DEP_1)
	v_cmpx_ne_u16_e32 0, v18
	s_cbranch_execz .LBB321_992
; %bb.987:                              ;   in Loop: Header=BB321_552 Depth=1
	v_bfrev_b32_e32 v93, 1
	s_mov_b32 s14, exec_lo
	v_cmpx_ne_u16_e32 0x80, v18
	s_cbranch_execz .LBB321_991
; %bb.988:                              ;   in Loop: Header=BB321_552 Depth=1
	v_and_b32_e32 v18, 0x7f, v24
	v_mov_b32_e32 v93, 0x7f800001
	s_mov_b32 s15, exec_lo
	s_delay_alu instid0(VALU_DEP_2)
	v_cmpx_ne_u32_e32 0x7f, v18
	s_cbranch_execz .LBB321_990
; %bb.989:                              ;   in Loop: Header=BB321_552 Depth=1
	v_dual_lshrrev_b32 v27, 3, v18 :: v_dual_bitop2_b32 v26, 7, v24 bitop3:0x40
	v_cmp_gt_u32_e64 s0, 8, v18
	s_delay_alu instid0(VALU_DEP_2) | instskip(NEXT) | instid1(VALU_DEP_1)
	v_clz_i32_u32_e32 v26, v26
	v_min_u32_e32 v26, 32, v26
	s_delay_alu instid0(VALU_DEP_1) | instskip(SKIP_1) | instid1(VALU_DEP_1)
	v_subrev_nc_u32_e32 v93, 28, v26
	v_sub_nc_u32_e32 v26, 29, v26
	v_dual_cndmask_b32 v18, v27, v26, s0 :: v_dual_cndmask_b32 v26, 0, v93, s0
	s_delay_alu instid0(VALU_DEP_1) | instskip(NEXT) | instid1(VALU_DEP_2)
	v_lshl_add_u32 v18, v18, 23, 0x3c000000
	v_lshlrev_b64_e32 v[26:27], v26, v[24:25]
	v_lshlrev_b32_e32 v27, 24, v24
	s_delay_alu instid0(VALU_DEP_1) | instskip(NEXT) | instid1(VALU_DEP_3)
	v_and_b32_e32 v27, 0x80000000, v27
	v_lshlrev_b32_e32 v26, 20, v26
	s_delay_alu instid0(VALU_DEP_1) | instskip(NEXT) | instid1(VALU_DEP_1)
	v_and_b32_e32 v26, 0x700000, v26
	v_or3_b32 v93, v26, v27, v18
.LBB321_990:                            ;   in Loop: Header=BB321_552 Depth=1
	s_or_b32 exec_lo, exec_lo, s15
.LBB321_991:                            ;   in Loop: Header=BB321_552 Depth=1
	s_delay_alu instid0(SALU_CYCLE_1)
	s_or_b32 exec_lo, exec_lo, s14
.LBB321_992:                            ;   in Loop: Header=BB321_552 Depth=1
	s_delay_alu instid0(SALU_CYCLE_1) | instskip(SKIP_2) | instid1(VALU_DEP_1)
	s_or_b32 exec_lo, exec_lo, s11
	v_lshrrev_b16 v18, 8, v24
	s_mov_b32 s11, exec_lo
	v_cmpx_ne_u16_e32 0, v18
	s_cbranch_execz .LBB321_1000
; %bb.993:                              ;   in Loop: Header=BB321_552 Depth=1
	v_bfrev_b32_e32 v94, 1
	s_mov_b32 s14, exec_lo
	v_cmpx_ne_u16_e32 0x80, v18
	s_cbranch_execz .LBB321_999
; %bb.994:                              ;   in Loop: Header=BB321_552 Depth=1
	v_and_b32_e32 v18, 0xffff, v18
	v_mov_b32_e32 v94, 0x7f800001
	s_mov_b32 s15, exec_lo
	s_delay_alu instid0(VALU_DEP_2) | instskip(NEXT) | instid1(VALU_DEP_1)
	v_and_b32_e32 v27, 0x7f, v18
	v_cmpx_ne_u32_e32 0x7f, v27
	s_cbranch_execz .LBB321_998
; %bb.995:                              ;   in Loop: Header=BB321_552 Depth=1
	v_dual_lshrrev_b32 v26, 3, v27 :: v_dual_bitop2_b32 v18, 7, v18 bitop3:0x40
	s_mov_b32 s16, exec_lo
	v_cmpx_gt_u32_e32 8, v27
; %bb.996:                              ;   in Loop: Header=BB321_552 Depth=1
	s_delay_alu instid0(VALU_DEP_2) | instskip(NEXT) | instid1(VALU_DEP_1)
	v_clz_i32_u32_e32 v26, v18
	v_min_u32_e32 v26, 32, v26
	s_delay_alu instid0(VALU_DEP_1) | instskip(SKIP_1) | instid1(VALU_DEP_2)
	v_subrev_nc_u32_e32 v27, 28, v26
	v_sub_nc_u32_e32 v26, 29, v26
	v_lshlrev_b64_e32 v[94:95], v27, v[18:19]
	s_delay_alu instid0(VALU_DEP_1)
	v_and_b32_e32 v18, 7, v94
; %bb.997:                              ;   in Loop: Header=BB321_552 Depth=1
	s_or_b32 exec_lo, exec_lo, s16
	s_delay_alu instid0(VALU_DEP_1) | instskip(SKIP_1) | instid1(VALU_DEP_2)
	v_dual_lshlrev_b32 v27, 16, v24 :: v_dual_lshlrev_b32 v18, 20, v18
	v_lshl_add_u32 v26, v26, 23, 0x3c000000
	v_and_b32_e32 v27, 0x80000000, v27
	s_delay_alu instid0(VALU_DEP_1)
	v_or3_b32 v94, v18, v27, v26
.LBB321_998:                            ;   in Loop: Header=BB321_552 Depth=1
	s_or_b32 exec_lo, exec_lo, s15
.LBB321_999:                            ;   in Loop: Header=BB321_552 Depth=1
	s_delay_alu instid0(SALU_CYCLE_1)
	s_or_b32 exec_lo, exec_lo, s14
.LBB321_1000:                           ;   in Loop: Header=BB321_552 Depth=1
	s_delay_alu instid0(SALU_CYCLE_1) | instskip(SKIP_3) | instid1(VALU_DEP_2)
	s_or_b32 exec_lo, exec_lo, s11
	v_dual_lshrrev_b32 v26, 16, v24 :: v_dual_mov_b32 v96, 0
	v_mov_b32_e32 v95, 0
	s_mov_b32 s11, exec_lo
	v_and_b32_e32 v18, 0xff, v26
	s_delay_alu instid0(VALU_DEP_1)
	v_cmpx_ne_u16_e32 0, v18
	s_cbranch_execz .LBB321_1008
; %bb.1001:                             ;   in Loop: Header=BB321_552 Depth=1
	v_bfrev_b32_e32 v95, 1
	s_mov_b32 s14, exec_lo
	v_cmpx_ne_u16_e32 0x80, v18
	s_cbranch_execz .LBB321_1007
; %bb.1002:                             ;   in Loop: Header=BB321_552 Depth=1
	v_bfe_u32 v97, v24, 16, 7
	v_mov_b32_e32 v95, 0x7f800001
	s_mov_b32 s15, exec_lo
	s_delay_alu instid0(VALU_DEP_2)
	v_cmpx_ne_u32_e32 0x7f, v97
	s_cbranch_execz .LBB321_1006
; %bb.1003:                             ;   in Loop: Header=BB321_552 Depth=1
	v_dual_lshrrev_b32 v27, 3, v97 :: v_dual_bitop2_b32 v18, 7, v26 bitop3:0x40
	s_mov_b32 s16, exec_lo
	v_cmpx_gt_u32_e32 8, v97
; %bb.1004:                             ;   in Loop: Header=BB321_552 Depth=1
	s_delay_alu instid0(VALU_DEP_2) | instskip(NEXT) | instid1(VALU_DEP_1)
	v_clz_i32_u32_e32 v27, v18
	v_min_u32_e32 v27, 32, v27
	s_delay_alu instid0(VALU_DEP_1) | instskip(NEXT) | instid1(VALU_DEP_1)
	v_subrev_nc_u32_e32 v95, 28, v27
	v_lshlrev_b64_e32 v[98:99], v95, v[18:19]
	s_delay_alu instid0(VALU_DEP_1)
	v_dual_sub_nc_u32 v27, 29, v27 :: v_dual_bitop2_b32 v18, 7, v98 bitop3:0x40
; %bb.1005:                             ;   in Loop: Header=BB321_552 Depth=1
	s_or_b32 exec_lo, exec_lo, s16
	v_lshlrev_b32_e32 v26, 24, v26
	s_delay_alu instid0(VALU_DEP_2) | instskip(NEXT) | instid1(VALU_DEP_3)
	v_lshlrev_b32_e32 v18, 20, v18
	v_lshl_add_u32 v27, v27, 23, 0x3c000000
	s_delay_alu instid0(VALU_DEP_3) | instskip(NEXT) | instid1(VALU_DEP_1)
	v_and_b32_e32 v26, 0x80000000, v26
	v_or3_b32 v95, v18, v26, v27
.LBB321_1006:                           ;   in Loop: Header=BB321_552 Depth=1
	s_or_b32 exec_lo, exec_lo, s15
.LBB321_1007:                           ;   in Loop: Header=BB321_552 Depth=1
	s_delay_alu instid0(SALU_CYCLE_1)
	s_or_b32 exec_lo, exec_lo, s14
.LBB321_1008:                           ;   in Loop: Header=BB321_552 Depth=1
	s_delay_alu instid0(SALU_CYCLE_1) | instskip(NEXT) | instid1(SALU_CYCLE_1)
	s_or_b32 exec_lo, exec_lo, s11
	s_mov_b32 s11, exec_lo
	v_cmpx_lt_u32_e32 0xffffff, v24
	s_cbranch_execz .LBB321_1016
; %bb.1009:                             ;   in Loop: Header=BB321_552 Depth=1
	v_lshrrev_b32_e32 v26, 24, v24
	v_bfrev_b32_e32 v96, 1
	s_mov_b32 s14, exec_lo
	s_delay_alu instid0(VALU_DEP_2)
	v_cmpx_ne_u32_e32 0x80, v26
	s_cbranch_execz .LBB321_1015
; %bb.1010:                             ;   in Loop: Header=BB321_552 Depth=1
	v_bfe_u32 v97, v24, 24, 7
	v_mov_b32_e32 v96, 0x7f800001
	s_mov_b32 s15, exec_lo
	s_delay_alu instid0(VALU_DEP_2)
	v_cmpx_ne_u32_e32 0x7f, v97
	s_cbranch_execz .LBB321_1014
; %bb.1011:                             ;   in Loop: Header=BB321_552 Depth=1
	v_dual_lshrrev_b32 v27, 3, v97 :: v_dual_bitop2_b32 v18, 7, v26 bitop3:0x40
	s_mov_b32 s16, exec_lo
	v_cmpx_gt_u32_e32 8, v97
; %bb.1012:                             ;   in Loop: Header=BB321_552 Depth=1
	s_delay_alu instid0(VALU_DEP_2) | instskip(NEXT) | instid1(VALU_DEP_1)
	v_clz_i32_u32_e32 v27, v18
	v_min_u32_e32 v27, 32, v27
	s_delay_alu instid0(VALU_DEP_1) | instskip(NEXT) | instid1(VALU_DEP_1)
	v_subrev_nc_u32_e32 v96, 28, v27
	v_lshlrev_b64_e32 v[96:97], v96, v[18:19]
	s_delay_alu instid0(VALU_DEP_1)
	v_dual_sub_nc_u32 v27, 29, v27 :: v_dual_bitop2_b32 v18, 7, v96 bitop3:0x40
; %bb.1013:                             ;   in Loop: Header=BB321_552 Depth=1
	s_or_b32 exec_lo, exec_lo, s16
	v_lshlrev_b32_e32 v26, 24, v26
	s_delay_alu instid0(VALU_DEP_2) | instskip(NEXT) | instid1(VALU_DEP_3)
	v_lshlrev_b32_e32 v18, 20, v18
	v_lshl_add_u32 v27, v27, 23, 0x3c000000
	s_delay_alu instid0(VALU_DEP_3) | instskip(NEXT) | instid1(VALU_DEP_1)
	v_and_b32_e32 v26, 0x80000000, v26
	v_or3_b32 v96, v18, v26, v27
.LBB321_1014:                           ;   in Loop: Header=BB321_552 Depth=1
	s_or_b32 exec_lo, exec_lo, s15
.LBB321_1015:                           ;   in Loop: Header=BB321_552 Depth=1
	s_delay_alu instid0(SALU_CYCLE_1)
	s_or_b32 exec_lo, exec_lo, s14
.LBB321_1016:                           ;   in Loop: Header=BB321_552 Depth=1
	s_delay_alu instid0(SALU_CYCLE_1) | instskip(SKIP_4) | instid1(VALU_DEP_3)
	s_or_b32 exec_lo, exec_lo, s11
	v_and_b32_e32 v27, 0xff, v25
	v_dual_mov_b32 v18, v25 :: v_dual_mov_b32 v26, 0
	v_mov_b32_e32 v97, 0
	s_mov_b32 s11, exec_lo
	v_cmpx_ne_u16_e32 0, v27
	s_cbranch_execz .LBB321_1022
; %bb.1017:                             ;   in Loop: Header=BB321_552 Depth=1
	v_bfrev_b32_e32 v97, 1
	s_mov_b32 s14, exec_lo
	v_cmpx_ne_u16_e32 0x80, v27
	s_cbranch_execz .LBB321_1021
; %bb.1018:                             ;   in Loop: Header=BB321_552 Depth=1
	v_and_b32_e32 v27, 0x7f, v25
	v_mov_b32_e32 v97, 0x7f800001
	s_mov_b32 s15, exec_lo
	s_delay_alu instid0(VALU_DEP_2)
	v_cmpx_ne_u32_e32 0x7f, v27
	s_cbranch_execz .LBB321_1020
; %bb.1019:                             ;   in Loop: Header=BB321_552 Depth=1
	v_dual_lshrrev_b32 v98, 3, v27 :: v_dual_bitop2_b32 v97, 7, v25 bitop3:0x40
	v_cmp_gt_u32_e64 s0, 8, v27
	s_delay_alu instid0(VALU_DEP_2) | instskip(NEXT) | instid1(VALU_DEP_1)
	v_clz_i32_u32_e32 v97, v97
	v_min_u32_e32 v97, 32, v97
	s_delay_alu instid0(VALU_DEP_1) | instskip(SKIP_1) | instid1(VALU_DEP_1)
	v_subrev_nc_u32_e32 v99, 28, v97
	v_sub_nc_u32_e32 v97, 29, v97
	v_dual_cndmask_b32 v27, v98, v97, s0 :: v_dual_cndmask_b32 v97, 0, v99, s0
	s_delay_alu instid0(VALU_DEP_1) | instskip(NEXT) | instid1(VALU_DEP_2)
	v_lshl_add_u32 v27, v27, 23, 0x3c000000
	v_lshlrev_b64_e32 v[98:99], v97, v[18:19]
	v_lshlrev_b32_e32 v97, 24, v18
	s_delay_alu instid0(VALU_DEP_1) | instskip(NEXT) | instid1(VALU_DEP_3)
	v_and_b32_e32 v97, 0x80000000, v97
	v_lshlrev_b32_e32 v98, 20, v98
	s_delay_alu instid0(VALU_DEP_1) | instskip(NEXT) | instid1(VALU_DEP_1)
	v_and_b32_e32 v98, 0x700000, v98
	v_or3_b32 v97, v98, v97, v27
.LBB321_1020:                           ;   in Loop: Header=BB321_552 Depth=1
	s_or_b32 exec_lo, exec_lo, s15
.LBB321_1021:                           ;   in Loop: Header=BB321_552 Depth=1
	s_delay_alu instid0(SALU_CYCLE_1)
	s_or_b32 exec_lo, exec_lo, s14
.LBB321_1022:                           ;   in Loop: Header=BB321_552 Depth=1
	s_delay_alu instid0(SALU_CYCLE_1) | instskip(SKIP_2) | instid1(VALU_DEP_1)
	s_or_b32 exec_lo, exec_lo, s11
	v_lshrrev_b16 v27, 8, v18
	s_mov_b32 s11, exec_lo
	v_cmpx_ne_u16_e32 0, v27
	s_cbranch_execz .LBB321_1030
; %bb.1023:                             ;   in Loop: Header=BB321_552 Depth=1
	v_bfrev_b32_e32 v26, 1
	s_mov_b32 s14, exec_lo
	v_cmpx_ne_u16_e32 0x80, v27
	s_cbranch_execz .LBB321_1029
; %bb.1024:                             ;   in Loop: Header=BB321_552 Depth=1
	v_and_b32_e32 v27, 0xffff, v27
	v_mov_b32_e32 v26, 0x7f800001
	s_mov_b32 s15, exec_lo
	s_delay_alu instid0(VALU_DEP_2) | instskip(NEXT) | instid1(VALU_DEP_1)
	v_and_b32_e32 v99, 0x7f, v27
	v_cmpx_ne_u32_e32 0x7f, v99
	s_cbranch_execz .LBB321_1028
; %bb.1025:                             ;   in Loop: Header=BB321_552 Depth=1
	v_dual_mov_b32 v27, v19 :: v_dual_bitop2_b32 v26, 7, v27 bitop3:0x40
	v_lshrrev_b32_e32 v98, 3, v99
	s_mov_b32 s16, exec_lo
	v_cmpx_gt_u32_e32 8, v99
; %bb.1026:                             ;   in Loop: Header=BB321_552 Depth=1
	s_delay_alu instid0(VALU_DEP_3) | instskip(NEXT) | instid1(VALU_DEP_1)
	v_clz_i32_u32_e32 v98, v26
	v_min_u32_e32 v98, 32, v98
	s_delay_alu instid0(VALU_DEP_1) | instskip(SKIP_1) | instid1(VALU_DEP_2)
	v_subrev_nc_u32_e32 v99, 28, v98
	v_sub_nc_u32_e32 v98, 29, v98
	v_lshlrev_b64_e32 v[26:27], v99, v[26:27]
	s_delay_alu instid0(VALU_DEP_1)
	v_and_b32_e32 v26, 7, v26
; %bb.1027:                             ;   in Loop: Header=BB321_552 Depth=1
	s_or_b32 exec_lo, exec_lo, s16
	v_lshlrev_b32_e32 v18, 16, v18
	s_delay_alu instid0(VALU_DEP_2) | instskip(SKIP_1) | instid1(VALU_DEP_3)
	v_lshlrev_b32_e32 v26, 20, v26
	v_lshl_add_u32 v27, v98, 23, 0x3c000000
	v_and_b32_e32 v18, 0x80000000, v18
	s_delay_alu instid0(VALU_DEP_1)
	v_or3_b32 v26, v26, v18, v27
.LBB321_1028:                           ;   in Loop: Header=BB321_552 Depth=1
	s_or_b32 exec_lo, exec_lo, s15
.LBB321_1029:                           ;   in Loop: Header=BB321_552 Depth=1
	s_delay_alu instid0(SALU_CYCLE_1)
	s_or_b32 exec_lo, exec_lo, s14
.LBB321_1030:                           ;   in Loop: Header=BB321_552 Depth=1
	s_delay_alu instid0(SALU_CYCLE_1) | instskip(SKIP_3) | instid1(VALU_DEP_2)
	s_or_b32 exec_lo, exec_lo, s11
	v_dual_lshrrev_b32 v99, 16, v25 :: v_dual_mov_b32 v27, 0
	v_mov_b32_e32 v98, 0
	s_mov_b32 s11, exec_lo
	v_and_b32_e32 v18, 0xff, v99
	s_delay_alu instid0(VALU_DEP_1)
	v_cmpx_ne_u16_e32 0, v18
	s_cbranch_execz .LBB321_1038
; %bb.1031:                             ;   in Loop: Header=BB321_552 Depth=1
	v_bfrev_b32_e32 v98, 1
	s_mov_b32 s14, exec_lo
	v_cmpx_ne_u16_e32 0x80, v18
	s_cbranch_execz .LBB321_1037
; %bb.1032:                             ;   in Loop: Header=BB321_552 Depth=1
	v_bfe_u32 v100, v25, 16, 7
	v_mov_b32_e32 v98, 0x7f800001
	s_mov_b32 s15, exec_lo
	s_delay_alu instid0(VALU_DEP_2)
	v_cmpx_ne_u32_e32 0x7f, v100
	s_cbranch_execz .LBB321_1036
; %bb.1033:                             ;   in Loop: Header=BB321_552 Depth=1
	v_dual_lshrrev_b32 v98, 3, v100 :: v_dual_bitop2_b32 v18, 7, v99 bitop3:0x40
	s_mov_b32 s16, exec_lo
	v_cmpx_gt_u32_e32 8, v100
; %bb.1034:                             ;   in Loop: Header=BB321_552 Depth=1
	s_delay_alu instid0(VALU_DEP_2) | instskip(NEXT) | instid1(VALU_DEP_1)
	v_clz_i32_u32_e32 v98, v18
	v_min_u32_e32 v98, 32, v98
	s_delay_alu instid0(VALU_DEP_1) | instskip(NEXT) | instid1(VALU_DEP_1)
	v_subrev_nc_u32_e32 v100, 28, v98
	v_lshlrev_b64_e32 v[100:101], v100, v[18:19]
	s_delay_alu instid0(VALU_DEP_1)
	v_dual_sub_nc_u32 v98, 29, v98 :: v_dual_bitop2_b32 v18, 7, v100 bitop3:0x40
; %bb.1035:                             ;   in Loop: Header=BB321_552 Depth=1
	s_or_b32 exec_lo, exec_lo, s16
	s_delay_alu instid0(VALU_DEP_1) | instskip(NEXT) | instid1(VALU_DEP_2)
	v_dual_lshlrev_b32 v99, 24, v99 :: v_dual_lshlrev_b32 v18, 20, v18
	v_lshl_add_u32 v98, v98, 23, 0x3c000000
	s_delay_alu instid0(VALU_DEP_2) | instskip(NEXT) | instid1(VALU_DEP_1)
	v_and_b32_e32 v99, 0x80000000, v99
	v_or3_b32 v98, v18, v99, v98
.LBB321_1036:                           ;   in Loop: Header=BB321_552 Depth=1
	s_or_b32 exec_lo, exec_lo, s15
.LBB321_1037:                           ;   in Loop: Header=BB321_552 Depth=1
	s_delay_alu instid0(SALU_CYCLE_1)
	s_or_b32 exec_lo, exec_lo, s14
.LBB321_1038:                           ;   in Loop: Header=BB321_552 Depth=1
	s_delay_alu instid0(SALU_CYCLE_1) | instskip(NEXT) | instid1(SALU_CYCLE_1)
	s_or_b32 exec_lo, exec_lo, s11
	s_mov_b32 s11, exec_lo
	v_cmpx_lt_u64_e64 s[2:3], v[24:25]
	s_cbranch_execz .LBB321_1046
; %bb.1039:                             ;   in Loop: Header=BB321_552 Depth=1
	v_lshrrev_b32_e32 v24, 24, v25
	v_bfrev_b32_e32 v27, 1
	s_mov_b32 s14, exec_lo
	s_delay_alu instid0(VALU_DEP_2)
	v_cmpx_ne_u32_e32 0x80, v24
	s_cbranch_execz .LBB321_1045
; %bb.1040:                             ;   in Loop: Header=BB321_552 Depth=1
	v_bfe_u32 v99, v25, 24, 7
	v_mov_b32_e32 v27, 0x7f800001
	s_mov_b32 s15, exec_lo
	s_delay_alu instid0(VALU_DEP_2)
	v_cmpx_ne_u32_e32 0x7f, v99
	s_cbranch_execz .LBB321_1044
; %bb.1041:                             ;   in Loop: Header=BB321_552 Depth=1
	v_dual_lshrrev_b32 v25, 3, v99 :: v_dual_bitop2_b32 v18, 7, v24 bitop3:0x40
	s_mov_b32 s16, exec_lo
	v_cmpx_gt_u32_e32 8, v99
; %bb.1042:                             ;   in Loop: Header=BB321_552 Depth=1
	s_delay_alu instid0(VALU_DEP_2) | instskip(NEXT) | instid1(VALU_DEP_1)
	v_clz_i32_u32_e32 v25, v18
	v_min_u32_e32 v25, 32, v25
	s_delay_alu instid0(VALU_DEP_1) | instskip(NEXT) | instid1(VALU_DEP_1)
	v_subrev_nc_u32_e32 v27, 28, v25
	v_lshlrev_b64_e32 v[100:101], v27, v[18:19]
	s_delay_alu instid0(VALU_DEP_1)
	v_dual_sub_nc_u32 v25, 29, v25 :: v_dual_bitop2_b32 v18, 7, v100 bitop3:0x40
; %bb.1043:                             ;   in Loop: Header=BB321_552 Depth=1
	s_or_b32 exec_lo, exec_lo, s16
	s_delay_alu instid0(VALU_DEP_1) | instskip(NEXT) | instid1(VALU_DEP_2)
	v_dual_lshlrev_b32 v24, 24, v24 :: v_dual_lshlrev_b32 v18, 20, v18
	v_lshl_add_u32 v25, v25, 23, 0x3c000000
	s_delay_alu instid0(VALU_DEP_2) | instskip(NEXT) | instid1(VALU_DEP_1)
	v_and_b32_e32 v24, 0x80000000, v24
	v_or3_b32 v27, v18, v24, v25
.LBB321_1044:                           ;   in Loop: Header=BB321_552 Depth=1
	s_or_b32 exec_lo, exec_lo, s15
.LBB321_1045:                           ;   in Loop: Header=BB321_552 Depth=1
	s_delay_alu instid0(SALU_CYCLE_1)
	s_or_b32 exec_lo, exec_lo, s14
.LBB321_1046:                           ;   in Loop: Header=BB321_552 Depth=1
	s_delay_alu instid0(SALU_CYCLE_1)
	s_or_b32 exec_lo, exec_lo, s11
	v_fma_mixlo_bf16 v18, s6, v26, 0
	v_fma_mixlo_bf16 v24, s6, v97, 0
	;; [unrolled: 1-line block ×8, first 2 shown]
	s_and_saveexec_b32 s0, vcc_lo
	s_cbranch_execz .LBB321_551
; %bb.1047:                             ;   in Loop: Header=BB321_552 Depth=1
	v_cmp_gt_i32_e32 vcc_lo, s23, v42
	v_cndmask_b32_e32 v93, 0, v93, vcc_lo
	v_cmp_gt_i32_e32 vcc_lo, s23, v48
	v_cndmask_b32_e32 v94, 0, v94, vcc_lo
	;; [unrolled: 2-line block ×8, first 2 shown]
	s_branch .LBB321_551
.LBB321_1048:
	s_or_b32 exec_lo, exec_lo, s9
	v_dual_mov_b32 v22, v102 :: v_dual_mov_b32 v82, v103
.LBB321_1049:
	s_or_b32 exec_lo, exec_lo, s1
	v_lshl_add_u32 v1, v30, 2, 0x220
	s_delay_alu instid0(VALU_DEP_2) | instskip(SKIP_2) | instid1(VALU_DEP_2)
	v_and_b32_e32 v2, 0x3c0, v22
	s_mov_b32 s0, exec_lo
	s_barrier_signal -1
	v_lshl_add_u32 v0, v82, 10, v1
	s_barrier_wait -1
	v_cmpx_eq_u32_e32 64, v2
	s_cbranch_execz .LBB321_1051
; %bb.1050:
	s_delay_alu instid0(VALU_DEP_2)
	v_add_nc_u32_e32 v2, 0xfffff800, v0
	v_add_nc_u32_e32 v3, 0xfffff880, v0
	;; [unrolled: 1-line block ×8, first 2 shown]
	ds_store_b32 v2, v16
	ds_store_b32 v3, v17
	;; [unrolled: 1-line block ×8, first 2 shown]
.LBB321_1051:
	s_or_b32 exec_lo, exec_lo, s0
	s_delay_alu instid0(SALU_CYCLE_1)
	s_mov_b32 s0, exec_lo
	s_wait_dscnt 0x0
	s_barrier_signal -1
	s_barrier_wait -1
	v_cmpx_gt_u32_e32 64, v22
	s_cbranch_execz .LBB321_1053
; %bb.1052:
	ds_load_2addr_b32 v[2:3], v0 offset1:32
	ds_load_2addr_b32 v[4:5], v0 offset0:64 offset1:96
	ds_load_2addr_b32 v[6:7], v0 offset0:128 offset1:160
	;; [unrolled: 1-line block ×3, first 2 shown]
	s_wait_dscnt 0x3
	v_pk_add_f32 v[16:17], v[16:17], v[2:3]
	s_wait_dscnt 0x2
	v_pk_add_f32 v[14:15], v[14:15], v[4:5]
	;; [unrolled: 2-line block ×4, first 2 shown]
.LBB321_1053:
	s_or_b32 exec_lo, exec_lo, s0
	v_and_b32_e32 v2, 0x3e0, v22
	s_mov_b32 s0, exec_lo
	s_barrier_signal -1
	s_barrier_wait -1
	s_delay_alu instid0(VALU_DEP_1)
	v_cmpx_eq_u32_e32 32, v2
	s_cbranch_execz .LBB321_1055
; %bb.1054:
	ds_store_2addr_b32 v1, v16, v17 offset1:32
	ds_store_2addr_b32 v1, v14, v15 offset0:64 offset1:96
	ds_store_2addr_b32 v1, v12, v13 offset0:128 offset1:160
	;; [unrolled: 1-line block ×3, first 2 shown]
.LBB321_1055:
	s_or_b32 exec_lo, exec_lo, s0
	v_cmp_gt_u32_e32 vcc_lo, 32, v22
	s_wait_dscnt 0x0
	s_barrier_signal -1
	s_barrier_wait -1
	s_and_saveexec_b32 s0, vcc_lo
	s_cbranch_execz .LBB321_1057
; %bb.1056:
	ds_load_2addr_b32 v[2:3], v0 offset1:32
	ds_load_2addr_b32 v[4:5], v0 offset0:64 offset1:96
	ds_load_2addr_b32 v[6:7], v0 offset0:128 offset1:160
	;; [unrolled: 1-line block ×3, first 2 shown]
	s_wait_dscnt 0x3
	v_pk_add_f32 v[16:17], v[16:17], v[2:3]
	s_wait_dscnt 0x2
	v_pk_add_f32 v[14:15], v[14:15], v[4:5]
	;; [unrolled: 2-line block ×4, first 2 shown]
.LBB321_1057:
	s_or_b32 exec_lo, exec_lo, s0
	s_barrier_signal -1
	s_barrier_wait -1
	s_and_saveexec_b32 s0, vcc_lo
	s_cbranch_execz .LBB321_1059
; %bb.1058:
	s_mul_i32 s1, s22, s8
	s_bfe_u32 s7, ttmp6, 0x40014
	s_mul_i32 s1, s1, s21
	s_mul_i32 s0, s8, s12
	s_lshl_b32 s2, s1, 8
	s_lshr_b32 s6, ttmp7, 16
	s_ashr_i32 s3, s2, 31
	s_add_co_i32 s7, s7, 1
	s_lshl_b64 s[2:3], s[2:3], 1
	s_ashr_i32 s1, s0, 31
	s_wait_kmcnt 0x0
	s_add_nc_u64 s[2:3], s[4:5], s[2:3]
	s_mul_i32 s4, s6, s7
	s_bfe_u32 s5, ttmp6, 0x40008
	s_lshl_b64 s[0:1], s[0:1], 1
	s_add_co_i32 s5, s5, s4
	s_cmp_eq_u32 s20, 0
	s_add_nc_u64 s[0:1], s[2:3], s[0:1]
	s_cselect_b32 s2, s6, s5
	s_mov_b32 s3, 0
	s_lshl_b32 s2, s2, 9
	s_delay_alu instid0(SALU_CYCLE_1) | instskip(NEXT) | instid1(SALU_CYCLE_1)
	s_add_nc_u64 s[0:1], s[0:1], s[2:3]
	v_cvt_pk_bf16_f32 v0, v16, s0
	v_cvt_pk_bf16_f32 v1, v17, s0
	;; [unrolled: 1-line block ×8, first 2 shown]
	s_clause 0x7
	global_store_b16 v22, v0, s[0:1] scale_offset
	global_store_b16 v22, v1, s[0:1] offset:64 scale_offset
	global_store_b16 v22, v2, s[0:1] offset:128 scale_offset
	;; [unrolled: 1-line block ×7, first 2 shown]
.LBB321_1059:
	s_sendmsg sendmsg(MSG_DEALLOC_VGPRS)
	s_endpgm
	.section	.rodata,"a",@progbits
	.p2align	6, 0x0
	.amdhsa_kernel _ZN4vllm25paged_attention_v1_kernelI14__hip_bfloat16hLi256ELi8ELi128ELNS_18Fp8KVCacheDataTypeE1ELb0EEEvPT_PKS3_PKT0_S9_ifPKiSB_iPKfiiiSD_SD_iiiii
		.amdhsa_group_segment_fixed_size 544
		.amdhsa_private_segment_fixed_size 84
		.amdhsa_kernarg_size 384
		.amdhsa_user_sgpr_count 2
		.amdhsa_user_sgpr_dispatch_ptr 0
		.amdhsa_user_sgpr_queue_ptr 0
		.amdhsa_user_sgpr_kernarg_segment_ptr 1
		.amdhsa_user_sgpr_dispatch_id 0
		.amdhsa_user_sgpr_kernarg_preload_length 0
		.amdhsa_user_sgpr_kernarg_preload_offset 0
		.amdhsa_user_sgpr_private_segment_size 0
		.amdhsa_wavefront_size32 1
		.amdhsa_uses_dynamic_stack 0
		.amdhsa_enable_private_segment 1
		.amdhsa_system_sgpr_workgroup_id_x 1
		.amdhsa_system_sgpr_workgroup_id_y 1
		.amdhsa_system_sgpr_workgroup_id_z 1
		.amdhsa_system_sgpr_workgroup_info 0
		.amdhsa_system_vgpr_workitem_id 0
		.amdhsa_next_free_vgpr 128
		.amdhsa_next_free_sgpr 31
		.amdhsa_named_barrier_count 0
		.amdhsa_reserve_vcc 1
		.amdhsa_float_round_mode_32 0
		.amdhsa_float_round_mode_16_64 0
		.amdhsa_float_denorm_mode_32 3
		.amdhsa_float_denorm_mode_16_64 3
		.amdhsa_fp16_overflow 0
		.amdhsa_memory_ordered 1
		.amdhsa_forward_progress 1
		.amdhsa_inst_pref_size 255
		.amdhsa_round_robin_scheduling 0
		.amdhsa_exception_fp_ieee_invalid_op 0
		.amdhsa_exception_fp_denorm_src 0
		.amdhsa_exception_fp_ieee_div_zero 0
		.amdhsa_exception_fp_ieee_overflow 0
		.amdhsa_exception_fp_ieee_underflow 0
		.amdhsa_exception_fp_ieee_inexact 0
		.amdhsa_exception_int_div_zero 0
	.end_amdhsa_kernel
	.section	.text._ZN4vllm25paged_attention_v1_kernelI14__hip_bfloat16hLi256ELi8ELi128ELNS_18Fp8KVCacheDataTypeE1ELb0EEEvPT_PKS3_PKT0_S9_ifPKiSB_iPKfiiiSD_SD_iiiii,"axG",@progbits,_ZN4vllm25paged_attention_v1_kernelI14__hip_bfloat16hLi256ELi8ELi128ELNS_18Fp8KVCacheDataTypeE1ELb0EEEvPT_PKS3_PKT0_S9_ifPKiSB_iPKfiiiSD_SD_iiiii,comdat
.Lfunc_end321:
	.size	_ZN4vllm25paged_attention_v1_kernelI14__hip_bfloat16hLi256ELi8ELi128ELNS_18Fp8KVCacheDataTypeE1ELb0EEEvPT_PKS3_PKT0_S9_ifPKiSB_iPKfiiiSD_SD_iiiii, .Lfunc_end321-_ZN4vllm25paged_attention_v1_kernelI14__hip_bfloat16hLi256ELi8ELi128ELNS_18Fp8KVCacheDataTypeE1ELb0EEEvPT_PKS3_PKT0_S9_ifPKiSB_iPKfiiiSD_SD_iiiii
                                        ; -- End function
	.set _ZN4vllm25paged_attention_v1_kernelI14__hip_bfloat16hLi256ELi8ELi128ELNS_18Fp8KVCacheDataTypeE1ELb0EEEvPT_PKS3_PKT0_S9_ifPKiSB_iPKfiiiSD_SD_iiiii.num_vgpr, 128
	.set _ZN4vllm25paged_attention_v1_kernelI14__hip_bfloat16hLi256ELi8ELi128ELNS_18Fp8KVCacheDataTypeE1ELb0EEEvPT_PKS3_PKT0_S9_ifPKiSB_iPKfiiiSD_SD_iiiii.num_agpr, 0
	.set _ZN4vllm25paged_attention_v1_kernelI14__hip_bfloat16hLi256ELi8ELi128ELNS_18Fp8KVCacheDataTypeE1ELb0EEEvPT_PKS3_PKT0_S9_ifPKiSB_iPKfiiiSD_SD_iiiii.numbered_sgpr, 31
	.set _ZN4vllm25paged_attention_v1_kernelI14__hip_bfloat16hLi256ELi8ELi128ELNS_18Fp8KVCacheDataTypeE1ELb0EEEvPT_PKS3_PKT0_S9_ifPKiSB_iPKfiiiSD_SD_iiiii.num_named_barrier, 0
	.set _ZN4vllm25paged_attention_v1_kernelI14__hip_bfloat16hLi256ELi8ELi128ELNS_18Fp8KVCacheDataTypeE1ELb0EEEvPT_PKS3_PKT0_S9_ifPKiSB_iPKfiiiSD_SD_iiiii.private_seg_size, 84
	.set _ZN4vllm25paged_attention_v1_kernelI14__hip_bfloat16hLi256ELi8ELi128ELNS_18Fp8KVCacheDataTypeE1ELb0EEEvPT_PKS3_PKT0_S9_ifPKiSB_iPKfiiiSD_SD_iiiii.uses_vcc, 1
	.set _ZN4vllm25paged_attention_v1_kernelI14__hip_bfloat16hLi256ELi8ELi128ELNS_18Fp8KVCacheDataTypeE1ELb0EEEvPT_PKS3_PKT0_S9_ifPKiSB_iPKfiiiSD_SD_iiiii.uses_flat_scratch, 1
	.set _ZN4vllm25paged_attention_v1_kernelI14__hip_bfloat16hLi256ELi8ELi128ELNS_18Fp8KVCacheDataTypeE1ELb0EEEvPT_PKS3_PKT0_S9_ifPKiSB_iPKfiiiSD_SD_iiiii.has_dyn_sized_stack, 0
	.set _ZN4vllm25paged_attention_v1_kernelI14__hip_bfloat16hLi256ELi8ELi128ELNS_18Fp8KVCacheDataTypeE1ELb0EEEvPT_PKS3_PKT0_S9_ifPKiSB_iPKfiiiSD_SD_iiiii.has_recursion, 0
	.set _ZN4vllm25paged_attention_v1_kernelI14__hip_bfloat16hLi256ELi8ELi128ELNS_18Fp8KVCacheDataTypeE1ELb0EEEvPT_PKS3_PKT0_S9_ifPKiSB_iPKfiiiSD_SD_iiiii.has_indirect_call, 0
	.section	.AMDGPU.csdata,"",@progbits
; Kernel info:
; codeLenInByte = 38560
; TotalNumSgprs: 33
; NumVgprs: 128
; ScratchSize: 84
; MemoryBound: 0
; FloatMode: 240
; IeeeMode: 1
; LDSByteSize: 544 bytes/workgroup (compile time only)
; SGPRBlocks: 0
; VGPRBlocks: 7
; NumSGPRsForWavesPerEU: 33
; NumVGPRsForWavesPerEU: 128
; NamedBarCnt: 0
; Occupancy: 8
; WaveLimiterHint : 1
; COMPUTE_PGM_RSRC2:SCRATCH_EN: 1
; COMPUTE_PGM_RSRC2:USER_SGPR: 2
; COMPUTE_PGM_RSRC2:TRAP_HANDLER: 0
; COMPUTE_PGM_RSRC2:TGID_X_EN: 1
; COMPUTE_PGM_RSRC2:TGID_Y_EN: 1
; COMPUTE_PGM_RSRC2:TGID_Z_EN: 1
; COMPUTE_PGM_RSRC2:TIDIG_COMP_CNT: 0
	.section	.text._ZN4vllm25paged_attention_v1_kernelI14__hip_bfloat16hLi32ELi16ELi128ELNS_18Fp8KVCacheDataTypeE1ELb1EEEvPT_PKS3_PKT0_S9_ifPKiSB_iPKfiiiSD_SD_iiiii,"axG",@progbits,_ZN4vllm25paged_attention_v1_kernelI14__hip_bfloat16hLi32ELi16ELi128ELNS_18Fp8KVCacheDataTypeE1ELb1EEEvPT_PKS3_PKT0_S9_ifPKiSB_iPKfiiiSD_SD_iiiii,comdat
	.protected	_ZN4vllm25paged_attention_v1_kernelI14__hip_bfloat16hLi32ELi16ELi128ELNS_18Fp8KVCacheDataTypeE1ELb1EEEvPT_PKS3_PKT0_S9_ifPKiSB_iPKfiiiSD_SD_iiiii ; -- Begin function _ZN4vllm25paged_attention_v1_kernelI14__hip_bfloat16hLi32ELi16ELi128ELNS_18Fp8KVCacheDataTypeE1ELb1EEEvPT_PKS3_PKT0_S9_ifPKiSB_iPKfiiiSD_SD_iiiii
	.globl	_ZN4vllm25paged_attention_v1_kernelI14__hip_bfloat16hLi32ELi16ELi128ELNS_18Fp8KVCacheDataTypeE1ELb1EEEvPT_PKS3_PKT0_S9_ifPKiSB_iPKfiiiSD_SD_iiiii
	.p2align	8
	.type	_ZN4vllm25paged_attention_v1_kernelI14__hip_bfloat16hLi32ELi16ELi128ELNS_18Fp8KVCacheDataTypeE1ELb1EEEvPT_PKS3_PKT0_S9_ifPKiSB_iPKfiiiSD_SD_iiiii,@function
_ZN4vllm25paged_attention_v1_kernelI14__hip_bfloat16hLi32ELi16ELi128ELNS_18Fp8KVCacheDataTypeE1ELb1EEEvPT_PKS3_PKT0_S9_ifPKiSB_iPKfiiiSD_SD_iiiii: ; @_ZN4vllm25paged_attention_v1_kernelI14__hip_bfloat16hLi32ELi16ELi128ELNS_18Fp8KVCacheDataTypeE1ELb1EEEvPT_PKS3_PKT0_S9_ifPKiSB_iPKfiiiSD_SD_iiiii
; %bb.0:
	s_load_b64 s[26:27], s[0:1], 0x20
	s_bfe_u32 s3, ttmp6, 0x4000c
	s_bfe_u32 s4, ttmp6, 0x40010
	s_and_b32 s6, ttmp7, 0xffff
	s_add_co_i32 s3, s3, 1
	s_add_co_i32 s4, s4, 1
	s_and_b32 s2, ttmp6, 15
	s_bfe_u32 s5, ttmp6, 0x40004
	s_mul_i32 s3, ttmp9, s3
	s_mul_i32 s4, s6, s4
	s_getreg_b32 s30, hwreg(HW_REG_IB_STS2, 6, 4)
	s_add_co_i32 s2, s2, s3
	s_add_co_i32 s3, s5, s4
	s_cmp_eq_u32 s30, 0
	s_clause 0x1
	s_load_b32 s31, s[0:1], 0x80
	s_load_b64 s[4:5], s[0:1], 0x30
	s_cselect_b32 s33, s6, s3
	s_cselect_b32 s2, ttmp9, s2
	s_wait_kmcnt 0x0
	s_abs_i32 s3, s26
	s_delay_alu instid0(SALU_CYCLE_1) | instskip(SKIP_1) | instid1(SALU_CYCLE_2)
	s_cvt_f32_u32 s6, s3
	s_sub_co_i32 s7, 0, s3
	v_rcp_iflag_f32_e32 v1, s6
	s_abs_i32 s8, s31
	v_nop
	s_delay_alu instid0(TRANS32_DEP_1) | instskip(SKIP_1) | instid1(SALU_CYCLE_3)
	v_readfirstlane_b32 s6, v1
	s_mul_f32 s6, s6, 0x4f7ffffe
	s_cvt_u32_f32 s6, s6
	s_delay_alu instid0(SALU_CYCLE_3) | instskip(NEXT) | instid1(SALU_CYCLE_1)
	s_mul_i32 s7, s7, s6
	s_mul_hi_u32 s7, s6, s7
	s_delay_alu instid0(SALU_CYCLE_1) | instskip(SKIP_4) | instid1(SALU_CYCLE_1)
	s_add_co_i32 s6, s6, s7
	s_xor_b32 s7, s31, s26
	s_mul_hi_u32 s6, s8, s6
	s_ashr_i32 s7, s7, 31
	s_mul_i32 s9, s6, s3
	s_sub_co_i32 s8, s8, s9
	s_add_co_i32 s9, s6, 1
	s_sub_co_i32 s10, s8, s3
	s_cmp_ge_u32 s8, s3
	s_cselect_b32 s6, s9, s6
	s_cselect_b32 s8, s10, s8
	s_add_co_i32 s9, s6, 1
	s_cmp_ge_u32 s8, s3
	s_load_b64 s[10:11], s[0:1], 0x40
	s_cselect_b32 s3, s9, s6
	s_mov_b32 s9, 0
	s_xor_b32 s3, s3, s7
	s_abs_i32 s8, s2
	s_sub_co_i32 s12, s3, s7
	s_mov_b32 s7, s9
	s_abs_i32 s19, s12
	s_mov_b32 s36, s9
	s_cvt_f32_u32 s3, s19
	s_sub_co_i32 s6, 0, s19
	s_delay_alu instid0(SALU_CYCLE_2) | instskip(SKIP_1) | instid1(TRANS32_DEP_1)
	v_rcp_iflag_f32_e32 v1, s3
	v_nop
	v_readfirstlane_b32 s3, v1
	s_mul_f32 s3, s3, 0x4f7ffffe
	s_delay_alu instid0(SALU_CYCLE_3) | instskip(NEXT) | instid1(SALU_CYCLE_3)
	s_cvt_u32_f32 s3, s3
	s_mul_i32 s6, s6, s3
	s_delay_alu instid0(SALU_CYCLE_1) | instskip(NEXT) | instid1(SALU_CYCLE_1)
	s_mul_hi_u32 s6, s3, s6
	s_add_co_i32 s6, s3, s6
	s_wait_kmcnt 0x0
	s_cmp_eq_u64 s[10:11], 0
	s_cbranch_scc1 .LBB322_2
; %bb.1:
	s_ashr_i32 s3, s2, 31
	s_delay_alu instid0(SALU_CYCLE_1) | instskip(NEXT) | instid1(SALU_CYCLE_1)
	s_lshl_b64 s[14:15], s[2:3], 2
	s_add_nc_u64 s[10:11], s[10:11], s[14:15]
	s_load_b32 s36, s[10:11], 0x0
.LBB322_2:
	s_load_b32 s34, s[4:5], s33 offset:0x0 scale_offset
	s_load_b96 s[16:18], s[0:1], 0x48
	v_dual_lshrrev_b32 v1, 1, v0 :: v_dual_bitop2_b32 v26, 1, v0 bitop3:0x40
	s_wait_xcnt 0x0
	s_mul_u64 s[4:5], s[8:9], s[6:7]
	s_ashr_i32 s3, s2, 31
	s_ashr_i32 s10, s12, 31
	s_lshl_b32 s6, s2, 5
	s_mov_b32 s4, exec_lo
	v_cmpx_gt_u32_e32 8, v0
	s_cbranch_execz .LBB322_4
; %bb.3:
	s_load_b64 s[12:13], s[0:1], 0x8
	s_wait_kmcnt 0x0
	s_mul_i32 s14, s16, s33
	s_ashr_i32 s7, s6, 31
	s_ashr_i32 s15, s14, 31
	v_lshlrev_b32_e32 v4, 3, v1
	s_lshl_b64 s[14:15], s[14:15], 1
	s_delay_alu instid0(VALU_DEP_1) | instskip(SKIP_2) | instid1(SALU_CYCLE_1)
	v_lshl_add_u32 v4, v26, 5, v4
	s_add_nc_u64 s[12:13], s[12:13], s[14:15]
	s_lshl_b64 s[14:15], s[6:7], 1
	s_add_nc_u64 s[12:13], s[12:13], s[14:15]
	global_load_b64 v[2:3], v0, s[12:13] scale_offset
	s_wait_loadcnt 0x0
	ds_store_b64 v4, v[2:3]
.LBB322_4:
	s_or_b32 exec_lo, exec_lo, s4
	s_load_b128 s[12:15], s[0:1], 0x68
	s_mul_i32 s4, s5, s19
	s_xor_b32 s3, s3, s10
	s_sub_co_i32 s4, s8, s4
	s_add_co_i32 s7, s5, 1
	s_sub_co_i32 s8, s4, s19
	s_cmp_ge_u32 s4, s19
	s_mov_b32 s9, -1
	s_cselect_b32 s5, s7, s5
	s_cselect_b32 s4, s8, s4
	s_add_co_i32 s8, s5, 1
	s_cmp_ge_u32 s4, s19
	s_load_b32 s7, s[0:1], 0x78
	s_cselect_b32 s4, s8, s5
	s_wait_kmcnt 0x0
	s_add_co_i32 s8, s34, -1
	s_xor_b32 s4, s4, s3
	s_wait_dscnt 0x0
	s_sub_co_i32 s3, s4, s3
	s_barrier_signal -1
	s_barrier_wait -1
	s_abs_i32 s16, s15
	s_delay_alu instid0(SALU_CYCLE_1) | instskip(NEXT) | instid1(SALU_CYCLE_3)
	s_cvt_f32_u32 s5, s16
                                        ; implicit-def: $sgpr35
	v_rcp_iflag_f32_e32 v2, s5
	v_nop
	s_delay_alu instid0(TRANS32_DEP_1) | instskip(SKIP_1) | instid1(SALU_CYCLE_3)
	v_readfirstlane_b32 s5, v2
	s_mul_f32 s4, s5, 0x4f7ffffe
	s_cvt_u32_f32 s10, s4
	s_sub_co_i32 s4, 0, s16
	s_delay_alu instid0(SALU_CYCLE_2)
	s_mul_i32 s5, s4, s10
	s_abs_i32 s4, s8
	s_mul_hi_u32 s11, s10, s5
	s_mov_b32 s5, 0
	s_add_co_i32 s20, s10, s11
	s_cmp_lt_i32 s7, 0
	s_mov_b32 s21, s5
	s_cbranch_scc0 .LBB322_6
; %bb.5:
	s_mul_i32 s9, s12, s26
	s_delay_alu instid0(SALU_CYCLE_1) | instskip(NEXT) | instid1(SALU_CYCLE_1)
	s_add_co_i32 s9, s3, s9
	s_mul_i32 s9, s9, s7
	s_delay_alu instid0(SALU_CYCLE_1)
	s_sub_co_i32 s35, 1, s9
	s_mov_b32 s9, s5
.LBB322_6:
	s_ashr_i32 s8, s8, 31
	s_ashr_i32 s15, s15, 31
	s_and_not1_b32 vcc_lo, exec_lo, s9
	s_mul_u64 s[28:29], s[4:5], s[20:21]
	s_cbranch_vccnz .LBB322_8
; %bb.7:
	s_mul_i32 s5, s31, s12
	s_delay_alu instid0(SALU_CYCLE_1) | instskip(NEXT) | instid1(SALU_CYCLE_1)
	s_add_co_i32 s2, s5, s2
	s_mul_i32 s2, s2, s7
	s_delay_alu instid0(SALU_CYCLE_1)
	s_add_co_i32 s35, s2, 1
.LBB322_8:
	s_clause 0x1
	s_load_b32 s2, s[0:1], 0x38
	s_load_b64 s[22:23], s[0:1], 0x28
	s_mul_i32 s7, s29, s16
	s_xor_b32 s5, s8, s15
	s_sub_co_i32 s4, s4, s7
	s_add_co_i32 s12, s29, 1
	s_clause 0x1
	s_load_b32 s7, s[0:1], 0x88
	s_load_b128 s[8:11], s[0:1], 0x58
	v_dual_lshrrev_b32 v27, 5, v0 :: v_dual_lshrrev_b32 v11, 3, v0
	v_mov_b32_e32 v25, 0xff7fffff
	v_mbcnt_lo_u32_b32 v22, -1, 0
	s_mul_i32 s18, s3, s18
	s_delay_alu instid0(VALU_DEP_3)
	v_lshlrev_b32_e32 v10, 4, v27
	s_wait_kmcnt 0x0
	s_mul_i32 s24, s2, s33
	s_sub_co_i32 s2, s4, s16
	s_ashr_i32 s25, s24, 31
	s_cmp_ge_u32 s4, s16
	s_cselect_b32 s12, s12, s29
	s_cselect_b32 s2, s2, s4
	s_add_co_i32 s4, s12, 1
	s_cmp_ge_u32 s2, s16
	s_cselect_b32 s2, s4, s12
	s_add_co_i32 s4, s34, 15
	s_delay_alu instid0(SALU_CYCLE_1) | instskip(NEXT) | instid1(SALU_CYCLE_1)
	s_ashr_i32 s12, s4, 31
	s_lshr_b32 s12, s12, 28
	s_delay_alu instid0(SALU_CYCLE_1) | instskip(NEXT) | instid1(SALU_CYCLE_1)
	s_add_co_i32 s4, s4, s12
	s_ashr_i32 s12, s4, 4
	s_xor_b32 s4, s2, s5
	v_cmp_gt_i32_e64 s2, s12, v27
	s_sub_co_i32 s26, s4, s5
	s_and_saveexec_b32 s37, s2
	s_cbranch_execz .LBB322_148
; %bb.9:
	s_load_b64 s[4:5], s[0:1], 0x10
	s_sub_co_i32 s38, s26, s13
	s_ashr_i32 s19, s18, 31
	s_cmp_neq_f32 s36, 0
	v_bfe_u32 v23, v0, 1, 4
	v_dual_mov_b32 v13, 0 :: v_dual_lshlrev_b32 v24, 5, v26
	s_cselect_b32 vcc_lo, -1, 0
	s_abs_i32 s39, s14
	s_delay_alu instid0(VALU_DEP_2)
	v_dual_lshlrev_b32 v12, 4, v23 :: v_dual_lshlrev_b32 v5, 2, v23
	s_cvt_f32_u32 s28, s39
	v_lshlrev_b32_e32 v14, 4, v27
	s_lshl_b64 s[40:41], s[24:25], 2
	v_subrev_nc_u32_e32 v4, s34, v23
	v_rcp_iflag_f32_e32 v2, s28
	v_lshl_or_b32 v5, v27, 6, v5
	v_cmp_eq_u32_e64 s3, 0, v26
	v_dual_mov_b32 v30, 0xff7fffff :: v_dual_mov_b32 v31, v27
	s_wait_kmcnt 0x0
	s_add_nc_u64 s[4:5], s[4:5], s[18:19]
	v_dual_mov_b32 v25, 0xff7fffff :: v_dual_add_nc_u32 v28, 1, v4
	v_readfirstlane_b32 s28, v2
	v_add_nc_u64_e32 v[2:3], s[4:5], v[12:13]
	v_lshlrev_b32_e32 v12, 2, v26
	s_add_nc_u64 s[4:5], s[22:23], s[40:41]
	v_add_nc_u32_e32 v29, 0x60, v5
	s_mul_f32 s19, s28, 0x4f7ffffe
	s_sub_co_i32 s28, 0, s39
	s_mov_b32 s29, 0
	v_add_nc_u64_e32 v[16:17], v[2:3], v[12:13]
	v_and_b32_e32 v12, 0x7c, v11
	s_cvt_u32_f32 s40, s19
	s_mov_b32 s19, s17
	s_delay_alu instid0(VALU_DEP_1) | instskip(NEXT) | instid1(SALU_CYCLE_1)
	v_add_nc_u64_e32 v[18:19], s[4:5], v[12:13]
	s_mul_i32 s28, s28, s40
	s_delay_alu instid0(SALU_CYCLE_1) | instskip(NEXT) | instid1(SALU_CYCLE_1)
	s_mul_hi_u32 s28, s40, s28
	s_add_co_i32 s28, s40, s28
	s_mov_b32 s40, s29
	s_branch .LBB322_12
.LBB322_10:                             ;   in Loop: Header=BB322_12 Depth=1
	s_or_b32 exec_lo, exec_lo, s41
.LBB322_11:                             ;   in Loop: Header=BB322_12 Depth=1
	s_delay_alu instid0(SALU_CYCLE_1) | instskip(SKIP_3) | instid1(VALU_DEP_3)
	s_or_b32 exec_lo, exec_lo, s5
	v_dual_add_nc_u32 v31, 4, v31 :: v_dual_add_nc_u32 v14, 64, v14
	v_add_nc_u64_e32 v[18:19], 16, v[18:19]
	v_add_nc_u32_e32 v29, 0x100, v29
	v_cmp_le_i32_e64 s4, s12, v31
	s_or_b32 s40, s4, s40
	s_delay_alu instid0(SALU_CYCLE_1)
	s_and_not1_b32 exec_lo, exec_lo, s40
	s_cbranch_execz .LBB322_147
.LBB322_12:                             ; =>This Inner Loop Header: Depth=1
	v_mov_b32_e32 v15, v13
	s_wait_dscnt 0x0
	s_delay_alu instid0(VALU_DEP_1) | instskip(NEXT) | instid1(VALU_DEP_1)
	v_mul_u64_e32 v[2:3], s[20:21], v[14:15]
	v_mul_lo_u32 v2, v3, s16
	s_delay_alu instid0(VALU_DEP_1) | instskip(NEXT) | instid1(VALU_DEP_1)
	v_sub_nc_u32_e32 v2, v14, v2
	v_subrev_nc_u32_e32 v5, s16, v2
	v_cmp_le_u32_e64 s4, s16, v2
	s_delay_alu instid0(VALU_DEP_1) | instskip(NEXT) | instid1(VALU_DEP_1)
	v_dual_add_nc_u32 v4, 1, v3 :: v_dual_cndmask_b32 v2, v2, v5, s4
	v_cndmask_b32_e64 v3, v3, v4, s4
	s_delay_alu instid0(VALU_DEP_2) | instskip(NEXT) | instid1(VALU_DEP_2)
	v_cmp_le_u32_e64 s4, s16, v2
	v_add_nc_u32_e32 v4, 1, v3
	s_delay_alu instid0(VALU_DEP_1) | instskip(NEXT) | instid1(VALU_DEP_1)
	v_cndmask_b32_e64 v2, v3, v4, s4
	v_xor_b32_e32 v2, s15, v2
	s_delay_alu instid0(VALU_DEP_1) | instskip(NEXT) | instid1(VALU_DEP_1)
	v_subrev_nc_u32_e32 v4, s15, v2
	v_add_nc_u32_e32 v5, s35, v4
	v_cmp_ge_i32_e64 s5, s38, v4
	s_delay_alu instid0(VALU_DEP_2) | instskip(NEXT) | instid1(VALU_DEP_1)
	v_sub_nc_u32_e32 v2, 0, v5
	v_dual_ashrrev_i32 v5, 31, v5 :: v_dual_max_i32 v12, v5, v2
	s_delay_alu instid0(VALU_DEP_1) | instskip(NEXT) | instid1(VALU_DEP_1)
	v_mul_u64_e32 v[2:3], s[28:29], v[12:13]
	v_mul_lo_u32 v2, v3, s39
	s_delay_alu instid0(VALU_DEP_1) | instskip(NEXT) | instid1(VALU_DEP_1)
	v_sub_nc_u32_e32 v2, v12, v2
	v_subrev_nc_u32_e32 v3, s39, v2
	v_cmp_le_u32_e64 s4, s39, v2
	s_delay_alu instid0(VALU_DEP_1) | instskip(NEXT) | instid1(VALU_DEP_1)
	v_cndmask_b32_e64 v2, v2, v3, s4
	v_subrev_nc_u32_e32 v3, s39, v2
	v_cmp_le_u32_e64 s4, s39, v2
	s_delay_alu instid0(VALU_DEP_1) | instskip(NEXT) | instid1(VALU_DEP_1)
	v_cndmask_b32_e64 v2, v2, v3, s4
	v_xor_b32_e32 v2, v2, v5
	s_delay_alu instid0(VALU_DEP_1) | instskip(NEXT) | instid1(VALU_DEP_1)
	v_sub_nc_u32_e32 v2, v2, v5
	v_cmp_ne_u32_e64 s4, 0, v2
	s_and_b32 s4, s4, s5
	s_delay_alu instid0(SALU_CYCLE_1) | instskip(NEXT) | instid1(SALU_CYCLE_1)
	s_and_saveexec_b32 s5, s4
	s_xor_b32 s4, exec_lo, s5
	s_cbranch_execz .LBB322_16
; %bb.13:                               ;   in Loop: Header=BB322_12 Depth=1
	s_and_saveexec_b32 s5, s3
; %bb.14:                               ;   in Loop: Header=BB322_12 Depth=1
	ds_store_b32 v29, v30
; %bb.15:                               ;   in Loop: Header=BB322_12 Depth=1
	s_or_b32 exec_lo, exec_lo, s5
.LBB322_16:                             ;   in Loop: Header=BB322_12 Depth=1
	s_and_not1_saveexec_b32 s5, s4
	s_cbranch_execz .LBB322_11
; %bb.17:                               ;   in Loop: Header=BB322_12 Depth=1
	global_load_b32 v2, v[18:19], off
	v_dual_mov_b32 v32, 0 :: v_dual_mov_b32 v15, 0
	s_mov_b32 s42, exec_lo
	s_wait_loadcnt 0x0
	v_mad_nc_i64_i32 v[20:21], v2, s19, v[16:17]
	global_load_b32 v35, v[20:21], off
	ds_load_b128 v[6:9], v24
	ds_load_b128 v[2:5], v24 offset:16
	s_load_b32 s41, s[8:9], 0x0
	s_wait_loadcnt 0x0
	v_and_b32_e32 v12, 0xff, v35
	s_delay_alu instid0(VALU_DEP_1)
	v_cmpx_ne_u16_e32 0, v12
	s_cbranch_execz .LBB322_25
; %bb.18:                               ;   in Loop: Header=BB322_12 Depth=1
	v_bfrev_b32_e32 v15, 1
	s_mov_b32 s43, exec_lo
	v_cmpx_ne_u16_e32 0x80, v12
	s_cbranch_execz .LBB322_24
; %bb.19:                               ;   in Loop: Header=BB322_12 Depth=1
	v_and_b32_e32 v33, 0x7f, v35
	v_mov_b32_e32 v15, 0x7f800001
	s_mov_b32 s44, exec_lo
	s_delay_alu instid0(VALU_DEP_2)
	v_cmpx_ne_u32_e32 0x7f, v33
	s_cbranch_execz .LBB322_23
; %bb.20:                               ;   in Loop: Header=BB322_12 Depth=1
	v_dual_lshrrev_b32 v15, 3, v33 :: v_dual_bitop2_b32 v12, 7, v35 bitop3:0x40
	s_mov_b32 s45, exec_lo
	v_cmpx_gt_u32_e32 8, v33
; %bb.21:                               ;   in Loop: Header=BB322_12 Depth=1
	s_delay_alu instid0(VALU_DEP_2) | instskip(NEXT) | instid1(VALU_DEP_1)
	v_clz_i32_u32_e32 v15, v12
	v_min_u32_e32 v15, 32, v15
	s_delay_alu instid0(VALU_DEP_1) | instskip(NEXT) | instid1(VALU_DEP_1)
	v_subrev_nc_u32_e32 v33, 28, v15
	v_lshlrev_b64_e32 v[36:37], v33, v[12:13]
	s_delay_alu instid0(VALU_DEP_1)
	v_dual_sub_nc_u32 v15, 29, v15 :: v_dual_bitop2_b32 v12, 7, v36 bitop3:0x40
; %bb.22:                               ;   in Loop: Header=BB322_12 Depth=1
	s_or_b32 exec_lo, exec_lo, s45
	s_delay_alu instid0(VALU_DEP_1) | instskip(NEXT) | instid1(VALU_DEP_2)
	v_dual_lshlrev_b32 v33, 24, v35 :: v_dual_lshlrev_b32 v12, 20, v12
	v_lshl_add_u32 v15, v15, 23, 0x3c000000
	s_delay_alu instid0(VALU_DEP_2) | instskip(NEXT) | instid1(VALU_DEP_1)
	v_and_b32_e32 v33, 0x80000000, v33
	v_or3_b32 v15, v12, v33, v15
.LBB322_23:                             ;   in Loop: Header=BB322_12 Depth=1
	s_or_b32 exec_lo, exec_lo, s44
.LBB322_24:                             ;   in Loop: Header=BB322_12 Depth=1
	s_delay_alu instid0(SALU_CYCLE_1)
	s_or_b32 exec_lo, exec_lo, s43
.LBB322_25:                             ;   in Loop: Header=BB322_12 Depth=1
	s_delay_alu instid0(SALU_CYCLE_1) | instskip(SKIP_2) | instid1(VALU_DEP_1)
	s_or_b32 exec_lo, exec_lo, s42
	v_lshrrev_b16 v12, 8, v35
	s_mov_b32 s42, exec_lo
	v_cmpx_ne_u16_e32 0, v12
	s_cbranch_execz .LBB322_33
; %bb.26:                               ;   in Loop: Header=BB322_12 Depth=1
	v_bfrev_b32_e32 v32, 1
	s_mov_b32 s43, exec_lo
	v_cmpx_ne_u16_e32 0x80, v12
	s_cbranch_execz .LBB322_32
; %bb.27:                               ;   in Loop: Header=BB322_12 Depth=1
	v_and_b32_e32 v12, 0xffff, v12
	v_mov_b32_e32 v32, 0x7f800001
	s_mov_b32 s44, exec_lo
	s_delay_alu instid0(VALU_DEP_2) | instskip(NEXT) | instid1(VALU_DEP_1)
	v_and_b32_e32 v33, 0x7f, v12
	v_cmpx_ne_u32_e32 0x7f, v33
	s_cbranch_execz .LBB322_31
; %bb.28:                               ;   in Loop: Header=BB322_12 Depth=1
	v_dual_lshrrev_b32 v32, 3, v33 :: v_dual_bitop2_b32 v12, 7, v12 bitop3:0x40
	s_mov_b32 s45, exec_lo
	v_cmpx_gt_u32_e32 8, v33
; %bb.29:                               ;   in Loop: Header=BB322_12 Depth=1
	s_delay_alu instid0(VALU_DEP_2) | instskip(NEXT) | instid1(VALU_DEP_1)
	v_clz_i32_u32_e32 v32, v12
	v_min_u32_e32 v32, 32, v32
	s_delay_alu instid0(VALU_DEP_1) | instskip(SKIP_1) | instid1(VALU_DEP_2)
	v_subrev_nc_u32_e32 v33, 28, v32
	v_sub_nc_u32_e32 v32, 29, v32
	v_lshlrev_b64_e32 v[36:37], v33, v[12:13]
	s_delay_alu instid0(VALU_DEP_1)
	v_and_b32_e32 v12, 7, v36
; %bb.30:                               ;   in Loop: Header=BB322_12 Depth=1
	s_or_b32 exec_lo, exec_lo, s45
	s_delay_alu instid0(VALU_DEP_1) | instskip(SKIP_1) | instid1(VALU_DEP_2)
	v_dual_lshlrev_b32 v33, 16, v35 :: v_dual_lshlrev_b32 v12, 20, v12
	v_lshl_add_u32 v32, v32, 23, 0x3c000000
	v_and_b32_e32 v33, 0x80000000, v33
	s_delay_alu instid0(VALU_DEP_1)
	v_or3_b32 v32, v12, v33, v32
.LBB322_31:                             ;   in Loop: Header=BB322_12 Depth=1
	s_or_b32 exec_lo, exec_lo, s44
.LBB322_32:                             ;   in Loop: Header=BB322_12 Depth=1
	s_delay_alu instid0(SALU_CYCLE_1)
	s_or_b32 exec_lo, exec_lo, s43
.LBB322_33:                             ;   in Loop: Header=BB322_12 Depth=1
	s_delay_alu instid0(SALU_CYCLE_1) | instskip(SKIP_3) | instid1(VALU_DEP_2)
	s_or_b32 exec_lo, exec_lo, s42
	v_dual_mov_b32 v33, 0 :: v_dual_lshrrev_b32 v36, 16, v35
	v_mov_b32_e32 v34, 0
	s_mov_b32 s42, exec_lo
	v_and_b32_e32 v12, 0xff, v36
	s_delay_alu instid0(VALU_DEP_1)
	v_cmpx_ne_u16_e32 0, v12
	s_cbranch_execz .LBB322_41
; %bb.34:                               ;   in Loop: Header=BB322_12 Depth=1
	v_bfrev_b32_e32 v34, 1
	s_mov_b32 s43, exec_lo
	v_cmpx_ne_u16_e32 0x80, v12
	s_cbranch_execz .LBB322_40
; %bb.35:                               ;   in Loop: Header=BB322_12 Depth=1
	v_bfe_u32 v37, v35, 16, 7
	v_mov_b32_e32 v34, 0x7f800001
	s_mov_b32 s44, exec_lo
	s_delay_alu instid0(VALU_DEP_2)
	v_cmpx_ne_u32_e32 0x7f, v37
	s_cbranch_execz .LBB322_39
; %bb.36:                               ;   in Loop: Header=BB322_12 Depth=1
	v_dual_lshrrev_b32 v34, 3, v37 :: v_dual_bitop2_b32 v12, 7, v36 bitop3:0x40
	s_mov_b32 s45, exec_lo
	v_cmpx_gt_u32_e32 8, v37
; %bb.37:                               ;   in Loop: Header=BB322_12 Depth=1
	s_delay_alu instid0(VALU_DEP_2) | instskip(NEXT) | instid1(VALU_DEP_1)
	v_clz_i32_u32_e32 v34, v12
	v_min_u32_e32 v34, 32, v34
	s_delay_alu instid0(VALU_DEP_1) | instskip(SKIP_1) | instid1(VALU_DEP_2)
	v_subrev_nc_u32_e32 v37, 28, v34
	v_sub_nc_u32_e32 v34, 29, v34
	v_lshlrev_b64_e32 v[38:39], v37, v[12:13]
	s_delay_alu instid0(VALU_DEP_1)
	v_and_b32_e32 v12, 7, v38
; %bb.38:                               ;   in Loop: Header=BB322_12 Depth=1
	s_or_b32 exec_lo, exec_lo, s45
	v_lshlrev_b32_e32 v36, 24, v36
	s_delay_alu instid0(VALU_DEP_2) | instskip(SKIP_1) | instid1(VALU_DEP_3)
	v_lshlrev_b32_e32 v12, 20, v12
	v_lshl_add_u32 v34, v34, 23, 0x3c000000
	v_and_b32_e32 v36, 0x80000000, v36
	s_delay_alu instid0(VALU_DEP_1)
	v_or3_b32 v34, v12, v36, v34
.LBB322_39:                             ;   in Loop: Header=BB322_12 Depth=1
	s_or_b32 exec_lo, exec_lo, s44
.LBB322_40:                             ;   in Loop: Header=BB322_12 Depth=1
	s_delay_alu instid0(SALU_CYCLE_1)
	s_or_b32 exec_lo, exec_lo, s43
.LBB322_41:                             ;   in Loop: Header=BB322_12 Depth=1
	s_delay_alu instid0(SALU_CYCLE_1) | instskip(NEXT) | instid1(SALU_CYCLE_1)
	s_or_b32 exec_lo, exec_lo, s42
	s_mov_b32 s42, exec_lo
	v_cmpx_lt_u32_e32 0xffffff, v35
	s_cbranch_execz .LBB322_49
; %bb.42:                               ;   in Loop: Header=BB322_12 Depth=1
	v_lshrrev_b32_e32 v36, 24, v35
	v_bfrev_b32_e32 v33, 1
	s_mov_b32 s43, exec_lo
	s_delay_alu instid0(VALU_DEP_2)
	v_cmpx_ne_u32_e32 0x80, v36
	s_cbranch_execz .LBB322_48
; %bb.43:                               ;   in Loop: Header=BB322_12 Depth=1
	v_bfe_u32 v35, v35, 24, 7
	v_mov_b32_e32 v33, 0x7f800001
	s_mov_b32 s44, exec_lo
	s_delay_alu instid0(VALU_DEP_2)
	v_cmpx_ne_u32_e32 0x7f, v35
	s_cbranch_execz .LBB322_47
; %bb.44:                               ;   in Loop: Header=BB322_12 Depth=1
	v_dual_lshrrev_b32 v33, 3, v35 :: v_dual_bitop2_b32 v12, 7, v36 bitop3:0x40
	s_mov_b32 s45, exec_lo
	v_cmpx_gt_u32_e32 8, v35
; %bb.45:                               ;   in Loop: Header=BB322_12 Depth=1
	s_delay_alu instid0(VALU_DEP_2) | instskip(NEXT) | instid1(VALU_DEP_1)
	v_clz_i32_u32_e32 v33, v12
	v_min_u32_e32 v33, 32, v33
	s_delay_alu instid0(VALU_DEP_1) | instskip(NEXT) | instid1(VALU_DEP_1)
	v_subrev_nc_u32_e32 v35, 28, v33
	v_lshlrev_b64_e32 v[38:39], v35, v[12:13]
	s_delay_alu instid0(VALU_DEP_1)
	v_dual_sub_nc_u32 v33, 29, v33 :: v_dual_bitop2_b32 v12, 7, v38 bitop3:0x40
; %bb.46:                               ;   in Loop: Header=BB322_12 Depth=1
	s_or_b32 exec_lo, exec_lo, s45
	v_lshlrev_b32_e32 v35, 24, v36
	s_delay_alu instid0(VALU_DEP_2) | instskip(NEXT) | instid1(VALU_DEP_3)
	v_lshlrev_b32_e32 v12, 20, v12
	v_lshl_add_u32 v33, v33, 23, 0x3c000000
	s_delay_alu instid0(VALU_DEP_3) | instskip(NEXT) | instid1(VALU_DEP_1)
	v_and_b32_e32 v35, 0x80000000, v35
	v_or3_b32 v33, v12, v35, v33
.LBB322_47:                             ;   in Loop: Header=BB322_12 Depth=1
	s_or_b32 exec_lo, exec_lo, s44
.LBB322_48:                             ;   in Loop: Header=BB322_12 Depth=1
	s_delay_alu instid0(SALU_CYCLE_1)
	s_or_b32 exec_lo, exec_lo, s43
.LBB322_49:                             ;   in Loop: Header=BB322_12 Depth=1
	s_delay_alu instid0(SALU_CYCLE_1)
	s_or_b32 exec_lo, exec_lo, s42
	global_load_b32 v39, v[20:21], off offset:8
	v_dual_mov_b32 v36, 0 :: v_dual_mov_b32 v35, 0
	s_mov_b32 s42, exec_lo
	s_wait_loadcnt 0x0
	v_and_b32_e32 v12, 0xff, v39
	s_delay_alu instid0(VALU_DEP_1)
	v_cmpx_ne_u16_e32 0, v12
	s_cbranch_execz .LBB322_57
; %bb.50:                               ;   in Loop: Header=BB322_12 Depth=1
	v_bfrev_b32_e32 v35, 1
	s_mov_b32 s43, exec_lo
	v_cmpx_ne_u16_e32 0x80, v12
	s_cbranch_execz .LBB322_56
; %bb.51:                               ;   in Loop: Header=BB322_12 Depth=1
	v_and_b32_e32 v37, 0x7f, v39
	v_mov_b32_e32 v35, 0x7f800001
	s_mov_b32 s44, exec_lo
	s_delay_alu instid0(VALU_DEP_2)
	v_cmpx_ne_u32_e32 0x7f, v37
	s_cbranch_execz .LBB322_55
; %bb.52:                               ;   in Loop: Header=BB322_12 Depth=1
	v_dual_lshrrev_b32 v35, 3, v37 :: v_dual_bitop2_b32 v12, 7, v39 bitop3:0x40
	s_mov_b32 s45, exec_lo
	v_cmpx_gt_u32_e32 8, v37
; %bb.53:                               ;   in Loop: Header=BB322_12 Depth=1
	s_delay_alu instid0(VALU_DEP_2) | instskip(NEXT) | instid1(VALU_DEP_1)
	v_clz_i32_u32_e32 v35, v12
	v_min_u32_e32 v35, 32, v35
	s_delay_alu instid0(VALU_DEP_1) | instskip(NEXT) | instid1(VALU_DEP_1)
	v_subrev_nc_u32_e32 v37, 28, v35
	v_lshlrev_b64_e32 v[40:41], v37, v[12:13]
	s_delay_alu instid0(VALU_DEP_1)
	v_dual_sub_nc_u32 v35, 29, v35 :: v_dual_bitop2_b32 v12, 7, v40 bitop3:0x40
; %bb.54:                               ;   in Loop: Header=BB322_12 Depth=1
	s_or_b32 exec_lo, exec_lo, s45
	s_delay_alu instid0(VALU_DEP_1) | instskip(NEXT) | instid1(VALU_DEP_2)
	v_dual_lshlrev_b32 v37, 24, v39 :: v_dual_lshlrev_b32 v12, 20, v12
	v_lshl_add_u32 v35, v35, 23, 0x3c000000
	s_delay_alu instid0(VALU_DEP_2) | instskip(NEXT) | instid1(VALU_DEP_1)
	v_and_b32_e32 v37, 0x80000000, v37
	v_or3_b32 v35, v12, v37, v35
.LBB322_55:                             ;   in Loop: Header=BB322_12 Depth=1
	s_or_b32 exec_lo, exec_lo, s44
.LBB322_56:                             ;   in Loop: Header=BB322_12 Depth=1
	s_delay_alu instid0(SALU_CYCLE_1)
	s_or_b32 exec_lo, exec_lo, s43
.LBB322_57:                             ;   in Loop: Header=BB322_12 Depth=1
	s_delay_alu instid0(SALU_CYCLE_1) | instskip(SKIP_2) | instid1(VALU_DEP_1)
	s_or_b32 exec_lo, exec_lo, s42
	v_lshrrev_b16 v12, 8, v39
	s_mov_b32 s42, exec_lo
	v_cmpx_ne_u16_e32 0, v12
	s_cbranch_execz .LBB322_65
; %bb.58:                               ;   in Loop: Header=BB322_12 Depth=1
	v_bfrev_b32_e32 v36, 1
	s_mov_b32 s43, exec_lo
	v_cmpx_ne_u16_e32 0x80, v12
	s_cbranch_execz .LBB322_64
; %bb.59:                               ;   in Loop: Header=BB322_12 Depth=1
	v_and_b32_e32 v12, 0xffff, v12
	v_mov_b32_e32 v36, 0x7f800001
	s_mov_b32 s44, exec_lo
	s_delay_alu instid0(VALU_DEP_2) | instskip(NEXT) | instid1(VALU_DEP_1)
	v_and_b32_e32 v37, 0x7f, v12
	v_cmpx_ne_u32_e32 0x7f, v37
	s_cbranch_execz .LBB322_63
; %bb.60:                               ;   in Loop: Header=BB322_12 Depth=1
	v_dual_lshrrev_b32 v36, 3, v37 :: v_dual_bitop2_b32 v12, 7, v12 bitop3:0x40
	s_mov_b32 s45, exec_lo
	v_cmpx_gt_u32_e32 8, v37
; %bb.61:                               ;   in Loop: Header=BB322_12 Depth=1
	s_delay_alu instid0(VALU_DEP_2) | instskip(NEXT) | instid1(VALU_DEP_1)
	v_clz_i32_u32_e32 v36, v12
	v_min_u32_e32 v36, 32, v36
	s_delay_alu instid0(VALU_DEP_1) | instskip(SKIP_1) | instid1(VALU_DEP_2)
	v_subrev_nc_u32_e32 v37, 28, v36
	v_sub_nc_u32_e32 v36, 29, v36
	v_lshlrev_b64_e32 v[40:41], v37, v[12:13]
	s_delay_alu instid0(VALU_DEP_1)
	v_and_b32_e32 v12, 7, v40
; %bb.62:                               ;   in Loop: Header=BB322_12 Depth=1
	s_or_b32 exec_lo, exec_lo, s45
	s_delay_alu instid0(VALU_DEP_1) | instskip(SKIP_1) | instid1(VALU_DEP_2)
	v_dual_lshlrev_b32 v37, 16, v39 :: v_dual_lshlrev_b32 v12, 20, v12
	v_lshl_add_u32 v36, v36, 23, 0x3c000000
	v_and_b32_e32 v37, 0x80000000, v37
	s_delay_alu instid0(VALU_DEP_1)
	v_or3_b32 v36, v12, v37, v36
.LBB322_63:                             ;   in Loop: Header=BB322_12 Depth=1
	s_or_b32 exec_lo, exec_lo, s44
.LBB322_64:                             ;   in Loop: Header=BB322_12 Depth=1
	s_delay_alu instid0(SALU_CYCLE_1)
	s_or_b32 exec_lo, exec_lo, s43
.LBB322_65:                             ;   in Loop: Header=BB322_12 Depth=1
	s_delay_alu instid0(SALU_CYCLE_1) | instskip(SKIP_3) | instid1(VALU_DEP_2)
	s_or_b32 exec_lo, exec_lo, s42
	v_dual_mov_b32 v37, 0 :: v_dual_lshrrev_b32 v40, 16, v39
	v_mov_b32_e32 v38, 0
	s_mov_b32 s42, exec_lo
	v_and_b32_e32 v12, 0xff, v40
	s_delay_alu instid0(VALU_DEP_1)
	v_cmpx_ne_u16_e32 0, v12
	s_cbranch_execz .LBB322_73
; %bb.66:                               ;   in Loop: Header=BB322_12 Depth=1
	v_bfrev_b32_e32 v38, 1
	s_mov_b32 s43, exec_lo
	v_cmpx_ne_u16_e32 0x80, v12
	s_cbranch_execz .LBB322_72
; %bb.67:                               ;   in Loop: Header=BB322_12 Depth=1
	v_bfe_u32 v41, v39, 16, 7
	v_mov_b32_e32 v38, 0x7f800001
	s_mov_b32 s44, exec_lo
	s_delay_alu instid0(VALU_DEP_2)
	v_cmpx_ne_u32_e32 0x7f, v41
	s_cbranch_execz .LBB322_71
; %bb.68:                               ;   in Loop: Header=BB322_12 Depth=1
	v_dual_lshrrev_b32 v38, 3, v41 :: v_dual_bitop2_b32 v12, 7, v40 bitop3:0x40
	s_mov_b32 s45, exec_lo
	v_cmpx_gt_u32_e32 8, v41
; %bb.69:                               ;   in Loop: Header=BB322_12 Depth=1
	s_delay_alu instid0(VALU_DEP_2) | instskip(NEXT) | instid1(VALU_DEP_1)
	v_clz_i32_u32_e32 v38, v12
	v_min_u32_e32 v38, 32, v38
	s_delay_alu instid0(VALU_DEP_1) | instskip(SKIP_1) | instid1(VALU_DEP_2)
	v_subrev_nc_u32_e32 v41, 28, v38
	v_sub_nc_u32_e32 v38, 29, v38
	v_lshlrev_b64_e32 v[42:43], v41, v[12:13]
	s_delay_alu instid0(VALU_DEP_1)
	v_and_b32_e32 v12, 7, v42
; %bb.70:                               ;   in Loop: Header=BB322_12 Depth=1
	s_or_b32 exec_lo, exec_lo, s45
	v_lshlrev_b32_e32 v40, 24, v40
	s_delay_alu instid0(VALU_DEP_2) | instskip(SKIP_1) | instid1(VALU_DEP_3)
	v_lshlrev_b32_e32 v12, 20, v12
	v_lshl_add_u32 v38, v38, 23, 0x3c000000
	v_and_b32_e32 v40, 0x80000000, v40
	s_delay_alu instid0(VALU_DEP_1)
	v_or3_b32 v38, v12, v40, v38
.LBB322_71:                             ;   in Loop: Header=BB322_12 Depth=1
	s_or_b32 exec_lo, exec_lo, s44
.LBB322_72:                             ;   in Loop: Header=BB322_12 Depth=1
	s_delay_alu instid0(SALU_CYCLE_1)
	s_or_b32 exec_lo, exec_lo, s43
.LBB322_73:                             ;   in Loop: Header=BB322_12 Depth=1
	s_delay_alu instid0(SALU_CYCLE_1) | instskip(NEXT) | instid1(SALU_CYCLE_1)
	s_or_b32 exec_lo, exec_lo, s42
	s_mov_b32 s42, exec_lo
	v_cmpx_lt_u32_e32 0xffffff, v39
	s_cbranch_execz .LBB322_81
; %bb.74:                               ;   in Loop: Header=BB322_12 Depth=1
	v_lshrrev_b32_e32 v40, 24, v39
	v_bfrev_b32_e32 v37, 1
	s_mov_b32 s43, exec_lo
	s_delay_alu instid0(VALU_DEP_2)
	v_cmpx_ne_u32_e32 0x80, v40
	s_cbranch_execz .LBB322_80
; %bb.75:                               ;   in Loop: Header=BB322_12 Depth=1
	v_bfe_u32 v39, v39, 24, 7
	v_mov_b32_e32 v37, 0x7f800001
	s_mov_b32 s44, exec_lo
	s_delay_alu instid0(VALU_DEP_2)
	v_cmpx_ne_u32_e32 0x7f, v39
	s_cbranch_execz .LBB322_79
; %bb.76:                               ;   in Loop: Header=BB322_12 Depth=1
	v_dual_lshrrev_b32 v37, 3, v39 :: v_dual_bitop2_b32 v12, 7, v40 bitop3:0x40
	s_mov_b32 s45, exec_lo
	v_cmpx_gt_u32_e32 8, v39
; %bb.77:                               ;   in Loop: Header=BB322_12 Depth=1
	s_delay_alu instid0(VALU_DEP_2) | instskip(NEXT) | instid1(VALU_DEP_1)
	v_clz_i32_u32_e32 v37, v12
	v_min_u32_e32 v37, 32, v37
	s_delay_alu instid0(VALU_DEP_1) | instskip(NEXT) | instid1(VALU_DEP_1)
	v_subrev_nc_u32_e32 v39, 28, v37
	v_lshlrev_b64_e32 v[42:43], v39, v[12:13]
	s_delay_alu instid0(VALU_DEP_1)
	v_dual_sub_nc_u32 v37, 29, v37 :: v_dual_bitop2_b32 v12, 7, v42 bitop3:0x40
; %bb.78:                               ;   in Loop: Header=BB322_12 Depth=1
	s_or_b32 exec_lo, exec_lo, s45
	v_lshlrev_b32_e32 v39, 24, v40
	s_delay_alu instid0(VALU_DEP_2) | instskip(NEXT) | instid1(VALU_DEP_3)
	v_lshlrev_b32_e32 v12, 20, v12
	v_lshl_add_u32 v37, v37, 23, 0x3c000000
	s_delay_alu instid0(VALU_DEP_3) | instskip(NEXT) | instid1(VALU_DEP_1)
	v_and_b32_e32 v39, 0x80000000, v39
	v_or3_b32 v37, v12, v39, v37
.LBB322_79:                             ;   in Loop: Header=BB322_12 Depth=1
	s_or_b32 exec_lo, exec_lo, s44
.LBB322_80:                             ;   in Loop: Header=BB322_12 Depth=1
	s_delay_alu instid0(SALU_CYCLE_1)
	s_or_b32 exec_lo, exec_lo, s43
.LBB322_81:                             ;   in Loop: Header=BB322_12 Depth=1
	s_delay_alu instid0(SALU_CYCLE_1)
	s_or_b32 exec_lo, exec_lo, s42
	global_load_b32 v43, v[20:21], off offset:256
	v_dual_mov_b32 v40, 0 :: v_dual_mov_b32 v39, 0
	s_mov_b32 s42, exec_lo
	s_wait_loadcnt 0x0
	v_and_b32_e32 v12, 0xff, v43
	s_delay_alu instid0(VALU_DEP_1)
	v_cmpx_ne_u16_e32 0, v12
	s_cbranch_execz .LBB322_89
; %bb.82:                               ;   in Loop: Header=BB322_12 Depth=1
	v_bfrev_b32_e32 v39, 1
	s_mov_b32 s43, exec_lo
	v_cmpx_ne_u16_e32 0x80, v12
	s_cbranch_execz .LBB322_88
; %bb.83:                               ;   in Loop: Header=BB322_12 Depth=1
	v_and_b32_e32 v41, 0x7f, v43
	v_mov_b32_e32 v39, 0x7f800001
	s_mov_b32 s44, exec_lo
	s_delay_alu instid0(VALU_DEP_2)
	v_cmpx_ne_u32_e32 0x7f, v41
	s_cbranch_execz .LBB322_87
; %bb.84:                               ;   in Loop: Header=BB322_12 Depth=1
	v_dual_lshrrev_b32 v39, 3, v41 :: v_dual_bitop2_b32 v12, 7, v43 bitop3:0x40
	s_mov_b32 s45, exec_lo
	v_cmpx_gt_u32_e32 8, v41
; %bb.85:                               ;   in Loop: Header=BB322_12 Depth=1
	s_delay_alu instid0(VALU_DEP_2) | instskip(NEXT) | instid1(VALU_DEP_1)
	v_clz_i32_u32_e32 v39, v12
	v_min_u32_e32 v39, 32, v39
	s_delay_alu instid0(VALU_DEP_1) | instskip(NEXT) | instid1(VALU_DEP_1)
	v_subrev_nc_u32_e32 v41, 28, v39
	v_lshlrev_b64_e32 v[44:45], v41, v[12:13]
	s_delay_alu instid0(VALU_DEP_1)
	v_dual_sub_nc_u32 v39, 29, v39 :: v_dual_bitop2_b32 v12, 7, v44 bitop3:0x40
; %bb.86:                               ;   in Loop: Header=BB322_12 Depth=1
	s_or_b32 exec_lo, exec_lo, s45
	s_delay_alu instid0(VALU_DEP_1) | instskip(NEXT) | instid1(VALU_DEP_2)
	v_dual_lshlrev_b32 v41, 24, v43 :: v_dual_lshlrev_b32 v12, 20, v12
	v_lshl_add_u32 v39, v39, 23, 0x3c000000
	s_delay_alu instid0(VALU_DEP_2) | instskip(NEXT) | instid1(VALU_DEP_1)
	v_and_b32_e32 v41, 0x80000000, v41
	v_or3_b32 v39, v12, v41, v39
.LBB322_87:                             ;   in Loop: Header=BB322_12 Depth=1
	s_or_b32 exec_lo, exec_lo, s44
.LBB322_88:                             ;   in Loop: Header=BB322_12 Depth=1
	s_delay_alu instid0(SALU_CYCLE_1)
	s_or_b32 exec_lo, exec_lo, s43
.LBB322_89:                             ;   in Loop: Header=BB322_12 Depth=1
	s_delay_alu instid0(SALU_CYCLE_1) | instskip(SKIP_2) | instid1(VALU_DEP_1)
	s_or_b32 exec_lo, exec_lo, s42
	v_lshrrev_b16 v12, 8, v43
	s_mov_b32 s42, exec_lo
	v_cmpx_ne_u16_e32 0, v12
	s_cbranch_execz .LBB322_97
; %bb.90:                               ;   in Loop: Header=BB322_12 Depth=1
	v_bfrev_b32_e32 v40, 1
	s_mov_b32 s43, exec_lo
	v_cmpx_ne_u16_e32 0x80, v12
	s_cbranch_execz .LBB322_96
; %bb.91:                               ;   in Loop: Header=BB322_12 Depth=1
	v_and_b32_e32 v12, 0xffff, v12
	v_mov_b32_e32 v40, 0x7f800001
	s_mov_b32 s44, exec_lo
	s_delay_alu instid0(VALU_DEP_2) | instskip(NEXT) | instid1(VALU_DEP_1)
	v_and_b32_e32 v41, 0x7f, v12
	v_cmpx_ne_u32_e32 0x7f, v41
	s_cbranch_execz .LBB322_95
; %bb.92:                               ;   in Loop: Header=BB322_12 Depth=1
	v_dual_lshrrev_b32 v40, 3, v41 :: v_dual_bitop2_b32 v12, 7, v12 bitop3:0x40
	s_mov_b32 s45, exec_lo
	v_cmpx_gt_u32_e32 8, v41
; %bb.93:                               ;   in Loop: Header=BB322_12 Depth=1
	s_delay_alu instid0(VALU_DEP_2) | instskip(NEXT) | instid1(VALU_DEP_1)
	v_clz_i32_u32_e32 v40, v12
	v_min_u32_e32 v40, 32, v40
	s_delay_alu instid0(VALU_DEP_1) | instskip(SKIP_1) | instid1(VALU_DEP_2)
	v_subrev_nc_u32_e32 v41, 28, v40
	v_sub_nc_u32_e32 v40, 29, v40
	v_lshlrev_b64_e32 v[44:45], v41, v[12:13]
	s_delay_alu instid0(VALU_DEP_1)
	v_and_b32_e32 v12, 7, v44
; %bb.94:                               ;   in Loop: Header=BB322_12 Depth=1
	s_or_b32 exec_lo, exec_lo, s45
	s_delay_alu instid0(VALU_DEP_1) | instskip(SKIP_1) | instid1(VALU_DEP_2)
	v_dual_lshlrev_b32 v41, 16, v43 :: v_dual_lshlrev_b32 v12, 20, v12
	v_lshl_add_u32 v40, v40, 23, 0x3c000000
	v_and_b32_e32 v41, 0x80000000, v41
	s_delay_alu instid0(VALU_DEP_1)
	v_or3_b32 v40, v12, v41, v40
.LBB322_95:                             ;   in Loop: Header=BB322_12 Depth=1
	s_or_b32 exec_lo, exec_lo, s44
.LBB322_96:                             ;   in Loop: Header=BB322_12 Depth=1
	s_delay_alu instid0(SALU_CYCLE_1)
	s_or_b32 exec_lo, exec_lo, s43
.LBB322_97:                             ;   in Loop: Header=BB322_12 Depth=1
	s_delay_alu instid0(SALU_CYCLE_1) | instskip(SKIP_3) | instid1(VALU_DEP_2)
	s_or_b32 exec_lo, exec_lo, s42
	v_dual_mov_b32 v41, 0 :: v_dual_lshrrev_b32 v44, 16, v43
	v_mov_b32_e32 v42, 0
	s_mov_b32 s42, exec_lo
	v_and_b32_e32 v12, 0xff, v44
	s_delay_alu instid0(VALU_DEP_1)
	v_cmpx_ne_u16_e32 0, v12
	s_cbranch_execz .LBB322_105
; %bb.98:                               ;   in Loop: Header=BB322_12 Depth=1
	v_bfrev_b32_e32 v42, 1
	s_mov_b32 s43, exec_lo
	v_cmpx_ne_u16_e32 0x80, v12
	s_cbranch_execz .LBB322_104
; %bb.99:                               ;   in Loop: Header=BB322_12 Depth=1
	v_bfe_u32 v45, v43, 16, 7
	v_mov_b32_e32 v42, 0x7f800001
	s_mov_b32 s44, exec_lo
	s_delay_alu instid0(VALU_DEP_2)
	v_cmpx_ne_u32_e32 0x7f, v45
	s_cbranch_execz .LBB322_103
; %bb.100:                              ;   in Loop: Header=BB322_12 Depth=1
	v_dual_lshrrev_b32 v42, 3, v45 :: v_dual_bitop2_b32 v12, 7, v44 bitop3:0x40
	s_mov_b32 s45, exec_lo
	v_cmpx_gt_u32_e32 8, v45
; %bb.101:                              ;   in Loop: Header=BB322_12 Depth=1
	s_delay_alu instid0(VALU_DEP_2) | instskip(NEXT) | instid1(VALU_DEP_1)
	v_clz_i32_u32_e32 v42, v12
	v_min_u32_e32 v42, 32, v42
	s_delay_alu instid0(VALU_DEP_1) | instskip(SKIP_1) | instid1(VALU_DEP_2)
	v_subrev_nc_u32_e32 v45, 28, v42
	v_sub_nc_u32_e32 v42, 29, v42
	v_lshlrev_b64_e32 v[46:47], v45, v[12:13]
	s_delay_alu instid0(VALU_DEP_1)
	v_and_b32_e32 v12, 7, v46
; %bb.102:                              ;   in Loop: Header=BB322_12 Depth=1
	s_or_b32 exec_lo, exec_lo, s45
	v_lshlrev_b32_e32 v44, 24, v44
	s_delay_alu instid0(VALU_DEP_2) | instskip(SKIP_1) | instid1(VALU_DEP_3)
	v_lshlrev_b32_e32 v12, 20, v12
	v_lshl_add_u32 v42, v42, 23, 0x3c000000
	v_and_b32_e32 v44, 0x80000000, v44
	s_delay_alu instid0(VALU_DEP_1)
	v_or3_b32 v42, v12, v44, v42
.LBB322_103:                            ;   in Loop: Header=BB322_12 Depth=1
	s_or_b32 exec_lo, exec_lo, s44
.LBB322_104:                            ;   in Loop: Header=BB322_12 Depth=1
	s_delay_alu instid0(SALU_CYCLE_1)
	s_or_b32 exec_lo, exec_lo, s43
.LBB322_105:                            ;   in Loop: Header=BB322_12 Depth=1
	s_delay_alu instid0(SALU_CYCLE_1) | instskip(NEXT) | instid1(SALU_CYCLE_1)
	s_or_b32 exec_lo, exec_lo, s42
	s_mov_b32 s42, exec_lo
	v_cmpx_lt_u32_e32 0xffffff, v43
	s_cbranch_execz .LBB322_113
; %bb.106:                              ;   in Loop: Header=BB322_12 Depth=1
	v_lshrrev_b32_e32 v44, 24, v43
	v_bfrev_b32_e32 v41, 1
	s_mov_b32 s43, exec_lo
	s_delay_alu instid0(VALU_DEP_2)
	v_cmpx_ne_u32_e32 0x80, v44
	s_cbranch_execz .LBB322_112
; %bb.107:                              ;   in Loop: Header=BB322_12 Depth=1
	v_bfe_u32 v43, v43, 24, 7
	v_mov_b32_e32 v41, 0x7f800001
	s_mov_b32 s44, exec_lo
	s_delay_alu instid0(VALU_DEP_2)
	v_cmpx_ne_u32_e32 0x7f, v43
	s_cbranch_execz .LBB322_111
; %bb.108:                              ;   in Loop: Header=BB322_12 Depth=1
	v_dual_lshrrev_b32 v41, 3, v43 :: v_dual_bitop2_b32 v12, 7, v44 bitop3:0x40
	s_mov_b32 s45, exec_lo
	v_cmpx_gt_u32_e32 8, v43
; %bb.109:                              ;   in Loop: Header=BB322_12 Depth=1
	s_delay_alu instid0(VALU_DEP_2) | instskip(NEXT) | instid1(VALU_DEP_1)
	v_clz_i32_u32_e32 v41, v12
	v_min_u32_e32 v41, 32, v41
	s_delay_alu instid0(VALU_DEP_1) | instskip(NEXT) | instid1(VALU_DEP_1)
	v_subrev_nc_u32_e32 v43, 28, v41
	v_lshlrev_b64_e32 v[46:47], v43, v[12:13]
	s_delay_alu instid0(VALU_DEP_1)
	v_dual_sub_nc_u32 v41, 29, v41 :: v_dual_bitop2_b32 v12, 7, v46 bitop3:0x40
; %bb.110:                              ;   in Loop: Header=BB322_12 Depth=1
	s_or_b32 exec_lo, exec_lo, s45
	v_lshlrev_b32_e32 v43, 24, v44
	s_delay_alu instid0(VALU_DEP_2) | instskip(NEXT) | instid1(VALU_DEP_3)
	v_lshlrev_b32_e32 v12, 20, v12
	v_lshl_add_u32 v41, v41, 23, 0x3c000000
	s_delay_alu instid0(VALU_DEP_3) | instskip(NEXT) | instid1(VALU_DEP_1)
	v_and_b32_e32 v43, 0x80000000, v43
	v_or3_b32 v41, v12, v43, v41
.LBB322_111:                            ;   in Loop: Header=BB322_12 Depth=1
	s_or_b32 exec_lo, exec_lo, s44
.LBB322_112:                            ;   in Loop: Header=BB322_12 Depth=1
	s_delay_alu instid0(SALU_CYCLE_1)
	s_or_b32 exec_lo, exec_lo, s43
.LBB322_113:                            ;   in Loop: Header=BB322_12 Depth=1
	s_delay_alu instid0(SALU_CYCLE_1)
	s_or_b32 exec_lo, exec_lo, s42
	global_load_b32 v43, v[20:21], off offset:264
	s_wait_xcnt 0x0
	v_dual_mov_b32 v21, 0 :: v_dual_mov_b32 v20, 0
	s_mov_b32 s42, exec_lo
	s_wait_loadcnt 0x0
	v_and_b32_e32 v12, 0xff, v43
	s_delay_alu instid0(VALU_DEP_1)
	v_cmpx_ne_u16_e32 0, v12
	s_cbranch_execz .LBB322_121
; %bb.114:                              ;   in Loop: Header=BB322_12 Depth=1
	v_bfrev_b32_e32 v20, 1
	s_mov_b32 s43, exec_lo
	v_cmpx_ne_u16_e32 0x80, v12
	s_cbranch_execz .LBB322_120
; %bb.115:                              ;   in Loop: Header=BB322_12 Depth=1
	v_and_b32_e32 v44, 0x7f, v43
	v_mov_b32_e32 v20, 0x7f800001
	s_mov_b32 s44, exec_lo
	s_delay_alu instid0(VALU_DEP_2)
	v_cmpx_ne_u32_e32 0x7f, v44
	s_cbranch_execz .LBB322_119
; %bb.116:                              ;   in Loop: Header=BB322_12 Depth=1
	v_dual_lshrrev_b32 v20, 3, v44 :: v_dual_bitop2_b32 v12, 7, v43 bitop3:0x40
	s_mov_b32 s45, exec_lo
	v_cmpx_gt_u32_e32 8, v44
; %bb.117:                              ;   in Loop: Header=BB322_12 Depth=1
	s_delay_alu instid0(VALU_DEP_2) | instskip(NEXT) | instid1(VALU_DEP_1)
	v_clz_i32_u32_e32 v20, v12
	v_min_u32_e32 v20, 32, v20
	s_delay_alu instid0(VALU_DEP_1) | instskip(SKIP_1) | instid1(VALU_DEP_2)
	v_subrev_nc_u32_e32 v44, 28, v20
	v_sub_nc_u32_e32 v20, 29, v20
	v_lshlrev_b64_e32 v[44:45], v44, v[12:13]
	s_delay_alu instid0(VALU_DEP_1)
	v_and_b32_e32 v12, 7, v44
; %bb.118:                              ;   in Loop: Header=BB322_12 Depth=1
	s_or_b32 exec_lo, exec_lo, s45
	s_delay_alu instid0(VALU_DEP_1) | instskip(SKIP_1) | instid1(VALU_DEP_2)
	v_dual_lshlrev_b32 v44, 24, v43 :: v_dual_lshlrev_b32 v12, 20, v12
	v_lshl_add_u32 v20, v20, 23, 0x3c000000
	v_and_b32_e32 v44, 0x80000000, v44
	s_delay_alu instid0(VALU_DEP_1)
	v_or3_b32 v20, v12, v44, v20
.LBB322_119:                            ;   in Loop: Header=BB322_12 Depth=1
	s_or_b32 exec_lo, exec_lo, s44
.LBB322_120:                            ;   in Loop: Header=BB322_12 Depth=1
	s_delay_alu instid0(SALU_CYCLE_1)
	s_or_b32 exec_lo, exec_lo, s43
.LBB322_121:                            ;   in Loop: Header=BB322_12 Depth=1
	s_delay_alu instid0(SALU_CYCLE_1) | instskip(SKIP_2) | instid1(VALU_DEP_1)
	s_or_b32 exec_lo, exec_lo, s42
	v_lshrrev_b16 v12, 8, v43
	s_mov_b32 s42, exec_lo
	v_cmpx_ne_u16_e32 0, v12
	s_cbranch_execz .LBB322_129
; %bb.122:                              ;   in Loop: Header=BB322_12 Depth=1
	v_bfrev_b32_e32 v21, 1
	s_mov_b32 s43, exec_lo
	v_cmpx_ne_u16_e32 0x80, v12
	s_cbranch_execz .LBB322_128
; %bb.123:                              ;   in Loop: Header=BB322_12 Depth=1
	v_and_b32_e32 v12, 0xffff, v12
	v_mov_b32_e32 v21, 0x7f800001
	s_mov_b32 s44, exec_lo
	s_delay_alu instid0(VALU_DEP_2) | instskip(NEXT) | instid1(VALU_DEP_1)
	v_and_b32_e32 v44, 0x7f, v12
	v_cmpx_ne_u32_e32 0x7f, v44
	s_cbranch_execz .LBB322_127
; %bb.124:                              ;   in Loop: Header=BB322_12 Depth=1
	v_and_b32_e32 v12, 7, v12
	v_lshrrev_b32_e32 v21, 3, v44
	s_mov_b32 s45, exec_lo
	v_cmpx_gt_u32_e32 8, v44
; %bb.125:                              ;   in Loop: Header=BB322_12 Depth=1
	s_delay_alu instid0(VALU_DEP_3) | instskip(NEXT) | instid1(VALU_DEP_1)
	v_clz_i32_u32_e32 v21, v12
	v_min_u32_e32 v21, 32, v21
	s_delay_alu instid0(VALU_DEP_1) | instskip(NEXT) | instid1(VALU_DEP_1)
	v_subrev_nc_u32_e32 v44, 28, v21
	v_lshlrev_b64_e32 v[44:45], v44, v[12:13]
	s_delay_alu instid0(VALU_DEP_1)
	v_dual_sub_nc_u32 v21, 29, v21 :: v_dual_bitop2_b32 v12, 7, v44 bitop3:0x40
; %bb.126:                              ;   in Loop: Header=BB322_12 Depth=1
	s_or_b32 exec_lo, exec_lo, s45
	s_delay_alu instid0(VALU_DEP_1) | instskip(NEXT) | instid1(VALU_DEP_2)
	v_dual_lshlrev_b32 v44, 16, v43 :: v_dual_lshlrev_b32 v12, 20, v12
	v_lshl_add_u32 v21, v21, 23, 0x3c000000
	s_delay_alu instid0(VALU_DEP_2) | instskip(NEXT) | instid1(VALU_DEP_1)
	v_and_b32_e32 v44, 0x80000000, v44
	v_or3_b32 v21, v12, v44, v21
.LBB322_127:                            ;   in Loop: Header=BB322_12 Depth=1
	s_or_b32 exec_lo, exec_lo, s44
.LBB322_128:                            ;   in Loop: Header=BB322_12 Depth=1
	s_delay_alu instid0(SALU_CYCLE_1)
	s_or_b32 exec_lo, exec_lo, s43
.LBB322_129:                            ;   in Loop: Header=BB322_12 Depth=1
	s_delay_alu instid0(SALU_CYCLE_1) | instskip(SKIP_3) | instid1(VALU_DEP_2)
	s_or_b32 exec_lo, exec_lo, s42
	v_dual_lshrrev_b32 v46, 16, v43 :: v_dual_mov_b32 v44, 0
	v_mov_b32_e32 v45, 0
	s_mov_b32 s42, exec_lo
	v_and_b32_e32 v12, 0xff, v46
	s_delay_alu instid0(VALU_DEP_1)
	v_cmpx_ne_u16_e32 0, v12
	s_cbranch_execz .LBB322_137
; %bb.130:                              ;   in Loop: Header=BB322_12 Depth=1
	v_bfrev_b32_e32 v45, 1
	s_mov_b32 s43, exec_lo
	v_cmpx_ne_u16_e32 0x80, v12
	s_cbranch_execz .LBB322_136
; %bb.131:                              ;   in Loop: Header=BB322_12 Depth=1
	v_bfe_u32 v47, v43, 16, 7
	v_mov_b32_e32 v45, 0x7f800001
	s_mov_b32 s44, exec_lo
	s_delay_alu instid0(VALU_DEP_2)
	v_cmpx_ne_u32_e32 0x7f, v47
	s_cbranch_execz .LBB322_135
; %bb.132:                              ;   in Loop: Header=BB322_12 Depth=1
	v_dual_lshrrev_b32 v45, 3, v47 :: v_dual_bitop2_b32 v12, 7, v46 bitop3:0x40
	s_mov_b32 s45, exec_lo
	v_cmpx_gt_u32_e32 8, v47
; %bb.133:                              ;   in Loop: Header=BB322_12 Depth=1
	s_delay_alu instid0(VALU_DEP_2) | instskip(NEXT) | instid1(VALU_DEP_1)
	v_clz_i32_u32_e32 v45, v12
	v_min_u32_e32 v45, 32, v45
	s_delay_alu instid0(VALU_DEP_1) | instskip(NEXT) | instid1(VALU_DEP_1)
	v_subrev_nc_u32_e32 v47, 28, v45
	v_lshlrev_b64_e32 v[48:49], v47, v[12:13]
	s_delay_alu instid0(VALU_DEP_1)
	v_dual_sub_nc_u32 v45, 29, v45 :: v_dual_bitop2_b32 v12, 7, v48 bitop3:0x40
; %bb.134:                              ;   in Loop: Header=BB322_12 Depth=1
	s_or_b32 exec_lo, exec_lo, s45
	s_delay_alu instid0(VALU_DEP_1) | instskip(NEXT) | instid1(VALU_DEP_2)
	v_dual_lshlrev_b32 v46, 24, v46 :: v_dual_lshlrev_b32 v12, 20, v12
	v_lshl_add_u32 v45, v45, 23, 0x3c000000
	s_delay_alu instid0(VALU_DEP_2) | instskip(NEXT) | instid1(VALU_DEP_1)
	v_and_b32_e32 v46, 0x80000000, v46
	v_or3_b32 v45, v12, v46, v45
.LBB322_135:                            ;   in Loop: Header=BB322_12 Depth=1
	s_or_b32 exec_lo, exec_lo, s44
.LBB322_136:                            ;   in Loop: Header=BB322_12 Depth=1
	s_delay_alu instid0(SALU_CYCLE_1)
	s_or_b32 exec_lo, exec_lo, s43
.LBB322_137:                            ;   in Loop: Header=BB322_12 Depth=1
	s_delay_alu instid0(SALU_CYCLE_1) | instskip(NEXT) | instid1(SALU_CYCLE_1)
	s_or_b32 exec_lo, exec_lo, s42
	s_mov_b32 s42, exec_lo
	v_cmpx_lt_u32_e32 0xffffff, v43
	s_cbranch_execz .LBB322_145
; %bb.138:                              ;   in Loop: Header=BB322_12 Depth=1
	v_lshrrev_b32_e32 v46, 24, v43
	v_bfrev_b32_e32 v44, 1
	s_mov_b32 s43, exec_lo
	s_delay_alu instid0(VALU_DEP_2)
	v_cmpx_ne_u32_e32 0x80, v46
	s_cbranch_execz .LBB322_144
; %bb.139:                              ;   in Loop: Header=BB322_12 Depth=1
	v_bfe_u32 v47, v43, 24, 7
	v_mov_b32_e32 v44, 0x7f800001
	s_mov_b32 s44, exec_lo
	s_delay_alu instid0(VALU_DEP_2)
	v_cmpx_ne_u32_e32 0x7f, v47
	s_cbranch_execz .LBB322_143
; %bb.140:                              ;   in Loop: Header=BB322_12 Depth=1
	v_dual_lshrrev_b32 v43, 3, v47 :: v_dual_bitop2_b32 v12, 7, v46 bitop3:0x40
	s_mov_b32 s45, exec_lo
	v_cmpx_gt_u32_e32 8, v47
; %bb.141:                              ;   in Loop: Header=BB322_12 Depth=1
	s_delay_alu instid0(VALU_DEP_2) | instskip(NEXT) | instid1(VALU_DEP_1)
	v_clz_i32_u32_e32 v43, v12
	v_min_u32_e32 v43, 32, v43
	s_delay_alu instid0(VALU_DEP_1) | instskip(NEXT) | instid1(VALU_DEP_1)
	v_subrev_nc_u32_e32 v44, 28, v43
	v_lshlrev_b64_e32 v[48:49], v44, v[12:13]
	s_delay_alu instid0(VALU_DEP_1)
	v_dual_sub_nc_u32 v43, 29, v43 :: v_dual_bitop2_b32 v12, 7, v48 bitop3:0x40
; %bb.142:                              ;   in Loop: Header=BB322_12 Depth=1
	s_or_b32 exec_lo, exec_lo, s45
	s_delay_alu instid0(VALU_DEP_1) | instskip(NEXT) | instid1(VALU_DEP_2)
	v_dual_lshlrev_b32 v44, 24, v46 :: v_dual_lshlrev_b32 v12, 20, v12
	v_lshl_add_u32 v43, v43, 23, 0x3c000000
	s_delay_alu instid0(VALU_DEP_2) | instskip(NEXT) | instid1(VALU_DEP_1)
	v_and_b32_e32 v44, 0x80000000, v44
	v_or3_b32 v44, v12, v44, v43
.LBB322_143:                            ;   in Loop: Header=BB322_12 Depth=1
	s_or_b32 exec_lo, exec_lo, s44
.LBB322_144:                            ;   in Loop: Header=BB322_12 Depth=1
	s_delay_alu instid0(SALU_CYCLE_1)
	s_or_b32 exec_lo, exec_lo, s43
.LBB322_145:                            ;   in Loop: Header=BB322_12 Depth=1
	s_delay_alu instid0(SALU_CYCLE_1)
	s_or_b32 exec_lo, exec_lo, s42
	s_wait_kmcnt 0x0
	v_fma_mixlo_bf16 v36, s41, v36, 0
	v_fma_mixlo_bf16 v35, s41, v35, 0
	;; [unrolled: 1-line block ×5, first 2 shown]
	s_wait_dscnt 0x1
	v_dual_lshlrev_b32 v42, 16, v8 :: v_dual_lshlrev_b32 v35, 16, v35
	v_and_b32_e32 v8, 0xffff0000, v8
	v_dual_lshlrev_b32 v36, 16, v36 :: v_dual_lshlrev_b32 v43, 16, v9
	v_fma_mixlo_bf16 v37, s41, v37, 0
	v_fma_mixlo_bf16 v32, s41, v32, 0
	;; [unrolled: 1-line block ×3, first 2 shown]
	v_dual_mul_f32 v35, v42, v35 :: v_dual_lshlrev_b32 v38, 16, v38
	s_delay_alu instid0(VALU_DEP_4)
	v_dual_mul_f32 v8, v8, v36 :: v_dual_lshlrev_b32 v36, 16, v37
	v_fma_mixlo_bf16 v40, s41, v40, 0
	v_fma_mixlo_bf16 v39, s41, v39, 0
	;; [unrolled: 1-line block ×3, first 2 shown]
	v_and_b32_e32 v9, 0xffff0000, v9
	v_mul_f32_e32 v37, v43, v38
	v_fma_mix_f32_bf16 v15, v6, v15, v35 op_sel_hi:[1,1,0]
	v_fma_mix_f32_bf16 v6, v6, v32, v8 op_sel:[1,0,0] op_sel_hi:[1,1,0]
	v_fma_mixlo_bf16 v20, s41, v20, 0
	v_fma_mixlo_bf16 v8, s41, v33, 0
	v_mul_f32_e32 v9, v9, v36
	v_fma_mix_f32_bf16 v32, v7, v34, v37 op_sel_hi:[1,1,0]
	s_wait_dscnt 0x0
	v_fma_mix_f32_bf16 v15, v2, v39, v15 op_sel_hi:[1,1,0]
	v_fma_mix_f32_bf16 v2, v2, v40, v6 op_sel:[1,0,0] op_sel_hi:[1,1,0]
	v_fma_mixlo_bf16 v41, s41, v41, 0
	v_fma_mixlo_bf16 v6, s41, v45, 0
	v_fma_mix_f32_bf16 v7, v7, v8, v9 op_sel:[1,0,0] op_sel_hi:[1,1,0]
	v_fma_mix_f32_bf16 v8, v3, v21, v32 op_sel_hi:[1,1,0]
	v_fma_mix_f32_bf16 v9, v4, v20, v15 op_sel_hi:[1,1,0]
	v_fma_mix_f32_bf16 v2, v4, v12, v2 op_sel:[1,0,0] op_sel_hi:[1,1,0]
	v_fma_mixlo_bf16 v12, s41, v44, 0
	v_fma_mix_f32_bf16 v3, v3, v41, v7 op_sel:[1,0,0] op_sel_hi:[1,1,0]
	v_fma_mix_f32_bf16 v6, v5, v6, v8 op_sel_hi:[1,1,0]
	s_delay_alu instid0(VALU_DEP_4) | instskip(NEXT) | instid1(VALU_DEP_3)
	v_add_f32_e32 v2, v9, v2
	v_fma_mix_f32_bf16 v3, v5, v12, v3 op_sel:[1,0,0] op_sel_hi:[1,1,0]
	s_delay_alu instid0(VALU_DEP_2) | instskip(NEXT) | instid1(VALU_DEP_1)
	v_add_f32_e32 v2, v2, v6
	v_dual_add_f32 v2, v2, v3 :: v_dual_bitop2_b32 v4, 1, v22 bitop3:0x14
	s_delay_alu instid0(VALU_DEP_1) | instskip(NEXT) | instid1(VALU_DEP_1)
	v_cmp_gt_i32_e64 s4, 32, v4
	v_cndmask_b32_e64 v4, v22, v4, s4
	s_delay_alu instid0(VALU_DEP_1)
	v_lshlrev_b32_e32 v4, 2, v4
	ds_bpermute_b32 v3, v4, v2
	s_and_saveexec_b32 s41, s3
	s_cbranch_execz .LBB322_10
; %bb.146:                              ;   in Loop: Header=BB322_12 Depth=1
	s_wait_dscnt 0x0
	v_dual_add_nc_u32 v4, v28, v14 :: v_dual_add_f32 v2, v2, v3
	s_delay_alu instid0(VALU_DEP_1) | instskip(NEXT) | instid1(VALU_DEP_1)
	v_cvt_f32_i32_e32 v4, v4
	v_mul_f32_e32 v4, s36, v4
	s_delay_alu instid0(VALU_DEP_1) | instskip(NEXT) | instid1(VALU_DEP_1)
	v_dual_cndmask_b32 v3, 0, v4 :: v_dual_max_num_f32 v4, v25, v25
	v_fmac_f32_e32 v3, s27, v2
	s_delay_alu instid0(VALU_DEP_1) | instskip(NEXT) | instid1(VALU_DEP_1)
	v_dual_add_nc_u32 v2, v23, v14 :: v_dual_max_num_f32 v4, v4, v3
	v_cmp_gt_i32_e64 s4, s34, v2
	s_delay_alu instid0(VALU_DEP_1)
	v_dual_cndmask_b32 v2, 0, v3, s4 :: v_dual_cndmask_b32 v25, v25, v4, s4
	ds_store_b32 v29, v2
	s_branch .LBB322_10
.LBB322_147:
	s_or_b32 exec_lo, exec_lo, s40
.LBB322_148:
	s_delay_alu instid0(SALU_CYCLE_1)
	s_or_b32 exec_lo, exec_lo, s37
	v_dual_max_num_f32 v5, v25, v25 :: v_dual_bitop2_b32 v2, 16, v22 bitop3:0x14
	v_xor_b32_e32 v4, 8, v22
	s_clause 0x1
	s_load_b64 s[4:5], s[0:1], 0x0
	s_load_b64 s[8:9], s[0:1], 0x18
	v_and_b32_e32 v28, 31, v0
	v_cmp_gt_i32_e32 vcc_lo, 32, v2
	v_cndmask_b32_e32 v2, v22, v2, vcc_lo
	v_cmp_gt_i32_e32 vcc_lo, 32, v4
	s_wait_dscnt 0x0
	s_delay_alu instid0(VALU_DEP_2) | instskip(SKIP_3) | instid1(VALU_DEP_1)
	v_dual_cndmask_b32 v4, v22, v4 :: v_dual_lshlrev_b32 v3, 2, v2
	ds_bpermute_b32 v2, v3, v25
	s_wait_dscnt 0x0
	v_dual_max_num_f32 v2, v2, v2 :: v_dual_lshlrev_b32 v4, 2, v4
	v_max_num_f32_e32 v2, v5, v2
	ds_bpermute_b32 v5, v4, v2
	s_wait_dscnt 0x0
	v_dual_max_num_f32 v7, v5, v5 :: v_dual_bitop2_b32 v6, 4, v22 bitop3:0x14
	s_delay_alu instid0(VALU_DEP_1) | instskip(NEXT) | instid1(VALU_DEP_2)
	v_max_num_f32_e32 v2, v2, v7
	v_cmp_gt_i32_e32 vcc_lo, 32, v6
	v_xor_b32_e32 v7, 2, v22
	v_cndmask_b32_e32 v6, v22, v6, vcc_lo
	s_delay_alu instid0(VALU_DEP_2) | instskip(NEXT) | instid1(VALU_DEP_2)
	v_cmp_gt_i32_e32 vcc_lo, 32, v7
	v_dual_cndmask_b32 v8, v22, v7 :: v_dual_lshlrev_b32 v5, 2, v6
	v_cmp_eq_u32_e32 vcc_lo, 0, v28
	ds_bpermute_b32 v6, v5, v2
	s_wait_dscnt 0x0
	v_max_num_f32_e32 v6, v6, v6
	s_delay_alu instid0(VALU_DEP_1)
	v_dual_max_num_f32 v7, v2, v6 :: v_dual_lshlrev_b32 v2, 2, v8
	v_lshlrev_b32_e32 v6, 2, v27
	ds_bpermute_b32 v8, v2, v7
	s_wait_xcnt 0x0
	s_and_saveexec_b32 s0, vcc_lo
	s_cbranch_execz .LBB322_150
; %bb.149:
	s_wait_dscnt 0x0
	v_dual_max_num_f32 v8, v8, v8 :: v_dual_max_num_f32 v7, v7, v7
	s_delay_alu instid0(VALU_DEP_1)
	v_max_num_f32_e32 v7, v7, v8
	ds_store_b32 v6, v7 offset:64
.LBB322_150:
	s_or_b32 exec_lo, exec_lo, s0
	v_cmp_gt_u32_e64 s0, 4, v28
	s_wait_dscnt 0x0
	v_dual_mov_b32 v8, 0xff7fffff :: v_dual_lshlrev_b32 v7, 2, v28
	s_barrier_signal -1
	s_barrier_wait -1
	s_and_saveexec_b32 s1, s0
; %bb.151:
	ds_load_b32 v8, v7 offset:64
; %bb.152:
	s_or_b32 exec_lo, exec_lo, s1
	s_wait_dscnt 0x0
	ds_bpermute_b32 v9, v2, v8
	v_dual_max_num_f32 v8, v8, v8 :: v_dual_bitop2_b32 v12, 1, v22 bitop3:0x14
	s_delay_alu instid0(VALU_DEP_1) | instskip(NEXT) | instid1(VALU_DEP_1)
	v_cmp_gt_i32_e64 s1, 32, v12
	v_cndmask_b32_e64 v12, v22, v12, s1
	s_lshl_b32 s1, s12, 4
	s_delay_alu instid0(SALU_CYCLE_1) | instskip(NEXT) | instid1(SALU_CYCLE_1)
	s_min_i32 s19, s1, s34
	v_cmp_gt_i32_e64 s1, s19, v0
	s_wait_dscnt 0x0
	v_dual_max_num_f32 v9, v9, v9 :: v_dual_lshlrev_b32 v29, 2, v12
	s_delay_alu instid0(VALU_DEP_1) | instskip(SKIP_3) | instid1(VALU_DEP_1)
	v_max_num_f32_e32 v8, v8, v9
	ds_bpermute_b32 v9, v29, v8
	s_wait_dscnt 0x0
	v_max_num_f32_e32 v9, v9, v9
	v_dual_max_num_f32 v9, v8, v9 :: v_dual_mov_b32 v8, 0
	ds_bpermute_b32 v9, v8, v9
	s_and_saveexec_b32 s27, s1
	s_cbranch_execz .LBB322_156
; %bb.153:
	v_lshl_add_u32 v12, v0, 2, 0x60
	v_dual_mov_b32 v8, 0 :: v_dual_mov_b32 v13, v0
	s_mov_b32 s28, 0
.LBB322_154:                            ; =>This Inner Loop Header: Depth=1
	ds_load_b32 v14, v12
	s_wait_dscnt 0x0
	v_sub_f32_e32 v14, v14, v9
	s_delay_alu instid0(VALU_DEP_1) | instskip(NEXT) | instid1(VALU_DEP_1)
	v_mul_f32_e32 v14, 0x3fb8aa3b, v14
	v_exp_f32_e32 v14, v14
	v_nop
	s_delay_alu instid0(TRANS32_DEP_1) | instskip(NEXT) | instid1(VALU_DEP_1)
	v_dual_add_f32 v8, v8, v14 :: v_dual_add_nc_u32 v13, 0x80, v13
	v_cmp_le_i32_e64 s3, s19, v13
	ds_store_b32 v12, v14
	v_add_nc_u32_e32 v12, 0x200, v12
	s_or_b32 s28, s3, s28
	s_delay_alu instid0(SALU_CYCLE_1)
	s_and_not1_b32 exec_lo, exec_lo, s28
	s_cbranch_execnz .LBB322_154
; %bb.155:
	s_or_b32 exec_lo, exec_lo, s28
.LBB322_156:
	s_delay_alu instid0(SALU_CYCLE_1)
	s_or_b32 exec_lo, exec_lo, s27
	ds_bpermute_b32 v3, v3, v8
	s_wait_dscnt 0x0
	v_add_f32_e32 v3, v8, v3
	ds_bpermute_b32 v4, v4, v3
	s_wait_dscnt 0x0
	v_add_f32_e32 v3, v3, v4
	;; [unrolled: 3-line block ×5, first 2 shown]
	s_and_saveexec_b32 s3, vcc_lo
; %bb.157:
	ds_store_b32 v6, v3 offset:80
; %bb.158:
	s_or_b32 exec_lo, exec_lo, s3
	s_wait_dscnt 0x0
	s_barrier_signal -1
	s_barrier_wait -1
	s_and_saveexec_b32 s3, s0
; %bb.159:
	ds_load_b32 v3, v7 offset:80
; %bb.160:
	s_or_b32 exec_lo, exec_lo, s3
	s_wait_dscnt 0x0
	ds_bpermute_b32 v2, v2, v3
	s_wait_dscnt 0x0
	v_dual_mov_b32 v13, 0 :: v_dual_add_f32 v2, v3, v2
	ds_bpermute_b32 v3, v29, v2
	s_wait_dscnt 0x0
	v_add_f32_e32 v2, v2, v3
	ds_bpermute_b32 v2, v13, v2
	s_and_saveexec_b32 s0, s1
	s_cbranch_execz .LBB322_173
; %bb.161:
	s_wait_dscnt 0x0
	v_add_f32_e32 v2, 0x358637bd, v2
	s_mov_b32 s3, -1
	s_mov_b32 s1, exec_lo
	s_delay_alu instid0(VALU_DEP_1) | instskip(NEXT) | instid1(VALU_DEP_1)
	v_div_scale_f32 v3, null, v2, v2, 1.0
	v_rcp_f32_e32 v5, v3
	v_nop
	s_delay_alu instid0(TRANS32_DEP_1) | instskip(NEXT) | instid1(VALU_DEP_1)
	v_fma_f32 v4, -v3, v5, 1.0
	v_fmac_f32_e32 v5, v4, v5
	v_div_scale_f32 v6, vcc_lo, 1.0, v2, 1.0
	s_delay_alu instid0(VALU_DEP_1) | instskip(NEXT) | instid1(VALU_DEP_1)
	v_mul_f32_e32 v7, v6, v5
	v_fma_f32 v4, -v3, v7, v6
	s_delay_alu instid0(VALU_DEP_1) | instskip(SKIP_1) | instid1(VALU_DEP_2)
	v_fmac_f32_e32 v7, v4, v5
	v_xad_u32 v4, v0, -1, s19
	v_fma_f32 v3, -v3, v7, v6
	s_delay_alu instid0(VALU_DEP_1) | instskip(NEXT) | instid1(VALU_DEP_1)
	v_div_fmas_f32 v3, v3, v5, v7
	v_div_fixup_f32 v2, v3, v2, 1.0
	v_mov_b32_e32 v3, v0
	v_cmpx_lt_u32_e32 0x7f, v4
	s_cbranch_execz .LBB322_170
; %bb.162:
	s_delay_alu instid0(VALU_DEP_3) | instskip(NEXT) | instid1(VALU_DEP_1)
	v_dual_mov_b32 v3, v2 :: v_dual_lshrrev_b32 v4, 7, v4
	v_dual_mov_b32 v8, 0 :: v_dual_add_nc_u32 v5, -1, v4
	s_delay_alu instid0(VALU_DEP_1) | instskip(SKIP_1) | instid1(VALU_DEP_2)
	v_lshrrev_b32_e32 v6, 1, v5
	v_cmp_lt_u32_e32 vcc_lo, 13, v5
	v_add_nc_u32_e32 v5, 1, v6
	s_and_saveexec_b32 s3, vcc_lo
	s_cbranch_execz .LBB322_166
; %bb.163:
	s_delay_alu instid0(VALU_DEP_1)
	v_and_b32_e32 v6, -8, v5
	v_lshl_add_u32 v7, v0, 2, 0x60
	s_mov_b32 s27, 0
	s_mov_b32 s28, 0
.LBB322_164:                            ; =>This Inner Loop Header: Depth=1
	ds_load_2addr_stride64_b32 v[8:9], v7 offset1:2
	ds_load_2addr_stride64_b32 v[14:15], v7 offset0:4 offset1:6
	ds_load_2addr_stride64_b32 v[16:17], v7 offset0:8 offset1:10
	;; [unrolled: 1-line block ×7, first 2 shown]
	s_add_co_i32 s28, s28, 16
	v_add_nc_u32_e32 v6, -8, v6
	s_wait_dscnt 0x7
	v_pk_mul_f32 v[8:9], v[2:3], v[8:9]
	s_wait_dscnt 0x6
	v_pk_mul_f32 v[14:15], v[2:3], v[14:15]
	;; [unrolled: 2-line block ×8, first 2 shown]
	ds_store_2addr_stride64_b32 v7, v8, v9 offset1:2
	ds_store_2addr_stride64_b32 v7, v14, v15 offset0:4 offset1:6
	ds_store_2addr_stride64_b32 v7, v16, v17 offset0:8 offset1:10
	ds_store_2addr_stride64_b32 v7, v18, v19 offset0:12 offset1:14
	ds_store_2addr_stride64_b32 v7, v20, v21 offset0:16 offset1:18
	ds_store_2addr_stride64_b32 v7, v22, v23 offset0:20 offset1:22
	ds_store_2addr_stride64_b32 v7, v24, v25 offset0:24 offset1:26
	ds_store_2addr_stride64_b32 v7, v30, v31 offset0:28 offset1:30
	v_mov_b32_e32 v8, s28
	v_cmp_eq_u32_e32 vcc_lo, 0, v6
	v_add_nc_u32_e32 v7, 0x2000, v7
	s_or_b32 s27, vcc_lo, s27
	s_delay_alu instid0(SALU_CYCLE_1)
	s_and_not1_b32 exec_lo, exec_lo, s27
	s_cbranch_execnz .LBB322_164
; %bb.165:
	s_or_b32 exec_lo, exec_lo, s27
.LBB322_166:
	s_delay_alu instid0(SALU_CYCLE_1) | instskip(NEXT) | instid1(VALU_DEP_1)
	s_or_b32 exec_lo, exec_lo, s3
	v_and_b32_e32 v5, 7, v5
	s_mov_b32 s27, 0
	s_mov_b32 s3, exec_lo
	s_delay_alu instid0(VALU_DEP_1)
	v_cmpx_ne_u32_e32 0, v5
	s_cbranch_execz .LBB322_169
; %bb.167:
	v_lshlrev_b32_e32 v6, 9, v8
	v_lshlrev_b32_e32 v7, 2, v0
	s_delay_alu instid0(VALU_DEP_1)
	v_add3_u32 v6, v6, v7, 0x60
.LBB322_168:                            ; =>This Inner Loop Header: Depth=1
	ds_load_2addr_stride64_b32 v[8:9], v6 offset1:2
	v_add_nc_u32_e32 v5, -1, v5
	s_delay_alu instid0(VALU_DEP_1)
	v_cmp_eq_u32_e32 vcc_lo, 0, v5
	s_or_b32 s27, vcc_lo, s27
	s_wait_dscnt 0x0
	v_pk_mul_f32 v[8:9], v[2:3], v[8:9]
	ds_store_2addr_stride64_b32 v6, v8, v9 offset1:2
	v_add_nc_u32_e32 v6, 0x400, v6
	s_and_not1_b32 exec_lo, exec_lo, s27
	s_cbranch_execnz .LBB322_168
.LBB322_169:
	s_or_b32 exec_lo, exec_lo, s3
	v_add_nc_u32_e32 v3, 1, v4
	s_delay_alu instid0(VALU_DEP_1) | instskip(NEXT) | instid1(VALU_DEP_1)
	v_and_b32_e32 v4, 0x3fffffe, v3
	v_cmp_ne_u32_e32 vcc_lo, v3, v4
	v_lshl_add_u32 v3, v4, 7, v0
	s_or_not1_b32 s3, vcc_lo, exec_lo
.LBB322_170:
	s_or_b32 exec_lo, exec_lo, s1
	s_delay_alu instid0(SALU_CYCLE_1)
	s_and_b32 exec_lo, exec_lo, s3
	s_cbranch_execz .LBB322_173
; %bb.171:
	v_lshl_add_u32 v4, v3, 2, 0x60
	s_mov_b32 s1, 0
.LBB322_172:                            ; =>This Inner Loop Header: Depth=1
	ds_load_b32 v5, v4
	v_add_nc_u32_e32 v3, 0x80, v3
	s_delay_alu instid0(VALU_DEP_1)
	v_cmp_le_i32_e32 vcc_lo, s19, v3
	s_or_b32 s1, vcc_lo, s1
	s_wait_dscnt 0x0
	v_mul_f32_e32 v5, v2, v5
	ds_store_b32 v4, v5
	v_add_nc_u32_e32 v4, 0x200, v4
	s_and_not1_b32 exec_lo, exec_lo, s1
	s_cbranch_execnz .LBB322_172
.LBB322_173:
	s_or_b32 exec_lo, exec_lo, s0
	v_mov_b32_e32 v12, 0
	s_wait_dscnt 0x0
	s_barrier_signal -1
	s_barrier_wait -1
	s_and_saveexec_b32 s1, s2
	s_cbranch_execz .LBB322_303
; %bb.174:
	s_abs_i32 s14, s14
	v_dual_mov_b32 v15, 0 :: v_dual_lshlrev_b32 v2, 3, v0
	s_cvt_f32_u32 s0, s14
	s_ashr_i32 s19, s18, 31
	v_dual_lshlrev_b32 v4, 5, v26 :: v_dual_mov_b32 v30, v27
	s_delay_alu instid0(SALU_CYCLE_1)
	v_rcp_iflag_f32_e32 v3, s0
	v_and_b32_e32 v14, 0xf8, v2
	s_wait_kmcnt 0x0
	s_add_nc_u64 s[8:9], s[8:9], s[18:19]
	s_lshl_b64 s[24:25], s[24:25], 2
	s_sub_co_i32 s18, 0, s14
	v_dual_mov_b32 v12, v15 :: v_dual_bitop2_b32 v31, 8, v2 bitop3:0x40
	v_readfirstlane_b32 s0, v3
	v_add_nc_u64_e32 v[16:17], s[8:9], v[14:15]
	v_and_b32_e32 v14, 0x7c, v11
	v_lshl_or_b32 v3, v27, 6, v4
	s_add_nc_u64 s[8:9], s[22:23], s[24:25]
	s_mul_f32 s0, s0, 0x4f7ffffe
	v_mov_b32_e32 v13, v15
	v_add_nc_u64_e32 v[18:19], s[8:9], v[14:15]
	v_add_nc_u32_e32 v32, 0x60, v3
	s_cvt_u32_f32 s0, s0
	s_mov_b32 s9, 0
	s_sub_co_i32 s13, s26, s13
	s_add_co_i32 s26, s12, -1
	s_mul_i32 s18, s18, s0
	s_mov_b64 s[2:3], 0xffffffffffffff
	s_mul_hi_u32 s8, s0, s18
	s_mov_b32 s18, s9
	s_add_co_i32 s8, s0, s8
	s_branch .LBB322_177
.LBB322_175:                            ;   in Loop: Header=BB322_177 Depth=1
	s_or_b32 exec_lo, exec_lo, s0
	s_wait_dscnt 0x1
	v_cvt_pk_bf16_f32 v6, v6, v7
	v_perm_b32 v7, v36, v37, 0x5040100
	s_wait_dscnt 0x0
	v_cvt_pk_bf16_f32 v3, v2, v3
	v_cvt_pk_bf16_f32 v8, v8, v9
	;; [unrolled: 1-line block ×3, first 2 shown]
	v_perm_b32 v5, v33, v35, 0x5040100
	v_pk_mul_bf16 v2, v6, v7
	v_perm_b32 v7, v11, v24, 0x5040100
	v_perm_b32 v9, v34, v25, 0x5040100
	;; [unrolled: 1-line block ×3, first 2 shown]
	v_pk_mul_bf16 v5, v8, v5
	s_delay_alu instid0(VALU_DEP_4)
	v_pk_mul_bf16 v25, v3, v7
	v_perm_b32 v7, v22, v48, 0x5040100
	v_pk_mul_bf16 v33, v4, v9
	v_perm_b32 v9, v14, v20, 0x5040100
	v_perm_b32 v14, v23, v21, 0x5040100
	v_pk_mul_bf16 v6, v6, v24
	v_pk_mul_bf16 v8, v8, v7
	v_lshlrev_b32_e32 v11, 16, v2
	v_and_b32_e32 v2, 0xffff0000, v2
	v_and_b32_e32 v22, 0xffff0000, v5
	v_pk_mul_bf16 v3, v3, v9
	v_pk_mul_bf16 v14, v4, v14
	s_delay_alu instid0(VALU_DEP_4)
	v_dual_add_f32 v2, v2, v11 :: v_dual_lshlrev_b32 v7, 16, v6
	v_lshlrev_b32_e32 v11, 16, v5
	v_and_b32_e32 v5, 0xffff0000, v6
	v_and_b32_e32 v4, 0xffff0000, v8
	v_lshlrev_b32_e32 v6, 16, v8
	v_and_b32_e32 v9, 0xffff0000, v3
	v_lshlrev_b32_e32 v21, 16, v3
	v_and_b32_e32 v8, 0xffff0000, v14
	v_dual_lshlrev_b32 v20, 16, v14 :: v_dual_lshlrev_b32 v14, 16, v25
	v_pk_add_f32 v[4:5], v[6:7], v[4:5]
	v_and_b32_e32 v23, 0xffff0000, v25
	v_add_f32_e32 v6, v22, v11
	s_delay_alu instid0(VALU_DEP_4) | instskip(NEXT) | instid1(VALU_DEP_4)
	v_pk_add_f32 v[8:9], v[20:21], v[8:9]
	v_dual_lshlrev_b32 v11, 16, v33 :: v_dual_mov_b32 v7, v4
	s_delay_alu instid0(VALU_DEP_4) | instskip(SKIP_1) | instid1(VALU_DEP_4)
	v_dual_mov_b32 v3, v5 :: v_dual_add_f32 v4, v23, v14
	v_and_b32_e32 v14, 0xffff0000, v33
	v_mov_b32_e32 v5, v9
	s_delay_alu instid0(VALU_DEP_3) | instskip(NEXT) | instid1(VALU_DEP_3)
	v_pk_add_f32 v[2:3], v[6:7], v[2:3]
	v_dual_mov_b32 v7, v8 :: v_dual_add_f32 v6, v14, v11
	s_delay_alu instid0(VALU_DEP_2) | instskip(NEXT) | instid1(VALU_DEP_1)
	v_pk_add_f32 v[2:3], v[4:5], v[2:3]
	v_pk_add_f32 v[2:3], v[6:7], v[2:3]
	s_delay_alu instid0(VALU_DEP_1)
	v_pk_add_f32 v[12:13], v[12:13], v[2:3]
.LBB322_176:                            ;   in Loop: Header=BB322_177 Depth=1
	s_or_b32 exec_lo, exec_lo, s19
	v_add_nc_u32_e32 v30, 4, v30
	v_add_nc_u64_e32 v[18:19], 16, v[18:19]
	v_add_nc_u32_e32 v10, 64, v10
	v_add_nc_u32_e32 v32, 0x100, v32
	s_delay_alu instid0(VALU_DEP_4) | instskip(SKIP_1) | instid1(SALU_CYCLE_1)
	v_cmp_le_i32_e32 vcc_lo, s12, v30
	s_or_b32 s18, vcc_lo, s18
	s_and_not1_b32 exec_lo, exec_lo, s18
	s_cbranch_execz .LBB322_302
.LBB322_177:                            ; =>This Inner Loop Header: Depth=1
	v_mov_b32_e32 v11, v15
	s_delay_alu instid0(VALU_DEP_1) | instskip(NEXT) | instid1(VALU_DEP_1)
	v_mul_u64_e32 v[2:3], s[20:21], v[10:11]
	v_mul_lo_u32 v2, v3, s16
	s_delay_alu instid0(VALU_DEP_1) | instskip(NEXT) | instid1(VALU_DEP_1)
	v_sub_nc_u32_e32 v2, v10, v2
	v_subrev_nc_u32_e32 v5, s16, v2
	v_cmp_le_u32_e32 vcc_lo, s16, v2
	s_delay_alu instid0(VALU_DEP_2) | instskip(NEXT) | instid1(VALU_DEP_1)
	v_dual_add_nc_u32 v4, 1, v3 :: v_dual_cndmask_b32 v2, v2, v5, vcc_lo
	v_cndmask_b32_e32 v3, v3, v4, vcc_lo
	s_delay_alu instid0(VALU_DEP_2) | instskip(NEXT) | instid1(VALU_DEP_2)
	v_cmp_le_u32_e32 vcc_lo, s16, v2
	v_add_nc_u32_e32 v4, 1, v3
	s_delay_alu instid0(VALU_DEP_1) | instskip(NEXT) | instid1(VALU_DEP_1)
	v_cndmask_b32_e32 v2, v3, v4, vcc_lo
	v_xor_b32_e32 v2, s15, v2
	s_delay_alu instid0(VALU_DEP_1) | instskip(NEXT) | instid1(VALU_DEP_1)
	v_subrev_nc_u32_e32 v4, s15, v2
	v_add_nc_u32_e32 v5, s35, v4
	v_cmp_lt_i32_e64 s0, s13, v4
	s_delay_alu instid0(VALU_DEP_2) | instskip(NEXT) | instid1(VALU_DEP_1)
	v_sub_nc_u32_e32 v2, 0, v5
	v_dual_ashrrev_i32 v5, 31, v5 :: v_dual_max_i32 v14, v5, v2
	s_delay_alu instid0(VALU_DEP_1) | instskip(NEXT) | instid1(VALU_DEP_1)
	v_mul_u64_e32 v[2:3], s[8:9], v[14:15]
	v_mul_lo_u32 v2, v3, s14
	s_delay_alu instid0(VALU_DEP_1) | instskip(NEXT) | instid1(VALU_DEP_1)
	v_sub_nc_u32_e32 v2, v14, v2
	v_subrev_nc_u32_e32 v3, s14, v2
	v_cmp_le_u32_e32 vcc_lo, s14, v2
	s_delay_alu instid0(VALU_DEP_2) | instskip(NEXT) | instid1(VALU_DEP_1)
	v_cndmask_b32_e32 v2, v2, v3, vcc_lo
	v_subrev_nc_u32_e32 v3, s14, v2
	v_cmp_le_u32_e32 vcc_lo, s14, v2
	s_delay_alu instid0(VALU_DEP_2) | instskip(NEXT) | instid1(VALU_DEP_1)
	v_cndmask_b32_e32 v2, v2, v3, vcc_lo
	v_xor_b32_e32 v2, v2, v5
	s_delay_alu instid0(VALU_DEP_1) | instskip(NEXT) | instid1(VALU_DEP_1)
	v_sub_nc_u32_e32 v2, v2, v5
	v_cmp_eq_u32_e32 vcc_lo, 0, v2
	s_or_b32 s0, vcc_lo, s0
	s_delay_alu instid0(SALU_CYCLE_1)
	s_and_saveexec_b32 s19, s0
	s_cbranch_execz .LBB322_176
; %bb.178:                              ;   in Loop: Header=BB322_177 Depth=1
	global_load_b32 v2, v[18:19], off
	v_dual_mov_b32 v36, 0 :: v_dual_mov_b32 v34, 0
	s_mov_b32 s0, exec_lo
	s_wait_loadcnt 0x0
	v_mad_nc_i64_i32 v[20:21], v2, s17, v[16:17]
	global_load_b64 v[22:23], v[20:21], off
	ds_load_2addr_b64 v[6:9], v32 offset1:1
	ds_load_2addr_b64 v[2:5], v32 offset0:2 offset1:3
	s_load_b32 s22, s[10:11], 0x0
	s_wait_loadcnt 0x0
	v_and_b32_e32 v11, 0xff, v22
	s_delay_alu instid0(VALU_DEP_1)
	v_cmpx_ne_u16_e32 0, v11
	s_cbranch_execz .LBB322_184
; %bb.179:                              ;   in Loop: Header=BB322_177 Depth=1
	v_bfrev_b32_e32 v34, 1
	s_mov_b32 s23, exec_lo
	v_cmpx_ne_u16_e32 0x80, v11
	s_cbranch_execz .LBB322_183
; %bb.180:                              ;   in Loop: Header=BB322_177 Depth=1
	v_and_b32_e32 v11, 0x7f, v22
	v_mov_b32_e32 v34, 0x7f800001
	s_mov_b32 s24, exec_lo
	s_delay_alu instid0(VALU_DEP_2)
	v_cmpx_ne_u32_e32 0x7f, v11
	s_cbranch_execz .LBB322_182
; %bb.181:                              ;   in Loop: Header=BB322_177 Depth=1
	v_dual_lshrrev_b32 v24, 3, v11 :: v_dual_bitop2_b32 v14, 7, v22 bitop3:0x40
	v_cmp_gt_u32_e32 vcc_lo, 8, v11
	s_delay_alu instid0(VALU_DEP_2) | instskip(NEXT) | instid1(VALU_DEP_1)
	v_clz_i32_u32_e32 v14, v14
	v_min_u32_e32 v14, 32, v14
	s_delay_alu instid0(VALU_DEP_1) | instskip(SKIP_1) | instid1(VALU_DEP_1)
	v_subrev_nc_u32_e32 v25, 28, v14
	v_sub_nc_u32_e32 v14, 29, v14
	v_dual_cndmask_b32 v11, v24, v14 :: v_dual_cndmask_b32 v14, 0, v25
	s_delay_alu instid0(VALU_DEP_1) | instskip(NEXT) | instid1(VALU_DEP_2)
	v_lshl_add_u32 v11, v11, 23, 0x3c000000
	v_lshlrev_b64_e32 v[24:25], v14, v[22:23]
	v_lshlrev_b32_e32 v14, 24, v22
	s_delay_alu instid0(VALU_DEP_1) | instskip(NEXT) | instid1(VALU_DEP_3)
	v_and_b32_e32 v14, 0x80000000, v14
	v_lshlrev_b32_e32 v24, 20, v24
	s_delay_alu instid0(VALU_DEP_1) | instskip(NEXT) | instid1(VALU_DEP_1)
	v_and_b32_e32 v24, 0x700000, v24
	v_or3_b32 v34, v24, v14, v11
.LBB322_182:                            ;   in Loop: Header=BB322_177 Depth=1
	s_or_b32 exec_lo, exec_lo, s24
.LBB322_183:                            ;   in Loop: Header=BB322_177 Depth=1
	s_delay_alu instid0(SALU_CYCLE_1)
	s_or_b32 exec_lo, exec_lo, s23
.LBB322_184:                            ;   in Loop: Header=BB322_177 Depth=1
	s_delay_alu instid0(SALU_CYCLE_1) | instskip(SKIP_2) | instid1(VALU_DEP_1)
	s_or_b32 exec_lo, exec_lo, s0
	v_lshrrev_b16 v11, 8, v22
	s_mov_b32 s0, exec_lo
	v_cmpx_ne_u16_e32 0, v11
	s_cbranch_execz .LBB322_192
; %bb.185:                              ;   in Loop: Header=BB322_177 Depth=1
	v_bfrev_b32_e32 v36, 1
	s_mov_b32 s23, exec_lo
	v_cmpx_ne_u16_e32 0x80, v11
	s_cbranch_execz .LBB322_191
; %bb.186:                              ;   in Loop: Header=BB322_177 Depth=1
	v_and_b32_e32 v11, 0xffff, v11
	v_mov_b32_e32 v36, 0x7f800001
	s_mov_b32 s24, exec_lo
	s_delay_alu instid0(VALU_DEP_2) | instskip(NEXT) | instid1(VALU_DEP_1)
	v_and_b32_e32 v24, 0x7f, v11
	v_cmpx_ne_u32_e32 0x7f, v24
	s_cbranch_execz .LBB322_190
; %bb.187:                              ;   in Loop: Header=BB322_177 Depth=1
	v_dual_lshrrev_b32 v11, 3, v24 :: v_dual_bitop2_b32 v14, 7, v11 bitop3:0x40
	s_mov_b32 s25, exec_lo
	v_cmpx_gt_u32_e32 8, v24
; %bb.188:                              ;   in Loop: Header=BB322_177 Depth=1
	s_delay_alu instid0(VALU_DEP_2) | instskip(NEXT) | instid1(VALU_DEP_1)
	v_clz_i32_u32_e32 v11, v14
	v_min_u32_e32 v11, 32, v11
	s_delay_alu instid0(VALU_DEP_1) | instskip(NEXT) | instid1(VALU_DEP_1)
	v_subrev_nc_u32_e32 v24, 28, v11
	v_lshlrev_b64_e32 v[24:25], v24, v[14:15]
	s_delay_alu instid0(VALU_DEP_1)
	v_dual_sub_nc_u32 v11, 29, v11 :: v_dual_bitop2_b32 v14, 7, v24 bitop3:0x40
; %bb.189:                              ;   in Loop: Header=BB322_177 Depth=1
	s_or_b32 exec_lo, exec_lo, s25
	v_lshlrev_b32_e32 v24, 16, v22
	s_delay_alu instid0(VALU_DEP_2) | instskip(NEXT) | instid1(VALU_DEP_3)
	v_lshlrev_b32_e32 v14, 20, v14
	v_lshl_add_u32 v11, v11, 23, 0x3c000000
	s_delay_alu instid0(VALU_DEP_3) | instskip(NEXT) | instid1(VALU_DEP_1)
	v_and_b32_e32 v24, 0x80000000, v24
	v_or3_b32 v36, v14, v24, v11
.LBB322_190:                            ;   in Loop: Header=BB322_177 Depth=1
	s_or_b32 exec_lo, exec_lo, s24
.LBB322_191:                            ;   in Loop: Header=BB322_177 Depth=1
	s_delay_alu instid0(SALU_CYCLE_1)
	s_or_b32 exec_lo, exec_lo, s23
.LBB322_192:                            ;   in Loop: Header=BB322_177 Depth=1
	s_delay_alu instid0(SALU_CYCLE_1) | instskip(SKIP_3) | instid1(VALU_DEP_2)
	s_or_b32 exec_lo, exec_lo, s0
	v_dual_lshrrev_b32 v11, 16, v22 :: v_dual_mov_b32 v33, 0
	v_mov_b32_e32 v35, 0
	s_mov_b32 s0, exec_lo
	v_and_b32_e32 v14, 0xff, v11
	s_delay_alu instid0(VALU_DEP_1)
	v_cmpx_ne_u16_e32 0, v14
	s_cbranch_execz .LBB322_200
; %bb.193:                              ;   in Loop: Header=BB322_177 Depth=1
	v_bfrev_b32_e32 v35, 1
	s_mov_b32 s23, exec_lo
	v_cmpx_ne_u16_e32 0x80, v14
	s_cbranch_execz .LBB322_199
; %bb.194:                              ;   in Loop: Header=BB322_177 Depth=1
	v_bfe_u32 v25, v22, 16, 7
	v_mov_b32_e32 v35, 0x7f800001
	s_mov_b32 s24, exec_lo
	s_delay_alu instid0(VALU_DEP_2)
	v_cmpx_ne_u32_e32 0x7f, v25
	s_cbranch_execz .LBB322_198
; %bb.195:                              ;   in Loop: Header=BB322_177 Depth=1
	v_dual_lshrrev_b32 v24, 3, v25 :: v_dual_bitop2_b32 v14, 7, v11 bitop3:0x40
	s_mov_b32 s25, exec_lo
	v_cmpx_gt_u32_e32 8, v25
; %bb.196:                              ;   in Loop: Header=BB322_177 Depth=1
	s_delay_alu instid0(VALU_DEP_2) | instskip(NEXT) | instid1(VALU_DEP_1)
	v_clz_i32_u32_e32 v24, v14
	v_min_u32_e32 v24, 32, v24
	s_delay_alu instid0(VALU_DEP_1) | instskip(NEXT) | instid1(VALU_DEP_1)
	v_subrev_nc_u32_e32 v25, 28, v24
	v_lshlrev_b64_e32 v[38:39], v25, v[14:15]
	s_delay_alu instid0(VALU_DEP_1)
	v_dual_sub_nc_u32 v24, 29, v24 :: v_dual_bitop2_b32 v14, 7, v38 bitop3:0x40
; %bb.197:                              ;   in Loop: Header=BB322_177 Depth=1
	s_or_b32 exec_lo, exec_lo, s25
	s_delay_alu instid0(VALU_DEP_1) | instskip(NEXT) | instid1(VALU_DEP_2)
	v_dual_lshlrev_b32 v11, 24, v11 :: v_dual_lshlrev_b32 v14, 20, v14
	v_lshl_add_u32 v24, v24, 23, 0x3c000000
	s_delay_alu instid0(VALU_DEP_2) | instskip(NEXT) | instid1(VALU_DEP_1)
	v_and_b32_e32 v11, 0x80000000, v11
	v_or3_b32 v35, v14, v11, v24
.LBB322_198:                            ;   in Loop: Header=BB322_177 Depth=1
	s_or_b32 exec_lo, exec_lo, s24
.LBB322_199:                            ;   in Loop: Header=BB322_177 Depth=1
	s_delay_alu instid0(SALU_CYCLE_1)
	s_or_b32 exec_lo, exec_lo, s23
.LBB322_200:                            ;   in Loop: Header=BB322_177 Depth=1
	s_delay_alu instid0(SALU_CYCLE_1) | instskip(NEXT) | instid1(SALU_CYCLE_1)
	s_or_b32 exec_lo, exec_lo, s0
	s_mov_b32 s0, exec_lo
	v_cmpx_lt_u32_e32 0xffffff, v22
	s_cbranch_execz .LBB322_208
; %bb.201:                              ;   in Loop: Header=BB322_177 Depth=1
	v_lshrrev_b32_e32 v11, 24, v22
	v_bfrev_b32_e32 v33, 1
	s_mov_b32 s23, exec_lo
	s_delay_alu instid0(VALU_DEP_2)
	v_cmpx_ne_u32_e32 0x80, v11
	s_cbranch_execz .LBB322_207
; %bb.202:                              ;   in Loop: Header=BB322_177 Depth=1
	v_bfe_u32 v25, v22, 24, 7
	v_mov_b32_e32 v33, 0x7f800001
	s_mov_b32 s24, exec_lo
	s_delay_alu instid0(VALU_DEP_2)
	v_cmpx_ne_u32_e32 0x7f, v25
	s_cbranch_execz .LBB322_206
; %bb.203:                              ;   in Loop: Header=BB322_177 Depth=1
	v_dual_lshrrev_b32 v24, 3, v25 :: v_dual_bitop2_b32 v14, 7, v11 bitop3:0x40
	s_mov_b32 s25, exec_lo
	v_cmpx_gt_u32_e32 8, v25
; %bb.204:                              ;   in Loop: Header=BB322_177 Depth=1
	s_delay_alu instid0(VALU_DEP_2) | instskip(NEXT) | instid1(VALU_DEP_1)
	v_clz_i32_u32_e32 v24, v14
	v_min_u32_e32 v24, 32, v24
	s_delay_alu instid0(VALU_DEP_1) | instskip(NEXT) | instid1(VALU_DEP_1)
	v_subrev_nc_u32_e32 v25, 28, v24
	v_lshlrev_b64_e32 v[38:39], v25, v[14:15]
	s_delay_alu instid0(VALU_DEP_1)
	v_dual_sub_nc_u32 v24, 29, v24 :: v_dual_bitop2_b32 v14, 7, v38 bitop3:0x40
; %bb.205:                              ;   in Loop: Header=BB322_177 Depth=1
	s_or_b32 exec_lo, exec_lo, s25
	s_delay_alu instid0(VALU_DEP_1) | instskip(NEXT) | instid1(VALU_DEP_2)
	v_dual_lshlrev_b32 v11, 24, v11 :: v_dual_lshlrev_b32 v14, 20, v14
	v_lshl_add_u32 v24, v24, 23, 0x3c000000
	s_delay_alu instid0(VALU_DEP_2) | instskip(NEXT) | instid1(VALU_DEP_1)
	v_and_b32_e32 v11, 0x80000000, v11
	v_or3_b32 v33, v14, v11, v24
.LBB322_206:                            ;   in Loop: Header=BB322_177 Depth=1
	s_or_b32 exec_lo, exec_lo, s24
.LBB322_207:                            ;   in Loop: Header=BB322_177 Depth=1
	s_delay_alu instid0(SALU_CYCLE_1)
	s_or_b32 exec_lo, exec_lo, s23
.LBB322_208:                            ;   in Loop: Header=BB322_177 Depth=1
	s_delay_alu instid0(SALU_CYCLE_1) | instskip(SKIP_4) | instid1(VALU_DEP_3)
	s_or_b32 exec_lo, exec_lo, s0
	v_and_b32_e32 v24, 0xff, v23
	v_dual_mov_b32 v14, v23 :: v_dual_mov_b32 v11, 0
	v_mov_b32_e32 v37, 0
	s_mov_b32 s0, exec_lo
	v_cmpx_ne_u16_e32 0, v24
	s_cbranch_execz .LBB322_214
; %bb.209:                              ;   in Loop: Header=BB322_177 Depth=1
	v_bfrev_b32_e32 v37, 1
	s_mov_b32 s23, exec_lo
	v_cmpx_ne_u16_e32 0x80, v24
	s_cbranch_execz .LBB322_213
; %bb.210:                              ;   in Loop: Header=BB322_177 Depth=1
	v_and_b32_e32 v24, 0x7f, v23
	v_mov_b32_e32 v37, 0x7f800001
	s_mov_b32 s24, exec_lo
	s_delay_alu instid0(VALU_DEP_2)
	v_cmpx_ne_u32_e32 0x7f, v24
	s_cbranch_execz .LBB322_212
; %bb.211:                              ;   in Loop: Header=BB322_177 Depth=1
	v_dual_lshrrev_b32 v37, 3, v24 :: v_dual_bitop2_b32 v25, 7, v23 bitop3:0x40
	v_cmp_gt_u32_e32 vcc_lo, 8, v24
	s_delay_alu instid0(VALU_DEP_2) | instskip(NEXT) | instid1(VALU_DEP_1)
	v_clz_i32_u32_e32 v25, v25
	v_min_u32_e32 v25, 32, v25
	s_delay_alu instid0(VALU_DEP_1) | instskip(NEXT) | instid1(VALU_DEP_1)
	v_subrev_nc_u32_e32 v38, 28, v25
	v_dual_cndmask_b32 v24, 0, v38 :: v_dual_sub_nc_u32 v25, 29, v25
	s_delay_alu instid0(VALU_DEP_1) | instskip(NEXT) | instid1(VALU_DEP_2)
	v_cndmask_b32_e32 v37, v37, v25, vcc_lo
	v_lshlrev_b64_e32 v[24:25], v24, v[14:15]
	v_lshlrev_b32_e32 v25, 24, v14
	s_delay_alu instid0(VALU_DEP_3) | instskip(NEXT) | instid1(VALU_DEP_2)
	v_lshl_add_u32 v37, v37, 23, 0x3c000000
	v_and_b32_e32 v25, 0x80000000, v25
	s_delay_alu instid0(VALU_DEP_4) | instskip(NEXT) | instid1(VALU_DEP_1)
	v_lshlrev_b32_e32 v24, 20, v24
	v_and_b32_e32 v24, 0x700000, v24
	s_delay_alu instid0(VALU_DEP_1)
	v_or3_b32 v37, v24, v25, v37
.LBB322_212:                            ;   in Loop: Header=BB322_177 Depth=1
	s_or_b32 exec_lo, exec_lo, s24
.LBB322_213:                            ;   in Loop: Header=BB322_177 Depth=1
	s_delay_alu instid0(SALU_CYCLE_1)
	s_or_b32 exec_lo, exec_lo, s23
.LBB322_214:                            ;   in Loop: Header=BB322_177 Depth=1
	s_delay_alu instid0(SALU_CYCLE_1) | instskip(SKIP_2) | instid1(VALU_DEP_1)
	s_or_b32 exec_lo, exec_lo, s0
	v_lshrrev_b16 v24, 8, v14
	s_mov_b32 s0, exec_lo
	v_cmpx_ne_u16_e32 0, v24
	s_cbranch_execz .LBB322_222
; %bb.215:                              ;   in Loop: Header=BB322_177 Depth=1
	v_bfrev_b32_e32 v11, 1
	s_mov_b32 s23, exec_lo
	v_cmpx_ne_u16_e32 0x80, v24
	s_cbranch_execz .LBB322_221
; %bb.216:                              ;   in Loop: Header=BB322_177 Depth=1
	v_and_b32_e32 v24, 0xffff, v24
	v_mov_b32_e32 v11, 0x7f800001
	s_mov_b32 s24, exec_lo
	s_delay_alu instid0(VALU_DEP_2) | instskip(NEXT) | instid1(VALU_DEP_1)
	v_and_b32_e32 v38, 0x7f, v24
	v_cmpx_ne_u32_e32 0x7f, v38
	s_cbranch_execz .LBB322_220
; %bb.217:                              ;   in Loop: Header=BB322_177 Depth=1
	v_dual_mov_b32 v25, v15 :: v_dual_bitop2_b32 v24, 7, v24 bitop3:0x40
	v_lshrrev_b32_e32 v11, 3, v38
	s_mov_b32 s25, exec_lo
	v_cmpx_gt_u32_e32 8, v38
; %bb.218:                              ;   in Loop: Header=BB322_177 Depth=1
	s_delay_alu instid0(VALU_DEP_3) | instskip(NEXT) | instid1(VALU_DEP_1)
	v_clz_i32_u32_e32 v11, v24
	v_min_u32_e32 v11, 32, v11
	s_delay_alu instid0(VALU_DEP_1) | instskip(NEXT) | instid1(VALU_DEP_1)
	v_subrev_nc_u32_e32 v38, 28, v11
	v_lshlrev_b64_e32 v[24:25], v38, v[24:25]
	s_delay_alu instid0(VALU_DEP_1)
	v_dual_sub_nc_u32 v11, 29, v11 :: v_dual_bitop2_b32 v24, 7, v24 bitop3:0x40
; %bb.219:                              ;   in Loop: Header=BB322_177 Depth=1
	s_or_b32 exec_lo, exec_lo, s25
	s_delay_alu instid0(VALU_DEP_1) | instskip(NEXT) | instid1(VALU_DEP_2)
	v_dual_lshlrev_b32 v14, 16, v14 :: v_dual_lshlrev_b32 v24, 20, v24
	v_lshl_add_u32 v11, v11, 23, 0x3c000000
	s_delay_alu instid0(VALU_DEP_2) | instskip(NEXT) | instid1(VALU_DEP_1)
	v_and_b32_e32 v14, 0x80000000, v14
	v_or3_b32 v11, v24, v14, v11
.LBB322_220:                            ;   in Loop: Header=BB322_177 Depth=1
	s_or_b32 exec_lo, exec_lo, s24
.LBB322_221:                            ;   in Loop: Header=BB322_177 Depth=1
	s_delay_alu instid0(SALU_CYCLE_1)
	s_or_b32 exec_lo, exec_lo, s23
.LBB322_222:                            ;   in Loop: Header=BB322_177 Depth=1
	s_delay_alu instid0(SALU_CYCLE_1) | instskip(SKIP_3) | instid1(VALU_DEP_2)
	s_or_b32 exec_lo, exec_lo, s0
	v_dual_mov_b32 v39, 0 :: v_dual_lshrrev_b32 v24, 16, v23
	v_mov_b32_e32 v25, 0
	s_mov_b32 s0, exec_lo
	v_and_b32_e32 v14, 0xff, v24
	s_delay_alu instid0(VALU_DEP_1)
	v_cmpx_ne_u16_e32 0, v14
	s_cbranch_execz .LBB322_230
; %bb.223:                              ;   in Loop: Header=BB322_177 Depth=1
	v_bfrev_b32_e32 v25, 1
	s_mov_b32 s23, exec_lo
	v_cmpx_ne_u16_e32 0x80, v14
	s_cbranch_execz .LBB322_229
; %bb.224:                              ;   in Loop: Header=BB322_177 Depth=1
	v_bfe_u32 v38, v23, 16, 7
	v_mov_b32_e32 v25, 0x7f800001
	s_mov_b32 s24, exec_lo
	s_delay_alu instid0(VALU_DEP_2)
	v_cmpx_ne_u32_e32 0x7f, v38
	s_cbranch_execz .LBB322_228
; %bb.225:                              ;   in Loop: Header=BB322_177 Depth=1
	v_dual_lshrrev_b32 v25, 3, v38 :: v_dual_bitop2_b32 v14, 7, v24 bitop3:0x40
	s_mov_b32 s25, exec_lo
	v_cmpx_gt_u32_e32 8, v38
; %bb.226:                              ;   in Loop: Header=BB322_177 Depth=1
	s_delay_alu instid0(VALU_DEP_2) | instskip(NEXT) | instid1(VALU_DEP_1)
	v_clz_i32_u32_e32 v25, v14
	v_min_u32_e32 v25, 32, v25
	s_delay_alu instid0(VALU_DEP_1) | instskip(NEXT) | instid1(VALU_DEP_1)
	v_subrev_nc_u32_e32 v38, 28, v25
	v_lshlrev_b64_e32 v[40:41], v38, v[14:15]
	s_delay_alu instid0(VALU_DEP_1)
	v_dual_sub_nc_u32 v25, 29, v25 :: v_dual_bitop2_b32 v14, 7, v40 bitop3:0x40
; %bb.227:                              ;   in Loop: Header=BB322_177 Depth=1
	s_or_b32 exec_lo, exec_lo, s25
	s_delay_alu instid0(VALU_DEP_1) | instskip(NEXT) | instid1(VALU_DEP_2)
	v_dual_lshlrev_b32 v24, 24, v24 :: v_dual_lshlrev_b32 v14, 20, v14
	v_lshl_add_u32 v25, v25, 23, 0x3c000000
	s_delay_alu instid0(VALU_DEP_2) | instskip(NEXT) | instid1(VALU_DEP_1)
	v_and_b32_e32 v24, 0x80000000, v24
	v_or3_b32 v25, v14, v24, v25
.LBB322_228:                            ;   in Loop: Header=BB322_177 Depth=1
	s_or_b32 exec_lo, exec_lo, s24
.LBB322_229:                            ;   in Loop: Header=BB322_177 Depth=1
	s_delay_alu instid0(SALU_CYCLE_1)
	s_or_b32 exec_lo, exec_lo, s23
.LBB322_230:                            ;   in Loop: Header=BB322_177 Depth=1
	s_delay_alu instid0(SALU_CYCLE_1) | instskip(NEXT) | instid1(SALU_CYCLE_1)
	s_or_b32 exec_lo, exec_lo, s0
	s_mov_b32 s0, exec_lo
	v_cmpx_lt_u64_e64 s[2:3], v[22:23]
	s_cbranch_execz .LBB322_238
; %bb.231:                              ;   in Loop: Header=BB322_177 Depth=1
	v_lshrrev_b32_e32 v22, 24, v23
	v_bfrev_b32_e32 v39, 1
	s_mov_b32 s23, exec_lo
	s_delay_alu instid0(VALU_DEP_2)
	v_cmpx_ne_u32_e32 0x80, v22
	s_cbranch_execz .LBB322_237
; %bb.232:                              ;   in Loop: Header=BB322_177 Depth=1
	v_bfe_u32 v24, v23, 24, 7
	v_mov_b32_e32 v39, 0x7f800001
	s_mov_b32 s24, exec_lo
	s_delay_alu instid0(VALU_DEP_2)
	v_cmpx_ne_u32_e32 0x7f, v24
	s_cbranch_execz .LBB322_236
; %bb.233:                              ;   in Loop: Header=BB322_177 Depth=1
	v_dual_lshrrev_b32 v23, 3, v24 :: v_dual_bitop2_b32 v14, 7, v22 bitop3:0x40
	s_mov_b32 s25, exec_lo
	v_cmpx_gt_u32_e32 8, v24
; %bb.234:                              ;   in Loop: Header=BB322_177 Depth=1
	s_delay_alu instid0(VALU_DEP_2) | instskip(NEXT) | instid1(VALU_DEP_1)
	v_clz_i32_u32_e32 v23, v14
	v_min_u32_e32 v23, 32, v23
	s_delay_alu instid0(VALU_DEP_1) | instskip(NEXT) | instid1(VALU_DEP_1)
	v_subrev_nc_u32_e32 v24, 28, v23
	v_lshlrev_b64_e32 v[38:39], v24, v[14:15]
	s_delay_alu instid0(VALU_DEP_1)
	v_dual_sub_nc_u32 v23, 29, v23 :: v_dual_bitop2_b32 v14, 7, v38 bitop3:0x40
; %bb.235:                              ;   in Loop: Header=BB322_177 Depth=1
	s_or_b32 exec_lo, exec_lo, s25
	v_lshlrev_b32_e32 v22, 24, v22
	s_delay_alu instid0(VALU_DEP_2) | instskip(NEXT) | instid1(VALU_DEP_3)
	v_lshlrev_b32_e32 v14, 20, v14
	v_lshl_add_u32 v23, v23, 23, 0x3c000000
	s_delay_alu instid0(VALU_DEP_3) | instskip(NEXT) | instid1(VALU_DEP_1)
	v_and_b32_e32 v22, 0x80000000, v22
	v_or3_b32 v39, v14, v22, v23
.LBB322_236:                            ;   in Loop: Header=BB322_177 Depth=1
	s_or_b32 exec_lo, exec_lo, s24
.LBB322_237:                            ;   in Loop: Header=BB322_177 Depth=1
	s_delay_alu instid0(SALU_CYCLE_1)
	s_or_b32 exec_lo, exec_lo, s23
.LBB322_238:                            ;   in Loop: Header=BB322_177 Depth=1
	s_delay_alu instid0(SALU_CYCLE_1)
	s_or_b32 exec_lo, exec_lo, s0
	v_add_nc_u32_e32 v38, v31, v10
	v_cmp_eq_u32_e32 vcc_lo, s26, v30
	s_wait_kmcnt 0x0
	v_fma_mixlo_bf16 v11, s22, v11, 0
	v_fma_mixlo_bf16 v24, s22, v37, 0
	;; [unrolled: 1-line block ×8, first 2 shown]
	v_dual_add_nc_u32 v45, 1, v38 :: v_dual_add_nc_u32 v44, 2, v38
	v_dual_add_nc_u32 v43, 3, v38 :: v_dual_add_nc_u32 v42, 4, v38
	;; [unrolled: 1-line block ×3, first 2 shown]
	v_add_nc_u32_e32 v39, 7, v38
	s_and_saveexec_b32 s23, vcc_lo
	s_cbranch_execz .LBB322_240
; %bb.239:                              ;   in Loop: Header=BB322_177 Depth=1
	v_cmp_gt_i32_e64 s0, s34, v38
	s_delay_alu instid0(VALU_DEP_1) | instskip(SKIP_1) | instid1(VALU_DEP_1)
	v_cndmask_b32_e64 v37, 0, v37, s0
	v_cmp_gt_i32_e64 s0, s34, v45
	v_cndmask_b32_e64 v36, 0, v36, s0
	v_cmp_gt_i32_e64 s0, s34, v44
	s_delay_alu instid0(VALU_DEP_1) | instskip(SKIP_1) | instid1(VALU_DEP_1)
	v_cndmask_b32_e64 v35, 0, v35, s0
	v_cmp_gt_i32_e64 s0, s34, v43
	v_cndmask_b32_e64 v33, 0, v33, s0
	;; [unrolled: 5-line block ×4, first 2 shown]
.LBB322_240:                            ;   in Loop: Header=BB322_177 Depth=1
	s_or_b32 exec_lo, exec_lo, s23
	global_load_b64 v[20:21], v[20:21], off offset:256
	v_dual_mov_b32 v47, 0 :: v_dual_mov_b32 v46, 0
	s_mov_b32 s23, exec_lo
	s_wait_loadcnt 0x0
	v_and_b32_e32 v14, 0xff, v20
	s_delay_alu instid0(VALU_DEP_1)
	v_cmpx_ne_u16_e32 0, v14
	s_cbranch_execz .LBB322_246
; %bb.241:                              ;   in Loop: Header=BB322_177 Depth=1
	v_bfrev_b32_e32 v46, 1
	s_mov_b32 s24, exec_lo
	v_cmpx_ne_u16_e32 0x80, v14
	s_cbranch_execz .LBB322_245
; %bb.242:                              ;   in Loop: Header=BB322_177 Depth=1
	v_and_b32_e32 v14, 0x7f, v20
	v_mov_b32_e32 v46, 0x7f800001
	s_mov_b32 s25, exec_lo
	s_delay_alu instid0(VALU_DEP_2)
	v_cmpx_ne_u32_e32 0x7f, v14
	s_cbranch_execz .LBB322_244
; %bb.243:                              ;   in Loop: Header=BB322_177 Depth=1
	v_dual_lshrrev_b32 v23, 3, v14 :: v_dual_bitop2_b32 v22, 7, v20 bitop3:0x40
	v_cmp_gt_u32_e64 s0, 8, v14
	s_delay_alu instid0(VALU_DEP_2) | instskip(NEXT) | instid1(VALU_DEP_1)
	v_clz_i32_u32_e32 v22, v22
	v_min_u32_e32 v22, 32, v22
	s_delay_alu instid0(VALU_DEP_1) | instskip(SKIP_1) | instid1(VALU_DEP_1)
	v_subrev_nc_u32_e32 v46, 28, v22
	v_sub_nc_u32_e32 v22, 29, v22
	v_cndmask_b32_e64 v14, v23, v22, s0
	s_delay_alu instid0(VALU_DEP_3) | instskip(NEXT) | instid1(VALU_DEP_1)
	v_cndmask_b32_e64 v22, 0, v46, s0
	v_lshlrev_b64_e32 v[22:23], v22, v[20:21]
	v_lshlrev_b32_e32 v23, 24, v20
	s_delay_alu instid0(VALU_DEP_1) | instskip(NEXT) | instid1(VALU_DEP_3)
	v_and_b32_e32 v23, 0x80000000, v23
	v_lshlrev_b32_e32 v22, 20, v22
	v_lshl_add_u32 v14, v14, 23, 0x3c000000
	s_delay_alu instid0(VALU_DEP_2) | instskip(NEXT) | instid1(VALU_DEP_1)
	v_and_b32_e32 v22, 0x700000, v22
	v_or3_b32 v46, v22, v23, v14
.LBB322_244:                            ;   in Loop: Header=BB322_177 Depth=1
	s_or_b32 exec_lo, exec_lo, s25
.LBB322_245:                            ;   in Loop: Header=BB322_177 Depth=1
	s_delay_alu instid0(SALU_CYCLE_1)
	s_or_b32 exec_lo, exec_lo, s24
.LBB322_246:                            ;   in Loop: Header=BB322_177 Depth=1
	s_delay_alu instid0(SALU_CYCLE_1) | instskip(SKIP_2) | instid1(VALU_DEP_1)
	s_or_b32 exec_lo, exec_lo, s23
	v_lshrrev_b16 v14, 8, v20
	s_mov_b32 s23, exec_lo
	v_cmpx_ne_u16_e32 0, v14
	s_cbranch_execz .LBB322_254
; %bb.247:                              ;   in Loop: Header=BB322_177 Depth=1
	v_bfrev_b32_e32 v47, 1
	s_mov_b32 s24, exec_lo
	v_cmpx_ne_u16_e32 0x80, v14
	s_cbranch_execz .LBB322_253
; %bb.248:                              ;   in Loop: Header=BB322_177 Depth=1
	v_and_b32_e32 v14, 0xffff, v14
	v_mov_b32_e32 v47, 0x7f800001
	s_mov_b32 s25, exec_lo
	s_delay_alu instid0(VALU_DEP_2) | instskip(NEXT) | instid1(VALU_DEP_1)
	v_and_b32_e32 v23, 0x7f, v14
	v_cmpx_ne_u32_e32 0x7f, v23
	s_cbranch_execz .LBB322_252
; %bb.249:                              ;   in Loop: Header=BB322_177 Depth=1
	v_dual_lshrrev_b32 v22, 3, v23 :: v_dual_bitop2_b32 v14, 7, v14 bitop3:0x40
	s_mov_b32 s27, exec_lo
	v_cmpx_gt_u32_e32 8, v23
; %bb.250:                              ;   in Loop: Header=BB322_177 Depth=1
	s_delay_alu instid0(VALU_DEP_2) | instskip(NEXT) | instid1(VALU_DEP_1)
	v_clz_i32_u32_e32 v22, v14
	v_min_u32_e32 v22, 32, v22
	s_delay_alu instid0(VALU_DEP_1) | instskip(NEXT) | instid1(VALU_DEP_1)
	v_subrev_nc_u32_e32 v23, 28, v22
	v_lshlrev_b64_e32 v[48:49], v23, v[14:15]
	s_delay_alu instid0(VALU_DEP_1)
	v_dual_sub_nc_u32 v22, 29, v22 :: v_dual_bitop2_b32 v14, 7, v48 bitop3:0x40
; %bb.251:                              ;   in Loop: Header=BB322_177 Depth=1
	s_or_b32 exec_lo, exec_lo, s27
	s_delay_alu instid0(VALU_DEP_1) | instskip(NEXT) | instid1(VALU_DEP_2)
	v_dual_lshlrev_b32 v23, 16, v20 :: v_dual_lshlrev_b32 v14, 20, v14
	v_lshl_add_u32 v22, v22, 23, 0x3c000000
	s_delay_alu instid0(VALU_DEP_2) | instskip(NEXT) | instid1(VALU_DEP_1)
	v_and_b32_e32 v23, 0x80000000, v23
	v_or3_b32 v47, v14, v23, v22
.LBB322_252:                            ;   in Loop: Header=BB322_177 Depth=1
	s_or_b32 exec_lo, exec_lo, s25
.LBB322_253:                            ;   in Loop: Header=BB322_177 Depth=1
	s_delay_alu instid0(SALU_CYCLE_1)
	s_or_b32 exec_lo, exec_lo, s24
.LBB322_254:                            ;   in Loop: Header=BB322_177 Depth=1
	s_delay_alu instid0(SALU_CYCLE_1) | instskip(SKIP_3) | instid1(VALU_DEP_2)
	s_or_b32 exec_lo, exec_lo, s23
	v_dual_mov_b32 v49, 0 :: v_dual_lshrrev_b32 v22, 16, v20
	v_mov_b32_e32 v48, 0
	s_mov_b32 s23, exec_lo
	v_and_b32_e32 v14, 0xff, v22
	s_delay_alu instid0(VALU_DEP_1)
	v_cmpx_ne_u16_e32 0, v14
	s_cbranch_execz .LBB322_262
; %bb.255:                              ;   in Loop: Header=BB322_177 Depth=1
	v_bfrev_b32_e32 v48, 1
	s_mov_b32 s24, exec_lo
	v_cmpx_ne_u16_e32 0x80, v14
	s_cbranch_execz .LBB322_261
; %bb.256:                              ;   in Loop: Header=BB322_177 Depth=1
	v_bfe_u32 v50, v20, 16, 7
	v_mov_b32_e32 v48, 0x7f800001
	s_mov_b32 s25, exec_lo
	s_delay_alu instid0(VALU_DEP_2)
	v_cmpx_ne_u32_e32 0x7f, v50
	s_cbranch_execz .LBB322_260
; %bb.257:                              ;   in Loop: Header=BB322_177 Depth=1
	v_and_b32_e32 v14, 7, v22
	v_lshrrev_b32_e32 v23, 3, v50
	s_mov_b32 s27, exec_lo
	v_cmpx_gt_u32_e32 8, v50
; %bb.258:                              ;   in Loop: Header=BB322_177 Depth=1
	s_delay_alu instid0(VALU_DEP_3) | instskip(NEXT) | instid1(VALU_DEP_1)
	v_clz_i32_u32_e32 v23, v14
	v_min_u32_e32 v23, 32, v23
	s_delay_alu instid0(VALU_DEP_1) | instskip(NEXT) | instid1(VALU_DEP_1)
	v_subrev_nc_u32_e32 v48, 28, v23
	v_lshlrev_b64_e32 v[50:51], v48, v[14:15]
	s_delay_alu instid0(VALU_DEP_1)
	v_dual_sub_nc_u32 v23, 29, v23 :: v_dual_bitop2_b32 v14, 7, v50 bitop3:0x40
; %bb.259:                              ;   in Loop: Header=BB322_177 Depth=1
	s_or_b32 exec_lo, exec_lo, s27
	v_lshlrev_b32_e32 v22, 24, v22
	s_delay_alu instid0(VALU_DEP_2) | instskip(NEXT) | instid1(VALU_DEP_3)
	v_lshlrev_b32_e32 v14, 20, v14
	v_lshl_add_u32 v23, v23, 23, 0x3c000000
	s_delay_alu instid0(VALU_DEP_3) | instskip(NEXT) | instid1(VALU_DEP_1)
	v_and_b32_e32 v22, 0x80000000, v22
	v_or3_b32 v48, v14, v22, v23
.LBB322_260:                            ;   in Loop: Header=BB322_177 Depth=1
	s_or_b32 exec_lo, exec_lo, s25
.LBB322_261:                            ;   in Loop: Header=BB322_177 Depth=1
	s_delay_alu instid0(SALU_CYCLE_1)
	s_or_b32 exec_lo, exec_lo, s24
.LBB322_262:                            ;   in Loop: Header=BB322_177 Depth=1
	s_delay_alu instid0(SALU_CYCLE_1) | instskip(NEXT) | instid1(SALU_CYCLE_1)
	s_or_b32 exec_lo, exec_lo, s23
	s_mov_b32 s23, exec_lo
	v_cmpx_lt_u32_e32 0xffffff, v20
	s_cbranch_execz .LBB322_270
; %bb.263:                              ;   in Loop: Header=BB322_177 Depth=1
	v_lshrrev_b32_e32 v22, 24, v20
	v_bfrev_b32_e32 v49, 1
	s_mov_b32 s24, exec_lo
	s_delay_alu instid0(VALU_DEP_2)
	v_cmpx_ne_u32_e32 0x80, v22
	s_cbranch_execz .LBB322_269
; %bb.264:                              ;   in Loop: Header=BB322_177 Depth=1
	v_bfe_u32 v50, v20, 24, 7
	v_mov_b32_e32 v49, 0x7f800001
	s_mov_b32 s25, exec_lo
	s_delay_alu instid0(VALU_DEP_2)
	v_cmpx_ne_u32_e32 0x7f, v50
	s_cbranch_execz .LBB322_268
; %bb.265:                              ;   in Loop: Header=BB322_177 Depth=1
	v_and_b32_e32 v14, 7, v22
	v_lshrrev_b32_e32 v23, 3, v50
	s_mov_b32 s27, exec_lo
	v_cmpx_gt_u32_e32 8, v50
; %bb.266:                              ;   in Loop: Header=BB322_177 Depth=1
	s_delay_alu instid0(VALU_DEP_3) | instskip(NEXT) | instid1(VALU_DEP_1)
	v_clz_i32_u32_e32 v23, v14
	v_min_u32_e32 v23, 32, v23
	s_delay_alu instid0(VALU_DEP_1) | instskip(NEXT) | instid1(VALU_DEP_1)
	v_subrev_nc_u32_e32 v49, 28, v23
	v_lshlrev_b64_e32 v[50:51], v49, v[14:15]
	s_delay_alu instid0(VALU_DEP_1)
	v_dual_sub_nc_u32 v23, 29, v23 :: v_dual_bitop2_b32 v14, 7, v50 bitop3:0x40
; %bb.267:                              ;   in Loop: Header=BB322_177 Depth=1
	s_or_b32 exec_lo, exec_lo, s27
	v_lshlrev_b32_e32 v22, 24, v22
	s_delay_alu instid0(VALU_DEP_2) | instskip(NEXT) | instid1(VALU_DEP_3)
	v_lshlrev_b32_e32 v14, 20, v14
	v_lshl_add_u32 v23, v23, 23, 0x3c000000
	s_delay_alu instid0(VALU_DEP_3) | instskip(NEXT) | instid1(VALU_DEP_1)
	v_and_b32_e32 v22, 0x80000000, v22
	v_or3_b32 v49, v14, v22, v23
.LBB322_268:                            ;   in Loop: Header=BB322_177 Depth=1
	s_or_b32 exec_lo, exec_lo, s25
.LBB322_269:                            ;   in Loop: Header=BB322_177 Depth=1
	s_delay_alu instid0(SALU_CYCLE_1)
	s_or_b32 exec_lo, exec_lo, s24
.LBB322_270:                            ;   in Loop: Header=BB322_177 Depth=1
	s_delay_alu instid0(SALU_CYCLE_1) | instskip(SKIP_4) | instid1(VALU_DEP_3)
	s_or_b32 exec_lo, exec_lo, s23
	v_and_b32_e32 v23, 0xff, v21
	v_dual_mov_b32 v14, v21 :: v_dual_mov_b32 v22, 0
	v_mov_b32_e32 v50, 0
	s_mov_b32 s23, exec_lo
	v_cmpx_ne_u16_e32 0, v23
	s_cbranch_execz .LBB322_276
; %bb.271:                              ;   in Loop: Header=BB322_177 Depth=1
	v_bfrev_b32_e32 v50, 1
	s_mov_b32 s24, exec_lo
	v_cmpx_ne_u16_e32 0x80, v23
	s_cbranch_execz .LBB322_275
; %bb.272:                              ;   in Loop: Header=BB322_177 Depth=1
	v_and_b32_e32 v23, 0x7f, v21
	v_mov_b32_e32 v50, 0x7f800001
	s_mov_b32 s25, exec_lo
	s_delay_alu instid0(VALU_DEP_2)
	v_cmpx_ne_u32_e32 0x7f, v23
	s_cbranch_execz .LBB322_274
; %bb.273:                              ;   in Loop: Header=BB322_177 Depth=1
	v_dual_lshrrev_b32 v51, 3, v23 :: v_dual_bitop2_b32 v50, 7, v21 bitop3:0x40
	v_cmp_gt_u32_e64 s0, 8, v23
	s_delay_alu instid0(VALU_DEP_2) | instskip(NEXT) | instid1(VALU_DEP_1)
	v_clz_i32_u32_e32 v50, v50
	v_min_u32_e32 v50, 32, v50
	s_delay_alu instid0(VALU_DEP_1) | instskip(SKIP_1) | instid1(VALU_DEP_1)
	v_subrev_nc_u32_e32 v52, 28, v50
	v_sub_nc_u32_e32 v50, 29, v50
	v_dual_cndmask_b32 v23, v51, v50, s0 :: v_dual_cndmask_b32 v50, 0, v52, s0
	s_delay_alu instid0(VALU_DEP_1) | instskip(NEXT) | instid1(VALU_DEP_2)
	v_lshl_add_u32 v23, v23, 23, 0x3c000000
	v_lshlrev_b64_e32 v[50:51], v50, v[14:15]
	v_lshlrev_b32_e32 v51, 24, v14
	s_delay_alu instid0(VALU_DEP_1) | instskip(NEXT) | instid1(VALU_DEP_3)
	v_and_b32_e32 v51, 0x80000000, v51
	v_lshlrev_b32_e32 v50, 20, v50
	s_delay_alu instid0(VALU_DEP_1) | instskip(NEXT) | instid1(VALU_DEP_1)
	v_and_b32_e32 v50, 0x700000, v50
	v_or3_b32 v50, v50, v51, v23
.LBB322_274:                            ;   in Loop: Header=BB322_177 Depth=1
	s_or_b32 exec_lo, exec_lo, s25
.LBB322_275:                            ;   in Loop: Header=BB322_177 Depth=1
	s_delay_alu instid0(SALU_CYCLE_1)
	s_or_b32 exec_lo, exec_lo, s24
.LBB322_276:                            ;   in Loop: Header=BB322_177 Depth=1
	s_delay_alu instid0(SALU_CYCLE_1) | instskip(SKIP_2) | instid1(VALU_DEP_1)
	s_or_b32 exec_lo, exec_lo, s23
	v_lshrrev_b16 v23, 8, v14
	s_mov_b32 s23, exec_lo
	v_cmpx_ne_u16_e32 0, v23
	s_cbranch_execz .LBB322_284
; %bb.277:                              ;   in Loop: Header=BB322_177 Depth=1
	v_bfrev_b32_e32 v22, 1
	s_mov_b32 s24, exec_lo
	v_cmpx_ne_u16_e32 0x80, v23
	s_cbranch_execz .LBB322_283
; %bb.278:                              ;   in Loop: Header=BB322_177 Depth=1
	v_and_b32_e32 v23, 0xffff, v23
	v_mov_b32_e32 v22, 0x7f800001
	s_mov_b32 s25, exec_lo
	s_delay_alu instid0(VALU_DEP_2) | instskip(NEXT) | instid1(VALU_DEP_1)
	v_and_b32_e32 v52, 0x7f, v23
	v_cmpx_ne_u32_e32 0x7f, v52
	s_cbranch_execz .LBB322_282
; %bb.279:                              ;   in Loop: Header=BB322_177 Depth=1
	v_dual_mov_b32 v23, v15 :: v_dual_bitop2_b32 v22, 7, v23 bitop3:0x40
	v_lshrrev_b32_e32 v51, 3, v52
	s_mov_b32 s27, exec_lo
	v_cmpx_gt_u32_e32 8, v52
; %bb.280:                              ;   in Loop: Header=BB322_177 Depth=1
	s_delay_alu instid0(VALU_DEP_3) | instskip(NEXT) | instid1(VALU_DEP_1)
	v_clz_i32_u32_e32 v51, v22
	v_min_u32_e32 v51, 32, v51
	s_delay_alu instid0(VALU_DEP_1) | instskip(NEXT) | instid1(VALU_DEP_1)
	v_subrev_nc_u32_e32 v52, 28, v51
	v_lshlrev_b64_e32 v[22:23], v52, v[22:23]
	s_delay_alu instid0(VALU_DEP_1)
	v_dual_sub_nc_u32 v51, 29, v51 :: v_dual_bitop2_b32 v22, 7, v22 bitop3:0x40
; %bb.281:                              ;   in Loop: Header=BB322_177 Depth=1
	s_or_b32 exec_lo, exec_lo, s27
	v_lshlrev_b32_e32 v14, 16, v14
	s_delay_alu instid0(VALU_DEP_2) | instskip(NEXT) | instid1(VALU_DEP_3)
	v_lshlrev_b32_e32 v22, 20, v22
	v_lshl_add_u32 v23, v51, 23, 0x3c000000
	s_delay_alu instid0(VALU_DEP_3) | instskip(NEXT) | instid1(VALU_DEP_1)
	v_and_b32_e32 v14, 0x80000000, v14
	v_or3_b32 v22, v22, v14, v23
.LBB322_282:                            ;   in Loop: Header=BB322_177 Depth=1
	s_or_b32 exec_lo, exec_lo, s25
.LBB322_283:                            ;   in Loop: Header=BB322_177 Depth=1
	s_delay_alu instid0(SALU_CYCLE_1)
	s_or_b32 exec_lo, exec_lo, s24
.LBB322_284:                            ;   in Loop: Header=BB322_177 Depth=1
	s_delay_alu instid0(SALU_CYCLE_1) | instskip(SKIP_3) | instid1(VALU_DEP_2)
	s_or_b32 exec_lo, exec_lo, s23
	v_dual_mov_b32 v23, 0 :: v_dual_lshrrev_b32 v52, 16, v21
	v_mov_b32_e32 v51, 0
	s_mov_b32 s23, exec_lo
	v_and_b32_e32 v14, 0xff, v52
	s_delay_alu instid0(VALU_DEP_1)
	v_cmpx_ne_u16_e32 0, v14
	s_cbranch_execz .LBB322_292
; %bb.285:                              ;   in Loop: Header=BB322_177 Depth=1
	v_bfrev_b32_e32 v51, 1
	s_mov_b32 s24, exec_lo
	v_cmpx_ne_u16_e32 0x80, v14
	s_cbranch_execz .LBB322_291
; %bb.286:                              ;   in Loop: Header=BB322_177 Depth=1
	v_bfe_u32 v53, v21, 16, 7
	v_mov_b32_e32 v51, 0x7f800001
	s_mov_b32 s25, exec_lo
	s_delay_alu instid0(VALU_DEP_2)
	v_cmpx_ne_u32_e32 0x7f, v53
	s_cbranch_execz .LBB322_290
; %bb.287:                              ;   in Loop: Header=BB322_177 Depth=1
	v_dual_lshrrev_b32 v51, 3, v53 :: v_dual_bitop2_b32 v14, 7, v52 bitop3:0x40
	s_mov_b32 s27, exec_lo
	v_cmpx_gt_u32_e32 8, v53
; %bb.288:                              ;   in Loop: Header=BB322_177 Depth=1
	s_delay_alu instid0(VALU_DEP_2) | instskip(NEXT) | instid1(VALU_DEP_1)
	v_clz_i32_u32_e32 v51, v14
	v_min_u32_e32 v51, 32, v51
	s_delay_alu instid0(VALU_DEP_1) | instskip(NEXT) | instid1(VALU_DEP_1)
	v_subrev_nc_u32_e32 v53, 28, v51
	v_lshlrev_b64_e32 v[54:55], v53, v[14:15]
	s_delay_alu instid0(VALU_DEP_1)
	v_dual_sub_nc_u32 v51, 29, v51 :: v_dual_bitop2_b32 v14, 7, v54 bitop3:0x40
; %bb.289:                              ;   in Loop: Header=BB322_177 Depth=1
	s_or_b32 exec_lo, exec_lo, s27
	s_delay_alu instid0(VALU_DEP_1) | instskip(NEXT) | instid1(VALU_DEP_2)
	v_dual_lshlrev_b32 v52, 24, v52 :: v_dual_lshlrev_b32 v14, 20, v14
	v_lshl_add_u32 v51, v51, 23, 0x3c000000
	s_delay_alu instid0(VALU_DEP_2) | instskip(NEXT) | instid1(VALU_DEP_1)
	v_and_b32_e32 v52, 0x80000000, v52
	v_or3_b32 v51, v14, v52, v51
.LBB322_290:                            ;   in Loop: Header=BB322_177 Depth=1
	s_or_b32 exec_lo, exec_lo, s25
.LBB322_291:                            ;   in Loop: Header=BB322_177 Depth=1
	s_delay_alu instid0(SALU_CYCLE_1)
	s_or_b32 exec_lo, exec_lo, s24
.LBB322_292:                            ;   in Loop: Header=BB322_177 Depth=1
	s_delay_alu instid0(SALU_CYCLE_1) | instskip(NEXT) | instid1(SALU_CYCLE_1)
	s_or_b32 exec_lo, exec_lo, s23
	s_mov_b32 s23, exec_lo
	v_cmpx_lt_u64_e64 s[2:3], v[20:21]
	s_cbranch_execz .LBB322_300
; %bb.293:                              ;   in Loop: Header=BB322_177 Depth=1
	v_lshrrev_b32_e32 v20, 24, v21
	v_bfrev_b32_e32 v23, 1
	s_mov_b32 s24, exec_lo
	s_delay_alu instid0(VALU_DEP_2)
	v_cmpx_ne_u32_e32 0x80, v20
	s_cbranch_execz .LBB322_299
; %bb.294:                              ;   in Loop: Header=BB322_177 Depth=1
	v_bfe_u32 v52, v21, 24, 7
	v_mov_b32_e32 v23, 0x7f800001
	s_mov_b32 s25, exec_lo
	s_delay_alu instid0(VALU_DEP_2)
	v_cmpx_ne_u32_e32 0x7f, v52
	s_cbranch_execz .LBB322_298
; %bb.295:                              ;   in Loop: Header=BB322_177 Depth=1
	v_and_b32_e32 v14, 7, v20
	v_lshrrev_b32_e32 v21, 3, v52
	s_mov_b32 s27, exec_lo
	v_cmpx_gt_u32_e32 8, v52
; %bb.296:                              ;   in Loop: Header=BB322_177 Depth=1
	s_delay_alu instid0(VALU_DEP_3) | instskip(NEXT) | instid1(VALU_DEP_1)
	v_clz_i32_u32_e32 v21, v14
	v_min_u32_e32 v21, 32, v21
	s_delay_alu instid0(VALU_DEP_1) | instskip(NEXT) | instid1(VALU_DEP_1)
	v_subrev_nc_u32_e32 v23, 28, v21
	v_lshlrev_b64_e32 v[52:53], v23, v[14:15]
	s_delay_alu instid0(VALU_DEP_1)
	v_dual_sub_nc_u32 v21, 29, v21 :: v_dual_bitop2_b32 v14, 7, v52 bitop3:0x40
; %bb.297:                              ;   in Loop: Header=BB322_177 Depth=1
	s_or_b32 exec_lo, exec_lo, s27
	s_delay_alu instid0(VALU_DEP_1) | instskip(NEXT) | instid1(VALU_DEP_2)
	v_dual_lshlrev_b32 v20, 24, v20 :: v_dual_lshlrev_b32 v14, 20, v14
	v_lshl_add_u32 v21, v21, 23, 0x3c000000
	s_delay_alu instid0(VALU_DEP_2) | instskip(NEXT) | instid1(VALU_DEP_1)
	v_and_b32_e32 v20, 0x80000000, v20
	v_or3_b32 v23, v14, v20, v21
.LBB322_298:                            ;   in Loop: Header=BB322_177 Depth=1
	s_or_b32 exec_lo, exec_lo, s25
.LBB322_299:                            ;   in Loop: Header=BB322_177 Depth=1
	s_delay_alu instid0(SALU_CYCLE_1)
	s_or_b32 exec_lo, exec_lo, s24
.LBB322_300:                            ;   in Loop: Header=BB322_177 Depth=1
	s_delay_alu instid0(SALU_CYCLE_1)
	s_or_b32 exec_lo, exec_lo, s23
	v_fma_mixlo_bf16 v14, s22, v22, 0
	v_fma_mixlo_bf16 v20, s22, v50, 0
	v_fma_mixlo_bf16 v22, s22, v49, 0
	v_fma_mixlo_bf16 v48, s22, v48, 0
	v_fma_mixlo_bf16 v47, s22, v47, 0
	v_fma_mixlo_bf16 v46, s22, v46, 0
	v_fma_mixlo_bf16 v21, s22, v51, 0
	v_fma_mixlo_bf16 v23, s22, v23, 0
	s_and_saveexec_b32 s0, vcc_lo
	s_cbranch_execz .LBB322_175
; %bb.301:                              ;   in Loop: Header=BB322_177 Depth=1
	v_cmp_gt_i32_e32 vcc_lo, s34, v38
	v_cndmask_b32_e32 v46, 0, v46, vcc_lo
	v_cmp_gt_i32_e32 vcc_lo, s34, v45
	v_cndmask_b32_e32 v47, 0, v47, vcc_lo
	;; [unrolled: 2-line block ×8, first 2 shown]
	s_branch .LBB322_175
.LBB322_302:
	s_or_b32 exec_lo, exec_lo, s18
.LBB322_303:
	s_delay_alu instid0(SALU_CYCLE_1)
	s_or_b32 exec_lo, exec_lo, s1
	ds_bpermute_b32 v2, v29, v12
	ds_bpermute_b32 v3, v29, v13
	v_lshrrev_b32_e32 v4, 1, v28
	v_and_b32_e32 v6, 0x3c1, v0
	s_mov_b32 s0, exec_lo
	s_wait_dscnt 0x0
	s_barrier_signal -1
	v_lshl_add_u32 v5, v4, 2, 0x60
	s_barrier_wait -1
	v_pk_add_f32 v[2:3], v[12:13], v[2:3]
	v_cmpx_eq_u32_e32 64, v6
	s_cbranch_execz .LBB322_305
; %bb.304:
	v_lshl_add_u32 v6, v27, 7, v5
	s_delay_alu instid0(VALU_DEP_1)
	v_add_nc_u32_e32 v7, 0xffffff00, v6
	v_add_nc_u32_e32 v6, 0xffffff40, v6
	ds_store_b32 v7, v2
	ds_store_b32 v6, v3
.LBB322_305:
	s_or_b32 exec_lo, exec_lo, s0
	v_and_b32_e32 v6, 0x3e0, v0
	v_lshlrev_b32_e32 v4, 2, v4
	s_mov_b32 s1, exec_lo
	v_cmp_eq_u32_e32 vcc_lo, 0, v26
	s_wait_dscnt 0x0
	v_lshlrev_b32_e32 v6, 2, v6
	s_barrier_signal -1
	s_barrier_wait -1
	s_delay_alu instid0(VALU_DEP_1)
	v_add3_u32 v4, 0x60, v6, v4
	v_cmpx_gt_u32_e32 64, v0
	s_cbranch_execz .LBB322_311
; %bb.306:
	s_and_saveexec_b32 s0, vcc_lo
	s_cbranch_execz .LBB322_308
; %bb.307:
	ds_load_b32 v6, v4
	s_wait_dscnt 0x0
	v_add_f32_e32 v2, v2, v6
.LBB322_308:
	s_or_b32 exec_lo, exec_lo, s0
	s_and_saveexec_b32 s0, vcc_lo
	s_cbranch_execz .LBB322_310
; %bb.309:
	ds_load_b32 v6, v4 offset:64
	s_wait_dscnt 0x0
	v_add_f32_e32 v3, v3, v6
.LBB322_310:
	s_or_b32 exec_lo, exec_lo, s0
.LBB322_311:
	s_delay_alu instid0(SALU_CYCLE_1) | instskip(SKIP_4) | instid1(VALU_DEP_1)
	s_or_b32 exec_lo, exec_lo, s1
	v_and_b32_e32 v6, 0x3e1, v0
	s_mov_b32 s1, exec_lo
	s_barrier_signal -1
	s_barrier_wait -1
	v_cmpx_eq_u32_e32 32, v6
; %bb.312:
	ds_store_2addr_b32 v5, v2, v3 offset1:16
; %bb.313:
	s_or_b32 exec_lo, exec_lo, s1
	s_delay_alu instid0(SALU_CYCLE_1)
	s_mov_b32 s1, exec_lo
	s_wait_dscnt 0x0
	s_barrier_signal -1
	s_barrier_wait -1
	v_cmpx_gt_u32_e32 32, v0
	s_cbranch_execz .LBB322_319
; %bb.314:
	s_and_saveexec_b32 s0, vcc_lo
	s_cbranch_execz .LBB322_316
; %bb.315:
	ds_load_b32 v0, v4
	s_wait_dscnt 0x0
	v_add_f32_e32 v2, v2, v0
.LBB322_316:
	s_or_b32 exec_lo, exec_lo, s0
	s_and_saveexec_b32 s0, vcc_lo
	s_cbranch_execz .LBB322_318
; %bb.317:
	ds_load_b32 v0, v4 offset:64
	s_wait_dscnt 0x0
	v_add_f32_e32 v3, v3, v0
.LBB322_318:
	s_or_b32 exec_lo, exec_lo, s0
.LBB322_319:
	s_delay_alu instid0(SALU_CYCLE_1)
	s_or_b32 exec_lo, exec_lo, s1
	s_mov_b32 s1, 0
	s_barrier_signal -1
	s_barrier_wait -1
	s_mov_b32 s0, exec_lo
	v_cmpx_eq_u32_e32 0, v6
	s_cbranch_execz .LBB322_321
; %bb.320:
	s_mul_i32 s0, s33, s7
	s_mul_i32 s2, s7, s6
	s_mul_i32 s0, s0, s31
	s_wait_kmcnt 0x0
	s_lshr_b32 s8, ttmp7, 16
	s_lshl_b32 s6, s0, 5
	s_bfe_u32 s0, ttmp6, 0x40014
	s_ashr_i32 s7, s6, 31
	s_add_co_i32 s0, s0, 1
	s_ashr_i32 s3, s2, 31
	s_mul_i32 s0, s8, s0
	s_bfe_u32 s9, ttmp6, 0x40008
	s_lshl_b64 s[6:7], s[6:7], 1
	s_lshl_b64 s[2:3], s[2:3], 1
	s_add_co_i32 s9, s9, s0
	s_cmp_eq_u32 s30, 0
	s_add_nc_u64 s[4:5], s[4:5], s[6:7]
	s_cselect_b32 s0, s8, s9
	s_add_nc_u64 s[2:3], s[4:5], s[2:3]
	s_lshl_b32 s0, s0, 6
	s_delay_alu instid0(SALU_CYCLE_1)
	v_cvt_pk_bf16_f32 v0, v2, s0
	v_cvt_pk_bf16_f32 v2, v3, s0
	s_add_nc_u64 s[0:1], s[2:3], s[0:1]
	s_clause 0x1
	global_store_b16 v1, v0, s[0:1] scale_offset
	global_store_b16 v1, v2, s[0:1] offset:32 scale_offset
.LBB322_321:
	s_endpgm
	.section	.rodata,"a",@progbits
	.p2align	6, 0x0
	.amdhsa_kernel _ZN4vllm25paged_attention_v1_kernelI14__hip_bfloat16hLi32ELi16ELi128ELNS_18Fp8KVCacheDataTypeE1ELb1EEEvPT_PKS3_PKT0_S9_ifPKiSB_iPKfiiiSD_SD_iiiii
		.amdhsa_group_segment_fixed_size 96
		.amdhsa_private_segment_fixed_size 0
		.amdhsa_kernarg_size 384
		.amdhsa_user_sgpr_count 2
		.amdhsa_user_sgpr_dispatch_ptr 0
		.amdhsa_user_sgpr_queue_ptr 0
		.amdhsa_user_sgpr_kernarg_segment_ptr 1
		.amdhsa_user_sgpr_dispatch_id 0
		.amdhsa_user_sgpr_kernarg_preload_length 0
		.amdhsa_user_sgpr_kernarg_preload_offset 0
		.amdhsa_user_sgpr_private_segment_size 0
		.amdhsa_wavefront_size32 1
		.amdhsa_uses_dynamic_stack 0
		.amdhsa_enable_private_segment 0
		.amdhsa_system_sgpr_workgroup_id_x 1
		.amdhsa_system_sgpr_workgroup_id_y 1
		.amdhsa_system_sgpr_workgroup_id_z 1
		.amdhsa_system_sgpr_workgroup_info 0
		.amdhsa_system_vgpr_workitem_id 0
		.amdhsa_next_free_vgpr 56
		.amdhsa_next_free_sgpr 46
		.amdhsa_named_barrier_count 0
		.amdhsa_reserve_vcc 1
		.amdhsa_float_round_mode_32 0
		.amdhsa_float_round_mode_16_64 0
		.amdhsa_float_denorm_mode_32 3
		.amdhsa_float_denorm_mode_16_64 3
		.amdhsa_fp16_overflow 0
		.amdhsa_memory_ordered 1
		.amdhsa_forward_progress 1
		.amdhsa_inst_pref_size 97
		.amdhsa_round_robin_scheduling 0
		.amdhsa_exception_fp_ieee_invalid_op 0
		.amdhsa_exception_fp_denorm_src 0
		.amdhsa_exception_fp_ieee_div_zero 0
		.amdhsa_exception_fp_ieee_overflow 0
		.amdhsa_exception_fp_ieee_underflow 0
		.amdhsa_exception_fp_ieee_inexact 0
		.amdhsa_exception_int_div_zero 0
	.end_amdhsa_kernel
	.section	.text._ZN4vllm25paged_attention_v1_kernelI14__hip_bfloat16hLi32ELi16ELi128ELNS_18Fp8KVCacheDataTypeE1ELb1EEEvPT_PKS3_PKT0_S9_ifPKiSB_iPKfiiiSD_SD_iiiii,"axG",@progbits,_ZN4vllm25paged_attention_v1_kernelI14__hip_bfloat16hLi32ELi16ELi128ELNS_18Fp8KVCacheDataTypeE1ELb1EEEvPT_PKS3_PKT0_S9_ifPKiSB_iPKfiiiSD_SD_iiiii,comdat
.Lfunc_end322:
	.size	_ZN4vllm25paged_attention_v1_kernelI14__hip_bfloat16hLi32ELi16ELi128ELNS_18Fp8KVCacheDataTypeE1ELb1EEEvPT_PKS3_PKT0_S9_ifPKiSB_iPKfiiiSD_SD_iiiii, .Lfunc_end322-_ZN4vllm25paged_attention_v1_kernelI14__hip_bfloat16hLi32ELi16ELi128ELNS_18Fp8KVCacheDataTypeE1ELb1EEEvPT_PKS3_PKT0_S9_ifPKiSB_iPKfiiiSD_SD_iiiii
                                        ; -- End function
	.set _ZN4vllm25paged_attention_v1_kernelI14__hip_bfloat16hLi32ELi16ELi128ELNS_18Fp8KVCacheDataTypeE1ELb1EEEvPT_PKS3_PKT0_S9_ifPKiSB_iPKfiiiSD_SD_iiiii.num_vgpr, 56
	.set _ZN4vllm25paged_attention_v1_kernelI14__hip_bfloat16hLi32ELi16ELi128ELNS_18Fp8KVCacheDataTypeE1ELb1EEEvPT_PKS3_PKT0_S9_ifPKiSB_iPKfiiiSD_SD_iiiii.num_agpr, 0
	.set _ZN4vllm25paged_attention_v1_kernelI14__hip_bfloat16hLi32ELi16ELi128ELNS_18Fp8KVCacheDataTypeE1ELb1EEEvPT_PKS3_PKT0_S9_ifPKiSB_iPKfiiiSD_SD_iiiii.numbered_sgpr, 46
	.set _ZN4vllm25paged_attention_v1_kernelI14__hip_bfloat16hLi32ELi16ELi128ELNS_18Fp8KVCacheDataTypeE1ELb1EEEvPT_PKS3_PKT0_S9_ifPKiSB_iPKfiiiSD_SD_iiiii.num_named_barrier, 0
	.set _ZN4vllm25paged_attention_v1_kernelI14__hip_bfloat16hLi32ELi16ELi128ELNS_18Fp8KVCacheDataTypeE1ELb1EEEvPT_PKS3_PKT0_S9_ifPKiSB_iPKfiiiSD_SD_iiiii.private_seg_size, 0
	.set _ZN4vllm25paged_attention_v1_kernelI14__hip_bfloat16hLi32ELi16ELi128ELNS_18Fp8KVCacheDataTypeE1ELb1EEEvPT_PKS3_PKT0_S9_ifPKiSB_iPKfiiiSD_SD_iiiii.uses_vcc, 1
	.set _ZN4vllm25paged_attention_v1_kernelI14__hip_bfloat16hLi32ELi16ELi128ELNS_18Fp8KVCacheDataTypeE1ELb1EEEvPT_PKS3_PKT0_S9_ifPKiSB_iPKfiiiSD_SD_iiiii.uses_flat_scratch, 0
	.set _ZN4vllm25paged_attention_v1_kernelI14__hip_bfloat16hLi32ELi16ELi128ELNS_18Fp8KVCacheDataTypeE1ELb1EEEvPT_PKS3_PKT0_S9_ifPKiSB_iPKfiiiSD_SD_iiiii.has_dyn_sized_stack, 0
	.set _ZN4vllm25paged_attention_v1_kernelI14__hip_bfloat16hLi32ELi16ELi128ELNS_18Fp8KVCacheDataTypeE1ELb1EEEvPT_PKS3_PKT0_S9_ifPKiSB_iPKfiiiSD_SD_iiiii.has_recursion, 0
	.set _ZN4vllm25paged_attention_v1_kernelI14__hip_bfloat16hLi32ELi16ELi128ELNS_18Fp8KVCacheDataTypeE1ELb1EEEvPT_PKS3_PKT0_S9_ifPKiSB_iPKfiiiSD_SD_iiiii.has_indirect_call, 0
	.section	.AMDGPU.csdata,"",@progbits
; Kernel info:
; codeLenInByte = 12380
; TotalNumSgprs: 48
; NumVgprs: 56
; ScratchSize: 0
; MemoryBound: 0
; FloatMode: 240
; IeeeMode: 1
; LDSByteSize: 96 bytes/workgroup (compile time only)
; SGPRBlocks: 0
; VGPRBlocks: 3
; NumSGPRsForWavesPerEU: 48
; NumVGPRsForWavesPerEU: 56
; NamedBarCnt: 0
; Occupancy: 16
; WaveLimiterHint : 1
; COMPUTE_PGM_RSRC2:SCRATCH_EN: 0
; COMPUTE_PGM_RSRC2:USER_SGPR: 2
; COMPUTE_PGM_RSRC2:TRAP_HANDLER: 0
; COMPUTE_PGM_RSRC2:TGID_X_EN: 1
; COMPUTE_PGM_RSRC2:TGID_Y_EN: 1
; COMPUTE_PGM_RSRC2:TGID_Z_EN: 1
; COMPUTE_PGM_RSRC2:TIDIG_COMP_CNT: 0
	.section	.text._ZN4vllm25paged_attention_v1_kernelI14__hip_bfloat16hLi64ELi16ELi128ELNS_18Fp8KVCacheDataTypeE1ELb1EEEvPT_PKS3_PKT0_S9_ifPKiSB_iPKfiiiSD_SD_iiiii,"axG",@progbits,_ZN4vllm25paged_attention_v1_kernelI14__hip_bfloat16hLi64ELi16ELi128ELNS_18Fp8KVCacheDataTypeE1ELb1EEEvPT_PKS3_PKT0_S9_ifPKiSB_iPKfiiiSD_SD_iiiii,comdat
	.protected	_ZN4vllm25paged_attention_v1_kernelI14__hip_bfloat16hLi64ELi16ELi128ELNS_18Fp8KVCacheDataTypeE1ELb1EEEvPT_PKS3_PKT0_S9_ifPKiSB_iPKfiiiSD_SD_iiiii ; -- Begin function _ZN4vllm25paged_attention_v1_kernelI14__hip_bfloat16hLi64ELi16ELi128ELNS_18Fp8KVCacheDataTypeE1ELb1EEEvPT_PKS3_PKT0_S9_ifPKiSB_iPKfiiiSD_SD_iiiii
	.globl	_ZN4vllm25paged_attention_v1_kernelI14__hip_bfloat16hLi64ELi16ELi128ELNS_18Fp8KVCacheDataTypeE1ELb1EEEvPT_PKS3_PKT0_S9_ifPKiSB_iPKfiiiSD_SD_iiiii
	.p2align	8
	.type	_ZN4vllm25paged_attention_v1_kernelI14__hip_bfloat16hLi64ELi16ELi128ELNS_18Fp8KVCacheDataTypeE1ELb1EEEvPT_PKS3_PKT0_S9_ifPKiSB_iPKfiiiSD_SD_iiiii,@function
_ZN4vllm25paged_attention_v1_kernelI14__hip_bfloat16hLi64ELi16ELi128ELNS_18Fp8KVCacheDataTypeE1ELb1EEEvPT_PKS3_PKT0_S9_ifPKiSB_iPKfiiiSD_SD_iiiii: ; @_ZN4vllm25paged_attention_v1_kernelI14__hip_bfloat16hLi64ELi16ELi128ELNS_18Fp8KVCacheDataTypeE1ELb1EEEvPT_PKS3_PKT0_S9_ifPKiSB_iPKfiiiSD_SD_iiiii
; %bb.0:
	s_load_b64 s[26:27], s[0:1], 0x20
	s_bfe_u32 s3, ttmp6, 0x4000c
	s_bfe_u32 s4, ttmp6, 0x40010
	s_and_b32 s6, ttmp7, 0xffff
	s_add_co_i32 s3, s3, 1
	s_add_co_i32 s4, s4, 1
	s_and_b32 s2, ttmp6, 15
	s_bfe_u32 s5, ttmp6, 0x40004
	s_mul_i32 s3, ttmp9, s3
	s_mul_i32 s4, s6, s4
	s_getreg_b32 s30, hwreg(HW_REG_IB_STS2, 6, 4)
	s_add_co_i32 s2, s2, s3
	s_add_co_i32 s3, s5, s4
	s_cmp_eq_u32 s30, 0
	s_clause 0x1
	s_load_b32 s31, s[0:1], 0x80
	s_load_b64 s[4:5], s[0:1], 0x30
	s_cselect_b32 s33, s6, s3
	s_cselect_b32 s2, ttmp9, s2
	s_wait_kmcnt 0x0
	s_abs_i32 s3, s26
	s_delay_alu instid0(SALU_CYCLE_1) | instskip(SKIP_1) | instid1(SALU_CYCLE_2)
	s_cvt_f32_u32 s6, s3
	s_sub_co_i32 s7, 0, s3
	v_rcp_iflag_f32_e32 v1, s6
	s_abs_i32 s8, s31
	v_nop
	s_delay_alu instid0(TRANS32_DEP_1) | instskip(SKIP_1) | instid1(SALU_CYCLE_3)
	v_readfirstlane_b32 s6, v1
	s_mul_f32 s6, s6, 0x4f7ffffe
	s_cvt_u32_f32 s6, s6
	s_delay_alu instid0(SALU_CYCLE_3) | instskip(NEXT) | instid1(SALU_CYCLE_1)
	s_mul_i32 s7, s7, s6
	s_mul_hi_u32 s7, s6, s7
	s_delay_alu instid0(SALU_CYCLE_1) | instskip(SKIP_4) | instid1(SALU_CYCLE_1)
	s_add_co_i32 s6, s6, s7
	s_xor_b32 s7, s31, s26
	s_mul_hi_u32 s6, s8, s6
	s_ashr_i32 s7, s7, 31
	s_mul_i32 s9, s6, s3
	s_sub_co_i32 s8, s8, s9
	s_add_co_i32 s9, s6, 1
	s_sub_co_i32 s10, s8, s3
	s_cmp_ge_u32 s8, s3
	s_cselect_b32 s6, s9, s6
	s_cselect_b32 s8, s10, s8
	s_add_co_i32 s9, s6, 1
	s_cmp_ge_u32 s8, s3
	s_load_b64 s[10:11], s[0:1], 0x40
	s_cselect_b32 s3, s9, s6
	s_mov_b32 s9, 0
	s_xor_b32 s3, s3, s7
	s_abs_i32 s8, s2
	s_sub_co_i32 s12, s3, s7
	s_mov_b32 s7, s9
	s_abs_i32 s19, s12
	s_mov_b32 s36, s9
	s_cvt_f32_u32 s3, s19
	s_sub_co_i32 s6, 0, s19
	s_delay_alu instid0(SALU_CYCLE_2) | instskip(SKIP_1) | instid1(TRANS32_DEP_1)
	v_rcp_iflag_f32_e32 v1, s3
	v_nop
	v_readfirstlane_b32 s3, v1
	s_mul_f32 s3, s3, 0x4f7ffffe
	s_delay_alu instid0(SALU_CYCLE_3) | instskip(NEXT) | instid1(SALU_CYCLE_3)
	s_cvt_u32_f32 s3, s3
	s_mul_i32 s6, s6, s3
	s_delay_alu instid0(SALU_CYCLE_1) | instskip(NEXT) | instid1(SALU_CYCLE_1)
	s_mul_hi_u32 s6, s3, s6
	s_add_co_i32 s6, s3, s6
	s_wait_kmcnt 0x0
	s_cmp_eq_u64 s[10:11], 0
	s_cbranch_scc1 .LBB323_2
; %bb.1:
	s_ashr_i32 s3, s2, 31
	s_delay_alu instid0(SALU_CYCLE_1) | instskip(NEXT) | instid1(SALU_CYCLE_1)
	s_lshl_b64 s[14:15], s[2:3], 2
	s_add_nc_u64 s[10:11], s[10:11], s[14:15]
	s_load_b32 s36, s[10:11], 0x0
.LBB323_2:
	s_load_b32 s34, s[4:5], s33 offset:0x0 scale_offset
	s_load_b96 s[16:18], s[0:1], 0x48
	v_dual_lshrrev_b32 v1, 1, v0 :: v_dual_bitop2_b32 v30, 1, v0 bitop3:0x40
	s_wait_xcnt 0x0
	s_mul_u64 s[4:5], s[8:9], s[6:7]
	s_ashr_i32 s3, s2, 31
	s_ashr_i32 s10, s12, 31
	s_lshl_b32 s6, s2, 6
	s_mov_b32 s4, exec_lo
	v_cmpx_gt_u32_e32 16, v0
	s_cbranch_execz .LBB323_4
; %bb.3:
	s_load_b64 s[12:13], s[0:1], 0x8
	s_wait_kmcnt 0x0
	s_mul_i32 s14, s16, s33
	s_ashr_i32 s7, s6, 31
	s_ashr_i32 s15, s14, 31
	v_lshlrev_b32_e32 v4, 3, v1
	s_lshl_b64 s[14:15], s[14:15], 1
	s_delay_alu instid0(VALU_DEP_1) | instskip(SKIP_2) | instid1(SALU_CYCLE_1)
	v_lshl_add_u32 v4, v30, 6, v4
	s_add_nc_u64 s[12:13], s[12:13], s[14:15]
	s_lshl_b64 s[14:15], s[6:7], 1
	s_add_nc_u64 s[12:13], s[12:13], s[14:15]
	global_load_b64 v[2:3], v0, s[12:13] scale_offset
	s_wait_loadcnt 0x0
	ds_store_b64 v4, v[2:3]
.LBB323_4:
	s_or_b32 exec_lo, exec_lo, s4
	s_load_b128 s[12:15], s[0:1], 0x68
	s_mul_i32 s4, s5, s19
	s_xor_b32 s3, s3, s10
	s_sub_co_i32 s4, s8, s4
	s_add_co_i32 s7, s5, 1
	s_sub_co_i32 s8, s4, s19
	s_cmp_ge_u32 s4, s19
	s_mov_b32 s9, -1
	s_cselect_b32 s5, s7, s5
	s_cselect_b32 s4, s8, s4
	s_add_co_i32 s8, s5, 1
	s_cmp_ge_u32 s4, s19
	s_load_b32 s7, s[0:1], 0x78
	s_cselect_b32 s4, s8, s5
	s_wait_kmcnt 0x0
	s_add_co_i32 s8, s34, -1
	s_xor_b32 s4, s4, s3
	s_wait_dscnt 0x0
	s_sub_co_i32 s3, s4, s3
	s_barrier_signal -1
	s_barrier_wait -1
	s_abs_i32 s16, s15
	s_delay_alu instid0(SALU_CYCLE_1) | instskip(NEXT) | instid1(SALU_CYCLE_3)
	s_cvt_f32_u32 s5, s16
                                        ; implicit-def: $sgpr35
	v_rcp_iflag_f32_e32 v2, s5
	v_nop
	s_delay_alu instid0(TRANS32_DEP_1) | instskip(SKIP_1) | instid1(SALU_CYCLE_3)
	v_readfirstlane_b32 s5, v2
	s_mul_f32 s4, s5, 0x4f7ffffe
	s_cvt_u32_f32 s10, s4
	s_sub_co_i32 s4, 0, s16
	s_delay_alu instid0(SALU_CYCLE_2)
	s_mul_i32 s5, s4, s10
	s_abs_i32 s4, s8
	s_mul_hi_u32 s11, s10, s5
	s_mov_b32 s5, 0
	s_add_co_i32 s20, s10, s11
	s_cmp_lt_i32 s7, 0
	s_mov_b32 s21, s5
	s_cbranch_scc0 .LBB323_6
; %bb.5:
	s_mul_i32 s9, s12, s26
	s_delay_alu instid0(SALU_CYCLE_1) | instskip(NEXT) | instid1(SALU_CYCLE_1)
	s_add_co_i32 s9, s3, s9
	s_mul_i32 s9, s9, s7
	s_delay_alu instid0(SALU_CYCLE_1)
	s_sub_co_i32 s35, 1, s9
	s_mov_b32 s9, s5
.LBB323_6:
	s_ashr_i32 s8, s8, 31
	s_ashr_i32 s15, s15, 31
	s_and_not1_b32 vcc_lo, exec_lo, s9
	s_mul_u64 s[28:29], s[4:5], s[20:21]
	s_cbranch_vccnz .LBB323_8
; %bb.7:
	s_mul_i32 s5, s31, s12
	s_delay_alu instid0(SALU_CYCLE_1) | instskip(NEXT) | instid1(SALU_CYCLE_1)
	s_add_co_i32 s2, s5, s2
	s_mul_i32 s2, s2, s7
	s_delay_alu instid0(SALU_CYCLE_1)
	s_add_co_i32 s35, s2, 1
.LBB323_8:
	s_clause 0x1
	s_load_b32 s2, s[0:1], 0x38
	s_load_b64 s[22:23], s[0:1], 0x28
	s_mul_i32 s7, s29, s16
	s_xor_b32 s5, s8, s15
	s_sub_co_i32 s4, s4, s7
	s_add_co_i32 s12, s29, 1
	s_clause 0x1
	s_load_b32 s7, s[0:1], 0x88
	s_load_b128 s[8:11], s[0:1], 0x58
	v_dual_lshrrev_b32 v31, 5, v0 :: v_dual_lshrrev_b32 v19, 3, v0
	v_mov_b32_e32 v35, 0xff7fffff
	v_mbcnt_lo_u32_b32 v32, -1, 0
	s_mul_i32 s18, s3, s18
	s_delay_alu instid0(VALU_DEP_3)
	v_lshlrev_b32_e32 v18, 4, v31
	s_wait_kmcnt 0x0
	s_mul_i32 s24, s2, s33
	s_sub_co_i32 s2, s4, s16
	s_ashr_i32 s25, s24, 31
	s_cmp_ge_u32 s4, s16
	s_cselect_b32 s12, s12, s29
	s_cselect_b32 s2, s2, s4
	s_add_co_i32 s4, s12, 1
	s_cmp_ge_u32 s2, s16
	s_cselect_b32 s2, s4, s12
	s_add_co_i32 s4, s34, 15
	s_delay_alu instid0(SALU_CYCLE_1) | instskip(NEXT) | instid1(SALU_CYCLE_1)
	s_ashr_i32 s12, s4, 31
	s_lshr_b32 s12, s12, 28
	s_delay_alu instid0(SALU_CYCLE_1) | instskip(NEXT) | instid1(SALU_CYCLE_1)
	s_add_co_i32 s4, s4, s12
	s_ashr_i32 s12, s4, 4
	s_xor_b32 s4, s2, s5
	v_cmp_gt_i32_e64 s2, s12, v31
	s_sub_co_i32 s26, s4, s5
	s_and_saveexec_b32 s37, s2
	s_cbranch_execz .LBB323_276
; %bb.9:
	s_load_b64 s[4:5], s[0:1], 0x10
	s_sub_co_i32 s38, s26, s13
	s_ashr_i32 s19, s18, 31
	s_cmp_neq_f32 s36, 0
	v_bfe_u32 v33, v0, 1, 4
	v_dual_mov_b32 v21, 0 :: v_dual_lshlrev_b32 v34, 6, v30
	s_cselect_b32 vcc_lo, -1, 0
	s_abs_i32 s39, s14
	s_delay_alu instid0(VALU_DEP_2)
	v_dual_lshlrev_b32 v22, 4, v31 :: v_dual_lshlrev_b32 v20, 4, v33
	s_cvt_f32_u32 s28, s39
	v_lshlrev_b32_e32 v5, 2, v33
	s_lshl_b64 s[40:41], s[24:25], 2
	v_subrev_nc_u32_e32 v4, s34, v33
	v_rcp_iflag_f32_e32 v2, s28
	v_cmp_eq_u32_e64 s3, 0, v30
	v_dual_mov_b32 v38, 0xff7fffff :: v_dual_mov_b32 v39, v31
	s_delay_alu instid0(VALU_DEP_3) | instskip(SKIP_2) | instid1(TRANS32_DEP_1)
	v_dual_mov_b32 v35, 0xff7fffff :: v_dual_add_nc_u32 v36, 1, v4
	s_wait_kmcnt 0x0
	s_add_nc_u64 s[4:5], s[4:5], s[18:19]
	v_readfirstlane_b32 s28, v2
	v_add_nc_u64_e32 v[2:3], s[4:5], v[20:21]
	v_lshlrev_b32_e32 v20, 2, v30
	s_add_nc_u64 s[4:5], s[22:23], s[40:41]
	v_lshl_or_b32 v5, v31, 6, v5
	s_mul_f32 s19, s28, 0x4f7ffffe
	s_sub_co_i32 s28, 0, s39
	s_mov_b32 s29, 0
	v_add_nc_u64_e32 v[24:25], v[2:3], v[20:21]
	v_and_b32_e32 v20, 0x7c, v19
	s_cvt_u32_f32 s40, s19
	v_add_nc_u32_e32 v37, 0xa0, v5
	s_mov_b32 s19, s17
	s_delay_alu instid0(VALU_DEP_2) | instskip(SKIP_1) | instid1(SALU_CYCLE_1)
	v_add_nc_u64_e32 v[26:27], s[4:5], v[20:21]
	s_mul_i32 s28, s28, s40
	s_mul_hi_u32 s28, s40, s28
	s_delay_alu instid0(SALU_CYCLE_1)
	s_add_co_i32 s28, s40, s28
	s_mov_b32 s40, s29
	s_branch .LBB323_12
.LBB323_10:                             ;   in Loop: Header=BB323_12 Depth=1
	s_or_b32 exec_lo, exec_lo, s41
.LBB323_11:                             ;   in Loop: Header=BB323_12 Depth=1
	s_delay_alu instid0(SALU_CYCLE_1) | instskip(SKIP_3) | instid1(VALU_DEP_3)
	s_or_b32 exec_lo, exec_lo, s5
	v_dual_add_nc_u32 v39, 4, v39 :: v_dual_add_nc_u32 v22, 64, v22
	v_add_nc_u64_e32 v[26:27], 16, v[26:27]
	v_add_nc_u32_e32 v37, 0x100, v37
	v_cmp_le_i32_e64 s4, s12, v39
	s_or_b32 s40, s4, s40
	s_delay_alu instid0(SALU_CYCLE_1)
	s_and_not1_b32 exec_lo, exec_lo, s40
	s_cbranch_execz .LBB323_275
.LBB323_12:                             ; =>This Inner Loop Header: Depth=1
	v_mov_b32_e32 v23, v21
	s_wait_dscnt 0x0
	s_delay_alu instid0(VALU_DEP_1) | instskip(NEXT) | instid1(VALU_DEP_1)
	v_mul_u64_e32 v[2:3], s[20:21], v[22:23]
	v_mul_lo_u32 v2, v3, s16
	s_delay_alu instid0(VALU_DEP_1) | instskip(NEXT) | instid1(VALU_DEP_1)
	v_sub_nc_u32_e32 v2, v22, v2
	v_subrev_nc_u32_e32 v5, s16, v2
	v_cmp_le_u32_e64 s4, s16, v2
	s_delay_alu instid0(VALU_DEP_1) | instskip(NEXT) | instid1(VALU_DEP_1)
	v_dual_add_nc_u32 v4, 1, v3 :: v_dual_cndmask_b32 v2, v2, v5, s4
	v_cndmask_b32_e64 v3, v3, v4, s4
	s_delay_alu instid0(VALU_DEP_2) | instskip(NEXT) | instid1(VALU_DEP_2)
	v_cmp_le_u32_e64 s4, s16, v2
	v_add_nc_u32_e32 v4, 1, v3
	s_delay_alu instid0(VALU_DEP_1) | instskip(NEXT) | instid1(VALU_DEP_1)
	v_cndmask_b32_e64 v2, v3, v4, s4
	v_xor_b32_e32 v2, s15, v2
	s_delay_alu instid0(VALU_DEP_1) | instskip(NEXT) | instid1(VALU_DEP_1)
	v_subrev_nc_u32_e32 v4, s15, v2
	v_add_nc_u32_e32 v5, s35, v4
	v_cmp_ge_i32_e64 s5, s38, v4
	s_delay_alu instid0(VALU_DEP_2) | instskip(NEXT) | instid1(VALU_DEP_1)
	v_sub_nc_u32_e32 v2, 0, v5
	v_dual_ashrrev_i32 v5, 31, v5 :: v_dual_max_i32 v20, v5, v2
	s_delay_alu instid0(VALU_DEP_1) | instskip(NEXT) | instid1(VALU_DEP_1)
	v_mul_u64_e32 v[2:3], s[28:29], v[20:21]
	v_mul_lo_u32 v2, v3, s39
	s_delay_alu instid0(VALU_DEP_1) | instskip(NEXT) | instid1(VALU_DEP_1)
	v_sub_nc_u32_e32 v2, v20, v2
	v_subrev_nc_u32_e32 v3, s39, v2
	v_cmp_le_u32_e64 s4, s39, v2
	s_delay_alu instid0(VALU_DEP_1) | instskip(NEXT) | instid1(VALU_DEP_1)
	v_cndmask_b32_e64 v2, v2, v3, s4
	v_subrev_nc_u32_e32 v3, s39, v2
	v_cmp_le_u32_e64 s4, s39, v2
	s_delay_alu instid0(VALU_DEP_1) | instskip(NEXT) | instid1(VALU_DEP_1)
	v_cndmask_b32_e64 v2, v2, v3, s4
	v_xor_b32_e32 v2, v2, v5
	s_delay_alu instid0(VALU_DEP_1) | instskip(NEXT) | instid1(VALU_DEP_1)
	v_sub_nc_u32_e32 v2, v2, v5
	v_cmp_ne_u32_e64 s4, 0, v2
	s_and_b32 s4, s4, s5
	s_delay_alu instid0(SALU_CYCLE_1) | instskip(NEXT) | instid1(SALU_CYCLE_1)
	s_and_saveexec_b32 s5, s4
	s_xor_b32 s4, exec_lo, s5
	s_cbranch_execz .LBB323_16
; %bb.13:                               ;   in Loop: Header=BB323_12 Depth=1
	s_and_saveexec_b32 s5, s3
; %bb.14:                               ;   in Loop: Header=BB323_12 Depth=1
	ds_store_b32 v37, v38
; %bb.15:                               ;   in Loop: Header=BB323_12 Depth=1
	s_or_b32 exec_lo, exec_lo, s5
.LBB323_16:                             ;   in Loop: Header=BB323_12 Depth=1
	s_and_not1_saveexec_b32 s5, s4
	s_cbranch_execz .LBB323_11
; %bb.17:                               ;   in Loop: Header=BB323_12 Depth=1
	global_load_b32 v2, v[26:27], off
	v_dual_mov_b32 v40, 0 :: v_dual_mov_b32 v23, 0
	s_mov_b32 s42, exec_lo
	s_wait_loadcnt 0x0
	v_mad_nc_i64_i32 v[28:29], v2, s19, v[24:25]
	global_load_b32 v43, v[28:29], off
	ds_load_b128 v[14:17], v34
	ds_load_b128 v[10:13], v34 offset:16
	ds_load_b128 v[6:9], v34 offset:32
	;; [unrolled: 1-line block ×3, first 2 shown]
	s_load_b32 s41, s[8:9], 0x0
	s_wait_loadcnt 0x0
	v_and_b32_e32 v20, 0xff, v43
	s_delay_alu instid0(VALU_DEP_1)
	v_cmpx_ne_u16_e32 0, v20
	s_cbranch_execz .LBB323_25
; %bb.18:                               ;   in Loop: Header=BB323_12 Depth=1
	v_bfrev_b32_e32 v23, 1
	s_mov_b32 s43, exec_lo
	v_cmpx_ne_u16_e32 0x80, v20
	s_cbranch_execz .LBB323_24
; %bb.19:                               ;   in Loop: Header=BB323_12 Depth=1
	v_and_b32_e32 v41, 0x7f, v43
	v_mov_b32_e32 v23, 0x7f800001
	s_mov_b32 s44, exec_lo
	s_delay_alu instid0(VALU_DEP_2)
	v_cmpx_ne_u32_e32 0x7f, v41
	s_cbranch_execz .LBB323_23
; %bb.20:                               ;   in Loop: Header=BB323_12 Depth=1
	v_dual_lshrrev_b32 v23, 3, v41 :: v_dual_bitop2_b32 v20, 7, v43 bitop3:0x40
	s_mov_b32 s45, exec_lo
	v_cmpx_gt_u32_e32 8, v41
; %bb.21:                               ;   in Loop: Header=BB323_12 Depth=1
	s_delay_alu instid0(VALU_DEP_2) | instskip(NEXT) | instid1(VALU_DEP_1)
	v_clz_i32_u32_e32 v23, v20
	v_min_u32_e32 v23, 32, v23
	s_delay_alu instid0(VALU_DEP_1) | instskip(NEXT) | instid1(VALU_DEP_1)
	v_subrev_nc_u32_e32 v41, 28, v23
	v_lshlrev_b64_e32 v[44:45], v41, v[20:21]
	s_delay_alu instid0(VALU_DEP_1)
	v_dual_sub_nc_u32 v23, 29, v23 :: v_dual_bitop2_b32 v20, 7, v44 bitop3:0x40
; %bb.22:                               ;   in Loop: Header=BB323_12 Depth=1
	s_or_b32 exec_lo, exec_lo, s45
	s_delay_alu instid0(VALU_DEP_1) | instskip(NEXT) | instid1(VALU_DEP_2)
	v_dual_lshlrev_b32 v41, 24, v43 :: v_dual_lshlrev_b32 v20, 20, v20
	v_lshl_add_u32 v23, v23, 23, 0x3c000000
	s_delay_alu instid0(VALU_DEP_2) | instskip(NEXT) | instid1(VALU_DEP_1)
	v_and_b32_e32 v41, 0x80000000, v41
	v_or3_b32 v23, v20, v41, v23
.LBB323_23:                             ;   in Loop: Header=BB323_12 Depth=1
	s_or_b32 exec_lo, exec_lo, s44
.LBB323_24:                             ;   in Loop: Header=BB323_12 Depth=1
	s_delay_alu instid0(SALU_CYCLE_1)
	s_or_b32 exec_lo, exec_lo, s43
.LBB323_25:                             ;   in Loop: Header=BB323_12 Depth=1
	s_delay_alu instid0(SALU_CYCLE_1) | instskip(SKIP_2) | instid1(VALU_DEP_1)
	s_or_b32 exec_lo, exec_lo, s42
	v_lshrrev_b16 v20, 8, v43
	s_mov_b32 s42, exec_lo
	v_cmpx_ne_u16_e32 0, v20
	s_cbranch_execz .LBB323_33
; %bb.26:                               ;   in Loop: Header=BB323_12 Depth=1
	v_bfrev_b32_e32 v40, 1
	s_mov_b32 s43, exec_lo
	v_cmpx_ne_u16_e32 0x80, v20
	s_cbranch_execz .LBB323_32
; %bb.27:                               ;   in Loop: Header=BB323_12 Depth=1
	v_and_b32_e32 v20, 0xffff, v20
	v_mov_b32_e32 v40, 0x7f800001
	s_mov_b32 s44, exec_lo
	s_delay_alu instid0(VALU_DEP_2) | instskip(NEXT) | instid1(VALU_DEP_1)
	v_and_b32_e32 v41, 0x7f, v20
	v_cmpx_ne_u32_e32 0x7f, v41
	s_cbranch_execz .LBB323_31
; %bb.28:                               ;   in Loop: Header=BB323_12 Depth=1
	v_dual_lshrrev_b32 v40, 3, v41 :: v_dual_bitop2_b32 v20, 7, v20 bitop3:0x40
	s_mov_b32 s45, exec_lo
	v_cmpx_gt_u32_e32 8, v41
; %bb.29:                               ;   in Loop: Header=BB323_12 Depth=1
	s_delay_alu instid0(VALU_DEP_2) | instskip(NEXT) | instid1(VALU_DEP_1)
	v_clz_i32_u32_e32 v40, v20
	v_min_u32_e32 v40, 32, v40
	s_delay_alu instid0(VALU_DEP_1) | instskip(SKIP_1) | instid1(VALU_DEP_2)
	v_subrev_nc_u32_e32 v41, 28, v40
	v_sub_nc_u32_e32 v40, 29, v40
	v_lshlrev_b64_e32 v[44:45], v41, v[20:21]
	s_delay_alu instid0(VALU_DEP_1)
	v_and_b32_e32 v20, 7, v44
; %bb.30:                               ;   in Loop: Header=BB323_12 Depth=1
	s_or_b32 exec_lo, exec_lo, s45
	s_delay_alu instid0(VALU_DEP_1) | instskip(SKIP_1) | instid1(VALU_DEP_2)
	v_dual_lshlrev_b32 v41, 16, v43 :: v_dual_lshlrev_b32 v20, 20, v20
	v_lshl_add_u32 v40, v40, 23, 0x3c000000
	v_and_b32_e32 v41, 0x80000000, v41
	s_delay_alu instid0(VALU_DEP_1)
	v_or3_b32 v40, v20, v41, v40
.LBB323_31:                             ;   in Loop: Header=BB323_12 Depth=1
	s_or_b32 exec_lo, exec_lo, s44
.LBB323_32:                             ;   in Loop: Header=BB323_12 Depth=1
	s_delay_alu instid0(SALU_CYCLE_1)
	s_or_b32 exec_lo, exec_lo, s43
.LBB323_33:                             ;   in Loop: Header=BB323_12 Depth=1
	s_delay_alu instid0(SALU_CYCLE_1) | instskip(SKIP_3) | instid1(VALU_DEP_2)
	s_or_b32 exec_lo, exec_lo, s42
	v_dual_mov_b32 v41, 0 :: v_dual_lshrrev_b32 v44, 16, v43
	v_mov_b32_e32 v42, 0
	s_mov_b32 s42, exec_lo
	v_and_b32_e32 v20, 0xff, v44
	s_delay_alu instid0(VALU_DEP_1)
	v_cmpx_ne_u16_e32 0, v20
	s_cbranch_execz .LBB323_41
; %bb.34:                               ;   in Loop: Header=BB323_12 Depth=1
	v_bfrev_b32_e32 v42, 1
	s_mov_b32 s43, exec_lo
	v_cmpx_ne_u16_e32 0x80, v20
	s_cbranch_execz .LBB323_40
; %bb.35:                               ;   in Loop: Header=BB323_12 Depth=1
	v_bfe_u32 v45, v43, 16, 7
	v_mov_b32_e32 v42, 0x7f800001
	s_mov_b32 s44, exec_lo
	s_delay_alu instid0(VALU_DEP_2)
	v_cmpx_ne_u32_e32 0x7f, v45
	s_cbranch_execz .LBB323_39
; %bb.36:                               ;   in Loop: Header=BB323_12 Depth=1
	v_dual_lshrrev_b32 v42, 3, v45 :: v_dual_bitop2_b32 v20, 7, v44 bitop3:0x40
	s_mov_b32 s45, exec_lo
	v_cmpx_gt_u32_e32 8, v45
; %bb.37:                               ;   in Loop: Header=BB323_12 Depth=1
	s_delay_alu instid0(VALU_DEP_2) | instskip(NEXT) | instid1(VALU_DEP_1)
	v_clz_i32_u32_e32 v42, v20
	v_min_u32_e32 v42, 32, v42
	s_delay_alu instid0(VALU_DEP_1) | instskip(SKIP_1) | instid1(VALU_DEP_2)
	v_subrev_nc_u32_e32 v45, 28, v42
	v_sub_nc_u32_e32 v42, 29, v42
	v_lshlrev_b64_e32 v[46:47], v45, v[20:21]
	s_delay_alu instid0(VALU_DEP_1)
	v_and_b32_e32 v20, 7, v46
; %bb.38:                               ;   in Loop: Header=BB323_12 Depth=1
	s_or_b32 exec_lo, exec_lo, s45
	v_lshlrev_b32_e32 v44, 24, v44
	s_delay_alu instid0(VALU_DEP_2) | instskip(SKIP_1) | instid1(VALU_DEP_3)
	v_lshlrev_b32_e32 v20, 20, v20
	v_lshl_add_u32 v42, v42, 23, 0x3c000000
	v_and_b32_e32 v44, 0x80000000, v44
	s_delay_alu instid0(VALU_DEP_1)
	v_or3_b32 v42, v20, v44, v42
.LBB323_39:                             ;   in Loop: Header=BB323_12 Depth=1
	s_or_b32 exec_lo, exec_lo, s44
.LBB323_40:                             ;   in Loop: Header=BB323_12 Depth=1
	s_delay_alu instid0(SALU_CYCLE_1)
	s_or_b32 exec_lo, exec_lo, s43
.LBB323_41:                             ;   in Loop: Header=BB323_12 Depth=1
	s_delay_alu instid0(SALU_CYCLE_1) | instskip(NEXT) | instid1(SALU_CYCLE_1)
	s_or_b32 exec_lo, exec_lo, s42
	s_mov_b32 s42, exec_lo
	v_cmpx_lt_u32_e32 0xffffff, v43
	s_cbranch_execz .LBB323_49
; %bb.42:                               ;   in Loop: Header=BB323_12 Depth=1
	v_lshrrev_b32_e32 v44, 24, v43
	v_bfrev_b32_e32 v41, 1
	s_mov_b32 s43, exec_lo
	s_delay_alu instid0(VALU_DEP_2)
	v_cmpx_ne_u32_e32 0x80, v44
	s_cbranch_execz .LBB323_48
; %bb.43:                               ;   in Loop: Header=BB323_12 Depth=1
	v_bfe_u32 v43, v43, 24, 7
	v_mov_b32_e32 v41, 0x7f800001
	s_mov_b32 s44, exec_lo
	s_delay_alu instid0(VALU_DEP_2)
	v_cmpx_ne_u32_e32 0x7f, v43
	s_cbranch_execz .LBB323_47
; %bb.44:                               ;   in Loop: Header=BB323_12 Depth=1
	v_dual_lshrrev_b32 v41, 3, v43 :: v_dual_bitop2_b32 v20, 7, v44 bitop3:0x40
	s_mov_b32 s45, exec_lo
	v_cmpx_gt_u32_e32 8, v43
; %bb.45:                               ;   in Loop: Header=BB323_12 Depth=1
	s_delay_alu instid0(VALU_DEP_2) | instskip(NEXT) | instid1(VALU_DEP_1)
	v_clz_i32_u32_e32 v41, v20
	v_min_u32_e32 v41, 32, v41
	s_delay_alu instid0(VALU_DEP_1) | instskip(NEXT) | instid1(VALU_DEP_1)
	v_subrev_nc_u32_e32 v43, 28, v41
	v_lshlrev_b64_e32 v[46:47], v43, v[20:21]
	s_delay_alu instid0(VALU_DEP_1)
	v_dual_sub_nc_u32 v41, 29, v41 :: v_dual_bitop2_b32 v20, 7, v46 bitop3:0x40
; %bb.46:                               ;   in Loop: Header=BB323_12 Depth=1
	s_or_b32 exec_lo, exec_lo, s45
	v_lshlrev_b32_e32 v43, 24, v44
	s_delay_alu instid0(VALU_DEP_2) | instskip(NEXT) | instid1(VALU_DEP_3)
	v_lshlrev_b32_e32 v20, 20, v20
	v_lshl_add_u32 v41, v41, 23, 0x3c000000
	s_delay_alu instid0(VALU_DEP_3) | instskip(NEXT) | instid1(VALU_DEP_1)
	v_and_b32_e32 v43, 0x80000000, v43
	v_or3_b32 v41, v20, v43, v41
.LBB323_47:                             ;   in Loop: Header=BB323_12 Depth=1
	s_or_b32 exec_lo, exec_lo, s44
.LBB323_48:                             ;   in Loop: Header=BB323_12 Depth=1
	s_delay_alu instid0(SALU_CYCLE_1)
	s_or_b32 exec_lo, exec_lo, s43
.LBB323_49:                             ;   in Loop: Header=BB323_12 Depth=1
	s_delay_alu instid0(SALU_CYCLE_1)
	s_or_b32 exec_lo, exec_lo, s42
	global_load_b32 v47, v[28:29], off offset:8
	v_dual_mov_b32 v44, 0 :: v_dual_mov_b32 v43, 0
	s_mov_b32 s42, exec_lo
	s_wait_loadcnt 0x0
	v_and_b32_e32 v20, 0xff, v47
	s_delay_alu instid0(VALU_DEP_1)
	v_cmpx_ne_u16_e32 0, v20
	s_cbranch_execz .LBB323_57
; %bb.50:                               ;   in Loop: Header=BB323_12 Depth=1
	v_bfrev_b32_e32 v43, 1
	s_mov_b32 s43, exec_lo
	v_cmpx_ne_u16_e32 0x80, v20
	s_cbranch_execz .LBB323_56
; %bb.51:                               ;   in Loop: Header=BB323_12 Depth=1
	v_and_b32_e32 v45, 0x7f, v47
	v_mov_b32_e32 v43, 0x7f800001
	s_mov_b32 s44, exec_lo
	s_delay_alu instid0(VALU_DEP_2)
	v_cmpx_ne_u32_e32 0x7f, v45
	s_cbranch_execz .LBB323_55
; %bb.52:                               ;   in Loop: Header=BB323_12 Depth=1
	v_dual_lshrrev_b32 v43, 3, v45 :: v_dual_bitop2_b32 v20, 7, v47 bitop3:0x40
	s_mov_b32 s45, exec_lo
	v_cmpx_gt_u32_e32 8, v45
; %bb.53:                               ;   in Loop: Header=BB323_12 Depth=1
	s_delay_alu instid0(VALU_DEP_2) | instskip(NEXT) | instid1(VALU_DEP_1)
	v_clz_i32_u32_e32 v43, v20
	v_min_u32_e32 v43, 32, v43
	s_delay_alu instid0(VALU_DEP_1) | instskip(NEXT) | instid1(VALU_DEP_1)
	v_subrev_nc_u32_e32 v45, 28, v43
	v_lshlrev_b64_e32 v[48:49], v45, v[20:21]
	s_delay_alu instid0(VALU_DEP_1)
	v_dual_sub_nc_u32 v43, 29, v43 :: v_dual_bitop2_b32 v20, 7, v48 bitop3:0x40
; %bb.54:                               ;   in Loop: Header=BB323_12 Depth=1
	s_or_b32 exec_lo, exec_lo, s45
	s_delay_alu instid0(VALU_DEP_1) | instskip(NEXT) | instid1(VALU_DEP_2)
	v_dual_lshlrev_b32 v45, 24, v47 :: v_dual_lshlrev_b32 v20, 20, v20
	v_lshl_add_u32 v43, v43, 23, 0x3c000000
	s_delay_alu instid0(VALU_DEP_2) | instskip(NEXT) | instid1(VALU_DEP_1)
	v_and_b32_e32 v45, 0x80000000, v45
	v_or3_b32 v43, v20, v45, v43
.LBB323_55:                             ;   in Loop: Header=BB323_12 Depth=1
	s_or_b32 exec_lo, exec_lo, s44
.LBB323_56:                             ;   in Loop: Header=BB323_12 Depth=1
	s_delay_alu instid0(SALU_CYCLE_1)
	s_or_b32 exec_lo, exec_lo, s43
.LBB323_57:                             ;   in Loop: Header=BB323_12 Depth=1
	s_delay_alu instid0(SALU_CYCLE_1) | instskip(SKIP_2) | instid1(VALU_DEP_1)
	s_or_b32 exec_lo, exec_lo, s42
	v_lshrrev_b16 v20, 8, v47
	s_mov_b32 s42, exec_lo
	v_cmpx_ne_u16_e32 0, v20
	s_cbranch_execz .LBB323_65
; %bb.58:                               ;   in Loop: Header=BB323_12 Depth=1
	v_bfrev_b32_e32 v44, 1
	s_mov_b32 s43, exec_lo
	v_cmpx_ne_u16_e32 0x80, v20
	s_cbranch_execz .LBB323_64
; %bb.59:                               ;   in Loop: Header=BB323_12 Depth=1
	v_and_b32_e32 v20, 0xffff, v20
	v_mov_b32_e32 v44, 0x7f800001
	s_mov_b32 s44, exec_lo
	s_delay_alu instid0(VALU_DEP_2) | instskip(NEXT) | instid1(VALU_DEP_1)
	v_and_b32_e32 v45, 0x7f, v20
	v_cmpx_ne_u32_e32 0x7f, v45
	s_cbranch_execz .LBB323_63
; %bb.60:                               ;   in Loop: Header=BB323_12 Depth=1
	v_dual_lshrrev_b32 v44, 3, v45 :: v_dual_bitop2_b32 v20, 7, v20 bitop3:0x40
	s_mov_b32 s45, exec_lo
	v_cmpx_gt_u32_e32 8, v45
; %bb.61:                               ;   in Loop: Header=BB323_12 Depth=1
	s_delay_alu instid0(VALU_DEP_2) | instskip(NEXT) | instid1(VALU_DEP_1)
	v_clz_i32_u32_e32 v44, v20
	v_min_u32_e32 v44, 32, v44
	s_delay_alu instid0(VALU_DEP_1) | instskip(SKIP_1) | instid1(VALU_DEP_2)
	v_subrev_nc_u32_e32 v45, 28, v44
	v_sub_nc_u32_e32 v44, 29, v44
	v_lshlrev_b64_e32 v[48:49], v45, v[20:21]
	s_delay_alu instid0(VALU_DEP_1)
	v_and_b32_e32 v20, 7, v48
; %bb.62:                               ;   in Loop: Header=BB323_12 Depth=1
	s_or_b32 exec_lo, exec_lo, s45
	s_delay_alu instid0(VALU_DEP_1) | instskip(SKIP_1) | instid1(VALU_DEP_2)
	v_dual_lshlrev_b32 v45, 16, v47 :: v_dual_lshlrev_b32 v20, 20, v20
	v_lshl_add_u32 v44, v44, 23, 0x3c000000
	v_and_b32_e32 v45, 0x80000000, v45
	s_delay_alu instid0(VALU_DEP_1)
	v_or3_b32 v44, v20, v45, v44
.LBB323_63:                             ;   in Loop: Header=BB323_12 Depth=1
	s_or_b32 exec_lo, exec_lo, s44
.LBB323_64:                             ;   in Loop: Header=BB323_12 Depth=1
	s_delay_alu instid0(SALU_CYCLE_1)
	s_or_b32 exec_lo, exec_lo, s43
.LBB323_65:                             ;   in Loop: Header=BB323_12 Depth=1
	s_delay_alu instid0(SALU_CYCLE_1) | instskip(SKIP_3) | instid1(VALU_DEP_2)
	s_or_b32 exec_lo, exec_lo, s42
	v_dual_mov_b32 v45, 0 :: v_dual_lshrrev_b32 v48, 16, v47
	v_mov_b32_e32 v46, 0
	s_mov_b32 s42, exec_lo
	v_and_b32_e32 v20, 0xff, v48
	s_delay_alu instid0(VALU_DEP_1)
	v_cmpx_ne_u16_e32 0, v20
	s_cbranch_execz .LBB323_73
; %bb.66:                               ;   in Loop: Header=BB323_12 Depth=1
	v_bfrev_b32_e32 v46, 1
	s_mov_b32 s43, exec_lo
	v_cmpx_ne_u16_e32 0x80, v20
	s_cbranch_execz .LBB323_72
; %bb.67:                               ;   in Loop: Header=BB323_12 Depth=1
	v_bfe_u32 v49, v47, 16, 7
	v_mov_b32_e32 v46, 0x7f800001
	s_mov_b32 s44, exec_lo
	s_delay_alu instid0(VALU_DEP_2)
	v_cmpx_ne_u32_e32 0x7f, v49
	s_cbranch_execz .LBB323_71
; %bb.68:                               ;   in Loop: Header=BB323_12 Depth=1
	v_dual_lshrrev_b32 v46, 3, v49 :: v_dual_bitop2_b32 v20, 7, v48 bitop3:0x40
	s_mov_b32 s45, exec_lo
	v_cmpx_gt_u32_e32 8, v49
; %bb.69:                               ;   in Loop: Header=BB323_12 Depth=1
	s_delay_alu instid0(VALU_DEP_2) | instskip(NEXT) | instid1(VALU_DEP_1)
	v_clz_i32_u32_e32 v46, v20
	v_min_u32_e32 v46, 32, v46
	s_delay_alu instid0(VALU_DEP_1) | instskip(SKIP_1) | instid1(VALU_DEP_2)
	v_subrev_nc_u32_e32 v49, 28, v46
	v_sub_nc_u32_e32 v46, 29, v46
	v_lshlrev_b64_e32 v[50:51], v49, v[20:21]
	s_delay_alu instid0(VALU_DEP_1)
	v_and_b32_e32 v20, 7, v50
; %bb.70:                               ;   in Loop: Header=BB323_12 Depth=1
	s_or_b32 exec_lo, exec_lo, s45
	v_lshlrev_b32_e32 v48, 24, v48
	s_delay_alu instid0(VALU_DEP_2) | instskip(SKIP_1) | instid1(VALU_DEP_3)
	v_lshlrev_b32_e32 v20, 20, v20
	v_lshl_add_u32 v46, v46, 23, 0x3c000000
	v_and_b32_e32 v48, 0x80000000, v48
	s_delay_alu instid0(VALU_DEP_1)
	v_or3_b32 v46, v20, v48, v46
.LBB323_71:                             ;   in Loop: Header=BB323_12 Depth=1
	s_or_b32 exec_lo, exec_lo, s44
.LBB323_72:                             ;   in Loop: Header=BB323_12 Depth=1
	s_delay_alu instid0(SALU_CYCLE_1)
	s_or_b32 exec_lo, exec_lo, s43
.LBB323_73:                             ;   in Loop: Header=BB323_12 Depth=1
	s_delay_alu instid0(SALU_CYCLE_1) | instskip(NEXT) | instid1(SALU_CYCLE_1)
	s_or_b32 exec_lo, exec_lo, s42
	s_mov_b32 s42, exec_lo
	v_cmpx_lt_u32_e32 0xffffff, v47
	s_cbranch_execz .LBB323_81
; %bb.74:                               ;   in Loop: Header=BB323_12 Depth=1
	v_lshrrev_b32_e32 v48, 24, v47
	v_bfrev_b32_e32 v45, 1
	s_mov_b32 s43, exec_lo
	s_delay_alu instid0(VALU_DEP_2)
	v_cmpx_ne_u32_e32 0x80, v48
	s_cbranch_execz .LBB323_80
; %bb.75:                               ;   in Loop: Header=BB323_12 Depth=1
	v_bfe_u32 v47, v47, 24, 7
	v_mov_b32_e32 v45, 0x7f800001
	s_mov_b32 s44, exec_lo
	s_delay_alu instid0(VALU_DEP_2)
	v_cmpx_ne_u32_e32 0x7f, v47
	s_cbranch_execz .LBB323_79
; %bb.76:                               ;   in Loop: Header=BB323_12 Depth=1
	v_dual_lshrrev_b32 v45, 3, v47 :: v_dual_bitop2_b32 v20, 7, v48 bitop3:0x40
	s_mov_b32 s45, exec_lo
	v_cmpx_gt_u32_e32 8, v47
; %bb.77:                               ;   in Loop: Header=BB323_12 Depth=1
	s_delay_alu instid0(VALU_DEP_2) | instskip(NEXT) | instid1(VALU_DEP_1)
	v_clz_i32_u32_e32 v45, v20
	v_min_u32_e32 v45, 32, v45
	s_delay_alu instid0(VALU_DEP_1) | instskip(NEXT) | instid1(VALU_DEP_1)
	v_subrev_nc_u32_e32 v47, 28, v45
	v_lshlrev_b64_e32 v[50:51], v47, v[20:21]
	s_delay_alu instid0(VALU_DEP_1)
	v_dual_sub_nc_u32 v45, 29, v45 :: v_dual_bitop2_b32 v20, 7, v50 bitop3:0x40
; %bb.78:                               ;   in Loop: Header=BB323_12 Depth=1
	s_or_b32 exec_lo, exec_lo, s45
	v_lshlrev_b32_e32 v47, 24, v48
	s_delay_alu instid0(VALU_DEP_2) | instskip(NEXT) | instid1(VALU_DEP_3)
	v_lshlrev_b32_e32 v20, 20, v20
	v_lshl_add_u32 v45, v45, 23, 0x3c000000
	s_delay_alu instid0(VALU_DEP_3) | instskip(NEXT) | instid1(VALU_DEP_1)
	v_and_b32_e32 v47, 0x80000000, v47
	v_or3_b32 v45, v20, v47, v45
.LBB323_79:                             ;   in Loop: Header=BB323_12 Depth=1
	s_or_b32 exec_lo, exec_lo, s44
.LBB323_80:                             ;   in Loop: Header=BB323_12 Depth=1
	s_delay_alu instid0(SALU_CYCLE_1)
	s_or_b32 exec_lo, exec_lo, s43
.LBB323_81:                             ;   in Loop: Header=BB323_12 Depth=1
	s_delay_alu instid0(SALU_CYCLE_1)
	s_or_b32 exec_lo, exec_lo, s42
	global_load_b32 v51, v[28:29], off offset:256
	v_dual_mov_b32 v48, 0 :: v_dual_mov_b32 v47, 0
	s_mov_b32 s42, exec_lo
	s_wait_loadcnt 0x0
	v_and_b32_e32 v20, 0xff, v51
	s_delay_alu instid0(VALU_DEP_1)
	v_cmpx_ne_u16_e32 0, v20
	s_cbranch_execz .LBB323_89
; %bb.82:                               ;   in Loop: Header=BB323_12 Depth=1
	v_bfrev_b32_e32 v47, 1
	s_mov_b32 s43, exec_lo
	v_cmpx_ne_u16_e32 0x80, v20
	s_cbranch_execz .LBB323_88
; %bb.83:                               ;   in Loop: Header=BB323_12 Depth=1
	v_and_b32_e32 v49, 0x7f, v51
	v_mov_b32_e32 v47, 0x7f800001
	s_mov_b32 s44, exec_lo
	s_delay_alu instid0(VALU_DEP_2)
	v_cmpx_ne_u32_e32 0x7f, v49
	s_cbranch_execz .LBB323_87
; %bb.84:                               ;   in Loop: Header=BB323_12 Depth=1
	v_dual_lshrrev_b32 v47, 3, v49 :: v_dual_bitop2_b32 v20, 7, v51 bitop3:0x40
	s_mov_b32 s45, exec_lo
	v_cmpx_gt_u32_e32 8, v49
; %bb.85:                               ;   in Loop: Header=BB323_12 Depth=1
	s_delay_alu instid0(VALU_DEP_2) | instskip(NEXT) | instid1(VALU_DEP_1)
	v_clz_i32_u32_e32 v47, v20
	v_min_u32_e32 v47, 32, v47
	s_delay_alu instid0(VALU_DEP_1) | instskip(NEXT) | instid1(VALU_DEP_1)
	v_subrev_nc_u32_e32 v49, 28, v47
	v_lshlrev_b64_e32 v[52:53], v49, v[20:21]
	s_delay_alu instid0(VALU_DEP_1)
	v_dual_sub_nc_u32 v47, 29, v47 :: v_dual_bitop2_b32 v20, 7, v52 bitop3:0x40
; %bb.86:                               ;   in Loop: Header=BB323_12 Depth=1
	s_or_b32 exec_lo, exec_lo, s45
	s_delay_alu instid0(VALU_DEP_1) | instskip(NEXT) | instid1(VALU_DEP_2)
	v_dual_lshlrev_b32 v49, 24, v51 :: v_dual_lshlrev_b32 v20, 20, v20
	v_lshl_add_u32 v47, v47, 23, 0x3c000000
	s_delay_alu instid0(VALU_DEP_2) | instskip(NEXT) | instid1(VALU_DEP_1)
	v_and_b32_e32 v49, 0x80000000, v49
	v_or3_b32 v47, v20, v49, v47
.LBB323_87:                             ;   in Loop: Header=BB323_12 Depth=1
	s_or_b32 exec_lo, exec_lo, s44
.LBB323_88:                             ;   in Loop: Header=BB323_12 Depth=1
	s_delay_alu instid0(SALU_CYCLE_1)
	s_or_b32 exec_lo, exec_lo, s43
.LBB323_89:                             ;   in Loop: Header=BB323_12 Depth=1
	s_delay_alu instid0(SALU_CYCLE_1) | instskip(SKIP_2) | instid1(VALU_DEP_1)
	s_or_b32 exec_lo, exec_lo, s42
	v_lshrrev_b16 v20, 8, v51
	s_mov_b32 s42, exec_lo
	v_cmpx_ne_u16_e32 0, v20
	s_cbranch_execz .LBB323_97
; %bb.90:                               ;   in Loop: Header=BB323_12 Depth=1
	v_bfrev_b32_e32 v48, 1
	s_mov_b32 s43, exec_lo
	v_cmpx_ne_u16_e32 0x80, v20
	s_cbranch_execz .LBB323_96
; %bb.91:                               ;   in Loop: Header=BB323_12 Depth=1
	v_and_b32_e32 v20, 0xffff, v20
	v_mov_b32_e32 v48, 0x7f800001
	s_mov_b32 s44, exec_lo
	s_delay_alu instid0(VALU_DEP_2) | instskip(NEXT) | instid1(VALU_DEP_1)
	v_and_b32_e32 v49, 0x7f, v20
	v_cmpx_ne_u32_e32 0x7f, v49
	s_cbranch_execz .LBB323_95
; %bb.92:                               ;   in Loop: Header=BB323_12 Depth=1
	v_dual_lshrrev_b32 v48, 3, v49 :: v_dual_bitop2_b32 v20, 7, v20 bitop3:0x40
	s_mov_b32 s45, exec_lo
	v_cmpx_gt_u32_e32 8, v49
; %bb.93:                               ;   in Loop: Header=BB323_12 Depth=1
	s_delay_alu instid0(VALU_DEP_2) | instskip(NEXT) | instid1(VALU_DEP_1)
	v_clz_i32_u32_e32 v48, v20
	v_min_u32_e32 v48, 32, v48
	s_delay_alu instid0(VALU_DEP_1) | instskip(SKIP_1) | instid1(VALU_DEP_2)
	v_subrev_nc_u32_e32 v49, 28, v48
	v_sub_nc_u32_e32 v48, 29, v48
	v_lshlrev_b64_e32 v[52:53], v49, v[20:21]
	s_delay_alu instid0(VALU_DEP_1)
	v_and_b32_e32 v20, 7, v52
; %bb.94:                               ;   in Loop: Header=BB323_12 Depth=1
	s_or_b32 exec_lo, exec_lo, s45
	s_delay_alu instid0(VALU_DEP_1) | instskip(SKIP_1) | instid1(VALU_DEP_2)
	v_dual_lshlrev_b32 v49, 16, v51 :: v_dual_lshlrev_b32 v20, 20, v20
	v_lshl_add_u32 v48, v48, 23, 0x3c000000
	v_and_b32_e32 v49, 0x80000000, v49
	s_delay_alu instid0(VALU_DEP_1)
	v_or3_b32 v48, v20, v49, v48
.LBB323_95:                             ;   in Loop: Header=BB323_12 Depth=1
	s_or_b32 exec_lo, exec_lo, s44
.LBB323_96:                             ;   in Loop: Header=BB323_12 Depth=1
	s_delay_alu instid0(SALU_CYCLE_1)
	s_or_b32 exec_lo, exec_lo, s43
.LBB323_97:                             ;   in Loop: Header=BB323_12 Depth=1
	s_delay_alu instid0(SALU_CYCLE_1) | instskip(SKIP_3) | instid1(VALU_DEP_2)
	s_or_b32 exec_lo, exec_lo, s42
	v_dual_mov_b32 v49, 0 :: v_dual_lshrrev_b32 v52, 16, v51
	v_mov_b32_e32 v50, 0
	s_mov_b32 s42, exec_lo
	v_and_b32_e32 v20, 0xff, v52
	s_delay_alu instid0(VALU_DEP_1)
	v_cmpx_ne_u16_e32 0, v20
	s_cbranch_execz .LBB323_105
; %bb.98:                               ;   in Loop: Header=BB323_12 Depth=1
	v_bfrev_b32_e32 v50, 1
	s_mov_b32 s43, exec_lo
	v_cmpx_ne_u16_e32 0x80, v20
	s_cbranch_execz .LBB323_104
; %bb.99:                               ;   in Loop: Header=BB323_12 Depth=1
	v_bfe_u32 v53, v51, 16, 7
	v_mov_b32_e32 v50, 0x7f800001
	s_mov_b32 s44, exec_lo
	s_delay_alu instid0(VALU_DEP_2)
	v_cmpx_ne_u32_e32 0x7f, v53
	s_cbranch_execz .LBB323_103
; %bb.100:                              ;   in Loop: Header=BB323_12 Depth=1
	v_dual_lshrrev_b32 v50, 3, v53 :: v_dual_bitop2_b32 v20, 7, v52 bitop3:0x40
	s_mov_b32 s45, exec_lo
	v_cmpx_gt_u32_e32 8, v53
; %bb.101:                              ;   in Loop: Header=BB323_12 Depth=1
	s_delay_alu instid0(VALU_DEP_2) | instskip(NEXT) | instid1(VALU_DEP_1)
	v_clz_i32_u32_e32 v50, v20
	v_min_u32_e32 v50, 32, v50
	s_delay_alu instid0(VALU_DEP_1) | instskip(SKIP_1) | instid1(VALU_DEP_2)
	v_subrev_nc_u32_e32 v53, 28, v50
	v_sub_nc_u32_e32 v50, 29, v50
	v_lshlrev_b64_e32 v[54:55], v53, v[20:21]
	s_delay_alu instid0(VALU_DEP_1)
	v_and_b32_e32 v20, 7, v54
; %bb.102:                              ;   in Loop: Header=BB323_12 Depth=1
	s_or_b32 exec_lo, exec_lo, s45
	v_lshlrev_b32_e32 v52, 24, v52
	s_delay_alu instid0(VALU_DEP_2) | instskip(SKIP_1) | instid1(VALU_DEP_3)
	v_lshlrev_b32_e32 v20, 20, v20
	v_lshl_add_u32 v50, v50, 23, 0x3c000000
	v_and_b32_e32 v52, 0x80000000, v52
	s_delay_alu instid0(VALU_DEP_1)
	v_or3_b32 v50, v20, v52, v50
.LBB323_103:                            ;   in Loop: Header=BB323_12 Depth=1
	s_or_b32 exec_lo, exec_lo, s44
.LBB323_104:                            ;   in Loop: Header=BB323_12 Depth=1
	s_delay_alu instid0(SALU_CYCLE_1)
	s_or_b32 exec_lo, exec_lo, s43
.LBB323_105:                            ;   in Loop: Header=BB323_12 Depth=1
	s_delay_alu instid0(SALU_CYCLE_1) | instskip(NEXT) | instid1(SALU_CYCLE_1)
	s_or_b32 exec_lo, exec_lo, s42
	s_mov_b32 s42, exec_lo
	v_cmpx_lt_u32_e32 0xffffff, v51
	s_cbranch_execz .LBB323_113
; %bb.106:                              ;   in Loop: Header=BB323_12 Depth=1
	v_lshrrev_b32_e32 v52, 24, v51
	v_bfrev_b32_e32 v49, 1
	s_mov_b32 s43, exec_lo
	s_delay_alu instid0(VALU_DEP_2)
	v_cmpx_ne_u32_e32 0x80, v52
	s_cbranch_execz .LBB323_112
; %bb.107:                              ;   in Loop: Header=BB323_12 Depth=1
	v_bfe_u32 v51, v51, 24, 7
	v_mov_b32_e32 v49, 0x7f800001
	s_mov_b32 s44, exec_lo
	s_delay_alu instid0(VALU_DEP_2)
	v_cmpx_ne_u32_e32 0x7f, v51
	s_cbranch_execz .LBB323_111
; %bb.108:                              ;   in Loop: Header=BB323_12 Depth=1
	v_dual_lshrrev_b32 v49, 3, v51 :: v_dual_bitop2_b32 v20, 7, v52 bitop3:0x40
	s_mov_b32 s45, exec_lo
	v_cmpx_gt_u32_e32 8, v51
; %bb.109:                              ;   in Loop: Header=BB323_12 Depth=1
	s_delay_alu instid0(VALU_DEP_2) | instskip(NEXT) | instid1(VALU_DEP_1)
	v_clz_i32_u32_e32 v49, v20
	v_min_u32_e32 v49, 32, v49
	s_delay_alu instid0(VALU_DEP_1) | instskip(NEXT) | instid1(VALU_DEP_1)
	v_subrev_nc_u32_e32 v51, 28, v49
	v_lshlrev_b64_e32 v[54:55], v51, v[20:21]
	s_delay_alu instid0(VALU_DEP_1)
	v_dual_sub_nc_u32 v49, 29, v49 :: v_dual_bitop2_b32 v20, 7, v54 bitop3:0x40
; %bb.110:                              ;   in Loop: Header=BB323_12 Depth=1
	s_or_b32 exec_lo, exec_lo, s45
	v_lshlrev_b32_e32 v51, 24, v52
	s_delay_alu instid0(VALU_DEP_2) | instskip(NEXT) | instid1(VALU_DEP_3)
	v_lshlrev_b32_e32 v20, 20, v20
	v_lshl_add_u32 v49, v49, 23, 0x3c000000
	s_delay_alu instid0(VALU_DEP_3) | instskip(NEXT) | instid1(VALU_DEP_1)
	v_and_b32_e32 v51, 0x80000000, v51
	v_or3_b32 v49, v20, v51, v49
.LBB323_111:                            ;   in Loop: Header=BB323_12 Depth=1
	s_or_b32 exec_lo, exec_lo, s44
.LBB323_112:                            ;   in Loop: Header=BB323_12 Depth=1
	s_delay_alu instid0(SALU_CYCLE_1)
	s_or_b32 exec_lo, exec_lo, s43
.LBB323_113:                            ;   in Loop: Header=BB323_12 Depth=1
	s_delay_alu instid0(SALU_CYCLE_1)
	s_or_b32 exec_lo, exec_lo, s42
	global_load_b32 v55, v[28:29], off offset:264
	v_dual_mov_b32 v52, 0 :: v_dual_mov_b32 v51, 0
	s_mov_b32 s42, exec_lo
	s_wait_loadcnt 0x0
	v_and_b32_e32 v20, 0xff, v55
	s_delay_alu instid0(VALU_DEP_1)
	v_cmpx_ne_u16_e32 0, v20
	s_cbranch_execz .LBB323_121
; %bb.114:                              ;   in Loop: Header=BB323_12 Depth=1
	v_bfrev_b32_e32 v51, 1
	s_mov_b32 s43, exec_lo
	v_cmpx_ne_u16_e32 0x80, v20
	s_cbranch_execz .LBB323_120
; %bb.115:                              ;   in Loop: Header=BB323_12 Depth=1
	v_and_b32_e32 v53, 0x7f, v55
	v_mov_b32_e32 v51, 0x7f800001
	s_mov_b32 s44, exec_lo
	s_delay_alu instid0(VALU_DEP_2)
	v_cmpx_ne_u32_e32 0x7f, v53
	s_cbranch_execz .LBB323_119
; %bb.116:                              ;   in Loop: Header=BB323_12 Depth=1
	v_dual_lshrrev_b32 v51, 3, v53 :: v_dual_bitop2_b32 v20, 7, v55 bitop3:0x40
	s_mov_b32 s45, exec_lo
	v_cmpx_gt_u32_e32 8, v53
; %bb.117:                              ;   in Loop: Header=BB323_12 Depth=1
	s_delay_alu instid0(VALU_DEP_2) | instskip(NEXT) | instid1(VALU_DEP_1)
	v_clz_i32_u32_e32 v51, v20
	v_min_u32_e32 v51, 32, v51
	s_delay_alu instid0(VALU_DEP_1) | instskip(NEXT) | instid1(VALU_DEP_1)
	v_subrev_nc_u32_e32 v53, 28, v51
	v_lshlrev_b64_e32 v[56:57], v53, v[20:21]
	s_delay_alu instid0(VALU_DEP_1)
	v_dual_sub_nc_u32 v51, 29, v51 :: v_dual_bitop2_b32 v20, 7, v56 bitop3:0x40
; %bb.118:                              ;   in Loop: Header=BB323_12 Depth=1
	s_or_b32 exec_lo, exec_lo, s45
	s_delay_alu instid0(VALU_DEP_1) | instskip(NEXT) | instid1(VALU_DEP_2)
	v_dual_lshlrev_b32 v53, 24, v55 :: v_dual_lshlrev_b32 v20, 20, v20
	v_lshl_add_u32 v51, v51, 23, 0x3c000000
	s_delay_alu instid0(VALU_DEP_2) | instskip(NEXT) | instid1(VALU_DEP_1)
	v_and_b32_e32 v53, 0x80000000, v53
	v_or3_b32 v51, v20, v53, v51
.LBB323_119:                            ;   in Loop: Header=BB323_12 Depth=1
	s_or_b32 exec_lo, exec_lo, s44
.LBB323_120:                            ;   in Loop: Header=BB323_12 Depth=1
	s_delay_alu instid0(SALU_CYCLE_1)
	s_or_b32 exec_lo, exec_lo, s43
.LBB323_121:                            ;   in Loop: Header=BB323_12 Depth=1
	s_delay_alu instid0(SALU_CYCLE_1) | instskip(SKIP_2) | instid1(VALU_DEP_1)
	s_or_b32 exec_lo, exec_lo, s42
	v_lshrrev_b16 v20, 8, v55
	s_mov_b32 s42, exec_lo
	v_cmpx_ne_u16_e32 0, v20
	s_cbranch_execz .LBB323_129
; %bb.122:                              ;   in Loop: Header=BB323_12 Depth=1
	v_bfrev_b32_e32 v52, 1
	s_mov_b32 s43, exec_lo
	v_cmpx_ne_u16_e32 0x80, v20
	s_cbranch_execz .LBB323_128
; %bb.123:                              ;   in Loop: Header=BB323_12 Depth=1
	v_and_b32_e32 v20, 0xffff, v20
	v_mov_b32_e32 v52, 0x7f800001
	s_mov_b32 s44, exec_lo
	s_delay_alu instid0(VALU_DEP_2) | instskip(NEXT) | instid1(VALU_DEP_1)
	v_and_b32_e32 v53, 0x7f, v20
	v_cmpx_ne_u32_e32 0x7f, v53
	s_cbranch_execz .LBB323_127
; %bb.124:                              ;   in Loop: Header=BB323_12 Depth=1
	v_dual_lshrrev_b32 v52, 3, v53 :: v_dual_bitop2_b32 v20, 7, v20 bitop3:0x40
	s_mov_b32 s45, exec_lo
	v_cmpx_gt_u32_e32 8, v53
; %bb.125:                              ;   in Loop: Header=BB323_12 Depth=1
	s_delay_alu instid0(VALU_DEP_2) | instskip(NEXT) | instid1(VALU_DEP_1)
	v_clz_i32_u32_e32 v52, v20
	v_min_u32_e32 v52, 32, v52
	s_delay_alu instid0(VALU_DEP_1) | instskip(SKIP_1) | instid1(VALU_DEP_2)
	v_subrev_nc_u32_e32 v53, 28, v52
	v_sub_nc_u32_e32 v52, 29, v52
	v_lshlrev_b64_e32 v[56:57], v53, v[20:21]
	s_delay_alu instid0(VALU_DEP_1)
	v_and_b32_e32 v20, 7, v56
; %bb.126:                              ;   in Loop: Header=BB323_12 Depth=1
	s_or_b32 exec_lo, exec_lo, s45
	s_delay_alu instid0(VALU_DEP_1) | instskip(SKIP_1) | instid1(VALU_DEP_2)
	v_dual_lshlrev_b32 v53, 16, v55 :: v_dual_lshlrev_b32 v20, 20, v20
	v_lshl_add_u32 v52, v52, 23, 0x3c000000
	v_and_b32_e32 v53, 0x80000000, v53
	s_delay_alu instid0(VALU_DEP_1)
	v_or3_b32 v52, v20, v53, v52
.LBB323_127:                            ;   in Loop: Header=BB323_12 Depth=1
	s_or_b32 exec_lo, exec_lo, s44
.LBB323_128:                            ;   in Loop: Header=BB323_12 Depth=1
	s_delay_alu instid0(SALU_CYCLE_1)
	s_or_b32 exec_lo, exec_lo, s43
.LBB323_129:                            ;   in Loop: Header=BB323_12 Depth=1
	s_delay_alu instid0(SALU_CYCLE_1) | instskip(SKIP_3) | instid1(VALU_DEP_2)
	s_or_b32 exec_lo, exec_lo, s42
	v_dual_mov_b32 v53, 0 :: v_dual_lshrrev_b32 v56, 16, v55
	v_mov_b32_e32 v54, 0
	s_mov_b32 s42, exec_lo
	v_and_b32_e32 v20, 0xff, v56
	s_delay_alu instid0(VALU_DEP_1)
	v_cmpx_ne_u16_e32 0, v20
	s_cbranch_execz .LBB323_137
; %bb.130:                              ;   in Loop: Header=BB323_12 Depth=1
	v_bfrev_b32_e32 v54, 1
	s_mov_b32 s43, exec_lo
	v_cmpx_ne_u16_e32 0x80, v20
	s_cbranch_execz .LBB323_136
; %bb.131:                              ;   in Loop: Header=BB323_12 Depth=1
	v_bfe_u32 v57, v55, 16, 7
	v_mov_b32_e32 v54, 0x7f800001
	s_mov_b32 s44, exec_lo
	s_delay_alu instid0(VALU_DEP_2)
	v_cmpx_ne_u32_e32 0x7f, v57
	s_cbranch_execz .LBB323_135
; %bb.132:                              ;   in Loop: Header=BB323_12 Depth=1
	v_dual_lshrrev_b32 v54, 3, v57 :: v_dual_bitop2_b32 v20, 7, v56 bitop3:0x40
	s_mov_b32 s45, exec_lo
	v_cmpx_gt_u32_e32 8, v57
; %bb.133:                              ;   in Loop: Header=BB323_12 Depth=1
	s_delay_alu instid0(VALU_DEP_2) | instskip(NEXT) | instid1(VALU_DEP_1)
	v_clz_i32_u32_e32 v54, v20
	v_min_u32_e32 v54, 32, v54
	s_delay_alu instid0(VALU_DEP_1) | instskip(SKIP_1) | instid1(VALU_DEP_2)
	v_subrev_nc_u32_e32 v57, 28, v54
	v_sub_nc_u32_e32 v54, 29, v54
	v_lshlrev_b64_e32 v[58:59], v57, v[20:21]
	s_delay_alu instid0(VALU_DEP_1)
	v_and_b32_e32 v20, 7, v58
; %bb.134:                              ;   in Loop: Header=BB323_12 Depth=1
	s_or_b32 exec_lo, exec_lo, s45
	v_lshlrev_b32_e32 v56, 24, v56
	s_delay_alu instid0(VALU_DEP_2) | instskip(SKIP_1) | instid1(VALU_DEP_3)
	v_lshlrev_b32_e32 v20, 20, v20
	v_lshl_add_u32 v54, v54, 23, 0x3c000000
	v_and_b32_e32 v56, 0x80000000, v56
	s_delay_alu instid0(VALU_DEP_1)
	v_or3_b32 v54, v20, v56, v54
.LBB323_135:                            ;   in Loop: Header=BB323_12 Depth=1
	s_or_b32 exec_lo, exec_lo, s44
.LBB323_136:                            ;   in Loop: Header=BB323_12 Depth=1
	s_delay_alu instid0(SALU_CYCLE_1)
	s_or_b32 exec_lo, exec_lo, s43
.LBB323_137:                            ;   in Loop: Header=BB323_12 Depth=1
	s_delay_alu instid0(SALU_CYCLE_1) | instskip(NEXT) | instid1(SALU_CYCLE_1)
	s_or_b32 exec_lo, exec_lo, s42
	s_mov_b32 s42, exec_lo
	v_cmpx_lt_u32_e32 0xffffff, v55
	s_cbranch_execz .LBB323_145
; %bb.138:                              ;   in Loop: Header=BB323_12 Depth=1
	v_lshrrev_b32_e32 v56, 24, v55
	v_bfrev_b32_e32 v53, 1
	s_mov_b32 s43, exec_lo
	s_delay_alu instid0(VALU_DEP_2)
	v_cmpx_ne_u32_e32 0x80, v56
	s_cbranch_execz .LBB323_144
; %bb.139:                              ;   in Loop: Header=BB323_12 Depth=1
	v_bfe_u32 v55, v55, 24, 7
	v_mov_b32_e32 v53, 0x7f800001
	s_mov_b32 s44, exec_lo
	s_delay_alu instid0(VALU_DEP_2)
	v_cmpx_ne_u32_e32 0x7f, v55
	s_cbranch_execz .LBB323_143
; %bb.140:                              ;   in Loop: Header=BB323_12 Depth=1
	v_dual_lshrrev_b32 v53, 3, v55 :: v_dual_bitop2_b32 v20, 7, v56 bitop3:0x40
	s_mov_b32 s45, exec_lo
	v_cmpx_gt_u32_e32 8, v55
; %bb.141:                              ;   in Loop: Header=BB323_12 Depth=1
	s_delay_alu instid0(VALU_DEP_2) | instskip(NEXT) | instid1(VALU_DEP_1)
	v_clz_i32_u32_e32 v53, v20
	v_min_u32_e32 v53, 32, v53
	s_delay_alu instid0(VALU_DEP_1) | instskip(NEXT) | instid1(VALU_DEP_1)
	v_subrev_nc_u32_e32 v55, 28, v53
	v_lshlrev_b64_e32 v[58:59], v55, v[20:21]
	s_delay_alu instid0(VALU_DEP_1)
	v_dual_sub_nc_u32 v53, 29, v53 :: v_dual_bitop2_b32 v20, 7, v58 bitop3:0x40
; %bb.142:                              ;   in Loop: Header=BB323_12 Depth=1
	s_or_b32 exec_lo, exec_lo, s45
	v_lshlrev_b32_e32 v55, 24, v56
	s_delay_alu instid0(VALU_DEP_2) | instskip(NEXT) | instid1(VALU_DEP_3)
	v_lshlrev_b32_e32 v20, 20, v20
	v_lshl_add_u32 v53, v53, 23, 0x3c000000
	s_delay_alu instid0(VALU_DEP_3) | instskip(NEXT) | instid1(VALU_DEP_1)
	v_and_b32_e32 v55, 0x80000000, v55
	v_or3_b32 v53, v20, v55, v53
.LBB323_143:                            ;   in Loop: Header=BB323_12 Depth=1
	s_or_b32 exec_lo, exec_lo, s44
.LBB323_144:                            ;   in Loop: Header=BB323_12 Depth=1
	s_delay_alu instid0(SALU_CYCLE_1)
	s_or_b32 exec_lo, exec_lo, s43
.LBB323_145:                            ;   in Loop: Header=BB323_12 Depth=1
	s_delay_alu instid0(SALU_CYCLE_1)
	s_or_b32 exec_lo, exec_lo, s42
	global_load_b32 v59, v[28:29], off offset:512
	v_dual_mov_b32 v56, 0 :: v_dual_mov_b32 v55, 0
	s_mov_b32 s42, exec_lo
	s_wait_loadcnt 0x0
	v_and_b32_e32 v20, 0xff, v59
	s_delay_alu instid0(VALU_DEP_1)
	v_cmpx_ne_u16_e32 0, v20
	s_cbranch_execz .LBB323_153
; %bb.146:                              ;   in Loop: Header=BB323_12 Depth=1
	v_bfrev_b32_e32 v55, 1
	s_mov_b32 s43, exec_lo
	v_cmpx_ne_u16_e32 0x80, v20
	s_cbranch_execz .LBB323_152
; %bb.147:                              ;   in Loop: Header=BB323_12 Depth=1
	v_and_b32_e32 v57, 0x7f, v59
	v_mov_b32_e32 v55, 0x7f800001
	s_mov_b32 s44, exec_lo
	s_delay_alu instid0(VALU_DEP_2)
	v_cmpx_ne_u32_e32 0x7f, v57
	s_cbranch_execz .LBB323_151
; %bb.148:                              ;   in Loop: Header=BB323_12 Depth=1
	v_dual_lshrrev_b32 v55, 3, v57 :: v_dual_bitop2_b32 v20, 7, v59 bitop3:0x40
	s_mov_b32 s45, exec_lo
	v_cmpx_gt_u32_e32 8, v57
; %bb.149:                              ;   in Loop: Header=BB323_12 Depth=1
	s_delay_alu instid0(VALU_DEP_2) | instskip(NEXT) | instid1(VALU_DEP_1)
	v_clz_i32_u32_e32 v55, v20
	v_min_u32_e32 v55, 32, v55
	s_delay_alu instid0(VALU_DEP_1) | instskip(NEXT) | instid1(VALU_DEP_1)
	v_subrev_nc_u32_e32 v57, 28, v55
	v_lshlrev_b64_e32 v[60:61], v57, v[20:21]
	s_delay_alu instid0(VALU_DEP_1)
	v_dual_sub_nc_u32 v55, 29, v55 :: v_dual_bitop2_b32 v20, 7, v60 bitop3:0x40
; %bb.150:                              ;   in Loop: Header=BB323_12 Depth=1
	s_or_b32 exec_lo, exec_lo, s45
	s_delay_alu instid0(VALU_DEP_1) | instskip(NEXT) | instid1(VALU_DEP_2)
	v_dual_lshlrev_b32 v57, 24, v59 :: v_dual_lshlrev_b32 v20, 20, v20
	v_lshl_add_u32 v55, v55, 23, 0x3c000000
	s_delay_alu instid0(VALU_DEP_2) | instskip(NEXT) | instid1(VALU_DEP_1)
	v_and_b32_e32 v57, 0x80000000, v57
	v_or3_b32 v55, v20, v57, v55
.LBB323_151:                            ;   in Loop: Header=BB323_12 Depth=1
	s_or_b32 exec_lo, exec_lo, s44
.LBB323_152:                            ;   in Loop: Header=BB323_12 Depth=1
	s_delay_alu instid0(SALU_CYCLE_1)
	s_or_b32 exec_lo, exec_lo, s43
.LBB323_153:                            ;   in Loop: Header=BB323_12 Depth=1
	s_delay_alu instid0(SALU_CYCLE_1) | instskip(SKIP_2) | instid1(VALU_DEP_1)
	s_or_b32 exec_lo, exec_lo, s42
	v_lshrrev_b16 v20, 8, v59
	s_mov_b32 s42, exec_lo
	v_cmpx_ne_u16_e32 0, v20
	s_cbranch_execz .LBB323_161
; %bb.154:                              ;   in Loop: Header=BB323_12 Depth=1
	v_bfrev_b32_e32 v56, 1
	s_mov_b32 s43, exec_lo
	v_cmpx_ne_u16_e32 0x80, v20
	s_cbranch_execz .LBB323_160
; %bb.155:                              ;   in Loop: Header=BB323_12 Depth=1
	v_and_b32_e32 v20, 0xffff, v20
	v_mov_b32_e32 v56, 0x7f800001
	s_mov_b32 s44, exec_lo
	s_delay_alu instid0(VALU_DEP_2) | instskip(NEXT) | instid1(VALU_DEP_1)
	v_and_b32_e32 v57, 0x7f, v20
	v_cmpx_ne_u32_e32 0x7f, v57
	s_cbranch_execz .LBB323_159
; %bb.156:                              ;   in Loop: Header=BB323_12 Depth=1
	v_dual_lshrrev_b32 v56, 3, v57 :: v_dual_bitop2_b32 v20, 7, v20 bitop3:0x40
	s_mov_b32 s45, exec_lo
	v_cmpx_gt_u32_e32 8, v57
; %bb.157:                              ;   in Loop: Header=BB323_12 Depth=1
	s_delay_alu instid0(VALU_DEP_2) | instskip(NEXT) | instid1(VALU_DEP_1)
	v_clz_i32_u32_e32 v56, v20
	v_min_u32_e32 v56, 32, v56
	s_delay_alu instid0(VALU_DEP_1) | instskip(SKIP_1) | instid1(VALU_DEP_2)
	v_subrev_nc_u32_e32 v57, 28, v56
	v_sub_nc_u32_e32 v56, 29, v56
	v_lshlrev_b64_e32 v[60:61], v57, v[20:21]
	s_delay_alu instid0(VALU_DEP_1)
	v_and_b32_e32 v20, 7, v60
; %bb.158:                              ;   in Loop: Header=BB323_12 Depth=1
	s_or_b32 exec_lo, exec_lo, s45
	s_delay_alu instid0(VALU_DEP_1) | instskip(SKIP_1) | instid1(VALU_DEP_2)
	v_dual_lshlrev_b32 v57, 16, v59 :: v_dual_lshlrev_b32 v20, 20, v20
	v_lshl_add_u32 v56, v56, 23, 0x3c000000
	v_and_b32_e32 v57, 0x80000000, v57
	s_delay_alu instid0(VALU_DEP_1)
	v_or3_b32 v56, v20, v57, v56
.LBB323_159:                            ;   in Loop: Header=BB323_12 Depth=1
	s_or_b32 exec_lo, exec_lo, s44
.LBB323_160:                            ;   in Loop: Header=BB323_12 Depth=1
	s_delay_alu instid0(SALU_CYCLE_1)
	s_or_b32 exec_lo, exec_lo, s43
.LBB323_161:                            ;   in Loop: Header=BB323_12 Depth=1
	s_delay_alu instid0(SALU_CYCLE_1) | instskip(SKIP_3) | instid1(VALU_DEP_2)
	s_or_b32 exec_lo, exec_lo, s42
	v_dual_mov_b32 v57, 0 :: v_dual_lshrrev_b32 v60, 16, v59
	v_mov_b32_e32 v58, 0
	s_mov_b32 s42, exec_lo
	v_and_b32_e32 v20, 0xff, v60
	s_delay_alu instid0(VALU_DEP_1)
	v_cmpx_ne_u16_e32 0, v20
	s_cbranch_execz .LBB323_169
; %bb.162:                              ;   in Loop: Header=BB323_12 Depth=1
	v_bfrev_b32_e32 v58, 1
	s_mov_b32 s43, exec_lo
	v_cmpx_ne_u16_e32 0x80, v20
	s_cbranch_execz .LBB323_168
; %bb.163:                              ;   in Loop: Header=BB323_12 Depth=1
	v_bfe_u32 v61, v59, 16, 7
	v_mov_b32_e32 v58, 0x7f800001
	s_mov_b32 s44, exec_lo
	s_delay_alu instid0(VALU_DEP_2)
	v_cmpx_ne_u32_e32 0x7f, v61
	s_cbranch_execz .LBB323_167
; %bb.164:                              ;   in Loop: Header=BB323_12 Depth=1
	v_dual_lshrrev_b32 v58, 3, v61 :: v_dual_bitop2_b32 v20, 7, v60 bitop3:0x40
	s_mov_b32 s45, exec_lo
	v_cmpx_gt_u32_e32 8, v61
; %bb.165:                              ;   in Loop: Header=BB323_12 Depth=1
	s_delay_alu instid0(VALU_DEP_2) | instskip(NEXT) | instid1(VALU_DEP_1)
	v_clz_i32_u32_e32 v58, v20
	v_min_u32_e32 v58, 32, v58
	s_delay_alu instid0(VALU_DEP_1) | instskip(SKIP_1) | instid1(VALU_DEP_2)
	v_subrev_nc_u32_e32 v61, 28, v58
	v_sub_nc_u32_e32 v58, 29, v58
	v_lshlrev_b64_e32 v[62:63], v61, v[20:21]
	s_delay_alu instid0(VALU_DEP_1)
	v_and_b32_e32 v20, 7, v62
; %bb.166:                              ;   in Loop: Header=BB323_12 Depth=1
	s_or_b32 exec_lo, exec_lo, s45
	v_lshlrev_b32_e32 v60, 24, v60
	s_delay_alu instid0(VALU_DEP_2) | instskip(SKIP_1) | instid1(VALU_DEP_3)
	v_lshlrev_b32_e32 v20, 20, v20
	v_lshl_add_u32 v58, v58, 23, 0x3c000000
	v_and_b32_e32 v60, 0x80000000, v60
	s_delay_alu instid0(VALU_DEP_1)
	v_or3_b32 v58, v20, v60, v58
.LBB323_167:                            ;   in Loop: Header=BB323_12 Depth=1
	s_or_b32 exec_lo, exec_lo, s44
.LBB323_168:                            ;   in Loop: Header=BB323_12 Depth=1
	s_delay_alu instid0(SALU_CYCLE_1)
	s_or_b32 exec_lo, exec_lo, s43
.LBB323_169:                            ;   in Loop: Header=BB323_12 Depth=1
	s_delay_alu instid0(SALU_CYCLE_1) | instskip(NEXT) | instid1(SALU_CYCLE_1)
	s_or_b32 exec_lo, exec_lo, s42
	s_mov_b32 s42, exec_lo
	v_cmpx_lt_u32_e32 0xffffff, v59
	s_cbranch_execz .LBB323_177
; %bb.170:                              ;   in Loop: Header=BB323_12 Depth=1
	v_lshrrev_b32_e32 v60, 24, v59
	v_bfrev_b32_e32 v57, 1
	s_mov_b32 s43, exec_lo
	s_delay_alu instid0(VALU_DEP_2)
	v_cmpx_ne_u32_e32 0x80, v60
	s_cbranch_execz .LBB323_176
; %bb.171:                              ;   in Loop: Header=BB323_12 Depth=1
	v_bfe_u32 v59, v59, 24, 7
	v_mov_b32_e32 v57, 0x7f800001
	s_mov_b32 s44, exec_lo
	s_delay_alu instid0(VALU_DEP_2)
	v_cmpx_ne_u32_e32 0x7f, v59
	s_cbranch_execz .LBB323_175
; %bb.172:                              ;   in Loop: Header=BB323_12 Depth=1
	v_dual_lshrrev_b32 v57, 3, v59 :: v_dual_bitop2_b32 v20, 7, v60 bitop3:0x40
	s_mov_b32 s45, exec_lo
	v_cmpx_gt_u32_e32 8, v59
; %bb.173:                              ;   in Loop: Header=BB323_12 Depth=1
	s_delay_alu instid0(VALU_DEP_2) | instskip(NEXT) | instid1(VALU_DEP_1)
	v_clz_i32_u32_e32 v57, v20
	v_min_u32_e32 v57, 32, v57
	s_delay_alu instid0(VALU_DEP_1) | instskip(NEXT) | instid1(VALU_DEP_1)
	v_subrev_nc_u32_e32 v59, 28, v57
	v_lshlrev_b64_e32 v[62:63], v59, v[20:21]
	s_delay_alu instid0(VALU_DEP_1)
	v_dual_sub_nc_u32 v57, 29, v57 :: v_dual_bitop2_b32 v20, 7, v62 bitop3:0x40
; %bb.174:                              ;   in Loop: Header=BB323_12 Depth=1
	s_or_b32 exec_lo, exec_lo, s45
	v_lshlrev_b32_e32 v59, 24, v60
	s_delay_alu instid0(VALU_DEP_2) | instskip(NEXT) | instid1(VALU_DEP_3)
	v_lshlrev_b32_e32 v20, 20, v20
	v_lshl_add_u32 v57, v57, 23, 0x3c000000
	s_delay_alu instid0(VALU_DEP_3) | instskip(NEXT) | instid1(VALU_DEP_1)
	v_and_b32_e32 v59, 0x80000000, v59
	v_or3_b32 v57, v20, v59, v57
.LBB323_175:                            ;   in Loop: Header=BB323_12 Depth=1
	s_or_b32 exec_lo, exec_lo, s44
.LBB323_176:                            ;   in Loop: Header=BB323_12 Depth=1
	s_delay_alu instid0(SALU_CYCLE_1)
	s_or_b32 exec_lo, exec_lo, s43
.LBB323_177:                            ;   in Loop: Header=BB323_12 Depth=1
	s_delay_alu instid0(SALU_CYCLE_1)
	s_or_b32 exec_lo, exec_lo, s42
	global_load_b32 v63, v[28:29], off offset:520
	v_dual_mov_b32 v60, 0 :: v_dual_mov_b32 v59, 0
	s_mov_b32 s42, exec_lo
	s_wait_loadcnt 0x0
	v_and_b32_e32 v20, 0xff, v63
	s_delay_alu instid0(VALU_DEP_1)
	v_cmpx_ne_u16_e32 0, v20
	s_cbranch_execz .LBB323_185
; %bb.178:                              ;   in Loop: Header=BB323_12 Depth=1
	v_bfrev_b32_e32 v59, 1
	s_mov_b32 s43, exec_lo
	v_cmpx_ne_u16_e32 0x80, v20
	s_cbranch_execz .LBB323_184
; %bb.179:                              ;   in Loop: Header=BB323_12 Depth=1
	v_and_b32_e32 v61, 0x7f, v63
	v_mov_b32_e32 v59, 0x7f800001
	s_mov_b32 s44, exec_lo
	s_delay_alu instid0(VALU_DEP_2)
	v_cmpx_ne_u32_e32 0x7f, v61
	s_cbranch_execz .LBB323_183
; %bb.180:                              ;   in Loop: Header=BB323_12 Depth=1
	v_dual_lshrrev_b32 v59, 3, v61 :: v_dual_bitop2_b32 v20, 7, v63 bitop3:0x40
	s_mov_b32 s45, exec_lo
	v_cmpx_gt_u32_e32 8, v61
; %bb.181:                              ;   in Loop: Header=BB323_12 Depth=1
	s_delay_alu instid0(VALU_DEP_2) | instskip(NEXT) | instid1(VALU_DEP_1)
	v_clz_i32_u32_e32 v59, v20
	v_min_u32_e32 v59, 32, v59
	s_delay_alu instid0(VALU_DEP_1) | instskip(NEXT) | instid1(VALU_DEP_1)
	v_subrev_nc_u32_e32 v61, 28, v59
	v_lshlrev_b64_e32 v[64:65], v61, v[20:21]
	s_delay_alu instid0(VALU_DEP_1)
	v_dual_sub_nc_u32 v59, 29, v59 :: v_dual_bitop2_b32 v20, 7, v64 bitop3:0x40
; %bb.182:                              ;   in Loop: Header=BB323_12 Depth=1
	s_or_b32 exec_lo, exec_lo, s45
	s_delay_alu instid0(VALU_DEP_1) | instskip(NEXT) | instid1(VALU_DEP_2)
	v_dual_lshlrev_b32 v61, 24, v63 :: v_dual_lshlrev_b32 v20, 20, v20
	v_lshl_add_u32 v59, v59, 23, 0x3c000000
	s_delay_alu instid0(VALU_DEP_2) | instskip(NEXT) | instid1(VALU_DEP_1)
	v_and_b32_e32 v61, 0x80000000, v61
	v_or3_b32 v59, v20, v61, v59
.LBB323_183:                            ;   in Loop: Header=BB323_12 Depth=1
	s_or_b32 exec_lo, exec_lo, s44
.LBB323_184:                            ;   in Loop: Header=BB323_12 Depth=1
	s_delay_alu instid0(SALU_CYCLE_1)
	s_or_b32 exec_lo, exec_lo, s43
.LBB323_185:                            ;   in Loop: Header=BB323_12 Depth=1
	s_delay_alu instid0(SALU_CYCLE_1) | instskip(SKIP_2) | instid1(VALU_DEP_1)
	s_or_b32 exec_lo, exec_lo, s42
	v_lshrrev_b16 v20, 8, v63
	s_mov_b32 s42, exec_lo
	v_cmpx_ne_u16_e32 0, v20
	s_cbranch_execz .LBB323_193
; %bb.186:                              ;   in Loop: Header=BB323_12 Depth=1
	v_bfrev_b32_e32 v60, 1
	s_mov_b32 s43, exec_lo
	v_cmpx_ne_u16_e32 0x80, v20
	s_cbranch_execz .LBB323_192
; %bb.187:                              ;   in Loop: Header=BB323_12 Depth=1
	v_and_b32_e32 v20, 0xffff, v20
	v_mov_b32_e32 v60, 0x7f800001
	s_mov_b32 s44, exec_lo
	s_delay_alu instid0(VALU_DEP_2) | instskip(NEXT) | instid1(VALU_DEP_1)
	v_and_b32_e32 v61, 0x7f, v20
	v_cmpx_ne_u32_e32 0x7f, v61
	s_cbranch_execz .LBB323_191
; %bb.188:                              ;   in Loop: Header=BB323_12 Depth=1
	v_dual_lshrrev_b32 v60, 3, v61 :: v_dual_bitop2_b32 v20, 7, v20 bitop3:0x40
	s_mov_b32 s45, exec_lo
	v_cmpx_gt_u32_e32 8, v61
; %bb.189:                              ;   in Loop: Header=BB323_12 Depth=1
	s_delay_alu instid0(VALU_DEP_2) | instskip(NEXT) | instid1(VALU_DEP_1)
	v_clz_i32_u32_e32 v60, v20
	v_min_u32_e32 v60, 32, v60
	s_delay_alu instid0(VALU_DEP_1) | instskip(SKIP_1) | instid1(VALU_DEP_2)
	v_subrev_nc_u32_e32 v61, 28, v60
	v_sub_nc_u32_e32 v60, 29, v60
	v_lshlrev_b64_e32 v[64:65], v61, v[20:21]
	s_delay_alu instid0(VALU_DEP_1)
	v_and_b32_e32 v20, 7, v64
; %bb.190:                              ;   in Loop: Header=BB323_12 Depth=1
	s_or_b32 exec_lo, exec_lo, s45
	s_delay_alu instid0(VALU_DEP_1) | instskip(SKIP_1) | instid1(VALU_DEP_2)
	v_dual_lshlrev_b32 v61, 16, v63 :: v_dual_lshlrev_b32 v20, 20, v20
	v_lshl_add_u32 v60, v60, 23, 0x3c000000
	v_and_b32_e32 v61, 0x80000000, v61
	s_delay_alu instid0(VALU_DEP_1)
	v_or3_b32 v60, v20, v61, v60
.LBB323_191:                            ;   in Loop: Header=BB323_12 Depth=1
	s_or_b32 exec_lo, exec_lo, s44
.LBB323_192:                            ;   in Loop: Header=BB323_12 Depth=1
	s_delay_alu instid0(SALU_CYCLE_1)
	s_or_b32 exec_lo, exec_lo, s43
.LBB323_193:                            ;   in Loop: Header=BB323_12 Depth=1
	s_delay_alu instid0(SALU_CYCLE_1) | instskip(SKIP_3) | instid1(VALU_DEP_2)
	s_or_b32 exec_lo, exec_lo, s42
	v_dual_mov_b32 v61, 0 :: v_dual_lshrrev_b32 v64, 16, v63
	v_mov_b32_e32 v62, 0
	s_mov_b32 s42, exec_lo
	v_and_b32_e32 v20, 0xff, v64
	s_delay_alu instid0(VALU_DEP_1)
	v_cmpx_ne_u16_e32 0, v20
	s_cbranch_execz .LBB323_201
; %bb.194:                              ;   in Loop: Header=BB323_12 Depth=1
	v_bfrev_b32_e32 v62, 1
	s_mov_b32 s43, exec_lo
	v_cmpx_ne_u16_e32 0x80, v20
	s_cbranch_execz .LBB323_200
; %bb.195:                              ;   in Loop: Header=BB323_12 Depth=1
	v_bfe_u32 v65, v63, 16, 7
	v_mov_b32_e32 v62, 0x7f800001
	s_mov_b32 s44, exec_lo
	s_delay_alu instid0(VALU_DEP_2)
	v_cmpx_ne_u32_e32 0x7f, v65
	s_cbranch_execz .LBB323_199
; %bb.196:                              ;   in Loop: Header=BB323_12 Depth=1
	v_dual_lshrrev_b32 v62, 3, v65 :: v_dual_bitop2_b32 v20, 7, v64 bitop3:0x40
	s_mov_b32 s45, exec_lo
	v_cmpx_gt_u32_e32 8, v65
; %bb.197:                              ;   in Loop: Header=BB323_12 Depth=1
	s_delay_alu instid0(VALU_DEP_2) | instskip(NEXT) | instid1(VALU_DEP_1)
	v_clz_i32_u32_e32 v62, v20
	v_min_u32_e32 v62, 32, v62
	s_delay_alu instid0(VALU_DEP_1) | instskip(SKIP_1) | instid1(VALU_DEP_2)
	v_subrev_nc_u32_e32 v65, 28, v62
	v_sub_nc_u32_e32 v62, 29, v62
	v_lshlrev_b64_e32 v[66:67], v65, v[20:21]
	s_delay_alu instid0(VALU_DEP_1)
	v_and_b32_e32 v20, 7, v66
; %bb.198:                              ;   in Loop: Header=BB323_12 Depth=1
	s_or_b32 exec_lo, exec_lo, s45
	v_lshlrev_b32_e32 v64, 24, v64
	s_delay_alu instid0(VALU_DEP_2) | instskip(SKIP_1) | instid1(VALU_DEP_3)
	v_lshlrev_b32_e32 v20, 20, v20
	v_lshl_add_u32 v62, v62, 23, 0x3c000000
	v_and_b32_e32 v64, 0x80000000, v64
	s_delay_alu instid0(VALU_DEP_1)
	v_or3_b32 v62, v20, v64, v62
.LBB323_199:                            ;   in Loop: Header=BB323_12 Depth=1
	s_or_b32 exec_lo, exec_lo, s44
.LBB323_200:                            ;   in Loop: Header=BB323_12 Depth=1
	s_delay_alu instid0(SALU_CYCLE_1)
	s_or_b32 exec_lo, exec_lo, s43
.LBB323_201:                            ;   in Loop: Header=BB323_12 Depth=1
	s_delay_alu instid0(SALU_CYCLE_1) | instskip(NEXT) | instid1(SALU_CYCLE_1)
	s_or_b32 exec_lo, exec_lo, s42
	s_mov_b32 s42, exec_lo
	v_cmpx_lt_u32_e32 0xffffff, v63
	s_cbranch_execz .LBB323_209
; %bb.202:                              ;   in Loop: Header=BB323_12 Depth=1
	v_lshrrev_b32_e32 v64, 24, v63
	v_bfrev_b32_e32 v61, 1
	s_mov_b32 s43, exec_lo
	s_delay_alu instid0(VALU_DEP_2)
	v_cmpx_ne_u32_e32 0x80, v64
	s_cbranch_execz .LBB323_208
; %bb.203:                              ;   in Loop: Header=BB323_12 Depth=1
	v_bfe_u32 v63, v63, 24, 7
	v_mov_b32_e32 v61, 0x7f800001
	s_mov_b32 s44, exec_lo
	s_delay_alu instid0(VALU_DEP_2)
	v_cmpx_ne_u32_e32 0x7f, v63
	s_cbranch_execz .LBB323_207
; %bb.204:                              ;   in Loop: Header=BB323_12 Depth=1
	v_dual_lshrrev_b32 v61, 3, v63 :: v_dual_bitop2_b32 v20, 7, v64 bitop3:0x40
	s_mov_b32 s45, exec_lo
	v_cmpx_gt_u32_e32 8, v63
; %bb.205:                              ;   in Loop: Header=BB323_12 Depth=1
	s_delay_alu instid0(VALU_DEP_2) | instskip(NEXT) | instid1(VALU_DEP_1)
	v_clz_i32_u32_e32 v61, v20
	v_min_u32_e32 v61, 32, v61
	s_delay_alu instid0(VALU_DEP_1) | instskip(NEXT) | instid1(VALU_DEP_1)
	v_subrev_nc_u32_e32 v63, 28, v61
	v_lshlrev_b64_e32 v[66:67], v63, v[20:21]
	s_delay_alu instid0(VALU_DEP_1)
	v_dual_sub_nc_u32 v61, 29, v61 :: v_dual_bitop2_b32 v20, 7, v66 bitop3:0x40
; %bb.206:                              ;   in Loop: Header=BB323_12 Depth=1
	s_or_b32 exec_lo, exec_lo, s45
	v_lshlrev_b32_e32 v63, 24, v64
	s_delay_alu instid0(VALU_DEP_2) | instskip(NEXT) | instid1(VALU_DEP_3)
	v_lshlrev_b32_e32 v20, 20, v20
	v_lshl_add_u32 v61, v61, 23, 0x3c000000
	s_delay_alu instid0(VALU_DEP_3) | instskip(NEXT) | instid1(VALU_DEP_1)
	v_and_b32_e32 v63, 0x80000000, v63
	v_or3_b32 v61, v20, v63, v61
.LBB323_207:                            ;   in Loop: Header=BB323_12 Depth=1
	s_or_b32 exec_lo, exec_lo, s44
.LBB323_208:                            ;   in Loop: Header=BB323_12 Depth=1
	s_delay_alu instid0(SALU_CYCLE_1)
	s_or_b32 exec_lo, exec_lo, s43
.LBB323_209:                            ;   in Loop: Header=BB323_12 Depth=1
	s_delay_alu instid0(SALU_CYCLE_1)
	s_or_b32 exec_lo, exec_lo, s42
	global_load_b32 v67, v[28:29], off offset:768
	v_dual_mov_b32 v64, 0 :: v_dual_mov_b32 v63, 0
	s_mov_b32 s42, exec_lo
	s_wait_loadcnt 0x0
	v_and_b32_e32 v20, 0xff, v67
	s_delay_alu instid0(VALU_DEP_1)
	v_cmpx_ne_u16_e32 0, v20
	s_cbranch_execz .LBB323_217
; %bb.210:                              ;   in Loop: Header=BB323_12 Depth=1
	v_bfrev_b32_e32 v63, 1
	s_mov_b32 s43, exec_lo
	v_cmpx_ne_u16_e32 0x80, v20
	s_cbranch_execz .LBB323_216
; %bb.211:                              ;   in Loop: Header=BB323_12 Depth=1
	v_and_b32_e32 v65, 0x7f, v67
	v_mov_b32_e32 v63, 0x7f800001
	s_mov_b32 s44, exec_lo
	s_delay_alu instid0(VALU_DEP_2)
	v_cmpx_ne_u32_e32 0x7f, v65
	s_cbranch_execz .LBB323_215
; %bb.212:                              ;   in Loop: Header=BB323_12 Depth=1
	v_dual_lshrrev_b32 v63, 3, v65 :: v_dual_bitop2_b32 v20, 7, v67 bitop3:0x40
	s_mov_b32 s45, exec_lo
	v_cmpx_gt_u32_e32 8, v65
; %bb.213:                              ;   in Loop: Header=BB323_12 Depth=1
	s_delay_alu instid0(VALU_DEP_2) | instskip(NEXT) | instid1(VALU_DEP_1)
	v_clz_i32_u32_e32 v63, v20
	v_min_u32_e32 v63, 32, v63
	s_delay_alu instid0(VALU_DEP_1) | instskip(NEXT) | instid1(VALU_DEP_1)
	v_subrev_nc_u32_e32 v65, 28, v63
	v_lshlrev_b64_e32 v[68:69], v65, v[20:21]
	s_delay_alu instid0(VALU_DEP_1)
	v_dual_sub_nc_u32 v63, 29, v63 :: v_dual_bitop2_b32 v20, 7, v68 bitop3:0x40
; %bb.214:                              ;   in Loop: Header=BB323_12 Depth=1
	s_or_b32 exec_lo, exec_lo, s45
	s_delay_alu instid0(VALU_DEP_1) | instskip(NEXT) | instid1(VALU_DEP_2)
	v_dual_lshlrev_b32 v65, 24, v67 :: v_dual_lshlrev_b32 v20, 20, v20
	v_lshl_add_u32 v63, v63, 23, 0x3c000000
	s_delay_alu instid0(VALU_DEP_2) | instskip(NEXT) | instid1(VALU_DEP_1)
	v_and_b32_e32 v65, 0x80000000, v65
	v_or3_b32 v63, v20, v65, v63
.LBB323_215:                            ;   in Loop: Header=BB323_12 Depth=1
	s_or_b32 exec_lo, exec_lo, s44
.LBB323_216:                            ;   in Loop: Header=BB323_12 Depth=1
	s_delay_alu instid0(SALU_CYCLE_1)
	s_or_b32 exec_lo, exec_lo, s43
.LBB323_217:                            ;   in Loop: Header=BB323_12 Depth=1
	s_delay_alu instid0(SALU_CYCLE_1) | instskip(SKIP_2) | instid1(VALU_DEP_1)
	s_or_b32 exec_lo, exec_lo, s42
	v_lshrrev_b16 v20, 8, v67
	s_mov_b32 s42, exec_lo
	v_cmpx_ne_u16_e32 0, v20
	s_cbranch_execz .LBB323_225
; %bb.218:                              ;   in Loop: Header=BB323_12 Depth=1
	v_bfrev_b32_e32 v64, 1
	s_mov_b32 s43, exec_lo
	v_cmpx_ne_u16_e32 0x80, v20
	s_cbranch_execz .LBB323_224
; %bb.219:                              ;   in Loop: Header=BB323_12 Depth=1
	v_and_b32_e32 v20, 0xffff, v20
	v_mov_b32_e32 v64, 0x7f800001
	s_mov_b32 s44, exec_lo
	s_delay_alu instid0(VALU_DEP_2) | instskip(NEXT) | instid1(VALU_DEP_1)
	v_and_b32_e32 v65, 0x7f, v20
	v_cmpx_ne_u32_e32 0x7f, v65
	s_cbranch_execz .LBB323_223
; %bb.220:                              ;   in Loop: Header=BB323_12 Depth=1
	v_dual_lshrrev_b32 v64, 3, v65 :: v_dual_bitop2_b32 v20, 7, v20 bitop3:0x40
	s_mov_b32 s45, exec_lo
	v_cmpx_gt_u32_e32 8, v65
; %bb.221:                              ;   in Loop: Header=BB323_12 Depth=1
	s_delay_alu instid0(VALU_DEP_2) | instskip(NEXT) | instid1(VALU_DEP_1)
	v_clz_i32_u32_e32 v64, v20
	v_min_u32_e32 v64, 32, v64
	s_delay_alu instid0(VALU_DEP_1) | instskip(SKIP_1) | instid1(VALU_DEP_2)
	v_subrev_nc_u32_e32 v65, 28, v64
	v_sub_nc_u32_e32 v64, 29, v64
	v_lshlrev_b64_e32 v[68:69], v65, v[20:21]
	s_delay_alu instid0(VALU_DEP_1)
	v_and_b32_e32 v20, 7, v68
; %bb.222:                              ;   in Loop: Header=BB323_12 Depth=1
	s_or_b32 exec_lo, exec_lo, s45
	s_delay_alu instid0(VALU_DEP_1) | instskip(SKIP_1) | instid1(VALU_DEP_2)
	v_dual_lshlrev_b32 v65, 16, v67 :: v_dual_lshlrev_b32 v20, 20, v20
	v_lshl_add_u32 v64, v64, 23, 0x3c000000
	v_and_b32_e32 v65, 0x80000000, v65
	s_delay_alu instid0(VALU_DEP_1)
	v_or3_b32 v64, v20, v65, v64
.LBB323_223:                            ;   in Loop: Header=BB323_12 Depth=1
	s_or_b32 exec_lo, exec_lo, s44
.LBB323_224:                            ;   in Loop: Header=BB323_12 Depth=1
	s_delay_alu instid0(SALU_CYCLE_1)
	s_or_b32 exec_lo, exec_lo, s43
.LBB323_225:                            ;   in Loop: Header=BB323_12 Depth=1
	s_delay_alu instid0(SALU_CYCLE_1) | instskip(SKIP_3) | instid1(VALU_DEP_2)
	s_or_b32 exec_lo, exec_lo, s42
	v_dual_mov_b32 v65, 0 :: v_dual_lshrrev_b32 v68, 16, v67
	v_mov_b32_e32 v66, 0
	s_mov_b32 s42, exec_lo
	v_and_b32_e32 v20, 0xff, v68
	s_delay_alu instid0(VALU_DEP_1)
	v_cmpx_ne_u16_e32 0, v20
	s_cbranch_execz .LBB323_233
; %bb.226:                              ;   in Loop: Header=BB323_12 Depth=1
	v_bfrev_b32_e32 v66, 1
	s_mov_b32 s43, exec_lo
	v_cmpx_ne_u16_e32 0x80, v20
	s_cbranch_execz .LBB323_232
; %bb.227:                              ;   in Loop: Header=BB323_12 Depth=1
	v_bfe_u32 v69, v67, 16, 7
	v_mov_b32_e32 v66, 0x7f800001
	s_mov_b32 s44, exec_lo
	s_delay_alu instid0(VALU_DEP_2)
	v_cmpx_ne_u32_e32 0x7f, v69
	s_cbranch_execz .LBB323_231
; %bb.228:                              ;   in Loop: Header=BB323_12 Depth=1
	v_dual_lshrrev_b32 v66, 3, v69 :: v_dual_bitop2_b32 v20, 7, v68 bitop3:0x40
	s_mov_b32 s45, exec_lo
	v_cmpx_gt_u32_e32 8, v69
; %bb.229:                              ;   in Loop: Header=BB323_12 Depth=1
	s_delay_alu instid0(VALU_DEP_2) | instskip(NEXT) | instid1(VALU_DEP_1)
	v_clz_i32_u32_e32 v66, v20
	v_min_u32_e32 v66, 32, v66
	s_delay_alu instid0(VALU_DEP_1) | instskip(SKIP_1) | instid1(VALU_DEP_2)
	v_subrev_nc_u32_e32 v69, 28, v66
	v_sub_nc_u32_e32 v66, 29, v66
	v_lshlrev_b64_e32 v[70:71], v69, v[20:21]
	s_delay_alu instid0(VALU_DEP_1)
	v_and_b32_e32 v20, 7, v70
; %bb.230:                              ;   in Loop: Header=BB323_12 Depth=1
	s_or_b32 exec_lo, exec_lo, s45
	v_lshlrev_b32_e32 v68, 24, v68
	s_delay_alu instid0(VALU_DEP_2) | instskip(SKIP_1) | instid1(VALU_DEP_3)
	v_lshlrev_b32_e32 v20, 20, v20
	v_lshl_add_u32 v66, v66, 23, 0x3c000000
	v_and_b32_e32 v68, 0x80000000, v68
	s_delay_alu instid0(VALU_DEP_1)
	v_or3_b32 v66, v20, v68, v66
.LBB323_231:                            ;   in Loop: Header=BB323_12 Depth=1
	s_or_b32 exec_lo, exec_lo, s44
.LBB323_232:                            ;   in Loop: Header=BB323_12 Depth=1
	s_delay_alu instid0(SALU_CYCLE_1)
	s_or_b32 exec_lo, exec_lo, s43
.LBB323_233:                            ;   in Loop: Header=BB323_12 Depth=1
	s_delay_alu instid0(SALU_CYCLE_1) | instskip(NEXT) | instid1(SALU_CYCLE_1)
	s_or_b32 exec_lo, exec_lo, s42
	s_mov_b32 s42, exec_lo
	v_cmpx_lt_u32_e32 0xffffff, v67
	s_cbranch_execz .LBB323_241
; %bb.234:                              ;   in Loop: Header=BB323_12 Depth=1
	v_lshrrev_b32_e32 v68, 24, v67
	v_bfrev_b32_e32 v65, 1
	s_mov_b32 s43, exec_lo
	s_delay_alu instid0(VALU_DEP_2)
	v_cmpx_ne_u32_e32 0x80, v68
	s_cbranch_execz .LBB323_240
; %bb.235:                              ;   in Loop: Header=BB323_12 Depth=1
	v_bfe_u32 v67, v67, 24, 7
	v_mov_b32_e32 v65, 0x7f800001
	s_mov_b32 s44, exec_lo
	s_delay_alu instid0(VALU_DEP_2)
	v_cmpx_ne_u32_e32 0x7f, v67
	s_cbranch_execz .LBB323_239
; %bb.236:                              ;   in Loop: Header=BB323_12 Depth=1
	v_dual_lshrrev_b32 v65, 3, v67 :: v_dual_bitop2_b32 v20, 7, v68 bitop3:0x40
	s_mov_b32 s45, exec_lo
	v_cmpx_gt_u32_e32 8, v67
; %bb.237:                              ;   in Loop: Header=BB323_12 Depth=1
	s_delay_alu instid0(VALU_DEP_2) | instskip(NEXT) | instid1(VALU_DEP_1)
	v_clz_i32_u32_e32 v65, v20
	v_min_u32_e32 v65, 32, v65
	s_delay_alu instid0(VALU_DEP_1) | instskip(NEXT) | instid1(VALU_DEP_1)
	v_subrev_nc_u32_e32 v67, 28, v65
	v_lshlrev_b64_e32 v[70:71], v67, v[20:21]
	s_delay_alu instid0(VALU_DEP_1)
	v_dual_sub_nc_u32 v65, 29, v65 :: v_dual_bitop2_b32 v20, 7, v70 bitop3:0x40
; %bb.238:                              ;   in Loop: Header=BB323_12 Depth=1
	s_or_b32 exec_lo, exec_lo, s45
	v_lshlrev_b32_e32 v67, 24, v68
	s_delay_alu instid0(VALU_DEP_2) | instskip(NEXT) | instid1(VALU_DEP_3)
	v_lshlrev_b32_e32 v20, 20, v20
	v_lshl_add_u32 v65, v65, 23, 0x3c000000
	s_delay_alu instid0(VALU_DEP_3) | instskip(NEXT) | instid1(VALU_DEP_1)
	v_and_b32_e32 v67, 0x80000000, v67
	v_or3_b32 v65, v20, v67, v65
.LBB323_239:                            ;   in Loop: Header=BB323_12 Depth=1
	s_or_b32 exec_lo, exec_lo, s44
.LBB323_240:                            ;   in Loop: Header=BB323_12 Depth=1
	s_delay_alu instid0(SALU_CYCLE_1)
	s_or_b32 exec_lo, exec_lo, s43
.LBB323_241:                            ;   in Loop: Header=BB323_12 Depth=1
	s_delay_alu instid0(SALU_CYCLE_1)
	s_or_b32 exec_lo, exec_lo, s42
	global_load_b32 v67, v[28:29], off offset:776
	s_wait_xcnt 0x0
	v_dual_mov_b32 v29, 0 :: v_dual_mov_b32 v28, 0
	s_mov_b32 s42, exec_lo
	s_wait_loadcnt 0x0
	v_and_b32_e32 v20, 0xff, v67
	s_delay_alu instid0(VALU_DEP_1)
	v_cmpx_ne_u16_e32 0, v20
	s_cbranch_execz .LBB323_249
; %bb.242:                              ;   in Loop: Header=BB323_12 Depth=1
	v_bfrev_b32_e32 v28, 1
	s_mov_b32 s43, exec_lo
	v_cmpx_ne_u16_e32 0x80, v20
	s_cbranch_execz .LBB323_248
; %bb.243:                              ;   in Loop: Header=BB323_12 Depth=1
	v_and_b32_e32 v68, 0x7f, v67
	v_mov_b32_e32 v28, 0x7f800001
	s_mov_b32 s44, exec_lo
	s_delay_alu instid0(VALU_DEP_2)
	v_cmpx_ne_u32_e32 0x7f, v68
	s_cbranch_execz .LBB323_247
; %bb.244:                              ;   in Loop: Header=BB323_12 Depth=1
	v_dual_lshrrev_b32 v28, 3, v68 :: v_dual_bitop2_b32 v20, 7, v67 bitop3:0x40
	s_mov_b32 s45, exec_lo
	v_cmpx_gt_u32_e32 8, v68
; %bb.245:                              ;   in Loop: Header=BB323_12 Depth=1
	s_delay_alu instid0(VALU_DEP_2) | instskip(NEXT) | instid1(VALU_DEP_1)
	v_clz_i32_u32_e32 v28, v20
	v_min_u32_e32 v28, 32, v28
	s_delay_alu instid0(VALU_DEP_1) | instskip(SKIP_1) | instid1(VALU_DEP_2)
	v_subrev_nc_u32_e32 v68, 28, v28
	v_sub_nc_u32_e32 v28, 29, v28
	v_lshlrev_b64_e32 v[68:69], v68, v[20:21]
	s_delay_alu instid0(VALU_DEP_1)
	v_and_b32_e32 v20, 7, v68
; %bb.246:                              ;   in Loop: Header=BB323_12 Depth=1
	s_or_b32 exec_lo, exec_lo, s45
	s_delay_alu instid0(VALU_DEP_1) | instskip(SKIP_1) | instid1(VALU_DEP_2)
	v_dual_lshlrev_b32 v68, 24, v67 :: v_dual_lshlrev_b32 v20, 20, v20
	v_lshl_add_u32 v28, v28, 23, 0x3c000000
	v_and_b32_e32 v68, 0x80000000, v68
	s_delay_alu instid0(VALU_DEP_1)
	v_or3_b32 v28, v20, v68, v28
.LBB323_247:                            ;   in Loop: Header=BB323_12 Depth=1
	s_or_b32 exec_lo, exec_lo, s44
.LBB323_248:                            ;   in Loop: Header=BB323_12 Depth=1
	s_delay_alu instid0(SALU_CYCLE_1)
	s_or_b32 exec_lo, exec_lo, s43
.LBB323_249:                            ;   in Loop: Header=BB323_12 Depth=1
	s_delay_alu instid0(SALU_CYCLE_1) | instskip(SKIP_2) | instid1(VALU_DEP_1)
	s_or_b32 exec_lo, exec_lo, s42
	v_lshrrev_b16 v20, 8, v67
	s_mov_b32 s42, exec_lo
	v_cmpx_ne_u16_e32 0, v20
	s_cbranch_execz .LBB323_257
; %bb.250:                              ;   in Loop: Header=BB323_12 Depth=1
	v_bfrev_b32_e32 v29, 1
	s_mov_b32 s43, exec_lo
	v_cmpx_ne_u16_e32 0x80, v20
	s_cbranch_execz .LBB323_256
; %bb.251:                              ;   in Loop: Header=BB323_12 Depth=1
	v_and_b32_e32 v20, 0xffff, v20
	v_mov_b32_e32 v29, 0x7f800001
	s_mov_b32 s44, exec_lo
	s_delay_alu instid0(VALU_DEP_2) | instskip(NEXT) | instid1(VALU_DEP_1)
	v_and_b32_e32 v68, 0x7f, v20
	v_cmpx_ne_u32_e32 0x7f, v68
	s_cbranch_execz .LBB323_255
; %bb.252:                              ;   in Loop: Header=BB323_12 Depth=1
	v_and_b32_e32 v20, 7, v20
	v_lshrrev_b32_e32 v29, 3, v68
	s_mov_b32 s45, exec_lo
	v_cmpx_gt_u32_e32 8, v68
; %bb.253:                              ;   in Loop: Header=BB323_12 Depth=1
	s_delay_alu instid0(VALU_DEP_3) | instskip(NEXT) | instid1(VALU_DEP_1)
	v_clz_i32_u32_e32 v29, v20
	v_min_u32_e32 v29, 32, v29
	s_delay_alu instid0(VALU_DEP_1) | instskip(NEXT) | instid1(VALU_DEP_1)
	v_subrev_nc_u32_e32 v68, 28, v29
	v_lshlrev_b64_e32 v[68:69], v68, v[20:21]
	s_delay_alu instid0(VALU_DEP_1)
	v_dual_sub_nc_u32 v29, 29, v29 :: v_dual_bitop2_b32 v20, 7, v68 bitop3:0x40
; %bb.254:                              ;   in Loop: Header=BB323_12 Depth=1
	s_or_b32 exec_lo, exec_lo, s45
	s_delay_alu instid0(VALU_DEP_1) | instskip(NEXT) | instid1(VALU_DEP_2)
	v_dual_lshlrev_b32 v68, 16, v67 :: v_dual_lshlrev_b32 v20, 20, v20
	v_lshl_add_u32 v29, v29, 23, 0x3c000000
	s_delay_alu instid0(VALU_DEP_2) | instskip(NEXT) | instid1(VALU_DEP_1)
	v_and_b32_e32 v68, 0x80000000, v68
	v_or3_b32 v29, v20, v68, v29
.LBB323_255:                            ;   in Loop: Header=BB323_12 Depth=1
	s_or_b32 exec_lo, exec_lo, s44
.LBB323_256:                            ;   in Loop: Header=BB323_12 Depth=1
	s_delay_alu instid0(SALU_CYCLE_1)
	s_or_b32 exec_lo, exec_lo, s43
.LBB323_257:                            ;   in Loop: Header=BB323_12 Depth=1
	s_delay_alu instid0(SALU_CYCLE_1) | instskip(SKIP_3) | instid1(VALU_DEP_2)
	s_or_b32 exec_lo, exec_lo, s42
	v_dual_lshrrev_b32 v70, 16, v67 :: v_dual_mov_b32 v68, 0
	v_mov_b32_e32 v69, 0
	s_mov_b32 s42, exec_lo
	v_and_b32_e32 v20, 0xff, v70
	s_delay_alu instid0(VALU_DEP_1)
	v_cmpx_ne_u16_e32 0, v20
	s_cbranch_execz .LBB323_265
; %bb.258:                              ;   in Loop: Header=BB323_12 Depth=1
	v_bfrev_b32_e32 v69, 1
	s_mov_b32 s43, exec_lo
	v_cmpx_ne_u16_e32 0x80, v20
	s_cbranch_execz .LBB323_264
; %bb.259:                              ;   in Loop: Header=BB323_12 Depth=1
	v_bfe_u32 v71, v67, 16, 7
	v_mov_b32_e32 v69, 0x7f800001
	s_mov_b32 s44, exec_lo
	s_delay_alu instid0(VALU_DEP_2)
	v_cmpx_ne_u32_e32 0x7f, v71
	s_cbranch_execz .LBB323_263
; %bb.260:                              ;   in Loop: Header=BB323_12 Depth=1
	v_dual_lshrrev_b32 v69, 3, v71 :: v_dual_bitop2_b32 v20, 7, v70 bitop3:0x40
	s_mov_b32 s45, exec_lo
	v_cmpx_gt_u32_e32 8, v71
; %bb.261:                              ;   in Loop: Header=BB323_12 Depth=1
	s_delay_alu instid0(VALU_DEP_2) | instskip(NEXT) | instid1(VALU_DEP_1)
	v_clz_i32_u32_e32 v69, v20
	v_min_u32_e32 v69, 32, v69
	s_delay_alu instid0(VALU_DEP_1) | instskip(NEXT) | instid1(VALU_DEP_1)
	v_subrev_nc_u32_e32 v71, 28, v69
	v_lshlrev_b64_e32 v[72:73], v71, v[20:21]
	s_delay_alu instid0(VALU_DEP_1)
	v_dual_sub_nc_u32 v69, 29, v69 :: v_dual_bitop2_b32 v20, 7, v72 bitop3:0x40
; %bb.262:                              ;   in Loop: Header=BB323_12 Depth=1
	s_or_b32 exec_lo, exec_lo, s45
	s_delay_alu instid0(VALU_DEP_1) | instskip(NEXT) | instid1(VALU_DEP_2)
	v_dual_lshlrev_b32 v70, 24, v70 :: v_dual_lshlrev_b32 v20, 20, v20
	v_lshl_add_u32 v69, v69, 23, 0x3c000000
	s_delay_alu instid0(VALU_DEP_2) | instskip(NEXT) | instid1(VALU_DEP_1)
	v_and_b32_e32 v70, 0x80000000, v70
	v_or3_b32 v69, v20, v70, v69
.LBB323_263:                            ;   in Loop: Header=BB323_12 Depth=1
	s_or_b32 exec_lo, exec_lo, s44
.LBB323_264:                            ;   in Loop: Header=BB323_12 Depth=1
	s_delay_alu instid0(SALU_CYCLE_1)
	s_or_b32 exec_lo, exec_lo, s43
.LBB323_265:                            ;   in Loop: Header=BB323_12 Depth=1
	s_delay_alu instid0(SALU_CYCLE_1) | instskip(NEXT) | instid1(SALU_CYCLE_1)
	s_or_b32 exec_lo, exec_lo, s42
	s_mov_b32 s42, exec_lo
	v_cmpx_lt_u32_e32 0xffffff, v67
	s_cbranch_execz .LBB323_273
; %bb.266:                              ;   in Loop: Header=BB323_12 Depth=1
	v_lshrrev_b32_e32 v70, 24, v67
	v_bfrev_b32_e32 v68, 1
	s_mov_b32 s43, exec_lo
	s_delay_alu instid0(VALU_DEP_2)
	v_cmpx_ne_u32_e32 0x80, v70
	s_cbranch_execz .LBB323_272
; %bb.267:                              ;   in Loop: Header=BB323_12 Depth=1
	v_bfe_u32 v71, v67, 24, 7
	v_mov_b32_e32 v68, 0x7f800001
	s_mov_b32 s44, exec_lo
	s_delay_alu instid0(VALU_DEP_2)
	v_cmpx_ne_u32_e32 0x7f, v71
	s_cbranch_execz .LBB323_271
; %bb.268:                              ;   in Loop: Header=BB323_12 Depth=1
	v_dual_lshrrev_b32 v67, 3, v71 :: v_dual_bitop2_b32 v20, 7, v70 bitop3:0x40
	s_mov_b32 s45, exec_lo
	v_cmpx_gt_u32_e32 8, v71
; %bb.269:                              ;   in Loop: Header=BB323_12 Depth=1
	s_delay_alu instid0(VALU_DEP_2) | instskip(NEXT) | instid1(VALU_DEP_1)
	v_clz_i32_u32_e32 v67, v20
	v_min_u32_e32 v67, 32, v67
	s_delay_alu instid0(VALU_DEP_1) | instskip(NEXT) | instid1(VALU_DEP_1)
	v_subrev_nc_u32_e32 v68, 28, v67
	v_lshlrev_b64_e32 v[72:73], v68, v[20:21]
	s_delay_alu instid0(VALU_DEP_1)
	v_dual_sub_nc_u32 v67, 29, v67 :: v_dual_bitop2_b32 v20, 7, v72 bitop3:0x40
; %bb.270:                              ;   in Loop: Header=BB323_12 Depth=1
	s_or_b32 exec_lo, exec_lo, s45
	s_delay_alu instid0(VALU_DEP_1) | instskip(NEXT) | instid1(VALU_DEP_2)
	v_dual_lshlrev_b32 v68, 24, v70 :: v_dual_lshlrev_b32 v20, 20, v20
	v_lshl_add_u32 v67, v67, 23, 0x3c000000
	s_delay_alu instid0(VALU_DEP_2) | instskip(NEXT) | instid1(VALU_DEP_1)
	v_and_b32_e32 v68, 0x80000000, v68
	v_or3_b32 v68, v20, v68, v67
.LBB323_271:                            ;   in Loop: Header=BB323_12 Depth=1
	s_or_b32 exec_lo, exec_lo, s44
.LBB323_272:                            ;   in Loop: Header=BB323_12 Depth=1
	s_delay_alu instid0(SALU_CYCLE_1)
	s_or_b32 exec_lo, exec_lo, s43
.LBB323_273:                            ;   in Loop: Header=BB323_12 Depth=1
	s_delay_alu instid0(SALU_CYCLE_1)
	s_or_b32 exec_lo, exec_lo, s42
	s_wait_kmcnt 0x0
	v_fma_mixlo_bf16 v44, s41, v44, 0
	v_fma_mixlo_bf16 v43, s41, v43, 0
	;; [unrolled: 1-line block ×5, first 2 shown]
	s_wait_dscnt 0x3
	v_dual_lshlrev_b32 v66, 16, v16 :: v_dual_lshlrev_b32 v43, 16, v43
	v_and_b32_e32 v16, 0xffff0000, v16
	v_dual_lshlrev_b32 v44, 16, v44 :: v_dual_lshlrev_b32 v67, 16, v17
	v_fma_mixlo_bf16 v45, s41, v45, 0
	v_fma_mixlo_bf16 v40, s41, v40, 0
	;; [unrolled: 1-line block ×3, first 2 shown]
	v_dual_mul_f32 v43, v66, v43 :: v_dual_lshlrev_b32 v46, 16, v46
	s_delay_alu instid0(VALU_DEP_4)
	v_dual_mul_f32 v16, v16, v44 :: v_dual_lshlrev_b32 v44, 16, v45
	v_fma_mixlo_bf16 v48, s41, v48, 0
	v_fma_mixlo_bf16 v47, s41, v47, 0
	;; [unrolled: 1-line block ×3, first 2 shown]
	v_and_b32_e32 v17, 0xffff0000, v17
	v_mul_f32_e32 v45, v67, v46
	v_fma_mix_f32_bf16 v23, v14, v23, v43 op_sel_hi:[1,1,0]
	v_fma_mix_f32_bf16 v14, v14, v40, v16 op_sel:[1,0,0] op_sel_hi:[1,1,0]
	v_fma_mixlo_bf16 v52, s41, v52, 0
	v_fma_mixlo_bf16 v51, s41, v51, 0
	;; [unrolled: 1-line block ×4, first 2 shown]
	v_mul_f32_e32 v17, v17, v44
	v_fma_mix_f32_bf16 v40, v15, v42, v45 op_sel_hi:[1,1,0]
	s_wait_dscnt 0x2
	v_fma_mix_f32_bf16 v23, v10, v47, v23 op_sel_hi:[1,1,0]
	v_fma_mix_f32_bf16 v10, v10, v48, v14 op_sel:[1,0,0] op_sel_hi:[1,1,0]
	v_fma_mixlo_bf16 v56, s41, v56, 0
	v_fma_mixlo_bf16 v55, s41, v55, 0
	;; [unrolled: 1-line block ×4, first 2 shown]
	v_fma_mix_f32_bf16 v15, v15, v16, v17 op_sel:[1,0,0] op_sel_hi:[1,1,0]
	v_fma_mix_f32_bf16 v16, v11, v50, v40 op_sel_hi:[1,1,0]
	v_fma_mix_f32_bf16 v17, v12, v51, v23 op_sel_hi:[1,1,0]
	v_fma_mix_f32_bf16 v10, v12, v52, v10 op_sel:[1,0,0] op_sel_hi:[1,1,0]
	v_fma_mixlo_bf16 v60, s41, v60, 0
	v_fma_mixlo_bf16 v59, s41, v59, 0
	;; [unrolled: 1-line block ×4, first 2 shown]
	v_fma_mix_f32_bf16 v11, v11, v14, v15 op_sel:[1,0,0] op_sel_hi:[1,1,0]
	v_fma_mix_f32_bf16 v14, v13, v54, v16 op_sel_hi:[1,1,0]
	s_wait_dscnt 0x1
	v_fma_mix_f32_bf16 v15, v6, v55, v17 op_sel_hi:[1,1,0]
	v_fma_mix_f32_bf16 v6, v6, v56, v10 op_sel:[1,0,0] op_sel_hi:[1,1,0]
	v_fma_mixlo_bf16 v64, s41, v64, 0
	v_fma_mixlo_bf16 v63, s41, v63, 0
	;; [unrolled: 1-line block ×4, first 2 shown]
	v_fma_mix_f32_bf16 v11, v13, v12, v11 op_sel:[1,0,0] op_sel_hi:[1,1,0]
	v_fma_mix_f32_bf16 v12, v7, v58, v14 op_sel_hi:[1,1,0]
	v_fma_mix_f32_bf16 v13, v8, v59, v15 op_sel_hi:[1,1,0]
	v_fma_mix_f32_bf16 v6, v8, v60, v6 op_sel:[1,0,0] op_sel_hi:[1,1,0]
	v_fma_mixlo_bf16 v28, s41, v28, 0
	v_fma_mixlo_bf16 v8, s41, v61, 0
	v_fma_mix_f32_bf16 v7, v7, v10, v11 op_sel:[1,0,0] op_sel_hi:[1,1,0]
	v_fma_mix_f32_bf16 v10, v9, v62, v12 op_sel_hi:[1,1,0]
	s_wait_dscnt 0x0
	v_fma_mix_f32_bf16 v11, v2, v63, v13 op_sel_hi:[1,1,0]
	v_fma_mix_f32_bf16 v2, v2, v64, v6 op_sel:[1,0,0] op_sel_hi:[1,1,0]
	v_fma_mixlo_bf16 v65, s41, v65, 0
	v_fma_mixlo_bf16 v6, s41, v69, 0
	v_fma_mix_f32_bf16 v7, v9, v8, v7 op_sel:[1,0,0] op_sel_hi:[1,1,0]
	v_fma_mix_f32_bf16 v8, v3, v29, v10 op_sel_hi:[1,1,0]
	v_fma_mix_f32_bf16 v9, v4, v28, v11 op_sel_hi:[1,1,0]
	v_fma_mix_f32_bf16 v2, v4, v20, v2 op_sel:[1,0,0] op_sel_hi:[1,1,0]
	v_xor_b32_e32 v4, 1, v32
	v_fma_mixlo_bf16 v10, s41, v68, 0
	v_fma_mix_f32_bf16 v3, v3, v65, v7 op_sel:[1,0,0] op_sel_hi:[1,1,0]
	v_fma_mix_f32_bf16 v6, v5, v6, v8 op_sel_hi:[1,1,0]
	v_add_f32_e32 v2, v9, v2
	v_cmp_gt_i32_e64 s4, 32, v4
	s_delay_alu instid0(VALU_DEP_4) | instskip(NEXT) | instid1(VALU_DEP_2)
	v_fma_mix_f32_bf16 v3, v5, v10, v3 op_sel:[1,0,0] op_sel_hi:[1,1,0]
	v_dual_add_f32 v2, v2, v6 :: v_dual_cndmask_b32 v4, v32, v4, s4
	s_delay_alu instid0(VALU_DEP_1)
	v_dual_add_f32 v2, v2, v3 :: v_dual_lshlrev_b32 v4, 2, v4
	ds_bpermute_b32 v3, v4, v2
	s_and_saveexec_b32 s41, s3
	s_cbranch_execz .LBB323_10
; %bb.274:                              ;   in Loop: Header=BB323_12 Depth=1
	s_wait_dscnt 0x0
	v_dual_add_nc_u32 v4, v36, v22 :: v_dual_add_f32 v2, v2, v3
	s_delay_alu instid0(VALU_DEP_1) | instskip(NEXT) | instid1(VALU_DEP_1)
	v_cvt_f32_i32_e32 v4, v4
	v_mul_f32_e32 v4, s36, v4
	s_delay_alu instid0(VALU_DEP_1) | instskip(NEXT) | instid1(VALU_DEP_1)
	v_dual_cndmask_b32 v3, 0, v4 :: v_dual_max_num_f32 v4, v35, v35
	v_fmac_f32_e32 v3, s27, v2
	s_delay_alu instid0(VALU_DEP_1) | instskip(NEXT) | instid1(VALU_DEP_1)
	v_dual_add_nc_u32 v2, v33, v22 :: v_dual_max_num_f32 v4, v4, v3
	v_cmp_gt_i32_e64 s4, s34, v2
	s_delay_alu instid0(VALU_DEP_1)
	v_dual_cndmask_b32 v2, 0, v3, s4 :: v_dual_cndmask_b32 v35, v35, v4, s4
	ds_store_b32 v37, v2
	s_branch .LBB323_10
.LBB323_275:
	s_or_b32 exec_lo, exec_lo, s40
.LBB323_276:
	s_delay_alu instid0(SALU_CYCLE_1)
	s_or_b32 exec_lo, exec_lo, s37
	v_dual_max_num_f32 v5, v35, v35 :: v_dual_bitop2_b32 v2, 16, v32 bitop3:0x14
	s_clause 0x1
	s_load_b64 s[4:5], s[0:1], 0x0
	s_load_b64 s[8:9], s[0:1], 0x18
	v_and_b32_e32 v28, 31, v0
	v_xor_b32_e32 v4, 8, v32
	v_cmp_gt_i32_e32 vcc_lo, 32, v2
	v_dual_cndmask_b32 v2, v32, v2, vcc_lo :: v_dual_bitop2_b32 v6, 4, v32 bitop3:0x14
	s_delay_alu instid0(VALU_DEP_3) | instskip(SKIP_1) | instid1(VALU_DEP_2)
	v_cmp_gt_i32_e32 vcc_lo, 32, v4
	s_wait_dscnt 0x0
	v_dual_cndmask_b32 v4, v32, v4 :: v_dual_lshlrev_b32 v3, 2, v2
	s_delay_alu instid0(VALU_DEP_3) | instskip(SKIP_3) | instid1(VALU_DEP_1)
	v_cmp_gt_i32_e32 vcc_lo, 32, v6
	ds_bpermute_b32 v2, v3, v35
	s_wait_dscnt 0x0
	v_dual_lshlrev_b32 v4, 2, v4 :: v_dual_max_num_f32 v2, v2, v2
	v_max_num_f32_e32 v2, v5, v2
	ds_bpermute_b32 v5, v4, v2
	s_wait_dscnt 0x0
	v_dual_cndmask_b32 v6, v32, v6 :: v_dual_max_num_f32 v7, v5, v5
	s_delay_alu instid0(VALU_DEP_1) | instskip(SKIP_3) | instid1(VALU_DEP_1)
	v_dual_max_num_f32 v2, v2, v7 :: v_dual_lshlrev_b32 v5, 2, v6
	ds_bpermute_b32 v6, v5, v2
	s_wait_dscnt 0x0
	v_dual_max_num_f32 v6, v6, v6 :: v_dual_bitop2_b32 v7, 2, v32 bitop3:0x14
	v_cmp_gt_i32_e32 vcc_lo, 32, v7
	s_delay_alu instid0(VALU_DEP_2) | instskip(SKIP_1) | instid1(VALU_DEP_2)
	v_dual_cndmask_b32 v8, v32, v7 :: v_dual_max_num_f32 v7, v2, v6
	v_cmp_eq_u32_e32 vcc_lo, 0, v28
	v_dual_lshlrev_b32 v6, 2, v31 :: v_dual_lshlrev_b32 v2, 2, v8
	ds_bpermute_b32 v8, v2, v7
	s_wait_xcnt 0x0
	s_and_saveexec_b32 s0, vcc_lo
	s_cbranch_execz .LBB323_278
; %bb.277:
	s_wait_dscnt 0x0
	v_dual_max_num_f32 v8, v8, v8 :: v_dual_max_num_f32 v7, v7, v7
	s_delay_alu instid0(VALU_DEP_1)
	v_max_num_f32_e32 v7, v7, v8
	ds_store_b32 v6, v7 offset:128
.LBB323_278:
	s_or_b32 exec_lo, exec_lo, s0
	v_cmp_gt_u32_e64 s0, 4, v28
	s_wait_dscnt 0x0
	v_dual_mov_b32 v8, 0xff7fffff :: v_dual_lshlrev_b32 v7, 2, v28
	s_barrier_signal -1
	s_barrier_wait -1
	s_and_saveexec_b32 s1, s0
; %bb.279:
	ds_load_b32 v8, v7 offset:128
; %bb.280:
	s_or_b32 exec_lo, exec_lo, s1
	s_wait_dscnt 0x0
	ds_bpermute_b32 v9, v2, v8
	s_wait_dscnt 0x0
	v_dual_max_num_f32 v9, v9, v9 :: v_dual_bitop2_b32 v10, 1, v32 bitop3:0x14
	s_delay_alu instid0(VALU_DEP_1) | instskip(NEXT) | instid1(VALU_DEP_1)
	v_cmp_gt_i32_e64 s1, 32, v10
	v_cndmask_b32_e64 v10, v32, v10, s1
	v_max_num_f32_e32 v8, v8, v8
	s_lshl_b32 s1, s12, 4
	s_delay_alu instid0(SALU_CYCLE_1) | instskip(NEXT) | instid1(VALU_DEP_1)
	s_min_i32 s19, s1, s34
	v_dual_max_num_f32 v8, v8, v9 :: v_dual_lshlrev_b32 v29, 2, v10
	v_cmp_gt_i32_e64 s1, s19, v0
	ds_bpermute_b32 v9, v29, v8
	s_wait_dscnt 0x0
	v_max_num_f32_e32 v9, v9, v9
	s_delay_alu instid0(VALU_DEP_1)
	v_dual_max_num_f32 v9, v8, v9 :: v_dual_mov_b32 v8, 0
	ds_bpermute_b32 v9, v8, v9
	s_and_saveexec_b32 s27, s1
	s_cbranch_execz .LBB323_284
; %bb.281:
	v_lshl_add_u32 v10, v0, 2, 0xa0
	v_dual_mov_b32 v8, 0 :: v_dual_mov_b32 v11, v0
	s_mov_b32 s28, 0
.LBB323_282:                            ; =>This Inner Loop Header: Depth=1
	ds_load_b32 v12, v10
	v_add_nc_u32_e32 v11, 0x80, v11
	s_delay_alu instid0(VALU_DEP_1) | instskip(SKIP_3) | instid1(VALU_DEP_1)
	v_cmp_le_i32_e64 s3, s19, v11
	s_or_b32 s28, s3, s28
	s_wait_dscnt 0x0
	v_sub_f32_e32 v12, v12, v9
	v_mul_f32_e32 v12, 0x3fb8aa3b, v12
	s_delay_alu instid0(VALU_DEP_1)
	v_exp_f32_e32 v12, v12
	ds_store_b32 v10, v12
	v_nop
	v_add_f32_e32 v8, v8, v12
	v_add_nc_u32_e32 v10, 0x200, v10
	s_and_not1_b32 exec_lo, exec_lo, s28
	s_cbranch_execnz .LBB323_282
; %bb.283:
	s_or_b32 exec_lo, exec_lo, s28
.LBB323_284:
	s_delay_alu instid0(SALU_CYCLE_1)
	s_or_b32 exec_lo, exec_lo, s27
	ds_bpermute_b32 v3, v3, v8
	s_wait_dscnt 0x0
	v_add_f32_e32 v3, v8, v3
	ds_bpermute_b32 v4, v4, v3
	s_wait_dscnt 0x0
	v_add_f32_e32 v3, v3, v4
	;; [unrolled: 3-line block ×5, first 2 shown]
	s_and_saveexec_b32 s3, vcc_lo
; %bb.285:
	ds_store_b32 v6, v3 offset:144
; %bb.286:
	s_or_b32 exec_lo, exec_lo, s3
	s_wait_dscnt 0x0
	s_barrier_signal -1
	s_barrier_wait -1
	s_and_saveexec_b32 s3, s0
; %bb.287:
	ds_load_b32 v3, v7 offset:144
; %bb.288:
	s_or_b32 exec_lo, exec_lo, s3
	s_wait_dscnt 0x0
	ds_bpermute_b32 v2, v2, v3
	s_wait_dscnt 0x0
	v_dual_mov_b32 v11, 0 :: v_dual_add_f32 v2, v3, v2
	ds_bpermute_b32 v3, v29, v2
	s_wait_dscnt 0x0
	v_add_f32_e32 v2, v2, v3
	ds_bpermute_b32 v2, v11, v2
	s_and_saveexec_b32 s0, s1
	s_cbranch_execz .LBB323_301
; %bb.289:
	s_wait_dscnt 0x0
	v_add_f32_e32 v2, 0x358637bd, v2
	s_mov_b32 s3, -1
	s_mov_b32 s1, exec_lo
	s_delay_alu instid0(VALU_DEP_1) | instskip(NEXT) | instid1(VALU_DEP_1)
	v_div_scale_f32 v3, null, v2, v2, 1.0
	v_rcp_f32_e32 v5, v3
	v_nop
	s_delay_alu instid0(TRANS32_DEP_1) | instskip(NEXT) | instid1(VALU_DEP_1)
	v_fma_f32 v4, -v3, v5, 1.0
	v_fmac_f32_e32 v5, v4, v5
	v_div_scale_f32 v6, vcc_lo, 1.0, v2, 1.0
	s_delay_alu instid0(VALU_DEP_1) | instskip(NEXT) | instid1(VALU_DEP_1)
	v_mul_f32_e32 v7, v6, v5
	v_fma_f32 v4, -v3, v7, v6
	s_delay_alu instid0(VALU_DEP_1) | instskip(SKIP_1) | instid1(VALU_DEP_2)
	v_fmac_f32_e32 v7, v4, v5
	v_xad_u32 v4, v0, -1, s19
	v_fma_f32 v3, -v3, v7, v6
	s_delay_alu instid0(VALU_DEP_1) | instskip(NEXT) | instid1(VALU_DEP_1)
	v_div_fmas_f32 v3, v3, v5, v7
	v_div_fixup_f32 v2, v3, v2, 1.0
	v_mov_b32_e32 v3, v0
	v_cmpx_lt_u32_e32 0x7f, v4
	s_cbranch_execz .LBB323_298
; %bb.290:
	s_delay_alu instid0(VALU_DEP_3) | instskip(NEXT) | instid1(VALU_DEP_1)
	v_dual_mov_b32 v3, v2 :: v_dual_lshrrev_b32 v4, 7, v4
	v_dual_mov_b32 v8, 0 :: v_dual_add_nc_u32 v5, -1, v4
	s_delay_alu instid0(VALU_DEP_1) | instskip(SKIP_1) | instid1(VALU_DEP_2)
	v_lshrrev_b32_e32 v6, 1, v5
	v_cmp_lt_u32_e32 vcc_lo, 13, v5
	v_add_nc_u32_e32 v5, 1, v6
	s_and_saveexec_b32 s3, vcc_lo
	s_cbranch_execz .LBB323_294
; %bb.291:
	s_delay_alu instid0(VALU_DEP_1)
	v_and_b32_e32 v6, -8, v5
	v_lshl_add_u32 v7, v0, 2, 0xa0
	s_mov_b32 s27, 0
	s_mov_b32 s28, 0
.LBB323_292:                            ; =>This Inner Loop Header: Depth=1
	ds_load_2addr_stride64_b32 v[8:9], v7 offset1:2
	ds_load_2addr_stride64_b32 v[12:13], v7 offset0:4 offset1:6
	ds_load_2addr_stride64_b32 v[14:15], v7 offset0:8 offset1:10
	ds_load_2addr_stride64_b32 v[16:17], v7 offset0:12 offset1:14
	ds_load_2addr_stride64_b32 v[20:21], v7 offset0:16 offset1:18
	ds_load_2addr_stride64_b32 v[22:23], v7 offset0:20 offset1:22
	ds_load_2addr_stride64_b32 v[24:25], v7 offset0:24 offset1:26
	ds_load_2addr_stride64_b32 v[26:27], v7 offset0:28 offset1:30
	s_add_co_i32 s28, s28, 16
	v_add_nc_u32_e32 v6, -8, v6
	s_wait_dscnt 0x7
	v_pk_mul_f32 v[8:9], v[2:3], v[8:9]
	s_wait_dscnt 0x6
	v_pk_mul_f32 v[12:13], v[2:3], v[12:13]
	;; [unrolled: 2-line block ×8, first 2 shown]
	ds_store_2addr_stride64_b32 v7, v8, v9 offset1:2
	ds_store_2addr_stride64_b32 v7, v12, v13 offset0:4 offset1:6
	ds_store_2addr_stride64_b32 v7, v14, v15 offset0:8 offset1:10
	;; [unrolled: 1-line block ×7, first 2 shown]
	v_mov_b32_e32 v8, s28
	v_cmp_eq_u32_e32 vcc_lo, 0, v6
	v_add_nc_u32_e32 v7, 0x2000, v7
	s_or_b32 s27, vcc_lo, s27
	s_delay_alu instid0(SALU_CYCLE_1)
	s_and_not1_b32 exec_lo, exec_lo, s27
	s_cbranch_execnz .LBB323_292
; %bb.293:
	s_or_b32 exec_lo, exec_lo, s27
.LBB323_294:
	s_delay_alu instid0(SALU_CYCLE_1) | instskip(NEXT) | instid1(VALU_DEP_1)
	s_or_b32 exec_lo, exec_lo, s3
	v_and_b32_e32 v5, 7, v5
	s_mov_b32 s27, 0
	s_mov_b32 s3, exec_lo
	s_delay_alu instid0(VALU_DEP_1)
	v_cmpx_ne_u32_e32 0, v5
	s_cbranch_execz .LBB323_297
; %bb.295:
	v_lshlrev_b32_e32 v6, 9, v8
	v_lshlrev_b32_e32 v7, 2, v0
	s_delay_alu instid0(VALU_DEP_1)
	v_add3_u32 v6, v6, v7, 0xa0
.LBB323_296:                            ; =>This Inner Loop Header: Depth=1
	ds_load_2addr_stride64_b32 v[8:9], v6 offset1:2
	v_add_nc_u32_e32 v5, -1, v5
	s_delay_alu instid0(VALU_DEP_1)
	v_cmp_eq_u32_e32 vcc_lo, 0, v5
	s_or_b32 s27, vcc_lo, s27
	s_wait_dscnt 0x0
	v_pk_mul_f32 v[8:9], v[2:3], v[8:9]
	ds_store_2addr_stride64_b32 v6, v8, v9 offset1:2
	v_add_nc_u32_e32 v6, 0x400, v6
	s_and_not1_b32 exec_lo, exec_lo, s27
	s_cbranch_execnz .LBB323_296
.LBB323_297:
	s_or_b32 exec_lo, exec_lo, s3
	v_add_nc_u32_e32 v3, 1, v4
	s_delay_alu instid0(VALU_DEP_1) | instskip(NEXT) | instid1(VALU_DEP_1)
	v_and_b32_e32 v4, 0x3fffffe, v3
	v_cmp_ne_u32_e32 vcc_lo, v3, v4
	v_lshl_add_u32 v3, v4, 7, v0
	s_or_not1_b32 s3, vcc_lo, exec_lo
.LBB323_298:
	s_or_b32 exec_lo, exec_lo, s1
	s_delay_alu instid0(SALU_CYCLE_1)
	s_and_b32 exec_lo, exec_lo, s3
	s_cbranch_execz .LBB323_301
; %bb.299:
	v_lshl_add_u32 v4, v3, 2, 0xa0
	s_mov_b32 s1, 0
.LBB323_300:                            ; =>This Inner Loop Header: Depth=1
	ds_load_b32 v5, v4
	v_add_nc_u32_e32 v3, 0x80, v3
	s_delay_alu instid0(VALU_DEP_1)
	v_cmp_le_i32_e32 vcc_lo, s19, v3
	s_or_b32 s1, vcc_lo, s1
	s_wait_dscnt 0x0
	v_mul_f32_e32 v5, v2, v5
	ds_store_b32 v4, v5
	v_add_nc_u32_e32 v4, 0x200, v4
	s_and_not1_b32 exec_lo, exec_lo, s1
	s_cbranch_execnz .LBB323_300
.LBB323_301:
	s_or_b32 exec_lo, exec_lo, s0
	v_dual_mov_b32 v10, 0 :: v_dual_mov_b32 v13, 0
	v_mov_b32_e32 v12, 0
	s_wait_dscnt 0x0
	s_barrier_signal -1
	s_barrier_wait -1
	s_and_saveexec_b32 s1, s2
	s_cbranch_execz .LBB323_555
; %bb.302:
	s_abs_i32 s14, s14
	v_dual_mov_b32 v15, 0 :: v_dual_lshlrev_b32 v2, 3, v0
	s_cvt_f32_u32 s0, s14
	s_ashr_i32 s19, s18, 31
	v_dual_lshlrev_b32 v4, 5, v30 :: v_dual_mov_b32 v32, v31
	s_delay_alu instid0(SALU_CYCLE_1)
	v_rcp_iflag_f32_e32 v3, s0
	v_and_b32_e32 v14, 0xf8, v2
	s_wait_kmcnt 0x0
	s_add_nc_u64 s[8:9], s[8:9], s[18:19]
	s_lshl_b64 s[24:25], s[24:25], 2
	s_sub_co_i32 s18, 0, s14
	v_dual_mov_b32 v12, 0 :: v_dual_bitop2_b32 v33, 8, v2 bitop3:0x40
	v_readfirstlane_b32 s0, v3
	v_add_nc_u64_e32 v[16:17], s[8:9], v[14:15]
	v_and_b32_e32 v14, 0x7c, v19
	v_lshl_or_b32 v3, v31, 6, v4
	s_add_nc_u64 s[8:9], s[22:23], s[24:25]
	s_mul_f32 s0, s0, 0x4f7ffffe
	v_mov_b32_e32 v13, 0
	v_add_nc_u64_e32 v[20:21], s[8:9], v[14:15]
	v_add_nc_u32_e32 v34, 0xa0, v3
	s_cvt_u32_f32 s0, s0
	v_dual_mov_b32 v10, 0 :: v_dual_mov_b32 v11, 0
	s_mov_b32 s9, 0
	s_delay_alu instid0(SALU_CYCLE_1)
	s_mul_i32 s18, s18, s0
	s_sub_co_i32 s13, s26, s13
	s_mul_hi_u32 s8, s0, s18
	s_add_co_i32 s26, s12, -1
	s_mov_b64 s[2:3], 0xffffffffffffff
	s_add_co_i32 s8, s0, s8
	s_mov_b32 s18, s9
	s_branch .LBB323_305
.LBB323_303:                            ;   in Loop: Header=BB323_305 Depth=1
	s_or_b32 exec_lo, exec_lo, s0
	s_wait_dscnt 0x1
	v_cvt_pk_bf16_f32 v6, v6, v7
	v_perm_b32 v7, v62, v63, 0x5040100
	v_cvt_pk_bf16_f32 v8, v8, v9
	v_perm_b32 v9, v60, v61, 0x5040100
	s_wait_dscnt 0x0
	v_cvt_pk_bf16_f32 v2, v2, v3
	v_perm_b32 v3, v58, v59, 0x5040100
	v_pk_mul_bf16 v7, v6, v7
	v_cvt_pk_bf16_f32 v4, v4, v5
	v_pk_mul_bf16 v9, v8, v9
	v_perm_b32 v5, v27, v26, 0x5040100
	v_pk_mul_bf16 v3, v2, v3
	v_lshlrev_b32_e32 v42, 16, v7
	v_and_b32_e32 v7, 0xffff0000, v7
	v_lshlrev_b32_e32 v43, 16, v9
	v_and_b32_e32 v9, 0xffff0000, v9
	v_pk_mul_bf16 v5, v4, v5
	v_lshlrev_b32_e32 v26, 16, v3
	v_add_f32_e32 v7, v42, v7
	v_and_b32_e32 v3, 0xffff0000, v3
	v_add_f32_e32 v9, v43, v9
	v_lshlrev_b32_e32 v27, 16, v5
	v_and_b32_e32 v5, 0xffff0000, v5
	v_perm_b32 v43, v53, v52, 0x5040100
	v_add_f32_e32 v3, v26, v3
	v_add_f32_e32 v7, v9, v7
	v_perm_b32 v9, v56, v57, 0x5040100
	v_perm_b32 v26, v54, v55, 0x5040100
	v_add_f32_e32 v27, v27, v5
	s_delay_alu instid0(VALU_DEP_3) | instskip(NEXT) | instid1(VALU_DEP_3)
	v_pk_mul_bf16 v9, v6, v9
	v_pk_mul_bf16 v26, v8, v26
	s_delay_alu instid0(VALU_DEP_2) | instskip(SKIP_1) | instid1(VALU_DEP_3)
	v_dual_add_f32 v42, v3, v7 :: v_dual_lshlrev_b32 v3, 16, v9
	v_and_b32_e32 v5, 0xffff0000, v9
	v_lshlrev_b32_e32 v7, 16, v26
	v_and_b32_e32 v9, 0xffff0000, v26
	v_perm_b32 v26, v50, v51, 0x5040100
	s_delay_alu instid0(VALU_DEP_2) | instskip(SKIP_1) | instid1(VALU_DEP_3)
	v_add_f32_e32 v7, v7, v9
	v_perm_b32 v9, v38, v39, 0x5040100
	v_pk_mul_bf16 v26, v2, v26
	v_add_f32_e32 v3, v3, v5
	v_perm_b32 v5, v40, v41, 0x5040100
	v_pk_mul_bf16 v38, v4, v43
	s_delay_alu instid0(VALU_DEP_2) | instskip(NEXT) | instid1(VALU_DEP_4)
	v_pk_mul_bf16 v5, v6, v5
	v_add_f32_e32 v39, v7, v3
	v_pk_mul_bf16 v3, v8, v9
	v_lshlrev_b32_e32 v7, 16, v26
	v_and_b32_e32 v9, 0xffff0000, v26
	v_lshlrev_b32_e32 v26, 16, v5
	v_and_b32_e32 v5, 0xffff0000, v5
	;; [unrolled: 2-line block ×3, first 2 shown]
	v_add_f32_e32 v41, v7, v9
	v_perm_b32 v7, v19, v35, 0x5040100
	v_dual_add_f32 v5, v26, v5 :: v_dual_lshlrev_b32 v19, 16, v38
	s_delay_alu instid0(VALU_DEP_4) | instskip(SKIP_1) | instid1(VALU_DEP_4)
	v_add_f32_e32 v3, v40, v3
	v_perm_b32 v9, v37, v36, 0x5040100
	v_pk_mul_bf16 v7, v2, v7
	v_and_b32_e32 v26, 0xffff0000, v38
	s_delay_alu instid0(VALU_DEP_4)
	v_add_f32_e32 v36, v3, v5
	v_perm_b32 v3, v65, v64, 0x5040100
	v_perm_b32 v5, v24, v66, 0x5040100
	v_pk_mul_bf16 v35, v4, v9
	v_lshlrev_b32_e32 v37, 16, v7
	v_perm_b32 v9, v14, v22, 0x5040100
	v_perm_b32 v14, v25, v23, 0x5040100
	v_pk_mul_bf16 v6, v6, v3
	v_and_b32_e32 v22, 0xffff0000, v7
	v_pk_mul_bf16 v7, v8, v5
	v_pk_mul_bf16 v8, v2, v9
	;; [unrolled: 1-line block ×3, first 2 shown]
	v_and_b32_e32 v3, 0xffff0000, v6
	s_delay_alu instid0(VALU_DEP_4) | instskip(SKIP_4) | instid1(VALU_DEP_4)
	v_dual_lshlrev_b32 v5, 16, v6 :: v_dual_lshlrev_b32 v4, 16, v7
	v_and_b32_e32 v2, 0xffff0000, v7
	v_and_b32_e32 v7, 0xffff0000, v8
	v_dual_lshlrev_b32 v9, 16, v8 :: v_dual_lshlrev_b32 v8, 16, v14
	v_and_b32_e32 v6, 0xffff0000, v14
	v_pk_add_f32 v[2:3], v[4:5], v[2:3]
	v_dual_add_f32 v14, v37, v22 :: v_dual_lshlrev_b32 v22, 16, v35
	v_and_b32_e32 v23, 0xffff0000, v35
	s_delay_alu instid0(VALU_DEP_4) | instskip(NEXT) | instid1(VALU_DEP_4)
	v_pk_add_f32 v[4:5], v[8:9], v[6:7]
	v_dual_add_f32 v2, v2, v3 :: v_dual_add_f32 v6, v19, v26
	s_delay_alu instid0(VALU_DEP_4) | instskip(NEXT) | instid1(VALU_DEP_2)
	v_dual_add_f32 v3, v41, v39 :: v_dual_add_f32 v7, v14, v36
	v_dual_add_f32 v8, v22, v23 :: v_dual_add_f32 v2, v5, v2
	s_delay_alu instid0(VALU_DEP_2) | instskip(NEXT) | instid1(VALU_DEP_2)
	v_dual_add_f32 v5, v27, v42 :: v_dual_add_f32 v3, v6, v3
	v_add_f32_e32 v6, v8, v7
	s_delay_alu instid0(VALU_DEP_2) | instskip(NEXT) | instid1(VALU_DEP_2)
	v_dual_add_f32 v2, v4, v2 :: v_dual_add_f32 v10, v10, v5
	v_dual_add_f32 v13, v13, v3 :: v_dual_add_f32 v12, v12, v6
	s_delay_alu instid0(VALU_DEP_2)
	v_add_f32_e32 v11, v11, v2
.LBB323_304:                            ;   in Loop: Header=BB323_305 Depth=1
	s_or_b32 exec_lo, exec_lo, s19
	v_dual_add_nc_u32 v32, 4, v32 :: v_dual_add_nc_u32 v18, 64, v18
	v_add_nc_u64_e32 v[20:21], 16, v[20:21]
	v_add_nc_u32_e32 v34, 0x100, v34
	s_delay_alu instid0(VALU_DEP_3) | instskip(SKIP_1) | instid1(SALU_CYCLE_1)
	v_cmp_le_i32_e32 vcc_lo, s12, v32
	s_or_b32 s18, vcc_lo, s18
	s_and_not1_b32 exec_lo, exec_lo, s18
	s_cbranch_execz .LBB323_554
.LBB323_305:                            ; =>This Inner Loop Header: Depth=1
	v_mov_b32_e32 v19, v15
	s_delay_alu instid0(VALU_DEP_1) | instskip(NEXT) | instid1(VALU_DEP_1)
	v_mul_u64_e32 v[2:3], s[20:21], v[18:19]
	v_mul_lo_u32 v2, v3, s16
	s_delay_alu instid0(VALU_DEP_1) | instskip(NEXT) | instid1(VALU_DEP_1)
	v_sub_nc_u32_e32 v2, v18, v2
	v_subrev_nc_u32_e32 v5, s16, v2
	v_cmp_le_u32_e32 vcc_lo, s16, v2
	s_delay_alu instid0(VALU_DEP_2) | instskip(NEXT) | instid1(VALU_DEP_1)
	v_dual_add_nc_u32 v4, 1, v3 :: v_dual_cndmask_b32 v2, v2, v5, vcc_lo
	v_cndmask_b32_e32 v3, v3, v4, vcc_lo
	s_delay_alu instid0(VALU_DEP_2) | instskip(NEXT) | instid1(VALU_DEP_2)
	v_cmp_le_u32_e32 vcc_lo, s16, v2
	v_add_nc_u32_e32 v4, 1, v3
	s_delay_alu instid0(VALU_DEP_1) | instskip(NEXT) | instid1(VALU_DEP_1)
	v_cndmask_b32_e32 v2, v3, v4, vcc_lo
	v_xor_b32_e32 v2, s15, v2
	s_delay_alu instid0(VALU_DEP_1) | instskip(NEXT) | instid1(VALU_DEP_1)
	v_subrev_nc_u32_e32 v4, s15, v2
	v_add_nc_u32_e32 v5, s35, v4
	v_cmp_lt_i32_e64 s0, s13, v4
	s_delay_alu instid0(VALU_DEP_2) | instskip(NEXT) | instid1(VALU_DEP_1)
	v_sub_nc_u32_e32 v2, 0, v5
	v_dual_ashrrev_i32 v5, 31, v5 :: v_dual_max_i32 v14, v5, v2
	s_delay_alu instid0(VALU_DEP_1) | instskip(NEXT) | instid1(VALU_DEP_1)
	v_mul_u64_e32 v[2:3], s[8:9], v[14:15]
	v_mul_lo_u32 v2, v3, s14
	s_delay_alu instid0(VALU_DEP_1) | instskip(NEXT) | instid1(VALU_DEP_1)
	v_sub_nc_u32_e32 v2, v14, v2
	v_subrev_nc_u32_e32 v3, s14, v2
	v_cmp_le_u32_e32 vcc_lo, s14, v2
	s_delay_alu instid0(VALU_DEP_2) | instskip(NEXT) | instid1(VALU_DEP_1)
	v_cndmask_b32_e32 v2, v2, v3, vcc_lo
	v_subrev_nc_u32_e32 v3, s14, v2
	v_cmp_le_u32_e32 vcc_lo, s14, v2
	s_delay_alu instid0(VALU_DEP_2) | instskip(NEXT) | instid1(VALU_DEP_1)
	v_cndmask_b32_e32 v2, v2, v3, vcc_lo
	v_xor_b32_e32 v2, v2, v5
	s_delay_alu instid0(VALU_DEP_1) | instskip(NEXT) | instid1(VALU_DEP_1)
	v_sub_nc_u32_e32 v2, v2, v5
	v_cmp_eq_u32_e32 vcc_lo, 0, v2
	s_or_b32 s0, vcc_lo, s0
	s_delay_alu instid0(SALU_CYCLE_1)
	s_and_saveexec_b32 s19, s0
	s_cbranch_execz .LBB323_304
; %bb.306:                              ;   in Loop: Header=BB323_305 Depth=1
	global_load_b32 v2, v[20:21], off
	v_dual_mov_b32 v37, 0 :: v_dual_mov_b32 v36, 0
	s_mov_b32 s0, exec_lo
	s_wait_loadcnt 0x0
	v_mad_nc_i64_i32 v[22:23], v2, s17, v[16:17]
	global_load_b64 v[24:25], v[22:23], off
	ds_load_2addr_b64 v[6:9], v34 offset1:1
	ds_load_2addr_b64 v[2:5], v34 offset0:2 offset1:3
	s_load_b32 s22, s[10:11], 0x0
	s_wait_loadcnt 0x0
	v_and_b32_e32 v14, 0xff, v24
	s_delay_alu instid0(VALU_DEP_1)
	v_cmpx_ne_u16_e32 0, v14
	s_cbranch_execz .LBB323_312
; %bb.307:                              ;   in Loop: Header=BB323_305 Depth=1
	v_bfrev_b32_e32 v36, 1
	s_mov_b32 s23, exec_lo
	v_cmpx_ne_u16_e32 0x80, v14
	s_cbranch_execz .LBB323_311
; %bb.308:                              ;   in Loop: Header=BB323_305 Depth=1
	v_and_b32_e32 v14, 0x7f, v24
	v_mov_b32_e32 v36, 0x7f800001
	s_mov_b32 s24, exec_lo
	s_delay_alu instid0(VALU_DEP_2)
	v_cmpx_ne_u32_e32 0x7f, v14
	s_cbranch_execz .LBB323_310
; %bb.309:                              ;   in Loop: Header=BB323_305 Depth=1
	v_dual_lshrrev_b32 v26, 3, v14 :: v_dual_bitop2_b32 v19, 7, v24 bitop3:0x40
	v_cmp_gt_u32_e32 vcc_lo, 8, v14
	s_delay_alu instid0(VALU_DEP_2) | instskip(NEXT) | instid1(VALU_DEP_1)
	v_clz_i32_u32_e32 v19, v19
	v_min_u32_e32 v19, 32, v19
	s_delay_alu instid0(VALU_DEP_1) | instskip(SKIP_1) | instid1(VALU_DEP_1)
	v_subrev_nc_u32_e32 v27, 28, v19
	v_sub_nc_u32_e32 v19, 29, v19
	v_cndmask_b32_e32 v14, v26, v19, vcc_lo
	s_delay_alu instid0(VALU_DEP_3) | instskip(NEXT) | instid1(VALU_DEP_1)
	v_cndmask_b32_e32 v19, 0, v27, vcc_lo
	v_lshlrev_b64_e32 v[26:27], v19, v[24:25]
	v_lshlrev_b32_e32 v19, 24, v24
	s_delay_alu instid0(VALU_DEP_4) | instskip(NEXT) | instid1(VALU_DEP_2)
	v_lshl_add_u32 v14, v14, 23, 0x3c000000
	v_and_b32_e32 v19, 0x80000000, v19
	s_delay_alu instid0(VALU_DEP_4) | instskip(NEXT) | instid1(VALU_DEP_1)
	v_lshlrev_b32_e32 v26, 20, v26
	v_and_b32_e32 v26, 0x700000, v26
	s_delay_alu instid0(VALU_DEP_1)
	v_or3_b32 v36, v26, v19, v14
.LBB323_310:                            ;   in Loop: Header=BB323_305 Depth=1
	s_or_b32 exec_lo, exec_lo, s24
.LBB323_311:                            ;   in Loop: Header=BB323_305 Depth=1
	s_delay_alu instid0(SALU_CYCLE_1)
	s_or_b32 exec_lo, exec_lo, s23
.LBB323_312:                            ;   in Loop: Header=BB323_305 Depth=1
	s_delay_alu instid0(SALU_CYCLE_1) | instskip(SKIP_2) | instid1(VALU_DEP_1)
	s_or_b32 exec_lo, exec_lo, s0
	v_lshrrev_b16 v14, 8, v24
	s_mov_b32 s0, exec_lo
	v_cmpx_ne_u16_e32 0, v14
	s_cbranch_execz .LBB323_320
; %bb.313:                              ;   in Loop: Header=BB323_305 Depth=1
	v_bfrev_b32_e32 v37, 1
	s_mov_b32 s23, exec_lo
	v_cmpx_ne_u16_e32 0x80, v14
	s_cbranch_execz .LBB323_319
; %bb.314:                              ;   in Loop: Header=BB323_305 Depth=1
	v_and_b32_e32 v14, 0xffff, v14
	v_mov_b32_e32 v37, 0x7f800001
	s_mov_b32 s24, exec_lo
	s_delay_alu instid0(VALU_DEP_2) | instskip(NEXT) | instid1(VALU_DEP_1)
	v_and_b32_e32 v26, 0x7f, v14
	v_cmpx_ne_u32_e32 0x7f, v26
	s_cbranch_execz .LBB323_318
; %bb.315:                              ;   in Loop: Header=BB323_305 Depth=1
	v_and_b32_e32 v14, 7, v14
	v_lshrrev_b32_e32 v19, 3, v26
	s_mov_b32 s25, exec_lo
	v_cmpx_gt_u32_e32 8, v26
; %bb.316:                              ;   in Loop: Header=BB323_305 Depth=1
	s_delay_alu instid0(VALU_DEP_3) | instskip(NEXT) | instid1(VALU_DEP_1)
	v_clz_i32_u32_e32 v19, v14
	v_min_u32_e32 v19, 32, v19
	s_delay_alu instid0(VALU_DEP_1) | instskip(NEXT) | instid1(VALU_DEP_1)
	v_subrev_nc_u32_e32 v26, 28, v19
	v_lshlrev_b64_e32 v[26:27], v26, v[14:15]
	s_delay_alu instid0(VALU_DEP_1)
	v_dual_sub_nc_u32 v19, 29, v19 :: v_dual_bitop2_b32 v14, 7, v26 bitop3:0x40
; %bb.317:                              ;   in Loop: Header=BB323_305 Depth=1
	s_or_b32 exec_lo, exec_lo, s25
	s_delay_alu instid0(VALU_DEP_1) | instskip(NEXT) | instid1(VALU_DEP_2)
	v_dual_lshlrev_b32 v26, 16, v24 :: v_dual_lshlrev_b32 v14, 20, v14
	v_lshl_add_u32 v19, v19, 23, 0x3c000000
	s_delay_alu instid0(VALU_DEP_2) | instskip(NEXT) | instid1(VALU_DEP_1)
	v_and_b32_e32 v26, 0x80000000, v26
	v_or3_b32 v37, v14, v26, v19
.LBB323_318:                            ;   in Loop: Header=BB323_305 Depth=1
	s_or_b32 exec_lo, exec_lo, s24
.LBB323_319:                            ;   in Loop: Header=BB323_305 Depth=1
	s_delay_alu instid0(SALU_CYCLE_1)
	s_or_b32 exec_lo, exec_lo, s23
.LBB323_320:                            ;   in Loop: Header=BB323_305 Depth=1
	s_delay_alu instid0(SALU_CYCLE_1) | instskip(SKIP_3) | instid1(VALU_DEP_2)
	s_or_b32 exec_lo, exec_lo, s0
	v_dual_mov_b32 v38, 0 :: v_dual_lshrrev_b32 v19, 16, v24
	v_mov_b32_e32 v39, 0
	s_mov_b32 s0, exec_lo
	v_and_b32_e32 v14, 0xff, v19
	s_delay_alu instid0(VALU_DEP_1)
	v_cmpx_ne_u16_e32 0, v14
	s_cbranch_execz .LBB323_328
; %bb.321:                              ;   in Loop: Header=BB323_305 Depth=1
	v_bfrev_b32_e32 v39, 1
	s_mov_b32 s23, exec_lo
	v_cmpx_ne_u16_e32 0x80, v14
	s_cbranch_execz .LBB323_327
; %bb.322:                              ;   in Loop: Header=BB323_305 Depth=1
	v_bfe_u32 v27, v24, 16, 7
	v_mov_b32_e32 v39, 0x7f800001
	s_mov_b32 s24, exec_lo
	s_delay_alu instid0(VALU_DEP_2)
	v_cmpx_ne_u32_e32 0x7f, v27
	s_cbranch_execz .LBB323_326
; %bb.323:                              ;   in Loop: Header=BB323_305 Depth=1
	v_and_b32_e32 v14, 7, v19
	v_lshrrev_b32_e32 v26, 3, v27
	s_mov_b32 s25, exec_lo
	v_cmpx_gt_u32_e32 8, v27
; %bb.324:                              ;   in Loop: Header=BB323_305 Depth=1
	s_delay_alu instid0(VALU_DEP_3) | instskip(NEXT) | instid1(VALU_DEP_1)
	v_clz_i32_u32_e32 v26, v14
	v_min_u32_e32 v26, 32, v26
	s_delay_alu instid0(VALU_DEP_1) | instskip(NEXT) | instid1(VALU_DEP_1)
	v_subrev_nc_u32_e32 v27, 28, v26
	v_lshlrev_b64_e32 v[40:41], v27, v[14:15]
	s_delay_alu instid0(VALU_DEP_1)
	v_dual_sub_nc_u32 v26, 29, v26 :: v_dual_bitop2_b32 v14, 7, v40 bitop3:0x40
; %bb.325:                              ;   in Loop: Header=BB323_305 Depth=1
	s_or_b32 exec_lo, exec_lo, s25
	s_delay_alu instid0(VALU_DEP_1) | instskip(NEXT) | instid1(VALU_DEP_2)
	v_dual_lshlrev_b32 v19, 24, v19 :: v_dual_lshlrev_b32 v14, 20, v14
	v_lshl_add_u32 v26, v26, 23, 0x3c000000
	s_delay_alu instid0(VALU_DEP_2) | instskip(NEXT) | instid1(VALU_DEP_1)
	v_and_b32_e32 v19, 0x80000000, v19
	v_or3_b32 v39, v14, v19, v26
.LBB323_326:                            ;   in Loop: Header=BB323_305 Depth=1
	s_or_b32 exec_lo, exec_lo, s24
.LBB323_327:                            ;   in Loop: Header=BB323_305 Depth=1
	s_delay_alu instid0(SALU_CYCLE_1)
	s_or_b32 exec_lo, exec_lo, s23
.LBB323_328:                            ;   in Loop: Header=BB323_305 Depth=1
	s_delay_alu instid0(SALU_CYCLE_1) | instskip(NEXT) | instid1(SALU_CYCLE_1)
	s_or_b32 exec_lo, exec_lo, s0
	s_mov_b32 s0, exec_lo
	v_cmpx_lt_u32_e32 0xffffff, v24
	s_cbranch_execz .LBB323_336
; %bb.329:                              ;   in Loop: Header=BB323_305 Depth=1
	v_lshrrev_b32_e32 v19, 24, v24
	v_bfrev_b32_e32 v38, 1
	s_mov_b32 s23, exec_lo
	s_delay_alu instid0(VALU_DEP_2)
	v_cmpx_ne_u32_e32 0x80, v19
	s_cbranch_execz .LBB323_335
; %bb.330:                              ;   in Loop: Header=BB323_305 Depth=1
	v_bfe_u32 v27, v24, 24, 7
	v_mov_b32_e32 v38, 0x7f800001
	s_mov_b32 s24, exec_lo
	s_delay_alu instid0(VALU_DEP_2)
	v_cmpx_ne_u32_e32 0x7f, v27
	s_cbranch_execz .LBB323_334
; %bb.331:                              ;   in Loop: Header=BB323_305 Depth=1
	v_and_b32_e32 v14, 7, v19
	v_lshrrev_b32_e32 v26, 3, v27
	s_mov_b32 s25, exec_lo
	v_cmpx_gt_u32_e32 8, v27
; %bb.332:                              ;   in Loop: Header=BB323_305 Depth=1
	s_delay_alu instid0(VALU_DEP_3) | instskip(NEXT) | instid1(VALU_DEP_1)
	v_clz_i32_u32_e32 v26, v14
	v_min_u32_e32 v26, 32, v26
	s_delay_alu instid0(VALU_DEP_1) | instskip(NEXT) | instid1(VALU_DEP_1)
	v_subrev_nc_u32_e32 v27, 28, v26
	v_lshlrev_b64_e32 v[40:41], v27, v[14:15]
	s_delay_alu instid0(VALU_DEP_1)
	v_dual_sub_nc_u32 v26, 29, v26 :: v_dual_bitop2_b32 v14, 7, v40 bitop3:0x40
; %bb.333:                              ;   in Loop: Header=BB323_305 Depth=1
	s_or_b32 exec_lo, exec_lo, s25
	s_delay_alu instid0(VALU_DEP_1) | instskip(NEXT) | instid1(VALU_DEP_2)
	v_dual_lshlrev_b32 v19, 24, v19 :: v_dual_lshlrev_b32 v14, 20, v14
	v_lshl_add_u32 v26, v26, 23, 0x3c000000
	s_delay_alu instid0(VALU_DEP_2) | instskip(NEXT) | instid1(VALU_DEP_1)
	v_and_b32_e32 v19, 0x80000000, v19
	v_or3_b32 v38, v14, v19, v26
.LBB323_334:                            ;   in Loop: Header=BB323_305 Depth=1
	s_or_b32 exec_lo, exec_lo, s24
.LBB323_335:                            ;   in Loop: Header=BB323_305 Depth=1
	s_delay_alu instid0(SALU_CYCLE_1)
	s_or_b32 exec_lo, exec_lo, s23
.LBB323_336:                            ;   in Loop: Header=BB323_305 Depth=1
	s_delay_alu instid0(SALU_CYCLE_1) | instskip(SKIP_4) | instid1(VALU_DEP_3)
	s_or_b32 exec_lo, exec_lo, s0
	v_and_b32_e32 v26, 0xff, v25
	v_dual_mov_b32 v14, v25 :: v_dual_mov_b32 v19, 0
	v_mov_b32_e32 v35, 0
	s_mov_b32 s0, exec_lo
	v_cmpx_ne_u16_e32 0, v26
	s_cbranch_execz .LBB323_342
; %bb.337:                              ;   in Loop: Header=BB323_305 Depth=1
	v_bfrev_b32_e32 v35, 1
	s_mov_b32 s23, exec_lo
	v_cmpx_ne_u16_e32 0x80, v26
	s_cbranch_execz .LBB323_341
; %bb.338:                              ;   in Loop: Header=BB323_305 Depth=1
	v_and_b32_e32 v26, 0x7f, v25
	v_mov_b32_e32 v35, 0x7f800001
	s_mov_b32 s24, exec_lo
	s_delay_alu instid0(VALU_DEP_2)
	v_cmpx_ne_u32_e32 0x7f, v26
	s_cbranch_execz .LBB323_340
; %bb.339:                              ;   in Loop: Header=BB323_305 Depth=1
	v_dual_lshrrev_b32 v35, 3, v26 :: v_dual_bitop2_b32 v27, 7, v25 bitop3:0x40
	v_cmp_gt_u32_e32 vcc_lo, 8, v26
	s_delay_alu instid0(VALU_DEP_2) | instskip(NEXT) | instid1(VALU_DEP_1)
	v_clz_i32_u32_e32 v27, v27
	v_min_u32_e32 v27, 32, v27
	s_delay_alu instid0(VALU_DEP_1) | instskip(NEXT) | instid1(VALU_DEP_1)
	v_subrev_nc_u32_e32 v40, 28, v27
	v_dual_cndmask_b32 v26, 0, v40 :: v_dual_sub_nc_u32 v27, 29, v27
	s_delay_alu instid0(VALU_DEP_1) | instskip(NEXT) | instid1(VALU_DEP_2)
	v_cndmask_b32_e32 v35, v35, v27, vcc_lo
	v_lshlrev_b64_e32 v[26:27], v26, v[14:15]
	v_lshlrev_b32_e32 v27, 24, v14
	s_delay_alu instid0(VALU_DEP_3) | instskip(NEXT) | instid1(VALU_DEP_2)
	v_lshl_add_u32 v35, v35, 23, 0x3c000000
	v_and_b32_e32 v27, 0x80000000, v27
	s_delay_alu instid0(VALU_DEP_4) | instskip(NEXT) | instid1(VALU_DEP_1)
	v_lshlrev_b32_e32 v26, 20, v26
	v_and_b32_e32 v26, 0x700000, v26
	s_delay_alu instid0(VALU_DEP_1)
	v_or3_b32 v35, v26, v27, v35
.LBB323_340:                            ;   in Loop: Header=BB323_305 Depth=1
	s_or_b32 exec_lo, exec_lo, s24
.LBB323_341:                            ;   in Loop: Header=BB323_305 Depth=1
	s_delay_alu instid0(SALU_CYCLE_1)
	s_or_b32 exec_lo, exec_lo, s23
.LBB323_342:                            ;   in Loop: Header=BB323_305 Depth=1
	s_delay_alu instid0(SALU_CYCLE_1) | instskip(SKIP_2) | instid1(VALU_DEP_1)
	s_or_b32 exec_lo, exec_lo, s0
	v_lshrrev_b16 v26, 8, v14
	s_mov_b32 s0, exec_lo
	v_cmpx_ne_u16_e32 0, v26
	s_cbranch_execz .LBB323_350
; %bb.343:                              ;   in Loop: Header=BB323_305 Depth=1
	v_bfrev_b32_e32 v19, 1
	s_mov_b32 s23, exec_lo
	v_cmpx_ne_u16_e32 0x80, v26
	s_cbranch_execz .LBB323_349
; %bb.344:                              ;   in Loop: Header=BB323_305 Depth=1
	v_and_b32_e32 v26, 0xffff, v26
	v_mov_b32_e32 v19, 0x7f800001
	s_mov_b32 s24, exec_lo
	s_delay_alu instid0(VALU_DEP_2) | instskip(NEXT) | instid1(VALU_DEP_1)
	v_and_b32_e32 v40, 0x7f, v26
	v_cmpx_ne_u32_e32 0x7f, v40
	s_cbranch_execz .LBB323_348
; %bb.345:                              ;   in Loop: Header=BB323_305 Depth=1
	v_dual_mov_b32 v27, v15 :: v_dual_bitop2_b32 v26, 7, v26 bitop3:0x40
	v_lshrrev_b32_e32 v19, 3, v40
	s_mov_b32 s25, exec_lo
	v_cmpx_gt_u32_e32 8, v40
; %bb.346:                              ;   in Loop: Header=BB323_305 Depth=1
	s_delay_alu instid0(VALU_DEP_3) | instskip(NEXT) | instid1(VALU_DEP_1)
	v_clz_i32_u32_e32 v19, v26
	v_min_u32_e32 v19, 32, v19
	s_delay_alu instid0(VALU_DEP_1) | instskip(NEXT) | instid1(VALU_DEP_1)
	v_subrev_nc_u32_e32 v40, 28, v19
	v_lshlrev_b64_e32 v[26:27], v40, v[26:27]
	s_delay_alu instid0(VALU_DEP_1)
	v_dual_sub_nc_u32 v19, 29, v19 :: v_dual_bitop2_b32 v26, 7, v26 bitop3:0x40
; %bb.347:                              ;   in Loop: Header=BB323_305 Depth=1
	s_or_b32 exec_lo, exec_lo, s25
	v_lshlrev_b32_e32 v14, 16, v14
	s_delay_alu instid0(VALU_DEP_2) | instskip(NEXT) | instid1(VALU_DEP_3)
	v_lshlrev_b32_e32 v26, 20, v26
	v_lshl_add_u32 v19, v19, 23, 0x3c000000
	s_delay_alu instid0(VALU_DEP_3) | instskip(NEXT) | instid1(VALU_DEP_1)
	v_and_b32_e32 v14, 0x80000000, v14
	v_or3_b32 v19, v26, v14, v19
.LBB323_348:                            ;   in Loop: Header=BB323_305 Depth=1
	s_or_b32 exec_lo, exec_lo, s24
.LBB323_349:                            ;   in Loop: Header=BB323_305 Depth=1
	s_delay_alu instid0(SALU_CYCLE_1)
	s_or_b32 exec_lo, exec_lo, s23
.LBB323_350:                            ;   in Loop: Header=BB323_305 Depth=1
	s_delay_alu instid0(SALU_CYCLE_1) | instskip(SKIP_3) | instid1(VALU_DEP_2)
	s_or_b32 exec_lo, exec_lo, s0
	v_dual_lshrrev_b32 v40, 16, v25 :: v_dual_mov_b32 v26, 0
	v_mov_b32_e32 v27, 0
	s_mov_b32 s0, exec_lo
	v_and_b32_e32 v14, 0xff, v40
	s_delay_alu instid0(VALU_DEP_1)
	v_cmpx_ne_u16_e32 0, v14
	s_cbranch_execz .LBB323_358
; %bb.351:                              ;   in Loop: Header=BB323_305 Depth=1
	v_bfrev_b32_e32 v27, 1
	s_mov_b32 s23, exec_lo
	v_cmpx_ne_u16_e32 0x80, v14
	s_cbranch_execz .LBB323_357
; %bb.352:                              ;   in Loop: Header=BB323_305 Depth=1
	v_bfe_u32 v41, v25, 16, 7
	v_mov_b32_e32 v27, 0x7f800001
	s_mov_b32 s24, exec_lo
	s_delay_alu instid0(VALU_DEP_2)
	v_cmpx_ne_u32_e32 0x7f, v41
	s_cbranch_execz .LBB323_356
; %bb.353:                              ;   in Loop: Header=BB323_305 Depth=1
	v_dual_lshrrev_b32 v27, 3, v41 :: v_dual_bitop2_b32 v14, 7, v40 bitop3:0x40
	s_mov_b32 s25, exec_lo
	v_cmpx_gt_u32_e32 8, v41
; %bb.354:                              ;   in Loop: Header=BB323_305 Depth=1
	s_delay_alu instid0(VALU_DEP_2) | instskip(NEXT) | instid1(VALU_DEP_1)
	v_clz_i32_u32_e32 v27, v14
	v_min_u32_e32 v27, 32, v27
	s_delay_alu instid0(VALU_DEP_1) | instskip(NEXT) | instid1(VALU_DEP_1)
	v_subrev_nc_u32_e32 v41, 28, v27
	v_lshlrev_b64_e32 v[42:43], v41, v[14:15]
	s_delay_alu instid0(VALU_DEP_1)
	v_dual_sub_nc_u32 v27, 29, v27 :: v_dual_bitop2_b32 v14, 7, v42 bitop3:0x40
; %bb.355:                              ;   in Loop: Header=BB323_305 Depth=1
	s_or_b32 exec_lo, exec_lo, s25
	s_delay_alu instid0(VALU_DEP_1) | instskip(NEXT) | instid1(VALU_DEP_2)
	v_dual_lshlrev_b32 v40, 24, v40 :: v_dual_lshlrev_b32 v14, 20, v14
	v_lshl_add_u32 v27, v27, 23, 0x3c000000
	s_delay_alu instid0(VALU_DEP_2) | instskip(NEXT) | instid1(VALU_DEP_1)
	v_and_b32_e32 v40, 0x80000000, v40
	v_or3_b32 v27, v14, v40, v27
.LBB323_356:                            ;   in Loop: Header=BB323_305 Depth=1
	s_or_b32 exec_lo, exec_lo, s24
.LBB323_357:                            ;   in Loop: Header=BB323_305 Depth=1
	s_delay_alu instid0(SALU_CYCLE_1)
	s_or_b32 exec_lo, exec_lo, s23
.LBB323_358:                            ;   in Loop: Header=BB323_305 Depth=1
	s_delay_alu instid0(SALU_CYCLE_1) | instskip(NEXT) | instid1(SALU_CYCLE_1)
	s_or_b32 exec_lo, exec_lo, s0
	s_mov_b32 s0, exec_lo
	v_cmpx_lt_u64_e64 s[2:3], v[24:25]
	s_cbranch_execz .LBB323_366
; %bb.359:                              ;   in Loop: Header=BB323_305 Depth=1
	v_lshrrev_b32_e32 v24, 24, v25
	v_bfrev_b32_e32 v26, 1
	s_mov_b32 s23, exec_lo
	s_delay_alu instid0(VALU_DEP_2)
	v_cmpx_ne_u32_e32 0x80, v24
	s_cbranch_execz .LBB323_365
; %bb.360:                              ;   in Loop: Header=BB323_305 Depth=1
	v_bfe_u32 v40, v25, 24, 7
	v_mov_b32_e32 v26, 0x7f800001
	s_mov_b32 s24, exec_lo
	s_delay_alu instid0(VALU_DEP_2)
	v_cmpx_ne_u32_e32 0x7f, v40
	s_cbranch_execz .LBB323_364
; %bb.361:                              ;   in Loop: Header=BB323_305 Depth=1
	v_and_b32_e32 v14, 7, v24
	v_lshrrev_b32_e32 v25, 3, v40
	s_mov_b32 s25, exec_lo
	v_cmpx_gt_u32_e32 8, v40
; %bb.362:                              ;   in Loop: Header=BB323_305 Depth=1
	s_delay_alu instid0(VALU_DEP_3) | instskip(NEXT) | instid1(VALU_DEP_1)
	v_clz_i32_u32_e32 v25, v14
	v_min_u32_e32 v25, 32, v25
	s_delay_alu instid0(VALU_DEP_1) | instskip(NEXT) | instid1(VALU_DEP_1)
	v_subrev_nc_u32_e32 v26, 28, v25
	v_lshlrev_b64_e32 v[40:41], v26, v[14:15]
	s_delay_alu instid0(VALU_DEP_1)
	v_dual_sub_nc_u32 v25, 29, v25 :: v_dual_bitop2_b32 v14, 7, v40 bitop3:0x40
; %bb.363:                              ;   in Loop: Header=BB323_305 Depth=1
	s_or_b32 exec_lo, exec_lo, s25
	s_delay_alu instid0(VALU_DEP_1) | instskip(NEXT) | instid1(VALU_DEP_2)
	v_dual_lshlrev_b32 v24, 24, v24 :: v_dual_lshlrev_b32 v14, 20, v14
	v_lshl_add_u32 v25, v25, 23, 0x3c000000
	s_delay_alu instid0(VALU_DEP_2) | instskip(NEXT) | instid1(VALU_DEP_1)
	v_and_b32_e32 v24, 0x80000000, v24
	v_or3_b32 v26, v14, v24, v25
.LBB323_364:                            ;   in Loop: Header=BB323_305 Depth=1
	s_or_b32 exec_lo, exec_lo, s24
.LBB323_365:                            ;   in Loop: Header=BB323_305 Depth=1
	s_delay_alu instid0(SALU_CYCLE_1)
	s_or_b32 exec_lo, exec_lo, s23
.LBB323_366:                            ;   in Loop: Header=BB323_305 Depth=1
	s_delay_alu instid0(SALU_CYCLE_1)
	s_or_b32 exec_lo, exec_lo, s0
	v_add_nc_u32_e32 v42, v33, v18
	v_cmp_eq_u32_e32 vcc_lo, s26, v32
	s_wait_kmcnt 0x0
	v_fma_mixlo_bf16 v19, s22, v19, 0
	v_fma_mixlo_bf16 v35, s22, v35, 0
	;; [unrolled: 1-line block ×8, first 2 shown]
	v_dual_add_nc_u32 v49, 1, v42 :: v_dual_add_nc_u32 v48, 2, v42
	v_dual_add_nc_u32 v47, 3, v42 :: v_dual_add_nc_u32 v46, 4, v42
	;; [unrolled: 1-line block ×3, first 2 shown]
	v_add_nc_u32_e32 v43, 7, v42
	s_and_saveexec_b32 s23, vcc_lo
	s_cbranch_execz .LBB323_368
; %bb.367:                              ;   in Loop: Header=BB323_305 Depth=1
	v_cmp_gt_i32_e64 s0, s34, v42
	s_delay_alu instid0(VALU_DEP_1) | instskip(SKIP_1) | instid1(VALU_DEP_1)
	v_cndmask_b32_e64 v41, 0, v41, s0
	v_cmp_gt_i32_e64 s0, s34, v49
	v_cndmask_b32_e64 v40, 0, v40, s0
	v_cmp_gt_i32_e64 s0, s34, v48
	s_delay_alu instid0(VALU_DEP_1) | instskip(SKIP_1) | instid1(VALU_DEP_1)
	v_cndmask_b32_e64 v39, 0, v39, s0
	v_cmp_gt_i32_e64 s0, s34, v47
	v_cndmask_b32_e64 v38, 0, v38, s0
	;; [unrolled: 5-line block ×4, first 2 shown]
.LBB323_368:                            ;   in Loop: Header=BB323_305 Depth=1
	s_or_b32 exec_lo, exec_lo, s23
	global_load_b64 v[24:25], v[22:23], off offset:256
	v_dual_mov_b32 v53, 0 :: v_dual_mov_b32 v52, 0
	s_mov_b32 s23, exec_lo
	s_wait_loadcnt 0x0
	v_and_b32_e32 v14, 0xff, v24
	s_delay_alu instid0(VALU_DEP_1)
	v_cmpx_ne_u16_e32 0, v14
	s_cbranch_execz .LBB323_374
; %bb.369:                              ;   in Loop: Header=BB323_305 Depth=1
	v_bfrev_b32_e32 v52, 1
	s_mov_b32 s24, exec_lo
	v_cmpx_ne_u16_e32 0x80, v14
	s_cbranch_execz .LBB323_373
; %bb.370:                              ;   in Loop: Header=BB323_305 Depth=1
	v_and_b32_e32 v14, 0x7f, v24
	v_mov_b32_e32 v52, 0x7f800001
	s_mov_b32 s25, exec_lo
	s_delay_alu instid0(VALU_DEP_2)
	v_cmpx_ne_u32_e32 0x7f, v14
	s_cbranch_execz .LBB323_372
; %bb.371:                              ;   in Loop: Header=BB323_305 Depth=1
	v_dual_lshrrev_b32 v27, 3, v14 :: v_dual_bitop2_b32 v26, 7, v24 bitop3:0x40
	v_cmp_gt_u32_e64 s0, 8, v14
	s_delay_alu instid0(VALU_DEP_2) | instskip(NEXT) | instid1(VALU_DEP_1)
	v_clz_i32_u32_e32 v26, v26
	v_min_u32_e32 v26, 32, v26
	s_delay_alu instid0(VALU_DEP_1) | instskip(SKIP_1) | instid1(VALU_DEP_1)
	v_subrev_nc_u32_e32 v50, 28, v26
	v_sub_nc_u32_e32 v26, 29, v26
	v_cndmask_b32_e64 v14, v27, v26, s0
	s_delay_alu instid0(VALU_DEP_3) | instskip(NEXT) | instid1(VALU_DEP_1)
	v_cndmask_b32_e64 v26, 0, v50, s0
	v_lshlrev_b64_e32 v[26:27], v26, v[24:25]
	v_lshlrev_b32_e32 v27, 24, v24
	s_delay_alu instid0(VALU_DEP_1) | instskip(NEXT) | instid1(VALU_DEP_3)
	v_and_b32_e32 v27, 0x80000000, v27
	v_lshlrev_b32_e32 v26, 20, v26
	v_lshl_add_u32 v14, v14, 23, 0x3c000000
	s_delay_alu instid0(VALU_DEP_2) | instskip(NEXT) | instid1(VALU_DEP_1)
	v_and_b32_e32 v26, 0x700000, v26
	v_or3_b32 v52, v26, v27, v14
.LBB323_372:                            ;   in Loop: Header=BB323_305 Depth=1
	s_or_b32 exec_lo, exec_lo, s25
.LBB323_373:                            ;   in Loop: Header=BB323_305 Depth=1
	s_delay_alu instid0(SALU_CYCLE_1)
	s_or_b32 exec_lo, exec_lo, s24
.LBB323_374:                            ;   in Loop: Header=BB323_305 Depth=1
	s_delay_alu instid0(SALU_CYCLE_1) | instskip(SKIP_2) | instid1(VALU_DEP_1)
	s_or_b32 exec_lo, exec_lo, s23
	v_lshrrev_b16 v14, 8, v24
	s_mov_b32 s23, exec_lo
	v_cmpx_ne_u16_e32 0, v14
	s_cbranch_execz .LBB323_382
; %bb.375:                              ;   in Loop: Header=BB323_305 Depth=1
	v_bfrev_b32_e32 v53, 1
	s_mov_b32 s24, exec_lo
	v_cmpx_ne_u16_e32 0x80, v14
	s_cbranch_execz .LBB323_381
; %bb.376:                              ;   in Loop: Header=BB323_305 Depth=1
	v_and_b32_e32 v14, 0xffff, v14
	v_mov_b32_e32 v53, 0x7f800001
	s_mov_b32 s25, exec_lo
	s_delay_alu instid0(VALU_DEP_2) | instskip(NEXT) | instid1(VALU_DEP_1)
	v_and_b32_e32 v27, 0x7f, v14
	v_cmpx_ne_u32_e32 0x7f, v27
	s_cbranch_execz .LBB323_380
; %bb.377:                              ;   in Loop: Header=BB323_305 Depth=1
	v_dual_lshrrev_b32 v26, 3, v27 :: v_dual_bitop2_b32 v14, 7, v14 bitop3:0x40
	s_mov_b32 s27, exec_lo
	v_cmpx_gt_u32_e32 8, v27
; %bb.378:                              ;   in Loop: Header=BB323_305 Depth=1
	s_delay_alu instid0(VALU_DEP_2) | instskip(NEXT) | instid1(VALU_DEP_1)
	v_clz_i32_u32_e32 v26, v14
	v_min_u32_e32 v26, 32, v26
	s_delay_alu instid0(VALU_DEP_1) | instskip(SKIP_1) | instid1(VALU_DEP_2)
	v_subrev_nc_u32_e32 v27, 28, v26
	v_sub_nc_u32_e32 v26, 29, v26
	v_lshlrev_b64_e32 v[50:51], v27, v[14:15]
	s_delay_alu instid0(VALU_DEP_1)
	v_and_b32_e32 v14, 7, v50
; %bb.379:                              ;   in Loop: Header=BB323_305 Depth=1
	s_or_b32 exec_lo, exec_lo, s27
	s_delay_alu instid0(VALU_DEP_1) | instskip(SKIP_1) | instid1(VALU_DEP_2)
	v_dual_lshlrev_b32 v27, 16, v24 :: v_dual_lshlrev_b32 v14, 20, v14
	v_lshl_add_u32 v26, v26, 23, 0x3c000000
	v_and_b32_e32 v27, 0x80000000, v27
	s_delay_alu instid0(VALU_DEP_1)
	v_or3_b32 v53, v14, v27, v26
.LBB323_380:                            ;   in Loop: Header=BB323_305 Depth=1
	s_or_b32 exec_lo, exec_lo, s25
.LBB323_381:                            ;   in Loop: Header=BB323_305 Depth=1
	s_delay_alu instid0(SALU_CYCLE_1)
	s_or_b32 exec_lo, exec_lo, s24
.LBB323_382:                            ;   in Loop: Header=BB323_305 Depth=1
	s_delay_alu instid0(SALU_CYCLE_1) | instskip(SKIP_3) | instid1(VALU_DEP_2)
	s_or_b32 exec_lo, exec_lo, s23
	v_dual_lshrrev_b32 v26, 16, v24 :: v_dual_mov_b32 v54, 0
	v_mov_b32_e32 v55, 0
	s_mov_b32 s23, exec_lo
	v_and_b32_e32 v14, 0xff, v26
	s_delay_alu instid0(VALU_DEP_1)
	v_cmpx_ne_u16_e32 0, v14
	s_cbranch_execz .LBB323_390
; %bb.383:                              ;   in Loop: Header=BB323_305 Depth=1
	v_bfrev_b32_e32 v55, 1
	s_mov_b32 s24, exec_lo
	v_cmpx_ne_u16_e32 0x80, v14
	s_cbranch_execz .LBB323_389
; %bb.384:                              ;   in Loop: Header=BB323_305 Depth=1
	v_bfe_u32 v50, v24, 16, 7
	v_mov_b32_e32 v55, 0x7f800001
	s_mov_b32 s25, exec_lo
	s_delay_alu instid0(VALU_DEP_2)
	v_cmpx_ne_u32_e32 0x7f, v50
	s_cbranch_execz .LBB323_388
; %bb.385:                              ;   in Loop: Header=BB323_305 Depth=1
	v_and_b32_e32 v14, 7, v26
	v_lshrrev_b32_e32 v27, 3, v50
	s_mov_b32 s27, exec_lo
	v_cmpx_gt_u32_e32 8, v50
; %bb.386:                              ;   in Loop: Header=BB323_305 Depth=1
	s_delay_alu instid0(VALU_DEP_3) | instskip(NEXT) | instid1(VALU_DEP_1)
	v_clz_i32_u32_e32 v27, v14
	v_min_u32_e32 v27, 32, v27
	s_delay_alu instid0(VALU_DEP_1) | instskip(NEXT) | instid1(VALU_DEP_1)
	v_subrev_nc_u32_e32 v50, 28, v27
	v_lshlrev_b64_e32 v[50:51], v50, v[14:15]
	s_delay_alu instid0(VALU_DEP_1)
	v_dual_sub_nc_u32 v27, 29, v27 :: v_dual_bitop2_b32 v14, 7, v50 bitop3:0x40
; %bb.387:                              ;   in Loop: Header=BB323_305 Depth=1
	s_or_b32 exec_lo, exec_lo, s27
	v_lshlrev_b32_e32 v26, 24, v26
	s_delay_alu instid0(VALU_DEP_2) | instskip(NEXT) | instid1(VALU_DEP_3)
	v_lshlrev_b32_e32 v14, 20, v14
	v_lshl_add_u32 v27, v27, 23, 0x3c000000
	s_delay_alu instid0(VALU_DEP_3) | instskip(NEXT) | instid1(VALU_DEP_1)
	v_and_b32_e32 v26, 0x80000000, v26
	v_or3_b32 v55, v14, v26, v27
.LBB323_388:                            ;   in Loop: Header=BB323_305 Depth=1
	s_or_b32 exec_lo, exec_lo, s25
.LBB323_389:                            ;   in Loop: Header=BB323_305 Depth=1
	s_delay_alu instid0(SALU_CYCLE_1)
	s_or_b32 exec_lo, exec_lo, s24
.LBB323_390:                            ;   in Loop: Header=BB323_305 Depth=1
	s_delay_alu instid0(SALU_CYCLE_1) | instskip(NEXT) | instid1(SALU_CYCLE_1)
	s_or_b32 exec_lo, exec_lo, s23
	s_mov_b32 s23, exec_lo
	v_cmpx_lt_u32_e32 0xffffff, v24
	s_cbranch_execz .LBB323_398
; %bb.391:                              ;   in Loop: Header=BB323_305 Depth=1
	v_lshrrev_b32_e32 v26, 24, v24
	v_bfrev_b32_e32 v54, 1
	s_mov_b32 s24, exec_lo
	s_delay_alu instid0(VALU_DEP_2)
	v_cmpx_ne_u32_e32 0x80, v26
	s_cbranch_execz .LBB323_397
; %bb.392:                              ;   in Loop: Header=BB323_305 Depth=1
	v_bfe_u32 v50, v24, 24, 7
	v_mov_b32_e32 v54, 0x7f800001
	s_mov_b32 s25, exec_lo
	s_delay_alu instid0(VALU_DEP_2)
	v_cmpx_ne_u32_e32 0x7f, v50
	s_cbranch_execz .LBB323_396
; %bb.393:                              ;   in Loop: Header=BB323_305 Depth=1
	v_and_b32_e32 v14, 7, v26
	v_lshrrev_b32_e32 v27, 3, v50
	s_mov_b32 s27, exec_lo
	v_cmpx_gt_u32_e32 8, v50
; %bb.394:                              ;   in Loop: Header=BB323_305 Depth=1
	s_delay_alu instid0(VALU_DEP_3) | instskip(NEXT) | instid1(VALU_DEP_1)
	v_clz_i32_u32_e32 v27, v14
	v_min_u32_e32 v27, 32, v27
	s_delay_alu instid0(VALU_DEP_1) | instskip(NEXT) | instid1(VALU_DEP_1)
	v_subrev_nc_u32_e32 v50, 28, v27
	v_lshlrev_b64_e32 v[50:51], v50, v[14:15]
	s_delay_alu instid0(VALU_DEP_1)
	v_dual_sub_nc_u32 v27, 29, v27 :: v_dual_bitop2_b32 v14, 7, v50 bitop3:0x40
; %bb.395:                              ;   in Loop: Header=BB323_305 Depth=1
	s_or_b32 exec_lo, exec_lo, s27
	v_lshlrev_b32_e32 v26, 24, v26
	s_delay_alu instid0(VALU_DEP_2) | instskip(NEXT) | instid1(VALU_DEP_3)
	v_lshlrev_b32_e32 v14, 20, v14
	v_lshl_add_u32 v27, v27, 23, 0x3c000000
	s_delay_alu instid0(VALU_DEP_3) | instskip(NEXT) | instid1(VALU_DEP_1)
	v_and_b32_e32 v26, 0x80000000, v26
	v_or3_b32 v54, v14, v26, v27
.LBB323_396:                            ;   in Loop: Header=BB323_305 Depth=1
	s_or_b32 exec_lo, exec_lo, s25
.LBB323_397:                            ;   in Loop: Header=BB323_305 Depth=1
	s_delay_alu instid0(SALU_CYCLE_1)
	s_or_b32 exec_lo, exec_lo, s24
.LBB323_398:                            ;   in Loop: Header=BB323_305 Depth=1
	s_delay_alu instid0(SALU_CYCLE_1) | instskip(SKIP_4) | instid1(VALU_DEP_3)
	s_or_b32 exec_lo, exec_lo, s23
	v_and_b32_e32 v27, 0xff, v25
	v_dual_mov_b32 v14, v25 :: v_dual_mov_b32 v26, 0
	v_mov_b32_e32 v51, 0
	s_mov_b32 s23, exec_lo
	v_cmpx_ne_u16_e32 0, v27
	s_cbranch_execz .LBB323_404
; %bb.399:                              ;   in Loop: Header=BB323_305 Depth=1
	v_bfrev_b32_e32 v51, 1
	s_mov_b32 s24, exec_lo
	v_cmpx_ne_u16_e32 0x80, v27
	s_cbranch_execz .LBB323_403
; %bb.400:                              ;   in Loop: Header=BB323_305 Depth=1
	v_and_b32_e32 v27, 0x7f, v25
	v_mov_b32_e32 v51, 0x7f800001
	s_mov_b32 s25, exec_lo
	s_delay_alu instid0(VALU_DEP_2)
	v_cmpx_ne_u32_e32 0x7f, v27
	s_cbranch_execz .LBB323_402
; %bb.401:                              ;   in Loop: Header=BB323_305 Depth=1
	v_dual_lshrrev_b32 v51, 3, v27 :: v_dual_bitop2_b32 v50, 7, v25 bitop3:0x40
	v_cmp_gt_u32_e64 s0, 8, v27
	s_delay_alu instid0(VALU_DEP_2) | instskip(NEXT) | instid1(VALU_DEP_1)
	v_clz_i32_u32_e32 v50, v50
	v_min_u32_e32 v50, 32, v50
	s_delay_alu instid0(VALU_DEP_1) | instskip(SKIP_1) | instid1(VALU_DEP_1)
	v_subrev_nc_u32_e32 v56, 28, v50
	v_sub_nc_u32_e32 v50, 29, v50
	v_dual_cndmask_b32 v27, v51, v50, s0 :: v_dual_cndmask_b32 v50, 0, v56, s0
	s_delay_alu instid0(VALU_DEP_1) | instskip(NEXT) | instid1(VALU_DEP_2)
	v_lshl_add_u32 v27, v27, 23, 0x3c000000
	v_lshlrev_b64_e32 v[50:51], v50, v[14:15]
	v_lshlrev_b32_e32 v51, 24, v14
	s_delay_alu instid0(VALU_DEP_1) | instskip(NEXT) | instid1(VALU_DEP_3)
	v_and_b32_e32 v51, 0x80000000, v51
	v_lshlrev_b32_e32 v50, 20, v50
	s_delay_alu instid0(VALU_DEP_1) | instskip(NEXT) | instid1(VALU_DEP_1)
	v_and_b32_e32 v50, 0x700000, v50
	v_or3_b32 v51, v50, v51, v27
.LBB323_402:                            ;   in Loop: Header=BB323_305 Depth=1
	s_or_b32 exec_lo, exec_lo, s25
.LBB323_403:                            ;   in Loop: Header=BB323_305 Depth=1
	s_delay_alu instid0(SALU_CYCLE_1)
	s_or_b32 exec_lo, exec_lo, s24
.LBB323_404:                            ;   in Loop: Header=BB323_305 Depth=1
	s_delay_alu instid0(SALU_CYCLE_1) | instskip(SKIP_2) | instid1(VALU_DEP_1)
	s_or_b32 exec_lo, exec_lo, s23
	v_lshrrev_b16 v27, 8, v14
	s_mov_b32 s23, exec_lo
	v_cmpx_ne_u16_e32 0, v27
	s_cbranch_execz .LBB323_412
; %bb.405:                              ;   in Loop: Header=BB323_305 Depth=1
	v_bfrev_b32_e32 v26, 1
	s_mov_b32 s24, exec_lo
	v_cmpx_ne_u16_e32 0x80, v27
	s_cbranch_execz .LBB323_411
; %bb.406:                              ;   in Loop: Header=BB323_305 Depth=1
	v_and_b32_e32 v27, 0xffff, v27
	v_mov_b32_e32 v26, 0x7f800001
	s_mov_b32 s25, exec_lo
	s_delay_alu instid0(VALU_DEP_2) | instskip(NEXT) | instid1(VALU_DEP_1)
	v_and_b32_e32 v56, 0x7f, v27
	v_cmpx_ne_u32_e32 0x7f, v56
	s_cbranch_execz .LBB323_410
; %bb.407:                              ;   in Loop: Header=BB323_305 Depth=1
	v_dual_mov_b32 v27, v15 :: v_dual_bitop2_b32 v26, 7, v27 bitop3:0x40
	v_lshrrev_b32_e32 v50, 3, v56
	s_mov_b32 s27, exec_lo
	v_cmpx_gt_u32_e32 8, v56
; %bb.408:                              ;   in Loop: Header=BB323_305 Depth=1
	s_delay_alu instid0(VALU_DEP_3) | instskip(NEXT) | instid1(VALU_DEP_1)
	v_clz_i32_u32_e32 v50, v26
	v_min_u32_e32 v50, 32, v50
	s_delay_alu instid0(VALU_DEP_1) | instskip(SKIP_1) | instid1(VALU_DEP_2)
	v_subrev_nc_u32_e32 v56, 28, v50
	v_sub_nc_u32_e32 v50, 29, v50
	v_lshlrev_b64_e32 v[26:27], v56, v[26:27]
	s_delay_alu instid0(VALU_DEP_1)
	v_and_b32_e32 v26, 7, v26
; %bb.409:                              ;   in Loop: Header=BB323_305 Depth=1
	s_or_b32 exec_lo, exec_lo, s27
	v_lshlrev_b32_e32 v14, 16, v14
	s_delay_alu instid0(VALU_DEP_2) | instskip(SKIP_1) | instid1(VALU_DEP_3)
	v_lshlrev_b32_e32 v26, 20, v26
	v_lshl_add_u32 v27, v50, 23, 0x3c000000
	v_and_b32_e32 v14, 0x80000000, v14
	s_delay_alu instid0(VALU_DEP_1)
	v_or3_b32 v26, v26, v14, v27
.LBB323_410:                            ;   in Loop: Header=BB323_305 Depth=1
	s_or_b32 exec_lo, exec_lo, s25
.LBB323_411:                            ;   in Loop: Header=BB323_305 Depth=1
	s_delay_alu instid0(SALU_CYCLE_1)
	s_or_b32 exec_lo, exec_lo, s24
.LBB323_412:                            ;   in Loop: Header=BB323_305 Depth=1
	s_delay_alu instid0(SALU_CYCLE_1) | instskip(SKIP_3) | instid1(VALU_DEP_2)
	s_or_b32 exec_lo, exec_lo, s23
	v_dual_mov_b32 v27, 0 :: v_dual_lshrrev_b32 v50, 16, v25
	v_mov_b32_e32 v58, 0
	s_mov_b32 s23, exec_lo
	v_and_b32_e32 v14, 0xff, v50
	s_delay_alu instid0(VALU_DEP_1)
	v_cmpx_ne_u16_e32 0, v14
	s_cbranch_execz .LBB323_420
; %bb.413:                              ;   in Loop: Header=BB323_305 Depth=1
	v_bfrev_b32_e32 v58, 1
	s_mov_b32 s24, exec_lo
	v_cmpx_ne_u16_e32 0x80, v14
	s_cbranch_execz .LBB323_419
; %bb.414:                              ;   in Loop: Header=BB323_305 Depth=1
	v_bfe_u32 v57, v25, 16, 7
	v_mov_b32_e32 v58, 0x7f800001
	s_mov_b32 s25, exec_lo
	s_delay_alu instid0(VALU_DEP_2)
	v_cmpx_ne_u32_e32 0x7f, v57
	s_cbranch_execz .LBB323_418
; %bb.415:                              ;   in Loop: Header=BB323_305 Depth=1
	v_dual_lshrrev_b32 v56, 3, v57 :: v_dual_bitop2_b32 v14, 7, v50 bitop3:0x40
	s_mov_b32 s27, exec_lo
	v_cmpx_gt_u32_e32 8, v57
; %bb.416:                              ;   in Loop: Header=BB323_305 Depth=1
	s_delay_alu instid0(VALU_DEP_2) | instskip(NEXT) | instid1(VALU_DEP_1)
	v_clz_i32_u32_e32 v56, v14
	v_min_u32_e32 v56, 32, v56
	s_delay_alu instid0(VALU_DEP_1) | instskip(NEXT) | instid1(VALU_DEP_1)
	v_subrev_nc_u32_e32 v57, 28, v56
	v_lshlrev_b64_e32 v[58:59], v57, v[14:15]
	s_delay_alu instid0(VALU_DEP_1)
	v_dual_sub_nc_u32 v56, 29, v56 :: v_dual_bitop2_b32 v14, 7, v58 bitop3:0x40
; %bb.417:                              ;   in Loop: Header=BB323_305 Depth=1
	s_or_b32 exec_lo, exec_lo, s27
	v_lshlrev_b32_e32 v50, 24, v50
	s_delay_alu instid0(VALU_DEP_2) | instskip(NEXT) | instid1(VALU_DEP_3)
	v_lshlrev_b32_e32 v14, 20, v14
	v_lshl_add_u32 v56, v56, 23, 0x3c000000
	s_delay_alu instid0(VALU_DEP_3) | instskip(NEXT) | instid1(VALU_DEP_1)
	v_and_b32_e32 v50, 0x80000000, v50
	v_or3_b32 v58, v14, v50, v56
.LBB323_418:                            ;   in Loop: Header=BB323_305 Depth=1
	s_or_b32 exec_lo, exec_lo, s25
.LBB323_419:                            ;   in Loop: Header=BB323_305 Depth=1
	s_delay_alu instid0(SALU_CYCLE_1)
	s_or_b32 exec_lo, exec_lo, s24
.LBB323_420:                            ;   in Loop: Header=BB323_305 Depth=1
	s_delay_alu instid0(SALU_CYCLE_1) | instskip(NEXT) | instid1(SALU_CYCLE_1)
	s_or_b32 exec_lo, exec_lo, s23
	s_mov_b32 s23, exec_lo
	v_cmpx_lt_u64_e64 s[2:3], v[24:25]
	s_cbranch_execz .LBB323_428
; %bb.421:                              ;   in Loop: Header=BB323_305 Depth=1
	v_lshrrev_b32_e32 v24, 24, v25
	v_bfrev_b32_e32 v27, 1
	s_mov_b32 s24, exec_lo
	s_delay_alu instid0(VALU_DEP_2)
	v_cmpx_ne_u32_e32 0x80, v24
	s_cbranch_execz .LBB323_427
; %bb.422:                              ;   in Loop: Header=BB323_305 Depth=1
	v_bfe_u32 v50, v25, 24, 7
	v_mov_b32_e32 v27, 0x7f800001
	s_mov_b32 s25, exec_lo
	s_delay_alu instid0(VALU_DEP_2)
	v_cmpx_ne_u32_e32 0x7f, v50
	s_cbranch_execz .LBB323_426
; %bb.423:                              ;   in Loop: Header=BB323_305 Depth=1
	v_dual_lshrrev_b32 v25, 3, v50 :: v_dual_bitop2_b32 v14, 7, v24 bitop3:0x40
	s_mov_b32 s27, exec_lo
	v_cmpx_gt_u32_e32 8, v50
; %bb.424:                              ;   in Loop: Header=BB323_305 Depth=1
	s_delay_alu instid0(VALU_DEP_2) | instskip(NEXT) | instid1(VALU_DEP_1)
	v_clz_i32_u32_e32 v25, v14
	v_min_u32_e32 v25, 32, v25
	s_delay_alu instid0(VALU_DEP_1) | instskip(NEXT) | instid1(VALU_DEP_1)
	v_subrev_nc_u32_e32 v27, 28, v25
	v_lshlrev_b64_e32 v[56:57], v27, v[14:15]
	s_delay_alu instid0(VALU_DEP_1)
	v_dual_sub_nc_u32 v25, 29, v25 :: v_dual_bitop2_b32 v14, 7, v56 bitop3:0x40
; %bb.425:                              ;   in Loop: Header=BB323_305 Depth=1
	s_or_b32 exec_lo, exec_lo, s27
	s_delay_alu instid0(VALU_DEP_1) | instskip(NEXT) | instid1(VALU_DEP_2)
	v_dual_lshlrev_b32 v24, 24, v24 :: v_dual_lshlrev_b32 v14, 20, v14
	v_lshl_add_u32 v25, v25, 23, 0x3c000000
	s_delay_alu instid0(VALU_DEP_2) | instskip(NEXT) | instid1(VALU_DEP_1)
	v_and_b32_e32 v24, 0x80000000, v24
	v_or3_b32 v27, v14, v24, v25
.LBB323_426:                            ;   in Loop: Header=BB323_305 Depth=1
	s_or_b32 exec_lo, exec_lo, s25
.LBB323_427:                            ;   in Loop: Header=BB323_305 Depth=1
	s_delay_alu instid0(SALU_CYCLE_1)
	s_or_b32 exec_lo, exec_lo, s24
.LBB323_428:                            ;   in Loop: Header=BB323_305 Depth=1
	s_delay_alu instid0(SALU_CYCLE_1)
	s_or_b32 exec_lo, exec_lo, s23
	v_fma_mixlo_bf16 v50, s22, v26, 0
	v_fma_mixlo_bf16 v51, s22, v51, 0
	;; [unrolled: 1-line block ×8, first 2 shown]
	s_and_saveexec_b32 s23, vcc_lo
	s_cbranch_execz .LBB323_430
; %bb.429:                              ;   in Loop: Header=BB323_305 Depth=1
	v_cmp_gt_i32_e64 s0, s34, v42
	s_delay_alu instid0(VALU_DEP_1) | instskip(SKIP_1) | instid1(VALU_DEP_1)
	v_cndmask_b32_e64 v57, 0, v57, s0
	v_cmp_gt_i32_e64 s0, s34, v49
	v_cndmask_b32_e64 v56, 0, v56, s0
	v_cmp_gt_i32_e64 s0, s34, v48
	s_delay_alu instid0(VALU_DEP_1) | instskip(SKIP_1) | instid1(VALU_DEP_1)
	v_cndmask_b32_e64 v55, 0, v55, s0
	v_cmp_gt_i32_e64 s0, s34, v47
	v_cndmask_b32_e64 v54, 0, v54, s0
	;; [unrolled: 5-line block ×4, first 2 shown]
.LBB323_430:                            ;   in Loop: Header=BB323_305 Depth=1
	s_or_b32 exec_lo, exec_lo, s23
	global_load_b64 v[24:25], v[22:23], off offset:512
	v_dual_mov_b32 v62, 0 :: v_dual_mov_b32 v63, 0
	s_mov_b32 s23, exec_lo
	s_wait_loadcnt 0x0
	v_and_b32_e32 v14, 0xff, v24
	s_delay_alu instid0(VALU_DEP_1)
	v_cmpx_ne_u16_e32 0, v14
	s_cbranch_execz .LBB323_436
; %bb.431:                              ;   in Loop: Header=BB323_305 Depth=1
	v_bfrev_b32_e32 v63, 1
	s_mov_b32 s24, exec_lo
	v_cmpx_ne_u16_e32 0x80, v14
	s_cbranch_execz .LBB323_435
; %bb.432:                              ;   in Loop: Header=BB323_305 Depth=1
	v_and_b32_e32 v14, 0x7f, v24
	v_mov_b32_e32 v63, 0x7f800001
	s_mov_b32 s25, exec_lo
	s_delay_alu instid0(VALU_DEP_2)
	v_cmpx_ne_u32_e32 0x7f, v14
	s_cbranch_execz .LBB323_434
; %bb.433:                              ;   in Loop: Header=BB323_305 Depth=1
	v_dual_lshrrev_b32 v27, 3, v14 :: v_dual_bitop2_b32 v26, 7, v24 bitop3:0x40
	v_cmp_gt_u32_e64 s0, 8, v14
	s_delay_alu instid0(VALU_DEP_2) | instskip(NEXT) | instid1(VALU_DEP_1)
	v_clz_i32_u32_e32 v26, v26
	v_min_u32_e32 v26, 32, v26
	s_delay_alu instid0(VALU_DEP_1) | instskip(SKIP_1) | instid1(VALU_DEP_1)
	v_subrev_nc_u32_e32 v58, 28, v26
	v_sub_nc_u32_e32 v26, 29, v26
	v_cndmask_b32_e64 v14, v27, v26, s0
	s_delay_alu instid0(VALU_DEP_3) | instskip(NEXT) | instid1(VALU_DEP_1)
	v_cndmask_b32_e64 v26, 0, v58, s0
	v_lshlrev_b64_e32 v[26:27], v26, v[24:25]
	v_lshlrev_b32_e32 v27, 24, v24
	s_delay_alu instid0(VALU_DEP_1) | instskip(NEXT) | instid1(VALU_DEP_3)
	v_and_b32_e32 v27, 0x80000000, v27
	v_lshlrev_b32_e32 v26, 20, v26
	v_lshl_add_u32 v14, v14, 23, 0x3c000000
	s_delay_alu instid0(VALU_DEP_2) | instskip(NEXT) | instid1(VALU_DEP_1)
	v_and_b32_e32 v26, 0x700000, v26
	v_or3_b32 v63, v26, v27, v14
.LBB323_434:                            ;   in Loop: Header=BB323_305 Depth=1
	s_or_b32 exec_lo, exec_lo, s25
.LBB323_435:                            ;   in Loop: Header=BB323_305 Depth=1
	s_delay_alu instid0(SALU_CYCLE_1)
	s_or_b32 exec_lo, exec_lo, s24
.LBB323_436:                            ;   in Loop: Header=BB323_305 Depth=1
	s_delay_alu instid0(SALU_CYCLE_1) | instskip(SKIP_2) | instid1(VALU_DEP_1)
	s_or_b32 exec_lo, exec_lo, s23
	v_lshrrev_b16 v14, 8, v24
	s_mov_b32 s23, exec_lo
	v_cmpx_ne_u16_e32 0, v14
	s_cbranch_execz .LBB323_444
; %bb.437:                              ;   in Loop: Header=BB323_305 Depth=1
	v_bfrev_b32_e32 v62, 1
	s_mov_b32 s24, exec_lo
	v_cmpx_ne_u16_e32 0x80, v14
	s_cbranch_execz .LBB323_443
; %bb.438:                              ;   in Loop: Header=BB323_305 Depth=1
	v_and_b32_e32 v14, 0xffff, v14
	v_mov_b32_e32 v62, 0x7f800001
	s_mov_b32 s25, exec_lo
	s_delay_alu instid0(VALU_DEP_2) | instskip(NEXT) | instid1(VALU_DEP_1)
	v_and_b32_e32 v27, 0x7f, v14
	v_cmpx_ne_u32_e32 0x7f, v27
	s_cbranch_execz .LBB323_442
; %bb.439:                              ;   in Loop: Header=BB323_305 Depth=1
	v_dual_lshrrev_b32 v26, 3, v27 :: v_dual_bitop2_b32 v14, 7, v14 bitop3:0x40
	s_mov_b32 s27, exec_lo
	v_cmpx_gt_u32_e32 8, v27
; %bb.440:                              ;   in Loop: Header=BB323_305 Depth=1
	s_delay_alu instid0(VALU_DEP_2) | instskip(NEXT) | instid1(VALU_DEP_1)
	v_clz_i32_u32_e32 v26, v14
	v_min_u32_e32 v26, 32, v26
	s_delay_alu instid0(VALU_DEP_1) | instskip(SKIP_1) | instid1(VALU_DEP_2)
	v_subrev_nc_u32_e32 v27, 28, v26
	v_sub_nc_u32_e32 v26, 29, v26
	v_lshlrev_b64_e32 v[58:59], v27, v[14:15]
	s_delay_alu instid0(VALU_DEP_1)
	v_and_b32_e32 v14, 7, v58
; %bb.441:                              ;   in Loop: Header=BB323_305 Depth=1
	s_or_b32 exec_lo, exec_lo, s27
	s_delay_alu instid0(VALU_DEP_1) | instskip(SKIP_1) | instid1(VALU_DEP_2)
	v_dual_lshlrev_b32 v27, 16, v24 :: v_dual_lshlrev_b32 v14, 20, v14
	v_lshl_add_u32 v26, v26, 23, 0x3c000000
	v_and_b32_e32 v27, 0x80000000, v27
	s_delay_alu instid0(VALU_DEP_1)
	v_or3_b32 v62, v14, v27, v26
.LBB323_442:                            ;   in Loop: Header=BB323_305 Depth=1
	s_or_b32 exec_lo, exec_lo, s25
.LBB323_443:                            ;   in Loop: Header=BB323_305 Depth=1
	s_delay_alu instid0(SALU_CYCLE_1)
	s_or_b32 exec_lo, exec_lo, s24
.LBB323_444:                            ;   in Loop: Header=BB323_305 Depth=1
	s_delay_alu instid0(SALU_CYCLE_1) | instskip(SKIP_3) | instid1(VALU_DEP_2)
	s_or_b32 exec_lo, exec_lo, s23
	v_dual_lshrrev_b32 v26, 16, v24 :: v_dual_mov_b32 v60, 0
	v_mov_b32_e32 v61, 0
	s_mov_b32 s23, exec_lo
	v_and_b32_e32 v14, 0xff, v26
	s_delay_alu instid0(VALU_DEP_1)
	v_cmpx_ne_u16_e32 0, v14
	s_cbranch_execz .LBB323_452
; %bb.445:                              ;   in Loop: Header=BB323_305 Depth=1
	v_bfrev_b32_e32 v61, 1
	s_mov_b32 s24, exec_lo
	v_cmpx_ne_u16_e32 0x80, v14
	s_cbranch_execz .LBB323_451
; %bb.446:                              ;   in Loop: Header=BB323_305 Depth=1
	v_bfe_u32 v58, v24, 16, 7
	v_mov_b32_e32 v61, 0x7f800001
	s_mov_b32 s25, exec_lo
	s_delay_alu instid0(VALU_DEP_2)
	v_cmpx_ne_u32_e32 0x7f, v58
	s_cbranch_execz .LBB323_450
; %bb.447:                              ;   in Loop: Header=BB323_305 Depth=1
	v_and_b32_e32 v14, 7, v26
	v_lshrrev_b32_e32 v27, 3, v58
	s_mov_b32 s27, exec_lo
	v_cmpx_gt_u32_e32 8, v58
; %bb.448:                              ;   in Loop: Header=BB323_305 Depth=1
	s_delay_alu instid0(VALU_DEP_3) | instskip(NEXT) | instid1(VALU_DEP_1)
	v_clz_i32_u32_e32 v27, v14
	v_min_u32_e32 v27, 32, v27
	s_delay_alu instid0(VALU_DEP_1) | instskip(NEXT) | instid1(VALU_DEP_1)
	v_subrev_nc_u32_e32 v58, 28, v27
	v_lshlrev_b64_e32 v[58:59], v58, v[14:15]
	s_delay_alu instid0(VALU_DEP_1)
	v_dual_sub_nc_u32 v27, 29, v27 :: v_dual_bitop2_b32 v14, 7, v58 bitop3:0x40
; %bb.449:                              ;   in Loop: Header=BB323_305 Depth=1
	s_or_b32 exec_lo, exec_lo, s27
	v_lshlrev_b32_e32 v26, 24, v26
	s_delay_alu instid0(VALU_DEP_2) | instskip(NEXT) | instid1(VALU_DEP_3)
	v_lshlrev_b32_e32 v14, 20, v14
	v_lshl_add_u32 v27, v27, 23, 0x3c000000
	s_delay_alu instid0(VALU_DEP_3) | instskip(NEXT) | instid1(VALU_DEP_1)
	v_and_b32_e32 v26, 0x80000000, v26
	v_or3_b32 v61, v14, v26, v27
.LBB323_450:                            ;   in Loop: Header=BB323_305 Depth=1
	s_or_b32 exec_lo, exec_lo, s25
.LBB323_451:                            ;   in Loop: Header=BB323_305 Depth=1
	s_delay_alu instid0(SALU_CYCLE_1)
	s_or_b32 exec_lo, exec_lo, s24
.LBB323_452:                            ;   in Loop: Header=BB323_305 Depth=1
	s_delay_alu instid0(SALU_CYCLE_1) | instskip(NEXT) | instid1(SALU_CYCLE_1)
	s_or_b32 exec_lo, exec_lo, s23
	s_mov_b32 s23, exec_lo
	v_cmpx_lt_u32_e32 0xffffff, v24
	s_cbranch_execz .LBB323_460
; %bb.453:                              ;   in Loop: Header=BB323_305 Depth=1
	v_lshrrev_b32_e32 v26, 24, v24
	v_bfrev_b32_e32 v60, 1
	s_mov_b32 s24, exec_lo
	s_delay_alu instid0(VALU_DEP_2)
	v_cmpx_ne_u32_e32 0x80, v26
	s_cbranch_execz .LBB323_459
; %bb.454:                              ;   in Loop: Header=BB323_305 Depth=1
	v_bfe_u32 v58, v24, 24, 7
	v_mov_b32_e32 v60, 0x7f800001
	s_mov_b32 s25, exec_lo
	s_delay_alu instid0(VALU_DEP_2)
	v_cmpx_ne_u32_e32 0x7f, v58
	s_cbranch_execz .LBB323_458
; %bb.455:                              ;   in Loop: Header=BB323_305 Depth=1
	v_and_b32_e32 v14, 7, v26
	v_lshrrev_b32_e32 v27, 3, v58
	s_mov_b32 s27, exec_lo
	v_cmpx_gt_u32_e32 8, v58
; %bb.456:                              ;   in Loop: Header=BB323_305 Depth=1
	s_delay_alu instid0(VALU_DEP_3) | instskip(NEXT) | instid1(VALU_DEP_1)
	v_clz_i32_u32_e32 v27, v14
	v_min_u32_e32 v27, 32, v27
	s_delay_alu instid0(VALU_DEP_1) | instskip(NEXT) | instid1(VALU_DEP_1)
	v_subrev_nc_u32_e32 v58, 28, v27
	v_lshlrev_b64_e32 v[58:59], v58, v[14:15]
	s_delay_alu instid0(VALU_DEP_1)
	v_dual_sub_nc_u32 v27, 29, v27 :: v_dual_bitop2_b32 v14, 7, v58 bitop3:0x40
; %bb.457:                              ;   in Loop: Header=BB323_305 Depth=1
	s_or_b32 exec_lo, exec_lo, s27
	v_lshlrev_b32_e32 v26, 24, v26
	s_delay_alu instid0(VALU_DEP_2) | instskip(NEXT) | instid1(VALU_DEP_3)
	v_lshlrev_b32_e32 v14, 20, v14
	v_lshl_add_u32 v27, v27, 23, 0x3c000000
	s_delay_alu instid0(VALU_DEP_3) | instskip(NEXT) | instid1(VALU_DEP_1)
	v_and_b32_e32 v26, 0x80000000, v26
	v_or3_b32 v60, v14, v26, v27
.LBB323_458:                            ;   in Loop: Header=BB323_305 Depth=1
	s_or_b32 exec_lo, exec_lo, s25
.LBB323_459:                            ;   in Loop: Header=BB323_305 Depth=1
	s_delay_alu instid0(SALU_CYCLE_1)
	s_or_b32 exec_lo, exec_lo, s24
.LBB323_460:                            ;   in Loop: Header=BB323_305 Depth=1
	s_delay_alu instid0(SALU_CYCLE_1) | instskip(SKIP_4) | instid1(VALU_DEP_3)
	s_or_b32 exec_lo, exec_lo, s23
	v_and_b32_e32 v27, 0xff, v25
	v_dual_mov_b32 v14, v25 :: v_dual_mov_b32 v26, 0
	v_mov_b32_e32 v59, 0
	s_mov_b32 s23, exec_lo
	v_cmpx_ne_u16_e32 0, v27
	s_cbranch_execz .LBB323_466
; %bb.461:                              ;   in Loop: Header=BB323_305 Depth=1
	v_bfrev_b32_e32 v59, 1
	s_mov_b32 s24, exec_lo
	v_cmpx_ne_u16_e32 0x80, v27
	s_cbranch_execz .LBB323_465
; %bb.462:                              ;   in Loop: Header=BB323_305 Depth=1
	v_and_b32_e32 v27, 0x7f, v25
	v_mov_b32_e32 v59, 0x7f800001
	s_mov_b32 s25, exec_lo
	s_delay_alu instid0(VALU_DEP_2)
	v_cmpx_ne_u32_e32 0x7f, v27
	s_cbranch_execz .LBB323_464
; %bb.463:                              ;   in Loop: Header=BB323_305 Depth=1
	v_dual_lshrrev_b32 v59, 3, v27 :: v_dual_bitop2_b32 v58, 7, v25 bitop3:0x40
	v_cmp_gt_u32_e64 s0, 8, v27
	s_delay_alu instid0(VALU_DEP_2) | instskip(NEXT) | instid1(VALU_DEP_1)
	v_clz_i32_u32_e32 v58, v58
	v_min_u32_e32 v58, 32, v58
	s_delay_alu instid0(VALU_DEP_1) | instskip(SKIP_1) | instid1(VALU_DEP_1)
	v_subrev_nc_u32_e32 v64, 28, v58
	v_sub_nc_u32_e32 v58, 29, v58
	v_dual_cndmask_b32 v27, v59, v58, s0 :: v_dual_cndmask_b32 v58, 0, v64, s0
	s_delay_alu instid0(VALU_DEP_1) | instskip(NEXT) | instid1(VALU_DEP_2)
	v_lshl_add_u32 v27, v27, 23, 0x3c000000
	v_lshlrev_b64_e32 v[58:59], v58, v[14:15]
	v_lshlrev_b32_e32 v59, 24, v14
	s_delay_alu instid0(VALU_DEP_1) | instskip(NEXT) | instid1(VALU_DEP_3)
	v_and_b32_e32 v59, 0x80000000, v59
	v_lshlrev_b32_e32 v58, 20, v58
	s_delay_alu instid0(VALU_DEP_1) | instskip(NEXT) | instid1(VALU_DEP_1)
	v_and_b32_e32 v58, 0x700000, v58
	v_or3_b32 v59, v58, v59, v27
.LBB323_464:                            ;   in Loop: Header=BB323_305 Depth=1
	s_or_b32 exec_lo, exec_lo, s25
.LBB323_465:                            ;   in Loop: Header=BB323_305 Depth=1
	s_delay_alu instid0(SALU_CYCLE_1)
	s_or_b32 exec_lo, exec_lo, s24
.LBB323_466:                            ;   in Loop: Header=BB323_305 Depth=1
	s_delay_alu instid0(SALU_CYCLE_1) | instskip(SKIP_2) | instid1(VALU_DEP_1)
	s_or_b32 exec_lo, exec_lo, s23
	v_lshrrev_b16 v27, 8, v14
	s_mov_b32 s23, exec_lo
	v_cmpx_ne_u16_e32 0, v27
	s_cbranch_execz .LBB323_474
; %bb.467:                              ;   in Loop: Header=BB323_305 Depth=1
	v_bfrev_b32_e32 v26, 1
	s_mov_b32 s24, exec_lo
	v_cmpx_ne_u16_e32 0x80, v27
	s_cbranch_execz .LBB323_473
; %bb.468:                              ;   in Loop: Header=BB323_305 Depth=1
	v_and_b32_e32 v27, 0xffff, v27
	v_mov_b32_e32 v26, 0x7f800001
	s_mov_b32 s25, exec_lo
	s_delay_alu instid0(VALU_DEP_2) | instskip(NEXT) | instid1(VALU_DEP_1)
	v_and_b32_e32 v64, 0x7f, v27
	v_cmpx_ne_u32_e32 0x7f, v64
	s_cbranch_execz .LBB323_472
; %bb.469:                              ;   in Loop: Header=BB323_305 Depth=1
	v_dual_mov_b32 v27, v15 :: v_dual_bitop2_b32 v26, 7, v27 bitop3:0x40
	v_lshrrev_b32_e32 v58, 3, v64
	s_mov_b32 s27, exec_lo
	v_cmpx_gt_u32_e32 8, v64
; %bb.470:                              ;   in Loop: Header=BB323_305 Depth=1
	s_delay_alu instid0(VALU_DEP_3) | instskip(NEXT) | instid1(VALU_DEP_1)
	v_clz_i32_u32_e32 v58, v26
	v_min_u32_e32 v58, 32, v58
	s_delay_alu instid0(VALU_DEP_1) | instskip(SKIP_1) | instid1(VALU_DEP_2)
	v_subrev_nc_u32_e32 v64, 28, v58
	v_sub_nc_u32_e32 v58, 29, v58
	v_lshlrev_b64_e32 v[26:27], v64, v[26:27]
	s_delay_alu instid0(VALU_DEP_1)
	v_and_b32_e32 v26, 7, v26
; %bb.471:                              ;   in Loop: Header=BB323_305 Depth=1
	s_or_b32 exec_lo, exec_lo, s27
	v_lshlrev_b32_e32 v14, 16, v14
	s_delay_alu instid0(VALU_DEP_2) | instskip(SKIP_1) | instid1(VALU_DEP_3)
	v_lshlrev_b32_e32 v26, 20, v26
	v_lshl_add_u32 v27, v58, 23, 0x3c000000
	v_and_b32_e32 v14, 0x80000000, v14
	s_delay_alu instid0(VALU_DEP_1)
	v_or3_b32 v26, v26, v14, v27
.LBB323_472:                            ;   in Loop: Header=BB323_305 Depth=1
	s_or_b32 exec_lo, exec_lo, s25
.LBB323_473:                            ;   in Loop: Header=BB323_305 Depth=1
	s_delay_alu instid0(SALU_CYCLE_1)
	s_or_b32 exec_lo, exec_lo, s24
.LBB323_474:                            ;   in Loop: Header=BB323_305 Depth=1
	s_delay_alu instid0(SALU_CYCLE_1) | instskip(SKIP_3) | instid1(VALU_DEP_2)
	s_or_b32 exec_lo, exec_lo, s23
	v_dual_mov_b32 v27, 0 :: v_dual_lshrrev_b32 v58, 16, v25
	v_mov_b32_e32 v64, 0
	s_mov_b32 s23, exec_lo
	v_and_b32_e32 v14, 0xff, v58
	s_delay_alu instid0(VALU_DEP_1)
	v_cmpx_ne_u16_e32 0, v14
	s_cbranch_execz .LBB323_482
; %bb.475:                              ;   in Loop: Header=BB323_305 Depth=1
	v_bfrev_b32_e32 v64, 1
	s_mov_b32 s24, exec_lo
	v_cmpx_ne_u16_e32 0x80, v14
	s_cbranch_execz .LBB323_481
; %bb.476:                              ;   in Loop: Header=BB323_305 Depth=1
	v_bfe_u32 v65, v25, 16, 7
	v_mov_b32_e32 v64, 0x7f800001
	s_mov_b32 s25, exec_lo
	s_delay_alu instid0(VALU_DEP_2)
	v_cmpx_ne_u32_e32 0x7f, v65
	s_cbranch_execz .LBB323_480
; %bb.477:                              ;   in Loop: Header=BB323_305 Depth=1
	v_dual_lshrrev_b32 v64, 3, v65 :: v_dual_bitop2_b32 v14, 7, v58 bitop3:0x40
	s_mov_b32 s27, exec_lo
	v_cmpx_gt_u32_e32 8, v65
; %bb.478:                              ;   in Loop: Header=BB323_305 Depth=1
	s_delay_alu instid0(VALU_DEP_2) | instskip(NEXT) | instid1(VALU_DEP_1)
	v_clz_i32_u32_e32 v64, v14
	v_min_u32_e32 v64, 32, v64
	s_delay_alu instid0(VALU_DEP_1) | instskip(NEXT) | instid1(VALU_DEP_1)
	v_subrev_nc_u32_e32 v65, 28, v64
	v_lshlrev_b64_e32 v[66:67], v65, v[14:15]
	s_delay_alu instid0(VALU_DEP_1)
	v_dual_sub_nc_u32 v64, 29, v64 :: v_dual_bitop2_b32 v14, 7, v66 bitop3:0x40
; %bb.479:                              ;   in Loop: Header=BB323_305 Depth=1
	s_or_b32 exec_lo, exec_lo, s27
	v_lshlrev_b32_e32 v58, 24, v58
	s_delay_alu instid0(VALU_DEP_2) | instskip(NEXT) | instid1(VALU_DEP_3)
	v_lshlrev_b32_e32 v14, 20, v14
	v_lshl_add_u32 v64, v64, 23, 0x3c000000
	s_delay_alu instid0(VALU_DEP_3) | instskip(NEXT) | instid1(VALU_DEP_1)
	v_and_b32_e32 v58, 0x80000000, v58
	v_or3_b32 v64, v14, v58, v64
.LBB323_480:                            ;   in Loop: Header=BB323_305 Depth=1
	s_or_b32 exec_lo, exec_lo, s25
.LBB323_481:                            ;   in Loop: Header=BB323_305 Depth=1
	s_delay_alu instid0(SALU_CYCLE_1)
	s_or_b32 exec_lo, exec_lo, s24
.LBB323_482:                            ;   in Loop: Header=BB323_305 Depth=1
	s_delay_alu instid0(SALU_CYCLE_1) | instskip(NEXT) | instid1(SALU_CYCLE_1)
	s_or_b32 exec_lo, exec_lo, s23
	s_mov_b32 s23, exec_lo
	v_cmpx_lt_u64_e64 s[2:3], v[24:25]
	s_cbranch_execz .LBB323_490
; %bb.483:                              ;   in Loop: Header=BB323_305 Depth=1
	v_lshrrev_b32_e32 v24, 24, v25
	v_bfrev_b32_e32 v27, 1
	s_mov_b32 s24, exec_lo
	s_delay_alu instid0(VALU_DEP_2)
	v_cmpx_ne_u32_e32 0x80, v24
	s_cbranch_execz .LBB323_489
; %bb.484:                              ;   in Loop: Header=BB323_305 Depth=1
	v_bfe_u32 v58, v25, 24, 7
	v_mov_b32_e32 v27, 0x7f800001
	s_mov_b32 s25, exec_lo
	s_delay_alu instid0(VALU_DEP_2)
	v_cmpx_ne_u32_e32 0x7f, v58
	s_cbranch_execz .LBB323_488
; %bb.485:                              ;   in Loop: Header=BB323_305 Depth=1
	v_dual_lshrrev_b32 v25, 3, v58 :: v_dual_bitop2_b32 v14, 7, v24 bitop3:0x40
	s_mov_b32 s27, exec_lo
	v_cmpx_gt_u32_e32 8, v58
; %bb.486:                              ;   in Loop: Header=BB323_305 Depth=1
	s_delay_alu instid0(VALU_DEP_2) | instskip(NEXT) | instid1(VALU_DEP_1)
	v_clz_i32_u32_e32 v25, v14
	v_min_u32_e32 v25, 32, v25
	s_delay_alu instid0(VALU_DEP_1) | instskip(NEXT) | instid1(VALU_DEP_1)
	v_subrev_nc_u32_e32 v27, 28, v25
	v_lshlrev_b64_e32 v[66:67], v27, v[14:15]
	s_delay_alu instid0(VALU_DEP_1)
	v_dual_sub_nc_u32 v25, 29, v25 :: v_dual_bitop2_b32 v14, 7, v66 bitop3:0x40
; %bb.487:                              ;   in Loop: Header=BB323_305 Depth=1
	s_or_b32 exec_lo, exec_lo, s27
	s_delay_alu instid0(VALU_DEP_1) | instskip(NEXT) | instid1(VALU_DEP_2)
	v_dual_lshlrev_b32 v24, 24, v24 :: v_dual_lshlrev_b32 v14, 20, v14
	v_lshl_add_u32 v25, v25, 23, 0x3c000000
	s_delay_alu instid0(VALU_DEP_2) | instskip(NEXT) | instid1(VALU_DEP_1)
	v_and_b32_e32 v24, 0x80000000, v24
	v_or3_b32 v27, v14, v24, v25
.LBB323_488:                            ;   in Loop: Header=BB323_305 Depth=1
	s_or_b32 exec_lo, exec_lo, s25
.LBB323_489:                            ;   in Loop: Header=BB323_305 Depth=1
	s_delay_alu instid0(SALU_CYCLE_1)
	s_or_b32 exec_lo, exec_lo, s24
.LBB323_490:                            ;   in Loop: Header=BB323_305 Depth=1
	s_delay_alu instid0(SALU_CYCLE_1)
	s_or_b32 exec_lo, exec_lo, s23
	v_fma_mixlo_bf16 v58, s22, v26, 0
	v_fma_mixlo_bf16 v59, s22, v59, 0
	;; [unrolled: 1-line block ×8, first 2 shown]
	s_and_saveexec_b32 s23, vcc_lo
	s_cbranch_execz .LBB323_492
; %bb.491:                              ;   in Loop: Header=BB323_305 Depth=1
	v_cmp_gt_i32_e64 s0, s34, v42
	s_delay_alu instid0(VALU_DEP_1) | instskip(SKIP_1) | instid1(VALU_DEP_1)
	v_cndmask_b32_e64 v63, 0, v63, s0
	v_cmp_gt_i32_e64 s0, s34, v49
	v_cndmask_b32_e64 v62, 0, v62, s0
	v_cmp_gt_i32_e64 s0, s34, v48
	s_delay_alu instid0(VALU_DEP_1) | instskip(SKIP_1) | instid1(VALU_DEP_1)
	v_cndmask_b32_e64 v61, 0, v61, s0
	v_cmp_gt_i32_e64 s0, s34, v47
	v_cndmask_b32_e64 v60, 0, v60, s0
	;; [unrolled: 5-line block ×4, first 2 shown]
.LBB323_492:                            ;   in Loop: Header=BB323_305 Depth=1
	s_or_b32 exec_lo, exec_lo, s23
	global_load_b64 v[22:23], v[22:23], off offset:768
	v_dual_mov_b32 v65, 0 :: v_dual_mov_b32 v64, 0
	s_mov_b32 s23, exec_lo
	s_wait_loadcnt 0x0
	v_and_b32_e32 v14, 0xff, v22
	s_delay_alu instid0(VALU_DEP_1)
	v_cmpx_ne_u16_e32 0, v14
	s_cbranch_execz .LBB323_498
; %bb.493:                              ;   in Loop: Header=BB323_305 Depth=1
	v_bfrev_b32_e32 v64, 1
	s_mov_b32 s24, exec_lo
	v_cmpx_ne_u16_e32 0x80, v14
	s_cbranch_execz .LBB323_497
; %bb.494:                              ;   in Loop: Header=BB323_305 Depth=1
	v_and_b32_e32 v14, 0x7f, v22
	v_mov_b32_e32 v64, 0x7f800001
	s_mov_b32 s25, exec_lo
	s_delay_alu instid0(VALU_DEP_2)
	v_cmpx_ne_u32_e32 0x7f, v14
	s_cbranch_execz .LBB323_496
; %bb.495:                              ;   in Loop: Header=BB323_305 Depth=1
	v_and_b32_e32 v24, 7, v22
	v_cmp_gt_u32_e64 s0, 8, v14
	s_delay_alu instid0(VALU_DEP_2) | instskip(NEXT) | instid1(VALU_DEP_1)
	v_clz_i32_u32_e32 v24, v24
	v_min_u32_e32 v24, 32, v24
	v_lshrrev_b32_e32 v25, 3, v14
	s_delay_alu instid0(VALU_DEP_2) | instskip(SKIP_1) | instid1(VALU_DEP_1)
	v_subrev_nc_u32_e32 v64, 28, v24
	v_sub_nc_u32_e32 v24, 29, v24
	v_cndmask_b32_e64 v14, v25, v24, s0
	s_delay_alu instid0(VALU_DEP_3) | instskip(NEXT) | instid1(VALU_DEP_1)
	v_cndmask_b32_e64 v24, 0, v64, s0
	v_lshlrev_b64_e32 v[24:25], v24, v[22:23]
	v_lshlrev_b32_e32 v25, 24, v22
	s_delay_alu instid0(VALU_DEP_1) | instskip(NEXT) | instid1(VALU_DEP_3)
	v_and_b32_e32 v25, 0x80000000, v25
	v_lshlrev_b32_e32 v24, 20, v24
	v_lshl_add_u32 v14, v14, 23, 0x3c000000
	s_delay_alu instid0(VALU_DEP_2) | instskip(NEXT) | instid1(VALU_DEP_1)
	v_and_b32_e32 v24, 0x700000, v24
	v_or3_b32 v64, v24, v25, v14
.LBB323_496:                            ;   in Loop: Header=BB323_305 Depth=1
	s_or_b32 exec_lo, exec_lo, s25
.LBB323_497:                            ;   in Loop: Header=BB323_305 Depth=1
	s_delay_alu instid0(SALU_CYCLE_1)
	s_or_b32 exec_lo, exec_lo, s24
.LBB323_498:                            ;   in Loop: Header=BB323_305 Depth=1
	s_delay_alu instid0(SALU_CYCLE_1) | instskip(SKIP_2) | instid1(VALU_DEP_1)
	s_or_b32 exec_lo, exec_lo, s23
	v_lshrrev_b16 v14, 8, v22
	s_mov_b32 s23, exec_lo
	v_cmpx_ne_u16_e32 0, v14
	s_cbranch_execz .LBB323_506
; %bb.499:                              ;   in Loop: Header=BB323_305 Depth=1
	v_bfrev_b32_e32 v65, 1
	s_mov_b32 s24, exec_lo
	v_cmpx_ne_u16_e32 0x80, v14
	s_cbranch_execz .LBB323_505
; %bb.500:                              ;   in Loop: Header=BB323_305 Depth=1
	v_and_b32_e32 v14, 0xffff, v14
	v_mov_b32_e32 v65, 0x7f800001
	s_mov_b32 s25, exec_lo
	s_delay_alu instid0(VALU_DEP_2) | instskip(NEXT) | instid1(VALU_DEP_1)
	v_and_b32_e32 v25, 0x7f, v14
	v_cmpx_ne_u32_e32 0x7f, v25
	s_cbranch_execz .LBB323_504
; %bb.501:                              ;   in Loop: Header=BB323_305 Depth=1
	v_dual_lshrrev_b32 v24, 3, v25 :: v_dual_bitop2_b32 v14, 7, v14 bitop3:0x40
	s_mov_b32 s27, exec_lo
	v_cmpx_gt_u32_e32 8, v25
; %bb.502:                              ;   in Loop: Header=BB323_305 Depth=1
	s_delay_alu instid0(VALU_DEP_2) | instskip(NEXT) | instid1(VALU_DEP_1)
	v_clz_i32_u32_e32 v24, v14
	v_min_u32_e32 v24, 32, v24
	s_delay_alu instid0(VALU_DEP_1) | instskip(NEXT) | instid1(VALU_DEP_1)
	v_subrev_nc_u32_e32 v25, 28, v24
	v_lshlrev_b64_e32 v[66:67], v25, v[14:15]
	s_delay_alu instid0(VALU_DEP_1)
	v_dual_sub_nc_u32 v24, 29, v24 :: v_dual_bitop2_b32 v14, 7, v66 bitop3:0x40
; %bb.503:                              ;   in Loop: Header=BB323_305 Depth=1
	s_or_b32 exec_lo, exec_lo, s27
	v_lshlrev_b32_e32 v25, 16, v22
	s_delay_alu instid0(VALU_DEP_2) | instskip(NEXT) | instid1(VALU_DEP_3)
	v_lshlrev_b32_e32 v14, 20, v14
	v_lshl_add_u32 v24, v24, 23, 0x3c000000
	s_delay_alu instid0(VALU_DEP_3) | instskip(NEXT) | instid1(VALU_DEP_1)
	v_and_b32_e32 v25, 0x80000000, v25
	v_or3_b32 v65, v14, v25, v24
.LBB323_504:                            ;   in Loop: Header=BB323_305 Depth=1
	s_or_b32 exec_lo, exec_lo, s25
.LBB323_505:                            ;   in Loop: Header=BB323_305 Depth=1
	s_delay_alu instid0(SALU_CYCLE_1)
	s_or_b32 exec_lo, exec_lo, s24
.LBB323_506:                            ;   in Loop: Header=BB323_305 Depth=1
	s_delay_alu instid0(SALU_CYCLE_1) | instskip(SKIP_3) | instid1(VALU_DEP_2)
	s_or_b32 exec_lo, exec_lo, s23
	v_dual_mov_b32 v67, 0 :: v_dual_lshrrev_b32 v24, 16, v22
	v_mov_b32_e32 v66, 0
	s_mov_b32 s23, exec_lo
	v_and_b32_e32 v14, 0xff, v24
	s_delay_alu instid0(VALU_DEP_1)
	v_cmpx_ne_u16_e32 0, v14
	s_cbranch_execz .LBB323_514
; %bb.507:                              ;   in Loop: Header=BB323_305 Depth=1
	v_bfrev_b32_e32 v66, 1
	s_mov_b32 s24, exec_lo
	v_cmpx_ne_u16_e32 0x80, v14
	s_cbranch_execz .LBB323_513
; %bb.508:                              ;   in Loop: Header=BB323_305 Depth=1
	v_bfe_u32 v68, v22, 16, 7
	v_mov_b32_e32 v66, 0x7f800001
	s_mov_b32 s25, exec_lo
	s_delay_alu instid0(VALU_DEP_2)
	v_cmpx_ne_u32_e32 0x7f, v68
	s_cbranch_execz .LBB323_512
; %bb.509:                              ;   in Loop: Header=BB323_305 Depth=1
	v_and_b32_e32 v14, 7, v24
	v_lshrrev_b32_e32 v25, 3, v68
	s_mov_b32 s27, exec_lo
	v_cmpx_gt_u32_e32 8, v68
; %bb.510:                              ;   in Loop: Header=BB323_305 Depth=1
	s_delay_alu instid0(VALU_DEP_3) | instskip(NEXT) | instid1(VALU_DEP_1)
	v_clz_i32_u32_e32 v25, v14
	v_min_u32_e32 v25, 32, v25
	s_delay_alu instid0(VALU_DEP_1) | instskip(NEXT) | instid1(VALU_DEP_1)
	v_subrev_nc_u32_e32 v66, 28, v25
	v_lshlrev_b64_e32 v[68:69], v66, v[14:15]
	s_delay_alu instid0(VALU_DEP_1)
	v_dual_sub_nc_u32 v25, 29, v25 :: v_dual_bitop2_b32 v14, 7, v68 bitop3:0x40
; %bb.511:                              ;   in Loop: Header=BB323_305 Depth=1
	s_or_b32 exec_lo, exec_lo, s27
	s_delay_alu instid0(VALU_DEP_1) | instskip(NEXT) | instid1(VALU_DEP_2)
	v_dual_lshlrev_b32 v24, 24, v24 :: v_dual_lshlrev_b32 v14, 20, v14
	v_lshl_add_u32 v25, v25, 23, 0x3c000000
	s_delay_alu instid0(VALU_DEP_2) | instskip(NEXT) | instid1(VALU_DEP_1)
	v_and_b32_e32 v24, 0x80000000, v24
	v_or3_b32 v66, v14, v24, v25
.LBB323_512:                            ;   in Loop: Header=BB323_305 Depth=1
	s_or_b32 exec_lo, exec_lo, s25
.LBB323_513:                            ;   in Loop: Header=BB323_305 Depth=1
	s_delay_alu instid0(SALU_CYCLE_1)
	s_or_b32 exec_lo, exec_lo, s24
.LBB323_514:                            ;   in Loop: Header=BB323_305 Depth=1
	s_delay_alu instid0(SALU_CYCLE_1) | instskip(NEXT) | instid1(SALU_CYCLE_1)
	s_or_b32 exec_lo, exec_lo, s23
	s_mov_b32 s23, exec_lo
	v_cmpx_lt_u32_e32 0xffffff, v22
	s_cbranch_execz .LBB323_522
; %bb.515:                              ;   in Loop: Header=BB323_305 Depth=1
	v_lshrrev_b32_e32 v24, 24, v22
	v_bfrev_b32_e32 v67, 1
	s_mov_b32 s24, exec_lo
	s_delay_alu instid0(VALU_DEP_2)
	v_cmpx_ne_u32_e32 0x80, v24
	s_cbranch_execz .LBB323_521
; %bb.516:                              ;   in Loop: Header=BB323_305 Depth=1
	v_bfe_u32 v68, v22, 24, 7
	v_mov_b32_e32 v67, 0x7f800001
	s_mov_b32 s25, exec_lo
	s_delay_alu instid0(VALU_DEP_2)
	v_cmpx_ne_u32_e32 0x7f, v68
	s_cbranch_execz .LBB323_520
; %bb.517:                              ;   in Loop: Header=BB323_305 Depth=1
	v_and_b32_e32 v14, 7, v24
	v_lshrrev_b32_e32 v25, 3, v68
	s_mov_b32 s27, exec_lo
	v_cmpx_gt_u32_e32 8, v68
; %bb.518:                              ;   in Loop: Header=BB323_305 Depth=1
	s_delay_alu instid0(VALU_DEP_3) | instskip(NEXT) | instid1(VALU_DEP_1)
	v_clz_i32_u32_e32 v25, v14
	v_min_u32_e32 v25, 32, v25
	s_delay_alu instid0(VALU_DEP_1) | instskip(NEXT) | instid1(VALU_DEP_1)
	v_subrev_nc_u32_e32 v67, 28, v25
	v_lshlrev_b64_e32 v[68:69], v67, v[14:15]
	s_delay_alu instid0(VALU_DEP_1)
	v_dual_sub_nc_u32 v25, 29, v25 :: v_dual_bitop2_b32 v14, 7, v68 bitop3:0x40
; %bb.519:                              ;   in Loop: Header=BB323_305 Depth=1
	s_or_b32 exec_lo, exec_lo, s27
	s_delay_alu instid0(VALU_DEP_1) | instskip(NEXT) | instid1(VALU_DEP_2)
	v_dual_lshlrev_b32 v24, 24, v24 :: v_dual_lshlrev_b32 v14, 20, v14
	v_lshl_add_u32 v25, v25, 23, 0x3c000000
	s_delay_alu instid0(VALU_DEP_2) | instskip(NEXT) | instid1(VALU_DEP_1)
	v_and_b32_e32 v24, 0x80000000, v24
	v_or3_b32 v67, v14, v24, v25
.LBB323_520:                            ;   in Loop: Header=BB323_305 Depth=1
	s_or_b32 exec_lo, exec_lo, s25
.LBB323_521:                            ;   in Loop: Header=BB323_305 Depth=1
	s_delay_alu instid0(SALU_CYCLE_1)
	s_or_b32 exec_lo, exec_lo, s24
.LBB323_522:                            ;   in Loop: Header=BB323_305 Depth=1
	s_delay_alu instid0(SALU_CYCLE_1) | instskip(SKIP_4) | instid1(VALU_DEP_3)
	s_or_b32 exec_lo, exec_lo, s23
	v_and_b32_e32 v25, 0xff, v23
	v_dual_mov_b32 v14, v23 :: v_dual_mov_b32 v24, 0
	v_mov_b32_e32 v68, 0
	s_mov_b32 s23, exec_lo
	v_cmpx_ne_u16_e32 0, v25
	s_cbranch_execz .LBB323_528
; %bb.523:                              ;   in Loop: Header=BB323_305 Depth=1
	v_bfrev_b32_e32 v68, 1
	s_mov_b32 s24, exec_lo
	v_cmpx_ne_u16_e32 0x80, v25
	s_cbranch_execz .LBB323_527
; %bb.524:                              ;   in Loop: Header=BB323_305 Depth=1
	v_and_b32_e32 v25, 0x7f, v23
	v_mov_b32_e32 v68, 0x7f800001
	s_mov_b32 s25, exec_lo
	s_delay_alu instid0(VALU_DEP_2)
	v_cmpx_ne_u32_e32 0x7f, v25
	s_cbranch_execz .LBB323_526
; %bb.525:                              ;   in Loop: Header=BB323_305 Depth=1
	v_dual_lshrrev_b32 v69, 3, v25 :: v_dual_bitop2_b32 v68, 7, v23 bitop3:0x40
	v_cmp_gt_u32_e64 s0, 8, v25
	s_delay_alu instid0(VALU_DEP_2) | instskip(NEXT) | instid1(VALU_DEP_1)
	v_clz_i32_u32_e32 v68, v68
	v_min_u32_e32 v68, 32, v68
	s_delay_alu instid0(VALU_DEP_1) | instskip(SKIP_1) | instid1(VALU_DEP_1)
	v_subrev_nc_u32_e32 v70, 28, v68
	v_sub_nc_u32_e32 v68, 29, v68
	v_dual_cndmask_b32 v25, v69, v68, s0 :: v_dual_cndmask_b32 v68, 0, v70, s0
	s_delay_alu instid0(VALU_DEP_1) | instskip(NEXT) | instid1(VALU_DEP_2)
	v_lshl_add_u32 v25, v25, 23, 0x3c000000
	v_lshlrev_b64_e32 v[68:69], v68, v[14:15]
	v_lshlrev_b32_e32 v69, 24, v14
	s_delay_alu instid0(VALU_DEP_1) | instskip(NEXT) | instid1(VALU_DEP_3)
	v_and_b32_e32 v69, 0x80000000, v69
	v_lshlrev_b32_e32 v68, 20, v68
	s_delay_alu instid0(VALU_DEP_1) | instskip(NEXT) | instid1(VALU_DEP_1)
	v_and_b32_e32 v68, 0x700000, v68
	v_or3_b32 v68, v68, v69, v25
.LBB323_526:                            ;   in Loop: Header=BB323_305 Depth=1
	s_or_b32 exec_lo, exec_lo, s25
.LBB323_527:                            ;   in Loop: Header=BB323_305 Depth=1
	s_delay_alu instid0(SALU_CYCLE_1)
	s_or_b32 exec_lo, exec_lo, s24
.LBB323_528:                            ;   in Loop: Header=BB323_305 Depth=1
	s_delay_alu instid0(SALU_CYCLE_1) | instskip(SKIP_2) | instid1(VALU_DEP_1)
	s_or_b32 exec_lo, exec_lo, s23
	v_lshrrev_b16 v25, 8, v14
	s_mov_b32 s23, exec_lo
	v_cmpx_ne_u16_e32 0, v25
	s_cbranch_execz .LBB323_536
; %bb.529:                              ;   in Loop: Header=BB323_305 Depth=1
	v_bfrev_b32_e32 v24, 1
	s_mov_b32 s24, exec_lo
	v_cmpx_ne_u16_e32 0x80, v25
	s_cbranch_execz .LBB323_535
; %bb.530:                              ;   in Loop: Header=BB323_305 Depth=1
	v_and_b32_e32 v25, 0xffff, v25
	v_mov_b32_e32 v24, 0x7f800001
	s_mov_b32 s25, exec_lo
	s_delay_alu instid0(VALU_DEP_2) | instskip(NEXT) | instid1(VALU_DEP_1)
	v_and_b32_e32 v70, 0x7f, v25
	v_cmpx_ne_u32_e32 0x7f, v70
	s_cbranch_execz .LBB323_534
; %bb.531:                              ;   in Loop: Header=BB323_305 Depth=1
	v_dual_mov_b32 v25, v15 :: v_dual_bitop2_b32 v24, 7, v25 bitop3:0x40
	v_lshrrev_b32_e32 v69, 3, v70
	s_mov_b32 s27, exec_lo
	v_cmpx_gt_u32_e32 8, v70
; %bb.532:                              ;   in Loop: Header=BB323_305 Depth=1
	s_delay_alu instid0(VALU_DEP_3) | instskip(NEXT) | instid1(VALU_DEP_1)
	v_clz_i32_u32_e32 v69, v24
	v_min_u32_e32 v69, 32, v69
	s_delay_alu instid0(VALU_DEP_1) | instskip(NEXT) | instid1(VALU_DEP_1)
	v_subrev_nc_u32_e32 v70, 28, v69
	v_lshlrev_b64_e32 v[24:25], v70, v[24:25]
	s_delay_alu instid0(VALU_DEP_1)
	v_dual_sub_nc_u32 v69, 29, v69 :: v_dual_bitop2_b32 v24, 7, v24 bitop3:0x40
; %bb.533:                              ;   in Loop: Header=BB323_305 Depth=1
	s_or_b32 exec_lo, exec_lo, s27
	s_delay_alu instid0(VALU_DEP_1) | instskip(NEXT) | instid1(VALU_DEP_2)
	v_dual_lshlrev_b32 v14, 16, v14 :: v_dual_lshlrev_b32 v24, 20, v24
	v_lshl_add_u32 v25, v69, 23, 0x3c000000
	s_delay_alu instid0(VALU_DEP_2) | instskip(NEXT) | instid1(VALU_DEP_1)
	v_and_b32_e32 v14, 0x80000000, v14
	v_or3_b32 v24, v24, v14, v25
.LBB323_534:                            ;   in Loop: Header=BB323_305 Depth=1
	s_or_b32 exec_lo, exec_lo, s25
.LBB323_535:                            ;   in Loop: Header=BB323_305 Depth=1
	s_delay_alu instid0(SALU_CYCLE_1)
	s_or_b32 exec_lo, exec_lo, s24
.LBB323_536:                            ;   in Loop: Header=BB323_305 Depth=1
	s_delay_alu instid0(SALU_CYCLE_1) | instskip(SKIP_3) | instid1(VALU_DEP_2)
	s_or_b32 exec_lo, exec_lo, s23
	v_dual_mov_b32 v25, 0 :: v_dual_lshrrev_b32 v70, 16, v23
	v_mov_b32_e32 v69, 0
	s_mov_b32 s23, exec_lo
	v_and_b32_e32 v14, 0xff, v70
	s_delay_alu instid0(VALU_DEP_1)
	v_cmpx_ne_u16_e32 0, v14
	s_cbranch_execz .LBB323_544
; %bb.537:                              ;   in Loop: Header=BB323_305 Depth=1
	v_bfrev_b32_e32 v69, 1
	s_mov_b32 s24, exec_lo
	v_cmpx_ne_u16_e32 0x80, v14
	s_cbranch_execz .LBB323_543
; %bb.538:                              ;   in Loop: Header=BB323_305 Depth=1
	v_bfe_u32 v71, v23, 16, 7
	v_mov_b32_e32 v69, 0x7f800001
	s_mov_b32 s25, exec_lo
	s_delay_alu instid0(VALU_DEP_2)
	v_cmpx_ne_u32_e32 0x7f, v71
	s_cbranch_execz .LBB323_542
; %bb.539:                              ;   in Loop: Header=BB323_305 Depth=1
	v_dual_lshrrev_b32 v69, 3, v71 :: v_dual_bitop2_b32 v14, 7, v70 bitop3:0x40
	s_mov_b32 s27, exec_lo
	v_cmpx_gt_u32_e32 8, v71
; %bb.540:                              ;   in Loop: Header=BB323_305 Depth=1
	s_delay_alu instid0(VALU_DEP_2) | instskip(NEXT) | instid1(VALU_DEP_1)
	v_clz_i32_u32_e32 v69, v14
	v_min_u32_e32 v69, 32, v69
	s_delay_alu instid0(VALU_DEP_1) | instskip(NEXT) | instid1(VALU_DEP_1)
	v_subrev_nc_u32_e32 v71, 28, v69
	v_lshlrev_b64_e32 v[72:73], v71, v[14:15]
	s_delay_alu instid0(VALU_DEP_1)
	v_dual_sub_nc_u32 v69, 29, v69 :: v_dual_bitop2_b32 v14, 7, v72 bitop3:0x40
; %bb.541:                              ;   in Loop: Header=BB323_305 Depth=1
	s_or_b32 exec_lo, exec_lo, s27
	v_lshlrev_b32_e32 v70, 24, v70
	s_delay_alu instid0(VALU_DEP_2) | instskip(NEXT) | instid1(VALU_DEP_3)
	v_lshlrev_b32_e32 v14, 20, v14
	v_lshl_add_u32 v69, v69, 23, 0x3c000000
	s_delay_alu instid0(VALU_DEP_3) | instskip(NEXT) | instid1(VALU_DEP_1)
	v_and_b32_e32 v70, 0x80000000, v70
	v_or3_b32 v69, v14, v70, v69
.LBB323_542:                            ;   in Loop: Header=BB323_305 Depth=1
	s_or_b32 exec_lo, exec_lo, s25
.LBB323_543:                            ;   in Loop: Header=BB323_305 Depth=1
	s_delay_alu instid0(SALU_CYCLE_1)
	s_or_b32 exec_lo, exec_lo, s24
.LBB323_544:                            ;   in Loop: Header=BB323_305 Depth=1
	s_delay_alu instid0(SALU_CYCLE_1) | instskip(NEXT) | instid1(SALU_CYCLE_1)
	s_or_b32 exec_lo, exec_lo, s23
	s_mov_b32 s23, exec_lo
	v_cmpx_lt_u64_e64 s[2:3], v[22:23]
	s_cbranch_execz .LBB323_552
; %bb.545:                              ;   in Loop: Header=BB323_305 Depth=1
	v_lshrrev_b32_e32 v22, 24, v23
	v_bfrev_b32_e32 v25, 1
	s_mov_b32 s24, exec_lo
	s_delay_alu instid0(VALU_DEP_2)
	v_cmpx_ne_u32_e32 0x80, v22
	s_cbranch_execz .LBB323_551
; %bb.546:                              ;   in Loop: Header=BB323_305 Depth=1
	v_bfe_u32 v70, v23, 24, 7
	v_mov_b32_e32 v25, 0x7f800001
	s_mov_b32 s25, exec_lo
	s_delay_alu instid0(VALU_DEP_2)
	v_cmpx_ne_u32_e32 0x7f, v70
	s_cbranch_execz .LBB323_550
; %bb.547:                              ;   in Loop: Header=BB323_305 Depth=1
	v_and_b32_e32 v14, 7, v22
	v_lshrrev_b32_e32 v23, 3, v70
	s_mov_b32 s27, exec_lo
	v_cmpx_gt_u32_e32 8, v70
; %bb.548:                              ;   in Loop: Header=BB323_305 Depth=1
	s_delay_alu instid0(VALU_DEP_3) | instskip(NEXT) | instid1(VALU_DEP_1)
	v_clz_i32_u32_e32 v23, v14
	v_min_u32_e32 v23, 32, v23
	s_delay_alu instid0(VALU_DEP_1) | instskip(NEXT) | instid1(VALU_DEP_1)
	v_subrev_nc_u32_e32 v25, 28, v23
	v_lshlrev_b64_e32 v[70:71], v25, v[14:15]
	s_delay_alu instid0(VALU_DEP_1)
	v_dual_sub_nc_u32 v23, 29, v23 :: v_dual_bitop2_b32 v14, 7, v70 bitop3:0x40
; %bb.549:                              ;   in Loop: Header=BB323_305 Depth=1
	s_or_b32 exec_lo, exec_lo, s27
	v_lshlrev_b32_e32 v22, 24, v22
	s_delay_alu instid0(VALU_DEP_2) | instskip(NEXT) | instid1(VALU_DEP_3)
	v_lshlrev_b32_e32 v14, 20, v14
	v_lshl_add_u32 v23, v23, 23, 0x3c000000
	s_delay_alu instid0(VALU_DEP_3) | instskip(NEXT) | instid1(VALU_DEP_1)
	v_and_b32_e32 v22, 0x80000000, v22
	v_or3_b32 v25, v14, v22, v23
.LBB323_550:                            ;   in Loop: Header=BB323_305 Depth=1
	s_or_b32 exec_lo, exec_lo, s25
.LBB323_551:                            ;   in Loop: Header=BB323_305 Depth=1
	s_delay_alu instid0(SALU_CYCLE_1)
	s_or_b32 exec_lo, exec_lo, s24
.LBB323_552:                            ;   in Loop: Header=BB323_305 Depth=1
	s_delay_alu instid0(SALU_CYCLE_1)
	s_or_b32 exec_lo, exec_lo, s23
	v_fma_mixlo_bf16 v14, s22, v24, 0
	v_fma_mixlo_bf16 v22, s22, v68, 0
	;; [unrolled: 1-line block ×8, first 2 shown]
	s_and_saveexec_b32 s0, vcc_lo
	s_cbranch_execz .LBB323_303
; %bb.553:                              ;   in Loop: Header=BB323_305 Depth=1
	v_cmp_gt_i32_e32 vcc_lo, s34, v42
	v_cndmask_b32_e32 v64, 0, v64, vcc_lo
	v_cmp_gt_i32_e32 vcc_lo, s34, v49
	v_cndmask_b32_e32 v65, 0, v65, vcc_lo
	;; [unrolled: 2-line block ×8, first 2 shown]
	s_branch .LBB323_303
.LBB323_554:
	s_or_b32 exec_lo, exec_lo, s18
.LBB323_555:
	s_delay_alu instid0(SALU_CYCLE_1)
	s_or_b32 exec_lo, exec_lo, s1
	ds_bpermute_b32 v2, v29, v12
	ds_bpermute_b32 v3, v29, v13
	;; [unrolled: 1-line block ×4, first 2 shown]
	v_and_b32_e32 v7, 0x3c1, v0
	v_lshrrev_b32_e32 v6, 1, v28
	s_mov_b32 s0, exec_lo
	s_wait_dscnt 0x0
	s_barrier_signal -1
	s_barrier_wait -1
	v_pk_add_f32 v[2:3], v[12:13], v[2:3]
	v_cmpx_ne_u32_e32 64, v7
	s_xor_b32 s0, exec_lo, s0
	s_delay_alu instid0(SALU_CYCLE_1)
	s_or_saveexec_b32 s0, s0
	v_pk_add_f32 v[4:5], v[10:11], v[4:5]
	v_lshl_add_u32 v7, v6, 2, 0xa0
	v_lshlrev_b32_e32 v8, 8, v31
	s_xor_b32 exec_lo, exec_lo, s0
	s_cbranch_execz .LBB323_557
; %bb.556:
	s_delay_alu instid0(VALU_DEP_1) | instskip(NEXT) | instid1(VALU_DEP_1)
	v_add_nc_u32_e32 v9, v7, v8
	v_add_nc_u32_e32 v10, 0xfffffe00, v9
	;; [unrolled: 1-line block ×5, first 2 shown]
	ds_store_b32 v10, v2
	ds_store_b32 v11, v3
	;; [unrolled: 1-line block ×4, first 2 shown]
.LBB323_557:
	s_or_b32 exec_lo, exec_lo, s0
	v_lshlrev_b32_e32 v6, 2, v6
	s_mov_b32 s1, exec_lo
	v_cmp_eq_u32_e32 vcc_lo, 0, v30
	s_wait_dscnt 0x0
	s_barrier_signal -1
	v_add3_u32 v6, 0xa0, v8, v6
	s_barrier_wait -1
	v_cmpx_gt_u32_e32 64, v0
	s_cbranch_execz .LBB323_564
; %bb.558:
	s_and_saveexec_b32 s0, vcc_lo
	s_cbranch_execnz .LBB323_576
; %bb.559:
	s_or_b32 exec_lo, exec_lo, s0
	s_and_saveexec_b32 s0, vcc_lo
	s_cbranch_execnz .LBB323_577
.LBB323_560:
	s_or_b32 exec_lo, exec_lo, s0
	s_and_saveexec_b32 s0, vcc_lo
	s_cbranch_execnz .LBB323_578
.LBB323_561:
	s_or_b32 exec_lo, exec_lo, s0
	s_and_saveexec_b32 s0, vcc_lo
	s_cbranch_execz .LBB323_563
.LBB323_562:
	ds_load_b32 v8, v6 offset:192
	s_wait_dscnt 0x0
	v_add_f32_e32 v5, v5, v8
.LBB323_563:
	s_or_b32 exec_lo, exec_lo, s0
.LBB323_564:
	s_delay_alu instid0(SALU_CYCLE_1) | instskip(SKIP_4) | instid1(VALU_DEP_1)
	s_or_b32 exec_lo, exec_lo, s1
	v_and_b32_e32 v8, 0x3e1, v0
	s_mov_b32 s1, exec_lo
	s_barrier_signal -1
	s_barrier_wait -1
	v_cmpx_eq_u32_e32 32, v8
	s_cbranch_execz .LBB323_566
; %bb.565:
	ds_store_2addr_b32 v7, v2, v3 offset1:16
	ds_store_2addr_b32 v7, v4, v5 offset0:32 offset1:48
.LBB323_566:
	s_or_b32 exec_lo, exec_lo, s1
	s_delay_alu instid0(SALU_CYCLE_1)
	s_mov_b32 s1, exec_lo
	s_wait_dscnt 0x0
	s_barrier_signal -1
	s_barrier_wait -1
	v_cmpx_gt_u32_e32 32, v0
	s_cbranch_execz .LBB323_573
; %bb.567:
	s_and_saveexec_b32 s0, vcc_lo
	s_cbranch_execnz .LBB323_579
; %bb.568:
	s_or_b32 exec_lo, exec_lo, s0
	s_and_saveexec_b32 s0, vcc_lo
	s_cbranch_execnz .LBB323_580
.LBB323_569:
	s_or_b32 exec_lo, exec_lo, s0
	s_and_saveexec_b32 s0, vcc_lo
	s_cbranch_execnz .LBB323_581
.LBB323_570:
	s_or_b32 exec_lo, exec_lo, s0
	s_and_saveexec_b32 s0, vcc_lo
	s_cbranch_execz .LBB323_572
.LBB323_571:
	ds_load_b32 v0, v6 offset:192
	s_wait_dscnt 0x0
	v_add_f32_e32 v5, v5, v0
.LBB323_572:
	s_or_b32 exec_lo, exec_lo, s0
.LBB323_573:
	s_delay_alu instid0(SALU_CYCLE_1)
	s_or_b32 exec_lo, exec_lo, s1
	s_mov_b32 s1, 0
	s_barrier_signal -1
	s_barrier_wait -1
	s_mov_b32 s0, exec_lo
	v_cmpx_eq_u32_e32 0, v8
	s_cbranch_execz .LBB323_575
; %bb.574:
	s_mul_i32 s0, s33, s7
	s_mul_i32 s2, s7, s6
	;; [unrolled: 1-line block ×3, first 2 shown]
	s_wait_kmcnt 0x0
	s_lshr_b32 s8, ttmp7, 16
	s_lshl_b32 s6, s0, 6
	s_bfe_u32 s0, ttmp6, 0x40014
	s_ashr_i32 s7, s6, 31
	s_add_co_i32 s0, s0, 1
	s_ashr_i32 s3, s2, 31
	s_mul_i32 s0, s8, s0
	s_bfe_u32 s9, ttmp6, 0x40008
	s_lshl_b64 s[6:7], s[6:7], 1
	s_lshl_b64 s[2:3], s[2:3], 1
	s_add_co_i32 s9, s9, s0
	s_cmp_eq_u32 s30, 0
	s_add_nc_u64 s[4:5], s[4:5], s[6:7]
	s_cselect_b32 s0, s8, s9
	s_add_nc_u64 s[2:3], s[4:5], s[2:3]
	s_lshl_b32 s0, s0, 7
	s_delay_alu instid0(SALU_CYCLE_1) | instskip(NEXT) | instid1(SALU_CYCLE_1)
	s_add_nc_u64 s[0:1], s[2:3], s[0:1]
	v_cvt_pk_bf16_f32 v0, v2, s0
	v_cvt_pk_bf16_f32 v2, v3, s0
	;; [unrolled: 1-line block ×4, first 2 shown]
	s_clause 0x3
	global_store_b16 v1, v0, s[0:1] scale_offset
	global_store_b16 v1, v2, s[0:1] offset:32 scale_offset
	global_store_b16 v1, v3, s[0:1] offset:64 scale_offset
	;; [unrolled: 1-line block ×3, first 2 shown]
.LBB323_575:
	s_sendmsg sendmsg(MSG_DEALLOC_VGPRS)
	s_endpgm
.LBB323_576:
	ds_load_b32 v8, v6
	s_wait_dscnt 0x0
	v_add_f32_e32 v2, v2, v8
	s_or_b32 exec_lo, exec_lo, s0
	s_and_saveexec_b32 s0, vcc_lo
	s_cbranch_execz .LBB323_560
.LBB323_577:
	ds_load_b32 v8, v6 offset:64
	s_wait_dscnt 0x0
	v_add_f32_e32 v3, v3, v8
	s_or_b32 exec_lo, exec_lo, s0
	s_and_saveexec_b32 s0, vcc_lo
	s_cbranch_execz .LBB323_561
.LBB323_578:
	ds_load_b32 v8, v6 offset:128
	s_wait_dscnt 0x0
	v_add_f32_e32 v4, v4, v8
	s_or_b32 exec_lo, exec_lo, s0
	s_and_saveexec_b32 s0, vcc_lo
	s_cbranch_execnz .LBB323_562
	s_branch .LBB323_563
.LBB323_579:
	ds_load_b32 v0, v6
	s_wait_dscnt 0x0
	v_add_f32_e32 v2, v2, v0
	s_or_b32 exec_lo, exec_lo, s0
	s_and_saveexec_b32 s0, vcc_lo
	s_cbranch_execz .LBB323_569
.LBB323_580:
	ds_load_b32 v0, v6 offset:64
	s_wait_dscnt 0x0
	v_add_f32_e32 v3, v3, v0
	s_or_b32 exec_lo, exec_lo, s0
	s_and_saveexec_b32 s0, vcc_lo
	s_cbranch_execz .LBB323_570
.LBB323_581:
	ds_load_b32 v0, v6 offset:128
	s_wait_dscnt 0x0
	v_add_f32_e32 v4, v4, v0
	s_or_b32 exec_lo, exec_lo, s0
	s_and_saveexec_b32 s0, vcc_lo
	s_cbranch_execnz .LBB323_571
	s_branch .LBB323_572
	.section	.rodata,"a",@progbits
	.p2align	6, 0x0
	.amdhsa_kernel _ZN4vllm25paged_attention_v1_kernelI14__hip_bfloat16hLi64ELi16ELi128ELNS_18Fp8KVCacheDataTypeE1ELb1EEEvPT_PKS3_PKT0_S9_ifPKiSB_iPKfiiiSD_SD_iiiii
		.amdhsa_group_segment_fixed_size 160
		.amdhsa_private_segment_fixed_size 0
		.amdhsa_kernarg_size 384
		.amdhsa_user_sgpr_count 2
		.amdhsa_user_sgpr_dispatch_ptr 0
		.amdhsa_user_sgpr_queue_ptr 0
		.amdhsa_user_sgpr_kernarg_segment_ptr 1
		.amdhsa_user_sgpr_dispatch_id 0
		.amdhsa_user_sgpr_kernarg_preload_length 0
		.amdhsa_user_sgpr_kernarg_preload_offset 0
		.amdhsa_user_sgpr_private_segment_size 0
		.amdhsa_wavefront_size32 1
		.amdhsa_uses_dynamic_stack 0
		.amdhsa_enable_private_segment 0
		.amdhsa_system_sgpr_workgroup_id_x 1
		.amdhsa_system_sgpr_workgroup_id_y 1
		.amdhsa_system_sgpr_workgroup_id_z 1
		.amdhsa_system_sgpr_workgroup_info 0
		.amdhsa_system_vgpr_workitem_id 0
		.amdhsa_next_free_vgpr 74
		.amdhsa_next_free_sgpr 46
		.amdhsa_named_barrier_count 0
		.amdhsa_reserve_vcc 1
		.amdhsa_float_round_mode_32 0
		.amdhsa_float_round_mode_16_64 0
		.amdhsa_float_denorm_mode_32 3
		.amdhsa_float_denorm_mode_16_64 3
		.amdhsa_fp16_overflow 0
		.amdhsa_memory_ordered 1
		.amdhsa_forward_progress 1
		.amdhsa_inst_pref_size 163
		.amdhsa_round_robin_scheduling 0
		.amdhsa_exception_fp_ieee_invalid_op 0
		.amdhsa_exception_fp_denorm_src 0
		.amdhsa_exception_fp_ieee_div_zero 0
		.amdhsa_exception_fp_ieee_overflow 0
		.amdhsa_exception_fp_ieee_underflow 0
		.amdhsa_exception_fp_ieee_inexact 0
		.amdhsa_exception_int_div_zero 0
	.end_amdhsa_kernel
	.section	.text._ZN4vllm25paged_attention_v1_kernelI14__hip_bfloat16hLi64ELi16ELi128ELNS_18Fp8KVCacheDataTypeE1ELb1EEEvPT_PKS3_PKT0_S9_ifPKiSB_iPKfiiiSD_SD_iiiii,"axG",@progbits,_ZN4vllm25paged_attention_v1_kernelI14__hip_bfloat16hLi64ELi16ELi128ELNS_18Fp8KVCacheDataTypeE1ELb1EEEvPT_PKS3_PKT0_S9_ifPKiSB_iPKfiiiSD_SD_iiiii,comdat
.Lfunc_end323:
	.size	_ZN4vllm25paged_attention_v1_kernelI14__hip_bfloat16hLi64ELi16ELi128ELNS_18Fp8KVCacheDataTypeE1ELb1EEEvPT_PKS3_PKT0_S9_ifPKiSB_iPKfiiiSD_SD_iiiii, .Lfunc_end323-_ZN4vllm25paged_attention_v1_kernelI14__hip_bfloat16hLi64ELi16ELi128ELNS_18Fp8KVCacheDataTypeE1ELb1EEEvPT_PKS3_PKT0_S9_ifPKiSB_iPKfiiiSD_SD_iiiii
                                        ; -- End function
	.set _ZN4vllm25paged_attention_v1_kernelI14__hip_bfloat16hLi64ELi16ELi128ELNS_18Fp8KVCacheDataTypeE1ELb1EEEvPT_PKS3_PKT0_S9_ifPKiSB_iPKfiiiSD_SD_iiiii.num_vgpr, 74
	.set _ZN4vllm25paged_attention_v1_kernelI14__hip_bfloat16hLi64ELi16ELi128ELNS_18Fp8KVCacheDataTypeE1ELb1EEEvPT_PKS3_PKT0_S9_ifPKiSB_iPKfiiiSD_SD_iiiii.num_agpr, 0
	.set _ZN4vllm25paged_attention_v1_kernelI14__hip_bfloat16hLi64ELi16ELi128ELNS_18Fp8KVCacheDataTypeE1ELb1EEEvPT_PKS3_PKT0_S9_ifPKiSB_iPKfiiiSD_SD_iiiii.numbered_sgpr, 46
	.set _ZN4vllm25paged_attention_v1_kernelI14__hip_bfloat16hLi64ELi16ELi128ELNS_18Fp8KVCacheDataTypeE1ELb1EEEvPT_PKS3_PKT0_S9_ifPKiSB_iPKfiiiSD_SD_iiiii.num_named_barrier, 0
	.set _ZN4vllm25paged_attention_v1_kernelI14__hip_bfloat16hLi64ELi16ELi128ELNS_18Fp8KVCacheDataTypeE1ELb1EEEvPT_PKS3_PKT0_S9_ifPKiSB_iPKfiiiSD_SD_iiiii.private_seg_size, 0
	.set _ZN4vllm25paged_attention_v1_kernelI14__hip_bfloat16hLi64ELi16ELi128ELNS_18Fp8KVCacheDataTypeE1ELb1EEEvPT_PKS3_PKT0_S9_ifPKiSB_iPKfiiiSD_SD_iiiii.uses_vcc, 1
	.set _ZN4vllm25paged_attention_v1_kernelI14__hip_bfloat16hLi64ELi16ELi128ELNS_18Fp8KVCacheDataTypeE1ELb1EEEvPT_PKS3_PKT0_S9_ifPKiSB_iPKfiiiSD_SD_iiiii.uses_flat_scratch, 0
	.set _ZN4vllm25paged_attention_v1_kernelI14__hip_bfloat16hLi64ELi16ELi128ELNS_18Fp8KVCacheDataTypeE1ELb1EEEvPT_PKS3_PKT0_S9_ifPKiSB_iPKfiiiSD_SD_iiiii.has_dyn_sized_stack, 0
	.set _ZN4vllm25paged_attention_v1_kernelI14__hip_bfloat16hLi64ELi16ELi128ELNS_18Fp8KVCacheDataTypeE1ELb1EEEvPT_PKS3_PKT0_S9_ifPKiSB_iPKfiiiSD_SD_iiiii.has_recursion, 0
	.set _ZN4vllm25paged_attention_v1_kernelI14__hip_bfloat16hLi64ELi16ELi128ELNS_18Fp8KVCacheDataTypeE1ELb1EEEvPT_PKS3_PKT0_S9_ifPKiSB_iPKfiiiSD_SD_iiiii.has_indirect_call, 0
	.section	.AMDGPU.csdata,"",@progbits
; Kernel info:
; codeLenInByte = 20752
; TotalNumSgprs: 48
; NumVgprs: 74
; ScratchSize: 0
; MemoryBound: 0
; FloatMode: 240
; IeeeMode: 1
; LDSByteSize: 160 bytes/workgroup (compile time only)
; SGPRBlocks: 0
; VGPRBlocks: 4
; NumSGPRsForWavesPerEU: 48
; NumVGPRsForWavesPerEU: 74
; NamedBarCnt: 0
; Occupancy: 12
; WaveLimiterHint : 1
; COMPUTE_PGM_RSRC2:SCRATCH_EN: 0
; COMPUTE_PGM_RSRC2:USER_SGPR: 2
; COMPUTE_PGM_RSRC2:TRAP_HANDLER: 0
; COMPUTE_PGM_RSRC2:TGID_X_EN: 1
; COMPUTE_PGM_RSRC2:TGID_Y_EN: 1
; COMPUTE_PGM_RSRC2:TGID_Z_EN: 1
; COMPUTE_PGM_RSRC2:TIDIG_COMP_CNT: 0
	.section	.text._ZN4vllm25paged_attention_v1_kernelI14__hip_bfloat16hLi80ELi16ELi128ELNS_18Fp8KVCacheDataTypeE1ELb1EEEvPT_PKS3_PKT0_S9_ifPKiSB_iPKfiiiSD_SD_iiiii,"axG",@progbits,_ZN4vllm25paged_attention_v1_kernelI14__hip_bfloat16hLi80ELi16ELi128ELNS_18Fp8KVCacheDataTypeE1ELb1EEEvPT_PKS3_PKT0_S9_ifPKiSB_iPKfiiiSD_SD_iiiii,comdat
	.protected	_ZN4vllm25paged_attention_v1_kernelI14__hip_bfloat16hLi80ELi16ELi128ELNS_18Fp8KVCacheDataTypeE1ELb1EEEvPT_PKS3_PKT0_S9_ifPKiSB_iPKfiiiSD_SD_iiiii ; -- Begin function _ZN4vllm25paged_attention_v1_kernelI14__hip_bfloat16hLi80ELi16ELi128ELNS_18Fp8KVCacheDataTypeE1ELb1EEEvPT_PKS3_PKT0_S9_ifPKiSB_iPKfiiiSD_SD_iiiii
	.globl	_ZN4vllm25paged_attention_v1_kernelI14__hip_bfloat16hLi80ELi16ELi128ELNS_18Fp8KVCacheDataTypeE1ELb1EEEvPT_PKS3_PKT0_S9_ifPKiSB_iPKfiiiSD_SD_iiiii
	.p2align	8
	.type	_ZN4vllm25paged_attention_v1_kernelI14__hip_bfloat16hLi80ELi16ELi128ELNS_18Fp8KVCacheDataTypeE1ELb1EEEvPT_PKS3_PKT0_S9_ifPKiSB_iPKfiiiSD_SD_iiiii,@function
_ZN4vllm25paged_attention_v1_kernelI14__hip_bfloat16hLi80ELi16ELi128ELNS_18Fp8KVCacheDataTypeE1ELb1EEEvPT_PKS3_PKT0_S9_ifPKiSB_iPKfiiiSD_SD_iiiii: ; @_ZN4vllm25paged_attention_v1_kernelI14__hip_bfloat16hLi80ELi16ELi128ELNS_18Fp8KVCacheDataTypeE1ELb1EEEvPT_PKS3_PKT0_S9_ifPKiSB_iPKfiiiSD_SD_iiiii
; %bb.0:
	s_load_b64 s[26:27], s[0:1], 0x20
	s_bfe_u32 s3, ttmp6, 0x4000c
	s_bfe_u32 s4, ttmp6, 0x40010
	s_and_b32 s6, ttmp7, 0xffff
	s_add_co_i32 s3, s3, 1
	s_add_co_i32 s4, s4, 1
	s_and_b32 s2, ttmp6, 15
	s_bfe_u32 s5, ttmp6, 0x40004
	s_mul_i32 s3, ttmp9, s3
	s_mul_i32 s4, s6, s4
	s_getreg_b32 s30, hwreg(HW_REG_IB_STS2, 6, 4)
	s_add_co_i32 s2, s2, s3
	s_add_co_i32 s3, s5, s4
	s_cmp_eq_u32 s30, 0
	s_clause 0x1
	s_load_b32 s31, s[0:1], 0x80
	s_load_b64 s[4:5], s[0:1], 0x30
	s_cselect_b32 s33, s6, s3
	s_cselect_b32 s2, ttmp9, s2
	s_wait_kmcnt 0x0
	s_abs_i32 s3, s26
	s_delay_alu instid0(SALU_CYCLE_1) | instskip(SKIP_1) | instid1(SALU_CYCLE_2)
	s_cvt_f32_u32 s6, s3
	s_sub_co_i32 s7, 0, s3
	v_rcp_iflag_f32_e32 v1, s6
	s_abs_i32 s8, s31
	v_nop
	s_delay_alu instid0(TRANS32_DEP_1) | instskip(SKIP_1) | instid1(SALU_CYCLE_3)
	v_readfirstlane_b32 s6, v1
	s_mul_f32 s6, s6, 0x4f7ffffe
	s_cvt_u32_f32 s6, s6
	s_delay_alu instid0(SALU_CYCLE_3) | instskip(NEXT) | instid1(SALU_CYCLE_1)
	s_mul_i32 s7, s7, s6
	s_mul_hi_u32 s7, s6, s7
	s_delay_alu instid0(SALU_CYCLE_1) | instskip(SKIP_4) | instid1(SALU_CYCLE_1)
	s_add_co_i32 s6, s6, s7
	s_xor_b32 s7, s31, s26
	s_mul_hi_u32 s6, s8, s6
	s_ashr_i32 s7, s7, 31
	s_mul_i32 s9, s6, s3
	s_sub_co_i32 s8, s8, s9
	s_add_co_i32 s9, s6, 1
	s_sub_co_i32 s10, s8, s3
	s_cmp_ge_u32 s8, s3
	s_cselect_b32 s6, s9, s6
	s_cselect_b32 s8, s10, s8
	s_add_co_i32 s9, s6, 1
	s_cmp_ge_u32 s8, s3
	s_load_b64 s[10:11], s[0:1], 0x40
	s_cselect_b32 s3, s9, s6
	s_mov_b32 s9, 0
	s_xor_b32 s3, s3, s7
	s_abs_i32 s8, s2
	s_sub_co_i32 s12, s3, s7
	s_mov_b32 s7, s9
	s_abs_i32 s19, s12
	s_mov_b32 s36, s9
	s_cvt_f32_u32 s3, s19
	s_sub_co_i32 s6, 0, s19
	s_delay_alu instid0(SALU_CYCLE_2) | instskip(SKIP_1) | instid1(TRANS32_DEP_1)
	v_rcp_iflag_f32_e32 v1, s3
	v_nop
	v_readfirstlane_b32 s3, v1
	s_mul_f32 s3, s3, 0x4f7ffffe
	s_delay_alu instid0(SALU_CYCLE_3) | instskip(NEXT) | instid1(SALU_CYCLE_3)
	s_cvt_u32_f32 s3, s3
	s_mul_i32 s6, s6, s3
	s_delay_alu instid0(SALU_CYCLE_1) | instskip(NEXT) | instid1(SALU_CYCLE_1)
	s_mul_hi_u32 s6, s3, s6
	s_add_co_i32 s6, s3, s6
	s_wait_kmcnt 0x0
	s_cmp_eq_u64 s[10:11], 0
	s_cbranch_scc1 .LBB324_2
; %bb.1:
	s_ashr_i32 s3, s2, 31
	s_delay_alu instid0(SALU_CYCLE_1) | instskip(NEXT) | instid1(SALU_CYCLE_1)
	s_lshl_b64 s[14:15], s[2:3], 2
	s_add_nc_u64 s[10:11], s[10:11], s[14:15]
	s_load_b32 s36, s[10:11], 0x0
.LBB324_2:
	s_load_b32 s34, s[4:5], s33 offset:0x0 scale_offset
	s_load_b96 s[16:18], s[0:1], 0x48
	v_dual_lshrrev_b32 v1, 1, v0 :: v_dual_bitop2_b32 v34, 1, v0 bitop3:0x40
	s_wait_xcnt 0x0
	s_mul_u64 s[4:5], s[8:9], s[6:7]
	s_ashr_i32 s3, s2, 31
	s_ashr_i32 s10, s12, 31
	s_mul_i32 s6, s2, 0x50
	s_mov_b32 s4, exec_lo
	v_cmpx_gt_u32_e32 20, v0
	s_cbranch_execz .LBB324_4
; %bb.3:
	s_load_b64 s[12:13], s[0:1], 0x8
	s_wait_kmcnt 0x0
	s_mul_i32 s14, s16, s33
	s_ashr_i32 s7, s6, 31
	s_ashr_i32 s15, s14, 31
	v_lshlrev_b32_e32 v4, 3, v1
	s_lshl_b64 s[14:15], s[14:15], 1
	s_delay_alu instid0(VALU_DEP_1) | instskip(SKIP_2) | instid1(SALU_CYCLE_1)
	v_mad_u32_u24 v4, 0x50, v34, v4
	s_add_nc_u64 s[12:13], s[12:13], s[14:15]
	s_lshl_b64 s[14:15], s[6:7], 1
	s_add_nc_u64 s[12:13], s[12:13], s[14:15]
	global_load_b64 v[2:3], v0, s[12:13] scale_offset
	s_wait_loadcnt 0x0
	ds_store_b64 v4, v[2:3]
.LBB324_4:
	s_or_b32 exec_lo, exec_lo, s4
	s_load_b128 s[12:15], s[0:1], 0x68
	s_mul_i32 s4, s5, s19
	s_xor_b32 s3, s3, s10
	s_sub_co_i32 s4, s8, s4
	s_add_co_i32 s7, s5, 1
	s_sub_co_i32 s8, s4, s19
	s_cmp_ge_u32 s4, s19
	s_mov_b32 s9, -1
	s_cselect_b32 s5, s7, s5
	s_cselect_b32 s4, s8, s4
	s_add_co_i32 s8, s5, 1
	s_cmp_ge_u32 s4, s19
	s_load_b32 s7, s[0:1], 0x78
	s_cselect_b32 s4, s8, s5
	s_wait_kmcnt 0x0
	s_add_co_i32 s8, s34, -1
	s_xor_b32 s4, s4, s3
	s_wait_dscnt 0x0
	s_sub_co_i32 s3, s4, s3
	s_barrier_signal -1
	s_barrier_wait -1
	s_abs_i32 s16, s15
	s_delay_alu instid0(SALU_CYCLE_1) | instskip(NEXT) | instid1(SALU_CYCLE_3)
	s_cvt_f32_u32 s5, s16
                                        ; implicit-def: $sgpr35
	v_rcp_iflag_f32_e32 v2, s5
	v_nop
	s_delay_alu instid0(TRANS32_DEP_1) | instskip(SKIP_1) | instid1(SALU_CYCLE_3)
	v_readfirstlane_b32 s5, v2
	s_mul_f32 s4, s5, 0x4f7ffffe
	s_cvt_u32_f32 s10, s4
	s_sub_co_i32 s4, 0, s16
	s_delay_alu instid0(SALU_CYCLE_2)
	s_mul_i32 s5, s4, s10
	s_abs_i32 s4, s8
	s_mul_hi_u32 s11, s10, s5
	s_mov_b32 s5, 0
	s_add_co_i32 s20, s10, s11
	s_cmp_lt_i32 s7, 0
	s_mov_b32 s21, s5
	s_cbranch_scc0 .LBB324_6
; %bb.5:
	s_mul_i32 s9, s12, s26
	s_delay_alu instid0(SALU_CYCLE_1) | instskip(NEXT) | instid1(SALU_CYCLE_1)
	s_add_co_i32 s9, s3, s9
	s_mul_i32 s9, s9, s7
	s_delay_alu instid0(SALU_CYCLE_1)
	s_sub_co_i32 s35, 1, s9
	s_mov_b32 s9, s5
.LBB324_6:
	s_ashr_i32 s8, s8, 31
	s_ashr_i32 s15, s15, 31
	s_and_not1_b32 vcc_lo, exec_lo, s9
	s_mul_u64 s[28:29], s[4:5], s[20:21]
	s_cbranch_vccnz .LBB324_8
; %bb.7:
	s_mul_i32 s5, s31, s12
	s_delay_alu instid0(SALU_CYCLE_1) | instskip(NEXT) | instid1(SALU_CYCLE_1)
	s_add_co_i32 s2, s5, s2
	s_mul_i32 s2, s2, s7
	s_delay_alu instid0(SALU_CYCLE_1)
	s_add_co_i32 s35, s2, 1
.LBB324_8:
	s_clause 0x1
	s_load_b32 s2, s[0:1], 0x38
	s_load_b64 s[22:23], s[0:1], 0x28
	s_mul_i32 s7, s29, s16
	s_xor_b32 s5, s8, s15
	s_sub_co_i32 s4, s4, s7
	s_add_co_i32 s12, s29, 1
	s_clause 0x1
	s_load_b32 s7, s[0:1], 0x88
	s_load_b128 s[8:11], s[0:1], 0x58
	v_dual_lshrrev_b32 v35, 5, v0 :: v_dual_lshrrev_b32 v23, 3, v0
	v_mov_b32_e32 v39, 0xff7fffff
	v_mbcnt_lo_u32_b32 v36, -1, 0
	s_mul_i32 s18, s3, s18
	s_delay_alu instid0(VALU_DEP_3)
	v_lshlrev_b32_e32 v22, 4, v35
	s_wait_kmcnt 0x0
	s_mul_i32 s24, s2, s33
	s_sub_co_i32 s2, s4, s16
	s_ashr_i32 s25, s24, 31
	s_cmp_ge_u32 s4, s16
	s_cselect_b32 s12, s12, s29
	s_cselect_b32 s2, s2, s4
	s_add_co_i32 s4, s12, 1
	s_cmp_ge_u32 s2, s16
	s_cselect_b32 s2, s4, s12
	s_add_co_i32 s4, s34, 15
	s_delay_alu instid0(SALU_CYCLE_1) | instskip(NEXT) | instid1(SALU_CYCLE_1)
	s_ashr_i32 s12, s4, 31
	s_lshr_b32 s12, s12, 28
	s_delay_alu instid0(SALU_CYCLE_1) | instskip(NEXT) | instid1(SALU_CYCLE_1)
	s_add_co_i32 s4, s4, s12
	s_ashr_i32 s12, s4, 4
	s_xor_b32 s4, s2, s5
	v_cmp_gt_i32_e64 s2, s12, v35
	s_sub_co_i32 s26, s4, s5
	s_and_saveexec_b32 s37, s2
	s_cbranch_execz .LBB324_340
; %bb.9:
	s_load_b64 s[4:5], s[0:1], 0x10
	s_sub_co_i32 s38, s26, s13
	s_ashr_i32 s19, s18, 31
	s_cmp_neq_f32 s36, 0
	v_bfe_u32 v37, v0, 1, 4
	v_dual_mov_b32 v25, 0 :: v_dual_lshlrev_b32 v26, 4, v35
	s_cselect_b32 vcc_lo, -1, 0
	s_abs_i32 s39, s14
	s_delay_alu instid0(VALU_DEP_2)
	v_dual_lshlrev_b32 v24, 4, v37 :: v_dual_lshlrev_b32 v5, 2, v37
	s_cvt_f32_u32 s28, s39
	v_subrev_nc_u32_e32 v4, s34, v37
	s_lshl_b64 s[40:41], s[24:25], 2
	v_cmp_eq_u32_e64 s3, 0, v34
	v_rcp_iflag_f32_e32 v2, s28
	v_lshl_or_b32 v5, v35, 6, v5
	v_mul_u32_u24_e32 v38, 0x50, v34
	v_dual_mov_b32 v42, 0xff7fffff :: v_dual_mov_b32 v39, 0xff7fffff
	s_wait_kmcnt 0x0
	s_add_nc_u64 s[4:5], s[4:5], s[18:19]
	v_add_nc_u32_e32 v41, 0xc0, v5
	v_readfirstlane_b32 s28, v2
	v_add_nc_u64_e32 v[2:3], s[4:5], v[24:25]
	v_dual_lshlrev_b32 v24, 2, v34 :: v_dual_add_nc_u32 v40, 1, v4
	s_add_nc_u64 s[4:5], s[22:23], s[40:41]
	s_mul_f32 s19, s28, 0x4f7ffffe
	s_sub_co_i32 s28, 0, s39
	v_mov_b32_e32 v43, v35
	s_delay_alu instid0(VALU_DEP_3) | instskip(SKIP_4) | instid1(VALU_DEP_1)
	v_add_nc_u64_e32 v[28:29], v[2:3], v[24:25]
	v_and_b32_e32 v24, 0x7c, v23
	s_cvt_u32_f32 s40, s19
	s_mov_b32 s29, 0
	s_mov_b32 s19, s17
	v_add_nc_u64_e32 v[30:31], s[4:5], v[24:25]
	s_mul_i32 s28, s28, s40
	s_delay_alu instid0(SALU_CYCLE_1) | instskip(NEXT) | instid1(SALU_CYCLE_1)
	s_mul_hi_u32 s28, s40, s28
	s_add_co_i32 s28, s40, s28
	s_mov_b32 s40, s29
	s_branch .LBB324_12
.LBB324_10:                             ;   in Loop: Header=BB324_12 Depth=1
	s_or_b32 exec_lo, exec_lo, s41
.LBB324_11:                             ;   in Loop: Header=BB324_12 Depth=1
	s_delay_alu instid0(SALU_CYCLE_1) | instskip(SKIP_3) | instid1(VALU_DEP_3)
	s_or_b32 exec_lo, exec_lo, s5
	v_dual_add_nc_u32 v43, 4, v43 :: v_dual_add_nc_u32 v26, 64, v26
	v_add_nc_u64_e32 v[30:31], 16, v[30:31]
	v_add_nc_u32_e32 v41, 0x100, v41
	v_cmp_le_i32_e64 s4, s12, v43
	s_or_b32 s40, s4, s40
	s_delay_alu instid0(SALU_CYCLE_1)
	s_and_not1_b32 exec_lo, exec_lo, s40
	s_cbranch_execz .LBB324_339
.LBB324_12:                             ; =>This Inner Loop Header: Depth=1
	v_mov_b32_e32 v27, v25
	s_wait_dscnt 0x0
	s_delay_alu instid0(VALU_DEP_1) | instskip(NEXT) | instid1(VALU_DEP_1)
	v_mul_u64_e32 v[2:3], s[20:21], v[26:27]
	v_mul_lo_u32 v2, v3, s16
	s_delay_alu instid0(VALU_DEP_1) | instskip(NEXT) | instid1(VALU_DEP_1)
	v_sub_nc_u32_e32 v2, v26, v2
	v_subrev_nc_u32_e32 v5, s16, v2
	v_cmp_le_u32_e64 s4, s16, v2
	s_delay_alu instid0(VALU_DEP_1) | instskip(NEXT) | instid1(VALU_DEP_1)
	v_dual_add_nc_u32 v4, 1, v3 :: v_dual_cndmask_b32 v2, v2, v5, s4
	v_cndmask_b32_e64 v3, v3, v4, s4
	s_delay_alu instid0(VALU_DEP_2) | instskip(NEXT) | instid1(VALU_DEP_2)
	v_cmp_le_u32_e64 s4, s16, v2
	v_add_nc_u32_e32 v4, 1, v3
	s_delay_alu instid0(VALU_DEP_1) | instskip(NEXT) | instid1(VALU_DEP_1)
	v_cndmask_b32_e64 v2, v3, v4, s4
	v_xor_b32_e32 v2, s15, v2
	s_delay_alu instid0(VALU_DEP_1) | instskip(NEXT) | instid1(VALU_DEP_1)
	v_subrev_nc_u32_e32 v4, s15, v2
	v_add_nc_u32_e32 v5, s35, v4
	v_cmp_ge_i32_e64 s5, s38, v4
	s_delay_alu instid0(VALU_DEP_2) | instskip(NEXT) | instid1(VALU_DEP_1)
	v_sub_nc_u32_e32 v2, 0, v5
	v_dual_ashrrev_i32 v5, 31, v5 :: v_dual_max_i32 v24, v5, v2
	s_delay_alu instid0(VALU_DEP_1) | instskip(NEXT) | instid1(VALU_DEP_1)
	v_mul_u64_e32 v[2:3], s[28:29], v[24:25]
	v_mul_lo_u32 v2, v3, s39
	s_delay_alu instid0(VALU_DEP_1) | instskip(NEXT) | instid1(VALU_DEP_1)
	v_sub_nc_u32_e32 v2, v24, v2
	v_subrev_nc_u32_e32 v3, s39, v2
	v_cmp_le_u32_e64 s4, s39, v2
	s_delay_alu instid0(VALU_DEP_1) | instskip(NEXT) | instid1(VALU_DEP_1)
	v_cndmask_b32_e64 v2, v2, v3, s4
	v_subrev_nc_u32_e32 v3, s39, v2
	v_cmp_le_u32_e64 s4, s39, v2
	s_delay_alu instid0(VALU_DEP_1) | instskip(NEXT) | instid1(VALU_DEP_1)
	v_cndmask_b32_e64 v2, v2, v3, s4
	v_xor_b32_e32 v2, v2, v5
	s_delay_alu instid0(VALU_DEP_1) | instskip(NEXT) | instid1(VALU_DEP_1)
	v_sub_nc_u32_e32 v2, v2, v5
	v_cmp_ne_u32_e64 s4, 0, v2
	s_and_b32 s4, s4, s5
	s_delay_alu instid0(SALU_CYCLE_1) | instskip(NEXT) | instid1(SALU_CYCLE_1)
	s_and_saveexec_b32 s5, s4
	s_xor_b32 s4, exec_lo, s5
	s_cbranch_execz .LBB324_16
; %bb.13:                               ;   in Loop: Header=BB324_12 Depth=1
	s_and_saveexec_b32 s5, s3
; %bb.14:                               ;   in Loop: Header=BB324_12 Depth=1
	ds_store_b32 v41, v42
; %bb.15:                               ;   in Loop: Header=BB324_12 Depth=1
	s_or_b32 exec_lo, exec_lo, s5
.LBB324_16:                             ;   in Loop: Header=BB324_12 Depth=1
	s_and_not1_saveexec_b32 s5, s4
	s_cbranch_execz .LBB324_11
; %bb.17:                               ;   in Loop: Header=BB324_12 Depth=1
	global_load_b32 v2, v[30:31], off
	v_dual_mov_b32 v44, 0 :: v_dual_mov_b32 v27, 0
	s_mov_b32 s42, exec_lo
	s_wait_loadcnt 0x0
	v_mad_nc_i64_i32 v[32:33], v2, s19, v[28:29]
	global_load_b32 v47, v[32:33], off
	ds_load_b128 v[18:21], v38
	ds_load_b128 v[14:17], v38 offset:16
	ds_load_b128 v[10:13], v38 offset:32
	;; [unrolled: 1-line block ×4, first 2 shown]
	s_load_b32 s41, s[8:9], 0x0
	s_wait_loadcnt 0x0
	v_and_b32_e32 v24, 0xff, v47
	s_delay_alu instid0(VALU_DEP_1)
	v_cmpx_ne_u16_e32 0, v24
	s_cbranch_execz .LBB324_25
; %bb.18:                               ;   in Loop: Header=BB324_12 Depth=1
	v_bfrev_b32_e32 v27, 1
	s_mov_b32 s43, exec_lo
	v_cmpx_ne_u16_e32 0x80, v24
	s_cbranch_execz .LBB324_24
; %bb.19:                               ;   in Loop: Header=BB324_12 Depth=1
	v_and_b32_e32 v45, 0x7f, v47
	v_mov_b32_e32 v27, 0x7f800001
	s_mov_b32 s44, exec_lo
	s_delay_alu instid0(VALU_DEP_2)
	v_cmpx_ne_u32_e32 0x7f, v45
	s_cbranch_execz .LBB324_23
; %bb.20:                               ;   in Loop: Header=BB324_12 Depth=1
	v_dual_lshrrev_b32 v27, 3, v45 :: v_dual_bitop2_b32 v24, 7, v47 bitop3:0x40
	s_mov_b32 s45, exec_lo
	v_cmpx_gt_u32_e32 8, v45
; %bb.21:                               ;   in Loop: Header=BB324_12 Depth=1
	s_delay_alu instid0(VALU_DEP_2) | instskip(NEXT) | instid1(VALU_DEP_1)
	v_clz_i32_u32_e32 v27, v24
	v_min_u32_e32 v27, 32, v27
	s_delay_alu instid0(VALU_DEP_1) | instskip(NEXT) | instid1(VALU_DEP_1)
	v_subrev_nc_u32_e32 v45, 28, v27
	v_lshlrev_b64_e32 v[48:49], v45, v[24:25]
	s_delay_alu instid0(VALU_DEP_1)
	v_dual_sub_nc_u32 v27, 29, v27 :: v_dual_bitop2_b32 v24, 7, v48 bitop3:0x40
; %bb.22:                               ;   in Loop: Header=BB324_12 Depth=1
	s_or_b32 exec_lo, exec_lo, s45
	s_delay_alu instid0(VALU_DEP_1) | instskip(NEXT) | instid1(VALU_DEP_2)
	v_dual_lshlrev_b32 v45, 24, v47 :: v_dual_lshlrev_b32 v24, 20, v24
	v_lshl_add_u32 v27, v27, 23, 0x3c000000
	s_delay_alu instid0(VALU_DEP_2) | instskip(NEXT) | instid1(VALU_DEP_1)
	v_and_b32_e32 v45, 0x80000000, v45
	v_or3_b32 v27, v24, v45, v27
.LBB324_23:                             ;   in Loop: Header=BB324_12 Depth=1
	s_or_b32 exec_lo, exec_lo, s44
.LBB324_24:                             ;   in Loop: Header=BB324_12 Depth=1
	s_delay_alu instid0(SALU_CYCLE_1)
	s_or_b32 exec_lo, exec_lo, s43
.LBB324_25:                             ;   in Loop: Header=BB324_12 Depth=1
	s_delay_alu instid0(SALU_CYCLE_1) | instskip(SKIP_2) | instid1(VALU_DEP_1)
	s_or_b32 exec_lo, exec_lo, s42
	v_lshrrev_b16 v24, 8, v47
	s_mov_b32 s42, exec_lo
	v_cmpx_ne_u16_e32 0, v24
	s_cbranch_execz .LBB324_33
; %bb.26:                               ;   in Loop: Header=BB324_12 Depth=1
	v_bfrev_b32_e32 v44, 1
	s_mov_b32 s43, exec_lo
	v_cmpx_ne_u16_e32 0x80, v24
	s_cbranch_execz .LBB324_32
; %bb.27:                               ;   in Loop: Header=BB324_12 Depth=1
	v_and_b32_e32 v24, 0xffff, v24
	v_mov_b32_e32 v44, 0x7f800001
	s_mov_b32 s44, exec_lo
	s_delay_alu instid0(VALU_DEP_2) | instskip(NEXT) | instid1(VALU_DEP_1)
	v_and_b32_e32 v45, 0x7f, v24
	v_cmpx_ne_u32_e32 0x7f, v45
	s_cbranch_execz .LBB324_31
; %bb.28:                               ;   in Loop: Header=BB324_12 Depth=1
	v_dual_lshrrev_b32 v44, 3, v45 :: v_dual_bitop2_b32 v24, 7, v24 bitop3:0x40
	s_mov_b32 s45, exec_lo
	v_cmpx_gt_u32_e32 8, v45
; %bb.29:                               ;   in Loop: Header=BB324_12 Depth=1
	s_delay_alu instid0(VALU_DEP_2) | instskip(NEXT) | instid1(VALU_DEP_1)
	v_clz_i32_u32_e32 v44, v24
	v_min_u32_e32 v44, 32, v44
	s_delay_alu instid0(VALU_DEP_1) | instskip(SKIP_1) | instid1(VALU_DEP_2)
	v_subrev_nc_u32_e32 v45, 28, v44
	v_sub_nc_u32_e32 v44, 29, v44
	v_lshlrev_b64_e32 v[48:49], v45, v[24:25]
	s_delay_alu instid0(VALU_DEP_1)
	v_and_b32_e32 v24, 7, v48
; %bb.30:                               ;   in Loop: Header=BB324_12 Depth=1
	s_or_b32 exec_lo, exec_lo, s45
	s_delay_alu instid0(VALU_DEP_1) | instskip(SKIP_1) | instid1(VALU_DEP_2)
	v_dual_lshlrev_b32 v45, 16, v47 :: v_dual_lshlrev_b32 v24, 20, v24
	v_lshl_add_u32 v44, v44, 23, 0x3c000000
	v_and_b32_e32 v45, 0x80000000, v45
	s_delay_alu instid0(VALU_DEP_1)
	v_or3_b32 v44, v24, v45, v44
.LBB324_31:                             ;   in Loop: Header=BB324_12 Depth=1
	s_or_b32 exec_lo, exec_lo, s44
.LBB324_32:                             ;   in Loop: Header=BB324_12 Depth=1
	s_delay_alu instid0(SALU_CYCLE_1)
	s_or_b32 exec_lo, exec_lo, s43
.LBB324_33:                             ;   in Loop: Header=BB324_12 Depth=1
	s_delay_alu instid0(SALU_CYCLE_1) | instskip(SKIP_3) | instid1(VALU_DEP_2)
	s_or_b32 exec_lo, exec_lo, s42
	v_dual_mov_b32 v45, 0 :: v_dual_lshrrev_b32 v48, 16, v47
	v_mov_b32_e32 v46, 0
	s_mov_b32 s42, exec_lo
	v_and_b32_e32 v24, 0xff, v48
	s_delay_alu instid0(VALU_DEP_1)
	v_cmpx_ne_u16_e32 0, v24
	s_cbranch_execz .LBB324_41
; %bb.34:                               ;   in Loop: Header=BB324_12 Depth=1
	v_bfrev_b32_e32 v46, 1
	s_mov_b32 s43, exec_lo
	v_cmpx_ne_u16_e32 0x80, v24
	s_cbranch_execz .LBB324_40
; %bb.35:                               ;   in Loop: Header=BB324_12 Depth=1
	v_bfe_u32 v49, v47, 16, 7
	v_mov_b32_e32 v46, 0x7f800001
	s_mov_b32 s44, exec_lo
	s_delay_alu instid0(VALU_DEP_2)
	v_cmpx_ne_u32_e32 0x7f, v49
	s_cbranch_execz .LBB324_39
; %bb.36:                               ;   in Loop: Header=BB324_12 Depth=1
	v_dual_lshrrev_b32 v46, 3, v49 :: v_dual_bitop2_b32 v24, 7, v48 bitop3:0x40
	s_mov_b32 s45, exec_lo
	v_cmpx_gt_u32_e32 8, v49
; %bb.37:                               ;   in Loop: Header=BB324_12 Depth=1
	s_delay_alu instid0(VALU_DEP_2) | instskip(NEXT) | instid1(VALU_DEP_1)
	v_clz_i32_u32_e32 v46, v24
	v_min_u32_e32 v46, 32, v46
	s_delay_alu instid0(VALU_DEP_1) | instskip(SKIP_1) | instid1(VALU_DEP_2)
	v_subrev_nc_u32_e32 v49, 28, v46
	v_sub_nc_u32_e32 v46, 29, v46
	v_lshlrev_b64_e32 v[50:51], v49, v[24:25]
	s_delay_alu instid0(VALU_DEP_1)
	v_and_b32_e32 v24, 7, v50
; %bb.38:                               ;   in Loop: Header=BB324_12 Depth=1
	s_or_b32 exec_lo, exec_lo, s45
	v_lshlrev_b32_e32 v48, 24, v48
	s_delay_alu instid0(VALU_DEP_2) | instskip(SKIP_1) | instid1(VALU_DEP_3)
	v_lshlrev_b32_e32 v24, 20, v24
	v_lshl_add_u32 v46, v46, 23, 0x3c000000
	v_and_b32_e32 v48, 0x80000000, v48
	s_delay_alu instid0(VALU_DEP_1)
	v_or3_b32 v46, v24, v48, v46
.LBB324_39:                             ;   in Loop: Header=BB324_12 Depth=1
	s_or_b32 exec_lo, exec_lo, s44
.LBB324_40:                             ;   in Loop: Header=BB324_12 Depth=1
	s_delay_alu instid0(SALU_CYCLE_1)
	s_or_b32 exec_lo, exec_lo, s43
.LBB324_41:                             ;   in Loop: Header=BB324_12 Depth=1
	s_delay_alu instid0(SALU_CYCLE_1) | instskip(NEXT) | instid1(SALU_CYCLE_1)
	s_or_b32 exec_lo, exec_lo, s42
	s_mov_b32 s42, exec_lo
	v_cmpx_lt_u32_e32 0xffffff, v47
	s_cbranch_execz .LBB324_49
; %bb.42:                               ;   in Loop: Header=BB324_12 Depth=1
	v_lshrrev_b32_e32 v48, 24, v47
	v_bfrev_b32_e32 v45, 1
	s_mov_b32 s43, exec_lo
	s_delay_alu instid0(VALU_DEP_2)
	v_cmpx_ne_u32_e32 0x80, v48
	s_cbranch_execz .LBB324_48
; %bb.43:                               ;   in Loop: Header=BB324_12 Depth=1
	v_bfe_u32 v47, v47, 24, 7
	v_mov_b32_e32 v45, 0x7f800001
	s_mov_b32 s44, exec_lo
	s_delay_alu instid0(VALU_DEP_2)
	v_cmpx_ne_u32_e32 0x7f, v47
	s_cbranch_execz .LBB324_47
; %bb.44:                               ;   in Loop: Header=BB324_12 Depth=1
	v_dual_lshrrev_b32 v45, 3, v47 :: v_dual_bitop2_b32 v24, 7, v48 bitop3:0x40
	s_mov_b32 s45, exec_lo
	v_cmpx_gt_u32_e32 8, v47
; %bb.45:                               ;   in Loop: Header=BB324_12 Depth=1
	s_delay_alu instid0(VALU_DEP_2) | instskip(NEXT) | instid1(VALU_DEP_1)
	v_clz_i32_u32_e32 v45, v24
	v_min_u32_e32 v45, 32, v45
	s_delay_alu instid0(VALU_DEP_1) | instskip(NEXT) | instid1(VALU_DEP_1)
	v_subrev_nc_u32_e32 v47, 28, v45
	v_lshlrev_b64_e32 v[50:51], v47, v[24:25]
	s_delay_alu instid0(VALU_DEP_1)
	v_dual_sub_nc_u32 v45, 29, v45 :: v_dual_bitop2_b32 v24, 7, v50 bitop3:0x40
; %bb.46:                               ;   in Loop: Header=BB324_12 Depth=1
	s_or_b32 exec_lo, exec_lo, s45
	v_lshlrev_b32_e32 v47, 24, v48
	s_delay_alu instid0(VALU_DEP_2) | instskip(NEXT) | instid1(VALU_DEP_3)
	v_lshlrev_b32_e32 v24, 20, v24
	v_lshl_add_u32 v45, v45, 23, 0x3c000000
	s_delay_alu instid0(VALU_DEP_3) | instskip(NEXT) | instid1(VALU_DEP_1)
	v_and_b32_e32 v47, 0x80000000, v47
	v_or3_b32 v45, v24, v47, v45
.LBB324_47:                             ;   in Loop: Header=BB324_12 Depth=1
	s_or_b32 exec_lo, exec_lo, s44
.LBB324_48:                             ;   in Loop: Header=BB324_12 Depth=1
	s_delay_alu instid0(SALU_CYCLE_1)
	s_or_b32 exec_lo, exec_lo, s43
.LBB324_49:                             ;   in Loop: Header=BB324_12 Depth=1
	s_delay_alu instid0(SALU_CYCLE_1)
	s_or_b32 exec_lo, exec_lo, s42
	global_load_b32 v51, v[32:33], off offset:8
	v_dual_mov_b32 v48, 0 :: v_dual_mov_b32 v47, 0
	s_mov_b32 s42, exec_lo
	s_wait_loadcnt 0x0
	v_and_b32_e32 v24, 0xff, v51
	s_delay_alu instid0(VALU_DEP_1)
	v_cmpx_ne_u16_e32 0, v24
	s_cbranch_execz .LBB324_57
; %bb.50:                               ;   in Loop: Header=BB324_12 Depth=1
	v_bfrev_b32_e32 v47, 1
	s_mov_b32 s43, exec_lo
	v_cmpx_ne_u16_e32 0x80, v24
	s_cbranch_execz .LBB324_56
; %bb.51:                               ;   in Loop: Header=BB324_12 Depth=1
	v_and_b32_e32 v49, 0x7f, v51
	v_mov_b32_e32 v47, 0x7f800001
	s_mov_b32 s44, exec_lo
	s_delay_alu instid0(VALU_DEP_2)
	v_cmpx_ne_u32_e32 0x7f, v49
	s_cbranch_execz .LBB324_55
; %bb.52:                               ;   in Loop: Header=BB324_12 Depth=1
	v_dual_lshrrev_b32 v47, 3, v49 :: v_dual_bitop2_b32 v24, 7, v51 bitop3:0x40
	s_mov_b32 s45, exec_lo
	v_cmpx_gt_u32_e32 8, v49
; %bb.53:                               ;   in Loop: Header=BB324_12 Depth=1
	s_delay_alu instid0(VALU_DEP_2) | instskip(NEXT) | instid1(VALU_DEP_1)
	v_clz_i32_u32_e32 v47, v24
	v_min_u32_e32 v47, 32, v47
	s_delay_alu instid0(VALU_DEP_1) | instskip(NEXT) | instid1(VALU_DEP_1)
	v_subrev_nc_u32_e32 v49, 28, v47
	v_lshlrev_b64_e32 v[52:53], v49, v[24:25]
	s_delay_alu instid0(VALU_DEP_1)
	v_dual_sub_nc_u32 v47, 29, v47 :: v_dual_bitop2_b32 v24, 7, v52 bitop3:0x40
; %bb.54:                               ;   in Loop: Header=BB324_12 Depth=1
	s_or_b32 exec_lo, exec_lo, s45
	s_delay_alu instid0(VALU_DEP_1) | instskip(NEXT) | instid1(VALU_DEP_2)
	v_dual_lshlrev_b32 v49, 24, v51 :: v_dual_lshlrev_b32 v24, 20, v24
	v_lshl_add_u32 v47, v47, 23, 0x3c000000
	s_delay_alu instid0(VALU_DEP_2) | instskip(NEXT) | instid1(VALU_DEP_1)
	v_and_b32_e32 v49, 0x80000000, v49
	v_or3_b32 v47, v24, v49, v47
.LBB324_55:                             ;   in Loop: Header=BB324_12 Depth=1
	s_or_b32 exec_lo, exec_lo, s44
.LBB324_56:                             ;   in Loop: Header=BB324_12 Depth=1
	s_delay_alu instid0(SALU_CYCLE_1)
	s_or_b32 exec_lo, exec_lo, s43
.LBB324_57:                             ;   in Loop: Header=BB324_12 Depth=1
	s_delay_alu instid0(SALU_CYCLE_1) | instskip(SKIP_2) | instid1(VALU_DEP_1)
	s_or_b32 exec_lo, exec_lo, s42
	v_lshrrev_b16 v24, 8, v51
	s_mov_b32 s42, exec_lo
	v_cmpx_ne_u16_e32 0, v24
	s_cbranch_execz .LBB324_65
; %bb.58:                               ;   in Loop: Header=BB324_12 Depth=1
	v_bfrev_b32_e32 v48, 1
	s_mov_b32 s43, exec_lo
	v_cmpx_ne_u16_e32 0x80, v24
	s_cbranch_execz .LBB324_64
; %bb.59:                               ;   in Loop: Header=BB324_12 Depth=1
	v_and_b32_e32 v24, 0xffff, v24
	v_mov_b32_e32 v48, 0x7f800001
	s_mov_b32 s44, exec_lo
	s_delay_alu instid0(VALU_DEP_2) | instskip(NEXT) | instid1(VALU_DEP_1)
	v_and_b32_e32 v49, 0x7f, v24
	v_cmpx_ne_u32_e32 0x7f, v49
	s_cbranch_execz .LBB324_63
; %bb.60:                               ;   in Loop: Header=BB324_12 Depth=1
	v_dual_lshrrev_b32 v48, 3, v49 :: v_dual_bitop2_b32 v24, 7, v24 bitop3:0x40
	s_mov_b32 s45, exec_lo
	v_cmpx_gt_u32_e32 8, v49
; %bb.61:                               ;   in Loop: Header=BB324_12 Depth=1
	s_delay_alu instid0(VALU_DEP_2) | instskip(NEXT) | instid1(VALU_DEP_1)
	v_clz_i32_u32_e32 v48, v24
	v_min_u32_e32 v48, 32, v48
	s_delay_alu instid0(VALU_DEP_1) | instskip(SKIP_1) | instid1(VALU_DEP_2)
	v_subrev_nc_u32_e32 v49, 28, v48
	v_sub_nc_u32_e32 v48, 29, v48
	v_lshlrev_b64_e32 v[52:53], v49, v[24:25]
	s_delay_alu instid0(VALU_DEP_1)
	v_and_b32_e32 v24, 7, v52
; %bb.62:                               ;   in Loop: Header=BB324_12 Depth=1
	s_or_b32 exec_lo, exec_lo, s45
	s_delay_alu instid0(VALU_DEP_1) | instskip(SKIP_1) | instid1(VALU_DEP_2)
	v_dual_lshlrev_b32 v49, 16, v51 :: v_dual_lshlrev_b32 v24, 20, v24
	v_lshl_add_u32 v48, v48, 23, 0x3c000000
	v_and_b32_e32 v49, 0x80000000, v49
	s_delay_alu instid0(VALU_DEP_1)
	v_or3_b32 v48, v24, v49, v48
.LBB324_63:                             ;   in Loop: Header=BB324_12 Depth=1
	s_or_b32 exec_lo, exec_lo, s44
.LBB324_64:                             ;   in Loop: Header=BB324_12 Depth=1
	s_delay_alu instid0(SALU_CYCLE_1)
	s_or_b32 exec_lo, exec_lo, s43
.LBB324_65:                             ;   in Loop: Header=BB324_12 Depth=1
	s_delay_alu instid0(SALU_CYCLE_1) | instskip(SKIP_3) | instid1(VALU_DEP_2)
	s_or_b32 exec_lo, exec_lo, s42
	v_dual_mov_b32 v49, 0 :: v_dual_lshrrev_b32 v52, 16, v51
	v_mov_b32_e32 v50, 0
	s_mov_b32 s42, exec_lo
	v_and_b32_e32 v24, 0xff, v52
	s_delay_alu instid0(VALU_DEP_1)
	v_cmpx_ne_u16_e32 0, v24
	s_cbranch_execz .LBB324_73
; %bb.66:                               ;   in Loop: Header=BB324_12 Depth=1
	v_bfrev_b32_e32 v50, 1
	s_mov_b32 s43, exec_lo
	v_cmpx_ne_u16_e32 0x80, v24
	s_cbranch_execz .LBB324_72
; %bb.67:                               ;   in Loop: Header=BB324_12 Depth=1
	v_bfe_u32 v53, v51, 16, 7
	v_mov_b32_e32 v50, 0x7f800001
	s_mov_b32 s44, exec_lo
	s_delay_alu instid0(VALU_DEP_2)
	v_cmpx_ne_u32_e32 0x7f, v53
	s_cbranch_execz .LBB324_71
; %bb.68:                               ;   in Loop: Header=BB324_12 Depth=1
	v_dual_lshrrev_b32 v50, 3, v53 :: v_dual_bitop2_b32 v24, 7, v52 bitop3:0x40
	s_mov_b32 s45, exec_lo
	v_cmpx_gt_u32_e32 8, v53
; %bb.69:                               ;   in Loop: Header=BB324_12 Depth=1
	s_delay_alu instid0(VALU_DEP_2) | instskip(NEXT) | instid1(VALU_DEP_1)
	v_clz_i32_u32_e32 v50, v24
	v_min_u32_e32 v50, 32, v50
	s_delay_alu instid0(VALU_DEP_1) | instskip(SKIP_1) | instid1(VALU_DEP_2)
	v_subrev_nc_u32_e32 v53, 28, v50
	v_sub_nc_u32_e32 v50, 29, v50
	v_lshlrev_b64_e32 v[54:55], v53, v[24:25]
	s_delay_alu instid0(VALU_DEP_1)
	v_and_b32_e32 v24, 7, v54
; %bb.70:                               ;   in Loop: Header=BB324_12 Depth=1
	s_or_b32 exec_lo, exec_lo, s45
	v_lshlrev_b32_e32 v52, 24, v52
	s_delay_alu instid0(VALU_DEP_2) | instskip(SKIP_1) | instid1(VALU_DEP_3)
	v_lshlrev_b32_e32 v24, 20, v24
	v_lshl_add_u32 v50, v50, 23, 0x3c000000
	v_and_b32_e32 v52, 0x80000000, v52
	s_delay_alu instid0(VALU_DEP_1)
	v_or3_b32 v50, v24, v52, v50
.LBB324_71:                             ;   in Loop: Header=BB324_12 Depth=1
	s_or_b32 exec_lo, exec_lo, s44
.LBB324_72:                             ;   in Loop: Header=BB324_12 Depth=1
	s_delay_alu instid0(SALU_CYCLE_1)
	s_or_b32 exec_lo, exec_lo, s43
.LBB324_73:                             ;   in Loop: Header=BB324_12 Depth=1
	s_delay_alu instid0(SALU_CYCLE_1) | instskip(NEXT) | instid1(SALU_CYCLE_1)
	s_or_b32 exec_lo, exec_lo, s42
	s_mov_b32 s42, exec_lo
	v_cmpx_lt_u32_e32 0xffffff, v51
	s_cbranch_execz .LBB324_81
; %bb.74:                               ;   in Loop: Header=BB324_12 Depth=1
	v_lshrrev_b32_e32 v52, 24, v51
	v_bfrev_b32_e32 v49, 1
	s_mov_b32 s43, exec_lo
	s_delay_alu instid0(VALU_DEP_2)
	v_cmpx_ne_u32_e32 0x80, v52
	s_cbranch_execz .LBB324_80
; %bb.75:                               ;   in Loop: Header=BB324_12 Depth=1
	v_bfe_u32 v51, v51, 24, 7
	v_mov_b32_e32 v49, 0x7f800001
	s_mov_b32 s44, exec_lo
	s_delay_alu instid0(VALU_DEP_2)
	v_cmpx_ne_u32_e32 0x7f, v51
	s_cbranch_execz .LBB324_79
; %bb.76:                               ;   in Loop: Header=BB324_12 Depth=1
	v_dual_lshrrev_b32 v49, 3, v51 :: v_dual_bitop2_b32 v24, 7, v52 bitop3:0x40
	s_mov_b32 s45, exec_lo
	v_cmpx_gt_u32_e32 8, v51
; %bb.77:                               ;   in Loop: Header=BB324_12 Depth=1
	s_delay_alu instid0(VALU_DEP_2) | instskip(NEXT) | instid1(VALU_DEP_1)
	v_clz_i32_u32_e32 v49, v24
	v_min_u32_e32 v49, 32, v49
	s_delay_alu instid0(VALU_DEP_1) | instskip(NEXT) | instid1(VALU_DEP_1)
	v_subrev_nc_u32_e32 v51, 28, v49
	v_lshlrev_b64_e32 v[54:55], v51, v[24:25]
	s_delay_alu instid0(VALU_DEP_1)
	v_dual_sub_nc_u32 v49, 29, v49 :: v_dual_bitop2_b32 v24, 7, v54 bitop3:0x40
; %bb.78:                               ;   in Loop: Header=BB324_12 Depth=1
	s_or_b32 exec_lo, exec_lo, s45
	v_lshlrev_b32_e32 v51, 24, v52
	s_delay_alu instid0(VALU_DEP_2) | instskip(NEXT) | instid1(VALU_DEP_3)
	v_lshlrev_b32_e32 v24, 20, v24
	v_lshl_add_u32 v49, v49, 23, 0x3c000000
	s_delay_alu instid0(VALU_DEP_3) | instskip(NEXT) | instid1(VALU_DEP_1)
	v_and_b32_e32 v51, 0x80000000, v51
	v_or3_b32 v49, v24, v51, v49
.LBB324_79:                             ;   in Loop: Header=BB324_12 Depth=1
	s_or_b32 exec_lo, exec_lo, s44
.LBB324_80:                             ;   in Loop: Header=BB324_12 Depth=1
	s_delay_alu instid0(SALU_CYCLE_1)
	s_or_b32 exec_lo, exec_lo, s43
.LBB324_81:                             ;   in Loop: Header=BB324_12 Depth=1
	s_delay_alu instid0(SALU_CYCLE_1)
	s_or_b32 exec_lo, exec_lo, s42
	global_load_b32 v55, v[32:33], off offset:256
	v_dual_mov_b32 v52, 0 :: v_dual_mov_b32 v51, 0
	s_mov_b32 s42, exec_lo
	s_wait_loadcnt 0x0
	v_and_b32_e32 v24, 0xff, v55
	s_delay_alu instid0(VALU_DEP_1)
	v_cmpx_ne_u16_e32 0, v24
	s_cbranch_execz .LBB324_89
; %bb.82:                               ;   in Loop: Header=BB324_12 Depth=1
	v_bfrev_b32_e32 v51, 1
	s_mov_b32 s43, exec_lo
	v_cmpx_ne_u16_e32 0x80, v24
	s_cbranch_execz .LBB324_88
; %bb.83:                               ;   in Loop: Header=BB324_12 Depth=1
	v_and_b32_e32 v53, 0x7f, v55
	v_mov_b32_e32 v51, 0x7f800001
	s_mov_b32 s44, exec_lo
	s_delay_alu instid0(VALU_DEP_2)
	v_cmpx_ne_u32_e32 0x7f, v53
	s_cbranch_execz .LBB324_87
; %bb.84:                               ;   in Loop: Header=BB324_12 Depth=1
	v_dual_lshrrev_b32 v51, 3, v53 :: v_dual_bitop2_b32 v24, 7, v55 bitop3:0x40
	s_mov_b32 s45, exec_lo
	v_cmpx_gt_u32_e32 8, v53
; %bb.85:                               ;   in Loop: Header=BB324_12 Depth=1
	s_delay_alu instid0(VALU_DEP_2) | instskip(NEXT) | instid1(VALU_DEP_1)
	v_clz_i32_u32_e32 v51, v24
	v_min_u32_e32 v51, 32, v51
	s_delay_alu instid0(VALU_DEP_1) | instskip(NEXT) | instid1(VALU_DEP_1)
	v_subrev_nc_u32_e32 v53, 28, v51
	v_lshlrev_b64_e32 v[56:57], v53, v[24:25]
	s_delay_alu instid0(VALU_DEP_1)
	v_dual_sub_nc_u32 v51, 29, v51 :: v_dual_bitop2_b32 v24, 7, v56 bitop3:0x40
; %bb.86:                               ;   in Loop: Header=BB324_12 Depth=1
	s_or_b32 exec_lo, exec_lo, s45
	s_delay_alu instid0(VALU_DEP_1) | instskip(NEXT) | instid1(VALU_DEP_2)
	v_dual_lshlrev_b32 v53, 24, v55 :: v_dual_lshlrev_b32 v24, 20, v24
	v_lshl_add_u32 v51, v51, 23, 0x3c000000
	s_delay_alu instid0(VALU_DEP_2) | instskip(NEXT) | instid1(VALU_DEP_1)
	v_and_b32_e32 v53, 0x80000000, v53
	v_or3_b32 v51, v24, v53, v51
.LBB324_87:                             ;   in Loop: Header=BB324_12 Depth=1
	s_or_b32 exec_lo, exec_lo, s44
.LBB324_88:                             ;   in Loop: Header=BB324_12 Depth=1
	s_delay_alu instid0(SALU_CYCLE_1)
	s_or_b32 exec_lo, exec_lo, s43
.LBB324_89:                             ;   in Loop: Header=BB324_12 Depth=1
	s_delay_alu instid0(SALU_CYCLE_1) | instskip(SKIP_2) | instid1(VALU_DEP_1)
	s_or_b32 exec_lo, exec_lo, s42
	v_lshrrev_b16 v24, 8, v55
	s_mov_b32 s42, exec_lo
	v_cmpx_ne_u16_e32 0, v24
	s_cbranch_execz .LBB324_97
; %bb.90:                               ;   in Loop: Header=BB324_12 Depth=1
	v_bfrev_b32_e32 v52, 1
	s_mov_b32 s43, exec_lo
	v_cmpx_ne_u16_e32 0x80, v24
	s_cbranch_execz .LBB324_96
; %bb.91:                               ;   in Loop: Header=BB324_12 Depth=1
	v_and_b32_e32 v24, 0xffff, v24
	v_mov_b32_e32 v52, 0x7f800001
	s_mov_b32 s44, exec_lo
	s_delay_alu instid0(VALU_DEP_2) | instskip(NEXT) | instid1(VALU_DEP_1)
	v_and_b32_e32 v53, 0x7f, v24
	v_cmpx_ne_u32_e32 0x7f, v53
	s_cbranch_execz .LBB324_95
; %bb.92:                               ;   in Loop: Header=BB324_12 Depth=1
	v_dual_lshrrev_b32 v52, 3, v53 :: v_dual_bitop2_b32 v24, 7, v24 bitop3:0x40
	s_mov_b32 s45, exec_lo
	v_cmpx_gt_u32_e32 8, v53
; %bb.93:                               ;   in Loop: Header=BB324_12 Depth=1
	s_delay_alu instid0(VALU_DEP_2) | instskip(NEXT) | instid1(VALU_DEP_1)
	v_clz_i32_u32_e32 v52, v24
	v_min_u32_e32 v52, 32, v52
	s_delay_alu instid0(VALU_DEP_1) | instskip(SKIP_1) | instid1(VALU_DEP_2)
	v_subrev_nc_u32_e32 v53, 28, v52
	v_sub_nc_u32_e32 v52, 29, v52
	v_lshlrev_b64_e32 v[56:57], v53, v[24:25]
	s_delay_alu instid0(VALU_DEP_1)
	v_and_b32_e32 v24, 7, v56
; %bb.94:                               ;   in Loop: Header=BB324_12 Depth=1
	s_or_b32 exec_lo, exec_lo, s45
	s_delay_alu instid0(VALU_DEP_1) | instskip(SKIP_1) | instid1(VALU_DEP_2)
	v_dual_lshlrev_b32 v53, 16, v55 :: v_dual_lshlrev_b32 v24, 20, v24
	v_lshl_add_u32 v52, v52, 23, 0x3c000000
	v_and_b32_e32 v53, 0x80000000, v53
	s_delay_alu instid0(VALU_DEP_1)
	v_or3_b32 v52, v24, v53, v52
.LBB324_95:                             ;   in Loop: Header=BB324_12 Depth=1
	s_or_b32 exec_lo, exec_lo, s44
.LBB324_96:                             ;   in Loop: Header=BB324_12 Depth=1
	s_delay_alu instid0(SALU_CYCLE_1)
	s_or_b32 exec_lo, exec_lo, s43
.LBB324_97:                             ;   in Loop: Header=BB324_12 Depth=1
	s_delay_alu instid0(SALU_CYCLE_1) | instskip(SKIP_3) | instid1(VALU_DEP_2)
	s_or_b32 exec_lo, exec_lo, s42
	v_dual_mov_b32 v53, 0 :: v_dual_lshrrev_b32 v56, 16, v55
	v_mov_b32_e32 v54, 0
	s_mov_b32 s42, exec_lo
	v_and_b32_e32 v24, 0xff, v56
	s_delay_alu instid0(VALU_DEP_1)
	v_cmpx_ne_u16_e32 0, v24
	s_cbranch_execz .LBB324_105
; %bb.98:                               ;   in Loop: Header=BB324_12 Depth=1
	v_bfrev_b32_e32 v54, 1
	s_mov_b32 s43, exec_lo
	v_cmpx_ne_u16_e32 0x80, v24
	s_cbranch_execz .LBB324_104
; %bb.99:                               ;   in Loop: Header=BB324_12 Depth=1
	v_bfe_u32 v57, v55, 16, 7
	v_mov_b32_e32 v54, 0x7f800001
	s_mov_b32 s44, exec_lo
	s_delay_alu instid0(VALU_DEP_2)
	v_cmpx_ne_u32_e32 0x7f, v57
	s_cbranch_execz .LBB324_103
; %bb.100:                              ;   in Loop: Header=BB324_12 Depth=1
	v_dual_lshrrev_b32 v54, 3, v57 :: v_dual_bitop2_b32 v24, 7, v56 bitop3:0x40
	s_mov_b32 s45, exec_lo
	v_cmpx_gt_u32_e32 8, v57
; %bb.101:                              ;   in Loop: Header=BB324_12 Depth=1
	s_delay_alu instid0(VALU_DEP_2) | instskip(NEXT) | instid1(VALU_DEP_1)
	v_clz_i32_u32_e32 v54, v24
	v_min_u32_e32 v54, 32, v54
	s_delay_alu instid0(VALU_DEP_1) | instskip(SKIP_1) | instid1(VALU_DEP_2)
	v_subrev_nc_u32_e32 v57, 28, v54
	v_sub_nc_u32_e32 v54, 29, v54
	v_lshlrev_b64_e32 v[58:59], v57, v[24:25]
	s_delay_alu instid0(VALU_DEP_1)
	v_and_b32_e32 v24, 7, v58
; %bb.102:                              ;   in Loop: Header=BB324_12 Depth=1
	s_or_b32 exec_lo, exec_lo, s45
	v_lshlrev_b32_e32 v56, 24, v56
	s_delay_alu instid0(VALU_DEP_2) | instskip(SKIP_1) | instid1(VALU_DEP_3)
	v_lshlrev_b32_e32 v24, 20, v24
	v_lshl_add_u32 v54, v54, 23, 0x3c000000
	v_and_b32_e32 v56, 0x80000000, v56
	s_delay_alu instid0(VALU_DEP_1)
	v_or3_b32 v54, v24, v56, v54
.LBB324_103:                            ;   in Loop: Header=BB324_12 Depth=1
	s_or_b32 exec_lo, exec_lo, s44
.LBB324_104:                            ;   in Loop: Header=BB324_12 Depth=1
	s_delay_alu instid0(SALU_CYCLE_1)
	s_or_b32 exec_lo, exec_lo, s43
.LBB324_105:                            ;   in Loop: Header=BB324_12 Depth=1
	s_delay_alu instid0(SALU_CYCLE_1) | instskip(NEXT) | instid1(SALU_CYCLE_1)
	s_or_b32 exec_lo, exec_lo, s42
	s_mov_b32 s42, exec_lo
	v_cmpx_lt_u32_e32 0xffffff, v55
	s_cbranch_execz .LBB324_113
; %bb.106:                              ;   in Loop: Header=BB324_12 Depth=1
	v_lshrrev_b32_e32 v56, 24, v55
	v_bfrev_b32_e32 v53, 1
	s_mov_b32 s43, exec_lo
	s_delay_alu instid0(VALU_DEP_2)
	v_cmpx_ne_u32_e32 0x80, v56
	s_cbranch_execz .LBB324_112
; %bb.107:                              ;   in Loop: Header=BB324_12 Depth=1
	v_bfe_u32 v55, v55, 24, 7
	v_mov_b32_e32 v53, 0x7f800001
	s_mov_b32 s44, exec_lo
	s_delay_alu instid0(VALU_DEP_2)
	v_cmpx_ne_u32_e32 0x7f, v55
	s_cbranch_execz .LBB324_111
; %bb.108:                              ;   in Loop: Header=BB324_12 Depth=1
	v_dual_lshrrev_b32 v53, 3, v55 :: v_dual_bitop2_b32 v24, 7, v56 bitop3:0x40
	s_mov_b32 s45, exec_lo
	v_cmpx_gt_u32_e32 8, v55
; %bb.109:                              ;   in Loop: Header=BB324_12 Depth=1
	s_delay_alu instid0(VALU_DEP_2) | instskip(NEXT) | instid1(VALU_DEP_1)
	v_clz_i32_u32_e32 v53, v24
	v_min_u32_e32 v53, 32, v53
	s_delay_alu instid0(VALU_DEP_1) | instskip(NEXT) | instid1(VALU_DEP_1)
	v_subrev_nc_u32_e32 v55, 28, v53
	v_lshlrev_b64_e32 v[58:59], v55, v[24:25]
	s_delay_alu instid0(VALU_DEP_1)
	v_dual_sub_nc_u32 v53, 29, v53 :: v_dual_bitop2_b32 v24, 7, v58 bitop3:0x40
; %bb.110:                              ;   in Loop: Header=BB324_12 Depth=1
	s_or_b32 exec_lo, exec_lo, s45
	v_lshlrev_b32_e32 v55, 24, v56
	s_delay_alu instid0(VALU_DEP_2) | instskip(NEXT) | instid1(VALU_DEP_3)
	v_lshlrev_b32_e32 v24, 20, v24
	v_lshl_add_u32 v53, v53, 23, 0x3c000000
	s_delay_alu instid0(VALU_DEP_3) | instskip(NEXT) | instid1(VALU_DEP_1)
	v_and_b32_e32 v55, 0x80000000, v55
	v_or3_b32 v53, v24, v55, v53
.LBB324_111:                            ;   in Loop: Header=BB324_12 Depth=1
	s_or_b32 exec_lo, exec_lo, s44
.LBB324_112:                            ;   in Loop: Header=BB324_12 Depth=1
	s_delay_alu instid0(SALU_CYCLE_1)
	s_or_b32 exec_lo, exec_lo, s43
.LBB324_113:                            ;   in Loop: Header=BB324_12 Depth=1
	s_delay_alu instid0(SALU_CYCLE_1)
	s_or_b32 exec_lo, exec_lo, s42
	global_load_b32 v59, v[32:33], off offset:264
	v_dual_mov_b32 v56, 0 :: v_dual_mov_b32 v55, 0
	s_mov_b32 s42, exec_lo
	s_wait_loadcnt 0x0
	v_and_b32_e32 v24, 0xff, v59
	s_delay_alu instid0(VALU_DEP_1)
	v_cmpx_ne_u16_e32 0, v24
	s_cbranch_execz .LBB324_121
; %bb.114:                              ;   in Loop: Header=BB324_12 Depth=1
	v_bfrev_b32_e32 v55, 1
	s_mov_b32 s43, exec_lo
	v_cmpx_ne_u16_e32 0x80, v24
	s_cbranch_execz .LBB324_120
; %bb.115:                              ;   in Loop: Header=BB324_12 Depth=1
	v_and_b32_e32 v57, 0x7f, v59
	v_mov_b32_e32 v55, 0x7f800001
	s_mov_b32 s44, exec_lo
	s_delay_alu instid0(VALU_DEP_2)
	v_cmpx_ne_u32_e32 0x7f, v57
	s_cbranch_execz .LBB324_119
; %bb.116:                              ;   in Loop: Header=BB324_12 Depth=1
	v_dual_lshrrev_b32 v55, 3, v57 :: v_dual_bitop2_b32 v24, 7, v59 bitop3:0x40
	s_mov_b32 s45, exec_lo
	v_cmpx_gt_u32_e32 8, v57
; %bb.117:                              ;   in Loop: Header=BB324_12 Depth=1
	s_delay_alu instid0(VALU_DEP_2) | instskip(NEXT) | instid1(VALU_DEP_1)
	v_clz_i32_u32_e32 v55, v24
	v_min_u32_e32 v55, 32, v55
	s_delay_alu instid0(VALU_DEP_1) | instskip(NEXT) | instid1(VALU_DEP_1)
	v_subrev_nc_u32_e32 v57, 28, v55
	v_lshlrev_b64_e32 v[60:61], v57, v[24:25]
	s_delay_alu instid0(VALU_DEP_1)
	v_dual_sub_nc_u32 v55, 29, v55 :: v_dual_bitop2_b32 v24, 7, v60 bitop3:0x40
; %bb.118:                              ;   in Loop: Header=BB324_12 Depth=1
	s_or_b32 exec_lo, exec_lo, s45
	s_delay_alu instid0(VALU_DEP_1) | instskip(NEXT) | instid1(VALU_DEP_2)
	v_dual_lshlrev_b32 v57, 24, v59 :: v_dual_lshlrev_b32 v24, 20, v24
	v_lshl_add_u32 v55, v55, 23, 0x3c000000
	s_delay_alu instid0(VALU_DEP_2) | instskip(NEXT) | instid1(VALU_DEP_1)
	v_and_b32_e32 v57, 0x80000000, v57
	v_or3_b32 v55, v24, v57, v55
.LBB324_119:                            ;   in Loop: Header=BB324_12 Depth=1
	s_or_b32 exec_lo, exec_lo, s44
.LBB324_120:                            ;   in Loop: Header=BB324_12 Depth=1
	s_delay_alu instid0(SALU_CYCLE_1)
	s_or_b32 exec_lo, exec_lo, s43
.LBB324_121:                            ;   in Loop: Header=BB324_12 Depth=1
	s_delay_alu instid0(SALU_CYCLE_1) | instskip(SKIP_2) | instid1(VALU_DEP_1)
	s_or_b32 exec_lo, exec_lo, s42
	v_lshrrev_b16 v24, 8, v59
	s_mov_b32 s42, exec_lo
	v_cmpx_ne_u16_e32 0, v24
	s_cbranch_execz .LBB324_129
; %bb.122:                              ;   in Loop: Header=BB324_12 Depth=1
	v_bfrev_b32_e32 v56, 1
	s_mov_b32 s43, exec_lo
	v_cmpx_ne_u16_e32 0x80, v24
	s_cbranch_execz .LBB324_128
; %bb.123:                              ;   in Loop: Header=BB324_12 Depth=1
	v_and_b32_e32 v24, 0xffff, v24
	v_mov_b32_e32 v56, 0x7f800001
	s_mov_b32 s44, exec_lo
	s_delay_alu instid0(VALU_DEP_2) | instskip(NEXT) | instid1(VALU_DEP_1)
	v_and_b32_e32 v57, 0x7f, v24
	v_cmpx_ne_u32_e32 0x7f, v57
	s_cbranch_execz .LBB324_127
; %bb.124:                              ;   in Loop: Header=BB324_12 Depth=1
	v_dual_lshrrev_b32 v56, 3, v57 :: v_dual_bitop2_b32 v24, 7, v24 bitop3:0x40
	s_mov_b32 s45, exec_lo
	v_cmpx_gt_u32_e32 8, v57
; %bb.125:                              ;   in Loop: Header=BB324_12 Depth=1
	s_delay_alu instid0(VALU_DEP_2) | instskip(NEXT) | instid1(VALU_DEP_1)
	v_clz_i32_u32_e32 v56, v24
	v_min_u32_e32 v56, 32, v56
	s_delay_alu instid0(VALU_DEP_1) | instskip(SKIP_1) | instid1(VALU_DEP_2)
	v_subrev_nc_u32_e32 v57, 28, v56
	v_sub_nc_u32_e32 v56, 29, v56
	v_lshlrev_b64_e32 v[60:61], v57, v[24:25]
	s_delay_alu instid0(VALU_DEP_1)
	v_and_b32_e32 v24, 7, v60
; %bb.126:                              ;   in Loop: Header=BB324_12 Depth=1
	s_or_b32 exec_lo, exec_lo, s45
	s_delay_alu instid0(VALU_DEP_1) | instskip(SKIP_1) | instid1(VALU_DEP_2)
	v_dual_lshlrev_b32 v57, 16, v59 :: v_dual_lshlrev_b32 v24, 20, v24
	v_lshl_add_u32 v56, v56, 23, 0x3c000000
	v_and_b32_e32 v57, 0x80000000, v57
	s_delay_alu instid0(VALU_DEP_1)
	v_or3_b32 v56, v24, v57, v56
.LBB324_127:                            ;   in Loop: Header=BB324_12 Depth=1
	s_or_b32 exec_lo, exec_lo, s44
.LBB324_128:                            ;   in Loop: Header=BB324_12 Depth=1
	s_delay_alu instid0(SALU_CYCLE_1)
	s_or_b32 exec_lo, exec_lo, s43
.LBB324_129:                            ;   in Loop: Header=BB324_12 Depth=1
	s_delay_alu instid0(SALU_CYCLE_1) | instskip(SKIP_3) | instid1(VALU_DEP_2)
	s_or_b32 exec_lo, exec_lo, s42
	v_dual_mov_b32 v57, 0 :: v_dual_lshrrev_b32 v60, 16, v59
	v_mov_b32_e32 v58, 0
	s_mov_b32 s42, exec_lo
	v_and_b32_e32 v24, 0xff, v60
	s_delay_alu instid0(VALU_DEP_1)
	v_cmpx_ne_u16_e32 0, v24
	s_cbranch_execz .LBB324_137
; %bb.130:                              ;   in Loop: Header=BB324_12 Depth=1
	v_bfrev_b32_e32 v58, 1
	s_mov_b32 s43, exec_lo
	v_cmpx_ne_u16_e32 0x80, v24
	s_cbranch_execz .LBB324_136
; %bb.131:                              ;   in Loop: Header=BB324_12 Depth=1
	v_bfe_u32 v61, v59, 16, 7
	v_mov_b32_e32 v58, 0x7f800001
	s_mov_b32 s44, exec_lo
	s_delay_alu instid0(VALU_DEP_2)
	v_cmpx_ne_u32_e32 0x7f, v61
	s_cbranch_execz .LBB324_135
; %bb.132:                              ;   in Loop: Header=BB324_12 Depth=1
	v_dual_lshrrev_b32 v58, 3, v61 :: v_dual_bitop2_b32 v24, 7, v60 bitop3:0x40
	s_mov_b32 s45, exec_lo
	v_cmpx_gt_u32_e32 8, v61
; %bb.133:                              ;   in Loop: Header=BB324_12 Depth=1
	s_delay_alu instid0(VALU_DEP_2) | instskip(NEXT) | instid1(VALU_DEP_1)
	v_clz_i32_u32_e32 v58, v24
	v_min_u32_e32 v58, 32, v58
	s_delay_alu instid0(VALU_DEP_1) | instskip(SKIP_1) | instid1(VALU_DEP_2)
	v_subrev_nc_u32_e32 v61, 28, v58
	v_sub_nc_u32_e32 v58, 29, v58
	v_lshlrev_b64_e32 v[62:63], v61, v[24:25]
	s_delay_alu instid0(VALU_DEP_1)
	v_and_b32_e32 v24, 7, v62
; %bb.134:                              ;   in Loop: Header=BB324_12 Depth=1
	s_or_b32 exec_lo, exec_lo, s45
	v_lshlrev_b32_e32 v60, 24, v60
	s_delay_alu instid0(VALU_DEP_2) | instskip(SKIP_1) | instid1(VALU_DEP_3)
	v_lshlrev_b32_e32 v24, 20, v24
	v_lshl_add_u32 v58, v58, 23, 0x3c000000
	v_and_b32_e32 v60, 0x80000000, v60
	s_delay_alu instid0(VALU_DEP_1)
	v_or3_b32 v58, v24, v60, v58
.LBB324_135:                            ;   in Loop: Header=BB324_12 Depth=1
	s_or_b32 exec_lo, exec_lo, s44
.LBB324_136:                            ;   in Loop: Header=BB324_12 Depth=1
	s_delay_alu instid0(SALU_CYCLE_1)
	s_or_b32 exec_lo, exec_lo, s43
.LBB324_137:                            ;   in Loop: Header=BB324_12 Depth=1
	s_delay_alu instid0(SALU_CYCLE_1) | instskip(NEXT) | instid1(SALU_CYCLE_1)
	s_or_b32 exec_lo, exec_lo, s42
	s_mov_b32 s42, exec_lo
	v_cmpx_lt_u32_e32 0xffffff, v59
	s_cbranch_execz .LBB324_145
; %bb.138:                              ;   in Loop: Header=BB324_12 Depth=1
	v_lshrrev_b32_e32 v60, 24, v59
	v_bfrev_b32_e32 v57, 1
	s_mov_b32 s43, exec_lo
	s_delay_alu instid0(VALU_DEP_2)
	v_cmpx_ne_u32_e32 0x80, v60
	s_cbranch_execz .LBB324_144
; %bb.139:                              ;   in Loop: Header=BB324_12 Depth=1
	v_bfe_u32 v59, v59, 24, 7
	v_mov_b32_e32 v57, 0x7f800001
	s_mov_b32 s44, exec_lo
	s_delay_alu instid0(VALU_DEP_2)
	v_cmpx_ne_u32_e32 0x7f, v59
	s_cbranch_execz .LBB324_143
; %bb.140:                              ;   in Loop: Header=BB324_12 Depth=1
	v_dual_lshrrev_b32 v57, 3, v59 :: v_dual_bitop2_b32 v24, 7, v60 bitop3:0x40
	s_mov_b32 s45, exec_lo
	v_cmpx_gt_u32_e32 8, v59
; %bb.141:                              ;   in Loop: Header=BB324_12 Depth=1
	s_delay_alu instid0(VALU_DEP_2) | instskip(NEXT) | instid1(VALU_DEP_1)
	v_clz_i32_u32_e32 v57, v24
	v_min_u32_e32 v57, 32, v57
	s_delay_alu instid0(VALU_DEP_1) | instskip(NEXT) | instid1(VALU_DEP_1)
	v_subrev_nc_u32_e32 v59, 28, v57
	v_lshlrev_b64_e32 v[62:63], v59, v[24:25]
	s_delay_alu instid0(VALU_DEP_1)
	v_dual_sub_nc_u32 v57, 29, v57 :: v_dual_bitop2_b32 v24, 7, v62 bitop3:0x40
; %bb.142:                              ;   in Loop: Header=BB324_12 Depth=1
	s_or_b32 exec_lo, exec_lo, s45
	v_lshlrev_b32_e32 v59, 24, v60
	s_delay_alu instid0(VALU_DEP_2) | instskip(NEXT) | instid1(VALU_DEP_3)
	v_lshlrev_b32_e32 v24, 20, v24
	v_lshl_add_u32 v57, v57, 23, 0x3c000000
	s_delay_alu instid0(VALU_DEP_3) | instskip(NEXT) | instid1(VALU_DEP_1)
	v_and_b32_e32 v59, 0x80000000, v59
	v_or3_b32 v57, v24, v59, v57
.LBB324_143:                            ;   in Loop: Header=BB324_12 Depth=1
	s_or_b32 exec_lo, exec_lo, s44
.LBB324_144:                            ;   in Loop: Header=BB324_12 Depth=1
	s_delay_alu instid0(SALU_CYCLE_1)
	s_or_b32 exec_lo, exec_lo, s43
.LBB324_145:                            ;   in Loop: Header=BB324_12 Depth=1
	s_delay_alu instid0(SALU_CYCLE_1)
	s_or_b32 exec_lo, exec_lo, s42
	global_load_b32 v63, v[32:33], off offset:512
	v_dual_mov_b32 v60, 0 :: v_dual_mov_b32 v59, 0
	s_mov_b32 s42, exec_lo
	s_wait_loadcnt 0x0
	v_and_b32_e32 v24, 0xff, v63
	s_delay_alu instid0(VALU_DEP_1)
	v_cmpx_ne_u16_e32 0, v24
	s_cbranch_execz .LBB324_153
; %bb.146:                              ;   in Loop: Header=BB324_12 Depth=1
	v_bfrev_b32_e32 v59, 1
	s_mov_b32 s43, exec_lo
	v_cmpx_ne_u16_e32 0x80, v24
	s_cbranch_execz .LBB324_152
; %bb.147:                              ;   in Loop: Header=BB324_12 Depth=1
	v_and_b32_e32 v61, 0x7f, v63
	v_mov_b32_e32 v59, 0x7f800001
	s_mov_b32 s44, exec_lo
	s_delay_alu instid0(VALU_DEP_2)
	v_cmpx_ne_u32_e32 0x7f, v61
	s_cbranch_execz .LBB324_151
; %bb.148:                              ;   in Loop: Header=BB324_12 Depth=1
	v_dual_lshrrev_b32 v59, 3, v61 :: v_dual_bitop2_b32 v24, 7, v63 bitop3:0x40
	s_mov_b32 s45, exec_lo
	v_cmpx_gt_u32_e32 8, v61
; %bb.149:                              ;   in Loop: Header=BB324_12 Depth=1
	s_delay_alu instid0(VALU_DEP_2) | instskip(NEXT) | instid1(VALU_DEP_1)
	v_clz_i32_u32_e32 v59, v24
	v_min_u32_e32 v59, 32, v59
	s_delay_alu instid0(VALU_DEP_1) | instskip(NEXT) | instid1(VALU_DEP_1)
	v_subrev_nc_u32_e32 v61, 28, v59
	v_lshlrev_b64_e32 v[64:65], v61, v[24:25]
	s_delay_alu instid0(VALU_DEP_1)
	v_dual_sub_nc_u32 v59, 29, v59 :: v_dual_bitop2_b32 v24, 7, v64 bitop3:0x40
; %bb.150:                              ;   in Loop: Header=BB324_12 Depth=1
	s_or_b32 exec_lo, exec_lo, s45
	s_delay_alu instid0(VALU_DEP_1) | instskip(NEXT) | instid1(VALU_DEP_2)
	v_dual_lshlrev_b32 v61, 24, v63 :: v_dual_lshlrev_b32 v24, 20, v24
	v_lshl_add_u32 v59, v59, 23, 0x3c000000
	s_delay_alu instid0(VALU_DEP_2) | instskip(NEXT) | instid1(VALU_DEP_1)
	v_and_b32_e32 v61, 0x80000000, v61
	v_or3_b32 v59, v24, v61, v59
.LBB324_151:                            ;   in Loop: Header=BB324_12 Depth=1
	s_or_b32 exec_lo, exec_lo, s44
.LBB324_152:                            ;   in Loop: Header=BB324_12 Depth=1
	s_delay_alu instid0(SALU_CYCLE_1)
	s_or_b32 exec_lo, exec_lo, s43
.LBB324_153:                            ;   in Loop: Header=BB324_12 Depth=1
	s_delay_alu instid0(SALU_CYCLE_1) | instskip(SKIP_2) | instid1(VALU_DEP_1)
	s_or_b32 exec_lo, exec_lo, s42
	v_lshrrev_b16 v24, 8, v63
	s_mov_b32 s42, exec_lo
	v_cmpx_ne_u16_e32 0, v24
	s_cbranch_execz .LBB324_161
; %bb.154:                              ;   in Loop: Header=BB324_12 Depth=1
	v_bfrev_b32_e32 v60, 1
	s_mov_b32 s43, exec_lo
	v_cmpx_ne_u16_e32 0x80, v24
	s_cbranch_execz .LBB324_160
; %bb.155:                              ;   in Loop: Header=BB324_12 Depth=1
	v_and_b32_e32 v24, 0xffff, v24
	v_mov_b32_e32 v60, 0x7f800001
	s_mov_b32 s44, exec_lo
	s_delay_alu instid0(VALU_DEP_2) | instskip(NEXT) | instid1(VALU_DEP_1)
	v_and_b32_e32 v61, 0x7f, v24
	v_cmpx_ne_u32_e32 0x7f, v61
	s_cbranch_execz .LBB324_159
; %bb.156:                              ;   in Loop: Header=BB324_12 Depth=1
	v_dual_lshrrev_b32 v60, 3, v61 :: v_dual_bitop2_b32 v24, 7, v24 bitop3:0x40
	s_mov_b32 s45, exec_lo
	v_cmpx_gt_u32_e32 8, v61
; %bb.157:                              ;   in Loop: Header=BB324_12 Depth=1
	s_delay_alu instid0(VALU_DEP_2) | instskip(NEXT) | instid1(VALU_DEP_1)
	v_clz_i32_u32_e32 v60, v24
	v_min_u32_e32 v60, 32, v60
	s_delay_alu instid0(VALU_DEP_1) | instskip(SKIP_1) | instid1(VALU_DEP_2)
	v_subrev_nc_u32_e32 v61, 28, v60
	v_sub_nc_u32_e32 v60, 29, v60
	v_lshlrev_b64_e32 v[64:65], v61, v[24:25]
	s_delay_alu instid0(VALU_DEP_1)
	v_and_b32_e32 v24, 7, v64
; %bb.158:                              ;   in Loop: Header=BB324_12 Depth=1
	s_or_b32 exec_lo, exec_lo, s45
	s_delay_alu instid0(VALU_DEP_1) | instskip(SKIP_1) | instid1(VALU_DEP_2)
	v_dual_lshlrev_b32 v61, 16, v63 :: v_dual_lshlrev_b32 v24, 20, v24
	v_lshl_add_u32 v60, v60, 23, 0x3c000000
	v_and_b32_e32 v61, 0x80000000, v61
	s_delay_alu instid0(VALU_DEP_1)
	v_or3_b32 v60, v24, v61, v60
.LBB324_159:                            ;   in Loop: Header=BB324_12 Depth=1
	s_or_b32 exec_lo, exec_lo, s44
.LBB324_160:                            ;   in Loop: Header=BB324_12 Depth=1
	s_delay_alu instid0(SALU_CYCLE_1)
	s_or_b32 exec_lo, exec_lo, s43
.LBB324_161:                            ;   in Loop: Header=BB324_12 Depth=1
	s_delay_alu instid0(SALU_CYCLE_1) | instskip(SKIP_3) | instid1(VALU_DEP_2)
	s_or_b32 exec_lo, exec_lo, s42
	v_dual_mov_b32 v61, 0 :: v_dual_lshrrev_b32 v64, 16, v63
	v_mov_b32_e32 v62, 0
	s_mov_b32 s42, exec_lo
	v_and_b32_e32 v24, 0xff, v64
	s_delay_alu instid0(VALU_DEP_1)
	v_cmpx_ne_u16_e32 0, v24
	s_cbranch_execz .LBB324_169
; %bb.162:                              ;   in Loop: Header=BB324_12 Depth=1
	v_bfrev_b32_e32 v62, 1
	s_mov_b32 s43, exec_lo
	v_cmpx_ne_u16_e32 0x80, v24
	s_cbranch_execz .LBB324_168
; %bb.163:                              ;   in Loop: Header=BB324_12 Depth=1
	v_bfe_u32 v65, v63, 16, 7
	v_mov_b32_e32 v62, 0x7f800001
	s_mov_b32 s44, exec_lo
	s_delay_alu instid0(VALU_DEP_2)
	v_cmpx_ne_u32_e32 0x7f, v65
	s_cbranch_execz .LBB324_167
; %bb.164:                              ;   in Loop: Header=BB324_12 Depth=1
	v_dual_lshrrev_b32 v62, 3, v65 :: v_dual_bitop2_b32 v24, 7, v64 bitop3:0x40
	s_mov_b32 s45, exec_lo
	v_cmpx_gt_u32_e32 8, v65
; %bb.165:                              ;   in Loop: Header=BB324_12 Depth=1
	s_delay_alu instid0(VALU_DEP_2) | instskip(NEXT) | instid1(VALU_DEP_1)
	v_clz_i32_u32_e32 v62, v24
	v_min_u32_e32 v62, 32, v62
	s_delay_alu instid0(VALU_DEP_1) | instskip(SKIP_1) | instid1(VALU_DEP_2)
	v_subrev_nc_u32_e32 v65, 28, v62
	v_sub_nc_u32_e32 v62, 29, v62
	v_lshlrev_b64_e32 v[66:67], v65, v[24:25]
	s_delay_alu instid0(VALU_DEP_1)
	v_and_b32_e32 v24, 7, v66
; %bb.166:                              ;   in Loop: Header=BB324_12 Depth=1
	s_or_b32 exec_lo, exec_lo, s45
	v_lshlrev_b32_e32 v64, 24, v64
	s_delay_alu instid0(VALU_DEP_2) | instskip(SKIP_1) | instid1(VALU_DEP_3)
	v_lshlrev_b32_e32 v24, 20, v24
	v_lshl_add_u32 v62, v62, 23, 0x3c000000
	v_and_b32_e32 v64, 0x80000000, v64
	s_delay_alu instid0(VALU_DEP_1)
	v_or3_b32 v62, v24, v64, v62
.LBB324_167:                            ;   in Loop: Header=BB324_12 Depth=1
	s_or_b32 exec_lo, exec_lo, s44
.LBB324_168:                            ;   in Loop: Header=BB324_12 Depth=1
	s_delay_alu instid0(SALU_CYCLE_1)
	s_or_b32 exec_lo, exec_lo, s43
.LBB324_169:                            ;   in Loop: Header=BB324_12 Depth=1
	s_delay_alu instid0(SALU_CYCLE_1) | instskip(NEXT) | instid1(SALU_CYCLE_1)
	s_or_b32 exec_lo, exec_lo, s42
	s_mov_b32 s42, exec_lo
	v_cmpx_lt_u32_e32 0xffffff, v63
	s_cbranch_execz .LBB324_177
; %bb.170:                              ;   in Loop: Header=BB324_12 Depth=1
	v_lshrrev_b32_e32 v64, 24, v63
	v_bfrev_b32_e32 v61, 1
	s_mov_b32 s43, exec_lo
	s_delay_alu instid0(VALU_DEP_2)
	v_cmpx_ne_u32_e32 0x80, v64
	s_cbranch_execz .LBB324_176
; %bb.171:                              ;   in Loop: Header=BB324_12 Depth=1
	v_bfe_u32 v63, v63, 24, 7
	v_mov_b32_e32 v61, 0x7f800001
	s_mov_b32 s44, exec_lo
	s_delay_alu instid0(VALU_DEP_2)
	v_cmpx_ne_u32_e32 0x7f, v63
	s_cbranch_execz .LBB324_175
; %bb.172:                              ;   in Loop: Header=BB324_12 Depth=1
	v_dual_lshrrev_b32 v61, 3, v63 :: v_dual_bitop2_b32 v24, 7, v64 bitop3:0x40
	s_mov_b32 s45, exec_lo
	v_cmpx_gt_u32_e32 8, v63
; %bb.173:                              ;   in Loop: Header=BB324_12 Depth=1
	s_delay_alu instid0(VALU_DEP_2) | instskip(NEXT) | instid1(VALU_DEP_1)
	v_clz_i32_u32_e32 v61, v24
	v_min_u32_e32 v61, 32, v61
	s_delay_alu instid0(VALU_DEP_1) | instskip(NEXT) | instid1(VALU_DEP_1)
	v_subrev_nc_u32_e32 v63, 28, v61
	v_lshlrev_b64_e32 v[66:67], v63, v[24:25]
	s_delay_alu instid0(VALU_DEP_1)
	v_dual_sub_nc_u32 v61, 29, v61 :: v_dual_bitop2_b32 v24, 7, v66 bitop3:0x40
; %bb.174:                              ;   in Loop: Header=BB324_12 Depth=1
	s_or_b32 exec_lo, exec_lo, s45
	v_lshlrev_b32_e32 v63, 24, v64
	s_delay_alu instid0(VALU_DEP_2) | instskip(NEXT) | instid1(VALU_DEP_3)
	v_lshlrev_b32_e32 v24, 20, v24
	v_lshl_add_u32 v61, v61, 23, 0x3c000000
	s_delay_alu instid0(VALU_DEP_3) | instskip(NEXT) | instid1(VALU_DEP_1)
	v_and_b32_e32 v63, 0x80000000, v63
	v_or3_b32 v61, v24, v63, v61
.LBB324_175:                            ;   in Loop: Header=BB324_12 Depth=1
	s_or_b32 exec_lo, exec_lo, s44
.LBB324_176:                            ;   in Loop: Header=BB324_12 Depth=1
	s_delay_alu instid0(SALU_CYCLE_1)
	s_or_b32 exec_lo, exec_lo, s43
.LBB324_177:                            ;   in Loop: Header=BB324_12 Depth=1
	s_delay_alu instid0(SALU_CYCLE_1)
	s_or_b32 exec_lo, exec_lo, s42
	global_load_b32 v67, v[32:33], off offset:520
	v_dual_mov_b32 v64, 0 :: v_dual_mov_b32 v63, 0
	s_mov_b32 s42, exec_lo
	s_wait_loadcnt 0x0
	v_and_b32_e32 v24, 0xff, v67
	s_delay_alu instid0(VALU_DEP_1)
	v_cmpx_ne_u16_e32 0, v24
	s_cbranch_execz .LBB324_185
; %bb.178:                              ;   in Loop: Header=BB324_12 Depth=1
	v_bfrev_b32_e32 v63, 1
	s_mov_b32 s43, exec_lo
	v_cmpx_ne_u16_e32 0x80, v24
	s_cbranch_execz .LBB324_184
; %bb.179:                              ;   in Loop: Header=BB324_12 Depth=1
	v_and_b32_e32 v65, 0x7f, v67
	v_mov_b32_e32 v63, 0x7f800001
	s_mov_b32 s44, exec_lo
	s_delay_alu instid0(VALU_DEP_2)
	v_cmpx_ne_u32_e32 0x7f, v65
	s_cbranch_execz .LBB324_183
; %bb.180:                              ;   in Loop: Header=BB324_12 Depth=1
	v_dual_lshrrev_b32 v63, 3, v65 :: v_dual_bitop2_b32 v24, 7, v67 bitop3:0x40
	s_mov_b32 s45, exec_lo
	v_cmpx_gt_u32_e32 8, v65
; %bb.181:                              ;   in Loop: Header=BB324_12 Depth=1
	s_delay_alu instid0(VALU_DEP_2) | instskip(NEXT) | instid1(VALU_DEP_1)
	v_clz_i32_u32_e32 v63, v24
	v_min_u32_e32 v63, 32, v63
	s_delay_alu instid0(VALU_DEP_1) | instskip(NEXT) | instid1(VALU_DEP_1)
	v_subrev_nc_u32_e32 v65, 28, v63
	v_lshlrev_b64_e32 v[68:69], v65, v[24:25]
	s_delay_alu instid0(VALU_DEP_1)
	v_dual_sub_nc_u32 v63, 29, v63 :: v_dual_bitop2_b32 v24, 7, v68 bitop3:0x40
; %bb.182:                              ;   in Loop: Header=BB324_12 Depth=1
	s_or_b32 exec_lo, exec_lo, s45
	s_delay_alu instid0(VALU_DEP_1) | instskip(NEXT) | instid1(VALU_DEP_2)
	v_dual_lshlrev_b32 v65, 24, v67 :: v_dual_lshlrev_b32 v24, 20, v24
	v_lshl_add_u32 v63, v63, 23, 0x3c000000
	s_delay_alu instid0(VALU_DEP_2) | instskip(NEXT) | instid1(VALU_DEP_1)
	v_and_b32_e32 v65, 0x80000000, v65
	v_or3_b32 v63, v24, v65, v63
.LBB324_183:                            ;   in Loop: Header=BB324_12 Depth=1
	s_or_b32 exec_lo, exec_lo, s44
.LBB324_184:                            ;   in Loop: Header=BB324_12 Depth=1
	s_delay_alu instid0(SALU_CYCLE_1)
	s_or_b32 exec_lo, exec_lo, s43
.LBB324_185:                            ;   in Loop: Header=BB324_12 Depth=1
	s_delay_alu instid0(SALU_CYCLE_1) | instskip(SKIP_2) | instid1(VALU_DEP_1)
	s_or_b32 exec_lo, exec_lo, s42
	v_lshrrev_b16 v24, 8, v67
	s_mov_b32 s42, exec_lo
	v_cmpx_ne_u16_e32 0, v24
	s_cbranch_execz .LBB324_193
; %bb.186:                              ;   in Loop: Header=BB324_12 Depth=1
	v_bfrev_b32_e32 v64, 1
	s_mov_b32 s43, exec_lo
	v_cmpx_ne_u16_e32 0x80, v24
	s_cbranch_execz .LBB324_192
; %bb.187:                              ;   in Loop: Header=BB324_12 Depth=1
	v_and_b32_e32 v24, 0xffff, v24
	v_mov_b32_e32 v64, 0x7f800001
	s_mov_b32 s44, exec_lo
	s_delay_alu instid0(VALU_DEP_2) | instskip(NEXT) | instid1(VALU_DEP_1)
	v_and_b32_e32 v65, 0x7f, v24
	v_cmpx_ne_u32_e32 0x7f, v65
	s_cbranch_execz .LBB324_191
; %bb.188:                              ;   in Loop: Header=BB324_12 Depth=1
	v_dual_lshrrev_b32 v64, 3, v65 :: v_dual_bitop2_b32 v24, 7, v24 bitop3:0x40
	s_mov_b32 s45, exec_lo
	v_cmpx_gt_u32_e32 8, v65
; %bb.189:                              ;   in Loop: Header=BB324_12 Depth=1
	s_delay_alu instid0(VALU_DEP_2) | instskip(NEXT) | instid1(VALU_DEP_1)
	v_clz_i32_u32_e32 v64, v24
	v_min_u32_e32 v64, 32, v64
	s_delay_alu instid0(VALU_DEP_1) | instskip(SKIP_1) | instid1(VALU_DEP_2)
	v_subrev_nc_u32_e32 v65, 28, v64
	v_sub_nc_u32_e32 v64, 29, v64
	v_lshlrev_b64_e32 v[68:69], v65, v[24:25]
	s_delay_alu instid0(VALU_DEP_1)
	v_and_b32_e32 v24, 7, v68
; %bb.190:                              ;   in Loop: Header=BB324_12 Depth=1
	s_or_b32 exec_lo, exec_lo, s45
	s_delay_alu instid0(VALU_DEP_1) | instskip(SKIP_1) | instid1(VALU_DEP_2)
	v_dual_lshlrev_b32 v65, 16, v67 :: v_dual_lshlrev_b32 v24, 20, v24
	v_lshl_add_u32 v64, v64, 23, 0x3c000000
	v_and_b32_e32 v65, 0x80000000, v65
	s_delay_alu instid0(VALU_DEP_1)
	v_or3_b32 v64, v24, v65, v64
.LBB324_191:                            ;   in Loop: Header=BB324_12 Depth=1
	s_or_b32 exec_lo, exec_lo, s44
.LBB324_192:                            ;   in Loop: Header=BB324_12 Depth=1
	s_delay_alu instid0(SALU_CYCLE_1)
	s_or_b32 exec_lo, exec_lo, s43
.LBB324_193:                            ;   in Loop: Header=BB324_12 Depth=1
	s_delay_alu instid0(SALU_CYCLE_1) | instskip(SKIP_3) | instid1(VALU_DEP_2)
	s_or_b32 exec_lo, exec_lo, s42
	v_dual_mov_b32 v65, 0 :: v_dual_lshrrev_b32 v68, 16, v67
	v_mov_b32_e32 v66, 0
	s_mov_b32 s42, exec_lo
	v_and_b32_e32 v24, 0xff, v68
	s_delay_alu instid0(VALU_DEP_1)
	v_cmpx_ne_u16_e32 0, v24
	s_cbranch_execz .LBB324_201
; %bb.194:                              ;   in Loop: Header=BB324_12 Depth=1
	v_bfrev_b32_e32 v66, 1
	s_mov_b32 s43, exec_lo
	v_cmpx_ne_u16_e32 0x80, v24
	s_cbranch_execz .LBB324_200
; %bb.195:                              ;   in Loop: Header=BB324_12 Depth=1
	v_bfe_u32 v69, v67, 16, 7
	v_mov_b32_e32 v66, 0x7f800001
	s_mov_b32 s44, exec_lo
	s_delay_alu instid0(VALU_DEP_2)
	v_cmpx_ne_u32_e32 0x7f, v69
	s_cbranch_execz .LBB324_199
; %bb.196:                              ;   in Loop: Header=BB324_12 Depth=1
	v_dual_lshrrev_b32 v66, 3, v69 :: v_dual_bitop2_b32 v24, 7, v68 bitop3:0x40
	s_mov_b32 s45, exec_lo
	v_cmpx_gt_u32_e32 8, v69
; %bb.197:                              ;   in Loop: Header=BB324_12 Depth=1
	s_delay_alu instid0(VALU_DEP_2) | instskip(NEXT) | instid1(VALU_DEP_1)
	v_clz_i32_u32_e32 v66, v24
	v_min_u32_e32 v66, 32, v66
	s_delay_alu instid0(VALU_DEP_1) | instskip(SKIP_1) | instid1(VALU_DEP_2)
	v_subrev_nc_u32_e32 v69, 28, v66
	v_sub_nc_u32_e32 v66, 29, v66
	v_lshlrev_b64_e32 v[70:71], v69, v[24:25]
	s_delay_alu instid0(VALU_DEP_1)
	v_and_b32_e32 v24, 7, v70
; %bb.198:                              ;   in Loop: Header=BB324_12 Depth=1
	s_or_b32 exec_lo, exec_lo, s45
	v_lshlrev_b32_e32 v68, 24, v68
	s_delay_alu instid0(VALU_DEP_2) | instskip(SKIP_1) | instid1(VALU_DEP_3)
	v_lshlrev_b32_e32 v24, 20, v24
	v_lshl_add_u32 v66, v66, 23, 0x3c000000
	v_and_b32_e32 v68, 0x80000000, v68
	s_delay_alu instid0(VALU_DEP_1)
	v_or3_b32 v66, v24, v68, v66
.LBB324_199:                            ;   in Loop: Header=BB324_12 Depth=1
	s_or_b32 exec_lo, exec_lo, s44
.LBB324_200:                            ;   in Loop: Header=BB324_12 Depth=1
	s_delay_alu instid0(SALU_CYCLE_1)
	s_or_b32 exec_lo, exec_lo, s43
.LBB324_201:                            ;   in Loop: Header=BB324_12 Depth=1
	s_delay_alu instid0(SALU_CYCLE_1) | instskip(NEXT) | instid1(SALU_CYCLE_1)
	s_or_b32 exec_lo, exec_lo, s42
	s_mov_b32 s42, exec_lo
	v_cmpx_lt_u32_e32 0xffffff, v67
	s_cbranch_execz .LBB324_209
; %bb.202:                              ;   in Loop: Header=BB324_12 Depth=1
	v_lshrrev_b32_e32 v68, 24, v67
	v_bfrev_b32_e32 v65, 1
	s_mov_b32 s43, exec_lo
	s_delay_alu instid0(VALU_DEP_2)
	v_cmpx_ne_u32_e32 0x80, v68
	s_cbranch_execz .LBB324_208
; %bb.203:                              ;   in Loop: Header=BB324_12 Depth=1
	v_bfe_u32 v67, v67, 24, 7
	v_mov_b32_e32 v65, 0x7f800001
	s_mov_b32 s44, exec_lo
	s_delay_alu instid0(VALU_DEP_2)
	v_cmpx_ne_u32_e32 0x7f, v67
	s_cbranch_execz .LBB324_207
; %bb.204:                              ;   in Loop: Header=BB324_12 Depth=1
	v_dual_lshrrev_b32 v65, 3, v67 :: v_dual_bitop2_b32 v24, 7, v68 bitop3:0x40
	s_mov_b32 s45, exec_lo
	v_cmpx_gt_u32_e32 8, v67
; %bb.205:                              ;   in Loop: Header=BB324_12 Depth=1
	s_delay_alu instid0(VALU_DEP_2) | instskip(NEXT) | instid1(VALU_DEP_1)
	v_clz_i32_u32_e32 v65, v24
	v_min_u32_e32 v65, 32, v65
	s_delay_alu instid0(VALU_DEP_1) | instskip(NEXT) | instid1(VALU_DEP_1)
	v_subrev_nc_u32_e32 v67, 28, v65
	v_lshlrev_b64_e32 v[70:71], v67, v[24:25]
	s_delay_alu instid0(VALU_DEP_1)
	v_dual_sub_nc_u32 v65, 29, v65 :: v_dual_bitop2_b32 v24, 7, v70 bitop3:0x40
; %bb.206:                              ;   in Loop: Header=BB324_12 Depth=1
	s_or_b32 exec_lo, exec_lo, s45
	v_lshlrev_b32_e32 v67, 24, v68
	s_delay_alu instid0(VALU_DEP_2) | instskip(NEXT) | instid1(VALU_DEP_3)
	v_lshlrev_b32_e32 v24, 20, v24
	v_lshl_add_u32 v65, v65, 23, 0x3c000000
	s_delay_alu instid0(VALU_DEP_3) | instskip(NEXT) | instid1(VALU_DEP_1)
	v_and_b32_e32 v67, 0x80000000, v67
	v_or3_b32 v65, v24, v67, v65
.LBB324_207:                            ;   in Loop: Header=BB324_12 Depth=1
	s_or_b32 exec_lo, exec_lo, s44
.LBB324_208:                            ;   in Loop: Header=BB324_12 Depth=1
	s_delay_alu instid0(SALU_CYCLE_1)
	s_or_b32 exec_lo, exec_lo, s43
.LBB324_209:                            ;   in Loop: Header=BB324_12 Depth=1
	s_delay_alu instid0(SALU_CYCLE_1)
	s_or_b32 exec_lo, exec_lo, s42
	global_load_b32 v71, v[32:33], off offset:768
	v_dual_mov_b32 v68, 0 :: v_dual_mov_b32 v67, 0
	s_mov_b32 s42, exec_lo
	s_wait_loadcnt 0x0
	v_and_b32_e32 v24, 0xff, v71
	s_delay_alu instid0(VALU_DEP_1)
	v_cmpx_ne_u16_e32 0, v24
	s_cbranch_execz .LBB324_217
; %bb.210:                              ;   in Loop: Header=BB324_12 Depth=1
	v_bfrev_b32_e32 v67, 1
	s_mov_b32 s43, exec_lo
	v_cmpx_ne_u16_e32 0x80, v24
	s_cbranch_execz .LBB324_216
; %bb.211:                              ;   in Loop: Header=BB324_12 Depth=1
	v_and_b32_e32 v69, 0x7f, v71
	v_mov_b32_e32 v67, 0x7f800001
	s_mov_b32 s44, exec_lo
	s_delay_alu instid0(VALU_DEP_2)
	v_cmpx_ne_u32_e32 0x7f, v69
	s_cbranch_execz .LBB324_215
; %bb.212:                              ;   in Loop: Header=BB324_12 Depth=1
	v_dual_lshrrev_b32 v67, 3, v69 :: v_dual_bitop2_b32 v24, 7, v71 bitop3:0x40
	s_mov_b32 s45, exec_lo
	v_cmpx_gt_u32_e32 8, v69
; %bb.213:                              ;   in Loop: Header=BB324_12 Depth=1
	s_delay_alu instid0(VALU_DEP_2) | instskip(NEXT) | instid1(VALU_DEP_1)
	v_clz_i32_u32_e32 v67, v24
	v_min_u32_e32 v67, 32, v67
	s_delay_alu instid0(VALU_DEP_1) | instskip(NEXT) | instid1(VALU_DEP_1)
	v_subrev_nc_u32_e32 v69, 28, v67
	v_lshlrev_b64_e32 v[72:73], v69, v[24:25]
	s_delay_alu instid0(VALU_DEP_1)
	v_dual_sub_nc_u32 v67, 29, v67 :: v_dual_bitop2_b32 v24, 7, v72 bitop3:0x40
; %bb.214:                              ;   in Loop: Header=BB324_12 Depth=1
	s_or_b32 exec_lo, exec_lo, s45
	s_delay_alu instid0(VALU_DEP_1) | instskip(NEXT) | instid1(VALU_DEP_2)
	v_dual_lshlrev_b32 v69, 24, v71 :: v_dual_lshlrev_b32 v24, 20, v24
	v_lshl_add_u32 v67, v67, 23, 0x3c000000
	s_delay_alu instid0(VALU_DEP_2) | instskip(NEXT) | instid1(VALU_DEP_1)
	v_and_b32_e32 v69, 0x80000000, v69
	v_or3_b32 v67, v24, v69, v67
.LBB324_215:                            ;   in Loop: Header=BB324_12 Depth=1
	s_or_b32 exec_lo, exec_lo, s44
.LBB324_216:                            ;   in Loop: Header=BB324_12 Depth=1
	s_delay_alu instid0(SALU_CYCLE_1)
	s_or_b32 exec_lo, exec_lo, s43
.LBB324_217:                            ;   in Loop: Header=BB324_12 Depth=1
	s_delay_alu instid0(SALU_CYCLE_1) | instskip(SKIP_2) | instid1(VALU_DEP_1)
	s_or_b32 exec_lo, exec_lo, s42
	v_lshrrev_b16 v24, 8, v71
	s_mov_b32 s42, exec_lo
	v_cmpx_ne_u16_e32 0, v24
	s_cbranch_execz .LBB324_225
; %bb.218:                              ;   in Loop: Header=BB324_12 Depth=1
	v_bfrev_b32_e32 v68, 1
	s_mov_b32 s43, exec_lo
	v_cmpx_ne_u16_e32 0x80, v24
	s_cbranch_execz .LBB324_224
; %bb.219:                              ;   in Loop: Header=BB324_12 Depth=1
	v_and_b32_e32 v24, 0xffff, v24
	v_mov_b32_e32 v68, 0x7f800001
	s_mov_b32 s44, exec_lo
	s_delay_alu instid0(VALU_DEP_2) | instskip(NEXT) | instid1(VALU_DEP_1)
	v_and_b32_e32 v69, 0x7f, v24
	v_cmpx_ne_u32_e32 0x7f, v69
	s_cbranch_execz .LBB324_223
; %bb.220:                              ;   in Loop: Header=BB324_12 Depth=1
	v_dual_lshrrev_b32 v68, 3, v69 :: v_dual_bitop2_b32 v24, 7, v24 bitop3:0x40
	s_mov_b32 s45, exec_lo
	v_cmpx_gt_u32_e32 8, v69
; %bb.221:                              ;   in Loop: Header=BB324_12 Depth=1
	s_delay_alu instid0(VALU_DEP_2) | instskip(NEXT) | instid1(VALU_DEP_1)
	v_clz_i32_u32_e32 v68, v24
	v_min_u32_e32 v68, 32, v68
	s_delay_alu instid0(VALU_DEP_1) | instskip(SKIP_1) | instid1(VALU_DEP_2)
	v_subrev_nc_u32_e32 v69, 28, v68
	v_sub_nc_u32_e32 v68, 29, v68
	v_lshlrev_b64_e32 v[72:73], v69, v[24:25]
	s_delay_alu instid0(VALU_DEP_1)
	v_and_b32_e32 v24, 7, v72
; %bb.222:                              ;   in Loop: Header=BB324_12 Depth=1
	s_or_b32 exec_lo, exec_lo, s45
	s_delay_alu instid0(VALU_DEP_1) | instskip(SKIP_1) | instid1(VALU_DEP_2)
	v_dual_lshlrev_b32 v69, 16, v71 :: v_dual_lshlrev_b32 v24, 20, v24
	v_lshl_add_u32 v68, v68, 23, 0x3c000000
	v_and_b32_e32 v69, 0x80000000, v69
	s_delay_alu instid0(VALU_DEP_1)
	v_or3_b32 v68, v24, v69, v68
.LBB324_223:                            ;   in Loop: Header=BB324_12 Depth=1
	s_or_b32 exec_lo, exec_lo, s44
.LBB324_224:                            ;   in Loop: Header=BB324_12 Depth=1
	s_delay_alu instid0(SALU_CYCLE_1)
	s_or_b32 exec_lo, exec_lo, s43
.LBB324_225:                            ;   in Loop: Header=BB324_12 Depth=1
	s_delay_alu instid0(SALU_CYCLE_1) | instskip(SKIP_3) | instid1(VALU_DEP_2)
	s_or_b32 exec_lo, exec_lo, s42
	v_dual_mov_b32 v69, 0 :: v_dual_lshrrev_b32 v72, 16, v71
	v_mov_b32_e32 v70, 0
	s_mov_b32 s42, exec_lo
	v_and_b32_e32 v24, 0xff, v72
	s_delay_alu instid0(VALU_DEP_1)
	v_cmpx_ne_u16_e32 0, v24
	s_cbranch_execz .LBB324_233
; %bb.226:                              ;   in Loop: Header=BB324_12 Depth=1
	v_bfrev_b32_e32 v70, 1
	s_mov_b32 s43, exec_lo
	v_cmpx_ne_u16_e32 0x80, v24
	s_cbranch_execz .LBB324_232
; %bb.227:                              ;   in Loop: Header=BB324_12 Depth=1
	v_bfe_u32 v73, v71, 16, 7
	v_mov_b32_e32 v70, 0x7f800001
	s_mov_b32 s44, exec_lo
	s_delay_alu instid0(VALU_DEP_2)
	v_cmpx_ne_u32_e32 0x7f, v73
	s_cbranch_execz .LBB324_231
; %bb.228:                              ;   in Loop: Header=BB324_12 Depth=1
	v_dual_lshrrev_b32 v70, 3, v73 :: v_dual_bitop2_b32 v24, 7, v72 bitop3:0x40
	s_mov_b32 s45, exec_lo
	v_cmpx_gt_u32_e32 8, v73
; %bb.229:                              ;   in Loop: Header=BB324_12 Depth=1
	s_delay_alu instid0(VALU_DEP_2) | instskip(NEXT) | instid1(VALU_DEP_1)
	v_clz_i32_u32_e32 v70, v24
	v_min_u32_e32 v70, 32, v70
	s_delay_alu instid0(VALU_DEP_1) | instskip(SKIP_1) | instid1(VALU_DEP_2)
	v_subrev_nc_u32_e32 v73, 28, v70
	v_sub_nc_u32_e32 v70, 29, v70
	v_lshlrev_b64_e32 v[74:75], v73, v[24:25]
	s_delay_alu instid0(VALU_DEP_1)
	v_and_b32_e32 v24, 7, v74
; %bb.230:                              ;   in Loop: Header=BB324_12 Depth=1
	s_or_b32 exec_lo, exec_lo, s45
	v_lshlrev_b32_e32 v72, 24, v72
	s_delay_alu instid0(VALU_DEP_2) | instskip(SKIP_1) | instid1(VALU_DEP_3)
	v_lshlrev_b32_e32 v24, 20, v24
	v_lshl_add_u32 v70, v70, 23, 0x3c000000
	v_and_b32_e32 v72, 0x80000000, v72
	s_delay_alu instid0(VALU_DEP_1)
	v_or3_b32 v70, v24, v72, v70
.LBB324_231:                            ;   in Loop: Header=BB324_12 Depth=1
	s_or_b32 exec_lo, exec_lo, s44
.LBB324_232:                            ;   in Loop: Header=BB324_12 Depth=1
	s_delay_alu instid0(SALU_CYCLE_1)
	s_or_b32 exec_lo, exec_lo, s43
.LBB324_233:                            ;   in Loop: Header=BB324_12 Depth=1
	s_delay_alu instid0(SALU_CYCLE_1) | instskip(NEXT) | instid1(SALU_CYCLE_1)
	s_or_b32 exec_lo, exec_lo, s42
	s_mov_b32 s42, exec_lo
	v_cmpx_lt_u32_e32 0xffffff, v71
	s_cbranch_execz .LBB324_241
; %bb.234:                              ;   in Loop: Header=BB324_12 Depth=1
	v_lshrrev_b32_e32 v72, 24, v71
	v_bfrev_b32_e32 v69, 1
	s_mov_b32 s43, exec_lo
	s_delay_alu instid0(VALU_DEP_2)
	v_cmpx_ne_u32_e32 0x80, v72
	s_cbranch_execz .LBB324_240
; %bb.235:                              ;   in Loop: Header=BB324_12 Depth=1
	v_bfe_u32 v71, v71, 24, 7
	v_mov_b32_e32 v69, 0x7f800001
	s_mov_b32 s44, exec_lo
	s_delay_alu instid0(VALU_DEP_2)
	v_cmpx_ne_u32_e32 0x7f, v71
	s_cbranch_execz .LBB324_239
; %bb.236:                              ;   in Loop: Header=BB324_12 Depth=1
	v_dual_lshrrev_b32 v69, 3, v71 :: v_dual_bitop2_b32 v24, 7, v72 bitop3:0x40
	s_mov_b32 s45, exec_lo
	v_cmpx_gt_u32_e32 8, v71
; %bb.237:                              ;   in Loop: Header=BB324_12 Depth=1
	s_delay_alu instid0(VALU_DEP_2) | instskip(NEXT) | instid1(VALU_DEP_1)
	v_clz_i32_u32_e32 v69, v24
	v_min_u32_e32 v69, 32, v69
	s_delay_alu instid0(VALU_DEP_1) | instskip(NEXT) | instid1(VALU_DEP_1)
	v_subrev_nc_u32_e32 v71, 28, v69
	v_lshlrev_b64_e32 v[74:75], v71, v[24:25]
	s_delay_alu instid0(VALU_DEP_1)
	v_dual_sub_nc_u32 v69, 29, v69 :: v_dual_bitop2_b32 v24, 7, v74 bitop3:0x40
; %bb.238:                              ;   in Loop: Header=BB324_12 Depth=1
	s_or_b32 exec_lo, exec_lo, s45
	v_lshlrev_b32_e32 v71, 24, v72
	s_delay_alu instid0(VALU_DEP_2) | instskip(NEXT) | instid1(VALU_DEP_3)
	v_lshlrev_b32_e32 v24, 20, v24
	v_lshl_add_u32 v69, v69, 23, 0x3c000000
	s_delay_alu instid0(VALU_DEP_3) | instskip(NEXT) | instid1(VALU_DEP_1)
	v_and_b32_e32 v71, 0x80000000, v71
	v_or3_b32 v69, v24, v71, v69
.LBB324_239:                            ;   in Loop: Header=BB324_12 Depth=1
	s_or_b32 exec_lo, exec_lo, s44
.LBB324_240:                            ;   in Loop: Header=BB324_12 Depth=1
	s_delay_alu instid0(SALU_CYCLE_1)
	s_or_b32 exec_lo, exec_lo, s43
.LBB324_241:                            ;   in Loop: Header=BB324_12 Depth=1
	s_delay_alu instid0(SALU_CYCLE_1)
	s_or_b32 exec_lo, exec_lo, s42
	global_load_b32 v75, v[32:33], off offset:776
	v_dual_mov_b32 v72, 0 :: v_dual_mov_b32 v71, 0
	s_mov_b32 s42, exec_lo
	s_wait_loadcnt 0x0
	v_and_b32_e32 v24, 0xff, v75
	s_delay_alu instid0(VALU_DEP_1)
	v_cmpx_ne_u16_e32 0, v24
	s_cbranch_execz .LBB324_249
; %bb.242:                              ;   in Loop: Header=BB324_12 Depth=1
	v_bfrev_b32_e32 v71, 1
	s_mov_b32 s43, exec_lo
	v_cmpx_ne_u16_e32 0x80, v24
	s_cbranch_execz .LBB324_248
; %bb.243:                              ;   in Loop: Header=BB324_12 Depth=1
	v_and_b32_e32 v73, 0x7f, v75
	v_mov_b32_e32 v71, 0x7f800001
	s_mov_b32 s44, exec_lo
	s_delay_alu instid0(VALU_DEP_2)
	v_cmpx_ne_u32_e32 0x7f, v73
	s_cbranch_execz .LBB324_247
; %bb.244:                              ;   in Loop: Header=BB324_12 Depth=1
	v_dual_lshrrev_b32 v71, 3, v73 :: v_dual_bitop2_b32 v24, 7, v75 bitop3:0x40
	s_mov_b32 s45, exec_lo
	v_cmpx_gt_u32_e32 8, v73
; %bb.245:                              ;   in Loop: Header=BB324_12 Depth=1
	s_delay_alu instid0(VALU_DEP_2) | instskip(NEXT) | instid1(VALU_DEP_1)
	v_clz_i32_u32_e32 v71, v24
	v_min_u32_e32 v71, 32, v71
	s_delay_alu instid0(VALU_DEP_1) | instskip(NEXT) | instid1(VALU_DEP_1)
	v_subrev_nc_u32_e32 v73, 28, v71
	v_lshlrev_b64_e32 v[76:77], v73, v[24:25]
	s_delay_alu instid0(VALU_DEP_1)
	v_dual_sub_nc_u32 v71, 29, v71 :: v_dual_bitop2_b32 v24, 7, v76 bitop3:0x40
; %bb.246:                              ;   in Loop: Header=BB324_12 Depth=1
	s_or_b32 exec_lo, exec_lo, s45
	s_delay_alu instid0(VALU_DEP_1) | instskip(NEXT) | instid1(VALU_DEP_2)
	v_dual_lshlrev_b32 v73, 24, v75 :: v_dual_lshlrev_b32 v24, 20, v24
	v_lshl_add_u32 v71, v71, 23, 0x3c000000
	s_delay_alu instid0(VALU_DEP_2) | instskip(NEXT) | instid1(VALU_DEP_1)
	v_and_b32_e32 v73, 0x80000000, v73
	v_or3_b32 v71, v24, v73, v71
.LBB324_247:                            ;   in Loop: Header=BB324_12 Depth=1
	s_or_b32 exec_lo, exec_lo, s44
.LBB324_248:                            ;   in Loop: Header=BB324_12 Depth=1
	s_delay_alu instid0(SALU_CYCLE_1)
	s_or_b32 exec_lo, exec_lo, s43
.LBB324_249:                            ;   in Loop: Header=BB324_12 Depth=1
	s_delay_alu instid0(SALU_CYCLE_1) | instskip(SKIP_2) | instid1(VALU_DEP_1)
	s_or_b32 exec_lo, exec_lo, s42
	v_lshrrev_b16 v24, 8, v75
	s_mov_b32 s42, exec_lo
	v_cmpx_ne_u16_e32 0, v24
	s_cbranch_execz .LBB324_257
; %bb.250:                              ;   in Loop: Header=BB324_12 Depth=1
	v_bfrev_b32_e32 v72, 1
	s_mov_b32 s43, exec_lo
	v_cmpx_ne_u16_e32 0x80, v24
	s_cbranch_execz .LBB324_256
; %bb.251:                              ;   in Loop: Header=BB324_12 Depth=1
	v_and_b32_e32 v24, 0xffff, v24
	v_mov_b32_e32 v72, 0x7f800001
	s_mov_b32 s44, exec_lo
	s_delay_alu instid0(VALU_DEP_2) | instskip(NEXT) | instid1(VALU_DEP_1)
	v_and_b32_e32 v73, 0x7f, v24
	v_cmpx_ne_u32_e32 0x7f, v73
	s_cbranch_execz .LBB324_255
; %bb.252:                              ;   in Loop: Header=BB324_12 Depth=1
	v_dual_lshrrev_b32 v72, 3, v73 :: v_dual_bitop2_b32 v24, 7, v24 bitop3:0x40
	s_mov_b32 s45, exec_lo
	v_cmpx_gt_u32_e32 8, v73
; %bb.253:                              ;   in Loop: Header=BB324_12 Depth=1
	s_delay_alu instid0(VALU_DEP_2) | instskip(NEXT) | instid1(VALU_DEP_1)
	v_clz_i32_u32_e32 v72, v24
	v_min_u32_e32 v72, 32, v72
	s_delay_alu instid0(VALU_DEP_1) | instskip(SKIP_1) | instid1(VALU_DEP_2)
	v_subrev_nc_u32_e32 v73, 28, v72
	v_sub_nc_u32_e32 v72, 29, v72
	v_lshlrev_b64_e32 v[76:77], v73, v[24:25]
	s_delay_alu instid0(VALU_DEP_1)
	v_and_b32_e32 v24, 7, v76
; %bb.254:                              ;   in Loop: Header=BB324_12 Depth=1
	s_or_b32 exec_lo, exec_lo, s45
	s_delay_alu instid0(VALU_DEP_1) | instskip(SKIP_1) | instid1(VALU_DEP_2)
	v_dual_lshlrev_b32 v73, 16, v75 :: v_dual_lshlrev_b32 v24, 20, v24
	v_lshl_add_u32 v72, v72, 23, 0x3c000000
	v_and_b32_e32 v73, 0x80000000, v73
	s_delay_alu instid0(VALU_DEP_1)
	v_or3_b32 v72, v24, v73, v72
.LBB324_255:                            ;   in Loop: Header=BB324_12 Depth=1
	s_or_b32 exec_lo, exec_lo, s44
.LBB324_256:                            ;   in Loop: Header=BB324_12 Depth=1
	s_delay_alu instid0(SALU_CYCLE_1)
	s_or_b32 exec_lo, exec_lo, s43
.LBB324_257:                            ;   in Loop: Header=BB324_12 Depth=1
	s_delay_alu instid0(SALU_CYCLE_1) | instskip(SKIP_3) | instid1(VALU_DEP_2)
	s_or_b32 exec_lo, exec_lo, s42
	v_dual_mov_b32 v73, 0 :: v_dual_lshrrev_b32 v76, 16, v75
	v_mov_b32_e32 v74, 0
	s_mov_b32 s42, exec_lo
	v_and_b32_e32 v24, 0xff, v76
	s_delay_alu instid0(VALU_DEP_1)
	v_cmpx_ne_u16_e32 0, v24
	s_cbranch_execz .LBB324_265
; %bb.258:                              ;   in Loop: Header=BB324_12 Depth=1
	v_bfrev_b32_e32 v74, 1
	s_mov_b32 s43, exec_lo
	v_cmpx_ne_u16_e32 0x80, v24
	s_cbranch_execz .LBB324_264
; %bb.259:                              ;   in Loop: Header=BB324_12 Depth=1
	v_bfe_u32 v77, v75, 16, 7
	v_mov_b32_e32 v74, 0x7f800001
	s_mov_b32 s44, exec_lo
	s_delay_alu instid0(VALU_DEP_2)
	v_cmpx_ne_u32_e32 0x7f, v77
	s_cbranch_execz .LBB324_263
; %bb.260:                              ;   in Loop: Header=BB324_12 Depth=1
	v_dual_lshrrev_b32 v74, 3, v77 :: v_dual_bitop2_b32 v24, 7, v76 bitop3:0x40
	s_mov_b32 s45, exec_lo
	v_cmpx_gt_u32_e32 8, v77
; %bb.261:                              ;   in Loop: Header=BB324_12 Depth=1
	s_delay_alu instid0(VALU_DEP_2) | instskip(NEXT) | instid1(VALU_DEP_1)
	v_clz_i32_u32_e32 v74, v24
	v_min_u32_e32 v74, 32, v74
	s_delay_alu instid0(VALU_DEP_1) | instskip(SKIP_1) | instid1(VALU_DEP_2)
	v_subrev_nc_u32_e32 v77, 28, v74
	v_sub_nc_u32_e32 v74, 29, v74
	v_lshlrev_b64_e32 v[78:79], v77, v[24:25]
	s_delay_alu instid0(VALU_DEP_1)
	v_and_b32_e32 v24, 7, v78
; %bb.262:                              ;   in Loop: Header=BB324_12 Depth=1
	s_or_b32 exec_lo, exec_lo, s45
	v_lshlrev_b32_e32 v76, 24, v76
	s_delay_alu instid0(VALU_DEP_2) | instskip(SKIP_1) | instid1(VALU_DEP_3)
	v_lshlrev_b32_e32 v24, 20, v24
	v_lshl_add_u32 v74, v74, 23, 0x3c000000
	v_and_b32_e32 v76, 0x80000000, v76
	s_delay_alu instid0(VALU_DEP_1)
	v_or3_b32 v74, v24, v76, v74
.LBB324_263:                            ;   in Loop: Header=BB324_12 Depth=1
	s_or_b32 exec_lo, exec_lo, s44
.LBB324_264:                            ;   in Loop: Header=BB324_12 Depth=1
	s_delay_alu instid0(SALU_CYCLE_1)
	s_or_b32 exec_lo, exec_lo, s43
.LBB324_265:                            ;   in Loop: Header=BB324_12 Depth=1
	s_delay_alu instid0(SALU_CYCLE_1) | instskip(NEXT) | instid1(SALU_CYCLE_1)
	s_or_b32 exec_lo, exec_lo, s42
	s_mov_b32 s42, exec_lo
	v_cmpx_lt_u32_e32 0xffffff, v75
	s_cbranch_execz .LBB324_273
; %bb.266:                              ;   in Loop: Header=BB324_12 Depth=1
	v_lshrrev_b32_e32 v76, 24, v75
	v_bfrev_b32_e32 v73, 1
	s_mov_b32 s43, exec_lo
	s_delay_alu instid0(VALU_DEP_2)
	v_cmpx_ne_u32_e32 0x80, v76
	s_cbranch_execz .LBB324_272
; %bb.267:                              ;   in Loop: Header=BB324_12 Depth=1
	v_bfe_u32 v75, v75, 24, 7
	v_mov_b32_e32 v73, 0x7f800001
	s_mov_b32 s44, exec_lo
	s_delay_alu instid0(VALU_DEP_2)
	v_cmpx_ne_u32_e32 0x7f, v75
	s_cbranch_execz .LBB324_271
; %bb.268:                              ;   in Loop: Header=BB324_12 Depth=1
	v_dual_lshrrev_b32 v73, 3, v75 :: v_dual_bitop2_b32 v24, 7, v76 bitop3:0x40
	s_mov_b32 s45, exec_lo
	v_cmpx_gt_u32_e32 8, v75
; %bb.269:                              ;   in Loop: Header=BB324_12 Depth=1
	s_delay_alu instid0(VALU_DEP_2) | instskip(NEXT) | instid1(VALU_DEP_1)
	v_clz_i32_u32_e32 v73, v24
	v_min_u32_e32 v73, 32, v73
	s_delay_alu instid0(VALU_DEP_1) | instskip(NEXT) | instid1(VALU_DEP_1)
	v_subrev_nc_u32_e32 v75, 28, v73
	v_lshlrev_b64_e32 v[78:79], v75, v[24:25]
	s_delay_alu instid0(VALU_DEP_1)
	v_dual_sub_nc_u32 v73, 29, v73 :: v_dual_bitop2_b32 v24, 7, v78 bitop3:0x40
; %bb.270:                              ;   in Loop: Header=BB324_12 Depth=1
	s_or_b32 exec_lo, exec_lo, s45
	v_lshlrev_b32_e32 v75, 24, v76
	s_delay_alu instid0(VALU_DEP_2) | instskip(NEXT) | instid1(VALU_DEP_3)
	v_lshlrev_b32_e32 v24, 20, v24
	v_lshl_add_u32 v73, v73, 23, 0x3c000000
	s_delay_alu instid0(VALU_DEP_3) | instskip(NEXT) | instid1(VALU_DEP_1)
	v_and_b32_e32 v75, 0x80000000, v75
	v_or3_b32 v73, v24, v75, v73
.LBB324_271:                            ;   in Loop: Header=BB324_12 Depth=1
	s_or_b32 exec_lo, exec_lo, s44
.LBB324_272:                            ;   in Loop: Header=BB324_12 Depth=1
	s_delay_alu instid0(SALU_CYCLE_1)
	s_or_b32 exec_lo, exec_lo, s43
.LBB324_273:                            ;   in Loop: Header=BB324_12 Depth=1
	s_delay_alu instid0(SALU_CYCLE_1)
	s_or_b32 exec_lo, exec_lo, s42
	global_load_b32 v79, v[32:33], off offset:1024
	v_dual_mov_b32 v76, 0 :: v_dual_mov_b32 v75, 0
	s_mov_b32 s42, exec_lo
	s_wait_loadcnt 0x0
	v_and_b32_e32 v24, 0xff, v79
	s_delay_alu instid0(VALU_DEP_1)
	v_cmpx_ne_u16_e32 0, v24
	s_cbranch_execz .LBB324_281
; %bb.274:                              ;   in Loop: Header=BB324_12 Depth=1
	v_bfrev_b32_e32 v75, 1
	s_mov_b32 s43, exec_lo
	v_cmpx_ne_u16_e32 0x80, v24
	s_cbranch_execz .LBB324_280
; %bb.275:                              ;   in Loop: Header=BB324_12 Depth=1
	v_and_b32_e32 v77, 0x7f, v79
	v_mov_b32_e32 v75, 0x7f800001
	s_mov_b32 s44, exec_lo
	s_delay_alu instid0(VALU_DEP_2)
	v_cmpx_ne_u32_e32 0x7f, v77
	s_cbranch_execz .LBB324_279
; %bb.276:                              ;   in Loop: Header=BB324_12 Depth=1
	v_dual_lshrrev_b32 v75, 3, v77 :: v_dual_bitop2_b32 v24, 7, v79 bitop3:0x40
	s_mov_b32 s45, exec_lo
	v_cmpx_gt_u32_e32 8, v77
; %bb.277:                              ;   in Loop: Header=BB324_12 Depth=1
	s_delay_alu instid0(VALU_DEP_2) | instskip(NEXT) | instid1(VALU_DEP_1)
	v_clz_i32_u32_e32 v75, v24
	v_min_u32_e32 v75, 32, v75
	s_delay_alu instid0(VALU_DEP_1) | instskip(NEXT) | instid1(VALU_DEP_1)
	v_subrev_nc_u32_e32 v77, 28, v75
	v_lshlrev_b64_e32 v[80:81], v77, v[24:25]
	s_delay_alu instid0(VALU_DEP_1)
	v_dual_sub_nc_u32 v75, 29, v75 :: v_dual_bitop2_b32 v24, 7, v80 bitop3:0x40
; %bb.278:                              ;   in Loop: Header=BB324_12 Depth=1
	s_or_b32 exec_lo, exec_lo, s45
	s_delay_alu instid0(VALU_DEP_1) | instskip(NEXT) | instid1(VALU_DEP_2)
	v_dual_lshlrev_b32 v77, 24, v79 :: v_dual_lshlrev_b32 v24, 20, v24
	v_lshl_add_u32 v75, v75, 23, 0x3c000000
	s_delay_alu instid0(VALU_DEP_2) | instskip(NEXT) | instid1(VALU_DEP_1)
	v_and_b32_e32 v77, 0x80000000, v77
	v_or3_b32 v75, v24, v77, v75
.LBB324_279:                            ;   in Loop: Header=BB324_12 Depth=1
	s_or_b32 exec_lo, exec_lo, s44
.LBB324_280:                            ;   in Loop: Header=BB324_12 Depth=1
	s_delay_alu instid0(SALU_CYCLE_1)
	s_or_b32 exec_lo, exec_lo, s43
.LBB324_281:                            ;   in Loop: Header=BB324_12 Depth=1
	s_delay_alu instid0(SALU_CYCLE_1) | instskip(SKIP_2) | instid1(VALU_DEP_1)
	s_or_b32 exec_lo, exec_lo, s42
	v_lshrrev_b16 v24, 8, v79
	s_mov_b32 s42, exec_lo
	v_cmpx_ne_u16_e32 0, v24
	s_cbranch_execz .LBB324_289
; %bb.282:                              ;   in Loop: Header=BB324_12 Depth=1
	v_bfrev_b32_e32 v76, 1
	s_mov_b32 s43, exec_lo
	v_cmpx_ne_u16_e32 0x80, v24
	s_cbranch_execz .LBB324_288
; %bb.283:                              ;   in Loop: Header=BB324_12 Depth=1
	v_and_b32_e32 v24, 0xffff, v24
	v_mov_b32_e32 v76, 0x7f800001
	s_mov_b32 s44, exec_lo
	s_delay_alu instid0(VALU_DEP_2) | instskip(NEXT) | instid1(VALU_DEP_1)
	v_and_b32_e32 v77, 0x7f, v24
	v_cmpx_ne_u32_e32 0x7f, v77
	s_cbranch_execz .LBB324_287
; %bb.284:                              ;   in Loop: Header=BB324_12 Depth=1
	v_dual_lshrrev_b32 v76, 3, v77 :: v_dual_bitop2_b32 v24, 7, v24 bitop3:0x40
	s_mov_b32 s45, exec_lo
	v_cmpx_gt_u32_e32 8, v77
; %bb.285:                              ;   in Loop: Header=BB324_12 Depth=1
	s_delay_alu instid0(VALU_DEP_2) | instskip(NEXT) | instid1(VALU_DEP_1)
	v_clz_i32_u32_e32 v76, v24
	v_min_u32_e32 v76, 32, v76
	s_delay_alu instid0(VALU_DEP_1) | instskip(SKIP_1) | instid1(VALU_DEP_2)
	v_subrev_nc_u32_e32 v77, 28, v76
	v_sub_nc_u32_e32 v76, 29, v76
	v_lshlrev_b64_e32 v[80:81], v77, v[24:25]
	s_delay_alu instid0(VALU_DEP_1)
	v_and_b32_e32 v24, 7, v80
; %bb.286:                              ;   in Loop: Header=BB324_12 Depth=1
	s_or_b32 exec_lo, exec_lo, s45
	s_delay_alu instid0(VALU_DEP_1) | instskip(SKIP_1) | instid1(VALU_DEP_2)
	v_dual_lshlrev_b32 v77, 16, v79 :: v_dual_lshlrev_b32 v24, 20, v24
	v_lshl_add_u32 v76, v76, 23, 0x3c000000
	v_and_b32_e32 v77, 0x80000000, v77
	s_delay_alu instid0(VALU_DEP_1)
	v_or3_b32 v76, v24, v77, v76
.LBB324_287:                            ;   in Loop: Header=BB324_12 Depth=1
	s_or_b32 exec_lo, exec_lo, s44
.LBB324_288:                            ;   in Loop: Header=BB324_12 Depth=1
	s_delay_alu instid0(SALU_CYCLE_1)
	s_or_b32 exec_lo, exec_lo, s43
.LBB324_289:                            ;   in Loop: Header=BB324_12 Depth=1
	s_delay_alu instid0(SALU_CYCLE_1) | instskip(SKIP_3) | instid1(VALU_DEP_2)
	s_or_b32 exec_lo, exec_lo, s42
	v_dual_mov_b32 v77, 0 :: v_dual_lshrrev_b32 v80, 16, v79
	v_mov_b32_e32 v78, 0
	s_mov_b32 s42, exec_lo
	v_and_b32_e32 v24, 0xff, v80
	s_delay_alu instid0(VALU_DEP_1)
	v_cmpx_ne_u16_e32 0, v24
	s_cbranch_execz .LBB324_297
; %bb.290:                              ;   in Loop: Header=BB324_12 Depth=1
	v_bfrev_b32_e32 v78, 1
	s_mov_b32 s43, exec_lo
	v_cmpx_ne_u16_e32 0x80, v24
	s_cbranch_execz .LBB324_296
; %bb.291:                              ;   in Loop: Header=BB324_12 Depth=1
	v_bfe_u32 v81, v79, 16, 7
	v_mov_b32_e32 v78, 0x7f800001
	s_mov_b32 s44, exec_lo
	s_delay_alu instid0(VALU_DEP_2)
	v_cmpx_ne_u32_e32 0x7f, v81
	s_cbranch_execz .LBB324_295
; %bb.292:                              ;   in Loop: Header=BB324_12 Depth=1
	v_dual_lshrrev_b32 v78, 3, v81 :: v_dual_bitop2_b32 v24, 7, v80 bitop3:0x40
	s_mov_b32 s45, exec_lo
	v_cmpx_gt_u32_e32 8, v81
; %bb.293:                              ;   in Loop: Header=BB324_12 Depth=1
	s_delay_alu instid0(VALU_DEP_2) | instskip(NEXT) | instid1(VALU_DEP_1)
	v_clz_i32_u32_e32 v78, v24
	v_min_u32_e32 v78, 32, v78
	s_delay_alu instid0(VALU_DEP_1) | instskip(SKIP_1) | instid1(VALU_DEP_2)
	v_subrev_nc_u32_e32 v81, 28, v78
	v_sub_nc_u32_e32 v78, 29, v78
	v_lshlrev_b64_e32 v[82:83], v81, v[24:25]
	s_delay_alu instid0(VALU_DEP_1)
	v_and_b32_e32 v24, 7, v82
; %bb.294:                              ;   in Loop: Header=BB324_12 Depth=1
	s_or_b32 exec_lo, exec_lo, s45
	v_lshlrev_b32_e32 v80, 24, v80
	s_delay_alu instid0(VALU_DEP_2) | instskip(SKIP_1) | instid1(VALU_DEP_3)
	v_lshlrev_b32_e32 v24, 20, v24
	v_lshl_add_u32 v78, v78, 23, 0x3c000000
	v_and_b32_e32 v80, 0x80000000, v80
	s_delay_alu instid0(VALU_DEP_1)
	v_or3_b32 v78, v24, v80, v78
.LBB324_295:                            ;   in Loop: Header=BB324_12 Depth=1
	s_or_b32 exec_lo, exec_lo, s44
.LBB324_296:                            ;   in Loop: Header=BB324_12 Depth=1
	s_delay_alu instid0(SALU_CYCLE_1)
	s_or_b32 exec_lo, exec_lo, s43
.LBB324_297:                            ;   in Loop: Header=BB324_12 Depth=1
	s_delay_alu instid0(SALU_CYCLE_1) | instskip(NEXT) | instid1(SALU_CYCLE_1)
	s_or_b32 exec_lo, exec_lo, s42
	s_mov_b32 s42, exec_lo
	v_cmpx_lt_u32_e32 0xffffff, v79
	s_cbranch_execz .LBB324_305
; %bb.298:                              ;   in Loop: Header=BB324_12 Depth=1
	v_lshrrev_b32_e32 v80, 24, v79
	v_bfrev_b32_e32 v77, 1
	s_mov_b32 s43, exec_lo
	s_delay_alu instid0(VALU_DEP_2)
	v_cmpx_ne_u32_e32 0x80, v80
	s_cbranch_execz .LBB324_304
; %bb.299:                              ;   in Loop: Header=BB324_12 Depth=1
	v_bfe_u32 v79, v79, 24, 7
	v_mov_b32_e32 v77, 0x7f800001
	s_mov_b32 s44, exec_lo
	s_delay_alu instid0(VALU_DEP_2)
	v_cmpx_ne_u32_e32 0x7f, v79
	s_cbranch_execz .LBB324_303
; %bb.300:                              ;   in Loop: Header=BB324_12 Depth=1
	v_dual_lshrrev_b32 v77, 3, v79 :: v_dual_bitop2_b32 v24, 7, v80 bitop3:0x40
	s_mov_b32 s45, exec_lo
	v_cmpx_gt_u32_e32 8, v79
; %bb.301:                              ;   in Loop: Header=BB324_12 Depth=1
	s_delay_alu instid0(VALU_DEP_2) | instskip(NEXT) | instid1(VALU_DEP_1)
	v_clz_i32_u32_e32 v77, v24
	v_min_u32_e32 v77, 32, v77
	s_delay_alu instid0(VALU_DEP_1) | instskip(NEXT) | instid1(VALU_DEP_1)
	v_subrev_nc_u32_e32 v79, 28, v77
	v_lshlrev_b64_e32 v[82:83], v79, v[24:25]
	s_delay_alu instid0(VALU_DEP_1)
	v_dual_sub_nc_u32 v77, 29, v77 :: v_dual_bitop2_b32 v24, 7, v82 bitop3:0x40
; %bb.302:                              ;   in Loop: Header=BB324_12 Depth=1
	s_or_b32 exec_lo, exec_lo, s45
	v_lshlrev_b32_e32 v79, 24, v80
	s_delay_alu instid0(VALU_DEP_2) | instskip(NEXT) | instid1(VALU_DEP_3)
	v_lshlrev_b32_e32 v24, 20, v24
	v_lshl_add_u32 v77, v77, 23, 0x3c000000
	s_delay_alu instid0(VALU_DEP_3) | instskip(NEXT) | instid1(VALU_DEP_1)
	v_and_b32_e32 v79, 0x80000000, v79
	v_or3_b32 v77, v24, v79, v77
.LBB324_303:                            ;   in Loop: Header=BB324_12 Depth=1
	s_or_b32 exec_lo, exec_lo, s44
.LBB324_304:                            ;   in Loop: Header=BB324_12 Depth=1
	s_delay_alu instid0(SALU_CYCLE_1)
	s_or_b32 exec_lo, exec_lo, s43
.LBB324_305:                            ;   in Loop: Header=BB324_12 Depth=1
	s_delay_alu instid0(SALU_CYCLE_1)
	s_or_b32 exec_lo, exec_lo, s42
	global_load_b32 v79, v[32:33], off offset:1032
	s_wait_xcnt 0x0
	v_dual_mov_b32 v33, 0 :: v_dual_mov_b32 v32, 0
	s_mov_b32 s42, exec_lo
	s_wait_loadcnt 0x0
	v_and_b32_e32 v24, 0xff, v79
	s_delay_alu instid0(VALU_DEP_1)
	v_cmpx_ne_u16_e32 0, v24
	s_cbranch_execz .LBB324_313
; %bb.306:                              ;   in Loop: Header=BB324_12 Depth=1
	v_bfrev_b32_e32 v32, 1
	s_mov_b32 s43, exec_lo
	v_cmpx_ne_u16_e32 0x80, v24
	s_cbranch_execz .LBB324_312
; %bb.307:                              ;   in Loop: Header=BB324_12 Depth=1
	v_and_b32_e32 v80, 0x7f, v79
	v_mov_b32_e32 v32, 0x7f800001
	s_mov_b32 s44, exec_lo
	s_delay_alu instid0(VALU_DEP_2)
	v_cmpx_ne_u32_e32 0x7f, v80
	s_cbranch_execz .LBB324_311
; %bb.308:                              ;   in Loop: Header=BB324_12 Depth=1
	v_dual_lshrrev_b32 v32, 3, v80 :: v_dual_bitop2_b32 v24, 7, v79 bitop3:0x40
	s_mov_b32 s45, exec_lo
	v_cmpx_gt_u32_e32 8, v80
; %bb.309:                              ;   in Loop: Header=BB324_12 Depth=1
	s_delay_alu instid0(VALU_DEP_2) | instskip(NEXT) | instid1(VALU_DEP_1)
	v_clz_i32_u32_e32 v32, v24
	v_min_u32_e32 v32, 32, v32
	s_delay_alu instid0(VALU_DEP_1) | instskip(SKIP_1) | instid1(VALU_DEP_2)
	v_subrev_nc_u32_e32 v80, 28, v32
	v_sub_nc_u32_e32 v32, 29, v32
	v_lshlrev_b64_e32 v[80:81], v80, v[24:25]
	s_delay_alu instid0(VALU_DEP_1)
	v_and_b32_e32 v24, 7, v80
; %bb.310:                              ;   in Loop: Header=BB324_12 Depth=1
	s_or_b32 exec_lo, exec_lo, s45
	s_delay_alu instid0(VALU_DEP_1) | instskip(SKIP_1) | instid1(VALU_DEP_2)
	v_dual_lshlrev_b32 v80, 24, v79 :: v_dual_lshlrev_b32 v24, 20, v24
	v_lshl_add_u32 v32, v32, 23, 0x3c000000
	v_and_b32_e32 v80, 0x80000000, v80
	s_delay_alu instid0(VALU_DEP_1)
	v_or3_b32 v32, v24, v80, v32
.LBB324_311:                            ;   in Loop: Header=BB324_12 Depth=1
	s_or_b32 exec_lo, exec_lo, s44
.LBB324_312:                            ;   in Loop: Header=BB324_12 Depth=1
	s_delay_alu instid0(SALU_CYCLE_1)
	s_or_b32 exec_lo, exec_lo, s43
.LBB324_313:                            ;   in Loop: Header=BB324_12 Depth=1
	s_delay_alu instid0(SALU_CYCLE_1) | instskip(SKIP_2) | instid1(VALU_DEP_1)
	s_or_b32 exec_lo, exec_lo, s42
	v_lshrrev_b16 v24, 8, v79
	s_mov_b32 s42, exec_lo
	v_cmpx_ne_u16_e32 0, v24
	s_cbranch_execz .LBB324_321
; %bb.314:                              ;   in Loop: Header=BB324_12 Depth=1
	v_bfrev_b32_e32 v33, 1
	s_mov_b32 s43, exec_lo
	v_cmpx_ne_u16_e32 0x80, v24
	s_cbranch_execz .LBB324_320
; %bb.315:                              ;   in Loop: Header=BB324_12 Depth=1
	v_and_b32_e32 v24, 0xffff, v24
	v_mov_b32_e32 v33, 0x7f800001
	s_mov_b32 s44, exec_lo
	s_delay_alu instid0(VALU_DEP_2) | instskip(NEXT) | instid1(VALU_DEP_1)
	v_and_b32_e32 v80, 0x7f, v24
	v_cmpx_ne_u32_e32 0x7f, v80
	s_cbranch_execz .LBB324_319
; %bb.316:                              ;   in Loop: Header=BB324_12 Depth=1
	v_and_b32_e32 v24, 7, v24
	v_lshrrev_b32_e32 v33, 3, v80
	s_mov_b32 s45, exec_lo
	v_cmpx_gt_u32_e32 8, v80
; %bb.317:                              ;   in Loop: Header=BB324_12 Depth=1
	s_delay_alu instid0(VALU_DEP_3) | instskip(NEXT) | instid1(VALU_DEP_1)
	v_clz_i32_u32_e32 v33, v24
	v_min_u32_e32 v33, 32, v33
	s_delay_alu instid0(VALU_DEP_1) | instskip(NEXT) | instid1(VALU_DEP_1)
	v_subrev_nc_u32_e32 v80, 28, v33
	v_lshlrev_b64_e32 v[80:81], v80, v[24:25]
	s_delay_alu instid0(VALU_DEP_1)
	v_dual_sub_nc_u32 v33, 29, v33 :: v_dual_bitop2_b32 v24, 7, v80 bitop3:0x40
; %bb.318:                              ;   in Loop: Header=BB324_12 Depth=1
	s_or_b32 exec_lo, exec_lo, s45
	s_delay_alu instid0(VALU_DEP_1) | instskip(NEXT) | instid1(VALU_DEP_2)
	v_dual_lshlrev_b32 v80, 16, v79 :: v_dual_lshlrev_b32 v24, 20, v24
	v_lshl_add_u32 v33, v33, 23, 0x3c000000
	s_delay_alu instid0(VALU_DEP_2) | instskip(NEXT) | instid1(VALU_DEP_1)
	v_and_b32_e32 v80, 0x80000000, v80
	v_or3_b32 v33, v24, v80, v33
.LBB324_319:                            ;   in Loop: Header=BB324_12 Depth=1
	s_or_b32 exec_lo, exec_lo, s44
.LBB324_320:                            ;   in Loop: Header=BB324_12 Depth=1
	s_delay_alu instid0(SALU_CYCLE_1)
	s_or_b32 exec_lo, exec_lo, s43
.LBB324_321:                            ;   in Loop: Header=BB324_12 Depth=1
	s_delay_alu instid0(SALU_CYCLE_1) | instskip(SKIP_3) | instid1(VALU_DEP_2)
	s_or_b32 exec_lo, exec_lo, s42
	v_dual_lshrrev_b32 v82, 16, v79 :: v_dual_mov_b32 v80, 0
	v_mov_b32_e32 v81, 0
	s_mov_b32 s42, exec_lo
	v_and_b32_e32 v24, 0xff, v82
	s_delay_alu instid0(VALU_DEP_1)
	v_cmpx_ne_u16_e32 0, v24
	s_cbranch_execz .LBB324_329
; %bb.322:                              ;   in Loop: Header=BB324_12 Depth=1
	v_bfrev_b32_e32 v81, 1
	s_mov_b32 s43, exec_lo
	v_cmpx_ne_u16_e32 0x80, v24
	s_cbranch_execz .LBB324_328
; %bb.323:                              ;   in Loop: Header=BB324_12 Depth=1
	v_bfe_u32 v83, v79, 16, 7
	v_mov_b32_e32 v81, 0x7f800001
	s_mov_b32 s44, exec_lo
	s_delay_alu instid0(VALU_DEP_2)
	v_cmpx_ne_u32_e32 0x7f, v83
	s_cbranch_execz .LBB324_327
; %bb.324:                              ;   in Loop: Header=BB324_12 Depth=1
	v_dual_lshrrev_b32 v81, 3, v83 :: v_dual_bitop2_b32 v24, 7, v82 bitop3:0x40
	s_mov_b32 s45, exec_lo
	v_cmpx_gt_u32_e32 8, v83
; %bb.325:                              ;   in Loop: Header=BB324_12 Depth=1
	s_delay_alu instid0(VALU_DEP_2) | instskip(NEXT) | instid1(VALU_DEP_1)
	v_clz_i32_u32_e32 v81, v24
	v_min_u32_e32 v81, 32, v81
	s_delay_alu instid0(VALU_DEP_1) | instskip(NEXT) | instid1(VALU_DEP_1)
	v_subrev_nc_u32_e32 v83, 28, v81
	v_lshlrev_b64_e32 v[84:85], v83, v[24:25]
	s_delay_alu instid0(VALU_DEP_1)
	v_dual_sub_nc_u32 v81, 29, v81 :: v_dual_bitop2_b32 v24, 7, v84 bitop3:0x40
; %bb.326:                              ;   in Loop: Header=BB324_12 Depth=1
	s_or_b32 exec_lo, exec_lo, s45
	s_delay_alu instid0(VALU_DEP_1) | instskip(NEXT) | instid1(VALU_DEP_2)
	v_dual_lshlrev_b32 v82, 24, v82 :: v_dual_lshlrev_b32 v24, 20, v24
	v_lshl_add_u32 v81, v81, 23, 0x3c000000
	s_delay_alu instid0(VALU_DEP_2) | instskip(NEXT) | instid1(VALU_DEP_1)
	v_and_b32_e32 v82, 0x80000000, v82
	v_or3_b32 v81, v24, v82, v81
.LBB324_327:                            ;   in Loop: Header=BB324_12 Depth=1
	s_or_b32 exec_lo, exec_lo, s44
.LBB324_328:                            ;   in Loop: Header=BB324_12 Depth=1
	s_delay_alu instid0(SALU_CYCLE_1)
	s_or_b32 exec_lo, exec_lo, s43
.LBB324_329:                            ;   in Loop: Header=BB324_12 Depth=1
	s_delay_alu instid0(SALU_CYCLE_1) | instskip(NEXT) | instid1(SALU_CYCLE_1)
	s_or_b32 exec_lo, exec_lo, s42
	s_mov_b32 s42, exec_lo
	v_cmpx_lt_u32_e32 0xffffff, v79
	s_cbranch_execz .LBB324_337
; %bb.330:                              ;   in Loop: Header=BB324_12 Depth=1
	v_lshrrev_b32_e32 v82, 24, v79
	v_bfrev_b32_e32 v80, 1
	s_mov_b32 s43, exec_lo
	s_delay_alu instid0(VALU_DEP_2)
	v_cmpx_ne_u32_e32 0x80, v82
	s_cbranch_execz .LBB324_336
; %bb.331:                              ;   in Loop: Header=BB324_12 Depth=1
	v_bfe_u32 v83, v79, 24, 7
	v_mov_b32_e32 v80, 0x7f800001
	s_mov_b32 s44, exec_lo
	s_delay_alu instid0(VALU_DEP_2)
	v_cmpx_ne_u32_e32 0x7f, v83
	s_cbranch_execz .LBB324_335
; %bb.332:                              ;   in Loop: Header=BB324_12 Depth=1
	v_dual_lshrrev_b32 v79, 3, v83 :: v_dual_bitop2_b32 v24, 7, v82 bitop3:0x40
	s_mov_b32 s45, exec_lo
	v_cmpx_gt_u32_e32 8, v83
; %bb.333:                              ;   in Loop: Header=BB324_12 Depth=1
	s_delay_alu instid0(VALU_DEP_2) | instskip(NEXT) | instid1(VALU_DEP_1)
	v_clz_i32_u32_e32 v79, v24
	v_min_u32_e32 v79, 32, v79
	s_delay_alu instid0(VALU_DEP_1) | instskip(NEXT) | instid1(VALU_DEP_1)
	v_subrev_nc_u32_e32 v80, 28, v79
	v_lshlrev_b64_e32 v[84:85], v80, v[24:25]
	s_delay_alu instid0(VALU_DEP_1)
	v_dual_sub_nc_u32 v79, 29, v79 :: v_dual_bitop2_b32 v24, 7, v84 bitop3:0x40
; %bb.334:                              ;   in Loop: Header=BB324_12 Depth=1
	s_or_b32 exec_lo, exec_lo, s45
	s_delay_alu instid0(VALU_DEP_1) | instskip(NEXT) | instid1(VALU_DEP_2)
	v_dual_lshlrev_b32 v80, 24, v82 :: v_dual_lshlrev_b32 v24, 20, v24
	v_lshl_add_u32 v79, v79, 23, 0x3c000000
	s_delay_alu instid0(VALU_DEP_2) | instskip(NEXT) | instid1(VALU_DEP_1)
	v_and_b32_e32 v80, 0x80000000, v80
	v_or3_b32 v80, v24, v80, v79
.LBB324_335:                            ;   in Loop: Header=BB324_12 Depth=1
	s_or_b32 exec_lo, exec_lo, s44
.LBB324_336:                            ;   in Loop: Header=BB324_12 Depth=1
	s_delay_alu instid0(SALU_CYCLE_1)
	s_or_b32 exec_lo, exec_lo, s43
.LBB324_337:                            ;   in Loop: Header=BB324_12 Depth=1
	s_delay_alu instid0(SALU_CYCLE_1)
	s_or_b32 exec_lo, exec_lo, s42
	s_wait_kmcnt 0x0
	v_fma_mixlo_bf16 v48, s41, v48, 0
	v_fma_mixlo_bf16 v47, s41, v47, 0
	;; [unrolled: 1-line block ×5, first 2 shown]
	s_wait_dscnt 0x4
	v_dual_lshlrev_b32 v78, 16, v20 :: v_dual_lshlrev_b32 v47, 16, v47
	v_and_b32_e32 v20, 0xffff0000, v20
	v_dual_lshlrev_b32 v48, 16, v48 :: v_dual_lshlrev_b32 v79, 16, v21
	v_fma_mixlo_bf16 v49, s41, v49, 0
	v_fma_mixlo_bf16 v44, s41, v44, 0
	;; [unrolled: 1-line block ×3, first 2 shown]
	v_dual_mul_f32 v47, v78, v47 :: v_dual_lshlrev_b32 v50, 16, v50
	s_delay_alu instid0(VALU_DEP_4)
	v_dual_mul_f32 v20, v20, v48 :: v_dual_lshlrev_b32 v48, 16, v49
	v_fma_mixlo_bf16 v52, s41, v52, 0
	v_fma_mixlo_bf16 v51, s41, v51, 0
	;; [unrolled: 1-line block ×3, first 2 shown]
	v_and_b32_e32 v21, 0xffff0000, v21
	v_mul_f32_e32 v49, v79, v50
	v_fma_mix_f32_bf16 v27, v18, v27, v47 op_sel_hi:[1,1,0]
	v_fma_mix_f32_bf16 v18, v18, v44, v20 op_sel:[1,0,0] op_sel_hi:[1,1,0]
	v_fma_mixlo_bf16 v56, s41, v56, 0
	v_fma_mixlo_bf16 v55, s41, v55, 0
	;; [unrolled: 1-line block ×4, first 2 shown]
	v_mul_f32_e32 v21, v21, v48
	v_fma_mix_f32_bf16 v44, v19, v46, v49 op_sel_hi:[1,1,0]
	s_wait_dscnt 0x3
	v_fma_mix_f32_bf16 v27, v14, v51, v27 op_sel_hi:[1,1,0]
	v_fma_mix_f32_bf16 v14, v14, v52, v18 op_sel:[1,0,0] op_sel_hi:[1,1,0]
	v_fma_mixlo_bf16 v60, s41, v60, 0
	v_fma_mixlo_bf16 v59, s41, v59, 0
	;; [unrolled: 1-line block ×4, first 2 shown]
	v_fma_mix_f32_bf16 v19, v19, v20, v21 op_sel:[1,0,0] op_sel_hi:[1,1,0]
	v_fma_mix_f32_bf16 v20, v15, v54, v44 op_sel_hi:[1,1,0]
	v_fma_mix_f32_bf16 v21, v16, v55, v27 op_sel_hi:[1,1,0]
	v_fma_mix_f32_bf16 v14, v16, v56, v14 op_sel:[1,0,0] op_sel_hi:[1,1,0]
	v_fma_mixlo_bf16 v64, s41, v64, 0
	v_fma_mixlo_bf16 v63, s41, v63, 0
	;; [unrolled: 1-line block ×4, first 2 shown]
	v_fma_mix_f32_bf16 v15, v15, v18, v19 op_sel:[1,0,0] op_sel_hi:[1,1,0]
	v_fma_mix_f32_bf16 v18, v17, v58, v20 op_sel_hi:[1,1,0]
	s_wait_dscnt 0x2
	v_fma_mix_f32_bf16 v19, v10, v59, v21 op_sel_hi:[1,1,0]
	v_fma_mix_f32_bf16 v10, v10, v60, v14 op_sel:[1,0,0] op_sel_hi:[1,1,0]
	v_fma_mixlo_bf16 v68, s41, v68, 0
	v_fma_mixlo_bf16 v67, s41, v67, 0
	;; [unrolled: 1-line block ×4, first 2 shown]
	v_fma_mix_f32_bf16 v15, v17, v16, v15 op_sel:[1,0,0] op_sel_hi:[1,1,0]
	v_fma_mix_f32_bf16 v16, v11, v62, v18 op_sel_hi:[1,1,0]
	v_fma_mix_f32_bf16 v17, v12, v63, v19 op_sel_hi:[1,1,0]
	v_fma_mix_f32_bf16 v10, v12, v64, v10 op_sel:[1,0,0] op_sel_hi:[1,1,0]
	v_fma_mixlo_bf16 v72, s41, v72, 0
	v_fma_mixlo_bf16 v71, s41, v71, 0
	;; [unrolled: 1-line block ×4, first 2 shown]
	v_fma_mix_f32_bf16 v11, v11, v14, v15 op_sel:[1,0,0] op_sel_hi:[1,1,0]
	v_fma_mix_f32_bf16 v14, v13, v66, v16 op_sel_hi:[1,1,0]
	s_wait_dscnt 0x1
	v_fma_mix_f32_bf16 v15, v6, v67, v17 op_sel_hi:[1,1,0]
	v_fma_mix_f32_bf16 v6, v6, v68, v10 op_sel:[1,0,0] op_sel_hi:[1,1,0]
	v_fma_mixlo_bf16 v76, s41, v76, 0
	v_fma_mixlo_bf16 v75, s41, v75, 0
	;; [unrolled: 1-line block ×4, first 2 shown]
	v_fma_mix_f32_bf16 v11, v13, v12, v11 op_sel:[1,0,0] op_sel_hi:[1,1,0]
	v_fma_mix_f32_bf16 v12, v7, v70, v14 op_sel_hi:[1,1,0]
	v_fma_mix_f32_bf16 v13, v8, v71, v15 op_sel_hi:[1,1,0]
	v_fma_mix_f32_bf16 v6, v8, v72, v6 op_sel:[1,0,0] op_sel_hi:[1,1,0]
	v_fma_mixlo_bf16 v32, s41, v32, 0
	v_fma_mixlo_bf16 v8, s41, v73, 0
	v_fma_mix_f32_bf16 v7, v7, v10, v11 op_sel:[1,0,0] op_sel_hi:[1,1,0]
	v_fma_mix_f32_bf16 v10, v9, v74, v12 op_sel_hi:[1,1,0]
	s_wait_dscnt 0x0
	v_fma_mix_f32_bf16 v11, v2, v75, v13 op_sel_hi:[1,1,0]
	v_fma_mix_f32_bf16 v2, v2, v76, v6 op_sel:[1,0,0] op_sel_hi:[1,1,0]
	v_fma_mixlo_bf16 v77, s41, v77, 0
	v_fma_mixlo_bf16 v6, s41, v81, 0
	v_fma_mix_f32_bf16 v7, v9, v8, v7 op_sel:[1,0,0] op_sel_hi:[1,1,0]
	v_fma_mix_f32_bf16 v8, v3, v33, v10 op_sel_hi:[1,1,0]
	v_fma_mix_f32_bf16 v9, v4, v32, v11 op_sel_hi:[1,1,0]
	v_fma_mix_f32_bf16 v2, v4, v24, v2 op_sel:[1,0,0] op_sel_hi:[1,1,0]
	v_xor_b32_e32 v4, 1, v36
	v_fma_mixlo_bf16 v10, s41, v80, 0
	v_fma_mix_f32_bf16 v3, v3, v77, v7 op_sel:[1,0,0] op_sel_hi:[1,1,0]
	v_fma_mix_f32_bf16 v6, v5, v6, v8 op_sel_hi:[1,1,0]
	v_add_f32_e32 v2, v9, v2
	v_cmp_gt_i32_e64 s4, 32, v4
	s_delay_alu instid0(VALU_DEP_4) | instskip(NEXT) | instid1(VALU_DEP_2)
	v_fma_mix_f32_bf16 v3, v5, v10, v3 op_sel:[1,0,0] op_sel_hi:[1,1,0]
	v_dual_add_f32 v2, v2, v6 :: v_dual_cndmask_b32 v4, v36, v4, s4
	s_delay_alu instid0(VALU_DEP_1)
	v_dual_add_f32 v2, v2, v3 :: v_dual_lshlrev_b32 v4, 2, v4
	ds_bpermute_b32 v3, v4, v2
	s_and_saveexec_b32 s41, s3
	s_cbranch_execz .LBB324_10
; %bb.338:                              ;   in Loop: Header=BB324_12 Depth=1
	s_wait_dscnt 0x0
	v_dual_add_nc_u32 v4, v40, v26 :: v_dual_add_f32 v2, v2, v3
	s_delay_alu instid0(VALU_DEP_1) | instskip(NEXT) | instid1(VALU_DEP_1)
	v_cvt_f32_i32_e32 v4, v4
	v_mul_f32_e32 v4, s36, v4
	s_delay_alu instid0(VALU_DEP_1) | instskip(NEXT) | instid1(VALU_DEP_1)
	v_dual_cndmask_b32 v3, 0, v4 :: v_dual_max_num_f32 v4, v39, v39
	v_fmac_f32_e32 v3, s27, v2
	s_delay_alu instid0(VALU_DEP_1) | instskip(NEXT) | instid1(VALU_DEP_1)
	v_dual_add_nc_u32 v2, v37, v26 :: v_dual_max_num_f32 v4, v4, v3
	v_cmp_gt_i32_e64 s4, s34, v2
	s_delay_alu instid0(VALU_DEP_1)
	v_dual_cndmask_b32 v2, 0, v3, s4 :: v_dual_cndmask_b32 v39, v39, v4, s4
	ds_store_b32 v41, v2
	s_branch .LBB324_10
.LBB324_339:
	s_or_b32 exec_lo, exec_lo, s40
.LBB324_340:
	s_delay_alu instid0(SALU_CYCLE_1)
	s_or_b32 exec_lo, exec_lo, s37
	v_dual_max_num_f32 v5, v39, v39 :: v_dual_bitop2_b32 v2, 16, v36 bitop3:0x14
	s_clause 0x1
	s_load_b64 s[4:5], s[0:1], 0x0
	s_load_b64 s[8:9], s[0:1], 0x18
	v_and_b32_e32 v28, 31, v0
	v_xor_b32_e32 v4, 8, v36
	v_cmp_gt_i32_e32 vcc_lo, 32, v2
	v_dual_cndmask_b32 v2, v36, v2, vcc_lo :: v_dual_bitop2_b32 v6, 4, v36 bitop3:0x14
	s_delay_alu instid0(VALU_DEP_3) | instskip(SKIP_1) | instid1(VALU_DEP_2)
	v_cmp_gt_i32_e32 vcc_lo, 32, v4
	s_wait_dscnt 0x0
	v_dual_cndmask_b32 v4, v36, v4 :: v_dual_lshlrev_b32 v3, 2, v2
	s_delay_alu instid0(VALU_DEP_3) | instskip(SKIP_3) | instid1(VALU_DEP_1)
	v_cmp_gt_i32_e32 vcc_lo, 32, v6
	ds_bpermute_b32 v2, v3, v39
	s_wait_dscnt 0x0
	v_dual_lshlrev_b32 v4, 2, v4 :: v_dual_max_num_f32 v2, v2, v2
	v_max_num_f32_e32 v2, v5, v2
	ds_bpermute_b32 v5, v4, v2
	s_wait_dscnt 0x0
	v_dual_cndmask_b32 v6, v36, v6 :: v_dual_max_num_f32 v7, v5, v5
	s_delay_alu instid0(VALU_DEP_1) | instskip(SKIP_3) | instid1(VALU_DEP_1)
	v_dual_max_num_f32 v2, v2, v7 :: v_dual_lshlrev_b32 v5, 2, v6
	ds_bpermute_b32 v6, v5, v2
	s_wait_dscnt 0x0
	v_dual_max_num_f32 v6, v6, v6 :: v_dual_bitop2_b32 v7, 2, v36 bitop3:0x14
	v_cmp_gt_i32_e32 vcc_lo, 32, v7
	s_delay_alu instid0(VALU_DEP_2) | instskip(SKIP_1) | instid1(VALU_DEP_2)
	v_dual_cndmask_b32 v8, v36, v7 :: v_dual_max_num_f32 v7, v2, v6
	v_cmp_eq_u32_e32 vcc_lo, 0, v28
	v_dual_lshlrev_b32 v6, 2, v35 :: v_dual_lshlrev_b32 v2, 2, v8
	ds_bpermute_b32 v8, v2, v7
	s_wait_xcnt 0x0
	s_and_saveexec_b32 s0, vcc_lo
	s_cbranch_execz .LBB324_342
; %bb.341:
	s_wait_dscnt 0x0
	v_dual_max_num_f32 v8, v8, v8 :: v_dual_max_num_f32 v7, v7, v7
	s_delay_alu instid0(VALU_DEP_1)
	v_max_num_f32_e32 v7, v7, v8
	ds_store_b32 v6, v7 offset:160
.LBB324_342:
	s_or_b32 exec_lo, exec_lo, s0
	v_cmp_gt_u32_e64 s0, 4, v28
	s_wait_dscnt 0x0
	v_dual_mov_b32 v8, 0xff7fffff :: v_dual_lshlrev_b32 v7, 2, v28
	s_barrier_signal -1
	s_barrier_wait -1
	s_and_saveexec_b32 s1, s0
; %bb.343:
	ds_load_b32 v8, v7 offset:160
; %bb.344:
	s_or_b32 exec_lo, exec_lo, s1
	s_wait_dscnt 0x0
	ds_bpermute_b32 v9, v2, v8
	s_wait_dscnt 0x0
	v_dual_max_num_f32 v9, v9, v9 :: v_dual_bitop2_b32 v10, 1, v36 bitop3:0x14
	s_delay_alu instid0(VALU_DEP_1) | instskip(NEXT) | instid1(VALU_DEP_1)
	v_cmp_gt_i32_e64 s1, 32, v10
	v_cndmask_b32_e64 v10, v36, v10, s1
	v_max_num_f32_e32 v8, v8, v8
	s_lshl_b32 s1, s12, 4
	s_delay_alu instid0(SALU_CYCLE_1) | instskip(NEXT) | instid1(VALU_DEP_1)
	s_min_i32 s19, s1, s34
	v_dual_max_num_f32 v8, v8, v9 :: v_dual_lshlrev_b32 v29, 2, v10
	v_cmp_gt_i32_e64 s1, s19, v0
	ds_bpermute_b32 v9, v29, v8
	s_wait_dscnt 0x0
	v_max_num_f32_e32 v9, v9, v9
	s_delay_alu instid0(VALU_DEP_1)
	v_dual_max_num_f32 v9, v8, v9 :: v_dual_mov_b32 v8, 0
	ds_bpermute_b32 v9, v8, v9
	s_and_saveexec_b32 s27, s1
	s_cbranch_execz .LBB324_348
; %bb.345:
	v_lshl_add_u32 v10, v0, 2, 0xc0
	v_dual_mov_b32 v8, 0 :: v_dual_mov_b32 v11, v0
	s_mov_b32 s28, 0
.LBB324_346:                            ; =>This Inner Loop Header: Depth=1
	ds_load_b32 v12, v10
	v_add_nc_u32_e32 v11, 0x80, v11
	s_delay_alu instid0(VALU_DEP_1) | instskip(SKIP_3) | instid1(VALU_DEP_1)
	v_cmp_le_i32_e64 s3, s19, v11
	s_or_b32 s28, s3, s28
	s_wait_dscnt 0x0
	v_sub_f32_e32 v12, v12, v9
	v_mul_f32_e32 v12, 0x3fb8aa3b, v12
	s_delay_alu instid0(VALU_DEP_1)
	v_exp_f32_e32 v12, v12
	ds_store_b32 v10, v12
	v_nop
	v_add_f32_e32 v8, v8, v12
	v_add_nc_u32_e32 v10, 0x200, v10
	s_and_not1_b32 exec_lo, exec_lo, s28
	s_cbranch_execnz .LBB324_346
; %bb.347:
	s_or_b32 exec_lo, exec_lo, s28
.LBB324_348:
	s_delay_alu instid0(SALU_CYCLE_1)
	s_or_b32 exec_lo, exec_lo, s27
	ds_bpermute_b32 v3, v3, v8
	s_wait_dscnt 0x0
	v_add_f32_e32 v3, v8, v3
	ds_bpermute_b32 v4, v4, v3
	s_wait_dscnt 0x0
	v_add_f32_e32 v3, v3, v4
	;; [unrolled: 3-line block ×5, first 2 shown]
	s_and_saveexec_b32 s3, vcc_lo
; %bb.349:
	ds_store_b32 v6, v3 offset:176
; %bb.350:
	s_or_b32 exec_lo, exec_lo, s3
	s_wait_dscnt 0x0
	s_barrier_signal -1
	s_barrier_wait -1
	s_and_saveexec_b32 s3, s0
; %bb.351:
	ds_load_b32 v3, v7 offset:176
; %bb.352:
	s_or_b32 exec_lo, exec_lo, s3
	s_wait_dscnt 0x0
	ds_bpermute_b32 v2, v2, v3
	s_wait_dscnt 0x0
	v_dual_mov_b32 v11, 0 :: v_dual_add_f32 v2, v3, v2
	ds_bpermute_b32 v3, v29, v2
	s_wait_dscnt 0x0
	v_add_f32_e32 v2, v2, v3
	ds_bpermute_b32 v2, v11, v2
	s_and_saveexec_b32 s0, s1
	s_cbranch_execz .LBB324_365
; %bb.353:
	s_wait_dscnt 0x0
	v_add_f32_e32 v2, 0x358637bd, v2
	s_mov_b32 s3, -1
	s_mov_b32 s1, exec_lo
	s_delay_alu instid0(VALU_DEP_1) | instskip(NEXT) | instid1(VALU_DEP_1)
	v_div_scale_f32 v3, null, v2, v2, 1.0
	v_rcp_f32_e32 v5, v3
	v_nop
	s_delay_alu instid0(TRANS32_DEP_1) | instskip(NEXT) | instid1(VALU_DEP_1)
	v_fma_f32 v4, -v3, v5, 1.0
	v_fmac_f32_e32 v5, v4, v5
	v_div_scale_f32 v6, vcc_lo, 1.0, v2, 1.0
	s_delay_alu instid0(VALU_DEP_1) | instskip(NEXT) | instid1(VALU_DEP_1)
	v_mul_f32_e32 v7, v6, v5
	v_fma_f32 v4, -v3, v7, v6
	s_delay_alu instid0(VALU_DEP_1) | instskip(SKIP_1) | instid1(VALU_DEP_2)
	v_fmac_f32_e32 v7, v4, v5
	v_xad_u32 v4, v0, -1, s19
	v_fma_f32 v3, -v3, v7, v6
	s_delay_alu instid0(VALU_DEP_1) | instskip(NEXT) | instid1(VALU_DEP_1)
	v_div_fmas_f32 v3, v3, v5, v7
	v_div_fixup_f32 v2, v3, v2, 1.0
	v_mov_b32_e32 v3, v0
	v_cmpx_lt_u32_e32 0x7f, v4
	s_cbranch_execz .LBB324_362
; %bb.354:
	s_delay_alu instid0(VALU_DEP_3) | instskip(NEXT) | instid1(VALU_DEP_1)
	v_dual_mov_b32 v3, v2 :: v_dual_lshrrev_b32 v4, 7, v4
	v_dual_mov_b32 v8, 0 :: v_dual_add_nc_u32 v5, -1, v4
	s_delay_alu instid0(VALU_DEP_1) | instskip(SKIP_1) | instid1(VALU_DEP_2)
	v_lshrrev_b32_e32 v6, 1, v5
	v_cmp_lt_u32_e32 vcc_lo, 13, v5
	v_add_nc_u32_e32 v5, 1, v6
	s_and_saveexec_b32 s3, vcc_lo
	s_cbranch_execz .LBB324_358
; %bb.355:
	s_delay_alu instid0(VALU_DEP_1)
	v_and_b32_e32 v6, -8, v5
	v_lshl_add_u32 v7, v0, 2, 0xc0
	s_mov_b32 s27, 0
	s_mov_b32 s28, 0
.LBB324_356:                            ; =>This Inner Loop Header: Depth=1
	ds_load_2addr_stride64_b32 v[8:9], v7 offset1:2
	ds_load_2addr_stride64_b32 v[12:13], v7 offset0:4 offset1:6
	ds_load_2addr_stride64_b32 v[14:15], v7 offset0:8 offset1:10
	;; [unrolled: 1-line block ×7, first 2 shown]
	s_add_co_i32 s28, s28, 16
	v_add_nc_u32_e32 v6, -8, v6
	s_wait_dscnt 0x7
	v_pk_mul_f32 v[8:9], v[2:3], v[8:9]
	s_wait_dscnt 0x6
	v_pk_mul_f32 v[12:13], v[2:3], v[12:13]
	s_wait_dscnt 0x5
	v_pk_mul_f32 v[14:15], v[2:3], v[14:15]
	s_wait_dscnt 0x4
	v_pk_mul_f32 v[16:17], v[2:3], v[16:17]
	s_wait_dscnt 0x3
	v_pk_mul_f32 v[18:19], v[2:3], v[18:19]
	s_wait_dscnt 0x2
	v_pk_mul_f32 v[20:21], v[2:3], v[20:21]
	s_wait_dscnt 0x1
	v_pk_mul_f32 v[24:25], v[2:3], v[24:25]
	s_wait_dscnt 0x0
	v_pk_mul_f32 v[26:27], v[2:3], v[26:27]
	ds_store_2addr_stride64_b32 v7, v8, v9 offset1:2
	ds_store_2addr_stride64_b32 v7, v12, v13 offset0:4 offset1:6
	ds_store_2addr_stride64_b32 v7, v14, v15 offset0:8 offset1:10
	;; [unrolled: 1-line block ×7, first 2 shown]
	v_mov_b32_e32 v8, s28
	v_cmp_eq_u32_e32 vcc_lo, 0, v6
	v_add_nc_u32_e32 v7, 0x2000, v7
	s_or_b32 s27, vcc_lo, s27
	s_delay_alu instid0(SALU_CYCLE_1)
	s_and_not1_b32 exec_lo, exec_lo, s27
	s_cbranch_execnz .LBB324_356
; %bb.357:
	s_or_b32 exec_lo, exec_lo, s27
.LBB324_358:
	s_delay_alu instid0(SALU_CYCLE_1) | instskip(NEXT) | instid1(VALU_DEP_1)
	s_or_b32 exec_lo, exec_lo, s3
	v_and_b32_e32 v5, 7, v5
	s_mov_b32 s27, 0
	s_mov_b32 s3, exec_lo
	s_delay_alu instid0(VALU_DEP_1)
	v_cmpx_ne_u32_e32 0, v5
	s_cbranch_execz .LBB324_361
; %bb.359:
	v_lshlrev_b32_e32 v6, 9, v8
	v_lshlrev_b32_e32 v7, 2, v0
	s_delay_alu instid0(VALU_DEP_1)
	v_add3_u32 v6, v6, v7, 0xc0
.LBB324_360:                            ; =>This Inner Loop Header: Depth=1
	ds_load_2addr_stride64_b32 v[8:9], v6 offset1:2
	v_add_nc_u32_e32 v5, -1, v5
	s_delay_alu instid0(VALU_DEP_1)
	v_cmp_eq_u32_e32 vcc_lo, 0, v5
	s_or_b32 s27, vcc_lo, s27
	s_wait_dscnt 0x0
	v_pk_mul_f32 v[8:9], v[2:3], v[8:9]
	ds_store_2addr_stride64_b32 v6, v8, v9 offset1:2
	v_add_nc_u32_e32 v6, 0x400, v6
	s_and_not1_b32 exec_lo, exec_lo, s27
	s_cbranch_execnz .LBB324_360
.LBB324_361:
	s_or_b32 exec_lo, exec_lo, s3
	v_add_nc_u32_e32 v3, 1, v4
	s_delay_alu instid0(VALU_DEP_1) | instskip(NEXT) | instid1(VALU_DEP_1)
	v_and_b32_e32 v4, 0x3fffffe, v3
	v_cmp_ne_u32_e32 vcc_lo, v3, v4
	v_lshl_add_u32 v3, v4, 7, v0
	s_or_not1_b32 s3, vcc_lo, exec_lo
.LBB324_362:
	s_or_b32 exec_lo, exec_lo, s1
	s_delay_alu instid0(SALU_CYCLE_1)
	s_and_b32 exec_lo, exec_lo, s3
	s_cbranch_execz .LBB324_365
; %bb.363:
	v_lshl_add_u32 v4, v3, 2, 0xc0
	s_mov_b32 s1, 0
.LBB324_364:                            ; =>This Inner Loop Header: Depth=1
	ds_load_b32 v5, v4
	v_add_nc_u32_e32 v3, 0x80, v3
	s_delay_alu instid0(VALU_DEP_1)
	v_cmp_le_i32_e32 vcc_lo, s19, v3
	s_or_b32 s1, vcc_lo, s1
	s_wait_dscnt 0x0
	v_mul_f32_e32 v5, v2, v5
	ds_store_b32 v4, v5
	v_add_nc_u32_e32 v4, 0x200, v4
	s_and_not1_b32 exec_lo, exec_lo, s1
	s_cbranch_execnz .LBB324_364
.LBB324_365:
	s_or_b32 exec_lo, exec_lo, s0
	v_dual_mov_b32 v10, 0 :: v_dual_mov_b32 v13, 0
	v_dual_mov_b32 v12, 0 :: v_dual_mov_b32 v30, 0
	s_wait_dscnt 0x0
	s_barrier_signal -1
	s_barrier_wait -1
	s_and_saveexec_b32 s1, s2
	s_cbranch_execz .LBB324_681
; %bb.366:
	s_abs_i32 s14, s14
	v_dual_mov_b32 v15, 0 :: v_dual_lshlrev_b32 v2, 3, v0
	s_cvt_f32_u32 s0, s14
	s_ashr_i32 s19, s18, 31
	v_dual_lshlrev_b32 v4, 5, v34 :: v_dual_mov_b32 v30, 0
	s_delay_alu instid0(SALU_CYCLE_1)
	v_rcp_iflag_f32_e32 v3, s0
	v_and_b32_e32 v14, 0xf8, v2
	s_wait_kmcnt 0x0
	s_add_nc_u64 s[8:9], s[8:9], s[18:19]
	s_lshl_b64 s[24:25], s[24:25], 2
	s_sub_co_i32 s18, 0, s14
	v_dual_mov_b32 v33, v35 :: v_dual_bitop2_b32 v31, 8, v2 bitop3:0x40
	v_readfirstlane_b32 s0, v3
	v_add_nc_u64_e32 v[16:17], s[8:9], v[14:15]
	v_and_b32_e32 v14, 0x7c, v23
	v_lshl_or_b32 v3, v35, 6, v4
	s_add_nc_u64 s[8:9], s[22:23], s[24:25]
	s_mul_f32 s0, s0, 0x4f7ffffe
	v_dual_mov_b32 v12, 0 :: v_dual_mov_b32 v10, 0
	v_add_nc_u64_e32 v[18:19], s[8:9], v[14:15]
	s_delay_alu instid0(SALU_CYCLE_1) | instskip(SKIP_2) | instid1(SALU_CYCLE_1)
	s_cvt_u32_f32 s0, s0
	v_dual_mov_b32 v13, 0 :: v_dual_add_nc_u32 v32, 0xc0, v3
	v_mov_b32_e32 v11, 0
	s_mul_i32 s18, s18, s0
	s_mov_b32 s9, 0
	s_mul_hi_u32 s8, s0, s18
	s_sub_co_i32 s13, s26, s13
	s_add_co_i32 s26, s12, -1
	s_mov_b64 s[2:3], 0xffffffffffffff
	s_add_co_i32 s8, s0, s8
	s_mov_b32 s18, s9
	s_branch .LBB324_369
.LBB324_367:                            ;   in Loop: Header=BB324_369 Depth=1
	s_or_b32 exec_lo, exec_lo, s0
	s_wait_dscnt 0x1
	v_cvt_pk_bf16_f32 v6, v6, v7
	v_perm_b32 v7, v71, v72, 0x5040100
	v_cvt_pk_bf16_f32 v8, v8, v9
	v_perm_b32 v9, v69, v70, 0x5040100
	s_wait_dscnt 0x0
	v_cvt_pk_bf16_f32 v2, v2, v3
	v_perm_b32 v3, v67, v68, 0x5040100
	v_pk_mul_bf16 v7, v6, v7
	v_cvt_pk_bf16_f32 v4, v4, v5
	v_pk_mul_bf16 v9, v8, v9
	v_perm_b32 v26, v27, v26, 0x5040100
	v_pk_mul_bf16 v3, v2, v3
	v_lshlrev_b32_e32 v43, 16, v7
	v_and_b32_e32 v7, 0xffff0000, v7
	v_lshlrev_b32_e32 v44, 16, v9
	v_and_b32_e32 v9, 0xffff0000, v9
	v_perm_b32 v27, v65, v66, 0x5040100
	v_pk_mul_bf16 v26, v4, v26
	v_add_f32_e32 v5, v43, v7
	v_perm_b32 v45, v57, v58, 0x5040100
	v_dual_add_f32 v7, v44, v9 :: v_dual_lshlrev_b32 v9, 16, v3
	v_and_b32_e32 v3, 0xffff0000, v3
	v_perm_b32 v41, v41, v42, 0x5040100
	v_perm_b32 v42, v52, v51, 0x5040100
	s_delay_alu instid0(VALU_DEP_4)
	v_add_f32_e32 v5, v7, v5
	v_perm_b32 v7, v63, v64, 0x5040100
	v_add_f32_e32 v3, v9, v3
	v_pk_mul_bf16 v9, v6, v27
	v_perm_b32 v39, v39, v40, 0x5040100
	v_perm_b32 v23, v23, v36, 0x5040100
	v_pk_mul_bf16 v7, v8, v7
	v_perm_b32 v36, v38, v37, 0x5040100
	v_lshlrev_b32_e32 v27, 16, v9
	v_add_f32_e32 v3, v3, v5
	v_perm_b32 v5, v61, v62, 0x5040100
	v_and_b32_e32 v9, 0xffff0000, v9
	v_lshlrev_b32_e32 v43, 16, v7
	v_and_b32_e32 v7, 0xffff0000, v7
	v_lshlrev_b32_e32 v44, 16, v26
	v_pk_mul_bf16 v5, v2, v5
	v_add_f32_e32 v9, v27, v9
	v_and_b32_e32 v26, 0xffff0000, v26
	v_add_f32_e32 v7, v43, v7
	v_perm_b32 v43, v60, v59, 0x5040100
	v_lshlrev_b32_e32 v27, 16, v5
	v_and_b32_e32 v5, 0xffff0000, v5
	s_delay_alu instid0(VALU_DEP_4) | instskip(SKIP_2) | instid1(VALU_DEP_4)
	v_dual_add_f32 v26, v44, v26 :: v_dual_add_f32 v7, v7, v9
	v_perm_b32 v9, v55, v56, 0x5040100
	v_pk_mul_bf16 v43, v4, v43
	v_add_f32_e32 v5, v27, v5
	v_pk_mul_bf16 v27, v6, v45
	v_perm_b32 v38, v74, v73, 0x5040100
	v_pk_mul_bf16 v9, v8, v9
	v_perm_b32 v25, v25, v75, 0x5040100
	v_pk_mul_bf16 v39, v8, v39
	v_lshlrev_b32_e32 v44, 16, v27
	s_delay_alu instid0(VALU_DEP_4)
	v_dual_add_f32 v5, v5, v7 :: v_dual_lshlrev_b32 v45, 16, v9
	v_perm_b32 v7, v53, v54, 0x5040100
	v_and_b32_e32 v27, 0xffff0000, v27
	v_and_b32_e32 v9, 0xffff0000, v9
	v_lshlrev_b32_e32 v46, 16, v43
	v_and_b32_e32 v43, 0xffff0000, v43
	v_pk_mul_bf16 v7, v2, v7
	s_delay_alu instid0(VALU_DEP_4)
	v_dual_add_f32 v27, v44, v27 :: v_dual_add_f32 v9, v45, v9
	v_perm_b32 v20, v20, v24, 0x5040100
	v_pk_mul_bf16 v8, v8, v25
	v_add_f32_e32 v40, v46, v43
	v_pk_mul_bf16 v23, v2, v23
	v_add_f32_e32 v9, v9, v27
	v_pk_mul_bf16 v27, v6, v41
	v_pk_mul_bf16 v41, v4, v42
	v_lshlrev_b32_e32 v44, 16, v7
	v_and_b32_e32 v7, 0xffff0000, v7
	v_pk_mul_bf16 v6, v6, v38
	v_pk_mul_bf16 v2, v2, v20
	v_lshlrev_b32_e32 v43, 16, v41
	v_perm_b32 v14, v21, v14, 0x5040100
	s_delay_alu instid0(VALU_DEP_4) | instskip(SKIP_3) | instid1(VALU_DEP_4)
	v_dual_add_f32 v7, v44, v7 :: v_dual_lshlrev_b32 v20, 16, v6
	v_and_b32_e32 v6, 0xffff0000, v6
	v_lshlrev_b32_e32 v42, 16, v39
	v_and_b32_e32 v39, 0xffff0000, v39
	v_dual_add_f32 v7, v7, v9 :: v_dual_lshlrev_b32 v9, 16, v27
	v_and_b32_e32 v27, 0xffff0000, v27
	v_lshlrev_b32_e32 v21, 16, v8
	v_and_b32_e32 v8, 0xffff0000, v8
	v_pk_mul_bf16 v36, v4, v36
	v_pk_mul_bf16 v4, v4, v14
	v_dual_add_f32 v9, v9, v27 :: v_dual_lshlrev_b32 v14, 16, v2
	s_delay_alu instid0(VALU_DEP_4) | instskip(NEXT) | instid1(VALU_DEP_4)
	v_dual_add_f32 v8, v8, v21 :: v_dual_add_f32 v6, v6, v20
	v_dual_add_f32 v27, v42, v39 :: v_dual_lshlrev_b32 v20, 16, v36
	v_lshlrev_b32_e32 v24, 16, v23
	v_and_b32_e32 v23, 0xffff0000, v23
	v_and_b32_e32 v2, 0xffff0000, v2
	;; [unrolled: 1-line block ×3, first 2 shown]
	v_add_f32_e32 v9, v27, v9
	v_and_b32_e32 v21, 0xffff0000, v36
	v_add_f32_e32 v6, v8, v6
	v_dual_add_f32 v23, v24, v23 :: v_dual_lshlrev_b32 v24, 16, v4
	v_dual_add_f32 v2, v2, v14 :: v_dual_add_f32 v8, v43, v37
	v_and_b32_e32 v4, 0xffff0000, v4
	s_delay_alu instid0(VALU_DEP_3) | instskip(SKIP_1) | instid1(VALU_DEP_3)
	v_add_f32_e32 v9, v23, v9
	v_dual_add_f32 v14, v20, v21 :: v_dual_add_f32 v3, v26, v3
	v_dual_add_f32 v2, v2, v6 :: v_dual_add_f32 v4, v4, v24
	s_delay_alu instid0(VALU_DEP_2) | instskip(NEXT) | instid1(VALU_DEP_3)
	v_dual_add_f32 v5, v40, v5 :: v_dual_add_f32 v11, v11, v3
	v_dual_add_f32 v6, v8, v7 :: v_dual_add_f32 v7, v14, v9
	s_delay_alu instid0(VALU_DEP_2) | instskip(NEXT) | instid1(VALU_DEP_2)
	v_dual_add_f32 v2, v4, v2 :: v_dual_add_f32 v10, v10, v5
	v_dual_add_f32 v13, v13, v6 :: v_dual_add_f32 v12, v12, v7
	s_delay_alu instid0(VALU_DEP_2)
	v_add_f32_e32 v30, v30, v2
.LBB324_368:                            ;   in Loop: Header=BB324_369 Depth=1
	s_or_b32 exec_lo, exec_lo, s19
	v_dual_add_nc_u32 v33, 4, v33 :: v_dual_add_nc_u32 v22, 64, v22
	v_add_nc_u64_e32 v[18:19], 16, v[18:19]
	v_add_nc_u32_e32 v32, 0x100, v32
	s_delay_alu instid0(VALU_DEP_3) | instskip(SKIP_1) | instid1(SALU_CYCLE_1)
	v_cmp_le_i32_e32 vcc_lo, s12, v33
	s_or_b32 s18, vcc_lo, s18
	s_and_not1_b32 exec_lo, exec_lo, s18
	s_cbranch_execz .LBB324_680
.LBB324_369:                            ; =>This Inner Loop Header: Depth=1
	v_mov_b32_e32 v23, v15
	s_delay_alu instid0(VALU_DEP_1) | instskip(NEXT) | instid1(VALU_DEP_1)
	v_mul_u64_e32 v[2:3], s[20:21], v[22:23]
	v_mul_lo_u32 v2, v3, s16
	s_delay_alu instid0(VALU_DEP_1) | instskip(NEXT) | instid1(VALU_DEP_1)
	v_sub_nc_u32_e32 v2, v22, v2
	v_subrev_nc_u32_e32 v5, s16, v2
	v_cmp_le_u32_e32 vcc_lo, s16, v2
	s_delay_alu instid0(VALU_DEP_2) | instskip(NEXT) | instid1(VALU_DEP_1)
	v_dual_add_nc_u32 v4, 1, v3 :: v_dual_cndmask_b32 v2, v2, v5, vcc_lo
	v_cndmask_b32_e32 v3, v3, v4, vcc_lo
	s_delay_alu instid0(VALU_DEP_2) | instskip(NEXT) | instid1(VALU_DEP_2)
	v_cmp_le_u32_e32 vcc_lo, s16, v2
	v_add_nc_u32_e32 v4, 1, v3
	s_delay_alu instid0(VALU_DEP_1) | instskip(NEXT) | instid1(VALU_DEP_1)
	v_cndmask_b32_e32 v2, v3, v4, vcc_lo
	v_xor_b32_e32 v2, s15, v2
	s_delay_alu instid0(VALU_DEP_1) | instskip(NEXT) | instid1(VALU_DEP_1)
	v_subrev_nc_u32_e32 v4, s15, v2
	v_add_nc_u32_e32 v5, s35, v4
	v_cmp_lt_i32_e64 s0, s13, v4
	s_delay_alu instid0(VALU_DEP_2) | instskip(NEXT) | instid1(VALU_DEP_1)
	v_sub_nc_u32_e32 v2, 0, v5
	v_dual_ashrrev_i32 v5, 31, v5 :: v_dual_max_i32 v14, v5, v2
	s_delay_alu instid0(VALU_DEP_1) | instskip(NEXT) | instid1(VALU_DEP_1)
	v_mul_u64_e32 v[2:3], s[8:9], v[14:15]
	v_mul_lo_u32 v2, v3, s14
	s_delay_alu instid0(VALU_DEP_1) | instskip(NEXT) | instid1(VALU_DEP_1)
	v_sub_nc_u32_e32 v2, v14, v2
	v_subrev_nc_u32_e32 v3, s14, v2
	v_cmp_le_u32_e32 vcc_lo, s14, v2
	s_delay_alu instid0(VALU_DEP_2) | instskip(NEXT) | instid1(VALU_DEP_1)
	v_cndmask_b32_e32 v2, v2, v3, vcc_lo
	v_subrev_nc_u32_e32 v3, s14, v2
	v_cmp_le_u32_e32 vcc_lo, s14, v2
	s_delay_alu instid0(VALU_DEP_2) | instskip(NEXT) | instid1(VALU_DEP_1)
	v_cndmask_b32_e32 v2, v2, v3, vcc_lo
	v_xor_b32_e32 v2, v2, v5
	s_delay_alu instid0(VALU_DEP_1) | instskip(NEXT) | instid1(VALU_DEP_1)
	v_sub_nc_u32_e32 v2, v2, v5
	v_cmp_eq_u32_e32 vcc_lo, 0, v2
	s_or_b32 s0, vcc_lo, s0
	s_delay_alu instid0(SALU_CYCLE_1)
	s_and_saveexec_b32 s19, s0
	s_cbranch_execz .LBB324_368
; %bb.370:                              ;   in Loop: Header=BB324_369 Depth=1
	global_load_b32 v2, v[18:19], off
	v_dual_mov_b32 v38, 0 :: v_dual_mov_b32 v37, 0
	s_mov_b32 s0, exec_lo
	s_wait_loadcnt 0x0
	v_mad_nc_i64_i32 v[20:21], v2, s17, v[16:17]
	global_load_b64 v[24:25], v[20:21], off
	ds_load_2addr_b64 v[6:9], v32 offset1:1
	ds_load_2addr_b64 v[2:5], v32 offset0:2 offset1:3
	s_load_b32 s22, s[10:11], 0x0
	s_wait_loadcnt 0x0
	v_and_b32_e32 v14, 0xff, v24
	s_delay_alu instid0(VALU_DEP_1)
	v_cmpx_ne_u16_e32 0, v14
	s_cbranch_execz .LBB324_376
; %bb.371:                              ;   in Loop: Header=BB324_369 Depth=1
	v_bfrev_b32_e32 v37, 1
	s_mov_b32 s23, exec_lo
	v_cmpx_ne_u16_e32 0x80, v14
	s_cbranch_execz .LBB324_375
; %bb.372:                              ;   in Loop: Header=BB324_369 Depth=1
	v_and_b32_e32 v14, 0x7f, v24
	v_mov_b32_e32 v37, 0x7f800001
	s_mov_b32 s24, exec_lo
	s_delay_alu instid0(VALU_DEP_2)
	v_cmpx_ne_u32_e32 0x7f, v14
	s_cbranch_execz .LBB324_374
; %bb.373:                              ;   in Loop: Header=BB324_369 Depth=1
	v_dual_lshrrev_b32 v26, 3, v14 :: v_dual_bitop2_b32 v23, 7, v24 bitop3:0x40
	v_cmp_gt_u32_e32 vcc_lo, 8, v14
	s_delay_alu instid0(VALU_DEP_2) | instskip(NEXT) | instid1(VALU_DEP_1)
	v_clz_i32_u32_e32 v23, v23
	v_min_u32_e32 v23, 32, v23
	s_delay_alu instid0(VALU_DEP_1) | instskip(SKIP_1) | instid1(VALU_DEP_1)
	v_subrev_nc_u32_e32 v27, 28, v23
	v_sub_nc_u32_e32 v23, 29, v23
	v_cndmask_b32_e32 v14, v26, v23, vcc_lo
	s_delay_alu instid0(VALU_DEP_3) | instskip(NEXT) | instid1(VALU_DEP_1)
	v_cndmask_b32_e32 v23, 0, v27, vcc_lo
	v_lshlrev_b64_e32 v[26:27], v23, v[24:25]
	v_lshlrev_b32_e32 v23, 24, v24
	s_delay_alu instid0(VALU_DEP_4) | instskip(NEXT) | instid1(VALU_DEP_2)
	v_lshl_add_u32 v14, v14, 23, 0x3c000000
	v_and_b32_e32 v23, 0x80000000, v23
	s_delay_alu instid0(VALU_DEP_4) | instskip(NEXT) | instid1(VALU_DEP_1)
	v_lshlrev_b32_e32 v26, 20, v26
	v_and_b32_e32 v26, 0x700000, v26
	s_delay_alu instid0(VALU_DEP_1)
	v_or3_b32 v37, v26, v23, v14
.LBB324_374:                            ;   in Loop: Header=BB324_369 Depth=1
	s_or_b32 exec_lo, exec_lo, s24
.LBB324_375:                            ;   in Loop: Header=BB324_369 Depth=1
	s_delay_alu instid0(SALU_CYCLE_1)
	s_or_b32 exec_lo, exec_lo, s23
.LBB324_376:                            ;   in Loop: Header=BB324_369 Depth=1
	s_delay_alu instid0(SALU_CYCLE_1) | instskip(SKIP_2) | instid1(VALU_DEP_1)
	s_or_b32 exec_lo, exec_lo, s0
	v_lshrrev_b16 v14, 8, v24
	s_mov_b32 s0, exec_lo
	v_cmpx_ne_u16_e32 0, v14
	s_cbranch_execz .LBB324_384
; %bb.377:                              ;   in Loop: Header=BB324_369 Depth=1
	v_bfrev_b32_e32 v38, 1
	s_mov_b32 s23, exec_lo
	v_cmpx_ne_u16_e32 0x80, v14
	s_cbranch_execz .LBB324_383
; %bb.378:                              ;   in Loop: Header=BB324_369 Depth=1
	v_and_b32_e32 v14, 0xffff, v14
	v_mov_b32_e32 v38, 0x7f800001
	s_mov_b32 s24, exec_lo
	s_delay_alu instid0(VALU_DEP_2) | instskip(NEXT) | instid1(VALU_DEP_1)
	v_and_b32_e32 v26, 0x7f, v14
	v_cmpx_ne_u32_e32 0x7f, v26
	s_cbranch_execz .LBB324_382
; %bb.379:                              ;   in Loop: Header=BB324_369 Depth=1
	v_and_b32_e32 v14, 7, v14
	v_lshrrev_b32_e32 v23, 3, v26
	s_mov_b32 s25, exec_lo
	v_cmpx_gt_u32_e32 8, v26
; %bb.380:                              ;   in Loop: Header=BB324_369 Depth=1
	s_delay_alu instid0(VALU_DEP_3) | instskip(NEXT) | instid1(VALU_DEP_1)
	v_clz_i32_u32_e32 v23, v14
	v_min_u32_e32 v23, 32, v23
	s_delay_alu instid0(VALU_DEP_1) | instskip(NEXT) | instid1(VALU_DEP_1)
	v_subrev_nc_u32_e32 v26, 28, v23
	v_lshlrev_b64_e32 v[26:27], v26, v[14:15]
	s_delay_alu instid0(VALU_DEP_1)
	v_dual_sub_nc_u32 v23, 29, v23 :: v_dual_bitop2_b32 v14, 7, v26 bitop3:0x40
; %bb.381:                              ;   in Loop: Header=BB324_369 Depth=1
	s_or_b32 exec_lo, exec_lo, s25
	s_delay_alu instid0(VALU_DEP_1) | instskip(NEXT) | instid1(VALU_DEP_2)
	v_dual_lshlrev_b32 v26, 16, v24 :: v_dual_lshlrev_b32 v14, 20, v14
	v_lshl_add_u32 v23, v23, 23, 0x3c000000
	s_delay_alu instid0(VALU_DEP_2) | instskip(NEXT) | instid1(VALU_DEP_1)
	v_and_b32_e32 v26, 0x80000000, v26
	v_or3_b32 v38, v14, v26, v23
.LBB324_382:                            ;   in Loop: Header=BB324_369 Depth=1
	s_or_b32 exec_lo, exec_lo, s24
.LBB324_383:                            ;   in Loop: Header=BB324_369 Depth=1
	s_delay_alu instid0(SALU_CYCLE_1)
	s_or_b32 exec_lo, exec_lo, s23
.LBB324_384:                            ;   in Loop: Header=BB324_369 Depth=1
	s_delay_alu instid0(SALU_CYCLE_1) | instskip(SKIP_3) | instid1(VALU_DEP_2)
	s_or_b32 exec_lo, exec_lo, s0
	v_dual_lshrrev_b32 v23, 16, v24 :: v_dual_mov_b32 v39, 0
	v_mov_b32_e32 v40, 0
	s_mov_b32 s0, exec_lo
	v_and_b32_e32 v14, 0xff, v23
	s_delay_alu instid0(VALU_DEP_1)
	v_cmpx_ne_u16_e32 0, v14
	s_cbranch_execz .LBB324_392
; %bb.385:                              ;   in Loop: Header=BB324_369 Depth=1
	v_bfrev_b32_e32 v40, 1
	s_mov_b32 s23, exec_lo
	v_cmpx_ne_u16_e32 0x80, v14
	s_cbranch_execz .LBB324_391
; %bb.386:                              ;   in Loop: Header=BB324_369 Depth=1
	v_bfe_u32 v27, v24, 16, 7
	v_mov_b32_e32 v40, 0x7f800001
	s_mov_b32 s24, exec_lo
	s_delay_alu instid0(VALU_DEP_2)
	v_cmpx_ne_u32_e32 0x7f, v27
	s_cbranch_execz .LBB324_390
; %bb.387:                              ;   in Loop: Header=BB324_369 Depth=1
	v_and_b32_e32 v14, 7, v23
	v_lshrrev_b32_e32 v26, 3, v27
	s_mov_b32 s25, exec_lo
	v_cmpx_gt_u32_e32 8, v27
; %bb.388:                              ;   in Loop: Header=BB324_369 Depth=1
	s_delay_alu instid0(VALU_DEP_3) | instskip(NEXT) | instid1(VALU_DEP_1)
	v_clz_i32_u32_e32 v26, v14
	v_min_u32_e32 v26, 32, v26
	s_delay_alu instid0(VALU_DEP_1) | instskip(NEXT) | instid1(VALU_DEP_1)
	v_subrev_nc_u32_e32 v27, 28, v26
	v_lshlrev_b64_e32 v[40:41], v27, v[14:15]
	s_delay_alu instid0(VALU_DEP_1)
	v_dual_sub_nc_u32 v26, 29, v26 :: v_dual_bitop2_b32 v14, 7, v40 bitop3:0x40
; %bb.389:                              ;   in Loop: Header=BB324_369 Depth=1
	s_or_b32 exec_lo, exec_lo, s25
	s_delay_alu instid0(VALU_DEP_1) | instskip(NEXT) | instid1(VALU_DEP_2)
	v_dual_lshlrev_b32 v23, 24, v23 :: v_dual_lshlrev_b32 v14, 20, v14
	v_lshl_add_u32 v26, v26, 23, 0x3c000000
	s_delay_alu instid0(VALU_DEP_2) | instskip(NEXT) | instid1(VALU_DEP_1)
	v_and_b32_e32 v23, 0x80000000, v23
	v_or3_b32 v40, v14, v23, v26
.LBB324_390:                            ;   in Loop: Header=BB324_369 Depth=1
	s_or_b32 exec_lo, exec_lo, s24
.LBB324_391:                            ;   in Loop: Header=BB324_369 Depth=1
	s_delay_alu instid0(SALU_CYCLE_1)
	s_or_b32 exec_lo, exec_lo, s23
.LBB324_392:                            ;   in Loop: Header=BB324_369 Depth=1
	s_delay_alu instid0(SALU_CYCLE_1) | instskip(NEXT) | instid1(SALU_CYCLE_1)
	s_or_b32 exec_lo, exec_lo, s0
	s_mov_b32 s0, exec_lo
	v_cmpx_lt_u32_e32 0xffffff, v24
	s_cbranch_execz .LBB324_400
; %bb.393:                              ;   in Loop: Header=BB324_369 Depth=1
	v_lshrrev_b32_e32 v23, 24, v24
	v_bfrev_b32_e32 v39, 1
	s_mov_b32 s23, exec_lo
	s_delay_alu instid0(VALU_DEP_2)
	v_cmpx_ne_u32_e32 0x80, v23
	s_cbranch_execz .LBB324_399
; %bb.394:                              ;   in Loop: Header=BB324_369 Depth=1
	v_bfe_u32 v27, v24, 24, 7
	v_mov_b32_e32 v39, 0x7f800001
	s_mov_b32 s24, exec_lo
	s_delay_alu instid0(VALU_DEP_2)
	v_cmpx_ne_u32_e32 0x7f, v27
	s_cbranch_execz .LBB324_398
; %bb.395:                              ;   in Loop: Header=BB324_369 Depth=1
	v_and_b32_e32 v14, 7, v23
	v_lshrrev_b32_e32 v26, 3, v27
	s_mov_b32 s25, exec_lo
	v_cmpx_gt_u32_e32 8, v27
; %bb.396:                              ;   in Loop: Header=BB324_369 Depth=1
	s_delay_alu instid0(VALU_DEP_3) | instskip(NEXT) | instid1(VALU_DEP_1)
	v_clz_i32_u32_e32 v26, v14
	v_min_u32_e32 v26, 32, v26
	s_delay_alu instid0(VALU_DEP_1) | instskip(SKIP_1) | instid1(VALU_DEP_2)
	v_subrev_nc_u32_e32 v27, 28, v26
	v_sub_nc_u32_e32 v26, 29, v26
	v_lshlrev_b64_e32 v[42:43], v27, v[14:15]
	s_delay_alu instid0(VALU_DEP_1)
	v_and_b32_e32 v14, 7, v42
; %bb.397:                              ;   in Loop: Header=BB324_369 Depth=1
	s_or_b32 exec_lo, exec_lo, s25
	s_delay_alu instid0(VALU_DEP_1) | instskip(SKIP_1) | instid1(VALU_DEP_2)
	v_dual_lshlrev_b32 v23, 24, v23 :: v_dual_lshlrev_b32 v14, 20, v14
	v_lshl_add_u32 v26, v26, 23, 0x3c000000
	v_and_b32_e32 v23, 0x80000000, v23
	s_delay_alu instid0(VALU_DEP_1)
	v_or3_b32 v39, v14, v23, v26
.LBB324_398:                            ;   in Loop: Header=BB324_369 Depth=1
	s_or_b32 exec_lo, exec_lo, s24
.LBB324_399:                            ;   in Loop: Header=BB324_369 Depth=1
	s_delay_alu instid0(SALU_CYCLE_1)
	s_or_b32 exec_lo, exec_lo, s23
.LBB324_400:                            ;   in Loop: Header=BB324_369 Depth=1
	s_delay_alu instid0(SALU_CYCLE_1) | instskip(SKIP_4) | instid1(VALU_DEP_3)
	s_or_b32 exec_lo, exec_lo, s0
	v_and_b32_e32 v26, 0xff, v25
	v_dual_mov_b32 v14, v25 :: v_dual_mov_b32 v23, 0
	v_mov_b32_e32 v36, 0
	s_mov_b32 s0, exec_lo
	v_cmpx_ne_u16_e32 0, v26
	s_cbranch_execz .LBB324_406
; %bb.401:                              ;   in Loop: Header=BB324_369 Depth=1
	v_bfrev_b32_e32 v36, 1
	s_mov_b32 s23, exec_lo
	v_cmpx_ne_u16_e32 0x80, v26
	s_cbranch_execz .LBB324_405
; %bb.402:                              ;   in Loop: Header=BB324_369 Depth=1
	v_and_b32_e32 v26, 0x7f, v25
	v_mov_b32_e32 v36, 0x7f800001
	s_mov_b32 s24, exec_lo
	s_delay_alu instid0(VALU_DEP_2)
	v_cmpx_ne_u32_e32 0x7f, v26
	s_cbranch_execz .LBB324_404
; %bb.403:                              ;   in Loop: Header=BB324_369 Depth=1
	v_dual_lshrrev_b32 v36, 3, v26 :: v_dual_bitop2_b32 v27, 7, v25 bitop3:0x40
	v_cmp_gt_u32_e32 vcc_lo, 8, v26
	s_delay_alu instid0(VALU_DEP_2) | instskip(NEXT) | instid1(VALU_DEP_1)
	v_clz_i32_u32_e32 v27, v27
	v_min_u32_e32 v27, 32, v27
	s_delay_alu instid0(VALU_DEP_1) | instskip(NEXT) | instid1(VALU_DEP_1)
	v_subrev_nc_u32_e32 v41, 28, v27
	v_dual_cndmask_b32 v26, 0, v41 :: v_dual_sub_nc_u32 v27, 29, v27
	s_delay_alu instid0(VALU_DEP_1) | instskip(NEXT) | instid1(VALU_DEP_2)
	v_cndmask_b32_e32 v36, v36, v27, vcc_lo
	v_lshlrev_b64_e32 v[26:27], v26, v[14:15]
	v_lshlrev_b32_e32 v27, 24, v14
	s_delay_alu instid0(VALU_DEP_3) | instskip(NEXT) | instid1(VALU_DEP_2)
	v_lshl_add_u32 v36, v36, 23, 0x3c000000
	v_and_b32_e32 v27, 0x80000000, v27
	s_delay_alu instid0(VALU_DEP_4) | instskip(NEXT) | instid1(VALU_DEP_1)
	v_lshlrev_b32_e32 v26, 20, v26
	v_and_b32_e32 v26, 0x700000, v26
	s_delay_alu instid0(VALU_DEP_1)
	v_or3_b32 v36, v26, v27, v36
.LBB324_404:                            ;   in Loop: Header=BB324_369 Depth=1
	s_or_b32 exec_lo, exec_lo, s24
.LBB324_405:                            ;   in Loop: Header=BB324_369 Depth=1
	s_delay_alu instid0(SALU_CYCLE_1)
	s_or_b32 exec_lo, exec_lo, s23
.LBB324_406:                            ;   in Loop: Header=BB324_369 Depth=1
	s_delay_alu instid0(SALU_CYCLE_1) | instskip(SKIP_2) | instid1(VALU_DEP_1)
	s_or_b32 exec_lo, exec_lo, s0
	v_lshrrev_b16 v26, 8, v14
	s_mov_b32 s0, exec_lo
	v_cmpx_ne_u16_e32 0, v26
	s_cbranch_execz .LBB324_414
; %bb.407:                              ;   in Loop: Header=BB324_369 Depth=1
	v_bfrev_b32_e32 v23, 1
	s_mov_b32 s23, exec_lo
	v_cmpx_ne_u16_e32 0x80, v26
	s_cbranch_execz .LBB324_413
; %bb.408:                              ;   in Loop: Header=BB324_369 Depth=1
	v_and_b32_e32 v26, 0xffff, v26
	v_mov_b32_e32 v23, 0x7f800001
	s_mov_b32 s24, exec_lo
	s_delay_alu instid0(VALU_DEP_2) | instskip(NEXT) | instid1(VALU_DEP_1)
	v_and_b32_e32 v41, 0x7f, v26
	v_cmpx_ne_u32_e32 0x7f, v41
	s_cbranch_execz .LBB324_412
; %bb.409:                              ;   in Loop: Header=BB324_369 Depth=1
	v_dual_mov_b32 v27, v15 :: v_dual_bitop2_b32 v26, 7, v26 bitop3:0x40
	v_lshrrev_b32_e32 v23, 3, v41
	s_mov_b32 s25, exec_lo
	v_cmpx_gt_u32_e32 8, v41
; %bb.410:                              ;   in Loop: Header=BB324_369 Depth=1
	s_delay_alu instid0(VALU_DEP_3) | instskip(NEXT) | instid1(VALU_DEP_1)
	v_clz_i32_u32_e32 v23, v26
	v_min_u32_e32 v23, 32, v23
	s_delay_alu instid0(VALU_DEP_1) | instskip(NEXT) | instid1(VALU_DEP_1)
	v_subrev_nc_u32_e32 v41, 28, v23
	v_lshlrev_b64_e32 v[26:27], v41, v[26:27]
	s_delay_alu instid0(VALU_DEP_1)
	v_dual_sub_nc_u32 v23, 29, v23 :: v_dual_bitop2_b32 v26, 7, v26 bitop3:0x40
; %bb.411:                              ;   in Loop: Header=BB324_369 Depth=1
	s_or_b32 exec_lo, exec_lo, s25
	v_lshlrev_b32_e32 v14, 16, v14
	s_delay_alu instid0(VALU_DEP_2) | instskip(NEXT) | instid1(VALU_DEP_3)
	v_lshlrev_b32_e32 v26, 20, v26
	v_lshl_add_u32 v23, v23, 23, 0x3c000000
	s_delay_alu instid0(VALU_DEP_3) | instskip(NEXT) | instid1(VALU_DEP_1)
	v_and_b32_e32 v14, 0x80000000, v14
	v_or3_b32 v23, v26, v14, v23
.LBB324_412:                            ;   in Loop: Header=BB324_369 Depth=1
	s_or_b32 exec_lo, exec_lo, s24
.LBB324_413:                            ;   in Loop: Header=BB324_369 Depth=1
	s_delay_alu instid0(SALU_CYCLE_1)
	s_or_b32 exec_lo, exec_lo, s23
.LBB324_414:                            ;   in Loop: Header=BB324_369 Depth=1
	s_delay_alu instid0(SALU_CYCLE_1) | instskip(SKIP_3) | instid1(VALU_DEP_2)
	s_or_b32 exec_lo, exec_lo, s0
	v_dual_mov_b32 v26, 0 :: v_dual_lshrrev_b32 v41, 16, v25
	v_mov_b32_e32 v27, 0
	s_mov_b32 s0, exec_lo
	v_and_b32_e32 v14, 0xff, v41
	s_delay_alu instid0(VALU_DEP_1)
	v_cmpx_ne_u16_e32 0, v14
	s_cbranch_execz .LBB324_422
; %bb.415:                              ;   in Loop: Header=BB324_369 Depth=1
	v_bfrev_b32_e32 v27, 1
	s_mov_b32 s23, exec_lo
	v_cmpx_ne_u16_e32 0x80, v14
	s_cbranch_execz .LBB324_421
; %bb.416:                              ;   in Loop: Header=BB324_369 Depth=1
	v_bfe_u32 v42, v25, 16, 7
	v_mov_b32_e32 v27, 0x7f800001
	s_mov_b32 s24, exec_lo
	s_delay_alu instid0(VALU_DEP_2)
	v_cmpx_ne_u32_e32 0x7f, v42
	s_cbranch_execz .LBB324_420
; %bb.417:                              ;   in Loop: Header=BB324_369 Depth=1
	v_dual_lshrrev_b32 v27, 3, v42 :: v_dual_bitop2_b32 v14, 7, v41 bitop3:0x40
	s_mov_b32 s25, exec_lo
	v_cmpx_gt_u32_e32 8, v42
; %bb.418:                              ;   in Loop: Header=BB324_369 Depth=1
	s_delay_alu instid0(VALU_DEP_2) | instskip(NEXT) | instid1(VALU_DEP_1)
	v_clz_i32_u32_e32 v27, v14
	v_min_u32_e32 v27, 32, v27
	s_delay_alu instid0(VALU_DEP_1) | instskip(NEXT) | instid1(VALU_DEP_1)
	v_subrev_nc_u32_e32 v42, 28, v27
	v_lshlrev_b64_e32 v[42:43], v42, v[14:15]
	s_delay_alu instid0(VALU_DEP_1)
	v_dual_sub_nc_u32 v27, 29, v27 :: v_dual_bitop2_b32 v14, 7, v42 bitop3:0x40
; %bb.419:                              ;   in Loop: Header=BB324_369 Depth=1
	s_or_b32 exec_lo, exec_lo, s25
	s_delay_alu instid0(VALU_DEP_1) | instskip(NEXT) | instid1(VALU_DEP_2)
	v_dual_lshlrev_b32 v41, 24, v41 :: v_dual_lshlrev_b32 v14, 20, v14
	v_lshl_add_u32 v27, v27, 23, 0x3c000000
	s_delay_alu instid0(VALU_DEP_2) | instskip(NEXT) | instid1(VALU_DEP_1)
	v_and_b32_e32 v41, 0x80000000, v41
	v_or3_b32 v27, v14, v41, v27
.LBB324_420:                            ;   in Loop: Header=BB324_369 Depth=1
	s_or_b32 exec_lo, exec_lo, s24
.LBB324_421:                            ;   in Loop: Header=BB324_369 Depth=1
	s_delay_alu instid0(SALU_CYCLE_1)
	s_or_b32 exec_lo, exec_lo, s23
.LBB324_422:                            ;   in Loop: Header=BB324_369 Depth=1
	s_delay_alu instid0(SALU_CYCLE_1) | instskip(NEXT) | instid1(SALU_CYCLE_1)
	s_or_b32 exec_lo, exec_lo, s0
	s_mov_b32 s0, exec_lo
	v_cmpx_lt_u64_e64 s[2:3], v[24:25]
	s_cbranch_execz .LBB324_430
; %bb.423:                              ;   in Loop: Header=BB324_369 Depth=1
	v_lshrrev_b32_e32 v24, 24, v25
	v_bfrev_b32_e32 v26, 1
	s_mov_b32 s23, exec_lo
	s_delay_alu instid0(VALU_DEP_2)
	v_cmpx_ne_u32_e32 0x80, v24
	s_cbranch_execz .LBB324_429
; %bb.424:                              ;   in Loop: Header=BB324_369 Depth=1
	v_bfe_u32 v41, v25, 24, 7
	v_mov_b32_e32 v26, 0x7f800001
	s_mov_b32 s24, exec_lo
	s_delay_alu instid0(VALU_DEP_2)
	v_cmpx_ne_u32_e32 0x7f, v41
	s_cbranch_execz .LBB324_428
; %bb.425:                              ;   in Loop: Header=BB324_369 Depth=1
	v_dual_lshrrev_b32 v25, 3, v41 :: v_dual_bitop2_b32 v14, 7, v24 bitop3:0x40
	s_mov_b32 s25, exec_lo
	v_cmpx_gt_u32_e32 8, v41
; %bb.426:                              ;   in Loop: Header=BB324_369 Depth=1
	s_delay_alu instid0(VALU_DEP_2) | instskip(NEXT) | instid1(VALU_DEP_1)
	v_clz_i32_u32_e32 v25, v14
	v_min_u32_e32 v25, 32, v25
	s_delay_alu instid0(VALU_DEP_1) | instskip(NEXT) | instid1(VALU_DEP_1)
	v_subrev_nc_u32_e32 v26, 28, v25
	v_lshlrev_b64_e32 v[42:43], v26, v[14:15]
	s_delay_alu instid0(VALU_DEP_1)
	v_dual_sub_nc_u32 v25, 29, v25 :: v_dual_bitop2_b32 v14, 7, v42 bitop3:0x40
; %bb.427:                              ;   in Loop: Header=BB324_369 Depth=1
	s_or_b32 exec_lo, exec_lo, s25
	s_delay_alu instid0(VALU_DEP_1) | instskip(NEXT) | instid1(VALU_DEP_2)
	v_dual_lshlrev_b32 v24, 24, v24 :: v_dual_lshlrev_b32 v14, 20, v14
	v_lshl_add_u32 v25, v25, 23, 0x3c000000
	s_delay_alu instid0(VALU_DEP_2) | instskip(NEXT) | instid1(VALU_DEP_1)
	v_and_b32_e32 v24, 0x80000000, v24
	v_or3_b32 v26, v14, v24, v25
.LBB324_428:                            ;   in Loop: Header=BB324_369 Depth=1
	s_or_b32 exec_lo, exec_lo, s24
.LBB324_429:                            ;   in Loop: Header=BB324_369 Depth=1
	s_delay_alu instid0(SALU_CYCLE_1)
	s_or_b32 exec_lo, exec_lo, s23
.LBB324_430:                            ;   in Loop: Header=BB324_369 Depth=1
	s_delay_alu instid0(SALU_CYCLE_1)
	s_or_b32 exec_lo, exec_lo, s0
	v_add_nc_u32_e32 v43, v31, v22
	v_cmp_eq_u32_e32 vcc_lo, s26, v33
	s_wait_kmcnt 0x0
	v_fma_mixlo_bf16 v23, s22, v23, 0
	v_fma_mixlo_bf16 v36, s22, v36, 0
	;; [unrolled: 1-line block ×8, first 2 shown]
	v_dual_add_nc_u32 v50, 1, v43 :: v_dual_add_nc_u32 v49, 2, v43
	v_dual_add_nc_u32 v48, 3, v43 :: v_dual_add_nc_u32 v47, 4, v43
	;; [unrolled: 1-line block ×3, first 2 shown]
	v_add_nc_u32_e32 v44, 7, v43
	s_and_saveexec_b32 s23, vcc_lo
	s_cbranch_execz .LBB324_432
; %bb.431:                              ;   in Loop: Header=BB324_369 Depth=1
	v_cmp_gt_i32_e64 s0, s34, v43
	s_delay_alu instid0(VALU_DEP_1) | instskip(SKIP_1) | instid1(VALU_DEP_1)
	v_cndmask_b32_e64 v42, 0, v42, s0
	v_cmp_gt_i32_e64 s0, s34, v50
	v_cndmask_b32_e64 v41, 0, v41, s0
	v_cmp_gt_i32_e64 s0, s34, v49
	s_delay_alu instid0(VALU_DEP_1) | instskip(SKIP_1) | instid1(VALU_DEP_1)
	v_cndmask_b32_e64 v40, 0, v40, s0
	v_cmp_gt_i32_e64 s0, s34, v48
	v_cndmask_b32_e64 v39, 0, v39, s0
	;; [unrolled: 5-line block ×4, first 2 shown]
.LBB324_432:                            ;   in Loop: Header=BB324_369 Depth=1
	s_or_b32 exec_lo, exec_lo, s23
	global_load_b64 v[24:25], v[20:21], off offset:256
	v_dual_mov_b32 v52, 0 :: v_dual_mov_b32 v51, 0
	s_mov_b32 s23, exec_lo
	s_wait_loadcnt 0x0
	v_and_b32_e32 v14, 0xff, v24
	s_delay_alu instid0(VALU_DEP_1)
	v_cmpx_ne_u16_e32 0, v14
	s_cbranch_execz .LBB324_438
; %bb.433:                              ;   in Loop: Header=BB324_369 Depth=1
	v_bfrev_b32_e32 v51, 1
	s_mov_b32 s24, exec_lo
	v_cmpx_ne_u16_e32 0x80, v14
	s_cbranch_execz .LBB324_437
; %bb.434:                              ;   in Loop: Header=BB324_369 Depth=1
	v_and_b32_e32 v14, 0x7f, v24
	v_mov_b32_e32 v51, 0x7f800001
	s_mov_b32 s25, exec_lo
	s_delay_alu instid0(VALU_DEP_2)
	v_cmpx_ne_u32_e32 0x7f, v14
	s_cbranch_execz .LBB324_436
; %bb.435:                              ;   in Loop: Header=BB324_369 Depth=1
	v_dual_lshrrev_b32 v27, 3, v14 :: v_dual_bitop2_b32 v26, 7, v24 bitop3:0x40
	v_cmp_gt_u32_e64 s0, 8, v14
	s_delay_alu instid0(VALU_DEP_2) | instskip(NEXT) | instid1(VALU_DEP_1)
	v_clz_i32_u32_e32 v26, v26
	v_min_u32_e32 v26, 32, v26
	s_delay_alu instid0(VALU_DEP_1) | instskip(SKIP_1) | instid1(VALU_DEP_1)
	v_subrev_nc_u32_e32 v51, 28, v26
	v_sub_nc_u32_e32 v26, 29, v26
	v_dual_cndmask_b32 v14, v27, v26, s0 :: v_dual_cndmask_b32 v26, 0, v51, s0
	s_delay_alu instid0(VALU_DEP_1) | instskip(NEXT) | instid1(VALU_DEP_2)
	v_lshl_add_u32 v14, v14, 23, 0x3c000000
	v_lshlrev_b64_e32 v[26:27], v26, v[24:25]
	v_lshlrev_b32_e32 v27, 24, v24
	s_delay_alu instid0(VALU_DEP_1) | instskip(NEXT) | instid1(VALU_DEP_3)
	v_and_b32_e32 v27, 0x80000000, v27
	v_lshlrev_b32_e32 v26, 20, v26
	s_delay_alu instid0(VALU_DEP_1) | instskip(NEXT) | instid1(VALU_DEP_1)
	v_and_b32_e32 v26, 0x700000, v26
	v_or3_b32 v51, v26, v27, v14
.LBB324_436:                            ;   in Loop: Header=BB324_369 Depth=1
	s_or_b32 exec_lo, exec_lo, s25
.LBB324_437:                            ;   in Loop: Header=BB324_369 Depth=1
	s_delay_alu instid0(SALU_CYCLE_1)
	s_or_b32 exec_lo, exec_lo, s24
.LBB324_438:                            ;   in Loop: Header=BB324_369 Depth=1
	s_delay_alu instid0(SALU_CYCLE_1) | instskip(SKIP_2) | instid1(VALU_DEP_1)
	s_or_b32 exec_lo, exec_lo, s23
	v_lshrrev_b16 v14, 8, v24
	s_mov_b32 s23, exec_lo
	v_cmpx_ne_u16_e32 0, v14
	s_cbranch_execz .LBB324_446
; %bb.439:                              ;   in Loop: Header=BB324_369 Depth=1
	v_bfrev_b32_e32 v52, 1
	s_mov_b32 s24, exec_lo
	v_cmpx_ne_u16_e32 0x80, v14
	s_cbranch_execz .LBB324_445
; %bb.440:                              ;   in Loop: Header=BB324_369 Depth=1
	v_and_b32_e32 v14, 0xffff, v14
	v_mov_b32_e32 v52, 0x7f800001
	s_mov_b32 s25, exec_lo
	s_delay_alu instid0(VALU_DEP_2) | instskip(NEXT) | instid1(VALU_DEP_1)
	v_and_b32_e32 v27, 0x7f, v14
	v_cmpx_ne_u32_e32 0x7f, v27
	s_cbranch_execz .LBB324_444
; %bb.441:                              ;   in Loop: Header=BB324_369 Depth=1
	v_dual_lshrrev_b32 v26, 3, v27 :: v_dual_bitop2_b32 v14, 7, v14 bitop3:0x40
	s_mov_b32 s27, exec_lo
	v_cmpx_gt_u32_e32 8, v27
; %bb.442:                              ;   in Loop: Header=BB324_369 Depth=1
	s_delay_alu instid0(VALU_DEP_2) | instskip(NEXT) | instid1(VALU_DEP_1)
	v_clz_i32_u32_e32 v26, v14
	v_min_u32_e32 v26, 32, v26
	s_delay_alu instid0(VALU_DEP_1) | instskip(NEXT) | instid1(VALU_DEP_1)
	v_subrev_nc_u32_e32 v27, 28, v26
	v_lshlrev_b64_e32 v[52:53], v27, v[14:15]
	s_delay_alu instid0(VALU_DEP_1)
	v_dual_sub_nc_u32 v26, 29, v26 :: v_dual_bitop2_b32 v14, 7, v52 bitop3:0x40
; %bb.443:                              ;   in Loop: Header=BB324_369 Depth=1
	s_or_b32 exec_lo, exec_lo, s27
	s_delay_alu instid0(VALU_DEP_1) | instskip(NEXT) | instid1(VALU_DEP_2)
	v_dual_lshlrev_b32 v27, 16, v24 :: v_dual_lshlrev_b32 v14, 20, v14
	v_lshl_add_u32 v26, v26, 23, 0x3c000000
	s_delay_alu instid0(VALU_DEP_2) | instskip(NEXT) | instid1(VALU_DEP_1)
	v_and_b32_e32 v27, 0x80000000, v27
	v_or3_b32 v52, v14, v27, v26
.LBB324_444:                            ;   in Loop: Header=BB324_369 Depth=1
	s_or_b32 exec_lo, exec_lo, s25
.LBB324_445:                            ;   in Loop: Header=BB324_369 Depth=1
	s_delay_alu instid0(SALU_CYCLE_1)
	s_or_b32 exec_lo, exec_lo, s24
.LBB324_446:                            ;   in Loop: Header=BB324_369 Depth=1
	s_delay_alu instid0(SALU_CYCLE_1) | instskip(SKIP_3) | instid1(VALU_DEP_2)
	s_or_b32 exec_lo, exec_lo, s23
	v_dual_mov_b32 v55, 0 :: v_dual_lshrrev_b32 v26, 16, v24
	v_mov_b32_e32 v56, 0
	s_mov_b32 s23, exec_lo
	v_and_b32_e32 v14, 0xff, v26
	s_delay_alu instid0(VALU_DEP_1)
	v_cmpx_ne_u16_e32 0, v14
	s_cbranch_execz .LBB324_454
; %bb.447:                              ;   in Loop: Header=BB324_369 Depth=1
	v_bfrev_b32_e32 v56, 1
	s_mov_b32 s24, exec_lo
	v_cmpx_ne_u16_e32 0x80, v14
	s_cbranch_execz .LBB324_453
; %bb.448:                              ;   in Loop: Header=BB324_369 Depth=1
	v_bfe_u32 v53, v24, 16, 7
	v_mov_b32_e32 v56, 0x7f800001
	s_mov_b32 s25, exec_lo
	s_delay_alu instid0(VALU_DEP_2)
	v_cmpx_ne_u32_e32 0x7f, v53
	s_cbranch_execz .LBB324_452
; %bb.449:                              ;   in Loop: Header=BB324_369 Depth=1
	v_dual_lshrrev_b32 v27, 3, v53 :: v_dual_bitop2_b32 v14, 7, v26 bitop3:0x40
	s_mov_b32 s27, exec_lo
	v_cmpx_gt_u32_e32 8, v53
; %bb.450:                              ;   in Loop: Header=BB324_369 Depth=1
	s_delay_alu instid0(VALU_DEP_2) | instskip(NEXT) | instid1(VALU_DEP_1)
	v_clz_i32_u32_e32 v27, v14
	v_min_u32_e32 v27, 32, v27
	s_delay_alu instid0(VALU_DEP_1) | instskip(NEXT) | instid1(VALU_DEP_1)
	v_subrev_nc_u32_e32 v53, 28, v27
	v_lshlrev_b64_e32 v[56:57], v53, v[14:15]
	s_delay_alu instid0(VALU_DEP_1)
	v_dual_sub_nc_u32 v27, 29, v27 :: v_dual_bitop2_b32 v14, 7, v56 bitop3:0x40
; %bb.451:                              ;   in Loop: Header=BB324_369 Depth=1
	s_or_b32 exec_lo, exec_lo, s27
	v_lshlrev_b32_e32 v26, 24, v26
	s_delay_alu instid0(VALU_DEP_2) | instskip(NEXT) | instid1(VALU_DEP_3)
	v_lshlrev_b32_e32 v14, 20, v14
	v_lshl_add_u32 v27, v27, 23, 0x3c000000
	s_delay_alu instid0(VALU_DEP_3) | instskip(NEXT) | instid1(VALU_DEP_1)
	v_and_b32_e32 v26, 0x80000000, v26
	v_or3_b32 v56, v14, v26, v27
.LBB324_452:                            ;   in Loop: Header=BB324_369 Depth=1
	s_or_b32 exec_lo, exec_lo, s25
.LBB324_453:                            ;   in Loop: Header=BB324_369 Depth=1
	s_delay_alu instid0(SALU_CYCLE_1)
	s_or_b32 exec_lo, exec_lo, s24
.LBB324_454:                            ;   in Loop: Header=BB324_369 Depth=1
	s_delay_alu instid0(SALU_CYCLE_1) | instskip(NEXT) | instid1(SALU_CYCLE_1)
	s_or_b32 exec_lo, exec_lo, s23
	s_mov_b32 s23, exec_lo
	v_cmpx_lt_u32_e32 0xffffff, v24
	s_cbranch_execz .LBB324_462
; %bb.455:                              ;   in Loop: Header=BB324_369 Depth=1
	v_lshrrev_b32_e32 v26, 24, v24
	v_bfrev_b32_e32 v55, 1
	s_mov_b32 s24, exec_lo
	s_delay_alu instid0(VALU_DEP_2)
	v_cmpx_ne_u32_e32 0x80, v26
	s_cbranch_execz .LBB324_461
; %bb.456:                              ;   in Loop: Header=BB324_369 Depth=1
	v_bfe_u32 v53, v24, 24, 7
	v_mov_b32_e32 v55, 0x7f800001
	s_mov_b32 s25, exec_lo
	s_delay_alu instid0(VALU_DEP_2)
	v_cmpx_ne_u32_e32 0x7f, v53
	s_cbranch_execz .LBB324_460
; %bb.457:                              ;   in Loop: Header=BB324_369 Depth=1
	v_dual_lshrrev_b32 v27, 3, v53 :: v_dual_bitop2_b32 v14, 7, v26 bitop3:0x40
	s_mov_b32 s27, exec_lo
	v_cmpx_gt_u32_e32 8, v53
; %bb.458:                              ;   in Loop: Header=BB324_369 Depth=1
	s_delay_alu instid0(VALU_DEP_2) | instskip(NEXT) | instid1(VALU_DEP_1)
	v_clz_i32_u32_e32 v27, v14
	v_min_u32_e32 v27, 32, v27
	s_delay_alu instid0(VALU_DEP_1) | instskip(NEXT) | instid1(VALU_DEP_1)
	v_subrev_nc_u32_e32 v53, 28, v27
	v_lshlrev_b64_e32 v[54:55], v53, v[14:15]
	s_delay_alu instid0(VALU_DEP_1)
	v_dual_sub_nc_u32 v27, 29, v27 :: v_dual_bitop2_b32 v14, 7, v54 bitop3:0x40
; %bb.459:                              ;   in Loop: Header=BB324_369 Depth=1
	s_or_b32 exec_lo, exec_lo, s27
	v_lshlrev_b32_e32 v26, 24, v26
	s_delay_alu instid0(VALU_DEP_2) | instskip(NEXT) | instid1(VALU_DEP_3)
	v_lshlrev_b32_e32 v14, 20, v14
	v_lshl_add_u32 v27, v27, 23, 0x3c000000
	s_delay_alu instid0(VALU_DEP_3) | instskip(NEXT) | instid1(VALU_DEP_1)
	v_and_b32_e32 v26, 0x80000000, v26
	v_or3_b32 v55, v14, v26, v27
.LBB324_460:                            ;   in Loop: Header=BB324_369 Depth=1
	s_or_b32 exec_lo, exec_lo, s25
.LBB324_461:                            ;   in Loop: Header=BB324_369 Depth=1
	s_delay_alu instid0(SALU_CYCLE_1)
	s_or_b32 exec_lo, exec_lo, s24
.LBB324_462:                            ;   in Loop: Header=BB324_369 Depth=1
	s_delay_alu instid0(SALU_CYCLE_1) | instskip(SKIP_4) | instid1(VALU_DEP_3)
	s_or_b32 exec_lo, exec_lo, s23
	v_and_b32_e32 v27, 0xff, v25
	v_dual_mov_b32 v14, v25 :: v_dual_mov_b32 v26, 0
	v_mov_b32_e32 v54, 0
	s_mov_b32 s23, exec_lo
	v_cmpx_ne_u16_e32 0, v27
	s_cbranch_execz .LBB324_468
; %bb.463:                              ;   in Loop: Header=BB324_369 Depth=1
	v_bfrev_b32_e32 v54, 1
	s_mov_b32 s24, exec_lo
	v_cmpx_ne_u16_e32 0x80, v27
	s_cbranch_execz .LBB324_467
; %bb.464:                              ;   in Loop: Header=BB324_369 Depth=1
	v_and_b32_e32 v27, 0x7f, v25
	v_mov_b32_e32 v54, 0x7f800001
	s_mov_b32 s25, exec_lo
	s_delay_alu instid0(VALU_DEP_2)
	v_cmpx_ne_u32_e32 0x7f, v27
	s_cbranch_execz .LBB324_466
; %bb.465:                              ;   in Loop: Header=BB324_369 Depth=1
	v_dual_lshrrev_b32 v54, 3, v27 :: v_dual_bitop2_b32 v53, 7, v25 bitop3:0x40
	v_cmp_gt_u32_e64 s0, 8, v27
	s_delay_alu instid0(VALU_DEP_2) | instskip(NEXT) | instid1(VALU_DEP_1)
	v_clz_i32_u32_e32 v53, v53
	v_min_u32_e32 v53, 32, v53
	s_delay_alu instid0(VALU_DEP_1) | instskip(SKIP_1) | instid1(VALU_DEP_1)
	v_subrev_nc_u32_e32 v57, 28, v53
	v_sub_nc_u32_e32 v53, 29, v53
	v_cndmask_b32_e64 v27, v54, v53, s0
	s_delay_alu instid0(VALU_DEP_3) | instskip(NEXT) | instid1(VALU_DEP_1)
	v_cndmask_b32_e64 v53, 0, v57, s0
	v_lshlrev_b64_e32 v[58:59], v53, v[14:15]
	v_lshlrev_b32_e32 v53, 24, v14
	s_delay_alu instid0(VALU_DEP_4) | instskip(NEXT) | instid1(VALU_DEP_2)
	v_lshl_add_u32 v27, v27, 23, 0x3c000000
	v_and_b32_e32 v53, 0x80000000, v53
	s_delay_alu instid0(VALU_DEP_4) | instskip(NEXT) | instid1(VALU_DEP_1)
	v_lshlrev_b32_e32 v54, 20, v58
	v_and_b32_e32 v54, 0x700000, v54
	s_delay_alu instid0(VALU_DEP_1)
	v_or3_b32 v54, v54, v53, v27
.LBB324_466:                            ;   in Loop: Header=BB324_369 Depth=1
	s_or_b32 exec_lo, exec_lo, s25
.LBB324_467:                            ;   in Loop: Header=BB324_369 Depth=1
	s_delay_alu instid0(SALU_CYCLE_1)
	s_or_b32 exec_lo, exec_lo, s24
.LBB324_468:                            ;   in Loop: Header=BB324_369 Depth=1
	s_delay_alu instid0(SALU_CYCLE_1) | instskip(SKIP_2) | instid1(VALU_DEP_1)
	s_or_b32 exec_lo, exec_lo, s23
	v_lshrrev_b16 v27, 8, v14
	s_mov_b32 s23, exec_lo
	v_cmpx_ne_u16_e32 0, v27
	s_cbranch_execz .LBB324_476
; %bb.469:                              ;   in Loop: Header=BB324_369 Depth=1
	v_bfrev_b32_e32 v26, 1
	s_mov_b32 s24, exec_lo
	v_cmpx_ne_u16_e32 0x80, v27
	s_cbranch_execz .LBB324_475
; %bb.470:                              ;   in Loop: Header=BB324_369 Depth=1
	v_and_b32_e32 v27, 0xffff, v27
	v_mov_b32_e32 v26, 0x7f800001
	s_mov_b32 s25, exec_lo
	s_delay_alu instid0(VALU_DEP_2) | instskip(NEXT) | instid1(VALU_DEP_1)
	v_and_b32_e32 v57, 0x7f, v27
	v_cmpx_ne_u32_e32 0x7f, v57
	s_cbranch_execz .LBB324_474
; %bb.471:                              ;   in Loop: Header=BB324_369 Depth=1
	v_dual_mov_b32 v27, v15 :: v_dual_bitop2_b32 v26, 7, v27 bitop3:0x40
	v_lshrrev_b32_e32 v53, 3, v57
	s_mov_b32 s27, exec_lo
	v_cmpx_gt_u32_e32 8, v57
; %bb.472:                              ;   in Loop: Header=BB324_369 Depth=1
	s_delay_alu instid0(VALU_DEP_3) | instskip(NEXT) | instid1(VALU_DEP_1)
	v_clz_i32_u32_e32 v53, v26
	v_min_u32_e32 v53, 32, v53
	s_delay_alu instid0(VALU_DEP_1) | instskip(NEXT) | instid1(VALU_DEP_1)
	v_subrev_nc_u32_e32 v57, 28, v53
	v_lshlrev_b64_e32 v[26:27], v57, v[26:27]
	s_delay_alu instid0(VALU_DEP_1)
	v_dual_sub_nc_u32 v53, 29, v53 :: v_dual_bitop2_b32 v26, 7, v26 bitop3:0x40
; %bb.473:                              ;   in Loop: Header=BB324_369 Depth=1
	s_or_b32 exec_lo, exec_lo, s27
	v_lshlrev_b32_e32 v14, 16, v14
	s_delay_alu instid0(VALU_DEP_2) | instskip(NEXT) | instid1(VALU_DEP_3)
	v_lshlrev_b32_e32 v26, 20, v26
	v_lshl_add_u32 v27, v53, 23, 0x3c000000
	s_delay_alu instid0(VALU_DEP_3) | instskip(NEXT) | instid1(VALU_DEP_1)
	v_and_b32_e32 v14, 0x80000000, v14
	v_or3_b32 v26, v26, v14, v27
.LBB324_474:                            ;   in Loop: Header=BB324_369 Depth=1
	s_or_b32 exec_lo, exec_lo, s25
.LBB324_475:                            ;   in Loop: Header=BB324_369 Depth=1
	s_delay_alu instid0(SALU_CYCLE_1)
	s_or_b32 exec_lo, exec_lo, s24
.LBB324_476:                            ;   in Loop: Header=BB324_369 Depth=1
	s_delay_alu instid0(SALU_CYCLE_1) | instskip(SKIP_3) | instid1(VALU_DEP_2)
	s_or_b32 exec_lo, exec_lo, s23
	v_dual_lshrrev_b32 v53, 16, v25 :: v_dual_mov_b32 v27, 0
	v_mov_b32_e32 v59, 0
	s_mov_b32 s23, exec_lo
	v_and_b32_e32 v14, 0xff, v53
	s_delay_alu instid0(VALU_DEP_1)
	v_cmpx_ne_u16_e32 0, v14
	s_cbranch_execz .LBB324_484
; %bb.477:                              ;   in Loop: Header=BB324_369 Depth=1
	v_bfrev_b32_e32 v59, 1
	s_mov_b32 s24, exec_lo
	v_cmpx_ne_u16_e32 0x80, v14
	s_cbranch_execz .LBB324_483
; %bb.478:                              ;   in Loop: Header=BB324_369 Depth=1
	v_bfe_u32 v58, v25, 16, 7
	v_mov_b32_e32 v59, 0x7f800001
	s_mov_b32 s25, exec_lo
	s_delay_alu instid0(VALU_DEP_2)
	v_cmpx_ne_u32_e32 0x7f, v58
	s_cbranch_execz .LBB324_482
; %bb.479:                              ;   in Loop: Header=BB324_369 Depth=1
	v_dual_lshrrev_b32 v57, 3, v58 :: v_dual_bitop2_b32 v14, 7, v53 bitop3:0x40
	s_mov_b32 s27, exec_lo
	v_cmpx_gt_u32_e32 8, v58
; %bb.480:                              ;   in Loop: Header=BB324_369 Depth=1
	s_delay_alu instid0(VALU_DEP_2) | instskip(NEXT) | instid1(VALU_DEP_1)
	v_clz_i32_u32_e32 v57, v14
	v_min_u32_e32 v57, 32, v57
	s_delay_alu instid0(VALU_DEP_1) | instskip(NEXT) | instid1(VALU_DEP_1)
	v_subrev_nc_u32_e32 v58, 28, v57
	v_lshlrev_b64_e32 v[58:59], v58, v[14:15]
	s_delay_alu instid0(VALU_DEP_1)
	v_dual_sub_nc_u32 v57, 29, v57 :: v_dual_bitop2_b32 v14, 7, v58 bitop3:0x40
; %bb.481:                              ;   in Loop: Header=BB324_369 Depth=1
	s_or_b32 exec_lo, exec_lo, s27
	s_delay_alu instid0(VALU_DEP_1) | instskip(NEXT) | instid1(VALU_DEP_2)
	v_dual_lshlrev_b32 v53, 24, v53 :: v_dual_lshlrev_b32 v14, 20, v14
	v_lshl_add_u32 v57, v57, 23, 0x3c000000
	s_delay_alu instid0(VALU_DEP_2) | instskip(NEXT) | instid1(VALU_DEP_1)
	v_and_b32_e32 v53, 0x80000000, v53
	v_or3_b32 v59, v14, v53, v57
.LBB324_482:                            ;   in Loop: Header=BB324_369 Depth=1
	s_or_b32 exec_lo, exec_lo, s25
.LBB324_483:                            ;   in Loop: Header=BB324_369 Depth=1
	s_delay_alu instid0(SALU_CYCLE_1)
	s_or_b32 exec_lo, exec_lo, s24
.LBB324_484:                            ;   in Loop: Header=BB324_369 Depth=1
	s_delay_alu instid0(SALU_CYCLE_1) | instskip(NEXT) | instid1(SALU_CYCLE_1)
	s_or_b32 exec_lo, exec_lo, s23
	s_mov_b32 s23, exec_lo
	v_cmpx_lt_u64_e64 s[2:3], v[24:25]
	s_cbranch_execz .LBB324_492
; %bb.485:                              ;   in Loop: Header=BB324_369 Depth=1
	v_lshrrev_b32_e32 v24, 24, v25
	v_bfrev_b32_e32 v27, 1
	s_mov_b32 s24, exec_lo
	s_delay_alu instid0(VALU_DEP_2)
	v_cmpx_ne_u32_e32 0x80, v24
	s_cbranch_execz .LBB324_491
; %bb.486:                              ;   in Loop: Header=BB324_369 Depth=1
	v_bfe_u32 v53, v25, 24, 7
	v_mov_b32_e32 v27, 0x7f800001
	s_mov_b32 s25, exec_lo
	s_delay_alu instid0(VALU_DEP_2)
	v_cmpx_ne_u32_e32 0x7f, v53
	s_cbranch_execz .LBB324_490
; %bb.487:                              ;   in Loop: Header=BB324_369 Depth=1
	v_dual_lshrrev_b32 v25, 3, v53 :: v_dual_bitop2_b32 v14, 7, v24 bitop3:0x40
	s_mov_b32 s27, exec_lo
	v_cmpx_gt_u32_e32 8, v53
; %bb.488:                              ;   in Loop: Header=BB324_369 Depth=1
	s_delay_alu instid0(VALU_DEP_2) | instskip(NEXT) | instid1(VALU_DEP_1)
	v_clz_i32_u32_e32 v25, v14
	v_min_u32_e32 v25, 32, v25
	s_delay_alu instid0(VALU_DEP_1) | instskip(NEXT) | instid1(VALU_DEP_1)
	v_subrev_nc_u32_e32 v27, 28, v25
	v_lshlrev_b64_e32 v[60:61], v27, v[14:15]
	s_delay_alu instid0(VALU_DEP_1)
	v_dual_sub_nc_u32 v25, 29, v25 :: v_dual_bitop2_b32 v14, 7, v60 bitop3:0x40
; %bb.489:                              ;   in Loop: Header=BB324_369 Depth=1
	s_or_b32 exec_lo, exec_lo, s27
	s_delay_alu instid0(VALU_DEP_1) | instskip(NEXT) | instid1(VALU_DEP_2)
	v_dual_lshlrev_b32 v24, 24, v24 :: v_dual_lshlrev_b32 v14, 20, v14
	v_lshl_add_u32 v25, v25, 23, 0x3c000000
	s_delay_alu instid0(VALU_DEP_2) | instskip(NEXT) | instid1(VALU_DEP_1)
	v_and_b32_e32 v24, 0x80000000, v24
	v_or3_b32 v27, v14, v24, v25
.LBB324_490:                            ;   in Loop: Header=BB324_369 Depth=1
	s_or_b32 exec_lo, exec_lo, s25
.LBB324_491:                            ;   in Loop: Header=BB324_369 Depth=1
	s_delay_alu instid0(SALU_CYCLE_1)
	s_or_b32 exec_lo, exec_lo, s24
.LBB324_492:                            ;   in Loop: Header=BB324_369 Depth=1
	s_delay_alu instid0(SALU_CYCLE_1)
	s_or_b32 exec_lo, exec_lo, s23
	v_fma_mixlo_bf16 v53, s22, v26, 0
	v_fma_mixlo_bf16 v54, s22, v54, 0
	;; [unrolled: 1-line block ×8, first 2 shown]
	s_and_saveexec_b32 s23, vcc_lo
	s_cbranch_execz .LBB324_494
; %bb.493:                              ;   in Loop: Header=BB324_369 Depth=1
	v_cmp_gt_i32_e64 s0, s34, v43
	s_delay_alu instid0(VALU_DEP_1) | instskip(SKIP_1) | instid1(VALU_DEP_1)
	v_cndmask_b32_e64 v58, 0, v58, s0
	v_cmp_gt_i32_e64 s0, s34, v50
	v_cndmask_b32_e64 v57, 0, v57, s0
	v_cmp_gt_i32_e64 s0, s34, v49
	s_delay_alu instid0(VALU_DEP_1) | instskip(SKIP_1) | instid1(VALU_DEP_1)
	v_cndmask_b32_e64 v56, 0, v56, s0
	v_cmp_gt_i32_e64 s0, s34, v48
	v_cndmask_b32_e64 v55, 0, v55, s0
	;; [unrolled: 5-line block ×4, first 2 shown]
.LBB324_494:                            ;   in Loop: Header=BB324_369 Depth=1
	s_or_b32 exec_lo, exec_lo, s23
	global_load_b64 v[24:25], v[20:21], off offset:512
	v_dual_mov_b32 v60, 0 :: v_dual_mov_b32 v59, 0
	s_mov_b32 s23, exec_lo
	s_wait_loadcnt 0x0
	v_and_b32_e32 v14, 0xff, v24
	s_delay_alu instid0(VALU_DEP_1)
	v_cmpx_ne_u16_e32 0, v14
	s_cbranch_execz .LBB324_500
; %bb.495:                              ;   in Loop: Header=BB324_369 Depth=1
	v_bfrev_b32_e32 v59, 1
	s_mov_b32 s24, exec_lo
	v_cmpx_ne_u16_e32 0x80, v14
	s_cbranch_execz .LBB324_499
; %bb.496:                              ;   in Loop: Header=BB324_369 Depth=1
	v_and_b32_e32 v14, 0x7f, v24
	v_mov_b32_e32 v59, 0x7f800001
	s_mov_b32 s25, exec_lo
	s_delay_alu instid0(VALU_DEP_2)
	v_cmpx_ne_u32_e32 0x7f, v14
	s_cbranch_execz .LBB324_498
; %bb.497:                              ;   in Loop: Header=BB324_369 Depth=1
	v_dual_lshrrev_b32 v27, 3, v14 :: v_dual_bitop2_b32 v26, 7, v24 bitop3:0x40
	v_cmp_gt_u32_e64 s0, 8, v14
	s_delay_alu instid0(VALU_DEP_2) | instskip(NEXT) | instid1(VALU_DEP_1)
	v_clz_i32_u32_e32 v26, v26
	v_min_u32_e32 v26, 32, v26
	s_delay_alu instid0(VALU_DEP_1) | instskip(SKIP_1) | instid1(VALU_DEP_1)
	v_subrev_nc_u32_e32 v59, 28, v26
	v_sub_nc_u32_e32 v26, 29, v26
	v_dual_cndmask_b32 v14, v27, v26, s0 :: v_dual_cndmask_b32 v26, 0, v59, s0
	s_delay_alu instid0(VALU_DEP_1) | instskip(NEXT) | instid1(VALU_DEP_2)
	v_lshl_add_u32 v14, v14, 23, 0x3c000000
	v_lshlrev_b64_e32 v[26:27], v26, v[24:25]
	v_lshlrev_b32_e32 v27, 24, v24
	s_delay_alu instid0(VALU_DEP_1) | instskip(NEXT) | instid1(VALU_DEP_3)
	v_and_b32_e32 v27, 0x80000000, v27
	v_lshlrev_b32_e32 v26, 20, v26
	s_delay_alu instid0(VALU_DEP_1) | instskip(NEXT) | instid1(VALU_DEP_1)
	v_and_b32_e32 v26, 0x700000, v26
	v_or3_b32 v59, v26, v27, v14
.LBB324_498:                            ;   in Loop: Header=BB324_369 Depth=1
	s_or_b32 exec_lo, exec_lo, s25
.LBB324_499:                            ;   in Loop: Header=BB324_369 Depth=1
	s_delay_alu instid0(SALU_CYCLE_1)
	s_or_b32 exec_lo, exec_lo, s24
.LBB324_500:                            ;   in Loop: Header=BB324_369 Depth=1
	s_delay_alu instid0(SALU_CYCLE_1) | instskip(SKIP_2) | instid1(VALU_DEP_1)
	s_or_b32 exec_lo, exec_lo, s23
	v_lshrrev_b16 v14, 8, v24
	s_mov_b32 s23, exec_lo
	v_cmpx_ne_u16_e32 0, v14
	s_cbranch_execz .LBB324_508
; %bb.501:                              ;   in Loop: Header=BB324_369 Depth=1
	v_bfrev_b32_e32 v60, 1
	s_mov_b32 s24, exec_lo
	v_cmpx_ne_u16_e32 0x80, v14
	s_cbranch_execz .LBB324_507
; %bb.502:                              ;   in Loop: Header=BB324_369 Depth=1
	v_and_b32_e32 v14, 0xffff, v14
	v_mov_b32_e32 v60, 0x7f800001
	s_mov_b32 s25, exec_lo
	s_delay_alu instid0(VALU_DEP_2) | instskip(NEXT) | instid1(VALU_DEP_1)
	v_and_b32_e32 v27, 0x7f, v14
	v_cmpx_ne_u32_e32 0x7f, v27
	s_cbranch_execz .LBB324_506
; %bb.503:                              ;   in Loop: Header=BB324_369 Depth=1
	v_dual_lshrrev_b32 v26, 3, v27 :: v_dual_bitop2_b32 v14, 7, v14 bitop3:0x40
	s_mov_b32 s27, exec_lo
	v_cmpx_gt_u32_e32 8, v27
; %bb.504:                              ;   in Loop: Header=BB324_369 Depth=1
	s_delay_alu instid0(VALU_DEP_2) | instskip(NEXT) | instid1(VALU_DEP_1)
	v_clz_i32_u32_e32 v26, v14
	v_min_u32_e32 v26, 32, v26
	s_delay_alu instid0(VALU_DEP_1) | instskip(NEXT) | instid1(VALU_DEP_1)
	v_subrev_nc_u32_e32 v27, 28, v26
	v_lshlrev_b64_e32 v[60:61], v27, v[14:15]
	s_delay_alu instid0(VALU_DEP_1)
	v_dual_sub_nc_u32 v26, 29, v26 :: v_dual_bitop2_b32 v14, 7, v60 bitop3:0x40
; %bb.505:                              ;   in Loop: Header=BB324_369 Depth=1
	s_or_b32 exec_lo, exec_lo, s27
	s_delay_alu instid0(VALU_DEP_1) | instskip(NEXT) | instid1(VALU_DEP_2)
	v_dual_lshlrev_b32 v27, 16, v24 :: v_dual_lshlrev_b32 v14, 20, v14
	v_lshl_add_u32 v26, v26, 23, 0x3c000000
	s_delay_alu instid0(VALU_DEP_2) | instskip(NEXT) | instid1(VALU_DEP_1)
	v_and_b32_e32 v27, 0x80000000, v27
	v_or3_b32 v60, v14, v27, v26
.LBB324_506:                            ;   in Loop: Header=BB324_369 Depth=1
	s_or_b32 exec_lo, exec_lo, s25
.LBB324_507:                            ;   in Loop: Header=BB324_369 Depth=1
	s_delay_alu instid0(SALU_CYCLE_1)
	s_or_b32 exec_lo, exec_lo, s24
.LBB324_508:                            ;   in Loop: Header=BB324_369 Depth=1
	s_delay_alu instid0(SALU_CYCLE_1) | instskip(SKIP_3) | instid1(VALU_DEP_2)
	s_or_b32 exec_lo, exec_lo, s23
	v_dual_mov_b32 v63, 0 :: v_dual_lshrrev_b32 v26, 16, v24
	v_mov_b32_e32 v64, 0
	s_mov_b32 s23, exec_lo
	v_and_b32_e32 v14, 0xff, v26
	s_delay_alu instid0(VALU_DEP_1)
	v_cmpx_ne_u16_e32 0, v14
	s_cbranch_execz .LBB324_516
; %bb.509:                              ;   in Loop: Header=BB324_369 Depth=1
	v_bfrev_b32_e32 v64, 1
	s_mov_b32 s24, exec_lo
	v_cmpx_ne_u16_e32 0x80, v14
	s_cbranch_execz .LBB324_515
; %bb.510:                              ;   in Loop: Header=BB324_369 Depth=1
	v_bfe_u32 v61, v24, 16, 7
	v_mov_b32_e32 v64, 0x7f800001
	s_mov_b32 s25, exec_lo
	s_delay_alu instid0(VALU_DEP_2)
	v_cmpx_ne_u32_e32 0x7f, v61
	s_cbranch_execz .LBB324_514
; %bb.511:                              ;   in Loop: Header=BB324_369 Depth=1
	v_dual_lshrrev_b32 v27, 3, v61 :: v_dual_bitop2_b32 v14, 7, v26 bitop3:0x40
	s_mov_b32 s27, exec_lo
	v_cmpx_gt_u32_e32 8, v61
; %bb.512:                              ;   in Loop: Header=BB324_369 Depth=1
	s_delay_alu instid0(VALU_DEP_2) | instskip(NEXT) | instid1(VALU_DEP_1)
	v_clz_i32_u32_e32 v27, v14
	v_min_u32_e32 v27, 32, v27
	s_delay_alu instid0(VALU_DEP_1) | instskip(NEXT) | instid1(VALU_DEP_1)
	v_subrev_nc_u32_e32 v61, 28, v27
	v_lshlrev_b64_e32 v[64:65], v61, v[14:15]
	s_delay_alu instid0(VALU_DEP_1)
	v_dual_sub_nc_u32 v27, 29, v27 :: v_dual_bitop2_b32 v14, 7, v64 bitop3:0x40
; %bb.513:                              ;   in Loop: Header=BB324_369 Depth=1
	s_or_b32 exec_lo, exec_lo, s27
	v_lshlrev_b32_e32 v26, 24, v26
	s_delay_alu instid0(VALU_DEP_2) | instskip(NEXT) | instid1(VALU_DEP_3)
	v_lshlrev_b32_e32 v14, 20, v14
	v_lshl_add_u32 v27, v27, 23, 0x3c000000
	s_delay_alu instid0(VALU_DEP_3) | instskip(NEXT) | instid1(VALU_DEP_1)
	v_and_b32_e32 v26, 0x80000000, v26
	v_or3_b32 v64, v14, v26, v27
.LBB324_514:                            ;   in Loop: Header=BB324_369 Depth=1
	s_or_b32 exec_lo, exec_lo, s25
.LBB324_515:                            ;   in Loop: Header=BB324_369 Depth=1
	s_delay_alu instid0(SALU_CYCLE_1)
	s_or_b32 exec_lo, exec_lo, s24
.LBB324_516:                            ;   in Loop: Header=BB324_369 Depth=1
	s_delay_alu instid0(SALU_CYCLE_1) | instskip(NEXT) | instid1(SALU_CYCLE_1)
	s_or_b32 exec_lo, exec_lo, s23
	s_mov_b32 s23, exec_lo
	v_cmpx_lt_u32_e32 0xffffff, v24
	s_cbranch_execz .LBB324_524
; %bb.517:                              ;   in Loop: Header=BB324_369 Depth=1
	v_lshrrev_b32_e32 v26, 24, v24
	v_bfrev_b32_e32 v63, 1
	s_mov_b32 s24, exec_lo
	s_delay_alu instid0(VALU_DEP_2)
	v_cmpx_ne_u32_e32 0x80, v26
	s_cbranch_execz .LBB324_523
; %bb.518:                              ;   in Loop: Header=BB324_369 Depth=1
	v_bfe_u32 v61, v24, 24, 7
	v_mov_b32_e32 v63, 0x7f800001
	s_mov_b32 s25, exec_lo
	s_delay_alu instid0(VALU_DEP_2)
	v_cmpx_ne_u32_e32 0x7f, v61
	s_cbranch_execz .LBB324_522
; %bb.519:                              ;   in Loop: Header=BB324_369 Depth=1
	v_dual_lshrrev_b32 v27, 3, v61 :: v_dual_bitop2_b32 v14, 7, v26 bitop3:0x40
	s_mov_b32 s27, exec_lo
	v_cmpx_gt_u32_e32 8, v61
; %bb.520:                              ;   in Loop: Header=BB324_369 Depth=1
	s_delay_alu instid0(VALU_DEP_2) | instskip(NEXT) | instid1(VALU_DEP_1)
	v_clz_i32_u32_e32 v27, v14
	v_min_u32_e32 v27, 32, v27
	s_delay_alu instid0(VALU_DEP_1) | instskip(NEXT) | instid1(VALU_DEP_1)
	v_subrev_nc_u32_e32 v61, 28, v27
	v_lshlrev_b64_e32 v[62:63], v61, v[14:15]
	s_delay_alu instid0(VALU_DEP_1)
	v_dual_sub_nc_u32 v27, 29, v27 :: v_dual_bitop2_b32 v14, 7, v62 bitop3:0x40
; %bb.521:                              ;   in Loop: Header=BB324_369 Depth=1
	s_or_b32 exec_lo, exec_lo, s27
	v_lshlrev_b32_e32 v26, 24, v26
	s_delay_alu instid0(VALU_DEP_2) | instskip(NEXT) | instid1(VALU_DEP_3)
	v_lshlrev_b32_e32 v14, 20, v14
	v_lshl_add_u32 v27, v27, 23, 0x3c000000
	s_delay_alu instid0(VALU_DEP_3) | instskip(NEXT) | instid1(VALU_DEP_1)
	v_and_b32_e32 v26, 0x80000000, v26
	v_or3_b32 v63, v14, v26, v27
.LBB324_522:                            ;   in Loop: Header=BB324_369 Depth=1
	s_or_b32 exec_lo, exec_lo, s25
.LBB324_523:                            ;   in Loop: Header=BB324_369 Depth=1
	s_delay_alu instid0(SALU_CYCLE_1)
	s_or_b32 exec_lo, exec_lo, s24
.LBB324_524:                            ;   in Loop: Header=BB324_369 Depth=1
	s_delay_alu instid0(SALU_CYCLE_1) | instskip(SKIP_4) | instid1(VALU_DEP_3)
	s_or_b32 exec_lo, exec_lo, s23
	v_and_b32_e32 v27, 0xff, v25
	v_dual_mov_b32 v14, v25 :: v_dual_mov_b32 v26, 0
	v_mov_b32_e32 v62, 0
	s_mov_b32 s23, exec_lo
	v_cmpx_ne_u16_e32 0, v27
	s_cbranch_execz .LBB324_530
; %bb.525:                              ;   in Loop: Header=BB324_369 Depth=1
	v_bfrev_b32_e32 v62, 1
	s_mov_b32 s24, exec_lo
	v_cmpx_ne_u16_e32 0x80, v27
	s_cbranch_execz .LBB324_529
; %bb.526:                              ;   in Loop: Header=BB324_369 Depth=1
	v_and_b32_e32 v27, 0x7f, v25
	v_mov_b32_e32 v62, 0x7f800001
	s_mov_b32 s25, exec_lo
	s_delay_alu instid0(VALU_DEP_2)
	v_cmpx_ne_u32_e32 0x7f, v27
	s_cbranch_execz .LBB324_528
; %bb.527:                              ;   in Loop: Header=BB324_369 Depth=1
	v_dual_lshrrev_b32 v62, 3, v27 :: v_dual_bitop2_b32 v61, 7, v25 bitop3:0x40
	v_cmp_gt_u32_e64 s0, 8, v27
	s_delay_alu instid0(VALU_DEP_2) | instskip(NEXT) | instid1(VALU_DEP_1)
	v_clz_i32_u32_e32 v61, v61
	v_min_u32_e32 v61, 32, v61
	s_delay_alu instid0(VALU_DEP_1) | instskip(SKIP_1) | instid1(VALU_DEP_1)
	v_subrev_nc_u32_e32 v65, 28, v61
	v_sub_nc_u32_e32 v61, 29, v61
	v_cndmask_b32_e64 v27, v62, v61, s0
	s_delay_alu instid0(VALU_DEP_3) | instskip(NEXT) | instid1(VALU_DEP_1)
	v_cndmask_b32_e64 v61, 0, v65, s0
	v_lshlrev_b64_e32 v[66:67], v61, v[14:15]
	v_lshlrev_b32_e32 v61, 24, v14
	s_delay_alu instid0(VALU_DEP_4) | instskip(NEXT) | instid1(VALU_DEP_2)
	v_lshl_add_u32 v27, v27, 23, 0x3c000000
	v_and_b32_e32 v61, 0x80000000, v61
	s_delay_alu instid0(VALU_DEP_4) | instskip(NEXT) | instid1(VALU_DEP_1)
	v_lshlrev_b32_e32 v62, 20, v66
	v_and_b32_e32 v62, 0x700000, v62
	s_delay_alu instid0(VALU_DEP_1)
	v_or3_b32 v62, v62, v61, v27
.LBB324_528:                            ;   in Loop: Header=BB324_369 Depth=1
	s_or_b32 exec_lo, exec_lo, s25
.LBB324_529:                            ;   in Loop: Header=BB324_369 Depth=1
	s_delay_alu instid0(SALU_CYCLE_1)
	s_or_b32 exec_lo, exec_lo, s24
.LBB324_530:                            ;   in Loop: Header=BB324_369 Depth=1
	s_delay_alu instid0(SALU_CYCLE_1) | instskip(SKIP_2) | instid1(VALU_DEP_1)
	s_or_b32 exec_lo, exec_lo, s23
	v_lshrrev_b16 v27, 8, v14
	s_mov_b32 s23, exec_lo
	v_cmpx_ne_u16_e32 0, v27
	s_cbranch_execz .LBB324_538
; %bb.531:                              ;   in Loop: Header=BB324_369 Depth=1
	v_bfrev_b32_e32 v26, 1
	s_mov_b32 s24, exec_lo
	v_cmpx_ne_u16_e32 0x80, v27
	s_cbranch_execz .LBB324_537
; %bb.532:                              ;   in Loop: Header=BB324_369 Depth=1
	v_and_b32_e32 v27, 0xffff, v27
	v_mov_b32_e32 v26, 0x7f800001
	s_mov_b32 s25, exec_lo
	s_delay_alu instid0(VALU_DEP_2) | instskip(NEXT) | instid1(VALU_DEP_1)
	v_and_b32_e32 v65, 0x7f, v27
	v_cmpx_ne_u32_e32 0x7f, v65
	s_cbranch_execz .LBB324_536
; %bb.533:                              ;   in Loop: Header=BB324_369 Depth=1
	v_dual_mov_b32 v27, v15 :: v_dual_bitop2_b32 v26, 7, v27 bitop3:0x40
	v_lshrrev_b32_e32 v61, 3, v65
	s_mov_b32 s27, exec_lo
	v_cmpx_gt_u32_e32 8, v65
; %bb.534:                              ;   in Loop: Header=BB324_369 Depth=1
	s_delay_alu instid0(VALU_DEP_3) | instskip(NEXT) | instid1(VALU_DEP_1)
	v_clz_i32_u32_e32 v61, v26
	v_min_u32_e32 v61, 32, v61
	s_delay_alu instid0(VALU_DEP_1) | instskip(NEXT) | instid1(VALU_DEP_1)
	v_subrev_nc_u32_e32 v65, 28, v61
	v_lshlrev_b64_e32 v[26:27], v65, v[26:27]
	s_delay_alu instid0(VALU_DEP_1)
	v_dual_sub_nc_u32 v61, 29, v61 :: v_dual_bitop2_b32 v26, 7, v26 bitop3:0x40
; %bb.535:                              ;   in Loop: Header=BB324_369 Depth=1
	s_or_b32 exec_lo, exec_lo, s27
	v_lshlrev_b32_e32 v14, 16, v14
	s_delay_alu instid0(VALU_DEP_2) | instskip(NEXT) | instid1(VALU_DEP_3)
	v_lshlrev_b32_e32 v26, 20, v26
	v_lshl_add_u32 v27, v61, 23, 0x3c000000
	s_delay_alu instid0(VALU_DEP_3) | instskip(NEXT) | instid1(VALU_DEP_1)
	v_and_b32_e32 v14, 0x80000000, v14
	v_or3_b32 v26, v26, v14, v27
.LBB324_536:                            ;   in Loop: Header=BB324_369 Depth=1
	s_or_b32 exec_lo, exec_lo, s25
.LBB324_537:                            ;   in Loop: Header=BB324_369 Depth=1
	s_delay_alu instid0(SALU_CYCLE_1)
	s_or_b32 exec_lo, exec_lo, s24
.LBB324_538:                            ;   in Loop: Header=BB324_369 Depth=1
	s_delay_alu instid0(SALU_CYCLE_1) | instskip(SKIP_3) | instid1(VALU_DEP_2)
	s_or_b32 exec_lo, exec_lo, s23
	v_dual_lshrrev_b32 v61, 16, v25 :: v_dual_mov_b32 v27, 0
	v_mov_b32_e32 v67, 0
	s_mov_b32 s23, exec_lo
	v_and_b32_e32 v14, 0xff, v61
	s_delay_alu instid0(VALU_DEP_1)
	v_cmpx_ne_u16_e32 0, v14
	s_cbranch_execz .LBB324_546
; %bb.539:                              ;   in Loop: Header=BB324_369 Depth=1
	v_bfrev_b32_e32 v67, 1
	s_mov_b32 s24, exec_lo
	v_cmpx_ne_u16_e32 0x80, v14
	s_cbranch_execz .LBB324_545
; %bb.540:                              ;   in Loop: Header=BB324_369 Depth=1
	v_bfe_u32 v66, v25, 16, 7
	v_mov_b32_e32 v67, 0x7f800001
	s_mov_b32 s25, exec_lo
	s_delay_alu instid0(VALU_DEP_2)
	v_cmpx_ne_u32_e32 0x7f, v66
	s_cbranch_execz .LBB324_544
; %bb.541:                              ;   in Loop: Header=BB324_369 Depth=1
	v_dual_lshrrev_b32 v65, 3, v66 :: v_dual_bitop2_b32 v14, 7, v61 bitop3:0x40
	s_mov_b32 s27, exec_lo
	v_cmpx_gt_u32_e32 8, v66
; %bb.542:                              ;   in Loop: Header=BB324_369 Depth=1
	s_delay_alu instid0(VALU_DEP_2) | instskip(NEXT) | instid1(VALU_DEP_1)
	v_clz_i32_u32_e32 v65, v14
	v_min_u32_e32 v65, 32, v65
	s_delay_alu instid0(VALU_DEP_1) | instskip(NEXT) | instid1(VALU_DEP_1)
	v_subrev_nc_u32_e32 v66, 28, v65
	v_lshlrev_b64_e32 v[66:67], v66, v[14:15]
	s_delay_alu instid0(VALU_DEP_1)
	v_dual_sub_nc_u32 v65, 29, v65 :: v_dual_bitop2_b32 v14, 7, v66 bitop3:0x40
; %bb.543:                              ;   in Loop: Header=BB324_369 Depth=1
	s_or_b32 exec_lo, exec_lo, s27
	s_delay_alu instid0(VALU_DEP_1) | instskip(NEXT) | instid1(VALU_DEP_2)
	v_dual_lshlrev_b32 v61, 24, v61 :: v_dual_lshlrev_b32 v14, 20, v14
	v_lshl_add_u32 v65, v65, 23, 0x3c000000
	s_delay_alu instid0(VALU_DEP_2) | instskip(NEXT) | instid1(VALU_DEP_1)
	v_and_b32_e32 v61, 0x80000000, v61
	v_or3_b32 v67, v14, v61, v65
.LBB324_544:                            ;   in Loop: Header=BB324_369 Depth=1
	s_or_b32 exec_lo, exec_lo, s25
.LBB324_545:                            ;   in Loop: Header=BB324_369 Depth=1
	s_delay_alu instid0(SALU_CYCLE_1)
	s_or_b32 exec_lo, exec_lo, s24
.LBB324_546:                            ;   in Loop: Header=BB324_369 Depth=1
	s_delay_alu instid0(SALU_CYCLE_1) | instskip(NEXT) | instid1(SALU_CYCLE_1)
	s_or_b32 exec_lo, exec_lo, s23
	s_mov_b32 s23, exec_lo
	v_cmpx_lt_u64_e64 s[2:3], v[24:25]
	s_cbranch_execz .LBB324_554
; %bb.547:                              ;   in Loop: Header=BB324_369 Depth=1
	v_lshrrev_b32_e32 v24, 24, v25
	v_bfrev_b32_e32 v27, 1
	s_mov_b32 s24, exec_lo
	s_delay_alu instid0(VALU_DEP_2)
	v_cmpx_ne_u32_e32 0x80, v24
	s_cbranch_execz .LBB324_553
; %bb.548:                              ;   in Loop: Header=BB324_369 Depth=1
	v_bfe_u32 v61, v25, 24, 7
	v_mov_b32_e32 v27, 0x7f800001
	s_mov_b32 s25, exec_lo
	s_delay_alu instid0(VALU_DEP_2)
	v_cmpx_ne_u32_e32 0x7f, v61
	s_cbranch_execz .LBB324_552
; %bb.549:                              ;   in Loop: Header=BB324_369 Depth=1
	v_dual_lshrrev_b32 v25, 3, v61 :: v_dual_bitop2_b32 v14, 7, v24 bitop3:0x40
	s_mov_b32 s27, exec_lo
	v_cmpx_gt_u32_e32 8, v61
; %bb.550:                              ;   in Loop: Header=BB324_369 Depth=1
	s_delay_alu instid0(VALU_DEP_2) | instskip(NEXT) | instid1(VALU_DEP_1)
	v_clz_i32_u32_e32 v25, v14
	v_min_u32_e32 v25, 32, v25
	s_delay_alu instid0(VALU_DEP_1) | instskip(NEXT) | instid1(VALU_DEP_1)
	v_subrev_nc_u32_e32 v27, 28, v25
	v_lshlrev_b64_e32 v[68:69], v27, v[14:15]
	s_delay_alu instid0(VALU_DEP_1)
	v_dual_sub_nc_u32 v25, 29, v25 :: v_dual_bitop2_b32 v14, 7, v68 bitop3:0x40
; %bb.551:                              ;   in Loop: Header=BB324_369 Depth=1
	s_or_b32 exec_lo, exec_lo, s27
	s_delay_alu instid0(VALU_DEP_1) | instskip(NEXT) | instid1(VALU_DEP_2)
	v_dual_lshlrev_b32 v24, 24, v24 :: v_dual_lshlrev_b32 v14, 20, v14
	v_lshl_add_u32 v25, v25, 23, 0x3c000000
	s_delay_alu instid0(VALU_DEP_2) | instskip(NEXT) | instid1(VALU_DEP_1)
	v_and_b32_e32 v24, 0x80000000, v24
	v_or3_b32 v27, v14, v24, v25
.LBB324_552:                            ;   in Loop: Header=BB324_369 Depth=1
	s_or_b32 exec_lo, exec_lo, s25
.LBB324_553:                            ;   in Loop: Header=BB324_369 Depth=1
	s_delay_alu instid0(SALU_CYCLE_1)
	s_or_b32 exec_lo, exec_lo, s24
.LBB324_554:                            ;   in Loop: Header=BB324_369 Depth=1
	s_delay_alu instid0(SALU_CYCLE_1)
	s_or_b32 exec_lo, exec_lo, s23
	v_fma_mixlo_bf16 v61, s22, v26, 0
	v_fma_mixlo_bf16 v62, s22, v62, 0
	;; [unrolled: 1-line block ×8, first 2 shown]
	s_and_saveexec_b32 s23, vcc_lo
	s_cbranch_execz .LBB324_556
; %bb.555:                              ;   in Loop: Header=BB324_369 Depth=1
	v_cmp_gt_i32_e64 s0, s34, v43
	s_delay_alu instid0(VALU_DEP_1) | instskip(SKIP_1) | instid1(VALU_DEP_1)
	v_cndmask_b32_e64 v66, 0, v66, s0
	v_cmp_gt_i32_e64 s0, s34, v50
	v_cndmask_b32_e64 v65, 0, v65, s0
	v_cmp_gt_i32_e64 s0, s34, v49
	s_delay_alu instid0(VALU_DEP_1) | instskip(SKIP_1) | instid1(VALU_DEP_1)
	v_cndmask_b32_e64 v64, 0, v64, s0
	v_cmp_gt_i32_e64 s0, s34, v48
	v_cndmask_b32_e64 v63, 0, v63, s0
	;; [unrolled: 5-line block ×4, first 2 shown]
.LBB324_556:                            ;   in Loop: Header=BB324_369 Depth=1
	s_or_b32 exec_lo, exec_lo, s23
	global_load_b64 v[24:25], v[20:21], off offset:768
	v_dual_mov_b32 v71, 0 :: v_dual_mov_b32 v72, 0
	s_mov_b32 s23, exec_lo
	s_wait_loadcnt 0x0
	v_and_b32_e32 v14, 0xff, v24
	s_delay_alu instid0(VALU_DEP_1)
	v_cmpx_ne_u16_e32 0, v14
	s_cbranch_execz .LBB324_562
; %bb.557:                              ;   in Loop: Header=BB324_369 Depth=1
	v_bfrev_b32_e32 v72, 1
	s_mov_b32 s24, exec_lo
	v_cmpx_ne_u16_e32 0x80, v14
	s_cbranch_execz .LBB324_561
; %bb.558:                              ;   in Loop: Header=BB324_369 Depth=1
	v_and_b32_e32 v14, 0x7f, v24
	v_mov_b32_e32 v72, 0x7f800001
	s_mov_b32 s25, exec_lo
	s_delay_alu instid0(VALU_DEP_2)
	v_cmpx_ne_u32_e32 0x7f, v14
	s_cbranch_execz .LBB324_560
; %bb.559:                              ;   in Loop: Header=BB324_369 Depth=1
	v_dual_lshrrev_b32 v27, 3, v14 :: v_dual_bitop2_b32 v26, 7, v24 bitop3:0x40
	v_cmp_gt_u32_e64 s0, 8, v14
	s_delay_alu instid0(VALU_DEP_2) | instskip(NEXT) | instid1(VALU_DEP_1)
	v_clz_i32_u32_e32 v26, v26
	v_min_u32_e32 v26, 32, v26
	s_delay_alu instid0(VALU_DEP_1) | instskip(SKIP_1) | instid1(VALU_DEP_1)
	v_subrev_nc_u32_e32 v67, 28, v26
	v_sub_nc_u32_e32 v26, 29, v26
	v_dual_cndmask_b32 v14, v27, v26, s0 :: v_dual_cndmask_b32 v26, 0, v67, s0
	s_delay_alu instid0(VALU_DEP_1) | instskip(NEXT) | instid1(VALU_DEP_2)
	v_lshl_add_u32 v14, v14, 23, 0x3c000000
	v_lshlrev_b64_e32 v[26:27], v26, v[24:25]
	v_lshlrev_b32_e32 v27, 24, v24
	s_delay_alu instid0(VALU_DEP_1) | instskip(NEXT) | instid1(VALU_DEP_3)
	v_and_b32_e32 v27, 0x80000000, v27
	v_lshlrev_b32_e32 v26, 20, v26
	s_delay_alu instid0(VALU_DEP_1) | instskip(NEXT) | instid1(VALU_DEP_1)
	v_and_b32_e32 v26, 0x700000, v26
	v_or3_b32 v72, v26, v27, v14
.LBB324_560:                            ;   in Loop: Header=BB324_369 Depth=1
	s_or_b32 exec_lo, exec_lo, s25
.LBB324_561:                            ;   in Loop: Header=BB324_369 Depth=1
	s_delay_alu instid0(SALU_CYCLE_1)
	s_or_b32 exec_lo, exec_lo, s24
.LBB324_562:                            ;   in Loop: Header=BB324_369 Depth=1
	s_delay_alu instid0(SALU_CYCLE_1) | instskip(SKIP_2) | instid1(VALU_DEP_1)
	s_or_b32 exec_lo, exec_lo, s23
	v_lshrrev_b16 v14, 8, v24
	s_mov_b32 s23, exec_lo
	v_cmpx_ne_u16_e32 0, v14
	s_cbranch_execz .LBB324_570
; %bb.563:                              ;   in Loop: Header=BB324_369 Depth=1
	v_bfrev_b32_e32 v71, 1
	s_mov_b32 s24, exec_lo
	v_cmpx_ne_u16_e32 0x80, v14
	s_cbranch_execz .LBB324_569
; %bb.564:                              ;   in Loop: Header=BB324_369 Depth=1
	v_and_b32_e32 v14, 0xffff, v14
	v_mov_b32_e32 v71, 0x7f800001
	s_mov_b32 s25, exec_lo
	s_delay_alu instid0(VALU_DEP_2) | instskip(NEXT) | instid1(VALU_DEP_1)
	v_and_b32_e32 v27, 0x7f, v14
	v_cmpx_ne_u32_e32 0x7f, v27
	s_cbranch_execz .LBB324_568
; %bb.565:                              ;   in Loop: Header=BB324_369 Depth=1
	v_dual_lshrrev_b32 v26, 3, v27 :: v_dual_bitop2_b32 v14, 7, v14 bitop3:0x40
	s_mov_b32 s27, exec_lo
	v_cmpx_gt_u32_e32 8, v27
; %bb.566:                              ;   in Loop: Header=BB324_369 Depth=1
	s_delay_alu instid0(VALU_DEP_2) | instskip(NEXT) | instid1(VALU_DEP_1)
	v_clz_i32_u32_e32 v26, v14
	v_min_u32_e32 v26, 32, v26
	s_delay_alu instid0(VALU_DEP_1) | instskip(NEXT) | instid1(VALU_DEP_1)
	v_subrev_nc_u32_e32 v27, 28, v26
	v_lshlrev_b64_e32 v[68:69], v27, v[14:15]
	s_delay_alu instid0(VALU_DEP_1)
	v_dual_sub_nc_u32 v26, 29, v26 :: v_dual_bitop2_b32 v14, 7, v68 bitop3:0x40
; %bb.567:                              ;   in Loop: Header=BB324_369 Depth=1
	s_or_b32 exec_lo, exec_lo, s27
	s_delay_alu instid0(VALU_DEP_1) | instskip(NEXT) | instid1(VALU_DEP_2)
	v_dual_lshlrev_b32 v27, 16, v24 :: v_dual_lshlrev_b32 v14, 20, v14
	v_lshl_add_u32 v26, v26, 23, 0x3c000000
	s_delay_alu instid0(VALU_DEP_2) | instskip(NEXT) | instid1(VALU_DEP_1)
	v_and_b32_e32 v27, 0x80000000, v27
	v_or3_b32 v71, v14, v27, v26
.LBB324_568:                            ;   in Loop: Header=BB324_369 Depth=1
	s_or_b32 exec_lo, exec_lo, s25
.LBB324_569:                            ;   in Loop: Header=BB324_369 Depth=1
	s_delay_alu instid0(SALU_CYCLE_1)
	s_or_b32 exec_lo, exec_lo, s24
.LBB324_570:                            ;   in Loop: Header=BB324_369 Depth=1
	s_delay_alu instid0(SALU_CYCLE_1) | instskip(SKIP_3) | instid1(VALU_DEP_2)
	s_or_b32 exec_lo, exec_lo, s23
	v_dual_mov_b32 v69, 0 :: v_dual_lshrrev_b32 v26, 16, v24
	v_mov_b32_e32 v70, 0
	s_mov_b32 s23, exec_lo
	v_and_b32_e32 v14, 0xff, v26
	s_delay_alu instid0(VALU_DEP_1)
	v_cmpx_ne_u16_e32 0, v14
	s_cbranch_execz .LBB324_578
; %bb.571:                              ;   in Loop: Header=BB324_369 Depth=1
	v_bfrev_b32_e32 v70, 1
	s_mov_b32 s24, exec_lo
	v_cmpx_ne_u16_e32 0x80, v14
	s_cbranch_execz .LBB324_577
; %bb.572:                              ;   in Loop: Header=BB324_369 Depth=1
	v_bfe_u32 v67, v24, 16, 7
	v_mov_b32_e32 v70, 0x7f800001
	s_mov_b32 s25, exec_lo
	s_delay_alu instid0(VALU_DEP_2)
	v_cmpx_ne_u32_e32 0x7f, v67
	s_cbranch_execz .LBB324_576
; %bb.573:                              ;   in Loop: Header=BB324_369 Depth=1
	v_dual_lshrrev_b32 v27, 3, v67 :: v_dual_bitop2_b32 v14, 7, v26 bitop3:0x40
	s_mov_b32 s27, exec_lo
	v_cmpx_gt_u32_e32 8, v67
; %bb.574:                              ;   in Loop: Header=BB324_369 Depth=1
	s_delay_alu instid0(VALU_DEP_2) | instskip(NEXT) | instid1(VALU_DEP_1)
	v_clz_i32_u32_e32 v27, v14
	v_min_u32_e32 v27, 32, v27
	s_delay_alu instid0(VALU_DEP_1) | instskip(NEXT) | instid1(VALU_DEP_1)
	v_subrev_nc_u32_e32 v67, 28, v27
	v_lshlrev_b64_e32 v[74:75], v67, v[14:15]
	s_delay_alu instid0(VALU_DEP_1)
	v_dual_sub_nc_u32 v27, 29, v27 :: v_dual_bitop2_b32 v14, 7, v74 bitop3:0x40
; %bb.575:                              ;   in Loop: Header=BB324_369 Depth=1
	s_or_b32 exec_lo, exec_lo, s27
	v_lshlrev_b32_e32 v26, 24, v26
	s_delay_alu instid0(VALU_DEP_2) | instskip(NEXT) | instid1(VALU_DEP_3)
	v_lshlrev_b32_e32 v14, 20, v14
	v_lshl_add_u32 v27, v27, 23, 0x3c000000
	s_delay_alu instid0(VALU_DEP_3) | instskip(NEXT) | instid1(VALU_DEP_1)
	v_and_b32_e32 v26, 0x80000000, v26
	v_or3_b32 v70, v14, v26, v27
.LBB324_576:                            ;   in Loop: Header=BB324_369 Depth=1
	s_or_b32 exec_lo, exec_lo, s25
.LBB324_577:                            ;   in Loop: Header=BB324_369 Depth=1
	s_delay_alu instid0(SALU_CYCLE_1)
	s_or_b32 exec_lo, exec_lo, s24
.LBB324_578:                            ;   in Loop: Header=BB324_369 Depth=1
	s_delay_alu instid0(SALU_CYCLE_1) | instskip(NEXT) | instid1(SALU_CYCLE_1)
	s_or_b32 exec_lo, exec_lo, s23
	s_mov_b32 s23, exec_lo
	v_cmpx_lt_u32_e32 0xffffff, v24
	s_cbranch_execz .LBB324_586
; %bb.579:                              ;   in Loop: Header=BB324_369 Depth=1
	v_lshrrev_b32_e32 v26, 24, v24
	v_bfrev_b32_e32 v69, 1
	s_mov_b32 s24, exec_lo
	s_delay_alu instid0(VALU_DEP_2)
	v_cmpx_ne_u32_e32 0x80, v26
	s_cbranch_execz .LBB324_585
; %bb.580:                              ;   in Loop: Header=BB324_369 Depth=1
	v_bfe_u32 v67, v24, 24, 7
	v_mov_b32_e32 v69, 0x7f800001
	s_mov_b32 s25, exec_lo
	s_delay_alu instid0(VALU_DEP_2)
	v_cmpx_ne_u32_e32 0x7f, v67
	s_cbranch_execz .LBB324_584
; %bb.581:                              ;   in Loop: Header=BB324_369 Depth=1
	v_dual_lshrrev_b32 v27, 3, v67 :: v_dual_bitop2_b32 v14, 7, v26 bitop3:0x40
	s_mov_b32 s27, exec_lo
	v_cmpx_gt_u32_e32 8, v67
; %bb.582:                              ;   in Loop: Header=BB324_369 Depth=1
	s_delay_alu instid0(VALU_DEP_2) | instskip(NEXT) | instid1(VALU_DEP_1)
	v_clz_i32_u32_e32 v27, v14
	v_min_u32_e32 v27, 32, v27
	s_delay_alu instid0(VALU_DEP_1) | instskip(NEXT) | instid1(VALU_DEP_1)
	v_subrev_nc_u32_e32 v67, 28, v27
	v_lshlrev_b64_e32 v[68:69], v67, v[14:15]
	s_delay_alu instid0(VALU_DEP_1)
	v_dual_sub_nc_u32 v27, 29, v27 :: v_dual_bitop2_b32 v14, 7, v68 bitop3:0x40
; %bb.583:                              ;   in Loop: Header=BB324_369 Depth=1
	s_or_b32 exec_lo, exec_lo, s27
	v_lshlrev_b32_e32 v26, 24, v26
	s_delay_alu instid0(VALU_DEP_2) | instskip(NEXT) | instid1(VALU_DEP_3)
	v_lshlrev_b32_e32 v14, 20, v14
	v_lshl_add_u32 v27, v27, 23, 0x3c000000
	s_delay_alu instid0(VALU_DEP_3) | instskip(NEXT) | instid1(VALU_DEP_1)
	v_and_b32_e32 v26, 0x80000000, v26
	v_or3_b32 v69, v14, v26, v27
.LBB324_584:                            ;   in Loop: Header=BB324_369 Depth=1
	s_or_b32 exec_lo, exec_lo, s25
.LBB324_585:                            ;   in Loop: Header=BB324_369 Depth=1
	s_delay_alu instid0(SALU_CYCLE_1)
	s_or_b32 exec_lo, exec_lo, s24
.LBB324_586:                            ;   in Loop: Header=BB324_369 Depth=1
	s_delay_alu instid0(SALU_CYCLE_1) | instskip(SKIP_4) | instid1(VALU_DEP_3)
	s_or_b32 exec_lo, exec_lo, s23
	v_and_b32_e32 v27, 0xff, v25
	v_dual_mov_b32 v14, v25 :: v_dual_mov_b32 v26, 0
	v_mov_b32_e32 v68, 0
	s_mov_b32 s23, exec_lo
	v_cmpx_ne_u16_e32 0, v27
	s_cbranch_execz .LBB324_592
; %bb.587:                              ;   in Loop: Header=BB324_369 Depth=1
	v_bfrev_b32_e32 v68, 1
	s_mov_b32 s24, exec_lo
	v_cmpx_ne_u16_e32 0x80, v27
	s_cbranch_execz .LBB324_591
; %bb.588:                              ;   in Loop: Header=BB324_369 Depth=1
	v_and_b32_e32 v27, 0x7f, v25
	v_mov_b32_e32 v68, 0x7f800001
	s_mov_b32 s25, exec_lo
	s_delay_alu instid0(VALU_DEP_2)
	v_cmpx_ne_u32_e32 0x7f, v27
	s_cbranch_execz .LBB324_590
; %bb.589:                              ;   in Loop: Header=BB324_369 Depth=1
	v_dual_lshrrev_b32 v68, 3, v27 :: v_dual_bitop2_b32 v67, 7, v25 bitop3:0x40
	v_cmp_gt_u32_e64 s0, 8, v27
	s_delay_alu instid0(VALU_DEP_2) | instskip(NEXT) | instid1(VALU_DEP_1)
	v_clz_i32_u32_e32 v67, v67
	v_min_u32_e32 v67, 32, v67
	s_delay_alu instid0(VALU_DEP_1) | instskip(SKIP_1) | instid1(VALU_DEP_1)
	v_subrev_nc_u32_e32 v73, 28, v67
	v_sub_nc_u32_e32 v67, 29, v67
	v_dual_cndmask_b32 v27, v68, v67, s0 :: v_dual_cndmask_b32 v67, 0, v73, s0
	s_delay_alu instid0(VALU_DEP_1) | instskip(NEXT) | instid1(VALU_DEP_2)
	v_lshl_add_u32 v27, v27, 23, 0x3c000000
	v_lshlrev_b64_e32 v[74:75], v67, v[14:15]
	v_lshlrev_b32_e32 v67, 24, v14
	s_delay_alu instid0(VALU_DEP_1) | instskip(NEXT) | instid1(VALU_DEP_3)
	v_and_b32_e32 v67, 0x80000000, v67
	v_lshlrev_b32_e32 v68, 20, v74
	s_delay_alu instid0(VALU_DEP_1) | instskip(NEXT) | instid1(VALU_DEP_1)
	v_and_b32_e32 v68, 0x700000, v68
	v_or3_b32 v68, v68, v67, v27
.LBB324_590:                            ;   in Loop: Header=BB324_369 Depth=1
	s_or_b32 exec_lo, exec_lo, s25
.LBB324_591:                            ;   in Loop: Header=BB324_369 Depth=1
	s_delay_alu instid0(SALU_CYCLE_1)
	s_or_b32 exec_lo, exec_lo, s24
.LBB324_592:                            ;   in Loop: Header=BB324_369 Depth=1
	s_delay_alu instid0(SALU_CYCLE_1) | instskip(SKIP_2) | instid1(VALU_DEP_1)
	s_or_b32 exec_lo, exec_lo, s23
	v_lshrrev_b16 v27, 8, v14
	s_mov_b32 s23, exec_lo
	v_cmpx_ne_u16_e32 0, v27
	s_cbranch_execz .LBB324_600
; %bb.593:                              ;   in Loop: Header=BB324_369 Depth=1
	v_bfrev_b32_e32 v26, 1
	s_mov_b32 s24, exec_lo
	v_cmpx_ne_u16_e32 0x80, v27
	s_cbranch_execz .LBB324_599
; %bb.594:                              ;   in Loop: Header=BB324_369 Depth=1
	v_and_b32_e32 v27, 0xffff, v27
	v_mov_b32_e32 v26, 0x7f800001
	s_mov_b32 s25, exec_lo
	s_delay_alu instid0(VALU_DEP_2) | instskip(NEXT) | instid1(VALU_DEP_1)
	v_and_b32_e32 v73, 0x7f, v27
	v_cmpx_ne_u32_e32 0x7f, v73
	s_cbranch_execz .LBB324_598
; %bb.595:                              ;   in Loop: Header=BB324_369 Depth=1
	v_dual_mov_b32 v27, v15 :: v_dual_bitop2_b32 v26, 7, v27 bitop3:0x40
	v_lshrrev_b32_e32 v67, 3, v73
	s_mov_b32 s27, exec_lo
	v_cmpx_gt_u32_e32 8, v73
; %bb.596:                              ;   in Loop: Header=BB324_369 Depth=1
	s_delay_alu instid0(VALU_DEP_3) | instskip(NEXT) | instid1(VALU_DEP_1)
	v_clz_i32_u32_e32 v67, v26
	v_min_u32_e32 v67, 32, v67
	s_delay_alu instid0(VALU_DEP_1) | instskip(NEXT) | instid1(VALU_DEP_1)
	v_subrev_nc_u32_e32 v73, 28, v67
	v_lshlrev_b64_e32 v[26:27], v73, v[26:27]
	s_delay_alu instid0(VALU_DEP_1)
	v_dual_sub_nc_u32 v67, 29, v67 :: v_dual_bitop2_b32 v26, 7, v26 bitop3:0x40
; %bb.597:                              ;   in Loop: Header=BB324_369 Depth=1
	s_or_b32 exec_lo, exec_lo, s27
	v_lshlrev_b32_e32 v14, 16, v14
	s_delay_alu instid0(VALU_DEP_2) | instskip(NEXT) | instid1(VALU_DEP_3)
	v_lshlrev_b32_e32 v26, 20, v26
	v_lshl_add_u32 v27, v67, 23, 0x3c000000
	s_delay_alu instid0(VALU_DEP_3) | instskip(NEXT) | instid1(VALU_DEP_1)
	v_and_b32_e32 v14, 0x80000000, v14
	v_or3_b32 v26, v26, v14, v27
.LBB324_598:                            ;   in Loop: Header=BB324_369 Depth=1
	s_or_b32 exec_lo, exec_lo, s25
.LBB324_599:                            ;   in Loop: Header=BB324_369 Depth=1
	s_delay_alu instid0(SALU_CYCLE_1)
	s_or_b32 exec_lo, exec_lo, s24
.LBB324_600:                            ;   in Loop: Header=BB324_369 Depth=1
	s_delay_alu instid0(SALU_CYCLE_1) | instskip(SKIP_3) | instid1(VALU_DEP_2)
	s_or_b32 exec_lo, exec_lo, s23
	v_dual_lshrrev_b32 v67, 16, v25 :: v_dual_mov_b32 v27, 0
	v_mov_b32_e32 v73, 0
	s_mov_b32 s23, exec_lo
	v_and_b32_e32 v14, 0xff, v67
	s_delay_alu instid0(VALU_DEP_1)
	v_cmpx_ne_u16_e32 0, v14
	s_cbranch_execz .LBB324_608
; %bb.601:                              ;   in Loop: Header=BB324_369 Depth=1
	v_bfrev_b32_e32 v73, 1
	s_mov_b32 s24, exec_lo
	v_cmpx_ne_u16_e32 0x80, v14
	s_cbranch_execz .LBB324_607
; %bb.602:                              ;   in Loop: Header=BB324_369 Depth=1
	v_bfe_u32 v74, v25, 16, 7
	v_mov_b32_e32 v73, 0x7f800001
	s_mov_b32 s25, exec_lo
	s_delay_alu instid0(VALU_DEP_2)
	v_cmpx_ne_u32_e32 0x7f, v74
	s_cbranch_execz .LBB324_606
; %bb.603:                              ;   in Loop: Header=BB324_369 Depth=1
	v_dual_lshrrev_b32 v73, 3, v74 :: v_dual_bitop2_b32 v14, 7, v67 bitop3:0x40
	s_mov_b32 s27, exec_lo
	v_cmpx_gt_u32_e32 8, v74
; %bb.604:                              ;   in Loop: Header=BB324_369 Depth=1
	s_delay_alu instid0(VALU_DEP_2) | instskip(NEXT) | instid1(VALU_DEP_1)
	v_clz_i32_u32_e32 v73, v14
	v_min_u32_e32 v73, 32, v73
	s_delay_alu instid0(VALU_DEP_1) | instskip(NEXT) | instid1(VALU_DEP_1)
	v_subrev_nc_u32_e32 v74, 28, v73
	v_lshlrev_b64_e32 v[74:75], v74, v[14:15]
	s_delay_alu instid0(VALU_DEP_1)
	v_dual_sub_nc_u32 v73, 29, v73 :: v_dual_bitop2_b32 v14, 7, v74 bitop3:0x40
; %bb.605:                              ;   in Loop: Header=BB324_369 Depth=1
	s_or_b32 exec_lo, exec_lo, s27
	s_delay_alu instid0(VALU_DEP_1) | instskip(NEXT) | instid1(VALU_DEP_2)
	v_dual_lshlrev_b32 v67, 24, v67 :: v_dual_lshlrev_b32 v14, 20, v14
	v_lshl_add_u32 v73, v73, 23, 0x3c000000
	s_delay_alu instid0(VALU_DEP_2) | instskip(NEXT) | instid1(VALU_DEP_1)
	v_and_b32_e32 v67, 0x80000000, v67
	v_or3_b32 v73, v14, v67, v73
.LBB324_606:                            ;   in Loop: Header=BB324_369 Depth=1
	s_or_b32 exec_lo, exec_lo, s25
.LBB324_607:                            ;   in Loop: Header=BB324_369 Depth=1
	s_delay_alu instid0(SALU_CYCLE_1)
	s_or_b32 exec_lo, exec_lo, s24
.LBB324_608:                            ;   in Loop: Header=BB324_369 Depth=1
	s_delay_alu instid0(SALU_CYCLE_1) | instskip(NEXT) | instid1(SALU_CYCLE_1)
	s_or_b32 exec_lo, exec_lo, s23
	s_mov_b32 s23, exec_lo
	v_cmpx_lt_u64_e64 s[2:3], v[24:25]
	s_cbranch_execz .LBB324_616
; %bb.609:                              ;   in Loop: Header=BB324_369 Depth=1
	v_lshrrev_b32_e32 v24, 24, v25
	v_bfrev_b32_e32 v27, 1
	s_mov_b32 s24, exec_lo
	s_delay_alu instid0(VALU_DEP_2)
	v_cmpx_ne_u32_e32 0x80, v24
	s_cbranch_execz .LBB324_615
; %bb.610:                              ;   in Loop: Header=BB324_369 Depth=1
	v_bfe_u32 v67, v25, 24, 7
	v_mov_b32_e32 v27, 0x7f800001
	s_mov_b32 s25, exec_lo
	s_delay_alu instid0(VALU_DEP_2)
	v_cmpx_ne_u32_e32 0x7f, v67
	s_cbranch_execz .LBB324_614
; %bb.611:                              ;   in Loop: Header=BB324_369 Depth=1
	v_dual_lshrrev_b32 v25, 3, v67 :: v_dual_bitop2_b32 v14, 7, v24 bitop3:0x40
	s_mov_b32 s27, exec_lo
	v_cmpx_gt_u32_e32 8, v67
; %bb.612:                              ;   in Loop: Header=BB324_369 Depth=1
	s_delay_alu instid0(VALU_DEP_2) | instskip(NEXT) | instid1(VALU_DEP_1)
	v_clz_i32_u32_e32 v25, v14
	v_min_u32_e32 v25, 32, v25
	s_delay_alu instid0(VALU_DEP_1) | instskip(NEXT) | instid1(VALU_DEP_1)
	v_subrev_nc_u32_e32 v27, 28, v25
	v_lshlrev_b64_e32 v[74:75], v27, v[14:15]
	s_delay_alu instid0(VALU_DEP_1)
	v_dual_sub_nc_u32 v25, 29, v25 :: v_dual_bitop2_b32 v14, 7, v74 bitop3:0x40
; %bb.613:                              ;   in Loop: Header=BB324_369 Depth=1
	s_or_b32 exec_lo, exec_lo, s27
	s_delay_alu instid0(VALU_DEP_1) | instskip(NEXT) | instid1(VALU_DEP_2)
	v_dual_lshlrev_b32 v24, 24, v24 :: v_dual_lshlrev_b32 v14, 20, v14
	v_lshl_add_u32 v25, v25, 23, 0x3c000000
	s_delay_alu instid0(VALU_DEP_2) | instskip(NEXT) | instid1(VALU_DEP_1)
	v_and_b32_e32 v24, 0x80000000, v24
	v_or3_b32 v27, v14, v24, v25
.LBB324_614:                            ;   in Loop: Header=BB324_369 Depth=1
	s_or_b32 exec_lo, exec_lo, s25
.LBB324_615:                            ;   in Loop: Header=BB324_369 Depth=1
	s_delay_alu instid0(SALU_CYCLE_1)
	s_or_b32 exec_lo, exec_lo, s24
.LBB324_616:                            ;   in Loop: Header=BB324_369 Depth=1
	s_delay_alu instid0(SALU_CYCLE_1)
	s_or_b32 exec_lo, exec_lo, s23
	v_fma_mixlo_bf16 v67, s22, v26, 0
	v_fma_mixlo_bf16 v68, s22, v68, 0
	;; [unrolled: 1-line block ×8, first 2 shown]
	s_and_saveexec_b32 s23, vcc_lo
	s_cbranch_execz .LBB324_618
; %bb.617:                              ;   in Loop: Header=BB324_369 Depth=1
	v_cmp_gt_i32_e64 s0, s34, v43
	s_delay_alu instid0(VALU_DEP_1) | instskip(SKIP_1) | instid1(VALU_DEP_1)
	v_cndmask_b32_e64 v72, 0, v72, s0
	v_cmp_gt_i32_e64 s0, s34, v50
	v_cndmask_b32_e64 v71, 0, v71, s0
	v_cmp_gt_i32_e64 s0, s34, v49
	s_delay_alu instid0(VALU_DEP_1) | instskip(SKIP_1) | instid1(VALU_DEP_1)
	v_cndmask_b32_e64 v70, 0, v70, s0
	v_cmp_gt_i32_e64 s0, s34, v48
	v_cndmask_b32_e64 v69, 0, v69, s0
	;; [unrolled: 5-line block ×4, first 2 shown]
.LBB324_618:                            ;   in Loop: Header=BB324_369 Depth=1
	s_or_b32 exec_lo, exec_lo, s23
	global_load_b64 v[20:21], v[20:21], off offset:1024
	v_dual_mov_b32 v74, 0 :: v_dual_mov_b32 v73, 0
	s_mov_b32 s23, exec_lo
	s_wait_loadcnt 0x0
	v_and_b32_e32 v14, 0xff, v20
	s_delay_alu instid0(VALU_DEP_1)
	v_cmpx_ne_u16_e32 0, v14
	s_cbranch_execz .LBB324_624
; %bb.619:                              ;   in Loop: Header=BB324_369 Depth=1
	v_bfrev_b32_e32 v73, 1
	s_mov_b32 s24, exec_lo
	v_cmpx_ne_u16_e32 0x80, v14
	s_cbranch_execz .LBB324_623
; %bb.620:                              ;   in Loop: Header=BB324_369 Depth=1
	v_and_b32_e32 v14, 0x7f, v20
	v_mov_b32_e32 v73, 0x7f800001
	s_mov_b32 s25, exec_lo
	s_delay_alu instid0(VALU_DEP_2)
	v_cmpx_ne_u32_e32 0x7f, v14
	s_cbranch_execz .LBB324_622
; %bb.621:                              ;   in Loop: Header=BB324_369 Depth=1
	v_dual_lshrrev_b32 v25, 3, v14 :: v_dual_bitop2_b32 v24, 7, v20 bitop3:0x40
	v_cmp_gt_u32_e64 s0, 8, v14
	s_delay_alu instid0(VALU_DEP_2) | instskip(NEXT) | instid1(VALU_DEP_1)
	v_clz_i32_u32_e32 v24, v24
	v_min_u32_e32 v24, 32, v24
	s_delay_alu instid0(VALU_DEP_1) | instskip(SKIP_1) | instid1(VALU_DEP_1)
	v_subrev_nc_u32_e32 v73, 28, v24
	v_sub_nc_u32_e32 v24, 29, v24
	v_dual_cndmask_b32 v14, v25, v24, s0 :: v_dual_cndmask_b32 v24, 0, v73, s0
	s_delay_alu instid0(VALU_DEP_1) | instskip(NEXT) | instid1(VALU_DEP_2)
	v_lshl_add_u32 v14, v14, 23, 0x3c000000
	v_lshlrev_b64_e32 v[24:25], v24, v[20:21]
	v_lshlrev_b32_e32 v25, 24, v20
	s_delay_alu instid0(VALU_DEP_1) | instskip(NEXT) | instid1(VALU_DEP_3)
	v_and_b32_e32 v25, 0x80000000, v25
	v_lshlrev_b32_e32 v24, 20, v24
	s_delay_alu instid0(VALU_DEP_1) | instskip(NEXT) | instid1(VALU_DEP_1)
	v_and_b32_e32 v24, 0x700000, v24
	v_or3_b32 v73, v24, v25, v14
.LBB324_622:                            ;   in Loop: Header=BB324_369 Depth=1
	s_or_b32 exec_lo, exec_lo, s25
.LBB324_623:                            ;   in Loop: Header=BB324_369 Depth=1
	s_delay_alu instid0(SALU_CYCLE_1)
	s_or_b32 exec_lo, exec_lo, s24
.LBB324_624:                            ;   in Loop: Header=BB324_369 Depth=1
	s_delay_alu instid0(SALU_CYCLE_1) | instskip(SKIP_2) | instid1(VALU_DEP_1)
	s_or_b32 exec_lo, exec_lo, s23
	v_lshrrev_b16 v14, 8, v20
	s_mov_b32 s23, exec_lo
	v_cmpx_ne_u16_e32 0, v14
	s_cbranch_execz .LBB324_632
; %bb.625:                              ;   in Loop: Header=BB324_369 Depth=1
	v_bfrev_b32_e32 v74, 1
	s_mov_b32 s24, exec_lo
	v_cmpx_ne_u16_e32 0x80, v14
	s_cbranch_execz .LBB324_631
; %bb.626:                              ;   in Loop: Header=BB324_369 Depth=1
	v_and_b32_e32 v14, 0xffff, v14
	v_mov_b32_e32 v74, 0x7f800001
	s_mov_b32 s25, exec_lo
	s_delay_alu instid0(VALU_DEP_2) | instskip(NEXT) | instid1(VALU_DEP_1)
	v_and_b32_e32 v25, 0x7f, v14
	v_cmpx_ne_u32_e32 0x7f, v25
	s_cbranch_execz .LBB324_630
; %bb.627:                              ;   in Loop: Header=BB324_369 Depth=1
	v_dual_lshrrev_b32 v24, 3, v25 :: v_dual_bitop2_b32 v14, 7, v14 bitop3:0x40
	s_mov_b32 s27, exec_lo
	v_cmpx_gt_u32_e32 8, v25
; %bb.628:                              ;   in Loop: Header=BB324_369 Depth=1
	s_delay_alu instid0(VALU_DEP_2) | instskip(NEXT) | instid1(VALU_DEP_1)
	v_clz_i32_u32_e32 v24, v14
	v_min_u32_e32 v24, 32, v24
	s_delay_alu instid0(VALU_DEP_1) | instskip(NEXT) | instid1(VALU_DEP_1)
	v_subrev_nc_u32_e32 v25, 28, v24
	v_lshlrev_b64_e32 v[74:75], v25, v[14:15]
	s_delay_alu instid0(VALU_DEP_1)
	v_dual_sub_nc_u32 v24, 29, v24 :: v_dual_bitop2_b32 v14, 7, v74 bitop3:0x40
; %bb.629:                              ;   in Loop: Header=BB324_369 Depth=1
	s_or_b32 exec_lo, exec_lo, s27
	s_delay_alu instid0(VALU_DEP_1) | instskip(NEXT) | instid1(VALU_DEP_2)
	v_dual_lshlrev_b32 v25, 16, v20 :: v_dual_lshlrev_b32 v14, 20, v14
	v_lshl_add_u32 v24, v24, 23, 0x3c000000
	s_delay_alu instid0(VALU_DEP_2) | instskip(NEXT) | instid1(VALU_DEP_1)
	v_and_b32_e32 v25, 0x80000000, v25
	v_or3_b32 v74, v14, v25, v24
.LBB324_630:                            ;   in Loop: Header=BB324_369 Depth=1
	s_or_b32 exec_lo, exec_lo, s25
.LBB324_631:                            ;   in Loop: Header=BB324_369 Depth=1
	s_delay_alu instid0(SALU_CYCLE_1)
	s_or_b32 exec_lo, exec_lo, s24
.LBB324_632:                            ;   in Loop: Header=BB324_369 Depth=1
	s_delay_alu instid0(SALU_CYCLE_1) | instskip(SKIP_3) | instid1(VALU_DEP_2)
	s_or_b32 exec_lo, exec_lo, s23
	v_dual_lshrrev_b32 v24, 16, v20 :: v_dual_mov_b32 v76, 0
	v_mov_b32_e32 v75, 0
	s_mov_b32 s23, exec_lo
	v_and_b32_e32 v14, 0xff, v24
	s_delay_alu instid0(VALU_DEP_1)
	v_cmpx_ne_u16_e32 0, v14
	s_cbranch_execz .LBB324_640
; %bb.633:                              ;   in Loop: Header=BB324_369 Depth=1
	v_bfrev_b32_e32 v75, 1
	s_mov_b32 s24, exec_lo
	v_cmpx_ne_u16_e32 0x80, v14
	s_cbranch_execz .LBB324_639
; %bb.634:                              ;   in Loop: Header=BB324_369 Depth=1
	v_bfe_u32 v77, v20, 16, 7
	v_mov_b32_e32 v75, 0x7f800001
	s_mov_b32 s25, exec_lo
	s_delay_alu instid0(VALU_DEP_2)
	v_cmpx_ne_u32_e32 0x7f, v77
	s_cbranch_execz .LBB324_638
; %bb.635:                              ;   in Loop: Header=BB324_369 Depth=1
	v_dual_lshrrev_b32 v25, 3, v77 :: v_dual_bitop2_b32 v14, 7, v24 bitop3:0x40
	s_mov_b32 s27, exec_lo
	v_cmpx_gt_u32_e32 8, v77
; %bb.636:                              ;   in Loop: Header=BB324_369 Depth=1
	s_delay_alu instid0(VALU_DEP_2) | instskip(NEXT) | instid1(VALU_DEP_1)
	v_clz_i32_u32_e32 v25, v14
	v_min_u32_e32 v25, 32, v25
	s_delay_alu instid0(VALU_DEP_1) | instskip(NEXT) | instid1(VALU_DEP_1)
	v_subrev_nc_u32_e32 v75, 28, v25
	v_lshlrev_b64_e32 v[78:79], v75, v[14:15]
	s_delay_alu instid0(VALU_DEP_1)
	v_dual_sub_nc_u32 v25, 29, v25 :: v_dual_bitop2_b32 v14, 7, v78 bitop3:0x40
; %bb.637:                              ;   in Loop: Header=BB324_369 Depth=1
	s_or_b32 exec_lo, exec_lo, s27
	s_delay_alu instid0(VALU_DEP_1) | instskip(NEXT) | instid1(VALU_DEP_2)
	v_dual_lshlrev_b32 v24, 24, v24 :: v_dual_lshlrev_b32 v14, 20, v14
	v_lshl_add_u32 v25, v25, 23, 0x3c000000
	s_delay_alu instid0(VALU_DEP_2) | instskip(NEXT) | instid1(VALU_DEP_1)
	v_and_b32_e32 v24, 0x80000000, v24
	v_or3_b32 v75, v14, v24, v25
.LBB324_638:                            ;   in Loop: Header=BB324_369 Depth=1
	s_or_b32 exec_lo, exec_lo, s25
.LBB324_639:                            ;   in Loop: Header=BB324_369 Depth=1
	s_delay_alu instid0(SALU_CYCLE_1)
	s_or_b32 exec_lo, exec_lo, s24
.LBB324_640:                            ;   in Loop: Header=BB324_369 Depth=1
	s_delay_alu instid0(SALU_CYCLE_1) | instskip(NEXT) | instid1(SALU_CYCLE_1)
	s_or_b32 exec_lo, exec_lo, s23
	s_mov_b32 s23, exec_lo
	v_cmpx_lt_u32_e32 0xffffff, v20
	s_cbranch_execz .LBB324_648
; %bb.641:                              ;   in Loop: Header=BB324_369 Depth=1
	v_lshrrev_b32_e32 v24, 24, v20
	v_bfrev_b32_e32 v76, 1
	s_mov_b32 s24, exec_lo
	s_delay_alu instid0(VALU_DEP_2)
	v_cmpx_ne_u32_e32 0x80, v24
	s_cbranch_execz .LBB324_647
; %bb.642:                              ;   in Loop: Header=BB324_369 Depth=1
	v_bfe_u32 v77, v20, 24, 7
	v_mov_b32_e32 v76, 0x7f800001
	s_mov_b32 s25, exec_lo
	s_delay_alu instid0(VALU_DEP_2)
	v_cmpx_ne_u32_e32 0x7f, v77
	s_cbranch_execz .LBB324_646
; %bb.643:                              ;   in Loop: Header=BB324_369 Depth=1
	v_dual_lshrrev_b32 v25, 3, v77 :: v_dual_bitop2_b32 v14, 7, v24 bitop3:0x40
	s_mov_b32 s27, exec_lo
	v_cmpx_gt_u32_e32 8, v77
; %bb.644:                              ;   in Loop: Header=BB324_369 Depth=1
	s_delay_alu instid0(VALU_DEP_2) | instskip(NEXT) | instid1(VALU_DEP_1)
	v_clz_i32_u32_e32 v25, v14
	v_min_u32_e32 v25, 32, v25
	s_delay_alu instid0(VALU_DEP_1) | instskip(NEXT) | instid1(VALU_DEP_1)
	v_subrev_nc_u32_e32 v76, 28, v25
	v_lshlrev_b64_e32 v[76:77], v76, v[14:15]
	s_delay_alu instid0(VALU_DEP_1)
	v_dual_sub_nc_u32 v25, 29, v25 :: v_dual_bitop2_b32 v14, 7, v76 bitop3:0x40
; %bb.645:                              ;   in Loop: Header=BB324_369 Depth=1
	s_or_b32 exec_lo, exec_lo, s27
	s_delay_alu instid0(VALU_DEP_1) | instskip(NEXT) | instid1(VALU_DEP_2)
	v_dual_lshlrev_b32 v24, 24, v24 :: v_dual_lshlrev_b32 v14, 20, v14
	v_lshl_add_u32 v25, v25, 23, 0x3c000000
	s_delay_alu instid0(VALU_DEP_2) | instskip(NEXT) | instid1(VALU_DEP_1)
	v_and_b32_e32 v24, 0x80000000, v24
	v_or3_b32 v76, v14, v24, v25
.LBB324_646:                            ;   in Loop: Header=BB324_369 Depth=1
	s_or_b32 exec_lo, exec_lo, s25
.LBB324_647:                            ;   in Loop: Header=BB324_369 Depth=1
	s_delay_alu instid0(SALU_CYCLE_1)
	s_or_b32 exec_lo, exec_lo, s24
.LBB324_648:                            ;   in Loop: Header=BB324_369 Depth=1
	s_delay_alu instid0(SALU_CYCLE_1) | instskip(SKIP_4) | instid1(VALU_DEP_3)
	s_or_b32 exec_lo, exec_lo, s23
	v_and_b32_e32 v25, 0xff, v21
	v_dual_mov_b32 v14, v21 :: v_dual_mov_b32 v24, 0
	v_mov_b32_e32 v77, 0
	s_mov_b32 s23, exec_lo
	v_cmpx_ne_u16_e32 0, v25
	s_cbranch_execz .LBB324_654
; %bb.649:                              ;   in Loop: Header=BB324_369 Depth=1
	v_bfrev_b32_e32 v77, 1
	s_mov_b32 s24, exec_lo
	v_cmpx_ne_u16_e32 0x80, v25
	s_cbranch_execz .LBB324_653
; %bb.650:                              ;   in Loop: Header=BB324_369 Depth=1
	v_and_b32_e32 v25, 0x7f, v21
	v_mov_b32_e32 v77, 0x7f800001
	s_mov_b32 s25, exec_lo
	s_delay_alu instid0(VALU_DEP_2)
	v_cmpx_ne_u32_e32 0x7f, v25
	s_cbranch_execz .LBB324_652
; %bb.651:                              ;   in Loop: Header=BB324_369 Depth=1
	v_and_b32_e32 v77, 7, v21
	v_cmp_gt_u32_e64 s0, 8, v25
	s_delay_alu instid0(VALU_DEP_2) | instskip(NEXT) | instid1(VALU_DEP_1)
	v_clz_i32_u32_e32 v77, v77
	v_min_u32_e32 v77, 32, v77
	s_delay_alu instid0(VALU_DEP_1) | instskip(SKIP_2) | instid1(VALU_DEP_1)
	v_subrev_nc_u32_e32 v79, 28, v77
	v_lshrrev_b32_e32 v78, 3, v25
	v_sub_nc_u32_e32 v77, 29, v77
	v_dual_cndmask_b32 v25, v78, v77, s0 :: v_dual_cndmask_b32 v77, 0, v79, s0
	s_delay_alu instid0(VALU_DEP_1) | instskip(SKIP_1) | instid1(VALU_DEP_3)
	v_lshlrev_b64_e32 v[78:79], v77, v[14:15]
	v_lshlrev_b32_e32 v77, 24, v14
	v_lshl_add_u32 v25, v25, 23, 0x3c000000
	s_delay_alu instid0(VALU_DEP_2) | instskip(NEXT) | instid1(VALU_DEP_4)
	v_and_b32_e32 v77, 0x80000000, v77
	v_lshlrev_b32_e32 v78, 20, v78
	s_delay_alu instid0(VALU_DEP_1) | instskip(NEXT) | instid1(VALU_DEP_1)
	v_and_b32_e32 v78, 0x700000, v78
	v_or3_b32 v77, v78, v77, v25
.LBB324_652:                            ;   in Loop: Header=BB324_369 Depth=1
	s_or_b32 exec_lo, exec_lo, s25
.LBB324_653:                            ;   in Loop: Header=BB324_369 Depth=1
	s_delay_alu instid0(SALU_CYCLE_1)
	s_or_b32 exec_lo, exec_lo, s24
.LBB324_654:                            ;   in Loop: Header=BB324_369 Depth=1
	s_delay_alu instid0(SALU_CYCLE_1) | instskip(SKIP_2) | instid1(VALU_DEP_1)
	s_or_b32 exec_lo, exec_lo, s23
	v_lshrrev_b16 v25, 8, v14
	s_mov_b32 s23, exec_lo
	v_cmpx_ne_u16_e32 0, v25
	s_cbranch_execz .LBB324_662
; %bb.655:                              ;   in Loop: Header=BB324_369 Depth=1
	v_bfrev_b32_e32 v24, 1
	s_mov_b32 s24, exec_lo
	v_cmpx_ne_u16_e32 0x80, v25
	s_cbranch_execz .LBB324_661
; %bb.656:                              ;   in Loop: Header=BB324_369 Depth=1
	v_and_b32_e32 v25, 0xffff, v25
	v_mov_b32_e32 v24, 0x7f800001
	s_mov_b32 s25, exec_lo
	s_delay_alu instid0(VALU_DEP_2) | instskip(NEXT) | instid1(VALU_DEP_1)
	v_and_b32_e32 v79, 0x7f, v25
	v_cmpx_ne_u32_e32 0x7f, v79
	s_cbranch_execz .LBB324_660
; %bb.657:                              ;   in Loop: Header=BB324_369 Depth=1
	v_dual_mov_b32 v25, v15 :: v_dual_bitop2_b32 v24, 7, v25 bitop3:0x40
	v_lshrrev_b32_e32 v78, 3, v79
	s_mov_b32 s27, exec_lo
	v_cmpx_gt_u32_e32 8, v79
; %bb.658:                              ;   in Loop: Header=BB324_369 Depth=1
	s_delay_alu instid0(VALU_DEP_3) | instskip(NEXT) | instid1(VALU_DEP_1)
	v_clz_i32_u32_e32 v78, v24
	v_min_u32_e32 v78, 32, v78
	s_delay_alu instid0(VALU_DEP_1) | instskip(NEXT) | instid1(VALU_DEP_1)
	v_subrev_nc_u32_e32 v79, 28, v78
	v_lshlrev_b64_e32 v[24:25], v79, v[24:25]
	s_delay_alu instid0(VALU_DEP_1)
	v_dual_sub_nc_u32 v78, 29, v78 :: v_dual_bitop2_b32 v24, 7, v24 bitop3:0x40
; %bb.659:                              ;   in Loop: Header=BB324_369 Depth=1
	s_or_b32 exec_lo, exec_lo, s27
	s_delay_alu instid0(VALU_DEP_1) | instskip(NEXT) | instid1(VALU_DEP_2)
	v_dual_lshlrev_b32 v14, 16, v14 :: v_dual_lshlrev_b32 v24, 20, v24
	v_lshl_add_u32 v25, v78, 23, 0x3c000000
	s_delay_alu instid0(VALU_DEP_2) | instskip(NEXT) | instid1(VALU_DEP_1)
	v_and_b32_e32 v14, 0x80000000, v14
	v_or3_b32 v24, v24, v14, v25
.LBB324_660:                            ;   in Loop: Header=BB324_369 Depth=1
	s_or_b32 exec_lo, exec_lo, s25
.LBB324_661:                            ;   in Loop: Header=BB324_369 Depth=1
	s_delay_alu instid0(SALU_CYCLE_1)
	s_or_b32 exec_lo, exec_lo, s24
.LBB324_662:                            ;   in Loop: Header=BB324_369 Depth=1
	s_delay_alu instid0(SALU_CYCLE_1) | instskip(SKIP_3) | instid1(VALU_DEP_2)
	s_or_b32 exec_lo, exec_lo, s23
	v_dual_mov_b32 v78, 0 :: v_dual_lshrrev_b32 v25, 16, v21
	v_mov_b32_e32 v79, 0
	s_mov_b32 s23, exec_lo
	v_and_b32_e32 v14, 0xff, v25
	s_delay_alu instid0(VALU_DEP_1)
	v_cmpx_ne_u16_e32 0, v14
	s_cbranch_execz .LBB324_670
; %bb.663:                              ;   in Loop: Header=BB324_369 Depth=1
	v_bfrev_b32_e32 v79, 1
	s_mov_b32 s24, exec_lo
	v_cmpx_ne_u16_e32 0x80, v14
	s_cbranch_execz .LBB324_669
; %bb.664:                              ;   in Loop: Header=BB324_369 Depth=1
	v_bfe_u32 v80, v21, 16, 7
	v_mov_b32_e32 v79, 0x7f800001
	s_mov_b32 s25, exec_lo
	s_delay_alu instid0(VALU_DEP_2)
	v_cmpx_ne_u32_e32 0x7f, v80
	s_cbranch_execz .LBB324_668
; %bb.665:                              ;   in Loop: Header=BB324_369 Depth=1
	v_dual_lshrrev_b32 v79, 3, v80 :: v_dual_bitop2_b32 v14, 7, v25 bitop3:0x40
	s_mov_b32 s27, exec_lo
	v_cmpx_gt_u32_e32 8, v80
; %bb.666:                              ;   in Loop: Header=BB324_369 Depth=1
	s_delay_alu instid0(VALU_DEP_2) | instskip(NEXT) | instid1(VALU_DEP_1)
	v_clz_i32_u32_e32 v79, v14
	v_min_u32_e32 v79, 32, v79
	s_delay_alu instid0(VALU_DEP_1) | instskip(NEXT) | instid1(VALU_DEP_1)
	v_subrev_nc_u32_e32 v80, 28, v79
	v_lshlrev_b64_e32 v[80:81], v80, v[14:15]
	s_delay_alu instid0(VALU_DEP_1)
	v_dual_sub_nc_u32 v79, 29, v79 :: v_dual_bitop2_b32 v14, 7, v80 bitop3:0x40
; %bb.667:                              ;   in Loop: Header=BB324_369 Depth=1
	s_or_b32 exec_lo, exec_lo, s27
	s_delay_alu instid0(VALU_DEP_1) | instskip(NEXT) | instid1(VALU_DEP_2)
	v_dual_lshlrev_b32 v25, 24, v25 :: v_dual_lshlrev_b32 v14, 20, v14
	v_lshl_add_u32 v79, v79, 23, 0x3c000000
	s_delay_alu instid0(VALU_DEP_2) | instskip(NEXT) | instid1(VALU_DEP_1)
	v_and_b32_e32 v25, 0x80000000, v25
	v_or3_b32 v79, v14, v25, v79
.LBB324_668:                            ;   in Loop: Header=BB324_369 Depth=1
	s_or_b32 exec_lo, exec_lo, s25
.LBB324_669:                            ;   in Loop: Header=BB324_369 Depth=1
	s_delay_alu instid0(SALU_CYCLE_1)
	s_or_b32 exec_lo, exec_lo, s24
.LBB324_670:                            ;   in Loop: Header=BB324_369 Depth=1
	s_delay_alu instid0(SALU_CYCLE_1) | instskip(NEXT) | instid1(SALU_CYCLE_1)
	s_or_b32 exec_lo, exec_lo, s23
	s_mov_b32 s23, exec_lo
	v_cmpx_lt_u64_e64 s[2:3], v[20:21]
	s_cbranch_execz .LBB324_678
; %bb.671:                              ;   in Loop: Header=BB324_369 Depth=1
	v_lshrrev_b32_e32 v20, 24, v21
	v_bfrev_b32_e32 v78, 1
	s_mov_b32 s24, exec_lo
	s_delay_alu instid0(VALU_DEP_2)
	v_cmpx_ne_u32_e32 0x80, v20
	s_cbranch_execz .LBB324_677
; %bb.672:                              ;   in Loop: Header=BB324_369 Depth=1
	v_bfe_u32 v25, v21, 24, 7
	v_mov_b32_e32 v78, 0x7f800001
	s_mov_b32 s25, exec_lo
	s_delay_alu instid0(VALU_DEP_2)
	v_cmpx_ne_u32_e32 0x7f, v25
	s_cbranch_execz .LBB324_676
; %bb.673:                              ;   in Loop: Header=BB324_369 Depth=1
	v_dual_lshrrev_b32 v21, 3, v25 :: v_dual_bitop2_b32 v14, 7, v20 bitop3:0x40
	s_mov_b32 s27, exec_lo
	v_cmpx_gt_u32_e32 8, v25
; %bb.674:                              ;   in Loop: Header=BB324_369 Depth=1
	s_delay_alu instid0(VALU_DEP_2) | instskip(NEXT) | instid1(VALU_DEP_1)
	v_clz_i32_u32_e32 v21, v14
	v_min_u32_e32 v21, 32, v21
	s_delay_alu instid0(VALU_DEP_1) | instskip(NEXT) | instid1(VALU_DEP_1)
	v_subrev_nc_u32_e32 v25, 28, v21
	v_lshlrev_b64_e32 v[80:81], v25, v[14:15]
	s_delay_alu instid0(VALU_DEP_1)
	v_dual_sub_nc_u32 v21, 29, v21 :: v_dual_bitop2_b32 v14, 7, v80 bitop3:0x40
; %bb.675:                              ;   in Loop: Header=BB324_369 Depth=1
	s_or_b32 exec_lo, exec_lo, s27
	s_delay_alu instid0(VALU_DEP_1) | instskip(NEXT) | instid1(VALU_DEP_2)
	v_dual_lshlrev_b32 v20, 24, v20 :: v_dual_lshlrev_b32 v14, 20, v14
	v_lshl_add_u32 v21, v21, 23, 0x3c000000
	s_delay_alu instid0(VALU_DEP_2) | instskip(NEXT) | instid1(VALU_DEP_1)
	v_and_b32_e32 v20, 0x80000000, v20
	v_or3_b32 v78, v14, v20, v21
.LBB324_676:                            ;   in Loop: Header=BB324_369 Depth=1
	s_or_b32 exec_lo, exec_lo, s25
.LBB324_677:                            ;   in Loop: Header=BB324_369 Depth=1
	s_delay_alu instid0(SALU_CYCLE_1)
	s_or_b32 exec_lo, exec_lo, s24
.LBB324_678:                            ;   in Loop: Header=BB324_369 Depth=1
	s_delay_alu instid0(SALU_CYCLE_1)
	s_or_b32 exec_lo, exec_lo, s23
	v_fma_mixlo_bf16 v20, s22, v24, 0
	v_fma_mixlo_bf16 v24, s22, v77, 0
	;; [unrolled: 1-line block ×8, first 2 shown]
	s_and_saveexec_b32 s0, vcc_lo
	s_cbranch_execz .LBB324_367
; %bb.679:                              ;   in Loop: Header=BB324_369 Depth=1
	v_cmp_gt_i32_e32 vcc_lo, s34, v43
	v_cndmask_b32_e32 v73, 0, v73, vcc_lo
	v_cmp_gt_i32_e32 vcc_lo, s34, v50
	v_cndmask_b32_e32 v74, 0, v74, vcc_lo
	;; [unrolled: 2-line block ×8, first 2 shown]
	s_branch .LBB324_367
.LBB324_680:
	s_or_b32 exec_lo, exec_lo, s18
.LBB324_681:
	s_delay_alu instid0(SALU_CYCLE_1)
	s_or_b32 exec_lo, exec_lo, s1
	ds_bpermute_b32 v2, v29, v12
	ds_bpermute_b32 v3, v29, v13
	;; [unrolled: 1-line block ×5, first 2 shown]
	v_and_b32_e32 v14, 0x3c1, v0
	v_lshrrev_b32_e32 v7, 1, v28
	s_mov_b32 s0, exec_lo
	s_wait_dscnt 0x0
	s_barrier_signal -1
	s_barrier_wait -1
	v_pk_add_f32 v[4:5], v[12:13], v[2:3]
	v_pk_add_f32 v[2:3], v[10:11], v[8:9]
	v_cmpx_ne_u32_e32 64, v14
	s_xor_b32 s0, exec_lo, s0
	s_delay_alu instid0(SALU_CYCLE_1)
	s_or_saveexec_b32 s0, s0
	v_add_f32_e32 v6, v30, v6
	v_lshl_add_u32 v8, v7, 2, 0xc0
	v_mul_u32_u24_e32 v9, 0x140, v35
	s_xor_b32 exec_lo, exec_lo, s0
	s_cbranch_execz .LBB324_683
; %bb.682:
	s_delay_alu instid0(VALU_DEP_1) | instskip(NEXT) | instid1(VALU_DEP_1)
	v_add_nc_u32_e32 v10, v8, v9
	v_add_nc_u32_e32 v11, 0xfffffd80, v10
	;; [unrolled: 1-line block ×6, first 2 shown]
	ds_store_b32 v11, v4
	ds_store_b32 v12, v5
	;; [unrolled: 1-line block ×5, first 2 shown]
.LBB324_683:
	s_or_b32 exec_lo, exec_lo, s0
	v_lshlrev_b32_e32 v7, 2, v7
	s_mov_b32 s1, exec_lo
	v_cmp_eq_u32_e32 vcc_lo, 0, v34
	s_wait_dscnt 0x0
	s_barrier_signal -1
	v_add3_u32 v7, 0xc0, v9, v7
	s_barrier_wait -1
	v_cmpx_gt_u32_e32 64, v0
	s_cbranch_execz .LBB324_691
; %bb.684:
	s_and_saveexec_b32 s0, vcc_lo
	s_cbranch_execnz .LBB324_704
; %bb.685:
	s_or_b32 exec_lo, exec_lo, s0
	s_and_saveexec_b32 s0, vcc_lo
	s_cbranch_execnz .LBB324_705
.LBB324_686:
	s_or_b32 exec_lo, exec_lo, s0
	s_and_saveexec_b32 s0, vcc_lo
	s_cbranch_execnz .LBB324_706
.LBB324_687:
	s_or_b32 exec_lo, exec_lo, s0
	s_and_saveexec_b32 s0, vcc_lo
	s_cbranch_execnz .LBB324_707
.LBB324_688:
	s_or_b32 exec_lo, exec_lo, s0
	s_and_saveexec_b32 s0, vcc_lo
	s_cbranch_execz .LBB324_690
.LBB324_689:
	ds_load_b32 v9, v7 offset:256
	s_wait_dscnt 0x0
	v_add_f32_e32 v6, v6, v9
.LBB324_690:
	s_or_b32 exec_lo, exec_lo, s0
.LBB324_691:
	s_delay_alu instid0(SALU_CYCLE_1) | instskip(SKIP_4) | instid1(VALU_DEP_1)
	s_or_b32 exec_lo, exec_lo, s1
	v_and_b32_e32 v9, 0x3e1, v0
	s_mov_b32 s1, exec_lo
	s_barrier_signal -1
	s_barrier_wait -1
	v_cmpx_eq_u32_e32 32, v9
	s_cbranch_execz .LBB324_693
; %bb.692:
	ds_store_2addr_b32 v8, v4, v5 offset1:16
	ds_store_2addr_b32 v8, v2, v3 offset0:32 offset1:48
	ds_store_b32 v8, v6 offset:256
.LBB324_693:
	s_or_b32 exec_lo, exec_lo, s1
	s_delay_alu instid0(SALU_CYCLE_1)
	s_mov_b32 s1, exec_lo
	s_wait_dscnt 0x0
	s_barrier_signal -1
	s_barrier_wait -1
	v_cmpx_gt_u32_e32 32, v0
	s_cbranch_execz .LBB324_701
; %bb.694:
	s_and_saveexec_b32 s0, vcc_lo
	s_cbranch_execnz .LBB324_708
; %bb.695:
	s_or_b32 exec_lo, exec_lo, s0
	s_and_saveexec_b32 s0, vcc_lo
	s_cbranch_execnz .LBB324_709
.LBB324_696:
	s_or_b32 exec_lo, exec_lo, s0
	s_and_saveexec_b32 s0, vcc_lo
	s_cbranch_execnz .LBB324_710
.LBB324_697:
	s_or_b32 exec_lo, exec_lo, s0
	s_and_saveexec_b32 s0, vcc_lo
	s_cbranch_execnz .LBB324_711
.LBB324_698:
	s_or_b32 exec_lo, exec_lo, s0
	s_and_saveexec_b32 s0, vcc_lo
	s_cbranch_execz .LBB324_700
.LBB324_699:
	ds_load_b32 v0, v7 offset:256
	s_wait_dscnt 0x0
	v_add_f32_e32 v6, v6, v0
.LBB324_700:
	s_or_b32 exec_lo, exec_lo, s0
.LBB324_701:
	s_delay_alu instid0(SALU_CYCLE_1)
	s_or_b32 exec_lo, exec_lo, s1
	s_mov_b32 s1, 0
	s_barrier_signal -1
	s_barrier_wait -1
	s_mov_b32 s0, exec_lo
	v_cmpx_eq_u32_e32 0, v9
	s_cbranch_execz .LBB324_703
; %bb.702:
	s_mul_i32 s0, s33, s7
	s_mul_i32 s2, s7, s6
	s_mul_i32 s0, s0, s31
	s_wait_kmcnt 0x0
	s_lshr_b32 s8, ttmp7, 16
	s_mul_i32 s6, s0, 0x50
	s_bfe_u32 s0, ttmp6, 0x40014
	s_ashr_i32 s7, s6, 31
	s_add_co_i32 s0, s0, 1
	s_ashr_i32 s3, s2, 31
	s_mul_i32 s0, s8, s0
	s_bfe_u32 s9, ttmp6, 0x40008
	s_lshl_b64 s[6:7], s[6:7], 1
	s_lshl_b64 s[2:3], s[2:3], 1
	s_add_co_i32 s9, s9, s0
	s_cmp_eq_u32 s30, 0
	s_add_nc_u64 s[4:5], s[4:5], s[6:7]
	s_cselect_b32 s0, s8, s9
	s_add_nc_u64 s[2:3], s[4:5], s[2:3]
	s_mulk_i32 s0, 0xa0
	s_delay_alu instid0(SALU_CYCLE_1) | instskip(NEXT) | instid1(SALU_CYCLE_1)
	s_add_nc_u64 s[0:1], s[2:3], s[0:1]
	v_cvt_pk_bf16_f32 v0, v4, s0
	v_cvt_pk_bf16_f32 v4, v5, s0
	v_cvt_pk_bf16_f32 v2, v2, s0
	v_cvt_pk_bf16_f32 v3, v3, s0
	v_cvt_pk_bf16_f32 v5, v6, s0
	s_clause 0x4
	global_store_b16 v1, v0, s[0:1] scale_offset
	global_store_b16 v1, v4, s[0:1] offset:32 scale_offset
	global_store_b16 v1, v2, s[0:1] offset:64 scale_offset
	;; [unrolled: 1-line block ×4, first 2 shown]
.LBB324_703:
	s_sendmsg sendmsg(MSG_DEALLOC_VGPRS)
	s_endpgm
.LBB324_704:
	ds_load_b32 v9, v7
	s_wait_dscnt 0x0
	v_add_f32_e32 v4, v4, v9
	s_or_b32 exec_lo, exec_lo, s0
	s_and_saveexec_b32 s0, vcc_lo
	s_cbranch_execz .LBB324_686
.LBB324_705:
	ds_load_b32 v9, v7 offset:64
	s_wait_dscnt 0x0
	v_add_f32_e32 v5, v5, v9
	s_or_b32 exec_lo, exec_lo, s0
	s_and_saveexec_b32 s0, vcc_lo
	s_cbranch_execz .LBB324_687
.LBB324_706:
	ds_load_b32 v9, v7 offset:128
	s_wait_dscnt 0x0
	v_add_f32_e32 v2, v2, v9
	s_or_b32 exec_lo, exec_lo, s0
	s_and_saveexec_b32 s0, vcc_lo
	s_cbranch_execz .LBB324_688
.LBB324_707:
	ds_load_b32 v9, v7 offset:192
	s_wait_dscnt 0x0
	v_add_f32_e32 v3, v3, v9
	s_or_b32 exec_lo, exec_lo, s0
	s_and_saveexec_b32 s0, vcc_lo
	s_cbranch_execnz .LBB324_689
	s_branch .LBB324_690
.LBB324_708:
	ds_load_b32 v0, v7
	s_wait_dscnt 0x0
	v_add_f32_e32 v4, v4, v0
	s_or_b32 exec_lo, exec_lo, s0
	s_and_saveexec_b32 s0, vcc_lo
	s_cbranch_execz .LBB324_696
.LBB324_709:
	ds_load_b32 v0, v7 offset:64
	s_wait_dscnt 0x0
	v_add_f32_e32 v5, v5, v0
	s_or_b32 exec_lo, exec_lo, s0
	s_and_saveexec_b32 s0, vcc_lo
	s_cbranch_execz .LBB324_697
.LBB324_710:
	ds_load_b32 v0, v7 offset:128
	s_wait_dscnt 0x0
	v_add_f32_e32 v2, v2, v0
	s_or_b32 exec_lo, exec_lo, s0
	s_and_saveexec_b32 s0, vcc_lo
	s_cbranch_execz .LBB324_698
.LBB324_711:
	ds_load_b32 v0, v7 offset:192
	s_wait_dscnt 0x0
	v_add_f32_e32 v3, v3, v0
	s_or_b32 exec_lo, exec_lo, s0
	s_and_saveexec_b32 s0, vcc_lo
	s_cbranch_execnz .LBB324_699
	s_branch .LBB324_700
	.section	.rodata,"a",@progbits
	.p2align	6, 0x0
	.amdhsa_kernel _ZN4vllm25paged_attention_v1_kernelI14__hip_bfloat16hLi80ELi16ELi128ELNS_18Fp8KVCacheDataTypeE1ELb1EEEvPT_PKS3_PKT0_S9_ifPKiSB_iPKfiiiSD_SD_iiiii
		.amdhsa_group_segment_fixed_size 192
		.amdhsa_private_segment_fixed_size 0
		.amdhsa_kernarg_size 384
		.amdhsa_user_sgpr_count 2
		.amdhsa_user_sgpr_dispatch_ptr 0
		.amdhsa_user_sgpr_queue_ptr 0
		.amdhsa_user_sgpr_kernarg_segment_ptr 1
		.amdhsa_user_sgpr_dispatch_id 0
		.amdhsa_user_sgpr_kernarg_preload_length 0
		.amdhsa_user_sgpr_kernarg_preload_offset 0
		.amdhsa_user_sgpr_private_segment_size 0
		.amdhsa_wavefront_size32 1
		.amdhsa_uses_dynamic_stack 0
		.amdhsa_enable_private_segment 0
		.amdhsa_system_sgpr_workgroup_id_x 1
		.amdhsa_system_sgpr_workgroup_id_y 1
		.amdhsa_system_sgpr_workgroup_id_z 1
		.amdhsa_system_sgpr_workgroup_info 0
		.amdhsa_system_vgpr_workitem_id 0
		.amdhsa_next_free_vgpr 86
		.amdhsa_next_free_sgpr 46
		.amdhsa_named_barrier_count 0
		.amdhsa_reserve_vcc 1
		.amdhsa_float_round_mode_32 0
		.amdhsa_float_round_mode_16_64 0
		.amdhsa_float_denorm_mode_32 3
		.amdhsa_float_denorm_mode_16_64 3
		.amdhsa_fp16_overflow 0
		.amdhsa_memory_ordered 1
		.amdhsa_forward_progress 1
		.amdhsa_inst_pref_size 196
		.amdhsa_round_robin_scheduling 0
		.amdhsa_exception_fp_ieee_invalid_op 0
		.amdhsa_exception_fp_denorm_src 0
		.amdhsa_exception_fp_ieee_div_zero 0
		.amdhsa_exception_fp_ieee_overflow 0
		.amdhsa_exception_fp_ieee_underflow 0
		.amdhsa_exception_fp_ieee_inexact 0
		.amdhsa_exception_int_div_zero 0
	.end_amdhsa_kernel
	.section	.text._ZN4vllm25paged_attention_v1_kernelI14__hip_bfloat16hLi80ELi16ELi128ELNS_18Fp8KVCacheDataTypeE1ELb1EEEvPT_PKS3_PKT0_S9_ifPKiSB_iPKfiiiSD_SD_iiiii,"axG",@progbits,_ZN4vllm25paged_attention_v1_kernelI14__hip_bfloat16hLi80ELi16ELi128ELNS_18Fp8KVCacheDataTypeE1ELb1EEEvPT_PKS3_PKT0_S9_ifPKiSB_iPKfiiiSD_SD_iiiii,comdat
.Lfunc_end324:
	.size	_ZN4vllm25paged_attention_v1_kernelI14__hip_bfloat16hLi80ELi16ELi128ELNS_18Fp8KVCacheDataTypeE1ELb1EEEvPT_PKS3_PKT0_S9_ifPKiSB_iPKfiiiSD_SD_iiiii, .Lfunc_end324-_ZN4vllm25paged_attention_v1_kernelI14__hip_bfloat16hLi80ELi16ELi128ELNS_18Fp8KVCacheDataTypeE1ELb1EEEvPT_PKS3_PKT0_S9_ifPKiSB_iPKfiiiSD_SD_iiiii
                                        ; -- End function
	.set _ZN4vllm25paged_attention_v1_kernelI14__hip_bfloat16hLi80ELi16ELi128ELNS_18Fp8KVCacheDataTypeE1ELb1EEEvPT_PKS3_PKT0_S9_ifPKiSB_iPKfiiiSD_SD_iiiii.num_vgpr, 86
	.set _ZN4vllm25paged_attention_v1_kernelI14__hip_bfloat16hLi80ELi16ELi128ELNS_18Fp8KVCacheDataTypeE1ELb1EEEvPT_PKS3_PKT0_S9_ifPKiSB_iPKfiiiSD_SD_iiiii.num_agpr, 0
	.set _ZN4vllm25paged_attention_v1_kernelI14__hip_bfloat16hLi80ELi16ELi128ELNS_18Fp8KVCacheDataTypeE1ELb1EEEvPT_PKS3_PKT0_S9_ifPKiSB_iPKfiiiSD_SD_iiiii.numbered_sgpr, 46
	.set _ZN4vllm25paged_attention_v1_kernelI14__hip_bfloat16hLi80ELi16ELi128ELNS_18Fp8KVCacheDataTypeE1ELb1EEEvPT_PKS3_PKT0_S9_ifPKiSB_iPKfiiiSD_SD_iiiii.num_named_barrier, 0
	.set _ZN4vllm25paged_attention_v1_kernelI14__hip_bfloat16hLi80ELi16ELi128ELNS_18Fp8KVCacheDataTypeE1ELb1EEEvPT_PKS3_PKT0_S9_ifPKiSB_iPKfiiiSD_SD_iiiii.private_seg_size, 0
	.set _ZN4vllm25paged_attention_v1_kernelI14__hip_bfloat16hLi80ELi16ELi128ELNS_18Fp8KVCacheDataTypeE1ELb1EEEvPT_PKS3_PKT0_S9_ifPKiSB_iPKfiiiSD_SD_iiiii.uses_vcc, 1
	.set _ZN4vllm25paged_attention_v1_kernelI14__hip_bfloat16hLi80ELi16ELi128ELNS_18Fp8KVCacheDataTypeE1ELb1EEEvPT_PKS3_PKT0_S9_ifPKiSB_iPKfiiiSD_SD_iiiii.uses_flat_scratch, 0
	.set _ZN4vllm25paged_attention_v1_kernelI14__hip_bfloat16hLi80ELi16ELi128ELNS_18Fp8KVCacheDataTypeE1ELb1EEEvPT_PKS3_PKT0_S9_ifPKiSB_iPKfiiiSD_SD_iiiii.has_dyn_sized_stack, 0
	.set _ZN4vllm25paged_attention_v1_kernelI14__hip_bfloat16hLi80ELi16ELi128ELNS_18Fp8KVCacheDataTypeE1ELb1EEEvPT_PKS3_PKT0_S9_ifPKiSB_iPKfiiiSD_SD_iiiii.has_recursion, 0
	.set _ZN4vllm25paged_attention_v1_kernelI14__hip_bfloat16hLi80ELi16ELi128ELNS_18Fp8KVCacheDataTypeE1ELb1EEEvPT_PKS3_PKT0_S9_ifPKiSB_iPKfiiiSD_SD_iiiii.has_indirect_call, 0
	.section	.AMDGPU.csdata,"",@progbits
; Kernel info:
; codeLenInByte = 25016
; TotalNumSgprs: 48
; NumVgprs: 86
; ScratchSize: 0
; MemoryBound: 0
; FloatMode: 240
; IeeeMode: 1
; LDSByteSize: 192 bytes/workgroup (compile time only)
; SGPRBlocks: 0
; VGPRBlocks: 5
; NumSGPRsForWavesPerEU: 48
; NumVGPRsForWavesPerEU: 86
; NamedBarCnt: 0
; Occupancy: 10
; WaveLimiterHint : 1
; COMPUTE_PGM_RSRC2:SCRATCH_EN: 0
; COMPUTE_PGM_RSRC2:USER_SGPR: 2
; COMPUTE_PGM_RSRC2:TRAP_HANDLER: 0
; COMPUTE_PGM_RSRC2:TGID_X_EN: 1
; COMPUTE_PGM_RSRC2:TGID_Y_EN: 1
; COMPUTE_PGM_RSRC2:TGID_Z_EN: 1
; COMPUTE_PGM_RSRC2:TIDIG_COMP_CNT: 0
	.section	.text._ZN4vllm25paged_attention_v1_kernelI14__hip_bfloat16hLi96ELi16ELi128ELNS_18Fp8KVCacheDataTypeE1ELb1EEEvPT_PKS3_PKT0_S9_ifPKiSB_iPKfiiiSD_SD_iiiii,"axG",@progbits,_ZN4vllm25paged_attention_v1_kernelI14__hip_bfloat16hLi96ELi16ELi128ELNS_18Fp8KVCacheDataTypeE1ELb1EEEvPT_PKS3_PKT0_S9_ifPKiSB_iPKfiiiSD_SD_iiiii,comdat
	.protected	_ZN4vllm25paged_attention_v1_kernelI14__hip_bfloat16hLi96ELi16ELi128ELNS_18Fp8KVCacheDataTypeE1ELb1EEEvPT_PKS3_PKT0_S9_ifPKiSB_iPKfiiiSD_SD_iiiii ; -- Begin function _ZN4vllm25paged_attention_v1_kernelI14__hip_bfloat16hLi96ELi16ELi128ELNS_18Fp8KVCacheDataTypeE1ELb1EEEvPT_PKS3_PKT0_S9_ifPKiSB_iPKfiiiSD_SD_iiiii
	.globl	_ZN4vllm25paged_attention_v1_kernelI14__hip_bfloat16hLi96ELi16ELi128ELNS_18Fp8KVCacheDataTypeE1ELb1EEEvPT_PKS3_PKT0_S9_ifPKiSB_iPKfiiiSD_SD_iiiii
	.p2align	8
	.type	_ZN4vllm25paged_attention_v1_kernelI14__hip_bfloat16hLi96ELi16ELi128ELNS_18Fp8KVCacheDataTypeE1ELb1EEEvPT_PKS3_PKT0_S9_ifPKiSB_iPKfiiiSD_SD_iiiii,@function
_ZN4vllm25paged_attention_v1_kernelI14__hip_bfloat16hLi96ELi16ELi128ELNS_18Fp8KVCacheDataTypeE1ELb1EEEvPT_PKS3_PKT0_S9_ifPKiSB_iPKfiiiSD_SD_iiiii: ; @_ZN4vllm25paged_attention_v1_kernelI14__hip_bfloat16hLi96ELi16ELi128ELNS_18Fp8KVCacheDataTypeE1ELb1EEEvPT_PKS3_PKT0_S9_ifPKiSB_iPKfiiiSD_SD_iiiii
; %bb.0:
	s_load_b64 s[26:27], s[0:1], 0x20
	s_bfe_u32 s3, ttmp6, 0x4000c
	s_bfe_u32 s4, ttmp6, 0x40010
	s_and_b32 s6, ttmp7, 0xffff
	s_add_co_i32 s3, s3, 1
	s_add_co_i32 s4, s4, 1
	s_and_b32 s2, ttmp6, 15
	s_bfe_u32 s5, ttmp6, 0x40004
	s_mul_i32 s3, ttmp9, s3
	s_mul_i32 s4, s6, s4
	s_getreg_b32 s30, hwreg(HW_REG_IB_STS2, 6, 4)
	s_add_co_i32 s2, s2, s3
	s_add_co_i32 s3, s5, s4
	s_cmp_eq_u32 s30, 0
	s_clause 0x1
	s_load_b32 s31, s[0:1], 0x80
	s_load_b64 s[4:5], s[0:1], 0x30
	s_cselect_b32 s33, s6, s3
	s_cselect_b32 s2, ttmp9, s2
	s_wait_kmcnt 0x0
	s_abs_i32 s3, s26
	s_delay_alu instid0(SALU_CYCLE_1) | instskip(SKIP_1) | instid1(SALU_CYCLE_2)
	s_cvt_f32_u32 s6, s3
	s_sub_co_i32 s7, 0, s3
	v_rcp_iflag_f32_e32 v1, s6
	s_abs_i32 s8, s31
	v_nop
	s_delay_alu instid0(TRANS32_DEP_1) | instskip(SKIP_1) | instid1(SALU_CYCLE_3)
	v_readfirstlane_b32 s6, v1
	s_mul_f32 s6, s6, 0x4f7ffffe
	s_cvt_u32_f32 s6, s6
	s_delay_alu instid0(SALU_CYCLE_3) | instskip(NEXT) | instid1(SALU_CYCLE_1)
	s_mul_i32 s7, s7, s6
	s_mul_hi_u32 s7, s6, s7
	s_delay_alu instid0(SALU_CYCLE_1) | instskip(SKIP_4) | instid1(SALU_CYCLE_1)
	s_add_co_i32 s6, s6, s7
	s_xor_b32 s7, s31, s26
	s_mul_hi_u32 s6, s8, s6
	s_ashr_i32 s7, s7, 31
	s_mul_i32 s9, s6, s3
	s_sub_co_i32 s8, s8, s9
	s_add_co_i32 s9, s6, 1
	s_sub_co_i32 s10, s8, s3
	s_cmp_ge_u32 s8, s3
	s_cselect_b32 s6, s9, s6
	s_cselect_b32 s8, s10, s8
	s_add_co_i32 s9, s6, 1
	s_cmp_ge_u32 s8, s3
	s_load_b64 s[10:11], s[0:1], 0x40
	s_cselect_b32 s3, s9, s6
	s_mov_b32 s9, 0
	s_xor_b32 s3, s3, s7
	s_abs_i32 s8, s2
	s_sub_co_i32 s12, s3, s7
	s_mov_b32 s7, s9
	s_abs_i32 s19, s12
	s_mov_b32 s36, s9
	s_cvt_f32_u32 s3, s19
	s_sub_co_i32 s6, 0, s19
	s_delay_alu instid0(SALU_CYCLE_2) | instskip(SKIP_1) | instid1(TRANS32_DEP_1)
	v_rcp_iflag_f32_e32 v1, s3
	v_nop
	v_readfirstlane_b32 s3, v1
	s_mul_f32 s3, s3, 0x4f7ffffe
	s_delay_alu instid0(SALU_CYCLE_3) | instskip(NEXT) | instid1(SALU_CYCLE_3)
	s_cvt_u32_f32 s3, s3
	s_mul_i32 s6, s6, s3
	s_delay_alu instid0(SALU_CYCLE_1) | instskip(NEXT) | instid1(SALU_CYCLE_1)
	s_mul_hi_u32 s6, s3, s6
	s_add_co_i32 s6, s3, s6
	s_wait_kmcnt 0x0
	s_cmp_eq_u64 s[10:11], 0
	s_cbranch_scc1 .LBB325_2
; %bb.1:
	s_ashr_i32 s3, s2, 31
	s_delay_alu instid0(SALU_CYCLE_1) | instskip(NEXT) | instid1(SALU_CYCLE_1)
	s_lshl_b64 s[14:15], s[2:3], 2
	s_add_nc_u64 s[10:11], s[10:11], s[14:15]
	s_load_b32 s36, s[10:11], 0x0
.LBB325_2:
	s_load_b32 s34, s[4:5], s33 offset:0x0 scale_offset
	s_load_b96 s[16:18], s[0:1], 0x48
	v_dual_lshrrev_b32 v1, 1, v0 :: v_dual_bitop2_b32 v38, 1, v0 bitop3:0x40
	s_wait_xcnt 0x0
	s_mul_u64 s[4:5], s[8:9], s[6:7]
	s_ashr_i32 s3, s2, 31
	s_ashr_i32 s10, s12, 31
	s_mul_i32 s6, s2, 0x60
	s_mov_b32 s4, exec_lo
	v_cmpx_gt_u32_e32 24, v0
	s_cbranch_execz .LBB325_4
; %bb.3:
	s_load_b64 s[12:13], s[0:1], 0x8
	s_wait_kmcnt 0x0
	s_mul_i32 s14, s16, s33
	s_ashr_i32 s7, s6, 31
	s_ashr_i32 s15, s14, 31
	v_lshlrev_b32_e32 v4, 3, v1
	s_lshl_b64 s[14:15], s[14:15], 1
	s_delay_alu instid0(VALU_DEP_1) | instskip(SKIP_2) | instid1(SALU_CYCLE_1)
	v_mad_u32_u24 v4, 0x60, v38, v4
	s_add_nc_u64 s[12:13], s[12:13], s[14:15]
	s_lshl_b64 s[14:15], s[6:7], 1
	s_add_nc_u64 s[12:13], s[12:13], s[14:15]
	global_load_b64 v[2:3], v0, s[12:13] scale_offset
	s_wait_loadcnt 0x0
	ds_store_b64 v4, v[2:3]
.LBB325_4:
	s_or_b32 exec_lo, exec_lo, s4
	s_load_b128 s[12:15], s[0:1], 0x68
	s_mul_i32 s4, s5, s19
	s_xor_b32 s3, s3, s10
	s_sub_co_i32 s4, s8, s4
	s_add_co_i32 s7, s5, 1
	s_sub_co_i32 s8, s4, s19
	s_cmp_ge_u32 s4, s19
	s_mov_b32 s9, -1
	s_cselect_b32 s5, s7, s5
	s_cselect_b32 s4, s8, s4
	s_add_co_i32 s8, s5, 1
	s_cmp_ge_u32 s4, s19
	s_load_b32 s7, s[0:1], 0x78
	s_cselect_b32 s4, s8, s5
	s_wait_kmcnt 0x0
	s_add_co_i32 s8, s34, -1
	s_xor_b32 s4, s4, s3
	s_wait_dscnt 0x0
	s_sub_co_i32 s3, s4, s3
	s_barrier_signal -1
	s_barrier_wait -1
	s_abs_i32 s16, s15
	s_delay_alu instid0(SALU_CYCLE_1) | instskip(NEXT) | instid1(SALU_CYCLE_3)
	s_cvt_f32_u32 s5, s16
                                        ; implicit-def: $sgpr35
	v_rcp_iflag_f32_e32 v2, s5
	v_nop
	s_delay_alu instid0(TRANS32_DEP_1) | instskip(SKIP_1) | instid1(SALU_CYCLE_3)
	v_readfirstlane_b32 s5, v2
	s_mul_f32 s4, s5, 0x4f7ffffe
	s_cvt_u32_f32 s10, s4
	s_sub_co_i32 s4, 0, s16
	s_delay_alu instid0(SALU_CYCLE_2)
	s_mul_i32 s5, s4, s10
	s_abs_i32 s4, s8
	s_mul_hi_u32 s11, s10, s5
	s_mov_b32 s5, 0
	s_add_co_i32 s20, s10, s11
	s_cmp_lt_i32 s7, 0
	s_mov_b32 s21, s5
	s_cbranch_scc0 .LBB325_6
; %bb.5:
	s_mul_i32 s9, s12, s26
	s_delay_alu instid0(SALU_CYCLE_1) | instskip(NEXT) | instid1(SALU_CYCLE_1)
	s_add_co_i32 s9, s3, s9
	s_mul_i32 s9, s9, s7
	s_delay_alu instid0(SALU_CYCLE_1)
	s_sub_co_i32 s35, 1, s9
	s_mov_b32 s9, s5
.LBB325_6:
	s_ashr_i32 s8, s8, 31
	s_ashr_i32 s15, s15, 31
	s_and_not1_b32 vcc_lo, exec_lo, s9
	s_mul_u64 s[28:29], s[4:5], s[20:21]
	s_cbranch_vccnz .LBB325_8
; %bb.7:
	s_mul_i32 s5, s31, s12
	s_delay_alu instid0(SALU_CYCLE_1) | instskip(NEXT) | instid1(SALU_CYCLE_1)
	s_add_co_i32 s2, s5, s2
	s_mul_i32 s2, s2, s7
	s_delay_alu instid0(SALU_CYCLE_1)
	s_add_co_i32 s35, s2, 1
.LBB325_8:
	s_clause 0x1
	s_load_b32 s2, s[0:1], 0x38
	s_load_b64 s[22:23], s[0:1], 0x28
	s_mul_i32 s7, s29, s16
	s_xor_b32 s5, s8, s15
	s_sub_co_i32 s4, s4, s7
	s_add_co_i32 s12, s29, 1
	s_clause 0x1
	s_load_b32 s7, s[0:1], 0x88
	s_load_b128 s[8:11], s[0:1], 0x58
	v_dual_lshrrev_b32 v39, 5, v0 :: v_dual_lshrrev_b32 v27, 3, v0
	v_mov_b32_e32 v43, 0xff7fffff
	v_mbcnt_lo_u32_b32 v40, -1, 0
	s_mul_i32 s18, s3, s18
	s_delay_alu instid0(VALU_DEP_3)
	v_lshlrev_b32_e32 v26, 4, v39
	s_wait_kmcnt 0x0
	s_mul_i32 s24, s2, s33
	s_sub_co_i32 s2, s4, s16
	s_ashr_i32 s25, s24, 31
	s_cmp_ge_u32 s4, s16
	s_cselect_b32 s12, s12, s29
	s_cselect_b32 s2, s2, s4
	s_add_co_i32 s4, s12, 1
	s_cmp_ge_u32 s2, s16
	s_cselect_b32 s2, s4, s12
	s_add_co_i32 s4, s34, 15
	s_delay_alu instid0(SALU_CYCLE_1) | instskip(NEXT) | instid1(SALU_CYCLE_1)
	s_ashr_i32 s12, s4, 31
	s_lshr_b32 s12, s12, 28
	s_delay_alu instid0(SALU_CYCLE_1) | instskip(NEXT) | instid1(SALU_CYCLE_1)
	s_add_co_i32 s4, s4, s12
	s_ashr_i32 s12, s4, 4
	s_xor_b32 s4, s2, s5
	v_cmp_gt_i32_e64 s2, s12, v39
	s_sub_co_i32 s26, s4, s5
	s_and_saveexec_b32 s37, s2
	s_cbranch_execz .LBB325_404
; %bb.9:
	s_load_b64 s[4:5], s[0:1], 0x10
	s_sub_co_i32 s38, s26, s13
	s_ashr_i32 s19, s18, 31
	s_cmp_neq_f32 s36, 0
	v_bfe_u32 v41, v0, 1, 4
	v_dual_mov_b32 v29, 0 :: v_dual_lshlrev_b32 v30, 4, v39
	s_cselect_b32 vcc_lo, -1, 0
	s_abs_i32 s39, s14
	s_delay_alu instid0(VALU_DEP_2)
	v_dual_lshlrev_b32 v28, 4, v41 :: v_dual_lshlrev_b32 v5, 2, v41
	s_cvt_f32_u32 s28, s39
	v_subrev_nc_u32_e32 v4, s34, v41
	s_lshl_b64 s[40:41], s[24:25], 2
	v_cmp_eq_u32_e64 s3, 0, v38
	v_rcp_iflag_f32_e32 v2, s28
	v_lshl_or_b32 v5, v39, 6, v5
	v_mul_u32_u24_e32 v42, 0x60, v38
	v_dual_mov_b32 v46, 0xff7fffff :: v_dual_mov_b32 v43, 0xff7fffff
	s_wait_kmcnt 0x0
	s_add_nc_u64 s[4:5], s[4:5], s[18:19]
	v_add_nc_u32_e32 v45, 0xe0, v5
	v_readfirstlane_b32 s28, v2
	v_add_nc_u64_e32 v[2:3], s[4:5], v[28:29]
	v_dual_lshlrev_b32 v28, 2, v38 :: v_dual_add_nc_u32 v44, 1, v4
	s_add_nc_u64 s[4:5], s[22:23], s[40:41]
	s_mul_f32 s19, s28, 0x4f7ffffe
	s_sub_co_i32 s28, 0, s39
	v_mov_b32_e32 v47, v39
	s_delay_alu instid0(VALU_DEP_3) | instskip(SKIP_4) | instid1(VALU_DEP_1)
	v_add_nc_u64_e32 v[32:33], v[2:3], v[28:29]
	v_and_b32_e32 v28, 0x7c, v27
	s_cvt_u32_f32 s40, s19
	s_mov_b32 s29, 0
	s_mov_b32 s19, s17
	v_add_nc_u64_e32 v[34:35], s[4:5], v[28:29]
	s_mul_i32 s28, s28, s40
	s_delay_alu instid0(SALU_CYCLE_1) | instskip(NEXT) | instid1(SALU_CYCLE_1)
	s_mul_hi_u32 s28, s40, s28
	s_add_co_i32 s28, s40, s28
	s_mov_b32 s40, s29
	s_branch .LBB325_12
.LBB325_10:                             ;   in Loop: Header=BB325_12 Depth=1
	s_or_b32 exec_lo, exec_lo, s41
.LBB325_11:                             ;   in Loop: Header=BB325_12 Depth=1
	s_delay_alu instid0(SALU_CYCLE_1) | instskip(SKIP_3) | instid1(VALU_DEP_3)
	s_or_b32 exec_lo, exec_lo, s5
	v_dual_add_nc_u32 v47, 4, v47 :: v_dual_add_nc_u32 v30, 64, v30
	v_add_nc_u64_e32 v[34:35], 16, v[34:35]
	v_add_nc_u32_e32 v45, 0x100, v45
	v_cmp_le_i32_e64 s4, s12, v47
	s_or_b32 s40, s4, s40
	s_delay_alu instid0(SALU_CYCLE_1)
	s_and_not1_b32 exec_lo, exec_lo, s40
	s_cbranch_execz .LBB325_403
.LBB325_12:                             ; =>This Inner Loop Header: Depth=1
	v_mov_b32_e32 v31, v29
	s_wait_dscnt 0x0
	s_delay_alu instid0(VALU_DEP_1) | instskip(NEXT) | instid1(VALU_DEP_1)
	v_mul_u64_e32 v[2:3], s[20:21], v[30:31]
	v_mul_lo_u32 v2, v3, s16
	s_delay_alu instid0(VALU_DEP_1) | instskip(NEXT) | instid1(VALU_DEP_1)
	v_sub_nc_u32_e32 v2, v30, v2
	v_subrev_nc_u32_e32 v5, s16, v2
	v_cmp_le_u32_e64 s4, s16, v2
	s_delay_alu instid0(VALU_DEP_1) | instskip(NEXT) | instid1(VALU_DEP_1)
	v_dual_add_nc_u32 v4, 1, v3 :: v_dual_cndmask_b32 v2, v2, v5, s4
	v_cndmask_b32_e64 v3, v3, v4, s4
	s_delay_alu instid0(VALU_DEP_2) | instskip(NEXT) | instid1(VALU_DEP_2)
	v_cmp_le_u32_e64 s4, s16, v2
	v_add_nc_u32_e32 v4, 1, v3
	s_delay_alu instid0(VALU_DEP_1) | instskip(NEXT) | instid1(VALU_DEP_1)
	v_cndmask_b32_e64 v2, v3, v4, s4
	v_xor_b32_e32 v2, s15, v2
	s_delay_alu instid0(VALU_DEP_1) | instskip(NEXT) | instid1(VALU_DEP_1)
	v_subrev_nc_u32_e32 v4, s15, v2
	v_add_nc_u32_e32 v5, s35, v4
	v_cmp_ge_i32_e64 s5, s38, v4
	s_delay_alu instid0(VALU_DEP_2) | instskip(NEXT) | instid1(VALU_DEP_1)
	v_sub_nc_u32_e32 v2, 0, v5
	v_dual_ashrrev_i32 v5, 31, v5 :: v_dual_max_i32 v28, v5, v2
	s_delay_alu instid0(VALU_DEP_1) | instskip(NEXT) | instid1(VALU_DEP_1)
	v_mul_u64_e32 v[2:3], s[28:29], v[28:29]
	v_mul_lo_u32 v2, v3, s39
	s_delay_alu instid0(VALU_DEP_1) | instskip(NEXT) | instid1(VALU_DEP_1)
	v_sub_nc_u32_e32 v2, v28, v2
	v_subrev_nc_u32_e32 v3, s39, v2
	v_cmp_le_u32_e64 s4, s39, v2
	s_delay_alu instid0(VALU_DEP_1) | instskip(NEXT) | instid1(VALU_DEP_1)
	v_cndmask_b32_e64 v2, v2, v3, s4
	v_subrev_nc_u32_e32 v3, s39, v2
	v_cmp_le_u32_e64 s4, s39, v2
	s_delay_alu instid0(VALU_DEP_1) | instskip(NEXT) | instid1(VALU_DEP_1)
	v_cndmask_b32_e64 v2, v2, v3, s4
	v_xor_b32_e32 v2, v2, v5
	s_delay_alu instid0(VALU_DEP_1) | instskip(NEXT) | instid1(VALU_DEP_1)
	v_sub_nc_u32_e32 v2, v2, v5
	v_cmp_ne_u32_e64 s4, 0, v2
	s_and_b32 s4, s4, s5
	s_delay_alu instid0(SALU_CYCLE_1) | instskip(NEXT) | instid1(SALU_CYCLE_1)
	s_and_saveexec_b32 s5, s4
	s_xor_b32 s4, exec_lo, s5
	s_cbranch_execz .LBB325_16
; %bb.13:                               ;   in Loop: Header=BB325_12 Depth=1
	s_and_saveexec_b32 s5, s3
; %bb.14:                               ;   in Loop: Header=BB325_12 Depth=1
	ds_store_b32 v45, v46
; %bb.15:                               ;   in Loop: Header=BB325_12 Depth=1
	s_or_b32 exec_lo, exec_lo, s5
.LBB325_16:                             ;   in Loop: Header=BB325_12 Depth=1
	s_and_not1_saveexec_b32 s5, s4
	s_cbranch_execz .LBB325_11
; %bb.17:                               ;   in Loop: Header=BB325_12 Depth=1
	global_load_b32 v2, v[34:35], off
	v_dual_mov_b32 v48, 0 :: v_dual_mov_b32 v31, 0
	s_mov_b32 s42, exec_lo
	s_wait_loadcnt 0x0
	v_mad_nc_i64_i32 v[36:37], v2, s19, v[32:33]
	global_load_b32 v51, v[36:37], off
	ds_load_b128 v[22:25], v42
	ds_load_b128 v[18:21], v42 offset:16
	ds_load_b128 v[14:17], v42 offset:32
	;; [unrolled: 1-line block ×5, first 2 shown]
	s_load_b32 s41, s[8:9], 0x0
	s_wait_loadcnt 0x0
	v_and_b32_e32 v28, 0xff, v51
	s_delay_alu instid0(VALU_DEP_1)
	v_cmpx_ne_u16_e32 0, v28
	s_cbranch_execz .LBB325_25
; %bb.18:                               ;   in Loop: Header=BB325_12 Depth=1
	v_bfrev_b32_e32 v31, 1
	s_mov_b32 s43, exec_lo
	v_cmpx_ne_u16_e32 0x80, v28
	s_cbranch_execz .LBB325_24
; %bb.19:                               ;   in Loop: Header=BB325_12 Depth=1
	v_and_b32_e32 v49, 0x7f, v51
	v_mov_b32_e32 v31, 0x7f800001
	s_mov_b32 s44, exec_lo
	s_delay_alu instid0(VALU_DEP_2)
	v_cmpx_ne_u32_e32 0x7f, v49
	s_cbranch_execz .LBB325_23
; %bb.20:                               ;   in Loop: Header=BB325_12 Depth=1
	v_dual_lshrrev_b32 v31, 3, v49 :: v_dual_bitop2_b32 v28, 7, v51 bitop3:0x40
	s_mov_b32 s45, exec_lo
	v_cmpx_gt_u32_e32 8, v49
; %bb.21:                               ;   in Loop: Header=BB325_12 Depth=1
	s_delay_alu instid0(VALU_DEP_2) | instskip(NEXT) | instid1(VALU_DEP_1)
	v_clz_i32_u32_e32 v31, v28
	v_min_u32_e32 v31, 32, v31
	s_delay_alu instid0(VALU_DEP_1) | instskip(NEXT) | instid1(VALU_DEP_1)
	v_subrev_nc_u32_e32 v49, 28, v31
	v_lshlrev_b64_e32 v[52:53], v49, v[28:29]
	s_delay_alu instid0(VALU_DEP_1)
	v_dual_sub_nc_u32 v31, 29, v31 :: v_dual_bitop2_b32 v28, 7, v52 bitop3:0x40
; %bb.22:                               ;   in Loop: Header=BB325_12 Depth=1
	s_or_b32 exec_lo, exec_lo, s45
	s_delay_alu instid0(VALU_DEP_1) | instskip(NEXT) | instid1(VALU_DEP_2)
	v_dual_lshlrev_b32 v49, 24, v51 :: v_dual_lshlrev_b32 v28, 20, v28
	v_lshl_add_u32 v31, v31, 23, 0x3c000000
	s_delay_alu instid0(VALU_DEP_2) | instskip(NEXT) | instid1(VALU_DEP_1)
	v_and_b32_e32 v49, 0x80000000, v49
	v_or3_b32 v31, v28, v49, v31
.LBB325_23:                             ;   in Loop: Header=BB325_12 Depth=1
	s_or_b32 exec_lo, exec_lo, s44
.LBB325_24:                             ;   in Loop: Header=BB325_12 Depth=1
	s_delay_alu instid0(SALU_CYCLE_1)
	s_or_b32 exec_lo, exec_lo, s43
.LBB325_25:                             ;   in Loop: Header=BB325_12 Depth=1
	s_delay_alu instid0(SALU_CYCLE_1) | instskip(SKIP_2) | instid1(VALU_DEP_1)
	s_or_b32 exec_lo, exec_lo, s42
	v_lshrrev_b16 v28, 8, v51
	s_mov_b32 s42, exec_lo
	v_cmpx_ne_u16_e32 0, v28
	s_cbranch_execz .LBB325_33
; %bb.26:                               ;   in Loop: Header=BB325_12 Depth=1
	v_bfrev_b32_e32 v48, 1
	s_mov_b32 s43, exec_lo
	v_cmpx_ne_u16_e32 0x80, v28
	s_cbranch_execz .LBB325_32
; %bb.27:                               ;   in Loop: Header=BB325_12 Depth=1
	v_and_b32_e32 v28, 0xffff, v28
	v_mov_b32_e32 v48, 0x7f800001
	s_mov_b32 s44, exec_lo
	s_delay_alu instid0(VALU_DEP_2) | instskip(NEXT) | instid1(VALU_DEP_1)
	v_and_b32_e32 v49, 0x7f, v28
	v_cmpx_ne_u32_e32 0x7f, v49
	s_cbranch_execz .LBB325_31
; %bb.28:                               ;   in Loop: Header=BB325_12 Depth=1
	v_dual_lshrrev_b32 v48, 3, v49 :: v_dual_bitop2_b32 v28, 7, v28 bitop3:0x40
	s_mov_b32 s45, exec_lo
	v_cmpx_gt_u32_e32 8, v49
; %bb.29:                               ;   in Loop: Header=BB325_12 Depth=1
	s_delay_alu instid0(VALU_DEP_2) | instskip(NEXT) | instid1(VALU_DEP_1)
	v_clz_i32_u32_e32 v48, v28
	v_min_u32_e32 v48, 32, v48
	s_delay_alu instid0(VALU_DEP_1) | instskip(SKIP_1) | instid1(VALU_DEP_2)
	v_subrev_nc_u32_e32 v49, 28, v48
	v_sub_nc_u32_e32 v48, 29, v48
	v_lshlrev_b64_e32 v[52:53], v49, v[28:29]
	s_delay_alu instid0(VALU_DEP_1)
	v_and_b32_e32 v28, 7, v52
; %bb.30:                               ;   in Loop: Header=BB325_12 Depth=1
	s_or_b32 exec_lo, exec_lo, s45
	s_delay_alu instid0(VALU_DEP_1) | instskip(SKIP_1) | instid1(VALU_DEP_2)
	v_dual_lshlrev_b32 v49, 16, v51 :: v_dual_lshlrev_b32 v28, 20, v28
	v_lshl_add_u32 v48, v48, 23, 0x3c000000
	v_and_b32_e32 v49, 0x80000000, v49
	s_delay_alu instid0(VALU_DEP_1)
	v_or3_b32 v48, v28, v49, v48
.LBB325_31:                             ;   in Loop: Header=BB325_12 Depth=1
	s_or_b32 exec_lo, exec_lo, s44
.LBB325_32:                             ;   in Loop: Header=BB325_12 Depth=1
	s_delay_alu instid0(SALU_CYCLE_1)
	s_or_b32 exec_lo, exec_lo, s43
.LBB325_33:                             ;   in Loop: Header=BB325_12 Depth=1
	s_delay_alu instid0(SALU_CYCLE_1) | instskip(SKIP_3) | instid1(VALU_DEP_2)
	s_or_b32 exec_lo, exec_lo, s42
	v_dual_mov_b32 v49, 0 :: v_dual_lshrrev_b32 v52, 16, v51
	v_mov_b32_e32 v50, 0
	s_mov_b32 s42, exec_lo
	v_and_b32_e32 v28, 0xff, v52
	s_delay_alu instid0(VALU_DEP_1)
	v_cmpx_ne_u16_e32 0, v28
	s_cbranch_execz .LBB325_41
; %bb.34:                               ;   in Loop: Header=BB325_12 Depth=1
	v_bfrev_b32_e32 v50, 1
	s_mov_b32 s43, exec_lo
	v_cmpx_ne_u16_e32 0x80, v28
	s_cbranch_execz .LBB325_40
; %bb.35:                               ;   in Loop: Header=BB325_12 Depth=1
	v_bfe_u32 v53, v51, 16, 7
	v_mov_b32_e32 v50, 0x7f800001
	s_mov_b32 s44, exec_lo
	s_delay_alu instid0(VALU_DEP_2)
	v_cmpx_ne_u32_e32 0x7f, v53
	s_cbranch_execz .LBB325_39
; %bb.36:                               ;   in Loop: Header=BB325_12 Depth=1
	v_dual_lshrrev_b32 v50, 3, v53 :: v_dual_bitop2_b32 v28, 7, v52 bitop3:0x40
	s_mov_b32 s45, exec_lo
	v_cmpx_gt_u32_e32 8, v53
; %bb.37:                               ;   in Loop: Header=BB325_12 Depth=1
	s_delay_alu instid0(VALU_DEP_2) | instskip(NEXT) | instid1(VALU_DEP_1)
	v_clz_i32_u32_e32 v50, v28
	v_min_u32_e32 v50, 32, v50
	s_delay_alu instid0(VALU_DEP_1) | instskip(SKIP_1) | instid1(VALU_DEP_2)
	v_subrev_nc_u32_e32 v53, 28, v50
	v_sub_nc_u32_e32 v50, 29, v50
	v_lshlrev_b64_e32 v[54:55], v53, v[28:29]
	s_delay_alu instid0(VALU_DEP_1)
	v_and_b32_e32 v28, 7, v54
; %bb.38:                               ;   in Loop: Header=BB325_12 Depth=1
	s_or_b32 exec_lo, exec_lo, s45
	v_lshlrev_b32_e32 v52, 24, v52
	s_delay_alu instid0(VALU_DEP_2) | instskip(SKIP_1) | instid1(VALU_DEP_3)
	v_lshlrev_b32_e32 v28, 20, v28
	v_lshl_add_u32 v50, v50, 23, 0x3c000000
	v_and_b32_e32 v52, 0x80000000, v52
	s_delay_alu instid0(VALU_DEP_1)
	v_or3_b32 v50, v28, v52, v50
.LBB325_39:                             ;   in Loop: Header=BB325_12 Depth=1
	s_or_b32 exec_lo, exec_lo, s44
.LBB325_40:                             ;   in Loop: Header=BB325_12 Depth=1
	s_delay_alu instid0(SALU_CYCLE_1)
	s_or_b32 exec_lo, exec_lo, s43
.LBB325_41:                             ;   in Loop: Header=BB325_12 Depth=1
	s_delay_alu instid0(SALU_CYCLE_1) | instskip(NEXT) | instid1(SALU_CYCLE_1)
	s_or_b32 exec_lo, exec_lo, s42
	s_mov_b32 s42, exec_lo
	v_cmpx_lt_u32_e32 0xffffff, v51
	s_cbranch_execz .LBB325_49
; %bb.42:                               ;   in Loop: Header=BB325_12 Depth=1
	v_lshrrev_b32_e32 v52, 24, v51
	v_bfrev_b32_e32 v49, 1
	s_mov_b32 s43, exec_lo
	s_delay_alu instid0(VALU_DEP_2)
	v_cmpx_ne_u32_e32 0x80, v52
	s_cbranch_execz .LBB325_48
; %bb.43:                               ;   in Loop: Header=BB325_12 Depth=1
	v_bfe_u32 v51, v51, 24, 7
	v_mov_b32_e32 v49, 0x7f800001
	s_mov_b32 s44, exec_lo
	s_delay_alu instid0(VALU_DEP_2)
	v_cmpx_ne_u32_e32 0x7f, v51
	s_cbranch_execz .LBB325_47
; %bb.44:                               ;   in Loop: Header=BB325_12 Depth=1
	v_dual_lshrrev_b32 v49, 3, v51 :: v_dual_bitop2_b32 v28, 7, v52 bitop3:0x40
	s_mov_b32 s45, exec_lo
	v_cmpx_gt_u32_e32 8, v51
; %bb.45:                               ;   in Loop: Header=BB325_12 Depth=1
	s_delay_alu instid0(VALU_DEP_2) | instskip(NEXT) | instid1(VALU_DEP_1)
	v_clz_i32_u32_e32 v49, v28
	v_min_u32_e32 v49, 32, v49
	s_delay_alu instid0(VALU_DEP_1) | instskip(NEXT) | instid1(VALU_DEP_1)
	v_subrev_nc_u32_e32 v51, 28, v49
	v_lshlrev_b64_e32 v[54:55], v51, v[28:29]
	s_delay_alu instid0(VALU_DEP_1)
	v_dual_sub_nc_u32 v49, 29, v49 :: v_dual_bitop2_b32 v28, 7, v54 bitop3:0x40
; %bb.46:                               ;   in Loop: Header=BB325_12 Depth=1
	s_or_b32 exec_lo, exec_lo, s45
	v_lshlrev_b32_e32 v51, 24, v52
	s_delay_alu instid0(VALU_DEP_2) | instskip(NEXT) | instid1(VALU_DEP_3)
	v_lshlrev_b32_e32 v28, 20, v28
	v_lshl_add_u32 v49, v49, 23, 0x3c000000
	s_delay_alu instid0(VALU_DEP_3) | instskip(NEXT) | instid1(VALU_DEP_1)
	v_and_b32_e32 v51, 0x80000000, v51
	v_or3_b32 v49, v28, v51, v49
.LBB325_47:                             ;   in Loop: Header=BB325_12 Depth=1
	s_or_b32 exec_lo, exec_lo, s44
.LBB325_48:                             ;   in Loop: Header=BB325_12 Depth=1
	s_delay_alu instid0(SALU_CYCLE_1)
	s_or_b32 exec_lo, exec_lo, s43
.LBB325_49:                             ;   in Loop: Header=BB325_12 Depth=1
	s_delay_alu instid0(SALU_CYCLE_1)
	s_or_b32 exec_lo, exec_lo, s42
	global_load_b32 v55, v[36:37], off offset:8
	v_dual_mov_b32 v52, 0 :: v_dual_mov_b32 v51, 0
	s_mov_b32 s42, exec_lo
	s_wait_loadcnt 0x0
	v_and_b32_e32 v28, 0xff, v55
	s_delay_alu instid0(VALU_DEP_1)
	v_cmpx_ne_u16_e32 0, v28
	s_cbranch_execz .LBB325_57
; %bb.50:                               ;   in Loop: Header=BB325_12 Depth=1
	v_bfrev_b32_e32 v51, 1
	s_mov_b32 s43, exec_lo
	v_cmpx_ne_u16_e32 0x80, v28
	s_cbranch_execz .LBB325_56
; %bb.51:                               ;   in Loop: Header=BB325_12 Depth=1
	v_and_b32_e32 v53, 0x7f, v55
	v_mov_b32_e32 v51, 0x7f800001
	s_mov_b32 s44, exec_lo
	s_delay_alu instid0(VALU_DEP_2)
	v_cmpx_ne_u32_e32 0x7f, v53
	s_cbranch_execz .LBB325_55
; %bb.52:                               ;   in Loop: Header=BB325_12 Depth=1
	v_dual_lshrrev_b32 v51, 3, v53 :: v_dual_bitop2_b32 v28, 7, v55 bitop3:0x40
	s_mov_b32 s45, exec_lo
	v_cmpx_gt_u32_e32 8, v53
; %bb.53:                               ;   in Loop: Header=BB325_12 Depth=1
	s_delay_alu instid0(VALU_DEP_2) | instskip(NEXT) | instid1(VALU_DEP_1)
	v_clz_i32_u32_e32 v51, v28
	v_min_u32_e32 v51, 32, v51
	s_delay_alu instid0(VALU_DEP_1) | instskip(NEXT) | instid1(VALU_DEP_1)
	v_subrev_nc_u32_e32 v53, 28, v51
	v_lshlrev_b64_e32 v[56:57], v53, v[28:29]
	s_delay_alu instid0(VALU_DEP_1)
	v_dual_sub_nc_u32 v51, 29, v51 :: v_dual_bitop2_b32 v28, 7, v56 bitop3:0x40
; %bb.54:                               ;   in Loop: Header=BB325_12 Depth=1
	s_or_b32 exec_lo, exec_lo, s45
	s_delay_alu instid0(VALU_DEP_1) | instskip(NEXT) | instid1(VALU_DEP_2)
	v_dual_lshlrev_b32 v53, 24, v55 :: v_dual_lshlrev_b32 v28, 20, v28
	v_lshl_add_u32 v51, v51, 23, 0x3c000000
	s_delay_alu instid0(VALU_DEP_2) | instskip(NEXT) | instid1(VALU_DEP_1)
	v_and_b32_e32 v53, 0x80000000, v53
	v_or3_b32 v51, v28, v53, v51
.LBB325_55:                             ;   in Loop: Header=BB325_12 Depth=1
	s_or_b32 exec_lo, exec_lo, s44
.LBB325_56:                             ;   in Loop: Header=BB325_12 Depth=1
	s_delay_alu instid0(SALU_CYCLE_1)
	s_or_b32 exec_lo, exec_lo, s43
.LBB325_57:                             ;   in Loop: Header=BB325_12 Depth=1
	s_delay_alu instid0(SALU_CYCLE_1) | instskip(SKIP_2) | instid1(VALU_DEP_1)
	s_or_b32 exec_lo, exec_lo, s42
	v_lshrrev_b16 v28, 8, v55
	s_mov_b32 s42, exec_lo
	v_cmpx_ne_u16_e32 0, v28
	s_cbranch_execz .LBB325_65
; %bb.58:                               ;   in Loop: Header=BB325_12 Depth=1
	v_bfrev_b32_e32 v52, 1
	s_mov_b32 s43, exec_lo
	v_cmpx_ne_u16_e32 0x80, v28
	s_cbranch_execz .LBB325_64
; %bb.59:                               ;   in Loop: Header=BB325_12 Depth=1
	v_and_b32_e32 v28, 0xffff, v28
	v_mov_b32_e32 v52, 0x7f800001
	s_mov_b32 s44, exec_lo
	s_delay_alu instid0(VALU_DEP_2) | instskip(NEXT) | instid1(VALU_DEP_1)
	v_and_b32_e32 v53, 0x7f, v28
	v_cmpx_ne_u32_e32 0x7f, v53
	s_cbranch_execz .LBB325_63
; %bb.60:                               ;   in Loop: Header=BB325_12 Depth=1
	v_dual_lshrrev_b32 v52, 3, v53 :: v_dual_bitop2_b32 v28, 7, v28 bitop3:0x40
	s_mov_b32 s45, exec_lo
	v_cmpx_gt_u32_e32 8, v53
; %bb.61:                               ;   in Loop: Header=BB325_12 Depth=1
	s_delay_alu instid0(VALU_DEP_2) | instskip(NEXT) | instid1(VALU_DEP_1)
	v_clz_i32_u32_e32 v52, v28
	v_min_u32_e32 v52, 32, v52
	s_delay_alu instid0(VALU_DEP_1) | instskip(SKIP_1) | instid1(VALU_DEP_2)
	v_subrev_nc_u32_e32 v53, 28, v52
	v_sub_nc_u32_e32 v52, 29, v52
	v_lshlrev_b64_e32 v[56:57], v53, v[28:29]
	s_delay_alu instid0(VALU_DEP_1)
	v_and_b32_e32 v28, 7, v56
; %bb.62:                               ;   in Loop: Header=BB325_12 Depth=1
	s_or_b32 exec_lo, exec_lo, s45
	s_delay_alu instid0(VALU_DEP_1) | instskip(SKIP_1) | instid1(VALU_DEP_2)
	v_dual_lshlrev_b32 v53, 16, v55 :: v_dual_lshlrev_b32 v28, 20, v28
	v_lshl_add_u32 v52, v52, 23, 0x3c000000
	v_and_b32_e32 v53, 0x80000000, v53
	s_delay_alu instid0(VALU_DEP_1)
	v_or3_b32 v52, v28, v53, v52
.LBB325_63:                             ;   in Loop: Header=BB325_12 Depth=1
	s_or_b32 exec_lo, exec_lo, s44
.LBB325_64:                             ;   in Loop: Header=BB325_12 Depth=1
	s_delay_alu instid0(SALU_CYCLE_1)
	s_or_b32 exec_lo, exec_lo, s43
.LBB325_65:                             ;   in Loop: Header=BB325_12 Depth=1
	s_delay_alu instid0(SALU_CYCLE_1) | instskip(SKIP_3) | instid1(VALU_DEP_2)
	s_or_b32 exec_lo, exec_lo, s42
	v_dual_mov_b32 v53, 0 :: v_dual_lshrrev_b32 v56, 16, v55
	v_mov_b32_e32 v54, 0
	s_mov_b32 s42, exec_lo
	v_and_b32_e32 v28, 0xff, v56
	s_delay_alu instid0(VALU_DEP_1)
	v_cmpx_ne_u16_e32 0, v28
	s_cbranch_execz .LBB325_73
; %bb.66:                               ;   in Loop: Header=BB325_12 Depth=1
	v_bfrev_b32_e32 v54, 1
	s_mov_b32 s43, exec_lo
	v_cmpx_ne_u16_e32 0x80, v28
	s_cbranch_execz .LBB325_72
; %bb.67:                               ;   in Loop: Header=BB325_12 Depth=1
	v_bfe_u32 v57, v55, 16, 7
	v_mov_b32_e32 v54, 0x7f800001
	s_mov_b32 s44, exec_lo
	s_delay_alu instid0(VALU_DEP_2)
	v_cmpx_ne_u32_e32 0x7f, v57
	s_cbranch_execz .LBB325_71
; %bb.68:                               ;   in Loop: Header=BB325_12 Depth=1
	v_dual_lshrrev_b32 v54, 3, v57 :: v_dual_bitop2_b32 v28, 7, v56 bitop3:0x40
	s_mov_b32 s45, exec_lo
	v_cmpx_gt_u32_e32 8, v57
; %bb.69:                               ;   in Loop: Header=BB325_12 Depth=1
	s_delay_alu instid0(VALU_DEP_2) | instskip(NEXT) | instid1(VALU_DEP_1)
	v_clz_i32_u32_e32 v54, v28
	v_min_u32_e32 v54, 32, v54
	s_delay_alu instid0(VALU_DEP_1) | instskip(SKIP_1) | instid1(VALU_DEP_2)
	v_subrev_nc_u32_e32 v57, 28, v54
	v_sub_nc_u32_e32 v54, 29, v54
	v_lshlrev_b64_e32 v[58:59], v57, v[28:29]
	s_delay_alu instid0(VALU_DEP_1)
	v_and_b32_e32 v28, 7, v58
; %bb.70:                               ;   in Loop: Header=BB325_12 Depth=1
	s_or_b32 exec_lo, exec_lo, s45
	v_lshlrev_b32_e32 v56, 24, v56
	s_delay_alu instid0(VALU_DEP_2) | instskip(SKIP_1) | instid1(VALU_DEP_3)
	v_lshlrev_b32_e32 v28, 20, v28
	v_lshl_add_u32 v54, v54, 23, 0x3c000000
	v_and_b32_e32 v56, 0x80000000, v56
	s_delay_alu instid0(VALU_DEP_1)
	v_or3_b32 v54, v28, v56, v54
.LBB325_71:                             ;   in Loop: Header=BB325_12 Depth=1
	s_or_b32 exec_lo, exec_lo, s44
.LBB325_72:                             ;   in Loop: Header=BB325_12 Depth=1
	s_delay_alu instid0(SALU_CYCLE_1)
	s_or_b32 exec_lo, exec_lo, s43
.LBB325_73:                             ;   in Loop: Header=BB325_12 Depth=1
	s_delay_alu instid0(SALU_CYCLE_1) | instskip(NEXT) | instid1(SALU_CYCLE_1)
	s_or_b32 exec_lo, exec_lo, s42
	s_mov_b32 s42, exec_lo
	v_cmpx_lt_u32_e32 0xffffff, v55
	s_cbranch_execz .LBB325_81
; %bb.74:                               ;   in Loop: Header=BB325_12 Depth=1
	v_lshrrev_b32_e32 v56, 24, v55
	v_bfrev_b32_e32 v53, 1
	s_mov_b32 s43, exec_lo
	s_delay_alu instid0(VALU_DEP_2)
	v_cmpx_ne_u32_e32 0x80, v56
	s_cbranch_execz .LBB325_80
; %bb.75:                               ;   in Loop: Header=BB325_12 Depth=1
	v_bfe_u32 v55, v55, 24, 7
	v_mov_b32_e32 v53, 0x7f800001
	s_mov_b32 s44, exec_lo
	s_delay_alu instid0(VALU_DEP_2)
	v_cmpx_ne_u32_e32 0x7f, v55
	s_cbranch_execz .LBB325_79
; %bb.76:                               ;   in Loop: Header=BB325_12 Depth=1
	v_dual_lshrrev_b32 v53, 3, v55 :: v_dual_bitop2_b32 v28, 7, v56 bitop3:0x40
	s_mov_b32 s45, exec_lo
	v_cmpx_gt_u32_e32 8, v55
; %bb.77:                               ;   in Loop: Header=BB325_12 Depth=1
	s_delay_alu instid0(VALU_DEP_2) | instskip(NEXT) | instid1(VALU_DEP_1)
	v_clz_i32_u32_e32 v53, v28
	v_min_u32_e32 v53, 32, v53
	s_delay_alu instid0(VALU_DEP_1) | instskip(NEXT) | instid1(VALU_DEP_1)
	v_subrev_nc_u32_e32 v55, 28, v53
	v_lshlrev_b64_e32 v[58:59], v55, v[28:29]
	s_delay_alu instid0(VALU_DEP_1)
	v_dual_sub_nc_u32 v53, 29, v53 :: v_dual_bitop2_b32 v28, 7, v58 bitop3:0x40
; %bb.78:                               ;   in Loop: Header=BB325_12 Depth=1
	s_or_b32 exec_lo, exec_lo, s45
	v_lshlrev_b32_e32 v55, 24, v56
	s_delay_alu instid0(VALU_DEP_2) | instskip(NEXT) | instid1(VALU_DEP_3)
	v_lshlrev_b32_e32 v28, 20, v28
	v_lshl_add_u32 v53, v53, 23, 0x3c000000
	s_delay_alu instid0(VALU_DEP_3) | instskip(NEXT) | instid1(VALU_DEP_1)
	v_and_b32_e32 v55, 0x80000000, v55
	v_or3_b32 v53, v28, v55, v53
.LBB325_79:                             ;   in Loop: Header=BB325_12 Depth=1
	s_or_b32 exec_lo, exec_lo, s44
.LBB325_80:                             ;   in Loop: Header=BB325_12 Depth=1
	s_delay_alu instid0(SALU_CYCLE_1)
	s_or_b32 exec_lo, exec_lo, s43
.LBB325_81:                             ;   in Loop: Header=BB325_12 Depth=1
	s_delay_alu instid0(SALU_CYCLE_1)
	s_or_b32 exec_lo, exec_lo, s42
	global_load_b32 v59, v[36:37], off offset:256
	v_dual_mov_b32 v56, 0 :: v_dual_mov_b32 v55, 0
	s_mov_b32 s42, exec_lo
	s_wait_loadcnt 0x0
	v_and_b32_e32 v28, 0xff, v59
	s_delay_alu instid0(VALU_DEP_1)
	v_cmpx_ne_u16_e32 0, v28
	s_cbranch_execz .LBB325_89
; %bb.82:                               ;   in Loop: Header=BB325_12 Depth=1
	v_bfrev_b32_e32 v55, 1
	s_mov_b32 s43, exec_lo
	v_cmpx_ne_u16_e32 0x80, v28
	s_cbranch_execz .LBB325_88
; %bb.83:                               ;   in Loop: Header=BB325_12 Depth=1
	v_and_b32_e32 v57, 0x7f, v59
	v_mov_b32_e32 v55, 0x7f800001
	s_mov_b32 s44, exec_lo
	s_delay_alu instid0(VALU_DEP_2)
	v_cmpx_ne_u32_e32 0x7f, v57
	s_cbranch_execz .LBB325_87
; %bb.84:                               ;   in Loop: Header=BB325_12 Depth=1
	v_dual_lshrrev_b32 v55, 3, v57 :: v_dual_bitop2_b32 v28, 7, v59 bitop3:0x40
	s_mov_b32 s45, exec_lo
	v_cmpx_gt_u32_e32 8, v57
; %bb.85:                               ;   in Loop: Header=BB325_12 Depth=1
	s_delay_alu instid0(VALU_DEP_2) | instskip(NEXT) | instid1(VALU_DEP_1)
	v_clz_i32_u32_e32 v55, v28
	v_min_u32_e32 v55, 32, v55
	s_delay_alu instid0(VALU_DEP_1) | instskip(NEXT) | instid1(VALU_DEP_1)
	v_subrev_nc_u32_e32 v57, 28, v55
	v_lshlrev_b64_e32 v[60:61], v57, v[28:29]
	s_delay_alu instid0(VALU_DEP_1)
	v_dual_sub_nc_u32 v55, 29, v55 :: v_dual_bitop2_b32 v28, 7, v60 bitop3:0x40
; %bb.86:                               ;   in Loop: Header=BB325_12 Depth=1
	s_or_b32 exec_lo, exec_lo, s45
	s_delay_alu instid0(VALU_DEP_1) | instskip(NEXT) | instid1(VALU_DEP_2)
	v_dual_lshlrev_b32 v57, 24, v59 :: v_dual_lshlrev_b32 v28, 20, v28
	v_lshl_add_u32 v55, v55, 23, 0x3c000000
	s_delay_alu instid0(VALU_DEP_2) | instskip(NEXT) | instid1(VALU_DEP_1)
	v_and_b32_e32 v57, 0x80000000, v57
	v_or3_b32 v55, v28, v57, v55
.LBB325_87:                             ;   in Loop: Header=BB325_12 Depth=1
	s_or_b32 exec_lo, exec_lo, s44
.LBB325_88:                             ;   in Loop: Header=BB325_12 Depth=1
	s_delay_alu instid0(SALU_CYCLE_1)
	s_or_b32 exec_lo, exec_lo, s43
.LBB325_89:                             ;   in Loop: Header=BB325_12 Depth=1
	s_delay_alu instid0(SALU_CYCLE_1) | instskip(SKIP_2) | instid1(VALU_DEP_1)
	s_or_b32 exec_lo, exec_lo, s42
	v_lshrrev_b16 v28, 8, v59
	s_mov_b32 s42, exec_lo
	v_cmpx_ne_u16_e32 0, v28
	s_cbranch_execz .LBB325_97
; %bb.90:                               ;   in Loop: Header=BB325_12 Depth=1
	v_bfrev_b32_e32 v56, 1
	s_mov_b32 s43, exec_lo
	v_cmpx_ne_u16_e32 0x80, v28
	s_cbranch_execz .LBB325_96
; %bb.91:                               ;   in Loop: Header=BB325_12 Depth=1
	v_and_b32_e32 v28, 0xffff, v28
	v_mov_b32_e32 v56, 0x7f800001
	s_mov_b32 s44, exec_lo
	s_delay_alu instid0(VALU_DEP_2) | instskip(NEXT) | instid1(VALU_DEP_1)
	v_and_b32_e32 v57, 0x7f, v28
	v_cmpx_ne_u32_e32 0x7f, v57
	s_cbranch_execz .LBB325_95
; %bb.92:                               ;   in Loop: Header=BB325_12 Depth=1
	v_dual_lshrrev_b32 v56, 3, v57 :: v_dual_bitop2_b32 v28, 7, v28 bitop3:0x40
	s_mov_b32 s45, exec_lo
	v_cmpx_gt_u32_e32 8, v57
; %bb.93:                               ;   in Loop: Header=BB325_12 Depth=1
	s_delay_alu instid0(VALU_DEP_2) | instskip(NEXT) | instid1(VALU_DEP_1)
	v_clz_i32_u32_e32 v56, v28
	v_min_u32_e32 v56, 32, v56
	s_delay_alu instid0(VALU_DEP_1) | instskip(SKIP_1) | instid1(VALU_DEP_2)
	v_subrev_nc_u32_e32 v57, 28, v56
	v_sub_nc_u32_e32 v56, 29, v56
	v_lshlrev_b64_e32 v[60:61], v57, v[28:29]
	s_delay_alu instid0(VALU_DEP_1)
	v_and_b32_e32 v28, 7, v60
; %bb.94:                               ;   in Loop: Header=BB325_12 Depth=1
	s_or_b32 exec_lo, exec_lo, s45
	s_delay_alu instid0(VALU_DEP_1) | instskip(SKIP_1) | instid1(VALU_DEP_2)
	v_dual_lshlrev_b32 v57, 16, v59 :: v_dual_lshlrev_b32 v28, 20, v28
	v_lshl_add_u32 v56, v56, 23, 0x3c000000
	v_and_b32_e32 v57, 0x80000000, v57
	s_delay_alu instid0(VALU_DEP_1)
	v_or3_b32 v56, v28, v57, v56
.LBB325_95:                             ;   in Loop: Header=BB325_12 Depth=1
	s_or_b32 exec_lo, exec_lo, s44
.LBB325_96:                             ;   in Loop: Header=BB325_12 Depth=1
	s_delay_alu instid0(SALU_CYCLE_1)
	s_or_b32 exec_lo, exec_lo, s43
.LBB325_97:                             ;   in Loop: Header=BB325_12 Depth=1
	s_delay_alu instid0(SALU_CYCLE_1) | instskip(SKIP_3) | instid1(VALU_DEP_2)
	s_or_b32 exec_lo, exec_lo, s42
	v_dual_mov_b32 v57, 0 :: v_dual_lshrrev_b32 v60, 16, v59
	v_mov_b32_e32 v58, 0
	s_mov_b32 s42, exec_lo
	v_and_b32_e32 v28, 0xff, v60
	s_delay_alu instid0(VALU_DEP_1)
	v_cmpx_ne_u16_e32 0, v28
	s_cbranch_execz .LBB325_105
; %bb.98:                               ;   in Loop: Header=BB325_12 Depth=1
	v_bfrev_b32_e32 v58, 1
	s_mov_b32 s43, exec_lo
	v_cmpx_ne_u16_e32 0x80, v28
	s_cbranch_execz .LBB325_104
; %bb.99:                               ;   in Loop: Header=BB325_12 Depth=1
	v_bfe_u32 v61, v59, 16, 7
	v_mov_b32_e32 v58, 0x7f800001
	s_mov_b32 s44, exec_lo
	s_delay_alu instid0(VALU_DEP_2)
	v_cmpx_ne_u32_e32 0x7f, v61
	s_cbranch_execz .LBB325_103
; %bb.100:                              ;   in Loop: Header=BB325_12 Depth=1
	v_dual_lshrrev_b32 v58, 3, v61 :: v_dual_bitop2_b32 v28, 7, v60 bitop3:0x40
	s_mov_b32 s45, exec_lo
	v_cmpx_gt_u32_e32 8, v61
; %bb.101:                              ;   in Loop: Header=BB325_12 Depth=1
	s_delay_alu instid0(VALU_DEP_2) | instskip(NEXT) | instid1(VALU_DEP_1)
	v_clz_i32_u32_e32 v58, v28
	v_min_u32_e32 v58, 32, v58
	s_delay_alu instid0(VALU_DEP_1) | instskip(SKIP_1) | instid1(VALU_DEP_2)
	v_subrev_nc_u32_e32 v61, 28, v58
	v_sub_nc_u32_e32 v58, 29, v58
	v_lshlrev_b64_e32 v[62:63], v61, v[28:29]
	s_delay_alu instid0(VALU_DEP_1)
	v_and_b32_e32 v28, 7, v62
; %bb.102:                              ;   in Loop: Header=BB325_12 Depth=1
	s_or_b32 exec_lo, exec_lo, s45
	v_lshlrev_b32_e32 v60, 24, v60
	s_delay_alu instid0(VALU_DEP_2) | instskip(SKIP_1) | instid1(VALU_DEP_3)
	v_lshlrev_b32_e32 v28, 20, v28
	v_lshl_add_u32 v58, v58, 23, 0x3c000000
	v_and_b32_e32 v60, 0x80000000, v60
	s_delay_alu instid0(VALU_DEP_1)
	v_or3_b32 v58, v28, v60, v58
.LBB325_103:                            ;   in Loop: Header=BB325_12 Depth=1
	s_or_b32 exec_lo, exec_lo, s44
.LBB325_104:                            ;   in Loop: Header=BB325_12 Depth=1
	s_delay_alu instid0(SALU_CYCLE_1)
	s_or_b32 exec_lo, exec_lo, s43
.LBB325_105:                            ;   in Loop: Header=BB325_12 Depth=1
	s_delay_alu instid0(SALU_CYCLE_1) | instskip(NEXT) | instid1(SALU_CYCLE_1)
	s_or_b32 exec_lo, exec_lo, s42
	s_mov_b32 s42, exec_lo
	v_cmpx_lt_u32_e32 0xffffff, v59
	s_cbranch_execz .LBB325_113
; %bb.106:                              ;   in Loop: Header=BB325_12 Depth=1
	v_lshrrev_b32_e32 v60, 24, v59
	v_bfrev_b32_e32 v57, 1
	s_mov_b32 s43, exec_lo
	s_delay_alu instid0(VALU_DEP_2)
	v_cmpx_ne_u32_e32 0x80, v60
	s_cbranch_execz .LBB325_112
; %bb.107:                              ;   in Loop: Header=BB325_12 Depth=1
	v_bfe_u32 v59, v59, 24, 7
	v_mov_b32_e32 v57, 0x7f800001
	s_mov_b32 s44, exec_lo
	s_delay_alu instid0(VALU_DEP_2)
	v_cmpx_ne_u32_e32 0x7f, v59
	s_cbranch_execz .LBB325_111
; %bb.108:                              ;   in Loop: Header=BB325_12 Depth=1
	v_dual_lshrrev_b32 v57, 3, v59 :: v_dual_bitop2_b32 v28, 7, v60 bitop3:0x40
	s_mov_b32 s45, exec_lo
	v_cmpx_gt_u32_e32 8, v59
; %bb.109:                              ;   in Loop: Header=BB325_12 Depth=1
	s_delay_alu instid0(VALU_DEP_2) | instskip(NEXT) | instid1(VALU_DEP_1)
	v_clz_i32_u32_e32 v57, v28
	v_min_u32_e32 v57, 32, v57
	s_delay_alu instid0(VALU_DEP_1) | instskip(NEXT) | instid1(VALU_DEP_1)
	v_subrev_nc_u32_e32 v59, 28, v57
	v_lshlrev_b64_e32 v[62:63], v59, v[28:29]
	s_delay_alu instid0(VALU_DEP_1)
	v_dual_sub_nc_u32 v57, 29, v57 :: v_dual_bitop2_b32 v28, 7, v62 bitop3:0x40
; %bb.110:                              ;   in Loop: Header=BB325_12 Depth=1
	s_or_b32 exec_lo, exec_lo, s45
	v_lshlrev_b32_e32 v59, 24, v60
	s_delay_alu instid0(VALU_DEP_2) | instskip(NEXT) | instid1(VALU_DEP_3)
	v_lshlrev_b32_e32 v28, 20, v28
	v_lshl_add_u32 v57, v57, 23, 0x3c000000
	s_delay_alu instid0(VALU_DEP_3) | instskip(NEXT) | instid1(VALU_DEP_1)
	v_and_b32_e32 v59, 0x80000000, v59
	v_or3_b32 v57, v28, v59, v57
.LBB325_111:                            ;   in Loop: Header=BB325_12 Depth=1
	s_or_b32 exec_lo, exec_lo, s44
.LBB325_112:                            ;   in Loop: Header=BB325_12 Depth=1
	s_delay_alu instid0(SALU_CYCLE_1)
	s_or_b32 exec_lo, exec_lo, s43
.LBB325_113:                            ;   in Loop: Header=BB325_12 Depth=1
	s_delay_alu instid0(SALU_CYCLE_1)
	s_or_b32 exec_lo, exec_lo, s42
	global_load_b32 v63, v[36:37], off offset:264
	v_dual_mov_b32 v60, 0 :: v_dual_mov_b32 v59, 0
	s_mov_b32 s42, exec_lo
	s_wait_loadcnt 0x0
	v_and_b32_e32 v28, 0xff, v63
	s_delay_alu instid0(VALU_DEP_1)
	v_cmpx_ne_u16_e32 0, v28
	s_cbranch_execz .LBB325_121
; %bb.114:                              ;   in Loop: Header=BB325_12 Depth=1
	v_bfrev_b32_e32 v59, 1
	s_mov_b32 s43, exec_lo
	v_cmpx_ne_u16_e32 0x80, v28
	s_cbranch_execz .LBB325_120
; %bb.115:                              ;   in Loop: Header=BB325_12 Depth=1
	v_and_b32_e32 v61, 0x7f, v63
	v_mov_b32_e32 v59, 0x7f800001
	s_mov_b32 s44, exec_lo
	s_delay_alu instid0(VALU_DEP_2)
	v_cmpx_ne_u32_e32 0x7f, v61
	s_cbranch_execz .LBB325_119
; %bb.116:                              ;   in Loop: Header=BB325_12 Depth=1
	v_dual_lshrrev_b32 v59, 3, v61 :: v_dual_bitop2_b32 v28, 7, v63 bitop3:0x40
	s_mov_b32 s45, exec_lo
	v_cmpx_gt_u32_e32 8, v61
; %bb.117:                              ;   in Loop: Header=BB325_12 Depth=1
	s_delay_alu instid0(VALU_DEP_2) | instskip(NEXT) | instid1(VALU_DEP_1)
	v_clz_i32_u32_e32 v59, v28
	v_min_u32_e32 v59, 32, v59
	s_delay_alu instid0(VALU_DEP_1) | instskip(NEXT) | instid1(VALU_DEP_1)
	v_subrev_nc_u32_e32 v61, 28, v59
	v_lshlrev_b64_e32 v[64:65], v61, v[28:29]
	s_delay_alu instid0(VALU_DEP_1)
	v_dual_sub_nc_u32 v59, 29, v59 :: v_dual_bitop2_b32 v28, 7, v64 bitop3:0x40
; %bb.118:                              ;   in Loop: Header=BB325_12 Depth=1
	s_or_b32 exec_lo, exec_lo, s45
	s_delay_alu instid0(VALU_DEP_1) | instskip(NEXT) | instid1(VALU_DEP_2)
	v_dual_lshlrev_b32 v61, 24, v63 :: v_dual_lshlrev_b32 v28, 20, v28
	v_lshl_add_u32 v59, v59, 23, 0x3c000000
	s_delay_alu instid0(VALU_DEP_2) | instskip(NEXT) | instid1(VALU_DEP_1)
	v_and_b32_e32 v61, 0x80000000, v61
	v_or3_b32 v59, v28, v61, v59
.LBB325_119:                            ;   in Loop: Header=BB325_12 Depth=1
	s_or_b32 exec_lo, exec_lo, s44
.LBB325_120:                            ;   in Loop: Header=BB325_12 Depth=1
	s_delay_alu instid0(SALU_CYCLE_1)
	s_or_b32 exec_lo, exec_lo, s43
.LBB325_121:                            ;   in Loop: Header=BB325_12 Depth=1
	s_delay_alu instid0(SALU_CYCLE_1) | instskip(SKIP_2) | instid1(VALU_DEP_1)
	s_or_b32 exec_lo, exec_lo, s42
	v_lshrrev_b16 v28, 8, v63
	s_mov_b32 s42, exec_lo
	v_cmpx_ne_u16_e32 0, v28
	s_cbranch_execz .LBB325_129
; %bb.122:                              ;   in Loop: Header=BB325_12 Depth=1
	v_bfrev_b32_e32 v60, 1
	s_mov_b32 s43, exec_lo
	v_cmpx_ne_u16_e32 0x80, v28
	s_cbranch_execz .LBB325_128
; %bb.123:                              ;   in Loop: Header=BB325_12 Depth=1
	v_and_b32_e32 v28, 0xffff, v28
	v_mov_b32_e32 v60, 0x7f800001
	s_mov_b32 s44, exec_lo
	s_delay_alu instid0(VALU_DEP_2) | instskip(NEXT) | instid1(VALU_DEP_1)
	v_and_b32_e32 v61, 0x7f, v28
	v_cmpx_ne_u32_e32 0x7f, v61
	s_cbranch_execz .LBB325_127
; %bb.124:                              ;   in Loop: Header=BB325_12 Depth=1
	v_dual_lshrrev_b32 v60, 3, v61 :: v_dual_bitop2_b32 v28, 7, v28 bitop3:0x40
	s_mov_b32 s45, exec_lo
	v_cmpx_gt_u32_e32 8, v61
; %bb.125:                              ;   in Loop: Header=BB325_12 Depth=1
	s_delay_alu instid0(VALU_DEP_2) | instskip(NEXT) | instid1(VALU_DEP_1)
	v_clz_i32_u32_e32 v60, v28
	v_min_u32_e32 v60, 32, v60
	s_delay_alu instid0(VALU_DEP_1) | instskip(SKIP_1) | instid1(VALU_DEP_2)
	v_subrev_nc_u32_e32 v61, 28, v60
	v_sub_nc_u32_e32 v60, 29, v60
	v_lshlrev_b64_e32 v[64:65], v61, v[28:29]
	s_delay_alu instid0(VALU_DEP_1)
	v_and_b32_e32 v28, 7, v64
; %bb.126:                              ;   in Loop: Header=BB325_12 Depth=1
	s_or_b32 exec_lo, exec_lo, s45
	s_delay_alu instid0(VALU_DEP_1) | instskip(SKIP_1) | instid1(VALU_DEP_2)
	v_dual_lshlrev_b32 v61, 16, v63 :: v_dual_lshlrev_b32 v28, 20, v28
	v_lshl_add_u32 v60, v60, 23, 0x3c000000
	v_and_b32_e32 v61, 0x80000000, v61
	s_delay_alu instid0(VALU_DEP_1)
	v_or3_b32 v60, v28, v61, v60
.LBB325_127:                            ;   in Loop: Header=BB325_12 Depth=1
	s_or_b32 exec_lo, exec_lo, s44
.LBB325_128:                            ;   in Loop: Header=BB325_12 Depth=1
	s_delay_alu instid0(SALU_CYCLE_1)
	s_or_b32 exec_lo, exec_lo, s43
.LBB325_129:                            ;   in Loop: Header=BB325_12 Depth=1
	s_delay_alu instid0(SALU_CYCLE_1) | instskip(SKIP_3) | instid1(VALU_DEP_2)
	s_or_b32 exec_lo, exec_lo, s42
	v_dual_mov_b32 v61, 0 :: v_dual_lshrrev_b32 v64, 16, v63
	v_mov_b32_e32 v62, 0
	s_mov_b32 s42, exec_lo
	v_and_b32_e32 v28, 0xff, v64
	s_delay_alu instid0(VALU_DEP_1)
	v_cmpx_ne_u16_e32 0, v28
	s_cbranch_execz .LBB325_137
; %bb.130:                              ;   in Loop: Header=BB325_12 Depth=1
	v_bfrev_b32_e32 v62, 1
	s_mov_b32 s43, exec_lo
	v_cmpx_ne_u16_e32 0x80, v28
	s_cbranch_execz .LBB325_136
; %bb.131:                              ;   in Loop: Header=BB325_12 Depth=1
	v_bfe_u32 v65, v63, 16, 7
	v_mov_b32_e32 v62, 0x7f800001
	s_mov_b32 s44, exec_lo
	s_delay_alu instid0(VALU_DEP_2)
	v_cmpx_ne_u32_e32 0x7f, v65
	s_cbranch_execz .LBB325_135
; %bb.132:                              ;   in Loop: Header=BB325_12 Depth=1
	v_dual_lshrrev_b32 v62, 3, v65 :: v_dual_bitop2_b32 v28, 7, v64 bitop3:0x40
	s_mov_b32 s45, exec_lo
	v_cmpx_gt_u32_e32 8, v65
; %bb.133:                              ;   in Loop: Header=BB325_12 Depth=1
	s_delay_alu instid0(VALU_DEP_2) | instskip(NEXT) | instid1(VALU_DEP_1)
	v_clz_i32_u32_e32 v62, v28
	v_min_u32_e32 v62, 32, v62
	s_delay_alu instid0(VALU_DEP_1) | instskip(SKIP_1) | instid1(VALU_DEP_2)
	v_subrev_nc_u32_e32 v65, 28, v62
	v_sub_nc_u32_e32 v62, 29, v62
	v_lshlrev_b64_e32 v[66:67], v65, v[28:29]
	s_delay_alu instid0(VALU_DEP_1)
	v_and_b32_e32 v28, 7, v66
; %bb.134:                              ;   in Loop: Header=BB325_12 Depth=1
	s_or_b32 exec_lo, exec_lo, s45
	v_lshlrev_b32_e32 v64, 24, v64
	s_delay_alu instid0(VALU_DEP_2) | instskip(SKIP_1) | instid1(VALU_DEP_3)
	v_lshlrev_b32_e32 v28, 20, v28
	v_lshl_add_u32 v62, v62, 23, 0x3c000000
	v_and_b32_e32 v64, 0x80000000, v64
	s_delay_alu instid0(VALU_DEP_1)
	v_or3_b32 v62, v28, v64, v62
.LBB325_135:                            ;   in Loop: Header=BB325_12 Depth=1
	s_or_b32 exec_lo, exec_lo, s44
.LBB325_136:                            ;   in Loop: Header=BB325_12 Depth=1
	s_delay_alu instid0(SALU_CYCLE_1)
	s_or_b32 exec_lo, exec_lo, s43
.LBB325_137:                            ;   in Loop: Header=BB325_12 Depth=1
	s_delay_alu instid0(SALU_CYCLE_1) | instskip(NEXT) | instid1(SALU_CYCLE_1)
	s_or_b32 exec_lo, exec_lo, s42
	s_mov_b32 s42, exec_lo
	v_cmpx_lt_u32_e32 0xffffff, v63
	s_cbranch_execz .LBB325_145
; %bb.138:                              ;   in Loop: Header=BB325_12 Depth=1
	v_lshrrev_b32_e32 v64, 24, v63
	v_bfrev_b32_e32 v61, 1
	s_mov_b32 s43, exec_lo
	s_delay_alu instid0(VALU_DEP_2)
	v_cmpx_ne_u32_e32 0x80, v64
	s_cbranch_execz .LBB325_144
; %bb.139:                              ;   in Loop: Header=BB325_12 Depth=1
	v_bfe_u32 v63, v63, 24, 7
	v_mov_b32_e32 v61, 0x7f800001
	s_mov_b32 s44, exec_lo
	s_delay_alu instid0(VALU_DEP_2)
	v_cmpx_ne_u32_e32 0x7f, v63
	s_cbranch_execz .LBB325_143
; %bb.140:                              ;   in Loop: Header=BB325_12 Depth=1
	v_dual_lshrrev_b32 v61, 3, v63 :: v_dual_bitop2_b32 v28, 7, v64 bitop3:0x40
	s_mov_b32 s45, exec_lo
	v_cmpx_gt_u32_e32 8, v63
; %bb.141:                              ;   in Loop: Header=BB325_12 Depth=1
	s_delay_alu instid0(VALU_DEP_2) | instskip(NEXT) | instid1(VALU_DEP_1)
	v_clz_i32_u32_e32 v61, v28
	v_min_u32_e32 v61, 32, v61
	s_delay_alu instid0(VALU_DEP_1) | instskip(NEXT) | instid1(VALU_DEP_1)
	v_subrev_nc_u32_e32 v63, 28, v61
	v_lshlrev_b64_e32 v[66:67], v63, v[28:29]
	s_delay_alu instid0(VALU_DEP_1)
	v_dual_sub_nc_u32 v61, 29, v61 :: v_dual_bitop2_b32 v28, 7, v66 bitop3:0x40
; %bb.142:                              ;   in Loop: Header=BB325_12 Depth=1
	s_or_b32 exec_lo, exec_lo, s45
	v_lshlrev_b32_e32 v63, 24, v64
	s_delay_alu instid0(VALU_DEP_2) | instskip(NEXT) | instid1(VALU_DEP_3)
	v_lshlrev_b32_e32 v28, 20, v28
	v_lshl_add_u32 v61, v61, 23, 0x3c000000
	s_delay_alu instid0(VALU_DEP_3) | instskip(NEXT) | instid1(VALU_DEP_1)
	v_and_b32_e32 v63, 0x80000000, v63
	v_or3_b32 v61, v28, v63, v61
.LBB325_143:                            ;   in Loop: Header=BB325_12 Depth=1
	s_or_b32 exec_lo, exec_lo, s44
.LBB325_144:                            ;   in Loop: Header=BB325_12 Depth=1
	s_delay_alu instid0(SALU_CYCLE_1)
	s_or_b32 exec_lo, exec_lo, s43
.LBB325_145:                            ;   in Loop: Header=BB325_12 Depth=1
	s_delay_alu instid0(SALU_CYCLE_1)
	s_or_b32 exec_lo, exec_lo, s42
	global_load_b32 v67, v[36:37], off offset:512
	v_dual_mov_b32 v64, 0 :: v_dual_mov_b32 v63, 0
	s_mov_b32 s42, exec_lo
	s_wait_loadcnt 0x0
	v_and_b32_e32 v28, 0xff, v67
	s_delay_alu instid0(VALU_DEP_1)
	v_cmpx_ne_u16_e32 0, v28
	s_cbranch_execz .LBB325_153
; %bb.146:                              ;   in Loop: Header=BB325_12 Depth=1
	v_bfrev_b32_e32 v63, 1
	s_mov_b32 s43, exec_lo
	v_cmpx_ne_u16_e32 0x80, v28
	s_cbranch_execz .LBB325_152
; %bb.147:                              ;   in Loop: Header=BB325_12 Depth=1
	v_and_b32_e32 v65, 0x7f, v67
	v_mov_b32_e32 v63, 0x7f800001
	s_mov_b32 s44, exec_lo
	s_delay_alu instid0(VALU_DEP_2)
	v_cmpx_ne_u32_e32 0x7f, v65
	s_cbranch_execz .LBB325_151
; %bb.148:                              ;   in Loop: Header=BB325_12 Depth=1
	v_dual_lshrrev_b32 v63, 3, v65 :: v_dual_bitop2_b32 v28, 7, v67 bitop3:0x40
	s_mov_b32 s45, exec_lo
	v_cmpx_gt_u32_e32 8, v65
; %bb.149:                              ;   in Loop: Header=BB325_12 Depth=1
	s_delay_alu instid0(VALU_DEP_2) | instskip(NEXT) | instid1(VALU_DEP_1)
	v_clz_i32_u32_e32 v63, v28
	v_min_u32_e32 v63, 32, v63
	s_delay_alu instid0(VALU_DEP_1) | instskip(NEXT) | instid1(VALU_DEP_1)
	v_subrev_nc_u32_e32 v65, 28, v63
	v_lshlrev_b64_e32 v[68:69], v65, v[28:29]
	s_delay_alu instid0(VALU_DEP_1)
	v_dual_sub_nc_u32 v63, 29, v63 :: v_dual_bitop2_b32 v28, 7, v68 bitop3:0x40
; %bb.150:                              ;   in Loop: Header=BB325_12 Depth=1
	s_or_b32 exec_lo, exec_lo, s45
	s_delay_alu instid0(VALU_DEP_1) | instskip(NEXT) | instid1(VALU_DEP_2)
	v_dual_lshlrev_b32 v65, 24, v67 :: v_dual_lshlrev_b32 v28, 20, v28
	v_lshl_add_u32 v63, v63, 23, 0x3c000000
	s_delay_alu instid0(VALU_DEP_2) | instskip(NEXT) | instid1(VALU_DEP_1)
	v_and_b32_e32 v65, 0x80000000, v65
	v_or3_b32 v63, v28, v65, v63
.LBB325_151:                            ;   in Loop: Header=BB325_12 Depth=1
	s_or_b32 exec_lo, exec_lo, s44
.LBB325_152:                            ;   in Loop: Header=BB325_12 Depth=1
	s_delay_alu instid0(SALU_CYCLE_1)
	s_or_b32 exec_lo, exec_lo, s43
.LBB325_153:                            ;   in Loop: Header=BB325_12 Depth=1
	s_delay_alu instid0(SALU_CYCLE_1) | instskip(SKIP_2) | instid1(VALU_DEP_1)
	s_or_b32 exec_lo, exec_lo, s42
	v_lshrrev_b16 v28, 8, v67
	s_mov_b32 s42, exec_lo
	v_cmpx_ne_u16_e32 0, v28
	s_cbranch_execz .LBB325_161
; %bb.154:                              ;   in Loop: Header=BB325_12 Depth=1
	v_bfrev_b32_e32 v64, 1
	s_mov_b32 s43, exec_lo
	v_cmpx_ne_u16_e32 0x80, v28
	s_cbranch_execz .LBB325_160
; %bb.155:                              ;   in Loop: Header=BB325_12 Depth=1
	v_and_b32_e32 v28, 0xffff, v28
	v_mov_b32_e32 v64, 0x7f800001
	s_mov_b32 s44, exec_lo
	s_delay_alu instid0(VALU_DEP_2) | instskip(NEXT) | instid1(VALU_DEP_1)
	v_and_b32_e32 v65, 0x7f, v28
	v_cmpx_ne_u32_e32 0x7f, v65
	s_cbranch_execz .LBB325_159
; %bb.156:                              ;   in Loop: Header=BB325_12 Depth=1
	v_dual_lshrrev_b32 v64, 3, v65 :: v_dual_bitop2_b32 v28, 7, v28 bitop3:0x40
	s_mov_b32 s45, exec_lo
	v_cmpx_gt_u32_e32 8, v65
; %bb.157:                              ;   in Loop: Header=BB325_12 Depth=1
	s_delay_alu instid0(VALU_DEP_2) | instskip(NEXT) | instid1(VALU_DEP_1)
	v_clz_i32_u32_e32 v64, v28
	v_min_u32_e32 v64, 32, v64
	s_delay_alu instid0(VALU_DEP_1) | instskip(SKIP_1) | instid1(VALU_DEP_2)
	v_subrev_nc_u32_e32 v65, 28, v64
	v_sub_nc_u32_e32 v64, 29, v64
	v_lshlrev_b64_e32 v[68:69], v65, v[28:29]
	s_delay_alu instid0(VALU_DEP_1)
	v_and_b32_e32 v28, 7, v68
; %bb.158:                              ;   in Loop: Header=BB325_12 Depth=1
	s_or_b32 exec_lo, exec_lo, s45
	s_delay_alu instid0(VALU_DEP_1) | instskip(SKIP_1) | instid1(VALU_DEP_2)
	v_dual_lshlrev_b32 v65, 16, v67 :: v_dual_lshlrev_b32 v28, 20, v28
	v_lshl_add_u32 v64, v64, 23, 0x3c000000
	v_and_b32_e32 v65, 0x80000000, v65
	s_delay_alu instid0(VALU_DEP_1)
	v_or3_b32 v64, v28, v65, v64
.LBB325_159:                            ;   in Loop: Header=BB325_12 Depth=1
	s_or_b32 exec_lo, exec_lo, s44
.LBB325_160:                            ;   in Loop: Header=BB325_12 Depth=1
	s_delay_alu instid0(SALU_CYCLE_1)
	s_or_b32 exec_lo, exec_lo, s43
.LBB325_161:                            ;   in Loop: Header=BB325_12 Depth=1
	s_delay_alu instid0(SALU_CYCLE_1) | instskip(SKIP_3) | instid1(VALU_DEP_2)
	s_or_b32 exec_lo, exec_lo, s42
	v_dual_mov_b32 v65, 0 :: v_dual_lshrrev_b32 v68, 16, v67
	v_mov_b32_e32 v66, 0
	s_mov_b32 s42, exec_lo
	v_and_b32_e32 v28, 0xff, v68
	s_delay_alu instid0(VALU_DEP_1)
	v_cmpx_ne_u16_e32 0, v28
	s_cbranch_execz .LBB325_169
; %bb.162:                              ;   in Loop: Header=BB325_12 Depth=1
	v_bfrev_b32_e32 v66, 1
	s_mov_b32 s43, exec_lo
	v_cmpx_ne_u16_e32 0x80, v28
	s_cbranch_execz .LBB325_168
; %bb.163:                              ;   in Loop: Header=BB325_12 Depth=1
	v_bfe_u32 v69, v67, 16, 7
	v_mov_b32_e32 v66, 0x7f800001
	s_mov_b32 s44, exec_lo
	s_delay_alu instid0(VALU_DEP_2)
	v_cmpx_ne_u32_e32 0x7f, v69
	s_cbranch_execz .LBB325_167
; %bb.164:                              ;   in Loop: Header=BB325_12 Depth=1
	v_dual_lshrrev_b32 v66, 3, v69 :: v_dual_bitop2_b32 v28, 7, v68 bitop3:0x40
	s_mov_b32 s45, exec_lo
	v_cmpx_gt_u32_e32 8, v69
; %bb.165:                              ;   in Loop: Header=BB325_12 Depth=1
	s_delay_alu instid0(VALU_DEP_2) | instskip(NEXT) | instid1(VALU_DEP_1)
	v_clz_i32_u32_e32 v66, v28
	v_min_u32_e32 v66, 32, v66
	s_delay_alu instid0(VALU_DEP_1) | instskip(SKIP_1) | instid1(VALU_DEP_2)
	v_subrev_nc_u32_e32 v69, 28, v66
	v_sub_nc_u32_e32 v66, 29, v66
	v_lshlrev_b64_e32 v[70:71], v69, v[28:29]
	s_delay_alu instid0(VALU_DEP_1)
	v_and_b32_e32 v28, 7, v70
; %bb.166:                              ;   in Loop: Header=BB325_12 Depth=1
	s_or_b32 exec_lo, exec_lo, s45
	v_lshlrev_b32_e32 v68, 24, v68
	s_delay_alu instid0(VALU_DEP_2) | instskip(SKIP_1) | instid1(VALU_DEP_3)
	v_lshlrev_b32_e32 v28, 20, v28
	v_lshl_add_u32 v66, v66, 23, 0x3c000000
	v_and_b32_e32 v68, 0x80000000, v68
	s_delay_alu instid0(VALU_DEP_1)
	v_or3_b32 v66, v28, v68, v66
.LBB325_167:                            ;   in Loop: Header=BB325_12 Depth=1
	s_or_b32 exec_lo, exec_lo, s44
.LBB325_168:                            ;   in Loop: Header=BB325_12 Depth=1
	s_delay_alu instid0(SALU_CYCLE_1)
	s_or_b32 exec_lo, exec_lo, s43
.LBB325_169:                            ;   in Loop: Header=BB325_12 Depth=1
	s_delay_alu instid0(SALU_CYCLE_1) | instskip(NEXT) | instid1(SALU_CYCLE_1)
	s_or_b32 exec_lo, exec_lo, s42
	s_mov_b32 s42, exec_lo
	v_cmpx_lt_u32_e32 0xffffff, v67
	s_cbranch_execz .LBB325_177
; %bb.170:                              ;   in Loop: Header=BB325_12 Depth=1
	v_lshrrev_b32_e32 v68, 24, v67
	v_bfrev_b32_e32 v65, 1
	s_mov_b32 s43, exec_lo
	s_delay_alu instid0(VALU_DEP_2)
	v_cmpx_ne_u32_e32 0x80, v68
	s_cbranch_execz .LBB325_176
; %bb.171:                              ;   in Loop: Header=BB325_12 Depth=1
	v_bfe_u32 v67, v67, 24, 7
	v_mov_b32_e32 v65, 0x7f800001
	s_mov_b32 s44, exec_lo
	s_delay_alu instid0(VALU_DEP_2)
	v_cmpx_ne_u32_e32 0x7f, v67
	s_cbranch_execz .LBB325_175
; %bb.172:                              ;   in Loop: Header=BB325_12 Depth=1
	v_dual_lshrrev_b32 v65, 3, v67 :: v_dual_bitop2_b32 v28, 7, v68 bitop3:0x40
	s_mov_b32 s45, exec_lo
	v_cmpx_gt_u32_e32 8, v67
; %bb.173:                              ;   in Loop: Header=BB325_12 Depth=1
	s_delay_alu instid0(VALU_DEP_2) | instskip(NEXT) | instid1(VALU_DEP_1)
	v_clz_i32_u32_e32 v65, v28
	v_min_u32_e32 v65, 32, v65
	s_delay_alu instid0(VALU_DEP_1) | instskip(NEXT) | instid1(VALU_DEP_1)
	v_subrev_nc_u32_e32 v67, 28, v65
	v_lshlrev_b64_e32 v[70:71], v67, v[28:29]
	s_delay_alu instid0(VALU_DEP_1)
	v_dual_sub_nc_u32 v65, 29, v65 :: v_dual_bitop2_b32 v28, 7, v70 bitop3:0x40
; %bb.174:                              ;   in Loop: Header=BB325_12 Depth=1
	s_or_b32 exec_lo, exec_lo, s45
	v_lshlrev_b32_e32 v67, 24, v68
	s_delay_alu instid0(VALU_DEP_2) | instskip(NEXT) | instid1(VALU_DEP_3)
	v_lshlrev_b32_e32 v28, 20, v28
	v_lshl_add_u32 v65, v65, 23, 0x3c000000
	s_delay_alu instid0(VALU_DEP_3) | instskip(NEXT) | instid1(VALU_DEP_1)
	v_and_b32_e32 v67, 0x80000000, v67
	v_or3_b32 v65, v28, v67, v65
.LBB325_175:                            ;   in Loop: Header=BB325_12 Depth=1
	s_or_b32 exec_lo, exec_lo, s44
.LBB325_176:                            ;   in Loop: Header=BB325_12 Depth=1
	s_delay_alu instid0(SALU_CYCLE_1)
	s_or_b32 exec_lo, exec_lo, s43
.LBB325_177:                            ;   in Loop: Header=BB325_12 Depth=1
	s_delay_alu instid0(SALU_CYCLE_1)
	s_or_b32 exec_lo, exec_lo, s42
	global_load_b32 v71, v[36:37], off offset:520
	v_dual_mov_b32 v68, 0 :: v_dual_mov_b32 v67, 0
	s_mov_b32 s42, exec_lo
	s_wait_loadcnt 0x0
	v_and_b32_e32 v28, 0xff, v71
	s_delay_alu instid0(VALU_DEP_1)
	v_cmpx_ne_u16_e32 0, v28
	s_cbranch_execz .LBB325_185
; %bb.178:                              ;   in Loop: Header=BB325_12 Depth=1
	v_bfrev_b32_e32 v67, 1
	s_mov_b32 s43, exec_lo
	v_cmpx_ne_u16_e32 0x80, v28
	s_cbranch_execz .LBB325_184
; %bb.179:                              ;   in Loop: Header=BB325_12 Depth=1
	v_and_b32_e32 v69, 0x7f, v71
	v_mov_b32_e32 v67, 0x7f800001
	s_mov_b32 s44, exec_lo
	s_delay_alu instid0(VALU_DEP_2)
	v_cmpx_ne_u32_e32 0x7f, v69
	s_cbranch_execz .LBB325_183
; %bb.180:                              ;   in Loop: Header=BB325_12 Depth=1
	v_dual_lshrrev_b32 v67, 3, v69 :: v_dual_bitop2_b32 v28, 7, v71 bitop3:0x40
	s_mov_b32 s45, exec_lo
	v_cmpx_gt_u32_e32 8, v69
; %bb.181:                              ;   in Loop: Header=BB325_12 Depth=1
	s_delay_alu instid0(VALU_DEP_2) | instskip(NEXT) | instid1(VALU_DEP_1)
	v_clz_i32_u32_e32 v67, v28
	v_min_u32_e32 v67, 32, v67
	s_delay_alu instid0(VALU_DEP_1) | instskip(NEXT) | instid1(VALU_DEP_1)
	v_subrev_nc_u32_e32 v69, 28, v67
	v_lshlrev_b64_e32 v[72:73], v69, v[28:29]
	s_delay_alu instid0(VALU_DEP_1)
	v_dual_sub_nc_u32 v67, 29, v67 :: v_dual_bitop2_b32 v28, 7, v72 bitop3:0x40
; %bb.182:                              ;   in Loop: Header=BB325_12 Depth=1
	s_or_b32 exec_lo, exec_lo, s45
	s_delay_alu instid0(VALU_DEP_1) | instskip(NEXT) | instid1(VALU_DEP_2)
	v_dual_lshlrev_b32 v69, 24, v71 :: v_dual_lshlrev_b32 v28, 20, v28
	v_lshl_add_u32 v67, v67, 23, 0x3c000000
	s_delay_alu instid0(VALU_DEP_2) | instskip(NEXT) | instid1(VALU_DEP_1)
	v_and_b32_e32 v69, 0x80000000, v69
	v_or3_b32 v67, v28, v69, v67
.LBB325_183:                            ;   in Loop: Header=BB325_12 Depth=1
	s_or_b32 exec_lo, exec_lo, s44
.LBB325_184:                            ;   in Loop: Header=BB325_12 Depth=1
	s_delay_alu instid0(SALU_CYCLE_1)
	s_or_b32 exec_lo, exec_lo, s43
.LBB325_185:                            ;   in Loop: Header=BB325_12 Depth=1
	s_delay_alu instid0(SALU_CYCLE_1) | instskip(SKIP_2) | instid1(VALU_DEP_1)
	s_or_b32 exec_lo, exec_lo, s42
	v_lshrrev_b16 v28, 8, v71
	s_mov_b32 s42, exec_lo
	v_cmpx_ne_u16_e32 0, v28
	s_cbranch_execz .LBB325_193
; %bb.186:                              ;   in Loop: Header=BB325_12 Depth=1
	v_bfrev_b32_e32 v68, 1
	s_mov_b32 s43, exec_lo
	v_cmpx_ne_u16_e32 0x80, v28
	s_cbranch_execz .LBB325_192
; %bb.187:                              ;   in Loop: Header=BB325_12 Depth=1
	v_and_b32_e32 v28, 0xffff, v28
	v_mov_b32_e32 v68, 0x7f800001
	s_mov_b32 s44, exec_lo
	s_delay_alu instid0(VALU_DEP_2) | instskip(NEXT) | instid1(VALU_DEP_1)
	v_and_b32_e32 v69, 0x7f, v28
	v_cmpx_ne_u32_e32 0x7f, v69
	s_cbranch_execz .LBB325_191
; %bb.188:                              ;   in Loop: Header=BB325_12 Depth=1
	v_dual_lshrrev_b32 v68, 3, v69 :: v_dual_bitop2_b32 v28, 7, v28 bitop3:0x40
	s_mov_b32 s45, exec_lo
	v_cmpx_gt_u32_e32 8, v69
; %bb.189:                              ;   in Loop: Header=BB325_12 Depth=1
	s_delay_alu instid0(VALU_DEP_2) | instskip(NEXT) | instid1(VALU_DEP_1)
	v_clz_i32_u32_e32 v68, v28
	v_min_u32_e32 v68, 32, v68
	s_delay_alu instid0(VALU_DEP_1) | instskip(SKIP_1) | instid1(VALU_DEP_2)
	v_subrev_nc_u32_e32 v69, 28, v68
	v_sub_nc_u32_e32 v68, 29, v68
	v_lshlrev_b64_e32 v[72:73], v69, v[28:29]
	s_delay_alu instid0(VALU_DEP_1)
	v_and_b32_e32 v28, 7, v72
; %bb.190:                              ;   in Loop: Header=BB325_12 Depth=1
	s_or_b32 exec_lo, exec_lo, s45
	s_delay_alu instid0(VALU_DEP_1) | instskip(SKIP_1) | instid1(VALU_DEP_2)
	v_dual_lshlrev_b32 v69, 16, v71 :: v_dual_lshlrev_b32 v28, 20, v28
	v_lshl_add_u32 v68, v68, 23, 0x3c000000
	v_and_b32_e32 v69, 0x80000000, v69
	s_delay_alu instid0(VALU_DEP_1)
	v_or3_b32 v68, v28, v69, v68
.LBB325_191:                            ;   in Loop: Header=BB325_12 Depth=1
	s_or_b32 exec_lo, exec_lo, s44
.LBB325_192:                            ;   in Loop: Header=BB325_12 Depth=1
	s_delay_alu instid0(SALU_CYCLE_1)
	s_or_b32 exec_lo, exec_lo, s43
.LBB325_193:                            ;   in Loop: Header=BB325_12 Depth=1
	s_delay_alu instid0(SALU_CYCLE_1) | instskip(SKIP_3) | instid1(VALU_DEP_2)
	s_or_b32 exec_lo, exec_lo, s42
	v_dual_mov_b32 v69, 0 :: v_dual_lshrrev_b32 v72, 16, v71
	v_mov_b32_e32 v70, 0
	s_mov_b32 s42, exec_lo
	v_and_b32_e32 v28, 0xff, v72
	s_delay_alu instid0(VALU_DEP_1)
	v_cmpx_ne_u16_e32 0, v28
	s_cbranch_execz .LBB325_201
; %bb.194:                              ;   in Loop: Header=BB325_12 Depth=1
	v_bfrev_b32_e32 v70, 1
	s_mov_b32 s43, exec_lo
	v_cmpx_ne_u16_e32 0x80, v28
	s_cbranch_execz .LBB325_200
; %bb.195:                              ;   in Loop: Header=BB325_12 Depth=1
	v_bfe_u32 v73, v71, 16, 7
	v_mov_b32_e32 v70, 0x7f800001
	s_mov_b32 s44, exec_lo
	s_delay_alu instid0(VALU_DEP_2)
	v_cmpx_ne_u32_e32 0x7f, v73
	s_cbranch_execz .LBB325_199
; %bb.196:                              ;   in Loop: Header=BB325_12 Depth=1
	v_dual_lshrrev_b32 v70, 3, v73 :: v_dual_bitop2_b32 v28, 7, v72 bitop3:0x40
	s_mov_b32 s45, exec_lo
	v_cmpx_gt_u32_e32 8, v73
; %bb.197:                              ;   in Loop: Header=BB325_12 Depth=1
	s_delay_alu instid0(VALU_DEP_2) | instskip(NEXT) | instid1(VALU_DEP_1)
	v_clz_i32_u32_e32 v70, v28
	v_min_u32_e32 v70, 32, v70
	s_delay_alu instid0(VALU_DEP_1) | instskip(SKIP_1) | instid1(VALU_DEP_2)
	v_subrev_nc_u32_e32 v73, 28, v70
	v_sub_nc_u32_e32 v70, 29, v70
	v_lshlrev_b64_e32 v[74:75], v73, v[28:29]
	s_delay_alu instid0(VALU_DEP_1)
	v_and_b32_e32 v28, 7, v74
; %bb.198:                              ;   in Loop: Header=BB325_12 Depth=1
	s_or_b32 exec_lo, exec_lo, s45
	v_lshlrev_b32_e32 v72, 24, v72
	s_delay_alu instid0(VALU_DEP_2) | instskip(SKIP_1) | instid1(VALU_DEP_3)
	v_lshlrev_b32_e32 v28, 20, v28
	v_lshl_add_u32 v70, v70, 23, 0x3c000000
	v_and_b32_e32 v72, 0x80000000, v72
	s_delay_alu instid0(VALU_DEP_1)
	v_or3_b32 v70, v28, v72, v70
.LBB325_199:                            ;   in Loop: Header=BB325_12 Depth=1
	s_or_b32 exec_lo, exec_lo, s44
.LBB325_200:                            ;   in Loop: Header=BB325_12 Depth=1
	s_delay_alu instid0(SALU_CYCLE_1)
	s_or_b32 exec_lo, exec_lo, s43
.LBB325_201:                            ;   in Loop: Header=BB325_12 Depth=1
	s_delay_alu instid0(SALU_CYCLE_1) | instskip(NEXT) | instid1(SALU_CYCLE_1)
	s_or_b32 exec_lo, exec_lo, s42
	s_mov_b32 s42, exec_lo
	v_cmpx_lt_u32_e32 0xffffff, v71
	s_cbranch_execz .LBB325_209
; %bb.202:                              ;   in Loop: Header=BB325_12 Depth=1
	v_lshrrev_b32_e32 v72, 24, v71
	v_bfrev_b32_e32 v69, 1
	s_mov_b32 s43, exec_lo
	s_delay_alu instid0(VALU_DEP_2)
	v_cmpx_ne_u32_e32 0x80, v72
	s_cbranch_execz .LBB325_208
; %bb.203:                              ;   in Loop: Header=BB325_12 Depth=1
	v_bfe_u32 v71, v71, 24, 7
	v_mov_b32_e32 v69, 0x7f800001
	s_mov_b32 s44, exec_lo
	s_delay_alu instid0(VALU_DEP_2)
	v_cmpx_ne_u32_e32 0x7f, v71
	s_cbranch_execz .LBB325_207
; %bb.204:                              ;   in Loop: Header=BB325_12 Depth=1
	v_dual_lshrrev_b32 v69, 3, v71 :: v_dual_bitop2_b32 v28, 7, v72 bitop3:0x40
	s_mov_b32 s45, exec_lo
	v_cmpx_gt_u32_e32 8, v71
; %bb.205:                              ;   in Loop: Header=BB325_12 Depth=1
	s_delay_alu instid0(VALU_DEP_2) | instskip(NEXT) | instid1(VALU_DEP_1)
	v_clz_i32_u32_e32 v69, v28
	v_min_u32_e32 v69, 32, v69
	s_delay_alu instid0(VALU_DEP_1) | instskip(NEXT) | instid1(VALU_DEP_1)
	v_subrev_nc_u32_e32 v71, 28, v69
	v_lshlrev_b64_e32 v[74:75], v71, v[28:29]
	s_delay_alu instid0(VALU_DEP_1)
	v_dual_sub_nc_u32 v69, 29, v69 :: v_dual_bitop2_b32 v28, 7, v74 bitop3:0x40
; %bb.206:                              ;   in Loop: Header=BB325_12 Depth=1
	s_or_b32 exec_lo, exec_lo, s45
	v_lshlrev_b32_e32 v71, 24, v72
	s_delay_alu instid0(VALU_DEP_2) | instskip(NEXT) | instid1(VALU_DEP_3)
	v_lshlrev_b32_e32 v28, 20, v28
	v_lshl_add_u32 v69, v69, 23, 0x3c000000
	s_delay_alu instid0(VALU_DEP_3) | instskip(NEXT) | instid1(VALU_DEP_1)
	v_and_b32_e32 v71, 0x80000000, v71
	v_or3_b32 v69, v28, v71, v69
.LBB325_207:                            ;   in Loop: Header=BB325_12 Depth=1
	s_or_b32 exec_lo, exec_lo, s44
.LBB325_208:                            ;   in Loop: Header=BB325_12 Depth=1
	s_delay_alu instid0(SALU_CYCLE_1)
	s_or_b32 exec_lo, exec_lo, s43
.LBB325_209:                            ;   in Loop: Header=BB325_12 Depth=1
	s_delay_alu instid0(SALU_CYCLE_1)
	s_or_b32 exec_lo, exec_lo, s42
	global_load_b32 v75, v[36:37], off offset:768
	v_dual_mov_b32 v72, 0 :: v_dual_mov_b32 v71, 0
	s_mov_b32 s42, exec_lo
	s_wait_loadcnt 0x0
	v_and_b32_e32 v28, 0xff, v75
	s_delay_alu instid0(VALU_DEP_1)
	v_cmpx_ne_u16_e32 0, v28
	s_cbranch_execz .LBB325_217
; %bb.210:                              ;   in Loop: Header=BB325_12 Depth=1
	v_bfrev_b32_e32 v71, 1
	s_mov_b32 s43, exec_lo
	v_cmpx_ne_u16_e32 0x80, v28
	s_cbranch_execz .LBB325_216
; %bb.211:                              ;   in Loop: Header=BB325_12 Depth=1
	v_and_b32_e32 v73, 0x7f, v75
	v_mov_b32_e32 v71, 0x7f800001
	s_mov_b32 s44, exec_lo
	s_delay_alu instid0(VALU_DEP_2)
	v_cmpx_ne_u32_e32 0x7f, v73
	s_cbranch_execz .LBB325_215
; %bb.212:                              ;   in Loop: Header=BB325_12 Depth=1
	v_dual_lshrrev_b32 v71, 3, v73 :: v_dual_bitop2_b32 v28, 7, v75 bitop3:0x40
	s_mov_b32 s45, exec_lo
	v_cmpx_gt_u32_e32 8, v73
; %bb.213:                              ;   in Loop: Header=BB325_12 Depth=1
	s_delay_alu instid0(VALU_DEP_2) | instskip(NEXT) | instid1(VALU_DEP_1)
	v_clz_i32_u32_e32 v71, v28
	v_min_u32_e32 v71, 32, v71
	s_delay_alu instid0(VALU_DEP_1) | instskip(NEXT) | instid1(VALU_DEP_1)
	v_subrev_nc_u32_e32 v73, 28, v71
	v_lshlrev_b64_e32 v[76:77], v73, v[28:29]
	s_delay_alu instid0(VALU_DEP_1)
	v_dual_sub_nc_u32 v71, 29, v71 :: v_dual_bitop2_b32 v28, 7, v76 bitop3:0x40
; %bb.214:                              ;   in Loop: Header=BB325_12 Depth=1
	s_or_b32 exec_lo, exec_lo, s45
	s_delay_alu instid0(VALU_DEP_1) | instskip(NEXT) | instid1(VALU_DEP_2)
	v_dual_lshlrev_b32 v73, 24, v75 :: v_dual_lshlrev_b32 v28, 20, v28
	v_lshl_add_u32 v71, v71, 23, 0x3c000000
	s_delay_alu instid0(VALU_DEP_2) | instskip(NEXT) | instid1(VALU_DEP_1)
	v_and_b32_e32 v73, 0x80000000, v73
	v_or3_b32 v71, v28, v73, v71
.LBB325_215:                            ;   in Loop: Header=BB325_12 Depth=1
	s_or_b32 exec_lo, exec_lo, s44
.LBB325_216:                            ;   in Loop: Header=BB325_12 Depth=1
	s_delay_alu instid0(SALU_CYCLE_1)
	s_or_b32 exec_lo, exec_lo, s43
.LBB325_217:                            ;   in Loop: Header=BB325_12 Depth=1
	s_delay_alu instid0(SALU_CYCLE_1) | instskip(SKIP_2) | instid1(VALU_DEP_1)
	s_or_b32 exec_lo, exec_lo, s42
	v_lshrrev_b16 v28, 8, v75
	s_mov_b32 s42, exec_lo
	v_cmpx_ne_u16_e32 0, v28
	s_cbranch_execz .LBB325_225
; %bb.218:                              ;   in Loop: Header=BB325_12 Depth=1
	v_bfrev_b32_e32 v72, 1
	s_mov_b32 s43, exec_lo
	v_cmpx_ne_u16_e32 0x80, v28
	s_cbranch_execz .LBB325_224
; %bb.219:                              ;   in Loop: Header=BB325_12 Depth=1
	v_and_b32_e32 v28, 0xffff, v28
	v_mov_b32_e32 v72, 0x7f800001
	s_mov_b32 s44, exec_lo
	s_delay_alu instid0(VALU_DEP_2) | instskip(NEXT) | instid1(VALU_DEP_1)
	v_and_b32_e32 v73, 0x7f, v28
	v_cmpx_ne_u32_e32 0x7f, v73
	s_cbranch_execz .LBB325_223
; %bb.220:                              ;   in Loop: Header=BB325_12 Depth=1
	v_dual_lshrrev_b32 v72, 3, v73 :: v_dual_bitop2_b32 v28, 7, v28 bitop3:0x40
	s_mov_b32 s45, exec_lo
	v_cmpx_gt_u32_e32 8, v73
; %bb.221:                              ;   in Loop: Header=BB325_12 Depth=1
	s_delay_alu instid0(VALU_DEP_2) | instskip(NEXT) | instid1(VALU_DEP_1)
	v_clz_i32_u32_e32 v72, v28
	v_min_u32_e32 v72, 32, v72
	s_delay_alu instid0(VALU_DEP_1) | instskip(SKIP_1) | instid1(VALU_DEP_2)
	v_subrev_nc_u32_e32 v73, 28, v72
	v_sub_nc_u32_e32 v72, 29, v72
	v_lshlrev_b64_e32 v[76:77], v73, v[28:29]
	s_delay_alu instid0(VALU_DEP_1)
	v_and_b32_e32 v28, 7, v76
; %bb.222:                              ;   in Loop: Header=BB325_12 Depth=1
	s_or_b32 exec_lo, exec_lo, s45
	s_delay_alu instid0(VALU_DEP_1) | instskip(SKIP_1) | instid1(VALU_DEP_2)
	v_dual_lshlrev_b32 v73, 16, v75 :: v_dual_lshlrev_b32 v28, 20, v28
	v_lshl_add_u32 v72, v72, 23, 0x3c000000
	v_and_b32_e32 v73, 0x80000000, v73
	s_delay_alu instid0(VALU_DEP_1)
	v_or3_b32 v72, v28, v73, v72
.LBB325_223:                            ;   in Loop: Header=BB325_12 Depth=1
	s_or_b32 exec_lo, exec_lo, s44
.LBB325_224:                            ;   in Loop: Header=BB325_12 Depth=1
	s_delay_alu instid0(SALU_CYCLE_1)
	s_or_b32 exec_lo, exec_lo, s43
.LBB325_225:                            ;   in Loop: Header=BB325_12 Depth=1
	s_delay_alu instid0(SALU_CYCLE_1) | instskip(SKIP_3) | instid1(VALU_DEP_2)
	s_or_b32 exec_lo, exec_lo, s42
	v_dual_mov_b32 v73, 0 :: v_dual_lshrrev_b32 v76, 16, v75
	v_mov_b32_e32 v74, 0
	s_mov_b32 s42, exec_lo
	v_and_b32_e32 v28, 0xff, v76
	s_delay_alu instid0(VALU_DEP_1)
	v_cmpx_ne_u16_e32 0, v28
	s_cbranch_execz .LBB325_233
; %bb.226:                              ;   in Loop: Header=BB325_12 Depth=1
	v_bfrev_b32_e32 v74, 1
	s_mov_b32 s43, exec_lo
	v_cmpx_ne_u16_e32 0x80, v28
	s_cbranch_execz .LBB325_232
; %bb.227:                              ;   in Loop: Header=BB325_12 Depth=1
	v_bfe_u32 v77, v75, 16, 7
	v_mov_b32_e32 v74, 0x7f800001
	s_mov_b32 s44, exec_lo
	s_delay_alu instid0(VALU_DEP_2)
	v_cmpx_ne_u32_e32 0x7f, v77
	s_cbranch_execz .LBB325_231
; %bb.228:                              ;   in Loop: Header=BB325_12 Depth=1
	v_dual_lshrrev_b32 v74, 3, v77 :: v_dual_bitop2_b32 v28, 7, v76 bitop3:0x40
	s_mov_b32 s45, exec_lo
	v_cmpx_gt_u32_e32 8, v77
; %bb.229:                              ;   in Loop: Header=BB325_12 Depth=1
	s_delay_alu instid0(VALU_DEP_2) | instskip(NEXT) | instid1(VALU_DEP_1)
	v_clz_i32_u32_e32 v74, v28
	v_min_u32_e32 v74, 32, v74
	s_delay_alu instid0(VALU_DEP_1) | instskip(SKIP_1) | instid1(VALU_DEP_2)
	v_subrev_nc_u32_e32 v77, 28, v74
	v_sub_nc_u32_e32 v74, 29, v74
	v_lshlrev_b64_e32 v[78:79], v77, v[28:29]
	s_delay_alu instid0(VALU_DEP_1)
	v_and_b32_e32 v28, 7, v78
; %bb.230:                              ;   in Loop: Header=BB325_12 Depth=1
	s_or_b32 exec_lo, exec_lo, s45
	v_lshlrev_b32_e32 v76, 24, v76
	s_delay_alu instid0(VALU_DEP_2) | instskip(SKIP_1) | instid1(VALU_DEP_3)
	v_lshlrev_b32_e32 v28, 20, v28
	v_lshl_add_u32 v74, v74, 23, 0x3c000000
	v_and_b32_e32 v76, 0x80000000, v76
	s_delay_alu instid0(VALU_DEP_1)
	v_or3_b32 v74, v28, v76, v74
.LBB325_231:                            ;   in Loop: Header=BB325_12 Depth=1
	s_or_b32 exec_lo, exec_lo, s44
.LBB325_232:                            ;   in Loop: Header=BB325_12 Depth=1
	s_delay_alu instid0(SALU_CYCLE_1)
	s_or_b32 exec_lo, exec_lo, s43
.LBB325_233:                            ;   in Loop: Header=BB325_12 Depth=1
	s_delay_alu instid0(SALU_CYCLE_1) | instskip(NEXT) | instid1(SALU_CYCLE_1)
	s_or_b32 exec_lo, exec_lo, s42
	s_mov_b32 s42, exec_lo
	v_cmpx_lt_u32_e32 0xffffff, v75
	s_cbranch_execz .LBB325_241
; %bb.234:                              ;   in Loop: Header=BB325_12 Depth=1
	v_lshrrev_b32_e32 v76, 24, v75
	v_bfrev_b32_e32 v73, 1
	s_mov_b32 s43, exec_lo
	s_delay_alu instid0(VALU_DEP_2)
	v_cmpx_ne_u32_e32 0x80, v76
	s_cbranch_execz .LBB325_240
; %bb.235:                              ;   in Loop: Header=BB325_12 Depth=1
	v_bfe_u32 v75, v75, 24, 7
	v_mov_b32_e32 v73, 0x7f800001
	s_mov_b32 s44, exec_lo
	s_delay_alu instid0(VALU_DEP_2)
	v_cmpx_ne_u32_e32 0x7f, v75
	s_cbranch_execz .LBB325_239
; %bb.236:                              ;   in Loop: Header=BB325_12 Depth=1
	v_dual_lshrrev_b32 v73, 3, v75 :: v_dual_bitop2_b32 v28, 7, v76 bitop3:0x40
	s_mov_b32 s45, exec_lo
	v_cmpx_gt_u32_e32 8, v75
; %bb.237:                              ;   in Loop: Header=BB325_12 Depth=1
	s_delay_alu instid0(VALU_DEP_2) | instskip(NEXT) | instid1(VALU_DEP_1)
	v_clz_i32_u32_e32 v73, v28
	v_min_u32_e32 v73, 32, v73
	s_delay_alu instid0(VALU_DEP_1) | instskip(NEXT) | instid1(VALU_DEP_1)
	v_subrev_nc_u32_e32 v75, 28, v73
	v_lshlrev_b64_e32 v[78:79], v75, v[28:29]
	s_delay_alu instid0(VALU_DEP_1)
	v_dual_sub_nc_u32 v73, 29, v73 :: v_dual_bitop2_b32 v28, 7, v78 bitop3:0x40
; %bb.238:                              ;   in Loop: Header=BB325_12 Depth=1
	s_or_b32 exec_lo, exec_lo, s45
	v_lshlrev_b32_e32 v75, 24, v76
	s_delay_alu instid0(VALU_DEP_2) | instskip(NEXT) | instid1(VALU_DEP_3)
	v_lshlrev_b32_e32 v28, 20, v28
	v_lshl_add_u32 v73, v73, 23, 0x3c000000
	s_delay_alu instid0(VALU_DEP_3) | instskip(NEXT) | instid1(VALU_DEP_1)
	v_and_b32_e32 v75, 0x80000000, v75
	v_or3_b32 v73, v28, v75, v73
.LBB325_239:                            ;   in Loop: Header=BB325_12 Depth=1
	s_or_b32 exec_lo, exec_lo, s44
.LBB325_240:                            ;   in Loop: Header=BB325_12 Depth=1
	s_delay_alu instid0(SALU_CYCLE_1)
	s_or_b32 exec_lo, exec_lo, s43
.LBB325_241:                            ;   in Loop: Header=BB325_12 Depth=1
	s_delay_alu instid0(SALU_CYCLE_1)
	s_or_b32 exec_lo, exec_lo, s42
	global_load_b32 v79, v[36:37], off offset:776
	v_dual_mov_b32 v76, 0 :: v_dual_mov_b32 v75, 0
	s_mov_b32 s42, exec_lo
	s_wait_loadcnt 0x0
	v_and_b32_e32 v28, 0xff, v79
	s_delay_alu instid0(VALU_DEP_1)
	v_cmpx_ne_u16_e32 0, v28
	s_cbranch_execz .LBB325_249
; %bb.242:                              ;   in Loop: Header=BB325_12 Depth=1
	v_bfrev_b32_e32 v75, 1
	s_mov_b32 s43, exec_lo
	v_cmpx_ne_u16_e32 0x80, v28
	s_cbranch_execz .LBB325_248
; %bb.243:                              ;   in Loop: Header=BB325_12 Depth=1
	v_and_b32_e32 v77, 0x7f, v79
	v_mov_b32_e32 v75, 0x7f800001
	s_mov_b32 s44, exec_lo
	s_delay_alu instid0(VALU_DEP_2)
	v_cmpx_ne_u32_e32 0x7f, v77
	s_cbranch_execz .LBB325_247
; %bb.244:                              ;   in Loop: Header=BB325_12 Depth=1
	v_dual_lshrrev_b32 v75, 3, v77 :: v_dual_bitop2_b32 v28, 7, v79 bitop3:0x40
	s_mov_b32 s45, exec_lo
	v_cmpx_gt_u32_e32 8, v77
; %bb.245:                              ;   in Loop: Header=BB325_12 Depth=1
	s_delay_alu instid0(VALU_DEP_2) | instskip(NEXT) | instid1(VALU_DEP_1)
	v_clz_i32_u32_e32 v75, v28
	v_min_u32_e32 v75, 32, v75
	s_delay_alu instid0(VALU_DEP_1) | instskip(NEXT) | instid1(VALU_DEP_1)
	v_subrev_nc_u32_e32 v77, 28, v75
	v_lshlrev_b64_e32 v[80:81], v77, v[28:29]
	s_delay_alu instid0(VALU_DEP_1)
	v_dual_sub_nc_u32 v75, 29, v75 :: v_dual_bitop2_b32 v28, 7, v80 bitop3:0x40
; %bb.246:                              ;   in Loop: Header=BB325_12 Depth=1
	s_or_b32 exec_lo, exec_lo, s45
	s_delay_alu instid0(VALU_DEP_1) | instskip(NEXT) | instid1(VALU_DEP_2)
	v_dual_lshlrev_b32 v77, 24, v79 :: v_dual_lshlrev_b32 v28, 20, v28
	v_lshl_add_u32 v75, v75, 23, 0x3c000000
	s_delay_alu instid0(VALU_DEP_2) | instskip(NEXT) | instid1(VALU_DEP_1)
	v_and_b32_e32 v77, 0x80000000, v77
	v_or3_b32 v75, v28, v77, v75
.LBB325_247:                            ;   in Loop: Header=BB325_12 Depth=1
	s_or_b32 exec_lo, exec_lo, s44
.LBB325_248:                            ;   in Loop: Header=BB325_12 Depth=1
	s_delay_alu instid0(SALU_CYCLE_1)
	s_or_b32 exec_lo, exec_lo, s43
.LBB325_249:                            ;   in Loop: Header=BB325_12 Depth=1
	s_delay_alu instid0(SALU_CYCLE_1) | instskip(SKIP_2) | instid1(VALU_DEP_1)
	s_or_b32 exec_lo, exec_lo, s42
	v_lshrrev_b16 v28, 8, v79
	s_mov_b32 s42, exec_lo
	v_cmpx_ne_u16_e32 0, v28
	s_cbranch_execz .LBB325_257
; %bb.250:                              ;   in Loop: Header=BB325_12 Depth=1
	v_bfrev_b32_e32 v76, 1
	s_mov_b32 s43, exec_lo
	v_cmpx_ne_u16_e32 0x80, v28
	s_cbranch_execz .LBB325_256
; %bb.251:                              ;   in Loop: Header=BB325_12 Depth=1
	v_and_b32_e32 v28, 0xffff, v28
	v_mov_b32_e32 v76, 0x7f800001
	s_mov_b32 s44, exec_lo
	s_delay_alu instid0(VALU_DEP_2) | instskip(NEXT) | instid1(VALU_DEP_1)
	v_and_b32_e32 v77, 0x7f, v28
	v_cmpx_ne_u32_e32 0x7f, v77
	s_cbranch_execz .LBB325_255
; %bb.252:                              ;   in Loop: Header=BB325_12 Depth=1
	v_dual_lshrrev_b32 v76, 3, v77 :: v_dual_bitop2_b32 v28, 7, v28 bitop3:0x40
	s_mov_b32 s45, exec_lo
	v_cmpx_gt_u32_e32 8, v77
; %bb.253:                              ;   in Loop: Header=BB325_12 Depth=1
	s_delay_alu instid0(VALU_DEP_2) | instskip(NEXT) | instid1(VALU_DEP_1)
	v_clz_i32_u32_e32 v76, v28
	v_min_u32_e32 v76, 32, v76
	s_delay_alu instid0(VALU_DEP_1) | instskip(SKIP_1) | instid1(VALU_DEP_2)
	v_subrev_nc_u32_e32 v77, 28, v76
	v_sub_nc_u32_e32 v76, 29, v76
	v_lshlrev_b64_e32 v[80:81], v77, v[28:29]
	s_delay_alu instid0(VALU_DEP_1)
	v_and_b32_e32 v28, 7, v80
; %bb.254:                              ;   in Loop: Header=BB325_12 Depth=1
	s_or_b32 exec_lo, exec_lo, s45
	s_delay_alu instid0(VALU_DEP_1) | instskip(SKIP_1) | instid1(VALU_DEP_2)
	v_dual_lshlrev_b32 v77, 16, v79 :: v_dual_lshlrev_b32 v28, 20, v28
	v_lshl_add_u32 v76, v76, 23, 0x3c000000
	v_and_b32_e32 v77, 0x80000000, v77
	s_delay_alu instid0(VALU_DEP_1)
	v_or3_b32 v76, v28, v77, v76
.LBB325_255:                            ;   in Loop: Header=BB325_12 Depth=1
	s_or_b32 exec_lo, exec_lo, s44
.LBB325_256:                            ;   in Loop: Header=BB325_12 Depth=1
	s_delay_alu instid0(SALU_CYCLE_1)
	s_or_b32 exec_lo, exec_lo, s43
.LBB325_257:                            ;   in Loop: Header=BB325_12 Depth=1
	s_delay_alu instid0(SALU_CYCLE_1) | instskip(SKIP_3) | instid1(VALU_DEP_2)
	s_or_b32 exec_lo, exec_lo, s42
	v_dual_mov_b32 v77, 0 :: v_dual_lshrrev_b32 v80, 16, v79
	v_mov_b32_e32 v78, 0
	s_mov_b32 s42, exec_lo
	v_and_b32_e32 v28, 0xff, v80
	s_delay_alu instid0(VALU_DEP_1)
	v_cmpx_ne_u16_e32 0, v28
	s_cbranch_execz .LBB325_265
; %bb.258:                              ;   in Loop: Header=BB325_12 Depth=1
	v_bfrev_b32_e32 v78, 1
	s_mov_b32 s43, exec_lo
	v_cmpx_ne_u16_e32 0x80, v28
	s_cbranch_execz .LBB325_264
; %bb.259:                              ;   in Loop: Header=BB325_12 Depth=1
	v_bfe_u32 v81, v79, 16, 7
	v_mov_b32_e32 v78, 0x7f800001
	s_mov_b32 s44, exec_lo
	s_delay_alu instid0(VALU_DEP_2)
	v_cmpx_ne_u32_e32 0x7f, v81
	s_cbranch_execz .LBB325_263
; %bb.260:                              ;   in Loop: Header=BB325_12 Depth=1
	v_dual_lshrrev_b32 v78, 3, v81 :: v_dual_bitop2_b32 v28, 7, v80 bitop3:0x40
	s_mov_b32 s45, exec_lo
	v_cmpx_gt_u32_e32 8, v81
; %bb.261:                              ;   in Loop: Header=BB325_12 Depth=1
	s_delay_alu instid0(VALU_DEP_2) | instskip(NEXT) | instid1(VALU_DEP_1)
	v_clz_i32_u32_e32 v78, v28
	v_min_u32_e32 v78, 32, v78
	s_delay_alu instid0(VALU_DEP_1) | instskip(SKIP_1) | instid1(VALU_DEP_2)
	v_subrev_nc_u32_e32 v81, 28, v78
	v_sub_nc_u32_e32 v78, 29, v78
	v_lshlrev_b64_e32 v[82:83], v81, v[28:29]
	s_delay_alu instid0(VALU_DEP_1)
	v_and_b32_e32 v28, 7, v82
; %bb.262:                              ;   in Loop: Header=BB325_12 Depth=1
	s_or_b32 exec_lo, exec_lo, s45
	v_lshlrev_b32_e32 v80, 24, v80
	s_delay_alu instid0(VALU_DEP_2) | instskip(SKIP_1) | instid1(VALU_DEP_3)
	v_lshlrev_b32_e32 v28, 20, v28
	v_lshl_add_u32 v78, v78, 23, 0x3c000000
	v_and_b32_e32 v80, 0x80000000, v80
	s_delay_alu instid0(VALU_DEP_1)
	v_or3_b32 v78, v28, v80, v78
.LBB325_263:                            ;   in Loop: Header=BB325_12 Depth=1
	s_or_b32 exec_lo, exec_lo, s44
.LBB325_264:                            ;   in Loop: Header=BB325_12 Depth=1
	s_delay_alu instid0(SALU_CYCLE_1)
	s_or_b32 exec_lo, exec_lo, s43
.LBB325_265:                            ;   in Loop: Header=BB325_12 Depth=1
	s_delay_alu instid0(SALU_CYCLE_1) | instskip(NEXT) | instid1(SALU_CYCLE_1)
	s_or_b32 exec_lo, exec_lo, s42
	s_mov_b32 s42, exec_lo
	v_cmpx_lt_u32_e32 0xffffff, v79
	s_cbranch_execz .LBB325_273
; %bb.266:                              ;   in Loop: Header=BB325_12 Depth=1
	v_lshrrev_b32_e32 v80, 24, v79
	v_bfrev_b32_e32 v77, 1
	s_mov_b32 s43, exec_lo
	s_delay_alu instid0(VALU_DEP_2)
	v_cmpx_ne_u32_e32 0x80, v80
	s_cbranch_execz .LBB325_272
; %bb.267:                              ;   in Loop: Header=BB325_12 Depth=1
	v_bfe_u32 v79, v79, 24, 7
	v_mov_b32_e32 v77, 0x7f800001
	s_mov_b32 s44, exec_lo
	s_delay_alu instid0(VALU_DEP_2)
	v_cmpx_ne_u32_e32 0x7f, v79
	s_cbranch_execz .LBB325_271
; %bb.268:                              ;   in Loop: Header=BB325_12 Depth=1
	v_dual_lshrrev_b32 v77, 3, v79 :: v_dual_bitop2_b32 v28, 7, v80 bitop3:0x40
	s_mov_b32 s45, exec_lo
	v_cmpx_gt_u32_e32 8, v79
; %bb.269:                              ;   in Loop: Header=BB325_12 Depth=1
	s_delay_alu instid0(VALU_DEP_2) | instskip(NEXT) | instid1(VALU_DEP_1)
	v_clz_i32_u32_e32 v77, v28
	v_min_u32_e32 v77, 32, v77
	s_delay_alu instid0(VALU_DEP_1) | instskip(NEXT) | instid1(VALU_DEP_1)
	v_subrev_nc_u32_e32 v79, 28, v77
	v_lshlrev_b64_e32 v[82:83], v79, v[28:29]
	s_delay_alu instid0(VALU_DEP_1)
	v_dual_sub_nc_u32 v77, 29, v77 :: v_dual_bitop2_b32 v28, 7, v82 bitop3:0x40
; %bb.270:                              ;   in Loop: Header=BB325_12 Depth=1
	s_or_b32 exec_lo, exec_lo, s45
	v_lshlrev_b32_e32 v79, 24, v80
	s_delay_alu instid0(VALU_DEP_2) | instskip(NEXT) | instid1(VALU_DEP_3)
	v_lshlrev_b32_e32 v28, 20, v28
	v_lshl_add_u32 v77, v77, 23, 0x3c000000
	s_delay_alu instid0(VALU_DEP_3) | instskip(NEXT) | instid1(VALU_DEP_1)
	v_and_b32_e32 v79, 0x80000000, v79
	v_or3_b32 v77, v28, v79, v77
.LBB325_271:                            ;   in Loop: Header=BB325_12 Depth=1
	s_or_b32 exec_lo, exec_lo, s44
.LBB325_272:                            ;   in Loop: Header=BB325_12 Depth=1
	s_delay_alu instid0(SALU_CYCLE_1)
	s_or_b32 exec_lo, exec_lo, s43
.LBB325_273:                            ;   in Loop: Header=BB325_12 Depth=1
	s_delay_alu instid0(SALU_CYCLE_1)
	s_or_b32 exec_lo, exec_lo, s42
	global_load_b32 v83, v[36:37], off offset:1024
	v_dual_mov_b32 v80, 0 :: v_dual_mov_b32 v79, 0
	s_mov_b32 s42, exec_lo
	s_wait_loadcnt 0x0
	v_and_b32_e32 v28, 0xff, v83
	s_delay_alu instid0(VALU_DEP_1)
	v_cmpx_ne_u16_e32 0, v28
	s_cbranch_execz .LBB325_281
; %bb.274:                              ;   in Loop: Header=BB325_12 Depth=1
	v_bfrev_b32_e32 v79, 1
	s_mov_b32 s43, exec_lo
	v_cmpx_ne_u16_e32 0x80, v28
	s_cbranch_execz .LBB325_280
; %bb.275:                              ;   in Loop: Header=BB325_12 Depth=1
	v_and_b32_e32 v81, 0x7f, v83
	v_mov_b32_e32 v79, 0x7f800001
	s_mov_b32 s44, exec_lo
	s_delay_alu instid0(VALU_DEP_2)
	v_cmpx_ne_u32_e32 0x7f, v81
	s_cbranch_execz .LBB325_279
; %bb.276:                              ;   in Loop: Header=BB325_12 Depth=1
	v_dual_lshrrev_b32 v79, 3, v81 :: v_dual_bitop2_b32 v28, 7, v83 bitop3:0x40
	s_mov_b32 s45, exec_lo
	v_cmpx_gt_u32_e32 8, v81
; %bb.277:                              ;   in Loop: Header=BB325_12 Depth=1
	s_delay_alu instid0(VALU_DEP_2) | instskip(NEXT) | instid1(VALU_DEP_1)
	v_clz_i32_u32_e32 v79, v28
	v_min_u32_e32 v79, 32, v79
	s_delay_alu instid0(VALU_DEP_1) | instskip(NEXT) | instid1(VALU_DEP_1)
	v_subrev_nc_u32_e32 v81, 28, v79
	v_lshlrev_b64_e32 v[84:85], v81, v[28:29]
	s_delay_alu instid0(VALU_DEP_1)
	v_dual_sub_nc_u32 v79, 29, v79 :: v_dual_bitop2_b32 v28, 7, v84 bitop3:0x40
; %bb.278:                              ;   in Loop: Header=BB325_12 Depth=1
	s_or_b32 exec_lo, exec_lo, s45
	s_delay_alu instid0(VALU_DEP_1) | instskip(NEXT) | instid1(VALU_DEP_2)
	v_dual_lshlrev_b32 v81, 24, v83 :: v_dual_lshlrev_b32 v28, 20, v28
	v_lshl_add_u32 v79, v79, 23, 0x3c000000
	s_delay_alu instid0(VALU_DEP_2) | instskip(NEXT) | instid1(VALU_DEP_1)
	v_and_b32_e32 v81, 0x80000000, v81
	v_or3_b32 v79, v28, v81, v79
.LBB325_279:                            ;   in Loop: Header=BB325_12 Depth=1
	s_or_b32 exec_lo, exec_lo, s44
.LBB325_280:                            ;   in Loop: Header=BB325_12 Depth=1
	s_delay_alu instid0(SALU_CYCLE_1)
	s_or_b32 exec_lo, exec_lo, s43
.LBB325_281:                            ;   in Loop: Header=BB325_12 Depth=1
	s_delay_alu instid0(SALU_CYCLE_1) | instskip(SKIP_2) | instid1(VALU_DEP_1)
	s_or_b32 exec_lo, exec_lo, s42
	v_lshrrev_b16 v28, 8, v83
	s_mov_b32 s42, exec_lo
	v_cmpx_ne_u16_e32 0, v28
	s_cbranch_execz .LBB325_289
; %bb.282:                              ;   in Loop: Header=BB325_12 Depth=1
	v_bfrev_b32_e32 v80, 1
	s_mov_b32 s43, exec_lo
	v_cmpx_ne_u16_e32 0x80, v28
	s_cbranch_execz .LBB325_288
; %bb.283:                              ;   in Loop: Header=BB325_12 Depth=1
	v_and_b32_e32 v28, 0xffff, v28
	v_mov_b32_e32 v80, 0x7f800001
	s_mov_b32 s44, exec_lo
	s_delay_alu instid0(VALU_DEP_2) | instskip(NEXT) | instid1(VALU_DEP_1)
	v_and_b32_e32 v81, 0x7f, v28
	v_cmpx_ne_u32_e32 0x7f, v81
	s_cbranch_execz .LBB325_287
; %bb.284:                              ;   in Loop: Header=BB325_12 Depth=1
	v_dual_lshrrev_b32 v80, 3, v81 :: v_dual_bitop2_b32 v28, 7, v28 bitop3:0x40
	s_mov_b32 s45, exec_lo
	v_cmpx_gt_u32_e32 8, v81
; %bb.285:                              ;   in Loop: Header=BB325_12 Depth=1
	s_delay_alu instid0(VALU_DEP_2) | instskip(NEXT) | instid1(VALU_DEP_1)
	v_clz_i32_u32_e32 v80, v28
	v_min_u32_e32 v80, 32, v80
	s_delay_alu instid0(VALU_DEP_1) | instskip(SKIP_1) | instid1(VALU_DEP_2)
	v_subrev_nc_u32_e32 v81, 28, v80
	v_sub_nc_u32_e32 v80, 29, v80
	v_lshlrev_b64_e32 v[84:85], v81, v[28:29]
	s_delay_alu instid0(VALU_DEP_1)
	v_and_b32_e32 v28, 7, v84
; %bb.286:                              ;   in Loop: Header=BB325_12 Depth=1
	s_or_b32 exec_lo, exec_lo, s45
	s_delay_alu instid0(VALU_DEP_1) | instskip(SKIP_1) | instid1(VALU_DEP_2)
	v_dual_lshlrev_b32 v81, 16, v83 :: v_dual_lshlrev_b32 v28, 20, v28
	v_lshl_add_u32 v80, v80, 23, 0x3c000000
	v_and_b32_e32 v81, 0x80000000, v81
	s_delay_alu instid0(VALU_DEP_1)
	v_or3_b32 v80, v28, v81, v80
.LBB325_287:                            ;   in Loop: Header=BB325_12 Depth=1
	s_or_b32 exec_lo, exec_lo, s44
.LBB325_288:                            ;   in Loop: Header=BB325_12 Depth=1
	s_delay_alu instid0(SALU_CYCLE_1)
	s_or_b32 exec_lo, exec_lo, s43
.LBB325_289:                            ;   in Loop: Header=BB325_12 Depth=1
	s_delay_alu instid0(SALU_CYCLE_1) | instskip(SKIP_3) | instid1(VALU_DEP_2)
	s_or_b32 exec_lo, exec_lo, s42
	v_dual_mov_b32 v81, 0 :: v_dual_lshrrev_b32 v84, 16, v83
	v_mov_b32_e32 v82, 0
	s_mov_b32 s42, exec_lo
	v_and_b32_e32 v28, 0xff, v84
	s_delay_alu instid0(VALU_DEP_1)
	v_cmpx_ne_u16_e32 0, v28
	s_cbranch_execz .LBB325_297
; %bb.290:                              ;   in Loop: Header=BB325_12 Depth=1
	v_bfrev_b32_e32 v82, 1
	s_mov_b32 s43, exec_lo
	v_cmpx_ne_u16_e32 0x80, v28
	s_cbranch_execz .LBB325_296
; %bb.291:                              ;   in Loop: Header=BB325_12 Depth=1
	v_bfe_u32 v85, v83, 16, 7
	v_mov_b32_e32 v82, 0x7f800001
	s_mov_b32 s44, exec_lo
	s_delay_alu instid0(VALU_DEP_2)
	v_cmpx_ne_u32_e32 0x7f, v85
	s_cbranch_execz .LBB325_295
; %bb.292:                              ;   in Loop: Header=BB325_12 Depth=1
	v_dual_lshrrev_b32 v82, 3, v85 :: v_dual_bitop2_b32 v28, 7, v84 bitop3:0x40
	s_mov_b32 s45, exec_lo
	v_cmpx_gt_u32_e32 8, v85
; %bb.293:                              ;   in Loop: Header=BB325_12 Depth=1
	s_delay_alu instid0(VALU_DEP_2) | instskip(NEXT) | instid1(VALU_DEP_1)
	v_clz_i32_u32_e32 v82, v28
	v_min_u32_e32 v82, 32, v82
	s_delay_alu instid0(VALU_DEP_1) | instskip(SKIP_1) | instid1(VALU_DEP_2)
	v_subrev_nc_u32_e32 v85, 28, v82
	v_sub_nc_u32_e32 v82, 29, v82
	v_lshlrev_b64_e32 v[86:87], v85, v[28:29]
	s_delay_alu instid0(VALU_DEP_1)
	v_and_b32_e32 v28, 7, v86
; %bb.294:                              ;   in Loop: Header=BB325_12 Depth=1
	s_or_b32 exec_lo, exec_lo, s45
	v_lshlrev_b32_e32 v84, 24, v84
	s_delay_alu instid0(VALU_DEP_2) | instskip(SKIP_1) | instid1(VALU_DEP_3)
	v_lshlrev_b32_e32 v28, 20, v28
	v_lshl_add_u32 v82, v82, 23, 0x3c000000
	v_and_b32_e32 v84, 0x80000000, v84
	s_delay_alu instid0(VALU_DEP_1)
	v_or3_b32 v82, v28, v84, v82
.LBB325_295:                            ;   in Loop: Header=BB325_12 Depth=1
	s_or_b32 exec_lo, exec_lo, s44
.LBB325_296:                            ;   in Loop: Header=BB325_12 Depth=1
	s_delay_alu instid0(SALU_CYCLE_1)
	s_or_b32 exec_lo, exec_lo, s43
.LBB325_297:                            ;   in Loop: Header=BB325_12 Depth=1
	s_delay_alu instid0(SALU_CYCLE_1) | instskip(NEXT) | instid1(SALU_CYCLE_1)
	s_or_b32 exec_lo, exec_lo, s42
	s_mov_b32 s42, exec_lo
	v_cmpx_lt_u32_e32 0xffffff, v83
	s_cbranch_execz .LBB325_305
; %bb.298:                              ;   in Loop: Header=BB325_12 Depth=1
	v_lshrrev_b32_e32 v84, 24, v83
	v_bfrev_b32_e32 v81, 1
	s_mov_b32 s43, exec_lo
	s_delay_alu instid0(VALU_DEP_2)
	v_cmpx_ne_u32_e32 0x80, v84
	s_cbranch_execz .LBB325_304
; %bb.299:                              ;   in Loop: Header=BB325_12 Depth=1
	v_bfe_u32 v83, v83, 24, 7
	v_mov_b32_e32 v81, 0x7f800001
	s_mov_b32 s44, exec_lo
	s_delay_alu instid0(VALU_DEP_2)
	v_cmpx_ne_u32_e32 0x7f, v83
	s_cbranch_execz .LBB325_303
; %bb.300:                              ;   in Loop: Header=BB325_12 Depth=1
	v_dual_lshrrev_b32 v81, 3, v83 :: v_dual_bitop2_b32 v28, 7, v84 bitop3:0x40
	s_mov_b32 s45, exec_lo
	v_cmpx_gt_u32_e32 8, v83
; %bb.301:                              ;   in Loop: Header=BB325_12 Depth=1
	s_delay_alu instid0(VALU_DEP_2) | instskip(NEXT) | instid1(VALU_DEP_1)
	v_clz_i32_u32_e32 v81, v28
	v_min_u32_e32 v81, 32, v81
	s_delay_alu instid0(VALU_DEP_1) | instskip(NEXT) | instid1(VALU_DEP_1)
	v_subrev_nc_u32_e32 v83, 28, v81
	v_lshlrev_b64_e32 v[86:87], v83, v[28:29]
	s_delay_alu instid0(VALU_DEP_1)
	v_dual_sub_nc_u32 v81, 29, v81 :: v_dual_bitop2_b32 v28, 7, v86 bitop3:0x40
; %bb.302:                              ;   in Loop: Header=BB325_12 Depth=1
	s_or_b32 exec_lo, exec_lo, s45
	v_lshlrev_b32_e32 v83, 24, v84
	s_delay_alu instid0(VALU_DEP_2) | instskip(NEXT) | instid1(VALU_DEP_3)
	v_lshlrev_b32_e32 v28, 20, v28
	v_lshl_add_u32 v81, v81, 23, 0x3c000000
	s_delay_alu instid0(VALU_DEP_3) | instskip(NEXT) | instid1(VALU_DEP_1)
	v_and_b32_e32 v83, 0x80000000, v83
	v_or3_b32 v81, v28, v83, v81
.LBB325_303:                            ;   in Loop: Header=BB325_12 Depth=1
	s_or_b32 exec_lo, exec_lo, s44
.LBB325_304:                            ;   in Loop: Header=BB325_12 Depth=1
	s_delay_alu instid0(SALU_CYCLE_1)
	s_or_b32 exec_lo, exec_lo, s43
.LBB325_305:                            ;   in Loop: Header=BB325_12 Depth=1
	s_delay_alu instid0(SALU_CYCLE_1)
	s_or_b32 exec_lo, exec_lo, s42
	global_load_b32 v87, v[36:37], off offset:1032
	v_dual_mov_b32 v84, 0 :: v_dual_mov_b32 v83, 0
	s_mov_b32 s42, exec_lo
	s_wait_loadcnt 0x0
	v_and_b32_e32 v28, 0xff, v87
	s_delay_alu instid0(VALU_DEP_1)
	v_cmpx_ne_u16_e32 0, v28
	s_cbranch_execz .LBB325_313
; %bb.306:                              ;   in Loop: Header=BB325_12 Depth=1
	v_bfrev_b32_e32 v83, 1
	s_mov_b32 s43, exec_lo
	v_cmpx_ne_u16_e32 0x80, v28
	s_cbranch_execz .LBB325_312
; %bb.307:                              ;   in Loop: Header=BB325_12 Depth=1
	v_and_b32_e32 v85, 0x7f, v87
	v_mov_b32_e32 v83, 0x7f800001
	s_mov_b32 s44, exec_lo
	s_delay_alu instid0(VALU_DEP_2)
	v_cmpx_ne_u32_e32 0x7f, v85
	s_cbranch_execz .LBB325_311
; %bb.308:                              ;   in Loop: Header=BB325_12 Depth=1
	v_dual_lshrrev_b32 v83, 3, v85 :: v_dual_bitop2_b32 v28, 7, v87 bitop3:0x40
	s_mov_b32 s45, exec_lo
	v_cmpx_gt_u32_e32 8, v85
; %bb.309:                              ;   in Loop: Header=BB325_12 Depth=1
	s_delay_alu instid0(VALU_DEP_2) | instskip(NEXT) | instid1(VALU_DEP_1)
	v_clz_i32_u32_e32 v83, v28
	v_min_u32_e32 v83, 32, v83
	s_delay_alu instid0(VALU_DEP_1) | instskip(NEXT) | instid1(VALU_DEP_1)
	v_subrev_nc_u32_e32 v85, 28, v83
	v_lshlrev_b64_e32 v[88:89], v85, v[28:29]
	s_delay_alu instid0(VALU_DEP_1)
	v_dual_sub_nc_u32 v83, 29, v83 :: v_dual_bitop2_b32 v28, 7, v88 bitop3:0x40
; %bb.310:                              ;   in Loop: Header=BB325_12 Depth=1
	s_or_b32 exec_lo, exec_lo, s45
	s_delay_alu instid0(VALU_DEP_1) | instskip(NEXT) | instid1(VALU_DEP_2)
	v_dual_lshlrev_b32 v85, 24, v87 :: v_dual_lshlrev_b32 v28, 20, v28
	v_lshl_add_u32 v83, v83, 23, 0x3c000000
	s_delay_alu instid0(VALU_DEP_2) | instskip(NEXT) | instid1(VALU_DEP_1)
	v_and_b32_e32 v85, 0x80000000, v85
	v_or3_b32 v83, v28, v85, v83
.LBB325_311:                            ;   in Loop: Header=BB325_12 Depth=1
	s_or_b32 exec_lo, exec_lo, s44
.LBB325_312:                            ;   in Loop: Header=BB325_12 Depth=1
	s_delay_alu instid0(SALU_CYCLE_1)
	s_or_b32 exec_lo, exec_lo, s43
.LBB325_313:                            ;   in Loop: Header=BB325_12 Depth=1
	s_delay_alu instid0(SALU_CYCLE_1) | instskip(SKIP_2) | instid1(VALU_DEP_1)
	s_or_b32 exec_lo, exec_lo, s42
	v_lshrrev_b16 v28, 8, v87
	s_mov_b32 s42, exec_lo
	v_cmpx_ne_u16_e32 0, v28
	s_cbranch_execz .LBB325_321
; %bb.314:                              ;   in Loop: Header=BB325_12 Depth=1
	v_bfrev_b32_e32 v84, 1
	s_mov_b32 s43, exec_lo
	v_cmpx_ne_u16_e32 0x80, v28
	s_cbranch_execz .LBB325_320
; %bb.315:                              ;   in Loop: Header=BB325_12 Depth=1
	v_and_b32_e32 v28, 0xffff, v28
	v_mov_b32_e32 v84, 0x7f800001
	s_mov_b32 s44, exec_lo
	s_delay_alu instid0(VALU_DEP_2) | instskip(NEXT) | instid1(VALU_DEP_1)
	v_and_b32_e32 v85, 0x7f, v28
	v_cmpx_ne_u32_e32 0x7f, v85
	s_cbranch_execz .LBB325_319
; %bb.316:                              ;   in Loop: Header=BB325_12 Depth=1
	v_dual_lshrrev_b32 v84, 3, v85 :: v_dual_bitop2_b32 v28, 7, v28 bitop3:0x40
	s_mov_b32 s45, exec_lo
	v_cmpx_gt_u32_e32 8, v85
; %bb.317:                              ;   in Loop: Header=BB325_12 Depth=1
	s_delay_alu instid0(VALU_DEP_2) | instskip(NEXT) | instid1(VALU_DEP_1)
	v_clz_i32_u32_e32 v84, v28
	v_min_u32_e32 v84, 32, v84
	s_delay_alu instid0(VALU_DEP_1) | instskip(SKIP_1) | instid1(VALU_DEP_2)
	v_subrev_nc_u32_e32 v85, 28, v84
	v_sub_nc_u32_e32 v84, 29, v84
	v_lshlrev_b64_e32 v[88:89], v85, v[28:29]
	s_delay_alu instid0(VALU_DEP_1)
	v_and_b32_e32 v28, 7, v88
; %bb.318:                              ;   in Loop: Header=BB325_12 Depth=1
	s_or_b32 exec_lo, exec_lo, s45
	s_delay_alu instid0(VALU_DEP_1) | instskip(SKIP_1) | instid1(VALU_DEP_2)
	v_dual_lshlrev_b32 v85, 16, v87 :: v_dual_lshlrev_b32 v28, 20, v28
	v_lshl_add_u32 v84, v84, 23, 0x3c000000
	v_and_b32_e32 v85, 0x80000000, v85
	s_delay_alu instid0(VALU_DEP_1)
	v_or3_b32 v84, v28, v85, v84
.LBB325_319:                            ;   in Loop: Header=BB325_12 Depth=1
	s_or_b32 exec_lo, exec_lo, s44
.LBB325_320:                            ;   in Loop: Header=BB325_12 Depth=1
	s_delay_alu instid0(SALU_CYCLE_1)
	s_or_b32 exec_lo, exec_lo, s43
.LBB325_321:                            ;   in Loop: Header=BB325_12 Depth=1
	s_delay_alu instid0(SALU_CYCLE_1) | instskip(SKIP_3) | instid1(VALU_DEP_2)
	s_or_b32 exec_lo, exec_lo, s42
	v_dual_mov_b32 v85, 0 :: v_dual_lshrrev_b32 v88, 16, v87
	v_mov_b32_e32 v86, 0
	s_mov_b32 s42, exec_lo
	v_and_b32_e32 v28, 0xff, v88
	s_delay_alu instid0(VALU_DEP_1)
	v_cmpx_ne_u16_e32 0, v28
	s_cbranch_execz .LBB325_329
; %bb.322:                              ;   in Loop: Header=BB325_12 Depth=1
	v_bfrev_b32_e32 v86, 1
	s_mov_b32 s43, exec_lo
	v_cmpx_ne_u16_e32 0x80, v28
	s_cbranch_execz .LBB325_328
; %bb.323:                              ;   in Loop: Header=BB325_12 Depth=1
	v_bfe_u32 v89, v87, 16, 7
	v_mov_b32_e32 v86, 0x7f800001
	s_mov_b32 s44, exec_lo
	s_delay_alu instid0(VALU_DEP_2)
	v_cmpx_ne_u32_e32 0x7f, v89
	s_cbranch_execz .LBB325_327
; %bb.324:                              ;   in Loop: Header=BB325_12 Depth=1
	v_dual_lshrrev_b32 v86, 3, v89 :: v_dual_bitop2_b32 v28, 7, v88 bitop3:0x40
	s_mov_b32 s45, exec_lo
	v_cmpx_gt_u32_e32 8, v89
; %bb.325:                              ;   in Loop: Header=BB325_12 Depth=1
	s_delay_alu instid0(VALU_DEP_2) | instskip(NEXT) | instid1(VALU_DEP_1)
	v_clz_i32_u32_e32 v86, v28
	v_min_u32_e32 v86, 32, v86
	s_delay_alu instid0(VALU_DEP_1) | instskip(SKIP_1) | instid1(VALU_DEP_2)
	v_subrev_nc_u32_e32 v89, 28, v86
	v_sub_nc_u32_e32 v86, 29, v86
	v_lshlrev_b64_e32 v[90:91], v89, v[28:29]
	s_delay_alu instid0(VALU_DEP_1)
	v_and_b32_e32 v28, 7, v90
; %bb.326:                              ;   in Loop: Header=BB325_12 Depth=1
	s_or_b32 exec_lo, exec_lo, s45
	v_lshlrev_b32_e32 v88, 24, v88
	s_delay_alu instid0(VALU_DEP_2) | instskip(SKIP_1) | instid1(VALU_DEP_3)
	v_lshlrev_b32_e32 v28, 20, v28
	v_lshl_add_u32 v86, v86, 23, 0x3c000000
	v_and_b32_e32 v88, 0x80000000, v88
	s_delay_alu instid0(VALU_DEP_1)
	v_or3_b32 v86, v28, v88, v86
.LBB325_327:                            ;   in Loop: Header=BB325_12 Depth=1
	s_or_b32 exec_lo, exec_lo, s44
.LBB325_328:                            ;   in Loop: Header=BB325_12 Depth=1
	s_delay_alu instid0(SALU_CYCLE_1)
	s_or_b32 exec_lo, exec_lo, s43
.LBB325_329:                            ;   in Loop: Header=BB325_12 Depth=1
	s_delay_alu instid0(SALU_CYCLE_1) | instskip(NEXT) | instid1(SALU_CYCLE_1)
	s_or_b32 exec_lo, exec_lo, s42
	s_mov_b32 s42, exec_lo
	v_cmpx_lt_u32_e32 0xffffff, v87
	s_cbranch_execz .LBB325_337
; %bb.330:                              ;   in Loop: Header=BB325_12 Depth=1
	v_lshrrev_b32_e32 v88, 24, v87
	v_bfrev_b32_e32 v85, 1
	s_mov_b32 s43, exec_lo
	s_delay_alu instid0(VALU_DEP_2)
	v_cmpx_ne_u32_e32 0x80, v88
	s_cbranch_execz .LBB325_336
; %bb.331:                              ;   in Loop: Header=BB325_12 Depth=1
	v_bfe_u32 v87, v87, 24, 7
	v_mov_b32_e32 v85, 0x7f800001
	s_mov_b32 s44, exec_lo
	s_delay_alu instid0(VALU_DEP_2)
	v_cmpx_ne_u32_e32 0x7f, v87
	s_cbranch_execz .LBB325_335
; %bb.332:                              ;   in Loop: Header=BB325_12 Depth=1
	v_dual_lshrrev_b32 v85, 3, v87 :: v_dual_bitop2_b32 v28, 7, v88 bitop3:0x40
	s_mov_b32 s45, exec_lo
	v_cmpx_gt_u32_e32 8, v87
; %bb.333:                              ;   in Loop: Header=BB325_12 Depth=1
	s_delay_alu instid0(VALU_DEP_2) | instskip(NEXT) | instid1(VALU_DEP_1)
	v_clz_i32_u32_e32 v85, v28
	v_min_u32_e32 v85, 32, v85
	s_delay_alu instid0(VALU_DEP_1) | instskip(NEXT) | instid1(VALU_DEP_1)
	v_subrev_nc_u32_e32 v87, 28, v85
	v_lshlrev_b64_e32 v[90:91], v87, v[28:29]
	s_delay_alu instid0(VALU_DEP_1)
	v_dual_sub_nc_u32 v85, 29, v85 :: v_dual_bitop2_b32 v28, 7, v90 bitop3:0x40
; %bb.334:                              ;   in Loop: Header=BB325_12 Depth=1
	s_or_b32 exec_lo, exec_lo, s45
	v_lshlrev_b32_e32 v87, 24, v88
	s_delay_alu instid0(VALU_DEP_2) | instskip(NEXT) | instid1(VALU_DEP_3)
	v_lshlrev_b32_e32 v28, 20, v28
	v_lshl_add_u32 v85, v85, 23, 0x3c000000
	s_delay_alu instid0(VALU_DEP_3) | instskip(NEXT) | instid1(VALU_DEP_1)
	v_and_b32_e32 v87, 0x80000000, v87
	v_or3_b32 v85, v28, v87, v85
.LBB325_335:                            ;   in Loop: Header=BB325_12 Depth=1
	s_or_b32 exec_lo, exec_lo, s44
.LBB325_336:                            ;   in Loop: Header=BB325_12 Depth=1
	s_delay_alu instid0(SALU_CYCLE_1)
	s_or_b32 exec_lo, exec_lo, s43
.LBB325_337:                            ;   in Loop: Header=BB325_12 Depth=1
	s_delay_alu instid0(SALU_CYCLE_1)
	s_or_b32 exec_lo, exec_lo, s42
	global_load_b32 v91, v[36:37], off offset:1280
	v_dual_mov_b32 v88, 0 :: v_dual_mov_b32 v87, 0
	s_mov_b32 s42, exec_lo
	s_wait_loadcnt 0x0
	v_and_b32_e32 v28, 0xff, v91
	s_delay_alu instid0(VALU_DEP_1)
	v_cmpx_ne_u16_e32 0, v28
	s_cbranch_execz .LBB325_345
; %bb.338:                              ;   in Loop: Header=BB325_12 Depth=1
	v_bfrev_b32_e32 v87, 1
	s_mov_b32 s43, exec_lo
	v_cmpx_ne_u16_e32 0x80, v28
	s_cbranch_execz .LBB325_344
; %bb.339:                              ;   in Loop: Header=BB325_12 Depth=1
	v_and_b32_e32 v89, 0x7f, v91
	v_mov_b32_e32 v87, 0x7f800001
	s_mov_b32 s44, exec_lo
	s_delay_alu instid0(VALU_DEP_2)
	v_cmpx_ne_u32_e32 0x7f, v89
	s_cbranch_execz .LBB325_343
; %bb.340:                              ;   in Loop: Header=BB325_12 Depth=1
	v_dual_lshrrev_b32 v87, 3, v89 :: v_dual_bitop2_b32 v28, 7, v91 bitop3:0x40
	s_mov_b32 s45, exec_lo
	v_cmpx_gt_u32_e32 8, v89
; %bb.341:                              ;   in Loop: Header=BB325_12 Depth=1
	s_delay_alu instid0(VALU_DEP_2) | instskip(NEXT) | instid1(VALU_DEP_1)
	v_clz_i32_u32_e32 v87, v28
	v_min_u32_e32 v87, 32, v87
	s_delay_alu instid0(VALU_DEP_1) | instskip(NEXT) | instid1(VALU_DEP_1)
	v_subrev_nc_u32_e32 v89, 28, v87
	v_lshlrev_b64_e32 v[92:93], v89, v[28:29]
	s_delay_alu instid0(VALU_DEP_1)
	v_dual_sub_nc_u32 v87, 29, v87 :: v_dual_bitop2_b32 v28, 7, v92 bitop3:0x40
; %bb.342:                              ;   in Loop: Header=BB325_12 Depth=1
	s_or_b32 exec_lo, exec_lo, s45
	s_delay_alu instid0(VALU_DEP_1) | instskip(NEXT) | instid1(VALU_DEP_2)
	v_dual_lshlrev_b32 v89, 24, v91 :: v_dual_lshlrev_b32 v28, 20, v28
	v_lshl_add_u32 v87, v87, 23, 0x3c000000
	s_delay_alu instid0(VALU_DEP_2) | instskip(NEXT) | instid1(VALU_DEP_1)
	v_and_b32_e32 v89, 0x80000000, v89
	v_or3_b32 v87, v28, v89, v87
.LBB325_343:                            ;   in Loop: Header=BB325_12 Depth=1
	s_or_b32 exec_lo, exec_lo, s44
.LBB325_344:                            ;   in Loop: Header=BB325_12 Depth=1
	s_delay_alu instid0(SALU_CYCLE_1)
	s_or_b32 exec_lo, exec_lo, s43
.LBB325_345:                            ;   in Loop: Header=BB325_12 Depth=1
	s_delay_alu instid0(SALU_CYCLE_1) | instskip(SKIP_2) | instid1(VALU_DEP_1)
	s_or_b32 exec_lo, exec_lo, s42
	v_lshrrev_b16 v28, 8, v91
	s_mov_b32 s42, exec_lo
	v_cmpx_ne_u16_e32 0, v28
	s_cbranch_execz .LBB325_353
; %bb.346:                              ;   in Loop: Header=BB325_12 Depth=1
	v_bfrev_b32_e32 v88, 1
	s_mov_b32 s43, exec_lo
	v_cmpx_ne_u16_e32 0x80, v28
	s_cbranch_execz .LBB325_352
; %bb.347:                              ;   in Loop: Header=BB325_12 Depth=1
	v_and_b32_e32 v28, 0xffff, v28
	v_mov_b32_e32 v88, 0x7f800001
	s_mov_b32 s44, exec_lo
	s_delay_alu instid0(VALU_DEP_2) | instskip(NEXT) | instid1(VALU_DEP_1)
	v_and_b32_e32 v89, 0x7f, v28
	v_cmpx_ne_u32_e32 0x7f, v89
	s_cbranch_execz .LBB325_351
; %bb.348:                              ;   in Loop: Header=BB325_12 Depth=1
	v_dual_lshrrev_b32 v88, 3, v89 :: v_dual_bitop2_b32 v28, 7, v28 bitop3:0x40
	s_mov_b32 s45, exec_lo
	v_cmpx_gt_u32_e32 8, v89
; %bb.349:                              ;   in Loop: Header=BB325_12 Depth=1
	s_delay_alu instid0(VALU_DEP_2) | instskip(NEXT) | instid1(VALU_DEP_1)
	v_clz_i32_u32_e32 v88, v28
	v_min_u32_e32 v88, 32, v88
	s_delay_alu instid0(VALU_DEP_1) | instskip(SKIP_1) | instid1(VALU_DEP_2)
	v_subrev_nc_u32_e32 v89, 28, v88
	v_sub_nc_u32_e32 v88, 29, v88
	v_lshlrev_b64_e32 v[92:93], v89, v[28:29]
	s_delay_alu instid0(VALU_DEP_1)
	v_and_b32_e32 v28, 7, v92
; %bb.350:                              ;   in Loop: Header=BB325_12 Depth=1
	s_or_b32 exec_lo, exec_lo, s45
	s_delay_alu instid0(VALU_DEP_1) | instskip(SKIP_1) | instid1(VALU_DEP_2)
	v_dual_lshlrev_b32 v89, 16, v91 :: v_dual_lshlrev_b32 v28, 20, v28
	v_lshl_add_u32 v88, v88, 23, 0x3c000000
	v_and_b32_e32 v89, 0x80000000, v89
	s_delay_alu instid0(VALU_DEP_1)
	v_or3_b32 v88, v28, v89, v88
.LBB325_351:                            ;   in Loop: Header=BB325_12 Depth=1
	s_or_b32 exec_lo, exec_lo, s44
.LBB325_352:                            ;   in Loop: Header=BB325_12 Depth=1
	s_delay_alu instid0(SALU_CYCLE_1)
	s_or_b32 exec_lo, exec_lo, s43
.LBB325_353:                            ;   in Loop: Header=BB325_12 Depth=1
	s_delay_alu instid0(SALU_CYCLE_1) | instskip(SKIP_3) | instid1(VALU_DEP_2)
	s_or_b32 exec_lo, exec_lo, s42
	v_dual_mov_b32 v89, 0 :: v_dual_lshrrev_b32 v92, 16, v91
	v_mov_b32_e32 v90, 0
	s_mov_b32 s42, exec_lo
	v_and_b32_e32 v28, 0xff, v92
	s_delay_alu instid0(VALU_DEP_1)
	v_cmpx_ne_u16_e32 0, v28
	s_cbranch_execz .LBB325_361
; %bb.354:                              ;   in Loop: Header=BB325_12 Depth=1
	v_bfrev_b32_e32 v90, 1
	s_mov_b32 s43, exec_lo
	v_cmpx_ne_u16_e32 0x80, v28
	s_cbranch_execz .LBB325_360
; %bb.355:                              ;   in Loop: Header=BB325_12 Depth=1
	v_bfe_u32 v93, v91, 16, 7
	v_mov_b32_e32 v90, 0x7f800001
	s_mov_b32 s44, exec_lo
	s_delay_alu instid0(VALU_DEP_2)
	v_cmpx_ne_u32_e32 0x7f, v93
	s_cbranch_execz .LBB325_359
; %bb.356:                              ;   in Loop: Header=BB325_12 Depth=1
	v_dual_lshrrev_b32 v90, 3, v93 :: v_dual_bitop2_b32 v28, 7, v92 bitop3:0x40
	s_mov_b32 s45, exec_lo
	v_cmpx_gt_u32_e32 8, v93
; %bb.357:                              ;   in Loop: Header=BB325_12 Depth=1
	s_delay_alu instid0(VALU_DEP_2) | instskip(NEXT) | instid1(VALU_DEP_1)
	v_clz_i32_u32_e32 v90, v28
	v_min_u32_e32 v90, 32, v90
	s_delay_alu instid0(VALU_DEP_1) | instskip(SKIP_1) | instid1(VALU_DEP_2)
	v_subrev_nc_u32_e32 v93, 28, v90
	v_sub_nc_u32_e32 v90, 29, v90
	v_lshlrev_b64_e32 v[94:95], v93, v[28:29]
	s_delay_alu instid0(VALU_DEP_1)
	v_and_b32_e32 v28, 7, v94
; %bb.358:                              ;   in Loop: Header=BB325_12 Depth=1
	s_or_b32 exec_lo, exec_lo, s45
	v_lshlrev_b32_e32 v92, 24, v92
	s_delay_alu instid0(VALU_DEP_2) | instskip(SKIP_1) | instid1(VALU_DEP_3)
	v_lshlrev_b32_e32 v28, 20, v28
	v_lshl_add_u32 v90, v90, 23, 0x3c000000
	v_and_b32_e32 v92, 0x80000000, v92
	s_delay_alu instid0(VALU_DEP_1)
	v_or3_b32 v90, v28, v92, v90
.LBB325_359:                            ;   in Loop: Header=BB325_12 Depth=1
	s_or_b32 exec_lo, exec_lo, s44
.LBB325_360:                            ;   in Loop: Header=BB325_12 Depth=1
	s_delay_alu instid0(SALU_CYCLE_1)
	s_or_b32 exec_lo, exec_lo, s43
.LBB325_361:                            ;   in Loop: Header=BB325_12 Depth=1
	s_delay_alu instid0(SALU_CYCLE_1) | instskip(NEXT) | instid1(SALU_CYCLE_1)
	s_or_b32 exec_lo, exec_lo, s42
	s_mov_b32 s42, exec_lo
	v_cmpx_lt_u32_e32 0xffffff, v91
	s_cbranch_execz .LBB325_369
; %bb.362:                              ;   in Loop: Header=BB325_12 Depth=1
	v_lshrrev_b32_e32 v92, 24, v91
	v_bfrev_b32_e32 v89, 1
	s_mov_b32 s43, exec_lo
	s_delay_alu instid0(VALU_DEP_2)
	v_cmpx_ne_u32_e32 0x80, v92
	s_cbranch_execz .LBB325_368
; %bb.363:                              ;   in Loop: Header=BB325_12 Depth=1
	v_bfe_u32 v91, v91, 24, 7
	v_mov_b32_e32 v89, 0x7f800001
	s_mov_b32 s44, exec_lo
	s_delay_alu instid0(VALU_DEP_2)
	v_cmpx_ne_u32_e32 0x7f, v91
	s_cbranch_execz .LBB325_367
; %bb.364:                              ;   in Loop: Header=BB325_12 Depth=1
	v_dual_lshrrev_b32 v89, 3, v91 :: v_dual_bitop2_b32 v28, 7, v92 bitop3:0x40
	s_mov_b32 s45, exec_lo
	v_cmpx_gt_u32_e32 8, v91
; %bb.365:                              ;   in Loop: Header=BB325_12 Depth=1
	s_delay_alu instid0(VALU_DEP_2) | instskip(NEXT) | instid1(VALU_DEP_1)
	v_clz_i32_u32_e32 v89, v28
	v_min_u32_e32 v89, 32, v89
	s_delay_alu instid0(VALU_DEP_1) | instskip(NEXT) | instid1(VALU_DEP_1)
	v_subrev_nc_u32_e32 v91, 28, v89
	v_lshlrev_b64_e32 v[94:95], v91, v[28:29]
	s_delay_alu instid0(VALU_DEP_1)
	v_dual_sub_nc_u32 v89, 29, v89 :: v_dual_bitop2_b32 v28, 7, v94 bitop3:0x40
; %bb.366:                              ;   in Loop: Header=BB325_12 Depth=1
	s_or_b32 exec_lo, exec_lo, s45
	v_lshlrev_b32_e32 v91, 24, v92
	s_delay_alu instid0(VALU_DEP_2) | instskip(NEXT) | instid1(VALU_DEP_3)
	v_lshlrev_b32_e32 v28, 20, v28
	v_lshl_add_u32 v89, v89, 23, 0x3c000000
	s_delay_alu instid0(VALU_DEP_3) | instskip(NEXT) | instid1(VALU_DEP_1)
	v_and_b32_e32 v91, 0x80000000, v91
	v_or3_b32 v89, v28, v91, v89
.LBB325_367:                            ;   in Loop: Header=BB325_12 Depth=1
	s_or_b32 exec_lo, exec_lo, s44
.LBB325_368:                            ;   in Loop: Header=BB325_12 Depth=1
	s_delay_alu instid0(SALU_CYCLE_1)
	s_or_b32 exec_lo, exec_lo, s43
.LBB325_369:                            ;   in Loop: Header=BB325_12 Depth=1
	s_delay_alu instid0(SALU_CYCLE_1)
	s_or_b32 exec_lo, exec_lo, s42
	global_load_b32 v91, v[36:37], off offset:1288
	s_wait_xcnt 0x0
	v_dual_mov_b32 v37, 0 :: v_dual_mov_b32 v36, 0
	s_mov_b32 s42, exec_lo
	s_wait_loadcnt 0x0
	v_and_b32_e32 v28, 0xff, v91
	s_delay_alu instid0(VALU_DEP_1)
	v_cmpx_ne_u16_e32 0, v28
	s_cbranch_execz .LBB325_377
; %bb.370:                              ;   in Loop: Header=BB325_12 Depth=1
	v_bfrev_b32_e32 v36, 1
	s_mov_b32 s43, exec_lo
	v_cmpx_ne_u16_e32 0x80, v28
	s_cbranch_execz .LBB325_376
; %bb.371:                              ;   in Loop: Header=BB325_12 Depth=1
	v_and_b32_e32 v92, 0x7f, v91
	v_mov_b32_e32 v36, 0x7f800001
	s_mov_b32 s44, exec_lo
	s_delay_alu instid0(VALU_DEP_2)
	v_cmpx_ne_u32_e32 0x7f, v92
	s_cbranch_execz .LBB325_375
; %bb.372:                              ;   in Loop: Header=BB325_12 Depth=1
	v_dual_lshrrev_b32 v36, 3, v92 :: v_dual_bitop2_b32 v28, 7, v91 bitop3:0x40
	s_mov_b32 s45, exec_lo
	v_cmpx_gt_u32_e32 8, v92
; %bb.373:                              ;   in Loop: Header=BB325_12 Depth=1
	s_delay_alu instid0(VALU_DEP_2) | instskip(NEXT) | instid1(VALU_DEP_1)
	v_clz_i32_u32_e32 v36, v28
	v_min_u32_e32 v36, 32, v36
	s_delay_alu instid0(VALU_DEP_1) | instskip(SKIP_1) | instid1(VALU_DEP_2)
	v_subrev_nc_u32_e32 v92, 28, v36
	v_sub_nc_u32_e32 v36, 29, v36
	v_lshlrev_b64_e32 v[92:93], v92, v[28:29]
	s_delay_alu instid0(VALU_DEP_1)
	v_and_b32_e32 v28, 7, v92
; %bb.374:                              ;   in Loop: Header=BB325_12 Depth=1
	s_or_b32 exec_lo, exec_lo, s45
	s_delay_alu instid0(VALU_DEP_1) | instskip(SKIP_1) | instid1(VALU_DEP_2)
	v_dual_lshlrev_b32 v92, 24, v91 :: v_dual_lshlrev_b32 v28, 20, v28
	v_lshl_add_u32 v36, v36, 23, 0x3c000000
	v_and_b32_e32 v92, 0x80000000, v92
	s_delay_alu instid0(VALU_DEP_1)
	v_or3_b32 v36, v28, v92, v36
.LBB325_375:                            ;   in Loop: Header=BB325_12 Depth=1
	s_or_b32 exec_lo, exec_lo, s44
.LBB325_376:                            ;   in Loop: Header=BB325_12 Depth=1
	s_delay_alu instid0(SALU_CYCLE_1)
	s_or_b32 exec_lo, exec_lo, s43
.LBB325_377:                            ;   in Loop: Header=BB325_12 Depth=1
	s_delay_alu instid0(SALU_CYCLE_1) | instskip(SKIP_2) | instid1(VALU_DEP_1)
	s_or_b32 exec_lo, exec_lo, s42
	v_lshrrev_b16 v28, 8, v91
	s_mov_b32 s42, exec_lo
	v_cmpx_ne_u16_e32 0, v28
	s_cbranch_execz .LBB325_385
; %bb.378:                              ;   in Loop: Header=BB325_12 Depth=1
	v_bfrev_b32_e32 v37, 1
	s_mov_b32 s43, exec_lo
	v_cmpx_ne_u16_e32 0x80, v28
	s_cbranch_execz .LBB325_384
; %bb.379:                              ;   in Loop: Header=BB325_12 Depth=1
	v_and_b32_e32 v28, 0xffff, v28
	v_mov_b32_e32 v37, 0x7f800001
	s_mov_b32 s44, exec_lo
	s_delay_alu instid0(VALU_DEP_2) | instskip(NEXT) | instid1(VALU_DEP_1)
	v_and_b32_e32 v92, 0x7f, v28
	v_cmpx_ne_u32_e32 0x7f, v92
	s_cbranch_execz .LBB325_383
; %bb.380:                              ;   in Loop: Header=BB325_12 Depth=1
	v_and_b32_e32 v28, 7, v28
	v_lshrrev_b32_e32 v37, 3, v92
	s_mov_b32 s45, exec_lo
	v_cmpx_gt_u32_e32 8, v92
; %bb.381:                              ;   in Loop: Header=BB325_12 Depth=1
	s_delay_alu instid0(VALU_DEP_3) | instskip(NEXT) | instid1(VALU_DEP_1)
	v_clz_i32_u32_e32 v37, v28
	v_min_u32_e32 v37, 32, v37
	s_delay_alu instid0(VALU_DEP_1) | instskip(NEXT) | instid1(VALU_DEP_1)
	v_subrev_nc_u32_e32 v92, 28, v37
	v_lshlrev_b64_e32 v[92:93], v92, v[28:29]
	s_delay_alu instid0(VALU_DEP_1)
	v_dual_sub_nc_u32 v37, 29, v37 :: v_dual_bitop2_b32 v28, 7, v92 bitop3:0x40
; %bb.382:                              ;   in Loop: Header=BB325_12 Depth=1
	s_or_b32 exec_lo, exec_lo, s45
	s_delay_alu instid0(VALU_DEP_1) | instskip(NEXT) | instid1(VALU_DEP_2)
	v_dual_lshlrev_b32 v92, 16, v91 :: v_dual_lshlrev_b32 v28, 20, v28
	v_lshl_add_u32 v37, v37, 23, 0x3c000000
	s_delay_alu instid0(VALU_DEP_2) | instskip(NEXT) | instid1(VALU_DEP_1)
	v_and_b32_e32 v92, 0x80000000, v92
	v_or3_b32 v37, v28, v92, v37
.LBB325_383:                            ;   in Loop: Header=BB325_12 Depth=1
	s_or_b32 exec_lo, exec_lo, s44
.LBB325_384:                            ;   in Loop: Header=BB325_12 Depth=1
	s_delay_alu instid0(SALU_CYCLE_1)
	s_or_b32 exec_lo, exec_lo, s43
.LBB325_385:                            ;   in Loop: Header=BB325_12 Depth=1
	s_delay_alu instid0(SALU_CYCLE_1) | instskip(SKIP_3) | instid1(VALU_DEP_2)
	s_or_b32 exec_lo, exec_lo, s42
	v_dual_lshrrev_b32 v94, 16, v91 :: v_dual_mov_b32 v92, 0
	v_mov_b32_e32 v93, 0
	s_mov_b32 s42, exec_lo
	v_and_b32_e32 v28, 0xff, v94
	s_delay_alu instid0(VALU_DEP_1)
	v_cmpx_ne_u16_e32 0, v28
	s_cbranch_execz .LBB325_393
; %bb.386:                              ;   in Loop: Header=BB325_12 Depth=1
	v_bfrev_b32_e32 v93, 1
	s_mov_b32 s43, exec_lo
	v_cmpx_ne_u16_e32 0x80, v28
	s_cbranch_execz .LBB325_392
; %bb.387:                              ;   in Loop: Header=BB325_12 Depth=1
	v_bfe_u32 v95, v91, 16, 7
	v_mov_b32_e32 v93, 0x7f800001
	s_mov_b32 s44, exec_lo
	s_delay_alu instid0(VALU_DEP_2)
	v_cmpx_ne_u32_e32 0x7f, v95
	s_cbranch_execz .LBB325_391
; %bb.388:                              ;   in Loop: Header=BB325_12 Depth=1
	v_dual_lshrrev_b32 v93, 3, v95 :: v_dual_bitop2_b32 v28, 7, v94 bitop3:0x40
	s_mov_b32 s45, exec_lo
	v_cmpx_gt_u32_e32 8, v95
; %bb.389:                              ;   in Loop: Header=BB325_12 Depth=1
	s_delay_alu instid0(VALU_DEP_2) | instskip(NEXT) | instid1(VALU_DEP_1)
	v_clz_i32_u32_e32 v93, v28
	v_min_u32_e32 v93, 32, v93
	s_delay_alu instid0(VALU_DEP_1) | instskip(NEXT) | instid1(VALU_DEP_1)
	v_subrev_nc_u32_e32 v95, 28, v93
	v_lshlrev_b64_e32 v[96:97], v95, v[28:29]
	s_delay_alu instid0(VALU_DEP_1)
	v_dual_sub_nc_u32 v93, 29, v93 :: v_dual_bitop2_b32 v28, 7, v96 bitop3:0x40
; %bb.390:                              ;   in Loop: Header=BB325_12 Depth=1
	s_or_b32 exec_lo, exec_lo, s45
	s_delay_alu instid0(VALU_DEP_1) | instskip(NEXT) | instid1(VALU_DEP_2)
	v_dual_lshlrev_b32 v94, 24, v94 :: v_dual_lshlrev_b32 v28, 20, v28
	v_lshl_add_u32 v93, v93, 23, 0x3c000000
	s_delay_alu instid0(VALU_DEP_2) | instskip(NEXT) | instid1(VALU_DEP_1)
	v_and_b32_e32 v94, 0x80000000, v94
	v_or3_b32 v93, v28, v94, v93
.LBB325_391:                            ;   in Loop: Header=BB325_12 Depth=1
	s_or_b32 exec_lo, exec_lo, s44
.LBB325_392:                            ;   in Loop: Header=BB325_12 Depth=1
	s_delay_alu instid0(SALU_CYCLE_1)
	s_or_b32 exec_lo, exec_lo, s43
.LBB325_393:                            ;   in Loop: Header=BB325_12 Depth=1
	s_delay_alu instid0(SALU_CYCLE_1) | instskip(NEXT) | instid1(SALU_CYCLE_1)
	s_or_b32 exec_lo, exec_lo, s42
	s_mov_b32 s42, exec_lo
	v_cmpx_lt_u32_e32 0xffffff, v91
	s_cbranch_execz .LBB325_401
; %bb.394:                              ;   in Loop: Header=BB325_12 Depth=1
	v_lshrrev_b32_e32 v94, 24, v91
	v_bfrev_b32_e32 v92, 1
	s_mov_b32 s43, exec_lo
	s_delay_alu instid0(VALU_DEP_2)
	v_cmpx_ne_u32_e32 0x80, v94
	s_cbranch_execz .LBB325_400
; %bb.395:                              ;   in Loop: Header=BB325_12 Depth=1
	v_bfe_u32 v95, v91, 24, 7
	v_mov_b32_e32 v92, 0x7f800001
	s_mov_b32 s44, exec_lo
	s_delay_alu instid0(VALU_DEP_2)
	v_cmpx_ne_u32_e32 0x7f, v95
	s_cbranch_execz .LBB325_399
; %bb.396:                              ;   in Loop: Header=BB325_12 Depth=1
	v_dual_lshrrev_b32 v91, 3, v95 :: v_dual_bitop2_b32 v28, 7, v94 bitop3:0x40
	s_mov_b32 s45, exec_lo
	v_cmpx_gt_u32_e32 8, v95
; %bb.397:                              ;   in Loop: Header=BB325_12 Depth=1
	s_delay_alu instid0(VALU_DEP_2) | instskip(NEXT) | instid1(VALU_DEP_1)
	v_clz_i32_u32_e32 v91, v28
	v_min_u32_e32 v91, 32, v91
	s_delay_alu instid0(VALU_DEP_1) | instskip(NEXT) | instid1(VALU_DEP_1)
	v_subrev_nc_u32_e32 v92, 28, v91
	v_lshlrev_b64_e32 v[96:97], v92, v[28:29]
	s_delay_alu instid0(VALU_DEP_1)
	v_dual_sub_nc_u32 v91, 29, v91 :: v_dual_bitop2_b32 v28, 7, v96 bitop3:0x40
; %bb.398:                              ;   in Loop: Header=BB325_12 Depth=1
	s_or_b32 exec_lo, exec_lo, s45
	s_delay_alu instid0(VALU_DEP_1) | instskip(NEXT) | instid1(VALU_DEP_2)
	v_dual_lshlrev_b32 v92, 24, v94 :: v_dual_lshlrev_b32 v28, 20, v28
	v_lshl_add_u32 v91, v91, 23, 0x3c000000
	s_delay_alu instid0(VALU_DEP_2) | instskip(NEXT) | instid1(VALU_DEP_1)
	v_and_b32_e32 v92, 0x80000000, v92
	v_or3_b32 v92, v28, v92, v91
.LBB325_399:                            ;   in Loop: Header=BB325_12 Depth=1
	s_or_b32 exec_lo, exec_lo, s44
.LBB325_400:                            ;   in Loop: Header=BB325_12 Depth=1
	s_delay_alu instid0(SALU_CYCLE_1)
	s_or_b32 exec_lo, exec_lo, s43
.LBB325_401:                            ;   in Loop: Header=BB325_12 Depth=1
	s_delay_alu instid0(SALU_CYCLE_1)
	s_or_b32 exec_lo, exec_lo, s42
	s_wait_kmcnt 0x0
	v_fma_mixlo_bf16 v52, s41, v52, 0
	v_fma_mixlo_bf16 v51, s41, v51, 0
	;; [unrolled: 1-line block ×5, first 2 shown]
	s_wait_dscnt 0x5
	v_dual_lshlrev_b32 v90, 16, v24 :: v_dual_lshlrev_b32 v51, 16, v51
	v_and_b32_e32 v24, 0xffff0000, v24
	v_dual_lshlrev_b32 v52, 16, v52 :: v_dual_lshlrev_b32 v91, 16, v25
	v_fma_mixlo_bf16 v53, s41, v53, 0
	v_fma_mixlo_bf16 v48, s41, v48, 0
	;; [unrolled: 1-line block ×3, first 2 shown]
	v_dual_mul_f32 v51, v90, v51 :: v_dual_lshlrev_b32 v54, 16, v54
	s_delay_alu instid0(VALU_DEP_4)
	v_dual_mul_f32 v24, v24, v52 :: v_dual_lshlrev_b32 v52, 16, v53
	v_fma_mixlo_bf16 v56, s41, v56, 0
	v_fma_mixlo_bf16 v55, s41, v55, 0
	;; [unrolled: 1-line block ×3, first 2 shown]
	v_and_b32_e32 v25, 0xffff0000, v25
	v_mul_f32_e32 v53, v91, v54
	v_fma_mix_f32_bf16 v31, v22, v31, v51 op_sel_hi:[1,1,0]
	v_fma_mix_f32_bf16 v22, v22, v48, v24 op_sel:[1,0,0] op_sel_hi:[1,1,0]
	v_fma_mixlo_bf16 v60, s41, v60, 0
	v_fma_mixlo_bf16 v59, s41, v59, 0
	v_fma_mixlo_bf16 v58, s41, v58, 0
	v_fma_mixlo_bf16 v24, s41, v49, 0
	v_mul_f32_e32 v25, v25, v52
	v_fma_mix_f32_bf16 v48, v23, v50, v53 op_sel_hi:[1,1,0]
	s_wait_dscnt 0x4
	v_fma_mix_f32_bf16 v31, v18, v55, v31 op_sel_hi:[1,1,0]
	v_fma_mix_f32_bf16 v18, v18, v56, v22 op_sel:[1,0,0] op_sel_hi:[1,1,0]
	v_fma_mixlo_bf16 v64, s41, v64, 0
	v_fma_mixlo_bf16 v63, s41, v63, 0
	v_fma_mixlo_bf16 v62, s41, v62, 0
	v_fma_mixlo_bf16 v22, s41, v57, 0
	v_fma_mix_f32_bf16 v23, v23, v24, v25 op_sel:[1,0,0] op_sel_hi:[1,1,0]
	v_fma_mix_f32_bf16 v24, v19, v58, v48 op_sel_hi:[1,1,0]
	v_fma_mix_f32_bf16 v25, v20, v59, v31 op_sel_hi:[1,1,0]
	v_fma_mix_f32_bf16 v18, v20, v60, v18 op_sel:[1,0,0] op_sel_hi:[1,1,0]
	v_fma_mixlo_bf16 v68, s41, v68, 0
	v_fma_mixlo_bf16 v67, s41, v67, 0
	v_fma_mixlo_bf16 v66, s41, v66, 0
	v_fma_mixlo_bf16 v20, s41, v61, 0
	v_fma_mix_f32_bf16 v19, v19, v22, v23 op_sel:[1,0,0] op_sel_hi:[1,1,0]
	v_fma_mix_f32_bf16 v22, v21, v62, v24 op_sel_hi:[1,1,0]
	s_wait_dscnt 0x3
	v_fma_mix_f32_bf16 v23, v14, v63, v25 op_sel_hi:[1,1,0]
	v_fma_mix_f32_bf16 v14, v14, v64, v18 op_sel:[1,0,0] op_sel_hi:[1,1,0]
	v_fma_mixlo_bf16 v72, s41, v72, 0
	v_fma_mixlo_bf16 v71, s41, v71, 0
	v_fma_mixlo_bf16 v70, s41, v70, 0
	v_fma_mixlo_bf16 v18, s41, v65, 0
	v_fma_mix_f32_bf16 v19, v21, v20, v19 op_sel:[1,0,0] op_sel_hi:[1,1,0]
	v_fma_mix_f32_bf16 v20, v15, v66, v22 op_sel_hi:[1,1,0]
	v_fma_mix_f32_bf16 v21, v16, v67, v23 op_sel_hi:[1,1,0]
	v_fma_mix_f32_bf16 v14, v16, v68, v14 op_sel:[1,0,0] op_sel_hi:[1,1,0]
	v_fma_mixlo_bf16 v76, s41, v76, 0
	v_fma_mixlo_bf16 v75, s41, v75, 0
	v_fma_mixlo_bf16 v74, s41, v74, 0
	v_fma_mixlo_bf16 v16, s41, v69, 0
	v_fma_mix_f32_bf16 v15, v15, v18, v19 op_sel:[1,0,0] op_sel_hi:[1,1,0]
	;; [unrolled: 17-line block ×3, first 2 shown]
	v_fma_mix_f32_bf16 v14, v13, v78, v16 op_sel_hi:[1,1,0]
	s_wait_dscnt 0x1
	v_fma_mix_f32_bf16 v15, v6, v79, v17 op_sel_hi:[1,1,0]
	v_fma_mix_f32_bf16 v6, v6, v80, v10 op_sel:[1,0,0] op_sel_hi:[1,1,0]
	v_fma_mixlo_bf16 v88, s41, v88, 0
	v_fma_mixlo_bf16 v87, s41, v87, 0
	;; [unrolled: 1-line block ×4, first 2 shown]
	v_fma_mix_f32_bf16 v11, v13, v12, v11 op_sel:[1,0,0] op_sel_hi:[1,1,0]
	v_fma_mix_f32_bf16 v12, v7, v82, v14 op_sel_hi:[1,1,0]
	v_fma_mix_f32_bf16 v13, v8, v83, v15 op_sel_hi:[1,1,0]
	v_fma_mix_f32_bf16 v6, v8, v84, v6 op_sel:[1,0,0] op_sel_hi:[1,1,0]
	v_fma_mixlo_bf16 v36, s41, v36, 0
	v_fma_mixlo_bf16 v8, s41, v85, 0
	v_fma_mix_f32_bf16 v7, v7, v10, v11 op_sel:[1,0,0] op_sel_hi:[1,1,0]
	v_fma_mix_f32_bf16 v10, v9, v86, v12 op_sel_hi:[1,1,0]
	s_wait_dscnt 0x0
	v_fma_mix_f32_bf16 v11, v2, v87, v13 op_sel_hi:[1,1,0]
	v_fma_mix_f32_bf16 v2, v2, v88, v6 op_sel:[1,0,0] op_sel_hi:[1,1,0]
	v_fma_mixlo_bf16 v89, s41, v89, 0
	v_fma_mixlo_bf16 v6, s41, v93, 0
	v_fma_mix_f32_bf16 v7, v9, v8, v7 op_sel:[1,0,0] op_sel_hi:[1,1,0]
	v_fma_mix_f32_bf16 v8, v3, v37, v10 op_sel_hi:[1,1,0]
	v_fma_mix_f32_bf16 v9, v4, v36, v11 op_sel_hi:[1,1,0]
	v_fma_mix_f32_bf16 v2, v4, v28, v2 op_sel:[1,0,0] op_sel_hi:[1,1,0]
	v_xor_b32_e32 v4, 1, v40
	v_fma_mixlo_bf16 v10, s41, v92, 0
	v_fma_mix_f32_bf16 v3, v3, v89, v7 op_sel:[1,0,0] op_sel_hi:[1,1,0]
	v_fma_mix_f32_bf16 v6, v5, v6, v8 op_sel_hi:[1,1,0]
	v_add_f32_e32 v2, v9, v2
	v_cmp_gt_i32_e64 s4, 32, v4
	s_delay_alu instid0(VALU_DEP_4) | instskip(NEXT) | instid1(VALU_DEP_2)
	v_fma_mix_f32_bf16 v3, v5, v10, v3 op_sel:[1,0,0] op_sel_hi:[1,1,0]
	v_dual_add_f32 v2, v2, v6 :: v_dual_cndmask_b32 v4, v40, v4, s4
	s_delay_alu instid0(VALU_DEP_1)
	v_dual_add_f32 v2, v2, v3 :: v_dual_lshlrev_b32 v4, 2, v4
	ds_bpermute_b32 v3, v4, v2
	s_and_saveexec_b32 s41, s3
	s_cbranch_execz .LBB325_10
; %bb.402:                              ;   in Loop: Header=BB325_12 Depth=1
	s_wait_dscnt 0x0
	v_dual_add_nc_u32 v4, v44, v30 :: v_dual_add_f32 v2, v2, v3
	s_delay_alu instid0(VALU_DEP_1) | instskip(NEXT) | instid1(VALU_DEP_1)
	v_cvt_f32_i32_e32 v4, v4
	v_mul_f32_e32 v4, s36, v4
	s_delay_alu instid0(VALU_DEP_1) | instskip(NEXT) | instid1(VALU_DEP_1)
	v_dual_cndmask_b32 v3, 0, v4 :: v_dual_max_num_f32 v4, v43, v43
	v_fmac_f32_e32 v3, s27, v2
	s_delay_alu instid0(VALU_DEP_1) | instskip(NEXT) | instid1(VALU_DEP_1)
	v_dual_add_nc_u32 v2, v41, v30 :: v_dual_max_num_f32 v4, v4, v3
	v_cmp_gt_i32_e64 s4, s34, v2
	s_delay_alu instid0(VALU_DEP_1)
	v_dual_cndmask_b32 v2, 0, v3, s4 :: v_dual_cndmask_b32 v43, v43, v4, s4
	ds_store_b32 v45, v2
	s_branch .LBB325_10
.LBB325_403:
	s_or_b32 exec_lo, exec_lo, s40
.LBB325_404:
	s_delay_alu instid0(SALU_CYCLE_1)
	s_or_b32 exec_lo, exec_lo, s37
	v_dual_max_num_f32 v5, v43, v43 :: v_dual_bitop2_b32 v2, 16, v40 bitop3:0x14
	s_clause 0x1
	s_load_b64 s[4:5], s[0:1], 0x0
	s_load_b64 s[8:9], s[0:1], 0x18
	v_and_b32_e32 v30, 31, v0
	v_xor_b32_e32 v4, 8, v40
	v_cmp_gt_i32_e32 vcc_lo, 32, v2
	v_dual_cndmask_b32 v2, v40, v2, vcc_lo :: v_dual_bitop2_b32 v6, 4, v40 bitop3:0x14
	s_delay_alu instid0(VALU_DEP_3) | instskip(SKIP_1) | instid1(VALU_DEP_2)
	v_cmp_gt_i32_e32 vcc_lo, 32, v4
	s_wait_dscnt 0x0
	v_dual_cndmask_b32 v4, v40, v4 :: v_dual_lshlrev_b32 v3, 2, v2
	s_delay_alu instid0(VALU_DEP_3) | instskip(SKIP_3) | instid1(VALU_DEP_1)
	v_cmp_gt_i32_e32 vcc_lo, 32, v6
	ds_bpermute_b32 v2, v3, v43
	s_wait_dscnt 0x0
	v_dual_lshlrev_b32 v4, 2, v4 :: v_dual_max_num_f32 v2, v2, v2
	v_max_num_f32_e32 v2, v5, v2
	ds_bpermute_b32 v5, v4, v2
	s_wait_dscnt 0x0
	v_dual_cndmask_b32 v6, v40, v6 :: v_dual_max_num_f32 v7, v5, v5
	s_delay_alu instid0(VALU_DEP_1) | instskip(SKIP_3) | instid1(VALU_DEP_1)
	v_dual_max_num_f32 v2, v2, v7 :: v_dual_lshlrev_b32 v5, 2, v6
	ds_bpermute_b32 v6, v5, v2
	s_wait_dscnt 0x0
	v_dual_max_num_f32 v6, v6, v6 :: v_dual_bitop2_b32 v7, 2, v40 bitop3:0x14
	v_cmp_gt_i32_e32 vcc_lo, 32, v7
	s_delay_alu instid0(VALU_DEP_2) | instskip(SKIP_1) | instid1(VALU_DEP_2)
	v_dual_cndmask_b32 v8, v40, v7 :: v_dual_max_num_f32 v7, v2, v6
	v_cmp_eq_u32_e32 vcc_lo, 0, v30
	v_dual_lshlrev_b32 v6, 2, v39 :: v_dual_lshlrev_b32 v2, 2, v8
	ds_bpermute_b32 v8, v2, v7
	s_wait_xcnt 0x0
	s_and_saveexec_b32 s0, vcc_lo
	s_cbranch_execz .LBB325_406
; %bb.405:
	s_wait_dscnt 0x0
	v_dual_max_num_f32 v8, v8, v8 :: v_dual_max_num_f32 v7, v7, v7
	s_delay_alu instid0(VALU_DEP_1)
	v_max_num_f32_e32 v7, v7, v8
	ds_store_b32 v6, v7 offset:192
.LBB325_406:
	s_or_b32 exec_lo, exec_lo, s0
	v_cmp_gt_u32_e64 s0, 4, v30
	s_wait_dscnt 0x0
	v_dual_mov_b32 v8, 0xff7fffff :: v_dual_lshlrev_b32 v7, 2, v30
	s_barrier_signal -1
	s_barrier_wait -1
	s_and_saveexec_b32 s1, s0
; %bb.407:
	ds_load_b32 v8, v7 offset:192
; %bb.408:
	s_or_b32 exec_lo, exec_lo, s1
	s_wait_dscnt 0x0
	ds_bpermute_b32 v9, v2, v8
	s_wait_dscnt 0x0
	v_dual_max_num_f32 v9, v9, v9 :: v_dual_bitop2_b32 v10, 1, v40 bitop3:0x14
	s_delay_alu instid0(VALU_DEP_1) | instskip(NEXT) | instid1(VALU_DEP_1)
	v_cmp_gt_i32_e64 s1, 32, v10
	v_cndmask_b32_e64 v10, v40, v10, s1
	v_max_num_f32_e32 v8, v8, v8
	s_lshl_b32 s1, s12, 4
	s_delay_alu instid0(SALU_CYCLE_1) | instskip(NEXT) | instid1(VALU_DEP_1)
	s_min_i32 s19, s1, s34
	v_dual_max_num_f32 v8, v8, v9 :: v_dual_lshlrev_b32 v31, 2, v10
	v_cmp_gt_i32_e64 s1, s19, v0
	ds_bpermute_b32 v9, v31, v8
	s_wait_dscnt 0x0
	v_max_num_f32_e32 v9, v9, v9
	s_delay_alu instid0(VALU_DEP_1)
	v_dual_max_num_f32 v9, v8, v9 :: v_dual_mov_b32 v8, 0
	ds_bpermute_b32 v9, v8, v9
	s_and_saveexec_b32 s27, s1
	s_cbranch_execz .LBB325_412
; %bb.409:
	v_lshl_add_u32 v10, v0, 2, 0xe0
	v_dual_mov_b32 v8, 0 :: v_dual_mov_b32 v11, v0
	s_mov_b32 s28, 0
.LBB325_410:                            ; =>This Inner Loop Header: Depth=1
	ds_load_b32 v12, v10
	v_add_nc_u32_e32 v11, 0x80, v11
	s_delay_alu instid0(VALU_DEP_1) | instskip(SKIP_3) | instid1(VALU_DEP_1)
	v_cmp_le_i32_e64 s3, s19, v11
	s_or_b32 s28, s3, s28
	s_wait_dscnt 0x0
	v_sub_f32_e32 v12, v12, v9
	v_mul_f32_e32 v12, 0x3fb8aa3b, v12
	s_delay_alu instid0(VALU_DEP_1)
	v_exp_f32_e32 v12, v12
	ds_store_b32 v10, v12
	v_nop
	v_add_f32_e32 v8, v8, v12
	v_add_nc_u32_e32 v10, 0x200, v10
	s_and_not1_b32 exec_lo, exec_lo, s28
	s_cbranch_execnz .LBB325_410
; %bb.411:
	s_or_b32 exec_lo, exec_lo, s28
.LBB325_412:
	s_delay_alu instid0(SALU_CYCLE_1)
	s_or_b32 exec_lo, exec_lo, s27
	ds_bpermute_b32 v3, v3, v8
	s_wait_dscnt 0x0
	v_add_f32_e32 v3, v8, v3
	ds_bpermute_b32 v4, v4, v3
	s_wait_dscnt 0x0
	v_add_f32_e32 v3, v3, v4
	ds_bpermute_b32 v4, v5, v3
	s_wait_dscnt 0x0
	v_add_f32_e32 v3, v3, v4
	ds_bpermute_b32 v4, v2, v3
	s_wait_dscnt 0x0
	v_add_f32_e32 v3, v3, v4
	ds_bpermute_b32 v4, v31, v3
	s_wait_dscnt 0x0
	v_add_f32_e32 v3, v3, v4
	s_and_saveexec_b32 s3, vcc_lo
; %bb.413:
	ds_store_b32 v6, v3 offset:208
; %bb.414:
	s_or_b32 exec_lo, exec_lo, s3
	s_wait_dscnt 0x0
	s_barrier_signal -1
	s_barrier_wait -1
	s_and_saveexec_b32 s3, s0
; %bb.415:
	ds_load_b32 v3, v7 offset:208
; %bb.416:
	s_or_b32 exec_lo, exec_lo, s3
	s_wait_dscnt 0x0
	ds_bpermute_b32 v2, v2, v3
	s_wait_dscnt 0x0
	v_dual_mov_b32 v11, 0 :: v_dual_add_f32 v2, v3, v2
	ds_bpermute_b32 v3, v31, v2
	s_wait_dscnt 0x0
	v_add_f32_e32 v2, v2, v3
	ds_bpermute_b32 v2, v11, v2
	s_and_saveexec_b32 s0, s1
	s_cbranch_execz .LBB325_429
; %bb.417:
	s_wait_dscnt 0x0
	v_add_f32_e32 v2, 0x358637bd, v2
	s_mov_b32 s3, -1
	s_mov_b32 s1, exec_lo
	s_delay_alu instid0(VALU_DEP_1) | instskip(NEXT) | instid1(VALU_DEP_1)
	v_div_scale_f32 v3, null, v2, v2, 1.0
	v_rcp_f32_e32 v5, v3
	v_nop
	s_delay_alu instid0(TRANS32_DEP_1) | instskip(NEXT) | instid1(VALU_DEP_1)
	v_fma_f32 v4, -v3, v5, 1.0
	v_fmac_f32_e32 v5, v4, v5
	v_div_scale_f32 v6, vcc_lo, 1.0, v2, 1.0
	s_delay_alu instid0(VALU_DEP_1) | instskip(NEXT) | instid1(VALU_DEP_1)
	v_mul_f32_e32 v7, v6, v5
	v_fma_f32 v4, -v3, v7, v6
	s_delay_alu instid0(VALU_DEP_1) | instskip(SKIP_1) | instid1(VALU_DEP_2)
	v_fmac_f32_e32 v7, v4, v5
	v_xad_u32 v4, v0, -1, s19
	v_fma_f32 v3, -v3, v7, v6
	s_delay_alu instid0(VALU_DEP_1) | instskip(NEXT) | instid1(VALU_DEP_1)
	v_div_fmas_f32 v3, v3, v5, v7
	v_div_fixup_f32 v2, v3, v2, 1.0
	v_mov_b32_e32 v3, v0
	v_cmpx_lt_u32_e32 0x7f, v4
	s_cbranch_execz .LBB325_426
; %bb.418:
	s_delay_alu instid0(VALU_DEP_3) | instskip(NEXT) | instid1(VALU_DEP_1)
	v_dual_mov_b32 v3, v2 :: v_dual_lshrrev_b32 v4, 7, v4
	v_dual_mov_b32 v8, 0 :: v_dual_add_nc_u32 v5, -1, v4
	s_delay_alu instid0(VALU_DEP_1) | instskip(SKIP_1) | instid1(VALU_DEP_2)
	v_lshrrev_b32_e32 v6, 1, v5
	v_cmp_lt_u32_e32 vcc_lo, 13, v5
	v_add_nc_u32_e32 v5, 1, v6
	s_and_saveexec_b32 s3, vcc_lo
	s_cbranch_execz .LBB325_422
; %bb.419:
	s_delay_alu instid0(VALU_DEP_1)
	v_and_b32_e32 v6, -8, v5
	v_lshl_add_u32 v7, v0, 2, 0xe0
	s_mov_b32 s27, 0
	s_mov_b32 s28, 0
.LBB325_420:                            ; =>This Inner Loop Header: Depth=1
	ds_load_2addr_stride64_b32 v[8:9], v7 offset1:2
	ds_load_2addr_stride64_b32 v[12:13], v7 offset0:4 offset1:6
	ds_load_2addr_stride64_b32 v[14:15], v7 offset0:8 offset1:10
	;; [unrolled: 1-line block ×7, first 2 shown]
	s_add_co_i32 s28, s28, 16
	v_add_nc_u32_e32 v6, -8, v6
	s_wait_dscnt 0x7
	v_pk_mul_f32 v[8:9], v[2:3], v[8:9]
	s_wait_dscnt 0x6
	v_pk_mul_f32 v[12:13], v[2:3], v[12:13]
	s_wait_dscnt 0x5
	v_pk_mul_f32 v[14:15], v[2:3], v[14:15]
	s_wait_dscnt 0x4
	v_pk_mul_f32 v[16:17], v[2:3], v[16:17]
	s_wait_dscnt 0x3
	v_pk_mul_f32 v[18:19], v[2:3], v[18:19]
	s_wait_dscnt 0x2
	v_pk_mul_f32 v[20:21], v[2:3], v[20:21]
	s_wait_dscnt 0x1
	v_pk_mul_f32 v[22:23], v[2:3], v[22:23]
	s_wait_dscnt 0x0
	v_pk_mul_f32 v[24:25], v[2:3], v[24:25]
	ds_store_2addr_stride64_b32 v7, v8, v9 offset1:2
	ds_store_2addr_stride64_b32 v7, v12, v13 offset0:4 offset1:6
	ds_store_2addr_stride64_b32 v7, v14, v15 offset0:8 offset1:10
	;; [unrolled: 1-line block ×7, first 2 shown]
	v_mov_b32_e32 v8, s28
	v_cmp_eq_u32_e32 vcc_lo, 0, v6
	v_add_nc_u32_e32 v7, 0x2000, v7
	s_or_b32 s27, vcc_lo, s27
	s_delay_alu instid0(SALU_CYCLE_1)
	s_and_not1_b32 exec_lo, exec_lo, s27
	s_cbranch_execnz .LBB325_420
; %bb.421:
	s_or_b32 exec_lo, exec_lo, s27
.LBB325_422:
	s_delay_alu instid0(SALU_CYCLE_1) | instskip(NEXT) | instid1(VALU_DEP_1)
	s_or_b32 exec_lo, exec_lo, s3
	v_and_b32_e32 v5, 7, v5
	s_mov_b32 s27, 0
	s_mov_b32 s3, exec_lo
	s_delay_alu instid0(VALU_DEP_1)
	v_cmpx_ne_u32_e32 0, v5
	s_cbranch_execz .LBB325_425
; %bb.423:
	v_lshlrev_b32_e32 v6, 9, v8
	v_lshlrev_b32_e32 v7, 2, v0
	s_delay_alu instid0(VALU_DEP_1)
	v_add3_u32 v6, v6, v7, 0xe0
.LBB325_424:                            ; =>This Inner Loop Header: Depth=1
	ds_load_2addr_stride64_b32 v[8:9], v6 offset1:2
	v_add_nc_u32_e32 v5, -1, v5
	s_delay_alu instid0(VALU_DEP_1)
	v_cmp_eq_u32_e32 vcc_lo, 0, v5
	s_or_b32 s27, vcc_lo, s27
	s_wait_dscnt 0x0
	v_pk_mul_f32 v[8:9], v[2:3], v[8:9]
	ds_store_2addr_stride64_b32 v6, v8, v9 offset1:2
	v_add_nc_u32_e32 v6, 0x400, v6
	s_and_not1_b32 exec_lo, exec_lo, s27
	s_cbranch_execnz .LBB325_424
.LBB325_425:
	s_or_b32 exec_lo, exec_lo, s3
	v_add_nc_u32_e32 v3, 1, v4
	s_delay_alu instid0(VALU_DEP_1) | instskip(NEXT) | instid1(VALU_DEP_1)
	v_and_b32_e32 v4, 0x3fffffe, v3
	v_cmp_ne_u32_e32 vcc_lo, v3, v4
	v_lshl_add_u32 v3, v4, 7, v0
	s_or_not1_b32 s3, vcc_lo, exec_lo
.LBB325_426:
	s_or_b32 exec_lo, exec_lo, s1
	s_delay_alu instid0(SALU_CYCLE_1)
	s_and_b32 exec_lo, exec_lo, s3
	s_cbranch_execz .LBB325_429
; %bb.427:
	v_lshl_add_u32 v4, v3, 2, 0xe0
	s_mov_b32 s1, 0
.LBB325_428:                            ; =>This Inner Loop Header: Depth=1
	ds_load_b32 v5, v4
	v_add_nc_u32_e32 v3, 0x80, v3
	s_delay_alu instid0(VALU_DEP_1)
	v_cmp_le_i32_e32 vcc_lo, s19, v3
	s_or_b32 s1, vcc_lo, s1
	s_wait_dscnt 0x0
	v_mul_f32_e32 v5, v2, v5
	ds_store_b32 v4, v5
	v_add_nc_u32_e32 v4, 0x200, v4
	s_and_not1_b32 exec_lo, exec_lo, s1
	s_cbranch_execnz .LBB325_428
.LBB325_429:
	s_or_b32 exec_lo, exec_lo, s0
	v_dual_mov_b32 v10, 0 :: v_dual_mov_b32 v13, 0
	v_dual_mov_b32 v12, 0 :: v_dual_mov_b32 v15, 0
	v_mov_b32_e32 v14, 0
	s_wait_dscnt 0x0
	s_barrier_signal -1
	s_barrier_wait -1
	s_and_saveexec_b32 s1, s2
	s_cbranch_execz .LBB325_807
; %bb.430:
	s_abs_i32 s14, s14
	v_dual_mov_b32 v17, 0 :: v_dual_lshlrev_b32 v2, 3, v0
	s_cvt_f32_u32 s0, s14
	s_ashr_i32 s19, s18, 31
	v_dual_lshlrev_b32 v4, 5, v38 :: v_dual_mov_b32 v32, v39
	s_delay_alu instid0(SALU_CYCLE_1)
	v_rcp_iflag_f32_e32 v3, s0
	v_and_b32_e32 v16, 0xf8, v2
	s_wait_kmcnt 0x0
	s_add_nc_u64 s[8:9], s[8:9], s[18:19]
	s_lshl_b64 s[24:25], s[24:25], 2
	s_sub_co_i32 s18, 0, s14
	v_dual_mov_b32 v14, 0 :: v_dual_bitop2_b32 v33, 8, v2 bitop3:0x40
	v_readfirstlane_b32 s0, v3
	v_add_nc_u64_e32 v[18:19], s[8:9], v[16:17]
	v_and_b32_e32 v16, 0x7c, v27
	v_lshl_or_b32 v3, v39, 6, v4
	s_add_nc_u64 s[8:9], s[22:23], s[24:25]
	s_mul_f32 s0, s0, 0x4f7ffffe
	v_mov_b32_e32 v15, 0
	v_add_nc_u64_e32 v[20:21], s[8:9], v[16:17]
	v_add_nc_u32_e32 v34, 0xe0, v3
	s_cvt_u32_f32 s0, s0
	v_dual_mov_b32 v12, 0 :: v_dual_mov_b32 v13, 0
	v_dual_mov_b32 v10, 0 :: v_dual_mov_b32 v11, 0
	s_delay_alu instid0(SALU_CYCLE_1)
	s_mul_i32 s18, s18, s0
	s_mov_b32 s9, 0
	s_mul_hi_u32 s8, s0, s18
	s_sub_co_i32 s13, s26, s13
	s_add_co_i32 s26, s12, -1
	s_mov_b64 s[2:3], 0xffffffffffffff
	s_add_co_i32 s8, s0, s8
	s_mov_b32 s18, s9
	s_branch .LBB325_433
.LBB325_431:                            ;   in Loop: Header=BB325_433 Depth=1
	s_or_b32 exec_lo, exec_lo, s0
	s_wait_dscnt 0x1
	v_cvt_pk_bf16_f32 v6, v6, v7
	v_perm_b32 v7, v80, v81, 0x5040100
	v_cvt_pk_bf16_f32 v8, v8, v9
	v_perm_b32 v9, v78, v79, 0x5040100
	s_wait_dscnt 0x0
	v_cvt_pk_bf16_f32 v2, v2, v3
	v_perm_b32 v3, v76, v77, 0x5040100
	v_pk_mul_bf16 v7, v6, v7
	v_cvt_pk_bf16_f32 v4, v4, v5
	v_pk_mul_bf16 v9, v8, v9
	v_perm_b32 v5, v29, v28, 0x5040100
	v_pk_mul_bf16 v3, v2, v3
	v_lshlrev_b32_e32 v44, 16, v7
	v_and_b32_e32 v7, 0xffff0000, v7
	v_lshlrev_b32_e32 v45, 16, v9
	v_and_b32_e32 v9, 0xffff0000, v9
	v_pk_mul_bf16 v5, v4, v5
	v_perm_b32 v29, v72, v73, 0x5040100
	v_add_f32_e32 v7, v44, v7
	v_perm_b32 v46, v61, v60, 0x5040100
	v_add_f32_e32 v9, v45, v9
	v_perm_b32 v47, v55, v54, 0x5040100
	s_delay_alu instid0(VALU_DEP_2) | instskip(SKIP_1) | instid1(VALU_DEP_1)
	v_add_f32_e32 v7, v9, v7
	v_perm_b32 v9, v74, v75, 0x5040100
	v_pk_mul_bf16 v9, v6, v9
	v_lshlrev_b32_e32 v28, 16, v3
	v_and_b32_e32 v3, 0xffff0000, v3
	s_delay_alu instid0(VALU_DEP_1) | instskip(SKIP_1) | instid1(VALU_DEP_1)
	v_dual_add_f32 v3, v28, v3 :: v_dual_lshlrev_b32 v28, 16, v5
	v_and_b32_e32 v5, 0xffff0000, v5
	v_dual_add_f32 v5, v28, v5 :: v_dual_add_f32 v3, v3, v7
	v_pk_mul_bf16 v7, v8, v29
	v_perm_b32 v28, v70, v71, 0x5040100
	v_lshlrev_b32_e32 v29, 16, v9
	v_and_b32_e32 v9, 0xffff0000, v9
	s_delay_alu instid0(VALU_DEP_4)
	v_lshlrev_b32_e32 v44, 16, v7
	v_and_b32_e32 v7, 0xffff0000, v7
	v_pk_mul_bf16 v28, v2, v28
	v_add_f32_e32 v3, v5, v3
	v_add_f32_e32 v5, v29, v9
	v_perm_b32 v29, v69, v68, 0x5040100
	s_delay_alu instid0(VALU_DEP_4) | instskip(SKIP_2) | instid1(VALU_DEP_3)
	v_dual_add_f32 v7, v44, v7 :: v_dual_lshlrev_b32 v9, 16, v28
	v_and_b32_e32 v28, 0xffff0000, v28
	v_perm_b32 v44, v66, v67, 0x5040100
	v_add_f32_e32 v5, v7, v5
	v_perm_b32 v7, v64, v65, 0x5040100
	s_delay_alu instid0(VALU_DEP_4) | instskip(NEXT) | instid1(VALU_DEP_4)
	v_dual_add_f32 v9, v9, v28 :: v_dual_add_f32 v10, v10, v3
	v_pk_mul_bf16 v3, v6, v44
	v_pk_mul_bf16 v28, v4, v29
	s_delay_alu instid0(VALU_DEP_4) | instskip(NEXT) | instid1(VALU_DEP_4)
	v_pk_mul_bf16 v7, v8, v7
	v_add_f32_e32 v29, v9, v5
	v_perm_b32 v5, v62, v63, 0x5040100
	s_delay_alu instid0(VALU_DEP_4) | instskip(SKIP_2) | instid1(VALU_DEP_4)
	v_dual_lshlrev_b32 v9, 16, v3 :: v_dual_lshlrev_b32 v45, 16, v28
	v_and_b32_e32 v3, 0xffff0000, v3
	v_and_b32_e32 v28, 0xffff0000, v28
	v_pk_mul_bf16 v5, v2, v5
	v_lshlrev_b32_e32 v44, 16, v7
	v_and_b32_e32 v7, 0xffff0000, v7
	v_add_f32_e32 v3, v9, v3
	s_delay_alu instid0(VALU_DEP_4) | instskip(SKIP_1) | instid1(VALU_DEP_4)
	v_dual_add_f32 v28, v45, v28 :: v_dual_lshlrev_b32 v9, 16, v5
	v_and_b32_e32 v5, 0xffff0000, v5
	v_add_f32_e32 v7, v44, v7
	v_pk_mul_bf16 v44, v4, v46
	s_delay_alu instid0(VALU_DEP_3) | instskip(SKIP_1) | instid1(VALU_DEP_3)
	v_add_f32_e32 v5, v9, v5
	v_perm_b32 v9, v56, v57, 0x5040100
	v_dual_add_f32 v3, v7, v3 :: v_dual_lshlrev_b32 v46, 16, v44
	v_perm_b32 v7, v58, v59, 0x5040100
	v_and_b32_e32 v44, 0xffff0000, v44
	s_delay_alu instid0(VALU_DEP_4) | instskip(NEXT) | instid1(VALU_DEP_4)
	v_pk_mul_bf16 v9, v8, v9
	v_add_f32_e32 v45, v5, v3
	s_delay_alu instid0(VALU_DEP_4) | instskip(NEXT) | instid1(VALU_DEP_4)
	v_pk_mul_bf16 v7, v6, v7
	v_add_f32_e32 v44, v46, v44
	v_perm_b32 v46, v52, v53, 0x5040100
	s_delay_alu instid0(VALU_DEP_3) | instskip(SKIP_3) | instid1(VALU_DEP_1)
	v_lshlrev_b32_e32 v3, 16, v7
	v_and_b32_e32 v5, 0xffff0000, v7
	v_lshlrev_b32_e32 v7, 16, v9
	v_and_b32_e32 v9, 0xffff0000, v9
	v_add_f32_e32 v7, v7, v9
	v_perm_b32 v9, v40, v41, 0x5040100
	v_pk_mul_bf16 v40, v2, v46
	v_add_f32_e32 v3, v3, v5
	v_perm_b32 v5, v42, v43, 0x5040100
	v_pk_mul_bf16 v41, v4, v47
	s_delay_alu instid0(VALU_DEP_2) | instskip(NEXT) | instid1(VALU_DEP_4)
	v_pk_mul_bf16 v5, v6, v5
	v_add_f32_e32 v42, v7, v3
	v_pk_mul_bf16 v3, v8, v9
	v_lshlrev_b32_e32 v7, 16, v40
	v_and_b32_e32 v9, 0xffff0000, v40
	v_lshlrev_b32_e32 v40, 16, v5
	v_and_b32_e32 v5, 0xffff0000, v5
	;; [unrolled: 2-line block ×3, first 2 shown]
	v_add_f32_e32 v46, v7, v9
	v_perm_b32 v7, v27, v35, 0x5040100
	v_add_f32_e32 v5, v40, v5
	v_perm_b32 v9, v37, v36, 0x5040100
	v_add_f32_e32 v3, v43, v3
	v_and_b32_e32 v35, 0xffff0000, v41
	v_pk_mul_bf16 v7, v2, v7
	s_delay_alu instid0(VALU_DEP_4) | instskip(NEXT) | instid1(VALU_DEP_4)
	v_pk_mul_bf16 v36, v4, v9
	v_add_f32_e32 v37, v3, v5
	v_perm_b32 v3, v83, v82, 0x5040100
	v_perm_b32 v5, v24, v84, 0x5040100
	v_lshlrev_b32_e32 v40, 16, v7
	v_perm_b32 v9, v16, v22, 0x5040100
	v_perm_b32 v16, v25, v23, 0x5040100
	v_pk_mul_bf16 v6, v6, v3
	v_and_b32_e32 v22, 0xffff0000, v7
	v_pk_mul_bf16 v7, v8, v5
	v_lshlrev_b32_e32 v27, 16, v41
	v_pk_mul_bf16 v8, v2, v9
	v_pk_mul_bf16 v16, v4, v16
	v_and_b32_e32 v3, 0xffff0000, v6
	v_lshlrev_b32_e32 v5, 16, v6
	v_and_b32_e32 v2, 0xffff0000, v7
	v_lshlrev_b32_e32 v4, 16, v7
	;; [unrolled: 2-line block ×3, first 2 shown]
	v_and_b32_e32 v6, 0xffff0000, v16
	v_and_b32_e32 v23, 0xffff0000, v36
	v_pk_add_f32 v[2:3], v[4:5], v[2:3]
	v_dual_lshlrev_b32 v8, 16, v16 :: v_dual_add_f32 v16, v40, v22
	s_delay_alu instid0(VALU_DEP_2) | instskip(NEXT) | instid1(VALU_DEP_2)
	v_dual_lshlrev_b32 v22, 16, v36 :: v_dual_add_f32 v2, v2, v3
	v_pk_add_f32 v[4:5], v[8:9], v[6:7]
	v_dual_add_f32 v3, v46, v42 :: v_dual_add_f32 v6, v27, v35
	s_delay_alu instid0(VALU_DEP_3) | instskip(NEXT) | instid1(VALU_DEP_3)
	v_dual_add_f32 v7, v16, v37 :: v_dual_add_f32 v8, v22, v23
	v_dual_add_f32 v2, v5, v2 :: v_dual_add_f32 v5, v28, v29
	s_delay_alu instid0(VALU_DEP_3) | instskip(NEXT) | instid1(VALU_DEP_3)
	v_dual_add_f32 v3, v6, v3 :: v_dual_add_f32 v9, v44, v45
	v_add_f32_e32 v6, v8, v7
	s_delay_alu instid0(VALU_DEP_3) | instskip(NEXT) | instid1(VALU_DEP_3)
	v_dual_add_f32 v2, v4, v2 :: v_dual_add_f32 v13, v13, v5
	v_dual_add_f32 v15, v15, v3 :: v_dual_add_f32 v12, v12, v9
	s_delay_alu instid0(VALU_DEP_3) | instskip(NEXT) | instid1(VALU_DEP_3)
	v_add_f32_e32 v14, v14, v6
	v_add_f32_e32 v11, v11, v2
.LBB325_432:                            ;   in Loop: Header=BB325_433 Depth=1
	s_or_b32 exec_lo, exec_lo, s19
	v_dual_add_nc_u32 v32, 4, v32 :: v_dual_add_nc_u32 v26, 64, v26
	v_add_nc_u64_e32 v[20:21], 16, v[20:21]
	v_add_nc_u32_e32 v34, 0x100, v34
	s_delay_alu instid0(VALU_DEP_3) | instskip(SKIP_1) | instid1(SALU_CYCLE_1)
	v_cmp_le_i32_e32 vcc_lo, s12, v32
	s_or_b32 s18, vcc_lo, s18
	s_and_not1_b32 exec_lo, exec_lo, s18
	s_cbranch_execz .LBB325_806
.LBB325_433:                            ; =>This Inner Loop Header: Depth=1
	v_mov_b32_e32 v27, v17
	s_delay_alu instid0(VALU_DEP_1) | instskip(NEXT) | instid1(VALU_DEP_1)
	v_mul_u64_e32 v[2:3], s[20:21], v[26:27]
	v_mul_lo_u32 v2, v3, s16
	s_delay_alu instid0(VALU_DEP_1) | instskip(NEXT) | instid1(VALU_DEP_1)
	v_sub_nc_u32_e32 v2, v26, v2
	v_subrev_nc_u32_e32 v5, s16, v2
	v_cmp_le_u32_e32 vcc_lo, s16, v2
	s_delay_alu instid0(VALU_DEP_2) | instskip(NEXT) | instid1(VALU_DEP_1)
	v_dual_add_nc_u32 v4, 1, v3 :: v_dual_cndmask_b32 v2, v2, v5, vcc_lo
	v_cndmask_b32_e32 v3, v3, v4, vcc_lo
	s_delay_alu instid0(VALU_DEP_2) | instskip(NEXT) | instid1(VALU_DEP_2)
	v_cmp_le_u32_e32 vcc_lo, s16, v2
	v_add_nc_u32_e32 v4, 1, v3
	s_delay_alu instid0(VALU_DEP_1) | instskip(NEXT) | instid1(VALU_DEP_1)
	v_cndmask_b32_e32 v2, v3, v4, vcc_lo
	v_xor_b32_e32 v2, s15, v2
	s_delay_alu instid0(VALU_DEP_1) | instskip(NEXT) | instid1(VALU_DEP_1)
	v_subrev_nc_u32_e32 v4, s15, v2
	v_add_nc_u32_e32 v5, s35, v4
	v_cmp_lt_i32_e64 s0, s13, v4
	s_delay_alu instid0(VALU_DEP_2) | instskip(NEXT) | instid1(VALU_DEP_1)
	v_sub_nc_u32_e32 v2, 0, v5
	v_dual_ashrrev_i32 v5, 31, v5 :: v_dual_max_i32 v16, v5, v2
	s_delay_alu instid0(VALU_DEP_1) | instskip(NEXT) | instid1(VALU_DEP_1)
	v_mul_u64_e32 v[2:3], s[8:9], v[16:17]
	v_mul_lo_u32 v2, v3, s14
	s_delay_alu instid0(VALU_DEP_1) | instskip(NEXT) | instid1(VALU_DEP_1)
	v_sub_nc_u32_e32 v2, v16, v2
	v_subrev_nc_u32_e32 v3, s14, v2
	v_cmp_le_u32_e32 vcc_lo, s14, v2
	s_delay_alu instid0(VALU_DEP_2) | instskip(NEXT) | instid1(VALU_DEP_1)
	v_cndmask_b32_e32 v2, v2, v3, vcc_lo
	v_subrev_nc_u32_e32 v3, s14, v2
	v_cmp_le_u32_e32 vcc_lo, s14, v2
	s_delay_alu instid0(VALU_DEP_2) | instskip(NEXT) | instid1(VALU_DEP_1)
	v_cndmask_b32_e32 v2, v2, v3, vcc_lo
	v_xor_b32_e32 v2, v2, v5
	s_delay_alu instid0(VALU_DEP_1) | instskip(NEXT) | instid1(VALU_DEP_1)
	v_sub_nc_u32_e32 v2, v2, v5
	v_cmp_eq_u32_e32 vcc_lo, 0, v2
	s_or_b32 s0, vcc_lo, s0
	s_delay_alu instid0(SALU_CYCLE_1)
	s_and_saveexec_b32 s19, s0
	s_cbranch_execz .LBB325_432
; %bb.434:                              ;   in Loop: Header=BB325_433 Depth=1
	global_load_b32 v2, v[20:21], off
	v_dual_mov_b32 v37, 0 :: v_dual_mov_b32 v36, 0
	s_mov_b32 s0, exec_lo
	s_wait_loadcnt 0x0
	v_mad_nc_i64_i32 v[22:23], v2, s17, v[18:19]
	global_load_b64 v[24:25], v[22:23], off
	ds_load_2addr_b64 v[6:9], v34 offset1:1
	ds_load_2addr_b64 v[2:5], v34 offset0:2 offset1:3
	s_load_b32 s22, s[10:11], 0x0
	s_wait_loadcnt 0x0
	v_and_b32_e32 v16, 0xff, v24
	s_delay_alu instid0(VALU_DEP_1)
	v_cmpx_ne_u16_e32 0, v16
	s_cbranch_execz .LBB325_440
; %bb.435:                              ;   in Loop: Header=BB325_433 Depth=1
	v_bfrev_b32_e32 v36, 1
	s_mov_b32 s23, exec_lo
	v_cmpx_ne_u16_e32 0x80, v16
	s_cbranch_execz .LBB325_439
; %bb.436:                              ;   in Loop: Header=BB325_433 Depth=1
	v_and_b32_e32 v16, 0x7f, v24
	v_mov_b32_e32 v36, 0x7f800001
	s_mov_b32 s24, exec_lo
	s_delay_alu instid0(VALU_DEP_2)
	v_cmpx_ne_u32_e32 0x7f, v16
	s_cbranch_execz .LBB325_438
; %bb.437:                              ;   in Loop: Header=BB325_433 Depth=1
	v_and_b32_e32 v27, 7, v24
	v_cmp_gt_u32_e32 vcc_lo, 8, v16
	s_delay_alu instid0(VALU_DEP_2) | instskip(NEXT) | instid1(VALU_DEP_1)
	v_clz_i32_u32_e32 v27, v27
	v_min_u32_e32 v27, 32, v27
	v_lshrrev_b32_e32 v28, 3, v16
	s_delay_alu instid0(VALU_DEP_2) | instskip(SKIP_1) | instid1(VALU_DEP_1)
	v_subrev_nc_u32_e32 v29, 28, v27
	v_sub_nc_u32_e32 v27, 29, v27
	v_dual_cndmask_b32 v16, v28, v27 :: v_dual_cndmask_b32 v27, 0, v29
	s_delay_alu instid0(VALU_DEP_1) | instskip(NEXT) | instid1(VALU_DEP_2)
	v_lshl_add_u32 v16, v16, 23, 0x3c000000
	v_lshlrev_b64_e32 v[28:29], v27, v[24:25]
	v_lshlrev_b32_e32 v27, 24, v24
	s_delay_alu instid0(VALU_DEP_1) | instskip(NEXT) | instid1(VALU_DEP_3)
	v_and_b32_e32 v27, 0x80000000, v27
	v_lshlrev_b32_e32 v28, 20, v28
	s_delay_alu instid0(VALU_DEP_1) | instskip(NEXT) | instid1(VALU_DEP_1)
	v_and_b32_e32 v28, 0x700000, v28
	v_or3_b32 v36, v28, v27, v16
.LBB325_438:                            ;   in Loop: Header=BB325_433 Depth=1
	s_or_b32 exec_lo, exec_lo, s24
.LBB325_439:                            ;   in Loop: Header=BB325_433 Depth=1
	s_delay_alu instid0(SALU_CYCLE_1)
	s_or_b32 exec_lo, exec_lo, s23
.LBB325_440:                            ;   in Loop: Header=BB325_433 Depth=1
	s_delay_alu instid0(SALU_CYCLE_1) | instskip(SKIP_2) | instid1(VALU_DEP_1)
	s_or_b32 exec_lo, exec_lo, s0
	v_lshrrev_b16 v16, 8, v24
	s_mov_b32 s0, exec_lo
	v_cmpx_ne_u16_e32 0, v16
	s_cbranch_execz .LBB325_448
; %bb.441:                              ;   in Loop: Header=BB325_433 Depth=1
	v_bfrev_b32_e32 v37, 1
	s_mov_b32 s23, exec_lo
	v_cmpx_ne_u16_e32 0x80, v16
	s_cbranch_execz .LBB325_447
; %bb.442:                              ;   in Loop: Header=BB325_433 Depth=1
	v_and_b32_e32 v16, 0xffff, v16
	v_mov_b32_e32 v37, 0x7f800001
	s_mov_b32 s24, exec_lo
	s_delay_alu instid0(VALU_DEP_2) | instskip(NEXT) | instid1(VALU_DEP_1)
	v_and_b32_e32 v28, 0x7f, v16
	v_cmpx_ne_u32_e32 0x7f, v28
	s_cbranch_execz .LBB325_446
; %bb.443:                              ;   in Loop: Header=BB325_433 Depth=1
	v_and_b32_e32 v16, 7, v16
	v_lshrrev_b32_e32 v27, 3, v28
	s_mov_b32 s25, exec_lo
	v_cmpx_gt_u32_e32 8, v28
; %bb.444:                              ;   in Loop: Header=BB325_433 Depth=1
	s_delay_alu instid0(VALU_DEP_3) | instskip(NEXT) | instid1(VALU_DEP_1)
	v_clz_i32_u32_e32 v27, v16
	v_min_u32_e32 v27, 32, v27
	s_delay_alu instid0(VALU_DEP_1) | instskip(NEXT) | instid1(VALU_DEP_1)
	v_subrev_nc_u32_e32 v28, 28, v27
	v_lshlrev_b64_e32 v[28:29], v28, v[16:17]
	s_delay_alu instid0(VALU_DEP_1)
	v_dual_sub_nc_u32 v27, 29, v27 :: v_dual_bitop2_b32 v16, 7, v28 bitop3:0x40
; %bb.445:                              ;   in Loop: Header=BB325_433 Depth=1
	s_or_b32 exec_lo, exec_lo, s25
	v_lshlrev_b32_e32 v28, 16, v24
	s_delay_alu instid0(VALU_DEP_2) | instskip(NEXT) | instid1(VALU_DEP_3)
	v_lshlrev_b32_e32 v16, 20, v16
	v_lshl_add_u32 v27, v27, 23, 0x3c000000
	s_delay_alu instid0(VALU_DEP_3) | instskip(NEXT) | instid1(VALU_DEP_1)
	v_and_b32_e32 v28, 0x80000000, v28
	v_or3_b32 v37, v16, v28, v27
.LBB325_446:                            ;   in Loop: Header=BB325_433 Depth=1
	s_or_b32 exec_lo, exec_lo, s24
.LBB325_447:                            ;   in Loop: Header=BB325_433 Depth=1
	s_delay_alu instid0(SALU_CYCLE_1)
	s_or_b32 exec_lo, exec_lo, s23
.LBB325_448:                            ;   in Loop: Header=BB325_433 Depth=1
	s_delay_alu instid0(SALU_CYCLE_1) | instskip(SKIP_3) | instid1(VALU_DEP_2)
	s_or_b32 exec_lo, exec_lo, s0
	v_dual_mov_b32 v40, 0 :: v_dual_lshrrev_b32 v27, 16, v24
	v_mov_b32_e32 v41, 0
	s_mov_b32 s0, exec_lo
	v_and_b32_e32 v16, 0xff, v27
	s_delay_alu instid0(VALU_DEP_1)
	v_cmpx_ne_u16_e32 0, v16
	s_cbranch_execz .LBB325_456
; %bb.449:                              ;   in Loop: Header=BB325_433 Depth=1
	v_bfrev_b32_e32 v41, 1
	s_mov_b32 s23, exec_lo
	v_cmpx_ne_u16_e32 0x80, v16
	s_cbranch_execz .LBB325_455
; %bb.450:                              ;   in Loop: Header=BB325_433 Depth=1
	v_bfe_u32 v29, v24, 16, 7
	v_mov_b32_e32 v41, 0x7f800001
	s_mov_b32 s24, exec_lo
	s_delay_alu instid0(VALU_DEP_2)
	v_cmpx_ne_u32_e32 0x7f, v29
	s_cbranch_execz .LBB325_454
; %bb.451:                              ;   in Loop: Header=BB325_433 Depth=1
	v_dual_lshrrev_b32 v28, 3, v29 :: v_dual_bitop2_b32 v16, 7, v27 bitop3:0x40
	s_mov_b32 s25, exec_lo
	v_cmpx_gt_u32_e32 8, v29
; %bb.452:                              ;   in Loop: Header=BB325_433 Depth=1
	s_delay_alu instid0(VALU_DEP_2) | instskip(NEXT) | instid1(VALU_DEP_1)
	v_clz_i32_u32_e32 v28, v16
	v_min_u32_e32 v28, 32, v28
	s_delay_alu instid0(VALU_DEP_1) | instskip(NEXT) | instid1(VALU_DEP_1)
	v_subrev_nc_u32_e32 v29, 28, v28
	v_lshlrev_b64_e32 v[42:43], v29, v[16:17]
	s_delay_alu instid0(VALU_DEP_1)
	v_dual_sub_nc_u32 v28, 29, v28 :: v_dual_bitop2_b32 v16, 7, v42 bitop3:0x40
; %bb.453:                              ;   in Loop: Header=BB325_433 Depth=1
	s_or_b32 exec_lo, exec_lo, s25
	s_delay_alu instid0(VALU_DEP_1) | instskip(NEXT) | instid1(VALU_DEP_2)
	v_dual_lshlrev_b32 v27, 24, v27 :: v_dual_lshlrev_b32 v16, 20, v16
	v_lshl_add_u32 v28, v28, 23, 0x3c000000
	s_delay_alu instid0(VALU_DEP_2) | instskip(NEXT) | instid1(VALU_DEP_1)
	v_and_b32_e32 v27, 0x80000000, v27
	v_or3_b32 v41, v16, v27, v28
.LBB325_454:                            ;   in Loop: Header=BB325_433 Depth=1
	s_or_b32 exec_lo, exec_lo, s24
.LBB325_455:                            ;   in Loop: Header=BB325_433 Depth=1
	s_delay_alu instid0(SALU_CYCLE_1)
	s_or_b32 exec_lo, exec_lo, s23
.LBB325_456:                            ;   in Loop: Header=BB325_433 Depth=1
	s_delay_alu instid0(SALU_CYCLE_1) | instskip(NEXT) | instid1(SALU_CYCLE_1)
	s_or_b32 exec_lo, exec_lo, s0
	s_mov_b32 s0, exec_lo
	v_cmpx_lt_u32_e32 0xffffff, v24
	s_cbranch_execz .LBB325_464
; %bb.457:                              ;   in Loop: Header=BB325_433 Depth=1
	v_lshrrev_b32_e32 v27, 24, v24
	v_bfrev_b32_e32 v40, 1
	s_mov_b32 s23, exec_lo
	s_delay_alu instid0(VALU_DEP_2)
	v_cmpx_ne_u32_e32 0x80, v27
	s_cbranch_execz .LBB325_463
; %bb.458:                              ;   in Loop: Header=BB325_433 Depth=1
	v_bfe_u32 v29, v24, 24, 7
	v_mov_b32_e32 v40, 0x7f800001
	s_mov_b32 s24, exec_lo
	s_delay_alu instid0(VALU_DEP_2)
	v_cmpx_ne_u32_e32 0x7f, v29
	s_cbranch_execz .LBB325_462
; %bb.459:                              ;   in Loop: Header=BB325_433 Depth=1
	v_dual_lshrrev_b32 v28, 3, v29 :: v_dual_bitop2_b32 v16, 7, v27 bitop3:0x40
	s_mov_b32 s25, exec_lo
	v_cmpx_gt_u32_e32 8, v29
; %bb.460:                              ;   in Loop: Header=BB325_433 Depth=1
	s_delay_alu instid0(VALU_DEP_2) | instskip(NEXT) | instid1(VALU_DEP_1)
	v_clz_i32_u32_e32 v28, v16
	v_min_u32_e32 v28, 32, v28
	s_delay_alu instid0(VALU_DEP_1) | instskip(NEXT) | instid1(VALU_DEP_1)
	v_subrev_nc_u32_e32 v29, 28, v28
	v_lshlrev_b64_e32 v[42:43], v29, v[16:17]
	s_delay_alu instid0(VALU_DEP_1)
	v_dual_sub_nc_u32 v28, 29, v28 :: v_dual_bitop2_b32 v16, 7, v42 bitop3:0x40
; %bb.461:                              ;   in Loop: Header=BB325_433 Depth=1
	s_or_b32 exec_lo, exec_lo, s25
	s_delay_alu instid0(VALU_DEP_1) | instskip(NEXT) | instid1(VALU_DEP_2)
	v_dual_lshlrev_b32 v27, 24, v27 :: v_dual_lshlrev_b32 v16, 20, v16
	v_lshl_add_u32 v28, v28, 23, 0x3c000000
	s_delay_alu instid0(VALU_DEP_2) | instskip(NEXT) | instid1(VALU_DEP_1)
	v_and_b32_e32 v27, 0x80000000, v27
	v_or3_b32 v40, v16, v27, v28
.LBB325_462:                            ;   in Loop: Header=BB325_433 Depth=1
	s_or_b32 exec_lo, exec_lo, s24
.LBB325_463:                            ;   in Loop: Header=BB325_433 Depth=1
	s_delay_alu instid0(SALU_CYCLE_1)
	s_or_b32 exec_lo, exec_lo, s23
.LBB325_464:                            ;   in Loop: Header=BB325_433 Depth=1
	s_delay_alu instid0(SALU_CYCLE_1) | instskip(SKIP_4) | instid1(VALU_DEP_3)
	s_or_b32 exec_lo, exec_lo, s0
	v_and_b32_e32 v28, 0xff, v25
	v_dual_mov_b32 v16, v25 :: v_dual_mov_b32 v27, 0
	v_mov_b32_e32 v35, 0
	s_mov_b32 s0, exec_lo
	v_cmpx_ne_u16_e32 0, v28
	s_cbranch_execz .LBB325_470
; %bb.465:                              ;   in Loop: Header=BB325_433 Depth=1
	v_bfrev_b32_e32 v35, 1
	s_mov_b32 s23, exec_lo
	v_cmpx_ne_u16_e32 0x80, v28
	s_cbranch_execz .LBB325_469
; %bb.466:                              ;   in Loop: Header=BB325_433 Depth=1
	v_and_b32_e32 v28, 0x7f, v25
	v_mov_b32_e32 v35, 0x7f800001
	s_mov_b32 s24, exec_lo
	s_delay_alu instid0(VALU_DEP_2)
	v_cmpx_ne_u32_e32 0x7f, v28
	s_cbranch_execz .LBB325_468
; %bb.467:                              ;   in Loop: Header=BB325_433 Depth=1
	v_dual_lshrrev_b32 v35, 3, v28 :: v_dual_bitop2_b32 v29, 7, v25 bitop3:0x40
	v_cmp_gt_u32_e32 vcc_lo, 8, v28
	s_delay_alu instid0(VALU_DEP_2) | instskip(NEXT) | instid1(VALU_DEP_1)
	v_clz_i32_u32_e32 v29, v29
	v_min_u32_e32 v29, 32, v29
	s_delay_alu instid0(VALU_DEP_1) | instskip(NEXT) | instid1(VALU_DEP_1)
	v_subrev_nc_u32_e32 v42, 28, v29
	v_dual_cndmask_b32 v28, 0, v42 :: v_dual_sub_nc_u32 v29, 29, v29
	s_delay_alu instid0(VALU_DEP_1) | instskip(NEXT) | instid1(VALU_DEP_2)
	v_cndmask_b32_e32 v35, v35, v29, vcc_lo
	v_lshlrev_b64_e32 v[28:29], v28, v[16:17]
	v_lshlrev_b32_e32 v29, 24, v16
	s_delay_alu instid0(VALU_DEP_3) | instskip(NEXT) | instid1(VALU_DEP_2)
	v_lshl_add_u32 v35, v35, 23, 0x3c000000
	v_and_b32_e32 v29, 0x80000000, v29
	s_delay_alu instid0(VALU_DEP_4) | instskip(NEXT) | instid1(VALU_DEP_1)
	v_lshlrev_b32_e32 v28, 20, v28
	v_and_b32_e32 v28, 0x700000, v28
	s_delay_alu instid0(VALU_DEP_1)
	v_or3_b32 v35, v28, v29, v35
.LBB325_468:                            ;   in Loop: Header=BB325_433 Depth=1
	s_or_b32 exec_lo, exec_lo, s24
.LBB325_469:                            ;   in Loop: Header=BB325_433 Depth=1
	s_delay_alu instid0(SALU_CYCLE_1)
	s_or_b32 exec_lo, exec_lo, s23
.LBB325_470:                            ;   in Loop: Header=BB325_433 Depth=1
	s_delay_alu instid0(SALU_CYCLE_1) | instskip(SKIP_2) | instid1(VALU_DEP_1)
	s_or_b32 exec_lo, exec_lo, s0
	v_lshrrev_b16 v28, 8, v16
	s_mov_b32 s0, exec_lo
	v_cmpx_ne_u16_e32 0, v28
	s_cbranch_execz .LBB325_478
; %bb.471:                              ;   in Loop: Header=BB325_433 Depth=1
	v_bfrev_b32_e32 v27, 1
	s_mov_b32 s23, exec_lo
	v_cmpx_ne_u16_e32 0x80, v28
	s_cbranch_execz .LBB325_477
; %bb.472:                              ;   in Loop: Header=BB325_433 Depth=1
	v_and_b32_e32 v28, 0xffff, v28
	v_mov_b32_e32 v27, 0x7f800001
	s_mov_b32 s24, exec_lo
	s_delay_alu instid0(VALU_DEP_2) | instskip(NEXT) | instid1(VALU_DEP_1)
	v_and_b32_e32 v42, 0x7f, v28
	v_cmpx_ne_u32_e32 0x7f, v42
	s_cbranch_execz .LBB325_476
; %bb.473:                              ;   in Loop: Header=BB325_433 Depth=1
	v_dual_mov_b32 v29, v17 :: v_dual_bitop2_b32 v28, 7, v28 bitop3:0x40
	v_lshrrev_b32_e32 v27, 3, v42
	s_mov_b32 s25, exec_lo
	v_cmpx_gt_u32_e32 8, v42
; %bb.474:                              ;   in Loop: Header=BB325_433 Depth=1
	s_delay_alu instid0(VALU_DEP_3) | instskip(NEXT) | instid1(VALU_DEP_1)
	v_clz_i32_u32_e32 v27, v28
	v_min_u32_e32 v27, 32, v27
	s_delay_alu instid0(VALU_DEP_1) | instskip(NEXT) | instid1(VALU_DEP_1)
	v_subrev_nc_u32_e32 v42, 28, v27
	v_lshlrev_b64_e32 v[28:29], v42, v[28:29]
	s_delay_alu instid0(VALU_DEP_1)
	v_dual_sub_nc_u32 v27, 29, v27 :: v_dual_bitop2_b32 v28, 7, v28 bitop3:0x40
; %bb.475:                              ;   in Loop: Header=BB325_433 Depth=1
	s_or_b32 exec_lo, exec_lo, s25
	v_lshlrev_b32_e32 v16, 16, v16
	s_delay_alu instid0(VALU_DEP_2) | instskip(NEXT) | instid1(VALU_DEP_3)
	v_lshlrev_b32_e32 v28, 20, v28
	v_lshl_add_u32 v27, v27, 23, 0x3c000000
	s_delay_alu instid0(VALU_DEP_3) | instskip(NEXT) | instid1(VALU_DEP_1)
	v_and_b32_e32 v16, 0x80000000, v16
	v_or3_b32 v27, v28, v16, v27
.LBB325_476:                            ;   in Loop: Header=BB325_433 Depth=1
	s_or_b32 exec_lo, exec_lo, s24
.LBB325_477:                            ;   in Loop: Header=BB325_433 Depth=1
	s_delay_alu instid0(SALU_CYCLE_1)
	s_or_b32 exec_lo, exec_lo, s23
.LBB325_478:                            ;   in Loop: Header=BB325_433 Depth=1
	s_delay_alu instid0(SALU_CYCLE_1) | instskip(SKIP_3) | instid1(VALU_DEP_2)
	s_or_b32 exec_lo, exec_lo, s0
	v_dual_lshrrev_b32 v42, 16, v25 :: v_dual_mov_b32 v28, 0
	v_mov_b32_e32 v29, 0
	s_mov_b32 s0, exec_lo
	v_and_b32_e32 v16, 0xff, v42
	s_delay_alu instid0(VALU_DEP_1)
	v_cmpx_ne_u16_e32 0, v16
	s_cbranch_execz .LBB325_486
; %bb.479:                              ;   in Loop: Header=BB325_433 Depth=1
	v_bfrev_b32_e32 v29, 1
	s_mov_b32 s23, exec_lo
	v_cmpx_ne_u16_e32 0x80, v16
	s_cbranch_execz .LBB325_485
; %bb.480:                              ;   in Loop: Header=BB325_433 Depth=1
	v_bfe_u32 v43, v25, 16, 7
	v_mov_b32_e32 v29, 0x7f800001
	s_mov_b32 s24, exec_lo
	s_delay_alu instid0(VALU_DEP_2)
	v_cmpx_ne_u32_e32 0x7f, v43
	s_cbranch_execz .LBB325_484
; %bb.481:                              ;   in Loop: Header=BB325_433 Depth=1
	v_dual_lshrrev_b32 v29, 3, v43 :: v_dual_bitop2_b32 v16, 7, v42 bitop3:0x40
	s_mov_b32 s25, exec_lo
	v_cmpx_gt_u32_e32 8, v43
; %bb.482:                              ;   in Loop: Header=BB325_433 Depth=1
	s_delay_alu instid0(VALU_DEP_2) | instskip(NEXT) | instid1(VALU_DEP_1)
	v_clz_i32_u32_e32 v29, v16
	v_min_u32_e32 v29, 32, v29
	s_delay_alu instid0(VALU_DEP_1) | instskip(NEXT) | instid1(VALU_DEP_1)
	v_subrev_nc_u32_e32 v43, 28, v29
	v_lshlrev_b64_e32 v[44:45], v43, v[16:17]
	s_delay_alu instid0(VALU_DEP_1)
	v_dual_sub_nc_u32 v29, 29, v29 :: v_dual_bitop2_b32 v16, 7, v44 bitop3:0x40
; %bb.483:                              ;   in Loop: Header=BB325_433 Depth=1
	s_or_b32 exec_lo, exec_lo, s25
	s_delay_alu instid0(VALU_DEP_1) | instskip(NEXT) | instid1(VALU_DEP_2)
	v_dual_lshlrev_b32 v42, 24, v42 :: v_dual_lshlrev_b32 v16, 20, v16
	v_lshl_add_u32 v29, v29, 23, 0x3c000000
	s_delay_alu instid0(VALU_DEP_2) | instskip(NEXT) | instid1(VALU_DEP_1)
	v_and_b32_e32 v42, 0x80000000, v42
	v_or3_b32 v29, v16, v42, v29
.LBB325_484:                            ;   in Loop: Header=BB325_433 Depth=1
	s_or_b32 exec_lo, exec_lo, s24
.LBB325_485:                            ;   in Loop: Header=BB325_433 Depth=1
	s_delay_alu instid0(SALU_CYCLE_1)
	s_or_b32 exec_lo, exec_lo, s23
.LBB325_486:                            ;   in Loop: Header=BB325_433 Depth=1
	s_delay_alu instid0(SALU_CYCLE_1) | instskip(NEXT) | instid1(SALU_CYCLE_1)
	s_or_b32 exec_lo, exec_lo, s0
	s_mov_b32 s0, exec_lo
	v_cmpx_lt_u64_e64 s[2:3], v[24:25]
	s_cbranch_execz .LBB325_494
; %bb.487:                              ;   in Loop: Header=BB325_433 Depth=1
	v_lshrrev_b32_e32 v24, 24, v25
	v_bfrev_b32_e32 v28, 1
	s_mov_b32 s23, exec_lo
	s_delay_alu instid0(VALU_DEP_2)
	v_cmpx_ne_u32_e32 0x80, v24
	s_cbranch_execz .LBB325_493
; %bb.488:                              ;   in Loop: Header=BB325_433 Depth=1
	v_bfe_u32 v42, v25, 24, 7
	v_mov_b32_e32 v28, 0x7f800001
	s_mov_b32 s24, exec_lo
	s_delay_alu instid0(VALU_DEP_2)
	v_cmpx_ne_u32_e32 0x7f, v42
	s_cbranch_execz .LBB325_492
; %bb.489:                              ;   in Loop: Header=BB325_433 Depth=1
	v_dual_lshrrev_b32 v25, 3, v42 :: v_dual_bitop2_b32 v16, 7, v24 bitop3:0x40
	s_mov_b32 s25, exec_lo
	v_cmpx_gt_u32_e32 8, v42
; %bb.490:                              ;   in Loop: Header=BB325_433 Depth=1
	s_delay_alu instid0(VALU_DEP_2) | instskip(NEXT) | instid1(VALU_DEP_1)
	v_clz_i32_u32_e32 v25, v16
	v_min_u32_e32 v25, 32, v25
	s_delay_alu instid0(VALU_DEP_1) | instskip(NEXT) | instid1(VALU_DEP_1)
	v_subrev_nc_u32_e32 v28, 28, v25
	v_lshlrev_b64_e32 v[42:43], v28, v[16:17]
	s_delay_alu instid0(VALU_DEP_1)
	v_dual_sub_nc_u32 v25, 29, v25 :: v_dual_bitop2_b32 v16, 7, v42 bitop3:0x40
; %bb.491:                              ;   in Loop: Header=BB325_433 Depth=1
	s_or_b32 exec_lo, exec_lo, s25
	v_lshlrev_b32_e32 v24, 24, v24
	s_delay_alu instid0(VALU_DEP_2) | instskip(NEXT) | instid1(VALU_DEP_3)
	v_lshlrev_b32_e32 v16, 20, v16
	v_lshl_add_u32 v25, v25, 23, 0x3c000000
	s_delay_alu instid0(VALU_DEP_3) | instskip(NEXT) | instid1(VALU_DEP_1)
	v_and_b32_e32 v24, 0x80000000, v24
	v_or3_b32 v28, v16, v24, v25
.LBB325_492:                            ;   in Loop: Header=BB325_433 Depth=1
	s_or_b32 exec_lo, exec_lo, s24
.LBB325_493:                            ;   in Loop: Header=BB325_433 Depth=1
	s_delay_alu instid0(SALU_CYCLE_1)
	s_or_b32 exec_lo, exec_lo, s23
.LBB325_494:                            ;   in Loop: Header=BB325_433 Depth=1
	s_delay_alu instid0(SALU_CYCLE_1)
	s_or_b32 exec_lo, exec_lo, s0
	v_add_nc_u32_e32 v44, v33, v26
	v_cmp_eq_u32_e32 vcc_lo, s26, v32
	s_wait_kmcnt 0x0
	v_fma_mixlo_bf16 v27, s22, v27, 0
	v_fma_mixlo_bf16 v35, s22, v35, 0
	;; [unrolled: 1-line block ×8, first 2 shown]
	v_dual_add_nc_u32 v51, 1, v44 :: v_dual_add_nc_u32 v50, 2, v44
	v_dual_add_nc_u32 v49, 3, v44 :: v_dual_add_nc_u32 v48, 4, v44
	;; [unrolled: 1-line block ×3, first 2 shown]
	v_add_nc_u32_e32 v45, 7, v44
	s_and_saveexec_b32 s23, vcc_lo
	s_cbranch_execz .LBB325_496
; %bb.495:                              ;   in Loop: Header=BB325_433 Depth=1
	v_cmp_gt_i32_e64 s0, s34, v44
	s_delay_alu instid0(VALU_DEP_1) | instskip(SKIP_1) | instid1(VALU_DEP_1)
	v_cndmask_b32_e64 v43, 0, v43, s0
	v_cmp_gt_i32_e64 s0, s34, v51
	v_cndmask_b32_e64 v42, 0, v42, s0
	v_cmp_gt_i32_e64 s0, s34, v50
	s_delay_alu instid0(VALU_DEP_1) | instskip(SKIP_1) | instid1(VALU_DEP_1)
	v_cndmask_b32_e64 v41, 0, v41, s0
	v_cmp_gt_i32_e64 s0, s34, v49
	v_cndmask_b32_e64 v40, 0, v40, s0
	;; [unrolled: 5-line block ×4, first 2 shown]
.LBB325_496:                            ;   in Loop: Header=BB325_433 Depth=1
	s_or_b32 exec_lo, exec_lo, s23
	global_load_b64 v[24:25], v[22:23], off offset:256
	v_dual_mov_b32 v55, 0 :: v_dual_mov_b32 v54, 0
	s_mov_b32 s23, exec_lo
	s_wait_loadcnt 0x0
	v_and_b32_e32 v16, 0xff, v24
	s_delay_alu instid0(VALU_DEP_1)
	v_cmpx_ne_u16_e32 0, v16
	s_cbranch_execz .LBB325_502
; %bb.497:                              ;   in Loop: Header=BB325_433 Depth=1
	v_bfrev_b32_e32 v54, 1
	s_mov_b32 s24, exec_lo
	v_cmpx_ne_u16_e32 0x80, v16
	s_cbranch_execz .LBB325_501
; %bb.498:                              ;   in Loop: Header=BB325_433 Depth=1
	v_and_b32_e32 v16, 0x7f, v24
	v_mov_b32_e32 v54, 0x7f800001
	s_mov_b32 s25, exec_lo
	s_delay_alu instid0(VALU_DEP_2)
	v_cmpx_ne_u32_e32 0x7f, v16
	s_cbranch_execz .LBB325_500
; %bb.499:                              ;   in Loop: Header=BB325_433 Depth=1
	v_and_b32_e32 v28, 7, v24
	v_lshrrev_b32_e32 v29, 3, v16
	v_cmp_gt_u32_e64 s0, 8, v16
	s_delay_alu instid0(VALU_DEP_3) | instskip(NEXT) | instid1(VALU_DEP_1)
	v_clz_i32_u32_e32 v28, v28
	v_min_u32_e32 v28, 32, v28
	s_delay_alu instid0(VALU_DEP_1) | instskip(SKIP_1) | instid1(VALU_DEP_1)
	v_subrev_nc_u32_e32 v52, 28, v28
	v_sub_nc_u32_e32 v28, 29, v28
	v_cndmask_b32_e64 v16, v29, v28, s0
	s_delay_alu instid0(VALU_DEP_3) | instskip(NEXT) | instid1(VALU_DEP_1)
	v_cndmask_b32_e64 v28, 0, v52, s0
	v_lshlrev_b64_e32 v[28:29], v28, v[24:25]
	v_lshlrev_b32_e32 v29, 24, v24
	s_delay_alu instid0(VALU_DEP_1) | instskip(NEXT) | instid1(VALU_DEP_3)
	v_and_b32_e32 v29, 0x80000000, v29
	v_lshlrev_b32_e32 v28, 20, v28
	v_lshl_add_u32 v16, v16, 23, 0x3c000000
	s_delay_alu instid0(VALU_DEP_2) | instskip(NEXT) | instid1(VALU_DEP_1)
	v_and_b32_e32 v28, 0x700000, v28
	v_or3_b32 v54, v28, v29, v16
.LBB325_500:                            ;   in Loop: Header=BB325_433 Depth=1
	s_or_b32 exec_lo, exec_lo, s25
.LBB325_501:                            ;   in Loop: Header=BB325_433 Depth=1
	s_delay_alu instid0(SALU_CYCLE_1)
	s_or_b32 exec_lo, exec_lo, s24
.LBB325_502:                            ;   in Loop: Header=BB325_433 Depth=1
	s_delay_alu instid0(SALU_CYCLE_1) | instskip(SKIP_2) | instid1(VALU_DEP_1)
	s_or_b32 exec_lo, exec_lo, s23
	v_lshrrev_b16 v16, 8, v24
	s_mov_b32 s23, exec_lo
	v_cmpx_ne_u16_e32 0, v16
	s_cbranch_execz .LBB325_510
; %bb.503:                              ;   in Loop: Header=BB325_433 Depth=1
	v_bfrev_b32_e32 v55, 1
	s_mov_b32 s24, exec_lo
	v_cmpx_ne_u16_e32 0x80, v16
	s_cbranch_execz .LBB325_509
; %bb.504:                              ;   in Loop: Header=BB325_433 Depth=1
	v_and_b32_e32 v16, 0xffff, v16
	v_mov_b32_e32 v55, 0x7f800001
	s_mov_b32 s25, exec_lo
	s_delay_alu instid0(VALU_DEP_2) | instskip(NEXT) | instid1(VALU_DEP_1)
	v_and_b32_e32 v29, 0x7f, v16
	v_cmpx_ne_u32_e32 0x7f, v29
	s_cbranch_execz .LBB325_508
; %bb.505:                              ;   in Loop: Header=BB325_433 Depth=1
	v_dual_lshrrev_b32 v28, 3, v29 :: v_dual_bitop2_b32 v16, 7, v16 bitop3:0x40
	s_mov_b32 s27, exec_lo
	v_cmpx_gt_u32_e32 8, v29
; %bb.506:                              ;   in Loop: Header=BB325_433 Depth=1
	s_delay_alu instid0(VALU_DEP_2) | instskip(NEXT) | instid1(VALU_DEP_1)
	v_clz_i32_u32_e32 v28, v16
	v_min_u32_e32 v28, 32, v28
	s_delay_alu instid0(VALU_DEP_1) | instskip(SKIP_1) | instid1(VALU_DEP_2)
	v_subrev_nc_u32_e32 v29, 28, v28
	v_sub_nc_u32_e32 v28, 29, v28
	v_lshlrev_b64_e32 v[52:53], v29, v[16:17]
	s_delay_alu instid0(VALU_DEP_1)
	v_and_b32_e32 v16, 7, v52
; %bb.507:                              ;   in Loop: Header=BB325_433 Depth=1
	s_or_b32 exec_lo, exec_lo, s27
	v_lshlrev_b32_e32 v29, 16, v24
	s_delay_alu instid0(VALU_DEP_2) | instskip(SKIP_1) | instid1(VALU_DEP_3)
	v_lshlrev_b32_e32 v16, 20, v16
	v_lshl_add_u32 v28, v28, 23, 0x3c000000
	v_and_b32_e32 v29, 0x80000000, v29
	s_delay_alu instid0(VALU_DEP_1)
	v_or3_b32 v55, v16, v29, v28
.LBB325_508:                            ;   in Loop: Header=BB325_433 Depth=1
	s_or_b32 exec_lo, exec_lo, s25
.LBB325_509:                            ;   in Loop: Header=BB325_433 Depth=1
	s_delay_alu instid0(SALU_CYCLE_1)
	s_or_b32 exec_lo, exec_lo, s24
.LBB325_510:                            ;   in Loop: Header=BB325_433 Depth=1
	s_delay_alu instid0(SALU_CYCLE_1) | instskip(SKIP_3) | instid1(VALU_DEP_2)
	s_or_b32 exec_lo, exec_lo, s23
	v_dual_lshrrev_b32 v28, 16, v24 :: v_dual_mov_b32 v56, 0
	v_mov_b32_e32 v57, 0
	s_mov_b32 s23, exec_lo
	v_and_b32_e32 v16, 0xff, v28
	s_delay_alu instid0(VALU_DEP_1)
	v_cmpx_ne_u16_e32 0, v16
	s_cbranch_execz .LBB325_518
; %bb.511:                              ;   in Loop: Header=BB325_433 Depth=1
	v_bfrev_b32_e32 v57, 1
	s_mov_b32 s24, exec_lo
	v_cmpx_ne_u16_e32 0x80, v16
	s_cbranch_execz .LBB325_517
; %bb.512:                              ;   in Loop: Header=BB325_433 Depth=1
	v_bfe_u32 v52, v24, 16, 7
	v_mov_b32_e32 v57, 0x7f800001
	s_mov_b32 s25, exec_lo
	s_delay_alu instid0(VALU_DEP_2)
	v_cmpx_ne_u32_e32 0x7f, v52
	s_cbranch_execz .LBB325_516
; %bb.513:                              ;   in Loop: Header=BB325_433 Depth=1
	v_and_b32_e32 v16, 7, v28
	v_lshrrev_b32_e32 v29, 3, v52
	s_mov_b32 s27, exec_lo
	v_cmpx_gt_u32_e32 8, v52
; %bb.514:                              ;   in Loop: Header=BB325_433 Depth=1
	s_delay_alu instid0(VALU_DEP_3) | instskip(NEXT) | instid1(VALU_DEP_1)
	v_clz_i32_u32_e32 v29, v16
	v_min_u32_e32 v29, 32, v29
	s_delay_alu instid0(VALU_DEP_1) | instskip(NEXT) | instid1(VALU_DEP_1)
	v_subrev_nc_u32_e32 v52, 28, v29
	v_lshlrev_b64_e32 v[52:53], v52, v[16:17]
	s_delay_alu instid0(VALU_DEP_1)
	v_dual_sub_nc_u32 v29, 29, v29 :: v_dual_bitop2_b32 v16, 7, v52 bitop3:0x40
; %bb.515:                              ;   in Loop: Header=BB325_433 Depth=1
	s_or_b32 exec_lo, exec_lo, s27
	v_lshlrev_b32_e32 v28, 24, v28
	s_delay_alu instid0(VALU_DEP_2) | instskip(NEXT) | instid1(VALU_DEP_3)
	v_lshlrev_b32_e32 v16, 20, v16
	v_lshl_add_u32 v29, v29, 23, 0x3c000000
	s_delay_alu instid0(VALU_DEP_3) | instskip(NEXT) | instid1(VALU_DEP_1)
	v_and_b32_e32 v28, 0x80000000, v28
	v_or3_b32 v57, v16, v28, v29
.LBB325_516:                            ;   in Loop: Header=BB325_433 Depth=1
	s_or_b32 exec_lo, exec_lo, s25
.LBB325_517:                            ;   in Loop: Header=BB325_433 Depth=1
	s_delay_alu instid0(SALU_CYCLE_1)
	s_or_b32 exec_lo, exec_lo, s24
.LBB325_518:                            ;   in Loop: Header=BB325_433 Depth=1
	s_delay_alu instid0(SALU_CYCLE_1) | instskip(NEXT) | instid1(SALU_CYCLE_1)
	s_or_b32 exec_lo, exec_lo, s23
	s_mov_b32 s23, exec_lo
	v_cmpx_lt_u32_e32 0xffffff, v24
	s_cbranch_execz .LBB325_526
; %bb.519:                              ;   in Loop: Header=BB325_433 Depth=1
	v_lshrrev_b32_e32 v28, 24, v24
	v_bfrev_b32_e32 v56, 1
	s_mov_b32 s24, exec_lo
	s_delay_alu instid0(VALU_DEP_2)
	v_cmpx_ne_u32_e32 0x80, v28
	s_cbranch_execz .LBB325_525
; %bb.520:                              ;   in Loop: Header=BB325_433 Depth=1
	v_bfe_u32 v52, v24, 24, 7
	v_mov_b32_e32 v56, 0x7f800001
	s_mov_b32 s25, exec_lo
	s_delay_alu instid0(VALU_DEP_2)
	v_cmpx_ne_u32_e32 0x7f, v52
	s_cbranch_execz .LBB325_524
; %bb.521:                              ;   in Loop: Header=BB325_433 Depth=1
	v_and_b32_e32 v16, 7, v28
	v_lshrrev_b32_e32 v29, 3, v52
	s_mov_b32 s27, exec_lo
	v_cmpx_gt_u32_e32 8, v52
; %bb.522:                              ;   in Loop: Header=BB325_433 Depth=1
	s_delay_alu instid0(VALU_DEP_3) | instskip(NEXT) | instid1(VALU_DEP_1)
	v_clz_i32_u32_e32 v29, v16
	v_min_u32_e32 v29, 32, v29
	s_delay_alu instid0(VALU_DEP_1) | instskip(NEXT) | instid1(VALU_DEP_1)
	v_subrev_nc_u32_e32 v52, 28, v29
	v_lshlrev_b64_e32 v[52:53], v52, v[16:17]
	s_delay_alu instid0(VALU_DEP_1)
	v_dual_sub_nc_u32 v29, 29, v29 :: v_dual_bitop2_b32 v16, 7, v52 bitop3:0x40
; %bb.523:                              ;   in Loop: Header=BB325_433 Depth=1
	s_or_b32 exec_lo, exec_lo, s27
	v_lshlrev_b32_e32 v28, 24, v28
	s_delay_alu instid0(VALU_DEP_2) | instskip(NEXT) | instid1(VALU_DEP_3)
	v_lshlrev_b32_e32 v16, 20, v16
	v_lshl_add_u32 v29, v29, 23, 0x3c000000
	s_delay_alu instid0(VALU_DEP_3) | instskip(NEXT) | instid1(VALU_DEP_1)
	v_and_b32_e32 v28, 0x80000000, v28
	v_or3_b32 v56, v16, v28, v29
.LBB325_524:                            ;   in Loop: Header=BB325_433 Depth=1
	s_or_b32 exec_lo, exec_lo, s25
.LBB325_525:                            ;   in Loop: Header=BB325_433 Depth=1
	s_delay_alu instid0(SALU_CYCLE_1)
	s_or_b32 exec_lo, exec_lo, s24
.LBB325_526:                            ;   in Loop: Header=BB325_433 Depth=1
	s_delay_alu instid0(SALU_CYCLE_1) | instskip(SKIP_4) | instid1(VALU_DEP_3)
	s_or_b32 exec_lo, exec_lo, s23
	v_and_b32_e32 v29, 0xff, v25
	v_dual_mov_b32 v16, v25 :: v_dual_mov_b32 v28, 0
	v_mov_b32_e32 v53, 0
	s_mov_b32 s23, exec_lo
	v_cmpx_ne_u16_e32 0, v29
	s_cbranch_execz .LBB325_532
; %bb.527:                              ;   in Loop: Header=BB325_433 Depth=1
	v_bfrev_b32_e32 v53, 1
	s_mov_b32 s24, exec_lo
	v_cmpx_ne_u16_e32 0x80, v29
	s_cbranch_execz .LBB325_531
; %bb.528:                              ;   in Loop: Header=BB325_433 Depth=1
	v_and_b32_e32 v29, 0x7f, v25
	v_mov_b32_e32 v53, 0x7f800001
	s_mov_b32 s25, exec_lo
	s_delay_alu instid0(VALU_DEP_2)
	v_cmpx_ne_u32_e32 0x7f, v29
	s_cbranch_execz .LBB325_530
; %bb.529:                              ;   in Loop: Header=BB325_433 Depth=1
	v_and_b32_e32 v52, 7, v25
	v_cmp_gt_u32_e64 s0, 8, v29
	s_delay_alu instid0(VALU_DEP_2) | instskip(NEXT) | instid1(VALU_DEP_1)
	v_clz_i32_u32_e32 v52, v52
	v_min_u32_e32 v52, 32, v52
	v_lshrrev_b32_e32 v53, 3, v29
	s_delay_alu instid0(VALU_DEP_2) | instskip(SKIP_1) | instid1(VALU_DEP_1)
	v_subrev_nc_u32_e32 v58, 28, v52
	v_sub_nc_u32_e32 v52, 29, v52
	v_dual_cndmask_b32 v29, v53, v52, s0 :: v_dual_cndmask_b32 v52, 0, v58, s0
	s_delay_alu instid0(VALU_DEP_1) | instskip(NEXT) | instid1(VALU_DEP_2)
	v_lshl_add_u32 v29, v29, 23, 0x3c000000
	v_lshlrev_b64_e32 v[52:53], v52, v[16:17]
	v_lshlrev_b32_e32 v53, 24, v16
	s_delay_alu instid0(VALU_DEP_1) | instskip(NEXT) | instid1(VALU_DEP_3)
	v_and_b32_e32 v53, 0x80000000, v53
	v_lshlrev_b32_e32 v52, 20, v52
	s_delay_alu instid0(VALU_DEP_1) | instskip(NEXT) | instid1(VALU_DEP_1)
	v_and_b32_e32 v52, 0x700000, v52
	v_or3_b32 v53, v52, v53, v29
.LBB325_530:                            ;   in Loop: Header=BB325_433 Depth=1
	s_or_b32 exec_lo, exec_lo, s25
.LBB325_531:                            ;   in Loop: Header=BB325_433 Depth=1
	s_delay_alu instid0(SALU_CYCLE_1)
	s_or_b32 exec_lo, exec_lo, s24
.LBB325_532:                            ;   in Loop: Header=BB325_433 Depth=1
	s_delay_alu instid0(SALU_CYCLE_1) | instskip(SKIP_2) | instid1(VALU_DEP_1)
	s_or_b32 exec_lo, exec_lo, s23
	v_lshrrev_b16 v29, 8, v16
	s_mov_b32 s23, exec_lo
	v_cmpx_ne_u16_e32 0, v29
	s_cbranch_execz .LBB325_540
; %bb.533:                              ;   in Loop: Header=BB325_433 Depth=1
	v_bfrev_b32_e32 v28, 1
	s_mov_b32 s24, exec_lo
	v_cmpx_ne_u16_e32 0x80, v29
	s_cbranch_execz .LBB325_539
; %bb.534:                              ;   in Loop: Header=BB325_433 Depth=1
	v_and_b32_e32 v29, 0xffff, v29
	v_mov_b32_e32 v28, 0x7f800001
	s_mov_b32 s25, exec_lo
	s_delay_alu instid0(VALU_DEP_2) | instskip(NEXT) | instid1(VALU_DEP_1)
	v_and_b32_e32 v58, 0x7f, v29
	v_cmpx_ne_u32_e32 0x7f, v58
	s_cbranch_execz .LBB325_538
; %bb.535:                              ;   in Loop: Header=BB325_433 Depth=1
	v_dual_mov_b32 v29, v17 :: v_dual_bitop2_b32 v28, 7, v29 bitop3:0x40
	v_lshrrev_b32_e32 v52, 3, v58
	s_mov_b32 s27, exec_lo
	v_cmpx_gt_u32_e32 8, v58
; %bb.536:                              ;   in Loop: Header=BB325_433 Depth=1
	s_delay_alu instid0(VALU_DEP_3) | instskip(NEXT) | instid1(VALU_DEP_1)
	v_clz_i32_u32_e32 v52, v28
	v_min_u32_e32 v52, 32, v52
	s_delay_alu instid0(VALU_DEP_1) | instskip(SKIP_1) | instid1(VALU_DEP_2)
	v_subrev_nc_u32_e32 v58, 28, v52
	v_sub_nc_u32_e32 v52, 29, v52
	v_lshlrev_b64_e32 v[28:29], v58, v[28:29]
	s_delay_alu instid0(VALU_DEP_1)
	v_and_b32_e32 v28, 7, v28
; %bb.537:                              ;   in Loop: Header=BB325_433 Depth=1
	s_or_b32 exec_lo, exec_lo, s27
	v_lshlrev_b32_e32 v16, 16, v16
	s_delay_alu instid0(VALU_DEP_2) | instskip(SKIP_1) | instid1(VALU_DEP_3)
	v_lshlrev_b32_e32 v28, 20, v28
	v_lshl_add_u32 v29, v52, 23, 0x3c000000
	v_and_b32_e32 v16, 0x80000000, v16
	s_delay_alu instid0(VALU_DEP_1)
	v_or3_b32 v28, v28, v16, v29
.LBB325_538:                            ;   in Loop: Header=BB325_433 Depth=1
	s_or_b32 exec_lo, exec_lo, s25
.LBB325_539:                            ;   in Loop: Header=BB325_433 Depth=1
	s_delay_alu instid0(SALU_CYCLE_1)
	s_or_b32 exec_lo, exec_lo, s24
.LBB325_540:                            ;   in Loop: Header=BB325_433 Depth=1
	s_delay_alu instid0(SALU_CYCLE_1) | instskip(SKIP_3) | instid1(VALU_DEP_2)
	s_or_b32 exec_lo, exec_lo, s23
	v_dual_mov_b32 v29, 0 :: v_dual_lshrrev_b32 v52, 16, v25
	v_mov_b32_e32 v60, 0
	s_mov_b32 s23, exec_lo
	v_and_b32_e32 v16, 0xff, v52
	s_delay_alu instid0(VALU_DEP_1)
	v_cmpx_ne_u16_e32 0, v16
	s_cbranch_execz .LBB325_548
; %bb.541:                              ;   in Loop: Header=BB325_433 Depth=1
	v_bfrev_b32_e32 v60, 1
	s_mov_b32 s24, exec_lo
	v_cmpx_ne_u16_e32 0x80, v16
	s_cbranch_execz .LBB325_547
; %bb.542:                              ;   in Loop: Header=BB325_433 Depth=1
	v_bfe_u32 v59, v25, 16, 7
	v_mov_b32_e32 v60, 0x7f800001
	s_mov_b32 s25, exec_lo
	s_delay_alu instid0(VALU_DEP_2)
	v_cmpx_ne_u32_e32 0x7f, v59
	s_cbranch_execz .LBB325_546
; %bb.543:                              ;   in Loop: Header=BB325_433 Depth=1
	v_dual_lshrrev_b32 v58, 3, v59 :: v_dual_bitop2_b32 v16, 7, v52 bitop3:0x40
	s_mov_b32 s27, exec_lo
	v_cmpx_gt_u32_e32 8, v59
; %bb.544:                              ;   in Loop: Header=BB325_433 Depth=1
	s_delay_alu instid0(VALU_DEP_2) | instskip(NEXT) | instid1(VALU_DEP_1)
	v_clz_i32_u32_e32 v58, v16
	v_min_u32_e32 v58, 32, v58
	s_delay_alu instid0(VALU_DEP_1) | instskip(NEXT) | instid1(VALU_DEP_1)
	v_subrev_nc_u32_e32 v59, 28, v58
	v_lshlrev_b64_e32 v[60:61], v59, v[16:17]
	s_delay_alu instid0(VALU_DEP_1)
	v_dual_sub_nc_u32 v58, 29, v58 :: v_dual_bitop2_b32 v16, 7, v60 bitop3:0x40
; %bb.545:                              ;   in Loop: Header=BB325_433 Depth=1
	s_or_b32 exec_lo, exec_lo, s27
	v_lshlrev_b32_e32 v52, 24, v52
	s_delay_alu instid0(VALU_DEP_2) | instskip(NEXT) | instid1(VALU_DEP_3)
	v_lshlrev_b32_e32 v16, 20, v16
	v_lshl_add_u32 v58, v58, 23, 0x3c000000
	s_delay_alu instid0(VALU_DEP_3) | instskip(NEXT) | instid1(VALU_DEP_1)
	v_and_b32_e32 v52, 0x80000000, v52
	v_or3_b32 v60, v16, v52, v58
.LBB325_546:                            ;   in Loop: Header=BB325_433 Depth=1
	s_or_b32 exec_lo, exec_lo, s25
.LBB325_547:                            ;   in Loop: Header=BB325_433 Depth=1
	s_delay_alu instid0(SALU_CYCLE_1)
	s_or_b32 exec_lo, exec_lo, s24
.LBB325_548:                            ;   in Loop: Header=BB325_433 Depth=1
	s_delay_alu instid0(SALU_CYCLE_1) | instskip(NEXT) | instid1(SALU_CYCLE_1)
	s_or_b32 exec_lo, exec_lo, s23
	s_mov_b32 s23, exec_lo
	v_cmpx_lt_u64_e64 s[2:3], v[24:25]
	s_cbranch_execz .LBB325_556
; %bb.549:                              ;   in Loop: Header=BB325_433 Depth=1
	v_lshrrev_b32_e32 v24, 24, v25
	v_bfrev_b32_e32 v29, 1
	s_mov_b32 s24, exec_lo
	s_delay_alu instid0(VALU_DEP_2)
	v_cmpx_ne_u32_e32 0x80, v24
	s_cbranch_execz .LBB325_555
; %bb.550:                              ;   in Loop: Header=BB325_433 Depth=1
	v_bfe_u32 v52, v25, 24, 7
	v_mov_b32_e32 v29, 0x7f800001
	s_mov_b32 s25, exec_lo
	s_delay_alu instid0(VALU_DEP_2)
	v_cmpx_ne_u32_e32 0x7f, v52
	s_cbranch_execz .LBB325_554
; %bb.551:                              ;   in Loop: Header=BB325_433 Depth=1
	v_and_b32_e32 v16, 7, v24
	v_lshrrev_b32_e32 v25, 3, v52
	s_mov_b32 s27, exec_lo
	v_cmpx_gt_u32_e32 8, v52
; %bb.552:                              ;   in Loop: Header=BB325_433 Depth=1
	s_delay_alu instid0(VALU_DEP_3) | instskip(NEXT) | instid1(VALU_DEP_1)
	v_clz_i32_u32_e32 v25, v16
	v_min_u32_e32 v25, 32, v25
	s_delay_alu instid0(VALU_DEP_1) | instskip(NEXT) | instid1(VALU_DEP_1)
	v_subrev_nc_u32_e32 v29, 28, v25
	v_lshlrev_b64_e32 v[58:59], v29, v[16:17]
	s_delay_alu instid0(VALU_DEP_1)
	v_dual_sub_nc_u32 v25, 29, v25 :: v_dual_bitop2_b32 v16, 7, v58 bitop3:0x40
; %bb.553:                              ;   in Loop: Header=BB325_433 Depth=1
	s_or_b32 exec_lo, exec_lo, s27
	v_lshlrev_b32_e32 v24, 24, v24
	s_delay_alu instid0(VALU_DEP_2) | instskip(NEXT) | instid1(VALU_DEP_3)
	v_lshlrev_b32_e32 v16, 20, v16
	v_lshl_add_u32 v25, v25, 23, 0x3c000000
	s_delay_alu instid0(VALU_DEP_3) | instskip(NEXT) | instid1(VALU_DEP_1)
	v_and_b32_e32 v24, 0x80000000, v24
	v_or3_b32 v29, v16, v24, v25
.LBB325_554:                            ;   in Loop: Header=BB325_433 Depth=1
	s_or_b32 exec_lo, exec_lo, s25
.LBB325_555:                            ;   in Loop: Header=BB325_433 Depth=1
	s_delay_alu instid0(SALU_CYCLE_1)
	s_or_b32 exec_lo, exec_lo, s24
.LBB325_556:                            ;   in Loop: Header=BB325_433 Depth=1
	s_delay_alu instid0(SALU_CYCLE_1)
	s_or_b32 exec_lo, exec_lo, s23
	v_fma_mixlo_bf16 v52, s22, v28, 0
	v_fma_mixlo_bf16 v53, s22, v53, 0
	;; [unrolled: 1-line block ×8, first 2 shown]
	s_and_saveexec_b32 s23, vcc_lo
	s_cbranch_execz .LBB325_558
; %bb.557:                              ;   in Loop: Header=BB325_433 Depth=1
	v_cmp_gt_i32_e64 s0, s34, v44
	s_delay_alu instid0(VALU_DEP_1) | instskip(SKIP_1) | instid1(VALU_DEP_1)
	v_cndmask_b32_e64 v59, 0, v59, s0
	v_cmp_gt_i32_e64 s0, s34, v51
	v_cndmask_b32_e64 v58, 0, v58, s0
	v_cmp_gt_i32_e64 s0, s34, v50
	s_delay_alu instid0(VALU_DEP_1) | instskip(SKIP_1) | instid1(VALU_DEP_1)
	v_cndmask_b32_e64 v57, 0, v57, s0
	v_cmp_gt_i32_e64 s0, s34, v49
	v_cndmask_b32_e64 v56, 0, v56, s0
	;; [unrolled: 5-line block ×4, first 2 shown]
.LBB325_558:                            ;   in Loop: Header=BB325_433 Depth=1
	s_or_b32 exec_lo, exec_lo, s23
	global_load_b64 v[24:25], v[22:23], off offset:512
	v_dual_mov_b32 v61, 0 :: v_dual_mov_b32 v60, 0
	s_mov_b32 s23, exec_lo
	s_wait_loadcnt 0x0
	v_and_b32_e32 v16, 0xff, v24
	s_delay_alu instid0(VALU_DEP_1)
	v_cmpx_ne_u16_e32 0, v16
	s_cbranch_execz .LBB325_564
; %bb.559:                              ;   in Loop: Header=BB325_433 Depth=1
	v_bfrev_b32_e32 v60, 1
	s_mov_b32 s24, exec_lo
	v_cmpx_ne_u16_e32 0x80, v16
	s_cbranch_execz .LBB325_563
; %bb.560:                              ;   in Loop: Header=BB325_433 Depth=1
	v_and_b32_e32 v16, 0x7f, v24
	v_mov_b32_e32 v60, 0x7f800001
	s_mov_b32 s25, exec_lo
	s_delay_alu instid0(VALU_DEP_2)
	v_cmpx_ne_u32_e32 0x7f, v16
	s_cbranch_execz .LBB325_562
; %bb.561:                              ;   in Loop: Header=BB325_433 Depth=1
	v_and_b32_e32 v28, 7, v24
	v_lshrrev_b32_e32 v29, 3, v16
	v_cmp_gt_u32_e64 s0, 8, v16
	s_delay_alu instid0(VALU_DEP_3) | instskip(NEXT) | instid1(VALU_DEP_1)
	v_clz_i32_u32_e32 v28, v28
	v_min_u32_e32 v28, 32, v28
	s_delay_alu instid0(VALU_DEP_1) | instskip(SKIP_1) | instid1(VALU_DEP_1)
	v_subrev_nc_u32_e32 v60, 28, v28
	v_sub_nc_u32_e32 v28, 29, v28
	v_cndmask_b32_e64 v16, v29, v28, s0
	s_delay_alu instid0(VALU_DEP_3) | instskip(NEXT) | instid1(VALU_DEP_1)
	v_cndmask_b32_e64 v28, 0, v60, s0
	v_lshlrev_b64_e32 v[28:29], v28, v[24:25]
	v_lshlrev_b32_e32 v29, 24, v24
	s_delay_alu instid0(VALU_DEP_1) | instskip(NEXT) | instid1(VALU_DEP_3)
	v_and_b32_e32 v29, 0x80000000, v29
	v_lshlrev_b32_e32 v28, 20, v28
	v_lshl_add_u32 v16, v16, 23, 0x3c000000
	s_delay_alu instid0(VALU_DEP_2) | instskip(NEXT) | instid1(VALU_DEP_1)
	v_and_b32_e32 v28, 0x700000, v28
	v_or3_b32 v60, v28, v29, v16
.LBB325_562:                            ;   in Loop: Header=BB325_433 Depth=1
	s_or_b32 exec_lo, exec_lo, s25
.LBB325_563:                            ;   in Loop: Header=BB325_433 Depth=1
	s_delay_alu instid0(SALU_CYCLE_1)
	s_or_b32 exec_lo, exec_lo, s24
.LBB325_564:                            ;   in Loop: Header=BB325_433 Depth=1
	s_delay_alu instid0(SALU_CYCLE_1) | instskip(SKIP_2) | instid1(VALU_DEP_1)
	s_or_b32 exec_lo, exec_lo, s23
	v_lshrrev_b16 v16, 8, v24
	s_mov_b32 s23, exec_lo
	v_cmpx_ne_u16_e32 0, v16
	s_cbranch_execz .LBB325_572
; %bb.565:                              ;   in Loop: Header=BB325_433 Depth=1
	v_bfrev_b32_e32 v61, 1
	s_mov_b32 s24, exec_lo
	v_cmpx_ne_u16_e32 0x80, v16
	s_cbranch_execz .LBB325_571
; %bb.566:                              ;   in Loop: Header=BB325_433 Depth=1
	v_and_b32_e32 v16, 0xffff, v16
	v_mov_b32_e32 v61, 0x7f800001
	s_mov_b32 s25, exec_lo
	s_delay_alu instid0(VALU_DEP_2) | instskip(NEXT) | instid1(VALU_DEP_1)
	v_and_b32_e32 v29, 0x7f, v16
	v_cmpx_ne_u32_e32 0x7f, v29
	s_cbranch_execz .LBB325_570
; %bb.567:                              ;   in Loop: Header=BB325_433 Depth=1
	v_dual_lshrrev_b32 v28, 3, v29 :: v_dual_bitop2_b32 v16, 7, v16 bitop3:0x40
	s_mov_b32 s27, exec_lo
	v_cmpx_gt_u32_e32 8, v29
; %bb.568:                              ;   in Loop: Header=BB325_433 Depth=1
	s_delay_alu instid0(VALU_DEP_2) | instskip(NEXT) | instid1(VALU_DEP_1)
	v_clz_i32_u32_e32 v28, v16
	v_min_u32_e32 v28, 32, v28
	s_delay_alu instid0(VALU_DEP_1) | instskip(NEXT) | instid1(VALU_DEP_1)
	v_subrev_nc_u32_e32 v29, 28, v28
	v_lshlrev_b64_e32 v[62:63], v29, v[16:17]
	s_delay_alu instid0(VALU_DEP_1)
	v_dual_sub_nc_u32 v28, 29, v28 :: v_dual_bitop2_b32 v16, 7, v62 bitop3:0x40
; %bb.569:                              ;   in Loop: Header=BB325_433 Depth=1
	s_or_b32 exec_lo, exec_lo, s27
	v_lshlrev_b32_e32 v29, 16, v24
	s_delay_alu instid0(VALU_DEP_2) | instskip(NEXT) | instid1(VALU_DEP_3)
	v_lshlrev_b32_e32 v16, 20, v16
	v_lshl_add_u32 v28, v28, 23, 0x3c000000
	s_delay_alu instid0(VALU_DEP_3) | instskip(NEXT) | instid1(VALU_DEP_1)
	v_and_b32_e32 v29, 0x80000000, v29
	v_or3_b32 v61, v16, v29, v28
.LBB325_570:                            ;   in Loop: Header=BB325_433 Depth=1
	s_or_b32 exec_lo, exec_lo, s25
.LBB325_571:                            ;   in Loop: Header=BB325_433 Depth=1
	s_delay_alu instid0(SALU_CYCLE_1)
	s_or_b32 exec_lo, exec_lo, s24
.LBB325_572:                            ;   in Loop: Header=BB325_433 Depth=1
	s_delay_alu instid0(SALU_CYCLE_1) | instskip(SKIP_3) | instid1(VALU_DEP_2)
	s_or_b32 exec_lo, exec_lo, s23
	v_dual_lshrrev_b32 v28, 16, v24 :: v_dual_mov_b32 v64, 0
	v_mov_b32_e32 v65, 0
	s_mov_b32 s23, exec_lo
	v_and_b32_e32 v16, 0xff, v28
	s_delay_alu instid0(VALU_DEP_1)
	v_cmpx_ne_u16_e32 0, v16
	s_cbranch_execz .LBB325_580
; %bb.573:                              ;   in Loop: Header=BB325_433 Depth=1
	v_bfrev_b32_e32 v65, 1
	s_mov_b32 s24, exec_lo
	v_cmpx_ne_u16_e32 0x80, v16
	s_cbranch_execz .LBB325_579
; %bb.574:                              ;   in Loop: Header=BB325_433 Depth=1
	v_bfe_u32 v62, v24, 16, 7
	v_mov_b32_e32 v65, 0x7f800001
	s_mov_b32 s25, exec_lo
	s_delay_alu instid0(VALU_DEP_2)
	v_cmpx_ne_u32_e32 0x7f, v62
	s_cbranch_execz .LBB325_578
; %bb.575:                              ;   in Loop: Header=BB325_433 Depth=1
	v_dual_lshrrev_b32 v29, 3, v62 :: v_dual_bitop2_b32 v16, 7, v28 bitop3:0x40
	s_mov_b32 s27, exec_lo
	v_cmpx_gt_u32_e32 8, v62
; %bb.576:                              ;   in Loop: Header=BB325_433 Depth=1
	s_delay_alu instid0(VALU_DEP_2) | instskip(NEXT) | instid1(VALU_DEP_1)
	v_clz_i32_u32_e32 v29, v16
	v_min_u32_e32 v29, 32, v29
	s_delay_alu instid0(VALU_DEP_1) | instskip(NEXT) | instid1(VALU_DEP_1)
	v_subrev_nc_u32_e32 v62, 28, v29
	v_lshlrev_b64_e32 v[62:63], v62, v[16:17]
	s_delay_alu instid0(VALU_DEP_1)
	v_dual_sub_nc_u32 v29, 29, v29 :: v_dual_bitop2_b32 v16, 7, v62 bitop3:0x40
; %bb.577:                              ;   in Loop: Header=BB325_433 Depth=1
	s_or_b32 exec_lo, exec_lo, s27
	v_lshlrev_b32_e32 v28, 24, v28
	s_delay_alu instid0(VALU_DEP_2) | instskip(NEXT) | instid1(VALU_DEP_3)
	v_lshlrev_b32_e32 v16, 20, v16
	v_lshl_add_u32 v29, v29, 23, 0x3c000000
	s_delay_alu instid0(VALU_DEP_3) | instskip(NEXT) | instid1(VALU_DEP_1)
	v_and_b32_e32 v28, 0x80000000, v28
	v_or3_b32 v65, v16, v28, v29
.LBB325_578:                            ;   in Loop: Header=BB325_433 Depth=1
	s_or_b32 exec_lo, exec_lo, s25
.LBB325_579:                            ;   in Loop: Header=BB325_433 Depth=1
	s_delay_alu instid0(SALU_CYCLE_1)
	s_or_b32 exec_lo, exec_lo, s24
.LBB325_580:                            ;   in Loop: Header=BB325_433 Depth=1
	s_delay_alu instid0(SALU_CYCLE_1) | instskip(NEXT) | instid1(SALU_CYCLE_1)
	s_or_b32 exec_lo, exec_lo, s23
	s_mov_b32 s23, exec_lo
	v_cmpx_lt_u32_e32 0xffffff, v24
	s_cbranch_execz .LBB325_588
; %bb.581:                              ;   in Loop: Header=BB325_433 Depth=1
	v_lshrrev_b32_e32 v28, 24, v24
	v_bfrev_b32_e32 v64, 1
	s_mov_b32 s24, exec_lo
	s_delay_alu instid0(VALU_DEP_2)
	v_cmpx_ne_u32_e32 0x80, v28
	s_cbranch_execz .LBB325_587
; %bb.582:                              ;   in Loop: Header=BB325_433 Depth=1
	v_bfe_u32 v62, v24, 24, 7
	v_mov_b32_e32 v64, 0x7f800001
	s_mov_b32 s25, exec_lo
	s_delay_alu instid0(VALU_DEP_2)
	v_cmpx_ne_u32_e32 0x7f, v62
	s_cbranch_execz .LBB325_586
; %bb.583:                              ;   in Loop: Header=BB325_433 Depth=1
	v_dual_lshrrev_b32 v29, 3, v62 :: v_dual_bitop2_b32 v16, 7, v28 bitop3:0x40
	s_mov_b32 s27, exec_lo
	v_cmpx_gt_u32_e32 8, v62
; %bb.584:                              ;   in Loop: Header=BB325_433 Depth=1
	s_delay_alu instid0(VALU_DEP_2) | instskip(NEXT) | instid1(VALU_DEP_1)
	v_clz_i32_u32_e32 v29, v16
	v_min_u32_e32 v29, 32, v29
	s_delay_alu instid0(VALU_DEP_1) | instskip(NEXT) | instid1(VALU_DEP_1)
	v_subrev_nc_u32_e32 v62, 28, v29
	v_lshlrev_b64_e32 v[62:63], v62, v[16:17]
	s_delay_alu instid0(VALU_DEP_1)
	v_dual_sub_nc_u32 v29, 29, v29 :: v_dual_bitop2_b32 v16, 7, v62 bitop3:0x40
; %bb.585:                              ;   in Loop: Header=BB325_433 Depth=1
	s_or_b32 exec_lo, exec_lo, s27
	v_lshlrev_b32_e32 v28, 24, v28
	s_delay_alu instid0(VALU_DEP_2) | instskip(NEXT) | instid1(VALU_DEP_3)
	v_lshlrev_b32_e32 v16, 20, v16
	v_lshl_add_u32 v29, v29, 23, 0x3c000000
	s_delay_alu instid0(VALU_DEP_3) | instskip(NEXT) | instid1(VALU_DEP_1)
	v_and_b32_e32 v28, 0x80000000, v28
	v_or3_b32 v64, v16, v28, v29
.LBB325_586:                            ;   in Loop: Header=BB325_433 Depth=1
	s_or_b32 exec_lo, exec_lo, s25
.LBB325_587:                            ;   in Loop: Header=BB325_433 Depth=1
	s_delay_alu instid0(SALU_CYCLE_1)
	s_or_b32 exec_lo, exec_lo, s24
.LBB325_588:                            ;   in Loop: Header=BB325_433 Depth=1
	s_delay_alu instid0(SALU_CYCLE_1) | instskip(SKIP_4) | instid1(VALU_DEP_3)
	s_or_b32 exec_lo, exec_lo, s23
	v_and_b32_e32 v29, 0xff, v25
	v_dual_mov_b32 v16, v25 :: v_dual_mov_b32 v28, 0
	v_mov_b32_e32 v63, 0
	s_mov_b32 s23, exec_lo
	v_cmpx_ne_u16_e32 0, v29
	s_cbranch_execz .LBB325_594
; %bb.589:                              ;   in Loop: Header=BB325_433 Depth=1
	v_bfrev_b32_e32 v63, 1
	s_mov_b32 s24, exec_lo
	v_cmpx_ne_u16_e32 0x80, v29
	s_cbranch_execz .LBB325_593
; %bb.590:                              ;   in Loop: Header=BB325_433 Depth=1
	v_and_b32_e32 v29, 0x7f, v25
	v_mov_b32_e32 v63, 0x7f800001
	s_mov_b32 s25, exec_lo
	s_delay_alu instid0(VALU_DEP_2)
	v_cmpx_ne_u32_e32 0x7f, v29
	s_cbranch_execz .LBB325_592
; %bb.591:                              ;   in Loop: Header=BB325_433 Depth=1
	v_and_b32_e32 v62, 7, v25
	v_cmp_gt_u32_e64 s0, 8, v29
	s_delay_alu instid0(VALU_DEP_2) | instskip(NEXT) | instid1(VALU_DEP_1)
	v_clz_i32_u32_e32 v62, v62
	v_min_u32_e32 v62, 32, v62
	v_lshrrev_b32_e32 v63, 3, v29
	s_delay_alu instid0(VALU_DEP_2) | instskip(SKIP_1) | instid1(VALU_DEP_1)
	v_subrev_nc_u32_e32 v66, 28, v62
	v_sub_nc_u32_e32 v62, 29, v62
	v_cndmask_b32_e64 v29, v63, v62, s0
	s_delay_alu instid0(VALU_DEP_3) | instskip(NEXT) | instid1(VALU_DEP_1)
	v_cndmask_b32_e64 v62, 0, v66, s0
	v_lshlrev_b64_e32 v[62:63], v62, v[16:17]
	v_lshlrev_b32_e32 v63, 24, v16
	s_delay_alu instid0(VALU_DEP_1) | instskip(NEXT) | instid1(VALU_DEP_3)
	v_and_b32_e32 v63, 0x80000000, v63
	v_lshlrev_b32_e32 v62, 20, v62
	v_lshl_add_u32 v29, v29, 23, 0x3c000000
	s_delay_alu instid0(VALU_DEP_2) | instskip(NEXT) | instid1(VALU_DEP_1)
	v_and_b32_e32 v62, 0x700000, v62
	v_or3_b32 v63, v62, v63, v29
.LBB325_592:                            ;   in Loop: Header=BB325_433 Depth=1
	s_or_b32 exec_lo, exec_lo, s25
.LBB325_593:                            ;   in Loop: Header=BB325_433 Depth=1
	s_delay_alu instid0(SALU_CYCLE_1)
	s_or_b32 exec_lo, exec_lo, s24
.LBB325_594:                            ;   in Loop: Header=BB325_433 Depth=1
	s_delay_alu instid0(SALU_CYCLE_1) | instskip(SKIP_2) | instid1(VALU_DEP_1)
	s_or_b32 exec_lo, exec_lo, s23
	v_lshrrev_b16 v29, 8, v16
	s_mov_b32 s23, exec_lo
	v_cmpx_ne_u16_e32 0, v29
	s_cbranch_execz .LBB325_602
; %bb.595:                              ;   in Loop: Header=BB325_433 Depth=1
	v_bfrev_b32_e32 v28, 1
	s_mov_b32 s24, exec_lo
	v_cmpx_ne_u16_e32 0x80, v29
	s_cbranch_execz .LBB325_601
; %bb.596:                              ;   in Loop: Header=BB325_433 Depth=1
	v_and_b32_e32 v29, 0xffff, v29
	v_mov_b32_e32 v28, 0x7f800001
	s_mov_b32 s25, exec_lo
	s_delay_alu instid0(VALU_DEP_2) | instskip(NEXT) | instid1(VALU_DEP_1)
	v_and_b32_e32 v66, 0x7f, v29
	v_cmpx_ne_u32_e32 0x7f, v66
	s_cbranch_execz .LBB325_600
; %bb.597:                              ;   in Loop: Header=BB325_433 Depth=1
	v_dual_mov_b32 v29, v17 :: v_dual_bitop2_b32 v28, 7, v29 bitop3:0x40
	v_lshrrev_b32_e32 v62, 3, v66
	s_mov_b32 s27, exec_lo
	v_cmpx_gt_u32_e32 8, v66
; %bb.598:                              ;   in Loop: Header=BB325_433 Depth=1
	s_delay_alu instid0(VALU_DEP_3) | instskip(NEXT) | instid1(VALU_DEP_1)
	v_clz_i32_u32_e32 v62, v28
	v_min_u32_e32 v62, 32, v62
	s_delay_alu instid0(VALU_DEP_1) | instskip(NEXT) | instid1(VALU_DEP_1)
	v_subrev_nc_u32_e32 v66, 28, v62
	v_lshlrev_b64_e32 v[28:29], v66, v[28:29]
	s_delay_alu instid0(VALU_DEP_1)
	v_dual_sub_nc_u32 v62, 29, v62 :: v_dual_bitop2_b32 v28, 7, v28 bitop3:0x40
; %bb.599:                              ;   in Loop: Header=BB325_433 Depth=1
	s_or_b32 exec_lo, exec_lo, s27
	v_lshlrev_b32_e32 v16, 16, v16
	s_delay_alu instid0(VALU_DEP_2) | instskip(NEXT) | instid1(VALU_DEP_3)
	v_lshlrev_b32_e32 v28, 20, v28
	v_lshl_add_u32 v29, v62, 23, 0x3c000000
	s_delay_alu instid0(VALU_DEP_3) | instskip(NEXT) | instid1(VALU_DEP_1)
	v_and_b32_e32 v16, 0x80000000, v16
	v_or3_b32 v28, v28, v16, v29
.LBB325_600:                            ;   in Loop: Header=BB325_433 Depth=1
	s_or_b32 exec_lo, exec_lo, s25
.LBB325_601:                            ;   in Loop: Header=BB325_433 Depth=1
	s_delay_alu instid0(SALU_CYCLE_1)
	s_or_b32 exec_lo, exec_lo, s24
.LBB325_602:                            ;   in Loop: Header=BB325_433 Depth=1
	s_delay_alu instid0(SALU_CYCLE_1) | instskip(SKIP_3) | instid1(VALU_DEP_2)
	s_or_b32 exec_lo, exec_lo, s23
	v_dual_mov_b32 v29, 0 :: v_dual_lshrrev_b32 v62, 16, v25
	v_mov_b32_e32 v68, 0
	s_mov_b32 s23, exec_lo
	v_and_b32_e32 v16, 0xff, v62
	s_delay_alu instid0(VALU_DEP_1)
	v_cmpx_ne_u16_e32 0, v16
	s_cbranch_execz .LBB325_610
; %bb.603:                              ;   in Loop: Header=BB325_433 Depth=1
	v_bfrev_b32_e32 v68, 1
	s_mov_b32 s24, exec_lo
	v_cmpx_ne_u16_e32 0x80, v16
	s_cbranch_execz .LBB325_609
; %bb.604:                              ;   in Loop: Header=BB325_433 Depth=1
	v_bfe_u32 v67, v25, 16, 7
	v_mov_b32_e32 v68, 0x7f800001
	s_mov_b32 s25, exec_lo
	s_delay_alu instid0(VALU_DEP_2)
	v_cmpx_ne_u32_e32 0x7f, v67
	s_cbranch_execz .LBB325_608
; %bb.605:                              ;   in Loop: Header=BB325_433 Depth=1
	v_dual_lshrrev_b32 v66, 3, v67 :: v_dual_bitop2_b32 v16, 7, v62 bitop3:0x40
	s_mov_b32 s27, exec_lo
	v_cmpx_gt_u32_e32 8, v67
; %bb.606:                              ;   in Loop: Header=BB325_433 Depth=1
	s_delay_alu instid0(VALU_DEP_2) | instskip(NEXT) | instid1(VALU_DEP_1)
	v_clz_i32_u32_e32 v66, v16
	v_min_u32_e32 v66, 32, v66
	s_delay_alu instid0(VALU_DEP_1) | instskip(NEXT) | instid1(VALU_DEP_1)
	v_subrev_nc_u32_e32 v67, 28, v66
	v_lshlrev_b64_e32 v[68:69], v67, v[16:17]
	s_delay_alu instid0(VALU_DEP_1)
	v_dual_sub_nc_u32 v66, 29, v66 :: v_dual_bitop2_b32 v16, 7, v68 bitop3:0x40
; %bb.607:                              ;   in Loop: Header=BB325_433 Depth=1
	s_or_b32 exec_lo, exec_lo, s27
	s_delay_alu instid0(VALU_DEP_1) | instskip(NEXT) | instid1(VALU_DEP_2)
	v_dual_lshlrev_b32 v62, 24, v62 :: v_dual_lshlrev_b32 v16, 20, v16
	v_lshl_add_u32 v66, v66, 23, 0x3c000000
	s_delay_alu instid0(VALU_DEP_2) | instskip(NEXT) | instid1(VALU_DEP_1)
	v_and_b32_e32 v62, 0x80000000, v62
	v_or3_b32 v68, v16, v62, v66
.LBB325_608:                            ;   in Loop: Header=BB325_433 Depth=1
	s_or_b32 exec_lo, exec_lo, s25
.LBB325_609:                            ;   in Loop: Header=BB325_433 Depth=1
	s_delay_alu instid0(SALU_CYCLE_1)
	s_or_b32 exec_lo, exec_lo, s24
.LBB325_610:                            ;   in Loop: Header=BB325_433 Depth=1
	s_delay_alu instid0(SALU_CYCLE_1) | instskip(NEXT) | instid1(SALU_CYCLE_1)
	s_or_b32 exec_lo, exec_lo, s23
	s_mov_b32 s23, exec_lo
	v_cmpx_lt_u64_e64 s[2:3], v[24:25]
	s_cbranch_execz .LBB325_618
; %bb.611:                              ;   in Loop: Header=BB325_433 Depth=1
	v_lshrrev_b32_e32 v24, 24, v25
	v_bfrev_b32_e32 v29, 1
	s_mov_b32 s24, exec_lo
	s_delay_alu instid0(VALU_DEP_2)
	v_cmpx_ne_u32_e32 0x80, v24
	s_cbranch_execz .LBB325_617
; %bb.612:                              ;   in Loop: Header=BB325_433 Depth=1
	v_bfe_u32 v62, v25, 24, 7
	v_mov_b32_e32 v29, 0x7f800001
	s_mov_b32 s25, exec_lo
	s_delay_alu instid0(VALU_DEP_2)
	v_cmpx_ne_u32_e32 0x7f, v62
	s_cbranch_execz .LBB325_616
; %bb.613:                              ;   in Loop: Header=BB325_433 Depth=1
	v_dual_lshrrev_b32 v25, 3, v62 :: v_dual_bitop2_b32 v16, 7, v24 bitop3:0x40
	s_mov_b32 s27, exec_lo
	v_cmpx_gt_u32_e32 8, v62
; %bb.614:                              ;   in Loop: Header=BB325_433 Depth=1
	s_delay_alu instid0(VALU_DEP_2) | instskip(NEXT) | instid1(VALU_DEP_1)
	v_clz_i32_u32_e32 v25, v16
	v_min_u32_e32 v25, 32, v25
	s_delay_alu instid0(VALU_DEP_1) | instskip(NEXT) | instid1(VALU_DEP_1)
	v_subrev_nc_u32_e32 v29, 28, v25
	v_lshlrev_b64_e32 v[66:67], v29, v[16:17]
	s_delay_alu instid0(VALU_DEP_1)
	v_dual_sub_nc_u32 v25, 29, v25 :: v_dual_bitop2_b32 v16, 7, v66 bitop3:0x40
; %bb.615:                              ;   in Loop: Header=BB325_433 Depth=1
	s_or_b32 exec_lo, exec_lo, s27
	v_lshlrev_b32_e32 v24, 24, v24
	s_delay_alu instid0(VALU_DEP_2) | instskip(NEXT) | instid1(VALU_DEP_3)
	v_lshlrev_b32_e32 v16, 20, v16
	v_lshl_add_u32 v25, v25, 23, 0x3c000000
	s_delay_alu instid0(VALU_DEP_3) | instskip(NEXT) | instid1(VALU_DEP_1)
	v_and_b32_e32 v24, 0x80000000, v24
	v_or3_b32 v29, v16, v24, v25
.LBB325_616:                            ;   in Loop: Header=BB325_433 Depth=1
	s_or_b32 exec_lo, exec_lo, s25
.LBB325_617:                            ;   in Loop: Header=BB325_433 Depth=1
	s_delay_alu instid0(SALU_CYCLE_1)
	s_or_b32 exec_lo, exec_lo, s24
.LBB325_618:                            ;   in Loop: Header=BB325_433 Depth=1
	s_delay_alu instid0(SALU_CYCLE_1)
	s_or_b32 exec_lo, exec_lo, s23
	v_fma_mixlo_bf16 v62, s22, v28, 0
	v_fma_mixlo_bf16 v63, s22, v63, 0
	;; [unrolled: 1-line block ×8, first 2 shown]
	s_and_saveexec_b32 s23, vcc_lo
	s_cbranch_execz .LBB325_620
; %bb.619:                              ;   in Loop: Header=BB325_433 Depth=1
	v_cmp_gt_i32_e64 s0, s34, v44
	s_delay_alu instid0(VALU_DEP_1) | instskip(SKIP_1) | instid1(VALU_DEP_1)
	v_cndmask_b32_e64 v67, 0, v67, s0
	v_cmp_gt_i32_e64 s0, s34, v51
	v_cndmask_b32_e64 v66, 0, v66, s0
	v_cmp_gt_i32_e64 s0, s34, v50
	s_delay_alu instid0(VALU_DEP_1) | instskip(SKIP_1) | instid1(VALU_DEP_1)
	v_cndmask_b32_e64 v65, 0, v65, s0
	v_cmp_gt_i32_e64 s0, s34, v49
	v_cndmask_b32_e64 v64, 0, v64, s0
	;; [unrolled: 5-line block ×4, first 2 shown]
.LBB325_620:                            ;   in Loop: Header=BB325_433 Depth=1
	s_or_b32 exec_lo, exec_lo, s23
	global_load_b64 v[24:25], v[22:23], off offset:768
	v_dual_mov_b32 v69, 0 :: v_dual_mov_b32 v68, 0
	s_mov_b32 s23, exec_lo
	s_wait_loadcnt 0x0
	v_and_b32_e32 v16, 0xff, v24
	s_delay_alu instid0(VALU_DEP_1)
	v_cmpx_ne_u16_e32 0, v16
	s_cbranch_execz .LBB325_626
; %bb.621:                              ;   in Loop: Header=BB325_433 Depth=1
	v_bfrev_b32_e32 v68, 1
	s_mov_b32 s24, exec_lo
	v_cmpx_ne_u16_e32 0x80, v16
	s_cbranch_execz .LBB325_625
; %bb.622:                              ;   in Loop: Header=BB325_433 Depth=1
	v_and_b32_e32 v16, 0x7f, v24
	v_mov_b32_e32 v68, 0x7f800001
	s_mov_b32 s25, exec_lo
	s_delay_alu instid0(VALU_DEP_2)
	v_cmpx_ne_u32_e32 0x7f, v16
	s_cbranch_execz .LBB325_624
; %bb.623:                              ;   in Loop: Header=BB325_433 Depth=1
	v_and_b32_e32 v28, 7, v24
	v_lshrrev_b32_e32 v29, 3, v16
	v_cmp_gt_u32_e64 s0, 8, v16
	s_delay_alu instid0(VALU_DEP_3) | instskip(NEXT) | instid1(VALU_DEP_1)
	v_clz_i32_u32_e32 v28, v28
	v_min_u32_e32 v28, 32, v28
	s_delay_alu instid0(VALU_DEP_1) | instskip(SKIP_1) | instid1(VALU_DEP_1)
	v_subrev_nc_u32_e32 v68, 28, v28
	v_sub_nc_u32_e32 v28, 29, v28
	v_cndmask_b32_e64 v16, v29, v28, s0
	s_delay_alu instid0(VALU_DEP_3) | instskip(NEXT) | instid1(VALU_DEP_1)
	v_cndmask_b32_e64 v28, 0, v68, s0
	v_lshlrev_b64_e32 v[28:29], v28, v[24:25]
	v_lshlrev_b32_e32 v29, 24, v24
	s_delay_alu instid0(VALU_DEP_1) | instskip(NEXT) | instid1(VALU_DEP_3)
	v_and_b32_e32 v29, 0x80000000, v29
	v_lshlrev_b32_e32 v28, 20, v28
	v_lshl_add_u32 v16, v16, 23, 0x3c000000
	s_delay_alu instid0(VALU_DEP_2) | instskip(NEXT) | instid1(VALU_DEP_1)
	v_and_b32_e32 v28, 0x700000, v28
	v_or3_b32 v68, v28, v29, v16
.LBB325_624:                            ;   in Loop: Header=BB325_433 Depth=1
	s_or_b32 exec_lo, exec_lo, s25
.LBB325_625:                            ;   in Loop: Header=BB325_433 Depth=1
	s_delay_alu instid0(SALU_CYCLE_1)
	s_or_b32 exec_lo, exec_lo, s24
.LBB325_626:                            ;   in Loop: Header=BB325_433 Depth=1
	s_delay_alu instid0(SALU_CYCLE_1) | instskip(SKIP_2) | instid1(VALU_DEP_1)
	s_or_b32 exec_lo, exec_lo, s23
	v_lshrrev_b16 v16, 8, v24
	s_mov_b32 s23, exec_lo
	v_cmpx_ne_u16_e32 0, v16
	s_cbranch_execz .LBB325_634
; %bb.627:                              ;   in Loop: Header=BB325_433 Depth=1
	v_bfrev_b32_e32 v69, 1
	s_mov_b32 s24, exec_lo
	v_cmpx_ne_u16_e32 0x80, v16
	s_cbranch_execz .LBB325_633
; %bb.628:                              ;   in Loop: Header=BB325_433 Depth=1
	v_and_b32_e32 v16, 0xffff, v16
	v_mov_b32_e32 v69, 0x7f800001
	s_mov_b32 s25, exec_lo
	s_delay_alu instid0(VALU_DEP_2) | instskip(NEXT) | instid1(VALU_DEP_1)
	v_and_b32_e32 v29, 0x7f, v16
	v_cmpx_ne_u32_e32 0x7f, v29
	s_cbranch_execz .LBB325_632
; %bb.629:                              ;   in Loop: Header=BB325_433 Depth=1
	v_dual_lshrrev_b32 v28, 3, v29 :: v_dual_bitop2_b32 v16, 7, v16 bitop3:0x40
	s_mov_b32 s27, exec_lo
	v_cmpx_gt_u32_e32 8, v29
; %bb.630:                              ;   in Loop: Header=BB325_433 Depth=1
	s_delay_alu instid0(VALU_DEP_2) | instskip(NEXT) | instid1(VALU_DEP_1)
	v_clz_i32_u32_e32 v28, v16
	v_min_u32_e32 v28, 32, v28
	s_delay_alu instid0(VALU_DEP_1) | instskip(NEXT) | instid1(VALU_DEP_1)
	v_subrev_nc_u32_e32 v29, 28, v28
	v_lshlrev_b64_e32 v[70:71], v29, v[16:17]
	s_delay_alu instid0(VALU_DEP_1)
	v_dual_sub_nc_u32 v28, 29, v28 :: v_dual_bitop2_b32 v16, 7, v70 bitop3:0x40
; %bb.631:                              ;   in Loop: Header=BB325_433 Depth=1
	s_or_b32 exec_lo, exec_lo, s27
	v_lshlrev_b32_e32 v29, 16, v24
	s_delay_alu instid0(VALU_DEP_2) | instskip(NEXT) | instid1(VALU_DEP_3)
	v_lshlrev_b32_e32 v16, 20, v16
	v_lshl_add_u32 v28, v28, 23, 0x3c000000
	s_delay_alu instid0(VALU_DEP_3) | instskip(NEXT) | instid1(VALU_DEP_1)
	v_and_b32_e32 v29, 0x80000000, v29
	v_or3_b32 v69, v16, v29, v28
.LBB325_632:                            ;   in Loop: Header=BB325_433 Depth=1
	s_or_b32 exec_lo, exec_lo, s25
.LBB325_633:                            ;   in Loop: Header=BB325_433 Depth=1
	s_delay_alu instid0(SALU_CYCLE_1)
	s_or_b32 exec_lo, exec_lo, s24
.LBB325_634:                            ;   in Loop: Header=BB325_433 Depth=1
	s_delay_alu instid0(SALU_CYCLE_1) | instskip(SKIP_3) | instid1(VALU_DEP_2)
	s_or_b32 exec_lo, exec_lo, s23
	v_dual_lshrrev_b32 v28, 16, v24 :: v_dual_mov_b32 v72, 0
	v_mov_b32_e32 v73, 0
	s_mov_b32 s23, exec_lo
	v_and_b32_e32 v16, 0xff, v28
	s_delay_alu instid0(VALU_DEP_1)
	v_cmpx_ne_u16_e32 0, v16
	s_cbranch_execz .LBB325_642
; %bb.635:                              ;   in Loop: Header=BB325_433 Depth=1
	v_bfrev_b32_e32 v73, 1
	s_mov_b32 s24, exec_lo
	v_cmpx_ne_u16_e32 0x80, v16
	s_cbranch_execz .LBB325_641
; %bb.636:                              ;   in Loop: Header=BB325_433 Depth=1
	v_bfe_u32 v70, v24, 16, 7
	v_mov_b32_e32 v73, 0x7f800001
	s_mov_b32 s25, exec_lo
	s_delay_alu instid0(VALU_DEP_2)
	v_cmpx_ne_u32_e32 0x7f, v70
	s_cbranch_execz .LBB325_640
; %bb.637:                              ;   in Loop: Header=BB325_433 Depth=1
	v_dual_lshrrev_b32 v29, 3, v70 :: v_dual_bitop2_b32 v16, 7, v28 bitop3:0x40
	s_mov_b32 s27, exec_lo
	v_cmpx_gt_u32_e32 8, v70
; %bb.638:                              ;   in Loop: Header=BB325_433 Depth=1
	s_delay_alu instid0(VALU_DEP_2) | instskip(NEXT) | instid1(VALU_DEP_1)
	v_clz_i32_u32_e32 v29, v16
	v_min_u32_e32 v29, 32, v29
	s_delay_alu instid0(VALU_DEP_1) | instskip(NEXT) | instid1(VALU_DEP_1)
	v_subrev_nc_u32_e32 v70, 28, v29
	v_lshlrev_b64_e32 v[70:71], v70, v[16:17]
	s_delay_alu instid0(VALU_DEP_1)
	v_dual_sub_nc_u32 v29, 29, v29 :: v_dual_bitop2_b32 v16, 7, v70 bitop3:0x40
; %bb.639:                              ;   in Loop: Header=BB325_433 Depth=1
	s_or_b32 exec_lo, exec_lo, s27
	v_lshlrev_b32_e32 v28, 24, v28
	s_delay_alu instid0(VALU_DEP_2) | instskip(NEXT) | instid1(VALU_DEP_3)
	v_lshlrev_b32_e32 v16, 20, v16
	v_lshl_add_u32 v29, v29, 23, 0x3c000000
	s_delay_alu instid0(VALU_DEP_3) | instskip(NEXT) | instid1(VALU_DEP_1)
	v_and_b32_e32 v28, 0x80000000, v28
	v_or3_b32 v73, v16, v28, v29
.LBB325_640:                            ;   in Loop: Header=BB325_433 Depth=1
	s_or_b32 exec_lo, exec_lo, s25
.LBB325_641:                            ;   in Loop: Header=BB325_433 Depth=1
	s_delay_alu instid0(SALU_CYCLE_1)
	s_or_b32 exec_lo, exec_lo, s24
.LBB325_642:                            ;   in Loop: Header=BB325_433 Depth=1
	s_delay_alu instid0(SALU_CYCLE_1) | instskip(NEXT) | instid1(SALU_CYCLE_1)
	s_or_b32 exec_lo, exec_lo, s23
	s_mov_b32 s23, exec_lo
	v_cmpx_lt_u32_e32 0xffffff, v24
	s_cbranch_execz .LBB325_650
; %bb.643:                              ;   in Loop: Header=BB325_433 Depth=1
	v_lshrrev_b32_e32 v28, 24, v24
	v_bfrev_b32_e32 v72, 1
	s_mov_b32 s24, exec_lo
	s_delay_alu instid0(VALU_DEP_2)
	v_cmpx_ne_u32_e32 0x80, v28
	s_cbranch_execz .LBB325_649
; %bb.644:                              ;   in Loop: Header=BB325_433 Depth=1
	v_bfe_u32 v70, v24, 24, 7
	v_mov_b32_e32 v72, 0x7f800001
	s_mov_b32 s25, exec_lo
	s_delay_alu instid0(VALU_DEP_2)
	v_cmpx_ne_u32_e32 0x7f, v70
	s_cbranch_execz .LBB325_648
; %bb.645:                              ;   in Loop: Header=BB325_433 Depth=1
	v_dual_lshrrev_b32 v29, 3, v70 :: v_dual_bitop2_b32 v16, 7, v28 bitop3:0x40
	s_mov_b32 s27, exec_lo
	v_cmpx_gt_u32_e32 8, v70
; %bb.646:                              ;   in Loop: Header=BB325_433 Depth=1
	s_delay_alu instid0(VALU_DEP_2) | instskip(NEXT) | instid1(VALU_DEP_1)
	v_clz_i32_u32_e32 v29, v16
	v_min_u32_e32 v29, 32, v29
	s_delay_alu instid0(VALU_DEP_1) | instskip(NEXT) | instid1(VALU_DEP_1)
	v_subrev_nc_u32_e32 v70, 28, v29
	v_lshlrev_b64_e32 v[70:71], v70, v[16:17]
	s_delay_alu instid0(VALU_DEP_1)
	v_dual_sub_nc_u32 v29, 29, v29 :: v_dual_bitop2_b32 v16, 7, v70 bitop3:0x40
; %bb.647:                              ;   in Loop: Header=BB325_433 Depth=1
	s_or_b32 exec_lo, exec_lo, s27
	v_lshlrev_b32_e32 v28, 24, v28
	s_delay_alu instid0(VALU_DEP_2) | instskip(NEXT) | instid1(VALU_DEP_3)
	v_lshlrev_b32_e32 v16, 20, v16
	v_lshl_add_u32 v29, v29, 23, 0x3c000000
	s_delay_alu instid0(VALU_DEP_3) | instskip(NEXT) | instid1(VALU_DEP_1)
	v_and_b32_e32 v28, 0x80000000, v28
	v_or3_b32 v72, v16, v28, v29
.LBB325_648:                            ;   in Loop: Header=BB325_433 Depth=1
	s_or_b32 exec_lo, exec_lo, s25
.LBB325_649:                            ;   in Loop: Header=BB325_433 Depth=1
	s_delay_alu instid0(SALU_CYCLE_1)
	s_or_b32 exec_lo, exec_lo, s24
.LBB325_650:                            ;   in Loop: Header=BB325_433 Depth=1
	s_delay_alu instid0(SALU_CYCLE_1) | instskip(SKIP_4) | instid1(VALU_DEP_3)
	s_or_b32 exec_lo, exec_lo, s23
	v_and_b32_e32 v29, 0xff, v25
	v_dual_mov_b32 v16, v25 :: v_dual_mov_b32 v28, 0
	v_mov_b32_e32 v71, 0
	s_mov_b32 s23, exec_lo
	v_cmpx_ne_u16_e32 0, v29
	s_cbranch_execz .LBB325_656
; %bb.651:                              ;   in Loop: Header=BB325_433 Depth=1
	v_bfrev_b32_e32 v71, 1
	s_mov_b32 s24, exec_lo
	v_cmpx_ne_u16_e32 0x80, v29
	s_cbranch_execz .LBB325_655
; %bb.652:                              ;   in Loop: Header=BB325_433 Depth=1
	v_and_b32_e32 v29, 0x7f, v25
	v_mov_b32_e32 v71, 0x7f800001
	s_mov_b32 s25, exec_lo
	s_delay_alu instid0(VALU_DEP_2)
	v_cmpx_ne_u32_e32 0x7f, v29
	s_cbranch_execz .LBB325_654
; %bb.653:                              ;   in Loop: Header=BB325_433 Depth=1
	v_and_b32_e32 v70, 7, v25
	v_cmp_gt_u32_e64 s0, 8, v29
	s_delay_alu instid0(VALU_DEP_2) | instskip(NEXT) | instid1(VALU_DEP_1)
	v_clz_i32_u32_e32 v70, v70
	v_min_u32_e32 v70, 32, v70
	v_lshrrev_b32_e32 v71, 3, v29
	s_delay_alu instid0(VALU_DEP_2) | instskip(SKIP_1) | instid1(VALU_DEP_1)
	v_subrev_nc_u32_e32 v74, 28, v70
	v_sub_nc_u32_e32 v70, 29, v70
	v_cndmask_b32_e64 v29, v71, v70, s0
	s_delay_alu instid0(VALU_DEP_3) | instskip(NEXT) | instid1(VALU_DEP_1)
	v_cndmask_b32_e64 v70, 0, v74, s0
	v_lshlrev_b64_e32 v[70:71], v70, v[16:17]
	v_lshlrev_b32_e32 v71, 24, v16
	s_delay_alu instid0(VALU_DEP_1) | instskip(NEXT) | instid1(VALU_DEP_3)
	v_and_b32_e32 v71, 0x80000000, v71
	v_lshlrev_b32_e32 v70, 20, v70
	v_lshl_add_u32 v29, v29, 23, 0x3c000000
	s_delay_alu instid0(VALU_DEP_2) | instskip(NEXT) | instid1(VALU_DEP_1)
	v_and_b32_e32 v70, 0x700000, v70
	v_or3_b32 v71, v70, v71, v29
.LBB325_654:                            ;   in Loop: Header=BB325_433 Depth=1
	s_or_b32 exec_lo, exec_lo, s25
.LBB325_655:                            ;   in Loop: Header=BB325_433 Depth=1
	s_delay_alu instid0(SALU_CYCLE_1)
	s_or_b32 exec_lo, exec_lo, s24
.LBB325_656:                            ;   in Loop: Header=BB325_433 Depth=1
	s_delay_alu instid0(SALU_CYCLE_1) | instskip(SKIP_2) | instid1(VALU_DEP_1)
	s_or_b32 exec_lo, exec_lo, s23
	v_lshrrev_b16 v29, 8, v16
	s_mov_b32 s23, exec_lo
	v_cmpx_ne_u16_e32 0, v29
	s_cbranch_execz .LBB325_664
; %bb.657:                              ;   in Loop: Header=BB325_433 Depth=1
	v_bfrev_b32_e32 v28, 1
	s_mov_b32 s24, exec_lo
	v_cmpx_ne_u16_e32 0x80, v29
	s_cbranch_execz .LBB325_663
; %bb.658:                              ;   in Loop: Header=BB325_433 Depth=1
	v_and_b32_e32 v29, 0xffff, v29
	v_mov_b32_e32 v28, 0x7f800001
	s_mov_b32 s25, exec_lo
	s_delay_alu instid0(VALU_DEP_2) | instskip(NEXT) | instid1(VALU_DEP_1)
	v_and_b32_e32 v74, 0x7f, v29
	v_cmpx_ne_u32_e32 0x7f, v74
	s_cbranch_execz .LBB325_662
; %bb.659:                              ;   in Loop: Header=BB325_433 Depth=1
	v_dual_mov_b32 v29, v17 :: v_dual_bitop2_b32 v28, 7, v29 bitop3:0x40
	v_lshrrev_b32_e32 v70, 3, v74
	s_mov_b32 s27, exec_lo
	v_cmpx_gt_u32_e32 8, v74
; %bb.660:                              ;   in Loop: Header=BB325_433 Depth=1
	s_delay_alu instid0(VALU_DEP_3) | instskip(NEXT) | instid1(VALU_DEP_1)
	v_clz_i32_u32_e32 v70, v28
	v_min_u32_e32 v70, 32, v70
	s_delay_alu instid0(VALU_DEP_1) | instskip(NEXT) | instid1(VALU_DEP_1)
	v_subrev_nc_u32_e32 v74, 28, v70
	v_lshlrev_b64_e32 v[28:29], v74, v[28:29]
	s_delay_alu instid0(VALU_DEP_1)
	v_dual_sub_nc_u32 v70, 29, v70 :: v_dual_bitop2_b32 v28, 7, v28 bitop3:0x40
; %bb.661:                              ;   in Loop: Header=BB325_433 Depth=1
	s_or_b32 exec_lo, exec_lo, s27
	v_lshlrev_b32_e32 v16, 16, v16
	s_delay_alu instid0(VALU_DEP_2) | instskip(NEXT) | instid1(VALU_DEP_3)
	v_lshlrev_b32_e32 v28, 20, v28
	v_lshl_add_u32 v29, v70, 23, 0x3c000000
	s_delay_alu instid0(VALU_DEP_3) | instskip(NEXT) | instid1(VALU_DEP_1)
	v_and_b32_e32 v16, 0x80000000, v16
	v_or3_b32 v28, v28, v16, v29
.LBB325_662:                            ;   in Loop: Header=BB325_433 Depth=1
	s_or_b32 exec_lo, exec_lo, s25
.LBB325_663:                            ;   in Loop: Header=BB325_433 Depth=1
	s_delay_alu instid0(SALU_CYCLE_1)
	s_or_b32 exec_lo, exec_lo, s24
.LBB325_664:                            ;   in Loop: Header=BB325_433 Depth=1
	s_delay_alu instid0(SALU_CYCLE_1) | instskip(SKIP_3) | instid1(VALU_DEP_2)
	s_or_b32 exec_lo, exec_lo, s23
	v_dual_mov_b32 v29, 0 :: v_dual_lshrrev_b32 v70, 16, v25
	v_mov_b32_e32 v76, 0
	s_mov_b32 s23, exec_lo
	v_and_b32_e32 v16, 0xff, v70
	s_delay_alu instid0(VALU_DEP_1)
	v_cmpx_ne_u16_e32 0, v16
	s_cbranch_execz .LBB325_672
; %bb.665:                              ;   in Loop: Header=BB325_433 Depth=1
	v_bfrev_b32_e32 v76, 1
	s_mov_b32 s24, exec_lo
	v_cmpx_ne_u16_e32 0x80, v16
	s_cbranch_execz .LBB325_671
; %bb.666:                              ;   in Loop: Header=BB325_433 Depth=1
	v_bfe_u32 v75, v25, 16, 7
	v_mov_b32_e32 v76, 0x7f800001
	s_mov_b32 s25, exec_lo
	s_delay_alu instid0(VALU_DEP_2)
	v_cmpx_ne_u32_e32 0x7f, v75
	s_cbranch_execz .LBB325_670
; %bb.667:                              ;   in Loop: Header=BB325_433 Depth=1
	v_dual_lshrrev_b32 v74, 3, v75 :: v_dual_bitop2_b32 v16, 7, v70 bitop3:0x40
	s_mov_b32 s27, exec_lo
	v_cmpx_gt_u32_e32 8, v75
; %bb.668:                              ;   in Loop: Header=BB325_433 Depth=1
	s_delay_alu instid0(VALU_DEP_2) | instskip(NEXT) | instid1(VALU_DEP_1)
	v_clz_i32_u32_e32 v74, v16
	v_min_u32_e32 v74, 32, v74
	s_delay_alu instid0(VALU_DEP_1) | instskip(NEXT) | instid1(VALU_DEP_1)
	v_subrev_nc_u32_e32 v75, 28, v74
	v_lshlrev_b64_e32 v[76:77], v75, v[16:17]
	s_delay_alu instid0(VALU_DEP_1)
	v_dual_sub_nc_u32 v74, 29, v74 :: v_dual_bitop2_b32 v16, 7, v76 bitop3:0x40
; %bb.669:                              ;   in Loop: Header=BB325_433 Depth=1
	s_or_b32 exec_lo, exec_lo, s27
	s_delay_alu instid0(VALU_DEP_1) | instskip(NEXT) | instid1(VALU_DEP_2)
	v_dual_lshlrev_b32 v70, 24, v70 :: v_dual_lshlrev_b32 v16, 20, v16
	v_lshl_add_u32 v74, v74, 23, 0x3c000000
	s_delay_alu instid0(VALU_DEP_2) | instskip(NEXT) | instid1(VALU_DEP_1)
	v_and_b32_e32 v70, 0x80000000, v70
	v_or3_b32 v76, v16, v70, v74
.LBB325_670:                            ;   in Loop: Header=BB325_433 Depth=1
	s_or_b32 exec_lo, exec_lo, s25
.LBB325_671:                            ;   in Loop: Header=BB325_433 Depth=1
	s_delay_alu instid0(SALU_CYCLE_1)
	s_or_b32 exec_lo, exec_lo, s24
.LBB325_672:                            ;   in Loop: Header=BB325_433 Depth=1
	s_delay_alu instid0(SALU_CYCLE_1) | instskip(NEXT) | instid1(SALU_CYCLE_1)
	s_or_b32 exec_lo, exec_lo, s23
	s_mov_b32 s23, exec_lo
	v_cmpx_lt_u64_e64 s[2:3], v[24:25]
	s_cbranch_execz .LBB325_680
; %bb.673:                              ;   in Loop: Header=BB325_433 Depth=1
	v_lshrrev_b32_e32 v24, 24, v25
	v_bfrev_b32_e32 v29, 1
	s_mov_b32 s24, exec_lo
	s_delay_alu instid0(VALU_DEP_2)
	v_cmpx_ne_u32_e32 0x80, v24
	s_cbranch_execz .LBB325_679
; %bb.674:                              ;   in Loop: Header=BB325_433 Depth=1
	v_bfe_u32 v70, v25, 24, 7
	v_mov_b32_e32 v29, 0x7f800001
	s_mov_b32 s25, exec_lo
	s_delay_alu instid0(VALU_DEP_2)
	v_cmpx_ne_u32_e32 0x7f, v70
	s_cbranch_execz .LBB325_678
; %bb.675:                              ;   in Loop: Header=BB325_433 Depth=1
	v_dual_lshrrev_b32 v25, 3, v70 :: v_dual_bitop2_b32 v16, 7, v24 bitop3:0x40
	s_mov_b32 s27, exec_lo
	v_cmpx_gt_u32_e32 8, v70
; %bb.676:                              ;   in Loop: Header=BB325_433 Depth=1
	s_delay_alu instid0(VALU_DEP_2) | instskip(NEXT) | instid1(VALU_DEP_1)
	v_clz_i32_u32_e32 v25, v16
	v_min_u32_e32 v25, 32, v25
	s_delay_alu instid0(VALU_DEP_1) | instskip(NEXT) | instid1(VALU_DEP_1)
	v_subrev_nc_u32_e32 v29, 28, v25
	v_lshlrev_b64_e32 v[74:75], v29, v[16:17]
	s_delay_alu instid0(VALU_DEP_1)
	v_dual_sub_nc_u32 v25, 29, v25 :: v_dual_bitop2_b32 v16, 7, v74 bitop3:0x40
; %bb.677:                              ;   in Loop: Header=BB325_433 Depth=1
	s_or_b32 exec_lo, exec_lo, s27
	v_lshlrev_b32_e32 v24, 24, v24
	s_delay_alu instid0(VALU_DEP_2) | instskip(NEXT) | instid1(VALU_DEP_3)
	v_lshlrev_b32_e32 v16, 20, v16
	v_lshl_add_u32 v25, v25, 23, 0x3c000000
	s_delay_alu instid0(VALU_DEP_3) | instskip(NEXT) | instid1(VALU_DEP_1)
	v_and_b32_e32 v24, 0x80000000, v24
	v_or3_b32 v29, v16, v24, v25
.LBB325_678:                            ;   in Loop: Header=BB325_433 Depth=1
	s_or_b32 exec_lo, exec_lo, s25
.LBB325_679:                            ;   in Loop: Header=BB325_433 Depth=1
	s_delay_alu instid0(SALU_CYCLE_1)
	s_or_b32 exec_lo, exec_lo, s24
.LBB325_680:                            ;   in Loop: Header=BB325_433 Depth=1
	s_delay_alu instid0(SALU_CYCLE_1)
	s_or_b32 exec_lo, exec_lo, s23
	v_fma_mixlo_bf16 v70, s22, v28, 0
	v_fma_mixlo_bf16 v71, s22, v71, 0
	;; [unrolled: 1-line block ×8, first 2 shown]
	s_and_saveexec_b32 s23, vcc_lo
	s_cbranch_execz .LBB325_682
; %bb.681:                              ;   in Loop: Header=BB325_433 Depth=1
	v_cmp_gt_i32_e64 s0, s34, v44
	s_delay_alu instid0(VALU_DEP_1) | instskip(SKIP_1) | instid1(VALU_DEP_1)
	v_cndmask_b32_e64 v75, 0, v75, s0
	v_cmp_gt_i32_e64 s0, s34, v51
	v_cndmask_b32_e64 v74, 0, v74, s0
	v_cmp_gt_i32_e64 s0, s34, v50
	s_delay_alu instid0(VALU_DEP_1) | instskip(SKIP_1) | instid1(VALU_DEP_1)
	v_cndmask_b32_e64 v73, 0, v73, s0
	v_cmp_gt_i32_e64 s0, s34, v49
	v_cndmask_b32_e64 v72, 0, v72, s0
	;; [unrolled: 5-line block ×4, first 2 shown]
.LBB325_682:                            ;   in Loop: Header=BB325_433 Depth=1
	s_or_b32 exec_lo, exec_lo, s23
	global_load_b64 v[24:25], v[22:23], off offset:1024
	v_dual_mov_b32 v80, 0 :: v_dual_mov_b32 v81, 0
	s_mov_b32 s23, exec_lo
	s_wait_loadcnt 0x0
	v_and_b32_e32 v16, 0xff, v24
	s_delay_alu instid0(VALU_DEP_1)
	v_cmpx_ne_u16_e32 0, v16
	s_cbranch_execz .LBB325_688
; %bb.683:                              ;   in Loop: Header=BB325_433 Depth=1
	v_bfrev_b32_e32 v81, 1
	s_mov_b32 s24, exec_lo
	v_cmpx_ne_u16_e32 0x80, v16
	s_cbranch_execz .LBB325_687
; %bb.684:                              ;   in Loop: Header=BB325_433 Depth=1
	v_and_b32_e32 v16, 0x7f, v24
	v_mov_b32_e32 v81, 0x7f800001
	s_mov_b32 s25, exec_lo
	s_delay_alu instid0(VALU_DEP_2)
	v_cmpx_ne_u32_e32 0x7f, v16
	s_cbranch_execz .LBB325_686
; %bb.685:                              ;   in Loop: Header=BB325_433 Depth=1
	v_and_b32_e32 v28, 7, v24
	v_lshrrev_b32_e32 v29, 3, v16
	v_cmp_gt_u32_e64 s0, 8, v16
	s_delay_alu instid0(VALU_DEP_3) | instskip(NEXT) | instid1(VALU_DEP_1)
	v_clz_i32_u32_e32 v28, v28
	v_min_u32_e32 v28, 32, v28
	s_delay_alu instid0(VALU_DEP_1) | instskip(SKIP_1) | instid1(VALU_DEP_1)
	v_subrev_nc_u32_e32 v76, 28, v28
	v_sub_nc_u32_e32 v28, 29, v28
	v_cndmask_b32_e64 v16, v29, v28, s0
	s_delay_alu instid0(VALU_DEP_3) | instskip(NEXT) | instid1(VALU_DEP_1)
	v_cndmask_b32_e64 v28, 0, v76, s0
	v_lshlrev_b64_e32 v[28:29], v28, v[24:25]
	v_lshlrev_b32_e32 v29, 24, v24
	s_delay_alu instid0(VALU_DEP_1) | instskip(NEXT) | instid1(VALU_DEP_3)
	v_and_b32_e32 v29, 0x80000000, v29
	v_lshlrev_b32_e32 v28, 20, v28
	v_lshl_add_u32 v16, v16, 23, 0x3c000000
	s_delay_alu instid0(VALU_DEP_2) | instskip(NEXT) | instid1(VALU_DEP_1)
	v_and_b32_e32 v28, 0x700000, v28
	v_or3_b32 v81, v28, v29, v16
.LBB325_686:                            ;   in Loop: Header=BB325_433 Depth=1
	s_or_b32 exec_lo, exec_lo, s25
.LBB325_687:                            ;   in Loop: Header=BB325_433 Depth=1
	s_delay_alu instid0(SALU_CYCLE_1)
	s_or_b32 exec_lo, exec_lo, s24
.LBB325_688:                            ;   in Loop: Header=BB325_433 Depth=1
	s_delay_alu instid0(SALU_CYCLE_1) | instskip(SKIP_2) | instid1(VALU_DEP_1)
	s_or_b32 exec_lo, exec_lo, s23
	v_lshrrev_b16 v16, 8, v24
	s_mov_b32 s23, exec_lo
	v_cmpx_ne_u16_e32 0, v16
	s_cbranch_execz .LBB325_696
; %bb.689:                              ;   in Loop: Header=BB325_433 Depth=1
	v_bfrev_b32_e32 v80, 1
	s_mov_b32 s24, exec_lo
	v_cmpx_ne_u16_e32 0x80, v16
	s_cbranch_execz .LBB325_695
; %bb.690:                              ;   in Loop: Header=BB325_433 Depth=1
	v_and_b32_e32 v16, 0xffff, v16
	v_mov_b32_e32 v80, 0x7f800001
	s_mov_b32 s25, exec_lo
	s_delay_alu instid0(VALU_DEP_2) | instskip(NEXT) | instid1(VALU_DEP_1)
	v_and_b32_e32 v29, 0x7f, v16
	v_cmpx_ne_u32_e32 0x7f, v29
	s_cbranch_execz .LBB325_694
; %bb.691:                              ;   in Loop: Header=BB325_433 Depth=1
	v_dual_lshrrev_b32 v28, 3, v29 :: v_dual_bitop2_b32 v16, 7, v16 bitop3:0x40
	s_mov_b32 s27, exec_lo
	v_cmpx_gt_u32_e32 8, v29
; %bb.692:                              ;   in Loop: Header=BB325_433 Depth=1
	s_delay_alu instid0(VALU_DEP_2) | instskip(NEXT) | instid1(VALU_DEP_1)
	v_clz_i32_u32_e32 v28, v16
	v_min_u32_e32 v28, 32, v28
	s_delay_alu instid0(VALU_DEP_1) | instskip(SKIP_1) | instid1(VALU_DEP_2)
	v_subrev_nc_u32_e32 v29, 28, v28
	v_sub_nc_u32_e32 v28, 29, v28
	v_lshlrev_b64_e32 v[76:77], v29, v[16:17]
	s_delay_alu instid0(VALU_DEP_1)
	v_and_b32_e32 v16, 7, v76
; %bb.693:                              ;   in Loop: Header=BB325_433 Depth=1
	s_or_b32 exec_lo, exec_lo, s27
	v_lshlrev_b32_e32 v29, 16, v24
	s_delay_alu instid0(VALU_DEP_2) | instskip(SKIP_1) | instid1(VALU_DEP_3)
	v_lshlrev_b32_e32 v16, 20, v16
	v_lshl_add_u32 v28, v28, 23, 0x3c000000
	v_and_b32_e32 v29, 0x80000000, v29
	s_delay_alu instid0(VALU_DEP_1)
	v_or3_b32 v80, v16, v29, v28
.LBB325_694:                            ;   in Loop: Header=BB325_433 Depth=1
	s_or_b32 exec_lo, exec_lo, s25
.LBB325_695:                            ;   in Loop: Header=BB325_433 Depth=1
	s_delay_alu instid0(SALU_CYCLE_1)
	s_or_b32 exec_lo, exec_lo, s24
.LBB325_696:                            ;   in Loop: Header=BB325_433 Depth=1
	s_delay_alu instid0(SALU_CYCLE_1) | instskip(SKIP_3) | instid1(VALU_DEP_2)
	s_or_b32 exec_lo, exec_lo, s23
	v_dual_lshrrev_b32 v28, 16, v24 :: v_dual_mov_b32 v78, 0
	v_mov_b32_e32 v79, 0
	s_mov_b32 s23, exec_lo
	v_and_b32_e32 v16, 0xff, v28
	s_delay_alu instid0(VALU_DEP_1)
	v_cmpx_ne_u16_e32 0, v16
	s_cbranch_execz .LBB325_704
; %bb.697:                              ;   in Loop: Header=BB325_433 Depth=1
	v_bfrev_b32_e32 v79, 1
	s_mov_b32 s24, exec_lo
	v_cmpx_ne_u16_e32 0x80, v16
	s_cbranch_execz .LBB325_703
; %bb.698:                              ;   in Loop: Header=BB325_433 Depth=1
	v_bfe_u32 v76, v24, 16, 7
	v_mov_b32_e32 v79, 0x7f800001
	s_mov_b32 s25, exec_lo
	s_delay_alu instid0(VALU_DEP_2)
	v_cmpx_ne_u32_e32 0x7f, v76
	s_cbranch_execz .LBB325_702
; %bb.699:                              ;   in Loop: Header=BB325_433 Depth=1
	v_and_b32_e32 v16, 7, v28
	v_lshrrev_b32_e32 v29, 3, v76
	s_mov_b32 s27, exec_lo
	v_cmpx_gt_u32_e32 8, v76
; %bb.700:                              ;   in Loop: Header=BB325_433 Depth=1
	s_delay_alu instid0(VALU_DEP_3) | instskip(NEXT) | instid1(VALU_DEP_1)
	v_clz_i32_u32_e32 v29, v16
	v_min_u32_e32 v29, 32, v29
	s_delay_alu instid0(VALU_DEP_1) | instskip(NEXT) | instid1(VALU_DEP_1)
	v_subrev_nc_u32_e32 v76, 28, v29
	v_lshlrev_b64_e32 v[76:77], v76, v[16:17]
	s_delay_alu instid0(VALU_DEP_1)
	v_dual_sub_nc_u32 v29, 29, v29 :: v_dual_bitop2_b32 v16, 7, v76 bitop3:0x40
; %bb.701:                              ;   in Loop: Header=BB325_433 Depth=1
	s_or_b32 exec_lo, exec_lo, s27
	v_lshlrev_b32_e32 v28, 24, v28
	s_delay_alu instid0(VALU_DEP_2) | instskip(NEXT) | instid1(VALU_DEP_3)
	v_lshlrev_b32_e32 v16, 20, v16
	v_lshl_add_u32 v29, v29, 23, 0x3c000000
	s_delay_alu instid0(VALU_DEP_3) | instskip(NEXT) | instid1(VALU_DEP_1)
	v_and_b32_e32 v28, 0x80000000, v28
	v_or3_b32 v79, v16, v28, v29
.LBB325_702:                            ;   in Loop: Header=BB325_433 Depth=1
	s_or_b32 exec_lo, exec_lo, s25
.LBB325_703:                            ;   in Loop: Header=BB325_433 Depth=1
	s_delay_alu instid0(SALU_CYCLE_1)
	s_or_b32 exec_lo, exec_lo, s24
.LBB325_704:                            ;   in Loop: Header=BB325_433 Depth=1
	s_delay_alu instid0(SALU_CYCLE_1) | instskip(NEXT) | instid1(SALU_CYCLE_1)
	s_or_b32 exec_lo, exec_lo, s23
	s_mov_b32 s23, exec_lo
	v_cmpx_lt_u32_e32 0xffffff, v24
	s_cbranch_execz .LBB325_712
; %bb.705:                              ;   in Loop: Header=BB325_433 Depth=1
	v_lshrrev_b32_e32 v28, 24, v24
	v_bfrev_b32_e32 v78, 1
	s_mov_b32 s24, exec_lo
	s_delay_alu instid0(VALU_DEP_2)
	v_cmpx_ne_u32_e32 0x80, v28
	s_cbranch_execz .LBB325_711
; %bb.706:                              ;   in Loop: Header=BB325_433 Depth=1
	v_bfe_u32 v76, v24, 24, 7
	v_mov_b32_e32 v78, 0x7f800001
	s_mov_b32 s25, exec_lo
	s_delay_alu instid0(VALU_DEP_2)
	v_cmpx_ne_u32_e32 0x7f, v76
	s_cbranch_execz .LBB325_710
; %bb.707:                              ;   in Loop: Header=BB325_433 Depth=1
	v_and_b32_e32 v16, 7, v28
	v_lshrrev_b32_e32 v29, 3, v76
	s_mov_b32 s27, exec_lo
	v_cmpx_gt_u32_e32 8, v76
; %bb.708:                              ;   in Loop: Header=BB325_433 Depth=1
	s_delay_alu instid0(VALU_DEP_3) | instskip(NEXT) | instid1(VALU_DEP_1)
	v_clz_i32_u32_e32 v29, v16
	v_min_u32_e32 v29, 32, v29
	s_delay_alu instid0(VALU_DEP_1) | instskip(NEXT) | instid1(VALU_DEP_1)
	v_subrev_nc_u32_e32 v76, 28, v29
	v_lshlrev_b64_e32 v[76:77], v76, v[16:17]
	s_delay_alu instid0(VALU_DEP_1)
	v_dual_sub_nc_u32 v29, 29, v29 :: v_dual_bitop2_b32 v16, 7, v76 bitop3:0x40
; %bb.709:                              ;   in Loop: Header=BB325_433 Depth=1
	s_or_b32 exec_lo, exec_lo, s27
	v_lshlrev_b32_e32 v28, 24, v28
	s_delay_alu instid0(VALU_DEP_2) | instskip(NEXT) | instid1(VALU_DEP_3)
	v_lshlrev_b32_e32 v16, 20, v16
	v_lshl_add_u32 v29, v29, 23, 0x3c000000
	s_delay_alu instid0(VALU_DEP_3) | instskip(NEXT) | instid1(VALU_DEP_1)
	v_and_b32_e32 v28, 0x80000000, v28
	v_or3_b32 v78, v16, v28, v29
.LBB325_710:                            ;   in Loop: Header=BB325_433 Depth=1
	s_or_b32 exec_lo, exec_lo, s25
.LBB325_711:                            ;   in Loop: Header=BB325_433 Depth=1
	s_delay_alu instid0(SALU_CYCLE_1)
	s_or_b32 exec_lo, exec_lo, s24
.LBB325_712:                            ;   in Loop: Header=BB325_433 Depth=1
	s_delay_alu instid0(SALU_CYCLE_1) | instskip(SKIP_4) | instid1(VALU_DEP_3)
	s_or_b32 exec_lo, exec_lo, s23
	v_and_b32_e32 v29, 0xff, v25
	v_dual_mov_b32 v16, v25 :: v_dual_mov_b32 v28, 0
	v_mov_b32_e32 v77, 0
	s_mov_b32 s23, exec_lo
	v_cmpx_ne_u16_e32 0, v29
	s_cbranch_execz .LBB325_718
; %bb.713:                              ;   in Loop: Header=BB325_433 Depth=1
	v_bfrev_b32_e32 v77, 1
	s_mov_b32 s24, exec_lo
	v_cmpx_ne_u16_e32 0x80, v29
	s_cbranch_execz .LBB325_717
; %bb.714:                              ;   in Loop: Header=BB325_433 Depth=1
	v_and_b32_e32 v29, 0x7f, v25
	v_mov_b32_e32 v77, 0x7f800001
	s_mov_b32 s25, exec_lo
	s_delay_alu instid0(VALU_DEP_2)
	v_cmpx_ne_u32_e32 0x7f, v29
	s_cbranch_execz .LBB325_716
; %bb.715:                              ;   in Loop: Header=BB325_433 Depth=1
	v_and_b32_e32 v76, 7, v25
	v_cmp_gt_u32_e64 s0, 8, v29
	s_delay_alu instid0(VALU_DEP_2) | instskip(NEXT) | instid1(VALU_DEP_1)
	v_clz_i32_u32_e32 v76, v76
	v_min_u32_e32 v76, 32, v76
	v_lshrrev_b32_e32 v77, 3, v29
	s_delay_alu instid0(VALU_DEP_2) | instskip(SKIP_1) | instid1(VALU_DEP_1)
	v_subrev_nc_u32_e32 v82, 28, v76
	v_sub_nc_u32_e32 v76, 29, v76
	v_dual_cndmask_b32 v29, v77, v76, s0 :: v_dual_cndmask_b32 v76, 0, v82, s0
	s_delay_alu instid0(VALU_DEP_1) | instskip(NEXT) | instid1(VALU_DEP_2)
	v_lshl_add_u32 v29, v29, 23, 0x3c000000
	v_lshlrev_b64_e32 v[76:77], v76, v[16:17]
	v_lshlrev_b32_e32 v77, 24, v16
	s_delay_alu instid0(VALU_DEP_1) | instskip(NEXT) | instid1(VALU_DEP_3)
	v_and_b32_e32 v77, 0x80000000, v77
	v_lshlrev_b32_e32 v76, 20, v76
	s_delay_alu instid0(VALU_DEP_1) | instskip(NEXT) | instid1(VALU_DEP_1)
	v_and_b32_e32 v76, 0x700000, v76
	v_or3_b32 v77, v76, v77, v29
.LBB325_716:                            ;   in Loop: Header=BB325_433 Depth=1
	s_or_b32 exec_lo, exec_lo, s25
.LBB325_717:                            ;   in Loop: Header=BB325_433 Depth=1
	s_delay_alu instid0(SALU_CYCLE_1)
	s_or_b32 exec_lo, exec_lo, s24
.LBB325_718:                            ;   in Loop: Header=BB325_433 Depth=1
	s_delay_alu instid0(SALU_CYCLE_1) | instskip(SKIP_2) | instid1(VALU_DEP_1)
	s_or_b32 exec_lo, exec_lo, s23
	v_lshrrev_b16 v29, 8, v16
	s_mov_b32 s23, exec_lo
	v_cmpx_ne_u16_e32 0, v29
	s_cbranch_execz .LBB325_726
; %bb.719:                              ;   in Loop: Header=BB325_433 Depth=1
	v_bfrev_b32_e32 v28, 1
	s_mov_b32 s24, exec_lo
	v_cmpx_ne_u16_e32 0x80, v29
	s_cbranch_execz .LBB325_725
; %bb.720:                              ;   in Loop: Header=BB325_433 Depth=1
	v_and_b32_e32 v29, 0xffff, v29
	v_mov_b32_e32 v28, 0x7f800001
	s_mov_b32 s25, exec_lo
	s_delay_alu instid0(VALU_DEP_2) | instskip(NEXT) | instid1(VALU_DEP_1)
	v_and_b32_e32 v82, 0x7f, v29
	v_cmpx_ne_u32_e32 0x7f, v82
	s_cbranch_execz .LBB325_724
; %bb.721:                              ;   in Loop: Header=BB325_433 Depth=1
	v_dual_mov_b32 v29, v17 :: v_dual_bitop2_b32 v28, 7, v29 bitop3:0x40
	v_lshrrev_b32_e32 v76, 3, v82
	s_mov_b32 s27, exec_lo
	v_cmpx_gt_u32_e32 8, v82
; %bb.722:                              ;   in Loop: Header=BB325_433 Depth=1
	s_delay_alu instid0(VALU_DEP_3) | instskip(NEXT) | instid1(VALU_DEP_1)
	v_clz_i32_u32_e32 v76, v28
	v_min_u32_e32 v76, 32, v76
	s_delay_alu instid0(VALU_DEP_1) | instskip(SKIP_1) | instid1(VALU_DEP_2)
	v_subrev_nc_u32_e32 v82, 28, v76
	v_sub_nc_u32_e32 v76, 29, v76
	v_lshlrev_b64_e32 v[28:29], v82, v[28:29]
	s_delay_alu instid0(VALU_DEP_1)
	v_and_b32_e32 v28, 7, v28
; %bb.723:                              ;   in Loop: Header=BB325_433 Depth=1
	s_or_b32 exec_lo, exec_lo, s27
	v_lshlrev_b32_e32 v16, 16, v16
	s_delay_alu instid0(VALU_DEP_2) | instskip(SKIP_1) | instid1(VALU_DEP_3)
	v_lshlrev_b32_e32 v28, 20, v28
	v_lshl_add_u32 v29, v76, 23, 0x3c000000
	v_and_b32_e32 v16, 0x80000000, v16
	s_delay_alu instid0(VALU_DEP_1)
	v_or3_b32 v28, v28, v16, v29
.LBB325_724:                            ;   in Loop: Header=BB325_433 Depth=1
	s_or_b32 exec_lo, exec_lo, s25
.LBB325_725:                            ;   in Loop: Header=BB325_433 Depth=1
	s_delay_alu instid0(SALU_CYCLE_1)
	s_or_b32 exec_lo, exec_lo, s24
.LBB325_726:                            ;   in Loop: Header=BB325_433 Depth=1
	s_delay_alu instid0(SALU_CYCLE_1) | instskip(SKIP_3) | instid1(VALU_DEP_2)
	s_or_b32 exec_lo, exec_lo, s23
	v_dual_mov_b32 v29, 0 :: v_dual_lshrrev_b32 v76, 16, v25
	v_mov_b32_e32 v82, 0
	s_mov_b32 s23, exec_lo
	v_and_b32_e32 v16, 0xff, v76
	s_delay_alu instid0(VALU_DEP_1)
	v_cmpx_ne_u16_e32 0, v16
	s_cbranch_execz .LBB325_734
; %bb.727:                              ;   in Loop: Header=BB325_433 Depth=1
	v_bfrev_b32_e32 v82, 1
	s_mov_b32 s24, exec_lo
	v_cmpx_ne_u16_e32 0x80, v16
	s_cbranch_execz .LBB325_733
; %bb.728:                              ;   in Loop: Header=BB325_433 Depth=1
	v_bfe_u32 v83, v25, 16, 7
	v_mov_b32_e32 v82, 0x7f800001
	s_mov_b32 s25, exec_lo
	s_delay_alu instid0(VALU_DEP_2)
	v_cmpx_ne_u32_e32 0x7f, v83
	s_cbranch_execz .LBB325_732
; %bb.729:                              ;   in Loop: Header=BB325_433 Depth=1
	v_dual_lshrrev_b32 v82, 3, v83 :: v_dual_bitop2_b32 v16, 7, v76 bitop3:0x40
	s_mov_b32 s27, exec_lo
	v_cmpx_gt_u32_e32 8, v83
; %bb.730:                              ;   in Loop: Header=BB325_433 Depth=1
	s_delay_alu instid0(VALU_DEP_2) | instskip(NEXT) | instid1(VALU_DEP_1)
	v_clz_i32_u32_e32 v82, v16
	v_min_u32_e32 v82, 32, v82
	s_delay_alu instid0(VALU_DEP_1) | instskip(NEXT) | instid1(VALU_DEP_1)
	v_subrev_nc_u32_e32 v83, 28, v82
	v_lshlrev_b64_e32 v[84:85], v83, v[16:17]
	s_delay_alu instid0(VALU_DEP_1)
	v_dual_sub_nc_u32 v82, 29, v82 :: v_dual_bitop2_b32 v16, 7, v84 bitop3:0x40
; %bb.731:                              ;   in Loop: Header=BB325_433 Depth=1
	s_or_b32 exec_lo, exec_lo, s27
	v_lshlrev_b32_e32 v76, 24, v76
	s_delay_alu instid0(VALU_DEP_2) | instskip(NEXT) | instid1(VALU_DEP_3)
	v_lshlrev_b32_e32 v16, 20, v16
	v_lshl_add_u32 v82, v82, 23, 0x3c000000
	s_delay_alu instid0(VALU_DEP_3) | instskip(NEXT) | instid1(VALU_DEP_1)
	v_and_b32_e32 v76, 0x80000000, v76
	v_or3_b32 v82, v16, v76, v82
.LBB325_732:                            ;   in Loop: Header=BB325_433 Depth=1
	s_or_b32 exec_lo, exec_lo, s25
.LBB325_733:                            ;   in Loop: Header=BB325_433 Depth=1
	s_delay_alu instid0(SALU_CYCLE_1)
	s_or_b32 exec_lo, exec_lo, s24
.LBB325_734:                            ;   in Loop: Header=BB325_433 Depth=1
	s_delay_alu instid0(SALU_CYCLE_1) | instskip(NEXT) | instid1(SALU_CYCLE_1)
	s_or_b32 exec_lo, exec_lo, s23
	s_mov_b32 s23, exec_lo
	v_cmpx_lt_u64_e64 s[2:3], v[24:25]
	s_cbranch_execz .LBB325_742
; %bb.735:                              ;   in Loop: Header=BB325_433 Depth=1
	v_lshrrev_b32_e32 v24, 24, v25
	v_bfrev_b32_e32 v29, 1
	s_mov_b32 s24, exec_lo
	s_delay_alu instid0(VALU_DEP_2)
	v_cmpx_ne_u32_e32 0x80, v24
	s_cbranch_execz .LBB325_741
; %bb.736:                              ;   in Loop: Header=BB325_433 Depth=1
	v_bfe_u32 v76, v25, 24, 7
	v_mov_b32_e32 v29, 0x7f800001
	s_mov_b32 s25, exec_lo
	s_delay_alu instid0(VALU_DEP_2)
	v_cmpx_ne_u32_e32 0x7f, v76
	s_cbranch_execz .LBB325_740
; %bb.737:                              ;   in Loop: Header=BB325_433 Depth=1
	v_and_b32_e32 v16, 7, v24
	v_lshrrev_b32_e32 v25, 3, v76
	s_mov_b32 s27, exec_lo
	v_cmpx_gt_u32_e32 8, v76
; %bb.738:                              ;   in Loop: Header=BB325_433 Depth=1
	s_delay_alu instid0(VALU_DEP_3) | instskip(NEXT) | instid1(VALU_DEP_1)
	v_clz_i32_u32_e32 v25, v16
	v_min_u32_e32 v25, 32, v25
	s_delay_alu instid0(VALU_DEP_1) | instskip(NEXT) | instid1(VALU_DEP_1)
	v_subrev_nc_u32_e32 v29, 28, v25
	v_lshlrev_b64_e32 v[84:85], v29, v[16:17]
	s_delay_alu instid0(VALU_DEP_1)
	v_dual_sub_nc_u32 v25, 29, v25 :: v_dual_bitop2_b32 v16, 7, v84 bitop3:0x40
; %bb.739:                              ;   in Loop: Header=BB325_433 Depth=1
	s_or_b32 exec_lo, exec_lo, s27
	v_lshlrev_b32_e32 v24, 24, v24
	s_delay_alu instid0(VALU_DEP_2) | instskip(NEXT) | instid1(VALU_DEP_3)
	v_lshlrev_b32_e32 v16, 20, v16
	v_lshl_add_u32 v25, v25, 23, 0x3c000000
	s_delay_alu instid0(VALU_DEP_3) | instskip(NEXT) | instid1(VALU_DEP_1)
	v_and_b32_e32 v24, 0x80000000, v24
	v_or3_b32 v29, v16, v24, v25
.LBB325_740:                            ;   in Loop: Header=BB325_433 Depth=1
	s_or_b32 exec_lo, exec_lo, s25
.LBB325_741:                            ;   in Loop: Header=BB325_433 Depth=1
	s_delay_alu instid0(SALU_CYCLE_1)
	s_or_b32 exec_lo, exec_lo, s24
.LBB325_742:                            ;   in Loop: Header=BB325_433 Depth=1
	s_delay_alu instid0(SALU_CYCLE_1)
	s_or_b32 exec_lo, exec_lo, s23
	v_fma_mixlo_bf16 v76, s22, v28, 0
	v_fma_mixlo_bf16 v77, s22, v77, 0
	;; [unrolled: 1-line block ×8, first 2 shown]
	s_and_saveexec_b32 s23, vcc_lo
	s_cbranch_execz .LBB325_744
; %bb.743:                              ;   in Loop: Header=BB325_433 Depth=1
	v_cmp_gt_i32_e64 s0, s34, v44
	s_delay_alu instid0(VALU_DEP_1) | instskip(SKIP_1) | instid1(VALU_DEP_1)
	v_cndmask_b32_e64 v81, 0, v81, s0
	v_cmp_gt_i32_e64 s0, s34, v51
	v_cndmask_b32_e64 v80, 0, v80, s0
	v_cmp_gt_i32_e64 s0, s34, v50
	s_delay_alu instid0(VALU_DEP_1) | instskip(SKIP_1) | instid1(VALU_DEP_1)
	v_cndmask_b32_e64 v79, 0, v79, s0
	v_cmp_gt_i32_e64 s0, s34, v49
	v_cndmask_b32_e64 v78, 0, v78, s0
	;; [unrolled: 5-line block ×4, first 2 shown]
.LBB325_744:                            ;   in Loop: Header=BB325_433 Depth=1
	s_or_b32 exec_lo, exec_lo, s23
	global_load_b64 v[22:23], v[22:23], off offset:1280
	v_dual_mov_b32 v83, 0 :: v_dual_mov_b32 v82, 0
	s_mov_b32 s23, exec_lo
	s_wait_loadcnt 0x0
	v_and_b32_e32 v16, 0xff, v22
	s_delay_alu instid0(VALU_DEP_1)
	v_cmpx_ne_u16_e32 0, v16
	s_cbranch_execz .LBB325_750
; %bb.745:                              ;   in Loop: Header=BB325_433 Depth=1
	v_bfrev_b32_e32 v82, 1
	s_mov_b32 s24, exec_lo
	v_cmpx_ne_u16_e32 0x80, v16
	s_cbranch_execz .LBB325_749
; %bb.746:                              ;   in Loop: Header=BB325_433 Depth=1
	v_and_b32_e32 v16, 0x7f, v22
	v_mov_b32_e32 v82, 0x7f800001
	s_mov_b32 s25, exec_lo
	s_delay_alu instid0(VALU_DEP_2)
	v_cmpx_ne_u32_e32 0x7f, v16
	s_cbranch_execz .LBB325_748
; %bb.747:                              ;   in Loop: Header=BB325_433 Depth=1
	v_dual_lshrrev_b32 v25, 3, v16 :: v_dual_bitop2_b32 v24, 7, v22 bitop3:0x40
	v_cmp_gt_u32_e64 s0, 8, v16
	s_delay_alu instid0(VALU_DEP_2) | instskip(NEXT) | instid1(VALU_DEP_1)
	v_clz_i32_u32_e32 v24, v24
	v_min_u32_e32 v24, 32, v24
	s_delay_alu instid0(VALU_DEP_1) | instskip(SKIP_1) | instid1(VALU_DEP_1)
	v_subrev_nc_u32_e32 v82, 28, v24
	v_sub_nc_u32_e32 v24, 29, v24
	v_dual_cndmask_b32 v16, v25, v24, s0 :: v_dual_cndmask_b32 v24, 0, v82, s0
	s_delay_alu instid0(VALU_DEP_1) | instskip(NEXT) | instid1(VALU_DEP_2)
	v_lshl_add_u32 v16, v16, 23, 0x3c000000
	v_lshlrev_b64_e32 v[24:25], v24, v[22:23]
	v_lshlrev_b32_e32 v25, 24, v22
	s_delay_alu instid0(VALU_DEP_1) | instskip(NEXT) | instid1(VALU_DEP_3)
	v_and_b32_e32 v25, 0x80000000, v25
	v_lshlrev_b32_e32 v24, 20, v24
	s_delay_alu instid0(VALU_DEP_1) | instskip(NEXT) | instid1(VALU_DEP_1)
	v_and_b32_e32 v24, 0x700000, v24
	v_or3_b32 v82, v24, v25, v16
.LBB325_748:                            ;   in Loop: Header=BB325_433 Depth=1
	s_or_b32 exec_lo, exec_lo, s25
.LBB325_749:                            ;   in Loop: Header=BB325_433 Depth=1
	s_delay_alu instid0(SALU_CYCLE_1)
	s_or_b32 exec_lo, exec_lo, s24
.LBB325_750:                            ;   in Loop: Header=BB325_433 Depth=1
	s_delay_alu instid0(SALU_CYCLE_1) | instskip(SKIP_2) | instid1(VALU_DEP_1)
	s_or_b32 exec_lo, exec_lo, s23
	v_lshrrev_b16 v16, 8, v22
	s_mov_b32 s23, exec_lo
	v_cmpx_ne_u16_e32 0, v16
	s_cbranch_execz .LBB325_758
; %bb.751:                              ;   in Loop: Header=BB325_433 Depth=1
	v_bfrev_b32_e32 v83, 1
	s_mov_b32 s24, exec_lo
	v_cmpx_ne_u16_e32 0x80, v16
	s_cbranch_execz .LBB325_757
; %bb.752:                              ;   in Loop: Header=BB325_433 Depth=1
	v_and_b32_e32 v16, 0xffff, v16
	v_mov_b32_e32 v83, 0x7f800001
	s_mov_b32 s25, exec_lo
	s_delay_alu instid0(VALU_DEP_2) | instskip(NEXT) | instid1(VALU_DEP_1)
	v_and_b32_e32 v25, 0x7f, v16
	v_cmpx_ne_u32_e32 0x7f, v25
	s_cbranch_execz .LBB325_756
; %bb.753:                              ;   in Loop: Header=BB325_433 Depth=1
	v_dual_lshrrev_b32 v24, 3, v25 :: v_dual_bitop2_b32 v16, 7, v16 bitop3:0x40
	s_mov_b32 s27, exec_lo
	v_cmpx_gt_u32_e32 8, v25
; %bb.754:                              ;   in Loop: Header=BB325_433 Depth=1
	s_delay_alu instid0(VALU_DEP_2) | instskip(NEXT) | instid1(VALU_DEP_1)
	v_clz_i32_u32_e32 v24, v16
	v_min_u32_e32 v24, 32, v24
	s_delay_alu instid0(VALU_DEP_1) | instskip(SKIP_1) | instid1(VALU_DEP_2)
	v_subrev_nc_u32_e32 v25, 28, v24
	v_sub_nc_u32_e32 v24, 29, v24
	v_lshlrev_b64_e32 v[84:85], v25, v[16:17]
	s_delay_alu instid0(VALU_DEP_1)
	v_and_b32_e32 v16, 7, v84
; %bb.755:                              ;   in Loop: Header=BB325_433 Depth=1
	s_or_b32 exec_lo, exec_lo, s27
	s_delay_alu instid0(VALU_DEP_1) | instskip(SKIP_1) | instid1(VALU_DEP_2)
	v_dual_lshlrev_b32 v25, 16, v22 :: v_dual_lshlrev_b32 v16, 20, v16
	v_lshl_add_u32 v24, v24, 23, 0x3c000000
	v_and_b32_e32 v25, 0x80000000, v25
	s_delay_alu instid0(VALU_DEP_1)
	v_or3_b32 v83, v16, v25, v24
.LBB325_756:                            ;   in Loop: Header=BB325_433 Depth=1
	s_or_b32 exec_lo, exec_lo, s25
.LBB325_757:                            ;   in Loop: Header=BB325_433 Depth=1
	s_delay_alu instid0(SALU_CYCLE_1)
	s_or_b32 exec_lo, exec_lo, s24
.LBB325_758:                            ;   in Loop: Header=BB325_433 Depth=1
	s_delay_alu instid0(SALU_CYCLE_1) | instskip(SKIP_3) | instid1(VALU_DEP_2)
	s_or_b32 exec_lo, exec_lo, s23
	v_dual_mov_b32 v85, 0 :: v_dual_lshrrev_b32 v24, 16, v22
	v_mov_b32_e32 v84, 0
	s_mov_b32 s23, exec_lo
	v_and_b32_e32 v16, 0xff, v24
	s_delay_alu instid0(VALU_DEP_1)
	v_cmpx_ne_u16_e32 0, v16
	s_cbranch_execz .LBB325_766
; %bb.759:                              ;   in Loop: Header=BB325_433 Depth=1
	v_bfrev_b32_e32 v84, 1
	s_mov_b32 s24, exec_lo
	v_cmpx_ne_u16_e32 0x80, v16
	s_cbranch_execz .LBB325_765
; %bb.760:                              ;   in Loop: Header=BB325_433 Depth=1
	v_bfe_u32 v86, v22, 16, 7
	v_mov_b32_e32 v84, 0x7f800001
	s_mov_b32 s25, exec_lo
	s_delay_alu instid0(VALU_DEP_2)
	v_cmpx_ne_u32_e32 0x7f, v86
	s_cbranch_execz .LBB325_764
; %bb.761:                              ;   in Loop: Header=BB325_433 Depth=1
	v_dual_lshrrev_b32 v25, 3, v86 :: v_dual_bitop2_b32 v16, 7, v24 bitop3:0x40
	s_mov_b32 s27, exec_lo
	v_cmpx_gt_u32_e32 8, v86
; %bb.762:                              ;   in Loop: Header=BB325_433 Depth=1
	s_delay_alu instid0(VALU_DEP_2) | instskip(NEXT) | instid1(VALU_DEP_1)
	v_clz_i32_u32_e32 v25, v16
	v_min_u32_e32 v25, 32, v25
	s_delay_alu instid0(VALU_DEP_1) | instskip(NEXT) | instid1(VALU_DEP_1)
	v_subrev_nc_u32_e32 v84, 28, v25
	v_lshlrev_b64_e32 v[86:87], v84, v[16:17]
	s_delay_alu instid0(VALU_DEP_1)
	v_dual_sub_nc_u32 v25, 29, v25 :: v_dual_bitop2_b32 v16, 7, v86 bitop3:0x40
; %bb.763:                              ;   in Loop: Header=BB325_433 Depth=1
	s_or_b32 exec_lo, exec_lo, s27
	v_lshlrev_b32_e32 v24, 24, v24
	s_delay_alu instid0(VALU_DEP_2) | instskip(NEXT) | instid1(VALU_DEP_3)
	v_lshlrev_b32_e32 v16, 20, v16
	v_lshl_add_u32 v25, v25, 23, 0x3c000000
	s_delay_alu instid0(VALU_DEP_3) | instskip(NEXT) | instid1(VALU_DEP_1)
	v_and_b32_e32 v24, 0x80000000, v24
	v_or3_b32 v84, v16, v24, v25
.LBB325_764:                            ;   in Loop: Header=BB325_433 Depth=1
	s_or_b32 exec_lo, exec_lo, s25
.LBB325_765:                            ;   in Loop: Header=BB325_433 Depth=1
	s_delay_alu instid0(SALU_CYCLE_1)
	s_or_b32 exec_lo, exec_lo, s24
.LBB325_766:                            ;   in Loop: Header=BB325_433 Depth=1
	s_delay_alu instid0(SALU_CYCLE_1) | instskip(NEXT) | instid1(SALU_CYCLE_1)
	s_or_b32 exec_lo, exec_lo, s23
	s_mov_b32 s23, exec_lo
	v_cmpx_lt_u32_e32 0xffffff, v22
	s_cbranch_execz .LBB325_774
; %bb.767:                              ;   in Loop: Header=BB325_433 Depth=1
	v_lshrrev_b32_e32 v24, 24, v22
	v_bfrev_b32_e32 v85, 1
	s_mov_b32 s24, exec_lo
	s_delay_alu instid0(VALU_DEP_2)
	v_cmpx_ne_u32_e32 0x80, v24
	s_cbranch_execz .LBB325_773
; %bb.768:                              ;   in Loop: Header=BB325_433 Depth=1
	v_bfe_u32 v86, v22, 24, 7
	v_mov_b32_e32 v85, 0x7f800001
	s_mov_b32 s25, exec_lo
	s_delay_alu instid0(VALU_DEP_2)
	v_cmpx_ne_u32_e32 0x7f, v86
	s_cbranch_execz .LBB325_772
; %bb.769:                              ;   in Loop: Header=BB325_433 Depth=1
	v_dual_lshrrev_b32 v25, 3, v86 :: v_dual_bitop2_b32 v16, 7, v24 bitop3:0x40
	s_mov_b32 s27, exec_lo
	v_cmpx_gt_u32_e32 8, v86
; %bb.770:                              ;   in Loop: Header=BB325_433 Depth=1
	s_delay_alu instid0(VALU_DEP_2) | instskip(NEXT) | instid1(VALU_DEP_1)
	v_clz_i32_u32_e32 v25, v16
	v_min_u32_e32 v25, 32, v25
	s_delay_alu instid0(VALU_DEP_1) | instskip(NEXT) | instid1(VALU_DEP_1)
	v_subrev_nc_u32_e32 v85, 28, v25
	v_lshlrev_b64_e32 v[86:87], v85, v[16:17]
	s_delay_alu instid0(VALU_DEP_1)
	v_dual_sub_nc_u32 v25, 29, v25 :: v_dual_bitop2_b32 v16, 7, v86 bitop3:0x40
; %bb.771:                              ;   in Loop: Header=BB325_433 Depth=1
	s_or_b32 exec_lo, exec_lo, s27
	v_lshlrev_b32_e32 v24, 24, v24
	s_delay_alu instid0(VALU_DEP_2) | instskip(NEXT) | instid1(VALU_DEP_3)
	v_lshlrev_b32_e32 v16, 20, v16
	v_lshl_add_u32 v25, v25, 23, 0x3c000000
	s_delay_alu instid0(VALU_DEP_3) | instskip(NEXT) | instid1(VALU_DEP_1)
	v_and_b32_e32 v24, 0x80000000, v24
	v_or3_b32 v85, v16, v24, v25
.LBB325_772:                            ;   in Loop: Header=BB325_433 Depth=1
	s_or_b32 exec_lo, exec_lo, s25
.LBB325_773:                            ;   in Loop: Header=BB325_433 Depth=1
	s_delay_alu instid0(SALU_CYCLE_1)
	s_or_b32 exec_lo, exec_lo, s24
.LBB325_774:                            ;   in Loop: Header=BB325_433 Depth=1
	s_delay_alu instid0(SALU_CYCLE_1) | instskip(SKIP_4) | instid1(VALU_DEP_3)
	s_or_b32 exec_lo, exec_lo, s23
	v_and_b32_e32 v25, 0xff, v23
	v_dual_mov_b32 v16, v23 :: v_dual_mov_b32 v24, 0
	v_mov_b32_e32 v86, 0
	s_mov_b32 s23, exec_lo
	v_cmpx_ne_u16_e32 0, v25
	s_cbranch_execz .LBB325_780
; %bb.775:                              ;   in Loop: Header=BB325_433 Depth=1
	v_bfrev_b32_e32 v86, 1
	s_mov_b32 s24, exec_lo
	v_cmpx_ne_u16_e32 0x80, v25
	s_cbranch_execz .LBB325_779
; %bb.776:                              ;   in Loop: Header=BB325_433 Depth=1
	v_and_b32_e32 v25, 0x7f, v23
	v_mov_b32_e32 v86, 0x7f800001
	s_mov_b32 s25, exec_lo
	s_delay_alu instid0(VALU_DEP_2)
	v_cmpx_ne_u32_e32 0x7f, v25
	s_cbranch_execz .LBB325_778
; %bb.777:                              ;   in Loop: Header=BB325_433 Depth=1
	v_dual_lshrrev_b32 v87, 3, v25 :: v_dual_bitop2_b32 v86, 7, v23 bitop3:0x40
	v_cmp_gt_u32_e64 s0, 8, v25
	s_delay_alu instid0(VALU_DEP_2) | instskip(NEXT) | instid1(VALU_DEP_1)
	v_clz_i32_u32_e32 v86, v86
	v_min_u32_e32 v86, 32, v86
	s_delay_alu instid0(VALU_DEP_1) | instskip(SKIP_1) | instid1(VALU_DEP_1)
	v_subrev_nc_u32_e32 v88, 28, v86
	v_sub_nc_u32_e32 v86, 29, v86
	v_dual_cndmask_b32 v25, v87, v86, s0 :: v_dual_cndmask_b32 v86, 0, v88, s0
	s_delay_alu instid0(VALU_DEP_1) | instskip(NEXT) | instid1(VALU_DEP_2)
	v_lshl_add_u32 v25, v25, 23, 0x3c000000
	v_lshlrev_b64_e32 v[86:87], v86, v[16:17]
	v_lshlrev_b32_e32 v87, 24, v16
	s_delay_alu instid0(VALU_DEP_1) | instskip(NEXT) | instid1(VALU_DEP_3)
	v_and_b32_e32 v87, 0x80000000, v87
	v_lshlrev_b32_e32 v86, 20, v86
	s_delay_alu instid0(VALU_DEP_1) | instskip(NEXT) | instid1(VALU_DEP_1)
	v_and_b32_e32 v86, 0x700000, v86
	v_or3_b32 v86, v86, v87, v25
.LBB325_778:                            ;   in Loop: Header=BB325_433 Depth=1
	s_or_b32 exec_lo, exec_lo, s25
.LBB325_779:                            ;   in Loop: Header=BB325_433 Depth=1
	s_delay_alu instid0(SALU_CYCLE_1)
	s_or_b32 exec_lo, exec_lo, s24
.LBB325_780:                            ;   in Loop: Header=BB325_433 Depth=1
	s_delay_alu instid0(SALU_CYCLE_1) | instskip(SKIP_2) | instid1(VALU_DEP_1)
	s_or_b32 exec_lo, exec_lo, s23
	v_lshrrev_b16 v25, 8, v16
	s_mov_b32 s23, exec_lo
	v_cmpx_ne_u16_e32 0, v25
	s_cbranch_execz .LBB325_788
; %bb.781:                              ;   in Loop: Header=BB325_433 Depth=1
	v_bfrev_b32_e32 v24, 1
	s_mov_b32 s24, exec_lo
	v_cmpx_ne_u16_e32 0x80, v25
	s_cbranch_execz .LBB325_787
; %bb.782:                              ;   in Loop: Header=BB325_433 Depth=1
	v_and_b32_e32 v25, 0xffff, v25
	v_mov_b32_e32 v24, 0x7f800001
	s_mov_b32 s25, exec_lo
	s_delay_alu instid0(VALU_DEP_2) | instskip(NEXT) | instid1(VALU_DEP_1)
	v_and_b32_e32 v88, 0x7f, v25
	v_cmpx_ne_u32_e32 0x7f, v88
	s_cbranch_execz .LBB325_786
; %bb.783:                              ;   in Loop: Header=BB325_433 Depth=1
	v_dual_mov_b32 v25, v17 :: v_dual_bitop2_b32 v24, 7, v25 bitop3:0x40
	v_lshrrev_b32_e32 v87, 3, v88
	s_mov_b32 s27, exec_lo
	v_cmpx_gt_u32_e32 8, v88
; %bb.784:                              ;   in Loop: Header=BB325_433 Depth=1
	s_delay_alu instid0(VALU_DEP_3) | instskip(NEXT) | instid1(VALU_DEP_1)
	v_clz_i32_u32_e32 v87, v24
	v_min_u32_e32 v87, 32, v87
	s_delay_alu instid0(VALU_DEP_1) | instskip(NEXT) | instid1(VALU_DEP_1)
	v_subrev_nc_u32_e32 v88, 28, v87
	v_lshlrev_b64_e32 v[24:25], v88, v[24:25]
	s_delay_alu instid0(VALU_DEP_1)
	v_dual_sub_nc_u32 v87, 29, v87 :: v_dual_bitop2_b32 v24, 7, v24 bitop3:0x40
; %bb.785:                              ;   in Loop: Header=BB325_433 Depth=1
	s_or_b32 exec_lo, exec_lo, s27
	v_lshlrev_b32_e32 v16, 16, v16
	s_delay_alu instid0(VALU_DEP_2) | instskip(NEXT) | instid1(VALU_DEP_3)
	v_lshlrev_b32_e32 v24, 20, v24
	v_lshl_add_u32 v25, v87, 23, 0x3c000000
	s_delay_alu instid0(VALU_DEP_3) | instskip(NEXT) | instid1(VALU_DEP_1)
	v_and_b32_e32 v16, 0x80000000, v16
	v_or3_b32 v24, v24, v16, v25
.LBB325_786:                            ;   in Loop: Header=BB325_433 Depth=1
	s_or_b32 exec_lo, exec_lo, s25
.LBB325_787:                            ;   in Loop: Header=BB325_433 Depth=1
	s_delay_alu instid0(SALU_CYCLE_1)
	s_or_b32 exec_lo, exec_lo, s24
.LBB325_788:                            ;   in Loop: Header=BB325_433 Depth=1
	s_delay_alu instid0(SALU_CYCLE_1) | instskip(SKIP_3) | instid1(VALU_DEP_2)
	s_or_b32 exec_lo, exec_lo, s23
	v_dual_mov_b32 v25, 0 :: v_dual_lshrrev_b32 v88, 16, v23
	v_mov_b32_e32 v87, 0
	s_mov_b32 s23, exec_lo
	v_and_b32_e32 v16, 0xff, v88
	s_delay_alu instid0(VALU_DEP_1)
	v_cmpx_ne_u16_e32 0, v16
	s_cbranch_execz .LBB325_796
; %bb.789:                              ;   in Loop: Header=BB325_433 Depth=1
	v_bfrev_b32_e32 v87, 1
	s_mov_b32 s24, exec_lo
	v_cmpx_ne_u16_e32 0x80, v16
	s_cbranch_execz .LBB325_795
; %bb.790:                              ;   in Loop: Header=BB325_433 Depth=1
	v_bfe_u32 v89, v23, 16, 7
	v_mov_b32_e32 v87, 0x7f800001
	s_mov_b32 s25, exec_lo
	s_delay_alu instid0(VALU_DEP_2)
	v_cmpx_ne_u32_e32 0x7f, v89
	s_cbranch_execz .LBB325_794
; %bb.791:                              ;   in Loop: Header=BB325_433 Depth=1
	v_dual_lshrrev_b32 v87, 3, v89 :: v_dual_bitop2_b32 v16, 7, v88 bitop3:0x40
	s_mov_b32 s27, exec_lo
	v_cmpx_gt_u32_e32 8, v89
; %bb.792:                              ;   in Loop: Header=BB325_433 Depth=1
	s_delay_alu instid0(VALU_DEP_2) | instskip(NEXT) | instid1(VALU_DEP_1)
	v_clz_i32_u32_e32 v87, v16
	v_min_u32_e32 v87, 32, v87
	s_delay_alu instid0(VALU_DEP_1) | instskip(NEXT) | instid1(VALU_DEP_1)
	v_subrev_nc_u32_e32 v89, 28, v87
	v_lshlrev_b64_e32 v[90:91], v89, v[16:17]
	s_delay_alu instid0(VALU_DEP_1)
	v_dual_sub_nc_u32 v87, 29, v87 :: v_dual_bitop2_b32 v16, 7, v90 bitop3:0x40
; %bb.793:                              ;   in Loop: Header=BB325_433 Depth=1
	s_or_b32 exec_lo, exec_lo, s27
	v_lshlrev_b32_e32 v88, 24, v88
	s_delay_alu instid0(VALU_DEP_2) | instskip(NEXT) | instid1(VALU_DEP_3)
	v_lshlrev_b32_e32 v16, 20, v16
	v_lshl_add_u32 v87, v87, 23, 0x3c000000
	s_delay_alu instid0(VALU_DEP_3) | instskip(NEXT) | instid1(VALU_DEP_1)
	v_and_b32_e32 v88, 0x80000000, v88
	v_or3_b32 v87, v16, v88, v87
.LBB325_794:                            ;   in Loop: Header=BB325_433 Depth=1
	s_or_b32 exec_lo, exec_lo, s25
.LBB325_795:                            ;   in Loop: Header=BB325_433 Depth=1
	s_delay_alu instid0(SALU_CYCLE_1)
	s_or_b32 exec_lo, exec_lo, s24
.LBB325_796:                            ;   in Loop: Header=BB325_433 Depth=1
	s_delay_alu instid0(SALU_CYCLE_1) | instskip(NEXT) | instid1(SALU_CYCLE_1)
	s_or_b32 exec_lo, exec_lo, s23
	s_mov_b32 s23, exec_lo
	v_cmpx_lt_u64_e64 s[2:3], v[22:23]
	s_cbranch_execz .LBB325_804
; %bb.797:                              ;   in Loop: Header=BB325_433 Depth=1
	v_lshrrev_b32_e32 v22, 24, v23
	v_bfrev_b32_e32 v25, 1
	s_mov_b32 s24, exec_lo
	s_delay_alu instid0(VALU_DEP_2)
	v_cmpx_ne_u32_e32 0x80, v22
	s_cbranch_execz .LBB325_803
; %bb.798:                              ;   in Loop: Header=BB325_433 Depth=1
	v_bfe_u32 v88, v23, 24, 7
	v_mov_b32_e32 v25, 0x7f800001
	s_mov_b32 s25, exec_lo
	s_delay_alu instid0(VALU_DEP_2)
	v_cmpx_ne_u32_e32 0x7f, v88
	s_cbranch_execz .LBB325_802
; %bb.799:                              ;   in Loop: Header=BB325_433 Depth=1
	v_dual_lshrrev_b32 v23, 3, v88 :: v_dual_bitop2_b32 v16, 7, v22 bitop3:0x40
	s_mov_b32 s27, exec_lo
	v_cmpx_gt_u32_e32 8, v88
; %bb.800:                              ;   in Loop: Header=BB325_433 Depth=1
	s_delay_alu instid0(VALU_DEP_2) | instskip(NEXT) | instid1(VALU_DEP_1)
	v_clz_i32_u32_e32 v23, v16
	v_min_u32_e32 v23, 32, v23
	s_delay_alu instid0(VALU_DEP_1) | instskip(NEXT) | instid1(VALU_DEP_1)
	v_subrev_nc_u32_e32 v25, 28, v23
	v_lshlrev_b64_e32 v[88:89], v25, v[16:17]
	s_delay_alu instid0(VALU_DEP_1)
	v_dual_sub_nc_u32 v23, 29, v23 :: v_dual_bitop2_b32 v16, 7, v88 bitop3:0x40
; %bb.801:                              ;   in Loop: Header=BB325_433 Depth=1
	s_or_b32 exec_lo, exec_lo, s27
	s_delay_alu instid0(VALU_DEP_1) | instskip(NEXT) | instid1(VALU_DEP_2)
	v_dual_lshlrev_b32 v22, 24, v22 :: v_dual_lshlrev_b32 v16, 20, v16
	v_lshl_add_u32 v23, v23, 23, 0x3c000000
	s_delay_alu instid0(VALU_DEP_2) | instskip(NEXT) | instid1(VALU_DEP_1)
	v_and_b32_e32 v22, 0x80000000, v22
	v_or3_b32 v25, v16, v22, v23
.LBB325_802:                            ;   in Loop: Header=BB325_433 Depth=1
	s_or_b32 exec_lo, exec_lo, s25
.LBB325_803:                            ;   in Loop: Header=BB325_433 Depth=1
	s_delay_alu instid0(SALU_CYCLE_1)
	s_or_b32 exec_lo, exec_lo, s24
.LBB325_804:                            ;   in Loop: Header=BB325_433 Depth=1
	s_delay_alu instid0(SALU_CYCLE_1)
	s_or_b32 exec_lo, exec_lo, s23
	v_fma_mixlo_bf16 v16, s22, v24, 0
	v_fma_mixlo_bf16 v22, s22, v86, 0
	;; [unrolled: 1-line block ×8, first 2 shown]
	s_and_saveexec_b32 s0, vcc_lo
	s_cbranch_execz .LBB325_431
; %bb.805:                              ;   in Loop: Header=BB325_433 Depth=1
	v_cmp_gt_i32_e32 vcc_lo, s34, v44
	v_cndmask_b32_e32 v82, 0, v82, vcc_lo
	v_cmp_gt_i32_e32 vcc_lo, s34, v51
	v_cndmask_b32_e32 v83, 0, v83, vcc_lo
	;; [unrolled: 2-line block ×8, first 2 shown]
	s_branch .LBB325_431
.LBB325_806:
	s_or_b32 exec_lo, exec_lo, s18
.LBB325_807:
	s_delay_alu instid0(SALU_CYCLE_1)
	s_or_b32 exec_lo, exec_lo, s1
	ds_bpermute_b32 v2, v31, v14
	ds_bpermute_b32 v3, v31, v15
	;; [unrolled: 1-line block ×6, first 2 shown]
	v_and_b32_e32 v9, 0x3c1, v0
	v_lshrrev_b32_e32 v8, 1, v30
	s_mov_b32 s0, exec_lo
	s_wait_dscnt 0x0
	s_barrier_signal -1
	s_barrier_wait -1
	v_pk_add_f32 v[4:5], v[14:15], v[2:3]
	v_pk_add_f32 v[2:3], v[12:13], v[16:17]
	v_cmpx_ne_u32_e32 64, v9
	s_xor_b32 s0, exec_lo, s0
	s_delay_alu instid0(SALU_CYCLE_1)
	s_or_saveexec_b32 s0, s0
	v_pk_add_f32 v[6:7], v[10:11], v[6:7]
	v_lshl_add_u32 v9, v8, 2, 0xe0
	v_mul_u32_u24_e32 v10, 0x180, v39
	s_xor_b32 exec_lo, exec_lo, s0
	s_cbranch_execz .LBB325_809
; %bb.808:
	s_delay_alu instid0(VALU_DEP_1) | instskip(NEXT) | instid1(VALU_DEP_1)
	v_add_nc_u32_e32 v11, v9, v10
	v_add_nc_u32_e32 v12, 0xfffffd00, v11
	;; [unrolled: 1-line block ×7, first 2 shown]
	ds_store_b32 v12, v4
	ds_store_b32 v13, v5
	;; [unrolled: 1-line block ×6, first 2 shown]
.LBB325_809:
	s_or_b32 exec_lo, exec_lo, s0
	v_lshlrev_b32_e32 v8, 2, v8
	s_mov_b32 s1, exec_lo
	v_cmp_eq_u32_e32 vcc_lo, 0, v38
	s_wait_dscnt 0x0
	s_barrier_signal -1
	v_add3_u32 v8, 0xe0, v10, v8
	s_barrier_wait -1
	v_cmpx_gt_u32_e32 64, v0
	s_cbranch_execz .LBB325_818
; %bb.810:
	s_and_saveexec_b32 s0, vcc_lo
	s_cbranch_execnz .LBB325_832
; %bb.811:
	s_or_b32 exec_lo, exec_lo, s0
	s_and_saveexec_b32 s0, vcc_lo
	s_cbranch_execnz .LBB325_833
.LBB325_812:
	s_or_b32 exec_lo, exec_lo, s0
	s_and_saveexec_b32 s0, vcc_lo
	s_cbranch_execnz .LBB325_834
.LBB325_813:
	s_or_b32 exec_lo, exec_lo, s0
	s_and_saveexec_b32 s0, vcc_lo
	s_cbranch_execnz .LBB325_835
.LBB325_814:
	s_or_b32 exec_lo, exec_lo, s0
	s_and_saveexec_b32 s0, vcc_lo
	s_cbranch_execnz .LBB325_836
.LBB325_815:
	s_or_b32 exec_lo, exec_lo, s0
	s_and_saveexec_b32 s0, vcc_lo
	s_cbranch_execz .LBB325_817
.LBB325_816:
	ds_load_b32 v10, v8 offset:320
	s_wait_dscnt 0x0
	v_add_f32_e32 v7, v7, v10
.LBB325_817:
	s_or_b32 exec_lo, exec_lo, s0
.LBB325_818:
	s_delay_alu instid0(SALU_CYCLE_1) | instskip(SKIP_4) | instid1(VALU_DEP_1)
	s_or_b32 exec_lo, exec_lo, s1
	v_and_b32_e32 v10, 0x3e1, v0
	s_mov_b32 s1, exec_lo
	s_barrier_signal -1
	s_barrier_wait -1
	v_cmpx_eq_u32_e32 32, v10
	s_cbranch_execz .LBB325_820
; %bb.819:
	ds_store_2addr_b32 v9, v4, v5 offset1:16
	ds_store_2addr_b32 v9, v2, v3 offset0:32 offset1:48
	ds_store_2addr_b32 v9, v6, v7 offset0:64 offset1:80
.LBB325_820:
	s_or_b32 exec_lo, exec_lo, s1
	s_delay_alu instid0(SALU_CYCLE_1)
	s_mov_b32 s1, exec_lo
	s_wait_dscnt 0x0
	s_barrier_signal -1
	s_barrier_wait -1
	v_cmpx_gt_u32_e32 32, v0
	s_cbranch_execz .LBB325_829
; %bb.821:
	s_and_saveexec_b32 s0, vcc_lo
	s_cbranch_execnz .LBB325_837
; %bb.822:
	s_or_b32 exec_lo, exec_lo, s0
	s_and_saveexec_b32 s0, vcc_lo
	s_cbranch_execnz .LBB325_838
.LBB325_823:
	s_or_b32 exec_lo, exec_lo, s0
	s_and_saveexec_b32 s0, vcc_lo
	s_cbranch_execnz .LBB325_839
.LBB325_824:
	s_or_b32 exec_lo, exec_lo, s0
	s_and_saveexec_b32 s0, vcc_lo
	s_cbranch_execnz .LBB325_840
.LBB325_825:
	s_or_b32 exec_lo, exec_lo, s0
	s_and_saveexec_b32 s0, vcc_lo
	s_cbranch_execnz .LBB325_841
.LBB325_826:
	s_or_b32 exec_lo, exec_lo, s0
	s_and_saveexec_b32 s0, vcc_lo
	s_cbranch_execz .LBB325_828
.LBB325_827:
	ds_load_b32 v0, v8 offset:320
	s_wait_dscnt 0x0
	v_add_f32_e32 v7, v7, v0
.LBB325_828:
	s_or_b32 exec_lo, exec_lo, s0
.LBB325_829:
	s_delay_alu instid0(SALU_CYCLE_1)
	s_or_b32 exec_lo, exec_lo, s1
	s_mov_b32 s1, 0
	s_barrier_signal -1
	s_barrier_wait -1
	s_mov_b32 s0, exec_lo
	v_cmpx_eq_u32_e32 0, v10
	s_cbranch_execz .LBB325_831
; %bb.830:
	s_mul_i32 s0, s33, s7
	s_mul_i32 s2, s7, s6
	s_mul_i32 s0, s0, s31
	s_wait_kmcnt 0x0
	s_lshr_b32 s8, ttmp7, 16
	s_mul_i32 s6, s0, 0x60
	s_bfe_u32 s0, ttmp6, 0x40014
	s_ashr_i32 s7, s6, 31
	s_add_co_i32 s0, s0, 1
	s_ashr_i32 s3, s2, 31
	s_mul_i32 s0, s8, s0
	s_bfe_u32 s9, ttmp6, 0x40008
	s_lshl_b64 s[6:7], s[6:7], 1
	s_lshl_b64 s[2:3], s[2:3], 1
	s_add_co_i32 s9, s9, s0
	s_cmp_eq_u32 s30, 0
	s_add_nc_u64 s[4:5], s[4:5], s[6:7]
	s_cselect_b32 s0, s8, s9
	s_add_nc_u64 s[2:3], s[4:5], s[2:3]
	s_mulk_i32 s0, 0xc0
	s_delay_alu instid0(SALU_CYCLE_1) | instskip(NEXT) | instid1(SALU_CYCLE_1)
	s_add_nc_u64 s[0:1], s[2:3], s[0:1]
	v_cvt_pk_bf16_f32 v0, v4, s0
	v_cvt_pk_bf16_f32 v4, v5, s0
	;; [unrolled: 1-line block ×6, first 2 shown]
	s_clause 0x5
	global_store_b16 v1, v0, s[0:1] scale_offset
	global_store_b16 v1, v4, s[0:1] offset:32 scale_offset
	global_store_b16 v1, v2, s[0:1] offset:64 scale_offset
	;; [unrolled: 1-line block ×5, first 2 shown]
.LBB325_831:
	s_sendmsg sendmsg(MSG_DEALLOC_VGPRS)
	s_endpgm
.LBB325_832:
	ds_load_b32 v10, v8
	s_wait_dscnt 0x0
	v_add_f32_e32 v4, v4, v10
	s_or_b32 exec_lo, exec_lo, s0
	s_and_saveexec_b32 s0, vcc_lo
	s_cbranch_execz .LBB325_812
.LBB325_833:
	ds_load_b32 v10, v8 offset:64
	s_wait_dscnt 0x0
	v_add_f32_e32 v5, v5, v10
	s_or_b32 exec_lo, exec_lo, s0
	s_and_saveexec_b32 s0, vcc_lo
	s_cbranch_execz .LBB325_813
.LBB325_834:
	ds_load_b32 v10, v8 offset:128
	s_wait_dscnt 0x0
	v_add_f32_e32 v2, v2, v10
	s_or_b32 exec_lo, exec_lo, s0
	s_and_saveexec_b32 s0, vcc_lo
	s_cbranch_execz .LBB325_814
.LBB325_835:
	ds_load_b32 v10, v8 offset:192
	s_wait_dscnt 0x0
	v_add_f32_e32 v3, v3, v10
	s_or_b32 exec_lo, exec_lo, s0
	s_and_saveexec_b32 s0, vcc_lo
	s_cbranch_execz .LBB325_815
.LBB325_836:
	ds_load_b32 v10, v8 offset:256
	s_wait_dscnt 0x0
	v_add_f32_e32 v6, v6, v10
	s_or_b32 exec_lo, exec_lo, s0
	s_and_saveexec_b32 s0, vcc_lo
	s_cbranch_execnz .LBB325_816
	s_branch .LBB325_817
.LBB325_837:
	ds_load_b32 v0, v8
	s_wait_dscnt 0x0
	v_add_f32_e32 v4, v4, v0
	s_or_b32 exec_lo, exec_lo, s0
	s_and_saveexec_b32 s0, vcc_lo
	s_cbranch_execz .LBB325_823
.LBB325_838:
	ds_load_b32 v0, v8 offset:64
	s_wait_dscnt 0x0
	v_add_f32_e32 v5, v5, v0
	s_or_b32 exec_lo, exec_lo, s0
	s_and_saveexec_b32 s0, vcc_lo
	s_cbranch_execz .LBB325_824
.LBB325_839:
	ds_load_b32 v0, v8 offset:128
	s_wait_dscnt 0x0
	v_add_f32_e32 v2, v2, v0
	s_or_b32 exec_lo, exec_lo, s0
	s_and_saveexec_b32 s0, vcc_lo
	s_cbranch_execz .LBB325_825
.LBB325_840:
	ds_load_b32 v0, v8 offset:192
	s_wait_dscnt 0x0
	v_add_f32_e32 v3, v3, v0
	s_or_b32 exec_lo, exec_lo, s0
	s_and_saveexec_b32 s0, vcc_lo
	s_cbranch_execz .LBB325_826
.LBB325_841:
	ds_load_b32 v0, v8 offset:256
	s_wait_dscnt 0x0
	v_add_f32_e32 v6, v6, v0
	s_or_b32 exec_lo, exec_lo, s0
	s_and_saveexec_b32 s0, vcc_lo
	s_cbranch_execnz .LBB325_827
	s_branch .LBB325_828
	.section	.rodata,"a",@progbits
	.p2align	6, 0x0
	.amdhsa_kernel _ZN4vllm25paged_attention_v1_kernelI14__hip_bfloat16hLi96ELi16ELi128ELNS_18Fp8KVCacheDataTypeE1ELb1EEEvPT_PKS3_PKT0_S9_ifPKiSB_iPKfiiiSD_SD_iiiii
		.amdhsa_group_segment_fixed_size 224
		.amdhsa_private_segment_fixed_size 0
		.amdhsa_kernarg_size 384
		.amdhsa_user_sgpr_count 2
		.amdhsa_user_sgpr_dispatch_ptr 0
		.amdhsa_user_sgpr_queue_ptr 0
		.amdhsa_user_sgpr_kernarg_segment_ptr 1
		.amdhsa_user_sgpr_dispatch_id 0
		.amdhsa_user_sgpr_kernarg_preload_length 0
		.amdhsa_user_sgpr_kernarg_preload_offset 0
		.amdhsa_user_sgpr_private_segment_size 0
		.amdhsa_wavefront_size32 1
		.amdhsa_uses_dynamic_stack 0
		.amdhsa_enable_private_segment 0
		.amdhsa_system_sgpr_workgroup_id_x 1
		.amdhsa_system_sgpr_workgroup_id_y 1
		.amdhsa_system_sgpr_workgroup_id_z 1
		.amdhsa_system_sgpr_workgroup_info 0
		.amdhsa_system_vgpr_workitem_id 0
		.amdhsa_next_free_vgpr 98
		.amdhsa_next_free_sgpr 46
		.amdhsa_named_barrier_count 0
		.amdhsa_reserve_vcc 1
		.amdhsa_float_round_mode_32 0
		.amdhsa_float_round_mode_16_64 0
		.amdhsa_float_denorm_mode_32 3
		.amdhsa_float_denorm_mode_16_64 3
		.amdhsa_fp16_overflow 0
		.amdhsa_memory_ordered 1
		.amdhsa_forward_progress 1
		.amdhsa_inst_pref_size 228
		.amdhsa_round_robin_scheduling 0
		.amdhsa_exception_fp_ieee_invalid_op 0
		.amdhsa_exception_fp_denorm_src 0
		.amdhsa_exception_fp_ieee_div_zero 0
		.amdhsa_exception_fp_ieee_overflow 0
		.amdhsa_exception_fp_ieee_underflow 0
		.amdhsa_exception_fp_ieee_inexact 0
		.amdhsa_exception_int_div_zero 0
	.end_amdhsa_kernel
	.section	.text._ZN4vllm25paged_attention_v1_kernelI14__hip_bfloat16hLi96ELi16ELi128ELNS_18Fp8KVCacheDataTypeE1ELb1EEEvPT_PKS3_PKT0_S9_ifPKiSB_iPKfiiiSD_SD_iiiii,"axG",@progbits,_ZN4vllm25paged_attention_v1_kernelI14__hip_bfloat16hLi96ELi16ELi128ELNS_18Fp8KVCacheDataTypeE1ELb1EEEvPT_PKS3_PKT0_S9_ifPKiSB_iPKfiiiSD_SD_iiiii,comdat
.Lfunc_end325:
	.size	_ZN4vllm25paged_attention_v1_kernelI14__hip_bfloat16hLi96ELi16ELi128ELNS_18Fp8KVCacheDataTypeE1ELb1EEEvPT_PKS3_PKT0_S9_ifPKiSB_iPKfiiiSD_SD_iiiii, .Lfunc_end325-_ZN4vllm25paged_attention_v1_kernelI14__hip_bfloat16hLi96ELi16ELi128ELNS_18Fp8KVCacheDataTypeE1ELb1EEEvPT_PKS3_PKT0_S9_ifPKiSB_iPKfiiiSD_SD_iiiii
                                        ; -- End function
	.set _ZN4vllm25paged_attention_v1_kernelI14__hip_bfloat16hLi96ELi16ELi128ELNS_18Fp8KVCacheDataTypeE1ELb1EEEvPT_PKS3_PKT0_S9_ifPKiSB_iPKfiiiSD_SD_iiiii.num_vgpr, 98
	.set _ZN4vllm25paged_attention_v1_kernelI14__hip_bfloat16hLi96ELi16ELi128ELNS_18Fp8KVCacheDataTypeE1ELb1EEEvPT_PKS3_PKT0_S9_ifPKiSB_iPKfiiiSD_SD_iiiii.num_agpr, 0
	.set _ZN4vllm25paged_attention_v1_kernelI14__hip_bfloat16hLi96ELi16ELi128ELNS_18Fp8KVCacheDataTypeE1ELb1EEEvPT_PKS3_PKT0_S9_ifPKiSB_iPKfiiiSD_SD_iiiii.numbered_sgpr, 46
	.set _ZN4vllm25paged_attention_v1_kernelI14__hip_bfloat16hLi96ELi16ELi128ELNS_18Fp8KVCacheDataTypeE1ELb1EEEvPT_PKS3_PKT0_S9_ifPKiSB_iPKfiiiSD_SD_iiiii.num_named_barrier, 0
	.set _ZN4vllm25paged_attention_v1_kernelI14__hip_bfloat16hLi96ELi16ELi128ELNS_18Fp8KVCacheDataTypeE1ELb1EEEvPT_PKS3_PKT0_S9_ifPKiSB_iPKfiiiSD_SD_iiiii.private_seg_size, 0
	.set _ZN4vllm25paged_attention_v1_kernelI14__hip_bfloat16hLi96ELi16ELi128ELNS_18Fp8KVCacheDataTypeE1ELb1EEEvPT_PKS3_PKT0_S9_ifPKiSB_iPKfiiiSD_SD_iiiii.uses_vcc, 1
	.set _ZN4vllm25paged_attention_v1_kernelI14__hip_bfloat16hLi96ELi16ELi128ELNS_18Fp8KVCacheDataTypeE1ELb1EEEvPT_PKS3_PKT0_S9_ifPKiSB_iPKfiiiSD_SD_iiiii.uses_flat_scratch, 0
	.set _ZN4vllm25paged_attention_v1_kernelI14__hip_bfloat16hLi96ELi16ELi128ELNS_18Fp8KVCacheDataTypeE1ELb1EEEvPT_PKS3_PKT0_S9_ifPKiSB_iPKfiiiSD_SD_iiiii.has_dyn_sized_stack, 0
	.set _ZN4vllm25paged_attention_v1_kernelI14__hip_bfloat16hLi96ELi16ELi128ELNS_18Fp8KVCacheDataTypeE1ELb1EEEvPT_PKS3_PKT0_S9_ifPKiSB_iPKfiiiSD_SD_iiiii.has_recursion, 0
	.set _ZN4vllm25paged_attention_v1_kernelI14__hip_bfloat16hLi96ELi16ELi128ELNS_18Fp8KVCacheDataTypeE1ELb1EEEvPT_PKS3_PKT0_S9_ifPKiSB_iPKfiiiSD_SD_iiiii.has_indirect_call, 0
	.section	.AMDGPU.csdata,"",@progbits
; Kernel info:
; codeLenInByte = 29072
; TotalNumSgprs: 48
; NumVgprs: 98
; ScratchSize: 0
; MemoryBound: 0
; FloatMode: 240
; IeeeMode: 1
; LDSByteSize: 224 bytes/workgroup (compile time only)
; SGPRBlocks: 0
; VGPRBlocks: 6
; NumSGPRsForWavesPerEU: 48
; NumVGPRsForWavesPerEU: 98
; NamedBarCnt: 0
; Occupancy: 9
; WaveLimiterHint : 1
; COMPUTE_PGM_RSRC2:SCRATCH_EN: 0
; COMPUTE_PGM_RSRC2:USER_SGPR: 2
; COMPUTE_PGM_RSRC2:TRAP_HANDLER: 0
; COMPUTE_PGM_RSRC2:TGID_X_EN: 1
; COMPUTE_PGM_RSRC2:TGID_Y_EN: 1
; COMPUTE_PGM_RSRC2:TGID_Z_EN: 1
; COMPUTE_PGM_RSRC2:TIDIG_COMP_CNT: 0
	.section	.text._ZN4vllm25paged_attention_v1_kernelI14__hip_bfloat16hLi112ELi16ELi128ELNS_18Fp8KVCacheDataTypeE1ELb1EEEvPT_PKS3_PKT0_S9_ifPKiSB_iPKfiiiSD_SD_iiiii,"axG",@progbits,_ZN4vllm25paged_attention_v1_kernelI14__hip_bfloat16hLi112ELi16ELi128ELNS_18Fp8KVCacheDataTypeE1ELb1EEEvPT_PKS3_PKT0_S9_ifPKiSB_iPKfiiiSD_SD_iiiii,comdat
	.protected	_ZN4vllm25paged_attention_v1_kernelI14__hip_bfloat16hLi112ELi16ELi128ELNS_18Fp8KVCacheDataTypeE1ELb1EEEvPT_PKS3_PKT0_S9_ifPKiSB_iPKfiiiSD_SD_iiiii ; -- Begin function _ZN4vllm25paged_attention_v1_kernelI14__hip_bfloat16hLi112ELi16ELi128ELNS_18Fp8KVCacheDataTypeE1ELb1EEEvPT_PKS3_PKT0_S9_ifPKiSB_iPKfiiiSD_SD_iiiii
	.globl	_ZN4vllm25paged_attention_v1_kernelI14__hip_bfloat16hLi112ELi16ELi128ELNS_18Fp8KVCacheDataTypeE1ELb1EEEvPT_PKS3_PKT0_S9_ifPKiSB_iPKfiiiSD_SD_iiiii
	.p2align	8
	.type	_ZN4vllm25paged_attention_v1_kernelI14__hip_bfloat16hLi112ELi16ELi128ELNS_18Fp8KVCacheDataTypeE1ELb1EEEvPT_PKS3_PKT0_S9_ifPKiSB_iPKfiiiSD_SD_iiiii,@function
_ZN4vllm25paged_attention_v1_kernelI14__hip_bfloat16hLi112ELi16ELi128ELNS_18Fp8KVCacheDataTypeE1ELb1EEEvPT_PKS3_PKT0_S9_ifPKiSB_iPKfiiiSD_SD_iiiii: ; @_ZN4vllm25paged_attention_v1_kernelI14__hip_bfloat16hLi112ELi16ELi128ELNS_18Fp8KVCacheDataTypeE1ELb1EEEvPT_PKS3_PKT0_S9_ifPKiSB_iPKfiiiSD_SD_iiiii
; %bb.0:
	s_load_b64 s[26:27], s[0:1], 0x20
	s_bfe_u32 s3, ttmp6, 0x4000c
	s_bfe_u32 s4, ttmp6, 0x40010
	s_and_b32 s6, ttmp7, 0xffff
	s_add_co_i32 s3, s3, 1
	s_add_co_i32 s4, s4, 1
	s_and_b32 s2, ttmp6, 15
	s_bfe_u32 s5, ttmp6, 0x40004
	s_mul_i32 s3, ttmp9, s3
	s_mul_i32 s4, s6, s4
	s_getreg_b32 s30, hwreg(HW_REG_IB_STS2, 6, 4)
	s_add_co_i32 s2, s2, s3
	s_add_co_i32 s3, s5, s4
	s_cmp_eq_u32 s30, 0
	s_clause 0x1
	s_load_b32 s31, s[0:1], 0x80
	s_load_b64 s[4:5], s[0:1], 0x30
	s_cselect_b32 s33, s6, s3
	s_cselect_b32 s2, ttmp9, s2
	s_wait_kmcnt 0x0
	s_abs_i32 s3, s26
	s_delay_alu instid0(SALU_CYCLE_1) | instskip(SKIP_1) | instid1(SALU_CYCLE_2)
	s_cvt_f32_u32 s6, s3
	s_sub_co_i32 s7, 0, s3
	v_rcp_iflag_f32_e32 v1, s6
	s_abs_i32 s8, s31
	v_nop
	s_delay_alu instid0(TRANS32_DEP_1) | instskip(SKIP_1) | instid1(SALU_CYCLE_3)
	v_readfirstlane_b32 s6, v1
	s_mul_f32 s6, s6, 0x4f7ffffe
	s_cvt_u32_f32 s6, s6
	s_delay_alu instid0(SALU_CYCLE_3) | instskip(NEXT) | instid1(SALU_CYCLE_1)
	s_mul_i32 s7, s7, s6
	s_mul_hi_u32 s7, s6, s7
	s_delay_alu instid0(SALU_CYCLE_1) | instskip(SKIP_4) | instid1(SALU_CYCLE_1)
	s_add_co_i32 s6, s6, s7
	s_xor_b32 s7, s31, s26
	s_mul_hi_u32 s6, s8, s6
	s_ashr_i32 s7, s7, 31
	s_mul_i32 s9, s6, s3
	s_sub_co_i32 s8, s8, s9
	s_add_co_i32 s9, s6, 1
	s_sub_co_i32 s10, s8, s3
	s_cmp_ge_u32 s8, s3
	s_cselect_b32 s6, s9, s6
	s_cselect_b32 s8, s10, s8
	s_add_co_i32 s9, s6, 1
	s_cmp_ge_u32 s8, s3
	s_load_b64 s[10:11], s[0:1], 0x40
	s_cselect_b32 s3, s9, s6
	s_mov_b32 s9, 0
	s_xor_b32 s3, s3, s7
	s_abs_i32 s8, s2
	s_sub_co_i32 s12, s3, s7
	s_mov_b32 s7, s9
	s_abs_i32 s19, s12
	s_mov_b32 s36, s9
	s_cvt_f32_u32 s3, s19
	s_sub_co_i32 s6, 0, s19
	s_delay_alu instid0(SALU_CYCLE_2) | instskip(SKIP_1) | instid1(TRANS32_DEP_1)
	v_rcp_iflag_f32_e32 v1, s3
	v_nop
	v_readfirstlane_b32 s3, v1
	s_mul_f32 s3, s3, 0x4f7ffffe
	s_delay_alu instid0(SALU_CYCLE_3) | instskip(NEXT) | instid1(SALU_CYCLE_3)
	s_cvt_u32_f32 s3, s3
	s_mul_i32 s6, s6, s3
	s_delay_alu instid0(SALU_CYCLE_1) | instskip(NEXT) | instid1(SALU_CYCLE_1)
	s_mul_hi_u32 s6, s3, s6
	s_add_co_i32 s6, s3, s6
	s_wait_kmcnt 0x0
	s_cmp_eq_u64 s[10:11], 0
	s_cbranch_scc1 .LBB326_2
; %bb.1:
	s_ashr_i32 s3, s2, 31
	s_delay_alu instid0(SALU_CYCLE_1) | instskip(NEXT) | instid1(SALU_CYCLE_1)
	s_lshl_b64 s[14:15], s[2:3], 2
	s_add_nc_u64 s[10:11], s[10:11], s[14:15]
	s_load_b32 s36, s[10:11], 0x0
.LBB326_2:
	s_load_b32 s34, s[4:5], s33 offset:0x0 scale_offset
	s_load_b96 s[16:18], s[0:1], 0x48
	v_dual_lshrrev_b32 v1, 1, v0 :: v_dual_bitop2_b32 v38, 1, v0 bitop3:0x40
	s_wait_xcnt 0x0
	s_mul_u64 s[4:5], s[8:9], s[6:7]
	s_ashr_i32 s3, s2, 31
	s_ashr_i32 s10, s12, 31
	s_mul_i32 s6, s2, 0x70
	s_mov_b32 s4, exec_lo
	v_cmpx_gt_u32_e32 28, v0
	s_cbranch_execz .LBB326_4
; %bb.3:
	s_load_b64 s[12:13], s[0:1], 0x8
	s_wait_kmcnt 0x0
	s_mul_i32 s14, s16, s33
	s_ashr_i32 s7, s6, 31
	s_ashr_i32 s15, s14, 31
	v_lshlrev_b32_e32 v4, 3, v1
	s_lshl_b64 s[14:15], s[14:15], 1
	s_delay_alu instid0(VALU_DEP_1) | instskip(SKIP_2) | instid1(SALU_CYCLE_1)
	v_mad_u32_u24 v4, 0x70, v38, v4
	s_add_nc_u64 s[12:13], s[12:13], s[14:15]
	s_lshl_b64 s[14:15], s[6:7], 1
	s_add_nc_u64 s[12:13], s[12:13], s[14:15]
	global_load_b64 v[2:3], v0, s[12:13] scale_offset
	s_wait_loadcnt 0x0
	ds_store_b64 v4, v[2:3]
.LBB326_4:
	s_or_b32 exec_lo, exec_lo, s4
	s_load_b128 s[12:15], s[0:1], 0x68
	s_mul_i32 s4, s5, s19
	s_xor_b32 s3, s3, s10
	s_sub_co_i32 s4, s8, s4
	s_add_co_i32 s7, s5, 1
	s_sub_co_i32 s8, s4, s19
	s_cmp_ge_u32 s4, s19
	s_mov_b32 s9, -1
	s_cselect_b32 s5, s7, s5
	s_cselect_b32 s4, s8, s4
	s_add_co_i32 s8, s5, 1
	s_cmp_ge_u32 s4, s19
	s_load_b32 s7, s[0:1], 0x78
	s_cselect_b32 s4, s8, s5
	s_wait_kmcnt 0x0
	s_add_co_i32 s8, s34, -1
	s_xor_b32 s4, s4, s3
	s_wait_dscnt 0x0
	s_sub_co_i32 s3, s4, s3
	s_barrier_signal -1
	s_barrier_wait -1
	s_abs_i32 s16, s15
	s_delay_alu instid0(SALU_CYCLE_1) | instskip(NEXT) | instid1(SALU_CYCLE_3)
	s_cvt_f32_u32 s5, s16
                                        ; implicit-def: $sgpr35
	v_rcp_iflag_f32_e32 v2, s5
	v_nop
	s_delay_alu instid0(TRANS32_DEP_1) | instskip(SKIP_1) | instid1(SALU_CYCLE_3)
	v_readfirstlane_b32 s5, v2
	s_mul_f32 s4, s5, 0x4f7ffffe
	s_cvt_u32_f32 s10, s4
	s_sub_co_i32 s4, 0, s16
	s_delay_alu instid0(SALU_CYCLE_2)
	s_mul_i32 s5, s4, s10
	s_abs_i32 s4, s8
	s_mul_hi_u32 s11, s10, s5
	s_mov_b32 s5, 0
	s_add_co_i32 s20, s10, s11
	s_cmp_lt_i32 s7, 0
	s_mov_b32 s21, s5
	s_cbranch_scc0 .LBB326_6
; %bb.5:
	s_mul_i32 s9, s12, s26
	s_delay_alu instid0(SALU_CYCLE_1) | instskip(NEXT) | instid1(SALU_CYCLE_1)
	s_add_co_i32 s9, s3, s9
	s_mul_i32 s9, s9, s7
	s_delay_alu instid0(SALU_CYCLE_1)
	s_sub_co_i32 s35, 1, s9
	s_mov_b32 s9, s5
.LBB326_6:
	s_ashr_i32 s8, s8, 31
	s_ashr_i32 s15, s15, 31
	s_and_not1_b32 vcc_lo, exec_lo, s9
	s_mul_u64 s[28:29], s[4:5], s[20:21]
	s_cbranch_vccnz .LBB326_8
; %bb.7:
	s_mul_i32 s5, s31, s12
	s_delay_alu instid0(SALU_CYCLE_1) | instskip(NEXT) | instid1(SALU_CYCLE_1)
	s_add_co_i32 s2, s5, s2
	s_mul_i32 s2, s2, s7
	s_delay_alu instid0(SALU_CYCLE_1)
	s_add_co_i32 s35, s2, 1
.LBB326_8:
	s_clause 0x1
	s_load_b32 s2, s[0:1], 0x38
	s_load_b64 s[22:23], s[0:1], 0x28
	s_mul_i32 s7, s29, s16
	s_xor_b32 s5, s8, s15
	s_sub_co_i32 s4, s4, s7
	s_add_co_i32 s12, s29, 1
	s_clause 0x1
	s_load_b32 s7, s[0:1], 0x88
	s_load_b128 s[8:11], s[0:1], 0x58
	v_dual_lshrrev_b32 v39, 5, v0 :: v_dual_lshrrev_b32 v27, 3, v0
	v_mov_b32_e32 v43, 0xff7fffff
	v_mbcnt_lo_u32_b32 v40, -1, 0
	s_mul_i32 s18, s3, s18
	s_delay_alu instid0(VALU_DEP_3)
	v_lshlrev_b32_e32 v26, 4, v39
	s_wait_kmcnt 0x0
	s_mul_i32 s24, s2, s33
	s_sub_co_i32 s2, s4, s16
	s_ashr_i32 s25, s24, 31
	s_cmp_ge_u32 s4, s16
	s_cselect_b32 s12, s12, s29
	s_cselect_b32 s2, s2, s4
	s_add_co_i32 s4, s12, 1
	s_cmp_ge_u32 s2, s16
	s_cselect_b32 s2, s4, s12
	s_add_co_i32 s4, s34, 15
	s_delay_alu instid0(SALU_CYCLE_1) | instskip(NEXT) | instid1(SALU_CYCLE_1)
	s_ashr_i32 s12, s4, 31
	s_lshr_b32 s12, s12, 28
	s_delay_alu instid0(SALU_CYCLE_1) | instskip(NEXT) | instid1(SALU_CYCLE_1)
	s_add_co_i32 s4, s4, s12
	s_ashr_i32 s12, s4, 4
	s_xor_b32 s4, s2, s5
	v_cmp_gt_i32_e64 s2, s12, v39
	s_sub_co_i32 s26, s4, s5
	s_and_saveexec_b32 s37, s2
	s_cbranch_execz .LBB326_468
; %bb.9:
	s_load_b64 s[4:5], s[0:1], 0x10
	s_sub_co_i32 s38, s26, s13
	s_ashr_i32 s19, s18, 31
	s_cmp_neq_f32 s36, 0
	v_bfe_u32 v41, v0, 1, 4
	v_dual_mov_b32 v29, 0 :: v_dual_lshlrev_b32 v30, 4, v39
	s_cselect_b32 vcc_lo, -1, 0
	s_abs_i32 s39, s14
	s_delay_alu instid0(VALU_DEP_2)
	v_dual_lshlrev_b32 v28, 4, v41 :: v_dual_lshlrev_b32 v5, 2, v41
	s_cvt_f32_u32 s28, s39
	v_subrev_nc_u32_e32 v4, s34, v41
	s_lshl_b64 s[40:41], s[24:25], 2
	v_cmp_eq_u32_e64 s3, 0, v38
	v_rcp_iflag_f32_e32 v2, s28
	v_lshl_or_b32 v5, v39, 6, v5
	v_mul_u32_u24_e32 v42, 0x70, v38
	v_dual_mov_b32 v46, 0xff7fffff :: v_dual_mov_b32 v43, 0xff7fffff
	s_wait_kmcnt 0x0
	s_add_nc_u64 s[4:5], s[4:5], s[18:19]
	v_add_nc_u32_e32 v45, 0x100, v5
	v_readfirstlane_b32 s28, v2
	v_add_nc_u64_e32 v[2:3], s[4:5], v[28:29]
	v_dual_lshlrev_b32 v28, 2, v38 :: v_dual_add_nc_u32 v44, 1, v4
	s_add_nc_u64 s[4:5], s[22:23], s[40:41]
	s_mul_f32 s19, s28, 0x4f7ffffe
	s_sub_co_i32 s28, 0, s39
	v_mov_b32_e32 v47, v39
	s_delay_alu instid0(VALU_DEP_3) | instskip(SKIP_4) | instid1(VALU_DEP_1)
	v_add_nc_u64_e32 v[32:33], v[2:3], v[28:29]
	v_and_b32_e32 v28, 0x7c, v27
	s_cvt_u32_f32 s40, s19
	s_mov_b32 s29, 0
	s_mov_b32 s19, s17
	v_add_nc_u64_e32 v[34:35], s[4:5], v[28:29]
	s_mul_i32 s28, s28, s40
	s_delay_alu instid0(SALU_CYCLE_1) | instskip(NEXT) | instid1(SALU_CYCLE_1)
	s_mul_hi_u32 s28, s40, s28
	s_add_co_i32 s28, s40, s28
	s_mov_b32 s40, s29
	s_branch .LBB326_12
.LBB326_10:                             ;   in Loop: Header=BB326_12 Depth=1
	s_or_b32 exec_lo, exec_lo, s41
.LBB326_11:                             ;   in Loop: Header=BB326_12 Depth=1
	s_delay_alu instid0(SALU_CYCLE_1) | instskip(SKIP_3) | instid1(VALU_DEP_3)
	s_or_b32 exec_lo, exec_lo, s5
	v_dual_add_nc_u32 v47, 4, v47 :: v_dual_add_nc_u32 v30, 64, v30
	v_add_nc_u64_e32 v[34:35], 16, v[34:35]
	v_add_nc_u32_e32 v45, 0x100, v45
	v_cmp_le_i32_e64 s4, s12, v47
	s_or_b32 s40, s4, s40
	s_delay_alu instid0(SALU_CYCLE_1)
	s_and_not1_b32 exec_lo, exec_lo, s40
	s_cbranch_execz .LBB326_467
.LBB326_12:                             ; =>This Inner Loop Header: Depth=1
	v_mov_b32_e32 v31, v29
	s_wait_dscnt 0x0
	s_delay_alu instid0(VALU_DEP_1) | instskip(NEXT) | instid1(VALU_DEP_1)
	v_mul_u64_e32 v[2:3], s[20:21], v[30:31]
	v_mul_lo_u32 v2, v3, s16
	s_delay_alu instid0(VALU_DEP_1) | instskip(NEXT) | instid1(VALU_DEP_1)
	v_sub_nc_u32_e32 v2, v30, v2
	v_subrev_nc_u32_e32 v5, s16, v2
	v_cmp_le_u32_e64 s4, s16, v2
	s_delay_alu instid0(VALU_DEP_1) | instskip(NEXT) | instid1(VALU_DEP_1)
	v_dual_add_nc_u32 v4, 1, v3 :: v_dual_cndmask_b32 v2, v2, v5, s4
	v_cndmask_b32_e64 v3, v3, v4, s4
	s_delay_alu instid0(VALU_DEP_2) | instskip(NEXT) | instid1(VALU_DEP_2)
	v_cmp_le_u32_e64 s4, s16, v2
	v_add_nc_u32_e32 v4, 1, v3
	s_delay_alu instid0(VALU_DEP_1) | instskip(NEXT) | instid1(VALU_DEP_1)
	v_cndmask_b32_e64 v2, v3, v4, s4
	v_xor_b32_e32 v2, s15, v2
	s_delay_alu instid0(VALU_DEP_1) | instskip(NEXT) | instid1(VALU_DEP_1)
	v_subrev_nc_u32_e32 v4, s15, v2
	v_add_nc_u32_e32 v5, s35, v4
	v_cmp_ge_i32_e64 s5, s38, v4
	s_delay_alu instid0(VALU_DEP_2) | instskip(NEXT) | instid1(VALU_DEP_1)
	v_sub_nc_u32_e32 v2, 0, v5
	v_dual_ashrrev_i32 v5, 31, v5 :: v_dual_max_i32 v28, v5, v2
	s_delay_alu instid0(VALU_DEP_1) | instskip(NEXT) | instid1(VALU_DEP_1)
	v_mul_u64_e32 v[2:3], s[28:29], v[28:29]
	v_mul_lo_u32 v2, v3, s39
	s_delay_alu instid0(VALU_DEP_1) | instskip(NEXT) | instid1(VALU_DEP_1)
	v_sub_nc_u32_e32 v2, v28, v2
	v_subrev_nc_u32_e32 v3, s39, v2
	v_cmp_le_u32_e64 s4, s39, v2
	s_delay_alu instid0(VALU_DEP_1) | instskip(NEXT) | instid1(VALU_DEP_1)
	v_cndmask_b32_e64 v2, v2, v3, s4
	v_subrev_nc_u32_e32 v3, s39, v2
	v_cmp_le_u32_e64 s4, s39, v2
	s_delay_alu instid0(VALU_DEP_1) | instskip(NEXT) | instid1(VALU_DEP_1)
	v_cndmask_b32_e64 v2, v2, v3, s4
	v_xor_b32_e32 v2, v2, v5
	s_delay_alu instid0(VALU_DEP_1) | instskip(NEXT) | instid1(VALU_DEP_1)
	v_sub_nc_u32_e32 v2, v2, v5
	v_cmp_ne_u32_e64 s4, 0, v2
	s_and_b32 s4, s4, s5
	s_delay_alu instid0(SALU_CYCLE_1) | instskip(NEXT) | instid1(SALU_CYCLE_1)
	s_and_saveexec_b32 s5, s4
	s_xor_b32 s4, exec_lo, s5
	s_cbranch_execz .LBB326_16
; %bb.13:                               ;   in Loop: Header=BB326_12 Depth=1
	s_and_saveexec_b32 s5, s3
; %bb.14:                               ;   in Loop: Header=BB326_12 Depth=1
	ds_store_b32 v45, v46
; %bb.15:                               ;   in Loop: Header=BB326_12 Depth=1
	s_or_b32 exec_lo, exec_lo, s5
.LBB326_16:                             ;   in Loop: Header=BB326_12 Depth=1
	s_and_not1_saveexec_b32 s5, s4
	s_cbranch_execz .LBB326_11
; %bb.17:                               ;   in Loop: Header=BB326_12 Depth=1
	global_load_b32 v2, v[34:35], off
	v_dual_mov_b32 v50, 0 :: v_dual_mov_b32 v49, 0
	s_mov_b32 s42, exec_lo
	s_wait_loadcnt 0x0
	v_mad_nc_i64_i32 v[36:37], v2, s19, v[32:33]
	global_load_b32 v53, v[36:37], off
	ds_load_b128 v[22:25], v42
	ds_load_b128 v[18:21], v42 offset:16
	ds_load_b128 v[14:17], v42 offset:32
	;; [unrolled: 1-line block ×5, first 2 shown]
	ds_load_b32 v48, v42 offset:96
	ds_load_u16 v31, v42 offset:100
	s_load_b32 s41, s[8:9], 0x0
	s_wait_loadcnt 0x0
	v_and_b32_e32 v28, 0xff, v53
	s_delay_alu instid0(VALU_DEP_1)
	v_cmpx_ne_u16_e32 0, v28
	s_cbranch_execz .LBB326_25
; %bb.18:                               ;   in Loop: Header=BB326_12 Depth=1
	v_bfrev_b32_e32 v49, 1
	s_mov_b32 s43, exec_lo
	v_cmpx_ne_u16_e32 0x80, v28
	s_cbranch_execz .LBB326_24
; %bb.19:                               ;   in Loop: Header=BB326_12 Depth=1
	v_and_b32_e32 v51, 0x7f, v53
	v_mov_b32_e32 v49, 0x7f800001
	s_mov_b32 s44, exec_lo
	s_delay_alu instid0(VALU_DEP_2)
	v_cmpx_ne_u32_e32 0x7f, v51
	s_cbranch_execz .LBB326_23
; %bb.20:                               ;   in Loop: Header=BB326_12 Depth=1
	v_dual_lshrrev_b32 v49, 3, v51 :: v_dual_bitop2_b32 v28, 7, v53 bitop3:0x40
	s_mov_b32 s45, exec_lo
	v_cmpx_gt_u32_e32 8, v51
; %bb.21:                               ;   in Loop: Header=BB326_12 Depth=1
	s_delay_alu instid0(VALU_DEP_2) | instskip(NEXT) | instid1(VALU_DEP_1)
	v_clz_i32_u32_e32 v49, v28
	v_min_u32_e32 v49, 32, v49
	s_delay_alu instid0(VALU_DEP_1) | instskip(NEXT) | instid1(VALU_DEP_1)
	v_subrev_nc_u32_e32 v51, 28, v49
	v_lshlrev_b64_e32 v[54:55], v51, v[28:29]
	s_delay_alu instid0(VALU_DEP_1)
	v_dual_sub_nc_u32 v49, 29, v49 :: v_dual_bitop2_b32 v28, 7, v54 bitop3:0x40
; %bb.22:                               ;   in Loop: Header=BB326_12 Depth=1
	s_or_b32 exec_lo, exec_lo, s45
	s_delay_alu instid0(VALU_DEP_1) | instskip(NEXT) | instid1(VALU_DEP_2)
	v_dual_lshlrev_b32 v51, 24, v53 :: v_dual_lshlrev_b32 v28, 20, v28
	v_lshl_add_u32 v49, v49, 23, 0x3c000000
	s_delay_alu instid0(VALU_DEP_2) | instskip(NEXT) | instid1(VALU_DEP_1)
	v_and_b32_e32 v51, 0x80000000, v51
	v_or3_b32 v49, v28, v51, v49
.LBB326_23:                             ;   in Loop: Header=BB326_12 Depth=1
	s_or_b32 exec_lo, exec_lo, s44
.LBB326_24:                             ;   in Loop: Header=BB326_12 Depth=1
	s_delay_alu instid0(SALU_CYCLE_1)
	s_or_b32 exec_lo, exec_lo, s43
.LBB326_25:                             ;   in Loop: Header=BB326_12 Depth=1
	s_delay_alu instid0(SALU_CYCLE_1) | instskip(SKIP_2) | instid1(VALU_DEP_1)
	s_or_b32 exec_lo, exec_lo, s42
	v_lshrrev_b16 v28, 8, v53
	s_mov_b32 s42, exec_lo
	v_cmpx_ne_u16_e32 0, v28
	s_cbranch_execz .LBB326_33
; %bb.26:                               ;   in Loop: Header=BB326_12 Depth=1
	v_bfrev_b32_e32 v50, 1
	s_mov_b32 s43, exec_lo
	v_cmpx_ne_u16_e32 0x80, v28
	s_cbranch_execz .LBB326_32
; %bb.27:                               ;   in Loop: Header=BB326_12 Depth=1
	v_and_b32_e32 v28, 0xffff, v28
	v_mov_b32_e32 v50, 0x7f800001
	s_mov_b32 s44, exec_lo
	s_delay_alu instid0(VALU_DEP_2) | instskip(NEXT) | instid1(VALU_DEP_1)
	v_and_b32_e32 v51, 0x7f, v28
	v_cmpx_ne_u32_e32 0x7f, v51
	s_cbranch_execz .LBB326_31
; %bb.28:                               ;   in Loop: Header=BB326_12 Depth=1
	v_dual_lshrrev_b32 v50, 3, v51 :: v_dual_bitop2_b32 v28, 7, v28 bitop3:0x40
	s_mov_b32 s45, exec_lo
	v_cmpx_gt_u32_e32 8, v51
; %bb.29:                               ;   in Loop: Header=BB326_12 Depth=1
	s_delay_alu instid0(VALU_DEP_2) | instskip(NEXT) | instid1(VALU_DEP_1)
	v_clz_i32_u32_e32 v50, v28
	v_min_u32_e32 v50, 32, v50
	s_delay_alu instid0(VALU_DEP_1) | instskip(SKIP_1) | instid1(VALU_DEP_2)
	v_subrev_nc_u32_e32 v51, 28, v50
	v_sub_nc_u32_e32 v50, 29, v50
	v_lshlrev_b64_e32 v[54:55], v51, v[28:29]
	s_delay_alu instid0(VALU_DEP_1)
	v_and_b32_e32 v28, 7, v54
; %bb.30:                               ;   in Loop: Header=BB326_12 Depth=1
	s_or_b32 exec_lo, exec_lo, s45
	s_delay_alu instid0(VALU_DEP_1) | instskip(SKIP_1) | instid1(VALU_DEP_2)
	v_dual_lshlrev_b32 v51, 16, v53 :: v_dual_lshlrev_b32 v28, 20, v28
	v_lshl_add_u32 v50, v50, 23, 0x3c000000
	v_and_b32_e32 v51, 0x80000000, v51
	s_delay_alu instid0(VALU_DEP_1)
	v_or3_b32 v50, v28, v51, v50
.LBB326_31:                             ;   in Loop: Header=BB326_12 Depth=1
	s_or_b32 exec_lo, exec_lo, s44
.LBB326_32:                             ;   in Loop: Header=BB326_12 Depth=1
	s_delay_alu instid0(SALU_CYCLE_1)
	s_or_b32 exec_lo, exec_lo, s43
.LBB326_33:                             ;   in Loop: Header=BB326_12 Depth=1
	s_delay_alu instid0(SALU_CYCLE_1) | instskip(SKIP_3) | instid1(VALU_DEP_2)
	s_or_b32 exec_lo, exec_lo, s42
	v_dual_mov_b32 v51, 0 :: v_dual_lshrrev_b32 v54, 16, v53
	v_mov_b32_e32 v52, 0
	s_mov_b32 s42, exec_lo
	v_and_b32_e32 v28, 0xff, v54
	s_delay_alu instid0(VALU_DEP_1)
	v_cmpx_ne_u16_e32 0, v28
	s_cbranch_execz .LBB326_41
; %bb.34:                               ;   in Loop: Header=BB326_12 Depth=1
	v_bfrev_b32_e32 v52, 1
	s_mov_b32 s43, exec_lo
	v_cmpx_ne_u16_e32 0x80, v28
	s_cbranch_execz .LBB326_40
; %bb.35:                               ;   in Loop: Header=BB326_12 Depth=1
	v_bfe_u32 v55, v53, 16, 7
	v_mov_b32_e32 v52, 0x7f800001
	s_mov_b32 s44, exec_lo
	s_delay_alu instid0(VALU_DEP_2)
	v_cmpx_ne_u32_e32 0x7f, v55
	s_cbranch_execz .LBB326_39
; %bb.36:                               ;   in Loop: Header=BB326_12 Depth=1
	v_dual_lshrrev_b32 v52, 3, v55 :: v_dual_bitop2_b32 v28, 7, v54 bitop3:0x40
	s_mov_b32 s45, exec_lo
	v_cmpx_gt_u32_e32 8, v55
; %bb.37:                               ;   in Loop: Header=BB326_12 Depth=1
	s_delay_alu instid0(VALU_DEP_2) | instskip(NEXT) | instid1(VALU_DEP_1)
	v_clz_i32_u32_e32 v52, v28
	v_min_u32_e32 v52, 32, v52
	s_delay_alu instid0(VALU_DEP_1) | instskip(SKIP_1) | instid1(VALU_DEP_2)
	v_subrev_nc_u32_e32 v55, 28, v52
	v_sub_nc_u32_e32 v52, 29, v52
	v_lshlrev_b64_e32 v[56:57], v55, v[28:29]
	s_delay_alu instid0(VALU_DEP_1)
	v_and_b32_e32 v28, 7, v56
; %bb.38:                               ;   in Loop: Header=BB326_12 Depth=1
	s_or_b32 exec_lo, exec_lo, s45
	s_delay_alu instid0(VALU_DEP_1) | instskip(SKIP_1) | instid1(VALU_DEP_2)
	v_dual_lshlrev_b32 v54, 24, v54 :: v_dual_lshlrev_b32 v28, 20, v28
	v_lshl_add_u32 v52, v52, 23, 0x3c000000
	v_and_b32_e32 v54, 0x80000000, v54
	s_delay_alu instid0(VALU_DEP_1)
	v_or3_b32 v52, v28, v54, v52
.LBB326_39:                             ;   in Loop: Header=BB326_12 Depth=1
	s_or_b32 exec_lo, exec_lo, s44
.LBB326_40:                             ;   in Loop: Header=BB326_12 Depth=1
	s_delay_alu instid0(SALU_CYCLE_1)
	s_or_b32 exec_lo, exec_lo, s43
.LBB326_41:                             ;   in Loop: Header=BB326_12 Depth=1
	s_delay_alu instid0(SALU_CYCLE_1) | instskip(NEXT) | instid1(SALU_CYCLE_1)
	s_or_b32 exec_lo, exec_lo, s42
	s_mov_b32 s42, exec_lo
	v_cmpx_lt_u32_e32 0xffffff, v53
	s_cbranch_execz .LBB326_49
; %bb.42:                               ;   in Loop: Header=BB326_12 Depth=1
	v_lshrrev_b32_e32 v54, 24, v53
	v_bfrev_b32_e32 v51, 1
	s_mov_b32 s43, exec_lo
	s_delay_alu instid0(VALU_DEP_2)
	v_cmpx_ne_u32_e32 0x80, v54
	s_cbranch_execz .LBB326_48
; %bb.43:                               ;   in Loop: Header=BB326_12 Depth=1
	v_bfe_u32 v53, v53, 24, 7
	v_mov_b32_e32 v51, 0x7f800001
	s_mov_b32 s44, exec_lo
	s_delay_alu instid0(VALU_DEP_2)
	v_cmpx_ne_u32_e32 0x7f, v53
	s_cbranch_execz .LBB326_47
; %bb.44:                               ;   in Loop: Header=BB326_12 Depth=1
	v_dual_lshrrev_b32 v51, 3, v53 :: v_dual_bitop2_b32 v28, 7, v54 bitop3:0x40
	s_mov_b32 s45, exec_lo
	v_cmpx_gt_u32_e32 8, v53
; %bb.45:                               ;   in Loop: Header=BB326_12 Depth=1
	s_delay_alu instid0(VALU_DEP_2) | instskip(NEXT) | instid1(VALU_DEP_1)
	v_clz_i32_u32_e32 v51, v28
	v_min_u32_e32 v51, 32, v51
	s_delay_alu instid0(VALU_DEP_1) | instskip(NEXT) | instid1(VALU_DEP_1)
	v_subrev_nc_u32_e32 v53, 28, v51
	v_lshlrev_b64_e32 v[56:57], v53, v[28:29]
	s_delay_alu instid0(VALU_DEP_1)
	v_dual_sub_nc_u32 v51, 29, v51 :: v_dual_bitop2_b32 v28, 7, v56 bitop3:0x40
; %bb.46:                               ;   in Loop: Header=BB326_12 Depth=1
	s_or_b32 exec_lo, exec_lo, s45
	s_delay_alu instid0(VALU_DEP_1) | instskip(NEXT) | instid1(VALU_DEP_2)
	v_dual_lshlrev_b32 v53, 24, v54 :: v_dual_lshlrev_b32 v28, 20, v28
	v_lshl_add_u32 v51, v51, 23, 0x3c000000
	s_delay_alu instid0(VALU_DEP_2) | instskip(NEXT) | instid1(VALU_DEP_1)
	v_and_b32_e32 v53, 0x80000000, v53
	v_or3_b32 v51, v28, v53, v51
.LBB326_47:                             ;   in Loop: Header=BB326_12 Depth=1
	s_or_b32 exec_lo, exec_lo, s44
.LBB326_48:                             ;   in Loop: Header=BB326_12 Depth=1
	s_delay_alu instid0(SALU_CYCLE_1)
	s_or_b32 exec_lo, exec_lo, s43
.LBB326_49:                             ;   in Loop: Header=BB326_12 Depth=1
	s_delay_alu instid0(SALU_CYCLE_1)
	s_or_b32 exec_lo, exec_lo, s42
	global_load_b32 v57, v[36:37], off offset:8
	v_dual_mov_b32 v54, 0 :: v_dual_mov_b32 v53, 0
	s_mov_b32 s42, exec_lo
	s_wait_loadcnt 0x0
	v_and_b32_e32 v28, 0xff, v57
	s_delay_alu instid0(VALU_DEP_1)
	v_cmpx_ne_u16_e32 0, v28
	s_cbranch_execz .LBB326_57
; %bb.50:                               ;   in Loop: Header=BB326_12 Depth=1
	v_bfrev_b32_e32 v53, 1
	s_mov_b32 s43, exec_lo
	v_cmpx_ne_u16_e32 0x80, v28
	s_cbranch_execz .LBB326_56
; %bb.51:                               ;   in Loop: Header=BB326_12 Depth=1
	v_and_b32_e32 v55, 0x7f, v57
	v_mov_b32_e32 v53, 0x7f800001
	s_mov_b32 s44, exec_lo
	s_delay_alu instid0(VALU_DEP_2)
	v_cmpx_ne_u32_e32 0x7f, v55
	s_cbranch_execz .LBB326_55
; %bb.52:                               ;   in Loop: Header=BB326_12 Depth=1
	v_dual_lshrrev_b32 v53, 3, v55 :: v_dual_bitop2_b32 v28, 7, v57 bitop3:0x40
	s_mov_b32 s45, exec_lo
	v_cmpx_gt_u32_e32 8, v55
; %bb.53:                               ;   in Loop: Header=BB326_12 Depth=1
	s_delay_alu instid0(VALU_DEP_2) | instskip(NEXT) | instid1(VALU_DEP_1)
	v_clz_i32_u32_e32 v53, v28
	v_min_u32_e32 v53, 32, v53
	s_delay_alu instid0(VALU_DEP_1) | instskip(NEXT) | instid1(VALU_DEP_1)
	v_subrev_nc_u32_e32 v55, 28, v53
	v_lshlrev_b64_e32 v[58:59], v55, v[28:29]
	s_delay_alu instid0(VALU_DEP_1)
	v_dual_sub_nc_u32 v53, 29, v53 :: v_dual_bitop2_b32 v28, 7, v58 bitop3:0x40
; %bb.54:                               ;   in Loop: Header=BB326_12 Depth=1
	s_or_b32 exec_lo, exec_lo, s45
	s_delay_alu instid0(VALU_DEP_1) | instskip(NEXT) | instid1(VALU_DEP_2)
	v_dual_lshlrev_b32 v55, 24, v57 :: v_dual_lshlrev_b32 v28, 20, v28
	v_lshl_add_u32 v53, v53, 23, 0x3c000000
	s_delay_alu instid0(VALU_DEP_2) | instskip(NEXT) | instid1(VALU_DEP_1)
	v_and_b32_e32 v55, 0x80000000, v55
	v_or3_b32 v53, v28, v55, v53
.LBB326_55:                             ;   in Loop: Header=BB326_12 Depth=1
	s_or_b32 exec_lo, exec_lo, s44
.LBB326_56:                             ;   in Loop: Header=BB326_12 Depth=1
	s_delay_alu instid0(SALU_CYCLE_1)
	s_or_b32 exec_lo, exec_lo, s43
.LBB326_57:                             ;   in Loop: Header=BB326_12 Depth=1
	s_delay_alu instid0(SALU_CYCLE_1) | instskip(SKIP_2) | instid1(VALU_DEP_1)
	s_or_b32 exec_lo, exec_lo, s42
	v_lshrrev_b16 v28, 8, v57
	s_mov_b32 s42, exec_lo
	v_cmpx_ne_u16_e32 0, v28
	s_cbranch_execz .LBB326_65
; %bb.58:                               ;   in Loop: Header=BB326_12 Depth=1
	v_bfrev_b32_e32 v54, 1
	s_mov_b32 s43, exec_lo
	v_cmpx_ne_u16_e32 0x80, v28
	s_cbranch_execz .LBB326_64
; %bb.59:                               ;   in Loop: Header=BB326_12 Depth=1
	v_and_b32_e32 v28, 0xffff, v28
	v_mov_b32_e32 v54, 0x7f800001
	s_mov_b32 s44, exec_lo
	s_delay_alu instid0(VALU_DEP_2) | instskip(NEXT) | instid1(VALU_DEP_1)
	v_and_b32_e32 v55, 0x7f, v28
	v_cmpx_ne_u32_e32 0x7f, v55
	s_cbranch_execz .LBB326_63
; %bb.60:                               ;   in Loop: Header=BB326_12 Depth=1
	v_dual_lshrrev_b32 v54, 3, v55 :: v_dual_bitop2_b32 v28, 7, v28 bitop3:0x40
	s_mov_b32 s45, exec_lo
	v_cmpx_gt_u32_e32 8, v55
; %bb.61:                               ;   in Loop: Header=BB326_12 Depth=1
	s_delay_alu instid0(VALU_DEP_2) | instskip(NEXT) | instid1(VALU_DEP_1)
	v_clz_i32_u32_e32 v54, v28
	v_min_u32_e32 v54, 32, v54
	s_delay_alu instid0(VALU_DEP_1) | instskip(SKIP_1) | instid1(VALU_DEP_2)
	v_subrev_nc_u32_e32 v55, 28, v54
	v_sub_nc_u32_e32 v54, 29, v54
	v_lshlrev_b64_e32 v[58:59], v55, v[28:29]
	s_delay_alu instid0(VALU_DEP_1)
	v_and_b32_e32 v28, 7, v58
; %bb.62:                               ;   in Loop: Header=BB326_12 Depth=1
	s_or_b32 exec_lo, exec_lo, s45
	s_delay_alu instid0(VALU_DEP_1) | instskip(SKIP_1) | instid1(VALU_DEP_2)
	v_dual_lshlrev_b32 v55, 16, v57 :: v_dual_lshlrev_b32 v28, 20, v28
	v_lshl_add_u32 v54, v54, 23, 0x3c000000
	v_and_b32_e32 v55, 0x80000000, v55
	s_delay_alu instid0(VALU_DEP_1)
	v_or3_b32 v54, v28, v55, v54
.LBB326_63:                             ;   in Loop: Header=BB326_12 Depth=1
	s_or_b32 exec_lo, exec_lo, s44
.LBB326_64:                             ;   in Loop: Header=BB326_12 Depth=1
	s_delay_alu instid0(SALU_CYCLE_1)
	s_or_b32 exec_lo, exec_lo, s43
.LBB326_65:                             ;   in Loop: Header=BB326_12 Depth=1
	s_delay_alu instid0(SALU_CYCLE_1) | instskip(SKIP_3) | instid1(VALU_DEP_2)
	s_or_b32 exec_lo, exec_lo, s42
	v_dual_mov_b32 v55, 0 :: v_dual_lshrrev_b32 v58, 16, v57
	v_mov_b32_e32 v56, 0
	s_mov_b32 s42, exec_lo
	v_and_b32_e32 v28, 0xff, v58
	s_delay_alu instid0(VALU_DEP_1)
	v_cmpx_ne_u16_e32 0, v28
	s_cbranch_execz .LBB326_73
; %bb.66:                               ;   in Loop: Header=BB326_12 Depth=1
	v_bfrev_b32_e32 v56, 1
	s_mov_b32 s43, exec_lo
	v_cmpx_ne_u16_e32 0x80, v28
	s_cbranch_execz .LBB326_72
; %bb.67:                               ;   in Loop: Header=BB326_12 Depth=1
	v_bfe_u32 v59, v57, 16, 7
	v_mov_b32_e32 v56, 0x7f800001
	s_mov_b32 s44, exec_lo
	s_delay_alu instid0(VALU_DEP_2)
	v_cmpx_ne_u32_e32 0x7f, v59
	s_cbranch_execz .LBB326_71
; %bb.68:                               ;   in Loop: Header=BB326_12 Depth=1
	v_dual_lshrrev_b32 v56, 3, v59 :: v_dual_bitop2_b32 v28, 7, v58 bitop3:0x40
	s_mov_b32 s45, exec_lo
	v_cmpx_gt_u32_e32 8, v59
; %bb.69:                               ;   in Loop: Header=BB326_12 Depth=1
	s_delay_alu instid0(VALU_DEP_2) | instskip(NEXT) | instid1(VALU_DEP_1)
	v_clz_i32_u32_e32 v56, v28
	v_min_u32_e32 v56, 32, v56
	s_delay_alu instid0(VALU_DEP_1) | instskip(SKIP_1) | instid1(VALU_DEP_2)
	v_subrev_nc_u32_e32 v59, 28, v56
	v_sub_nc_u32_e32 v56, 29, v56
	v_lshlrev_b64_e32 v[60:61], v59, v[28:29]
	s_delay_alu instid0(VALU_DEP_1)
	v_and_b32_e32 v28, 7, v60
; %bb.70:                               ;   in Loop: Header=BB326_12 Depth=1
	s_or_b32 exec_lo, exec_lo, s45
	s_delay_alu instid0(VALU_DEP_1) | instskip(SKIP_1) | instid1(VALU_DEP_2)
	v_dual_lshlrev_b32 v58, 24, v58 :: v_dual_lshlrev_b32 v28, 20, v28
	v_lshl_add_u32 v56, v56, 23, 0x3c000000
	v_and_b32_e32 v58, 0x80000000, v58
	s_delay_alu instid0(VALU_DEP_1)
	v_or3_b32 v56, v28, v58, v56
.LBB326_71:                             ;   in Loop: Header=BB326_12 Depth=1
	s_or_b32 exec_lo, exec_lo, s44
.LBB326_72:                             ;   in Loop: Header=BB326_12 Depth=1
	s_delay_alu instid0(SALU_CYCLE_1)
	s_or_b32 exec_lo, exec_lo, s43
.LBB326_73:                             ;   in Loop: Header=BB326_12 Depth=1
	s_delay_alu instid0(SALU_CYCLE_1) | instskip(NEXT) | instid1(SALU_CYCLE_1)
	s_or_b32 exec_lo, exec_lo, s42
	s_mov_b32 s42, exec_lo
	v_cmpx_lt_u32_e32 0xffffff, v57
	s_cbranch_execz .LBB326_81
; %bb.74:                               ;   in Loop: Header=BB326_12 Depth=1
	v_lshrrev_b32_e32 v58, 24, v57
	v_bfrev_b32_e32 v55, 1
	s_mov_b32 s43, exec_lo
	s_delay_alu instid0(VALU_DEP_2)
	v_cmpx_ne_u32_e32 0x80, v58
	s_cbranch_execz .LBB326_80
; %bb.75:                               ;   in Loop: Header=BB326_12 Depth=1
	v_bfe_u32 v57, v57, 24, 7
	v_mov_b32_e32 v55, 0x7f800001
	s_mov_b32 s44, exec_lo
	s_delay_alu instid0(VALU_DEP_2)
	v_cmpx_ne_u32_e32 0x7f, v57
	s_cbranch_execz .LBB326_79
; %bb.76:                               ;   in Loop: Header=BB326_12 Depth=1
	v_dual_lshrrev_b32 v55, 3, v57 :: v_dual_bitop2_b32 v28, 7, v58 bitop3:0x40
	s_mov_b32 s45, exec_lo
	v_cmpx_gt_u32_e32 8, v57
; %bb.77:                               ;   in Loop: Header=BB326_12 Depth=1
	s_delay_alu instid0(VALU_DEP_2) | instskip(NEXT) | instid1(VALU_DEP_1)
	v_clz_i32_u32_e32 v55, v28
	v_min_u32_e32 v55, 32, v55
	s_delay_alu instid0(VALU_DEP_1) | instskip(NEXT) | instid1(VALU_DEP_1)
	v_subrev_nc_u32_e32 v57, 28, v55
	v_lshlrev_b64_e32 v[60:61], v57, v[28:29]
	s_delay_alu instid0(VALU_DEP_1)
	v_dual_sub_nc_u32 v55, 29, v55 :: v_dual_bitop2_b32 v28, 7, v60 bitop3:0x40
; %bb.78:                               ;   in Loop: Header=BB326_12 Depth=1
	s_or_b32 exec_lo, exec_lo, s45
	s_delay_alu instid0(VALU_DEP_1) | instskip(NEXT) | instid1(VALU_DEP_2)
	v_dual_lshlrev_b32 v57, 24, v58 :: v_dual_lshlrev_b32 v28, 20, v28
	v_lshl_add_u32 v55, v55, 23, 0x3c000000
	s_delay_alu instid0(VALU_DEP_2) | instskip(NEXT) | instid1(VALU_DEP_1)
	v_and_b32_e32 v57, 0x80000000, v57
	v_or3_b32 v55, v28, v57, v55
.LBB326_79:                             ;   in Loop: Header=BB326_12 Depth=1
	s_or_b32 exec_lo, exec_lo, s44
.LBB326_80:                             ;   in Loop: Header=BB326_12 Depth=1
	s_delay_alu instid0(SALU_CYCLE_1)
	s_or_b32 exec_lo, exec_lo, s43
.LBB326_81:                             ;   in Loop: Header=BB326_12 Depth=1
	s_delay_alu instid0(SALU_CYCLE_1)
	s_or_b32 exec_lo, exec_lo, s42
	global_load_b32 v61, v[36:37], off offset:256
	v_dual_mov_b32 v58, 0 :: v_dual_mov_b32 v57, 0
	s_mov_b32 s42, exec_lo
	s_wait_loadcnt 0x0
	v_and_b32_e32 v28, 0xff, v61
	s_delay_alu instid0(VALU_DEP_1)
	v_cmpx_ne_u16_e32 0, v28
	s_cbranch_execz .LBB326_89
; %bb.82:                               ;   in Loop: Header=BB326_12 Depth=1
	v_bfrev_b32_e32 v57, 1
	s_mov_b32 s43, exec_lo
	v_cmpx_ne_u16_e32 0x80, v28
	s_cbranch_execz .LBB326_88
; %bb.83:                               ;   in Loop: Header=BB326_12 Depth=1
	v_and_b32_e32 v59, 0x7f, v61
	v_mov_b32_e32 v57, 0x7f800001
	s_mov_b32 s44, exec_lo
	s_delay_alu instid0(VALU_DEP_2)
	v_cmpx_ne_u32_e32 0x7f, v59
	s_cbranch_execz .LBB326_87
; %bb.84:                               ;   in Loop: Header=BB326_12 Depth=1
	v_dual_lshrrev_b32 v57, 3, v59 :: v_dual_bitop2_b32 v28, 7, v61 bitop3:0x40
	s_mov_b32 s45, exec_lo
	v_cmpx_gt_u32_e32 8, v59
; %bb.85:                               ;   in Loop: Header=BB326_12 Depth=1
	s_delay_alu instid0(VALU_DEP_2) | instskip(NEXT) | instid1(VALU_DEP_1)
	v_clz_i32_u32_e32 v57, v28
	v_min_u32_e32 v57, 32, v57
	s_delay_alu instid0(VALU_DEP_1) | instskip(NEXT) | instid1(VALU_DEP_1)
	v_subrev_nc_u32_e32 v59, 28, v57
	v_lshlrev_b64_e32 v[62:63], v59, v[28:29]
	s_delay_alu instid0(VALU_DEP_1)
	v_dual_sub_nc_u32 v57, 29, v57 :: v_dual_bitop2_b32 v28, 7, v62 bitop3:0x40
; %bb.86:                               ;   in Loop: Header=BB326_12 Depth=1
	s_or_b32 exec_lo, exec_lo, s45
	s_delay_alu instid0(VALU_DEP_1) | instskip(NEXT) | instid1(VALU_DEP_2)
	v_dual_lshlrev_b32 v59, 24, v61 :: v_dual_lshlrev_b32 v28, 20, v28
	v_lshl_add_u32 v57, v57, 23, 0x3c000000
	s_delay_alu instid0(VALU_DEP_2) | instskip(NEXT) | instid1(VALU_DEP_1)
	v_and_b32_e32 v59, 0x80000000, v59
	v_or3_b32 v57, v28, v59, v57
.LBB326_87:                             ;   in Loop: Header=BB326_12 Depth=1
	s_or_b32 exec_lo, exec_lo, s44
.LBB326_88:                             ;   in Loop: Header=BB326_12 Depth=1
	s_delay_alu instid0(SALU_CYCLE_1)
	s_or_b32 exec_lo, exec_lo, s43
.LBB326_89:                             ;   in Loop: Header=BB326_12 Depth=1
	s_delay_alu instid0(SALU_CYCLE_1) | instskip(SKIP_2) | instid1(VALU_DEP_1)
	s_or_b32 exec_lo, exec_lo, s42
	v_lshrrev_b16 v28, 8, v61
	s_mov_b32 s42, exec_lo
	v_cmpx_ne_u16_e32 0, v28
	s_cbranch_execz .LBB326_97
; %bb.90:                               ;   in Loop: Header=BB326_12 Depth=1
	v_bfrev_b32_e32 v58, 1
	s_mov_b32 s43, exec_lo
	v_cmpx_ne_u16_e32 0x80, v28
	s_cbranch_execz .LBB326_96
; %bb.91:                               ;   in Loop: Header=BB326_12 Depth=1
	v_and_b32_e32 v28, 0xffff, v28
	v_mov_b32_e32 v58, 0x7f800001
	s_mov_b32 s44, exec_lo
	s_delay_alu instid0(VALU_DEP_2) | instskip(NEXT) | instid1(VALU_DEP_1)
	v_and_b32_e32 v59, 0x7f, v28
	v_cmpx_ne_u32_e32 0x7f, v59
	s_cbranch_execz .LBB326_95
; %bb.92:                               ;   in Loop: Header=BB326_12 Depth=1
	v_dual_lshrrev_b32 v58, 3, v59 :: v_dual_bitop2_b32 v28, 7, v28 bitop3:0x40
	s_mov_b32 s45, exec_lo
	v_cmpx_gt_u32_e32 8, v59
; %bb.93:                               ;   in Loop: Header=BB326_12 Depth=1
	s_delay_alu instid0(VALU_DEP_2) | instskip(NEXT) | instid1(VALU_DEP_1)
	v_clz_i32_u32_e32 v58, v28
	v_min_u32_e32 v58, 32, v58
	s_delay_alu instid0(VALU_DEP_1) | instskip(SKIP_1) | instid1(VALU_DEP_2)
	v_subrev_nc_u32_e32 v59, 28, v58
	v_sub_nc_u32_e32 v58, 29, v58
	v_lshlrev_b64_e32 v[62:63], v59, v[28:29]
	s_delay_alu instid0(VALU_DEP_1)
	v_and_b32_e32 v28, 7, v62
; %bb.94:                               ;   in Loop: Header=BB326_12 Depth=1
	s_or_b32 exec_lo, exec_lo, s45
	s_delay_alu instid0(VALU_DEP_1) | instskip(SKIP_1) | instid1(VALU_DEP_2)
	v_dual_lshlrev_b32 v59, 16, v61 :: v_dual_lshlrev_b32 v28, 20, v28
	v_lshl_add_u32 v58, v58, 23, 0x3c000000
	v_and_b32_e32 v59, 0x80000000, v59
	s_delay_alu instid0(VALU_DEP_1)
	v_or3_b32 v58, v28, v59, v58
.LBB326_95:                             ;   in Loop: Header=BB326_12 Depth=1
	s_or_b32 exec_lo, exec_lo, s44
.LBB326_96:                             ;   in Loop: Header=BB326_12 Depth=1
	s_delay_alu instid0(SALU_CYCLE_1)
	s_or_b32 exec_lo, exec_lo, s43
.LBB326_97:                             ;   in Loop: Header=BB326_12 Depth=1
	s_delay_alu instid0(SALU_CYCLE_1) | instskip(SKIP_3) | instid1(VALU_DEP_2)
	s_or_b32 exec_lo, exec_lo, s42
	v_dual_mov_b32 v59, 0 :: v_dual_lshrrev_b32 v62, 16, v61
	v_mov_b32_e32 v60, 0
	s_mov_b32 s42, exec_lo
	v_and_b32_e32 v28, 0xff, v62
	s_delay_alu instid0(VALU_DEP_1)
	v_cmpx_ne_u16_e32 0, v28
	s_cbranch_execz .LBB326_105
; %bb.98:                               ;   in Loop: Header=BB326_12 Depth=1
	v_bfrev_b32_e32 v60, 1
	s_mov_b32 s43, exec_lo
	v_cmpx_ne_u16_e32 0x80, v28
	s_cbranch_execz .LBB326_104
; %bb.99:                               ;   in Loop: Header=BB326_12 Depth=1
	v_bfe_u32 v63, v61, 16, 7
	v_mov_b32_e32 v60, 0x7f800001
	s_mov_b32 s44, exec_lo
	s_delay_alu instid0(VALU_DEP_2)
	v_cmpx_ne_u32_e32 0x7f, v63
	s_cbranch_execz .LBB326_103
; %bb.100:                              ;   in Loop: Header=BB326_12 Depth=1
	v_dual_lshrrev_b32 v60, 3, v63 :: v_dual_bitop2_b32 v28, 7, v62 bitop3:0x40
	s_mov_b32 s45, exec_lo
	v_cmpx_gt_u32_e32 8, v63
; %bb.101:                              ;   in Loop: Header=BB326_12 Depth=1
	s_delay_alu instid0(VALU_DEP_2) | instskip(NEXT) | instid1(VALU_DEP_1)
	v_clz_i32_u32_e32 v60, v28
	v_min_u32_e32 v60, 32, v60
	s_delay_alu instid0(VALU_DEP_1) | instskip(SKIP_1) | instid1(VALU_DEP_2)
	v_subrev_nc_u32_e32 v63, 28, v60
	v_sub_nc_u32_e32 v60, 29, v60
	v_lshlrev_b64_e32 v[64:65], v63, v[28:29]
	s_delay_alu instid0(VALU_DEP_1)
	v_and_b32_e32 v28, 7, v64
; %bb.102:                              ;   in Loop: Header=BB326_12 Depth=1
	s_or_b32 exec_lo, exec_lo, s45
	s_delay_alu instid0(VALU_DEP_1) | instskip(SKIP_1) | instid1(VALU_DEP_2)
	v_dual_lshlrev_b32 v62, 24, v62 :: v_dual_lshlrev_b32 v28, 20, v28
	v_lshl_add_u32 v60, v60, 23, 0x3c000000
	v_and_b32_e32 v62, 0x80000000, v62
	s_delay_alu instid0(VALU_DEP_1)
	v_or3_b32 v60, v28, v62, v60
.LBB326_103:                            ;   in Loop: Header=BB326_12 Depth=1
	s_or_b32 exec_lo, exec_lo, s44
.LBB326_104:                            ;   in Loop: Header=BB326_12 Depth=1
	s_delay_alu instid0(SALU_CYCLE_1)
	s_or_b32 exec_lo, exec_lo, s43
.LBB326_105:                            ;   in Loop: Header=BB326_12 Depth=1
	s_delay_alu instid0(SALU_CYCLE_1) | instskip(NEXT) | instid1(SALU_CYCLE_1)
	s_or_b32 exec_lo, exec_lo, s42
	s_mov_b32 s42, exec_lo
	v_cmpx_lt_u32_e32 0xffffff, v61
	s_cbranch_execz .LBB326_113
; %bb.106:                              ;   in Loop: Header=BB326_12 Depth=1
	v_lshrrev_b32_e32 v62, 24, v61
	v_bfrev_b32_e32 v59, 1
	s_mov_b32 s43, exec_lo
	s_delay_alu instid0(VALU_DEP_2)
	v_cmpx_ne_u32_e32 0x80, v62
	s_cbranch_execz .LBB326_112
; %bb.107:                              ;   in Loop: Header=BB326_12 Depth=1
	v_bfe_u32 v61, v61, 24, 7
	v_mov_b32_e32 v59, 0x7f800001
	s_mov_b32 s44, exec_lo
	s_delay_alu instid0(VALU_DEP_2)
	v_cmpx_ne_u32_e32 0x7f, v61
	s_cbranch_execz .LBB326_111
; %bb.108:                              ;   in Loop: Header=BB326_12 Depth=1
	v_dual_lshrrev_b32 v59, 3, v61 :: v_dual_bitop2_b32 v28, 7, v62 bitop3:0x40
	s_mov_b32 s45, exec_lo
	v_cmpx_gt_u32_e32 8, v61
; %bb.109:                              ;   in Loop: Header=BB326_12 Depth=1
	s_delay_alu instid0(VALU_DEP_2) | instskip(NEXT) | instid1(VALU_DEP_1)
	v_clz_i32_u32_e32 v59, v28
	v_min_u32_e32 v59, 32, v59
	s_delay_alu instid0(VALU_DEP_1) | instskip(NEXT) | instid1(VALU_DEP_1)
	v_subrev_nc_u32_e32 v61, 28, v59
	v_lshlrev_b64_e32 v[64:65], v61, v[28:29]
	s_delay_alu instid0(VALU_DEP_1)
	v_dual_sub_nc_u32 v59, 29, v59 :: v_dual_bitop2_b32 v28, 7, v64 bitop3:0x40
; %bb.110:                              ;   in Loop: Header=BB326_12 Depth=1
	s_or_b32 exec_lo, exec_lo, s45
	s_delay_alu instid0(VALU_DEP_1) | instskip(NEXT) | instid1(VALU_DEP_2)
	v_dual_lshlrev_b32 v61, 24, v62 :: v_dual_lshlrev_b32 v28, 20, v28
	v_lshl_add_u32 v59, v59, 23, 0x3c000000
	s_delay_alu instid0(VALU_DEP_2) | instskip(NEXT) | instid1(VALU_DEP_1)
	v_and_b32_e32 v61, 0x80000000, v61
	v_or3_b32 v59, v28, v61, v59
.LBB326_111:                            ;   in Loop: Header=BB326_12 Depth=1
	s_or_b32 exec_lo, exec_lo, s44
.LBB326_112:                            ;   in Loop: Header=BB326_12 Depth=1
	s_delay_alu instid0(SALU_CYCLE_1)
	s_or_b32 exec_lo, exec_lo, s43
.LBB326_113:                            ;   in Loop: Header=BB326_12 Depth=1
	s_delay_alu instid0(SALU_CYCLE_1)
	s_or_b32 exec_lo, exec_lo, s42
	global_load_b32 v65, v[36:37], off offset:264
	v_dual_mov_b32 v62, 0 :: v_dual_mov_b32 v61, 0
	s_mov_b32 s42, exec_lo
	s_wait_loadcnt 0x0
	v_and_b32_e32 v28, 0xff, v65
	s_delay_alu instid0(VALU_DEP_1)
	v_cmpx_ne_u16_e32 0, v28
	s_cbranch_execz .LBB326_121
; %bb.114:                              ;   in Loop: Header=BB326_12 Depth=1
	v_bfrev_b32_e32 v61, 1
	s_mov_b32 s43, exec_lo
	v_cmpx_ne_u16_e32 0x80, v28
	s_cbranch_execz .LBB326_120
; %bb.115:                              ;   in Loop: Header=BB326_12 Depth=1
	v_and_b32_e32 v63, 0x7f, v65
	v_mov_b32_e32 v61, 0x7f800001
	s_mov_b32 s44, exec_lo
	s_delay_alu instid0(VALU_DEP_2)
	v_cmpx_ne_u32_e32 0x7f, v63
	s_cbranch_execz .LBB326_119
; %bb.116:                              ;   in Loop: Header=BB326_12 Depth=1
	v_dual_lshrrev_b32 v61, 3, v63 :: v_dual_bitop2_b32 v28, 7, v65 bitop3:0x40
	s_mov_b32 s45, exec_lo
	v_cmpx_gt_u32_e32 8, v63
; %bb.117:                              ;   in Loop: Header=BB326_12 Depth=1
	s_delay_alu instid0(VALU_DEP_2) | instskip(NEXT) | instid1(VALU_DEP_1)
	v_clz_i32_u32_e32 v61, v28
	v_min_u32_e32 v61, 32, v61
	s_delay_alu instid0(VALU_DEP_1) | instskip(NEXT) | instid1(VALU_DEP_1)
	v_subrev_nc_u32_e32 v63, 28, v61
	v_lshlrev_b64_e32 v[66:67], v63, v[28:29]
	s_delay_alu instid0(VALU_DEP_1)
	v_dual_sub_nc_u32 v61, 29, v61 :: v_dual_bitop2_b32 v28, 7, v66 bitop3:0x40
; %bb.118:                              ;   in Loop: Header=BB326_12 Depth=1
	s_or_b32 exec_lo, exec_lo, s45
	s_delay_alu instid0(VALU_DEP_1) | instskip(NEXT) | instid1(VALU_DEP_2)
	v_dual_lshlrev_b32 v63, 24, v65 :: v_dual_lshlrev_b32 v28, 20, v28
	v_lshl_add_u32 v61, v61, 23, 0x3c000000
	s_delay_alu instid0(VALU_DEP_2) | instskip(NEXT) | instid1(VALU_DEP_1)
	v_and_b32_e32 v63, 0x80000000, v63
	v_or3_b32 v61, v28, v63, v61
.LBB326_119:                            ;   in Loop: Header=BB326_12 Depth=1
	s_or_b32 exec_lo, exec_lo, s44
.LBB326_120:                            ;   in Loop: Header=BB326_12 Depth=1
	s_delay_alu instid0(SALU_CYCLE_1)
	s_or_b32 exec_lo, exec_lo, s43
.LBB326_121:                            ;   in Loop: Header=BB326_12 Depth=1
	s_delay_alu instid0(SALU_CYCLE_1) | instskip(SKIP_2) | instid1(VALU_DEP_1)
	s_or_b32 exec_lo, exec_lo, s42
	v_lshrrev_b16 v28, 8, v65
	s_mov_b32 s42, exec_lo
	v_cmpx_ne_u16_e32 0, v28
	s_cbranch_execz .LBB326_129
; %bb.122:                              ;   in Loop: Header=BB326_12 Depth=1
	v_bfrev_b32_e32 v62, 1
	s_mov_b32 s43, exec_lo
	v_cmpx_ne_u16_e32 0x80, v28
	s_cbranch_execz .LBB326_128
; %bb.123:                              ;   in Loop: Header=BB326_12 Depth=1
	v_and_b32_e32 v28, 0xffff, v28
	v_mov_b32_e32 v62, 0x7f800001
	s_mov_b32 s44, exec_lo
	s_delay_alu instid0(VALU_DEP_2) | instskip(NEXT) | instid1(VALU_DEP_1)
	v_and_b32_e32 v63, 0x7f, v28
	v_cmpx_ne_u32_e32 0x7f, v63
	s_cbranch_execz .LBB326_127
; %bb.124:                              ;   in Loop: Header=BB326_12 Depth=1
	v_dual_lshrrev_b32 v62, 3, v63 :: v_dual_bitop2_b32 v28, 7, v28 bitop3:0x40
	s_mov_b32 s45, exec_lo
	v_cmpx_gt_u32_e32 8, v63
; %bb.125:                              ;   in Loop: Header=BB326_12 Depth=1
	s_delay_alu instid0(VALU_DEP_2) | instskip(NEXT) | instid1(VALU_DEP_1)
	v_clz_i32_u32_e32 v62, v28
	v_min_u32_e32 v62, 32, v62
	s_delay_alu instid0(VALU_DEP_1) | instskip(SKIP_1) | instid1(VALU_DEP_2)
	v_subrev_nc_u32_e32 v63, 28, v62
	v_sub_nc_u32_e32 v62, 29, v62
	v_lshlrev_b64_e32 v[66:67], v63, v[28:29]
	s_delay_alu instid0(VALU_DEP_1)
	v_and_b32_e32 v28, 7, v66
; %bb.126:                              ;   in Loop: Header=BB326_12 Depth=1
	s_or_b32 exec_lo, exec_lo, s45
	s_delay_alu instid0(VALU_DEP_1) | instskip(SKIP_1) | instid1(VALU_DEP_2)
	v_dual_lshlrev_b32 v63, 16, v65 :: v_dual_lshlrev_b32 v28, 20, v28
	v_lshl_add_u32 v62, v62, 23, 0x3c000000
	v_and_b32_e32 v63, 0x80000000, v63
	s_delay_alu instid0(VALU_DEP_1)
	v_or3_b32 v62, v28, v63, v62
.LBB326_127:                            ;   in Loop: Header=BB326_12 Depth=1
	s_or_b32 exec_lo, exec_lo, s44
.LBB326_128:                            ;   in Loop: Header=BB326_12 Depth=1
	s_delay_alu instid0(SALU_CYCLE_1)
	s_or_b32 exec_lo, exec_lo, s43
.LBB326_129:                            ;   in Loop: Header=BB326_12 Depth=1
	s_delay_alu instid0(SALU_CYCLE_1) | instskip(SKIP_3) | instid1(VALU_DEP_2)
	s_or_b32 exec_lo, exec_lo, s42
	v_dual_mov_b32 v63, 0 :: v_dual_lshrrev_b32 v66, 16, v65
	v_mov_b32_e32 v64, 0
	s_mov_b32 s42, exec_lo
	v_and_b32_e32 v28, 0xff, v66
	s_delay_alu instid0(VALU_DEP_1)
	v_cmpx_ne_u16_e32 0, v28
	s_cbranch_execz .LBB326_137
; %bb.130:                              ;   in Loop: Header=BB326_12 Depth=1
	v_bfrev_b32_e32 v64, 1
	s_mov_b32 s43, exec_lo
	v_cmpx_ne_u16_e32 0x80, v28
	s_cbranch_execz .LBB326_136
; %bb.131:                              ;   in Loop: Header=BB326_12 Depth=1
	v_bfe_u32 v67, v65, 16, 7
	v_mov_b32_e32 v64, 0x7f800001
	s_mov_b32 s44, exec_lo
	s_delay_alu instid0(VALU_DEP_2)
	v_cmpx_ne_u32_e32 0x7f, v67
	s_cbranch_execz .LBB326_135
; %bb.132:                              ;   in Loop: Header=BB326_12 Depth=1
	v_dual_lshrrev_b32 v64, 3, v67 :: v_dual_bitop2_b32 v28, 7, v66 bitop3:0x40
	s_mov_b32 s45, exec_lo
	v_cmpx_gt_u32_e32 8, v67
; %bb.133:                              ;   in Loop: Header=BB326_12 Depth=1
	s_delay_alu instid0(VALU_DEP_2) | instskip(NEXT) | instid1(VALU_DEP_1)
	v_clz_i32_u32_e32 v64, v28
	v_min_u32_e32 v64, 32, v64
	s_delay_alu instid0(VALU_DEP_1) | instskip(SKIP_1) | instid1(VALU_DEP_2)
	v_subrev_nc_u32_e32 v67, 28, v64
	v_sub_nc_u32_e32 v64, 29, v64
	v_lshlrev_b64_e32 v[68:69], v67, v[28:29]
	s_delay_alu instid0(VALU_DEP_1)
	v_and_b32_e32 v28, 7, v68
; %bb.134:                              ;   in Loop: Header=BB326_12 Depth=1
	s_or_b32 exec_lo, exec_lo, s45
	s_delay_alu instid0(VALU_DEP_1) | instskip(SKIP_1) | instid1(VALU_DEP_2)
	v_dual_lshlrev_b32 v66, 24, v66 :: v_dual_lshlrev_b32 v28, 20, v28
	v_lshl_add_u32 v64, v64, 23, 0x3c000000
	v_and_b32_e32 v66, 0x80000000, v66
	s_delay_alu instid0(VALU_DEP_1)
	v_or3_b32 v64, v28, v66, v64
.LBB326_135:                            ;   in Loop: Header=BB326_12 Depth=1
	s_or_b32 exec_lo, exec_lo, s44
.LBB326_136:                            ;   in Loop: Header=BB326_12 Depth=1
	s_delay_alu instid0(SALU_CYCLE_1)
	s_or_b32 exec_lo, exec_lo, s43
.LBB326_137:                            ;   in Loop: Header=BB326_12 Depth=1
	s_delay_alu instid0(SALU_CYCLE_1) | instskip(NEXT) | instid1(SALU_CYCLE_1)
	s_or_b32 exec_lo, exec_lo, s42
	s_mov_b32 s42, exec_lo
	v_cmpx_lt_u32_e32 0xffffff, v65
	s_cbranch_execz .LBB326_145
; %bb.138:                              ;   in Loop: Header=BB326_12 Depth=1
	v_lshrrev_b32_e32 v66, 24, v65
	v_bfrev_b32_e32 v63, 1
	s_mov_b32 s43, exec_lo
	s_delay_alu instid0(VALU_DEP_2)
	v_cmpx_ne_u32_e32 0x80, v66
	s_cbranch_execz .LBB326_144
; %bb.139:                              ;   in Loop: Header=BB326_12 Depth=1
	v_bfe_u32 v65, v65, 24, 7
	v_mov_b32_e32 v63, 0x7f800001
	s_mov_b32 s44, exec_lo
	s_delay_alu instid0(VALU_DEP_2)
	v_cmpx_ne_u32_e32 0x7f, v65
	s_cbranch_execz .LBB326_143
; %bb.140:                              ;   in Loop: Header=BB326_12 Depth=1
	v_dual_lshrrev_b32 v63, 3, v65 :: v_dual_bitop2_b32 v28, 7, v66 bitop3:0x40
	s_mov_b32 s45, exec_lo
	v_cmpx_gt_u32_e32 8, v65
; %bb.141:                              ;   in Loop: Header=BB326_12 Depth=1
	s_delay_alu instid0(VALU_DEP_2) | instskip(NEXT) | instid1(VALU_DEP_1)
	v_clz_i32_u32_e32 v63, v28
	v_min_u32_e32 v63, 32, v63
	s_delay_alu instid0(VALU_DEP_1) | instskip(NEXT) | instid1(VALU_DEP_1)
	v_subrev_nc_u32_e32 v65, 28, v63
	v_lshlrev_b64_e32 v[68:69], v65, v[28:29]
	s_delay_alu instid0(VALU_DEP_1)
	v_dual_sub_nc_u32 v63, 29, v63 :: v_dual_bitop2_b32 v28, 7, v68 bitop3:0x40
; %bb.142:                              ;   in Loop: Header=BB326_12 Depth=1
	s_or_b32 exec_lo, exec_lo, s45
	s_delay_alu instid0(VALU_DEP_1) | instskip(NEXT) | instid1(VALU_DEP_2)
	v_dual_lshlrev_b32 v65, 24, v66 :: v_dual_lshlrev_b32 v28, 20, v28
	v_lshl_add_u32 v63, v63, 23, 0x3c000000
	s_delay_alu instid0(VALU_DEP_2) | instskip(NEXT) | instid1(VALU_DEP_1)
	v_and_b32_e32 v65, 0x80000000, v65
	v_or3_b32 v63, v28, v65, v63
.LBB326_143:                            ;   in Loop: Header=BB326_12 Depth=1
	s_or_b32 exec_lo, exec_lo, s44
.LBB326_144:                            ;   in Loop: Header=BB326_12 Depth=1
	s_delay_alu instid0(SALU_CYCLE_1)
	s_or_b32 exec_lo, exec_lo, s43
.LBB326_145:                            ;   in Loop: Header=BB326_12 Depth=1
	s_delay_alu instid0(SALU_CYCLE_1)
	s_or_b32 exec_lo, exec_lo, s42
	global_load_b32 v69, v[36:37], off offset:512
	v_dual_mov_b32 v66, 0 :: v_dual_mov_b32 v65, 0
	s_mov_b32 s42, exec_lo
	s_wait_loadcnt 0x0
	v_and_b32_e32 v28, 0xff, v69
	s_delay_alu instid0(VALU_DEP_1)
	v_cmpx_ne_u16_e32 0, v28
	s_cbranch_execz .LBB326_153
; %bb.146:                              ;   in Loop: Header=BB326_12 Depth=1
	v_bfrev_b32_e32 v65, 1
	s_mov_b32 s43, exec_lo
	v_cmpx_ne_u16_e32 0x80, v28
	s_cbranch_execz .LBB326_152
; %bb.147:                              ;   in Loop: Header=BB326_12 Depth=1
	v_and_b32_e32 v67, 0x7f, v69
	v_mov_b32_e32 v65, 0x7f800001
	s_mov_b32 s44, exec_lo
	s_delay_alu instid0(VALU_DEP_2)
	v_cmpx_ne_u32_e32 0x7f, v67
	s_cbranch_execz .LBB326_151
; %bb.148:                              ;   in Loop: Header=BB326_12 Depth=1
	v_dual_lshrrev_b32 v65, 3, v67 :: v_dual_bitop2_b32 v28, 7, v69 bitop3:0x40
	s_mov_b32 s45, exec_lo
	v_cmpx_gt_u32_e32 8, v67
; %bb.149:                              ;   in Loop: Header=BB326_12 Depth=1
	s_delay_alu instid0(VALU_DEP_2) | instskip(NEXT) | instid1(VALU_DEP_1)
	v_clz_i32_u32_e32 v65, v28
	v_min_u32_e32 v65, 32, v65
	s_delay_alu instid0(VALU_DEP_1) | instskip(NEXT) | instid1(VALU_DEP_1)
	v_subrev_nc_u32_e32 v67, 28, v65
	v_lshlrev_b64_e32 v[70:71], v67, v[28:29]
	s_delay_alu instid0(VALU_DEP_1)
	v_dual_sub_nc_u32 v65, 29, v65 :: v_dual_bitop2_b32 v28, 7, v70 bitop3:0x40
; %bb.150:                              ;   in Loop: Header=BB326_12 Depth=1
	s_or_b32 exec_lo, exec_lo, s45
	s_delay_alu instid0(VALU_DEP_1) | instskip(NEXT) | instid1(VALU_DEP_2)
	v_dual_lshlrev_b32 v67, 24, v69 :: v_dual_lshlrev_b32 v28, 20, v28
	v_lshl_add_u32 v65, v65, 23, 0x3c000000
	s_delay_alu instid0(VALU_DEP_2) | instskip(NEXT) | instid1(VALU_DEP_1)
	v_and_b32_e32 v67, 0x80000000, v67
	v_or3_b32 v65, v28, v67, v65
.LBB326_151:                            ;   in Loop: Header=BB326_12 Depth=1
	s_or_b32 exec_lo, exec_lo, s44
.LBB326_152:                            ;   in Loop: Header=BB326_12 Depth=1
	s_delay_alu instid0(SALU_CYCLE_1)
	s_or_b32 exec_lo, exec_lo, s43
.LBB326_153:                            ;   in Loop: Header=BB326_12 Depth=1
	s_delay_alu instid0(SALU_CYCLE_1) | instskip(SKIP_2) | instid1(VALU_DEP_1)
	s_or_b32 exec_lo, exec_lo, s42
	v_lshrrev_b16 v28, 8, v69
	s_mov_b32 s42, exec_lo
	v_cmpx_ne_u16_e32 0, v28
	s_cbranch_execz .LBB326_161
; %bb.154:                              ;   in Loop: Header=BB326_12 Depth=1
	v_bfrev_b32_e32 v66, 1
	s_mov_b32 s43, exec_lo
	v_cmpx_ne_u16_e32 0x80, v28
	s_cbranch_execz .LBB326_160
; %bb.155:                              ;   in Loop: Header=BB326_12 Depth=1
	v_and_b32_e32 v28, 0xffff, v28
	v_mov_b32_e32 v66, 0x7f800001
	s_mov_b32 s44, exec_lo
	s_delay_alu instid0(VALU_DEP_2) | instskip(NEXT) | instid1(VALU_DEP_1)
	v_and_b32_e32 v67, 0x7f, v28
	v_cmpx_ne_u32_e32 0x7f, v67
	s_cbranch_execz .LBB326_159
; %bb.156:                              ;   in Loop: Header=BB326_12 Depth=1
	v_dual_lshrrev_b32 v66, 3, v67 :: v_dual_bitop2_b32 v28, 7, v28 bitop3:0x40
	s_mov_b32 s45, exec_lo
	v_cmpx_gt_u32_e32 8, v67
; %bb.157:                              ;   in Loop: Header=BB326_12 Depth=1
	s_delay_alu instid0(VALU_DEP_2) | instskip(NEXT) | instid1(VALU_DEP_1)
	v_clz_i32_u32_e32 v66, v28
	v_min_u32_e32 v66, 32, v66
	s_delay_alu instid0(VALU_DEP_1) | instskip(SKIP_1) | instid1(VALU_DEP_2)
	v_subrev_nc_u32_e32 v67, 28, v66
	v_sub_nc_u32_e32 v66, 29, v66
	v_lshlrev_b64_e32 v[70:71], v67, v[28:29]
	s_delay_alu instid0(VALU_DEP_1)
	v_and_b32_e32 v28, 7, v70
; %bb.158:                              ;   in Loop: Header=BB326_12 Depth=1
	s_or_b32 exec_lo, exec_lo, s45
	s_delay_alu instid0(VALU_DEP_1) | instskip(SKIP_1) | instid1(VALU_DEP_2)
	v_dual_lshlrev_b32 v67, 16, v69 :: v_dual_lshlrev_b32 v28, 20, v28
	v_lshl_add_u32 v66, v66, 23, 0x3c000000
	v_and_b32_e32 v67, 0x80000000, v67
	s_delay_alu instid0(VALU_DEP_1)
	v_or3_b32 v66, v28, v67, v66
.LBB326_159:                            ;   in Loop: Header=BB326_12 Depth=1
	s_or_b32 exec_lo, exec_lo, s44
.LBB326_160:                            ;   in Loop: Header=BB326_12 Depth=1
	s_delay_alu instid0(SALU_CYCLE_1)
	s_or_b32 exec_lo, exec_lo, s43
.LBB326_161:                            ;   in Loop: Header=BB326_12 Depth=1
	s_delay_alu instid0(SALU_CYCLE_1) | instskip(SKIP_3) | instid1(VALU_DEP_2)
	s_or_b32 exec_lo, exec_lo, s42
	v_dual_mov_b32 v67, 0 :: v_dual_lshrrev_b32 v70, 16, v69
	v_mov_b32_e32 v68, 0
	s_mov_b32 s42, exec_lo
	v_and_b32_e32 v28, 0xff, v70
	s_delay_alu instid0(VALU_DEP_1)
	v_cmpx_ne_u16_e32 0, v28
	s_cbranch_execz .LBB326_169
; %bb.162:                              ;   in Loop: Header=BB326_12 Depth=1
	v_bfrev_b32_e32 v68, 1
	s_mov_b32 s43, exec_lo
	v_cmpx_ne_u16_e32 0x80, v28
	s_cbranch_execz .LBB326_168
; %bb.163:                              ;   in Loop: Header=BB326_12 Depth=1
	v_bfe_u32 v71, v69, 16, 7
	v_mov_b32_e32 v68, 0x7f800001
	s_mov_b32 s44, exec_lo
	s_delay_alu instid0(VALU_DEP_2)
	v_cmpx_ne_u32_e32 0x7f, v71
	s_cbranch_execz .LBB326_167
; %bb.164:                              ;   in Loop: Header=BB326_12 Depth=1
	v_dual_lshrrev_b32 v68, 3, v71 :: v_dual_bitop2_b32 v28, 7, v70 bitop3:0x40
	s_mov_b32 s45, exec_lo
	v_cmpx_gt_u32_e32 8, v71
; %bb.165:                              ;   in Loop: Header=BB326_12 Depth=1
	s_delay_alu instid0(VALU_DEP_2) | instskip(NEXT) | instid1(VALU_DEP_1)
	v_clz_i32_u32_e32 v68, v28
	v_min_u32_e32 v68, 32, v68
	s_delay_alu instid0(VALU_DEP_1) | instskip(SKIP_1) | instid1(VALU_DEP_2)
	v_subrev_nc_u32_e32 v71, 28, v68
	v_sub_nc_u32_e32 v68, 29, v68
	v_lshlrev_b64_e32 v[72:73], v71, v[28:29]
	s_delay_alu instid0(VALU_DEP_1)
	v_and_b32_e32 v28, 7, v72
; %bb.166:                              ;   in Loop: Header=BB326_12 Depth=1
	s_or_b32 exec_lo, exec_lo, s45
	s_delay_alu instid0(VALU_DEP_1) | instskip(SKIP_1) | instid1(VALU_DEP_2)
	v_dual_lshlrev_b32 v70, 24, v70 :: v_dual_lshlrev_b32 v28, 20, v28
	v_lshl_add_u32 v68, v68, 23, 0x3c000000
	v_and_b32_e32 v70, 0x80000000, v70
	s_delay_alu instid0(VALU_DEP_1)
	v_or3_b32 v68, v28, v70, v68
.LBB326_167:                            ;   in Loop: Header=BB326_12 Depth=1
	s_or_b32 exec_lo, exec_lo, s44
.LBB326_168:                            ;   in Loop: Header=BB326_12 Depth=1
	s_delay_alu instid0(SALU_CYCLE_1)
	s_or_b32 exec_lo, exec_lo, s43
.LBB326_169:                            ;   in Loop: Header=BB326_12 Depth=1
	s_delay_alu instid0(SALU_CYCLE_1) | instskip(NEXT) | instid1(SALU_CYCLE_1)
	s_or_b32 exec_lo, exec_lo, s42
	s_mov_b32 s42, exec_lo
	v_cmpx_lt_u32_e32 0xffffff, v69
	s_cbranch_execz .LBB326_177
; %bb.170:                              ;   in Loop: Header=BB326_12 Depth=1
	v_lshrrev_b32_e32 v70, 24, v69
	v_bfrev_b32_e32 v67, 1
	s_mov_b32 s43, exec_lo
	s_delay_alu instid0(VALU_DEP_2)
	v_cmpx_ne_u32_e32 0x80, v70
	s_cbranch_execz .LBB326_176
; %bb.171:                              ;   in Loop: Header=BB326_12 Depth=1
	v_bfe_u32 v69, v69, 24, 7
	v_mov_b32_e32 v67, 0x7f800001
	s_mov_b32 s44, exec_lo
	s_delay_alu instid0(VALU_DEP_2)
	v_cmpx_ne_u32_e32 0x7f, v69
	s_cbranch_execz .LBB326_175
; %bb.172:                              ;   in Loop: Header=BB326_12 Depth=1
	v_dual_lshrrev_b32 v67, 3, v69 :: v_dual_bitop2_b32 v28, 7, v70 bitop3:0x40
	s_mov_b32 s45, exec_lo
	v_cmpx_gt_u32_e32 8, v69
; %bb.173:                              ;   in Loop: Header=BB326_12 Depth=1
	s_delay_alu instid0(VALU_DEP_2) | instskip(NEXT) | instid1(VALU_DEP_1)
	v_clz_i32_u32_e32 v67, v28
	v_min_u32_e32 v67, 32, v67
	s_delay_alu instid0(VALU_DEP_1) | instskip(NEXT) | instid1(VALU_DEP_1)
	v_subrev_nc_u32_e32 v69, 28, v67
	v_lshlrev_b64_e32 v[72:73], v69, v[28:29]
	s_delay_alu instid0(VALU_DEP_1)
	v_dual_sub_nc_u32 v67, 29, v67 :: v_dual_bitop2_b32 v28, 7, v72 bitop3:0x40
; %bb.174:                              ;   in Loop: Header=BB326_12 Depth=1
	s_or_b32 exec_lo, exec_lo, s45
	s_delay_alu instid0(VALU_DEP_1) | instskip(NEXT) | instid1(VALU_DEP_2)
	v_dual_lshlrev_b32 v69, 24, v70 :: v_dual_lshlrev_b32 v28, 20, v28
	v_lshl_add_u32 v67, v67, 23, 0x3c000000
	s_delay_alu instid0(VALU_DEP_2) | instskip(NEXT) | instid1(VALU_DEP_1)
	v_and_b32_e32 v69, 0x80000000, v69
	v_or3_b32 v67, v28, v69, v67
.LBB326_175:                            ;   in Loop: Header=BB326_12 Depth=1
	s_or_b32 exec_lo, exec_lo, s44
.LBB326_176:                            ;   in Loop: Header=BB326_12 Depth=1
	s_delay_alu instid0(SALU_CYCLE_1)
	s_or_b32 exec_lo, exec_lo, s43
.LBB326_177:                            ;   in Loop: Header=BB326_12 Depth=1
	s_delay_alu instid0(SALU_CYCLE_1)
	s_or_b32 exec_lo, exec_lo, s42
	global_load_b32 v73, v[36:37], off offset:520
	v_dual_mov_b32 v70, 0 :: v_dual_mov_b32 v69, 0
	s_mov_b32 s42, exec_lo
	s_wait_loadcnt 0x0
	v_and_b32_e32 v28, 0xff, v73
	s_delay_alu instid0(VALU_DEP_1)
	v_cmpx_ne_u16_e32 0, v28
	s_cbranch_execz .LBB326_185
; %bb.178:                              ;   in Loop: Header=BB326_12 Depth=1
	v_bfrev_b32_e32 v69, 1
	s_mov_b32 s43, exec_lo
	v_cmpx_ne_u16_e32 0x80, v28
	s_cbranch_execz .LBB326_184
; %bb.179:                              ;   in Loop: Header=BB326_12 Depth=1
	v_and_b32_e32 v71, 0x7f, v73
	v_mov_b32_e32 v69, 0x7f800001
	s_mov_b32 s44, exec_lo
	s_delay_alu instid0(VALU_DEP_2)
	v_cmpx_ne_u32_e32 0x7f, v71
	s_cbranch_execz .LBB326_183
; %bb.180:                              ;   in Loop: Header=BB326_12 Depth=1
	v_dual_lshrrev_b32 v69, 3, v71 :: v_dual_bitop2_b32 v28, 7, v73 bitop3:0x40
	s_mov_b32 s45, exec_lo
	v_cmpx_gt_u32_e32 8, v71
; %bb.181:                              ;   in Loop: Header=BB326_12 Depth=1
	s_delay_alu instid0(VALU_DEP_2) | instskip(NEXT) | instid1(VALU_DEP_1)
	v_clz_i32_u32_e32 v69, v28
	v_min_u32_e32 v69, 32, v69
	s_delay_alu instid0(VALU_DEP_1) | instskip(NEXT) | instid1(VALU_DEP_1)
	v_subrev_nc_u32_e32 v71, 28, v69
	v_lshlrev_b64_e32 v[74:75], v71, v[28:29]
	s_delay_alu instid0(VALU_DEP_1)
	v_dual_sub_nc_u32 v69, 29, v69 :: v_dual_bitop2_b32 v28, 7, v74 bitop3:0x40
; %bb.182:                              ;   in Loop: Header=BB326_12 Depth=1
	s_or_b32 exec_lo, exec_lo, s45
	s_delay_alu instid0(VALU_DEP_1) | instskip(NEXT) | instid1(VALU_DEP_2)
	v_dual_lshlrev_b32 v71, 24, v73 :: v_dual_lshlrev_b32 v28, 20, v28
	v_lshl_add_u32 v69, v69, 23, 0x3c000000
	s_delay_alu instid0(VALU_DEP_2) | instskip(NEXT) | instid1(VALU_DEP_1)
	v_and_b32_e32 v71, 0x80000000, v71
	v_or3_b32 v69, v28, v71, v69
.LBB326_183:                            ;   in Loop: Header=BB326_12 Depth=1
	s_or_b32 exec_lo, exec_lo, s44
.LBB326_184:                            ;   in Loop: Header=BB326_12 Depth=1
	s_delay_alu instid0(SALU_CYCLE_1)
	s_or_b32 exec_lo, exec_lo, s43
.LBB326_185:                            ;   in Loop: Header=BB326_12 Depth=1
	s_delay_alu instid0(SALU_CYCLE_1) | instskip(SKIP_2) | instid1(VALU_DEP_1)
	s_or_b32 exec_lo, exec_lo, s42
	v_lshrrev_b16 v28, 8, v73
	s_mov_b32 s42, exec_lo
	v_cmpx_ne_u16_e32 0, v28
	s_cbranch_execz .LBB326_193
; %bb.186:                              ;   in Loop: Header=BB326_12 Depth=1
	v_bfrev_b32_e32 v70, 1
	s_mov_b32 s43, exec_lo
	v_cmpx_ne_u16_e32 0x80, v28
	s_cbranch_execz .LBB326_192
; %bb.187:                              ;   in Loop: Header=BB326_12 Depth=1
	v_and_b32_e32 v28, 0xffff, v28
	v_mov_b32_e32 v70, 0x7f800001
	s_mov_b32 s44, exec_lo
	s_delay_alu instid0(VALU_DEP_2) | instskip(NEXT) | instid1(VALU_DEP_1)
	v_and_b32_e32 v71, 0x7f, v28
	v_cmpx_ne_u32_e32 0x7f, v71
	s_cbranch_execz .LBB326_191
; %bb.188:                              ;   in Loop: Header=BB326_12 Depth=1
	v_dual_lshrrev_b32 v70, 3, v71 :: v_dual_bitop2_b32 v28, 7, v28 bitop3:0x40
	s_mov_b32 s45, exec_lo
	v_cmpx_gt_u32_e32 8, v71
; %bb.189:                              ;   in Loop: Header=BB326_12 Depth=1
	s_delay_alu instid0(VALU_DEP_2) | instskip(NEXT) | instid1(VALU_DEP_1)
	v_clz_i32_u32_e32 v70, v28
	v_min_u32_e32 v70, 32, v70
	s_delay_alu instid0(VALU_DEP_1) | instskip(SKIP_1) | instid1(VALU_DEP_2)
	v_subrev_nc_u32_e32 v71, 28, v70
	v_sub_nc_u32_e32 v70, 29, v70
	v_lshlrev_b64_e32 v[74:75], v71, v[28:29]
	s_delay_alu instid0(VALU_DEP_1)
	v_and_b32_e32 v28, 7, v74
; %bb.190:                              ;   in Loop: Header=BB326_12 Depth=1
	s_or_b32 exec_lo, exec_lo, s45
	s_delay_alu instid0(VALU_DEP_1) | instskip(SKIP_1) | instid1(VALU_DEP_2)
	v_dual_lshlrev_b32 v71, 16, v73 :: v_dual_lshlrev_b32 v28, 20, v28
	v_lshl_add_u32 v70, v70, 23, 0x3c000000
	v_and_b32_e32 v71, 0x80000000, v71
	s_delay_alu instid0(VALU_DEP_1)
	v_or3_b32 v70, v28, v71, v70
.LBB326_191:                            ;   in Loop: Header=BB326_12 Depth=1
	s_or_b32 exec_lo, exec_lo, s44
.LBB326_192:                            ;   in Loop: Header=BB326_12 Depth=1
	s_delay_alu instid0(SALU_CYCLE_1)
	s_or_b32 exec_lo, exec_lo, s43
.LBB326_193:                            ;   in Loop: Header=BB326_12 Depth=1
	s_delay_alu instid0(SALU_CYCLE_1) | instskip(SKIP_3) | instid1(VALU_DEP_2)
	s_or_b32 exec_lo, exec_lo, s42
	v_dual_mov_b32 v71, 0 :: v_dual_lshrrev_b32 v74, 16, v73
	v_mov_b32_e32 v72, 0
	s_mov_b32 s42, exec_lo
	v_and_b32_e32 v28, 0xff, v74
	s_delay_alu instid0(VALU_DEP_1)
	v_cmpx_ne_u16_e32 0, v28
	s_cbranch_execz .LBB326_201
; %bb.194:                              ;   in Loop: Header=BB326_12 Depth=1
	v_bfrev_b32_e32 v72, 1
	s_mov_b32 s43, exec_lo
	v_cmpx_ne_u16_e32 0x80, v28
	s_cbranch_execz .LBB326_200
; %bb.195:                              ;   in Loop: Header=BB326_12 Depth=1
	v_bfe_u32 v75, v73, 16, 7
	v_mov_b32_e32 v72, 0x7f800001
	s_mov_b32 s44, exec_lo
	s_delay_alu instid0(VALU_DEP_2)
	v_cmpx_ne_u32_e32 0x7f, v75
	s_cbranch_execz .LBB326_199
; %bb.196:                              ;   in Loop: Header=BB326_12 Depth=1
	v_dual_lshrrev_b32 v72, 3, v75 :: v_dual_bitop2_b32 v28, 7, v74 bitop3:0x40
	s_mov_b32 s45, exec_lo
	v_cmpx_gt_u32_e32 8, v75
; %bb.197:                              ;   in Loop: Header=BB326_12 Depth=1
	s_delay_alu instid0(VALU_DEP_2) | instskip(NEXT) | instid1(VALU_DEP_1)
	v_clz_i32_u32_e32 v72, v28
	v_min_u32_e32 v72, 32, v72
	s_delay_alu instid0(VALU_DEP_1) | instskip(SKIP_1) | instid1(VALU_DEP_2)
	v_subrev_nc_u32_e32 v75, 28, v72
	v_sub_nc_u32_e32 v72, 29, v72
	v_lshlrev_b64_e32 v[76:77], v75, v[28:29]
	s_delay_alu instid0(VALU_DEP_1)
	v_and_b32_e32 v28, 7, v76
; %bb.198:                              ;   in Loop: Header=BB326_12 Depth=1
	s_or_b32 exec_lo, exec_lo, s45
	s_delay_alu instid0(VALU_DEP_1) | instskip(SKIP_1) | instid1(VALU_DEP_2)
	v_dual_lshlrev_b32 v74, 24, v74 :: v_dual_lshlrev_b32 v28, 20, v28
	v_lshl_add_u32 v72, v72, 23, 0x3c000000
	v_and_b32_e32 v74, 0x80000000, v74
	s_delay_alu instid0(VALU_DEP_1)
	v_or3_b32 v72, v28, v74, v72
.LBB326_199:                            ;   in Loop: Header=BB326_12 Depth=1
	s_or_b32 exec_lo, exec_lo, s44
.LBB326_200:                            ;   in Loop: Header=BB326_12 Depth=1
	s_delay_alu instid0(SALU_CYCLE_1)
	s_or_b32 exec_lo, exec_lo, s43
.LBB326_201:                            ;   in Loop: Header=BB326_12 Depth=1
	s_delay_alu instid0(SALU_CYCLE_1) | instskip(NEXT) | instid1(SALU_CYCLE_1)
	s_or_b32 exec_lo, exec_lo, s42
	s_mov_b32 s42, exec_lo
	v_cmpx_lt_u32_e32 0xffffff, v73
	s_cbranch_execz .LBB326_209
; %bb.202:                              ;   in Loop: Header=BB326_12 Depth=1
	v_lshrrev_b32_e32 v74, 24, v73
	v_bfrev_b32_e32 v71, 1
	s_mov_b32 s43, exec_lo
	s_delay_alu instid0(VALU_DEP_2)
	v_cmpx_ne_u32_e32 0x80, v74
	s_cbranch_execz .LBB326_208
; %bb.203:                              ;   in Loop: Header=BB326_12 Depth=1
	v_bfe_u32 v73, v73, 24, 7
	v_mov_b32_e32 v71, 0x7f800001
	s_mov_b32 s44, exec_lo
	s_delay_alu instid0(VALU_DEP_2)
	v_cmpx_ne_u32_e32 0x7f, v73
	s_cbranch_execz .LBB326_207
; %bb.204:                              ;   in Loop: Header=BB326_12 Depth=1
	v_dual_lshrrev_b32 v71, 3, v73 :: v_dual_bitop2_b32 v28, 7, v74 bitop3:0x40
	s_mov_b32 s45, exec_lo
	v_cmpx_gt_u32_e32 8, v73
; %bb.205:                              ;   in Loop: Header=BB326_12 Depth=1
	s_delay_alu instid0(VALU_DEP_2) | instskip(NEXT) | instid1(VALU_DEP_1)
	v_clz_i32_u32_e32 v71, v28
	v_min_u32_e32 v71, 32, v71
	s_delay_alu instid0(VALU_DEP_1) | instskip(NEXT) | instid1(VALU_DEP_1)
	v_subrev_nc_u32_e32 v73, 28, v71
	v_lshlrev_b64_e32 v[76:77], v73, v[28:29]
	s_delay_alu instid0(VALU_DEP_1)
	v_dual_sub_nc_u32 v71, 29, v71 :: v_dual_bitop2_b32 v28, 7, v76 bitop3:0x40
; %bb.206:                              ;   in Loop: Header=BB326_12 Depth=1
	s_or_b32 exec_lo, exec_lo, s45
	s_delay_alu instid0(VALU_DEP_1) | instskip(NEXT) | instid1(VALU_DEP_2)
	v_dual_lshlrev_b32 v73, 24, v74 :: v_dual_lshlrev_b32 v28, 20, v28
	v_lshl_add_u32 v71, v71, 23, 0x3c000000
	s_delay_alu instid0(VALU_DEP_2) | instskip(NEXT) | instid1(VALU_DEP_1)
	v_and_b32_e32 v73, 0x80000000, v73
	v_or3_b32 v71, v28, v73, v71
.LBB326_207:                            ;   in Loop: Header=BB326_12 Depth=1
	s_or_b32 exec_lo, exec_lo, s44
.LBB326_208:                            ;   in Loop: Header=BB326_12 Depth=1
	s_delay_alu instid0(SALU_CYCLE_1)
	s_or_b32 exec_lo, exec_lo, s43
.LBB326_209:                            ;   in Loop: Header=BB326_12 Depth=1
	s_delay_alu instid0(SALU_CYCLE_1)
	s_or_b32 exec_lo, exec_lo, s42
	global_load_b32 v77, v[36:37], off offset:768
	v_dual_mov_b32 v74, 0 :: v_dual_mov_b32 v73, 0
	s_mov_b32 s42, exec_lo
	s_wait_loadcnt 0x0
	v_and_b32_e32 v28, 0xff, v77
	s_delay_alu instid0(VALU_DEP_1)
	v_cmpx_ne_u16_e32 0, v28
	s_cbranch_execz .LBB326_217
; %bb.210:                              ;   in Loop: Header=BB326_12 Depth=1
	v_bfrev_b32_e32 v73, 1
	s_mov_b32 s43, exec_lo
	v_cmpx_ne_u16_e32 0x80, v28
	s_cbranch_execz .LBB326_216
; %bb.211:                              ;   in Loop: Header=BB326_12 Depth=1
	v_and_b32_e32 v75, 0x7f, v77
	v_mov_b32_e32 v73, 0x7f800001
	s_mov_b32 s44, exec_lo
	s_delay_alu instid0(VALU_DEP_2)
	v_cmpx_ne_u32_e32 0x7f, v75
	s_cbranch_execz .LBB326_215
; %bb.212:                              ;   in Loop: Header=BB326_12 Depth=1
	v_dual_lshrrev_b32 v73, 3, v75 :: v_dual_bitop2_b32 v28, 7, v77 bitop3:0x40
	s_mov_b32 s45, exec_lo
	v_cmpx_gt_u32_e32 8, v75
; %bb.213:                              ;   in Loop: Header=BB326_12 Depth=1
	s_delay_alu instid0(VALU_DEP_2) | instskip(NEXT) | instid1(VALU_DEP_1)
	v_clz_i32_u32_e32 v73, v28
	v_min_u32_e32 v73, 32, v73
	s_delay_alu instid0(VALU_DEP_1) | instskip(NEXT) | instid1(VALU_DEP_1)
	v_subrev_nc_u32_e32 v75, 28, v73
	v_lshlrev_b64_e32 v[78:79], v75, v[28:29]
	s_delay_alu instid0(VALU_DEP_1)
	v_dual_sub_nc_u32 v73, 29, v73 :: v_dual_bitop2_b32 v28, 7, v78 bitop3:0x40
; %bb.214:                              ;   in Loop: Header=BB326_12 Depth=1
	s_or_b32 exec_lo, exec_lo, s45
	s_delay_alu instid0(VALU_DEP_1) | instskip(NEXT) | instid1(VALU_DEP_2)
	v_dual_lshlrev_b32 v75, 24, v77 :: v_dual_lshlrev_b32 v28, 20, v28
	v_lshl_add_u32 v73, v73, 23, 0x3c000000
	s_delay_alu instid0(VALU_DEP_2) | instskip(NEXT) | instid1(VALU_DEP_1)
	v_and_b32_e32 v75, 0x80000000, v75
	v_or3_b32 v73, v28, v75, v73
.LBB326_215:                            ;   in Loop: Header=BB326_12 Depth=1
	s_or_b32 exec_lo, exec_lo, s44
.LBB326_216:                            ;   in Loop: Header=BB326_12 Depth=1
	s_delay_alu instid0(SALU_CYCLE_1)
	s_or_b32 exec_lo, exec_lo, s43
.LBB326_217:                            ;   in Loop: Header=BB326_12 Depth=1
	s_delay_alu instid0(SALU_CYCLE_1) | instskip(SKIP_2) | instid1(VALU_DEP_1)
	s_or_b32 exec_lo, exec_lo, s42
	v_lshrrev_b16 v28, 8, v77
	s_mov_b32 s42, exec_lo
	v_cmpx_ne_u16_e32 0, v28
	s_cbranch_execz .LBB326_225
; %bb.218:                              ;   in Loop: Header=BB326_12 Depth=1
	v_bfrev_b32_e32 v74, 1
	s_mov_b32 s43, exec_lo
	v_cmpx_ne_u16_e32 0x80, v28
	s_cbranch_execz .LBB326_224
; %bb.219:                              ;   in Loop: Header=BB326_12 Depth=1
	v_and_b32_e32 v28, 0xffff, v28
	v_mov_b32_e32 v74, 0x7f800001
	s_mov_b32 s44, exec_lo
	s_delay_alu instid0(VALU_DEP_2) | instskip(NEXT) | instid1(VALU_DEP_1)
	v_and_b32_e32 v75, 0x7f, v28
	v_cmpx_ne_u32_e32 0x7f, v75
	s_cbranch_execz .LBB326_223
; %bb.220:                              ;   in Loop: Header=BB326_12 Depth=1
	v_dual_lshrrev_b32 v74, 3, v75 :: v_dual_bitop2_b32 v28, 7, v28 bitop3:0x40
	s_mov_b32 s45, exec_lo
	v_cmpx_gt_u32_e32 8, v75
; %bb.221:                              ;   in Loop: Header=BB326_12 Depth=1
	s_delay_alu instid0(VALU_DEP_2) | instskip(NEXT) | instid1(VALU_DEP_1)
	v_clz_i32_u32_e32 v74, v28
	v_min_u32_e32 v74, 32, v74
	s_delay_alu instid0(VALU_DEP_1) | instskip(SKIP_1) | instid1(VALU_DEP_2)
	v_subrev_nc_u32_e32 v75, 28, v74
	v_sub_nc_u32_e32 v74, 29, v74
	v_lshlrev_b64_e32 v[78:79], v75, v[28:29]
	s_delay_alu instid0(VALU_DEP_1)
	v_and_b32_e32 v28, 7, v78
; %bb.222:                              ;   in Loop: Header=BB326_12 Depth=1
	s_or_b32 exec_lo, exec_lo, s45
	s_delay_alu instid0(VALU_DEP_1) | instskip(SKIP_1) | instid1(VALU_DEP_2)
	v_dual_lshlrev_b32 v75, 16, v77 :: v_dual_lshlrev_b32 v28, 20, v28
	v_lshl_add_u32 v74, v74, 23, 0x3c000000
	v_and_b32_e32 v75, 0x80000000, v75
	s_delay_alu instid0(VALU_DEP_1)
	v_or3_b32 v74, v28, v75, v74
.LBB326_223:                            ;   in Loop: Header=BB326_12 Depth=1
	s_or_b32 exec_lo, exec_lo, s44
.LBB326_224:                            ;   in Loop: Header=BB326_12 Depth=1
	s_delay_alu instid0(SALU_CYCLE_1)
	s_or_b32 exec_lo, exec_lo, s43
.LBB326_225:                            ;   in Loop: Header=BB326_12 Depth=1
	s_delay_alu instid0(SALU_CYCLE_1) | instskip(SKIP_3) | instid1(VALU_DEP_2)
	s_or_b32 exec_lo, exec_lo, s42
	v_dual_mov_b32 v75, 0 :: v_dual_lshrrev_b32 v78, 16, v77
	v_mov_b32_e32 v76, 0
	s_mov_b32 s42, exec_lo
	v_and_b32_e32 v28, 0xff, v78
	s_delay_alu instid0(VALU_DEP_1)
	v_cmpx_ne_u16_e32 0, v28
	s_cbranch_execz .LBB326_233
; %bb.226:                              ;   in Loop: Header=BB326_12 Depth=1
	v_bfrev_b32_e32 v76, 1
	s_mov_b32 s43, exec_lo
	v_cmpx_ne_u16_e32 0x80, v28
	s_cbranch_execz .LBB326_232
; %bb.227:                              ;   in Loop: Header=BB326_12 Depth=1
	v_bfe_u32 v79, v77, 16, 7
	v_mov_b32_e32 v76, 0x7f800001
	s_mov_b32 s44, exec_lo
	s_delay_alu instid0(VALU_DEP_2)
	v_cmpx_ne_u32_e32 0x7f, v79
	s_cbranch_execz .LBB326_231
; %bb.228:                              ;   in Loop: Header=BB326_12 Depth=1
	v_dual_lshrrev_b32 v76, 3, v79 :: v_dual_bitop2_b32 v28, 7, v78 bitop3:0x40
	s_mov_b32 s45, exec_lo
	v_cmpx_gt_u32_e32 8, v79
; %bb.229:                              ;   in Loop: Header=BB326_12 Depth=1
	s_delay_alu instid0(VALU_DEP_2) | instskip(NEXT) | instid1(VALU_DEP_1)
	v_clz_i32_u32_e32 v76, v28
	v_min_u32_e32 v76, 32, v76
	s_delay_alu instid0(VALU_DEP_1) | instskip(SKIP_1) | instid1(VALU_DEP_2)
	v_subrev_nc_u32_e32 v79, 28, v76
	v_sub_nc_u32_e32 v76, 29, v76
	v_lshlrev_b64_e32 v[80:81], v79, v[28:29]
	s_delay_alu instid0(VALU_DEP_1)
	v_and_b32_e32 v28, 7, v80
; %bb.230:                              ;   in Loop: Header=BB326_12 Depth=1
	s_or_b32 exec_lo, exec_lo, s45
	s_delay_alu instid0(VALU_DEP_1) | instskip(SKIP_1) | instid1(VALU_DEP_2)
	v_dual_lshlrev_b32 v78, 24, v78 :: v_dual_lshlrev_b32 v28, 20, v28
	v_lshl_add_u32 v76, v76, 23, 0x3c000000
	v_and_b32_e32 v78, 0x80000000, v78
	s_delay_alu instid0(VALU_DEP_1)
	v_or3_b32 v76, v28, v78, v76
.LBB326_231:                            ;   in Loop: Header=BB326_12 Depth=1
	s_or_b32 exec_lo, exec_lo, s44
.LBB326_232:                            ;   in Loop: Header=BB326_12 Depth=1
	s_delay_alu instid0(SALU_CYCLE_1)
	s_or_b32 exec_lo, exec_lo, s43
.LBB326_233:                            ;   in Loop: Header=BB326_12 Depth=1
	s_delay_alu instid0(SALU_CYCLE_1) | instskip(NEXT) | instid1(SALU_CYCLE_1)
	s_or_b32 exec_lo, exec_lo, s42
	s_mov_b32 s42, exec_lo
	v_cmpx_lt_u32_e32 0xffffff, v77
	s_cbranch_execz .LBB326_241
; %bb.234:                              ;   in Loop: Header=BB326_12 Depth=1
	v_lshrrev_b32_e32 v78, 24, v77
	v_bfrev_b32_e32 v75, 1
	s_mov_b32 s43, exec_lo
	s_delay_alu instid0(VALU_DEP_2)
	v_cmpx_ne_u32_e32 0x80, v78
	s_cbranch_execz .LBB326_240
; %bb.235:                              ;   in Loop: Header=BB326_12 Depth=1
	v_bfe_u32 v77, v77, 24, 7
	v_mov_b32_e32 v75, 0x7f800001
	s_mov_b32 s44, exec_lo
	s_delay_alu instid0(VALU_DEP_2)
	v_cmpx_ne_u32_e32 0x7f, v77
	s_cbranch_execz .LBB326_239
; %bb.236:                              ;   in Loop: Header=BB326_12 Depth=1
	v_dual_lshrrev_b32 v75, 3, v77 :: v_dual_bitop2_b32 v28, 7, v78 bitop3:0x40
	s_mov_b32 s45, exec_lo
	v_cmpx_gt_u32_e32 8, v77
; %bb.237:                              ;   in Loop: Header=BB326_12 Depth=1
	s_delay_alu instid0(VALU_DEP_2) | instskip(NEXT) | instid1(VALU_DEP_1)
	v_clz_i32_u32_e32 v75, v28
	v_min_u32_e32 v75, 32, v75
	s_delay_alu instid0(VALU_DEP_1) | instskip(NEXT) | instid1(VALU_DEP_1)
	v_subrev_nc_u32_e32 v77, 28, v75
	v_lshlrev_b64_e32 v[80:81], v77, v[28:29]
	s_delay_alu instid0(VALU_DEP_1)
	v_dual_sub_nc_u32 v75, 29, v75 :: v_dual_bitop2_b32 v28, 7, v80 bitop3:0x40
; %bb.238:                              ;   in Loop: Header=BB326_12 Depth=1
	s_or_b32 exec_lo, exec_lo, s45
	s_delay_alu instid0(VALU_DEP_1) | instskip(NEXT) | instid1(VALU_DEP_2)
	v_dual_lshlrev_b32 v77, 24, v78 :: v_dual_lshlrev_b32 v28, 20, v28
	v_lshl_add_u32 v75, v75, 23, 0x3c000000
	s_delay_alu instid0(VALU_DEP_2) | instskip(NEXT) | instid1(VALU_DEP_1)
	v_and_b32_e32 v77, 0x80000000, v77
	v_or3_b32 v75, v28, v77, v75
.LBB326_239:                            ;   in Loop: Header=BB326_12 Depth=1
	s_or_b32 exec_lo, exec_lo, s44
.LBB326_240:                            ;   in Loop: Header=BB326_12 Depth=1
	s_delay_alu instid0(SALU_CYCLE_1)
	s_or_b32 exec_lo, exec_lo, s43
.LBB326_241:                            ;   in Loop: Header=BB326_12 Depth=1
	s_delay_alu instid0(SALU_CYCLE_1)
	s_or_b32 exec_lo, exec_lo, s42
	global_load_b32 v81, v[36:37], off offset:776
	v_dual_mov_b32 v78, 0 :: v_dual_mov_b32 v77, 0
	s_mov_b32 s42, exec_lo
	s_wait_loadcnt 0x0
	v_and_b32_e32 v28, 0xff, v81
	s_delay_alu instid0(VALU_DEP_1)
	v_cmpx_ne_u16_e32 0, v28
	s_cbranch_execz .LBB326_249
; %bb.242:                              ;   in Loop: Header=BB326_12 Depth=1
	v_bfrev_b32_e32 v77, 1
	s_mov_b32 s43, exec_lo
	v_cmpx_ne_u16_e32 0x80, v28
	s_cbranch_execz .LBB326_248
; %bb.243:                              ;   in Loop: Header=BB326_12 Depth=1
	v_and_b32_e32 v79, 0x7f, v81
	v_mov_b32_e32 v77, 0x7f800001
	s_mov_b32 s44, exec_lo
	s_delay_alu instid0(VALU_DEP_2)
	v_cmpx_ne_u32_e32 0x7f, v79
	s_cbranch_execz .LBB326_247
; %bb.244:                              ;   in Loop: Header=BB326_12 Depth=1
	v_dual_lshrrev_b32 v77, 3, v79 :: v_dual_bitop2_b32 v28, 7, v81 bitop3:0x40
	s_mov_b32 s45, exec_lo
	v_cmpx_gt_u32_e32 8, v79
; %bb.245:                              ;   in Loop: Header=BB326_12 Depth=1
	s_delay_alu instid0(VALU_DEP_2) | instskip(NEXT) | instid1(VALU_DEP_1)
	v_clz_i32_u32_e32 v77, v28
	v_min_u32_e32 v77, 32, v77
	s_delay_alu instid0(VALU_DEP_1) | instskip(NEXT) | instid1(VALU_DEP_1)
	v_subrev_nc_u32_e32 v79, 28, v77
	v_lshlrev_b64_e32 v[82:83], v79, v[28:29]
	s_delay_alu instid0(VALU_DEP_1)
	v_dual_sub_nc_u32 v77, 29, v77 :: v_dual_bitop2_b32 v28, 7, v82 bitop3:0x40
; %bb.246:                              ;   in Loop: Header=BB326_12 Depth=1
	s_or_b32 exec_lo, exec_lo, s45
	s_delay_alu instid0(VALU_DEP_1) | instskip(NEXT) | instid1(VALU_DEP_2)
	v_dual_lshlrev_b32 v79, 24, v81 :: v_dual_lshlrev_b32 v28, 20, v28
	v_lshl_add_u32 v77, v77, 23, 0x3c000000
	s_delay_alu instid0(VALU_DEP_2) | instskip(NEXT) | instid1(VALU_DEP_1)
	v_and_b32_e32 v79, 0x80000000, v79
	v_or3_b32 v77, v28, v79, v77
.LBB326_247:                            ;   in Loop: Header=BB326_12 Depth=1
	s_or_b32 exec_lo, exec_lo, s44
.LBB326_248:                            ;   in Loop: Header=BB326_12 Depth=1
	s_delay_alu instid0(SALU_CYCLE_1)
	s_or_b32 exec_lo, exec_lo, s43
.LBB326_249:                            ;   in Loop: Header=BB326_12 Depth=1
	s_delay_alu instid0(SALU_CYCLE_1) | instskip(SKIP_2) | instid1(VALU_DEP_1)
	s_or_b32 exec_lo, exec_lo, s42
	v_lshrrev_b16 v28, 8, v81
	s_mov_b32 s42, exec_lo
	v_cmpx_ne_u16_e32 0, v28
	s_cbranch_execz .LBB326_257
; %bb.250:                              ;   in Loop: Header=BB326_12 Depth=1
	v_bfrev_b32_e32 v78, 1
	s_mov_b32 s43, exec_lo
	v_cmpx_ne_u16_e32 0x80, v28
	s_cbranch_execz .LBB326_256
; %bb.251:                              ;   in Loop: Header=BB326_12 Depth=1
	v_and_b32_e32 v28, 0xffff, v28
	v_mov_b32_e32 v78, 0x7f800001
	s_mov_b32 s44, exec_lo
	s_delay_alu instid0(VALU_DEP_2) | instskip(NEXT) | instid1(VALU_DEP_1)
	v_and_b32_e32 v79, 0x7f, v28
	v_cmpx_ne_u32_e32 0x7f, v79
	s_cbranch_execz .LBB326_255
; %bb.252:                              ;   in Loop: Header=BB326_12 Depth=1
	v_dual_lshrrev_b32 v78, 3, v79 :: v_dual_bitop2_b32 v28, 7, v28 bitop3:0x40
	s_mov_b32 s45, exec_lo
	v_cmpx_gt_u32_e32 8, v79
; %bb.253:                              ;   in Loop: Header=BB326_12 Depth=1
	s_delay_alu instid0(VALU_DEP_2) | instskip(NEXT) | instid1(VALU_DEP_1)
	v_clz_i32_u32_e32 v78, v28
	v_min_u32_e32 v78, 32, v78
	s_delay_alu instid0(VALU_DEP_1) | instskip(SKIP_1) | instid1(VALU_DEP_2)
	v_subrev_nc_u32_e32 v79, 28, v78
	v_sub_nc_u32_e32 v78, 29, v78
	v_lshlrev_b64_e32 v[82:83], v79, v[28:29]
	s_delay_alu instid0(VALU_DEP_1)
	v_and_b32_e32 v28, 7, v82
; %bb.254:                              ;   in Loop: Header=BB326_12 Depth=1
	s_or_b32 exec_lo, exec_lo, s45
	s_delay_alu instid0(VALU_DEP_1) | instskip(SKIP_1) | instid1(VALU_DEP_2)
	v_dual_lshlrev_b32 v79, 16, v81 :: v_dual_lshlrev_b32 v28, 20, v28
	v_lshl_add_u32 v78, v78, 23, 0x3c000000
	v_and_b32_e32 v79, 0x80000000, v79
	s_delay_alu instid0(VALU_DEP_1)
	v_or3_b32 v78, v28, v79, v78
.LBB326_255:                            ;   in Loop: Header=BB326_12 Depth=1
	s_or_b32 exec_lo, exec_lo, s44
.LBB326_256:                            ;   in Loop: Header=BB326_12 Depth=1
	s_delay_alu instid0(SALU_CYCLE_1)
	s_or_b32 exec_lo, exec_lo, s43
.LBB326_257:                            ;   in Loop: Header=BB326_12 Depth=1
	s_delay_alu instid0(SALU_CYCLE_1) | instskip(SKIP_3) | instid1(VALU_DEP_2)
	s_or_b32 exec_lo, exec_lo, s42
	v_dual_mov_b32 v79, 0 :: v_dual_lshrrev_b32 v82, 16, v81
	v_mov_b32_e32 v80, 0
	s_mov_b32 s42, exec_lo
	v_and_b32_e32 v28, 0xff, v82
	s_delay_alu instid0(VALU_DEP_1)
	v_cmpx_ne_u16_e32 0, v28
	s_cbranch_execz .LBB326_265
; %bb.258:                              ;   in Loop: Header=BB326_12 Depth=1
	v_bfrev_b32_e32 v80, 1
	s_mov_b32 s43, exec_lo
	v_cmpx_ne_u16_e32 0x80, v28
	s_cbranch_execz .LBB326_264
; %bb.259:                              ;   in Loop: Header=BB326_12 Depth=1
	v_bfe_u32 v83, v81, 16, 7
	v_mov_b32_e32 v80, 0x7f800001
	s_mov_b32 s44, exec_lo
	s_delay_alu instid0(VALU_DEP_2)
	v_cmpx_ne_u32_e32 0x7f, v83
	s_cbranch_execz .LBB326_263
; %bb.260:                              ;   in Loop: Header=BB326_12 Depth=1
	v_dual_lshrrev_b32 v80, 3, v83 :: v_dual_bitop2_b32 v28, 7, v82 bitop3:0x40
	s_mov_b32 s45, exec_lo
	v_cmpx_gt_u32_e32 8, v83
; %bb.261:                              ;   in Loop: Header=BB326_12 Depth=1
	s_delay_alu instid0(VALU_DEP_2) | instskip(NEXT) | instid1(VALU_DEP_1)
	v_clz_i32_u32_e32 v80, v28
	v_min_u32_e32 v80, 32, v80
	s_delay_alu instid0(VALU_DEP_1) | instskip(SKIP_1) | instid1(VALU_DEP_2)
	v_subrev_nc_u32_e32 v83, 28, v80
	v_sub_nc_u32_e32 v80, 29, v80
	v_lshlrev_b64_e32 v[84:85], v83, v[28:29]
	s_delay_alu instid0(VALU_DEP_1)
	v_and_b32_e32 v28, 7, v84
; %bb.262:                              ;   in Loop: Header=BB326_12 Depth=1
	s_or_b32 exec_lo, exec_lo, s45
	s_delay_alu instid0(VALU_DEP_1) | instskip(SKIP_1) | instid1(VALU_DEP_2)
	v_dual_lshlrev_b32 v82, 24, v82 :: v_dual_lshlrev_b32 v28, 20, v28
	v_lshl_add_u32 v80, v80, 23, 0x3c000000
	v_and_b32_e32 v82, 0x80000000, v82
	s_delay_alu instid0(VALU_DEP_1)
	v_or3_b32 v80, v28, v82, v80
.LBB326_263:                            ;   in Loop: Header=BB326_12 Depth=1
	s_or_b32 exec_lo, exec_lo, s44
.LBB326_264:                            ;   in Loop: Header=BB326_12 Depth=1
	s_delay_alu instid0(SALU_CYCLE_1)
	s_or_b32 exec_lo, exec_lo, s43
.LBB326_265:                            ;   in Loop: Header=BB326_12 Depth=1
	s_delay_alu instid0(SALU_CYCLE_1) | instskip(NEXT) | instid1(SALU_CYCLE_1)
	s_or_b32 exec_lo, exec_lo, s42
	s_mov_b32 s42, exec_lo
	v_cmpx_lt_u32_e32 0xffffff, v81
	s_cbranch_execz .LBB326_273
; %bb.266:                              ;   in Loop: Header=BB326_12 Depth=1
	v_lshrrev_b32_e32 v82, 24, v81
	v_bfrev_b32_e32 v79, 1
	s_mov_b32 s43, exec_lo
	s_delay_alu instid0(VALU_DEP_2)
	v_cmpx_ne_u32_e32 0x80, v82
	s_cbranch_execz .LBB326_272
; %bb.267:                              ;   in Loop: Header=BB326_12 Depth=1
	v_bfe_u32 v81, v81, 24, 7
	v_mov_b32_e32 v79, 0x7f800001
	s_mov_b32 s44, exec_lo
	s_delay_alu instid0(VALU_DEP_2)
	v_cmpx_ne_u32_e32 0x7f, v81
	s_cbranch_execz .LBB326_271
; %bb.268:                              ;   in Loop: Header=BB326_12 Depth=1
	v_dual_lshrrev_b32 v79, 3, v81 :: v_dual_bitop2_b32 v28, 7, v82 bitop3:0x40
	s_mov_b32 s45, exec_lo
	v_cmpx_gt_u32_e32 8, v81
; %bb.269:                              ;   in Loop: Header=BB326_12 Depth=1
	s_delay_alu instid0(VALU_DEP_2) | instskip(NEXT) | instid1(VALU_DEP_1)
	v_clz_i32_u32_e32 v79, v28
	v_min_u32_e32 v79, 32, v79
	s_delay_alu instid0(VALU_DEP_1) | instskip(NEXT) | instid1(VALU_DEP_1)
	v_subrev_nc_u32_e32 v81, 28, v79
	v_lshlrev_b64_e32 v[84:85], v81, v[28:29]
	s_delay_alu instid0(VALU_DEP_1)
	v_dual_sub_nc_u32 v79, 29, v79 :: v_dual_bitop2_b32 v28, 7, v84 bitop3:0x40
; %bb.270:                              ;   in Loop: Header=BB326_12 Depth=1
	s_or_b32 exec_lo, exec_lo, s45
	s_delay_alu instid0(VALU_DEP_1) | instskip(NEXT) | instid1(VALU_DEP_2)
	v_dual_lshlrev_b32 v81, 24, v82 :: v_dual_lshlrev_b32 v28, 20, v28
	v_lshl_add_u32 v79, v79, 23, 0x3c000000
	s_delay_alu instid0(VALU_DEP_2) | instskip(NEXT) | instid1(VALU_DEP_1)
	v_and_b32_e32 v81, 0x80000000, v81
	v_or3_b32 v79, v28, v81, v79
.LBB326_271:                            ;   in Loop: Header=BB326_12 Depth=1
	s_or_b32 exec_lo, exec_lo, s44
.LBB326_272:                            ;   in Loop: Header=BB326_12 Depth=1
	s_delay_alu instid0(SALU_CYCLE_1)
	s_or_b32 exec_lo, exec_lo, s43
.LBB326_273:                            ;   in Loop: Header=BB326_12 Depth=1
	s_delay_alu instid0(SALU_CYCLE_1)
	s_or_b32 exec_lo, exec_lo, s42
	global_load_b32 v85, v[36:37], off offset:1024
	v_dual_mov_b32 v82, 0 :: v_dual_mov_b32 v81, 0
	s_mov_b32 s42, exec_lo
	s_wait_loadcnt 0x0
	v_and_b32_e32 v28, 0xff, v85
	s_delay_alu instid0(VALU_DEP_1)
	v_cmpx_ne_u16_e32 0, v28
	s_cbranch_execz .LBB326_281
; %bb.274:                              ;   in Loop: Header=BB326_12 Depth=1
	v_bfrev_b32_e32 v81, 1
	s_mov_b32 s43, exec_lo
	v_cmpx_ne_u16_e32 0x80, v28
	s_cbranch_execz .LBB326_280
; %bb.275:                              ;   in Loop: Header=BB326_12 Depth=1
	v_and_b32_e32 v83, 0x7f, v85
	v_mov_b32_e32 v81, 0x7f800001
	s_mov_b32 s44, exec_lo
	s_delay_alu instid0(VALU_DEP_2)
	v_cmpx_ne_u32_e32 0x7f, v83
	s_cbranch_execz .LBB326_279
; %bb.276:                              ;   in Loop: Header=BB326_12 Depth=1
	v_dual_lshrrev_b32 v81, 3, v83 :: v_dual_bitop2_b32 v28, 7, v85 bitop3:0x40
	s_mov_b32 s45, exec_lo
	v_cmpx_gt_u32_e32 8, v83
; %bb.277:                              ;   in Loop: Header=BB326_12 Depth=1
	s_delay_alu instid0(VALU_DEP_2) | instskip(NEXT) | instid1(VALU_DEP_1)
	v_clz_i32_u32_e32 v81, v28
	v_min_u32_e32 v81, 32, v81
	s_delay_alu instid0(VALU_DEP_1) | instskip(NEXT) | instid1(VALU_DEP_1)
	v_subrev_nc_u32_e32 v83, 28, v81
	v_lshlrev_b64_e32 v[86:87], v83, v[28:29]
	s_delay_alu instid0(VALU_DEP_1)
	v_dual_sub_nc_u32 v81, 29, v81 :: v_dual_bitop2_b32 v28, 7, v86 bitop3:0x40
; %bb.278:                              ;   in Loop: Header=BB326_12 Depth=1
	s_or_b32 exec_lo, exec_lo, s45
	s_delay_alu instid0(VALU_DEP_1) | instskip(NEXT) | instid1(VALU_DEP_2)
	v_dual_lshlrev_b32 v83, 24, v85 :: v_dual_lshlrev_b32 v28, 20, v28
	v_lshl_add_u32 v81, v81, 23, 0x3c000000
	s_delay_alu instid0(VALU_DEP_2) | instskip(NEXT) | instid1(VALU_DEP_1)
	v_and_b32_e32 v83, 0x80000000, v83
	v_or3_b32 v81, v28, v83, v81
.LBB326_279:                            ;   in Loop: Header=BB326_12 Depth=1
	s_or_b32 exec_lo, exec_lo, s44
.LBB326_280:                            ;   in Loop: Header=BB326_12 Depth=1
	s_delay_alu instid0(SALU_CYCLE_1)
	s_or_b32 exec_lo, exec_lo, s43
.LBB326_281:                            ;   in Loop: Header=BB326_12 Depth=1
	s_delay_alu instid0(SALU_CYCLE_1) | instskip(SKIP_2) | instid1(VALU_DEP_1)
	s_or_b32 exec_lo, exec_lo, s42
	v_lshrrev_b16 v28, 8, v85
	s_mov_b32 s42, exec_lo
	v_cmpx_ne_u16_e32 0, v28
	s_cbranch_execz .LBB326_289
; %bb.282:                              ;   in Loop: Header=BB326_12 Depth=1
	v_bfrev_b32_e32 v82, 1
	s_mov_b32 s43, exec_lo
	v_cmpx_ne_u16_e32 0x80, v28
	s_cbranch_execz .LBB326_288
; %bb.283:                              ;   in Loop: Header=BB326_12 Depth=1
	v_and_b32_e32 v28, 0xffff, v28
	v_mov_b32_e32 v82, 0x7f800001
	s_mov_b32 s44, exec_lo
	s_delay_alu instid0(VALU_DEP_2) | instskip(NEXT) | instid1(VALU_DEP_1)
	v_and_b32_e32 v83, 0x7f, v28
	v_cmpx_ne_u32_e32 0x7f, v83
	s_cbranch_execz .LBB326_287
; %bb.284:                              ;   in Loop: Header=BB326_12 Depth=1
	v_dual_lshrrev_b32 v82, 3, v83 :: v_dual_bitop2_b32 v28, 7, v28 bitop3:0x40
	s_mov_b32 s45, exec_lo
	v_cmpx_gt_u32_e32 8, v83
; %bb.285:                              ;   in Loop: Header=BB326_12 Depth=1
	s_delay_alu instid0(VALU_DEP_2) | instskip(NEXT) | instid1(VALU_DEP_1)
	v_clz_i32_u32_e32 v82, v28
	v_min_u32_e32 v82, 32, v82
	s_delay_alu instid0(VALU_DEP_1) | instskip(SKIP_1) | instid1(VALU_DEP_2)
	v_subrev_nc_u32_e32 v83, 28, v82
	v_sub_nc_u32_e32 v82, 29, v82
	v_lshlrev_b64_e32 v[86:87], v83, v[28:29]
	s_delay_alu instid0(VALU_DEP_1)
	v_and_b32_e32 v28, 7, v86
; %bb.286:                              ;   in Loop: Header=BB326_12 Depth=1
	s_or_b32 exec_lo, exec_lo, s45
	s_delay_alu instid0(VALU_DEP_1) | instskip(SKIP_1) | instid1(VALU_DEP_2)
	v_dual_lshlrev_b32 v83, 16, v85 :: v_dual_lshlrev_b32 v28, 20, v28
	v_lshl_add_u32 v82, v82, 23, 0x3c000000
	v_and_b32_e32 v83, 0x80000000, v83
	s_delay_alu instid0(VALU_DEP_1)
	v_or3_b32 v82, v28, v83, v82
.LBB326_287:                            ;   in Loop: Header=BB326_12 Depth=1
	s_or_b32 exec_lo, exec_lo, s44
.LBB326_288:                            ;   in Loop: Header=BB326_12 Depth=1
	s_delay_alu instid0(SALU_CYCLE_1)
	s_or_b32 exec_lo, exec_lo, s43
.LBB326_289:                            ;   in Loop: Header=BB326_12 Depth=1
	s_delay_alu instid0(SALU_CYCLE_1) | instskip(SKIP_3) | instid1(VALU_DEP_2)
	s_or_b32 exec_lo, exec_lo, s42
	v_dual_mov_b32 v83, 0 :: v_dual_lshrrev_b32 v86, 16, v85
	v_mov_b32_e32 v84, 0
	s_mov_b32 s42, exec_lo
	v_and_b32_e32 v28, 0xff, v86
	s_delay_alu instid0(VALU_DEP_1)
	v_cmpx_ne_u16_e32 0, v28
	s_cbranch_execz .LBB326_297
; %bb.290:                              ;   in Loop: Header=BB326_12 Depth=1
	v_bfrev_b32_e32 v84, 1
	s_mov_b32 s43, exec_lo
	v_cmpx_ne_u16_e32 0x80, v28
	s_cbranch_execz .LBB326_296
; %bb.291:                              ;   in Loop: Header=BB326_12 Depth=1
	v_bfe_u32 v87, v85, 16, 7
	v_mov_b32_e32 v84, 0x7f800001
	s_mov_b32 s44, exec_lo
	s_delay_alu instid0(VALU_DEP_2)
	v_cmpx_ne_u32_e32 0x7f, v87
	s_cbranch_execz .LBB326_295
; %bb.292:                              ;   in Loop: Header=BB326_12 Depth=1
	v_dual_lshrrev_b32 v84, 3, v87 :: v_dual_bitop2_b32 v28, 7, v86 bitop3:0x40
	s_mov_b32 s45, exec_lo
	v_cmpx_gt_u32_e32 8, v87
; %bb.293:                              ;   in Loop: Header=BB326_12 Depth=1
	s_delay_alu instid0(VALU_DEP_2) | instskip(NEXT) | instid1(VALU_DEP_1)
	v_clz_i32_u32_e32 v84, v28
	v_min_u32_e32 v84, 32, v84
	s_delay_alu instid0(VALU_DEP_1) | instskip(SKIP_1) | instid1(VALU_DEP_2)
	v_subrev_nc_u32_e32 v87, 28, v84
	v_sub_nc_u32_e32 v84, 29, v84
	v_lshlrev_b64_e32 v[88:89], v87, v[28:29]
	s_delay_alu instid0(VALU_DEP_1)
	v_and_b32_e32 v28, 7, v88
; %bb.294:                              ;   in Loop: Header=BB326_12 Depth=1
	s_or_b32 exec_lo, exec_lo, s45
	s_delay_alu instid0(VALU_DEP_1) | instskip(SKIP_1) | instid1(VALU_DEP_2)
	v_dual_lshlrev_b32 v86, 24, v86 :: v_dual_lshlrev_b32 v28, 20, v28
	v_lshl_add_u32 v84, v84, 23, 0x3c000000
	v_and_b32_e32 v86, 0x80000000, v86
	s_delay_alu instid0(VALU_DEP_1)
	v_or3_b32 v84, v28, v86, v84
.LBB326_295:                            ;   in Loop: Header=BB326_12 Depth=1
	s_or_b32 exec_lo, exec_lo, s44
.LBB326_296:                            ;   in Loop: Header=BB326_12 Depth=1
	s_delay_alu instid0(SALU_CYCLE_1)
	s_or_b32 exec_lo, exec_lo, s43
.LBB326_297:                            ;   in Loop: Header=BB326_12 Depth=1
	s_delay_alu instid0(SALU_CYCLE_1) | instskip(NEXT) | instid1(SALU_CYCLE_1)
	s_or_b32 exec_lo, exec_lo, s42
	s_mov_b32 s42, exec_lo
	v_cmpx_lt_u32_e32 0xffffff, v85
	s_cbranch_execz .LBB326_305
; %bb.298:                              ;   in Loop: Header=BB326_12 Depth=1
	v_lshrrev_b32_e32 v86, 24, v85
	v_bfrev_b32_e32 v83, 1
	s_mov_b32 s43, exec_lo
	s_delay_alu instid0(VALU_DEP_2)
	v_cmpx_ne_u32_e32 0x80, v86
	s_cbranch_execz .LBB326_304
; %bb.299:                              ;   in Loop: Header=BB326_12 Depth=1
	v_bfe_u32 v85, v85, 24, 7
	v_mov_b32_e32 v83, 0x7f800001
	s_mov_b32 s44, exec_lo
	s_delay_alu instid0(VALU_DEP_2)
	v_cmpx_ne_u32_e32 0x7f, v85
	s_cbranch_execz .LBB326_303
; %bb.300:                              ;   in Loop: Header=BB326_12 Depth=1
	v_dual_lshrrev_b32 v83, 3, v85 :: v_dual_bitop2_b32 v28, 7, v86 bitop3:0x40
	s_mov_b32 s45, exec_lo
	v_cmpx_gt_u32_e32 8, v85
; %bb.301:                              ;   in Loop: Header=BB326_12 Depth=1
	s_delay_alu instid0(VALU_DEP_2) | instskip(NEXT) | instid1(VALU_DEP_1)
	v_clz_i32_u32_e32 v83, v28
	v_min_u32_e32 v83, 32, v83
	s_delay_alu instid0(VALU_DEP_1) | instskip(NEXT) | instid1(VALU_DEP_1)
	v_subrev_nc_u32_e32 v85, 28, v83
	v_lshlrev_b64_e32 v[88:89], v85, v[28:29]
	s_delay_alu instid0(VALU_DEP_1)
	v_dual_sub_nc_u32 v83, 29, v83 :: v_dual_bitop2_b32 v28, 7, v88 bitop3:0x40
; %bb.302:                              ;   in Loop: Header=BB326_12 Depth=1
	s_or_b32 exec_lo, exec_lo, s45
	s_delay_alu instid0(VALU_DEP_1) | instskip(NEXT) | instid1(VALU_DEP_2)
	v_dual_lshlrev_b32 v85, 24, v86 :: v_dual_lshlrev_b32 v28, 20, v28
	v_lshl_add_u32 v83, v83, 23, 0x3c000000
	s_delay_alu instid0(VALU_DEP_2) | instskip(NEXT) | instid1(VALU_DEP_1)
	v_and_b32_e32 v85, 0x80000000, v85
	v_or3_b32 v83, v28, v85, v83
.LBB326_303:                            ;   in Loop: Header=BB326_12 Depth=1
	s_or_b32 exec_lo, exec_lo, s44
.LBB326_304:                            ;   in Loop: Header=BB326_12 Depth=1
	s_delay_alu instid0(SALU_CYCLE_1)
	s_or_b32 exec_lo, exec_lo, s43
.LBB326_305:                            ;   in Loop: Header=BB326_12 Depth=1
	s_delay_alu instid0(SALU_CYCLE_1)
	s_or_b32 exec_lo, exec_lo, s42
	global_load_b32 v89, v[36:37], off offset:1032
	v_dual_mov_b32 v86, 0 :: v_dual_mov_b32 v85, 0
	s_mov_b32 s42, exec_lo
	s_wait_loadcnt 0x0
	v_and_b32_e32 v28, 0xff, v89
	s_delay_alu instid0(VALU_DEP_1)
	v_cmpx_ne_u16_e32 0, v28
	s_cbranch_execz .LBB326_313
; %bb.306:                              ;   in Loop: Header=BB326_12 Depth=1
	v_bfrev_b32_e32 v85, 1
	s_mov_b32 s43, exec_lo
	v_cmpx_ne_u16_e32 0x80, v28
	s_cbranch_execz .LBB326_312
; %bb.307:                              ;   in Loop: Header=BB326_12 Depth=1
	v_and_b32_e32 v87, 0x7f, v89
	v_mov_b32_e32 v85, 0x7f800001
	s_mov_b32 s44, exec_lo
	s_delay_alu instid0(VALU_DEP_2)
	v_cmpx_ne_u32_e32 0x7f, v87
	s_cbranch_execz .LBB326_311
; %bb.308:                              ;   in Loop: Header=BB326_12 Depth=1
	v_dual_lshrrev_b32 v85, 3, v87 :: v_dual_bitop2_b32 v28, 7, v89 bitop3:0x40
	s_mov_b32 s45, exec_lo
	v_cmpx_gt_u32_e32 8, v87
; %bb.309:                              ;   in Loop: Header=BB326_12 Depth=1
	s_delay_alu instid0(VALU_DEP_2) | instskip(NEXT) | instid1(VALU_DEP_1)
	v_clz_i32_u32_e32 v85, v28
	v_min_u32_e32 v85, 32, v85
	s_delay_alu instid0(VALU_DEP_1) | instskip(NEXT) | instid1(VALU_DEP_1)
	v_subrev_nc_u32_e32 v87, 28, v85
	v_lshlrev_b64_e32 v[90:91], v87, v[28:29]
	s_delay_alu instid0(VALU_DEP_1)
	v_dual_sub_nc_u32 v85, 29, v85 :: v_dual_bitop2_b32 v28, 7, v90 bitop3:0x40
; %bb.310:                              ;   in Loop: Header=BB326_12 Depth=1
	s_or_b32 exec_lo, exec_lo, s45
	s_delay_alu instid0(VALU_DEP_1) | instskip(NEXT) | instid1(VALU_DEP_2)
	v_dual_lshlrev_b32 v87, 24, v89 :: v_dual_lshlrev_b32 v28, 20, v28
	v_lshl_add_u32 v85, v85, 23, 0x3c000000
	s_delay_alu instid0(VALU_DEP_2) | instskip(NEXT) | instid1(VALU_DEP_1)
	v_and_b32_e32 v87, 0x80000000, v87
	v_or3_b32 v85, v28, v87, v85
.LBB326_311:                            ;   in Loop: Header=BB326_12 Depth=1
	s_or_b32 exec_lo, exec_lo, s44
.LBB326_312:                            ;   in Loop: Header=BB326_12 Depth=1
	s_delay_alu instid0(SALU_CYCLE_1)
	s_or_b32 exec_lo, exec_lo, s43
.LBB326_313:                            ;   in Loop: Header=BB326_12 Depth=1
	s_delay_alu instid0(SALU_CYCLE_1) | instskip(SKIP_2) | instid1(VALU_DEP_1)
	s_or_b32 exec_lo, exec_lo, s42
	v_lshrrev_b16 v28, 8, v89
	s_mov_b32 s42, exec_lo
	v_cmpx_ne_u16_e32 0, v28
	s_cbranch_execz .LBB326_321
; %bb.314:                              ;   in Loop: Header=BB326_12 Depth=1
	v_bfrev_b32_e32 v86, 1
	s_mov_b32 s43, exec_lo
	v_cmpx_ne_u16_e32 0x80, v28
	s_cbranch_execz .LBB326_320
; %bb.315:                              ;   in Loop: Header=BB326_12 Depth=1
	v_and_b32_e32 v28, 0xffff, v28
	v_mov_b32_e32 v86, 0x7f800001
	s_mov_b32 s44, exec_lo
	s_delay_alu instid0(VALU_DEP_2) | instskip(NEXT) | instid1(VALU_DEP_1)
	v_and_b32_e32 v87, 0x7f, v28
	v_cmpx_ne_u32_e32 0x7f, v87
	s_cbranch_execz .LBB326_319
; %bb.316:                              ;   in Loop: Header=BB326_12 Depth=1
	v_dual_lshrrev_b32 v86, 3, v87 :: v_dual_bitop2_b32 v28, 7, v28 bitop3:0x40
	s_mov_b32 s45, exec_lo
	v_cmpx_gt_u32_e32 8, v87
; %bb.317:                              ;   in Loop: Header=BB326_12 Depth=1
	s_delay_alu instid0(VALU_DEP_2) | instskip(NEXT) | instid1(VALU_DEP_1)
	v_clz_i32_u32_e32 v86, v28
	v_min_u32_e32 v86, 32, v86
	s_delay_alu instid0(VALU_DEP_1) | instskip(SKIP_1) | instid1(VALU_DEP_2)
	v_subrev_nc_u32_e32 v87, 28, v86
	v_sub_nc_u32_e32 v86, 29, v86
	v_lshlrev_b64_e32 v[90:91], v87, v[28:29]
	s_delay_alu instid0(VALU_DEP_1)
	v_and_b32_e32 v28, 7, v90
; %bb.318:                              ;   in Loop: Header=BB326_12 Depth=1
	s_or_b32 exec_lo, exec_lo, s45
	s_delay_alu instid0(VALU_DEP_1) | instskip(SKIP_1) | instid1(VALU_DEP_2)
	v_dual_lshlrev_b32 v87, 16, v89 :: v_dual_lshlrev_b32 v28, 20, v28
	v_lshl_add_u32 v86, v86, 23, 0x3c000000
	v_and_b32_e32 v87, 0x80000000, v87
	s_delay_alu instid0(VALU_DEP_1)
	v_or3_b32 v86, v28, v87, v86
.LBB326_319:                            ;   in Loop: Header=BB326_12 Depth=1
	s_or_b32 exec_lo, exec_lo, s44
.LBB326_320:                            ;   in Loop: Header=BB326_12 Depth=1
	s_delay_alu instid0(SALU_CYCLE_1)
	s_or_b32 exec_lo, exec_lo, s43
.LBB326_321:                            ;   in Loop: Header=BB326_12 Depth=1
	s_delay_alu instid0(SALU_CYCLE_1) | instskip(SKIP_3) | instid1(VALU_DEP_2)
	s_or_b32 exec_lo, exec_lo, s42
	v_dual_mov_b32 v87, 0 :: v_dual_lshrrev_b32 v90, 16, v89
	v_mov_b32_e32 v88, 0
	s_mov_b32 s42, exec_lo
	v_and_b32_e32 v28, 0xff, v90
	s_delay_alu instid0(VALU_DEP_1)
	v_cmpx_ne_u16_e32 0, v28
	s_cbranch_execz .LBB326_329
; %bb.322:                              ;   in Loop: Header=BB326_12 Depth=1
	v_bfrev_b32_e32 v88, 1
	s_mov_b32 s43, exec_lo
	v_cmpx_ne_u16_e32 0x80, v28
	s_cbranch_execz .LBB326_328
; %bb.323:                              ;   in Loop: Header=BB326_12 Depth=1
	v_bfe_u32 v91, v89, 16, 7
	v_mov_b32_e32 v88, 0x7f800001
	s_mov_b32 s44, exec_lo
	s_delay_alu instid0(VALU_DEP_2)
	v_cmpx_ne_u32_e32 0x7f, v91
	s_cbranch_execz .LBB326_327
; %bb.324:                              ;   in Loop: Header=BB326_12 Depth=1
	v_dual_lshrrev_b32 v88, 3, v91 :: v_dual_bitop2_b32 v28, 7, v90 bitop3:0x40
	s_mov_b32 s45, exec_lo
	v_cmpx_gt_u32_e32 8, v91
; %bb.325:                              ;   in Loop: Header=BB326_12 Depth=1
	s_delay_alu instid0(VALU_DEP_2) | instskip(NEXT) | instid1(VALU_DEP_1)
	v_clz_i32_u32_e32 v88, v28
	v_min_u32_e32 v88, 32, v88
	s_delay_alu instid0(VALU_DEP_1) | instskip(SKIP_1) | instid1(VALU_DEP_2)
	v_subrev_nc_u32_e32 v91, 28, v88
	v_sub_nc_u32_e32 v88, 29, v88
	v_lshlrev_b64_e32 v[92:93], v91, v[28:29]
	s_delay_alu instid0(VALU_DEP_1)
	v_and_b32_e32 v28, 7, v92
; %bb.326:                              ;   in Loop: Header=BB326_12 Depth=1
	s_or_b32 exec_lo, exec_lo, s45
	s_delay_alu instid0(VALU_DEP_1) | instskip(SKIP_1) | instid1(VALU_DEP_2)
	v_dual_lshlrev_b32 v90, 24, v90 :: v_dual_lshlrev_b32 v28, 20, v28
	v_lshl_add_u32 v88, v88, 23, 0x3c000000
	v_and_b32_e32 v90, 0x80000000, v90
	s_delay_alu instid0(VALU_DEP_1)
	v_or3_b32 v88, v28, v90, v88
.LBB326_327:                            ;   in Loop: Header=BB326_12 Depth=1
	s_or_b32 exec_lo, exec_lo, s44
.LBB326_328:                            ;   in Loop: Header=BB326_12 Depth=1
	s_delay_alu instid0(SALU_CYCLE_1)
	s_or_b32 exec_lo, exec_lo, s43
.LBB326_329:                            ;   in Loop: Header=BB326_12 Depth=1
	s_delay_alu instid0(SALU_CYCLE_1) | instskip(NEXT) | instid1(SALU_CYCLE_1)
	s_or_b32 exec_lo, exec_lo, s42
	s_mov_b32 s42, exec_lo
	v_cmpx_lt_u32_e32 0xffffff, v89
	s_cbranch_execz .LBB326_337
; %bb.330:                              ;   in Loop: Header=BB326_12 Depth=1
	v_lshrrev_b32_e32 v90, 24, v89
	v_bfrev_b32_e32 v87, 1
	s_mov_b32 s43, exec_lo
	s_delay_alu instid0(VALU_DEP_2)
	v_cmpx_ne_u32_e32 0x80, v90
	s_cbranch_execz .LBB326_336
; %bb.331:                              ;   in Loop: Header=BB326_12 Depth=1
	v_bfe_u32 v89, v89, 24, 7
	v_mov_b32_e32 v87, 0x7f800001
	s_mov_b32 s44, exec_lo
	s_delay_alu instid0(VALU_DEP_2)
	v_cmpx_ne_u32_e32 0x7f, v89
	s_cbranch_execz .LBB326_335
; %bb.332:                              ;   in Loop: Header=BB326_12 Depth=1
	v_dual_lshrrev_b32 v87, 3, v89 :: v_dual_bitop2_b32 v28, 7, v90 bitop3:0x40
	s_mov_b32 s45, exec_lo
	v_cmpx_gt_u32_e32 8, v89
; %bb.333:                              ;   in Loop: Header=BB326_12 Depth=1
	s_delay_alu instid0(VALU_DEP_2) | instskip(NEXT) | instid1(VALU_DEP_1)
	v_clz_i32_u32_e32 v87, v28
	v_min_u32_e32 v87, 32, v87
	s_delay_alu instid0(VALU_DEP_1) | instskip(NEXT) | instid1(VALU_DEP_1)
	v_subrev_nc_u32_e32 v89, 28, v87
	v_lshlrev_b64_e32 v[92:93], v89, v[28:29]
	s_delay_alu instid0(VALU_DEP_1)
	v_dual_sub_nc_u32 v87, 29, v87 :: v_dual_bitop2_b32 v28, 7, v92 bitop3:0x40
; %bb.334:                              ;   in Loop: Header=BB326_12 Depth=1
	s_or_b32 exec_lo, exec_lo, s45
	s_delay_alu instid0(VALU_DEP_1) | instskip(NEXT) | instid1(VALU_DEP_2)
	v_dual_lshlrev_b32 v89, 24, v90 :: v_dual_lshlrev_b32 v28, 20, v28
	v_lshl_add_u32 v87, v87, 23, 0x3c000000
	s_delay_alu instid0(VALU_DEP_2) | instskip(NEXT) | instid1(VALU_DEP_1)
	v_and_b32_e32 v89, 0x80000000, v89
	v_or3_b32 v87, v28, v89, v87
.LBB326_335:                            ;   in Loop: Header=BB326_12 Depth=1
	s_or_b32 exec_lo, exec_lo, s44
.LBB326_336:                            ;   in Loop: Header=BB326_12 Depth=1
	s_delay_alu instid0(SALU_CYCLE_1)
	s_or_b32 exec_lo, exec_lo, s43
.LBB326_337:                            ;   in Loop: Header=BB326_12 Depth=1
	s_delay_alu instid0(SALU_CYCLE_1)
	s_or_b32 exec_lo, exec_lo, s42
	global_load_b32 v93, v[36:37], off offset:1280
	v_dual_mov_b32 v90, 0 :: v_dual_mov_b32 v89, 0
	s_mov_b32 s42, exec_lo
	s_wait_loadcnt 0x0
	v_and_b32_e32 v28, 0xff, v93
	s_delay_alu instid0(VALU_DEP_1)
	v_cmpx_ne_u16_e32 0, v28
	s_cbranch_execz .LBB326_345
; %bb.338:                              ;   in Loop: Header=BB326_12 Depth=1
	v_bfrev_b32_e32 v89, 1
	s_mov_b32 s43, exec_lo
	v_cmpx_ne_u16_e32 0x80, v28
	s_cbranch_execz .LBB326_344
; %bb.339:                              ;   in Loop: Header=BB326_12 Depth=1
	v_and_b32_e32 v91, 0x7f, v93
	v_mov_b32_e32 v89, 0x7f800001
	s_mov_b32 s44, exec_lo
	s_delay_alu instid0(VALU_DEP_2)
	v_cmpx_ne_u32_e32 0x7f, v91
	s_cbranch_execz .LBB326_343
; %bb.340:                              ;   in Loop: Header=BB326_12 Depth=1
	v_dual_lshrrev_b32 v89, 3, v91 :: v_dual_bitop2_b32 v28, 7, v93 bitop3:0x40
	s_mov_b32 s45, exec_lo
	v_cmpx_gt_u32_e32 8, v91
; %bb.341:                              ;   in Loop: Header=BB326_12 Depth=1
	s_delay_alu instid0(VALU_DEP_2) | instskip(NEXT) | instid1(VALU_DEP_1)
	v_clz_i32_u32_e32 v89, v28
	v_min_u32_e32 v89, 32, v89
	s_delay_alu instid0(VALU_DEP_1) | instskip(NEXT) | instid1(VALU_DEP_1)
	v_subrev_nc_u32_e32 v91, 28, v89
	v_lshlrev_b64_e32 v[94:95], v91, v[28:29]
	s_delay_alu instid0(VALU_DEP_1)
	v_dual_sub_nc_u32 v89, 29, v89 :: v_dual_bitop2_b32 v28, 7, v94 bitop3:0x40
; %bb.342:                              ;   in Loop: Header=BB326_12 Depth=1
	s_or_b32 exec_lo, exec_lo, s45
	s_delay_alu instid0(VALU_DEP_1) | instskip(NEXT) | instid1(VALU_DEP_2)
	v_dual_lshlrev_b32 v91, 24, v93 :: v_dual_lshlrev_b32 v28, 20, v28
	v_lshl_add_u32 v89, v89, 23, 0x3c000000
	s_delay_alu instid0(VALU_DEP_2) | instskip(NEXT) | instid1(VALU_DEP_1)
	v_and_b32_e32 v91, 0x80000000, v91
	v_or3_b32 v89, v28, v91, v89
.LBB326_343:                            ;   in Loop: Header=BB326_12 Depth=1
	s_or_b32 exec_lo, exec_lo, s44
.LBB326_344:                            ;   in Loop: Header=BB326_12 Depth=1
	s_delay_alu instid0(SALU_CYCLE_1)
	s_or_b32 exec_lo, exec_lo, s43
.LBB326_345:                            ;   in Loop: Header=BB326_12 Depth=1
	s_delay_alu instid0(SALU_CYCLE_1) | instskip(SKIP_2) | instid1(VALU_DEP_1)
	s_or_b32 exec_lo, exec_lo, s42
	v_lshrrev_b16 v28, 8, v93
	s_mov_b32 s42, exec_lo
	v_cmpx_ne_u16_e32 0, v28
	s_cbranch_execz .LBB326_353
; %bb.346:                              ;   in Loop: Header=BB326_12 Depth=1
	v_bfrev_b32_e32 v90, 1
	s_mov_b32 s43, exec_lo
	v_cmpx_ne_u16_e32 0x80, v28
	s_cbranch_execz .LBB326_352
; %bb.347:                              ;   in Loop: Header=BB326_12 Depth=1
	v_and_b32_e32 v28, 0xffff, v28
	v_mov_b32_e32 v90, 0x7f800001
	s_mov_b32 s44, exec_lo
	s_delay_alu instid0(VALU_DEP_2) | instskip(NEXT) | instid1(VALU_DEP_1)
	v_and_b32_e32 v91, 0x7f, v28
	v_cmpx_ne_u32_e32 0x7f, v91
	s_cbranch_execz .LBB326_351
; %bb.348:                              ;   in Loop: Header=BB326_12 Depth=1
	v_dual_lshrrev_b32 v90, 3, v91 :: v_dual_bitop2_b32 v28, 7, v28 bitop3:0x40
	s_mov_b32 s45, exec_lo
	v_cmpx_gt_u32_e32 8, v91
; %bb.349:                              ;   in Loop: Header=BB326_12 Depth=1
	s_delay_alu instid0(VALU_DEP_2) | instskip(NEXT) | instid1(VALU_DEP_1)
	v_clz_i32_u32_e32 v90, v28
	v_min_u32_e32 v90, 32, v90
	s_delay_alu instid0(VALU_DEP_1) | instskip(SKIP_1) | instid1(VALU_DEP_2)
	v_subrev_nc_u32_e32 v91, 28, v90
	v_sub_nc_u32_e32 v90, 29, v90
	v_lshlrev_b64_e32 v[94:95], v91, v[28:29]
	s_delay_alu instid0(VALU_DEP_1)
	v_and_b32_e32 v28, 7, v94
; %bb.350:                              ;   in Loop: Header=BB326_12 Depth=1
	s_or_b32 exec_lo, exec_lo, s45
	s_delay_alu instid0(VALU_DEP_1) | instskip(SKIP_1) | instid1(VALU_DEP_2)
	v_dual_lshlrev_b32 v91, 16, v93 :: v_dual_lshlrev_b32 v28, 20, v28
	v_lshl_add_u32 v90, v90, 23, 0x3c000000
	v_and_b32_e32 v91, 0x80000000, v91
	s_delay_alu instid0(VALU_DEP_1)
	v_or3_b32 v90, v28, v91, v90
.LBB326_351:                            ;   in Loop: Header=BB326_12 Depth=1
	s_or_b32 exec_lo, exec_lo, s44
.LBB326_352:                            ;   in Loop: Header=BB326_12 Depth=1
	s_delay_alu instid0(SALU_CYCLE_1)
	s_or_b32 exec_lo, exec_lo, s43
.LBB326_353:                            ;   in Loop: Header=BB326_12 Depth=1
	s_delay_alu instid0(SALU_CYCLE_1) | instskip(SKIP_3) | instid1(VALU_DEP_2)
	s_or_b32 exec_lo, exec_lo, s42
	v_dual_mov_b32 v91, 0 :: v_dual_lshrrev_b32 v94, 16, v93
	v_mov_b32_e32 v92, 0
	s_mov_b32 s42, exec_lo
	v_and_b32_e32 v28, 0xff, v94
	s_delay_alu instid0(VALU_DEP_1)
	v_cmpx_ne_u16_e32 0, v28
	s_cbranch_execz .LBB326_361
; %bb.354:                              ;   in Loop: Header=BB326_12 Depth=1
	v_bfrev_b32_e32 v92, 1
	s_mov_b32 s43, exec_lo
	v_cmpx_ne_u16_e32 0x80, v28
	s_cbranch_execz .LBB326_360
; %bb.355:                              ;   in Loop: Header=BB326_12 Depth=1
	v_bfe_u32 v95, v93, 16, 7
	v_mov_b32_e32 v92, 0x7f800001
	s_mov_b32 s44, exec_lo
	s_delay_alu instid0(VALU_DEP_2)
	v_cmpx_ne_u32_e32 0x7f, v95
	s_cbranch_execz .LBB326_359
; %bb.356:                              ;   in Loop: Header=BB326_12 Depth=1
	v_dual_lshrrev_b32 v92, 3, v95 :: v_dual_bitop2_b32 v28, 7, v94 bitop3:0x40
	s_mov_b32 s45, exec_lo
	v_cmpx_gt_u32_e32 8, v95
; %bb.357:                              ;   in Loop: Header=BB326_12 Depth=1
	s_delay_alu instid0(VALU_DEP_2) | instskip(NEXT) | instid1(VALU_DEP_1)
	v_clz_i32_u32_e32 v92, v28
	v_min_u32_e32 v92, 32, v92
	s_delay_alu instid0(VALU_DEP_1) | instskip(SKIP_1) | instid1(VALU_DEP_2)
	v_subrev_nc_u32_e32 v95, 28, v92
	v_sub_nc_u32_e32 v92, 29, v92
	v_lshlrev_b64_e32 v[96:97], v95, v[28:29]
	s_delay_alu instid0(VALU_DEP_1)
	v_and_b32_e32 v28, 7, v96
; %bb.358:                              ;   in Loop: Header=BB326_12 Depth=1
	s_or_b32 exec_lo, exec_lo, s45
	s_delay_alu instid0(VALU_DEP_1) | instskip(SKIP_1) | instid1(VALU_DEP_2)
	v_dual_lshlrev_b32 v94, 24, v94 :: v_dual_lshlrev_b32 v28, 20, v28
	v_lshl_add_u32 v92, v92, 23, 0x3c000000
	v_and_b32_e32 v94, 0x80000000, v94
	s_delay_alu instid0(VALU_DEP_1)
	v_or3_b32 v92, v28, v94, v92
.LBB326_359:                            ;   in Loop: Header=BB326_12 Depth=1
	s_or_b32 exec_lo, exec_lo, s44
.LBB326_360:                            ;   in Loop: Header=BB326_12 Depth=1
	s_delay_alu instid0(SALU_CYCLE_1)
	s_or_b32 exec_lo, exec_lo, s43
.LBB326_361:                            ;   in Loop: Header=BB326_12 Depth=1
	s_delay_alu instid0(SALU_CYCLE_1) | instskip(NEXT) | instid1(SALU_CYCLE_1)
	s_or_b32 exec_lo, exec_lo, s42
	s_mov_b32 s42, exec_lo
	v_cmpx_lt_u32_e32 0xffffff, v93
	s_cbranch_execz .LBB326_369
; %bb.362:                              ;   in Loop: Header=BB326_12 Depth=1
	v_lshrrev_b32_e32 v94, 24, v93
	v_bfrev_b32_e32 v91, 1
	s_mov_b32 s43, exec_lo
	s_delay_alu instid0(VALU_DEP_2)
	v_cmpx_ne_u32_e32 0x80, v94
	s_cbranch_execz .LBB326_368
; %bb.363:                              ;   in Loop: Header=BB326_12 Depth=1
	v_bfe_u32 v93, v93, 24, 7
	v_mov_b32_e32 v91, 0x7f800001
	s_mov_b32 s44, exec_lo
	s_delay_alu instid0(VALU_DEP_2)
	v_cmpx_ne_u32_e32 0x7f, v93
	s_cbranch_execz .LBB326_367
; %bb.364:                              ;   in Loop: Header=BB326_12 Depth=1
	v_dual_lshrrev_b32 v91, 3, v93 :: v_dual_bitop2_b32 v28, 7, v94 bitop3:0x40
	s_mov_b32 s45, exec_lo
	v_cmpx_gt_u32_e32 8, v93
; %bb.365:                              ;   in Loop: Header=BB326_12 Depth=1
	s_delay_alu instid0(VALU_DEP_2) | instskip(NEXT) | instid1(VALU_DEP_1)
	v_clz_i32_u32_e32 v91, v28
	v_min_u32_e32 v91, 32, v91
	s_delay_alu instid0(VALU_DEP_1) | instskip(NEXT) | instid1(VALU_DEP_1)
	v_subrev_nc_u32_e32 v93, 28, v91
	v_lshlrev_b64_e32 v[96:97], v93, v[28:29]
	s_delay_alu instid0(VALU_DEP_1)
	v_dual_sub_nc_u32 v91, 29, v91 :: v_dual_bitop2_b32 v28, 7, v96 bitop3:0x40
; %bb.366:                              ;   in Loop: Header=BB326_12 Depth=1
	s_or_b32 exec_lo, exec_lo, s45
	s_delay_alu instid0(VALU_DEP_1) | instskip(NEXT) | instid1(VALU_DEP_2)
	v_dual_lshlrev_b32 v93, 24, v94 :: v_dual_lshlrev_b32 v28, 20, v28
	v_lshl_add_u32 v91, v91, 23, 0x3c000000
	s_delay_alu instid0(VALU_DEP_2) | instskip(NEXT) | instid1(VALU_DEP_1)
	v_and_b32_e32 v93, 0x80000000, v93
	v_or3_b32 v91, v28, v93, v91
.LBB326_367:                            ;   in Loop: Header=BB326_12 Depth=1
	s_or_b32 exec_lo, exec_lo, s44
.LBB326_368:                            ;   in Loop: Header=BB326_12 Depth=1
	s_delay_alu instid0(SALU_CYCLE_1)
	s_or_b32 exec_lo, exec_lo, s43
.LBB326_369:                            ;   in Loop: Header=BB326_12 Depth=1
	s_delay_alu instid0(SALU_CYCLE_1)
	s_or_b32 exec_lo, exec_lo, s42
	global_load_b32 v97, v[36:37], off offset:1288
	v_dual_mov_b32 v94, 0 :: v_dual_mov_b32 v93, 0
	s_mov_b32 s42, exec_lo
	s_wait_loadcnt 0x0
	v_and_b32_e32 v28, 0xff, v97
	s_delay_alu instid0(VALU_DEP_1)
	v_cmpx_ne_u16_e32 0, v28
	s_cbranch_execz .LBB326_377
; %bb.370:                              ;   in Loop: Header=BB326_12 Depth=1
	v_bfrev_b32_e32 v93, 1
	s_mov_b32 s43, exec_lo
	v_cmpx_ne_u16_e32 0x80, v28
	s_cbranch_execz .LBB326_376
; %bb.371:                              ;   in Loop: Header=BB326_12 Depth=1
	v_and_b32_e32 v95, 0x7f, v97
	v_mov_b32_e32 v93, 0x7f800001
	s_mov_b32 s44, exec_lo
	s_delay_alu instid0(VALU_DEP_2)
	v_cmpx_ne_u32_e32 0x7f, v95
	s_cbranch_execz .LBB326_375
; %bb.372:                              ;   in Loop: Header=BB326_12 Depth=1
	v_dual_lshrrev_b32 v93, 3, v95 :: v_dual_bitop2_b32 v28, 7, v97 bitop3:0x40
	s_mov_b32 s45, exec_lo
	v_cmpx_gt_u32_e32 8, v95
; %bb.373:                              ;   in Loop: Header=BB326_12 Depth=1
	s_delay_alu instid0(VALU_DEP_2) | instskip(NEXT) | instid1(VALU_DEP_1)
	v_clz_i32_u32_e32 v93, v28
	v_min_u32_e32 v93, 32, v93
	s_delay_alu instid0(VALU_DEP_1) | instskip(NEXT) | instid1(VALU_DEP_1)
	v_subrev_nc_u32_e32 v95, 28, v93
	v_lshlrev_b64_e32 v[98:99], v95, v[28:29]
	s_delay_alu instid0(VALU_DEP_1)
	v_dual_sub_nc_u32 v93, 29, v93 :: v_dual_bitop2_b32 v28, 7, v98 bitop3:0x40
; %bb.374:                              ;   in Loop: Header=BB326_12 Depth=1
	s_or_b32 exec_lo, exec_lo, s45
	s_delay_alu instid0(VALU_DEP_1) | instskip(NEXT) | instid1(VALU_DEP_2)
	v_dual_lshlrev_b32 v95, 24, v97 :: v_dual_lshlrev_b32 v28, 20, v28
	v_lshl_add_u32 v93, v93, 23, 0x3c000000
	s_delay_alu instid0(VALU_DEP_2) | instskip(NEXT) | instid1(VALU_DEP_1)
	v_and_b32_e32 v95, 0x80000000, v95
	v_or3_b32 v93, v28, v95, v93
.LBB326_375:                            ;   in Loop: Header=BB326_12 Depth=1
	s_or_b32 exec_lo, exec_lo, s44
.LBB326_376:                            ;   in Loop: Header=BB326_12 Depth=1
	s_delay_alu instid0(SALU_CYCLE_1)
	s_or_b32 exec_lo, exec_lo, s43
.LBB326_377:                            ;   in Loop: Header=BB326_12 Depth=1
	s_delay_alu instid0(SALU_CYCLE_1) | instskip(SKIP_2) | instid1(VALU_DEP_1)
	s_or_b32 exec_lo, exec_lo, s42
	v_lshrrev_b16 v28, 8, v97
	s_mov_b32 s42, exec_lo
	v_cmpx_ne_u16_e32 0, v28
	s_cbranch_execz .LBB326_385
; %bb.378:                              ;   in Loop: Header=BB326_12 Depth=1
	v_bfrev_b32_e32 v94, 1
	s_mov_b32 s43, exec_lo
	v_cmpx_ne_u16_e32 0x80, v28
	s_cbranch_execz .LBB326_384
; %bb.379:                              ;   in Loop: Header=BB326_12 Depth=1
	v_and_b32_e32 v28, 0xffff, v28
	v_mov_b32_e32 v94, 0x7f800001
	s_mov_b32 s44, exec_lo
	s_delay_alu instid0(VALU_DEP_2) | instskip(NEXT) | instid1(VALU_DEP_1)
	v_and_b32_e32 v95, 0x7f, v28
	v_cmpx_ne_u32_e32 0x7f, v95
	s_cbranch_execz .LBB326_383
; %bb.380:                              ;   in Loop: Header=BB326_12 Depth=1
	v_dual_lshrrev_b32 v94, 3, v95 :: v_dual_bitop2_b32 v28, 7, v28 bitop3:0x40
	s_mov_b32 s45, exec_lo
	v_cmpx_gt_u32_e32 8, v95
; %bb.381:                              ;   in Loop: Header=BB326_12 Depth=1
	s_delay_alu instid0(VALU_DEP_2) | instskip(NEXT) | instid1(VALU_DEP_1)
	v_clz_i32_u32_e32 v94, v28
	v_min_u32_e32 v94, 32, v94
	s_delay_alu instid0(VALU_DEP_1) | instskip(SKIP_1) | instid1(VALU_DEP_2)
	v_subrev_nc_u32_e32 v95, 28, v94
	v_sub_nc_u32_e32 v94, 29, v94
	v_lshlrev_b64_e32 v[98:99], v95, v[28:29]
	s_delay_alu instid0(VALU_DEP_1)
	v_and_b32_e32 v28, 7, v98
; %bb.382:                              ;   in Loop: Header=BB326_12 Depth=1
	s_or_b32 exec_lo, exec_lo, s45
	s_delay_alu instid0(VALU_DEP_1) | instskip(SKIP_1) | instid1(VALU_DEP_2)
	v_dual_lshlrev_b32 v95, 16, v97 :: v_dual_lshlrev_b32 v28, 20, v28
	v_lshl_add_u32 v94, v94, 23, 0x3c000000
	v_and_b32_e32 v95, 0x80000000, v95
	s_delay_alu instid0(VALU_DEP_1)
	v_or3_b32 v94, v28, v95, v94
.LBB326_383:                            ;   in Loop: Header=BB326_12 Depth=1
	s_or_b32 exec_lo, exec_lo, s44
.LBB326_384:                            ;   in Loop: Header=BB326_12 Depth=1
	s_delay_alu instid0(SALU_CYCLE_1)
	s_or_b32 exec_lo, exec_lo, s43
.LBB326_385:                            ;   in Loop: Header=BB326_12 Depth=1
	s_delay_alu instid0(SALU_CYCLE_1) | instskip(SKIP_3) | instid1(VALU_DEP_2)
	s_or_b32 exec_lo, exec_lo, s42
	v_dual_mov_b32 v95, 0 :: v_dual_lshrrev_b32 v98, 16, v97
	v_mov_b32_e32 v96, 0
	s_mov_b32 s42, exec_lo
	v_and_b32_e32 v28, 0xff, v98
	s_delay_alu instid0(VALU_DEP_1)
	v_cmpx_ne_u16_e32 0, v28
	s_cbranch_execz .LBB326_393
; %bb.386:                              ;   in Loop: Header=BB326_12 Depth=1
	v_bfrev_b32_e32 v96, 1
	s_mov_b32 s43, exec_lo
	v_cmpx_ne_u16_e32 0x80, v28
	s_cbranch_execz .LBB326_392
; %bb.387:                              ;   in Loop: Header=BB326_12 Depth=1
	v_bfe_u32 v99, v97, 16, 7
	v_mov_b32_e32 v96, 0x7f800001
	s_mov_b32 s44, exec_lo
	s_delay_alu instid0(VALU_DEP_2)
	v_cmpx_ne_u32_e32 0x7f, v99
	s_cbranch_execz .LBB326_391
; %bb.388:                              ;   in Loop: Header=BB326_12 Depth=1
	v_dual_lshrrev_b32 v96, 3, v99 :: v_dual_bitop2_b32 v28, 7, v98 bitop3:0x40
	s_mov_b32 s45, exec_lo
	v_cmpx_gt_u32_e32 8, v99
; %bb.389:                              ;   in Loop: Header=BB326_12 Depth=1
	s_delay_alu instid0(VALU_DEP_2) | instskip(NEXT) | instid1(VALU_DEP_1)
	v_clz_i32_u32_e32 v96, v28
	v_min_u32_e32 v96, 32, v96
	s_delay_alu instid0(VALU_DEP_1) | instskip(SKIP_1) | instid1(VALU_DEP_2)
	v_subrev_nc_u32_e32 v99, 28, v96
	v_sub_nc_u32_e32 v96, 29, v96
	v_lshlrev_b64_e32 v[100:101], v99, v[28:29]
	s_delay_alu instid0(VALU_DEP_1)
	v_and_b32_e32 v28, 7, v100
; %bb.390:                              ;   in Loop: Header=BB326_12 Depth=1
	s_or_b32 exec_lo, exec_lo, s45
	s_delay_alu instid0(VALU_DEP_1) | instskip(SKIP_1) | instid1(VALU_DEP_2)
	v_dual_lshlrev_b32 v98, 24, v98 :: v_dual_lshlrev_b32 v28, 20, v28
	v_lshl_add_u32 v96, v96, 23, 0x3c000000
	v_and_b32_e32 v98, 0x80000000, v98
	s_delay_alu instid0(VALU_DEP_1)
	v_or3_b32 v96, v28, v98, v96
.LBB326_391:                            ;   in Loop: Header=BB326_12 Depth=1
	s_or_b32 exec_lo, exec_lo, s44
.LBB326_392:                            ;   in Loop: Header=BB326_12 Depth=1
	s_delay_alu instid0(SALU_CYCLE_1)
	s_or_b32 exec_lo, exec_lo, s43
.LBB326_393:                            ;   in Loop: Header=BB326_12 Depth=1
	s_delay_alu instid0(SALU_CYCLE_1) | instskip(NEXT) | instid1(SALU_CYCLE_1)
	s_or_b32 exec_lo, exec_lo, s42
	s_mov_b32 s42, exec_lo
	v_cmpx_lt_u32_e32 0xffffff, v97
	s_cbranch_execz .LBB326_401
; %bb.394:                              ;   in Loop: Header=BB326_12 Depth=1
	v_lshrrev_b32_e32 v98, 24, v97
	v_bfrev_b32_e32 v95, 1
	s_mov_b32 s43, exec_lo
	s_delay_alu instid0(VALU_DEP_2)
	v_cmpx_ne_u32_e32 0x80, v98
	s_cbranch_execz .LBB326_400
; %bb.395:                              ;   in Loop: Header=BB326_12 Depth=1
	v_bfe_u32 v97, v97, 24, 7
	v_mov_b32_e32 v95, 0x7f800001
	s_mov_b32 s44, exec_lo
	s_delay_alu instid0(VALU_DEP_2)
	v_cmpx_ne_u32_e32 0x7f, v97
	s_cbranch_execz .LBB326_399
; %bb.396:                              ;   in Loop: Header=BB326_12 Depth=1
	v_dual_lshrrev_b32 v95, 3, v97 :: v_dual_bitop2_b32 v28, 7, v98 bitop3:0x40
	s_mov_b32 s45, exec_lo
	v_cmpx_gt_u32_e32 8, v97
; %bb.397:                              ;   in Loop: Header=BB326_12 Depth=1
	s_delay_alu instid0(VALU_DEP_2) | instskip(NEXT) | instid1(VALU_DEP_1)
	v_clz_i32_u32_e32 v95, v28
	v_min_u32_e32 v95, 32, v95
	s_delay_alu instid0(VALU_DEP_1) | instskip(NEXT) | instid1(VALU_DEP_1)
	v_subrev_nc_u32_e32 v97, 28, v95
	v_lshlrev_b64_e32 v[100:101], v97, v[28:29]
	s_delay_alu instid0(VALU_DEP_1)
	v_dual_sub_nc_u32 v95, 29, v95 :: v_dual_bitop2_b32 v28, 7, v100 bitop3:0x40
; %bb.398:                              ;   in Loop: Header=BB326_12 Depth=1
	s_or_b32 exec_lo, exec_lo, s45
	s_delay_alu instid0(VALU_DEP_1) | instskip(NEXT) | instid1(VALU_DEP_2)
	v_dual_lshlrev_b32 v97, 24, v98 :: v_dual_lshlrev_b32 v28, 20, v28
	v_lshl_add_u32 v95, v95, 23, 0x3c000000
	s_delay_alu instid0(VALU_DEP_2) | instskip(NEXT) | instid1(VALU_DEP_1)
	v_and_b32_e32 v97, 0x80000000, v97
	v_or3_b32 v95, v28, v97, v95
.LBB326_399:                            ;   in Loop: Header=BB326_12 Depth=1
	s_or_b32 exec_lo, exec_lo, s44
.LBB326_400:                            ;   in Loop: Header=BB326_12 Depth=1
	s_delay_alu instid0(SALU_CYCLE_1)
	s_or_b32 exec_lo, exec_lo, s43
.LBB326_401:                            ;   in Loop: Header=BB326_12 Depth=1
	s_delay_alu instid0(SALU_CYCLE_1)
	s_or_b32 exec_lo, exec_lo, s42
	global_load_b32 v101, v[36:37], off offset:1536
	v_dual_mov_b32 v98, 0 :: v_dual_mov_b32 v97, 0
	s_mov_b32 s42, exec_lo
	s_wait_loadcnt 0x0
	v_and_b32_e32 v28, 0xff, v101
	s_delay_alu instid0(VALU_DEP_1)
	v_cmpx_ne_u16_e32 0, v28
	s_cbranch_execz .LBB326_409
; %bb.402:                              ;   in Loop: Header=BB326_12 Depth=1
	v_bfrev_b32_e32 v97, 1
	s_mov_b32 s43, exec_lo
	v_cmpx_ne_u16_e32 0x80, v28
	s_cbranch_execz .LBB326_408
; %bb.403:                              ;   in Loop: Header=BB326_12 Depth=1
	v_and_b32_e32 v99, 0x7f, v101
	v_mov_b32_e32 v97, 0x7f800001
	s_mov_b32 s44, exec_lo
	s_delay_alu instid0(VALU_DEP_2)
	v_cmpx_ne_u32_e32 0x7f, v99
	s_cbranch_execz .LBB326_407
; %bb.404:                              ;   in Loop: Header=BB326_12 Depth=1
	v_dual_lshrrev_b32 v97, 3, v99 :: v_dual_bitop2_b32 v28, 7, v101 bitop3:0x40
	s_mov_b32 s45, exec_lo
	v_cmpx_gt_u32_e32 8, v99
; %bb.405:                              ;   in Loop: Header=BB326_12 Depth=1
	s_delay_alu instid0(VALU_DEP_2) | instskip(NEXT) | instid1(VALU_DEP_1)
	v_clz_i32_u32_e32 v97, v28
	v_min_u32_e32 v97, 32, v97
	s_delay_alu instid0(VALU_DEP_1) | instskip(NEXT) | instid1(VALU_DEP_1)
	v_subrev_nc_u32_e32 v99, 28, v97
	v_lshlrev_b64_e32 v[102:103], v99, v[28:29]
	s_delay_alu instid0(VALU_DEP_1)
	v_dual_sub_nc_u32 v97, 29, v97 :: v_dual_bitop2_b32 v28, 7, v102 bitop3:0x40
; %bb.406:                              ;   in Loop: Header=BB326_12 Depth=1
	s_or_b32 exec_lo, exec_lo, s45
	s_delay_alu instid0(VALU_DEP_1) | instskip(NEXT) | instid1(VALU_DEP_2)
	v_dual_lshlrev_b32 v99, 24, v101 :: v_dual_lshlrev_b32 v28, 20, v28
	v_lshl_add_u32 v97, v97, 23, 0x3c000000
	s_delay_alu instid0(VALU_DEP_2) | instskip(NEXT) | instid1(VALU_DEP_1)
	v_and_b32_e32 v99, 0x80000000, v99
	v_or3_b32 v97, v28, v99, v97
.LBB326_407:                            ;   in Loop: Header=BB326_12 Depth=1
	s_or_b32 exec_lo, exec_lo, s44
.LBB326_408:                            ;   in Loop: Header=BB326_12 Depth=1
	s_delay_alu instid0(SALU_CYCLE_1)
	s_or_b32 exec_lo, exec_lo, s43
.LBB326_409:                            ;   in Loop: Header=BB326_12 Depth=1
	s_delay_alu instid0(SALU_CYCLE_1) | instskip(SKIP_2) | instid1(VALU_DEP_1)
	s_or_b32 exec_lo, exec_lo, s42
	v_lshrrev_b16 v28, 8, v101
	s_mov_b32 s42, exec_lo
	v_cmpx_ne_u16_e32 0, v28
	s_cbranch_execz .LBB326_417
; %bb.410:                              ;   in Loop: Header=BB326_12 Depth=1
	v_bfrev_b32_e32 v98, 1
	s_mov_b32 s43, exec_lo
	v_cmpx_ne_u16_e32 0x80, v28
	s_cbranch_execz .LBB326_416
; %bb.411:                              ;   in Loop: Header=BB326_12 Depth=1
	v_and_b32_e32 v28, 0xffff, v28
	v_mov_b32_e32 v98, 0x7f800001
	s_mov_b32 s44, exec_lo
	s_delay_alu instid0(VALU_DEP_2) | instskip(NEXT) | instid1(VALU_DEP_1)
	v_and_b32_e32 v99, 0x7f, v28
	v_cmpx_ne_u32_e32 0x7f, v99
	s_cbranch_execz .LBB326_415
; %bb.412:                              ;   in Loop: Header=BB326_12 Depth=1
	v_dual_lshrrev_b32 v98, 3, v99 :: v_dual_bitop2_b32 v28, 7, v28 bitop3:0x40
	s_mov_b32 s45, exec_lo
	v_cmpx_gt_u32_e32 8, v99
; %bb.413:                              ;   in Loop: Header=BB326_12 Depth=1
	s_delay_alu instid0(VALU_DEP_2) | instskip(NEXT) | instid1(VALU_DEP_1)
	v_clz_i32_u32_e32 v98, v28
	v_min_u32_e32 v98, 32, v98
	s_delay_alu instid0(VALU_DEP_1) | instskip(SKIP_1) | instid1(VALU_DEP_2)
	v_subrev_nc_u32_e32 v99, 28, v98
	v_sub_nc_u32_e32 v98, 29, v98
	v_lshlrev_b64_e32 v[102:103], v99, v[28:29]
	s_delay_alu instid0(VALU_DEP_1)
	v_and_b32_e32 v28, 7, v102
; %bb.414:                              ;   in Loop: Header=BB326_12 Depth=1
	s_or_b32 exec_lo, exec_lo, s45
	s_delay_alu instid0(VALU_DEP_1) | instskip(SKIP_1) | instid1(VALU_DEP_2)
	v_dual_lshlrev_b32 v99, 16, v101 :: v_dual_lshlrev_b32 v28, 20, v28
	v_lshl_add_u32 v98, v98, 23, 0x3c000000
	v_and_b32_e32 v99, 0x80000000, v99
	s_delay_alu instid0(VALU_DEP_1)
	v_or3_b32 v98, v28, v99, v98
.LBB326_415:                            ;   in Loop: Header=BB326_12 Depth=1
	s_or_b32 exec_lo, exec_lo, s44
.LBB326_416:                            ;   in Loop: Header=BB326_12 Depth=1
	s_delay_alu instid0(SALU_CYCLE_1)
	s_or_b32 exec_lo, exec_lo, s43
.LBB326_417:                            ;   in Loop: Header=BB326_12 Depth=1
	s_delay_alu instid0(SALU_CYCLE_1) | instskip(SKIP_3) | instid1(VALU_DEP_2)
	s_or_b32 exec_lo, exec_lo, s42
	v_dual_mov_b32 v99, 0 :: v_dual_lshrrev_b32 v102, 16, v101
	v_mov_b32_e32 v100, 0
	s_mov_b32 s42, exec_lo
	v_and_b32_e32 v28, 0xff, v102
	s_delay_alu instid0(VALU_DEP_1)
	v_cmpx_ne_u16_e32 0, v28
	s_cbranch_execz .LBB326_425
; %bb.418:                              ;   in Loop: Header=BB326_12 Depth=1
	v_bfrev_b32_e32 v100, 1
	s_mov_b32 s43, exec_lo
	v_cmpx_ne_u16_e32 0x80, v28
	s_cbranch_execz .LBB326_424
; %bb.419:                              ;   in Loop: Header=BB326_12 Depth=1
	v_bfe_u32 v103, v101, 16, 7
	v_mov_b32_e32 v100, 0x7f800001
	s_mov_b32 s44, exec_lo
	s_delay_alu instid0(VALU_DEP_2)
	v_cmpx_ne_u32_e32 0x7f, v103
	s_cbranch_execz .LBB326_423
; %bb.420:                              ;   in Loop: Header=BB326_12 Depth=1
	v_dual_lshrrev_b32 v100, 3, v103 :: v_dual_bitop2_b32 v28, 7, v102 bitop3:0x40
	s_mov_b32 s45, exec_lo
	v_cmpx_gt_u32_e32 8, v103
; %bb.421:                              ;   in Loop: Header=BB326_12 Depth=1
	s_delay_alu instid0(VALU_DEP_2) | instskip(NEXT) | instid1(VALU_DEP_1)
	v_clz_i32_u32_e32 v100, v28
	v_min_u32_e32 v100, 32, v100
	s_delay_alu instid0(VALU_DEP_1) | instskip(SKIP_1) | instid1(VALU_DEP_2)
	v_subrev_nc_u32_e32 v103, 28, v100
	v_sub_nc_u32_e32 v100, 29, v100
	v_lshlrev_b64_e32 v[104:105], v103, v[28:29]
	s_delay_alu instid0(VALU_DEP_1)
	v_and_b32_e32 v28, 7, v104
; %bb.422:                              ;   in Loop: Header=BB326_12 Depth=1
	s_or_b32 exec_lo, exec_lo, s45
	s_delay_alu instid0(VALU_DEP_1) | instskip(SKIP_1) | instid1(VALU_DEP_2)
	v_dual_lshlrev_b32 v102, 24, v102 :: v_dual_lshlrev_b32 v28, 20, v28
	v_lshl_add_u32 v100, v100, 23, 0x3c000000
	v_and_b32_e32 v102, 0x80000000, v102
	s_delay_alu instid0(VALU_DEP_1)
	v_or3_b32 v100, v28, v102, v100
.LBB326_423:                            ;   in Loop: Header=BB326_12 Depth=1
	s_or_b32 exec_lo, exec_lo, s44
.LBB326_424:                            ;   in Loop: Header=BB326_12 Depth=1
	s_delay_alu instid0(SALU_CYCLE_1)
	s_or_b32 exec_lo, exec_lo, s43
.LBB326_425:                            ;   in Loop: Header=BB326_12 Depth=1
	s_delay_alu instid0(SALU_CYCLE_1) | instskip(NEXT) | instid1(SALU_CYCLE_1)
	s_or_b32 exec_lo, exec_lo, s42
	s_mov_b32 s42, exec_lo
	v_cmpx_lt_u32_e32 0xffffff, v101
	s_cbranch_execz .LBB326_433
; %bb.426:                              ;   in Loop: Header=BB326_12 Depth=1
	v_lshrrev_b32_e32 v102, 24, v101
	v_bfrev_b32_e32 v99, 1
	s_mov_b32 s43, exec_lo
	s_delay_alu instid0(VALU_DEP_2)
	v_cmpx_ne_u32_e32 0x80, v102
	s_cbranch_execz .LBB326_432
; %bb.427:                              ;   in Loop: Header=BB326_12 Depth=1
	v_bfe_u32 v101, v101, 24, 7
	v_mov_b32_e32 v99, 0x7f800001
	s_mov_b32 s44, exec_lo
	s_delay_alu instid0(VALU_DEP_2)
	v_cmpx_ne_u32_e32 0x7f, v101
	s_cbranch_execz .LBB326_431
; %bb.428:                              ;   in Loop: Header=BB326_12 Depth=1
	v_dual_lshrrev_b32 v99, 3, v101 :: v_dual_bitop2_b32 v28, 7, v102 bitop3:0x40
	s_mov_b32 s45, exec_lo
	v_cmpx_gt_u32_e32 8, v101
; %bb.429:                              ;   in Loop: Header=BB326_12 Depth=1
	s_delay_alu instid0(VALU_DEP_2) | instskip(NEXT) | instid1(VALU_DEP_1)
	v_clz_i32_u32_e32 v99, v28
	v_min_u32_e32 v99, 32, v99
	s_delay_alu instid0(VALU_DEP_1) | instskip(NEXT) | instid1(VALU_DEP_1)
	v_subrev_nc_u32_e32 v101, 28, v99
	v_lshlrev_b64_e32 v[104:105], v101, v[28:29]
	s_delay_alu instid0(VALU_DEP_1)
	v_dual_sub_nc_u32 v99, 29, v99 :: v_dual_bitop2_b32 v28, 7, v104 bitop3:0x40
; %bb.430:                              ;   in Loop: Header=BB326_12 Depth=1
	s_or_b32 exec_lo, exec_lo, s45
	s_delay_alu instid0(VALU_DEP_1) | instskip(NEXT) | instid1(VALU_DEP_2)
	v_dual_lshlrev_b32 v101, 24, v102 :: v_dual_lshlrev_b32 v28, 20, v28
	v_lshl_add_u32 v99, v99, 23, 0x3c000000
	s_delay_alu instid0(VALU_DEP_2) | instskip(NEXT) | instid1(VALU_DEP_1)
	v_and_b32_e32 v101, 0x80000000, v101
	v_or3_b32 v99, v28, v101, v99
.LBB326_431:                            ;   in Loop: Header=BB326_12 Depth=1
	s_or_b32 exec_lo, exec_lo, s44
.LBB326_432:                            ;   in Loop: Header=BB326_12 Depth=1
	s_delay_alu instid0(SALU_CYCLE_1)
	s_or_b32 exec_lo, exec_lo, s43
.LBB326_433:                            ;   in Loop: Header=BB326_12 Depth=1
	s_delay_alu instid0(SALU_CYCLE_1)
	s_or_b32 exec_lo, exec_lo, s42
	global_load_b32 v103, v[36:37], off offset:1544
	s_wait_xcnt 0x0
	v_dual_mov_b32 v101, 0 :: v_dual_mov_b32 v37, 0
	s_mov_b32 s42, exec_lo
	s_wait_loadcnt 0x0
	v_and_b32_e32 v28, 0xff, v103
	s_delay_alu instid0(VALU_DEP_1)
	v_cmpx_ne_u16_e32 0, v28
	s_cbranch_execz .LBB326_441
; %bb.434:                              ;   in Loop: Header=BB326_12 Depth=1
	v_bfrev_b32_e32 v37, 1
	s_mov_b32 s43, exec_lo
	v_cmpx_ne_u16_e32 0x80, v28
	s_cbranch_execz .LBB326_440
; %bb.435:                              ;   in Loop: Header=BB326_12 Depth=1
	v_and_b32_e32 v102, 0x7f, v103
	v_mov_b32_e32 v37, 0x7f800001
	s_mov_b32 s44, exec_lo
	s_delay_alu instid0(VALU_DEP_2)
	v_cmpx_ne_u32_e32 0x7f, v102
	s_cbranch_execz .LBB326_439
; %bb.436:                              ;   in Loop: Header=BB326_12 Depth=1
	v_dual_lshrrev_b32 v36, 3, v102 :: v_dual_bitop2_b32 v28, 7, v103 bitop3:0x40
	s_mov_b32 s45, exec_lo
	v_cmpx_gt_u32_e32 8, v102
; %bb.437:                              ;   in Loop: Header=BB326_12 Depth=1
	s_delay_alu instid0(VALU_DEP_2) | instskip(NEXT) | instid1(VALU_DEP_1)
	v_clz_i32_u32_e32 v36, v28
	v_min_u32_e32 v36, 32, v36
	s_delay_alu instid0(VALU_DEP_1) | instskip(SKIP_1) | instid1(VALU_DEP_2)
	v_subrev_nc_u32_e32 v37, 28, v36
	v_sub_nc_u32_e32 v36, 29, v36
	v_lshlrev_b64_e32 v[104:105], v37, v[28:29]
	s_delay_alu instid0(VALU_DEP_1)
	v_and_b32_e32 v28, 7, v104
; %bb.438:                              ;   in Loop: Header=BB326_12 Depth=1
	s_or_b32 exec_lo, exec_lo, s45
	s_delay_alu instid0(VALU_DEP_1) | instskip(SKIP_1) | instid1(VALU_DEP_2)
	v_dual_lshlrev_b32 v37, 24, v103 :: v_dual_lshlrev_b32 v28, 20, v28
	v_lshl_add_u32 v36, v36, 23, 0x3c000000
	v_and_b32_e32 v37, 0x80000000, v37
	s_delay_alu instid0(VALU_DEP_1)
	v_or3_b32 v37, v28, v37, v36
.LBB326_439:                            ;   in Loop: Header=BB326_12 Depth=1
	s_or_b32 exec_lo, exec_lo, s44
.LBB326_440:                            ;   in Loop: Header=BB326_12 Depth=1
	s_delay_alu instid0(SALU_CYCLE_1)
	s_or_b32 exec_lo, exec_lo, s43
.LBB326_441:                            ;   in Loop: Header=BB326_12 Depth=1
	s_delay_alu instid0(SALU_CYCLE_1) | instskip(SKIP_2) | instid1(VALU_DEP_1)
	s_or_b32 exec_lo, exec_lo, s42
	v_lshrrev_b16 v28, 8, v103
	s_mov_b32 s42, exec_lo
	v_cmpx_ne_u16_e32 0, v28
	s_cbranch_execz .LBB326_449
; %bb.442:                              ;   in Loop: Header=BB326_12 Depth=1
	v_bfrev_b32_e32 v101, 1
	s_mov_b32 s43, exec_lo
	v_cmpx_ne_u16_e32 0x80, v28
	s_cbranch_execz .LBB326_448
; %bb.443:                              ;   in Loop: Header=BB326_12 Depth=1
	v_and_b32_e32 v28, 0xffff, v28
	v_mov_b32_e32 v101, 0x7f800001
	s_mov_b32 s44, exec_lo
	s_delay_alu instid0(VALU_DEP_2) | instskip(NEXT) | instid1(VALU_DEP_1)
	v_and_b32_e32 v102, 0x7f, v28
	v_cmpx_ne_u32_e32 0x7f, v102
	s_cbranch_execz .LBB326_447
; %bb.444:                              ;   in Loop: Header=BB326_12 Depth=1
	v_dual_lshrrev_b32 v36, 3, v102 :: v_dual_bitop2_b32 v28, 7, v28 bitop3:0x40
	s_mov_b32 s45, exec_lo
	v_cmpx_gt_u32_e32 8, v102
; %bb.445:                              ;   in Loop: Header=BB326_12 Depth=1
	s_delay_alu instid0(VALU_DEP_2) | instskip(NEXT) | instid1(VALU_DEP_1)
	v_clz_i32_u32_e32 v36, v28
	v_min_u32_e32 v36, 32, v36
	s_delay_alu instid0(VALU_DEP_1) | instskip(SKIP_1) | instid1(VALU_DEP_2)
	v_subrev_nc_u32_e32 v101, 28, v36
	v_sub_nc_u32_e32 v36, 29, v36
	v_lshlrev_b64_e32 v[104:105], v101, v[28:29]
	s_delay_alu instid0(VALU_DEP_1)
	v_and_b32_e32 v28, 7, v104
; %bb.446:                              ;   in Loop: Header=BB326_12 Depth=1
	s_or_b32 exec_lo, exec_lo, s45
	s_delay_alu instid0(VALU_DEP_1) | instskip(SKIP_1) | instid1(VALU_DEP_2)
	v_dual_lshlrev_b32 v101, 16, v103 :: v_dual_lshlrev_b32 v28, 20, v28
	v_lshl_add_u32 v36, v36, 23, 0x3c000000
	v_and_b32_e32 v101, 0x80000000, v101
	s_delay_alu instid0(VALU_DEP_1)
	v_or3_b32 v101, v28, v101, v36
.LBB326_447:                            ;   in Loop: Header=BB326_12 Depth=1
	s_or_b32 exec_lo, exec_lo, s44
.LBB326_448:                            ;   in Loop: Header=BB326_12 Depth=1
	s_delay_alu instid0(SALU_CYCLE_1)
	s_or_b32 exec_lo, exec_lo, s43
.LBB326_449:                            ;   in Loop: Header=BB326_12 Depth=1
	s_delay_alu instid0(SALU_CYCLE_1) | instskip(SKIP_3) | instid1(VALU_DEP_2)
	s_or_b32 exec_lo, exec_lo, s42
	v_dual_lshrrev_b32 v104, 16, v103 :: v_dual_mov_b32 v36, 0
	v_mov_b32_e32 v102, 0
	s_mov_b32 s42, exec_lo
	v_and_b32_e32 v28, 0xff, v104
	s_delay_alu instid0(VALU_DEP_1)
	v_cmpx_ne_u16_e32 0, v28
	s_cbranch_execz .LBB326_457
; %bb.450:                              ;   in Loop: Header=BB326_12 Depth=1
	v_bfrev_b32_e32 v102, 1
	s_mov_b32 s43, exec_lo
	v_cmpx_ne_u16_e32 0x80, v28
	s_cbranch_execz .LBB326_456
; %bb.451:                              ;   in Loop: Header=BB326_12 Depth=1
	v_bfe_u32 v105, v103, 16, 7
	v_mov_b32_e32 v102, 0x7f800001
	s_mov_b32 s44, exec_lo
	s_delay_alu instid0(VALU_DEP_2)
	v_cmpx_ne_u32_e32 0x7f, v105
	s_cbranch_execz .LBB326_455
; %bb.452:                              ;   in Loop: Header=BB326_12 Depth=1
	v_dual_lshrrev_b32 v102, 3, v105 :: v_dual_bitop2_b32 v28, 7, v104 bitop3:0x40
	s_mov_b32 s45, exec_lo
	v_cmpx_gt_u32_e32 8, v105
; %bb.453:                              ;   in Loop: Header=BB326_12 Depth=1
	s_delay_alu instid0(VALU_DEP_2) | instskip(NEXT) | instid1(VALU_DEP_1)
	v_clz_i32_u32_e32 v102, v28
	v_min_u32_e32 v102, 32, v102
	s_delay_alu instid0(VALU_DEP_1) | instskip(SKIP_1) | instid1(VALU_DEP_2)
	v_subrev_nc_u32_e32 v105, 28, v102
	v_sub_nc_u32_e32 v102, 29, v102
	v_lshlrev_b64_e32 v[106:107], v105, v[28:29]
	s_delay_alu instid0(VALU_DEP_1)
	v_and_b32_e32 v28, 7, v106
; %bb.454:                              ;   in Loop: Header=BB326_12 Depth=1
	s_or_b32 exec_lo, exec_lo, s45
	v_lshlrev_b32_e32 v104, 24, v104
	s_delay_alu instid0(VALU_DEP_2) | instskip(SKIP_1) | instid1(VALU_DEP_3)
	v_lshlrev_b32_e32 v28, 20, v28
	v_lshl_add_u32 v102, v102, 23, 0x3c000000
	v_and_b32_e32 v104, 0x80000000, v104
	s_delay_alu instid0(VALU_DEP_1)
	v_or3_b32 v102, v28, v104, v102
.LBB326_455:                            ;   in Loop: Header=BB326_12 Depth=1
	s_or_b32 exec_lo, exec_lo, s44
.LBB326_456:                            ;   in Loop: Header=BB326_12 Depth=1
	s_delay_alu instid0(SALU_CYCLE_1)
	s_or_b32 exec_lo, exec_lo, s43
.LBB326_457:                            ;   in Loop: Header=BB326_12 Depth=1
	s_delay_alu instid0(SALU_CYCLE_1) | instskip(NEXT) | instid1(SALU_CYCLE_1)
	s_or_b32 exec_lo, exec_lo, s42
	s_mov_b32 s42, exec_lo
	v_cmpx_lt_u32_e32 0xffffff, v103
	s_cbranch_execz .LBB326_465
; %bb.458:                              ;   in Loop: Header=BB326_12 Depth=1
	v_lshrrev_b32_e32 v104, 24, v103
	v_bfrev_b32_e32 v36, 1
	s_mov_b32 s43, exec_lo
	s_delay_alu instid0(VALU_DEP_2)
	v_cmpx_ne_u32_e32 0x80, v104
	s_cbranch_execz .LBB326_464
; %bb.459:                              ;   in Loop: Header=BB326_12 Depth=1
	v_bfe_u32 v103, v103, 24, 7
	v_mov_b32_e32 v36, 0x7f800001
	s_mov_b32 s44, exec_lo
	s_delay_alu instid0(VALU_DEP_2)
	v_cmpx_ne_u32_e32 0x7f, v103
	s_cbranch_execz .LBB326_463
; %bb.460:                              ;   in Loop: Header=BB326_12 Depth=1
	v_dual_lshrrev_b32 v36, 3, v103 :: v_dual_bitop2_b32 v28, 7, v104 bitop3:0x40
	s_mov_b32 s45, exec_lo
	v_cmpx_gt_u32_e32 8, v103
; %bb.461:                              ;   in Loop: Header=BB326_12 Depth=1
	s_delay_alu instid0(VALU_DEP_2) | instskip(NEXT) | instid1(VALU_DEP_1)
	v_clz_i32_u32_e32 v36, v28
	v_min_u32_e32 v36, 32, v36
	s_delay_alu instid0(VALU_DEP_1) | instskip(NEXT) | instid1(VALU_DEP_1)
	v_subrev_nc_u32_e32 v103, 28, v36
	v_lshlrev_b64_e32 v[106:107], v103, v[28:29]
	s_delay_alu instid0(VALU_DEP_1)
	v_dual_sub_nc_u32 v36, 29, v36 :: v_dual_bitop2_b32 v28, 7, v106 bitop3:0x40
; %bb.462:                              ;   in Loop: Header=BB326_12 Depth=1
	s_or_b32 exec_lo, exec_lo, s45
	v_lshlrev_b32_e32 v103, 24, v104
	s_delay_alu instid0(VALU_DEP_2) | instskip(NEXT) | instid1(VALU_DEP_3)
	v_lshlrev_b32_e32 v28, 20, v28
	v_lshl_add_u32 v36, v36, 23, 0x3c000000
	s_delay_alu instid0(VALU_DEP_3) | instskip(NEXT) | instid1(VALU_DEP_1)
	v_and_b32_e32 v103, 0x80000000, v103
	v_or3_b32 v36, v28, v103, v36
.LBB326_463:                            ;   in Loop: Header=BB326_12 Depth=1
	s_or_b32 exec_lo, exec_lo, s44
.LBB326_464:                            ;   in Loop: Header=BB326_12 Depth=1
	s_delay_alu instid0(SALU_CYCLE_1)
	s_or_b32 exec_lo, exec_lo, s43
.LBB326_465:                            ;   in Loop: Header=BB326_12 Depth=1
	s_delay_alu instid0(SALU_CYCLE_1)
	s_or_b32 exec_lo, exec_lo, s42
	s_wait_kmcnt 0x0
	v_fma_mixlo_bf16 v54, s41, v54, 0
	v_fma_mixlo_bf16 v53, s41, v53, 0
	;; [unrolled: 1-line block ×4, first 2 shown]
	s_wait_dscnt 0x7
	v_lshlrev_b32_e32 v101, 16, v24
	v_and_b32_e32 v24, 0xffff0000, v24
	v_dual_lshlrev_b32 v53, 16, v53 :: v_dual_lshlrev_b32 v54, 16, v54
	v_lshlrev_b32_e32 v103, 16, v25
	v_fma_mixlo_bf16 v55, s41, v55, 0
	v_fma_mixlo_bf16 v50, s41, v50, 0
	;; [unrolled: 1-line block ×3, first 2 shown]
	v_dual_mul_f32 v53, v101, v53 :: v_dual_lshlrev_b32 v56, 16, v56
	s_delay_alu instid0(VALU_DEP_4)
	v_dual_mul_f32 v24, v24, v54 :: v_dual_lshlrev_b32 v54, 16, v55
	v_fma_mixlo_bf16 v58, s41, v58, 0
	v_fma_mixlo_bf16 v57, s41, v57, 0
	;; [unrolled: 1-line block ×3, first 2 shown]
	v_and_b32_e32 v25, 0xffff0000, v25
	v_mul_f32_e32 v55, v103, v56
	v_fma_mix_f32_bf16 v49, v22, v49, v53 op_sel_hi:[1,1,0]
	v_fma_mix_f32_bf16 v22, v22, v50, v24 op_sel:[1,0,0] op_sel_hi:[1,1,0]
	v_fma_mixlo_bf16 v62, s41, v62, 0
	v_fma_mixlo_bf16 v61, s41, v61, 0
	;; [unrolled: 1-line block ×4, first 2 shown]
	v_mul_f32_e32 v24, v25, v54
	v_fma_mix_f32_bf16 v25, v23, v52, v55 op_sel_hi:[1,1,0]
	s_wait_dscnt 0x6
	v_fma_mix_f32_bf16 v49, v18, v57, v49 op_sel_hi:[1,1,0]
	v_fma_mix_f32_bf16 v18, v18, v58, v22 op_sel:[1,0,0] op_sel_hi:[1,1,0]
	v_fma_mixlo_bf16 v66, s41, v66, 0
	v_fma_mixlo_bf16 v65, s41, v65, 0
	v_fma_mixlo_bf16 v64, s41, v64, 0
	v_fma_mixlo_bf16 v50, s41, v59, 0
	v_fma_mix_f32_bf16 v22, v23, v51, v24 op_sel:[1,0,0] op_sel_hi:[1,1,0]
	v_fma_mix_f32_bf16 v23, v19, v60, v25 op_sel_hi:[1,1,0]
	v_fma_mix_f32_bf16 v24, v20, v61, v49 op_sel_hi:[1,1,0]
	v_fma_mix_f32_bf16 v18, v20, v62, v18 op_sel:[1,0,0] op_sel_hi:[1,1,0]
	v_fma_mixlo_bf16 v70, s41, v70, 0
	v_fma_mixlo_bf16 v69, s41, v69, 0
	v_fma_mixlo_bf16 v68, s41, v68, 0
	v_fma_mixlo_bf16 v25, s41, v63, 0
	v_fma_mix_f32_bf16 v19, v19, v50, v22 op_sel:[1,0,0] op_sel_hi:[1,1,0]
	v_fma_mix_f32_bf16 v20, v21, v64, v23 op_sel_hi:[1,1,0]
	s_wait_dscnt 0x5
	v_fma_mix_f32_bf16 v22, v14, v65, v24 op_sel_hi:[1,1,0]
	v_fma_mix_f32_bf16 v14, v14, v66, v18 op_sel:[1,0,0] op_sel_hi:[1,1,0]
	v_fma_mixlo_bf16 v74, s41, v74, 0
	v_fma_mixlo_bf16 v73, s41, v73, 0
	v_fma_mixlo_bf16 v72, s41, v72, 0
	v_fma_mixlo_bf16 v23, s41, v67, 0
	v_fma_mix_f32_bf16 v18, v21, v25, v19 op_sel:[1,0,0] op_sel_hi:[1,1,0]
	v_fma_mix_f32_bf16 v19, v15, v68, v20 op_sel_hi:[1,1,0]
	v_fma_mix_f32_bf16 v20, v16, v69, v22 op_sel_hi:[1,1,0]
	v_fma_mix_f32_bf16 v14, v16, v70, v14 op_sel:[1,0,0] op_sel_hi:[1,1,0]
	v_fma_mixlo_bf16 v78, s41, v78, 0
	v_fma_mixlo_bf16 v77, s41, v77, 0
	v_fma_mixlo_bf16 v76, s41, v76, 0
	v_fma_mixlo_bf16 v21, s41, v71, 0
	v_fma_mix_f32_bf16 v15, v15, v23, v18 op_sel:[1,0,0] op_sel_hi:[1,1,0]
	;; [unrolled: 17-line block ×3, first 2 shown]
	v_fma_mix_f32_bf16 v12, v13, v80, v15 op_sel_hi:[1,1,0]
	s_wait_dscnt 0x3
	v_fma_mix_f32_bf16 v14, v6, v81, v16 op_sel_hi:[1,1,0]
	v_fma_mix_f32_bf16 v6, v6, v82, v10 op_sel:[1,0,0] op_sel_hi:[1,1,0]
	v_fma_mixlo_bf16 v90, s41, v90, 0
	v_fma_mixlo_bf16 v89, s41, v89, 0
	;; [unrolled: 1-line block ×4, first 2 shown]
	v_fma_mix_f32_bf16 v13, v13, v17, v11 op_sel:[1,0,0] op_sel_hi:[1,1,0]
	v_fma_mix_f32_bf16 v12, v7, v84, v12 op_sel_hi:[1,1,0]
	v_fma_mix_f32_bf16 v14, v8, v85, v14 op_sel_hi:[1,1,0]
	ds_load_b64 v[10:11], v42 offset:102
	v_fma_mix_f32_bf16 v6, v8, v86, v6 op_sel:[1,0,0] op_sel_hi:[1,1,0]
	v_fma_mixlo_bf16 v94, s41, v94, 0
	v_fma_mixlo_bf16 v93, s41, v93, 0
	;; [unrolled: 1-line block ×4, first 2 shown]
	v_fma_mix_f32_bf16 v7, v7, v15, v13 op_sel:[1,0,0] op_sel_hi:[1,1,0]
	v_fma_mix_f32_bf16 v8, v9, v88, v12 op_sel_hi:[1,1,0]
	s_wait_dscnt 0x3
	v_fma_mix_f32_bf16 v12, v2, v89, v14 op_sel_hi:[1,1,0]
	v_fma_mix_f32_bf16 v2, v2, v90, v6 op_sel:[1,0,0] op_sel_hi:[1,1,0]
	v_fma_mixlo_bf16 v98, s41, v98, 0
	v_fma_mixlo_bf16 v97, s41, v97, 0
	;; [unrolled: 1-line block ×4, first 2 shown]
	v_fma_mix_f32_bf16 v6, v9, v87, v7 op_sel:[1,0,0] op_sel_hi:[1,1,0]
	v_fma_mix_f32_bf16 v7, v3, v92, v8 op_sel_hi:[1,1,0]
	v_fma_mix_f32_bf16 v8, v4, v93, v12 op_sel_hi:[1,1,0]
	ds_load_u16 v9, v42 offset:110
	v_fma_mix_f32_bf16 v2, v4, v94, v2 op_sel:[1,0,0] op_sel_hi:[1,1,0]
	v_fma_mixlo_bf16 v37, s41, v37, 0
	v_fma_mixlo_bf16 v100, s41, v100, 0
	;; [unrolled: 1-line block ×3, first 2 shown]
	v_fma_mix_f32_bf16 v3, v3, v13, v6 op_sel:[1,0,0] op_sel_hi:[1,1,0]
	v_fma_mix_f32_bf16 v6, v5, v96, v7 op_sel_hi:[1,1,0]
	s_wait_dscnt 0x3
	v_fma_mix_f32_bf16 v7, v48, v97, v8 op_sel_hi:[1,1,0]
	v_fma_mix_f32_bf16 v2, v48, v98, v2 op_sel:[1,0,0] op_sel_hi:[1,1,0]
	v_fma_mixlo_bf16 v99, s41, v99, 0
	v_fma_mixlo_bf16 v8, s41, v102, 0
	v_fma_mix_f32_bf16 v3, v5, v4, v3 op_sel:[1,0,0] op_sel_hi:[1,1,0]
	s_wait_dscnt 0x2
	v_fma_mix_f32_bf16 v4, v31, v100, v6 op_sel_hi:[1,1,0]
	s_wait_dscnt 0x1
	v_fma_mix_f32_bf16 v5, v37, v10, v7 op_sel:[0,1,0] op_sel_hi:[1,1,0]
	v_fma_mix_f32_bf16 v2, v28, v11, v2 op_sel_hi:[1,1,0]
	v_xor_b32_e32 v6, 1, v40
	v_fma_mixlo_bf16 v7, s41, v36, 0
	v_fma_mix_f32_bf16 v3, v99, v10, v3 op_sel_hi:[1,1,0]
	v_fma_mix_f32_bf16 v4, v8, v11, v4 op_sel:[0,1,0] op_sel_hi:[1,1,0]
	v_add_f32_e32 v2, v5, v2
	v_cmp_gt_i32_e64 s4, 32, v6
	s_wait_dscnt 0x0
	v_fma_mix_f32_bf16 v3, v7, v9, v3 op_sel_hi:[1,1,0]
	s_delay_alu instid0(VALU_DEP_2) | instskip(NEXT) | instid1(VALU_DEP_1)
	v_dual_add_f32 v2, v2, v4 :: v_dual_cndmask_b32 v5, v40, v6, s4
	v_dual_add_f32 v2, v3, v2 :: v_dual_lshlrev_b32 v4, 2, v5
	ds_bpermute_b32 v3, v4, v2
	s_and_saveexec_b32 s41, s3
	s_cbranch_execz .LBB326_10
; %bb.466:                              ;   in Loop: Header=BB326_12 Depth=1
	s_wait_dscnt 0x0
	v_dual_add_nc_u32 v4, v44, v30 :: v_dual_add_f32 v2, v2, v3
	s_delay_alu instid0(VALU_DEP_1) | instskip(NEXT) | instid1(VALU_DEP_1)
	v_cvt_f32_i32_e32 v4, v4
	v_mul_f32_e32 v4, s36, v4
	s_delay_alu instid0(VALU_DEP_1) | instskip(NEXT) | instid1(VALU_DEP_1)
	v_dual_cndmask_b32 v3, 0, v4 :: v_dual_max_num_f32 v4, v43, v43
	v_fmac_f32_e32 v3, s27, v2
	s_delay_alu instid0(VALU_DEP_1) | instskip(NEXT) | instid1(VALU_DEP_1)
	v_dual_add_nc_u32 v2, v41, v30 :: v_dual_max_num_f32 v4, v4, v3
	v_cmp_gt_i32_e64 s4, s34, v2
	s_delay_alu instid0(VALU_DEP_1)
	v_dual_cndmask_b32 v2, 0, v3, s4 :: v_dual_cndmask_b32 v43, v43, v4, s4
	ds_store_b32 v45, v2
	s_branch .LBB326_10
.LBB326_467:
	s_or_b32 exec_lo, exec_lo, s40
.LBB326_468:
	s_delay_alu instid0(SALU_CYCLE_1)
	s_or_b32 exec_lo, exec_lo, s37
	v_dual_max_num_f32 v5, v43, v43 :: v_dual_bitop2_b32 v2, 16, v40 bitop3:0x14
	s_clause 0x1
	s_load_b64 s[4:5], s[0:1], 0x0
	s_load_b64 s[8:9], s[0:1], 0x18
	v_and_b32_e32 v30, 31, v0
	v_xor_b32_e32 v4, 8, v40
	v_cmp_gt_i32_e32 vcc_lo, 32, v2
	v_dual_cndmask_b32 v2, v40, v2, vcc_lo :: v_dual_bitop2_b32 v6, 4, v40 bitop3:0x14
	s_delay_alu instid0(VALU_DEP_3) | instskip(SKIP_1) | instid1(VALU_DEP_2)
	v_cmp_gt_i32_e32 vcc_lo, 32, v4
	s_wait_dscnt 0x0
	v_dual_cndmask_b32 v4, v40, v4 :: v_dual_lshlrev_b32 v3, 2, v2
	s_delay_alu instid0(VALU_DEP_3) | instskip(SKIP_3) | instid1(VALU_DEP_1)
	v_cmp_gt_i32_e32 vcc_lo, 32, v6
	ds_bpermute_b32 v2, v3, v43
	s_wait_dscnt 0x0
	v_dual_lshlrev_b32 v4, 2, v4 :: v_dual_max_num_f32 v2, v2, v2
	v_max_num_f32_e32 v2, v5, v2
	ds_bpermute_b32 v5, v4, v2
	s_wait_dscnt 0x0
	v_dual_cndmask_b32 v6, v40, v6 :: v_dual_max_num_f32 v7, v5, v5
	s_delay_alu instid0(VALU_DEP_1) | instskip(SKIP_3) | instid1(VALU_DEP_1)
	v_dual_max_num_f32 v2, v2, v7 :: v_dual_lshlrev_b32 v5, 2, v6
	ds_bpermute_b32 v6, v5, v2
	s_wait_dscnt 0x0
	v_dual_max_num_f32 v6, v6, v6 :: v_dual_bitop2_b32 v7, 2, v40 bitop3:0x14
	v_cmp_gt_i32_e32 vcc_lo, 32, v7
	s_delay_alu instid0(VALU_DEP_2) | instskip(SKIP_1) | instid1(VALU_DEP_2)
	v_dual_cndmask_b32 v8, v40, v7 :: v_dual_max_num_f32 v7, v2, v6
	v_cmp_eq_u32_e32 vcc_lo, 0, v30
	v_dual_lshlrev_b32 v6, 2, v39 :: v_dual_lshlrev_b32 v2, 2, v8
	ds_bpermute_b32 v8, v2, v7
	s_wait_xcnt 0x0
	s_and_saveexec_b32 s0, vcc_lo
	s_cbranch_execz .LBB326_470
; %bb.469:
	s_wait_dscnt 0x0
	v_dual_max_num_f32 v8, v8, v8 :: v_dual_max_num_f32 v7, v7, v7
	s_delay_alu instid0(VALU_DEP_1)
	v_max_num_f32_e32 v7, v7, v8
	ds_store_b32 v6, v7 offset:224
.LBB326_470:
	s_or_b32 exec_lo, exec_lo, s0
	v_cmp_gt_u32_e64 s0, 4, v30
	s_wait_dscnt 0x0
	v_dual_mov_b32 v8, 0xff7fffff :: v_dual_lshlrev_b32 v7, 2, v30
	s_barrier_signal -1
	s_barrier_wait -1
	s_and_saveexec_b32 s1, s0
; %bb.471:
	ds_load_b32 v8, v7 offset:224
; %bb.472:
	s_or_b32 exec_lo, exec_lo, s1
	s_wait_dscnt 0x0
	ds_bpermute_b32 v9, v2, v8
	s_wait_dscnt 0x0
	v_dual_max_num_f32 v9, v9, v9 :: v_dual_bitop2_b32 v10, 1, v40 bitop3:0x14
	s_delay_alu instid0(VALU_DEP_1) | instskip(NEXT) | instid1(VALU_DEP_1)
	v_cmp_gt_i32_e64 s1, 32, v10
	v_cndmask_b32_e64 v10, v40, v10, s1
	v_max_num_f32_e32 v8, v8, v8
	s_lshl_b32 s1, s12, 4
	s_delay_alu instid0(SALU_CYCLE_1) | instskip(NEXT) | instid1(VALU_DEP_1)
	s_min_i32 s19, s1, s34
	v_dual_max_num_f32 v8, v8, v9 :: v_dual_lshlrev_b32 v31, 2, v10
	v_cmp_gt_i32_e64 s1, s19, v0
	ds_bpermute_b32 v9, v31, v8
	s_wait_dscnt 0x0
	v_max_num_f32_e32 v9, v9, v9
	s_delay_alu instid0(VALU_DEP_1)
	v_dual_max_num_f32 v9, v8, v9 :: v_dual_mov_b32 v8, 0
	ds_bpermute_b32 v9, v8, v9
	s_and_saveexec_b32 s27, s1
	s_cbranch_execz .LBB326_476
; %bb.473:
	v_lshl_add_u32 v10, v0, 2, 0x100
	v_dual_mov_b32 v8, 0 :: v_dual_mov_b32 v11, v0
	s_mov_b32 s28, 0
.LBB326_474:                            ; =>This Inner Loop Header: Depth=1
	ds_load_b32 v12, v10
	v_add_nc_u32_e32 v11, 0x80, v11
	s_delay_alu instid0(VALU_DEP_1) | instskip(SKIP_3) | instid1(VALU_DEP_1)
	v_cmp_le_i32_e64 s3, s19, v11
	s_or_b32 s28, s3, s28
	s_wait_dscnt 0x0
	v_sub_f32_e32 v12, v12, v9
	v_mul_f32_e32 v12, 0x3fb8aa3b, v12
	s_delay_alu instid0(VALU_DEP_1)
	v_exp_f32_e32 v12, v12
	ds_store_b32 v10, v12
	v_nop
	v_add_f32_e32 v8, v8, v12
	v_add_nc_u32_e32 v10, 0x200, v10
	s_and_not1_b32 exec_lo, exec_lo, s28
	s_cbranch_execnz .LBB326_474
; %bb.475:
	s_or_b32 exec_lo, exec_lo, s28
.LBB326_476:
	s_delay_alu instid0(SALU_CYCLE_1)
	s_or_b32 exec_lo, exec_lo, s27
	ds_bpermute_b32 v3, v3, v8
	s_wait_dscnt 0x0
	v_add_f32_e32 v3, v8, v3
	ds_bpermute_b32 v4, v4, v3
	s_wait_dscnt 0x0
	v_add_f32_e32 v3, v3, v4
	;; [unrolled: 3-line block ×5, first 2 shown]
	s_and_saveexec_b32 s3, vcc_lo
; %bb.477:
	ds_store_b32 v6, v3 offset:240
; %bb.478:
	s_or_b32 exec_lo, exec_lo, s3
	s_wait_dscnt 0x0
	s_barrier_signal -1
	s_barrier_wait -1
	s_and_saveexec_b32 s3, s0
; %bb.479:
	ds_load_b32 v3, v7 offset:240
; %bb.480:
	s_or_b32 exec_lo, exec_lo, s3
	s_wait_dscnt 0x0
	ds_bpermute_b32 v2, v2, v3
	s_wait_dscnt 0x0
	v_dual_mov_b32 v11, 0 :: v_dual_add_f32 v2, v3, v2
	ds_bpermute_b32 v3, v31, v2
	s_wait_dscnt 0x0
	v_add_f32_e32 v2, v2, v3
	ds_bpermute_b32 v2, v11, v2
	s_and_saveexec_b32 s0, s1
	s_cbranch_execz .LBB326_493
; %bb.481:
	s_wait_dscnt 0x0
	v_add_f32_e32 v2, 0x358637bd, v2
	s_mov_b32 s3, -1
	s_mov_b32 s1, exec_lo
	s_delay_alu instid0(VALU_DEP_1) | instskip(NEXT) | instid1(VALU_DEP_1)
	v_div_scale_f32 v3, null, v2, v2, 1.0
	v_rcp_f32_e32 v5, v3
	v_nop
	s_delay_alu instid0(TRANS32_DEP_1) | instskip(NEXT) | instid1(VALU_DEP_1)
	v_fma_f32 v4, -v3, v5, 1.0
	v_fmac_f32_e32 v5, v4, v5
	v_div_scale_f32 v6, vcc_lo, 1.0, v2, 1.0
	s_delay_alu instid0(VALU_DEP_1) | instskip(NEXT) | instid1(VALU_DEP_1)
	v_mul_f32_e32 v7, v6, v5
	v_fma_f32 v4, -v3, v7, v6
	s_delay_alu instid0(VALU_DEP_1) | instskip(SKIP_1) | instid1(VALU_DEP_2)
	v_fmac_f32_e32 v7, v4, v5
	v_xad_u32 v4, v0, -1, s19
	v_fma_f32 v3, -v3, v7, v6
	s_delay_alu instid0(VALU_DEP_1) | instskip(NEXT) | instid1(VALU_DEP_1)
	v_div_fmas_f32 v3, v3, v5, v7
	v_div_fixup_f32 v2, v3, v2, 1.0
	v_mov_b32_e32 v3, v0
	v_cmpx_lt_u32_e32 0x7f, v4
	s_cbranch_execz .LBB326_490
; %bb.482:
	s_delay_alu instid0(VALU_DEP_3) | instskip(NEXT) | instid1(VALU_DEP_1)
	v_dual_mov_b32 v3, v2 :: v_dual_lshrrev_b32 v4, 7, v4
	v_dual_mov_b32 v8, 0 :: v_dual_add_nc_u32 v5, -1, v4
	s_delay_alu instid0(VALU_DEP_1) | instskip(SKIP_1) | instid1(VALU_DEP_2)
	v_lshrrev_b32_e32 v6, 1, v5
	v_cmp_lt_u32_e32 vcc_lo, 13, v5
	v_add_nc_u32_e32 v5, 1, v6
	s_and_saveexec_b32 s3, vcc_lo
	s_cbranch_execz .LBB326_486
; %bb.483:
	s_delay_alu instid0(VALU_DEP_1)
	v_and_b32_e32 v6, -8, v5
	v_lshl_add_u32 v7, v0, 2, 0x100
	s_mov_b32 s27, 0
	s_mov_b32 s28, 0
.LBB326_484:                            ; =>This Inner Loop Header: Depth=1
	ds_load_2addr_stride64_b32 v[8:9], v7 offset1:2
	ds_load_2addr_stride64_b32 v[12:13], v7 offset0:4 offset1:6
	ds_load_2addr_stride64_b32 v[14:15], v7 offset0:8 offset1:10
	;; [unrolled: 1-line block ×7, first 2 shown]
	s_add_co_i32 s28, s28, 16
	v_add_nc_u32_e32 v6, -8, v6
	s_wait_dscnt 0x7
	v_pk_mul_f32 v[8:9], v[2:3], v[8:9]
	s_wait_dscnt 0x6
	v_pk_mul_f32 v[12:13], v[2:3], v[12:13]
	;; [unrolled: 2-line block ×8, first 2 shown]
	ds_store_2addr_stride64_b32 v7, v8, v9 offset1:2
	ds_store_2addr_stride64_b32 v7, v12, v13 offset0:4 offset1:6
	ds_store_2addr_stride64_b32 v7, v14, v15 offset0:8 offset1:10
	;; [unrolled: 1-line block ×7, first 2 shown]
	v_mov_b32_e32 v8, s28
	v_cmp_eq_u32_e32 vcc_lo, 0, v6
	v_add_nc_u32_e32 v7, 0x2000, v7
	s_or_b32 s27, vcc_lo, s27
	s_delay_alu instid0(SALU_CYCLE_1)
	s_and_not1_b32 exec_lo, exec_lo, s27
	s_cbranch_execnz .LBB326_484
; %bb.485:
	s_or_b32 exec_lo, exec_lo, s27
.LBB326_486:
	s_delay_alu instid0(SALU_CYCLE_1) | instskip(NEXT) | instid1(VALU_DEP_1)
	s_or_b32 exec_lo, exec_lo, s3
	v_and_b32_e32 v5, 7, v5
	s_mov_b32 s27, 0
	s_mov_b32 s3, exec_lo
	s_delay_alu instid0(VALU_DEP_1)
	v_cmpx_ne_u32_e32 0, v5
	s_cbranch_execz .LBB326_489
; %bb.487:
	v_lshlrev_b32_e32 v6, 9, v8
	v_lshlrev_b32_e32 v7, 2, v0
	s_delay_alu instid0(VALU_DEP_1)
	v_add3_u32 v6, v6, v7, 0x100
.LBB326_488:                            ; =>This Inner Loop Header: Depth=1
	ds_load_2addr_stride64_b32 v[8:9], v6 offset1:2
	v_add_nc_u32_e32 v5, -1, v5
	s_delay_alu instid0(VALU_DEP_1)
	v_cmp_eq_u32_e32 vcc_lo, 0, v5
	s_or_b32 s27, vcc_lo, s27
	s_wait_dscnt 0x0
	v_pk_mul_f32 v[8:9], v[2:3], v[8:9]
	ds_store_2addr_stride64_b32 v6, v8, v9 offset1:2
	v_add_nc_u32_e32 v6, 0x400, v6
	s_and_not1_b32 exec_lo, exec_lo, s27
	s_cbranch_execnz .LBB326_488
.LBB326_489:
	s_or_b32 exec_lo, exec_lo, s3
	v_add_nc_u32_e32 v3, 1, v4
	s_delay_alu instid0(VALU_DEP_1) | instskip(NEXT) | instid1(VALU_DEP_1)
	v_and_b32_e32 v4, 0x3fffffe, v3
	v_cmp_ne_u32_e32 vcc_lo, v3, v4
	v_lshl_add_u32 v3, v4, 7, v0
	s_or_not1_b32 s3, vcc_lo, exec_lo
.LBB326_490:
	s_or_b32 exec_lo, exec_lo, s1
	s_delay_alu instid0(SALU_CYCLE_1)
	s_and_b32 exec_lo, exec_lo, s3
	s_cbranch_execz .LBB326_493
; %bb.491:
	v_lshl_add_u32 v4, v3, 2, 0x100
	s_mov_b32 s1, 0
.LBB326_492:                            ; =>This Inner Loop Header: Depth=1
	ds_load_b32 v5, v4
	v_add_nc_u32_e32 v3, 0x80, v3
	s_delay_alu instid0(VALU_DEP_1)
	v_cmp_le_i32_e32 vcc_lo, s19, v3
	s_or_b32 s1, vcc_lo, s1
	s_wait_dscnt 0x0
	v_mul_f32_e32 v5, v2, v5
	ds_store_b32 v4, v5
	v_add_nc_u32_e32 v4, 0x200, v4
	s_and_not1_b32 exec_lo, exec_lo, s1
	s_cbranch_execnz .LBB326_492
.LBB326_493:
	s_or_b32 exec_lo, exec_lo, s0
	v_dual_mov_b32 v10, 0 :: v_dual_mov_b32 v13, 0
	v_dual_mov_b32 v12, 0 :: v_dual_mov_b32 v15, 0
	;; [unrolled: 1-line block ×3, first 2 shown]
	s_wait_dscnt 0x0
	s_barrier_signal -1
	s_barrier_wait -1
	s_and_saveexec_b32 s1, s2
	s_cbranch_execz .LBB326_933
; %bb.494:
	s_abs_i32 s14, s14
	v_dual_mov_b32 v17, 0 :: v_dual_lshlrev_b32 v2, 3, v0
	s_cvt_f32_u32 s0, s14
	s_ashr_i32 s19, s18, 31
	v_dual_lshlrev_b32 v4, 5, v38 :: v_dual_mov_b32 v32, 0
	s_delay_alu instid0(SALU_CYCLE_1)
	v_rcp_iflag_f32_e32 v3, s0
	v_and_b32_e32 v16, 0xf8, v2
	s_wait_kmcnt 0x0
	s_add_nc_u64 s[8:9], s[8:9], s[18:19]
	s_lshl_b64 s[24:25], s[24:25], 2
	s_sub_co_i32 s18, 0, s14
	v_dual_mov_b32 v35, v39 :: v_dual_bitop2_b32 v33, 8, v2 bitop3:0x40
	v_readfirstlane_b32 s0, v3
	v_add_nc_u64_e32 v[18:19], s[8:9], v[16:17]
	v_and_b32_e32 v16, 0x7c, v27
	v_lshl_or_b32 v3, v39, 6, v4
	s_add_nc_u64 s[8:9], s[22:23], s[24:25]
	s_mul_f32 s0, s0, 0x4f7ffffe
	v_dual_mov_b32 v14, 0 :: v_dual_mov_b32 v12, 0
	v_add_nc_u64_e32 v[20:21], s[8:9], v[16:17]
	s_delay_alu instid0(SALU_CYCLE_1) | instskip(SKIP_2) | instid1(SALU_CYCLE_1)
	s_cvt_u32_f32 s0, s0
	v_dual_mov_b32 v15, 0 :: v_dual_add_nc_u32 v34, 0x100, v3
	v_dual_mov_b32 v13, 0 :: v_dual_mov_b32 v10, 0
	s_mul_i32 s18, s18, s0
	v_mov_b32_e32 v11, 0
	s_mul_hi_u32 s8, s0, s18
	s_mov_b32 s9, 0
	s_sub_co_i32 s13, s26, s13
	s_add_co_i32 s26, s12, -1
	s_mov_b64 s[2:3], 0xffffffffffffff
	s_add_co_i32 s8, s0, s8
	s_mov_b32 s18, s9
	s_branch .LBB326_497
.LBB326_495:                            ;   in Loop: Header=BB326_497 Depth=1
	s_or_b32 exec_lo, exec_lo, s0
	s_wait_dscnt 0x1
	v_cvt_pk_bf16_f32 v6, v6, v7
	v_perm_b32 v7, v89, v90, 0x5040100
	v_cvt_pk_bf16_f32 v8, v8, v9
	v_perm_b32 v9, v87, v88, 0x5040100
	s_wait_dscnt 0x0
	v_cvt_pk_bf16_f32 v2, v2, v3
	v_perm_b32 v3, v85, v86, 0x5040100
	v_pk_mul_bf16 v7, v6, v7
	v_cvt_pk_bf16_f32 v4, v4, v5
	v_pk_mul_bf16 v9, v8, v9
	v_perm_b32 v5, v29, v28, 0x5040100
	v_pk_mul_bf16 v3, v2, v3
	v_lshlrev_b32_e32 v45, 16, v7
	v_and_b32_e32 v7, 0xffff0000, v7
	v_lshlrev_b32_e32 v46, 16, v9
	v_and_b32_e32 v9, 0xffff0000, v9
	v_perm_b32 v29, v83, v84, 0x5040100
	v_pk_mul_bf16 v5, v4, v5
	v_add_f32_e32 v7, v45, v7
	s_delay_alu instid0(VALU_DEP_4)
	v_dual_add_f32 v9, v46, v9 :: v_dual_lshlrev_b32 v28, 16, v3
	v_and_b32_e32 v3, 0xffff0000, v3
	v_perm_b32 v45, v81, v82, 0x5040100
	v_perm_b32 v48, v78, v77, 0x5040100
	;; [unrolled: 1-line block ×3, first 2 shown]
	v_add_f32_e32 v7, v9, v7
	v_pk_mul_bf16 v9, v6, v29
	v_dual_lshlrev_b32 v29, 16, v5 :: v_dual_add_f32 v3, v28, v3
	v_pk_mul_bf16 v28, v8, v45
	v_perm_b32 v45, v79, v80, 0x5040100
	s_delay_alu instid0(VALU_DEP_4)
	v_lshlrev_b32_e32 v46, 16, v9
	v_and_b32_e32 v9, 0xffff0000, v9
	v_and_b32_e32 v5, 0xffff0000, v5
	v_lshlrev_b32_e32 v47, 16, v28
	v_and_b32_e32 v28, 0xffff0000, v28
	v_pk_mul_bf16 v45, v2, v45
	v_dual_add_f32 v9, v46, v9 :: v_dual_add_f32 v3, v3, v7
	v_pk_mul_bf16 v7, v4, v48
	s_delay_alu instid0(VALU_DEP_3) | instskip(SKIP_3) | instid1(VALU_DEP_4)
	v_dual_add_f32 v28, v47, v28 :: v_dual_lshlrev_b32 v46, 16, v45
	v_and_b32_e32 v45, 0xffff0000, v45
	v_add_f32_e32 v5, v29, v5
	v_perm_b32 v29, v75, v76, 0x5040100
	v_add_f32_e32 v9, v28, v9
	v_perm_b32 v47, v59, v60, 0x5040100
	v_dual_add_f32 v28, v46, v45 :: v_dual_lshlrev_b32 v45, 16, v7
	v_perm_b32 v46, v73, v74, 0x5040100
	v_and_b32_e32 v7, 0xffff0000, v7
	v_add_f32_e32 v3, v5, v3
	v_pk_mul_bf16 v5, v6, v29
	v_perm_b32 v29, v71, v72, 0x5040100
	v_perm_b32 v44, v54, v53, 0x5040100
	v_dual_add_f32 v7, v45, v7 :: v_dual_add_f32 v9, v28, v9
	v_pk_mul_bf16 v28, v8, v46
	v_dual_lshlrev_b32 v45, 16, v5 :: v_dual_add_f32 v11, v11, v3
	v_and_b32_e32 v5, 0xffff0000, v5
	v_pk_mul_bf16 v29, v2, v29
	s_delay_alu instid0(VALU_DEP_4)
	v_lshlrev_b32_e32 v46, 16, v28
	v_and_b32_e32 v28, 0xffff0000, v28
	v_add_f32_e32 v3, v7, v9
	v_perm_b32 v41, v41, v42, 0x5040100
	v_perm_b32 v27, v27, v36, 0x5040100
	;; [unrolled: 1-line block ×3, first 2 shown]
	v_dual_add_f32 v7, v46, v28 :: v_dual_add_f32 v5, v45, v5
	v_add_f32_e32 v10, v10, v3
	v_perm_b32 v45, v67, v68, 0x5040100
	v_and_b32_e32 v28, 0xffff0000, v29
	v_perm_b32 v40, v92, v91, 0x5040100
	v_pk_mul_bf16 v41, v8, v41
	v_pk_mul_bf16 v27, v2, v27
	;; [unrolled: 1-line block ×3, first 2 shown]
	v_lshlrev_b32_e32 v9, 16, v29
	v_add_f32_e32 v5, v7, v5
	v_perm_b32 v7, v65, v66, 0x5040100
	v_perm_b32 v29, v70, v69, 0x5040100
	;; [unrolled: 1-line block ×3, first 2 shown]
	v_add_f32_e32 v9, v9, v28
	v_perm_b32 v22, v22, v24, 0x5040100
	v_pk_mul_bf16 v7, v8, v7
	v_pk_mul_bf16 v28, v4, v29
	s_delay_alu instid0(VALU_DEP_4)
	v_dual_lshlrev_b32 v29, 16, v3 :: v_dual_add_f32 v5, v9, v5
	v_perm_b32 v9, v63, v64, 0x5040100
	v_and_b32_e32 v3, 0xffff0000, v3
	v_lshlrev_b32_e32 v45, 16, v7
	v_and_b32_e32 v7, 0xffff0000, v7
	v_lshlrev_b32_e32 v46, 16, v28
	v_pk_mul_bf16 v9, v2, v9
	v_add_f32_e32 v3, v29, v3
	v_and_b32_e32 v28, 0xffff0000, v28
	v_add_f32_e32 v7, v45, v7
	v_perm_b32 v45, v62, v61, 0x5040100
	v_lshlrev_b32_e32 v29, 16, v9
	v_and_b32_e32 v9, 0xffff0000, v9
	v_perm_b32 v16, v23, v16, 0x5040100
	v_add_f32_e32 v3, v7, v3
	v_perm_b32 v7, v57, v58, 0x5040100
	v_pk_mul_bf16 v45, v4, v45
	v_add_f32_e32 v9, v29, v9
	v_pk_mul_bf16 v29, v6, v47
	v_add_f32_e32 v28, v46, v28
	v_pk_mul_bf16 v7, v8, v7
	v_lshlrev_b32_e32 v24, 16, v27
	v_add_f32_e32 v3, v9, v3
	v_perm_b32 v9, v55, v56, 0x5040100
	s_delay_alu instid0(VALU_DEP_4) | instskip(SKIP_2) | instid1(VALU_DEP_4)
	v_dual_lshlrev_b32 v46, 16, v29 :: v_dual_lshlrev_b32 v47, 16, v7
	v_and_b32_e32 v29, 0xffff0000, v29
	v_and_b32_e32 v7, 0xffff0000, v7
	v_pk_mul_bf16 v9, v2, v9
	v_lshlrev_b32_e32 v48, 16, v45
	v_and_b32_e32 v45, 0xffff0000, v45
	s_delay_alu instid0(VALU_DEP_4)
	v_dual_add_f32 v29, v46, v29 :: v_dual_add_f32 v7, v47, v7
	v_pk_mul_bf16 v8, v8, v25
	v_and_b32_e32 v27, 0xffff0000, v27
	v_pk_mul_bf16 v2, v2, v22
	v_pk_mul_bf16 v36, v4, v36
	v_add_f32_e32 v7, v7, v29
	v_pk_mul_bf16 v29, v6, v43
	v_pk_mul_bf16 v43, v4, v44
	v_lshlrev_b32_e32 v46, 16, v9
	v_and_b32_e32 v9, 0xffff0000, v9
	v_pk_mul_bf16 v6, v6, v40
	s_delay_alu instid0(VALU_DEP_4) | instskip(SKIP_1) | instid1(VALU_DEP_4)
	v_dual_add_f32 v42, v48, v45 :: v_dual_lshlrev_b32 v45, 16, v43
	v_dual_lshlrev_b32 v44, 16, v41 :: v_dual_lshlrev_b32 v23, 16, v8
	v_add_f32_e32 v9, v46, v9
	v_and_b32_e32 v41, 0xffff0000, v41
	v_lshlrev_b32_e32 v22, 16, v6
	v_and_b32_e32 v6, 0xffff0000, v6
	v_and_b32_e32 v8, 0xffff0000, v8
	v_dual_add_f32 v7, v9, v7 :: v_dual_lshlrev_b32 v9, 16, v29
	v_and_b32_e32 v29, 0xffff0000, v29
	v_and_b32_e32 v37, 0xffff0000, v43
	v_add_f32_e32 v24, v24, v27
	v_pk_mul_bf16 v4, v4, v16
	s_delay_alu instid0(VALU_DEP_4) | instskip(SKIP_3) | instid1(VALU_DEP_3)
	v_dual_add_f32 v9, v9, v29 :: v_dual_lshlrev_b32 v16, 16, v2
	v_dual_add_f32 v29, v44, v41 :: v_dual_add_f32 v6, v6, v22
	v_dual_add_f32 v8, v8, v23 :: v_dual_lshlrev_b32 v22, 16, v36
	v_and_b32_e32 v2, 0xffff0000, v2
	v_add_f32_e32 v9, v29, v9
	v_and_b32_e32 v23, 0xffff0000, v36
	s_delay_alu instid0(VALU_DEP_4) | instskip(NEXT) | instid1(VALU_DEP_4)
	v_dual_add_f32 v6, v8, v6 :: v_dual_lshlrev_b32 v25, 16, v4
	v_dual_add_f32 v2, v2, v16 :: v_dual_add_f32 v8, v45, v37
	v_and_b32_e32 v4, 0xffff0000, v4
	s_delay_alu instid0(VALU_DEP_4) | instskip(NEXT) | instid1(VALU_DEP_3)
	v_dual_add_f32 v9, v24, v9 :: v_dual_add_f32 v16, v22, v23
	v_dual_add_f32 v2, v2, v6 :: v_dual_add_f32 v5, v28, v5
	s_delay_alu instid0(VALU_DEP_3) | instskip(NEXT) | instid1(VALU_DEP_2)
	v_dual_add_f32 v3, v42, v3 :: v_dual_add_f32 v4, v4, v25
	v_dual_add_f32 v6, v8, v7 :: v_dual_add_f32 v13, v13, v5
	s_delay_alu instid0(VALU_DEP_4) | instskip(NEXT) | instid1(VALU_DEP_2)
	v_add_f32_e32 v7, v16, v9
	v_dual_add_f32 v12, v12, v3 :: v_dual_add_f32 v15, v15, v6
	s_delay_alu instid0(VALU_DEP_2) | instskip(NEXT) | instid1(VALU_DEP_1)
	v_dual_add_f32 v2, v4, v2 :: v_dual_add_f32 v14, v14, v7
	v_add_f32_e32 v32, v32, v2
.LBB326_496:                            ;   in Loop: Header=BB326_497 Depth=1
	s_or_b32 exec_lo, exec_lo, s19
	v_dual_add_nc_u32 v35, 4, v35 :: v_dual_add_nc_u32 v26, 64, v26
	v_add_nc_u64_e32 v[20:21], 16, v[20:21]
	v_add_nc_u32_e32 v34, 0x100, v34
	s_delay_alu instid0(VALU_DEP_3) | instskip(SKIP_1) | instid1(SALU_CYCLE_1)
	v_cmp_le_i32_e32 vcc_lo, s12, v35
	s_or_b32 s18, vcc_lo, s18
	s_and_not1_b32 exec_lo, exec_lo, s18
	s_cbranch_execz .LBB326_932
.LBB326_497:                            ; =>This Inner Loop Header: Depth=1
	v_mov_b32_e32 v27, v17
	s_delay_alu instid0(VALU_DEP_1) | instskip(NEXT) | instid1(VALU_DEP_1)
	v_mul_u64_e32 v[2:3], s[20:21], v[26:27]
	v_mul_lo_u32 v2, v3, s16
	s_delay_alu instid0(VALU_DEP_1) | instskip(NEXT) | instid1(VALU_DEP_1)
	v_sub_nc_u32_e32 v2, v26, v2
	v_subrev_nc_u32_e32 v5, s16, v2
	v_cmp_le_u32_e32 vcc_lo, s16, v2
	s_delay_alu instid0(VALU_DEP_2) | instskip(NEXT) | instid1(VALU_DEP_1)
	v_dual_add_nc_u32 v4, 1, v3 :: v_dual_cndmask_b32 v2, v2, v5, vcc_lo
	v_cndmask_b32_e32 v3, v3, v4, vcc_lo
	s_delay_alu instid0(VALU_DEP_2) | instskip(NEXT) | instid1(VALU_DEP_2)
	v_cmp_le_u32_e32 vcc_lo, s16, v2
	v_add_nc_u32_e32 v4, 1, v3
	s_delay_alu instid0(VALU_DEP_1) | instskip(NEXT) | instid1(VALU_DEP_1)
	v_cndmask_b32_e32 v2, v3, v4, vcc_lo
	v_xor_b32_e32 v2, s15, v2
	s_delay_alu instid0(VALU_DEP_1) | instskip(NEXT) | instid1(VALU_DEP_1)
	v_subrev_nc_u32_e32 v4, s15, v2
	v_add_nc_u32_e32 v5, s35, v4
	v_cmp_lt_i32_e64 s0, s13, v4
	s_delay_alu instid0(VALU_DEP_2) | instskip(NEXT) | instid1(VALU_DEP_1)
	v_sub_nc_u32_e32 v2, 0, v5
	v_dual_ashrrev_i32 v5, 31, v5 :: v_dual_max_i32 v16, v5, v2
	s_delay_alu instid0(VALU_DEP_1) | instskip(NEXT) | instid1(VALU_DEP_1)
	v_mul_u64_e32 v[2:3], s[8:9], v[16:17]
	v_mul_lo_u32 v2, v3, s14
	s_delay_alu instid0(VALU_DEP_1) | instskip(NEXT) | instid1(VALU_DEP_1)
	v_sub_nc_u32_e32 v2, v16, v2
	v_subrev_nc_u32_e32 v3, s14, v2
	v_cmp_le_u32_e32 vcc_lo, s14, v2
	s_delay_alu instid0(VALU_DEP_2) | instskip(NEXT) | instid1(VALU_DEP_1)
	v_cndmask_b32_e32 v2, v2, v3, vcc_lo
	v_subrev_nc_u32_e32 v3, s14, v2
	v_cmp_le_u32_e32 vcc_lo, s14, v2
	s_delay_alu instid0(VALU_DEP_2) | instskip(NEXT) | instid1(VALU_DEP_1)
	v_cndmask_b32_e32 v2, v2, v3, vcc_lo
	v_xor_b32_e32 v2, v2, v5
	s_delay_alu instid0(VALU_DEP_1) | instskip(NEXT) | instid1(VALU_DEP_1)
	v_sub_nc_u32_e32 v2, v2, v5
	v_cmp_eq_u32_e32 vcc_lo, 0, v2
	s_or_b32 s0, vcc_lo, s0
	s_delay_alu instid0(SALU_CYCLE_1)
	s_and_saveexec_b32 s19, s0
	s_cbranch_execz .LBB326_496
; %bb.498:                              ;   in Loop: Header=BB326_497 Depth=1
	global_load_b32 v2, v[20:21], off
	v_dual_mov_b32 v40, 0 :: v_dual_mov_b32 v37, 0
	s_mov_b32 s0, exec_lo
	s_wait_loadcnt 0x0
	v_mad_nc_i64_i32 v[22:23], v2, s17, v[18:19]
	global_load_b64 v[24:25], v[22:23], off
	ds_load_2addr_b64 v[6:9], v34 offset1:1
	ds_load_2addr_b64 v[2:5], v34 offset0:2 offset1:3
	s_load_b32 s22, s[10:11], 0x0
	s_wait_loadcnt 0x0
	v_and_b32_e32 v16, 0xff, v24
	s_delay_alu instid0(VALU_DEP_1)
	v_cmpx_ne_u16_e32 0, v16
	s_cbranch_execz .LBB326_504
; %bb.499:                              ;   in Loop: Header=BB326_497 Depth=1
	v_bfrev_b32_e32 v37, 1
	s_mov_b32 s23, exec_lo
	v_cmpx_ne_u16_e32 0x80, v16
	s_cbranch_execz .LBB326_503
; %bb.500:                              ;   in Loop: Header=BB326_497 Depth=1
	v_and_b32_e32 v16, 0x7f, v24
	v_mov_b32_e32 v37, 0x7f800001
	s_mov_b32 s24, exec_lo
	s_delay_alu instid0(VALU_DEP_2)
	v_cmpx_ne_u32_e32 0x7f, v16
	s_cbranch_execz .LBB326_502
; %bb.501:                              ;   in Loop: Header=BB326_497 Depth=1
	v_and_b32_e32 v27, 7, v24
	v_cmp_gt_u32_e32 vcc_lo, 8, v16
	s_delay_alu instid0(VALU_DEP_2) | instskip(NEXT) | instid1(VALU_DEP_1)
	v_clz_i32_u32_e32 v27, v27
	v_min_u32_e32 v27, 32, v27
	v_lshrrev_b32_e32 v28, 3, v16
	s_delay_alu instid0(VALU_DEP_2) | instskip(SKIP_1) | instid1(VALU_DEP_1)
	v_subrev_nc_u32_e32 v29, 28, v27
	v_sub_nc_u32_e32 v27, 29, v27
	v_dual_cndmask_b32 v16, v28, v27 :: v_dual_cndmask_b32 v27, 0, v29
	s_delay_alu instid0(VALU_DEP_1) | instskip(NEXT) | instid1(VALU_DEP_2)
	v_lshl_add_u32 v16, v16, 23, 0x3c000000
	v_lshlrev_b64_e32 v[28:29], v27, v[24:25]
	v_lshlrev_b32_e32 v27, 24, v24
	s_delay_alu instid0(VALU_DEP_1) | instskip(NEXT) | instid1(VALU_DEP_3)
	v_and_b32_e32 v27, 0x80000000, v27
	v_lshlrev_b32_e32 v28, 20, v28
	s_delay_alu instid0(VALU_DEP_1) | instskip(NEXT) | instid1(VALU_DEP_1)
	v_and_b32_e32 v28, 0x700000, v28
	v_or3_b32 v37, v28, v27, v16
.LBB326_502:                            ;   in Loop: Header=BB326_497 Depth=1
	s_or_b32 exec_lo, exec_lo, s24
.LBB326_503:                            ;   in Loop: Header=BB326_497 Depth=1
	s_delay_alu instid0(SALU_CYCLE_1)
	s_or_b32 exec_lo, exec_lo, s23
.LBB326_504:                            ;   in Loop: Header=BB326_497 Depth=1
	s_delay_alu instid0(SALU_CYCLE_1) | instskip(SKIP_2) | instid1(VALU_DEP_1)
	s_or_b32 exec_lo, exec_lo, s0
	v_lshrrev_b16 v16, 8, v24
	s_mov_b32 s0, exec_lo
	v_cmpx_ne_u16_e32 0, v16
	s_cbranch_execz .LBB326_512
; %bb.505:                              ;   in Loop: Header=BB326_497 Depth=1
	v_bfrev_b32_e32 v40, 1
	s_mov_b32 s23, exec_lo
	v_cmpx_ne_u16_e32 0x80, v16
	s_cbranch_execz .LBB326_511
; %bb.506:                              ;   in Loop: Header=BB326_497 Depth=1
	v_and_b32_e32 v16, 0xffff, v16
	v_mov_b32_e32 v40, 0x7f800001
	s_mov_b32 s24, exec_lo
	s_delay_alu instid0(VALU_DEP_2) | instskip(NEXT) | instid1(VALU_DEP_1)
	v_and_b32_e32 v28, 0x7f, v16
	v_cmpx_ne_u32_e32 0x7f, v28
	s_cbranch_execz .LBB326_510
; %bb.507:                              ;   in Loop: Header=BB326_497 Depth=1
	v_and_b32_e32 v16, 7, v16
	v_lshrrev_b32_e32 v27, 3, v28
	s_mov_b32 s25, exec_lo
	v_cmpx_gt_u32_e32 8, v28
; %bb.508:                              ;   in Loop: Header=BB326_497 Depth=1
	s_delay_alu instid0(VALU_DEP_3) | instskip(NEXT) | instid1(VALU_DEP_1)
	v_clz_i32_u32_e32 v27, v16
	v_min_u32_e32 v27, 32, v27
	s_delay_alu instid0(VALU_DEP_1) | instskip(NEXT) | instid1(VALU_DEP_1)
	v_subrev_nc_u32_e32 v28, 28, v27
	v_lshlrev_b64_e32 v[28:29], v28, v[16:17]
	s_delay_alu instid0(VALU_DEP_1)
	v_dual_sub_nc_u32 v27, 29, v27 :: v_dual_bitop2_b32 v16, 7, v28 bitop3:0x40
; %bb.509:                              ;   in Loop: Header=BB326_497 Depth=1
	s_or_b32 exec_lo, exec_lo, s25
	v_lshlrev_b32_e32 v28, 16, v24
	s_delay_alu instid0(VALU_DEP_2) | instskip(NEXT) | instid1(VALU_DEP_3)
	v_lshlrev_b32_e32 v16, 20, v16
	v_lshl_add_u32 v27, v27, 23, 0x3c000000
	s_delay_alu instid0(VALU_DEP_3) | instskip(NEXT) | instid1(VALU_DEP_1)
	v_and_b32_e32 v28, 0x80000000, v28
	v_or3_b32 v40, v16, v28, v27
.LBB326_510:                            ;   in Loop: Header=BB326_497 Depth=1
	s_or_b32 exec_lo, exec_lo, s24
.LBB326_511:                            ;   in Loop: Header=BB326_497 Depth=1
	s_delay_alu instid0(SALU_CYCLE_1)
	s_or_b32 exec_lo, exec_lo, s23
.LBB326_512:                            ;   in Loop: Header=BB326_497 Depth=1
	s_delay_alu instid0(SALU_CYCLE_1) | instskip(SKIP_3) | instid1(VALU_DEP_2)
	s_or_b32 exec_lo, exec_lo, s0
	v_dual_lshrrev_b32 v27, 16, v24 :: v_dual_mov_b32 v41, 0
	v_mov_b32_e32 v42, 0
	s_mov_b32 s0, exec_lo
	v_and_b32_e32 v16, 0xff, v27
	s_delay_alu instid0(VALU_DEP_1)
	v_cmpx_ne_u16_e32 0, v16
	s_cbranch_execz .LBB326_520
; %bb.513:                              ;   in Loop: Header=BB326_497 Depth=1
	v_bfrev_b32_e32 v42, 1
	s_mov_b32 s23, exec_lo
	v_cmpx_ne_u16_e32 0x80, v16
	s_cbranch_execz .LBB326_519
; %bb.514:                              ;   in Loop: Header=BB326_497 Depth=1
	v_bfe_u32 v29, v24, 16, 7
	v_mov_b32_e32 v42, 0x7f800001
	s_mov_b32 s24, exec_lo
	s_delay_alu instid0(VALU_DEP_2)
	v_cmpx_ne_u32_e32 0x7f, v29
	s_cbranch_execz .LBB326_518
; %bb.515:                              ;   in Loop: Header=BB326_497 Depth=1
	v_dual_lshrrev_b32 v28, 3, v29 :: v_dual_bitop2_b32 v16, 7, v27 bitop3:0x40
	s_mov_b32 s25, exec_lo
	v_cmpx_gt_u32_e32 8, v29
; %bb.516:                              ;   in Loop: Header=BB326_497 Depth=1
	s_delay_alu instid0(VALU_DEP_2) | instskip(NEXT) | instid1(VALU_DEP_1)
	v_clz_i32_u32_e32 v28, v16
	v_min_u32_e32 v28, 32, v28
	s_delay_alu instid0(VALU_DEP_1) | instskip(NEXT) | instid1(VALU_DEP_1)
	v_subrev_nc_u32_e32 v29, 28, v28
	v_lshlrev_b64_e32 v[42:43], v29, v[16:17]
	s_delay_alu instid0(VALU_DEP_1)
	v_dual_sub_nc_u32 v28, 29, v28 :: v_dual_bitop2_b32 v16, 7, v42 bitop3:0x40
; %bb.517:                              ;   in Loop: Header=BB326_497 Depth=1
	s_or_b32 exec_lo, exec_lo, s25
	s_delay_alu instid0(VALU_DEP_1) | instskip(NEXT) | instid1(VALU_DEP_2)
	v_dual_lshlrev_b32 v27, 24, v27 :: v_dual_lshlrev_b32 v16, 20, v16
	v_lshl_add_u32 v28, v28, 23, 0x3c000000
	s_delay_alu instid0(VALU_DEP_2) | instskip(NEXT) | instid1(VALU_DEP_1)
	v_and_b32_e32 v27, 0x80000000, v27
	v_or3_b32 v42, v16, v27, v28
.LBB326_518:                            ;   in Loop: Header=BB326_497 Depth=1
	s_or_b32 exec_lo, exec_lo, s24
.LBB326_519:                            ;   in Loop: Header=BB326_497 Depth=1
	s_delay_alu instid0(SALU_CYCLE_1)
	s_or_b32 exec_lo, exec_lo, s23
.LBB326_520:                            ;   in Loop: Header=BB326_497 Depth=1
	s_delay_alu instid0(SALU_CYCLE_1) | instskip(NEXT) | instid1(SALU_CYCLE_1)
	s_or_b32 exec_lo, exec_lo, s0
	s_mov_b32 s0, exec_lo
	v_cmpx_lt_u32_e32 0xffffff, v24
	s_cbranch_execz .LBB326_528
; %bb.521:                              ;   in Loop: Header=BB326_497 Depth=1
	v_lshrrev_b32_e32 v27, 24, v24
	v_bfrev_b32_e32 v41, 1
	s_mov_b32 s23, exec_lo
	s_delay_alu instid0(VALU_DEP_2)
	v_cmpx_ne_u32_e32 0x80, v27
	s_cbranch_execz .LBB326_527
; %bb.522:                              ;   in Loop: Header=BB326_497 Depth=1
	v_bfe_u32 v29, v24, 24, 7
	v_mov_b32_e32 v41, 0x7f800001
	s_mov_b32 s24, exec_lo
	s_delay_alu instid0(VALU_DEP_2)
	v_cmpx_ne_u32_e32 0x7f, v29
	s_cbranch_execz .LBB326_526
; %bb.523:                              ;   in Loop: Header=BB326_497 Depth=1
	v_dual_lshrrev_b32 v28, 3, v29 :: v_dual_bitop2_b32 v16, 7, v27 bitop3:0x40
	s_mov_b32 s25, exec_lo
	v_cmpx_gt_u32_e32 8, v29
; %bb.524:                              ;   in Loop: Header=BB326_497 Depth=1
	s_delay_alu instid0(VALU_DEP_2) | instskip(NEXT) | instid1(VALU_DEP_1)
	v_clz_i32_u32_e32 v28, v16
	v_min_u32_e32 v28, 32, v28
	s_delay_alu instid0(VALU_DEP_1) | instskip(SKIP_1) | instid1(VALU_DEP_2)
	v_subrev_nc_u32_e32 v29, 28, v28
	v_sub_nc_u32_e32 v28, 29, v28
	v_lshlrev_b64_e32 v[44:45], v29, v[16:17]
	s_delay_alu instid0(VALU_DEP_1)
	v_and_b32_e32 v16, 7, v44
; %bb.525:                              ;   in Loop: Header=BB326_497 Depth=1
	s_or_b32 exec_lo, exec_lo, s25
	s_delay_alu instid0(VALU_DEP_1) | instskip(SKIP_1) | instid1(VALU_DEP_2)
	v_dual_lshlrev_b32 v27, 24, v27 :: v_dual_lshlrev_b32 v16, 20, v16
	v_lshl_add_u32 v28, v28, 23, 0x3c000000
	v_and_b32_e32 v27, 0x80000000, v27
	s_delay_alu instid0(VALU_DEP_1)
	v_or3_b32 v41, v16, v27, v28
.LBB326_526:                            ;   in Loop: Header=BB326_497 Depth=1
	s_or_b32 exec_lo, exec_lo, s24
.LBB326_527:                            ;   in Loop: Header=BB326_497 Depth=1
	s_delay_alu instid0(SALU_CYCLE_1)
	s_or_b32 exec_lo, exec_lo, s23
.LBB326_528:                            ;   in Loop: Header=BB326_497 Depth=1
	s_delay_alu instid0(SALU_CYCLE_1) | instskip(SKIP_4) | instid1(VALU_DEP_3)
	s_or_b32 exec_lo, exec_lo, s0
	v_and_b32_e32 v28, 0xff, v25
	v_dual_mov_b32 v16, v25 :: v_dual_mov_b32 v27, 0
	v_mov_b32_e32 v36, 0
	s_mov_b32 s0, exec_lo
	v_cmpx_ne_u16_e32 0, v28
	s_cbranch_execz .LBB326_534
; %bb.529:                              ;   in Loop: Header=BB326_497 Depth=1
	v_bfrev_b32_e32 v36, 1
	s_mov_b32 s23, exec_lo
	v_cmpx_ne_u16_e32 0x80, v28
	s_cbranch_execz .LBB326_533
; %bb.530:                              ;   in Loop: Header=BB326_497 Depth=1
	v_and_b32_e32 v28, 0x7f, v25
	v_mov_b32_e32 v36, 0x7f800001
	s_mov_b32 s24, exec_lo
	s_delay_alu instid0(VALU_DEP_2)
	v_cmpx_ne_u32_e32 0x7f, v28
	s_cbranch_execz .LBB326_532
; %bb.531:                              ;   in Loop: Header=BB326_497 Depth=1
	v_dual_lshrrev_b32 v36, 3, v28 :: v_dual_bitop2_b32 v29, 7, v25 bitop3:0x40
	v_cmp_gt_u32_e32 vcc_lo, 8, v28
	s_delay_alu instid0(VALU_DEP_2) | instskip(NEXT) | instid1(VALU_DEP_1)
	v_clz_i32_u32_e32 v29, v29
	v_min_u32_e32 v29, 32, v29
	s_delay_alu instid0(VALU_DEP_1) | instskip(NEXT) | instid1(VALU_DEP_1)
	v_subrev_nc_u32_e32 v43, 28, v29
	v_dual_cndmask_b32 v28, 0, v43 :: v_dual_sub_nc_u32 v29, 29, v29
	s_delay_alu instid0(VALU_DEP_1) | instskip(NEXT) | instid1(VALU_DEP_2)
	v_cndmask_b32_e32 v36, v36, v29, vcc_lo
	v_lshlrev_b64_e32 v[28:29], v28, v[16:17]
	v_lshlrev_b32_e32 v29, 24, v16
	s_delay_alu instid0(VALU_DEP_3) | instskip(NEXT) | instid1(VALU_DEP_2)
	v_lshl_add_u32 v36, v36, 23, 0x3c000000
	v_and_b32_e32 v29, 0x80000000, v29
	s_delay_alu instid0(VALU_DEP_4) | instskip(NEXT) | instid1(VALU_DEP_1)
	v_lshlrev_b32_e32 v28, 20, v28
	v_and_b32_e32 v28, 0x700000, v28
	s_delay_alu instid0(VALU_DEP_1)
	v_or3_b32 v36, v28, v29, v36
.LBB326_532:                            ;   in Loop: Header=BB326_497 Depth=1
	s_or_b32 exec_lo, exec_lo, s24
.LBB326_533:                            ;   in Loop: Header=BB326_497 Depth=1
	s_delay_alu instid0(SALU_CYCLE_1)
	s_or_b32 exec_lo, exec_lo, s23
.LBB326_534:                            ;   in Loop: Header=BB326_497 Depth=1
	s_delay_alu instid0(SALU_CYCLE_1) | instskip(SKIP_2) | instid1(VALU_DEP_1)
	s_or_b32 exec_lo, exec_lo, s0
	v_lshrrev_b16 v28, 8, v16
	s_mov_b32 s0, exec_lo
	v_cmpx_ne_u16_e32 0, v28
	s_cbranch_execz .LBB326_542
; %bb.535:                              ;   in Loop: Header=BB326_497 Depth=1
	v_bfrev_b32_e32 v27, 1
	s_mov_b32 s23, exec_lo
	v_cmpx_ne_u16_e32 0x80, v28
	s_cbranch_execz .LBB326_541
; %bb.536:                              ;   in Loop: Header=BB326_497 Depth=1
	v_and_b32_e32 v28, 0xffff, v28
	v_mov_b32_e32 v27, 0x7f800001
	s_mov_b32 s24, exec_lo
	s_delay_alu instid0(VALU_DEP_2) | instskip(NEXT) | instid1(VALU_DEP_1)
	v_and_b32_e32 v43, 0x7f, v28
	v_cmpx_ne_u32_e32 0x7f, v43
	s_cbranch_execz .LBB326_540
; %bb.537:                              ;   in Loop: Header=BB326_497 Depth=1
	v_dual_mov_b32 v29, v17 :: v_dual_bitop2_b32 v28, 7, v28 bitop3:0x40
	v_lshrrev_b32_e32 v27, 3, v43
	s_mov_b32 s25, exec_lo
	v_cmpx_gt_u32_e32 8, v43
; %bb.538:                              ;   in Loop: Header=BB326_497 Depth=1
	s_delay_alu instid0(VALU_DEP_3) | instskip(NEXT) | instid1(VALU_DEP_1)
	v_clz_i32_u32_e32 v27, v28
	v_min_u32_e32 v27, 32, v27
	s_delay_alu instid0(VALU_DEP_1) | instskip(NEXT) | instid1(VALU_DEP_1)
	v_subrev_nc_u32_e32 v43, 28, v27
	v_lshlrev_b64_e32 v[28:29], v43, v[28:29]
	s_delay_alu instid0(VALU_DEP_1)
	v_dual_sub_nc_u32 v27, 29, v27 :: v_dual_bitop2_b32 v28, 7, v28 bitop3:0x40
; %bb.539:                              ;   in Loop: Header=BB326_497 Depth=1
	s_or_b32 exec_lo, exec_lo, s25
	v_lshlrev_b32_e32 v16, 16, v16
	s_delay_alu instid0(VALU_DEP_2) | instskip(NEXT) | instid1(VALU_DEP_3)
	v_lshlrev_b32_e32 v28, 20, v28
	v_lshl_add_u32 v27, v27, 23, 0x3c000000
	s_delay_alu instid0(VALU_DEP_3) | instskip(NEXT) | instid1(VALU_DEP_1)
	v_and_b32_e32 v16, 0x80000000, v16
	v_or3_b32 v27, v28, v16, v27
.LBB326_540:                            ;   in Loop: Header=BB326_497 Depth=1
	s_or_b32 exec_lo, exec_lo, s24
.LBB326_541:                            ;   in Loop: Header=BB326_497 Depth=1
	s_delay_alu instid0(SALU_CYCLE_1)
	s_or_b32 exec_lo, exec_lo, s23
.LBB326_542:                            ;   in Loop: Header=BB326_497 Depth=1
	s_delay_alu instid0(SALU_CYCLE_1) | instskip(SKIP_3) | instid1(VALU_DEP_2)
	s_or_b32 exec_lo, exec_lo, s0
	v_dual_mov_b32 v28, 0 :: v_dual_lshrrev_b32 v43, 16, v25
	v_mov_b32_e32 v29, 0
	s_mov_b32 s0, exec_lo
	v_and_b32_e32 v16, 0xff, v43
	s_delay_alu instid0(VALU_DEP_1)
	v_cmpx_ne_u16_e32 0, v16
	s_cbranch_execz .LBB326_550
; %bb.543:                              ;   in Loop: Header=BB326_497 Depth=1
	v_bfrev_b32_e32 v29, 1
	s_mov_b32 s23, exec_lo
	v_cmpx_ne_u16_e32 0x80, v16
	s_cbranch_execz .LBB326_549
; %bb.544:                              ;   in Loop: Header=BB326_497 Depth=1
	v_bfe_u32 v44, v25, 16, 7
	v_mov_b32_e32 v29, 0x7f800001
	s_mov_b32 s24, exec_lo
	s_delay_alu instid0(VALU_DEP_2)
	v_cmpx_ne_u32_e32 0x7f, v44
	s_cbranch_execz .LBB326_548
; %bb.545:                              ;   in Loop: Header=BB326_497 Depth=1
	v_dual_lshrrev_b32 v29, 3, v44 :: v_dual_bitop2_b32 v16, 7, v43 bitop3:0x40
	s_mov_b32 s25, exec_lo
	v_cmpx_gt_u32_e32 8, v44
; %bb.546:                              ;   in Loop: Header=BB326_497 Depth=1
	s_delay_alu instid0(VALU_DEP_2) | instskip(NEXT) | instid1(VALU_DEP_1)
	v_clz_i32_u32_e32 v29, v16
	v_min_u32_e32 v29, 32, v29
	s_delay_alu instid0(VALU_DEP_1) | instskip(NEXT) | instid1(VALU_DEP_1)
	v_subrev_nc_u32_e32 v44, 28, v29
	v_lshlrev_b64_e32 v[44:45], v44, v[16:17]
	s_delay_alu instid0(VALU_DEP_1)
	v_dual_sub_nc_u32 v29, 29, v29 :: v_dual_bitop2_b32 v16, 7, v44 bitop3:0x40
; %bb.547:                              ;   in Loop: Header=BB326_497 Depth=1
	s_or_b32 exec_lo, exec_lo, s25
	s_delay_alu instid0(VALU_DEP_1) | instskip(NEXT) | instid1(VALU_DEP_2)
	v_dual_lshlrev_b32 v43, 24, v43 :: v_dual_lshlrev_b32 v16, 20, v16
	v_lshl_add_u32 v29, v29, 23, 0x3c000000
	s_delay_alu instid0(VALU_DEP_2) | instskip(NEXT) | instid1(VALU_DEP_1)
	v_and_b32_e32 v43, 0x80000000, v43
	v_or3_b32 v29, v16, v43, v29
.LBB326_548:                            ;   in Loop: Header=BB326_497 Depth=1
	s_or_b32 exec_lo, exec_lo, s24
.LBB326_549:                            ;   in Loop: Header=BB326_497 Depth=1
	s_delay_alu instid0(SALU_CYCLE_1)
	s_or_b32 exec_lo, exec_lo, s23
.LBB326_550:                            ;   in Loop: Header=BB326_497 Depth=1
	s_delay_alu instid0(SALU_CYCLE_1) | instskip(NEXT) | instid1(SALU_CYCLE_1)
	s_or_b32 exec_lo, exec_lo, s0
	s_mov_b32 s0, exec_lo
	v_cmpx_lt_u64_e64 s[2:3], v[24:25]
	s_cbranch_execz .LBB326_558
; %bb.551:                              ;   in Loop: Header=BB326_497 Depth=1
	v_lshrrev_b32_e32 v24, 24, v25
	v_bfrev_b32_e32 v28, 1
	s_mov_b32 s23, exec_lo
	s_delay_alu instid0(VALU_DEP_2)
	v_cmpx_ne_u32_e32 0x80, v24
	s_cbranch_execz .LBB326_557
; %bb.552:                              ;   in Loop: Header=BB326_497 Depth=1
	v_bfe_u32 v43, v25, 24, 7
	v_mov_b32_e32 v28, 0x7f800001
	s_mov_b32 s24, exec_lo
	s_delay_alu instid0(VALU_DEP_2)
	v_cmpx_ne_u32_e32 0x7f, v43
	s_cbranch_execz .LBB326_556
; %bb.553:                              ;   in Loop: Header=BB326_497 Depth=1
	v_dual_lshrrev_b32 v25, 3, v43 :: v_dual_bitop2_b32 v16, 7, v24 bitop3:0x40
	s_mov_b32 s25, exec_lo
	v_cmpx_gt_u32_e32 8, v43
; %bb.554:                              ;   in Loop: Header=BB326_497 Depth=1
	s_delay_alu instid0(VALU_DEP_2) | instskip(NEXT) | instid1(VALU_DEP_1)
	v_clz_i32_u32_e32 v25, v16
	v_min_u32_e32 v25, 32, v25
	s_delay_alu instid0(VALU_DEP_1) | instskip(NEXT) | instid1(VALU_DEP_1)
	v_subrev_nc_u32_e32 v28, 28, v25
	v_lshlrev_b64_e32 v[44:45], v28, v[16:17]
	s_delay_alu instid0(VALU_DEP_1)
	v_dual_sub_nc_u32 v25, 29, v25 :: v_dual_bitop2_b32 v16, 7, v44 bitop3:0x40
; %bb.555:                              ;   in Loop: Header=BB326_497 Depth=1
	s_or_b32 exec_lo, exec_lo, s25
	v_lshlrev_b32_e32 v24, 24, v24
	s_delay_alu instid0(VALU_DEP_2) | instskip(NEXT) | instid1(VALU_DEP_3)
	v_lshlrev_b32_e32 v16, 20, v16
	v_lshl_add_u32 v25, v25, 23, 0x3c000000
	s_delay_alu instid0(VALU_DEP_3) | instskip(NEXT) | instid1(VALU_DEP_1)
	v_and_b32_e32 v24, 0x80000000, v24
	v_or3_b32 v28, v16, v24, v25
.LBB326_556:                            ;   in Loop: Header=BB326_497 Depth=1
	s_or_b32 exec_lo, exec_lo, s24
.LBB326_557:                            ;   in Loop: Header=BB326_497 Depth=1
	s_delay_alu instid0(SALU_CYCLE_1)
	s_or_b32 exec_lo, exec_lo, s23
.LBB326_558:                            ;   in Loop: Header=BB326_497 Depth=1
	s_delay_alu instid0(SALU_CYCLE_1)
	s_or_b32 exec_lo, exec_lo, s0
	v_add_nc_u32_e32 v45, v33, v26
	v_cmp_eq_u32_e32 vcc_lo, s26, v35
	s_wait_kmcnt 0x0
	v_fma_mixlo_bf16 v27, s22, v27, 0
	v_fma_mixlo_bf16 v36, s22, v36, 0
	;; [unrolled: 1-line block ×8, first 2 shown]
	v_dual_add_nc_u32 v52, 1, v45 :: v_dual_add_nc_u32 v51, 2, v45
	v_dual_add_nc_u32 v50, 3, v45 :: v_dual_add_nc_u32 v49, 4, v45
	;; [unrolled: 1-line block ×3, first 2 shown]
	v_add_nc_u32_e32 v46, 7, v45
	s_and_saveexec_b32 s23, vcc_lo
	s_cbranch_execz .LBB326_560
; %bb.559:                              ;   in Loop: Header=BB326_497 Depth=1
	v_cmp_gt_i32_e64 s0, s34, v45
	s_delay_alu instid0(VALU_DEP_1) | instskip(SKIP_1) | instid1(VALU_DEP_1)
	v_cndmask_b32_e64 v44, 0, v44, s0
	v_cmp_gt_i32_e64 s0, s34, v52
	v_cndmask_b32_e64 v43, 0, v43, s0
	v_cmp_gt_i32_e64 s0, s34, v51
	s_delay_alu instid0(VALU_DEP_1) | instskip(SKIP_1) | instid1(VALU_DEP_1)
	v_cndmask_b32_e64 v42, 0, v42, s0
	v_cmp_gt_i32_e64 s0, s34, v50
	v_cndmask_b32_e64 v41, 0, v41, s0
	;; [unrolled: 5-line block ×4, first 2 shown]
.LBB326_560:                            ;   in Loop: Header=BB326_497 Depth=1
	s_or_b32 exec_lo, exec_lo, s23
	global_load_b64 v[24:25], v[22:23], off offset:256
	v_dual_mov_b32 v54, 0 :: v_dual_mov_b32 v53, 0
	s_mov_b32 s23, exec_lo
	s_wait_loadcnt 0x0
	v_and_b32_e32 v16, 0xff, v24
	s_delay_alu instid0(VALU_DEP_1)
	v_cmpx_ne_u16_e32 0, v16
	s_cbranch_execz .LBB326_566
; %bb.561:                              ;   in Loop: Header=BB326_497 Depth=1
	v_bfrev_b32_e32 v53, 1
	s_mov_b32 s24, exec_lo
	v_cmpx_ne_u16_e32 0x80, v16
	s_cbranch_execz .LBB326_565
; %bb.562:                              ;   in Loop: Header=BB326_497 Depth=1
	v_and_b32_e32 v16, 0x7f, v24
	v_mov_b32_e32 v53, 0x7f800001
	s_mov_b32 s25, exec_lo
	s_delay_alu instid0(VALU_DEP_2)
	v_cmpx_ne_u32_e32 0x7f, v16
	s_cbranch_execz .LBB326_564
; %bb.563:                              ;   in Loop: Header=BB326_497 Depth=1
	v_and_b32_e32 v28, 7, v24
	v_cmp_gt_u32_e64 s0, 8, v16
	s_delay_alu instid0(VALU_DEP_2) | instskip(NEXT) | instid1(VALU_DEP_1)
	v_clz_i32_u32_e32 v28, v28
	v_min_u32_e32 v28, 32, v28
	s_delay_alu instid0(VALU_DEP_1) | instskip(SKIP_2) | instid1(VALU_DEP_1)
	v_subrev_nc_u32_e32 v53, 28, v28
	v_lshrrev_b32_e32 v29, 3, v16
	v_sub_nc_u32_e32 v28, 29, v28
	v_dual_cndmask_b32 v16, v29, v28, s0 :: v_dual_cndmask_b32 v28, 0, v53, s0
	s_delay_alu instid0(VALU_DEP_1) | instskip(SKIP_1) | instid1(VALU_DEP_1)
	v_lshlrev_b64_e32 v[28:29], v28, v[24:25]
	v_lshlrev_b32_e32 v29, 24, v24
	v_and_b32_e32 v29, 0x80000000, v29
	s_delay_alu instid0(VALU_DEP_3) | instskip(SKIP_1) | instid1(VALU_DEP_2)
	v_lshlrev_b32_e32 v28, 20, v28
	v_lshl_add_u32 v16, v16, 23, 0x3c000000
	v_and_b32_e32 v28, 0x700000, v28
	s_delay_alu instid0(VALU_DEP_1)
	v_or3_b32 v53, v28, v29, v16
.LBB326_564:                            ;   in Loop: Header=BB326_497 Depth=1
	s_or_b32 exec_lo, exec_lo, s25
.LBB326_565:                            ;   in Loop: Header=BB326_497 Depth=1
	s_delay_alu instid0(SALU_CYCLE_1)
	s_or_b32 exec_lo, exec_lo, s24
.LBB326_566:                            ;   in Loop: Header=BB326_497 Depth=1
	s_delay_alu instid0(SALU_CYCLE_1) | instskip(SKIP_2) | instid1(VALU_DEP_1)
	s_or_b32 exec_lo, exec_lo, s23
	v_lshrrev_b16 v16, 8, v24
	s_mov_b32 s23, exec_lo
	v_cmpx_ne_u16_e32 0, v16
	s_cbranch_execz .LBB326_574
; %bb.567:                              ;   in Loop: Header=BB326_497 Depth=1
	v_bfrev_b32_e32 v54, 1
	s_mov_b32 s24, exec_lo
	v_cmpx_ne_u16_e32 0x80, v16
	s_cbranch_execz .LBB326_573
; %bb.568:                              ;   in Loop: Header=BB326_497 Depth=1
	v_and_b32_e32 v16, 0xffff, v16
	v_mov_b32_e32 v54, 0x7f800001
	s_mov_b32 s25, exec_lo
	s_delay_alu instid0(VALU_DEP_2) | instskip(NEXT) | instid1(VALU_DEP_1)
	v_and_b32_e32 v29, 0x7f, v16
	v_cmpx_ne_u32_e32 0x7f, v29
	s_cbranch_execz .LBB326_572
; %bb.569:                              ;   in Loop: Header=BB326_497 Depth=1
	v_dual_lshrrev_b32 v28, 3, v29 :: v_dual_bitop2_b32 v16, 7, v16 bitop3:0x40
	s_mov_b32 s27, exec_lo
	v_cmpx_gt_u32_e32 8, v29
; %bb.570:                              ;   in Loop: Header=BB326_497 Depth=1
	s_delay_alu instid0(VALU_DEP_2) | instskip(NEXT) | instid1(VALU_DEP_1)
	v_clz_i32_u32_e32 v28, v16
	v_min_u32_e32 v28, 32, v28
	s_delay_alu instid0(VALU_DEP_1) | instskip(NEXT) | instid1(VALU_DEP_1)
	v_subrev_nc_u32_e32 v29, 28, v28
	v_lshlrev_b64_e32 v[54:55], v29, v[16:17]
	s_delay_alu instid0(VALU_DEP_1)
	v_dual_sub_nc_u32 v28, 29, v28 :: v_dual_bitop2_b32 v16, 7, v54 bitop3:0x40
; %bb.571:                              ;   in Loop: Header=BB326_497 Depth=1
	s_or_b32 exec_lo, exec_lo, s27
	v_lshlrev_b32_e32 v29, 16, v24
	s_delay_alu instid0(VALU_DEP_2) | instskip(NEXT) | instid1(VALU_DEP_3)
	v_lshlrev_b32_e32 v16, 20, v16
	v_lshl_add_u32 v28, v28, 23, 0x3c000000
	s_delay_alu instid0(VALU_DEP_3) | instskip(NEXT) | instid1(VALU_DEP_1)
	v_and_b32_e32 v29, 0x80000000, v29
	v_or3_b32 v54, v16, v29, v28
.LBB326_572:                            ;   in Loop: Header=BB326_497 Depth=1
	s_or_b32 exec_lo, exec_lo, s25
.LBB326_573:                            ;   in Loop: Header=BB326_497 Depth=1
	s_delay_alu instid0(SALU_CYCLE_1)
	s_or_b32 exec_lo, exec_lo, s24
.LBB326_574:                            ;   in Loop: Header=BB326_497 Depth=1
	s_delay_alu instid0(SALU_CYCLE_1) | instskip(SKIP_3) | instid1(VALU_DEP_2)
	s_or_b32 exec_lo, exec_lo, s23
	v_dual_mov_b32 v57, 0 :: v_dual_lshrrev_b32 v28, 16, v24
	v_mov_b32_e32 v58, 0
	s_mov_b32 s23, exec_lo
	v_and_b32_e32 v16, 0xff, v28
	s_delay_alu instid0(VALU_DEP_1)
	v_cmpx_ne_u16_e32 0, v16
	s_cbranch_execz .LBB326_582
; %bb.575:                              ;   in Loop: Header=BB326_497 Depth=1
	v_bfrev_b32_e32 v58, 1
	s_mov_b32 s24, exec_lo
	v_cmpx_ne_u16_e32 0x80, v16
	s_cbranch_execz .LBB326_581
; %bb.576:                              ;   in Loop: Header=BB326_497 Depth=1
	v_bfe_u32 v55, v24, 16, 7
	v_mov_b32_e32 v58, 0x7f800001
	s_mov_b32 s25, exec_lo
	s_delay_alu instid0(VALU_DEP_2)
	v_cmpx_ne_u32_e32 0x7f, v55
	s_cbranch_execz .LBB326_580
; %bb.577:                              ;   in Loop: Header=BB326_497 Depth=1
	v_dual_lshrrev_b32 v29, 3, v55 :: v_dual_bitop2_b32 v16, 7, v28 bitop3:0x40
	s_mov_b32 s27, exec_lo
	v_cmpx_gt_u32_e32 8, v55
; %bb.578:                              ;   in Loop: Header=BB326_497 Depth=1
	s_delay_alu instid0(VALU_DEP_2) | instskip(NEXT) | instid1(VALU_DEP_1)
	v_clz_i32_u32_e32 v29, v16
	v_min_u32_e32 v29, 32, v29
	s_delay_alu instid0(VALU_DEP_1) | instskip(NEXT) | instid1(VALU_DEP_1)
	v_subrev_nc_u32_e32 v55, 28, v29
	v_lshlrev_b64_e32 v[58:59], v55, v[16:17]
	s_delay_alu instid0(VALU_DEP_1)
	v_dual_sub_nc_u32 v29, 29, v29 :: v_dual_bitop2_b32 v16, 7, v58 bitop3:0x40
; %bb.579:                              ;   in Loop: Header=BB326_497 Depth=1
	s_or_b32 exec_lo, exec_lo, s27
	v_lshlrev_b32_e32 v28, 24, v28
	s_delay_alu instid0(VALU_DEP_2) | instskip(NEXT) | instid1(VALU_DEP_3)
	v_lshlrev_b32_e32 v16, 20, v16
	v_lshl_add_u32 v29, v29, 23, 0x3c000000
	s_delay_alu instid0(VALU_DEP_3) | instskip(NEXT) | instid1(VALU_DEP_1)
	v_and_b32_e32 v28, 0x80000000, v28
	v_or3_b32 v58, v16, v28, v29
.LBB326_580:                            ;   in Loop: Header=BB326_497 Depth=1
	s_or_b32 exec_lo, exec_lo, s25
.LBB326_581:                            ;   in Loop: Header=BB326_497 Depth=1
	s_delay_alu instid0(SALU_CYCLE_1)
	s_or_b32 exec_lo, exec_lo, s24
.LBB326_582:                            ;   in Loop: Header=BB326_497 Depth=1
	s_delay_alu instid0(SALU_CYCLE_1) | instskip(NEXT) | instid1(SALU_CYCLE_1)
	s_or_b32 exec_lo, exec_lo, s23
	s_mov_b32 s23, exec_lo
	v_cmpx_lt_u32_e32 0xffffff, v24
	s_cbranch_execz .LBB326_590
; %bb.583:                              ;   in Loop: Header=BB326_497 Depth=1
	v_lshrrev_b32_e32 v28, 24, v24
	v_bfrev_b32_e32 v57, 1
	s_mov_b32 s24, exec_lo
	s_delay_alu instid0(VALU_DEP_2)
	v_cmpx_ne_u32_e32 0x80, v28
	s_cbranch_execz .LBB326_589
; %bb.584:                              ;   in Loop: Header=BB326_497 Depth=1
	v_bfe_u32 v55, v24, 24, 7
	v_mov_b32_e32 v57, 0x7f800001
	s_mov_b32 s25, exec_lo
	s_delay_alu instid0(VALU_DEP_2)
	v_cmpx_ne_u32_e32 0x7f, v55
	s_cbranch_execz .LBB326_588
; %bb.585:                              ;   in Loop: Header=BB326_497 Depth=1
	v_dual_lshrrev_b32 v29, 3, v55 :: v_dual_bitop2_b32 v16, 7, v28 bitop3:0x40
	s_mov_b32 s27, exec_lo
	v_cmpx_gt_u32_e32 8, v55
; %bb.586:                              ;   in Loop: Header=BB326_497 Depth=1
	s_delay_alu instid0(VALU_DEP_2) | instskip(NEXT) | instid1(VALU_DEP_1)
	v_clz_i32_u32_e32 v29, v16
	v_min_u32_e32 v29, 32, v29
	s_delay_alu instid0(VALU_DEP_1) | instskip(NEXT) | instid1(VALU_DEP_1)
	v_subrev_nc_u32_e32 v55, 28, v29
	v_lshlrev_b64_e32 v[56:57], v55, v[16:17]
	s_delay_alu instid0(VALU_DEP_1)
	v_dual_sub_nc_u32 v29, 29, v29 :: v_dual_bitop2_b32 v16, 7, v56 bitop3:0x40
; %bb.587:                              ;   in Loop: Header=BB326_497 Depth=1
	s_or_b32 exec_lo, exec_lo, s27
	v_lshlrev_b32_e32 v28, 24, v28
	s_delay_alu instid0(VALU_DEP_2) | instskip(NEXT) | instid1(VALU_DEP_3)
	v_lshlrev_b32_e32 v16, 20, v16
	v_lshl_add_u32 v29, v29, 23, 0x3c000000
	s_delay_alu instid0(VALU_DEP_3) | instskip(NEXT) | instid1(VALU_DEP_1)
	v_and_b32_e32 v28, 0x80000000, v28
	v_or3_b32 v57, v16, v28, v29
.LBB326_588:                            ;   in Loop: Header=BB326_497 Depth=1
	s_or_b32 exec_lo, exec_lo, s25
.LBB326_589:                            ;   in Loop: Header=BB326_497 Depth=1
	s_delay_alu instid0(SALU_CYCLE_1)
	s_or_b32 exec_lo, exec_lo, s24
.LBB326_590:                            ;   in Loop: Header=BB326_497 Depth=1
	s_delay_alu instid0(SALU_CYCLE_1) | instskip(SKIP_4) | instid1(VALU_DEP_3)
	s_or_b32 exec_lo, exec_lo, s23
	v_and_b32_e32 v29, 0xff, v25
	v_dual_mov_b32 v16, v25 :: v_dual_mov_b32 v28, 0
	v_mov_b32_e32 v56, 0
	s_mov_b32 s23, exec_lo
	v_cmpx_ne_u16_e32 0, v29
	s_cbranch_execz .LBB326_596
; %bb.591:                              ;   in Loop: Header=BB326_497 Depth=1
	v_bfrev_b32_e32 v56, 1
	s_mov_b32 s24, exec_lo
	v_cmpx_ne_u16_e32 0x80, v29
	s_cbranch_execz .LBB326_595
; %bb.592:                              ;   in Loop: Header=BB326_497 Depth=1
	v_and_b32_e32 v29, 0x7f, v25
	v_mov_b32_e32 v56, 0x7f800001
	s_mov_b32 s25, exec_lo
	s_delay_alu instid0(VALU_DEP_2)
	v_cmpx_ne_u32_e32 0x7f, v29
	s_cbranch_execz .LBB326_594
; %bb.593:                              ;   in Loop: Header=BB326_497 Depth=1
	v_and_b32_e32 v55, 7, v25
	v_cmp_gt_u32_e64 s0, 8, v29
	s_delay_alu instid0(VALU_DEP_2) | instskip(NEXT) | instid1(VALU_DEP_1)
	v_clz_i32_u32_e32 v55, v55
	v_min_u32_e32 v55, 32, v55
	v_lshrrev_b32_e32 v56, 3, v29
	s_delay_alu instid0(VALU_DEP_2) | instskip(SKIP_1) | instid1(VALU_DEP_1)
	v_subrev_nc_u32_e32 v59, 28, v55
	v_sub_nc_u32_e32 v55, 29, v55
	v_cndmask_b32_e64 v29, v56, v55, s0
	s_delay_alu instid0(VALU_DEP_3) | instskip(NEXT) | instid1(VALU_DEP_1)
	v_cndmask_b32_e64 v55, 0, v59, s0
	v_lshlrev_b64_e32 v[60:61], v55, v[16:17]
	v_lshlrev_b32_e32 v55, 24, v16
	s_delay_alu instid0(VALU_DEP_4) | instskip(NEXT) | instid1(VALU_DEP_2)
	v_lshl_add_u32 v29, v29, 23, 0x3c000000
	v_and_b32_e32 v55, 0x80000000, v55
	s_delay_alu instid0(VALU_DEP_4) | instskip(NEXT) | instid1(VALU_DEP_1)
	v_lshlrev_b32_e32 v56, 20, v60
	v_and_b32_e32 v56, 0x700000, v56
	s_delay_alu instid0(VALU_DEP_1)
	v_or3_b32 v56, v56, v55, v29
.LBB326_594:                            ;   in Loop: Header=BB326_497 Depth=1
	s_or_b32 exec_lo, exec_lo, s25
.LBB326_595:                            ;   in Loop: Header=BB326_497 Depth=1
	s_delay_alu instid0(SALU_CYCLE_1)
	s_or_b32 exec_lo, exec_lo, s24
.LBB326_596:                            ;   in Loop: Header=BB326_497 Depth=1
	s_delay_alu instid0(SALU_CYCLE_1) | instskip(SKIP_2) | instid1(VALU_DEP_1)
	s_or_b32 exec_lo, exec_lo, s23
	v_lshrrev_b16 v29, 8, v16
	s_mov_b32 s23, exec_lo
	v_cmpx_ne_u16_e32 0, v29
	s_cbranch_execz .LBB326_604
; %bb.597:                              ;   in Loop: Header=BB326_497 Depth=1
	v_bfrev_b32_e32 v28, 1
	s_mov_b32 s24, exec_lo
	v_cmpx_ne_u16_e32 0x80, v29
	s_cbranch_execz .LBB326_603
; %bb.598:                              ;   in Loop: Header=BB326_497 Depth=1
	v_and_b32_e32 v29, 0xffff, v29
	v_mov_b32_e32 v28, 0x7f800001
	s_mov_b32 s25, exec_lo
	s_delay_alu instid0(VALU_DEP_2) | instskip(NEXT) | instid1(VALU_DEP_1)
	v_and_b32_e32 v59, 0x7f, v29
	v_cmpx_ne_u32_e32 0x7f, v59
	s_cbranch_execz .LBB326_602
; %bb.599:                              ;   in Loop: Header=BB326_497 Depth=1
	v_dual_mov_b32 v29, v17 :: v_dual_bitop2_b32 v28, 7, v29 bitop3:0x40
	v_lshrrev_b32_e32 v55, 3, v59
	s_mov_b32 s27, exec_lo
	v_cmpx_gt_u32_e32 8, v59
; %bb.600:                              ;   in Loop: Header=BB326_497 Depth=1
	s_delay_alu instid0(VALU_DEP_3) | instskip(NEXT) | instid1(VALU_DEP_1)
	v_clz_i32_u32_e32 v55, v28
	v_min_u32_e32 v55, 32, v55
	s_delay_alu instid0(VALU_DEP_1) | instskip(NEXT) | instid1(VALU_DEP_1)
	v_subrev_nc_u32_e32 v59, 28, v55
	v_lshlrev_b64_e32 v[28:29], v59, v[28:29]
	s_delay_alu instid0(VALU_DEP_1)
	v_dual_sub_nc_u32 v55, 29, v55 :: v_dual_bitop2_b32 v28, 7, v28 bitop3:0x40
; %bb.601:                              ;   in Loop: Header=BB326_497 Depth=1
	s_or_b32 exec_lo, exec_lo, s27
	v_lshlrev_b32_e32 v16, 16, v16
	s_delay_alu instid0(VALU_DEP_2) | instskip(NEXT) | instid1(VALU_DEP_3)
	v_lshlrev_b32_e32 v28, 20, v28
	v_lshl_add_u32 v29, v55, 23, 0x3c000000
	s_delay_alu instid0(VALU_DEP_3) | instskip(NEXT) | instid1(VALU_DEP_1)
	v_and_b32_e32 v16, 0x80000000, v16
	v_or3_b32 v28, v28, v16, v29
.LBB326_602:                            ;   in Loop: Header=BB326_497 Depth=1
	s_or_b32 exec_lo, exec_lo, s25
.LBB326_603:                            ;   in Loop: Header=BB326_497 Depth=1
	s_delay_alu instid0(SALU_CYCLE_1)
	s_or_b32 exec_lo, exec_lo, s24
.LBB326_604:                            ;   in Loop: Header=BB326_497 Depth=1
	s_delay_alu instid0(SALU_CYCLE_1) | instskip(SKIP_3) | instid1(VALU_DEP_2)
	s_or_b32 exec_lo, exec_lo, s23
	v_dual_lshrrev_b32 v55, 16, v25 :: v_dual_mov_b32 v29, 0
	v_mov_b32_e32 v61, 0
	s_mov_b32 s23, exec_lo
	v_and_b32_e32 v16, 0xff, v55
	s_delay_alu instid0(VALU_DEP_1)
	v_cmpx_ne_u16_e32 0, v16
	s_cbranch_execz .LBB326_612
; %bb.605:                              ;   in Loop: Header=BB326_497 Depth=1
	v_bfrev_b32_e32 v61, 1
	s_mov_b32 s24, exec_lo
	v_cmpx_ne_u16_e32 0x80, v16
	s_cbranch_execz .LBB326_611
; %bb.606:                              ;   in Loop: Header=BB326_497 Depth=1
	v_bfe_u32 v60, v25, 16, 7
	v_mov_b32_e32 v61, 0x7f800001
	s_mov_b32 s25, exec_lo
	s_delay_alu instid0(VALU_DEP_2)
	v_cmpx_ne_u32_e32 0x7f, v60
	s_cbranch_execz .LBB326_610
; %bb.607:                              ;   in Loop: Header=BB326_497 Depth=1
	v_dual_lshrrev_b32 v59, 3, v60 :: v_dual_bitop2_b32 v16, 7, v55 bitop3:0x40
	s_mov_b32 s27, exec_lo
	v_cmpx_gt_u32_e32 8, v60
; %bb.608:                              ;   in Loop: Header=BB326_497 Depth=1
	s_delay_alu instid0(VALU_DEP_2) | instskip(NEXT) | instid1(VALU_DEP_1)
	v_clz_i32_u32_e32 v59, v16
	v_min_u32_e32 v59, 32, v59
	s_delay_alu instid0(VALU_DEP_1) | instskip(NEXT) | instid1(VALU_DEP_1)
	v_subrev_nc_u32_e32 v60, 28, v59
	v_lshlrev_b64_e32 v[60:61], v60, v[16:17]
	s_delay_alu instid0(VALU_DEP_1)
	v_dual_sub_nc_u32 v59, 29, v59 :: v_dual_bitop2_b32 v16, 7, v60 bitop3:0x40
; %bb.609:                              ;   in Loop: Header=BB326_497 Depth=1
	s_or_b32 exec_lo, exec_lo, s27
	s_delay_alu instid0(VALU_DEP_1) | instskip(NEXT) | instid1(VALU_DEP_2)
	v_dual_lshlrev_b32 v55, 24, v55 :: v_dual_lshlrev_b32 v16, 20, v16
	v_lshl_add_u32 v59, v59, 23, 0x3c000000
	s_delay_alu instid0(VALU_DEP_2) | instskip(NEXT) | instid1(VALU_DEP_1)
	v_and_b32_e32 v55, 0x80000000, v55
	v_or3_b32 v61, v16, v55, v59
.LBB326_610:                            ;   in Loop: Header=BB326_497 Depth=1
	s_or_b32 exec_lo, exec_lo, s25
.LBB326_611:                            ;   in Loop: Header=BB326_497 Depth=1
	s_delay_alu instid0(SALU_CYCLE_1)
	s_or_b32 exec_lo, exec_lo, s24
.LBB326_612:                            ;   in Loop: Header=BB326_497 Depth=1
	s_delay_alu instid0(SALU_CYCLE_1) | instskip(NEXT) | instid1(SALU_CYCLE_1)
	s_or_b32 exec_lo, exec_lo, s23
	s_mov_b32 s23, exec_lo
	v_cmpx_lt_u64_e64 s[2:3], v[24:25]
	s_cbranch_execz .LBB326_620
; %bb.613:                              ;   in Loop: Header=BB326_497 Depth=1
	v_lshrrev_b32_e32 v24, 24, v25
	v_bfrev_b32_e32 v29, 1
	s_mov_b32 s24, exec_lo
	s_delay_alu instid0(VALU_DEP_2)
	v_cmpx_ne_u32_e32 0x80, v24
	s_cbranch_execz .LBB326_619
; %bb.614:                              ;   in Loop: Header=BB326_497 Depth=1
	v_bfe_u32 v55, v25, 24, 7
	v_mov_b32_e32 v29, 0x7f800001
	s_mov_b32 s25, exec_lo
	s_delay_alu instid0(VALU_DEP_2)
	v_cmpx_ne_u32_e32 0x7f, v55
	s_cbranch_execz .LBB326_618
; %bb.615:                              ;   in Loop: Header=BB326_497 Depth=1
	v_dual_lshrrev_b32 v25, 3, v55 :: v_dual_bitop2_b32 v16, 7, v24 bitop3:0x40
	s_mov_b32 s27, exec_lo
	v_cmpx_gt_u32_e32 8, v55
; %bb.616:                              ;   in Loop: Header=BB326_497 Depth=1
	s_delay_alu instid0(VALU_DEP_2) | instskip(NEXT) | instid1(VALU_DEP_1)
	v_clz_i32_u32_e32 v25, v16
	v_min_u32_e32 v25, 32, v25
	s_delay_alu instid0(VALU_DEP_1) | instskip(NEXT) | instid1(VALU_DEP_1)
	v_subrev_nc_u32_e32 v29, 28, v25
	v_lshlrev_b64_e32 v[62:63], v29, v[16:17]
	s_delay_alu instid0(VALU_DEP_1)
	v_dual_sub_nc_u32 v25, 29, v25 :: v_dual_bitop2_b32 v16, 7, v62 bitop3:0x40
; %bb.617:                              ;   in Loop: Header=BB326_497 Depth=1
	s_or_b32 exec_lo, exec_lo, s27
	v_lshlrev_b32_e32 v24, 24, v24
	s_delay_alu instid0(VALU_DEP_2) | instskip(NEXT) | instid1(VALU_DEP_3)
	v_lshlrev_b32_e32 v16, 20, v16
	v_lshl_add_u32 v25, v25, 23, 0x3c000000
	s_delay_alu instid0(VALU_DEP_3) | instskip(NEXT) | instid1(VALU_DEP_1)
	v_and_b32_e32 v24, 0x80000000, v24
	v_or3_b32 v29, v16, v24, v25
.LBB326_618:                            ;   in Loop: Header=BB326_497 Depth=1
	s_or_b32 exec_lo, exec_lo, s25
.LBB326_619:                            ;   in Loop: Header=BB326_497 Depth=1
	s_delay_alu instid0(SALU_CYCLE_1)
	s_or_b32 exec_lo, exec_lo, s24
.LBB326_620:                            ;   in Loop: Header=BB326_497 Depth=1
	s_delay_alu instid0(SALU_CYCLE_1)
	s_or_b32 exec_lo, exec_lo, s23
	v_fma_mixlo_bf16 v55, s22, v28, 0
	v_fma_mixlo_bf16 v56, s22, v56, 0
	v_fma_mixlo_bf16 v57, s22, v57, 0
	v_fma_mixlo_bf16 v58, s22, v58, 0
	v_fma_mixlo_bf16 v59, s22, v54, 0
	v_fma_mixlo_bf16 v60, s22, v53, 0
	v_fma_mixlo_bf16 v53, s22, v61, 0
	v_fma_mixlo_bf16 v54, s22, v29, 0
	s_and_saveexec_b32 s23, vcc_lo
	s_cbranch_execz .LBB326_622
; %bb.621:                              ;   in Loop: Header=BB326_497 Depth=1
	v_cmp_gt_i32_e64 s0, s34, v45
	s_delay_alu instid0(VALU_DEP_1) | instskip(SKIP_1) | instid1(VALU_DEP_1)
	v_cndmask_b32_e64 v60, 0, v60, s0
	v_cmp_gt_i32_e64 s0, s34, v52
	v_cndmask_b32_e64 v59, 0, v59, s0
	v_cmp_gt_i32_e64 s0, s34, v51
	s_delay_alu instid0(VALU_DEP_1) | instskip(SKIP_1) | instid1(VALU_DEP_1)
	v_cndmask_b32_e64 v58, 0, v58, s0
	v_cmp_gt_i32_e64 s0, s34, v50
	v_cndmask_b32_e64 v57, 0, v57, s0
	;; [unrolled: 5-line block ×4, first 2 shown]
.LBB326_622:                            ;   in Loop: Header=BB326_497 Depth=1
	s_or_b32 exec_lo, exec_lo, s23
	global_load_b64 v[24:25], v[22:23], off offset:512
	v_dual_mov_b32 v62, 0 :: v_dual_mov_b32 v61, 0
	s_mov_b32 s23, exec_lo
	s_wait_loadcnt 0x0
	v_and_b32_e32 v16, 0xff, v24
	s_delay_alu instid0(VALU_DEP_1)
	v_cmpx_ne_u16_e32 0, v16
	s_cbranch_execz .LBB326_628
; %bb.623:                              ;   in Loop: Header=BB326_497 Depth=1
	v_bfrev_b32_e32 v61, 1
	s_mov_b32 s24, exec_lo
	v_cmpx_ne_u16_e32 0x80, v16
	s_cbranch_execz .LBB326_627
; %bb.624:                              ;   in Loop: Header=BB326_497 Depth=1
	v_and_b32_e32 v16, 0x7f, v24
	v_mov_b32_e32 v61, 0x7f800001
	s_mov_b32 s25, exec_lo
	s_delay_alu instid0(VALU_DEP_2)
	v_cmpx_ne_u32_e32 0x7f, v16
	s_cbranch_execz .LBB326_626
; %bb.625:                              ;   in Loop: Header=BB326_497 Depth=1
	v_and_b32_e32 v28, 7, v24
	v_cmp_gt_u32_e64 s0, 8, v16
	s_delay_alu instid0(VALU_DEP_2) | instskip(NEXT) | instid1(VALU_DEP_1)
	v_clz_i32_u32_e32 v28, v28
	v_min_u32_e32 v28, 32, v28
	s_delay_alu instid0(VALU_DEP_1) | instskip(SKIP_2) | instid1(VALU_DEP_1)
	v_subrev_nc_u32_e32 v61, 28, v28
	v_lshrrev_b32_e32 v29, 3, v16
	v_sub_nc_u32_e32 v28, 29, v28
	v_dual_cndmask_b32 v16, v29, v28, s0 :: v_dual_cndmask_b32 v28, 0, v61, s0
	s_delay_alu instid0(VALU_DEP_1) | instskip(SKIP_1) | instid1(VALU_DEP_1)
	v_lshlrev_b64_e32 v[28:29], v28, v[24:25]
	v_lshlrev_b32_e32 v29, 24, v24
	v_and_b32_e32 v29, 0x80000000, v29
	s_delay_alu instid0(VALU_DEP_3) | instskip(SKIP_1) | instid1(VALU_DEP_2)
	v_lshlrev_b32_e32 v28, 20, v28
	v_lshl_add_u32 v16, v16, 23, 0x3c000000
	v_and_b32_e32 v28, 0x700000, v28
	s_delay_alu instid0(VALU_DEP_1)
	v_or3_b32 v61, v28, v29, v16
.LBB326_626:                            ;   in Loop: Header=BB326_497 Depth=1
	s_or_b32 exec_lo, exec_lo, s25
.LBB326_627:                            ;   in Loop: Header=BB326_497 Depth=1
	s_delay_alu instid0(SALU_CYCLE_1)
	s_or_b32 exec_lo, exec_lo, s24
.LBB326_628:                            ;   in Loop: Header=BB326_497 Depth=1
	s_delay_alu instid0(SALU_CYCLE_1) | instskip(SKIP_2) | instid1(VALU_DEP_1)
	s_or_b32 exec_lo, exec_lo, s23
	v_lshrrev_b16 v16, 8, v24
	s_mov_b32 s23, exec_lo
	v_cmpx_ne_u16_e32 0, v16
	s_cbranch_execz .LBB326_636
; %bb.629:                              ;   in Loop: Header=BB326_497 Depth=1
	v_bfrev_b32_e32 v62, 1
	s_mov_b32 s24, exec_lo
	v_cmpx_ne_u16_e32 0x80, v16
	s_cbranch_execz .LBB326_635
; %bb.630:                              ;   in Loop: Header=BB326_497 Depth=1
	v_and_b32_e32 v16, 0xffff, v16
	v_mov_b32_e32 v62, 0x7f800001
	s_mov_b32 s25, exec_lo
	s_delay_alu instid0(VALU_DEP_2) | instskip(NEXT) | instid1(VALU_DEP_1)
	v_and_b32_e32 v29, 0x7f, v16
	v_cmpx_ne_u32_e32 0x7f, v29
	s_cbranch_execz .LBB326_634
; %bb.631:                              ;   in Loop: Header=BB326_497 Depth=1
	v_dual_lshrrev_b32 v28, 3, v29 :: v_dual_bitop2_b32 v16, 7, v16 bitop3:0x40
	s_mov_b32 s27, exec_lo
	v_cmpx_gt_u32_e32 8, v29
; %bb.632:                              ;   in Loop: Header=BB326_497 Depth=1
	s_delay_alu instid0(VALU_DEP_2) | instskip(NEXT) | instid1(VALU_DEP_1)
	v_clz_i32_u32_e32 v28, v16
	v_min_u32_e32 v28, 32, v28
	s_delay_alu instid0(VALU_DEP_1) | instskip(NEXT) | instid1(VALU_DEP_1)
	v_subrev_nc_u32_e32 v29, 28, v28
	v_lshlrev_b64_e32 v[62:63], v29, v[16:17]
	s_delay_alu instid0(VALU_DEP_1)
	v_dual_sub_nc_u32 v28, 29, v28 :: v_dual_bitop2_b32 v16, 7, v62 bitop3:0x40
; %bb.633:                              ;   in Loop: Header=BB326_497 Depth=1
	s_or_b32 exec_lo, exec_lo, s27
	v_lshlrev_b32_e32 v29, 16, v24
	s_delay_alu instid0(VALU_DEP_2) | instskip(NEXT) | instid1(VALU_DEP_3)
	v_lshlrev_b32_e32 v16, 20, v16
	v_lshl_add_u32 v28, v28, 23, 0x3c000000
	s_delay_alu instid0(VALU_DEP_3) | instskip(NEXT) | instid1(VALU_DEP_1)
	v_and_b32_e32 v29, 0x80000000, v29
	v_or3_b32 v62, v16, v29, v28
.LBB326_634:                            ;   in Loop: Header=BB326_497 Depth=1
	s_or_b32 exec_lo, exec_lo, s25
.LBB326_635:                            ;   in Loop: Header=BB326_497 Depth=1
	s_delay_alu instid0(SALU_CYCLE_1)
	s_or_b32 exec_lo, exec_lo, s24
.LBB326_636:                            ;   in Loop: Header=BB326_497 Depth=1
	s_delay_alu instid0(SALU_CYCLE_1) | instskip(SKIP_3) | instid1(VALU_DEP_2)
	s_or_b32 exec_lo, exec_lo, s23
	v_dual_mov_b32 v65, 0 :: v_dual_lshrrev_b32 v28, 16, v24
	v_mov_b32_e32 v66, 0
	s_mov_b32 s23, exec_lo
	v_and_b32_e32 v16, 0xff, v28
	s_delay_alu instid0(VALU_DEP_1)
	v_cmpx_ne_u16_e32 0, v16
	s_cbranch_execz .LBB326_644
; %bb.637:                              ;   in Loop: Header=BB326_497 Depth=1
	v_bfrev_b32_e32 v66, 1
	s_mov_b32 s24, exec_lo
	v_cmpx_ne_u16_e32 0x80, v16
	s_cbranch_execz .LBB326_643
; %bb.638:                              ;   in Loop: Header=BB326_497 Depth=1
	v_bfe_u32 v63, v24, 16, 7
	v_mov_b32_e32 v66, 0x7f800001
	s_mov_b32 s25, exec_lo
	s_delay_alu instid0(VALU_DEP_2)
	v_cmpx_ne_u32_e32 0x7f, v63
	s_cbranch_execz .LBB326_642
; %bb.639:                              ;   in Loop: Header=BB326_497 Depth=1
	v_dual_lshrrev_b32 v29, 3, v63 :: v_dual_bitop2_b32 v16, 7, v28 bitop3:0x40
	s_mov_b32 s27, exec_lo
	v_cmpx_gt_u32_e32 8, v63
; %bb.640:                              ;   in Loop: Header=BB326_497 Depth=1
	s_delay_alu instid0(VALU_DEP_2) | instskip(NEXT) | instid1(VALU_DEP_1)
	v_clz_i32_u32_e32 v29, v16
	v_min_u32_e32 v29, 32, v29
	s_delay_alu instid0(VALU_DEP_1) | instskip(NEXT) | instid1(VALU_DEP_1)
	v_subrev_nc_u32_e32 v63, 28, v29
	v_lshlrev_b64_e32 v[66:67], v63, v[16:17]
	s_delay_alu instid0(VALU_DEP_1)
	v_dual_sub_nc_u32 v29, 29, v29 :: v_dual_bitop2_b32 v16, 7, v66 bitop3:0x40
; %bb.641:                              ;   in Loop: Header=BB326_497 Depth=1
	s_or_b32 exec_lo, exec_lo, s27
	v_lshlrev_b32_e32 v28, 24, v28
	s_delay_alu instid0(VALU_DEP_2) | instskip(NEXT) | instid1(VALU_DEP_3)
	v_lshlrev_b32_e32 v16, 20, v16
	v_lshl_add_u32 v29, v29, 23, 0x3c000000
	s_delay_alu instid0(VALU_DEP_3) | instskip(NEXT) | instid1(VALU_DEP_1)
	v_and_b32_e32 v28, 0x80000000, v28
	v_or3_b32 v66, v16, v28, v29
.LBB326_642:                            ;   in Loop: Header=BB326_497 Depth=1
	s_or_b32 exec_lo, exec_lo, s25
.LBB326_643:                            ;   in Loop: Header=BB326_497 Depth=1
	s_delay_alu instid0(SALU_CYCLE_1)
	s_or_b32 exec_lo, exec_lo, s24
.LBB326_644:                            ;   in Loop: Header=BB326_497 Depth=1
	s_delay_alu instid0(SALU_CYCLE_1) | instskip(NEXT) | instid1(SALU_CYCLE_1)
	s_or_b32 exec_lo, exec_lo, s23
	s_mov_b32 s23, exec_lo
	v_cmpx_lt_u32_e32 0xffffff, v24
	s_cbranch_execz .LBB326_652
; %bb.645:                              ;   in Loop: Header=BB326_497 Depth=1
	v_lshrrev_b32_e32 v28, 24, v24
	v_bfrev_b32_e32 v65, 1
	s_mov_b32 s24, exec_lo
	s_delay_alu instid0(VALU_DEP_2)
	v_cmpx_ne_u32_e32 0x80, v28
	s_cbranch_execz .LBB326_651
; %bb.646:                              ;   in Loop: Header=BB326_497 Depth=1
	v_bfe_u32 v63, v24, 24, 7
	v_mov_b32_e32 v65, 0x7f800001
	s_mov_b32 s25, exec_lo
	s_delay_alu instid0(VALU_DEP_2)
	v_cmpx_ne_u32_e32 0x7f, v63
	s_cbranch_execz .LBB326_650
; %bb.647:                              ;   in Loop: Header=BB326_497 Depth=1
	v_dual_lshrrev_b32 v29, 3, v63 :: v_dual_bitop2_b32 v16, 7, v28 bitop3:0x40
	s_mov_b32 s27, exec_lo
	v_cmpx_gt_u32_e32 8, v63
; %bb.648:                              ;   in Loop: Header=BB326_497 Depth=1
	s_delay_alu instid0(VALU_DEP_2) | instskip(NEXT) | instid1(VALU_DEP_1)
	v_clz_i32_u32_e32 v29, v16
	v_min_u32_e32 v29, 32, v29
	s_delay_alu instid0(VALU_DEP_1) | instskip(NEXT) | instid1(VALU_DEP_1)
	v_subrev_nc_u32_e32 v63, 28, v29
	v_lshlrev_b64_e32 v[64:65], v63, v[16:17]
	s_delay_alu instid0(VALU_DEP_1)
	v_dual_sub_nc_u32 v29, 29, v29 :: v_dual_bitop2_b32 v16, 7, v64 bitop3:0x40
; %bb.649:                              ;   in Loop: Header=BB326_497 Depth=1
	s_or_b32 exec_lo, exec_lo, s27
	v_lshlrev_b32_e32 v28, 24, v28
	s_delay_alu instid0(VALU_DEP_2) | instskip(NEXT) | instid1(VALU_DEP_3)
	v_lshlrev_b32_e32 v16, 20, v16
	v_lshl_add_u32 v29, v29, 23, 0x3c000000
	s_delay_alu instid0(VALU_DEP_3) | instskip(NEXT) | instid1(VALU_DEP_1)
	v_and_b32_e32 v28, 0x80000000, v28
	v_or3_b32 v65, v16, v28, v29
.LBB326_650:                            ;   in Loop: Header=BB326_497 Depth=1
	s_or_b32 exec_lo, exec_lo, s25
.LBB326_651:                            ;   in Loop: Header=BB326_497 Depth=1
	s_delay_alu instid0(SALU_CYCLE_1)
	s_or_b32 exec_lo, exec_lo, s24
.LBB326_652:                            ;   in Loop: Header=BB326_497 Depth=1
	s_delay_alu instid0(SALU_CYCLE_1) | instskip(SKIP_4) | instid1(VALU_DEP_3)
	s_or_b32 exec_lo, exec_lo, s23
	v_and_b32_e32 v29, 0xff, v25
	v_dual_mov_b32 v16, v25 :: v_dual_mov_b32 v28, 0
	v_mov_b32_e32 v64, 0
	s_mov_b32 s23, exec_lo
	v_cmpx_ne_u16_e32 0, v29
	s_cbranch_execz .LBB326_658
; %bb.653:                              ;   in Loop: Header=BB326_497 Depth=1
	v_bfrev_b32_e32 v64, 1
	s_mov_b32 s24, exec_lo
	v_cmpx_ne_u16_e32 0x80, v29
	s_cbranch_execz .LBB326_657
; %bb.654:                              ;   in Loop: Header=BB326_497 Depth=1
	v_and_b32_e32 v29, 0x7f, v25
	v_mov_b32_e32 v64, 0x7f800001
	s_mov_b32 s25, exec_lo
	s_delay_alu instid0(VALU_DEP_2)
	v_cmpx_ne_u32_e32 0x7f, v29
	s_cbranch_execz .LBB326_656
; %bb.655:                              ;   in Loop: Header=BB326_497 Depth=1
	v_and_b32_e32 v63, 7, v25
	v_cmp_gt_u32_e64 s0, 8, v29
	s_delay_alu instid0(VALU_DEP_2) | instskip(NEXT) | instid1(VALU_DEP_1)
	v_clz_i32_u32_e32 v63, v63
	v_min_u32_e32 v63, 32, v63
	v_lshrrev_b32_e32 v64, 3, v29
	s_delay_alu instid0(VALU_DEP_2) | instskip(SKIP_1) | instid1(VALU_DEP_1)
	v_subrev_nc_u32_e32 v67, 28, v63
	v_sub_nc_u32_e32 v63, 29, v63
	v_cndmask_b32_e64 v29, v64, v63, s0
	s_delay_alu instid0(VALU_DEP_3) | instskip(NEXT) | instid1(VALU_DEP_1)
	v_cndmask_b32_e64 v63, 0, v67, s0
	v_lshlrev_b64_e32 v[68:69], v63, v[16:17]
	v_lshlrev_b32_e32 v63, 24, v16
	s_delay_alu instid0(VALU_DEP_4) | instskip(NEXT) | instid1(VALU_DEP_2)
	v_lshl_add_u32 v29, v29, 23, 0x3c000000
	v_and_b32_e32 v63, 0x80000000, v63
	s_delay_alu instid0(VALU_DEP_4) | instskip(NEXT) | instid1(VALU_DEP_1)
	v_lshlrev_b32_e32 v64, 20, v68
	v_and_b32_e32 v64, 0x700000, v64
	s_delay_alu instid0(VALU_DEP_1)
	v_or3_b32 v64, v64, v63, v29
.LBB326_656:                            ;   in Loop: Header=BB326_497 Depth=1
	s_or_b32 exec_lo, exec_lo, s25
.LBB326_657:                            ;   in Loop: Header=BB326_497 Depth=1
	s_delay_alu instid0(SALU_CYCLE_1)
	s_or_b32 exec_lo, exec_lo, s24
.LBB326_658:                            ;   in Loop: Header=BB326_497 Depth=1
	s_delay_alu instid0(SALU_CYCLE_1) | instskip(SKIP_2) | instid1(VALU_DEP_1)
	s_or_b32 exec_lo, exec_lo, s23
	v_lshrrev_b16 v29, 8, v16
	s_mov_b32 s23, exec_lo
	v_cmpx_ne_u16_e32 0, v29
	s_cbranch_execz .LBB326_666
; %bb.659:                              ;   in Loop: Header=BB326_497 Depth=1
	v_bfrev_b32_e32 v28, 1
	s_mov_b32 s24, exec_lo
	v_cmpx_ne_u16_e32 0x80, v29
	s_cbranch_execz .LBB326_665
; %bb.660:                              ;   in Loop: Header=BB326_497 Depth=1
	v_and_b32_e32 v29, 0xffff, v29
	v_mov_b32_e32 v28, 0x7f800001
	s_mov_b32 s25, exec_lo
	s_delay_alu instid0(VALU_DEP_2) | instskip(NEXT) | instid1(VALU_DEP_1)
	v_and_b32_e32 v67, 0x7f, v29
	v_cmpx_ne_u32_e32 0x7f, v67
	s_cbranch_execz .LBB326_664
; %bb.661:                              ;   in Loop: Header=BB326_497 Depth=1
	v_dual_mov_b32 v29, v17 :: v_dual_bitop2_b32 v28, 7, v29 bitop3:0x40
	v_lshrrev_b32_e32 v63, 3, v67
	s_mov_b32 s27, exec_lo
	v_cmpx_gt_u32_e32 8, v67
; %bb.662:                              ;   in Loop: Header=BB326_497 Depth=1
	s_delay_alu instid0(VALU_DEP_3) | instskip(NEXT) | instid1(VALU_DEP_1)
	v_clz_i32_u32_e32 v63, v28
	v_min_u32_e32 v63, 32, v63
	s_delay_alu instid0(VALU_DEP_1) | instskip(NEXT) | instid1(VALU_DEP_1)
	v_subrev_nc_u32_e32 v67, 28, v63
	v_lshlrev_b64_e32 v[28:29], v67, v[28:29]
	s_delay_alu instid0(VALU_DEP_1)
	v_dual_sub_nc_u32 v63, 29, v63 :: v_dual_bitop2_b32 v28, 7, v28 bitop3:0x40
; %bb.663:                              ;   in Loop: Header=BB326_497 Depth=1
	s_or_b32 exec_lo, exec_lo, s27
	v_lshlrev_b32_e32 v16, 16, v16
	s_delay_alu instid0(VALU_DEP_2) | instskip(NEXT) | instid1(VALU_DEP_3)
	v_lshlrev_b32_e32 v28, 20, v28
	v_lshl_add_u32 v29, v63, 23, 0x3c000000
	s_delay_alu instid0(VALU_DEP_3) | instskip(NEXT) | instid1(VALU_DEP_1)
	v_and_b32_e32 v16, 0x80000000, v16
	v_or3_b32 v28, v28, v16, v29
.LBB326_664:                            ;   in Loop: Header=BB326_497 Depth=1
	s_or_b32 exec_lo, exec_lo, s25
.LBB326_665:                            ;   in Loop: Header=BB326_497 Depth=1
	s_delay_alu instid0(SALU_CYCLE_1)
	s_or_b32 exec_lo, exec_lo, s24
.LBB326_666:                            ;   in Loop: Header=BB326_497 Depth=1
	s_delay_alu instid0(SALU_CYCLE_1) | instskip(SKIP_3) | instid1(VALU_DEP_2)
	s_or_b32 exec_lo, exec_lo, s23
	v_dual_lshrrev_b32 v63, 16, v25 :: v_dual_mov_b32 v29, 0
	v_mov_b32_e32 v69, 0
	s_mov_b32 s23, exec_lo
	v_and_b32_e32 v16, 0xff, v63
	s_delay_alu instid0(VALU_DEP_1)
	v_cmpx_ne_u16_e32 0, v16
	s_cbranch_execz .LBB326_674
; %bb.667:                              ;   in Loop: Header=BB326_497 Depth=1
	v_bfrev_b32_e32 v69, 1
	s_mov_b32 s24, exec_lo
	v_cmpx_ne_u16_e32 0x80, v16
	s_cbranch_execz .LBB326_673
; %bb.668:                              ;   in Loop: Header=BB326_497 Depth=1
	v_bfe_u32 v68, v25, 16, 7
	v_mov_b32_e32 v69, 0x7f800001
	s_mov_b32 s25, exec_lo
	s_delay_alu instid0(VALU_DEP_2)
	v_cmpx_ne_u32_e32 0x7f, v68
	s_cbranch_execz .LBB326_672
; %bb.669:                              ;   in Loop: Header=BB326_497 Depth=1
	v_dual_lshrrev_b32 v67, 3, v68 :: v_dual_bitop2_b32 v16, 7, v63 bitop3:0x40
	s_mov_b32 s27, exec_lo
	v_cmpx_gt_u32_e32 8, v68
; %bb.670:                              ;   in Loop: Header=BB326_497 Depth=1
	s_delay_alu instid0(VALU_DEP_2) | instskip(NEXT) | instid1(VALU_DEP_1)
	v_clz_i32_u32_e32 v67, v16
	v_min_u32_e32 v67, 32, v67
	s_delay_alu instid0(VALU_DEP_1) | instskip(NEXT) | instid1(VALU_DEP_1)
	v_subrev_nc_u32_e32 v68, 28, v67
	v_lshlrev_b64_e32 v[68:69], v68, v[16:17]
	s_delay_alu instid0(VALU_DEP_1)
	v_dual_sub_nc_u32 v67, 29, v67 :: v_dual_bitop2_b32 v16, 7, v68 bitop3:0x40
; %bb.671:                              ;   in Loop: Header=BB326_497 Depth=1
	s_or_b32 exec_lo, exec_lo, s27
	s_delay_alu instid0(VALU_DEP_1) | instskip(NEXT) | instid1(VALU_DEP_2)
	v_dual_lshlrev_b32 v63, 24, v63 :: v_dual_lshlrev_b32 v16, 20, v16
	v_lshl_add_u32 v67, v67, 23, 0x3c000000
	s_delay_alu instid0(VALU_DEP_2) | instskip(NEXT) | instid1(VALU_DEP_1)
	v_and_b32_e32 v63, 0x80000000, v63
	v_or3_b32 v69, v16, v63, v67
.LBB326_672:                            ;   in Loop: Header=BB326_497 Depth=1
	s_or_b32 exec_lo, exec_lo, s25
.LBB326_673:                            ;   in Loop: Header=BB326_497 Depth=1
	s_delay_alu instid0(SALU_CYCLE_1)
	s_or_b32 exec_lo, exec_lo, s24
.LBB326_674:                            ;   in Loop: Header=BB326_497 Depth=1
	s_delay_alu instid0(SALU_CYCLE_1) | instskip(NEXT) | instid1(SALU_CYCLE_1)
	s_or_b32 exec_lo, exec_lo, s23
	s_mov_b32 s23, exec_lo
	v_cmpx_lt_u64_e64 s[2:3], v[24:25]
	s_cbranch_execz .LBB326_682
; %bb.675:                              ;   in Loop: Header=BB326_497 Depth=1
	v_lshrrev_b32_e32 v24, 24, v25
	v_bfrev_b32_e32 v29, 1
	s_mov_b32 s24, exec_lo
	s_delay_alu instid0(VALU_DEP_2)
	v_cmpx_ne_u32_e32 0x80, v24
	s_cbranch_execz .LBB326_681
; %bb.676:                              ;   in Loop: Header=BB326_497 Depth=1
	v_bfe_u32 v63, v25, 24, 7
	v_mov_b32_e32 v29, 0x7f800001
	s_mov_b32 s25, exec_lo
	s_delay_alu instid0(VALU_DEP_2)
	v_cmpx_ne_u32_e32 0x7f, v63
	s_cbranch_execz .LBB326_680
; %bb.677:                              ;   in Loop: Header=BB326_497 Depth=1
	v_dual_lshrrev_b32 v25, 3, v63 :: v_dual_bitop2_b32 v16, 7, v24 bitop3:0x40
	s_mov_b32 s27, exec_lo
	v_cmpx_gt_u32_e32 8, v63
; %bb.678:                              ;   in Loop: Header=BB326_497 Depth=1
	s_delay_alu instid0(VALU_DEP_2) | instskip(NEXT) | instid1(VALU_DEP_1)
	v_clz_i32_u32_e32 v25, v16
	v_min_u32_e32 v25, 32, v25
	s_delay_alu instid0(VALU_DEP_1) | instskip(NEXT) | instid1(VALU_DEP_1)
	v_subrev_nc_u32_e32 v29, 28, v25
	v_lshlrev_b64_e32 v[70:71], v29, v[16:17]
	s_delay_alu instid0(VALU_DEP_1)
	v_dual_sub_nc_u32 v25, 29, v25 :: v_dual_bitop2_b32 v16, 7, v70 bitop3:0x40
; %bb.679:                              ;   in Loop: Header=BB326_497 Depth=1
	s_or_b32 exec_lo, exec_lo, s27
	v_lshlrev_b32_e32 v24, 24, v24
	s_delay_alu instid0(VALU_DEP_2) | instskip(NEXT) | instid1(VALU_DEP_3)
	v_lshlrev_b32_e32 v16, 20, v16
	v_lshl_add_u32 v25, v25, 23, 0x3c000000
	s_delay_alu instid0(VALU_DEP_3) | instskip(NEXT) | instid1(VALU_DEP_1)
	v_and_b32_e32 v24, 0x80000000, v24
	v_or3_b32 v29, v16, v24, v25
.LBB326_680:                            ;   in Loop: Header=BB326_497 Depth=1
	s_or_b32 exec_lo, exec_lo, s25
.LBB326_681:                            ;   in Loop: Header=BB326_497 Depth=1
	s_delay_alu instid0(SALU_CYCLE_1)
	s_or_b32 exec_lo, exec_lo, s24
.LBB326_682:                            ;   in Loop: Header=BB326_497 Depth=1
	s_delay_alu instid0(SALU_CYCLE_1)
	s_or_b32 exec_lo, exec_lo, s23
	v_fma_mixlo_bf16 v63, s22, v28, 0
	v_fma_mixlo_bf16 v64, s22, v64, 0
	;; [unrolled: 1-line block ×8, first 2 shown]
	s_and_saveexec_b32 s23, vcc_lo
	s_cbranch_execz .LBB326_684
; %bb.683:                              ;   in Loop: Header=BB326_497 Depth=1
	v_cmp_gt_i32_e64 s0, s34, v45
	s_delay_alu instid0(VALU_DEP_1) | instskip(SKIP_1) | instid1(VALU_DEP_1)
	v_cndmask_b32_e64 v68, 0, v68, s0
	v_cmp_gt_i32_e64 s0, s34, v52
	v_cndmask_b32_e64 v67, 0, v67, s0
	v_cmp_gt_i32_e64 s0, s34, v51
	s_delay_alu instid0(VALU_DEP_1) | instskip(SKIP_1) | instid1(VALU_DEP_1)
	v_cndmask_b32_e64 v66, 0, v66, s0
	v_cmp_gt_i32_e64 s0, s34, v50
	v_cndmask_b32_e64 v65, 0, v65, s0
	;; [unrolled: 5-line block ×4, first 2 shown]
.LBB326_684:                            ;   in Loop: Header=BB326_497 Depth=1
	s_or_b32 exec_lo, exec_lo, s23
	global_load_b64 v[24:25], v[22:23], off offset:768
	v_dual_mov_b32 v70, 0 :: v_dual_mov_b32 v69, 0
	s_mov_b32 s23, exec_lo
	s_wait_loadcnt 0x0
	v_and_b32_e32 v16, 0xff, v24
	s_delay_alu instid0(VALU_DEP_1)
	v_cmpx_ne_u16_e32 0, v16
	s_cbranch_execz .LBB326_690
; %bb.685:                              ;   in Loop: Header=BB326_497 Depth=1
	v_bfrev_b32_e32 v69, 1
	s_mov_b32 s24, exec_lo
	v_cmpx_ne_u16_e32 0x80, v16
	s_cbranch_execz .LBB326_689
; %bb.686:                              ;   in Loop: Header=BB326_497 Depth=1
	v_and_b32_e32 v16, 0x7f, v24
	v_mov_b32_e32 v69, 0x7f800001
	s_mov_b32 s25, exec_lo
	s_delay_alu instid0(VALU_DEP_2)
	v_cmpx_ne_u32_e32 0x7f, v16
	s_cbranch_execz .LBB326_688
; %bb.687:                              ;   in Loop: Header=BB326_497 Depth=1
	v_and_b32_e32 v28, 7, v24
	v_cmp_gt_u32_e64 s0, 8, v16
	s_delay_alu instid0(VALU_DEP_2) | instskip(NEXT) | instid1(VALU_DEP_1)
	v_clz_i32_u32_e32 v28, v28
	v_min_u32_e32 v28, 32, v28
	s_delay_alu instid0(VALU_DEP_1) | instskip(SKIP_2) | instid1(VALU_DEP_1)
	v_subrev_nc_u32_e32 v69, 28, v28
	v_lshrrev_b32_e32 v29, 3, v16
	v_sub_nc_u32_e32 v28, 29, v28
	v_dual_cndmask_b32 v16, v29, v28, s0 :: v_dual_cndmask_b32 v28, 0, v69, s0
	s_delay_alu instid0(VALU_DEP_1) | instskip(SKIP_1) | instid1(VALU_DEP_1)
	v_lshlrev_b64_e32 v[28:29], v28, v[24:25]
	v_lshlrev_b32_e32 v29, 24, v24
	v_and_b32_e32 v29, 0x80000000, v29
	s_delay_alu instid0(VALU_DEP_3) | instskip(SKIP_1) | instid1(VALU_DEP_2)
	v_lshlrev_b32_e32 v28, 20, v28
	v_lshl_add_u32 v16, v16, 23, 0x3c000000
	v_and_b32_e32 v28, 0x700000, v28
	s_delay_alu instid0(VALU_DEP_1)
	v_or3_b32 v69, v28, v29, v16
.LBB326_688:                            ;   in Loop: Header=BB326_497 Depth=1
	s_or_b32 exec_lo, exec_lo, s25
.LBB326_689:                            ;   in Loop: Header=BB326_497 Depth=1
	s_delay_alu instid0(SALU_CYCLE_1)
	s_or_b32 exec_lo, exec_lo, s24
.LBB326_690:                            ;   in Loop: Header=BB326_497 Depth=1
	s_delay_alu instid0(SALU_CYCLE_1) | instskip(SKIP_2) | instid1(VALU_DEP_1)
	s_or_b32 exec_lo, exec_lo, s23
	v_lshrrev_b16 v16, 8, v24
	s_mov_b32 s23, exec_lo
	v_cmpx_ne_u16_e32 0, v16
	s_cbranch_execz .LBB326_698
; %bb.691:                              ;   in Loop: Header=BB326_497 Depth=1
	v_bfrev_b32_e32 v70, 1
	s_mov_b32 s24, exec_lo
	v_cmpx_ne_u16_e32 0x80, v16
	s_cbranch_execz .LBB326_697
; %bb.692:                              ;   in Loop: Header=BB326_497 Depth=1
	v_and_b32_e32 v16, 0xffff, v16
	v_mov_b32_e32 v70, 0x7f800001
	s_mov_b32 s25, exec_lo
	s_delay_alu instid0(VALU_DEP_2) | instskip(NEXT) | instid1(VALU_DEP_1)
	v_and_b32_e32 v29, 0x7f, v16
	v_cmpx_ne_u32_e32 0x7f, v29
	s_cbranch_execz .LBB326_696
; %bb.693:                              ;   in Loop: Header=BB326_497 Depth=1
	v_dual_lshrrev_b32 v28, 3, v29 :: v_dual_bitop2_b32 v16, 7, v16 bitop3:0x40
	s_mov_b32 s27, exec_lo
	v_cmpx_gt_u32_e32 8, v29
; %bb.694:                              ;   in Loop: Header=BB326_497 Depth=1
	s_delay_alu instid0(VALU_DEP_2) | instskip(NEXT) | instid1(VALU_DEP_1)
	v_clz_i32_u32_e32 v28, v16
	v_min_u32_e32 v28, 32, v28
	s_delay_alu instid0(VALU_DEP_1) | instskip(NEXT) | instid1(VALU_DEP_1)
	v_subrev_nc_u32_e32 v29, 28, v28
	v_lshlrev_b64_e32 v[70:71], v29, v[16:17]
	s_delay_alu instid0(VALU_DEP_1)
	v_dual_sub_nc_u32 v28, 29, v28 :: v_dual_bitop2_b32 v16, 7, v70 bitop3:0x40
; %bb.695:                              ;   in Loop: Header=BB326_497 Depth=1
	s_or_b32 exec_lo, exec_lo, s27
	v_lshlrev_b32_e32 v29, 16, v24
	s_delay_alu instid0(VALU_DEP_2) | instskip(NEXT) | instid1(VALU_DEP_3)
	v_lshlrev_b32_e32 v16, 20, v16
	v_lshl_add_u32 v28, v28, 23, 0x3c000000
	s_delay_alu instid0(VALU_DEP_3) | instskip(NEXT) | instid1(VALU_DEP_1)
	v_and_b32_e32 v29, 0x80000000, v29
	v_or3_b32 v70, v16, v29, v28
.LBB326_696:                            ;   in Loop: Header=BB326_497 Depth=1
	s_or_b32 exec_lo, exec_lo, s25
.LBB326_697:                            ;   in Loop: Header=BB326_497 Depth=1
	s_delay_alu instid0(SALU_CYCLE_1)
	s_or_b32 exec_lo, exec_lo, s24
.LBB326_698:                            ;   in Loop: Header=BB326_497 Depth=1
	s_delay_alu instid0(SALU_CYCLE_1) | instskip(SKIP_3) | instid1(VALU_DEP_2)
	s_or_b32 exec_lo, exec_lo, s23
	v_dual_mov_b32 v73, 0 :: v_dual_lshrrev_b32 v28, 16, v24
	v_mov_b32_e32 v74, 0
	s_mov_b32 s23, exec_lo
	v_and_b32_e32 v16, 0xff, v28
	s_delay_alu instid0(VALU_DEP_1)
	v_cmpx_ne_u16_e32 0, v16
	s_cbranch_execz .LBB326_706
; %bb.699:                              ;   in Loop: Header=BB326_497 Depth=1
	v_bfrev_b32_e32 v74, 1
	s_mov_b32 s24, exec_lo
	v_cmpx_ne_u16_e32 0x80, v16
	s_cbranch_execz .LBB326_705
; %bb.700:                              ;   in Loop: Header=BB326_497 Depth=1
	v_bfe_u32 v71, v24, 16, 7
	v_mov_b32_e32 v74, 0x7f800001
	s_mov_b32 s25, exec_lo
	s_delay_alu instid0(VALU_DEP_2)
	v_cmpx_ne_u32_e32 0x7f, v71
	s_cbranch_execz .LBB326_704
; %bb.701:                              ;   in Loop: Header=BB326_497 Depth=1
	v_dual_lshrrev_b32 v29, 3, v71 :: v_dual_bitop2_b32 v16, 7, v28 bitop3:0x40
	s_mov_b32 s27, exec_lo
	v_cmpx_gt_u32_e32 8, v71
; %bb.702:                              ;   in Loop: Header=BB326_497 Depth=1
	s_delay_alu instid0(VALU_DEP_2) | instskip(NEXT) | instid1(VALU_DEP_1)
	v_clz_i32_u32_e32 v29, v16
	v_min_u32_e32 v29, 32, v29
	s_delay_alu instid0(VALU_DEP_1) | instskip(NEXT) | instid1(VALU_DEP_1)
	v_subrev_nc_u32_e32 v71, 28, v29
	v_lshlrev_b64_e32 v[74:75], v71, v[16:17]
	s_delay_alu instid0(VALU_DEP_1)
	v_dual_sub_nc_u32 v29, 29, v29 :: v_dual_bitop2_b32 v16, 7, v74 bitop3:0x40
; %bb.703:                              ;   in Loop: Header=BB326_497 Depth=1
	s_or_b32 exec_lo, exec_lo, s27
	v_lshlrev_b32_e32 v28, 24, v28
	s_delay_alu instid0(VALU_DEP_2) | instskip(NEXT) | instid1(VALU_DEP_3)
	v_lshlrev_b32_e32 v16, 20, v16
	v_lshl_add_u32 v29, v29, 23, 0x3c000000
	s_delay_alu instid0(VALU_DEP_3) | instskip(NEXT) | instid1(VALU_DEP_1)
	v_and_b32_e32 v28, 0x80000000, v28
	v_or3_b32 v74, v16, v28, v29
.LBB326_704:                            ;   in Loop: Header=BB326_497 Depth=1
	s_or_b32 exec_lo, exec_lo, s25
.LBB326_705:                            ;   in Loop: Header=BB326_497 Depth=1
	s_delay_alu instid0(SALU_CYCLE_1)
	s_or_b32 exec_lo, exec_lo, s24
.LBB326_706:                            ;   in Loop: Header=BB326_497 Depth=1
	s_delay_alu instid0(SALU_CYCLE_1) | instskip(NEXT) | instid1(SALU_CYCLE_1)
	s_or_b32 exec_lo, exec_lo, s23
	s_mov_b32 s23, exec_lo
	v_cmpx_lt_u32_e32 0xffffff, v24
	s_cbranch_execz .LBB326_714
; %bb.707:                              ;   in Loop: Header=BB326_497 Depth=1
	v_lshrrev_b32_e32 v28, 24, v24
	v_bfrev_b32_e32 v73, 1
	s_mov_b32 s24, exec_lo
	s_delay_alu instid0(VALU_DEP_2)
	v_cmpx_ne_u32_e32 0x80, v28
	s_cbranch_execz .LBB326_713
; %bb.708:                              ;   in Loop: Header=BB326_497 Depth=1
	v_bfe_u32 v71, v24, 24, 7
	v_mov_b32_e32 v73, 0x7f800001
	s_mov_b32 s25, exec_lo
	s_delay_alu instid0(VALU_DEP_2)
	v_cmpx_ne_u32_e32 0x7f, v71
	s_cbranch_execz .LBB326_712
; %bb.709:                              ;   in Loop: Header=BB326_497 Depth=1
	v_dual_lshrrev_b32 v29, 3, v71 :: v_dual_bitop2_b32 v16, 7, v28 bitop3:0x40
	s_mov_b32 s27, exec_lo
	v_cmpx_gt_u32_e32 8, v71
; %bb.710:                              ;   in Loop: Header=BB326_497 Depth=1
	s_delay_alu instid0(VALU_DEP_2) | instskip(NEXT) | instid1(VALU_DEP_1)
	v_clz_i32_u32_e32 v29, v16
	v_min_u32_e32 v29, 32, v29
	s_delay_alu instid0(VALU_DEP_1) | instskip(NEXT) | instid1(VALU_DEP_1)
	v_subrev_nc_u32_e32 v71, 28, v29
	v_lshlrev_b64_e32 v[72:73], v71, v[16:17]
	s_delay_alu instid0(VALU_DEP_1)
	v_dual_sub_nc_u32 v29, 29, v29 :: v_dual_bitop2_b32 v16, 7, v72 bitop3:0x40
; %bb.711:                              ;   in Loop: Header=BB326_497 Depth=1
	s_or_b32 exec_lo, exec_lo, s27
	v_lshlrev_b32_e32 v28, 24, v28
	s_delay_alu instid0(VALU_DEP_2) | instskip(NEXT) | instid1(VALU_DEP_3)
	v_lshlrev_b32_e32 v16, 20, v16
	v_lshl_add_u32 v29, v29, 23, 0x3c000000
	s_delay_alu instid0(VALU_DEP_3) | instskip(NEXT) | instid1(VALU_DEP_1)
	v_and_b32_e32 v28, 0x80000000, v28
	v_or3_b32 v73, v16, v28, v29
.LBB326_712:                            ;   in Loop: Header=BB326_497 Depth=1
	s_or_b32 exec_lo, exec_lo, s25
.LBB326_713:                            ;   in Loop: Header=BB326_497 Depth=1
	s_delay_alu instid0(SALU_CYCLE_1)
	s_or_b32 exec_lo, exec_lo, s24
.LBB326_714:                            ;   in Loop: Header=BB326_497 Depth=1
	s_delay_alu instid0(SALU_CYCLE_1) | instskip(SKIP_4) | instid1(VALU_DEP_3)
	s_or_b32 exec_lo, exec_lo, s23
	v_and_b32_e32 v29, 0xff, v25
	v_dual_mov_b32 v16, v25 :: v_dual_mov_b32 v28, 0
	v_mov_b32_e32 v72, 0
	s_mov_b32 s23, exec_lo
	v_cmpx_ne_u16_e32 0, v29
	s_cbranch_execz .LBB326_720
; %bb.715:                              ;   in Loop: Header=BB326_497 Depth=1
	v_bfrev_b32_e32 v72, 1
	s_mov_b32 s24, exec_lo
	v_cmpx_ne_u16_e32 0x80, v29
	s_cbranch_execz .LBB326_719
; %bb.716:                              ;   in Loop: Header=BB326_497 Depth=1
	v_and_b32_e32 v29, 0x7f, v25
	v_mov_b32_e32 v72, 0x7f800001
	s_mov_b32 s25, exec_lo
	s_delay_alu instid0(VALU_DEP_2)
	v_cmpx_ne_u32_e32 0x7f, v29
	s_cbranch_execz .LBB326_718
; %bb.717:                              ;   in Loop: Header=BB326_497 Depth=1
	v_and_b32_e32 v71, 7, v25
	v_cmp_gt_u32_e64 s0, 8, v29
	s_delay_alu instid0(VALU_DEP_2) | instskip(NEXT) | instid1(VALU_DEP_1)
	v_clz_i32_u32_e32 v71, v71
	v_min_u32_e32 v71, 32, v71
	v_lshrrev_b32_e32 v72, 3, v29
	s_delay_alu instid0(VALU_DEP_2) | instskip(SKIP_1) | instid1(VALU_DEP_1)
	v_subrev_nc_u32_e32 v75, 28, v71
	v_sub_nc_u32_e32 v71, 29, v71
	v_cndmask_b32_e64 v29, v72, v71, s0
	s_delay_alu instid0(VALU_DEP_3) | instskip(NEXT) | instid1(VALU_DEP_1)
	v_cndmask_b32_e64 v71, 0, v75, s0
	v_lshlrev_b64_e32 v[76:77], v71, v[16:17]
	v_lshlrev_b32_e32 v71, 24, v16
	s_delay_alu instid0(VALU_DEP_4) | instskip(NEXT) | instid1(VALU_DEP_2)
	v_lshl_add_u32 v29, v29, 23, 0x3c000000
	v_and_b32_e32 v71, 0x80000000, v71
	s_delay_alu instid0(VALU_DEP_4) | instskip(NEXT) | instid1(VALU_DEP_1)
	v_lshlrev_b32_e32 v72, 20, v76
	v_and_b32_e32 v72, 0x700000, v72
	s_delay_alu instid0(VALU_DEP_1)
	v_or3_b32 v72, v72, v71, v29
.LBB326_718:                            ;   in Loop: Header=BB326_497 Depth=1
	s_or_b32 exec_lo, exec_lo, s25
.LBB326_719:                            ;   in Loop: Header=BB326_497 Depth=1
	s_delay_alu instid0(SALU_CYCLE_1)
	s_or_b32 exec_lo, exec_lo, s24
.LBB326_720:                            ;   in Loop: Header=BB326_497 Depth=1
	s_delay_alu instid0(SALU_CYCLE_1) | instskip(SKIP_2) | instid1(VALU_DEP_1)
	s_or_b32 exec_lo, exec_lo, s23
	v_lshrrev_b16 v29, 8, v16
	s_mov_b32 s23, exec_lo
	v_cmpx_ne_u16_e32 0, v29
	s_cbranch_execz .LBB326_728
; %bb.721:                              ;   in Loop: Header=BB326_497 Depth=1
	v_bfrev_b32_e32 v28, 1
	s_mov_b32 s24, exec_lo
	v_cmpx_ne_u16_e32 0x80, v29
	s_cbranch_execz .LBB326_727
; %bb.722:                              ;   in Loop: Header=BB326_497 Depth=1
	v_and_b32_e32 v29, 0xffff, v29
	v_mov_b32_e32 v28, 0x7f800001
	s_mov_b32 s25, exec_lo
	s_delay_alu instid0(VALU_DEP_2) | instskip(NEXT) | instid1(VALU_DEP_1)
	v_and_b32_e32 v75, 0x7f, v29
	v_cmpx_ne_u32_e32 0x7f, v75
	s_cbranch_execz .LBB326_726
; %bb.723:                              ;   in Loop: Header=BB326_497 Depth=1
	v_dual_mov_b32 v29, v17 :: v_dual_bitop2_b32 v28, 7, v29 bitop3:0x40
	v_lshrrev_b32_e32 v71, 3, v75
	s_mov_b32 s27, exec_lo
	v_cmpx_gt_u32_e32 8, v75
; %bb.724:                              ;   in Loop: Header=BB326_497 Depth=1
	s_delay_alu instid0(VALU_DEP_3) | instskip(NEXT) | instid1(VALU_DEP_1)
	v_clz_i32_u32_e32 v71, v28
	v_min_u32_e32 v71, 32, v71
	s_delay_alu instid0(VALU_DEP_1) | instskip(NEXT) | instid1(VALU_DEP_1)
	v_subrev_nc_u32_e32 v75, 28, v71
	v_lshlrev_b64_e32 v[28:29], v75, v[28:29]
	s_delay_alu instid0(VALU_DEP_1)
	v_dual_sub_nc_u32 v71, 29, v71 :: v_dual_bitop2_b32 v28, 7, v28 bitop3:0x40
; %bb.725:                              ;   in Loop: Header=BB326_497 Depth=1
	s_or_b32 exec_lo, exec_lo, s27
	v_lshlrev_b32_e32 v16, 16, v16
	s_delay_alu instid0(VALU_DEP_2) | instskip(NEXT) | instid1(VALU_DEP_3)
	v_lshlrev_b32_e32 v28, 20, v28
	v_lshl_add_u32 v29, v71, 23, 0x3c000000
	s_delay_alu instid0(VALU_DEP_3) | instskip(NEXT) | instid1(VALU_DEP_1)
	v_and_b32_e32 v16, 0x80000000, v16
	v_or3_b32 v28, v28, v16, v29
.LBB326_726:                            ;   in Loop: Header=BB326_497 Depth=1
	s_or_b32 exec_lo, exec_lo, s25
.LBB326_727:                            ;   in Loop: Header=BB326_497 Depth=1
	s_delay_alu instid0(SALU_CYCLE_1)
	s_or_b32 exec_lo, exec_lo, s24
.LBB326_728:                            ;   in Loop: Header=BB326_497 Depth=1
	s_delay_alu instid0(SALU_CYCLE_1) | instskip(SKIP_3) | instid1(VALU_DEP_2)
	s_or_b32 exec_lo, exec_lo, s23
	v_dual_lshrrev_b32 v71, 16, v25 :: v_dual_mov_b32 v29, 0
	v_mov_b32_e32 v77, 0
	s_mov_b32 s23, exec_lo
	v_and_b32_e32 v16, 0xff, v71
	s_delay_alu instid0(VALU_DEP_1)
	v_cmpx_ne_u16_e32 0, v16
	s_cbranch_execz .LBB326_736
; %bb.729:                              ;   in Loop: Header=BB326_497 Depth=1
	v_bfrev_b32_e32 v77, 1
	s_mov_b32 s24, exec_lo
	v_cmpx_ne_u16_e32 0x80, v16
	s_cbranch_execz .LBB326_735
; %bb.730:                              ;   in Loop: Header=BB326_497 Depth=1
	v_bfe_u32 v76, v25, 16, 7
	v_mov_b32_e32 v77, 0x7f800001
	s_mov_b32 s25, exec_lo
	s_delay_alu instid0(VALU_DEP_2)
	v_cmpx_ne_u32_e32 0x7f, v76
	s_cbranch_execz .LBB326_734
; %bb.731:                              ;   in Loop: Header=BB326_497 Depth=1
	v_dual_lshrrev_b32 v75, 3, v76 :: v_dual_bitop2_b32 v16, 7, v71 bitop3:0x40
	s_mov_b32 s27, exec_lo
	v_cmpx_gt_u32_e32 8, v76
; %bb.732:                              ;   in Loop: Header=BB326_497 Depth=1
	s_delay_alu instid0(VALU_DEP_2) | instskip(NEXT) | instid1(VALU_DEP_1)
	v_clz_i32_u32_e32 v75, v16
	v_min_u32_e32 v75, 32, v75
	s_delay_alu instid0(VALU_DEP_1) | instskip(NEXT) | instid1(VALU_DEP_1)
	v_subrev_nc_u32_e32 v76, 28, v75
	v_lshlrev_b64_e32 v[76:77], v76, v[16:17]
	s_delay_alu instid0(VALU_DEP_1)
	v_dual_sub_nc_u32 v75, 29, v75 :: v_dual_bitop2_b32 v16, 7, v76 bitop3:0x40
; %bb.733:                              ;   in Loop: Header=BB326_497 Depth=1
	s_or_b32 exec_lo, exec_lo, s27
	s_delay_alu instid0(VALU_DEP_1) | instskip(NEXT) | instid1(VALU_DEP_2)
	v_dual_lshlrev_b32 v71, 24, v71 :: v_dual_lshlrev_b32 v16, 20, v16
	v_lshl_add_u32 v75, v75, 23, 0x3c000000
	s_delay_alu instid0(VALU_DEP_2) | instskip(NEXT) | instid1(VALU_DEP_1)
	v_and_b32_e32 v71, 0x80000000, v71
	v_or3_b32 v77, v16, v71, v75
.LBB326_734:                            ;   in Loop: Header=BB326_497 Depth=1
	s_or_b32 exec_lo, exec_lo, s25
.LBB326_735:                            ;   in Loop: Header=BB326_497 Depth=1
	s_delay_alu instid0(SALU_CYCLE_1)
	s_or_b32 exec_lo, exec_lo, s24
.LBB326_736:                            ;   in Loop: Header=BB326_497 Depth=1
	s_delay_alu instid0(SALU_CYCLE_1) | instskip(NEXT) | instid1(SALU_CYCLE_1)
	s_or_b32 exec_lo, exec_lo, s23
	s_mov_b32 s23, exec_lo
	v_cmpx_lt_u64_e64 s[2:3], v[24:25]
	s_cbranch_execz .LBB326_744
; %bb.737:                              ;   in Loop: Header=BB326_497 Depth=1
	v_lshrrev_b32_e32 v24, 24, v25
	v_bfrev_b32_e32 v29, 1
	s_mov_b32 s24, exec_lo
	s_delay_alu instid0(VALU_DEP_2)
	v_cmpx_ne_u32_e32 0x80, v24
	s_cbranch_execz .LBB326_743
; %bb.738:                              ;   in Loop: Header=BB326_497 Depth=1
	v_bfe_u32 v71, v25, 24, 7
	v_mov_b32_e32 v29, 0x7f800001
	s_mov_b32 s25, exec_lo
	s_delay_alu instid0(VALU_DEP_2)
	v_cmpx_ne_u32_e32 0x7f, v71
	s_cbranch_execz .LBB326_742
; %bb.739:                              ;   in Loop: Header=BB326_497 Depth=1
	v_dual_lshrrev_b32 v25, 3, v71 :: v_dual_bitop2_b32 v16, 7, v24 bitop3:0x40
	s_mov_b32 s27, exec_lo
	v_cmpx_gt_u32_e32 8, v71
; %bb.740:                              ;   in Loop: Header=BB326_497 Depth=1
	s_delay_alu instid0(VALU_DEP_2) | instskip(NEXT) | instid1(VALU_DEP_1)
	v_clz_i32_u32_e32 v25, v16
	v_min_u32_e32 v25, 32, v25
	s_delay_alu instid0(VALU_DEP_1) | instskip(NEXT) | instid1(VALU_DEP_1)
	v_subrev_nc_u32_e32 v29, 28, v25
	v_lshlrev_b64_e32 v[78:79], v29, v[16:17]
	s_delay_alu instid0(VALU_DEP_1)
	v_dual_sub_nc_u32 v25, 29, v25 :: v_dual_bitop2_b32 v16, 7, v78 bitop3:0x40
; %bb.741:                              ;   in Loop: Header=BB326_497 Depth=1
	s_or_b32 exec_lo, exec_lo, s27
	v_lshlrev_b32_e32 v24, 24, v24
	s_delay_alu instid0(VALU_DEP_2) | instskip(NEXT) | instid1(VALU_DEP_3)
	v_lshlrev_b32_e32 v16, 20, v16
	v_lshl_add_u32 v25, v25, 23, 0x3c000000
	s_delay_alu instid0(VALU_DEP_3) | instskip(NEXT) | instid1(VALU_DEP_1)
	v_and_b32_e32 v24, 0x80000000, v24
	v_or3_b32 v29, v16, v24, v25
.LBB326_742:                            ;   in Loop: Header=BB326_497 Depth=1
	s_or_b32 exec_lo, exec_lo, s25
.LBB326_743:                            ;   in Loop: Header=BB326_497 Depth=1
	s_delay_alu instid0(SALU_CYCLE_1)
	s_or_b32 exec_lo, exec_lo, s24
.LBB326_744:                            ;   in Loop: Header=BB326_497 Depth=1
	s_delay_alu instid0(SALU_CYCLE_1)
	s_or_b32 exec_lo, exec_lo, s23
	v_fma_mixlo_bf16 v71, s22, v28, 0
	v_fma_mixlo_bf16 v72, s22, v72, 0
	;; [unrolled: 1-line block ×8, first 2 shown]
	s_and_saveexec_b32 s23, vcc_lo
	s_cbranch_execz .LBB326_746
; %bb.745:                              ;   in Loop: Header=BB326_497 Depth=1
	v_cmp_gt_i32_e64 s0, s34, v45
	s_delay_alu instid0(VALU_DEP_1) | instskip(SKIP_1) | instid1(VALU_DEP_1)
	v_cndmask_b32_e64 v76, 0, v76, s0
	v_cmp_gt_i32_e64 s0, s34, v52
	v_cndmask_b32_e64 v75, 0, v75, s0
	v_cmp_gt_i32_e64 s0, s34, v51
	s_delay_alu instid0(VALU_DEP_1) | instskip(SKIP_1) | instid1(VALU_DEP_1)
	v_cndmask_b32_e64 v74, 0, v74, s0
	v_cmp_gt_i32_e64 s0, s34, v50
	v_cndmask_b32_e64 v73, 0, v73, s0
	;; [unrolled: 5-line block ×4, first 2 shown]
.LBB326_746:                            ;   in Loop: Header=BB326_497 Depth=1
	s_or_b32 exec_lo, exec_lo, s23
	global_load_b64 v[24:25], v[22:23], off offset:1024
	v_dual_mov_b32 v78, 0 :: v_dual_mov_b32 v77, 0
	s_mov_b32 s23, exec_lo
	s_wait_loadcnt 0x0
	v_and_b32_e32 v16, 0xff, v24
	s_delay_alu instid0(VALU_DEP_1)
	v_cmpx_ne_u16_e32 0, v16
	s_cbranch_execz .LBB326_752
; %bb.747:                              ;   in Loop: Header=BB326_497 Depth=1
	v_bfrev_b32_e32 v77, 1
	s_mov_b32 s24, exec_lo
	v_cmpx_ne_u16_e32 0x80, v16
	s_cbranch_execz .LBB326_751
; %bb.748:                              ;   in Loop: Header=BB326_497 Depth=1
	v_and_b32_e32 v16, 0x7f, v24
	v_mov_b32_e32 v77, 0x7f800001
	s_mov_b32 s25, exec_lo
	s_delay_alu instid0(VALU_DEP_2)
	v_cmpx_ne_u32_e32 0x7f, v16
	s_cbranch_execz .LBB326_750
; %bb.749:                              ;   in Loop: Header=BB326_497 Depth=1
	v_and_b32_e32 v28, 7, v24
	v_cmp_gt_u32_e64 s0, 8, v16
	s_delay_alu instid0(VALU_DEP_2) | instskip(NEXT) | instid1(VALU_DEP_1)
	v_clz_i32_u32_e32 v28, v28
	v_min_u32_e32 v28, 32, v28
	s_delay_alu instid0(VALU_DEP_1) | instskip(SKIP_2) | instid1(VALU_DEP_1)
	v_subrev_nc_u32_e32 v77, 28, v28
	v_lshrrev_b32_e32 v29, 3, v16
	v_sub_nc_u32_e32 v28, 29, v28
	v_dual_cndmask_b32 v16, v29, v28, s0 :: v_dual_cndmask_b32 v28, 0, v77, s0
	s_delay_alu instid0(VALU_DEP_1) | instskip(SKIP_1) | instid1(VALU_DEP_1)
	v_lshlrev_b64_e32 v[28:29], v28, v[24:25]
	v_lshlrev_b32_e32 v29, 24, v24
	v_and_b32_e32 v29, 0x80000000, v29
	s_delay_alu instid0(VALU_DEP_3) | instskip(SKIP_1) | instid1(VALU_DEP_2)
	v_lshlrev_b32_e32 v28, 20, v28
	v_lshl_add_u32 v16, v16, 23, 0x3c000000
	v_and_b32_e32 v28, 0x700000, v28
	s_delay_alu instid0(VALU_DEP_1)
	v_or3_b32 v77, v28, v29, v16
.LBB326_750:                            ;   in Loop: Header=BB326_497 Depth=1
	s_or_b32 exec_lo, exec_lo, s25
.LBB326_751:                            ;   in Loop: Header=BB326_497 Depth=1
	s_delay_alu instid0(SALU_CYCLE_1)
	s_or_b32 exec_lo, exec_lo, s24
.LBB326_752:                            ;   in Loop: Header=BB326_497 Depth=1
	s_delay_alu instid0(SALU_CYCLE_1) | instskip(SKIP_2) | instid1(VALU_DEP_1)
	s_or_b32 exec_lo, exec_lo, s23
	v_lshrrev_b16 v16, 8, v24
	s_mov_b32 s23, exec_lo
	v_cmpx_ne_u16_e32 0, v16
	s_cbranch_execz .LBB326_760
; %bb.753:                              ;   in Loop: Header=BB326_497 Depth=1
	v_bfrev_b32_e32 v78, 1
	s_mov_b32 s24, exec_lo
	v_cmpx_ne_u16_e32 0x80, v16
	s_cbranch_execz .LBB326_759
; %bb.754:                              ;   in Loop: Header=BB326_497 Depth=1
	v_and_b32_e32 v16, 0xffff, v16
	v_mov_b32_e32 v78, 0x7f800001
	s_mov_b32 s25, exec_lo
	s_delay_alu instid0(VALU_DEP_2) | instskip(NEXT) | instid1(VALU_DEP_1)
	v_and_b32_e32 v29, 0x7f, v16
	v_cmpx_ne_u32_e32 0x7f, v29
	s_cbranch_execz .LBB326_758
; %bb.755:                              ;   in Loop: Header=BB326_497 Depth=1
	v_dual_lshrrev_b32 v28, 3, v29 :: v_dual_bitop2_b32 v16, 7, v16 bitop3:0x40
	s_mov_b32 s27, exec_lo
	v_cmpx_gt_u32_e32 8, v29
; %bb.756:                              ;   in Loop: Header=BB326_497 Depth=1
	s_delay_alu instid0(VALU_DEP_2) | instskip(NEXT) | instid1(VALU_DEP_1)
	v_clz_i32_u32_e32 v28, v16
	v_min_u32_e32 v28, 32, v28
	s_delay_alu instid0(VALU_DEP_1) | instskip(NEXT) | instid1(VALU_DEP_1)
	v_subrev_nc_u32_e32 v29, 28, v28
	v_lshlrev_b64_e32 v[78:79], v29, v[16:17]
	s_delay_alu instid0(VALU_DEP_1)
	v_dual_sub_nc_u32 v28, 29, v28 :: v_dual_bitop2_b32 v16, 7, v78 bitop3:0x40
; %bb.757:                              ;   in Loop: Header=BB326_497 Depth=1
	s_or_b32 exec_lo, exec_lo, s27
	v_lshlrev_b32_e32 v29, 16, v24
	s_delay_alu instid0(VALU_DEP_2) | instskip(NEXT) | instid1(VALU_DEP_3)
	v_lshlrev_b32_e32 v16, 20, v16
	v_lshl_add_u32 v28, v28, 23, 0x3c000000
	s_delay_alu instid0(VALU_DEP_3) | instskip(NEXT) | instid1(VALU_DEP_1)
	v_and_b32_e32 v29, 0x80000000, v29
	v_or3_b32 v78, v16, v29, v28
.LBB326_758:                            ;   in Loop: Header=BB326_497 Depth=1
	s_or_b32 exec_lo, exec_lo, s25
.LBB326_759:                            ;   in Loop: Header=BB326_497 Depth=1
	s_delay_alu instid0(SALU_CYCLE_1)
	s_or_b32 exec_lo, exec_lo, s24
.LBB326_760:                            ;   in Loop: Header=BB326_497 Depth=1
	s_delay_alu instid0(SALU_CYCLE_1) | instskip(SKIP_3) | instid1(VALU_DEP_2)
	s_or_b32 exec_lo, exec_lo, s23
	v_dual_mov_b32 v81, 0 :: v_dual_lshrrev_b32 v28, 16, v24
	v_mov_b32_e32 v82, 0
	s_mov_b32 s23, exec_lo
	v_and_b32_e32 v16, 0xff, v28
	s_delay_alu instid0(VALU_DEP_1)
	v_cmpx_ne_u16_e32 0, v16
	s_cbranch_execz .LBB326_768
; %bb.761:                              ;   in Loop: Header=BB326_497 Depth=1
	v_bfrev_b32_e32 v82, 1
	s_mov_b32 s24, exec_lo
	v_cmpx_ne_u16_e32 0x80, v16
	s_cbranch_execz .LBB326_767
; %bb.762:                              ;   in Loop: Header=BB326_497 Depth=1
	v_bfe_u32 v79, v24, 16, 7
	v_mov_b32_e32 v82, 0x7f800001
	s_mov_b32 s25, exec_lo
	s_delay_alu instid0(VALU_DEP_2)
	v_cmpx_ne_u32_e32 0x7f, v79
	s_cbranch_execz .LBB326_766
; %bb.763:                              ;   in Loop: Header=BB326_497 Depth=1
	v_dual_lshrrev_b32 v29, 3, v79 :: v_dual_bitop2_b32 v16, 7, v28 bitop3:0x40
	s_mov_b32 s27, exec_lo
	v_cmpx_gt_u32_e32 8, v79
; %bb.764:                              ;   in Loop: Header=BB326_497 Depth=1
	s_delay_alu instid0(VALU_DEP_2) | instskip(NEXT) | instid1(VALU_DEP_1)
	v_clz_i32_u32_e32 v29, v16
	v_min_u32_e32 v29, 32, v29
	s_delay_alu instid0(VALU_DEP_1) | instskip(NEXT) | instid1(VALU_DEP_1)
	v_subrev_nc_u32_e32 v79, 28, v29
	v_lshlrev_b64_e32 v[82:83], v79, v[16:17]
	s_delay_alu instid0(VALU_DEP_1)
	v_dual_sub_nc_u32 v29, 29, v29 :: v_dual_bitop2_b32 v16, 7, v82 bitop3:0x40
; %bb.765:                              ;   in Loop: Header=BB326_497 Depth=1
	s_or_b32 exec_lo, exec_lo, s27
	v_lshlrev_b32_e32 v28, 24, v28
	s_delay_alu instid0(VALU_DEP_2) | instskip(NEXT) | instid1(VALU_DEP_3)
	v_lshlrev_b32_e32 v16, 20, v16
	v_lshl_add_u32 v29, v29, 23, 0x3c000000
	s_delay_alu instid0(VALU_DEP_3) | instskip(NEXT) | instid1(VALU_DEP_1)
	v_and_b32_e32 v28, 0x80000000, v28
	v_or3_b32 v82, v16, v28, v29
.LBB326_766:                            ;   in Loop: Header=BB326_497 Depth=1
	s_or_b32 exec_lo, exec_lo, s25
.LBB326_767:                            ;   in Loop: Header=BB326_497 Depth=1
	s_delay_alu instid0(SALU_CYCLE_1)
	s_or_b32 exec_lo, exec_lo, s24
.LBB326_768:                            ;   in Loop: Header=BB326_497 Depth=1
	s_delay_alu instid0(SALU_CYCLE_1) | instskip(NEXT) | instid1(SALU_CYCLE_1)
	s_or_b32 exec_lo, exec_lo, s23
	s_mov_b32 s23, exec_lo
	v_cmpx_lt_u32_e32 0xffffff, v24
	s_cbranch_execz .LBB326_776
; %bb.769:                              ;   in Loop: Header=BB326_497 Depth=1
	v_lshrrev_b32_e32 v28, 24, v24
	v_bfrev_b32_e32 v81, 1
	s_mov_b32 s24, exec_lo
	s_delay_alu instid0(VALU_DEP_2)
	v_cmpx_ne_u32_e32 0x80, v28
	s_cbranch_execz .LBB326_775
; %bb.770:                              ;   in Loop: Header=BB326_497 Depth=1
	v_bfe_u32 v79, v24, 24, 7
	v_mov_b32_e32 v81, 0x7f800001
	s_mov_b32 s25, exec_lo
	s_delay_alu instid0(VALU_DEP_2)
	v_cmpx_ne_u32_e32 0x7f, v79
	s_cbranch_execz .LBB326_774
; %bb.771:                              ;   in Loop: Header=BB326_497 Depth=1
	v_dual_lshrrev_b32 v29, 3, v79 :: v_dual_bitop2_b32 v16, 7, v28 bitop3:0x40
	s_mov_b32 s27, exec_lo
	v_cmpx_gt_u32_e32 8, v79
; %bb.772:                              ;   in Loop: Header=BB326_497 Depth=1
	s_delay_alu instid0(VALU_DEP_2) | instskip(NEXT) | instid1(VALU_DEP_1)
	v_clz_i32_u32_e32 v29, v16
	v_min_u32_e32 v29, 32, v29
	s_delay_alu instid0(VALU_DEP_1) | instskip(NEXT) | instid1(VALU_DEP_1)
	v_subrev_nc_u32_e32 v79, 28, v29
	v_lshlrev_b64_e32 v[80:81], v79, v[16:17]
	s_delay_alu instid0(VALU_DEP_1)
	v_dual_sub_nc_u32 v29, 29, v29 :: v_dual_bitop2_b32 v16, 7, v80 bitop3:0x40
; %bb.773:                              ;   in Loop: Header=BB326_497 Depth=1
	s_or_b32 exec_lo, exec_lo, s27
	v_lshlrev_b32_e32 v28, 24, v28
	s_delay_alu instid0(VALU_DEP_2) | instskip(NEXT) | instid1(VALU_DEP_3)
	v_lshlrev_b32_e32 v16, 20, v16
	v_lshl_add_u32 v29, v29, 23, 0x3c000000
	s_delay_alu instid0(VALU_DEP_3) | instskip(NEXT) | instid1(VALU_DEP_1)
	v_and_b32_e32 v28, 0x80000000, v28
	v_or3_b32 v81, v16, v28, v29
.LBB326_774:                            ;   in Loop: Header=BB326_497 Depth=1
	s_or_b32 exec_lo, exec_lo, s25
.LBB326_775:                            ;   in Loop: Header=BB326_497 Depth=1
	s_delay_alu instid0(SALU_CYCLE_1)
	s_or_b32 exec_lo, exec_lo, s24
.LBB326_776:                            ;   in Loop: Header=BB326_497 Depth=1
	s_delay_alu instid0(SALU_CYCLE_1) | instskip(SKIP_4) | instid1(VALU_DEP_3)
	s_or_b32 exec_lo, exec_lo, s23
	v_and_b32_e32 v29, 0xff, v25
	v_dual_mov_b32 v16, v25 :: v_dual_mov_b32 v28, 0
	v_mov_b32_e32 v80, 0
	s_mov_b32 s23, exec_lo
	v_cmpx_ne_u16_e32 0, v29
	s_cbranch_execz .LBB326_782
; %bb.777:                              ;   in Loop: Header=BB326_497 Depth=1
	v_bfrev_b32_e32 v80, 1
	s_mov_b32 s24, exec_lo
	v_cmpx_ne_u16_e32 0x80, v29
	s_cbranch_execz .LBB326_781
; %bb.778:                              ;   in Loop: Header=BB326_497 Depth=1
	v_and_b32_e32 v29, 0x7f, v25
	v_mov_b32_e32 v80, 0x7f800001
	s_mov_b32 s25, exec_lo
	s_delay_alu instid0(VALU_DEP_2)
	v_cmpx_ne_u32_e32 0x7f, v29
	s_cbranch_execz .LBB326_780
; %bb.779:                              ;   in Loop: Header=BB326_497 Depth=1
	v_and_b32_e32 v79, 7, v25
	v_cmp_gt_u32_e64 s0, 8, v29
	s_delay_alu instid0(VALU_DEP_2) | instskip(NEXT) | instid1(VALU_DEP_1)
	v_clz_i32_u32_e32 v79, v79
	v_min_u32_e32 v79, 32, v79
	v_lshrrev_b32_e32 v80, 3, v29
	s_delay_alu instid0(VALU_DEP_2) | instskip(SKIP_1) | instid1(VALU_DEP_1)
	v_subrev_nc_u32_e32 v83, 28, v79
	v_sub_nc_u32_e32 v79, 29, v79
	v_cndmask_b32_e64 v29, v80, v79, s0
	s_delay_alu instid0(VALU_DEP_3) | instskip(NEXT) | instid1(VALU_DEP_1)
	v_cndmask_b32_e64 v79, 0, v83, s0
	v_lshlrev_b64_e32 v[84:85], v79, v[16:17]
	v_lshlrev_b32_e32 v79, 24, v16
	s_delay_alu instid0(VALU_DEP_4) | instskip(NEXT) | instid1(VALU_DEP_2)
	v_lshl_add_u32 v29, v29, 23, 0x3c000000
	v_and_b32_e32 v79, 0x80000000, v79
	s_delay_alu instid0(VALU_DEP_4) | instskip(NEXT) | instid1(VALU_DEP_1)
	v_lshlrev_b32_e32 v80, 20, v84
	v_and_b32_e32 v80, 0x700000, v80
	s_delay_alu instid0(VALU_DEP_1)
	v_or3_b32 v80, v80, v79, v29
.LBB326_780:                            ;   in Loop: Header=BB326_497 Depth=1
	s_or_b32 exec_lo, exec_lo, s25
.LBB326_781:                            ;   in Loop: Header=BB326_497 Depth=1
	s_delay_alu instid0(SALU_CYCLE_1)
	s_or_b32 exec_lo, exec_lo, s24
.LBB326_782:                            ;   in Loop: Header=BB326_497 Depth=1
	s_delay_alu instid0(SALU_CYCLE_1) | instskip(SKIP_2) | instid1(VALU_DEP_1)
	s_or_b32 exec_lo, exec_lo, s23
	v_lshrrev_b16 v29, 8, v16
	s_mov_b32 s23, exec_lo
	v_cmpx_ne_u16_e32 0, v29
	s_cbranch_execz .LBB326_790
; %bb.783:                              ;   in Loop: Header=BB326_497 Depth=1
	v_bfrev_b32_e32 v28, 1
	s_mov_b32 s24, exec_lo
	v_cmpx_ne_u16_e32 0x80, v29
	s_cbranch_execz .LBB326_789
; %bb.784:                              ;   in Loop: Header=BB326_497 Depth=1
	v_and_b32_e32 v29, 0xffff, v29
	v_mov_b32_e32 v28, 0x7f800001
	s_mov_b32 s25, exec_lo
	s_delay_alu instid0(VALU_DEP_2) | instskip(NEXT) | instid1(VALU_DEP_1)
	v_and_b32_e32 v83, 0x7f, v29
	v_cmpx_ne_u32_e32 0x7f, v83
	s_cbranch_execz .LBB326_788
; %bb.785:                              ;   in Loop: Header=BB326_497 Depth=1
	v_dual_mov_b32 v29, v17 :: v_dual_bitop2_b32 v28, 7, v29 bitop3:0x40
	v_lshrrev_b32_e32 v79, 3, v83
	s_mov_b32 s27, exec_lo
	v_cmpx_gt_u32_e32 8, v83
; %bb.786:                              ;   in Loop: Header=BB326_497 Depth=1
	s_delay_alu instid0(VALU_DEP_3) | instskip(NEXT) | instid1(VALU_DEP_1)
	v_clz_i32_u32_e32 v79, v28
	v_min_u32_e32 v79, 32, v79
	s_delay_alu instid0(VALU_DEP_1) | instskip(NEXT) | instid1(VALU_DEP_1)
	v_subrev_nc_u32_e32 v83, 28, v79
	v_lshlrev_b64_e32 v[28:29], v83, v[28:29]
	s_delay_alu instid0(VALU_DEP_1)
	v_dual_sub_nc_u32 v79, 29, v79 :: v_dual_bitop2_b32 v28, 7, v28 bitop3:0x40
; %bb.787:                              ;   in Loop: Header=BB326_497 Depth=1
	s_or_b32 exec_lo, exec_lo, s27
	v_lshlrev_b32_e32 v16, 16, v16
	s_delay_alu instid0(VALU_DEP_2) | instskip(NEXT) | instid1(VALU_DEP_3)
	v_lshlrev_b32_e32 v28, 20, v28
	v_lshl_add_u32 v29, v79, 23, 0x3c000000
	s_delay_alu instid0(VALU_DEP_3) | instskip(NEXT) | instid1(VALU_DEP_1)
	v_and_b32_e32 v16, 0x80000000, v16
	v_or3_b32 v28, v28, v16, v29
.LBB326_788:                            ;   in Loop: Header=BB326_497 Depth=1
	s_or_b32 exec_lo, exec_lo, s25
.LBB326_789:                            ;   in Loop: Header=BB326_497 Depth=1
	s_delay_alu instid0(SALU_CYCLE_1)
	s_or_b32 exec_lo, exec_lo, s24
.LBB326_790:                            ;   in Loop: Header=BB326_497 Depth=1
	s_delay_alu instid0(SALU_CYCLE_1) | instskip(SKIP_3) | instid1(VALU_DEP_2)
	s_or_b32 exec_lo, exec_lo, s23
	v_dual_lshrrev_b32 v79, 16, v25 :: v_dual_mov_b32 v29, 0
	v_mov_b32_e32 v85, 0
	s_mov_b32 s23, exec_lo
	v_and_b32_e32 v16, 0xff, v79
	s_delay_alu instid0(VALU_DEP_1)
	v_cmpx_ne_u16_e32 0, v16
	s_cbranch_execz .LBB326_798
; %bb.791:                              ;   in Loop: Header=BB326_497 Depth=1
	v_bfrev_b32_e32 v85, 1
	s_mov_b32 s24, exec_lo
	v_cmpx_ne_u16_e32 0x80, v16
	s_cbranch_execz .LBB326_797
; %bb.792:                              ;   in Loop: Header=BB326_497 Depth=1
	v_bfe_u32 v84, v25, 16, 7
	v_mov_b32_e32 v85, 0x7f800001
	s_mov_b32 s25, exec_lo
	s_delay_alu instid0(VALU_DEP_2)
	v_cmpx_ne_u32_e32 0x7f, v84
	s_cbranch_execz .LBB326_796
; %bb.793:                              ;   in Loop: Header=BB326_497 Depth=1
	v_dual_lshrrev_b32 v83, 3, v84 :: v_dual_bitop2_b32 v16, 7, v79 bitop3:0x40
	s_mov_b32 s27, exec_lo
	v_cmpx_gt_u32_e32 8, v84
; %bb.794:                              ;   in Loop: Header=BB326_497 Depth=1
	s_delay_alu instid0(VALU_DEP_2) | instskip(NEXT) | instid1(VALU_DEP_1)
	v_clz_i32_u32_e32 v83, v16
	v_min_u32_e32 v83, 32, v83
	s_delay_alu instid0(VALU_DEP_1) | instskip(NEXT) | instid1(VALU_DEP_1)
	v_subrev_nc_u32_e32 v84, 28, v83
	v_lshlrev_b64_e32 v[84:85], v84, v[16:17]
	s_delay_alu instid0(VALU_DEP_1)
	v_dual_sub_nc_u32 v83, 29, v83 :: v_dual_bitop2_b32 v16, 7, v84 bitop3:0x40
; %bb.795:                              ;   in Loop: Header=BB326_497 Depth=1
	s_or_b32 exec_lo, exec_lo, s27
	s_delay_alu instid0(VALU_DEP_1) | instskip(NEXT) | instid1(VALU_DEP_2)
	v_dual_lshlrev_b32 v79, 24, v79 :: v_dual_lshlrev_b32 v16, 20, v16
	v_lshl_add_u32 v83, v83, 23, 0x3c000000
	s_delay_alu instid0(VALU_DEP_2) | instskip(NEXT) | instid1(VALU_DEP_1)
	v_and_b32_e32 v79, 0x80000000, v79
	v_or3_b32 v85, v16, v79, v83
.LBB326_796:                            ;   in Loop: Header=BB326_497 Depth=1
	s_or_b32 exec_lo, exec_lo, s25
.LBB326_797:                            ;   in Loop: Header=BB326_497 Depth=1
	s_delay_alu instid0(SALU_CYCLE_1)
	s_or_b32 exec_lo, exec_lo, s24
.LBB326_798:                            ;   in Loop: Header=BB326_497 Depth=1
	s_delay_alu instid0(SALU_CYCLE_1) | instskip(NEXT) | instid1(SALU_CYCLE_1)
	s_or_b32 exec_lo, exec_lo, s23
	s_mov_b32 s23, exec_lo
	v_cmpx_lt_u64_e64 s[2:3], v[24:25]
	s_cbranch_execz .LBB326_806
; %bb.799:                              ;   in Loop: Header=BB326_497 Depth=1
	v_lshrrev_b32_e32 v24, 24, v25
	v_bfrev_b32_e32 v29, 1
	s_mov_b32 s24, exec_lo
	s_delay_alu instid0(VALU_DEP_2)
	v_cmpx_ne_u32_e32 0x80, v24
	s_cbranch_execz .LBB326_805
; %bb.800:                              ;   in Loop: Header=BB326_497 Depth=1
	v_bfe_u32 v79, v25, 24, 7
	v_mov_b32_e32 v29, 0x7f800001
	s_mov_b32 s25, exec_lo
	s_delay_alu instid0(VALU_DEP_2)
	v_cmpx_ne_u32_e32 0x7f, v79
	s_cbranch_execz .LBB326_804
; %bb.801:                              ;   in Loop: Header=BB326_497 Depth=1
	v_dual_lshrrev_b32 v25, 3, v79 :: v_dual_bitop2_b32 v16, 7, v24 bitop3:0x40
	s_mov_b32 s27, exec_lo
	v_cmpx_gt_u32_e32 8, v79
; %bb.802:                              ;   in Loop: Header=BB326_497 Depth=1
	s_delay_alu instid0(VALU_DEP_2) | instskip(NEXT) | instid1(VALU_DEP_1)
	v_clz_i32_u32_e32 v25, v16
	v_min_u32_e32 v25, 32, v25
	s_delay_alu instid0(VALU_DEP_1) | instskip(NEXT) | instid1(VALU_DEP_1)
	v_subrev_nc_u32_e32 v29, 28, v25
	v_lshlrev_b64_e32 v[86:87], v29, v[16:17]
	s_delay_alu instid0(VALU_DEP_1)
	v_dual_sub_nc_u32 v25, 29, v25 :: v_dual_bitop2_b32 v16, 7, v86 bitop3:0x40
; %bb.803:                              ;   in Loop: Header=BB326_497 Depth=1
	s_or_b32 exec_lo, exec_lo, s27
	v_lshlrev_b32_e32 v24, 24, v24
	s_delay_alu instid0(VALU_DEP_2) | instskip(NEXT) | instid1(VALU_DEP_3)
	v_lshlrev_b32_e32 v16, 20, v16
	v_lshl_add_u32 v25, v25, 23, 0x3c000000
	s_delay_alu instid0(VALU_DEP_3) | instskip(NEXT) | instid1(VALU_DEP_1)
	v_and_b32_e32 v24, 0x80000000, v24
	v_or3_b32 v29, v16, v24, v25
.LBB326_804:                            ;   in Loop: Header=BB326_497 Depth=1
	s_or_b32 exec_lo, exec_lo, s25
.LBB326_805:                            ;   in Loop: Header=BB326_497 Depth=1
	s_delay_alu instid0(SALU_CYCLE_1)
	s_or_b32 exec_lo, exec_lo, s24
.LBB326_806:                            ;   in Loop: Header=BB326_497 Depth=1
	s_delay_alu instid0(SALU_CYCLE_1)
	s_or_b32 exec_lo, exec_lo, s23
	v_fma_mixlo_bf16 v79, s22, v28, 0
	v_fma_mixlo_bf16 v80, s22, v80, 0
	v_fma_mixlo_bf16 v81, s22, v81, 0
	v_fma_mixlo_bf16 v82, s22, v82, 0
	v_fma_mixlo_bf16 v83, s22, v78, 0
	v_fma_mixlo_bf16 v84, s22, v77, 0
	v_fma_mixlo_bf16 v77, s22, v85, 0
	v_fma_mixlo_bf16 v78, s22, v29, 0
	s_and_saveexec_b32 s23, vcc_lo
	s_cbranch_execz .LBB326_808
; %bb.807:                              ;   in Loop: Header=BB326_497 Depth=1
	v_cmp_gt_i32_e64 s0, s34, v45
	s_delay_alu instid0(VALU_DEP_1) | instskip(SKIP_1) | instid1(VALU_DEP_1)
	v_cndmask_b32_e64 v84, 0, v84, s0
	v_cmp_gt_i32_e64 s0, s34, v52
	v_cndmask_b32_e64 v83, 0, v83, s0
	v_cmp_gt_i32_e64 s0, s34, v51
	s_delay_alu instid0(VALU_DEP_1) | instskip(SKIP_1) | instid1(VALU_DEP_1)
	v_cndmask_b32_e64 v82, 0, v82, s0
	v_cmp_gt_i32_e64 s0, s34, v50
	v_cndmask_b32_e64 v81, 0, v81, s0
	v_cmp_gt_i32_e64 s0, s34, v49
	s_delay_alu instid0(VALU_DEP_1) | instskip(SKIP_1) | instid1(VALU_DEP_1)
	v_cndmask_b32_e64 v80, 0, v80, s0
	v_cmp_gt_i32_e64 s0, s34, v48
	v_cndmask_b32_e64 v79, 0, v79, s0
	v_cmp_gt_i32_e64 s0, s34, v47
	s_delay_alu instid0(VALU_DEP_1) | instskip(SKIP_1) | instid1(VALU_DEP_1)
	v_cndmask_b32_e64 v77, 0, v77, s0
	v_cmp_gt_i32_e64 s0, s34, v46
	v_cndmask_b32_e64 v78, 0, v78, s0
.LBB326_808:                            ;   in Loop: Header=BB326_497 Depth=1
	s_or_b32 exec_lo, exec_lo, s23
	global_load_b64 v[24:25], v[22:23], off offset:1280
	v_dual_mov_b32 v89, 0 :: v_dual_mov_b32 v90, 0
	s_mov_b32 s23, exec_lo
	s_wait_loadcnt 0x0
	v_and_b32_e32 v16, 0xff, v24
	s_delay_alu instid0(VALU_DEP_1)
	v_cmpx_ne_u16_e32 0, v16
	s_cbranch_execz .LBB326_814
; %bb.809:                              ;   in Loop: Header=BB326_497 Depth=1
	v_bfrev_b32_e32 v90, 1
	s_mov_b32 s24, exec_lo
	v_cmpx_ne_u16_e32 0x80, v16
	s_cbranch_execz .LBB326_813
; %bb.810:                              ;   in Loop: Header=BB326_497 Depth=1
	v_and_b32_e32 v16, 0x7f, v24
	v_mov_b32_e32 v90, 0x7f800001
	s_mov_b32 s25, exec_lo
	s_delay_alu instid0(VALU_DEP_2)
	v_cmpx_ne_u32_e32 0x7f, v16
	s_cbranch_execz .LBB326_812
; %bb.811:                              ;   in Loop: Header=BB326_497 Depth=1
	v_and_b32_e32 v28, 7, v24
	v_cmp_gt_u32_e64 s0, 8, v16
	s_delay_alu instid0(VALU_DEP_2) | instskip(NEXT) | instid1(VALU_DEP_1)
	v_clz_i32_u32_e32 v28, v28
	v_min_u32_e32 v28, 32, v28
	s_delay_alu instid0(VALU_DEP_1) | instskip(SKIP_2) | instid1(VALU_DEP_1)
	v_subrev_nc_u32_e32 v85, 28, v28
	v_lshrrev_b32_e32 v29, 3, v16
	v_sub_nc_u32_e32 v28, 29, v28
	v_dual_cndmask_b32 v16, v29, v28, s0 :: v_dual_cndmask_b32 v28, 0, v85, s0
	s_delay_alu instid0(VALU_DEP_1) | instskip(SKIP_1) | instid1(VALU_DEP_1)
	v_lshlrev_b64_e32 v[28:29], v28, v[24:25]
	v_lshlrev_b32_e32 v29, 24, v24
	v_and_b32_e32 v29, 0x80000000, v29
	s_delay_alu instid0(VALU_DEP_3) | instskip(SKIP_1) | instid1(VALU_DEP_2)
	v_lshlrev_b32_e32 v28, 20, v28
	v_lshl_add_u32 v16, v16, 23, 0x3c000000
	v_and_b32_e32 v28, 0x700000, v28
	s_delay_alu instid0(VALU_DEP_1)
	v_or3_b32 v90, v28, v29, v16
.LBB326_812:                            ;   in Loop: Header=BB326_497 Depth=1
	s_or_b32 exec_lo, exec_lo, s25
.LBB326_813:                            ;   in Loop: Header=BB326_497 Depth=1
	s_delay_alu instid0(SALU_CYCLE_1)
	s_or_b32 exec_lo, exec_lo, s24
.LBB326_814:                            ;   in Loop: Header=BB326_497 Depth=1
	s_delay_alu instid0(SALU_CYCLE_1) | instskip(SKIP_2) | instid1(VALU_DEP_1)
	s_or_b32 exec_lo, exec_lo, s23
	v_lshrrev_b16 v16, 8, v24
	s_mov_b32 s23, exec_lo
	v_cmpx_ne_u16_e32 0, v16
	s_cbranch_execz .LBB326_822
; %bb.815:                              ;   in Loop: Header=BB326_497 Depth=1
	v_bfrev_b32_e32 v89, 1
	s_mov_b32 s24, exec_lo
	v_cmpx_ne_u16_e32 0x80, v16
	s_cbranch_execz .LBB326_821
; %bb.816:                              ;   in Loop: Header=BB326_497 Depth=1
	v_and_b32_e32 v16, 0xffff, v16
	v_mov_b32_e32 v89, 0x7f800001
	s_mov_b32 s25, exec_lo
	s_delay_alu instid0(VALU_DEP_2) | instskip(NEXT) | instid1(VALU_DEP_1)
	v_and_b32_e32 v29, 0x7f, v16
	v_cmpx_ne_u32_e32 0x7f, v29
	s_cbranch_execz .LBB326_820
; %bb.817:                              ;   in Loop: Header=BB326_497 Depth=1
	v_dual_lshrrev_b32 v28, 3, v29 :: v_dual_bitop2_b32 v16, 7, v16 bitop3:0x40
	s_mov_b32 s27, exec_lo
	v_cmpx_gt_u32_e32 8, v29
; %bb.818:                              ;   in Loop: Header=BB326_497 Depth=1
	s_delay_alu instid0(VALU_DEP_2) | instskip(NEXT) | instid1(VALU_DEP_1)
	v_clz_i32_u32_e32 v28, v16
	v_min_u32_e32 v28, 32, v28
	s_delay_alu instid0(VALU_DEP_1) | instskip(NEXT) | instid1(VALU_DEP_1)
	v_subrev_nc_u32_e32 v29, 28, v28
	v_lshlrev_b64_e32 v[86:87], v29, v[16:17]
	s_delay_alu instid0(VALU_DEP_1)
	v_dual_sub_nc_u32 v28, 29, v28 :: v_dual_bitop2_b32 v16, 7, v86 bitop3:0x40
; %bb.819:                              ;   in Loop: Header=BB326_497 Depth=1
	s_or_b32 exec_lo, exec_lo, s27
	v_lshlrev_b32_e32 v29, 16, v24
	s_delay_alu instid0(VALU_DEP_2) | instskip(NEXT) | instid1(VALU_DEP_3)
	v_lshlrev_b32_e32 v16, 20, v16
	v_lshl_add_u32 v28, v28, 23, 0x3c000000
	s_delay_alu instid0(VALU_DEP_3) | instskip(NEXT) | instid1(VALU_DEP_1)
	v_and_b32_e32 v29, 0x80000000, v29
	v_or3_b32 v89, v16, v29, v28
.LBB326_820:                            ;   in Loop: Header=BB326_497 Depth=1
	s_or_b32 exec_lo, exec_lo, s25
.LBB326_821:                            ;   in Loop: Header=BB326_497 Depth=1
	s_delay_alu instid0(SALU_CYCLE_1)
	s_or_b32 exec_lo, exec_lo, s24
.LBB326_822:                            ;   in Loop: Header=BB326_497 Depth=1
	s_delay_alu instid0(SALU_CYCLE_1) | instskip(SKIP_3) | instid1(VALU_DEP_2)
	s_or_b32 exec_lo, exec_lo, s23
	v_dual_mov_b32 v87, 0 :: v_dual_lshrrev_b32 v28, 16, v24
	v_mov_b32_e32 v88, 0
	s_mov_b32 s23, exec_lo
	v_and_b32_e32 v16, 0xff, v28
	s_delay_alu instid0(VALU_DEP_1)
	v_cmpx_ne_u16_e32 0, v16
	s_cbranch_execz .LBB326_830
; %bb.823:                              ;   in Loop: Header=BB326_497 Depth=1
	v_bfrev_b32_e32 v88, 1
	s_mov_b32 s24, exec_lo
	v_cmpx_ne_u16_e32 0x80, v16
	s_cbranch_execz .LBB326_829
; %bb.824:                              ;   in Loop: Header=BB326_497 Depth=1
	v_bfe_u32 v85, v24, 16, 7
	v_mov_b32_e32 v88, 0x7f800001
	s_mov_b32 s25, exec_lo
	s_delay_alu instid0(VALU_DEP_2)
	v_cmpx_ne_u32_e32 0x7f, v85
	s_cbranch_execz .LBB326_828
; %bb.825:                              ;   in Loop: Header=BB326_497 Depth=1
	v_dual_lshrrev_b32 v29, 3, v85 :: v_dual_bitop2_b32 v16, 7, v28 bitop3:0x40
	s_mov_b32 s27, exec_lo
	v_cmpx_gt_u32_e32 8, v85
; %bb.826:                              ;   in Loop: Header=BB326_497 Depth=1
	s_delay_alu instid0(VALU_DEP_2) | instskip(NEXT) | instid1(VALU_DEP_1)
	v_clz_i32_u32_e32 v29, v16
	v_min_u32_e32 v29, 32, v29
	s_delay_alu instid0(VALU_DEP_1) | instskip(NEXT) | instid1(VALU_DEP_1)
	v_subrev_nc_u32_e32 v85, 28, v29
	v_lshlrev_b64_e32 v[92:93], v85, v[16:17]
	s_delay_alu instid0(VALU_DEP_1)
	v_dual_sub_nc_u32 v29, 29, v29 :: v_dual_bitop2_b32 v16, 7, v92 bitop3:0x40
; %bb.827:                              ;   in Loop: Header=BB326_497 Depth=1
	s_or_b32 exec_lo, exec_lo, s27
	v_lshlrev_b32_e32 v28, 24, v28
	s_delay_alu instid0(VALU_DEP_2) | instskip(NEXT) | instid1(VALU_DEP_3)
	v_lshlrev_b32_e32 v16, 20, v16
	v_lshl_add_u32 v29, v29, 23, 0x3c000000
	s_delay_alu instid0(VALU_DEP_3) | instskip(NEXT) | instid1(VALU_DEP_1)
	v_and_b32_e32 v28, 0x80000000, v28
	v_or3_b32 v88, v16, v28, v29
.LBB326_828:                            ;   in Loop: Header=BB326_497 Depth=1
	s_or_b32 exec_lo, exec_lo, s25
.LBB326_829:                            ;   in Loop: Header=BB326_497 Depth=1
	s_delay_alu instid0(SALU_CYCLE_1)
	s_or_b32 exec_lo, exec_lo, s24
.LBB326_830:                            ;   in Loop: Header=BB326_497 Depth=1
	s_delay_alu instid0(SALU_CYCLE_1) | instskip(NEXT) | instid1(SALU_CYCLE_1)
	s_or_b32 exec_lo, exec_lo, s23
	s_mov_b32 s23, exec_lo
	v_cmpx_lt_u32_e32 0xffffff, v24
	s_cbranch_execz .LBB326_838
; %bb.831:                              ;   in Loop: Header=BB326_497 Depth=1
	v_lshrrev_b32_e32 v28, 24, v24
	v_bfrev_b32_e32 v87, 1
	s_mov_b32 s24, exec_lo
	s_delay_alu instid0(VALU_DEP_2)
	v_cmpx_ne_u32_e32 0x80, v28
	s_cbranch_execz .LBB326_837
; %bb.832:                              ;   in Loop: Header=BB326_497 Depth=1
	v_bfe_u32 v85, v24, 24, 7
	v_mov_b32_e32 v87, 0x7f800001
	s_mov_b32 s25, exec_lo
	s_delay_alu instid0(VALU_DEP_2)
	v_cmpx_ne_u32_e32 0x7f, v85
	s_cbranch_execz .LBB326_836
; %bb.833:                              ;   in Loop: Header=BB326_497 Depth=1
	v_dual_lshrrev_b32 v29, 3, v85 :: v_dual_bitop2_b32 v16, 7, v28 bitop3:0x40
	s_mov_b32 s27, exec_lo
	v_cmpx_gt_u32_e32 8, v85
; %bb.834:                              ;   in Loop: Header=BB326_497 Depth=1
	s_delay_alu instid0(VALU_DEP_2) | instskip(NEXT) | instid1(VALU_DEP_1)
	v_clz_i32_u32_e32 v29, v16
	v_min_u32_e32 v29, 32, v29
	s_delay_alu instid0(VALU_DEP_1) | instskip(NEXT) | instid1(VALU_DEP_1)
	v_subrev_nc_u32_e32 v85, 28, v29
	v_lshlrev_b64_e32 v[86:87], v85, v[16:17]
	s_delay_alu instid0(VALU_DEP_1)
	v_dual_sub_nc_u32 v29, 29, v29 :: v_dual_bitop2_b32 v16, 7, v86 bitop3:0x40
; %bb.835:                              ;   in Loop: Header=BB326_497 Depth=1
	s_or_b32 exec_lo, exec_lo, s27
	v_lshlrev_b32_e32 v28, 24, v28
	s_delay_alu instid0(VALU_DEP_2) | instskip(NEXT) | instid1(VALU_DEP_3)
	v_lshlrev_b32_e32 v16, 20, v16
	v_lshl_add_u32 v29, v29, 23, 0x3c000000
	s_delay_alu instid0(VALU_DEP_3) | instskip(NEXT) | instid1(VALU_DEP_1)
	v_and_b32_e32 v28, 0x80000000, v28
	v_or3_b32 v87, v16, v28, v29
.LBB326_836:                            ;   in Loop: Header=BB326_497 Depth=1
	s_or_b32 exec_lo, exec_lo, s25
.LBB326_837:                            ;   in Loop: Header=BB326_497 Depth=1
	s_delay_alu instid0(SALU_CYCLE_1)
	s_or_b32 exec_lo, exec_lo, s24
.LBB326_838:                            ;   in Loop: Header=BB326_497 Depth=1
	s_delay_alu instid0(SALU_CYCLE_1) | instskip(SKIP_4) | instid1(VALU_DEP_3)
	s_or_b32 exec_lo, exec_lo, s23
	v_and_b32_e32 v29, 0xff, v25
	v_dual_mov_b32 v16, v25 :: v_dual_mov_b32 v28, 0
	v_mov_b32_e32 v86, 0
	s_mov_b32 s23, exec_lo
	v_cmpx_ne_u16_e32 0, v29
	s_cbranch_execz .LBB326_844
; %bb.839:                              ;   in Loop: Header=BB326_497 Depth=1
	v_bfrev_b32_e32 v86, 1
	s_mov_b32 s24, exec_lo
	v_cmpx_ne_u16_e32 0x80, v29
	s_cbranch_execz .LBB326_843
; %bb.840:                              ;   in Loop: Header=BB326_497 Depth=1
	v_and_b32_e32 v29, 0x7f, v25
	v_mov_b32_e32 v86, 0x7f800001
	s_mov_b32 s25, exec_lo
	s_delay_alu instid0(VALU_DEP_2)
	v_cmpx_ne_u32_e32 0x7f, v29
	s_cbranch_execz .LBB326_842
; %bb.841:                              ;   in Loop: Header=BB326_497 Depth=1
	v_and_b32_e32 v85, 7, v25
	v_cmp_gt_u32_e64 s0, 8, v29
	s_delay_alu instid0(VALU_DEP_2) | instskip(NEXT) | instid1(VALU_DEP_1)
	v_clz_i32_u32_e32 v85, v85
	v_min_u32_e32 v85, 32, v85
	s_delay_alu instid0(VALU_DEP_1) | instskip(SKIP_2) | instid1(VALU_DEP_1)
	v_subrev_nc_u32_e32 v91, 28, v85
	v_lshrrev_b32_e32 v86, 3, v29
	v_sub_nc_u32_e32 v85, 29, v85
	v_dual_cndmask_b32 v29, v86, v85, s0 :: v_dual_cndmask_b32 v85, 0, v91, s0
	s_delay_alu instid0(VALU_DEP_1) | instskip(SKIP_1) | instid1(VALU_DEP_3)
	v_lshlrev_b64_e32 v[92:93], v85, v[16:17]
	v_lshlrev_b32_e32 v85, 24, v16
	v_lshl_add_u32 v29, v29, 23, 0x3c000000
	s_delay_alu instid0(VALU_DEP_2) | instskip(NEXT) | instid1(VALU_DEP_4)
	v_and_b32_e32 v85, 0x80000000, v85
	v_lshlrev_b32_e32 v86, 20, v92
	s_delay_alu instid0(VALU_DEP_1) | instskip(NEXT) | instid1(VALU_DEP_1)
	v_and_b32_e32 v86, 0x700000, v86
	v_or3_b32 v86, v86, v85, v29
.LBB326_842:                            ;   in Loop: Header=BB326_497 Depth=1
	s_or_b32 exec_lo, exec_lo, s25
.LBB326_843:                            ;   in Loop: Header=BB326_497 Depth=1
	s_delay_alu instid0(SALU_CYCLE_1)
	s_or_b32 exec_lo, exec_lo, s24
.LBB326_844:                            ;   in Loop: Header=BB326_497 Depth=1
	s_delay_alu instid0(SALU_CYCLE_1) | instskip(SKIP_2) | instid1(VALU_DEP_1)
	s_or_b32 exec_lo, exec_lo, s23
	v_lshrrev_b16 v29, 8, v16
	s_mov_b32 s23, exec_lo
	v_cmpx_ne_u16_e32 0, v29
	s_cbranch_execz .LBB326_852
; %bb.845:                              ;   in Loop: Header=BB326_497 Depth=1
	v_bfrev_b32_e32 v28, 1
	s_mov_b32 s24, exec_lo
	v_cmpx_ne_u16_e32 0x80, v29
	s_cbranch_execz .LBB326_851
; %bb.846:                              ;   in Loop: Header=BB326_497 Depth=1
	v_and_b32_e32 v29, 0xffff, v29
	v_mov_b32_e32 v28, 0x7f800001
	s_mov_b32 s25, exec_lo
	s_delay_alu instid0(VALU_DEP_2) | instskip(NEXT) | instid1(VALU_DEP_1)
	v_and_b32_e32 v91, 0x7f, v29
	v_cmpx_ne_u32_e32 0x7f, v91
	s_cbranch_execz .LBB326_850
; %bb.847:                              ;   in Loop: Header=BB326_497 Depth=1
	v_dual_mov_b32 v29, v17 :: v_dual_bitop2_b32 v28, 7, v29 bitop3:0x40
	v_lshrrev_b32_e32 v85, 3, v91
	s_mov_b32 s27, exec_lo
	v_cmpx_gt_u32_e32 8, v91
; %bb.848:                              ;   in Loop: Header=BB326_497 Depth=1
	s_delay_alu instid0(VALU_DEP_3) | instskip(NEXT) | instid1(VALU_DEP_1)
	v_clz_i32_u32_e32 v85, v28
	v_min_u32_e32 v85, 32, v85
	s_delay_alu instid0(VALU_DEP_1) | instskip(NEXT) | instid1(VALU_DEP_1)
	v_subrev_nc_u32_e32 v91, 28, v85
	v_lshlrev_b64_e32 v[28:29], v91, v[28:29]
	s_delay_alu instid0(VALU_DEP_1)
	v_dual_sub_nc_u32 v85, 29, v85 :: v_dual_bitop2_b32 v28, 7, v28 bitop3:0x40
; %bb.849:                              ;   in Loop: Header=BB326_497 Depth=1
	s_or_b32 exec_lo, exec_lo, s27
	v_lshlrev_b32_e32 v16, 16, v16
	s_delay_alu instid0(VALU_DEP_2) | instskip(NEXT) | instid1(VALU_DEP_3)
	v_lshlrev_b32_e32 v28, 20, v28
	v_lshl_add_u32 v29, v85, 23, 0x3c000000
	s_delay_alu instid0(VALU_DEP_3) | instskip(NEXT) | instid1(VALU_DEP_1)
	v_and_b32_e32 v16, 0x80000000, v16
	v_or3_b32 v28, v28, v16, v29
.LBB326_850:                            ;   in Loop: Header=BB326_497 Depth=1
	s_or_b32 exec_lo, exec_lo, s25
.LBB326_851:                            ;   in Loop: Header=BB326_497 Depth=1
	s_delay_alu instid0(SALU_CYCLE_1)
	s_or_b32 exec_lo, exec_lo, s24
.LBB326_852:                            ;   in Loop: Header=BB326_497 Depth=1
	s_delay_alu instid0(SALU_CYCLE_1) | instskip(SKIP_3) | instid1(VALU_DEP_2)
	s_or_b32 exec_lo, exec_lo, s23
	v_dual_lshrrev_b32 v85, 16, v25 :: v_dual_mov_b32 v29, 0
	v_mov_b32_e32 v91, 0
	s_mov_b32 s23, exec_lo
	v_and_b32_e32 v16, 0xff, v85
	s_delay_alu instid0(VALU_DEP_1)
	v_cmpx_ne_u16_e32 0, v16
	s_cbranch_execz .LBB326_860
; %bb.853:                              ;   in Loop: Header=BB326_497 Depth=1
	v_bfrev_b32_e32 v91, 1
	s_mov_b32 s24, exec_lo
	v_cmpx_ne_u16_e32 0x80, v16
	s_cbranch_execz .LBB326_859
; %bb.854:                              ;   in Loop: Header=BB326_497 Depth=1
	v_bfe_u32 v92, v25, 16, 7
	v_mov_b32_e32 v91, 0x7f800001
	s_mov_b32 s25, exec_lo
	s_delay_alu instid0(VALU_DEP_2)
	v_cmpx_ne_u32_e32 0x7f, v92
	s_cbranch_execz .LBB326_858
; %bb.855:                              ;   in Loop: Header=BB326_497 Depth=1
	v_dual_lshrrev_b32 v91, 3, v92 :: v_dual_bitop2_b32 v16, 7, v85 bitop3:0x40
	s_mov_b32 s27, exec_lo
	v_cmpx_gt_u32_e32 8, v92
; %bb.856:                              ;   in Loop: Header=BB326_497 Depth=1
	s_delay_alu instid0(VALU_DEP_2) | instskip(NEXT) | instid1(VALU_DEP_1)
	v_clz_i32_u32_e32 v91, v16
	v_min_u32_e32 v91, 32, v91
	s_delay_alu instid0(VALU_DEP_1) | instskip(NEXT) | instid1(VALU_DEP_1)
	v_subrev_nc_u32_e32 v92, 28, v91
	v_lshlrev_b64_e32 v[92:93], v92, v[16:17]
	s_delay_alu instid0(VALU_DEP_1)
	v_dual_sub_nc_u32 v91, 29, v91 :: v_dual_bitop2_b32 v16, 7, v92 bitop3:0x40
; %bb.857:                              ;   in Loop: Header=BB326_497 Depth=1
	s_or_b32 exec_lo, exec_lo, s27
	s_delay_alu instid0(VALU_DEP_1) | instskip(NEXT) | instid1(VALU_DEP_2)
	v_dual_lshlrev_b32 v85, 24, v85 :: v_dual_lshlrev_b32 v16, 20, v16
	v_lshl_add_u32 v91, v91, 23, 0x3c000000
	s_delay_alu instid0(VALU_DEP_2) | instskip(NEXT) | instid1(VALU_DEP_1)
	v_and_b32_e32 v85, 0x80000000, v85
	v_or3_b32 v91, v16, v85, v91
.LBB326_858:                            ;   in Loop: Header=BB326_497 Depth=1
	s_or_b32 exec_lo, exec_lo, s25
.LBB326_859:                            ;   in Loop: Header=BB326_497 Depth=1
	s_delay_alu instid0(SALU_CYCLE_1)
	s_or_b32 exec_lo, exec_lo, s24
.LBB326_860:                            ;   in Loop: Header=BB326_497 Depth=1
	s_delay_alu instid0(SALU_CYCLE_1) | instskip(NEXT) | instid1(SALU_CYCLE_1)
	s_or_b32 exec_lo, exec_lo, s23
	s_mov_b32 s23, exec_lo
	v_cmpx_lt_u64_e64 s[2:3], v[24:25]
	s_cbranch_execz .LBB326_868
; %bb.861:                              ;   in Loop: Header=BB326_497 Depth=1
	v_lshrrev_b32_e32 v24, 24, v25
	v_bfrev_b32_e32 v29, 1
	s_mov_b32 s24, exec_lo
	s_delay_alu instid0(VALU_DEP_2)
	v_cmpx_ne_u32_e32 0x80, v24
	s_cbranch_execz .LBB326_867
; %bb.862:                              ;   in Loop: Header=BB326_497 Depth=1
	v_bfe_u32 v85, v25, 24, 7
	v_mov_b32_e32 v29, 0x7f800001
	s_mov_b32 s25, exec_lo
	s_delay_alu instid0(VALU_DEP_2)
	v_cmpx_ne_u32_e32 0x7f, v85
	s_cbranch_execz .LBB326_866
; %bb.863:                              ;   in Loop: Header=BB326_497 Depth=1
	v_dual_lshrrev_b32 v25, 3, v85 :: v_dual_bitop2_b32 v16, 7, v24 bitop3:0x40
	s_mov_b32 s27, exec_lo
	v_cmpx_gt_u32_e32 8, v85
; %bb.864:                              ;   in Loop: Header=BB326_497 Depth=1
	s_delay_alu instid0(VALU_DEP_2) | instskip(NEXT) | instid1(VALU_DEP_1)
	v_clz_i32_u32_e32 v25, v16
	v_min_u32_e32 v25, 32, v25
	s_delay_alu instid0(VALU_DEP_1) | instskip(NEXT) | instid1(VALU_DEP_1)
	v_subrev_nc_u32_e32 v29, 28, v25
	v_lshlrev_b64_e32 v[92:93], v29, v[16:17]
	s_delay_alu instid0(VALU_DEP_1)
	v_dual_sub_nc_u32 v25, 29, v25 :: v_dual_bitop2_b32 v16, 7, v92 bitop3:0x40
; %bb.865:                              ;   in Loop: Header=BB326_497 Depth=1
	s_or_b32 exec_lo, exec_lo, s27
	v_lshlrev_b32_e32 v24, 24, v24
	s_delay_alu instid0(VALU_DEP_2) | instskip(NEXT) | instid1(VALU_DEP_3)
	v_lshlrev_b32_e32 v16, 20, v16
	v_lshl_add_u32 v25, v25, 23, 0x3c000000
	s_delay_alu instid0(VALU_DEP_3) | instskip(NEXT) | instid1(VALU_DEP_1)
	v_and_b32_e32 v24, 0x80000000, v24
	v_or3_b32 v29, v16, v24, v25
.LBB326_866:                            ;   in Loop: Header=BB326_497 Depth=1
	s_or_b32 exec_lo, exec_lo, s25
.LBB326_867:                            ;   in Loop: Header=BB326_497 Depth=1
	s_delay_alu instid0(SALU_CYCLE_1)
	s_or_b32 exec_lo, exec_lo, s24
.LBB326_868:                            ;   in Loop: Header=BB326_497 Depth=1
	s_delay_alu instid0(SALU_CYCLE_1)
	s_or_b32 exec_lo, exec_lo, s23
	v_fma_mixlo_bf16 v85, s22, v28, 0
	v_fma_mixlo_bf16 v86, s22, v86, 0
	;; [unrolled: 1-line block ×8, first 2 shown]
	s_and_saveexec_b32 s23, vcc_lo
	s_cbranch_execz .LBB326_870
; %bb.869:                              ;   in Loop: Header=BB326_497 Depth=1
	v_cmp_gt_i32_e64 s0, s34, v45
	s_delay_alu instid0(VALU_DEP_1) | instskip(SKIP_1) | instid1(VALU_DEP_1)
	v_cndmask_b32_e64 v90, 0, v90, s0
	v_cmp_gt_i32_e64 s0, s34, v52
	v_cndmask_b32_e64 v89, 0, v89, s0
	v_cmp_gt_i32_e64 s0, s34, v51
	s_delay_alu instid0(VALU_DEP_1) | instskip(SKIP_1) | instid1(VALU_DEP_1)
	v_cndmask_b32_e64 v88, 0, v88, s0
	v_cmp_gt_i32_e64 s0, s34, v50
	v_cndmask_b32_e64 v87, 0, v87, s0
	;; [unrolled: 5-line block ×4, first 2 shown]
.LBB326_870:                            ;   in Loop: Header=BB326_497 Depth=1
	s_or_b32 exec_lo, exec_lo, s23
	global_load_b64 v[22:23], v[22:23], off offset:1536
	v_dual_mov_b32 v92, 0 :: v_dual_mov_b32 v91, 0
	s_mov_b32 s23, exec_lo
	s_wait_loadcnt 0x0
	v_and_b32_e32 v16, 0xff, v22
	s_delay_alu instid0(VALU_DEP_1)
	v_cmpx_ne_u16_e32 0, v16
	s_cbranch_execz .LBB326_876
; %bb.871:                              ;   in Loop: Header=BB326_497 Depth=1
	v_bfrev_b32_e32 v91, 1
	s_mov_b32 s24, exec_lo
	v_cmpx_ne_u16_e32 0x80, v16
	s_cbranch_execz .LBB326_875
; %bb.872:                              ;   in Loop: Header=BB326_497 Depth=1
	v_and_b32_e32 v16, 0x7f, v22
	v_mov_b32_e32 v91, 0x7f800001
	s_mov_b32 s25, exec_lo
	s_delay_alu instid0(VALU_DEP_2)
	v_cmpx_ne_u32_e32 0x7f, v16
	s_cbranch_execz .LBB326_874
; %bb.873:                              ;   in Loop: Header=BB326_497 Depth=1
	v_dual_lshrrev_b32 v25, 3, v16 :: v_dual_bitop2_b32 v24, 7, v22 bitop3:0x40
	v_cmp_gt_u32_e64 s0, 8, v16
	s_delay_alu instid0(VALU_DEP_2) | instskip(NEXT) | instid1(VALU_DEP_1)
	v_clz_i32_u32_e32 v24, v24
	v_min_u32_e32 v24, 32, v24
	s_delay_alu instid0(VALU_DEP_1) | instskip(SKIP_1) | instid1(VALU_DEP_1)
	v_subrev_nc_u32_e32 v91, 28, v24
	v_sub_nc_u32_e32 v24, 29, v24
	v_dual_cndmask_b32 v16, v25, v24, s0 :: v_dual_cndmask_b32 v24, 0, v91, s0
	s_delay_alu instid0(VALU_DEP_1) | instskip(NEXT) | instid1(VALU_DEP_2)
	v_lshl_add_u32 v16, v16, 23, 0x3c000000
	v_lshlrev_b64_e32 v[24:25], v24, v[22:23]
	v_lshlrev_b32_e32 v25, 24, v22
	s_delay_alu instid0(VALU_DEP_1) | instskip(NEXT) | instid1(VALU_DEP_3)
	v_and_b32_e32 v25, 0x80000000, v25
	v_lshlrev_b32_e32 v24, 20, v24
	s_delay_alu instid0(VALU_DEP_1) | instskip(NEXT) | instid1(VALU_DEP_1)
	v_and_b32_e32 v24, 0x700000, v24
	v_or3_b32 v91, v24, v25, v16
.LBB326_874:                            ;   in Loop: Header=BB326_497 Depth=1
	s_or_b32 exec_lo, exec_lo, s25
.LBB326_875:                            ;   in Loop: Header=BB326_497 Depth=1
	s_delay_alu instid0(SALU_CYCLE_1)
	s_or_b32 exec_lo, exec_lo, s24
.LBB326_876:                            ;   in Loop: Header=BB326_497 Depth=1
	s_delay_alu instid0(SALU_CYCLE_1) | instskip(SKIP_2) | instid1(VALU_DEP_1)
	s_or_b32 exec_lo, exec_lo, s23
	v_lshrrev_b16 v16, 8, v22
	s_mov_b32 s23, exec_lo
	v_cmpx_ne_u16_e32 0, v16
	s_cbranch_execz .LBB326_884
; %bb.877:                              ;   in Loop: Header=BB326_497 Depth=1
	v_bfrev_b32_e32 v92, 1
	s_mov_b32 s24, exec_lo
	v_cmpx_ne_u16_e32 0x80, v16
	s_cbranch_execz .LBB326_883
; %bb.878:                              ;   in Loop: Header=BB326_497 Depth=1
	v_and_b32_e32 v16, 0xffff, v16
	v_mov_b32_e32 v92, 0x7f800001
	s_mov_b32 s25, exec_lo
	s_delay_alu instid0(VALU_DEP_2) | instskip(NEXT) | instid1(VALU_DEP_1)
	v_and_b32_e32 v25, 0x7f, v16
	v_cmpx_ne_u32_e32 0x7f, v25
	s_cbranch_execz .LBB326_882
; %bb.879:                              ;   in Loop: Header=BB326_497 Depth=1
	v_dual_lshrrev_b32 v24, 3, v25 :: v_dual_bitop2_b32 v16, 7, v16 bitop3:0x40
	s_mov_b32 s27, exec_lo
	v_cmpx_gt_u32_e32 8, v25
; %bb.880:                              ;   in Loop: Header=BB326_497 Depth=1
	s_delay_alu instid0(VALU_DEP_2) | instskip(NEXT) | instid1(VALU_DEP_1)
	v_clz_i32_u32_e32 v24, v16
	v_min_u32_e32 v24, 32, v24
	s_delay_alu instid0(VALU_DEP_1) | instskip(SKIP_1) | instid1(VALU_DEP_2)
	v_subrev_nc_u32_e32 v25, 28, v24
	v_sub_nc_u32_e32 v24, 29, v24
	v_lshlrev_b64_e32 v[92:93], v25, v[16:17]
	s_delay_alu instid0(VALU_DEP_1)
	v_and_b32_e32 v16, 7, v92
; %bb.881:                              ;   in Loop: Header=BB326_497 Depth=1
	s_or_b32 exec_lo, exec_lo, s27
	s_delay_alu instid0(VALU_DEP_1) | instskip(SKIP_1) | instid1(VALU_DEP_2)
	v_dual_lshlrev_b32 v25, 16, v22 :: v_dual_lshlrev_b32 v16, 20, v16
	v_lshl_add_u32 v24, v24, 23, 0x3c000000
	v_and_b32_e32 v25, 0x80000000, v25
	s_delay_alu instid0(VALU_DEP_1)
	v_or3_b32 v92, v16, v25, v24
.LBB326_882:                            ;   in Loop: Header=BB326_497 Depth=1
	s_or_b32 exec_lo, exec_lo, s25
.LBB326_883:                            ;   in Loop: Header=BB326_497 Depth=1
	s_delay_alu instid0(SALU_CYCLE_1)
	s_or_b32 exec_lo, exec_lo, s24
.LBB326_884:                            ;   in Loop: Header=BB326_497 Depth=1
	s_delay_alu instid0(SALU_CYCLE_1) | instskip(SKIP_3) | instid1(VALU_DEP_2)
	s_or_b32 exec_lo, exec_lo, s23
	v_dual_lshrrev_b32 v24, 16, v22 :: v_dual_mov_b32 v94, 0
	v_mov_b32_e32 v93, 0
	s_mov_b32 s23, exec_lo
	v_and_b32_e32 v16, 0xff, v24
	s_delay_alu instid0(VALU_DEP_1)
	v_cmpx_ne_u16_e32 0, v16
	s_cbranch_execz .LBB326_892
; %bb.885:                              ;   in Loop: Header=BB326_497 Depth=1
	v_bfrev_b32_e32 v93, 1
	s_mov_b32 s24, exec_lo
	v_cmpx_ne_u16_e32 0x80, v16
	s_cbranch_execz .LBB326_891
; %bb.886:                              ;   in Loop: Header=BB326_497 Depth=1
	v_bfe_u32 v95, v22, 16, 7
	v_mov_b32_e32 v93, 0x7f800001
	s_mov_b32 s25, exec_lo
	s_delay_alu instid0(VALU_DEP_2)
	v_cmpx_ne_u32_e32 0x7f, v95
	s_cbranch_execz .LBB326_890
; %bb.887:                              ;   in Loop: Header=BB326_497 Depth=1
	v_dual_lshrrev_b32 v25, 3, v95 :: v_dual_bitop2_b32 v16, 7, v24 bitop3:0x40
	s_mov_b32 s27, exec_lo
	v_cmpx_gt_u32_e32 8, v95
; %bb.888:                              ;   in Loop: Header=BB326_497 Depth=1
	s_delay_alu instid0(VALU_DEP_2) | instskip(NEXT) | instid1(VALU_DEP_1)
	v_clz_i32_u32_e32 v25, v16
	v_min_u32_e32 v25, 32, v25
	s_delay_alu instid0(VALU_DEP_1) | instskip(NEXT) | instid1(VALU_DEP_1)
	v_subrev_nc_u32_e32 v93, 28, v25
	v_lshlrev_b64_e32 v[96:97], v93, v[16:17]
	s_delay_alu instid0(VALU_DEP_1)
	v_dual_sub_nc_u32 v25, 29, v25 :: v_dual_bitop2_b32 v16, 7, v96 bitop3:0x40
; %bb.889:                              ;   in Loop: Header=BB326_497 Depth=1
	s_or_b32 exec_lo, exec_lo, s27
	v_lshlrev_b32_e32 v24, 24, v24
	s_delay_alu instid0(VALU_DEP_2) | instskip(NEXT) | instid1(VALU_DEP_3)
	v_lshlrev_b32_e32 v16, 20, v16
	v_lshl_add_u32 v25, v25, 23, 0x3c000000
	s_delay_alu instid0(VALU_DEP_3) | instskip(NEXT) | instid1(VALU_DEP_1)
	v_and_b32_e32 v24, 0x80000000, v24
	v_or3_b32 v93, v16, v24, v25
.LBB326_890:                            ;   in Loop: Header=BB326_497 Depth=1
	s_or_b32 exec_lo, exec_lo, s25
.LBB326_891:                            ;   in Loop: Header=BB326_497 Depth=1
	s_delay_alu instid0(SALU_CYCLE_1)
	s_or_b32 exec_lo, exec_lo, s24
.LBB326_892:                            ;   in Loop: Header=BB326_497 Depth=1
	s_delay_alu instid0(SALU_CYCLE_1) | instskip(NEXT) | instid1(SALU_CYCLE_1)
	s_or_b32 exec_lo, exec_lo, s23
	s_mov_b32 s23, exec_lo
	v_cmpx_lt_u32_e32 0xffffff, v22
	s_cbranch_execz .LBB326_900
; %bb.893:                              ;   in Loop: Header=BB326_497 Depth=1
	v_lshrrev_b32_e32 v24, 24, v22
	v_bfrev_b32_e32 v94, 1
	s_mov_b32 s24, exec_lo
	s_delay_alu instid0(VALU_DEP_2)
	v_cmpx_ne_u32_e32 0x80, v24
	s_cbranch_execz .LBB326_899
; %bb.894:                              ;   in Loop: Header=BB326_497 Depth=1
	v_bfe_u32 v95, v22, 24, 7
	v_mov_b32_e32 v94, 0x7f800001
	s_mov_b32 s25, exec_lo
	s_delay_alu instid0(VALU_DEP_2)
	v_cmpx_ne_u32_e32 0x7f, v95
	s_cbranch_execz .LBB326_898
; %bb.895:                              ;   in Loop: Header=BB326_497 Depth=1
	v_dual_lshrrev_b32 v25, 3, v95 :: v_dual_bitop2_b32 v16, 7, v24 bitop3:0x40
	s_mov_b32 s27, exec_lo
	v_cmpx_gt_u32_e32 8, v95
; %bb.896:                              ;   in Loop: Header=BB326_497 Depth=1
	s_delay_alu instid0(VALU_DEP_2) | instskip(NEXT) | instid1(VALU_DEP_1)
	v_clz_i32_u32_e32 v25, v16
	v_min_u32_e32 v25, 32, v25
	s_delay_alu instid0(VALU_DEP_1) | instskip(NEXT) | instid1(VALU_DEP_1)
	v_subrev_nc_u32_e32 v94, 28, v25
	v_lshlrev_b64_e32 v[94:95], v94, v[16:17]
	s_delay_alu instid0(VALU_DEP_1)
	v_dual_sub_nc_u32 v25, 29, v25 :: v_dual_bitop2_b32 v16, 7, v94 bitop3:0x40
; %bb.897:                              ;   in Loop: Header=BB326_497 Depth=1
	s_or_b32 exec_lo, exec_lo, s27
	v_lshlrev_b32_e32 v24, 24, v24
	s_delay_alu instid0(VALU_DEP_2) | instskip(NEXT) | instid1(VALU_DEP_3)
	v_lshlrev_b32_e32 v16, 20, v16
	v_lshl_add_u32 v25, v25, 23, 0x3c000000
	s_delay_alu instid0(VALU_DEP_3) | instskip(NEXT) | instid1(VALU_DEP_1)
	v_and_b32_e32 v24, 0x80000000, v24
	v_or3_b32 v94, v16, v24, v25
.LBB326_898:                            ;   in Loop: Header=BB326_497 Depth=1
	s_or_b32 exec_lo, exec_lo, s25
.LBB326_899:                            ;   in Loop: Header=BB326_497 Depth=1
	s_delay_alu instid0(SALU_CYCLE_1)
	s_or_b32 exec_lo, exec_lo, s24
.LBB326_900:                            ;   in Loop: Header=BB326_497 Depth=1
	s_delay_alu instid0(SALU_CYCLE_1) | instskip(SKIP_4) | instid1(VALU_DEP_3)
	s_or_b32 exec_lo, exec_lo, s23
	v_and_b32_e32 v25, 0xff, v23
	v_dual_mov_b32 v16, v23 :: v_dual_mov_b32 v24, 0
	v_mov_b32_e32 v95, 0
	s_mov_b32 s23, exec_lo
	v_cmpx_ne_u16_e32 0, v25
	s_cbranch_execz .LBB326_906
; %bb.901:                              ;   in Loop: Header=BB326_497 Depth=1
	v_bfrev_b32_e32 v95, 1
	s_mov_b32 s24, exec_lo
	v_cmpx_ne_u16_e32 0x80, v25
	s_cbranch_execz .LBB326_905
; %bb.902:                              ;   in Loop: Header=BB326_497 Depth=1
	v_and_b32_e32 v25, 0x7f, v23
	v_mov_b32_e32 v95, 0x7f800001
	s_mov_b32 s25, exec_lo
	s_delay_alu instid0(VALU_DEP_2)
	v_cmpx_ne_u32_e32 0x7f, v25
	s_cbranch_execz .LBB326_904
; %bb.903:                              ;   in Loop: Header=BB326_497 Depth=1
	v_dual_lshrrev_b32 v96, 3, v25 :: v_dual_bitop2_b32 v95, 7, v23 bitop3:0x40
	v_cmp_gt_u32_e64 s0, 8, v25
	s_delay_alu instid0(VALU_DEP_2) | instskip(NEXT) | instid1(VALU_DEP_1)
	v_clz_i32_u32_e32 v95, v95
	v_min_u32_e32 v95, 32, v95
	s_delay_alu instid0(VALU_DEP_1) | instskip(SKIP_1) | instid1(VALU_DEP_1)
	v_subrev_nc_u32_e32 v97, 28, v95
	v_sub_nc_u32_e32 v95, 29, v95
	v_dual_cndmask_b32 v25, v96, v95, s0 :: v_dual_cndmask_b32 v95, 0, v97, s0
	s_delay_alu instid0(VALU_DEP_1) | instskip(NEXT) | instid1(VALU_DEP_2)
	v_lshl_add_u32 v25, v25, 23, 0x3c000000
	v_lshlrev_b64_e32 v[96:97], v95, v[16:17]
	v_lshlrev_b32_e32 v95, 24, v16
	s_delay_alu instid0(VALU_DEP_1) | instskip(NEXT) | instid1(VALU_DEP_3)
	v_and_b32_e32 v95, 0x80000000, v95
	v_lshlrev_b32_e32 v96, 20, v96
	s_delay_alu instid0(VALU_DEP_1) | instskip(NEXT) | instid1(VALU_DEP_1)
	v_and_b32_e32 v96, 0x700000, v96
	v_or3_b32 v95, v96, v95, v25
.LBB326_904:                            ;   in Loop: Header=BB326_497 Depth=1
	s_or_b32 exec_lo, exec_lo, s25
.LBB326_905:                            ;   in Loop: Header=BB326_497 Depth=1
	s_delay_alu instid0(SALU_CYCLE_1)
	s_or_b32 exec_lo, exec_lo, s24
.LBB326_906:                            ;   in Loop: Header=BB326_497 Depth=1
	s_delay_alu instid0(SALU_CYCLE_1) | instskip(SKIP_2) | instid1(VALU_DEP_1)
	s_or_b32 exec_lo, exec_lo, s23
	v_lshrrev_b16 v25, 8, v16
	s_mov_b32 s23, exec_lo
	v_cmpx_ne_u16_e32 0, v25
	s_cbranch_execz .LBB326_914
; %bb.907:                              ;   in Loop: Header=BB326_497 Depth=1
	v_bfrev_b32_e32 v24, 1
	s_mov_b32 s24, exec_lo
	v_cmpx_ne_u16_e32 0x80, v25
	s_cbranch_execz .LBB326_913
; %bb.908:                              ;   in Loop: Header=BB326_497 Depth=1
	v_and_b32_e32 v25, 0xffff, v25
	v_mov_b32_e32 v24, 0x7f800001
	s_mov_b32 s25, exec_lo
	s_delay_alu instid0(VALU_DEP_2) | instskip(NEXT) | instid1(VALU_DEP_1)
	v_and_b32_e32 v97, 0x7f, v25
	v_cmpx_ne_u32_e32 0x7f, v97
	s_cbranch_execz .LBB326_912
; %bb.909:                              ;   in Loop: Header=BB326_497 Depth=1
	v_dual_mov_b32 v25, v17 :: v_dual_bitop2_b32 v24, 7, v25 bitop3:0x40
	v_lshrrev_b32_e32 v96, 3, v97
	s_mov_b32 s27, exec_lo
	v_cmpx_gt_u32_e32 8, v97
; %bb.910:                              ;   in Loop: Header=BB326_497 Depth=1
	s_delay_alu instid0(VALU_DEP_3) | instskip(NEXT) | instid1(VALU_DEP_1)
	v_clz_i32_u32_e32 v96, v24
	v_min_u32_e32 v96, 32, v96
	s_delay_alu instid0(VALU_DEP_1) | instskip(SKIP_1) | instid1(VALU_DEP_2)
	v_subrev_nc_u32_e32 v97, 28, v96
	v_sub_nc_u32_e32 v96, 29, v96
	v_lshlrev_b64_e32 v[24:25], v97, v[24:25]
	s_delay_alu instid0(VALU_DEP_1)
	v_and_b32_e32 v24, 7, v24
; %bb.911:                              ;   in Loop: Header=BB326_497 Depth=1
	s_or_b32 exec_lo, exec_lo, s27
	v_lshlrev_b32_e32 v16, 16, v16
	s_delay_alu instid0(VALU_DEP_2) | instskip(SKIP_1) | instid1(VALU_DEP_3)
	v_lshlrev_b32_e32 v24, 20, v24
	v_lshl_add_u32 v25, v96, 23, 0x3c000000
	v_and_b32_e32 v16, 0x80000000, v16
	s_delay_alu instid0(VALU_DEP_1)
	v_or3_b32 v24, v24, v16, v25
.LBB326_912:                            ;   in Loop: Header=BB326_497 Depth=1
	s_or_b32 exec_lo, exec_lo, s25
.LBB326_913:                            ;   in Loop: Header=BB326_497 Depth=1
	s_delay_alu instid0(SALU_CYCLE_1)
	s_or_b32 exec_lo, exec_lo, s24
.LBB326_914:                            ;   in Loop: Header=BB326_497 Depth=1
	s_delay_alu instid0(SALU_CYCLE_1) | instskip(SKIP_3) | instid1(VALU_DEP_2)
	s_or_b32 exec_lo, exec_lo, s23
	v_dual_mov_b32 v96, 0 :: v_dual_lshrrev_b32 v25, 16, v23
	v_mov_b32_e32 v97, 0
	s_mov_b32 s23, exec_lo
	v_and_b32_e32 v16, 0xff, v25
	s_delay_alu instid0(VALU_DEP_1)
	v_cmpx_ne_u16_e32 0, v16
	s_cbranch_execz .LBB326_922
; %bb.915:                              ;   in Loop: Header=BB326_497 Depth=1
	v_bfrev_b32_e32 v97, 1
	s_mov_b32 s24, exec_lo
	v_cmpx_ne_u16_e32 0x80, v16
	s_cbranch_execz .LBB326_921
; %bb.916:                              ;   in Loop: Header=BB326_497 Depth=1
	v_bfe_u32 v98, v23, 16, 7
	v_mov_b32_e32 v97, 0x7f800001
	s_mov_b32 s25, exec_lo
	s_delay_alu instid0(VALU_DEP_2)
	v_cmpx_ne_u32_e32 0x7f, v98
	s_cbranch_execz .LBB326_920
; %bb.917:                              ;   in Loop: Header=BB326_497 Depth=1
	v_dual_lshrrev_b32 v97, 3, v98 :: v_dual_bitop2_b32 v16, 7, v25 bitop3:0x40
	s_mov_b32 s27, exec_lo
	v_cmpx_gt_u32_e32 8, v98
; %bb.918:                              ;   in Loop: Header=BB326_497 Depth=1
	s_delay_alu instid0(VALU_DEP_2) | instskip(NEXT) | instid1(VALU_DEP_1)
	v_clz_i32_u32_e32 v97, v16
	v_min_u32_e32 v97, 32, v97
	s_delay_alu instid0(VALU_DEP_1) | instskip(NEXT) | instid1(VALU_DEP_1)
	v_subrev_nc_u32_e32 v98, 28, v97
	v_lshlrev_b64_e32 v[98:99], v98, v[16:17]
	s_delay_alu instid0(VALU_DEP_1)
	v_dual_sub_nc_u32 v97, 29, v97 :: v_dual_bitop2_b32 v16, 7, v98 bitop3:0x40
; %bb.919:                              ;   in Loop: Header=BB326_497 Depth=1
	s_or_b32 exec_lo, exec_lo, s27
	s_delay_alu instid0(VALU_DEP_1) | instskip(NEXT) | instid1(VALU_DEP_2)
	v_dual_lshlrev_b32 v25, 24, v25 :: v_dual_lshlrev_b32 v16, 20, v16
	v_lshl_add_u32 v97, v97, 23, 0x3c000000
	s_delay_alu instid0(VALU_DEP_2) | instskip(NEXT) | instid1(VALU_DEP_1)
	v_and_b32_e32 v25, 0x80000000, v25
	v_or3_b32 v97, v16, v25, v97
.LBB326_920:                            ;   in Loop: Header=BB326_497 Depth=1
	s_or_b32 exec_lo, exec_lo, s25
.LBB326_921:                            ;   in Loop: Header=BB326_497 Depth=1
	s_delay_alu instid0(SALU_CYCLE_1)
	s_or_b32 exec_lo, exec_lo, s24
.LBB326_922:                            ;   in Loop: Header=BB326_497 Depth=1
	s_delay_alu instid0(SALU_CYCLE_1) | instskip(NEXT) | instid1(SALU_CYCLE_1)
	s_or_b32 exec_lo, exec_lo, s23
	s_mov_b32 s23, exec_lo
	v_cmpx_lt_u64_e64 s[2:3], v[22:23]
	s_cbranch_execz .LBB326_930
; %bb.923:                              ;   in Loop: Header=BB326_497 Depth=1
	v_lshrrev_b32_e32 v22, 24, v23
	v_bfrev_b32_e32 v96, 1
	s_mov_b32 s24, exec_lo
	s_delay_alu instid0(VALU_DEP_2)
	v_cmpx_ne_u32_e32 0x80, v22
	s_cbranch_execz .LBB326_929
; %bb.924:                              ;   in Loop: Header=BB326_497 Depth=1
	v_bfe_u32 v25, v23, 24, 7
	v_mov_b32_e32 v96, 0x7f800001
	s_mov_b32 s25, exec_lo
	s_delay_alu instid0(VALU_DEP_2)
	v_cmpx_ne_u32_e32 0x7f, v25
	s_cbranch_execz .LBB326_928
; %bb.925:                              ;   in Loop: Header=BB326_497 Depth=1
	v_dual_lshrrev_b32 v23, 3, v25 :: v_dual_bitop2_b32 v16, 7, v22 bitop3:0x40
	s_mov_b32 s27, exec_lo
	v_cmpx_gt_u32_e32 8, v25
; %bb.926:                              ;   in Loop: Header=BB326_497 Depth=1
	s_delay_alu instid0(VALU_DEP_2) | instskip(NEXT) | instid1(VALU_DEP_1)
	v_clz_i32_u32_e32 v23, v16
	v_min_u32_e32 v23, 32, v23
	s_delay_alu instid0(VALU_DEP_1) | instskip(NEXT) | instid1(VALU_DEP_1)
	v_subrev_nc_u32_e32 v25, 28, v23
	v_lshlrev_b64_e32 v[98:99], v25, v[16:17]
	s_delay_alu instid0(VALU_DEP_1)
	v_dual_sub_nc_u32 v23, 29, v23 :: v_dual_bitop2_b32 v16, 7, v98 bitop3:0x40
; %bb.927:                              ;   in Loop: Header=BB326_497 Depth=1
	s_or_b32 exec_lo, exec_lo, s27
	s_delay_alu instid0(VALU_DEP_1) | instskip(NEXT) | instid1(VALU_DEP_2)
	v_dual_lshlrev_b32 v22, 24, v22 :: v_dual_lshlrev_b32 v16, 20, v16
	v_lshl_add_u32 v23, v23, 23, 0x3c000000
	s_delay_alu instid0(VALU_DEP_2) | instskip(NEXT) | instid1(VALU_DEP_1)
	v_and_b32_e32 v22, 0x80000000, v22
	v_or3_b32 v96, v16, v22, v23
.LBB326_928:                            ;   in Loop: Header=BB326_497 Depth=1
	s_or_b32 exec_lo, exec_lo, s25
.LBB326_929:                            ;   in Loop: Header=BB326_497 Depth=1
	s_delay_alu instid0(SALU_CYCLE_1)
	s_or_b32 exec_lo, exec_lo, s24
.LBB326_930:                            ;   in Loop: Header=BB326_497 Depth=1
	s_delay_alu instid0(SALU_CYCLE_1)
	s_or_b32 exec_lo, exec_lo, s23
	v_fma_mixlo_bf16 v22, s22, v24, 0
	v_fma_mixlo_bf16 v24, s22, v95, 0
	v_fma_mixlo_bf16 v25, s22, v94, 0
	v_fma_mixlo_bf16 v93, s22, v93, 0
	v_fma_mixlo_bf16 v92, s22, v92, 0
	v_fma_mixlo_bf16 v91, s22, v91, 0
	v_fma_mixlo_bf16 v16, s22, v97, 0
	v_fma_mixlo_bf16 v23, s22, v96, 0
	s_and_saveexec_b32 s0, vcc_lo
	s_cbranch_execz .LBB326_495
; %bb.931:                              ;   in Loop: Header=BB326_497 Depth=1
	v_cmp_gt_i32_e32 vcc_lo, s34, v45
	v_cndmask_b32_e32 v91, 0, v91, vcc_lo
	v_cmp_gt_i32_e32 vcc_lo, s34, v52
	v_cndmask_b32_e32 v92, 0, v92, vcc_lo
	;; [unrolled: 2-line block ×8, first 2 shown]
	s_branch .LBB326_495
.LBB326_932:
	s_or_b32 exec_lo, exec_lo, s18
.LBB326_933:
	s_delay_alu instid0(SALU_CYCLE_1)
	s_or_b32 exec_lo, exec_lo, s1
	ds_bpermute_b32 v2, v31, v14
	ds_bpermute_b32 v3, v31, v15
	;; [unrolled: 1-line block ×7, first 2 shown]
	v_and_b32_e32 v18, 0x3c1, v0
	v_lshrrev_b32_e32 v9, 1, v30
	s_mov_b32 s0, exec_lo
	s_wait_dscnt 0x0
	s_barrier_signal -1
	s_barrier_wait -1
	v_pk_add_f32 v[6:7], v[14:15], v[2:3]
	v_pk_add_f32 v[4:5], v[12:13], v[4:5]
	;; [unrolled: 1-line block ×3, first 2 shown]
	v_cmpx_ne_u32_e32 64, v18
	s_xor_b32 s0, exec_lo, s0
	s_delay_alu instid0(SALU_CYCLE_1)
	s_or_saveexec_b32 s0, s0
	v_add_f32_e32 v8, v32, v8
	v_lshl_add_u32 v10, v9, 2, 0x100
	v_mul_u32_u24_e32 v11, 0x1c0, v39
	s_xor_b32 exec_lo, exec_lo, s0
	s_cbranch_execz .LBB326_935
; %bb.934:
	s_delay_alu instid0(VALU_DEP_1) | instskip(NEXT) | instid1(VALU_DEP_1)
	v_add_nc_u32_e32 v12, v10, v11
	v_add_nc_u32_e32 v13, 0xfffffc80, v12
	;; [unrolled: 1-line block ×8, first 2 shown]
	ds_store_b32 v13, v6
	ds_store_b32 v14, v7
	;; [unrolled: 1-line block ×7, first 2 shown]
.LBB326_935:
	s_or_b32 exec_lo, exec_lo, s0
	v_lshlrev_b32_e32 v9, 2, v9
	s_mov_b32 s1, exec_lo
	v_cmp_eq_u32_e32 vcc_lo, 0, v38
	s_wait_dscnt 0x0
	s_barrier_signal -1
	v_add3_u32 v9, 0x100, v11, v9
	s_barrier_wait -1
	v_cmpx_gt_u32_e32 64, v0
	s_cbranch_execz .LBB326_945
; %bb.936:
	s_and_saveexec_b32 s0, vcc_lo
	s_cbranch_execnz .LBB326_960
; %bb.937:
	s_or_b32 exec_lo, exec_lo, s0
	s_and_saveexec_b32 s0, vcc_lo
	s_cbranch_execnz .LBB326_961
.LBB326_938:
	s_or_b32 exec_lo, exec_lo, s0
	s_and_saveexec_b32 s0, vcc_lo
	s_cbranch_execnz .LBB326_962
.LBB326_939:
	s_or_b32 exec_lo, exec_lo, s0
	s_and_saveexec_b32 s0, vcc_lo
	s_cbranch_execnz .LBB326_963
.LBB326_940:
	s_or_b32 exec_lo, exec_lo, s0
	s_and_saveexec_b32 s0, vcc_lo
	s_cbranch_execnz .LBB326_964
.LBB326_941:
	s_or_b32 exec_lo, exec_lo, s0
	s_and_saveexec_b32 s0, vcc_lo
	s_cbranch_execnz .LBB326_965
.LBB326_942:
	s_or_b32 exec_lo, exec_lo, s0
	s_and_saveexec_b32 s0, vcc_lo
	s_cbranch_execz .LBB326_944
.LBB326_943:
	ds_load_b32 v11, v9 offset:384
	s_wait_dscnt 0x0
	v_add_f32_e32 v8, v8, v11
.LBB326_944:
	s_or_b32 exec_lo, exec_lo, s0
.LBB326_945:
	s_delay_alu instid0(SALU_CYCLE_1) | instskip(SKIP_4) | instid1(VALU_DEP_1)
	s_or_b32 exec_lo, exec_lo, s1
	v_and_b32_e32 v11, 0x3e1, v0
	s_mov_b32 s1, exec_lo
	s_barrier_signal -1
	s_barrier_wait -1
	v_cmpx_eq_u32_e32 32, v11
	s_cbranch_execz .LBB326_947
; %bb.946:
	ds_store_2addr_b32 v10, v6, v7 offset1:16
	ds_store_2addr_b32 v10, v4, v5 offset0:32 offset1:48
	ds_store_2addr_b32 v10, v2, v3 offset0:64 offset1:80
	ds_store_b32 v10, v8 offset:384
.LBB326_947:
	s_or_b32 exec_lo, exec_lo, s1
	s_delay_alu instid0(SALU_CYCLE_1)
	s_mov_b32 s1, exec_lo
	s_wait_dscnt 0x0
	s_barrier_signal -1
	s_barrier_wait -1
	v_cmpx_gt_u32_e32 32, v0
	s_cbranch_execz .LBB326_957
; %bb.948:
	s_and_saveexec_b32 s0, vcc_lo
	s_cbranch_execnz .LBB326_966
; %bb.949:
	s_or_b32 exec_lo, exec_lo, s0
	s_and_saveexec_b32 s0, vcc_lo
	s_cbranch_execnz .LBB326_967
.LBB326_950:
	s_or_b32 exec_lo, exec_lo, s0
	s_and_saveexec_b32 s0, vcc_lo
	s_cbranch_execnz .LBB326_968
.LBB326_951:
	s_or_b32 exec_lo, exec_lo, s0
	s_and_saveexec_b32 s0, vcc_lo
	s_cbranch_execnz .LBB326_969
.LBB326_952:
	s_or_b32 exec_lo, exec_lo, s0
	s_and_saveexec_b32 s0, vcc_lo
	s_cbranch_execnz .LBB326_970
.LBB326_953:
	s_or_b32 exec_lo, exec_lo, s0
	s_and_saveexec_b32 s0, vcc_lo
	s_cbranch_execnz .LBB326_971
.LBB326_954:
	s_or_b32 exec_lo, exec_lo, s0
	s_and_saveexec_b32 s0, vcc_lo
	s_cbranch_execz .LBB326_956
.LBB326_955:
	ds_load_b32 v0, v9 offset:384
	s_wait_dscnt 0x0
	v_add_f32_e32 v8, v8, v0
.LBB326_956:
	s_or_b32 exec_lo, exec_lo, s0
.LBB326_957:
	s_delay_alu instid0(SALU_CYCLE_1)
	s_or_b32 exec_lo, exec_lo, s1
	s_mov_b32 s1, 0
	s_barrier_signal -1
	s_barrier_wait -1
	s_mov_b32 s0, exec_lo
	v_cmpx_eq_u32_e32 0, v11
	s_cbranch_execz .LBB326_959
; %bb.958:
	s_mul_i32 s0, s33, s7
	s_mul_i32 s2, s7, s6
	;; [unrolled: 1-line block ×3, first 2 shown]
	s_wait_kmcnt 0x0
	s_lshr_b32 s8, ttmp7, 16
	s_mul_i32 s6, s0, 0x70
	s_bfe_u32 s0, ttmp6, 0x40014
	s_ashr_i32 s7, s6, 31
	s_add_co_i32 s0, s0, 1
	s_ashr_i32 s3, s2, 31
	s_mul_i32 s0, s8, s0
	s_bfe_u32 s9, ttmp6, 0x40008
	s_lshl_b64 s[6:7], s[6:7], 1
	s_lshl_b64 s[2:3], s[2:3], 1
	s_add_co_i32 s9, s9, s0
	s_cmp_eq_u32 s30, 0
	s_add_nc_u64 s[4:5], s[4:5], s[6:7]
	s_cselect_b32 s0, s8, s9
	s_add_nc_u64 s[2:3], s[4:5], s[2:3]
	s_mulk_i32 s0, 0xe0
	s_delay_alu instid0(SALU_CYCLE_1) | instskip(NEXT) | instid1(SALU_CYCLE_1)
	s_add_nc_u64 s[0:1], s[2:3], s[0:1]
	v_cvt_pk_bf16_f32 v0, v6, s0
	v_cvt_pk_bf16_f32 v6, v7, s0
	;; [unrolled: 1-line block ×7, first 2 shown]
	s_clause 0x6
	global_store_b16 v1, v0, s[0:1] scale_offset
	global_store_b16 v1, v6, s[0:1] offset:32 scale_offset
	global_store_b16 v1, v4, s[0:1] offset:64 scale_offset
	global_store_b16 v1, v5, s[0:1] offset:96 scale_offset
	global_store_b16 v1, v2, s[0:1] offset:128 scale_offset
	global_store_b16 v1, v3, s[0:1] offset:160 scale_offset
	global_store_b16 v1, v7, s[0:1] offset:192 scale_offset
.LBB326_959:
	s_sendmsg sendmsg(MSG_DEALLOC_VGPRS)
	s_endpgm
.LBB326_960:
	ds_load_b32 v11, v9
	s_wait_dscnt 0x0
	v_add_f32_e32 v6, v6, v11
	s_or_b32 exec_lo, exec_lo, s0
	s_and_saveexec_b32 s0, vcc_lo
	s_cbranch_execz .LBB326_938
.LBB326_961:
	ds_load_b32 v11, v9 offset:64
	s_wait_dscnt 0x0
	v_add_f32_e32 v7, v7, v11
	s_or_b32 exec_lo, exec_lo, s0
	s_and_saveexec_b32 s0, vcc_lo
	s_cbranch_execz .LBB326_939
.LBB326_962:
	ds_load_b32 v11, v9 offset:128
	s_wait_dscnt 0x0
	v_add_f32_e32 v4, v4, v11
	s_or_b32 exec_lo, exec_lo, s0
	s_and_saveexec_b32 s0, vcc_lo
	s_cbranch_execz .LBB326_940
.LBB326_963:
	ds_load_b32 v11, v9 offset:192
	s_wait_dscnt 0x0
	v_add_f32_e32 v5, v5, v11
	s_or_b32 exec_lo, exec_lo, s0
	s_and_saveexec_b32 s0, vcc_lo
	s_cbranch_execz .LBB326_941
.LBB326_964:
	ds_load_b32 v11, v9 offset:256
	s_wait_dscnt 0x0
	v_add_f32_e32 v2, v2, v11
	s_or_b32 exec_lo, exec_lo, s0
	s_and_saveexec_b32 s0, vcc_lo
	s_cbranch_execz .LBB326_942
.LBB326_965:
	ds_load_b32 v11, v9 offset:320
	s_wait_dscnt 0x0
	v_add_f32_e32 v3, v3, v11
	s_or_b32 exec_lo, exec_lo, s0
	s_and_saveexec_b32 s0, vcc_lo
	s_cbranch_execnz .LBB326_943
	s_branch .LBB326_944
.LBB326_966:
	ds_load_b32 v0, v9
	s_wait_dscnt 0x0
	v_add_f32_e32 v6, v6, v0
	s_or_b32 exec_lo, exec_lo, s0
	s_and_saveexec_b32 s0, vcc_lo
	s_cbranch_execz .LBB326_950
.LBB326_967:
	ds_load_b32 v0, v9 offset:64
	s_wait_dscnt 0x0
	v_add_f32_e32 v7, v7, v0
	s_or_b32 exec_lo, exec_lo, s0
	s_and_saveexec_b32 s0, vcc_lo
	s_cbranch_execz .LBB326_951
.LBB326_968:
	ds_load_b32 v0, v9 offset:128
	s_wait_dscnt 0x0
	v_add_f32_e32 v4, v4, v0
	s_or_b32 exec_lo, exec_lo, s0
	s_and_saveexec_b32 s0, vcc_lo
	s_cbranch_execz .LBB326_952
.LBB326_969:
	ds_load_b32 v0, v9 offset:192
	s_wait_dscnt 0x0
	v_add_f32_e32 v5, v5, v0
	s_or_b32 exec_lo, exec_lo, s0
	s_and_saveexec_b32 s0, vcc_lo
	s_cbranch_execz .LBB326_953
.LBB326_970:
	ds_load_b32 v0, v9 offset:256
	s_wait_dscnt 0x0
	v_add_f32_e32 v2, v2, v0
	s_or_b32 exec_lo, exec_lo, s0
	s_and_saveexec_b32 s0, vcc_lo
	s_cbranch_execz .LBB326_954
.LBB326_971:
	ds_load_b32 v0, v9 offset:320
	s_wait_dscnt 0x0
	v_add_f32_e32 v3, v3, v0
	s_or_b32 exec_lo, exec_lo, s0
	s_and_saveexec_b32 s0, vcc_lo
	s_cbranch_execnz .LBB326_955
	s_branch .LBB326_956
	.section	.rodata,"a",@progbits
	.p2align	6, 0x0
	.amdhsa_kernel _ZN4vllm25paged_attention_v1_kernelI14__hip_bfloat16hLi112ELi16ELi128ELNS_18Fp8KVCacheDataTypeE1ELb1EEEvPT_PKS3_PKT0_S9_ifPKiSB_iPKfiiiSD_SD_iiiii
		.amdhsa_group_segment_fixed_size 256
		.amdhsa_private_segment_fixed_size 0
		.amdhsa_kernarg_size 384
		.amdhsa_user_sgpr_count 2
		.amdhsa_user_sgpr_dispatch_ptr 0
		.amdhsa_user_sgpr_queue_ptr 0
		.amdhsa_user_sgpr_kernarg_segment_ptr 1
		.amdhsa_user_sgpr_dispatch_id 0
		.amdhsa_user_sgpr_kernarg_preload_length 0
		.amdhsa_user_sgpr_kernarg_preload_offset 0
		.amdhsa_user_sgpr_private_segment_size 0
		.amdhsa_wavefront_size32 1
		.amdhsa_uses_dynamic_stack 0
		.amdhsa_enable_private_segment 0
		.amdhsa_system_sgpr_workgroup_id_x 1
		.amdhsa_system_sgpr_workgroup_id_y 1
		.amdhsa_system_sgpr_workgroup_id_z 1
		.amdhsa_system_sgpr_workgroup_info 0
		.amdhsa_system_vgpr_workitem_id 0
		.amdhsa_next_free_vgpr 108
		.amdhsa_next_free_sgpr 46
		.amdhsa_named_barrier_count 0
		.amdhsa_reserve_vcc 1
		.amdhsa_float_round_mode_32 0
		.amdhsa_float_round_mode_16_64 0
		.amdhsa_float_denorm_mode_32 3
		.amdhsa_float_denorm_mode_16_64 3
		.amdhsa_fp16_overflow 0
		.amdhsa_memory_ordered 1
		.amdhsa_forward_progress 1
		.amdhsa_inst_pref_size 255
		.amdhsa_round_robin_scheduling 0
		.amdhsa_exception_fp_ieee_invalid_op 0
		.amdhsa_exception_fp_denorm_src 0
		.amdhsa_exception_fp_ieee_div_zero 0
		.amdhsa_exception_fp_ieee_overflow 0
		.amdhsa_exception_fp_ieee_underflow 0
		.amdhsa_exception_fp_ieee_inexact 0
		.amdhsa_exception_int_div_zero 0
	.end_amdhsa_kernel
	.section	.text._ZN4vllm25paged_attention_v1_kernelI14__hip_bfloat16hLi112ELi16ELi128ELNS_18Fp8KVCacheDataTypeE1ELb1EEEvPT_PKS3_PKT0_S9_ifPKiSB_iPKfiiiSD_SD_iiiii,"axG",@progbits,_ZN4vllm25paged_attention_v1_kernelI14__hip_bfloat16hLi112ELi16ELi128ELNS_18Fp8KVCacheDataTypeE1ELb1EEEvPT_PKS3_PKT0_S9_ifPKiSB_iPKfiiiSD_SD_iiiii,comdat
.Lfunc_end326:
	.size	_ZN4vllm25paged_attention_v1_kernelI14__hip_bfloat16hLi112ELi16ELi128ELNS_18Fp8KVCacheDataTypeE1ELb1EEEvPT_PKS3_PKT0_S9_ifPKiSB_iPKfiiiSD_SD_iiiii, .Lfunc_end326-_ZN4vllm25paged_attention_v1_kernelI14__hip_bfloat16hLi112ELi16ELi128ELNS_18Fp8KVCacheDataTypeE1ELb1EEEvPT_PKS3_PKT0_S9_ifPKiSB_iPKfiiiSD_SD_iiiii
                                        ; -- End function
	.set _ZN4vllm25paged_attention_v1_kernelI14__hip_bfloat16hLi112ELi16ELi128ELNS_18Fp8KVCacheDataTypeE1ELb1EEEvPT_PKS3_PKT0_S9_ifPKiSB_iPKfiiiSD_SD_iiiii.num_vgpr, 108
	.set _ZN4vllm25paged_attention_v1_kernelI14__hip_bfloat16hLi112ELi16ELi128ELNS_18Fp8KVCacheDataTypeE1ELb1EEEvPT_PKS3_PKT0_S9_ifPKiSB_iPKfiiiSD_SD_iiiii.num_agpr, 0
	.set _ZN4vllm25paged_attention_v1_kernelI14__hip_bfloat16hLi112ELi16ELi128ELNS_18Fp8KVCacheDataTypeE1ELb1EEEvPT_PKS3_PKT0_S9_ifPKiSB_iPKfiiiSD_SD_iiiii.numbered_sgpr, 46
	.set _ZN4vllm25paged_attention_v1_kernelI14__hip_bfloat16hLi112ELi16ELi128ELNS_18Fp8KVCacheDataTypeE1ELb1EEEvPT_PKS3_PKT0_S9_ifPKiSB_iPKfiiiSD_SD_iiiii.num_named_barrier, 0
	.set _ZN4vllm25paged_attention_v1_kernelI14__hip_bfloat16hLi112ELi16ELi128ELNS_18Fp8KVCacheDataTypeE1ELb1EEEvPT_PKS3_PKT0_S9_ifPKiSB_iPKfiiiSD_SD_iiiii.private_seg_size, 0
	.set _ZN4vllm25paged_attention_v1_kernelI14__hip_bfloat16hLi112ELi16ELi128ELNS_18Fp8KVCacheDataTypeE1ELb1EEEvPT_PKS3_PKT0_S9_ifPKiSB_iPKfiiiSD_SD_iiiii.uses_vcc, 1
	.set _ZN4vllm25paged_attention_v1_kernelI14__hip_bfloat16hLi112ELi16ELi128ELNS_18Fp8KVCacheDataTypeE1ELb1EEEvPT_PKS3_PKT0_S9_ifPKiSB_iPKfiiiSD_SD_iiiii.uses_flat_scratch, 0
	.set _ZN4vllm25paged_attention_v1_kernelI14__hip_bfloat16hLi112ELi16ELi128ELNS_18Fp8KVCacheDataTypeE1ELb1EEEvPT_PKS3_PKT0_S9_ifPKiSB_iPKfiiiSD_SD_iiiii.has_dyn_sized_stack, 0
	.set _ZN4vllm25paged_attention_v1_kernelI14__hip_bfloat16hLi112ELi16ELi128ELNS_18Fp8KVCacheDataTypeE1ELb1EEEvPT_PKS3_PKT0_S9_ifPKiSB_iPKfiiiSD_SD_iiiii.has_recursion, 0
	.set _ZN4vllm25paged_attention_v1_kernelI14__hip_bfloat16hLi112ELi16ELi128ELNS_18Fp8KVCacheDataTypeE1ELb1EEEvPT_PKS3_PKT0_S9_ifPKiSB_iPKfiiiSD_SD_iiiii.has_indirect_call, 0
	.section	.AMDGPU.csdata,"",@progbits
; Kernel info:
; codeLenInByte = 33432
; TotalNumSgprs: 48
; NumVgprs: 108
; ScratchSize: 0
; MemoryBound: 0
; FloatMode: 240
; IeeeMode: 1
; LDSByteSize: 256 bytes/workgroup (compile time only)
; SGPRBlocks: 0
; VGPRBlocks: 6
; NumSGPRsForWavesPerEU: 48
; NumVGPRsForWavesPerEU: 108
; NamedBarCnt: 0
; Occupancy: 9
; WaveLimiterHint : 1
; COMPUTE_PGM_RSRC2:SCRATCH_EN: 0
; COMPUTE_PGM_RSRC2:USER_SGPR: 2
; COMPUTE_PGM_RSRC2:TRAP_HANDLER: 0
; COMPUTE_PGM_RSRC2:TGID_X_EN: 1
; COMPUTE_PGM_RSRC2:TGID_Y_EN: 1
; COMPUTE_PGM_RSRC2:TGID_Z_EN: 1
; COMPUTE_PGM_RSRC2:TIDIG_COMP_CNT: 0
	.section	.text._ZN4vllm25paged_attention_v1_kernelI14__hip_bfloat16hLi120ELi16ELi128ELNS_18Fp8KVCacheDataTypeE1ELb1EEEvPT_PKS3_PKT0_S9_ifPKiSB_iPKfiiiSD_SD_iiiii,"axG",@progbits,_ZN4vllm25paged_attention_v1_kernelI14__hip_bfloat16hLi120ELi16ELi128ELNS_18Fp8KVCacheDataTypeE1ELb1EEEvPT_PKS3_PKT0_S9_ifPKiSB_iPKfiiiSD_SD_iiiii,comdat
	.protected	_ZN4vllm25paged_attention_v1_kernelI14__hip_bfloat16hLi120ELi16ELi128ELNS_18Fp8KVCacheDataTypeE1ELb1EEEvPT_PKS3_PKT0_S9_ifPKiSB_iPKfiiiSD_SD_iiiii ; -- Begin function _ZN4vllm25paged_attention_v1_kernelI14__hip_bfloat16hLi120ELi16ELi128ELNS_18Fp8KVCacheDataTypeE1ELb1EEEvPT_PKS3_PKT0_S9_ifPKiSB_iPKfiiiSD_SD_iiiii
	.globl	_ZN4vllm25paged_attention_v1_kernelI14__hip_bfloat16hLi120ELi16ELi128ELNS_18Fp8KVCacheDataTypeE1ELb1EEEvPT_PKS3_PKT0_S9_ifPKiSB_iPKfiiiSD_SD_iiiii
	.p2align	8
	.type	_ZN4vllm25paged_attention_v1_kernelI14__hip_bfloat16hLi120ELi16ELi128ELNS_18Fp8KVCacheDataTypeE1ELb1EEEvPT_PKS3_PKT0_S9_ifPKiSB_iPKfiiiSD_SD_iiiii,@function
_ZN4vllm25paged_attention_v1_kernelI14__hip_bfloat16hLi120ELi16ELi128ELNS_18Fp8KVCacheDataTypeE1ELb1EEEvPT_PKS3_PKT0_S9_ifPKiSB_iPKfiiiSD_SD_iiiii: ; @_ZN4vllm25paged_attention_v1_kernelI14__hip_bfloat16hLi120ELi16ELi128ELNS_18Fp8KVCacheDataTypeE1ELb1EEEvPT_PKS3_PKT0_S9_ifPKiSB_iPKfiiiSD_SD_iiiii
; %bb.0:
	s_load_b64 s[26:27], s[0:1], 0x20
	s_bfe_u32 s3, ttmp6, 0x4000c
	s_bfe_u32 s4, ttmp6, 0x40010
	s_and_b32 s6, ttmp7, 0xffff
	s_add_co_i32 s3, s3, 1
	s_add_co_i32 s4, s4, 1
	s_and_b32 s2, ttmp6, 15
	s_bfe_u32 s5, ttmp6, 0x40004
	s_mul_i32 s3, ttmp9, s3
	s_mul_i32 s4, s6, s4
	s_getreg_b32 s30, hwreg(HW_REG_IB_STS2, 6, 4)
	s_add_co_i32 s2, s2, s3
	s_add_co_i32 s3, s5, s4
	s_cmp_eq_u32 s30, 0
	s_clause 0x1
	s_load_b32 s31, s[0:1], 0x80
	s_load_b64 s[4:5], s[0:1], 0x30
	s_cselect_b32 s33, s6, s3
	s_cselect_b32 s2, ttmp9, s2
	s_wait_kmcnt 0x0
	s_abs_i32 s3, s26
	s_delay_alu instid0(SALU_CYCLE_1) | instskip(SKIP_1) | instid1(SALU_CYCLE_2)
	s_cvt_f32_u32 s6, s3
	s_sub_co_i32 s7, 0, s3
	v_rcp_iflag_f32_e32 v1, s6
	s_abs_i32 s8, s31
	v_nop
	s_delay_alu instid0(TRANS32_DEP_1) | instskip(SKIP_1) | instid1(SALU_CYCLE_3)
	v_readfirstlane_b32 s6, v1
	s_mul_f32 s6, s6, 0x4f7ffffe
	s_cvt_u32_f32 s6, s6
	s_delay_alu instid0(SALU_CYCLE_3) | instskip(NEXT) | instid1(SALU_CYCLE_1)
	s_mul_i32 s7, s7, s6
	s_mul_hi_u32 s7, s6, s7
	s_delay_alu instid0(SALU_CYCLE_1) | instskip(SKIP_4) | instid1(SALU_CYCLE_1)
	s_add_co_i32 s6, s6, s7
	s_xor_b32 s7, s31, s26
	s_mul_hi_u32 s6, s8, s6
	s_ashr_i32 s7, s7, 31
	s_mul_i32 s9, s6, s3
	s_sub_co_i32 s8, s8, s9
	s_add_co_i32 s9, s6, 1
	s_sub_co_i32 s10, s8, s3
	s_cmp_ge_u32 s8, s3
	s_cselect_b32 s6, s9, s6
	s_cselect_b32 s8, s10, s8
	s_add_co_i32 s9, s6, 1
	s_cmp_ge_u32 s8, s3
	s_load_b64 s[10:11], s[0:1], 0x40
	s_cselect_b32 s3, s9, s6
	s_mov_b32 s9, 0
	s_xor_b32 s3, s3, s7
	s_abs_i32 s8, s2
	s_sub_co_i32 s12, s3, s7
	s_mov_b32 s7, s9
	s_abs_i32 s19, s12
	s_mov_b32 s36, s9
	s_cvt_f32_u32 s3, s19
	s_sub_co_i32 s6, 0, s19
	s_delay_alu instid0(SALU_CYCLE_2) | instskip(SKIP_1) | instid1(TRANS32_DEP_1)
	v_rcp_iflag_f32_e32 v1, s3
	v_nop
	v_readfirstlane_b32 s3, v1
	s_mul_f32 s3, s3, 0x4f7ffffe
	s_delay_alu instid0(SALU_CYCLE_3) | instskip(NEXT) | instid1(SALU_CYCLE_3)
	s_cvt_u32_f32 s3, s3
	s_mul_i32 s6, s6, s3
	s_delay_alu instid0(SALU_CYCLE_1) | instskip(NEXT) | instid1(SALU_CYCLE_1)
	s_mul_hi_u32 s6, s3, s6
	s_add_co_i32 s6, s3, s6
	s_wait_kmcnt 0x0
	s_cmp_eq_u64 s[10:11], 0
	s_cbranch_scc1 .LBB327_2
; %bb.1:
	s_ashr_i32 s3, s2, 31
	s_delay_alu instid0(SALU_CYCLE_1) | instskip(NEXT) | instid1(SALU_CYCLE_1)
	s_lshl_b64 s[14:15], s[2:3], 2
	s_add_nc_u64 s[10:11], s[10:11], s[14:15]
	s_load_b32 s36, s[10:11], 0x0
.LBB327_2:
	s_load_b32 s34, s[4:5], s33 offset:0x0 scale_offset
	s_load_b96 s[16:18], s[0:1], 0x48
	v_dual_lshrrev_b32 v1, 1, v0 :: v_dual_bitop2_b32 v38, 1, v0 bitop3:0x40
	s_wait_xcnt 0x0
	s_mul_u64 s[4:5], s[8:9], s[6:7]
	s_ashr_i32 s3, s2, 31
	s_ashr_i32 s10, s12, 31
	s_mul_i32 s6, s2, 0x78
	s_mov_b32 s4, exec_lo
	v_cmpx_gt_u32_e32 30, v0
	s_cbranch_execz .LBB327_4
; %bb.3:
	s_load_b64 s[12:13], s[0:1], 0x8
	s_wait_kmcnt 0x0
	s_mul_i32 s14, s16, s33
	s_ashr_i32 s7, s6, 31
	s_ashr_i32 s15, s14, 31
	v_lshlrev_b32_e32 v4, 3, v1
	s_lshl_b64 s[14:15], s[14:15], 1
	s_delay_alu instid0(VALU_DEP_1) | instskip(SKIP_2) | instid1(SALU_CYCLE_1)
	v_mad_u32_u24 v4, 0x78, v38, v4
	s_add_nc_u64 s[12:13], s[12:13], s[14:15]
	s_lshl_b64 s[14:15], s[6:7], 1
	s_add_nc_u64 s[12:13], s[12:13], s[14:15]
	global_load_b64 v[2:3], v0, s[12:13] scale_offset
	s_wait_loadcnt 0x0
	ds_store_b64 v4, v[2:3]
.LBB327_4:
	s_or_b32 exec_lo, exec_lo, s4
	s_load_b128 s[12:15], s[0:1], 0x68
	s_mul_i32 s4, s5, s19
	s_xor_b32 s3, s3, s10
	s_sub_co_i32 s4, s8, s4
	s_add_co_i32 s7, s5, 1
	s_sub_co_i32 s8, s4, s19
	s_cmp_ge_u32 s4, s19
	s_mov_b32 s9, -1
	s_cselect_b32 s5, s7, s5
	s_cselect_b32 s4, s8, s4
	s_add_co_i32 s8, s5, 1
	s_cmp_ge_u32 s4, s19
	s_load_b32 s7, s[0:1], 0x78
	s_cselect_b32 s4, s8, s5
	s_wait_kmcnt 0x0
	s_add_co_i32 s8, s34, -1
	s_xor_b32 s4, s4, s3
	s_wait_dscnt 0x0
	s_sub_co_i32 s3, s4, s3
	s_barrier_signal -1
	s_barrier_wait -1
	s_abs_i32 s16, s15
	s_delay_alu instid0(SALU_CYCLE_1) | instskip(NEXT) | instid1(SALU_CYCLE_3)
	s_cvt_f32_u32 s5, s16
                                        ; implicit-def: $sgpr35
	v_rcp_iflag_f32_e32 v2, s5
	v_nop
	s_delay_alu instid0(TRANS32_DEP_1) | instskip(SKIP_1) | instid1(SALU_CYCLE_3)
	v_readfirstlane_b32 s5, v2
	s_mul_f32 s4, s5, 0x4f7ffffe
	s_cvt_u32_f32 s10, s4
	s_sub_co_i32 s4, 0, s16
	s_delay_alu instid0(SALU_CYCLE_2)
	s_mul_i32 s5, s4, s10
	s_abs_i32 s4, s8
	s_mul_hi_u32 s11, s10, s5
	s_mov_b32 s5, 0
	s_add_co_i32 s20, s10, s11
	s_cmp_lt_i32 s7, 0
	s_mov_b32 s21, s5
	s_cbranch_scc0 .LBB327_6
; %bb.5:
	s_mul_i32 s9, s12, s26
	s_delay_alu instid0(SALU_CYCLE_1) | instskip(NEXT) | instid1(SALU_CYCLE_1)
	s_add_co_i32 s9, s3, s9
	s_mul_i32 s9, s9, s7
	s_delay_alu instid0(SALU_CYCLE_1)
	s_sub_co_i32 s35, 1, s9
	s_mov_b32 s9, s5
.LBB327_6:
	s_ashr_i32 s8, s8, 31
	s_ashr_i32 s15, s15, 31
	s_and_not1_b32 vcc_lo, exec_lo, s9
	s_mul_u64 s[28:29], s[4:5], s[20:21]
	s_cbranch_vccnz .LBB327_8
; %bb.7:
	s_mul_i32 s5, s31, s12
	s_delay_alu instid0(SALU_CYCLE_1) | instskip(NEXT) | instid1(SALU_CYCLE_1)
	s_add_co_i32 s2, s5, s2
	s_mul_i32 s2, s2, s7
	s_delay_alu instid0(SALU_CYCLE_1)
	s_add_co_i32 s35, s2, 1
.LBB327_8:
	s_clause 0x1
	s_load_b32 s2, s[0:1], 0x38
	s_load_b64 s[22:23], s[0:1], 0x28
	s_mul_i32 s7, s29, s16
	s_xor_b32 s5, s8, s15
	s_sub_co_i32 s4, s4, s7
	s_add_co_i32 s12, s29, 1
	s_clause 0x1
	s_load_b32 s7, s[0:1], 0x88
	s_load_b128 s[8:11], s[0:1], 0x58
	v_dual_lshrrev_b32 v39, 5, v0 :: v_dual_lshrrev_b32 v27, 3, v0
	v_mov_b32_e32 v43, 0xff7fffff
	v_mbcnt_lo_u32_b32 v40, -1, 0
	s_mul_i32 s18, s3, s18
	s_delay_alu instid0(VALU_DEP_3)
	v_lshlrev_b32_e32 v26, 4, v39
	s_mov_b32 s37, exec_lo
	s_wait_kmcnt 0x0
	s_mul_i32 s24, s2, s33
	s_sub_co_i32 s2, s4, s16
	s_ashr_i32 s25, s24, 31
	s_cmp_ge_u32 s4, s16
	s_cselect_b32 s12, s12, s29
	s_cselect_b32 s2, s2, s4
	s_add_co_i32 s4, s12, 1
	s_cmp_ge_u32 s2, s16
	s_cselect_b32 s2, s4, s12
	s_add_co_i32 s4, s34, 15
	s_delay_alu instid0(SALU_CYCLE_1) | instskip(NEXT) | instid1(SALU_CYCLE_1)
	s_ashr_i32 s12, s4, 31
	s_lshr_b32 s12, s12, 28
	s_delay_alu instid0(SALU_CYCLE_1) | instskip(NEXT) | instid1(SALU_CYCLE_1)
	s_add_co_i32 s4, s4, s12
	s_ashr_i32 s26, s4, 4
	s_xor_b32 s4, s2, s5
	v_cmp_le_i32_e64 s2, s26, v39
	s_sub_co_i32 s12, s4, s5
	v_cmpx_gt_i32_e64 s26, v39
	s_cbranch_execz .LBB327_500
; %bb.9:
	s_load_b64 s[4:5], s[0:1], 0x10
	s_sub_co_i32 s38, s12, s13
	s_ashr_i32 s19, s18, 31
	s_cmp_neq_f32 s36, 0
	v_bfe_u32 v41, v0, 1, 4
	v_dual_mov_b32 v29, 0 :: v_dual_lshlrev_b32 v30, 4, v39
	s_cselect_b32 vcc_lo, -1, 0
	s_abs_i32 s39, s14
	s_delay_alu instid0(VALU_DEP_2)
	v_dual_lshlrev_b32 v28, 4, v41 :: v_dual_lshlrev_b32 v5, 2, v41
	s_cvt_f32_u32 s28, s39
	v_subrev_nc_u32_e32 v4, s34, v41
	s_lshl_b64 s[40:41], s[24:25], 2
	v_cmp_eq_u32_e64 s3, 0, v38
	v_rcp_iflag_f32_e32 v2, s28
	v_lshl_or_b32 v5, v39, 6, v5
	v_mul_u32_u24_e32 v42, 0x78, v38
	v_dual_mov_b32 v46, 0xff7fffff :: v_dual_mov_b32 v43, 0xff7fffff
	s_wait_kmcnt 0x0
	s_add_nc_u64 s[4:5], s[4:5], s[18:19]
	v_add_nc_u32_e32 v45, 0x110, v5
	v_readfirstlane_b32 s28, v2
	v_add_nc_u64_e32 v[2:3], s[4:5], v[28:29]
	v_dual_lshlrev_b32 v28, 2, v38 :: v_dual_add_nc_u32 v44, 1, v4
	s_add_nc_u64 s[4:5], s[22:23], s[40:41]
	s_mul_f32 s19, s28, 0x4f7ffffe
	s_sub_co_i32 s28, 0, s39
	v_mov_b32_e32 v47, v39
	s_delay_alu instid0(VALU_DEP_3) | instskip(SKIP_4) | instid1(VALU_DEP_1)
	v_add_nc_u64_e32 v[32:33], v[2:3], v[28:29]
	v_and_b32_e32 v28, 0x7c, v27
	s_cvt_u32_f32 s40, s19
	s_mov_b32 s29, 0
	s_mov_b32 s19, s17
	v_add_nc_u64_e32 v[34:35], s[4:5], v[28:29]
	s_mul_i32 s28, s28, s40
	s_delay_alu instid0(SALU_CYCLE_1) | instskip(NEXT) | instid1(SALU_CYCLE_1)
	s_mul_hi_u32 s28, s40, s28
	s_add_co_i32 s28, s40, s28
	s_mov_b32 s40, s29
	s_branch .LBB327_12
.LBB327_10:                             ;   in Loop: Header=BB327_12 Depth=1
	s_or_b32 exec_lo, exec_lo, s41
.LBB327_11:                             ;   in Loop: Header=BB327_12 Depth=1
	s_delay_alu instid0(SALU_CYCLE_1) | instskip(SKIP_3) | instid1(VALU_DEP_3)
	s_or_b32 exec_lo, exec_lo, s5
	v_dual_add_nc_u32 v47, 4, v47 :: v_dual_add_nc_u32 v30, 64, v30
	v_add_nc_u64_e32 v[34:35], 16, v[34:35]
	v_add_nc_u32_e32 v45, 0x100, v45
	v_cmp_le_i32_e64 s4, s26, v47
	s_or_b32 s40, s4, s40
	s_delay_alu instid0(SALU_CYCLE_1)
	s_and_not1_b32 exec_lo, exec_lo, s40
	s_cbranch_execz .LBB327_499
.LBB327_12:                             ; =>This Inner Loop Header: Depth=1
	v_mov_b32_e32 v31, v29
	s_wait_dscnt 0x0
	s_delay_alu instid0(VALU_DEP_1) | instskip(NEXT) | instid1(VALU_DEP_1)
	v_mul_u64_e32 v[2:3], s[20:21], v[30:31]
	v_mul_lo_u32 v2, v3, s16
	s_delay_alu instid0(VALU_DEP_1) | instskip(NEXT) | instid1(VALU_DEP_1)
	v_sub_nc_u32_e32 v2, v30, v2
	v_subrev_nc_u32_e32 v5, s16, v2
	v_cmp_le_u32_e64 s4, s16, v2
	s_delay_alu instid0(VALU_DEP_1) | instskip(NEXT) | instid1(VALU_DEP_1)
	v_dual_add_nc_u32 v4, 1, v3 :: v_dual_cndmask_b32 v2, v2, v5, s4
	v_cndmask_b32_e64 v3, v3, v4, s4
	s_delay_alu instid0(VALU_DEP_2) | instskip(NEXT) | instid1(VALU_DEP_2)
	v_cmp_le_u32_e64 s4, s16, v2
	v_add_nc_u32_e32 v4, 1, v3
	s_delay_alu instid0(VALU_DEP_1) | instskip(NEXT) | instid1(VALU_DEP_1)
	v_cndmask_b32_e64 v2, v3, v4, s4
	v_xor_b32_e32 v2, s15, v2
	s_delay_alu instid0(VALU_DEP_1) | instskip(NEXT) | instid1(VALU_DEP_1)
	v_subrev_nc_u32_e32 v4, s15, v2
	v_add_nc_u32_e32 v5, s35, v4
	v_cmp_ge_i32_e64 s5, s38, v4
	s_delay_alu instid0(VALU_DEP_2) | instskip(NEXT) | instid1(VALU_DEP_1)
	v_sub_nc_u32_e32 v2, 0, v5
	v_dual_ashrrev_i32 v5, 31, v5 :: v_dual_max_i32 v28, v5, v2
	s_delay_alu instid0(VALU_DEP_1) | instskip(NEXT) | instid1(VALU_DEP_1)
	v_mul_u64_e32 v[2:3], s[28:29], v[28:29]
	v_mul_lo_u32 v2, v3, s39
	s_delay_alu instid0(VALU_DEP_1) | instskip(NEXT) | instid1(VALU_DEP_1)
	v_sub_nc_u32_e32 v2, v28, v2
	v_subrev_nc_u32_e32 v3, s39, v2
	v_cmp_le_u32_e64 s4, s39, v2
	s_delay_alu instid0(VALU_DEP_1) | instskip(NEXT) | instid1(VALU_DEP_1)
	v_cndmask_b32_e64 v2, v2, v3, s4
	v_subrev_nc_u32_e32 v3, s39, v2
	v_cmp_le_u32_e64 s4, s39, v2
	s_delay_alu instid0(VALU_DEP_1) | instskip(NEXT) | instid1(VALU_DEP_1)
	v_cndmask_b32_e64 v2, v2, v3, s4
	v_xor_b32_e32 v2, v2, v5
	s_delay_alu instid0(VALU_DEP_1) | instskip(NEXT) | instid1(VALU_DEP_1)
	v_sub_nc_u32_e32 v2, v2, v5
	v_cmp_ne_u32_e64 s4, 0, v2
	s_and_b32 s4, s4, s5
	s_delay_alu instid0(SALU_CYCLE_1) | instskip(NEXT) | instid1(SALU_CYCLE_1)
	s_and_saveexec_b32 s5, s4
	s_xor_b32 s4, exec_lo, s5
	s_cbranch_execz .LBB327_16
; %bb.13:                               ;   in Loop: Header=BB327_12 Depth=1
	s_and_saveexec_b32 s5, s3
; %bb.14:                               ;   in Loop: Header=BB327_12 Depth=1
	ds_store_b32 v45, v46
; %bb.15:                               ;   in Loop: Header=BB327_12 Depth=1
	s_or_b32 exec_lo, exec_lo, s5
.LBB327_16:                             ;   in Loop: Header=BB327_12 Depth=1
	s_and_not1_saveexec_b32 s5, s4
	s_cbranch_execz .LBB327_11
; %bb.17:                               ;   in Loop: Header=BB327_12 Depth=1
	global_load_b32 v2, v[34:35], off
	v_dual_mov_b32 v50, 0 :: v_dual_mov_b32 v49, 0
	s_mov_b32 s42, exec_lo
	s_wait_loadcnt 0x0
	v_mad_nc_i64_i32 v[36:37], v2, s19, v[32:33]
	global_load_b32 v53, v[36:37], off
	ds_load_2addr_b64 v[22:25], v42 offset1:1
	ds_load_2addr_b64 v[18:21], v42 offset0:2 offset1:3
	ds_load_2addr_b64 v[14:17], v42 offset0:4 offset1:5
	;; [unrolled: 1-line block ×5, first 2 shown]
	ds_load_b32 v48, v42 offset:96
	ds_load_u16 v31, v42 offset:100
	s_load_b32 s41, s[8:9], 0x0
	s_wait_loadcnt 0x0
	v_and_b32_e32 v28, 0xff, v53
	s_delay_alu instid0(VALU_DEP_1)
	v_cmpx_ne_u16_e32 0, v28
	s_cbranch_execz .LBB327_25
; %bb.18:                               ;   in Loop: Header=BB327_12 Depth=1
	v_bfrev_b32_e32 v49, 1
	s_mov_b32 s43, exec_lo
	v_cmpx_ne_u16_e32 0x80, v28
	s_cbranch_execz .LBB327_24
; %bb.19:                               ;   in Loop: Header=BB327_12 Depth=1
	v_and_b32_e32 v51, 0x7f, v53
	v_mov_b32_e32 v49, 0x7f800001
	s_mov_b32 s44, exec_lo
	s_delay_alu instid0(VALU_DEP_2)
	v_cmpx_ne_u32_e32 0x7f, v51
	s_cbranch_execz .LBB327_23
; %bb.20:                               ;   in Loop: Header=BB327_12 Depth=1
	v_dual_lshrrev_b32 v49, 3, v51 :: v_dual_bitop2_b32 v28, 7, v53 bitop3:0x40
	s_mov_b32 s45, exec_lo
	v_cmpx_gt_u32_e32 8, v51
; %bb.21:                               ;   in Loop: Header=BB327_12 Depth=1
	s_delay_alu instid0(VALU_DEP_2) | instskip(NEXT) | instid1(VALU_DEP_1)
	v_clz_i32_u32_e32 v49, v28
	v_min_u32_e32 v49, 32, v49
	s_delay_alu instid0(VALU_DEP_1) | instskip(NEXT) | instid1(VALU_DEP_1)
	v_subrev_nc_u32_e32 v51, 28, v49
	v_lshlrev_b64_e32 v[54:55], v51, v[28:29]
	s_delay_alu instid0(VALU_DEP_1)
	v_dual_sub_nc_u32 v49, 29, v49 :: v_dual_bitop2_b32 v28, 7, v54 bitop3:0x40
; %bb.22:                               ;   in Loop: Header=BB327_12 Depth=1
	s_or_b32 exec_lo, exec_lo, s45
	s_delay_alu instid0(VALU_DEP_1) | instskip(NEXT) | instid1(VALU_DEP_2)
	v_dual_lshlrev_b32 v51, 24, v53 :: v_dual_lshlrev_b32 v28, 20, v28
	v_lshl_add_u32 v49, v49, 23, 0x3c000000
	s_delay_alu instid0(VALU_DEP_2) | instskip(NEXT) | instid1(VALU_DEP_1)
	v_and_b32_e32 v51, 0x80000000, v51
	v_or3_b32 v49, v28, v51, v49
.LBB327_23:                             ;   in Loop: Header=BB327_12 Depth=1
	s_or_b32 exec_lo, exec_lo, s44
.LBB327_24:                             ;   in Loop: Header=BB327_12 Depth=1
	s_delay_alu instid0(SALU_CYCLE_1)
	s_or_b32 exec_lo, exec_lo, s43
.LBB327_25:                             ;   in Loop: Header=BB327_12 Depth=1
	s_delay_alu instid0(SALU_CYCLE_1) | instskip(SKIP_2) | instid1(VALU_DEP_1)
	s_or_b32 exec_lo, exec_lo, s42
	v_lshrrev_b16 v28, 8, v53
	s_mov_b32 s42, exec_lo
	v_cmpx_ne_u16_e32 0, v28
	s_cbranch_execz .LBB327_33
; %bb.26:                               ;   in Loop: Header=BB327_12 Depth=1
	v_bfrev_b32_e32 v50, 1
	s_mov_b32 s43, exec_lo
	v_cmpx_ne_u16_e32 0x80, v28
	s_cbranch_execz .LBB327_32
; %bb.27:                               ;   in Loop: Header=BB327_12 Depth=1
	v_and_b32_e32 v28, 0xffff, v28
	v_mov_b32_e32 v50, 0x7f800001
	s_mov_b32 s44, exec_lo
	s_delay_alu instid0(VALU_DEP_2) | instskip(NEXT) | instid1(VALU_DEP_1)
	v_and_b32_e32 v51, 0x7f, v28
	v_cmpx_ne_u32_e32 0x7f, v51
	s_cbranch_execz .LBB327_31
; %bb.28:                               ;   in Loop: Header=BB327_12 Depth=1
	v_dual_lshrrev_b32 v50, 3, v51 :: v_dual_bitop2_b32 v28, 7, v28 bitop3:0x40
	s_mov_b32 s45, exec_lo
	v_cmpx_gt_u32_e32 8, v51
; %bb.29:                               ;   in Loop: Header=BB327_12 Depth=1
	s_delay_alu instid0(VALU_DEP_2) | instskip(NEXT) | instid1(VALU_DEP_1)
	v_clz_i32_u32_e32 v50, v28
	v_min_u32_e32 v50, 32, v50
	s_delay_alu instid0(VALU_DEP_1) | instskip(SKIP_1) | instid1(VALU_DEP_2)
	v_subrev_nc_u32_e32 v51, 28, v50
	v_sub_nc_u32_e32 v50, 29, v50
	v_lshlrev_b64_e32 v[54:55], v51, v[28:29]
	s_delay_alu instid0(VALU_DEP_1)
	v_and_b32_e32 v28, 7, v54
; %bb.30:                               ;   in Loop: Header=BB327_12 Depth=1
	s_or_b32 exec_lo, exec_lo, s45
	s_delay_alu instid0(VALU_DEP_1) | instskip(SKIP_1) | instid1(VALU_DEP_2)
	v_dual_lshlrev_b32 v51, 16, v53 :: v_dual_lshlrev_b32 v28, 20, v28
	v_lshl_add_u32 v50, v50, 23, 0x3c000000
	v_and_b32_e32 v51, 0x80000000, v51
	s_delay_alu instid0(VALU_DEP_1)
	v_or3_b32 v50, v28, v51, v50
.LBB327_31:                             ;   in Loop: Header=BB327_12 Depth=1
	s_or_b32 exec_lo, exec_lo, s44
.LBB327_32:                             ;   in Loop: Header=BB327_12 Depth=1
	s_delay_alu instid0(SALU_CYCLE_1)
	s_or_b32 exec_lo, exec_lo, s43
.LBB327_33:                             ;   in Loop: Header=BB327_12 Depth=1
	s_delay_alu instid0(SALU_CYCLE_1) | instskip(SKIP_3) | instid1(VALU_DEP_2)
	s_or_b32 exec_lo, exec_lo, s42
	v_dual_mov_b32 v51, 0 :: v_dual_lshrrev_b32 v54, 16, v53
	v_mov_b32_e32 v52, 0
	s_mov_b32 s42, exec_lo
	v_and_b32_e32 v28, 0xff, v54
	s_delay_alu instid0(VALU_DEP_1)
	v_cmpx_ne_u16_e32 0, v28
	s_cbranch_execz .LBB327_41
; %bb.34:                               ;   in Loop: Header=BB327_12 Depth=1
	v_bfrev_b32_e32 v52, 1
	s_mov_b32 s43, exec_lo
	v_cmpx_ne_u16_e32 0x80, v28
	s_cbranch_execz .LBB327_40
; %bb.35:                               ;   in Loop: Header=BB327_12 Depth=1
	v_bfe_u32 v55, v53, 16, 7
	v_mov_b32_e32 v52, 0x7f800001
	s_mov_b32 s44, exec_lo
	s_delay_alu instid0(VALU_DEP_2)
	v_cmpx_ne_u32_e32 0x7f, v55
	s_cbranch_execz .LBB327_39
; %bb.36:                               ;   in Loop: Header=BB327_12 Depth=1
	v_dual_lshrrev_b32 v52, 3, v55 :: v_dual_bitop2_b32 v28, 7, v54 bitop3:0x40
	s_mov_b32 s45, exec_lo
	v_cmpx_gt_u32_e32 8, v55
; %bb.37:                               ;   in Loop: Header=BB327_12 Depth=1
	s_delay_alu instid0(VALU_DEP_2) | instskip(NEXT) | instid1(VALU_DEP_1)
	v_clz_i32_u32_e32 v52, v28
	v_min_u32_e32 v52, 32, v52
	s_delay_alu instid0(VALU_DEP_1) | instskip(SKIP_1) | instid1(VALU_DEP_2)
	v_subrev_nc_u32_e32 v55, 28, v52
	v_sub_nc_u32_e32 v52, 29, v52
	v_lshlrev_b64_e32 v[56:57], v55, v[28:29]
	s_delay_alu instid0(VALU_DEP_1)
	v_and_b32_e32 v28, 7, v56
; %bb.38:                               ;   in Loop: Header=BB327_12 Depth=1
	s_or_b32 exec_lo, exec_lo, s45
	s_delay_alu instid0(VALU_DEP_1) | instskip(SKIP_1) | instid1(VALU_DEP_2)
	v_dual_lshlrev_b32 v54, 24, v54 :: v_dual_lshlrev_b32 v28, 20, v28
	v_lshl_add_u32 v52, v52, 23, 0x3c000000
	v_and_b32_e32 v54, 0x80000000, v54
	s_delay_alu instid0(VALU_DEP_1)
	v_or3_b32 v52, v28, v54, v52
.LBB327_39:                             ;   in Loop: Header=BB327_12 Depth=1
	s_or_b32 exec_lo, exec_lo, s44
.LBB327_40:                             ;   in Loop: Header=BB327_12 Depth=1
	s_delay_alu instid0(SALU_CYCLE_1)
	s_or_b32 exec_lo, exec_lo, s43
.LBB327_41:                             ;   in Loop: Header=BB327_12 Depth=1
	s_delay_alu instid0(SALU_CYCLE_1) | instskip(NEXT) | instid1(SALU_CYCLE_1)
	s_or_b32 exec_lo, exec_lo, s42
	s_mov_b32 s42, exec_lo
	v_cmpx_lt_u32_e32 0xffffff, v53
	s_cbranch_execz .LBB327_49
; %bb.42:                               ;   in Loop: Header=BB327_12 Depth=1
	v_lshrrev_b32_e32 v54, 24, v53
	v_bfrev_b32_e32 v51, 1
	s_mov_b32 s43, exec_lo
	s_delay_alu instid0(VALU_DEP_2)
	v_cmpx_ne_u32_e32 0x80, v54
	s_cbranch_execz .LBB327_48
; %bb.43:                               ;   in Loop: Header=BB327_12 Depth=1
	v_bfe_u32 v53, v53, 24, 7
	v_mov_b32_e32 v51, 0x7f800001
	s_mov_b32 s44, exec_lo
	s_delay_alu instid0(VALU_DEP_2)
	v_cmpx_ne_u32_e32 0x7f, v53
	s_cbranch_execz .LBB327_47
; %bb.44:                               ;   in Loop: Header=BB327_12 Depth=1
	v_dual_lshrrev_b32 v51, 3, v53 :: v_dual_bitop2_b32 v28, 7, v54 bitop3:0x40
	s_mov_b32 s45, exec_lo
	v_cmpx_gt_u32_e32 8, v53
; %bb.45:                               ;   in Loop: Header=BB327_12 Depth=1
	s_delay_alu instid0(VALU_DEP_2) | instskip(NEXT) | instid1(VALU_DEP_1)
	v_clz_i32_u32_e32 v51, v28
	v_min_u32_e32 v51, 32, v51
	s_delay_alu instid0(VALU_DEP_1) | instskip(NEXT) | instid1(VALU_DEP_1)
	v_subrev_nc_u32_e32 v53, 28, v51
	v_lshlrev_b64_e32 v[56:57], v53, v[28:29]
	s_delay_alu instid0(VALU_DEP_1)
	v_dual_sub_nc_u32 v51, 29, v51 :: v_dual_bitop2_b32 v28, 7, v56 bitop3:0x40
; %bb.46:                               ;   in Loop: Header=BB327_12 Depth=1
	s_or_b32 exec_lo, exec_lo, s45
	s_delay_alu instid0(VALU_DEP_1) | instskip(NEXT) | instid1(VALU_DEP_2)
	v_dual_lshlrev_b32 v53, 24, v54 :: v_dual_lshlrev_b32 v28, 20, v28
	v_lshl_add_u32 v51, v51, 23, 0x3c000000
	s_delay_alu instid0(VALU_DEP_2) | instskip(NEXT) | instid1(VALU_DEP_1)
	v_and_b32_e32 v53, 0x80000000, v53
	v_or3_b32 v51, v28, v53, v51
.LBB327_47:                             ;   in Loop: Header=BB327_12 Depth=1
	s_or_b32 exec_lo, exec_lo, s44
.LBB327_48:                             ;   in Loop: Header=BB327_12 Depth=1
	s_delay_alu instid0(SALU_CYCLE_1)
	s_or_b32 exec_lo, exec_lo, s43
.LBB327_49:                             ;   in Loop: Header=BB327_12 Depth=1
	s_delay_alu instid0(SALU_CYCLE_1)
	s_or_b32 exec_lo, exec_lo, s42
	global_load_b32 v57, v[36:37], off offset:8
	v_dual_mov_b32 v54, 0 :: v_dual_mov_b32 v53, 0
	s_mov_b32 s42, exec_lo
	s_wait_loadcnt 0x0
	v_and_b32_e32 v28, 0xff, v57
	s_delay_alu instid0(VALU_DEP_1)
	v_cmpx_ne_u16_e32 0, v28
	s_cbranch_execz .LBB327_57
; %bb.50:                               ;   in Loop: Header=BB327_12 Depth=1
	v_bfrev_b32_e32 v53, 1
	s_mov_b32 s43, exec_lo
	v_cmpx_ne_u16_e32 0x80, v28
	s_cbranch_execz .LBB327_56
; %bb.51:                               ;   in Loop: Header=BB327_12 Depth=1
	v_and_b32_e32 v55, 0x7f, v57
	v_mov_b32_e32 v53, 0x7f800001
	s_mov_b32 s44, exec_lo
	s_delay_alu instid0(VALU_DEP_2)
	v_cmpx_ne_u32_e32 0x7f, v55
	s_cbranch_execz .LBB327_55
; %bb.52:                               ;   in Loop: Header=BB327_12 Depth=1
	v_dual_lshrrev_b32 v53, 3, v55 :: v_dual_bitop2_b32 v28, 7, v57 bitop3:0x40
	s_mov_b32 s45, exec_lo
	v_cmpx_gt_u32_e32 8, v55
; %bb.53:                               ;   in Loop: Header=BB327_12 Depth=1
	s_delay_alu instid0(VALU_DEP_2) | instskip(NEXT) | instid1(VALU_DEP_1)
	v_clz_i32_u32_e32 v53, v28
	v_min_u32_e32 v53, 32, v53
	s_delay_alu instid0(VALU_DEP_1) | instskip(NEXT) | instid1(VALU_DEP_1)
	v_subrev_nc_u32_e32 v55, 28, v53
	v_lshlrev_b64_e32 v[58:59], v55, v[28:29]
	s_delay_alu instid0(VALU_DEP_1)
	v_dual_sub_nc_u32 v53, 29, v53 :: v_dual_bitop2_b32 v28, 7, v58 bitop3:0x40
; %bb.54:                               ;   in Loop: Header=BB327_12 Depth=1
	s_or_b32 exec_lo, exec_lo, s45
	s_delay_alu instid0(VALU_DEP_1) | instskip(NEXT) | instid1(VALU_DEP_2)
	v_dual_lshlrev_b32 v55, 24, v57 :: v_dual_lshlrev_b32 v28, 20, v28
	v_lshl_add_u32 v53, v53, 23, 0x3c000000
	s_delay_alu instid0(VALU_DEP_2) | instskip(NEXT) | instid1(VALU_DEP_1)
	v_and_b32_e32 v55, 0x80000000, v55
	v_or3_b32 v53, v28, v55, v53
.LBB327_55:                             ;   in Loop: Header=BB327_12 Depth=1
	s_or_b32 exec_lo, exec_lo, s44
.LBB327_56:                             ;   in Loop: Header=BB327_12 Depth=1
	s_delay_alu instid0(SALU_CYCLE_1)
	s_or_b32 exec_lo, exec_lo, s43
.LBB327_57:                             ;   in Loop: Header=BB327_12 Depth=1
	s_delay_alu instid0(SALU_CYCLE_1) | instskip(SKIP_2) | instid1(VALU_DEP_1)
	s_or_b32 exec_lo, exec_lo, s42
	v_lshrrev_b16 v28, 8, v57
	s_mov_b32 s42, exec_lo
	v_cmpx_ne_u16_e32 0, v28
	s_cbranch_execz .LBB327_65
; %bb.58:                               ;   in Loop: Header=BB327_12 Depth=1
	v_bfrev_b32_e32 v54, 1
	s_mov_b32 s43, exec_lo
	v_cmpx_ne_u16_e32 0x80, v28
	s_cbranch_execz .LBB327_64
; %bb.59:                               ;   in Loop: Header=BB327_12 Depth=1
	v_and_b32_e32 v28, 0xffff, v28
	v_mov_b32_e32 v54, 0x7f800001
	s_mov_b32 s44, exec_lo
	s_delay_alu instid0(VALU_DEP_2) | instskip(NEXT) | instid1(VALU_DEP_1)
	v_and_b32_e32 v55, 0x7f, v28
	v_cmpx_ne_u32_e32 0x7f, v55
	s_cbranch_execz .LBB327_63
; %bb.60:                               ;   in Loop: Header=BB327_12 Depth=1
	v_dual_lshrrev_b32 v54, 3, v55 :: v_dual_bitop2_b32 v28, 7, v28 bitop3:0x40
	s_mov_b32 s45, exec_lo
	v_cmpx_gt_u32_e32 8, v55
; %bb.61:                               ;   in Loop: Header=BB327_12 Depth=1
	s_delay_alu instid0(VALU_DEP_2) | instskip(NEXT) | instid1(VALU_DEP_1)
	v_clz_i32_u32_e32 v54, v28
	v_min_u32_e32 v54, 32, v54
	s_delay_alu instid0(VALU_DEP_1) | instskip(SKIP_1) | instid1(VALU_DEP_2)
	v_subrev_nc_u32_e32 v55, 28, v54
	v_sub_nc_u32_e32 v54, 29, v54
	v_lshlrev_b64_e32 v[58:59], v55, v[28:29]
	s_delay_alu instid0(VALU_DEP_1)
	v_and_b32_e32 v28, 7, v58
; %bb.62:                               ;   in Loop: Header=BB327_12 Depth=1
	s_or_b32 exec_lo, exec_lo, s45
	s_delay_alu instid0(VALU_DEP_1) | instskip(SKIP_1) | instid1(VALU_DEP_2)
	v_dual_lshlrev_b32 v55, 16, v57 :: v_dual_lshlrev_b32 v28, 20, v28
	v_lshl_add_u32 v54, v54, 23, 0x3c000000
	v_and_b32_e32 v55, 0x80000000, v55
	s_delay_alu instid0(VALU_DEP_1)
	v_or3_b32 v54, v28, v55, v54
.LBB327_63:                             ;   in Loop: Header=BB327_12 Depth=1
	s_or_b32 exec_lo, exec_lo, s44
.LBB327_64:                             ;   in Loop: Header=BB327_12 Depth=1
	s_delay_alu instid0(SALU_CYCLE_1)
	s_or_b32 exec_lo, exec_lo, s43
.LBB327_65:                             ;   in Loop: Header=BB327_12 Depth=1
	s_delay_alu instid0(SALU_CYCLE_1) | instskip(SKIP_3) | instid1(VALU_DEP_2)
	s_or_b32 exec_lo, exec_lo, s42
	v_dual_mov_b32 v55, 0 :: v_dual_lshrrev_b32 v58, 16, v57
	v_mov_b32_e32 v56, 0
	s_mov_b32 s42, exec_lo
	v_and_b32_e32 v28, 0xff, v58
	s_delay_alu instid0(VALU_DEP_1)
	v_cmpx_ne_u16_e32 0, v28
	s_cbranch_execz .LBB327_73
; %bb.66:                               ;   in Loop: Header=BB327_12 Depth=1
	v_bfrev_b32_e32 v56, 1
	s_mov_b32 s43, exec_lo
	v_cmpx_ne_u16_e32 0x80, v28
	s_cbranch_execz .LBB327_72
; %bb.67:                               ;   in Loop: Header=BB327_12 Depth=1
	v_bfe_u32 v59, v57, 16, 7
	v_mov_b32_e32 v56, 0x7f800001
	s_mov_b32 s44, exec_lo
	s_delay_alu instid0(VALU_DEP_2)
	v_cmpx_ne_u32_e32 0x7f, v59
	s_cbranch_execz .LBB327_71
; %bb.68:                               ;   in Loop: Header=BB327_12 Depth=1
	v_dual_lshrrev_b32 v56, 3, v59 :: v_dual_bitop2_b32 v28, 7, v58 bitop3:0x40
	s_mov_b32 s45, exec_lo
	v_cmpx_gt_u32_e32 8, v59
; %bb.69:                               ;   in Loop: Header=BB327_12 Depth=1
	s_delay_alu instid0(VALU_DEP_2) | instskip(NEXT) | instid1(VALU_DEP_1)
	v_clz_i32_u32_e32 v56, v28
	v_min_u32_e32 v56, 32, v56
	s_delay_alu instid0(VALU_DEP_1) | instskip(SKIP_1) | instid1(VALU_DEP_2)
	v_subrev_nc_u32_e32 v59, 28, v56
	v_sub_nc_u32_e32 v56, 29, v56
	v_lshlrev_b64_e32 v[60:61], v59, v[28:29]
	s_delay_alu instid0(VALU_DEP_1)
	v_and_b32_e32 v28, 7, v60
; %bb.70:                               ;   in Loop: Header=BB327_12 Depth=1
	s_or_b32 exec_lo, exec_lo, s45
	s_delay_alu instid0(VALU_DEP_1) | instskip(SKIP_1) | instid1(VALU_DEP_2)
	v_dual_lshlrev_b32 v58, 24, v58 :: v_dual_lshlrev_b32 v28, 20, v28
	v_lshl_add_u32 v56, v56, 23, 0x3c000000
	v_and_b32_e32 v58, 0x80000000, v58
	s_delay_alu instid0(VALU_DEP_1)
	v_or3_b32 v56, v28, v58, v56
.LBB327_71:                             ;   in Loop: Header=BB327_12 Depth=1
	s_or_b32 exec_lo, exec_lo, s44
.LBB327_72:                             ;   in Loop: Header=BB327_12 Depth=1
	s_delay_alu instid0(SALU_CYCLE_1)
	s_or_b32 exec_lo, exec_lo, s43
.LBB327_73:                             ;   in Loop: Header=BB327_12 Depth=1
	s_delay_alu instid0(SALU_CYCLE_1) | instskip(NEXT) | instid1(SALU_CYCLE_1)
	s_or_b32 exec_lo, exec_lo, s42
	s_mov_b32 s42, exec_lo
	v_cmpx_lt_u32_e32 0xffffff, v57
	s_cbranch_execz .LBB327_81
; %bb.74:                               ;   in Loop: Header=BB327_12 Depth=1
	v_lshrrev_b32_e32 v58, 24, v57
	v_bfrev_b32_e32 v55, 1
	s_mov_b32 s43, exec_lo
	s_delay_alu instid0(VALU_DEP_2)
	v_cmpx_ne_u32_e32 0x80, v58
	s_cbranch_execz .LBB327_80
; %bb.75:                               ;   in Loop: Header=BB327_12 Depth=1
	v_bfe_u32 v57, v57, 24, 7
	v_mov_b32_e32 v55, 0x7f800001
	s_mov_b32 s44, exec_lo
	s_delay_alu instid0(VALU_DEP_2)
	v_cmpx_ne_u32_e32 0x7f, v57
	s_cbranch_execz .LBB327_79
; %bb.76:                               ;   in Loop: Header=BB327_12 Depth=1
	v_dual_lshrrev_b32 v55, 3, v57 :: v_dual_bitop2_b32 v28, 7, v58 bitop3:0x40
	s_mov_b32 s45, exec_lo
	v_cmpx_gt_u32_e32 8, v57
; %bb.77:                               ;   in Loop: Header=BB327_12 Depth=1
	s_delay_alu instid0(VALU_DEP_2) | instskip(NEXT) | instid1(VALU_DEP_1)
	v_clz_i32_u32_e32 v55, v28
	v_min_u32_e32 v55, 32, v55
	s_delay_alu instid0(VALU_DEP_1) | instskip(NEXT) | instid1(VALU_DEP_1)
	v_subrev_nc_u32_e32 v57, 28, v55
	v_lshlrev_b64_e32 v[60:61], v57, v[28:29]
	s_delay_alu instid0(VALU_DEP_1)
	v_dual_sub_nc_u32 v55, 29, v55 :: v_dual_bitop2_b32 v28, 7, v60 bitop3:0x40
; %bb.78:                               ;   in Loop: Header=BB327_12 Depth=1
	s_or_b32 exec_lo, exec_lo, s45
	s_delay_alu instid0(VALU_DEP_1) | instskip(NEXT) | instid1(VALU_DEP_2)
	v_dual_lshlrev_b32 v57, 24, v58 :: v_dual_lshlrev_b32 v28, 20, v28
	v_lshl_add_u32 v55, v55, 23, 0x3c000000
	s_delay_alu instid0(VALU_DEP_2) | instskip(NEXT) | instid1(VALU_DEP_1)
	v_and_b32_e32 v57, 0x80000000, v57
	v_or3_b32 v55, v28, v57, v55
.LBB327_79:                             ;   in Loop: Header=BB327_12 Depth=1
	s_or_b32 exec_lo, exec_lo, s44
.LBB327_80:                             ;   in Loop: Header=BB327_12 Depth=1
	s_delay_alu instid0(SALU_CYCLE_1)
	s_or_b32 exec_lo, exec_lo, s43
.LBB327_81:                             ;   in Loop: Header=BB327_12 Depth=1
	s_delay_alu instid0(SALU_CYCLE_1)
	s_or_b32 exec_lo, exec_lo, s42
	global_load_b32 v61, v[36:37], off offset:256
	v_dual_mov_b32 v58, 0 :: v_dual_mov_b32 v57, 0
	s_mov_b32 s42, exec_lo
	s_wait_loadcnt 0x0
	v_and_b32_e32 v28, 0xff, v61
	s_delay_alu instid0(VALU_DEP_1)
	v_cmpx_ne_u16_e32 0, v28
	s_cbranch_execz .LBB327_89
; %bb.82:                               ;   in Loop: Header=BB327_12 Depth=1
	v_bfrev_b32_e32 v57, 1
	s_mov_b32 s43, exec_lo
	v_cmpx_ne_u16_e32 0x80, v28
	s_cbranch_execz .LBB327_88
; %bb.83:                               ;   in Loop: Header=BB327_12 Depth=1
	v_and_b32_e32 v59, 0x7f, v61
	v_mov_b32_e32 v57, 0x7f800001
	s_mov_b32 s44, exec_lo
	s_delay_alu instid0(VALU_DEP_2)
	v_cmpx_ne_u32_e32 0x7f, v59
	s_cbranch_execz .LBB327_87
; %bb.84:                               ;   in Loop: Header=BB327_12 Depth=1
	v_dual_lshrrev_b32 v57, 3, v59 :: v_dual_bitop2_b32 v28, 7, v61 bitop3:0x40
	s_mov_b32 s45, exec_lo
	v_cmpx_gt_u32_e32 8, v59
; %bb.85:                               ;   in Loop: Header=BB327_12 Depth=1
	s_delay_alu instid0(VALU_DEP_2) | instskip(NEXT) | instid1(VALU_DEP_1)
	v_clz_i32_u32_e32 v57, v28
	v_min_u32_e32 v57, 32, v57
	s_delay_alu instid0(VALU_DEP_1) | instskip(NEXT) | instid1(VALU_DEP_1)
	v_subrev_nc_u32_e32 v59, 28, v57
	v_lshlrev_b64_e32 v[62:63], v59, v[28:29]
	s_delay_alu instid0(VALU_DEP_1)
	v_dual_sub_nc_u32 v57, 29, v57 :: v_dual_bitop2_b32 v28, 7, v62 bitop3:0x40
; %bb.86:                               ;   in Loop: Header=BB327_12 Depth=1
	s_or_b32 exec_lo, exec_lo, s45
	s_delay_alu instid0(VALU_DEP_1) | instskip(NEXT) | instid1(VALU_DEP_2)
	v_dual_lshlrev_b32 v59, 24, v61 :: v_dual_lshlrev_b32 v28, 20, v28
	v_lshl_add_u32 v57, v57, 23, 0x3c000000
	s_delay_alu instid0(VALU_DEP_2) | instskip(NEXT) | instid1(VALU_DEP_1)
	v_and_b32_e32 v59, 0x80000000, v59
	v_or3_b32 v57, v28, v59, v57
.LBB327_87:                             ;   in Loop: Header=BB327_12 Depth=1
	s_or_b32 exec_lo, exec_lo, s44
.LBB327_88:                             ;   in Loop: Header=BB327_12 Depth=1
	s_delay_alu instid0(SALU_CYCLE_1)
	s_or_b32 exec_lo, exec_lo, s43
.LBB327_89:                             ;   in Loop: Header=BB327_12 Depth=1
	s_delay_alu instid0(SALU_CYCLE_1) | instskip(SKIP_2) | instid1(VALU_DEP_1)
	s_or_b32 exec_lo, exec_lo, s42
	v_lshrrev_b16 v28, 8, v61
	s_mov_b32 s42, exec_lo
	v_cmpx_ne_u16_e32 0, v28
	s_cbranch_execz .LBB327_97
; %bb.90:                               ;   in Loop: Header=BB327_12 Depth=1
	v_bfrev_b32_e32 v58, 1
	s_mov_b32 s43, exec_lo
	v_cmpx_ne_u16_e32 0x80, v28
	s_cbranch_execz .LBB327_96
; %bb.91:                               ;   in Loop: Header=BB327_12 Depth=1
	v_and_b32_e32 v28, 0xffff, v28
	v_mov_b32_e32 v58, 0x7f800001
	s_mov_b32 s44, exec_lo
	s_delay_alu instid0(VALU_DEP_2) | instskip(NEXT) | instid1(VALU_DEP_1)
	v_and_b32_e32 v59, 0x7f, v28
	v_cmpx_ne_u32_e32 0x7f, v59
	s_cbranch_execz .LBB327_95
; %bb.92:                               ;   in Loop: Header=BB327_12 Depth=1
	v_dual_lshrrev_b32 v58, 3, v59 :: v_dual_bitop2_b32 v28, 7, v28 bitop3:0x40
	s_mov_b32 s45, exec_lo
	v_cmpx_gt_u32_e32 8, v59
; %bb.93:                               ;   in Loop: Header=BB327_12 Depth=1
	s_delay_alu instid0(VALU_DEP_2) | instskip(NEXT) | instid1(VALU_DEP_1)
	v_clz_i32_u32_e32 v58, v28
	v_min_u32_e32 v58, 32, v58
	s_delay_alu instid0(VALU_DEP_1) | instskip(SKIP_1) | instid1(VALU_DEP_2)
	v_subrev_nc_u32_e32 v59, 28, v58
	v_sub_nc_u32_e32 v58, 29, v58
	v_lshlrev_b64_e32 v[62:63], v59, v[28:29]
	s_delay_alu instid0(VALU_DEP_1)
	v_and_b32_e32 v28, 7, v62
; %bb.94:                               ;   in Loop: Header=BB327_12 Depth=1
	s_or_b32 exec_lo, exec_lo, s45
	s_delay_alu instid0(VALU_DEP_1) | instskip(SKIP_1) | instid1(VALU_DEP_2)
	v_dual_lshlrev_b32 v59, 16, v61 :: v_dual_lshlrev_b32 v28, 20, v28
	v_lshl_add_u32 v58, v58, 23, 0x3c000000
	v_and_b32_e32 v59, 0x80000000, v59
	s_delay_alu instid0(VALU_DEP_1)
	v_or3_b32 v58, v28, v59, v58
.LBB327_95:                             ;   in Loop: Header=BB327_12 Depth=1
	s_or_b32 exec_lo, exec_lo, s44
.LBB327_96:                             ;   in Loop: Header=BB327_12 Depth=1
	s_delay_alu instid0(SALU_CYCLE_1)
	s_or_b32 exec_lo, exec_lo, s43
.LBB327_97:                             ;   in Loop: Header=BB327_12 Depth=1
	s_delay_alu instid0(SALU_CYCLE_1) | instskip(SKIP_3) | instid1(VALU_DEP_2)
	s_or_b32 exec_lo, exec_lo, s42
	v_dual_mov_b32 v59, 0 :: v_dual_lshrrev_b32 v62, 16, v61
	v_mov_b32_e32 v60, 0
	s_mov_b32 s42, exec_lo
	v_and_b32_e32 v28, 0xff, v62
	s_delay_alu instid0(VALU_DEP_1)
	v_cmpx_ne_u16_e32 0, v28
	s_cbranch_execz .LBB327_105
; %bb.98:                               ;   in Loop: Header=BB327_12 Depth=1
	v_bfrev_b32_e32 v60, 1
	s_mov_b32 s43, exec_lo
	v_cmpx_ne_u16_e32 0x80, v28
	s_cbranch_execz .LBB327_104
; %bb.99:                               ;   in Loop: Header=BB327_12 Depth=1
	v_bfe_u32 v63, v61, 16, 7
	v_mov_b32_e32 v60, 0x7f800001
	s_mov_b32 s44, exec_lo
	s_delay_alu instid0(VALU_DEP_2)
	v_cmpx_ne_u32_e32 0x7f, v63
	s_cbranch_execz .LBB327_103
; %bb.100:                              ;   in Loop: Header=BB327_12 Depth=1
	v_dual_lshrrev_b32 v60, 3, v63 :: v_dual_bitop2_b32 v28, 7, v62 bitop3:0x40
	s_mov_b32 s45, exec_lo
	v_cmpx_gt_u32_e32 8, v63
; %bb.101:                              ;   in Loop: Header=BB327_12 Depth=1
	s_delay_alu instid0(VALU_DEP_2) | instskip(NEXT) | instid1(VALU_DEP_1)
	v_clz_i32_u32_e32 v60, v28
	v_min_u32_e32 v60, 32, v60
	s_delay_alu instid0(VALU_DEP_1) | instskip(SKIP_1) | instid1(VALU_DEP_2)
	v_subrev_nc_u32_e32 v63, 28, v60
	v_sub_nc_u32_e32 v60, 29, v60
	v_lshlrev_b64_e32 v[64:65], v63, v[28:29]
	s_delay_alu instid0(VALU_DEP_1)
	v_and_b32_e32 v28, 7, v64
; %bb.102:                              ;   in Loop: Header=BB327_12 Depth=1
	s_or_b32 exec_lo, exec_lo, s45
	s_delay_alu instid0(VALU_DEP_1) | instskip(SKIP_1) | instid1(VALU_DEP_2)
	v_dual_lshlrev_b32 v62, 24, v62 :: v_dual_lshlrev_b32 v28, 20, v28
	v_lshl_add_u32 v60, v60, 23, 0x3c000000
	v_and_b32_e32 v62, 0x80000000, v62
	s_delay_alu instid0(VALU_DEP_1)
	v_or3_b32 v60, v28, v62, v60
.LBB327_103:                            ;   in Loop: Header=BB327_12 Depth=1
	s_or_b32 exec_lo, exec_lo, s44
.LBB327_104:                            ;   in Loop: Header=BB327_12 Depth=1
	s_delay_alu instid0(SALU_CYCLE_1)
	s_or_b32 exec_lo, exec_lo, s43
.LBB327_105:                            ;   in Loop: Header=BB327_12 Depth=1
	s_delay_alu instid0(SALU_CYCLE_1) | instskip(NEXT) | instid1(SALU_CYCLE_1)
	s_or_b32 exec_lo, exec_lo, s42
	s_mov_b32 s42, exec_lo
	v_cmpx_lt_u32_e32 0xffffff, v61
	s_cbranch_execz .LBB327_113
; %bb.106:                              ;   in Loop: Header=BB327_12 Depth=1
	v_lshrrev_b32_e32 v62, 24, v61
	v_bfrev_b32_e32 v59, 1
	s_mov_b32 s43, exec_lo
	s_delay_alu instid0(VALU_DEP_2)
	v_cmpx_ne_u32_e32 0x80, v62
	s_cbranch_execz .LBB327_112
; %bb.107:                              ;   in Loop: Header=BB327_12 Depth=1
	v_bfe_u32 v61, v61, 24, 7
	v_mov_b32_e32 v59, 0x7f800001
	s_mov_b32 s44, exec_lo
	s_delay_alu instid0(VALU_DEP_2)
	v_cmpx_ne_u32_e32 0x7f, v61
	s_cbranch_execz .LBB327_111
; %bb.108:                              ;   in Loop: Header=BB327_12 Depth=1
	v_dual_lshrrev_b32 v59, 3, v61 :: v_dual_bitop2_b32 v28, 7, v62 bitop3:0x40
	s_mov_b32 s45, exec_lo
	v_cmpx_gt_u32_e32 8, v61
; %bb.109:                              ;   in Loop: Header=BB327_12 Depth=1
	s_delay_alu instid0(VALU_DEP_2) | instskip(NEXT) | instid1(VALU_DEP_1)
	v_clz_i32_u32_e32 v59, v28
	v_min_u32_e32 v59, 32, v59
	s_delay_alu instid0(VALU_DEP_1) | instskip(NEXT) | instid1(VALU_DEP_1)
	v_subrev_nc_u32_e32 v61, 28, v59
	v_lshlrev_b64_e32 v[64:65], v61, v[28:29]
	s_delay_alu instid0(VALU_DEP_1)
	v_dual_sub_nc_u32 v59, 29, v59 :: v_dual_bitop2_b32 v28, 7, v64 bitop3:0x40
; %bb.110:                              ;   in Loop: Header=BB327_12 Depth=1
	s_or_b32 exec_lo, exec_lo, s45
	s_delay_alu instid0(VALU_DEP_1) | instskip(NEXT) | instid1(VALU_DEP_2)
	v_dual_lshlrev_b32 v61, 24, v62 :: v_dual_lshlrev_b32 v28, 20, v28
	v_lshl_add_u32 v59, v59, 23, 0x3c000000
	s_delay_alu instid0(VALU_DEP_2) | instskip(NEXT) | instid1(VALU_DEP_1)
	v_and_b32_e32 v61, 0x80000000, v61
	v_or3_b32 v59, v28, v61, v59
.LBB327_111:                            ;   in Loop: Header=BB327_12 Depth=1
	s_or_b32 exec_lo, exec_lo, s44
.LBB327_112:                            ;   in Loop: Header=BB327_12 Depth=1
	s_delay_alu instid0(SALU_CYCLE_1)
	s_or_b32 exec_lo, exec_lo, s43
.LBB327_113:                            ;   in Loop: Header=BB327_12 Depth=1
	s_delay_alu instid0(SALU_CYCLE_1)
	s_or_b32 exec_lo, exec_lo, s42
	global_load_b32 v65, v[36:37], off offset:264
	v_dual_mov_b32 v62, 0 :: v_dual_mov_b32 v61, 0
	s_mov_b32 s42, exec_lo
	s_wait_loadcnt 0x0
	v_and_b32_e32 v28, 0xff, v65
	s_delay_alu instid0(VALU_DEP_1)
	v_cmpx_ne_u16_e32 0, v28
	s_cbranch_execz .LBB327_121
; %bb.114:                              ;   in Loop: Header=BB327_12 Depth=1
	v_bfrev_b32_e32 v61, 1
	s_mov_b32 s43, exec_lo
	v_cmpx_ne_u16_e32 0x80, v28
	s_cbranch_execz .LBB327_120
; %bb.115:                              ;   in Loop: Header=BB327_12 Depth=1
	v_and_b32_e32 v63, 0x7f, v65
	v_mov_b32_e32 v61, 0x7f800001
	s_mov_b32 s44, exec_lo
	s_delay_alu instid0(VALU_DEP_2)
	v_cmpx_ne_u32_e32 0x7f, v63
	s_cbranch_execz .LBB327_119
; %bb.116:                              ;   in Loop: Header=BB327_12 Depth=1
	v_dual_lshrrev_b32 v61, 3, v63 :: v_dual_bitop2_b32 v28, 7, v65 bitop3:0x40
	s_mov_b32 s45, exec_lo
	v_cmpx_gt_u32_e32 8, v63
; %bb.117:                              ;   in Loop: Header=BB327_12 Depth=1
	s_delay_alu instid0(VALU_DEP_2) | instskip(NEXT) | instid1(VALU_DEP_1)
	v_clz_i32_u32_e32 v61, v28
	v_min_u32_e32 v61, 32, v61
	s_delay_alu instid0(VALU_DEP_1) | instskip(NEXT) | instid1(VALU_DEP_1)
	v_subrev_nc_u32_e32 v63, 28, v61
	v_lshlrev_b64_e32 v[66:67], v63, v[28:29]
	s_delay_alu instid0(VALU_DEP_1)
	v_dual_sub_nc_u32 v61, 29, v61 :: v_dual_bitop2_b32 v28, 7, v66 bitop3:0x40
; %bb.118:                              ;   in Loop: Header=BB327_12 Depth=1
	s_or_b32 exec_lo, exec_lo, s45
	s_delay_alu instid0(VALU_DEP_1) | instskip(NEXT) | instid1(VALU_DEP_2)
	v_dual_lshlrev_b32 v63, 24, v65 :: v_dual_lshlrev_b32 v28, 20, v28
	v_lshl_add_u32 v61, v61, 23, 0x3c000000
	s_delay_alu instid0(VALU_DEP_2) | instskip(NEXT) | instid1(VALU_DEP_1)
	v_and_b32_e32 v63, 0x80000000, v63
	v_or3_b32 v61, v28, v63, v61
.LBB327_119:                            ;   in Loop: Header=BB327_12 Depth=1
	s_or_b32 exec_lo, exec_lo, s44
.LBB327_120:                            ;   in Loop: Header=BB327_12 Depth=1
	s_delay_alu instid0(SALU_CYCLE_1)
	s_or_b32 exec_lo, exec_lo, s43
.LBB327_121:                            ;   in Loop: Header=BB327_12 Depth=1
	s_delay_alu instid0(SALU_CYCLE_1) | instskip(SKIP_2) | instid1(VALU_DEP_1)
	s_or_b32 exec_lo, exec_lo, s42
	v_lshrrev_b16 v28, 8, v65
	s_mov_b32 s42, exec_lo
	v_cmpx_ne_u16_e32 0, v28
	s_cbranch_execz .LBB327_129
; %bb.122:                              ;   in Loop: Header=BB327_12 Depth=1
	v_bfrev_b32_e32 v62, 1
	s_mov_b32 s43, exec_lo
	v_cmpx_ne_u16_e32 0x80, v28
	s_cbranch_execz .LBB327_128
; %bb.123:                              ;   in Loop: Header=BB327_12 Depth=1
	v_and_b32_e32 v28, 0xffff, v28
	v_mov_b32_e32 v62, 0x7f800001
	s_mov_b32 s44, exec_lo
	s_delay_alu instid0(VALU_DEP_2) | instskip(NEXT) | instid1(VALU_DEP_1)
	v_and_b32_e32 v63, 0x7f, v28
	v_cmpx_ne_u32_e32 0x7f, v63
	s_cbranch_execz .LBB327_127
; %bb.124:                              ;   in Loop: Header=BB327_12 Depth=1
	v_dual_lshrrev_b32 v62, 3, v63 :: v_dual_bitop2_b32 v28, 7, v28 bitop3:0x40
	s_mov_b32 s45, exec_lo
	v_cmpx_gt_u32_e32 8, v63
; %bb.125:                              ;   in Loop: Header=BB327_12 Depth=1
	s_delay_alu instid0(VALU_DEP_2) | instskip(NEXT) | instid1(VALU_DEP_1)
	v_clz_i32_u32_e32 v62, v28
	v_min_u32_e32 v62, 32, v62
	s_delay_alu instid0(VALU_DEP_1) | instskip(SKIP_1) | instid1(VALU_DEP_2)
	v_subrev_nc_u32_e32 v63, 28, v62
	v_sub_nc_u32_e32 v62, 29, v62
	v_lshlrev_b64_e32 v[66:67], v63, v[28:29]
	s_delay_alu instid0(VALU_DEP_1)
	v_and_b32_e32 v28, 7, v66
; %bb.126:                              ;   in Loop: Header=BB327_12 Depth=1
	s_or_b32 exec_lo, exec_lo, s45
	s_delay_alu instid0(VALU_DEP_1) | instskip(SKIP_1) | instid1(VALU_DEP_2)
	v_dual_lshlrev_b32 v63, 16, v65 :: v_dual_lshlrev_b32 v28, 20, v28
	v_lshl_add_u32 v62, v62, 23, 0x3c000000
	v_and_b32_e32 v63, 0x80000000, v63
	s_delay_alu instid0(VALU_DEP_1)
	v_or3_b32 v62, v28, v63, v62
.LBB327_127:                            ;   in Loop: Header=BB327_12 Depth=1
	s_or_b32 exec_lo, exec_lo, s44
.LBB327_128:                            ;   in Loop: Header=BB327_12 Depth=1
	s_delay_alu instid0(SALU_CYCLE_1)
	s_or_b32 exec_lo, exec_lo, s43
.LBB327_129:                            ;   in Loop: Header=BB327_12 Depth=1
	s_delay_alu instid0(SALU_CYCLE_1) | instskip(SKIP_3) | instid1(VALU_DEP_2)
	s_or_b32 exec_lo, exec_lo, s42
	v_dual_mov_b32 v63, 0 :: v_dual_lshrrev_b32 v66, 16, v65
	v_mov_b32_e32 v64, 0
	s_mov_b32 s42, exec_lo
	v_and_b32_e32 v28, 0xff, v66
	s_delay_alu instid0(VALU_DEP_1)
	v_cmpx_ne_u16_e32 0, v28
	s_cbranch_execz .LBB327_137
; %bb.130:                              ;   in Loop: Header=BB327_12 Depth=1
	v_bfrev_b32_e32 v64, 1
	s_mov_b32 s43, exec_lo
	v_cmpx_ne_u16_e32 0x80, v28
	s_cbranch_execz .LBB327_136
; %bb.131:                              ;   in Loop: Header=BB327_12 Depth=1
	v_bfe_u32 v67, v65, 16, 7
	v_mov_b32_e32 v64, 0x7f800001
	s_mov_b32 s44, exec_lo
	s_delay_alu instid0(VALU_DEP_2)
	v_cmpx_ne_u32_e32 0x7f, v67
	s_cbranch_execz .LBB327_135
; %bb.132:                              ;   in Loop: Header=BB327_12 Depth=1
	v_dual_lshrrev_b32 v64, 3, v67 :: v_dual_bitop2_b32 v28, 7, v66 bitop3:0x40
	s_mov_b32 s45, exec_lo
	v_cmpx_gt_u32_e32 8, v67
; %bb.133:                              ;   in Loop: Header=BB327_12 Depth=1
	s_delay_alu instid0(VALU_DEP_2) | instskip(NEXT) | instid1(VALU_DEP_1)
	v_clz_i32_u32_e32 v64, v28
	v_min_u32_e32 v64, 32, v64
	s_delay_alu instid0(VALU_DEP_1) | instskip(SKIP_1) | instid1(VALU_DEP_2)
	v_subrev_nc_u32_e32 v67, 28, v64
	v_sub_nc_u32_e32 v64, 29, v64
	v_lshlrev_b64_e32 v[68:69], v67, v[28:29]
	s_delay_alu instid0(VALU_DEP_1)
	v_and_b32_e32 v28, 7, v68
; %bb.134:                              ;   in Loop: Header=BB327_12 Depth=1
	s_or_b32 exec_lo, exec_lo, s45
	s_delay_alu instid0(VALU_DEP_1) | instskip(SKIP_1) | instid1(VALU_DEP_2)
	v_dual_lshlrev_b32 v66, 24, v66 :: v_dual_lshlrev_b32 v28, 20, v28
	v_lshl_add_u32 v64, v64, 23, 0x3c000000
	v_and_b32_e32 v66, 0x80000000, v66
	s_delay_alu instid0(VALU_DEP_1)
	v_or3_b32 v64, v28, v66, v64
.LBB327_135:                            ;   in Loop: Header=BB327_12 Depth=1
	s_or_b32 exec_lo, exec_lo, s44
.LBB327_136:                            ;   in Loop: Header=BB327_12 Depth=1
	s_delay_alu instid0(SALU_CYCLE_1)
	s_or_b32 exec_lo, exec_lo, s43
.LBB327_137:                            ;   in Loop: Header=BB327_12 Depth=1
	s_delay_alu instid0(SALU_CYCLE_1) | instskip(NEXT) | instid1(SALU_CYCLE_1)
	s_or_b32 exec_lo, exec_lo, s42
	s_mov_b32 s42, exec_lo
	v_cmpx_lt_u32_e32 0xffffff, v65
	s_cbranch_execz .LBB327_145
; %bb.138:                              ;   in Loop: Header=BB327_12 Depth=1
	v_lshrrev_b32_e32 v66, 24, v65
	v_bfrev_b32_e32 v63, 1
	s_mov_b32 s43, exec_lo
	s_delay_alu instid0(VALU_DEP_2)
	v_cmpx_ne_u32_e32 0x80, v66
	s_cbranch_execz .LBB327_144
; %bb.139:                              ;   in Loop: Header=BB327_12 Depth=1
	v_bfe_u32 v65, v65, 24, 7
	v_mov_b32_e32 v63, 0x7f800001
	s_mov_b32 s44, exec_lo
	s_delay_alu instid0(VALU_DEP_2)
	v_cmpx_ne_u32_e32 0x7f, v65
	s_cbranch_execz .LBB327_143
; %bb.140:                              ;   in Loop: Header=BB327_12 Depth=1
	v_dual_lshrrev_b32 v63, 3, v65 :: v_dual_bitop2_b32 v28, 7, v66 bitop3:0x40
	s_mov_b32 s45, exec_lo
	v_cmpx_gt_u32_e32 8, v65
; %bb.141:                              ;   in Loop: Header=BB327_12 Depth=1
	s_delay_alu instid0(VALU_DEP_2) | instskip(NEXT) | instid1(VALU_DEP_1)
	v_clz_i32_u32_e32 v63, v28
	v_min_u32_e32 v63, 32, v63
	s_delay_alu instid0(VALU_DEP_1) | instskip(NEXT) | instid1(VALU_DEP_1)
	v_subrev_nc_u32_e32 v65, 28, v63
	v_lshlrev_b64_e32 v[68:69], v65, v[28:29]
	s_delay_alu instid0(VALU_DEP_1)
	v_dual_sub_nc_u32 v63, 29, v63 :: v_dual_bitop2_b32 v28, 7, v68 bitop3:0x40
; %bb.142:                              ;   in Loop: Header=BB327_12 Depth=1
	s_or_b32 exec_lo, exec_lo, s45
	s_delay_alu instid0(VALU_DEP_1) | instskip(NEXT) | instid1(VALU_DEP_2)
	v_dual_lshlrev_b32 v65, 24, v66 :: v_dual_lshlrev_b32 v28, 20, v28
	v_lshl_add_u32 v63, v63, 23, 0x3c000000
	s_delay_alu instid0(VALU_DEP_2) | instskip(NEXT) | instid1(VALU_DEP_1)
	v_and_b32_e32 v65, 0x80000000, v65
	v_or3_b32 v63, v28, v65, v63
.LBB327_143:                            ;   in Loop: Header=BB327_12 Depth=1
	s_or_b32 exec_lo, exec_lo, s44
.LBB327_144:                            ;   in Loop: Header=BB327_12 Depth=1
	s_delay_alu instid0(SALU_CYCLE_1)
	s_or_b32 exec_lo, exec_lo, s43
.LBB327_145:                            ;   in Loop: Header=BB327_12 Depth=1
	s_delay_alu instid0(SALU_CYCLE_1)
	s_or_b32 exec_lo, exec_lo, s42
	global_load_b32 v69, v[36:37], off offset:512
	v_dual_mov_b32 v66, 0 :: v_dual_mov_b32 v65, 0
	s_mov_b32 s42, exec_lo
	s_wait_loadcnt 0x0
	v_and_b32_e32 v28, 0xff, v69
	s_delay_alu instid0(VALU_DEP_1)
	v_cmpx_ne_u16_e32 0, v28
	s_cbranch_execz .LBB327_153
; %bb.146:                              ;   in Loop: Header=BB327_12 Depth=1
	v_bfrev_b32_e32 v65, 1
	s_mov_b32 s43, exec_lo
	v_cmpx_ne_u16_e32 0x80, v28
	s_cbranch_execz .LBB327_152
; %bb.147:                              ;   in Loop: Header=BB327_12 Depth=1
	v_and_b32_e32 v67, 0x7f, v69
	v_mov_b32_e32 v65, 0x7f800001
	s_mov_b32 s44, exec_lo
	s_delay_alu instid0(VALU_DEP_2)
	v_cmpx_ne_u32_e32 0x7f, v67
	s_cbranch_execz .LBB327_151
; %bb.148:                              ;   in Loop: Header=BB327_12 Depth=1
	v_dual_lshrrev_b32 v65, 3, v67 :: v_dual_bitop2_b32 v28, 7, v69 bitop3:0x40
	s_mov_b32 s45, exec_lo
	v_cmpx_gt_u32_e32 8, v67
; %bb.149:                              ;   in Loop: Header=BB327_12 Depth=1
	s_delay_alu instid0(VALU_DEP_2) | instskip(NEXT) | instid1(VALU_DEP_1)
	v_clz_i32_u32_e32 v65, v28
	v_min_u32_e32 v65, 32, v65
	s_delay_alu instid0(VALU_DEP_1) | instskip(NEXT) | instid1(VALU_DEP_1)
	v_subrev_nc_u32_e32 v67, 28, v65
	v_lshlrev_b64_e32 v[70:71], v67, v[28:29]
	s_delay_alu instid0(VALU_DEP_1)
	v_dual_sub_nc_u32 v65, 29, v65 :: v_dual_bitop2_b32 v28, 7, v70 bitop3:0x40
; %bb.150:                              ;   in Loop: Header=BB327_12 Depth=1
	s_or_b32 exec_lo, exec_lo, s45
	s_delay_alu instid0(VALU_DEP_1) | instskip(NEXT) | instid1(VALU_DEP_2)
	v_dual_lshlrev_b32 v67, 24, v69 :: v_dual_lshlrev_b32 v28, 20, v28
	v_lshl_add_u32 v65, v65, 23, 0x3c000000
	s_delay_alu instid0(VALU_DEP_2) | instskip(NEXT) | instid1(VALU_DEP_1)
	v_and_b32_e32 v67, 0x80000000, v67
	v_or3_b32 v65, v28, v67, v65
.LBB327_151:                            ;   in Loop: Header=BB327_12 Depth=1
	s_or_b32 exec_lo, exec_lo, s44
.LBB327_152:                            ;   in Loop: Header=BB327_12 Depth=1
	s_delay_alu instid0(SALU_CYCLE_1)
	s_or_b32 exec_lo, exec_lo, s43
.LBB327_153:                            ;   in Loop: Header=BB327_12 Depth=1
	s_delay_alu instid0(SALU_CYCLE_1) | instskip(SKIP_2) | instid1(VALU_DEP_1)
	s_or_b32 exec_lo, exec_lo, s42
	v_lshrrev_b16 v28, 8, v69
	s_mov_b32 s42, exec_lo
	v_cmpx_ne_u16_e32 0, v28
	s_cbranch_execz .LBB327_161
; %bb.154:                              ;   in Loop: Header=BB327_12 Depth=1
	v_bfrev_b32_e32 v66, 1
	s_mov_b32 s43, exec_lo
	v_cmpx_ne_u16_e32 0x80, v28
	s_cbranch_execz .LBB327_160
; %bb.155:                              ;   in Loop: Header=BB327_12 Depth=1
	v_and_b32_e32 v28, 0xffff, v28
	v_mov_b32_e32 v66, 0x7f800001
	s_mov_b32 s44, exec_lo
	s_delay_alu instid0(VALU_DEP_2) | instskip(NEXT) | instid1(VALU_DEP_1)
	v_and_b32_e32 v67, 0x7f, v28
	v_cmpx_ne_u32_e32 0x7f, v67
	s_cbranch_execz .LBB327_159
; %bb.156:                              ;   in Loop: Header=BB327_12 Depth=1
	v_dual_lshrrev_b32 v66, 3, v67 :: v_dual_bitop2_b32 v28, 7, v28 bitop3:0x40
	s_mov_b32 s45, exec_lo
	v_cmpx_gt_u32_e32 8, v67
; %bb.157:                              ;   in Loop: Header=BB327_12 Depth=1
	s_delay_alu instid0(VALU_DEP_2) | instskip(NEXT) | instid1(VALU_DEP_1)
	v_clz_i32_u32_e32 v66, v28
	v_min_u32_e32 v66, 32, v66
	s_delay_alu instid0(VALU_DEP_1) | instskip(SKIP_1) | instid1(VALU_DEP_2)
	v_subrev_nc_u32_e32 v67, 28, v66
	v_sub_nc_u32_e32 v66, 29, v66
	v_lshlrev_b64_e32 v[70:71], v67, v[28:29]
	s_delay_alu instid0(VALU_DEP_1)
	v_and_b32_e32 v28, 7, v70
; %bb.158:                              ;   in Loop: Header=BB327_12 Depth=1
	s_or_b32 exec_lo, exec_lo, s45
	s_delay_alu instid0(VALU_DEP_1) | instskip(SKIP_1) | instid1(VALU_DEP_2)
	v_dual_lshlrev_b32 v67, 16, v69 :: v_dual_lshlrev_b32 v28, 20, v28
	v_lshl_add_u32 v66, v66, 23, 0x3c000000
	v_and_b32_e32 v67, 0x80000000, v67
	s_delay_alu instid0(VALU_DEP_1)
	v_or3_b32 v66, v28, v67, v66
.LBB327_159:                            ;   in Loop: Header=BB327_12 Depth=1
	s_or_b32 exec_lo, exec_lo, s44
.LBB327_160:                            ;   in Loop: Header=BB327_12 Depth=1
	s_delay_alu instid0(SALU_CYCLE_1)
	s_or_b32 exec_lo, exec_lo, s43
.LBB327_161:                            ;   in Loop: Header=BB327_12 Depth=1
	s_delay_alu instid0(SALU_CYCLE_1) | instskip(SKIP_3) | instid1(VALU_DEP_2)
	s_or_b32 exec_lo, exec_lo, s42
	v_dual_mov_b32 v67, 0 :: v_dual_lshrrev_b32 v70, 16, v69
	v_mov_b32_e32 v68, 0
	s_mov_b32 s42, exec_lo
	v_and_b32_e32 v28, 0xff, v70
	s_delay_alu instid0(VALU_DEP_1)
	v_cmpx_ne_u16_e32 0, v28
	s_cbranch_execz .LBB327_169
; %bb.162:                              ;   in Loop: Header=BB327_12 Depth=1
	v_bfrev_b32_e32 v68, 1
	s_mov_b32 s43, exec_lo
	v_cmpx_ne_u16_e32 0x80, v28
	s_cbranch_execz .LBB327_168
; %bb.163:                              ;   in Loop: Header=BB327_12 Depth=1
	v_bfe_u32 v71, v69, 16, 7
	v_mov_b32_e32 v68, 0x7f800001
	s_mov_b32 s44, exec_lo
	s_delay_alu instid0(VALU_DEP_2)
	v_cmpx_ne_u32_e32 0x7f, v71
	s_cbranch_execz .LBB327_167
; %bb.164:                              ;   in Loop: Header=BB327_12 Depth=1
	v_dual_lshrrev_b32 v68, 3, v71 :: v_dual_bitop2_b32 v28, 7, v70 bitop3:0x40
	s_mov_b32 s45, exec_lo
	v_cmpx_gt_u32_e32 8, v71
; %bb.165:                              ;   in Loop: Header=BB327_12 Depth=1
	s_delay_alu instid0(VALU_DEP_2) | instskip(NEXT) | instid1(VALU_DEP_1)
	v_clz_i32_u32_e32 v68, v28
	v_min_u32_e32 v68, 32, v68
	s_delay_alu instid0(VALU_DEP_1) | instskip(SKIP_1) | instid1(VALU_DEP_2)
	v_subrev_nc_u32_e32 v71, 28, v68
	v_sub_nc_u32_e32 v68, 29, v68
	v_lshlrev_b64_e32 v[72:73], v71, v[28:29]
	s_delay_alu instid0(VALU_DEP_1)
	v_and_b32_e32 v28, 7, v72
; %bb.166:                              ;   in Loop: Header=BB327_12 Depth=1
	s_or_b32 exec_lo, exec_lo, s45
	s_delay_alu instid0(VALU_DEP_1) | instskip(SKIP_1) | instid1(VALU_DEP_2)
	v_dual_lshlrev_b32 v70, 24, v70 :: v_dual_lshlrev_b32 v28, 20, v28
	v_lshl_add_u32 v68, v68, 23, 0x3c000000
	v_and_b32_e32 v70, 0x80000000, v70
	s_delay_alu instid0(VALU_DEP_1)
	v_or3_b32 v68, v28, v70, v68
.LBB327_167:                            ;   in Loop: Header=BB327_12 Depth=1
	s_or_b32 exec_lo, exec_lo, s44
.LBB327_168:                            ;   in Loop: Header=BB327_12 Depth=1
	s_delay_alu instid0(SALU_CYCLE_1)
	s_or_b32 exec_lo, exec_lo, s43
.LBB327_169:                            ;   in Loop: Header=BB327_12 Depth=1
	s_delay_alu instid0(SALU_CYCLE_1) | instskip(NEXT) | instid1(SALU_CYCLE_1)
	s_or_b32 exec_lo, exec_lo, s42
	s_mov_b32 s42, exec_lo
	v_cmpx_lt_u32_e32 0xffffff, v69
	s_cbranch_execz .LBB327_177
; %bb.170:                              ;   in Loop: Header=BB327_12 Depth=1
	v_lshrrev_b32_e32 v70, 24, v69
	v_bfrev_b32_e32 v67, 1
	s_mov_b32 s43, exec_lo
	s_delay_alu instid0(VALU_DEP_2)
	v_cmpx_ne_u32_e32 0x80, v70
	s_cbranch_execz .LBB327_176
; %bb.171:                              ;   in Loop: Header=BB327_12 Depth=1
	v_bfe_u32 v69, v69, 24, 7
	v_mov_b32_e32 v67, 0x7f800001
	s_mov_b32 s44, exec_lo
	s_delay_alu instid0(VALU_DEP_2)
	v_cmpx_ne_u32_e32 0x7f, v69
	s_cbranch_execz .LBB327_175
; %bb.172:                              ;   in Loop: Header=BB327_12 Depth=1
	v_dual_lshrrev_b32 v67, 3, v69 :: v_dual_bitop2_b32 v28, 7, v70 bitop3:0x40
	s_mov_b32 s45, exec_lo
	v_cmpx_gt_u32_e32 8, v69
; %bb.173:                              ;   in Loop: Header=BB327_12 Depth=1
	s_delay_alu instid0(VALU_DEP_2) | instskip(NEXT) | instid1(VALU_DEP_1)
	v_clz_i32_u32_e32 v67, v28
	v_min_u32_e32 v67, 32, v67
	s_delay_alu instid0(VALU_DEP_1) | instskip(NEXT) | instid1(VALU_DEP_1)
	v_subrev_nc_u32_e32 v69, 28, v67
	v_lshlrev_b64_e32 v[72:73], v69, v[28:29]
	s_delay_alu instid0(VALU_DEP_1)
	v_dual_sub_nc_u32 v67, 29, v67 :: v_dual_bitop2_b32 v28, 7, v72 bitop3:0x40
; %bb.174:                              ;   in Loop: Header=BB327_12 Depth=1
	s_or_b32 exec_lo, exec_lo, s45
	s_delay_alu instid0(VALU_DEP_1) | instskip(NEXT) | instid1(VALU_DEP_2)
	v_dual_lshlrev_b32 v69, 24, v70 :: v_dual_lshlrev_b32 v28, 20, v28
	v_lshl_add_u32 v67, v67, 23, 0x3c000000
	s_delay_alu instid0(VALU_DEP_2) | instskip(NEXT) | instid1(VALU_DEP_1)
	v_and_b32_e32 v69, 0x80000000, v69
	v_or3_b32 v67, v28, v69, v67
.LBB327_175:                            ;   in Loop: Header=BB327_12 Depth=1
	s_or_b32 exec_lo, exec_lo, s44
.LBB327_176:                            ;   in Loop: Header=BB327_12 Depth=1
	s_delay_alu instid0(SALU_CYCLE_1)
	s_or_b32 exec_lo, exec_lo, s43
.LBB327_177:                            ;   in Loop: Header=BB327_12 Depth=1
	s_delay_alu instid0(SALU_CYCLE_1)
	s_or_b32 exec_lo, exec_lo, s42
	global_load_b32 v73, v[36:37], off offset:520
	v_dual_mov_b32 v70, 0 :: v_dual_mov_b32 v69, 0
	s_mov_b32 s42, exec_lo
	s_wait_loadcnt 0x0
	v_and_b32_e32 v28, 0xff, v73
	s_delay_alu instid0(VALU_DEP_1)
	v_cmpx_ne_u16_e32 0, v28
	s_cbranch_execz .LBB327_185
; %bb.178:                              ;   in Loop: Header=BB327_12 Depth=1
	v_bfrev_b32_e32 v69, 1
	s_mov_b32 s43, exec_lo
	v_cmpx_ne_u16_e32 0x80, v28
	s_cbranch_execz .LBB327_184
; %bb.179:                              ;   in Loop: Header=BB327_12 Depth=1
	v_and_b32_e32 v71, 0x7f, v73
	v_mov_b32_e32 v69, 0x7f800001
	s_mov_b32 s44, exec_lo
	s_delay_alu instid0(VALU_DEP_2)
	v_cmpx_ne_u32_e32 0x7f, v71
	s_cbranch_execz .LBB327_183
; %bb.180:                              ;   in Loop: Header=BB327_12 Depth=1
	v_dual_lshrrev_b32 v69, 3, v71 :: v_dual_bitop2_b32 v28, 7, v73 bitop3:0x40
	s_mov_b32 s45, exec_lo
	v_cmpx_gt_u32_e32 8, v71
; %bb.181:                              ;   in Loop: Header=BB327_12 Depth=1
	s_delay_alu instid0(VALU_DEP_2) | instskip(NEXT) | instid1(VALU_DEP_1)
	v_clz_i32_u32_e32 v69, v28
	v_min_u32_e32 v69, 32, v69
	s_delay_alu instid0(VALU_DEP_1) | instskip(NEXT) | instid1(VALU_DEP_1)
	v_subrev_nc_u32_e32 v71, 28, v69
	v_lshlrev_b64_e32 v[74:75], v71, v[28:29]
	s_delay_alu instid0(VALU_DEP_1)
	v_dual_sub_nc_u32 v69, 29, v69 :: v_dual_bitop2_b32 v28, 7, v74 bitop3:0x40
; %bb.182:                              ;   in Loop: Header=BB327_12 Depth=1
	s_or_b32 exec_lo, exec_lo, s45
	s_delay_alu instid0(VALU_DEP_1) | instskip(NEXT) | instid1(VALU_DEP_2)
	v_dual_lshlrev_b32 v71, 24, v73 :: v_dual_lshlrev_b32 v28, 20, v28
	v_lshl_add_u32 v69, v69, 23, 0x3c000000
	s_delay_alu instid0(VALU_DEP_2) | instskip(NEXT) | instid1(VALU_DEP_1)
	v_and_b32_e32 v71, 0x80000000, v71
	v_or3_b32 v69, v28, v71, v69
.LBB327_183:                            ;   in Loop: Header=BB327_12 Depth=1
	s_or_b32 exec_lo, exec_lo, s44
.LBB327_184:                            ;   in Loop: Header=BB327_12 Depth=1
	s_delay_alu instid0(SALU_CYCLE_1)
	s_or_b32 exec_lo, exec_lo, s43
.LBB327_185:                            ;   in Loop: Header=BB327_12 Depth=1
	s_delay_alu instid0(SALU_CYCLE_1) | instskip(SKIP_2) | instid1(VALU_DEP_1)
	s_or_b32 exec_lo, exec_lo, s42
	v_lshrrev_b16 v28, 8, v73
	s_mov_b32 s42, exec_lo
	v_cmpx_ne_u16_e32 0, v28
	s_cbranch_execz .LBB327_193
; %bb.186:                              ;   in Loop: Header=BB327_12 Depth=1
	v_bfrev_b32_e32 v70, 1
	s_mov_b32 s43, exec_lo
	v_cmpx_ne_u16_e32 0x80, v28
	s_cbranch_execz .LBB327_192
; %bb.187:                              ;   in Loop: Header=BB327_12 Depth=1
	v_and_b32_e32 v28, 0xffff, v28
	v_mov_b32_e32 v70, 0x7f800001
	s_mov_b32 s44, exec_lo
	s_delay_alu instid0(VALU_DEP_2) | instskip(NEXT) | instid1(VALU_DEP_1)
	v_and_b32_e32 v71, 0x7f, v28
	v_cmpx_ne_u32_e32 0x7f, v71
	s_cbranch_execz .LBB327_191
; %bb.188:                              ;   in Loop: Header=BB327_12 Depth=1
	v_dual_lshrrev_b32 v70, 3, v71 :: v_dual_bitop2_b32 v28, 7, v28 bitop3:0x40
	s_mov_b32 s45, exec_lo
	v_cmpx_gt_u32_e32 8, v71
; %bb.189:                              ;   in Loop: Header=BB327_12 Depth=1
	s_delay_alu instid0(VALU_DEP_2) | instskip(NEXT) | instid1(VALU_DEP_1)
	v_clz_i32_u32_e32 v70, v28
	v_min_u32_e32 v70, 32, v70
	s_delay_alu instid0(VALU_DEP_1) | instskip(SKIP_1) | instid1(VALU_DEP_2)
	v_subrev_nc_u32_e32 v71, 28, v70
	v_sub_nc_u32_e32 v70, 29, v70
	v_lshlrev_b64_e32 v[74:75], v71, v[28:29]
	s_delay_alu instid0(VALU_DEP_1)
	v_and_b32_e32 v28, 7, v74
; %bb.190:                              ;   in Loop: Header=BB327_12 Depth=1
	s_or_b32 exec_lo, exec_lo, s45
	s_delay_alu instid0(VALU_DEP_1) | instskip(SKIP_1) | instid1(VALU_DEP_2)
	v_dual_lshlrev_b32 v71, 16, v73 :: v_dual_lshlrev_b32 v28, 20, v28
	v_lshl_add_u32 v70, v70, 23, 0x3c000000
	v_and_b32_e32 v71, 0x80000000, v71
	s_delay_alu instid0(VALU_DEP_1)
	v_or3_b32 v70, v28, v71, v70
.LBB327_191:                            ;   in Loop: Header=BB327_12 Depth=1
	s_or_b32 exec_lo, exec_lo, s44
.LBB327_192:                            ;   in Loop: Header=BB327_12 Depth=1
	s_delay_alu instid0(SALU_CYCLE_1)
	s_or_b32 exec_lo, exec_lo, s43
.LBB327_193:                            ;   in Loop: Header=BB327_12 Depth=1
	s_delay_alu instid0(SALU_CYCLE_1) | instskip(SKIP_3) | instid1(VALU_DEP_2)
	s_or_b32 exec_lo, exec_lo, s42
	v_dual_mov_b32 v71, 0 :: v_dual_lshrrev_b32 v74, 16, v73
	v_mov_b32_e32 v72, 0
	s_mov_b32 s42, exec_lo
	v_and_b32_e32 v28, 0xff, v74
	s_delay_alu instid0(VALU_DEP_1)
	v_cmpx_ne_u16_e32 0, v28
	s_cbranch_execz .LBB327_201
; %bb.194:                              ;   in Loop: Header=BB327_12 Depth=1
	v_bfrev_b32_e32 v72, 1
	s_mov_b32 s43, exec_lo
	v_cmpx_ne_u16_e32 0x80, v28
	s_cbranch_execz .LBB327_200
; %bb.195:                              ;   in Loop: Header=BB327_12 Depth=1
	v_bfe_u32 v75, v73, 16, 7
	v_mov_b32_e32 v72, 0x7f800001
	s_mov_b32 s44, exec_lo
	s_delay_alu instid0(VALU_DEP_2)
	v_cmpx_ne_u32_e32 0x7f, v75
	s_cbranch_execz .LBB327_199
; %bb.196:                              ;   in Loop: Header=BB327_12 Depth=1
	v_dual_lshrrev_b32 v72, 3, v75 :: v_dual_bitop2_b32 v28, 7, v74 bitop3:0x40
	s_mov_b32 s45, exec_lo
	v_cmpx_gt_u32_e32 8, v75
; %bb.197:                              ;   in Loop: Header=BB327_12 Depth=1
	s_delay_alu instid0(VALU_DEP_2) | instskip(NEXT) | instid1(VALU_DEP_1)
	v_clz_i32_u32_e32 v72, v28
	v_min_u32_e32 v72, 32, v72
	s_delay_alu instid0(VALU_DEP_1) | instskip(SKIP_1) | instid1(VALU_DEP_2)
	v_subrev_nc_u32_e32 v75, 28, v72
	v_sub_nc_u32_e32 v72, 29, v72
	v_lshlrev_b64_e32 v[76:77], v75, v[28:29]
	s_delay_alu instid0(VALU_DEP_1)
	v_and_b32_e32 v28, 7, v76
; %bb.198:                              ;   in Loop: Header=BB327_12 Depth=1
	s_or_b32 exec_lo, exec_lo, s45
	s_delay_alu instid0(VALU_DEP_1) | instskip(SKIP_1) | instid1(VALU_DEP_2)
	v_dual_lshlrev_b32 v74, 24, v74 :: v_dual_lshlrev_b32 v28, 20, v28
	v_lshl_add_u32 v72, v72, 23, 0x3c000000
	v_and_b32_e32 v74, 0x80000000, v74
	s_delay_alu instid0(VALU_DEP_1)
	v_or3_b32 v72, v28, v74, v72
.LBB327_199:                            ;   in Loop: Header=BB327_12 Depth=1
	s_or_b32 exec_lo, exec_lo, s44
.LBB327_200:                            ;   in Loop: Header=BB327_12 Depth=1
	s_delay_alu instid0(SALU_CYCLE_1)
	s_or_b32 exec_lo, exec_lo, s43
.LBB327_201:                            ;   in Loop: Header=BB327_12 Depth=1
	s_delay_alu instid0(SALU_CYCLE_1) | instskip(NEXT) | instid1(SALU_CYCLE_1)
	s_or_b32 exec_lo, exec_lo, s42
	s_mov_b32 s42, exec_lo
	v_cmpx_lt_u32_e32 0xffffff, v73
	s_cbranch_execz .LBB327_209
; %bb.202:                              ;   in Loop: Header=BB327_12 Depth=1
	v_lshrrev_b32_e32 v74, 24, v73
	v_bfrev_b32_e32 v71, 1
	s_mov_b32 s43, exec_lo
	s_delay_alu instid0(VALU_DEP_2)
	v_cmpx_ne_u32_e32 0x80, v74
	s_cbranch_execz .LBB327_208
; %bb.203:                              ;   in Loop: Header=BB327_12 Depth=1
	v_bfe_u32 v73, v73, 24, 7
	v_mov_b32_e32 v71, 0x7f800001
	s_mov_b32 s44, exec_lo
	s_delay_alu instid0(VALU_DEP_2)
	v_cmpx_ne_u32_e32 0x7f, v73
	s_cbranch_execz .LBB327_207
; %bb.204:                              ;   in Loop: Header=BB327_12 Depth=1
	v_dual_lshrrev_b32 v71, 3, v73 :: v_dual_bitop2_b32 v28, 7, v74 bitop3:0x40
	s_mov_b32 s45, exec_lo
	v_cmpx_gt_u32_e32 8, v73
; %bb.205:                              ;   in Loop: Header=BB327_12 Depth=1
	s_delay_alu instid0(VALU_DEP_2) | instskip(NEXT) | instid1(VALU_DEP_1)
	v_clz_i32_u32_e32 v71, v28
	v_min_u32_e32 v71, 32, v71
	s_delay_alu instid0(VALU_DEP_1) | instskip(NEXT) | instid1(VALU_DEP_1)
	v_subrev_nc_u32_e32 v73, 28, v71
	v_lshlrev_b64_e32 v[76:77], v73, v[28:29]
	s_delay_alu instid0(VALU_DEP_1)
	v_dual_sub_nc_u32 v71, 29, v71 :: v_dual_bitop2_b32 v28, 7, v76 bitop3:0x40
; %bb.206:                              ;   in Loop: Header=BB327_12 Depth=1
	s_or_b32 exec_lo, exec_lo, s45
	s_delay_alu instid0(VALU_DEP_1) | instskip(NEXT) | instid1(VALU_DEP_2)
	v_dual_lshlrev_b32 v73, 24, v74 :: v_dual_lshlrev_b32 v28, 20, v28
	v_lshl_add_u32 v71, v71, 23, 0x3c000000
	s_delay_alu instid0(VALU_DEP_2) | instskip(NEXT) | instid1(VALU_DEP_1)
	v_and_b32_e32 v73, 0x80000000, v73
	v_or3_b32 v71, v28, v73, v71
.LBB327_207:                            ;   in Loop: Header=BB327_12 Depth=1
	s_or_b32 exec_lo, exec_lo, s44
.LBB327_208:                            ;   in Loop: Header=BB327_12 Depth=1
	s_delay_alu instid0(SALU_CYCLE_1)
	s_or_b32 exec_lo, exec_lo, s43
.LBB327_209:                            ;   in Loop: Header=BB327_12 Depth=1
	s_delay_alu instid0(SALU_CYCLE_1)
	s_or_b32 exec_lo, exec_lo, s42
	global_load_b32 v77, v[36:37], off offset:768
	v_dual_mov_b32 v74, 0 :: v_dual_mov_b32 v73, 0
	s_mov_b32 s42, exec_lo
	s_wait_loadcnt 0x0
	v_and_b32_e32 v28, 0xff, v77
	s_delay_alu instid0(VALU_DEP_1)
	v_cmpx_ne_u16_e32 0, v28
	s_cbranch_execz .LBB327_217
; %bb.210:                              ;   in Loop: Header=BB327_12 Depth=1
	v_bfrev_b32_e32 v73, 1
	s_mov_b32 s43, exec_lo
	v_cmpx_ne_u16_e32 0x80, v28
	s_cbranch_execz .LBB327_216
; %bb.211:                              ;   in Loop: Header=BB327_12 Depth=1
	v_and_b32_e32 v75, 0x7f, v77
	v_mov_b32_e32 v73, 0x7f800001
	s_mov_b32 s44, exec_lo
	s_delay_alu instid0(VALU_DEP_2)
	v_cmpx_ne_u32_e32 0x7f, v75
	s_cbranch_execz .LBB327_215
; %bb.212:                              ;   in Loop: Header=BB327_12 Depth=1
	v_dual_lshrrev_b32 v73, 3, v75 :: v_dual_bitop2_b32 v28, 7, v77 bitop3:0x40
	s_mov_b32 s45, exec_lo
	v_cmpx_gt_u32_e32 8, v75
; %bb.213:                              ;   in Loop: Header=BB327_12 Depth=1
	s_delay_alu instid0(VALU_DEP_2) | instskip(NEXT) | instid1(VALU_DEP_1)
	v_clz_i32_u32_e32 v73, v28
	v_min_u32_e32 v73, 32, v73
	s_delay_alu instid0(VALU_DEP_1) | instskip(NEXT) | instid1(VALU_DEP_1)
	v_subrev_nc_u32_e32 v75, 28, v73
	v_lshlrev_b64_e32 v[78:79], v75, v[28:29]
	s_delay_alu instid0(VALU_DEP_1)
	v_dual_sub_nc_u32 v73, 29, v73 :: v_dual_bitop2_b32 v28, 7, v78 bitop3:0x40
; %bb.214:                              ;   in Loop: Header=BB327_12 Depth=1
	s_or_b32 exec_lo, exec_lo, s45
	s_delay_alu instid0(VALU_DEP_1) | instskip(NEXT) | instid1(VALU_DEP_2)
	v_dual_lshlrev_b32 v75, 24, v77 :: v_dual_lshlrev_b32 v28, 20, v28
	v_lshl_add_u32 v73, v73, 23, 0x3c000000
	s_delay_alu instid0(VALU_DEP_2) | instskip(NEXT) | instid1(VALU_DEP_1)
	v_and_b32_e32 v75, 0x80000000, v75
	v_or3_b32 v73, v28, v75, v73
.LBB327_215:                            ;   in Loop: Header=BB327_12 Depth=1
	s_or_b32 exec_lo, exec_lo, s44
.LBB327_216:                            ;   in Loop: Header=BB327_12 Depth=1
	s_delay_alu instid0(SALU_CYCLE_1)
	s_or_b32 exec_lo, exec_lo, s43
.LBB327_217:                            ;   in Loop: Header=BB327_12 Depth=1
	s_delay_alu instid0(SALU_CYCLE_1) | instskip(SKIP_2) | instid1(VALU_DEP_1)
	s_or_b32 exec_lo, exec_lo, s42
	v_lshrrev_b16 v28, 8, v77
	s_mov_b32 s42, exec_lo
	v_cmpx_ne_u16_e32 0, v28
	s_cbranch_execz .LBB327_225
; %bb.218:                              ;   in Loop: Header=BB327_12 Depth=1
	v_bfrev_b32_e32 v74, 1
	s_mov_b32 s43, exec_lo
	v_cmpx_ne_u16_e32 0x80, v28
	s_cbranch_execz .LBB327_224
; %bb.219:                              ;   in Loop: Header=BB327_12 Depth=1
	v_and_b32_e32 v28, 0xffff, v28
	v_mov_b32_e32 v74, 0x7f800001
	s_mov_b32 s44, exec_lo
	s_delay_alu instid0(VALU_DEP_2) | instskip(NEXT) | instid1(VALU_DEP_1)
	v_and_b32_e32 v75, 0x7f, v28
	v_cmpx_ne_u32_e32 0x7f, v75
	s_cbranch_execz .LBB327_223
; %bb.220:                              ;   in Loop: Header=BB327_12 Depth=1
	v_dual_lshrrev_b32 v74, 3, v75 :: v_dual_bitop2_b32 v28, 7, v28 bitop3:0x40
	s_mov_b32 s45, exec_lo
	v_cmpx_gt_u32_e32 8, v75
; %bb.221:                              ;   in Loop: Header=BB327_12 Depth=1
	s_delay_alu instid0(VALU_DEP_2) | instskip(NEXT) | instid1(VALU_DEP_1)
	v_clz_i32_u32_e32 v74, v28
	v_min_u32_e32 v74, 32, v74
	s_delay_alu instid0(VALU_DEP_1) | instskip(SKIP_1) | instid1(VALU_DEP_2)
	v_subrev_nc_u32_e32 v75, 28, v74
	v_sub_nc_u32_e32 v74, 29, v74
	v_lshlrev_b64_e32 v[78:79], v75, v[28:29]
	s_delay_alu instid0(VALU_DEP_1)
	v_and_b32_e32 v28, 7, v78
; %bb.222:                              ;   in Loop: Header=BB327_12 Depth=1
	s_or_b32 exec_lo, exec_lo, s45
	s_delay_alu instid0(VALU_DEP_1) | instskip(SKIP_1) | instid1(VALU_DEP_2)
	v_dual_lshlrev_b32 v75, 16, v77 :: v_dual_lshlrev_b32 v28, 20, v28
	v_lshl_add_u32 v74, v74, 23, 0x3c000000
	v_and_b32_e32 v75, 0x80000000, v75
	s_delay_alu instid0(VALU_DEP_1)
	v_or3_b32 v74, v28, v75, v74
.LBB327_223:                            ;   in Loop: Header=BB327_12 Depth=1
	s_or_b32 exec_lo, exec_lo, s44
.LBB327_224:                            ;   in Loop: Header=BB327_12 Depth=1
	s_delay_alu instid0(SALU_CYCLE_1)
	s_or_b32 exec_lo, exec_lo, s43
.LBB327_225:                            ;   in Loop: Header=BB327_12 Depth=1
	s_delay_alu instid0(SALU_CYCLE_1) | instskip(SKIP_3) | instid1(VALU_DEP_2)
	s_or_b32 exec_lo, exec_lo, s42
	v_dual_mov_b32 v75, 0 :: v_dual_lshrrev_b32 v78, 16, v77
	v_mov_b32_e32 v76, 0
	s_mov_b32 s42, exec_lo
	v_and_b32_e32 v28, 0xff, v78
	s_delay_alu instid0(VALU_DEP_1)
	v_cmpx_ne_u16_e32 0, v28
	s_cbranch_execz .LBB327_233
; %bb.226:                              ;   in Loop: Header=BB327_12 Depth=1
	v_bfrev_b32_e32 v76, 1
	s_mov_b32 s43, exec_lo
	v_cmpx_ne_u16_e32 0x80, v28
	s_cbranch_execz .LBB327_232
; %bb.227:                              ;   in Loop: Header=BB327_12 Depth=1
	v_bfe_u32 v79, v77, 16, 7
	v_mov_b32_e32 v76, 0x7f800001
	s_mov_b32 s44, exec_lo
	s_delay_alu instid0(VALU_DEP_2)
	v_cmpx_ne_u32_e32 0x7f, v79
	s_cbranch_execz .LBB327_231
; %bb.228:                              ;   in Loop: Header=BB327_12 Depth=1
	v_dual_lshrrev_b32 v76, 3, v79 :: v_dual_bitop2_b32 v28, 7, v78 bitop3:0x40
	s_mov_b32 s45, exec_lo
	v_cmpx_gt_u32_e32 8, v79
; %bb.229:                              ;   in Loop: Header=BB327_12 Depth=1
	s_delay_alu instid0(VALU_DEP_2) | instskip(NEXT) | instid1(VALU_DEP_1)
	v_clz_i32_u32_e32 v76, v28
	v_min_u32_e32 v76, 32, v76
	s_delay_alu instid0(VALU_DEP_1) | instskip(SKIP_1) | instid1(VALU_DEP_2)
	v_subrev_nc_u32_e32 v79, 28, v76
	v_sub_nc_u32_e32 v76, 29, v76
	v_lshlrev_b64_e32 v[80:81], v79, v[28:29]
	s_delay_alu instid0(VALU_DEP_1)
	v_and_b32_e32 v28, 7, v80
; %bb.230:                              ;   in Loop: Header=BB327_12 Depth=1
	s_or_b32 exec_lo, exec_lo, s45
	s_delay_alu instid0(VALU_DEP_1) | instskip(SKIP_1) | instid1(VALU_DEP_2)
	v_dual_lshlrev_b32 v78, 24, v78 :: v_dual_lshlrev_b32 v28, 20, v28
	v_lshl_add_u32 v76, v76, 23, 0x3c000000
	v_and_b32_e32 v78, 0x80000000, v78
	s_delay_alu instid0(VALU_DEP_1)
	v_or3_b32 v76, v28, v78, v76
.LBB327_231:                            ;   in Loop: Header=BB327_12 Depth=1
	s_or_b32 exec_lo, exec_lo, s44
.LBB327_232:                            ;   in Loop: Header=BB327_12 Depth=1
	s_delay_alu instid0(SALU_CYCLE_1)
	s_or_b32 exec_lo, exec_lo, s43
.LBB327_233:                            ;   in Loop: Header=BB327_12 Depth=1
	s_delay_alu instid0(SALU_CYCLE_1) | instskip(NEXT) | instid1(SALU_CYCLE_1)
	s_or_b32 exec_lo, exec_lo, s42
	s_mov_b32 s42, exec_lo
	v_cmpx_lt_u32_e32 0xffffff, v77
	s_cbranch_execz .LBB327_241
; %bb.234:                              ;   in Loop: Header=BB327_12 Depth=1
	v_lshrrev_b32_e32 v78, 24, v77
	v_bfrev_b32_e32 v75, 1
	s_mov_b32 s43, exec_lo
	s_delay_alu instid0(VALU_DEP_2)
	v_cmpx_ne_u32_e32 0x80, v78
	s_cbranch_execz .LBB327_240
; %bb.235:                              ;   in Loop: Header=BB327_12 Depth=1
	v_bfe_u32 v77, v77, 24, 7
	v_mov_b32_e32 v75, 0x7f800001
	s_mov_b32 s44, exec_lo
	s_delay_alu instid0(VALU_DEP_2)
	v_cmpx_ne_u32_e32 0x7f, v77
	s_cbranch_execz .LBB327_239
; %bb.236:                              ;   in Loop: Header=BB327_12 Depth=1
	v_dual_lshrrev_b32 v75, 3, v77 :: v_dual_bitop2_b32 v28, 7, v78 bitop3:0x40
	s_mov_b32 s45, exec_lo
	v_cmpx_gt_u32_e32 8, v77
; %bb.237:                              ;   in Loop: Header=BB327_12 Depth=1
	s_delay_alu instid0(VALU_DEP_2) | instskip(NEXT) | instid1(VALU_DEP_1)
	v_clz_i32_u32_e32 v75, v28
	v_min_u32_e32 v75, 32, v75
	s_delay_alu instid0(VALU_DEP_1) | instskip(NEXT) | instid1(VALU_DEP_1)
	v_subrev_nc_u32_e32 v77, 28, v75
	v_lshlrev_b64_e32 v[80:81], v77, v[28:29]
	s_delay_alu instid0(VALU_DEP_1)
	v_dual_sub_nc_u32 v75, 29, v75 :: v_dual_bitop2_b32 v28, 7, v80 bitop3:0x40
; %bb.238:                              ;   in Loop: Header=BB327_12 Depth=1
	s_or_b32 exec_lo, exec_lo, s45
	s_delay_alu instid0(VALU_DEP_1) | instskip(NEXT) | instid1(VALU_DEP_2)
	v_dual_lshlrev_b32 v77, 24, v78 :: v_dual_lshlrev_b32 v28, 20, v28
	v_lshl_add_u32 v75, v75, 23, 0x3c000000
	s_delay_alu instid0(VALU_DEP_2) | instskip(NEXT) | instid1(VALU_DEP_1)
	v_and_b32_e32 v77, 0x80000000, v77
	v_or3_b32 v75, v28, v77, v75
.LBB327_239:                            ;   in Loop: Header=BB327_12 Depth=1
	s_or_b32 exec_lo, exec_lo, s44
.LBB327_240:                            ;   in Loop: Header=BB327_12 Depth=1
	s_delay_alu instid0(SALU_CYCLE_1)
	s_or_b32 exec_lo, exec_lo, s43
.LBB327_241:                            ;   in Loop: Header=BB327_12 Depth=1
	s_delay_alu instid0(SALU_CYCLE_1)
	s_or_b32 exec_lo, exec_lo, s42
	global_load_b32 v81, v[36:37], off offset:776
	v_dual_mov_b32 v78, 0 :: v_dual_mov_b32 v77, 0
	s_mov_b32 s42, exec_lo
	s_wait_loadcnt 0x0
	v_and_b32_e32 v28, 0xff, v81
	s_delay_alu instid0(VALU_DEP_1)
	v_cmpx_ne_u16_e32 0, v28
	s_cbranch_execz .LBB327_249
; %bb.242:                              ;   in Loop: Header=BB327_12 Depth=1
	v_bfrev_b32_e32 v77, 1
	s_mov_b32 s43, exec_lo
	v_cmpx_ne_u16_e32 0x80, v28
	s_cbranch_execz .LBB327_248
; %bb.243:                              ;   in Loop: Header=BB327_12 Depth=1
	v_and_b32_e32 v79, 0x7f, v81
	v_mov_b32_e32 v77, 0x7f800001
	s_mov_b32 s44, exec_lo
	s_delay_alu instid0(VALU_DEP_2)
	v_cmpx_ne_u32_e32 0x7f, v79
	s_cbranch_execz .LBB327_247
; %bb.244:                              ;   in Loop: Header=BB327_12 Depth=1
	v_dual_lshrrev_b32 v77, 3, v79 :: v_dual_bitop2_b32 v28, 7, v81 bitop3:0x40
	s_mov_b32 s45, exec_lo
	v_cmpx_gt_u32_e32 8, v79
; %bb.245:                              ;   in Loop: Header=BB327_12 Depth=1
	s_delay_alu instid0(VALU_DEP_2) | instskip(NEXT) | instid1(VALU_DEP_1)
	v_clz_i32_u32_e32 v77, v28
	v_min_u32_e32 v77, 32, v77
	s_delay_alu instid0(VALU_DEP_1) | instskip(NEXT) | instid1(VALU_DEP_1)
	v_subrev_nc_u32_e32 v79, 28, v77
	v_lshlrev_b64_e32 v[82:83], v79, v[28:29]
	s_delay_alu instid0(VALU_DEP_1)
	v_dual_sub_nc_u32 v77, 29, v77 :: v_dual_bitop2_b32 v28, 7, v82 bitop3:0x40
; %bb.246:                              ;   in Loop: Header=BB327_12 Depth=1
	s_or_b32 exec_lo, exec_lo, s45
	s_delay_alu instid0(VALU_DEP_1) | instskip(NEXT) | instid1(VALU_DEP_2)
	v_dual_lshlrev_b32 v79, 24, v81 :: v_dual_lshlrev_b32 v28, 20, v28
	v_lshl_add_u32 v77, v77, 23, 0x3c000000
	s_delay_alu instid0(VALU_DEP_2) | instskip(NEXT) | instid1(VALU_DEP_1)
	v_and_b32_e32 v79, 0x80000000, v79
	v_or3_b32 v77, v28, v79, v77
.LBB327_247:                            ;   in Loop: Header=BB327_12 Depth=1
	s_or_b32 exec_lo, exec_lo, s44
.LBB327_248:                            ;   in Loop: Header=BB327_12 Depth=1
	s_delay_alu instid0(SALU_CYCLE_1)
	s_or_b32 exec_lo, exec_lo, s43
.LBB327_249:                            ;   in Loop: Header=BB327_12 Depth=1
	s_delay_alu instid0(SALU_CYCLE_1) | instskip(SKIP_2) | instid1(VALU_DEP_1)
	s_or_b32 exec_lo, exec_lo, s42
	v_lshrrev_b16 v28, 8, v81
	s_mov_b32 s42, exec_lo
	v_cmpx_ne_u16_e32 0, v28
	s_cbranch_execz .LBB327_257
; %bb.250:                              ;   in Loop: Header=BB327_12 Depth=1
	v_bfrev_b32_e32 v78, 1
	s_mov_b32 s43, exec_lo
	v_cmpx_ne_u16_e32 0x80, v28
	s_cbranch_execz .LBB327_256
; %bb.251:                              ;   in Loop: Header=BB327_12 Depth=1
	v_and_b32_e32 v28, 0xffff, v28
	v_mov_b32_e32 v78, 0x7f800001
	s_mov_b32 s44, exec_lo
	s_delay_alu instid0(VALU_DEP_2) | instskip(NEXT) | instid1(VALU_DEP_1)
	v_and_b32_e32 v79, 0x7f, v28
	v_cmpx_ne_u32_e32 0x7f, v79
	s_cbranch_execz .LBB327_255
; %bb.252:                              ;   in Loop: Header=BB327_12 Depth=1
	v_dual_lshrrev_b32 v78, 3, v79 :: v_dual_bitop2_b32 v28, 7, v28 bitop3:0x40
	s_mov_b32 s45, exec_lo
	v_cmpx_gt_u32_e32 8, v79
; %bb.253:                              ;   in Loop: Header=BB327_12 Depth=1
	s_delay_alu instid0(VALU_DEP_2) | instskip(NEXT) | instid1(VALU_DEP_1)
	v_clz_i32_u32_e32 v78, v28
	v_min_u32_e32 v78, 32, v78
	s_delay_alu instid0(VALU_DEP_1) | instskip(SKIP_1) | instid1(VALU_DEP_2)
	v_subrev_nc_u32_e32 v79, 28, v78
	v_sub_nc_u32_e32 v78, 29, v78
	v_lshlrev_b64_e32 v[82:83], v79, v[28:29]
	s_delay_alu instid0(VALU_DEP_1)
	v_and_b32_e32 v28, 7, v82
; %bb.254:                              ;   in Loop: Header=BB327_12 Depth=1
	s_or_b32 exec_lo, exec_lo, s45
	s_delay_alu instid0(VALU_DEP_1) | instskip(SKIP_1) | instid1(VALU_DEP_2)
	v_dual_lshlrev_b32 v79, 16, v81 :: v_dual_lshlrev_b32 v28, 20, v28
	v_lshl_add_u32 v78, v78, 23, 0x3c000000
	v_and_b32_e32 v79, 0x80000000, v79
	s_delay_alu instid0(VALU_DEP_1)
	v_or3_b32 v78, v28, v79, v78
.LBB327_255:                            ;   in Loop: Header=BB327_12 Depth=1
	s_or_b32 exec_lo, exec_lo, s44
.LBB327_256:                            ;   in Loop: Header=BB327_12 Depth=1
	s_delay_alu instid0(SALU_CYCLE_1)
	s_or_b32 exec_lo, exec_lo, s43
.LBB327_257:                            ;   in Loop: Header=BB327_12 Depth=1
	s_delay_alu instid0(SALU_CYCLE_1) | instskip(SKIP_3) | instid1(VALU_DEP_2)
	s_or_b32 exec_lo, exec_lo, s42
	v_dual_mov_b32 v79, 0 :: v_dual_lshrrev_b32 v82, 16, v81
	v_mov_b32_e32 v80, 0
	s_mov_b32 s42, exec_lo
	v_and_b32_e32 v28, 0xff, v82
	s_delay_alu instid0(VALU_DEP_1)
	v_cmpx_ne_u16_e32 0, v28
	s_cbranch_execz .LBB327_265
; %bb.258:                              ;   in Loop: Header=BB327_12 Depth=1
	v_bfrev_b32_e32 v80, 1
	s_mov_b32 s43, exec_lo
	v_cmpx_ne_u16_e32 0x80, v28
	s_cbranch_execz .LBB327_264
; %bb.259:                              ;   in Loop: Header=BB327_12 Depth=1
	v_bfe_u32 v83, v81, 16, 7
	v_mov_b32_e32 v80, 0x7f800001
	s_mov_b32 s44, exec_lo
	s_delay_alu instid0(VALU_DEP_2)
	v_cmpx_ne_u32_e32 0x7f, v83
	s_cbranch_execz .LBB327_263
; %bb.260:                              ;   in Loop: Header=BB327_12 Depth=1
	v_dual_lshrrev_b32 v80, 3, v83 :: v_dual_bitop2_b32 v28, 7, v82 bitop3:0x40
	s_mov_b32 s45, exec_lo
	v_cmpx_gt_u32_e32 8, v83
; %bb.261:                              ;   in Loop: Header=BB327_12 Depth=1
	s_delay_alu instid0(VALU_DEP_2) | instskip(NEXT) | instid1(VALU_DEP_1)
	v_clz_i32_u32_e32 v80, v28
	v_min_u32_e32 v80, 32, v80
	s_delay_alu instid0(VALU_DEP_1) | instskip(SKIP_1) | instid1(VALU_DEP_2)
	v_subrev_nc_u32_e32 v83, 28, v80
	v_sub_nc_u32_e32 v80, 29, v80
	v_lshlrev_b64_e32 v[84:85], v83, v[28:29]
	s_delay_alu instid0(VALU_DEP_1)
	v_and_b32_e32 v28, 7, v84
; %bb.262:                              ;   in Loop: Header=BB327_12 Depth=1
	s_or_b32 exec_lo, exec_lo, s45
	s_delay_alu instid0(VALU_DEP_1) | instskip(SKIP_1) | instid1(VALU_DEP_2)
	v_dual_lshlrev_b32 v82, 24, v82 :: v_dual_lshlrev_b32 v28, 20, v28
	v_lshl_add_u32 v80, v80, 23, 0x3c000000
	v_and_b32_e32 v82, 0x80000000, v82
	s_delay_alu instid0(VALU_DEP_1)
	v_or3_b32 v80, v28, v82, v80
.LBB327_263:                            ;   in Loop: Header=BB327_12 Depth=1
	s_or_b32 exec_lo, exec_lo, s44
.LBB327_264:                            ;   in Loop: Header=BB327_12 Depth=1
	s_delay_alu instid0(SALU_CYCLE_1)
	s_or_b32 exec_lo, exec_lo, s43
.LBB327_265:                            ;   in Loop: Header=BB327_12 Depth=1
	s_delay_alu instid0(SALU_CYCLE_1) | instskip(NEXT) | instid1(SALU_CYCLE_1)
	s_or_b32 exec_lo, exec_lo, s42
	s_mov_b32 s42, exec_lo
	v_cmpx_lt_u32_e32 0xffffff, v81
	s_cbranch_execz .LBB327_273
; %bb.266:                              ;   in Loop: Header=BB327_12 Depth=1
	v_lshrrev_b32_e32 v82, 24, v81
	v_bfrev_b32_e32 v79, 1
	s_mov_b32 s43, exec_lo
	s_delay_alu instid0(VALU_DEP_2)
	v_cmpx_ne_u32_e32 0x80, v82
	s_cbranch_execz .LBB327_272
; %bb.267:                              ;   in Loop: Header=BB327_12 Depth=1
	v_bfe_u32 v81, v81, 24, 7
	v_mov_b32_e32 v79, 0x7f800001
	s_mov_b32 s44, exec_lo
	s_delay_alu instid0(VALU_DEP_2)
	v_cmpx_ne_u32_e32 0x7f, v81
	s_cbranch_execz .LBB327_271
; %bb.268:                              ;   in Loop: Header=BB327_12 Depth=1
	v_dual_lshrrev_b32 v79, 3, v81 :: v_dual_bitop2_b32 v28, 7, v82 bitop3:0x40
	s_mov_b32 s45, exec_lo
	v_cmpx_gt_u32_e32 8, v81
; %bb.269:                              ;   in Loop: Header=BB327_12 Depth=1
	s_delay_alu instid0(VALU_DEP_2) | instskip(NEXT) | instid1(VALU_DEP_1)
	v_clz_i32_u32_e32 v79, v28
	v_min_u32_e32 v79, 32, v79
	s_delay_alu instid0(VALU_DEP_1) | instskip(NEXT) | instid1(VALU_DEP_1)
	v_subrev_nc_u32_e32 v81, 28, v79
	v_lshlrev_b64_e32 v[84:85], v81, v[28:29]
	s_delay_alu instid0(VALU_DEP_1)
	v_dual_sub_nc_u32 v79, 29, v79 :: v_dual_bitop2_b32 v28, 7, v84 bitop3:0x40
; %bb.270:                              ;   in Loop: Header=BB327_12 Depth=1
	s_or_b32 exec_lo, exec_lo, s45
	s_delay_alu instid0(VALU_DEP_1) | instskip(NEXT) | instid1(VALU_DEP_2)
	v_dual_lshlrev_b32 v81, 24, v82 :: v_dual_lshlrev_b32 v28, 20, v28
	v_lshl_add_u32 v79, v79, 23, 0x3c000000
	s_delay_alu instid0(VALU_DEP_2) | instskip(NEXT) | instid1(VALU_DEP_1)
	v_and_b32_e32 v81, 0x80000000, v81
	v_or3_b32 v79, v28, v81, v79
.LBB327_271:                            ;   in Loop: Header=BB327_12 Depth=1
	s_or_b32 exec_lo, exec_lo, s44
.LBB327_272:                            ;   in Loop: Header=BB327_12 Depth=1
	s_delay_alu instid0(SALU_CYCLE_1)
	s_or_b32 exec_lo, exec_lo, s43
.LBB327_273:                            ;   in Loop: Header=BB327_12 Depth=1
	s_delay_alu instid0(SALU_CYCLE_1)
	s_or_b32 exec_lo, exec_lo, s42
	global_load_b32 v85, v[36:37], off offset:1024
	v_dual_mov_b32 v82, 0 :: v_dual_mov_b32 v81, 0
	s_mov_b32 s42, exec_lo
	s_wait_loadcnt 0x0
	v_and_b32_e32 v28, 0xff, v85
	s_delay_alu instid0(VALU_DEP_1)
	v_cmpx_ne_u16_e32 0, v28
	s_cbranch_execz .LBB327_281
; %bb.274:                              ;   in Loop: Header=BB327_12 Depth=1
	v_bfrev_b32_e32 v81, 1
	s_mov_b32 s43, exec_lo
	v_cmpx_ne_u16_e32 0x80, v28
	s_cbranch_execz .LBB327_280
; %bb.275:                              ;   in Loop: Header=BB327_12 Depth=1
	v_and_b32_e32 v83, 0x7f, v85
	v_mov_b32_e32 v81, 0x7f800001
	s_mov_b32 s44, exec_lo
	s_delay_alu instid0(VALU_DEP_2)
	v_cmpx_ne_u32_e32 0x7f, v83
	s_cbranch_execz .LBB327_279
; %bb.276:                              ;   in Loop: Header=BB327_12 Depth=1
	v_dual_lshrrev_b32 v81, 3, v83 :: v_dual_bitop2_b32 v28, 7, v85 bitop3:0x40
	s_mov_b32 s45, exec_lo
	v_cmpx_gt_u32_e32 8, v83
; %bb.277:                              ;   in Loop: Header=BB327_12 Depth=1
	s_delay_alu instid0(VALU_DEP_2) | instskip(NEXT) | instid1(VALU_DEP_1)
	v_clz_i32_u32_e32 v81, v28
	v_min_u32_e32 v81, 32, v81
	s_delay_alu instid0(VALU_DEP_1) | instskip(NEXT) | instid1(VALU_DEP_1)
	v_subrev_nc_u32_e32 v83, 28, v81
	v_lshlrev_b64_e32 v[86:87], v83, v[28:29]
	s_delay_alu instid0(VALU_DEP_1)
	v_dual_sub_nc_u32 v81, 29, v81 :: v_dual_bitop2_b32 v28, 7, v86 bitop3:0x40
; %bb.278:                              ;   in Loop: Header=BB327_12 Depth=1
	s_or_b32 exec_lo, exec_lo, s45
	s_delay_alu instid0(VALU_DEP_1) | instskip(NEXT) | instid1(VALU_DEP_2)
	v_dual_lshlrev_b32 v83, 24, v85 :: v_dual_lshlrev_b32 v28, 20, v28
	v_lshl_add_u32 v81, v81, 23, 0x3c000000
	s_delay_alu instid0(VALU_DEP_2) | instskip(NEXT) | instid1(VALU_DEP_1)
	v_and_b32_e32 v83, 0x80000000, v83
	v_or3_b32 v81, v28, v83, v81
.LBB327_279:                            ;   in Loop: Header=BB327_12 Depth=1
	s_or_b32 exec_lo, exec_lo, s44
.LBB327_280:                            ;   in Loop: Header=BB327_12 Depth=1
	s_delay_alu instid0(SALU_CYCLE_1)
	s_or_b32 exec_lo, exec_lo, s43
.LBB327_281:                            ;   in Loop: Header=BB327_12 Depth=1
	s_delay_alu instid0(SALU_CYCLE_1) | instskip(SKIP_2) | instid1(VALU_DEP_1)
	s_or_b32 exec_lo, exec_lo, s42
	v_lshrrev_b16 v28, 8, v85
	s_mov_b32 s42, exec_lo
	v_cmpx_ne_u16_e32 0, v28
	s_cbranch_execz .LBB327_289
; %bb.282:                              ;   in Loop: Header=BB327_12 Depth=1
	v_bfrev_b32_e32 v82, 1
	s_mov_b32 s43, exec_lo
	v_cmpx_ne_u16_e32 0x80, v28
	s_cbranch_execz .LBB327_288
; %bb.283:                              ;   in Loop: Header=BB327_12 Depth=1
	v_and_b32_e32 v28, 0xffff, v28
	v_mov_b32_e32 v82, 0x7f800001
	s_mov_b32 s44, exec_lo
	s_delay_alu instid0(VALU_DEP_2) | instskip(NEXT) | instid1(VALU_DEP_1)
	v_and_b32_e32 v83, 0x7f, v28
	v_cmpx_ne_u32_e32 0x7f, v83
	s_cbranch_execz .LBB327_287
; %bb.284:                              ;   in Loop: Header=BB327_12 Depth=1
	v_dual_lshrrev_b32 v82, 3, v83 :: v_dual_bitop2_b32 v28, 7, v28 bitop3:0x40
	s_mov_b32 s45, exec_lo
	v_cmpx_gt_u32_e32 8, v83
; %bb.285:                              ;   in Loop: Header=BB327_12 Depth=1
	s_delay_alu instid0(VALU_DEP_2) | instskip(NEXT) | instid1(VALU_DEP_1)
	v_clz_i32_u32_e32 v82, v28
	v_min_u32_e32 v82, 32, v82
	s_delay_alu instid0(VALU_DEP_1) | instskip(SKIP_1) | instid1(VALU_DEP_2)
	v_subrev_nc_u32_e32 v83, 28, v82
	v_sub_nc_u32_e32 v82, 29, v82
	v_lshlrev_b64_e32 v[86:87], v83, v[28:29]
	s_delay_alu instid0(VALU_DEP_1)
	v_and_b32_e32 v28, 7, v86
; %bb.286:                              ;   in Loop: Header=BB327_12 Depth=1
	s_or_b32 exec_lo, exec_lo, s45
	s_delay_alu instid0(VALU_DEP_1) | instskip(SKIP_1) | instid1(VALU_DEP_2)
	v_dual_lshlrev_b32 v83, 16, v85 :: v_dual_lshlrev_b32 v28, 20, v28
	v_lshl_add_u32 v82, v82, 23, 0x3c000000
	v_and_b32_e32 v83, 0x80000000, v83
	s_delay_alu instid0(VALU_DEP_1)
	v_or3_b32 v82, v28, v83, v82
.LBB327_287:                            ;   in Loop: Header=BB327_12 Depth=1
	s_or_b32 exec_lo, exec_lo, s44
.LBB327_288:                            ;   in Loop: Header=BB327_12 Depth=1
	s_delay_alu instid0(SALU_CYCLE_1)
	s_or_b32 exec_lo, exec_lo, s43
.LBB327_289:                            ;   in Loop: Header=BB327_12 Depth=1
	s_delay_alu instid0(SALU_CYCLE_1) | instskip(SKIP_3) | instid1(VALU_DEP_2)
	s_or_b32 exec_lo, exec_lo, s42
	v_dual_mov_b32 v83, 0 :: v_dual_lshrrev_b32 v86, 16, v85
	v_mov_b32_e32 v84, 0
	s_mov_b32 s42, exec_lo
	v_and_b32_e32 v28, 0xff, v86
	s_delay_alu instid0(VALU_DEP_1)
	v_cmpx_ne_u16_e32 0, v28
	s_cbranch_execz .LBB327_297
; %bb.290:                              ;   in Loop: Header=BB327_12 Depth=1
	v_bfrev_b32_e32 v84, 1
	s_mov_b32 s43, exec_lo
	v_cmpx_ne_u16_e32 0x80, v28
	s_cbranch_execz .LBB327_296
; %bb.291:                              ;   in Loop: Header=BB327_12 Depth=1
	v_bfe_u32 v87, v85, 16, 7
	v_mov_b32_e32 v84, 0x7f800001
	s_mov_b32 s44, exec_lo
	s_delay_alu instid0(VALU_DEP_2)
	v_cmpx_ne_u32_e32 0x7f, v87
	s_cbranch_execz .LBB327_295
; %bb.292:                              ;   in Loop: Header=BB327_12 Depth=1
	v_dual_lshrrev_b32 v84, 3, v87 :: v_dual_bitop2_b32 v28, 7, v86 bitop3:0x40
	s_mov_b32 s45, exec_lo
	v_cmpx_gt_u32_e32 8, v87
; %bb.293:                              ;   in Loop: Header=BB327_12 Depth=1
	s_delay_alu instid0(VALU_DEP_2) | instskip(NEXT) | instid1(VALU_DEP_1)
	v_clz_i32_u32_e32 v84, v28
	v_min_u32_e32 v84, 32, v84
	s_delay_alu instid0(VALU_DEP_1) | instskip(SKIP_1) | instid1(VALU_DEP_2)
	v_subrev_nc_u32_e32 v87, 28, v84
	v_sub_nc_u32_e32 v84, 29, v84
	v_lshlrev_b64_e32 v[88:89], v87, v[28:29]
	s_delay_alu instid0(VALU_DEP_1)
	v_and_b32_e32 v28, 7, v88
; %bb.294:                              ;   in Loop: Header=BB327_12 Depth=1
	s_or_b32 exec_lo, exec_lo, s45
	s_delay_alu instid0(VALU_DEP_1) | instskip(SKIP_1) | instid1(VALU_DEP_2)
	v_dual_lshlrev_b32 v86, 24, v86 :: v_dual_lshlrev_b32 v28, 20, v28
	v_lshl_add_u32 v84, v84, 23, 0x3c000000
	v_and_b32_e32 v86, 0x80000000, v86
	s_delay_alu instid0(VALU_DEP_1)
	v_or3_b32 v84, v28, v86, v84
.LBB327_295:                            ;   in Loop: Header=BB327_12 Depth=1
	s_or_b32 exec_lo, exec_lo, s44
.LBB327_296:                            ;   in Loop: Header=BB327_12 Depth=1
	s_delay_alu instid0(SALU_CYCLE_1)
	s_or_b32 exec_lo, exec_lo, s43
.LBB327_297:                            ;   in Loop: Header=BB327_12 Depth=1
	s_delay_alu instid0(SALU_CYCLE_1) | instskip(NEXT) | instid1(SALU_CYCLE_1)
	s_or_b32 exec_lo, exec_lo, s42
	s_mov_b32 s42, exec_lo
	v_cmpx_lt_u32_e32 0xffffff, v85
	s_cbranch_execz .LBB327_305
; %bb.298:                              ;   in Loop: Header=BB327_12 Depth=1
	v_lshrrev_b32_e32 v86, 24, v85
	v_bfrev_b32_e32 v83, 1
	s_mov_b32 s43, exec_lo
	s_delay_alu instid0(VALU_DEP_2)
	v_cmpx_ne_u32_e32 0x80, v86
	s_cbranch_execz .LBB327_304
; %bb.299:                              ;   in Loop: Header=BB327_12 Depth=1
	v_bfe_u32 v85, v85, 24, 7
	v_mov_b32_e32 v83, 0x7f800001
	s_mov_b32 s44, exec_lo
	s_delay_alu instid0(VALU_DEP_2)
	v_cmpx_ne_u32_e32 0x7f, v85
	s_cbranch_execz .LBB327_303
; %bb.300:                              ;   in Loop: Header=BB327_12 Depth=1
	v_dual_lshrrev_b32 v83, 3, v85 :: v_dual_bitop2_b32 v28, 7, v86 bitop3:0x40
	s_mov_b32 s45, exec_lo
	v_cmpx_gt_u32_e32 8, v85
; %bb.301:                              ;   in Loop: Header=BB327_12 Depth=1
	s_delay_alu instid0(VALU_DEP_2) | instskip(NEXT) | instid1(VALU_DEP_1)
	v_clz_i32_u32_e32 v83, v28
	v_min_u32_e32 v83, 32, v83
	s_delay_alu instid0(VALU_DEP_1) | instskip(NEXT) | instid1(VALU_DEP_1)
	v_subrev_nc_u32_e32 v85, 28, v83
	v_lshlrev_b64_e32 v[88:89], v85, v[28:29]
	s_delay_alu instid0(VALU_DEP_1)
	v_dual_sub_nc_u32 v83, 29, v83 :: v_dual_bitop2_b32 v28, 7, v88 bitop3:0x40
; %bb.302:                              ;   in Loop: Header=BB327_12 Depth=1
	s_or_b32 exec_lo, exec_lo, s45
	s_delay_alu instid0(VALU_DEP_1) | instskip(NEXT) | instid1(VALU_DEP_2)
	v_dual_lshlrev_b32 v85, 24, v86 :: v_dual_lshlrev_b32 v28, 20, v28
	v_lshl_add_u32 v83, v83, 23, 0x3c000000
	s_delay_alu instid0(VALU_DEP_2) | instskip(NEXT) | instid1(VALU_DEP_1)
	v_and_b32_e32 v85, 0x80000000, v85
	v_or3_b32 v83, v28, v85, v83
.LBB327_303:                            ;   in Loop: Header=BB327_12 Depth=1
	s_or_b32 exec_lo, exec_lo, s44
.LBB327_304:                            ;   in Loop: Header=BB327_12 Depth=1
	s_delay_alu instid0(SALU_CYCLE_1)
	s_or_b32 exec_lo, exec_lo, s43
.LBB327_305:                            ;   in Loop: Header=BB327_12 Depth=1
	s_delay_alu instid0(SALU_CYCLE_1)
	s_or_b32 exec_lo, exec_lo, s42
	global_load_b32 v89, v[36:37], off offset:1032
	v_dual_mov_b32 v86, 0 :: v_dual_mov_b32 v85, 0
	s_mov_b32 s42, exec_lo
	s_wait_loadcnt 0x0
	v_and_b32_e32 v28, 0xff, v89
	s_delay_alu instid0(VALU_DEP_1)
	v_cmpx_ne_u16_e32 0, v28
	s_cbranch_execz .LBB327_313
; %bb.306:                              ;   in Loop: Header=BB327_12 Depth=1
	v_bfrev_b32_e32 v85, 1
	s_mov_b32 s43, exec_lo
	v_cmpx_ne_u16_e32 0x80, v28
	s_cbranch_execz .LBB327_312
; %bb.307:                              ;   in Loop: Header=BB327_12 Depth=1
	v_and_b32_e32 v87, 0x7f, v89
	v_mov_b32_e32 v85, 0x7f800001
	s_mov_b32 s44, exec_lo
	s_delay_alu instid0(VALU_DEP_2)
	v_cmpx_ne_u32_e32 0x7f, v87
	s_cbranch_execz .LBB327_311
; %bb.308:                              ;   in Loop: Header=BB327_12 Depth=1
	v_dual_lshrrev_b32 v85, 3, v87 :: v_dual_bitop2_b32 v28, 7, v89 bitop3:0x40
	s_mov_b32 s45, exec_lo
	v_cmpx_gt_u32_e32 8, v87
; %bb.309:                              ;   in Loop: Header=BB327_12 Depth=1
	s_delay_alu instid0(VALU_DEP_2) | instskip(NEXT) | instid1(VALU_DEP_1)
	v_clz_i32_u32_e32 v85, v28
	v_min_u32_e32 v85, 32, v85
	s_delay_alu instid0(VALU_DEP_1) | instskip(NEXT) | instid1(VALU_DEP_1)
	v_subrev_nc_u32_e32 v87, 28, v85
	v_lshlrev_b64_e32 v[90:91], v87, v[28:29]
	s_delay_alu instid0(VALU_DEP_1)
	v_dual_sub_nc_u32 v85, 29, v85 :: v_dual_bitop2_b32 v28, 7, v90 bitop3:0x40
; %bb.310:                              ;   in Loop: Header=BB327_12 Depth=1
	s_or_b32 exec_lo, exec_lo, s45
	s_delay_alu instid0(VALU_DEP_1) | instskip(NEXT) | instid1(VALU_DEP_2)
	v_dual_lshlrev_b32 v87, 24, v89 :: v_dual_lshlrev_b32 v28, 20, v28
	v_lshl_add_u32 v85, v85, 23, 0x3c000000
	s_delay_alu instid0(VALU_DEP_2) | instskip(NEXT) | instid1(VALU_DEP_1)
	v_and_b32_e32 v87, 0x80000000, v87
	v_or3_b32 v85, v28, v87, v85
.LBB327_311:                            ;   in Loop: Header=BB327_12 Depth=1
	s_or_b32 exec_lo, exec_lo, s44
.LBB327_312:                            ;   in Loop: Header=BB327_12 Depth=1
	s_delay_alu instid0(SALU_CYCLE_1)
	s_or_b32 exec_lo, exec_lo, s43
.LBB327_313:                            ;   in Loop: Header=BB327_12 Depth=1
	s_delay_alu instid0(SALU_CYCLE_1) | instskip(SKIP_2) | instid1(VALU_DEP_1)
	s_or_b32 exec_lo, exec_lo, s42
	v_lshrrev_b16 v28, 8, v89
	s_mov_b32 s42, exec_lo
	v_cmpx_ne_u16_e32 0, v28
	s_cbranch_execz .LBB327_321
; %bb.314:                              ;   in Loop: Header=BB327_12 Depth=1
	v_bfrev_b32_e32 v86, 1
	s_mov_b32 s43, exec_lo
	v_cmpx_ne_u16_e32 0x80, v28
	s_cbranch_execz .LBB327_320
; %bb.315:                              ;   in Loop: Header=BB327_12 Depth=1
	v_and_b32_e32 v28, 0xffff, v28
	v_mov_b32_e32 v86, 0x7f800001
	s_mov_b32 s44, exec_lo
	s_delay_alu instid0(VALU_DEP_2) | instskip(NEXT) | instid1(VALU_DEP_1)
	v_and_b32_e32 v87, 0x7f, v28
	v_cmpx_ne_u32_e32 0x7f, v87
	s_cbranch_execz .LBB327_319
; %bb.316:                              ;   in Loop: Header=BB327_12 Depth=1
	v_dual_lshrrev_b32 v86, 3, v87 :: v_dual_bitop2_b32 v28, 7, v28 bitop3:0x40
	s_mov_b32 s45, exec_lo
	v_cmpx_gt_u32_e32 8, v87
; %bb.317:                              ;   in Loop: Header=BB327_12 Depth=1
	s_delay_alu instid0(VALU_DEP_2) | instskip(NEXT) | instid1(VALU_DEP_1)
	v_clz_i32_u32_e32 v86, v28
	v_min_u32_e32 v86, 32, v86
	s_delay_alu instid0(VALU_DEP_1) | instskip(SKIP_1) | instid1(VALU_DEP_2)
	v_subrev_nc_u32_e32 v87, 28, v86
	v_sub_nc_u32_e32 v86, 29, v86
	v_lshlrev_b64_e32 v[90:91], v87, v[28:29]
	s_delay_alu instid0(VALU_DEP_1)
	v_and_b32_e32 v28, 7, v90
; %bb.318:                              ;   in Loop: Header=BB327_12 Depth=1
	s_or_b32 exec_lo, exec_lo, s45
	s_delay_alu instid0(VALU_DEP_1) | instskip(SKIP_1) | instid1(VALU_DEP_2)
	v_dual_lshlrev_b32 v87, 16, v89 :: v_dual_lshlrev_b32 v28, 20, v28
	v_lshl_add_u32 v86, v86, 23, 0x3c000000
	v_and_b32_e32 v87, 0x80000000, v87
	s_delay_alu instid0(VALU_DEP_1)
	v_or3_b32 v86, v28, v87, v86
.LBB327_319:                            ;   in Loop: Header=BB327_12 Depth=1
	s_or_b32 exec_lo, exec_lo, s44
.LBB327_320:                            ;   in Loop: Header=BB327_12 Depth=1
	s_delay_alu instid0(SALU_CYCLE_1)
	s_or_b32 exec_lo, exec_lo, s43
.LBB327_321:                            ;   in Loop: Header=BB327_12 Depth=1
	s_delay_alu instid0(SALU_CYCLE_1) | instskip(SKIP_3) | instid1(VALU_DEP_2)
	s_or_b32 exec_lo, exec_lo, s42
	v_dual_mov_b32 v87, 0 :: v_dual_lshrrev_b32 v90, 16, v89
	v_mov_b32_e32 v88, 0
	s_mov_b32 s42, exec_lo
	v_and_b32_e32 v28, 0xff, v90
	s_delay_alu instid0(VALU_DEP_1)
	v_cmpx_ne_u16_e32 0, v28
	s_cbranch_execz .LBB327_329
; %bb.322:                              ;   in Loop: Header=BB327_12 Depth=1
	v_bfrev_b32_e32 v88, 1
	s_mov_b32 s43, exec_lo
	v_cmpx_ne_u16_e32 0x80, v28
	s_cbranch_execz .LBB327_328
; %bb.323:                              ;   in Loop: Header=BB327_12 Depth=1
	v_bfe_u32 v91, v89, 16, 7
	v_mov_b32_e32 v88, 0x7f800001
	s_mov_b32 s44, exec_lo
	s_delay_alu instid0(VALU_DEP_2)
	v_cmpx_ne_u32_e32 0x7f, v91
	s_cbranch_execz .LBB327_327
; %bb.324:                              ;   in Loop: Header=BB327_12 Depth=1
	v_dual_lshrrev_b32 v88, 3, v91 :: v_dual_bitop2_b32 v28, 7, v90 bitop3:0x40
	s_mov_b32 s45, exec_lo
	v_cmpx_gt_u32_e32 8, v91
; %bb.325:                              ;   in Loop: Header=BB327_12 Depth=1
	s_delay_alu instid0(VALU_DEP_2) | instskip(NEXT) | instid1(VALU_DEP_1)
	v_clz_i32_u32_e32 v88, v28
	v_min_u32_e32 v88, 32, v88
	s_delay_alu instid0(VALU_DEP_1) | instskip(SKIP_1) | instid1(VALU_DEP_2)
	v_subrev_nc_u32_e32 v91, 28, v88
	v_sub_nc_u32_e32 v88, 29, v88
	v_lshlrev_b64_e32 v[92:93], v91, v[28:29]
	s_delay_alu instid0(VALU_DEP_1)
	v_and_b32_e32 v28, 7, v92
; %bb.326:                              ;   in Loop: Header=BB327_12 Depth=1
	s_or_b32 exec_lo, exec_lo, s45
	s_delay_alu instid0(VALU_DEP_1) | instskip(SKIP_1) | instid1(VALU_DEP_2)
	v_dual_lshlrev_b32 v90, 24, v90 :: v_dual_lshlrev_b32 v28, 20, v28
	v_lshl_add_u32 v88, v88, 23, 0x3c000000
	v_and_b32_e32 v90, 0x80000000, v90
	s_delay_alu instid0(VALU_DEP_1)
	v_or3_b32 v88, v28, v90, v88
.LBB327_327:                            ;   in Loop: Header=BB327_12 Depth=1
	s_or_b32 exec_lo, exec_lo, s44
.LBB327_328:                            ;   in Loop: Header=BB327_12 Depth=1
	s_delay_alu instid0(SALU_CYCLE_1)
	s_or_b32 exec_lo, exec_lo, s43
.LBB327_329:                            ;   in Loop: Header=BB327_12 Depth=1
	s_delay_alu instid0(SALU_CYCLE_1) | instskip(NEXT) | instid1(SALU_CYCLE_1)
	s_or_b32 exec_lo, exec_lo, s42
	s_mov_b32 s42, exec_lo
	v_cmpx_lt_u32_e32 0xffffff, v89
	s_cbranch_execz .LBB327_337
; %bb.330:                              ;   in Loop: Header=BB327_12 Depth=1
	v_lshrrev_b32_e32 v90, 24, v89
	v_bfrev_b32_e32 v87, 1
	s_mov_b32 s43, exec_lo
	s_delay_alu instid0(VALU_DEP_2)
	v_cmpx_ne_u32_e32 0x80, v90
	s_cbranch_execz .LBB327_336
; %bb.331:                              ;   in Loop: Header=BB327_12 Depth=1
	v_bfe_u32 v89, v89, 24, 7
	v_mov_b32_e32 v87, 0x7f800001
	s_mov_b32 s44, exec_lo
	s_delay_alu instid0(VALU_DEP_2)
	v_cmpx_ne_u32_e32 0x7f, v89
	s_cbranch_execz .LBB327_335
; %bb.332:                              ;   in Loop: Header=BB327_12 Depth=1
	v_dual_lshrrev_b32 v87, 3, v89 :: v_dual_bitop2_b32 v28, 7, v90 bitop3:0x40
	s_mov_b32 s45, exec_lo
	v_cmpx_gt_u32_e32 8, v89
; %bb.333:                              ;   in Loop: Header=BB327_12 Depth=1
	s_delay_alu instid0(VALU_DEP_2) | instskip(NEXT) | instid1(VALU_DEP_1)
	v_clz_i32_u32_e32 v87, v28
	v_min_u32_e32 v87, 32, v87
	s_delay_alu instid0(VALU_DEP_1) | instskip(NEXT) | instid1(VALU_DEP_1)
	v_subrev_nc_u32_e32 v89, 28, v87
	v_lshlrev_b64_e32 v[92:93], v89, v[28:29]
	s_delay_alu instid0(VALU_DEP_1)
	v_dual_sub_nc_u32 v87, 29, v87 :: v_dual_bitop2_b32 v28, 7, v92 bitop3:0x40
; %bb.334:                              ;   in Loop: Header=BB327_12 Depth=1
	s_or_b32 exec_lo, exec_lo, s45
	s_delay_alu instid0(VALU_DEP_1) | instskip(NEXT) | instid1(VALU_DEP_2)
	v_dual_lshlrev_b32 v89, 24, v90 :: v_dual_lshlrev_b32 v28, 20, v28
	v_lshl_add_u32 v87, v87, 23, 0x3c000000
	s_delay_alu instid0(VALU_DEP_2) | instskip(NEXT) | instid1(VALU_DEP_1)
	v_and_b32_e32 v89, 0x80000000, v89
	v_or3_b32 v87, v28, v89, v87
.LBB327_335:                            ;   in Loop: Header=BB327_12 Depth=1
	s_or_b32 exec_lo, exec_lo, s44
.LBB327_336:                            ;   in Loop: Header=BB327_12 Depth=1
	s_delay_alu instid0(SALU_CYCLE_1)
	s_or_b32 exec_lo, exec_lo, s43
.LBB327_337:                            ;   in Loop: Header=BB327_12 Depth=1
	s_delay_alu instid0(SALU_CYCLE_1)
	s_or_b32 exec_lo, exec_lo, s42
	global_load_b32 v93, v[36:37], off offset:1280
	v_dual_mov_b32 v90, 0 :: v_dual_mov_b32 v89, 0
	s_mov_b32 s42, exec_lo
	s_wait_loadcnt 0x0
	v_and_b32_e32 v28, 0xff, v93
	s_delay_alu instid0(VALU_DEP_1)
	v_cmpx_ne_u16_e32 0, v28
	s_cbranch_execz .LBB327_345
; %bb.338:                              ;   in Loop: Header=BB327_12 Depth=1
	v_bfrev_b32_e32 v89, 1
	s_mov_b32 s43, exec_lo
	v_cmpx_ne_u16_e32 0x80, v28
	s_cbranch_execz .LBB327_344
; %bb.339:                              ;   in Loop: Header=BB327_12 Depth=1
	v_and_b32_e32 v91, 0x7f, v93
	v_mov_b32_e32 v89, 0x7f800001
	s_mov_b32 s44, exec_lo
	s_delay_alu instid0(VALU_DEP_2)
	v_cmpx_ne_u32_e32 0x7f, v91
	s_cbranch_execz .LBB327_343
; %bb.340:                              ;   in Loop: Header=BB327_12 Depth=1
	v_dual_lshrrev_b32 v89, 3, v91 :: v_dual_bitop2_b32 v28, 7, v93 bitop3:0x40
	s_mov_b32 s45, exec_lo
	v_cmpx_gt_u32_e32 8, v91
; %bb.341:                              ;   in Loop: Header=BB327_12 Depth=1
	s_delay_alu instid0(VALU_DEP_2) | instskip(NEXT) | instid1(VALU_DEP_1)
	v_clz_i32_u32_e32 v89, v28
	v_min_u32_e32 v89, 32, v89
	s_delay_alu instid0(VALU_DEP_1) | instskip(NEXT) | instid1(VALU_DEP_1)
	v_subrev_nc_u32_e32 v91, 28, v89
	v_lshlrev_b64_e32 v[94:95], v91, v[28:29]
	s_delay_alu instid0(VALU_DEP_1)
	v_dual_sub_nc_u32 v89, 29, v89 :: v_dual_bitop2_b32 v28, 7, v94 bitop3:0x40
; %bb.342:                              ;   in Loop: Header=BB327_12 Depth=1
	s_or_b32 exec_lo, exec_lo, s45
	s_delay_alu instid0(VALU_DEP_1) | instskip(NEXT) | instid1(VALU_DEP_2)
	v_dual_lshlrev_b32 v91, 24, v93 :: v_dual_lshlrev_b32 v28, 20, v28
	v_lshl_add_u32 v89, v89, 23, 0x3c000000
	s_delay_alu instid0(VALU_DEP_2) | instskip(NEXT) | instid1(VALU_DEP_1)
	v_and_b32_e32 v91, 0x80000000, v91
	v_or3_b32 v89, v28, v91, v89
.LBB327_343:                            ;   in Loop: Header=BB327_12 Depth=1
	s_or_b32 exec_lo, exec_lo, s44
.LBB327_344:                            ;   in Loop: Header=BB327_12 Depth=1
	s_delay_alu instid0(SALU_CYCLE_1)
	s_or_b32 exec_lo, exec_lo, s43
.LBB327_345:                            ;   in Loop: Header=BB327_12 Depth=1
	s_delay_alu instid0(SALU_CYCLE_1) | instskip(SKIP_2) | instid1(VALU_DEP_1)
	s_or_b32 exec_lo, exec_lo, s42
	v_lshrrev_b16 v28, 8, v93
	s_mov_b32 s42, exec_lo
	v_cmpx_ne_u16_e32 0, v28
	s_cbranch_execz .LBB327_353
; %bb.346:                              ;   in Loop: Header=BB327_12 Depth=1
	v_bfrev_b32_e32 v90, 1
	s_mov_b32 s43, exec_lo
	v_cmpx_ne_u16_e32 0x80, v28
	s_cbranch_execz .LBB327_352
; %bb.347:                              ;   in Loop: Header=BB327_12 Depth=1
	v_and_b32_e32 v28, 0xffff, v28
	v_mov_b32_e32 v90, 0x7f800001
	s_mov_b32 s44, exec_lo
	s_delay_alu instid0(VALU_DEP_2) | instskip(NEXT) | instid1(VALU_DEP_1)
	v_and_b32_e32 v91, 0x7f, v28
	v_cmpx_ne_u32_e32 0x7f, v91
	s_cbranch_execz .LBB327_351
; %bb.348:                              ;   in Loop: Header=BB327_12 Depth=1
	v_dual_lshrrev_b32 v90, 3, v91 :: v_dual_bitop2_b32 v28, 7, v28 bitop3:0x40
	s_mov_b32 s45, exec_lo
	v_cmpx_gt_u32_e32 8, v91
; %bb.349:                              ;   in Loop: Header=BB327_12 Depth=1
	s_delay_alu instid0(VALU_DEP_2) | instskip(NEXT) | instid1(VALU_DEP_1)
	v_clz_i32_u32_e32 v90, v28
	v_min_u32_e32 v90, 32, v90
	s_delay_alu instid0(VALU_DEP_1) | instskip(SKIP_1) | instid1(VALU_DEP_2)
	v_subrev_nc_u32_e32 v91, 28, v90
	v_sub_nc_u32_e32 v90, 29, v90
	v_lshlrev_b64_e32 v[94:95], v91, v[28:29]
	s_delay_alu instid0(VALU_DEP_1)
	v_and_b32_e32 v28, 7, v94
; %bb.350:                              ;   in Loop: Header=BB327_12 Depth=1
	s_or_b32 exec_lo, exec_lo, s45
	s_delay_alu instid0(VALU_DEP_1) | instskip(SKIP_1) | instid1(VALU_DEP_2)
	v_dual_lshlrev_b32 v91, 16, v93 :: v_dual_lshlrev_b32 v28, 20, v28
	v_lshl_add_u32 v90, v90, 23, 0x3c000000
	v_and_b32_e32 v91, 0x80000000, v91
	s_delay_alu instid0(VALU_DEP_1)
	v_or3_b32 v90, v28, v91, v90
.LBB327_351:                            ;   in Loop: Header=BB327_12 Depth=1
	s_or_b32 exec_lo, exec_lo, s44
.LBB327_352:                            ;   in Loop: Header=BB327_12 Depth=1
	s_delay_alu instid0(SALU_CYCLE_1)
	s_or_b32 exec_lo, exec_lo, s43
.LBB327_353:                            ;   in Loop: Header=BB327_12 Depth=1
	s_delay_alu instid0(SALU_CYCLE_1) | instskip(SKIP_3) | instid1(VALU_DEP_2)
	s_or_b32 exec_lo, exec_lo, s42
	v_dual_mov_b32 v91, 0 :: v_dual_lshrrev_b32 v94, 16, v93
	v_mov_b32_e32 v92, 0
	s_mov_b32 s42, exec_lo
	v_and_b32_e32 v28, 0xff, v94
	s_delay_alu instid0(VALU_DEP_1)
	v_cmpx_ne_u16_e32 0, v28
	s_cbranch_execz .LBB327_361
; %bb.354:                              ;   in Loop: Header=BB327_12 Depth=1
	v_bfrev_b32_e32 v92, 1
	s_mov_b32 s43, exec_lo
	v_cmpx_ne_u16_e32 0x80, v28
	s_cbranch_execz .LBB327_360
; %bb.355:                              ;   in Loop: Header=BB327_12 Depth=1
	v_bfe_u32 v95, v93, 16, 7
	v_mov_b32_e32 v92, 0x7f800001
	s_mov_b32 s44, exec_lo
	s_delay_alu instid0(VALU_DEP_2)
	v_cmpx_ne_u32_e32 0x7f, v95
	s_cbranch_execz .LBB327_359
; %bb.356:                              ;   in Loop: Header=BB327_12 Depth=1
	v_dual_lshrrev_b32 v92, 3, v95 :: v_dual_bitop2_b32 v28, 7, v94 bitop3:0x40
	s_mov_b32 s45, exec_lo
	v_cmpx_gt_u32_e32 8, v95
; %bb.357:                              ;   in Loop: Header=BB327_12 Depth=1
	s_delay_alu instid0(VALU_DEP_2) | instskip(NEXT) | instid1(VALU_DEP_1)
	v_clz_i32_u32_e32 v92, v28
	v_min_u32_e32 v92, 32, v92
	s_delay_alu instid0(VALU_DEP_1) | instskip(SKIP_1) | instid1(VALU_DEP_2)
	v_subrev_nc_u32_e32 v95, 28, v92
	v_sub_nc_u32_e32 v92, 29, v92
	v_lshlrev_b64_e32 v[96:97], v95, v[28:29]
	s_delay_alu instid0(VALU_DEP_1)
	v_and_b32_e32 v28, 7, v96
; %bb.358:                              ;   in Loop: Header=BB327_12 Depth=1
	s_or_b32 exec_lo, exec_lo, s45
	s_delay_alu instid0(VALU_DEP_1) | instskip(SKIP_1) | instid1(VALU_DEP_2)
	v_dual_lshlrev_b32 v94, 24, v94 :: v_dual_lshlrev_b32 v28, 20, v28
	v_lshl_add_u32 v92, v92, 23, 0x3c000000
	v_and_b32_e32 v94, 0x80000000, v94
	s_delay_alu instid0(VALU_DEP_1)
	v_or3_b32 v92, v28, v94, v92
.LBB327_359:                            ;   in Loop: Header=BB327_12 Depth=1
	s_or_b32 exec_lo, exec_lo, s44
.LBB327_360:                            ;   in Loop: Header=BB327_12 Depth=1
	s_delay_alu instid0(SALU_CYCLE_1)
	s_or_b32 exec_lo, exec_lo, s43
.LBB327_361:                            ;   in Loop: Header=BB327_12 Depth=1
	s_delay_alu instid0(SALU_CYCLE_1) | instskip(NEXT) | instid1(SALU_CYCLE_1)
	s_or_b32 exec_lo, exec_lo, s42
	s_mov_b32 s42, exec_lo
	v_cmpx_lt_u32_e32 0xffffff, v93
	s_cbranch_execz .LBB327_369
; %bb.362:                              ;   in Loop: Header=BB327_12 Depth=1
	v_lshrrev_b32_e32 v94, 24, v93
	v_bfrev_b32_e32 v91, 1
	s_mov_b32 s43, exec_lo
	s_delay_alu instid0(VALU_DEP_2)
	v_cmpx_ne_u32_e32 0x80, v94
	s_cbranch_execz .LBB327_368
; %bb.363:                              ;   in Loop: Header=BB327_12 Depth=1
	v_bfe_u32 v93, v93, 24, 7
	v_mov_b32_e32 v91, 0x7f800001
	s_mov_b32 s44, exec_lo
	s_delay_alu instid0(VALU_DEP_2)
	v_cmpx_ne_u32_e32 0x7f, v93
	s_cbranch_execz .LBB327_367
; %bb.364:                              ;   in Loop: Header=BB327_12 Depth=1
	v_dual_lshrrev_b32 v91, 3, v93 :: v_dual_bitop2_b32 v28, 7, v94 bitop3:0x40
	s_mov_b32 s45, exec_lo
	v_cmpx_gt_u32_e32 8, v93
; %bb.365:                              ;   in Loop: Header=BB327_12 Depth=1
	s_delay_alu instid0(VALU_DEP_2) | instskip(NEXT) | instid1(VALU_DEP_1)
	v_clz_i32_u32_e32 v91, v28
	v_min_u32_e32 v91, 32, v91
	s_delay_alu instid0(VALU_DEP_1) | instskip(NEXT) | instid1(VALU_DEP_1)
	v_subrev_nc_u32_e32 v93, 28, v91
	v_lshlrev_b64_e32 v[96:97], v93, v[28:29]
	s_delay_alu instid0(VALU_DEP_1)
	v_dual_sub_nc_u32 v91, 29, v91 :: v_dual_bitop2_b32 v28, 7, v96 bitop3:0x40
; %bb.366:                              ;   in Loop: Header=BB327_12 Depth=1
	s_or_b32 exec_lo, exec_lo, s45
	s_delay_alu instid0(VALU_DEP_1) | instskip(NEXT) | instid1(VALU_DEP_2)
	v_dual_lshlrev_b32 v93, 24, v94 :: v_dual_lshlrev_b32 v28, 20, v28
	v_lshl_add_u32 v91, v91, 23, 0x3c000000
	s_delay_alu instid0(VALU_DEP_2) | instskip(NEXT) | instid1(VALU_DEP_1)
	v_and_b32_e32 v93, 0x80000000, v93
	v_or3_b32 v91, v28, v93, v91
.LBB327_367:                            ;   in Loop: Header=BB327_12 Depth=1
	s_or_b32 exec_lo, exec_lo, s44
.LBB327_368:                            ;   in Loop: Header=BB327_12 Depth=1
	s_delay_alu instid0(SALU_CYCLE_1)
	s_or_b32 exec_lo, exec_lo, s43
.LBB327_369:                            ;   in Loop: Header=BB327_12 Depth=1
	s_delay_alu instid0(SALU_CYCLE_1)
	s_or_b32 exec_lo, exec_lo, s42
	global_load_b32 v97, v[36:37], off offset:1288
	v_dual_mov_b32 v94, 0 :: v_dual_mov_b32 v93, 0
	s_mov_b32 s42, exec_lo
	s_wait_loadcnt 0x0
	v_and_b32_e32 v28, 0xff, v97
	s_delay_alu instid0(VALU_DEP_1)
	v_cmpx_ne_u16_e32 0, v28
	s_cbranch_execz .LBB327_377
; %bb.370:                              ;   in Loop: Header=BB327_12 Depth=1
	v_bfrev_b32_e32 v93, 1
	s_mov_b32 s43, exec_lo
	v_cmpx_ne_u16_e32 0x80, v28
	s_cbranch_execz .LBB327_376
; %bb.371:                              ;   in Loop: Header=BB327_12 Depth=1
	v_and_b32_e32 v95, 0x7f, v97
	v_mov_b32_e32 v93, 0x7f800001
	s_mov_b32 s44, exec_lo
	s_delay_alu instid0(VALU_DEP_2)
	v_cmpx_ne_u32_e32 0x7f, v95
	s_cbranch_execz .LBB327_375
; %bb.372:                              ;   in Loop: Header=BB327_12 Depth=1
	v_dual_lshrrev_b32 v93, 3, v95 :: v_dual_bitop2_b32 v28, 7, v97 bitop3:0x40
	s_mov_b32 s45, exec_lo
	v_cmpx_gt_u32_e32 8, v95
; %bb.373:                              ;   in Loop: Header=BB327_12 Depth=1
	s_delay_alu instid0(VALU_DEP_2) | instskip(NEXT) | instid1(VALU_DEP_1)
	v_clz_i32_u32_e32 v93, v28
	v_min_u32_e32 v93, 32, v93
	s_delay_alu instid0(VALU_DEP_1) | instskip(NEXT) | instid1(VALU_DEP_1)
	v_subrev_nc_u32_e32 v95, 28, v93
	v_lshlrev_b64_e32 v[98:99], v95, v[28:29]
	s_delay_alu instid0(VALU_DEP_1)
	v_dual_sub_nc_u32 v93, 29, v93 :: v_dual_bitop2_b32 v28, 7, v98 bitop3:0x40
; %bb.374:                              ;   in Loop: Header=BB327_12 Depth=1
	s_or_b32 exec_lo, exec_lo, s45
	s_delay_alu instid0(VALU_DEP_1) | instskip(NEXT) | instid1(VALU_DEP_2)
	v_dual_lshlrev_b32 v95, 24, v97 :: v_dual_lshlrev_b32 v28, 20, v28
	v_lshl_add_u32 v93, v93, 23, 0x3c000000
	s_delay_alu instid0(VALU_DEP_2) | instskip(NEXT) | instid1(VALU_DEP_1)
	v_and_b32_e32 v95, 0x80000000, v95
	v_or3_b32 v93, v28, v95, v93
.LBB327_375:                            ;   in Loop: Header=BB327_12 Depth=1
	s_or_b32 exec_lo, exec_lo, s44
.LBB327_376:                            ;   in Loop: Header=BB327_12 Depth=1
	s_delay_alu instid0(SALU_CYCLE_1)
	s_or_b32 exec_lo, exec_lo, s43
.LBB327_377:                            ;   in Loop: Header=BB327_12 Depth=1
	s_delay_alu instid0(SALU_CYCLE_1) | instskip(SKIP_2) | instid1(VALU_DEP_1)
	s_or_b32 exec_lo, exec_lo, s42
	v_lshrrev_b16 v28, 8, v97
	s_mov_b32 s42, exec_lo
	v_cmpx_ne_u16_e32 0, v28
	s_cbranch_execz .LBB327_385
; %bb.378:                              ;   in Loop: Header=BB327_12 Depth=1
	v_bfrev_b32_e32 v94, 1
	s_mov_b32 s43, exec_lo
	v_cmpx_ne_u16_e32 0x80, v28
	s_cbranch_execz .LBB327_384
; %bb.379:                              ;   in Loop: Header=BB327_12 Depth=1
	v_and_b32_e32 v28, 0xffff, v28
	v_mov_b32_e32 v94, 0x7f800001
	s_mov_b32 s44, exec_lo
	s_delay_alu instid0(VALU_DEP_2) | instskip(NEXT) | instid1(VALU_DEP_1)
	v_and_b32_e32 v95, 0x7f, v28
	v_cmpx_ne_u32_e32 0x7f, v95
	s_cbranch_execz .LBB327_383
; %bb.380:                              ;   in Loop: Header=BB327_12 Depth=1
	v_dual_lshrrev_b32 v94, 3, v95 :: v_dual_bitop2_b32 v28, 7, v28 bitop3:0x40
	s_mov_b32 s45, exec_lo
	v_cmpx_gt_u32_e32 8, v95
; %bb.381:                              ;   in Loop: Header=BB327_12 Depth=1
	s_delay_alu instid0(VALU_DEP_2) | instskip(NEXT) | instid1(VALU_DEP_1)
	v_clz_i32_u32_e32 v94, v28
	v_min_u32_e32 v94, 32, v94
	s_delay_alu instid0(VALU_DEP_1) | instskip(SKIP_1) | instid1(VALU_DEP_2)
	v_subrev_nc_u32_e32 v95, 28, v94
	v_sub_nc_u32_e32 v94, 29, v94
	v_lshlrev_b64_e32 v[98:99], v95, v[28:29]
	s_delay_alu instid0(VALU_DEP_1)
	v_and_b32_e32 v28, 7, v98
; %bb.382:                              ;   in Loop: Header=BB327_12 Depth=1
	s_or_b32 exec_lo, exec_lo, s45
	s_delay_alu instid0(VALU_DEP_1) | instskip(SKIP_1) | instid1(VALU_DEP_2)
	v_dual_lshlrev_b32 v95, 16, v97 :: v_dual_lshlrev_b32 v28, 20, v28
	v_lshl_add_u32 v94, v94, 23, 0x3c000000
	v_and_b32_e32 v95, 0x80000000, v95
	s_delay_alu instid0(VALU_DEP_1)
	v_or3_b32 v94, v28, v95, v94
.LBB327_383:                            ;   in Loop: Header=BB327_12 Depth=1
	s_or_b32 exec_lo, exec_lo, s44
.LBB327_384:                            ;   in Loop: Header=BB327_12 Depth=1
	s_delay_alu instid0(SALU_CYCLE_1)
	s_or_b32 exec_lo, exec_lo, s43
.LBB327_385:                            ;   in Loop: Header=BB327_12 Depth=1
	s_delay_alu instid0(SALU_CYCLE_1) | instskip(SKIP_3) | instid1(VALU_DEP_2)
	s_or_b32 exec_lo, exec_lo, s42
	v_dual_mov_b32 v95, 0 :: v_dual_lshrrev_b32 v98, 16, v97
	v_mov_b32_e32 v96, 0
	s_mov_b32 s42, exec_lo
	v_and_b32_e32 v28, 0xff, v98
	s_delay_alu instid0(VALU_DEP_1)
	v_cmpx_ne_u16_e32 0, v28
	s_cbranch_execz .LBB327_393
; %bb.386:                              ;   in Loop: Header=BB327_12 Depth=1
	v_bfrev_b32_e32 v96, 1
	s_mov_b32 s43, exec_lo
	v_cmpx_ne_u16_e32 0x80, v28
	s_cbranch_execz .LBB327_392
; %bb.387:                              ;   in Loop: Header=BB327_12 Depth=1
	v_bfe_u32 v99, v97, 16, 7
	v_mov_b32_e32 v96, 0x7f800001
	s_mov_b32 s44, exec_lo
	s_delay_alu instid0(VALU_DEP_2)
	v_cmpx_ne_u32_e32 0x7f, v99
	s_cbranch_execz .LBB327_391
; %bb.388:                              ;   in Loop: Header=BB327_12 Depth=1
	v_dual_lshrrev_b32 v96, 3, v99 :: v_dual_bitop2_b32 v28, 7, v98 bitop3:0x40
	s_mov_b32 s45, exec_lo
	v_cmpx_gt_u32_e32 8, v99
; %bb.389:                              ;   in Loop: Header=BB327_12 Depth=1
	s_delay_alu instid0(VALU_DEP_2) | instskip(NEXT) | instid1(VALU_DEP_1)
	v_clz_i32_u32_e32 v96, v28
	v_min_u32_e32 v96, 32, v96
	s_delay_alu instid0(VALU_DEP_1) | instskip(SKIP_1) | instid1(VALU_DEP_2)
	v_subrev_nc_u32_e32 v99, 28, v96
	v_sub_nc_u32_e32 v96, 29, v96
	v_lshlrev_b64_e32 v[100:101], v99, v[28:29]
	s_delay_alu instid0(VALU_DEP_1)
	v_and_b32_e32 v28, 7, v100
; %bb.390:                              ;   in Loop: Header=BB327_12 Depth=1
	s_or_b32 exec_lo, exec_lo, s45
	s_delay_alu instid0(VALU_DEP_1) | instskip(SKIP_1) | instid1(VALU_DEP_2)
	v_dual_lshlrev_b32 v98, 24, v98 :: v_dual_lshlrev_b32 v28, 20, v28
	v_lshl_add_u32 v96, v96, 23, 0x3c000000
	v_and_b32_e32 v98, 0x80000000, v98
	s_delay_alu instid0(VALU_DEP_1)
	v_or3_b32 v96, v28, v98, v96
.LBB327_391:                            ;   in Loop: Header=BB327_12 Depth=1
	s_or_b32 exec_lo, exec_lo, s44
.LBB327_392:                            ;   in Loop: Header=BB327_12 Depth=1
	s_delay_alu instid0(SALU_CYCLE_1)
	s_or_b32 exec_lo, exec_lo, s43
.LBB327_393:                            ;   in Loop: Header=BB327_12 Depth=1
	s_delay_alu instid0(SALU_CYCLE_1) | instskip(NEXT) | instid1(SALU_CYCLE_1)
	s_or_b32 exec_lo, exec_lo, s42
	s_mov_b32 s42, exec_lo
	v_cmpx_lt_u32_e32 0xffffff, v97
	s_cbranch_execz .LBB327_401
; %bb.394:                              ;   in Loop: Header=BB327_12 Depth=1
	v_lshrrev_b32_e32 v98, 24, v97
	v_bfrev_b32_e32 v95, 1
	s_mov_b32 s43, exec_lo
	s_delay_alu instid0(VALU_DEP_2)
	v_cmpx_ne_u32_e32 0x80, v98
	s_cbranch_execz .LBB327_400
; %bb.395:                              ;   in Loop: Header=BB327_12 Depth=1
	v_bfe_u32 v97, v97, 24, 7
	v_mov_b32_e32 v95, 0x7f800001
	s_mov_b32 s44, exec_lo
	s_delay_alu instid0(VALU_DEP_2)
	v_cmpx_ne_u32_e32 0x7f, v97
	s_cbranch_execz .LBB327_399
; %bb.396:                              ;   in Loop: Header=BB327_12 Depth=1
	v_dual_lshrrev_b32 v95, 3, v97 :: v_dual_bitop2_b32 v28, 7, v98 bitop3:0x40
	s_mov_b32 s45, exec_lo
	v_cmpx_gt_u32_e32 8, v97
; %bb.397:                              ;   in Loop: Header=BB327_12 Depth=1
	s_delay_alu instid0(VALU_DEP_2) | instskip(NEXT) | instid1(VALU_DEP_1)
	v_clz_i32_u32_e32 v95, v28
	v_min_u32_e32 v95, 32, v95
	s_delay_alu instid0(VALU_DEP_1) | instskip(NEXT) | instid1(VALU_DEP_1)
	v_subrev_nc_u32_e32 v97, 28, v95
	v_lshlrev_b64_e32 v[100:101], v97, v[28:29]
	s_delay_alu instid0(VALU_DEP_1)
	v_dual_sub_nc_u32 v95, 29, v95 :: v_dual_bitop2_b32 v28, 7, v100 bitop3:0x40
; %bb.398:                              ;   in Loop: Header=BB327_12 Depth=1
	s_or_b32 exec_lo, exec_lo, s45
	s_delay_alu instid0(VALU_DEP_1) | instskip(NEXT) | instid1(VALU_DEP_2)
	v_dual_lshlrev_b32 v97, 24, v98 :: v_dual_lshlrev_b32 v28, 20, v28
	v_lshl_add_u32 v95, v95, 23, 0x3c000000
	s_delay_alu instid0(VALU_DEP_2) | instskip(NEXT) | instid1(VALU_DEP_1)
	v_and_b32_e32 v97, 0x80000000, v97
	v_or3_b32 v95, v28, v97, v95
.LBB327_399:                            ;   in Loop: Header=BB327_12 Depth=1
	s_or_b32 exec_lo, exec_lo, s44
.LBB327_400:                            ;   in Loop: Header=BB327_12 Depth=1
	s_delay_alu instid0(SALU_CYCLE_1)
	s_or_b32 exec_lo, exec_lo, s43
.LBB327_401:                            ;   in Loop: Header=BB327_12 Depth=1
	s_delay_alu instid0(SALU_CYCLE_1)
	s_or_b32 exec_lo, exec_lo, s42
	global_load_b32 v101, v[36:37], off offset:1536
	v_dual_mov_b32 v98, 0 :: v_dual_mov_b32 v97, 0
	s_mov_b32 s42, exec_lo
	s_wait_loadcnt 0x0
	v_and_b32_e32 v28, 0xff, v101
	s_delay_alu instid0(VALU_DEP_1)
	v_cmpx_ne_u16_e32 0, v28
	s_cbranch_execz .LBB327_409
; %bb.402:                              ;   in Loop: Header=BB327_12 Depth=1
	v_bfrev_b32_e32 v97, 1
	s_mov_b32 s43, exec_lo
	v_cmpx_ne_u16_e32 0x80, v28
	s_cbranch_execz .LBB327_408
; %bb.403:                              ;   in Loop: Header=BB327_12 Depth=1
	v_and_b32_e32 v99, 0x7f, v101
	v_mov_b32_e32 v97, 0x7f800001
	s_mov_b32 s44, exec_lo
	s_delay_alu instid0(VALU_DEP_2)
	v_cmpx_ne_u32_e32 0x7f, v99
	s_cbranch_execz .LBB327_407
; %bb.404:                              ;   in Loop: Header=BB327_12 Depth=1
	v_dual_lshrrev_b32 v97, 3, v99 :: v_dual_bitop2_b32 v28, 7, v101 bitop3:0x40
	s_mov_b32 s45, exec_lo
	v_cmpx_gt_u32_e32 8, v99
; %bb.405:                              ;   in Loop: Header=BB327_12 Depth=1
	s_delay_alu instid0(VALU_DEP_2) | instskip(NEXT) | instid1(VALU_DEP_1)
	v_clz_i32_u32_e32 v97, v28
	v_min_u32_e32 v97, 32, v97
	s_delay_alu instid0(VALU_DEP_1) | instskip(NEXT) | instid1(VALU_DEP_1)
	v_subrev_nc_u32_e32 v99, 28, v97
	v_lshlrev_b64_e32 v[102:103], v99, v[28:29]
	s_delay_alu instid0(VALU_DEP_1)
	v_dual_sub_nc_u32 v97, 29, v97 :: v_dual_bitop2_b32 v28, 7, v102 bitop3:0x40
; %bb.406:                              ;   in Loop: Header=BB327_12 Depth=1
	s_or_b32 exec_lo, exec_lo, s45
	s_delay_alu instid0(VALU_DEP_1) | instskip(NEXT) | instid1(VALU_DEP_2)
	v_dual_lshlrev_b32 v99, 24, v101 :: v_dual_lshlrev_b32 v28, 20, v28
	v_lshl_add_u32 v97, v97, 23, 0x3c000000
	s_delay_alu instid0(VALU_DEP_2) | instskip(NEXT) | instid1(VALU_DEP_1)
	v_and_b32_e32 v99, 0x80000000, v99
	v_or3_b32 v97, v28, v99, v97
.LBB327_407:                            ;   in Loop: Header=BB327_12 Depth=1
	s_or_b32 exec_lo, exec_lo, s44
.LBB327_408:                            ;   in Loop: Header=BB327_12 Depth=1
	s_delay_alu instid0(SALU_CYCLE_1)
	s_or_b32 exec_lo, exec_lo, s43
.LBB327_409:                            ;   in Loop: Header=BB327_12 Depth=1
	s_delay_alu instid0(SALU_CYCLE_1) | instskip(SKIP_2) | instid1(VALU_DEP_1)
	s_or_b32 exec_lo, exec_lo, s42
	v_lshrrev_b16 v28, 8, v101
	s_mov_b32 s42, exec_lo
	v_cmpx_ne_u16_e32 0, v28
	s_cbranch_execz .LBB327_417
; %bb.410:                              ;   in Loop: Header=BB327_12 Depth=1
	v_bfrev_b32_e32 v98, 1
	s_mov_b32 s43, exec_lo
	v_cmpx_ne_u16_e32 0x80, v28
	s_cbranch_execz .LBB327_416
; %bb.411:                              ;   in Loop: Header=BB327_12 Depth=1
	v_and_b32_e32 v28, 0xffff, v28
	v_mov_b32_e32 v98, 0x7f800001
	s_mov_b32 s44, exec_lo
	s_delay_alu instid0(VALU_DEP_2) | instskip(NEXT) | instid1(VALU_DEP_1)
	v_and_b32_e32 v99, 0x7f, v28
	v_cmpx_ne_u32_e32 0x7f, v99
	s_cbranch_execz .LBB327_415
; %bb.412:                              ;   in Loop: Header=BB327_12 Depth=1
	v_dual_lshrrev_b32 v98, 3, v99 :: v_dual_bitop2_b32 v28, 7, v28 bitop3:0x40
	s_mov_b32 s45, exec_lo
	v_cmpx_gt_u32_e32 8, v99
; %bb.413:                              ;   in Loop: Header=BB327_12 Depth=1
	s_delay_alu instid0(VALU_DEP_2) | instskip(NEXT) | instid1(VALU_DEP_1)
	v_clz_i32_u32_e32 v98, v28
	v_min_u32_e32 v98, 32, v98
	s_delay_alu instid0(VALU_DEP_1) | instskip(SKIP_1) | instid1(VALU_DEP_2)
	v_subrev_nc_u32_e32 v99, 28, v98
	v_sub_nc_u32_e32 v98, 29, v98
	v_lshlrev_b64_e32 v[102:103], v99, v[28:29]
	s_delay_alu instid0(VALU_DEP_1)
	v_and_b32_e32 v28, 7, v102
; %bb.414:                              ;   in Loop: Header=BB327_12 Depth=1
	s_or_b32 exec_lo, exec_lo, s45
	s_delay_alu instid0(VALU_DEP_1) | instskip(SKIP_1) | instid1(VALU_DEP_2)
	v_dual_lshlrev_b32 v99, 16, v101 :: v_dual_lshlrev_b32 v28, 20, v28
	v_lshl_add_u32 v98, v98, 23, 0x3c000000
	v_and_b32_e32 v99, 0x80000000, v99
	s_delay_alu instid0(VALU_DEP_1)
	v_or3_b32 v98, v28, v99, v98
.LBB327_415:                            ;   in Loop: Header=BB327_12 Depth=1
	s_or_b32 exec_lo, exec_lo, s44
.LBB327_416:                            ;   in Loop: Header=BB327_12 Depth=1
	s_delay_alu instid0(SALU_CYCLE_1)
	s_or_b32 exec_lo, exec_lo, s43
.LBB327_417:                            ;   in Loop: Header=BB327_12 Depth=1
	s_delay_alu instid0(SALU_CYCLE_1) | instskip(SKIP_3) | instid1(VALU_DEP_2)
	s_or_b32 exec_lo, exec_lo, s42
	v_dual_mov_b32 v99, 0 :: v_dual_lshrrev_b32 v102, 16, v101
	v_mov_b32_e32 v100, 0
	s_mov_b32 s42, exec_lo
	v_and_b32_e32 v28, 0xff, v102
	s_delay_alu instid0(VALU_DEP_1)
	v_cmpx_ne_u16_e32 0, v28
	s_cbranch_execz .LBB327_425
; %bb.418:                              ;   in Loop: Header=BB327_12 Depth=1
	v_bfrev_b32_e32 v100, 1
	s_mov_b32 s43, exec_lo
	v_cmpx_ne_u16_e32 0x80, v28
	s_cbranch_execz .LBB327_424
; %bb.419:                              ;   in Loop: Header=BB327_12 Depth=1
	v_bfe_u32 v103, v101, 16, 7
	v_mov_b32_e32 v100, 0x7f800001
	s_mov_b32 s44, exec_lo
	s_delay_alu instid0(VALU_DEP_2)
	v_cmpx_ne_u32_e32 0x7f, v103
	s_cbranch_execz .LBB327_423
; %bb.420:                              ;   in Loop: Header=BB327_12 Depth=1
	v_dual_lshrrev_b32 v100, 3, v103 :: v_dual_bitop2_b32 v28, 7, v102 bitop3:0x40
	s_mov_b32 s45, exec_lo
	v_cmpx_gt_u32_e32 8, v103
; %bb.421:                              ;   in Loop: Header=BB327_12 Depth=1
	s_delay_alu instid0(VALU_DEP_2) | instskip(NEXT) | instid1(VALU_DEP_1)
	v_clz_i32_u32_e32 v100, v28
	v_min_u32_e32 v100, 32, v100
	s_delay_alu instid0(VALU_DEP_1) | instskip(SKIP_1) | instid1(VALU_DEP_2)
	v_subrev_nc_u32_e32 v103, 28, v100
	v_sub_nc_u32_e32 v100, 29, v100
	v_lshlrev_b64_e32 v[104:105], v103, v[28:29]
	s_delay_alu instid0(VALU_DEP_1)
	v_and_b32_e32 v28, 7, v104
; %bb.422:                              ;   in Loop: Header=BB327_12 Depth=1
	s_or_b32 exec_lo, exec_lo, s45
	s_delay_alu instid0(VALU_DEP_1) | instskip(SKIP_1) | instid1(VALU_DEP_2)
	v_dual_lshlrev_b32 v102, 24, v102 :: v_dual_lshlrev_b32 v28, 20, v28
	v_lshl_add_u32 v100, v100, 23, 0x3c000000
	v_and_b32_e32 v102, 0x80000000, v102
	s_delay_alu instid0(VALU_DEP_1)
	v_or3_b32 v100, v28, v102, v100
.LBB327_423:                            ;   in Loop: Header=BB327_12 Depth=1
	s_or_b32 exec_lo, exec_lo, s44
.LBB327_424:                            ;   in Loop: Header=BB327_12 Depth=1
	s_delay_alu instid0(SALU_CYCLE_1)
	s_or_b32 exec_lo, exec_lo, s43
.LBB327_425:                            ;   in Loop: Header=BB327_12 Depth=1
	s_delay_alu instid0(SALU_CYCLE_1) | instskip(NEXT) | instid1(SALU_CYCLE_1)
	s_or_b32 exec_lo, exec_lo, s42
	s_mov_b32 s42, exec_lo
	v_cmpx_lt_u32_e32 0xffffff, v101
	s_cbranch_execz .LBB327_433
; %bb.426:                              ;   in Loop: Header=BB327_12 Depth=1
	v_lshrrev_b32_e32 v102, 24, v101
	v_bfrev_b32_e32 v99, 1
	s_mov_b32 s43, exec_lo
	s_delay_alu instid0(VALU_DEP_2)
	v_cmpx_ne_u32_e32 0x80, v102
	s_cbranch_execz .LBB327_432
; %bb.427:                              ;   in Loop: Header=BB327_12 Depth=1
	v_bfe_u32 v101, v101, 24, 7
	v_mov_b32_e32 v99, 0x7f800001
	s_mov_b32 s44, exec_lo
	s_delay_alu instid0(VALU_DEP_2)
	v_cmpx_ne_u32_e32 0x7f, v101
	s_cbranch_execz .LBB327_431
; %bb.428:                              ;   in Loop: Header=BB327_12 Depth=1
	v_dual_lshrrev_b32 v99, 3, v101 :: v_dual_bitop2_b32 v28, 7, v102 bitop3:0x40
	s_mov_b32 s45, exec_lo
	v_cmpx_gt_u32_e32 8, v101
; %bb.429:                              ;   in Loop: Header=BB327_12 Depth=1
	s_delay_alu instid0(VALU_DEP_2) | instskip(NEXT) | instid1(VALU_DEP_1)
	v_clz_i32_u32_e32 v99, v28
	v_min_u32_e32 v99, 32, v99
	s_delay_alu instid0(VALU_DEP_1) | instskip(NEXT) | instid1(VALU_DEP_1)
	v_subrev_nc_u32_e32 v101, 28, v99
	v_lshlrev_b64_e32 v[104:105], v101, v[28:29]
	s_delay_alu instid0(VALU_DEP_1)
	v_dual_sub_nc_u32 v99, 29, v99 :: v_dual_bitop2_b32 v28, 7, v104 bitop3:0x40
; %bb.430:                              ;   in Loop: Header=BB327_12 Depth=1
	s_or_b32 exec_lo, exec_lo, s45
	s_delay_alu instid0(VALU_DEP_1) | instskip(NEXT) | instid1(VALU_DEP_2)
	v_dual_lshlrev_b32 v101, 24, v102 :: v_dual_lshlrev_b32 v28, 20, v28
	v_lshl_add_u32 v99, v99, 23, 0x3c000000
	s_delay_alu instid0(VALU_DEP_2) | instskip(NEXT) | instid1(VALU_DEP_1)
	v_and_b32_e32 v101, 0x80000000, v101
	v_or3_b32 v99, v28, v101, v99
.LBB327_431:                            ;   in Loop: Header=BB327_12 Depth=1
	s_or_b32 exec_lo, exec_lo, s44
.LBB327_432:                            ;   in Loop: Header=BB327_12 Depth=1
	s_delay_alu instid0(SALU_CYCLE_1)
	s_or_b32 exec_lo, exec_lo, s43
.LBB327_433:                            ;   in Loop: Header=BB327_12 Depth=1
	s_delay_alu instid0(SALU_CYCLE_1)
	s_or_b32 exec_lo, exec_lo, s42
	global_load_b32 v105, v[36:37], off offset:1544
	v_dual_mov_b32 v102, 0 :: v_dual_mov_b32 v101, 0
	s_mov_b32 s42, exec_lo
	s_wait_loadcnt 0x0
	v_and_b32_e32 v28, 0xff, v105
	s_delay_alu instid0(VALU_DEP_1)
	v_cmpx_ne_u16_e32 0, v28
	s_cbranch_execz .LBB327_441
; %bb.434:                              ;   in Loop: Header=BB327_12 Depth=1
	v_bfrev_b32_e32 v101, 1
	s_mov_b32 s43, exec_lo
	v_cmpx_ne_u16_e32 0x80, v28
	s_cbranch_execz .LBB327_440
; %bb.435:                              ;   in Loop: Header=BB327_12 Depth=1
	v_and_b32_e32 v103, 0x7f, v105
	v_mov_b32_e32 v101, 0x7f800001
	s_mov_b32 s44, exec_lo
	s_delay_alu instid0(VALU_DEP_2)
	v_cmpx_ne_u32_e32 0x7f, v103
	s_cbranch_execz .LBB327_439
; %bb.436:                              ;   in Loop: Header=BB327_12 Depth=1
	v_dual_lshrrev_b32 v101, 3, v103 :: v_dual_bitop2_b32 v28, 7, v105 bitop3:0x40
	s_mov_b32 s45, exec_lo
	v_cmpx_gt_u32_e32 8, v103
; %bb.437:                              ;   in Loop: Header=BB327_12 Depth=1
	s_delay_alu instid0(VALU_DEP_2) | instskip(NEXT) | instid1(VALU_DEP_1)
	v_clz_i32_u32_e32 v101, v28
	v_min_u32_e32 v101, 32, v101
	s_delay_alu instid0(VALU_DEP_1) | instskip(NEXT) | instid1(VALU_DEP_1)
	v_subrev_nc_u32_e32 v103, 28, v101
	v_lshlrev_b64_e32 v[106:107], v103, v[28:29]
	s_delay_alu instid0(VALU_DEP_1)
	v_dual_sub_nc_u32 v101, 29, v101 :: v_dual_bitop2_b32 v28, 7, v106 bitop3:0x40
; %bb.438:                              ;   in Loop: Header=BB327_12 Depth=1
	s_or_b32 exec_lo, exec_lo, s45
	s_delay_alu instid0(VALU_DEP_1) | instskip(NEXT) | instid1(VALU_DEP_2)
	v_dual_lshlrev_b32 v103, 24, v105 :: v_dual_lshlrev_b32 v28, 20, v28
	v_lshl_add_u32 v101, v101, 23, 0x3c000000
	s_delay_alu instid0(VALU_DEP_2) | instskip(NEXT) | instid1(VALU_DEP_1)
	v_and_b32_e32 v103, 0x80000000, v103
	v_or3_b32 v101, v28, v103, v101
.LBB327_439:                            ;   in Loop: Header=BB327_12 Depth=1
	s_or_b32 exec_lo, exec_lo, s44
.LBB327_440:                            ;   in Loop: Header=BB327_12 Depth=1
	s_delay_alu instid0(SALU_CYCLE_1)
	s_or_b32 exec_lo, exec_lo, s43
.LBB327_441:                            ;   in Loop: Header=BB327_12 Depth=1
	s_delay_alu instid0(SALU_CYCLE_1) | instskip(SKIP_2) | instid1(VALU_DEP_1)
	s_or_b32 exec_lo, exec_lo, s42
	v_lshrrev_b16 v28, 8, v105
	s_mov_b32 s42, exec_lo
	v_cmpx_ne_u16_e32 0, v28
	s_cbranch_execz .LBB327_449
; %bb.442:                              ;   in Loop: Header=BB327_12 Depth=1
	v_bfrev_b32_e32 v102, 1
	s_mov_b32 s43, exec_lo
	v_cmpx_ne_u16_e32 0x80, v28
	s_cbranch_execz .LBB327_448
; %bb.443:                              ;   in Loop: Header=BB327_12 Depth=1
	v_and_b32_e32 v28, 0xffff, v28
	v_mov_b32_e32 v102, 0x7f800001
	s_mov_b32 s44, exec_lo
	s_delay_alu instid0(VALU_DEP_2) | instskip(NEXT) | instid1(VALU_DEP_1)
	v_and_b32_e32 v103, 0x7f, v28
	v_cmpx_ne_u32_e32 0x7f, v103
	s_cbranch_execz .LBB327_447
; %bb.444:                              ;   in Loop: Header=BB327_12 Depth=1
	v_dual_lshrrev_b32 v102, 3, v103 :: v_dual_bitop2_b32 v28, 7, v28 bitop3:0x40
	s_mov_b32 s45, exec_lo
	v_cmpx_gt_u32_e32 8, v103
; %bb.445:                              ;   in Loop: Header=BB327_12 Depth=1
	s_delay_alu instid0(VALU_DEP_2) | instskip(NEXT) | instid1(VALU_DEP_1)
	v_clz_i32_u32_e32 v102, v28
	v_min_u32_e32 v102, 32, v102
	s_delay_alu instid0(VALU_DEP_1) | instskip(SKIP_1) | instid1(VALU_DEP_2)
	v_subrev_nc_u32_e32 v103, 28, v102
	v_sub_nc_u32_e32 v102, 29, v102
	v_lshlrev_b64_e32 v[106:107], v103, v[28:29]
	s_delay_alu instid0(VALU_DEP_1)
	v_and_b32_e32 v28, 7, v106
; %bb.446:                              ;   in Loop: Header=BB327_12 Depth=1
	s_or_b32 exec_lo, exec_lo, s45
	s_delay_alu instid0(VALU_DEP_1) | instskip(SKIP_1) | instid1(VALU_DEP_2)
	v_dual_lshlrev_b32 v103, 16, v105 :: v_dual_lshlrev_b32 v28, 20, v28
	v_lshl_add_u32 v102, v102, 23, 0x3c000000
	v_and_b32_e32 v103, 0x80000000, v103
	s_delay_alu instid0(VALU_DEP_1)
	v_or3_b32 v102, v28, v103, v102
.LBB327_447:                            ;   in Loop: Header=BB327_12 Depth=1
	s_or_b32 exec_lo, exec_lo, s44
.LBB327_448:                            ;   in Loop: Header=BB327_12 Depth=1
	s_delay_alu instid0(SALU_CYCLE_1)
	s_or_b32 exec_lo, exec_lo, s43
.LBB327_449:                            ;   in Loop: Header=BB327_12 Depth=1
	s_delay_alu instid0(SALU_CYCLE_1) | instskip(SKIP_3) | instid1(VALU_DEP_2)
	s_or_b32 exec_lo, exec_lo, s42
	v_dual_mov_b32 v103, 0 :: v_dual_lshrrev_b32 v106, 16, v105
	v_mov_b32_e32 v104, 0
	s_mov_b32 s42, exec_lo
	v_and_b32_e32 v28, 0xff, v106
	s_delay_alu instid0(VALU_DEP_1)
	v_cmpx_ne_u16_e32 0, v28
	s_cbranch_execz .LBB327_457
; %bb.450:                              ;   in Loop: Header=BB327_12 Depth=1
	v_bfrev_b32_e32 v104, 1
	s_mov_b32 s43, exec_lo
	v_cmpx_ne_u16_e32 0x80, v28
	s_cbranch_execz .LBB327_456
; %bb.451:                              ;   in Loop: Header=BB327_12 Depth=1
	v_bfe_u32 v107, v105, 16, 7
	v_mov_b32_e32 v104, 0x7f800001
	s_mov_b32 s44, exec_lo
	s_delay_alu instid0(VALU_DEP_2)
	v_cmpx_ne_u32_e32 0x7f, v107
	s_cbranch_execz .LBB327_455
; %bb.452:                              ;   in Loop: Header=BB327_12 Depth=1
	v_dual_lshrrev_b32 v104, 3, v107 :: v_dual_bitop2_b32 v28, 7, v106 bitop3:0x40
	s_mov_b32 s45, exec_lo
	v_cmpx_gt_u32_e32 8, v107
; %bb.453:                              ;   in Loop: Header=BB327_12 Depth=1
	s_delay_alu instid0(VALU_DEP_2) | instskip(NEXT) | instid1(VALU_DEP_1)
	v_clz_i32_u32_e32 v104, v28
	v_min_u32_e32 v104, 32, v104
	s_delay_alu instid0(VALU_DEP_1) | instskip(SKIP_1) | instid1(VALU_DEP_2)
	v_subrev_nc_u32_e32 v107, 28, v104
	v_sub_nc_u32_e32 v104, 29, v104
	v_lshlrev_b64_e32 v[108:109], v107, v[28:29]
	s_delay_alu instid0(VALU_DEP_1)
	v_and_b32_e32 v28, 7, v108
; %bb.454:                              ;   in Loop: Header=BB327_12 Depth=1
	s_or_b32 exec_lo, exec_lo, s45
	s_delay_alu instid0(VALU_DEP_1) | instskip(SKIP_1) | instid1(VALU_DEP_2)
	v_dual_lshlrev_b32 v106, 24, v106 :: v_dual_lshlrev_b32 v28, 20, v28
	v_lshl_add_u32 v104, v104, 23, 0x3c000000
	v_and_b32_e32 v106, 0x80000000, v106
	s_delay_alu instid0(VALU_DEP_1)
	v_or3_b32 v104, v28, v106, v104
.LBB327_455:                            ;   in Loop: Header=BB327_12 Depth=1
	s_or_b32 exec_lo, exec_lo, s44
.LBB327_456:                            ;   in Loop: Header=BB327_12 Depth=1
	s_delay_alu instid0(SALU_CYCLE_1)
	s_or_b32 exec_lo, exec_lo, s43
.LBB327_457:                            ;   in Loop: Header=BB327_12 Depth=1
	s_delay_alu instid0(SALU_CYCLE_1) | instskip(NEXT) | instid1(SALU_CYCLE_1)
	s_or_b32 exec_lo, exec_lo, s42
	s_mov_b32 s42, exec_lo
	v_cmpx_lt_u32_e32 0xffffff, v105
	s_cbranch_execz .LBB327_465
; %bb.458:                              ;   in Loop: Header=BB327_12 Depth=1
	v_lshrrev_b32_e32 v106, 24, v105
	v_bfrev_b32_e32 v103, 1
	s_mov_b32 s43, exec_lo
	s_delay_alu instid0(VALU_DEP_2)
	v_cmpx_ne_u32_e32 0x80, v106
	s_cbranch_execz .LBB327_464
; %bb.459:                              ;   in Loop: Header=BB327_12 Depth=1
	v_bfe_u32 v105, v105, 24, 7
	v_mov_b32_e32 v103, 0x7f800001
	s_mov_b32 s44, exec_lo
	s_delay_alu instid0(VALU_DEP_2)
	v_cmpx_ne_u32_e32 0x7f, v105
	s_cbranch_execz .LBB327_463
; %bb.460:                              ;   in Loop: Header=BB327_12 Depth=1
	v_dual_lshrrev_b32 v103, 3, v105 :: v_dual_bitop2_b32 v28, 7, v106 bitop3:0x40
	s_mov_b32 s45, exec_lo
	v_cmpx_gt_u32_e32 8, v105
; %bb.461:                              ;   in Loop: Header=BB327_12 Depth=1
	s_delay_alu instid0(VALU_DEP_2) | instskip(NEXT) | instid1(VALU_DEP_1)
	v_clz_i32_u32_e32 v103, v28
	v_min_u32_e32 v103, 32, v103
	s_delay_alu instid0(VALU_DEP_1) | instskip(NEXT) | instid1(VALU_DEP_1)
	v_subrev_nc_u32_e32 v105, 28, v103
	v_lshlrev_b64_e32 v[108:109], v105, v[28:29]
	s_delay_alu instid0(VALU_DEP_1)
	v_dual_sub_nc_u32 v103, 29, v103 :: v_dual_bitop2_b32 v28, 7, v108 bitop3:0x40
; %bb.462:                              ;   in Loop: Header=BB327_12 Depth=1
	s_or_b32 exec_lo, exec_lo, s45
	s_delay_alu instid0(VALU_DEP_1) | instskip(NEXT) | instid1(VALU_DEP_2)
	v_dual_lshlrev_b32 v105, 24, v106 :: v_dual_lshlrev_b32 v28, 20, v28
	v_lshl_add_u32 v103, v103, 23, 0x3c000000
	s_delay_alu instid0(VALU_DEP_2) | instskip(NEXT) | instid1(VALU_DEP_1)
	v_and_b32_e32 v105, 0x80000000, v105
	v_or3_b32 v103, v28, v105, v103
.LBB327_463:                            ;   in Loop: Header=BB327_12 Depth=1
	s_or_b32 exec_lo, exec_lo, s44
.LBB327_464:                            ;   in Loop: Header=BB327_12 Depth=1
	s_delay_alu instid0(SALU_CYCLE_1)
	s_or_b32 exec_lo, exec_lo, s43
.LBB327_465:                            ;   in Loop: Header=BB327_12 Depth=1
	s_delay_alu instid0(SALU_CYCLE_1)
	s_or_b32 exec_lo, exec_lo, s42
	global_load_b32 v107, v[36:37], off offset:1792
	v_dual_mov_b32 v106, 0 :: v_dual_mov_b32 v105, 0
	s_mov_b32 s42, exec_lo
	s_wait_loadcnt 0x0
	v_and_b32_e32 v28, 0xff, v107
	s_delay_alu instid0(VALU_DEP_1)
	v_cmpx_ne_u16_e32 0, v28
	s_cbranch_execz .LBB327_473
; %bb.466:                              ;   in Loop: Header=BB327_12 Depth=1
	v_bfrev_b32_e32 v105, 1
	s_mov_b32 s43, exec_lo
	v_cmpx_ne_u16_e32 0x80, v28
	s_cbranch_execz .LBB327_472
; %bb.467:                              ;   in Loop: Header=BB327_12 Depth=1
	v_and_b32_e32 v37, 0x7f, v107
	v_mov_b32_e32 v105, 0x7f800001
	s_mov_b32 s44, exec_lo
	s_delay_alu instid0(VALU_DEP_2)
	v_cmpx_ne_u32_e32 0x7f, v37
	s_cbranch_execz .LBB327_471
; %bb.468:                              ;   in Loop: Header=BB327_12 Depth=1
	v_dual_lshrrev_b32 v36, 3, v37 :: v_dual_bitop2_b32 v28, 7, v107 bitop3:0x40
	s_mov_b32 s45, exec_lo
	v_cmpx_gt_u32_e32 8, v37
; %bb.469:                              ;   in Loop: Header=BB327_12 Depth=1
	s_delay_alu instid0(VALU_DEP_2) | instskip(NEXT) | instid1(VALU_DEP_1)
	v_clz_i32_u32_e32 v36, v28
	v_min_u32_e32 v36, 32, v36
	s_delay_alu instid0(VALU_DEP_1) | instskip(SKIP_1) | instid1(VALU_DEP_2)
	v_subrev_nc_u32_e32 v37, 28, v36
	v_sub_nc_u32_e32 v36, 29, v36
	v_lshlrev_b64_e32 v[108:109], v37, v[28:29]
	s_delay_alu instid0(VALU_DEP_1)
	v_and_b32_e32 v28, 7, v108
; %bb.470:                              ;   in Loop: Header=BB327_12 Depth=1
	s_or_b32 exec_lo, exec_lo, s45
	s_delay_alu instid0(VALU_DEP_1) | instskip(SKIP_1) | instid1(VALU_DEP_2)
	v_dual_lshlrev_b32 v37, 24, v107 :: v_dual_lshlrev_b32 v28, 20, v28
	v_lshl_add_u32 v36, v36, 23, 0x3c000000
	v_and_b32_e32 v37, 0x80000000, v37
	s_delay_alu instid0(VALU_DEP_1)
	v_or3_b32 v105, v28, v37, v36
.LBB327_471:                            ;   in Loop: Header=BB327_12 Depth=1
	s_or_b32 exec_lo, exec_lo, s44
.LBB327_472:                            ;   in Loop: Header=BB327_12 Depth=1
	s_delay_alu instid0(SALU_CYCLE_1)
	s_or_b32 exec_lo, exec_lo, s43
.LBB327_473:                            ;   in Loop: Header=BB327_12 Depth=1
	s_delay_alu instid0(SALU_CYCLE_1) | instskip(SKIP_2) | instid1(VALU_DEP_1)
	s_or_b32 exec_lo, exec_lo, s42
	v_lshrrev_b16 v28, 8, v107
	s_mov_b32 s42, exec_lo
	v_cmpx_ne_u16_e32 0, v28
	s_cbranch_execz .LBB327_481
; %bb.474:                              ;   in Loop: Header=BB327_12 Depth=1
	v_bfrev_b32_e32 v106, 1
	s_mov_b32 s43, exec_lo
	v_cmpx_ne_u16_e32 0x80, v28
	s_cbranch_execz .LBB327_480
; %bb.475:                              ;   in Loop: Header=BB327_12 Depth=1
	v_and_b32_e32 v28, 0xffff, v28
	v_mov_b32_e32 v106, 0x7f800001
	s_mov_b32 s44, exec_lo
	s_delay_alu instid0(VALU_DEP_2) | instskip(NEXT) | instid1(VALU_DEP_1)
	v_and_b32_e32 v37, 0x7f, v28
	v_cmpx_ne_u32_e32 0x7f, v37
	s_cbranch_execz .LBB327_479
; %bb.476:                              ;   in Loop: Header=BB327_12 Depth=1
	v_dual_lshrrev_b32 v36, 3, v37 :: v_dual_bitop2_b32 v28, 7, v28 bitop3:0x40
	s_mov_b32 s45, exec_lo
	v_cmpx_gt_u32_e32 8, v37
; %bb.477:                              ;   in Loop: Header=BB327_12 Depth=1
	s_delay_alu instid0(VALU_DEP_2) | instskip(NEXT) | instid1(VALU_DEP_1)
	v_clz_i32_u32_e32 v36, v28
	v_min_u32_e32 v36, 32, v36
	s_delay_alu instid0(VALU_DEP_1) | instskip(SKIP_1) | instid1(VALU_DEP_2)
	v_subrev_nc_u32_e32 v37, 28, v36
	v_sub_nc_u32_e32 v36, 29, v36
	v_lshlrev_b64_e32 v[108:109], v37, v[28:29]
	s_delay_alu instid0(VALU_DEP_1)
	v_and_b32_e32 v28, 7, v108
; %bb.478:                              ;   in Loop: Header=BB327_12 Depth=1
	s_or_b32 exec_lo, exec_lo, s45
	s_delay_alu instid0(VALU_DEP_1) | instskip(SKIP_1) | instid1(VALU_DEP_2)
	v_dual_lshlrev_b32 v37, 16, v107 :: v_dual_lshlrev_b32 v28, 20, v28
	v_lshl_add_u32 v36, v36, 23, 0x3c000000
	v_and_b32_e32 v37, 0x80000000, v37
	s_delay_alu instid0(VALU_DEP_1)
	v_or3_b32 v106, v28, v37, v36
.LBB327_479:                            ;   in Loop: Header=BB327_12 Depth=1
	s_or_b32 exec_lo, exec_lo, s44
.LBB327_480:                            ;   in Loop: Header=BB327_12 Depth=1
	s_delay_alu instid0(SALU_CYCLE_1)
	s_or_b32 exec_lo, exec_lo, s43
.LBB327_481:                            ;   in Loop: Header=BB327_12 Depth=1
	s_delay_alu instid0(SALU_CYCLE_1) | instskip(SKIP_3) | instid1(VALU_DEP_2)
	s_or_b32 exec_lo, exec_lo, s42
	v_dual_lshrrev_b32 v108, 16, v107 :: v_dual_mov_b32 v36, 0
	v_mov_b32_e32 v37, 0
	s_mov_b32 s42, exec_lo
	v_and_b32_e32 v28, 0xff, v108
	s_delay_alu instid0(VALU_DEP_1)
	v_cmpx_ne_u16_e32 0, v28
	s_cbranch_execz .LBB327_489
; %bb.482:                              ;   in Loop: Header=BB327_12 Depth=1
	v_bfrev_b32_e32 v37, 1
	s_mov_b32 s43, exec_lo
	v_cmpx_ne_u16_e32 0x80, v28
	s_cbranch_execz .LBB327_488
; %bb.483:                              ;   in Loop: Header=BB327_12 Depth=1
	v_bfe_u32 v109, v107, 16, 7
	v_mov_b32_e32 v37, 0x7f800001
	s_mov_b32 s44, exec_lo
	s_delay_alu instid0(VALU_DEP_2)
	v_cmpx_ne_u32_e32 0x7f, v109
	s_cbranch_execz .LBB327_487
; %bb.484:                              ;   in Loop: Header=BB327_12 Depth=1
	v_dual_lshrrev_b32 v37, 3, v109 :: v_dual_bitop2_b32 v28, 7, v108 bitop3:0x40
	s_mov_b32 s45, exec_lo
	v_cmpx_gt_u32_e32 8, v109
; %bb.485:                              ;   in Loop: Header=BB327_12 Depth=1
	s_delay_alu instid0(VALU_DEP_2) | instskip(NEXT) | instid1(VALU_DEP_1)
	v_clz_i32_u32_e32 v37, v28
	v_min_u32_e32 v37, 32, v37
	s_delay_alu instid0(VALU_DEP_1) | instskip(NEXT) | instid1(VALU_DEP_1)
	v_subrev_nc_u32_e32 v109, 28, v37
	v_lshlrev_b64_e32 v[110:111], v109, v[28:29]
	s_delay_alu instid0(VALU_DEP_1)
	v_dual_sub_nc_u32 v37, 29, v37 :: v_dual_bitop2_b32 v28, 7, v110 bitop3:0x40
; %bb.486:                              ;   in Loop: Header=BB327_12 Depth=1
	s_or_b32 exec_lo, exec_lo, s45
	v_lshlrev_b32_e32 v108, 24, v108
	s_delay_alu instid0(VALU_DEP_2) | instskip(NEXT) | instid1(VALU_DEP_3)
	v_lshlrev_b32_e32 v28, 20, v28
	v_lshl_add_u32 v37, v37, 23, 0x3c000000
	s_delay_alu instid0(VALU_DEP_3) | instskip(NEXT) | instid1(VALU_DEP_1)
	v_and_b32_e32 v108, 0x80000000, v108
	v_or3_b32 v37, v28, v108, v37
.LBB327_487:                            ;   in Loop: Header=BB327_12 Depth=1
	s_or_b32 exec_lo, exec_lo, s44
.LBB327_488:                            ;   in Loop: Header=BB327_12 Depth=1
	s_delay_alu instid0(SALU_CYCLE_1)
	s_or_b32 exec_lo, exec_lo, s43
.LBB327_489:                            ;   in Loop: Header=BB327_12 Depth=1
	s_delay_alu instid0(SALU_CYCLE_1) | instskip(NEXT) | instid1(SALU_CYCLE_1)
	s_or_b32 exec_lo, exec_lo, s42
	s_mov_b32 s42, exec_lo
	v_cmpx_lt_u32_e32 0xffffff, v107
	s_cbranch_execz .LBB327_497
; %bb.490:                              ;   in Loop: Header=BB327_12 Depth=1
	v_lshrrev_b32_e32 v108, 24, v107
	v_bfrev_b32_e32 v36, 1
	s_mov_b32 s43, exec_lo
	s_delay_alu instid0(VALU_DEP_2)
	v_cmpx_ne_u32_e32 0x80, v108
	s_cbranch_execz .LBB327_496
; %bb.491:                              ;   in Loop: Header=BB327_12 Depth=1
	v_bfe_u32 v107, v107, 24, 7
	v_mov_b32_e32 v36, 0x7f800001
	s_mov_b32 s44, exec_lo
	s_delay_alu instid0(VALU_DEP_2)
	v_cmpx_ne_u32_e32 0x7f, v107
	s_cbranch_execz .LBB327_495
; %bb.492:                              ;   in Loop: Header=BB327_12 Depth=1
	v_dual_lshrrev_b32 v36, 3, v107 :: v_dual_bitop2_b32 v28, 7, v108 bitop3:0x40
	s_mov_b32 s45, exec_lo
	v_cmpx_gt_u32_e32 8, v107
; %bb.493:                              ;   in Loop: Header=BB327_12 Depth=1
	s_delay_alu instid0(VALU_DEP_2) | instskip(NEXT) | instid1(VALU_DEP_1)
	v_clz_i32_u32_e32 v36, v28
	v_min_u32_e32 v36, 32, v36
	s_delay_alu instid0(VALU_DEP_1) | instskip(NEXT) | instid1(VALU_DEP_1)
	v_subrev_nc_u32_e32 v107, 28, v36
	v_lshlrev_b64_e32 v[110:111], v107, v[28:29]
	s_delay_alu instid0(VALU_DEP_1)
	v_dual_sub_nc_u32 v36, 29, v36 :: v_dual_bitop2_b32 v28, 7, v110 bitop3:0x40
; %bb.494:                              ;   in Loop: Header=BB327_12 Depth=1
	s_or_b32 exec_lo, exec_lo, s45
	v_lshlrev_b32_e32 v107, 24, v108
	s_delay_alu instid0(VALU_DEP_2) | instskip(NEXT) | instid1(VALU_DEP_3)
	v_lshlrev_b32_e32 v28, 20, v28
	v_lshl_add_u32 v36, v36, 23, 0x3c000000
	s_delay_alu instid0(VALU_DEP_3) | instskip(NEXT) | instid1(VALU_DEP_1)
	v_and_b32_e32 v107, 0x80000000, v107
	v_or3_b32 v36, v28, v107, v36
.LBB327_495:                            ;   in Loop: Header=BB327_12 Depth=1
	s_or_b32 exec_lo, exec_lo, s44
.LBB327_496:                            ;   in Loop: Header=BB327_12 Depth=1
	s_delay_alu instid0(SALU_CYCLE_1)
	s_or_b32 exec_lo, exec_lo, s43
.LBB327_497:                            ;   in Loop: Header=BB327_12 Depth=1
	s_delay_alu instid0(SALU_CYCLE_1)
	s_or_b32 exec_lo, exec_lo, s42
	s_wait_kmcnt 0x0
	v_fma_mixlo_bf16 v54, s41, v54, 0
	v_fma_mixlo_bf16 v53, s41, v53, 0
	;; [unrolled: 1-line block ×4, first 2 shown]
	s_wait_dscnt 0x7
	v_lshlrev_b32_e32 v106, 16, v24
	v_and_b32_e32 v24, 0xffff0000, v24
	v_dual_lshlrev_b32 v53, 16, v53 :: v_dual_lshlrev_b32 v54, 16, v54
	v_lshlrev_b32_e32 v107, 16, v25
	v_fma_mixlo_bf16 v55, s41, v55, 0
	v_fma_mixlo_bf16 v50, s41, v50, 0
	;; [unrolled: 1-line block ×3, first 2 shown]
	v_dual_mul_f32 v53, v106, v53 :: v_dual_lshlrev_b32 v56, 16, v56
	s_delay_alu instid0(VALU_DEP_4)
	v_dual_mul_f32 v24, v24, v54 :: v_dual_lshlrev_b32 v54, 16, v55
	v_fma_mixlo_bf16 v58, s41, v58, 0
	v_fma_mixlo_bf16 v57, s41, v57, 0
	;; [unrolled: 1-line block ×3, first 2 shown]
	v_and_b32_e32 v25, 0xffff0000, v25
	v_mul_f32_e32 v55, v107, v56
	v_fma_mix_f32_bf16 v49, v22, v49, v53 op_sel_hi:[1,1,0]
	v_fma_mix_f32_bf16 v22, v22, v50, v24 op_sel:[1,0,0] op_sel_hi:[1,1,0]
	v_fma_mixlo_bf16 v62, s41, v62, 0
	v_fma_mixlo_bf16 v61, s41, v61, 0
	;; [unrolled: 1-line block ×4, first 2 shown]
	v_mul_f32_e32 v24, v25, v54
	v_fma_mix_f32_bf16 v25, v23, v52, v55 op_sel_hi:[1,1,0]
	s_wait_dscnt 0x6
	v_fma_mix_f32_bf16 v49, v18, v57, v49 op_sel_hi:[1,1,0]
	v_fma_mix_f32_bf16 v18, v18, v58, v22 op_sel:[1,0,0] op_sel_hi:[1,1,0]
	v_fma_mixlo_bf16 v66, s41, v66, 0
	v_fma_mixlo_bf16 v65, s41, v65, 0
	v_fma_mixlo_bf16 v64, s41, v64, 0
	v_fma_mixlo_bf16 v50, s41, v59, 0
	v_fma_mix_f32_bf16 v22, v23, v51, v24 op_sel:[1,0,0] op_sel_hi:[1,1,0]
	v_fma_mix_f32_bf16 v23, v19, v60, v25 op_sel_hi:[1,1,0]
	v_fma_mix_f32_bf16 v24, v20, v61, v49 op_sel_hi:[1,1,0]
	v_fma_mix_f32_bf16 v18, v20, v62, v18 op_sel:[1,0,0] op_sel_hi:[1,1,0]
	v_fma_mixlo_bf16 v70, s41, v70, 0
	v_fma_mixlo_bf16 v69, s41, v69, 0
	v_fma_mixlo_bf16 v68, s41, v68, 0
	v_fma_mixlo_bf16 v25, s41, v63, 0
	v_fma_mix_f32_bf16 v19, v19, v50, v22 op_sel:[1,0,0] op_sel_hi:[1,1,0]
	v_fma_mix_f32_bf16 v20, v21, v64, v23 op_sel_hi:[1,1,0]
	s_wait_dscnt 0x5
	v_fma_mix_f32_bf16 v22, v14, v65, v24 op_sel_hi:[1,1,0]
	v_fma_mix_f32_bf16 v14, v14, v66, v18 op_sel:[1,0,0] op_sel_hi:[1,1,0]
	v_fma_mixlo_bf16 v74, s41, v74, 0
	v_fma_mixlo_bf16 v73, s41, v73, 0
	v_fma_mixlo_bf16 v72, s41, v72, 0
	v_fma_mixlo_bf16 v23, s41, v67, 0
	v_fma_mix_f32_bf16 v18, v21, v25, v19 op_sel:[1,0,0] op_sel_hi:[1,1,0]
	v_fma_mix_f32_bf16 v19, v15, v68, v20 op_sel_hi:[1,1,0]
	v_fma_mix_f32_bf16 v20, v16, v69, v22 op_sel_hi:[1,1,0]
	v_fma_mix_f32_bf16 v14, v16, v70, v14 op_sel:[1,0,0] op_sel_hi:[1,1,0]
	v_fma_mixlo_bf16 v78, s41, v78, 0
	v_fma_mixlo_bf16 v77, s41, v77, 0
	v_fma_mixlo_bf16 v76, s41, v76, 0
	v_fma_mixlo_bf16 v21, s41, v71, 0
	v_fma_mix_f32_bf16 v15, v15, v23, v18 op_sel:[1,0,0] op_sel_hi:[1,1,0]
	v_fma_mix_f32_bf16 v16, v17, v72, v19 op_sel_hi:[1,1,0]
	s_wait_dscnt 0x4
	v_fma_mix_f32_bf16 v18, v10, v73, v20 op_sel_hi:[1,1,0]
	v_fma_mix_f32_bf16 v10, v10, v74, v14 op_sel:[1,0,0] op_sel_hi:[1,1,0]
	v_fma_mixlo_bf16 v82, s41, v82, 0
	v_fma_mixlo_bf16 v81, s41, v81, 0
	v_fma_mixlo_bf16 v80, s41, v80, 0
	v_fma_mixlo_bf16 v19, s41, v75, 0
	v_fma_mix_f32_bf16 v14, v17, v21, v15 op_sel:[1,0,0] op_sel_hi:[1,1,0]
	v_fma_mix_f32_bf16 v15, v11, v76, v16 op_sel_hi:[1,1,0]
	v_fma_mix_f32_bf16 v16, v12, v77, v18 op_sel_hi:[1,1,0]
	v_fma_mix_f32_bf16 v10, v12, v78, v10 op_sel:[1,0,0] op_sel_hi:[1,1,0]
	v_fma_mixlo_bf16 v86, s41, v86, 0
	v_fma_mixlo_bf16 v85, s41, v85, 0
	v_fma_mixlo_bf16 v84, s41, v84, 0
	v_fma_mixlo_bf16 v17, s41, v79, 0
	v_fma_mix_f32_bf16 v11, v11, v19, v14 op_sel:[1,0,0] op_sel_hi:[1,1,0]
	v_fma_mix_f32_bf16 v12, v13, v80, v15 op_sel_hi:[1,1,0]
	s_wait_dscnt 0x3
	v_fma_mix_f32_bf16 v14, v6, v81, v16 op_sel_hi:[1,1,0]
	v_fma_mix_f32_bf16 v6, v6, v82, v10 op_sel:[1,0,0] op_sel_hi:[1,1,0]
	v_fma_mixlo_bf16 v90, s41, v90, 0
	v_fma_mixlo_bf16 v89, s41, v89, 0
	;; [unrolled: 1-line block ×4, first 2 shown]
	v_fma_mix_f32_bf16 v16, v13, v17, v11 op_sel:[1,0,0] op_sel_hi:[1,1,0]
	v_fma_mix_f32_bf16 v17, v7, v84, v12 op_sel_hi:[1,1,0]
	v_fma_mix_f32_bf16 v14, v8, v85, v14 op_sel_hi:[1,1,0]
	ds_load_b128 v[10:13], v42 offset:102
	v_fma_mix_f32_bf16 v6, v8, v86, v6 op_sel:[1,0,0] op_sel_hi:[1,1,0]
	v_fma_mixlo_bf16 v94, s41, v94, 0
	v_fma_mixlo_bf16 v93, s41, v93, 0
	;; [unrolled: 1-line block ×4, first 2 shown]
	v_fma_mix_f32_bf16 v7, v7, v15, v16 op_sel:[1,0,0] op_sel_hi:[1,1,0]
	v_fma_mix_f32_bf16 v8, v9, v88, v17 op_sel_hi:[1,1,0]
	s_wait_dscnt 0x3
	v_fma_mix_f32_bf16 v14, v2, v89, v14 op_sel_hi:[1,1,0]
	v_fma_mix_f32_bf16 v2, v2, v90, v6 op_sel:[1,0,0] op_sel_hi:[1,1,0]
	v_fma_mixlo_bf16 v98, s41, v98, 0
	v_fma_mixlo_bf16 v97, s41, v97, 0
	;; [unrolled: 1-line block ×4, first 2 shown]
	v_fma_mix_f32_bf16 v6, v9, v87, v7 op_sel:[1,0,0] op_sel_hi:[1,1,0]
	v_fma_mix_f32_bf16 v7, v3, v92, v8 op_sel_hi:[1,1,0]
	v_fma_mix_f32_bf16 v9, v4, v93, v14 op_sel_hi:[1,1,0]
	v_fma_mix_f32_bf16 v2, v4, v94, v2 op_sel:[1,0,0] op_sel_hi:[1,1,0]
	v_fma_mixlo_bf16 v102, s41, v102, 0
	v_fma_mixlo_bf16 v101, s41, v101, 0
	;; [unrolled: 1-line block ×4, first 2 shown]
	v_fma_mix_f32_bf16 v3, v3, v15, v6 op_sel:[1,0,0] op_sel_hi:[1,1,0]
	v_fma_mix_f32_bf16 v4, v5, v96, v7 op_sel_hi:[1,1,0]
	ds_load_u16 v6, v42 offset:118
	s_wait_dscnt 0x3
	v_fma_mix_f32_bf16 v7, v48, v97, v9 op_sel_hi:[1,1,0]
	v_fma_mix_f32_bf16 v2, v48, v98, v2 op_sel:[1,0,0] op_sel_hi:[1,1,0]
	v_fma_mixlo_bf16 v105, s41, v105, 0
	v_fma_mixlo_bf16 v104, s41, v104, 0
	;; [unrolled: 1-line block ×3, first 2 shown]
	v_fma_mix_f32_bf16 v3, v5, v8, v3 op_sel:[1,0,0] op_sel_hi:[1,1,0]
	s_wait_dscnt 0x2
	v_fma_mix_f32_bf16 v4, v31, v100, v4 op_sel_hi:[1,1,0]
	s_wait_dscnt 0x1
	v_fma_mix_f32_bf16 v5, v101, v10, v7 op_sel:[0,1,0] op_sel_hi:[1,1,0]
	v_fma_mix_f32_bf16 v2, v102, v11, v2 op_sel_hi:[1,1,0]
	v_fma_mixlo_bf16 v103, s41, v103, 0
	v_fma_mixlo_bf16 v7, s41, v37, 0
	v_fma_mix_f32_bf16 v3, v9, v10, v3 op_sel_hi:[1,1,0]
	v_fma_mix_f32_bf16 v4, v104, v11, v4 op_sel:[0,1,0] op_sel_hi:[1,1,0]
	v_fma_mix_f32_bf16 v5, v105, v12, v5 op_sel:[0,1,0] op_sel_hi:[1,1,0]
	v_fma_mix_f32_bf16 v2, v28, v13, v2 op_sel_hi:[1,1,0]
	v_xor_b32_e32 v8, 1, v40
	v_fma_mixlo_bf16 v9, s41, v36, 0
	v_fma_mix_f32_bf16 v3, v103, v12, v3 op_sel_hi:[1,1,0]
	v_fma_mix_f32_bf16 v4, v7, v13, v4 op_sel:[0,1,0] op_sel_hi:[1,1,0]
	v_add_f32_e32 v2, v5, v2
	v_cmp_gt_i32_e64 s4, 32, v8
	s_wait_dscnt 0x0
	v_fma_mix_f32_bf16 v3, v9, v6, v3 op_sel_hi:[1,1,0]
	s_delay_alu instid0(VALU_DEP_3) | instskip(NEXT) | instid1(VALU_DEP_1)
	v_add_f32_e32 v2, v2, v4
	v_dual_cndmask_b32 v5, v40, v8, s4 :: v_dual_add_f32 v2, v3, v2
	s_delay_alu instid0(VALU_DEP_1)
	v_lshlrev_b32_e32 v4, 2, v5
	ds_bpermute_b32 v3, v4, v2
	s_and_saveexec_b32 s41, s3
	s_cbranch_execz .LBB327_10
; %bb.498:                              ;   in Loop: Header=BB327_12 Depth=1
	s_wait_dscnt 0x0
	v_dual_add_nc_u32 v4, v44, v30 :: v_dual_add_f32 v2, v2, v3
	s_delay_alu instid0(VALU_DEP_1) | instskip(NEXT) | instid1(VALU_DEP_1)
	v_cvt_f32_i32_e32 v4, v4
	v_mul_f32_e32 v4, s36, v4
	s_delay_alu instid0(VALU_DEP_1) | instskip(NEXT) | instid1(VALU_DEP_1)
	v_dual_cndmask_b32 v3, 0, v4 :: v_dual_max_num_f32 v4, v43, v43
	v_fmac_f32_e32 v3, s27, v2
	s_delay_alu instid0(VALU_DEP_1) | instskip(NEXT) | instid1(VALU_DEP_1)
	v_dual_add_nc_u32 v2, v41, v30 :: v_dual_max_num_f32 v4, v4, v3
	v_cmp_gt_i32_e64 s4, s34, v2
	s_delay_alu instid0(VALU_DEP_1)
	v_dual_cndmask_b32 v2, 0, v3, s4 :: v_dual_cndmask_b32 v43, v43, v4, s4
	ds_store_b32 v45, v2
	s_branch .LBB327_10
.LBB327_499:
	s_or_b32 exec_lo, exec_lo, s40
.LBB327_500:
	s_delay_alu instid0(SALU_CYCLE_1)
	s_or_b32 exec_lo, exec_lo, s37
	v_dual_max_num_f32 v6, v43, v43 :: v_dual_bitop2_b32 v2, 16, v40 bitop3:0x14
	v_xor_b32_e32 v7, 2, v40
	s_clause 0x1
	s_load_b64 s[4:5], s[0:1], 0x0
	s_load_b64 s[8:9], s[0:1], 0x18
	v_xor_b32_e32 v4, 8, v40
	v_cmp_gt_i32_e32 vcc_lo, 32, v2
	v_cndmask_b32_e32 v2, v40, v2, vcc_lo
	s_delay_alu instid0(VALU_DEP_3) | instskip(SKIP_1) | instid1(VALU_DEP_2)
	v_cmp_gt_i32_e32 vcc_lo, 32, v4
	s_wait_dscnt 0x0
	v_dual_cndmask_b32 v4, v40, v4 :: v_dual_lshlrev_b32 v3, 2, v2
	ds_bpermute_b32 v2, v3, v43
	s_wait_dscnt 0x0
	v_dual_max_num_f32 v2, v2, v2 :: v_dual_lshlrev_b32 v5, 2, v4
	s_delay_alu instid0(VALU_DEP_1)
	v_dual_max_num_f32 v2, v6, v2 :: v_dual_bitop2_b32 v6, 4, v40 bitop3:0x14
	ds_bpermute_b32 v4, v5, v2
	v_cmp_gt_i32_e32 vcc_lo, 32, v6
	s_wait_dscnt 0x0
	v_max_num_f32_e32 v4, v4, v4
	v_cndmask_b32_e32 v6, v40, v6, vcc_lo
	v_cmp_gt_i32_e32 vcc_lo, 32, v7
	s_delay_alu instid0(VALU_DEP_2) | instskip(SKIP_4) | instid1(VALU_DEP_1)
	v_dual_max_num_f32 v2, v2, v4 :: v_dual_lshlrev_b32 v6, 2, v6
	v_cndmask_b32_e32 v7, v40, v7, vcc_lo
	ds_bpermute_b32 v4, v6, v2
	s_wait_dscnt 0x0
	v_max_num_f32_e32 v4, v4, v4
	v_dual_max_num_f32 v8, v2, v4 :: v_dual_lshlrev_b32 v2, 2, v7
	v_dual_lshlrev_b32 v7, 2, v39 :: v_dual_bitop2_b32 v4, 31, v0 bitop3:0x40
	ds_bpermute_b32 v9, v2, v8
	v_cmp_eq_u32_e32 vcc_lo, 0, v4
	s_wait_xcnt 0x0
	s_and_saveexec_b32 s0, vcc_lo
	s_cbranch_execz .LBB327_502
; %bb.501:
	s_wait_dscnt 0x0
	v_dual_max_num_f32 v9, v9, v9 :: v_dual_max_num_f32 v8, v8, v8
	s_delay_alu instid0(VALU_DEP_1)
	v_max_num_f32_e32 v8, v8, v9
	ds_store_b32 v7, v8 offset:240
.LBB327_502:
	s_or_b32 exec_lo, exec_lo, s0
	v_cmp_gt_u32_e64 s0, 4, v4
	s_wait_dscnt 0x0
	v_dual_mov_b32 v9, 0xff7fffff :: v_dual_lshlrev_b32 v8, 2, v4
	s_barrier_signal -1
	s_barrier_wait -1
	s_and_saveexec_b32 s1, s0
; %bb.503:
	ds_load_b32 v9, v8 offset:240
; %bb.504:
	s_or_b32 exec_lo, exec_lo, s1
	s_wait_dscnt 0x0
	ds_bpermute_b32 v10, v2, v9
	v_dual_max_num_f32 v9, v9, v9 :: v_dual_bitop2_b32 v11, 1, v40 bitop3:0x14
	s_delay_alu instid0(VALU_DEP_1) | instskip(NEXT) | instid1(VALU_DEP_1)
	v_cmp_gt_i32_e64 s1, 32, v11
	v_cndmask_b32_e64 v11, v40, v11, s1
	s_lshl_b32 s1, s26, 4
	s_delay_alu instid0(SALU_CYCLE_1) | instskip(NEXT) | instid1(SALU_CYCLE_1)
	s_min_i32 s19, s1, s34
	v_cmp_gt_i32_e64 s1, s19, v0
	s_wait_dscnt 0x0
	v_dual_max_num_f32 v10, v10, v10 :: v_dual_lshlrev_b32 v37, 2, v11
	s_delay_alu instid0(VALU_DEP_1) | instskip(SKIP_3) | instid1(VALU_DEP_1)
	v_max_num_f32_e32 v9, v9, v10
	ds_bpermute_b32 v10, v37, v9
	s_wait_dscnt 0x0
	v_max_num_f32_e32 v10, v10, v10
	v_dual_max_num_f32 v10, v9, v10 :: v_dual_mov_b32 v9, 0
	ds_bpermute_b32 v10, v9, v10
	s_and_saveexec_b32 s27, s1
	s_cbranch_execz .LBB327_508
; %bb.505:
	v_lshl_add_u32 v11, v0, 2, 0x110
	v_dual_mov_b32 v9, 0 :: v_dual_mov_b32 v12, v0
	s_mov_b32 s28, 0
.LBB327_506:                            ; =>This Inner Loop Header: Depth=1
	ds_load_b32 v13, v11
	v_add_nc_u32_e32 v12, 0x80, v12
	s_delay_alu instid0(VALU_DEP_1) | instskip(SKIP_3) | instid1(VALU_DEP_1)
	v_cmp_le_i32_e64 s3, s19, v12
	s_or_b32 s28, s3, s28
	s_wait_dscnt 0x0
	v_sub_f32_e32 v13, v13, v10
	v_mul_f32_e32 v13, 0x3fb8aa3b, v13
	s_delay_alu instid0(VALU_DEP_1)
	v_exp_f32_e32 v13, v13
	ds_store_b32 v11, v13
	v_nop
	v_add_f32_e32 v9, v9, v13
	v_add_nc_u32_e32 v11, 0x200, v11
	s_and_not1_b32 exec_lo, exec_lo, s28
	s_cbranch_execnz .LBB327_506
; %bb.507:
	s_or_b32 exec_lo, exec_lo, s28
.LBB327_508:
	s_delay_alu instid0(SALU_CYCLE_1)
	s_or_b32 exec_lo, exec_lo, s27
	ds_bpermute_b32 v3, v3, v9
	s_wait_dscnt 0x0
	v_add_f32_e32 v3, v9, v3
	ds_bpermute_b32 v5, v5, v3
	s_wait_dscnt 0x0
	v_add_f32_e32 v3, v3, v5
	;; [unrolled: 3-line block ×5, first 2 shown]
	s_and_saveexec_b32 s3, vcc_lo
; %bb.509:
	ds_store_b32 v7, v3 offset:256
; %bb.510:
	s_or_b32 exec_lo, exec_lo, s3
	s_wait_dscnt 0x0
	s_barrier_signal -1
	s_barrier_wait -1
	s_and_saveexec_b32 s3, s0
; %bb.511:
	ds_load_b32 v3, v8 offset:256
; %bb.512:
	s_or_b32 exec_lo, exec_lo, s3
	s_wait_dscnt 0x0
	ds_bpermute_b32 v2, v2, v3
	s_wait_dscnt 0x0
	v_add_f32_e32 v2, v3, v2
	ds_bpermute_b32 v3, v37, v2
	s_wait_dscnt 0x0
	v_dual_add_f32 v2, v2, v3 :: v_dual_mov_b32 v3, 0
	ds_bpermute_b32 v2, v3, v2
	s_and_saveexec_b32 s0, s1
	s_cbranch_execz .LBB327_525
; %bb.513:
	s_wait_dscnt 0x0
	v_add_f32_e32 v2, 0x358637bd, v2
	s_mov_b32 s3, -1
	s_mov_b32 s1, exec_lo
	s_delay_alu instid0(VALU_DEP_1) | instskip(SKIP_1) | instid1(VALU_DEP_2)
	v_div_scale_f32 v3, null, v2, v2, 1.0
	v_div_scale_f32 v7, vcc_lo, 1.0, v2, 1.0
	v_rcp_f32_e32 v6, v3
	v_nop
	s_delay_alu instid0(TRANS32_DEP_1) | instskip(NEXT) | instid1(VALU_DEP_1)
	v_fma_f32 v5, -v3, v6, 1.0
	v_fmac_f32_e32 v6, v5, v6
	s_delay_alu instid0(VALU_DEP_1) | instskip(NEXT) | instid1(VALU_DEP_1)
	v_mul_f32_e32 v8, v7, v6
	v_fma_f32 v5, -v3, v8, v7
	s_delay_alu instid0(VALU_DEP_1) | instskip(SKIP_1) | instid1(VALU_DEP_2)
	v_fmac_f32_e32 v8, v5, v6
	v_xad_u32 v5, v0, -1, s19
	v_fma_f32 v3, -v3, v8, v7
	s_delay_alu instid0(VALU_DEP_1) | instskip(NEXT) | instid1(VALU_DEP_1)
	v_div_fmas_f32 v3, v3, v6, v8
	v_div_fixup_f32 v2, v3, v2, 1.0
	v_mov_b32_e32 v3, v0
	v_cmpx_lt_u32_e32 0x7f, v5
	s_cbranch_execz .LBB327_522
; %bb.514:
	s_delay_alu instid0(VALU_DEP_3) | instskip(NEXT) | instid1(VALU_DEP_1)
	v_dual_lshrrev_b32 v5, 7, v5 :: v_dual_mov_b32 v3, v2
	v_dual_mov_b32 v9, 0 :: v_dual_add_nc_u32 v6, -1, v5
	s_delay_alu instid0(VALU_DEP_1) | instskip(SKIP_1) | instid1(VALU_DEP_2)
	v_lshrrev_b32_e32 v7, 1, v6
	v_cmp_lt_u32_e32 vcc_lo, 13, v6
	v_add_nc_u32_e32 v6, 1, v7
	s_and_saveexec_b32 s3, vcc_lo
	s_cbranch_execz .LBB327_518
; %bb.515:
	s_delay_alu instid0(VALU_DEP_1)
	v_and_b32_e32 v7, -8, v6
	v_lshl_add_u32 v8, v0, 2, 0x110
	s_mov_b32 s27, 0
	s_mov_b32 s28, 0
.LBB327_516:                            ; =>This Inner Loop Header: Depth=1
	ds_load_2addr_stride64_b32 v[10:11], v8 offset1:2
	ds_load_2addr_stride64_b32 v[12:13], v8 offset0:4 offset1:6
	ds_load_2addr_stride64_b32 v[14:15], v8 offset0:8 offset1:10
	;; [unrolled: 1-line block ×7, first 2 shown]
	s_add_co_i32 s28, s28, 16
	s_delay_alu instid0(SALU_CYCLE_1) | instskip(NEXT) | instid1(VALU_DEP_1)
	v_dual_add_nc_u32 v7, -8, v7 :: v_dual_mov_b32 v9, s28
	v_cmp_eq_u32_e32 vcc_lo, 0, v7
	s_or_b32 s27, vcc_lo, s27
	s_wait_dscnt 0x7
	v_pk_mul_f32 v[10:11], v[2:3], v[10:11]
	s_wait_dscnt 0x6
	v_pk_mul_f32 v[12:13], v[2:3], v[12:13]
	;; [unrolled: 2-line block ×8, first 2 shown]
	ds_store_2addr_stride64_b32 v8, v10, v11 offset1:2
	ds_store_2addr_stride64_b32 v8, v12, v13 offset0:4 offset1:6
	ds_store_2addr_stride64_b32 v8, v14, v15 offset0:8 offset1:10
	;; [unrolled: 1-line block ×7, first 2 shown]
	v_add_nc_u32_e32 v8, 0x2000, v8
	s_and_not1_b32 exec_lo, exec_lo, s27
	s_cbranch_execnz .LBB327_516
; %bb.517:
	s_or_b32 exec_lo, exec_lo, s27
.LBB327_518:
	s_delay_alu instid0(SALU_CYCLE_1) | instskip(NEXT) | instid1(VALU_DEP_1)
	s_or_b32 exec_lo, exec_lo, s3
	v_and_b32_e32 v6, 7, v6
	s_mov_b32 s27, 0
	s_mov_b32 s3, exec_lo
	s_delay_alu instid0(VALU_DEP_1)
	v_cmpx_ne_u32_e32 0, v6
	s_cbranch_execz .LBB327_521
; %bb.519:
	v_dual_lshlrev_b32 v7, 9, v9 :: v_dual_lshlrev_b32 v8, 2, v0
	s_delay_alu instid0(VALU_DEP_1)
	v_add3_u32 v7, v7, v8, 0x110
.LBB327_520:                            ; =>This Inner Loop Header: Depth=1
	ds_load_2addr_stride64_b32 v[8:9], v7 offset1:2
	v_add_nc_u32_e32 v6, -1, v6
	s_delay_alu instid0(VALU_DEP_1)
	v_cmp_eq_u32_e32 vcc_lo, 0, v6
	s_or_b32 s27, vcc_lo, s27
	s_wait_dscnt 0x0
	v_pk_mul_f32 v[8:9], v[2:3], v[8:9]
	ds_store_2addr_stride64_b32 v7, v8, v9 offset1:2
	v_add_nc_u32_e32 v7, 0x400, v7
	s_and_not1_b32 exec_lo, exec_lo, s27
	s_cbranch_execnz .LBB327_520
.LBB327_521:
	s_or_b32 exec_lo, exec_lo, s3
	v_add_nc_u32_e32 v3, 1, v5
	s_delay_alu instid0(VALU_DEP_1) | instskip(NEXT) | instid1(VALU_DEP_1)
	v_and_b32_e32 v5, 0x3fffffe, v3
	v_cmp_ne_u32_e32 vcc_lo, v3, v5
	v_lshl_add_u32 v3, v5, 7, v0
	s_or_not1_b32 s3, vcc_lo, exec_lo
.LBB327_522:
	s_or_b32 exec_lo, exec_lo, s1
	s_delay_alu instid0(SALU_CYCLE_1)
	s_and_b32 exec_lo, exec_lo, s3
	s_cbranch_execz .LBB327_525
; %bb.523:
	v_lshl_add_u32 v5, v3, 2, 0x110
	s_mov_b32 s1, 0
.LBB327_524:                            ; =>This Inner Loop Header: Depth=1
	ds_load_b32 v6, v5
	s_wait_dscnt 0x0
	v_dual_mul_f32 v6, v2, v6 :: v_dual_add_nc_u32 v3, 0x80, v3
	s_delay_alu instid0(VALU_DEP_1) | instskip(SKIP_3) | instid1(SALU_CYCLE_1)
	v_cmp_le_i32_e32 vcc_lo, s19, v3
	ds_store_b32 v5, v6
	v_add_nc_u32_e32 v5, 0x200, v5
	s_or_b32 s1, vcc_lo, s1
	s_and_not1_b32 exec_lo, exec_lo, s1
	s_cbranch_execnz .LBB327_524
.LBB327_525:
	s_or_b32 exec_lo, exec_lo, s0
	v_lshrrev_b32_e32 v36, 1, v4
	s_wait_dscnt 0x0
	s_barrier_signal -1
	s_barrier_wait -1
	s_and_saveexec_b32 s0, s2
	s_delay_alu instid0(SALU_CYCLE_1)
	s_xor_b32 s0, exec_lo, s0
; %bb.526:
	v_lshrrev_b32_e32 v36, 1, v4
                                        ; implicit-def: $vgpr26
                                        ; implicit-def: $vgpr27
; %bb.527:
	s_or_saveexec_b32 s27, s0
	v_dual_mov_b32 v11, 0 :: v_dual_mov_b32 v10, 0
	v_dual_mov_b32 v13, 0 :: v_dual_mov_b32 v12, 0
	;; [unrolled: 1-line block ×4, first 2 shown]
	s_xor_b32 exec_lo, exec_lo, s27
	s_cbranch_execz .LBB327_1031
; %bb.528:
	s_abs_i32 s14, s14
	s_sub_co_i32 s28, s12, s13
	s_cvt_f32_u32 s0, s14
	s_ashr_i32 s19, s18, 31
	v_dual_mov_b32 v19, 0 :: v_dual_lshlrev_b32 v2, 3, v0
	s_delay_alu instid0(SALU_CYCLE_1)
	v_rcp_iflag_f32_e32 v3, s0
	v_lshlrev_b32_e32 v5, 5, v38
	s_wait_kmcnt 0x0
	s_add_nc_u64 s[2:3], s[8:9], s[18:19]
	v_and_b32_e32 v18, 0x7c, v27
	s_lshl_b64 s[0:1], s[24:25], 2
	v_or_b32_e32 v4, 0x70, v36
	v_dual_mov_b32 v23, v19 :: v_dual_bitop2_b32 v40, 8, v2 bitop3:0x40
	v_readfirstlane_b32 s12, v3
	v_mov_b32_e32 v21, v19
	v_lshl_or_b32 v2, v39, 6, v5
	s_add_nc_u64 s[0:1], s[22:23], s[0:1]
	s_sub_co_i32 s8, 0, s14
	s_mul_f32 s9, s12, 0x4f7ffffe
	v_add_nc_u64_e32 v[24:25], s[0:1], v[18:19]
	v_lshl_or_b32 v20, v36, 4, v40
	v_lshl_or_b32 v22, v4, 4, v40
	s_cvt_u32_f32 s12, s9
	v_dual_mov_b32 v42, v39 :: v_dual_add_nc_u32 v41, 0x110, v2
	v_dual_mov_b32 v16, 0 :: v_dual_mov_b32 v17, 0
	s_delay_alu instid0(SALU_CYCLE_1)
	s_mul_i32 s8, s8, s12
	v_dual_mov_b32 v14, 0 :: v_dual_mov_b32 v15, 0
	v_dual_mov_b32 v12, 0 :: v_dual_mov_b32 v13, 0
	;; [unrolled: 1-line block ×3, first 2 shown]
	s_mul_hi_u32 s0, s12, s8
	s_mov_b32 s13, 0
	s_add_co_i32 s29, s26, -1
	s_mov_b64 s[8:9], 0xffffffffffffff
	s_add_co_i32 s12, s12, s0
	s_mov_b32 s18, s13
	v_cmp_gt_u32_e32 vcc_lo, 0x78, v4
	s_branch .LBB327_532
.LBB327_529:                            ;   in Loop: Header=BB327_532 Depth=1
	s_or_b32 exec_lo, exec_lo, s1
	v_perm_b32 v9, v28, v9, 0x5040100
	v_perm_b32 v18, v18, v29, 0x5040100
	;; [unrolled: 1-line block ×4, first 2 shown]
	s_delay_alu instid0(VALU_DEP_4) | instskip(NEXT) | instid1(VALU_DEP_4)
	v_pk_mul_bf16 v3, v30, v9
	v_pk_mul_bf16 v9, v8, v18
	s_delay_alu instid0(VALU_DEP_4) | instskip(NEXT) | instid1(VALU_DEP_4)
	v_pk_mul_bf16 v2, v7, v2
	v_pk_mul_bf16 v4, v6, v4
	s_delay_alu instid0(VALU_DEP_3) | instskip(SKIP_4) | instid1(VALU_DEP_3)
	v_dual_lshlrev_b32 v5, 16, v3 :: v_dual_lshlrev_b32 v18, 16, v9
	v_and_b32_e32 v3, 0xffff0000, v3
	v_and_b32_e32 v9, 0xffff0000, v9
	v_lshlrev_b32_e32 v28, 16, v2
	v_and_b32_e32 v2, 0xffff0000, v2
	v_dual_add_f32 v3, v3, v5 :: v_dual_add_f32 v5, v9, v18
	v_lshlrev_b32_e32 v9, 16, v4
	s_delay_alu instid0(VALU_DEP_3) | instskip(SKIP_1) | instid1(VALU_DEP_4)
	v_add_f32_e32 v2, v2, v28
	v_and_b32_e32 v4, 0xffff0000, v4
	v_add_f32_e32 v3, v5, v3
	s_delay_alu instid0(VALU_DEP_1) | instskip(NEXT) | instid1(VALU_DEP_1)
	v_dual_add_f32 v2, v2, v3 :: v_dual_add_f32 v3, v4, v9
	v_add_f32_e32 v2, v3, v2
	s_delay_alu instid0(VALU_DEP_1)
	v_add_f32_e32 v11, v11, v2
.LBB327_530:                            ;   in Loop: Header=BB327_532 Depth=1
	s_or_b32 exec_lo, exec_lo, s23
	v_perm_b32 v2, v92, v93, 0x5040100
	v_perm_b32 v3, v90, v91, 0x5040100
	;; [unrolled: 1-line block ×5, first 2 shown]
	v_pk_mul_bf16 v2, v30, v2
	v_pk_mul_bf16 v3, v8, v3
	;; [unrolled: 1-line block ×4, first 2 shown]
	v_perm_b32 v32, v35, v34, 0x5040100
	s_delay_alu instid0(VALU_DEP_4)
	v_dual_lshlrev_b32 v9, 16, v2 :: v_dual_lshlrev_b32 v18, 16, v3
	v_and_b32_e32 v2, 0xffff0000, v2
	v_and_b32_e32 v3, 0xffff0000, v3
	v_lshlrev_b32_e32 v29, 16, v4
	v_and_b32_e32 v4, 0xffff0000, v4
	v_perm_b32 v33, v57, v58, 0x5040100
	s_delay_alu instid0(VALU_DEP_4)
	v_dual_add_f32 v2, v9, v2 :: v_dual_add_f32 v3, v18, v3
	v_perm_b32 v9, v85, v86, 0x5040100
	v_pk_mul_bf16 v18, v30, v28
	v_add_f32_e32 v4, v29, v4
	v_perm_b32 v28, v83, v84, 0x5040100
	v_add_f32_e32 v2, v3, v2
	v_pk_mul_bf16 v3, v8, v9
	v_lshlrev_b32_e32 v29, 16, v18
	v_and_b32_e32 v18, 0xffff0000, v18
	v_lshlrev_b32_e32 v9, 16, v5
	v_pk_mul_bf16 v28, v7, v28
	v_lshlrev_b32_e32 v31, 16, v3
	v_and_b32_e32 v3, 0xffff0000, v3
	v_and_b32_e32 v5, 0xffff0000, v5
	s_delay_alu instid0(VALU_DEP_4) | instskip(NEXT) | instid1(VALU_DEP_3)
	v_dual_add_f32 v18, v29, v18 :: v_dual_lshlrev_b32 v29, 16, v28
	v_dual_add_f32 v2, v4, v2 :: v_dual_add_f32 v3, v31, v3
	v_and_b32_e32 v28, 0xffff0000, v28
	v_pk_mul_bf16 v4, v6, v32
	v_add_f32_e32 v5, v9, v5
	v_perm_b32 v31, v65, v66, 0x5040100
	v_add_f32_e32 v3, v3, v18
	v_perm_b32 v18, v81, v82, 0x5040100
	v_perm_b32 v34, v51, v52, 0x5040100
	v_add_f32_e32 v2, v5, v2
	v_perm_b32 v35, v54, v53, 0x5040100
	v_perm_b32 v27, v43, v27, 0x5040100
	v_pk_mul_bf16 v5, v30, v18
	v_add_f32_e32 v9, v29, v28
	v_lshlrev_b32_e32 v28, 16, v4
	v_perm_b32 v29, v79, v80, 0x5040100
	v_and_b32_e32 v4, 0xffff0000, v4
	v_perm_b32 v18, v77, v78, 0x5040100
	v_pk_mul_bf16 v35, v6, v35
	s_delay_alu instid0(VALU_DEP_3) | instskip(SKIP_4) | instid1(VALU_DEP_3)
	v_dual_add_f32 v4, v28, v4 :: v_dual_lshlrev_b32 v28, 16, v5
	v_add_f32_e32 v3, v9, v3
	v_pk_mul_bf16 v9, v8, v29
	v_and_b32_e32 v5, 0xffff0000, v5
	v_pk_mul_bf16 v18, v7, v18
	v_dual_add_f32 v10, v10, v2 :: v_dual_lshlrev_b32 v29, 16, v9
	v_and_b32_e32 v9, 0xffff0000, v9
	v_add_f32_e32 v2, v4, v3
	s_delay_alu instid0(VALU_DEP_4) | instskip(SKIP_1) | instid1(VALU_DEP_4)
	v_dual_add_f32 v3, v28, v5 :: v_dual_lshlrev_b32 v5, 16, v18
	v_perm_b32 v28, v73, v74, 0x5040100
	v_add_f32_e32 v4, v29, v9
	v_and_b32_e32 v9, 0xffff0000, v18
	v_perm_b32 v18, v76, v75, 0x5040100
	v_add_f32_e32 v13, v13, v2
	v_pk_mul_bf16 v2, v30, v28
	s_delay_alu instid0(VALU_DEP_4) | instskip(SKIP_2) | instid1(VALU_DEP_4)
	v_dual_add_f32 v3, v4, v3 :: v_dual_add_f32 v5, v5, v9
	v_perm_b32 v4, v71, v72, 0x5040100
	v_pk_mul_bf16 v9, v6, v18
	v_lshlrev_b32_e32 v18, 16, v2
	v_and_b32_e32 v2, 0xffff0000, v2
	s_delay_alu instid0(VALU_DEP_4) | instskip(SKIP_2) | instid1(VALU_DEP_4)
	v_pk_mul_bf16 v4, v8, v4
	v_add_f32_e32 v3, v5, v3
	v_perm_b32 v5, v69, v70, 0x5040100
	v_dual_add_f32 v2, v18, v2 :: v_dual_lshlrev_b32 v29, 16, v9
	s_delay_alu instid0(VALU_DEP_4) | instskip(SKIP_1) | instid1(VALU_DEP_4)
	v_lshlrev_b32_e32 v28, 16, v4
	v_and_b32_e32 v4, 0xffff0000, v4
	v_pk_mul_bf16 v5, v7, v5
	v_and_b32_e32 v9, 0xffff0000, v9
	s_delay_alu instid0(VALU_DEP_2) | instskip(SKIP_2) | instid1(VALU_DEP_3)
	v_dual_add_f32 v4, v28, v4 :: v_dual_lshlrev_b32 v18, 16, v5
	v_and_b32_e32 v5, 0xffff0000, v5
	v_perm_b32 v28, v68, v67, 0x5040100
	v_add_f32_e32 v2, v4, v2
	v_perm_b32 v4, v63, v64, 0x5040100
	s_delay_alu instid0(VALU_DEP_4)
	v_add_f32_e32 v5, v18, v5
	v_pk_mul_bf16 v18, v30, v31
	v_add_f32_e32 v9, v29, v9
	v_pk_mul_bf16 v28, v6, v28
	v_pk_mul_bf16 v4, v8, v4
	v_add_f32_e32 v2, v5, v2
	v_perm_b32 v5, v61, v62, 0x5040100
	v_lshlrev_b32_e32 v29, 16, v18
	v_and_b32_e32 v18, 0xffff0000, v18
	v_lshlrev_b32_e32 v31, 16, v4
	v_and_b32_e32 v4, 0xffff0000, v4
	v_pk_mul_bf16 v5, v7, v5
	s_delay_alu instid0(VALU_DEP_4) | instskip(SKIP_1) | instid1(VALU_DEP_3)
	v_dual_lshlrev_b32 v32, 16, v28 :: v_dual_add_f32 v18, v29, v18
	v_and_b32_e32 v28, 0xffff0000, v28
	v_dual_add_f32 v4, v31, v4 :: v_dual_lshlrev_b32 v29, 16, v5
	v_and_b32_e32 v5, 0xffff0000, v5
	v_perm_b32 v31, v60, v59, 0x5040100
	s_delay_alu instid0(VALU_DEP_3) | instskip(SKIP_1) | instid1(VALU_DEP_4)
	v_dual_add_f32 v3, v9, v3 :: v_dual_add_f32 v4, v4, v18
	v_perm_b32 v18, v55, v56, 0x5040100
	v_add_f32_e32 v5, v29, v5
	s_delay_alu instid0(VALU_DEP_4)
	v_pk_mul_bf16 v29, v6, v31
	v_pk_mul_bf16 v31, v30, v33
	v_add_f32_e32 v28, v32, v28
	v_pk_mul_bf16 v18, v8, v18
	v_add_f32_e32 v4, v5, v4
	v_pk_mul_bf16 v6, v6, v27
	v_lshlrev_b32_e32 v32, 16, v31
	v_and_b32_e32 v31, 0xffff0000, v31
	v_lshlrev_b32_e32 v33, 16, v18
	v_and_b32_e32 v18, 0xffff0000, v18
	;; [unrolled: 2-line block ×3, first 2 shown]
	v_add_f32_e32 v31, v32, v31
	v_perm_b32 v32, v48, v49, 0x5040100
	v_add_f32_e32 v18, v33, v18
	v_pk_mul_bf16 v33, v7, v34
	v_perm_b32 v34, v46, v47, 0x5040100
	v_lshlrev_b32_e32 v27, 16, v35
	v_pk_mul_bf16 v30, v30, v32
	s_delay_alu instid0(VALU_DEP_4) | instskip(NEXT) | instid1(VALU_DEP_4)
	v_dual_add_f32 v18, v18, v31 :: v_dual_lshlrev_b32 v31, 16, v33
	v_pk_mul_bf16 v8, v8, v34
	v_and_b32_e32 v32, 0xffff0000, v33
	v_perm_b32 v33, v44, v45, 0x5040100
	v_lshlrev_b32_e32 v34, 16, v30
	v_and_b32_e32 v30, 0xffff0000, v30
	v_lshlrev_b32_e32 v44, 16, v8
	v_and_b32_e32 v8, 0xffff0000, v8
	v_pk_mul_bf16 v7, v7, v33
	s_delay_alu instid0(VALU_DEP_4) | instskip(SKIP_1) | instid1(VALU_DEP_3)
	v_dual_add_f32 v31, v31, v32 :: v_dual_add_f32 v30, v34, v30
	v_and_b32_e32 v33, 0xffff0000, v35
	v_dual_add_f32 v8, v44, v8 :: v_dual_lshlrev_b32 v32, 16, v7
	v_and_b32_e32 v7, 0xffff0000, v7
	s_delay_alu instid0(VALU_DEP_4) | instskip(NEXT) | instid1(VALU_DEP_3)
	v_dual_add_f32 v5, v5, v29 :: v_dual_add_f32 v18, v31, v18
	v_add_f32_e32 v8, v8, v30
	s_delay_alu instid0(VALU_DEP_3) | instskip(SKIP_2) | instid1(VALU_DEP_2)
	v_dual_add_f32 v7, v32, v7 :: v_dual_lshlrev_b32 v30, 16, v6
	v_and_b32_e32 v6, 0xffff0000, v6
	v_dual_add_f32 v27, v27, v33 :: v_dual_add_f32 v2, v28, v2
	v_dual_add_f32 v7, v7, v8 :: v_dual_add_f32 v6, v30, v6
	s_delay_alu instid0(VALU_DEP_2) | instskip(NEXT) | instid1(VALU_DEP_3)
	v_dual_add_f32 v4, v5, v4 :: v_dual_add_f32 v5, v27, v18
	v_dual_add_f32 v12, v12, v3 :: v_dual_add_f32 v15, v15, v2
	s_delay_alu instid0(VALU_DEP_3) | instskip(NEXT) | instid1(VALU_DEP_3)
	v_add_f32_e32 v6, v6, v7
	v_dual_add_f32 v14, v14, v4 :: v_dual_add_f32 v17, v17, v5
	s_delay_alu instid0(VALU_DEP_2)
	v_add_f32_e32 v16, v16, v6
.LBB327_531:                            ;   in Loop: Header=BB327_532 Depth=1
	s_or_b32 exec_lo, exec_lo, s19
	v_add_nc_u32_e32 v42, 4, v42
	v_add_nc_u64_e32 v[24:25], 16, v[24:25]
	v_add_nc_u32_e32 v26, 64, v26
	v_add_nc_u32_e32 v41, 0x100, v41
	s_delay_alu instid0(VALU_DEP_4) | instskip(SKIP_1) | instid1(SALU_CYCLE_1)
	v_cmp_le_i32_e64 s0, s26, v42
	s_or_b32 s18, s0, s18
	s_and_not1_b32 exec_lo, exec_lo, s18
	s_cbranch_execz .LBB327_1030
.LBB327_532:                            ; =>This Inner Loop Header: Depth=1
	v_mov_b32_e32 v27, v19
	s_delay_alu instid0(VALU_DEP_1) | instskip(NEXT) | instid1(VALU_DEP_1)
	v_mul_u64_e32 v[2:3], s[20:21], v[26:27]
	v_mul_lo_u32 v2, v3, s16
	s_delay_alu instid0(VALU_DEP_1) | instskip(NEXT) | instid1(VALU_DEP_1)
	v_sub_nc_u32_e32 v2, v26, v2
	v_subrev_nc_u32_e32 v5, s16, v2
	v_cmp_le_u32_e64 s0, s16, v2
	s_delay_alu instid0(VALU_DEP_1) | instskip(NEXT) | instid1(VALU_DEP_1)
	v_dual_add_nc_u32 v4, 1, v3 :: v_dual_cndmask_b32 v2, v2, v5, s0
	v_cndmask_b32_e64 v3, v3, v4, s0
	s_delay_alu instid0(VALU_DEP_2) | instskip(NEXT) | instid1(VALU_DEP_2)
	v_cmp_le_u32_e64 s0, s16, v2
	v_add_nc_u32_e32 v4, 1, v3
	s_delay_alu instid0(VALU_DEP_1) | instskip(NEXT) | instid1(VALU_DEP_1)
	v_cndmask_b32_e64 v2, v3, v4, s0
	v_xor_b32_e32 v2, s15, v2
	s_delay_alu instid0(VALU_DEP_1) | instskip(NEXT) | instid1(VALU_DEP_1)
	v_subrev_nc_u32_e32 v4, s15, v2
	v_add_nc_u32_e32 v5, s35, v4
	v_cmp_lt_i32_e64 s1, s28, v4
	s_delay_alu instid0(VALU_DEP_2) | instskip(NEXT) | instid1(VALU_DEP_1)
	v_sub_nc_u32_e32 v2, 0, v5
	v_dual_ashrrev_i32 v5, 31, v5 :: v_dual_max_i32 v18, v5, v2
	s_delay_alu instid0(VALU_DEP_1) | instskip(NEXT) | instid1(VALU_DEP_1)
	v_mul_u64_e32 v[2:3], s[12:13], v[18:19]
	v_mul_lo_u32 v2, v3, s14
	s_delay_alu instid0(VALU_DEP_1) | instskip(NEXT) | instid1(VALU_DEP_1)
	v_sub_nc_u32_e32 v2, v18, v2
	v_subrev_nc_u32_e32 v3, s14, v2
	v_cmp_le_u32_e64 s0, s14, v2
	s_delay_alu instid0(VALU_DEP_1) | instskip(NEXT) | instid1(VALU_DEP_1)
	v_cndmask_b32_e64 v2, v2, v3, s0
	v_subrev_nc_u32_e32 v3, s14, v2
	v_cmp_le_u32_e64 s0, s14, v2
	s_delay_alu instid0(VALU_DEP_1) | instskip(NEXT) | instid1(VALU_DEP_1)
	v_cndmask_b32_e64 v2, v2, v3, s0
	v_xor_b32_e32 v2, v2, v5
	s_delay_alu instid0(VALU_DEP_1) | instskip(NEXT) | instid1(VALU_DEP_1)
	v_sub_nc_u32_e32 v2, v2, v5
	v_cmp_eq_u32_e64 s0, 0, v2
	s_or_b32 s0, s0, s1
	s_delay_alu instid0(SALU_CYCLE_1)
	s_and_saveexec_b32 s19, s0
	s_cbranch_execz .LBB327_531
; %bb.533:                              ;   in Loop: Header=BB327_532 Depth=1
	global_load_b32 v2, v[24:25], off
	v_dual_mov_b32 v43, 0 :: v_dual_mov_b32 v27, 0
	s_mov_b32 s1, exec_lo
	s_wait_loadcnt 0x0
	v_mad_nc_i64_i32 v[28:29], v2, s17, s[2:3]
	s_delay_alu instid0(VALU_DEP_1)
	v_add_nc_u64_e32 v[30:31], v[28:29], v[20:21]
	global_load_b64 v[32:33], v[30:31], off
	ds_load_2addr_b64 v[6:9], v41 offset1:1
	ds_load_2addr_b64 v[2:5], v41 offset0:2 offset1:3
	s_load_b32 s22, s[10:11], 0x0
	s_wait_loadcnt 0x0
	v_and_b32_e32 v18, 0xff, v32
	s_delay_alu instid0(VALU_DEP_1)
	v_cmpx_ne_u16_e32 0, v18
	s_cbranch_execz .LBB327_539
; %bb.534:                              ;   in Loop: Header=BB327_532 Depth=1
	v_bfrev_b32_e32 v27, 1
	s_mov_b32 s23, exec_lo
	v_cmpx_ne_u16_e32 0x80, v18
	s_cbranch_execz .LBB327_538
; %bb.535:                              ;   in Loop: Header=BB327_532 Depth=1
	v_and_b32_e32 v18, 0x7f, v32
	v_mov_b32_e32 v27, 0x7f800001
	s_mov_b32 s24, exec_lo
	s_delay_alu instid0(VALU_DEP_2)
	v_cmpx_ne_u32_e32 0x7f, v18
	s_cbranch_execz .LBB327_537
; %bb.536:                              ;   in Loop: Header=BB327_532 Depth=1
	v_dual_lshrrev_b32 v34, 3, v18 :: v_dual_bitop2_b32 v27, 7, v32 bitop3:0x40
	v_cmp_gt_u32_e64 s0, 8, v18
	s_delay_alu instid0(VALU_DEP_2) | instskip(NEXT) | instid1(VALU_DEP_1)
	v_clz_i32_u32_e32 v27, v27
	v_min_u32_e32 v27, 32, v27
	s_delay_alu instid0(VALU_DEP_1) | instskip(SKIP_1) | instid1(VALU_DEP_1)
	v_subrev_nc_u32_e32 v35, 28, v27
	v_sub_nc_u32_e32 v27, 29, v27
	v_cndmask_b32_e64 v18, v34, v27, s0
	s_delay_alu instid0(VALU_DEP_3) | instskip(NEXT) | instid1(VALU_DEP_1)
	v_cndmask_b32_e64 v27, 0, v35, s0
	v_lshlrev_b64_e32 v[34:35], v27, v[32:33]
	v_lshlrev_b32_e32 v27, 24, v32
	s_delay_alu instid0(VALU_DEP_4) | instskip(NEXT) | instid1(VALU_DEP_2)
	v_lshl_add_u32 v18, v18, 23, 0x3c000000
	v_and_b32_e32 v27, 0x80000000, v27
	s_delay_alu instid0(VALU_DEP_4) | instskip(NEXT) | instid1(VALU_DEP_1)
	v_lshlrev_b32_e32 v34, 20, v34
	v_and_b32_e32 v34, 0x700000, v34
	s_delay_alu instid0(VALU_DEP_1)
	v_or3_b32 v27, v34, v27, v18
.LBB327_537:                            ;   in Loop: Header=BB327_532 Depth=1
	s_or_b32 exec_lo, exec_lo, s24
.LBB327_538:                            ;   in Loop: Header=BB327_532 Depth=1
	s_delay_alu instid0(SALU_CYCLE_1)
	s_or_b32 exec_lo, exec_lo, s23
.LBB327_539:                            ;   in Loop: Header=BB327_532 Depth=1
	s_delay_alu instid0(SALU_CYCLE_1) | instskip(SKIP_2) | instid1(VALU_DEP_1)
	s_or_b32 exec_lo, exec_lo, s1
	v_lshrrev_b16 v18, 8, v32
	s_mov_b32 s1, exec_lo
	v_cmpx_ne_u16_e32 0, v18
	s_cbranch_execz .LBB327_547
; %bb.540:                              ;   in Loop: Header=BB327_532 Depth=1
	v_bfrev_b32_e32 v43, 1
	s_mov_b32 s23, exec_lo
	v_cmpx_ne_u16_e32 0x80, v18
	s_cbranch_execz .LBB327_546
; %bb.541:                              ;   in Loop: Header=BB327_532 Depth=1
	v_and_b32_e32 v18, 0xffff, v18
	v_mov_b32_e32 v43, 0x7f800001
	s_mov_b32 s24, exec_lo
	s_delay_alu instid0(VALU_DEP_2) | instskip(NEXT) | instid1(VALU_DEP_1)
	v_and_b32_e32 v35, 0x7f, v18
	v_cmpx_ne_u32_e32 0x7f, v35
	s_cbranch_execz .LBB327_545
; %bb.542:                              ;   in Loop: Header=BB327_532 Depth=1
	v_dual_lshrrev_b32 v34, 3, v35 :: v_dual_bitop2_b32 v18, 7, v18 bitop3:0x40
	s_mov_b32 s25, exec_lo
	v_cmpx_gt_u32_e32 8, v35
; %bb.543:                              ;   in Loop: Header=BB327_532 Depth=1
	s_delay_alu instid0(VALU_DEP_2) | instskip(NEXT) | instid1(VALU_DEP_1)
	v_clz_i32_u32_e32 v34, v18
	v_min_u32_e32 v34, 32, v34
	s_delay_alu instid0(VALU_DEP_1) | instskip(NEXT) | instid1(VALU_DEP_1)
	v_subrev_nc_u32_e32 v35, 28, v34
	v_lshlrev_b64_e32 v[44:45], v35, v[18:19]
	s_delay_alu instid0(VALU_DEP_1)
	v_dual_sub_nc_u32 v34, 29, v34 :: v_dual_bitop2_b32 v18, 7, v44 bitop3:0x40
; %bb.544:                              ;   in Loop: Header=BB327_532 Depth=1
	s_or_b32 exec_lo, exec_lo, s25
	s_delay_alu instid0(VALU_DEP_1) | instskip(NEXT) | instid1(VALU_DEP_2)
	v_dual_lshlrev_b32 v35, 16, v32 :: v_dual_lshlrev_b32 v18, 20, v18
	v_lshl_add_u32 v34, v34, 23, 0x3c000000
	s_delay_alu instid0(VALU_DEP_2) | instskip(NEXT) | instid1(VALU_DEP_1)
	v_and_b32_e32 v35, 0x80000000, v35
	v_or3_b32 v43, v18, v35, v34
.LBB327_545:                            ;   in Loop: Header=BB327_532 Depth=1
	s_or_b32 exec_lo, exec_lo, s24
.LBB327_546:                            ;   in Loop: Header=BB327_532 Depth=1
	s_delay_alu instid0(SALU_CYCLE_1)
	s_or_b32 exec_lo, exec_lo, s23
.LBB327_547:                            ;   in Loop: Header=BB327_532 Depth=1
	s_delay_alu instid0(SALU_CYCLE_1) | instskip(SKIP_3) | instid1(VALU_DEP_2)
	s_or_b32 exec_lo, exec_lo, s1
	v_dual_lshrrev_b32 v34, 16, v32 :: v_dual_mov_b32 v46, 0
	v_mov_b32_e32 v47, 0
	s_mov_b32 s1, exec_lo
	v_and_b32_e32 v18, 0xff, v34
	s_delay_alu instid0(VALU_DEP_1)
	v_cmpx_ne_u16_e32 0, v18
	s_cbranch_execz .LBB327_555
; %bb.548:                              ;   in Loop: Header=BB327_532 Depth=1
	v_bfrev_b32_e32 v47, 1
	s_mov_b32 s23, exec_lo
	v_cmpx_ne_u16_e32 0x80, v18
	s_cbranch_execz .LBB327_554
; %bb.549:                              ;   in Loop: Header=BB327_532 Depth=1
	v_bfe_u32 v44, v32, 16, 7
	v_mov_b32_e32 v47, 0x7f800001
	s_mov_b32 s24, exec_lo
	s_delay_alu instid0(VALU_DEP_2)
	v_cmpx_ne_u32_e32 0x7f, v44
	s_cbranch_execz .LBB327_553
; %bb.550:                              ;   in Loop: Header=BB327_532 Depth=1
	v_dual_lshrrev_b32 v35, 3, v44 :: v_dual_bitop2_b32 v18, 7, v34 bitop3:0x40
	s_mov_b32 s25, exec_lo
	v_cmpx_gt_u32_e32 8, v44
; %bb.551:                              ;   in Loop: Header=BB327_532 Depth=1
	s_delay_alu instid0(VALU_DEP_2) | instskip(NEXT) | instid1(VALU_DEP_1)
	v_clz_i32_u32_e32 v35, v18
	v_min_u32_e32 v35, 32, v35
	s_delay_alu instid0(VALU_DEP_1) | instskip(NEXT) | instid1(VALU_DEP_1)
	v_subrev_nc_u32_e32 v44, 28, v35
	v_lshlrev_b64_e32 v[44:45], v44, v[18:19]
	s_delay_alu instid0(VALU_DEP_1)
	v_dual_sub_nc_u32 v35, 29, v35 :: v_dual_bitop2_b32 v18, 7, v44 bitop3:0x40
; %bb.552:                              ;   in Loop: Header=BB327_532 Depth=1
	s_or_b32 exec_lo, exec_lo, s25
	v_lshlrev_b32_e32 v34, 24, v34
	s_delay_alu instid0(VALU_DEP_2) | instskip(NEXT) | instid1(VALU_DEP_3)
	v_lshlrev_b32_e32 v18, 20, v18
	v_lshl_add_u32 v35, v35, 23, 0x3c000000
	s_delay_alu instid0(VALU_DEP_3) | instskip(NEXT) | instid1(VALU_DEP_1)
	v_and_b32_e32 v34, 0x80000000, v34
	v_or3_b32 v47, v18, v34, v35
.LBB327_553:                            ;   in Loop: Header=BB327_532 Depth=1
	s_or_b32 exec_lo, exec_lo, s24
.LBB327_554:                            ;   in Loop: Header=BB327_532 Depth=1
	s_delay_alu instid0(SALU_CYCLE_1)
	s_or_b32 exec_lo, exec_lo, s23
.LBB327_555:                            ;   in Loop: Header=BB327_532 Depth=1
	s_delay_alu instid0(SALU_CYCLE_1) | instskip(NEXT) | instid1(SALU_CYCLE_1)
	s_or_b32 exec_lo, exec_lo, s1
	s_mov_b32 s1, exec_lo
	v_cmpx_lt_u32_e32 0xffffff, v32
	s_cbranch_execz .LBB327_563
; %bb.556:                              ;   in Loop: Header=BB327_532 Depth=1
	v_lshrrev_b32_e32 v34, 24, v32
	v_bfrev_b32_e32 v46, 1
	s_mov_b32 s23, exec_lo
	s_delay_alu instid0(VALU_DEP_2)
	v_cmpx_ne_u32_e32 0x80, v34
	s_cbranch_execz .LBB327_562
; %bb.557:                              ;   in Loop: Header=BB327_532 Depth=1
	v_bfe_u32 v44, v32, 24, 7
	v_mov_b32_e32 v46, 0x7f800001
	s_mov_b32 s24, exec_lo
	s_delay_alu instid0(VALU_DEP_2)
	v_cmpx_ne_u32_e32 0x7f, v44
	s_cbranch_execz .LBB327_561
; %bb.558:                              ;   in Loop: Header=BB327_532 Depth=1
	v_dual_lshrrev_b32 v35, 3, v44 :: v_dual_bitop2_b32 v18, 7, v34 bitop3:0x40
	s_mov_b32 s25, exec_lo
	v_cmpx_gt_u32_e32 8, v44
; %bb.559:                              ;   in Loop: Header=BB327_532 Depth=1
	s_delay_alu instid0(VALU_DEP_2) | instskip(NEXT) | instid1(VALU_DEP_1)
	v_clz_i32_u32_e32 v35, v18
	v_min_u32_e32 v35, 32, v35
	s_delay_alu instid0(VALU_DEP_1) | instskip(NEXT) | instid1(VALU_DEP_1)
	v_subrev_nc_u32_e32 v44, 28, v35
	v_lshlrev_b64_e32 v[44:45], v44, v[18:19]
	s_delay_alu instid0(VALU_DEP_1)
	v_dual_sub_nc_u32 v35, 29, v35 :: v_dual_bitop2_b32 v18, 7, v44 bitop3:0x40
; %bb.560:                              ;   in Loop: Header=BB327_532 Depth=1
	s_or_b32 exec_lo, exec_lo, s25
	v_lshlrev_b32_e32 v34, 24, v34
	s_delay_alu instid0(VALU_DEP_2) | instskip(NEXT) | instid1(VALU_DEP_3)
	v_lshlrev_b32_e32 v18, 20, v18
	v_lshl_add_u32 v35, v35, 23, 0x3c000000
	s_delay_alu instid0(VALU_DEP_3) | instskip(NEXT) | instid1(VALU_DEP_1)
	v_and_b32_e32 v34, 0x80000000, v34
	v_or3_b32 v46, v18, v34, v35
.LBB327_561:                            ;   in Loop: Header=BB327_532 Depth=1
	s_or_b32 exec_lo, exec_lo, s24
.LBB327_562:                            ;   in Loop: Header=BB327_532 Depth=1
	s_delay_alu instid0(SALU_CYCLE_1)
	s_or_b32 exec_lo, exec_lo, s23
.LBB327_563:                            ;   in Loop: Header=BB327_532 Depth=1
	s_delay_alu instid0(SALU_CYCLE_1) | instskip(SKIP_4) | instid1(VALU_DEP_3)
	s_or_b32 exec_lo, exec_lo, s1
	v_and_b32_e32 v35, 0xff, v33
	v_dual_mov_b32 v18, v33 :: v_dual_mov_b32 v34, 0
	v_mov_b32_e32 v45, 0
	s_mov_b32 s1, exec_lo
	v_cmpx_ne_u16_e32 0, v35
	s_cbranch_execz .LBB327_569
; %bb.564:                              ;   in Loop: Header=BB327_532 Depth=1
	v_bfrev_b32_e32 v45, 1
	s_mov_b32 s23, exec_lo
	v_cmpx_ne_u16_e32 0x80, v35
	s_cbranch_execz .LBB327_568
; %bb.565:                              ;   in Loop: Header=BB327_532 Depth=1
	v_and_b32_e32 v35, 0x7f, v33
	v_mov_b32_e32 v45, 0x7f800001
	s_mov_b32 s24, exec_lo
	s_delay_alu instid0(VALU_DEP_2)
	v_cmpx_ne_u32_e32 0x7f, v35
	s_cbranch_execz .LBB327_567
; %bb.566:                              ;   in Loop: Header=BB327_532 Depth=1
	v_dual_lshrrev_b32 v45, 3, v35 :: v_dual_bitop2_b32 v44, 7, v33 bitop3:0x40
	v_cmp_gt_u32_e64 s0, 8, v35
	s_delay_alu instid0(VALU_DEP_2) | instskip(NEXT) | instid1(VALU_DEP_1)
	v_clz_i32_u32_e32 v44, v44
	v_min_u32_e32 v44, 32, v44
	s_delay_alu instid0(VALU_DEP_1) | instskip(SKIP_1) | instid1(VALU_DEP_1)
	v_subrev_nc_u32_e32 v48, 28, v44
	v_sub_nc_u32_e32 v44, 29, v44
	v_cndmask_b32_e64 v35, v45, v44, s0
	s_delay_alu instid0(VALU_DEP_3) | instskip(NEXT) | instid1(VALU_DEP_1)
	v_cndmask_b32_e64 v44, 0, v48, s0
	v_lshlrev_b64_e32 v[44:45], v44, v[18:19]
	v_lshlrev_b32_e32 v45, 24, v18
	s_delay_alu instid0(VALU_DEP_1) | instskip(NEXT) | instid1(VALU_DEP_3)
	v_and_b32_e32 v45, 0x80000000, v45
	v_lshlrev_b32_e32 v44, 20, v44
	v_lshl_add_u32 v35, v35, 23, 0x3c000000
	s_delay_alu instid0(VALU_DEP_2) | instskip(NEXT) | instid1(VALU_DEP_1)
	v_and_b32_e32 v44, 0x700000, v44
	v_or3_b32 v45, v44, v45, v35
.LBB327_567:                            ;   in Loop: Header=BB327_532 Depth=1
	s_or_b32 exec_lo, exec_lo, s24
.LBB327_568:                            ;   in Loop: Header=BB327_532 Depth=1
	s_delay_alu instid0(SALU_CYCLE_1)
	s_or_b32 exec_lo, exec_lo, s23
.LBB327_569:                            ;   in Loop: Header=BB327_532 Depth=1
	s_delay_alu instid0(SALU_CYCLE_1) | instskip(SKIP_2) | instid1(VALU_DEP_1)
	s_or_b32 exec_lo, exec_lo, s1
	v_lshrrev_b16 v35, 8, v18
	s_mov_b32 s1, exec_lo
	v_cmpx_ne_u16_e32 0, v35
	s_cbranch_execz .LBB327_577
; %bb.570:                              ;   in Loop: Header=BB327_532 Depth=1
	v_bfrev_b32_e32 v34, 1
	s_mov_b32 s23, exec_lo
	v_cmpx_ne_u16_e32 0x80, v35
	s_cbranch_execz .LBB327_576
; %bb.571:                              ;   in Loop: Header=BB327_532 Depth=1
	v_and_b32_e32 v35, 0xffff, v35
	v_mov_b32_e32 v34, 0x7f800001
	s_mov_b32 s24, exec_lo
	s_delay_alu instid0(VALU_DEP_2) | instskip(NEXT) | instid1(VALU_DEP_1)
	v_and_b32_e32 v48, 0x7f, v35
	v_cmpx_ne_u32_e32 0x7f, v48
	s_cbranch_execz .LBB327_575
; %bb.572:                              ;   in Loop: Header=BB327_532 Depth=1
	v_dual_mov_b32 v35, v19 :: v_dual_bitop2_b32 v34, 7, v35 bitop3:0x40
	v_lshrrev_b32_e32 v44, 3, v48
	s_mov_b32 s25, exec_lo
	v_cmpx_gt_u32_e32 8, v48
; %bb.573:                              ;   in Loop: Header=BB327_532 Depth=1
	s_delay_alu instid0(VALU_DEP_3) | instskip(NEXT) | instid1(VALU_DEP_1)
	v_clz_i32_u32_e32 v44, v34
	v_min_u32_e32 v44, 32, v44
	s_delay_alu instid0(VALU_DEP_1) | instskip(NEXT) | instid1(VALU_DEP_1)
	v_subrev_nc_u32_e32 v48, 28, v44
	v_lshlrev_b64_e32 v[34:35], v48, v[34:35]
	s_delay_alu instid0(VALU_DEP_1)
	v_dual_sub_nc_u32 v44, 29, v44 :: v_dual_bitop2_b32 v34, 7, v34 bitop3:0x40
; %bb.574:                              ;   in Loop: Header=BB327_532 Depth=1
	s_or_b32 exec_lo, exec_lo, s25
	v_lshlrev_b32_e32 v18, 16, v18
	s_delay_alu instid0(VALU_DEP_2) | instskip(NEXT) | instid1(VALU_DEP_3)
	v_lshlrev_b32_e32 v34, 20, v34
	v_lshl_add_u32 v35, v44, 23, 0x3c000000
	s_delay_alu instid0(VALU_DEP_3) | instskip(NEXT) | instid1(VALU_DEP_1)
	v_and_b32_e32 v18, 0x80000000, v18
	v_or3_b32 v34, v34, v18, v35
.LBB327_575:                            ;   in Loop: Header=BB327_532 Depth=1
	s_or_b32 exec_lo, exec_lo, s24
.LBB327_576:                            ;   in Loop: Header=BB327_532 Depth=1
	s_delay_alu instid0(SALU_CYCLE_1)
	s_or_b32 exec_lo, exec_lo, s23
.LBB327_577:                            ;   in Loop: Header=BB327_532 Depth=1
	s_delay_alu instid0(SALU_CYCLE_1) | instskip(SKIP_3) | instid1(VALU_DEP_2)
	s_or_b32 exec_lo, exec_lo, s1
	v_dual_mov_b32 v35, 0 :: v_dual_lshrrev_b32 v44, 16, v33
	v_mov_b32_e32 v51, 0
	s_mov_b32 s1, exec_lo
	v_and_b32_e32 v18, 0xff, v44
	s_delay_alu instid0(VALU_DEP_1)
	v_cmpx_ne_u16_e32 0, v18
	s_cbranch_execz .LBB327_585
; %bb.578:                              ;   in Loop: Header=BB327_532 Depth=1
	v_bfrev_b32_e32 v51, 1
	s_mov_b32 s23, exec_lo
	v_cmpx_ne_u16_e32 0x80, v18
	s_cbranch_execz .LBB327_584
; %bb.579:                              ;   in Loop: Header=BB327_532 Depth=1
	v_bfe_u32 v49, v33, 16, 7
	v_mov_b32_e32 v51, 0x7f800001
	s_mov_b32 s24, exec_lo
	s_delay_alu instid0(VALU_DEP_2)
	v_cmpx_ne_u32_e32 0x7f, v49
	s_cbranch_execz .LBB327_583
; %bb.580:                              ;   in Loop: Header=BB327_532 Depth=1
	v_dual_lshrrev_b32 v48, 3, v49 :: v_dual_bitop2_b32 v18, 7, v44 bitop3:0x40
	s_mov_b32 s25, exec_lo
	v_cmpx_gt_u32_e32 8, v49
; %bb.581:                              ;   in Loop: Header=BB327_532 Depth=1
	s_delay_alu instid0(VALU_DEP_2) | instskip(NEXT) | instid1(VALU_DEP_1)
	v_clz_i32_u32_e32 v48, v18
	v_min_u32_e32 v48, 32, v48
	s_delay_alu instid0(VALU_DEP_1) | instskip(NEXT) | instid1(VALU_DEP_1)
	v_subrev_nc_u32_e32 v49, 28, v48
	v_lshlrev_b64_e32 v[50:51], v49, v[18:19]
	s_delay_alu instid0(VALU_DEP_1)
	v_dual_sub_nc_u32 v48, 29, v48 :: v_dual_bitop2_b32 v18, 7, v50 bitop3:0x40
; %bb.582:                              ;   in Loop: Header=BB327_532 Depth=1
	s_or_b32 exec_lo, exec_lo, s25
	s_delay_alu instid0(VALU_DEP_1) | instskip(NEXT) | instid1(VALU_DEP_2)
	v_dual_lshlrev_b32 v44, 24, v44 :: v_dual_lshlrev_b32 v18, 20, v18
	v_lshl_add_u32 v48, v48, 23, 0x3c000000
	s_delay_alu instid0(VALU_DEP_2) | instskip(NEXT) | instid1(VALU_DEP_1)
	v_and_b32_e32 v44, 0x80000000, v44
	v_or3_b32 v51, v18, v44, v48
.LBB327_583:                            ;   in Loop: Header=BB327_532 Depth=1
	s_or_b32 exec_lo, exec_lo, s24
.LBB327_584:                            ;   in Loop: Header=BB327_532 Depth=1
	s_delay_alu instid0(SALU_CYCLE_1)
	s_or_b32 exec_lo, exec_lo, s23
.LBB327_585:                            ;   in Loop: Header=BB327_532 Depth=1
	s_delay_alu instid0(SALU_CYCLE_1) | instskip(NEXT) | instid1(SALU_CYCLE_1)
	s_or_b32 exec_lo, exec_lo, s1
	s_mov_b32 s1, exec_lo
	v_cmpx_lt_u64_e64 s[8:9], v[32:33]
	s_cbranch_execz .LBB327_593
; %bb.586:                              ;   in Loop: Header=BB327_532 Depth=1
	v_lshrrev_b32_e32 v32, 24, v33
	v_bfrev_b32_e32 v35, 1
	s_mov_b32 s23, exec_lo
	s_delay_alu instid0(VALU_DEP_2)
	v_cmpx_ne_u32_e32 0x80, v32
	s_cbranch_execz .LBB327_592
; %bb.587:                              ;   in Loop: Header=BB327_532 Depth=1
	v_bfe_u32 v44, v33, 24, 7
	v_mov_b32_e32 v35, 0x7f800001
	s_mov_b32 s24, exec_lo
	s_delay_alu instid0(VALU_DEP_2)
	v_cmpx_ne_u32_e32 0x7f, v44
	s_cbranch_execz .LBB327_591
; %bb.588:                              ;   in Loop: Header=BB327_532 Depth=1
	v_and_b32_e32 v18, 7, v32
	v_lshrrev_b32_e32 v33, 3, v44
	s_mov_b32 s25, exec_lo
	v_cmpx_gt_u32_e32 8, v44
; %bb.589:                              ;   in Loop: Header=BB327_532 Depth=1
	s_delay_alu instid0(VALU_DEP_3) | instskip(NEXT) | instid1(VALU_DEP_1)
	v_clz_i32_u32_e32 v33, v18
	v_min_u32_e32 v33, 32, v33
	s_delay_alu instid0(VALU_DEP_1) | instskip(NEXT) | instid1(VALU_DEP_1)
	v_subrev_nc_u32_e32 v35, 28, v33
	v_lshlrev_b64_e32 v[48:49], v35, v[18:19]
	s_delay_alu instid0(VALU_DEP_1)
	v_dual_sub_nc_u32 v33, 29, v33 :: v_dual_bitop2_b32 v18, 7, v48 bitop3:0x40
; %bb.590:                              ;   in Loop: Header=BB327_532 Depth=1
	s_or_b32 exec_lo, exec_lo, s25
	s_delay_alu instid0(VALU_DEP_1) | instskip(NEXT) | instid1(VALU_DEP_2)
	v_dual_lshlrev_b32 v32, 24, v32 :: v_dual_lshlrev_b32 v18, 20, v18
	v_lshl_add_u32 v33, v33, 23, 0x3c000000
	s_delay_alu instid0(VALU_DEP_2) | instskip(NEXT) | instid1(VALU_DEP_1)
	v_and_b32_e32 v32, 0x80000000, v32
	v_or3_b32 v35, v18, v32, v33
.LBB327_591:                            ;   in Loop: Header=BB327_532 Depth=1
	s_or_b32 exec_lo, exec_lo, s24
.LBB327_592:                            ;   in Loop: Header=BB327_532 Depth=1
	s_delay_alu instid0(SALU_CYCLE_1)
	s_or_b32 exec_lo, exec_lo, s23
.LBB327_593:                            ;   in Loop: Header=BB327_532 Depth=1
	s_delay_alu instid0(SALU_CYCLE_1)
	s_or_b32 exec_lo, exec_lo, s1
	v_add_nc_u32_e32 v50, v40, v26
	v_cmp_eq_u32_e64 s0, s29, v42
	s_wait_kmcnt 0x0
	v_fma_mixlo_bf16 v44, s22, v34, 0
	v_fma_mixlo_bf16 v45, s22, v45, 0
	;; [unrolled: 1-line block ×8, first 2 shown]
	s_and_saveexec_b32 s23, s0
	s_cbranch_execz .LBB327_595
; %bb.594:                              ;   in Loop: Header=BB327_532 Depth=1
	v_dual_add_nc_u32 v18, 1, v50 :: v_dual_add_nc_u32 v32, 2, v50
	v_cmp_gt_i32_e64 s1, s34, v50
	s_delay_alu instid0(VALU_DEP_1) | instskip(NEXT) | instid1(VALU_DEP_3)
	v_dual_add_nc_u32 v33, 3, v50 :: v_dual_cndmask_b32 v49, 0, v49, s1
	v_cmp_gt_i32_e64 s1, s34, v18
	s_delay_alu instid0(VALU_DEP_1) | instskip(SKIP_1) | instid1(VALU_DEP_1)
	v_dual_add_nc_u32 v18, 4, v50 :: v_dual_cndmask_b32 v48, 0, v48, s1
	v_cmp_gt_i32_e64 s1, s34, v32
	v_dual_add_nc_u32 v32, 5, v50 :: v_dual_cndmask_b32 v47, 0, v47, s1
	v_cmp_gt_i32_e64 s1, s34, v33
	v_add_nc_u32_e32 v33, 6, v50
	s_delay_alu instid0(VALU_DEP_2) | instskip(SKIP_1) | instid1(VALU_DEP_1)
	v_cndmask_b32_e64 v46, 0, v46, s1
	v_cmp_gt_i32_e64 s1, s34, v18
	v_dual_add_nc_u32 v18, 7, v50 :: v_dual_cndmask_b32 v45, 0, v45, s1
	v_cmp_gt_i32_e64 s1, s34, v32
	s_delay_alu instid0(VALU_DEP_1) | instskip(SKIP_1) | instid1(VALU_DEP_1)
	v_cndmask_b32_e64 v44, 0, v44, s1
	v_cmp_gt_i32_e64 s1, s34, v33
	v_cndmask_b32_e64 v27, 0, v27, s1
	v_cmp_gt_i32_e64 s1, s34, v18
	s_delay_alu instid0(VALU_DEP_1)
	v_cndmask_b32_e64 v43, 0, v43, s1
.LBB327_595:                            ;   in Loop: Header=BB327_532 Depth=1
	s_or_b32 exec_lo, exec_lo, s23
	global_load_b64 v[32:33], v[30:31], off offset:256
	v_dual_mov_b32 v54, 0 :: v_dual_mov_b32 v53, 0
	s_mov_b32 s23, exec_lo
	s_wait_loadcnt 0x0
	v_and_b32_e32 v18, 0xff, v32
	s_delay_alu instid0(VALU_DEP_1)
	v_cmpx_ne_u16_e32 0, v18
	s_cbranch_execz .LBB327_601
; %bb.596:                              ;   in Loop: Header=BB327_532 Depth=1
	v_bfrev_b32_e32 v53, 1
	s_mov_b32 s24, exec_lo
	v_cmpx_ne_u16_e32 0x80, v18
	s_cbranch_execz .LBB327_600
; %bb.597:                              ;   in Loop: Header=BB327_532 Depth=1
	v_and_b32_e32 v18, 0x7f, v32
	v_mov_b32_e32 v53, 0x7f800001
	s_mov_b32 s25, exec_lo
	s_delay_alu instid0(VALU_DEP_2)
	v_cmpx_ne_u32_e32 0x7f, v18
	s_cbranch_execz .LBB327_599
; %bb.598:                              ;   in Loop: Header=BB327_532 Depth=1
	v_dual_lshrrev_b32 v35, 3, v18 :: v_dual_bitop2_b32 v34, 7, v32 bitop3:0x40
	v_cmp_gt_u32_e64 s1, 8, v18
	s_delay_alu instid0(VALU_DEP_2) | instskip(NEXT) | instid1(VALU_DEP_1)
	v_clz_i32_u32_e32 v34, v34
	v_min_u32_e32 v34, 32, v34
	s_delay_alu instid0(VALU_DEP_1) | instskip(SKIP_1) | instid1(VALU_DEP_1)
	v_subrev_nc_u32_e32 v51, 28, v34
	v_sub_nc_u32_e32 v34, 29, v34
	v_dual_cndmask_b32 v18, v35, v34, s1 :: v_dual_cndmask_b32 v34, 0, v51, s1
	s_delay_alu instid0(VALU_DEP_1) | instskip(NEXT) | instid1(VALU_DEP_2)
	v_lshl_add_u32 v18, v18, 23, 0x3c000000
	v_lshlrev_b64_e32 v[34:35], v34, v[32:33]
	v_lshlrev_b32_e32 v35, 24, v32
	s_delay_alu instid0(VALU_DEP_1) | instskip(NEXT) | instid1(VALU_DEP_3)
	v_and_b32_e32 v35, 0x80000000, v35
	v_lshlrev_b32_e32 v34, 20, v34
	s_delay_alu instid0(VALU_DEP_1) | instskip(NEXT) | instid1(VALU_DEP_1)
	v_and_b32_e32 v34, 0x700000, v34
	v_or3_b32 v53, v34, v35, v18
.LBB327_599:                            ;   in Loop: Header=BB327_532 Depth=1
	s_or_b32 exec_lo, exec_lo, s25
.LBB327_600:                            ;   in Loop: Header=BB327_532 Depth=1
	s_delay_alu instid0(SALU_CYCLE_1)
	s_or_b32 exec_lo, exec_lo, s24
.LBB327_601:                            ;   in Loop: Header=BB327_532 Depth=1
	s_delay_alu instid0(SALU_CYCLE_1) | instskip(SKIP_2) | instid1(VALU_DEP_1)
	s_or_b32 exec_lo, exec_lo, s23
	v_lshrrev_b16 v18, 8, v32
	s_mov_b32 s23, exec_lo
	v_cmpx_ne_u16_e32 0, v18
	s_cbranch_execz .LBB327_609
; %bb.602:                              ;   in Loop: Header=BB327_532 Depth=1
	v_bfrev_b32_e32 v54, 1
	s_mov_b32 s24, exec_lo
	v_cmpx_ne_u16_e32 0x80, v18
	s_cbranch_execz .LBB327_608
; %bb.603:                              ;   in Loop: Header=BB327_532 Depth=1
	v_and_b32_e32 v18, 0xffff, v18
	v_mov_b32_e32 v54, 0x7f800001
	s_mov_b32 s25, exec_lo
	s_delay_alu instid0(VALU_DEP_2) | instskip(NEXT) | instid1(VALU_DEP_1)
	v_and_b32_e32 v35, 0x7f, v18
	v_cmpx_ne_u32_e32 0x7f, v35
	s_cbranch_execz .LBB327_607
; %bb.604:                              ;   in Loop: Header=BB327_532 Depth=1
	v_dual_lshrrev_b32 v34, 3, v35 :: v_dual_bitop2_b32 v18, 7, v18 bitop3:0x40
	s_mov_b32 s36, exec_lo
	v_cmpx_gt_u32_e32 8, v35
; %bb.605:                              ;   in Loop: Header=BB327_532 Depth=1
	s_delay_alu instid0(VALU_DEP_2) | instskip(NEXT) | instid1(VALU_DEP_1)
	v_clz_i32_u32_e32 v34, v18
	v_min_u32_e32 v34, 32, v34
	s_delay_alu instid0(VALU_DEP_1) | instskip(SKIP_1) | instid1(VALU_DEP_2)
	v_subrev_nc_u32_e32 v35, 28, v34
	v_sub_nc_u32_e32 v34, 29, v34
	v_lshlrev_b64_e32 v[54:55], v35, v[18:19]
	s_delay_alu instid0(VALU_DEP_1)
	v_and_b32_e32 v18, 7, v54
; %bb.606:                              ;   in Loop: Header=BB327_532 Depth=1
	s_or_b32 exec_lo, exec_lo, s36
	s_delay_alu instid0(VALU_DEP_1) | instskip(SKIP_1) | instid1(VALU_DEP_2)
	v_dual_lshlrev_b32 v35, 16, v32 :: v_dual_lshlrev_b32 v18, 20, v18
	v_lshl_add_u32 v34, v34, 23, 0x3c000000
	v_and_b32_e32 v35, 0x80000000, v35
	s_delay_alu instid0(VALU_DEP_1)
	v_or3_b32 v54, v18, v35, v34
.LBB327_607:                            ;   in Loop: Header=BB327_532 Depth=1
	s_or_b32 exec_lo, exec_lo, s25
.LBB327_608:                            ;   in Loop: Header=BB327_532 Depth=1
	s_delay_alu instid0(SALU_CYCLE_1)
	s_or_b32 exec_lo, exec_lo, s24
.LBB327_609:                            ;   in Loop: Header=BB327_532 Depth=1
	s_delay_alu instid0(SALU_CYCLE_1) | instskip(SKIP_3) | instid1(VALU_DEP_2)
	s_or_b32 exec_lo, exec_lo, s23
	v_dual_mov_b32 v55, 0 :: v_dual_lshrrev_b32 v34, 16, v32
	v_mov_b32_e32 v56, 0
	s_mov_b32 s23, exec_lo
	v_and_b32_e32 v18, 0xff, v34
	s_delay_alu instid0(VALU_DEP_1)
	v_cmpx_ne_u16_e32 0, v18
	s_cbranch_execz .LBB327_617
; %bb.610:                              ;   in Loop: Header=BB327_532 Depth=1
	v_bfrev_b32_e32 v56, 1
	s_mov_b32 s24, exec_lo
	v_cmpx_ne_u16_e32 0x80, v18
	s_cbranch_execz .LBB327_616
; %bb.611:                              ;   in Loop: Header=BB327_532 Depth=1
	v_bfe_u32 v51, v32, 16, 7
	v_mov_b32_e32 v56, 0x7f800001
	s_mov_b32 s25, exec_lo
	s_delay_alu instid0(VALU_DEP_2)
	v_cmpx_ne_u32_e32 0x7f, v51
	s_cbranch_execz .LBB327_615
; %bb.612:                              ;   in Loop: Header=BB327_532 Depth=1
	v_dual_lshrrev_b32 v35, 3, v51 :: v_dual_bitop2_b32 v18, 7, v34 bitop3:0x40
	s_mov_b32 s36, exec_lo
	v_cmpx_gt_u32_e32 8, v51
; %bb.613:                              ;   in Loop: Header=BB327_532 Depth=1
	s_delay_alu instid0(VALU_DEP_2) | instskip(NEXT) | instid1(VALU_DEP_1)
	v_clz_i32_u32_e32 v35, v18
	v_min_u32_e32 v35, 32, v35
	s_delay_alu instid0(VALU_DEP_1) | instskip(NEXT) | instid1(VALU_DEP_1)
	v_subrev_nc_u32_e32 v51, 28, v35
	v_lshlrev_b64_e32 v[56:57], v51, v[18:19]
	s_delay_alu instid0(VALU_DEP_1)
	v_dual_sub_nc_u32 v35, 29, v35 :: v_dual_bitop2_b32 v18, 7, v56 bitop3:0x40
; %bb.614:                              ;   in Loop: Header=BB327_532 Depth=1
	s_or_b32 exec_lo, exec_lo, s36
	v_lshlrev_b32_e32 v34, 24, v34
	s_delay_alu instid0(VALU_DEP_2) | instskip(NEXT) | instid1(VALU_DEP_3)
	v_lshlrev_b32_e32 v18, 20, v18
	v_lshl_add_u32 v35, v35, 23, 0x3c000000
	s_delay_alu instid0(VALU_DEP_3) | instskip(NEXT) | instid1(VALU_DEP_1)
	v_and_b32_e32 v34, 0x80000000, v34
	v_or3_b32 v56, v18, v34, v35
.LBB327_615:                            ;   in Loop: Header=BB327_532 Depth=1
	s_or_b32 exec_lo, exec_lo, s25
.LBB327_616:                            ;   in Loop: Header=BB327_532 Depth=1
	s_delay_alu instid0(SALU_CYCLE_1)
	s_or_b32 exec_lo, exec_lo, s24
.LBB327_617:                            ;   in Loop: Header=BB327_532 Depth=1
	s_delay_alu instid0(SALU_CYCLE_1) | instskip(NEXT) | instid1(SALU_CYCLE_1)
	s_or_b32 exec_lo, exec_lo, s23
	s_mov_b32 s23, exec_lo
	v_cmpx_lt_u32_e32 0xffffff, v32
	s_cbranch_execz .LBB327_625
; %bb.618:                              ;   in Loop: Header=BB327_532 Depth=1
	v_lshrrev_b32_e32 v34, 24, v32
	v_bfrev_b32_e32 v55, 1
	s_mov_b32 s24, exec_lo
	s_delay_alu instid0(VALU_DEP_2)
	v_cmpx_ne_u32_e32 0x80, v34
	s_cbranch_execz .LBB327_624
; %bb.619:                              ;   in Loop: Header=BB327_532 Depth=1
	v_bfe_u32 v51, v32, 24, 7
	v_mov_b32_e32 v55, 0x7f800001
	s_mov_b32 s25, exec_lo
	s_delay_alu instid0(VALU_DEP_2)
	v_cmpx_ne_u32_e32 0x7f, v51
	s_cbranch_execz .LBB327_623
; %bb.620:                              ;   in Loop: Header=BB327_532 Depth=1
	v_dual_lshrrev_b32 v35, 3, v51 :: v_dual_bitop2_b32 v18, 7, v34 bitop3:0x40
	s_mov_b32 s36, exec_lo
	v_cmpx_gt_u32_e32 8, v51
; %bb.621:                              ;   in Loop: Header=BB327_532 Depth=1
	s_delay_alu instid0(VALU_DEP_2) | instskip(NEXT) | instid1(VALU_DEP_1)
	v_clz_i32_u32_e32 v35, v18
	v_min_u32_e32 v35, 32, v35
	s_delay_alu instid0(VALU_DEP_1) | instskip(NEXT) | instid1(VALU_DEP_1)
	v_subrev_nc_u32_e32 v51, 28, v35
	v_lshlrev_b64_e32 v[58:59], v51, v[18:19]
	s_delay_alu instid0(VALU_DEP_1)
	v_dual_sub_nc_u32 v35, 29, v35 :: v_dual_bitop2_b32 v18, 7, v58 bitop3:0x40
; %bb.622:                              ;   in Loop: Header=BB327_532 Depth=1
	s_or_b32 exec_lo, exec_lo, s36
	v_lshlrev_b32_e32 v34, 24, v34
	s_delay_alu instid0(VALU_DEP_2) | instskip(NEXT) | instid1(VALU_DEP_3)
	v_lshlrev_b32_e32 v18, 20, v18
	v_lshl_add_u32 v35, v35, 23, 0x3c000000
	s_delay_alu instid0(VALU_DEP_3) | instskip(NEXT) | instid1(VALU_DEP_1)
	v_and_b32_e32 v34, 0x80000000, v34
	v_or3_b32 v55, v18, v34, v35
.LBB327_623:                            ;   in Loop: Header=BB327_532 Depth=1
	s_or_b32 exec_lo, exec_lo, s25
.LBB327_624:                            ;   in Loop: Header=BB327_532 Depth=1
	s_delay_alu instid0(SALU_CYCLE_1)
	s_or_b32 exec_lo, exec_lo, s24
.LBB327_625:                            ;   in Loop: Header=BB327_532 Depth=1
	s_delay_alu instid0(SALU_CYCLE_1) | instskip(SKIP_4) | instid1(VALU_DEP_3)
	s_or_b32 exec_lo, exec_lo, s23
	v_and_b32_e32 v35, 0xff, v33
	v_dual_mov_b32 v18, v33 :: v_dual_mov_b32 v34, 0
	v_mov_b32_e32 v52, 0
	s_mov_b32 s23, exec_lo
	v_cmpx_ne_u16_e32 0, v35
	s_cbranch_execz .LBB327_631
; %bb.626:                              ;   in Loop: Header=BB327_532 Depth=1
	v_bfrev_b32_e32 v52, 1
	s_mov_b32 s24, exec_lo
	v_cmpx_ne_u16_e32 0x80, v35
	s_cbranch_execz .LBB327_630
; %bb.627:                              ;   in Loop: Header=BB327_532 Depth=1
	v_and_b32_e32 v35, 0x7f, v33
	v_mov_b32_e32 v52, 0x7f800001
	s_mov_b32 s25, exec_lo
	s_delay_alu instid0(VALU_DEP_2)
	v_cmpx_ne_u32_e32 0x7f, v35
	s_cbranch_execz .LBB327_629
; %bb.628:                              ;   in Loop: Header=BB327_532 Depth=1
	v_dual_lshrrev_b32 v52, 3, v35 :: v_dual_bitop2_b32 v51, 7, v33 bitop3:0x40
	v_cmp_gt_u32_e64 s1, 8, v35
	s_delay_alu instid0(VALU_DEP_2) | instskip(NEXT) | instid1(VALU_DEP_1)
	v_clz_i32_u32_e32 v51, v51
	v_min_u32_e32 v51, 32, v51
	s_delay_alu instid0(VALU_DEP_1) | instskip(SKIP_1) | instid1(VALU_DEP_1)
	v_subrev_nc_u32_e32 v57, 28, v51
	v_sub_nc_u32_e32 v51, 29, v51
	v_dual_cndmask_b32 v35, v52, v51, s1 :: v_dual_cndmask_b32 v51, 0, v57, s1
	s_delay_alu instid0(VALU_DEP_1) | instskip(NEXT) | instid1(VALU_DEP_2)
	v_lshl_add_u32 v35, v35, 23, 0x3c000000
	v_lshlrev_b64_e32 v[58:59], v51, v[18:19]
	v_lshlrev_b32_e32 v51, 24, v18
	s_delay_alu instid0(VALU_DEP_1) | instskip(NEXT) | instid1(VALU_DEP_3)
	v_and_b32_e32 v51, 0x80000000, v51
	v_lshlrev_b32_e32 v52, 20, v58
	s_delay_alu instid0(VALU_DEP_1) | instskip(NEXT) | instid1(VALU_DEP_1)
	v_and_b32_e32 v52, 0x700000, v52
	v_or3_b32 v52, v52, v51, v35
.LBB327_629:                            ;   in Loop: Header=BB327_532 Depth=1
	s_or_b32 exec_lo, exec_lo, s25
.LBB327_630:                            ;   in Loop: Header=BB327_532 Depth=1
	s_delay_alu instid0(SALU_CYCLE_1)
	s_or_b32 exec_lo, exec_lo, s24
.LBB327_631:                            ;   in Loop: Header=BB327_532 Depth=1
	s_delay_alu instid0(SALU_CYCLE_1) | instskip(SKIP_2) | instid1(VALU_DEP_1)
	s_or_b32 exec_lo, exec_lo, s23
	v_lshrrev_b16 v35, 8, v18
	s_mov_b32 s23, exec_lo
	v_cmpx_ne_u16_e32 0, v35
	s_cbranch_execz .LBB327_639
; %bb.632:                              ;   in Loop: Header=BB327_532 Depth=1
	v_bfrev_b32_e32 v34, 1
	s_mov_b32 s24, exec_lo
	v_cmpx_ne_u16_e32 0x80, v35
	s_cbranch_execz .LBB327_638
; %bb.633:                              ;   in Loop: Header=BB327_532 Depth=1
	v_and_b32_e32 v35, 0xffff, v35
	v_mov_b32_e32 v34, 0x7f800001
	s_mov_b32 s25, exec_lo
	s_delay_alu instid0(VALU_DEP_2) | instskip(NEXT) | instid1(VALU_DEP_1)
	v_and_b32_e32 v57, 0x7f, v35
	v_cmpx_ne_u32_e32 0x7f, v57
	s_cbranch_execz .LBB327_637
; %bb.634:                              ;   in Loop: Header=BB327_532 Depth=1
	v_dual_mov_b32 v35, v19 :: v_dual_bitop2_b32 v34, 7, v35 bitop3:0x40
	v_lshrrev_b32_e32 v51, 3, v57
	s_mov_b32 s36, exec_lo
	v_cmpx_gt_u32_e32 8, v57
; %bb.635:                              ;   in Loop: Header=BB327_532 Depth=1
	s_delay_alu instid0(VALU_DEP_3) | instskip(NEXT) | instid1(VALU_DEP_1)
	v_clz_i32_u32_e32 v51, v34
	v_min_u32_e32 v51, 32, v51
	s_delay_alu instid0(VALU_DEP_1) | instskip(NEXT) | instid1(VALU_DEP_1)
	v_subrev_nc_u32_e32 v57, 28, v51
	v_lshlrev_b64_e32 v[34:35], v57, v[34:35]
	s_delay_alu instid0(VALU_DEP_1)
	v_dual_sub_nc_u32 v51, 29, v51 :: v_dual_bitop2_b32 v34, 7, v34 bitop3:0x40
; %bb.636:                              ;   in Loop: Header=BB327_532 Depth=1
	s_or_b32 exec_lo, exec_lo, s36
	v_lshlrev_b32_e32 v18, 16, v18
	s_delay_alu instid0(VALU_DEP_2) | instskip(NEXT) | instid1(VALU_DEP_3)
	v_lshlrev_b32_e32 v34, 20, v34
	v_lshl_add_u32 v35, v51, 23, 0x3c000000
	s_delay_alu instid0(VALU_DEP_3) | instskip(NEXT) | instid1(VALU_DEP_1)
	v_and_b32_e32 v18, 0x80000000, v18
	v_or3_b32 v34, v34, v18, v35
.LBB327_637:                            ;   in Loop: Header=BB327_532 Depth=1
	s_or_b32 exec_lo, exec_lo, s25
.LBB327_638:                            ;   in Loop: Header=BB327_532 Depth=1
	s_delay_alu instid0(SALU_CYCLE_1)
	s_or_b32 exec_lo, exec_lo, s24
.LBB327_639:                            ;   in Loop: Header=BB327_532 Depth=1
	s_delay_alu instid0(SALU_CYCLE_1) | instskip(SKIP_3) | instid1(VALU_DEP_2)
	s_or_b32 exec_lo, exec_lo, s23
	v_dual_lshrrev_b32 v51, 16, v33 :: v_dual_mov_b32 v35, 0
	v_mov_b32_e32 v59, 0
	s_mov_b32 s23, exec_lo
	v_and_b32_e32 v18, 0xff, v51
	s_delay_alu instid0(VALU_DEP_1)
	v_cmpx_ne_u16_e32 0, v18
	s_cbranch_execz .LBB327_647
; %bb.640:                              ;   in Loop: Header=BB327_532 Depth=1
	v_bfrev_b32_e32 v59, 1
	s_mov_b32 s24, exec_lo
	v_cmpx_ne_u16_e32 0x80, v18
	s_cbranch_execz .LBB327_646
; %bb.641:                              ;   in Loop: Header=BB327_532 Depth=1
	v_bfe_u32 v58, v33, 16, 7
	v_mov_b32_e32 v59, 0x7f800001
	s_mov_b32 s25, exec_lo
	s_delay_alu instid0(VALU_DEP_2)
	v_cmpx_ne_u32_e32 0x7f, v58
	s_cbranch_execz .LBB327_645
; %bb.642:                              ;   in Loop: Header=BB327_532 Depth=1
	v_dual_lshrrev_b32 v57, 3, v58 :: v_dual_bitop2_b32 v18, 7, v51 bitop3:0x40
	s_mov_b32 s36, exec_lo
	v_cmpx_gt_u32_e32 8, v58
; %bb.643:                              ;   in Loop: Header=BB327_532 Depth=1
	s_delay_alu instid0(VALU_DEP_2) | instskip(NEXT) | instid1(VALU_DEP_1)
	v_clz_i32_u32_e32 v57, v18
	v_min_u32_e32 v57, 32, v57
	s_delay_alu instid0(VALU_DEP_1) | instskip(NEXT) | instid1(VALU_DEP_1)
	v_subrev_nc_u32_e32 v58, 28, v57
	v_lshlrev_b64_e32 v[58:59], v58, v[18:19]
	s_delay_alu instid0(VALU_DEP_1)
	v_dual_sub_nc_u32 v57, 29, v57 :: v_dual_bitop2_b32 v18, 7, v58 bitop3:0x40
; %bb.644:                              ;   in Loop: Header=BB327_532 Depth=1
	s_or_b32 exec_lo, exec_lo, s36
	s_delay_alu instid0(VALU_DEP_1) | instskip(NEXT) | instid1(VALU_DEP_2)
	v_dual_lshlrev_b32 v51, 24, v51 :: v_dual_lshlrev_b32 v18, 20, v18
	v_lshl_add_u32 v57, v57, 23, 0x3c000000
	s_delay_alu instid0(VALU_DEP_2) | instskip(NEXT) | instid1(VALU_DEP_1)
	v_and_b32_e32 v51, 0x80000000, v51
	v_or3_b32 v59, v18, v51, v57
.LBB327_645:                            ;   in Loop: Header=BB327_532 Depth=1
	s_or_b32 exec_lo, exec_lo, s25
.LBB327_646:                            ;   in Loop: Header=BB327_532 Depth=1
	s_delay_alu instid0(SALU_CYCLE_1)
	s_or_b32 exec_lo, exec_lo, s24
.LBB327_647:                            ;   in Loop: Header=BB327_532 Depth=1
	s_delay_alu instid0(SALU_CYCLE_1) | instskip(NEXT) | instid1(SALU_CYCLE_1)
	s_or_b32 exec_lo, exec_lo, s23
	s_mov_b32 s23, exec_lo
	v_cmpx_lt_u64_e64 s[8:9], v[32:33]
	s_cbranch_execz .LBB327_655
; %bb.648:                              ;   in Loop: Header=BB327_532 Depth=1
	v_lshrrev_b32_e32 v32, 24, v33
	v_bfrev_b32_e32 v35, 1
	s_mov_b32 s24, exec_lo
	s_delay_alu instid0(VALU_DEP_2)
	v_cmpx_ne_u32_e32 0x80, v32
	s_cbranch_execz .LBB327_654
; %bb.649:                              ;   in Loop: Header=BB327_532 Depth=1
	v_bfe_u32 v51, v33, 24, 7
	v_mov_b32_e32 v35, 0x7f800001
	s_mov_b32 s25, exec_lo
	s_delay_alu instid0(VALU_DEP_2)
	v_cmpx_ne_u32_e32 0x7f, v51
	s_cbranch_execz .LBB327_653
; %bb.650:                              ;   in Loop: Header=BB327_532 Depth=1
	v_dual_lshrrev_b32 v33, 3, v51 :: v_dual_bitop2_b32 v18, 7, v32 bitop3:0x40
	s_mov_b32 s36, exec_lo
	v_cmpx_gt_u32_e32 8, v51
; %bb.651:                              ;   in Loop: Header=BB327_532 Depth=1
	s_delay_alu instid0(VALU_DEP_2) | instskip(NEXT) | instid1(VALU_DEP_1)
	v_clz_i32_u32_e32 v33, v18
	v_min_u32_e32 v33, 32, v33
	s_delay_alu instid0(VALU_DEP_1) | instskip(NEXT) | instid1(VALU_DEP_1)
	v_subrev_nc_u32_e32 v35, 28, v33
	v_lshlrev_b64_e32 v[60:61], v35, v[18:19]
	s_delay_alu instid0(VALU_DEP_1)
	v_dual_sub_nc_u32 v33, 29, v33 :: v_dual_bitop2_b32 v18, 7, v60 bitop3:0x40
; %bb.652:                              ;   in Loop: Header=BB327_532 Depth=1
	s_or_b32 exec_lo, exec_lo, s36
	s_delay_alu instid0(VALU_DEP_1) | instskip(NEXT) | instid1(VALU_DEP_2)
	v_dual_lshlrev_b32 v32, 24, v32 :: v_dual_lshlrev_b32 v18, 20, v18
	v_lshl_add_u32 v33, v33, 23, 0x3c000000
	s_delay_alu instid0(VALU_DEP_2) | instskip(NEXT) | instid1(VALU_DEP_1)
	v_and_b32_e32 v32, 0x80000000, v32
	v_or3_b32 v35, v18, v32, v33
.LBB327_653:                            ;   in Loop: Header=BB327_532 Depth=1
	s_or_b32 exec_lo, exec_lo, s25
.LBB327_654:                            ;   in Loop: Header=BB327_532 Depth=1
	s_delay_alu instid0(SALU_CYCLE_1)
	s_or_b32 exec_lo, exec_lo, s24
.LBB327_655:                            ;   in Loop: Header=BB327_532 Depth=1
	s_delay_alu instid0(SALU_CYCLE_1)
	s_or_b32 exec_lo, exec_lo, s23
	v_fma_mixlo_bf16 v51, s22, v34, 0
	v_fma_mixlo_bf16 v52, s22, v52, 0
	;; [unrolled: 1-line block ×8, first 2 shown]
	s_and_saveexec_b32 s23, s0
	s_cbranch_execz .LBB327_657
; %bb.656:                              ;   in Loop: Header=BB327_532 Depth=1
	v_dual_add_nc_u32 v18, 1, v50 :: v_dual_add_nc_u32 v32, 2, v50
	v_cmp_gt_i32_e64 s1, s34, v50
	s_delay_alu instid0(VALU_DEP_1) | instskip(NEXT) | instid1(VALU_DEP_3)
	v_cndmask_b32_e64 v58, 0, v58, s1
	v_cmp_gt_i32_e64 s1, s34, v18
	s_delay_alu instid0(VALU_DEP_1) | instskip(SKIP_2) | instid1(VALU_DEP_2)
	v_cndmask_b32_e64 v57, 0, v57, s1
	v_cmp_gt_i32_e64 s1, s34, v32
	v_dual_add_nc_u32 v33, 3, v50 :: v_dual_add_nc_u32 v32, 5, v50
	v_cndmask_b32_e64 v56, 0, v56, s1
	s_delay_alu instid0(VALU_DEP_2) | instskip(SKIP_1) | instid1(VALU_DEP_2)
	v_cmp_gt_i32_e64 s1, s34, v33
	v_dual_add_nc_u32 v18, 4, v50 :: v_dual_add_nc_u32 v33, 6, v50
	v_cndmask_b32_e64 v55, 0, v55, s1
	s_delay_alu instid0(VALU_DEP_2) | instskip(NEXT) | instid1(VALU_DEP_1)
	v_cmp_gt_i32_e64 s1, s34, v18
	v_dual_add_nc_u32 v18, 7, v50 :: v_dual_cndmask_b32 v52, 0, v52, s1
	v_cmp_gt_i32_e64 s1, s34, v32
	s_delay_alu instid0(VALU_DEP_1) | instskip(SKIP_1) | instid1(VALU_DEP_1)
	v_cndmask_b32_e64 v51, 0, v51, s1
	v_cmp_gt_i32_e64 s1, s34, v33
	v_cndmask_b32_e64 v53, 0, v53, s1
	v_cmp_gt_i32_e64 s1, s34, v18
	s_delay_alu instid0(VALU_DEP_1)
	v_cndmask_b32_e64 v54, 0, v54, s1
.LBB327_657:                            ;   in Loop: Header=BB327_532 Depth=1
	s_or_b32 exec_lo, exec_lo, s23
	global_load_b64 v[32:33], v[30:31], off offset:512
	v_dual_mov_b32 v60, 0 :: v_dual_mov_b32 v59, 0
	s_mov_b32 s23, exec_lo
	s_wait_loadcnt 0x0
	v_and_b32_e32 v18, 0xff, v32
	s_delay_alu instid0(VALU_DEP_1)
	v_cmpx_ne_u16_e32 0, v18
	s_cbranch_execz .LBB327_663
; %bb.658:                              ;   in Loop: Header=BB327_532 Depth=1
	v_bfrev_b32_e32 v59, 1
	s_mov_b32 s24, exec_lo
	v_cmpx_ne_u16_e32 0x80, v18
	s_cbranch_execz .LBB327_662
; %bb.659:                              ;   in Loop: Header=BB327_532 Depth=1
	v_and_b32_e32 v18, 0x7f, v32
	v_mov_b32_e32 v59, 0x7f800001
	s_mov_b32 s25, exec_lo
	s_delay_alu instid0(VALU_DEP_2)
	v_cmpx_ne_u32_e32 0x7f, v18
	s_cbranch_execz .LBB327_661
; %bb.660:                              ;   in Loop: Header=BB327_532 Depth=1
	v_dual_lshrrev_b32 v35, 3, v18 :: v_dual_bitop2_b32 v34, 7, v32 bitop3:0x40
	v_cmp_gt_u32_e64 s1, 8, v18
	s_delay_alu instid0(VALU_DEP_2) | instskip(NEXT) | instid1(VALU_DEP_1)
	v_clz_i32_u32_e32 v34, v34
	v_min_u32_e32 v34, 32, v34
	s_delay_alu instid0(VALU_DEP_1) | instskip(SKIP_1) | instid1(VALU_DEP_1)
	v_subrev_nc_u32_e32 v59, 28, v34
	v_sub_nc_u32_e32 v34, 29, v34
	v_dual_cndmask_b32 v18, v35, v34, s1 :: v_dual_cndmask_b32 v34, 0, v59, s1
	s_delay_alu instid0(VALU_DEP_1) | instskip(NEXT) | instid1(VALU_DEP_2)
	v_lshl_add_u32 v18, v18, 23, 0x3c000000
	v_lshlrev_b64_e32 v[34:35], v34, v[32:33]
	v_lshlrev_b32_e32 v35, 24, v32
	s_delay_alu instid0(VALU_DEP_1) | instskip(NEXT) | instid1(VALU_DEP_3)
	v_and_b32_e32 v35, 0x80000000, v35
	v_lshlrev_b32_e32 v34, 20, v34
	s_delay_alu instid0(VALU_DEP_1) | instskip(NEXT) | instid1(VALU_DEP_1)
	v_and_b32_e32 v34, 0x700000, v34
	v_or3_b32 v59, v34, v35, v18
.LBB327_661:                            ;   in Loop: Header=BB327_532 Depth=1
	s_or_b32 exec_lo, exec_lo, s25
.LBB327_662:                            ;   in Loop: Header=BB327_532 Depth=1
	s_delay_alu instid0(SALU_CYCLE_1)
	s_or_b32 exec_lo, exec_lo, s24
.LBB327_663:                            ;   in Loop: Header=BB327_532 Depth=1
	s_delay_alu instid0(SALU_CYCLE_1) | instskip(SKIP_2) | instid1(VALU_DEP_1)
	s_or_b32 exec_lo, exec_lo, s23
	v_lshrrev_b16 v18, 8, v32
	s_mov_b32 s23, exec_lo
	v_cmpx_ne_u16_e32 0, v18
	s_cbranch_execz .LBB327_671
; %bb.664:                              ;   in Loop: Header=BB327_532 Depth=1
	v_bfrev_b32_e32 v60, 1
	s_mov_b32 s24, exec_lo
	v_cmpx_ne_u16_e32 0x80, v18
	s_cbranch_execz .LBB327_670
; %bb.665:                              ;   in Loop: Header=BB327_532 Depth=1
	v_and_b32_e32 v18, 0xffff, v18
	v_mov_b32_e32 v60, 0x7f800001
	s_mov_b32 s25, exec_lo
	s_delay_alu instid0(VALU_DEP_2) | instskip(NEXT) | instid1(VALU_DEP_1)
	v_and_b32_e32 v35, 0x7f, v18
	v_cmpx_ne_u32_e32 0x7f, v35
	s_cbranch_execz .LBB327_669
; %bb.666:                              ;   in Loop: Header=BB327_532 Depth=1
	v_dual_lshrrev_b32 v34, 3, v35 :: v_dual_bitop2_b32 v18, 7, v18 bitop3:0x40
	s_mov_b32 s36, exec_lo
	v_cmpx_gt_u32_e32 8, v35
; %bb.667:                              ;   in Loop: Header=BB327_532 Depth=1
	s_delay_alu instid0(VALU_DEP_2) | instskip(NEXT) | instid1(VALU_DEP_1)
	v_clz_i32_u32_e32 v34, v18
	v_min_u32_e32 v34, 32, v34
	s_delay_alu instid0(VALU_DEP_1) | instskip(NEXT) | instid1(VALU_DEP_1)
	v_subrev_nc_u32_e32 v35, 28, v34
	v_lshlrev_b64_e32 v[60:61], v35, v[18:19]
	s_delay_alu instid0(VALU_DEP_1)
	v_dual_sub_nc_u32 v34, 29, v34 :: v_dual_bitop2_b32 v18, 7, v60 bitop3:0x40
; %bb.668:                              ;   in Loop: Header=BB327_532 Depth=1
	s_or_b32 exec_lo, exec_lo, s36
	s_delay_alu instid0(VALU_DEP_1) | instskip(NEXT) | instid1(VALU_DEP_2)
	v_dual_lshlrev_b32 v35, 16, v32 :: v_dual_lshlrev_b32 v18, 20, v18
	v_lshl_add_u32 v34, v34, 23, 0x3c000000
	s_delay_alu instid0(VALU_DEP_2) | instskip(NEXT) | instid1(VALU_DEP_1)
	v_and_b32_e32 v35, 0x80000000, v35
	v_or3_b32 v60, v18, v35, v34
.LBB327_669:                            ;   in Loop: Header=BB327_532 Depth=1
	s_or_b32 exec_lo, exec_lo, s25
.LBB327_670:                            ;   in Loop: Header=BB327_532 Depth=1
	s_delay_alu instid0(SALU_CYCLE_1)
	s_or_b32 exec_lo, exec_lo, s24
.LBB327_671:                            ;   in Loop: Header=BB327_532 Depth=1
	s_delay_alu instid0(SALU_CYCLE_1) | instskip(SKIP_3) | instid1(VALU_DEP_2)
	s_or_b32 exec_lo, exec_lo, s23
	v_dual_mov_b32 v63, 0 :: v_dual_lshrrev_b32 v34, 16, v32
	v_mov_b32_e32 v64, 0
	s_mov_b32 s23, exec_lo
	v_and_b32_e32 v18, 0xff, v34
	s_delay_alu instid0(VALU_DEP_1)
	v_cmpx_ne_u16_e32 0, v18
	s_cbranch_execz .LBB327_679
; %bb.672:                              ;   in Loop: Header=BB327_532 Depth=1
	v_bfrev_b32_e32 v64, 1
	s_mov_b32 s24, exec_lo
	v_cmpx_ne_u16_e32 0x80, v18
	s_cbranch_execz .LBB327_678
; %bb.673:                              ;   in Loop: Header=BB327_532 Depth=1
	v_bfe_u32 v61, v32, 16, 7
	v_mov_b32_e32 v64, 0x7f800001
	s_mov_b32 s25, exec_lo
	s_delay_alu instid0(VALU_DEP_2)
	v_cmpx_ne_u32_e32 0x7f, v61
	s_cbranch_execz .LBB327_677
; %bb.674:                              ;   in Loop: Header=BB327_532 Depth=1
	v_dual_lshrrev_b32 v35, 3, v61 :: v_dual_bitop2_b32 v18, 7, v34 bitop3:0x40
	s_mov_b32 s36, exec_lo
	v_cmpx_gt_u32_e32 8, v61
; %bb.675:                              ;   in Loop: Header=BB327_532 Depth=1
	s_delay_alu instid0(VALU_DEP_2) | instskip(NEXT) | instid1(VALU_DEP_1)
	v_clz_i32_u32_e32 v35, v18
	v_min_u32_e32 v35, 32, v35
	s_delay_alu instid0(VALU_DEP_1) | instskip(NEXT) | instid1(VALU_DEP_1)
	v_subrev_nc_u32_e32 v61, 28, v35
	v_lshlrev_b64_e32 v[64:65], v61, v[18:19]
	s_delay_alu instid0(VALU_DEP_1)
	v_dual_sub_nc_u32 v35, 29, v35 :: v_dual_bitop2_b32 v18, 7, v64 bitop3:0x40
; %bb.676:                              ;   in Loop: Header=BB327_532 Depth=1
	s_or_b32 exec_lo, exec_lo, s36
	v_lshlrev_b32_e32 v34, 24, v34
	s_delay_alu instid0(VALU_DEP_2) | instskip(NEXT) | instid1(VALU_DEP_3)
	v_lshlrev_b32_e32 v18, 20, v18
	v_lshl_add_u32 v35, v35, 23, 0x3c000000
	s_delay_alu instid0(VALU_DEP_3) | instskip(NEXT) | instid1(VALU_DEP_1)
	v_and_b32_e32 v34, 0x80000000, v34
	v_or3_b32 v64, v18, v34, v35
.LBB327_677:                            ;   in Loop: Header=BB327_532 Depth=1
	s_or_b32 exec_lo, exec_lo, s25
.LBB327_678:                            ;   in Loop: Header=BB327_532 Depth=1
	s_delay_alu instid0(SALU_CYCLE_1)
	s_or_b32 exec_lo, exec_lo, s24
.LBB327_679:                            ;   in Loop: Header=BB327_532 Depth=1
	s_delay_alu instid0(SALU_CYCLE_1) | instskip(NEXT) | instid1(SALU_CYCLE_1)
	s_or_b32 exec_lo, exec_lo, s23
	s_mov_b32 s23, exec_lo
	v_cmpx_lt_u32_e32 0xffffff, v32
	s_cbranch_execz .LBB327_687
; %bb.680:                              ;   in Loop: Header=BB327_532 Depth=1
	v_lshrrev_b32_e32 v34, 24, v32
	v_bfrev_b32_e32 v63, 1
	s_mov_b32 s24, exec_lo
	s_delay_alu instid0(VALU_DEP_2)
	v_cmpx_ne_u32_e32 0x80, v34
	s_cbranch_execz .LBB327_686
; %bb.681:                              ;   in Loop: Header=BB327_532 Depth=1
	v_bfe_u32 v61, v32, 24, 7
	v_mov_b32_e32 v63, 0x7f800001
	s_mov_b32 s25, exec_lo
	s_delay_alu instid0(VALU_DEP_2)
	v_cmpx_ne_u32_e32 0x7f, v61
	s_cbranch_execz .LBB327_685
; %bb.682:                              ;   in Loop: Header=BB327_532 Depth=1
	v_dual_lshrrev_b32 v35, 3, v61 :: v_dual_bitop2_b32 v18, 7, v34 bitop3:0x40
	s_mov_b32 s36, exec_lo
	v_cmpx_gt_u32_e32 8, v61
; %bb.683:                              ;   in Loop: Header=BB327_532 Depth=1
	s_delay_alu instid0(VALU_DEP_2) | instskip(NEXT) | instid1(VALU_DEP_1)
	v_clz_i32_u32_e32 v35, v18
	v_min_u32_e32 v35, 32, v35
	s_delay_alu instid0(VALU_DEP_1) | instskip(NEXT) | instid1(VALU_DEP_1)
	v_subrev_nc_u32_e32 v61, 28, v35
	v_lshlrev_b64_e32 v[62:63], v61, v[18:19]
	s_delay_alu instid0(VALU_DEP_1)
	v_dual_sub_nc_u32 v35, 29, v35 :: v_dual_bitop2_b32 v18, 7, v62 bitop3:0x40
; %bb.684:                              ;   in Loop: Header=BB327_532 Depth=1
	s_or_b32 exec_lo, exec_lo, s36
	v_lshlrev_b32_e32 v34, 24, v34
	s_delay_alu instid0(VALU_DEP_2) | instskip(NEXT) | instid1(VALU_DEP_3)
	v_lshlrev_b32_e32 v18, 20, v18
	v_lshl_add_u32 v35, v35, 23, 0x3c000000
	s_delay_alu instid0(VALU_DEP_3) | instskip(NEXT) | instid1(VALU_DEP_1)
	v_and_b32_e32 v34, 0x80000000, v34
	v_or3_b32 v63, v18, v34, v35
.LBB327_685:                            ;   in Loop: Header=BB327_532 Depth=1
	s_or_b32 exec_lo, exec_lo, s25
.LBB327_686:                            ;   in Loop: Header=BB327_532 Depth=1
	s_delay_alu instid0(SALU_CYCLE_1)
	s_or_b32 exec_lo, exec_lo, s24
.LBB327_687:                            ;   in Loop: Header=BB327_532 Depth=1
	s_delay_alu instid0(SALU_CYCLE_1) | instskip(SKIP_4) | instid1(VALU_DEP_3)
	s_or_b32 exec_lo, exec_lo, s23
	v_and_b32_e32 v35, 0xff, v33
	v_dual_mov_b32 v18, v33 :: v_dual_mov_b32 v34, 0
	v_mov_b32_e32 v62, 0
	s_mov_b32 s23, exec_lo
	v_cmpx_ne_u16_e32 0, v35
	s_cbranch_execz .LBB327_693
; %bb.688:                              ;   in Loop: Header=BB327_532 Depth=1
	v_bfrev_b32_e32 v62, 1
	s_mov_b32 s24, exec_lo
	v_cmpx_ne_u16_e32 0x80, v35
	s_cbranch_execz .LBB327_692
; %bb.689:                              ;   in Loop: Header=BB327_532 Depth=1
	v_and_b32_e32 v35, 0x7f, v33
	v_mov_b32_e32 v62, 0x7f800001
	s_mov_b32 s25, exec_lo
	s_delay_alu instid0(VALU_DEP_2)
	v_cmpx_ne_u32_e32 0x7f, v35
	s_cbranch_execz .LBB327_691
; %bb.690:                              ;   in Loop: Header=BB327_532 Depth=1
	v_dual_lshrrev_b32 v62, 3, v35 :: v_dual_bitop2_b32 v61, 7, v33 bitop3:0x40
	v_cmp_gt_u32_e64 s1, 8, v35
	s_delay_alu instid0(VALU_DEP_2) | instskip(NEXT) | instid1(VALU_DEP_1)
	v_clz_i32_u32_e32 v61, v61
	v_min_u32_e32 v61, 32, v61
	s_delay_alu instid0(VALU_DEP_1) | instskip(SKIP_1) | instid1(VALU_DEP_1)
	v_subrev_nc_u32_e32 v65, 28, v61
	v_sub_nc_u32_e32 v61, 29, v61
	v_cndmask_b32_e64 v35, v62, v61, s1
	s_delay_alu instid0(VALU_DEP_3) | instskip(NEXT) | instid1(VALU_DEP_1)
	v_cndmask_b32_e64 v61, 0, v65, s1
	v_lshlrev_b64_e32 v[66:67], v61, v[18:19]
	v_lshlrev_b32_e32 v61, 24, v18
	s_delay_alu instid0(VALU_DEP_4) | instskip(NEXT) | instid1(VALU_DEP_2)
	v_lshl_add_u32 v35, v35, 23, 0x3c000000
	v_and_b32_e32 v61, 0x80000000, v61
	s_delay_alu instid0(VALU_DEP_4) | instskip(NEXT) | instid1(VALU_DEP_1)
	v_lshlrev_b32_e32 v62, 20, v66
	v_and_b32_e32 v62, 0x700000, v62
	s_delay_alu instid0(VALU_DEP_1)
	v_or3_b32 v62, v62, v61, v35
.LBB327_691:                            ;   in Loop: Header=BB327_532 Depth=1
	s_or_b32 exec_lo, exec_lo, s25
.LBB327_692:                            ;   in Loop: Header=BB327_532 Depth=1
	s_delay_alu instid0(SALU_CYCLE_1)
	s_or_b32 exec_lo, exec_lo, s24
.LBB327_693:                            ;   in Loop: Header=BB327_532 Depth=1
	s_delay_alu instid0(SALU_CYCLE_1) | instskip(SKIP_2) | instid1(VALU_DEP_1)
	s_or_b32 exec_lo, exec_lo, s23
	v_lshrrev_b16 v35, 8, v18
	s_mov_b32 s23, exec_lo
	v_cmpx_ne_u16_e32 0, v35
	s_cbranch_execz .LBB327_701
; %bb.694:                              ;   in Loop: Header=BB327_532 Depth=1
	v_bfrev_b32_e32 v34, 1
	s_mov_b32 s24, exec_lo
	v_cmpx_ne_u16_e32 0x80, v35
	s_cbranch_execz .LBB327_700
; %bb.695:                              ;   in Loop: Header=BB327_532 Depth=1
	v_and_b32_e32 v35, 0xffff, v35
	v_mov_b32_e32 v34, 0x7f800001
	s_mov_b32 s25, exec_lo
	s_delay_alu instid0(VALU_DEP_2) | instskip(NEXT) | instid1(VALU_DEP_1)
	v_and_b32_e32 v65, 0x7f, v35
	v_cmpx_ne_u32_e32 0x7f, v65
	s_cbranch_execz .LBB327_699
; %bb.696:                              ;   in Loop: Header=BB327_532 Depth=1
	v_dual_mov_b32 v35, v19 :: v_dual_bitop2_b32 v34, 7, v35 bitop3:0x40
	v_lshrrev_b32_e32 v61, 3, v65
	s_mov_b32 s36, exec_lo
	v_cmpx_gt_u32_e32 8, v65
; %bb.697:                              ;   in Loop: Header=BB327_532 Depth=1
	s_delay_alu instid0(VALU_DEP_3) | instskip(NEXT) | instid1(VALU_DEP_1)
	v_clz_i32_u32_e32 v61, v34
	v_min_u32_e32 v61, 32, v61
	s_delay_alu instid0(VALU_DEP_1) | instskip(NEXT) | instid1(VALU_DEP_1)
	v_subrev_nc_u32_e32 v65, 28, v61
	v_lshlrev_b64_e32 v[34:35], v65, v[34:35]
	s_delay_alu instid0(VALU_DEP_1)
	v_dual_sub_nc_u32 v61, 29, v61 :: v_dual_bitop2_b32 v34, 7, v34 bitop3:0x40
; %bb.698:                              ;   in Loop: Header=BB327_532 Depth=1
	s_or_b32 exec_lo, exec_lo, s36
	v_lshlrev_b32_e32 v18, 16, v18
	s_delay_alu instid0(VALU_DEP_2) | instskip(NEXT) | instid1(VALU_DEP_3)
	v_lshlrev_b32_e32 v34, 20, v34
	v_lshl_add_u32 v35, v61, 23, 0x3c000000
	s_delay_alu instid0(VALU_DEP_3) | instskip(NEXT) | instid1(VALU_DEP_1)
	v_and_b32_e32 v18, 0x80000000, v18
	v_or3_b32 v34, v34, v18, v35
.LBB327_699:                            ;   in Loop: Header=BB327_532 Depth=1
	s_or_b32 exec_lo, exec_lo, s25
.LBB327_700:                            ;   in Loop: Header=BB327_532 Depth=1
	s_delay_alu instid0(SALU_CYCLE_1)
	s_or_b32 exec_lo, exec_lo, s24
.LBB327_701:                            ;   in Loop: Header=BB327_532 Depth=1
	s_delay_alu instid0(SALU_CYCLE_1) | instskip(SKIP_3) | instid1(VALU_DEP_2)
	s_or_b32 exec_lo, exec_lo, s23
	v_dual_lshrrev_b32 v61, 16, v33 :: v_dual_mov_b32 v35, 0
	v_mov_b32_e32 v67, 0
	s_mov_b32 s23, exec_lo
	v_and_b32_e32 v18, 0xff, v61
	s_delay_alu instid0(VALU_DEP_1)
	v_cmpx_ne_u16_e32 0, v18
	s_cbranch_execz .LBB327_709
; %bb.702:                              ;   in Loop: Header=BB327_532 Depth=1
	v_bfrev_b32_e32 v67, 1
	s_mov_b32 s24, exec_lo
	v_cmpx_ne_u16_e32 0x80, v18
	s_cbranch_execz .LBB327_708
; %bb.703:                              ;   in Loop: Header=BB327_532 Depth=1
	v_bfe_u32 v66, v33, 16, 7
	v_mov_b32_e32 v67, 0x7f800001
	s_mov_b32 s25, exec_lo
	s_delay_alu instid0(VALU_DEP_2)
	v_cmpx_ne_u32_e32 0x7f, v66
	s_cbranch_execz .LBB327_707
; %bb.704:                              ;   in Loop: Header=BB327_532 Depth=1
	v_dual_lshrrev_b32 v65, 3, v66 :: v_dual_bitop2_b32 v18, 7, v61 bitop3:0x40
	s_mov_b32 s36, exec_lo
	v_cmpx_gt_u32_e32 8, v66
; %bb.705:                              ;   in Loop: Header=BB327_532 Depth=1
	s_delay_alu instid0(VALU_DEP_2) | instskip(NEXT) | instid1(VALU_DEP_1)
	v_clz_i32_u32_e32 v65, v18
	v_min_u32_e32 v65, 32, v65
	s_delay_alu instid0(VALU_DEP_1) | instskip(NEXT) | instid1(VALU_DEP_1)
	v_subrev_nc_u32_e32 v66, 28, v65
	v_lshlrev_b64_e32 v[66:67], v66, v[18:19]
	s_delay_alu instid0(VALU_DEP_1)
	v_dual_sub_nc_u32 v65, 29, v65 :: v_dual_bitop2_b32 v18, 7, v66 bitop3:0x40
; %bb.706:                              ;   in Loop: Header=BB327_532 Depth=1
	s_or_b32 exec_lo, exec_lo, s36
	s_delay_alu instid0(VALU_DEP_1) | instskip(NEXT) | instid1(VALU_DEP_2)
	v_dual_lshlrev_b32 v61, 24, v61 :: v_dual_lshlrev_b32 v18, 20, v18
	v_lshl_add_u32 v65, v65, 23, 0x3c000000
	s_delay_alu instid0(VALU_DEP_2) | instskip(NEXT) | instid1(VALU_DEP_1)
	v_and_b32_e32 v61, 0x80000000, v61
	v_or3_b32 v67, v18, v61, v65
.LBB327_707:                            ;   in Loop: Header=BB327_532 Depth=1
	s_or_b32 exec_lo, exec_lo, s25
.LBB327_708:                            ;   in Loop: Header=BB327_532 Depth=1
	s_delay_alu instid0(SALU_CYCLE_1)
	s_or_b32 exec_lo, exec_lo, s24
.LBB327_709:                            ;   in Loop: Header=BB327_532 Depth=1
	s_delay_alu instid0(SALU_CYCLE_1) | instskip(NEXT) | instid1(SALU_CYCLE_1)
	s_or_b32 exec_lo, exec_lo, s23
	s_mov_b32 s23, exec_lo
	v_cmpx_lt_u64_e64 s[8:9], v[32:33]
	s_cbranch_execz .LBB327_717
; %bb.710:                              ;   in Loop: Header=BB327_532 Depth=1
	v_lshrrev_b32_e32 v32, 24, v33
	v_bfrev_b32_e32 v35, 1
	s_mov_b32 s24, exec_lo
	s_delay_alu instid0(VALU_DEP_2)
	v_cmpx_ne_u32_e32 0x80, v32
	s_cbranch_execz .LBB327_716
; %bb.711:                              ;   in Loop: Header=BB327_532 Depth=1
	v_bfe_u32 v61, v33, 24, 7
	v_mov_b32_e32 v35, 0x7f800001
	s_mov_b32 s25, exec_lo
	s_delay_alu instid0(VALU_DEP_2)
	v_cmpx_ne_u32_e32 0x7f, v61
	s_cbranch_execz .LBB327_715
; %bb.712:                              ;   in Loop: Header=BB327_532 Depth=1
	v_dual_lshrrev_b32 v33, 3, v61 :: v_dual_bitop2_b32 v18, 7, v32 bitop3:0x40
	s_mov_b32 s36, exec_lo
	v_cmpx_gt_u32_e32 8, v61
; %bb.713:                              ;   in Loop: Header=BB327_532 Depth=1
	s_delay_alu instid0(VALU_DEP_2) | instskip(NEXT) | instid1(VALU_DEP_1)
	v_clz_i32_u32_e32 v33, v18
	v_min_u32_e32 v33, 32, v33
	s_delay_alu instid0(VALU_DEP_1) | instskip(NEXT) | instid1(VALU_DEP_1)
	v_subrev_nc_u32_e32 v35, 28, v33
	v_lshlrev_b64_e32 v[68:69], v35, v[18:19]
	s_delay_alu instid0(VALU_DEP_1)
	v_dual_sub_nc_u32 v33, 29, v33 :: v_dual_bitop2_b32 v18, 7, v68 bitop3:0x40
; %bb.714:                              ;   in Loop: Header=BB327_532 Depth=1
	s_or_b32 exec_lo, exec_lo, s36
	s_delay_alu instid0(VALU_DEP_1) | instskip(NEXT) | instid1(VALU_DEP_2)
	v_dual_lshlrev_b32 v32, 24, v32 :: v_dual_lshlrev_b32 v18, 20, v18
	v_lshl_add_u32 v33, v33, 23, 0x3c000000
	s_delay_alu instid0(VALU_DEP_2) | instskip(NEXT) | instid1(VALU_DEP_1)
	v_and_b32_e32 v32, 0x80000000, v32
	v_or3_b32 v35, v18, v32, v33
.LBB327_715:                            ;   in Loop: Header=BB327_532 Depth=1
	s_or_b32 exec_lo, exec_lo, s25
.LBB327_716:                            ;   in Loop: Header=BB327_532 Depth=1
	s_delay_alu instid0(SALU_CYCLE_1)
	s_or_b32 exec_lo, exec_lo, s24
.LBB327_717:                            ;   in Loop: Header=BB327_532 Depth=1
	s_delay_alu instid0(SALU_CYCLE_1)
	s_or_b32 exec_lo, exec_lo, s23
	v_fma_mixlo_bf16 v61, s22, v34, 0
	v_fma_mixlo_bf16 v62, s22, v62, 0
	;; [unrolled: 1-line block ×8, first 2 shown]
	s_and_saveexec_b32 s23, s0
	s_cbranch_execz .LBB327_719
; %bb.718:                              ;   in Loop: Header=BB327_532 Depth=1
	v_dual_add_nc_u32 v18, 1, v50 :: v_dual_add_nc_u32 v32, 2, v50
	v_cmp_gt_i32_e64 s1, s34, v50
	s_delay_alu instid0(VALU_DEP_1) | instskip(NEXT) | instid1(VALU_DEP_3)
	v_cndmask_b32_e64 v66, 0, v66, s1
	v_cmp_gt_i32_e64 s1, s34, v18
	s_delay_alu instid0(VALU_DEP_1) | instskip(SKIP_2) | instid1(VALU_DEP_2)
	v_cndmask_b32_e64 v65, 0, v65, s1
	v_cmp_gt_i32_e64 s1, s34, v32
	v_dual_add_nc_u32 v33, 3, v50 :: v_dual_add_nc_u32 v32, 5, v50
	v_cndmask_b32_e64 v64, 0, v64, s1
	s_delay_alu instid0(VALU_DEP_2) | instskip(SKIP_1) | instid1(VALU_DEP_2)
	v_cmp_gt_i32_e64 s1, s34, v33
	v_dual_add_nc_u32 v18, 4, v50 :: v_dual_add_nc_u32 v33, 6, v50
	v_cndmask_b32_e64 v63, 0, v63, s1
	s_delay_alu instid0(VALU_DEP_2) | instskip(NEXT) | instid1(VALU_DEP_1)
	v_cmp_gt_i32_e64 s1, s34, v18
	v_cndmask_b32_e64 v62, 0, v62, s1
	v_cmp_gt_i32_e64 s1, s34, v32
	s_delay_alu instid0(VALU_DEP_1) | instskip(SKIP_1) | instid1(VALU_DEP_1)
	v_cndmask_b32_e64 v61, 0, v61, s1
	v_cmp_gt_i32_e64 s1, s34, v33
	v_dual_add_nc_u32 v18, 7, v50 :: v_dual_cndmask_b32 v59, 0, v59, s1
	s_delay_alu instid0(VALU_DEP_1) | instskip(NEXT) | instid1(VALU_DEP_1)
	v_cmp_gt_i32_e64 s1, s34, v18
	v_cndmask_b32_e64 v60, 0, v60, s1
.LBB327_719:                            ;   in Loop: Header=BB327_532 Depth=1
	s_or_b32 exec_lo, exec_lo, s23
	global_load_b64 v[32:33], v[30:31], off offset:768
	v_dual_mov_b32 v68, 0 :: v_dual_mov_b32 v67, 0
	s_mov_b32 s23, exec_lo
	s_wait_loadcnt 0x0
	v_and_b32_e32 v18, 0xff, v32
	s_delay_alu instid0(VALU_DEP_1)
	v_cmpx_ne_u16_e32 0, v18
	s_cbranch_execz .LBB327_725
; %bb.720:                              ;   in Loop: Header=BB327_532 Depth=1
	v_bfrev_b32_e32 v67, 1
	s_mov_b32 s24, exec_lo
	v_cmpx_ne_u16_e32 0x80, v18
	s_cbranch_execz .LBB327_724
; %bb.721:                              ;   in Loop: Header=BB327_532 Depth=1
	v_and_b32_e32 v18, 0x7f, v32
	v_mov_b32_e32 v67, 0x7f800001
	s_mov_b32 s25, exec_lo
	s_delay_alu instid0(VALU_DEP_2)
	v_cmpx_ne_u32_e32 0x7f, v18
	s_cbranch_execz .LBB327_723
; %bb.722:                              ;   in Loop: Header=BB327_532 Depth=1
	v_dual_lshrrev_b32 v35, 3, v18 :: v_dual_bitop2_b32 v34, 7, v32 bitop3:0x40
	v_cmp_gt_u32_e64 s1, 8, v18
	s_delay_alu instid0(VALU_DEP_2) | instskip(NEXT) | instid1(VALU_DEP_1)
	v_clz_i32_u32_e32 v34, v34
	v_min_u32_e32 v34, 32, v34
	s_delay_alu instid0(VALU_DEP_1) | instskip(SKIP_1) | instid1(VALU_DEP_1)
	v_subrev_nc_u32_e32 v67, 28, v34
	v_sub_nc_u32_e32 v34, 29, v34
	v_dual_cndmask_b32 v18, v35, v34, s1 :: v_dual_cndmask_b32 v34, 0, v67, s1
	s_delay_alu instid0(VALU_DEP_1) | instskip(NEXT) | instid1(VALU_DEP_2)
	v_lshl_add_u32 v18, v18, 23, 0x3c000000
	v_lshlrev_b64_e32 v[34:35], v34, v[32:33]
	v_lshlrev_b32_e32 v35, 24, v32
	s_delay_alu instid0(VALU_DEP_1) | instskip(NEXT) | instid1(VALU_DEP_3)
	v_and_b32_e32 v35, 0x80000000, v35
	v_lshlrev_b32_e32 v34, 20, v34
	s_delay_alu instid0(VALU_DEP_1) | instskip(NEXT) | instid1(VALU_DEP_1)
	v_and_b32_e32 v34, 0x700000, v34
	v_or3_b32 v67, v34, v35, v18
.LBB327_723:                            ;   in Loop: Header=BB327_532 Depth=1
	s_or_b32 exec_lo, exec_lo, s25
.LBB327_724:                            ;   in Loop: Header=BB327_532 Depth=1
	s_delay_alu instid0(SALU_CYCLE_1)
	s_or_b32 exec_lo, exec_lo, s24
.LBB327_725:                            ;   in Loop: Header=BB327_532 Depth=1
	s_delay_alu instid0(SALU_CYCLE_1) | instskip(SKIP_2) | instid1(VALU_DEP_1)
	s_or_b32 exec_lo, exec_lo, s23
	v_lshrrev_b16 v18, 8, v32
	s_mov_b32 s23, exec_lo
	v_cmpx_ne_u16_e32 0, v18
	s_cbranch_execz .LBB327_733
; %bb.726:                              ;   in Loop: Header=BB327_532 Depth=1
	v_bfrev_b32_e32 v68, 1
	s_mov_b32 s24, exec_lo
	v_cmpx_ne_u16_e32 0x80, v18
	s_cbranch_execz .LBB327_732
; %bb.727:                              ;   in Loop: Header=BB327_532 Depth=1
	v_and_b32_e32 v18, 0xffff, v18
	v_mov_b32_e32 v68, 0x7f800001
	s_mov_b32 s25, exec_lo
	s_delay_alu instid0(VALU_DEP_2) | instskip(NEXT) | instid1(VALU_DEP_1)
	v_and_b32_e32 v35, 0x7f, v18
	v_cmpx_ne_u32_e32 0x7f, v35
	s_cbranch_execz .LBB327_731
; %bb.728:                              ;   in Loop: Header=BB327_532 Depth=1
	v_dual_lshrrev_b32 v34, 3, v35 :: v_dual_bitop2_b32 v18, 7, v18 bitop3:0x40
	s_mov_b32 s36, exec_lo
	v_cmpx_gt_u32_e32 8, v35
; %bb.729:                              ;   in Loop: Header=BB327_532 Depth=1
	s_delay_alu instid0(VALU_DEP_2) | instskip(NEXT) | instid1(VALU_DEP_1)
	v_clz_i32_u32_e32 v34, v18
	v_min_u32_e32 v34, 32, v34
	s_delay_alu instid0(VALU_DEP_1) | instskip(NEXT) | instid1(VALU_DEP_1)
	v_subrev_nc_u32_e32 v35, 28, v34
	v_lshlrev_b64_e32 v[68:69], v35, v[18:19]
	s_delay_alu instid0(VALU_DEP_1)
	v_dual_sub_nc_u32 v34, 29, v34 :: v_dual_bitop2_b32 v18, 7, v68 bitop3:0x40
; %bb.730:                              ;   in Loop: Header=BB327_532 Depth=1
	s_or_b32 exec_lo, exec_lo, s36
	s_delay_alu instid0(VALU_DEP_1) | instskip(NEXT) | instid1(VALU_DEP_2)
	v_dual_lshlrev_b32 v35, 16, v32 :: v_dual_lshlrev_b32 v18, 20, v18
	v_lshl_add_u32 v34, v34, 23, 0x3c000000
	s_delay_alu instid0(VALU_DEP_2) | instskip(NEXT) | instid1(VALU_DEP_1)
	v_and_b32_e32 v35, 0x80000000, v35
	v_or3_b32 v68, v18, v35, v34
.LBB327_731:                            ;   in Loop: Header=BB327_532 Depth=1
	s_or_b32 exec_lo, exec_lo, s25
.LBB327_732:                            ;   in Loop: Header=BB327_532 Depth=1
	s_delay_alu instid0(SALU_CYCLE_1)
	s_or_b32 exec_lo, exec_lo, s24
.LBB327_733:                            ;   in Loop: Header=BB327_532 Depth=1
	s_delay_alu instid0(SALU_CYCLE_1) | instskip(SKIP_3) | instid1(VALU_DEP_2)
	s_or_b32 exec_lo, exec_lo, s23
	v_dual_mov_b32 v71, 0 :: v_dual_lshrrev_b32 v34, 16, v32
	v_mov_b32_e32 v72, 0
	s_mov_b32 s23, exec_lo
	v_and_b32_e32 v18, 0xff, v34
	s_delay_alu instid0(VALU_DEP_1)
	v_cmpx_ne_u16_e32 0, v18
	s_cbranch_execz .LBB327_741
; %bb.734:                              ;   in Loop: Header=BB327_532 Depth=1
	v_bfrev_b32_e32 v72, 1
	s_mov_b32 s24, exec_lo
	v_cmpx_ne_u16_e32 0x80, v18
	s_cbranch_execz .LBB327_740
; %bb.735:                              ;   in Loop: Header=BB327_532 Depth=1
	v_bfe_u32 v69, v32, 16, 7
	v_mov_b32_e32 v72, 0x7f800001
	s_mov_b32 s25, exec_lo
	s_delay_alu instid0(VALU_DEP_2)
	v_cmpx_ne_u32_e32 0x7f, v69
	s_cbranch_execz .LBB327_739
; %bb.736:                              ;   in Loop: Header=BB327_532 Depth=1
	v_dual_lshrrev_b32 v35, 3, v69 :: v_dual_bitop2_b32 v18, 7, v34 bitop3:0x40
	s_mov_b32 s36, exec_lo
	v_cmpx_gt_u32_e32 8, v69
; %bb.737:                              ;   in Loop: Header=BB327_532 Depth=1
	s_delay_alu instid0(VALU_DEP_2) | instskip(NEXT) | instid1(VALU_DEP_1)
	v_clz_i32_u32_e32 v35, v18
	v_min_u32_e32 v35, 32, v35
	s_delay_alu instid0(VALU_DEP_1) | instskip(NEXT) | instid1(VALU_DEP_1)
	v_subrev_nc_u32_e32 v69, 28, v35
	v_lshlrev_b64_e32 v[72:73], v69, v[18:19]
	s_delay_alu instid0(VALU_DEP_1)
	v_dual_sub_nc_u32 v35, 29, v35 :: v_dual_bitop2_b32 v18, 7, v72 bitop3:0x40
; %bb.738:                              ;   in Loop: Header=BB327_532 Depth=1
	s_or_b32 exec_lo, exec_lo, s36
	v_lshlrev_b32_e32 v34, 24, v34
	s_delay_alu instid0(VALU_DEP_2) | instskip(NEXT) | instid1(VALU_DEP_3)
	v_lshlrev_b32_e32 v18, 20, v18
	v_lshl_add_u32 v35, v35, 23, 0x3c000000
	s_delay_alu instid0(VALU_DEP_3) | instskip(NEXT) | instid1(VALU_DEP_1)
	v_and_b32_e32 v34, 0x80000000, v34
	v_or3_b32 v72, v18, v34, v35
.LBB327_739:                            ;   in Loop: Header=BB327_532 Depth=1
	s_or_b32 exec_lo, exec_lo, s25
.LBB327_740:                            ;   in Loop: Header=BB327_532 Depth=1
	s_delay_alu instid0(SALU_CYCLE_1)
	s_or_b32 exec_lo, exec_lo, s24
.LBB327_741:                            ;   in Loop: Header=BB327_532 Depth=1
	s_delay_alu instid0(SALU_CYCLE_1) | instskip(NEXT) | instid1(SALU_CYCLE_1)
	s_or_b32 exec_lo, exec_lo, s23
	s_mov_b32 s23, exec_lo
	v_cmpx_lt_u32_e32 0xffffff, v32
	s_cbranch_execz .LBB327_749
; %bb.742:                              ;   in Loop: Header=BB327_532 Depth=1
	v_lshrrev_b32_e32 v34, 24, v32
	v_bfrev_b32_e32 v71, 1
	s_mov_b32 s24, exec_lo
	s_delay_alu instid0(VALU_DEP_2)
	v_cmpx_ne_u32_e32 0x80, v34
	s_cbranch_execz .LBB327_748
; %bb.743:                              ;   in Loop: Header=BB327_532 Depth=1
	v_bfe_u32 v69, v32, 24, 7
	v_mov_b32_e32 v71, 0x7f800001
	s_mov_b32 s25, exec_lo
	s_delay_alu instid0(VALU_DEP_2)
	v_cmpx_ne_u32_e32 0x7f, v69
	s_cbranch_execz .LBB327_747
; %bb.744:                              ;   in Loop: Header=BB327_532 Depth=1
	v_dual_lshrrev_b32 v35, 3, v69 :: v_dual_bitop2_b32 v18, 7, v34 bitop3:0x40
	s_mov_b32 s36, exec_lo
	v_cmpx_gt_u32_e32 8, v69
; %bb.745:                              ;   in Loop: Header=BB327_532 Depth=1
	s_delay_alu instid0(VALU_DEP_2) | instskip(NEXT) | instid1(VALU_DEP_1)
	v_clz_i32_u32_e32 v35, v18
	v_min_u32_e32 v35, 32, v35
	s_delay_alu instid0(VALU_DEP_1) | instskip(NEXT) | instid1(VALU_DEP_1)
	v_subrev_nc_u32_e32 v69, 28, v35
	v_lshlrev_b64_e32 v[70:71], v69, v[18:19]
	s_delay_alu instid0(VALU_DEP_1)
	v_dual_sub_nc_u32 v35, 29, v35 :: v_dual_bitop2_b32 v18, 7, v70 bitop3:0x40
; %bb.746:                              ;   in Loop: Header=BB327_532 Depth=1
	s_or_b32 exec_lo, exec_lo, s36
	v_lshlrev_b32_e32 v34, 24, v34
	s_delay_alu instid0(VALU_DEP_2) | instskip(NEXT) | instid1(VALU_DEP_3)
	v_lshlrev_b32_e32 v18, 20, v18
	v_lshl_add_u32 v35, v35, 23, 0x3c000000
	s_delay_alu instid0(VALU_DEP_3) | instskip(NEXT) | instid1(VALU_DEP_1)
	v_and_b32_e32 v34, 0x80000000, v34
	v_or3_b32 v71, v18, v34, v35
.LBB327_747:                            ;   in Loop: Header=BB327_532 Depth=1
	s_or_b32 exec_lo, exec_lo, s25
.LBB327_748:                            ;   in Loop: Header=BB327_532 Depth=1
	s_delay_alu instid0(SALU_CYCLE_1)
	s_or_b32 exec_lo, exec_lo, s24
.LBB327_749:                            ;   in Loop: Header=BB327_532 Depth=1
	s_delay_alu instid0(SALU_CYCLE_1) | instskip(SKIP_4) | instid1(VALU_DEP_3)
	s_or_b32 exec_lo, exec_lo, s23
	v_and_b32_e32 v35, 0xff, v33
	v_dual_mov_b32 v18, v33 :: v_dual_mov_b32 v34, 0
	v_mov_b32_e32 v70, 0
	s_mov_b32 s23, exec_lo
	v_cmpx_ne_u16_e32 0, v35
	s_cbranch_execz .LBB327_755
; %bb.750:                              ;   in Loop: Header=BB327_532 Depth=1
	v_bfrev_b32_e32 v70, 1
	s_mov_b32 s24, exec_lo
	v_cmpx_ne_u16_e32 0x80, v35
	s_cbranch_execz .LBB327_754
; %bb.751:                              ;   in Loop: Header=BB327_532 Depth=1
	v_and_b32_e32 v35, 0x7f, v33
	v_mov_b32_e32 v70, 0x7f800001
	s_mov_b32 s25, exec_lo
	s_delay_alu instid0(VALU_DEP_2)
	v_cmpx_ne_u32_e32 0x7f, v35
	s_cbranch_execz .LBB327_753
; %bb.752:                              ;   in Loop: Header=BB327_532 Depth=1
	v_dual_lshrrev_b32 v70, 3, v35 :: v_dual_bitop2_b32 v69, 7, v33 bitop3:0x40
	v_cmp_gt_u32_e64 s1, 8, v35
	s_delay_alu instid0(VALU_DEP_2) | instskip(NEXT) | instid1(VALU_DEP_1)
	v_clz_i32_u32_e32 v69, v69
	v_min_u32_e32 v69, 32, v69
	s_delay_alu instid0(VALU_DEP_1) | instskip(SKIP_1) | instid1(VALU_DEP_1)
	v_subrev_nc_u32_e32 v73, 28, v69
	v_sub_nc_u32_e32 v69, 29, v69
	v_cndmask_b32_e64 v35, v70, v69, s1
	s_delay_alu instid0(VALU_DEP_3) | instskip(NEXT) | instid1(VALU_DEP_1)
	v_cndmask_b32_e64 v69, 0, v73, s1
	v_lshlrev_b64_e32 v[74:75], v69, v[18:19]
	v_lshlrev_b32_e32 v69, 24, v18
	s_delay_alu instid0(VALU_DEP_4) | instskip(NEXT) | instid1(VALU_DEP_2)
	v_lshl_add_u32 v35, v35, 23, 0x3c000000
	v_and_b32_e32 v69, 0x80000000, v69
	s_delay_alu instid0(VALU_DEP_4) | instskip(NEXT) | instid1(VALU_DEP_1)
	v_lshlrev_b32_e32 v70, 20, v74
	v_and_b32_e32 v70, 0x700000, v70
	s_delay_alu instid0(VALU_DEP_1)
	v_or3_b32 v70, v70, v69, v35
.LBB327_753:                            ;   in Loop: Header=BB327_532 Depth=1
	s_or_b32 exec_lo, exec_lo, s25
.LBB327_754:                            ;   in Loop: Header=BB327_532 Depth=1
	s_delay_alu instid0(SALU_CYCLE_1)
	s_or_b32 exec_lo, exec_lo, s24
.LBB327_755:                            ;   in Loop: Header=BB327_532 Depth=1
	s_delay_alu instid0(SALU_CYCLE_1) | instskip(SKIP_2) | instid1(VALU_DEP_1)
	s_or_b32 exec_lo, exec_lo, s23
	v_lshrrev_b16 v35, 8, v18
	s_mov_b32 s23, exec_lo
	v_cmpx_ne_u16_e32 0, v35
	s_cbranch_execz .LBB327_763
; %bb.756:                              ;   in Loop: Header=BB327_532 Depth=1
	v_bfrev_b32_e32 v34, 1
	s_mov_b32 s24, exec_lo
	v_cmpx_ne_u16_e32 0x80, v35
	s_cbranch_execz .LBB327_762
; %bb.757:                              ;   in Loop: Header=BB327_532 Depth=1
	v_and_b32_e32 v35, 0xffff, v35
	v_mov_b32_e32 v34, 0x7f800001
	s_mov_b32 s25, exec_lo
	s_delay_alu instid0(VALU_DEP_2) | instskip(NEXT) | instid1(VALU_DEP_1)
	v_and_b32_e32 v73, 0x7f, v35
	v_cmpx_ne_u32_e32 0x7f, v73
	s_cbranch_execz .LBB327_761
; %bb.758:                              ;   in Loop: Header=BB327_532 Depth=1
	v_dual_mov_b32 v35, v19 :: v_dual_bitop2_b32 v34, 7, v35 bitop3:0x40
	v_lshrrev_b32_e32 v69, 3, v73
	s_mov_b32 s36, exec_lo
	v_cmpx_gt_u32_e32 8, v73
; %bb.759:                              ;   in Loop: Header=BB327_532 Depth=1
	s_delay_alu instid0(VALU_DEP_3) | instskip(NEXT) | instid1(VALU_DEP_1)
	v_clz_i32_u32_e32 v69, v34
	v_min_u32_e32 v69, 32, v69
	s_delay_alu instid0(VALU_DEP_1) | instskip(NEXT) | instid1(VALU_DEP_1)
	v_subrev_nc_u32_e32 v73, 28, v69
	v_lshlrev_b64_e32 v[34:35], v73, v[34:35]
	s_delay_alu instid0(VALU_DEP_1)
	v_dual_sub_nc_u32 v69, 29, v69 :: v_dual_bitop2_b32 v34, 7, v34 bitop3:0x40
; %bb.760:                              ;   in Loop: Header=BB327_532 Depth=1
	s_or_b32 exec_lo, exec_lo, s36
	v_lshlrev_b32_e32 v18, 16, v18
	s_delay_alu instid0(VALU_DEP_2) | instskip(NEXT) | instid1(VALU_DEP_3)
	v_lshlrev_b32_e32 v34, 20, v34
	v_lshl_add_u32 v35, v69, 23, 0x3c000000
	s_delay_alu instid0(VALU_DEP_3) | instskip(NEXT) | instid1(VALU_DEP_1)
	v_and_b32_e32 v18, 0x80000000, v18
	v_or3_b32 v34, v34, v18, v35
.LBB327_761:                            ;   in Loop: Header=BB327_532 Depth=1
	s_or_b32 exec_lo, exec_lo, s25
.LBB327_762:                            ;   in Loop: Header=BB327_532 Depth=1
	s_delay_alu instid0(SALU_CYCLE_1)
	s_or_b32 exec_lo, exec_lo, s24
.LBB327_763:                            ;   in Loop: Header=BB327_532 Depth=1
	s_delay_alu instid0(SALU_CYCLE_1) | instskip(SKIP_3) | instid1(VALU_DEP_2)
	s_or_b32 exec_lo, exec_lo, s23
	v_dual_lshrrev_b32 v69, 16, v33 :: v_dual_mov_b32 v35, 0
	v_mov_b32_e32 v75, 0
	s_mov_b32 s23, exec_lo
	v_and_b32_e32 v18, 0xff, v69
	s_delay_alu instid0(VALU_DEP_1)
	v_cmpx_ne_u16_e32 0, v18
	s_cbranch_execz .LBB327_771
; %bb.764:                              ;   in Loop: Header=BB327_532 Depth=1
	v_bfrev_b32_e32 v75, 1
	s_mov_b32 s24, exec_lo
	v_cmpx_ne_u16_e32 0x80, v18
	s_cbranch_execz .LBB327_770
; %bb.765:                              ;   in Loop: Header=BB327_532 Depth=1
	v_bfe_u32 v74, v33, 16, 7
	v_mov_b32_e32 v75, 0x7f800001
	s_mov_b32 s25, exec_lo
	s_delay_alu instid0(VALU_DEP_2)
	v_cmpx_ne_u32_e32 0x7f, v74
	s_cbranch_execz .LBB327_769
; %bb.766:                              ;   in Loop: Header=BB327_532 Depth=1
	v_dual_lshrrev_b32 v73, 3, v74 :: v_dual_bitop2_b32 v18, 7, v69 bitop3:0x40
	s_mov_b32 s36, exec_lo
	v_cmpx_gt_u32_e32 8, v74
; %bb.767:                              ;   in Loop: Header=BB327_532 Depth=1
	s_delay_alu instid0(VALU_DEP_2) | instskip(NEXT) | instid1(VALU_DEP_1)
	v_clz_i32_u32_e32 v73, v18
	v_min_u32_e32 v73, 32, v73
	s_delay_alu instid0(VALU_DEP_1) | instskip(NEXT) | instid1(VALU_DEP_1)
	v_subrev_nc_u32_e32 v74, 28, v73
	v_lshlrev_b64_e32 v[74:75], v74, v[18:19]
	s_delay_alu instid0(VALU_DEP_1)
	v_dual_sub_nc_u32 v73, 29, v73 :: v_dual_bitop2_b32 v18, 7, v74 bitop3:0x40
; %bb.768:                              ;   in Loop: Header=BB327_532 Depth=1
	s_or_b32 exec_lo, exec_lo, s36
	s_delay_alu instid0(VALU_DEP_1) | instskip(NEXT) | instid1(VALU_DEP_2)
	v_dual_lshlrev_b32 v69, 24, v69 :: v_dual_lshlrev_b32 v18, 20, v18
	v_lshl_add_u32 v73, v73, 23, 0x3c000000
	s_delay_alu instid0(VALU_DEP_2) | instskip(NEXT) | instid1(VALU_DEP_1)
	v_and_b32_e32 v69, 0x80000000, v69
	v_or3_b32 v75, v18, v69, v73
.LBB327_769:                            ;   in Loop: Header=BB327_532 Depth=1
	s_or_b32 exec_lo, exec_lo, s25
.LBB327_770:                            ;   in Loop: Header=BB327_532 Depth=1
	s_delay_alu instid0(SALU_CYCLE_1)
	s_or_b32 exec_lo, exec_lo, s24
.LBB327_771:                            ;   in Loop: Header=BB327_532 Depth=1
	s_delay_alu instid0(SALU_CYCLE_1) | instskip(NEXT) | instid1(SALU_CYCLE_1)
	s_or_b32 exec_lo, exec_lo, s23
	s_mov_b32 s23, exec_lo
	v_cmpx_lt_u64_e64 s[8:9], v[32:33]
	s_cbranch_execz .LBB327_779
; %bb.772:                              ;   in Loop: Header=BB327_532 Depth=1
	v_lshrrev_b32_e32 v32, 24, v33
	v_bfrev_b32_e32 v35, 1
	s_mov_b32 s24, exec_lo
	s_delay_alu instid0(VALU_DEP_2)
	v_cmpx_ne_u32_e32 0x80, v32
	s_cbranch_execz .LBB327_778
; %bb.773:                              ;   in Loop: Header=BB327_532 Depth=1
	v_bfe_u32 v69, v33, 24, 7
	v_mov_b32_e32 v35, 0x7f800001
	s_mov_b32 s25, exec_lo
	s_delay_alu instid0(VALU_DEP_2)
	v_cmpx_ne_u32_e32 0x7f, v69
	s_cbranch_execz .LBB327_777
; %bb.774:                              ;   in Loop: Header=BB327_532 Depth=1
	v_dual_lshrrev_b32 v33, 3, v69 :: v_dual_bitop2_b32 v18, 7, v32 bitop3:0x40
	s_mov_b32 s36, exec_lo
	v_cmpx_gt_u32_e32 8, v69
; %bb.775:                              ;   in Loop: Header=BB327_532 Depth=1
	s_delay_alu instid0(VALU_DEP_2) | instskip(NEXT) | instid1(VALU_DEP_1)
	v_clz_i32_u32_e32 v33, v18
	v_min_u32_e32 v33, 32, v33
	s_delay_alu instid0(VALU_DEP_1) | instskip(NEXT) | instid1(VALU_DEP_1)
	v_subrev_nc_u32_e32 v35, 28, v33
	v_lshlrev_b64_e32 v[76:77], v35, v[18:19]
	s_delay_alu instid0(VALU_DEP_1)
	v_dual_sub_nc_u32 v33, 29, v33 :: v_dual_bitop2_b32 v18, 7, v76 bitop3:0x40
; %bb.776:                              ;   in Loop: Header=BB327_532 Depth=1
	s_or_b32 exec_lo, exec_lo, s36
	s_delay_alu instid0(VALU_DEP_1) | instskip(NEXT) | instid1(VALU_DEP_2)
	v_dual_lshlrev_b32 v32, 24, v32 :: v_dual_lshlrev_b32 v18, 20, v18
	v_lshl_add_u32 v33, v33, 23, 0x3c000000
	s_delay_alu instid0(VALU_DEP_2) | instskip(NEXT) | instid1(VALU_DEP_1)
	v_and_b32_e32 v32, 0x80000000, v32
	v_or3_b32 v35, v18, v32, v33
.LBB327_777:                            ;   in Loop: Header=BB327_532 Depth=1
	s_or_b32 exec_lo, exec_lo, s25
.LBB327_778:                            ;   in Loop: Header=BB327_532 Depth=1
	s_delay_alu instid0(SALU_CYCLE_1)
	s_or_b32 exec_lo, exec_lo, s24
.LBB327_779:                            ;   in Loop: Header=BB327_532 Depth=1
	s_delay_alu instid0(SALU_CYCLE_1)
	s_or_b32 exec_lo, exec_lo, s23
	v_fma_mixlo_bf16 v69, s22, v34, 0
	v_fma_mixlo_bf16 v70, s22, v70, 0
	;; [unrolled: 1-line block ×8, first 2 shown]
	s_and_saveexec_b32 s23, s0
	s_cbranch_execz .LBB327_781
; %bb.780:                              ;   in Loop: Header=BB327_532 Depth=1
	v_dual_add_nc_u32 v18, 1, v50 :: v_dual_add_nc_u32 v32, 2, v50
	v_cmp_gt_i32_e64 s1, s34, v50
	s_delay_alu instid0(VALU_DEP_1) | instskip(NEXT) | instid1(VALU_DEP_3)
	v_cndmask_b32_e64 v74, 0, v74, s1
	v_cmp_gt_i32_e64 s1, s34, v18
	s_delay_alu instid0(VALU_DEP_1) | instskip(SKIP_2) | instid1(VALU_DEP_2)
	v_cndmask_b32_e64 v73, 0, v73, s1
	v_cmp_gt_i32_e64 s1, s34, v32
	v_dual_add_nc_u32 v33, 3, v50 :: v_dual_add_nc_u32 v32, 5, v50
	v_cndmask_b32_e64 v72, 0, v72, s1
	s_delay_alu instid0(VALU_DEP_2) | instskip(SKIP_1) | instid1(VALU_DEP_2)
	v_cmp_gt_i32_e64 s1, s34, v33
	v_dual_add_nc_u32 v18, 4, v50 :: v_dual_add_nc_u32 v33, 6, v50
	v_cndmask_b32_e64 v71, 0, v71, s1
	s_delay_alu instid0(VALU_DEP_2) | instskip(NEXT) | instid1(VALU_DEP_1)
	v_cmp_gt_i32_e64 s1, s34, v18
	v_cndmask_b32_e64 v70, 0, v70, s1
	v_cmp_gt_i32_e64 s1, s34, v32
	s_delay_alu instid0(VALU_DEP_1) | instskip(SKIP_1) | instid1(VALU_DEP_1)
	v_cndmask_b32_e64 v69, 0, v69, s1
	v_cmp_gt_i32_e64 s1, s34, v33
	v_dual_add_nc_u32 v18, 7, v50 :: v_dual_cndmask_b32 v67, 0, v67, s1
	s_delay_alu instid0(VALU_DEP_1) | instskip(NEXT) | instid1(VALU_DEP_1)
	v_cmp_gt_i32_e64 s1, s34, v18
	v_cndmask_b32_e64 v68, 0, v68, s1
.LBB327_781:                            ;   in Loop: Header=BB327_532 Depth=1
	s_or_b32 exec_lo, exec_lo, s23
	global_load_b64 v[32:33], v[30:31], off offset:1024
	v_dual_mov_b32 v76, 0 :: v_dual_mov_b32 v75, 0
	s_mov_b32 s23, exec_lo
	s_wait_loadcnt 0x0
	v_and_b32_e32 v18, 0xff, v32
	s_delay_alu instid0(VALU_DEP_1)
	v_cmpx_ne_u16_e32 0, v18
	s_cbranch_execz .LBB327_787
; %bb.782:                              ;   in Loop: Header=BB327_532 Depth=1
	v_bfrev_b32_e32 v75, 1
	s_mov_b32 s24, exec_lo
	v_cmpx_ne_u16_e32 0x80, v18
	s_cbranch_execz .LBB327_786
; %bb.783:                              ;   in Loop: Header=BB327_532 Depth=1
	v_and_b32_e32 v18, 0x7f, v32
	v_mov_b32_e32 v75, 0x7f800001
	s_mov_b32 s25, exec_lo
	s_delay_alu instid0(VALU_DEP_2)
	v_cmpx_ne_u32_e32 0x7f, v18
	s_cbranch_execz .LBB327_785
; %bb.784:                              ;   in Loop: Header=BB327_532 Depth=1
	v_dual_lshrrev_b32 v35, 3, v18 :: v_dual_bitop2_b32 v34, 7, v32 bitop3:0x40
	v_cmp_gt_u32_e64 s1, 8, v18
	s_delay_alu instid0(VALU_DEP_2) | instskip(NEXT) | instid1(VALU_DEP_1)
	v_clz_i32_u32_e32 v34, v34
	v_min_u32_e32 v34, 32, v34
	s_delay_alu instid0(VALU_DEP_1) | instskip(SKIP_1) | instid1(VALU_DEP_1)
	v_subrev_nc_u32_e32 v75, 28, v34
	v_sub_nc_u32_e32 v34, 29, v34
	v_dual_cndmask_b32 v18, v35, v34, s1 :: v_dual_cndmask_b32 v34, 0, v75, s1
	s_delay_alu instid0(VALU_DEP_1) | instskip(NEXT) | instid1(VALU_DEP_2)
	v_lshl_add_u32 v18, v18, 23, 0x3c000000
	v_lshlrev_b64_e32 v[34:35], v34, v[32:33]
	v_lshlrev_b32_e32 v35, 24, v32
	s_delay_alu instid0(VALU_DEP_1) | instskip(NEXT) | instid1(VALU_DEP_3)
	v_and_b32_e32 v35, 0x80000000, v35
	v_lshlrev_b32_e32 v34, 20, v34
	s_delay_alu instid0(VALU_DEP_1) | instskip(NEXT) | instid1(VALU_DEP_1)
	v_and_b32_e32 v34, 0x700000, v34
	v_or3_b32 v75, v34, v35, v18
.LBB327_785:                            ;   in Loop: Header=BB327_532 Depth=1
	s_or_b32 exec_lo, exec_lo, s25
.LBB327_786:                            ;   in Loop: Header=BB327_532 Depth=1
	s_delay_alu instid0(SALU_CYCLE_1)
	s_or_b32 exec_lo, exec_lo, s24
.LBB327_787:                            ;   in Loop: Header=BB327_532 Depth=1
	s_delay_alu instid0(SALU_CYCLE_1) | instskip(SKIP_2) | instid1(VALU_DEP_1)
	s_or_b32 exec_lo, exec_lo, s23
	v_lshrrev_b16 v18, 8, v32
	s_mov_b32 s23, exec_lo
	v_cmpx_ne_u16_e32 0, v18
	s_cbranch_execz .LBB327_795
; %bb.788:                              ;   in Loop: Header=BB327_532 Depth=1
	v_bfrev_b32_e32 v76, 1
	s_mov_b32 s24, exec_lo
	v_cmpx_ne_u16_e32 0x80, v18
	s_cbranch_execz .LBB327_794
; %bb.789:                              ;   in Loop: Header=BB327_532 Depth=1
	v_and_b32_e32 v18, 0xffff, v18
	v_mov_b32_e32 v76, 0x7f800001
	s_mov_b32 s25, exec_lo
	s_delay_alu instid0(VALU_DEP_2) | instskip(NEXT) | instid1(VALU_DEP_1)
	v_and_b32_e32 v35, 0x7f, v18
	v_cmpx_ne_u32_e32 0x7f, v35
	s_cbranch_execz .LBB327_793
; %bb.790:                              ;   in Loop: Header=BB327_532 Depth=1
	v_dual_lshrrev_b32 v34, 3, v35 :: v_dual_bitop2_b32 v18, 7, v18 bitop3:0x40
	s_mov_b32 s36, exec_lo
	v_cmpx_gt_u32_e32 8, v35
; %bb.791:                              ;   in Loop: Header=BB327_532 Depth=1
	s_delay_alu instid0(VALU_DEP_2) | instskip(NEXT) | instid1(VALU_DEP_1)
	v_clz_i32_u32_e32 v34, v18
	v_min_u32_e32 v34, 32, v34
	s_delay_alu instid0(VALU_DEP_1) | instskip(NEXT) | instid1(VALU_DEP_1)
	v_subrev_nc_u32_e32 v35, 28, v34
	v_lshlrev_b64_e32 v[76:77], v35, v[18:19]
	s_delay_alu instid0(VALU_DEP_1)
	v_dual_sub_nc_u32 v34, 29, v34 :: v_dual_bitop2_b32 v18, 7, v76 bitop3:0x40
; %bb.792:                              ;   in Loop: Header=BB327_532 Depth=1
	s_or_b32 exec_lo, exec_lo, s36
	s_delay_alu instid0(VALU_DEP_1) | instskip(NEXT) | instid1(VALU_DEP_2)
	v_dual_lshlrev_b32 v35, 16, v32 :: v_dual_lshlrev_b32 v18, 20, v18
	v_lshl_add_u32 v34, v34, 23, 0x3c000000
	s_delay_alu instid0(VALU_DEP_2) | instskip(NEXT) | instid1(VALU_DEP_1)
	v_and_b32_e32 v35, 0x80000000, v35
	v_or3_b32 v76, v18, v35, v34
.LBB327_793:                            ;   in Loop: Header=BB327_532 Depth=1
	s_or_b32 exec_lo, exec_lo, s25
.LBB327_794:                            ;   in Loop: Header=BB327_532 Depth=1
	s_delay_alu instid0(SALU_CYCLE_1)
	s_or_b32 exec_lo, exec_lo, s24
.LBB327_795:                            ;   in Loop: Header=BB327_532 Depth=1
	s_delay_alu instid0(SALU_CYCLE_1) | instskip(SKIP_3) | instid1(VALU_DEP_2)
	s_or_b32 exec_lo, exec_lo, s23
	v_dual_mov_b32 v79, 0 :: v_dual_lshrrev_b32 v34, 16, v32
	v_mov_b32_e32 v80, 0
	s_mov_b32 s23, exec_lo
	v_and_b32_e32 v18, 0xff, v34
	s_delay_alu instid0(VALU_DEP_1)
	v_cmpx_ne_u16_e32 0, v18
	s_cbranch_execz .LBB327_803
; %bb.796:                              ;   in Loop: Header=BB327_532 Depth=1
	v_bfrev_b32_e32 v80, 1
	s_mov_b32 s24, exec_lo
	v_cmpx_ne_u16_e32 0x80, v18
	s_cbranch_execz .LBB327_802
; %bb.797:                              ;   in Loop: Header=BB327_532 Depth=1
	v_bfe_u32 v77, v32, 16, 7
	v_mov_b32_e32 v80, 0x7f800001
	s_mov_b32 s25, exec_lo
	s_delay_alu instid0(VALU_DEP_2)
	v_cmpx_ne_u32_e32 0x7f, v77
	s_cbranch_execz .LBB327_801
; %bb.798:                              ;   in Loop: Header=BB327_532 Depth=1
	v_dual_lshrrev_b32 v35, 3, v77 :: v_dual_bitop2_b32 v18, 7, v34 bitop3:0x40
	s_mov_b32 s36, exec_lo
	v_cmpx_gt_u32_e32 8, v77
; %bb.799:                              ;   in Loop: Header=BB327_532 Depth=1
	s_delay_alu instid0(VALU_DEP_2) | instskip(NEXT) | instid1(VALU_DEP_1)
	v_clz_i32_u32_e32 v35, v18
	v_min_u32_e32 v35, 32, v35
	s_delay_alu instid0(VALU_DEP_1) | instskip(NEXT) | instid1(VALU_DEP_1)
	v_subrev_nc_u32_e32 v77, 28, v35
	v_lshlrev_b64_e32 v[80:81], v77, v[18:19]
	s_delay_alu instid0(VALU_DEP_1)
	v_dual_sub_nc_u32 v35, 29, v35 :: v_dual_bitop2_b32 v18, 7, v80 bitop3:0x40
; %bb.800:                              ;   in Loop: Header=BB327_532 Depth=1
	s_or_b32 exec_lo, exec_lo, s36
	v_lshlrev_b32_e32 v34, 24, v34
	s_delay_alu instid0(VALU_DEP_2) | instskip(NEXT) | instid1(VALU_DEP_3)
	v_lshlrev_b32_e32 v18, 20, v18
	v_lshl_add_u32 v35, v35, 23, 0x3c000000
	s_delay_alu instid0(VALU_DEP_3) | instskip(NEXT) | instid1(VALU_DEP_1)
	v_and_b32_e32 v34, 0x80000000, v34
	v_or3_b32 v80, v18, v34, v35
.LBB327_801:                            ;   in Loop: Header=BB327_532 Depth=1
	s_or_b32 exec_lo, exec_lo, s25
.LBB327_802:                            ;   in Loop: Header=BB327_532 Depth=1
	s_delay_alu instid0(SALU_CYCLE_1)
	s_or_b32 exec_lo, exec_lo, s24
.LBB327_803:                            ;   in Loop: Header=BB327_532 Depth=1
	s_delay_alu instid0(SALU_CYCLE_1) | instskip(NEXT) | instid1(SALU_CYCLE_1)
	s_or_b32 exec_lo, exec_lo, s23
	s_mov_b32 s23, exec_lo
	v_cmpx_lt_u32_e32 0xffffff, v32
	s_cbranch_execz .LBB327_811
; %bb.804:                              ;   in Loop: Header=BB327_532 Depth=1
	v_lshrrev_b32_e32 v34, 24, v32
	v_bfrev_b32_e32 v79, 1
	s_mov_b32 s24, exec_lo
	s_delay_alu instid0(VALU_DEP_2)
	v_cmpx_ne_u32_e32 0x80, v34
	s_cbranch_execz .LBB327_810
; %bb.805:                              ;   in Loop: Header=BB327_532 Depth=1
	v_bfe_u32 v77, v32, 24, 7
	v_mov_b32_e32 v79, 0x7f800001
	s_mov_b32 s25, exec_lo
	s_delay_alu instid0(VALU_DEP_2)
	v_cmpx_ne_u32_e32 0x7f, v77
	s_cbranch_execz .LBB327_809
; %bb.806:                              ;   in Loop: Header=BB327_532 Depth=1
	v_dual_lshrrev_b32 v35, 3, v77 :: v_dual_bitop2_b32 v18, 7, v34 bitop3:0x40
	s_mov_b32 s36, exec_lo
	v_cmpx_gt_u32_e32 8, v77
; %bb.807:                              ;   in Loop: Header=BB327_532 Depth=1
	s_delay_alu instid0(VALU_DEP_2) | instskip(NEXT) | instid1(VALU_DEP_1)
	v_clz_i32_u32_e32 v35, v18
	v_min_u32_e32 v35, 32, v35
	s_delay_alu instid0(VALU_DEP_1) | instskip(NEXT) | instid1(VALU_DEP_1)
	v_subrev_nc_u32_e32 v77, 28, v35
	v_lshlrev_b64_e32 v[78:79], v77, v[18:19]
	s_delay_alu instid0(VALU_DEP_1)
	v_dual_sub_nc_u32 v35, 29, v35 :: v_dual_bitop2_b32 v18, 7, v78 bitop3:0x40
; %bb.808:                              ;   in Loop: Header=BB327_532 Depth=1
	s_or_b32 exec_lo, exec_lo, s36
	v_lshlrev_b32_e32 v34, 24, v34
	s_delay_alu instid0(VALU_DEP_2) | instskip(NEXT) | instid1(VALU_DEP_3)
	v_lshlrev_b32_e32 v18, 20, v18
	v_lshl_add_u32 v35, v35, 23, 0x3c000000
	s_delay_alu instid0(VALU_DEP_3) | instskip(NEXT) | instid1(VALU_DEP_1)
	v_and_b32_e32 v34, 0x80000000, v34
	v_or3_b32 v79, v18, v34, v35
.LBB327_809:                            ;   in Loop: Header=BB327_532 Depth=1
	s_or_b32 exec_lo, exec_lo, s25
.LBB327_810:                            ;   in Loop: Header=BB327_532 Depth=1
	s_delay_alu instid0(SALU_CYCLE_1)
	s_or_b32 exec_lo, exec_lo, s24
.LBB327_811:                            ;   in Loop: Header=BB327_532 Depth=1
	s_delay_alu instid0(SALU_CYCLE_1) | instskip(SKIP_4) | instid1(VALU_DEP_3)
	s_or_b32 exec_lo, exec_lo, s23
	v_and_b32_e32 v35, 0xff, v33
	v_dual_mov_b32 v18, v33 :: v_dual_mov_b32 v34, 0
	v_mov_b32_e32 v78, 0
	s_mov_b32 s23, exec_lo
	v_cmpx_ne_u16_e32 0, v35
	s_cbranch_execz .LBB327_817
; %bb.812:                              ;   in Loop: Header=BB327_532 Depth=1
	v_bfrev_b32_e32 v78, 1
	s_mov_b32 s24, exec_lo
	v_cmpx_ne_u16_e32 0x80, v35
	s_cbranch_execz .LBB327_816
; %bb.813:                              ;   in Loop: Header=BB327_532 Depth=1
	v_and_b32_e32 v35, 0x7f, v33
	v_mov_b32_e32 v78, 0x7f800001
	s_mov_b32 s25, exec_lo
	s_delay_alu instid0(VALU_DEP_2)
	v_cmpx_ne_u32_e32 0x7f, v35
	s_cbranch_execz .LBB327_815
; %bb.814:                              ;   in Loop: Header=BB327_532 Depth=1
	v_dual_lshrrev_b32 v78, 3, v35 :: v_dual_bitop2_b32 v77, 7, v33 bitop3:0x40
	v_cmp_gt_u32_e64 s1, 8, v35
	s_delay_alu instid0(VALU_DEP_2) | instskip(NEXT) | instid1(VALU_DEP_1)
	v_clz_i32_u32_e32 v77, v77
	v_min_u32_e32 v77, 32, v77
	s_delay_alu instid0(VALU_DEP_1) | instskip(SKIP_1) | instid1(VALU_DEP_1)
	v_subrev_nc_u32_e32 v81, 28, v77
	v_sub_nc_u32_e32 v77, 29, v77
	v_cndmask_b32_e64 v35, v78, v77, s1
	s_delay_alu instid0(VALU_DEP_3) | instskip(NEXT) | instid1(VALU_DEP_1)
	v_cndmask_b32_e64 v77, 0, v81, s1
	v_lshlrev_b64_e32 v[82:83], v77, v[18:19]
	v_lshlrev_b32_e32 v77, 24, v18
	s_delay_alu instid0(VALU_DEP_4) | instskip(NEXT) | instid1(VALU_DEP_2)
	v_lshl_add_u32 v35, v35, 23, 0x3c000000
	v_and_b32_e32 v77, 0x80000000, v77
	s_delay_alu instid0(VALU_DEP_4) | instskip(NEXT) | instid1(VALU_DEP_1)
	v_lshlrev_b32_e32 v78, 20, v82
	v_and_b32_e32 v78, 0x700000, v78
	s_delay_alu instid0(VALU_DEP_1)
	v_or3_b32 v78, v78, v77, v35
.LBB327_815:                            ;   in Loop: Header=BB327_532 Depth=1
	s_or_b32 exec_lo, exec_lo, s25
.LBB327_816:                            ;   in Loop: Header=BB327_532 Depth=1
	s_delay_alu instid0(SALU_CYCLE_1)
	s_or_b32 exec_lo, exec_lo, s24
.LBB327_817:                            ;   in Loop: Header=BB327_532 Depth=1
	s_delay_alu instid0(SALU_CYCLE_1) | instskip(SKIP_2) | instid1(VALU_DEP_1)
	s_or_b32 exec_lo, exec_lo, s23
	v_lshrrev_b16 v35, 8, v18
	s_mov_b32 s23, exec_lo
	v_cmpx_ne_u16_e32 0, v35
	s_cbranch_execz .LBB327_825
; %bb.818:                              ;   in Loop: Header=BB327_532 Depth=1
	v_bfrev_b32_e32 v34, 1
	s_mov_b32 s24, exec_lo
	v_cmpx_ne_u16_e32 0x80, v35
	s_cbranch_execz .LBB327_824
; %bb.819:                              ;   in Loop: Header=BB327_532 Depth=1
	v_and_b32_e32 v35, 0xffff, v35
	v_mov_b32_e32 v34, 0x7f800001
	s_mov_b32 s25, exec_lo
	s_delay_alu instid0(VALU_DEP_2) | instskip(NEXT) | instid1(VALU_DEP_1)
	v_and_b32_e32 v81, 0x7f, v35
	v_cmpx_ne_u32_e32 0x7f, v81
	s_cbranch_execz .LBB327_823
; %bb.820:                              ;   in Loop: Header=BB327_532 Depth=1
	v_dual_mov_b32 v35, v19 :: v_dual_bitop2_b32 v34, 7, v35 bitop3:0x40
	v_lshrrev_b32_e32 v77, 3, v81
	s_mov_b32 s36, exec_lo
	v_cmpx_gt_u32_e32 8, v81
; %bb.821:                              ;   in Loop: Header=BB327_532 Depth=1
	s_delay_alu instid0(VALU_DEP_3) | instskip(NEXT) | instid1(VALU_DEP_1)
	v_clz_i32_u32_e32 v77, v34
	v_min_u32_e32 v77, 32, v77
	s_delay_alu instid0(VALU_DEP_1) | instskip(NEXT) | instid1(VALU_DEP_1)
	v_subrev_nc_u32_e32 v81, 28, v77
	v_lshlrev_b64_e32 v[34:35], v81, v[34:35]
	s_delay_alu instid0(VALU_DEP_1)
	v_dual_sub_nc_u32 v77, 29, v77 :: v_dual_bitop2_b32 v34, 7, v34 bitop3:0x40
; %bb.822:                              ;   in Loop: Header=BB327_532 Depth=1
	s_or_b32 exec_lo, exec_lo, s36
	v_lshlrev_b32_e32 v18, 16, v18
	s_delay_alu instid0(VALU_DEP_2) | instskip(NEXT) | instid1(VALU_DEP_3)
	v_lshlrev_b32_e32 v34, 20, v34
	v_lshl_add_u32 v35, v77, 23, 0x3c000000
	s_delay_alu instid0(VALU_DEP_3) | instskip(NEXT) | instid1(VALU_DEP_1)
	v_and_b32_e32 v18, 0x80000000, v18
	v_or3_b32 v34, v34, v18, v35
.LBB327_823:                            ;   in Loop: Header=BB327_532 Depth=1
	s_or_b32 exec_lo, exec_lo, s25
.LBB327_824:                            ;   in Loop: Header=BB327_532 Depth=1
	s_delay_alu instid0(SALU_CYCLE_1)
	s_or_b32 exec_lo, exec_lo, s24
.LBB327_825:                            ;   in Loop: Header=BB327_532 Depth=1
	s_delay_alu instid0(SALU_CYCLE_1) | instskip(SKIP_3) | instid1(VALU_DEP_2)
	s_or_b32 exec_lo, exec_lo, s23
	v_dual_lshrrev_b32 v77, 16, v33 :: v_dual_mov_b32 v35, 0
	v_mov_b32_e32 v83, 0
	s_mov_b32 s23, exec_lo
	v_and_b32_e32 v18, 0xff, v77
	s_delay_alu instid0(VALU_DEP_1)
	v_cmpx_ne_u16_e32 0, v18
	s_cbranch_execz .LBB327_833
; %bb.826:                              ;   in Loop: Header=BB327_532 Depth=1
	v_bfrev_b32_e32 v83, 1
	s_mov_b32 s24, exec_lo
	v_cmpx_ne_u16_e32 0x80, v18
	s_cbranch_execz .LBB327_832
; %bb.827:                              ;   in Loop: Header=BB327_532 Depth=1
	v_bfe_u32 v82, v33, 16, 7
	v_mov_b32_e32 v83, 0x7f800001
	s_mov_b32 s25, exec_lo
	s_delay_alu instid0(VALU_DEP_2)
	v_cmpx_ne_u32_e32 0x7f, v82
	s_cbranch_execz .LBB327_831
; %bb.828:                              ;   in Loop: Header=BB327_532 Depth=1
	v_dual_lshrrev_b32 v81, 3, v82 :: v_dual_bitop2_b32 v18, 7, v77 bitop3:0x40
	s_mov_b32 s36, exec_lo
	v_cmpx_gt_u32_e32 8, v82
; %bb.829:                              ;   in Loop: Header=BB327_532 Depth=1
	s_delay_alu instid0(VALU_DEP_2) | instskip(NEXT) | instid1(VALU_DEP_1)
	v_clz_i32_u32_e32 v81, v18
	v_min_u32_e32 v81, 32, v81
	s_delay_alu instid0(VALU_DEP_1) | instskip(NEXT) | instid1(VALU_DEP_1)
	v_subrev_nc_u32_e32 v82, 28, v81
	v_lshlrev_b64_e32 v[82:83], v82, v[18:19]
	s_delay_alu instid0(VALU_DEP_1)
	v_dual_sub_nc_u32 v81, 29, v81 :: v_dual_bitop2_b32 v18, 7, v82 bitop3:0x40
; %bb.830:                              ;   in Loop: Header=BB327_532 Depth=1
	s_or_b32 exec_lo, exec_lo, s36
	s_delay_alu instid0(VALU_DEP_1) | instskip(NEXT) | instid1(VALU_DEP_2)
	v_dual_lshlrev_b32 v77, 24, v77 :: v_dual_lshlrev_b32 v18, 20, v18
	v_lshl_add_u32 v81, v81, 23, 0x3c000000
	s_delay_alu instid0(VALU_DEP_2) | instskip(NEXT) | instid1(VALU_DEP_1)
	v_and_b32_e32 v77, 0x80000000, v77
	v_or3_b32 v83, v18, v77, v81
.LBB327_831:                            ;   in Loop: Header=BB327_532 Depth=1
	s_or_b32 exec_lo, exec_lo, s25
.LBB327_832:                            ;   in Loop: Header=BB327_532 Depth=1
	s_delay_alu instid0(SALU_CYCLE_1)
	s_or_b32 exec_lo, exec_lo, s24
.LBB327_833:                            ;   in Loop: Header=BB327_532 Depth=1
	s_delay_alu instid0(SALU_CYCLE_1) | instskip(NEXT) | instid1(SALU_CYCLE_1)
	s_or_b32 exec_lo, exec_lo, s23
	s_mov_b32 s23, exec_lo
	v_cmpx_lt_u64_e64 s[8:9], v[32:33]
	s_cbranch_execz .LBB327_841
; %bb.834:                              ;   in Loop: Header=BB327_532 Depth=1
	v_lshrrev_b32_e32 v32, 24, v33
	v_bfrev_b32_e32 v35, 1
	s_mov_b32 s24, exec_lo
	s_delay_alu instid0(VALU_DEP_2)
	v_cmpx_ne_u32_e32 0x80, v32
	s_cbranch_execz .LBB327_840
; %bb.835:                              ;   in Loop: Header=BB327_532 Depth=1
	v_bfe_u32 v77, v33, 24, 7
	v_mov_b32_e32 v35, 0x7f800001
	s_mov_b32 s25, exec_lo
	s_delay_alu instid0(VALU_DEP_2)
	v_cmpx_ne_u32_e32 0x7f, v77
	s_cbranch_execz .LBB327_839
; %bb.836:                              ;   in Loop: Header=BB327_532 Depth=1
	v_dual_lshrrev_b32 v33, 3, v77 :: v_dual_bitop2_b32 v18, 7, v32 bitop3:0x40
	s_mov_b32 s36, exec_lo
	v_cmpx_gt_u32_e32 8, v77
; %bb.837:                              ;   in Loop: Header=BB327_532 Depth=1
	s_delay_alu instid0(VALU_DEP_2) | instskip(NEXT) | instid1(VALU_DEP_1)
	v_clz_i32_u32_e32 v33, v18
	v_min_u32_e32 v33, 32, v33
	s_delay_alu instid0(VALU_DEP_1) | instskip(NEXT) | instid1(VALU_DEP_1)
	v_subrev_nc_u32_e32 v35, 28, v33
	v_lshlrev_b64_e32 v[84:85], v35, v[18:19]
	s_delay_alu instid0(VALU_DEP_1)
	v_dual_sub_nc_u32 v33, 29, v33 :: v_dual_bitop2_b32 v18, 7, v84 bitop3:0x40
; %bb.838:                              ;   in Loop: Header=BB327_532 Depth=1
	s_or_b32 exec_lo, exec_lo, s36
	s_delay_alu instid0(VALU_DEP_1) | instskip(NEXT) | instid1(VALU_DEP_2)
	v_dual_lshlrev_b32 v32, 24, v32 :: v_dual_lshlrev_b32 v18, 20, v18
	v_lshl_add_u32 v33, v33, 23, 0x3c000000
	s_delay_alu instid0(VALU_DEP_2) | instskip(NEXT) | instid1(VALU_DEP_1)
	v_and_b32_e32 v32, 0x80000000, v32
	v_or3_b32 v35, v18, v32, v33
.LBB327_839:                            ;   in Loop: Header=BB327_532 Depth=1
	s_or_b32 exec_lo, exec_lo, s25
.LBB327_840:                            ;   in Loop: Header=BB327_532 Depth=1
	s_delay_alu instid0(SALU_CYCLE_1)
	s_or_b32 exec_lo, exec_lo, s24
.LBB327_841:                            ;   in Loop: Header=BB327_532 Depth=1
	s_delay_alu instid0(SALU_CYCLE_1)
	s_or_b32 exec_lo, exec_lo, s23
	v_fma_mixlo_bf16 v77, s22, v34, 0
	v_fma_mixlo_bf16 v78, s22, v78, 0
	;; [unrolled: 1-line block ×8, first 2 shown]
	s_and_saveexec_b32 s23, s0
	s_cbranch_execz .LBB327_843
; %bb.842:                              ;   in Loop: Header=BB327_532 Depth=1
	v_dual_add_nc_u32 v18, 1, v50 :: v_dual_add_nc_u32 v32, 2, v50
	v_cmp_gt_i32_e64 s1, s34, v50
	s_delay_alu instid0(VALU_DEP_1) | instskip(NEXT) | instid1(VALU_DEP_3)
	v_cndmask_b32_e64 v82, 0, v82, s1
	v_cmp_gt_i32_e64 s1, s34, v18
	s_delay_alu instid0(VALU_DEP_1) | instskip(SKIP_2) | instid1(VALU_DEP_2)
	v_cndmask_b32_e64 v81, 0, v81, s1
	v_cmp_gt_i32_e64 s1, s34, v32
	v_dual_add_nc_u32 v33, 3, v50 :: v_dual_add_nc_u32 v32, 5, v50
	v_cndmask_b32_e64 v80, 0, v80, s1
	s_delay_alu instid0(VALU_DEP_2) | instskip(SKIP_1) | instid1(VALU_DEP_2)
	v_cmp_gt_i32_e64 s1, s34, v33
	v_dual_add_nc_u32 v18, 4, v50 :: v_dual_add_nc_u32 v33, 6, v50
	v_cndmask_b32_e64 v79, 0, v79, s1
	s_delay_alu instid0(VALU_DEP_2) | instskip(NEXT) | instid1(VALU_DEP_1)
	v_cmp_gt_i32_e64 s1, s34, v18
	v_cndmask_b32_e64 v78, 0, v78, s1
	v_cmp_gt_i32_e64 s1, s34, v32
	s_delay_alu instid0(VALU_DEP_1) | instskip(SKIP_1) | instid1(VALU_DEP_1)
	v_cndmask_b32_e64 v77, 0, v77, s1
	v_cmp_gt_i32_e64 s1, s34, v33
	v_dual_add_nc_u32 v18, 7, v50 :: v_dual_cndmask_b32 v75, 0, v75, s1
	s_delay_alu instid0(VALU_DEP_1) | instskip(NEXT) | instid1(VALU_DEP_1)
	v_cmp_gt_i32_e64 s1, s34, v18
	v_cndmask_b32_e64 v76, 0, v76, s1
.LBB327_843:                            ;   in Loop: Header=BB327_532 Depth=1
	s_or_b32 exec_lo, exec_lo, s23
	global_load_b64 v[32:33], v[30:31], off offset:1280
	v_dual_mov_b32 v87, 0 :: v_dual_mov_b32 v88, 0
	s_mov_b32 s23, exec_lo
	s_wait_loadcnt 0x0
	v_and_b32_e32 v18, 0xff, v32
	s_delay_alu instid0(VALU_DEP_1)
	v_cmpx_ne_u16_e32 0, v18
	s_cbranch_execz .LBB327_849
; %bb.844:                              ;   in Loop: Header=BB327_532 Depth=1
	v_bfrev_b32_e32 v88, 1
	s_mov_b32 s24, exec_lo
	v_cmpx_ne_u16_e32 0x80, v18
	s_cbranch_execz .LBB327_848
; %bb.845:                              ;   in Loop: Header=BB327_532 Depth=1
	v_and_b32_e32 v18, 0x7f, v32
	v_mov_b32_e32 v88, 0x7f800001
	s_mov_b32 s25, exec_lo
	s_delay_alu instid0(VALU_DEP_2)
	v_cmpx_ne_u32_e32 0x7f, v18
	s_cbranch_execz .LBB327_847
; %bb.846:                              ;   in Loop: Header=BB327_532 Depth=1
	v_dual_lshrrev_b32 v35, 3, v18 :: v_dual_bitop2_b32 v34, 7, v32 bitop3:0x40
	v_cmp_gt_u32_e64 s1, 8, v18
	s_delay_alu instid0(VALU_DEP_2) | instskip(NEXT) | instid1(VALU_DEP_1)
	v_clz_i32_u32_e32 v34, v34
	v_min_u32_e32 v34, 32, v34
	s_delay_alu instid0(VALU_DEP_1) | instskip(SKIP_1) | instid1(VALU_DEP_1)
	v_subrev_nc_u32_e32 v83, 28, v34
	v_sub_nc_u32_e32 v34, 29, v34
	v_dual_cndmask_b32 v18, v35, v34, s1 :: v_dual_cndmask_b32 v34, 0, v83, s1
	s_delay_alu instid0(VALU_DEP_1) | instskip(NEXT) | instid1(VALU_DEP_2)
	v_lshl_add_u32 v18, v18, 23, 0x3c000000
	v_lshlrev_b64_e32 v[34:35], v34, v[32:33]
	v_lshlrev_b32_e32 v35, 24, v32
	s_delay_alu instid0(VALU_DEP_1) | instskip(NEXT) | instid1(VALU_DEP_3)
	v_and_b32_e32 v35, 0x80000000, v35
	v_lshlrev_b32_e32 v34, 20, v34
	s_delay_alu instid0(VALU_DEP_1) | instskip(NEXT) | instid1(VALU_DEP_1)
	v_and_b32_e32 v34, 0x700000, v34
	v_or3_b32 v88, v34, v35, v18
.LBB327_847:                            ;   in Loop: Header=BB327_532 Depth=1
	s_or_b32 exec_lo, exec_lo, s25
.LBB327_848:                            ;   in Loop: Header=BB327_532 Depth=1
	s_delay_alu instid0(SALU_CYCLE_1)
	s_or_b32 exec_lo, exec_lo, s24
.LBB327_849:                            ;   in Loop: Header=BB327_532 Depth=1
	s_delay_alu instid0(SALU_CYCLE_1) | instskip(SKIP_2) | instid1(VALU_DEP_1)
	s_or_b32 exec_lo, exec_lo, s23
	v_lshrrev_b16 v18, 8, v32
	s_mov_b32 s23, exec_lo
	v_cmpx_ne_u16_e32 0, v18
	s_cbranch_execz .LBB327_857
; %bb.850:                              ;   in Loop: Header=BB327_532 Depth=1
	v_bfrev_b32_e32 v87, 1
	s_mov_b32 s24, exec_lo
	v_cmpx_ne_u16_e32 0x80, v18
	s_cbranch_execz .LBB327_856
; %bb.851:                              ;   in Loop: Header=BB327_532 Depth=1
	v_and_b32_e32 v18, 0xffff, v18
	v_mov_b32_e32 v87, 0x7f800001
	s_mov_b32 s25, exec_lo
	s_delay_alu instid0(VALU_DEP_2) | instskip(NEXT) | instid1(VALU_DEP_1)
	v_and_b32_e32 v35, 0x7f, v18
	v_cmpx_ne_u32_e32 0x7f, v35
	s_cbranch_execz .LBB327_855
; %bb.852:                              ;   in Loop: Header=BB327_532 Depth=1
	v_dual_lshrrev_b32 v34, 3, v35 :: v_dual_bitop2_b32 v18, 7, v18 bitop3:0x40
	s_mov_b32 s36, exec_lo
	v_cmpx_gt_u32_e32 8, v35
; %bb.853:                              ;   in Loop: Header=BB327_532 Depth=1
	s_delay_alu instid0(VALU_DEP_2) | instskip(NEXT) | instid1(VALU_DEP_1)
	v_clz_i32_u32_e32 v34, v18
	v_min_u32_e32 v34, 32, v34
	s_delay_alu instid0(VALU_DEP_1) | instskip(NEXT) | instid1(VALU_DEP_1)
	v_subrev_nc_u32_e32 v35, 28, v34
	v_lshlrev_b64_e32 v[84:85], v35, v[18:19]
	s_delay_alu instid0(VALU_DEP_1)
	v_dual_sub_nc_u32 v34, 29, v34 :: v_dual_bitop2_b32 v18, 7, v84 bitop3:0x40
; %bb.854:                              ;   in Loop: Header=BB327_532 Depth=1
	s_or_b32 exec_lo, exec_lo, s36
	s_delay_alu instid0(VALU_DEP_1) | instskip(NEXT) | instid1(VALU_DEP_2)
	v_dual_lshlrev_b32 v35, 16, v32 :: v_dual_lshlrev_b32 v18, 20, v18
	v_lshl_add_u32 v34, v34, 23, 0x3c000000
	s_delay_alu instid0(VALU_DEP_2) | instskip(NEXT) | instid1(VALU_DEP_1)
	v_and_b32_e32 v35, 0x80000000, v35
	v_or3_b32 v87, v18, v35, v34
.LBB327_855:                            ;   in Loop: Header=BB327_532 Depth=1
	s_or_b32 exec_lo, exec_lo, s25
.LBB327_856:                            ;   in Loop: Header=BB327_532 Depth=1
	s_delay_alu instid0(SALU_CYCLE_1)
	s_or_b32 exec_lo, exec_lo, s24
.LBB327_857:                            ;   in Loop: Header=BB327_532 Depth=1
	s_delay_alu instid0(SALU_CYCLE_1) | instskip(SKIP_3) | instid1(VALU_DEP_2)
	s_or_b32 exec_lo, exec_lo, s23
	v_dual_mov_b32 v85, 0 :: v_dual_lshrrev_b32 v34, 16, v32
	v_mov_b32_e32 v86, 0
	s_mov_b32 s23, exec_lo
	v_and_b32_e32 v18, 0xff, v34
	s_delay_alu instid0(VALU_DEP_1)
	v_cmpx_ne_u16_e32 0, v18
	s_cbranch_execz .LBB327_865
; %bb.858:                              ;   in Loop: Header=BB327_532 Depth=1
	v_bfrev_b32_e32 v86, 1
	s_mov_b32 s24, exec_lo
	v_cmpx_ne_u16_e32 0x80, v18
	s_cbranch_execz .LBB327_864
; %bb.859:                              ;   in Loop: Header=BB327_532 Depth=1
	v_bfe_u32 v83, v32, 16, 7
	v_mov_b32_e32 v86, 0x7f800001
	s_mov_b32 s25, exec_lo
	s_delay_alu instid0(VALU_DEP_2)
	v_cmpx_ne_u32_e32 0x7f, v83
	s_cbranch_execz .LBB327_863
; %bb.860:                              ;   in Loop: Header=BB327_532 Depth=1
	v_dual_lshrrev_b32 v35, 3, v83 :: v_dual_bitop2_b32 v18, 7, v34 bitop3:0x40
	s_mov_b32 s36, exec_lo
	v_cmpx_gt_u32_e32 8, v83
; %bb.861:                              ;   in Loop: Header=BB327_532 Depth=1
	s_delay_alu instid0(VALU_DEP_2) | instskip(NEXT) | instid1(VALU_DEP_1)
	v_clz_i32_u32_e32 v35, v18
	v_min_u32_e32 v35, 32, v35
	s_delay_alu instid0(VALU_DEP_1) | instskip(NEXT) | instid1(VALU_DEP_1)
	v_subrev_nc_u32_e32 v83, 28, v35
	v_lshlrev_b64_e32 v[90:91], v83, v[18:19]
	s_delay_alu instid0(VALU_DEP_1)
	v_dual_sub_nc_u32 v35, 29, v35 :: v_dual_bitop2_b32 v18, 7, v90 bitop3:0x40
; %bb.862:                              ;   in Loop: Header=BB327_532 Depth=1
	s_or_b32 exec_lo, exec_lo, s36
	v_lshlrev_b32_e32 v34, 24, v34
	s_delay_alu instid0(VALU_DEP_2) | instskip(NEXT) | instid1(VALU_DEP_3)
	v_lshlrev_b32_e32 v18, 20, v18
	v_lshl_add_u32 v35, v35, 23, 0x3c000000
	s_delay_alu instid0(VALU_DEP_3) | instskip(NEXT) | instid1(VALU_DEP_1)
	v_and_b32_e32 v34, 0x80000000, v34
	v_or3_b32 v86, v18, v34, v35
.LBB327_863:                            ;   in Loop: Header=BB327_532 Depth=1
	s_or_b32 exec_lo, exec_lo, s25
.LBB327_864:                            ;   in Loop: Header=BB327_532 Depth=1
	s_delay_alu instid0(SALU_CYCLE_1)
	s_or_b32 exec_lo, exec_lo, s24
.LBB327_865:                            ;   in Loop: Header=BB327_532 Depth=1
	s_delay_alu instid0(SALU_CYCLE_1) | instskip(NEXT) | instid1(SALU_CYCLE_1)
	s_or_b32 exec_lo, exec_lo, s23
	s_mov_b32 s23, exec_lo
	v_cmpx_lt_u32_e32 0xffffff, v32
	s_cbranch_execz .LBB327_873
; %bb.866:                              ;   in Loop: Header=BB327_532 Depth=1
	v_lshrrev_b32_e32 v34, 24, v32
	v_bfrev_b32_e32 v85, 1
	s_mov_b32 s24, exec_lo
	s_delay_alu instid0(VALU_DEP_2)
	v_cmpx_ne_u32_e32 0x80, v34
	s_cbranch_execz .LBB327_872
; %bb.867:                              ;   in Loop: Header=BB327_532 Depth=1
	v_bfe_u32 v83, v32, 24, 7
	v_mov_b32_e32 v85, 0x7f800001
	s_mov_b32 s25, exec_lo
	s_delay_alu instid0(VALU_DEP_2)
	v_cmpx_ne_u32_e32 0x7f, v83
	s_cbranch_execz .LBB327_871
; %bb.868:                              ;   in Loop: Header=BB327_532 Depth=1
	v_dual_lshrrev_b32 v35, 3, v83 :: v_dual_bitop2_b32 v18, 7, v34 bitop3:0x40
	s_mov_b32 s36, exec_lo
	v_cmpx_gt_u32_e32 8, v83
; %bb.869:                              ;   in Loop: Header=BB327_532 Depth=1
	s_delay_alu instid0(VALU_DEP_2) | instskip(NEXT) | instid1(VALU_DEP_1)
	v_clz_i32_u32_e32 v35, v18
	v_min_u32_e32 v35, 32, v35
	s_delay_alu instid0(VALU_DEP_1) | instskip(NEXT) | instid1(VALU_DEP_1)
	v_subrev_nc_u32_e32 v83, 28, v35
	v_lshlrev_b64_e32 v[84:85], v83, v[18:19]
	s_delay_alu instid0(VALU_DEP_1)
	v_dual_sub_nc_u32 v35, 29, v35 :: v_dual_bitop2_b32 v18, 7, v84 bitop3:0x40
; %bb.870:                              ;   in Loop: Header=BB327_532 Depth=1
	s_or_b32 exec_lo, exec_lo, s36
	v_lshlrev_b32_e32 v34, 24, v34
	s_delay_alu instid0(VALU_DEP_2) | instskip(NEXT) | instid1(VALU_DEP_3)
	v_lshlrev_b32_e32 v18, 20, v18
	v_lshl_add_u32 v35, v35, 23, 0x3c000000
	s_delay_alu instid0(VALU_DEP_3) | instskip(NEXT) | instid1(VALU_DEP_1)
	v_and_b32_e32 v34, 0x80000000, v34
	v_or3_b32 v85, v18, v34, v35
.LBB327_871:                            ;   in Loop: Header=BB327_532 Depth=1
	s_or_b32 exec_lo, exec_lo, s25
.LBB327_872:                            ;   in Loop: Header=BB327_532 Depth=1
	s_delay_alu instid0(SALU_CYCLE_1)
	s_or_b32 exec_lo, exec_lo, s24
.LBB327_873:                            ;   in Loop: Header=BB327_532 Depth=1
	s_delay_alu instid0(SALU_CYCLE_1) | instskip(SKIP_4) | instid1(VALU_DEP_3)
	s_or_b32 exec_lo, exec_lo, s23
	v_and_b32_e32 v35, 0xff, v33
	v_dual_mov_b32 v18, v33 :: v_dual_mov_b32 v34, 0
	v_mov_b32_e32 v84, 0
	s_mov_b32 s23, exec_lo
	v_cmpx_ne_u16_e32 0, v35
	s_cbranch_execz .LBB327_879
; %bb.874:                              ;   in Loop: Header=BB327_532 Depth=1
	v_bfrev_b32_e32 v84, 1
	s_mov_b32 s24, exec_lo
	v_cmpx_ne_u16_e32 0x80, v35
	s_cbranch_execz .LBB327_878
; %bb.875:                              ;   in Loop: Header=BB327_532 Depth=1
	v_and_b32_e32 v35, 0x7f, v33
	v_mov_b32_e32 v84, 0x7f800001
	s_mov_b32 s25, exec_lo
	s_delay_alu instid0(VALU_DEP_2)
	v_cmpx_ne_u32_e32 0x7f, v35
	s_cbranch_execz .LBB327_877
; %bb.876:                              ;   in Loop: Header=BB327_532 Depth=1
	v_dual_lshrrev_b32 v84, 3, v35 :: v_dual_bitop2_b32 v83, 7, v33 bitop3:0x40
	v_cmp_gt_u32_e64 s1, 8, v35
	s_delay_alu instid0(VALU_DEP_2) | instskip(NEXT) | instid1(VALU_DEP_1)
	v_clz_i32_u32_e32 v83, v83
	v_min_u32_e32 v83, 32, v83
	s_delay_alu instid0(VALU_DEP_1) | instskip(SKIP_1) | instid1(VALU_DEP_1)
	v_subrev_nc_u32_e32 v89, 28, v83
	v_sub_nc_u32_e32 v83, 29, v83
	v_dual_cndmask_b32 v35, v84, v83, s1 :: v_dual_cndmask_b32 v83, 0, v89, s1
	s_delay_alu instid0(VALU_DEP_1) | instskip(NEXT) | instid1(VALU_DEP_2)
	v_lshl_add_u32 v35, v35, 23, 0x3c000000
	v_lshlrev_b64_e32 v[90:91], v83, v[18:19]
	v_lshlrev_b32_e32 v83, 24, v18
	s_delay_alu instid0(VALU_DEP_1) | instskip(NEXT) | instid1(VALU_DEP_3)
	v_and_b32_e32 v83, 0x80000000, v83
	v_lshlrev_b32_e32 v84, 20, v90
	s_delay_alu instid0(VALU_DEP_1) | instskip(NEXT) | instid1(VALU_DEP_1)
	v_and_b32_e32 v84, 0x700000, v84
	v_or3_b32 v84, v84, v83, v35
.LBB327_877:                            ;   in Loop: Header=BB327_532 Depth=1
	s_or_b32 exec_lo, exec_lo, s25
.LBB327_878:                            ;   in Loop: Header=BB327_532 Depth=1
	s_delay_alu instid0(SALU_CYCLE_1)
	s_or_b32 exec_lo, exec_lo, s24
.LBB327_879:                            ;   in Loop: Header=BB327_532 Depth=1
	s_delay_alu instid0(SALU_CYCLE_1) | instskip(SKIP_2) | instid1(VALU_DEP_1)
	s_or_b32 exec_lo, exec_lo, s23
	v_lshrrev_b16 v35, 8, v18
	s_mov_b32 s23, exec_lo
	v_cmpx_ne_u16_e32 0, v35
	s_cbranch_execz .LBB327_887
; %bb.880:                              ;   in Loop: Header=BB327_532 Depth=1
	v_bfrev_b32_e32 v34, 1
	s_mov_b32 s24, exec_lo
	v_cmpx_ne_u16_e32 0x80, v35
	s_cbranch_execz .LBB327_886
; %bb.881:                              ;   in Loop: Header=BB327_532 Depth=1
	v_and_b32_e32 v35, 0xffff, v35
	v_mov_b32_e32 v34, 0x7f800001
	s_mov_b32 s25, exec_lo
	s_delay_alu instid0(VALU_DEP_2) | instskip(NEXT) | instid1(VALU_DEP_1)
	v_and_b32_e32 v89, 0x7f, v35
	v_cmpx_ne_u32_e32 0x7f, v89
	s_cbranch_execz .LBB327_885
; %bb.882:                              ;   in Loop: Header=BB327_532 Depth=1
	v_dual_mov_b32 v35, v19 :: v_dual_bitop2_b32 v34, 7, v35 bitop3:0x40
	v_lshrrev_b32_e32 v83, 3, v89
	s_mov_b32 s36, exec_lo
	v_cmpx_gt_u32_e32 8, v89
; %bb.883:                              ;   in Loop: Header=BB327_532 Depth=1
	s_delay_alu instid0(VALU_DEP_3) | instskip(NEXT) | instid1(VALU_DEP_1)
	v_clz_i32_u32_e32 v83, v34
	v_min_u32_e32 v83, 32, v83
	s_delay_alu instid0(VALU_DEP_1) | instskip(NEXT) | instid1(VALU_DEP_1)
	v_subrev_nc_u32_e32 v89, 28, v83
	v_lshlrev_b64_e32 v[34:35], v89, v[34:35]
	s_delay_alu instid0(VALU_DEP_1)
	v_dual_sub_nc_u32 v83, 29, v83 :: v_dual_bitop2_b32 v34, 7, v34 bitop3:0x40
; %bb.884:                              ;   in Loop: Header=BB327_532 Depth=1
	s_or_b32 exec_lo, exec_lo, s36
	v_lshlrev_b32_e32 v18, 16, v18
	s_delay_alu instid0(VALU_DEP_2) | instskip(NEXT) | instid1(VALU_DEP_3)
	v_lshlrev_b32_e32 v34, 20, v34
	v_lshl_add_u32 v35, v83, 23, 0x3c000000
	s_delay_alu instid0(VALU_DEP_3) | instskip(NEXT) | instid1(VALU_DEP_1)
	v_and_b32_e32 v18, 0x80000000, v18
	v_or3_b32 v34, v34, v18, v35
.LBB327_885:                            ;   in Loop: Header=BB327_532 Depth=1
	s_or_b32 exec_lo, exec_lo, s25
.LBB327_886:                            ;   in Loop: Header=BB327_532 Depth=1
	s_delay_alu instid0(SALU_CYCLE_1)
	s_or_b32 exec_lo, exec_lo, s24
.LBB327_887:                            ;   in Loop: Header=BB327_532 Depth=1
	s_delay_alu instid0(SALU_CYCLE_1) | instskip(SKIP_3) | instid1(VALU_DEP_2)
	s_or_b32 exec_lo, exec_lo, s23
	v_dual_lshrrev_b32 v83, 16, v33 :: v_dual_mov_b32 v35, 0
	v_mov_b32_e32 v89, 0
	s_mov_b32 s23, exec_lo
	v_and_b32_e32 v18, 0xff, v83
	s_delay_alu instid0(VALU_DEP_1)
	v_cmpx_ne_u16_e32 0, v18
	s_cbranch_execz .LBB327_895
; %bb.888:                              ;   in Loop: Header=BB327_532 Depth=1
	v_bfrev_b32_e32 v89, 1
	s_mov_b32 s24, exec_lo
	v_cmpx_ne_u16_e32 0x80, v18
	s_cbranch_execz .LBB327_894
; %bb.889:                              ;   in Loop: Header=BB327_532 Depth=1
	v_bfe_u32 v90, v33, 16, 7
	v_mov_b32_e32 v89, 0x7f800001
	s_mov_b32 s25, exec_lo
	s_delay_alu instid0(VALU_DEP_2)
	v_cmpx_ne_u32_e32 0x7f, v90
	s_cbranch_execz .LBB327_893
; %bb.890:                              ;   in Loop: Header=BB327_532 Depth=1
	v_dual_lshrrev_b32 v89, 3, v90 :: v_dual_bitop2_b32 v18, 7, v83 bitop3:0x40
	s_mov_b32 s36, exec_lo
	v_cmpx_gt_u32_e32 8, v90
; %bb.891:                              ;   in Loop: Header=BB327_532 Depth=1
	s_delay_alu instid0(VALU_DEP_2) | instskip(NEXT) | instid1(VALU_DEP_1)
	v_clz_i32_u32_e32 v89, v18
	v_min_u32_e32 v89, 32, v89
	s_delay_alu instid0(VALU_DEP_1) | instskip(NEXT) | instid1(VALU_DEP_1)
	v_subrev_nc_u32_e32 v90, 28, v89
	v_lshlrev_b64_e32 v[90:91], v90, v[18:19]
	s_delay_alu instid0(VALU_DEP_1)
	v_dual_sub_nc_u32 v89, 29, v89 :: v_dual_bitop2_b32 v18, 7, v90 bitop3:0x40
; %bb.892:                              ;   in Loop: Header=BB327_532 Depth=1
	s_or_b32 exec_lo, exec_lo, s36
	s_delay_alu instid0(VALU_DEP_1) | instskip(NEXT) | instid1(VALU_DEP_2)
	v_dual_lshlrev_b32 v83, 24, v83 :: v_dual_lshlrev_b32 v18, 20, v18
	v_lshl_add_u32 v89, v89, 23, 0x3c000000
	s_delay_alu instid0(VALU_DEP_2) | instskip(NEXT) | instid1(VALU_DEP_1)
	v_and_b32_e32 v83, 0x80000000, v83
	v_or3_b32 v89, v18, v83, v89
.LBB327_893:                            ;   in Loop: Header=BB327_532 Depth=1
	s_or_b32 exec_lo, exec_lo, s25
.LBB327_894:                            ;   in Loop: Header=BB327_532 Depth=1
	s_delay_alu instid0(SALU_CYCLE_1)
	s_or_b32 exec_lo, exec_lo, s24
.LBB327_895:                            ;   in Loop: Header=BB327_532 Depth=1
	s_delay_alu instid0(SALU_CYCLE_1) | instskip(NEXT) | instid1(SALU_CYCLE_1)
	s_or_b32 exec_lo, exec_lo, s23
	s_mov_b32 s23, exec_lo
	v_cmpx_lt_u64_e64 s[8:9], v[32:33]
	s_cbranch_execz .LBB327_903
; %bb.896:                              ;   in Loop: Header=BB327_532 Depth=1
	v_lshrrev_b32_e32 v32, 24, v33
	v_bfrev_b32_e32 v35, 1
	s_mov_b32 s24, exec_lo
	s_delay_alu instid0(VALU_DEP_2)
	v_cmpx_ne_u32_e32 0x80, v32
	s_cbranch_execz .LBB327_902
; %bb.897:                              ;   in Loop: Header=BB327_532 Depth=1
	v_bfe_u32 v83, v33, 24, 7
	v_mov_b32_e32 v35, 0x7f800001
	s_mov_b32 s25, exec_lo
	s_delay_alu instid0(VALU_DEP_2)
	v_cmpx_ne_u32_e32 0x7f, v83
	s_cbranch_execz .LBB327_901
; %bb.898:                              ;   in Loop: Header=BB327_532 Depth=1
	v_dual_lshrrev_b32 v33, 3, v83 :: v_dual_bitop2_b32 v18, 7, v32 bitop3:0x40
	s_mov_b32 s36, exec_lo
	v_cmpx_gt_u32_e32 8, v83
; %bb.899:                              ;   in Loop: Header=BB327_532 Depth=1
	s_delay_alu instid0(VALU_DEP_2) | instskip(NEXT) | instid1(VALU_DEP_1)
	v_clz_i32_u32_e32 v33, v18
	v_min_u32_e32 v33, 32, v33
	s_delay_alu instid0(VALU_DEP_1) | instskip(NEXT) | instid1(VALU_DEP_1)
	v_subrev_nc_u32_e32 v35, 28, v33
	v_lshlrev_b64_e32 v[90:91], v35, v[18:19]
	s_delay_alu instid0(VALU_DEP_1)
	v_dual_sub_nc_u32 v33, 29, v33 :: v_dual_bitop2_b32 v18, 7, v90 bitop3:0x40
; %bb.900:                              ;   in Loop: Header=BB327_532 Depth=1
	s_or_b32 exec_lo, exec_lo, s36
	s_delay_alu instid0(VALU_DEP_1) | instskip(NEXT) | instid1(VALU_DEP_2)
	v_dual_lshlrev_b32 v32, 24, v32 :: v_dual_lshlrev_b32 v18, 20, v18
	v_lshl_add_u32 v33, v33, 23, 0x3c000000
	s_delay_alu instid0(VALU_DEP_2) | instskip(NEXT) | instid1(VALU_DEP_1)
	v_and_b32_e32 v32, 0x80000000, v32
	v_or3_b32 v35, v18, v32, v33
.LBB327_901:                            ;   in Loop: Header=BB327_532 Depth=1
	s_or_b32 exec_lo, exec_lo, s25
.LBB327_902:                            ;   in Loop: Header=BB327_532 Depth=1
	s_delay_alu instid0(SALU_CYCLE_1)
	s_or_b32 exec_lo, exec_lo, s24
.LBB327_903:                            ;   in Loop: Header=BB327_532 Depth=1
	s_delay_alu instid0(SALU_CYCLE_1)
	s_or_b32 exec_lo, exec_lo, s23
	v_fma_mixlo_bf16 v83, s22, v34, 0
	v_fma_mixlo_bf16 v84, s22, v84, 0
	;; [unrolled: 1-line block ×8, first 2 shown]
	s_and_saveexec_b32 s23, s0
	s_cbranch_execz .LBB327_905
; %bb.904:                              ;   in Loop: Header=BB327_532 Depth=1
	v_dual_add_nc_u32 v18, 1, v50 :: v_dual_add_nc_u32 v32, 2, v50
	v_cmp_gt_i32_e64 s1, s34, v50
	s_delay_alu instid0(VALU_DEP_1) | instskip(NEXT) | instid1(VALU_DEP_3)
	v_dual_add_nc_u32 v33, 3, v50 :: v_dual_cndmask_b32 v88, 0, v88, s1
	v_cmp_gt_i32_e64 s1, s34, v18
	s_delay_alu instid0(VALU_DEP_1) | instskip(SKIP_2) | instid1(VALU_DEP_2)
	v_cndmask_b32_e64 v87, 0, v87, s1
	v_cmp_gt_i32_e64 s1, s34, v32
	v_add_nc_u32_e32 v32, 5, v50
	v_cndmask_b32_e64 v86, 0, v86, s1
	v_cmp_gt_i32_e64 s1, s34, v33
	v_dual_add_nc_u32 v18, 4, v50 :: v_dual_add_nc_u32 v33, 6, v50
	s_delay_alu instid0(VALU_DEP_2) | instskip(NEXT) | instid1(VALU_DEP_2)
	v_cndmask_b32_e64 v85, 0, v85, s1
	v_cmp_gt_i32_e64 s1, s34, v18
	s_delay_alu instid0(VALU_DEP_1) | instskip(SKIP_1) | instid1(VALU_DEP_1)
	v_dual_add_nc_u32 v18, 7, v50 :: v_dual_cndmask_b32 v84, 0, v84, s1
	v_cmp_gt_i32_e64 s1, s34, v32
	v_cndmask_b32_e64 v83, 0, v83, s1
	v_cmp_gt_i32_e64 s1, s34, v33
	s_delay_alu instid0(VALU_DEP_1) | instskip(SKIP_1) | instid1(VALU_DEP_1)
	v_cndmask_b32_e64 v34, 0, v34, s1
	v_cmp_gt_i32_e64 s1, s34, v18
	v_cndmask_b32_e64 v35, 0, v35, s1
.LBB327_905:                            ;   in Loop: Header=BB327_532 Depth=1
	s_or_b32 exec_lo, exec_lo, s23
	global_load_b64 v[30:31], v[30:31], off offset:1536
	v_dual_mov_b32 v92, 0 :: v_dual_mov_b32 v89, 0
	s_mov_b32 s23, exec_lo
	s_wait_loadcnt 0x0
	v_and_b32_e32 v18, 0xff, v30
	s_delay_alu instid0(VALU_DEP_1)
	v_cmpx_ne_u16_e32 0, v18
	s_cbranch_execz .LBB327_911
; %bb.906:                              ;   in Loop: Header=BB327_532 Depth=1
	v_bfrev_b32_e32 v89, 1
	s_mov_b32 s24, exec_lo
	v_cmpx_ne_u16_e32 0x80, v18
	s_cbranch_execz .LBB327_910
; %bb.907:                              ;   in Loop: Header=BB327_532 Depth=1
	v_and_b32_e32 v18, 0x7f, v30
	v_mov_b32_e32 v89, 0x7f800001
	s_mov_b32 s25, exec_lo
	s_delay_alu instid0(VALU_DEP_2)
	v_cmpx_ne_u32_e32 0x7f, v18
	s_cbranch_execz .LBB327_909
; %bb.908:                              ;   in Loop: Header=BB327_532 Depth=1
	v_and_b32_e32 v32, 7, v30
	v_cmp_gt_u32_e64 s1, 8, v18
	s_delay_alu instid0(VALU_DEP_2) | instskip(NEXT) | instid1(VALU_DEP_1)
	v_clz_i32_u32_e32 v32, v32
	v_min_u32_e32 v32, 32, v32
	v_lshrrev_b32_e32 v33, 3, v18
	s_delay_alu instid0(VALU_DEP_2) | instskip(SKIP_1) | instid1(VALU_DEP_1)
	v_subrev_nc_u32_e32 v89, 28, v32
	v_sub_nc_u32_e32 v32, 29, v32
	v_dual_cndmask_b32 v18, v33, v32, s1 :: v_dual_cndmask_b32 v32, 0, v89, s1
	s_delay_alu instid0(VALU_DEP_1) | instskip(NEXT) | instid1(VALU_DEP_2)
	v_lshl_add_u32 v18, v18, 23, 0x3c000000
	v_lshlrev_b64_e32 v[32:33], v32, v[30:31]
	v_lshlrev_b32_e32 v33, 24, v30
	s_delay_alu instid0(VALU_DEP_1) | instskip(NEXT) | instid1(VALU_DEP_3)
	v_and_b32_e32 v33, 0x80000000, v33
	v_lshlrev_b32_e32 v32, 20, v32
	s_delay_alu instid0(VALU_DEP_1) | instskip(NEXT) | instid1(VALU_DEP_1)
	v_and_b32_e32 v32, 0x700000, v32
	v_or3_b32 v89, v32, v33, v18
.LBB327_909:                            ;   in Loop: Header=BB327_532 Depth=1
	s_or_b32 exec_lo, exec_lo, s25
.LBB327_910:                            ;   in Loop: Header=BB327_532 Depth=1
	s_delay_alu instid0(SALU_CYCLE_1)
	s_or_b32 exec_lo, exec_lo, s24
.LBB327_911:                            ;   in Loop: Header=BB327_532 Depth=1
	s_delay_alu instid0(SALU_CYCLE_1) | instskip(SKIP_2) | instid1(VALU_DEP_1)
	s_or_b32 exec_lo, exec_lo, s23
	v_lshrrev_b16 v18, 8, v30
	s_mov_b32 s23, exec_lo
	v_cmpx_ne_u16_e32 0, v18
	s_cbranch_execz .LBB327_919
; %bb.912:                              ;   in Loop: Header=BB327_532 Depth=1
	v_bfrev_b32_e32 v92, 1
	s_mov_b32 s24, exec_lo
	v_cmpx_ne_u16_e32 0x80, v18
	s_cbranch_execz .LBB327_918
; %bb.913:                              ;   in Loop: Header=BB327_532 Depth=1
	v_and_b32_e32 v18, 0xffff, v18
	v_mov_b32_e32 v92, 0x7f800001
	s_mov_b32 s25, exec_lo
	s_delay_alu instid0(VALU_DEP_2) | instskip(NEXT) | instid1(VALU_DEP_1)
	v_and_b32_e32 v33, 0x7f, v18
	v_cmpx_ne_u32_e32 0x7f, v33
	s_cbranch_execz .LBB327_917
; %bb.914:                              ;   in Loop: Header=BB327_532 Depth=1
	v_dual_lshrrev_b32 v32, 3, v33 :: v_dual_bitop2_b32 v18, 7, v18 bitop3:0x40
	s_mov_b32 s36, exec_lo
	v_cmpx_gt_u32_e32 8, v33
; %bb.915:                              ;   in Loop: Header=BB327_532 Depth=1
	s_delay_alu instid0(VALU_DEP_2) | instskip(NEXT) | instid1(VALU_DEP_1)
	v_clz_i32_u32_e32 v32, v18
	v_min_u32_e32 v32, 32, v32
	s_delay_alu instid0(VALU_DEP_1) | instskip(NEXT) | instid1(VALU_DEP_1)
	v_subrev_nc_u32_e32 v33, 28, v32
	v_lshlrev_b64_e32 v[90:91], v33, v[18:19]
	s_delay_alu instid0(VALU_DEP_1)
	v_dual_sub_nc_u32 v32, 29, v32 :: v_dual_bitop2_b32 v18, 7, v90 bitop3:0x40
; %bb.916:                              ;   in Loop: Header=BB327_532 Depth=1
	s_or_b32 exec_lo, exec_lo, s36
	v_lshlrev_b32_e32 v33, 16, v30
	s_delay_alu instid0(VALU_DEP_2) | instskip(NEXT) | instid1(VALU_DEP_3)
	v_lshlrev_b32_e32 v18, 20, v18
	v_lshl_add_u32 v32, v32, 23, 0x3c000000
	s_delay_alu instid0(VALU_DEP_3) | instskip(NEXT) | instid1(VALU_DEP_1)
	v_and_b32_e32 v33, 0x80000000, v33
	v_or3_b32 v92, v18, v33, v32
.LBB327_917:                            ;   in Loop: Header=BB327_532 Depth=1
	s_or_b32 exec_lo, exec_lo, s25
.LBB327_918:                            ;   in Loop: Header=BB327_532 Depth=1
	s_delay_alu instid0(SALU_CYCLE_1)
	s_or_b32 exec_lo, exec_lo, s24
.LBB327_919:                            ;   in Loop: Header=BB327_532 Depth=1
	s_delay_alu instid0(SALU_CYCLE_1) | instskip(SKIP_3) | instid1(VALU_DEP_2)
	s_or_b32 exec_lo, exec_lo, s23
	v_dual_lshrrev_b32 v32, 16, v30 :: v_dual_mov_b32 v90, 0
	v_mov_b32_e32 v91, 0
	s_mov_b32 s23, exec_lo
	v_and_b32_e32 v18, 0xff, v32
	s_delay_alu instid0(VALU_DEP_1)
	v_cmpx_ne_u16_e32 0, v18
	s_cbranch_execz .LBB327_927
; %bb.920:                              ;   in Loop: Header=BB327_532 Depth=1
	v_bfrev_b32_e32 v91, 1
	s_mov_b32 s24, exec_lo
	v_cmpx_ne_u16_e32 0x80, v18
	s_cbranch_execz .LBB327_926
; %bb.921:                              ;   in Loop: Header=BB327_532 Depth=1
	v_bfe_u32 v93, v30, 16, 7
	v_mov_b32_e32 v91, 0x7f800001
	s_mov_b32 s25, exec_lo
	s_delay_alu instid0(VALU_DEP_2)
	v_cmpx_ne_u32_e32 0x7f, v93
	s_cbranch_execz .LBB327_925
; %bb.922:                              ;   in Loop: Header=BB327_532 Depth=1
	v_dual_lshrrev_b32 v33, 3, v93 :: v_dual_bitop2_b32 v18, 7, v32 bitop3:0x40
	s_mov_b32 s36, exec_lo
	v_cmpx_gt_u32_e32 8, v93
; %bb.923:                              ;   in Loop: Header=BB327_532 Depth=1
	s_delay_alu instid0(VALU_DEP_2) | instskip(NEXT) | instid1(VALU_DEP_1)
	v_clz_i32_u32_e32 v33, v18
	v_min_u32_e32 v33, 32, v33
	s_delay_alu instid0(VALU_DEP_1) | instskip(NEXT) | instid1(VALU_DEP_1)
	v_subrev_nc_u32_e32 v91, 28, v33
	v_lshlrev_b64_e32 v[94:95], v91, v[18:19]
	s_delay_alu instid0(VALU_DEP_1)
	v_dual_sub_nc_u32 v33, 29, v33 :: v_dual_bitop2_b32 v18, 7, v94 bitop3:0x40
; %bb.924:                              ;   in Loop: Header=BB327_532 Depth=1
	s_or_b32 exec_lo, exec_lo, s36
	s_delay_alu instid0(VALU_DEP_1) | instskip(NEXT) | instid1(VALU_DEP_2)
	v_dual_lshlrev_b32 v32, 24, v32 :: v_dual_lshlrev_b32 v18, 20, v18
	v_lshl_add_u32 v33, v33, 23, 0x3c000000
	s_delay_alu instid0(VALU_DEP_2) | instskip(NEXT) | instid1(VALU_DEP_1)
	v_and_b32_e32 v32, 0x80000000, v32
	v_or3_b32 v91, v18, v32, v33
.LBB327_925:                            ;   in Loop: Header=BB327_532 Depth=1
	s_or_b32 exec_lo, exec_lo, s25
.LBB327_926:                            ;   in Loop: Header=BB327_532 Depth=1
	s_delay_alu instid0(SALU_CYCLE_1)
	s_or_b32 exec_lo, exec_lo, s24
.LBB327_927:                            ;   in Loop: Header=BB327_532 Depth=1
	s_delay_alu instid0(SALU_CYCLE_1) | instskip(NEXT) | instid1(SALU_CYCLE_1)
	s_or_b32 exec_lo, exec_lo, s23
	s_mov_b32 s23, exec_lo
	v_cmpx_lt_u32_e32 0xffffff, v30
	s_cbranch_execz .LBB327_935
; %bb.928:                              ;   in Loop: Header=BB327_532 Depth=1
	v_lshrrev_b32_e32 v32, 24, v30
	v_bfrev_b32_e32 v90, 1
	s_mov_b32 s24, exec_lo
	s_delay_alu instid0(VALU_DEP_2)
	v_cmpx_ne_u32_e32 0x80, v32
	s_cbranch_execz .LBB327_934
; %bb.929:                              ;   in Loop: Header=BB327_532 Depth=1
	v_bfe_u32 v93, v30, 24, 7
	v_mov_b32_e32 v90, 0x7f800001
	s_mov_b32 s25, exec_lo
	s_delay_alu instid0(VALU_DEP_2)
	v_cmpx_ne_u32_e32 0x7f, v93
	s_cbranch_execz .LBB327_933
; %bb.930:                              ;   in Loop: Header=BB327_532 Depth=1
	v_dual_lshrrev_b32 v33, 3, v93 :: v_dual_bitop2_b32 v18, 7, v32 bitop3:0x40
	s_mov_b32 s36, exec_lo
	v_cmpx_gt_u32_e32 8, v93
; %bb.931:                              ;   in Loop: Header=BB327_532 Depth=1
	s_delay_alu instid0(VALU_DEP_2) | instskip(NEXT) | instid1(VALU_DEP_1)
	v_clz_i32_u32_e32 v33, v18
	v_min_u32_e32 v33, 32, v33
	s_delay_alu instid0(VALU_DEP_1) | instskip(NEXT) | instid1(VALU_DEP_1)
	v_subrev_nc_u32_e32 v90, 28, v33
	v_lshlrev_b64_e32 v[94:95], v90, v[18:19]
	s_delay_alu instid0(VALU_DEP_1)
	v_dual_sub_nc_u32 v33, 29, v33 :: v_dual_bitop2_b32 v18, 7, v94 bitop3:0x40
; %bb.932:                              ;   in Loop: Header=BB327_532 Depth=1
	s_or_b32 exec_lo, exec_lo, s36
	s_delay_alu instid0(VALU_DEP_1) | instskip(NEXT) | instid1(VALU_DEP_2)
	v_dual_lshlrev_b32 v32, 24, v32 :: v_dual_lshlrev_b32 v18, 20, v18
	v_lshl_add_u32 v33, v33, 23, 0x3c000000
	s_delay_alu instid0(VALU_DEP_2) | instskip(NEXT) | instid1(VALU_DEP_1)
	v_and_b32_e32 v32, 0x80000000, v32
	v_or3_b32 v90, v18, v32, v33
.LBB327_933:                            ;   in Loop: Header=BB327_532 Depth=1
	s_or_b32 exec_lo, exec_lo, s25
.LBB327_934:                            ;   in Loop: Header=BB327_532 Depth=1
	s_delay_alu instid0(SALU_CYCLE_1)
	s_or_b32 exec_lo, exec_lo, s24
.LBB327_935:                            ;   in Loop: Header=BB327_532 Depth=1
	s_delay_alu instid0(SALU_CYCLE_1) | instskip(SKIP_4) | instid1(VALU_DEP_3)
	s_or_b32 exec_lo, exec_lo, s23
	v_and_b32_e32 v33, 0xff, v31
	v_dual_mov_b32 v18, v31 :: v_dual_mov_b32 v32, 0
	v_mov_b32_e32 v93, 0
	s_mov_b32 s23, exec_lo
	v_cmpx_ne_u16_e32 0, v33
	s_cbranch_execz .LBB327_941
; %bb.936:                              ;   in Loop: Header=BB327_532 Depth=1
	v_bfrev_b32_e32 v93, 1
	s_mov_b32 s24, exec_lo
	v_cmpx_ne_u16_e32 0x80, v33
	s_cbranch_execz .LBB327_940
; %bb.937:                              ;   in Loop: Header=BB327_532 Depth=1
	v_and_b32_e32 v33, 0x7f, v31
	v_mov_b32_e32 v93, 0x7f800001
	s_mov_b32 s25, exec_lo
	s_delay_alu instid0(VALU_DEP_2)
	v_cmpx_ne_u32_e32 0x7f, v33
	s_cbranch_execz .LBB327_939
; %bb.938:                              ;   in Loop: Header=BB327_532 Depth=1
	v_dual_lshrrev_b32 v94, 3, v33 :: v_dual_bitop2_b32 v93, 7, v31 bitop3:0x40
	v_cmp_gt_u32_e64 s1, 8, v33
	s_delay_alu instid0(VALU_DEP_2) | instskip(NEXT) | instid1(VALU_DEP_1)
	v_clz_i32_u32_e32 v93, v93
	v_min_u32_e32 v93, 32, v93
	s_delay_alu instid0(VALU_DEP_1) | instskip(SKIP_1) | instid1(VALU_DEP_1)
	v_subrev_nc_u32_e32 v95, 28, v93
	v_sub_nc_u32_e32 v93, 29, v93
	v_dual_cndmask_b32 v33, v94, v93, s1 :: v_dual_cndmask_b32 v93, 0, v95, s1
	s_delay_alu instid0(VALU_DEP_1) | instskip(NEXT) | instid1(VALU_DEP_2)
	v_lshl_add_u32 v33, v33, 23, 0x3c000000
	v_lshlrev_b64_e32 v[94:95], v93, v[18:19]
	v_lshlrev_b32_e32 v93, 24, v18
	s_delay_alu instid0(VALU_DEP_1) | instskip(NEXT) | instid1(VALU_DEP_3)
	v_and_b32_e32 v93, 0x80000000, v93
	v_lshlrev_b32_e32 v94, 20, v94
	s_delay_alu instid0(VALU_DEP_1) | instskip(NEXT) | instid1(VALU_DEP_1)
	v_and_b32_e32 v94, 0x700000, v94
	v_or3_b32 v93, v94, v93, v33
.LBB327_939:                            ;   in Loop: Header=BB327_532 Depth=1
	s_or_b32 exec_lo, exec_lo, s25
.LBB327_940:                            ;   in Loop: Header=BB327_532 Depth=1
	s_delay_alu instid0(SALU_CYCLE_1)
	s_or_b32 exec_lo, exec_lo, s24
.LBB327_941:                            ;   in Loop: Header=BB327_532 Depth=1
	s_delay_alu instid0(SALU_CYCLE_1) | instskip(SKIP_2) | instid1(VALU_DEP_1)
	s_or_b32 exec_lo, exec_lo, s23
	v_lshrrev_b16 v33, 8, v18
	s_mov_b32 s23, exec_lo
	v_cmpx_ne_u16_e32 0, v33
	s_cbranch_execz .LBB327_949
; %bb.942:                              ;   in Loop: Header=BB327_532 Depth=1
	v_bfrev_b32_e32 v32, 1
	s_mov_b32 s24, exec_lo
	v_cmpx_ne_u16_e32 0x80, v33
	s_cbranch_execz .LBB327_948
; %bb.943:                              ;   in Loop: Header=BB327_532 Depth=1
	v_and_b32_e32 v33, 0xffff, v33
	v_mov_b32_e32 v32, 0x7f800001
	s_mov_b32 s25, exec_lo
	s_delay_alu instid0(VALU_DEP_2) | instskip(NEXT) | instid1(VALU_DEP_1)
	v_and_b32_e32 v95, 0x7f, v33
	v_cmpx_ne_u32_e32 0x7f, v95
	s_cbranch_execz .LBB327_947
; %bb.944:                              ;   in Loop: Header=BB327_532 Depth=1
	v_dual_mov_b32 v33, v19 :: v_dual_bitop2_b32 v32, 7, v33 bitop3:0x40
	v_lshrrev_b32_e32 v94, 3, v95
	s_mov_b32 s36, exec_lo
	v_cmpx_gt_u32_e32 8, v95
; %bb.945:                              ;   in Loop: Header=BB327_532 Depth=1
	s_delay_alu instid0(VALU_DEP_3) | instskip(NEXT) | instid1(VALU_DEP_1)
	v_clz_i32_u32_e32 v94, v32
	v_min_u32_e32 v94, 32, v94
	s_delay_alu instid0(VALU_DEP_1) | instskip(NEXT) | instid1(VALU_DEP_1)
	v_subrev_nc_u32_e32 v95, 28, v94
	v_lshlrev_b64_e32 v[32:33], v95, v[32:33]
	s_delay_alu instid0(VALU_DEP_1)
	v_dual_sub_nc_u32 v94, 29, v94 :: v_dual_bitop2_b32 v32, 7, v32 bitop3:0x40
; %bb.946:                              ;   in Loop: Header=BB327_532 Depth=1
	s_or_b32 exec_lo, exec_lo, s36
	s_delay_alu instid0(VALU_DEP_1) | instskip(NEXT) | instid1(VALU_DEP_2)
	v_dual_lshlrev_b32 v18, 16, v18 :: v_dual_lshlrev_b32 v32, 20, v32
	v_lshl_add_u32 v33, v94, 23, 0x3c000000
	s_delay_alu instid0(VALU_DEP_2) | instskip(NEXT) | instid1(VALU_DEP_1)
	v_and_b32_e32 v18, 0x80000000, v18
	v_or3_b32 v32, v32, v18, v33
.LBB327_947:                            ;   in Loop: Header=BB327_532 Depth=1
	s_or_b32 exec_lo, exec_lo, s25
.LBB327_948:                            ;   in Loop: Header=BB327_532 Depth=1
	s_delay_alu instid0(SALU_CYCLE_1)
	s_or_b32 exec_lo, exec_lo, s24
.LBB327_949:                            ;   in Loop: Header=BB327_532 Depth=1
	s_delay_alu instid0(SALU_CYCLE_1) | instskip(SKIP_3) | instid1(VALU_DEP_2)
	s_or_b32 exec_lo, exec_lo, s23
	v_dual_mov_b32 v94, 0 :: v_dual_lshrrev_b32 v95, 16, v31
	v_mov_b32_e32 v33, 0
	s_mov_b32 s23, exec_lo
	v_and_b32_e32 v18, 0xff, v95
	s_delay_alu instid0(VALU_DEP_1)
	v_cmpx_ne_u16_e32 0, v18
	s_cbranch_execz .LBB327_957
; %bb.950:                              ;   in Loop: Header=BB327_532 Depth=1
	v_bfrev_b32_e32 v33, 1
	s_mov_b32 s24, exec_lo
	v_cmpx_ne_u16_e32 0x80, v18
	s_cbranch_execz .LBB327_956
; %bb.951:                              ;   in Loop: Header=BB327_532 Depth=1
	v_bfe_u32 v96, v31, 16, 7
	v_mov_b32_e32 v33, 0x7f800001
	s_mov_b32 s25, exec_lo
	s_delay_alu instid0(VALU_DEP_2)
	v_cmpx_ne_u32_e32 0x7f, v96
	s_cbranch_execz .LBB327_955
; %bb.952:                              ;   in Loop: Header=BB327_532 Depth=1
	v_dual_lshrrev_b32 v33, 3, v96 :: v_dual_bitop2_b32 v18, 7, v95 bitop3:0x40
	s_mov_b32 s36, exec_lo
	v_cmpx_gt_u32_e32 8, v96
; %bb.953:                              ;   in Loop: Header=BB327_532 Depth=1
	s_delay_alu instid0(VALU_DEP_2) | instskip(NEXT) | instid1(VALU_DEP_1)
	v_clz_i32_u32_e32 v33, v18
	v_min_u32_e32 v33, 32, v33
	s_delay_alu instid0(VALU_DEP_1) | instskip(NEXT) | instid1(VALU_DEP_1)
	v_subrev_nc_u32_e32 v96, 28, v33
	v_lshlrev_b64_e32 v[96:97], v96, v[18:19]
	s_delay_alu instid0(VALU_DEP_1)
	v_dual_sub_nc_u32 v33, 29, v33 :: v_dual_bitop2_b32 v18, 7, v96 bitop3:0x40
; %bb.954:                              ;   in Loop: Header=BB327_532 Depth=1
	s_or_b32 exec_lo, exec_lo, s36
	s_delay_alu instid0(VALU_DEP_1) | instskip(NEXT) | instid1(VALU_DEP_2)
	v_dual_lshlrev_b32 v95, 24, v95 :: v_dual_lshlrev_b32 v18, 20, v18
	v_lshl_add_u32 v33, v33, 23, 0x3c000000
	s_delay_alu instid0(VALU_DEP_2) | instskip(NEXT) | instid1(VALU_DEP_1)
	v_and_b32_e32 v95, 0x80000000, v95
	v_or3_b32 v33, v18, v95, v33
.LBB327_955:                            ;   in Loop: Header=BB327_532 Depth=1
	s_or_b32 exec_lo, exec_lo, s25
.LBB327_956:                            ;   in Loop: Header=BB327_532 Depth=1
	s_delay_alu instid0(SALU_CYCLE_1)
	s_or_b32 exec_lo, exec_lo, s24
.LBB327_957:                            ;   in Loop: Header=BB327_532 Depth=1
	s_delay_alu instid0(SALU_CYCLE_1) | instskip(NEXT) | instid1(SALU_CYCLE_1)
	s_or_b32 exec_lo, exec_lo, s23
	s_mov_b32 s23, exec_lo
	v_cmpx_lt_u64_e64 s[8:9], v[30:31]
	s_cbranch_execz .LBB327_965
; %bb.958:                              ;   in Loop: Header=BB327_532 Depth=1
	v_lshrrev_b32_e32 v30, 24, v31
	v_bfrev_b32_e32 v94, 1
	s_mov_b32 s24, exec_lo
	s_delay_alu instid0(VALU_DEP_2)
	v_cmpx_ne_u32_e32 0x80, v30
	s_cbranch_execz .LBB327_964
; %bb.959:                              ;   in Loop: Header=BB327_532 Depth=1
	v_bfe_u32 v95, v31, 24, 7
	v_mov_b32_e32 v94, 0x7f800001
	s_mov_b32 s25, exec_lo
	s_delay_alu instid0(VALU_DEP_2)
	v_cmpx_ne_u32_e32 0x7f, v95
	s_cbranch_execz .LBB327_963
; %bb.960:                              ;   in Loop: Header=BB327_532 Depth=1
	v_dual_lshrrev_b32 v31, 3, v95 :: v_dual_bitop2_b32 v18, 7, v30 bitop3:0x40
	s_mov_b32 s36, exec_lo
	v_cmpx_gt_u32_e32 8, v95
; %bb.961:                              ;   in Loop: Header=BB327_532 Depth=1
	s_delay_alu instid0(VALU_DEP_2) | instskip(NEXT) | instid1(VALU_DEP_1)
	v_clz_i32_u32_e32 v31, v18
	v_min_u32_e32 v31, 32, v31
	s_delay_alu instid0(VALU_DEP_1) | instskip(NEXT) | instid1(VALU_DEP_1)
	v_subrev_nc_u32_e32 v94, 28, v31
	v_lshlrev_b64_e32 v[94:95], v94, v[18:19]
	s_delay_alu instid0(VALU_DEP_1)
	v_dual_sub_nc_u32 v31, 29, v31 :: v_dual_bitop2_b32 v18, 7, v94 bitop3:0x40
; %bb.962:                              ;   in Loop: Header=BB327_532 Depth=1
	s_or_b32 exec_lo, exec_lo, s36
	v_lshlrev_b32_e32 v30, 24, v30
	s_delay_alu instid0(VALU_DEP_2) | instskip(NEXT) | instid1(VALU_DEP_3)
	v_lshlrev_b32_e32 v18, 20, v18
	v_lshl_add_u32 v31, v31, 23, 0x3c000000
	s_delay_alu instid0(VALU_DEP_3) | instskip(NEXT) | instid1(VALU_DEP_1)
	v_and_b32_e32 v30, 0x80000000, v30
	v_or3_b32 v94, v18, v30, v31
.LBB327_963:                            ;   in Loop: Header=BB327_532 Depth=1
	s_or_b32 exec_lo, exec_lo, s25
.LBB327_964:                            ;   in Loop: Header=BB327_532 Depth=1
	s_delay_alu instid0(SALU_CYCLE_1)
	s_or_b32 exec_lo, exec_lo, s24
.LBB327_965:                            ;   in Loop: Header=BB327_532 Depth=1
	s_delay_alu instid0(SALU_CYCLE_1)
	s_or_b32 exec_lo, exec_lo, s23
	v_fma_mixlo_bf16 v31, s22, v32, 0
	v_fma_mixlo_bf16 v32, s22, v93, 0
	;; [unrolled: 1-line block ×8, first 2 shown]
	s_and_saveexec_b32 s23, s0
	s_cbranch_execz .LBB327_967
; %bb.966:                              ;   in Loop: Header=BB327_532 Depth=1
	v_dual_add_nc_u32 v18, 1, v50 :: v_dual_add_nc_u32 v30, 2, v50
	v_cmp_gt_i32_e64 s1, s34, v50
	s_delay_alu instid0(VALU_DEP_1) | instskip(NEXT) | instid1(VALU_DEP_3)
	v_dual_add_nc_u32 v94, 3, v50 :: v_dual_cndmask_b32 v93, 0, v93, s1
	v_cmp_gt_i32_e64 s1, s34, v18
	s_delay_alu instid0(VALU_DEP_1) | instskip(SKIP_1) | instid1(VALU_DEP_1)
	v_dual_add_nc_u32 v18, 4, v50 :: v_dual_cndmask_b32 v92, 0, v92, s1
	v_cmp_gt_i32_e64 s1, s34, v30
	v_dual_add_nc_u32 v30, 5, v50 :: v_dual_cndmask_b32 v91, 0, v91, s1
	v_cmp_gt_i32_e64 s1, s34, v94
	v_add_nc_u32_e32 v94, 6, v50
	s_delay_alu instid0(VALU_DEP_2) | instskip(SKIP_1) | instid1(VALU_DEP_1)
	v_cndmask_b32_e64 v90, 0, v90, s1
	v_cmp_gt_i32_e64 s1, s34, v18
	v_dual_add_nc_u32 v18, 7, v50 :: v_dual_cndmask_b32 v32, 0, v32, s1
	v_cmp_gt_i32_e64 s1, s34, v30
	s_delay_alu instid0(VALU_DEP_1) | instskip(SKIP_1) | instid1(VALU_DEP_1)
	v_cndmask_b32_e64 v31, 0, v31, s1
	v_cmp_gt_i32_e64 s1, s34, v94
	v_cndmask_b32_e64 v33, 0, v33, s1
	v_cmp_gt_i32_e64 s1, s34, v18
	s_delay_alu instid0(VALU_DEP_1)
	v_cndmask_b32_e64 v89, 0, v89, s1
.LBB327_967:                            ;   in Loop: Header=BB327_532 Depth=1
	s_or_b32 exec_lo, exec_lo, s23
	s_wait_dscnt 0x1
	v_cvt_pk_bf16_f32 v30, v6, v7
	v_cvt_pk_bf16_f32 v8, v8, v9
	s_wait_dscnt 0x0
	v_cvt_pk_bf16_f32 v7, v2, v3
	v_cvt_pk_bf16_f32 v6, v4, v5
	s_and_saveexec_b32 s23, vcc_lo
	s_cbranch_execz .LBB327_530
; %bb.968:                              ;   in Loop: Header=BB327_532 Depth=1
	v_add_nc_u64_e32 v[2:3], v[28:29], v[22:23]
	v_dual_mov_b32 v28, 0 :: v_dual_mov_b32 v9, 0
	s_mov_b32 s24, exec_lo
	global_load_b64 v[2:3], v[2:3], off
	s_wait_loadcnt 0x0
	v_and_b32_e32 v4, 0xff, v2
	s_delay_alu instid0(VALU_DEP_1)
	v_cmpx_ne_u16_e32 0, v4
	s_cbranch_execz .LBB327_974
; %bb.969:                              ;   in Loop: Header=BB327_532 Depth=1
	v_bfrev_b32_e32 v9, 1
	s_mov_b32 s25, exec_lo
	v_cmpx_ne_u16_e32 0x80, v4
	s_cbranch_execz .LBB327_973
; %bb.970:                              ;   in Loop: Header=BB327_532 Depth=1
	v_and_b32_e32 v4, 0x7f, v2
	v_mov_b32_e32 v9, 0x7f800001
	s_mov_b32 s36, exec_lo
	s_delay_alu instid0(VALU_DEP_2)
	v_cmpx_ne_u32_e32 0x7f, v4
	s_cbranch_execz .LBB327_972
; %bb.971:                              ;   in Loop: Header=BB327_532 Depth=1
	v_dual_lshrrev_b32 v9, 3, v4 :: v_dual_bitop2_b32 v5, 7, v2 bitop3:0x40
	v_cmp_gt_u32_e64 s1, 8, v4
	s_delay_alu instid0(VALU_DEP_2) | instskip(NEXT) | instid1(VALU_DEP_1)
	v_clz_i32_u32_e32 v5, v5
	v_min_u32_e32 v5, 32, v5
	s_delay_alu instid0(VALU_DEP_1) | instskip(NEXT) | instid1(VALU_DEP_1)
	v_subrev_nc_u32_e32 v18, 28, v5
	v_dual_sub_nc_u32 v5, 29, v5 :: v_dual_cndmask_b32 v4, 0, v18, s1
	s_delay_alu instid0(VALU_DEP_1) | instskip(NEXT) | instid1(VALU_DEP_2)
	v_cndmask_b32_e64 v9, v9, v5, s1
	v_lshlrev_b64_e32 v[4:5], v4, v[2:3]
	v_lshlrev_b32_e32 v5, 24, v2
	s_delay_alu instid0(VALU_DEP_3) | instskip(NEXT) | instid1(VALU_DEP_2)
	v_lshl_add_u32 v9, v9, 23, 0x3c000000
	v_and_b32_e32 v5, 0x80000000, v5
	s_delay_alu instid0(VALU_DEP_4) | instskip(NEXT) | instid1(VALU_DEP_1)
	v_lshlrev_b32_e32 v4, 20, v4
	v_and_b32_e32 v4, 0x700000, v4
	s_delay_alu instid0(VALU_DEP_1)
	v_or3_b32 v9, v4, v5, v9
.LBB327_972:                            ;   in Loop: Header=BB327_532 Depth=1
	s_or_b32 exec_lo, exec_lo, s36
.LBB327_973:                            ;   in Loop: Header=BB327_532 Depth=1
	s_delay_alu instid0(SALU_CYCLE_1)
	s_or_b32 exec_lo, exec_lo, s25
.LBB327_974:                            ;   in Loop: Header=BB327_532 Depth=1
	s_delay_alu instid0(SALU_CYCLE_1) | instskip(SKIP_2) | instid1(VALU_DEP_1)
	s_or_b32 exec_lo, exec_lo, s24
	v_lshrrev_b16 v4, 8, v2
	s_mov_b32 s24, exec_lo
	v_cmpx_ne_u16_e32 0, v4
	s_cbranch_execz .LBB327_982
; %bb.975:                              ;   in Loop: Header=BB327_532 Depth=1
	v_bfrev_b32_e32 v28, 1
	s_mov_b32 s25, exec_lo
	v_cmpx_ne_u16_e32 0x80, v4
	s_cbranch_execz .LBB327_981
; %bb.976:                              ;   in Loop: Header=BB327_532 Depth=1
	v_and_b32_e32 v4, 0xffff, v4
	v_mov_b32_e32 v28, 0x7f800001
	s_mov_b32 s36, exec_lo
	s_delay_alu instid0(VALU_DEP_2) | instskip(NEXT) | instid1(VALU_DEP_1)
	v_and_b32_e32 v5, 0x7f, v4
	v_cmpx_ne_u32_e32 0x7f, v5
	s_cbranch_execz .LBB327_980
; %bb.977:                              ;   in Loop: Header=BB327_532 Depth=1
	v_dual_lshrrev_b32 v4, 3, v5 :: v_dual_bitop2_b32 v18, 7, v4 bitop3:0x40
	s_mov_b32 s37, exec_lo
	v_cmpx_gt_u32_e32 8, v5
; %bb.978:                              ;   in Loop: Header=BB327_532 Depth=1
	s_delay_alu instid0(VALU_DEP_2) | instskip(NEXT) | instid1(VALU_DEP_1)
	v_clz_i32_u32_e32 v4, v18
	v_min_u32_e32 v4, 32, v4
	s_delay_alu instid0(VALU_DEP_1) | instskip(SKIP_1) | instid1(VALU_DEP_2)
	v_subrev_nc_u32_e32 v5, 28, v4
	v_sub_nc_u32_e32 v4, 29, v4
	v_lshlrev_b64_e32 v[28:29], v5, v[18:19]
	s_delay_alu instid0(VALU_DEP_1)
	v_and_b32_e32 v18, 7, v28
; %bb.979:                              ;   in Loop: Header=BB327_532 Depth=1
	s_or_b32 exec_lo, exec_lo, s37
	v_lshlrev_b32_e32 v5, 16, v2
	s_delay_alu instid0(VALU_DEP_2) | instskip(SKIP_1) | instid1(VALU_DEP_3)
	v_lshlrev_b32_e32 v18, 20, v18
	v_lshl_add_u32 v4, v4, 23, 0x3c000000
	v_and_b32_e32 v5, 0x80000000, v5
	s_delay_alu instid0(VALU_DEP_1)
	v_or3_b32 v28, v18, v5, v4
.LBB327_980:                            ;   in Loop: Header=BB327_532 Depth=1
	s_or_b32 exec_lo, exec_lo, s36
.LBB327_981:                            ;   in Loop: Header=BB327_532 Depth=1
	s_delay_alu instid0(SALU_CYCLE_1)
	s_or_b32 exec_lo, exec_lo, s25
.LBB327_982:                            ;   in Loop: Header=BB327_532 Depth=1
	s_delay_alu instid0(SALU_CYCLE_1) | instskip(SKIP_3) | instid1(VALU_DEP_2)
	s_or_b32 exec_lo, exec_lo, s24
	v_dual_lshrrev_b32 v4, 16, v2 :: v_dual_mov_b32 v94, 0
	v_mov_b32_e32 v29, 0
	s_mov_b32 s24, exec_lo
	v_and_b32_e32 v5, 0xff, v4
	s_delay_alu instid0(VALU_DEP_1)
	v_cmpx_ne_u16_e32 0, v5
	s_cbranch_execz .LBB327_990
; %bb.983:                              ;   in Loop: Header=BB327_532 Depth=1
	v_bfrev_b32_e32 v29, 1
	s_mov_b32 s25, exec_lo
	v_cmpx_ne_u16_e32 0x80, v5
	s_cbranch_execz .LBB327_989
; %bb.984:                              ;   in Loop: Header=BB327_532 Depth=1
	v_bfe_u32 v95, v2, 16, 7
	v_mov_b32_e32 v29, 0x7f800001
	s_mov_b32 s36, exec_lo
	s_delay_alu instid0(VALU_DEP_2)
	v_cmpx_ne_u32_e32 0x7f, v95
	s_cbranch_execz .LBB327_988
; %bb.985:                              ;   in Loop: Header=BB327_532 Depth=1
	v_dual_lshrrev_b32 v5, 3, v95 :: v_dual_bitop2_b32 v18, 7, v4 bitop3:0x40
	s_mov_b32 s37, exec_lo
	v_cmpx_gt_u32_e32 8, v95
; %bb.986:                              ;   in Loop: Header=BB327_532 Depth=1
	s_delay_alu instid0(VALU_DEP_2) | instskip(NEXT) | instid1(VALU_DEP_1)
	v_clz_i32_u32_e32 v5, v18
	v_min_u32_e32 v5, 32, v5
	s_delay_alu instid0(VALU_DEP_1) | instskip(NEXT) | instid1(VALU_DEP_1)
	v_subrev_nc_u32_e32 v29, 28, v5
	v_lshlrev_b64_e32 v[96:97], v29, v[18:19]
	s_delay_alu instid0(VALU_DEP_1)
	v_dual_sub_nc_u32 v5, 29, v5 :: v_dual_bitop2_b32 v18, 7, v96 bitop3:0x40
; %bb.987:                              ;   in Loop: Header=BB327_532 Depth=1
	s_or_b32 exec_lo, exec_lo, s37
	s_delay_alu instid0(VALU_DEP_1) | instskip(NEXT) | instid1(VALU_DEP_2)
	v_dual_lshlrev_b32 v4, 24, v4 :: v_dual_lshlrev_b32 v18, 20, v18
	v_lshl_add_u32 v5, v5, 23, 0x3c000000
	s_delay_alu instid0(VALU_DEP_2) | instskip(NEXT) | instid1(VALU_DEP_1)
	v_and_b32_e32 v4, 0x80000000, v4
	v_or3_b32 v29, v18, v4, v5
.LBB327_988:                            ;   in Loop: Header=BB327_532 Depth=1
	s_or_b32 exec_lo, exec_lo, s36
.LBB327_989:                            ;   in Loop: Header=BB327_532 Depth=1
	s_delay_alu instid0(SALU_CYCLE_1)
	s_or_b32 exec_lo, exec_lo, s25
.LBB327_990:                            ;   in Loop: Header=BB327_532 Depth=1
	s_delay_alu instid0(SALU_CYCLE_1) | instskip(NEXT) | instid1(SALU_CYCLE_1)
	s_or_b32 exec_lo, exec_lo, s24
	s_mov_b32 s24, exec_lo
	v_cmpx_lt_u32_e32 0xffffff, v2
	s_cbranch_execz .LBB327_998
; %bb.991:                              ;   in Loop: Header=BB327_532 Depth=1
	v_lshrrev_b32_e32 v4, 24, v2
	v_bfrev_b32_e32 v94, 1
	s_mov_b32 s25, exec_lo
	s_delay_alu instid0(VALU_DEP_2)
	v_cmpx_ne_u32_e32 0x80, v4
	s_cbranch_execz .LBB327_997
; %bb.992:                              ;   in Loop: Header=BB327_532 Depth=1
	v_bfe_u32 v95, v2, 24, 7
	v_mov_b32_e32 v94, 0x7f800001
	s_mov_b32 s36, exec_lo
	s_delay_alu instid0(VALU_DEP_2)
	v_cmpx_ne_u32_e32 0x7f, v95
	s_cbranch_execz .LBB327_996
; %bb.993:                              ;   in Loop: Header=BB327_532 Depth=1
	v_dual_lshrrev_b32 v5, 3, v95 :: v_dual_bitop2_b32 v18, 7, v4 bitop3:0x40
	s_mov_b32 s37, exec_lo
	v_cmpx_gt_u32_e32 8, v95
; %bb.994:                              ;   in Loop: Header=BB327_532 Depth=1
	s_delay_alu instid0(VALU_DEP_2) | instskip(NEXT) | instid1(VALU_DEP_1)
	v_clz_i32_u32_e32 v5, v18
	v_min_u32_e32 v5, 32, v5
	s_delay_alu instid0(VALU_DEP_1) | instskip(NEXT) | instid1(VALU_DEP_1)
	v_subrev_nc_u32_e32 v94, 28, v5
	v_lshlrev_b64_e32 v[94:95], v94, v[18:19]
	s_delay_alu instid0(VALU_DEP_1)
	v_dual_sub_nc_u32 v5, 29, v5 :: v_dual_bitop2_b32 v18, 7, v94 bitop3:0x40
; %bb.995:                              ;   in Loop: Header=BB327_532 Depth=1
	s_or_b32 exec_lo, exec_lo, s37
	s_delay_alu instid0(VALU_DEP_1) | instskip(NEXT) | instid1(VALU_DEP_2)
	v_dual_lshlrev_b32 v4, 24, v4 :: v_dual_lshlrev_b32 v18, 20, v18
	v_lshl_add_u32 v5, v5, 23, 0x3c000000
	s_delay_alu instid0(VALU_DEP_2) | instskip(NEXT) | instid1(VALU_DEP_1)
	v_and_b32_e32 v4, 0x80000000, v4
	v_or3_b32 v94, v18, v4, v5
.LBB327_996:                            ;   in Loop: Header=BB327_532 Depth=1
	s_or_b32 exec_lo, exec_lo, s36
.LBB327_997:                            ;   in Loop: Header=BB327_532 Depth=1
	s_delay_alu instid0(SALU_CYCLE_1)
	s_or_b32 exec_lo, exec_lo, s25
.LBB327_998:                            ;   in Loop: Header=BB327_532 Depth=1
	s_delay_alu instid0(SALU_CYCLE_1) | instskip(SKIP_4) | instid1(VALU_DEP_3)
	s_or_b32 exec_lo, exec_lo, s24
	v_and_b32_e32 v5, 0xff, v3
	v_dual_mov_b32 v18, v3 :: v_dual_mov_b32 v4, 0
	v_mov_b32_e32 v95, 0
	s_mov_b32 s24, exec_lo
	v_cmpx_ne_u16_e32 0, v5
	s_cbranch_execz .LBB327_1004
; %bb.999:                              ;   in Loop: Header=BB327_532 Depth=1
	v_bfrev_b32_e32 v95, 1
	s_mov_b32 s25, exec_lo
	v_cmpx_ne_u16_e32 0x80, v5
	s_cbranch_execz .LBB327_1003
; %bb.1000:                             ;   in Loop: Header=BB327_532 Depth=1
	v_and_b32_e32 v5, 0x7f, v3
	v_mov_b32_e32 v95, 0x7f800001
	s_mov_b32 s36, exec_lo
	s_delay_alu instid0(VALU_DEP_2)
	v_cmpx_ne_u32_e32 0x7f, v5
	s_cbranch_execz .LBB327_1002
; %bb.1001:                             ;   in Loop: Header=BB327_532 Depth=1
	v_dual_lshrrev_b32 v96, 3, v5 :: v_dual_bitop2_b32 v95, 7, v3 bitop3:0x40
	v_cmp_gt_u32_e64 s1, 8, v5
	s_delay_alu instid0(VALU_DEP_2) | instskip(NEXT) | instid1(VALU_DEP_1)
	v_clz_i32_u32_e32 v95, v95
	v_min_u32_e32 v95, 32, v95
	s_delay_alu instid0(VALU_DEP_1) | instskip(SKIP_1) | instid1(VALU_DEP_1)
	v_subrev_nc_u32_e32 v97, 28, v95
	v_sub_nc_u32_e32 v95, 29, v95
	v_dual_cndmask_b32 v5, v96, v95, s1 :: v_dual_cndmask_b32 v95, 0, v97, s1
	s_delay_alu instid0(VALU_DEP_1) | instskip(NEXT) | instid1(VALU_DEP_2)
	v_lshl_add_u32 v5, v5, 23, 0x3c000000
	v_lshlrev_b64_e32 v[96:97], v95, v[18:19]
	v_lshlrev_b32_e32 v95, 24, v18
	s_delay_alu instid0(VALU_DEP_1) | instskip(NEXT) | instid1(VALU_DEP_3)
	v_and_b32_e32 v95, 0x80000000, v95
	v_lshlrev_b32_e32 v96, 20, v96
	s_delay_alu instid0(VALU_DEP_1) | instskip(NEXT) | instid1(VALU_DEP_1)
	v_and_b32_e32 v96, 0x700000, v96
	v_or3_b32 v95, v96, v95, v5
.LBB327_1002:                           ;   in Loop: Header=BB327_532 Depth=1
	s_or_b32 exec_lo, exec_lo, s36
.LBB327_1003:                           ;   in Loop: Header=BB327_532 Depth=1
	s_delay_alu instid0(SALU_CYCLE_1)
	s_or_b32 exec_lo, exec_lo, s25
.LBB327_1004:                           ;   in Loop: Header=BB327_532 Depth=1
	s_delay_alu instid0(SALU_CYCLE_1) | instskip(SKIP_2) | instid1(VALU_DEP_1)
	s_or_b32 exec_lo, exec_lo, s24
	v_lshrrev_b16 v5, 8, v18
	s_mov_b32 s24, exec_lo
	v_cmpx_ne_u16_e32 0, v5
	s_cbranch_execz .LBB327_1012
; %bb.1005:                             ;   in Loop: Header=BB327_532 Depth=1
	v_bfrev_b32_e32 v4, 1
	s_mov_b32 s25, exec_lo
	v_cmpx_ne_u16_e32 0x80, v5
	s_cbranch_execz .LBB327_1011
; %bb.1006:                             ;   in Loop: Header=BB327_532 Depth=1
	v_and_b32_e32 v5, 0xffff, v5
	v_mov_b32_e32 v4, 0x7f800001
	s_mov_b32 s36, exec_lo
	s_delay_alu instid0(VALU_DEP_2) | instskip(NEXT) | instid1(VALU_DEP_1)
	v_and_b32_e32 v97, 0x7f, v5
	v_cmpx_ne_u32_e32 0x7f, v97
	s_cbranch_execz .LBB327_1010
; %bb.1007:                             ;   in Loop: Header=BB327_532 Depth=1
	v_dual_mov_b32 v5, v19 :: v_dual_bitop2_b32 v4, 7, v5 bitop3:0x40
	v_lshrrev_b32_e32 v96, 3, v97
	s_mov_b32 s37, exec_lo
	v_cmpx_gt_u32_e32 8, v97
; %bb.1008:                             ;   in Loop: Header=BB327_532 Depth=1
	s_delay_alu instid0(VALU_DEP_3) | instskip(NEXT) | instid1(VALU_DEP_1)
	v_clz_i32_u32_e32 v96, v4
	v_min_u32_e32 v96, 32, v96
	s_delay_alu instid0(VALU_DEP_1) | instskip(SKIP_1) | instid1(VALU_DEP_2)
	v_subrev_nc_u32_e32 v97, 28, v96
	v_sub_nc_u32_e32 v96, 29, v96
	v_lshlrev_b64_e32 v[4:5], v97, v[4:5]
	s_delay_alu instid0(VALU_DEP_1)
	v_and_b32_e32 v4, 7, v4
; %bb.1009:                             ;   in Loop: Header=BB327_532 Depth=1
	s_or_b32 exec_lo, exec_lo, s37
	s_delay_alu instid0(VALU_DEP_1) | instskip(SKIP_1) | instid1(VALU_DEP_2)
	v_dual_lshlrev_b32 v5, 16, v18 :: v_dual_lshlrev_b32 v4, 20, v4
	v_lshl_add_u32 v18, v96, 23, 0x3c000000
	v_and_b32_e32 v5, 0x80000000, v5
	s_delay_alu instid0(VALU_DEP_1)
	v_or3_b32 v4, v4, v5, v18
.LBB327_1010:                           ;   in Loop: Header=BB327_532 Depth=1
	s_or_b32 exec_lo, exec_lo, s36
.LBB327_1011:                           ;   in Loop: Header=BB327_532 Depth=1
	s_delay_alu instid0(SALU_CYCLE_1)
	s_or_b32 exec_lo, exec_lo, s25
.LBB327_1012:                           ;   in Loop: Header=BB327_532 Depth=1
	s_delay_alu instid0(SALU_CYCLE_1) | instskip(SKIP_3) | instid1(VALU_DEP_2)
	s_or_b32 exec_lo, exec_lo, s24
	v_dual_lshrrev_b32 v97, 16, v3 :: v_dual_mov_b32 v5, 0
	v_mov_b32_e32 v96, 0
	s_mov_b32 s24, exec_lo
	v_and_b32_e32 v18, 0xff, v97
	s_delay_alu instid0(VALU_DEP_1)
	v_cmpx_ne_u16_e32 0, v18
	s_cbranch_execz .LBB327_1020
; %bb.1013:                             ;   in Loop: Header=BB327_532 Depth=1
	v_bfrev_b32_e32 v96, 1
	s_mov_b32 s25, exec_lo
	v_cmpx_ne_u16_e32 0x80, v18
	s_cbranch_execz .LBB327_1019
; %bb.1014:                             ;   in Loop: Header=BB327_532 Depth=1
	v_bfe_u32 v98, v3, 16, 7
	v_mov_b32_e32 v96, 0x7f800001
	s_mov_b32 s36, exec_lo
	s_delay_alu instid0(VALU_DEP_2)
	v_cmpx_ne_u32_e32 0x7f, v98
	s_cbranch_execz .LBB327_1018
; %bb.1015:                             ;   in Loop: Header=BB327_532 Depth=1
	v_dual_lshrrev_b32 v96, 3, v98 :: v_dual_bitop2_b32 v18, 7, v97 bitop3:0x40
	s_mov_b32 s37, exec_lo
	v_cmpx_gt_u32_e32 8, v98
; %bb.1016:                             ;   in Loop: Header=BB327_532 Depth=1
	s_delay_alu instid0(VALU_DEP_2) | instskip(NEXT) | instid1(VALU_DEP_1)
	v_clz_i32_u32_e32 v96, v18
	v_min_u32_e32 v96, 32, v96
	s_delay_alu instid0(VALU_DEP_1) | instskip(NEXT) | instid1(VALU_DEP_1)
	v_subrev_nc_u32_e32 v98, 28, v96
	v_lshlrev_b64_e32 v[98:99], v98, v[18:19]
	s_delay_alu instid0(VALU_DEP_1)
	v_dual_sub_nc_u32 v96, 29, v96 :: v_dual_bitop2_b32 v18, 7, v98 bitop3:0x40
; %bb.1017:                             ;   in Loop: Header=BB327_532 Depth=1
	s_or_b32 exec_lo, exec_lo, s37
	s_delay_alu instid0(VALU_DEP_1) | instskip(NEXT) | instid1(VALU_DEP_2)
	v_dual_lshlrev_b32 v97, 24, v97 :: v_dual_lshlrev_b32 v18, 20, v18
	v_lshl_add_u32 v96, v96, 23, 0x3c000000
	s_delay_alu instid0(VALU_DEP_2) | instskip(NEXT) | instid1(VALU_DEP_1)
	v_and_b32_e32 v97, 0x80000000, v97
	v_or3_b32 v96, v18, v97, v96
.LBB327_1018:                           ;   in Loop: Header=BB327_532 Depth=1
	s_or_b32 exec_lo, exec_lo, s36
.LBB327_1019:                           ;   in Loop: Header=BB327_532 Depth=1
	s_delay_alu instid0(SALU_CYCLE_1)
	s_or_b32 exec_lo, exec_lo, s25
.LBB327_1020:                           ;   in Loop: Header=BB327_532 Depth=1
	s_delay_alu instid0(SALU_CYCLE_1) | instskip(NEXT) | instid1(SALU_CYCLE_1)
	s_or_b32 exec_lo, exec_lo, s24
	s_mov_b32 s24, exec_lo
	v_cmpx_lt_u64_e64 s[8:9], v[2:3]
	s_cbranch_execz .LBB327_1028
; %bb.1021:                             ;   in Loop: Header=BB327_532 Depth=1
	v_lshrrev_b32_e32 v2, 24, v3
	v_bfrev_b32_e32 v5, 1
	s_mov_b32 s25, exec_lo
	s_delay_alu instid0(VALU_DEP_2)
	v_cmpx_ne_u32_e32 0x80, v2
	s_cbranch_execz .LBB327_1027
; %bb.1022:                             ;   in Loop: Header=BB327_532 Depth=1
	v_bfe_u32 v97, v3, 24, 7
	v_mov_b32_e32 v5, 0x7f800001
	s_mov_b32 s36, exec_lo
	s_delay_alu instid0(VALU_DEP_2)
	v_cmpx_ne_u32_e32 0x7f, v97
	s_cbranch_execz .LBB327_1026
; %bb.1023:                             ;   in Loop: Header=BB327_532 Depth=1
	v_dual_lshrrev_b32 v3, 3, v97 :: v_dual_bitop2_b32 v18, 7, v2 bitop3:0x40
	s_mov_b32 s37, exec_lo
	v_cmpx_gt_u32_e32 8, v97
; %bb.1024:                             ;   in Loop: Header=BB327_532 Depth=1
	s_delay_alu instid0(VALU_DEP_2) | instskip(NEXT) | instid1(VALU_DEP_1)
	v_clz_i32_u32_e32 v3, v18
	v_min_u32_e32 v3, 32, v3
	s_delay_alu instid0(VALU_DEP_1) | instskip(NEXT) | instid1(VALU_DEP_1)
	v_subrev_nc_u32_e32 v5, 28, v3
	v_lshlrev_b64_e32 v[98:99], v5, v[18:19]
	s_delay_alu instid0(VALU_DEP_1)
	v_dual_sub_nc_u32 v3, 29, v3 :: v_dual_bitop2_b32 v18, 7, v98 bitop3:0x40
; %bb.1025:                             ;   in Loop: Header=BB327_532 Depth=1
	s_or_b32 exec_lo, exec_lo, s37
	v_lshlrev_b32_e32 v2, 24, v2
	s_delay_alu instid0(VALU_DEP_2) | instskip(NEXT) | instid1(VALU_DEP_3)
	v_lshlrev_b32_e32 v5, 20, v18
	v_lshl_add_u32 v3, v3, 23, 0x3c000000
	s_delay_alu instid0(VALU_DEP_3) | instskip(NEXT) | instid1(VALU_DEP_1)
	v_and_b32_e32 v2, 0x80000000, v2
	v_or3_b32 v5, v5, v2, v3
.LBB327_1026:                           ;   in Loop: Header=BB327_532 Depth=1
	s_or_b32 exec_lo, exec_lo, s36
.LBB327_1027:                           ;   in Loop: Header=BB327_532 Depth=1
	s_delay_alu instid0(SALU_CYCLE_1)
	s_or_b32 exec_lo, exec_lo, s25
.LBB327_1028:                           ;   in Loop: Header=BB327_532 Depth=1
	s_delay_alu instid0(SALU_CYCLE_1)
	s_or_b32 exec_lo, exec_lo, s24
	v_fma_mixlo_bf16 v2, s22, v4, 0
	v_fma_mixlo_bf16 v3, s22, v95, 0
	;; [unrolled: 1-line block ×8, first 2 shown]
	s_and_saveexec_b32 s1, s0
	s_cbranch_execz .LBB327_529
; %bb.1029:                             ;   in Loop: Header=BB327_532 Depth=1
	v_dual_add_nc_u32 v94, 1, v50 :: v_dual_add_nc_u32 v95, 2, v50
	v_cmp_gt_i32_e64 s0, s34, v50
	s_delay_alu instid0(VALU_DEP_1) | instskip(NEXT) | instid1(VALU_DEP_3)
	v_dual_add_nc_u32 v96, 3, v50 :: v_dual_cndmask_b32 v9, 0, v9, s0
	v_cmp_gt_i32_e64 s0, s34, v94
	s_delay_alu instid0(VALU_DEP_1) | instskip(SKIP_1) | instid1(VALU_DEP_1)
	v_dual_add_nc_u32 v94, 4, v50 :: v_dual_cndmask_b32 v28, 0, v28, s0
	v_cmp_gt_i32_e64 s0, s34, v95
	v_dual_add_nc_u32 v95, 5, v50 :: v_dual_cndmask_b32 v29, 0, v29, s0
	v_cmp_gt_i32_e64 s0, s34, v96
	v_dual_add_nc_u32 v96, 6, v50 :: v_dual_add_nc_u32 v50, 7, v50
	s_delay_alu instid0(VALU_DEP_2) | instskip(SKIP_1) | instid1(VALU_DEP_1)
	v_cndmask_b32_e64 v18, 0, v18, s0
	v_cmp_gt_i32_e64 s0, s34, v94
	v_cndmask_b32_e64 v3, 0, v3, s0
	v_cmp_gt_i32_e64 s0, s34, v95
	s_delay_alu instid0(VALU_DEP_1) | instskip(SKIP_1) | instid1(VALU_DEP_1)
	v_cndmask_b32_e64 v2, 0, v2, s0
	v_cmp_gt_i32_e64 s0, s34, v96
	v_cndmask_b32_e64 v4, 0, v4, s0
	v_cmp_gt_i32_e64 s0, s34, v50
	s_delay_alu instid0(VALU_DEP_1)
	v_cndmask_b32_e64 v5, 0, v5, s0
	s_branch .LBB327_529
.LBB327_1030:
	s_or_b32 exec_lo, exec_lo, s18
.LBB327_1031:
	s_delay_alu instid0(SALU_CYCLE_1)
	s_or_b32 exec_lo, exec_lo, s27
	ds_bpermute_b32 v2, v37, v16
	ds_bpermute_b32 v3, v37, v17
	ds_bpermute_b32 v4, v37, v14
	ds_bpermute_b32 v5, v37, v15
	ds_bpermute_b32 v20, v37, v12
	ds_bpermute_b32 v21, v37, v13
	ds_bpermute_b32 v22, v37, v10
	ds_bpermute_b32 v23, v37, v11
	s_movk_i32 s0, 0x1e0
	v_and_b32_e32 v19, 0x3c0, v0
	v_mad_u32_u24 v18, v39, s0, 0x110
	s_mov_b32 s1, exec_lo
	v_cmp_eq_u32_e32 vcc_lo, 0, v38
	s_wait_dscnt 0x0
	s_barrier_signal -1
	s_barrier_wait -1
	v_pk_add_f32 v[8:9], v[16:17], v[2:3]
	v_pk_add_f32 v[6:7], v[14:15], v[4:5]
	;; [unrolled: 1-line block ×4, first 2 shown]
	v_cmpx_eq_u32_e32 64, v19
	s_cbranch_execz .LBB327_1036
; %bb.1032:
	v_add_nc_u32_e32 v10, 0xfffffc40, v18
	s_and_saveexec_b32 s0, vcc_lo
	s_cbranch_execz .LBB327_1034
; %bb.1033:
	s_delay_alu instid0(VALU_DEP_1)
	v_lshl_add_u32 v11, v36, 2, v10
	ds_store_2addr_b32 v11, v8, v9 offset1:16
	ds_store_2addr_b32 v11, v6, v7 offset0:32 offset1:48
	ds_store_2addr_b32 v11, v4, v5 offset0:64 offset1:80
	ds_store_b32 v11, v2 offset:384
.LBB327_1034:
	s_or_b32 exec_lo, exec_lo, s0
	v_or_b32_e32 v11, 0x70, v36
	s_delay_alu instid0(VALU_DEP_1) | instskip(SKIP_1) | instid1(SALU_CYCLE_1)
	v_cmp_gt_u32_e64 s0, 0x78, v11
	s_and_b32 s0, vcc_lo, s0
	s_and_b32 exec_lo, exec_lo, s0
; %bb.1035:
	v_lshl_add_u32 v10, v11, 2, v10
	ds_store_b32 v10, v3
.LBB327_1036:
	s_or_b32 exec_lo, exec_lo, s1
	s_delay_alu instid0(SALU_CYCLE_1)
	s_mov_b32 s1, exec_lo
	s_wait_dscnt 0x0
	s_barrier_signal -1
	s_barrier_wait -1
	v_cmpx_gt_u32_e32 64, v0
	s_cbranch_execz .LBB327_1048
; %bb.1037:
	s_and_saveexec_b32 s0, vcc_lo
	s_cbranch_execnz .LBB327_1083
; %bb.1038:
	s_or_b32 exec_lo, exec_lo, s0
	s_and_saveexec_b32 s0, vcc_lo
	s_cbranch_execnz .LBB327_1084
.LBB327_1039:
	s_or_b32 exec_lo, exec_lo, s0
	s_and_saveexec_b32 s0, vcc_lo
	s_cbranch_execnz .LBB327_1085
.LBB327_1040:
	s_or_b32 exec_lo, exec_lo, s0
	s_and_saveexec_b32 s0, vcc_lo
	s_cbranch_execnz .LBB327_1086
.LBB327_1041:
	s_or_b32 exec_lo, exec_lo, s0
	s_and_saveexec_b32 s0, vcc_lo
	s_cbranch_execnz .LBB327_1087
.LBB327_1042:
	s_or_b32 exec_lo, exec_lo, s0
	s_and_saveexec_b32 s0, vcc_lo
	s_cbranch_execnz .LBB327_1088
.LBB327_1043:
	s_or_b32 exec_lo, exec_lo, s0
	s_and_saveexec_b32 s0, vcc_lo
	s_cbranch_execz .LBB327_1045
.LBB327_1044:
	v_lshl_add_u32 v10, v36, 2, v18
	ds_load_b32 v10, v10 offset:384
	s_wait_dscnt 0x0
	v_add_f32_e32 v2, v2, v10
.LBB327_1045:
	s_or_b32 exec_lo, exec_lo, s0
	v_or_b32_e32 v10, 0x70, v36
	s_delay_alu instid0(VALU_DEP_1) | instskip(SKIP_1) | instid1(SALU_CYCLE_1)
	v_cmp_gt_u32_e64 s0, 0x78, v10
	s_and_b32 s2, vcc_lo, s0
	s_and_saveexec_b32 s0, s2
	s_cbranch_execz .LBB327_1047
; %bb.1046:
	v_lshl_add_u32 v10, v36, 2, v18
	ds_load_b32 v10, v10 offset:448
	s_wait_dscnt 0x0
	v_add_f32_e32 v3, v3, v10
.LBB327_1047:
	s_or_b32 exec_lo, exec_lo, s0
.LBB327_1048:
	s_delay_alu instid0(SALU_CYCLE_1) | instskip(SKIP_4) | instid1(VALU_DEP_1)
	s_or_b32 exec_lo, exec_lo, s1
	v_and_b32_e32 v10, 0x3e0, v0
	s_mov_b32 s1, exec_lo
	s_barrier_signal -1
	s_barrier_wait -1
	v_cmpx_eq_u32_e32 32, v10
	s_cbranch_execz .LBB327_1053
; %bb.1049:
	v_lshl_add_u32 v10, v36, 2, 0x110
	s_and_saveexec_b32 s0, vcc_lo
	s_cbranch_execz .LBB327_1051
; %bb.1050:
	ds_store_2addr_b32 v10, v8, v9 offset1:16
	ds_store_2addr_b32 v10, v6, v7 offset0:32 offset1:48
	ds_store_2addr_b32 v10, v4, v5 offset0:64 offset1:80
	ds_store_b32 v10, v2 offset:384
.LBB327_1051:
	s_or_b32 exec_lo, exec_lo, s0
	v_or_b32_e32 v11, 0x70, v36
	s_delay_alu instid0(VALU_DEP_1) | instskip(SKIP_1) | instid1(SALU_CYCLE_1)
	v_cmp_gt_u32_e64 s0, 0x78, v11
	s_and_b32 s0, vcc_lo, s0
	s_and_b32 exec_lo, exec_lo, s0
; %bb.1052:
	ds_store_b32 v10, v3 offset:448
.LBB327_1053:
	s_or_b32 exec_lo, exec_lo, s1
	v_cmp_gt_u32_e64 s0, 32, v0
	s_wait_dscnt 0x0
	s_barrier_signal -1
	s_barrier_wait -1
	s_and_saveexec_b32 s2, s0
	s_cbranch_execz .LBB327_1065
; %bb.1054:
	v_lshl_add_u32 v0, v36, 2, v18
	s_and_saveexec_b32 s1, vcc_lo
	s_cbranch_execnz .LBB327_1089
; %bb.1055:
	s_or_b32 exec_lo, exec_lo, s1
	s_and_saveexec_b32 s1, vcc_lo
	s_cbranch_execnz .LBB327_1090
.LBB327_1056:
	s_or_b32 exec_lo, exec_lo, s1
	s_and_saveexec_b32 s1, vcc_lo
	s_cbranch_execnz .LBB327_1091
.LBB327_1057:
	s_or_b32 exec_lo, exec_lo, s1
	s_and_saveexec_b32 s1, vcc_lo
	s_cbranch_execnz .LBB327_1092
.LBB327_1058:
	s_or_b32 exec_lo, exec_lo, s1
	s_and_saveexec_b32 s1, vcc_lo
	s_cbranch_execnz .LBB327_1093
.LBB327_1059:
	s_or_b32 exec_lo, exec_lo, s1
	s_and_saveexec_b32 s1, vcc_lo
	s_cbranch_execnz .LBB327_1094
.LBB327_1060:
	s_or_b32 exec_lo, exec_lo, s1
	s_and_saveexec_b32 s1, vcc_lo
	s_cbranch_execz .LBB327_1062
.LBB327_1061:
	ds_load_b32 v10, v0 offset:384
	s_wait_dscnt 0x0
	v_add_f32_e32 v2, v2, v10
.LBB327_1062:
	s_or_b32 exec_lo, exec_lo, s1
	v_or_b32_e32 v10, 0x70, v36
	s_delay_alu instid0(VALU_DEP_1) | instskip(SKIP_1) | instid1(SALU_CYCLE_1)
	v_cmp_gt_u32_e64 s1, 0x78, v10
	s_and_b32 s3, vcc_lo, s1
	s_and_saveexec_b32 s1, s3
	s_cbranch_execz .LBB327_1064
; %bb.1063:
	ds_load_b32 v0, v0 offset:448
	s_wait_dscnt 0x0
	v_add_f32_e32 v3, v3, v0
.LBB327_1064:
	s_or_b32 exec_lo, exec_lo, s1
.LBB327_1065:
	s_delay_alu instid0(SALU_CYCLE_1)
	s_or_b32 exec_lo, exec_lo, s2
	s_barrier_signal -1
	s_barrier_wait -1
	s_and_saveexec_b32 s1, s0
	s_cbranch_execz .LBB327_1082
; %bb.1066:
	s_mul_i32 s1, s33, s7
	s_mul_i32 s0, s7, s6
	;; [unrolled: 1-line block ×3, first 2 shown]
	s_bfe_u32 s7, ttmp6, 0x40014
	s_mul_i32 s2, s1, 0x78
	s_lshr_b32 s6, ttmp7, 16
	s_ashr_i32 s3, s2, 31
	s_add_co_i32 s7, s7, 1
	s_lshl_b64 s[2:3], s[2:3], 1
	s_ashr_i32 s1, s0, 31
	s_wait_kmcnt 0x0
	s_add_nc_u64 s[2:3], s[4:5], s[2:3]
	s_mul_i32 s4, s6, s7
	s_bfe_u32 s5, ttmp6, 0x40008
	s_lshl_b64 s[0:1], s[0:1], 1
	s_add_co_i32 s5, s5, s4
	s_cmp_eq_u32 s30, 0
	s_add_nc_u64 s[0:1], s[2:3], s[0:1]
	s_cselect_b32 s2, s6, s5
	s_mov_b32 s3, 0
	s_mulk_i32 s2, 0xf0
	s_delay_alu instid0(SALU_CYCLE_1)
	s_add_nc_u64 s[2:3], s[0:1], s[2:3]
	s_and_saveexec_b32 s0, vcc_lo
	s_cbranch_execz .LBB327_1068
; %bb.1067:
	v_cvt_pk_bf16_f32 v0, v8, s0
	global_store_b16 v1, v0, s[2:3] scale_offset
.LBB327_1068:
	s_wait_xcnt 0x0
	s_or_b32 exec_lo, exec_lo, s0
	v_or_b32_e32 v0, 16, v1
	s_delay_alu instid0(VALU_DEP_1) | instskip(SKIP_1) | instid1(SALU_CYCLE_1)
	v_cmp_gt_u32_e64 s0, 0x78, v0
	s_and_b32 s1, vcc_lo, s0
	s_and_saveexec_b32 s0, s1
	s_cbranch_execz .LBB327_1070
; %bb.1069:
	v_cvt_pk_bf16_f32 v0, v9, s0
	global_store_b16 v1, v0, s[2:3] offset:32 scale_offset
.LBB327_1070:
	s_wait_xcnt 0x0
	s_or_b32 exec_lo, exec_lo, s0
	v_or_b32_e32 v0, 32, v1
	s_delay_alu instid0(VALU_DEP_1) | instskip(SKIP_1) | instid1(SALU_CYCLE_1)
	v_cmp_gt_u32_e64 s0, 0x78, v0
	s_and_b32 s1, vcc_lo, s0
	s_and_saveexec_b32 s0, s1
	s_cbranch_execz .LBB327_1072
; %bb.1071:
	v_cvt_pk_bf16_f32 v0, v6, s0
	global_store_b16 v1, v0, s[2:3] offset:64 scale_offset
.LBB327_1072:
	s_wait_xcnt 0x0
	s_or_b32 exec_lo, exec_lo, s0
	v_or_b32_e32 v0, 48, v1
	s_delay_alu instid0(VALU_DEP_1) | instskip(SKIP_1) | instid1(SALU_CYCLE_1)
	v_cmp_gt_u32_e64 s0, 0x78, v0
	s_and_b32 s1, vcc_lo, s0
	s_and_saveexec_b32 s0, s1
	s_cbranch_execz .LBB327_1074
; %bb.1073:
	v_cvt_pk_bf16_f32 v0, v7, s0
	global_store_b16 v1, v0, s[2:3] offset:96 scale_offset
.LBB327_1074:
	s_wait_xcnt 0x0
	s_or_b32 exec_lo, exec_lo, s0
	v_or_b32_e32 v0, 64, v1
	s_delay_alu instid0(VALU_DEP_1) | instskip(SKIP_1) | instid1(SALU_CYCLE_1)
	v_cmp_gt_u32_e64 s0, 0x78, v0
	s_and_b32 s1, vcc_lo, s0
	s_and_saveexec_b32 s0, s1
	s_cbranch_execz .LBB327_1076
; %bb.1075:
	v_cvt_pk_bf16_f32 v0, v4, s0
	global_store_b16 v1, v0, s[2:3] offset:128 scale_offset
.LBB327_1076:
	s_wait_xcnt 0x0
	s_or_b32 exec_lo, exec_lo, s0
	v_or_b32_e32 v0, 0x50, v1
	s_delay_alu instid0(VALU_DEP_1) | instskip(SKIP_1) | instid1(SALU_CYCLE_1)
	v_cmp_gt_u32_e64 s0, 0x78, v0
	s_and_b32 s1, vcc_lo, s0
	s_and_saveexec_b32 s0, s1
	s_cbranch_execz .LBB327_1078
; %bb.1077:
	v_cvt_pk_bf16_f32 v0, v5, s0
	global_store_b16 v1, v0, s[2:3] offset:160 scale_offset
.LBB327_1078:
	s_wait_xcnt 0x0
	s_or_b32 exec_lo, exec_lo, s0
	v_or_b32_e32 v0, 0x60, v1
	s_delay_alu instid0(VALU_DEP_1) | instskip(SKIP_1) | instid1(SALU_CYCLE_1)
	v_cmp_gt_u32_e64 s0, 0x78, v0
	s_and_b32 s1, vcc_lo, s0
	s_and_saveexec_b32 s0, s1
	s_cbranch_execz .LBB327_1080
; %bb.1079:
	v_cvt_pk_bf16_f32 v0, v2, s0
	global_store_b16 v1, v0, s[2:3] offset:192 scale_offset
.LBB327_1080:
	s_wait_xcnt 0x0
	s_or_b32 exec_lo, exec_lo, s0
	v_or_b32_e32 v0, 0x70, v1
	s_delay_alu instid0(VALU_DEP_1) | instskip(SKIP_1) | instid1(SALU_CYCLE_1)
	v_cmp_gt_u32_e64 s0, 0x78, v0
	s_and_b32 s0, vcc_lo, s0
	s_and_b32 exec_lo, exec_lo, s0
	s_cbranch_execz .LBB327_1082
; %bb.1081:
	v_cvt_pk_bf16_f32 v0, v3, s0
	global_store_b16 v1, v0, s[2:3] offset:224 scale_offset
.LBB327_1082:
	s_sendmsg sendmsg(MSG_DEALLOC_VGPRS)
	s_endpgm
.LBB327_1083:
	v_lshl_add_u32 v10, v36, 2, v18
	ds_load_b32 v10, v10
	s_wait_dscnt 0x0
	v_add_f32_e32 v8, v8, v10
	s_or_b32 exec_lo, exec_lo, s0
	s_and_saveexec_b32 s0, vcc_lo
	s_cbranch_execz .LBB327_1039
.LBB327_1084:
	v_lshl_add_u32 v10, v36, 2, v18
	ds_load_b32 v10, v10 offset:64
	s_wait_dscnt 0x0
	v_add_f32_e32 v9, v9, v10
	s_or_b32 exec_lo, exec_lo, s0
	s_and_saveexec_b32 s0, vcc_lo
	s_cbranch_execz .LBB327_1040
.LBB327_1085:
	v_lshl_add_u32 v10, v36, 2, v18
	ds_load_b32 v10, v10 offset:128
	s_wait_dscnt 0x0
	v_add_f32_e32 v6, v6, v10
	s_or_b32 exec_lo, exec_lo, s0
	s_and_saveexec_b32 s0, vcc_lo
	s_cbranch_execz .LBB327_1041
.LBB327_1086:
	v_lshl_add_u32 v10, v36, 2, v18
	ds_load_b32 v10, v10 offset:192
	s_wait_dscnt 0x0
	v_add_f32_e32 v7, v7, v10
	s_or_b32 exec_lo, exec_lo, s0
	s_and_saveexec_b32 s0, vcc_lo
	s_cbranch_execz .LBB327_1042
.LBB327_1087:
	v_lshl_add_u32 v10, v36, 2, v18
	ds_load_b32 v10, v10 offset:256
	s_wait_dscnt 0x0
	v_add_f32_e32 v4, v4, v10
	s_or_b32 exec_lo, exec_lo, s0
	s_and_saveexec_b32 s0, vcc_lo
	s_cbranch_execz .LBB327_1043
.LBB327_1088:
	v_lshl_add_u32 v10, v36, 2, v18
	ds_load_b32 v10, v10 offset:320
	s_wait_dscnt 0x0
	v_add_f32_e32 v5, v5, v10
	s_or_b32 exec_lo, exec_lo, s0
	s_and_saveexec_b32 s0, vcc_lo
	s_cbranch_execnz .LBB327_1044
	s_branch .LBB327_1045
.LBB327_1089:
	ds_load_b32 v10, v0
	s_wait_dscnt 0x0
	v_add_f32_e32 v8, v8, v10
	s_or_b32 exec_lo, exec_lo, s1
	s_and_saveexec_b32 s1, vcc_lo
	s_cbranch_execz .LBB327_1056
.LBB327_1090:
	ds_load_b32 v10, v0 offset:64
	s_wait_dscnt 0x0
	v_add_f32_e32 v9, v9, v10
	s_or_b32 exec_lo, exec_lo, s1
	s_and_saveexec_b32 s1, vcc_lo
	s_cbranch_execz .LBB327_1057
.LBB327_1091:
	ds_load_b32 v10, v0 offset:128
	s_wait_dscnt 0x0
	v_add_f32_e32 v6, v6, v10
	s_or_b32 exec_lo, exec_lo, s1
	s_and_saveexec_b32 s1, vcc_lo
	s_cbranch_execz .LBB327_1058
.LBB327_1092:
	ds_load_b32 v10, v0 offset:192
	s_wait_dscnt 0x0
	v_add_f32_e32 v7, v7, v10
	s_or_b32 exec_lo, exec_lo, s1
	s_and_saveexec_b32 s1, vcc_lo
	s_cbranch_execz .LBB327_1059
.LBB327_1093:
	ds_load_b32 v10, v0 offset:256
	s_wait_dscnt 0x0
	v_add_f32_e32 v4, v4, v10
	s_or_b32 exec_lo, exec_lo, s1
	s_and_saveexec_b32 s1, vcc_lo
	s_cbranch_execz .LBB327_1060
.LBB327_1094:
	ds_load_b32 v10, v0 offset:320
	s_wait_dscnt 0x0
	v_add_f32_e32 v5, v5, v10
	s_or_b32 exec_lo, exec_lo, s1
	s_and_saveexec_b32 s1, vcc_lo
	s_cbranch_execnz .LBB327_1061
	s_branch .LBB327_1062
	.section	.rodata,"a",@progbits
	.p2align	6, 0x0
	.amdhsa_kernel _ZN4vllm25paged_attention_v1_kernelI14__hip_bfloat16hLi120ELi16ELi128ELNS_18Fp8KVCacheDataTypeE1ELb1EEEvPT_PKS3_PKT0_S9_ifPKiSB_iPKfiiiSD_SD_iiiii
		.amdhsa_group_segment_fixed_size 272
		.amdhsa_private_segment_fixed_size 0
		.amdhsa_kernarg_size 384
		.amdhsa_user_sgpr_count 2
		.amdhsa_user_sgpr_dispatch_ptr 0
		.amdhsa_user_sgpr_queue_ptr 0
		.amdhsa_user_sgpr_kernarg_segment_ptr 1
		.amdhsa_user_sgpr_dispatch_id 0
		.amdhsa_user_sgpr_kernarg_preload_length 0
		.amdhsa_user_sgpr_kernarg_preload_offset 0
		.amdhsa_user_sgpr_private_segment_size 0
		.amdhsa_wavefront_size32 1
		.amdhsa_uses_dynamic_stack 0
		.amdhsa_enable_private_segment 0
		.amdhsa_system_sgpr_workgroup_id_x 1
		.amdhsa_system_sgpr_workgroup_id_y 1
		.amdhsa_system_sgpr_workgroup_id_z 1
		.amdhsa_system_sgpr_workgroup_info 0
		.amdhsa_system_vgpr_workitem_id 0
		.amdhsa_next_free_vgpr 112
		.amdhsa_next_free_sgpr 46
		.amdhsa_named_barrier_count 0
		.amdhsa_reserve_vcc 1
		.amdhsa_float_round_mode_32 0
		.amdhsa_float_round_mode_16_64 0
		.amdhsa_float_denorm_mode_32 3
		.amdhsa_float_denorm_mode_16_64 3
		.amdhsa_fp16_overflow 0
		.amdhsa_memory_ordered 1
		.amdhsa_forward_progress 1
		.amdhsa_inst_pref_size 255
		.amdhsa_round_robin_scheduling 0
		.amdhsa_exception_fp_ieee_invalid_op 0
		.amdhsa_exception_fp_denorm_src 0
		.amdhsa_exception_fp_ieee_div_zero 0
		.amdhsa_exception_fp_ieee_overflow 0
		.amdhsa_exception_fp_ieee_underflow 0
		.amdhsa_exception_fp_ieee_inexact 0
		.amdhsa_exception_int_div_zero 0
	.end_amdhsa_kernel
	.section	.text._ZN4vllm25paged_attention_v1_kernelI14__hip_bfloat16hLi120ELi16ELi128ELNS_18Fp8KVCacheDataTypeE1ELb1EEEvPT_PKS3_PKT0_S9_ifPKiSB_iPKfiiiSD_SD_iiiii,"axG",@progbits,_ZN4vllm25paged_attention_v1_kernelI14__hip_bfloat16hLi120ELi16ELi128ELNS_18Fp8KVCacheDataTypeE1ELb1EEEvPT_PKS3_PKT0_S9_ifPKiSB_iPKfiiiSD_SD_iiiii,comdat
.Lfunc_end327:
	.size	_ZN4vllm25paged_attention_v1_kernelI14__hip_bfloat16hLi120ELi16ELi128ELNS_18Fp8KVCacheDataTypeE1ELb1EEEvPT_PKS3_PKT0_S9_ifPKiSB_iPKfiiiSD_SD_iiiii, .Lfunc_end327-_ZN4vllm25paged_attention_v1_kernelI14__hip_bfloat16hLi120ELi16ELi128ELNS_18Fp8KVCacheDataTypeE1ELb1EEEvPT_PKS3_PKT0_S9_ifPKiSB_iPKfiiiSD_SD_iiiii
                                        ; -- End function
	.set _ZN4vllm25paged_attention_v1_kernelI14__hip_bfloat16hLi120ELi16ELi128ELNS_18Fp8KVCacheDataTypeE1ELb1EEEvPT_PKS3_PKT0_S9_ifPKiSB_iPKfiiiSD_SD_iiiii.num_vgpr, 112
	.set _ZN4vllm25paged_attention_v1_kernelI14__hip_bfloat16hLi120ELi16ELi128ELNS_18Fp8KVCacheDataTypeE1ELb1EEEvPT_PKS3_PKT0_S9_ifPKiSB_iPKfiiiSD_SD_iiiii.num_agpr, 0
	.set _ZN4vllm25paged_attention_v1_kernelI14__hip_bfloat16hLi120ELi16ELi128ELNS_18Fp8KVCacheDataTypeE1ELb1EEEvPT_PKS3_PKT0_S9_ifPKiSB_iPKfiiiSD_SD_iiiii.numbered_sgpr, 46
	.set _ZN4vllm25paged_attention_v1_kernelI14__hip_bfloat16hLi120ELi16ELi128ELNS_18Fp8KVCacheDataTypeE1ELb1EEEvPT_PKS3_PKT0_S9_ifPKiSB_iPKfiiiSD_SD_iiiii.num_named_barrier, 0
	.set _ZN4vllm25paged_attention_v1_kernelI14__hip_bfloat16hLi120ELi16ELi128ELNS_18Fp8KVCacheDataTypeE1ELb1EEEvPT_PKS3_PKT0_S9_ifPKiSB_iPKfiiiSD_SD_iiiii.private_seg_size, 0
	.set _ZN4vllm25paged_attention_v1_kernelI14__hip_bfloat16hLi120ELi16ELi128ELNS_18Fp8KVCacheDataTypeE1ELb1EEEvPT_PKS3_PKT0_S9_ifPKiSB_iPKfiiiSD_SD_iiiii.uses_vcc, 1
	.set _ZN4vllm25paged_attention_v1_kernelI14__hip_bfloat16hLi120ELi16ELi128ELNS_18Fp8KVCacheDataTypeE1ELb1EEEvPT_PKS3_PKT0_S9_ifPKiSB_iPKfiiiSD_SD_iiiii.uses_flat_scratch, 0
	.set _ZN4vllm25paged_attention_v1_kernelI14__hip_bfloat16hLi120ELi16ELi128ELNS_18Fp8KVCacheDataTypeE1ELb1EEEvPT_PKS3_PKT0_S9_ifPKiSB_iPKfiiiSD_SD_iiiii.has_dyn_sized_stack, 0
	.set _ZN4vllm25paged_attention_v1_kernelI14__hip_bfloat16hLi120ELi16ELi128ELNS_18Fp8KVCacheDataTypeE1ELb1EEEvPT_PKS3_PKT0_S9_ifPKiSB_iPKfiiiSD_SD_iiiii.has_recursion, 0
	.set _ZN4vllm25paged_attention_v1_kernelI14__hip_bfloat16hLi120ELi16ELi128ELNS_18Fp8KVCacheDataTypeE1ELb1EEEvPT_PKS3_PKT0_S9_ifPKiSB_iPKfiiiSD_SD_iiiii.has_indirect_call, 0
	.section	.AMDGPU.csdata,"",@progbits
; Kernel info:
; codeLenInByte = 37716
; TotalNumSgprs: 48
; NumVgprs: 112
; ScratchSize: 0
; MemoryBound: 0
; FloatMode: 240
; IeeeMode: 1
; LDSByteSize: 272 bytes/workgroup (compile time only)
; SGPRBlocks: 0
; VGPRBlocks: 6
; NumSGPRsForWavesPerEU: 48
; NumVGPRsForWavesPerEU: 112
; NamedBarCnt: 0
; Occupancy: 9
; WaveLimiterHint : 1
; COMPUTE_PGM_RSRC2:SCRATCH_EN: 0
; COMPUTE_PGM_RSRC2:USER_SGPR: 2
; COMPUTE_PGM_RSRC2:TRAP_HANDLER: 0
; COMPUTE_PGM_RSRC2:TGID_X_EN: 1
; COMPUTE_PGM_RSRC2:TGID_Y_EN: 1
; COMPUTE_PGM_RSRC2:TGID_Z_EN: 1
; COMPUTE_PGM_RSRC2:TIDIG_COMP_CNT: 0
	.section	.text._ZN4vllm25paged_attention_v1_kernelI14__hip_bfloat16hLi128ELi16ELi128ELNS_18Fp8KVCacheDataTypeE1ELb1EEEvPT_PKS3_PKT0_S9_ifPKiSB_iPKfiiiSD_SD_iiiii,"axG",@progbits,_ZN4vllm25paged_attention_v1_kernelI14__hip_bfloat16hLi128ELi16ELi128ELNS_18Fp8KVCacheDataTypeE1ELb1EEEvPT_PKS3_PKT0_S9_ifPKiSB_iPKfiiiSD_SD_iiiii,comdat
	.protected	_ZN4vllm25paged_attention_v1_kernelI14__hip_bfloat16hLi128ELi16ELi128ELNS_18Fp8KVCacheDataTypeE1ELb1EEEvPT_PKS3_PKT0_S9_ifPKiSB_iPKfiiiSD_SD_iiiii ; -- Begin function _ZN4vllm25paged_attention_v1_kernelI14__hip_bfloat16hLi128ELi16ELi128ELNS_18Fp8KVCacheDataTypeE1ELb1EEEvPT_PKS3_PKT0_S9_ifPKiSB_iPKfiiiSD_SD_iiiii
	.globl	_ZN4vllm25paged_attention_v1_kernelI14__hip_bfloat16hLi128ELi16ELi128ELNS_18Fp8KVCacheDataTypeE1ELb1EEEvPT_PKS3_PKT0_S9_ifPKiSB_iPKfiiiSD_SD_iiiii
	.p2align	8
	.type	_ZN4vllm25paged_attention_v1_kernelI14__hip_bfloat16hLi128ELi16ELi128ELNS_18Fp8KVCacheDataTypeE1ELb1EEEvPT_PKS3_PKT0_S9_ifPKiSB_iPKfiiiSD_SD_iiiii,@function
_ZN4vllm25paged_attention_v1_kernelI14__hip_bfloat16hLi128ELi16ELi128ELNS_18Fp8KVCacheDataTypeE1ELb1EEEvPT_PKS3_PKT0_S9_ifPKiSB_iPKfiiiSD_SD_iiiii: ; @_ZN4vllm25paged_attention_v1_kernelI14__hip_bfloat16hLi128ELi16ELi128ELNS_18Fp8KVCacheDataTypeE1ELb1EEEvPT_PKS3_PKT0_S9_ifPKiSB_iPKfiiiSD_SD_iiiii
; %bb.0:
	s_load_b64 s[6:7], s[0:1], 0x20
	s_bfe_u32 s3, ttmp6, 0x4000c
	s_bfe_u32 s5, ttmp6, 0x40010
	s_and_b32 s4, ttmp7, 0xffff
	s_add_co_i32 s3, s3, 1
	s_add_co_i32 s5, s5, 1
	s_and_b32 s2, ttmp6, 15
	s_bfe_u32 s8, ttmp6, 0x40004
	s_mul_i32 s3, ttmp9, s3
	s_mul_i32 s5, s4, s5
	s_getreg_b32 s30, hwreg(HW_REG_IB_STS2, 6, 4)
	s_add_co_i32 s9, s2, s3
	s_add_co_i32 s8, s8, s5
	s_cmp_eq_u32 s30, 0
	s_clause 0x1
	s_load_b32 s31, s[0:1], 0x80
	s_load_b64 s[2:3], s[0:1], 0x30
	s_cselect_b32 s33, s4, s8
	s_cselect_b32 s4, ttmp9, s9
	s_wait_kmcnt 0x0
	s_abs_i32 s5, s6
	s_delay_alu instid0(SALU_CYCLE_1) | instskip(SKIP_1) | instid1(SALU_CYCLE_2)
	s_cvt_f32_u32 s8, s5
	s_sub_co_i32 s9, 0, s5
	v_rcp_iflag_f32_e32 v1, s8
	s_abs_i32 s10, s31
	v_nop
	s_delay_alu instid0(TRANS32_DEP_1) | instskip(SKIP_1) | instid1(SALU_CYCLE_3)
	v_readfirstlane_b32 s8, v1
	s_mul_f32 s8, s8, 0x4f7ffffe
	s_cvt_u32_f32 s8, s8
	s_delay_alu instid0(SALU_CYCLE_3) | instskip(NEXT) | instid1(SALU_CYCLE_1)
	s_mul_i32 s9, s9, s8
	s_mul_hi_u32 s9, s8, s9
	s_delay_alu instid0(SALU_CYCLE_1) | instskip(SKIP_4) | instid1(SALU_CYCLE_1)
	s_add_co_i32 s8, s8, s9
	s_xor_b32 s9, s31, s6
	s_mul_hi_u32 s8, s10, s8
	s_ashr_i32 s9, s9, 31
	s_mul_i32 s11, s8, s5
	s_sub_co_i32 s10, s10, s11
	s_add_co_i32 s11, s8, 1
	s_sub_co_i32 s12, s10, s5
	s_cmp_ge_u32 s10, s5
	s_cselect_b32 s8, s11, s8
	s_cselect_b32 s10, s12, s10
	s_add_co_i32 s11, s8, 1
	s_cmp_ge_u32 s10, s5
	s_load_b64 s[12:13], s[0:1], 0x40
	s_cselect_b32 s5, s11, s8
	s_delay_alu instid0(SALU_CYCLE_1) | instskip(NEXT) | instid1(SALU_CYCLE_1)
	s_xor_b32 s5, s5, s9
	s_sub_co_i32 s14, s5, s9
	s_mov_b32 s9, 0
	s_abs_i32 s19, s14
	s_mov_b32 s11, s9
	s_cvt_f32_u32 s5, s19
	s_sub_co_i32 s8, 0, s19
	s_mov_b32 s37, s9
	s_delay_alu instid0(SALU_CYCLE_1) | instskip(SKIP_1) | instid1(TRANS32_DEP_1)
	v_rcp_iflag_f32_e32 v1, s5
	v_nop
	v_readfirstlane_b32 s5, v1
	s_mul_f32 s5, s5, 0x4f7ffffe
	s_delay_alu instid0(SALU_CYCLE_3) | instskip(NEXT) | instid1(SALU_CYCLE_3)
	s_cvt_u32_f32 s5, s5
	s_mul_i32 s8, s8, s5
	s_delay_alu instid0(SALU_CYCLE_1)
	s_mul_hi_u32 s10, s5, s8
	s_abs_i32 s8, s4
	s_add_co_i32 s10, s5, s10
	s_wait_kmcnt 0x0
	s_cmp_eq_u64 s[12:13], 0
	s_cbranch_scc1 .LBB328_2
; %bb.1:
	s_ashr_i32 s5, s4, 31
	s_delay_alu instid0(SALU_CYCLE_1) | instskip(NEXT) | instid1(SALU_CYCLE_1)
	s_lshl_b64 s[16:17], s[4:5], 2
	s_add_nc_u64 s[12:13], s[12:13], s[16:17]
	s_load_b32 s37, s[12:13], 0x0
.LBB328_2:
	s_load_b32 s34, s[2:3], s33 offset:0x0 scale_offset
	s_load_b96 s[16:18], s[0:1], 0x48
	v_dual_lshrrev_b32 v1, 1, v0 :: v_dual_bitop2_b32 v38, 1, v0 bitop3:0x40
	s_wait_xcnt 0x0
	v_cmp_gt_u32_e64 s2, 32, v0
	s_ashr_i32 s3, s4, 31
	s_ashr_i32 s5, s14, 31
	s_mul_u64 s[10:11], s[8:9], s[10:11]
	s_lshl_b32 s20, s4, 7
	s_and_saveexec_b32 s9, s2
	s_cbranch_execz .LBB328_4
; %bb.3:
	s_load_b64 s[12:13], s[0:1], 0x8
	s_wait_kmcnt 0x0
	s_mul_i32 s14, s16, s33
	s_ashr_i32 s21, s20, 31
	s_ashr_i32 s15, s14, 31
	v_lshlrev_b32_e32 v4, 3, v1
	s_lshl_b64 s[14:15], s[14:15], 1
	s_delay_alu instid0(VALU_DEP_1) | instskip(SKIP_2) | instid1(SALU_CYCLE_1)
	v_lshl_add_u32 v4, v38, 7, v4
	s_add_nc_u64 s[12:13], s[12:13], s[14:15]
	s_lshl_b64 s[14:15], s[20:21], 1
	s_add_nc_u64 s[12:13], s[12:13], s[14:15]
	global_load_b64 v[2:3], v0, s[12:13] scale_offset
	s_wait_loadcnt 0x0
	ds_store_b64 v4, v[2:3]
.LBB328_4:
	s_or_b32 exec_lo, exec_lo, s9
	s_load_b128 s[12:15], s[0:1], 0x68
	s_mul_i32 s9, s11, s19
	s_xor_b32 s5, s3, s5
	s_sub_co_i32 s3, s8, s9
	s_add_co_i32 s8, s11, 1
	s_sub_co_i32 s9, s3, s19
	s_cmp_ge_u32 s3, s19
	s_wait_dscnt 0x0
	s_cselect_b32 s8, s8, s11
	s_cselect_b32 s3, s9, s3
	s_add_co_i32 s9, s8, 1
	s_cmp_ge_u32 s3, s19
	s_load_b32 s3, s[0:1], 0x78
	s_cselect_b32 s8, s9, s8
	s_wait_kmcnt 0x0
	s_add_co_i32 s10, s34, -1
	s_xor_b32 s8, s8, s5
	s_mov_b32 s11, -1
	s_sub_co_i32 s5, s8, s5
	s_barrier_signal -1
	s_barrier_wait -1
	s_abs_i32 s16, s15
	s_delay_alu instid0(SALU_CYCLE_1) | instskip(NEXT) | instid1(SALU_CYCLE_3)
	s_cvt_f32_u32 s9, s16
	v_rcp_iflag_f32_e32 v2, s9
	v_nop
	s_delay_alu instid0(TRANS32_DEP_1) | instskip(SKIP_1) | instid1(SALU_CYCLE_3)
	v_readfirstlane_b32 s9, v2
	s_mul_f32 s8, s9, 0x4f7ffffe
	s_cvt_u32_f32 s19, s8
	s_sub_co_i32 s8, 0, s16
	s_delay_alu instid0(SALU_CYCLE_2)
	s_mul_i32 s9, s8, s19
	s_abs_i32 s8, s10
	s_mul_hi_u32 s21, s19, s9
	s_mov_b32 s9, 0
	s_add_co_i32 s22, s19, s21
	s_cmp_lt_i32 s3, 0
	s_mov_b32 s23, s9
                                        ; implicit-def: $sgpr21
	s_cbranch_scc0 .LBB328_6
; %bb.5:
	s_mul_i32 s6, s12, s6
	s_mov_b32 s11, s9
	s_add_co_i32 s6, s5, s6
	s_delay_alu instid0(SALU_CYCLE_1) | instskip(NEXT) | instid1(SALU_CYCLE_1)
	s_mul_i32 s6, s6, s3
	s_sub_co_i32 s21, 1, s6
.LBB328_6:
	s_ashr_i32 s6, s10, 31
	s_ashr_i32 s15, s15, 31
	s_and_not1_b32 vcc_lo, exec_lo, s11
	s_mul_u64 s[28:29], s[8:9], s[22:23]
	s_cbranch_vccnz .LBB328_8
; %bb.7:
	s_mul_i32 s9, s31, s12
	s_delay_alu instid0(SALU_CYCLE_1) | instskip(NEXT) | instid1(SALU_CYCLE_1)
	s_add_co_i32 s4, s9, s4
	s_mul_i32 s3, s4, s3
	s_delay_alu instid0(SALU_CYCLE_1)
	s_add_co_i32 s21, s3, 1
.LBB328_8:
	s_clause 0x1
	s_load_b32 s3, s[0:1], 0x38
	s_load_b64 s[24:25], s[0:1], 0x28
	s_xor_b32 s4, s6, s15
	s_mul_i32 s6, s29, s16
	s_add_co_i32 s19, s29, 1
	s_sub_co_i32 s6, s8, s6
	s_clause 0x1
	s_load_b32 s12, s[0:1], 0x88
	s_load_b128 s[8:11], s[0:1], 0x58
	v_dual_lshrrev_b32 v39, 5, v0 :: v_dual_lshrrev_b32 v27, 3, v0
	v_mov_b32_e32 v43, 0xff7fffff
	v_mbcnt_lo_u32_b32 v40, -1, 0
	s_mul_i32 s18, s5, s18
	s_delay_alu instid0(VALU_DEP_3)
	v_lshlrev_b32_e32 v26, 4, v39
	s_wait_kmcnt 0x0
	s_mul_i32 s26, s3, s33
	s_sub_co_i32 s3, s6, s16
	s_ashr_i32 s27, s26, 31
	s_cmp_ge_u32 s6, s16
	s_cselect_b32 s19, s19, s29
	s_cselect_b32 s3, s3, s6
	s_add_co_i32 s6, s19, 1
	s_cmp_ge_u32 s3, s16
	s_cselect_b32 s3, s6, s19
	s_add_co_i32 s6, s34, 15
	s_delay_alu instid0(SALU_CYCLE_1) | instskip(NEXT) | instid1(SALU_CYCLE_1)
	s_ashr_i32 s19, s6, 31
	s_lshr_b32 s19, s19, 28
	s_delay_alu instid0(SALU_CYCLE_1) | instskip(NEXT) | instid1(SALU_CYCLE_1)
	s_add_co_i32 s6, s6, s19
	s_ashr_i32 s35, s6, 4
	s_xor_b32 s6, s3, s4
	v_cmp_gt_i32_e64 s3, s35, v39
	s_sub_co_i32 s36, s6, s4
	s_and_saveexec_b32 s38, s3
	s_cbranch_execz .LBB328_532
; %bb.9:
	s_load_b64 s[42:43], s[0:1], 0x10
	s_sub_co_i32 s39, s36, s13
	s_ashr_i32 s19, s18, 31
	s_cmp_neq_f32 s37, 0
	v_bfe_u32 v41, v0, 1, 4
	v_dual_mov_b32 v29, 0 :: v_dual_lshlrev_b32 v42, 7, v38
	s_cselect_b32 vcc_lo, -1, 0
	s_abs_i32 s40, s14
	s_delay_alu instid0(VALU_DEP_2)
	v_dual_lshlrev_b32 v30, 4, v39 :: v_dual_lshlrev_b32 v28, 4, v41
	s_cvt_f32_u32 s5, s40
	v_lshlrev_b32_e32 v5, 2, v41
	s_lshl_b64 s[44:45], s[26:27], 2
	v_subrev_nc_u32_e32 v4, s34, v41
	v_rcp_iflag_f32_e32 v2, s5
	s_sub_co_i32 s6, 0, s40
	v_cmp_eq_u32_e64 s4, 0, v38
	v_dual_mov_b32 v46, 0xff7fffff :: v_dual_mov_b32 v47, v39
	s_wait_kmcnt 0x0
	s_add_nc_u64 s[42:43], s[42:43], s[18:19]
	v_dual_mov_b32 v43, 0xff7fffff :: v_dual_add_nc_u32 v44, 1, v4
	v_readfirstlane_b32 s5, v2
	v_add_nc_u64_e32 v[2:3], s[42:43], v[28:29]
	v_lshlrev_b32_e32 v28, 2, v38
	v_lshl_or_b32 v5, v39, 6, v5
	s_add_nc_u64 s[42:43], s[24:25], s[44:45]
	s_mul_f32 s5, s5, 0x4f7ffffe
	s_mov_b32 s29, 0
	s_mov_b32 s19, s17
	v_add_nc_u64_e32 v[32:33], v[2:3], v[28:29]
	v_and_b32_e32 v28, 0x7c, v27
	s_cvt_u32_f32 s5, s5
	v_add_nc_u32_e32 v45, 0x120, v5
	s_mov_b32 s41, s29
	s_delay_alu instid0(VALU_DEP_2) | instskip(SKIP_1) | instid1(SALU_CYCLE_1)
	v_add_nc_u64_e32 v[34:35], s[42:43], v[28:29]
	s_mul_i32 s6, s6, s5
	s_mul_hi_u32 s6, s5, s6
	s_delay_alu instid0(SALU_CYCLE_1)
	s_add_co_i32 s28, s5, s6
	s_branch .LBB328_12
.LBB328_10:                             ;   in Loop: Header=BB328_12 Depth=1
	s_or_b32 exec_lo, exec_lo, s42
.LBB328_11:                             ;   in Loop: Header=BB328_12 Depth=1
	s_delay_alu instid0(SALU_CYCLE_1) | instskip(SKIP_3) | instid1(VALU_DEP_3)
	s_or_b32 exec_lo, exec_lo, s6
	v_dual_add_nc_u32 v47, 4, v47 :: v_dual_add_nc_u32 v30, 64, v30
	v_add_nc_u64_e32 v[34:35], 16, v[34:35]
	v_add_nc_u32_e32 v45, 0x100, v45
	v_cmp_le_i32_e64 s5, s35, v47
	s_or_b32 s41, s5, s41
	s_delay_alu instid0(SALU_CYCLE_1)
	s_and_not1_b32 exec_lo, exec_lo, s41
	s_cbranch_execz .LBB328_531
.LBB328_12:                             ; =>This Inner Loop Header: Depth=1
	v_mov_b32_e32 v31, v29
	s_wait_dscnt 0x0
	s_delay_alu instid0(VALU_DEP_1) | instskip(NEXT) | instid1(VALU_DEP_1)
	v_mul_u64_e32 v[2:3], s[22:23], v[30:31]
	v_mul_lo_u32 v2, v3, s16
	s_delay_alu instid0(VALU_DEP_1) | instskip(NEXT) | instid1(VALU_DEP_1)
	v_sub_nc_u32_e32 v2, v30, v2
	v_subrev_nc_u32_e32 v5, s16, v2
	v_cmp_le_u32_e64 s5, s16, v2
	s_delay_alu instid0(VALU_DEP_1) | instskip(NEXT) | instid1(VALU_DEP_1)
	v_dual_add_nc_u32 v4, 1, v3 :: v_dual_cndmask_b32 v2, v2, v5, s5
	v_cndmask_b32_e64 v3, v3, v4, s5
	s_delay_alu instid0(VALU_DEP_2) | instskip(NEXT) | instid1(VALU_DEP_2)
	v_cmp_le_u32_e64 s5, s16, v2
	v_add_nc_u32_e32 v4, 1, v3
	s_delay_alu instid0(VALU_DEP_1) | instskip(NEXT) | instid1(VALU_DEP_1)
	v_cndmask_b32_e64 v2, v3, v4, s5
	v_xor_b32_e32 v2, s15, v2
	s_delay_alu instid0(VALU_DEP_1) | instskip(NEXT) | instid1(VALU_DEP_1)
	v_subrev_nc_u32_e32 v4, s15, v2
	v_add_nc_u32_e32 v5, s21, v4
	v_cmp_ge_i32_e64 s6, s39, v4
	s_delay_alu instid0(VALU_DEP_2) | instskip(NEXT) | instid1(VALU_DEP_1)
	v_sub_nc_u32_e32 v2, 0, v5
	v_dual_ashrrev_i32 v5, 31, v5 :: v_dual_max_i32 v28, v5, v2
	s_delay_alu instid0(VALU_DEP_1) | instskip(NEXT) | instid1(VALU_DEP_1)
	v_mul_u64_e32 v[2:3], s[28:29], v[28:29]
	v_mul_lo_u32 v2, v3, s40
	s_delay_alu instid0(VALU_DEP_1) | instskip(NEXT) | instid1(VALU_DEP_1)
	v_sub_nc_u32_e32 v2, v28, v2
	v_subrev_nc_u32_e32 v3, s40, v2
	v_cmp_le_u32_e64 s5, s40, v2
	s_delay_alu instid0(VALU_DEP_1) | instskip(NEXT) | instid1(VALU_DEP_1)
	v_cndmask_b32_e64 v2, v2, v3, s5
	v_subrev_nc_u32_e32 v3, s40, v2
	v_cmp_le_u32_e64 s5, s40, v2
	s_delay_alu instid0(VALU_DEP_1) | instskip(NEXT) | instid1(VALU_DEP_1)
	v_cndmask_b32_e64 v2, v2, v3, s5
	v_xor_b32_e32 v2, v2, v5
	s_delay_alu instid0(VALU_DEP_1) | instskip(NEXT) | instid1(VALU_DEP_1)
	v_sub_nc_u32_e32 v2, v2, v5
	v_cmp_ne_u32_e64 s5, 0, v2
	s_and_b32 s5, s5, s6
	s_delay_alu instid0(SALU_CYCLE_1) | instskip(NEXT) | instid1(SALU_CYCLE_1)
	s_and_saveexec_b32 s6, s5
	s_xor_b32 s5, exec_lo, s6
	s_cbranch_execz .LBB328_16
; %bb.13:                               ;   in Loop: Header=BB328_12 Depth=1
	s_and_saveexec_b32 s6, s4
; %bb.14:                               ;   in Loop: Header=BB328_12 Depth=1
	ds_store_b32 v45, v46
; %bb.15:                               ;   in Loop: Header=BB328_12 Depth=1
	s_or_b32 exec_lo, exec_lo, s6
.LBB328_16:                             ;   in Loop: Header=BB328_12 Depth=1
	s_and_not1_saveexec_b32 s6, s5
	s_cbranch_execz .LBB328_11
; %bb.17:                               ;   in Loop: Header=BB328_12 Depth=1
	global_load_b32 v2, v[34:35], off
	v_dual_mov_b32 v50, 0 :: v_dual_mov_b32 v49, 0
	s_mov_b32 s43, exec_lo
	s_wait_loadcnt 0x0
	v_mad_nc_i64_i32 v[36:37], v2, s19, v[32:33]
	global_load_b32 v53, v[36:37], off
	ds_load_b128 v[22:25], v42
	ds_load_b128 v[18:21], v42 offset:16
	ds_load_b128 v[14:17], v42 offset:32
	;; [unrolled: 1-line block ×5, first 2 shown]
	ds_load_b32 v48, v42 offset:96
	ds_load_u16 v31, v42 offset:100
	s_load_b32 s42, s[8:9], 0x0
	s_wait_loadcnt 0x0
	v_and_b32_e32 v28, 0xff, v53
	s_delay_alu instid0(VALU_DEP_1)
	v_cmpx_ne_u16_e32 0, v28
	s_cbranch_execz .LBB328_25
; %bb.18:                               ;   in Loop: Header=BB328_12 Depth=1
	v_bfrev_b32_e32 v49, 1
	s_mov_b32 s44, exec_lo
	v_cmpx_ne_u16_e32 0x80, v28
	s_cbranch_execz .LBB328_24
; %bb.19:                               ;   in Loop: Header=BB328_12 Depth=1
	v_and_b32_e32 v51, 0x7f, v53
	v_mov_b32_e32 v49, 0x7f800001
	s_mov_b32 s45, exec_lo
	s_delay_alu instid0(VALU_DEP_2)
	v_cmpx_ne_u32_e32 0x7f, v51
	s_cbranch_execz .LBB328_23
; %bb.20:                               ;   in Loop: Header=BB328_12 Depth=1
	v_dual_lshrrev_b32 v49, 3, v51 :: v_dual_bitop2_b32 v28, 7, v53 bitop3:0x40
	s_mov_b32 s46, exec_lo
	v_cmpx_gt_u32_e32 8, v51
; %bb.21:                               ;   in Loop: Header=BB328_12 Depth=1
	s_delay_alu instid0(VALU_DEP_2) | instskip(NEXT) | instid1(VALU_DEP_1)
	v_clz_i32_u32_e32 v49, v28
	v_min_u32_e32 v49, 32, v49
	s_delay_alu instid0(VALU_DEP_1) | instskip(NEXT) | instid1(VALU_DEP_1)
	v_subrev_nc_u32_e32 v51, 28, v49
	v_lshlrev_b64_e32 v[54:55], v51, v[28:29]
	s_delay_alu instid0(VALU_DEP_1)
	v_dual_sub_nc_u32 v49, 29, v49 :: v_dual_bitop2_b32 v28, 7, v54 bitop3:0x40
; %bb.22:                               ;   in Loop: Header=BB328_12 Depth=1
	s_or_b32 exec_lo, exec_lo, s46
	s_delay_alu instid0(VALU_DEP_1) | instskip(NEXT) | instid1(VALU_DEP_2)
	v_dual_lshlrev_b32 v51, 24, v53 :: v_dual_lshlrev_b32 v28, 20, v28
	v_lshl_add_u32 v49, v49, 23, 0x3c000000
	s_delay_alu instid0(VALU_DEP_2) | instskip(NEXT) | instid1(VALU_DEP_1)
	v_and_b32_e32 v51, 0x80000000, v51
	v_or3_b32 v49, v28, v51, v49
.LBB328_23:                             ;   in Loop: Header=BB328_12 Depth=1
	s_or_b32 exec_lo, exec_lo, s45
.LBB328_24:                             ;   in Loop: Header=BB328_12 Depth=1
	s_delay_alu instid0(SALU_CYCLE_1)
	s_or_b32 exec_lo, exec_lo, s44
.LBB328_25:                             ;   in Loop: Header=BB328_12 Depth=1
	s_delay_alu instid0(SALU_CYCLE_1) | instskip(SKIP_2) | instid1(VALU_DEP_1)
	s_or_b32 exec_lo, exec_lo, s43
	v_lshrrev_b16 v28, 8, v53
	s_mov_b32 s43, exec_lo
	v_cmpx_ne_u16_e32 0, v28
	s_cbranch_execz .LBB328_33
; %bb.26:                               ;   in Loop: Header=BB328_12 Depth=1
	v_bfrev_b32_e32 v50, 1
	s_mov_b32 s44, exec_lo
	v_cmpx_ne_u16_e32 0x80, v28
	s_cbranch_execz .LBB328_32
; %bb.27:                               ;   in Loop: Header=BB328_12 Depth=1
	v_and_b32_e32 v28, 0xffff, v28
	v_mov_b32_e32 v50, 0x7f800001
	s_mov_b32 s45, exec_lo
	s_delay_alu instid0(VALU_DEP_2) | instskip(NEXT) | instid1(VALU_DEP_1)
	v_and_b32_e32 v51, 0x7f, v28
	v_cmpx_ne_u32_e32 0x7f, v51
	s_cbranch_execz .LBB328_31
; %bb.28:                               ;   in Loop: Header=BB328_12 Depth=1
	v_dual_lshrrev_b32 v50, 3, v51 :: v_dual_bitop2_b32 v28, 7, v28 bitop3:0x40
	s_mov_b32 s46, exec_lo
	v_cmpx_gt_u32_e32 8, v51
; %bb.29:                               ;   in Loop: Header=BB328_12 Depth=1
	s_delay_alu instid0(VALU_DEP_2) | instskip(NEXT) | instid1(VALU_DEP_1)
	v_clz_i32_u32_e32 v50, v28
	v_min_u32_e32 v50, 32, v50
	s_delay_alu instid0(VALU_DEP_1) | instskip(SKIP_1) | instid1(VALU_DEP_2)
	v_subrev_nc_u32_e32 v51, 28, v50
	v_sub_nc_u32_e32 v50, 29, v50
	v_lshlrev_b64_e32 v[54:55], v51, v[28:29]
	s_delay_alu instid0(VALU_DEP_1)
	v_and_b32_e32 v28, 7, v54
; %bb.30:                               ;   in Loop: Header=BB328_12 Depth=1
	s_or_b32 exec_lo, exec_lo, s46
	s_delay_alu instid0(VALU_DEP_1) | instskip(SKIP_1) | instid1(VALU_DEP_2)
	v_dual_lshlrev_b32 v51, 16, v53 :: v_dual_lshlrev_b32 v28, 20, v28
	v_lshl_add_u32 v50, v50, 23, 0x3c000000
	v_and_b32_e32 v51, 0x80000000, v51
	s_delay_alu instid0(VALU_DEP_1)
	v_or3_b32 v50, v28, v51, v50
.LBB328_31:                             ;   in Loop: Header=BB328_12 Depth=1
	s_or_b32 exec_lo, exec_lo, s45
.LBB328_32:                             ;   in Loop: Header=BB328_12 Depth=1
	s_delay_alu instid0(SALU_CYCLE_1)
	s_or_b32 exec_lo, exec_lo, s44
.LBB328_33:                             ;   in Loop: Header=BB328_12 Depth=1
	s_delay_alu instid0(SALU_CYCLE_1) | instskip(SKIP_3) | instid1(VALU_DEP_2)
	s_or_b32 exec_lo, exec_lo, s43
	v_dual_mov_b32 v51, 0 :: v_dual_lshrrev_b32 v54, 16, v53
	v_mov_b32_e32 v52, 0
	s_mov_b32 s43, exec_lo
	v_and_b32_e32 v28, 0xff, v54
	s_delay_alu instid0(VALU_DEP_1)
	v_cmpx_ne_u16_e32 0, v28
	s_cbranch_execz .LBB328_41
; %bb.34:                               ;   in Loop: Header=BB328_12 Depth=1
	v_bfrev_b32_e32 v52, 1
	s_mov_b32 s44, exec_lo
	v_cmpx_ne_u16_e32 0x80, v28
	s_cbranch_execz .LBB328_40
; %bb.35:                               ;   in Loop: Header=BB328_12 Depth=1
	v_bfe_u32 v55, v53, 16, 7
	v_mov_b32_e32 v52, 0x7f800001
	s_mov_b32 s45, exec_lo
	s_delay_alu instid0(VALU_DEP_2)
	v_cmpx_ne_u32_e32 0x7f, v55
	s_cbranch_execz .LBB328_39
; %bb.36:                               ;   in Loop: Header=BB328_12 Depth=1
	v_dual_lshrrev_b32 v52, 3, v55 :: v_dual_bitop2_b32 v28, 7, v54 bitop3:0x40
	s_mov_b32 s46, exec_lo
	v_cmpx_gt_u32_e32 8, v55
; %bb.37:                               ;   in Loop: Header=BB328_12 Depth=1
	s_delay_alu instid0(VALU_DEP_2) | instskip(NEXT) | instid1(VALU_DEP_1)
	v_clz_i32_u32_e32 v52, v28
	v_min_u32_e32 v52, 32, v52
	s_delay_alu instid0(VALU_DEP_1) | instskip(SKIP_1) | instid1(VALU_DEP_2)
	v_subrev_nc_u32_e32 v55, 28, v52
	v_sub_nc_u32_e32 v52, 29, v52
	v_lshlrev_b64_e32 v[56:57], v55, v[28:29]
	s_delay_alu instid0(VALU_DEP_1)
	v_and_b32_e32 v28, 7, v56
; %bb.38:                               ;   in Loop: Header=BB328_12 Depth=1
	s_or_b32 exec_lo, exec_lo, s46
	s_delay_alu instid0(VALU_DEP_1) | instskip(SKIP_1) | instid1(VALU_DEP_2)
	v_dual_lshlrev_b32 v54, 24, v54 :: v_dual_lshlrev_b32 v28, 20, v28
	v_lshl_add_u32 v52, v52, 23, 0x3c000000
	v_and_b32_e32 v54, 0x80000000, v54
	s_delay_alu instid0(VALU_DEP_1)
	v_or3_b32 v52, v28, v54, v52
.LBB328_39:                             ;   in Loop: Header=BB328_12 Depth=1
	s_or_b32 exec_lo, exec_lo, s45
.LBB328_40:                             ;   in Loop: Header=BB328_12 Depth=1
	s_delay_alu instid0(SALU_CYCLE_1)
	s_or_b32 exec_lo, exec_lo, s44
.LBB328_41:                             ;   in Loop: Header=BB328_12 Depth=1
	s_delay_alu instid0(SALU_CYCLE_1) | instskip(NEXT) | instid1(SALU_CYCLE_1)
	s_or_b32 exec_lo, exec_lo, s43
	s_mov_b32 s43, exec_lo
	v_cmpx_lt_u32_e32 0xffffff, v53
	s_cbranch_execz .LBB328_49
; %bb.42:                               ;   in Loop: Header=BB328_12 Depth=1
	v_lshrrev_b32_e32 v54, 24, v53
	v_bfrev_b32_e32 v51, 1
	s_mov_b32 s44, exec_lo
	s_delay_alu instid0(VALU_DEP_2)
	v_cmpx_ne_u32_e32 0x80, v54
	s_cbranch_execz .LBB328_48
; %bb.43:                               ;   in Loop: Header=BB328_12 Depth=1
	v_bfe_u32 v53, v53, 24, 7
	v_mov_b32_e32 v51, 0x7f800001
	s_mov_b32 s45, exec_lo
	s_delay_alu instid0(VALU_DEP_2)
	v_cmpx_ne_u32_e32 0x7f, v53
	s_cbranch_execz .LBB328_47
; %bb.44:                               ;   in Loop: Header=BB328_12 Depth=1
	v_dual_lshrrev_b32 v51, 3, v53 :: v_dual_bitop2_b32 v28, 7, v54 bitop3:0x40
	s_mov_b32 s46, exec_lo
	v_cmpx_gt_u32_e32 8, v53
; %bb.45:                               ;   in Loop: Header=BB328_12 Depth=1
	s_delay_alu instid0(VALU_DEP_2) | instskip(NEXT) | instid1(VALU_DEP_1)
	v_clz_i32_u32_e32 v51, v28
	v_min_u32_e32 v51, 32, v51
	s_delay_alu instid0(VALU_DEP_1) | instskip(NEXT) | instid1(VALU_DEP_1)
	v_subrev_nc_u32_e32 v53, 28, v51
	v_lshlrev_b64_e32 v[56:57], v53, v[28:29]
	s_delay_alu instid0(VALU_DEP_1)
	v_dual_sub_nc_u32 v51, 29, v51 :: v_dual_bitop2_b32 v28, 7, v56 bitop3:0x40
; %bb.46:                               ;   in Loop: Header=BB328_12 Depth=1
	s_or_b32 exec_lo, exec_lo, s46
	s_delay_alu instid0(VALU_DEP_1) | instskip(NEXT) | instid1(VALU_DEP_2)
	v_dual_lshlrev_b32 v53, 24, v54 :: v_dual_lshlrev_b32 v28, 20, v28
	v_lshl_add_u32 v51, v51, 23, 0x3c000000
	s_delay_alu instid0(VALU_DEP_2) | instskip(NEXT) | instid1(VALU_DEP_1)
	v_and_b32_e32 v53, 0x80000000, v53
	v_or3_b32 v51, v28, v53, v51
.LBB328_47:                             ;   in Loop: Header=BB328_12 Depth=1
	s_or_b32 exec_lo, exec_lo, s45
.LBB328_48:                             ;   in Loop: Header=BB328_12 Depth=1
	s_delay_alu instid0(SALU_CYCLE_1)
	s_or_b32 exec_lo, exec_lo, s44
.LBB328_49:                             ;   in Loop: Header=BB328_12 Depth=1
	s_delay_alu instid0(SALU_CYCLE_1)
	s_or_b32 exec_lo, exec_lo, s43
	global_load_b32 v57, v[36:37], off offset:8
	v_dual_mov_b32 v54, 0 :: v_dual_mov_b32 v53, 0
	s_mov_b32 s43, exec_lo
	s_wait_loadcnt 0x0
	v_and_b32_e32 v28, 0xff, v57
	s_delay_alu instid0(VALU_DEP_1)
	v_cmpx_ne_u16_e32 0, v28
	s_cbranch_execz .LBB328_57
; %bb.50:                               ;   in Loop: Header=BB328_12 Depth=1
	v_bfrev_b32_e32 v53, 1
	s_mov_b32 s44, exec_lo
	v_cmpx_ne_u16_e32 0x80, v28
	s_cbranch_execz .LBB328_56
; %bb.51:                               ;   in Loop: Header=BB328_12 Depth=1
	v_and_b32_e32 v55, 0x7f, v57
	v_mov_b32_e32 v53, 0x7f800001
	s_mov_b32 s45, exec_lo
	s_delay_alu instid0(VALU_DEP_2)
	v_cmpx_ne_u32_e32 0x7f, v55
	s_cbranch_execz .LBB328_55
; %bb.52:                               ;   in Loop: Header=BB328_12 Depth=1
	v_dual_lshrrev_b32 v53, 3, v55 :: v_dual_bitop2_b32 v28, 7, v57 bitop3:0x40
	s_mov_b32 s46, exec_lo
	v_cmpx_gt_u32_e32 8, v55
; %bb.53:                               ;   in Loop: Header=BB328_12 Depth=1
	s_delay_alu instid0(VALU_DEP_2) | instskip(NEXT) | instid1(VALU_DEP_1)
	v_clz_i32_u32_e32 v53, v28
	v_min_u32_e32 v53, 32, v53
	s_delay_alu instid0(VALU_DEP_1) | instskip(NEXT) | instid1(VALU_DEP_1)
	v_subrev_nc_u32_e32 v55, 28, v53
	v_lshlrev_b64_e32 v[58:59], v55, v[28:29]
	s_delay_alu instid0(VALU_DEP_1)
	v_dual_sub_nc_u32 v53, 29, v53 :: v_dual_bitop2_b32 v28, 7, v58 bitop3:0x40
; %bb.54:                               ;   in Loop: Header=BB328_12 Depth=1
	s_or_b32 exec_lo, exec_lo, s46
	s_delay_alu instid0(VALU_DEP_1) | instskip(NEXT) | instid1(VALU_DEP_2)
	v_dual_lshlrev_b32 v55, 24, v57 :: v_dual_lshlrev_b32 v28, 20, v28
	v_lshl_add_u32 v53, v53, 23, 0x3c000000
	s_delay_alu instid0(VALU_DEP_2) | instskip(NEXT) | instid1(VALU_DEP_1)
	v_and_b32_e32 v55, 0x80000000, v55
	v_or3_b32 v53, v28, v55, v53
.LBB328_55:                             ;   in Loop: Header=BB328_12 Depth=1
	s_or_b32 exec_lo, exec_lo, s45
.LBB328_56:                             ;   in Loop: Header=BB328_12 Depth=1
	s_delay_alu instid0(SALU_CYCLE_1)
	s_or_b32 exec_lo, exec_lo, s44
.LBB328_57:                             ;   in Loop: Header=BB328_12 Depth=1
	s_delay_alu instid0(SALU_CYCLE_1) | instskip(SKIP_2) | instid1(VALU_DEP_1)
	s_or_b32 exec_lo, exec_lo, s43
	v_lshrrev_b16 v28, 8, v57
	s_mov_b32 s43, exec_lo
	v_cmpx_ne_u16_e32 0, v28
	s_cbranch_execz .LBB328_65
; %bb.58:                               ;   in Loop: Header=BB328_12 Depth=1
	v_bfrev_b32_e32 v54, 1
	s_mov_b32 s44, exec_lo
	v_cmpx_ne_u16_e32 0x80, v28
	s_cbranch_execz .LBB328_64
; %bb.59:                               ;   in Loop: Header=BB328_12 Depth=1
	v_and_b32_e32 v28, 0xffff, v28
	v_mov_b32_e32 v54, 0x7f800001
	s_mov_b32 s45, exec_lo
	s_delay_alu instid0(VALU_DEP_2) | instskip(NEXT) | instid1(VALU_DEP_1)
	v_and_b32_e32 v55, 0x7f, v28
	v_cmpx_ne_u32_e32 0x7f, v55
	s_cbranch_execz .LBB328_63
; %bb.60:                               ;   in Loop: Header=BB328_12 Depth=1
	v_dual_lshrrev_b32 v54, 3, v55 :: v_dual_bitop2_b32 v28, 7, v28 bitop3:0x40
	s_mov_b32 s46, exec_lo
	v_cmpx_gt_u32_e32 8, v55
; %bb.61:                               ;   in Loop: Header=BB328_12 Depth=1
	s_delay_alu instid0(VALU_DEP_2) | instskip(NEXT) | instid1(VALU_DEP_1)
	v_clz_i32_u32_e32 v54, v28
	v_min_u32_e32 v54, 32, v54
	s_delay_alu instid0(VALU_DEP_1) | instskip(SKIP_1) | instid1(VALU_DEP_2)
	v_subrev_nc_u32_e32 v55, 28, v54
	v_sub_nc_u32_e32 v54, 29, v54
	v_lshlrev_b64_e32 v[58:59], v55, v[28:29]
	s_delay_alu instid0(VALU_DEP_1)
	v_and_b32_e32 v28, 7, v58
; %bb.62:                               ;   in Loop: Header=BB328_12 Depth=1
	s_or_b32 exec_lo, exec_lo, s46
	s_delay_alu instid0(VALU_DEP_1) | instskip(SKIP_1) | instid1(VALU_DEP_2)
	v_dual_lshlrev_b32 v55, 16, v57 :: v_dual_lshlrev_b32 v28, 20, v28
	v_lshl_add_u32 v54, v54, 23, 0x3c000000
	v_and_b32_e32 v55, 0x80000000, v55
	s_delay_alu instid0(VALU_DEP_1)
	v_or3_b32 v54, v28, v55, v54
.LBB328_63:                             ;   in Loop: Header=BB328_12 Depth=1
	s_or_b32 exec_lo, exec_lo, s45
.LBB328_64:                             ;   in Loop: Header=BB328_12 Depth=1
	s_delay_alu instid0(SALU_CYCLE_1)
	s_or_b32 exec_lo, exec_lo, s44
.LBB328_65:                             ;   in Loop: Header=BB328_12 Depth=1
	s_delay_alu instid0(SALU_CYCLE_1) | instskip(SKIP_3) | instid1(VALU_DEP_2)
	s_or_b32 exec_lo, exec_lo, s43
	v_dual_mov_b32 v55, 0 :: v_dual_lshrrev_b32 v58, 16, v57
	v_mov_b32_e32 v56, 0
	s_mov_b32 s43, exec_lo
	v_and_b32_e32 v28, 0xff, v58
	s_delay_alu instid0(VALU_DEP_1)
	v_cmpx_ne_u16_e32 0, v28
	s_cbranch_execz .LBB328_73
; %bb.66:                               ;   in Loop: Header=BB328_12 Depth=1
	v_bfrev_b32_e32 v56, 1
	s_mov_b32 s44, exec_lo
	v_cmpx_ne_u16_e32 0x80, v28
	s_cbranch_execz .LBB328_72
; %bb.67:                               ;   in Loop: Header=BB328_12 Depth=1
	v_bfe_u32 v59, v57, 16, 7
	v_mov_b32_e32 v56, 0x7f800001
	s_mov_b32 s45, exec_lo
	s_delay_alu instid0(VALU_DEP_2)
	v_cmpx_ne_u32_e32 0x7f, v59
	s_cbranch_execz .LBB328_71
; %bb.68:                               ;   in Loop: Header=BB328_12 Depth=1
	v_dual_lshrrev_b32 v56, 3, v59 :: v_dual_bitop2_b32 v28, 7, v58 bitop3:0x40
	s_mov_b32 s46, exec_lo
	v_cmpx_gt_u32_e32 8, v59
; %bb.69:                               ;   in Loop: Header=BB328_12 Depth=1
	s_delay_alu instid0(VALU_DEP_2) | instskip(NEXT) | instid1(VALU_DEP_1)
	v_clz_i32_u32_e32 v56, v28
	v_min_u32_e32 v56, 32, v56
	s_delay_alu instid0(VALU_DEP_1) | instskip(SKIP_1) | instid1(VALU_DEP_2)
	v_subrev_nc_u32_e32 v59, 28, v56
	v_sub_nc_u32_e32 v56, 29, v56
	v_lshlrev_b64_e32 v[60:61], v59, v[28:29]
	s_delay_alu instid0(VALU_DEP_1)
	v_and_b32_e32 v28, 7, v60
; %bb.70:                               ;   in Loop: Header=BB328_12 Depth=1
	s_or_b32 exec_lo, exec_lo, s46
	s_delay_alu instid0(VALU_DEP_1) | instskip(SKIP_1) | instid1(VALU_DEP_2)
	v_dual_lshlrev_b32 v58, 24, v58 :: v_dual_lshlrev_b32 v28, 20, v28
	v_lshl_add_u32 v56, v56, 23, 0x3c000000
	v_and_b32_e32 v58, 0x80000000, v58
	s_delay_alu instid0(VALU_DEP_1)
	v_or3_b32 v56, v28, v58, v56
.LBB328_71:                             ;   in Loop: Header=BB328_12 Depth=1
	s_or_b32 exec_lo, exec_lo, s45
.LBB328_72:                             ;   in Loop: Header=BB328_12 Depth=1
	s_delay_alu instid0(SALU_CYCLE_1)
	s_or_b32 exec_lo, exec_lo, s44
.LBB328_73:                             ;   in Loop: Header=BB328_12 Depth=1
	s_delay_alu instid0(SALU_CYCLE_1) | instskip(NEXT) | instid1(SALU_CYCLE_1)
	s_or_b32 exec_lo, exec_lo, s43
	s_mov_b32 s43, exec_lo
	v_cmpx_lt_u32_e32 0xffffff, v57
	s_cbranch_execz .LBB328_81
; %bb.74:                               ;   in Loop: Header=BB328_12 Depth=1
	v_lshrrev_b32_e32 v58, 24, v57
	v_bfrev_b32_e32 v55, 1
	s_mov_b32 s44, exec_lo
	s_delay_alu instid0(VALU_DEP_2)
	v_cmpx_ne_u32_e32 0x80, v58
	s_cbranch_execz .LBB328_80
; %bb.75:                               ;   in Loop: Header=BB328_12 Depth=1
	v_bfe_u32 v57, v57, 24, 7
	v_mov_b32_e32 v55, 0x7f800001
	s_mov_b32 s45, exec_lo
	s_delay_alu instid0(VALU_DEP_2)
	v_cmpx_ne_u32_e32 0x7f, v57
	s_cbranch_execz .LBB328_79
; %bb.76:                               ;   in Loop: Header=BB328_12 Depth=1
	v_dual_lshrrev_b32 v55, 3, v57 :: v_dual_bitop2_b32 v28, 7, v58 bitop3:0x40
	s_mov_b32 s46, exec_lo
	v_cmpx_gt_u32_e32 8, v57
; %bb.77:                               ;   in Loop: Header=BB328_12 Depth=1
	s_delay_alu instid0(VALU_DEP_2) | instskip(NEXT) | instid1(VALU_DEP_1)
	v_clz_i32_u32_e32 v55, v28
	v_min_u32_e32 v55, 32, v55
	s_delay_alu instid0(VALU_DEP_1) | instskip(NEXT) | instid1(VALU_DEP_1)
	v_subrev_nc_u32_e32 v57, 28, v55
	v_lshlrev_b64_e32 v[60:61], v57, v[28:29]
	s_delay_alu instid0(VALU_DEP_1)
	v_dual_sub_nc_u32 v55, 29, v55 :: v_dual_bitop2_b32 v28, 7, v60 bitop3:0x40
; %bb.78:                               ;   in Loop: Header=BB328_12 Depth=1
	s_or_b32 exec_lo, exec_lo, s46
	s_delay_alu instid0(VALU_DEP_1) | instskip(NEXT) | instid1(VALU_DEP_2)
	v_dual_lshlrev_b32 v57, 24, v58 :: v_dual_lshlrev_b32 v28, 20, v28
	v_lshl_add_u32 v55, v55, 23, 0x3c000000
	s_delay_alu instid0(VALU_DEP_2) | instskip(NEXT) | instid1(VALU_DEP_1)
	v_and_b32_e32 v57, 0x80000000, v57
	v_or3_b32 v55, v28, v57, v55
.LBB328_79:                             ;   in Loop: Header=BB328_12 Depth=1
	s_or_b32 exec_lo, exec_lo, s45
.LBB328_80:                             ;   in Loop: Header=BB328_12 Depth=1
	s_delay_alu instid0(SALU_CYCLE_1)
	s_or_b32 exec_lo, exec_lo, s44
.LBB328_81:                             ;   in Loop: Header=BB328_12 Depth=1
	s_delay_alu instid0(SALU_CYCLE_1)
	s_or_b32 exec_lo, exec_lo, s43
	global_load_b32 v61, v[36:37], off offset:256
	v_dual_mov_b32 v58, 0 :: v_dual_mov_b32 v57, 0
	s_mov_b32 s43, exec_lo
	s_wait_loadcnt 0x0
	v_and_b32_e32 v28, 0xff, v61
	s_delay_alu instid0(VALU_DEP_1)
	v_cmpx_ne_u16_e32 0, v28
	s_cbranch_execz .LBB328_89
; %bb.82:                               ;   in Loop: Header=BB328_12 Depth=1
	v_bfrev_b32_e32 v57, 1
	s_mov_b32 s44, exec_lo
	v_cmpx_ne_u16_e32 0x80, v28
	s_cbranch_execz .LBB328_88
; %bb.83:                               ;   in Loop: Header=BB328_12 Depth=1
	v_and_b32_e32 v59, 0x7f, v61
	v_mov_b32_e32 v57, 0x7f800001
	s_mov_b32 s45, exec_lo
	s_delay_alu instid0(VALU_DEP_2)
	v_cmpx_ne_u32_e32 0x7f, v59
	s_cbranch_execz .LBB328_87
; %bb.84:                               ;   in Loop: Header=BB328_12 Depth=1
	v_dual_lshrrev_b32 v57, 3, v59 :: v_dual_bitop2_b32 v28, 7, v61 bitop3:0x40
	s_mov_b32 s46, exec_lo
	v_cmpx_gt_u32_e32 8, v59
; %bb.85:                               ;   in Loop: Header=BB328_12 Depth=1
	s_delay_alu instid0(VALU_DEP_2) | instskip(NEXT) | instid1(VALU_DEP_1)
	v_clz_i32_u32_e32 v57, v28
	v_min_u32_e32 v57, 32, v57
	s_delay_alu instid0(VALU_DEP_1) | instskip(NEXT) | instid1(VALU_DEP_1)
	v_subrev_nc_u32_e32 v59, 28, v57
	v_lshlrev_b64_e32 v[62:63], v59, v[28:29]
	s_delay_alu instid0(VALU_DEP_1)
	v_dual_sub_nc_u32 v57, 29, v57 :: v_dual_bitop2_b32 v28, 7, v62 bitop3:0x40
; %bb.86:                               ;   in Loop: Header=BB328_12 Depth=1
	s_or_b32 exec_lo, exec_lo, s46
	s_delay_alu instid0(VALU_DEP_1) | instskip(NEXT) | instid1(VALU_DEP_2)
	v_dual_lshlrev_b32 v59, 24, v61 :: v_dual_lshlrev_b32 v28, 20, v28
	v_lshl_add_u32 v57, v57, 23, 0x3c000000
	s_delay_alu instid0(VALU_DEP_2) | instskip(NEXT) | instid1(VALU_DEP_1)
	v_and_b32_e32 v59, 0x80000000, v59
	v_or3_b32 v57, v28, v59, v57
.LBB328_87:                             ;   in Loop: Header=BB328_12 Depth=1
	s_or_b32 exec_lo, exec_lo, s45
.LBB328_88:                             ;   in Loop: Header=BB328_12 Depth=1
	s_delay_alu instid0(SALU_CYCLE_1)
	s_or_b32 exec_lo, exec_lo, s44
.LBB328_89:                             ;   in Loop: Header=BB328_12 Depth=1
	s_delay_alu instid0(SALU_CYCLE_1) | instskip(SKIP_2) | instid1(VALU_DEP_1)
	s_or_b32 exec_lo, exec_lo, s43
	v_lshrrev_b16 v28, 8, v61
	s_mov_b32 s43, exec_lo
	v_cmpx_ne_u16_e32 0, v28
	s_cbranch_execz .LBB328_97
; %bb.90:                               ;   in Loop: Header=BB328_12 Depth=1
	v_bfrev_b32_e32 v58, 1
	s_mov_b32 s44, exec_lo
	v_cmpx_ne_u16_e32 0x80, v28
	s_cbranch_execz .LBB328_96
; %bb.91:                               ;   in Loop: Header=BB328_12 Depth=1
	v_and_b32_e32 v28, 0xffff, v28
	v_mov_b32_e32 v58, 0x7f800001
	s_mov_b32 s45, exec_lo
	s_delay_alu instid0(VALU_DEP_2) | instskip(NEXT) | instid1(VALU_DEP_1)
	v_and_b32_e32 v59, 0x7f, v28
	v_cmpx_ne_u32_e32 0x7f, v59
	s_cbranch_execz .LBB328_95
; %bb.92:                               ;   in Loop: Header=BB328_12 Depth=1
	v_dual_lshrrev_b32 v58, 3, v59 :: v_dual_bitop2_b32 v28, 7, v28 bitop3:0x40
	s_mov_b32 s46, exec_lo
	v_cmpx_gt_u32_e32 8, v59
; %bb.93:                               ;   in Loop: Header=BB328_12 Depth=1
	s_delay_alu instid0(VALU_DEP_2) | instskip(NEXT) | instid1(VALU_DEP_1)
	v_clz_i32_u32_e32 v58, v28
	v_min_u32_e32 v58, 32, v58
	s_delay_alu instid0(VALU_DEP_1) | instskip(SKIP_1) | instid1(VALU_DEP_2)
	v_subrev_nc_u32_e32 v59, 28, v58
	v_sub_nc_u32_e32 v58, 29, v58
	v_lshlrev_b64_e32 v[62:63], v59, v[28:29]
	s_delay_alu instid0(VALU_DEP_1)
	v_and_b32_e32 v28, 7, v62
; %bb.94:                               ;   in Loop: Header=BB328_12 Depth=1
	s_or_b32 exec_lo, exec_lo, s46
	s_delay_alu instid0(VALU_DEP_1) | instskip(SKIP_1) | instid1(VALU_DEP_2)
	v_dual_lshlrev_b32 v59, 16, v61 :: v_dual_lshlrev_b32 v28, 20, v28
	v_lshl_add_u32 v58, v58, 23, 0x3c000000
	v_and_b32_e32 v59, 0x80000000, v59
	s_delay_alu instid0(VALU_DEP_1)
	v_or3_b32 v58, v28, v59, v58
.LBB328_95:                             ;   in Loop: Header=BB328_12 Depth=1
	s_or_b32 exec_lo, exec_lo, s45
.LBB328_96:                             ;   in Loop: Header=BB328_12 Depth=1
	s_delay_alu instid0(SALU_CYCLE_1)
	s_or_b32 exec_lo, exec_lo, s44
.LBB328_97:                             ;   in Loop: Header=BB328_12 Depth=1
	s_delay_alu instid0(SALU_CYCLE_1) | instskip(SKIP_3) | instid1(VALU_DEP_2)
	s_or_b32 exec_lo, exec_lo, s43
	v_dual_mov_b32 v59, 0 :: v_dual_lshrrev_b32 v62, 16, v61
	v_mov_b32_e32 v60, 0
	s_mov_b32 s43, exec_lo
	v_and_b32_e32 v28, 0xff, v62
	s_delay_alu instid0(VALU_DEP_1)
	v_cmpx_ne_u16_e32 0, v28
	s_cbranch_execz .LBB328_105
; %bb.98:                               ;   in Loop: Header=BB328_12 Depth=1
	v_bfrev_b32_e32 v60, 1
	s_mov_b32 s44, exec_lo
	v_cmpx_ne_u16_e32 0x80, v28
	s_cbranch_execz .LBB328_104
; %bb.99:                               ;   in Loop: Header=BB328_12 Depth=1
	v_bfe_u32 v63, v61, 16, 7
	v_mov_b32_e32 v60, 0x7f800001
	s_mov_b32 s45, exec_lo
	s_delay_alu instid0(VALU_DEP_2)
	v_cmpx_ne_u32_e32 0x7f, v63
	s_cbranch_execz .LBB328_103
; %bb.100:                              ;   in Loop: Header=BB328_12 Depth=1
	v_dual_lshrrev_b32 v60, 3, v63 :: v_dual_bitop2_b32 v28, 7, v62 bitop3:0x40
	s_mov_b32 s46, exec_lo
	v_cmpx_gt_u32_e32 8, v63
; %bb.101:                              ;   in Loop: Header=BB328_12 Depth=1
	s_delay_alu instid0(VALU_DEP_2) | instskip(NEXT) | instid1(VALU_DEP_1)
	v_clz_i32_u32_e32 v60, v28
	v_min_u32_e32 v60, 32, v60
	s_delay_alu instid0(VALU_DEP_1) | instskip(SKIP_1) | instid1(VALU_DEP_2)
	v_subrev_nc_u32_e32 v63, 28, v60
	v_sub_nc_u32_e32 v60, 29, v60
	v_lshlrev_b64_e32 v[64:65], v63, v[28:29]
	s_delay_alu instid0(VALU_DEP_1)
	v_and_b32_e32 v28, 7, v64
; %bb.102:                              ;   in Loop: Header=BB328_12 Depth=1
	s_or_b32 exec_lo, exec_lo, s46
	s_delay_alu instid0(VALU_DEP_1) | instskip(SKIP_1) | instid1(VALU_DEP_2)
	v_dual_lshlrev_b32 v62, 24, v62 :: v_dual_lshlrev_b32 v28, 20, v28
	v_lshl_add_u32 v60, v60, 23, 0x3c000000
	v_and_b32_e32 v62, 0x80000000, v62
	s_delay_alu instid0(VALU_DEP_1)
	v_or3_b32 v60, v28, v62, v60
.LBB328_103:                            ;   in Loop: Header=BB328_12 Depth=1
	s_or_b32 exec_lo, exec_lo, s45
.LBB328_104:                            ;   in Loop: Header=BB328_12 Depth=1
	s_delay_alu instid0(SALU_CYCLE_1)
	s_or_b32 exec_lo, exec_lo, s44
.LBB328_105:                            ;   in Loop: Header=BB328_12 Depth=1
	s_delay_alu instid0(SALU_CYCLE_1) | instskip(NEXT) | instid1(SALU_CYCLE_1)
	s_or_b32 exec_lo, exec_lo, s43
	s_mov_b32 s43, exec_lo
	v_cmpx_lt_u32_e32 0xffffff, v61
	s_cbranch_execz .LBB328_113
; %bb.106:                              ;   in Loop: Header=BB328_12 Depth=1
	v_lshrrev_b32_e32 v62, 24, v61
	v_bfrev_b32_e32 v59, 1
	s_mov_b32 s44, exec_lo
	s_delay_alu instid0(VALU_DEP_2)
	v_cmpx_ne_u32_e32 0x80, v62
	s_cbranch_execz .LBB328_112
; %bb.107:                              ;   in Loop: Header=BB328_12 Depth=1
	v_bfe_u32 v61, v61, 24, 7
	v_mov_b32_e32 v59, 0x7f800001
	s_mov_b32 s45, exec_lo
	s_delay_alu instid0(VALU_DEP_2)
	v_cmpx_ne_u32_e32 0x7f, v61
	s_cbranch_execz .LBB328_111
; %bb.108:                              ;   in Loop: Header=BB328_12 Depth=1
	v_dual_lshrrev_b32 v59, 3, v61 :: v_dual_bitop2_b32 v28, 7, v62 bitop3:0x40
	s_mov_b32 s46, exec_lo
	v_cmpx_gt_u32_e32 8, v61
; %bb.109:                              ;   in Loop: Header=BB328_12 Depth=1
	s_delay_alu instid0(VALU_DEP_2) | instskip(NEXT) | instid1(VALU_DEP_1)
	v_clz_i32_u32_e32 v59, v28
	v_min_u32_e32 v59, 32, v59
	s_delay_alu instid0(VALU_DEP_1) | instskip(NEXT) | instid1(VALU_DEP_1)
	v_subrev_nc_u32_e32 v61, 28, v59
	v_lshlrev_b64_e32 v[64:65], v61, v[28:29]
	s_delay_alu instid0(VALU_DEP_1)
	v_dual_sub_nc_u32 v59, 29, v59 :: v_dual_bitop2_b32 v28, 7, v64 bitop3:0x40
; %bb.110:                              ;   in Loop: Header=BB328_12 Depth=1
	s_or_b32 exec_lo, exec_lo, s46
	s_delay_alu instid0(VALU_DEP_1) | instskip(NEXT) | instid1(VALU_DEP_2)
	v_dual_lshlrev_b32 v61, 24, v62 :: v_dual_lshlrev_b32 v28, 20, v28
	v_lshl_add_u32 v59, v59, 23, 0x3c000000
	s_delay_alu instid0(VALU_DEP_2) | instskip(NEXT) | instid1(VALU_DEP_1)
	v_and_b32_e32 v61, 0x80000000, v61
	v_or3_b32 v59, v28, v61, v59
.LBB328_111:                            ;   in Loop: Header=BB328_12 Depth=1
	s_or_b32 exec_lo, exec_lo, s45
.LBB328_112:                            ;   in Loop: Header=BB328_12 Depth=1
	s_delay_alu instid0(SALU_CYCLE_1)
	s_or_b32 exec_lo, exec_lo, s44
.LBB328_113:                            ;   in Loop: Header=BB328_12 Depth=1
	s_delay_alu instid0(SALU_CYCLE_1)
	s_or_b32 exec_lo, exec_lo, s43
	global_load_b32 v65, v[36:37], off offset:264
	v_dual_mov_b32 v62, 0 :: v_dual_mov_b32 v61, 0
	s_mov_b32 s43, exec_lo
	s_wait_loadcnt 0x0
	v_and_b32_e32 v28, 0xff, v65
	s_delay_alu instid0(VALU_DEP_1)
	v_cmpx_ne_u16_e32 0, v28
	s_cbranch_execz .LBB328_121
; %bb.114:                              ;   in Loop: Header=BB328_12 Depth=1
	v_bfrev_b32_e32 v61, 1
	s_mov_b32 s44, exec_lo
	v_cmpx_ne_u16_e32 0x80, v28
	s_cbranch_execz .LBB328_120
; %bb.115:                              ;   in Loop: Header=BB328_12 Depth=1
	v_and_b32_e32 v63, 0x7f, v65
	v_mov_b32_e32 v61, 0x7f800001
	s_mov_b32 s45, exec_lo
	s_delay_alu instid0(VALU_DEP_2)
	v_cmpx_ne_u32_e32 0x7f, v63
	s_cbranch_execz .LBB328_119
; %bb.116:                              ;   in Loop: Header=BB328_12 Depth=1
	v_dual_lshrrev_b32 v61, 3, v63 :: v_dual_bitop2_b32 v28, 7, v65 bitop3:0x40
	s_mov_b32 s46, exec_lo
	v_cmpx_gt_u32_e32 8, v63
; %bb.117:                              ;   in Loop: Header=BB328_12 Depth=1
	s_delay_alu instid0(VALU_DEP_2) | instskip(NEXT) | instid1(VALU_DEP_1)
	v_clz_i32_u32_e32 v61, v28
	v_min_u32_e32 v61, 32, v61
	s_delay_alu instid0(VALU_DEP_1) | instskip(NEXT) | instid1(VALU_DEP_1)
	v_subrev_nc_u32_e32 v63, 28, v61
	v_lshlrev_b64_e32 v[66:67], v63, v[28:29]
	s_delay_alu instid0(VALU_DEP_1)
	v_dual_sub_nc_u32 v61, 29, v61 :: v_dual_bitop2_b32 v28, 7, v66 bitop3:0x40
; %bb.118:                              ;   in Loop: Header=BB328_12 Depth=1
	s_or_b32 exec_lo, exec_lo, s46
	s_delay_alu instid0(VALU_DEP_1) | instskip(NEXT) | instid1(VALU_DEP_2)
	v_dual_lshlrev_b32 v63, 24, v65 :: v_dual_lshlrev_b32 v28, 20, v28
	v_lshl_add_u32 v61, v61, 23, 0x3c000000
	s_delay_alu instid0(VALU_DEP_2) | instskip(NEXT) | instid1(VALU_DEP_1)
	v_and_b32_e32 v63, 0x80000000, v63
	v_or3_b32 v61, v28, v63, v61
.LBB328_119:                            ;   in Loop: Header=BB328_12 Depth=1
	s_or_b32 exec_lo, exec_lo, s45
.LBB328_120:                            ;   in Loop: Header=BB328_12 Depth=1
	s_delay_alu instid0(SALU_CYCLE_1)
	s_or_b32 exec_lo, exec_lo, s44
.LBB328_121:                            ;   in Loop: Header=BB328_12 Depth=1
	s_delay_alu instid0(SALU_CYCLE_1) | instskip(SKIP_2) | instid1(VALU_DEP_1)
	s_or_b32 exec_lo, exec_lo, s43
	v_lshrrev_b16 v28, 8, v65
	s_mov_b32 s43, exec_lo
	v_cmpx_ne_u16_e32 0, v28
	s_cbranch_execz .LBB328_129
; %bb.122:                              ;   in Loop: Header=BB328_12 Depth=1
	v_bfrev_b32_e32 v62, 1
	s_mov_b32 s44, exec_lo
	v_cmpx_ne_u16_e32 0x80, v28
	s_cbranch_execz .LBB328_128
; %bb.123:                              ;   in Loop: Header=BB328_12 Depth=1
	v_and_b32_e32 v28, 0xffff, v28
	v_mov_b32_e32 v62, 0x7f800001
	s_mov_b32 s45, exec_lo
	s_delay_alu instid0(VALU_DEP_2) | instskip(NEXT) | instid1(VALU_DEP_1)
	v_and_b32_e32 v63, 0x7f, v28
	v_cmpx_ne_u32_e32 0x7f, v63
	s_cbranch_execz .LBB328_127
; %bb.124:                              ;   in Loop: Header=BB328_12 Depth=1
	v_dual_lshrrev_b32 v62, 3, v63 :: v_dual_bitop2_b32 v28, 7, v28 bitop3:0x40
	s_mov_b32 s46, exec_lo
	v_cmpx_gt_u32_e32 8, v63
; %bb.125:                              ;   in Loop: Header=BB328_12 Depth=1
	s_delay_alu instid0(VALU_DEP_2) | instskip(NEXT) | instid1(VALU_DEP_1)
	v_clz_i32_u32_e32 v62, v28
	v_min_u32_e32 v62, 32, v62
	s_delay_alu instid0(VALU_DEP_1) | instskip(SKIP_1) | instid1(VALU_DEP_2)
	v_subrev_nc_u32_e32 v63, 28, v62
	v_sub_nc_u32_e32 v62, 29, v62
	v_lshlrev_b64_e32 v[66:67], v63, v[28:29]
	s_delay_alu instid0(VALU_DEP_1)
	v_and_b32_e32 v28, 7, v66
; %bb.126:                              ;   in Loop: Header=BB328_12 Depth=1
	s_or_b32 exec_lo, exec_lo, s46
	s_delay_alu instid0(VALU_DEP_1) | instskip(SKIP_1) | instid1(VALU_DEP_2)
	v_dual_lshlrev_b32 v63, 16, v65 :: v_dual_lshlrev_b32 v28, 20, v28
	v_lshl_add_u32 v62, v62, 23, 0x3c000000
	v_and_b32_e32 v63, 0x80000000, v63
	s_delay_alu instid0(VALU_DEP_1)
	v_or3_b32 v62, v28, v63, v62
.LBB328_127:                            ;   in Loop: Header=BB328_12 Depth=1
	s_or_b32 exec_lo, exec_lo, s45
.LBB328_128:                            ;   in Loop: Header=BB328_12 Depth=1
	s_delay_alu instid0(SALU_CYCLE_1)
	s_or_b32 exec_lo, exec_lo, s44
.LBB328_129:                            ;   in Loop: Header=BB328_12 Depth=1
	s_delay_alu instid0(SALU_CYCLE_1) | instskip(SKIP_3) | instid1(VALU_DEP_2)
	s_or_b32 exec_lo, exec_lo, s43
	v_dual_mov_b32 v63, 0 :: v_dual_lshrrev_b32 v66, 16, v65
	v_mov_b32_e32 v64, 0
	s_mov_b32 s43, exec_lo
	v_and_b32_e32 v28, 0xff, v66
	s_delay_alu instid0(VALU_DEP_1)
	v_cmpx_ne_u16_e32 0, v28
	s_cbranch_execz .LBB328_137
; %bb.130:                              ;   in Loop: Header=BB328_12 Depth=1
	v_bfrev_b32_e32 v64, 1
	s_mov_b32 s44, exec_lo
	v_cmpx_ne_u16_e32 0x80, v28
	s_cbranch_execz .LBB328_136
; %bb.131:                              ;   in Loop: Header=BB328_12 Depth=1
	v_bfe_u32 v67, v65, 16, 7
	v_mov_b32_e32 v64, 0x7f800001
	s_mov_b32 s45, exec_lo
	s_delay_alu instid0(VALU_DEP_2)
	v_cmpx_ne_u32_e32 0x7f, v67
	s_cbranch_execz .LBB328_135
; %bb.132:                              ;   in Loop: Header=BB328_12 Depth=1
	v_dual_lshrrev_b32 v64, 3, v67 :: v_dual_bitop2_b32 v28, 7, v66 bitop3:0x40
	s_mov_b32 s46, exec_lo
	v_cmpx_gt_u32_e32 8, v67
; %bb.133:                              ;   in Loop: Header=BB328_12 Depth=1
	s_delay_alu instid0(VALU_DEP_2) | instskip(NEXT) | instid1(VALU_DEP_1)
	v_clz_i32_u32_e32 v64, v28
	v_min_u32_e32 v64, 32, v64
	s_delay_alu instid0(VALU_DEP_1) | instskip(SKIP_1) | instid1(VALU_DEP_2)
	v_subrev_nc_u32_e32 v67, 28, v64
	v_sub_nc_u32_e32 v64, 29, v64
	v_lshlrev_b64_e32 v[68:69], v67, v[28:29]
	s_delay_alu instid0(VALU_DEP_1)
	v_and_b32_e32 v28, 7, v68
; %bb.134:                              ;   in Loop: Header=BB328_12 Depth=1
	s_or_b32 exec_lo, exec_lo, s46
	s_delay_alu instid0(VALU_DEP_1) | instskip(SKIP_1) | instid1(VALU_DEP_2)
	v_dual_lshlrev_b32 v66, 24, v66 :: v_dual_lshlrev_b32 v28, 20, v28
	v_lshl_add_u32 v64, v64, 23, 0x3c000000
	v_and_b32_e32 v66, 0x80000000, v66
	s_delay_alu instid0(VALU_DEP_1)
	v_or3_b32 v64, v28, v66, v64
.LBB328_135:                            ;   in Loop: Header=BB328_12 Depth=1
	s_or_b32 exec_lo, exec_lo, s45
.LBB328_136:                            ;   in Loop: Header=BB328_12 Depth=1
	s_delay_alu instid0(SALU_CYCLE_1)
	s_or_b32 exec_lo, exec_lo, s44
.LBB328_137:                            ;   in Loop: Header=BB328_12 Depth=1
	s_delay_alu instid0(SALU_CYCLE_1) | instskip(NEXT) | instid1(SALU_CYCLE_1)
	s_or_b32 exec_lo, exec_lo, s43
	s_mov_b32 s43, exec_lo
	v_cmpx_lt_u32_e32 0xffffff, v65
	s_cbranch_execz .LBB328_145
; %bb.138:                              ;   in Loop: Header=BB328_12 Depth=1
	v_lshrrev_b32_e32 v66, 24, v65
	v_bfrev_b32_e32 v63, 1
	s_mov_b32 s44, exec_lo
	s_delay_alu instid0(VALU_DEP_2)
	v_cmpx_ne_u32_e32 0x80, v66
	s_cbranch_execz .LBB328_144
; %bb.139:                              ;   in Loop: Header=BB328_12 Depth=1
	v_bfe_u32 v65, v65, 24, 7
	v_mov_b32_e32 v63, 0x7f800001
	s_mov_b32 s45, exec_lo
	s_delay_alu instid0(VALU_DEP_2)
	v_cmpx_ne_u32_e32 0x7f, v65
	s_cbranch_execz .LBB328_143
; %bb.140:                              ;   in Loop: Header=BB328_12 Depth=1
	v_dual_lshrrev_b32 v63, 3, v65 :: v_dual_bitop2_b32 v28, 7, v66 bitop3:0x40
	s_mov_b32 s46, exec_lo
	v_cmpx_gt_u32_e32 8, v65
; %bb.141:                              ;   in Loop: Header=BB328_12 Depth=1
	s_delay_alu instid0(VALU_DEP_2) | instskip(NEXT) | instid1(VALU_DEP_1)
	v_clz_i32_u32_e32 v63, v28
	v_min_u32_e32 v63, 32, v63
	s_delay_alu instid0(VALU_DEP_1) | instskip(NEXT) | instid1(VALU_DEP_1)
	v_subrev_nc_u32_e32 v65, 28, v63
	v_lshlrev_b64_e32 v[68:69], v65, v[28:29]
	s_delay_alu instid0(VALU_DEP_1)
	v_dual_sub_nc_u32 v63, 29, v63 :: v_dual_bitop2_b32 v28, 7, v68 bitop3:0x40
; %bb.142:                              ;   in Loop: Header=BB328_12 Depth=1
	s_or_b32 exec_lo, exec_lo, s46
	s_delay_alu instid0(VALU_DEP_1) | instskip(NEXT) | instid1(VALU_DEP_2)
	v_dual_lshlrev_b32 v65, 24, v66 :: v_dual_lshlrev_b32 v28, 20, v28
	v_lshl_add_u32 v63, v63, 23, 0x3c000000
	s_delay_alu instid0(VALU_DEP_2) | instskip(NEXT) | instid1(VALU_DEP_1)
	v_and_b32_e32 v65, 0x80000000, v65
	v_or3_b32 v63, v28, v65, v63
.LBB328_143:                            ;   in Loop: Header=BB328_12 Depth=1
	s_or_b32 exec_lo, exec_lo, s45
.LBB328_144:                            ;   in Loop: Header=BB328_12 Depth=1
	s_delay_alu instid0(SALU_CYCLE_1)
	s_or_b32 exec_lo, exec_lo, s44
.LBB328_145:                            ;   in Loop: Header=BB328_12 Depth=1
	s_delay_alu instid0(SALU_CYCLE_1)
	s_or_b32 exec_lo, exec_lo, s43
	global_load_b32 v69, v[36:37], off offset:512
	v_dual_mov_b32 v66, 0 :: v_dual_mov_b32 v65, 0
	s_mov_b32 s43, exec_lo
	s_wait_loadcnt 0x0
	v_and_b32_e32 v28, 0xff, v69
	s_delay_alu instid0(VALU_DEP_1)
	v_cmpx_ne_u16_e32 0, v28
	s_cbranch_execz .LBB328_153
; %bb.146:                              ;   in Loop: Header=BB328_12 Depth=1
	v_bfrev_b32_e32 v65, 1
	s_mov_b32 s44, exec_lo
	v_cmpx_ne_u16_e32 0x80, v28
	s_cbranch_execz .LBB328_152
; %bb.147:                              ;   in Loop: Header=BB328_12 Depth=1
	v_and_b32_e32 v67, 0x7f, v69
	v_mov_b32_e32 v65, 0x7f800001
	s_mov_b32 s45, exec_lo
	s_delay_alu instid0(VALU_DEP_2)
	v_cmpx_ne_u32_e32 0x7f, v67
	s_cbranch_execz .LBB328_151
; %bb.148:                              ;   in Loop: Header=BB328_12 Depth=1
	v_dual_lshrrev_b32 v65, 3, v67 :: v_dual_bitop2_b32 v28, 7, v69 bitop3:0x40
	s_mov_b32 s46, exec_lo
	v_cmpx_gt_u32_e32 8, v67
; %bb.149:                              ;   in Loop: Header=BB328_12 Depth=1
	s_delay_alu instid0(VALU_DEP_2) | instskip(NEXT) | instid1(VALU_DEP_1)
	v_clz_i32_u32_e32 v65, v28
	v_min_u32_e32 v65, 32, v65
	s_delay_alu instid0(VALU_DEP_1) | instskip(NEXT) | instid1(VALU_DEP_1)
	v_subrev_nc_u32_e32 v67, 28, v65
	v_lshlrev_b64_e32 v[70:71], v67, v[28:29]
	s_delay_alu instid0(VALU_DEP_1)
	v_dual_sub_nc_u32 v65, 29, v65 :: v_dual_bitop2_b32 v28, 7, v70 bitop3:0x40
; %bb.150:                              ;   in Loop: Header=BB328_12 Depth=1
	s_or_b32 exec_lo, exec_lo, s46
	s_delay_alu instid0(VALU_DEP_1) | instskip(NEXT) | instid1(VALU_DEP_2)
	v_dual_lshlrev_b32 v67, 24, v69 :: v_dual_lshlrev_b32 v28, 20, v28
	v_lshl_add_u32 v65, v65, 23, 0x3c000000
	s_delay_alu instid0(VALU_DEP_2) | instskip(NEXT) | instid1(VALU_DEP_1)
	v_and_b32_e32 v67, 0x80000000, v67
	v_or3_b32 v65, v28, v67, v65
.LBB328_151:                            ;   in Loop: Header=BB328_12 Depth=1
	s_or_b32 exec_lo, exec_lo, s45
.LBB328_152:                            ;   in Loop: Header=BB328_12 Depth=1
	s_delay_alu instid0(SALU_CYCLE_1)
	s_or_b32 exec_lo, exec_lo, s44
.LBB328_153:                            ;   in Loop: Header=BB328_12 Depth=1
	s_delay_alu instid0(SALU_CYCLE_1) | instskip(SKIP_2) | instid1(VALU_DEP_1)
	s_or_b32 exec_lo, exec_lo, s43
	v_lshrrev_b16 v28, 8, v69
	s_mov_b32 s43, exec_lo
	v_cmpx_ne_u16_e32 0, v28
	s_cbranch_execz .LBB328_161
; %bb.154:                              ;   in Loop: Header=BB328_12 Depth=1
	v_bfrev_b32_e32 v66, 1
	s_mov_b32 s44, exec_lo
	v_cmpx_ne_u16_e32 0x80, v28
	s_cbranch_execz .LBB328_160
; %bb.155:                              ;   in Loop: Header=BB328_12 Depth=1
	v_and_b32_e32 v28, 0xffff, v28
	v_mov_b32_e32 v66, 0x7f800001
	s_mov_b32 s45, exec_lo
	s_delay_alu instid0(VALU_DEP_2) | instskip(NEXT) | instid1(VALU_DEP_1)
	v_and_b32_e32 v67, 0x7f, v28
	v_cmpx_ne_u32_e32 0x7f, v67
	s_cbranch_execz .LBB328_159
; %bb.156:                              ;   in Loop: Header=BB328_12 Depth=1
	v_dual_lshrrev_b32 v66, 3, v67 :: v_dual_bitop2_b32 v28, 7, v28 bitop3:0x40
	s_mov_b32 s46, exec_lo
	v_cmpx_gt_u32_e32 8, v67
; %bb.157:                              ;   in Loop: Header=BB328_12 Depth=1
	s_delay_alu instid0(VALU_DEP_2) | instskip(NEXT) | instid1(VALU_DEP_1)
	v_clz_i32_u32_e32 v66, v28
	v_min_u32_e32 v66, 32, v66
	s_delay_alu instid0(VALU_DEP_1) | instskip(SKIP_1) | instid1(VALU_DEP_2)
	v_subrev_nc_u32_e32 v67, 28, v66
	v_sub_nc_u32_e32 v66, 29, v66
	v_lshlrev_b64_e32 v[70:71], v67, v[28:29]
	s_delay_alu instid0(VALU_DEP_1)
	v_and_b32_e32 v28, 7, v70
; %bb.158:                              ;   in Loop: Header=BB328_12 Depth=1
	s_or_b32 exec_lo, exec_lo, s46
	s_delay_alu instid0(VALU_DEP_1) | instskip(SKIP_1) | instid1(VALU_DEP_2)
	v_dual_lshlrev_b32 v67, 16, v69 :: v_dual_lshlrev_b32 v28, 20, v28
	v_lshl_add_u32 v66, v66, 23, 0x3c000000
	v_and_b32_e32 v67, 0x80000000, v67
	s_delay_alu instid0(VALU_DEP_1)
	v_or3_b32 v66, v28, v67, v66
.LBB328_159:                            ;   in Loop: Header=BB328_12 Depth=1
	s_or_b32 exec_lo, exec_lo, s45
.LBB328_160:                            ;   in Loop: Header=BB328_12 Depth=1
	s_delay_alu instid0(SALU_CYCLE_1)
	s_or_b32 exec_lo, exec_lo, s44
.LBB328_161:                            ;   in Loop: Header=BB328_12 Depth=1
	s_delay_alu instid0(SALU_CYCLE_1) | instskip(SKIP_3) | instid1(VALU_DEP_2)
	s_or_b32 exec_lo, exec_lo, s43
	v_dual_mov_b32 v67, 0 :: v_dual_lshrrev_b32 v70, 16, v69
	v_mov_b32_e32 v68, 0
	s_mov_b32 s43, exec_lo
	v_and_b32_e32 v28, 0xff, v70
	s_delay_alu instid0(VALU_DEP_1)
	v_cmpx_ne_u16_e32 0, v28
	s_cbranch_execz .LBB328_169
; %bb.162:                              ;   in Loop: Header=BB328_12 Depth=1
	v_bfrev_b32_e32 v68, 1
	s_mov_b32 s44, exec_lo
	v_cmpx_ne_u16_e32 0x80, v28
	s_cbranch_execz .LBB328_168
; %bb.163:                              ;   in Loop: Header=BB328_12 Depth=1
	v_bfe_u32 v71, v69, 16, 7
	v_mov_b32_e32 v68, 0x7f800001
	s_mov_b32 s45, exec_lo
	s_delay_alu instid0(VALU_DEP_2)
	v_cmpx_ne_u32_e32 0x7f, v71
	s_cbranch_execz .LBB328_167
; %bb.164:                              ;   in Loop: Header=BB328_12 Depth=1
	v_dual_lshrrev_b32 v68, 3, v71 :: v_dual_bitop2_b32 v28, 7, v70 bitop3:0x40
	s_mov_b32 s46, exec_lo
	v_cmpx_gt_u32_e32 8, v71
; %bb.165:                              ;   in Loop: Header=BB328_12 Depth=1
	s_delay_alu instid0(VALU_DEP_2) | instskip(NEXT) | instid1(VALU_DEP_1)
	v_clz_i32_u32_e32 v68, v28
	v_min_u32_e32 v68, 32, v68
	s_delay_alu instid0(VALU_DEP_1) | instskip(SKIP_1) | instid1(VALU_DEP_2)
	v_subrev_nc_u32_e32 v71, 28, v68
	v_sub_nc_u32_e32 v68, 29, v68
	v_lshlrev_b64_e32 v[72:73], v71, v[28:29]
	s_delay_alu instid0(VALU_DEP_1)
	v_and_b32_e32 v28, 7, v72
; %bb.166:                              ;   in Loop: Header=BB328_12 Depth=1
	s_or_b32 exec_lo, exec_lo, s46
	s_delay_alu instid0(VALU_DEP_1) | instskip(SKIP_1) | instid1(VALU_DEP_2)
	v_dual_lshlrev_b32 v70, 24, v70 :: v_dual_lshlrev_b32 v28, 20, v28
	v_lshl_add_u32 v68, v68, 23, 0x3c000000
	v_and_b32_e32 v70, 0x80000000, v70
	s_delay_alu instid0(VALU_DEP_1)
	v_or3_b32 v68, v28, v70, v68
.LBB328_167:                            ;   in Loop: Header=BB328_12 Depth=1
	s_or_b32 exec_lo, exec_lo, s45
.LBB328_168:                            ;   in Loop: Header=BB328_12 Depth=1
	s_delay_alu instid0(SALU_CYCLE_1)
	s_or_b32 exec_lo, exec_lo, s44
.LBB328_169:                            ;   in Loop: Header=BB328_12 Depth=1
	s_delay_alu instid0(SALU_CYCLE_1) | instskip(NEXT) | instid1(SALU_CYCLE_1)
	s_or_b32 exec_lo, exec_lo, s43
	s_mov_b32 s43, exec_lo
	v_cmpx_lt_u32_e32 0xffffff, v69
	s_cbranch_execz .LBB328_177
; %bb.170:                              ;   in Loop: Header=BB328_12 Depth=1
	v_lshrrev_b32_e32 v70, 24, v69
	v_bfrev_b32_e32 v67, 1
	s_mov_b32 s44, exec_lo
	s_delay_alu instid0(VALU_DEP_2)
	v_cmpx_ne_u32_e32 0x80, v70
	s_cbranch_execz .LBB328_176
; %bb.171:                              ;   in Loop: Header=BB328_12 Depth=1
	v_bfe_u32 v69, v69, 24, 7
	v_mov_b32_e32 v67, 0x7f800001
	s_mov_b32 s45, exec_lo
	s_delay_alu instid0(VALU_DEP_2)
	v_cmpx_ne_u32_e32 0x7f, v69
	s_cbranch_execz .LBB328_175
; %bb.172:                              ;   in Loop: Header=BB328_12 Depth=1
	v_dual_lshrrev_b32 v67, 3, v69 :: v_dual_bitop2_b32 v28, 7, v70 bitop3:0x40
	s_mov_b32 s46, exec_lo
	v_cmpx_gt_u32_e32 8, v69
; %bb.173:                              ;   in Loop: Header=BB328_12 Depth=1
	s_delay_alu instid0(VALU_DEP_2) | instskip(NEXT) | instid1(VALU_DEP_1)
	v_clz_i32_u32_e32 v67, v28
	v_min_u32_e32 v67, 32, v67
	s_delay_alu instid0(VALU_DEP_1) | instskip(NEXT) | instid1(VALU_DEP_1)
	v_subrev_nc_u32_e32 v69, 28, v67
	v_lshlrev_b64_e32 v[72:73], v69, v[28:29]
	s_delay_alu instid0(VALU_DEP_1)
	v_dual_sub_nc_u32 v67, 29, v67 :: v_dual_bitop2_b32 v28, 7, v72 bitop3:0x40
; %bb.174:                              ;   in Loop: Header=BB328_12 Depth=1
	s_or_b32 exec_lo, exec_lo, s46
	s_delay_alu instid0(VALU_DEP_1) | instskip(NEXT) | instid1(VALU_DEP_2)
	v_dual_lshlrev_b32 v69, 24, v70 :: v_dual_lshlrev_b32 v28, 20, v28
	v_lshl_add_u32 v67, v67, 23, 0x3c000000
	s_delay_alu instid0(VALU_DEP_2) | instskip(NEXT) | instid1(VALU_DEP_1)
	v_and_b32_e32 v69, 0x80000000, v69
	v_or3_b32 v67, v28, v69, v67
.LBB328_175:                            ;   in Loop: Header=BB328_12 Depth=1
	s_or_b32 exec_lo, exec_lo, s45
.LBB328_176:                            ;   in Loop: Header=BB328_12 Depth=1
	s_delay_alu instid0(SALU_CYCLE_1)
	s_or_b32 exec_lo, exec_lo, s44
.LBB328_177:                            ;   in Loop: Header=BB328_12 Depth=1
	s_delay_alu instid0(SALU_CYCLE_1)
	s_or_b32 exec_lo, exec_lo, s43
	global_load_b32 v73, v[36:37], off offset:520
	v_dual_mov_b32 v70, 0 :: v_dual_mov_b32 v69, 0
	s_mov_b32 s43, exec_lo
	s_wait_loadcnt 0x0
	v_and_b32_e32 v28, 0xff, v73
	s_delay_alu instid0(VALU_DEP_1)
	v_cmpx_ne_u16_e32 0, v28
	s_cbranch_execz .LBB328_185
; %bb.178:                              ;   in Loop: Header=BB328_12 Depth=1
	v_bfrev_b32_e32 v69, 1
	s_mov_b32 s44, exec_lo
	v_cmpx_ne_u16_e32 0x80, v28
	s_cbranch_execz .LBB328_184
; %bb.179:                              ;   in Loop: Header=BB328_12 Depth=1
	v_and_b32_e32 v71, 0x7f, v73
	v_mov_b32_e32 v69, 0x7f800001
	s_mov_b32 s45, exec_lo
	s_delay_alu instid0(VALU_DEP_2)
	v_cmpx_ne_u32_e32 0x7f, v71
	s_cbranch_execz .LBB328_183
; %bb.180:                              ;   in Loop: Header=BB328_12 Depth=1
	v_dual_lshrrev_b32 v69, 3, v71 :: v_dual_bitop2_b32 v28, 7, v73 bitop3:0x40
	s_mov_b32 s46, exec_lo
	v_cmpx_gt_u32_e32 8, v71
; %bb.181:                              ;   in Loop: Header=BB328_12 Depth=1
	s_delay_alu instid0(VALU_DEP_2) | instskip(NEXT) | instid1(VALU_DEP_1)
	v_clz_i32_u32_e32 v69, v28
	v_min_u32_e32 v69, 32, v69
	s_delay_alu instid0(VALU_DEP_1) | instskip(NEXT) | instid1(VALU_DEP_1)
	v_subrev_nc_u32_e32 v71, 28, v69
	v_lshlrev_b64_e32 v[74:75], v71, v[28:29]
	s_delay_alu instid0(VALU_DEP_1)
	v_dual_sub_nc_u32 v69, 29, v69 :: v_dual_bitop2_b32 v28, 7, v74 bitop3:0x40
; %bb.182:                              ;   in Loop: Header=BB328_12 Depth=1
	s_or_b32 exec_lo, exec_lo, s46
	s_delay_alu instid0(VALU_DEP_1) | instskip(NEXT) | instid1(VALU_DEP_2)
	v_dual_lshlrev_b32 v71, 24, v73 :: v_dual_lshlrev_b32 v28, 20, v28
	v_lshl_add_u32 v69, v69, 23, 0x3c000000
	s_delay_alu instid0(VALU_DEP_2) | instskip(NEXT) | instid1(VALU_DEP_1)
	v_and_b32_e32 v71, 0x80000000, v71
	v_or3_b32 v69, v28, v71, v69
.LBB328_183:                            ;   in Loop: Header=BB328_12 Depth=1
	s_or_b32 exec_lo, exec_lo, s45
.LBB328_184:                            ;   in Loop: Header=BB328_12 Depth=1
	s_delay_alu instid0(SALU_CYCLE_1)
	s_or_b32 exec_lo, exec_lo, s44
.LBB328_185:                            ;   in Loop: Header=BB328_12 Depth=1
	s_delay_alu instid0(SALU_CYCLE_1) | instskip(SKIP_2) | instid1(VALU_DEP_1)
	s_or_b32 exec_lo, exec_lo, s43
	v_lshrrev_b16 v28, 8, v73
	s_mov_b32 s43, exec_lo
	v_cmpx_ne_u16_e32 0, v28
	s_cbranch_execz .LBB328_193
; %bb.186:                              ;   in Loop: Header=BB328_12 Depth=1
	v_bfrev_b32_e32 v70, 1
	s_mov_b32 s44, exec_lo
	v_cmpx_ne_u16_e32 0x80, v28
	s_cbranch_execz .LBB328_192
; %bb.187:                              ;   in Loop: Header=BB328_12 Depth=1
	v_and_b32_e32 v28, 0xffff, v28
	v_mov_b32_e32 v70, 0x7f800001
	s_mov_b32 s45, exec_lo
	s_delay_alu instid0(VALU_DEP_2) | instskip(NEXT) | instid1(VALU_DEP_1)
	v_and_b32_e32 v71, 0x7f, v28
	v_cmpx_ne_u32_e32 0x7f, v71
	s_cbranch_execz .LBB328_191
; %bb.188:                              ;   in Loop: Header=BB328_12 Depth=1
	v_dual_lshrrev_b32 v70, 3, v71 :: v_dual_bitop2_b32 v28, 7, v28 bitop3:0x40
	s_mov_b32 s46, exec_lo
	v_cmpx_gt_u32_e32 8, v71
; %bb.189:                              ;   in Loop: Header=BB328_12 Depth=1
	s_delay_alu instid0(VALU_DEP_2) | instskip(NEXT) | instid1(VALU_DEP_1)
	v_clz_i32_u32_e32 v70, v28
	v_min_u32_e32 v70, 32, v70
	s_delay_alu instid0(VALU_DEP_1) | instskip(SKIP_1) | instid1(VALU_DEP_2)
	v_subrev_nc_u32_e32 v71, 28, v70
	v_sub_nc_u32_e32 v70, 29, v70
	v_lshlrev_b64_e32 v[74:75], v71, v[28:29]
	s_delay_alu instid0(VALU_DEP_1)
	v_and_b32_e32 v28, 7, v74
; %bb.190:                              ;   in Loop: Header=BB328_12 Depth=1
	s_or_b32 exec_lo, exec_lo, s46
	s_delay_alu instid0(VALU_DEP_1) | instskip(SKIP_1) | instid1(VALU_DEP_2)
	v_dual_lshlrev_b32 v71, 16, v73 :: v_dual_lshlrev_b32 v28, 20, v28
	v_lshl_add_u32 v70, v70, 23, 0x3c000000
	v_and_b32_e32 v71, 0x80000000, v71
	s_delay_alu instid0(VALU_DEP_1)
	v_or3_b32 v70, v28, v71, v70
.LBB328_191:                            ;   in Loop: Header=BB328_12 Depth=1
	s_or_b32 exec_lo, exec_lo, s45
.LBB328_192:                            ;   in Loop: Header=BB328_12 Depth=1
	s_delay_alu instid0(SALU_CYCLE_1)
	s_or_b32 exec_lo, exec_lo, s44
.LBB328_193:                            ;   in Loop: Header=BB328_12 Depth=1
	s_delay_alu instid0(SALU_CYCLE_1) | instskip(SKIP_3) | instid1(VALU_DEP_2)
	s_or_b32 exec_lo, exec_lo, s43
	v_dual_mov_b32 v71, 0 :: v_dual_lshrrev_b32 v74, 16, v73
	v_mov_b32_e32 v72, 0
	s_mov_b32 s43, exec_lo
	v_and_b32_e32 v28, 0xff, v74
	s_delay_alu instid0(VALU_DEP_1)
	v_cmpx_ne_u16_e32 0, v28
	s_cbranch_execz .LBB328_201
; %bb.194:                              ;   in Loop: Header=BB328_12 Depth=1
	v_bfrev_b32_e32 v72, 1
	s_mov_b32 s44, exec_lo
	v_cmpx_ne_u16_e32 0x80, v28
	s_cbranch_execz .LBB328_200
; %bb.195:                              ;   in Loop: Header=BB328_12 Depth=1
	v_bfe_u32 v75, v73, 16, 7
	v_mov_b32_e32 v72, 0x7f800001
	s_mov_b32 s45, exec_lo
	s_delay_alu instid0(VALU_DEP_2)
	v_cmpx_ne_u32_e32 0x7f, v75
	s_cbranch_execz .LBB328_199
; %bb.196:                              ;   in Loop: Header=BB328_12 Depth=1
	v_dual_lshrrev_b32 v72, 3, v75 :: v_dual_bitop2_b32 v28, 7, v74 bitop3:0x40
	s_mov_b32 s46, exec_lo
	v_cmpx_gt_u32_e32 8, v75
; %bb.197:                              ;   in Loop: Header=BB328_12 Depth=1
	s_delay_alu instid0(VALU_DEP_2) | instskip(NEXT) | instid1(VALU_DEP_1)
	v_clz_i32_u32_e32 v72, v28
	v_min_u32_e32 v72, 32, v72
	s_delay_alu instid0(VALU_DEP_1) | instskip(SKIP_1) | instid1(VALU_DEP_2)
	v_subrev_nc_u32_e32 v75, 28, v72
	v_sub_nc_u32_e32 v72, 29, v72
	v_lshlrev_b64_e32 v[76:77], v75, v[28:29]
	s_delay_alu instid0(VALU_DEP_1)
	v_and_b32_e32 v28, 7, v76
; %bb.198:                              ;   in Loop: Header=BB328_12 Depth=1
	s_or_b32 exec_lo, exec_lo, s46
	s_delay_alu instid0(VALU_DEP_1) | instskip(SKIP_1) | instid1(VALU_DEP_2)
	v_dual_lshlrev_b32 v74, 24, v74 :: v_dual_lshlrev_b32 v28, 20, v28
	v_lshl_add_u32 v72, v72, 23, 0x3c000000
	v_and_b32_e32 v74, 0x80000000, v74
	s_delay_alu instid0(VALU_DEP_1)
	v_or3_b32 v72, v28, v74, v72
.LBB328_199:                            ;   in Loop: Header=BB328_12 Depth=1
	s_or_b32 exec_lo, exec_lo, s45
.LBB328_200:                            ;   in Loop: Header=BB328_12 Depth=1
	s_delay_alu instid0(SALU_CYCLE_1)
	s_or_b32 exec_lo, exec_lo, s44
.LBB328_201:                            ;   in Loop: Header=BB328_12 Depth=1
	s_delay_alu instid0(SALU_CYCLE_1) | instskip(NEXT) | instid1(SALU_CYCLE_1)
	s_or_b32 exec_lo, exec_lo, s43
	s_mov_b32 s43, exec_lo
	v_cmpx_lt_u32_e32 0xffffff, v73
	s_cbranch_execz .LBB328_209
; %bb.202:                              ;   in Loop: Header=BB328_12 Depth=1
	v_lshrrev_b32_e32 v74, 24, v73
	v_bfrev_b32_e32 v71, 1
	s_mov_b32 s44, exec_lo
	s_delay_alu instid0(VALU_DEP_2)
	v_cmpx_ne_u32_e32 0x80, v74
	s_cbranch_execz .LBB328_208
; %bb.203:                              ;   in Loop: Header=BB328_12 Depth=1
	v_bfe_u32 v73, v73, 24, 7
	v_mov_b32_e32 v71, 0x7f800001
	s_mov_b32 s45, exec_lo
	s_delay_alu instid0(VALU_DEP_2)
	v_cmpx_ne_u32_e32 0x7f, v73
	s_cbranch_execz .LBB328_207
; %bb.204:                              ;   in Loop: Header=BB328_12 Depth=1
	v_dual_lshrrev_b32 v71, 3, v73 :: v_dual_bitop2_b32 v28, 7, v74 bitop3:0x40
	s_mov_b32 s46, exec_lo
	v_cmpx_gt_u32_e32 8, v73
; %bb.205:                              ;   in Loop: Header=BB328_12 Depth=1
	s_delay_alu instid0(VALU_DEP_2) | instskip(NEXT) | instid1(VALU_DEP_1)
	v_clz_i32_u32_e32 v71, v28
	v_min_u32_e32 v71, 32, v71
	s_delay_alu instid0(VALU_DEP_1) | instskip(NEXT) | instid1(VALU_DEP_1)
	v_subrev_nc_u32_e32 v73, 28, v71
	v_lshlrev_b64_e32 v[76:77], v73, v[28:29]
	s_delay_alu instid0(VALU_DEP_1)
	v_dual_sub_nc_u32 v71, 29, v71 :: v_dual_bitop2_b32 v28, 7, v76 bitop3:0x40
; %bb.206:                              ;   in Loop: Header=BB328_12 Depth=1
	s_or_b32 exec_lo, exec_lo, s46
	s_delay_alu instid0(VALU_DEP_1) | instskip(NEXT) | instid1(VALU_DEP_2)
	v_dual_lshlrev_b32 v73, 24, v74 :: v_dual_lshlrev_b32 v28, 20, v28
	v_lshl_add_u32 v71, v71, 23, 0x3c000000
	s_delay_alu instid0(VALU_DEP_2) | instskip(NEXT) | instid1(VALU_DEP_1)
	v_and_b32_e32 v73, 0x80000000, v73
	v_or3_b32 v71, v28, v73, v71
.LBB328_207:                            ;   in Loop: Header=BB328_12 Depth=1
	s_or_b32 exec_lo, exec_lo, s45
.LBB328_208:                            ;   in Loop: Header=BB328_12 Depth=1
	s_delay_alu instid0(SALU_CYCLE_1)
	s_or_b32 exec_lo, exec_lo, s44
.LBB328_209:                            ;   in Loop: Header=BB328_12 Depth=1
	s_delay_alu instid0(SALU_CYCLE_1)
	s_or_b32 exec_lo, exec_lo, s43
	global_load_b32 v77, v[36:37], off offset:768
	v_dual_mov_b32 v74, 0 :: v_dual_mov_b32 v73, 0
	s_mov_b32 s43, exec_lo
	s_wait_loadcnt 0x0
	v_and_b32_e32 v28, 0xff, v77
	s_delay_alu instid0(VALU_DEP_1)
	v_cmpx_ne_u16_e32 0, v28
	s_cbranch_execz .LBB328_217
; %bb.210:                              ;   in Loop: Header=BB328_12 Depth=1
	v_bfrev_b32_e32 v73, 1
	s_mov_b32 s44, exec_lo
	v_cmpx_ne_u16_e32 0x80, v28
	s_cbranch_execz .LBB328_216
; %bb.211:                              ;   in Loop: Header=BB328_12 Depth=1
	v_and_b32_e32 v75, 0x7f, v77
	v_mov_b32_e32 v73, 0x7f800001
	s_mov_b32 s45, exec_lo
	s_delay_alu instid0(VALU_DEP_2)
	v_cmpx_ne_u32_e32 0x7f, v75
	s_cbranch_execz .LBB328_215
; %bb.212:                              ;   in Loop: Header=BB328_12 Depth=1
	v_dual_lshrrev_b32 v73, 3, v75 :: v_dual_bitop2_b32 v28, 7, v77 bitop3:0x40
	s_mov_b32 s46, exec_lo
	v_cmpx_gt_u32_e32 8, v75
; %bb.213:                              ;   in Loop: Header=BB328_12 Depth=1
	s_delay_alu instid0(VALU_DEP_2) | instskip(NEXT) | instid1(VALU_DEP_1)
	v_clz_i32_u32_e32 v73, v28
	v_min_u32_e32 v73, 32, v73
	s_delay_alu instid0(VALU_DEP_1) | instskip(NEXT) | instid1(VALU_DEP_1)
	v_subrev_nc_u32_e32 v75, 28, v73
	v_lshlrev_b64_e32 v[78:79], v75, v[28:29]
	s_delay_alu instid0(VALU_DEP_1)
	v_dual_sub_nc_u32 v73, 29, v73 :: v_dual_bitop2_b32 v28, 7, v78 bitop3:0x40
; %bb.214:                              ;   in Loop: Header=BB328_12 Depth=1
	s_or_b32 exec_lo, exec_lo, s46
	s_delay_alu instid0(VALU_DEP_1) | instskip(NEXT) | instid1(VALU_DEP_2)
	v_dual_lshlrev_b32 v75, 24, v77 :: v_dual_lshlrev_b32 v28, 20, v28
	v_lshl_add_u32 v73, v73, 23, 0x3c000000
	s_delay_alu instid0(VALU_DEP_2) | instskip(NEXT) | instid1(VALU_DEP_1)
	v_and_b32_e32 v75, 0x80000000, v75
	v_or3_b32 v73, v28, v75, v73
.LBB328_215:                            ;   in Loop: Header=BB328_12 Depth=1
	s_or_b32 exec_lo, exec_lo, s45
.LBB328_216:                            ;   in Loop: Header=BB328_12 Depth=1
	s_delay_alu instid0(SALU_CYCLE_1)
	s_or_b32 exec_lo, exec_lo, s44
.LBB328_217:                            ;   in Loop: Header=BB328_12 Depth=1
	s_delay_alu instid0(SALU_CYCLE_1) | instskip(SKIP_2) | instid1(VALU_DEP_1)
	s_or_b32 exec_lo, exec_lo, s43
	v_lshrrev_b16 v28, 8, v77
	s_mov_b32 s43, exec_lo
	v_cmpx_ne_u16_e32 0, v28
	s_cbranch_execz .LBB328_225
; %bb.218:                              ;   in Loop: Header=BB328_12 Depth=1
	v_bfrev_b32_e32 v74, 1
	s_mov_b32 s44, exec_lo
	v_cmpx_ne_u16_e32 0x80, v28
	s_cbranch_execz .LBB328_224
; %bb.219:                              ;   in Loop: Header=BB328_12 Depth=1
	v_and_b32_e32 v28, 0xffff, v28
	v_mov_b32_e32 v74, 0x7f800001
	s_mov_b32 s45, exec_lo
	s_delay_alu instid0(VALU_DEP_2) | instskip(NEXT) | instid1(VALU_DEP_1)
	v_and_b32_e32 v75, 0x7f, v28
	v_cmpx_ne_u32_e32 0x7f, v75
	s_cbranch_execz .LBB328_223
; %bb.220:                              ;   in Loop: Header=BB328_12 Depth=1
	v_dual_lshrrev_b32 v74, 3, v75 :: v_dual_bitop2_b32 v28, 7, v28 bitop3:0x40
	s_mov_b32 s46, exec_lo
	v_cmpx_gt_u32_e32 8, v75
; %bb.221:                              ;   in Loop: Header=BB328_12 Depth=1
	s_delay_alu instid0(VALU_DEP_2) | instskip(NEXT) | instid1(VALU_DEP_1)
	v_clz_i32_u32_e32 v74, v28
	v_min_u32_e32 v74, 32, v74
	s_delay_alu instid0(VALU_DEP_1) | instskip(SKIP_1) | instid1(VALU_DEP_2)
	v_subrev_nc_u32_e32 v75, 28, v74
	v_sub_nc_u32_e32 v74, 29, v74
	v_lshlrev_b64_e32 v[78:79], v75, v[28:29]
	s_delay_alu instid0(VALU_DEP_1)
	v_and_b32_e32 v28, 7, v78
; %bb.222:                              ;   in Loop: Header=BB328_12 Depth=1
	s_or_b32 exec_lo, exec_lo, s46
	s_delay_alu instid0(VALU_DEP_1) | instskip(SKIP_1) | instid1(VALU_DEP_2)
	v_dual_lshlrev_b32 v75, 16, v77 :: v_dual_lshlrev_b32 v28, 20, v28
	v_lshl_add_u32 v74, v74, 23, 0x3c000000
	v_and_b32_e32 v75, 0x80000000, v75
	s_delay_alu instid0(VALU_DEP_1)
	v_or3_b32 v74, v28, v75, v74
.LBB328_223:                            ;   in Loop: Header=BB328_12 Depth=1
	s_or_b32 exec_lo, exec_lo, s45
.LBB328_224:                            ;   in Loop: Header=BB328_12 Depth=1
	s_delay_alu instid0(SALU_CYCLE_1)
	s_or_b32 exec_lo, exec_lo, s44
.LBB328_225:                            ;   in Loop: Header=BB328_12 Depth=1
	s_delay_alu instid0(SALU_CYCLE_1) | instskip(SKIP_3) | instid1(VALU_DEP_2)
	s_or_b32 exec_lo, exec_lo, s43
	v_dual_mov_b32 v75, 0 :: v_dual_lshrrev_b32 v78, 16, v77
	v_mov_b32_e32 v76, 0
	s_mov_b32 s43, exec_lo
	v_and_b32_e32 v28, 0xff, v78
	s_delay_alu instid0(VALU_DEP_1)
	v_cmpx_ne_u16_e32 0, v28
	s_cbranch_execz .LBB328_233
; %bb.226:                              ;   in Loop: Header=BB328_12 Depth=1
	v_bfrev_b32_e32 v76, 1
	s_mov_b32 s44, exec_lo
	v_cmpx_ne_u16_e32 0x80, v28
	s_cbranch_execz .LBB328_232
; %bb.227:                              ;   in Loop: Header=BB328_12 Depth=1
	v_bfe_u32 v79, v77, 16, 7
	v_mov_b32_e32 v76, 0x7f800001
	s_mov_b32 s45, exec_lo
	s_delay_alu instid0(VALU_DEP_2)
	v_cmpx_ne_u32_e32 0x7f, v79
	s_cbranch_execz .LBB328_231
; %bb.228:                              ;   in Loop: Header=BB328_12 Depth=1
	v_dual_lshrrev_b32 v76, 3, v79 :: v_dual_bitop2_b32 v28, 7, v78 bitop3:0x40
	s_mov_b32 s46, exec_lo
	v_cmpx_gt_u32_e32 8, v79
; %bb.229:                              ;   in Loop: Header=BB328_12 Depth=1
	s_delay_alu instid0(VALU_DEP_2) | instskip(NEXT) | instid1(VALU_DEP_1)
	v_clz_i32_u32_e32 v76, v28
	v_min_u32_e32 v76, 32, v76
	s_delay_alu instid0(VALU_DEP_1) | instskip(SKIP_1) | instid1(VALU_DEP_2)
	v_subrev_nc_u32_e32 v79, 28, v76
	v_sub_nc_u32_e32 v76, 29, v76
	v_lshlrev_b64_e32 v[80:81], v79, v[28:29]
	s_delay_alu instid0(VALU_DEP_1)
	v_and_b32_e32 v28, 7, v80
; %bb.230:                              ;   in Loop: Header=BB328_12 Depth=1
	s_or_b32 exec_lo, exec_lo, s46
	s_delay_alu instid0(VALU_DEP_1) | instskip(SKIP_1) | instid1(VALU_DEP_2)
	v_dual_lshlrev_b32 v78, 24, v78 :: v_dual_lshlrev_b32 v28, 20, v28
	v_lshl_add_u32 v76, v76, 23, 0x3c000000
	v_and_b32_e32 v78, 0x80000000, v78
	s_delay_alu instid0(VALU_DEP_1)
	v_or3_b32 v76, v28, v78, v76
.LBB328_231:                            ;   in Loop: Header=BB328_12 Depth=1
	s_or_b32 exec_lo, exec_lo, s45
.LBB328_232:                            ;   in Loop: Header=BB328_12 Depth=1
	s_delay_alu instid0(SALU_CYCLE_1)
	s_or_b32 exec_lo, exec_lo, s44
.LBB328_233:                            ;   in Loop: Header=BB328_12 Depth=1
	s_delay_alu instid0(SALU_CYCLE_1) | instskip(NEXT) | instid1(SALU_CYCLE_1)
	s_or_b32 exec_lo, exec_lo, s43
	s_mov_b32 s43, exec_lo
	v_cmpx_lt_u32_e32 0xffffff, v77
	s_cbranch_execz .LBB328_241
; %bb.234:                              ;   in Loop: Header=BB328_12 Depth=1
	v_lshrrev_b32_e32 v78, 24, v77
	v_bfrev_b32_e32 v75, 1
	s_mov_b32 s44, exec_lo
	s_delay_alu instid0(VALU_DEP_2)
	v_cmpx_ne_u32_e32 0x80, v78
	s_cbranch_execz .LBB328_240
; %bb.235:                              ;   in Loop: Header=BB328_12 Depth=1
	v_bfe_u32 v77, v77, 24, 7
	v_mov_b32_e32 v75, 0x7f800001
	s_mov_b32 s45, exec_lo
	s_delay_alu instid0(VALU_DEP_2)
	v_cmpx_ne_u32_e32 0x7f, v77
	s_cbranch_execz .LBB328_239
; %bb.236:                              ;   in Loop: Header=BB328_12 Depth=1
	v_dual_lshrrev_b32 v75, 3, v77 :: v_dual_bitop2_b32 v28, 7, v78 bitop3:0x40
	s_mov_b32 s46, exec_lo
	v_cmpx_gt_u32_e32 8, v77
; %bb.237:                              ;   in Loop: Header=BB328_12 Depth=1
	s_delay_alu instid0(VALU_DEP_2) | instskip(NEXT) | instid1(VALU_DEP_1)
	v_clz_i32_u32_e32 v75, v28
	v_min_u32_e32 v75, 32, v75
	s_delay_alu instid0(VALU_DEP_1) | instskip(NEXT) | instid1(VALU_DEP_1)
	v_subrev_nc_u32_e32 v77, 28, v75
	v_lshlrev_b64_e32 v[80:81], v77, v[28:29]
	s_delay_alu instid0(VALU_DEP_1)
	v_dual_sub_nc_u32 v75, 29, v75 :: v_dual_bitop2_b32 v28, 7, v80 bitop3:0x40
; %bb.238:                              ;   in Loop: Header=BB328_12 Depth=1
	s_or_b32 exec_lo, exec_lo, s46
	s_delay_alu instid0(VALU_DEP_1) | instskip(NEXT) | instid1(VALU_DEP_2)
	v_dual_lshlrev_b32 v77, 24, v78 :: v_dual_lshlrev_b32 v28, 20, v28
	v_lshl_add_u32 v75, v75, 23, 0x3c000000
	s_delay_alu instid0(VALU_DEP_2) | instskip(NEXT) | instid1(VALU_DEP_1)
	v_and_b32_e32 v77, 0x80000000, v77
	v_or3_b32 v75, v28, v77, v75
.LBB328_239:                            ;   in Loop: Header=BB328_12 Depth=1
	s_or_b32 exec_lo, exec_lo, s45
.LBB328_240:                            ;   in Loop: Header=BB328_12 Depth=1
	s_delay_alu instid0(SALU_CYCLE_1)
	s_or_b32 exec_lo, exec_lo, s44
.LBB328_241:                            ;   in Loop: Header=BB328_12 Depth=1
	s_delay_alu instid0(SALU_CYCLE_1)
	s_or_b32 exec_lo, exec_lo, s43
	global_load_b32 v81, v[36:37], off offset:776
	v_dual_mov_b32 v78, 0 :: v_dual_mov_b32 v77, 0
	s_mov_b32 s43, exec_lo
	s_wait_loadcnt 0x0
	v_and_b32_e32 v28, 0xff, v81
	s_delay_alu instid0(VALU_DEP_1)
	v_cmpx_ne_u16_e32 0, v28
	s_cbranch_execz .LBB328_249
; %bb.242:                              ;   in Loop: Header=BB328_12 Depth=1
	v_bfrev_b32_e32 v77, 1
	s_mov_b32 s44, exec_lo
	v_cmpx_ne_u16_e32 0x80, v28
	s_cbranch_execz .LBB328_248
; %bb.243:                              ;   in Loop: Header=BB328_12 Depth=1
	v_and_b32_e32 v79, 0x7f, v81
	v_mov_b32_e32 v77, 0x7f800001
	s_mov_b32 s45, exec_lo
	s_delay_alu instid0(VALU_DEP_2)
	v_cmpx_ne_u32_e32 0x7f, v79
	s_cbranch_execz .LBB328_247
; %bb.244:                              ;   in Loop: Header=BB328_12 Depth=1
	v_dual_lshrrev_b32 v77, 3, v79 :: v_dual_bitop2_b32 v28, 7, v81 bitop3:0x40
	s_mov_b32 s46, exec_lo
	v_cmpx_gt_u32_e32 8, v79
; %bb.245:                              ;   in Loop: Header=BB328_12 Depth=1
	s_delay_alu instid0(VALU_DEP_2) | instskip(NEXT) | instid1(VALU_DEP_1)
	v_clz_i32_u32_e32 v77, v28
	v_min_u32_e32 v77, 32, v77
	s_delay_alu instid0(VALU_DEP_1) | instskip(NEXT) | instid1(VALU_DEP_1)
	v_subrev_nc_u32_e32 v79, 28, v77
	v_lshlrev_b64_e32 v[82:83], v79, v[28:29]
	s_delay_alu instid0(VALU_DEP_1)
	v_dual_sub_nc_u32 v77, 29, v77 :: v_dual_bitop2_b32 v28, 7, v82 bitop3:0x40
; %bb.246:                              ;   in Loop: Header=BB328_12 Depth=1
	s_or_b32 exec_lo, exec_lo, s46
	s_delay_alu instid0(VALU_DEP_1) | instskip(NEXT) | instid1(VALU_DEP_2)
	v_dual_lshlrev_b32 v79, 24, v81 :: v_dual_lshlrev_b32 v28, 20, v28
	v_lshl_add_u32 v77, v77, 23, 0x3c000000
	s_delay_alu instid0(VALU_DEP_2) | instskip(NEXT) | instid1(VALU_DEP_1)
	v_and_b32_e32 v79, 0x80000000, v79
	v_or3_b32 v77, v28, v79, v77
.LBB328_247:                            ;   in Loop: Header=BB328_12 Depth=1
	s_or_b32 exec_lo, exec_lo, s45
.LBB328_248:                            ;   in Loop: Header=BB328_12 Depth=1
	s_delay_alu instid0(SALU_CYCLE_1)
	s_or_b32 exec_lo, exec_lo, s44
.LBB328_249:                            ;   in Loop: Header=BB328_12 Depth=1
	s_delay_alu instid0(SALU_CYCLE_1) | instskip(SKIP_2) | instid1(VALU_DEP_1)
	s_or_b32 exec_lo, exec_lo, s43
	v_lshrrev_b16 v28, 8, v81
	s_mov_b32 s43, exec_lo
	v_cmpx_ne_u16_e32 0, v28
	s_cbranch_execz .LBB328_257
; %bb.250:                              ;   in Loop: Header=BB328_12 Depth=1
	v_bfrev_b32_e32 v78, 1
	s_mov_b32 s44, exec_lo
	v_cmpx_ne_u16_e32 0x80, v28
	s_cbranch_execz .LBB328_256
; %bb.251:                              ;   in Loop: Header=BB328_12 Depth=1
	v_and_b32_e32 v28, 0xffff, v28
	v_mov_b32_e32 v78, 0x7f800001
	s_mov_b32 s45, exec_lo
	s_delay_alu instid0(VALU_DEP_2) | instskip(NEXT) | instid1(VALU_DEP_1)
	v_and_b32_e32 v79, 0x7f, v28
	v_cmpx_ne_u32_e32 0x7f, v79
	s_cbranch_execz .LBB328_255
; %bb.252:                              ;   in Loop: Header=BB328_12 Depth=1
	v_dual_lshrrev_b32 v78, 3, v79 :: v_dual_bitop2_b32 v28, 7, v28 bitop3:0x40
	s_mov_b32 s46, exec_lo
	v_cmpx_gt_u32_e32 8, v79
; %bb.253:                              ;   in Loop: Header=BB328_12 Depth=1
	s_delay_alu instid0(VALU_DEP_2) | instskip(NEXT) | instid1(VALU_DEP_1)
	v_clz_i32_u32_e32 v78, v28
	v_min_u32_e32 v78, 32, v78
	s_delay_alu instid0(VALU_DEP_1) | instskip(SKIP_1) | instid1(VALU_DEP_2)
	v_subrev_nc_u32_e32 v79, 28, v78
	v_sub_nc_u32_e32 v78, 29, v78
	v_lshlrev_b64_e32 v[82:83], v79, v[28:29]
	s_delay_alu instid0(VALU_DEP_1)
	v_and_b32_e32 v28, 7, v82
; %bb.254:                              ;   in Loop: Header=BB328_12 Depth=1
	s_or_b32 exec_lo, exec_lo, s46
	s_delay_alu instid0(VALU_DEP_1) | instskip(SKIP_1) | instid1(VALU_DEP_2)
	v_dual_lshlrev_b32 v79, 16, v81 :: v_dual_lshlrev_b32 v28, 20, v28
	v_lshl_add_u32 v78, v78, 23, 0x3c000000
	v_and_b32_e32 v79, 0x80000000, v79
	s_delay_alu instid0(VALU_DEP_1)
	v_or3_b32 v78, v28, v79, v78
.LBB328_255:                            ;   in Loop: Header=BB328_12 Depth=1
	s_or_b32 exec_lo, exec_lo, s45
.LBB328_256:                            ;   in Loop: Header=BB328_12 Depth=1
	s_delay_alu instid0(SALU_CYCLE_1)
	s_or_b32 exec_lo, exec_lo, s44
.LBB328_257:                            ;   in Loop: Header=BB328_12 Depth=1
	s_delay_alu instid0(SALU_CYCLE_1) | instskip(SKIP_3) | instid1(VALU_DEP_2)
	s_or_b32 exec_lo, exec_lo, s43
	v_dual_mov_b32 v79, 0 :: v_dual_lshrrev_b32 v82, 16, v81
	v_mov_b32_e32 v80, 0
	s_mov_b32 s43, exec_lo
	v_and_b32_e32 v28, 0xff, v82
	s_delay_alu instid0(VALU_DEP_1)
	v_cmpx_ne_u16_e32 0, v28
	s_cbranch_execz .LBB328_265
; %bb.258:                              ;   in Loop: Header=BB328_12 Depth=1
	v_bfrev_b32_e32 v80, 1
	s_mov_b32 s44, exec_lo
	v_cmpx_ne_u16_e32 0x80, v28
	s_cbranch_execz .LBB328_264
; %bb.259:                              ;   in Loop: Header=BB328_12 Depth=1
	v_bfe_u32 v83, v81, 16, 7
	v_mov_b32_e32 v80, 0x7f800001
	s_mov_b32 s45, exec_lo
	s_delay_alu instid0(VALU_DEP_2)
	v_cmpx_ne_u32_e32 0x7f, v83
	s_cbranch_execz .LBB328_263
; %bb.260:                              ;   in Loop: Header=BB328_12 Depth=1
	v_dual_lshrrev_b32 v80, 3, v83 :: v_dual_bitop2_b32 v28, 7, v82 bitop3:0x40
	s_mov_b32 s46, exec_lo
	v_cmpx_gt_u32_e32 8, v83
; %bb.261:                              ;   in Loop: Header=BB328_12 Depth=1
	s_delay_alu instid0(VALU_DEP_2) | instskip(NEXT) | instid1(VALU_DEP_1)
	v_clz_i32_u32_e32 v80, v28
	v_min_u32_e32 v80, 32, v80
	s_delay_alu instid0(VALU_DEP_1) | instskip(SKIP_1) | instid1(VALU_DEP_2)
	v_subrev_nc_u32_e32 v83, 28, v80
	v_sub_nc_u32_e32 v80, 29, v80
	v_lshlrev_b64_e32 v[84:85], v83, v[28:29]
	s_delay_alu instid0(VALU_DEP_1)
	v_and_b32_e32 v28, 7, v84
; %bb.262:                              ;   in Loop: Header=BB328_12 Depth=1
	s_or_b32 exec_lo, exec_lo, s46
	s_delay_alu instid0(VALU_DEP_1) | instskip(SKIP_1) | instid1(VALU_DEP_2)
	v_dual_lshlrev_b32 v82, 24, v82 :: v_dual_lshlrev_b32 v28, 20, v28
	v_lshl_add_u32 v80, v80, 23, 0x3c000000
	v_and_b32_e32 v82, 0x80000000, v82
	s_delay_alu instid0(VALU_DEP_1)
	v_or3_b32 v80, v28, v82, v80
.LBB328_263:                            ;   in Loop: Header=BB328_12 Depth=1
	s_or_b32 exec_lo, exec_lo, s45
.LBB328_264:                            ;   in Loop: Header=BB328_12 Depth=1
	s_delay_alu instid0(SALU_CYCLE_1)
	s_or_b32 exec_lo, exec_lo, s44
.LBB328_265:                            ;   in Loop: Header=BB328_12 Depth=1
	s_delay_alu instid0(SALU_CYCLE_1) | instskip(NEXT) | instid1(SALU_CYCLE_1)
	s_or_b32 exec_lo, exec_lo, s43
	s_mov_b32 s43, exec_lo
	v_cmpx_lt_u32_e32 0xffffff, v81
	s_cbranch_execz .LBB328_273
; %bb.266:                              ;   in Loop: Header=BB328_12 Depth=1
	v_lshrrev_b32_e32 v82, 24, v81
	v_bfrev_b32_e32 v79, 1
	s_mov_b32 s44, exec_lo
	s_delay_alu instid0(VALU_DEP_2)
	v_cmpx_ne_u32_e32 0x80, v82
	s_cbranch_execz .LBB328_272
; %bb.267:                              ;   in Loop: Header=BB328_12 Depth=1
	v_bfe_u32 v81, v81, 24, 7
	v_mov_b32_e32 v79, 0x7f800001
	s_mov_b32 s45, exec_lo
	s_delay_alu instid0(VALU_DEP_2)
	v_cmpx_ne_u32_e32 0x7f, v81
	s_cbranch_execz .LBB328_271
; %bb.268:                              ;   in Loop: Header=BB328_12 Depth=1
	v_dual_lshrrev_b32 v79, 3, v81 :: v_dual_bitop2_b32 v28, 7, v82 bitop3:0x40
	s_mov_b32 s46, exec_lo
	v_cmpx_gt_u32_e32 8, v81
; %bb.269:                              ;   in Loop: Header=BB328_12 Depth=1
	s_delay_alu instid0(VALU_DEP_2) | instskip(NEXT) | instid1(VALU_DEP_1)
	v_clz_i32_u32_e32 v79, v28
	v_min_u32_e32 v79, 32, v79
	s_delay_alu instid0(VALU_DEP_1) | instskip(NEXT) | instid1(VALU_DEP_1)
	v_subrev_nc_u32_e32 v81, 28, v79
	v_lshlrev_b64_e32 v[84:85], v81, v[28:29]
	s_delay_alu instid0(VALU_DEP_1)
	v_dual_sub_nc_u32 v79, 29, v79 :: v_dual_bitop2_b32 v28, 7, v84 bitop3:0x40
; %bb.270:                              ;   in Loop: Header=BB328_12 Depth=1
	s_or_b32 exec_lo, exec_lo, s46
	s_delay_alu instid0(VALU_DEP_1) | instskip(NEXT) | instid1(VALU_DEP_2)
	v_dual_lshlrev_b32 v81, 24, v82 :: v_dual_lshlrev_b32 v28, 20, v28
	v_lshl_add_u32 v79, v79, 23, 0x3c000000
	s_delay_alu instid0(VALU_DEP_2) | instskip(NEXT) | instid1(VALU_DEP_1)
	v_and_b32_e32 v81, 0x80000000, v81
	v_or3_b32 v79, v28, v81, v79
.LBB328_271:                            ;   in Loop: Header=BB328_12 Depth=1
	s_or_b32 exec_lo, exec_lo, s45
.LBB328_272:                            ;   in Loop: Header=BB328_12 Depth=1
	s_delay_alu instid0(SALU_CYCLE_1)
	s_or_b32 exec_lo, exec_lo, s44
.LBB328_273:                            ;   in Loop: Header=BB328_12 Depth=1
	s_delay_alu instid0(SALU_CYCLE_1)
	s_or_b32 exec_lo, exec_lo, s43
	global_load_b32 v85, v[36:37], off offset:1024
	v_dual_mov_b32 v82, 0 :: v_dual_mov_b32 v81, 0
	s_mov_b32 s43, exec_lo
	s_wait_loadcnt 0x0
	v_and_b32_e32 v28, 0xff, v85
	s_delay_alu instid0(VALU_DEP_1)
	v_cmpx_ne_u16_e32 0, v28
	s_cbranch_execz .LBB328_281
; %bb.274:                              ;   in Loop: Header=BB328_12 Depth=1
	v_bfrev_b32_e32 v81, 1
	s_mov_b32 s44, exec_lo
	v_cmpx_ne_u16_e32 0x80, v28
	s_cbranch_execz .LBB328_280
; %bb.275:                              ;   in Loop: Header=BB328_12 Depth=1
	v_and_b32_e32 v83, 0x7f, v85
	v_mov_b32_e32 v81, 0x7f800001
	s_mov_b32 s45, exec_lo
	s_delay_alu instid0(VALU_DEP_2)
	v_cmpx_ne_u32_e32 0x7f, v83
	s_cbranch_execz .LBB328_279
; %bb.276:                              ;   in Loop: Header=BB328_12 Depth=1
	v_dual_lshrrev_b32 v81, 3, v83 :: v_dual_bitop2_b32 v28, 7, v85 bitop3:0x40
	s_mov_b32 s46, exec_lo
	v_cmpx_gt_u32_e32 8, v83
; %bb.277:                              ;   in Loop: Header=BB328_12 Depth=1
	s_delay_alu instid0(VALU_DEP_2) | instskip(NEXT) | instid1(VALU_DEP_1)
	v_clz_i32_u32_e32 v81, v28
	v_min_u32_e32 v81, 32, v81
	s_delay_alu instid0(VALU_DEP_1) | instskip(NEXT) | instid1(VALU_DEP_1)
	v_subrev_nc_u32_e32 v83, 28, v81
	v_lshlrev_b64_e32 v[86:87], v83, v[28:29]
	s_delay_alu instid0(VALU_DEP_1)
	v_dual_sub_nc_u32 v81, 29, v81 :: v_dual_bitop2_b32 v28, 7, v86 bitop3:0x40
; %bb.278:                              ;   in Loop: Header=BB328_12 Depth=1
	s_or_b32 exec_lo, exec_lo, s46
	s_delay_alu instid0(VALU_DEP_1) | instskip(NEXT) | instid1(VALU_DEP_2)
	v_dual_lshlrev_b32 v83, 24, v85 :: v_dual_lshlrev_b32 v28, 20, v28
	v_lshl_add_u32 v81, v81, 23, 0x3c000000
	s_delay_alu instid0(VALU_DEP_2) | instskip(NEXT) | instid1(VALU_DEP_1)
	v_and_b32_e32 v83, 0x80000000, v83
	v_or3_b32 v81, v28, v83, v81
.LBB328_279:                            ;   in Loop: Header=BB328_12 Depth=1
	s_or_b32 exec_lo, exec_lo, s45
.LBB328_280:                            ;   in Loop: Header=BB328_12 Depth=1
	s_delay_alu instid0(SALU_CYCLE_1)
	s_or_b32 exec_lo, exec_lo, s44
.LBB328_281:                            ;   in Loop: Header=BB328_12 Depth=1
	s_delay_alu instid0(SALU_CYCLE_1) | instskip(SKIP_2) | instid1(VALU_DEP_1)
	s_or_b32 exec_lo, exec_lo, s43
	v_lshrrev_b16 v28, 8, v85
	s_mov_b32 s43, exec_lo
	v_cmpx_ne_u16_e32 0, v28
	s_cbranch_execz .LBB328_289
; %bb.282:                              ;   in Loop: Header=BB328_12 Depth=1
	v_bfrev_b32_e32 v82, 1
	s_mov_b32 s44, exec_lo
	v_cmpx_ne_u16_e32 0x80, v28
	s_cbranch_execz .LBB328_288
; %bb.283:                              ;   in Loop: Header=BB328_12 Depth=1
	v_and_b32_e32 v28, 0xffff, v28
	v_mov_b32_e32 v82, 0x7f800001
	s_mov_b32 s45, exec_lo
	s_delay_alu instid0(VALU_DEP_2) | instskip(NEXT) | instid1(VALU_DEP_1)
	v_and_b32_e32 v83, 0x7f, v28
	v_cmpx_ne_u32_e32 0x7f, v83
	s_cbranch_execz .LBB328_287
; %bb.284:                              ;   in Loop: Header=BB328_12 Depth=1
	v_dual_lshrrev_b32 v82, 3, v83 :: v_dual_bitop2_b32 v28, 7, v28 bitop3:0x40
	s_mov_b32 s46, exec_lo
	v_cmpx_gt_u32_e32 8, v83
; %bb.285:                              ;   in Loop: Header=BB328_12 Depth=1
	s_delay_alu instid0(VALU_DEP_2) | instskip(NEXT) | instid1(VALU_DEP_1)
	v_clz_i32_u32_e32 v82, v28
	v_min_u32_e32 v82, 32, v82
	s_delay_alu instid0(VALU_DEP_1) | instskip(SKIP_1) | instid1(VALU_DEP_2)
	v_subrev_nc_u32_e32 v83, 28, v82
	v_sub_nc_u32_e32 v82, 29, v82
	v_lshlrev_b64_e32 v[86:87], v83, v[28:29]
	s_delay_alu instid0(VALU_DEP_1)
	v_and_b32_e32 v28, 7, v86
; %bb.286:                              ;   in Loop: Header=BB328_12 Depth=1
	s_or_b32 exec_lo, exec_lo, s46
	s_delay_alu instid0(VALU_DEP_1) | instskip(SKIP_1) | instid1(VALU_DEP_2)
	v_dual_lshlrev_b32 v83, 16, v85 :: v_dual_lshlrev_b32 v28, 20, v28
	v_lshl_add_u32 v82, v82, 23, 0x3c000000
	v_and_b32_e32 v83, 0x80000000, v83
	s_delay_alu instid0(VALU_DEP_1)
	v_or3_b32 v82, v28, v83, v82
.LBB328_287:                            ;   in Loop: Header=BB328_12 Depth=1
	s_or_b32 exec_lo, exec_lo, s45
.LBB328_288:                            ;   in Loop: Header=BB328_12 Depth=1
	s_delay_alu instid0(SALU_CYCLE_1)
	s_or_b32 exec_lo, exec_lo, s44
.LBB328_289:                            ;   in Loop: Header=BB328_12 Depth=1
	s_delay_alu instid0(SALU_CYCLE_1) | instskip(SKIP_3) | instid1(VALU_DEP_2)
	s_or_b32 exec_lo, exec_lo, s43
	v_dual_mov_b32 v83, 0 :: v_dual_lshrrev_b32 v86, 16, v85
	v_mov_b32_e32 v84, 0
	s_mov_b32 s43, exec_lo
	v_and_b32_e32 v28, 0xff, v86
	s_delay_alu instid0(VALU_DEP_1)
	v_cmpx_ne_u16_e32 0, v28
	s_cbranch_execz .LBB328_297
; %bb.290:                              ;   in Loop: Header=BB328_12 Depth=1
	v_bfrev_b32_e32 v84, 1
	s_mov_b32 s44, exec_lo
	v_cmpx_ne_u16_e32 0x80, v28
	s_cbranch_execz .LBB328_296
; %bb.291:                              ;   in Loop: Header=BB328_12 Depth=1
	v_bfe_u32 v87, v85, 16, 7
	v_mov_b32_e32 v84, 0x7f800001
	s_mov_b32 s45, exec_lo
	s_delay_alu instid0(VALU_DEP_2)
	v_cmpx_ne_u32_e32 0x7f, v87
	s_cbranch_execz .LBB328_295
; %bb.292:                              ;   in Loop: Header=BB328_12 Depth=1
	v_dual_lshrrev_b32 v84, 3, v87 :: v_dual_bitop2_b32 v28, 7, v86 bitop3:0x40
	s_mov_b32 s46, exec_lo
	v_cmpx_gt_u32_e32 8, v87
; %bb.293:                              ;   in Loop: Header=BB328_12 Depth=1
	s_delay_alu instid0(VALU_DEP_2) | instskip(NEXT) | instid1(VALU_DEP_1)
	v_clz_i32_u32_e32 v84, v28
	v_min_u32_e32 v84, 32, v84
	s_delay_alu instid0(VALU_DEP_1) | instskip(SKIP_1) | instid1(VALU_DEP_2)
	v_subrev_nc_u32_e32 v87, 28, v84
	v_sub_nc_u32_e32 v84, 29, v84
	v_lshlrev_b64_e32 v[88:89], v87, v[28:29]
	s_delay_alu instid0(VALU_DEP_1)
	v_and_b32_e32 v28, 7, v88
; %bb.294:                              ;   in Loop: Header=BB328_12 Depth=1
	s_or_b32 exec_lo, exec_lo, s46
	s_delay_alu instid0(VALU_DEP_1) | instskip(SKIP_1) | instid1(VALU_DEP_2)
	v_dual_lshlrev_b32 v86, 24, v86 :: v_dual_lshlrev_b32 v28, 20, v28
	v_lshl_add_u32 v84, v84, 23, 0x3c000000
	v_and_b32_e32 v86, 0x80000000, v86
	s_delay_alu instid0(VALU_DEP_1)
	v_or3_b32 v84, v28, v86, v84
.LBB328_295:                            ;   in Loop: Header=BB328_12 Depth=1
	s_or_b32 exec_lo, exec_lo, s45
.LBB328_296:                            ;   in Loop: Header=BB328_12 Depth=1
	s_delay_alu instid0(SALU_CYCLE_1)
	s_or_b32 exec_lo, exec_lo, s44
.LBB328_297:                            ;   in Loop: Header=BB328_12 Depth=1
	s_delay_alu instid0(SALU_CYCLE_1) | instskip(NEXT) | instid1(SALU_CYCLE_1)
	s_or_b32 exec_lo, exec_lo, s43
	s_mov_b32 s43, exec_lo
	v_cmpx_lt_u32_e32 0xffffff, v85
	s_cbranch_execz .LBB328_305
; %bb.298:                              ;   in Loop: Header=BB328_12 Depth=1
	v_lshrrev_b32_e32 v86, 24, v85
	v_bfrev_b32_e32 v83, 1
	s_mov_b32 s44, exec_lo
	s_delay_alu instid0(VALU_DEP_2)
	v_cmpx_ne_u32_e32 0x80, v86
	s_cbranch_execz .LBB328_304
; %bb.299:                              ;   in Loop: Header=BB328_12 Depth=1
	v_bfe_u32 v85, v85, 24, 7
	v_mov_b32_e32 v83, 0x7f800001
	s_mov_b32 s45, exec_lo
	s_delay_alu instid0(VALU_DEP_2)
	v_cmpx_ne_u32_e32 0x7f, v85
	s_cbranch_execz .LBB328_303
; %bb.300:                              ;   in Loop: Header=BB328_12 Depth=1
	v_dual_lshrrev_b32 v83, 3, v85 :: v_dual_bitop2_b32 v28, 7, v86 bitop3:0x40
	s_mov_b32 s46, exec_lo
	v_cmpx_gt_u32_e32 8, v85
; %bb.301:                              ;   in Loop: Header=BB328_12 Depth=1
	s_delay_alu instid0(VALU_DEP_2) | instskip(NEXT) | instid1(VALU_DEP_1)
	v_clz_i32_u32_e32 v83, v28
	v_min_u32_e32 v83, 32, v83
	s_delay_alu instid0(VALU_DEP_1) | instskip(NEXT) | instid1(VALU_DEP_1)
	v_subrev_nc_u32_e32 v85, 28, v83
	v_lshlrev_b64_e32 v[88:89], v85, v[28:29]
	s_delay_alu instid0(VALU_DEP_1)
	v_dual_sub_nc_u32 v83, 29, v83 :: v_dual_bitop2_b32 v28, 7, v88 bitop3:0x40
; %bb.302:                              ;   in Loop: Header=BB328_12 Depth=1
	s_or_b32 exec_lo, exec_lo, s46
	s_delay_alu instid0(VALU_DEP_1) | instskip(NEXT) | instid1(VALU_DEP_2)
	v_dual_lshlrev_b32 v85, 24, v86 :: v_dual_lshlrev_b32 v28, 20, v28
	v_lshl_add_u32 v83, v83, 23, 0x3c000000
	s_delay_alu instid0(VALU_DEP_2) | instskip(NEXT) | instid1(VALU_DEP_1)
	v_and_b32_e32 v85, 0x80000000, v85
	v_or3_b32 v83, v28, v85, v83
.LBB328_303:                            ;   in Loop: Header=BB328_12 Depth=1
	s_or_b32 exec_lo, exec_lo, s45
.LBB328_304:                            ;   in Loop: Header=BB328_12 Depth=1
	s_delay_alu instid0(SALU_CYCLE_1)
	s_or_b32 exec_lo, exec_lo, s44
.LBB328_305:                            ;   in Loop: Header=BB328_12 Depth=1
	s_delay_alu instid0(SALU_CYCLE_1)
	s_or_b32 exec_lo, exec_lo, s43
	global_load_b32 v89, v[36:37], off offset:1032
	v_dual_mov_b32 v86, 0 :: v_dual_mov_b32 v85, 0
	s_mov_b32 s43, exec_lo
	s_wait_loadcnt 0x0
	v_and_b32_e32 v28, 0xff, v89
	s_delay_alu instid0(VALU_DEP_1)
	v_cmpx_ne_u16_e32 0, v28
	s_cbranch_execz .LBB328_313
; %bb.306:                              ;   in Loop: Header=BB328_12 Depth=1
	v_bfrev_b32_e32 v85, 1
	s_mov_b32 s44, exec_lo
	v_cmpx_ne_u16_e32 0x80, v28
	s_cbranch_execz .LBB328_312
; %bb.307:                              ;   in Loop: Header=BB328_12 Depth=1
	v_and_b32_e32 v87, 0x7f, v89
	v_mov_b32_e32 v85, 0x7f800001
	s_mov_b32 s45, exec_lo
	s_delay_alu instid0(VALU_DEP_2)
	v_cmpx_ne_u32_e32 0x7f, v87
	s_cbranch_execz .LBB328_311
; %bb.308:                              ;   in Loop: Header=BB328_12 Depth=1
	v_dual_lshrrev_b32 v85, 3, v87 :: v_dual_bitop2_b32 v28, 7, v89 bitop3:0x40
	s_mov_b32 s46, exec_lo
	v_cmpx_gt_u32_e32 8, v87
; %bb.309:                              ;   in Loop: Header=BB328_12 Depth=1
	s_delay_alu instid0(VALU_DEP_2) | instskip(NEXT) | instid1(VALU_DEP_1)
	v_clz_i32_u32_e32 v85, v28
	v_min_u32_e32 v85, 32, v85
	s_delay_alu instid0(VALU_DEP_1) | instskip(NEXT) | instid1(VALU_DEP_1)
	v_subrev_nc_u32_e32 v87, 28, v85
	v_lshlrev_b64_e32 v[90:91], v87, v[28:29]
	s_delay_alu instid0(VALU_DEP_1)
	v_dual_sub_nc_u32 v85, 29, v85 :: v_dual_bitop2_b32 v28, 7, v90 bitop3:0x40
; %bb.310:                              ;   in Loop: Header=BB328_12 Depth=1
	s_or_b32 exec_lo, exec_lo, s46
	s_delay_alu instid0(VALU_DEP_1) | instskip(NEXT) | instid1(VALU_DEP_2)
	v_dual_lshlrev_b32 v87, 24, v89 :: v_dual_lshlrev_b32 v28, 20, v28
	v_lshl_add_u32 v85, v85, 23, 0x3c000000
	s_delay_alu instid0(VALU_DEP_2) | instskip(NEXT) | instid1(VALU_DEP_1)
	v_and_b32_e32 v87, 0x80000000, v87
	v_or3_b32 v85, v28, v87, v85
.LBB328_311:                            ;   in Loop: Header=BB328_12 Depth=1
	s_or_b32 exec_lo, exec_lo, s45
.LBB328_312:                            ;   in Loop: Header=BB328_12 Depth=1
	s_delay_alu instid0(SALU_CYCLE_1)
	s_or_b32 exec_lo, exec_lo, s44
.LBB328_313:                            ;   in Loop: Header=BB328_12 Depth=1
	s_delay_alu instid0(SALU_CYCLE_1) | instskip(SKIP_2) | instid1(VALU_DEP_1)
	s_or_b32 exec_lo, exec_lo, s43
	v_lshrrev_b16 v28, 8, v89
	s_mov_b32 s43, exec_lo
	v_cmpx_ne_u16_e32 0, v28
	s_cbranch_execz .LBB328_321
; %bb.314:                              ;   in Loop: Header=BB328_12 Depth=1
	v_bfrev_b32_e32 v86, 1
	s_mov_b32 s44, exec_lo
	v_cmpx_ne_u16_e32 0x80, v28
	s_cbranch_execz .LBB328_320
; %bb.315:                              ;   in Loop: Header=BB328_12 Depth=1
	v_and_b32_e32 v28, 0xffff, v28
	v_mov_b32_e32 v86, 0x7f800001
	s_mov_b32 s45, exec_lo
	s_delay_alu instid0(VALU_DEP_2) | instskip(NEXT) | instid1(VALU_DEP_1)
	v_and_b32_e32 v87, 0x7f, v28
	v_cmpx_ne_u32_e32 0x7f, v87
	s_cbranch_execz .LBB328_319
; %bb.316:                              ;   in Loop: Header=BB328_12 Depth=1
	v_dual_lshrrev_b32 v86, 3, v87 :: v_dual_bitop2_b32 v28, 7, v28 bitop3:0x40
	s_mov_b32 s46, exec_lo
	v_cmpx_gt_u32_e32 8, v87
; %bb.317:                              ;   in Loop: Header=BB328_12 Depth=1
	s_delay_alu instid0(VALU_DEP_2) | instskip(NEXT) | instid1(VALU_DEP_1)
	v_clz_i32_u32_e32 v86, v28
	v_min_u32_e32 v86, 32, v86
	s_delay_alu instid0(VALU_DEP_1) | instskip(SKIP_1) | instid1(VALU_DEP_2)
	v_subrev_nc_u32_e32 v87, 28, v86
	v_sub_nc_u32_e32 v86, 29, v86
	v_lshlrev_b64_e32 v[90:91], v87, v[28:29]
	s_delay_alu instid0(VALU_DEP_1)
	v_and_b32_e32 v28, 7, v90
; %bb.318:                              ;   in Loop: Header=BB328_12 Depth=1
	s_or_b32 exec_lo, exec_lo, s46
	s_delay_alu instid0(VALU_DEP_1) | instskip(SKIP_1) | instid1(VALU_DEP_2)
	v_dual_lshlrev_b32 v87, 16, v89 :: v_dual_lshlrev_b32 v28, 20, v28
	v_lshl_add_u32 v86, v86, 23, 0x3c000000
	v_and_b32_e32 v87, 0x80000000, v87
	s_delay_alu instid0(VALU_DEP_1)
	v_or3_b32 v86, v28, v87, v86
.LBB328_319:                            ;   in Loop: Header=BB328_12 Depth=1
	s_or_b32 exec_lo, exec_lo, s45
.LBB328_320:                            ;   in Loop: Header=BB328_12 Depth=1
	s_delay_alu instid0(SALU_CYCLE_1)
	s_or_b32 exec_lo, exec_lo, s44
.LBB328_321:                            ;   in Loop: Header=BB328_12 Depth=1
	s_delay_alu instid0(SALU_CYCLE_1) | instskip(SKIP_3) | instid1(VALU_DEP_2)
	s_or_b32 exec_lo, exec_lo, s43
	v_dual_mov_b32 v87, 0 :: v_dual_lshrrev_b32 v90, 16, v89
	v_mov_b32_e32 v88, 0
	s_mov_b32 s43, exec_lo
	v_and_b32_e32 v28, 0xff, v90
	s_delay_alu instid0(VALU_DEP_1)
	v_cmpx_ne_u16_e32 0, v28
	s_cbranch_execz .LBB328_329
; %bb.322:                              ;   in Loop: Header=BB328_12 Depth=1
	v_bfrev_b32_e32 v88, 1
	s_mov_b32 s44, exec_lo
	v_cmpx_ne_u16_e32 0x80, v28
	s_cbranch_execz .LBB328_328
; %bb.323:                              ;   in Loop: Header=BB328_12 Depth=1
	v_bfe_u32 v91, v89, 16, 7
	v_mov_b32_e32 v88, 0x7f800001
	s_mov_b32 s45, exec_lo
	s_delay_alu instid0(VALU_DEP_2)
	v_cmpx_ne_u32_e32 0x7f, v91
	s_cbranch_execz .LBB328_327
; %bb.324:                              ;   in Loop: Header=BB328_12 Depth=1
	v_dual_lshrrev_b32 v88, 3, v91 :: v_dual_bitop2_b32 v28, 7, v90 bitop3:0x40
	s_mov_b32 s46, exec_lo
	v_cmpx_gt_u32_e32 8, v91
; %bb.325:                              ;   in Loop: Header=BB328_12 Depth=1
	s_delay_alu instid0(VALU_DEP_2) | instskip(NEXT) | instid1(VALU_DEP_1)
	v_clz_i32_u32_e32 v88, v28
	v_min_u32_e32 v88, 32, v88
	s_delay_alu instid0(VALU_DEP_1) | instskip(SKIP_1) | instid1(VALU_DEP_2)
	v_subrev_nc_u32_e32 v91, 28, v88
	v_sub_nc_u32_e32 v88, 29, v88
	v_lshlrev_b64_e32 v[92:93], v91, v[28:29]
	s_delay_alu instid0(VALU_DEP_1)
	v_and_b32_e32 v28, 7, v92
; %bb.326:                              ;   in Loop: Header=BB328_12 Depth=1
	s_or_b32 exec_lo, exec_lo, s46
	s_delay_alu instid0(VALU_DEP_1) | instskip(SKIP_1) | instid1(VALU_DEP_2)
	v_dual_lshlrev_b32 v90, 24, v90 :: v_dual_lshlrev_b32 v28, 20, v28
	v_lshl_add_u32 v88, v88, 23, 0x3c000000
	v_and_b32_e32 v90, 0x80000000, v90
	s_delay_alu instid0(VALU_DEP_1)
	v_or3_b32 v88, v28, v90, v88
.LBB328_327:                            ;   in Loop: Header=BB328_12 Depth=1
	s_or_b32 exec_lo, exec_lo, s45
.LBB328_328:                            ;   in Loop: Header=BB328_12 Depth=1
	s_delay_alu instid0(SALU_CYCLE_1)
	s_or_b32 exec_lo, exec_lo, s44
.LBB328_329:                            ;   in Loop: Header=BB328_12 Depth=1
	s_delay_alu instid0(SALU_CYCLE_1) | instskip(NEXT) | instid1(SALU_CYCLE_1)
	s_or_b32 exec_lo, exec_lo, s43
	s_mov_b32 s43, exec_lo
	v_cmpx_lt_u32_e32 0xffffff, v89
	s_cbranch_execz .LBB328_337
; %bb.330:                              ;   in Loop: Header=BB328_12 Depth=1
	v_lshrrev_b32_e32 v90, 24, v89
	v_bfrev_b32_e32 v87, 1
	s_mov_b32 s44, exec_lo
	s_delay_alu instid0(VALU_DEP_2)
	v_cmpx_ne_u32_e32 0x80, v90
	s_cbranch_execz .LBB328_336
; %bb.331:                              ;   in Loop: Header=BB328_12 Depth=1
	v_bfe_u32 v89, v89, 24, 7
	v_mov_b32_e32 v87, 0x7f800001
	s_mov_b32 s45, exec_lo
	s_delay_alu instid0(VALU_DEP_2)
	v_cmpx_ne_u32_e32 0x7f, v89
	s_cbranch_execz .LBB328_335
; %bb.332:                              ;   in Loop: Header=BB328_12 Depth=1
	v_dual_lshrrev_b32 v87, 3, v89 :: v_dual_bitop2_b32 v28, 7, v90 bitop3:0x40
	s_mov_b32 s46, exec_lo
	v_cmpx_gt_u32_e32 8, v89
; %bb.333:                              ;   in Loop: Header=BB328_12 Depth=1
	s_delay_alu instid0(VALU_DEP_2) | instskip(NEXT) | instid1(VALU_DEP_1)
	v_clz_i32_u32_e32 v87, v28
	v_min_u32_e32 v87, 32, v87
	s_delay_alu instid0(VALU_DEP_1) | instskip(NEXT) | instid1(VALU_DEP_1)
	v_subrev_nc_u32_e32 v89, 28, v87
	v_lshlrev_b64_e32 v[92:93], v89, v[28:29]
	s_delay_alu instid0(VALU_DEP_1)
	v_dual_sub_nc_u32 v87, 29, v87 :: v_dual_bitop2_b32 v28, 7, v92 bitop3:0x40
; %bb.334:                              ;   in Loop: Header=BB328_12 Depth=1
	s_or_b32 exec_lo, exec_lo, s46
	s_delay_alu instid0(VALU_DEP_1) | instskip(NEXT) | instid1(VALU_DEP_2)
	v_dual_lshlrev_b32 v89, 24, v90 :: v_dual_lshlrev_b32 v28, 20, v28
	v_lshl_add_u32 v87, v87, 23, 0x3c000000
	s_delay_alu instid0(VALU_DEP_2) | instskip(NEXT) | instid1(VALU_DEP_1)
	v_and_b32_e32 v89, 0x80000000, v89
	v_or3_b32 v87, v28, v89, v87
.LBB328_335:                            ;   in Loop: Header=BB328_12 Depth=1
	s_or_b32 exec_lo, exec_lo, s45
.LBB328_336:                            ;   in Loop: Header=BB328_12 Depth=1
	s_delay_alu instid0(SALU_CYCLE_1)
	s_or_b32 exec_lo, exec_lo, s44
.LBB328_337:                            ;   in Loop: Header=BB328_12 Depth=1
	s_delay_alu instid0(SALU_CYCLE_1)
	s_or_b32 exec_lo, exec_lo, s43
	global_load_b32 v93, v[36:37], off offset:1280
	v_dual_mov_b32 v90, 0 :: v_dual_mov_b32 v89, 0
	s_mov_b32 s43, exec_lo
	s_wait_loadcnt 0x0
	v_and_b32_e32 v28, 0xff, v93
	s_delay_alu instid0(VALU_DEP_1)
	v_cmpx_ne_u16_e32 0, v28
	s_cbranch_execz .LBB328_345
; %bb.338:                              ;   in Loop: Header=BB328_12 Depth=1
	v_bfrev_b32_e32 v89, 1
	s_mov_b32 s44, exec_lo
	v_cmpx_ne_u16_e32 0x80, v28
	s_cbranch_execz .LBB328_344
; %bb.339:                              ;   in Loop: Header=BB328_12 Depth=1
	v_and_b32_e32 v91, 0x7f, v93
	v_mov_b32_e32 v89, 0x7f800001
	s_mov_b32 s45, exec_lo
	s_delay_alu instid0(VALU_DEP_2)
	v_cmpx_ne_u32_e32 0x7f, v91
	s_cbranch_execz .LBB328_343
; %bb.340:                              ;   in Loop: Header=BB328_12 Depth=1
	v_dual_lshrrev_b32 v89, 3, v91 :: v_dual_bitop2_b32 v28, 7, v93 bitop3:0x40
	s_mov_b32 s46, exec_lo
	v_cmpx_gt_u32_e32 8, v91
; %bb.341:                              ;   in Loop: Header=BB328_12 Depth=1
	s_delay_alu instid0(VALU_DEP_2) | instskip(NEXT) | instid1(VALU_DEP_1)
	v_clz_i32_u32_e32 v89, v28
	v_min_u32_e32 v89, 32, v89
	s_delay_alu instid0(VALU_DEP_1) | instskip(NEXT) | instid1(VALU_DEP_1)
	v_subrev_nc_u32_e32 v91, 28, v89
	v_lshlrev_b64_e32 v[94:95], v91, v[28:29]
	s_delay_alu instid0(VALU_DEP_1)
	v_dual_sub_nc_u32 v89, 29, v89 :: v_dual_bitop2_b32 v28, 7, v94 bitop3:0x40
; %bb.342:                              ;   in Loop: Header=BB328_12 Depth=1
	s_or_b32 exec_lo, exec_lo, s46
	s_delay_alu instid0(VALU_DEP_1) | instskip(NEXT) | instid1(VALU_DEP_2)
	v_dual_lshlrev_b32 v91, 24, v93 :: v_dual_lshlrev_b32 v28, 20, v28
	v_lshl_add_u32 v89, v89, 23, 0x3c000000
	s_delay_alu instid0(VALU_DEP_2) | instskip(NEXT) | instid1(VALU_DEP_1)
	v_and_b32_e32 v91, 0x80000000, v91
	v_or3_b32 v89, v28, v91, v89
.LBB328_343:                            ;   in Loop: Header=BB328_12 Depth=1
	s_or_b32 exec_lo, exec_lo, s45
.LBB328_344:                            ;   in Loop: Header=BB328_12 Depth=1
	s_delay_alu instid0(SALU_CYCLE_1)
	s_or_b32 exec_lo, exec_lo, s44
.LBB328_345:                            ;   in Loop: Header=BB328_12 Depth=1
	s_delay_alu instid0(SALU_CYCLE_1) | instskip(SKIP_2) | instid1(VALU_DEP_1)
	s_or_b32 exec_lo, exec_lo, s43
	v_lshrrev_b16 v28, 8, v93
	s_mov_b32 s43, exec_lo
	v_cmpx_ne_u16_e32 0, v28
	s_cbranch_execz .LBB328_353
; %bb.346:                              ;   in Loop: Header=BB328_12 Depth=1
	v_bfrev_b32_e32 v90, 1
	s_mov_b32 s44, exec_lo
	v_cmpx_ne_u16_e32 0x80, v28
	s_cbranch_execz .LBB328_352
; %bb.347:                              ;   in Loop: Header=BB328_12 Depth=1
	v_and_b32_e32 v28, 0xffff, v28
	v_mov_b32_e32 v90, 0x7f800001
	s_mov_b32 s45, exec_lo
	s_delay_alu instid0(VALU_DEP_2) | instskip(NEXT) | instid1(VALU_DEP_1)
	v_and_b32_e32 v91, 0x7f, v28
	v_cmpx_ne_u32_e32 0x7f, v91
	s_cbranch_execz .LBB328_351
; %bb.348:                              ;   in Loop: Header=BB328_12 Depth=1
	v_dual_lshrrev_b32 v90, 3, v91 :: v_dual_bitop2_b32 v28, 7, v28 bitop3:0x40
	s_mov_b32 s46, exec_lo
	v_cmpx_gt_u32_e32 8, v91
; %bb.349:                              ;   in Loop: Header=BB328_12 Depth=1
	s_delay_alu instid0(VALU_DEP_2) | instskip(NEXT) | instid1(VALU_DEP_1)
	v_clz_i32_u32_e32 v90, v28
	v_min_u32_e32 v90, 32, v90
	s_delay_alu instid0(VALU_DEP_1) | instskip(SKIP_1) | instid1(VALU_DEP_2)
	v_subrev_nc_u32_e32 v91, 28, v90
	v_sub_nc_u32_e32 v90, 29, v90
	v_lshlrev_b64_e32 v[94:95], v91, v[28:29]
	s_delay_alu instid0(VALU_DEP_1)
	v_and_b32_e32 v28, 7, v94
; %bb.350:                              ;   in Loop: Header=BB328_12 Depth=1
	s_or_b32 exec_lo, exec_lo, s46
	s_delay_alu instid0(VALU_DEP_1) | instskip(SKIP_1) | instid1(VALU_DEP_2)
	v_dual_lshlrev_b32 v91, 16, v93 :: v_dual_lshlrev_b32 v28, 20, v28
	v_lshl_add_u32 v90, v90, 23, 0x3c000000
	v_and_b32_e32 v91, 0x80000000, v91
	s_delay_alu instid0(VALU_DEP_1)
	v_or3_b32 v90, v28, v91, v90
.LBB328_351:                            ;   in Loop: Header=BB328_12 Depth=1
	s_or_b32 exec_lo, exec_lo, s45
.LBB328_352:                            ;   in Loop: Header=BB328_12 Depth=1
	s_delay_alu instid0(SALU_CYCLE_1)
	s_or_b32 exec_lo, exec_lo, s44
.LBB328_353:                            ;   in Loop: Header=BB328_12 Depth=1
	s_delay_alu instid0(SALU_CYCLE_1) | instskip(SKIP_3) | instid1(VALU_DEP_2)
	s_or_b32 exec_lo, exec_lo, s43
	v_dual_mov_b32 v91, 0 :: v_dual_lshrrev_b32 v94, 16, v93
	v_mov_b32_e32 v92, 0
	s_mov_b32 s43, exec_lo
	v_and_b32_e32 v28, 0xff, v94
	s_delay_alu instid0(VALU_DEP_1)
	v_cmpx_ne_u16_e32 0, v28
	s_cbranch_execz .LBB328_361
; %bb.354:                              ;   in Loop: Header=BB328_12 Depth=1
	v_bfrev_b32_e32 v92, 1
	s_mov_b32 s44, exec_lo
	v_cmpx_ne_u16_e32 0x80, v28
	s_cbranch_execz .LBB328_360
; %bb.355:                              ;   in Loop: Header=BB328_12 Depth=1
	v_bfe_u32 v95, v93, 16, 7
	v_mov_b32_e32 v92, 0x7f800001
	s_mov_b32 s45, exec_lo
	s_delay_alu instid0(VALU_DEP_2)
	v_cmpx_ne_u32_e32 0x7f, v95
	s_cbranch_execz .LBB328_359
; %bb.356:                              ;   in Loop: Header=BB328_12 Depth=1
	v_dual_lshrrev_b32 v92, 3, v95 :: v_dual_bitop2_b32 v28, 7, v94 bitop3:0x40
	s_mov_b32 s46, exec_lo
	v_cmpx_gt_u32_e32 8, v95
; %bb.357:                              ;   in Loop: Header=BB328_12 Depth=1
	s_delay_alu instid0(VALU_DEP_2) | instskip(NEXT) | instid1(VALU_DEP_1)
	v_clz_i32_u32_e32 v92, v28
	v_min_u32_e32 v92, 32, v92
	s_delay_alu instid0(VALU_DEP_1) | instskip(SKIP_1) | instid1(VALU_DEP_2)
	v_subrev_nc_u32_e32 v95, 28, v92
	v_sub_nc_u32_e32 v92, 29, v92
	v_lshlrev_b64_e32 v[96:97], v95, v[28:29]
	s_delay_alu instid0(VALU_DEP_1)
	v_and_b32_e32 v28, 7, v96
; %bb.358:                              ;   in Loop: Header=BB328_12 Depth=1
	s_or_b32 exec_lo, exec_lo, s46
	s_delay_alu instid0(VALU_DEP_1) | instskip(SKIP_1) | instid1(VALU_DEP_2)
	v_dual_lshlrev_b32 v94, 24, v94 :: v_dual_lshlrev_b32 v28, 20, v28
	v_lshl_add_u32 v92, v92, 23, 0x3c000000
	v_and_b32_e32 v94, 0x80000000, v94
	s_delay_alu instid0(VALU_DEP_1)
	v_or3_b32 v92, v28, v94, v92
.LBB328_359:                            ;   in Loop: Header=BB328_12 Depth=1
	s_or_b32 exec_lo, exec_lo, s45
.LBB328_360:                            ;   in Loop: Header=BB328_12 Depth=1
	s_delay_alu instid0(SALU_CYCLE_1)
	s_or_b32 exec_lo, exec_lo, s44
.LBB328_361:                            ;   in Loop: Header=BB328_12 Depth=1
	s_delay_alu instid0(SALU_CYCLE_1) | instskip(NEXT) | instid1(SALU_CYCLE_1)
	s_or_b32 exec_lo, exec_lo, s43
	s_mov_b32 s43, exec_lo
	v_cmpx_lt_u32_e32 0xffffff, v93
	s_cbranch_execz .LBB328_369
; %bb.362:                              ;   in Loop: Header=BB328_12 Depth=1
	v_lshrrev_b32_e32 v94, 24, v93
	v_bfrev_b32_e32 v91, 1
	s_mov_b32 s44, exec_lo
	s_delay_alu instid0(VALU_DEP_2)
	v_cmpx_ne_u32_e32 0x80, v94
	s_cbranch_execz .LBB328_368
; %bb.363:                              ;   in Loop: Header=BB328_12 Depth=1
	v_bfe_u32 v93, v93, 24, 7
	v_mov_b32_e32 v91, 0x7f800001
	s_mov_b32 s45, exec_lo
	s_delay_alu instid0(VALU_DEP_2)
	v_cmpx_ne_u32_e32 0x7f, v93
	s_cbranch_execz .LBB328_367
; %bb.364:                              ;   in Loop: Header=BB328_12 Depth=1
	v_dual_lshrrev_b32 v91, 3, v93 :: v_dual_bitop2_b32 v28, 7, v94 bitop3:0x40
	s_mov_b32 s46, exec_lo
	v_cmpx_gt_u32_e32 8, v93
; %bb.365:                              ;   in Loop: Header=BB328_12 Depth=1
	s_delay_alu instid0(VALU_DEP_2) | instskip(NEXT) | instid1(VALU_DEP_1)
	v_clz_i32_u32_e32 v91, v28
	v_min_u32_e32 v91, 32, v91
	s_delay_alu instid0(VALU_DEP_1) | instskip(NEXT) | instid1(VALU_DEP_1)
	v_subrev_nc_u32_e32 v93, 28, v91
	v_lshlrev_b64_e32 v[96:97], v93, v[28:29]
	s_delay_alu instid0(VALU_DEP_1)
	v_dual_sub_nc_u32 v91, 29, v91 :: v_dual_bitop2_b32 v28, 7, v96 bitop3:0x40
; %bb.366:                              ;   in Loop: Header=BB328_12 Depth=1
	s_or_b32 exec_lo, exec_lo, s46
	s_delay_alu instid0(VALU_DEP_1) | instskip(NEXT) | instid1(VALU_DEP_2)
	v_dual_lshlrev_b32 v93, 24, v94 :: v_dual_lshlrev_b32 v28, 20, v28
	v_lshl_add_u32 v91, v91, 23, 0x3c000000
	s_delay_alu instid0(VALU_DEP_2) | instskip(NEXT) | instid1(VALU_DEP_1)
	v_and_b32_e32 v93, 0x80000000, v93
	v_or3_b32 v91, v28, v93, v91
.LBB328_367:                            ;   in Loop: Header=BB328_12 Depth=1
	s_or_b32 exec_lo, exec_lo, s45
.LBB328_368:                            ;   in Loop: Header=BB328_12 Depth=1
	s_delay_alu instid0(SALU_CYCLE_1)
	s_or_b32 exec_lo, exec_lo, s44
.LBB328_369:                            ;   in Loop: Header=BB328_12 Depth=1
	s_delay_alu instid0(SALU_CYCLE_1)
	s_or_b32 exec_lo, exec_lo, s43
	global_load_b32 v97, v[36:37], off offset:1288
	v_dual_mov_b32 v94, 0 :: v_dual_mov_b32 v93, 0
	s_mov_b32 s43, exec_lo
	s_wait_loadcnt 0x0
	v_and_b32_e32 v28, 0xff, v97
	s_delay_alu instid0(VALU_DEP_1)
	v_cmpx_ne_u16_e32 0, v28
	s_cbranch_execz .LBB328_377
; %bb.370:                              ;   in Loop: Header=BB328_12 Depth=1
	v_bfrev_b32_e32 v93, 1
	s_mov_b32 s44, exec_lo
	v_cmpx_ne_u16_e32 0x80, v28
	s_cbranch_execz .LBB328_376
; %bb.371:                              ;   in Loop: Header=BB328_12 Depth=1
	v_and_b32_e32 v95, 0x7f, v97
	v_mov_b32_e32 v93, 0x7f800001
	s_mov_b32 s45, exec_lo
	s_delay_alu instid0(VALU_DEP_2)
	v_cmpx_ne_u32_e32 0x7f, v95
	s_cbranch_execz .LBB328_375
; %bb.372:                              ;   in Loop: Header=BB328_12 Depth=1
	v_dual_lshrrev_b32 v93, 3, v95 :: v_dual_bitop2_b32 v28, 7, v97 bitop3:0x40
	s_mov_b32 s46, exec_lo
	v_cmpx_gt_u32_e32 8, v95
; %bb.373:                              ;   in Loop: Header=BB328_12 Depth=1
	s_delay_alu instid0(VALU_DEP_2) | instskip(NEXT) | instid1(VALU_DEP_1)
	v_clz_i32_u32_e32 v93, v28
	v_min_u32_e32 v93, 32, v93
	s_delay_alu instid0(VALU_DEP_1) | instskip(NEXT) | instid1(VALU_DEP_1)
	v_subrev_nc_u32_e32 v95, 28, v93
	v_lshlrev_b64_e32 v[98:99], v95, v[28:29]
	s_delay_alu instid0(VALU_DEP_1)
	v_dual_sub_nc_u32 v93, 29, v93 :: v_dual_bitop2_b32 v28, 7, v98 bitop3:0x40
; %bb.374:                              ;   in Loop: Header=BB328_12 Depth=1
	s_or_b32 exec_lo, exec_lo, s46
	s_delay_alu instid0(VALU_DEP_1) | instskip(NEXT) | instid1(VALU_DEP_2)
	v_dual_lshlrev_b32 v95, 24, v97 :: v_dual_lshlrev_b32 v28, 20, v28
	v_lshl_add_u32 v93, v93, 23, 0x3c000000
	s_delay_alu instid0(VALU_DEP_2) | instskip(NEXT) | instid1(VALU_DEP_1)
	v_and_b32_e32 v95, 0x80000000, v95
	v_or3_b32 v93, v28, v95, v93
.LBB328_375:                            ;   in Loop: Header=BB328_12 Depth=1
	s_or_b32 exec_lo, exec_lo, s45
.LBB328_376:                            ;   in Loop: Header=BB328_12 Depth=1
	s_delay_alu instid0(SALU_CYCLE_1)
	s_or_b32 exec_lo, exec_lo, s44
.LBB328_377:                            ;   in Loop: Header=BB328_12 Depth=1
	s_delay_alu instid0(SALU_CYCLE_1) | instskip(SKIP_2) | instid1(VALU_DEP_1)
	s_or_b32 exec_lo, exec_lo, s43
	v_lshrrev_b16 v28, 8, v97
	s_mov_b32 s43, exec_lo
	v_cmpx_ne_u16_e32 0, v28
	s_cbranch_execz .LBB328_385
; %bb.378:                              ;   in Loop: Header=BB328_12 Depth=1
	v_bfrev_b32_e32 v94, 1
	s_mov_b32 s44, exec_lo
	v_cmpx_ne_u16_e32 0x80, v28
	s_cbranch_execz .LBB328_384
; %bb.379:                              ;   in Loop: Header=BB328_12 Depth=1
	v_and_b32_e32 v28, 0xffff, v28
	v_mov_b32_e32 v94, 0x7f800001
	s_mov_b32 s45, exec_lo
	s_delay_alu instid0(VALU_DEP_2) | instskip(NEXT) | instid1(VALU_DEP_1)
	v_and_b32_e32 v95, 0x7f, v28
	v_cmpx_ne_u32_e32 0x7f, v95
	s_cbranch_execz .LBB328_383
; %bb.380:                              ;   in Loop: Header=BB328_12 Depth=1
	v_dual_lshrrev_b32 v94, 3, v95 :: v_dual_bitop2_b32 v28, 7, v28 bitop3:0x40
	s_mov_b32 s46, exec_lo
	v_cmpx_gt_u32_e32 8, v95
; %bb.381:                              ;   in Loop: Header=BB328_12 Depth=1
	s_delay_alu instid0(VALU_DEP_2) | instskip(NEXT) | instid1(VALU_DEP_1)
	v_clz_i32_u32_e32 v94, v28
	v_min_u32_e32 v94, 32, v94
	s_delay_alu instid0(VALU_DEP_1) | instskip(SKIP_1) | instid1(VALU_DEP_2)
	v_subrev_nc_u32_e32 v95, 28, v94
	v_sub_nc_u32_e32 v94, 29, v94
	v_lshlrev_b64_e32 v[98:99], v95, v[28:29]
	s_delay_alu instid0(VALU_DEP_1)
	v_and_b32_e32 v28, 7, v98
; %bb.382:                              ;   in Loop: Header=BB328_12 Depth=1
	s_or_b32 exec_lo, exec_lo, s46
	s_delay_alu instid0(VALU_DEP_1) | instskip(SKIP_1) | instid1(VALU_DEP_2)
	v_dual_lshlrev_b32 v95, 16, v97 :: v_dual_lshlrev_b32 v28, 20, v28
	v_lshl_add_u32 v94, v94, 23, 0x3c000000
	v_and_b32_e32 v95, 0x80000000, v95
	s_delay_alu instid0(VALU_DEP_1)
	v_or3_b32 v94, v28, v95, v94
.LBB328_383:                            ;   in Loop: Header=BB328_12 Depth=1
	s_or_b32 exec_lo, exec_lo, s45
.LBB328_384:                            ;   in Loop: Header=BB328_12 Depth=1
	s_delay_alu instid0(SALU_CYCLE_1)
	s_or_b32 exec_lo, exec_lo, s44
.LBB328_385:                            ;   in Loop: Header=BB328_12 Depth=1
	s_delay_alu instid0(SALU_CYCLE_1) | instskip(SKIP_3) | instid1(VALU_DEP_2)
	s_or_b32 exec_lo, exec_lo, s43
	v_dual_mov_b32 v95, 0 :: v_dual_lshrrev_b32 v98, 16, v97
	v_mov_b32_e32 v96, 0
	s_mov_b32 s43, exec_lo
	v_and_b32_e32 v28, 0xff, v98
	s_delay_alu instid0(VALU_DEP_1)
	v_cmpx_ne_u16_e32 0, v28
	s_cbranch_execz .LBB328_393
; %bb.386:                              ;   in Loop: Header=BB328_12 Depth=1
	v_bfrev_b32_e32 v96, 1
	s_mov_b32 s44, exec_lo
	v_cmpx_ne_u16_e32 0x80, v28
	s_cbranch_execz .LBB328_392
; %bb.387:                              ;   in Loop: Header=BB328_12 Depth=1
	v_bfe_u32 v99, v97, 16, 7
	v_mov_b32_e32 v96, 0x7f800001
	s_mov_b32 s45, exec_lo
	s_delay_alu instid0(VALU_DEP_2)
	v_cmpx_ne_u32_e32 0x7f, v99
	s_cbranch_execz .LBB328_391
; %bb.388:                              ;   in Loop: Header=BB328_12 Depth=1
	v_dual_lshrrev_b32 v96, 3, v99 :: v_dual_bitop2_b32 v28, 7, v98 bitop3:0x40
	s_mov_b32 s46, exec_lo
	v_cmpx_gt_u32_e32 8, v99
; %bb.389:                              ;   in Loop: Header=BB328_12 Depth=1
	s_delay_alu instid0(VALU_DEP_2) | instskip(NEXT) | instid1(VALU_DEP_1)
	v_clz_i32_u32_e32 v96, v28
	v_min_u32_e32 v96, 32, v96
	s_delay_alu instid0(VALU_DEP_1) | instskip(SKIP_1) | instid1(VALU_DEP_2)
	v_subrev_nc_u32_e32 v99, 28, v96
	v_sub_nc_u32_e32 v96, 29, v96
	v_lshlrev_b64_e32 v[100:101], v99, v[28:29]
	s_delay_alu instid0(VALU_DEP_1)
	v_and_b32_e32 v28, 7, v100
; %bb.390:                              ;   in Loop: Header=BB328_12 Depth=1
	s_or_b32 exec_lo, exec_lo, s46
	s_delay_alu instid0(VALU_DEP_1) | instskip(SKIP_1) | instid1(VALU_DEP_2)
	v_dual_lshlrev_b32 v98, 24, v98 :: v_dual_lshlrev_b32 v28, 20, v28
	v_lshl_add_u32 v96, v96, 23, 0x3c000000
	v_and_b32_e32 v98, 0x80000000, v98
	s_delay_alu instid0(VALU_DEP_1)
	v_or3_b32 v96, v28, v98, v96
.LBB328_391:                            ;   in Loop: Header=BB328_12 Depth=1
	s_or_b32 exec_lo, exec_lo, s45
.LBB328_392:                            ;   in Loop: Header=BB328_12 Depth=1
	s_delay_alu instid0(SALU_CYCLE_1)
	s_or_b32 exec_lo, exec_lo, s44
.LBB328_393:                            ;   in Loop: Header=BB328_12 Depth=1
	s_delay_alu instid0(SALU_CYCLE_1) | instskip(NEXT) | instid1(SALU_CYCLE_1)
	s_or_b32 exec_lo, exec_lo, s43
	s_mov_b32 s43, exec_lo
	v_cmpx_lt_u32_e32 0xffffff, v97
	s_cbranch_execz .LBB328_401
; %bb.394:                              ;   in Loop: Header=BB328_12 Depth=1
	v_lshrrev_b32_e32 v98, 24, v97
	v_bfrev_b32_e32 v95, 1
	s_mov_b32 s44, exec_lo
	s_delay_alu instid0(VALU_DEP_2)
	v_cmpx_ne_u32_e32 0x80, v98
	s_cbranch_execz .LBB328_400
; %bb.395:                              ;   in Loop: Header=BB328_12 Depth=1
	v_bfe_u32 v97, v97, 24, 7
	v_mov_b32_e32 v95, 0x7f800001
	s_mov_b32 s45, exec_lo
	s_delay_alu instid0(VALU_DEP_2)
	v_cmpx_ne_u32_e32 0x7f, v97
	s_cbranch_execz .LBB328_399
; %bb.396:                              ;   in Loop: Header=BB328_12 Depth=1
	v_dual_lshrrev_b32 v95, 3, v97 :: v_dual_bitop2_b32 v28, 7, v98 bitop3:0x40
	s_mov_b32 s46, exec_lo
	v_cmpx_gt_u32_e32 8, v97
; %bb.397:                              ;   in Loop: Header=BB328_12 Depth=1
	s_delay_alu instid0(VALU_DEP_2) | instskip(NEXT) | instid1(VALU_DEP_1)
	v_clz_i32_u32_e32 v95, v28
	v_min_u32_e32 v95, 32, v95
	s_delay_alu instid0(VALU_DEP_1) | instskip(NEXT) | instid1(VALU_DEP_1)
	v_subrev_nc_u32_e32 v97, 28, v95
	v_lshlrev_b64_e32 v[100:101], v97, v[28:29]
	s_delay_alu instid0(VALU_DEP_1)
	v_dual_sub_nc_u32 v95, 29, v95 :: v_dual_bitop2_b32 v28, 7, v100 bitop3:0x40
; %bb.398:                              ;   in Loop: Header=BB328_12 Depth=1
	s_or_b32 exec_lo, exec_lo, s46
	s_delay_alu instid0(VALU_DEP_1) | instskip(NEXT) | instid1(VALU_DEP_2)
	v_dual_lshlrev_b32 v97, 24, v98 :: v_dual_lshlrev_b32 v28, 20, v28
	v_lshl_add_u32 v95, v95, 23, 0x3c000000
	s_delay_alu instid0(VALU_DEP_2) | instskip(NEXT) | instid1(VALU_DEP_1)
	v_and_b32_e32 v97, 0x80000000, v97
	v_or3_b32 v95, v28, v97, v95
.LBB328_399:                            ;   in Loop: Header=BB328_12 Depth=1
	s_or_b32 exec_lo, exec_lo, s45
.LBB328_400:                            ;   in Loop: Header=BB328_12 Depth=1
	s_delay_alu instid0(SALU_CYCLE_1)
	s_or_b32 exec_lo, exec_lo, s44
.LBB328_401:                            ;   in Loop: Header=BB328_12 Depth=1
	s_delay_alu instid0(SALU_CYCLE_1)
	s_or_b32 exec_lo, exec_lo, s43
	global_load_b32 v101, v[36:37], off offset:1536
	v_dual_mov_b32 v98, 0 :: v_dual_mov_b32 v97, 0
	s_mov_b32 s43, exec_lo
	s_wait_loadcnt 0x0
	v_and_b32_e32 v28, 0xff, v101
	s_delay_alu instid0(VALU_DEP_1)
	v_cmpx_ne_u16_e32 0, v28
	s_cbranch_execz .LBB328_409
; %bb.402:                              ;   in Loop: Header=BB328_12 Depth=1
	v_bfrev_b32_e32 v97, 1
	s_mov_b32 s44, exec_lo
	v_cmpx_ne_u16_e32 0x80, v28
	s_cbranch_execz .LBB328_408
; %bb.403:                              ;   in Loop: Header=BB328_12 Depth=1
	v_and_b32_e32 v99, 0x7f, v101
	v_mov_b32_e32 v97, 0x7f800001
	s_mov_b32 s45, exec_lo
	s_delay_alu instid0(VALU_DEP_2)
	v_cmpx_ne_u32_e32 0x7f, v99
	s_cbranch_execz .LBB328_407
; %bb.404:                              ;   in Loop: Header=BB328_12 Depth=1
	v_dual_lshrrev_b32 v97, 3, v99 :: v_dual_bitop2_b32 v28, 7, v101 bitop3:0x40
	s_mov_b32 s46, exec_lo
	v_cmpx_gt_u32_e32 8, v99
; %bb.405:                              ;   in Loop: Header=BB328_12 Depth=1
	s_delay_alu instid0(VALU_DEP_2) | instskip(NEXT) | instid1(VALU_DEP_1)
	v_clz_i32_u32_e32 v97, v28
	v_min_u32_e32 v97, 32, v97
	s_delay_alu instid0(VALU_DEP_1) | instskip(NEXT) | instid1(VALU_DEP_1)
	v_subrev_nc_u32_e32 v99, 28, v97
	v_lshlrev_b64_e32 v[102:103], v99, v[28:29]
	s_delay_alu instid0(VALU_DEP_1)
	v_dual_sub_nc_u32 v97, 29, v97 :: v_dual_bitop2_b32 v28, 7, v102 bitop3:0x40
; %bb.406:                              ;   in Loop: Header=BB328_12 Depth=1
	s_or_b32 exec_lo, exec_lo, s46
	s_delay_alu instid0(VALU_DEP_1) | instskip(NEXT) | instid1(VALU_DEP_2)
	v_dual_lshlrev_b32 v99, 24, v101 :: v_dual_lshlrev_b32 v28, 20, v28
	v_lshl_add_u32 v97, v97, 23, 0x3c000000
	s_delay_alu instid0(VALU_DEP_2) | instskip(NEXT) | instid1(VALU_DEP_1)
	v_and_b32_e32 v99, 0x80000000, v99
	v_or3_b32 v97, v28, v99, v97
.LBB328_407:                            ;   in Loop: Header=BB328_12 Depth=1
	s_or_b32 exec_lo, exec_lo, s45
.LBB328_408:                            ;   in Loop: Header=BB328_12 Depth=1
	s_delay_alu instid0(SALU_CYCLE_1)
	s_or_b32 exec_lo, exec_lo, s44
.LBB328_409:                            ;   in Loop: Header=BB328_12 Depth=1
	s_delay_alu instid0(SALU_CYCLE_1) | instskip(SKIP_2) | instid1(VALU_DEP_1)
	s_or_b32 exec_lo, exec_lo, s43
	v_lshrrev_b16 v28, 8, v101
	s_mov_b32 s43, exec_lo
	v_cmpx_ne_u16_e32 0, v28
	s_cbranch_execz .LBB328_417
; %bb.410:                              ;   in Loop: Header=BB328_12 Depth=1
	v_bfrev_b32_e32 v98, 1
	s_mov_b32 s44, exec_lo
	v_cmpx_ne_u16_e32 0x80, v28
	s_cbranch_execz .LBB328_416
; %bb.411:                              ;   in Loop: Header=BB328_12 Depth=1
	v_and_b32_e32 v28, 0xffff, v28
	v_mov_b32_e32 v98, 0x7f800001
	s_mov_b32 s45, exec_lo
	s_delay_alu instid0(VALU_DEP_2) | instskip(NEXT) | instid1(VALU_DEP_1)
	v_and_b32_e32 v99, 0x7f, v28
	v_cmpx_ne_u32_e32 0x7f, v99
	s_cbranch_execz .LBB328_415
; %bb.412:                              ;   in Loop: Header=BB328_12 Depth=1
	v_dual_lshrrev_b32 v98, 3, v99 :: v_dual_bitop2_b32 v28, 7, v28 bitop3:0x40
	s_mov_b32 s46, exec_lo
	v_cmpx_gt_u32_e32 8, v99
; %bb.413:                              ;   in Loop: Header=BB328_12 Depth=1
	s_delay_alu instid0(VALU_DEP_2) | instskip(NEXT) | instid1(VALU_DEP_1)
	v_clz_i32_u32_e32 v98, v28
	v_min_u32_e32 v98, 32, v98
	s_delay_alu instid0(VALU_DEP_1) | instskip(SKIP_1) | instid1(VALU_DEP_2)
	v_subrev_nc_u32_e32 v99, 28, v98
	v_sub_nc_u32_e32 v98, 29, v98
	v_lshlrev_b64_e32 v[102:103], v99, v[28:29]
	s_delay_alu instid0(VALU_DEP_1)
	v_and_b32_e32 v28, 7, v102
; %bb.414:                              ;   in Loop: Header=BB328_12 Depth=1
	s_or_b32 exec_lo, exec_lo, s46
	s_delay_alu instid0(VALU_DEP_1) | instskip(SKIP_1) | instid1(VALU_DEP_2)
	v_dual_lshlrev_b32 v99, 16, v101 :: v_dual_lshlrev_b32 v28, 20, v28
	v_lshl_add_u32 v98, v98, 23, 0x3c000000
	v_and_b32_e32 v99, 0x80000000, v99
	s_delay_alu instid0(VALU_DEP_1)
	v_or3_b32 v98, v28, v99, v98
.LBB328_415:                            ;   in Loop: Header=BB328_12 Depth=1
	s_or_b32 exec_lo, exec_lo, s45
.LBB328_416:                            ;   in Loop: Header=BB328_12 Depth=1
	s_delay_alu instid0(SALU_CYCLE_1)
	s_or_b32 exec_lo, exec_lo, s44
.LBB328_417:                            ;   in Loop: Header=BB328_12 Depth=1
	s_delay_alu instid0(SALU_CYCLE_1) | instskip(SKIP_3) | instid1(VALU_DEP_2)
	s_or_b32 exec_lo, exec_lo, s43
	v_dual_mov_b32 v99, 0 :: v_dual_lshrrev_b32 v102, 16, v101
	v_mov_b32_e32 v100, 0
	s_mov_b32 s43, exec_lo
	v_and_b32_e32 v28, 0xff, v102
	s_delay_alu instid0(VALU_DEP_1)
	v_cmpx_ne_u16_e32 0, v28
	s_cbranch_execz .LBB328_425
; %bb.418:                              ;   in Loop: Header=BB328_12 Depth=1
	v_bfrev_b32_e32 v100, 1
	s_mov_b32 s44, exec_lo
	v_cmpx_ne_u16_e32 0x80, v28
	s_cbranch_execz .LBB328_424
; %bb.419:                              ;   in Loop: Header=BB328_12 Depth=1
	v_bfe_u32 v103, v101, 16, 7
	v_mov_b32_e32 v100, 0x7f800001
	s_mov_b32 s45, exec_lo
	s_delay_alu instid0(VALU_DEP_2)
	v_cmpx_ne_u32_e32 0x7f, v103
	s_cbranch_execz .LBB328_423
; %bb.420:                              ;   in Loop: Header=BB328_12 Depth=1
	v_dual_lshrrev_b32 v100, 3, v103 :: v_dual_bitop2_b32 v28, 7, v102 bitop3:0x40
	s_mov_b32 s46, exec_lo
	v_cmpx_gt_u32_e32 8, v103
; %bb.421:                              ;   in Loop: Header=BB328_12 Depth=1
	s_delay_alu instid0(VALU_DEP_2) | instskip(NEXT) | instid1(VALU_DEP_1)
	v_clz_i32_u32_e32 v100, v28
	v_min_u32_e32 v100, 32, v100
	s_delay_alu instid0(VALU_DEP_1) | instskip(SKIP_1) | instid1(VALU_DEP_2)
	v_subrev_nc_u32_e32 v103, 28, v100
	v_sub_nc_u32_e32 v100, 29, v100
	v_lshlrev_b64_e32 v[104:105], v103, v[28:29]
	s_delay_alu instid0(VALU_DEP_1)
	v_and_b32_e32 v28, 7, v104
; %bb.422:                              ;   in Loop: Header=BB328_12 Depth=1
	s_or_b32 exec_lo, exec_lo, s46
	s_delay_alu instid0(VALU_DEP_1) | instskip(SKIP_1) | instid1(VALU_DEP_2)
	v_dual_lshlrev_b32 v102, 24, v102 :: v_dual_lshlrev_b32 v28, 20, v28
	v_lshl_add_u32 v100, v100, 23, 0x3c000000
	v_and_b32_e32 v102, 0x80000000, v102
	s_delay_alu instid0(VALU_DEP_1)
	v_or3_b32 v100, v28, v102, v100
.LBB328_423:                            ;   in Loop: Header=BB328_12 Depth=1
	s_or_b32 exec_lo, exec_lo, s45
.LBB328_424:                            ;   in Loop: Header=BB328_12 Depth=1
	s_delay_alu instid0(SALU_CYCLE_1)
	s_or_b32 exec_lo, exec_lo, s44
.LBB328_425:                            ;   in Loop: Header=BB328_12 Depth=1
	s_delay_alu instid0(SALU_CYCLE_1) | instskip(NEXT) | instid1(SALU_CYCLE_1)
	s_or_b32 exec_lo, exec_lo, s43
	s_mov_b32 s43, exec_lo
	v_cmpx_lt_u32_e32 0xffffff, v101
	s_cbranch_execz .LBB328_433
; %bb.426:                              ;   in Loop: Header=BB328_12 Depth=1
	v_lshrrev_b32_e32 v102, 24, v101
	v_bfrev_b32_e32 v99, 1
	s_mov_b32 s44, exec_lo
	s_delay_alu instid0(VALU_DEP_2)
	v_cmpx_ne_u32_e32 0x80, v102
	s_cbranch_execz .LBB328_432
; %bb.427:                              ;   in Loop: Header=BB328_12 Depth=1
	v_bfe_u32 v101, v101, 24, 7
	v_mov_b32_e32 v99, 0x7f800001
	s_mov_b32 s45, exec_lo
	s_delay_alu instid0(VALU_DEP_2)
	v_cmpx_ne_u32_e32 0x7f, v101
	s_cbranch_execz .LBB328_431
; %bb.428:                              ;   in Loop: Header=BB328_12 Depth=1
	v_dual_lshrrev_b32 v99, 3, v101 :: v_dual_bitop2_b32 v28, 7, v102 bitop3:0x40
	s_mov_b32 s46, exec_lo
	v_cmpx_gt_u32_e32 8, v101
; %bb.429:                              ;   in Loop: Header=BB328_12 Depth=1
	s_delay_alu instid0(VALU_DEP_2) | instskip(NEXT) | instid1(VALU_DEP_1)
	v_clz_i32_u32_e32 v99, v28
	v_min_u32_e32 v99, 32, v99
	s_delay_alu instid0(VALU_DEP_1) | instskip(NEXT) | instid1(VALU_DEP_1)
	v_subrev_nc_u32_e32 v101, 28, v99
	v_lshlrev_b64_e32 v[104:105], v101, v[28:29]
	s_delay_alu instid0(VALU_DEP_1)
	v_dual_sub_nc_u32 v99, 29, v99 :: v_dual_bitop2_b32 v28, 7, v104 bitop3:0x40
; %bb.430:                              ;   in Loop: Header=BB328_12 Depth=1
	s_or_b32 exec_lo, exec_lo, s46
	s_delay_alu instid0(VALU_DEP_1) | instskip(NEXT) | instid1(VALU_DEP_2)
	v_dual_lshlrev_b32 v101, 24, v102 :: v_dual_lshlrev_b32 v28, 20, v28
	v_lshl_add_u32 v99, v99, 23, 0x3c000000
	s_delay_alu instid0(VALU_DEP_2) | instskip(NEXT) | instid1(VALU_DEP_1)
	v_and_b32_e32 v101, 0x80000000, v101
	v_or3_b32 v99, v28, v101, v99
.LBB328_431:                            ;   in Loop: Header=BB328_12 Depth=1
	s_or_b32 exec_lo, exec_lo, s45
.LBB328_432:                            ;   in Loop: Header=BB328_12 Depth=1
	s_delay_alu instid0(SALU_CYCLE_1)
	s_or_b32 exec_lo, exec_lo, s44
.LBB328_433:                            ;   in Loop: Header=BB328_12 Depth=1
	s_delay_alu instid0(SALU_CYCLE_1)
	s_or_b32 exec_lo, exec_lo, s43
	global_load_b32 v105, v[36:37], off offset:1544
	v_dual_mov_b32 v103, 0 :: v_dual_mov_b32 v102, 0
	s_mov_b32 s43, exec_lo
	s_wait_loadcnt 0x0
	v_and_b32_e32 v28, 0xff, v105
	s_delay_alu instid0(VALU_DEP_1)
	v_cmpx_ne_u16_e32 0, v28
	s_cbranch_execz .LBB328_441
; %bb.434:                              ;   in Loop: Header=BB328_12 Depth=1
	v_bfrev_b32_e32 v102, 1
	s_mov_b32 s44, exec_lo
	v_cmpx_ne_u16_e32 0x80, v28
	s_cbranch_execz .LBB328_440
; %bb.435:                              ;   in Loop: Header=BB328_12 Depth=1
	v_and_b32_e32 v104, 0x7f, v105
	v_mov_b32_e32 v102, 0x7f800001
	s_mov_b32 s45, exec_lo
	s_delay_alu instid0(VALU_DEP_2)
	v_cmpx_ne_u32_e32 0x7f, v104
	s_cbranch_execz .LBB328_439
; %bb.436:                              ;   in Loop: Header=BB328_12 Depth=1
	v_dual_lshrrev_b32 v101, 3, v104 :: v_dual_bitop2_b32 v28, 7, v105 bitop3:0x40
	s_mov_b32 s46, exec_lo
	v_cmpx_gt_u32_e32 8, v104
; %bb.437:                              ;   in Loop: Header=BB328_12 Depth=1
	s_delay_alu instid0(VALU_DEP_2) | instskip(NEXT) | instid1(VALU_DEP_1)
	v_clz_i32_u32_e32 v101, v28
	v_min_u32_e32 v101, 32, v101
	s_delay_alu instid0(VALU_DEP_1) | instskip(NEXT) | instid1(VALU_DEP_1)
	v_subrev_nc_u32_e32 v102, 28, v101
	v_lshlrev_b64_e32 v[106:107], v102, v[28:29]
	s_delay_alu instid0(VALU_DEP_1)
	v_dual_sub_nc_u32 v101, 29, v101 :: v_dual_bitop2_b32 v28, 7, v106 bitop3:0x40
; %bb.438:                              ;   in Loop: Header=BB328_12 Depth=1
	s_or_b32 exec_lo, exec_lo, s46
	s_delay_alu instid0(VALU_DEP_1) | instskip(NEXT) | instid1(VALU_DEP_2)
	v_dual_lshlrev_b32 v102, 24, v105 :: v_dual_lshlrev_b32 v28, 20, v28
	v_lshl_add_u32 v101, v101, 23, 0x3c000000
	s_delay_alu instid0(VALU_DEP_2) | instskip(NEXT) | instid1(VALU_DEP_1)
	v_and_b32_e32 v102, 0x80000000, v102
	v_or3_b32 v102, v28, v102, v101
.LBB328_439:                            ;   in Loop: Header=BB328_12 Depth=1
	s_or_b32 exec_lo, exec_lo, s45
.LBB328_440:                            ;   in Loop: Header=BB328_12 Depth=1
	s_delay_alu instid0(SALU_CYCLE_1)
	s_or_b32 exec_lo, exec_lo, s44
.LBB328_441:                            ;   in Loop: Header=BB328_12 Depth=1
	s_delay_alu instid0(SALU_CYCLE_1) | instskip(SKIP_2) | instid1(VALU_DEP_1)
	s_or_b32 exec_lo, exec_lo, s43
	v_lshrrev_b16 v28, 8, v105
	s_mov_b32 s43, exec_lo
	v_cmpx_ne_u16_e32 0, v28
	s_cbranch_execz .LBB328_449
; %bb.442:                              ;   in Loop: Header=BB328_12 Depth=1
	v_bfrev_b32_e32 v103, 1
	s_mov_b32 s44, exec_lo
	v_cmpx_ne_u16_e32 0x80, v28
	s_cbranch_execz .LBB328_448
; %bb.443:                              ;   in Loop: Header=BB328_12 Depth=1
	v_and_b32_e32 v28, 0xffff, v28
	v_mov_b32_e32 v103, 0x7f800001
	s_mov_b32 s45, exec_lo
	s_delay_alu instid0(VALU_DEP_2) | instskip(NEXT) | instid1(VALU_DEP_1)
	v_and_b32_e32 v104, 0x7f, v28
	v_cmpx_ne_u32_e32 0x7f, v104
	s_cbranch_execz .LBB328_447
; %bb.444:                              ;   in Loop: Header=BB328_12 Depth=1
	v_and_b32_e32 v28, 7, v28
	v_lshrrev_b32_e32 v101, 3, v104
	s_mov_b32 s46, exec_lo
	v_cmpx_gt_u32_e32 8, v104
; %bb.445:                              ;   in Loop: Header=BB328_12 Depth=1
	s_delay_alu instid0(VALU_DEP_3) | instskip(NEXT) | instid1(VALU_DEP_1)
	v_clz_i32_u32_e32 v101, v28
	v_min_u32_e32 v101, 32, v101
	s_delay_alu instid0(VALU_DEP_1) | instskip(NEXT) | instid1(VALU_DEP_1)
	v_subrev_nc_u32_e32 v103, 28, v101
	v_lshlrev_b64_e32 v[106:107], v103, v[28:29]
	s_delay_alu instid0(VALU_DEP_1)
	v_dual_sub_nc_u32 v101, 29, v101 :: v_dual_bitop2_b32 v28, 7, v106 bitop3:0x40
; %bb.446:                              ;   in Loop: Header=BB328_12 Depth=1
	s_or_b32 exec_lo, exec_lo, s46
	s_delay_alu instid0(VALU_DEP_1) | instskip(NEXT) | instid1(VALU_DEP_2)
	v_dual_lshlrev_b32 v103, 16, v105 :: v_dual_lshlrev_b32 v28, 20, v28
	v_lshl_add_u32 v101, v101, 23, 0x3c000000
	s_delay_alu instid0(VALU_DEP_2) | instskip(NEXT) | instid1(VALU_DEP_1)
	v_and_b32_e32 v103, 0x80000000, v103
	v_or3_b32 v103, v28, v103, v101
.LBB328_447:                            ;   in Loop: Header=BB328_12 Depth=1
	s_or_b32 exec_lo, exec_lo, s45
.LBB328_448:                            ;   in Loop: Header=BB328_12 Depth=1
	s_delay_alu instid0(SALU_CYCLE_1)
	s_or_b32 exec_lo, exec_lo, s44
.LBB328_449:                            ;   in Loop: Header=BB328_12 Depth=1
	s_delay_alu instid0(SALU_CYCLE_1) | instskip(SKIP_3) | instid1(VALU_DEP_2)
	s_or_b32 exec_lo, exec_lo, s43
	v_dual_mov_b32 v101, 0 :: v_dual_lshrrev_b32 v106, 16, v105
	v_mov_b32_e32 v104, 0
	s_mov_b32 s43, exec_lo
	v_and_b32_e32 v28, 0xff, v106
	s_delay_alu instid0(VALU_DEP_1)
	v_cmpx_ne_u16_e32 0, v28
	s_cbranch_execz .LBB328_457
; %bb.450:                              ;   in Loop: Header=BB328_12 Depth=1
	v_bfrev_b32_e32 v104, 1
	s_mov_b32 s44, exec_lo
	v_cmpx_ne_u16_e32 0x80, v28
	s_cbranch_execz .LBB328_456
; %bb.451:                              ;   in Loop: Header=BB328_12 Depth=1
	v_bfe_u32 v107, v105, 16, 7
	v_mov_b32_e32 v104, 0x7f800001
	s_mov_b32 s45, exec_lo
	s_delay_alu instid0(VALU_DEP_2)
	v_cmpx_ne_u32_e32 0x7f, v107
	s_cbranch_execz .LBB328_455
; %bb.452:                              ;   in Loop: Header=BB328_12 Depth=1
	v_dual_lshrrev_b32 v104, 3, v107 :: v_dual_bitop2_b32 v28, 7, v106 bitop3:0x40
	s_mov_b32 s46, exec_lo
	v_cmpx_gt_u32_e32 8, v107
; %bb.453:                              ;   in Loop: Header=BB328_12 Depth=1
	s_delay_alu instid0(VALU_DEP_2) | instskip(NEXT) | instid1(VALU_DEP_1)
	v_clz_i32_u32_e32 v104, v28
	v_min_u32_e32 v104, 32, v104
	s_delay_alu instid0(VALU_DEP_1) | instskip(SKIP_1) | instid1(VALU_DEP_2)
	v_subrev_nc_u32_e32 v107, 28, v104
	v_sub_nc_u32_e32 v104, 29, v104
	v_lshlrev_b64_e32 v[108:109], v107, v[28:29]
	s_delay_alu instid0(VALU_DEP_1)
	v_and_b32_e32 v28, 7, v108
; %bb.454:                              ;   in Loop: Header=BB328_12 Depth=1
	s_or_b32 exec_lo, exec_lo, s46
	s_delay_alu instid0(VALU_DEP_1) | instskip(SKIP_1) | instid1(VALU_DEP_2)
	v_dual_lshlrev_b32 v106, 24, v106 :: v_dual_lshlrev_b32 v28, 20, v28
	v_lshl_add_u32 v104, v104, 23, 0x3c000000
	v_and_b32_e32 v106, 0x80000000, v106
	s_delay_alu instid0(VALU_DEP_1)
	v_or3_b32 v104, v28, v106, v104
.LBB328_455:                            ;   in Loop: Header=BB328_12 Depth=1
	s_or_b32 exec_lo, exec_lo, s45
.LBB328_456:                            ;   in Loop: Header=BB328_12 Depth=1
	s_delay_alu instid0(SALU_CYCLE_1)
	s_or_b32 exec_lo, exec_lo, s44
.LBB328_457:                            ;   in Loop: Header=BB328_12 Depth=1
	s_delay_alu instid0(SALU_CYCLE_1) | instskip(NEXT) | instid1(SALU_CYCLE_1)
	s_or_b32 exec_lo, exec_lo, s43
	s_mov_b32 s43, exec_lo
	v_cmpx_lt_u32_e32 0xffffff, v105
	s_cbranch_execz .LBB328_465
; %bb.458:                              ;   in Loop: Header=BB328_12 Depth=1
	v_lshrrev_b32_e32 v106, 24, v105
	v_bfrev_b32_e32 v101, 1
	s_mov_b32 s44, exec_lo
	s_delay_alu instid0(VALU_DEP_2)
	v_cmpx_ne_u32_e32 0x80, v106
	s_cbranch_execz .LBB328_464
; %bb.459:                              ;   in Loop: Header=BB328_12 Depth=1
	v_bfe_u32 v105, v105, 24, 7
	v_mov_b32_e32 v101, 0x7f800001
	s_mov_b32 s45, exec_lo
	s_delay_alu instid0(VALU_DEP_2)
	v_cmpx_ne_u32_e32 0x7f, v105
	s_cbranch_execz .LBB328_463
; %bb.460:                              ;   in Loop: Header=BB328_12 Depth=1
	v_dual_lshrrev_b32 v101, 3, v105 :: v_dual_bitop2_b32 v28, 7, v106 bitop3:0x40
	s_mov_b32 s46, exec_lo
	v_cmpx_gt_u32_e32 8, v105
; %bb.461:                              ;   in Loop: Header=BB328_12 Depth=1
	s_delay_alu instid0(VALU_DEP_2) | instskip(NEXT) | instid1(VALU_DEP_1)
	v_clz_i32_u32_e32 v101, v28
	v_min_u32_e32 v101, 32, v101
	s_delay_alu instid0(VALU_DEP_1) | instskip(NEXT) | instid1(VALU_DEP_1)
	v_subrev_nc_u32_e32 v105, 28, v101
	v_lshlrev_b64_e32 v[108:109], v105, v[28:29]
	s_delay_alu instid0(VALU_DEP_1)
	v_dual_sub_nc_u32 v101, 29, v101 :: v_dual_bitop2_b32 v28, 7, v108 bitop3:0x40
; %bb.462:                              ;   in Loop: Header=BB328_12 Depth=1
	s_or_b32 exec_lo, exec_lo, s46
	s_delay_alu instid0(VALU_DEP_1) | instskip(NEXT) | instid1(VALU_DEP_2)
	v_dual_lshlrev_b32 v105, 24, v106 :: v_dual_lshlrev_b32 v28, 20, v28
	v_lshl_add_u32 v101, v101, 23, 0x3c000000
	s_delay_alu instid0(VALU_DEP_2) | instskip(NEXT) | instid1(VALU_DEP_1)
	v_and_b32_e32 v105, 0x80000000, v105
	v_or3_b32 v101, v28, v105, v101
.LBB328_463:                            ;   in Loop: Header=BB328_12 Depth=1
	s_or_b32 exec_lo, exec_lo, s45
.LBB328_464:                            ;   in Loop: Header=BB328_12 Depth=1
	s_delay_alu instid0(SALU_CYCLE_1)
	s_or_b32 exec_lo, exec_lo, s44
.LBB328_465:                            ;   in Loop: Header=BB328_12 Depth=1
	s_delay_alu instid0(SALU_CYCLE_1)
	s_or_b32 exec_lo, exec_lo, s43
	global_load_b32 v109, v[36:37], off offset:1792
	v_dual_mov_b32 v106, 0 :: v_dual_mov_b32 v105, 0
	s_mov_b32 s43, exec_lo
	s_wait_loadcnt 0x0
	v_and_b32_e32 v28, 0xff, v109
	s_delay_alu instid0(VALU_DEP_1)
	v_cmpx_ne_u16_e32 0, v28
	s_cbranch_execz .LBB328_473
; %bb.466:                              ;   in Loop: Header=BB328_12 Depth=1
	v_bfrev_b32_e32 v105, 1
	s_mov_b32 s44, exec_lo
	v_cmpx_ne_u16_e32 0x80, v28
	s_cbranch_execz .LBB328_472
; %bb.467:                              ;   in Loop: Header=BB328_12 Depth=1
	v_and_b32_e32 v107, 0x7f, v109
	v_mov_b32_e32 v105, 0x7f800001
	s_mov_b32 s45, exec_lo
	s_delay_alu instid0(VALU_DEP_2)
	v_cmpx_ne_u32_e32 0x7f, v107
	s_cbranch_execz .LBB328_471
; %bb.468:                              ;   in Loop: Header=BB328_12 Depth=1
	v_dual_lshrrev_b32 v105, 3, v107 :: v_dual_bitop2_b32 v28, 7, v109 bitop3:0x40
	s_mov_b32 s46, exec_lo
	v_cmpx_gt_u32_e32 8, v107
; %bb.469:                              ;   in Loop: Header=BB328_12 Depth=1
	s_delay_alu instid0(VALU_DEP_2) | instskip(NEXT) | instid1(VALU_DEP_1)
	v_clz_i32_u32_e32 v105, v28
	v_min_u32_e32 v105, 32, v105
	s_delay_alu instid0(VALU_DEP_1) | instskip(NEXT) | instid1(VALU_DEP_1)
	v_subrev_nc_u32_e32 v107, 28, v105
	v_lshlrev_b64_e32 v[110:111], v107, v[28:29]
	s_delay_alu instid0(VALU_DEP_1)
	v_dual_sub_nc_u32 v105, 29, v105 :: v_dual_bitop2_b32 v28, 7, v110 bitop3:0x40
; %bb.470:                              ;   in Loop: Header=BB328_12 Depth=1
	s_or_b32 exec_lo, exec_lo, s46
	s_delay_alu instid0(VALU_DEP_1) | instskip(NEXT) | instid1(VALU_DEP_2)
	v_dual_lshlrev_b32 v107, 24, v109 :: v_dual_lshlrev_b32 v28, 20, v28
	v_lshl_add_u32 v105, v105, 23, 0x3c000000
	s_delay_alu instid0(VALU_DEP_2) | instskip(NEXT) | instid1(VALU_DEP_1)
	v_and_b32_e32 v107, 0x80000000, v107
	v_or3_b32 v105, v28, v107, v105
.LBB328_471:                            ;   in Loop: Header=BB328_12 Depth=1
	s_or_b32 exec_lo, exec_lo, s45
.LBB328_472:                            ;   in Loop: Header=BB328_12 Depth=1
	s_delay_alu instid0(SALU_CYCLE_1)
	s_or_b32 exec_lo, exec_lo, s44
.LBB328_473:                            ;   in Loop: Header=BB328_12 Depth=1
	s_delay_alu instid0(SALU_CYCLE_1) | instskip(SKIP_2) | instid1(VALU_DEP_1)
	s_or_b32 exec_lo, exec_lo, s43
	v_lshrrev_b16 v28, 8, v109
	s_mov_b32 s43, exec_lo
	v_cmpx_ne_u16_e32 0, v28
	s_cbranch_execz .LBB328_481
; %bb.474:                              ;   in Loop: Header=BB328_12 Depth=1
	v_bfrev_b32_e32 v106, 1
	s_mov_b32 s44, exec_lo
	v_cmpx_ne_u16_e32 0x80, v28
	s_cbranch_execz .LBB328_480
; %bb.475:                              ;   in Loop: Header=BB328_12 Depth=1
	v_and_b32_e32 v28, 0xffff, v28
	v_mov_b32_e32 v106, 0x7f800001
	s_mov_b32 s45, exec_lo
	s_delay_alu instid0(VALU_DEP_2) | instskip(NEXT) | instid1(VALU_DEP_1)
	v_and_b32_e32 v107, 0x7f, v28
	v_cmpx_ne_u32_e32 0x7f, v107
	s_cbranch_execz .LBB328_479
; %bb.476:                              ;   in Loop: Header=BB328_12 Depth=1
	v_dual_lshrrev_b32 v106, 3, v107 :: v_dual_bitop2_b32 v28, 7, v28 bitop3:0x40
	s_mov_b32 s46, exec_lo
	v_cmpx_gt_u32_e32 8, v107
; %bb.477:                              ;   in Loop: Header=BB328_12 Depth=1
	s_delay_alu instid0(VALU_DEP_2) | instskip(NEXT) | instid1(VALU_DEP_1)
	v_clz_i32_u32_e32 v106, v28
	v_min_u32_e32 v106, 32, v106
	s_delay_alu instid0(VALU_DEP_1) | instskip(SKIP_1) | instid1(VALU_DEP_2)
	v_subrev_nc_u32_e32 v107, 28, v106
	v_sub_nc_u32_e32 v106, 29, v106
	v_lshlrev_b64_e32 v[110:111], v107, v[28:29]
	s_delay_alu instid0(VALU_DEP_1)
	v_and_b32_e32 v28, 7, v110
; %bb.478:                              ;   in Loop: Header=BB328_12 Depth=1
	s_or_b32 exec_lo, exec_lo, s46
	s_delay_alu instid0(VALU_DEP_1) | instskip(SKIP_1) | instid1(VALU_DEP_2)
	v_dual_lshlrev_b32 v107, 16, v109 :: v_dual_lshlrev_b32 v28, 20, v28
	v_lshl_add_u32 v106, v106, 23, 0x3c000000
	v_and_b32_e32 v107, 0x80000000, v107
	s_delay_alu instid0(VALU_DEP_1)
	v_or3_b32 v106, v28, v107, v106
.LBB328_479:                            ;   in Loop: Header=BB328_12 Depth=1
	s_or_b32 exec_lo, exec_lo, s45
.LBB328_480:                            ;   in Loop: Header=BB328_12 Depth=1
	s_delay_alu instid0(SALU_CYCLE_1)
	s_or_b32 exec_lo, exec_lo, s44
.LBB328_481:                            ;   in Loop: Header=BB328_12 Depth=1
	s_delay_alu instid0(SALU_CYCLE_1) | instskip(SKIP_3) | instid1(VALU_DEP_2)
	s_or_b32 exec_lo, exec_lo, s43
	v_dual_mov_b32 v107, 0 :: v_dual_lshrrev_b32 v110, 16, v109
	v_mov_b32_e32 v108, 0
	s_mov_b32 s43, exec_lo
	v_and_b32_e32 v28, 0xff, v110
	s_delay_alu instid0(VALU_DEP_1)
	v_cmpx_ne_u16_e32 0, v28
	s_cbranch_execz .LBB328_489
; %bb.482:                              ;   in Loop: Header=BB328_12 Depth=1
	v_bfrev_b32_e32 v108, 1
	s_mov_b32 s44, exec_lo
	v_cmpx_ne_u16_e32 0x80, v28
	s_cbranch_execz .LBB328_488
; %bb.483:                              ;   in Loop: Header=BB328_12 Depth=1
	v_bfe_u32 v111, v109, 16, 7
	v_mov_b32_e32 v108, 0x7f800001
	s_mov_b32 s45, exec_lo
	s_delay_alu instid0(VALU_DEP_2)
	v_cmpx_ne_u32_e32 0x7f, v111
	s_cbranch_execz .LBB328_487
; %bb.484:                              ;   in Loop: Header=BB328_12 Depth=1
	v_dual_lshrrev_b32 v108, 3, v111 :: v_dual_bitop2_b32 v28, 7, v110 bitop3:0x40
	s_mov_b32 s46, exec_lo
	v_cmpx_gt_u32_e32 8, v111
; %bb.485:                              ;   in Loop: Header=BB328_12 Depth=1
	s_delay_alu instid0(VALU_DEP_2) | instskip(NEXT) | instid1(VALU_DEP_1)
	v_clz_i32_u32_e32 v108, v28
	v_min_u32_e32 v108, 32, v108
	s_delay_alu instid0(VALU_DEP_1) | instskip(SKIP_1) | instid1(VALU_DEP_2)
	v_subrev_nc_u32_e32 v111, 28, v108
	v_sub_nc_u32_e32 v108, 29, v108
	v_lshlrev_b64_e32 v[112:113], v111, v[28:29]
	s_delay_alu instid0(VALU_DEP_1)
	v_and_b32_e32 v28, 7, v112
; %bb.486:                              ;   in Loop: Header=BB328_12 Depth=1
	s_or_b32 exec_lo, exec_lo, s46
	s_delay_alu instid0(VALU_DEP_1) | instskip(SKIP_1) | instid1(VALU_DEP_2)
	v_dual_lshlrev_b32 v110, 24, v110 :: v_dual_lshlrev_b32 v28, 20, v28
	v_lshl_add_u32 v108, v108, 23, 0x3c000000
	v_and_b32_e32 v110, 0x80000000, v110
	s_delay_alu instid0(VALU_DEP_1)
	v_or3_b32 v108, v28, v110, v108
.LBB328_487:                            ;   in Loop: Header=BB328_12 Depth=1
	s_or_b32 exec_lo, exec_lo, s45
.LBB328_488:                            ;   in Loop: Header=BB328_12 Depth=1
	s_delay_alu instid0(SALU_CYCLE_1)
	s_or_b32 exec_lo, exec_lo, s44
.LBB328_489:                            ;   in Loop: Header=BB328_12 Depth=1
	s_delay_alu instid0(SALU_CYCLE_1) | instskip(NEXT) | instid1(SALU_CYCLE_1)
	s_or_b32 exec_lo, exec_lo, s43
	s_mov_b32 s43, exec_lo
	v_cmpx_lt_u32_e32 0xffffff, v109
	s_cbranch_execz .LBB328_497
; %bb.490:                              ;   in Loop: Header=BB328_12 Depth=1
	v_lshrrev_b32_e32 v110, 24, v109
	v_bfrev_b32_e32 v107, 1
	s_mov_b32 s44, exec_lo
	s_delay_alu instid0(VALU_DEP_2)
	v_cmpx_ne_u32_e32 0x80, v110
	s_cbranch_execz .LBB328_496
; %bb.491:                              ;   in Loop: Header=BB328_12 Depth=1
	v_bfe_u32 v109, v109, 24, 7
	v_mov_b32_e32 v107, 0x7f800001
	s_mov_b32 s45, exec_lo
	s_delay_alu instid0(VALU_DEP_2)
	v_cmpx_ne_u32_e32 0x7f, v109
	s_cbranch_execz .LBB328_495
; %bb.492:                              ;   in Loop: Header=BB328_12 Depth=1
	v_dual_lshrrev_b32 v107, 3, v109 :: v_dual_bitop2_b32 v28, 7, v110 bitop3:0x40
	s_mov_b32 s46, exec_lo
	v_cmpx_gt_u32_e32 8, v109
; %bb.493:                              ;   in Loop: Header=BB328_12 Depth=1
	s_delay_alu instid0(VALU_DEP_2) | instskip(NEXT) | instid1(VALU_DEP_1)
	v_clz_i32_u32_e32 v107, v28
	v_min_u32_e32 v107, 32, v107
	s_delay_alu instid0(VALU_DEP_1) | instskip(NEXT) | instid1(VALU_DEP_1)
	v_subrev_nc_u32_e32 v109, 28, v107
	v_lshlrev_b64_e32 v[112:113], v109, v[28:29]
	s_delay_alu instid0(VALU_DEP_1)
	v_dual_sub_nc_u32 v107, 29, v107 :: v_dual_bitop2_b32 v28, 7, v112 bitop3:0x40
; %bb.494:                              ;   in Loop: Header=BB328_12 Depth=1
	s_or_b32 exec_lo, exec_lo, s46
	s_delay_alu instid0(VALU_DEP_1) | instskip(NEXT) | instid1(VALU_DEP_2)
	v_dual_lshlrev_b32 v109, 24, v110 :: v_dual_lshlrev_b32 v28, 20, v28
	v_lshl_add_u32 v107, v107, 23, 0x3c000000
	s_delay_alu instid0(VALU_DEP_2) | instskip(NEXT) | instid1(VALU_DEP_1)
	v_and_b32_e32 v109, 0x80000000, v109
	v_or3_b32 v107, v28, v109, v107
.LBB328_495:                            ;   in Loop: Header=BB328_12 Depth=1
	s_or_b32 exec_lo, exec_lo, s45
.LBB328_496:                            ;   in Loop: Header=BB328_12 Depth=1
	s_delay_alu instid0(SALU_CYCLE_1)
	s_or_b32 exec_lo, exec_lo, s44
.LBB328_497:                            ;   in Loop: Header=BB328_12 Depth=1
	s_delay_alu instid0(SALU_CYCLE_1)
	s_or_b32 exec_lo, exec_lo, s43
	global_load_b32 v111, v[36:37], off offset:1800
	v_dual_mov_b32 v110, 0 :: v_dual_mov_b32 v109, 0
	s_mov_b32 s43, exec_lo
	s_wait_loadcnt 0x0
	v_and_b32_e32 v28, 0xff, v111
	s_delay_alu instid0(VALU_DEP_1)
	v_cmpx_ne_u16_e32 0, v28
	s_cbranch_execz .LBB328_505
; %bb.498:                              ;   in Loop: Header=BB328_12 Depth=1
	v_bfrev_b32_e32 v109, 1
	s_mov_b32 s44, exec_lo
	v_cmpx_ne_u16_e32 0x80, v28
	s_cbranch_execz .LBB328_504
; %bb.499:                              ;   in Loop: Header=BB328_12 Depth=1
	v_and_b32_e32 v37, 0x7f, v111
	v_mov_b32_e32 v109, 0x7f800001
	s_mov_b32 s45, exec_lo
	s_delay_alu instid0(VALU_DEP_2)
	v_cmpx_ne_u32_e32 0x7f, v37
	s_cbranch_execz .LBB328_503
; %bb.500:                              ;   in Loop: Header=BB328_12 Depth=1
	v_dual_lshrrev_b32 v36, 3, v37 :: v_dual_bitop2_b32 v28, 7, v111 bitop3:0x40
	s_mov_b32 s46, exec_lo
	v_cmpx_gt_u32_e32 8, v37
; %bb.501:                              ;   in Loop: Header=BB328_12 Depth=1
	s_delay_alu instid0(VALU_DEP_2) | instskip(NEXT) | instid1(VALU_DEP_1)
	v_clz_i32_u32_e32 v36, v28
	v_min_u32_e32 v36, 32, v36
	s_delay_alu instid0(VALU_DEP_1) | instskip(SKIP_1) | instid1(VALU_DEP_2)
	v_subrev_nc_u32_e32 v37, 28, v36
	v_sub_nc_u32_e32 v36, 29, v36
	v_lshlrev_b64_e32 v[112:113], v37, v[28:29]
	s_delay_alu instid0(VALU_DEP_1)
	v_and_b32_e32 v28, 7, v112
; %bb.502:                              ;   in Loop: Header=BB328_12 Depth=1
	s_or_b32 exec_lo, exec_lo, s46
	s_delay_alu instid0(VALU_DEP_1) | instskip(SKIP_1) | instid1(VALU_DEP_2)
	v_dual_lshlrev_b32 v37, 24, v111 :: v_dual_lshlrev_b32 v28, 20, v28
	v_lshl_add_u32 v36, v36, 23, 0x3c000000
	v_and_b32_e32 v37, 0x80000000, v37
	s_delay_alu instid0(VALU_DEP_1)
	v_or3_b32 v109, v28, v37, v36
.LBB328_503:                            ;   in Loop: Header=BB328_12 Depth=1
	s_or_b32 exec_lo, exec_lo, s45
.LBB328_504:                            ;   in Loop: Header=BB328_12 Depth=1
	s_delay_alu instid0(SALU_CYCLE_1)
	s_or_b32 exec_lo, exec_lo, s44
.LBB328_505:                            ;   in Loop: Header=BB328_12 Depth=1
	s_delay_alu instid0(SALU_CYCLE_1) | instskip(SKIP_2) | instid1(VALU_DEP_1)
	s_or_b32 exec_lo, exec_lo, s43
	v_lshrrev_b16 v28, 8, v111
	s_mov_b32 s43, exec_lo
	v_cmpx_ne_u16_e32 0, v28
	s_cbranch_execz .LBB328_513
; %bb.506:                              ;   in Loop: Header=BB328_12 Depth=1
	v_bfrev_b32_e32 v110, 1
	s_mov_b32 s44, exec_lo
	v_cmpx_ne_u16_e32 0x80, v28
	s_cbranch_execz .LBB328_512
; %bb.507:                              ;   in Loop: Header=BB328_12 Depth=1
	v_and_b32_e32 v28, 0xffff, v28
	v_mov_b32_e32 v110, 0x7f800001
	s_mov_b32 s45, exec_lo
	s_delay_alu instid0(VALU_DEP_2) | instskip(NEXT) | instid1(VALU_DEP_1)
	v_and_b32_e32 v37, 0x7f, v28
	v_cmpx_ne_u32_e32 0x7f, v37
	s_cbranch_execz .LBB328_511
; %bb.508:                              ;   in Loop: Header=BB328_12 Depth=1
	v_dual_lshrrev_b32 v36, 3, v37 :: v_dual_bitop2_b32 v28, 7, v28 bitop3:0x40
	s_mov_b32 s46, exec_lo
	v_cmpx_gt_u32_e32 8, v37
; %bb.509:                              ;   in Loop: Header=BB328_12 Depth=1
	s_delay_alu instid0(VALU_DEP_2) | instskip(NEXT) | instid1(VALU_DEP_1)
	v_clz_i32_u32_e32 v36, v28
	v_min_u32_e32 v36, 32, v36
	s_delay_alu instid0(VALU_DEP_1) | instskip(SKIP_1) | instid1(VALU_DEP_2)
	v_subrev_nc_u32_e32 v37, 28, v36
	v_sub_nc_u32_e32 v36, 29, v36
	v_lshlrev_b64_e32 v[112:113], v37, v[28:29]
	s_delay_alu instid0(VALU_DEP_1)
	v_and_b32_e32 v28, 7, v112
; %bb.510:                              ;   in Loop: Header=BB328_12 Depth=1
	s_or_b32 exec_lo, exec_lo, s46
	s_delay_alu instid0(VALU_DEP_1) | instskip(SKIP_1) | instid1(VALU_DEP_2)
	v_dual_lshlrev_b32 v37, 16, v111 :: v_dual_lshlrev_b32 v28, 20, v28
	v_lshl_add_u32 v36, v36, 23, 0x3c000000
	v_and_b32_e32 v37, 0x80000000, v37
	s_delay_alu instid0(VALU_DEP_1)
	v_or3_b32 v110, v28, v37, v36
.LBB328_511:                            ;   in Loop: Header=BB328_12 Depth=1
	s_or_b32 exec_lo, exec_lo, s45
.LBB328_512:                            ;   in Loop: Header=BB328_12 Depth=1
	s_delay_alu instid0(SALU_CYCLE_1)
	s_or_b32 exec_lo, exec_lo, s44
.LBB328_513:                            ;   in Loop: Header=BB328_12 Depth=1
	s_delay_alu instid0(SALU_CYCLE_1) | instskip(SKIP_3) | instid1(VALU_DEP_2)
	s_or_b32 exec_lo, exec_lo, s43
	v_dual_lshrrev_b32 v112, 16, v111 :: v_dual_mov_b32 v36, 0
	v_mov_b32_e32 v37, 0
	s_mov_b32 s43, exec_lo
	v_and_b32_e32 v28, 0xff, v112
	s_delay_alu instid0(VALU_DEP_1)
	v_cmpx_ne_u16_e32 0, v28
	s_cbranch_execz .LBB328_521
; %bb.514:                              ;   in Loop: Header=BB328_12 Depth=1
	v_bfrev_b32_e32 v37, 1
	s_mov_b32 s44, exec_lo
	v_cmpx_ne_u16_e32 0x80, v28
	s_cbranch_execz .LBB328_520
; %bb.515:                              ;   in Loop: Header=BB328_12 Depth=1
	v_bfe_u32 v113, v111, 16, 7
	v_mov_b32_e32 v37, 0x7f800001
	s_mov_b32 s45, exec_lo
	s_delay_alu instid0(VALU_DEP_2)
	v_cmpx_ne_u32_e32 0x7f, v113
	s_cbranch_execz .LBB328_519
; %bb.516:                              ;   in Loop: Header=BB328_12 Depth=1
	v_dual_lshrrev_b32 v37, 3, v113 :: v_dual_bitop2_b32 v28, 7, v112 bitop3:0x40
	s_mov_b32 s46, exec_lo
	v_cmpx_gt_u32_e32 8, v113
; %bb.517:                              ;   in Loop: Header=BB328_12 Depth=1
	s_delay_alu instid0(VALU_DEP_2) | instskip(NEXT) | instid1(VALU_DEP_1)
	v_clz_i32_u32_e32 v37, v28
	v_min_u32_e32 v37, 32, v37
	s_delay_alu instid0(VALU_DEP_1) | instskip(NEXT) | instid1(VALU_DEP_1)
	v_subrev_nc_u32_e32 v113, 28, v37
	v_lshlrev_b64_e32 v[114:115], v113, v[28:29]
	s_delay_alu instid0(VALU_DEP_1)
	v_dual_sub_nc_u32 v37, 29, v37 :: v_dual_bitop2_b32 v28, 7, v114 bitop3:0x40
; %bb.518:                              ;   in Loop: Header=BB328_12 Depth=1
	s_or_b32 exec_lo, exec_lo, s46
	v_lshlrev_b32_e32 v112, 24, v112
	s_delay_alu instid0(VALU_DEP_2) | instskip(NEXT) | instid1(VALU_DEP_3)
	v_lshlrev_b32_e32 v28, 20, v28
	v_lshl_add_u32 v37, v37, 23, 0x3c000000
	s_delay_alu instid0(VALU_DEP_3) | instskip(NEXT) | instid1(VALU_DEP_1)
	v_and_b32_e32 v112, 0x80000000, v112
	v_or3_b32 v37, v28, v112, v37
.LBB328_519:                            ;   in Loop: Header=BB328_12 Depth=1
	s_or_b32 exec_lo, exec_lo, s45
.LBB328_520:                            ;   in Loop: Header=BB328_12 Depth=1
	s_delay_alu instid0(SALU_CYCLE_1)
	s_or_b32 exec_lo, exec_lo, s44
.LBB328_521:                            ;   in Loop: Header=BB328_12 Depth=1
	s_delay_alu instid0(SALU_CYCLE_1) | instskip(NEXT) | instid1(SALU_CYCLE_1)
	s_or_b32 exec_lo, exec_lo, s43
	s_mov_b32 s43, exec_lo
	v_cmpx_lt_u32_e32 0xffffff, v111
	s_cbranch_execz .LBB328_529
; %bb.522:                              ;   in Loop: Header=BB328_12 Depth=1
	v_lshrrev_b32_e32 v112, 24, v111
	v_bfrev_b32_e32 v36, 1
	s_mov_b32 s44, exec_lo
	s_delay_alu instid0(VALU_DEP_2)
	v_cmpx_ne_u32_e32 0x80, v112
	s_cbranch_execz .LBB328_528
; %bb.523:                              ;   in Loop: Header=BB328_12 Depth=1
	v_bfe_u32 v111, v111, 24, 7
	v_mov_b32_e32 v36, 0x7f800001
	s_mov_b32 s45, exec_lo
	s_delay_alu instid0(VALU_DEP_2)
	v_cmpx_ne_u32_e32 0x7f, v111
	s_cbranch_execz .LBB328_527
; %bb.524:                              ;   in Loop: Header=BB328_12 Depth=1
	v_dual_lshrrev_b32 v36, 3, v111 :: v_dual_bitop2_b32 v28, 7, v112 bitop3:0x40
	s_mov_b32 s46, exec_lo
	v_cmpx_gt_u32_e32 8, v111
; %bb.525:                              ;   in Loop: Header=BB328_12 Depth=1
	s_delay_alu instid0(VALU_DEP_2) | instskip(NEXT) | instid1(VALU_DEP_1)
	v_clz_i32_u32_e32 v36, v28
	v_min_u32_e32 v36, 32, v36
	s_delay_alu instid0(VALU_DEP_1) | instskip(NEXT) | instid1(VALU_DEP_1)
	v_subrev_nc_u32_e32 v111, 28, v36
	v_lshlrev_b64_e32 v[114:115], v111, v[28:29]
	s_delay_alu instid0(VALU_DEP_1)
	v_dual_sub_nc_u32 v36, 29, v36 :: v_dual_bitop2_b32 v28, 7, v114 bitop3:0x40
; %bb.526:                              ;   in Loop: Header=BB328_12 Depth=1
	s_or_b32 exec_lo, exec_lo, s46
	v_lshlrev_b32_e32 v111, 24, v112
	s_delay_alu instid0(VALU_DEP_2) | instskip(NEXT) | instid1(VALU_DEP_3)
	v_lshlrev_b32_e32 v28, 20, v28
	v_lshl_add_u32 v36, v36, 23, 0x3c000000
	s_delay_alu instid0(VALU_DEP_3) | instskip(NEXT) | instid1(VALU_DEP_1)
	v_and_b32_e32 v111, 0x80000000, v111
	v_or3_b32 v36, v28, v111, v36
.LBB328_527:                            ;   in Loop: Header=BB328_12 Depth=1
	s_or_b32 exec_lo, exec_lo, s45
.LBB328_528:                            ;   in Loop: Header=BB328_12 Depth=1
	s_delay_alu instid0(SALU_CYCLE_1)
	s_or_b32 exec_lo, exec_lo, s44
.LBB328_529:                            ;   in Loop: Header=BB328_12 Depth=1
	s_delay_alu instid0(SALU_CYCLE_1)
	s_or_b32 exec_lo, exec_lo, s43
	s_wait_kmcnt 0x0
	v_fma_mixlo_bf16 v54, s42, v54, 0
	v_fma_mixlo_bf16 v53, s42, v53, 0
	;; [unrolled: 1-line block ×4, first 2 shown]
	s_wait_dscnt 0x7
	v_lshlrev_b32_e32 v110, 16, v24
	v_and_b32_e32 v24, 0xffff0000, v24
	v_dual_lshlrev_b32 v53, 16, v53 :: v_dual_lshlrev_b32 v54, 16, v54
	v_lshlrev_b32_e32 v111, 16, v25
	v_fma_mixlo_bf16 v55, s42, v55, 0
	v_fma_mixlo_bf16 v50, s42, v50, 0
	;; [unrolled: 1-line block ×3, first 2 shown]
	v_dual_mul_f32 v53, v110, v53 :: v_dual_lshlrev_b32 v56, 16, v56
	s_delay_alu instid0(VALU_DEP_4)
	v_dual_mul_f32 v24, v24, v54 :: v_dual_lshlrev_b32 v54, 16, v55
	v_fma_mixlo_bf16 v58, s42, v58, 0
	v_fma_mixlo_bf16 v57, s42, v57, 0
	;; [unrolled: 1-line block ×3, first 2 shown]
	v_and_b32_e32 v25, 0xffff0000, v25
	v_mul_f32_e32 v55, v111, v56
	v_fma_mix_f32_bf16 v49, v22, v49, v53 op_sel_hi:[1,1,0]
	v_fma_mix_f32_bf16 v22, v22, v50, v24 op_sel:[1,0,0] op_sel_hi:[1,1,0]
	v_fma_mixlo_bf16 v62, s42, v62, 0
	v_fma_mixlo_bf16 v61, s42, v61, 0
	;; [unrolled: 1-line block ×4, first 2 shown]
	v_mul_f32_e32 v24, v25, v54
	v_fma_mix_f32_bf16 v25, v23, v52, v55 op_sel_hi:[1,1,0]
	s_wait_dscnt 0x6
	v_fma_mix_f32_bf16 v49, v18, v57, v49 op_sel_hi:[1,1,0]
	v_fma_mix_f32_bf16 v18, v18, v58, v22 op_sel:[1,0,0] op_sel_hi:[1,1,0]
	v_fma_mixlo_bf16 v66, s42, v66, 0
	v_fma_mixlo_bf16 v65, s42, v65, 0
	v_fma_mixlo_bf16 v64, s42, v64, 0
	v_fma_mixlo_bf16 v50, s42, v59, 0
	v_fma_mix_f32_bf16 v22, v23, v51, v24 op_sel:[1,0,0] op_sel_hi:[1,1,0]
	v_fma_mix_f32_bf16 v23, v19, v60, v25 op_sel_hi:[1,1,0]
	v_fma_mix_f32_bf16 v24, v20, v61, v49 op_sel_hi:[1,1,0]
	v_fma_mix_f32_bf16 v18, v20, v62, v18 op_sel:[1,0,0] op_sel_hi:[1,1,0]
	v_fma_mixlo_bf16 v70, s42, v70, 0
	v_fma_mixlo_bf16 v69, s42, v69, 0
	v_fma_mixlo_bf16 v68, s42, v68, 0
	v_fma_mixlo_bf16 v25, s42, v63, 0
	v_fma_mix_f32_bf16 v19, v19, v50, v22 op_sel:[1,0,0] op_sel_hi:[1,1,0]
	v_fma_mix_f32_bf16 v20, v21, v64, v23 op_sel_hi:[1,1,0]
	s_wait_dscnt 0x5
	v_fma_mix_f32_bf16 v22, v14, v65, v24 op_sel_hi:[1,1,0]
	v_fma_mix_f32_bf16 v14, v14, v66, v18 op_sel:[1,0,0] op_sel_hi:[1,1,0]
	v_fma_mixlo_bf16 v74, s42, v74, 0
	v_fma_mixlo_bf16 v73, s42, v73, 0
	v_fma_mixlo_bf16 v72, s42, v72, 0
	v_fma_mixlo_bf16 v23, s42, v67, 0
	v_fma_mix_f32_bf16 v18, v21, v25, v19 op_sel:[1,0,0] op_sel_hi:[1,1,0]
	v_fma_mix_f32_bf16 v19, v15, v68, v20 op_sel_hi:[1,1,0]
	v_fma_mix_f32_bf16 v20, v16, v69, v22 op_sel_hi:[1,1,0]
	v_fma_mix_f32_bf16 v14, v16, v70, v14 op_sel:[1,0,0] op_sel_hi:[1,1,0]
	v_fma_mixlo_bf16 v78, s42, v78, 0
	v_fma_mixlo_bf16 v77, s42, v77, 0
	v_fma_mixlo_bf16 v76, s42, v76, 0
	v_fma_mixlo_bf16 v21, s42, v71, 0
	v_fma_mix_f32_bf16 v15, v15, v23, v18 op_sel:[1,0,0] op_sel_hi:[1,1,0]
	;; [unrolled: 17-line block ×3, first 2 shown]
	v_fma_mix_f32_bf16 v12, v13, v80, v15 op_sel_hi:[1,1,0]
	s_wait_dscnt 0x3
	v_fma_mix_f32_bf16 v14, v6, v81, v16 op_sel_hi:[1,1,0]
	v_fma_mix_f32_bf16 v6, v6, v82, v10 op_sel:[1,0,0] op_sel_hi:[1,1,0]
	v_fma_mixlo_bf16 v90, s42, v90, 0
	v_fma_mixlo_bf16 v89, s42, v89, 0
	;; [unrolled: 1-line block ×4, first 2 shown]
	v_fma_mix_f32_bf16 v16, v13, v17, v11 op_sel:[1,0,0] op_sel_hi:[1,1,0]
	v_fma_mix_f32_bf16 v17, v7, v84, v12 op_sel_hi:[1,1,0]
	v_fma_mix_f32_bf16 v14, v8, v85, v14 op_sel_hi:[1,1,0]
	ds_load_b128 v[10:13], v42 offset:102
	v_fma_mix_f32_bf16 v6, v8, v86, v6 op_sel:[1,0,0] op_sel_hi:[1,1,0]
	v_fma_mixlo_bf16 v94, s42, v94, 0
	v_fma_mixlo_bf16 v93, s42, v93, 0
	;; [unrolled: 1-line block ×4, first 2 shown]
	v_fma_mix_f32_bf16 v7, v7, v15, v16 op_sel:[1,0,0] op_sel_hi:[1,1,0]
	v_fma_mix_f32_bf16 v8, v9, v88, v17 op_sel_hi:[1,1,0]
	s_wait_dscnt 0x3
	v_fma_mix_f32_bf16 v14, v2, v89, v14 op_sel_hi:[1,1,0]
	v_fma_mix_f32_bf16 v2, v2, v90, v6 op_sel:[1,0,0] op_sel_hi:[1,1,0]
	v_fma_mixlo_bf16 v98, s42, v98, 0
	v_fma_mixlo_bf16 v97, s42, v97, 0
	;; [unrolled: 1-line block ×4, first 2 shown]
	v_fma_mix_f32_bf16 v9, v9, v87, v7 op_sel:[1,0,0] op_sel_hi:[1,1,0]
	v_fma_mix_f32_bf16 v8, v3, v92, v8 op_sel_hi:[1,1,0]
	v_fma_mix_f32_bf16 v14, v4, v93, v14 op_sel_hi:[1,1,0]
	ds_load_b64 v[6:7], v42 offset:118
	v_fma_mix_f32_bf16 v2, v4, v94, v2 op_sel:[1,0,0] op_sel_hi:[1,1,0]
	v_fma_mixlo_bf16 v103, s42, v103, 0
	v_fma_mixlo_bf16 v102, s42, v102, 0
	;; [unrolled: 1-line block ×4, first 2 shown]
	v_fma_mix_f32_bf16 v3, v3, v15, v9 op_sel:[1,0,0] op_sel_hi:[1,1,0]
	v_fma_mix_f32_bf16 v8, v5, v96, v8 op_sel_hi:[1,1,0]
	s_wait_dscnt 0x3
	v_fma_mix_f32_bf16 v9, v48, v97, v14 op_sel_hi:[1,1,0]
	v_fma_mix_f32_bf16 v2, v48, v98, v2 op_sel:[1,0,0] op_sel_hi:[1,1,0]
	v_fma_mixlo_bf16 v106, s42, v106, 0
	v_fma_mixlo_bf16 v105, s42, v105, 0
	;; [unrolled: 1-line block ×4, first 2 shown]
	v_fma_mix_f32_bf16 v3, v5, v95, v3 op_sel:[1,0,0] op_sel_hi:[1,1,0]
	ds_load_u16 v5, v42 offset:126
	s_wait_dscnt 0x3
	v_fma_mix_f32_bf16 v8, v31, v100, v8 op_sel_hi:[1,1,0]
	s_wait_dscnt 0x2
	v_fma_mix_f32_bf16 v9, v102, v10, v9 op_sel:[0,1,0] op_sel_hi:[1,1,0]
	v_fma_mix_f32_bf16 v2, v103, v11, v2 op_sel_hi:[1,1,0]
	v_fma_mixlo_bf16 v109, s42, v109, 0
	v_fma_mixlo_bf16 v108, s42, v108, 0
	;; [unrolled: 1-line block ×3, first 2 shown]
	v_fma_mix_f32_bf16 v3, v4, v10, v3 op_sel_hi:[1,1,0]
	v_fma_mix_f32_bf16 v4, v104, v11, v8 op_sel:[0,1,0] op_sel_hi:[1,1,0]
	v_fma_mix_f32_bf16 v8, v105, v12, v9 op_sel:[0,1,0] op_sel_hi:[1,1,0]
	v_fma_mix_f32_bf16 v2, v106, v13, v2 op_sel_hi:[1,1,0]
	v_fma_mixlo_bf16 v107, s42, v107, 0
	v_fma_mixlo_bf16 v9, s42, v37, 0
	v_fma_mix_f32_bf16 v3, v14, v12, v3 op_sel_hi:[1,1,0]
	v_fma_mix_f32_bf16 v4, v108, v13, v4 op_sel:[0,1,0] op_sel_hi:[1,1,0]
	s_wait_dscnt 0x1
	v_fma_mix_f32_bf16 v8, v109, v6, v8 op_sel:[0,1,0] op_sel_hi:[1,1,0]
	v_fma_mix_f32_bf16 v2, v28, v7, v2 op_sel_hi:[1,1,0]
	v_xor_b32_e32 v10, 1, v40
	v_fma_mixlo_bf16 v11, s42, v36, 0
	v_fma_mix_f32_bf16 v3, v107, v6, v3 op_sel_hi:[1,1,0]
	v_fma_mix_f32_bf16 v4, v9, v7, v4 op_sel:[0,1,0] op_sel_hi:[1,1,0]
	v_add_f32_e32 v2, v8, v2
	v_cmp_gt_i32_e64 s5, 32, v10
	s_wait_dscnt 0x0
	v_fma_mix_f32_bf16 v3, v11, v5, v3 op_sel_hi:[1,1,0]
	s_delay_alu instid0(VALU_DEP_2) | instskip(NEXT) | instid1(VALU_DEP_1)
	v_dual_add_f32 v2, v2, v4 :: v_dual_cndmask_b32 v6, v40, v10, s5
	v_add_f32_e32 v2, v3, v2
	s_delay_alu instid0(VALU_DEP_2)
	v_lshlrev_b32_e32 v4, 2, v6
	ds_bpermute_b32 v3, v4, v2
	s_and_saveexec_b32 s42, s4
	s_cbranch_execz .LBB328_10
; %bb.530:                              ;   in Loop: Header=BB328_12 Depth=1
	s_wait_dscnt 0x0
	v_dual_add_nc_u32 v4, v44, v30 :: v_dual_add_f32 v2, v2, v3
	s_delay_alu instid0(VALU_DEP_1) | instskip(NEXT) | instid1(VALU_DEP_1)
	v_cvt_f32_i32_e32 v4, v4
	v_mul_f32_e32 v4, s37, v4
	s_delay_alu instid0(VALU_DEP_1) | instskip(NEXT) | instid1(VALU_DEP_1)
	v_dual_cndmask_b32 v3, 0, v4 :: v_dual_max_num_f32 v4, v43, v43
	v_fmac_f32_e32 v3, s7, v2
	s_delay_alu instid0(VALU_DEP_1) | instskip(NEXT) | instid1(VALU_DEP_1)
	v_dual_add_nc_u32 v2, v41, v30 :: v_dual_max_num_f32 v4, v4, v3
	v_cmp_gt_i32_e64 s5, s34, v2
	s_delay_alu instid0(VALU_DEP_1)
	v_dual_cndmask_b32 v2, 0, v3, s5 :: v_dual_cndmask_b32 v43, v43, v4, s5
	ds_store_b32 v45, v2
	s_branch .LBB328_10
.LBB328_531:
	s_or_b32 exec_lo, exec_lo, s41
.LBB328_532:
	s_delay_alu instid0(SALU_CYCLE_1)
	s_or_b32 exec_lo, exec_lo, s38
	v_dual_max_num_f32 v5, v43, v43 :: v_dual_bitop2_b32 v2, 16, v40 bitop3:0x14
	s_clause 0x1
	s_load_b64 s[6:7], s[0:1], 0x0
	s_load_b64 s[8:9], s[0:1], 0x18
	v_and_b32_e32 v32, 31, v0
	v_xor_b32_e32 v4, 8, v40
	v_cmp_gt_i32_e32 vcc_lo, 32, v2
	v_dual_cndmask_b32 v2, v40, v2, vcc_lo :: v_dual_bitop2_b32 v6, 4, v40 bitop3:0x14
	s_delay_alu instid0(VALU_DEP_3) | instskip(SKIP_1) | instid1(VALU_DEP_2)
	v_cmp_gt_i32_e32 vcc_lo, 32, v4
	s_wait_dscnt 0x0
	v_dual_cndmask_b32 v4, v40, v4 :: v_dual_lshlrev_b32 v3, 2, v2
	s_delay_alu instid0(VALU_DEP_3) | instskip(SKIP_3) | instid1(VALU_DEP_1)
	v_cmp_gt_i32_e32 vcc_lo, 32, v6
	ds_bpermute_b32 v2, v3, v43
	s_wait_dscnt 0x0
	v_dual_lshlrev_b32 v4, 2, v4 :: v_dual_max_num_f32 v2, v2, v2
	v_max_num_f32_e32 v2, v5, v2
	ds_bpermute_b32 v5, v4, v2
	s_wait_dscnt 0x0
	v_dual_cndmask_b32 v6, v40, v6 :: v_dual_max_num_f32 v7, v5, v5
	s_delay_alu instid0(VALU_DEP_1) | instskip(SKIP_3) | instid1(VALU_DEP_1)
	v_dual_max_num_f32 v2, v2, v7 :: v_dual_lshlrev_b32 v5, 2, v6
	ds_bpermute_b32 v6, v5, v2
	s_wait_dscnt 0x0
	v_dual_max_num_f32 v6, v6, v6 :: v_dual_bitop2_b32 v7, 2, v40 bitop3:0x14
	v_cmp_gt_i32_e32 vcc_lo, 32, v7
	s_delay_alu instid0(VALU_DEP_2) | instskip(SKIP_1) | instid1(VALU_DEP_2)
	v_dual_cndmask_b32 v8, v40, v7 :: v_dual_max_num_f32 v7, v2, v6
	v_cmp_eq_u32_e32 vcc_lo, 0, v32
	v_dual_lshlrev_b32 v6, 2, v39 :: v_dual_lshlrev_b32 v2, 2, v8
	ds_bpermute_b32 v8, v2, v7
	s_wait_xcnt 0x0
	s_and_saveexec_b32 s0, vcc_lo
	s_cbranch_execz .LBB328_534
; %bb.533:
	s_wait_dscnt 0x0
	v_dual_max_num_f32 v8, v8, v8 :: v_dual_max_num_f32 v7, v7, v7
	s_delay_alu instid0(VALU_DEP_1)
	v_max_num_f32_e32 v7, v7, v8
	ds_store_b32 v6, v7 offset:256
.LBB328_534:
	s_or_b32 exec_lo, exec_lo, s0
	v_cmp_gt_u32_e64 s0, 4, v32
	s_wait_dscnt 0x0
	v_dual_mov_b32 v8, 0xff7fffff :: v_dual_lshlrev_b32 v7, 2, v32
	s_barrier_signal -1
	s_barrier_wait -1
	s_and_saveexec_b32 s1, s0
; %bb.535:
	ds_load_b32 v8, v7 offset:256
; %bb.536:
	s_or_b32 exec_lo, exec_lo, s1
	s_wait_dscnt 0x0
	ds_bpermute_b32 v9, v2, v8
	s_wait_dscnt 0x0
	v_dual_max_num_f32 v9, v9, v9 :: v_dual_bitop2_b32 v10, 1, v40 bitop3:0x14
	s_delay_alu instid0(VALU_DEP_1) | instskip(NEXT) | instid1(VALU_DEP_1)
	v_cmp_gt_i32_e64 s1, 32, v10
	v_cndmask_b32_e64 v10, v40, v10, s1
	v_max_num_f32_e32 v8, v8, v8
	s_lshl_b32 s1, s35, 4
	s_delay_alu instid0(SALU_CYCLE_1) | instskip(NEXT) | instid1(VALU_DEP_1)
	s_min_i32 s5, s1, s34
	v_dual_max_num_f32 v8, v8, v9 :: v_dual_lshlrev_b32 v33, 2, v10
	v_cmp_gt_i32_e64 s1, s5, v0
	ds_bpermute_b32 v9, v33, v8
	s_wait_dscnt 0x0
	v_max_num_f32_e32 v9, v9, v9
	s_delay_alu instid0(VALU_DEP_1)
	v_dual_max_num_f32 v9, v8, v9 :: v_dual_mov_b32 v8, 0
	ds_bpermute_b32 v9, v8, v9
	s_and_saveexec_b32 s19, s1
	s_cbranch_execz .LBB328_540
; %bb.537:
	v_lshl_add_u32 v10, v0, 2, 0x120
	v_dual_mov_b32 v8, 0 :: v_dual_mov_b32 v11, v0
	s_mov_b32 s28, 0
.LBB328_538:                            ; =>This Inner Loop Header: Depth=1
	ds_load_b32 v12, v10
	v_add_nc_u32_e32 v11, 0x80, v11
	s_delay_alu instid0(VALU_DEP_1) | instskip(SKIP_3) | instid1(VALU_DEP_1)
	v_cmp_le_i32_e64 s4, s5, v11
	s_or_b32 s28, s4, s28
	s_wait_dscnt 0x0
	v_sub_f32_e32 v12, v12, v9
	v_mul_f32_e32 v12, 0x3fb8aa3b, v12
	s_delay_alu instid0(VALU_DEP_1)
	v_exp_f32_e32 v12, v12
	ds_store_b32 v10, v12
	v_nop
	v_add_f32_e32 v8, v8, v12
	v_add_nc_u32_e32 v10, 0x200, v10
	s_and_not1_b32 exec_lo, exec_lo, s28
	s_cbranch_execnz .LBB328_538
; %bb.539:
	s_or_b32 exec_lo, exec_lo, s28
.LBB328_540:
	s_delay_alu instid0(SALU_CYCLE_1)
	s_or_b32 exec_lo, exec_lo, s19
	ds_bpermute_b32 v3, v3, v8
	s_wait_dscnt 0x0
	v_add_f32_e32 v3, v8, v3
	ds_bpermute_b32 v4, v4, v3
	s_wait_dscnt 0x0
	v_add_f32_e32 v3, v3, v4
	;; [unrolled: 3-line block ×5, first 2 shown]
	s_and_saveexec_b32 s4, vcc_lo
; %bb.541:
	ds_store_b32 v6, v3 offset:272
; %bb.542:
	s_or_b32 exec_lo, exec_lo, s4
	s_wait_dscnt 0x0
	s_barrier_signal -1
	s_barrier_wait -1
	s_and_saveexec_b32 s4, s0
; %bb.543:
	ds_load_b32 v3, v7 offset:272
; %bb.544:
	s_or_b32 exec_lo, exec_lo, s4
	s_wait_dscnt 0x0
	ds_bpermute_b32 v2, v2, v3
	s_wait_dscnt 0x0
	v_dual_mov_b32 v11, 0 :: v_dual_add_f32 v2, v3, v2
	ds_bpermute_b32 v3, v33, v2
	s_wait_dscnt 0x0
	v_add_f32_e32 v2, v2, v3
	ds_bpermute_b32 v2, v11, v2
	s_and_saveexec_b32 s0, s1
	s_cbranch_execz .LBB328_557
; %bb.545:
	s_wait_dscnt 0x0
	v_add_f32_e32 v2, 0x358637bd, v2
	s_mov_b32 s4, -1
	s_mov_b32 s1, exec_lo
	s_delay_alu instid0(VALU_DEP_1) | instskip(NEXT) | instid1(VALU_DEP_1)
	v_div_scale_f32 v3, null, v2, v2, 1.0
	v_rcp_f32_e32 v5, v3
	v_nop
	s_delay_alu instid0(TRANS32_DEP_1) | instskip(NEXT) | instid1(VALU_DEP_1)
	v_fma_f32 v4, -v3, v5, 1.0
	v_fmac_f32_e32 v5, v4, v5
	v_div_scale_f32 v6, vcc_lo, 1.0, v2, 1.0
	s_delay_alu instid0(VALU_DEP_1) | instskip(NEXT) | instid1(VALU_DEP_1)
	v_mul_f32_e32 v7, v6, v5
	v_fma_f32 v4, -v3, v7, v6
	s_delay_alu instid0(VALU_DEP_1) | instskip(SKIP_1) | instid1(VALU_DEP_2)
	v_fmac_f32_e32 v7, v4, v5
	v_xad_u32 v4, v0, -1, s5
	v_fma_f32 v3, -v3, v7, v6
	s_delay_alu instid0(VALU_DEP_1) | instskip(NEXT) | instid1(VALU_DEP_1)
	v_div_fmas_f32 v3, v3, v5, v7
	v_div_fixup_f32 v2, v3, v2, 1.0
	v_mov_b32_e32 v3, v0
	v_cmpx_lt_u32_e32 0x7f, v4
	s_cbranch_execz .LBB328_554
; %bb.546:
	s_delay_alu instid0(VALU_DEP_3) | instskip(NEXT) | instid1(VALU_DEP_1)
	v_dual_mov_b32 v3, v2 :: v_dual_lshrrev_b32 v4, 7, v4
	v_dual_mov_b32 v8, 0 :: v_dual_add_nc_u32 v5, -1, v4
	s_delay_alu instid0(VALU_DEP_1) | instskip(SKIP_1) | instid1(VALU_DEP_2)
	v_lshrrev_b32_e32 v6, 1, v5
	v_cmp_lt_u32_e32 vcc_lo, 13, v5
	v_add_nc_u32_e32 v5, 1, v6
	s_and_saveexec_b32 s4, vcc_lo
	s_cbranch_execz .LBB328_550
; %bb.547:
	s_delay_alu instid0(VALU_DEP_1)
	v_and_b32_e32 v6, -8, v5
	v_lshl_add_u32 v7, v0, 2, 0x120
	s_mov_b32 s19, 0
	s_mov_b32 s28, 0
.LBB328_548:                            ; =>This Inner Loop Header: Depth=1
	ds_load_2addr_stride64_b32 v[8:9], v7 offset1:2
	ds_load_2addr_stride64_b32 v[12:13], v7 offset0:4 offset1:6
	ds_load_2addr_stride64_b32 v[14:15], v7 offset0:8 offset1:10
	;; [unrolled: 1-line block ×7, first 2 shown]
	s_add_co_i32 s28, s28, 16
	v_add_nc_u32_e32 v6, -8, v6
	s_wait_dscnt 0x7
	v_pk_mul_f32 v[8:9], v[2:3], v[8:9]
	s_wait_dscnt 0x6
	v_pk_mul_f32 v[12:13], v[2:3], v[12:13]
	;; [unrolled: 2-line block ×8, first 2 shown]
	ds_store_2addr_stride64_b32 v7, v8, v9 offset1:2
	ds_store_2addr_stride64_b32 v7, v12, v13 offset0:4 offset1:6
	ds_store_2addr_stride64_b32 v7, v14, v15 offset0:8 offset1:10
	;; [unrolled: 1-line block ×7, first 2 shown]
	v_mov_b32_e32 v8, s28
	v_cmp_eq_u32_e32 vcc_lo, 0, v6
	v_add_nc_u32_e32 v7, 0x2000, v7
	s_or_b32 s19, vcc_lo, s19
	s_delay_alu instid0(SALU_CYCLE_1)
	s_and_not1_b32 exec_lo, exec_lo, s19
	s_cbranch_execnz .LBB328_548
; %bb.549:
	s_or_b32 exec_lo, exec_lo, s19
.LBB328_550:
	s_delay_alu instid0(SALU_CYCLE_1) | instskip(NEXT) | instid1(VALU_DEP_1)
	s_or_b32 exec_lo, exec_lo, s4
	v_and_b32_e32 v5, 7, v5
	s_mov_b32 s19, 0
	s_mov_b32 s4, exec_lo
	s_delay_alu instid0(VALU_DEP_1)
	v_cmpx_ne_u32_e32 0, v5
	s_cbranch_execz .LBB328_553
; %bb.551:
	v_lshlrev_b32_e32 v6, 9, v8
	v_lshlrev_b32_e32 v7, 2, v0
	s_delay_alu instid0(VALU_DEP_1)
	v_add3_u32 v6, v6, v7, 0x120
.LBB328_552:                            ; =>This Inner Loop Header: Depth=1
	ds_load_2addr_stride64_b32 v[8:9], v6 offset1:2
	v_add_nc_u32_e32 v5, -1, v5
	s_delay_alu instid0(VALU_DEP_1)
	v_cmp_eq_u32_e32 vcc_lo, 0, v5
	s_or_b32 s19, vcc_lo, s19
	s_wait_dscnt 0x0
	v_pk_mul_f32 v[8:9], v[2:3], v[8:9]
	ds_store_2addr_stride64_b32 v6, v8, v9 offset1:2
	v_add_nc_u32_e32 v6, 0x400, v6
	s_and_not1_b32 exec_lo, exec_lo, s19
	s_cbranch_execnz .LBB328_552
.LBB328_553:
	s_or_b32 exec_lo, exec_lo, s4
	v_add_nc_u32_e32 v3, 1, v4
	s_delay_alu instid0(VALU_DEP_1) | instskip(NEXT) | instid1(VALU_DEP_1)
	v_and_b32_e32 v4, 0x3fffffe, v3
	v_cmp_ne_u32_e32 vcc_lo, v3, v4
	v_lshl_add_u32 v3, v4, 7, v0
	s_or_not1_b32 s4, vcc_lo, exec_lo
.LBB328_554:
	s_or_b32 exec_lo, exec_lo, s1
	s_delay_alu instid0(SALU_CYCLE_1)
	s_and_b32 exec_lo, exec_lo, s4
	s_cbranch_execz .LBB328_557
; %bb.555:
	v_lshl_add_u32 v4, v3, 2, 0x120
	s_mov_b32 s1, 0
.LBB328_556:                            ; =>This Inner Loop Header: Depth=1
	ds_load_b32 v5, v4
	v_add_nc_u32_e32 v3, 0x80, v3
	s_delay_alu instid0(VALU_DEP_1)
	v_cmp_le_i32_e32 vcc_lo, s5, v3
	s_or_b32 s1, vcc_lo, s1
	s_wait_dscnt 0x0
	v_mul_f32_e32 v5, v2, v5
	ds_store_b32 v4, v5
	v_add_nc_u32_e32 v4, 0x200, v4
	s_and_not1_b32 exec_lo, exec_lo, s1
	s_cbranch_execnz .LBB328_556
.LBB328_557:
	s_or_b32 exec_lo, exec_lo, s0
	v_dual_mov_b32 v10, 0 :: v_dual_mov_b32 v13, 0
	v_dual_mov_b32 v12, 0 :: v_dual_mov_b32 v15, 0
	;; [unrolled: 1-line block ×3, first 2 shown]
	v_mov_b32_e32 v16, 0
	s_wait_dscnt 0x0
	s_barrier_signal -1
	s_barrier_wait -1
	s_and_saveexec_b32 s1, s3
	s_cbranch_execz .LBB328_1059
; %bb.558:
	s_abs_i32 s3, s14
	v_dual_mov_b32 v19, 0 :: v_dual_lshlrev_b32 v2, 3, v0
	s_cvt_f32_u32 s0, s3
	s_ashr_i32 s19, s18, 31
	v_dual_lshlrev_b32 v4, 5, v38 :: v_dual_mov_b32 v34, v39
	s_delay_alu instid0(SALU_CYCLE_1)
	v_rcp_iflag_f32_e32 v3, s0
	v_and_b32_e32 v18, 0xf8, v2
	s_wait_kmcnt 0x0
	s_add_nc_u64 s[8:9], s[8:9], s[18:19]
	s_lshl_b64 s[26:27], s[26:27], 2
	s_sub_co_i32 s18, 0, s3
	v_dual_mov_b32 v16, 0 :: v_dual_bitop2_b32 v35, 8, v2 bitop3:0x40
	v_readfirstlane_b32 s0, v3
	v_add_nc_u64_e32 v[20:21], s[8:9], v[18:19]
	v_and_b32_e32 v18, 0x7c, v27
	v_lshl_or_b32 v3, v39, 6, v4
	s_add_nc_u64 s[8:9], s[24:25], s[26:27]
	s_mul_f32 s0, s0, 0x4f7ffffe
	v_mov_b32_e32 v17, 0
	v_add_nc_u64_e32 v[22:23], s[8:9], v[18:19]
	v_add_nc_u32_e32 v36, 0x120, v3
	s_cvt_u32_f32 s0, s0
	v_dual_mov_b32 v14, 0 :: v_dual_mov_b32 v15, 0
	v_dual_mov_b32 v12, 0 :: v_dual_mov_b32 v13, 0
	s_delay_alu instid0(SALU_CYCLE_1)
	s_mul_i32 s18, s18, s0
	v_dual_mov_b32 v10, 0 :: v_dual_mov_b32 v11, 0
	s_mul_hi_u32 s8, s0, s18
	s_mov_b32 s9, 0
	s_sub_co_i32 s13, s36, s13
	s_mov_b32 s14, s17
	s_add_co_i32 s17, s35, -1
	s_mov_b64 s[4:5], 0xffffffffffffff
	s_add_co_i32 s8, s0, s8
	s_mov_b32 s18, s9
	s_branch .LBB328_561
.LBB328_559:                            ;   in Loop: Header=BB328_561 Depth=1
	s_or_b32 exec_lo, exec_lo, s0
	s_wait_dscnt 0x1
	v_cvt_pk_bf16_f32 v6, v6, v7
	v_perm_b32 v46, v98, v99, 0x5040100
	v_cvt_pk_bf16_f32 v7, v8, v9
	v_perm_b32 v8, v96, v97, 0x5040100
	s_wait_dscnt 0x0
	v_cvt_pk_bf16_f32 v2, v2, v3
	v_perm_b32 v3, v94, v95, 0x5040100
	v_pk_mul_bf16 v9, v6, v46
	v_cvt_pk_bf16_f32 v4, v4, v5
	v_pk_mul_bf16 v8, v7, v8
	v_perm_b32 v5, v31, v30, 0x5040100
	v_pk_mul_bf16 v3, v2, v3
	v_lshlrev_b32_e32 v46, 16, v9
	v_and_b32_e32 v9, 0xffff0000, v9
	v_lshlrev_b32_e32 v47, 16, v8
	v_and_b32_e32 v8, 0xffff0000, v8
	v_pk_mul_bf16 v5, v4, v5
	v_perm_b32 v49, v79, v78, 0x5040100
	v_add_f32_e32 v9, v46, v9
	v_perm_b32 v46, v82, v83, 0x5040100
	v_dual_add_f32 v8, v47, v8 :: v_dual_lshlrev_b32 v30, 16, v3
	v_and_b32_e32 v3, 0xffff0000, v3
	s_delay_alu instid0(VALU_DEP_2) | instskip(NEXT) | instid1(VALU_DEP_2)
	v_add_f32_e32 v8, v8, v9
	v_dual_lshlrev_b32 v9, 16, v5 :: v_dual_add_f32 v3, v30, v3
	v_and_b32_e32 v5, 0xffff0000, v5
	v_perm_b32 v30, v92, v93, 0x5040100
	s_delay_alu instid0(VALU_DEP_2) | instskip(SKIP_1) | instid1(VALU_DEP_3)
	v_dual_add_f32 v3, v3, v8 :: v_dual_add_f32 v5, v9, v5
	v_perm_b32 v8, v90, v91, 0x5040100
	v_pk_mul_bf16 v9, v6, v30
	s_delay_alu instid0(VALU_DEP_3) | instskip(NEXT) | instid1(VALU_DEP_3)
	v_add_f32_e32 v3, v5, v3
	v_pk_mul_bf16 v8, v7, v8
	v_perm_b32 v5, v88, v89, 0x5040100
	s_delay_alu instid0(VALU_DEP_4) | instskip(SKIP_1) | instid1(VALU_DEP_4)
	v_lshlrev_b32_e32 v30, 16, v9
	v_and_b32_e32 v9, 0xffff0000, v9
	v_dual_add_f32 v10, v10, v3 :: v_dual_lshlrev_b32 v31, 16, v8
	v_and_b32_e32 v8, 0xffff0000, v8
	v_pk_mul_bf16 v5, v2, v5
	v_perm_b32 v3, v87, v86, 0x5040100
	s_delay_alu instid0(VALU_DEP_3) | instskip(SKIP_1) | instid1(VALU_DEP_3)
	v_dual_add_f32 v9, v30, v9 :: v_dual_add_f32 v8, v31, v8
	v_perm_b32 v31, v84, v85, 0x5040100
	v_pk_mul_bf16 v3, v4, v3
	v_lshlrev_b32_e32 v30, 16, v5
	v_and_b32_e32 v5, 0xffff0000, v5
	v_add_f32_e32 v8, v8, v9
	v_pk_mul_bf16 v9, v6, v31
	v_lshlrev_b32_e32 v31, 16, v3
	v_and_b32_e32 v3, 0xffff0000, v3
	v_add_f32_e32 v5, v30, v5
	v_pk_mul_bf16 v30, v7, v46
	v_perm_b32 v46, v80, v81, 0x5040100
	v_lshlrev_b32_e32 v47, 16, v9
	v_and_b32_e32 v9, 0xffff0000, v9
	s_delay_alu instid0(VALU_DEP_4) | instskip(SKIP_2) | instid1(VALU_DEP_4)
	v_lshlrev_b32_e32 v48, 16, v30
	v_and_b32_e32 v30, 0xffff0000, v30
	v_pk_mul_bf16 v46, v2, v46
	v_dual_add_f32 v9, v47, v9 :: v_dual_add_f32 v5, v5, v8
	v_pk_mul_bf16 v8, v4, v49
	s_delay_alu instid0(VALU_DEP_4) | instskip(NEXT) | instid1(VALU_DEP_4)
	v_add_f32_e32 v30, v48, v30
	v_lshlrev_b32_e32 v47, 16, v46
	v_and_b32_e32 v46, 0xffff0000, v46
	v_add_f32_e32 v3, v31, v3
	v_perm_b32 v31, v76, v77, 0x5040100
	v_add_f32_e32 v9, v30, v9
	v_perm_b32 v48, v63, v62, 0x5040100
	v_dual_add_f32 v30, v47, v46 :: v_dual_lshlrev_b32 v46, 16, v8
	v_perm_b32 v47, v74, v75, 0x5040100
	v_and_b32_e32 v8, 0xffff0000, v8
	v_add_f32_e32 v3, v3, v5
	v_pk_mul_bf16 v5, v6, v31
	v_add_f32_e32 v9, v30, v9
	v_pk_mul_bf16 v30, v7, v47
	v_perm_b32 v31, v72, v73, 0x5040100
	s_delay_alu instid0(VALU_DEP_4)
	v_dual_add_f32 v8, v46, v8 :: v_dual_lshlrev_b32 v46, 16, v5
	v_add_f32_e32 v13, v13, v3
	v_and_b32_e32 v5, 0xffff0000, v5
	v_lshlrev_b32_e32 v47, 16, v30
	v_and_b32_e32 v30, 0xffff0000, v30
	v_pk_mul_bf16 v31, v2, v31
	v_add_f32_e32 v3, v8, v9
	v_add_f32_e32 v5, v46, v5
	v_perm_b32 v46, v68, v69, 0x5040100
	s_delay_alu instid0(VALU_DEP_4) | instskip(SKIP_3) | instid1(VALU_DEP_4)
	v_dual_add_f32 v8, v47, v30 :: v_dual_lshlrev_b32 v9, 16, v31
	v_and_b32_e32 v30, 0xffff0000, v31
	v_perm_b32 v31, v71, v70, 0x5040100
	v_perm_b32 v49, v57, v56, 0x5040100
	v_add_f32_e32 v5, v8, v5
	v_perm_b32 v8, v66, v67, 0x5040100
	v_dual_add_f32 v9, v9, v30 :: v_dual_add_f32 v12, v12, v3
	v_pk_mul_bf16 v3, v6, v46
	v_pk_mul_bf16 v30, v4, v31
	s_delay_alu instid0(VALU_DEP_4) | instskip(NEXT) | instid1(VALU_DEP_4)
	v_pk_mul_bf16 v8, v7, v8
	v_add_f32_e32 v31, v9, v5
	v_perm_b32 v5, v64, v65, 0x5040100
	v_lshlrev_b32_e32 v9, 16, v3
	v_and_b32_e32 v3, 0xffff0000, v3
	v_lshlrev_b32_e32 v46, 16, v8
	v_and_b32_e32 v8, 0xffff0000, v8
	v_pk_mul_bf16 v5, v2, v5
	s_delay_alu instid0(VALU_DEP_4) | instskip(SKIP_1) | instid1(VALU_DEP_3)
	v_dual_lshlrev_b32 v47, 16, v30 :: v_dual_add_f32 v3, v9, v3
	v_and_b32_e32 v30, 0xffff0000, v30
	v_dual_add_f32 v8, v46, v8 :: v_dual_lshlrev_b32 v9, 16, v5
	v_and_b32_e32 v5, 0xffff0000, v5
	v_pk_mul_bf16 v46, v4, v48
	s_delay_alu instid0(VALU_DEP_3) | instskip(SKIP_1) | instid1(VALU_DEP_4)
	v_add_f32_e32 v3, v8, v3
	v_perm_b32 v8, v60, v61, 0x5040100
	v_add_f32_e32 v5, v9, v5
	v_perm_b32 v9, v58, v59, 0x5040100
	v_lshlrev_b32_e32 v48, 16, v46
	v_and_b32_e32 v46, 0xffff0000, v46
	v_pk_mul_bf16 v8, v6, v8
	v_add_f32_e32 v30, v47, v30
	v_pk_mul_bf16 v9, v7, v9
	s_delay_alu instid0(VALU_DEP_4) | instskip(NEXT) | instid1(VALU_DEP_4)
	v_dual_add_f32 v47, v5, v3 :: v_dual_add_f32 v46, v48, v46
	v_lshlrev_b32_e32 v3, 16, v8
	v_and_b32_e32 v5, 0xffff0000, v8
	s_delay_alu instid0(VALU_DEP_4) | instskip(SKIP_2) | instid1(VALU_DEP_2)
	v_lshlrev_b32_e32 v8, 16, v9
	v_and_b32_e32 v9, 0xffff0000, v9
	v_perm_b32 v48, v54, v55, 0x5040100
	v_add_f32_e32 v8, v8, v9
	v_perm_b32 v9, v42, v43, 0x5040100
	s_delay_alu instid0(VALU_DEP_3) | instskip(SKIP_3) | instid1(VALU_DEP_2)
	v_pk_mul_bf16 v42, v2, v48
	v_add_f32_e32 v3, v3, v5
	v_perm_b32 v5, v44, v45, 0x5040100
	v_pk_mul_bf16 v43, v4, v49
	v_pk_mul_bf16 v5, v6, v5
	s_delay_alu instid0(VALU_DEP_4)
	v_add_f32_e32 v44, v8, v3
	v_pk_mul_bf16 v3, v7, v9
	v_lshlrev_b32_e32 v8, 16, v42
	v_and_b32_e32 v9, 0xffff0000, v42
	v_lshlrev_b32_e32 v42, 16, v5
	v_and_b32_e32 v5, 0xffff0000, v5
	;; [unrolled: 2-line block ×3, first 2 shown]
	v_add_f32_e32 v48, v8, v9
	v_perm_b32 v8, v27, v37, 0x5040100
	v_dual_add_f32 v5, v42, v5 :: v_dual_lshlrev_b32 v27, 16, v43
	s_delay_alu instid0(VALU_DEP_4) | instskip(SKIP_1) | instid1(VALU_DEP_4)
	v_add_f32_e32 v3, v45, v3
	v_perm_b32 v9, v41, v40, 0x5040100
	v_pk_mul_bf16 v8, v2, v8
	v_and_b32_e32 v37, 0xffff0000, v43
	s_delay_alu instid0(VALU_DEP_4)
	v_add_f32_e32 v41, v3, v5
	v_perm_b32 v3, v101, v100, 0x5040100
	v_perm_b32 v5, v28, v102, 0x5040100
	v_pk_mul_bf16 v40, v4, v9
	v_perm_b32 v9, v18, v24, 0x5040100
	v_perm_b32 v18, v29, v25, 0x5040100
	v_pk_mul_bf16 v6, v6, v3
	v_pk_mul_bf16 v7, v7, v5
	v_lshlrev_b32_e32 v42, 16, v8
	v_and_b32_e32 v24, 0xffff0000, v8
	v_pk_mul_bf16 v8, v2, v9
	v_pk_mul_bf16 v18, v4, v18
	v_and_b32_e32 v3, 0xffff0000, v6
	v_dual_lshlrev_b32 v5, 16, v6 :: v_dual_lshlrev_b32 v4, 16, v7
	v_and_b32_e32 v2, 0xffff0000, v7
	v_and_b32_e32 v7, 0xffff0000, v8
	v_dual_lshlrev_b32 v9, 16, v8 :: v_dual_lshlrev_b32 v8, 16, v18
	v_and_b32_e32 v6, 0xffff0000, v18
	s_delay_alu instid0(VALU_DEP_4)
	v_pk_add_f32 v[2:3], v[4:5], v[2:3]
	v_add_f32_e32 v18, v42, v24
	v_lshlrev_b32_e32 v24, 16, v40
	v_and_b32_e32 v25, 0xffff0000, v40
	v_pk_add_f32 v[4:5], v[8:9], v[6:7]
	v_dual_add_f32 v2, v2, v3 :: v_dual_add_f32 v6, v27, v37
	v_dual_add_f32 v3, v48, v44 :: v_dual_add_f32 v7, v18, v41
	s_delay_alu instid0(VALU_DEP_2) | instskip(SKIP_1) | instid1(VALU_DEP_2)
	v_dual_add_f32 v8, v24, v25 :: v_dual_add_f32 v2, v5, v2
	v_add_f32_e32 v5, v30, v31
	v_dual_add_f32 v3, v6, v3 :: v_dual_add_f32 v2, v4, v2
	s_delay_alu instid0(VALU_DEP_2) | instskip(NEXT) | instid1(VALU_DEP_2)
	v_dual_add_f32 v9, v46, v47 :: v_dual_add_f32 v15, v15, v5
	v_dual_add_f32 v6, v8, v7 :: v_dual_add_f32 v11, v11, v2
	s_delay_alu instid0(VALU_DEP_1) | instskip(NEXT) | instid1(VALU_DEP_4)
	v_dual_add_f32 v14, v14, v9 :: v_dual_add_f32 v16, v16, v6
	v_add_f32_e32 v17, v17, v3
.LBB328_560:                            ;   in Loop: Header=BB328_561 Depth=1
	s_or_b32 exec_lo, exec_lo, s19
	v_add_nc_u32_e32 v34, 4, v34
	v_add_nc_u64_e32 v[22:23], 16, v[22:23]
	v_add_nc_u32_e32 v26, 64, v26
	v_add_nc_u32_e32 v36, 0x100, v36
	s_delay_alu instid0(VALU_DEP_4) | instskip(SKIP_1) | instid1(SALU_CYCLE_1)
	v_cmp_le_i32_e32 vcc_lo, s35, v34
	s_or_b32 s18, vcc_lo, s18
	s_and_not1_b32 exec_lo, exec_lo, s18
	s_cbranch_execz .LBB328_1058
.LBB328_561:                            ; =>This Inner Loop Header: Depth=1
	v_mov_b32_e32 v27, v19
	s_delay_alu instid0(VALU_DEP_1) | instskip(NEXT) | instid1(VALU_DEP_1)
	v_mul_u64_e32 v[2:3], s[22:23], v[26:27]
	v_mul_lo_u32 v2, v3, s16
	s_delay_alu instid0(VALU_DEP_1) | instskip(NEXT) | instid1(VALU_DEP_1)
	v_sub_nc_u32_e32 v2, v26, v2
	v_subrev_nc_u32_e32 v5, s16, v2
	v_cmp_le_u32_e32 vcc_lo, s16, v2
	s_delay_alu instid0(VALU_DEP_2) | instskip(NEXT) | instid1(VALU_DEP_1)
	v_dual_add_nc_u32 v4, 1, v3 :: v_dual_cndmask_b32 v2, v2, v5, vcc_lo
	v_cndmask_b32_e32 v3, v3, v4, vcc_lo
	s_delay_alu instid0(VALU_DEP_2) | instskip(NEXT) | instid1(VALU_DEP_2)
	v_cmp_le_u32_e32 vcc_lo, s16, v2
	v_add_nc_u32_e32 v4, 1, v3
	s_delay_alu instid0(VALU_DEP_1) | instskip(NEXT) | instid1(VALU_DEP_1)
	v_cndmask_b32_e32 v2, v3, v4, vcc_lo
	v_xor_b32_e32 v2, s15, v2
	s_delay_alu instid0(VALU_DEP_1) | instskip(NEXT) | instid1(VALU_DEP_1)
	v_subrev_nc_u32_e32 v4, s15, v2
	v_add_nc_u32_e32 v5, s21, v4
	v_cmp_lt_i32_e64 s0, s13, v4
	s_delay_alu instid0(VALU_DEP_2) | instskip(NEXT) | instid1(VALU_DEP_1)
	v_sub_nc_u32_e32 v2, 0, v5
	v_dual_ashrrev_i32 v5, 31, v5 :: v_dual_max_i32 v18, v5, v2
	s_delay_alu instid0(VALU_DEP_1) | instskip(NEXT) | instid1(VALU_DEP_1)
	v_mul_u64_e32 v[2:3], s[8:9], v[18:19]
	v_mul_lo_u32 v2, v3, s3
	s_delay_alu instid0(VALU_DEP_1) | instskip(NEXT) | instid1(VALU_DEP_1)
	v_sub_nc_u32_e32 v2, v18, v2
	v_subrev_nc_u32_e32 v3, s3, v2
	v_cmp_le_u32_e32 vcc_lo, s3, v2
	s_delay_alu instid0(VALU_DEP_2) | instskip(NEXT) | instid1(VALU_DEP_1)
	v_cndmask_b32_e32 v2, v2, v3, vcc_lo
	v_subrev_nc_u32_e32 v3, s3, v2
	v_cmp_le_u32_e32 vcc_lo, s3, v2
	s_delay_alu instid0(VALU_DEP_2) | instskip(NEXT) | instid1(VALU_DEP_1)
	v_cndmask_b32_e32 v2, v2, v3, vcc_lo
	v_xor_b32_e32 v2, v2, v5
	s_delay_alu instid0(VALU_DEP_1) | instskip(NEXT) | instid1(VALU_DEP_1)
	v_sub_nc_u32_e32 v2, v2, v5
	v_cmp_eq_u32_e32 vcc_lo, 0, v2
	s_or_b32 s0, vcc_lo, s0
	s_delay_alu instid0(SALU_CYCLE_1)
	s_and_saveexec_b32 s19, s0
	s_cbranch_execz .LBB328_560
; %bb.562:                              ;   in Loop: Header=BB328_561 Depth=1
	global_load_b32 v2, v[22:23], off
	v_dual_mov_b32 v41, 0 :: v_dual_mov_b32 v40, 0
	s_mov_b32 s0, exec_lo
	s_wait_loadcnt 0x0
	v_mad_nc_i64_i32 v[24:25], v2, s14, v[20:21]
	global_load_b64 v[28:29], v[24:25], off
	ds_load_2addr_b64 v[6:9], v36 offset1:1
	ds_load_2addr_b64 v[2:5], v36 offset0:2 offset1:3
	s_load_b32 s24, s[10:11], 0x0
	s_wait_loadcnt 0x0
	v_and_b32_e32 v18, 0xff, v28
	s_delay_alu instid0(VALU_DEP_1)
	v_cmpx_ne_u16_e32 0, v18
	s_cbranch_execz .LBB328_568
; %bb.563:                              ;   in Loop: Header=BB328_561 Depth=1
	v_bfrev_b32_e32 v40, 1
	s_mov_b32 s25, exec_lo
	v_cmpx_ne_u16_e32 0x80, v18
	s_cbranch_execz .LBB328_567
; %bb.564:                              ;   in Loop: Header=BB328_561 Depth=1
	v_and_b32_e32 v18, 0x7f, v28
	v_mov_b32_e32 v40, 0x7f800001
	s_mov_b32 s26, exec_lo
	s_delay_alu instid0(VALU_DEP_2)
	v_cmpx_ne_u32_e32 0x7f, v18
	s_cbranch_execz .LBB328_566
; %bb.565:                              ;   in Loop: Header=BB328_561 Depth=1
	v_dual_lshrrev_b32 v30, 3, v18 :: v_dual_bitop2_b32 v27, 7, v28 bitop3:0x40
	v_cmp_gt_u32_e32 vcc_lo, 8, v18
	s_delay_alu instid0(VALU_DEP_2) | instskip(NEXT) | instid1(VALU_DEP_1)
	v_clz_i32_u32_e32 v27, v27
	v_min_u32_e32 v27, 32, v27
	s_delay_alu instid0(VALU_DEP_1) | instskip(SKIP_1) | instid1(VALU_DEP_1)
	v_subrev_nc_u32_e32 v31, 28, v27
	v_sub_nc_u32_e32 v27, 29, v27
	v_cndmask_b32_e32 v18, v30, v27, vcc_lo
	s_delay_alu instid0(VALU_DEP_3) | instskip(NEXT) | instid1(VALU_DEP_1)
	v_cndmask_b32_e32 v27, 0, v31, vcc_lo
	v_lshlrev_b64_e32 v[30:31], v27, v[28:29]
	v_lshlrev_b32_e32 v27, 24, v28
	s_delay_alu instid0(VALU_DEP_4) | instskip(NEXT) | instid1(VALU_DEP_2)
	v_lshl_add_u32 v18, v18, 23, 0x3c000000
	v_and_b32_e32 v27, 0x80000000, v27
	s_delay_alu instid0(VALU_DEP_4) | instskip(NEXT) | instid1(VALU_DEP_1)
	v_lshlrev_b32_e32 v30, 20, v30
	v_and_b32_e32 v30, 0x700000, v30
	s_delay_alu instid0(VALU_DEP_1)
	v_or3_b32 v40, v30, v27, v18
.LBB328_566:                            ;   in Loop: Header=BB328_561 Depth=1
	s_or_b32 exec_lo, exec_lo, s26
.LBB328_567:                            ;   in Loop: Header=BB328_561 Depth=1
	s_delay_alu instid0(SALU_CYCLE_1)
	s_or_b32 exec_lo, exec_lo, s25
.LBB328_568:                            ;   in Loop: Header=BB328_561 Depth=1
	s_delay_alu instid0(SALU_CYCLE_1) | instskip(SKIP_2) | instid1(VALU_DEP_1)
	s_or_b32 exec_lo, exec_lo, s0
	v_lshrrev_b16 v18, 8, v28
	s_mov_b32 s0, exec_lo
	v_cmpx_ne_u16_e32 0, v18
	s_cbranch_execz .LBB328_576
; %bb.569:                              ;   in Loop: Header=BB328_561 Depth=1
	v_bfrev_b32_e32 v41, 1
	s_mov_b32 s25, exec_lo
	v_cmpx_ne_u16_e32 0x80, v18
	s_cbranch_execz .LBB328_575
; %bb.570:                              ;   in Loop: Header=BB328_561 Depth=1
	v_and_b32_e32 v18, 0xffff, v18
	v_mov_b32_e32 v41, 0x7f800001
	s_mov_b32 s26, exec_lo
	s_delay_alu instid0(VALU_DEP_2) | instskip(NEXT) | instid1(VALU_DEP_1)
	v_and_b32_e32 v30, 0x7f, v18
	v_cmpx_ne_u32_e32 0x7f, v30
	s_cbranch_execz .LBB328_574
; %bb.571:                              ;   in Loop: Header=BB328_561 Depth=1
	v_and_b32_e32 v18, 7, v18
	v_lshrrev_b32_e32 v27, 3, v30
	s_mov_b32 s27, exec_lo
	v_cmpx_gt_u32_e32 8, v30
; %bb.572:                              ;   in Loop: Header=BB328_561 Depth=1
	s_delay_alu instid0(VALU_DEP_3) | instskip(NEXT) | instid1(VALU_DEP_1)
	v_clz_i32_u32_e32 v27, v18
	v_min_u32_e32 v27, 32, v27
	s_delay_alu instid0(VALU_DEP_1) | instskip(NEXT) | instid1(VALU_DEP_1)
	v_subrev_nc_u32_e32 v30, 28, v27
	v_lshlrev_b64_e32 v[30:31], v30, v[18:19]
	s_delay_alu instid0(VALU_DEP_1)
	v_dual_sub_nc_u32 v27, 29, v27 :: v_dual_bitop2_b32 v18, 7, v30 bitop3:0x40
; %bb.573:                              ;   in Loop: Header=BB328_561 Depth=1
	s_or_b32 exec_lo, exec_lo, s27
	s_delay_alu instid0(VALU_DEP_1) | instskip(NEXT) | instid1(VALU_DEP_2)
	v_dual_lshlrev_b32 v30, 16, v28 :: v_dual_lshlrev_b32 v18, 20, v18
	v_lshl_add_u32 v27, v27, 23, 0x3c000000
	s_delay_alu instid0(VALU_DEP_2) | instskip(NEXT) | instid1(VALU_DEP_1)
	v_and_b32_e32 v30, 0x80000000, v30
	v_or3_b32 v41, v18, v30, v27
.LBB328_574:                            ;   in Loop: Header=BB328_561 Depth=1
	s_or_b32 exec_lo, exec_lo, s26
.LBB328_575:                            ;   in Loop: Header=BB328_561 Depth=1
	s_delay_alu instid0(SALU_CYCLE_1)
	s_or_b32 exec_lo, exec_lo, s25
.LBB328_576:                            ;   in Loop: Header=BB328_561 Depth=1
	s_delay_alu instid0(SALU_CYCLE_1) | instskip(SKIP_3) | instid1(VALU_DEP_2)
	s_or_b32 exec_lo, exec_lo, s0
	v_dual_mov_b32 v42, 0 :: v_dual_lshrrev_b32 v27, 16, v28
	v_mov_b32_e32 v43, 0
	s_mov_b32 s0, exec_lo
	v_and_b32_e32 v18, 0xff, v27
	s_delay_alu instid0(VALU_DEP_1)
	v_cmpx_ne_u16_e32 0, v18
	s_cbranch_execz .LBB328_584
; %bb.577:                              ;   in Loop: Header=BB328_561 Depth=1
	v_bfrev_b32_e32 v43, 1
	s_mov_b32 s25, exec_lo
	v_cmpx_ne_u16_e32 0x80, v18
	s_cbranch_execz .LBB328_583
; %bb.578:                              ;   in Loop: Header=BB328_561 Depth=1
	v_bfe_u32 v31, v28, 16, 7
	v_mov_b32_e32 v43, 0x7f800001
	s_mov_b32 s26, exec_lo
	s_delay_alu instid0(VALU_DEP_2)
	v_cmpx_ne_u32_e32 0x7f, v31
	s_cbranch_execz .LBB328_582
; %bb.579:                              ;   in Loop: Header=BB328_561 Depth=1
	v_and_b32_e32 v18, 7, v27
	v_lshrrev_b32_e32 v30, 3, v31
	s_mov_b32 s27, exec_lo
	v_cmpx_gt_u32_e32 8, v31
; %bb.580:                              ;   in Loop: Header=BB328_561 Depth=1
	s_delay_alu instid0(VALU_DEP_3) | instskip(NEXT) | instid1(VALU_DEP_1)
	v_clz_i32_u32_e32 v30, v18
	v_min_u32_e32 v30, 32, v30
	s_delay_alu instid0(VALU_DEP_1) | instskip(NEXT) | instid1(VALU_DEP_1)
	v_subrev_nc_u32_e32 v31, 28, v30
	v_lshlrev_b64_e32 v[44:45], v31, v[18:19]
	s_delay_alu instid0(VALU_DEP_1)
	v_dual_sub_nc_u32 v30, 29, v30 :: v_dual_bitop2_b32 v18, 7, v44 bitop3:0x40
; %bb.581:                              ;   in Loop: Header=BB328_561 Depth=1
	s_or_b32 exec_lo, exec_lo, s27
	s_delay_alu instid0(VALU_DEP_1) | instskip(NEXT) | instid1(VALU_DEP_2)
	v_dual_lshlrev_b32 v27, 24, v27 :: v_dual_lshlrev_b32 v18, 20, v18
	v_lshl_add_u32 v30, v30, 23, 0x3c000000
	s_delay_alu instid0(VALU_DEP_2) | instskip(NEXT) | instid1(VALU_DEP_1)
	v_and_b32_e32 v27, 0x80000000, v27
	v_or3_b32 v43, v18, v27, v30
.LBB328_582:                            ;   in Loop: Header=BB328_561 Depth=1
	s_or_b32 exec_lo, exec_lo, s26
.LBB328_583:                            ;   in Loop: Header=BB328_561 Depth=1
	s_delay_alu instid0(SALU_CYCLE_1)
	s_or_b32 exec_lo, exec_lo, s25
.LBB328_584:                            ;   in Loop: Header=BB328_561 Depth=1
	s_delay_alu instid0(SALU_CYCLE_1) | instskip(NEXT) | instid1(SALU_CYCLE_1)
	s_or_b32 exec_lo, exec_lo, s0
	s_mov_b32 s0, exec_lo
	v_cmpx_lt_u32_e32 0xffffff, v28
	s_cbranch_execz .LBB328_592
; %bb.585:                              ;   in Loop: Header=BB328_561 Depth=1
	v_lshrrev_b32_e32 v27, 24, v28
	v_bfrev_b32_e32 v42, 1
	s_mov_b32 s25, exec_lo
	s_delay_alu instid0(VALU_DEP_2)
	v_cmpx_ne_u32_e32 0x80, v27
	s_cbranch_execz .LBB328_591
; %bb.586:                              ;   in Loop: Header=BB328_561 Depth=1
	v_bfe_u32 v31, v28, 24, 7
	v_mov_b32_e32 v42, 0x7f800001
	s_mov_b32 s26, exec_lo
	s_delay_alu instid0(VALU_DEP_2)
	v_cmpx_ne_u32_e32 0x7f, v31
	s_cbranch_execz .LBB328_590
; %bb.587:                              ;   in Loop: Header=BB328_561 Depth=1
	v_and_b32_e32 v18, 7, v27
	v_lshrrev_b32_e32 v30, 3, v31
	s_mov_b32 s27, exec_lo
	v_cmpx_gt_u32_e32 8, v31
; %bb.588:                              ;   in Loop: Header=BB328_561 Depth=1
	s_delay_alu instid0(VALU_DEP_3) | instskip(NEXT) | instid1(VALU_DEP_1)
	v_clz_i32_u32_e32 v30, v18
	v_min_u32_e32 v30, 32, v30
	s_delay_alu instid0(VALU_DEP_1) | instskip(NEXT) | instid1(VALU_DEP_1)
	v_subrev_nc_u32_e32 v31, 28, v30
	v_lshlrev_b64_e32 v[44:45], v31, v[18:19]
	s_delay_alu instid0(VALU_DEP_1)
	v_dual_sub_nc_u32 v30, 29, v30 :: v_dual_bitop2_b32 v18, 7, v44 bitop3:0x40
; %bb.589:                              ;   in Loop: Header=BB328_561 Depth=1
	s_or_b32 exec_lo, exec_lo, s27
	s_delay_alu instid0(VALU_DEP_1) | instskip(NEXT) | instid1(VALU_DEP_2)
	v_dual_lshlrev_b32 v27, 24, v27 :: v_dual_lshlrev_b32 v18, 20, v18
	v_lshl_add_u32 v30, v30, 23, 0x3c000000
	s_delay_alu instid0(VALU_DEP_2) | instskip(NEXT) | instid1(VALU_DEP_1)
	v_and_b32_e32 v27, 0x80000000, v27
	v_or3_b32 v42, v18, v27, v30
.LBB328_590:                            ;   in Loop: Header=BB328_561 Depth=1
	s_or_b32 exec_lo, exec_lo, s26
.LBB328_591:                            ;   in Loop: Header=BB328_561 Depth=1
	s_delay_alu instid0(SALU_CYCLE_1)
	s_or_b32 exec_lo, exec_lo, s25
.LBB328_592:                            ;   in Loop: Header=BB328_561 Depth=1
	s_delay_alu instid0(SALU_CYCLE_1) | instskip(SKIP_4) | instid1(VALU_DEP_3)
	s_or_b32 exec_lo, exec_lo, s0
	v_and_b32_e32 v30, 0xff, v29
	v_dual_mov_b32 v18, v29 :: v_dual_mov_b32 v27, 0
	v_mov_b32_e32 v37, 0
	s_mov_b32 s0, exec_lo
	v_cmpx_ne_u16_e32 0, v30
	s_cbranch_execz .LBB328_598
; %bb.593:                              ;   in Loop: Header=BB328_561 Depth=1
	v_bfrev_b32_e32 v37, 1
	s_mov_b32 s25, exec_lo
	v_cmpx_ne_u16_e32 0x80, v30
	s_cbranch_execz .LBB328_597
; %bb.594:                              ;   in Loop: Header=BB328_561 Depth=1
	v_and_b32_e32 v30, 0x7f, v29
	v_mov_b32_e32 v37, 0x7f800001
	s_mov_b32 s26, exec_lo
	s_delay_alu instid0(VALU_DEP_2)
	v_cmpx_ne_u32_e32 0x7f, v30
	s_cbranch_execz .LBB328_596
; %bb.595:                              ;   in Loop: Header=BB328_561 Depth=1
	v_dual_lshrrev_b32 v37, 3, v30 :: v_dual_bitop2_b32 v31, 7, v29 bitop3:0x40
	v_cmp_gt_u32_e32 vcc_lo, 8, v30
	s_delay_alu instid0(VALU_DEP_2) | instskip(NEXT) | instid1(VALU_DEP_1)
	v_clz_i32_u32_e32 v31, v31
	v_min_u32_e32 v31, 32, v31
	s_delay_alu instid0(VALU_DEP_1) | instskip(NEXT) | instid1(VALU_DEP_1)
	v_subrev_nc_u32_e32 v44, 28, v31
	v_dual_cndmask_b32 v30, 0, v44 :: v_dual_sub_nc_u32 v31, 29, v31
	s_delay_alu instid0(VALU_DEP_1) | instskip(NEXT) | instid1(VALU_DEP_2)
	v_cndmask_b32_e32 v37, v37, v31, vcc_lo
	v_lshlrev_b64_e32 v[30:31], v30, v[18:19]
	v_lshlrev_b32_e32 v31, 24, v18
	s_delay_alu instid0(VALU_DEP_3) | instskip(NEXT) | instid1(VALU_DEP_2)
	v_lshl_add_u32 v37, v37, 23, 0x3c000000
	v_and_b32_e32 v31, 0x80000000, v31
	s_delay_alu instid0(VALU_DEP_4) | instskip(NEXT) | instid1(VALU_DEP_1)
	v_lshlrev_b32_e32 v30, 20, v30
	v_and_b32_e32 v30, 0x700000, v30
	s_delay_alu instid0(VALU_DEP_1)
	v_or3_b32 v37, v30, v31, v37
.LBB328_596:                            ;   in Loop: Header=BB328_561 Depth=1
	s_or_b32 exec_lo, exec_lo, s26
.LBB328_597:                            ;   in Loop: Header=BB328_561 Depth=1
	s_delay_alu instid0(SALU_CYCLE_1)
	s_or_b32 exec_lo, exec_lo, s25
.LBB328_598:                            ;   in Loop: Header=BB328_561 Depth=1
	s_delay_alu instid0(SALU_CYCLE_1) | instskip(SKIP_2) | instid1(VALU_DEP_1)
	s_or_b32 exec_lo, exec_lo, s0
	v_lshrrev_b16 v30, 8, v18
	s_mov_b32 s0, exec_lo
	v_cmpx_ne_u16_e32 0, v30
	s_cbranch_execz .LBB328_606
; %bb.599:                              ;   in Loop: Header=BB328_561 Depth=1
	v_bfrev_b32_e32 v27, 1
	s_mov_b32 s25, exec_lo
	v_cmpx_ne_u16_e32 0x80, v30
	s_cbranch_execz .LBB328_605
; %bb.600:                              ;   in Loop: Header=BB328_561 Depth=1
	v_and_b32_e32 v30, 0xffff, v30
	v_mov_b32_e32 v27, 0x7f800001
	s_mov_b32 s26, exec_lo
	s_delay_alu instid0(VALU_DEP_2) | instskip(NEXT) | instid1(VALU_DEP_1)
	v_and_b32_e32 v44, 0x7f, v30
	v_cmpx_ne_u32_e32 0x7f, v44
	s_cbranch_execz .LBB328_604
; %bb.601:                              ;   in Loop: Header=BB328_561 Depth=1
	v_dual_mov_b32 v31, v19 :: v_dual_bitop2_b32 v30, 7, v30 bitop3:0x40
	v_lshrrev_b32_e32 v27, 3, v44
	s_mov_b32 s27, exec_lo
	v_cmpx_gt_u32_e32 8, v44
; %bb.602:                              ;   in Loop: Header=BB328_561 Depth=1
	s_delay_alu instid0(VALU_DEP_3) | instskip(NEXT) | instid1(VALU_DEP_1)
	v_clz_i32_u32_e32 v27, v30
	v_min_u32_e32 v27, 32, v27
	s_delay_alu instid0(VALU_DEP_1) | instskip(NEXT) | instid1(VALU_DEP_1)
	v_subrev_nc_u32_e32 v44, 28, v27
	v_lshlrev_b64_e32 v[30:31], v44, v[30:31]
	s_delay_alu instid0(VALU_DEP_1)
	v_dual_sub_nc_u32 v27, 29, v27 :: v_dual_bitop2_b32 v30, 7, v30 bitop3:0x40
; %bb.603:                              ;   in Loop: Header=BB328_561 Depth=1
	s_or_b32 exec_lo, exec_lo, s27
	v_lshlrev_b32_e32 v18, 16, v18
	s_delay_alu instid0(VALU_DEP_2) | instskip(NEXT) | instid1(VALU_DEP_3)
	v_lshlrev_b32_e32 v30, 20, v30
	v_lshl_add_u32 v27, v27, 23, 0x3c000000
	s_delay_alu instid0(VALU_DEP_3) | instskip(NEXT) | instid1(VALU_DEP_1)
	v_and_b32_e32 v18, 0x80000000, v18
	v_or3_b32 v27, v30, v18, v27
.LBB328_604:                            ;   in Loop: Header=BB328_561 Depth=1
	s_or_b32 exec_lo, exec_lo, s26
.LBB328_605:                            ;   in Loop: Header=BB328_561 Depth=1
	s_delay_alu instid0(SALU_CYCLE_1)
	s_or_b32 exec_lo, exec_lo, s25
.LBB328_606:                            ;   in Loop: Header=BB328_561 Depth=1
	s_delay_alu instid0(SALU_CYCLE_1) | instskip(SKIP_3) | instid1(VALU_DEP_2)
	s_or_b32 exec_lo, exec_lo, s0
	v_dual_lshrrev_b32 v44, 16, v29 :: v_dual_mov_b32 v30, 0
	v_mov_b32_e32 v31, 0
	s_mov_b32 s0, exec_lo
	v_and_b32_e32 v18, 0xff, v44
	s_delay_alu instid0(VALU_DEP_1)
	v_cmpx_ne_u16_e32 0, v18
	s_cbranch_execz .LBB328_614
; %bb.607:                              ;   in Loop: Header=BB328_561 Depth=1
	v_bfrev_b32_e32 v31, 1
	s_mov_b32 s25, exec_lo
	v_cmpx_ne_u16_e32 0x80, v18
	s_cbranch_execz .LBB328_613
; %bb.608:                              ;   in Loop: Header=BB328_561 Depth=1
	v_bfe_u32 v45, v29, 16, 7
	v_mov_b32_e32 v31, 0x7f800001
	s_mov_b32 s26, exec_lo
	s_delay_alu instid0(VALU_DEP_2)
	v_cmpx_ne_u32_e32 0x7f, v45
	s_cbranch_execz .LBB328_612
; %bb.609:                              ;   in Loop: Header=BB328_561 Depth=1
	v_dual_lshrrev_b32 v31, 3, v45 :: v_dual_bitop2_b32 v18, 7, v44 bitop3:0x40
	s_mov_b32 s27, exec_lo
	v_cmpx_gt_u32_e32 8, v45
; %bb.610:                              ;   in Loop: Header=BB328_561 Depth=1
	s_delay_alu instid0(VALU_DEP_2) | instskip(NEXT) | instid1(VALU_DEP_1)
	v_clz_i32_u32_e32 v31, v18
	v_min_u32_e32 v31, 32, v31
	s_delay_alu instid0(VALU_DEP_1) | instskip(NEXT) | instid1(VALU_DEP_1)
	v_subrev_nc_u32_e32 v45, 28, v31
	v_lshlrev_b64_e32 v[46:47], v45, v[18:19]
	s_delay_alu instid0(VALU_DEP_1)
	v_dual_sub_nc_u32 v31, 29, v31 :: v_dual_bitop2_b32 v18, 7, v46 bitop3:0x40
; %bb.611:                              ;   in Loop: Header=BB328_561 Depth=1
	s_or_b32 exec_lo, exec_lo, s27
	s_delay_alu instid0(VALU_DEP_1) | instskip(NEXT) | instid1(VALU_DEP_2)
	v_dual_lshlrev_b32 v44, 24, v44 :: v_dual_lshlrev_b32 v18, 20, v18
	v_lshl_add_u32 v31, v31, 23, 0x3c000000
	s_delay_alu instid0(VALU_DEP_2) | instskip(NEXT) | instid1(VALU_DEP_1)
	v_and_b32_e32 v44, 0x80000000, v44
	v_or3_b32 v31, v18, v44, v31
.LBB328_612:                            ;   in Loop: Header=BB328_561 Depth=1
	s_or_b32 exec_lo, exec_lo, s26
.LBB328_613:                            ;   in Loop: Header=BB328_561 Depth=1
	s_delay_alu instid0(SALU_CYCLE_1)
	s_or_b32 exec_lo, exec_lo, s25
.LBB328_614:                            ;   in Loop: Header=BB328_561 Depth=1
	s_delay_alu instid0(SALU_CYCLE_1) | instskip(NEXT) | instid1(SALU_CYCLE_1)
	s_or_b32 exec_lo, exec_lo, s0
	s_mov_b32 s0, exec_lo
	v_cmpx_lt_u64_e64 s[4:5], v[28:29]
	s_cbranch_execz .LBB328_622
; %bb.615:                              ;   in Loop: Header=BB328_561 Depth=1
	v_lshrrev_b32_e32 v28, 24, v29
	v_bfrev_b32_e32 v30, 1
	s_mov_b32 s25, exec_lo
	s_delay_alu instid0(VALU_DEP_2)
	v_cmpx_ne_u32_e32 0x80, v28
	s_cbranch_execz .LBB328_621
; %bb.616:                              ;   in Loop: Header=BB328_561 Depth=1
	v_bfe_u32 v44, v29, 24, 7
	v_mov_b32_e32 v30, 0x7f800001
	s_mov_b32 s26, exec_lo
	s_delay_alu instid0(VALU_DEP_2)
	v_cmpx_ne_u32_e32 0x7f, v44
	s_cbranch_execz .LBB328_620
; %bb.617:                              ;   in Loop: Header=BB328_561 Depth=1
	v_and_b32_e32 v18, 7, v28
	v_lshrrev_b32_e32 v29, 3, v44
	s_mov_b32 s27, exec_lo
	v_cmpx_gt_u32_e32 8, v44
; %bb.618:                              ;   in Loop: Header=BB328_561 Depth=1
	s_delay_alu instid0(VALU_DEP_3) | instskip(NEXT) | instid1(VALU_DEP_1)
	v_clz_i32_u32_e32 v29, v18
	v_min_u32_e32 v29, 32, v29
	s_delay_alu instid0(VALU_DEP_1) | instskip(NEXT) | instid1(VALU_DEP_1)
	v_subrev_nc_u32_e32 v30, 28, v29
	v_lshlrev_b64_e32 v[44:45], v30, v[18:19]
	s_delay_alu instid0(VALU_DEP_1)
	v_dual_sub_nc_u32 v29, 29, v29 :: v_dual_bitop2_b32 v18, 7, v44 bitop3:0x40
; %bb.619:                              ;   in Loop: Header=BB328_561 Depth=1
	s_or_b32 exec_lo, exec_lo, s27
	s_delay_alu instid0(VALU_DEP_1) | instskip(NEXT) | instid1(VALU_DEP_2)
	v_dual_lshlrev_b32 v28, 24, v28 :: v_dual_lshlrev_b32 v18, 20, v18
	v_lshl_add_u32 v29, v29, 23, 0x3c000000
	s_delay_alu instid0(VALU_DEP_2) | instskip(NEXT) | instid1(VALU_DEP_1)
	v_and_b32_e32 v28, 0x80000000, v28
	v_or3_b32 v30, v18, v28, v29
.LBB328_620:                            ;   in Loop: Header=BB328_561 Depth=1
	s_or_b32 exec_lo, exec_lo, s26
.LBB328_621:                            ;   in Loop: Header=BB328_561 Depth=1
	s_delay_alu instid0(SALU_CYCLE_1)
	s_or_b32 exec_lo, exec_lo, s25
.LBB328_622:                            ;   in Loop: Header=BB328_561 Depth=1
	s_delay_alu instid0(SALU_CYCLE_1)
	s_or_b32 exec_lo, exec_lo, s0
	v_add_nc_u32_e32 v46, v35, v26
	v_cmp_eq_u32_e32 vcc_lo, s17, v34
	s_wait_kmcnt 0x0
	v_fma_mixlo_bf16 v27, s24, v27, 0
	v_fma_mixlo_bf16 v37, s24, v37, 0
	;; [unrolled: 1-line block ×8, first 2 shown]
	v_dual_add_nc_u32 v53, 1, v46 :: v_dual_add_nc_u32 v52, 2, v46
	v_dual_add_nc_u32 v51, 3, v46 :: v_dual_add_nc_u32 v50, 4, v46
	;; [unrolled: 1-line block ×3, first 2 shown]
	v_add_nc_u32_e32 v47, 7, v46
	s_and_saveexec_b32 s25, vcc_lo
	s_cbranch_execz .LBB328_624
; %bb.623:                              ;   in Loop: Header=BB328_561 Depth=1
	v_cmp_gt_i32_e64 s0, s34, v46
	s_delay_alu instid0(VALU_DEP_1) | instskip(SKIP_1) | instid1(VALU_DEP_1)
	v_cndmask_b32_e64 v45, 0, v45, s0
	v_cmp_gt_i32_e64 s0, s34, v53
	v_cndmask_b32_e64 v44, 0, v44, s0
	v_cmp_gt_i32_e64 s0, s34, v52
	s_delay_alu instid0(VALU_DEP_1) | instskip(SKIP_1) | instid1(VALU_DEP_1)
	v_cndmask_b32_e64 v43, 0, v43, s0
	v_cmp_gt_i32_e64 s0, s34, v51
	v_cndmask_b32_e64 v42, 0, v42, s0
	;; [unrolled: 5-line block ×4, first 2 shown]
.LBB328_624:                            ;   in Loop: Header=BB328_561 Depth=1
	s_or_b32 exec_lo, exec_lo, s25
	global_load_b64 v[28:29], v[24:25], off offset:256
	v_dual_mov_b32 v57, 0 :: v_dual_mov_b32 v56, 0
	s_mov_b32 s25, exec_lo
	s_wait_loadcnt 0x0
	v_and_b32_e32 v18, 0xff, v28
	s_delay_alu instid0(VALU_DEP_1)
	v_cmpx_ne_u16_e32 0, v18
	s_cbranch_execz .LBB328_630
; %bb.625:                              ;   in Loop: Header=BB328_561 Depth=1
	v_bfrev_b32_e32 v56, 1
	s_mov_b32 s26, exec_lo
	v_cmpx_ne_u16_e32 0x80, v18
	s_cbranch_execz .LBB328_629
; %bb.626:                              ;   in Loop: Header=BB328_561 Depth=1
	v_and_b32_e32 v18, 0x7f, v28
	v_mov_b32_e32 v56, 0x7f800001
	s_mov_b32 s27, exec_lo
	s_delay_alu instid0(VALU_DEP_2)
	v_cmpx_ne_u32_e32 0x7f, v18
	s_cbranch_execz .LBB328_628
; %bb.627:                              ;   in Loop: Header=BB328_561 Depth=1
	v_dual_lshrrev_b32 v31, 3, v18 :: v_dual_bitop2_b32 v30, 7, v28 bitop3:0x40
	v_cmp_gt_u32_e64 s0, 8, v18
	s_delay_alu instid0(VALU_DEP_2) | instskip(NEXT) | instid1(VALU_DEP_1)
	v_clz_i32_u32_e32 v30, v30
	v_min_u32_e32 v30, 32, v30
	s_delay_alu instid0(VALU_DEP_1) | instskip(SKIP_1) | instid1(VALU_DEP_1)
	v_subrev_nc_u32_e32 v54, 28, v30
	v_sub_nc_u32_e32 v30, 29, v30
	v_cndmask_b32_e64 v18, v31, v30, s0
	s_delay_alu instid0(VALU_DEP_3) | instskip(NEXT) | instid1(VALU_DEP_1)
	v_cndmask_b32_e64 v30, 0, v54, s0
	v_lshlrev_b64_e32 v[30:31], v30, v[28:29]
	v_lshlrev_b32_e32 v31, 24, v28
	s_delay_alu instid0(VALU_DEP_1) | instskip(NEXT) | instid1(VALU_DEP_3)
	v_and_b32_e32 v31, 0x80000000, v31
	v_lshlrev_b32_e32 v30, 20, v30
	v_lshl_add_u32 v18, v18, 23, 0x3c000000
	s_delay_alu instid0(VALU_DEP_2) | instskip(NEXT) | instid1(VALU_DEP_1)
	v_and_b32_e32 v30, 0x700000, v30
	v_or3_b32 v56, v30, v31, v18
.LBB328_628:                            ;   in Loop: Header=BB328_561 Depth=1
	s_or_b32 exec_lo, exec_lo, s27
.LBB328_629:                            ;   in Loop: Header=BB328_561 Depth=1
	s_delay_alu instid0(SALU_CYCLE_1)
	s_or_b32 exec_lo, exec_lo, s26
.LBB328_630:                            ;   in Loop: Header=BB328_561 Depth=1
	s_delay_alu instid0(SALU_CYCLE_1) | instskip(SKIP_2) | instid1(VALU_DEP_1)
	s_or_b32 exec_lo, exec_lo, s25
	v_lshrrev_b16 v18, 8, v28
	s_mov_b32 s25, exec_lo
	v_cmpx_ne_u16_e32 0, v18
	s_cbranch_execz .LBB328_638
; %bb.631:                              ;   in Loop: Header=BB328_561 Depth=1
	v_bfrev_b32_e32 v57, 1
	s_mov_b32 s26, exec_lo
	v_cmpx_ne_u16_e32 0x80, v18
	s_cbranch_execz .LBB328_637
; %bb.632:                              ;   in Loop: Header=BB328_561 Depth=1
	v_and_b32_e32 v18, 0xffff, v18
	v_mov_b32_e32 v57, 0x7f800001
	s_mov_b32 s27, exec_lo
	s_delay_alu instid0(VALU_DEP_2) | instskip(NEXT) | instid1(VALU_DEP_1)
	v_and_b32_e32 v31, 0x7f, v18
	v_cmpx_ne_u32_e32 0x7f, v31
	s_cbranch_execz .LBB328_636
; %bb.633:                              ;   in Loop: Header=BB328_561 Depth=1
	v_dual_lshrrev_b32 v30, 3, v31 :: v_dual_bitop2_b32 v18, 7, v18 bitop3:0x40
	s_mov_b32 s28, exec_lo
	v_cmpx_gt_u32_e32 8, v31
; %bb.634:                              ;   in Loop: Header=BB328_561 Depth=1
	s_delay_alu instid0(VALU_DEP_2) | instskip(NEXT) | instid1(VALU_DEP_1)
	v_clz_i32_u32_e32 v30, v18
	v_min_u32_e32 v30, 32, v30
	s_delay_alu instid0(VALU_DEP_1) | instskip(SKIP_1) | instid1(VALU_DEP_2)
	v_subrev_nc_u32_e32 v31, 28, v30
	v_sub_nc_u32_e32 v30, 29, v30
	v_lshlrev_b64_e32 v[54:55], v31, v[18:19]
	s_delay_alu instid0(VALU_DEP_1)
	v_and_b32_e32 v18, 7, v54
; %bb.635:                              ;   in Loop: Header=BB328_561 Depth=1
	s_or_b32 exec_lo, exec_lo, s28
	s_delay_alu instid0(VALU_DEP_1) | instskip(SKIP_1) | instid1(VALU_DEP_2)
	v_dual_lshlrev_b32 v31, 16, v28 :: v_dual_lshlrev_b32 v18, 20, v18
	v_lshl_add_u32 v30, v30, 23, 0x3c000000
	v_and_b32_e32 v31, 0x80000000, v31
	s_delay_alu instid0(VALU_DEP_1)
	v_or3_b32 v57, v18, v31, v30
.LBB328_636:                            ;   in Loop: Header=BB328_561 Depth=1
	s_or_b32 exec_lo, exec_lo, s27
.LBB328_637:                            ;   in Loop: Header=BB328_561 Depth=1
	s_delay_alu instid0(SALU_CYCLE_1)
	s_or_b32 exec_lo, exec_lo, s26
.LBB328_638:                            ;   in Loop: Header=BB328_561 Depth=1
	s_delay_alu instid0(SALU_CYCLE_1) | instskip(SKIP_3) | instid1(VALU_DEP_2)
	s_or_b32 exec_lo, exec_lo, s25
	v_dual_lshrrev_b32 v30, 16, v28 :: v_dual_mov_b32 v58, 0
	v_mov_b32_e32 v59, 0
	s_mov_b32 s25, exec_lo
	v_and_b32_e32 v18, 0xff, v30
	s_delay_alu instid0(VALU_DEP_1)
	v_cmpx_ne_u16_e32 0, v18
	s_cbranch_execz .LBB328_646
; %bb.639:                              ;   in Loop: Header=BB328_561 Depth=1
	v_bfrev_b32_e32 v59, 1
	s_mov_b32 s26, exec_lo
	v_cmpx_ne_u16_e32 0x80, v18
	s_cbranch_execz .LBB328_645
; %bb.640:                              ;   in Loop: Header=BB328_561 Depth=1
	v_bfe_u32 v54, v28, 16, 7
	v_mov_b32_e32 v59, 0x7f800001
	s_mov_b32 s27, exec_lo
	s_delay_alu instid0(VALU_DEP_2)
	v_cmpx_ne_u32_e32 0x7f, v54
	s_cbranch_execz .LBB328_644
; %bb.641:                              ;   in Loop: Header=BB328_561 Depth=1
	v_and_b32_e32 v18, 7, v30
	v_lshrrev_b32_e32 v31, 3, v54
	s_mov_b32 s28, exec_lo
	v_cmpx_gt_u32_e32 8, v54
; %bb.642:                              ;   in Loop: Header=BB328_561 Depth=1
	s_delay_alu instid0(VALU_DEP_3) | instskip(NEXT) | instid1(VALU_DEP_1)
	v_clz_i32_u32_e32 v31, v18
	v_min_u32_e32 v31, 32, v31
	s_delay_alu instid0(VALU_DEP_1) | instskip(NEXT) | instid1(VALU_DEP_1)
	v_subrev_nc_u32_e32 v54, 28, v31
	v_lshlrev_b64_e32 v[54:55], v54, v[18:19]
	s_delay_alu instid0(VALU_DEP_1)
	v_dual_sub_nc_u32 v31, 29, v31 :: v_dual_bitop2_b32 v18, 7, v54 bitop3:0x40
; %bb.643:                              ;   in Loop: Header=BB328_561 Depth=1
	s_or_b32 exec_lo, exec_lo, s28
	v_lshlrev_b32_e32 v30, 24, v30
	s_delay_alu instid0(VALU_DEP_2) | instskip(NEXT) | instid1(VALU_DEP_3)
	v_lshlrev_b32_e32 v18, 20, v18
	v_lshl_add_u32 v31, v31, 23, 0x3c000000
	s_delay_alu instid0(VALU_DEP_3) | instskip(NEXT) | instid1(VALU_DEP_1)
	v_and_b32_e32 v30, 0x80000000, v30
	v_or3_b32 v59, v18, v30, v31
.LBB328_644:                            ;   in Loop: Header=BB328_561 Depth=1
	s_or_b32 exec_lo, exec_lo, s27
.LBB328_645:                            ;   in Loop: Header=BB328_561 Depth=1
	s_delay_alu instid0(SALU_CYCLE_1)
	s_or_b32 exec_lo, exec_lo, s26
.LBB328_646:                            ;   in Loop: Header=BB328_561 Depth=1
	s_delay_alu instid0(SALU_CYCLE_1) | instskip(NEXT) | instid1(SALU_CYCLE_1)
	s_or_b32 exec_lo, exec_lo, s25
	s_mov_b32 s25, exec_lo
	v_cmpx_lt_u32_e32 0xffffff, v28
	s_cbranch_execz .LBB328_654
; %bb.647:                              ;   in Loop: Header=BB328_561 Depth=1
	v_lshrrev_b32_e32 v30, 24, v28
	v_bfrev_b32_e32 v58, 1
	s_mov_b32 s26, exec_lo
	s_delay_alu instid0(VALU_DEP_2)
	v_cmpx_ne_u32_e32 0x80, v30
	s_cbranch_execz .LBB328_653
; %bb.648:                              ;   in Loop: Header=BB328_561 Depth=1
	v_bfe_u32 v54, v28, 24, 7
	v_mov_b32_e32 v58, 0x7f800001
	s_mov_b32 s27, exec_lo
	s_delay_alu instid0(VALU_DEP_2)
	v_cmpx_ne_u32_e32 0x7f, v54
	s_cbranch_execz .LBB328_652
; %bb.649:                              ;   in Loop: Header=BB328_561 Depth=1
	v_and_b32_e32 v18, 7, v30
	v_lshrrev_b32_e32 v31, 3, v54
	s_mov_b32 s28, exec_lo
	v_cmpx_gt_u32_e32 8, v54
; %bb.650:                              ;   in Loop: Header=BB328_561 Depth=1
	s_delay_alu instid0(VALU_DEP_3) | instskip(NEXT) | instid1(VALU_DEP_1)
	v_clz_i32_u32_e32 v31, v18
	v_min_u32_e32 v31, 32, v31
	s_delay_alu instid0(VALU_DEP_1) | instskip(NEXT) | instid1(VALU_DEP_1)
	v_subrev_nc_u32_e32 v54, 28, v31
	v_lshlrev_b64_e32 v[54:55], v54, v[18:19]
	s_delay_alu instid0(VALU_DEP_1)
	v_dual_sub_nc_u32 v31, 29, v31 :: v_dual_bitop2_b32 v18, 7, v54 bitop3:0x40
; %bb.651:                              ;   in Loop: Header=BB328_561 Depth=1
	s_or_b32 exec_lo, exec_lo, s28
	v_lshlrev_b32_e32 v30, 24, v30
	s_delay_alu instid0(VALU_DEP_2) | instskip(NEXT) | instid1(VALU_DEP_3)
	v_lshlrev_b32_e32 v18, 20, v18
	v_lshl_add_u32 v31, v31, 23, 0x3c000000
	s_delay_alu instid0(VALU_DEP_3) | instskip(NEXT) | instid1(VALU_DEP_1)
	v_and_b32_e32 v30, 0x80000000, v30
	v_or3_b32 v58, v18, v30, v31
.LBB328_652:                            ;   in Loop: Header=BB328_561 Depth=1
	s_or_b32 exec_lo, exec_lo, s27
.LBB328_653:                            ;   in Loop: Header=BB328_561 Depth=1
	s_delay_alu instid0(SALU_CYCLE_1)
	s_or_b32 exec_lo, exec_lo, s26
.LBB328_654:                            ;   in Loop: Header=BB328_561 Depth=1
	s_delay_alu instid0(SALU_CYCLE_1) | instskip(SKIP_4) | instid1(VALU_DEP_3)
	s_or_b32 exec_lo, exec_lo, s25
	v_and_b32_e32 v31, 0xff, v29
	v_dual_mov_b32 v18, v29 :: v_dual_mov_b32 v30, 0
	v_mov_b32_e32 v55, 0
	s_mov_b32 s25, exec_lo
	v_cmpx_ne_u16_e32 0, v31
	s_cbranch_execz .LBB328_660
; %bb.655:                              ;   in Loop: Header=BB328_561 Depth=1
	v_bfrev_b32_e32 v55, 1
	s_mov_b32 s26, exec_lo
	v_cmpx_ne_u16_e32 0x80, v31
	s_cbranch_execz .LBB328_659
; %bb.656:                              ;   in Loop: Header=BB328_561 Depth=1
	v_and_b32_e32 v31, 0x7f, v29
	v_mov_b32_e32 v55, 0x7f800001
	s_mov_b32 s27, exec_lo
	s_delay_alu instid0(VALU_DEP_2)
	v_cmpx_ne_u32_e32 0x7f, v31
	s_cbranch_execz .LBB328_658
; %bb.657:                              ;   in Loop: Header=BB328_561 Depth=1
	v_dual_lshrrev_b32 v55, 3, v31 :: v_dual_bitop2_b32 v54, 7, v29 bitop3:0x40
	v_cmp_gt_u32_e64 s0, 8, v31
	s_delay_alu instid0(VALU_DEP_2) | instskip(NEXT) | instid1(VALU_DEP_1)
	v_clz_i32_u32_e32 v54, v54
	v_min_u32_e32 v54, 32, v54
	s_delay_alu instid0(VALU_DEP_1) | instskip(SKIP_1) | instid1(VALU_DEP_1)
	v_subrev_nc_u32_e32 v60, 28, v54
	v_sub_nc_u32_e32 v54, 29, v54
	v_dual_cndmask_b32 v31, v55, v54, s0 :: v_dual_cndmask_b32 v54, 0, v60, s0
	s_delay_alu instid0(VALU_DEP_1) | instskip(NEXT) | instid1(VALU_DEP_2)
	v_lshl_add_u32 v31, v31, 23, 0x3c000000
	v_lshlrev_b64_e32 v[54:55], v54, v[18:19]
	v_lshlrev_b32_e32 v55, 24, v18
	s_delay_alu instid0(VALU_DEP_1) | instskip(NEXT) | instid1(VALU_DEP_3)
	v_and_b32_e32 v55, 0x80000000, v55
	v_lshlrev_b32_e32 v54, 20, v54
	s_delay_alu instid0(VALU_DEP_1) | instskip(NEXT) | instid1(VALU_DEP_1)
	v_and_b32_e32 v54, 0x700000, v54
	v_or3_b32 v55, v54, v55, v31
.LBB328_658:                            ;   in Loop: Header=BB328_561 Depth=1
	s_or_b32 exec_lo, exec_lo, s27
.LBB328_659:                            ;   in Loop: Header=BB328_561 Depth=1
	s_delay_alu instid0(SALU_CYCLE_1)
	s_or_b32 exec_lo, exec_lo, s26
.LBB328_660:                            ;   in Loop: Header=BB328_561 Depth=1
	s_delay_alu instid0(SALU_CYCLE_1) | instskip(SKIP_2) | instid1(VALU_DEP_1)
	s_or_b32 exec_lo, exec_lo, s25
	v_lshrrev_b16 v31, 8, v18
	s_mov_b32 s25, exec_lo
	v_cmpx_ne_u16_e32 0, v31
	s_cbranch_execz .LBB328_668
; %bb.661:                              ;   in Loop: Header=BB328_561 Depth=1
	v_bfrev_b32_e32 v30, 1
	s_mov_b32 s26, exec_lo
	v_cmpx_ne_u16_e32 0x80, v31
	s_cbranch_execz .LBB328_667
; %bb.662:                              ;   in Loop: Header=BB328_561 Depth=1
	v_and_b32_e32 v31, 0xffff, v31
	v_mov_b32_e32 v30, 0x7f800001
	s_mov_b32 s27, exec_lo
	s_delay_alu instid0(VALU_DEP_2) | instskip(NEXT) | instid1(VALU_DEP_1)
	v_and_b32_e32 v60, 0x7f, v31
	v_cmpx_ne_u32_e32 0x7f, v60
	s_cbranch_execz .LBB328_666
; %bb.663:                              ;   in Loop: Header=BB328_561 Depth=1
	v_dual_mov_b32 v31, v19 :: v_dual_bitop2_b32 v30, 7, v31 bitop3:0x40
	v_lshrrev_b32_e32 v54, 3, v60
	s_mov_b32 s28, exec_lo
	v_cmpx_gt_u32_e32 8, v60
; %bb.664:                              ;   in Loop: Header=BB328_561 Depth=1
	s_delay_alu instid0(VALU_DEP_3) | instskip(NEXT) | instid1(VALU_DEP_1)
	v_clz_i32_u32_e32 v54, v30
	v_min_u32_e32 v54, 32, v54
	s_delay_alu instid0(VALU_DEP_1) | instskip(SKIP_1) | instid1(VALU_DEP_2)
	v_subrev_nc_u32_e32 v60, 28, v54
	v_sub_nc_u32_e32 v54, 29, v54
	v_lshlrev_b64_e32 v[30:31], v60, v[30:31]
	s_delay_alu instid0(VALU_DEP_1)
	v_and_b32_e32 v30, 7, v30
; %bb.665:                              ;   in Loop: Header=BB328_561 Depth=1
	s_or_b32 exec_lo, exec_lo, s28
	v_lshlrev_b32_e32 v18, 16, v18
	s_delay_alu instid0(VALU_DEP_2) | instskip(SKIP_1) | instid1(VALU_DEP_3)
	v_lshlrev_b32_e32 v30, 20, v30
	v_lshl_add_u32 v31, v54, 23, 0x3c000000
	v_and_b32_e32 v18, 0x80000000, v18
	s_delay_alu instid0(VALU_DEP_1)
	v_or3_b32 v30, v30, v18, v31
.LBB328_666:                            ;   in Loop: Header=BB328_561 Depth=1
	s_or_b32 exec_lo, exec_lo, s27
.LBB328_667:                            ;   in Loop: Header=BB328_561 Depth=1
	s_delay_alu instid0(SALU_CYCLE_1)
	s_or_b32 exec_lo, exec_lo, s26
.LBB328_668:                            ;   in Loop: Header=BB328_561 Depth=1
	s_delay_alu instid0(SALU_CYCLE_1) | instskip(SKIP_3) | instid1(VALU_DEP_2)
	s_or_b32 exec_lo, exec_lo, s25
	v_dual_mov_b32 v31, 0 :: v_dual_lshrrev_b32 v54, 16, v29
	v_mov_b32_e32 v62, 0
	s_mov_b32 s25, exec_lo
	v_and_b32_e32 v18, 0xff, v54
	s_delay_alu instid0(VALU_DEP_1)
	v_cmpx_ne_u16_e32 0, v18
	s_cbranch_execz .LBB328_676
; %bb.669:                              ;   in Loop: Header=BB328_561 Depth=1
	v_bfrev_b32_e32 v62, 1
	s_mov_b32 s26, exec_lo
	v_cmpx_ne_u16_e32 0x80, v18
	s_cbranch_execz .LBB328_675
; %bb.670:                              ;   in Loop: Header=BB328_561 Depth=1
	v_bfe_u32 v61, v29, 16, 7
	v_mov_b32_e32 v62, 0x7f800001
	s_mov_b32 s27, exec_lo
	s_delay_alu instid0(VALU_DEP_2)
	v_cmpx_ne_u32_e32 0x7f, v61
	s_cbranch_execz .LBB328_674
; %bb.671:                              ;   in Loop: Header=BB328_561 Depth=1
	v_dual_lshrrev_b32 v60, 3, v61 :: v_dual_bitop2_b32 v18, 7, v54 bitop3:0x40
	s_mov_b32 s28, exec_lo
	v_cmpx_gt_u32_e32 8, v61
; %bb.672:                              ;   in Loop: Header=BB328_561 Depth=1
	s_delay_alu instid0(VALU_DEP_2) | instskip(NEXT) | instid1(VALU_DEP_1)
	v_clz_i32_u32_e32 v60, v18
	v_min_u32_e32 v60, 32, v60
	s_delay_alu instid0(VALU_DEP_1) | instskip(NEXT) | instid1(VALU_DEP_1)
	v_subrev_nc_u32_e32 v61, 28, v60
	v_lshlrev_b64_e32 v[62:63], v61, v[18:19]
	s_delay_alu instid0(VALU_DEP_1)
	v_dual_sub_nc_u32 v60, 29, v60 :: v_dual_bitop2_b32 v18, 7, v62 bitop3:0x40
; %bb.673:                              ;   in Loop: Header=BB328_561 Depth=1
	s_or_b32 exec_lo, exec_lo, s28
	v_lshlrev_b32_e32 v54, 24, v54
	s_delay_alu instid0(VALU_DEP_2) | instskip(NEXT) | instid1(VALU_DEP_3)
	v_lshlrev_b32_e32 v18, 20, v18
	v_lshl_add_u32 v60, v60, 23, 0x3c000000
	s_delay_alu instid0(VALU_DEP_3) | instskip(NEXT) | instid1(VALU_DEP_1)
	v_and_b32_e32 v54, 0x80000000, v54
	v_or3_b32 v62, v18, v54, v60
.LBB328_674:                            ;   in Loop: Header=BB328_561 Depth=1
	s_or_b32 exec_lo, exec_lo, s27
.LBB328_675:                            ;   in Loop: Header=BB328_561 Depth=1
	s_delay_alu instid0(SALU_CYCLE_1)
	s_or_b32 exec_lo, exec_lo, s26
.LBB328_676:                            ;   in Loop: Header=BB328_561 Depth=1
	s_delay_alu instid0(SALU_CYCLE_1) | instskip(NEXT) | instid1(SALU_CYCLE_1)
	s_or_b32 exec_lo, exec_lo, s25
	s_mov_b32 s25, exec_lo
	v_cmpx_lt_u64_e64 s[4:5], v[28:29]
	s_cbranch_execz .LBB328_684
; %bb.677:                              ;   in Loop: Header=BB328_561 Depth=1
	v_lshrrev_b32_e32 v28, 24, v29
	v_bfrev_b32_e32 v31, 1
	s_mov_b32 s26, exec_lo
	s_delay_alu instid0(VALU_DEP_2)
	v_cmpx_ne_u32_e32 0x80, v28
	s_cbranch_execz .LBB328_683
; %bb.678:                              ;   in Loop: Header=BB328_561 Depth=1
	v_bfe_u32 v54, v29, 24, 7
	v_mov_b32_e32 v31, 0x7f800001
	s_mov_b32 s27, exec_lo
	s_delay_alu instid0(VALU_DEP_2)
	v_cmpx_ne_u32_e32 0x7f, v54
	s_cbranch_execz .LBB328_682
; %bb.679:                              ;   in Loop: Header=BB328_561 Depth=1
	v_dual_lshrrev_b32 v29, 3, v54 :: v_dual_bitop2_b32 v18, 7, v28 bitop3:0x40
	s_mov_b32 s28, exec_lo
	v_cmpx_gt_u32_e32 8, v54
; %bb.680:                              ;   in Loop: Header=BB328_561 Depth=1
	s_delay_alu instid0(VALU_DEP_2) | instskip(NEXT) | instid1(VALU_DEP_1)
	v_clz_i32_u32_e32 v29, v18
	v_min_u32_e32 v29, 32, v29
	s_delay_alu instid0(VALU_DEP_1) | instskip(NEXT) | instid1(VALU_DEP_1)
	v_subrev_nc_u32_e32 v31, 28, v29
	v_lshlrev_b64_e32 v[60:61], v31, v[18:19]
	s_delay_alu instid0(VALU_DEP_1)
	v_dual_sub_nc_u32 v29, 29, v29 :: v_dual_bitop2_b32 v18, 7, v60 bitop3:0x40
; %bb.681:                              ;   in Loop: Header=BB328_561 Depth=1
	s_or_b32 exec_lo, exec_lo, s28
	s_delay_alu instid0(VALU_DEP_1) | instskip(NEXT) | instid1(VALU_DEP_2)
	v_dual_lshlrev_b32 v28, 24, v28 :: v_dual_lshlrev_b32 v18, 20, v18
	v_lshl_add_u32 v29, v29, 23, 0x3c000000
	s_delay_alu instid0(VALU_DEP_2) | instskip(NEXT) | instid1(VALU_DEP_1)
	v_and_b32_e32 v28, 0x80000000, v28
	v_or3_b32 v31, v18, v28, v29
.LBB328_682:                            ;   in Loop: Header=BB328_561 Depth=1
	s_or_b32 exec_lo, exec_lo, s27
.LBB328_683:                            ;   in Loop: Header=BB328_561 Depth=1
	s_delay_alu instid0(SALU_CYCLE_1)
	s_or_b32 exec_lo, exec_lo, s26
.LBB328_684:                            ;   in Loop: Header=BB328_561 Depth=1
	s_delay_alu instid0(SALU_CYCLE_1)
	s_or_b32 exec_lo, exec_lo, s25
	v_fma_mixlo_bf16 v54, s24, v30, 0
	v_fma_mixlo_bf16 v55, s24, v55, 0
	;; [unrolled: 1-line block ×8, first 2 shown]
	s_and_saveexec_b32 s25, vcc_lo
	s_cbranch_execz .LBB328_686
; %bb.685:                              ;   in Loop: Header=BB328_561 Depth=1
	v_cmp_gt_i32_e64 s0, s34, v46
	s_delay_alu instid0(VALU_DEP_1) | instskip(SKIP_1) | instid1(VALU_DEP_1)
	v_cndmask_b32_e64 v61, 0, v61, s0
	v_cmp_gt_i32_e64 s0, s34, v53
	v_cndmask_b32_e64 v60, 0, v60, s0
	v_cmp_gt_i32_e64 s0, s34, v52
	s_delay_alu instid0(VALU_DEP_1) | instskip(SKIP_1) | instid1(VALU_DEP_1)
	v_cndmask_b32_e64 v59, 0, v59, s0
	v_cmp_gt_i32_e64 s0, s34, v51
	v_cndmask_b32_e64 v58, 0, v58, s0
	;; [unrolled: 5-line block ×4, first 2 shown]
.LBB328_686:                            ;   in Loop: Header=BB328_561 Depth=1
	s_or_b32 exec_lo, exec_lo, s25
	global_load_b64 v[28:29], v[24:25], off offset:512
	v_dual_mov_b32 v63, 0 :: v_dual_mov_b32 v62, 0
	s_mov_b32 s25, exec_lo
	s_wait_loadcnt 0x0
	v_and_b32_e32 v18, 0xff, v28
	s_delay_alu instid0(VALU_DEP_1)
	v_cmpx_ne_u16_e32 0, v18
	s_cbranch_execz .LBB328_692
; %bb.687:                              ;   in Loop: Header=BB328_561 Depth=1
	v_bfrev_b32_e32 v62, 1
	s_mov_b32 s26, exec_lo
	v_cmpx_ne_u16_e32 0x80, v18
	s_cbranch_execz .LBB328_691
; %bb.688:                              ;   in Loop: Header=BB328_561 Depth=1
	v_and_b32_e32 v18, 0x7f, v28
	v_mov_b32_e32 v62, 0x7f800001
	s_mov_b32 s27, exec_lo
	s_delay_alu instid0(VALU_DEP_2)
	v_cmpx_ne_u32_e32 0x7f, v18
	s_cbranch_execz .LBB328_690
; %bb.689:                              ;   in Loop: Header=BB328_561 Depth=1
	v_dual_lshrrev_b32 v31, 3, v18 :: v_dual_bitop2_b32 v30, 7, v28 bitop3:0x40
	v_cmp_gt_u32_e64 s0, 8, v18
	s_delay_alu instid0(VALU_DEP_2) | instskip(NEXT) | instid1(VALU_DEP_1)
	v_clz_i32_u32_e32 v30, v30
	v_min_u32_e32 v30, 32, v30
	s_delay_alu instid0(VALU_DEP_1) | instskip(SKIP_1) | instid1(VALU_DEP_1)
	v_subrev_nc_u32_e32 v62, 28, v30
	v_sub_nc_u32_e32 v30, 29, v30
	v_cndmask_b32_e64 v18, v31, v30, s0
	s_delay_alu instid0(VALU_DEP_3) | instskip(NEXT) | instid1(VALU_DEP_1)
	v_cndmask_b32_e64 v30, 0, v62, s0
	v_lshlrev_b64_e32 v[30:31], v30, v[28:29]
	v_lshlrev_b32_e32 v31, 24, v28
	s_delay_alu instid0(VALU_DEP_1) | instskip(NEXT) | instid1(VALU_DEP_3)
	v_and_b32_e32 v31, 0x80000000, v31
	v_lshlrev_b32_e32 v30, 20, v30
	v_lshl_add_u32 v18, v18, 23, 0x3c000000
	s_delay_alu instid0(VALU_DEP_2) | instskip(NEXT) | instid1(VALU_DEP_1)
	v_and_b32_e32 v30, 0x700000, v30
	v_or3_b32 v62, v30, v31, v18
.LBB328_690:                            ;   in Loop: Header=BB328_561 Depth=1
	s_or_b32 exec_lo, exec_lo, s27
.LBB328_691:                            ;   in Loop: Header=BB328_561 Depth=1
	s_delay_alu instid0(SALU_CYCLE_1)
	s_or_b32 exec_lo, exec_lo, s26
.LBB328_692:                            ;   in Loop: Header=BB328_561 Depth=1
	s_delay_alu instid0(SALU_CYCLE_1) | instskip(SKIP_2) | instid1(VALU_DEP_1)
	s_or_b32 exec_lo, exec_lo, s25
	v_lshrrev_b16 v18, 8, v28
	s_mov_b32 s25, exec_lo
	v_cmpx_ne_u16_e32 0, v18
	s_cbranch_execz .LBB328_700
; %bb.693:                              ;   in Loop: Header=BB328_561 Depth=1
	v_bfrev_b32_e32 v63, 1
	s_mov_b32 s26, exec_lo
	v_cmpx_ne_u16_e32 0x80, v18
	s_cbranch_execz .LBB328_699
; %bb.694:                              ;   in Loop: Header=BB328_561 Depth=1
	v_and_b32_e32 v18, 0xffff, v18
	v_mov_b32_e32 v63, 0x7f800001
	s_mov_b32 s27, exec_lo
	s_delay_alu instid0(VALU_DEP_2) | instskip(NEXT) | instid1(VALU_DEP_1)
	v_and_b32_e32 v31, 0x7f, v18
	v_cmpx_ne_u32_e32 0x7f, v31
	s_cbranch_execz .LBB328_698
; %bb.695:                              ;   in Loop: Header=BB328_561 Depth=1
	v_dual_lshrrev_b32 v30, 3, v31 :: v_dual_bitop2_b32 v18, 7, v18 bitop3:0x40
	s_mov_b32 s28, exec_lo
	v_cmpx_gt_u32_e32 8, v31
; %bb.696:                              ;   in Loop: Header=BB328_561 Depth=1
	s_delay_alu instid0(VALU_DEP_2) | instskip(NEXT) | instid1(VALU_DEP_1)
	v_clz_i32_u32_e32 v30, v18
	v_min_u32_e32 v30, 32, v30
	s_delay_alu instid0(VALU_DEP_1) | instskip(NEXT) | instid1(VALU_DEP_1)
	v_subrev_nc_u32_e32 v31, 28, v30
	v_lshlrev_b64_e32 v[64:65], v31, v[18:19]
	s_delay_alu instid0(VALU_DEP_1)
	v_dual_sub_nc_u32 v30, 29, v30 :: v_dual_bitop2_b32 v18, 7, v64 bitop3:0x40
; %bb.697:                              ;   in Loop: Header=BB328_561 Depth=1
	s_or_b32 exec_lo, exec_lo, s28
	s_delay_alu instid0(VALU_DEP_1) | instskip(NEXT) | instid1(VALU_DEP_2)
	v_dual_lshlrev_b32 v31, 16, v28 :: v_dual_lshlrev_b32 v18, 20, v18
	v_lshl_add_u32 v30, v30, 23, 0x3c000000
	s_delay_alu instid0(VALU_DEP_2) | instskip(NEXT) | instid1(VALU_DEP_1)
	v_and_b32_e32 v31, 0x80000000, v31
	v_or3_b32 v63, v18, v31, v30
.LBB328_698:                            ;   in Loop: Header=BB328_561 Depth=1
	s_or_b32 exec_lo, exec_lo, s27
.LBB328_699:                            ;   in Loop: Header=BB328_561 Depth=1
	s_delay_alu instid0(SALU_CYCLE_1)
	s_or_b32 exec_lo, exec_lo, s26
.LBB328_700:                            ;   in Loop: Header=BB328_561 Depth=1
	s_delay_alu instid0(SALU_CYCLE_1) | instskip(SKIP_3) | instid1(VALU_DEP_2)
	s_or_b32 exec_lo, exec_lo, s25
	v_dual_lshrrev_b32 v30, 16, v28 :: v_dual_mov_b32 v66, 0
	v_mov_b32_e32 v67, 0
	s_mov_b32 s25, exec_lo
	v_and_b32_e32 v18, 0xff, v30
	s_delay_alu instid0(VALU_DEP_1)
	v_cmpx_ne_u16_e32 0, v18
	s_cbranch_execz .LBB328_708
; %bb.701:                              ;   in Loop: Header=BB328_561 Depth=1
	v_bfrev_b32_e32 v67, 1
	s_mov_b32 s26, exec_lo
	v_cmpx_ne_u16_e32 0x80, v18
	s_cbranch_execz .LBB328_707
; %bb.702:                              ;   in Loop: Header=BB328_561 Depth=1
	v_bfe_u32 v64, v28, 16, 7
	v_mov_b32_e32 v67, 0x7f800001
	s_mov_b32 s27, exec_lo
	s_delay_alu instid0(VALU_DEP_2)
	v_cmpx_ne_u32_e32 0x7f, v64
	s_cbranch_execz .LBB328_706
; %bb.703:                              ;   in Loop: Header=BB328_561 Depth=1
	v_dual_lshrrev_b32 v31, 3, v64 :: v_dual_bitop2_b32 v18, 7, v30 bitop3:0x40
	s_mov_b32 s28, exec_lo
	v_cmpx_gt_u32_e32 8, v64
; %bb.704:                              ;   in Loop: Header=BB328_561 Depth=1
	s_delay_alu instid0(VALU_DEP_2) | instskip(NEXT) | instid1(VALU_DEP_1)
	v_clz_i32_u32_e32 v31, v18
	v_min_u32_e32 v31, 32, v31
	s_delay_alu instid0(VALU_DEP_1) | instskip(NEXT) | instid1(VALU_DEP_1)
	v_subrev_nc_u32_e32 v64, 28, v31
	v_lshlrev_b64_e32 v[64:65], v64, v[18:19]
	s_delay_alu instid0(VALU_DEP_1)
	v_dual_sub_nc_u32 v31, 29, v31 :: v_dual_bitop2_b32 v18, 7, v64 bitop3:0x40
; %bb.705:                              ;   in Loop: Header=BB328_561 Depth=1
	s_or_b32 exec_lo, exec_lo, s28
	v_lshlrev_b32_e32 v30, 24, v30
	s_delay_alu instid0(VALU_DEP_2) | instskip(NEXT) | instid1(VALU_DEP_3)
	v_lshlrev_b32_e32 v18, 20, v18
	v_lshl_add_u32 v31, v31, 23, 0x3c000000
	s_delay_alu instid0(VALU_DEP_3) | instskip(NEXT) | instid1(VALU_DEP_1)
	v_and_b32_e32 v30, 0x80000000, v30
	v_or3_b32 v67, v18, v30, v31
.LBB328_706:                            ;   in Loop: Header=BB328_561 Depth=1
	s_or_b32 exec_lo, exec_lo, s27
.LBB328_707:                            ;   in Loop: Header=BB328_561 Depth=1
	s_delay_alu instid0(SALU_CYCLE_1)
	s_or_b32 exec_lo, exec_lo, s26
.LBB328_708:                            ;   in Loop: Header=BB328_561 Depth=1
	s_delay_alu instid0(SALU_CYCLE_1) | instskip(NEXT) | instid1(SALU_CYCLE_1)
	s_or_b32 exec_lo, exec_lo, s25
	s_mov_b32 s25, exec_lo
	v_cmpx_lt_u32_e32 0xffffff, v28
	s_cbranch_execz .LBB328_716
; %bb.709:                              ;   in Loop: Header=BB328_561 Depth=1
	v_lshrrev_b32_e32 v30, 24, v28
	v_bfrev_b32_e32 v66, 1
	s_mov_b32 s26, exec_lo
	s_delay_alu instid0(VALU_DEP_2)
	v_cmpx_ne_u32_e32 0x80, v30
	s_cbranch_execz .LBB328_715
; %bb.710:                              ;   in Loop: Header=BB328_561 Depth=1
	v_bfe_u32 v64, v28, 24, 7
	v_mov_b32_e32 v66, 0x7f800001
	s_mov_b32 s27, exec_lo
	s_delay_alu instid0(VALU_DEP_2)
	v_cmpx_ne_u32_e32 0x7f, v64
	s_cbranch_execz .LBB328_714
; %bb.711:                              ;   in Loop: Header=BB328_561 Depth=1
	v_dual_lshrrev_b32 v31, 3, v64 :: v_dual_bitop2_b32 v18, 7, v30 bitop3:0x40
	s_mov_b32 s28, exec_lo
	v_cmpx_gt_u32_e32 8, v64
; %bb.712:                              ;   in Loop: Header=BB328_561 Depth=1
	s_delay_alu instid0(VALU_DEP_2) | instskip(NEXT) | instid1(VALU_DEP_1)
	v_clz_i32_u32_e32 v31, v18
	v_min_u32_e32 v31, 32, v31
	s_delay_alu instid0(VALU_DEP_1) | instskip(NEXT) | instid1(VALU_DEP_1)
	v_subrev_nc_u32_e32 v64, 28, v31
	v_lshlrev_b64_e32 v[64:65], v64, v[18:19]
	s_delay_alu instid0(VALU_DEP_1)
	v_dual_sub_nc_u32 v31, 29, v31 :: v_dual_bitop2_b32 v18, 7, v64 bitop3:0x40
; %bb.713:                              ;   in Loop: Header=BB328_561 Depth=1
	s_or_b32 exec_lo, exec_lo, s28
	v_lshlrev_b32_e32 v30, 24, v30
	s_delay_alu instid0(VALU_DEP_2) | instskip(NEXT) | instid1(VALU_DEP_3)
	v_lshlrev_b32_e32 v18, 20, v18
	v_lshl_add_u32 v31, v31, 23, 0x3c000000
	s_delay_alu instid0(VALU_DEP_3) | instskip(NEXT) | instid1(VALU_DEP_1)
	v_and_b32_e32 v30, 0x80000000, v30
	v_or3_b32 v66, v18, v30, v31
.LBB328_714:                            ;   in Loop: Header=BB328_561 Depth=1
	s_or_b32 exec_lo, exec_lo, s27
.LBB328_715:                            ;   in Loop: Header=BB328_561 Depth=1
	s_delay_alu instid0(SALU_CYCLE_1)
	s_or_b32 exec_lo, exec_lo, s26
.LBB328_716:                            ;   in Loop: Header=BB328_561 Depth=1
	s_delay_alu instid0(SALU_CYCLE_1) | instskip(SKIP_4) | instid1(VALU_DEP_3)
	s_or_b32 exec_lo, exec_lo, s25
	v_and_b32_e32 v31, 0xff, v29
	v_dual_mov_b32 v18, v29 :: v_dual_mov_b32 v30, 0
	v_mov_b32_e32 v65, 0
	s_mov_b32 s25, exec_lo
	v_cmpx_ne_u16_e32 0, v31
	s_cbranch_execz .LBB328_722
; %bb.717:                              ;   in Loop: Header=BB328_561 Depth=1
	v_bfrev_b32_e32 v65, 1
	s_mov_b32 s26, exec_lo
	v_cmpx_ne_u16_e32 0x80, v31
	s_cbranch_execz .LBB328_721
; %bb.718:                              ;   in Loop: Header=BB328_561 Depth=1
	v_and_b32_e32 v31, 0x7f, v29
	v_mov_b32_e32 v65, 0x7f800001
	s_mov_b32 s27, exec_lo
	s_delay_alu instid0(VALU_DEP_2)
	v_cmpx_ne_u32_e32 0x7f, v31
	s_cbranch_execz .LBB328_720
; %bb.719:                              ;   in Loop: Header=BB328_561 Depth=1
	v_dual_lshrrev_b32 v65, 3, v31 :: v_dual_bitop2_b32 v64, 7, v29 bitop3:0x40
	v_cmp_gt_u32_e64 s0, 8, v31
	s_delay_alu instid0(VALU_DEP_2) | instskip(NEXT) | instid1(VALU_DEP_1)
	v_clz_i32_u32_e32 v64, v64
	v_min_u32_e32 v64, 32, v64
	s_delay_alu instid0(VALU_DEP_1) | instskip(SKIP_1) | instid1(VALU_DEP_1)
	v_subrev_nc_u32_e32 v68, 28, v64
	v_sub_nc_u32_e32 v64, 29, v64
	v_cndmask_b32_e64 v31, v65, v64, s0
	s_delay_alu instid0(VALU_DEP_3) | instskip(NEXT) | instid1(VALU_DEP_1)
	v_cndmask_b32_e64 v64, 0, v68, s0
	v_lshlrev_b64_e32 v[64:65], v64, v[18:19]
	v_lshlrev_b32_e32 v65, 24, v18
	s_delay_alu instid0(VALU_DEP_1) | instskip(NEXT) | instid1(VALU_DEP_3)
	v_and_b32_e32 v65, 0x80000000, v65
	v_lshlrev_b32_e32 v64, 20, v64
	v_lshl_add_u32 v31, v31, 23, 0x3c000000
	s_delay_alu instid0(VALU_DEP_2) | instskip(NEXT) | instid1(VALU_DEP_1)
	v_and_b32_e32 v64, 0x700000, v64
	v_or3_b32 v65, v64, v65, v31
.LBB328_720:                            ;   in Loop: Header=BB328_561 Depth=1
	s_or_b32 exec_lo, exec_lo, s27
.LBB328_721:                            ;   in Loop: Header=BB328_561 Depth=1
	s_delay_alu instid0(SALU_CYCLE_1)
	s_or_b32 exec_lo, exec_lo, s26
.LBB328_722:                            ;   in Loop: Header=BB328_561 Depth=1
	s_delay_alu instid0(SALU_CYCLE_1) | instskip(SKIP_2) | instid1(VALU_DEP_1)
	s_or_b32 exec_lo, exec_lo, s25
	v_lshrrev_b16 v31, 8, v18
	s_mov_b32 s25, exec_lo
	v_cmpx_ne_u16_e32 0, v31
	s_cbranch_execz .LBB328_730
; %bb.723:                              ;   in Loop: Header=BB328_561 Depth=1
	v_bfrev_b32_e32 v30, 1
	s_mov_b32 s26, exec_lo
	v_cmpx_ne_u16_e32 0x80, v31
	s_cbranch_execz .LBB328_729
; %bb.724:                              ;   in Loop: Header=BB328_561 Depth=1
	v_and_b32_e32 v31, 0xffff, v31
	v_mov_b32_e32 v30, 0x7f800001
	s_mov_b32 s27, exec_lo
	s_delay_alu instid0(VALU_DEP_2) | instskip(NEXT) | instid1(VALU_DEP_1)
	v_and_b32_e32 v68, 0x7f, v31
	v_cmpx_ne_u32_e32 0x7f, v68
	s_cbranch_execz .LBB328_728
; %bb.725:                              ;   in Loop: Header=BB328_561 Depth=1
	v_dual_mov_b32 v31, v19 :: v_dual_bitop2_b32 v30, 7, v31 bitop3:0x40
	v_lshrrev_b32_e32 v64, 3, v68
	s_mov_b32 s28, exec_lo
	v_cmpx_gt_u32_e32 8, v68
; %bb.726:                              ;   in Loop: Header=BB328_561 Depth=1
	s_delay_alu instid0(VALU_DEP_3) | instskip(NEXT) | instid1(VALU_DEP_1)
	v_clz_i32_u32_e32 v64, v30
	v_min_u32_e32 v64, 32, v64
	s_delay_alu instid0(VALU_DEP_1) | instskip(NEXT) | instid1(VALU_DEP_1)
	v_subrev_nc_u32_e32 v68, 28, v64
	v_lshlrev_b64_e32 v[30:31], v68, v[30:31]
	s_delay_alu instid0(VALU_DEP_1)
	v_dual_sub_nc_u32 v64, 29, v64 :: v_dual_bitop2_b32 v30, 7, v30 bitop3:0x40
; %bb.727:                              ;   in Loop: Header=BB328_561 Depth=1
	s_or_b32 exec_lo, exec_lo, s28
	v_lshlrev_b32_e32 v18, 16, v18
	s_delay_alu instid0(VALU_DEP_2) | instskip(NEXT) | instid1(VALU_DEP_3)
	v_lshlrev_b32_e32 v30, 20, v30
	v_lshl_add_u32 v31, v64, 23, 0x3c000000
	s_delay_alu instid0(VALU_DEP_3) | instskip(NEXT) | instid1(VALU_DEP_1)
	v_and_b32_e32 v18, 0x80000000, v18
	v_or3_b32 v30, v30, v18, v31
.LBB328_728:                            ;   in Loop: Header=BB328_561 Depth=1
	s_or_b32 exec_lo, exec_lo, s27
.LBB328_729:                            ;   in Loop: Header=BB328_561 Depth=1
	s_delay_alu instid0(SALU_CYCLE_1)
	s_or_b32 exec_lo, exec_lo, s26
.LBB328_730:                            ;   in Loop: Header=BB328_561 Depth=1
	s_delay_alu instid0(SALU_CYCLE_1) | instskip(SKIP_3) | instid1(VALU_DEP_2)
	s_or_b32 exec_lo, exec_lo, s25
	v_dual_mov_b32 v31, 0 :: v_dual_lshrrev_b32 v64, 16, v29
	v_mov_b32_e32 v70, 0
	s_mov_b32 s25, exec_lo
	v_and_b32_e32 v18, 0xff, v64
	s_delay_alu instid0(VALU_DEP_1)
	v_cmpx_ne_u16_e32 0, v18
	s_cbranch_execz .LBB328_738
; %bb.731:                              ;   in Loop: Header=BB328_561 Depth=1
	v_bfrev_b32_e32 v70, 1
	s_mov_b32 s26, exec_lo
	v_cmpx_ne_u16_e32 0x80, v18
	s_cbranch_execz .LBB328_737
; %bb.732:                              ;   in Loop: Header=BB328_561 Depth=1
	v_bfe_u32 v69, v29, 16, 7
	v_mov_b32_e32 v70, 0x7f800001
	s_mov_b32 s27, exec_lo
	s_delay_alu instid0(VALU_DEP_2)
	v_cmpx_ne_u32_e32 0x7f, v69
	s_cbranch_execz .LBB328_736
; %bb.733:                              ;   in Loop: Header=BB328_561 Depth=1
	v_dual_lshrrev_b32 v68, 3, v69 :: v_dual_bitop2_b32 v18, 7, v64 bitop3:0x40
	s_mov_b32 s28, exec_lo
	v_cmpx_gt_u32_e32 8, v69
; %bb.734:                              ;   in Loop: Header=BB328_561 Depth=1
	s_delay_alu instid0(VALU_DEP_2) | instskip(NEXT) | instid1(VALU_DEP_1)
	v_clz_i32_u32_e32 v68, v18
	v_min_u32_e32 v68, 32, v68
	s_delay_alu instid0(VALU_DEP_1) | instskip(NEXT) | instid1(VALU_DEP_1)
	v_subrev_nc_u32_e32 v69, 28, v68
	v_lshlrev_b64_e32 v[70:71], v69, v[18:19]
	s_delay_alu instid0(VALU_DEP_1)
	v_dual_sub_nc_u32 v68, 29, v68 :: v_dual_bitop2_b32 v18, 7, v70 bitop3:0x40
; %bb.735:                              ;   in Loop: Header=BB328_561 Depth=1
	s_or_b32 exec_lo, exec_lo, s28
	s_delay_alu instid0(VALU_DEP_1) | instskip(NEXT) | instid1(VALU_DEP_2)
	v_dual_lshlrev_b32 v64, 24, v64 :: v_dual_lshlrev_b32 v18, 20, v18
	v_lshl_add_u32 v68, v68, 23, 0x3c000000
	s_delay_alu instid0(VALU_DEP_2) | instskip(NEXT) | instid1(VALU_DEP_1)
	v_and_b32_e32 v64, 0x80000000, v64
	v_or3_b32 v70, v18, v64, v68
.LBB328_736:                            ;   in Loop: Header=BB328_561 Depth=1
	s_or_b32 exec_lo, exec_lo, s27
.LBB328_737:                            ;   in Loop: Header=BB328_561 Depth=1
	s_delay_alu instid0(SALU_CYCLE_1)
	s_or_b32 exec_lo, exec_lo, s26
.LBB328_738:                            ;   in Loop: Header=BB328_561 Depth=1
	s_delay_alu instid0(SALU_CYCLE_1) | instskip(NEXT) | instid1(SALU_CYCLE_1)
	s_or_b32 exec_lo, exec_lo, s25
	s_mov_b32 s25, exec_lo
	v_cmpx_lt_u64_e64 s[4:5], v[28:29]
	s_cbranch_execz .LBB328_746
; %bb.739:                              ;   in Loop: Header=BB328_561 Depth=1
	v_lshrrev_b32_e32 v28, 24, v29
	v_bfrev_b32_e32 v31, 1
	s_mov_b32 s26, exec_lo
	s_delay_alu instid0(VALU_DEP_2)
	v_cmpx_ne_u32_e32 0x80, v28
	s_cbranch_execz .LBB328_745
; %bb.740:                              ;   in Loop: Header=BB328_561 Depth=1
	v_bfe_u32 v64, v29, 24, 7
	v_mov_b32_e32 v31, 0x7f800001
	s_mov_b32 s27, exec_lo
	s_delay_alu instid0(VALU_DEP_2)
	v_cmpx_ne_u32_e32 0x7f, v64
	s_cbranch_execz .LBB328_744
; %bb.741:                              ;   in Loop: Header=BB328_561 Depth=1
	v_and_b32_e32 v18, 7, v28
	v_lshrrev_b32_e32 v29, 3, v64
	s_mov_b32 s28, exec_lo
	v_cmpx_gt_u32_e32 8, v64
; %bb.742:                              ;   in Loop: Header=BB328_561 Depth=1
	s_delay_alu instid0(VALU_DEP_3) | instskip(NEXT) | instid1(VALU_DEP_1)
	v_clz_i32_u32_e32 v29, v18
	v_min_u32_e32 v29, 32, v29
	s_delay_alu instid0(VALU_DEP_1) | instskip(NEXT) | instid1(VALU_DEP_1)
	v_subrev_nc_u32_e32 v31, 28, v29
	v_lshlrev_b64_e32 v[68:69], v31, v[18:19]
	s_delay_alu instid0(VALU_DEP_1)
	v_dual_sub_nc_u32 v29, 29, v29 :: v_dual_bitop2_b32 v18, 7, v68 bitop3:0x40
; %bb.743:                              ;   in Loop: Header=BB328_561 Depth=1
	s_or_b32 exec_lo, exec_lo, s28
	s_delay_alu instid0(VALU_DEP_1) | instskip(NEXT) | instid1(VALU_DEP_2)
	v_dual_lshlrev_b32 v28, 24, v28 :: v_dual_lshlrev_b32 v18, 20, v18
	v_lshl_add_u32 v29, v29, 23, 0x3c000000
	s_delay_alu instid0(VALU_DEP_2) | instskip(NEXT) | instid1(VALU_DEP_1)
	v_and_b32_e32 v28, 0x80000000, v28
	v_or3_b32 v31, v18, v28, v29
.LBB328_744:                            ;   in Loop: Header=BB328_561 Depth=1
	s_or_b32 exec_lo, exec_lo, s27
.LBB328_745:                            ;   in Loop: Header=BB328_561 Depth=1
	s_delay_alu instid0(SALU_CYCLE_1)
	s_or_b32 exec_lo, exec_lo, s26
.LBB328_746:                            ;   in Loop: Header=BB328_561 Depth=1
	s_delay_alu instid0(SALU_CYCLE_1)
	s_or_b32 exec_lo, exec_lo, s25
	v_fma_mixlo_bf16 v64, s24, v30, 0
	v_fma_mixlo_bf16 v65, s24, v65, 0
	;; [unrolled: 1-line block ×8, first 2 shown]
	s_and_saveexec_b32 s25, vcc_lo
	s_cbranch_execz .LBB328_748
; %bb.747:                              ;   in Loop: Header=BB328_561 Depth=1
	v_cmp_gt_i32_e64 s0, s34, v46
	s_delay_alu instid0(VALU_DEP_1) | instskip(SKIP_1) | instid1(VALU_DEP_1)
	v_cndmask_b32_e64 v69, 0, v69, s0
	v_cmp_gt_i32_e64 s0, s34, v53
	v_cndmask_b32_e64 v68, 0, v68, s0
	v_cmp_gt_i32_e64 s0, s34, v52
	s_delay_alu instid0(VALU_DEP_1) | instskip(SKIP_1) | instid1(VALU_DEP_1)
	v_cndmask_b32_e64 v67, 0, v67, s0
	v_cmp_gt_i32_e64 s0, s34, v51
	v_cndmask_b32_e64 v66, 0, v66, s0
	;; [unrolled: 5-line block ×4, first 2 shown]
.LBB328_748:                            ;   in Loop: Header=BB328_561 Depth=1
	s_or_b32 exec_lo, exec_lo, s25
	global_load_b64 v[28:29], v[24:25], off offset:768
	v_dual_mov_b32 v71, 0 :: v_dual_mov_b32 v70, 0
	s_mov_b32 s25, exec_lo
	s_wait_loadcnt 0x0
	v_and_b32_e32 v18, 0xff, v28
	s_delay_alu instid0(VALU_DEP_1)
	v_cmpx_ne_u16_e32 0, v18
	s_cbranch_execz .LBB328_754
; %bb.749:                              ;   in Loop: Header=BB328_561 Depth=1
	v_bfrev_b32_e32 v70, 1
	s_mov_b32 s26, exec_lo
	v_cmpx_ne_u16_e32 0x80, v18
	s_cbranch_execz .LBB328_753
; %bb.750:                              ;   in Loop: Header=BB328_561 Depth=1
	v_and_b32_e32 v18, 0x7f, v28
	v_mov_b32_e32 v70, 0x7f800001
	s_mov_b32 s27, exec_lo
	s_delay_alu instid0(VALU_DEP_2)
	v_cmpx_ne_u32_e32 0x7f, v18
	s_cbranch_execz .LBB328_752
; %bb.751:                              ;   in Loop: Header=BB328_561 Depth=1
	v_dual_lshrrev_b32 v31, 3, v18 :: v_dual_bitop2_b32 v30, 7, v28 bitop3:0x40
	v_cmp_gt_u32_e64 s0, 8, v18
	s_delay_alu instid0(VALU_DEP_2) | instskip(NEXT) | instid1(VALU_DEP_1)
	v_clz_i32_u32_e32 v30, v30
	v_min_u32_e32 v30, 32, v30
	s_delay_alu instid0(VALU_DEP_1) | instskip(SKIP_1) | instid1(VALU_DEP_1)
	v_subrev_nc_u32_e32 v70, 28, v30
	v_sub_nc_u32_e32 v30, 29, v30
	v_cndmask_b32_e64 v18, v31, v30, s0
	s_delay_alu instid0(VALU_DEP_3) | instskip(NEXT) | instid1(VALU_DEP_1)
	v_cndmask_b32_e64 v30, 0, v70, s0
	v_lshlrev_b64_e32 v[30:31], v30, v[28:29]
	v_lshlrev_b32_e32 v31, 24, v28
	s_delay_alu instid0(VALU_DEP_1) | instskip(NEXT) | instid1(VALU_DEP_3)
	v_and_b32_e32 v31, 0x80000000, v31
	v_lshlrev_b32_e32 v30, 20, v30
	v_lshl_add_u32 v18, v18, 23, 0x3c000000
	s_delay_alu instid0(VALU_DEP_2) | instskip(NEXT) | instid1(VALU_DEP_1)
	v_and_b32_e32 v30, 0x700000, v30
	v_or3_b32 v70, v30, v31, v18
.LBB328_752:                            ;   in Loop: Header=BB328_561 Depth=1
	s_or_b32 exec_lo, exec_lo, s27
.LBB328_753:                            ;   in Loop: Header=BB328_561 Depth=1
	s_delay_alu instid0(SALU_CYCLE_1)
	s_or_b32 exec_lo, exec_lo, s26
.LBB328_754:                            ;   in Loop: Header=BB328_561 Depth=1
	s_delay_alu instid0(SALU_CYCLE_1) | instskip(SKIP_2) | instid1(VALU_DEP_1)
	s_or_b32 exec_lo, exec_lo, s25
	v_lshrrev_b16 v18, 8, v28
	s_mov_b32 s25, exec_lo
	v_cmpx_ne_u16_e32 0, v18
	s_cbranch_execz .LBB328_762
; %bb.755:                              ;   in Loop: Header=BB328_561 Depth=1
	v_bfrev_b32_e32 v71, 1
	s_mov_b32 s26, exec_lo
	v_cmpx_ne_u16_e32 0x80, v18
	s_cbranch_execz .LBB328_761
; %bb.756:                              ;   in Loop: Header=BB328_561 Depth=1
	v_and_b32_e32 v18, 0xffff, v18
	v_mov_b32_e32 v71, 0x7f800001
	s_mov_b32 s27, exec_lo
	s_delay_alu instid0(VALU_DEP_2) | instskip(NEXT) | instid1(VALU_DEP_1)
	v_and_b32_e32 v31, 0x7f, v18
	v_cmpx_ne_u32_e32 0x7f, v31
	s_cbranch_execz .LBB328_760
; %bb.757:                              ;   in Loop: Header=BB328_561 Depth=1
	v_dual_lshrrev_b32 v30, 3, v31 :: v_dual_bitop2_b32 v18, 7, v18 bitop3:0x40
	s_mov_b32 s28, exec_lo
	v_cmpx_gt_u32_e32 8, v31
; %bb.758:                              ;   in Loop: Header=BB328_561 Depth=1
	s_delay_alu instid0(VALU_DEP_2) | instskip(NEXT) | instid1(VALU_DEP_1)
	v_clz_i32_u32_e32 v30, v18
	v_min_u32_e32 v30, 32, v30
	s_delay_alu instid0(VALU_DEP_1) | instskip(NEXT) | instid1(VALU_DEP_1)
	v_subrev_nc_u32_e32 v31, 28, v30
	v_lshlrev_b64_e32 v[72:73], v31, v[18:19]
	s_delay_alu instid0(VALU_DEP_1)
	v_dual_sub_nc_u32 v30, 29, v30 :: v_dual_bitop2_b32 v18, 7, v72 bitop3:0x40
; %bb.759:                              ;   in Loop: Header=BB328_561 Depth=1
	s_or_b32 exec_lo, exec_lo, s28
	s_delay_alu instid0(VALU_DEP_1) | instskip(NEXT) | instid1(VALU_DEP_2)
	v_dual_lshlrev_b32 v31, 16, v28 :: v_dual_lshlrev_b32 v18, 20, v18
	v_lshl_add_u32 v30, v30, 23, 0x3c000000
	s_delay_alu instid0(VALU_DEP_2) | instskip(NEXT) | instid1(VALU_DEP_1)
	v_and_b32_e32 v31, 0x80000000, v31
	v_or3_b32 v71, v18, v31, v30
.LBB328_760:                            ;   in Loop: Header=BB328_561 Depth=1
	s_or_b32 exec_lo, exec_lo, s27
.LBB328_761:                            ;   in Loop: Header=BB328_561 Depth=1
	s_delay_alu instid0(SALU_CYCLE_1)
	s_or_b32 exec_lo, exec_lo, s26
.LBB328_762:                            ;   in Loop: Header=BB328_561 Depth=1
	s_delay_alu instid0(SALU_CYCLE_1) | instskip(SKIP_3) | instid1(VALU_DEP_2)
	s_or_b32 exec_lo, exec_lo, s25
	v_dual_lshrrev_b32 v30, 16, v28 :: v_dual_mov_b32 v74, 0
	v_mov_b32_e32 v75, 0
	s_mov_b32 s25, exec_lo
	v_and_b32_e32 v18, 0xff, v30
	s_delay_alu instid0(VALU_DEP_1)
	v_cmpx_ne_u16_e32 0, v18
	s_cbranch_execz .LBB328_770
; %bb.763:                              ;   in Loop: Header=BB328_561 Depth=1
	v_bfrev_b32_e32 v75, 1
	s_mov_b32 s26, exec_lo
	v_cmpx_ne_u16_e32 0x80, v18
	s_cbranch_execz .LBB328_769
; %bb.764:                              ;   in Loop: Header=BB328_561 Depth=1
	v_bfe_u32 v72, v28, 16, 7
	v_mov_b32_e32 v75, 0x7f800001
	s_mov_b32 s27, exec_lo
	s_delay_alu instid0(VALU_DEP_2)
	v_cmpx_ne_u32_e32 0x7f, v72
	s_cbranch_execz .LBB328_768
; %bb.765:                              ;   in Loop: Header=BB328_561 Depth=1
	v_dual_lshrrev_b32 v31, 3, v72 :: v_dual_bitop2_b32 v18, 7, v30 bitop3:0x40
	s_mov_b32 s28, exec_lo
	v_cmpx_gt_u32_e32 8, v72
; %bb.766:                              ;   in Loop: Header=BB328_561 Depth=1
	s_delay_alu instid0(VALU_DEP_2) | instskip(NEXT) | instid1(VALU_DEP_1)
	v_clz_i32_u32_e32 v31, v18
	v_min_u32_e32 v31, 32, v31
	s_delay_alu instid0(VALU_DEP_1) | instskip(NEXT) | instid1(VALU_DEP_1)
	v_subrev_nc_u32_e32 v72, 28, v31
	v_lshlrev_b64_e32 v[72:73], v72, v[18:19]
	s_delay_alu instid0(VALU_DEP_1)
	v_dual_sub_nc_u32 v31, 29, v31 :: v_dual_bitop2_b32 v18, 7, v72 bitop3:0x40
; %bb.767:                              ;   in Loop: Header=BB328_561 Depth=1
	s_or_b32 exec_lo, exec_lo, s28
	v_lshlrev_b32_e32 v30, 24, v30
	s_delay_alu instid0(VALU_DEP_2) | instskip(NEXT) | instid1(VALU_DEP_3)
	v_lshlrev_b32_e32 v18, 20, v18
	v_lshl_add_u32 v31, v31, 23, 0x3c000000
	s_delay_alu instid0(VALU_DEP_3) | instskip(NEXT) | instid1(VALU_DEP_1)
	v_and_b32_e32 v30, 0x80000000, v30
	v_or3_b32 v75, v18, v30, v31
.LBB328_768:                            ;   in Loop: Header=BB328_561 Depth=1
	s_or_b32 exec_lo, exec_lo, s27
.LBB328_769:                            ;   in Loop: Header=BB328_561 Depth=1
	s_delay_alu instid0(SALU_CYCLE_1)
	s_or_b32 exec_lo, exec_lo, s26
.LBB328_770:                            ;   in Loop: Header=BB328_561 Depth=1
	s_delay_alu instid0(SALU_CYCLE_1) | instskip(NEXT) | instid1(SALU_CYCLE_1)
	s_or_b32 exec_lo, exec_lo, s25
	s_mov_b32 s25, exec_lo
	v_cmpx_lt_u32_e32 0xffffff, v28
	s_cbranch_execz .LBB328_778
; %bb.771:                              ;   in Loop: Header=BB328_561 Depth=1
	v_lshrrev_b32_e32 v30, 24, v28
	v_bfrev_b32_e32 v74, 1
	s_mov_b32 s26, exec_lo
	s_delay_alu instid0(VALU_DEP_2)
	v_cmpx_ne_u32_e32 0x80, v30
	s_cbranch_execz .LBB328_777
; %bb.772:                              ;   in Loop: Header=BB328_561 Depth=1
	v_bfe_u32 v72, v28, 24, 7
	v_mov_b32_e32 v74, 0x7f800001
	s_mov_b32 s27, exec_lo
	s_delay_alu instid0(VALU_DEP_2)
	v_cmpx_ne_u32_e32 0x7f, v72
	s_cbranch_execz .LBB328_776
; %bb.773:                              ;   in Loop: Header=BB328_561 Depth=1
	v_dual_lshrrev_b32 v31, 3, v72 :: v_dual_bitop2_b32 v18, 7, v30 bitop3:0x40
	s_mov_b32 s28, exec_lo
	v_cmpx_gt_u32_e32 8, v72
; %bb.774:                              ;   in Loop: Header=BB328_561 Depth=1
	s_delay_alu instid0(VALU_DEP_2) | instskip(NEXT) | instid1(VALU_DEP_1)
	v_clz_i32_u32_e32 v31, v18
	v_min_u32_e32 v31, 32, v31
	s_delay_alu instid0(VALU_DEP_1) | instskip(NEXT) | instid1(VALU_DEP_1)
	v_subrev_nc_u32_e32 v72, 28, v31
	v_lshlrev_b64_e32 v[72:73], v72, v[18:19]
	s_delay_alu instid0(VALU_DEP_1)
	v_dual_sub_nc_u32 v31, 29, v31 :: v_dual_bitop2_b32 v18, 7, v72 bitop3:0x40
; %bb.775:                              ;   in Loop: Header=BB328_561 Depth=1
	s_or_b32 exec_lo, exec_lo, s28
	v_lshlrev_b32_e32 v30, 24, v30
	s_delay_alu instid0(VALU_DEP_2) | instskip(NEXT) | instid1(VALU_DEP_3)
	v_lshlrev_b32_e32 v18, 20, v18
	v_lshl_add_u32 v31, v31, 23, 0x3c000000
	s_delay_alu instid0(VALU_DEP_3) | instskip(NEXT) | instid1(VALU_DEP_1)
	v_and_b32_e32 v30, 0x80000000, v30
	v_or3_b32 v74, v18, v30, v31
.LBB328_776:                            ;   in Loop: Header=BB328_561 Depth=1
	s_or_b32 exec_lo, exec_lo, s27
.LBB328_777:                            ;   in Loop: Header=BB328_561 Depth=1
	s_delay_alu instid0(SALU_CYCLE_1)
	s_or_b32 exec_lo, exec_lo, s26
.LBB328_778:                            ;   in Loop: Header=BB328_561 Depth=1
	s_delay_alu instid0(SALU_CYCLE_1) | instskip(SKIP_4) | instid1(VALU_DEP_3)
	s_or_b32 exec_lo, exec_lo, s25
	v_and_b32_e32 v31, 0xff, v29
	v_dual_mov_b32 v18, v29 :: v_dual_mov_b32 v30, 0
	v_mov_b32_e32 v73, 0
	s_mov_b32 s25, exec_lo
	v_cmpx_ne_u16_e32 0, v31
	s_cbranch_execz .LBB328_784
; %bb.779:                              ;   in Loop: Header=BB328_561 Depth=1
	v_bfrev_b32_e32 v73, 1
	s_mov_b32 s26, exec_lo
	v_cmpx_ne_u16_e32 0x80, v31
	s_cbranch_execz .LBB328_783
; %bb.780:                              ;   in Loop: Header=BB328_561 Depth=1
	v_and_b32_e32 v31, 0x7f, v29
	v_mov_b32_e32 v73, 0x7f800001
	s_mov_b32 s27, exec_lo
	s_delay_alu instid0(VALU_DEP_2)
	v_cmpx_ne_u32_e32 0x7f, v31
	s_cbranch_execz .LBB328_782
; %bb.781:                              ;   in Loop: Header=BB328_561 Depth=1
	v_dual_lshrrev_b32 v73, 3, v31 :: v_dual_bitop2_b32 v72, 7, v29 bitop3:0x40
	v_cmp_gt_u32_e64 s0, 8, v31
	s_delay_alu instid0(VALU_DEP_2) | instskip(NEXT) | instid1(VALU_DEP_1)
	v_clz_i32_u32_e32 v72, v72
	v_min_u32_e32 v72, 32, v72
	s_delay_alu instid0(VALU_DEP_1) | instskip(SKIP_1) | instid1(VALU_DEP_1)
	v_subrev_nc_u32_e32 v76, 28, v72
	v_sub_nc_u32_e32 v72, 29, v72
	v_cndmask_b32_e64 v31, v73, v72, s0
	s_delay_alu instid0(VALU_DEP_3) | instskip(NEXT) | instid1(VALU_DEP_1)
	v_cndmask_b32_e64 v72, 0, v76, s0
	v_lshlrev_b64_e32 v[72:73], v72, v[18:19]
	v_lshlrev_b32_e32 v73, 24, v18
	s_delay_alu instid0(VALU_DEP_1) | instskip(NEXT) | instid1(VALU_DEP_3)
	v_and_b32_e32 v73, 0x80000000, v73
	v_lshlrev_b32_e32 v72, 20, v72
	v_lshl_add_u32 v31, v31, 23, 0x3c000000
	s_delay_alu instid0(VALU_DEP_2) | instskip(NEXT) | instid1(VALU_DEP_1)
	v_and_b32_e32 v72, 0x700000, v72
	v_or3_b32 v73, v72, v73, v31
.LBB328_782:                            ;   in Loop: Header=BB328_561 Depth=1
	s_or_b32 exec_lo, exec_lo, s27
.LBB328_783:                            ;   in Loop: Header=BB328_561 Depth=1
	s_delay_alu instid0(SALU_CYCLE_1)
	s_or_b32 exec_lo, exec_lo, s26
.LBB328_784:                            ;   in Loop: Header=BB328_561 Depth=1
	s_delay_alu instid0(SALU_CYCLE_1) | instskip(SKIP_2) | instid1(VALU_DEP_1)
	s_or_b32 exec_lo, exec_lo, s25
	v_lshrrev_b16 v31, 8, v18
	s_mov_b32 s25, exec_lo
	v_cmpx_ne_u16_e32 0, v31
	s_cbranch_execz .LBB328_792
; %bb.785:                              ;   in Loop: Header=BB328_561 Depth=1
	v_bfrev_b32_e32 v30, 1
	s_mov_b32 s26, exec_lo
	v_cmpx_ne_u16_e32 0x80, v31
	s_cbranch_execz .LBB328_791
; %bb.786:                              ;   in Loop: Header=BB328_561 Depth=1
	v_and_b32_e32 v31, 0xffff, v31
	v_mov_b32_e32 v30, 0x7f800001
	s_mov_b32 s27, exec_lo
	s_delay_alu instid0(VALU_DEP_2) | instskip(NEXT) | instid1(VALU_DEP_1)
	v_and_b32_e32 v76, 0x7f, v31
	v_cmpx_ne_u32_e32 0x7f, v76
	s_cbranch_execz .LBB328_790
; %bb.787:                              ;   in Loop: Header=BB328_561 Depth=1
	v_dual_mov_b32 v31, v19 :: v_dual_bitop2_b32 v30, 7, v31 bitop3:0x40
	v_lshrrev_b32_e32 v72, 3, v76
	s_mov_b32 s28, exec_lo
	v_cmpx_gt_u32_e32 8, v76
; %bb.788:                              ;   in Loop: Header=BB328_561 Depth=1
	s_delay_alu instid0(VALU_DEP_3) | instskip(NEXT) | instid1(VALU_DEP_1)
	v_clz_i32_u32_e32 v72, v30
	v_min_u32_e32 v72, 32, v72
	s_delay_alu instid0(VALU_DEP_1) | instskip(NEXT) | instid1(VALU_DEP_1)
	v_subrev_nc_u32_e32 v76, 28, v72
	v_lshlrev_b64_e32 v[30:31], v76, v[30:31]
	s_delay_alu instid0(VALU_DEP_1)
	v_dual_sub_nc_u32 v72, 29, v72 :: v_dual_bitop2_b32 v30, 7, v30 bitop3:0x40
; %bb.789:                              ;   in Loop: Header=BB328_561 Depth=1
	s_or_b32 exec_lo, exec_lo, s28
	v_lshlrev_b32_e32 v18, 16, v18
	s_delay_alu instid0(VALU_DEP_2) | instskip(NEXT) | instid1(VALU_DEP_3)
	v_lshlrev_b32_e32 v30, 20, v30
	v_lshl_add_u32 v31, v72, 23, 0x3c000000
	s_delay_alu instid0(VALU_DEP_3) | instskip(NEXT) | instid1(VALU_DEP_1)
	v_and_b32_e32 v18, 0x80000000, v18
	v_or3_b32 v30, v30, v18, v31
.LBB328_790:                            ;   in Loop: Header=BB328_561 Depth=1
	s_or_b32 exec_lo, exec_lo, s27
.LBB328_791:                            ;   in Loop: Header=BB328_561 Depth=1
	s_delay_alu instid0(SALU_CYCLE_1)
	s_or_b32 exec_lo, exec_lo, s26
.LBB328_792:                            ;   in Loop: Header=BB328_561 Depth=1
	s_delay_alu instid0(SALU_CYCLE_1) | instskip(SKIP_3) | instid1(VALU_DEP_2)
	s_or_b32 exec_lo, exec_lo, s25
	v_dual_mov_b32 v31, 0 :: v_dual_lshrrev_b32 v72, 16, v29
	v_mov_b32_e32 v78, 0
	s_mov_b32 s25, exec_lo
	v_and_b32_e32 v18, 0xff, v72
	s_delay_alu instid0(VALU_DEP_1)
	v_cmpx_ne_u16_e32 0, v18
	s_cbranch_execz .LBB328_800
; %bb.793:                              ;   in Loop: Header=BB328_561 Depth=1
	v_bfrev_b32_e32 v78, 1
	s_mov_b32 s26, exec_lo
	v_cmpx_ne_u16_e32 0x80, v18
	s_cbranch_execz .LBB328_799
; %bb.794:                              ;   in Loop: Header=BB328_561 Depth=1
	v_bfe_u32 v77, v29, 16, 7
	v_mov_b32_e32 v78, 0x7f800001
	s_mov_b32 s27, exec_lo
	s_delay_alu instid0(VALU_DEP_2)
	v_cmpx_ne_u32_e32 0x7f, v77
	s_cbranch_execz .LBB328_798
; %bb.795:                              ;   in Loop: Header=BB328_561 Depth=1
	v_dual_lshrrev_b32 v76, 3, v77 :: v_dual_bitop2_b32 v18, 7, v72 bitop3:0x40
	s_mov_b32 s28, exec_lo
	v_cmpx_gt_u32_e32 8, v77
; %bb.796:                              ;   in Loop: Header=BB328_561 Depth=1
	s_delay_alu instid0(VALU_DEP_2) | instskip(NEXT) | instid1(VALU_DEP_1)
	v_clz_i32_u32_e32 v76, v18
	v_min_u32_e32 v76, 32, v76
	s_delay_alu instid0(VALU_DEP_1) | instskip(NEXT) | instid1(VALU_DEP_1)
	v_subrev_nc_u32_e32 v77, 28, v76
	v_lshlrev_b64_e32 v[78:79], v77, v[18:19]
	s_delay_alu instid0(VALU_DEP_1)
	v_dual_sub_nc_u32 v76, 29, v76 :: v_dual_bitop2_b32 v18, 7, v78 bitop3:0x40
; %bb.797:                              ;   in Loop: Header=BB328_561 Depth=1
	s_or_b32 exec_lo, exec_lo, s28
	s_delay_alu instid0(VALU_DEP_1) | instskip(NEXT) | instid1(VALU_DEP_2)
	v_dual_lshlrev_b32 v72, 24, v72 :: v_dual_lshlrev_b32 v18, 20, v18
	v_lshl_add_u32 v76, v76, 23, 0x3c000000
	s_delay_alu instid0(VALU_DEP_2) | instskip(NEXT) | instid1(VALU_DEP_1)
	v_and_b32_e32 v72, 0x80000000, v72
	v_or3_b32 v78, v18, v72, v76
.LBB328_798:                            ;   in Loop: Header=BB328_561 Depth=1
	s_or_b32 exec_lo, exec_lo, s27
.LBB328_799:                            ;   in Loop: Header=BB328_561 Depth=1
	s_delay_alu instid0(SALU_CYCLE_1)
	s_or_b32 exec_lo, exec_lo, s26
.LBB328_800:                            ;   in Loop: Header=BB328_561 Depth=1
	s_delay_alu instid0(SALU_CYCLE_1) | instskip(NEXT) | instid1(SALU_CYCLE_1)
	s_or_b32 exec_lo, exec_lo, s25
	s_mov_b32 s25, exec_lo
	v_cmpx_lt_u64_e64 s[4:5], v[28:29]
	s_cbranch_execz .LBB328_808
; %bb.801:                              ;   in Loop: Header=BB328_561 Depth=1
	v_lshrrev_b32_e32 v28, 24, v29
	v_bfrev_b32_e32 v31, 1
	s_mov_b32 s26, exec_lo
	s_delay_alu instid0(VALU_DEP_2)
	v_cmpx_ne_u32_e32 0x80, v28
	s_cbranch_execz .LBB328_807
; %bb.802:                              ;   in Loop: Header=BB328_561 Depth=1
	v_bfe_u32 v72, v29, 24, 7
	v_mov_b32_e32 v31, 0x7f800001
	s_mov_b32 s27, exec_lo
	s_delay_alu instid0(VALU_DEP_2)
	v_cmpx_ne_u32_e32 0x7f, v72
	s_cbranch_execz .LBB328_806
; %bb.803:                              ;   in Loop: Header=BB328_561 Depth=1
	v_and_b32_e32 v18, 7, v28
	v_lshrrev_b32_e32 v29, 3, v72
	s_mov_b32 s28, exec_lo
	v_cmpx_gt_u32_e32 8, v72
; %bb.804:                              ;   in Loop: Header=BB328_561 Depth=1
	s_delay_alu instid0(VALU_DEP_3) | instskip(NEXT) | instid1(VALU_DEP_1)
	v_clz_i32_u32_e32 v29, v18
	v_min_u32_e32 v29, 32, v29
	s_delay_alu instid0(VALU_DEP_1) | instskip(NEXT) | instid1(VALU_DEP_1)
	v_subrev_nc_u32_e32 v31, 28, v29
	v_lshlrev_b64_e32 v[76:77], v31, v[18:19]
	s_delay_alu instid0(VALU_DEP_1)
	v_dual_sub_nc_u32 v29, 29, v29 :: v_dual_bitop2_b32 v18, 7, v76 bitop3:0x40
; %bb.805:                              ;   in Loop: Header=BB328_561 Depth=1
	s_or_b32 exec_lo, exec_lo, s28
	s_delay_alu instid0(VALU_DEP_1) | instskip(NEXT) | instid1(VALU_DEP_2)
	v_dual_lshlrev_b32 v28, 24, v28 :: v_dual_lshlrev_b32 v18, 20, v18
	v_lshl_add_u32 v29, v29, 23, 0x3c000000
	s_delay_alu instid0(VALU_DEP_2) | instskip(NEXT) | instid1(VALU_DEP_1)
	v_and_b32_e32 v28, 0x80000000, v28
	v_or3_b32 v31, v18, v28, v29
.LBB328_806:                            ;   in Loop: Header=BB328_561 Depth=1
	s_or_b32 exec_lo, exec_lo, s27
.LBB328_807:                            ;   in Loop: Header=BB328_561 Depth=1
	s_delay_alu instid0(SALU_CYCLE_1)
	s_or_b32 exec_lo, exec_lo, s26
.LBB328_808:                            ;   in Loop: Header=BB328_561 Depth=1
	s_delay_alu instid0(SALU_CYCLE_1)
	s_or_b32 exec_lo, exec_lo, s25
	v_fma_mixlo_bf16 v72, s24, v30, 0
	v_fma_mixlo_bf16 v73, s24, v73, 0
	;; [unrolled: 1-line block ×8, first 2 shown]
	s_and_saveexec_b32 s25, vcc_lo
	s_cbranch_execz .LBB328_810
; %bb.809:                              ;   in Loop: Header=BB328_561 Depth=1
	v_cmp_gt_i32_e64 s0, s34, v46
	s_delay_alu instid0(VALU_DEP_1) | instskip(SKIP_1) | instid1(VALU_DEP_1)
	v_cndmask_b32_e64 v77, 0, v77, s0
	v_cmp_gt_i32_e64 s0, s34, v53
	v_cndmask_b32_e64 v76, 0, v76, s0
	v_cmp_gt_i32_e64 s0, s34, v52
	s_delay_alu instid0(VALU_DEP_1) | instskip(SKIP_1) | instid1(VALU_DEP_1)
	v_cndmask_b32_e64 v75, 0, v75, s0
	v_cmp_gt_i32_e64 s0, s34, v51
	v_cndmask_b32_e64 v74, 0, v74, s0
	;; [unrolled: 5-line block ×4, first 2 shown]
.LBB328_810:                            ;   in Loop: Header=BB328_561 Depth=1
	s_or_b32 exec_lo, exec_lo, s25
	global_load_b64 v[28:29], v[24:25], off offset:1024
	v_dual_mov_b32 v79, 0 :: v_dual_mov_b32 v78, 0
	s_mov_b32 s25, exec_lo
	s_wait_loadcnt 0x0
	v_and_b32_e32 v18, 0xff, v28
	s_delay_alu instid0(VALU_DEP_1)
	v_cmpx_ne_u16_e32 0, v18
	s_cbranch_execz .LBB328_816
; %bb.811:                              ;   in Loop: Header=BB328_561 Depth=1
	v_bfrev_b32_e32 v78, 1
	s_mov_b32 s26, exec_lo
	v_cmpx_ne_u16_e32 0x80, v18
	s_cbranch_execz .LBB328_815
; %bb.812:                              ;   in Loop: Header=BB328_561 Depth=1
	v_and_b32_e32 v18, 0x7f, v28
	v_mov_b32_e32 v78, 0x7f800001
	s_mov_b32 s27, exec_lo
	s_delay_alu instid0(VALU_DEP_2)
	v_cmpx_ne_u32_e32 0x7f, v18
	s_cbranch_execz .LBB328_814
; %bb.813:                              ;   in Loop: Header=BB328_561 Depth=1
	v_dual_lshrrev_b32 v31, 3, v18 :: v_dual_bitop2_b32 v30, 7, v28 bitop3:0x40
	v_cmp_gt_u32_e64 s0, 8, v18
	s_delay_alu instid0(VALU_DEP_2) | instskip(NEXT) | instid1(VALU_DEP_1)
	v_clz_i32_u32_e32 v30, v30
	v_min_u32_e32 v30, 32, v30
	s_delay_alu instid0(VALU_DEP_1) | instskip(SKIP_1) | instid1(VALU_DEP_1)
	v_subrev_nc_u32_e32 v78, 28, v30
	v_sub_nc_u32_e32 v30, 29, v30
	v_cndmask_b32_e64 v18, v31, v30, s0
	s_delay_alu instid0(VALU_DEP_3) | instskip(NEXT) | instid1(VALU_DEP_1)
	v_cndmask_b32_e64 v30, 0, v78, s0
	v_lshlrev_b64_e32 v[30:31], v30, v[28:29]
	v_lshlrev_b32_e32 v31, 24, v28
	s_delay_alu instid0(VALU_DEP_1) | instskip(NEXT) | instid1(VALU_DEP_3)
	v_and_b32_e32 v31, 0x80000000, v31
	v_lshlrev_b32_e32 v30, 20, v30
	v_lshl_add_u32 v18, v18, 23, 0x3c000000
	s_delay_alu instid0(VALU_DEP_2) | instskip(NEXT) | instid1(VALU_DEP_1)
	v_and_b32_e32 v30, 0x700000, v30
	v_or3_b32 v78, v30, v31, v18
.LBB328_814:                            ;   in Loop: Header=BB328_561 Depth=1
	s_or_b32 exec_lo, exec_lo, s27
.LBB328_815:                            ;   in Loop: Header=BB328_561 Depth=1
	s_delay_alu instid0(SALU_CYCLE_1)
	s_or_b32 exec_lo, exec_lo, s26
.LBB328_816:                            ;   in Loop: Header=BB328_561 Depth=1
	s_delay_alu instid0(SALU_CYCLE_1) | instskip(SKIP_2) | instid1(VALU_DEP_1)
	s_or_b32 exec_lo, exec_lo, s25
	v_lshrrev_b16 v18, 8, v28
	s_mov_b32 s25, exec_lo
	v_cmpx_ne_u16_e32 0, v18
	s_cbranch_execz .LBB328_824
; %bb.817:                              ;   in Loop: Header=BB328_561 Depth=1
	v_bfrev_b32_e32 v79, 1
	s_mov_b32 s26, exec_lo
	v_cmpx_ne_u16_e32 0x80, v18
	s_cbranch_execz .LBB328_823
; %bb.818:                              ;   in Loop: Header=BB328_561 Depth=1
	v_and_b32_e32 v18, 0xffff, v18
	v_mov_b32_e32 v79, 0x7f800001
	s_mov_b32 s27, exec_lo
	s_delay_alu instid0(VALU_DEP_2) | instskip(NEXT) | instid1(VALU_DEP_1)
	v_and_b32_e32 v31, 0x7f, v18
	v_cmpx_ne_u32_e32 0x7f, v31
	s_cbranch_execz .LBB328_822
; %bb.819:                              ;   in Loop: Header=BB328_561 Depth=1
	v_dual_lshrrev_b32 v30, 3, v31 :: v_dual_bitop2_b32 v18, 7, v18 bitop3:0x40
	s_mov_b32 s28, exec_lo
	v_cmpx_gt_u32_e32 8, v31
; %bb.820:                              ;   in Loop: Header=BB328_561 Depth=1
	s_delay_alu instid0(VALU_DEP_2) | instskip(NEXT) | instid1(VALU_DEP_1)
	v_clz_i32_u32_e32 v30, v18
	v_min_u32_e32 v30, 32, v30
	s_delay_alu instid0(VALU_DEP_1) | instskip(NEXT) | instid1(VALU_DEP_1)
	v_subrev_nc_u32_e32 v31, 28, v30
	v_lshlrev_b64_e32 v[80:81], v31, v[18:19]
	s_delay_alu instid0(VALU_DEP_1)
	v_dual_sub_nc_u32 v30, 29, v30 :: v_dual_bitop2_b32 v18, 7, v80 bitop3:0x40
; %bb.821:                              ;   in Loop: Header=BB328_561 Depth=1
	s_or_b32 exec_lo, exec_lo, s28
	s_delay_alu instid0(VALU_DEP_1) | instskip(NEXT) | instid1(VALU_DEP_2)
	v_dual_lshlrev_b32 v31, 16, v28 :: v_dual_lshlrev_b32 v18, 20, v18
	v_lshl_add_u32 v30, v30, 23, 0x3c000000
	s_delay_alu instid0(VALU_DEP_2) | instskip(NEXT) | instid1(VALU_DEP_1)
	v_and_b32_e32 v31, 0x80000000, v31
	v_or3_b32 v79, v18, v31, v30
.LBB328_822:                            ;   in Loop: Header=BB328_561 Depth=1
	s_or_b32 exec_lo, exec_lo, s27
.LBB328_823:                            ;   in Loop: Header=BB328_561 Depth=1
	s_delay_alu instid0(SALU_CYCLE_1)
	s_or_b32 exec_lo, exec_lo, s26
.LBB328_824:                            ;   in Loop: Header=BB328_561 Depth=1
	s_delay_alu instid0(SALU_CYCLE_1) | instskip(SKIP_3) | instid1(VALU_DEP_2)
	s_or_b32 exec_lo, exec_lo, s25
	v_dual_lshrrev_b32 v30, 16, v28 :: v_dual_mov_b32 v82, 0
	v_mov_b32_e32 v83, 0
	s_mov_b32 s25, exec_lo
	v_and_b32_e32 v18, 0xff, v30
	s_delay_alu instid0(VALU_DEP_1)
	v_cmpx_ne_u16_e32 0, v18
	s_cbranch_execz .LBB328_832
; %bb.825:                              ;   in Loop: Header=BB328_561 Depth=1
	v_bfrev_b32_e32 v83, 1
	s_mov_b32 s26, exec_lo
	v_cmpx_ne_u16_e32 0x80, v18
	s_cbranch_execz .LBB328_831
; %bb.826:                              ;   in Loop: Header=BB328_561 Depth=1
	v_bfe_u32 v80, v28, 16, 7
	v_mov_b32_e32 v83, 0x7f800001
	s_mov_b32 s27, exec_lo
	s_delay_alu instid0(VALU_DEP_2)
	v_cmpx_ne_u32_e32 0x7f, v80
	s_cbranch_execz .LBB328_830
; %bb.827:                              ;   in Loop: Header=BB328_561 Depth=1
	v_dual_lshrrev_b32 v31, 3, v80 :: v_dual_bitop2_b32 v18, 7, v30 bitop3:0x40
	s_mov_b32 s28, exec_lo
	v_cmpx_gt_u32_e32 8, v80
; %bb.828:                              ;   in Loop: Header=BB328_561 Depth=1
	s_delay_alu instid0(VALU_DEP_2) | instskip(NEXT) | instid1(VALU_DEP_1)
	v_clz_i32_u32_e32 v31, v18
	v_min_u32_e32 v31, 32, v31
	s_delay_alu instid0(VALU_DEP_1) | instskip(NEXT) | instid1(VALU_DEP_1)
	v_subrev_nc_u32_e32 v80, 28, v31
	v_lshlrev_b64_e32 v[80:81], v80, v[18:19]
	s_delay_alu instid0(VALU_DEP_1)
	v_dual_sub_nc_u32 v31, 29, v31 :: v_dual_bitop2_b32 v18, 7, v80 bitop3:0x40
; %bb.829:                              ;   in Loop: Header=BB328_561 Depth=1
	s_or_b32 exec_lo, exec_lo, s28
	v_lshlrev_b32_e32 v30, 24, v30
	s_delay_alu instid0(VALU_DEP_2) | instskip(NEXT) | instid1(VALU_DEP_3)
	v_lshlrev_b32_e32 v18, 20, v18
	v_lshl_add_u32 v31, v31, 23, 0x3c000000
	s_delay_alu instid0(VALU_DEP_3) | instskip(NEXT) | instid1(VALU_DEP_1)
	v_and_b32_e32 v30, 0x80000000, v30
	v_or3_b32 v83, v18, v30, v31
.LBB328_830:                            ;   in Loop: Header=BB328_561 Depth=1
	s_or_b32 exec_lo, exec_lo, s27
.LBB328_831:                            ;   in Loop: Header=BB328_561 Depth=1
	s_delay_alu instid0(SALU_CYCLE_1)
	s_or_b32 exec_lo, exec_lo, s26
.LBB328_832:                            ;   in Loop: Header=BB328_561 Depth=1
	s_delay_alu instid0(SALU_CYCLE_1) | instskip(NEXT) | instid1(SALU_CYCLE_1)
	s_or_b32 exec_lo, exec_lo, s25
	s_mov_b32 s25, exec_lo
	v_cmpx_lt_u32_e32 0xffffff, v28
	s_cbranch_execz .LBB328_840
; %bb.833:                              ;   in Loop: Header=BB328_561 Depth=1
	v_lshrrev_b32_e32 v30, 24, v28
	v_bfrev_b32_e32 v82, 1
	s_mov_b32 s26, exec_lo
	s_delay_alu instid0(VALU_DEP_2)
	v_cmpx_ne_u32_e32 0x80, v30
	s_cbranch_execz .LBB328_839
; %bb.834:                              ;   in Loop: Header=BB328_561 Depth=1
	v_bfe_u32 v80, v28, 24, 7
	v_mov_b32_e32 v82, 0x7f800001
	s_mov_b32 s27, exec_lo
	s_delay_alu instid0(VALU_DEP_2)
	v_cmpx_ne_u32_e32 0x7f, v80
	s_cbranch_execz .LBB328_838
; %bb.835:                              ;   in Loop: Header=BB328_561 Depth=1
	v_dual_lshrrev_b32 v31, 3, v80 :: v_dual_bitop2_b32 v18, 7, v30 bitop3:0x40
	s_mov_b32 s28, exec_lo
	v_cmpx_gt_u32_e32 8, v80
; %bb.836:                              ;   in Loop: Header=BB328_561 Depth=1
	s_delay_alu instid0(VALU_DEP_2) | instskip(NEXT) | instid1(VALU_DEP_1)
	v_clz_i32_u32_e32 v31, v18
	v_min_u32_e32 v31, 32, v31
	s_delay_alu instid0(VALU_DEP_1) | instskip(NEXT) | instid1(VALU_DEP_1)
	v_subrev_nc_u32_e32 v80, 28, v31
	v_lshlrev_b64_e32 v[80:81], v80, v[18:19]
	s_delay_alu instid0(VALU_DEP_1)
	v_dual_sub_nc_u32 v31, 29, v31 :: v_dual_bitop2_b32 v18, 7, v80 bitop3:0x40
; %bb.837:                              ;   in Loop: Header=BB328_561 Depth=1
	s_or_b32 exec_lo, exec_lo, s28
	v_lshlrev_b32_e32 v30, 24, v30
	s_delay_alu instid0(VALU_DEP_2) | instskip(NEXT) | instid1(VALU_DEP_3)
	v_lshlrev_b32_e32 v18, 20, v18
	v_lshl_add_u32 v31, v31, 23, 0x3c000000
	s_delay_alu instid0(VALU_DEP_3) | instskip(NEXT) | instid1(VALU_DEP_1)
	v_and_b32_e32 v30, 0x80000000, v30
	v_or3_b32 v82, v18, v30, v31
.LBB328_838:                            ;   in Loop: Header=BB328_561 Depth=1
	s_or_b32 exec_lo, exec_lo, s27
.LBB328_839:                            ;   in Loop: Header=BB328_561 Depth=1
	s_delay_alu instid0(SALU_CYCLE_1)
	s_or_b32 exec_lo, exec_lo, s26
.LBB328_840:                            ;   in Loop: Header=BB328_561 Depth=1
	s_delay_alu instid0(SALU_CYCLE_1) | instskip(SKIP_4) | instid1(VALU_DEP_3)
	s_or_b32 exec_lo, exec_lo, s25
	v_and_b32_e32 v31, 0xff, v29
	v_dual_mov_b32 v18, v29 :: v_dual_mov_b32 v30, 0
	v_mov_b32_e32 v81, 0
	s_mov_b32 s25, exec_lo
	v_cmpx_ne_u16_e32 0, v31
	s_cbranch_execz .LBB328_846
; %bb.841:                              ;   in Loop: Header=BB328_561 Depth=1
	v_bfrev_b32_e32 v81, 1
	s_mov_b32 s26, exec_lo
	v_cmpx_ne_u16_e32 0x80, v31
	s_cbranch_execz .LBB328_845
; %bb.842:                              ;   in Loop: Header=BB328_561 Depth=1
	v_and_b32_e32 v31, 0x7f, v29
	v_mov_b32_e32 v81, 0x7f800001
	s_mov_b32 s27, exec_lo
	s_delay_alu instid0(VALU_DEP_2)
	v_cmpx_ne_u32_e32 0x7f, v31
	s_cbranch_execz .LBB328_844
; %bb.843:                              ;   in Loop: Header=BB328_561 Depth=1
	v_dual_lshrrev_b32 v81, 3, v31 :: v_dual_bitop2_b32 v80, 7, v29 bitop3:0x40
	v_cmp_gt_u32_e64 s0, 8, v31
	s_delay_alu instid0(VALU_DEP_2) | instskip(NEXT) | instid1(VALU_DEP_1)
	v_clz_i32_u32_e32 v80, v80
	v_min_u32_e32 v80, 32, v80
	s_delay_alu instid0(VALU_DEP_1) | instskip(SKIP_1) | instid1(VALU_DEP_1)
	v_subrev_nc_u32_e32 v84, 28, v80
	v_sub_nc_u32_e32 v80, 29, v80
	v_cndmask_b32_e64 v31, v81, v80, s0
	s_delay_alu instid0(VALU_DEP_3) | instskip(NEXT) | instid1(VALU_DEP_1)
	v_cndmask_b32_e64 v80, 0, v84, s0
	v_lshlrev_b64_e32 v[80:81], v80, v[18:19]
	v_lshlrev_b32_e32 v81, 24, v18
	s_delay_alu instid0(VALU_DEP_1) | instskip(NEXT) | instid1(VALU_DEP_3)
	v_and_b32_e32 v81, 0x80000000, v81
	v_lshlrev_b32_e32 v80, 20, v80
	v_lshl_add_u32 v31, v31, 23, 0x3c000000
	s_delay_alu instid0(VALU_DEP_2) | instskip(NEXT) | instid1(VALU_DEP_1)
	v_and_b32_e32 v80, 0x700000, v80
	v_or3_b32 v81, v80, v81, v31
.LBB328_844:                            ;   in Loop: Header=BB328_561 Depth=1
	s_or_b32 exec_lo, exec_lo, s27
.LBB328_845:                            ;   in Loop: Header=BB328_561 Depth=1
	s_delay_alu instid0(SALU_CYCLE_1)
	s_or_b32 exec_lo, exec_lo, s26
.LBB328_846:                            ;   in Loop: Header=BB328_561 Depth=1
	s_delay_alu instid0(SALU_CYCLE_1) | instskip(SKIP_2) | instid1(VALU_DEP_1)
	s_or_b32 exec_lo, exec_lo, s25
	v_lshrrev_b16 v31, 8, v18
	s_mov_b32 s25, exec_lo
	v_cmpx_ne_u16_e32 0, v31
	s_cbranch_execz .LBB328_854
; %bb.847:                              ;   in Loop: Header=BB328_561 Depth=1
	v_bfrev_b32_e32 v30, 1
	s_mov_b32 s26, exec_lo
	v_cmpx_ne_u16_e32 0x80, v31
	s_cbranch_execz .LBB328_853
; %bb.848:                              ;   in Loop: Header=BB328_561 Depth=1
	v_and_b32_e32 v31, 0xffff, v31
	v_mov_b32_e32 v30, 0x7f800001
	s_mov_b32 s27, exec_lo
	s_delay_alu instid0(VALU_DEP_2) | instskip(NEXT) | instid1(VALU_DEP_1)
	v_and_b32_e32 v84, 0x7f, v31
	v_cmpx_ne_u32_e32 0x7f, v84
	s_cbranch_execz .LBB328_852
; %bb.849:                              ;   in Loop: Header=BB328_561 Depth=1
	v_dual_mov_b32 v31, v19 :: v_dual_bitop2_b32 v30, 7, v31 bitop3:0x40
	v_lshrrev_b32_e32 v80, 3, v84
	s_mov_b32 s28, exec_lo
	v_cmpx_gt_u32_e32 8, v84
; %bb.850:                              ;   in Loop: Header=BB328_561 Depth=1
	s_delay_alu instid0(VALU_DEP_3) | instskip(NEXT) | instid1(VALU_DEP_1)
	v_clz_i32_u32_e32 v80, v30
	v_min_u32_e32 v80, 32, v80
	s_delay_alu instid0(VALU_DEP_1) | instskip(NEXT) | instid1(VALU_DEP_1)
	v_subrev_nc_u32_e32 v84, 28, v80
	v_lshlrev_b64_e32 v[30:31], v84, v[30:31]
	s_delay_alu instid0(VALU_DEP_1)
	v_dual_sub_nc_u32 v80, 29, v80 :: v_dual_bitop2_b32 v30, 7, v30 bitop3:0x40
; %bb.851:                              ;   in Loop: Header=BB328_561 Depth=1
	s_or_b32 exec_lo, exec_lo, s28
	v_lshlrev_b32_e32 v18, 16, v18
	s_delay_alu instid0(VALU_DEP_2) | instskip(NEXT) | instid1(VALU_DEP_3)
	v_lshlrev_b32_e32 v30, 20, v30
	v_lshl_add_u32 v31, v80, 23, 0x3c000000
	s_delay_alu instid0(VALU_DEP_3) | instskip(NEXT) | instid1(VALU_DEP_1)
	v_and_b32_e32 v18, 0x80000000, v18
	v_or3_b32 v30, v30, v18, v31
.LBB328_852:                            ;   in Loop: Header=BB328_561 Depth=1
	s_or_b32 exec_lo, exec_lo, s27
.LBB328_853:                            ;   in Loop: Header=BB328_561 Depth=1
	s_delay_alu instid0(SALU_CYCLE_1)
	s_or_b32 exec_lo, exec_lo, s26
.LBB328_854:                            ;   in Loop: Header=BB328_561 Depth=1
	s_delay_alu instid0(SALU_CYCLE_1) | instskip(SKIP_3) | instid1(VALU_DEP_2)
	s_or_b32 exec_lo, exec_lo, s25
	v_dual_mov_b32 v31, 0 :: v_dual_lshrrev_b32 v80, 16, v29
	v_mov_b32_e32 v86, 0
	s_mov_b32 s25, exec_lo
	v_and_b32_e32 v18, 0xff, v80
	s_delay_alu instid0(VALU_DEP_1)
	v_cmpx_ne_u16_e32 0, v18
	s_cbranch_execz .LBB328_862
; %bb.855:                              ;   in Loop: Header=BB328_561 Depth=1
	v_bfrev_b32_e32 v86, 1
	s_mov_b32 s26, exec_lo
	v_cmpx_ne_u16_e32 0x80, v18
	s_cbranch_execz .LBB328_861
; %bb.856:                              ;   in Loop: Header=BB328_561 Depth=1
	v_bfe_u32 v85, v29, 16, 7
	v_mov_b32_e32 v86, 0x7f800001
	s_mov_b32 s27, exec_lo
	s_delay_alu instid0(VALU_DEP_2)
	v_cmpx_ne_u32_e32 0x7f, v85
	s_cbranch_execz .LBB328_860
; %bb.857:                              ;   in Loop: Header=BB328_561 Depth=1
	v_dual_lshrrev_b32 v84, 3, v85 :: v_dual_bitop2_b32 v18, 7, v80 bitop3:0x40
	s_mov_b32 s28, exec_lo
	v_cmpx_gt_u32_e32 8, v85
; %bb.858:                              ;   in Loop: Header=BB328_561 Depth=1
	s_delay_alu instid0(VALU_DEP_2) | instskip(NEXT) | instid1(VALU_DEP_1)
	v_clz_i32_u32_e32 v84, v18
	v_min_u32_e32 v84, 32, v84
	s_delay_alu instid0(VALU_DEP_1) | instskip(NEXT) | instid1(VALU_DEP_1)
	v_subrev_nc_u32_e32 v85, 28, v84
	v_lshlrev_b64_e32 v[86:87], v85, v[18:19]
	s_delay_alu instid0(VALU_DEP_1)
	v_dual_sub_nc_u32 v84, 29, v84 :: v_dual_bitop2_b32 v18, 7, v86 bitop3:0x40
; %bb.859:                              ;   in Loop: Header=BB328_561 Depth=1
	s_or_b32 exec_lo, exec_lo, s28
	s_delay_alu instid0(VALU_DEP_1) | instskip(NEXT) | instid1(VALU_DEP_2)
	v_dual_lshlrev_b32 v80, 24, v80 :: v_dual_lshlrev_b32 v18, 20, v18
	v_lshl_add_u32 v84, v84, 23, 0x3c000000
	s_delay_alu instid0(VALU_DEP_2) | instskip(NEXT) | instid1(VALU_DEP_1)
	v_and_b32_e32 v80, 0x80000000, v80
	v_or3_b32 v86, v18, v80, v84
.LBB328_860:                            ;   in Loop: Header=BB328_561 Depth=1
	s_or_b32 exec_lo, exec_lo, s27
.LBB328_861:                            ;   in Loop: Header=BB328_561 Depth=1
	s_delay_alu instid0(SALU_CYCLE_1)
	s_or_b32 exec_lo, exec_lo, s26
.LBB328_862:                            ;   in Loop: Header=BB328_561 Depth=1
	s_delay_alu instid0(SALU_CYCLE_1) | instskip(NEXT) | instid1(SALU_CYCLE_1)
	s_or_b32 exec_lo, exec_lo, s25
	s_mov_b32 s25, exec_lo
	v_cmpx_lt_u64_e64 s[4:5], v[28:29]
	s_cbranch_execz .LBB328_870
; %bb.863:                              ;   in Loop: Header=BB328_561 Depth=1
	v_lshrrev_b32_e32 v28, 24, v29
	v_bfrev_b32_e32 v31, 1
	s_mov_b32 s26, exec_lo
	s_delay_alu instid0(VALU_DEP_2)
	v_cmpx_ne_u32_e32 0x80, v28
	s_cbranch_execz .LBB328_869
; %bb.864:                              ;   in Loop: Header=BB328_561 Depth=1
	v_bfe_u32 v80, v29, 24, 7
	v_mov_b32_e32 v31, 0x7f800001
	s_mov_b32 s27, exec_lo
	s_delay_alu instid0(VALU_DEP_2)
	v_cmpx_ne_u32_e32 0x7f, v80
	s_cbranch_execz .LBB328_868
; %bb.865:                              ;   in Loop: Header=BB328_561 Depth=1
	v_and_b32_e32 v18, 7, v28
	v_lshrrev_b32_e32 v29, 3, v80
	s_mov_b32 s28, exec_lo
	v_cmpx_gt_u32_e32 8, v80
; %bb.866:                              ;   in Loop: Header=BB328_561 Depth=1
	s_delay_alu instid0(VALU_DEP_3) | instskip(NEXT) | instid1(VALU_DEP_1)
	v_clz_i32_u32_e32 v29, v18
	v_min_u32_e32 v29, 32, v29
	s_delay_alu instid0(VALU_DEP_1) | instskip(NEXT) | instid1(VALU_DEP_1)
	v_subrev_nc_u32_e32 v31, 28, v29
	v_lshlrev_b64_e32 v[84:85], v31, v[18:19]
	s_delay_alu instid0(VALU_DEP_1)
	v_dual_sub_nc_u32 v29, 29, v29 :: v_dual_bitop2_b32 v18, 7, v84 bitop3:0x40
; %bb.867:                              ;   in Loop: Header=BB328_561 Depth=1
	s_or_b32 exec_lo, exec_lo, s28
	s_delay_alu instid0(VALU_DEP_1) | instskip(NEXT) | instid1(VALU_DEP_2)
	v_dual_lshlrev_b32 v28, 24, v28 :: v_dual_lshlrev_b32 v18, 20, v18
	v_lshl_add_u32 v29, v29, 23, 0x3c000000
	s_delay_alu instid0(VALU_DEP_2) | instskip(NEXT) | instid1(VALU_DEP_1)
	v_and_b32_e32 v28, 0x80000000, v28
	v_or3_b32 v31, v18, v28, v29
.LBB328_868:                            ;   in Loop: Header=BB328_561 Depth=1
	s_or_b32 exec_lo, exec_lo, s27
.LBB328_869:                            ;   in Loop: Header=BB328_561 Depth=1
	s_delay_alu instid0(SALU_CYCLE_1)
	s_or_b32 exec_lo, exec_lo, s26
.LBB328_870:                            ;   in Loop: Header=BB328_561 Depth=1
	s_delay_alu instid0(SALU_CYCLE_1)
	s_or_b32 exec_lo, exec_lo, s25
	v_fma_mixlo_bf16 v80, s24, v30, 0
	v_fma_mixlo_bf16 v81, s24, v81, 0
	;; [unrolled: 1-line block ×8, first 2 shown]
	s_and_saveexec_b32 s25, vcc_lo
	s_cbranch_execz .LBB328_872
; %bb.871:                              ;   in Loop: Header=BB328_561 Depth=1
	v_cmp_gt_i32_e64 s0, s34, v46
	s_delay_alu instid0(VALU_DEP_1) | instskip(SKIP_1) | instid1(VALU_DEP_1)
	v_cndmask_b32_e64 v85, 0, v85, s0
	v_cmp_gt_i32_e64 s0, s34, v53
	v_cndmask_b32_e64 v84, 0, v84, s0
	v_cmp_gt_i32_e64 s0, s34, v52
	s_delay_alu instid0(VALU_DEP_1) | instskip(SKIP_1) | instid1(VALU_DEP_1)
	v_cndmask_b32_e64 v83, 0, v83, s0
	v_cmp_gt_i32_e64 s0, s34, v51
	v_cndmask_b32_e64 v82, 0, v82, s0
	;; [unrolled: 5-line block ×4, first 2 shown]
.LBB328_872:                            ;   in Loop: Header=BB328_561 Depth=1
	s_or_b32 exec_lo, exec_lo, s25
	global_load_b64 v[28:29], v[24:25], off offset:1280
	v_dual_mov_b32 v87, 0 :: v_dual_mov_b32 v86, 0
	s_mov_b32 s25, exec_lo
	s_wait_loadcnt 0x0
	v_and_b32_e32 v18, 0xff, v28
	s_delay_alu instid0(VALU_DEP_1)
	v_cmpx_ne_u16_e32 0, v18
	s_cbranch_execz .LBB328_878
; %bb.873:                              ;   in Loop: Header=BB328_561 Depth=1
	v_bfrev_b32_e32 v86, 1
	s_mov_b32 s26, exec_lo
	v_cmpx_ne_u16_e32 0x80, v18
	s_cbranch_execz .LBB328_877
; %bb.874:                              ;   in Loop: Header=BB328_561 Depth=1
	v_and_b32_e32 v18, 0x7f, v28
	v_mov_b32_e32 v86, 0x7f800001
	s_mov_b32 s27, exec_lo
	s_delay_alu instid0(VALU_DEP_2)
	v_cmpx_ne_u32_e32 0x7f, v18
	s_cbranch_execz .LBB328_876
; %bb.875:                              ;   in Loop: Header=BB328_561 Depth=1
	v_dual_lshrrev_b32 v31, 3, v18 :: v_dual_bitop2_b32 v30, 7, v28 bitop3:0x40
	v_cmp_gt_u32_e64 s0, 8, v18
	s_delay_alu instid0(VALU_DEP_2) | instskip(NEXT) | instid1(VALU_DEP_1)
	v_clz_i32_u32_e32 v30, v30
	v_min_u32_e32 v30, 32, v30
	s_delay_alu instid0(VALU_DEP_1) | instskip(SKIP_1) | instid1(VALU_DEP_1)
	v_subrev_nc_u32_e32 v86, 28, v30
	v_sub_nc_u32_e32 v30, 29, v30
	v_cndmask_b32_e64 v18, v31, v30, s0
	s_delay_alu instid0(VALU_DEP_3) | instskip(NEXT) | instid1(VALU_DEP_1)
	v_cndmask_b32_e64 v30, 0, v86, s0
	v_lshlrev_b64_e32 v[30:31], v30, v[28:29]
	v_lshlrev_b32_e32 v31, 24, v28
	s_delay_alu instid0(VALU_DEP_1) | instskip(NEXT) | instid1(VALU_DEP_3)
	v_and_b32_e32 v31, 0x80000000, v31
	v_lshlrev_b32_e32 v30, 20, v30
	v_lshl_add_u32 v18, v18, 23, 0x3c000000
	s_delay_alu instid0(VALU_DEP_2) | instskip(NEXT) | instid1(VALU_DEP_1)
	v_and_b32_e32 v30, 0x700000, v30
	v_or3_b32 v86, v30, v31, v18
.LBB328_876:                            ;   in Loop: Header=BB328_561 Depth=1
	s_or_b32 exec_lo, exec_lo, s27
.LBB328_877:                            ;   in Loop: Header=BB328_561 Depth=1
	s_delay_alu instid0(SALU_CYCLE_1)
	s_or_b32 exec_lo, exec_lo, s26
.LBB328_878:                            ;   in Loop: Header=BB328_561 Depth=1
	s_delay_alu instid0(SALU_CYCLE_1) | instskip(SKIP_2) | instid1(VALU_DEP_1)
	s_or_b32 exec_lo, exec_lo, s25
	v_lshrrev_b16 v18, 8, v28
	s_mov_b32 s25, exec_lo
	v_cmpx_ne_u16_e32 0, v18
	s_cbranch_execz .LBB328_886
; %bb.879:                              ;   in Loop: Header=BB328_561 Depth=1
	v_bfrev_b32_e32 v87, 1
	s_mov_b32 s26, exec_lo
	v_cmpx_ne_u16_e32 0x80, v18
	s_cbranch_execz .LBB328_885
; %bb.880:                              ;   in Loop: Header=BB328_561 Depth=1
	v_and_b32_e32 v18, 0xffff, v18
	v_mov_b32_e32 v87, 0x7f800001
	s_mov_b32 s27, exec_lo
	s_delay_alu instid0(VALU_DEP_2) | instskip(NEXT) | instid1(VALU_DEP_1)
	v_and_b32_e32 v31, 0x7f, v18
	v_cmpx_ne_u32_e32 0x7f, v31
	s_cbranch_execz .LBB328_884
; %bb.881:                              ;   in Loop: Header=BB328_561 Depth=1
	v_dual_lshrrev_b32 v30, 3, v31 :: v_dual_bitop2_b32 v18, 7, v18 bitop3:0x40
	s_mov_b32 s28, exec_lo
	v_cmpx_gt_u32_e32 8, v31
; %bb.882:                              ;   in Loop: Header=BB328_561 Depth=1
	s_delay_alu instid0(VALU_DEP_2) | instskip(NEXT) | instid1(VALU_DEP_1)
	v_clz_i32_u32_e32 v30, v18
	v_min_u32_e32 v30, 32, v30
	s_delay_alu instid0(VALU_DEP_1) | instskip(NEXT) | instid1(VALU_DEP_1)
	v_subrev_nc_u32_e32 v31, 28, v30
	v_lshlrev_b64_e32 v[88:89], v31, v[18:19]
	s_delay_alu instid0(VALU_DEP_1)
	v_dual_sub_nc_u32 v30, 29, v30 :: v_dual_bitop2_b32 v18, 7, v88 bitop3:0x40
; %bb.883:                              ;   in Loop: Header=BB328_561 Depth=1
	s_or_b32 exec_lo, exec_lo, s28
	s_delay_alu instid0(VALU_DEP_1) | instskip(NEXT) | instid1(VALU_DEP_2)
	v_dual_lshlrev_b32 v31, 16, v28 :: v_dual_lshlrev_b32 v18, 20, v18
	v_lshl_add_u32 v30, v30, 23, 0x3c000000
	s_delay_alu instid0(VALU_DEP_2) | instskip(NEXT) | instid1(VALU_DEP_1)
	v_and_b32_e32 v31, 0x80000000, v31
	v_or3_b32 v87, v18, v31, v30
.LBB328_884:                            ;   in Loop: Header=BB328_561 Depth=1
	s_or_b32 exec_lo, exec_lo, s27
.LBB328_885:                            ;   in Loop: Header=BB328_561 Depth=1
	s_delay_alu instid0(SALU_CYCLE_1)
	s_or_b32 exec_lo, exec_lo, s26
.LBB328_886:                            ;   in Loop: Header=BB328_561 Depth=1
	s_delay_alu instid0(SALU_CYCLE_1) | instskip(SKIP_3) | instid1(VALU_DEP_2)
	s_or_b32 exec_lo, exec_lo, s25
	v_dual_lshrrev_b32 v30, 16, v28 :: v_dual_mov_b32 v90, 0
	v_mov_b32_e32 v91, 0
	s_mov_b32 s25, exec_lo
	v_and_b32_e32 v18, 0xff, v30
	s_delay_alu instid0(VALU_DEP_1)
	v_cmpx_ne_u16_e32 0, v18
	s_cbranch_execz .LBB328_894
; %bb.887:                              ;   in Loop: Header=BB328_561 Depth=1
	v_bfrev_b32_e32 v91, 1
	s_mov_b32 s26, exec_lo
	v_cmpx_ne_u16_e32 0x80, v18
	s_cbranch_execz .LBB328_893
; %bb.888:                              ;   in Loop: Header=BB328_561 Depth=1
	v_bfe_u32 v88, v28, 16, 7
	v_mov_b32_e32 v91, 0x7f800001
	s_mov_b32 s27, exec_lo
	s_delay_alu instid0(VALU_DEP_2)
	v_cmpx_ne_u32_e32 0x7f, v88
	s_cbranch_execz .LBB328_892
; %bb.889:                              ;   in Loop: Header=BB328_561 Depth=1
	v_dual_lshrrev_b32 v31, 3, v88 :: v_dual_bitop2_b32 v18, 7, v30 bitop3:0x40
	s_mov_b32 s28, exec_lo
	v_cmpx_gt_u32_e32 8, v88
; %bb.890:                              ;   in Loop: Header=BB328_561 Depth=1
	s_delay_alu instid0(VALU_DEP_2) | instskip(NEXT) | instid1(VALU_DEP_1)
	v_clz_i32_u32_e32 v31, v18
	v_min_u32_e32 v31, 32, v31
	s_delay_alu instid0(VALU_DEP_1) | instskip(NEXT) | instid1(VALU_DEP_1)
	v_subrev_nc_u32_e32 v88, 28, v31
	v_lshlrev_b64_e32 v[88:89], v88, v[18:19]
	s_delay_alu instid0(VALU_DEP_1)
	v_dual_sub_nc_u32 v31, 29, v31 :: v_dual_bitop2_b32 v18, 7, v88 bitop3:0x40
; %bb.891:                              ;   in Loop: Header=BB328_561 Depth=1
	s_or_b32 exec_lo, exec_lo, s28
	v_lshlrev_b32_e32 v30, 24, v30
	s_delay_alu instid0(VALU_DEP_2) | instskip(NEXT) | instid1(VALU_DEP_3)
	v_lshlrev_b32_e32 v18, 20, v18
	v_lshl_add_u32 v31, v31, 23, 0x3c000000
	s_delay_alu instid0(VALU_DEP_3) | instskip(NEXT) | instid1(VALU_DEP_1)
	v_and_b32_e32 v30, 0x80000000, v30
	v_or3_b32 v91, v18, v30, v31
.LBB328_892:                            ;   in Loop: Header=BB328_561 Depth=1
	s_or_b32 exec_lo, exec_lo, s27
.LBB328_893:                            ;   in Loop: Header=BB328_561 Depth=1
	s_delay_alu instid0(SALU_CYCLE_1)
	s_or_b32 exec_lo, exec_lo, s26
.LBB328_894:                            ;   in Loop: Header=BB328_561 Depth=1
	s_delay_alu instid0(SALU_CYCLE_1) | instskip(NEXT) | instid1(SALU_CYCLE_1)
	s_or_b32 exec_lo, exec_lo, s25
	s_mov_b32 s25, exec_lo
	v_cmpx_lt_u32_e32 0xffffff, v28
	s_cbranch_execz .LBB328_902
; %bb.895:                              ;   in Loop: Header=BB328_561 Depth=1
	v_lshrrev_b32_e32 v30, 24, v28
	v_bfrev_b32_e32 v90, 1
	s_mov_b32 s26, exec_lo
	s_delay_alu instid0(VALU_DEP_2)
	v_cmpx_ne_u32_e32 0x80, v30
	s_cbranch_execz .LBB328_901
; %bb.896:                              ;   in Loop: Header=BB328_561 Depth=1
	v_bfe_u32 v88, v28, 24, 7
	v_mov_b32_e32 v90, 0x7f800001
	s_mov_b32 s27, exec_lo
	s_delay_alu instid0(VALU_DEP_2)
	v_cmpx_ne_u32_e32 0x7f, v88
	s_cbranch_execz .LBB328_900
; %bb.897:                              ;   in Loop: Header=BB328_561 Depth=1
	v_dual_lshrrev_b32 v31, 3, v88 :: v_dual_bitop2_b32 v18, 7, v30 bitop3:0x40
	s_mov_b32 s28, exec_lo
	v_cmpx_gt_u32_e32 8, v88
; %bb.898:                              ;   in Loop: Header=BB328_561 Depth=1
	s_delay_alu instid0(VALU_DEP_2) | instskip(NEXT) | instid1(VALU_DEP_1)
	v_clz_i32_u32_e32 v31, v18
	v_min_u32_e32 v31, 32, v31
	s_delay_alu instid0(VALU_DEP_1) | instskip(NEXT) | instid1(VALU_DEP_1)
	v_subrev_nc_u32_e32 v88, 28, v31
	v_lshlrev_b64_e32 v[88:89], v88, v[18:19]
	s_delay_alu instid0(VALU_DEP_1)
	v_dual_sub_nc_u32 v31, 29, v31 :: v_dual_bitop2_b32 v18, 7, v88 bitop3:0x40
; %bb.899:                              ;   in Loop: Header=BB328_561 Depth=1
	s_or_b32 exec_lo, exec_lo, s28
	v_lshlrev_b32_e32 v30, 24, v30
	s_delay_alu instid0(VALU_DEP_2) | instskip(NEXT) | instid1(VALU_DEP_3)
	v_lshlrev_b32_e32 v18, 20, v18
	v_lshl_add_u32 v31, v31, 23, 0x3c000000
	s_delay_alu instid0(VALU_DEP_3) | instskip(NEXT) | instid1(VALU_DEP_1)
	v_and_b32_e32 v30, 0x80000000, v30
	v_or3_b32 v90, v18, v30, v31
.LBB328_900:                            ;   in Loop: Header=BB328_561 Depth=1
	s_or_b32 exec_lo, exec_lo, s27
.LBB328_901:                            ;   in Loop: Header=BB328_561 Depth=1
	s_delay_alu instid0(SALU_CYCLE_1)
	s_or_b32 exec_lo, exec_lo, s26
.LBB328_902:                            ;   in Loop: Header=BB328_561 Depth=1
	s_delay_alu instid0(SALU_CYCLE_1) | instskip(SKIP_4) | instid1(VALU_DEP_3)
	s_or_b32 exec_lo, exec_lo, s25
	v_and_b32_e32 v31, 0xff, v29
	v_dual_mov_b32 v18, v29 :: v_dual_mov_b32 v30, 0
	v_mov_b32_e32 v89, 0
	s_mov_b32 s25, exec_lo
	v_cmpx_ne_u16_e32 0, v31
	s_cbranch_execz .LBB328_908
; %bb.903:                              ;   in Loop: Header=BB328_561 Depth=1
	v_bfrev_b32_e32 v89, 1
	s_mov_b32 s26, exec_lo
	v_cmpx_ne_u16_e32 0x80, v31
	s_cbranch_execz .LBB328_907
; %bb.904:                              ;   in Loop: Header=BB328_561 Depth=1
	v_and_b32_e32 v31, 0x7f, v29
	v_mov_b32_e32 v89, 0x7f800001
	s_mov_b32 s27, exec_lo
	s_delay_alu instid0(VALU_DEP_2)
	v_cmpx_ne_u32_e32 0x7f, v31
	s_cbranch_execz .LBB328_906
; %bb.905:                              ;   in Loop: Header=BB328_561 Depth=1
	v_dual_lshrrev_b32 v89, 3, v31 :: v_dual_bitop2_b32 v88, 7, v29 bitop3:0x40
	v_cmp_gt_u32_e64 s0, 8, v31
	s_delay_alu instid0(VALU_DEP_2) | instskip(NEXT) | instid1(VALU_DEP_1)
	v_clz_i32_u32_e32 v88, v88
	v_min_u32_e32 v88, 32, v88
	s_delay_alu instid0(VALU_DEP_1) | instskip(SKIP_1) | instid1(VALU_DEP_1)
	v_subrev_nc_u32_e32 v92, 28, v88
	v_sub_nc_u32_e32 v88, 29, v88
	v_cndmask_b32_e64 v31, v89, v88, s0
	s_delay_alu instid0(VALU_DEP_3) | instskip(NEXT) | instid1(VALU_DEP_1)
	v_cndmask_b32_e64 v88, 0, v92, s0
	v_lshlrev_b64_e32 v[88:89], v88, v[18:19]
	v_lshlrev_b32_e32 v89, 24, v18
	s_delay_alu instid0(VALU_DEP_1) | instskip(NEXT) | instid1(VALU_DEP_3)
	v_and_b32_e32 v89, 0x80000000, v89
	v_lshlrev_b32_e32 v88, 20, v88
	v_lshl_add_u32 v31, v31, 23, 0x3c000000
	s_delay_alu instid0(VALU_DEP_2) | instskip(NEXT) | instid1(VALU_DEP_1)
	v_and_b32_e32 v88, 0x700000, v88
	v_or3_b32 v89, v88, v89, v31
.LBB328_906:                            ;   in Loop: Header=BB328_561 Depth=1
	s_or_b32 exec_lo, exec_lo, s27
.LBB328_907:                            ;   in Loop: Header=BB328_561 Depth=1
	s_delay_alu instid0(SALU_CYCLE_1)
	s_or_b32 exec_lo, exec_lo, s26
.LBB328_908:                            ;   in Loop: Header=BB328_561 Depth=1
	s_delay_alu instid0(SALU_CYCLE_1) | instskip(SKIP_2) | instid1(VALU_DEP_1)
	s_or_b32 exec_lo, exec_lo, s25
	v_lshrrev_b16 v31, 8, v18
	s_mov_b32 s25, exec_lo
	v_cmpx_ne_u16_e32 0, v31
	s_cbranch_execz .LBB328_916
; %bb.909:                              ;   in Loop: Header=BB328_561 Depth=1
	v_bfrev_b32_e32 v30, 1
	s_mov_b32 s26, exec_lo
	v_cmpx_ne_u16_e32 0x80, v31
	s_cbranch_execz .LBB328_915
; %bb.910:                              ;   in Loop: Header=BB328_561 Depth=1
	v_and_b32_e32 v31, 0xffff, v31
	v_mov_b32_e32 v30, 0x7f800001
	s_mov_b32 s27, exec_lo
	s_delay_alu instid0(VALU_DEP_2) | instskip(NEXT) | instid1(VALU_DEP_1)
	v_and_b32_e32 v92, 0x7f, v31
	v_cmpx_ne_u32_e32 0x7f, v92
	s_cbranch_execz .LBB328_914
; %bb.911:                              ;   in Loop: Header=BB328_561 Depth=1
	v_dual_mov_b32 v31, v19 :: v_dual_bitop2_b32 v30, 7, v31 bitop3:0x40
	v_lshrrev_b32_e32 v88, 3, v92
	s_mov_b32 s28, exec_lo
	v_cmpx_gt_u32_e32 8, v92
; %bb.912:                              ;   in Loop: Header=BB328_561 Depth=1
	s_delay_alu instid0(VALU_DEP_3) | instskip(NEXT) | instid1(VALU_DEP_1)
	v_clz_i32_u32_e32 v88, v30
	v_min_u32_e32 v88, 32, v88
	s_delay_alu instid0(VALU_DEP_1) | instskip(NEXT) | instid1(VALU_DEP_1)
	v_subrev_nc_u32_e32 v92, 28, v88
	v_lshlrev_b64_e32 v[30:31], v92, v[30:31]
	s_delay_alu instid0(VALU_DEP_1)
	v_dual_sub_nc_u32 v88, 29, v88 :: v_dual_bitop2_b32 v30, 7, v30 bitop3:0x40
; %bb.913:                              ;   in Loop: Header=BB328_561 Depth=1
	s_or_b32 exec_lo, exec_lo, s28
	v_lshlrev_b32_e32 v18, 16, v18
	s_delay_alu instid0(VALU_DEP_2) | instskip(NEXT) | instid1(VALU_DEP_3)
	v_lshlrev_b32_e32 v30, 20, v30
	v_lshl_add_u32 v31, v88, 23, 0x3c000000
	s_delay_alu instid0(VALU_DEP_3) | instskip(NEXT) | instid1(VALU_DEP_1)
	v_and_b32_e32 v18, 0x80000000, v18
	v_or3_b32 v30, v30, v18, v31
.LBB328_914:                            ;   in Loop: Header=BB328_561 Depth=1
	s_or_b32 exec_lo, exec_lo, s27
.LBB328_915:                            ;   in Loop: Header=BB328_561 Depth=1
	s_delay_alu instid0(SALU_CYCLE_1)
	s_or_b32 exec_lo, exec_lo, s26
.LBB328_916:                            ;   in Loop: Header=BB328_561 Depth=1
	s_delay_alu instid0(SALU_CYCLE_1) | instskip(SKIP_3) | instid1(VALU_DEP_2)
	s_or_b32 exec_lo, exec_lo, s25
	v_dual_mov_b32 v31, 0 :: v_dual_lshrrev_b32 v88, 16, v29
	v_mov_b32_e32 v94, 0
	s_mov_b32 s25, exec_lo
	v_and_b32_e32 v18, 0xff, v88
	s_delay_alu instid0(VALU_DEP_1)
	v_cmpx_ne_u16_e32 0, v18
	s_cbranch_execz .LBB328_924
; %bb.917:                              ;   in Loop: Header=BB328_561 Depth=1
	v_bfrev_b32_e32 v94, 1
	s_mov_b32 s26, exec_lo
	v_cmpx_ne_u16_e32 0x80, v18
	s_cbranch_execz .LBB328_923
; %bb.918:                              ;   in Loop: Header=BB328_561 Depth=1
	v_bfe_u32 v93, v29, 16, 7
	v_mov_b32_e32 v94, 0x7f800001
	s_mov_b32 s27, exec_lo
	s_delay_alu instid0(VALU_DEP_2)
	v_cmpx_ne_u32_e32 0x7f, v93
	s_cbranch_execz .LBB328_922
; %bb.919:                              ;   in Loop: Header=BB328_561 Depth=1
	v_dual_lshrrev_b32 v92, 3, v93 :: v_dual_bitop2_b32 v18, 7, v88 bitop3:0x40
	s_mov_b32 s28, exec_lo
	v_cmpx_gt_u32_e32 8, v93
; %bb.920:                              ;   in Loop: Header=BB328_561 Depth=1
	s_delay_alu instid0(VALU_DEP_2) | instskip(NEXT) | instid1(VALU_DEP_1)
	v_clz_i32_u32_e32 v92, v18
	v_min_u32_e32 v92, 32, v92
	s_delay_alu instid0(VALU_DEP_1) | instskip(NEXT) | instid1(VALU_DEP_1)
	v_subrev_nc_u32_e32 v93, 28, v92
	v_lshlrev_b64_e32 v[94:95], v93, v[18:19]
	s_delay_alu instid0(VALU_DEP_1)
	v_dual_sub_nc_u32 v92, 29, v92 :: v_dual_bitop2_b32 v18, 7, v94 bitop3:0x40
; %bb.921:                              ;   in Loop: Header=BB328_561 Depth=1
	s_or_b32 exec_lo, exec_lo, s28
	s_delay_alu instid0(VALU_DEP_1) | instskip(NEXT) | instid1(VALU_DEP_2)
	v_dual_lshlrev_b32 v88, 24, v88 :: v_dual_lshlrev_b32 v18, 20, v18
	v_lshl_add_u32 v92, v92, 23, 0x3c000000
	s_delay_alu instid0(VALU_DEP_2) | instskip(NEXT) | instid1(VALU_DEP_1)
	v_and_b32_e32 v88, 0x80000000, v88
	v_or3_b32 v94, v18, v88, v92
.LBB328_922:                            ;   in Loop: Header=BB328_561 Depth=1
	s_or_b32 exec_lo, exec_lo, s27
.LBB328_923:                            ;   in Loop: Header=BB328_561 Depth=1
	s_delay_alu instid0(SALU_CYCLE_1)
	s_or_b32 exec_lo, exec_lo, s26
.LBB328_924:                            ;   in Loop: Header=BB328_561 Depth=1
	s_delay_alu instid0(SALU_CYCLE_1) | instskip(NEXT) | instid1(SALU_CYCLE_1)
	s_or_b32 exec_lo, exec_lo, s25
	s_mov_b32 s25, exec_lo
	v_cmpx_lt_u64_e64 s[4:5], v[28:29]
	s_cbranch_execz .LBB328_932
; %bb.925:                              ;   in Loop: Header=BB328_561 Depth=1
	v_lshrrev_b32_e32 v28, 24, v29
	v_bfrev_b32_e32 v31, 1
	s_mov_b32 s26, exec_lo
	s_delay_alu instid0(VALU_DEP_2)
	v_cmpx_ne_u32_e32 0x80, v28
	s_cbranch_execz .LBB328_931
; %bb.926:                              ;   in Loop: Header=BB328_561 Depth=1
	v_bfe_u32 v88, v29, 24, 7
	v_mov_b32_e32 v31, 0x7f800001
	s_mov_b32 s27, exec_lo
	s_delay_alu instid0(VALU_DEP_2)
	v_cmpx_ne_u32_e32 0x7f, v88
	s_cbranch_execz .LBB328_930
; %bb.927:                              ;   in Loop: Header=BB328_561 Depth=1
	v_and_b32_e32 v18, 7, v28
	v_lshrrev_b32_e32 v29, 3, v88
	s_mov_b32 s28, exec_lo
	v_cmpx_gt_u32_e32 8, v88
; %bb.928:                              ;   in Loop: Header=BB328_561 Depth=1
	s_delay_alu instid0(VALU_DEP_3) | instskip(NEXT) | instid1(VALU_DEP_1)
	v_clz_i32_u32_e32 v29, v18
	v_min_u32_e32 v29, 32, v29
	s_delay_alu instid0(VALU_DEP_1) | instskip(NEXT) | instid1(VALU_DEP_1)
	v_subrev_nc_u32_e32 v31, 28, v29
	v_lshlrev_b64_e32 v[92:93], v31, v[18:19]
	s_delay_alu instid0(VALU_DEP_1)
	v_dual_sub_nc_u32 v29, 29, v29 :: v_dual_bitop2_b32 v18, 7, v92 bitop3:0x40
; %bb.929:                              ;   in Loop: Header=BB328_561 Depth=1
	s_or_b32 exec_lo, exec_lo, s28
	s_delay_alu instid0(VALU_DEP_1) | instskip(NEXT) | instid1(VALU_DEP_2)
	v_dual_lshlrev_b32 v28, 24, v28 :: v_dual_lshlrev_b32 v18, 20, v18
	v_lshl_add_u32 v29, v29, 23, 0x3c000000
	s_delay_alu instid0(VALU_DEP_2) | instskip(NEXT) | instid1(VALU_DEP_1)
	v_and_b32_e32 v28, 0x80000000, v28
	v_or3_b32 v31, v18, v28, v29
.LBB328_930:                            ;   in Loop: Header=BB328_561 Depth=1
	s_or_b32 exec_lo, exec_lo, s27
.LBB328_931:                            ;   in Loop: Header=BB328_561 Depth=1
	s_delay_alu instid0(SALU_CYCLE_1)
	s_or_b32 exec_lo, exec_lo, s26
.LBB328_932:                            ;   in Loop: Header=BB328_561 Depth=1
	s_delay_alu instid0(SALU_CYCLE_1)
	s_or_b32 exec_lo, exec_lo, s25
	v_fma_mixlo_bf16 v88, s24, v30, 0
	v_fma_mixlo_bf16 v89, s24, v89, 0
	;; [unrolled: 1-line block ×8, first 2 shown]
	s_and_saveexec_b32 s25, vcc_lo
	s_cbranch_execz .LBB328_934
; %bb.933:                              ;   in Loop: Header=BB328_561 Depth=1
	v_cmp_gt_i32_e64 s0, s34, v46
	s_delay_alu instid0(VALU_DEP_1) | instskip(SKIP_1) | instid1(VALU_DEP_1)
	v_cndmask_b32_e64 v93, 0, v93, s0
	v_cmp_gt_i32_e64 s0, s34, v53
	v_cndmask_b32_e64 v92, 0, v92, s0
	v_cmp_gt_i32_e64 s0, s34, v52
	s_delay_alu instid0(VALU_DEP_1) | instskip(SKIP_1) | instid1(VALU_DEP_1)
	v_cndmask_b32_e64 v91, 0, v91, s0
	v_cmp_gt_i32_e64 s0, s34, v51
	v_cndmask_b32_e64 v90, 0, v90, s0
	;; [unrolled: 5-line block ×4, first 2 shown]
.LBB328_934:                            ;   in Loop: Header=BB328_561 Depth=1
	s_or_b32 exec_lo, exec_lo, s25
	global_load_b64 v[28:29], v[24:25], off offset:1536
	v_dual_mov_b32 v98, 0 :: v_dual_mov_b32 v99, 0
	s_mov_b32 s25, exec_lo
	s_wait_loadcnt 0x0
	v_and_b32_e32 v18, 0xff, v28
	s_delay_alu instid0(VALU_DEP_1)
	v_cmpx_ne_u16_e32 0, v18
	s_cbranch_execz .LBB328_940
; %bb.935:                              ;   in Loop: Header=BB328_561 Depth=1
	v_bfrev_b32_e32 v99, 1
	s_mov_b32 s26, exec_lo
	v_cmpx_ne_u16_e32 0x80, v18
	s_cbranch_execz .LBB328_939
; %bb.936:                              ;   in Loop: Header=BB328_561 Depth=1
	v_and_b32_e32 v18, 0x7f, v28
	v_mov_b32_e32 v99, 0x7f800001
	s_mov_b32 s27, exec_lo
	s_delay_alu instid0(VALU_DEP_2)
	v_cmpx_ne_u32_e32 0x7f, v18
	s_cbranch_execz .LBB328_938
; %bb.937:                              ;   in Loop: Header=BB328_561 Depth=1
	v_dual_lshrrev_b32 v31, 3, v18 :: v_dual_bitop2_b32 v30, 7, v28 bitop3:0x40
	v_cmp_gt_u32_e64 s0, 8, v18
	s_delay_alu instid0(VALU_DEP_2) | instskip(NEXT) | instid1(VALU_DEP_1)
	v_clz_i32_u32_e32 v30, v30
	v_min_u32_e32 v30, 32, v30
	s_delay_alu instid0(VALU_DEP_1) | instskip(SKIP_1) | instid1(VALU_DEP_1)
	v_subrev_nc_u32_e32 v94, 28, v30
	v_sub_nc_u32_e32 v30, 29, v30
	v_cndmask_b32_e64 v18, v31, v30, s0
	s_delay_alu instid0(VALU_DEP_3) | instskip(NEXT) | instid1(VALU_DEP_1)
	v_cndmask_b32_e64 v30, 0, v94, s0
	v_lshlrev_b64_e32 v[30:31], v30, v[28:29]
	v_lshlrev_b32_e32 v31, 24, v28
	s_delay_alu instid0(VALU_DEP_1) | instskip(NEXT) | instid1(VALU_DEP_3)
	v_and_b32_e32 v31, 0x80000000, v31
	v_lshlrev_b32_e32 v30, 20, v30
	v_lshl_add_u32 v18, v18, 23, 0x3c000000
	s_delay_alu instid0(VALU_DEP_2) | instskip(NEXT) | instid1(VALU_DEP_1)
	v_and_b32_e32 v30, 0x700000, v30
	v_or3_b32 v99, v30, v31, v18
.LBB328_938:                            ;   in Loop: Header=BB328_561 Depth=1
	s_or_b32 exec_lo, exec_lo, s27
.LBB328_939:                            ;   in Loop: Header=BB328_561 Depth=1
	s_delay_alu instid0(SALU_CYCLE_1)
	s_or_b32 exec_lo, exec_lo, s26
.LBB328_940:                            ;   in Loop: Header=BB328_561 Depth=1
	s_delay_alu instid0(SALU_CYCLE_1) | instskip(SKIP_2) | instid1(VALU_DEP_1)
	s_or_b32 exec_lo, exec_lo, s25
	v_lshrrev_b16 v18, 8, v28
	s_mov_b32 s25, exec_lo
	v_cmpx_ne_u16_e32 0, v18
	s_cbranch_execz .LBB328_948
; %bb.941:                              ;   in Loop: Header=BB328_561 Depth=1
	v_bfrev_b32_e32 v98, 1
	s_mov_b32 s26, exec_lo
	v_cmpx_ne_u16_e32 0x80, v18
	s_cbranch_execz .LBB328_947
; %bb.942:                              ;   in Loop: Header=BB328_561 Depth=1
	v_and_b32_e32 v18, 0xffff, v18
	v_mov_b32_e32 v98, 0x7f800001
	s_mov_b32 s27, exec_lo
	s_delay_alu instid0(VALU_DEP_2) | instskip(NEXT) | instid1(VALU_DEP_1)
	v_and_b32_e32 v31, 0x7f, v18
	v_cmpx_ne_u32_e32 0x7f, v31
	s_cbranch_execz .LBB328_946
; %bb.943:                              ;   in Loop: Header=BB328_561 Depth=1
	v_dual_lshrrev_b32 v30, 3, v31 :: v_dual_bitop2_b32 v18, 7, v18 bitop3:0x40
	s_mov_b32 s28, exec_lo
	v_cmpx_gt_u32_e32 8, v31
; %bb.944:                              ;   in Loop: Header=BB328_561 Depth=1
	s_delay_alu instid0(VALU_DEP_2) | instskip(NEXT) | instid1(VALU_DEP_1)
	v_clz_i32_u32_e32 v30, v18
	v_min_u32_e32 v30, 32, v30
	s_delay_alu instid0(VALU_DEP_1) | instskip(SKIP_1) | instid1(VALU_DEP_2)
	v_subrev_nc_u32_e32 v31, 28, v30
	v_sub_nc_u32_e32 v30, 29, v30
	v_lshlrev_b64_e32 v[94:95], v31, v[18:19]
	s_delay_alu instid0(VALU_DEP_1)
	v_and_b32_e32 v18, 7, v94
; %bb.945:                              ;   in Loop: Header=BB328_561 Depth=1
	s_or_b32 exec_lo, exec_lo, s28
	s_delay_alu instid0(VALU_DEP_1) | instskip(SKIP_1) | instid1(VALU_DEP_2)
	v_dual_lshlrev_b32 v31, 16, v28 :: v_dual_lshlrev_b32 v18, 20, v18
	v_lshl_add_u32 v30, v30, 23, 0x3c000000
	v_and_b32_e32 v31, 0x80000000, v31
	s_delay_alu instid0(VALU_DEP_1)
	v_or3_b32 v98, v18, v31, v30
.LBB328_946:                            ;   in Loop: Header=BB328_561 Depth=1
	s_or_b32 exec_lo, exec_lo, s27
.LBB328_947:                            ;   in Loop: Header=BB328_561 Depth=1
	s_delay_alu instid0(SALU_CYCLE_1)
	s_or_b32 exec_lo, exec_lo, s26
.LBB328_948:                            ;   in Loop: Header=BB328_561 Depth=1
	s_delay_alu instid0(SALU_CYCLE_1) | instskip(SKIP_3) | instid1(VALU_DEP_2)
	s_or_b32 exec_lo, exec_lo, s25
	v_dual_lshrrev_b32 v30, 16, v28 :: v_dual_mov_b32 v96, 0
	v_mov_b32_e32 v97, 0
	s_mov_b32 s25, exec_lo
	v_and_b32_e32 v18, 0xff, v30
	s_delay_alu instid0(VALU_DEP_1)
	v_cmpx_ne_u16_e32 0, v18
	s_cbranch_execz .LBB328_956
; %bb.949:                              ;   in Loop: Header=BB328_561 Depth=1
	v_bfrev_b32_e32 v97, 1
	s_mov_b32 s26, exec_lo
	v_cmpx_ne_u16_e32 0x80, v18
	s_cbranch_execz .LBB328_955
; %bb.950:                              ;   in Loop: Header=BB328_561 Depth=1
	v_bfe_u32 v94, v28, 16, 7
	v_mov_b32_e32 v97, 0x7f800001
	s_mov_b32 s27, exec_lo
	s_delay_alu instid0(VALU_DEP_2)
	v_cmpx_ne_u32_e32 0x7f, v94
	s_cbranch_execz .LBB328_954
; %bb.951:                              ;   in Loop: Header=BB328_561 Depth=1
	v_and_b32_e32 v18, 7, v30
	v_lshrrev_b32_e32 v31, 3, v94
	s_mov_b32 s28, exec_lo
	v_cmpx_gt_u32_e32 8, v94
; %bb.952:                              ;   in Loop: Header=BB328_561 Depth=1
	s_delay_alu instid0(VALU_DEP_3) | instskip(NEXT) | instid1(VALU_DEP_1)
	v_clz_i32_u32_e32 v31, v18
	v_min_u32_e32 v31, 32, v31
	s_delay_alu instid0(VALU_DEP_1) | instskip(NEXT) | instid1(VALU_DEP_1)
	v_subrev_nc_u32_e32 v94, 28, v31
	v_lshlrev_b64_e32 v[94:95], v94, v[18:19]
	s_delay_alu instid0(VALU_DEP_1)
	v_dual_sub_nc_u32 v31, 29, v31 :: v_dual_bitop2_b32 v18, 7, v94 bitop3:0x40
; %bb.953:                              ;   in Loop: Header=BB328_561 Depth=1
	s_or_b32 exec_lo, exec_lo, s28
	v_lshlrev_b32_e32 v30, 24, v30
	s_delay_alu instid0(VALU_DEP_2) | instskip(NEXT) | instid1(VALU_DEP_3)
	v_lshlrev_b32_e32 v18, 20, v18
	v_lshl_add_u32 v31, v31, 23, 0x3c000000
	s_delay_alu instid0(VALU_DEP_3) | instskip(NEXT) | instid1(VALU_DEP_1)
	v_and_b32_e32 v30, 0x80000000, v30
	v_or3_b32 v97, v18, v30, v31
.LBB328_954:                            ;   in Loop: Header=BB328_561 Depth=1
	s_or_b32 exec_lo, exec_lo, s27
.LBB328_955:                            ;   in Loop: Header=BB328_561 Depth=1
	s_delay_alu instid0(SALU_CYCLE_1)
	s_or_b32 exec_lo, exec_lo, s26
.LBB328_956:                            ;   in Loop: Header=BB328_561 Depth=1
	s_delay_alu instid0(SALU_CYCLE_1) | instskip(NEXT) | instid1(SALU_CYCLE_1)
	s_or_b32 exec_lo, exec_lo, s25
	s_mov_b32 s25, exec_lo
	v_cmpx_lt_u32_e32 0xffffff, v28
	s_cbranch_execz .LBB328_964
; %bb.957:                              ;   in Loop: Header=BB328_561 Depth=1
	v_lshrrev_b32_e32 v30, 24, v28
	v_bfrev_b32_e32 v96, 1
	s_mov_b32 s26, exec_lo
	s_delay_alu instid0(VALU_DEP_2)
	v_cmpx_ne_u32_e32 0x80, v30
	s_cbranch_execz .LBB328_963
; %bb.958:                              ;   in Loop: Header=BB328_561 Depth=1
	v_bfe_u32 v94, v28, 24, 7
	v_mov_b32_e32 v96, 0x7f800001
	s_mov_b32 s27, exec_lo
	s_delay_alu instid0(VALU_DEP_2)
	v_cmpx_ne_u32_e32 0x7f, v94
	s_cbranch_execz .LBB328_962
; %bb.959:                              ;   in Loop: Header=BB328_561 Depth=1
	v_and_b32_e32 v18, 7, v30
	v_lshrrev_b32_e32 v31, 3, v94
	s_mov_b32 s28, exec_lo
	v_cmpx_gt_u32_e32 8, v94
; %bb.960:                              ;   in Loop: Header=BB328_561 Depth=1
	s_delay_alu instid0(VALU_DEP_3) | instskip(NEXT) | instid1(VALU_DEP_1)
	v_clz_i32_u32_e32 v31, v18
	v_min_u32_e32 v31, 32, v31
	s_delay_alu instid0(VALU_DEP_1) | instskip(NEXT) | instid1(VALU_DEP_1)
	v_subrev_nc_u32_e32 v94, 28, v31
	v_lshlrev_b64_e32 v[94:95], v94, v[18:19]
	s_delay_alu instid0(VALU_DEP_1)
	v_dual_sub_nc_u32 v31, 29, v31 :: v_dual_bitop2_b32 v18, 7, v94 bitop3:0x40
; %bb.961:                              ;   in Loop: Header=BB328_561 Depth=1
	s_or_b32 exec_lo, exec_lo, s28
	v_lshlrev_b32_e32 v30, 24, v30
	s_delay_alu instid0(VALU_DEP_2) | instskip(NEXT) | instid1(VALU_DEP_3)
	v_lshlrev_b32_e32 v18, 20, v18
	v_lshl_add_u32 v31, v31, 23, 0x3c000000
	s_delay_alu instid0(VALU_DEP_3) | instskip(NEXT) | instid1(VALU_DEP_1)
	v_and_b32_e32 v30, 0x80000000, v30
	v_or3_b32 v96, v18, v30, v31
.LBB328_962:                            ;   in Loop: Header=BB328_561 Depth=1
	s_or_b32 exec_lo, exec_lo, s27
.LBB328_963:                            ;   in Loop: Header=BB328_561 Depth=1
	s_delay_alu instid0(SALU_CYCLE_1)
	s_or_b32 exec_lo, exec_lo, s26
.LBB328_964:                            ;   in Loop: Header=BB328_561 Depth=1
	s_delay_alu instid0(SALU_CYCLE_1) | instskip(SKIP_4) | instid1(VALU_DEP_3)
	s_or_b32 exec_lo, exec_lo, s25
	v_and_b32_e32 v31, 0xff, v29
	v_dual_mov_b32 v18, v29 :: v_dual_mov_b32 v30, 0
	v_mov_b32_e32 v95, 0
	s_mov_b32 s25, exec_lo
	v_cmpx_ne_u16_e32 0, v31
	s_cbranch_execz .LBB328_970
; %bb.965:                              ;   in Loop: Header=BB328_561 Depth=1
	v_bfrev_b32_e32 v95, 1
	s_mov_b32 s26, exec_lo
	v_cmpx_ne_u16_e32 0x80, v31
	s_cbranch_execz .LBB328_969
; %bb.966:                              ;   in Loop: Header=BB328_561 Depth=1
	v_and_b32_e32 v31, 0x7f, v29
	v_mov_b32_e32 v95, 0x7f800001
	s_mov_b32 s27, exec_lo
	s_delay_alu instid0(VALU_DEP_2)
	v_cmpx_ne_u32_e32 0x7f, v31
	s_cbranch_execz .LBB328_968
; %bb.967:                              ;   in Loop: Header=BB328_561 Depth=1
	v_dual_lshrrev_b32 v95, 3, v31 :: v_dual_bitop2_b32 v94, 7, v29 bitop3:0x40
	v_cmp_gt_u32_e64 s0, 8, v31
	s_delay_alu instid0(VALU_DEP_2) | instskip(NEXT) | instid1(VALU_DEP_1)
	v_clz_i32_u32_e32 v94, v94
	v_min_u32_e32 v94, 32, v94
	s_delay_alu instid0(VALU_DEP_1) | instskip(SKIP_1) | instid1(VALU_DEP_1)
	v_subrev_nc_u32_e32 v100, 28, v94
	v_sub_nc_u32_e32 v94, 29, v94
	v_dual_cndmask_b32 v31, v95, v94, s0 :: v_dual_cndmask_b32 v94, 0, v100, s0
	s_delay_alu instid0(VALU_DEP_1) | instskip(NEXT) | instid1(VALU_DEP_2)
	v_lshl_add_u32 v31, v31, 23, 0x3c000000
	v_lshlrev_b64_e32 v[94:95], v94, v[18:19]
	v_lshlrev_b32_e32 v95, 24, v18
	s_delay_alu instid0(VALU_DEP_1) | instskip(NEXT) | instid1(VALU_DEP_3)
	v_and_b32_e32 v95, 0x80000000, v95
	v_lshlrev_b32_e32 v94, 20, v94
	s_delay_alu instid0(VALU_DEP_1) | instskip(NEXT) | instid1(VALU_DEP_1)
	v_and_b32_e32 v94, 0x700000, v94
	v_or3_b32 v95, v94, v95, v31
.LBB328_968:                            ;   in Loop: Header=BB328_561 Depth=1
	s_or_b32 exec_lo, exec_lo, s27
.LBB328_969:                            ;   in Loop: Header=BB328_561 Depth=1
	s_delay_alu instid0(SALU_CYCLE_1)
	s_or_b32 exec_lo, exec_lo, s26
.LBB328_970:                            ;   in Loop: Header=BB328_561 Depth=1
	s_delay_alu instid0(SALU_CYCLE_1) | instskip(SKIP_2) | instid1(VALU_DEP_1)
	s_or_b32 exec_lo, exec_lo, s25
	v_lshrrev_b16 v31, 8, v18
	s_mov_b32 s25, exec_lo
	v_cmpx_ne_u16_e32 0, v31
	s_cbranch_execz .LBB328_978
; %bb.971:                              ;   in Loop: Header=BB328_561 Depth=1
	v_bfrev_b32_e32 v30, 1
	s_mov_b32 s26, exec_lo
	v_cmpx_ne_u16_e32 0x80, v31
	s_cbranch_execz .LBB328_977
; %bb.972:                              ;   in Loop: Header=BB328_561 Depth=1
	v_and_b32_e32 v31, 0xffff, v31
	v_mov_b32_e32 v30, 0x7f800001
	s_mov_b32 s27, exec_lo
	s_delay_alu instid0(VALU_DEP_2) | instskip(NEXT) | instid1(VALU_DEP_1)
	v_and_b32_e32 v100, 0x7f, v31
	v_cmpx_ne_u32_e32 0x7f, v100
	s_cbranch_execz .LBB328_976
; %bb.973:                              ;   in Loop: Header=BB328_561 Depth=1
	v_dual_mov_b32 v31, v19 :: v_dual_bitop2_b32 v30, 7, v31 bitop3:0x40
	v_lshrrev_b32_e32 v94, 3, v100
	s_mov_b32 s28, exec_lo
	v_cmpx_gt_u32_e32 8, v100
; %bb.974:                              ;   in Loop: Header=BB328_561 Depth=1
	s_delay_alu instid0(VALU_DEP_3) | instskip(NEXT) | instid1(VALU_DEP_1)
	v_clz_i32_u32_e32 v94, v30
	v_min_u32_e32 v94, 32, v94
	s_delay_alu instid0(VALU_DEP_1) | instskip(SKIP_1) | instid1(VALU_DEP_2)
	v_subrev_nc_u32_e32 v100, 28, v94
	v_sub_nc_u32_e32 v94, 29, v94
	v_lshlrev_b64_e32 v[30:31], v100, v[30:31]
	s_delay_alu instid0(VALU_DEP_1)
	v_and_b32_e32 v30, 7, v30
; %bb.975:                              ;   in Loop: Header=BB328_561 Depth=1
	s_or_b32 exec_lo, exec_lo, s28
	v_lshlrev_b32_e32 v18, 16, v18
	s_delay_alu instid0(VALU_DEP_2) | instskip(SKIP_1) | instid1(VALU_DEP_3)
	v_lshlrev_b32_e32 v30, 20, v30
	v_lshl_add_u32 v31, v94, 23, 0x3c000000
	v_and_b32_e32 v18, 0x80000000, v18
	s_delay_alu instid0(VALU_DEP_1)
	v_or3_b32 v30, v30, v18, v31
.LBB328_976:                            ;   in Loop: Header=BB328_561 Depth=1
	s_or_b32 exec_lo, exec_lo, s27
.LBB328_977:                            ;   in Loop: Header=BB328_561 Depth=1
	s_delay_alu instid0(SALU_CYCLE_1)
	s_or_b32 exec_lo, exec_lo, s26
.LBB328_978:                            ;   in Loop: Header=BB328_561 Depth=1
	s_delay_alu instid0(SALU_CYCLE_1) | instskip(SKIP_3) | instid1(VALU_DEP_2)
	s_or_b32 exec_lo, exec_lo, s25
	v_dual_mov_b32 v31, 0 :: v_dual_lshrrev_b32 v94, 16, v29
	v_mov_b32_e32 v100, 0
	s_mov_b32 s25, exec_lo
	v_and_b32_e32 v18, 0xff, v94
	s_delay_alu instid0(VALU_DEP_1)
	v_cmpx_ne_u16_e32 0, v18
	s_cbranch_execz .LBB328_986
; %bb.979:                              ;   in Loop: Header=BB328_561 Depth=1
	v_bfrev_b32_e32 v100, 1
	s_mov_b32 s26, exec_lo
	v_cmpx_ne_u16_e32 0x80, v18
	s_cbranch_execz .LBB328_985
; %bb.980:                              ;   in Loop: Header=BB328_561 Depth=1
	v_bfe_u32 v101, v29, 16, 7
	v_mov_b32_e32 v100, 0x7f800001
	s_mov_b32 s27, exec_lo
	s_delay_alu instid0(VALU_DEP_2)
	v_cmpx_ne_u32_e32 0x7f, v101
	s_cbranch_execz .LBB328_984
; %bb.981:                              ;   in Loop: Header=BB328_561 Depth=1
	v_dual_lshrrev_b32 v100, 3, v101 :: v_dual_bitop2_b32 v18, 7, v94 bitop3:0x40
	s_mov_b32 s28, exec_lo
	v_cmpx_gt_u32_e32 8, v101
; %bb.982:                              ;   in Loop: Header=BB328_561 Depth=1
	s_delay_alu instid0(VALU_DEP_2) | instskip(NEXT) | instid1(VALU_DEP_1)
	v_clz_i32_u32_e32 v100, v18
	v_min_u32_e32 v100, 32, v100
	s_delay_alu instid0(VALU_DEP_1) | instskip(NEXT) | instid1(VALU_DEP_1)
	v_subrev_nc_u32_e32 v101, 28, v100
	v_lshlrev_b64_e32 v[102:103], v101, v[18:19]
	s_delay_alu instid0(VALU_DEP_1)
	v_dual_sub_nc_u32 v100, 29, v100 :: v_dual_bitop2_b32 v18, 7, v102 bitop3:0x40
; %bb.983:                              ;   in Loop: Header=BB328_561 Depth=1
	s_or_b32 exec_lo, exec_lo, s28
	v_lshlrev_b32_e32 v94, 24, v94
	s_delay_alu instid0(VALU_DEP_2) | instskip(NEXT) | instid1(VALU_DEP_3)
	v_lshlrev_b32_e32 v18, 20, v18
	v_lshl_add_u32 v100, v100, 23, 0x3c000000
	s_delay_alu instid0(VALU_DEP_3) | instskip(NEXT) | instid1(VALU_DEP_1)
	v_and_b32_e32 v94, 0x80000000, v94
	v_or3_b32 v100, v18, v94, v100
.LBB328_984:                            ;   in Loop: Header=BB328_561 Depth=1
	s_or_b32 exec_lo, exec_lo, s27
.LBB328_985:                            ;   in Loop: Header=BB328_561 Depth=1
	s_delay_alu instid0(SALU_CYCLE_1)
	s_or_b32 exec_lo, exec_lo, s26
.LBB328_986:                            ;   in Loop: Header=BB328_561 Depth=1
	s_delay_alu instid0(SALU_CYCLE_1) | instskip(NEXT) | instid1(SALU_CYCLE_1)
	s_or_b32 exec_lo, exec_lo, s25
	s_mov_b32 s25, exec_lo
	v_cmpx_lt_u64_e64 s[4:5], v[28:29]
	s_cbranch_execz .LBB328_994
; %bb.987:                              ;   in Loop: Header=BB328_561 Depth=1
	v_lshrrev_b32_e32 v28, 24, v29
	v_bfrev_b32_e32 v31, 1
	s_mov_b32 s26, exec_lo
	s_delay_alu instid0(VALU_DEP_2)
	v_cmpx_ne_u32_e32 0x80, v28
	s_cbranch_execz .LBB328_993
; %bb.988:                              ;   in Loop: Header=BB328_561 Depth=1
	v_bfe_u32 v94, v29, 24, 7
	v_mov_b32_e32 v31, 0x7f800001
	s_mov_b32 s27, exec_lo
	s_delay_alu instid0(VALU_DEP_2)
	v_cmpx_ne_u32_e32 0x7f, v94
	s_cbranch_execz .LBB328_992
; %bb.989:                              ;   in Loop: Header=BB328_561 Depth=1
	v_dual_lshrrev_b32 v29, 3, v94 :: v_dual_bitop2_b32 v18, 7, v28 bitop3:0x40
	s_mov_b32 s28, exec_lo
	v_cmpx_gt_u32_e32 8, v94
; %bb.990:                              ;   in Loop: Header=BB328_561 Depth=1
	s_delay_alu instid0(VALU_DEP_2) | instskip(NEXT) | instid1(VALU_DEP_1)
	v_clz_i32_u32_e32 v29, v18
	v_min_u32_e32 v29, 32, v29
	s_delay_alu instid0(VALU_DEP_1) | instskip(NEXT) | instid1(VALU_DEP_1)
	v_subrev_nc_u32_e32 v31, 28, v29
	v_lshlrev_b64_e32 v[102:103], v31, v[18:19]
	s_delay_alu instid0(VALU_DEP_1)
	v_dual_sub_nc_u32 v29, 29, v29 :: v_dual_bitop2_b32 v18, 7, v102 bitop3:0x40
; %bb.991:                              ;   in Loop: Header=BB328_561 Depth=1
	s_or_b32 exec_lo, exec_lo, s28
	s_delay_alu instid0(VALU_DEP_1) | instskip(NEXT) | instid1(VALU_DEP_2)
	v_dual_lshlrev_b32 v28, 24, v28 :: v_dual_lshlrev_b32 v18, 20, v18
	v_lshl_add_u32 v29, v29, 23, 0x3c000000
	s_delay_alu instid0(VALU_DEP_2) | instskip(NEXT) | instid1(VALU_DEP_1)
	v_and_b32_e32 v28, 0x80000000, v28
	v_or3_b32 v31, v18, v28, v29
.LBB328_992:                            ;   in Loop: Header=BB328_561 Depth=1
	s_or_b32 exec_lo, exec_lo, s27
.LBB328_993:                            ;   in Loop: Header=BB328_561 Depth=1
	s_delay_alu instid0(SALU_CYCLE_1)
	s_or_b32 exec_lo, exec_lo, s26
.LBB328_994:                            ;   in Loop: Header=BB328_561 Depth=1
	s_delay_alu instid0(SALU_CYCLE_1)
	s_or_b32 exec_lo, exec_lo, s25
	v_fma_mixlo_bf16 v94, s24, v30, 0
	v_fma_mixlo_bf16 v95, s24, v95, 0
	;; [unrolled: 1-line block ×8, first 2 shown]
	s_and_saveexec_b32 s25, vcc_lo
	s_cbranch_execz .LBB328_996
; %bb.995:                              ;   in Loop: Header=BB328_561 Depth=1
	v_cmp_gt_i32_e64 s0, s34, v46
	s_delay_alu instid0(VALU_DEP_1) | instskip(SKIP_1) | instid1(VALU_DEP_1)
	v_cndmask_b32_e64 v99, 0, v99, s0
	v_cmp_gt_i32_e64 s0, s34, v53
	v_cndmask_b32_e64 v98, 0, v98, s0
	v_cmp_gt_i32_e64 s0, s34, v52
	s_delay_alu instid0(VALU_DEP_1) | instskip(SKIP_1) | instid1(VALU_DEP_1)
	v_cndmask_b32_e64 v97, 0, v97, s0
	v_cmp_gt_i32_e64 s0, s34, v51
	v_cndmask_b32_e64 v96, 0, v96, s0
	;; [unrolled: 5-line block ×4, first 2 shown]
.LBB328_996:                            ;   in Loop: Header=BB328_561 Depth=1
	s_or_b32 exec_lo, exec_lo, s25
	global_load_b64 v[24:25], v[24:25], off offset:1792
	v_dual_mov_b32 v101, 0 :: v_dual_mov_b32 v100, 0
	s_mov_b32 s25, exec_lo
	s_wait_loadcnt 0x0
	v_and_b32_e32 v18, 0xff, v24
	s_delay_alu instid0(VALU_DEP_1)
	v_cmpx_ne_u16_e32 0, v18
	s_cbranch_execz .LBB328_1002
; %bb.997:                              ;   in Loop: Header=BB328_561 Depth=1
	v_bfrev_b32_e32 v100, 1
	s_mov_b32 s26, exec_lo
	v_cmpx_ne_u16_e32 0x80, v18
	s_cbranch_execz .LBB328_1001
; %bb.998:                              ;   in Loop: Header=BB328_561 Depth=1
	v_and_b32_e32 v18, 0x7f, v24
	v_mov_b32_e32 v100, 0x7f800001
	s_mov_b32 s27, exec_lo
	s_delay_alu instid0(VALU_DEP_2)
	v_cmpx_ne_u32_e32 0x7f, v18
	s_cbranch_execz .LBB328_1000
; %bb.999:                              ;   in Loop: Header=BB328_561 Depth=1
	v_dual_lshrrev_b32 v29, 3, v18 :: v_dual_bitop2_b32 v28, 7, v24 bitop3:0x40
	v_cmp_gt_u32_e64 s0, 8, v18
	s_delay_alu instid0(VALU_DEP_2) | instskip(NEXT) | instid1(VALU_DEP_1)
	v_clz_i32_u32_e32 v28, v28
	v_min_u32_e32 v28, 32, v28
	s_delay_alu instid0(VALU_DEP_1) | instskip(SKIP_1) | instid1(VALU_DEP_1)
	v_subrev_nc_u32_e32 v100, 28, v28
	v_sub_nc_u32_e32 v28, 29, v28
	v_cndmask_b32_e64 v18, v29, v28, s0
	s_delay_alu instid0(VALU_DEP_3) | instskip(NEXT) | instid1(VALU_DEP_1)
	v_cndmask_b32_e64 v28, 0, v100, s0
	v_lshlrev_b64_e32 v[28:29], v28, v[24:25]
	v_lshlrev_b32_e32 v29, 24, v24
	s_delay_alu instid0(VALU_DEP_1) | instskip(NEXT) | instid1(VALU_DEP_3)
	v_and_b32_e32 v29, 0x80000000, v29
	v_lshlrev_b32_e32 v28, 20, v28
	v_lshl_add_u32 v18, v18, 23, 0x3c000000
	s_delay_alu instid0(VALU_DEP_2) | instskip(NEXT) | instid1(VALU_DEP_1)
	v_and_b32_e32 v28, 0x700000, v28
	v_or3_b32 v100, v28, v29, v18
.LBB328_1000:                           ;   in Loop: Header=BB328_561 Depth=1
	s_or_b32 exec_lo, exec_lo, s27
.LBB328_1001:                           ;   in Loop: Header=BB328_561 Depth=1
	s_delay_alu instid0(SALU_CYCLE_1)
	s_or_b32 exec_lo, exec_lo, s26
.LBB328_1002:                           ;   in Loop: Header=BB328_561 Depth=1
	s_delay_alu instid0(SALU_CYCLE_1) | instskip(SKIP_2) | instid1(VALU_DEP_1)
	s_or_b32 exec_lo, exec_lo, s25
	v_lshrrev_b16 v18, 8, v24
	s_mov_b32 s25, exec_lo
	v_cmpx_ne_u16_e32 0, v18
	s_cbranch_execz .LBB328_1010
; %bb.1003:                             ;   in Loop: Header=BB328_561 Depth=1
	v_bfrev_b32_e32 v101, 1
	s_mov_b32 s26, exec_lo
	v_cmpx_ne_u16_e32 0x80, v18
	s_cbranch_execz .LBB328_1009
; %bb.1004:                             ;   in Loop: Header=BB328_561 Depth=1
	v_and_b32_e32 v18, 0xffff, v18
	v_mov_b32_e32 v101, 0x7f800001
	s_mov_b32 s27, exec_lo
	s_delay_alu instid0(VALU_DEP_2) | instskip(NEXT) | instid1(VALU_DEP_1)
	v_and_b32_e32 v29, 0x7f, v18
	v_cmpx_ne_u32_e32 0x7f, v29
	s_cbranch_execz .LBB328_1008
; %bb.1005:                             ;   in Loop: Header=BB328_561 Depth=1
	v_dual_lshrrev_b32 v28, 3, v29 :: v_dual_bitop2_b32 v18, 7, v18 bitop3:0x40
	s_mov_b32 s28, exec_lo
	v_cmpx_gt_u32_e32 8, v29
; %bb.1006:                             ;   in Loop: Header=BB328_561 Depth=1
	s_delay_alu instid0(VALU_DEP_2) | instskip(NEXT) | instid1(VALU_DEP_1)
	v_clz_i32_u32_e32 v28, v18
	v_min_u32_e32 v28, 32, v28
	s_delay_alu instid0(VALU_DEP_1) | instskip(NEXT) | instid1(VALU_DEP_1)
	v_subrev_nc_u32_e32 v29, 28, v28
	v_lshlrev_b64_e32 v[102:103], v29, v[18:19]
	s_delay_alu instid0(VALU_DEP_1)
	v_dual_sub_nc_u32 v28, 29, v28 :: v_dual_bitop2_b32 v18, 7, v102 bitop3:0x40
; %bb.1007:                             ;   in Loop: Header=BB328_561 Depth=1
	s_or_b32 exec_lo, exec_lo, s28
	s_delay_alu instid0(VALU_DEP_1) | instskip(NEXT) | instid1(VALU_DEP_2)
	v_dual_lshlrev_b32 v29, 16, v24 :: v_dual_lshlrev_b32 v18, 20, v18
	v_lshl_add_u32 v28, v28, 23, 0x3c000000
	s_delay_alu instid0(VALU_DEP_2) | instskip(NEXT) | instid1(VALU_DEP_1)
	v_and_b32_e32 v29, 0x80000000, v29
	v_or3_b32 v101, v18, v29, v28
.LBB328_1008:                           ;   in Loop: Header=BB328_561 Depth=1
	s_or_b32 exec_lo, exec_lo, s27
.LBB328_1009:                           ;   in Loop: Header=BB328_561 Depth=1
	s_delay_alu instid0(SALU_CYCLE_1)
	s_or_b32 exec_lo, exec_lo, s26
.LBB328_1010:                           ;   in Loop: Header=BB328_561 Depth=1
	s_delay_alu instid0(SALU_CYCLE_1) | instskip(SKIP_3) | instid1(VALU_DEP_2)
	s_or_b32 exec_lo, exec_lo, s25
	v_dual_mov_b32 v103, 0 :: v_dual_lshrrev_b32 v28, 16, v24
	v_mov_b32_e32 v102, 0
	s_mov_b32 s25, exec_lo
	v_and_b32_e32 v18, 0xff, v28
	s_delay_alu instid0(VALU_DEP_1)
	v_cmpx_ne_u16_e32 0, v18
	s_cbranch_execz .LBB328_1018
; %bb.1011:                             ;   in Loop: Header=BB328_561 Depth=1
	v_bfrev_b32_e32 v102, 1
	s_mov_b32 s26, exec_lo
	v_cmpx_ne_u16_e32 0x80, v18
	s_cbranch_execz .LBB328_1017
; %bb.1012:                             ;   in Loop: Header=BB328_561 Depth=1
	v_bfe_u32 v104, v24, 16, 7
	v_mov_b32_e32 v102, 0x7f800001
	s_mov_b32 s27, exec_lo
	s_delay_alu instid0(VALU_DEP_2)
	v_cmpx_ne_u32_e32 0x7f, v104
	s_cbranch_execz .LBB328_1016
; %bb.1013:                             ;   in Loop: Header=BB328_561 Depth=1
	v_and_b32_e32 v18, 7, v28
	v_lshrrev_b32_e32 v29, 3, v104
	s_mov_b32 s28, exec_lo
	v_cmpx_gt_u32_e32 8, v104
; %bb.1014:                             ;   in Loop: Header=BB328_561 Depth=1
	s_delay_alu instid0(VALU_DEP_3) | instskip(NEXT) | instid1(VALU_DEP_1)
	v_clz_i32_u32_e32 v29, v18
	v_min_u32_e32 v29, 32, v29
	s_delay_alu instid0(VALU_DEP_1) | instskip(NEXT) | instid1(VALU_DEP_1)
	v_subrev_nc_u32_e32 v102, 28, v29
	v_lshlrev_b64_e32 v[104:105], v102, v[18:19]
	s_delay_alu instid0(VALU_DEP_1)
	v_dual_sub_nc_u32 v29, 29, v29 :: v_dual_bitop2_b32 v18, 7, v104 bitop3:0x40
; %bb.1015:                             ;   in Loop: Header=BB328_561 Depth=1
	s_or_b32 exec_lo, exec_lo, s28
	s_delay_alu instid0(VALU_DEP_1) | instskip(NEXT) | instid1(VALU_DEP_2)
	v_dual_lshlrev_b32 v28, 24, v28 :: v_dual_lshlrev_b32 v18, 20, v18
	v_lshl_add_u32 v29, v29, 23, 0x3c000000
	s_delay_alu instid0(VALU_DEP_2) | instskip(NEXT) | instid1(VALU_DEP_1)
	v_and_b32_e32 v28, 0x80000000, v28
	v_or3_b32 v102, v18, v28, v29
.LBB328_1016:                           ;   in Loop: Header=BB328_561 Depth=1
	s_or_b32 exec_lo, exec_lo, s27
.LBB328_1017:                           ;   in Loop: Header=BB328_561 Depth=1
	s_delay_alu instid0(SALU_CYCLE_1)
	s_or_b32 exec_lo, exec_lo, s26
.LBB328_1018:                           ;   in Loop: Header=BB328_561 Depth=1
	s_delay_alu instid0(SALU_CYCLE_1) | instskip(NEXT) | instid1(SALU_CYCLE_1)
	s_or_b32 exec_lo, exec_lo, s25
	s_mov_b32 s25, exec_lo
	v_cmpx_lt_u32_e32 0xffffff, v24
	s_cbranch_execz .LBB328_1026
; %bb.1019:                             ;   in Loop: Header=BB328_561 Depth=1
	v_lshrrev_b32_e32 v28, 24, v24
	v_bfrev_b32_e32 v103, 1
	s_mov_b32 s26, exec_lo
	s_delay_alu instid0(VALU_DEP_2)
	v_cmpx_ne_u32_e32 0x80, v28
	s_cbranch_execz .LBB328_1025
; %bb.1020:                             ;   in Loop: Header=BB328_561 Depth=1
	v_bfe_u32 v104, v24, 24, 7
	v_mov_b32_e32 v103, 0x7f800001
	s_mov_b32 s27, exec_lo
	s_delay_alu instid0(VALU_DEP_2)
	v_cmpx_ne_u32_e32 0x7f, v104
	s_cbranch_execz .LBB328_1024
; %bb.1021:                             ;   in Loop: Header=BB328_561 Depth=1
	v_and_b32_e32 v18, 7, v28
	v_lshrrev_b32_e32 v29, 3, v104
	s_mov_b32 s28, exec_lo
	v_cmpx_gt_u32_e32 8, v104
; %bb.1022:                             ;   in Loop: Header=BB328_561 Depth=1
	s_delay_alu instid0(VALU_DEP_3) | instskip(NEXT) | instid1(VALU_DEP_1)
	v_clz_i32_u32_e32 v29, v18
	v_min_u32_e32 v29, 32, v29
	s_delay_alu instid0(VALU_DEP_1) | instskip(NEXT) | instid1(VALU_DEP_1)
	v_subrev_nc_u32_e32 v103, 28, v29
	v_lshlrev_b64_e32 v[104:105], v103, v[18:19]
	s_delay_alu instid0(VALU_DEP_1)
	v_dual_sub_nc_u32 v29, 29, v29 :: v_dual_bitop2_b32 v18, 7, v104 bitop3:0x40
; %bb.1023:                             ;   in Loop: Header=BB328_561 Depth=1
	s_or_b32 exec_lo, exec_lo, s28
	s_delay_alu instid0(VALU_DEP_1) | instskip(NEXT) | instid1(VALU_DEP_2)
	v_dual_lshlrev_b32 v28, 24, v28 :: v_dual_lshlrev_b32 v18, 20, v18
	v_lshl_add_u32 v29, v29, 23, 0x3c000000
	s_delay_alu instid0(VALU_DEP_2) | instskip(NEXT) | instid1(VALU_DEP_1)
	v_and_b32_e32 v28, 0x80000000, v28
	v_or3_b32 v103, v18, v28, v29
.LBB328_1024:                           ;   in Loop: Header=BB328_561 Depth=1
	s_or_b32 exec_lo, exec_lo, s27
.LBB328_1025:                           ;   in Loop: Header=BB328_561 Depth=1
	s_delay_alu instid0(SALU_CYCLE_1)
	s_or_b32 exec_lo, exec_lo, s26
.LBB328_1026:                           ;   in Loop: Header=BB328_561 Depth=1
	s_delay_alu instid0(SALU_CYCLE_1) | instskip(SKIP_4) | instid1(VALU_DEP_3)
	s_or_b32 exec_lo, exec_lo, s25
	v_and_b32_e32 v29, 0xff, v25
	v_dual_mov_b32 v18, v25 :: v_dual_mov_b32 v28, 0
	v_mov_b32_e32 v104, 0
	s_mov_b32 s25, exec_lo
	v_cmpx_ne_u16_e32 0, v29
	s_cbranch_execz .LBB328_1032
; %bb.1027:                             ;   in Loop: Header=BB328_561 Depth=1
	v_bfrev_b32_e32 v104, 1
	s_mov_b32 s26, exec_lo
	v_cmpx_ne_u16_e32 0x80, v29
	s_cbranch_execz .LBB328_1031
; %bb.1028:                             ;   in Loop: Header=BB328_561 Depth=1
	v_and_b32_e32 v29, 0x7f, v25
	v_mov_b32_e32 v104, 0x7f800001
	s_mov_b32 s27, exec_lo
	s_delay_alu instid0(VALU_DEP_2)
	v_cmpx_ne_u32_e32 0x7f, v29
	s_cbranch_execz .LBB328_1030
; %bb.1029:                             ;   in Loop: Header=BB328_561 Depth=1
	v_and_b32_e32 v104, 7, v25
	v_cmp_gt_u32_e64 s0, 8, v29
	s_delay_alu instid0(VALU_DEP_2) | instskip(NEXT) | instid1(VALU_DEP_1)
	v_clz_i32_u32_e32 v104, v104
	v_min_u32_e32 v104, 32, v104
	v_lshrrev_b32_e32 v105, 3, v29
	s_delay_alu instid0(VALU_DEP_2) | instskip(SKIP_1) | instid1(VALU_DEP_1)
	v_subrev_nc_u32_e32 v106, 28, v104
	v_sub_nc_u32_e32 v104, 29, v104
	v_dual_cndmask_b32 v29, v105, v104, s0 :: v_dual_cndmask_b32 v104, 0, v106, s0
	s_delay_alu instid0(VALU_DEP_1) | instskip(NEXT) | instid1(VALU_DEP_2)
	v_lshl_add_u32 v29, v29, 23, 0x3c000000
	v_lshlrev_b64_e32 v[104:105], v104, v[18:19]
	v_lshlrev_b32_e32 v105, 24, v18
	s_delay_alu instid0(VALU_DEP_1) | instskip(NEXT) | instid1(VALU_DEP_3)
	v_and_b32_e32 v105, 0x80000000, v105
	v_lshlrev_b32_e32 v104, 20, v104
	s_delay_alu instid0(VALU_DEP_1) | instskip(NEXT) | instid1(VALU_DEP_1)
	v_and_b32_e32 v104, 0x700000, v104
	v_or3_b32 v104, v104, v105, v29
.LBB328_1030:                           ;   in Loop: Header=BB328_561 Depth=1
	s_or_b32 exec_lo, exec_lo, s27
.LBB328_1031:                           ;   in Loop: Header=BB328_561 Depth=1
	s_delay_alu instid0(SALU_CYCLE_1)
	s_or_b32 exec_lo, exec_lo, s26
.LBB328_1032:                           ;   in Loop: Header=BB328_561 Depth=1
	s_delay_alu instid0(SALU_CYCLE_1) | instskip(SKIP_2) | instid1(VALU_DEP_1)
	s_or_b32 exec_lo, exec_lo, s25
	v_lshrrev_b16 v29, 8, v18
	s_mov_b32 s25, exec_lo
	v_cmpx_ne_u16_e32 0, v29
	s_cbranch_execz .LBB328_1040
; %bb.1033:                             ;   in Loop: Header=BB328_561 Depth=1
	v_bfrev_b32_e32 v28, 1
	s_mov_b32 s26, exec_lo
	v_cmpx_ne_u16_e32 0x80, v29
	s_cbranch_execz .LBB328_1039
; %bb.1034:                             ;   in Loop: Header=BB328_561 Depth=1
	v_and_b32_e32 v29, 0xffff, v29
	v_mov_b32_e32 v28, 0x7f800001
	s_mov_b32 s27, exec_lo
	s_delay_alu instid0(VALU_DEP_2) | instskip(NEXT) | instid1(VALU_DEP_1)
	v_and_b32_e32 v106, 0x7f, v29
	v_cmpx_ne_u32_e32 0x7f, v106
	s_cbranch_execz .LBB328_1038
; %bb.1035:                             ;   in Loop: Header=BB328_561 Depth=1
	v_dual_mov_b32 v29, v19 :: v_dual_bitop2_b32 v28, 7, v29 bitop3:0x40
	v_lshrrev_b32_e32 v105, 3, v106
	s_mov_b32 s28, exec_lo
	v_cmpx_gt_u32_e32 8, v106
; %bb.1036:                             ;   in Loop: Header=BB328_561 Depth=1
	s_delay_alu instid0(VALU_DEP_3) | instskip(NEXT) | instid1(VALU_DEP_1)
	v_clz_i32_u32_e32 v105, v28
	v_min_u32_e32 v105, 32, v105
	s_delay_alu instid0(VALU_DEP_1) | instskip(NEXT) | instid1(VALU_DEP_1)
	v_subrev_nc_u32_e32 v106, 28, v105
	v_lshlrev_b64_e32 v[28:29], v106, v[28:29]
	s_delay_alu instid0(VALU_DEP_1)
	v_dual_sub_nc_u32 v105, 29, v105 :: v_dual_bitop2_b32 v28, 7, v28 bitop3:0x40
; %bb.1037:                             ;   in Loop: Header=BB328_561 Depth=1
	s_or_b32 exec_lo, exec_lo, s28
	s_delay_alu instid0(VALU_DEP_1) | instskip(NEXT) | instid1(VALU_DEP_2)
	v_dual_lshlrev_b32 v18, 16, v18 :: v_dual_lshlrev_b32 v28, 20, v28
	v_lshl_add_u32 v29, v105, 23, 0x3c000000
	s_delay_alu instid0(VALU_DEP_2) | instskip(NEXT) | instid1(VALU_DEP_1)
	v_and_b32_e32 v18, 0x80000000, v18
	v_or3_b32 v28, v28, v18, v29
.LBB328_1038:                           ;   in Loop: Header=BB328_561 Depth=1
	s_or_b32 exec_lo, exec_lo, s27
.LBB328_1039:                           ;   in Loop: Header=BB328_561 Depth=1
	s_delay_alu instid0(SALU_CYCLE_1)
	s_or_b32 exec_lo, exec_lo, s26
.LBB328_1040:                           ;   in Loop: Header=BB328_561 Depth=1
	s_delay_alu instid0(SALU_CYCLE_1) | instskip(SKIP_3) | instid1(VALU_DEP_2)
	s_or_b32 exec_lo, exec_lo, s25
	v_dual_mov_b32 v29, 0 :: v_dual_lshrrev_b32 v106, 16, v25
	v_mov_b32_e32 v105, 0
	s_mov_b32 s25, exec_lo
	v_and_b32_e32 v18, 0xff, v106
	s_delay_alu instid0(VALU_DEP_1)
	v_cmpx_ne_u16_e32 0, v18
	s_cbranch_execz .LBB328_1048
; %bb.1041:                             ;   in Loop: Header=BB328_561 Depth=1
	v_bfrev_b32_e32 v105, 1
	s_mov_b32 s26, exec_lo
	v_cmpx_ne_u16_e32 0x80, v18
	s_cbranch_execz .LBB328_1047
; %bb.1042:                             ;   in Loop: Header=BB328_561 Depth=1
	v_bfe_u32 v107, v25, 16, 7
	v_mov_b32_e32 v105, 0x7f800001
	s_mov_b32 s27, exec_lo
	s_delay_alu instid0(VALU_DEP_2)
	v_cmpx_ne_u32_e32 0x7f, v107
	s_cbranch_execz .LBB328_1046
; %bb.1043:                             ;   in Loop: Header=BB328_561 Depth=1
	v_dual_lshrrev_b32 v105, 3, v107 :: v_dual_bitop2_b32 v18, 7, v106 bitop3:0x40
	s_mov_b32 s28, exec_lo
	v_cmpx_gt_u32_e32 8, v107
; %bb.1044:                             ;   in Loop: Header=BB328_561 Depth=1
	s_delay_alu instid0(VALU_DEP_2) | instskip(NEXT) | instid1(VALU_DEP_1)
	v_clz_i32_u32_e32 v105, v18
	v_min_u32_e32 v105, 32, v105
	s_delay_alu instid0(VALU_DEP_1) | instskip(NEXT) | instid1(VALU_DEP_1)
	v_subrev_nc_u32_e32 v107, 28, v105
	v_lshlrev_b64_e32 v[108:109], v107, v[18:19]
	s_delay_alu instid0(VALU_DEP_1)
	v_dual_sub_nc_u32 v105, 29, v105 :: v_dual_bitop2_b32 v18, 7, v108 bitop3:0x40
; %bb.1045:                             ;   in Loop: Header=BB328_561 Depth=1
	s_or_b32 exec_lo, exec_lo, s28
	v_lshlrev_b32_e32 v106, 24, v106
	s_delay_alu instid0(VALU_DEP_2) | instskip(NEXT) | instid1(VALU_DEP_3)
	v_lshlrev_b32_e32 v18, 20, v18
	v_lshl_add_u32 v105, v105, 23, 0x3c000000
	s_delay_alu instid0(VALU_DEP_3) | instskip(NEXT) | instid1(VALU_DEP_1)
	v_and_b32_e32 v106, 0x80000000, v106
	v_or3_b32 v105, v18, v106, v105
.LBB328_1046:                           ;   in Loop: Header=BB328_561 Depth=1
	s_or_b32 exec_lo, exec_lo, s27
.LBB328_1047:                           ;   in Loop: Header=BB328_561 Depth=1
	s_delay_alu instid0(SALU_CYCLE_1)
	s_or_b32 exec_lo, exec_lo, s26
.LBB328_1048:                           ;   in Loop: Header=BB328_561 Depth=1
	s_delay_alu instid0(SALU_CYCLE_1) | instskip(NEXT) | instid1(SALU_CYCLE_1)
	s_or_b32 exec_lo, exec_lo, s25
	s_mov_b32 s25, exec_lo
	v_cmpx_lt_u64_e64 s[4:5], v[24:25]
	s_cbranch_execz .LBB328_1056
; %bb.1049:                             ;   in Loop: Header=BB328_561 Depth=1
	v_lshrrev_b32_e32 v24, 24, v25
	v_bfrev_b32_e32 v29, 1
	s_mov_b32 s26, exec_lo
	s_delay_alu instid0(VALU_DEP_2)
	v_cmpx_ne_u32_e32 0x80, v24
	s_cbranch_execz .LBB328_1055
; %bb.1050:                             ;   in Loop: Header=BB328_561 Depth=1
	v_bfe_u32 v106, v25, 24, 7
	v_mov_b32_e32 v29, 0x7f800001
	s_mov_b32 s27, exec_lo
	s_delay_alu instid0(VALU_DEP_2)
	v_cmpx_ne_u32_e32 0x7f, v106
	s_cbranch_execz .LBB328_1054
; %bb.1051:                             ;   in Loop: Header=BB328_561 Depth=1
	v_dual_lshrrev_b32 v25, 3, v106 :: v_dual_bitop2_b32 v18, 7, v24 bitop3:0x40
	s_mov_b32 s28, exec_lo
	v_cmpx_gt_u32_e32 8, v106
; %bb.1052:                             ;   in Loop: Header=BB328_561 Depth=1
	s_delay_alu instid0(VALU_DEP_2) | instskip(NEXT) | instid1(VALU_DEP_1)
	v_clz_i32_u32_e32 v25, v18
	v_min_u32_e32 v25, 32, v25
	s_delay_alu instid0(VALU_DEP_1) | instskip(NEXT) | instid1(VALU_DEP_1)
	v_subrev_nc_u32_e32 v29, 28, v25
	v_lshlrev_b64_e32 v[106:107], v29, v[18:19]
	s_delay_alu instid0(VALU_DEP_1)
	v_dual_sub_nc_u32 v25, 29, v25 :: v_dual_bitop2_b32 v18, 7, v106 bitop3:0x40
; %bb.1053:                             ;   in Loop: Header=BB328_561 Depth=1
	s_or_b32 exec_lo, exec_lo, s28
	s_delay_alu instid0(VALU_DEP_1) | instskip(NEXT) | instid1(VALU_DEP_2)
	v_dual_lshlrev_b32 v24, 24, v24 :: v_dual_lshlrev_b32 v18, 20, v18
	v_lshl_add_u32 v25, v25, 23, 0x3c000000
	s_delay_alu instid0(VALU_DEP_2) | instskip(NEXT) | instid1(VALU_DEP_1)
	v_and_b32_e32 v24, 0x80000000, v24
	v_or3_b32 v29, v18, v24, v25
.LBB328_1054:                           ;   in Loop: Header=BB328_561 Depth=1
	s_or_b32 exec_lo, exec_lo, s27
.LBB328_1055:                           ;   in Loop: Header=BB328_561 Depth=1
	s_delay_alu instid0(SALU_CYCLE_1)
	s_or_b32 exec_lo, exec_lo, s26
.LBB328_1056:                           ;   in Loop: Header=BB328_561 Depth=1
	s_delay_alu instid0(SALU_CYCLE_1)
	s_or_b32 exec_lo, exec_lo, s25
	v_fma_mixlo_bf16 v18, s24, v28, 0
	v_fma_mixlo_bf16 v24, s24, v104, 0
	;; [unrolled: 1-line block ×8, first 2 shown]
	s_and_saveexec_b32 s0, vcc_lo
	s_cbranch_execz .LBB328_559
; %bb.1057:                             ;   in Loop: Header=BB328_561 Depth=1
	v_cmp_gt_i32_e32 vcc_lo, s34, v46
	v_cndmask_b32_e32 v100, 0, v100, vcc_lo
	v_cmp_gt_i32_e32 vcc_lo, s34, v53
	v_cndmask_b32_e32 v101, 0, v101, vcc_lo
	;; [unrolled: 2-line block ×8, first 2 shown]
	s_branch .LBB328_559
.LBB328_1058:
	s_or_b32 exec_lo, exec_lo, s18
.LBB328_1059:
	s_delay_alu instid0(SALU_CYCLE_1)
	s_or_b32 exec_lo, exec_lo, s1
	ds_bpermute_b32 v2, v33, v16
	ds_bpermute_b32 v3, v33, v17
	;; [unrolled: 1-line block ×8, first 2 shown]
	v_and_b32_e32 v19, 0x3c1, v0
	v_lshrrev_b32_e32 v18, 1, v32
	s_mov_b32 s0, exec_lo
	s_wait_dscnt 0x0
	s_barrier_signal -1
	s_barrier_wait -1
	v_pk_add_f32 v[6:7], v[16:17], v[2:3]
	v_pk_add_f32 v[4:5], v[14:15], v[4:5]
	;; [unrolled: 1-line block ×3, first 2 shown]
	v_cmpx_ne_u32_e32 64, v19
	s_xor_b32 s0, exec_lo, s0
	s_delay_alu instid0(SALU_CYCLE_1)
	s_or_saveexec_b32 s0, s0
	v_pk_add_f32 v[8:9], v[10:11], v[8:9]
	v_lshl_add_u32 v11, v18, 2, 0x120
	v_lshlrev_b32_e32 v10, 9, v39
	s_xor_b32 exec_lo, exec_lo, s0
	s_cbranch_execz .LBB328_1061
; %bb.1060:
	s_delay_alu instid0(VALU_DEP_1) | instskip(NEXT) | instid1(VALU_DEP_1)
	v_add_nc_u32_e32 v12, v11, v10
	v_add_nc_u32_e32 v13, 0xfffffc00, v12
	;; [unrolled: 1-line block ×9, first 2 shown]
	ds_store_b32 v13, v6
	ds_store_b32 v14, v7
	;; [unrolled: 1-line block ×8, first 2 shown]
.LBB328_1061:
	s_or_b32 exec_lo, exec_lo, s0
	v_lshlrev_b32_e32 v12, 2, v18
	s_mov_b32 s1, exec_lo
	v_cmp_eq_u32_e32 vcc_lo, 0, v38
	s_wait_dscnt 0x0
	s_barrier_signal -1
	v_add3_u32 v10, 0x120, v10, v12
	s_barrier_wait -1
	v_cmpx_gt_u32_e32 64, v0
	s_cbranch_execz .LBB328_1072
; %bb.1062:
	s_and_saveexec_b32 s0, vcc_lo
	s_cbranch_execnz .LBB328_1088
; %bb.1063:
	s_or_b32 exec_lo, exec_lo, s0
	s_and_saveexec_b32 s0, vcc_lo
	s_cbranch_execnz .LBB328_1089
.LBB328_1064:
	s_or_b32 exec_lo, exec_lo, s0
	s_and_saveexec_b32 s0, vcc_lo
	s_cbranch_execnz .LBB328_1090
.LBB328_1065:
	s_or_b32 exec_lo, exec_lo, s0
	s_and_saveexec_b32 s0, vcc_lo
	s_cbranch_execnz .LBB328_1091
.LBB328_1066:
	s_or_b32 exec_lo, exec_lo, s0
	s_and_saveexec_b32 s0, vcc_lo
	s_cbranch_execnz .LBB328_1092
.LBB328_1067:
	s_or_b32 exec_lo, exec_lo, s0
	s_and_saveexec_b32 s0, vcc_lo
	s_cbranch_execnz .LBB328_1093
.LBB328_1068:
	s_or_b32 exec_lo, exec_lo, s0
	s_and_saveexec_b32 s0, vcc_lo
	s_cbranch_execnz .LBB328_1094
.LBB328_1069:
	s_or_b32 exec_lo, exec_lo, s0
	s_and_saveexec_b32 s0, vcc_lo
	s_cbranch_execz .LBB328_1071
.LBB328_1070:
	ds_load_b32 v12, v10 offset:448
	s_wait_dscnt 0x0
	v_add_f32_e32 v9, v9, v12
.LBB328_1071:
	s_or_b32 exec_lo, exec_lo, s0
.LBB328_1072:
	s_delay_alu instid0(SALU_CYCLE_1) | instskip(SKIP_4) | instid1(VALU_DEP_1)
	s_or_b32 exec_lo, exec_lo, s1
	v_and_b32_e32 v0, 0x3e1, v0
	s_mov_b32 s1, exec_lo
	s_barrier_signal -1
	s_barrier_wait -1
	v_cmpx_eq_u32_e32 32, v0
	s_cbranch_execz .LBB328_1074
; %bb.1073:
	ds_store_2addr_b32 v11, v6, v7 offset1:16
	ds_store_2addr_b32 v11, v4, v5 offset0:32 offset1:48
	ds_store_2addr_b32 v11, v2, v3 offset0:64 offset1:80
	;; [unrolled: 1-line block ×3, first 2 shown]
.LBB328_1074:
	s_or_b32 exec_lo, exec_lo, s1
	s_wait_dscnt 0x0
	s_barrier_signal -1
	s_barrier_wait -1
	s_and_saveexec_b32 s0, s2
	s_cbranch_execz .LBB328_1085
; %bb.1075:
	s_and_saveexec_b32 s1, vcc_lo
	s_cbranch_execnz .LBB328_1095
; %bb.1076:
	s_or_b32 exec_lo, exec_lo, s1
	s_and_saveexec_b32 s1, vcc_lo
	s_cbranch_execnz .LBB328_1096
.LBB328_1077:
	s_or_b32 exec_lo, exec_lo, s1
	s_and_saveexec_b32 s1, vcc_lo
	s_cbranch_execnz .LBB328_1097
.LBB328_1078:
	s_or_b32 exec_lo, exec_lo, s1
	s_and_saveexec_b32 s1, vcc_lo
	s_cbranch_execnz .LBB328_1098
.LBB328_1079:
	s_or_b32 exec_lo, exec_lo, s1
	s_and_saveexec_b32 s1, vcc_lo
	s_cbranch_execnz .LBB328_1099
.LBB328_1080:
	s_or_b32 exec_lo, exec_lo, s1
	s_and_saveexec_b32 s1, vcc_lo
	s_cbranch_execnz .LBB328_1100
.LBB328_1081:
	s_or_b32 exec_lo, exec_lo, s1
	s_and_saveexec_b32 s1, vcc_lo
	s_cbranch_execnz .LBB328_1101
.LBB328_1082:
	s_or_b32 exec_lo, exec_lo, s1
	s_and_saveexec_b32 s1, vcc_lo
	s_cbranch_execz .LBB328_1084
.LBB328_1083:
	ds_load_b32 v10, v10 offset:448
	s_wait_dscnt 0x0
	v_add_f32_e32 v9, v9, v10
.LBB328_1084:
	s_or_b32 exec_lo, exec_lo, s1
.LBB328_1085:
	s_delay_alu instid0(SALU_CYCLE_1)
	s_or_b32 exec_lo, exec_lo, s0
	s_mov_b32 s1, 0
	s_barrier_signal -1
	s_barrier_wait -1
	s_mov_b32 s0, exec_lo
	v_cmpx_eq_u32_e32 0, v0
	s_cbranch_execz .LBB328_1087
; %bb.1086:
	s_mul_i32 s0, s33, s12
	s_mul_i32 s2, s12, s20
	;; [unrolled: 1-line block ×3, first 2 shown]
	s_wait_kmcnt 0x0
	s_lshr_b32 s8, ttmp7, 16
	s_lshl_b32 s4, s0, 7
	s_bfe_u32 s0, ttmp6, 0x40014
	s_ashr_i32 s5, s4, 31
	s_add_co_i32 s0, s0, 1
	s_ashr_i32 s3, s2, 31
	s_mul_i32 s0, s8, s0
	s_bfe_u32 s9, ttmp6, 0x40008
	s_lshl_b64 s[4:5], s[4:5], 1
	s_lshl_b64 s[2:3], s[2:3], 1
	s_add_co_i32 s9, s9, s0
	s_cmp_eq_u32 s30, 0
	s_add_nc_u64 s[4:5], s[6:7], s[4:5]
	s_cselect_b32 s0, s8, s9
	s_add_nc_u64 s[2:3], s[4:5], s[2:3]
	s_lshl_b32 s0, s0, 8
	s_delay_alu instid0(SALU_CYCLE_1) | instskip(NEXT) | instid1(SALU_CYCLE_1)
	s_add_nc_u64 s[0:1], s[2:3], s[0:1]
	v_cvt_pk_bf16_f32 v0, v6, s0
	v_cvt_pk_bf16_f32 v6, v7, s0
	;; [unrolled: 1-line block ×8, first 2 shown]
	s_clause 0x7
	global_store_b16 v1, v0, s[0:1] scale_offset
	global_store_b16 v1, v6, s[0:1] offset:32 scale_offset
	global_store_b16 v1, v4, s[0:1] offset:64 scale_offset
	;; [unrolled: 1-line block ×7, first 2 shown]
.LBB328_1087:
	s_sendmsg sendmsg(MSG_DEALLOC_VGPRS)
	s_endpgm
.LBB328_1088:
	ds_load_b32 v12, v10
	s_wait_dscnt 0x0
	v_add_f32_e32 v6, v6, v12
	s_or_b32 exec_lo, exec_lo, s0
	s_and_saveexec_b32 s0, vcc_lo
	s_cbranch_execz .LBB328_1064
.LBB328_1089:
	ds_load_b32 v12, v10 offset:64
	s_wait_dscnt 0x0
	v_add_f32_e32 v7, v7, v12
	s_or_b32 exec_lo, exec_lo, s0
	s_and_saveexec_b32 s0, vcc_lo
	s_cbranch_execz .LBB328_1065
.LBB328_1090:
	ds_load_b32 v12, v10 offset:128
	s_wait_dscnt 0x0
	v_add_f32_e32 v4, v4, v12
	s_or_b32 exec_lo, exec_lo, s0
	s_and_saveexec_b32 s0, vcc_lo
	s_cbranch_execz .LBB328_1066
.LBB328_1091:
	ds_load_b32 v12, v10 offset:192
	s_wait_dscnt 0x0
	v_add_f32_e32 v5, v5, v12
	s_or_b32 exec_lo, exec_lo, s0
	s_and_saveexec_b32 s0, vcc_lo
	s_cbranch_execz .LBB328_1067
.LBB328_1092:
	ds_load_b32 v12, v10 offset:256
	s_wait_dscnt 0x0
	v_add_f32_e32 v2, v2, v12
	s_or_b32 exec_lo, exec_lo, s0
	s_and_saveexec_b32 s0, vcc_lo
	s_cbranch_execz .LBB328_1068
.LBB328_1093:
	ds_load_b32 v12, v10 offset:320
	s_wait_dscnt 0x0
	v_add_f32_e32 v3, v3, v12
	s_or_b32 exec_lo, exec_lo, s0
	s_and_saveexec_b32 s0, vcc_lo
	s_cbranch_execz .LBB328_1069
.LBB328_1094:
	ds_load_b32 v12, v10 offset:384
	s_wait_dscnt 0x0
	v_add_f32_e32 v8, v8, v12
	s_or_b32 exec_lo, exec_lo, s0
	s_and_saveexec_b32 s0, vcc_lo
	s_cbranch_execnz .LBB328_1070
	s_branch .LBB328_1071
.LBB328_1095:
	ds_load_b32 v11, v10
	s_wait_dscnt 0x0
	v_add_f32_e32 v6, v6, v11
	s_or_b32 exec_lo, exec_lo, s1
	s_and_saveexec_b32 s1, vcc_lo
	s_cbranch_execz .LBB328_1077
.LBB328_1096:
	ds_load_b32 v11, v10 offset:64
	s_wait_dscnt 0x0
	v_add_f32_e32 v7, v7, v11
	s_or_b32 exec_lo, exec_lo, s1
	s_and_saveexec_b32 s1, vcc_lo
	s_cbranch_execz .LBB328_1078
.LBB328_1097:
	ds_load_b32 v11, v10 offset:128
	s_wait_dscnt 0x0
	v_add_f32_e32 v4, v4, v11
	s_or_b32 exec_lo, exec_lo, s1
	s_and_saveexec_b32 s1, vcc_lo
	s_cbranch_execz .LBB328_1079
.LBB328_1098:
	ds_load_b32 v11, v10 offset:192
	s_wait_dscnt 0x0
	v_add_f32_e32 v5, v5, v11
	s_or_b32 exec_lo, exec_lo, s1
	s_and_saveexec_b32 s1, vcc_lo
	s_cbranch_execz .LBB328_1080
.LBB328_1099:
	ds_load_b32 v11, v10 offset:256
	s_wait_dscnt 0x0
	v_add_f32_e32 v2, v2, v11
	s_or_b32 exec_lo, exec_lo, s1
	s_and_saveexec_b32 s1, vcc_lo
	s_cbranch_execz .LBB328_1081
.LBB328_1100:
	ds_load_b32 v11, v10 offset:320
	s_wait_dscnt 0x0
	v_add_f32_e32 v3, v3, v11
	s_or_b32 exec_lo, exec_lo, s1
	s_and_saveexec_b32 s1, vcc_lo
	s_cbranch_execz .LBB328_1082
.LBB328_1101:
	ds_load_b32 v11, v10 offset:384
	s_wait_dscnt 0x0
	v_add_f32_e32 v8, v8, v11
	s_or_b32 exec_lo, exec_lo, s1
	s_and_saveexec_b32 s1, vcc_lo
	s_cbranch_execnz .LBB328_1083
	s_branch .LBB328_1084
	.section	.rodata,"a",@progbits
	.p2align	6, 0x0
	.amdhsa_kernel _ZN4vllm25paged_attention_v1_kernelI14__hip_bfloat16hLi128ELi16ELi128ELNS_18Fp8KVCacheDataTypeE1ELb1EEEvPT_PKS3_PKT0_S9_ifPKiSB_iPKfiiiSD_SD_iiiii
		.amdhsa_group_segment_fixed_size 288
		.amdhsa_private_segment_fixed_size 0
		.amdhsa_kernarg_size 384
		.amdhsa_user_sgpr_count 2
		.amdhsa_user_sgpr_dispatch_ptr 0
		.amdhsa_user_sgpr_queue_ptr 0
		.amdhsa_user_sgpr_kernarg_segment_ptr 1
		.amdhsa_user_sgpr_dispatch_id 0
		.amdhsa_user_sgpr_kernarg_preload_length 0
		.amdhsa_user_sgpr_kernarg_preload_offset 0
		.amdhsa_user_sgpr_private_segment_size 0
		.amdhsa_wavefront_size32 1
		.amdhsa_uses_dynamic_stack 0
		.amdhsa_enable_private_segment 0
		.amdhsa_system_sgpr_workgroup_id_x 1
		.amdhsa_system_sgpr_workgroup_id_y 1
		.amdhsa_system_sgpr_workgroup_id_z 1
		.amdhsa_system_sgpr_workgroup_info 0
		.amdhsa_system_vgpr_workitem_id 0
		.amdhsa_next_free_vgpr 116
		.amdhsa_next_free_sgpr 47
		.amdhsa_named_barrier_count 0
		.amdhsa_reserve_vcc 1
		.amdhsa_float_round_mode_32 0
		.amdhsa_float_round_mode_16_64 0
		.amdhsa_float_denorm_mode_32 3
		.amdhsa_float_denorm_mode_16_64 3
		.amdhsa_fp16_overflow 0
		.amdhsa_memory_ordered 1
		.amdhsa_forward_progress 1
		.amdhsa_inst_pref_size 255
		.amdhsa_round_robin_scheduling 0
		.amdhsa_exception_fp_ieee_invalid_op 0
		.amdhsa_exception_fp_denorm_src 0
		.amdhsa_exception_fp_ieee_div_zero 0
		.amdhsa_exception_fp_ieee_overflow 0
		.amdhsa_exception_fp_ieee_underflow 0
		.amdhsa_exception_fp_ieee_inexact 0
		.amdhsa_exception_int_div_zero 0
	.end_amdhsa_kernel
	.section	.text._ZN4vllm25paged_attention_v1_kernelI14__hip_bfloat16hLi128ELi16ELi128ELNS_18Fp8KVCacheDataTypeE1ELb1EEEvPT_PKS3_PKT0_S9_ifPKiSB_iPKfiiiSD_SD_iiiii,"axG",@progbits,_ZN4vllm25paged_attention_v1_kernelI14__hip_bfloat16hLi128ELi16ELi128ELNS_18Fp8KVCacheDataTypeE1ELb1EEEvPT_PKS3_PKT0_S9_ifPKiSB_iPKfiiiSD_SD_iiiii,comdat
.Lfunc_end328:
	.size	_ZN4vllm25paged_attention_v1_kernelI14__hip_bfloat16hLi128ELi16ELi128ELNS_18Fp8KVCacheDataTypeE1ELb1EEEvPT_PKS3_PKT0_S9_ifPKiSB_iPKfiiiSD_SD_iiiii, .Lfunc_end328-_ZN4vllm25paged_attention_v1_kernelI14__hip_bfloat16hLi128ELi16ELi128ELNS_18Fp8KVCacheDataTypeE1ELb1EEEvPT_PKS3_PKT0_S9_ifPKiSB_iPKfiiiSD_SD_iiiii
                                        ; -- End function
	.set _ZN4vllm25paged_attention_v1_kernelI14__hip_bfloat16hLi128ELi16ELi128ELNS_18Fp8KVCacheDataTypeE1ELb1EEEvPT_PKS3_PKT0_S9_ifPKiSB_iPKfiiiSD_SD_iiiii.num_vgpr, 116
	.set _ZN4vllm25paged_attention_v1_kernelI14__hip_bfloat16hLi128ELi16ELi128ELNS_18Fp8KVCacheDataTypeE1ELb1EEEvPT_PKS3_PKT0_S9_ifPKiSB_iPKfiiiSD_SD_iiiii.num_agpr, 0
	.set _ZN4vllm25paged_attention_v1_kernelI14__hip_bfloat16hLi128ELi16ELi128ELNS_18Fp8KVCacheDataTypeE1ELb1EEEvPT_PKS3_PKT0_S9_ifPKiSB_iPKfiiiSD_SD_iiiii.numbered_sgpr, 47
	.set _ZN4vllm25paged_attention_v1_kernelI14__hip_bfloat16hLi128ELi16ELi128ELNS_18Fp8KVCacheDataTypeE1ELb1EEEvPT_PKS3_PKT0_S9_ifPKiSB_iPKfiiiSD_SD_iiiii.num_named_barrier, 0
	.set _ZN4vllm25paged_attention_v1_kernelI14__hip_bfloat16hLi128ELi16ELi128ELNS_18Fp8KVCacheDataTypeE1ELb1EEEvPT_PKS3_PKT0_S9_ifPKiSB_iPKfiiiSD_SD_iiiii.private_seg_size, 0
	.set _ZN4vllm25paged_attention_v1_kernelI14__hip_bfloat16hLi128ELi16ELi128ELNS_18Fp8KVCacheDataTypeE1ELb1EEEvPT_PKS3_PKT0_S9_ifPKiSB_iPKfiiiSD_SD_iiiii.uses_vcc, 1
	.set _ZN4vllm25paged_attention_v1_kernelI14__hip_bfloat16hLi128ELi16ELi128ELNS_18Fp8KVCacheDataTypeE1ELb1EEEvPT_PKS3_PKT0_S9_ifPKiSB_iPKfiiiSD_SD_iiiii.uses_flat_scratch, 0
	.set _ZN4vllm25paged_attention_v1_kernelI14__hip_bfloat16hLi128ELi16ELi128ELNS_18Fp8KVCacheDataTypeE1ELb1EEEvPT_PKS3_PKT0_S9_ifPKiSB_iPKfiiiSD_SD_iiiii.has_dyn_sized_stack, 0
	.set _ZN4vllm25paged_attention_v1_kernelI14__hip_bfloat16hLi128ELi16ELi128ELNS_18Fp8KVCacheDataTypeE1ELb1EEEvPT_PKS3_PKT0_S9_ifPKiSB_iPKfiiiSD_SD_iiiii.has_recursion, 0
	.set _ZN4vllm25paged_attention_v1_kernelI14__hip_bfloat16hLi128ELi16ELi128ELNS_18Fp8KVCacheDataTypeE1ELb1EEEvPT_PKS3_PKT0_S9_ifPKiSB_iPKfiiiSD_SD_iiiii.has_indirect_call, 0
	.section	.AMDGPU.csdata,"",@progbits
; Kernel info:
; codeLenInByte = 37660
; TotalNumSgprs: 49
; NumVgprs: 116
; ScratchSize: 0
; MemoryBound: 0
; FloatMode: 240
; IeeeMode: 1
; LDSByteSize: 288 bytes/workgroup (compile time only)
; SGPRBlocks: 0
; VGPRBlocks: 7
; NumSGPRsForWavesPerEU: 49
; NumVGPRsForWavesPerEU: 116
; NamedBarCnt: 0
; Occupancy: 8
; WaveLimiterHint : 1
; COMPUTE_PGM_RSRC2:SCRATCH_EN: 0
; COMPUTE_PGM_RSRC2:USER_SGPR: 2
; COMPUTE_PGM_RSRC2:TRAP_HANDLER: 0
; COMPUTE_PGM_RSRC2:TGID_X_EN: 1
; COMPUTE_PGM_RSRC2:TGID_Y_EN: 1
; COMPUTE_PGM_RSRC2:TGID_Z_EN: 1
; COMPUTE_PGM_RSRC2:TIDIG_COMP_CNT: 0
	.text
	.p2align	2                               ; -- Begin function _ZN4vllm22paged_attention_kernelI14__hip_bfloat16hLi192ELi16ELi128ELNS_18Fp8KVCacheDataTypeE1ELb1ELi0EEEvPfS3_PT_PKS4_PKT0_SA_ifPKiSC_iPKfiiiSE_SE_iiiii
	.type	_ZN4vllm22paged_attention_kernelI14__hip_bfloat16hLi192ELi16ELi128ELNS_18Fp8KVCacheDataTypeE1ELb1ELi0EEEvPfS3_PT_PKS4_PKT0_SA_ifPKiSC_iPKfiiiSE_SE_iiiii,@function
_ZN4vllm22paged_attention_kernelI14__hip_bfloat16hLi192ELi16ELi128ELNS_18Fp8KVCacheDataTypeE1ELb1ELi0EEEvPfS3_PT_PKS4_PKT0_SA_ifPKiSC_iPKfiiiSE_SE_iiiii: ; @_ZN4vllm22paged_attention_kernelI14__hip_bfloat16hLi192ELi16ELi128ELNS_18Fp8KVCacheDataTypeE1ELb1ELi0EEEvPfS3_PT_PKS4_PKT0_SA_ifPKiSC_iPKfiiiSE_SE_iiiii
; %bb.0:
	s_wait_loadcnt_dscnt 0x0
	s_wait_kmcnt 0x0
	s_clause 0x2f
	scratch_store_b32 off, v40, s32 offset:188
	; meta instruction
	scratch_store_b32 off, v41, s32 offset:184
	; meta instruction
	;; [unrolled: 2-line block ×47, first 2 shown]
	scratch_store_b32 off, v127, s32
	s_bfe_u32 s0, ttmp6, 0x4000c
	s_bfe_u32 s2, ttmp6, 0x40010
	s_add_co_i32 s0, s0, 1
	s_and_b32 s1, ttmp6, 15
	s_mul_i32 s0, ttmp9, s0
	s_and_b32 s4, ttmp7, 0xffff
	s_add_co_i32 s2, s2, 1
	s_add_co_i32 s1, s1, s0
	s_mul_i32 s0, s4, s2
	s_bfe_u32 s2, ttmp6, 0x40004
	s_getreg_b32 s12, hwreg(HW_REG_IB_STS2, 6, 4)
	s_add_co_i32 s2, s2, s0
	s_cmp_eq_u32 s12, 0
	s_mov_b32 s3, 0
	s_cselect_b32 s13, s4, s2
	s_cselect_b32 s0, ttmp9, s1
	s_lshl_b32 s2, s13, 2
	s_clause 0x4
	scratch_store_b64 off, v[22:23], s32 offset:312
	scratch_store_b64 off, v[20:21], s32 offset:320
	;; [unrolled: 1-line block ×3, first 2 shown]
	scratch_store_b32 off, v9, s32 offset:344
	scratch_store_b64 off, v[0:1], s32 offset:372
	s_wait_xcnt 0x0
	v_add_nc_u64_e32 v[0:1], s[2:3], v[12:13]
	v_dual_mov_b32 v35, 0 :: v_dual_mov_b32 v37, v7
	v_mov_b32_e32 v36, v6
	s_clause 0x1
	s_load_u16 s1, s[8:9], 0x12
	s_load_b32 s2, s[8:9], 0x0
	s_mov_b32 s6, s15
	flat_load_b32 v99, v[0:1]
	s_wait_xcnt 0x0
	v_sub_nc_u32_e32 v0, 0, v8
	global_load_u16 v6, v35, s[8:9] offset:22
	v_dual_mov_b32 v33, v16 :: v_dual_mov_b32 v32, v15
	s_mov_b32 s4, exec_lo
	v_max_i32_e32 v0, v8, v0
	s_delay_alu instid0(VALU_DEP_1) | instskip(NEXT) | instid1(VALU_DEP_1)
	v_cvt_f32_u32_e32 v1, v0
	v_rcp_iflag_f32_e32 v1, v1
	s_wait_kmcnt 0x0
	s_cmp_lg_u32 s1, 0
	s_cselect_b32 s1, -1, 0
	s_delay_alu instid0(SALU_CYCLE_1) | instskip(SKIP_1) | instid1(TRANS32_DEP_1)
	s_cmp_lg_u32 s1, 0
	v_nop
	v_mul_f32_e32 v1, 0x4f7ffffe, v1
	v_sub_nc_u32_e32 v7, 0, v0
	s_add_co_ci_u32 s14, s2, 0
	s_abs_i32 s2, s0
	s_abs_i32 s1, s14
	v_cvt_u32_f32_e32 v1, v1
	s_delay_alu instid0(VALU_DEP_1) | instskip(NEXT) | instid1(VALU_DEP_1)
	v_mul_lo_u32 v7, v7, v1
	v_mul_hi_u32 v7, v1, v7
	s_delay_alu instid0(VALU_DEP_1) | instskip(NEXT) | instid1(VALU_DEP_1)
	v_add_nc_u32_e32 v1, v1, v7
	v_mul_hi_u32 v1, s1, v1
	s_delay_alu instid0(VALU_DEP_1) | instskip(NEXT) | instid1(VALU_DEP_1)
	v_mul_lo_u32 v7, v1, v0
	v_dual_add_nc_u32 v9, 1, v1 :: v_dual_sub_nc_u32 v7, s1, v7
	s_delay_alu instid0(VALU_DEP_1) | instskip(NEXT) | instid1(VALU_DEP_2)
	v_cmp_ge_u32_e32 vcc_lo, v7, v0
	v_dual_cndmask_b32 v1, v1, v9 :: v_dual_sub_nc_u32 v12, v7, v0
	v_xor_b32_e32 v9, s14, v8
	s_delay_alu instid0(VALU_DEP_2) | instskip(NEXT) | instid1(VALU_DEP_2)
	v_dual_cndmask_b32 v7, v7, v12 :: v_dual_add_nc_u32 v12, 1, v1
	v_ashrrev_i32_e32 v9, 31, v9
	s_delay_alu instid0(VALU_DEP_2) | instskip(NEXT) | instid1(VALU_DEP_3)
	v_cmp_ge_u32_e32 vcc_lo, v7, v0
	v_cndmask_b32_e32 v0, v1, v12, vcc_lo
	s_delay_alu instid0(VALU_DEP_1) | instskip(NEXT) | instid1(VALU_DEP_1)
	v_xor_b32_e32 v0, v0, v9
	v_sub_nc_u32_e32 v1, v0, v9
	s_delay_alu instid0(VALU_DEP_1) | instskip(SKIP_2) | instid1(VALU_DEP_2)
	v_sub_nc_u32_e32 v0, 0, v1
	s_wait_loadcnt 0x0
	v_readfirstlane_b32 s15, v6
	v_dual_mov_b32 v6, v35 :: v_dual_max_i32 v0, v1, v0
	scratch_store_b32 off, v6, s32 offset:340 ; 4-byte Folded Spill
	v_cvt_f32_u32_e32 v7, v0
	v_sub_nc_u32_e32 v9, 0, v0
	s_delay_alu instid0(VALU_DEP_2) | instskip(SKIP_1) | instid1(TRANS32_DEP_1)
	v_rcp_iflag_f32_e32 v7, v7
	v_nop
	v_mul_f32_e32 v7, 0x4f7ffffe, v7
	s_delay_alu instid0(VALU_DEP_1) | instskip(NEXT) | instid1(VALU_DEP_1)
	v_cvt_u32_f32_e32 v7, v7
	v_mul_lo_u32 v9, v9, v7
	s_delay_alu instid0(VALU_DEP_1) | instskip(NEXT) | instid1(VALU_DEP_1)
	v_mul_hi_u32 v9, v7, v9
	v_add_nc_u32_e32 v34, v7, v9
	s_wait_xcnt 0x0
	v_cmpx_ne_u64_e32 0, v[32:33]
	s_cbranch_execz .LBB329_2
; %bb.1:
	s_ashr_i32 s1, s0, 31
	s_delay_alu instid0(SALU_CYCLE_1)
	v_lshl_add_u64 v[6:7], s[0:1], 2, v[32:33]
	flat_load_b32 v6, v[6:7]
	s_wait_loadcnt_dscnt 0x0
	scratch_store_b32 off, v6, s32 offset:340 ; 4-byte Folded Spill
.LBB329_2:
	s_wait_xcnt 0x0
	s_or_b32 exec_lo, exec_lo, s4
	v_mul_u64_e32 v[12:13], s[2:3], v[34:35]
	v_and_b32_e32 v34, 0x3ff, v31
	v_dual_ashrrev_i32 v1, 31, v1 :: v_dual_bitop2_b32 v35, 1, v31 bitop3:0x40
	v_bfe_u32 v6, v31, 1, 9
	s_ashr_i32 s1, s0, 31
	s_delay_alu instid0(VALU_DEP_3)
	v_lshlrev_b32_e32 v38, 3, v34
	s_mul_i32 s4, s0, 0xc0
	s_mov_b32 s3, exec_lo
	scratch_store_b32 off, v6, s32 offset:356 ; 4-byte Folded Spill
	s_wait_xcnt 0x0
	v_cmpx_gt_u32_e32 48, v34
	s_cbranch_execz .LBB329_4
; %bb.3:
	v_mul_lo_u32 v6, v17, s13
	s_ashr_i32 s5, s4, 31
	s_delay_alu instid0(VALU_DEP_1) | instskip(NEXT) | instid1(VALU_DEP_1)
	v_dual_mov_b32 v39, 0 :: v_dual_ashrrev_i32 v7, 31, v6
	v_lshl_add_u64 v[2:3], v[6:7], 1, v[2:3]
	s_delay_alu instid0(VALU_DEP_1) | instskip(NEXT) | instid1(VALU_DEP_1)
	v_lshl_add_u64 v[2:3], s[4:5], 1, v[2:3]
	v_add_nc_u64_e32 v[2:3], v[2:3], v[38:39]
	flat_load_b64 v[2:3], v[2:3]
	scratch_load_b32 v6, off, s32 offset:356 ; 4-byte Folded Reload
	s_wait_loadcnt 0x0
	v_lshlrev_b32_e32 v6, 3, v6
	s_delay_alu instid0(VALU_DEP_1)
	v_mad_u32_u24 v6, 0xc0, v35, v6
	s_wait_dscnt 0x0
	ds_store_b64 v6, v[2:3]
.LBB329_4:
	s_wait_xcnt 0x0
	s_or_b32 exec_lo, exec_lo, s3
	v_sub_nc_u32_e32 v2, 0, v27
	v_mul_lo_u32 v3, v13, v0
	s_wait_dscnt 0x0
	v_dual_add_nc_u32 v1, -1, v99 :: v_dual_bitop2_b32 v12, s1, v1 bitop3:0x14
	s_mov_b32 s1, exec_lo
	v_max_i32_e32 v100, v27, v2
	s_delay_alu instid0(VALU_DEP_1) | instskip(NEXT) | instid1(VALU_DEP_1)
	v_cvt_f32_u32_e32 v2, v100
	v_rcp_iflag_f32_e32 v2, v2
	v_nop
	s_delay_alu instid0(TRANS32_DEP_1) | instskip(NEXT) | instid1(VALU_DEP_1)
	v_mul_f32_e32 v2, 0x4f7ffffe, v2
	v_cvt_u32_f32_e32 v7, v2
	v_dual_sub_nc_u32 v2, s2, v3 :: v_dual_sub_nc_u32 v6, 0, v100
	v_add_nc_u32_e32 v3, 1, v13
	s_delay_alu instid0(VALU_DEP_2) | instskip(SKIP_1) | instid1(VALU_DEP_4)
	v_cmp_ge_u32_e32 vcc_lo, v2, v0
	v_sub_nc_u32_e32 v9, v2, v0
	v_mul_lo_u32 v6, v6, v7
	s_delay_alu instid0(VALU_DEP_2) | instskip(NEXT) | instid1(VALU_DEP_1)
	v_dual_cndmask_b32 v3, v13, v3 :: v_dual_cndmask_b32 v2, v2, v9
	v_add_nc_u32_e32 v9, 1, v3
	s_delay_alu instid0(VALU_DEP_2) | instskip(NEXT) | instid1(VALU_DEP_4)
	v_cmp_ge_u32_e32 vcc_lo, v2, v0
	v_mul_hi_u32 v6, v7, v6
	s_delay_alu instid0(VALU_DEP_3) | instskip(NEXT) | instid1(VALU_DEP_1)
	v_dual_cndmask_b32 v0, v3, v9 :: v_dual_mov_b32 v3, 0
	v_dual_sub_nc_u32 v2, 0, v1 :: v_dual_bitop2_b32 v0, v0, v12 bitop3:0x14
	s_delay_alu instid0(VALU_DEP_1) | instskip(NEXT) | instid1(VALU_DEP_2)
	v_dual_mov_b32 v13, v3 :: v_dual_max_i32 v2, v1, v2
	v_dual_sub_nc_u32 v0, v0, v12 :: v_dual_add_nc_u32 v12, v7, v6
                                        ; implicit-def: $vgpr6
                                        ; kill: killed $vgpr6
	scratch_store_b64 off, v[12:13], s32 offset:196 ; 8-byte Folded Spill
	s_wait_storecnt 0x0
	s_barrier_signal -1
	s_barrier_wait -1
	s_wait_xcnt 0x0
	v_cmpx_gt_i32_e32 0, v28
	s_xor_b32 s1, exec_lo, s1
	s_cbranch_execz .LBB329_6
; %bb.5:
	v_mad_u32 v6, v24, v8, v0
                                        ; implicit-def: $vgpr24
	s_delay_alu instid0(VALU_DEP_1) | instskip(NEXT) | instid1(VALU_DEP_1)
	v_mul_lo_u32 v6, v6, v28
                                        ; implicit-def: $vgpr28
	v_sub_nc_u32_e32 v6, 1, v6
	scratch_store_b32 off, v6, s32 offset:204 ; 4-byte Folded Spill
.LBB329_6:
	s_wait_xcnt 0x0
	s_or_saveexec_b32 s1, s1
	scratch_load_b64 v[6:7], off, s32 offset:196 ; 8-byte Folded Reload
	v_dual_ashrrev_i32 v1, 31, v1 :: v_dual_ashrrev_i32 v102, 31, v27
	s_wait_loadcnt 0x0
	v_mul_u64_e32 v[12:13], v[2:3], v[6:7]
	s_wait_xcnt 0x0
	s_xor_b32 exec_lo, exec_lo, s1
	s_cbranch_execz .LBB329_8
; %bb.7:
	v_mad_u32 v3, s14, v24, s0
	s_delay_alu instid0(VALU_DEP_1)
	v_mad_u32 v3, v3, v28, 1
	scratch_store_b32 off, v3, s32 offset:204 ; 4-byte Folded Spill
.LBB329_8:
	s_wait_xcnt 0x0
	s_or_b32 exec_lo, exec_lo, s1
	s_delay_alu instid0(VALU_DEP_1)
	v_mul_lo_u32 v3, v13, v100
	s_load_b32 s5, s[8:9], 0x8
	v_mul_lo_u32 v48, v14, s13
	v_mul_lo_u32 v50, v0, v19
	s_wait_xcnt 0x0
	s_get_pc_i64 s[8:9]
	s_add_nc_u64 s[8:9], s[8:9], llvm.amdgcn.dynlds.offset.table@rel64+4
	v_xor_b32_e32 v1, v1, v102
	v_lshrrev_b32_e32 v119, 5, v34
	v_dual_sub_nc_u32 v52, 0, v26 :: v_dual_sub_nc_u32 v2, v2, v3
	v_dual_add_nc_u32 v3, 1, v13 :: v_dual_add_nc_u32 v6, 15, v99
	v_dual_ashrrev_i32 v49, 31, v48 :: v_dual_ashrrev_i32 v51, 31, v50
	s_delay_alu instid0(VALU_DEP_3) | instskip(SKIP_1) | instid1(VALU_DEP_4)
	v_sub_nc_u32_e32 v7, v2, v100
	v_cmp_ge_u32_e32 vcc_lo, v2, v100
	v_dual_cndmask_b32 v3, v13, v3 :: v_dual_ashrrev_i32 v8, 31, v6
	s_delay_alu instid0(VALU_DEP_3) | instskip(NEXT) | instid1(VALU_DEP_2)
	v_cndmask_b32_e32 v2, v2, v7, vcc_lo
	v_add_nc_u32_e32 v7, 1, v3
	s_delay_alu instid0(VALU_DEP_2) | instskip(NEXT) | instid1(VALU_DEP_2)
	v_cmp_ge_u32_e32 vcc_lo, v2, v100
	v_dual_lshrrev_b32 v8, 28, v8 :: v_dual_cndmask_b32 v2, v3, v7, vcc_lo
	s_delay_alu instid0(VALU_DEP_1) | instskip(NEXT) | instid1(VALU_DEP_2)
	v_dual_mov_b32 v7, 0xff7fffff :: v_dual_add_nc_u32 v0, v6, v8
	v_dual_lshrrev_b32 v39, 3, v34 :: v_dual_bitop2_b32 v2, v2, v1 bitop3:0x14
	s_delay_alu instid0(VALU_DEP_2) | instskip(NEXT) | instid1(VALU_DEP_2)
	v_dual_lshlrev_b32 v24, 4, v119 :: v_dual_ashrrev_i32 v3, 4, v0
	v_sub_nc_u32_e32 v0, v2, v1
	s_delay_alu instid0(VALU_DEP_2) | instskip(SKIP_1) | instid1(VALU_DEP_3)
	v_cmp_ge_i32_e64 s0, v119, v3
	v_cmp_lt_i32_e32 vcc_lo, v119, v3
	v_sub_nc_u32_e32 v0, v0, v25
	s_clause 0x1
	scratch_store_b32 off, v3, s32 offset:192
	scratch_store_b32 off, v0, s32 offset:208
	s_wait_xcnt 0x0
	s_mov_b32 s16, exec_lo
	s_delay_alu instid0(SALU_CYCLE_1)
	s_and_b32 s1, s16, vcc_lo
	s_clause 0x2
	scratch_store_b32 off, v34, s32 offset:360
	scratch_store_b32 off, v35, s32 offset:364
	;; [unrolled: 1-line block ×3, first 2 shown]
	s_wait_xcnt 0x0
	s_mov_b32 exec_lo, s1
	s_cbranch_execz .LBB329_788
; %bb.9:
	v_dual_mov_b32 v67, 0 :: v_dual_max_i32 v114, v26, v52
	s_clause 0x3
	scratch_store_b64 off, v[38:39], s32 offset:400
	scratch_store_b64 off, v[36:37], s32 offset:392
	scratch_store_b32 off, v26, s32 offset:388
	scratch_store_b32 off, v52, s32 offset:428
	s_ashr_i32 s7, s6, 31
	v_bfe_u32 v13, v34, 1, 4
	v_cvt_f32_u32_e32 v0, v114
	s_lshl_b64 s[2:3], s[6:7], 2
	v_lshlrev_b32_e32 v2, 2, v35
	s_add_nc_u64 s[10:11], s[8:9], s[2:3]
	v_dual_lshlrev_b32 v68, 4, v119 :: v_dual_lshlrev_b32 v6, 4, v13
	v_rcp_iflag_f32_e32 v0, v0
	s_load_b32 s7, s[10:11], 0x0
	v_dual_mov_b32 v7, v67 :: v_dual_lshlrev_b32 v12, 2, v13
	scratch_store_b64 off, v[50:51], s32 offset:420 ; 8-byte Folded Spill
	v_mul_u32_u24_e32 v116, 0xc0, v35
	v_dual_mul_f32 v0, 0x4f7ffffe, v0 :: v_dual_sub_nc_u32 v3, 0, v114
	s_mov_b32 s17, 0
	v_cmp_eq_u32_e32 vcc_lo, 0, v35
	s_clause 0x2
	scratch_store_b32 off, v13, s32 offset:348
	scratch_store_b32 off, v39, s32 offset:416
	scratch_store_b64 off, v[48:49], s32 offset:408
	v_cvt_u32_f32_e32 v8, v0
	v_add_nc_u64_e32 v[0:1], v[4:5], v[50:51]
	scratch_load_b32 v4, off, s32 offset:340 ; 4-byte Folded Reload
	v_mov_b32_e32 v5, 0xff7fffff
	s_wait_xcnt 0x3
	v_sub_nc_u32_e32 v13, v13, v99
	v_mul_lo_u32 v3, v3, v8
	v_lshl_or_b32 v117, v119, 6, v12
	scratch_store_b32 off, v5, s32 offset:328 ; 4-byte Folded Spill
	s_wait_xcnt 0x0
	v_mov_b32_e32 v5, v67
	v_add_nc_u64_e32 v[0:1], v[0:1], v[6:7]
	v_add_nc_u32_e32 v6, 1, v13
	s_clause 0x1
	scratch_store_b32 off, v6, s32 offset:352
	scratch_store_b64 off, v[10:11], s32 offset:380
	v_mul_hi_u32 v9, v8, v3
	v_mov_b32_e32 v3, v67
	s_delay_alu instid0(VALU_DEP_1) | instskip(SKIP_1) | instid1(VALU_DEP_3)
	v_add_nc_u64_e32 v[0:1], v[0:1], v[2:3]
	s_wait_xcnt 0x1
	v_add_nc_u32_e32 v6, v8, v9
	s_clause 0x1
	scratch_store_b64 off, v[0:1], s32 offset:332
	scratch_store_b64 off, v[6:7], s32 offset:292
	s_wait_loadcnt 0x0
	v_cmp_neq_f32_e64 s1, 0, v4
	v_and_b32_e32 v4, 0x7c, v39
	s_delay_alu instid0(VALU_DEP_1) | instskip(NEXT) | instid1(VALU_DEP_1)
	v_lshl_add_u64 v[4:5], v[48:49], 2, v[4:5]
	v_add_nc_u64_e32 v[80:81], v[10:11], v[4:5]
	s_branch .LBB329_12
.LBB329_10:                             ;   in Loop: Header=BB329_12 Depth=1
	s_wait_xcnt 0x0
	s_or_b32 exec_lo, exec_lo, s18
.LBB329_11:                             ;   in Loop: Header=BB329_12 Depth=1
	s_delay_alu instid0(SALU_CYCLE_1)
	s_or_b32 exec_lo, exec_lo, s3
	scratch_load_b32 v0, off, s32 offset:192 ; 4-byte Folded Reload
	v_dual_add_nc_u32 v119, 4, v119 :: v_dual_add_nc_u32 v68, 64, v68
	v_add_nc_u64_e32 v[80:81], 16, v[80:81]
	v_add_nc_u32_e32 v117, 0x100, v117
	s_wait_loadcnt 0x0
	s_delay_alu instid0(VALU_DEP_3)
	v_cmp_ge_i32_e64 s2, v119, v0
	s_or_b32 s17, s2, s17
	s_wait_xcnt 0x0
	s_and_not1_b32 exec_lo, exec_lo, s17
	s_cbranch_execz .LBB329_787
.LBB329_12:                             ; =>This Inner Loop Header: Depth=1
	s_wait_dscnt 0x0
	scratch_load_b64 v[0:1], off, s32 offset:196 ; 8-byte Folded Reload
	v_mov_b32_e32 v69, v67
	s_wait_loadcnt 0x0
	s_delay_alu instid0(VALU_DEP_1) | instskip(NEXT) | instid1(VALU_DEP_1)
	v_mul_u64_e32 v[0:1], v[68:69], v[0:1]
	v_mul_lo_u32 v0, v1, v100
	s_delay_alu instid0(VALU_DEP_1) | instskip(NEXT) | instid1(VALU_DEP_1)
	v_dual_sub_nc_u32 v0, v68, v0 :: v_dual_add_nc_u32 v2, 1, v1
	v_sub_nc_u32_e32 v3, v0, v100
	v_cmp_ge_u32_e64 s2, v0, v100
	s_delay_alu instid0(VALU_DEP_1) | instskip(NEXT) | instid1(VALU_DEP_1)
	v_dual_cndmask_b32 v1, v1, v2, s2 :: v_dual_cndmask_b32 v0, v0, v3, s2
	v_add_nc_u32_e32 v2, 1, v1
	s_delay_alu instid0(VALU_DEP_2) | instskip(NEXT) | instid1(VALU_DEP_1)
	v_cmp_ge_u32_e64 s2, v0, v100
	v_cndmask_b32_e64 v0, v1, v2, s2
	s_delay_alu instid0(VALU_DEP_1) | instskip(NEXT) | instid1(VALU_DEP_1)
	v_xor_b32_e32 v0, v0, v102
	v_sub_nc_u32_e32 v2, v0, v102
	scratch_load_b32 v0, off, s32 offset:204 ; 4-byte Folded Reload
	s_wait_loadcnt 0x0
	v_add_nc_u32_e32 v3, v2, v0
	s_delay_alu instid0(VALU_DEP_1) | instskip(NEXT) | instid1(VALU_DEP_1)
	v_sub_nc_u32_e32 v0, 0, v3
	v_max_i32_e32 v66, v3, v0
	scratch_load_b64 v[0:1], off, s32 offset:292 ; 8-byte Folded Reload
	s_wait_loadcnt 0x0
	v_mul_u64_e32 v[0:1], v[66:67], v[0:1]
	s_delay_alu instid0(VALU_DEP_1) | instskip(NEXT) | instid1(VALU_DEP_1)
	v_mul_lo_u32 v0, v1, v114
	v_sub_nc_u32_e32 v0, v66, v0
	s_delay_alu instid0(VALU_DEP_1) | instskip(SKIP_1) | instid1(VALU_DEP_1)
	v_sub_nc_u32_e32 v1, v0, v114
	v_cmp_ge_u32_e64 s2, v0, v114
	v_dual_ashrrev_i32 v3, 31, v3 :: v_dual_cndmask_b32 v0, v0, v1, s2
	s_delay_alu instid0(VALU_DEP_1) | instskip(SKIP_1) | instid1(VALU_DEP_1)
	v_sub_nc_u32_e32 v1, v0, v114
	v_cmp_ge_u32_e64 s2, v0, v114
	v_cndmask_b32_e64 v0, v0, v1, s2
	s_delay_alu instid0(VALU_DEP_1) | instskip(NEXT) | instid1(VALU_DEP_1)
	v_xor_b32_e32 v0, v0, v3
	v_sub_nc_u32_e32 v0, v0, v3
	s_delay_alu instid0(VALU_DEP_1)
	v_cmp_ne_u32_e64 s2, 0, v0
	scratch_load_b32 v0, off, s32 offset:208 ; 4-byte Folded Reload
	s_wait_loadcnt 0x0
	v_cmp_le_i32_e64 s3, v2, v0
	s_and_b32 s2, s2, s3
	s_wait_xcnt 0x0
	s_and_saveexec_b32 s3, s2
	s_delay_alu instid0(SALU_CYCLE_1)
	s_xor_b32 s2, exec_lo, s3
	s_cbranch_execz .LBB329_16
; %bb.13:                               ;   in Loop: Header=BB329_12 Depth=1
	s_and_saveexec_b32 s3, vcc_lo
	s_cbranch_execz .LBB329_15
; %bb.14:                               ;   in Loop: Header=BB329_12 Depth=1
	s_wait_kmcnt 0x0
	v_dual_mov_b32 v1, 0xff7fffff :: v_dual_add_nc_u32 v0, s7, v117
	ds_store_b32 v0, v1
.LBB329_15:                             ;   in Loop: Header=BB329_12 Depth=1
	s_or_b32 exec_lo, exec_lo, s3
.LBB329_16:                             ;   in Loop: Header=BB329_12 Depth=1
	s_and_not1_saveexec_b32 s3, s2
	s_cbranch_execz .LBB329_11
; %bb.17:                               ;   in Loop: Header=BB329_12 Depth=1
	flat_load_b32 v0, v[80:81]
	s_clause 0x1
	scratch_load_b64 v[2:3], off, s32 offset:284
	scratch_load_b64 v[4:5], off, s32 offset:332
	v_mov_b32_e32 v6, 0
	s_mov_b32 s18, exec_lo
	s_wait_loadcnt_dscnt 0x0
	v_mad_nc_i64_i32 v[84:85], v0, v2, v[4:5]
	flat_load_b32 v0, v[84:85]
	scratch_load_b64 v[2:3], off, s32 offset:320 ; 8-byte Folded Reload
	s_wait_loadcnt 0x0
	flat_load_b32 v69, v[2:3]
	ds_load_b128 v[48:51], v116
	ds_load_b128 v[36:39], v116 offset:16
	ds_load_b128 v[32:35], v116 offset:32
	;; [unrolled: 1-line block ×4, first 2 shown]
	s_wait_xcnt 0x0
	ds_load_b128 v[2:5], v116 offset:80
	ds_load_b32 v1, v116 offset:96
	scratch_store_b32 off, v6, s32 offset:212 ; 4-byte Folded Spill
	s_wait_xcnt 0x0
	v_mov_b32_e32 v6, 0
	scratch_store_b32 off, v6, s32 offset:240 ; 4-byte Folded Spill
	s_wait_dscnt 0x0
	scratch_store_b32 off, v1, s32 offset:300 ; 4-byte Folded Spill
	s_wait_xcnt 0x0
	ds_load_u16 v1, v116 offset:100
	s_wait_dscnt 0x0
	scratch_store_b32 off, v1, s32 offset:308 ; 4-byte Folded Spill
	s_wait_xcnt 0x0
	v_and_b32_e32 v1, 0xff, v0
	s_delay_alu instid0(VALU_DEP_1)
	v_cmpx_ne_u16_e32 0, v1
	s_cbranch_execz .LBB329_25
; %bb.18:                               ;   in Loop: Header=BB329_12 Depth=1
	v_cmp_ne_u16_e64 s2, 0x80, v1
	v_bfrev_b32_e32 v1, 1
	s_and_saveexec_b32 s19, s2
	s_cbranch_execz .LBB329_24
; %bb.19:                               ;   in Loop: Header=BB329_12 Depth=1
	v_and_b32_e32 v6, 0x7f, v0
	v_mov_b32_e32 v1, 0x7f800001
	s_mov_b32 s20, exec_lo
	s_delay_alu instid0(VALU_DEP_2)
	v_cmpx_ne_u32_e32 0x7f, v6
	s_cbranch_execz .LBB329_23
; %bb.20:                               ;   in Loop: Header=BB329_12 Depth=1
	v_dual_lshrrev_b32 v1, 3, v6 :: v_dual_bitop2_b32 v66, 7, v0 bitop3:0x40
	s_mov_b32 s21, exec_lo
	s_delay_alu instid0(VALU_DEP_1)
	v_mov_b64_e32 v[86:87], v[66:67]
	v_cmpx_gt_u32_e32 8, v6
; %bb.21:                               ;   in Loop: Header=BB329_12 Depth=1
	v_clz_i32_u32_e32 v1, v66
	s_delay_alu instid0(VALU_DEP_1) | instskip(NEXT) | instid1(VALU_DEP_1)
	v_min_u32_e32 v1, 32, v1
	v_subrev_nc_u32_e32 v6, 28, v1
	s_delay_alu instid0(VALU_DEP_1) | instskip(NEXT) | instid1(VALU_DEP_1)
	v_lshlrev_b64_e32 v[6:7], v6, v[66:67]
	v_dual_sub_nc_u32 v1, 29, v1 :: v_dual_bitop2_b32 v86, 7, v6 bitop3:0x40
; %bb.22:                               ;   in Loop: Header=BB329_12 Depth=1
	s_or_b32 exec_lo, exec_lo, s21
	s_delay_alu instid0(VALU_DEP_1) | instskip(NEXT) | instid1(VALU_DEP_2)
	v_dual_lshlrev_b32 v6, 24, v0 :: v_dual_lshlrev_b32 v7, 20, v86
	v_lshl_add_u32 v1, v1, 23, 0x3c000000
	s_delay_alu instid0(VALU_DEP_2) | instskip(NEXT) | instid1(VALU_DEP_1)
	v_and_b32_e32 v6, 0x80000000, v6
	v_or3_b32 v1, v7, v6, v1
.LBB329_23:                             ;   in Loop: Header=BB329_12 Depth=1
	s_or_b32 exec_lo, exec_lo, s20
.LBB329_24:                             ;   in Loop: Header=BB329_12 Depth=1
	s_delay_alu instid0(SALU_CYCLE_1)
	s_or_b32 exec_lo, exec_lo, s19
	scratch_store_b32 off, v1, s32 offset:240 ; 4-byte Folded Spill
.LBB329_25:                             ;   in Loop: Header=BB329_12 Depth=1
	s_wait_xcnt 0x0
	s_or_b32 exec_lo, exec_lo, s18
	v_lshrrev_b16 v1, 8, v0
	s_mov_b32 s18, exec_lo
	s_delay_alu instid0(VALU_DEP_1)
	v_cmpx_ne_u16_e32 0, v1
	s_cbranch_execz .LBB329_33
; %bb.26:                               ;   in Loop: Header=BB329_12 Depth=1
	v_bfrev_b32_e32 v6, 1
	s_mov_b32 s19, exec_lo
	scratch_store_b32 off, v6, s32 offset:212 ; 4-byte Folded Spill
	s_wait_xcnt 0x0
	v_cmpx_ne_u16_e32 0x80, v1
	s_cbranch_execz .LBB329_32
; %bb.27:                               ;   in Loop: Header=BB329_12 Depth=1
	v_and_b32_e32 v1, 0xffff, v1
	v_mov_b32_e32 v7, 0x7f800001
	s_mov_b32 s20, exec_lo
	s_delay_alu instid0(VALU_DEP_2)
	v_and_b32_e32 v6, 0x7f, v1
	scratch_store_b32 off, v7, s32 offset:212 ; 4-byte Folded Spill
	s_wait_xcnt 0x0
	v_cmpx_ne_u32_e32 0x7f, v6
	s_cbranch_execz .LBB329_31
; %bb.28:                               ;   in Loop: Header=BB329_12 Depth=1
	v_dual_lshrrev_b32 v1, 3, v6 :: v_dual_bitop2_b32 v66, 7, v1 bitop3:0x40
	s_mov_b32 s21, exec_lo
	s_delay_alu instid0(VALU_DEP_1)
	v_mov_b64_e32 v[86:87], v[66:67]
	v_cmpx_gt_u32_e32 8, v6
; %bb.29:                               ;   in Loop: Header=BB329_12 Depth=1
	v_clz_i32_u32_e32 v1, v66
	s_delay_alu instid0(VALU_DEP_1) | instskip(NEXT) | instid1(VALU_DEP_1)
	v_min_u32_e32 v1, 32, v1
	v_subrev_nc_u32_e32 v6, 28, v1
	s_delay_alu instid0(VALU_DEP_1) | instskip(NEXT) | instid1(VALU_DEP_1)
	v_lshlrev_b64_e32 v[6:7], v6, v[66:67]
	v_dual_sub_nc_u32 v1, 29, v1 :: v_dual_bitop2_b32 v86, 7, v6 bitop3:0x40
; %bb.30:                               ;   in Loop: Header=BB329_12 Depth=1
	s_or_b32 exec_lo, exec_lo, s21
	s_delay_alu instid0(VALU_DEP_1) | instskip(NEXT) | instid1(VALU_DEP_2)
	v_dual_lshlrev_b32 v6, 16, v0 :: v_dual_lshlrev_b32 v7, 20, v86
	v_lshl_add_u32 v1, v1, 23, 0x3c000000
	s_delay_alu instid0(VALU_DEP_2) | instskip(NEXT) | instid1(VALU_DEP_1)
	v_and_b32_e32 v6, 0x80000000, v6
	v_or3_b32 v1, v7, v6, v1
	scratch_store_b32 off, v1, s32 offset:212 ; 4-byte Folded Spill
.LBB329_31:                             ;   in Loop: Header=BB329_12 Depth=1
	s_wait_xcnt 0x0
	s_or_b32 exec_lo, exec_lo, s20
.LBB329_32:                             ;   in Loop: Header=BB329_12 Depth=1
	s_delay_alu instid0(SALU_CYCLE_1)
	s_or_b32 exec_lo, exec_lo, s19
.LBB329_33:                             ;   in Loop: Header=BB329_12 Depth=1
	s_delay_alu instid0(SALU_CYCLE_1) | instskip(SKIP_3) | instid1(VALU_DEP_2)
	s_or_b32 exec_lo, exec_lo, s18
	v_dual_mov_b32 v62, 0 :: v_dual_lshrrev_b32 v1, 16, v0
	v_mov_b32_e32 v7, 0
	s_mov_b32 s18, exec_lo
	v_and_b32_e32 v6, 0xff, v1
	scratch_store_b32 off, v7, s32 offset:232 ; 4-byte Folded Spill
	s_wait_xcnt 0x0
	v_cmpx_ne_u16_e32 0, v6
	s_cbranch_execz .LBB329_41
; %bb.34:                               ;   in Loop: Header=BB329_12 Depth=1
	v_cmp_ne_u16_e64 s2, 0x80, v6
	v_bfrev_b32_e32 v6, 1
	s_and_saveexec_b32 s19, s2
	s_cbranch_execz .LBB329_40
; %bb.35:                               ;   in Loop: Header=BB329_12 Depth=1
	v_bfe_u32 v7, v0, 16, 7
	v_mov_b32_e32 v6, 0x7f800001
	s_mov_b32 s20, exec_lo
	s_delay_alu instid0(VALU_DEP_2)
	v_cmpx_ne_u32_e32 0x7f, v7
	s_cbranch_execz .LBB329_39
; %bb.36:                               ;   in Loop: Header=BB329_12 Depth=1
	v_dual_lshrrev_b32 v6, 3, v7 :: v_dual_bitop2_b32 v66, 7, v1 bitop3:0x40
	s_mov_b32 s21, exec_lo
	s_delay_alu instid0(VALU_DEP_1)
	v_mov_b64_e32 v[86:87], v[66:67]
	v_cmpx_gt_u32_e32 8, v7
; %bb.37:                               ;   in Loop: Header=BB329_12 Depth=1
	v_clz_i32_u32_e32 v6, v66
	s_delay_alu instid0(VALU_DEP_1) | instskip(NEXT) | instid1(VALU_DEP_1)
	v_min_u32_e32 v6, 32, v6
	v_subrev_nc_u32_e32 v7, 28, v6
	s_delay_alu instid0(VALU_DEP_1) | instskip(NEXT) | instid1(VALU_DEP_1)
	v_lshlrev_b64_e32 v[8:9], v7, v[66:67]
	v_dual_sub_nc_u32 v6, 29, v6 :: v_dual_bitop2_b32 v86, 7, v8 bitop3:0x40
; %bb.38:                               ;   in Loop: Header=BB329_12 Depth=1
	s_or_b32 exec_lo, exec_lo, s21
	s_delay_alu instid0(VALU_DEP_1) | instskip(NEXT) | instid1(VALU_DEP_2)
	v_dual_lshlrev_b32 v1, 24, v1 :: v_dual_lshlrev_b32 v7, 20, v86
	v_lshl_add_u32 v6, v6, 23, 0x3c000000
	s_delay_alu instid0(VALU_DEP_2) | instskip(NEXT) | instid1(VALU_DEP_1)
	v_and_b32_e32 v1, 0x80000000, v1
	v_or3_b32 v6, v7, v1, v6
.LBB329_39:                             ;   in Loop: Header=BB329_12 Depth=1
	s_or_b32 exec_lo, exec_lo, s20
.LBB329_40:                             ;   in Loop: Header=BB329_12 Depth=1
	s_delay_alu instid0(SALU_CYCLE_1)
	s_or_b32 exec_lo, exec_lo, s19
	scratch_store_b32 off, v6, s32 offset:232 ; 4-byte Folded Spill
.LBB329_41:                             ;   in Loop: Header=BB329_12 Depth=1
	s_wait_xcnt 0x0
	s_or_b32 exec_lo, exec_lo, s18
	s_delay_alu instid0(SALU_CYCLE_1)
	s_mov_b32 s18, exec_lo
	v_cmpx_lt_u32_e32 0xffffff, v0
	s_cbranch_execz .LBB329_49
; %bb.42:                               ;   in Loop: Header=BB329_12 Depth=1
	v_lshrrev_b32_e32 v1, 24, v0
	v_bfrev_b32_e32 v62, 1
	s_mov_b32 s19, exec_lo
	s_delay_alu instid0(VALU_DEP_2)
	v_cmpx_ne_u32_e32 0x80, v1
	s_cbranch_execz .LBB329_48
; %bb.43:                               ;   in Loop: Header=BB329_12 Depth=1
	v_bfe_u32 v6, v0, 24, 7
	v_mov_b32_e32 v62, 0x7f800001
	s_mov_b32 s20, exec_lo
	s_delay_alu instid0(VALU_DEP_2)
	v_cmpx_ne_u32_e32 0x7f, v6
	s_cbranch_execz .LBB329_47
; %bb.44:                               ;   in Loop: Header=BB329_12 Depth=1
	v_dual_lshrrev_b32 v0, 3, v6 :: v_dual_bitop2_b32 v66, 7, v1 bitop3:0x40
	s_mov_b32 s21, exec_lo
	s_delay_alu instid0(VALU_DEP_1)
	v_mov_b64_e32 v[86:87], v[66:67]
	v_cmpx_gt_u32_e32 8, v6
; %bb.45:                               ;   in Loop: Header=BB329_12 Depth=1
	v_clz_i32_u32_e32 v0, v66
	s_delay_alu instid0(VALU_DEP_1) | instskip(NEXT) | instid1(VALU_DEP_1)
	v_min_u32_e32 v0, 32, v0
	v_subrev_nc_u32_e32 v6, 28, v0
	s_delay_alu instid0(VALU_DEP_1) | instskip(NEXT) | instid1(VALU_DEP_1)
	v_lshlrev_b64_e32 v[6:7], v6, v[66:67]
	v_dual_sub_nc_u32 v0, 29, v0 :: v_dual_bitop2_b32 v86, 7, v6 bitop3:0x40
; %bb.46:                               ;   in Loop: Header=BB329_12 Depth=1
	s_or_b32 exec_lo, exec_lo, s21
	s_delay_alu instid0(VALU_DEP_1) | instskip(NEXT) | instid1(VALU_DEP_2)
	v_dual_lshlrev_b32 v1, 24, v1 :: v_dual_lshlrev_b32 v6, 20, v86
	v_lshl_add_u32 v0, v0, 23, 0x3c000000
	s_delay_alu instid0(VALU_DEP_2) | instskip(NEXT) | instid1(VALU_DEP_1)
	v_and_b32_e32 v1, 0x80000000, v1
	v_or3_b32 v62, v6, v1, v0
.LBB329_47:                             ;   in Loop: Header=BB329_12 Depth=1
	s_or_b32 exec_lo, exec_lo, s20
.LBB329_48:                             ;   in Loop: Header=BB329_12 Depth=1
	s_delay_alu instid0(SALU_CYCLE_1)
	s_or_b32 exec_lo, exec_lo, s19
.LBB329_49:                             ;   in Loop: Header=BB329_12 Depth=1
	s_delay_alu instid0(SALU_CYCLE_1)
	s_or_b32 exec_lo, exec_lo, s18
	flat_load_b32 v0, v[84:85] offset:8
	v_mov_b32_e32 v6, 0
	s_mov_b32 s18, exec_lo
	scratch_store_b32 off, v6, s32 offset:216 ; 4-byte Folded Spill
	s_wait_xcnt 0x0
	v_mov_b32_e32 v6, 0
	scratch_store_b32 off, v6, s32 offset:236 ; 4-byte Folded Spill
	s_wait_loadcnt_dscnt 0x0
	v_and_b32_e32 v1, 0xff, v0
	s_wait_xcnt 0x0
	s_delay_alu instid0(VALU_DEP_1)
	v_cmpx_ne_u16_e32 0, v1
	s_cbranch_execz .LBB329_57
; %bb.50:                               ;   in Loop: Header=BB329_12 Depth=1
	v_cmp_ne_u16_e64 s2, 0x80, v1
	v_bfrev_b32_e32 v1, 1
	s_and_saveexec_b32 s19, s2
	s_cbranch_execz .LBB329_56
; %bb.51:                               ;   in Loop: Header=BB329_12 Depth=1
	v_and_b32_e32 v6, 0x7f, v0
	v_mov_b32_e32 v1, 0x7f800001
	s_mov_b32 s20, exec_lo
	s_delay_alu instid0(VALU_DEP_2)
	v_cmpx_ne_u32_e32 0x7f, v6
	s_cbranch_execz .LBB329_55
; %bb.52:                               ;   in Loop: Header=BB329_12 Depth=1
	v_dual_lshrrev_b32 v1, 3, v6 :: v_dual_bitop2_b32 v66, 7, v0 bitop3:0x40
	s_mov_b32 s21, exec_lo
	s_delay_alu instid0(VALU_DEP_1)
	v_mov_b64_e32 v[86:87], v[66:67]
	v_cmpx_gt_u32_e32 8, v6
; %bb.53:                               ;   in Loop: Header=BB329_12 Depth=1
	v_clz_i32_u32_e32 v1, v66
	s_delay_alu instid0(VALU_DEP_1) | instskip(NEXT) | instid1(VALU_DEP_1)
	v_min_u32_e32 v1, 32, v1
	v_subrev_nc_u32_e32 v6, 28, v1
	s_delay_alu instid0(VALU_DEP_1) | instskip(NEXT) | instid1(VALU_DEP_1)
	v_lshlrev_b64_e32 v[6:7], v6, v[66:67]
	v_dual_sub_nc_u32 v1, 29, v1 :: v_dual_bitop2_b32 v86, 7, v6 bitop3:0x40
; %bb.54:                               ;   in Loop: Header=BB329_12 Depth=1
	s_or_b32 exec_lo, exec_lo, s21
	s_delay_alu instid0(VALU_DEP_1) | instskip(NEXT) | instid1(VALU_DEP_2)
	v_dual_lshlrev_b32 v6, 24, v0 :: v_dual_lshlrev_b32 v7, 20, v86
	v_lshl_add_u32 v1, v1, 23, 0x3c000000
	s_delay_alu instid0(VALU_DEP_2) | instskip(NEXT) | instid1(VALU_DEP_1)
	v_and_b32_e32 v6, 0x80000000, v6
	v_or3_b32 v1, v7, v6, v1
.LBB329_55:                             ;   in Loop: Header=BB329_12 Depth=1
	s_or_b32 exec_lo, exec_lo, s20
.LBB329_56:                             ;   in Loop: Header=BB329_12 Depth=1
	s_delay_alu instid0(SALU_CYCLE_1)
	s_or_b32 exec_lo, exec_lo, s19
	scratch_store_b32 off, v1, s32 offset:236 ; 4-byte Folded Spill
.LBB329_57:                             ;   in Loop: Header=BB329_12 Depth=1
	s_wait_xcnt 0x0
	s_or_b32 exec_lo, exec_lo, s18
	v_lshrrev_b16 v1, 8, v0
	s_mov_b32 s18, exec_lo
	s_delay_alu instid0(VALU_DEP_1)
	v_cmpx_ne_u16_e32 0, v1
	s_cbranch_execz .LBB329_65
; %bb.58:                               ;   in Loop: Header=BB329_12 Depth=1
	v_bfrev_b32_e32 v6, 1
	s_mov_b32 s19, exec_lo
	scratch_store_b32 off, v6, s32 offset:216 ; 4-byte Folded Spill
	s_wait_xcnt 0x0
	v_cmpx_ne_u16_e32 0x80, v1
	s_cbranch_execz .LBB329_64
; %bb.59:                               ;   in Loop: Header=BB329_12 Depth=1
	v_and_b32_e32 v1, 0xffff, v1
	v_mov_b32_e32 v7, 0x7f800001
	s_mov_b32 s20, exec_lo
	s_delay_alu instid0(VALU_DEP_2)
	v_and_b32_e32 v6, 0x7f, v1
	scratch_store_b32 off, v7, s32 offset:216 ; 4-byte Folded Spill
	s_wait_xcnt 0x0
	v_cmpx_ne_u32_e32 0x7f, v6
	s_cbranch_execz .LBB329_63
; %bb.60:                               ;   in Loop: Header=BB329_12 Depth=1
	v_dual_lshrrev_b32 v1, 3, v6 :: v_dual_bitop2_b32 v66, 7, v1 bitop3:0x40
	s_mov_b32 s21, exec_lo
	s_delay_alu instid0(VALU_DEP_1)
	v_mov_b64_e32 v[86:87], v[66:67]
	v_cmpx_gt_u32_e32 8, v6
; %bb.61:                               ;   in Loop: Header=BB329_12 Depth=1
	v_clz_i32_u32_e32 v1, v66
	s_delay_alu instid0(VALU_DEP_1) | instskip(NEXT) | instid1(VALU_DEP_1)
	v_min_u32_e32 v1, 32, v1
	v_subrev_nc_u32_e32 v6, 28, v1
	s_delay_alu instid0(VALU_DEP_1) | instskip(NEXT) | instid1(VALU_DEP_1)
	v_lshlrev_b64_e32 v[6:7], v6, v[66:67]
	v_dual_sub_nc_u32 v1, 29, v1 :: v_dual_bitop2_b32 v86, 7, v6 bitop3:0x40
; %bb.62:                               ;   in Loop: Header=BB329_12 Depth=1
	s_or_b32 exec_lo, exec_lo, s21
	s_delay_alu instid0(VALU_DEP_1) | instskip(NEXT) | instid1(VALU_DEP_2)
	v_dual_lshlrev_b32 v6, 16, v0 :: v_dual_lshlrev_b32 v7, 20, v86
	v_lshl_add_u32 v1, v1, 23, 0x3c000000
	s_delay_alu instid0(VALU_DEP_2) | instskip(NEXT) | instid1(VALU_DEP_1)
	v_and_b32_e32 v6, 0x80000000, v6
	v_or3_b32 v1, v7, v6, v1
	scratch_store_b32 off, v1, s32 offset:216 ; 4-byte Folded Spill
.LBB329_63:                             ;   in Loop: Header=BB329_12 Depth=1
	s_wait_xcnt 0x0
	s_or_b32 exec_lo, exec_lo, s20
.LBB329_64:                             ;   in Loop: Header=BB329_12 Depth=1
	s_delay_alu instid0(SALU_CYCLE_1)
	s_or_b32 exec_lo, exec_lo, s19
.LBB329_65:                             ;   in Loop: Header=BB329_12 Depth=1
	s_delay_alu instid0(SALU_CYCLE_1) | instskip(SKIP_3) | instid1(VALU_DEP_2)
	s_or_b32 exec_lo, exec_lo, s18
	v_dual_lshrrev_b32 v1, 16, v0 :: v_dual_mov_b32 v61, 0
	v_mov_b32_e32 v7, 0
	s_mov_b32 s18, exec_lo
	v_and_b32_e32 v6, 0xff, v1
	scratch_store_b32 off, v7, s32 offset:244 ; 4-byte Folded Spill
	s_wait_xcnt 0x0
	v_cmpx_ne_u16_e32 0, v6
	s_cbranch_execz .LBB329_73
; %bb.66:                               ;   in Loop: Header=BB329_12 Depth=1
	v_cmp_ne_u16_e64 s2, 0x80, v6
	v_bfrev_b32_e32 v6, 1
	s_and_saveexec_b32 s19, s2
	s_cbranch_execz .LBB329_72
; %bb.67:                               ;   in Loop: Header=BB329_12 Depth=1
	v_bfe_u32 v7, v0, 16, 7
	v_mov_b32_e32 v6, 0x7f800001
	s_mov_b32 s20, exec_lo
	s_delay_alu instid0(VALU_DEP_2)
	v_cmpx_ne_u32_e32 0x7f, v7
	s_cbranch_execz .LBB329_71
; %bb.68:                               ;   in Loop: Header=BB329_12 Depth=1
	v_dual_lshrrev_b32 v6, 3, v7 :: v_dual_bitop2_b32 v66, 7, v1 bitop3:0x40
	s_mov_b32 s21, exec_lo
	s_delay_alu instid0(VALU_DEP_1)
	v_mov_b64_e32 v[86:87], v[66:67]
	v_cmpx_gt_u32_e32 8, v7
; %bb.69:                               ;   in Loop: Header=BB329_12 Depth=1
	v_clz_i32_u32_e32 v6, v66
	s_delay_alu instid0(VALU_DEP_1) | instskip(NEXT) | instid1(VALU_DEP_1)
	v_min_u32_e32 v6, 32, v6
	v_subrev_nc_u32_e32 v7, 28, v6
	s_delay_alu instid0(VALU_DEP_1) | instskip(NEXT) | instid1(VALU_DEP_1)
	v_lshlrev_b64_e32 v[8:9], v7, v[66:67]
	v_dual_sub_nc_u32 v6, 29, v6 :: v_dual_bitop2_b32 v86, 7, v8 bitop3:0x40
; %bb.70:                               ;   in Loop: Header=BB329_12 Depth=1
	s_or_b32 exec_lo, exec_lo, s21
	s_delay_alu instid0(VALU_DEP_1) | instskip(NEXT) | instid1(VALU_DEP_2)
	v_dual_lshlrev_b32 v1, 24, v1 :: v_dual_lshlrev_b32 v7, 20, v86
	v_lshl_add_u32 v6, v6, 23, 0x3c000000
	s_delay_alu instid0(VALU_DEP_2) | instskip(NEXT) | instid1(VALU_DEP_1)
	v_and_b32_e32 v1, 0x80000000, v1
	v_or3_b32 v6, v7, v1, v6
.LBB329_71:                             ;   in Loop: Header=BB329_12 Depth=1
	s_or_b32 exec_lo, exec_lo, s20
.LBB329_72:                             ;   in Loop: Header=BB329_12 Depth=1
	s_delay_alu instid0(SALU_CYCLE_1)
	s_or_b32 exec_lo, exec_lo, s19
	scratch_store_b32 off, v6, s32 offset:244 ; 4-byte Folded Spill
.LBB329_73:                             ;   in Loop: Header=BB329_12 Depth=1
	s_wait_xcnt 0x0
	s_or_b32 exec_lo, exec_lo, s18
	s_delay_alu instid0(SALU_CYCLE_1)
	s_mov_b32 s18, exec_lo
	v_cmpx_lt_u32_e32 0xffffff, v0
	s_cbranch_execz .LBB329_81
; %bb.74:                               ;   in Loop: Header=BB329_12 Depth=1
	v_lshrrev_b32_e32 v1, 24, v0
	v_bfrev_b32_e32 v61, 1
	s_mov_b32 s19, exec_lo
	s_delay_alu instid0(VALU_DEP_2)
	v_cmpx_ne_u32_e32 0x80, v1
	s_cbranch_execz .LBB329_80
; %bb.75:                               ;   in Loop: Header=BB329_12 Depth=1
	v_bfe_u32 v6, v0, 24, 7
	v_mov_b32_e32 v61, 0x7f800001
	s_mov_b32 s20, exec_lo
	s_delay_alu instid0(VALU_DEP_2)
	v_cmpx_ne_u32_e32 0x7f, v6
	s_cbranch_execz .LBB329_79
; %bb.76:                               ;   in Loop: Header=BB329_12 Depth=1
	v_dual_lshrrev_b32 v0, 3, v6 :: v_dual_bitop2_b32 v66, 7, v1 bitop3:0x40
	s_mov_b32 s21, exec_lo
	s_delay_alu instid0(VALU_DEP_1)
	v_mov_b64_e32 v[86:87], v[66:67]
	v_cmpx_gt_u32_e32 8, v6
; %bb.77:                               ;   in Loop: Header=BB329_12 Depth=1
	v_clz_i32_u32_e32 v0, v66
	s_delay_alu instid0(VALU_DEP_1) | instskip(NEXT) | instid1(VALU_DEP_1)
	v_min_u32_e32 v0, 32, v0
	v_subrev_nc_u32_e32 v6, 28, v0
	s_delay_alu instid0(VALU_DEP_1) | instskip(NEXT) | instid1(VALU_DEP_1)
	v_lshlrev_b64_e32 v[6:7], v6, v[66:67]
	v_dual_sub_nc_u32 v0, 29, v0 :: v_dual_bitop2_b32 v86, 7, v6 bitop3:0x40
; %bb.78:                               ;   in Loop: Header=BB329_12 Depth=1
	s_or_b32 exec_lo, exec_lo, s21
	s_delay_alu instid0(VALU_DEP_1) | instskip(NEXT) | instid1(VALU_DEP_2)
	v_dual_lshlrev_b32 v1, 24, v1 :: v_dual_lshlrev_b32 v6, 20, v86
	v_lshl_add_u32 v0, v0, 23, 0x3c000000
	s_delay_alu instid0(VALU_DEP_2) | instskip(NEXT) | instid1(VALU_DEP_1)
	v_and_b32_e32 v1, 0x80000000, v1
	v_or3_b32 v61, v6, v1, v0
.LBB329_79:                             ;   in Loop: Header=BB329_12 Depth=1
	s_or_b32 exec_lo, exec_lo, s20
.LBB329_80:                             ;   in Loop: Header=BB329_12 Depth=1
	s_delay_alu instid0(SALU_CYCLE_1)
	s_or_b32 exec_lo, exec_lo, s19
.LBB329_81:                             ;   in Loop: Header=BB329_12 Depth=1
	s_delay_alu instid0(SALU_CYCLE_1)
	s_or_b32 exec_lo, exec_lo, s18
	flat_load_b32 v0, v[84:85] offset:256
	v_mov_b32_e32 v6, 0
	s_mov_b32 s18, exec_lo
	scratch_store_b32 off, v6, s32 offset:220 ; 4-byte Folded Spill
	s_wait_xcnt 0x0
	v_mov_b32_e32 v6, 0
	scratch_store_b32 off, v6, s32 offset:252 ; 4-byte Folded Spill
	s_wait_loadcnt_dscnt 0x0
	v_and_b32_e32 v1, 0xff, v0
	s_wait_xcnt 0x0
	s_delay_alu instid0(VALU_DEP_1)
	v_cmpx_ne_u16_e32 0, v1
	s_cbranch_execz .LBB329_89
; %bb.82:                               ;   in Loop: Header=BB329_12 Depth=1
	v_cmp_ne_u16_e64 s2, 0x80, v1
	v_bfrev_b32_e32 v1, 1
	s_and_saveexec_b32 s19, s2
	s_cbranch_execz .LBB329_88
; %bb.83:                               ;   in Loop: Header=BB329_12 Depth=1
	v_and_b32_e32 v6, 0x7f, v0
	v_mov_b32_e32 v1, 0x7f800001
	s_mov_b32 s20, exec_lo
	s_delay_alu instid0(VALU_DEP_2)
	v_cmpx_ne_u32_e32 0x7f, v6
	s_cbranch_execz .LBB329_87
; %bb.84:                               ;   in Loop: Header=BB329_12 Depth=1
	v_dual_lshrrev_b32 v1, 3, v6 :: v_dual_bitop2_b32 v66, 7, v0 bitop3:0x40
	s_mov_b32 s21, exec_lo
	s_delay_alu instid0(VALU_DEP_1)
	v_mov_b64_e32 v[86:87], v[66:67]
	v_cmpx_gt_u32_e32 8, v6
; %bb.85:                               ;   in Loop: Header=BB329_12 Depth=1
	v_clz_i32_u32_e32 v1, v66
	s_delay_alu instid0(VALU_DEP_1) | instskip(NEXT) | instid1(VALU_DEP_1)
	v_min_u32_e32 v1, 32, v1
	v_subrev_nc_u32_e32 v6, 28, v1
	s_delay_alu instid0(VALU_DEP_1) | instskip(NEXT) | instid1(VALU_DEP_1)
	v_lshlrev_b64_e32 v[6:7], v6, v[66:67]
	v_dual_sub_nc_u32 v1, 29, v1 :: v_dual_bitop2_b32 v86, 7, v6 bitop3:0x40
; %bb.86:                               ;   in Loop: Header=BB329_12 Depth=1
	s_or_b32 exec_lo, exec_lo, s21
	s_delay_alu instid0(VALU_DEP_1) | instskip(NEXT) | instid1(VALU_DEP_2)
	v_dual_lshlrev_b32 v6, 24, v0 :: v_dual_lshlrev_b32 v7, 20, v86
	v_lshl_add_u32 v1, v1, 23, 0x3c000000
	s_delay_alu instid0(VALU_DEP_2) | instskip(NEXT) | instid1(VALU_DEP_1)
	v_and_b32_e32 v6, 0x80000000, v6
	v_or3_b32 v1, v7, v6, v1
.LBB329_87:                             ;   in Loop: Header=BB329_12 Depth=1
	s_or_b32 exec_lo, exec_lo, s20
.LBB329_88:                             ;   in Loop: Header=BB329_12 Depth=1
	s_delay_alu instid0(SALU_CYCLE_1)
	s_or_b32 exec_lo, exec_lo, s19
	scratch_store_b32 off, v1, s32 offset:252 ; 4-byte Folded Spill
.LBB329_89:                             ;   in Loop: Header=BB329_12 Depth=1
	s_wait_xcnt 0x0
	s_or_b32 exec_lo, exec_lo, s18
	v_lshrrev_b16 v1, 8, v0
	s_mov_b32 s18, exec_lo
	s_delay_alu instid0(VALU_DEP_1)
	v_cmpx_ne_u16_e32 0, v1
	s_cbranch_execz .LBB329_97
; %bb.90:                               ;   in Loop: Header=BB329_12 Depth=1
	v_bfrev_b32_e32 v6, 1
	s_mov_b32 s19, exec_lo
	scratch_store_b32 off, v6, s32 offset:220 ; 4-byte Folded Spill
	s_wait_xcnt 0x0
	v_cmpx_ne_u16_e32 0x80, v1
	s_cbranch_execz .LBB329_96
; %bb.91:                               ;   in Loop: Header=BB329_12 Depth=1
	v_and_b32_e32 v1, 0xffff, v1
	v_mov_b32_e32 v7, 0x7f800001
	s_mov_b32 s20, exec_lo
	s_delay_alu instid0(VALU_DEP_2)
	v_and_b32_e32 v6, 0x7f, v1
	scratch_store_b32 off, v7, s32 offset:220 ; 4-byte Folded Spill
	s_wait_xcnt 0x0
	v_cmpx_ne_u32_e32 0x7f, v6
	s_cbranch_execz .LBB329_95
; %bb.92:                               ;   in Loop: Header=BB329_12 Depth=1
	v_dual_lshrrev_b32 v1, 3, v6 :: v_dual_bitop2_b32 v66, 7, v1 bitop3:0x40
	s_mov_b32 s21, exec_lo
	s_delay_alu instid0(VALU_DEP_1)
	v_mov_b64_e32 v[86:87], v[66:67]
	v_cmpx_gt_u32_e32 8, v6
; %bb.93:                               ;   in Loop: Header=BB329_12 Depth=1
	v_clz_i32_u32_e32 v1, v66
	s_delay_alu instid0(VALU_DEP_1) | instskip(NEXT) | instid1(VALU_DEP_1)
	v_min_u32_e32 v1, 32, v1
	v_subrev_nc_u32_e32 v6, 28, v1
	s_delay_alu instid0(VALU_DEP_1) | instskip(NEXT) | instid1(VALU_DEP_1)
	v_lshlrev_b64_e32 v[6:7], v6, v[66:67]
	v_dual_sub_nc_u32 v1, 29, v1 :: v_dual_bitop2_b32 v86, 7, v6 bitop3:0x40
; %bb.94:                               ;   in Loop: Header=BB329_12 Depth=1
	s_or_b32 exec_lo, exec_lo, s21
	s_delay_alu instid0(VALU_DEP_1) | instskip(NEXT) | instid1(VALU_DEP_2)
	v_dual_lshlrev_b32 v6, 16, v0 :: v_dual_lshlrev_b32 v7, 20, v86
	v_lshl_add_u32 v1, v1, 23, 0x3c000000
	s_delay_alu instid0(VALU_DEP_2) | instskip(NEXT) | instid1(VALU_DEP_1)
	v_and_b32_e32 v6, 0x80000000, v6
	v_or3_b32 v1, v7, v6, v1
	scratch_store_b32 off, v1, s32 offset:220 ; 4-byte Folded Spill
.LBB329_95:                             ;   in Loop: Header=BB329_12 Depth=1
	s_wait_xcnt 0x0
	s_or_b32 exec_lo, exec_lo, s20
.LBB329_96:                             ;   in Loop: Header=BB329_12 Depth=1
	s_delay_alu instid0(SALU_CYCLE_1)
	s_or_b32 exec_lo, exec_lo, s19
.LBB329_97:                             ;   in Loop: Header=BB329_12 Depth=1
	s_delay_alu instid0(SALU_CYCLE_1) | instskip(SKIP_2) | instid1(VALU_DEP_1)
	s_or_b32 exec_lo, exec_lo, s18
	v_dual_lshrrev_b32 v1, 16, v0 :: v_dual_mov_b32 v7, 0
	s_mov_b32 s18, exec_lo
	v_and_b32_e32 v6, 0xff, v1
	scratch_store_b32 off, v7, s32 offset:224 ; 4-byte Folded Spill
	s_wait_xcnt 0x0
	v_mov_b32_e32 v7, 0
	scratch_store_b32 off, v7, s32 offset:268 ; 4-byte Folded Spill
	s_wait_xcnt 0x0
	v_cmpx_ne_u16_e32 0, v6
	s_cbranch_execz .LBB329_105
; %bb.98:                               ;   in Loop: Header=BB329_12 Depth=1
	v_cmp_ne_u16_e64 s2, 0x80, v6
	v_bfrev_b32_e32 v6, 1
	s_and_saveexec_b32 s19, s2
	s_cbranch_execz .LBB329_104
; %bb.99:                               ;   in Loop: Header=BB329_12 Depth=1
	v_bfe_u32 v7, v0, 16, 7
	v_mov_b32_e32 v6, 0x7f800001
	s_mov_b32 s20, exec_lo
	s_delay_alu instid0(VALU_DEP_2)
	v_cmpx_ne_u32_e32 0x7f, v7
	s_cbranch_execz .LBB329_103
; %bb.100:                              ;   in Loop: Header=BB329_12 Depth=1
	v_dual_lshrrev_b32 v6, 3, v7 :: v_dual_bitop2_b32 v66, 7, v1 bitop3:0x40
	s_mov_b32 s21, exec_lo
	s_delay_alu instid0(VALU_DEP_1)
	v_mov_b64_e32 v[86:87], v[66:67]
	v_cmpx_gt_u32_e32 8, v7
; %bb.101:                              ;   in Loop: Header=BB329_12 Depth=1
	v_clz_i32_u32_e32 v6, v66
	s_delay_alu instid0(VALU_DEP_1) | instskip(NEXT) | instid1(VALU_DEP_1)
	v_min_u32_e32 v6, 32, v6
	v_subrev_nc_u32_e32 v7, 28, v6
	s_delay_alu instid0(VALU_DEP_1) | instskip(NEXT) | instid1(VALU_DEP_1)
	v_lshlrev_b64_e32 v[8:9], v7, v[66:67]
	v_dual_sub_nc_u32 v6, 29, v6 :: v_dual_bitop2_b32 v86, 7, v8 bitop3:0x40
; %bb.102:                              ;   in Loop: Header=BB329_12 Depth=1
	s_or_b32 exec_lo, exec_lo, s21
	s_delay_alu instid0(VALU_DEP_1) | instskip(NEXT) | instid1(VALU_DEP_2)
	v_dual_lshlrev_b32 v1, 24, v1 :: v_dual_lshlrev_b32 v7, 20, v86
	v_lshl_add_u32 v6, v6, 23, 0x3c000000
	s_delay_alu instid0(VALU_DEP_2) | instskip(NEXT) | instid1(VALU_DEP_1)
	v_and_b32_e32 v1, 0x80000000, v1
	v_or3_b32 v6, v7, v1, v6
.LBB329_103:                            ;   in Loop: Header=BB329_12 Depth=1
	s_or_b32 exec_lo, exec_lo, s20
.LBB329_104:                            ;   in Loop: Header=BB329_12 Depth=1
	s_delay_alu instid0(SALU_CYCLE_1)
	s_or_b32 exec_lo, exec_lo, s19
	scratch_store_b32 off, v6, s32 offset:268 ; 4-byte Folded Spill
.LBB329_105:                            ;   in Loop: Header=BB329_12 Depth=1
	s_wait_xcnt 0x0
	s_or_b32 exec_lo, exec_lo, s18
	s_delay_alu instid0(SALU_CYCLE_1)
	s_mov_b32 s18, exec_lo
	v_cmpx_lt_u32_e32 0xffffff, v0
	s_cbranch_execz .LBB329_113
; %bb.106:                              ;   in Loop: Header=BB329_12 Depth=1
	v_lshrrev_b32_e32 v1, 24, v0
	v_bfrev_b32_e32 v6, 1
	s_mov_b32 s19, exec_lo
	scratch_store_b32 off, v6, s32 offset:224 ; 4-byte Folded Spill
	s_wait_xcnt 0x0
	v_cmpx_ne_u32_e32 0x80, v1
	s_cbranch_execz .LBB329_112
; %bb.107:                              ;   in Loop: Header=BB329_12 Depth=1
	v_bfe_u32 v6, v0, 24, 7
	v_mov_b32_e32 v0, 0x7f800001
	s_mov_b32 s20, exec_lo
	s_delay_alu instid0(VALU_DEP_2)
	v_cmpx_ne_u32_e32 0x7f, v6
	s_cbranch_execz .LBB329_111
; %bb.108:                              ;   in Loop: Header=BB329_12 Depth=1
	v_dual_lshrrev_b32 v0, 3, v6 :: v_dual_bitop2_b32 v66, 7, v1 bitop3:0x40
	s_mov_b32 s21, exec_lo
	s_delay_alu instid0(VALU_DEP_1)
	v_mov_b64_e32 v[86:87], v[66:67]
	v_cmpx_gt_u32_e32 8, v6
; %bb.109:                              ;   in Loop: Header=BB329_12 Depth=1
	v_clz_i32_u32_e32 v0, v66
	s_delay_alu instid0(VALU_DEP_1) | instskip(NEXT) | instid1(VALU_DEP_1)
	v_min_u32_e32 v0, 32, v0
	v_subrev_nc_u32_e32 v6, 28, v0
	s_delay_alu instid0(VALU_DEP_1) | instskip(NEXT) | instid1(VALU_DEP_1)
	v_lshlrev_b64_e32 v[6:7], v6, v[66:67]
	v_dual_sub_nc_u32 v0, 29, v0 :: v_dual_bitop2_b32 v86, 7, v6 bitop3:0x40
; %bb.110:                              ;   in Loop: Header=BB329_12 Depth=1
	s_or_b32 exec_lo, exec_lo, s21
	s_delay_alu instid0(VALU_DEP_1) | instskip(NEXT) | instid1(VALU_DEP_2)
	v_dual_lshlrev_b32 v1, 24, v1 :: v_dual_lshlrev_b32 v6, 20, v86
	v_lshl_add_u32 v0, v0, 23, 0x3c000000
	s_delay_alu instid0(VALU_DEP_2) | instskip(NEXT) | instid1(VALU_DEP_1)
	v_and_b32_e32 v1, 0x80000000, v1
	v_or3_b32 v0, v6, v1, v0
.LBB329_111:                            ;   in Loop: Header=BB329_12 Depth=1
	s_or_b32 exec_lo, exec_lo, s20
	scratch_store_b32 off, v0, s32 offset:224 ; 4-byte Folded Spill
.LBB329_112:                            ;   in Loop: Header=BB329_12 Depth=1
	s_wait_xcnt 0x0
	s_or_b32 exec_lo, exec_lo, s19
.LBB329_113:                            ;   in Loop: Header=BB329_12 Depth=1
	s_delay_alu instid0(SALU_CYCLE_1)
	s_or_b32 exec_lo, exec_lo, s18
	flat_load_b32 v0, v[84:85] offset:264
	v_dual_mov_b32 v72, 0 :: v_dual_mov_b32 v63, 0
	s_mov_b32 s18, exec_lo
	s_wait_loadcnt_dscnt 0x0
	v_and_b32_e32 v1, 0xff, v0
	s_wait_xcnt 0x0
	s_delay_alu instid0(VALU_DEP_1)
	v_cmpx_ne_u16_e32 0, v1
	s_cbranch_execz .LBB329_121
; %bb.114:                              ;   in Loop: Header=BB329_12 Depth=1
	v_bfrev_b32_e32 v63, 1
	s_mov_b32 s19, exec_lo
	v_cmpx_ne_u16_e32 0x80, v1
	s_cbranch_execz .LBB329_120
; %bb.115:                              ;   in Loop: Header=BB329_12 Depth=1
	v_and_b32_e32 v6, 0x7f, v0
	v_mov_b32_e32 v63, 0x7f800001
	s_mov_b32 s20, exec_lo
	s_delay_alu instid0(VALU_DEP_2)
	v_cmpx_ne_u32_e32 0x7f, v6
	s_cbranch_execz .LBB329_119
; %bb.116:                              ;   in Loop: Header=BB329_12 Depth=1
	v_dual_lshrrev_b32 v1, 3, v6 :: v_dual_bitop2_b32 v66, 7, v0 bitop3:0x40
	s_mov_b32 s21, exec_lo
	s_delay_alu instid0(VALU_DEP_1)
	v_mov_b64_e32 v[86:87], v[66:67]
	v_cmpx_gt_u32_e32 8, v6
; %bb.117:                              ;   in Loop: Header=BB329_12 Depth=1
	v_clz_i32_u32_e32 v1, v66
	s_delay_alu instid0(VALU_DEP_1) | instskip(NEXT) | instid1(VALU_DEP_1)
	v_min_u32_e32 v1, 32, v1
	v_subrev_nc_u32_e32 v6, 28, v1
	s_delay_alu instid0(VALU_DEP_1) | instskip(NEXT) | instid1(VALU_DEP_1)
	v_lshlrev_b64_e32 v[6:7], v6, v[66:67]
	v_dual_sub_nc_u32 v1, 29, v1 :: v_dual_bitop2_b32 v86, 7, v6 bitop3:0x40
; %bb.118:                              ;   in Loop: Header=BB329_12 Depth=1
	s_or_b32 exec_lo, exec_lo, s21
	s_delay_alu instid0(VALU_DEP_1) | instskip(NEXT) | instid1(VALU_DEP_2)
	v_dual_lshlrev_b32 v6, 24, v0 :: v_dual_lshlrev_b32 v7, 20, v86
	v_lshl_add_u32 v1, v1, 23, 0x3c000000
	s_delay_alu instid0(VALU_DEP_2) | instskip(NEXT) | instid1(VALU_DEP_1)
	v_and_b32_e32 v6, 0x80000000, v6
	v_or3_b32 v63, v7, v6, v1
.LBB329_119:                            ;   in Loop: Header=BB329_12 Depth=1
	s_or_b32 exec_lo, exec_lo, s20
.LBB329_120:                            ;   in Loop: Header=BB329_12 Depth=1
	s_delay_alu instid0(SALU_CYCLE_1)
	s_or_b32 exec_lo, exec_lo, s19
.LBB329_121:                            ;   in Loop: Header=BB329_12 Depth=1
	s_delay_alu instid0(SALU_CYCLE_1) | instskip(SKIP_2) | instid1(VALU_DEP_1)
	s_or_b32 exec_lo, exec_lo, s18
	v_lshrrev_b16 v1, 8, v0
	s_mov_b32 s18, exec_lo
	v_cmpx_ne_u16_e32 0, v1
	s_cbranch_execz .LBB329_129
; %bb.122:                              ;   in Loop: Header=BB329_12 Depth=1
	v_bfrev_b32_e32 v72, 1
	s_mov_b32 s19, exec_lo
	v_cmpx_ne_u16_e32 0x80, v1
	s_cbranch_execz .LBB329_128
; %bb.123:                              ;   in Loop: Header=BB329_12 Depth=1
	v_and_b32_e32 v1, 0xffff, v1
	v_mov_b32_e32 v72, 0x7f800001
	s_mov_b32 s20, exec_lo
	s_delay_alu instid0(VALU_DEP_2) | instskip(NEXT) | instid1(VALU_DEP_1)
	v_and_b32_e32 v6, 0x7f, v1
	v_cmpx_ne_u32_e32 0x7f, v6
	s_cbranch_execz .LBB329_127
; %bb.124:                              ;   in Loop: Header=BB329_12 Depth=1
	v_dual_lshrrev_b32 v1, 3, v6 :: v_dual_bitop2_b32 v66, 7, v1 bitop3:0x40
	s_mov_b32 s21, exec_lo
	s_delay_alu instid0(VALU_DEP_1)
	v_mov_b64_e32 v[86:87], v[66:67]
	v_cmpx_gt_u32_e32 8, v6
; %bb.125:                              ;   in Loop: Header=BB329_12 Depth=1
	v_clz_i32_u32_e32 v1, v66
	s_delay_alu instid0(VALU_DEP_1) | instskip(NEXT) | instid1(VALU_DEP_1)
	v_min_u32_e32 v1, 32, v1
	v_subrev_nc_u32_e32 v6, 28, v1
	s_delay_alu instid0(VALU_DEP_1) | instskip(NEXT) | instid1(VALU_DEP_1)
	v_lshlrev_b64_e32 v[6:7], v6, v[66:67]
	v_dual_sub_nc_u32 v1, 29, v1 :: v_dual_bitop2_b32 v86, 7, v6 bitop3:0x40
; %bb.126:                              ;   in Loop: Header=BB329_12 Depth=1
	s_or_b32 exec_lo, exec_lo, s21
	s_delay_alu instid0(VALU_DEP_1) | instskip(NEXT) | instid1(VALU_DEP_2)
	v_dual_lshlrev_b32 v6, 16, v0 :: v_dual_lshlrev_b32 v7, 20, v86
	v_lshl_add_u32 v1, v1, 23, 0x3c000000
	s_delay_alu instid0(VALU_DEP_2) | instskip(NEXT) | instid1(VALU_DEP_1)
	v_and_b32_e32 v6, 0x80000000, v6
	v_or3_b32 v72, v7, v6, v1
.LBB329_127:                            ;   in Loop: Header=BB329_12 Depth=1
	s_or_b32 exec_lo, exec_lo, s20
.LBB329_128:                            ;   in Loop: Header=BB329_12 Depth=1
	s_delay_alu instid0(SALU_CYCLE_1)
	s_or_b32 exec_lo, exec_lo, s19
.LBB329_129:                            ;   in Loop: Header=BB329_12 Depth=1
	s_delay_alu instid0(SALU_CYCLE_1) | instskip(SKIP_3) | instid1(VALU_DEP_2)
	s_or_b32 exec_lo, exec_lo, s18
	v_dual_lshrrev_b32 v1, 16, v0 :: v_dual_mov_b32 v7, 0
	v_mov_b32_e32 v73, 0
	s_mov_b32 s18, exec_lo
	v_and_b32_e32 v6, 0xff, v1
	scratch_store_b32 off, v7, s32 offset:228 ; 4-byte Folded Spill
	s_wait_xcnt 0x0
	v_cmpx_ne_u16_e32 0, v6
	s_cbranch_execz .LBB329_137
; %bb.130:                              ;   in Loop: Header=BB329_12 Depth=1
	v_bfrev_b32_e32 v73, 1
	s_mov_b32 s19, exec_lo
	v_cmpx_ne_u16_e32 0x80, v6
	s_cbranch_execz .LBB329_136
; %bb.131:                              ;   in Loop: Header=BB329_12 Depth=1
	v_bfe_u32 v7, v0, 16, 7
	v_mov_b32_e32 v73, 0x7f800001
	s_mov_b32 s20, exec_lo
	s_delay_alu instid0(VALU_DEP_2)
	v_cmpx_ne_u32_e32 0x7f, v7
	s_cbranch_execz .LBB329_135
; %bb.132:                              ;   in Loop: Header=BB329_12 Depth=1
	v_dual_lshrrev_b32 v6, 3, v7 :: v_dual_bitop2_b32 v66, 7, v1 bitop3:0x40
	s_mov_b32 s21, exec_lo
	s_delay_alu instid0(VALU_DEP_1)
	v_mov_b64_e32 v[86:87], v[66:67]
	v_cmpx_gt_u32_e32 8, v7
; %bb.133:                              ;   in Loop: Header=BB329_12 Depth=1
	v_clz_i32_u32_e32 v6, v66
	s_delay_alu instid0(VALU_DEP_1) | instskip(NEXT) | instid1(VALU_DEP_1)
	v_min_u32_e32 v6, 32, v6
	v_subrev_nc_u32_e32 v7, 28, v6
	s_delay_alu instid0(VALU_DEP_1) | instskip(NEXT) | instid1(VALU_DEP_1)
	v_lshlrev_b64_e32 v[8:9], v7, v[66:67]
	v_dual_sub_nc_u32 v6, 29, v6 :: v_dual_bitop2_b32 v86, 7, v8 bitop3:0x40
; %bb.134:                              ;   in Loop: Header=BB329_12 Depth=1
	s_or_b32 exec_lo, exec_lo, s21
	s_delay_alu instid0(VALU_DEP_1) | instskip(NEXT) | instid1(VALU_DEP_2)
	v_dual_lshlrev_b32 v1, 24, v1 :: v_dual_lshlrev_b32 v7, 20, v86
	v_lshl_add_u32 v6, v6, 23, 0x3c000000
	s_delay_alu instid0(VALU_DEP_2) | instskip(NEXT) | instid1(VALU_DEP_1)
	v_and_b32_e32 v1, 0x80000000, v1
	v_or3_b32 v73, v7, v1, v6
.LBB329_135:                            ;   in Loop: Header=BB329_12 Depth=1
	s_or_b32 exec_lo, exec_lo, s20
.LBB329_136:                            ;   in Loop: Header=BB329_12 Depth=1
	s_delay_alu instid0(SALU_CYCLE_1)
	s_or_b32 exec_lo, exec_lo, s19
.LBB329_137:                            ;   in Loop: Header=BB329_12 Depth=1
	s_delay_alu instid0(SALU_CYCLE_1) | instskip(NEXT) | instid1(SALU_CYCLE_1)
	s_or_b32 exec_lo, exec_lo, s18
	s_mov_b32 s18, exec_lo
	v_cmpx_lt_u32_e32 0xffffff, v0
	s_cbranch_execz .LBB329_145
; %bb.138:                              ;   in Loop: Header=BB329_12 Depth=1
	v_lshrrev_b32_e32 v1, 24, v0
	v_bfrev_b32_e32 v6, 1
	s_mov_b32 s19, exec_lo
	scratch_store_b32 off, v6, s32 offset:228 ; 4-byte Folded Spill
	s_wait_xcnt 0x0
	v_cmpx_ne_u32_e32 0x80, v1
	s_cbranch_execz .LBB329_144
; %bb.139:                              ;   in Loop: Header=BB329_12 Depth=1
	v_bfe_u32 v6, v0, 24, 7
	v_mov_b32_e32 v0, 0x7f800001
	s_mov_b32 s20, exec_lo
	s_delay_alu instid0(VALU_DEP_2)
	v_cmpx_ne_u32_e32 0x7f, v6
	s_cbranch_execz .LBB329_143
; %bb.140:                              ;   in Loop: Header=BB329_12 Depth=1
	v_dual_lshrrev_b32 v0, 3, v6 :: v_dual_bitop2_b32 v66, 7, v1 bitop3:0x40
	s_mov_b32 s21, exec_lo
	s_delay_alu instid0(VALU_DEP_1)
	v_mov_b64_e32 v[86:87], v[66:67]
	v_cmpx_gt_u32_e32 8, v6
; %bb.141:                              ;   in Loop: Header=BB329_12 Depth=1
	v_clz_i32_u32_e32 v0, v66
	s_delay_alu instid0(VALU_DEP_1) | instskip(NEXT) | instid1(VALU_DEP_1)
	v_min_u32_e32 v0, 32, v0
	v_subrev_nc_u32_e32 v6, 28, v0
	s_delay_alu instid0(VALU_DEP_1) | instskip(NEXT) | instid1(VALU_DEP_1)
	v_lshlrev_b64_e32 v[6:7], v6, v[66:67]
	v_dual_sub_nc_u32 v0, 29, v0 :: v_dual_bitop2_b32 v86, 7, v6 bitop3:0x40
; %bb.142:                              ;   in Loop: Header=BB329_12 Depth=1
	s_or_b32 exec_lo, exec_lo, s21
	s_delay_alu instid0(VALU_DEP_1) | instskip(NEXT) | instid1(VALU_DEP_2)
	v_dual_lshlrev_b32 v1, 24, v1 :: v_dual_lshlrev_b32 v6, 20, v86
	v_lshl_add_u32 v0, v0, 23, 0x3c000000
	s_delay_alu instid0(VALU_DEP_2) | instskip(NEXT) | instid1(VALU_DEP_1)
	v_and_b32_e32 v1, 0x80000000, v1
	v_or3_b32 v0, v6, v1, v0
.LBB329_143:                            ;   in Loop: Header=BB329_12 Depth=1
	s_or_b32 exec_lo, exec_lo, s20
	scratch_store_b32 off, v0, s32 offset:228 ; 4-byte Folded Spill
.LBB329_144:                            ;   in Loop: Header=BB329_12 Depth=1
	s_wait_xcnt 0x0
	s_or_b32 exec_lo, exec_lo, s19
.LBB329_145:                            ;   in Loop: Header=BB329_12 Depth=1
	s_delay_alu instid0(SALU_CYCLE_1)
	s_or_b32 exec_lo, exec_lo, s18
	flat_load_b32 v0, v[84:85] offset:512
	v_dual_mov_b32 v76, 0 :: v_dual_mov_b32 v75, 0
	s_mov_b32 s18, exec_lo
	s_wait_loadcnt_dscnt 0x0
	v_and_b32_e32 v1, 0xff, v0
	s_wait_xcnt 0x0
	s_delay_alu instid0(VALU_DEP_1)
	v_cmpx_ne_u16_e32 0, v1
	s_cbranch_execz .LBB329_153
; %bb.146:                              ;   in Loop: Header=BB329_12 Depth=1
	v_bfrev_b32_e32 v75, 1
	s_mov_b32 s19, exec_lo
	v_cmpx_ne_u16_e32 0x80, v1
	s_cbranch_execz .LBB329_152
; %bb.147:                              ;   in Loop: Header=BB329_12 Depth=1
	v_and_b32_e32 v6, 0x7f, v0
	v_mov_b32_e32 v75, 0x7f800001
	s_mov_b32 s20, exec_lo
	s_delay_alu instid0(VALU_DEP_2)
	v_cmpx_ne_u32_e32 0x7f, v6
	s_cbranch_execz .LBB329_151
; %bb.148:                              ;   in Loop: Header=BB329_12 Depth=1
	v_dual_lshrrev_b32 v1, 3, v6 :: v_dual_bitop2_b32 v66, 7, v0 bitop3:0x40
	s_mov_b32 s21, exec_lo
	s_delay_alu instid0(VALU_DEP_1)
	v_mov_b64_e32 v[86:87], v[66:67]
	v_cmpx_gt_u32_e32 8, v6
; %bb.149:                              ;   in Loop: Header=BB329_12 Depth=1
	v_clz_i32_u32_e32 v1, v66
	s_delay_alu instid0(VALU_DEP_1) | instskip(NEXT) | instid1(VALU_DEP_1)
	v_min_u32_e32 v1, 32, v1
	v_subrev_nc_u32_e32 v6, 28, v1
	s_delay_alu instid0(VALU_DEP_1) | instskip(NEXT) | instid1(VALU_DEP_1)
	v_lshlrev_b64_e32 v[6:7], v6, v[66:67]
	v_dual_sub_nc_u32 v1, 29, v1 :: v_dual_bitop2_b32 v86, 7, v6 bitop3:0x40
; %bb.150:                              ;   in Loop: Header=BB329_12 Depth=1
	s_or_b32 exec_lo, exec_lo, s21
	s_delay_alu instid0(VALU_DEP_1) | instskip(NEXT) | instid1(VALU_DEP_2)
	v_dual_lshlrev_b32 v6, 24, v0 :: v_dual_lshlrev_b32 v7, 20, v86
	v_lshl_add_u32 v1, v1, 23, 0x3c000000
	s_delay_alu instid0(VALU_DEP_2) | instskip(NEXT) | instid1(VALU_DEP_1)
	v_and_b32_e32 v6, 0x80000000, v6
	v_or3_b32 v75, v7, v6, v1
.LBB329_151:                            ;   in Loop: Header=BB329_12 Depth=1
	s_or_b32 exec_lo, exec_lo, s20
.LBB329_152:                            ;   in Loop: Header=BB329_12 Depth=1
	s_delay_alu instid0(SALU_CYCLE_1)
	s_or_b32 exec_lo, exec_lo, s19
.LBB329_153:                            ;   in Loop: Header=BB329_12 Depth=1
	s_delay_alu instid0(SALU_CYCLE_1) | instskip(SKIP_2) | instid1(VALU_DEP_1)
	s_or_b32 exec_lo, exec_lo, s18
	v_lshrrev_b16 v1, 8, v0
	s_mov_b32 s18, exec_lo
	v_cmpx_ne_u16_e32 0, v1
	s_cbranch_execz .LBB329_161
; %bb.154:                              ;   in Loop: Header=BB329_12 Depth=1
	v_bfrev_b32_e32 v76, 1
	s_mov_b32 s19, exec_lo
	v_cmpx_ne_u16_e32 0x80, v1
	s_cbranch_execz .LBB329_160
; %bb.155:                              ;   in Loop: Header=BB329_12 Depth=1
	v_and_b32_e32 v1, 0xffff, v1
	v_mov_b32_e32 v76, 0x7f800001
	s_mov_b32 s20, exec_lo
	s_delay_alu instid0(VALU_DEP_2) | instskip(NEXT) | instid1(VALU_DEP_1)
	v_and_b32_e32 v6, 0x7f, v1
	v_cmpx_ne_u32_e32 0x7f, v6
	s_cbranch_execz .LBB329_159
; %bb.156:                              ;   in Loop: Header=BB329_12 Depth=1
	v_dual_lshrrev_b32 v1, 3, v6 :: v_dual_bitop2_b32 v66, 7, v1 bitop3:0x40
	s_mov_b32 s21, exec_lo
	s_delay_alu instid0(VALU_DEP_1)
	v_mov_b64_e32 v[86:87], v[66:67]
	v_cmpx_gt_u32_e32 8, v6
; %bb.157:                              ;   in Loop: Header=BB329_12 Depth=1
	v_clz_i32_u32_e32 v1, v66
	s_delay_alu instid0(VALU_DEP_1) | instskip(NEXT) | instid1(VALU_DEP_1)
	v_min_u32_e32 v1, 32, v1
	v_subrev_nc_u32_e32 v6, 28, v1
	s_delay_alu instid0(VALU_DEP_1) | instskip(NEXT) | instid1(VALU_DEP_1)
	v_lshlrev_b64_e32 v[6:7], v6, v[66:67]
	v_dual_sub_nc_u32 v1, 29, v1 :: v_dual_bitop2_b32 v86, 7, v6 bitop3:0x40
; %bb.158:                              ;   in Loop: Header=BB329_12 Depth=1
	s_or_b32 exec_lo, exec_lo, s21
	s_delay_alu instid0(VALU_DEP_1) | instskip(NEXT) | instid1(VALU_DEP_2)
	v_dual_lshlrev_b32 v6, 16, v0 :: v_dual_lshlrev_b32 v7, 20, v86
	v_lshl_add_u32 v1, v1, 23, 0x3c000000
	s_delay_alu instid0(VALU_DEP_2) | instskip(NEXT) | instid1(VALU_DEP_1)
	v_and_b32_e32 v6, 0x80000000, v6
	v_or3_b32 v76, v7, v6, v1
.LBB329_159:                            ;   in Loop: Header=BB329_12 Depth=1
	s_or_b32 exec_lo, exec_lo, s20
.LBB329_160:                            ;   in Loop: Header=BB329_12 Depth=1
	s_delay_alu instid0(SALU_CYCLE_1)
	s_or_b32 exec_lo, exec_lo, s19
.LBB329_161:                            ;   in Loop: Header=BB329_12 Depth=1
	s_delay_alu instid0(SALU_CYCLE_1) | instskip(SKIP_3) | instid1(VALU_DEP_2)
	s_or_b32 exec_lo, exec_lo, s18
	v_dual_mov_b32 v74, 0 :: v_dual_lshrrev_b32 v1, 16, v0
	v_mov_b32_e32 v77, 0
	s_mov_b32 s18, exec_lo
	v_and_b32_e32 v6, 0xff, v1
	s_delay_alu instid0(VALU_DEP_1)
	v_cmpx_ne_u16_e32 0, v6
	s_cbranch_execz .LBB329_169
; %bb.162:                              ;   in Loop: Header=BB329_12 Depth=1
	v_bfrev_b32_e32 v77, 1
	s_mov_b32 s19, exec_lo
	v_cmpx_ne_u16_e32 0x80, v6
	s_cbranch_execz .LBB329_168
; %bb.163:                              ;   in Loop: Header=BB329_12 Depth=1
	v_bfe_u32 v7, v0, 16, 7
	v_mov_b32_e32 v77, 0x7f800001
	s_mov_b32 s20, exec_lo
	s_delay_alu instid0(VALU_DEP_2)
	v_cmpx_ne_u32_e32 0x7f, v7
	s_cbranch_execz .LBB329_167
; %bb.164:                              ;   in Loop: Header=BB329_12 Depth=1
	v_dual_lshrrev_b32 v6, 3, v7 :: v_dual_bitop2_b32 v66, 7, v1 bitop3:0x40
	s_mov_b32 s21, exec_lo
	s_delay_alu instid0(VALU_DEP_1)
	v_mov_b64_e32 v[86:87], v[66:67]
	v_cmpx_gt_u32_e32 8, v7
; %bb.165:                              ;   in Loop: Header=BB329_12 Depth=1
	v_clz_i32_u32_e32 v6, v66
	s_delay_alu instid0(VALU_DEP_1) | instskip(NEXT) | instid1(VALU_DEP_1)
	v_min_u32_e32 v6, 32, v6
	v_subrev_nc_u32_e32 v7, 28, v6
	s_delay_alu instid0(VALU_DEP_1) | instskip(NEXT) | instid1(VALU_DEP_1)
	v_lshlrev_b64_e32 v[8:9], v7, v[66:67]
	v_dual_sub_nc_u32 v6, 29, v6 :: v_dual_bitop2_b32 v86, 7, v8 bitop3:0x40
; %bb.166:                              ;   in Loop: Header=BB329_12 Depth=1
	s_or_b32 exec_lo, exec_lo, s21
	s_delay_alu instid0(VALU_DEP_1) | instskip(NEXT) | instid1(VALU_DEP_2)
	v_dual_lshlrev_b32 v1, 24, v1 :: v_dual_lshlrev_b32 v7, 20, v86
	v_lshl_add_u32 v6, v6, 23, 0x3c000000
	s_delay_alu instid0(VALU_DEP_2) | instskip(NEXT) | instid1(VALU_DEP_1)
	v_and_b32_e32 v1, 0x80000000, v1
	v_or3_b32 v77, v7, v1, v6
.LBB329_167:                            ;   in Loop: Header=BB329_12 Depth=1
	s_or_b32 exec_lo, exec_lo, s20
.LBB329_168:                            ;   in Loop: Header=BB329_12 Depth=1
	s_delay_alu instid0(SALU_CYCLE_1)
	s_or_b32 exec_lo, exec_lo, s19
.LBB329_169:                            ;   in Loop: Header=BB329_12 Depth=1
	s_delay_alu instid0(SALU_CYCLE_1) | instskip(NEXT) | instid1(SALU_CYCLE_1)
	s_or_b32 exec_lo, exec_lo, s18
	s_mov_b32 s18, exec_lo
	v_cmpx_lt_u32_e32 0xffffff, v0
	s_cbranch_execz .LBB329_177
; %bb.170:                              ;   in Loop: Header=BB329_12 Depth=1
	v_lshrrev_b32_e32 v1, 24, v0
	v_bfrev_b32_e32 v74, 1
	s_mov_b32 s19, exec_lo
	s_delay_alu instid0(VALU_DEP_2)
	v_cmpx_ne_u32_e32 0x80, v1
	s_cbranch_execz .LBB329_176
; %bb.171:                              ;   in Loop: Header=BB329_12 Depth=1
	v_bfe_u32 v6, v0, 24, 7
	v_mov_b32_e32 v74, 0x7f800001
	s_mov_b32 s20, exec_lo
	s_delay_alu instid0(VALU_DEP_2)
	v_cmpx_ne_u32_e32 0x7f, v6
	s_cbranch_execz .LBB329_175
; %bb.172:                              ;   in Loop: Header=BB329_12 Depth=1
	v_dual_lshrrev_b32 v0, 3, v6 :: v_dual_bitop2_b32 v66, 7, v1 bitop3:0x40
	s_mov_b32 s21, exec_lo
	s_delay_alu instid0(VALU_DEP_1)
	v_mov_b64_e32 v[86:87], v[66:67]
	v_cmpx_gt_u32_e32 8, v6
; %bb.173:                              ;   in Loop: Header=BB329_12 Depth=1
	v_clz_i32_u32_e32 v0, v66
	s_delay_alu instid0(VALU_DEP_1) | instskip(NEXT) | instid1(VALU_DEP_1)
	v_min_u32_e32 v0, 32, v0
	v_subrev_nc_u32_e32 v6, 28, v0
	s_delay_alu instid0(VALU_DEP_1) | instskip(NEXT) | instid1(VALU_DEP_1)
	v_lshlrev_b64_e32 v[6:7], v6, v[66:67]
	v_dual_sub_nc_u32 v0, 29, v0 :: v_dual_bitop2_b32 v86, 7, v6 bitop3:0x40
; %bb.174:                              ;   in Loop: Header=BB329_12 Depth=1
	s_or_b32 exec_lo, exec_lo, s21
	s_delay_alu instid0(VALU_DEP_1) | instskip(NEXT) | instid1(VALU_DEP_2)
	v_dual_lshlrev_b32 v1, 24, v1 :: v_dual_lshlrev_b32 v6, 20, v86
	v_lshl_add_u32 v0, v0, 23, 0x3c000000
	s_delay_alu instid0(VALU_DEP_2) | instskip(NEXT) | instid1(VALU_DEP_1)
	v_and_b32_e32 v1, 0x80000000, v1
	v_or3_b32 v74, v6, v1, v0
.LBB329_175:                            ;   in Loop: Header=BB329_12 Depth=1
	s_or_b32 exec_lo, exec_lo, s20
.LBB329_176:                            ;   in Loop: Header=BB329_12 Depth=1
	s_delay_alu instid0(SALU_CYCLE_1)
	s_or_b32 exec_lo, exec_lo, s19
.LBB329_177:                            ;   in Loop: Header=BB329_12 Depth=1
	s_delay_alu instid0(SALU_CYCLE_1)
	s_or_b32 exec_lo, exec_lo, s18
	flat_load_b32 v0, v[84:85] offset:520
	v_dual_mov_b32 v88, 0 :: v_dual_mov_b32 v79, 0
	s_mov_b32 s18, exec_lo
	s_wait_loadcnt_dscnt 0x0
	v_and_b32_e32 v1, 0xff, v0
	s_wait_xcnt 0x0
	s_delay_alu instid0(VALU_DEP_1)
	v_cmpx_ne_u16_e32 0, v1
	s_cbranch_execz .LBB329_185
; %bb.178:                              ;   in Loop: Header=BB329_12 Depth=1
	v_bfrev_b32_e32 v79, 1
	s_mov_b32 s19, exec_lo
	v_cmpx_ne_u16_e32 0x80, v1
	s_cbranch_execz .LBB329_184
; %bb.179:                              ;   in Loop: Header=BB329_12 Depth=1
	v_and_b32_e32 v6, 0x7f, v0
	v_mov_b32_e32 v79, 0x7f800001
	s_mov_b32 s20, exec_lo
	s_delay_alu instid0(VALU_DEP_2)
	v_cmpx_ne_u32_e32 0x7f, v6
	s_cbranch_execz .LBB329_183
; %bb.180:                              ;   in Loop: Header=BB329_12 Depth=1
	v_dual_lshrrev_b32 v1, 3, v6 :: v_dual_bitop2_b32 v66, 7, v0 bitop3:0x40
	s_mov_b32 s21, exec_lo
	s_delay_alu instid0(VALU_DEP_1)
	v_mov_b64_e32 v[86:87], v[66:67]
	v_cmpx_gt_u32_e32 8, v6
; %bb.181:                              ;   in Loop: Header=BB329_12 Depth=1
	v_clz_i32_u32_e32 v1, v66
	s_delay_alu instid0(VALU_DEP_1) | instskip(NEXT) | instid1(VALU_DEP_1)
	v_min_u32_e32 v1, 32, v1
	v_subrev_nc_u32_e32 v6, 28, v1
	s_delay_alu instid0(VALU_DEP_1) | instskip(NEXT) | instid1(VALU_DEP_1)
	v_lshlrev_b64_e32 v[6:7], v6, v[66:67]
	v_dual_sub_nc_u32 v1, 29, v1 :: v_dual_bitop2_b32 v86, 7, v6 bitop3:0x40
; %bb.182:                              ;   in Loop: Header=BB329_12 Depth=1
	s_or_b32 exec_lo, exec_lo, s21
	s_delay_alu instid0(VALU_DEP_1) | instskip(NEXT) | instid1(VALU_DEP_2)
	v_dual_lshlrev_b32 v6, 24, v0 :: v_dual_lshlrev_b32 v7, 20, v86
	v_lshl_add_u32 v1, v1, 23, 0x3c000000
	s_delay_alu instid0(VALU_DEP_2) | instskip(NEXT) | instid1(VALU_DEP_1)
	v_and_b32_e32 v6, 0x80000000, v6
	v_or3_b32 v79, v7, v6, v1
.LBB329_183:                            ;   in Loop: Header=BB329_12 Depth=1
	s_or_b32 exec_lo, exec_lo, s20
.LBB329_184:                            ;   in Loop: Header=BB329_12 Depth=1
	s_delay_alu instid0(SALU_CYCLE_1)
	s_or_b32 exec_lo, exec_lo, s19
.LBB329_185:                            ;   in Loop: Header=BB329_12 Depth=1
	s_delay_alu instid0(SALU_CYCLE_1) | instskip(SKIP_2) | instid1(VALU_DEP_1)
	s_or_b32 exec_lo, exec_lo, s18
	v_lshrrev_b16 v1, 8, v0
	s_mov_b32 s18, exec_lo
	v_cmpx_ne_u16_e32 0, v1
	s_cbranch_execz .LBB329_193
; %bb.186:                              ;   in Loop: Header=BB329_12 Depth=1
	v_bfrev_b32_e32 v88, 1
	s_mov_b32 s19, exec_lo
	v_cmpx_ne_u16_e32 0x80, v1
	s_cbranch_execz .LBB329_192
; %bb.187:                              ;   in Loop: Header=BB329_12 Depth=1
	v_and_b32_e32 v1, 0xffff, v1
	v_mov_b32_e32 v88, 0x7f800001
	s_mov_b32 s20, exec_lo
	s_delay_alu instid0(VALU_DEP_2) | instskip(NEXT) | instid1(VALU_DEP_1)
	v_and_b32_e32 v6, 0x7f, v1
	v_cmpx_ne_u32_e32 0x7f, v6
	s_cbranch_execz .LBB329_191
; %bb.188:                              ;   in Loop: Header=BB329_12 Depth=1
	v_dual_lshrrev_b32 v1, 3, v6 :: v_dual_bitop2_b32 v66, 7, v1 bitop3:0x40
	s_mov_b32 s21, exec_lo
	s_delay_alu instid0(VALU_DEP_1)
	v_mov_b64_e32 v[86:87], v[66:67]
	v_cmpx_gt_u32_e32 8, v6
; %bb.189:                              ;   in Loop: Header=BB329_12 Depth=1
	v_clz_i32_u32_e32 v1, v66
	s_delay_alu instid0(VALU_DEP_1) | instskip(NEXT) | instid1(VALU_DEP_1)
	v_min_u32_e32 v1, 32, v1
	v_subrev_nc_u32_e32 v6, 28, v1
	s_delay_alu instid0(VALU_DEP_1) | instskip(NEXT) | instid1(VALU_DEP_1)
	v_lshlrev_b64_e32 v[6:7], v6, v[66:67]
	v_dual_sub_nc_u32 v1, 29, v1 :: v_dual_bitop2_b32 v86, 7, v6 bitop3:0x40
; %bb.190:                              ;   in Loop: Header=BB329_12 Depth=1
	s_or_b32 exec_lo, exec_lo, s21
	s_delay_alu instid0(VALU_DEP_1) | instskip(NEXT) | instid1(VALU_DEP_2)
	v_dual_lshlrev_b32 v6, 16, v0 :: v_dual_lshlrev_b32 v7, 20, v86
	v_lshl_add_u32 v1, v1, 23, 0x3c000000
	s_delay_alu instid0(VALU_DEP_2) | instskip(NEXT) | instid1(VALU_DEP_1)
	v_and_b32_e32 v6, 0x80000000, v6
	v_or3_b32 v88, v7, v6, v1
.LBB329_191:                            ;   in Loop: Header=BB329_12 Depth=1
	s_or_b32 exec_lo, exec_lo, s20
.LBB329_192:                            ;   in Loop: Header=BB329_12 Depth=1
	s_delay_alu instid0(SALU_CYCLE_1)
	s_or_b32 exec_lo, exec_lo, s19
.LBB329_193:                            ;   in Loop: Header=BB329_12 Depth=1
	s_delay_alu instid0(SALU_CYCLE_1) | instskip(SKIP_3) | instid1(VALU_DEP_2)
	s_or_b32 exec_lo, exec_lo, s18
	v_dual_mov_b32 v78, 0 :: v_dual_lshrrev_b32 v1, 16, v0
	v_mov_b32_e32 v89, 0
	s_mov_b32 s18, exec_lo
	v_and_b32_e32 v6, 0xff, v1
	s_delay_alu instid0(VALU_DEP_1)
	v_cmpx_ne_u16_e32 0, v6
	s_cbranch_execz .LBB329_201
; %bb.194:                              ;   in Loop: Header=BB329_12 Depth=1
	v_bfrev_b32_e32 v89, 1
	s_mov_b32 s19, exec_lo
	v_cmpx_ne_u16_e32 0x80, v6
	s_cbranch_execz .LBB329_200
; %bb.195:                              ;   in Loop: Header=BB329_12 Depth=1
	v_bfe_u32 v7, v0, 16, 7
	v_mov_b32_e32 v89, 0x7f800001
	s_mov_b32 s20, exec_lo
	s_delay_alu instid0(VALU_DEP_2)
	v_cmpx_ne_u32_e32 0x7f, v7
	s_cbranch_execz .LBB329_199
; %bb.196:                              ;   in Loop: Header=BB329_12 Depth=1
	v_dual_lshrrev_b32 v6, 3, v7 :: v_dual_bitop2_b32 v66, 7, v1 bitop3:0x40
	s_mov_b32 s21, exec_lo
	s_delay_alu instid0(VALU_DEP_1)
	v_mov_b64_e32 v[86:87], v[66:67]
	v_cmpx_gt_u32_e32 8, v7
; %bb.197:                              ;   in Loop: Header=BB329_12 Depth=1
	v_clz_i32_u32_e32 v6, v66
	s_delay_alu instid0(VALU_DEP_1) | instskip(NEXT) | instid1(VALU_DEP_1)
	v_min_u32_e32 v6, 32, v6
	v_subrev_nc_u32_e32 v7, 28, v6
	s_delay_alu instid0(VALU_DEP_1) | instskip(NEXT) | instid1(VALU_DEP_1)
	v_lshlrev_b64_e32 v[8:9], v7, v[66:67]
	v_dual_sub_nc_u32 v6, 29, v6 :: v_dual_bitop2_b32 v86, 7, v8 bitop3:0x40
; %bb.198:                              ;   in Loop: Header=BB329_12 Depth=1
	s_or_b32 exec_lo, exec_lo, s21
	s_delay_alu instid0(VALU_DEP_1) | instskip(NEXT) | instid1(VALU_DEP_2)
	v_dual_lshlrev_b32 v1, 24, v1 :: v_dual_lshlrev_b32 v7, 20, v86
	v_lshl_add_u32 v6, v6, 23, 0x3c000000
	s_delay_alu instid0(VALU_DEP_2) | instskip(NEXT) | instid1(VALU_DEP_1)
	v_and_b32_e32 v1, 0x80000000, v1
	v_or3_b32 v89, v7, v1, v6
.LBB329_199:                            ;   in Loop: Header=BB329_12 Depth=1
	s_or_b32 exec_lo, exec_lo, s20
.LBB329_200:                            ;   in Loop: Header=BB329_12 Depth=1
	s_delay_alu instid0(SALU_CYCLE_1)
	s_or_b32 exec_lo, exec_lo, s19
.LBB329_201:                            ;   in Loop: Header=BB329_12 Depth=1
	s_delay_alu instid0(SALU_CYCLE_1) | instskip(NEXT) | instid1(SALU_CYCLE_1)
	s_or_b32 exec_lo, exec_lo, s18
	s_mov_b32 s18, exec_lo
	v_cmpx_lt_u32_e32 0xffffff, v0
	s_cbranch_execz .LBB329_209
; %bb.202:                              ;   in Loop: Header=BB329_12 Depth=1
	v_lshrrev_b32_e32 v1, 24, v0
	v_bfrev_b32_e32 v78, 1
	s_mov_b32 s19, exec_lo
	s_delay_alu instid0(VALU_DEP_2)
	v_cmpx_ne_u32_e32 0x80, v1
	s_cbranch_execz .LBB329_208
; %bb.203:                              ;   in Loop: Header=BB329_12 Depth=1
	v_bfe_u32 v6, v0, 24, 7
	v_mov_b32_e32 v78, 0x7f800001
	s_mov_b32 s20, exec_lo
	s_delay_alu instid0(VALU_DEP_2)
	v_cmpx_ne_u32_e32 0x7f, v6
	s_cbranch_execz .LBB329_207
; %bb.204:                              ;   in Loop: Header=BB329_12 Depth=1
	v_dual_lshrrev_b32 v0, 3, v6 :: v_dual_bitop2_b32 v66, 7, v1 bitop3:0x40
	s_mov_b32 s21, exec_lo
	s_delay_alu instid0(VALU_DEP_1)
	v_mov_b64_e32 v[86:87], v[66:67]
	v_cmpx_gt_u32_e32 8, v6
; %bb.205:                              ;   in Loop: Header=BB329_12 Depth=1
	v_clz_i32_u32_e32 v0, v66
	s_delay_alu instid0(VALU_DEP_1) | instskip(NEXT) | instid1(VALU_DEP_1)
	v_min_u32_e32 v0, 32, v0
	v_subrev_nc_u32_e32 v6, 28, v0
	s_delay_alu instid0(VALU_DEP_1) | instskip(NEXT) | instid1(VALU_DEP_1)
	v_lshlrev_b64_e32 v[6:7], v6, v[66:67]
	v_dual_sub_nc_u32 v0, 29, v0 :: v_dual_bitop2_b32 v86, 7, v6 bitop3:0x40
; %bb.206:                              ;   in Loop: Header=BB329_12 Depth=1
	s_or_b32 exec_lo, exec_lo, s21
	s_delay_alu instid0(VALU_DEP_1) | instskip(NEXT) | instid1(VALU_DEP_2)
	v_dual_lshlrev_b32 v1, 24, v1 :: v_dual_lshlrev_b32 v6, 20, v86
	v_lshl_add_u32 v0, v0, 23, 0x3c000000
	s_delay_alu instid0(VALU_DEP_2) | instskip(NEXT) | instid1(VALU_DEP_1)
	v_and_b32_e32 v1, 0x80000000, v1
	v_or3_b32 v78, v6, v1, v0
.LBB329_207:                            ;   in Loop: Header=BB329_12 Depth=1
	s_or_b32 exec_lo, exec_lo, s20
.LBB329_208:                            ;   in Loop: Header=BB329_12 Depth=1
	s_delay_alu instid0(SALU_CYCLE_1)
	s_or_b32 exec_lo, exec_lo, s19
.LBB329_209:                            ;   in Loop: Header=BB329_12 Depth=1
	s_delay_alu instid0(SALU_CYCLE_1)
	s_or_b32 exec_lo, exec_lo, s18
	flat_load_b32 v0, v[84:85] offset:768
	v_dual_mov_b32 v92, 0 :: v_dual_mov_b32 v91, 0
	s_mov_b32 s18, exec_lo
	s_wait_loadcnt_dscnt 0x0
	v_and_b32_e32 v1, 0xff, v0
	s_wait_xcnt 0x0
	s_delay_alu instid0(VALU_DEP_1)
	v_cmpx_ne_u16_e32 0, v1
	s_cbranch_execz .LBB329_217
; %bb.210:                              ;   in Loop: Header=BB329_12 Depth=1
	v_bfrev_b32_e32 v91, 1
	s_mov_b32 s19, exec_lo
	v_cmpx_ne_u16_e32 0x80, v1
	s_cbranch_execz .LBB329_216
; %bb.211:                              ;   in Loop: Header=BB329_12 Depth=1
	v_and_b32_e32 v6, 0x7f, v0
	v_mov_b32_e32 v91, 0x7f800001
	s_mov_b32 s20, exec_lo
	s_delay_alu instid0(VALU_DEP_2)
	v_cmpx_ne_u32_e32 0x7f, v6
	s_cbranch_execz .LBB329_215
; %bb.212:                              ;   in Loop: Header=BB329_12 Depth=1
	v_dual_lshrrev_b32 v1, 3, v6 :: v_dual_bitop2_b32 v66, 7, v0 bitop3:0x40
	s_mov_b32 s21, exec_lo
	s_delay_alu instid0(VALU_DEP_1)
	v_mov_b64_e32 v[86:87], v[66:67]
	v_cmpx_gt_u32_e32 8, v6
; %bb.213:                              ;   in Loop: Header=BB329_12 Depth=1
	v_clz_i32_u32_e32 v1, v66
	s_delay_alu instid0(VALU_DEP_1) | instskip(NEXT) | instid1(VALU_DEP_1)
	v_min_u32_e32 v1, 32, v1
	v_subrev_nc_u32_e32 v6, 28, v1
	s_delay_alu instid0(VALU_DEP_1) | instskip(NEXT) | instid1(VALU_DEP_1)
	v_lshlrev_b64_e32 v[6:7], v6, v[66:67]
	v_dual_sub_nc_u32 v1, 29, v1 :: v_dual_bitop2_b32 v86, 7, v6 bitop3:0x40
; %bb.214:                              ;   in Loop: Header=BB329_12 Depth=1
	s_or_b32 exec_lo, exec_lo, s21
	s_delay_alu instid0(VALU_DEP_1) | instskip(NEXT) | instid1(VALU_DEP_2)
	v_dual_lshlrev_b32 v6, 24, v0 :: v_dual_lshlrev_b32 v7, 20, v86
	v_lshl_add_u32 v1, v1, 23, 0x3c000000
	s_delay_alu instid0(VALU_DEP_2) | instskip(NEXT) | instid1(VALU_DEP_1)
	v_and_b32_e32 v6, 0x80000000, v6
	v_or3_b32 v91, v7, v6, v1
.LBB329_215:                            ;   in Loop: Header=BB329_12 Depth=1
	s_or_b32 exec_lo, exec_lo, s20
.LBB329_216:                            ;   in Loop: Header=BB329_12 Depth=1
	s_delay_alu instid0(SALU_CYCLE_1)
	s_or_b32 exec_lo, exec_lo, s19
.LBB329_217:                            ;   in Loop: Header=BB329_12 Depth=1
	s_delay_alu instid0(SALU_CYCLE_1) | instskip(SKIP_2) | instid1(VALU_DEP_1)
	s_or_b32 exec_lo, exec_lo, s18
	v_lshrrev_b16 v1, 8, v0
	s_mov_b32 s18, exec_lo
	v_cmpx_ne_u16_e32 0, v1
	s_cbranch_execz .LBB329_225
; %bb.218:                              ;   in Loop: Header=BB329_12 Depth=1
	v_bfrev_b32_e32 v92, 1
	s_mov_b32 s19, exec_lo
	v_cmpx_ne_u16_e32 0x80, v1
	s_cbranch_execz .LBB329_224
; %bb.219:                              ;   in Loop: Header=BB329_12 Depth=1
	v_and_b32_e32 v1, 0xffff, v1
	v_mov_b32_e32 v92, 0x7f800001
	s_mov_b32 s20, exec_lo
	s_delay_alu instid0(VALU_DEP_2) | instskip(NEXT) | instid1(VALU_DEP_1)
	v_and_b32_e32 v6, 0x7f, v1
	v_cmpx_ne_u32_e32 0x7f, v6
	s_cbranch_execz .LBB329_223
; %bb.220:                              ;   in Loop: Header=BB329_12 Depth=1
	v_dual_lshrrev_b32 v1, 3, v6 :: v_dual_bitop2_b32 v66, 7, v1 bitop3:0x40
	s_mov_b32 s21, exec_lo
	s_delay_alu instid0(VALU_DEP_1)
	v_mov_b64_e32 v[86:87], v[66:67]
	v_cmpx_gt_u32_e32 8, v6
; %bb.221:                              ;   in Loop: Header=BB329_12 Depth=1
	v_clz_i32_u32_e32 v1, v66
	s_delay_alu instid0(VALU_DEP_1) | instskip(NEXT) | instid1(VALU_DEP_1)
	v_min_u32_e32 v1, 32, v1
	v_subrev_nc_u32_e32 v6, 28, v1
	s_delay_alu instid0(VALU_DEP_1) | instskip(NEXT) | instid1(VALU_DEP_1)
	v_lshlrev_b64_e32 v[6:7], v6, v[66:67]
	v_dual_sub_nc_u32 v1, 29, v1 :: v_dual_bitop2_b32 v86, 7, v6 bitop3:0x40
; %bb.222:                              ;   in Loop: Header=BB329_12 Depth=1
	s_or_b32 exec_lo, exec_lo, s21
	s_delay_alu instid0(VALU_DEP_1) | instskip(NEXT) | instid1(VALU_DEP_2)
	v_dual_lshlrev_b32 v6, 16, v0 :: v_dual_lshlrev_b32 v7, 20, v86
	v_lshl_add_u32 v1, v1, 23, 0x3c000000
	s_delay_alu instid0(VALU_DEP_2) | instskip(NEXT) | instid1(VALU_DEP_1)
	v_and_b32_e32 v6, 0x80000000, v6
	v_or3_b32 v92, v7, v6, v1
.LBB329_223:                            ;   in Loop: Header=BB329_12 Depth=1
	s_or_b32 exec_lo, exec_lo, s20
.LBB329_224:                            ;   in Loop: Header=BB329_12 Depth=1
	s_delay_alu instid0(SALU_CYCLE_1)
	s_or_b32 exec_lo, exec_lo, s19
.LBB329_225:                            ;   in Loop: Header=BB329_12 Depth=1
	s_delay_alu instid0(SALU_CYCLE_1) | instskip(SKIP_3) | instid1(VALU_DEP_2)
	s_or_b32 exec_lo, exec_lo, s18
	v_dual_mov_b32 v90, 0 :: v_dual_lshrrev_b32 v1, 16, v0
	v_mov_b32_e32 v93, 0
	s_mov_b32 s18, exec_lo
	v_and_b32_e32 v6, 0xff, v1
	s_delay_alu instid0(VALU_DEP_1)
	v_cmpx_ne_u16_e32 0, v6
	s_cbranch_execz .LBB329_233
; %bb.226:                              ;   in Loop: Header=BB329_12 Depth=1
	v_bfrev_b32_e32 v93, 1
	s_mov_b32 s19, exec_lo
	v_cmpx_ne_u16_e32 0x80, v6
	s_cbranch_execz .LBB329_232
; %bb.227:                              ;   in Loop: Header=BB329_12 Depth=1
	v_bfe_u32 v7, v0, 16, 7
	v_mov_b32_e32 v93, 0x7f800001
	s_mov_b32 s20, exec_lo
	s_delay_alu instid0(VALU_DEP_2)
	v_cmpx_ne_u32_e32 0x7f, v7
	s_cbranch_execz .LBB329_231
; %bb.228:                              ;   in Loop: Header=BB329_12 Depth=1
	v_dual_lshrrev_b32 v6, 3, v7 :: v_dual_bitop2_b32 v66, 7, v1 bitop3:0x40
	s_mov_b32 s21, exec_lo
	s_delay_alu instid0(VALU_DEP_1)
	v_mov_b64_e32 v[86:87], v[66:67]
	v_cmpx_gt_u32_e32 8, v7
; %bb.229:                              ;   in Loop: Header=BB329_12 Depth=1
	v_clz_i32_u32_e32 v6, v66
	s_delay_alu instid0(VALU_DEP_1) | instskip(NEXT) | instid1(VALU_DEP_1)
	v_min_u32_e32 v6, 32, v6
	v_subrev_nc_u32_e32 v7, 28, v6
	s_delay_alu instid0(VALU_DEP_1) | instskip(NEXT) | instid1(VALU_DEP_1)
	v_lshlrev_b64_e32 v[8:9], v7, v[66:67]
	v_dual_sub_nc_u32 v6, 29, v6 :: v_dual_bitop2_b32 v86, 7, v8 bitop3:0x40
; %bb.230:                              ;   in Loop: Header=BB329_12 Depth=1
	s_or_b32 exec_lo, exec_lo, s21
	s_delay_alu instid0(VALU_DEP_1) | instskip(NEXT) | instid1(VALU_DEP_2)
	v_dual_lshlrev_b32 v1, 24, v1 :: v_dual_lshlrev_b32 v7, 20, v86
	v_lshl_add_u32 v6, v6, 23, 0x3c000000
	s_delay_alu instid0(VALU_DEP_2) | instskip(NEXT) | instid1(VALU_DEP_1)
	v_and_b32_e32 v1, 0x80000000, v1
	v_or3_b32 v93, v7, v1, v6
.LBB329_231:                            ;   in Loop: Header=BB329_12 Depth=1
	s_or_b32 exec_lo, exec_lo, s20
.LBB329_232:                            ;   in Loop: Header=BB329_12 Depth=1
	s_delay_alu instid0(SALU_CYCLE_1)
	s_or_b32 exec_lo, exec_lo, s19
.LBB329_233:                            ;   in Loop: Header=BB329_12 Depth=1
	s_delay_alu instid0(SALU_CYCLE_1) | instskip(NEXT) | instid1(SALU_CYCLE_1)
	s_or_b32 exec_lo, exec_lo, s18
	s_mov_b32 s18, exec_lo
	v_cmpx_lt_u32_e32 0xffffff, v0
	s_cbranch_execz .LBB329_241
; %bb.234:                              ;   in Loop: Header=BB329_12 Depth=1
	v_lshrrev_b32_e32 v1, 24, v0
	v_bfrev_b32_e32 v90, 1
	s_mov_b32 s19, exec_lo
	s_delay_alu instid0(VALU_DEP_2)
	v_cmpx_ne_u32_e32 0x80, v1
	s_cbranch_execz .LBB329_240
; %bb.235:                              ;   in Loop: Header=BB329_12 Depth=1
	v_bfe_u32 v6, v0, 24, 7
	v_mov_b32_e32 v90, 0x7f800001
	s_mov_b32 s20, exec_lo
	s_delay_alu instid0(VALU_DEP_2)
	v_cmpx_ne_u32_e32 0x7f, v6
	s_cbranch_execz .LBB329_239
; %bb.236:                              ;   in Loop: Header=BB329_12 Depth=1
	v_dual_lshrrev_b32 v0, 3, v6 :: v_dual_bitop2_b32 v66, 7, v1 bitop3:0x40
	s_mov_b32 s21, exec_lo
	s_delay_alu instid0(VALU_DEP_1)
	v_mov_b64_e32 v[86:87], v[66:67]
	v_cmpx_gt_u32_e32 8, v6
; %bb.237:                              ;   in Loop: Header=BB329_12 Depth=1
	v_clz_i32_u32_e32 v0, v66
	s_delay_alu instid0(VALU_DEP_1) | instskip(NEXT) | instid1(VALU_DEP_1)
	v_min_u32_e32 v0, 32, v0
	v_subrev_nc_u32_e32 v6, 28, v0
	s_delay_alu instid0(VALU_DEP_1) | instskip(NEXT) | instid1(VALU_DEP_1)
	v_lshlrev_b64_e32 v[6:7], v6, v[66:67]
	v_dual_sub_nc_u32 v0, 29, v0 :: v_dual_bitop2_b32 v86, 7, v6 bitop3:0x40
; %bb.238:                              ;   in Loop: Header=BB329_12 Depth=1
	s_or_b32 exec_lo, exec_lo, s21
	s_delay_alu instid0(VALU_DEP_1) | instskip(NEXT) | instid1(VALU_DEP_2)
	v_dual_lshlrev_b32 v1, 24, v1 :: v_dual_lshlrev_b32 v6, 20, v86
	v_lshl_add_u32 v0, v0, 23, 0x3c000000
	s_delay_alu instid0(VALU_DEP_2) | instskip(NEXT) | instid1(VALU_DEP_1)
	v_and_b32_e32 v1, 0x80000000, v1
	v_or3_b32 v90, v6, v1, v0
.LBB329_239:                            ;   in Loop: Header=BB329_12 Depth=1
	s_or_b32 exec_lo, exec_lo, s20
.LBB329_240:                            ;   in Loop: Header=BB329_12 Depth=1
	s_delay_alu instid0(SALU_CYCLE_1)
	s_or_b32 exec_lo, exec_lo, s19
.LBB329_241:                            ;   in Loop: Header=BB329_12 Depth=1
	s_delay_alu instid0(SALU_CYCLE_1)
	s_or_b32 exec_lo, exec_lo, s18
	flat_load_b32 v0, v[84:85] offset:776
	v_dual_mov_b32 v104, 0 :: v_dual_mov_b32 v95, 0
	s_mov_b32 s18, exec_lo
	s_wait_loadcnt_dscnt 0x0
	v_and_b32_e32 v1, 0xff, v0
	s_wait_xcnt 0x0
	s_delay_alu instid0(VALU_DEP_1)
	v_cmpx_ne_u16_e32 0, v1
	s_cbranch_execz .LBB329_249
; %bb.242:                              ;   in Loop: Header=BB329_12 Depth=1
	v_bfrev_b32_e32 v95, 1
	s_mov_b32 s19, exec_lo
	v_cmpx_ne_u16_e32 0x80, v1
	s_cbranch_execz .LBB329_248
; %bb.243:                              ;   in Loop: Header=BB329_12 Depth=1
	v_and_b32_e32 v6, 0x7f, v0
	v_mov_b32_e32 v95, 0x7f800001
	s_mov_b32 s20, exec_lo
	s_delay_alu instid0(VALU_DEP_2)
	v_cmpx_ne_u32_e32 0x7f, v6
	s_cbranch_execz .LBB329_247
; %bb.244:                              ;   in Loop: Header=BB329_12 Depth=1
	v_dual_lshrrev_b32 v1, 3, v6 :: v_dual_bitop2_b32 v66, 7, v0 bitop3:0x40
	s_mov_b32 s21, exec_lo
	s_delay_alu instid0(VALU_DEP_1)
	v_mov_b64_e32 v[86:87], v[66:67]
	v_cmpx_gt_u32_e32 8, v6
; %bb.245:                              ;   in Loop: Header=BB329_12 Depth=1
	v_clz_i32_u32_e32 v1, v66
	s_delay_alu instid0(VALU_DEP_1) | instskip(NEXT) | instid1(VALU_DEP_1)
	v_min_u32_e32 v1, 32, v1
	v_subrev_nc_u32_e32 v6, 28, v1
	s_delay_alu instid0(VALU_DEP_1) | instskip(NEXT) | instid1(VALU_DEP_1)
	v_lshlrev_b64_e32 v[6:7], v6, v[66:67]
	v_dual_sub_nc_u32 v1, 29, v1 :: v_dual_bitop2_b32 v86, 7, v6 bitop3:0x40
; %bb.246:                              ;   in Loop: Header=BB329_12 Depth=1
	s_or_b32 exec_lo, exec_lo, s21
	s_delay_alu instid0(VALU_DEP_1) | instskip(NEXT) | instid1(VALU_DEP_2)
	v_dual_lshlrev_b32 v6, 24, v0 :: v_dual_lshlrev_b32 v7, 20, v86
	v_lshl_add_u32 v1, v1, 23, 0x3c000000
	s_delay_alu instid0(VALU_DEP_2) | instskip(NEXT) | instid1(VALU_DEP_1)
	v_and_b32_e32 v6, 0x80000000, v6
	v_or3_b32 v95, v7, v6, v1
.LBB329_247:                            ;   in Loop: Header=BB329_12 Depth=1
	s_or_b32 exec_lo, exec_lo, s20
.LBB329_248:                            ;   in Loop: Header=BB329_12 Depth=1
	s_delay_alu instid0(SALU_CYCLE_1)
	s_or_b32 exec_lo, exec_lo, s19
.LBB329_249:                            ;   in Loop: Header=BB329_12 Depth=1
	s_delay_alu instid0(SALU_CYCLE_1) | instskip(SKIP_2) | instid1(VALU_DEP_1)
	s_or_b32 exec_lo, exec_lo, s18
	v_lshrrev_b16 v1, 8, v0
	s_mov_b32 s18, exec_lo
	v_cmpx_ne_u16_e32 0, v1
	s_cbranch_execz .LBB329_257
; %bb.250:                              ;   in Loop: Header=BB329_12 Depth=1
	v_bfrev_b32_e32 v104, 1
	s_mov_b32 s19, exec_lo
	v_cmpx_ne_u16_e32 0x80, v1
	s_cbranch_execz .LBB329_256
; %bb.251:                              ;   in Loop: Header=BB329_12 Depth=1
	v_and_b32_e32 v1, 0xffff, v1
	v_mov_b32_e32 v104, 0x7f800001
	s_mov_b32 s20, exec_lo
	s_delay_alu instid0(VALU_DEP_2) | instskip(NEXT) | instid1(VALU_DEP_1)
	v_and_b32_e32 v6, 0x7f, v1
	v_cmpx_ne_u32_e32 0x7f, v6
	s_cbranch_execz .LBB329_255
; %bb.252:                              ;   in Loop: Header=BB329_12 Depth=1
	v_dual_lshrrev_b32 v1, 3, v6 :: v_dual_bitop2_b32 v66, 7, v1 bitop3:0x40
	s_mov_b32 s21, exec_lo
	s_delay_alu instid0(VALU_DEP_1)
	v_mov_b64_e32 v[86:87], v[66:67]
	v_cmpx_gt_u32_e32 8, v6
; %bb.253:                              ;   in Loop: Header=BB329_12 Depth=1
	v_clz_i32_u32_e32 v1, v66
	s_delay_alu instid0(VALU_DEP_1) | instskip(NEXT) | instid1(VALU_DEP_1)
	v_min_u32_e32 v1, 32, v1
	v_subrev_nc_u32_e32 v6, 28, v1
	s_delay_alu instid0(VALU_DEP_1) | instskip(NEXT) | instid1(VALU_DEP_1)
	v_lshlrev_b64_e32 v[6:7], v6, v[66:67]
	v_dual_sub_nc_u32 v1, 29, v1 :: v_dual_bitop2_b32 v86, 7, v6 bitop3:0x40
; %bb.254:                              ;   in Loop: Header=BB329_12 Depth=1
	s_or_b32 exec_lo, exec_lo, s21
	s_delay_alu instid0(VALU_DEP_1) | instskip(NEXT) | instid1(VALU_DEP_2)
	v_dual_lshlrev_b32 v6, 16, v0 :: v_dual_lshlrev_b32 v7, 20, v86
	v_lshl_add_u32 v1, v1, 23, 0x3c000000
	s_delay_alu instid0(VALU_DEP_2) | instskip(NEXT) | instid1(VALU_DEP_1)
	v_and_b32_e32 v6, 0x80000000, v6
	v_or3_b32 v104, v7, v6, v1
.LBB329_255:                            ;   in Loop: Header=BB329_12 Depth=1
	s_or_b32 exec_lo, exec_lo, s20
.LBB329_256:                            ;   in Loop: Header=BB329_12 Depth=1
	s_delay_alu instid0(SALU_CYCLE_1)
	s_or_b32 exec_lo, exec_lo, s19
.LBB329_257:                            ;   in Loop: Header=BB329_12 Depth=1
	s_delay_alu instid0(SALU_CYCLE_1) | instskip(SKIP_3) | instid1(VALU_DEP_2)
	s_or_b32 exec_lo, exec_lo, s18
	v_dual_mov_b32 v94, 0 :: v_dual_lshrrev_b32 v1, 16, v0
	v_mov_b32_e32 v105, 0
	s_mov_b32 s18, exec_lo
	v_and_b32_e32 v6, 0xff, v1
	s_delay_alu instid0(VALU_DEP_1)
	v_cmpx_ne_u16_e32 0, v6
	s_cbranch_execz .LBB329_265
; %bb.258:                              ;   in Loop: Header=BB329_12 Depth=1
	v_bfrev_b32_e32 v105, 1
	s_mov_b32 s19, exec_lo
	v_cmpx_ne_u16_e32 0x80, v6
	s_cbranch_execz .LBB329_264
; %bb.259:                              ;   in Loop: Header=BB329_12 Depth=1
	v_bfe_u32 v7, v0, 16, 7
	v_mov_b32_e32 v105, 0x7f800001
	s_mov_b32 s20, exec_lo
	s_delay_alu instid0(VALU_DEP_2)
	v_cmpx_ne_u32_e32 0x7f, v7
	s_cbranch_execz .LBB329_263
; %bb.260:                              ;   in Loop: Header=BB329_12 Depth=1
	v_dual_lshrrev_b32 v6, 3, v7 :: v_dual_bitop2_b32 v66, 7, v1 bitop3:0x40
	s_mov_b32 s21, exec_lo
	s_delay_alu instid0(VALU_DEP_1)
	v_mov_b64_e32 v[86:87], v[66:67]
	v_cmpx_gt_u32_e32 8, v7
; %bb.261:                              ;   in Loop: Header=BB329_12 Depth=1
	v_clz_i32_u32_e32 v6, v66
	s_delay_alu instid0(VALU_DEP_1) | instskip(NEXT) | instid1(VALU_DEP_1)
	v_min_u32_e32 v6, 32, v6
	v_subrev_nc_u32_e32 v7, 28, v6
	s_delay_alu instid0(VALU_DEP_1) | instskip(NEXT) | instid1(VALU_DEP_1)
	v_lshlrev_b64_e32 v[8:9], v7, v[66:67]
	v_dual_sub_nc_u32 v6, 29, v6 :: v_dual_bitop2_b32 v86, 7, v8 bitop3:0x40
; %bb.262:                              ;   in Loop: Header=BB329_12 Depth=1
	s_or_b32 exec_lo, exec_lo, s21
	s_delay_alu instid0(VALU_DEP_1) | instskip(NEXT) | instid1(VALU_DEP_2)
	v_dual_lshlrev_b32 v1, 24, v1 :: v_dual_lshlrev_b32 v7, 20, v86
	v_lshl_add_u32 v6, v6, 23, 0x3c000000
	s_delay_alu instid0(VALU_DEP_2) | instskip(NEXT) | instid1(VALU_DEP_1)
	v_and_b32_e32 v1, 0x80000000, v1
	v_or3_b32 v105, v7, v1, v6
.LBB329_263:                            ;   in Loop: Header=BB329_12 Depth=1
	s_or_b32 exec_lo, exec_lo, s20
.LBB329_264:                            ;   in Loop: Header=BB329_12 Depth=1
	s_delay_alu instid0(SALU_CYCLE_1)
	s_or_b32 exec_lo, exec_lo, s19
.LBB329_265:                            ;   in Loop: Header=BB329_12 Depth=1
	s_delay_alu instid0(SALU_CYCLE_1) | instskip(NEXT) | instid1(SALU_CYCLE_1)
	s_or_b32 exec_lo, exec_lo, s18
	s_mov_b32 s18, exec_lo
	v_cmpx_lt_u32_e32 0xffffff, v0
	s_cbranch_execz .LBB329_273
; %bb.266:                              ;   in Loop: Header=BB329_12 Depth=1
	v_lshrrev_b32_e32 v1, 24, v0
	v_bfrev_b32_e32 v94, 1
	s_mov_b32 s19, exec_lo
	s_delay_alu instid0(VALU_DEP_2)
	v_cmpx_ne_u32_e32 0x80, v1
	s_cbranch_execz .LBB329_272
; %bb.267:                              ;   in Loop: Header=BB329_12 Depth=1
	v_bfe_u32 v6, v0, 24, 7
	v_mov_b32_e32 v94, 0x7f800001
	s_mov_b32 s20, exec_lo
	s_delay_alu instid0(VALU_DEP_2)
	v_cmpx_ne_u32_e32 0x7f, v6
	s_cbranch_execz .LBB329_271
; %bb.268:                              ;   in Loop: Header=BB329_12 Depth=1
	v_dual_lshrrev_b32 v0, 3, v6 :: v_dual_bitop2_b32 v66, 7, v1 bitop3:0x40
	s_mov_b32 s21, exec_lo
	s_delay_alu instid0(VALU_DEP_1)
	v_mov_b64_e32 v[86:87], v[66:67]
	v_cmpx_gt_u32_e32 8, v6
; %bb.269:                              ;   in Loop: Header=BB329_12 Depth=1
	v_clz_i32_u32_e32 v0, v66
	s_delay_alu instid0(VALU_DEP_1) | instskip(NEXT) | instid1(VALU_DEP_1)
	v_min_u32_e32 v0, 32, v0
	v_subrev_nc_u32_e32 v6, 28, v0
	s_delay_alu instid0(VALU_DEP_1) | instskip(NEXT) | instid1(VALU_DEP_1)
	v_lshlrev_b64_e32 v[6:7], v6, v[66:67]
	v_dual_sub_nc_u32 v0, 29, v0 :: v_dual_bitop2_b32 v86, 7, v6 bitop3:0x40
; %bb.270:                              ;   in Loop: Header=BB329_12 Depth=1
	s_or_b32 exec_lo, exec_lo, s21
	s_delay_alu instid0(VALU_DEP_1) | instskip(NEXT) | instid1(VALU_DEP_2)
	v_dual_lshlrev_b32 v1, 24, v1 :: v_dual_lshlrev_b32 v6, 20, v86
	v_lshl_add_u32 v0, v0, 23, 0x3c000000
	s_delay_alu instid0(VALU_DEP_2) | instskip(NEXT) | instid1(VALU_DEP_1)
	v_and_b32_e32 v1, 0x80000000, v1
	v_or3_b32 v94, v6, v1, v0
.LBB329_271:                            ;   in Loop: Header=BB329_12 Depth=1
	s_or_b32 exec_lo, exec_lo, s20
.LBB329_272:                            ;   in Loop: Header=BB329_12 Depth=1
	s_delay_alu instid0(SALU_CYCLE_1)
	s_or_b32 exec_lo, exec_lo, s19
.LBB329_273:                            ;   in Loop: Header=BB329_12 Depth=1
	s_delay_alu instid0(SALU_CYCLE_1)
	s_or_b32 exec_lo, exec_lo, s18
	flat_load_b32 v0, v[84:85] offset:1024
	v_dual_mov_b32 v108, 0 :: v_dual_mov_b32 v107, 0
	s_mov_b32 s18, exec_lo
	s_wait_loadcnt_dscnt 0x0
	v_and_b32_e32 v1, 0xff, v0
	s_wait_xcnt 0x0
	s_delay_alu instid0(VALU_DEP_1)
	v_cmpx_ne_u16_e32 0, v1
	s_cbranch_execz .LBB329_281
; %bb.274:                              ;   in Loop: Header=BB329_12 Depth=1
	v_bfrev_b32_e32 v107, 1
	s_mov_b32 s19, exec_lo
	v_cmpx_ne_u16_e32 0x80, v1
	s_cbranch_execz .LBB329_280
; %bb.275:                              ;   in Loop: Header=BB329_12 Depth=1
	v_and_b32_e32 v6, 0x7f, v0
	v_mov_b32_e32 v107, 0x7f800001
	s_mov_b32 s20, exec_lo
	s_delay_alu instid0(VALU_DEP_2)
	v_cmpx_ne_u32_e32 0x7f, v6
	s_cbranch_execz .LBB329_279
; %bb.276:                              ;   in Loop: Header=BB329_12 Depth=1
	v_dual_lshrrev_b32 v1, 3, v6 :: v_dual_bitop2_b32 v66, 7, v0 bitop3:0x40
	s_mov_b32 s21, exec_lo
	s_delay_alu instid0(VALU_DEP_1)
	v_mov_b64_e32 v[86:87], v[66:67]
	v_cmpx_gt_u32_e32 8, v6
; %bb.277:                              ;   in Loop: Header=BB329_12 Depth=1
	v_clz_i32_u32_e32 v1, v66
	s_delay_alu instid0(VALU_DEP_1) | instskip(NEXT) | instid1(VALU_DEP_1)
	v_min_u32_e32 v1, 32, v1
	v_subrev_nc_u32_e32 v6, 28, v1
	s_delay_alu instid0(VALU_DEP_1) | instskip(NEXT) | instid1(VALU_DEP_1)
	v_lshlrev_b64_e32 v[6:7], v6, v[66:67]
	v_dual_sub_nc_u32 v1, 29, v1 :: v_dual_bitop2_b32 v86, 7, v6 bitop3:0x40
; %bb.278:                              ;   in Loop: Header=BB329_12 Depth=1
	s_or_b32 exec_lo, exec_lo, s21
	s_delay_alu instid0(VALU_DEP_1) | instskip(NEXT) | instid1(VALU_DEP_2)
	v_dual_lshlrev_b32 v6, 24, v0 :: v_dual_lshlrev_b32 v7, 20, v86
	v_lshl_add_u32 v1, v1, 23, 0x3c000000
	s_delay_alu instid0(VALU_DEP_2) | instskip(NEXT) | instid1(VALU_DEP_1)
	v_and_b32_e32 v6, 0x80000000, v6
	v_or3_b32 v107, v7, v6, v1
.LBB329_279:                            ;   in Loop: Header=BB329_12 Depth=1
	s_or_b32 exec_lo, exec_lo, s20
.LBB329_280:                            ;   in Loop: Header=BB329_12 Depth=1
	s_delay_alu instid0(SALU_CYCLE_1)
	s_or_b32 exec_lo, exec_lo, s19
.LBB329_281:                            ;   in Loop: Header=BB329_12 Depth=1
	s_delay_alu instid0(SALU_CYCLE_1) | instskip(SKIP_2) | instid1(VALU_DEP_1)
	s_or_b32 exec_lo, exec_lo, s18
	v_lshrrev_b16 v1, 8, v0
	s_mov_b32 s18, exec_lo
	v_cmpx_ne_u16_e32 0, v1
	s_cbranch_execz .LBB329_289
; %bb.282:                              ;   in Loop: Header=BB329_12 Depth=1
	v_bfrev_b32_e32 v108, 1
	s_mov_b32 s19, exec_lo
	v_cmpx_ne_u16_e32 0x80, v1
	s_cbranch_execz .LBB329_288
; %bb.283:                              ;   in Loop: Header=BB329_12 Depth=1
	v_and_b32_e32 v1, 0xffff, v1
	v_mov_b32_e32 v108, 0x7f800001
	s_mov_b32 s20, exec_lo
	s_delay_alu instid0(VALU_DEP_2) | instskip(NEXT) | instid1(VALU_DEP_1)
	v_and_b32_e32 v6, 0x7f, v1
	v_cmpx_ne_u32_e32 0x7f, v6
	s_cbranch_execz .LBB329_287
; %bb.284:                              ;   in Loop: Header=BB329_12 Depth=1
	v_dual_lshrrev_b32 v1, 3, v6 :: v_dual_bitop2_b32 v66, 7, v1 bitop3:0x40
	s_mov_b32 s21, exec_lo
	s_delay_alu instid0(VALU_DEP_1)
	v_mov_b64_e32 v[86:87], v[66:67]
	v_cmpx_gt_u32_e32 8, v6
; %bb.285:                              ;   in Loop: Header=BB329_12 Depth=1
	v_clz_i32_u32_e32 v1, v66
	s_delay_alu instid0(VALU_DEP_1) | instskip(NEXT) | instid1(VALU_DEP_1)
	v_min_u32_e32 v1, 32, v1
	v_subrev_nc_u32_e32 v6, 28, v1
	s_delay_alu instid0(VALU_DEP_1) | instskip(NEXT) | instid1(VALU_DEP_1)
	v_lshlrev_b64_e32 v[6:7], v6, v[66:67]
	v_dual_sub_nc_u32 v1, 29, v1 :: v_dual_bitop2_b32 v86, 7, v6 bitop3:0x40
; %bb.286:                              ;   in Loop: Header=BB329_12 Depth=1
	s_or_b32 exec_lo, exec_lo, s21
	s_delay_alu instid0(VALU_DEP_1) | instskip(NEXT) | instid1(VALU_DEP_2)
	v_dual_lshlrev_b32 v6, 16, v0 :: v_dual_lshlrev_b32 v7, 20, v86
	v_lshl_add_u32 v1, v1, 23, 0x3c000000
	s_delay_alu instid0(VALU_DEP_2) | instskip(NEXT) | instid1(VALU_DEP_1)
	v_and_b32_e32 v6, 0x80000000, v6
	v_or3_b32 v108, v7, v6, v1
.LBB329_287:                            ;   in Loop: Header=BB329_12 Depth=1
	s_or_b32 exec_lo, exec_lo, s20
.LBB329_288:                            ;   in Loop: Header=BB329_12 Depth=1
	s_delay_alu instid0(SALU_CYCLE_1)
	s_or_b32 exec_lo, exec_lo, s19
.LBB329_289:                            ;   in Loop: Header=BB329_12 Depth=1
	s_delay_alu instid0(SALU_CYCLE_1) | instskip(SKIP_3) | instid1(VALU_DEP_2)
	s_or_b32 exec_lo, exec_lo, s18
	v_dual_mov_b32 v106, 0 :: v_dual_lshrrev_b32 v1, 16, v0
	v_mov_b32_e32 v109, 0
	s_mov_b32 s18, exec_lo
	v_and_b32_e32 v6, 0xff, v1
	s_delay_alu instid0(VALU_DEP_1)
	v_cmpx_ne_u16_e32 0, v6
	s_cbranch_execz .LBB329_297
; %bb.290:                              ;   in Loop: Header=BB329_12 Depth=1
	v_bfrev_b32_e32 v109, 1
	s_mov_b32 s19, exec_lo
	v_cmpx_ne_u16_e32 0x80, v6
	s_cbranch_execz .LBB329_296
; %bb.291:                              ;   in Loop: Header=BB329_12 Depth=1
	v_bfe_u32 v7, v0, 16, 7
	v_mov_b32_e32 v109, 0x7f800001
	s_mov_b32 s20, exec_lo
	s_delay_alu instid0(VALU_DEP_2)
	v_cmpx_ne_u32_e32 0x7f, v7
	s_cbranch_execz .LBB329_295
; %bb.292:                              ;   in Loop: Header=BB329_12 Depth=1
	v_dual_lshrrev_b32 v6, 3, v7 :: v_dual_bitop2_b32 v66, 7, v1 bitop3:0x40
	s_mov_b32 s21, exec_lo
	s_delay_alu instid0(VALU_DEP_1)
	v_mov_b64_e32 v[86:87], v[66:67]
	v_cmpx_gt_u32_e32 8, v7
; %bb.293:                              ;   in Loop: Header=BB329_12 Depth=1
	v_clz_i32_u32_e32 v6, v66
	s_delay_alu instid0(VALU_DEP_1) | instskip(NEXT) | instid1(VALU_DEP_1)
	v_min_u32_e32 v6, 32, v6
	v_subrev_nc_u32_e32 v7, 28, v6
	s_delay_alu instid0(VALU_DEP_1) | instskip(NEXT) | instid1(VALU_DEP_1)
	v_lshlrev_b64_e32 v[8:9], v7, v[66:67]
	v_dual_sub_nc_u32 v6, 29, v6 :: v_dual_bitop2_b32 v86, 7, v8 bitop3:0x40
; %bb.294:                              ;   in Loop: Header=BB329_12 Depth=1
	s_or_b32 exec_lo, exec_lo, s21
	s_delay_alu instid0(VALU_DEP_1) | instskip(NEXT) | instid1(VALU_DEP_2)
	v_dual_lshlrev_b32 v1, 24, v1 :: v_dual_lshlrev_b32 v7, 20, v86
	v_lshl_add_u32 v6, v6, 23, 0x3c000000
	s_delay_alu instid0(VALU_DEP_2) | instskip(NEXT) | instid1(VALU_DEP_1)
	v_and_b32_e32 v1, 0x80000000, v1
	v_or3_b32 v109, v7, v1, v6
.LBB329_295:                            ;   in Loop: Header=BB329_12 Depth=1
	s_or_b32 exec_lo, exec_lo, s20
.LBB329_296:                            ;   in Loop: Header=BB329_12 Depth=1
	s_delay_alu instid0(SALU_CYCLE_1)
	s_or_b32 exec_lo, exec_lo, s19
.LBB329_297:                            ;   in Loop: Header=BB329_12 Depth=1
	s_delay_alu instid0(SALU_CYCLE_1) | instskip(NEXT) | instid1(SALU_CYCLE_1)
	s_or_b32 exec_lo, exec_lo, s18
	s_mov_b32 s18, exec_lo
	v_cmpx_lt_u32_e32 0xffffff, v0
	s_cbranch_execz .LBB329_305
; %bb.298:                              ;   in Loop: Header=BB329_12 Depth=1
	v_lshrrev_b32_e32 v1, 24, v0
	v_bfrev_b32_e32 v106, 1
	s_mov_b32 s19, exec_lo
	s_delay_alu instid0(VALU_DEP_2)
	v_cmpx_ne_u32_e32 0x80, v1
	s_cbranch_execz .LBB329_304
; %bb.299:                              ;   in Loop: Header=BB329_12 Depth=1
	v_bfe_u32 v6, v0, 24, 7
	v_mov_b32_e32 v106, 0x7f800001
	s_mov_b32 s20, exec_lo
	s_delay_alu instid0(VALU_DEP_2)
	v_cmpx_ne_u32_e32 0x7f, v6
	s_cbranch_execz .LBB329_303
; %bb.300:                              ;   in Loop: Header=BB329_12 Depth=1
	v_dual_lshrrev_b32 v0, 3, v6 :: v_dual_bitop2_b32 v66, 7, v1 bitop3:0x40
	s_mov_b32 s21, exec_lo
	s_delay_alu instid0(VALU_DEP_1)
	v_mov_b64_e32 v[86:87], v[66:67]
	v_cmpx_gt_u32_e32 8, v6
; %bb.301:                              ;   in Loop: Header=BB329_12 Depth=1
	v_clz_i32_u32_e32 v0, v66
	s_delay_alu instid0(VALU_DEP_1) | instskip(NEXT) | instid1(VALU_DEP_1)
	v_min_u32_e32 v0, 32, v0
	v_subrev_nc_u32_e32 v6, 28, v0
	s_delay_alu instid0(VALU_DEP_1) | instskip(NEXT) | instid1(VALU_DEP_1)
	v_lshlrev_b64_e32 v[6:7], v6, v[66:67]
	v_dual_sub_nc_u32 v0, 29, v0 :: v_dual_bitop2_b32 v86, 7, v6 bitop3:0x40
; %bb.302:                              ;   in Loop: Header=BB329_12 Depth=1
	s_or_b32 exec_lo, exec_lo, s21
	s_delay_alu instid0(VALU_DEP_1) | instskip(NEXT) | instid1(VALU_DEP_2)
	v_dual_lshlrev_b32 v1, 24, v1 :: v_dual_lshlrev_b32 v6, 20, v86
	v_lshl_add_u32 v0, v0, 23, 0x3c000000
	s_delay_alu instid0(VALU_DEP_2) | instskip(NEXT) | instid1(VALU_DEP_1)
	v_and_b32_e32 v1, 0x80000000, v1
	v_or3_b32 v106, v6, v1, v0
.LBB329_303:                            ;   in Loop: Header=BB329_12 Depth=1
	s_or_b32 exec_lo, exec_lo, s20
.LBB329_304:                            ;   in Loop: Header=BB329_12 Depth=1
	s_delay_alu instid0(SALU_CYCLE_1)
	s_or_b32 exec_lo, exec_lo, s19
.LBB329_305:                            ;   in Loop: Header=BB329_12 Depth=1
	s_delay_alu instid0(SALU_CYCLE_1)
	s_or_b32 exec_lo, exec_lo, s18
	flat_load_b32 v0, v[84:85] offset:1032
	v_dual_mov_b32 v111, 0 :: v_dual_mov_b32 v110, 0
	s_mov_b32 s18, exec_lo
	s_wait_loadcnt_dscnt 0x0
	v_and_b32_e32 v1, 0xff, v0
	s_wait_xcnt 0x0
	s_delay_alu instid0(VALU_DEP_1)
	v_cmpx_ne_u16_e32 0, v1
	s_cbranch_execz .LBB329_313
; %bb.306:                              ;   in Loop: Header=BB329_12 Depth=1
	v_bfrev_b32_e32 v110, 1
	s_mov_b32 s19, exec_lo
	v_cmpx_ne_u16_e32 0x80, v1
	s_cbranch_execz .LBB329_312
; %bb.307:                              ;   in Loop: Header=BB329_12 Depth=1
	v_and_b32_e32 v6, 0x7f, v0
	v_mov_b32_e32 v110, 0x7f800001
	s_mov_b32 s20, exec_lo
	s_delay_alu instid0(VALU_DEP_2)
	v_cmpx_ne_u32_e32 0x7f, v6
	s_cbranch_execz .LBB329_311
; %bb.308:                              ;   in Loop: Header=BB329_12 Depth=1
	v_dual_lshrrev_b32 v1, 3, v6 :: v_dual_bitop2_b32 v66, 7, v0 bitop3:0x40
	s_mov_b32 s21, exec_lo
	s_delay_alu instid0(VALU_DEP_1)
	v_mov_b64_e32 v[86:87], v[66:67]
	v_cmpx_gt_u32_e32 8, v6
; %bb.309:                              ;   in Loop: Header=BB329_12 Depth=1
	v_clz_i32_u32_e32 v1, v66
	s_delay_alu instid0(VALU_DEP_1) | instskip(NEXT) | instid1(VALU_DEP_1)
	v_min_u32_e32 v1, 32, v1
	v_subrev_nc_u32_e32 v6, 28, v1
	s_delay_alu instid0(VALU_DEP_1) | instskip(NEXT) | instid1(VALU_DEP_1)
	v_lshlrev_b64_e32 v[6:7], v6, v[66:67]
	v_dual_sub_nc_u32 v1, 29, v1 :: v_dual_bitop2_b32 v86, 7, v6 bitop3:0x40
; %bb.310:                              ;   in Loop: Header=BB329_12 Depth=1
	s_or_b32 exec_lo, exec_lo, s21
	s_delay_alu instid0(VALU_DEP_1) | instskip(NEXT) | instid1(VALU_DEP_2)
	v_dual_lshlrev_b32 v6, 24, v0 :: v_dual_lshlrev_b32 v7, 20, v86
	v_lshl_add_u32 v1, v1, 23, 0x3c000000
	s_delay_alu instid0(VALU_DEP_2) | instskip(NEXT) | instid1(VALU_DEP_1)
	v_and_b32_e32 v6, 0x80000000, v6
	v_or3_b32 v110, v7, v6, v1
.LBB329_311:                            ;   in Loop: Header=BB329_12 Depth=1
	s_or_b32 exec_lo, exec_lo, s20
.LBB329_312:                            ;   in Loop: Header=BB329_12 Depth=1
	s_delay_alu instid0(SALU_CYCLE_1)
	s_or_b32 exec_lo, exec_lo, s19
.LBB329_313:                            ;   in Loop: Header=BB329_12 Depth=1
	s_delay_alu instid0(SALU_CYCLE_1) | instskip(SKIP_2) | instid1(VALU_DEP_1)
	s_or_b32 exec_lo, exec_lo, s18
	v_lshrrev_b16 v1, 8, v0
	s_mov_b32 s18, exec_lo
	v_cmpx_ne_u16_e32 0, v1
	s_cbranch_execz .LBB329_321
; %bb.314:                              ;   in Loop: Header=BB329_12 Depth=1
	v_bfrev_b32_e32 v111, 1
	s_mov_b32 s19, exec_lo
	v_cmpx_ne_u16_e32 0x80, v1
	s_cbranch_execz .LBB329_320
; %bb.315:                              ;   in Loop: Header=BB329_12 Depth=1
	v_and_b32_e32 v1, 0xffff, v1
	v_mov_b32_e32 v111, 0x7f800001
	s_mov_b32 s20, exec_lo
	s_delay_alu instid0(VALU_DEP_2) | instskip(NEXT) | instid1(VALU_DEP_1)
	v_and_b32_e32 v6, 0x7f, v1
	v_cmpx_ne_u32_e32 0x7f, v6
	s_cbranch_execz .LBB329_319
; %bb.316:                              ;   in Loop: Header=BB329_12 Depth=1
	v_dual_lshrrev_b32 v1, 3, v6 :: v_dual_bitop2_b32 v66, 7, v1 bitop3:0x40
	s_mov_b32 s21, exec_lo
	s_delay_alu instid0(VALU_DEP_1)
	v_mov_b64_e32 v[86:87], v[66:67]
	v_cmpx_gt_u32_e32 8, v6
; %bb.317:                              ;   in Loop: Header=BB329_12 Depth=1
	v_clz_i32_u32_e32 v1, v66
	s_delay_alu instid0(VALU_DEP_1) | instskip(NEXT) | instid1(VALU_DEP_1)
	v_min_u32_e32 v1, 32, v1
	v_subrev_nc_u32_e32 v6, 28, v1
	s_delay_alu instid0(VALU_DEP_1) | instskip(NEXT) | instid1(VALU_DEP_1)
	v_lshlrev_b64_e32 v[6:7], v6, v[66:67]
	v_dual_sub_nc_u32 v1, 29, v1 :: v_dual_bitop2_b32 v86, 7, v6 bitop3:0x40
; %bb.318:                              ;   in Loop: Header=BB329_12 Depth=1
	s_or_b32 exec_lo, exec_lo, s21
	s_delay_alu instid0(VALU_DEP_1) | instskip(NEXT) | instid1(VALU_DEP_2)
	v_dual_lshlrev_b32 v6, 16, v0 :: v_dual_lshlrev_b32 v7, 20, v86
	v_lshl_add_u32 v1, v1, 23, 0x3c000000
	s_delay_alu instid0(VALU_DEP_2) | instskip(NEXT) | instid1(VALU_DEP_1)
	v_and_b32_e32 v6, 0x80000000, v6
	v_or3_b32 v111, v7, v6, v1
.LBB329_319:                            ;   in Loop: Header=BB329_12 Depth=1
	s_or_b32 exec_lo, exec_lo, s20
.LBB329_320:                            ;   in Loop: Header=BB329_12 Depth=1
	s_delay_alu instid0(SALU_CYCLE_1)
	s_or_b32 exec_lo, exec_lo, s19
.LBB329_321:                            ;   in Loop: Header=BB329_12 Depth=1
	s_delay_alu instid0(SALU_CYCLE_1) | instskip(SKIP_3) | instid1(VALU_DEP_2)
	s_or_b32 exec_lo, exec_lo, s18
	v_dual_mov_b32 v120, 0 :: v_dual_lshrrev_b32 v1, 16, v0
	v_mov_b32_e32 v121, 0
	s_mov_b32 s18, exec_lo
	v_and_b32_e32 v6, 0xff, v1
	s_delay_alu instid0(VALU_DEP_1)
	v_cmpx_ne_u16_e32 0, v6
	s_cbranch_execz .LBB329_329
; %bb.322:                              ;   in Loop: Header=BB329_12 Depth=1
	v_bfrev_b32_e32 v121, 1
	s_mov_b32 s19, exec_lo
	v_cmpx_ne_u16_e32 0x80, v6
	s_cbranch_execz .LBB329_328
; %bb.323:                              ;   in Loop: Header=BB329_12 Depth=1
	v_bfe_u32 v7, v0, 16, 7
	v_mov_b32_e32 v121, 0x7f800001
	s_mov_b32 s20, exec_lo
	s_delay_alu instid0(VALU_DEP_2)
	v_cmpx_ne_u32_e32 0x7f, v7
	s_cbranch_execz .LBB329_327
; %bb.324:                              ;   in Loop: Header=BB329_12 Depth=1
	v_dual_lshrrev_b32 v6, 3, v7 :: v_dual_bitop2_b32 v66, 7, v1 bitop3:0x40
	s_mov_b32 s21, exec_lo
	s_delay_alu instid0(VALU_DEP_1)
	v_mov_b64_e32 v[86:87], v[66:67]
	v_cmpx_gt_u32_e32 8, v7
; %bb.325:                              ;   in Loop: Header=BB329_12 Depth=1
	v_clz_i32_u32_e32 v6, v66
	s_delay_alu instid0(VALU_DEP_1) | instskip(NEXT) | instid1(VALU_DEP_1)
	v_min_u32_e32 v6, 32, v6
	v_subrev_nc_u32_e32 v7, 28, v6
	s_delay_alu instid0(VALU_DEP_1) | instskip(NEXT) | instid1(VALU_DEP_1)
	v_lshlrev_b64_e32 v[8:9], v7, v[66:67]
	v_dual_sub_nc_u32 v6, 29, v6 :: v_dual_bitop2_b32 v86, 7, v8 bitop3:0x40
; %bb.326:                              ;   in Loop: Header=BB329_12 Depth=1
	s_or_b32 exec_lo, exec_lo, s21
	s_delay_alu instid0(VALU_DEP_1) | instskip(NEXT) | instid1(VALU_DEP_2)
	v_dual_lshlrev_b32 v1, 24, v1 :: v_dual_lshlrev_b32 v7, 20, v86
	v_lshl_add_u32 v6, v6, 23, 0x3c000000
	s_delay_alu instid0(VALU_DEP_2) | instskip(NEXT) | instid1(VALU_DEP_1)
	v_and_b32_e32 v1, 0x80000000, v1
	v_or3_b32 v121, v7, v1, v6
.LBB329_327:                            ;   in Loop: Header=BB329_12 Depth=1
	s_or_b32 exec_lo, exec_lo, s20
.LBB329_328:                            ;   in Loop: Header=BB329_12 Depth=1
	s_delay_alu instid0(SALU_CYCLE_1)
	s_or_b32 exec_lo, exec_lo, s19
.LBB329_329:                            ;   in Loop: Header=BB329_12 Depth=1
	s_delay_alu instid0(SALU_CYCLE_1) | instskip(NEXT) | instid1(SALU_CYCLE_1)
	s_or_b32 exec_lo, exec_lo, s18
	s_mov_b32 s18, exec_lo
	v_cmpx_lt_u32_e32 0xffffff, v0
	s_cbranch_execz .LBB329_337
; %bb.330:                              ;   in Loop: Header=BB329_12 Depth=1
	v_lshrrev_b32_e32 v1, 24, v0
	v_bfrev_b32_e32 v120, 1
	s_mov_b32 s19, exec_lo
	s_delay_alu instid0(VALU_DEP_2)
	v_cmpx_ne_u32_e32 0x80, v1
	s_cbranch_execz .LBB329_336
; %bb.331:                              ;   in Loop: Header=BB329_12 Depth=1
	v_bfe_u32 v6, v0, 24, 7
	v_mov_b32_e32 v120, 0x7f800001
	s_mov_b32 s20, exec_lo
	s_delay_alu instid0(VALU_DEP_2)
	v_cmpx_ne_u32_e32 0x7f, v6
	s_cbranch_execz .LBB329_335
; %bb.332:                              ;   in Loop: Header=BB329_12 Depth=1
	v_dual_lshrrev_b32 v0, 3, v6 :: v_dual_bitop2_b32 v66, 7, v1 bitop3:0x40
	s_mov_b32 s21, exec_lo
	s_delay_alu instid0(VALU_DEP_1)
	v_mov_b64_e32 v[86:87], v[66:67]
	v_cmpx_gt_u32_e32 8, v6
; %bb.333:                              ;   in Loop: Header=BB329_12 Depth=1
	v_clz_i32_u32_e32 v0, v66
	s_delay_alu instid0(VALU_DEP_1) | instskip(NEXT) | instid1(VALU_DEP_1)
	v_min_u32_e32 v0, 32, v0
	v_subrev_nc_u32_e32 v6, 28, v0
	s_delay_alu instid0(VALU_DEP_1) | instskip(NEXT) | instid1(VALU_DEP_1)
	v_lshlrev_b64_e32 v[6:7], v6, v[66:67]
	v_dual_sub_nc_u32 v0, 29, v0 :: v_dual_bitop2_b32 v86, 7, v6 bitop3:0x40
; %bb.334:                              ;   in Loop: Header=BB329_12 Depth=1
	s_or_b32 exec_lo, exec_lo, s21
	s_delay_alu instid0(VALU_DEP_1) | instskip(NEXT) | instid1(VALU_DEP_2)
	v_dual_lshlrev_b32 v1, 24, v1 :: v_dual_lshlrev_b32 v6, 20, v86
	v_lshl_add_u32 v0, v0, 23, 0x3c000000
	s_delay_alu instid0(VALU_DEP_2) | instskip(NEXT) | instid1(VALU_DEP_1)
	v_and_b32_e32 v1, 0x80000000, v1
	v_or3_b32 v120, v6, v1, v0
.LBB329_335:                            ;   in Loop: Header=BB329_12 Depth=1
	s_or_b32 exec_lo, exec_lo, s20
.LBB329_336:                            ;   in Loop: Header=BB329_12 Depth=1
	s_delay_alu instid0(SALU_CYCLE_1)
	s_or_b32 exec_lo, exec_lo, s19
.LBB329_337:                            ;   in Loop: Header=BB329_12 Depth=1
	s_delay_alu instid0(SALU_CYCLE_1)
	s_or_b32 exec_lo, exec_lo, s18
	flat_load_b32 v0, v[84:85] offset:1280
	v_dual_mov_b32 v124, 0 :: v_dual_mov_b32 v123, 0
	s_mov_b32 s18, exec_lo
	s_wait_loadcnt_dscnt 0x0
	v_and_b32_e32 v1, 0xff, v0
	s_wait_xcnt 0x0
	s_delay_alu instid0(VALU_DEP_1)
	v_cmpx_ne_u16_e32 0, v1
	s_cbranch_execz .LBB329_345
; %bb.338:                              ;   in Loop: Header=BB329_12 Depth=1
	v_bfrev_b32_e32 v123, 1
	s_mov_b32 s19, exec_lo
	v_cmpx_ne_u16_e32 0x80, v1
	s_cbranch_execz .LBB329_344
; %bb.339:                              ;   in Loop: Header=BB329_12 Depth=1
	v_and_b32_e32 v6, 0x7f, v0
	v_mov_b32_e32 v123, 0x7f800001
	s_mov_b32 s20, exec_lo
	s_delay_alu instid0(VALU_DEP_2)
	v_cmpx_ne_u32_e32 0x7f, v6
	s_cbranch_execz .LBB329_343
; %bb.340:                              ;   in Loop: Header=BB329_12 Depth=1
	v_dual_lshrrev_b32 v1, 3, v6 :: v_dual_bitop2_b32 v66, 7, v0 bitop3:0x40
	s_mov_b32 s21, exec_lo
	s_delay_alu instid0(VALU_DEP_1)
	v_mov_b64_e32 v[86:87], v[66:67]
	v_cmpx_gt_u32_e32 8, v6
; %bb.341:                              ;   in Loop: Header=BB329_12 Depth=1
	v_clz_i32_u32_e32 v1, v66
	s_delay_alu instid0(VALU_DEP_1) | instskip(NEXT) | instid1(VALU_DEP_1)
	v_min_u32_e32 v1, 32, v1
	v_subrev_nc_u32_e32 v6, 28, v1
	s_delay_alu instid0(VALU_DEP_1) | instskip(NEXT) | instid1(VALU_DEP_1)
	v_lshlrev_b64_e32 v[6:7], v6, v[66:67]
	v_dual_sub_nc_u32 v1, 29, v1 :: v_dual_bitop2_b32 v86, 7, v6 bitop3:0x40
; %bb.342:                              ;   in Loop: Header=BB329_12 Depth=1
	s_or_b32 exec_lo, exec_lo, s21
	s_delay_alu instid0(VALU_DEP_1) | instskip(NEXT) | instid1(VALU_DEP_2)
	v_dual_lshlrev_b32 v6, 24, v0 :: v_dual_lshlrev_b32 v7, 20, v86
	v_lshl_add_u32 v1, v1, 23, 0x3c000000
	s_delay_alu instid0(VALU_DEP_2) | instskip(NEXT) | instid1(VALU_DEP_1)
	v_and_b32_e32 v6, 0x80000000, v6
	v_or3_b32 v123, v7, v6, v1
.LBB329_343:                            ;   in Loop: Header=BB329_12 Depth=1
	s_or_b32 exec_lo, exec_lo, s20
.LBB329_344:                            ;   in Loop: Header=BB329_12 Depth=1
	s_delay_alu instid0(SALU_CYCLE_1)
	s_or_b32 exec_lo, exec_lo, s19
.LBB329_345:                            ;   in Loop: Header=BB329_12 Depth=1
	s_delay_alu instid0(SALU_CYCLE_1) | instskip(SKIP_2) | instid1(VALU_DEP_1)
	s_or_b32 exec_lo, exec_lo, s18
	v_lshrrev_b16 v1, 8, v0
	s_mov_b32 s18, exec_lo
	v_cmpx_ne_u16_e32 0, v1
	s_cbranch_execz .LBB329_353
; %bb.346:                              ;   in Loop: Header=BB329_12 Depth=1
	v_bfrev_b32_e32 v124, 1
	s_mov_b32 s19, exec_lo
	v_cmpx_ne_u16_e32 0x80, v1
	s_cbranch_execz .LBB329_352
; %bb.347:                              ;   in Loop: Header=BB329_12 Depth=1
	v_and_b32_e32 v1, 0xffff, v1
	v_mov_b32_e32 v124, 0x7f800001
	s_mov_b32 s20, exec_lo
	s_delay_alu instid0(VALU_DEP_2) | instskip(NEXT) | instid1(VALU_DEP_1)
	v_and_b32_e32 v6, 0x7f, v1
	v_cmpx_ne_u32_e32 0x7f, v6
	s_cbranch_execz .LBB329_351
; %bb.348:                              ;   in Loop: Header=BB329_12 Depth=1
	v_dual_lshrrev_b32 v1, 3, v6 :: v_dual_bitop2_b32 v66, 7, v1 bitop3:0x40
	s_mov_b32 s21, exec_lo
	s_delay_alu instid0(VALU_DEP_1)
	v_mov_b64_e32 v[86:87], v[66:67]
	v_cmpx_gt_u32_e32 8, v6
; %bb.349:                              ;   in Loop: Header=BB329_12 Depth=1
	v_clz_i32_u32_e32 v1, v66
	s_delay_alu instid0(VALU_DEP_1) | instskip(NEXT) | instid1(VALU_DEP_1)
	v_min_u32_e32 v1, 32, v1
	v_subrev_nc_u32_e32 v6, 28, v1
	s_delay_alu instid0(VALU_DEP_1) | instskip(NEXT) | instid1(VALU_DEP_1)
	v_lshlrev_b64_e32 v[6:7], v6, v[66:67]
	v_dual_sub_nc_u32 v1, 29, v1 :: v_dual_bitop2_b32 v86, 7, v6 bitop3:0x40
; %bb.350:                              ;   in Loop: Header=BB329_12 Depth=1
	s_or_b32 exec_lo, exec_lo, s21
	s_delay_alu instid0(VALU_DEP_1) | instskip(NEXT) | instid1(VALU_DEP_2)
	v_dual_lshlrev_b32 v6, 16, v0 :: v_dual_lshlrev_b32 v7, 20, v86
	v_lshl_add_u32 v1, v1, 23, 0x3c000000
	s_delay_alu instid0(VALU_DEP_2) | instskip(NEXT) | instid1(VALU_DEP_1)
	v_and_b32_e32 v6, 0x80000000, v6
	v_or3_b32 v124, v7, v6, v1
.LBB329_351:                            ;   in Loop: Header=BB329_12 Depth=1
	s_or_b32 exec_lo, exec_lo, s20
.LBB329_352:                            ;   in Loop: Header=BB329_12 Depth=1
	s_delay_alu instid0(SALU_CYCLE_1)
	s_or_b32 exec_lo, exec_lo, s19
.LBB329_353:                            ;   in Loop: Header=BB329_12 Depth=1
	s_delay_alu instid0(SALU_CYCLE_1) | instskip(SKIP_3) | instid1(VALU_DEP_2)
	s_or_b32 exec_lo, exec_lo, s18
	v_dual_mov_b32 v122, 0 :: v_dual_lshrrev_b32 v1, 16, v0
	v_mov_b32_e32 v125, 0
	s_mov_b32 s18, exec_lo
	v_and_b32_e32 v6, 0xff, v1
	s_delay_alu instid0(VALU_DEP_1)
	v_cmpx_ne_u16_e32 0, v6
	s_cbranch_execz .LBB329_361
; %bb.354:                              ;   in Loop: Header=BB329_12 Depth=1
	v_bfrev_b32_e32 v125, 1
	s_mov_b32 s19, exec_lo
	v_cmpx_ne_u16_e32 0x80, v6
	s_cbranch_execz .LBB329_360
; %bb.355:                              ;   in Loop: Header=BB329_12 Depth=1
	v_bfe_u32 v7, v0, 16, 7
	v_mov_b32_e32 v125, 0x7f800001
	s_mov_b32 s20, exec_lo
	s_delay_alu instid0(VALU_DEP_2)
	v_cmpx_ne_u32_e32 0x7f, v7
	s_cbranch_execz .LBB329_359
; %bb.356:                              ;   in Loop: Header=BB329_12 Depth=1
	v_dual_lshrrev_b32 v6, 3, v7 :: v_dual_bitop2_b32 v66, 7, v1 bitop3:0x40
	s_mov_b32 s21, exec_lo
	s_delay_alu instid0(VALU_DEP_1)
	v_mov_b64_e32 v[86:87], v[66:67]
	v_cmpx_gt_u32_e32 8, v7
; %bb.357:                              ;   in Loop: Header=BB329_12 Depth=1
	v_clz_i32_u32_e32 v6, v66
	s_delay_alu instid0(VALU_DEP_1) | instskip(NEXT) | instid1(VALU_DEP_1)
	v_min_u32_e32 v6, 32, v6
	v_subrev_nc_u32_e32 v7, 28, v6
	s_delay_alu instid0(VALU_DEP_1) | instskip(NEXT) | instid1(VALU_DEP_1)
	v_lshlrev_b64_e32 v[8:9], v7, v[66:67]
	v_dual_sub_nc_u32 v6, 29, v6 :: v_dual_bitop2_b32 v86, 7, v8 bitop3:0x40
; %bb.358:                              ;   in Loop: Header=BB329_12 Depth=1
	s_or_b32 exec_lo, exec_lo, s21
	s_delay_alu instid0(VALU_DEP_1) | instskip(NEXT) | instid1(VALU_DEP_2)
	v_dual_lshlrev_b32 v1, 24, v1 :: v_dual_lshlrev_b32 v7, 20, v86
	v_lshl_add_u32 v6, v6, 23, 0x3c000000
	s_delay_alu instid0(VALU_DEP_2) | instskip(NEXT) | instid1(VALU_DEP_1)
	v_and_b32_e32 v1, 0x80000000, v1
	v_or3_b32 v125, v7, v1, v6
.LBB329_359:                            ;   in Loop: Header=BB329_12 Depth=1
	s_or_b32 exec_lo, exec_lo, s20
.LBB329_360:                            ;   in Loop: Header=BB329_12 Depth=1
	s_delay_alu instid0(SALU_CYCLE_1)
	s_or_b32 exec_lo, exec_lo, s19
.LBB329_361:                            ;   in Loop: Header=BB329_12 Depth=1
	s_delay_alu instid0(SALU_CYCLE_1) | instskip(NEXT) | instid1(SALU_CYCLE_1)
	s_or_b32 exec_lo, exec_lo, s18
	s_mov_b32 s18, exec_lo
	v_cmpx_lt_u32_e32 0xffffff, v0
	s_cbranch_execz .LBB329_369
; %bb.362:                              ;   in Loop: Header=BB329_12 Depth=1
	v_lshrrev_b32_e32 v1, 24, v0
	v_bfrev_b32_e32 v122, 1
	s_mov_b32 s19, exec_lo
	s_delay_alu instid0(VALU_DEP_2)
	v_cmpx_ne_u32_e32 0x80, v1
	s_cbranch_execz .LBB329_368
; %bb.363:                              ;   in Loop: Header=BB329_12 Depth=1
	v_bfe_u32 v6, v0, 24, 7
	v_mov_b32_e32 v122, 0x7f800001
	s_mov_b32 s20, exec_lo
	s_delay_alu instid0(VALU_DEP_2)
	v_cmpx_ne_u32_e32 0x7f, v6
	s_cbranch_execz .LBB329_367
; %bb.364:                              ;   in Loop: Header=BB329_12 Depth=1
	v_dual_lshrrev_b32 v0, 3, v6 :: v_dual_bitop2_b32 v66, 7, v1 bitop3:0x40
	s_mov_b32 s21, exec_lo
	s_delay_alu instid0(VALU_DEP_1)
	v_mov_b64_e32 v[86:87], v[66:67]
	v_cmpx_gt_u32_e32 8, v6
; %bb.365:                              ;   in Loop: Header=BB329_12 Depth=1
	v_clz_i32_u32_e32 v0, v66
	s_delay_alu instid0(VALU_DEP_1) | instskip(NEXT) | instid1(VALU_DEP_1)
	v_min_u32_e32 v0, 32, v0
	v_subrev_nc_u32_e32 v6, 28, v0
	s_delay_alu instid0(VALU_DEP_1) | instskip(NEXT) | instid1(VALU_DEP_1)
	v_lshlrev_b64_e32 v[6:7], v6, v[66:67]
	v_dual_sub_nc_u32 v0, 29, v0 :: v_dual_bitop2_b32 v86, 7, v6 bitop3:0x40
; %bb.366:                              ;   in Loop: Header=BB329_12 Depth=1
	s_or_b32 exec_lo, exec_lo, s21
	s_delay_alu instid0(VALU_DEP_1) | instskip(NEXT) | instid1(VALU_DEP_2)
	v_dual_lshlrev_b32 v1, 24, v1 :: v_dual_lshlrev_b32 v6, 20, v86
	v_lshl_add_u32 v0, v0, 23, 0x3c000000
	s_delay_alu instid0(VALU_DEP_2) | instskip(NEXT) | instid1(VALU_DEP_1)
	v_and_b32_e32 v1, 0x80000000, v1
	v_or3_b32 v122, v6, v1, v0
.LBB329_367:                            ;   in Loop: Header=BB329_12 Depth=1
	s_or_b32 exec_lo, exec_lo, s20
.LBB329_368:                            ;   in Loop: Header=BB329_12 Depth=1
	s_delay_alu instid0(SALU_CYCLE_1)
	s_or_b32 exec_lo, exec_lo, s19
.LBB329_369:                            ;   in Loop: Header=BB329_12 Depth=1
	s_delay_alu instid0(SALU_CYCLE_1)
	s_or_b32 exec_lo, exec_lo, s18
	flat_load_b32 v0, v[84:85] offset:1288
	v_dual_mov_b32 v127, 0 :: v_dual_mov_b32 v126, 0
	s_mov_b32 s18, exec_lo
	s_wait_loadcnt_dscnt 0x0
	v_and_b32_e32 v1, 0xff, v0
	s_wait_xcnt 0x0
	s_delay_alu instid0(VALU_DEP_1)
	v_cmpx_ne_u16_e32 0, v1
	s_cbranch_execz .LBB329_377
; %bb.370:                              ;   in Loop: Header=BB329_12 Depth=1
	v_bfrev_b32_e32 v126, 1
	s_mov_b32 s19, exec_lo
	v_cmpx_ne_u16_e32 0x80, v1
	s_cbranch_execz .LBB329_376
; %bb.371:                              ;   in Loop: Header=BB329_12 Depth=1
	v_and_b32_e32 v6, 0x7f, v0
	v_mov_b32_e32 v126, 0x7f800001
	s_mov_b32 s20, exec_lo
	s_delay_alu instid0(VALU_DEP_2)
	v_cmpx_ne_u32_e32 0x7f, v6
	s_cbranch_execz .LBB329_375
; %bb.372:                              ;   in Loop: Header=BB329_12 Depth=1
	v_dual_lshrrev_b32 v1, 3, v6 :: v_dual_bitop2_b32 v66, 7, v0 bitop3:0x40
	s_mov_b32 s21, exec_lo
	s_delay_alu instid0(VALU_DEP_1)
	v_mov_b64_e32 v[86:87], v[66:67]
	v_cmpx_gt_u32_e32 8, v6
; %bb.373:                              ;   in Loop: Header=BB329_12 Depth=1
	v_clz_i32_u32_e32 v1, v66
	s_delay_alu instid0(VALU_DEP_1) | instskip(NEXT) | instid1(VALU_DEP_1)
	v_min_u32_e32 v1, 32, v1
	v_subrev_nc_u32_e32 v6, 28, v1
	s_delay_alu instid0(VALU_DEP_1) | instskip(NEXT) | instid1(VALU_DEP_1)
	v_lshlrev_b64_e32 v[6:7], v6, v[66:67]
	v_dual_sub_nc_u32 v1, 29, v1 :: v_dual_bitop2_b32 v86, 7, v6 bitop3:0x40
; %bb.374:                              ;   in Loop: Header=BB329_12 Depth=1
	s_or_b32 exec_lo, exec_lo, s21
	s_delay_alu instid0(VALU_DEP_1) | instskip(NEXT) | instid1(VALU_DEP_2)
	v_dual_lshlrev_b32 v6, 24, v0 :: v_dual_lshlrev_b32 v7, 20, v86
	v_lshl_add_u32 v1, v1, 23, 0x3c000000
	s_delay_alu instid0(VALU_DEP_2) | instskip(NEXT) | instid1(VALU_DEP_1)
	v_and_b32_e32 v6, 0x80000000, v6
	v_or3_b32 v126, v7, v6, v1
.LBB329_375:                            ;   in Loop: Header=BB329_12 Depth=1
	s_or_b32 exec_lo, exec_lo, s20
.LBB329_376:                            ;   in Loop: Header=BB329_12 Depth=1
	s_delay_alu instid0(SALU_CYCLE_1)
	s_or_b32 exec_lo, exec_lo, s19
.LBB329_377:                            ;   in Loop: Header=BB329_12 Depth=1
	s_delay_alu instid0(SALU_CYCLE_1) | instskip(SKIP_2) | instid1(VALU_DEP_1)
	s_or_b32 exec_lo, exec_lo, s18
	v_lshrrev_b16 v1, 8, v0
	s_mov_b32 s18, exec_lo
	v_cmpx_ne_u16_e32 0, v1
	s_cbranch_execz .LBB329_385
; %bb.378:                              ;   in Loop: Header=BB329_12 Depth=1
	v_bfrev_b32_e32 v127, 1
	s_mov_b32 s19, exec_lo
	v_cmpx_ne_u16_e32 0x80, v1
	s_cbranch_execz .LBB329_384
; %bb.379:                              ;   in Loop: Header=BB329_12 Depth=1
	v_and_b32_e32 v1, 0xffff, v1
	v_mov_b32_e32 v127, 0x7f800001
	s_mov_b32 s20, exec_lo
	s_delay_alu instid0(VALU_DEP_2) | instskip(NEXT) | instid1(VALU_DEP_1)
	v_and_b32_e32 v6, 0x7f, v1
	v_cmpx_ne_u32_e32 0x7f, v6
	s_cbranch_execz .LBB329_383
; %bb.380:                              ;   in Loop: Header=BB329_12 Depth=1
	v_dual_lshrrev_b32 v1, 3, v6 :: v_dual_bitop2_b32 v66, 7, v1 bitop3:0x40
	s_mov_b32 s21, exec_lo
	s_delay_alu instid0(VALU_DEP_1)
	v_mov_b64_e32 v[86:87], v[66:67]
	v_cmpx_gt_u32_e32 8, v6
; %bb.381:                              ;   in Loop: Header=BB329_12 Depth=1
	v_clz_i32_u32_e32 v1, v66
	s_delay_alu instid0(VALU_DEP_1) | instskip(NEXT) | instid1(VALU_DEP_1)
	v_min_u32_e32 v1, 32, v1
	v_subrev_nc_u32_e32 v6, 28, v1
	s_delay_alu instid0(VALU_DEP_1) | instskip(NEXT) | instid1(VALU_DEP_1)
	v_lshlrev_b64_e32 v[6:7], v6, v[66:67]
	v_dual_sub_nc_u32 v1, 29, v1 :: v_dual_bitop2_b32 v86, 7, v6 bitop3:0x40
; %bb.382:                              ;   in Loop: Header=BB329_12 Depth=1
	s_or_b32 exec_lo, exec_lo, s21
	s_delay_alu instid0(VALU_DEP_1) | instskip(NEXT) | instid1(VALU_DEP_2)
	v_dual_lshlrev_b32 v6, 16, v0 :: v_dual_lshlrev_b32 v7, 20, v86
	v_lshl_add_u32 v1, v1, 23, 0x3c000000
	s_delay_alu instid0(VALU_DEP_2) | instskip(NEXT) | instid1(VALU_DEP_1)
	v_and_b32_e32 v6, 0x80000000, v6
	v_or3_b32 v127, v7, v6, v1
.LBB329_383:                            ;   in Loop: Header=BB329_12 Depth=1
	s_or_b32 exec_lo, exec_lo, s20
.LBB329_384:                            ;   in Loop: Header=BB329_12 Depth=1
	s_delay_alu instid0(SALU_CYCLE_1)
	s_or_b32 exec_lo, exec_lo, s19
.LBB329_385:                            ;   in Loop: Header=BB329_12 Depth=1
	s_delay_alu instid0(SALU_CYCLE_1) | instskip(SKIP_3) | instid1(VALU_DEP_2)
	s_or_b32 exec_lo, exec_lo, s18
	v_dual_lshrrev_b32 v6, 16, v0 :: v_dual_mov_b32 v98, 0
	v_mov_b32_e32 v1, 0
	s_mov_b32 s18, exec_lo
	v_and_b32_e32 v7, 0xff, v6
	s_delay_alu instid0(VALU_DEP_1)
	v_cmpx_ne_u16_e32 0, v7
	s_cbranch_execz .LBB329_393
; %bb.386:                              ;   in Loop: Header=BB329_12 Depth=1
	v_bfrev_b32_e32 v1, 1
	s_mov_b32 s19, exec_lo
	v_cmpx_ne_u16_e32 0x80, v7
	s_cbranch_execz .LBB329_392
; %bb.387:                              ;   in Loop: Header=BB329_12 Depth=1
	v_bfe_u32 v7, v0, 16, 7
	v_mov_b32_e32 v1, 0x7f800001
	s_mov_b32 s20, exec_lo
	s_delay_alu instid0(VALU_DEP_2)
	v_cmpx_ne_u32_e32 0x7f, v7
	s_cbranch_execz .LBB329_391
; %bb.388:                              ;   in Loop: Header=BB329_12 Depth=1
	v_dual_lshrrev_b32 v1, 3, v7 :: v_dual_bitop2_b32 v66, 7, v6 bitop3:0x40
	s_mov_b32 s21, exec_lo
	s_delay_alu instid0(VALU_DEP_1)
	v_mov_b64_e32 v[86:87], v[66:67]
	v_cmpx_gt_u32_e32 8, v7
; %bb.389:                              ;   in Loop: Header=BB329_12 Depth=1
	v_clz_i32_u32_e32 v1, v66
	s_delay_alu instid0(VALU_DEP_1) | instskip(NEXT) | instid1(VALU_DEP_1)
	v_min_u32_e32 v1, 32, v1
	v_subrev_nc_u32_e32 v7, 28, v1
	s_delay_alu instid0(VALU_DEP_1) | instskip(NEXT) | instid1(VALU_DEP_1)
	v_lshlrev_b64_e32 v[8:9], v7, v[66:67]
	v_dual_sub_nc_u32 v1, 29, v1 :: v_dual_bitop2_b32 v86, 7, v8 bitop3:0x40
; %bb.390:                              ;   in Loop: Header=BB329_12 Depth=1
	s_or_b32 exec_lo, exec_lo, s21
	v_lshlrev_b32_e32 v6, 24, v6
	s_delay_alu instid0(VALU_DEP_2) | instskip(NEXT) | instid1(VALU_DEP_3)
	v_lshlrev_b32_e32 v7, 20, v86
	v_lshl_add_u32 v1, v1, 23, 0x3c000000
	s_delay_alu instid0(VALU_DEP_3) | instskip(NEXT) | instid1(VALU_DEP_1)
	v_and_b32_e32 v6, 0x80000000, v6
	v_or3_b32 v1, v7, v6, v1
.LBB329_391:                            ;   in Loop: Header=BB329_12 Depth=1
	s_or_b32 exec_lo, exec_lo, s20
.LBB329_392:                            ;   in Loop: Header=BB329_12 Depth=1
	s_delay_alu instid0(SALU_CYCLE_1)
	s_or_b32 exec_lo, exec_lo, s19
.LBB329_393:                            ;   in Loop: Header=BB329_12 Depth=1
	s_delay_alu instid0(SALU_CYCLE_1) | instskip(NEXT) | instid1(SALU_CYCLE_1)
	s_or_b32 exec_lo, exec_lo, s18
	s_mov_b32 s18, exec_lo
	v_cmpx_lt_u32_e32 0xffffff, v0
	s_cbranch_execz .LBB329_401
; %bb.394:                              ;   in Loop: Header=BB329_12 Depth=1
	v_lshrrev_b32_e32 v6, 24, v0
	v_bfrev_b32_e32 v98, 1
	s_mov_b32 s19, exec_lo
	s_delay_alu instid0(VALU_DEP_2)
	v_cmpx_ne_u32_e32 0x80, v6
	s_cbranch_execz .LBB329_400
; %bb.395:                              ;   in Loop: Header=BB329_12 Depth=1
	v_bfe_u32 v7, v0, 24, 7
	v_mov_b32_e32 v98, 0x7f800001
	s_mov_b32 s20, exec_lo
	s_delay_alu instid0(VALU_DEP_2)
	v_cmpx_ne_u32_e32 0x7f, v7
	s_cbranch_execz .LBB329_399
; %bb.396:                              ;   in Loop: Header=BB329_12 Depth=1
	v_dual_lshrrev_b32 v0, 3, v7 :: v_dual_bitop2_b32 v66, 7, v6 bitop3:0x40
	s_mov_b32 s21, exec_lo
	s_delay_alu instid0(VALU_DEP_1)
	v_mov_b64_e32 v[86:87], v[66:67]
	v_cmpx_gt_u32_e32 8, v7
; %bb.397:                              ;   in Loop: Header=BB329_12 Depth=1
	v_clz_i32_u32_e32 v0, v66
	s_delay_alu instid0(VALU_DEP_1) | instskip(NEXT) | instid1(VALU_DEP_1)
	v_min_u32_e32 v0, 32, v0
	v_subrev_nc_u32_e32 v7, 28, v0
	v_sub_nc_u32_e32 v0, 29, v0
	s_delay_alu instid0(VALU_DEP_2) | instskip(NEXT) | instid1(VALU_DEP_1)
	v_lshlrev_b64_e32 v[8:9], v7, v[66:67]
	v_and_b32_e32 v86, 7, v8
; %bb.398:                              ;   in Loop: Header=BB329_12 Depth=1
	s_or_b32 exec_lo, exec_lo, s21
	v_lshlrev_b32_e32 v6, 24, v6
	s_delay_alu instid0(VALU_DEP_2) | instskip(SKIP_1) | instid1(VALU_DEP_3)
	v_lshlrev_b32_e32 v7, 20, v86
	v_lshl_add_u32 v0, v0, 23, 0x3c000000
	v_and_b32_e32 v6, 0x80000000, v6
	s_delay_alu instid0(VALU_DEP_1)
	v_or3_b32 v98, v7, v6, v0
.LBB329_399:                            ;   in Loop: Header=BB329_12 Depth=1
	s_or_b32 exec_lo, exec_lo, s20
.LBB329_400:                            ;   in Loop: Header=BB329_12 Depth=1
	s_delay_alu instid0(SALU_CYCLE_1)
	s_or_b32 exec_lo, exec_lo, s19
.LBB329_401:                            ;   in Loop: Header=BB329_12 Depth=1
	s_delay_alu instid0(SALU_CYCLE_1)
	s_or_b32 exec_lo, exec_lo, s18
	flat_load_b32 v6, v[84:85] offset:1536
	v_dual_mov_b32 v96, 0 :: v_dual_mov_b32 v0, 0
	s_mov_b32 s18, exec_lo
	s_wait_loadcnt_dscnt 0x0
	v_and_b32_e32 v7, 0xff, v6
	s_wait_xcnt 0x0
	s_delay_alu instid0(VALU_DEP_1)
	v_cmpx_ne_u16_e32 0, v7
	s_cbranch_execz .LBB329_409
; %bb.402:                              ;   in Loop: Header=BB329_12 Depth=1
	v_bfrev_b32_e32 v0, 1
	s_mov_b32 s19, exec_lo
	v_cmpx_ne_u16_e32 0x80, v7
	s_cbranch_execz .LBB329_408
; %bb.403:                              ;   in Loop: Header=BB329_12 Depth=1
	v_and_b32_e32 v7, 0x7f, v6
	v_mov_b32_e32 v0, 0x7f800001
	s_mov_b32 s20, exec_lo
	s_delay_alu instid0(VALU_DEP_2)
	v_cmpx_ne_u32_e32 0x7f, v7
	s_cbranch_execz .LBB329_407
; %bb.404:                              ;   in Loop: Header=BB329_12 Depth=1
	v_dual_lshrrev_b32 v0, 3, v7 :: v_dual_bitop2_b32 v66, 7, v6 bitop3:0x40
	s_mov_b32 s21, exec_lo
	s_delay_alu instid0(VALU_DEP_1)
	v_mov_b64_e32 v[86:87], v[66:67]
	v_cmpx_gt_u32_e32 8, v7
; %bb.405:                              ;   in Loop: Header=BB329_12 Depth=1
	v_clz_i32_u32_e32 v0, v66
	s_delay_alu instid0(VALU_DEP_1) | instskip(NEXT) | instid1(VALU_DEP_1)
	v_min_u32_e32 v0, 32, v0
	v_subrev_nc_u32_e32 v7, 28, v0
	v_sub_nc_u32_e32 v0, 29, v0
	s_delay_alu instid0(VALU_DEP_2) | instskip(NEXT) | instid1(VALU_DEP_1)
	v_lshlrev_b64_e32 v[8:9], v7, v[66:67]
	v_and_b32_e32 v86, 7, v8
; %bb.406:                              ;   in Loop: Header=BB329_12 Depth=1
	s_or_b32 exec_lo, exec_lo, s21
	v_lshlrev_b32_e32 v7, 24, v6
	s_delay_alu instid0(VALU_DEP_2) | instskip(SKIP_1) | instid1(VALU_DEP_3)
	v_lshlrev_b32_e32 v8, 20, v86
	v_lshl_add_u32 v0, v0, 23, 0x3c000000
	v_and_b32_e32 v7, 0x80000000, v7
	s_delay_alu instid0(VALU_DEP_1)
	v_or3_b32 v0, v8, v7, v0
.LBB329_407:                            ;   in Loop: Header=BB329_12 Depth=1
	s_or_b32 exec_lo, exec_lo, s20
.LBB329_408:                            ;   in Loop: Header=BB329_12 Depth=1
	s_delay_alu instid0(SALU_CYCLE_1)
	s_or_b32 exec_lo, exec_lo, s19
.LBB329_409:                            ;   in Loop: Header=BB329_12 Depth=1
	s_delay_alu instid0(SALU_CYCLE_1) | instskip(SKIP_2) | instid1(VALU_DEP_1)
	s_or_b32 exec_lo, exec_lo, s18
	v_lshrrev_b16 v7, 8, v6
	s_mov_b32 s18, exec_lo
	v_cmpx_ne_u16_e32 0, v7
	s_cbranch_execz .LBB329_417
; %bb.410:                              ;   in Loop: Header=BB329_12 Depth=1
	v_bfrev_b32_e32 v96, 1
	s_mov_b32 s19, exec_lo
	v_cmpx_ne_u16_e32 0x80, v7
	s_cbranch_execz .LBB329_416
; %bb.411:                              ;   in Loop: Header=BB329_12 Depth=1
	v_and_b32_e32 v7, 0xffff, v7
	v_mov_b32_e32 v96, 0x7f800001
	s_mov_b32 s20, exec_lo
	s_delay_alu instid0(VALU_DEP_2) | instskip(NEXT) | instid1(VALU_DEP_1)
	v_and_b32_e32 v8, 0x7f, v7
	v_cmpx_ne_u32_e32 0x7f, v8
	s_cbranch_execz .LBB329_415
; %bb.412:                              ;   in Loop: Header=BB329_12 Depth=1
	v_dual_lshrrev_b32 v7, 3, v8 :: v_dual_bitop2_b32 v66, 7, v7 bitop3:0x40
	s_mov_b32 s21, exec_lo
	s_delay_alu instid0(VALU_DEP_1)
	v_mov_b64_e32 v[86:87], v[66:67]
	v_cmpx_gt_u32_e32 8, v8
; %bb.413:                              ;   in Loop: Header=BB329_12 Depth=1
	v_clz_i32_u32_e32 v7, v66
	s_delay_alu instid0(VALU_DEP_1) | instskip(NEXT) | instid1(VALU_DEP_1)
	v_min_u32_e32 v7, 32, v7
	v_subrev_nc_u32_e32 v8, 28, v7
	s_delay_alu instid0(VALU_DEP_1) | instskip(NEXT) | instid1(VALU_DEP_1)
	v_lshlrev_b64_e32 v[8:9], v8, v[66:67]
	v_dual_sub_nc_u32 v7, 29, v7 :: v_dual_bitop2_b32 v86, 7, v8 bitop3:0x40
; %bb.414:                              ;   in Loop: Header=BB329_12 Depth=1
	s_or_b32 exec_lo, exec_lo, s21
	v_lshlrev_b32_e32 v8, 16, v6
	s_delay_alu instid0(VALU_DEP_2) | instskip(NEXT) | instid1(VALU_DEP_3)
	v_lshlrev_b32_e32 v9, 20, v86
	v_lshl_add_u32 v7, v7, 23, 0x3c000000
	s_delay_alu instid0(VALU_DEP_3) | instskip(NEXT) | instid1(VALU_DEP_1)
	v_and_b32_e32 v8, 0x80000000, v8
	v_or3_b32 v96, v9, v8, v7
.LBB329_415:                            ;   in Loop: Header=BB329_12 Depth=1
	s_or_b32 exec_lo, exec_lo, s20
.LBB329_416:                            ;   in Loop: Header=BB329_12 Depth=1
	s_delay_alu instid0(SALU_CYCLE_1)
	s_or_b32 exec_lo, exec_lo, s19
.LBB329_417:                            ;   in Loop: Header=BB329_12 Depth=1
	s_delay_alu instid0(SALU_CYCLE_1) | instskip(SKIP_3) | instid1(VALU_DEP_2)
	s_or_b32 exec_lo, exec_lo, s18
	v_dual_mov_b32 v8, 0 :: v_dual_lshrrev_b32 v7, 16, v6
	v_mov_b32_e32 v27, 0
	s_mov_b32 s18, exec_lo
	v_and_b32_e32 v9, 0xff, v7
	s_delay_alu instid0(VALU_DEP_1)
	v_cmpx_ne_u16_e32 0, v9
	s_cbranch_execz .LBB329_425
; %bb.418:                              ;   in Loop: Header=BB329_12 Depth=1
	v_bfrev_b32_e32 v27, 1
	s_mov_b32 s19, exec_lo
	v_cmpx_ne_u16_e32 0x80, v9
	s_cbranch_execz .LBB329_424
; %bb.419:                              ;   in Loop: Header=BB329_12 Depth=1
	v_bfe_u32 v10, v6, 16, 7
	v_mov_b32_e32 v27, 0x7f800001
	s_mov_b32 s20, exec_lo
	s_delay_alu instid0(VALU_DEP_2)
	v_cmpx_ne_u32_e32 0x7f, v10
	s_cbranch_execz .LBB329_423
; %bb.420:                              ;   in Loop: Header=BB329_12 Depth=1
	v_dual_lshrrev_b32 v9, 3, v10 :: v_dual_bitop2_b32 v66, 7, v7 bitop3:0x40
	s_mov_b32 s21, exec_lo
	s_delay_alu instid0(VALU_DEP_1)
	v_mov_b64_e32 v[86:87], v[66:67]
	v_cmpx_gt_u32_e32 8, v10
; %bb.421:                              ;   in Loop: Header=BB329_12 Depth=1
	v_clz_i32_u32_e32 v9, v66
	s_delay_alu instid0(VALU_DEP_1) | instskip(NEXT) | instid1(VALU_DEP_1)
	v_min_u32_e32 v9, 32, v9
	v_subrev_nc_u32_e32 v10, 28, v9
	s_delay_alu instid0(VALU_DEP_1) | instskip(NEXT) | instid1(VALU_DEP_1)
	v_lshlrev_b64_e32 v[10:11], v10, v[66:67]
	v_dual_sub_nc_u32 v9, 29, v9 :: v_dual_bitop2_b32 v86, 7, v10 bitop3:0x40
; %bb.422:                              ;   in Loop: Header=BB329_12 Depth=1
	s_or_b32 exec_lo, exec_lo, s21
	s_delay_alu instid0(VALU_DEP_1) | instskip(NEXT) | instid1(VALU_DEP_2)
	v_dual_lshlrev_b32 v7, 24, v7 :: v_dual_lshlrev_b32 v10, 20, v86
	v_lshl_add_u32 v9, v9, 23, 0x3c000000
	s_delay_alu instid0(VALU_DEP_2) | instskip(NEXT) | instid1(VALU_DEP_1)
	v_and_b32_e32 v7, 0x80000000, v7
	v_or3_b32 v27, v10, v7, v9
.LBB329_423:                            ;   in Loop: Header=BB329_12 Depth=1
	s_or_b32 exec_lo, exec_lo, s20
.LBB329_424:                            ;   in Loop: Header=BB329_12 Depth=1
	s_delay_alu instid0(SALU_CYCLE_1)
	s_or_b32 exec_lo, exec_lo, s19
.LBB329_425:                            ;   in Loop: Header=BB329_12 Depth=1
	s_delay_alu instid0(SALU_CYCLE_1) | instskip(NEXT) | instid1(SALU_CYCLE_1)
	s_or_b32 exec_lo, exec_lo, s18
	s_mov_b32 s18, exec_lo
	v_cmpx_lt_u32_e32 0xffffff, v6
	s_cbranch_execz .LBB329_433
; %bb.426:                              ;   in Loop: Header=BB329_12 Depth=1
	v_lshrrev_b32_e32 v7, 24, v6
	v_bfrev_b32_e32 v8, 1
	s_mov_b32 s19, exec_lo
	s_delay_alu instid0(VALU_DEP_2)
	v_cmpx_ne_u32_e32 0x80, v7
	s_cbranch_execz .LBB329_432
; %bb.427:                              ;   in Loop: Header=BB329_12 Depth=1
	v_bfe_u32 v9, v6, 24, 7
	v_mov_b32_e32 v8, 0x7f800001
	s_mov_b32 s20, exec_lo
	s_delay_alu instid0(VALU_DEP_2)
	v_cmpx_ne_u32_e32 0x7f, v9
	s_cbranch_execz .LBB329_431
; %bb.428:                              ;   in Loop: Header=BB329_12 Depth=1
	v_dual_lshrrev_b32 v6, 3, v9 :: v_dual_bitop2_b32 v66, 7, v7 bitop3:0x40
	s_mov_b32 s21, exec_lo
	s_delay_alu instid0(VALU_DEP_1)
	v_mov_b64_e32 v[86:87], v[66:67]
	v_cmpx_gt_u32_e32 8, v9
; %bb.429:                              ;   in Loop: Header=BB329_12 Depth=1
	v_clz_i32_u32_e32 v6, v66
	s_delay_alu instid0(VALU_DEP_1) | instskip(NEXT) | instid1(VALU_DEP_1)
	v_min_u32_e32 v6, 32, v6
	v_subrev_nc_u32_e32 v8, 28, v6
	s_delay_alu instid0(VALU_DEP_1) | instskip(NEXT) | instid1(VALU_DEP_1)
	v_lshlrev_b64_e32 v[8:9], v8, v[66:67]
	v_dual_sub_nc_u32 v6, 29, v6 :: v_dual_bitop2_b32 v86, 7, v8 bitop3:0x40
; %bb.430:                              ;   in Loop: Header=BB329_12 Depth=1
	s_or_b32 exec_lo, exec_lo, s21
	s_delay_alu instid0(VALU_DEP_1) | instskip(NEXT) | instid1(VALU_DEP_2)
	v_dual_lshlrev_b32 v7, 24, v7 :: v_dual_lshlrev_b32 v8, 20, v86
	v_lshl_add_u32 v6, v6, 23, 0x3c000000
	s_delay_alu instid0(VALU_DEP_2) | instskip(NEXT) | instid1(VALU_DEP_1)
	v_and_b32_e32 v7, 0x80000000, v7
	v_or3_b32 v8, v8, v7, v6
.LBB329_431:                            ;   in Loop: Header=BB329_12 Depth=1
	s_or_b32 exec_lo, exec_lo, s20
.LBB329_432:                            ;   in Loop: Header=BB329_12 Depth=1
	s_delay_alu instid0(SALU_CYCLE_1)
	s_or_b32 exec_lo, exec_lo, s19
.LBB329_433:                            ;   in Loop: Header=BB329_12 Depth=1
	s_delay_alu instid0(SALU_CYCLE_1)
	s_or_b32 exec_lo, exec_lo, s18
	flat_load_b32 v6, v[84:85] offset:1544
	v_dual_mov_b32 v26, 0 :: v_dual_mov_b32 v115, 0
	s_mov_b32 s18, exec_lo
	s_wait_loadcnt_dscnt 0x0
	v_and_b32_e32 v7, 0xff, v6
	s_wait_xcnt 0x0
	s_delay_alu instid0(VALU_DEP_1)
	v_cmpx_ne_u16_e32 0, v7
	s_cbranch_execz .LBB329_441
; %bb.434:                              ;   in Loop: Header=BB329_12 Depth=1
	v_bfrev_b32_e32 v115, 1
	s_mov_b32 s19, exec_lo
	v_cmpx_ne_u16_e32 0x80, v7
	s_cbranch_execz .LBB329_440
; %bb.435:                              ;   in Loop: Header=BB329_12 Depth=1
	v_and_b32_e32 v9, 0x7f, v6
	v_mov_b32_e32 v115, 0x7f800001
	s_mov_b32 s20, exec_lo
	s_delay_alu instid0(VALU_DEP_2)
	v_cmpx_ne_u32_e32 0x7f, v9
	s_cbranch_execz .LBB329_439
; %bb.436:                              ;   in Loop: Header=BB329_12 Depth=1
	v_dual_lshrrev_b32 v7, 3, v9 :: v_dual_bitop2_b32 v66, 7, v6 bitop3:0x40
	s_mov_b32 s21, exec_lo
	s_delay_alu instid0(VALU_DEP_1)
	v_mov_b64_e32 v[86:87], v[66:67]
	v_cmpx_gt_u32_e32 8, v9
; %bb.437:                              ;   in Loop: Header=BB329_12 Depth=1
	v_clz_i32_u32_e32 v7, v66
	s_delay_alu instid0(VALU_DEP_1) | instskip(NEXT) | instid1(VALU_DEP_1)
	v_min_u32_e32 v7, 32, v7
	v_subrev_nc_u32_e32 v9, 28, v7
	s_delay_alu instid0(VALU_DEP_1) | instskip(NEXT) | instid1(VALU_DEP_1)
	v_lshlrev_b64_e32 v[10:11], v9, v[66:67]
	v_dual_sub_nc_u32 v7, 29, v7 :: v_dual_bitop2_b32 v86, 7, v10 bitop3:0x40
; %bb.438:                              ;   in Loop: Header=BB329_12 Depth=1
	s_or_b32 exec_lo, exec_lo, s21
	v_lshlrev_b32_e32 v9, 24, v6
	s_delay_alu instid0(VALU_DEP_2) | instskip(NEXT) | instid1(VALU_DEP_3)
	v_lshlrev_b32_e32 v10, 20, v86
	v_lshl_add_u32 v7, v7, 23, 0x3c000000
	s_delay_alu instid0(VALU_DEP_3) | instskip(NEXT) | instid1(VALU_DEP_1)
	v_and_b32_e32 v9, 0x80000000, v9
	v_or3_b32 v115, v10, v9, v7
.LBB329_439:                            ;   in Loop: Header=BB329_12 Depth=1
	s_or_b32 exec_lo, exec_lo, s20
.LBB329_440:                            ;   in Loop: Header=BB329_12 Depth=1
	s_delay_alu instid0(SALU_CYCLE_1)
	s_or_b32 exec_lo, exec_lo, s19
.LBB329_441:                            ;   in Loop: Header=BB329_12 Depth=1
	s_delay_alu instid0(SALU_CYCLE_1) | instskip(SKIP_2) | instid1(VALU_DEP_1)
	s_or_b32 exec_lo, exec_lo, s18
	v_lshrrev_b16 v7, 8, v6
	s_mov_b32 s18, exec_lo
	v_cmpx_ne_u16_e32 0, v7
	s_cbranch_execz .LBB329_449
; %bb.442:                              ;   in Loop: Header=BB329_12 Depth=1
	v_bfrev_b32_e32 v26, 1
	s_mov_b32 s19, exec_lo
	v_cmpx_ne_u16_e32 0x80, v7
	s_cbranch_execz .LBB329_448
; %bb.443:                              ;   in Loop: Header=BB329_12 Depth=1
	v_and_b32_e32 v7, 0xffff, v7
	v_mov_b32_e32 v26, 0x7f800001
	s_mov_b32 s20, exec_lo
	s_delay_alu instid0(VALU_DEP_2) | instskip(NEXT) | instid1(VALU_DEP_1)
	v_and_b32_e32 v9, 0x7f, v7
	v_cmpx_ne_u32_e32 0x7f, v9
	s_cbranch_execz .LBB329_447
; %bb.444:                              ;   in Loop: Header=BB329_12 Depth=1
	v_dual_lshrrev_b32 v7, 3, v9 :: v_dual_bitop2_b32 v66, 7, v7 bitop3:0x40
	s_mov_b32 s21, exec_lo
	s_delay_alu instid0(VALU_DEP_1)
	v_mov_b64_e32 v[86:87], v[66:67]
	v_cmpx_gt_u32_e32 8, v9
; %bb.445:                              ;   in Loop: Header=BB329_12 Depth=1
	v_clz_i32_u32_e32 v7, v66
	s_delay_alu instid0(VALU_DEP_1) | instskip(NEXT) | instid1(VALU_DEP_1)
	v_min_u32_e32 v7, 32, v7
	v_subrev_nc_u32_e32 v9, 28, v7
	s_delay_alu instid0(VALU_DEP_1) | instskip(NEXT) | instid1(VALU_DEP_1)
	v_lshlrev_b64_e32 v[10:11], v9, v[66:67]
	v_dual_sub_nc_u32 v7, 29, v7 :: v_dual_bitop2_b32 v86, 7, v10 bitop3:0x40
; %bb.446:                              ;   in Loop: Header=BB329_12 Depth=1
	s_or_b32 exec_lo, exec_lo, s21
	v_lshlrev_b32_e32 v9, 16, v6
	s_delay_alu instid0(VALU_DEP_2) | instskip(NEXT) | instid1(VALU_DEP_3)
	v_lshlrev_b32_e32 v10, 20, v86
	v_lshl_add_u32 v7, v7, 23, 0x3c000000
	s_delay_alu instid0(VALU_DEP_3) | instskip(NEXT) | instid1(VALU_DEP_1)
	v_and_b32_e32 v9, 0x80000000, v9
	v_or3_b32 v26, v10, v9, v7
.LBB329_447:                            ;   in Loop: Header=BB329_12 Depth=1
	s_or_b32 exec_lo, exec_lo, s20
.LBB329_448:                            ;   in Loop: Header=BB329_12 Depth=1
	s_delay_alu instid0(SALU_CYCLE_1)
	s_or_b32 exec_lo, exec_lo, s19
.LBB329_449:                            ;   in Loop: Header=BB329_12 Depth=1
	s_delay_alu instid0(SALU_CYCLE_1) | instskip(SKIP_3) | instid1(VALU_DEP_2)
	s_or_b32 exec_lo, exec_lo, s18
	v_dual_lshrrev_b32 v7, 16, v6 :: v_dual_mov_b32 v53, 0
	v_mov_b32_e32 v52, 0
	s_mov_b32 s18, exec_lo
	v_and_b32_e32 v9, 0xff, v7
	s_delay_alu instid0(VALU_DEP_1)
	v_cmpx_ne_u16_e32 0, v9
	s_cbranch_execz .LBB329_457
; %bb.450:                              ;   in Loop: Header=BB329_12 Depth=1
	v_bfrev_b32_e32 v52, 1
	s_mov_b32 s19, exec_lo
	v_cmpx_ne_u16_e32 0x80, v9
	s_cbranch_execz .LBB329_456
; %bb.451:                              ;   in Loop: Header=BB329_12 Depth=1
	v_bfe_u32 v10, v6, 16, 7
	v_mov_b32_e32 v52, 0x7f800001
	s_mov_b32 s20, exec_lo
	s_delay_alu instid0(VALU_DEP_2)
	v_cmpx_ne_u32_e32 0x7f, v10
	s_cbranch_execz .LBB329_455
; %bb.452:                              ;   in Loop: Header=BB329_12 Depth=1
	v_dual_lshrrev_b32 v9, 3, v10 :: v_dual_bitop2_b32 v66, 7, v7 bitop3:0x40
	s_mov_b32 s21, exec_lo
	s_delay_alu instid0(VALU_DEP_1)
	v_mov_b64_e32 v[86:87], v[66:67]
	v_cmpx_gt_u32_e32 8, v10
; %bb.453:                              ;   in Loop: Header=BB329_12 Depth=1
	v_clz_i32_u32_e32 v9, v66
	s_delay_alu instid0(VALU_DEP_1) | instskip(NEXT) | instid1(VALU_DEP_1)
	v_min_u32_e32 v9, 32, v9
	v_subrev_nc_u32_e32 v10, 28, v9
	s_delay_alu instid0(VALU_DEP_1) | instskip(NEXT) | instid1(VALU_DEP_1)
	v_lshlrev_b64_e32 v[10:11], v10, v[66:67]
	v_dual_sub_nc_u32 v9, 29, v9 :: v_dual_bitop2_b32 v86, 7, v10 bitop3:0x40
; %bb.454:                              ;   in Loop: Header=BB329_12 Depth=1
	s_or_b32 exec_lo, exec_lo, s21
	s_delay_alu instid0(VALU_DEP_1) | instskip(NEXT) | instid1(VALU_DEP_2)
	v_dual_lshlrev_b32 v7, 24, v7 :: v_dual_lshlrev_b32 v10, 20, v86
	v_lshl_add_u32 v9, v9, 23, 0x3c000000
	s_delay_alu instid0(VALU_DEP_2) | instskip(NEXT) | instid1(VALU_DEP_1)
	v_and_b32_e32 v7, 0x80000000, v7
	v_or3_b32 v52, v10, v7, v9
.LBB329_455:                            ;   in Loop: Header=BB329_12 Depth=1
	s_or_b32 exec_lo, exec_lo, s20
.LBB329_456:                            ;   in Loop: Header=BB329_12 Depth=1
	s_delay_alu instid0(SALU_CYCLE_1)
	s_or_b32 exec_lo, exec_lo, s19
.LBB329_457:                            ;   in Loop: Header=BB329_12 Depth=1
	s_delay_alu instid0(SALU_CYCLE_1) | instskip(NEXT) | instid1(SALU_CYCLE_1)
	s_or_b32 exec_lo, exec_lo, s18
	s_mov_b32 s18, exec_lo
	v_cmpx_lt_u32_e32 0xffffff, v6
	s_cbranch_execz .LBB329_465
; %bb.458:                              ;   in Loop: Header=BB329_12 Depth=1
	v_lshrrev_b32_e32 v7, 24, v6
	v_bfrev_b32_e32 v53, 1
	s_mov_b32 s19, exec_lo
	s_delay_alu instid0(VALU_DEP_2)
	v_cmpx_ne_u32_e32 0x80, v7
	s_cbranch_execz .LBB329_464
; %bb.459:                              ;   in Loop: Header=BB329_12 Depth=1
	v_bfe_u32 v9, v6, 24, 7
	v_mov_b32_e32 v53, 0x7f800001
	s_mov_b32 s20, exec_lo
	s_delay_alu instid0(VALU_DEP_2)
	v_cmpx_ne_u32_e32 0x7f, v9
	s_cbranch_execz .LBB329_463
; %bb.460:                              ;   in Loop: Header=BB329_12 Depth=1
	v_dual_lshrrev_b32 v6, 3, v9 :: v_dual_bitop2_b32 v66, 7, v7 bitop3:0x40
	s_mov_b32 s21, exec_lo
	s_delay_alu instid0(VALU_DEP_1)
	v_mov_b64_e32 v[86:87], v[66:67]
	v_cmpx_gt_u32_e32 8, v9
; %bb.461:                              ;   in Loop: Header=BB329_12 Depth=1
	v_clz_i32_u32_e32 v6, v66
	s_delay_alu instid0(VALU_DEP_1) | instskip(NEXT) | instid1(VALU_DEP_1)
	v_min_u32_e32 v6, 32, v6
	v_subrev_nc_u32_e32 v9, 28, v6
	v_sub_nc_u32_e32 v6, 29, v6
	s_delay_alu instid0(VALU_DEP_2) | instskip(NEXT) | instid1(VALU_DEP_1)
	v_lshlrev_b64_e32 v[10:11], v9, v[66:67]
	v_and_b32_e32 v86, 7, v10
; %bb.462:                              ;   in Loop: Header=BB329_12 Depth=1
	s_or_b32 exec_lo, exec_lo, s21
	s_delay_alu instid0(VALU_DEP_1) | instskip(SKIP_1) | instid1(VALU_DEP_2)
	v_dual_lshlrev_b32 v7, 24, v7 :: v_dual_lshlrev_b32 v9, 20, v86
	v_lshl_add_u32 v6, v6, 23, 0x3c000000
	v_and_b32_e32 v7, 0x80000000, v7
	s_delay_alu instid0(VALU_DEP_1)
	v_or3_b32 v53, v9, v7, v6
.LBB329_463:                            ;   in Loop: Header=BB329_12 Depth=1
	s_or_b32 exec_lo, exec_lo, s20
.LBB329_464:                            ;   in Loop: Header=BB329_12 Depth=1
	s_delay_alu instid0(SALU_CYCLE_1)
	s_or_b32 exec_lo, exec_lo, s19
.LBB329_465:                            ;   in Loop: Header=BB329_12 Depth=1
	s_delay_alu instid0(SALU_CYCLE_1)
	s_or_b32 exec_lo, exec_lo, s18
	flat_load_b32 v9, v[84:85] offset:1792
	v_dual_mov_b32 v54, 0 :: v_dual_mov_b32 v6, 0
	s_mov_b32 s18, exec_lo
	s_wait_loadcnt_dscnt 0x0
	v_and_b32_e32 v7, 0xff, v9
	s_wait_xcnt 0x0
	s_delay_alu instid0(VALU_DEP_1)
	v_cmpx_ne_u16_e32 0, v7
	s_cbranch_execz .LBB329_473
; %bb.466:                              ;   in Loop: Header=BB329_12 Depth=1
	v_bfrev_b32_e32 v6, 1
	s_mov_b32 s19, exec_lo
	v_cmpx_ne_u16_e32 0x80, v7
	s_cbranch_execz .LBB329_472
; %bb.467:                              ;   in Loop: Header=BB329_12 Depth=1
	v_and_b32_e32 v7, 0x7f, v9
	v_mov_b32_e32 v6, 0x7f800001
	s_mov_b32 s20, exec_lo
	s_delay_alu instid0(VALU_DEP_2)
	v_cmpx_ne_u32_e32 0x7f, v7
	s_cbranch_execz .LBB329_471
; %bb.468:                              ;   in Loop: Header=BB329_12 Depth=1
	v_dual_lshrrev_b32 v6, 3, v7 :: v_dual_bitop2_b32 v66, 7, v9 bitop3:0x40
	s_mov_b32 s21, exec_lo
	s_delay_alu instid0(VALU_DEP_1)
	v_mov_b64_e32 v[86:87], v[66:67]
	v_cmpx_gt_u32_e32 8, v7
; %bb.469:                              ;   in Loop: Header=BB329_12 Depth=1
	v_clz_i32_u32_e32 v6, v66
	s_delay_alu instid0(VALU_DEP_1) | instskip(NEXT) | instid1(VALU_DEP_1)
	v_min_u32_e32 v6, 32, v6
	v_subrev_nc_u32_e32 v7, 28, v6
	v_sub_nc_u32_e32 v6, 29, v6
	s_delay_alu instid0(VALU_DEP_2) | instskip(NEXT) | instid1(VALU_DEP_1)
	v_lshlrev_b64_e32 v[10:11], v7, v[66:67]
	v_and_b32_e32 v86, 7, v10
; %bb.470:                              ;   in Loop: Header=BB329_12 Depth=1
	s_or_b32 exec_lo, exec_lo, s21
	s_delay_alu instid0(VALU_DEP_1) | instskip(SKIP_1) | instid1(VALU_DEP_2)
	v_dual_lshlrev_b32 v7, 24, v9 :: v_dual_lshlrev_b32 v10, 20, v86
	v_lshl_add_u32 v6, v6, 23, 0x3c000000
	v_and_b32_e32 v7, 0x80000000, v7
	s_delay_alu instid0(VALU_DEP_1)
	v_or3_b32 v6, v10, v7, v6
.LBB329_471:                            ;   in Loop: Header=BB329_12 Depth=1
	s_or_b32 exec_lo, exec_lo, s20
.LBB329_472:                            ;   in Loop: Header=BB329_12 Depth=1
	s_delay_alu instid0(SALU_CYCLE_1)
	s_or_b32 exec_lo, exec_lo, s19
.LBB329_473:                            ;   in Loop: Header=BB329_12 Depth=1
	s_delay_alu instid0(SALU_CYCLE_1) | instskip(SKIP_2) | instid1(VALU_DEP_1)
	s_or_b32 exec_lo, exec_lo, s18
	v_lshrrev_b16 v7, 8, v9
	s_mov_b32 s18, exec_lo
	v_cmpx_ne_u16_e32 0, v7
	s_cbranch_execz .LBB329_481
; %bb.474:                              ;   in Loop: Header=BB329_12 Depth=1
	v_bfrev_b32_e32 v54, 1
	s_mov_b32 s19, exec_lo
	v_cmpx_ne_u16_e32 0x80, v7
	s_cbranch_execz .LBB329_480
; %bb.475:                              ;   in Loop: Header=BB329_12 Depth=1
	v_and_b32_e32 v7, 0xffff, v7
	v_mov_b32_e32 v54, 0x7f800001
	s_mov_b32 s20, exec_lo
	s_delay_alu instid0(VALU_DEP_2) | instskip(NEXT) | instid1(VALU_DEP_1)
	v_and_b32_e32 v10, 0x7f, v7
	v_cmpx_ne_u32_e32 0x7f, v10
	s_cbranch_execz .LBB329_479
; %bb.476:                              ;   in Loop: Header=BB329_12 Depth=1
	v_dual_lshrrev_b32 v7, 3, v10 :: v_dual_bitop2_b32 v66, 7, v7 bitop3:0x40
	s_mov_b32 s21, exec_lo
	s_delay_alu instid0(VALU_DEP_1)
	v_mov_b64_e32 v[86:87], v[66:67]
	v_cmpx_gt_u32_e32 8, v10
; %bb.477:                              ;   in Loop: Header=BB329_12 Depth=1
	v_clz_i32_u32_e32 v7, v66
	s_delay_alu instid0(VALU_DEP_1) | instskip(NEXT) | instid1(VALU_DEP_1)
	v_min_u32_e32 v7, 32, v7
	v_subrev_nc_u32_e32 v10, 28, v7
	s_delay_alu instid0(VALU_DEP_1) | instskip(NEXT) | instid1(VALU_DEP_1)
	v_lshlrev_b64_e32 v[10:11], v10, v[66:67]
	v_dual_sub_nc_u32 v7, 29, v7 :: v_dual_bitop2_b32 v86, 7, v10 bitop3:0x40
; %bb.478:                              ;   in Loop: Header=BB329_12 Depth=1
	s_or_b32 exec_lo, exec_lo, s21
	s_delay_alu instid0(VALU_DEP_1) | instskip(NEXT) | instid1(VALU_DEP_2)
	v_dual_lshlrev_b32 v10, 16, v9 :: v_dual_lshlrev_b32 v11, 20, v86
	v_lshl_add_u32 v7, v7, 23, 0x3c000000
	s_delay_alu instid0(VALU_DEP_2) | instskip(NEXT) | instid1(VALU_DEP_1)
	v_and_b32_e32 v10, 0x80000000, v10
	v_or3_b32 v54, v11, v10, v7
.LBB329_479:                            ;   in Loop: Header=BB329_12 Depth=1
	s_or_b32 exec_lo, exec_lo, s20
.LBB329_480:                            ;   in Loop: Header=BB329_12 Depth=1
	s_delay_alu instid0(SALU_CYCLE_1)
	s_or_b32 exec_lo, exec_lo, s19
.LBB329_481:                            ;   in Loop: Header=BB329_12 Depth=1
	s_delay_alu instid0(SALU_CYCLE_1) | instskip(SKIP_3) | instid1(VALU_DEP_2)
	s_or_b32 exec_lo, exec_lo, s18
	v_dual_mov_b32 v7, 0 :: v_dual_lshrrev_b32 v10, 16, v9
	v_mov_b32_e32 v55, 0
	s_mov_b32 s18, exec_lo
	v_and_b32_e32 v11, 0xff, v10
	s_delay_alu instid0(VALU_DEP_1)
	v_cmpx_ne_u16_e32 0, v11
	s_cbranch_execz .LBB329_489
; %bb.482:                              ;   in Loop: Header=BB329_12 Depth=1
	v_bfrev_b32_e32 v55, 1
	s_mov_b32 s19, exec_lo
	v_cmpx_ne_u16_e32 0x80, v11
	s_cbranch_execz .LBB329_488
; %bb.483:                              ;   in Loop: Header=BB329_12 Depth=1
	v_bfe_u32 v16, v9, 16, 7
	v_mov_b32_e32 v55, 0x7f800001
	s_mov_b32 s20, exec_lo
	s_delay_alu instid0(VALU_DEP_2)
	v_cmpx_ne_u32_e32 0x7f, v16
	s_cbranch_execz .LBB329_487
; %bb.484:                              ;   in Loop: Header=BB329_12 Depth=1
	v_dual_lshrrev_b32 v11, 3, v16 :: v_dual_bitop2_b32 v66, 7, v10 bitop3:0x40
	s_mov_b32 s21, exec_lo
	s_delay_alu instid0(VALU_DEP_1)
	v_mov_b64_e32 v[86:87], v[66:67]
	v_cmpx_gt_u32_e32 8, v16
; %bb.485:                              ;   in Loop: Header=BB329_12 Depth=1
	v_clz_i32_u32_e32 v11, v66
	s_delay_alu instid0(VALU_DEP_1) | instskip(NEXT) | instid1(VALU_DEP_1)
	v_min_u32_e32 v11, 32, v11
	v_subrev_nc_u32_e32 v16, 28, v11
	s_delay_alu instid0(VALU_DEP_1) | instskip(NEXT) | instid1(VALU_DEP_1)
	v_lshlrev_b64_e32 v[16:17], v16, v[66:67]
	v_dual_sub_nc_u32 v11, 29, v11 :: v_dual_bitop2_b32 v86, 7, v16 bitop3:0x40
; %bb.486:                              ;   in Loop: Header=BB329_12 Depth=1
	s_or_b32 exec_lo, exec_lo, s21
	v_lshlrev_b32_e32 v10, 24, v10
	s_delay_alu instid0(VALU_DEP_2) | instskip(NEXT) | instid1(VALU_DEP_3)
	v_lshlrev_b32_e32 v16, 20, v86
	v_lshl_add_u32 v11, v11, 23, 0x3c000000
	s_delay_alu instid0(VALU_DEP_3) | instskip(NEXT) | instid1(VALU_DEP_1)
	v_and_b32_e32 v10, 0x80000000, v10
	v_or3_b32 v55, v16, v10, v11
.LBB329_487:                            ;   in Loop: Header=BB329_12 Depth=1
	s_or_b32 exec_lo, exec_lo, s20
.LBB329_488:                            ;   in Loop: Header=BB329_12 Depth=1
	s_delay_alu instid0(SALU_CYCLE_1)
	s_or_b32 exec_lo, exec_lo, s19
.LBB329_489:                            ;   in Loop: Header=BB329_12 Depth=1
	s_delay_alu instid0(SALU_CYCLE_1) | instskip(NEXT) | instid1(SALU_CYCLE_1)
	s_or_b32 exec_lo, exec_lo, s18
	s_mov_b32 s18, exec_lo
	v_cmpx_lt_u32_e32 0xffffff, v9
	s_cbranch_execz .LBB329_497
; %bb.490:                              ;   in Loop: Header=BB329_12 Depth=1
	v_lshrrev_b32_e32 v10, 24, v9
	v_bfrev_b32_e32 v7, 1
	s_mov_b32 s19, exec_lo
	s_delay_alu instid0(VALU_DEP_2)
	v_cmpx_ne_u32_e32 0x80, v10
	s_cbranch_execz .LBB329_496
; %bb.491:                              ;   in Loop: Header=BB329_12 Depth=1
	v_bfe_u32 v9, v9, 24, 7
	v_mov_b32_e32 v7, 0x7f800001
	s_mov_b32 s20, exec_lo
	s_delay_alu instid0(VALU_DEP_2)
	v_cmpx_ne_u32_e32 0x7f, v9
	s_cbranch_execz .LBB329_495
; %bb.492:                              ;   in Loop: Header=BB329_12 Depth=1
	v_dual_lshrrev_b32 v7, 3, v9 :: v_dual_bitop2_b32 v66, 7, v10 bitop3:0x40
	s_mov_b32 s21, exec_lo
	s_delay_alu instid0(VALU_DEP_1)
	v_mov_b64_e32 v[86:87], v[66:67]
	v_cmpx_gt_u32_e32 8, v9
; %bb.493:                              ;   in Loop: Header=BB329_12 Depth=1
	v_clz_i32_u32_e32 v7, v66
	s_delay_alu instid0(VALU_DEP_1) | instskip(NEXT) | instid1(VALU_DEP_1)
	v_min_u32_e32 v7, 32, v7
	v_subrev_nc_u32_e32 v9, 28, v7
	s_delay_alu instid0(VALU_DEP_1) | instskip(NEXT) | instid1(VALU_DEP_1)
	v_lshlrev_b64_e32 v[16:17], v9, v[66:67]
	v_dual_sub_nc_u32 v7, 29, v7 :: v_dual_bitop2_b32 v86, 7, v16 bitop3:0x40
; %bb.494:                              ;   in Loop: Header=BB329_12 Depth=1
	s_or_b32 exec_lo, exec_lo, s21
	v_lshlrev_b32_e32 v9, 24, v10
	s_delay_alu instid0(VALU_DEP_2) | instskip(NEXT) | instid1(VALU_DEP_3)
	v_lshlrev_b32_e32 v10, 20, v86
	v_lshl_add_u32 v7, v7, 23, 0x3c000000
	s_delay_alu instid0(VALU_DEP_3) | instskip(NEXT) | instid1(VALU_DEP_1)
	v_and_b32_e32 v9, 0x80000000, v9
	v_or3_b32 v7, v10, v9, v7
.LBB329_495:                            ;   in Loop: Header=BB329_12 Depth=1
	s_or_b32 exec_lo, exec_lo, s20
.LBB329_496:                            ;   in Loop: Header=BB329_12 Depth=1
	s_delay_alu instid0(SALU_CYCLE_1)
	s_or_b32 exec_lo, exec_lo, s19
.LBB329_497:                            ;   in Loop: Header=BB329_12 Depth=1
	s_delay_alu instid0(SALU_CYCLE_1)
	s_or_b32 exec_lo, exec_lo, s18
	flat_load_b32 v9, v[84:85] offset:1800
	v_dual_mov_b32 v11, 0 :: v_dual_mov_b32 v10, 0
	s_mov_b32 s18, exec_lo
	s_wait_loadcnt_dscnt 0x0
	v_and_b32_e32 v16, 0xff, v9
	s_wait_xcnt 0x0
	s_delay_alu instid0(VALU_DEP_1)
	v_cmpx_ne_u16_e32 0, v16
	s_cbranch_execz .LBB329_505
; %bb.498:                              ;   in Loop: Header=BB329_12 Depth=1
	v_bfrev_b32_e32 v10, 1
	s_mov_b32 s19, exec_lo
	v_cmpx_ne_u16_e32 0x80, v16
	s_cbranch_execz .LBB329_504
; %bb.499:                              ;   in Loop: Header=BB329_12 Depth=1
	v_and_b32_e32 v16, 0x7f, v9
	v_mov_b32_e32 v10, 0x7f800001
	s_mov_b32 s20, exec_lo
	s_delay_alu instid0(VALU_DEP_2)
	v_cmpx_ne_u32_e32 0x7f, v16
	s_cbranch_execz .LBB329_503
; %bb.500:                              ;   in Loop: Header=BB329_12 Depth=1
	v_dual_lshrrev_b32 v10, 3, v16 :: v_dual_bitop2_b32 v66, 7, v9 bitop3:0x40
	s_mov_b32 s21, exec_lo
	s_delay_alu instid0(VALU_DEP_1)
	v_mov_b64_e32 v[86:87], v[66:67]
	v_cmpx_gt_u32_e32 8, v16
; %bb.501:                              ;   in Loop: Header=BB329_12 Depth=1
	v_clz_i32_u32_e32 v10, v66
	s_delay_alu instid0(VALU_DEP_1) | instskip(NEXT) | instid1(VALU_DEP_1)
	v_min_u32_e32 v10, 32, v10
	v_subrev_nc_u32_e32 v16, 28, v10
	s_delay_alu instid0(VALU_DEP_1) | instskip(NEXT) | instid1(VALU_DEP_1)
	v_lshlrev_b64_e32 v[16:17], v16, v[66:67]
	v_dual_sub_nc_u32 v10, 29, v10 :: v_dual_bitop2_b32 v86, 7, v16 bitop3:0x40
; %bb.502:                              ;   in Loop: Header=BB329_12 Depth=1
	s_or_b32 exec_lo, exec_lo, s21
	s_delay_alu instid0(VALU_DEP_1) | instskip(NEXT) | instid1(VALU_DEP_2)
	v_dual_lshlrev_b32 v16, 24, v9 :: v_dual_lshlrev_b32 v17, 20, v86
	v_lshl_add_u32 v10, v10, 23, 0x3c000000
	s_delay_alu instid0(VALU_DEP_2) | instskip(NEXT) | instid1(VALU_DEP_1)
	v_and_b32_e32 v16, 0x80000000, v16
	v_or3_b32 v10, v17, v16, v10
.LBB329_503:                            ;   in Loop: Header=BB329_12 Depth=1
	s_or_b32 exec_lo, exec_lo, s20
.LBB329_504:                            ;   in Loop: Header=BB329_12 Depth=1
	s_delay_alu instid0(SALU_CYCLE_1)
	s_or_b32 exec_lo, exec_lo, s19
.LBB329_505:                            ;   in Loop: Header=BB329_12 Depth=1
	s_delay_alu instid0(SALU_CYCLE_1) | instskip(SKIP_2) | instid1(VALU_DEP_1)
	s_or_b32 exec_lo, exec_lo, s18
	v_lshrrev_b16 v16, 8, v9
	s_mov_b32 s18, exec_lo
	v_cmpx_ne_u16_e32 0, v16
	s_cbranch_execz .LBB329_513
; %bb.506:                              ;   in Loop: Header=BB329_12 Depth=1
	v_bfrev_b32_e32 v11, 1
	s_mov_b32 s19, exec_lo
	v_cmpx_ne_u16_e32 0x80, v16
	s_cbranch_execz .LBB329_512
; %bb.507:                              ;   in Loop: Header=BB329_12 Depth=1
	v_and_b32_e32 v17, 0xffff, v16
	v_mov_b32_e32 v11, 0x7f800001
	s_mov_b32 s20, exec_lo
	s_delay_alu instid0(VALU_DEP_2) | instskip(NEXT) | instid1(VALU_DEP_1)
	v_and_b32_e32 v16, 0x7f, v17
	v_cmpx_ne_u32_e32 0x7f, v16
	s_cbranch_execz .LBB329_511
; %bb.508:                              ;   in Loop: Header=BB329_12 Depth=1
	v_dual_lshrrev_b32 v11, 3, v16 :: v_dual_bitop2_b32 v66, 7, v17 bitop3:0x40
	s_mov_b32 s21, exec_lo
	s_delay_alu instid0(VALU_DEP_1)
	v_mov_b64_e32 v[86:87], v[66:67]
	v_cmpx_gt_u32_e32 8, v16
; %bb.509:                              ;   in Loop: Header=BB329_12 Depth=1
	v_clz_i32_u32_e32 v11, v66
	s_delay_alu instid0(VALU_DEP_1) | instskip(NEXT) | instid1(VALU_DEP_1)
	v_min_u32_e32 v11, 32, v11
	v_subrev_nc_u32_e32 v16, 28, v11
	s_delay_alu instid0(VALU_DEP_1) | instskip(NEXT) | instid1(VALU_DEP_1)
	v_lshlrev_b64_e32 v[16:17], v16, v[66:67]
	v_dual_sub_nc_u32 v11, 29, v11 :: v_dual_bitop2_b32 v86, 7, v16 bitop3:0x40
; %bb.510:                              ;   in Loop: Header=BB329_12 Depth=1
	s_or_b32 exec_lo, exec_lo, s21
	s_delay_alu instid0(VALU_DEP_1) | instskip(NEXT) | instid1(VALU_DEP_2)
	v_dual_lshlrev_b32 v16, 16, v9 :: v_dual_lshlrev_b32 v17, 20, v86
	v_lshl_add_u32 v11, v11, 23, 0x3c000000
	s_delay_alu instid0(VALU_DEP_2) | instskip(NEXT) | instid1(VALU_DEP_1)
	v_and_b32_e32 v16, 0x80000000, v16
	v_or3_b32 v11, v17, v16, v11
.LBB329_511:                            ;   in Loop: Header=BB329_12 Depth=1
	s_or_b32 exec_lo, exec_lo, s20
.LBB329_512:                            ;   in Loop: Header=BB329_12 Depth=1
	s_delay_alu instid0(SALU_CYCLE_1)
	s_or_b32 exec_lo, exec_lo, s19
.LBB329_513:                            ;   in Loop: Header=BB329_12 Depth=1
	s_delay_alu instid0(SALU_CYCLE_1) | instskip(SKIP_3) | instid1(VALU_DEP_2)
	s_or_b32 exec_lo, exec_lo, s18
	v_dual_lshrrev_b32 v16, 16, v9 :: v_dual_mov_b32 v64, 0
	v_mov_b32_e32 v65, 0
	s_mov_b32 s18, exec_lo
	v_and_b32_e32 v17, 0xff, v16
	s_delay_alu instid0(VALU_DEP_1)
	v_cmpx_ne_u16_e32 0, v17
	s_cbranch_execz .LBB329_521
; %bb.514:                              ;   in Loop: Header=BB329_12 Depth=1
	v_bfrev_b32_e32 v65, 1
	s_mov_b32 s19, exec_lo
	v_cmpx_ne_u16_e32 0x80, v17
	s_cbranch_execz .LBB329_520
; %bb.515:                              ;   in Loop: Header=BB329_12 Depth=1
	v_bfe_u32 v18, v9, 16, 7
	v_mov_b32_e32 v65, 0x7f800001
	s_mov_b32 s20, exec_lo
	s_delay_alu instid0(VALU_DEP_2)
	v_cmpx_ne_u32_e32 0x7f, v18
	s_cbranch_execz .LBB329_519
; %bb.516:                              ;   in Loop: Header=BB329_12 Depth=1
	v_dual_lshrrev_b32 v17, 3, v18 :: v_dual_bitop2_b32 v66, 7, v16 bitop3:0x40
	s_mov_b32 s21, exec_lo
	s_delay_alu instid0(VALU_DEP_1)
	v_mov_b64_e32 v[86:87], v[66:67]
	v_cmpx_gt_u32_e32 8, v18
; %bb.517:                              ;   in Loop: Header=BB329_12 Depth=1
	v_clz_i32_u32_e32 v17, v66
	s_delay_alu instid0(VALU_DEP_1) | instskip(NEXT) | instid1(VALU_DEP_1)
	v_min_u32_e32 v17, 32, v17
	v_subrev_nc_u32_e32 v18, 28, v17
	s_delay_alu instid0(VALU_DEP_1) | instskip(NEXT) | instid1(VALU_DEP_1)
	v_lshlrev_b64_e32 v[18:19], v18, v[66:67]
	v_dual_sub_nc_u32 v17, 29, v17 :: v_dual_bitop2_b32 v86, 7, v18 bitop3:0x40
; %bb.518:                              ;   in Loop: Header=BB329_12 Depth=1
	s_or_b32 exec_lo, exec_lo, s21
	s_delay_alu instid0(VALU_DEP_1) | instskip(NEXT) | instid1(VALU_DEP_2)
	v_dual_lshlrev_b32 v16, 24, v16 :: v_dual_lshlrev_b32 v18, 20, v86
	v_lshl_add_u32 v17, v17, 23, 0x3c000000
	s_delay_alu instid0(VALU_DEP_2) | instskip(NEXT) | instid1(VALU_DEP_1)
	v_and_b32_e32 v16, 0x80000000, v16
	v_or3_b32 v65, v18, v16, v17
.LBB329_519:                            ;   in Loop: Header=BB329_12 Depth=1
	s_or_b32 exec_lo, exec_lo, s20
.LBB329_520:                            ;   in Loop: Header=BB329_12 Depth=1
	s_delay_alu instid0(SALU_CYCLE_1)
	s_or_b32 exec_lo, exec_lo, s19
.LBB329_521:                            ;   in Loop: Header=BB329_12 Depth=1
	s_delay_alu instid0(SALU_CYCLE_1) | instskip(NEXT) | instid1(SALU_CYCLE_1)
	s_or_b32 exec_lo, exec_lo, s18
	s_mov_b32 s18, exec_lo
	v_cmpx_lt_u32_e32 0xffffff, v9
	s_cbranch_execz .LBB329_529
; %bb.522:                              ;   in Loop: Header=BB329_12 Depth=1
	v_lshrrev_b32_e32 v16, 24, v9
	v_bfrev_b32_e32 v64, 1
	s_mov_b32 s19, exec_lo
	s_delay_alu instid0(VALU_DEP_2)
	v_cmpx_ne_u32_e32 0x80, v16
	s_cbranch_execz .LBB329_528
; %bb.523:                              ;   in Loop: Header=BB329_12 Depth=1
	v_bfe_u32 v17, v9, 24, 7
	v_mov_b32_e32 v64, 0x7f800001
	s_mov_b32 s20, exec_lo
	s_delay_alu instid0(VALU_DEP_2)
	v_cmpx_ne_u32_e32 0x7f, v17
	s_cbranch_execz .LBB329_527
; %bb.524:                              ;   in Loop: Header=BB329_12 Depth=1
	v_dual_lshrrev_b32 v9, 3, v17 :: v_dual_bitop2_b32 v66, 7, v16 bitop3:0x40
	s_mov_b32 s21, exec_lo
	s_delay_alu instid0(VALU_DEP_1)
	v_mov_b64_e32 v[86:87], v[66:67]
	v_cmpx_gt_u32_e32 8, v17
; %bb.525:                              ;   in Loop: Header=BB329_12 Depth=1
	v_clz_i32_u32_e32 v9, v66
	s_delay_alu instid0(VALU_DEP_1) | instskip(NEXT) | instid1(VALU_DEP_1)
	v_min_u32_e32 v9, 32, v9
	v_subrev_nc_u32_e32 v17, 28, v9
	s_delay_alu instid0(VALU_DEP_1) | instskip(NEXT) | instid1(VALU_DEP_1)
	v_lshlrev_b64_e32 v[18:19], v17, v[66:67]
	v_dual_sub_nc_u32 v9, 29, v9 :: v_dual_bitop2_b32 v86, 7, v18 bitop3:0x40
; %bb.526:                              ;   in Loop: Header=BB329_12 Depth=1
	s_or_b32 exec_lo, exec_lo, s21
	s_delay_alu instid0(VALU_DEP_1) | instskip(NEXT) | instid1(VALU_DEP_2)
	v_dual_lshlrev_b32 v16, 24, v16 :: v_dual_lshlrev_b32 v17, 20, v86
	v_lshl_add_u32 v9, v9, 23, 0x3c000000
	s_delay_alu instid0(VALU_DEP_2) | instskip(NEXT) | instid1(VALU_DEP_1)
	v_and_b32_e32 v16, 0x80000000, v16
	v_or3_b32 v64, v17, v16, v9
.LBB329_527:                            ;   in Loop: Header=BB329_12 Depth=1
	s_or_b32 exec_lo, exec_lo, s20
.LBB329_528:                            ;   in Loop: Header=BB329_12 Depth=1
	s_delay_alu instid0(SALU_CYCLE_1)
	s_or_b32 exec_lo, exec_lo, s19
.LBB329_529:                            ;   in Loop: Header=BB329_12 Depth=1
	s_delay_alu instid0(SALU_CYCLE_1)
	s_or_b32 exec_lo, exec_lo, s18
	flat_load_b32 v16, v[84:85] offset:2048
	v_dual_mov_b32 v23, 0 :: v_dual_mov_b32 v112, 0
	s_mov_b32 s18, exec_lo
	s_wait_loadcnt_dscnt 0x0
	v_and_b32_e32 v9, 0xff, v16
	s_wait_xcnt 0x0
	s_delay_alu instid0(VALU_DEP_1)
	v_cmpx_ne_u16_e32 0, v9
	s_cbranch_execz .LBB329_537
; %bb.530:                              ;   in Loop: Header=BB329_12 Depth=1
	v_bfrev_b32_e32 v112, 1
	s_mov_b32 s19, exec_lo
	v_cmpx_ne_u16_e32 0x80, v9
	s_cbranch_execz .LBB329_536
; %bb.531:                              ;   in Loop: Header=BB329_12 Depth=1
	v_and_b32_e32 v17, 0x7f, v16
	v_mov_b32_e32 v112, 0x7f800001
	s_mov_b32 s20, exec_lo
	s_delay_alu instid0(VALU_DEP_2)
	v_cmpx_ne_u32_e32 0x7f, v17
	s_cbranch_execz .LBB329_535
; %bb.532:                              ;   in Loop: Header=BB329_12 Depth=1
	v_dual_lshrrev_b32 v9, 3, v17 :: v_dual_bitop2_b32 v66, 7, v16 bitop3:0x40
	s_mov_b32 s21, exec_lo
	s_delay_alu instid0(VALU_DEP_1)
	v_mov_b64_e32 v[86:87], v[66:67]
	v_cmpx_gt_u32_e32 8, v17
; %bb.533:                              ;   in Loop: Header=BB329_12 Depth=1
	v_clz_i32_u32_e32 v9, v66
	s_delay_alu instid0(VALU_DEP_1) | instskip(NEXT) | instid1(VALU_DEP_1)
	v_min_u32_e32 v9, 32, v9
	v_subrev_nc_u32_e32 v17, 28, v9
	s_delay_alu instid0(VALU_DEP_1) | instskip(NEXT) | instid1(VALU_DEP_1)
	v_lshlrev_b64_e32 v[18:19], v17, v[66:67]
	v_dual_sub_nc_u32 v9, 29, v9 :: v_dual_bitop2_b32 v86, 7, v18 bitop3:0x40
; %bb.534:                              ;   in Loop: Header=BB329_12 Depth=1
	s_or_b32 exec_lo, exec_lo, s21
	s_delay_alu instid0(VALU_DEP_1) | instskip(NEXT) | instid1(VALU_DEP_2)
	v_dual_lshlrev_b32 v17, 24, v16 :: v_dual_lshlrev_b32 v18, 20, v86
	v_lshl_add_u32 v9, v9, 23, 0x3c000000
	s_delay_alu instid0(VALU_DEP_2) | instskip(NEXT) | instid1(VALU_DEP_1)
	v_and_b32_e32 v17, 0x80000000, v17
	v_or3_b32 v112, v18, v17, v9
.LBB329_535:                            ;   in Loop: Header=BB329_12 Depth=1
	s_or_b32 exec_lo, exec_lo, s20
.LBB329_536:                            ;   in Loop: Header=BB329_12 Depth=1
	s_delay_alu instid0(SALU_CYCLE_1)
	s_or_b32 exec_lo, exec_lo, s19
.LBB329_537:                            ;   in Loop: Header=BB329_12 Depth=1
	s_delay_alu instid0(SALU_CYCLE_1) | instskip(SKIP_2) | instid1(VALU_DEP_1)
	s_or_b32 exec_lo, exec_lo, s18
	v_lshrrev_b16 v9, 8, v16
	s_mov_b32 s18, exec_lo
	v_cmpx_ne_u16_e32 0, v9
	s_cbranch_execz .LBB329_545
; %bb.538:                              ;   in Loop: Header=BB329_12 Depth=1
	v_bfrev_b32_e32 v23, 1
	s_mov_b32 s19, exec_lo
	v_cmpx_ne_u16_e32 0x80, v9
	s_cbranch_execz .LBB329_544
; %bb.539:                              ;   in Loop: Header=BB329_12 Depth=1
	v_and_b32_e32 v9, 0xffff, v9
	v_mov_b32_e32 v23, 0x7f800001
	s_mov_b32 s20, exec_lo
	s_delay_alu instid0(VALU_DEP_2) | instskip(NEXT) | instid1(VALU_DEP_1)
	v_and_b32_e32 v17, 0x7f, v9
	v_cmpx_ne_u32_e32 0x7f, v17
	s_cbranch_execz .LBB329_543
; %bb.540:                              ;   in Loop: Header=BB329_12 Depth=1
	v_and_b32_e32 v66, 7, v9
	v_lshrrev_b32_e32 v9, 3, v17
	s_mov_b32 s21, exec_lo
	s_delay_alu instid0(VALU_DEP_2)
	v_mov_b64_e32 v[86:87], v[66:67]
	v_cmpx_gt_u32_e32 8, v17
; %bb.541:                              ;   in Loop: Header=BB329_12 Depth=1
	v_clz_i32_u32_e32 v9, v66
	s_delay_alu instid0(VALU_DEP_1) | instskip(NEXT) | instid1(VALU_DEP_1)
	v_min_u32_e32 v9, 32, v9
	v_subrev_nc_u32_e32 v17, 28, v9
	s_delay_alu instid0(VALU_DEP_1) | instskip(NEXT) | instid1(VALU_DEP_1)
	v_lshlrev_b64_e32 v[18:19], v17, v[66:67]
	v_dual_sub_nc_u32 v9, 29, v9 :: v_dual_bitop2_b32 v86, 7, v18 bitop3:0x40
; %bb.542:                              ;   in Loop: Header=BB329_12 Depth=1
	s_or_b32 exec_lo, exec_lo, s21
	s_delay_alu instid0(VALU_DEP_1) | instskip(NEXT) | instid1(VALU_DEP_2)
	v_dual_lshlrev_b32 v17, 16, v16 :: v_dual_lshlrev_b32 v18, 20, v86
	v_lshl_add_u32 v9, v9, 23, 0x3c000000
	s_delay_alu instid0(VALU_DEP_2) | instskip(NEXT) | instid1(VALU_DEP_1)
	v_and_b32_e32 v17, 0x80000000, v17
	v_or3_b32 v23, v18, v17, v9
.LBB329_543:                            ;   in Loop: Header=BB329_12 Depth=1
	s_or_b32 exec_lo, exec_lo, s20
.LBB329_544:                            ;   in Loop: Header=BB329_12 Depth=1
	s_delay_alu instid0(SALU_CYCLE_1)
	s_or_b32 exec_lo, exec_lo, s19
.LBB329_545:                            ;   in Loop: Header=BB329_12 Depth=1
	s_delay_alu instid0(SALU_CYCLE_1) | instskip(SKIP_3) | instid1(VALU_DEP_2)
	s_or_b32 exec_lo, exec_lo, s18
	v_dual_mov_b32 v118, 0 :: v_dual_lshrrev_b32 v17, 16, v16
	v_mov_b32_e32 v9, 0
	s_mov_b32 s18, exec_lo
	v_and_b32_e32 v18, 0xff, v17
	s_delay_alu instid0(VALU_DEP_1)
	v_cmpx_ne_u16_e32 0, v18
	s_cbranch_execz .LBB329_553
; %bb.546:                              ;   in Loop: Header=BB329_12 Depth=1
	v_bfrev_b32_e32 v9, 1
	s_mov_b32 s19, exec_lo
	v_cmpx_ne_u16_e32 0x80, v18
	s_cbranch_execz .LBB329_552
; %bb.547:                              ;   in Loop: Header=BB329_12 Depth=1
	v_bfe_u32 v18, v16, 16, 7
	v_mov_b32_e32 v9, 0x7f800001
	s_mov_b32 s20, exec_lo
	s_delay_alu instid0(VALU_DEP_2)
	v_cmpx_ne_u32_e32 0x7f, v18
	s_cbranch_execz .LBB329_551
; %bb.548:                              ;   in Loop: Header=BB329_12 Depth=1
	v_dual_lshrrev_b32 v9, 3, v18 :: v_dual_bitop2_b32 v66, 7, v17 bitop3:0x40
	s_mov_b32 s21, exec_lo
	s_delay_alu instid0(VALU_DEP_1)
	v_mov_b64_e32 v[86:87], v[66:67]
	v_cmpx_gt_u32_e32 8, v18
; %bb.549:                              ;   in Loop: Header=BB329_12 Depth=1
	v_clz_i32_u32_e32 v9, v66
	s_delay_alu instid0(VALU_DEP_1) | instskip(NEXT) | instid1(VALU_DEP_1)
	v_min_u32_e32 v9, 32, v9
	v_subrev_nc_u32_e32 v18, 28, v9
	s_delay_alu instid0(VALU_DEP_1) | instskip(NEXT) | instid1(VALU_DEP_1)
	v_lshlrev_b64_e32 v[18:19], v18, v[66:67]
	v_dual_sub_nc_u32 v9, 29, v9 :: v_dual_bitop2_b32 v86, 7, v18 bitop3:0x40
; %bb.550:                              ;   in Loop: Header=BB329_12 Depth=1
	s_or_b32 exec_lo, exec_lo, s21
	s_delay_alu instid0(VALU_DEP_1) | instskip(NEXT) | instid1(VALU_DEP_2)
	v_dual_lshlrev_b32 v17, 24, v17 :: v_dual_lshlrev_b32 v18, 20, v86
	v_lshl_add_u32 v9, v9, 23, 0x3c000000
	s_delay_alu instid0(VALU_DEP_2) | instskip(NEXT) | instid1(VALU_DEP_1)
	v_and_b32_e32 v17, 0x80000000, v17
	v_or3_b32 v9, v18, v17, v9
.LBB329_551:                            ;   in Loop: Header=BB329_12 Depth=1
	s_or_b32 exec_lo, exec_lo, s20
.LBB329_552:                            ;   in Loop: Header=BB329_12 Depth=1
	s_delay_alu instid0(SALU_CYCLE_1)
	s_or_b32 exec_lo, exec_lo, s19
.LBB329_553:                            ;   in Loop: Header=BB329_12 Depth=1
	s_delay_alu instid0(SALU_CYCLE_1) | instskip(NEXT) | instid1(SALU_CYCLE_1)
	s_or_b32 exec_lo, exec_lo, s18
	s_mov_b32 s18, exec_lo
	v_cmpx_lt_u32_e32 0xffffff, v16
	s_cbranch_execz .LBB329_561
; %bb.554:                              ;   in Loop: Header=BB329_12 Depth=1
	v_lshrrev_b32_e32 v17, 24, v16
	v_bfrev_b32_e32 v118, 1
	s_mov_b32 s19, exec_lo
	s_delay_alu instid0(VALU_DEP_2)
	v_cmpx_ne_u32_e32 0x80, v17
	s_cbranch_execz .LBB329_560
; %bb.555:                              ;   in Loop: Header=BB329_12 Depth=1
	v_bfe_u32 v18, v16, 24, 7
	v_mov_b32_e32 v118, 0x7f800001
	s_mov_b32 s20, exec_lo
	s_delay_alu instid0(VALU_DEP_2)
	v_cmpx_ne_u32_e32 0x7f, v18
	s_cbranch_execz .LBB329_559
; %bb.556:                              ;   in Loop: Header=BB329_12 Depth=1
	v_dual_lshrrev_b32 v16, 3, v18 :: v_dual_bitop2_b32 v66, 7, v17 bitop3:0x40
	s_mov_b32 s21, exec_lo
	s_delay_alu instid0(VALU_DEP_1)
	v_mov_b64_e32 v[86:87], v[66:67]
	v_cmpx_gt_u32_e32 8, v18
; %bb.557:                              ;   in Loop: Header=BB329_12 Depth=1
	v_clz_i32_u32_e32 v16, v66
	s_delay_alu instid0(VALU_DEP_1) | instskip(NEXT) | instid1(VALU_DEP_1)
	v_min_u32_e32 v16, 32, v16
	v_subrev_nc_u32_e32 v18, 28, v16
	s_delay_alu instid0(VALU_DEP_1) | instskip(NEXT) | instid1(VALU_DEP_1)
	v_lshlrev_b64_e32 v[18:19], v18, v[66:67]
	v_dual_sub_nc_u32 v16, 29, v16 :: v_dual_bitop2_b32 v86, 7, v18 bitop3:0x40
; %bb.558:                              ;   in Loop: Header=BB329_12 Depth=1
	s_or_b32 exec_lo, exec_lo, s21
	s_delay_alu instid0(VALU_DEP_1) | instskip(NEXT) | instid1(VALU_DEP_2)
	v_dual_lshlrev_b32 v17, 24, v17 :: v_dual_lshlrev_b32 v18, 20, v86
	v_lshl_add_u32 v16, v16, 23, 0x3c000000
	s_delay_alu instid0(VALU_DEP_2) | instskip(NEXT) | instid1(VALU_DEP_1)
	v_and_b32_e32 v17, 0x80000000, v17
	v_or3_b32 v118, v18, v17, v16
.LBB329_559:                            ;   in Loop: Header=BB329_12 Depth=1
	s_or_b32 exec_lo, exec_lo, s20
.LBB329_560:                            ;   in Loop: Header=BB329_12 Depth=1
	s_delay_alu instid0(SALU_CYCLE_1)
	s_or_b32 exec_lo, exec_lo, s19
.LBB329_561:                            ;   in Loop: Header=BB329_12 Depth=1
	s_delay_alu instid0(SALU_CYCLE_1)
	s_or_b32 exec_lo, exec_lo, s18
	flat_load_b32 v16, v[84:85] offset:2056
	v_dual_mov_b32 v82, 0 :: v_dual_mov_b32 v97, 0
	s_mov_b32 s18, exec_lo
	s_wait_loadcnt_dscnt 0x0
	v_and_b32_e32 v17, 0xff, v16
	s_wait_xcnt 0x0
	s_delay_alu instid0(VALU_DEP_1)
	v_cmpx_ne_u16_e32 0, v17
	s_cbranch_execz .LBB329_569
; %bb.562:                              ;   in Loop: Header=BB329_12 Depth=1
	v_bfrev_b32_e32 v97, 1
	s_mov_b32 s19, exec_lo
	v_cmpx_ne_u16_e32 0x80, v17
	s_cbranch_execz .LBB329_568
; %bb.563:                              ;   in Loop: Header=BB329_12 Depth=1
	v_and_b32_e32 v18, 0x7f, v16
	v_mov_b32_e32 v97, 0x7f800001
	s_mov_b32 s20, exec_lo
	s_delay_alu instid0(VALU_DEP_2)
	v_cmpx_ne_u32_e32 0x7f, v18
	s_cbranch_execz .LBB329_567
; %bb.564:                              ;   in Loop: Header=BB329_12 Depth=1
	v_dual_lshrrev_b32 v17, 3, v18 :: v_dual_bitop2_b32 v66, 7, v16 bitop3:0x40
	s_mov_b32 s21, exec_lo
	s_delay_alu instid0(VALU_DEP_1)
	v_mov_b64_e32 v[86:87], v[66:67]
	v_cmpx_gt_u32_e32 8, v18
; %bb.565:                              ;   in Loop: Header=BB329_12 Depth=1
	v_clz_i32_u32_e32 v17, v66
	s_delay_alu instid0(VALU_DEP_1) | instskip(NEXT) | instid1(VALU_DEP_1)
	v_min_u32_e32 v17, 32, v17
	v_subrev_nc_u32_e32 v18, 28, v17
	s_delay_alu instid0(VALU_DEP_1) | instskip(NEXT) | instid1(VALU_DEP_1)
	v_lshlrev_b64_e32 v[18:19], v18, v[66:67]
	v_dual_sub_nc_u32 v17, 29, v17 :: v_dual_bitop2_b32 v86, 7, v18 bitop3:0x40
; %bb.566:                              ;   in Loop: Header=BB329_12 Depth=1
	s_or_b32 exec_lo, exec_lo, s21
	s_delay_alu instid0(VALU_DEP_1) | instskip(NEXT) | instid1(VALU_DEP_2)
	v_dual_lshlrev_b32 v18, 24, v16 :: v_dual_lshlrev_b32 v19, 20, v86
	v_lshl_add_u32 v17, v17, 23, 0x3c000000
	s_delay_alu instid0(VALU_DEP_2) | instskip(NEXT) | instid1(VALU_DEP_1)
	v_and_b32_e32 v18, 0x80000000, v18
	v_or3_b32 v97, v19, v18, v17
.LBB329_567:                            ;   in Loop: Header=BB329_12 Depth=1
	s_or_b32 exec_lo, exec_lo, s20
.LBB329_568:                            ;   in Loop: Header=BB329_12 Depth=1
	s_delay_alu instid0(SALU_CYCLE_1)
	s_or_b32 exec_lo, exec_lo, s19
.LBB329_569:                            ;   in Loop: Header=BB329_12 Depth=1
	s_delay_alu instid0(SALU_CYCLE_1) | instskip(SKIP_2) | instid1(VALU_DEP_1)
	s_or_b32 exec_lo, exec_lo, s18
	v_lshrrev_b16 v17, 8, v16
	s_mov_b32 s18, exec_lo
	v_cmpx_ne_u16_e32 0, v17
	s_cbranch_execz .LBB329_577
; %bb.570:                              ;   in Loop: Header=BB329_12 Depth=1
	v_bfrev_b32_e32 v82, 1
	s_mov_b32 s19, exec_lo
	v_cmpx_ne_u16_e32 0x80, v17
	s_cbranch_execz .LBB329_576
; %bb.571:                              ;   in Loop: Header=BB329_12 Depth=1
	v_and_b32_e32 v17, 0xffff, v17
	v_mov_b32_e32 v82, 0x7f800001
	s_mov_b32 s20, exec_lo
	s_delay_alu instid0(VALU_DEP_2) | instskip(NEXT) | instid1(VALU_DEP_1)
	v_and_b32_e32 v18, 0x7f, v17
	v_cmpx_ne_u32_e32 0x7f, v18
	s_cbranch_execz .LBB329_575
; %bb.572:                              ;   in Loop: Header=BB329_12 Depth=1
	v_dual_lshrrev_b32 v17, 3, v18 :: v_dual_bitop2_b32 v66, 7, v17 bitop3:0x40
	s_mov_b32 s21, exec_lo
	s_delay_alu instid0(VALU_DEP_1)
	v_mov_b64_e32 v[86:87], v[66:67]
	v_cmpx_gt_u32_e32 8, v18
; %bb.573:                              ;   in Loop: Header=BB329_12 Depth=1
	v_clz_i32_u32_e32 v17, v66
	s_delay_alu instid0(VALU_DEP_1) | instskip(NEXT) | instid1(VALU_DEP_1)
	v_min_u32_e32 v17, 32, v17
	v_subrev_nc_u32_e32 v18, 28, v17
	s_delay_alu instid0(VALU_DEP_1) | instskip(NEXT) | instid1(VALU_DEP_1)
	v_lshlrev_b64_e32 v[18:19], v18, v[66:67]
	v_dual_sub_nc_u32 v17, 29, v17 :: v_dual_bitop2_b32 v86, 7, v18 bitop3:0x40
; %bb.574:                              ;   in Loop: Header=BB329_12 Depth=1
	s_or_b32 exec_lo, exec_lo, s21
	s_delay_alu instid0(VALU_DEP_1) | instskip(NEXT) | instid1(VALU_DEP_2)
	v_dual_lshlrev_b32 v18, 16, v16 :: v_dual_lshlrev_b32 v19, 20, v86
	v_lshl_add_u32 v17, v17, 23, 0x3c000000
	s_delay_alu instid0(VALU_DEP_2) | instskip(NEXT) | instid1(VALU_DEP_1)
	v_and_b32_e32 v18, 0x80000000, v18
	v_or3_b32 v82, v19, v18, v17
.LBB329_575:                            ;   in Loop: Header=BB329_12 Depth=1
	s_or_b32 exec_lo, exec_lo, s20
.LBB329_576:                            ;   in Loop: Header=BB329_12 Depth=1
	s_delay_alu instid0(SALU_CYCLE_1)
	s_or_b32 exec_lo, exec_lo, s19
.LBB329_577:                            ;   in Loop: Header=BB329_12 Depth=1
	s_delay_alu instid0(SALU_CYCLE_1) | instskip(SKIP_3) | instid1(VALU_DEP_2)
	s_or_b32 exec_lo, exec_lo, s18
	v_dual_mov_b32 v22, 0 :: v_dual_lshrrev_b32 v17, 16, v16
	v_mov_b32_e32 v25, 0
	s_mov_b32 s18, exec_lo
	v_and_b32_e32 v18, 0xff, v17
	s_delay_alu instid0(VALU_DEP_1)
	v_cmpx_ne_u16_e32 0, v18
	s_cbranch_execz .LBB329_585
; %bb.578:                              ;   in Loop: Header=BB329_12 Depth=1
	v_bfrev_b32_e32 v25, 1
	s_mov_b32 s19, exec_lo
	v_cmpx_ne_u16_e32 0x80, v18
	s_cbranch_execz .LBB329_584
; %bb.579:                              ;   in Loop: Header=BB329_12 Depth=1
	v_bfe_u32 v19, v16, 16, 7
	v_mov_b32_e32 v25, 0x7f800001
	s_mov_b32 s20, exec_lo
	s_delay_alu instid0(VALU_DEP_2)
	v_cmpx_ne_u32_e32 0x7f, v19
	s_cbranch_execz .LBB329_583
; %bb.580:                              ;   in Loop: Header=BB329_12 Depth=1
	v_dual_lshrrev_b32 v18, 3, v19 :: v_dual_bitop2_b32 v66, 7, v17 bitop3:0x40
	s_mov_b32 s21, exec_lo
	s_delay_alu instid0(VALU_DEP_1)
	v_mov_b64_e32 v[86:87], v[66:67]
	v_cmpx_gt_u32_e32 8, v19
; %bb.581:                              ;   in Loop: Header=BB329_12 Depth=1
	v_clz_i32_u32_e32 v18, v66
	s_delay_alu instid0(VALU_DEP_1) | instskip(NEXT) | instid1(VALU_DEP_1)
	v_min_u32_e32 v18, 32, v18
	v_subrev_nc_u32_e32 v19, 28, v18
	s_delay_alu instid0(VALU_DEP_1) | instskip(NEXT) | instid1(VALU_DEP_1)
	v_lshlrev_b64_e32 v[20:21], v19, v[66:67]
	v_dual_sub_nc_u32 v18, 29, v18 :: v_dual_bitop2_b32 v86, 7, v20 bitop3:0x40
; %bb.582:                              ;   in Loop: Header=BB329_12 Depth=1
	s_or_b32 exec_lo, exec_lo, s21
	s_delay_alu instid0(VALU_DEP_1) | instskip(NEXT) | instid1(VALU_DEP_2)
	v_dual_lshlrev_b32 v17, 24, v17 :: v_dual_lshlrev_b32 v19, 20, v86
	v_lshl_add_u32 v18, v18, 23, 0x3c000000
	s_delay_alu instid0(VALU_DEP_2) | instskip(NEXT) | instid1(VALU_DEP_1)
	v_and_b32_e32 v17, 0x80000000, v17
	v_or3_b32 v25, v19, v17, v18
.LBB329_583:                            ;   in Loop: Header=BB329_12 Depth=1
	s_or_b32 exec_lo, exec_lo, s20
.LBB329_584:                            ;   in Loop: Header=BB329_12 Depth=1
	s_delay_alu instid0(SALU_CYCLE_1)
	s_or_b32 exec_lo, exec_lo, s19
.LBB329_585:                            ;   in Loop: Header=BB329_12 Depth=1
	s_delay_alu instid0(SALU_CYCLE_1) | instskip(NEXT) | instid1(SALU_CYCLE_1)
	s_or_b32 exec_lo, exec_lo, s18
	s_mov_b32 s18, exec_lo
	v_cmpx_lt_u32_e32 0xffffff, v16
	s_cbranch_execz .LBB329_593
; %bb.586:                              ;   in Loop: Header=BB329_12 Depth=1
	v_lshrrev_b32_e32 v17, 24, v16
	v_bfrev_b32_e32 v22, 1
	s_mov_b32 s19, exec_lo
	s_delay_alu instid0(VALU_DEP_2)
	v_cmpx_ne_u32_e32 0x80, v17
	s_cbranch_execz .LBB329_592
; %bb.587:                              ;   in Loop: Header=BB329_12 Depth=1
	v_bfe_u32 v18, v16, 24, 7
	v_mov_b32_e32 v22, 0x7f800001
	s_mov_b32 s20, exec_lo
	s_delay_alu instid0(VALU_DEP_2)
	v_cmpx_ne_u32_e32 0x7f, v18
	s_cbranch_execz .LBB329_591
; %bb.588:                              ;   in Loop: Header=BB329_12 Depth=1
	v_dual_lshrrev_b32 v16, 3, v18 :: v_dual_bitop2_b32 v66, 7, v17 bitop3:0x40
	s_mov_b32 s21, exec_lo
	s_delay_alu instid0(VALU_DEP_1)
	v_mov_b64_e32 v[86:87], v[66:67]
	v_cmpx_gt_u32_e32 8, v18
; %bb.589:                              ;   in Loop: Header=BB329_12 Depth=1
	v_clz_i32_u32_e32 v16, v66
	s_delay_alu instid0(VALU_DEP_1) | instskip(NEXT) | instid1(VALU_DEP_1)
	v_min_u32_e32 v16, 32, v16
	v_subrev_nc_u32_e32 v18, 28, v16
	s_delay_alu instid0(VALU_DEP_1) | instskip(NEXT) | instid1(VALU_DEP_1)
	v_lshlrev_b64_e32 v[18:19], v18, v[66:67]
	v_dual_sub_nc_u32 v16, 29, v16 :: v_dual_bitop2_b32 v86, 7, v18 bitop3:0x40
; %bb.590:                              ;   in Loop: Header=BB329_12 Depth=1
	s_or_b32 exec_lo, exec_lo, s21
	s_delay_alu instid0(VALU_DEP_1) | instskip(NEXT) | instid1(VALU_DEP_2)
	v_dual_lshlrev_b32 v17, 24, v17 :: v_dual_lshlrev_b32 v18, 20, v86
	v_lshl_add_u32 v16, v16, 23, 0x3c000000
	s_delay_alu instid0(VALU_DEP_2) | instskip(NEXT) | instid1(VALU_DEP_1)
	v_and_b32_e32 v17, 0x80000000, v17
	v_or3_b32 v22, v18, v17, v16
.LBB329_591:                            ;   in Loop: Header=BB329_12 Depth=1
	s_or_b32 exec_lo, exec_lo, s20
.LBB329_592:                            ;   in Loop: Header=BB329_12 Depth=1
	s_delay_alu instid0(SALU_CYCLE_1)
	s_or_b32 exec_lo, exec_lo, s19
.LBB329_593:                            ;   in Loop: Header=BB329_12 Depth=1
	s_delay_alu instid0(SALU_CYCLE_1)
	s_or_b32 exec_lo, exec_lo, s18
	flat_load_b32 v16, v[84:85] offset:2304
	v_dual_mov_b32 v21, 0 :: v_dual_mov_b32 v18, 0
	s_mov_b32 s18, exec_lo
	s_wait_loadcnt_dscnt 0x0
	v_and_b32_e32 v17, 0xff, v16
	s_wait_xcnt 0x0
	s_delay_alu instid0(VALU_DEP_1)
	v_cmpx_ne_u16_e32 0, v17
	s_cbranch_execz .LBB329_601
; %bb.594:                              ;   in Loop: Header=BB329_12 Depth=1
	v_bfrev_b32_e32 v18, 1
	s_mov_b32 s19, exec_lo
	v_cmpx_ne_u16_e32 0x80, v17
	s_cbranch_execz .LBB329_600
; %bb.595:                              ;   in Loop: Header=BB329_12 Depth=1
	v_and_b32_e32 v19, 0x7f, v16
	v_mov_b32_e32 v18, 0x7f800001
	s_mov_b32 s20, exec_lo
	s_delay_alu instid0(VALU_DEP_2)
	v_cmpx_ne_u32_e32 0x7f, v19
	s_cbranch_execz .LBB329_599
; %bb.596:                              ;   in Loop: Header=BB329_12 Depth=1
	v_dual_lshrrev_b32 v17, 3, v19 :: v_dual_bitop2_b32 v66, 7, v16 bitop3:0x40
	s_mov_b32 s21, exec_lo
	s_delay_alu instid0(VALU_DEP_1)
	v_mov_b64_e32 v[86:87], v[66:67]
	v_cmpx_gt_u32_e32 8, v19
; %bb.597:                              ;   in Loop: Header=BB329_12 Depth=1
	v_clz_i32_u32_e32 v17, v66
	s_delay_alu instid0(VALU_DEP_1) | instskip(NEXT) | instid1(VALU_DEP_1)
	v_min_u32_e32 v17, 32, v17
	v_subrev_nc_u32_e32 v18, 28, v17
	s_delay_alu instid0(VALU_DEP_1) | instskip(NEXT) | instid1(VALU_DEP_1)
	v_lshlrev_b64_e32 v[18:19], v18, v[66:67]
	v_dual_sub_nc_u32 v17, 29, v17 :: v_dual_bitop2_b32 v86, 7, v18 bitop3:0x40
; %bb.598:                              ;   in Loop: Header=BB329_12 Depth=1
	s_or_b32 exec_lo, exec_lo, s21
	s_delay_alu instid0(VALU_DEP_1) | instskip(NEXT) | instid1(VALU_DEP_2)
	v_dual_lshlrev_b32 v18, 24, v16 :: v_dual_lshlrev_b32 v19, 20, v86
	v_lshl_add_u32 v17, v17, 23, 0x3c000000
	s_delay_alu instid0(VALU_DEP_2) | instskip(NEXT) | instid1(VALU_DEP_1)
	v_and_b32_e32 v18, 0x80000000, v18
	v_or3_b32 v18, v19, v18, v17
.LBB329_599:                            ;   in Loop: Header=BB329_12 Depth=1
	s_or_b32 exec_lo, exec_lo, s20
.LBB329_600:                            ;   in Loop: Header=BB329_12 Depth=1
	s_delay_alu instid0(SALU_CYCLE_1)
	s_or_b32 exec_lo, exec_lo, s19
.LBB329_601:                            ;   in Loop: Header=BB329_12 Depth=1
	s_delay_alu instid0(SALU_CYCLE_1) | instskip(SKIP_2) | instid1(VALU_DEP_1)
	s_or_b32 exec_lo, exec_lo, s18
	v_lshrrev_b16 v17, 8, v16
	s_mov_b32 s18, exec_lo
	v_cmpx_ne_u16_e32 0, v17
	s_cbranch_execz .LBB329_609
; %bb.602:                              ;   in Loop: Header=BB329_12 Depth=1
	v_bfrev_b32_e32 v21, 1
	s_mov_b32 s19, exec_lo
	v_cmpx_ne_u16_e32 0x80, v17
	s_cbranch_execz .LBB329_608
; %bb.603:                              ;   in Loop: Header=BB329_12 Depth=1
	v_and_b32_e32 v17, 0xffff, v17
	v_mov_b32_e32 v21, 0x7f800001
	s_mov_b32 s20, exec_lo
	s_delay_alu instid0(VALU_DEP_2) | instskip(NEXT) | instid1(VALU_DEP_1)
	v_and_b32_e32 v19, 0x7f, v17
	v_cmpx_ne_u32_e32 0x7f, v19
	s_cbranch_execz .LBB329_607
; %bb.604:                              ;   in Loop: Header=BB329_12 Depth=1
	v_dual_lshrrev_b32 v17, 3, v19 :: v_dual_bitop2_b32 v66, 7, v17 bitop3:0x40
	s_mov_b32 s21, exec_lo
	s_delay_alu instid0(VALU_DEP_1)
	v_mov_b64_e32 v[86:87], v[66:67]
	v_cmpx_gt_u32_e32 8, v19
; %bb.605:                              ;   in Loop: Header=BB329_12 Depth=1
	v_clz_i32_u32_e32 v17, v66
	s_delay_alu instid0(VALU_DEP_1) | instskip(NEXT) | instid1(VALU_DEP_1)
	v_min_u32_e32 v17, 32, v17
	v_subrev_nc_u32_e32 v19, 28, v17
	s_delay_alu instid0(VALU_DEP_1) | instskip(NEXT) | instid1(VALU_DEP_1)
	v_lshlrev_b64_e32 v[20:21], v19, v[66:67]
	v_dual_sub_nc_u32 v17, 29, v17 :: v_dual_bitop2_b32 v86, 7, v20 bitop3:0x40
; %bb.606:                              ;   in Loop: Header=BB329_12 Depth=1
	s_or_b32 exec_lo, exec_lo, s21
	s_delay_alu instid0(VALU_DEP_1) | instskip(NEXT) | instid1(VALU_DEP_2)
	v_dual_lshlrev_b32 v19, 16, v16 :: v_dual_lshlrev_b32 v20, 20, v86
	v_lshl_add_u32 v17, v17, 23, 0x3c000000
	s_delay_alu instid0(VALU_DEP_2) | instskip(NEXT) | instid1(VALU_DEP_1)
	v_and_b32_e32 v19, 0x80000000, v19
	v_or3_b32 v21, v20, v19, v17
.LBB329_607:                            ;   in Loop: Header=BB329_12 Depth=1
	s_or_b32 exec_lo, exec_lo, s20
.LBB329_608:                            ;   in Loop: Header=BB329_12 Depth=1
	s_delay_alu instid0(SALU_CYCLE_1)
	s_or_b32 exec_lo, exec_lo, s19
.LBB329_609:                            ;   in Loop: Header=BB329_12 Depth=1
	s_delay_alu instid0(SALU_CYCLE_1) | instskip(SKIP_3) | instid1(VALU_DEP_2)
	s_or_b32 exec_lo, exec_lo, s18
	v_dual_lshrrev_b32 v17, 16, v16 :: v_dual_mov_b32 v83, 0
	v_mov_b32_e32 v20, 0
	s_mov_b32 s18, exec_lo
	v_and_b32_e32 v19, 0xff, v17
	s_delay_alu instid0(VALU_DEP_1)
	v_cmpx_ne_u16_e32 0, v19
	s_cbranch_execz .LBB329_617
; %bb.610:                              ;   in Loop: Header=BB329_12 Depth=1
	v_bfrev_b32_e32 v20, 1
	s_mov_b32 s19, exec_lo
	v_cmpx_ne_u16_e32 0x80, v19
	s_cbranch_execz .LBB329_616
; %bb.611:                              ;   in Loop: Header=BB329_12 Depth=1
	v_bfe_u32 v70, v16, 16, 7
	v_mov_b32_e32 v20, 0x7f800001
	s_mov_b32 s20, exec_lo
	s_delay_alu instid0(VALU_DEP_2)
	v_cmpx_ne_u32_e32 0x7f, v70
	s_cbranch_execz .LBB329_615
; %bb.612:                              ;   in Loop: Header=BB329_12 Depth=1
	v_dual_lshrrev_b32 v19, 3, v70 :: v_dual_bitop2_b32 v66, 7, v17 bitop3:0x40
	s_mov_b32 s21, exec_lo
	s_delay_alu instid0(VALU_DEP_1)
	v_mov_b64_e32 v[86:87], v[66:67]
	v_cmpx_gt_u32_e32 8, v70
; %bb.613:                              ;   in Loop: Header=BB329_12 Depth=1
	v_clz_i32_u32_e32 v19, v66
	s_delay_alu instid0(VALU_DEP_1) | instskip(NEXT) | instid1(VALU_DEP_1)
	v_min_u32_e32 v19, 32, v19
	v_subrev_nc_u32_e32 v20, 28, v19
	s_delay_alu instid0(VALU_DEP_1) | instskip(NEXT) | instid1(VALU_DEP_1)
	v_lshlrev_b64_e32 v[70:71], v20, v[66:67]
	v_dual_sub_nc_u32 v19, 29, v19 :: v_dual_bitop2_b32 v86, 7, v70 bitop3:0x40
; %bb.614:                              ;   in Loop: Header=BB329_12 Depth=1
	s_or_b32 exec_lo, exec_lo, s21
	s_delay_alu instid0(VALU_DEP_1) | instskip(NEXT) | instid1(VALU_DEP_2)
	v_dual_lshlrev_b32 v17, 24, v17 :: v_dual_lshlrev_b32 v20, 20, v86
	v_lshl_add_u32 v19, v19, 23, 0x3c000000
	s_delay_alu instid0(VALU_DEP_2) | instskip(NEXT) | instid1(VALU_DEP_1)
	v_and_b32_e32 v17, 0x80000000, v17
	v_or3_b32 v20, v20, v17, v19
.LBB329_615:                            ;   in Loop: Header=BB329_12 Depth=1
	s_or_b32 exec_lo, exec_lo, s20
.LBB329_616:                            ;   in Loop: Header=BB329_12 Depth=1
	s_delay_alu instid0(SALU_CYCLE_1)
	s_or_b32 exec_lo, exec_lo, s19
.LBB329_617:                            ;   in Loop: Header=BB329_12 Depth=1
	s_delay_alu instid0(SALU_CYCLE_1) | instskip(NEXT) | instid1(SALU_CYCLE_1)
	s_or_b32 exec_lo, exec_lo, s18
	s_mov_b32 s18, exec_lo
	v_cmpx_lt_u32_e32 0xffffff, v16
	s_cbranch_execz .LBB329_625
; %bb.618:                              ;   in Loop: Header=BB329_12 Depth=1
	v_lshrrev_b32_e32 v17, 24, v16
	v_bfrev_b32_e32 v83, 1
	s_mov_b32 s19, exec_lo
	s_delay_alu instid0(VALU_DEP_2)
	v_cmpx_ne_u32_e32 0x80, v17
	s_cbranch_execz .LBB329_624
; %bb.619:                              ;   in Loop: Header=BB329_12 Depth=1
	v_bfe_u32 v19, v16, 24, 7
	v_mov_b32_e32 v83, 0x7f800001
	s_mov_b32 s20, exec_lo
	s_delay_alu instid0(VALU_DEP_2)
	v_cmpx_ne_u32_e32 0x7f, v19
	s_cbranch_execz .LBB329_623
; %bb.620:                              ;   in Loop: Header=BB329_12 Depth=1
	v_dual_lshrrev_b32 v16, 3, v19 :: v_dual_bitop2_b32 v66, 7, v17 bitop3:0x40
	s_mov_b32 s21, exec_lo
	s_delay_alu instid0(VALU_DEP_1)
	v_mov_b64_e32 v[86:87], v[66:67]
	v_cmpx_gt_u32_e32 8, v19
; %bb.621:                              ;   in Loop: Header=BB329_12 Depth=1
	v_clz_i32_u32_e32 v16, v66
	s_delay_alu instid0(VALU_DEP_1) | instskip(NEXT) | instid1(VALU_DEP_1)
	v_min_u32_e32 v16, 32, v16
	v_subrev_nc_u32_e32 v19, 28, v16
	s_delay_alu instid0(VALU_DEP_1) | instskip(NEXT) | instid1(VALU_DEP_1)
	v_lshlrev_b64_e32 v[70:71], v19, v[66:67]
	v_dual_sub_nc_u32 v16, 29, v16 :: v_dual_bitop2_b32 v86, 7, v70 bitop3:0x40
; %bb.622:                              ;   in Loop: Header=BB329_12 Depth=1
	s_or_b32 exec_lo, exec_lo, s21
	s_delay_alu instid0(VALU_DEP_1) | instskip(NEXT) | instid1(VALU_DEP_2)
	v_dual_lshlrev_b32 v17, 24, v17 :: v_dual_lshlrev_b32 v19, 20, v86
	v_lshl_add_u32 v16, v16, 23, 0x3c000000
	s_delay_alu instid0(VALU_DEP_2) | instskip(NEXT) | instid1(VALU_DEP_1)
	v_and_b32_e32 v17, 0x80000000, v17
	v_or3_b32 v83, v19, v17, v16
.LBB329_623:                            ;   in Loop: Header=BB329_12 Depth=1
	s_or_b32 exec_lo, exec_lo, s20
.LBB329_624:                            ;   in Loop: Header=BB329_12 Depth=1
	s_delay_alu instid0(SALU_CYCLE_1)
	s_or_b32 exec_lo, exec_lo, s19
.LBB329_625:                            ;   in Loop: Header=BB329_12 Depth=1
	s_delay_alu instid0(SALU_CYCLE_1)
	s_or_b32 exec_lo, exec_lo, s18
	flat_load_b32 v19, v[84:85] offset:2312
	v_dual_mov_b32 v103, 0 :: v_dual_mov_b32 v101, 0
	s_mov_b32 s18, exec_lo
	s_wait_loadcnt_dscnt 0x0
	v_and_b32_e32 v16, 0xff, v19
	s_wait_xcnt 0x0
	s_delay_alu instid0(VALU_DEP_1)
	v_cmpx_ne_u16_e32 0, v16
	s_cbranch_execz .LBB329_633
; %bb.626:                              ;   in Loop: Header=BB329_12 Depth=1
	v_bfrev_b32_e32 v101, 1
	s_mov_b32 s19, exec_lo
	v_cmpx_ne_u16_e32 0x80, v16
	s_cbranch_execz .LBB329_632
; %bb.627:                              ;   in Loop: Header=BB329_12 Depth=1
	v_and_b32_e32 v17, 0x7f, v19
	v_mov_b32_e32 v101, 0x7f800001
	s_mov_b32 s20, exec_lo
	s_delay_alu instid0(VALU_DEP_2)
	v_cmpx_ne_u32_e32 0x7f, v17
	s_cbranch_execz .LBB329_631
; %bb.628:                              ;   in Loop: Header=BB329_12 Depth=1
	v_dual_lshrrev_b32 v16, 3, v17 :: v_dual_bitop2_b32 v66, 7, v19 bitop3:0x40
	s_mov_b32 s21, exec_lo
	s_delay_alu instid0(VALU_DEP_1)
	v_mov_b64_e32 v[86:87], v[66:67]
	v_cmpx_gt_u32_e32 8, v17
; %bb.629:                              ;   in Loop: Header=BB329_12 Depth=1
	v_clz_i32_u32_e32 v16, v66
	s_delay_alu instid0(VALU_DEP_1) | instskip(NEXT) | instid1(VALU_DEP_1)
	v_min_u32_e32 v16, 32, v16
	v_subrev_nc_u32_e32 v17, 28, v16
	s_delay_alu instid0(VALU_DEP_1) | instskip(NEXT) | instid1(VALU_DEP_1)
	v_lshlrev_b64_e32 v[70:71], v17, v[66:67]
	v_dual_sub_nc_u32 v16, 29, v16 :: v_dual_bitop2_b32 v86, 7, v70 bitop3:0x40
; %bb.630:                              ;   in Loop: Header=BB329_12 Depth=1
	s_or_b32 exec_lo, exec_lo, s21
	s_delay_alu instid0(VALU_DEP_1) | instskip(NEXT) | instid1(VALU_DEP_2)
	v_dual_lshlrev_b32 v17, 24, v19 :: v_dual_lshlrev_b32 v66, 20, v86
	v_lshl_add_u32 v16, v16, 23, 0x3c000000
	s_delay_alu instid0(VALU_DEP_2) | instskip(NEXT) | instid1(VALU_DEP_1)
	v_and_b32_e32 v17, 0x80000000, v17
	v_or3_b32 v101, v66, v17, v16
.LBB329_631:                            ;   in Loop: Header=BB329_12 Depth=1
	s_or_b32 exec_lo, exec_lo, s20
.LBB329_632:                            ;   in Loop: Header=BB329_12 Depth=1
	s_delay_alu instid0(SALU_CYCLE_1)
	s_or_b32 exec_lo, exec_lo, s19
.LBB329_633:                            ;   in Loop: Header=BB329_12 Depth=1
	s_delay_alu instid0(SALU_CYCLE_1) | instskip(SKIP_2) | instid1(VALU_DEP_1)
	s_or_b32 exec_lo, exec_lo, s18
	v_lshrrev_b16 v16, 8, v19
	s_mov_b32 s18, exec_lo
	v_cmpx_ne_u16_e32 0, v16
	s_cbranch_execz .LBB329_641
; %bb.634:                              ;   in Loop: Header=BB329_12 Depth=1
	v_bfrev_b32_e32 v103, 1
	s_mov_b32 s19, exec_lo
	v_cmpx_ne_u16_e32 0x80, v16
	s_cbranch_execz .LBB329_640
; %bb.635:                              ;   in Loop: Header=BB329_12 Depth=1
	v_and_b32_e32 v16, 0xffff, v16
	v_mov_b32_e32 v103, 0x7f800001
	s_mov_b32 s20, exec_lo
	s_delay_alu instid0(VALU_DEP_2) | instskip(NEXT) | instid1(VALU_DEP_1)
	v_and_b32_e32 v17, 0x7f, v16
	v_cmpx_ne_u32_e32 0x7f, v17
	s_cbranch_execz .LBB329_639
; %bb.636:                              ;   in Loop: Header=BB329_12 Depth=1
	v_dual_lshrrev_b32 v16, 3, v17 :: v_dual_bitop2_b32 v66, 7, v16 bitop3:0x40
	s_mov_b32 s21, exec_lo
	s_delay_alu instid0(VALU_DEP_1)
	v_mov_b64_e32 v[86:87], v[66:67]
	v_cmpx_gt_u32_e32 8, v17
; %bb.637:                              ;   in Loop: Header=BB329_12 Depth=1
	v_clz_i32_u32_e32 v16, v66
	s_delay_alu instid0(VALU_DEP_1) | instskip(NEXT) | instid1(VALU_DEP_1)
	v_min_u32_e32 v16, 32, v16
	v_subrev_nc_u32_e32 v17, 28, v16
	s_delay_alu instid0(VALU_DEP_1) | instskip(NEXT) | instid1(VALU_DEP_1)
	v_lshlrev_b64_e32 v[70:71], v17, v[66:67]
	v_dual_sub_nc_u32 v16, 29, v16 :: v_dual_bitop2_b32 v86, 7, v70 bitop3:0x40
; %bb.638:                              ;   in Loop: Header=BB329_12 Depth=1
	s_or_b32 exec_lo, exec_lo, s21
	s_delay_alu instid0(VALU_DEP_1) | instskip(NEXT) | instid1(VALU_DEP_2)
	v_dual_lshlrev_b32 v17, 16, v19 :: v_dual_lshlrev_b32 v66, 20, v86
	v_lshl_add_u32 v16, v16, 23, 0x3c000000
	s_delay_alu instid0(VALU_DEP_2) | instskip(NEXT) | instid1(VALU_DEP_1)
	v_and_b32_e32 v17, 0x80000000, v17
	v_or3_b32 v103, v66, v17, v16
.LBB329_639:                            ;   in Loop: Header=BB329_12 Depth=1
	s_or_b32 exec_lo, exec_lo, s20
.LBB329_640:                            ;   in Loop: Header=BB329_12 Depth=1
	s_delay_alu instid0(SALU_CYCLE_1)
	s_or_b32 exec_lo, exec_lo, s19
.LBB329_641:                            ;   in Loop: Header=BB329_12 Depth=1
	s_delay_alu instid0(SALU_CYCLE_1) | instskip(SKIP_3) | instid1(VALU_DEP_2)
	s_or_b32 exec_lo, exec_lo, s18
	v_dual_lshrrev_b32 v70, 16, v19 :: v_dual_mov_b32 v16, 0
	v_mov_b32_e32 v17, 0
	s_mov_b32 s18, exec_lo
	v_and_b32_e32 v66, 0xff, v70
	s_delay_alu instid0(VALU_DEP_1)
	v_cmpx_ne_u16_e32 0, v66
	s_cbranch_execz .LBB329_649
; %bb.642:                              ;   in Loop: Header=BB329_12 Depth=1
	v_bfrev_b32_e32 v17, 1
	s_mov_b32 s19, exec_lo
	v_cmpx_ne_u16_e32 0x80, v66
	s_cbranch_execz .LBB329_648
; %bb.643:                              ;   in Loop: Header=BB329_12 Depth=1
	v_bfe_u32 v71, v19, 16, 7
	v_mov_b32_e32 v17, 0x7f800001
	s_mov_b32 s20, exec_lo
	s_delay_alu instid0(VALU_DEP_2)
	v_cmpx_ne_u32_e32 0x7f, v71
	s_cbranch_execz .LBB329_647
; %bb.644:                              ;   in Loop: Header=BB329_12 Depth=1
	v_dual_lshrrev_b32 v17, 3, v71 :: v_dual_bitop2_b32 v66, 7, v70 bitop3:0x40
	s_mov_b32 s21, exec_lo
	s_delay_alu instid0(VALU_DEP_1)
	v_mov_b64_e32 v[86:87], v[66:67]
	v_cmpx_gt_u32_e32 8, v71
; %bb.645:                              ;   in Loop: Header=BB329_12 Depth=1
	v_clz_i32_u32_e32 v17, v66
	s_delay_alu instid0(VALU_DEP_1) | instskip(NEXT) | instid1(VALU_DEP_1)
	v_min_u32_e32 v17, 32, v17
	v_subrev_nc_u32_e32 v71, 28, v17
	s_delay_alu instid0(VALU_DEP_1) | instskip(NEXT) | instid1(VALU_DEP_1)
	v_lshlrev_b64_e32 v[86:87], v71, v[66:67]
	v_dual_sub_nc_u32 v17, 29, v17 :: v_dual_bitop2_b32 v86, 7, v86 bitop3:0x40
; %bb.646:                              ;   in Loop: Header=BB329_12 Depth=1
	s_or_b32 exec_lo, exec_lo, s21
	v_lshlrev_b32_e32 v66, 24, v70
	s_delay_alu instid0(VALU_DEP_2) | instskip(NEXT) | instid1(VALU_DEP_3)
	v_lshlrev_b32_e32 v70, 20, v86
	v_lshl_add_u32 v17, v17, 23, 0x3c000000
	s_delay_alu instid0(VALU_DEP_3) | instskip(NEXT) | instid1(VALU_DEP_1)
	v_and_b32_e32 v66, 0x80000000, v66
	v_or3_b32 v17, v70, v66, v17
.LBB329_647:                            ;   in Loop: Header=BB329_12 Depth=1
	s_or_b32 exec_lo, exec_lo, s20
.LBB329_648:                            ;   in Loop: Header=BB329_12 Depth=1
	s_delay_alu instid0(SALU_CYCLE_1)
	s_or_b32 exec_lo, exec_lo, s19
.LBB329_649:                            ;   in Loop: Header=BB329_12 Depth=1
	s_delay_alu instid0(SALU_CYCLE_1) | instskip(NEXT) | instid1(SALU_CYCLE_1)
	s_or_b32 exec_lo, exec_lo, s18
	s_mov_b32 s18, exec_lo
	v_cmpx_lt_u32_e32 0xffffff, v19
	s_cbranch_execz .LBB329_657
; %bb.650:                              ;   in Loop: Header=BB329_12 Depth=1
	v_lshrrev_b32_e32 v70, 24, v19
	v_bfrev_b32_e32 v16, 1
	s_mov_b32 s19, exec_lo
	s_delay_alu instid0(VALU_DEP_2)
	v_cmpx_ne_u32_e32 0x80, v70
	s_cbranch_execz .LBB329_656
; %bb.651:                              ;   in Loop: Header=BB329_12 Depth=1
	v_bfe_u32 v19, v19, 24, 7
	v_mov_b32_e32 v16, 0x7f800001
	s_mov_b32 s20, exec_lo
	s_delay_alu instid0(VALU_DEP_2)
	v_cmpx_ne_u32_e32 0x7f, v19
	s_cbranch_execz .LBB329_655
; %bb.652:                              ;   in Loop: Header=BB329_12 Depth=1
	v_dual_lshrrev_b32 v16, 3, v19 :: v_dual_bitop2_b32 v66, 7, v70 bitop3:0x40
	s_mov_b32 s21, exec_lo
	s_delay_alu instid0(VALU_DEP_1)
	v_mov_b64_e32 v[86:87], v[66:67]
	v_cmpx_gt_u32_e32 8, v19
; %bb.653:                              ;   in Loop: Header=BB329_12 Depth=1
	v_clz_i32_u32_e32 v16, v66
	s_delay_alu instid0(VALU_DEP_1) | instskip(NEXT) | instid1(VALU_DEP_1)
	v_min_u32_e32 v16, 32, v16
	v_subrev_nc_u32_e32 v19, 28, v16
	s_delay_alu instid0(VALU_DEP_1) | instskip(NEXT) | instid1(VALU_DEP_1)
	v_lshlrev_b64_e32 v[86:87], v19, v[66:67]
	v_dual_sub_nc_u32 v16, 29, v16 :: v_dual_bitop2_b32 v86, 7, v86 bitop3:0x40
; %bb.654:                              ;   in Loop: Header=BB329_12 Depth=1
	s_or_b32 exec_lo, exec_lo, s21
	v_lshlrev_b32_e32 v19, 24, v70
	s_delay_alu instid0(VALU_DEP_2) | instskip(NEXT) | instid1(VALU_DEP_3)
	v_lshlrev_b32_e32 v66, 20, v86
	v_lshl_add_u32 v16, v16, 23, 0x3c000000
	s_delay_alu instid0(VALU_DEP_3) | instskip(NEXT) | instid1(VALU_DEP_1)
	v_and_b32_e32 v19, 0x80000000, v19
	v_or3_b32 v16, v66, v19, v16
.LBB329_655:                            ;   in Loop: Header=BB329_12 Depth=1
	s_or_b32 exec_lo, exec_lo, s20
.LBB329_656:                            ;   in Loop: Header=BB329_12 Depth=1
	s_delay_alu instid0(SALU_CYCLE_1)
	s_or_b32 exec_lo, exec_lo, s19
.LBB329_657:                            ;   in Loop: Header=BB329_12 Depth=1
	s_delay_alu instid0(SALU_CYCLE_1)
	s_or_b32 exec_lo, exec_lo, s18
	flat_load_b32 v71, v[84:85] offset:2560
	v_dual_mov_b32 v70, 0 :: v_dual_mov_b32 v41, 0
	s_mov_b32 s18, exec_lo
	s_wait_loadcnt_dscnt 0x0
	v_and_b32_e32 v19, 0xff, v71
	s_wait_xcnt 0x0
	s_delay_alu instid0(VALU_DEP_1)
	v_cmpx_ne_u16_e32 0, v19
	s_cbranch_execz .LBB329_665
; %bb.658:                              ;   in Loop: Header=BB329_12 Depth=1
	v_bfrev_b32_e32 v41, 1
	s_mov_b32 s19, exec_lo
	v_cmpx_ne_u16_e32 0x80, v19
	s_cbranch_execz .LBB329_664
; %bb.659:                              ;   in Loop: Header=BB329_12 Depth=1
	v_and_b32_e32 v86, 0x7f, v71
	v_mov_b32_e32 v41, 0x7f800001
	s_mov_b32 s20, exec_lo
	s_delay_alu instid0(VALU_DEP_2)
	v_cmpx_ne_u32_e32 0x7f, v86
	s_cbranch_execz .LBB329_663
; %bb.660:                              ;   in Loop: Header=BB329_12 Depth=1
	v_dual_lshrrev_b32 v19, 3, v86 :: v_dual_bitop2_b32 v66, 7, v71 bitop3:0x40
	v_cmp_gt_u32_e64 s2, 8, v86
	s_delay_alu instid0(VALU_DEP_2)
	v_mov_b64_e32 v[86:87], v[66:67]
	s_and_saveexec_b32 s21, s2
; %bb.661:                              ;   in Loop: Header=BB329_12 Depth=1
	v_clz_i32_u32_e32 v19, v66
	s_delay_alu instid0(VALU_DEP_1) | instskip(NEXT) | instid1(VALU_DEP_1)
	v_min_u32_e32 v19, 32, v19
	v_subrev_nc_u32_e32 v86, 28, v19
	s_delay_alu instid0(VALU_DEP_1) | instskip(NEXT) | instid1(VALU_DEP_1)
	v_lshlrev_b64_e32 v[86:87], v86, v[66:67]
	v_dual_sub_nc_u32 v19, 29, v19 :: v_dual_bitop2_b32 v86, 7, v86 bitop3:0x40
; %bb.662:                              ;   in Loop: Header=BB329_12 Depth=1
	s_or_b32 exec_lo, exec_lo, s21
	s_delay_alu instid0(VALU_DEP_1) | instskip(NEXT) | instid1(VALU_DEP_2)
	v_dual_lshlrev_b32 v66, 24, v71 :: v_dual_lshlrev_b32 v86, 20, v86
	v_lshl_add_u32 v19, v19, 23, 0x3c000000
	s_delay_alu instid0(VALU_DEP_2) | instskip(NEXT) | instid1(VALU_DEP_1)
	v_and_b32_e32 v66, 0x80000000, v66
	v_or3_b32 v41, v86, v66, v19
.LBB329_663:                            ;   in Loop: Header=BB329_12 Depth=1
	s_or_b32 exec_lo, exec_lo, s20
.LBB329_664:                            ;   in Loop: Header=BB329_12 Depth=1
	s_delay_alu instid0(SALU_CYCLE_1)
	s_or_b32 exec_lo, exec_lo, s19
.LBB329_665:                            ;   in Loop: Header=BB329_12 Depth=1
	s_delay_alu instid0(SALU_CYCLE_1) | instskip(SKIP_2) | instid1(VALU_DEP_1)
	s_or_b32 exec_lo, exec_lo, s18
	v_lshrrev_b16 v19, 8, v71
	s_mov_b32 s18, exec_lo
	v_cmpx_ne_u16_e32 0, v19
	s_cbranch_execz .LBB329_673
; %bb.666:                              ;   in Loop: Header=BB329_12 Depth=1
	v_bfrev_b32_e32 v70, 1
	s_mov_b32 s19, exec_lo
	v_cmpx_ne_u16_e32 0x80, v19
	s_cbranch_execz .LBB329_672
; %bb.667:                              ;   in Loop: Header=BB329_12 Depth=1
	v_and_b32_e32 v19, 0xffff, v19
	v_mov_b32_e32 v70, 0x7f800001
	s_mov_b32 s20, exec_lo
	s_delay_alu instid0(VALU_DEP_2) | instskip(NEXT) | instid1(VALU_DEP_1)
	v_and_b32_e32 v86, 0x7f, v19
	v_cmpx_ne_u32_e32 0x7f, v86
	s_cbranch_execz .LBB329_671
; %bb.668:                              ;   in Loop: Header=BB329_12 Depth=1
	v_dual_lshrrev_b32 v19, 3, v86 :: v_dual_bitop2_b32 v66, 7, v19 bitop3:0x40
	v_cmp_gt_u32_e64 s2, 8, v86
	s_delay_alu instid0(VALU_DEP_2)
	v_mov_b64_e32 v[86:87], v[66:67]
	s_and_saveexec_b32 s21, s2
; %bb.669:                              ;   in Loop: Header=BB329_12 Depth=1
	v_clz_i32_u32_e32 v19, v66
	s_delay_alu instid0(VALU_DEP_1) | instskip(NEXT) | instid1(VALU_DEP_1)
	v_min_u32_e32 v19, 32, v19
	v_subrev_nc_u32_e32 v70, 28, v19
	s_delay_alu instid0(VALU_DEP_1) | instskip(NEXT) | instid1(VALU_DEP_1)
	v_lshlrev_b64_e32 v[86:87], v70, v[66:67]
	v_dual_sub_nc_u32 v19, 29, v19 :: v_dual_bitop2_b32 v86, 7, v86 bitop3:0x40
; %bb.670:                              ;   in Loop: Header=BB329_12 Depth=1
	s_or_b32 exec_lo, exec_lo, s21
	s_delay_alu instid0(VALU_DEP_1) | instskip(NEXT) | instid1(VALU_DEP_2)
	v_dual_lshlrev_b32 v66, 16, v71 :: v_dual_lshlrev_b32 v70, 20, v86
	v_lshl_add_u32 v19, v19, 23, 0x3c000000
	s_delay_alu instid0(VALU_DEP_2) | instskip(NEXT) | instid1(VALU_DEP_1)
	v_and_b32_e32 v66, 0x80000000, v66
	v_or3_b32 v70, v70, v66, v19
.LBB329_671:                            ;   in Loop: Header=BB329_12 Depth=1
	s_or_b32 exec_lo, exec_lo, s20
.LBB329_672:                            ;   in Loop: Header=BB329_12 Depth=1
	s_delay_alu instid0(SALU_CYCLE_1)
	s_or_b32 exec_lo, exec_lo, s19
.LBB329_673:                            ;   in Loop: Header=BB329_12 Depth=1
	s_delay_alu instid0(SALU_CYCLE_1) | instskip(SKIP_3) | instid1(VALU_DEP_2)
	s_or_b32 exec_lo, exec_lo, s18
	v_dual_mov_b32 v113, 0 :: v_dual_lshrrev_b32 v40, 16, v71
	v_mov_b32_e32 v19, 0
	s_mov_b32 s18, exec_lo
	v_and_b32_e32 v66, 0xff, v40
	s_delay_alu instid0(VALU_DEP_1)
	v_cmpx_ne_u16_e32 0, v66
	s_cbranch_execz .LBB329_681
; %bb.674:                              ;   in Loop: Header=BB329_12 Depth=1
	v_bfrev_b32_e32 v19, 1
	s_mov_b32 s19, exec_lo
	v_cmpx_ne_u16_e32 0x80, v66
	s_cbranch_execz .LBB329_680
; %bb.675:                              ;   in Loop: Header=BB329_12 Depth=1
	v_bfe_u32 v86, v71, 16, 7
	v_mov_b32_e32 v19, 0x7f800001
	s_mov_b32 s20, exec_lo
	s_delay_alu instid0(VALU_DEP_2)
	v_cmpx_ne_u32_e32 0x7f, v86
	s_cbranch_execz .LBB329_679
; %bb.676:                              ;   in Loop: Header=BB329_12 Depth=1
	v_dual_lshrrev_b32 v19, 3, v86 :: v_dual_bitop2_b32 v66, 7, v40 bitop3:0x40
	v_cmp_gt_u32_e64 s2, 8, v86
	s_delay_alu instid0(VALU_DEP_2)
	v_mov_b64_e32 v[86:87], v[66:67]
	s_and_saveexec_b32 s21, s2
; %bb.677:                              ;   in Loop: Header=BB329_12 Depth=1
	v_clz_i32_u32_e32 v19, v66
	s_delay_alu instid0(VALU_DEP_1) | instskip(NEXT) | instid1(VALU_DEP_1)
	v_min_u32_e32 v19, 32, v19
	v_subrev_nc_u32_e32 v86, 28, v19
	s_delay_alu instid0(VALU_DEP_1) | instskip(NEXT) | instid1(VALU_DEP_1)
	v_lshlrev_b64_e32 v[86:87], v86, v[66:67]
	v_dual_sub_nc_u32 v19, 29, v19 :: v_dual_bitop2_b32 v86, 7, v86 bitop3:0x40
; %bb.678:                              ;   in Loop: Header=BB329_12 Depth=1
	s_or_b32 exec_lo, exec_lo, s21
	s_delay_alu instid0(VALU_DEP_1) | instskip(NEXT) | instid1(VALU_DEP_2)
	v_dual_lshlrev_b32 v66, 24, v40 :: v_dual_lshlrev_b32 v86, 20, v86
	v_lshl_add_u32 v19, v19, 23, 0x3c000000
	s_delay_alu instid0(VALU_DEP_2) | instskip(NEXT) | instid1(VALU_DEP_1)
	v_and_b32_e32 v66, 0x80000000, v66
	v_or3_b32 v19, v86, v66, v19
.LBB329_679:                            ;   in Loop: Header=BB329_12 Depth=1
	s_or_b32 exec_lo, exec_lo, s20
.LBB329_680:                            ;   in Loop: Header=BB329_12 Depth=1
	s_delay_alu instid0(SALU_CYCLE_1)
	s_or_b32 exec_lo, exec_lo, s19
.LBB329_681:                            ;   in Loop: Header=BB329_12 Depth=1
	s_delay_alu instid0(SALU_CYCLE_1) | instskip(NEXT) | instid1(SALU_CYCLE_1)
	s_or_b32 exec_lo, exec_lo, s18
	s_mov_b32 s18, exec_lo
	v_cmpx_lt_u32_e32 0xffffff, v71
	s_cbranch_execz .LBB329_689
; %bb.682:                              ;   in Loop: Header=BB329_12 Depth=1
	v_lshrrev_b32_e32 v40, 24, v71
	v_bfrev_b32_e32 v113, 1
	s_mov_b32 s19, exec_lo
	s_delay_alu instid0(VALU_DEP_2)
	v_cmpx_ne_u32_e32 0x80, v40
	s_cbranch_execz .LBB329_688
; %bb.683:                              ;   in Loop: Header=BB329_12 Depth=1
	v_bfe_u32 v86, v71, 24, 7
	v_mov_b32_e32 v113, 0x7f800001
	s_mov_b32 s20, exec_lo
	s_delay_alu instid0(VALU_DEP_2)
	v_cmpx_ne_u32_e32 0x7f, v86
	s_cbranch_execz .LBB329_687
; %bb.684:                              ;   in Loop: Header=BB329_12 Depth=1
	v_dual_lshrrev_b32 v71, 3, v86 :: v_dual_bitop2_b32 v66, 7, v40 bitop3:0x40
	v_cmp_gt_u32_e64 s2, 8, v86
	s_delay_alu instid0(VALU_DEP_2)
	v_mov_b64_e32 v[86:87], v[66:67]
	s_and_saveexec_b32 s21, s2
; %bb.685:                              ;   in Loop: Header=BB329_12 Depth=1
	v_clz_i32_u32_e32 v71, v66
	s_delay_alu instid0(VALU_DEP_1) | instskip(NEXT) | instid1(VALU_DEP_1)
	v_min_u32_e32 v71, 32, v71
	v_subrev_nc_u32_e32 v86, 28, v71
	s_delay_alu instid0(VALU_DEP_1) | instskip(NEXT) | instid1(VALU_DEP_1)
	v_lshlrev_b64_e32 v[86:87], v86, v[66:67]
	v_dual_sub_nc_u32 v71, 29, v71 :: v_dual_bitop2_b32 v86, 7, v86 bitop3:0x40
; %bb.686:                              ;   in Loop: Header=BB329_12 Depth=1
	s_or_b32 exec_lo, exec_lo, s21
	s_delay_alu instid0(VALU_DEP_1) | instskip(NEXT) | instid1(VALU_DEP_2)
	v_dual_lshlrev_b32 v66, 24, v40 :: v_dual_lshlrev_b32 v86, 20, v86
	v_lshl_add_u32 v71, v71, 23, 0x3c000000
	s_delay_alu instid0(VALU_DEP_2) | instskip(NEXT) | instid1(VALU_DEP_1)
	v_and_b32_e32 v66, 0x80000000, v66
	v_or3_b32 v113, v86, v66, v71
.LBB329_687:                            ;   in Loop: Header=BB329_12 Depth=1
	s_or_b32 exec_lo, exec_lo, s20
.LBB329_688:                            ;   in Loop: Header=BB329_12 Depth=1
	s_delay_alu instid0(SALU_CYCLE_1)
	s_or_b32 exec_lo, exec_lo, s19
.LBB329_689:                            ;   in Loop: Header=BB329_12 Depth=1
	s_delay_alu instid0(SALU_CYCLE_1)
	s_or_b32 exec_lo, exec_lo, s18
	flat_load_b32 v44, v[84:85] offset:2568
	v_dual_mov_b32 v40, 0 :: v_dual_mov_b32 v42, 0
	s_mov_b32 s18, exec_lo
	s_wait_loadcnt_dscnt 0x0
	v_and_b32_e32 v66, 0xff, v44
	s_wait_xcnt 0x0
	s_delay_alu instid0(VALU_DEP_1)
	v_cmpx_ne_u16_e32 0, v66
	s_cbranch_execz .LBB329_697
; %bb.690:                              ;   in Loop: Header=BB329_12 Depth=1
	v_bfrev_b32_e32 v42, 1
	s_mov_b32 s19, exec_lo
	v_cmpx_ne_u16_e32 0x80, v66
	s_cbranch_execz .LBB329_696
; %bb.691:                              ;   in Loop: Header=BB329_12 Depth=1
	v_and_b32_e32 v86, 0x7f, v44
	v_mov_b32_e32 v42, 0x7f800001
	s_mov_b32 s20, exec_lo
	s_delay_alu instid0(VALU_DEP_2)
	v_cmpx_ne_u32_e32 0x7f, v86
	s_cbranch_execz .LBB329_695
; %bb.692:                              ;   in Loop: Header=BB329_12 Depth=1
	v_dual_lshrrev_b32 v71, 3, v86 :: v_dual_bitop2_b32 v66, 7, v44 bitop3:0x40
	v_cmp_gt_u32_e64 s2, 8, v86
	s_delay_alu instid0(VALU_DEP_2)
	v_mov_b64_e32 v[86:87], v[66:67]
	s_and_saveexec_b32 s21, s2
; %bb.693:                              ;   in Loop: Header=BB329_12 Depth=1
	v_clz_i32_u32_e32 v71, v66
	s_delay_alu instid0(VALU_DEP_1) | instskip(NEXT) | instid1(VALU_DEP_1)
	v_min_u32_e32 v71, 32, v71
	v_subrev_nc_u32_e32 v86, 28, v71
	s_delay_alu instid0(VALU_DEP_1) | instskip(NEXT) | instid1(VALU_DEP_1)
	v_lshlrev_b64_e32 v[86:87], v86, v[66:67]
	v_dual_sub_nc_u32 v71, 29, v71 :: v_dual_bitop2_b32 v86, 7, v86 bitop3:0x40
; %bb.694:                              ;   in Loop: Header=BB329_12 Depth=1
	s_or_b32 exec_lo, exec_lo, s21
	s_delay_alu instid0(VALU_DEP_1) | instskip(NEXT) | instid1(VALU_DEP_2)
	v_dual_lshlrev_b32 v66, 24, v44 :: v_dual_lshlrev_b32 v86, 20, v86
	v_lshl_add_u32 v71, v71, 23, 0x3c000000
	s_delay_alu instid0(VALU_DEP_2) | instskip(NEXT) | instid1(VALU_DEP_1)
	v_and_b32_e32 v66, 0x80000000, v66
	v_or3_b32 v42, v86, v66, v71
.LBB329_695:                            ;   in Loop: Header=BB329_12 Depth=1
	s_or_b32 exec_lo, exec_lo, s20
.LBB329_696:                            ;   in Loop: Header=BB329_12 Depth=1
	s_delay_alu instid0(SALU_CYCLE_1)
	s_or_b32 exec_lo, exec_lo, s19
.LBB329_697:                            ;   in Loop: Header=BB329_12 Depth=1
	s_delay_alu instid0(SALU_CYCLE_1) | instskip(SKIP_2) | instid1(VALU_DEP_1)
	s_or_b32 exec_lo, exec_lo, s18
	v_lshrrev_b16 v66, 8, v44
	s_mov_b32 s18, exec_lo
	v_cmpx_ne_u16_e32 0, v66
	s_cbranch_execz .LBB329_705
; %bb.698:                              ;   in Loop: Header=BB329_12 Depth=1
	v_bfrev_b32_e32 v40, 1
	s_mov_b32 s19, exec_lo
	v_cmpx_ne_u16_e32 0x80, v66
	s_cbranch_execz .LBB329_704
; %bb.699:                              ;   in Loop: Header=BB329_12 Depth=1
	v_and_b32_e32 v66, 0xffff, v66
	v_mov_b32_e32 v40, 0x7f800001
	s_mov_b32 s20, exec_lo
	s_delay_alu instid0(VALU_DEP_2) | instskip(NEXT) | instid1(VALU_DEP_1)
	v_and_b32_e32 v43, 0x7f, v66
	v_cmpx_ne_u32_e32 0x7f, v43
	s_cbranch_execz .LBB329_703
; %bb.700:                              ;   in Loop: Header=BB329_12 Depth=1
	v_dual_lshrrev_b32 v71, 3, v43 :: v_dual_bitop2_b32 v66, 7, v66 bitop3:0x40
	s_mov_b32 s21, exec_lo
	s_delay_alu instid0(VALU_DEP_1)
	v_mov_b64_e32 v[86:87], v[66:67]
	v_cmpx_gt_u32_e32 8, v43
; %bb.701:                              ;   in Loop: Header=BB329_12 Depth=1
	v_clz_i32_u32_e32 v71, v66
	s_delay_alu instid0(VALU_DEP_1) | instskip(NEXT) | instid1(VALU_DEP_1)
	v_min_u32_e32 v71, 32, v71
	v_subrev_nc_u32_e32 v86, 28, v71
	s_delay_alu instid0(VALU_DEP_1) | instskip(NEXT) | instid1(VALU_DEP_1)
	v_lshlrev_b64_e32 v[86:87], v86, v[66:67]
	v_dual_sub_nc_u32 v71, 29, v71 :: v_dual_bitop2_b32 v86, 7, v86 bitop3:0x40
; %bb.702:                              ;   in Loop: Header=BB329_12 Depth=1
	s_or_b32 exec_lo, exec_lo, s21
	s_delay_alu instid0(VALU_DEP_1) | instskip(NEXT) | instid1(VALU_DEP_2)
	v_dual_lshlrev_b32 v66, 16, v44 :: v_dual_lshlrev_b32 v86, 20, v86
	v_lshl_add_u32 v71, v71, 23, 0x3c000000
	s_delay_alu instid0(VALU_DEP_2) | instskip(NEXT) | instid1(VALU_DEP_1)
	v_and_b32_e32 v66, 0x80000000, v66
	v_or3_b32 v40, v86, v66, v71
.LBB329_703:                            ;   in Loop: Header=BB329_12 Depth=1
	s_or_b32 exec_lo, exec_lo, s20
.LBB329_704:                            ;   in Loop: Header=BB329_12 Depth=1
	s_delay_alu instid0(SALU_CYCLE_1)
	s_or_b32 exec_lo, exec_lo, s19
.LBB329_705:                            ;   in Loop: Header=BB329_12 Depth=1
	s_delay_alu instid0(SALU_CYCLE_1) | instskip(SKIP_3) | instid1(VALU_DEP_2)
	s_or_b32 exec_lo, exec_lo, s18
	v_dual_lshrrev_b32 v45, 16, v44 :: v_dual_mov_b32 v71, 0
	v_mov_b32_e32 v43, 0
	s_mov_b32 s18, exec_lo
	v_and_b32_e32 v66, 0xff, v45
	s_delay_alu instid0(VALU_DEP_1)
	v_cmpx_ne_u16_e32 0, v66
	s_cbranch_execz .LBB329_713
; %bb.706:                              ;   in Loop: Header=BB329_12 Depth=1
	v_bfrev_b32_e32 v43, 1
	s_mov_b32 s19, exec_lo
	v_cmpx_ne_u16_e32 0x80, v66
	s_cbranch_execz .LBB329_712
; %bb.707:                              ;   in Loop: Header=BB329_12 Depth=1
	v_bfe_u32 v46, v44, 16, 7
	v_mov_b32_e32 v43, 0x7f800001
	s_mov_b32 s20, exec_lo
	s_delay_alu instid0(VALU_DEP_2)
	v_cmpx_ne_u32_e32 0x7f, v46
	s_cbranch_execz .LBB329_711
; %bb.708:                              ;   in Loop: Header=BB329_12 Depth=1
	v_and_b32_e32 v66, 7, v45
	s_mov_b32 s21, exec_lo
	s_delay_alu instid0(VALU_DEP_1)
	v_mov_b64_e32 v[86:87], v[66:67]
	v_lshrrev_b32_e32 v87, 3, v46
	v_cmpx_gt_u32_e32 8, v46
; %bb.709:                              ;   in Loop: Header=BB329_12 Depth=1
	v_clz_i32_u32_e32 v86, v66
	s_delay_alu instid0(VALU_DEP_1) | instskip(NEXT) | instid1(VALU_DEP_1)
	v_min_u32_e32 v43, 32, v86
	v_subrev_nc_u32_e32 v86, 28, v43
	s_delay_alu instid0(VALU_DEP_1) | instskip(NEXT) | instid1(VALU_DEP_1)
	v_lshlrev_b64_e32 v[86:87], v86, v[66:67]
	v_dual_sub_nc_u32 v87, 29, v43 :: v_dual_bitop2_b32 v86, 7, v86 bitop3:0x40
; %bb.710:                              ;   in Loop: Header=BB329_12 Depth=1
	s_or_b32 exec_lo, exec_lo, s21
	s_delay_alu instid0(VALU_DEP_1) | instskip(NEXT) | instid1(VALU_DEP_2)
	v_dual_lshlrev_b32 v66, 24, v45 :: v_dual_lshlrev_b32 v86, 20, v86
	v_lshl_add_u32 v87, v87, 23, 0x3c000000
	s_delay_alu instid0(VALU_DEP_2) | instskip(NEXT) | instid1(VALU_DEP_1)
	v_and_b32_e32 v66, 0x80000000, v66
	v_or3_b32 v43, v86, v66, v87
.LBB329_711:                            ;   in Loop: Header=BB329_12 Depth=1
	s_or_b32 exec_lo, exec_lo, s20
.LBB329_712:                            ;   in Loop: Header=BB329_12 Depth=1
	s_delay_alu instid0(SALU_CYCLE_1)
	s_or_b32 exec_lo, exec_lo, s19
.LBB329_713:                            ;   in Loop: Header=BB329_12 Depth=1
	s_delay_alu instid0(SALU_CYCLE_1) | instskip(NEXT) | instid1(SALU_CYCLE_1)
	s_or_b32 exec_lo, exec_lo, s18
	s_mov_b32 s18, exec_lo
	v_cmpx_lt_u32_e32 0xffffff, v44
	s_cbranch_execz .LBB329_721
; %bb.714:                              ;   in Loop: Header=BB329_12 Depth=1
	v_lshrrev_b32_e32 v45, 24, v44
	v_bfrev_b32_e32 v71, 1
	s_mov_b32 s19, exec_lo
	s_delay_alu instid0(VALU_DEP_2)
	v_cmpx_ne_u32_e32 0x80, v45
	s_cbranch_execz .LBB329_720
; %bb.715:                              ;   in Loop: Header=BB329_12 Depth=1
	v_bfe_u32 v44, v44, 24, 7
	v_mov_b32_e32 v71, 0x7f800001
	s_mov_b32 s20, exec_lo
	s_delay_alu instid0(VALU_DEP_2)
	v_cmpx_ne_u32_e32 0x7f, v44
	s_cbranch_execz .LBB329_719
; %bb.716:                              ;   in Loop: Header=BB329_12 Depth=1
	v_dual_lshrrev_b32 v71, 3, v44 :: v_dual_bitop2_b32 v66, 7, v45 bitop3:0x40
	s_mov_b32 s21, exec_lo
	s_delay_alu instid0(VALU_DEP_1)
	v_mov_b64_e32 v[86:87], v[66:67]
	v_cmpx_gt_u32_e32 8, v44
; %bb.717:                              ;   in Loop: Header=BB329_12 Depth=1
	v_clz_i32_u32_e32 v71, v66
	s_delay_alu instid0(VALU_DEP_1) | instskip(NEXT) | instid1(VALU_DEP_1)
	v_min_u32_e32 v71, 32, v71
	v_subrev_nc_u32_e32 v86, 28, v71
	s_delay_alu instid0(VALU_DEP_1) | instskip(NEXT) | instid1(VALU_DEP_1)
	v_lshlrev_b64_e32 v[86:87], v86, v[66:67]
	v_dual_sub_nc_u32 v71, 29, v71 :: v_dual_bitop2_b32 v86, 7, v86 bitop3:0x40
; %bb.718:                              ;   in Loop: Header=BB329_12 Depth=1
	s_or_b32 exec_lo, exec_lo, s21
	s_delay_alu instid0(VALU_DEP_1) | instskip(NEXT) | instid1(VALU_DEP_2)
	v_dual_lshlrev_b32 v66, 24, v45 :: v_dual_lshlrev_b32 v86, 20, v86
	v_lshl_add_u32 v71, v71, 23, 0x3c000000
	s_delay_alu instid0(VALU_DEP_2) | instskip(NEXT) | instid1(VALU_DEP_1)
	v_and_b32_e32 v66, 0x80000000, v66
	v_or3_b32 v71, v86, v66, v71
.LBB329_719:                            ;   in Loop: Header=BB329_12 Depth=1
	s_or_b32 exec_lo, exec_lo, s20
.LBB329_720:                            ;   in Loop: Header=BB329_12 Depth=1
	s_delay_alu instid0(SALU_CYCLE_1)
	s_or_b32 exec_lo, exec_lo, s19
.LBB329_721:                            ;   in Loop: Header=BB329_12 Depth=1
	s_delay_alu instid0(SALU_CYCLE_1)
	s_or_b32 exec_lo, exec_lo, s18
	flat_load_b32 v56, v[84:85] offset:2816
	v_dual_mov_b32 v45, 0 :: v_dual_mov_b32 v44, 0
	s_mov_b32 s18, exec_lo
	s_wait_loadcnt_dscnt 0x0
	v_and_b32_e32 v66, 0xff, v56
	s_wait_xcnt 0x0
	s_delay_alu instid0(VALU_DEP_1)
	v_cmpx_ne_u16_e32 0, v66
	s_cbranch_execz .LBB329_729
; %bb.722:                              ;   in Loop: Header=BB329_12 Depth=1
	v_bfrev_b32_e32 v44, 1
	s_mov_b32 s19, exec_lo
	v_cmpx_ne_u16_e32 0x80, v66
	s_cbranch_execz .LBB329_728
; %bb.723:                              ;   in Loop: Header=BB329_12 Depth=1
	v_and_b32_e32 v46, 0x7f, v56
	v_mov_b32_e32 v44, 0x7f800001
	s_mov_b32 s20, exec_lo
	s_delay_alu instid0(VALU_DEP_2)
	v_cmpx_ne_u32_e32 0x7f, v46
	s_cbranch_execz .LBB329_727
; %bb.724:                              ;   in Loop: Header=BB329_12 Depth=1
	v_and_b32_e32 v66, 7, v56
	s_mov_b32 s21, exec_lo
	s_delay_alu instid0(VALU_DEP_1)
	v_mov_b64_e32 v[86:87], v[66:67]
	v_lshrrev_b32_e32 v87, 3, v46
	v_cmpx_gt_u32_e32 8, v46
; %bb.725:                              ;   in Loop: Header=BB329_12 Depth=1
	v_clz_i32_u32_e32 v86, v66
	s_delay_alu instid0(VALU_DEP_1) | instskip(NEXT) | instid1(VALU_DEP_1)
	v_min_u32_e32 v44, 32, v86
	v_subrev_nc_u32_e32 v86, 28, v44
	s_delay_alu instid0(VALU_DEP_1) | instskip(NEXT) | instid1(VALU_DEP_1)
	v_lshlrev_b64_e32 v[86:87], v86, v[66:67]
	v_dual_sub_nc_u32 v87, 29, v44 :: v_dual_bitop2_b32 v86, 7, v86 bitop3:0x40
; %bb.726:                              ;   in Loop: Header=BB329_12 Depth=1
	s_or_b32 exec_lo, exec_lo, s21
	s_delay_alu instid0(VALU_DEP_1) | instskip(NEXT) | instid1(VALU_DEP_2)
	v_dual_lshlrev_b32 v66, 24, v56 :: v_dual_lshlrev_b32 v86, 20, v86
	v_lshl_add_u32 v87, v87, 23, 0x3c000000
	s_delay_alu instid0(VALU_DEP_2) | instskip(NEXT) | instid1(VALU_DEP_1)
	v_and_b32_e32 v66, 0x80000000, v66
	v_or3_b32 v44, v86, v66, v87
.LBB329_727:                            ;   in Loop: Header=BB329_12 Depth=1
	s_or_b32 exec_lo, exec_lo, s20
.LBB329_728:                            ;   in Loop: Header=BB329_12 Depth=1
	s_delay_alu instid0(SALU_CYCLE_1)
	s_or_b32 exec_lo, exec_lo, s19
.LBB329_729:                            ;   in Loop: Header=BB329_12 Depth=1
	s_delay_alu instid0(SALU_CYCLE_1) | instskip(SKIP_2) | instid1(VALU_DEP_1)
	s_or_b32 exec_lo, exec_lo, s18
	v_lshrrev_b16 v66, 8, v56
	s_mov_b32 s18, exec_lo
	v_cmpx_ne_u16_e32 0, v66
	s_cbranch_execz .LBB329_737
; %bb.730:                              ;   in Loop: Header=BB329_12 Depth=1
	v_bfrev_b32_e32 v45, 1
	s_mov_b32 s19, exec_lo
	v_cmpx_ne_u16_e32 0x80, v66
	s_cbranch_execz .LBB329_736
; %bb.731:                              ;   in Loop: Header=BB329_12 Depth=1
	v_and_b32_e32 v66, 0xffff, v66
	v_mov_b32_e32 v45, 0x7f800001
	s_mov_b32 s20, exec_lo
	s_delay_alu instid0(VALU_DEP_2) | instskip(NEXT) | instid1(VALU_DEP_1)
	v_and_b32_e32 v46, 0x7f, v66
	v_cmpx_ne_u32_e32 0x7f, v46
	s_cbranch_execz .LBB329_735
; %bb.732:                              ;   in Loop: Header=BB329_12 Depth=1
	v_and_b32_e32 v66, 7, v66
	s_mov_b32 s21, exec_lo
	s_delay_alu instid0(VALU_DEP_1)
	v_mov_b64_e32 v[86:87], v[66:67]
	v_lshrrev_b32_e32 v87, 3, v46
	v_cmpx_gt_u32_e32 8, v46
; %bb.733:                              ;   in Loop: Header=BB329_12 Depth=1
	v_clz_i32_u32_e32 v86, v66
	s_delay_alu instid0(VALU_DEP_1) | instskip(NEXT) | instid1(VALU_DEP_1)
	v_min_u32_e32 v45, 32, v86
	v_subrev_nc_u32_e32 v86, 28, v45
	s_delay_alu instid0(VALU_DEP_1) | instskip(NEXT) | instid1(VALU_DEP_1)
	v_lshlrev_b64_e32 v[86:87], v86, v[66:67]
	v_dual_sub_nc_u32 v87, 29, v45 :: v_dual_bitop2_b32 v86, 7, v86 bitop3:0x40
; %bb.734:                              ;   in Loop: Header=BB329_12 Depth=1
	s_or_b32 exec_lo, exec_lo, s21
	s_delay_alu instid0(VALU_DEP_1) | instskip(NEXT) | instid1(VALU_DEP_2)
	v_dual_lshlrev_b32 v66, 16, v56 :: v_dual_lshlrev_b32 v86, 20, v86
	v_lshl_add_u32 v87, v87, 23, 0x3c000000
	s_delay_alu instid0(VALU_DEP_2) | instskip(NEXT) | instid1(VALU_DEP_1)
	v_and_b32_e32 v66, 0x80000000, v66
	v_or3_b32 v45, v86, v66, v87
.LBB329_735:                            ;   in Loop: Header=BB329_12 Depth=1
	s_or_b32 exec_lo, exec_lo, s20
.LBB329_736:                            ;   in Loop: Header=BB329_12 Depth=1
	s_delay_alu instid0(SALU_CYCLE_1)
	s_or_b32 exec_lo, exec_lo, s19
.LBB329_737:                            ;   in Loop: Header=BB329_12 Depth=1
	s_delay_alu instid0(SALU_CYCLE_1) | instskip(SKIP_3) | instid1(VALU_DEP_2)
	s_or_b32 exec_lo, exec_lo, s18
	v_dual_mov_b32 v46, 0 :: v_dual_lshrrev_b32 v57, 16, v56
	v_mov_b32_e32 v47, 0
	s_mov_b32 s18, exec_lo
	v_and_b32_e32 v66, 0xff, v57
	s_delay_alu instid0(VALU_DEP_1)
	v_cmpx_ne_u16_e32 0, v66
	s_cbranch_execz .LBB329_745
; %bb.738:                              ;   in Loop: Header=BB329_12 Depth=1
	v_bfrev_b32_e32 v47, 1
	s_mov_b32 s19, exec_lo
	v_cmpx_ne_u16_e32 0x80, v66
	s_cbranch_execz .LBB329_744
; %bb.739:                              ;   in Loop: Header=BB329_12 Depth=1
	v_bfe_u32 v58, v56, 16, 7
	v_mov_b32_e32 v47, 0x7f800001
	s_mov_b32 s20, exec_lo
	s_delay_alu instid0(VALU_DEP_2)
	v_cmpx_ne_u32_e32 0x7f, v58
	s_cbranch_execz .LBB329_743
; %bb.740:                              ;   in Loop: Header=BB329_12 Depth=1
	v_and_b32_e32 v66, 7, v57
	s_mov_b32 s21, exec_lo
	s_delay_alu instid0(VALU_DEP_1)
	v_mov_b64_e32 v[86:87], v[66:67]
	v_lshrrev_b32_e32 v87, 3, v58
	v_cmpx_gt_u32_e32 8, v58
; %bb.741:                              ;   in Loop: Header=BB329_12 Depth=1
	v_clz_i32_u32_e32 v86, v66
	s_delay_alu instid0(VALU_DEP_1) | instskip(NEXT) | instid1(VALU_DEP_1)
	v_min_u32_e32 v47, 32, v86
	v_subrev_nc_u32_e32 v86, 28, v47
	s_delay_alu instid0(VALU_DEP_1) | instskip(NEXT) | instid1(VALU_DEP_1)
	v_lshlrev_b64_e32 v[86:87], v86, v[66:67]
	v_dual_sub_nc_u32 v87, 29, v47 :: v_dual_bitop2_b32 v86, 7, v86 bitop3:0x40
; %bb.742:                              ;   in Loop: Header=BB329_12 Depth=1
	s_or_b32 exec_lo, exec_lo, s21
	s_delay_alu instid0(VALU_DEP_1) | instskip(NEXT) | instid1(VALU_DEP_2)
	v_dual_lshlrev_b32 v66, 24, v57 :: v_dual_lshlrev_b32 v86, 20, v86
	v_lshl_add_u32 v87, v87, 23, 0x3c000000
	s_delay_alu instid0(VALU_DEP_2) | instskip(NEXT) | instid1(VALU_DEP_1)
	v_and_b32_e32 v66, 0x80000000, v66
	v_or3_b32 v47, v86, v66, v87
.LBB329_743:                            ;   in Loop: Header=BB329_12 Depth=1
	s_or_b32 exec_lo, exec_lo, s20
.LBB329_744:                            ;   in Loop: Header=BB329_12 Depth=1
	s_delay_alu instid0(SALU_CYCLE_1)
	s_or_b32 exec_lo, exec_lo, s19
.LBB329_745:                            ;   in Loop: Header=BB329_12 Depth=1
	s_delay_alu instid0(SALU_CYCLE_1) | instskip(NEXT) | instid1(SALU_CYCLE_1)
	s_or_b32 exec_lo, exec_lo, s18
	s_mov_b32 s18, exec_lo
	v_cmpx_lt_u32_e32 0xffffff, v56
	s_cbranch_execz .LBB329_753
; %bb.746:                              ;   in Loop: Header=BB329_12 Depth=1
	v_lshrrev_b32_e32 v57, 24, v56
	v_bfrev_b32_e32 v46, 1
	s_mov_b32 s19, exec_lo
	s_delay_alu instid0(VALU_DEP_2)
	v_cmpx_ne_u32_e32 0x80, v57
	s_cbranch_execz .LBB329_752
; %bb.747:                              ;   in Loop: Header=BB329_12 Depth=1
	v_bfe_u32 v56, v56, 24, 7
	v_mov_b32_e32 v46, 0x7f800001
	s_mov_b32 s20, exec_lo
	s_delay_alu instid0(VALU_DEP_2)
	v_cmpx_ne_u32_e32 0x7f, v56
	s_cbranch_execz .LBB329_751
; %bb.748:                              ;   in Loop: Header=BB329_12 Depth=1
	v_and_b32_e32 v66, 7, v57
	s_mov_b32 s21, exec_lo
	s_delay_alu instid0(VALU_DEP_1)
	v_mov_b64_e32 v[86:87], v[66:67]
	v_lshrrev_b32_e32 v87, 3, v56
	v_cmpx_gt_u32_e32 8, v56
; %bb.749:                              ;   in Loop: Header=BB329_12 Depth=1
	v_clz_i32_u32_e32 v86, v66
	s_delay_alu instid0(VALU_DEP_1) | instskip(NEXT) | instid1(VALU_DEP_1)
	v_min_u32_e32 v46, 32, v86
	v_subrev_nc_u32_e32 v86, 28, v46
	s_delay_alu instid0(VALU_DEP_1) | instskip(SKIP_1) | instid1(VALU_DEP_2)
	v_lshlrev_b64_e32 v[86:87], v86, v[66:67]
	v_sub_nc_u32_e32 v87, 29, v46
	v_and_b32_e32 v86, 7, v86
; %bb.750:                              ;   in Loop: Header=BB329_12 Depth=1
	s_or_b32 exec_lo, exec_lo, s21
	s_delay_alu instid0(VALU_DEP_1) | instskip(NEXT) | instid1(VALU_DEP_3)
	v_dual_lshlrev_b32 v66, 24, v57 :: v_dual_lshlrev_b32 v86, 20, v86
	v_lshl_add_u32 v87, v87, 23, 0x3c000000
	s_delay_alu instid0(VALU_DEP_2) | instskip(NEXT) | instid1(VALU_DEP_1)
	v_and_b32_e32 v66, 0x80000000, v66
	v_or3_b32 v46, v86, v66, v87
.LBB329_751:                            ;   in Loop: Header=BB329_12 Depth=1
	s_or_b32 exec_lo, exec_lo, s20
.LBB329_752:                            ;   in Loop: Header=BB329_12 Depth=1
	s_delay_alu instid0(SALU_CYCLE_1)
	s_or_b32 exec_lo, exec_lo, s19
.LBB329_753:                            ;   in Loop: Header=BB329_12 Depth=1
	s_delay_alu instid0(SALU_CYCLE_1)
	s_or_b32 exec_lo, exec_lo, s18
	flat_load_b32 v58, v[84:85] offset:2824
	v_dual_mov_b32 v57, 0 :: v_dual_mov_b32 v56, 0
	s_mov_b32 s18, exec_lo
	s_wait_loadcnt_dscnt 0x0
	v_and_b32_e32 v66, 0xff, v58
	s_wait_xcnt 0x0
	s_delay_alu instid0(VALU_DEP_1)
	v_cmpx_ne_u16_e32 0, v66
	s_cbranch_execz .LBB329_761
; %bb.754:                              ;   in Loop: Header=BB329_12 Depth=1
	v_bfrev_b32_e32 v56, 1
	s_mov_b32 s19, exec_lo
	v_cmpx_ne_u16_e32 0x80, v66
	s_cbranch_execz .LBB329_760
; %bb.755:                              ;   in Loop: Header=BB329_12 Depth=1
	v_and_b32_e32 v86, 0x7f, v58
	v_mov_b32_e32 v56, 0x7f800001
	s_mov_b32 s20, exec_lo
	s_delay_alu instid0(VALU_DEP_2)
	v_cmpx_ne_u32_e32 0x7f, v86
	s_cbranch_execz .LBB329_759
; %bb.756:                              ;   in Loop: Header=BB329_12 Depth=1
	v_and_b32_e32 v66, 7, v58
	s_mov_b32 s21, exec_lo
	s_delay_alu instid0(VALU_DEP_1)
	v_mov_b64_e32 v[84:85], v[66:67]
	v_lshrrev_b32_e32 v85, 3, v86
	v_cmpx_gt_u32_e32 8, v86
; %bb.757:                              ;   in Loop: Header=BB329_12 Depth=1
	v_clz_i32_u32_e32 v84, v66
	s_delay_alu instid0(VALU_DEP_1) | instskip(NEXT) | instid1(VALU_DEP_1)
	v_min_u32_e32 v86, 32, v84
	v_subrev_nc_u32_e32 v84, 28, v86
	s_delay_alu instid0(VALU_DEP_1) | instskip(NEXT) | instid1(VALU_DEP_1)
	v_lshlrev_b64_e32 v[84:85], v84, v[66:67]
	v_dual_sub_nc_u32 v85, 29, v86 :: v_dual_bitop2_b32 v84, 7, v84 bitop3:0x40
; %bb.758:                              ;   in Loop: Header=BB329_12 Depth=1
	s_or_b32 exec_lo, exec_lo, s21
	s_delay_alu instid0(VALU_DEP_1) | instskip(NEXT) | instid1(VALU_DEP_2)
	v_dual_lshlrev_b32 v66, 24, v58 :: v_dual_lshlrev_b32 v84, 20, v84
	v_lshl_add_u32 v85, v85, 23, 0x3c000000
	s_delay_alu instid0(VALU_DEP_2) | instskip(NEXT) | instid1(VALU_DEP_1)
	v_and_b32_e32 v66, 0x80000000, v66
	v_or3_b32 v56, v84, v66, v85
.LBB329_759:                            ;   in Loop: Header=BB329_12 Depth=1
	s_or_b32 exec_lo, exec_lo, s20
.LBB329_760:                            ;   in Loop: Header=BB329_12 Depth=1
	s_delay_alu instid0(SALU_CYCLE_1)
	s_or_b32 exec_lo, exec_lo, s19
.LBB329_761:                            ;   in Loop: Header=BB329_12 Depth=1
	s_delay_alu instid0(SALU_CYCLE_1) | instskip(SKIP_2) | instid1(VALU_DEP_1)
	s_or_b32 exec_lo, exec_lo, s18
	v_lshrrev_b16 v66, 8, v58
	s_mov_b32 s18, exec_lo
	v_cmpx_ne_u16_e32 0, v66
	s_cbranch_execz .LBB329_769
; %bb.762:                              ;   in Loop: Header=BB329_12 Depth=1
	v_bfrev_b32_e32 v57, 1
	s_mov_b32 s19, exec_lo
	v_cmpx_ne_u16_e32 0x80, v66
	s_cbranch_execz .LBB329_768
; %bb.763:                              ;   in Loop: Header=BB329_12 Depth=1
	v_and_b32_e32 v66, 0xffff, v66
	v_mov_b32_e32 v57, 0x7f800001
	s_mov_b32 s20, exec_lo
	s_delay_alu instid0(VALU_DEP_2) | instskip(NEXT) | instid1(VALU_DEP_1)
	v_and_b32_e32 v86, 0x7f, v66
	v_cmpx_ne_u32_e32 0x7f, v86
	s_cbranch_execz .LBB329_767
; %bb.764:                              ;   in Loop: Header=BB329_12 Depth=1
	v_and_b32_e32 v66, 7, v66
	s_mov_b32 s21, exec_lo
	s_delay_alu instid0(VALU_DEP_1)
	v_mov_b64_e32 v[84:85], v[66:67]
	v_lshrrev_b32_e32 v85, 3, v86
	v_cmpx_gt_u32_e32 8, v86
; %bb.765:                              ;   in Loop: Header=BB329_12 Depth=1
	v_clz_i32_u32_e32 v84, v66
	s_delay_alu instid0(VALU_DEP_1) | instskip(NEXT) | instid1(VALU_DEP_1)
	v_min_u32_e32 v86, 32, v84
	v_subrev_nc_u32_e32 v84, 28, v86
	s_delay_alu instid0(VALU_DEP_1) | instskip(NEXT) | instid1(VALU_DEP_1)
	v_lshlrev_b64_e32 v[84:85], v84, v[66:67]
	v_dual_sub_nc_u32 v85, 29, v86 :: v_dual_bitop2_b32 v84, 7, v84 bitop3:0x40
; %bb.766:                              ;   in Loop: Header=BB329_12 Depth=1
	s_or_b32 exec_lo, exec_lo, s21
	s_delay_alu instid0(VALU_DEP_1) | instskip(NEXT) | instid1(VALU_DEP_2)
	v_dual_lshlrev_b32 v66, 16, v58 :: v_dual_lshlrev_b32 v84, 20, v84
	v_lshl_add_u32 v85, v85, 23, 0x3c000000
	s_delay_alu instid0(VALU_DEP_2) | instskip(NEXT) | instid1(VALU_DEP_1)
	v_and_b32_e32 v66, 0x80000000, v66
	v_or3_b32 v57, v84, v66, v85
.LBB329_767:                            ;   in Loop: Header=BB329_12 Depth=1
	s_or_b32 exec_lo, exec_lo, s20
.LBB329_768:                            ;   in Loop: Header=BB329_12 Depth=1
	s_delay_alu instid0(SALU_CYCLE_1)
	s_or_b32 exec_lo, exec_lo, s19
.LBB329_769:                            ;   in Loop: Header=BB329_12 Depth=1
	s_delay_alu instid0(SALU_CYCLE_1) | instskip(SKIP_3) | instid1(VALU_DEP_2)
	s_or_b32 exec_lo, exec_lo, s18
	v_dual_mov_b32 v86, 0 :: v_dual_lshrrev_b32 v59, 16, v58
	v_mov_b32_e32 v87, 0
	s_mov_b32 s18, exec_lo
	v_and_b32_e32 v66, 0xff, v59
	s_delay_alu instid0(VALU_DEP_1)
	v_cmpx_ne_u16_e32 0, v66
	s_cbranch_execz .LBB329_777
; %bb.770:                              ;   in Loop: Header=BB329_12 Depth=1
	v_bfrev_b32_e32 v87, 1
	s_mov_b32 s19, exec_lo
	v_cmpx_ne_u16_e32 0x80, v66
	s_cbranch_execz .LBB329_776
; %bb.771:                              ;   in Loop: Header=BB329_12 Depth=1
	v_bfe_u32 v60, v58, 16, 7
	v_mov_b32_e32 v87, 0x7f800001
	s_mov_b32 s20, exec_lo
	s_delay_alu instid0(VALU_DEP_2)
	v_cmpx_ne_u32_e32 0x7f, v60
	s_cbranch_execz .LBB329_775
; %bb.772:                              ;   in Loop: Header=BB329_12 Depth=1
	v_and_b32_e32 v66, 7, v59
	s_mov_b32 s21, exec_lo
	s_delay_alu instid0(VALU_DEP_1)
	v_mov_b64_e32 v[84:85], v[66:67]
	v_lshrrev_b32_e32 v85, 3, v60
	v_cmpx_gt_u32_e32 8, v60
; %bb.773:                              ;   in Loop: Header=BB329_12 Depth=1
	v_clz_i32_u32_e32 v84, v66
	s_delay_alu instid0(VALU_DEP_1) | instskip(NEXT) | instid1(VALU_DEP_1)
	v_min_u32_e32 v87, 32, v84
	v_subrev_nc_u32_e32 v84, 28, v87
	s_delay_alu instid0(VALU_DEP_1) | instskip(NEXT) | instid1(VALU_DEP_1)
	v_lshlrev_b64_e32 v[84:85], v84, v[66:67]
	v_dual_sub_nc_u32 v85, 29, v87 :: v_dual_bitop2_b32 v84, 7, v84 bitop3:0x40
; %bb.774:                              ;   in Loop: Header=BB329_12 Depth=1
	s_or_b32 exec_lo, exec_lo, s21
	s_delay_alu instid0(VALU_DEP_1) | instskip(NEXT) | instid1(VALU_DEP_2)
	v_dual_lshlrev_b32 v66, 24, v59 :: v_dual_lshlrev_b32 v84, 20, v84
	v_lshl_add_u32 v85, v85, 23, 0x3c000000
	s_delay_alu instid0(VALU_DEP_2) | instskip(NEXT) | instid1(VALU_DEP_1)
	v_and_b32_e32 v66, 0x80000000, v66
	v_or3_b32 v87, v84, v66, v85
.LBB329_775:                            ;   in Loop: Header=BB329_12 Depth=1
	s_or_b32 exec_lo, exec_lo, s20
.LBB329_776:                            ;   in Loop: Header=BB329_12 Depth=1
	s_delay_alu instid0(SALU_CYCLE_1)
	s_or_b32 exec_lo, exec_lo, s19
.LBB329_777:                            ;   in Loop: Header=BB329_12 Depth=1
	s_delay_alu instid0(SALU_CYCLE_1) | instskip(NEXT) | instid1(SALU_CYCLE_1)
	s_or_b32 exec_lo, exec_lo, s18
	s_mov_b32 s18, exec_lo
	v_cmpx_lt_u32_e32 0xffffff, v58
	s_cbranch_execz .LBB329_785
; %bb.778:                              ;   in Loop: Header=BB329_12 Depth=1
	v_lshrrev_b32_e32 v59, 24, v58
	v_bfrev_b32_e32 v86, 1
	s_mov_b32 s19, exec_lo
	s_delay_alu instid0(VALU_DEP_2)
	v_cmpx_ne_u32_e32 0x80, v59
	s_cbranch_execz .LBB329_784
; %bb.779:                              ;   in Loop: Header=BB329_12 Depth=1
	v_bfe_u32 v58, v58, 24, 7
	v_mov_b32_e32 v86, 0x7f800001
	s_mov_b32 s20, exec_lo
	s_delay_alu instid0(VALU_DEP_2)
	v_cmpx_ne_u32_e32 0x7f, v58
	s_cbranch_execz .LBB329_783
; %bb.780:                              ;   in Loop: Header=BB329_12 Depth=1
	v_and_b32_e32 v66, 7, v59
	s_mov_b32 s21, exec_lo
	s_delay_alu instid0(VALU_DEP_1)
	v_mov_b64_e32 v[84:85], v[66:67]
	v_lshrrev_b32_e32 v85, 3, v58
	v_cmpx_gt_u32_e32 8, v58
; %bb.781:                              ;   in Loop: Header=BB329_12 Depth=1
	v_clz_i32_u32_e32 v84, v66
	s_delay_alu instid0(VALU_DEP_1) | instskip(NEXT) | instid1(VALU_DEP_1)
	v_min_u32_e32 v86, 32, v84
	v_subrev_nc_u32_e32 v84, 28, v86
	s_delay_alu instid0(VALU_DEP_1) | instskip(NEXT) | instid1(VALU_DEP_1)
	v_lshlrev_b64_e32 v[84:85], v84, v[66:67]
	v_dual_sub_nc_u32 v85, 29, v86 :: v_dual_bitop2_b32 v84, 7, v84 bitop3:0x40
; %bb.782:                              ;   in Loop: Header=BB329_12 Depth=1
	s_or_b32 exec_lo, exec_lo, s21
	s_delay_alu instid0(VALU_DEP_1) | instskip(NEXT) | instid1(VALU_DEP_2)
	v_dual_lshlrev_b32 v66, 24, v59 :: v_dual_lshlrev_b32 v84, 20, v84
	v_lshl_add_u32 v85, v85, 23, 0x3c000000
	s_delay_alu instid0(VALU_DEP_2) | instskip(NEXT) | instid1(VALU_DEP_1)
	v_and_b32_e32 v66, 0x80000000, v66
	v_or3_b32 v86, v84, v66, v85
.LBB329_783:                            ;   in Loop: Header=BB329_12 Depth=1
	s_or_b32 exec_lo, exec_lo, s20
.LBB329_784:                            ;   in Loop: Header=BB329_12 Depth=1
	s_delay_alu instid0(SALU_CYCLE_1)
	s_or_b32 exec_lo, exec_lo, s19
.LBB329_785:                            ;   in Loop: Header=BB329_12 Depth=1
	s_delay_alu instid0(SALU_CYCLE_1)
	s_or_b32 exec_lo, exec_lo, s18
	scratch_load_b32 v66, off, s32 offset:236 th:TH_LOAD_LU ; 4-byte Folded Reload
	v_lshlrev_b32_e32 v84, 16, v50
	v_and_b32_e32 v50, 0xffff0000, v50
	v_fma_mixlo_bf16 v85, v69, v45, 0
	v_fma_mixlo_bf16 v45, v69, v1, 0
	;; [unrolled: 1-line block ×61, first 2 shown]
	scratch_load_b32 v127, off, s32 offset:220 th:TH_LOAD_LU ; 4-byte Folded Reload
	s_wait_loadcnt 0x1
	v_fma_mixlo_bf16 v66, v69, v66, 0
	s_delay_alu instid0(VALU_DEP_1) | instskip(NEXT) | instid1(VALU_DEP_1)
	v_lshlrev_b32_e32 v66, 16, v66
	v_mul_f32_e32 v66, v84, v66
	scratch_load_b32 v84, off, s32 offset:216 th:TH_LOAD_LU ; 4-byte Folded Reload
	s_wait_loadcnt 0x1
	v_fma_mixlo_bf16 v127, v69, v127, 0
	s_wait_loadcnt 0x0
	v_fma_mixlo_bf16 v84, v69, v84, 0
	s_delay_alu instid0(VALU_DEP_1) | instskip(NEXT) | instid1(VALU_DEP_1)
	v_lshlrev_b32_e32 v84, 16, v84
	v_mul_f32_e32 v58, v50, v84
	scratch_load_b32 v50, off, s32 offset:244 th:TH_LOAD_LU ; 4-byte Folded Reload
	v_lshlrev_b32_e32 v84, 16, v51
	v_and_b32_e32 v51, 0xffff0000, v51
	s_wait_loadcnt 0x0
	v_fma_mixlo_bf16 v50, v69, v50, 0
	s_delay_alu instid0(VALU_DEP_1) | instskip(NEXT) | instid1(VALU_DEP_1)
	v_lshlrev_b32_e32 v50, 16, v50
	v_mul_f32_e32 v59, v84, v50
	scratch_load_b32 v50, off, s32 offset:240 th:TH_LOAD_LU ; 4-byte Folded Reload
	v_fma_mixlo_bf16 v84, v69, v47, 0
	v_fma_mixlo_bf16 v47, v69, v125, 0
	scratch_load_b32 v125, off, s32 offset:232 th:TH_LOAD_LU ; 4-byte Folded Reload
	s_wait_loadcnt 0x1
	v_fma_mixlo_bf16 v50, v69, v50, 0
	s_wait_loadcnt 0x0
	v_fma_mixlo_bf16 v125, v69, v125, 0
	s_delay_alu instid0(VALU_DEP_2)
	v_fma_mix_f32_bf16 v60, v48, v50, v66 op_sel_hi:[1,1,0]
	v_fma_mixlo_bf16 v50, v69, v61, 0
	v_fma_mixlo_bf16 v66, v69, v56, 0
	;; [unrolled: 1-line block ×3, first 2 shown]
	scratch_load_b32 v124, off, s32 offset:212 th:TH_LOAD_LU ; 4-byte Folded Reload
	v_lshlrev_b32_e32 v50, 16, v50
	s_delay_alu instid0(VALU_DEP_1)
	v_mul_f32_e32 v61, v51, v50
	v_fma_mixlo_bf16 v51, v69, v57, 0
	v_fma_mixlo_bf16 v50, v69, v46, 0
	;; [unrolled: 1-line block ×4, first 2 shown]
	s_clause 0x1
	scratch_load_b32 v123, off, s32 offset:268 th:TH_LOAD_LU
	scratch_load_b32 v126, off, s32 offset:252 th:TH_LOAD_LU
	s_wait_loadcnt 0x2
	v_fma_mixlo_bf16 v124, v69, v124, 0
	s_delay_alu instid0(VALU_DEP_1)
	v_fma_mix_f32_bf16 v48, v48, v124, v58 op_sel:[1,0,0] op_sel_hi:[1,1,0]
	v_fma_mix_f32_bf16 v58, v49, v125, v59 op_sel_hi:[1,1,0]
	v_fma_mix_f32_bf16 v49, v49, v62, v61 op_sel:[1,0,0] op_sel_hi:[1,1,0]
	s_wait_loadcnt 0x1
	v_fma_mixlo_bf16 v123, v69, v123, 0
	s_wait_loadcnt 0x0
	v_fma_mixlo_bf16 v126, v69, v126, 0
	s_delay_alu instid0(VALU_DEP_1)
	v_fma_mix_f32_bf16 v59, v36, v126, v60 op_sel_hi:[1,1,0]
	scratch_load_b32 v60, off, s32 offset:224 th:TH_LOAD_LU ; 4-byte Folded Reload
	v_fma_mix_f32_bf16 v36, v36, v127, v48 op_sel:[1,0,0] op_sel_hi:[1,1,0]
	v_fma_mix_f32_bf16 v48, v37, v123, v58 op_sel_hi:[1,1,0]
	v_fma_mix_f32_bf16 v58, v38, v63, v59 op_sel_hi:[1,1,0]
	scratch_load_b32 v59, off, s32 offset:228 th:TH_LOAD_LU ; 4-byte Folded Reload
	v_fma_mix_f32_bf16 v36, v38, v72, v36 op_sel:[1,0,0] op_sel_hi:[1,1,0]
	v_fma_mix_f32_bf16 v38, v39, v73, v48 op_sel_hi:[1,1,0]
	v_fma_mix_f32_bf16 v48, v32, v75, v58 op_sel_hi:[1,1,0]
	s_delay_alu instid0(VALU_DEP_3) | instskip(NEXT) | instid1(VALU_DEP_3)
	v_fma_mix_f32_bf16 v32, v32, v76, v36 op_sel:[1,0,0] op_sel_hi:[1,1,0]
	v_fma_mix_f32_bf16 v36, v33, v77, v38 op_sel_hi:[1,1,0]
	s_delay_alu instid0(VALU_DEP_3) | instskip(NEXT) | instid1(VALU_DEP_3)
	v_fma_mix_f32_bf16 v38, v34, v79, v48 op_sel_hi:[1,1,0]
	v_fma_mix_f32_bf16 v32, v34, v88, v32 op_sel:[1,0,0] op_sel_hi:[1,1,0]
	s_delay_alu instid0(VALU_DEP_3) | instskip(NEXT) | instid1(VALU_DEP_3)
	v_fma_mix_f32_bf16 v34, v35, v89, v36 op_sel_hi:[1,1,0]
	v_fma_mix_f32_bf16 v36, v28, v91, v38 op_sel_hi:[1,1,0]
	s_delay_alu instid0(VALU_DEP_3) | instskip(NEXT) | instid1(VALU_DEP_3)
	v_fma_mix_f32_bf16 v28, v28, v92, v32 op_sel:[1,0,0] op_sel_hi:[1,1,0]
	v_fma_mix_f32_bf16 v32, v29, v93, v34 op_sel_hi:[1,1,0]
	s_delay_alu instid0(VALU_DEP_3) | instskip(NEXT) | instid1(VALU_DEP_3)
	v_fma_mix_f32_bf16 v34, v30, v95, v36 op_sel_hi:[1,1,0]
	v_fma_mix_f32_bf16 v28, v30, v104, v28 op_sel:[1,0,0] op_sel_hi:[1,1,0]
	s_delay_alu instid0(VALU_DEP_3) | instskip(NEXT) | instid1(VALU_DEP_3)
	v_fma_mix_f32_bf16 v30, v31, v105, v32 op_sel_hi:[1,1,0]
	v_fma_mix_f32_bf16 v32, v12, v107, v34 op_sel_hi:[1,1,0]
	s_delay_alu instid0(VALU_DEP_3) | instskip(NEXT) | instid1(VALU_DEP_2)
	v_fma_mix_f32_bf16 v12, v12, v108, v28 op_sel:[1,0,0] op_sel_hi:[1,1,0]
	v_fma_mix_f32_bf16 v32, v14, v110, v32 op_sel_hi:[1,1,0]
	s_delay_alu instid0(VALU_DEP_2) | instskip(NEXT) | instid1(VALU_DEP_2)
	v_fma_mix_f32_bf16 v12, v14, v111, v12 op_sel:[1,0,0] op_sel_hi:[1,1,0]
	v_fma_mix_f32_bf16 v32, v2, v57, v32 op_sel_hi:[1,1,0]
	s_delay_alu instid0(VALU_DEP_2) | instskip(NEXT) | instid1(VALU_DEP_2)
	v_fma_mix_f32_bf16 v2, v2, v56, v12 op_sel:[1,0,0] op_sel_hi:[1,1,0]
	v_fma_mix_f32_bf16 v32, v4, v46, v32 op_sel_hi:[1,1,0]
	s_delay_alu instid0(VALU_DEP_2) | instskip(SKIP_4) | instid1(VALU_DEP_2)
	v_fma_mix_f32_bf16 v4, v4, v98, v2 op_sel:[1,0,0] op_sel_hi:[1,1,0]
	s_wait_loadcnt 0x1
	v_fma_mixlo_bf16 v60, v69, v60, 0
	s_wait_loadcnt 0x0
	v_fma_mixlo_bf16 v59, v69, v59, 0
	v_fma_mix_f32_bf16 v37, v37, v60, v49 op_sel:[1,0,0] op_sel_hi:[1,1,0]
	v_fma_mixlo_bf16 v49, v69, v74, 0
	s_delay_alu instid0(VALU_DEP_2) | instskip(SKIP_1) | instid1(VALU_DEP_2)
	v_fma_mix_f32_bf16 v37, v39, v59, v37 op_sel:[1,0,0] op_sel_hi:[1,1,0]
	v_fma_mixlo_bf16 v39, v69, v78, 0
	v_fma_mix_f32_bf16 v33, v33, v49, v37 op_sel:[1,0,0] op_sel_hi:[1,1,0]
	v_fma_mixlo_bf16 v37, v69, v90, 0
	s_delay_alu instid0(VALU_DEP_2) | instskip(SKIP_1) | instid1(VALU_DEP_2)
	v_fma_mix_f32_bf16 v33, v35, v39, v33 op_sel:[1,0,0] op_sel_hi:[1,1,0]
	v_fma_mixlo_bf16 v35, v69, v94, 0
	v_fma_mix_f32_bf16 v29, v29, v37, v33 op_sel:[1,0,0] op_sel_hi:[1,1,0]
	v_fma_mixlo_bf16 v33, v69, v106, 0
	s_delay_alu instid0(VALU_DEP_2)
	v_fma_mix_f32_bf16 v34, v31, v35, v29 op_sel:[1,0,0] op_sel_hi:[1,1,0]
	v_fma_mix_f32_bf16 v35, v13, v109, v30 op_sel_hi:[1,1,0]
	ds_load_b128 v[28:31], v116 offset:102
	v_fma_mix_f32_bf16 v13, v13, v33, v34 op_sel:[1,0,0] op_sel_hi:[1,1,0]
	v_fma_mix_f32_bf16 v14, v15, v121, v35 op_sel_hi:[1,1,0]
	v_fma_mixlo_bf16 v33, v69, v122, 0
	s_delay_alu instid0(VALU_DEP_3) | instskip(NEXT) | instid1(VALU_DEP_3)
	v_fma_mix_f32_bf16 v34, v15, v120, v13 op_sel:[1,0,0] op_sel_hi:[1,1,0]
	v_fma_mix_f32_bf16 v35, v3, v47, v14 op_sel_hi:[1,1,0]
	ds_load_b128 v[12:15], v116 offset:118
	v_fma_mix_f32_bf16 v3, v3, v33, v34 op_sel:[1,0,0] op_sel_hi:[1,1,0]
	v_fma_mix_f32_bf16 v34, v5, v45, v35 op_sel_hi:[1,1,0]
	scratch_load_b32 v35, off, s32 offset:300 th:TH_LOAD_LU ; 4-byte Folded Reload
	v_fma_mixlo_bf16 v33, v69, v96, 0
	v_fma_mix_f32_bf16 v5, v5, v1, v3 op_sel:[1,0,0] op_sel_hi:[1,1,0]
	s_wait_dscnt 0x1
	s_delay_alu instid0(VALU_DEP_1)
	v_fma_mix_f32_bf16 v5, v28, v8, v5 op_sel_hi:[1,1,0]
	s_wait_loadcnt 0x0
	v_fma_mix_f32_bf16 v4, v35, v33, v4 op_sel:[1,0,0] op_sel_hi:[1,1,0]
	scratch_load_b32 v33, off, s32 offset:308 th:TH_LOAD_LU ; 4-byte Folded Reload
	v_fma_mix_f32_bf16 v32, v35, v0, v32 op_sel_hi:[1,1,0]
	ds_load_b128 v[0:3], v116 offset:134
	v_fma_mix_f32_bf16 v4, v29, v26, v4 op_sel_hi:[1,1,0]
	v_fma_mixlo_bf16 v26, v69, v7, 0
	v_fma_mix_f32_bf16 v32, v28, v115, v32 op_sel:[1,0,0] op_sel_hi:[1,1,0]
	s_delay_alu instid0(VALU_DEP_3) | instskip(NEXT) | instid1(VALU_DEP_2)
	v_fma_mix_f32_bf16 v28, v31, v54, v4 op_sel_hi:[1,1,0]
	v_fma_mix_f32_bf16 v6, v30, v6, v32 op_sel:[1,0,0] op_sel_hi:[1,1,0]
	s_wait_dscnt 0x1
	s_delay_alu instid0(VALU_DEP_2) | instskip(NEXT) | instid1(VALU_DEP_2)
	v_fma_mix_f32_bf16 v11, v13, v11, v28 op_sel_hi:[1,1,0]
	v_fma_mix_f32_bf16 v10, v12, v10, v6 op_sel:[1,0,0] op_sel_hi:[1,1,0]
	s_delay_alu instid0(VALU_DEP_1) | instskip(SKIP_3) | instid1(VALU_DEP_2)
	v_fma_mix_f32_bf16 v10, v14, v112, v10 op_sel:[1,0,0] op_sel_hi:[1,1,0]
	s_wait_loadcnt 0x0
	v_fma_mix_f32_bf16 v27, v33, v27, v34 op_sel_hi:[1,1,0]
	v_fma_mixlo_bf16 v33, v69, v53, 0
	v_fma_mix_f32_bf16 v8, v29, v52, v27 op_sel:[1,0,0] op_sel_hi:[1,1,0]
	s_delay_alu instid0(VALU_DEP_2) | instskip(SKIP_3) | instid1(VALU_DEP_2)
	v_fma_mix_f32_bf16 v27, v30, v33, v5 op_sel_hi:[1,1,0]
	ds_load_b128 v[4:7], v116 offset:150
	v_fma_mix_f32_bf16 v8, v31, v55, v8 op_sel:[1,0,0] op_sel_hi:[1,1,0]
	v_fma_mix_f32_bf16 v12, v12, v26, v27 op_sel_hi:[1,1,0]
	v_fma_mix_f32_bf16 v8, v13, v65, v8 op_sel:[1,0,0] op_sel_hi:[1,1,0]
	v_fma_mixlo_bf16 v13, v69, v118, 0
	s_delay_alu instid0(VALU_DEP_3)
	v_fma_mix_f32_bf16 v12, v14, v64, v12 op_sel_hi:[1,1,0]
	v_fma_mix_f32_bf16 v14, v15, v23, v11 op_sel_hi:[1,1,0]
	s_wait_dscnt 0x1
	v_fma_mix_f32_bf16 v23, v0, v97, v10 op_sel:[1,0,0] op_sel_hi:[1,1,0]
	v_fma_mix_f32_bf16 v15, v15, v9, v8 op_sel:[1,0,0] op_sel_hi:[1,1,0]
	ds_load_b128 v[8:11], v116 offset:166
	v_fma_mix_f32_bf16 v0, v0, v13, v12 op_sel_hi:[1,1,0]
	v_fma_mix_f32_bf16 v14, v1, v82, v14 op_sel_hi:[1,1,0]
	v_fma_mix_f32_bf16 v12, v2, v18, v23 op_sel:[1,0,0] op_sel_hi:[1,1,0]
	v_fma_mix_f32_bf16 v1, v1, v25, v15 op_sel:[1,0,0] op_sel_hi:[1,1,0]
	v_fma_mixlo_bf16 v13, v69, v83, 0
	v_fma_mix_f32_bf16 v2, v2, v22, v0 op_sel_hi:[1,1,0]
	v_fma_mix_f32_bf16 v14, v3, v21, v14 op_sel_hi:[1,1,0]
	s_wait_dscnt 0x1
	v_fma_mix_f32_bf16 v12, v4, v101, v12 op_sel:[1,0,0] op_sel_hi:[1,1,0]
	v_fma_mix_f32_bf16 v3, v3, v20, v1 op_sel:[1,0,0] op_sel_hi:[1,1,0]
	ds_load_b64 v[0:1], v116 offset:182
	v_fma_mix_f32_bf16 v2, v4, v13, v2 op_sel_hi:[1,1,0]
	v_fma_mix_f32_bf16 v14, v5, v103, v14 op_sel_hi:[1,1,0]
	v_fma_mix_f32_bf16 v4, v6, v41, v12 op_sel:[1,0,0] op_sel_hi:[1,1,0]
	v_fma_mix_f32_bf16 v3, v5, v17, v3 op_sel:[1,0,0] op_sel_hi:[1,1,0]
	v_fma_mixlo_bf16 v5, v69, v113, 0
	v_fma_mix_f32_bf16 v2, v6, v16, v2 op_sel_hi:[1,1,0]
	v_fma_mix_f32_bf16 v12, v7, v70, v14 op_sel_hi:[1,1,0]
	ds_load_u16 v6, v116 offset:190
	v_fma_mix_f32_bf16 v3, v7, v19, v3 op_sel:[1,0,0] op_sel_hi:[1,1,0]
	s_wait_dscnt 0x2
	v_fma_mix_f32_bf16 v4, v8, v42, v4 op_sel:[1,0,0] op_sel_hi:[1,1,0]
	v_fma_mix_f32_bf16 v2, v8, v5, v2 op_sel_hi:[1,1,0]
	v_fma_mix_f32_bf16 v7, v9, v40, v12 op_sel_hi:[1,1,0]
	v_fma_mixlo_bf16 v12, v69, v71, 0
	v_fma_mix_f32_bf16 v3, v9, v43, v3 op_sel:[1,0,0] op_sel_hi:[1,1,0]
	v_fma_mix_f32_bf16 v4, v10, v44, v4 op_sel:[1,0,0] op_sel_hi:[1,1,0]
	v_fma_mixlo_bf16 v9, v69, v86, 0
	v_fma_mix_f32_bf16 v5, v11, v85, v7 op_sel_hi:[1,1,0]
	v_fma_mix_f32_bf16 v2, v10, v12, v2 op_sel_hi:[1,1,0]
	v_mbcnt_lo_u32_b32 v10, -1, 0
	v_fma_mixlo_bf16 v7, v69, v87, 0
	v_fma_mix_f32_bf16 v3, v11, v84, v3 op_sel:[1,0,0] op_sel_hi:[1,1,0]
	s_wait_dscnt 0x1
	v_fma_mix_f32_bf16 v4, v0, v66, v4 op_sel:[1,0,0] op_sel_hi:[1,1,0]
	v_fma_mix_f32_bf16 v5, v1, v51, v5 op_sel_hi:[1,1,0]
	v_xor_b32_e32 v8, 1, v10
	v_fma_mix_f32_bf16 v0, v0, v50, v2 op_sel_hi:[1,1,0]
	v_fma_mix_f32_bf16 v1, v1, v7, v3 op_sel:[1,0,0] op_sel_hi:[1,1,0]
	s_delay_alu instid0(VALU_DEP_4) | instskip(NEXT) | instid1(VALU_DEP_4)
	v_add_f32_e32 v2, v4, v5
	v_cmp_gt_i32_e64 s2, 32, v8
	s_wait_dscnt 0x0
	v_fma_mix_f32_bf16 v0, v6, v9, v0 op_sel_hi:[1,1,0]
	s_delay_alu instid0(VALU_DEP_3) | instskip(NEXT) | instid1(VALU_DEP_1)
	v_add_f32_e32 v1, v2, v1
	v_dual_cndmask_b32 v3, v10, v8, s2 :: v_dual_add_f32 v0, v0, v1
	s_delay_alu instid0(VALU_DEP_1)
	v_lshlrev_b32_e32 v2, 2, v3
	ds_bpermute_b32 v1, v2, v0
	s_wait_xcnt 0x0
	s_and_saveexec_b32 s18, vcc_lo
	s_cbranch_execz .LBB329_10
; %bb.786:                              ;   in Loop: Header=BB329_12 Depth=1
	s_clause 0x1
	scratch_load_b32 v2, off, s32 offset:352
	scratch_load_b32 v3, off, s32 offset:340
	s_load_b32 s19, s[10:11], 0x0
	s_wait_loadcnt_dscnt 0x100
	v_dual_add_f32 v0, v0, v1 :: v_dual_add_nc_u32 v2, v2, v68
	s_delay_alu instid0(VALU_DEP_1) | instskip(SKIP_1) | instid1(VALU_DEP_1)
	v_cvt_f32_i32_e32 v2, v2
	s_wait_loadcnt 0x0
	v_mul_f32_e32 v2, v3, v2
	scratch_load_b32 v3, off, s32 offset:344 ; 4-byte Folded Reload
	v_cndmask_b32_e64 v1, 0, v2, s1
	scratch_load_b32 v2, off, s32 offset:348 ; 4-byte Folded Reload
	s_wait_loadcnt 0x1
	v_fmac_f32_e32 v1, v3, v0
	scratch_load_b32 v3, off, s32 offset:328 ; 4-byte Folded Reload
	s_wait_loadcnt 0x1
	v_add_nc_u32_e32 v2, v2, v68
	s_delay_alu instid0(VALU_DEP_1) | instskip(SKIP_3) | instid1(VALU_DEP_1)
	v_cmp_lt_i32_e64 s2, v2, v99
	s_wait_loadcnt 0x0
	s_wait_kmcnt 0x0
	v_dual_add_nc_u32 v2, s19, v117 :: v_dual_max_num_f32 v0, v3, v3
	v_dual_max_num_f32 v0, v0, v1 :: v_dual_cndmask_b32 v1, 0, v1, s2
	s_delay_alu instid0(VALU_DEP_1)
	v_cndmask_b32_e64 v3, v3, v0, s2
	ds_store_b32 v2, v1
	scratch_store_b32 off, v3, s32 offset:328 ; 4-byte Folded Spill
	s_branch .LBB329_10
.LBB329_787:
	s_or_b32 exec_lo, exec_lo, s17
	s_clause 0x7
	scratch_load_b32 v34, off, s32 offset:360
	scratch_load_b32 v35, off, s32 offset:364
	;; [unrolled: 1-line block ×3, first 2 shown]
	scratch_load_b64 v[10:11], off, s32 offset:380
	scratch_load_b32 v26, off, s32 offset:388
	scratch_load_b64 v[36:37], off, s32 offset:392
	scratch_load_b64 v[38:39], off, s32 offset:400
	;; [unrolled: 1-line block ×3, first 2 shown]
	s_wait_loadcnt 0x1
	s_clause 0x3
	scratch_load_b32 v39, off, s32 offset:416
	scratch_load_b64 v[50:51], off, s32 offset:420
	scratch_load_b32 v52, off, s32 offset:428
	scratch_load_b32 v7, off, s32 offset:328
.LBB329_788:
	s_wait_xcnt 0x0
	s_or_b32 exec_lo, exec_lo, s16
	v_mbcnt_lo_u32_b32 v6, -1, 0
	s_wait_loadcnt 0x0
	v_dual_max_num_f32 v4, v7, v7 :: v_dual_bitop2_b32 v25, 31, v34 bitop3:0x40
	s_delay_alu instid0(VALU_DEP_2) | instskip(SKIP_2) | instid1(VALU_DEP_2)
	v_xor_b32_e32 v0, 16, v6
	s_wait_dscnt 0x0
	v_xor_b32_e32 v1, 8, v6
	v_cmp_gt_i32_e32 vcc_lo, 32, v0
	v_cndmask_b32_e32 v0, v6, v0, vcc_lo
	s_delay_alu instid0(VALU_DEP_3) | instskip(NEXT) | instid1(VALU_DEP_2)
	v_cmp_gt_i32_e32 vcc_lo, 32, v1
	v_dual_cndmask_b32 v1, v6, v1 :: v_dual_lshlrev_b32 v2, 2, v0
	ds_bpermute_b32 v0, v2, v7
	s_wait_dscnt 0x0
	v_dual_max_num_f32 v0, v0, v0 :: v_dual_lshlrev_b32 v3, 2, v1
	s_delay_alu instid0(VALU_DEP_1) | instskip(SKIP_4) | instid1(VALU_DEP_1)
	v_dual_max_num_f32 v0, v4, v0 :: v_dual_bitop2_b32 v4, 4, v6 bitop3:0x14
	ds_bpermute_b32 v1, v3, v0
	v_cmp_gt_i32_e32 vcc_lo, 32, v4
	s_wait_dscnt 0x0
	v_dual_cndmask_b32 v4, v6, v4 :: v_dual_max_num_f32 v1, v1, v1
	v_dual_lshlrev_b32 v4, 2, v4 :: v_dual_max_num_f32 v0, v0, v1
	ds_bpermute_b32 v1, v4, v0
	s_wait_dscnt 0x0
	v_dual_max_num_f32 v1, v1, v1 :: v_dual_bitop2_b32 v5, 2, v6 bitop3:0x14
	s_delay_alu instid0(VALU_DEP_1) | instskip(NEXT) | instid1(VALU_DEP_2)
	v_cmp_gt_i32_e32 vcc_lo, 32, v5
	v_max_num_f32_e32 v0, v0, v1
	v_cndmask_b32_e32 v5, v6, v5, vcc_lo
	v_cmp_eq_u32_e32 vcc_lo, 0, v25
	s_delay_alu instid0(VALU_DEP_2)
	v_dual_lshlrev_b32 v1, 2, v5 :: v_dual_lshlrev_b32 v5, 2, v119
	ds_bpermute_b32 v6, v1, v0
	s_and_saveexec_b32 s1, vcc_lo
	s_cbranch_execz .LBB329_790
; %bb.789:
	s_wait_dscnt 0x0
	v_dual_max_num_f32 v6, v6, v6 :: v_dual_max_num_f32 v0, v0, v0
	s_delay_alu instid0(VALU_DEP_1)
	v_max_num_f32_e32 v0, v0, v6
	ds_store_b32 v5, v0 offset:384
.LBB329_790:
	s_or_b32 exec_lo, exec_lo, s1
	v_cmp_gt_u32_e64 s1, 4, v25
	v_mov_b32_e32 v0, 0xff7fffff
	s_wait_dscnt 0x0
	v_lshlrev_b32_e32 v6, 2, v25
	s_wait_storecnt 0x0
	s_barrier_signal -1
	s_barrier_wait -1
	s_and_saveexec_b32 s2, s1
; %bb.791:
	ds_load_b32 v0, v6 offset:384
; %bb.792:
	s_or_b32 exec_lo, exec_lo, s2
	s_wait_dscnt 0x0
	ds_bpermute_b32 v7, v1, v0
	v_mbcnt_lo_u32_b32 v9, -1, 0
	s_delay_alu instid0(VALU_DEP_1) | instskip(NEXT) | instid1(VALU_DEP_1)
	v_dual_max_num_f32 v0, v0, v0 :: v_dual_bitop2_b32 v8, 1, v9 bitop3:0x14
	v_cmp_gt_i32_e64 s2, 32, v8
	s_wait_dscnt 0x0
	s_delay_alu instid0(VALU_DEP_1) | instskip(NEXT) | instid1(VALU_DEP_1)
	v_dual_cndmask_b32 v8, v9, v8, s2 :: v_dual_max_num_f32 v7, v7, v7
	v_dual_max_num_f32 v0, v0, v7 :: v_dual_lshlrev_b32 v27, 2, v8
	ds_bpermute_b32 v7, v27, v0
	s_wait_dscnt 0x0
	v_max_num_f32_e32 v7, v7, v7
	s_delay_alu instid0(VALU_DEP_1) | instskip(SKIP_4) | instid1(VALU_DEP_1)
	v_dual_max_num_f32 v0, v0, v7 :: v_dual_mov_b32 v7, 0
	ds_bpermute_b32 v8, v7, v0
	scratch_load_b32 v0, off, s32 offset:192 ; 4-byte Folded Reload
	s_wait_loadcnt 0x0
	v_lshlrev_b32_e32 v0, 4, v0
	v_min_i32_e32 v0, v0, v99
	s_delay_alu instid0(VALU_DEP_1)
	v_cmp_lt_i32_e64 s2, v34, v0
	s_and_saveexec_b32 s10, s2
	s_cbranch_execz .LBB329_796
; %bb.793:
	s_wait_kmcnt 0x0
	s_ashr_i32 s7, s6, 31
	v_dual_mov_b32 v7, 0 :: v_dual_mov_b32 v12, v34
	s_lshl_b64 s[16:17], s[6:7], 2
	s_mov_b32 s7, 0
	s_add_nc_u64 s[16:17], s[8:9], s[16:17]
	s_load_b32 s3, s[16:17], 0x0
	s_wait_kmcnt 0x0
	v_lshl_add_u32 v9, v34, 2, s3
.LBB329_794:                            ; =>This Inner Loop Header: Depth=1
	ds_load_b32 v13, v9
	s_wait_dscnt 0x0
	v_sub_f32_e32 v13, v13, v8
	s_delay_alu instid0(VALU_DEP_1) | instskip(NEXT) | instid1(VALU_DEP_1)
	v_mul_f32_e32 v13, 0x3fb8aa3b, v13
	v_exp_f32_e32 v13, v13
	v_nop
	s_delay_alu instid0(TRANS32_DEP_1) | instskip(NEXT) | instid1(VALU_DEP_1)
	v_dual_add_f32 v7, v7, v13 :: v_dual_add_nc_u32 v12, 0x80, v12
	v_cmp_ge_i32_e64 s3, v12, v0
	ds_store_b32 v9, v13
	v_add_nc_u32_e32 v9, 0x200, v9
	s_or_b32 s7, s3, s7
	s_delay_alu instid0(SALU_CYCLE_1)
	s_and_not1_b32 exec_lo, exec_lo, s7
	s_cbranch_execnz .LBB329_794
; %bb.795:
	s_or_b32 exec_lo, exec_lo, s7
.LBB329_796:
	s_delay_alu instid0(SALU_CYCLE_1)
	s_or_b32 exec_lo, exec_lo, s10
	ds_bpermute_b32 v2, v2, v7
	s_wait_dscnt 0x0
	v_add_f32_e32 v2, v7, v2
	ds_bpermute_b32 v3, v3, v2
	s_wait_dscnt 0x0
	v_add_f32_e32 v2, v2, v3
	;; [unrolled: 3-line block ×5, first 2 shown]
	s_and_saveexec_b32 s3, vcc_lo
; %bb.797:
	ds_store_b32 v5, v2 offset:400
; %bb.798:
	s_or_b32 exec_lo, exec_lo, s3
	s_wait_dscnt 0x0
	s_barrier_signal -1
	s_barrier_wait -1
	s_and_saveexec_b32 s3, s1
; %bb.799:
	ds_load_b32 v2, v6 offset:400
; %bb.800:
	s_or_b32 exec_lo, exec_lo, s3
	s_wait_dscnt 0x0
	ds_bpermute_b32 v1, v1, v2
	s_wait_dscnt 0x0
	v_add_f32_e32 v1, v2, v1
	ds_bpermute_b32 v2, v27, v1
	s_wait_dscnt 0x0
	v_dual_add_f32 v1, v1, v2 :: v_dual_mov_b32 v2, 0
	ds_bpermute_b32 v1, v2, v1
	s_and_saveexec_b32 s1, s2
	s_cbranch_execz .LBB329_813
; %bb.801:
	s_wait_dscnt 0x0
	v_add_f32_e32 v1, 0x358637bd, v1
	s_mov_b32 s3, -1
	s_mov_b32 s2, exec_lo
	s_delay_alu instid0(VALU_DEP_1) | instskip(NEXT) | instid1(VALU_DEP_1)
	v_div_scale_f32 v2, null, v1, v1, 1.0
	v_rcp_f32_e32 v4, v2
	v_nop
	s_delay_alu instid0(TRANS32_DEP_1) | instskip(NEXT) | instid1(VALU_DEP_1)
	v_fma_f32 v3, -v2, v4, 1.0
	v_fmac_f32_e32 v4, v3, v4
	v_div_scale_f32 v5, vcc_lo, 1.0, v1, 1.0
	s_delay_alu instid0(VALU_DEP_1) | instskip(NEXT) | instid1(VALU_DEP_1)
	v_mul_f32_e32 v6, v5, v4
	v_fma_f32 v3, -v2, v6, v5
	s_delay_alu instid0(VALU_DEP_1) | instskip(SKIP_1) | instid1(VALU_DEP_2)
	v_fmac_f32_e32 v6, v3, v4
	v_xad_u32 v3, v34, -1, v0
	v_fma_f32 v2, -v2, v6, v5
	s_delay_alu instid0(VALU_DEP_1) | instskip(NEXT) | instid1(VALU_DEP_1)
	v_div_fmas_f32 v2, v2, v4, v6
	v_div_fixup_f32 v2, v2, v1, 1.0
	v_mov_b32_e32 v1, v34
	v_cmpx_lt_u32_e32 0x7f, v3
	s_cbranch_execz .LBB329_810
; %bb.802:
	s_delay_alu instid0(VALU_DEP_3) | instskip(NEXT) | instid1(VALU_DEP_1)
	v_dual_lshrrev_b32 v1, 7, v3 :: v_dual_mov_b32 v3, v2
	v_dual_mov_b32 v7, 0 :: v_dual_add_nc_u32 v4, -1, v1
	s_delay_alu instid0(VALU_DEP_1) | instskip(SKIP_1) | instid1(VALU_DEP_2)
	v_lshrrev_b32_e32 v5, 1, v4
	v_cmp_lt_u32_e32 vcc_lo, 13, v4
	v_add_nc_u32_e32 v4, 1, v5
	s_and_saveexec_b32 s3, vcc_lo
	s_cbranch_execz .LBB329_806
; %bb.803:
	s_wait_kmcnt 0x0
	s_ashr_i32 s7, s6, 31
	v_and_b32_e32 v5, -8, v4
	s_lshl_b64 s[10:11], s[6:7], 2
	s_delay_alu instid0(SALU_CYCLE_1)
	s_add_nc_u64 s[10:11], s[8:9], s[10:11]
	s_load_b32 s7, s[10:11], 0x0
	s_wait_xcnt 0x0
	s_mov_b32 s10, 0
	s_wait_kmcnt 0x0
	v_lshl_add_u32 v6, v34, 2, s7
	s_mov_b32 s7, 0
.LBB329_804:                            ; =>This Inner Loop Header: Depth=1
	ds_load_2addr_stride64_b32 v[8:9], v6 offset1:2
	ds_load_2addr_stride64_b32 v[28:29], v6 offset0:4 offset1:6
	ds_load_2addr_stride64_b32 v[12:13], v6 offset0:8 offset1:10
	;; [unrolled: 1-line block ×7, first 2 shown]
	s_add_co_i32 s10, s10, 16
	s_delay_alu instid0(SALU_CYCLE_1) | instskip(NEXT) | instid1(VALU_DEP_1)
	v_dual_add_nc_u32 v5, -8, v5 :: v_dual_mov_b32 v7, s10
	v_cmp_eq_u32_e32 vcc_lo, 0, v5
	s_or_b32 s7, vcc_lo, s7
	s_wait_dscnt 0x7
	v_pk_mul_f32 v[8:9], v[2:3], v[8:9]
	s_wait_dscnt 0x6
	v_pk_mul_f32 v[28:29], v[2:3], v[28:29]
	;; [unrolled: 2-line block ×8, first 2 shown]
	ds_store_2addr_stride64_b32 v6, v8, v9 offset1:2
	ds_store_2addr_stride64_b32 v6, v28, v29 offset0:4 offset1:6
	ds_store_2addr_stride64_b32 v6, v12, v13 offset0:8 offset1:10
	;; [unrolled: 1-line block ×7, first 2 shown]
	v_add_nc_u32_e32 v6, 0x2000, v6
	s_and_not1_b32 exec_lo, exec_lo, s7
	s_cbranch_execnz .LBB329_804
; %bb.805:
	s_or_b32 exec_lo, exec_lo, s7
.LBB329_806:
	s_delay_alu instid0(SALU_CYCLE_1) | instskip(NEXT) | instid1(VALU_DEP_1)
	s_or_b32 exec_lo, exec_lo, s3
	v_and_b32_e32 v4, 7, v4
	s_mov_b32 s10, 0
	s_mov_b32 s3, exec_lo
	s_delay_alu instid0(VALU_DEP_1)
	v_cmpx_ne_u32_e32 0, v4
	s_cbranch_execz .LBB329_809
; %bb.807:
	s_wait_kmcnt 0x0
	s_ashr_i32 s7, s6, 31
	v_dual_lshlrev_b32 v5, 9, v7 :: v_dual_lshlrev_b32 v6, 2, v34
	s_lshl_b64 s[16:17], s[6:7], 2
	s_delay_alu instid0(SALU_CYCLE_1)
	s_add_nc_u64 s[16:17], s[8:9], s[16:17]
	s_load_b32 s7, s[16:17], 0x0
	s_wait_kmcnt 0x0
	v_add3_u32 v5, v5, v6, s7
.LBB329_808:                            ; =>This Inner Loop Header: Depth=1
	ds_load_2addr_stride64_b32 v[6:7], v5 offset1:2
	v_add_nc_u32_e32 v4, -1, v4
	s_delay_alu instid0(VALU_DEP_1)
	v_cmp_eq_u32_e32 vcc_lo, 0, v4
	s_or_b32 s10, vcc_lo, s10
	s_wait_dscnt 0x0
	v_pk_mul_f32 v[6:7], v[2:3], v[6:7]
	ds_store_2addr_stride64_b32 v5, v6, v7 offset1:2
	v_add_nc_u32_e32 v5, 0x400, v5
	s_and_not1_b32 exec_lo, exec_lo, s10
	s_cbranch_execnz .LBB329_808
.LBB329_809:
	s_or_b32 exec_lo, exec_lo, s3
	v_add_nc_u32_e32 v1, 1, v1
	s_delay_alu instid0(VALU_DEP_1) | instskip(NEXT) | instid1(VALU_DEP_1)
	v_and_b32_e32 v3, 0x3fffffe, v1
	v_cmp_ne_u32_e32 vcc_lo, v1, v3
	v_lshl_add_u32 v1, v3, 7, v34
	s_or_not1_b32 s3, vcc_lo, exec_lo
.LBB329_810:
	s_or_b32 exec_lo, exec_lo, s2
	s_delay_alu instid0(SALU_CYCLE_1)
	s_and_b32 exec_lo, exec_lo, s3
	s_cbranch_execz .LBB329_813
; %bb.811:
	s_wait_kmcnt 0x0
	s_ashr_i32 s7, s6, 31
	s_delay_alu instid0(SALU_CYCLE_1) | instskip(NEXT) | instid1(SALU_CYCLE_1)
	s_lshl_b64 s[2:3], s[6:7], 2
	s_add_nc_u64 s[2:3], s[8:9], s[2:3]
	s_load_b32 s2, s[2:3], 0x0
	s_wait_kmcnt 0x0
	v_lshl_add_u32 v3, v1, 2, s2
	s_mov_b32 s2, 0
.LBB329_812:                            ; =>This Inner Loop Header: Depth=1
	ds_load_b32 v4, v3
	s_wait_dscnt 0x0
	v_dual_mul_f32 v4, v2, v4 :: v_dual_add_nc_u32 v1, 0x80, v1
	s_delay_alu instid0(VALU_DEP_1) | instskip(SKIP_3) | instid1(SALU_CYCLE_1)
	v_cmp_ge_i32_e32 vcc_lo, v1, v0
	ds_store_b32 v3, v4
	v_add_nc_u32_e32 v3, 0x200, v3
	s_or_b32 s2, vcc_lo, s2
	s_and_not1_b32 exec_lo, exec_lo, s2
	s_cbranch_execnz .LBB329_812
.LBB329_813:
	s_or_b32 exec_lo, exec_lo, s1
	s_wait_dscnt 0x0
	s_barrier_signal -1
	s_barrier_wait -1
	s_and_saveexec_b32 s1, s0
	s_delay_alu instid0(SALU_CYCLE_1)
	s_xor_b32 s0, exec_lo, s1
	s_cbranch_execz .LBB329_815
; %bb.814:
                                        ; implicit-def: $vgpr0
                                        ; kill: killed $vgpr0
	s_wait_kmcnt 0x0
	s_ashr_i32 s7, s6, 31
                                        ; implicit-def: $vgpr0
                                        ; kill: killed $vgpr0
                                        ; implicit-def: $vgpr99
                                        ; implicit-def: $vgpr102
                                        ; implicit-def: $vgpr100
                                        ; implicit-def: $vgpr26
                                        ; implicit-def: $vgpr48_vgpr49
                                        ; implicit-def: $vgpr10_vgpr11
                                        ; implicit-def: $vgpr36_vgpr37
                                        ; implicit-def: $vgpr50
                                        ; implicit-def: $vgpr52
                                        ; implicit-def: $vgpr24
                                        ; implicit-def: $vgpr39
                                        ; implicit-def: $vgpr38
                                        ; implicit-def: $vgpr0
	scratch_store_b64 off, v[0:1], s32 offset:284 ; 8-byte Folded Spill
                                        ; implicit-def: $vgpr0_vgpr1
                                        ; kill: killed $vgpr0_vgpr1
                                        ; implicit-def: $vgpr0_vgpr1
                                        ; kill: killed $vgpr0_vgpr1
                                        ; implicit-def: $vgpr0
                                        ; kill: killed $vgpr0
.LBB329_815:
	s_wait_xcnt 0x0
	s_or_saveexec_b32 s1, s0
	v_mov_b32_e32 v13, 0
	s_wait_kmcnt 0x0
	v_mov_b64_e32 v[2:3], s[6:7]
	s_delay_alu instid0(VALU_DEP_2)
	v_dual_mov_b32 v12, v13 :: v_dual_mov_b32 v21, v13
	v_dual_mov_b32 v20, v13 :: v_dual_mov_b32 v31, v13
	;; [unrolled: 1-line block ×5, first 2 shown]
	v_mov_b32_e32 v32, v13
	s_xor_b32 exec_lo, exec_lo, s1
	s_cbranch_execz .LBB329_1613
; %bb.816:
	v_dual_mov_b32 v5, v119 :: v_dual_max_i32 v68, v26, v52
	s_clause 0x1
	scratch_store_b32 off, v27, s32 offset:320
	scratch_store_b32 off, v25, s32 offset:308
	v_and_b32_e32 v26, 0xf8, v38
	v_dual_mov_b32 v52, v119 :: v_dual_bitop2_b32 v4, 1, v34 bitop3:0x40
	v_cvt_f32_u32_e32 v0, v68
	v_mov_b32_e32 v20, 0
	s_ashr_i32 s7, s6, 31
	s_delay_alu instid0(VALU_DEP_3)
	v_dual_lshlrev_b32 v4, 5, v4 :: v_dual_mov_b32 v32, 0
	v_mov_b32_e32 v33, 0
	v_rcp_iflag_f32_e32 v0, v0
	v_dual_mov_b32 v28, 0 :: v_dual_mov_b32 v29, 0
	v_dual_mov_b32 v14, 0 :: v_dual_mov_b32 v15, 0
	s_wait_xcnt 0x1
	v_dual_sub_nc_u32 v3, 0, v68 :: v_dual_mov_b32 v27, 0
	s_delay_alu instid0(TRANS32_DEP_1) | instskip(SKIP_3) | instid1(VALU_DEP_4)
	v_mul_f32_e32 v2, 0x4f7ffffe, v0
	v_dual_mov_b32 v30, 0 :: v_dual_bitop2_b32 v0, 8, v38 bitop3:0x40
	v_dual_mov_b32 v31, 0 :: v_dual_mov_b32 v21, 0
	v_mov_b32_e32 v12, 0
	v_cvt_u32_f32_e32 v2, v2
	v_lshl_or_b32 v54, v5, 6, v4
	v_mov_b32_e32 v13, 0
	s_lshl_b64 s[10:11], s[6:7], 2
	s_mov_b64 s[2:3], 0xffffffffffffff
	v_mul_lo_u32 v3, v3, v2
	s_mov_b32 s16, 0
	s_add_nc_u64 s[10:11], s[8:9], s[10:11]
	s_delay_alu instid0(VALU_DEP_1) | instskip(NEXT) | instid1(VALU_DEP_1)
	v_mul_hi_u32 v3, v2, v3
	v_dual_mov_b32 v7, v27 :: v_dual_add_nc_u32 v6, v2, v3
	scratch_store_b32 off, v0, s32 offset:292 ; 4-byte Folded Spill
	s_wait_xcnt 0x0
	v_add_nc_u64_e32 v[0:1], v[36:37], v[50:51]
	scratch_store_b64 off, v[6:7], s32 offset:244 ; 8-byte Folded Spill
	v_add_nc_u64_e32 v[0:1], v[0:1], v[26:27]
	v_and_b32_e32 v26, 0x7c, v39
	scratch_store_b64 off, v[0:1], s32 offset:300 ; 8-byte Folded Spill
	s_wait_xcnt 0x0
	v_lshl_add_u64 v[0:1], v[48:49], 2, v[26:27]
	s_delay_alu instid0(VALU_DEP_1)
	v_add_nc_u64_e32 v[10:11], v[10:11], v[0:1]
	s_branch .LBB329_819
.LBB329_817:                            ;   in Loop: Header=BB329_819 Depth=1
	s_or_b32 exec_lo, exec_lo, s0
	scratch_load_b128 v[2:5], off, s32 offset:268 th:TH_LOAD_LU ; 16-byte Folded Reload
	v_perm_b32 v8, v19, v25, 0x5040100
	v_perm_b32 v9, v64, v55, 0x5040100
	;; [unrolled: 1-line block ×4, first 2 shown]
	s_wait_loadcnt 0x0
	v_cvt_pk_bf16_f32 v7, v2, v3
	v_cvt_pk_bf16_f32 v6, v4, v5
	scratch_load_b128 v[2:5], off, s32 offset:252 th:TH_LOAD_LU ; 16-byte Folded Reload
	s_wait_loadcnt 0x0
	v_cvt_pk_bf16_f32 v3, v2, v3
	v_cvt_pk_bf16_f32 v2, v4, v5
	v_perm_b32 v4, v71, v80, 0x5040100
	v_perm_b32 v5, v65, v70, 0x5040100
	s_delay_alu instid0(VALU_DEP_4) | instskip(NEXT) | instid1(VALU_DEP_4)
	v_pk_mul_bf16 v8, v3, v8
	v_pk_mul_bf16 v9, v2, v9
	s_delay_alu instid0(VALU_DEP_4) | instskip(NEXT) | instid1(VALU_DEP_4)
	v_pk_mul_bf16 v4, v7, v4
	v_pk_mul_bf16 v5, v6, v5
	;; [unrolled: 1-line block ×4, first 2 shown]
	s_delay_alu instid0(VALU_DEP_4) | instskip(SKIP_1) | instid1(VALU_DEP_1)
	v_lshlrev_b32_e32 v19, 16, v4
	v_and_b32_e32 v4, 0xffff0000, v4
	v_dual_add_f32 v4, v19, v4 :: v_dual_lshlrev_b32 v19, 16, v5
	v_and_b32_e32 v5, 0xffff0000, v5
	s_delay_alu instid0(VALU_DEP_1) | instskip(NEXT) | instid1(VALU_DEP_1)
	v_add_f32_e32 v5, v19, v5
	v_dual_add_f32 v4, v4, v5 :: v_dual_lshlrev_b32 v5, 16, v8
	v_and_b32_e32 v8, 0xffff0000, v8
	s_delay_alu instid0(VALU_DEP_1) | instskip(SKIP_1) | instid1(VALU_DEP_2)
	v_add_f32_e32 v5, v5, v8
	v_and_b32_e32 v8, 0xffff0000, v9
	v_add_f32_e32 v4, v4, v5
	v_lshlrev_b32_e32 v5, 16, v9
	v_perm_b32 v9, v103, v101, 0x5040100
	s_delay_alu instid0(VALU_DEP_2) | instskip(SKIP_1) | instid1(VALU_DEP_3)
	v_add_f32_e32 v5, v5, v8
	v_perm_b32 v8, v18, v35, 0x5040100
	v_pk_mul_bf16 v9, v2, v9
	s_delay_alu instid0(VALU_DEP_3) | instskip(SKIP_1) | instid1(VALU_DEP_4)
	v_add_f32_e32 v4, v4, v5
	v_perm_b32 v5, v16, v17, 0x5040100
	v_pk_mul_bf16 v8, v3, v8
	s_delay_alu instid0(VALU_DEP_3) | instskip(SKIP_1) | instid1(VALU_DEP_4)
	v_add_f32_e32 v12, v12, v4
	v_perm_b32 v4, v67, v36, 0x5040100
	v_pk_mul_bf16 v5, v6, v5
	s_delay_alu instid0(VALU_DEP_2) | instskip(NEXT) | instid1(VALU_DEP_1)
	v_pk_mul_bf16 v4, v7, v4
	v_lshlrev_b32_e32 v16, 16, v4
	v_and_b32_e32 v4, 0xffff0000, v4
	s_delay_alu instid0(VALU_DEP_1) | instskip(SKIP_1) | instid1(VALU_DEP_1)
	v_dual_add_f32 v4, v16, v4 :: v_dual_lshlrev_b32 v16, 16, v5
	v_and_b32_e32 v5, 0xffff0000, v5
	v_add_f32_e32 v5, v16, v5
	s_delay_alu instid0(VALU_DEP_1) | instskip(SKIP_1) | instid1(VALU_DEP_1)
	v_dual_add_f32 v4, v4, v5 :: v_dual_lshlrev_b32 v5, 16, v8
	v_and_b32_e32 v8, 0xffff0000, v8
	v_add_f32_e32 v5, v5, v8
	v_and_b32_e32 v8, 0xffff0000, v9
	s_delay_alu instid0(VALU_DEP_2) | instskip(SKIP_2) | instid1(VALU_DEP_2)
	v_add_f32_e32 v4, v4, v5
	v_lshlrev_b32_e32 v5, 16, v9
	v_perm_b32 v9, v127, v126, 0x5040100
	v_add_f32_e32 v5, v5, v8
	v_perm_b32 v8, v22, v23, 0x5040100
	s_delay_alu instid0(VALU_DEP_3) | instskip(NEXT) | instid1(VALU_DEP_3)
	v_pk_mul_bf16 v9, v2, v9
	v_add_f32_e32 v4, v4, v5
	v_perm_b32 v5, v66, v97, 0x5040100
	s_delay_alu instid0(VALU_DEP_4) | instskip(NEXT) | instid1(VALU_DEP_3)
	v_pk_mul_bf16 v8, v3, v8
	v_add_f32_e32 v21, v21, v4
	v_perm_b32 v4, v69, v34, 0x5040100
	s_delay_alu instid0(VALU_DEP_4) | instskip(NEXT) | instid1(VALU_DEP_2)
	v_pk_mul_bf16 v5, v6, v5
	v_pk_mul_bf16 v4, v7, v4
	s_delay_alu instid0(VALU_DEP_1) | instskip(SKIP_1) | instid1(VALU_DEP_1)
	v_lshlrev_b32_e32 v16, 16, v4
	v_and_b32_e32 v4, 0xffff0000, v4
	v_dual_add_f32 v4, v16, v4 :: v_dual_lshlrev_b32 v16, 16, v5
	v_and_b32_e32 v5, 0xffff0000, v5
	s_delay_alu instid0(VALU_DEP_1) | instskip(NEXT) | instid1(VALU_DEP_1)
	v_add_f32_e32 v5, v16, v5
	v_dual_add_f32 v4, v4, v5 :: v_dual_lshlrev_b32 v5, 16, v8
	v_and_b32_e32 v8, 0xffff0000, v8
	s_delay_alu instid0(VALU_DEP_1) | instskip(SKIP_1) | instid1(VALU_DEP_2)
	v_add_f32_e32 v5, v5, v8
	v_and_b32_e32 v8, 0xffff0000, v9
	v_add_f32_e32 v4, v4, v5
	v_lshlrev_b32_e32 v5, 16, v9
	s_delay_alu instid0(VALU_DEP_1) | instskip(SKIP_1) | instid1(VALU_DEP_2)
	v_add_f32_e32 v5, v5, v8
	v_perm_b32 v8, v121, v120, 0x5040100
	v_add_f32_e32 v4, v4, v5
	v_perm_b32 v5, v122, v123, 0x5040100
	s_delay_alu instid0(VALU_DEP_3) | instskip(NEXT) | instid1(VALU_DEP_3)
	v_pk_mul_bf16 v8, v2, v8
	v_add_f32_e32 v20, v20, v4
	v_perm_b32 v4, v124, v125, 0x5040100
	s_delay_alu instid0(VALU_DEP_4) | instskip(NEXT) | instid1(VALU_DEP_2)
	v_pk_mul_bf16 v5, v6, v5
	v_pk_mul_bf16 v4, v7, v4
	s_delay_alu instid0(VALU_DEP_1) | instskip(SKIP_1) | instid1(VALU_DEP_1)
	v_lshlrev_b32_e32 v9, 16, v4
	v_and_b32_e32 v4, 0xffff0000, v4
	v_dual_add_f32 v4, v9, v4 :: v_dual_lshlrev_b32 v9, 16, v5
	v_and_b32_e32 v5, 0xffff0000, v5
	s_delay_alu instid0(VALU_DEP_1) | instskip(NEXT) | instid1(VALU_DEP_1)
	v_add_f32_e32 v5, v9, v5
	v_dual_add_f32 v4, v4, v5 :: v_dual_lshlrev_b32 v5, 16, v0
	v_and_b32_e32 v0, 0xffff0000, v0
	s_delay_alu instid0(VALU_DEP_1) | instskip(SKIP_1) | instid1(VALU_DEP_2)
	v_add_f32_e32 v0, v5, v0
	v_and_b32_e32 v5, 0xffff0000, v8
	v_add_f32_e32 v0, v4, v0
	v_lshlrev_b32_e32 v4, 16, v8
	s_delay_alu instid0(VALU_DEP_1) | instskip(SKIP_1) | instid1(VALU_DEP_2)
	v_add_f32_e32 v4, v4, v5
	v_perm_b32 v5, v107, v98, 0x5040100
	v_add_f32_e32 v0, v0, v4
	v_perm_b32 v4, v108, v109, 0x5040100
	s_delay_alu instid0(VALU_DEP_3) | instskip(NEXT) | instid1(VALU_DEP_3)
	v_pk_mul_bf16 v5, v2, v5
	v_add_f32_e32 v31, v31, v0
	v_perm_b32 v0, v110, v111, 0x5040100
	s_delay_alu instid0(VALU_DEP_4) | instskip(NEXT) | instid1(VALU_DEP_2)
	v_pk_mul_bf16 v4, v6, v4
	v_pk_mul_bf16 v0, v7, v0
	s_delay_alu instid0(VALU_DEP_1) | instskip(SKIP_1) | instid1(VALU_DEP_1)
	v_lshlrev_b32_e32 v8, 16, v0
	v_and_b32_e32 v0, 0xffff0000, v0
	v_add_f32_e32 v0, v8, v0
	v_lshlrev_b32_e32 v8, 16, v4
	v_and_b32_e32 v4, 0xffff0000, v4
	s_delay_alu instid0(VALU_DEP_1) | instskip(NEXT) | instid1(VALU_DEP_1)
	v_add_f32_e32 v4, v8, v4
	v_dual_add_f32 v0, v0, v4 :: v_dual_lshlrev_b32 v4, 16, v1
	v_and_b32_e32 v1, 0xffff0000, v1
	s_delay_alu instid0(VALU_DEP_1) | instskip(SKIP_1) | instid1(VALU_DEP_2)
	v_add_f32_e32 v1, v4, v1
	v_and_b32_e32 v4, 0xffff0000, v5
	v_add_f32_e32 v0, v0, v1
	v_lshlrev_b32_e32 v1, 16, v5
	v_perm_b32 v5, v94, v93, 0x5040100
	s_delay_alu instid0(VALU_DEP_2) | instskip(SKIP_1) | instid1(VALU_DEP_3)
	v_add_f32_e32 v1, v1, v4
	v_perm_b32 v4, v91, v92, 0x5040100
	v_pk_mul_bf16 v5, v2, v5
	s_delay_alu instid0(VALU_DEP_3) | instskip(SKIP_1) | instid1(VALU_DEP_4)
	v_add_f32_e32 v0, v0, v1
	v_perm_b32 v1, v95, v104, 0x5040100
	v_pk_mul_bf16 v4, v3, v4
	s_delay_alu instid0(VALU_DEP_3) | instskip(SKIP_1) | instid1(VALU_DEP_4)
	v_add_f32_e32 v30, v30, v0
	v_perm_b32 v0, v105, v106, 0x5040100
	v_pk_mul_bf16 v1, v6, v1
	s_delay_alu instid0(VALU_DEP_2) | instskip(NEXT) | instid1(VALU_DEP_1)
	v_pk_mul_bf16 v0, v7, v0
	v_lshlrev_b32_e32 v8, 16, v0
	v_and_b32_e32 v0, 0xffff0000, v0
	s_delay_alu instid0(VALU_DEP_1) | instskip(SKIP_1) | instid1(VALU_DEP_1)
	v_dual_add_f32 v0, v8, v0 :: v_dual_lshlrev_b32 v8, 16, v1
	v_and_b32_e32 v1, 0xffff0000, v1
	v_add_f32_e32 v1, v8, v1
	s_delay_alu instid0(VALU_DEP_1) | instskip(SKIP_1) | instid1(VALU_DEP_1)
	v_dual_add_f32 v0, v0, v1 :: v_dual_lshlrev_b32 v1, 16, v4
	v_and_b32_e32 v4, 0xffff0000, v4
	v_add_f32_e32 v1, v1, v4
	v_and_b32_e32 v4, 0xffff0000, v5
	s_delay_alu instid0(VALU_DEP_2) | instskip(SKIP_2) | instid1(VALU_DEP_2)
	v_add_f32_e32 v0, v0, v1
	v_lshlrev_b32_e32 v1, 16, v5
	v_perm_b32 v5, v78, v77, 0x5040100
	v_add_f32_e32 v1, v1, v4
	v_perm_b32 v4, v75, v76, 0x5040100
	s_delay_alu instid0(VALU_DEP_3) | instskip(NEXT) | instid1(VALU_DEP_3)
	v_pk_mul_bf16 v5, v2, v5
	v_add_f32_e32 v0, v0, v1
	v_perm_b32 v1, v79, v88, 0x5040100
	s_delay_alu instid0(VALU_DEP_4) | instskip(NEXT) | instid1(VALU_DEP_3)
	v_pk_mul_bf16 v4, v3, v4
	v_add_f32_e32 v15, v15, v0
	v_perm_b32 v0, v89, v90, 0x5040100
	s_delay_alu instid0(VALU_DEP_4) | instskip(NEXT) | instid1(VALU_DEP_2)
	v_pk_mul_bf16 v1, v6, v1
	v_pk_mul_bf16 v0, v7, v0
	s_delay_alu instid0(VALU_DEP_1) | instskip(SKIP_1) | instid1(VALU_DEP_1)
	v_lshlrev_b32_e32 v8, 16, v0
	v_and_b32_e32 v0, 0xffff0000, v0
	v_dual_add_f32 v0, v8, v0 :: v_dual_lshlrev_b32 v8, 16, v1
	v_and_b32_e32 v1, 0xffff0000, v1
	s_delay_alu instid0(VALU_DEP_1) | instskip(NEXT) | instid1(VALU_DEP_1)
	v_add_f32_e32 v1, v8, v1
	v_dual_add_f32 v0, v0, v1 :: v_dual_lshlrev_b32 v1, 16, v4
	v_and_b32_e32 v4, 0xffff0000, v4
	s_delay_alu instid0(VALU_DEP_1) | instskip(SKIP_1) | instid1(VALU_DEP_2)
	v_add_f32_e32 v1, v1, v4
	v_and_b32_e32 v4, 0xffff0000, v5
	v_add_f32_e32 v0, v0, v1
	v_lshlrev_b32_e32 v1, 16, v5
	v_perm_b32 v5, v62, v61, 0x5040100
	s_delay_alu instid0(VALU_DEP_2) | instskip(SKIP_1) | instid1(VALU_DEP_3)
	v_add_f32_e32 v1, v1, v4
	v_perm_b32 v4, v59, v60, 0x5040100
	v_pk_mul_bf16 v5, v2, v5
	s_delay_alu instid0(VALU_DEP_3) | instskip(SKIP_1) | instid1(VALU_DEP_4)
	v_add_f32_e32 v0, v0, v1
	v_perm_b32 v1, v63, v72, 0x5040100
	v_pk_mul_bf16 v4, v3, v4
	s_delay_alu instid0(VALU_DEP_3) | instskip(SKIP_1) | instid1(VALU_DEP_4)
	v_add_f32_e32 v14, v14, v0
	v_perm_b32 v0, v73, v74, 0x5040100
	v_pk_mul_bf16 v1, v6, v1
	s_delay_alu instid0(VALU_DEP_2) | instskip(NEXT) | instid1(VALU_DEP_1)
	v_pk_mul_bf16 v0, v7, v0
	v_lshlrev_b32_e32 v8, 16, v0
	v_and_b32_e32 v0, 0xffff0000, v0
	s_delay_alu instid0(VALU_DEP_1) | instskip(SKIP_1) | instid1(VALU_DEP_1)
	v_dual_add_f32 v0, v8, v0 :: v_dual_lshlrev_b32 v8, 16, v1
	v_and_b32_e32 v1, 0xffff0000, v1
	v_add_f32_e32 v1, v8, v1
	s_delay_alu instid0(VALU_DEP_1) | instskip(SKIP_1) | instid1(VALU_DEP_1)
	v_dual_add_f32 v0, v0, v1 :: v_dual_lshlrev_b32 v1, 16, v4
	v_and_b32_e32 v4, 0xffff0000, v4
	v_add_f32_e32 v1, v1, v4
	v_and_b32_e32 v4, 0xffff0000, v5
	s_delay_alu instid0(VALU_DEP_2) | instskip(SKIP_2) | instid1(VALU_DEP_2)
	v_add_f32_e32 v0, v0, v1
	v_lshlrev_b32_e32 v1, 16, v5
	v_perm_b32 v5, v46, v45, 0x5040100
	v_add_f32_e32 v1, v1, v4
	v_perm_b32 v4, v43, v44, 0x5040100
	s_delay_alu instid0(VALU_DEP_3) | instskip(NEXT) | instid1(VALU_DEP_3)
	v_pk_mul_bf16 v5, v2, v5
	v_add_f32_e32 v0, v0, v1
	v_perm_b32 v1, v47, v56, 0x5040100
	s_delay_alu instid0(VALU_DEP_4) | instskip(NEXT) | instid1(VALU_DEP_3)
	v_pk_mul_bf16 v4, v3, v4
	v_add_f32_e32 v29, v29, v0
	v_perm_b32 v0, v57, v58, 0x5040100
	s_delay_alu instid0(VALU_DEP_4) | instskip(NEXT) | instid1(VALU_DEP_2)
	v_pk_mul_bf16 v1, v6, v1
	v_pk_mul_bf16 v0, v7, v0
	s_delay_alu instid0(VALU_DEP_1) | instskip(SKIP_1) | instid1(VALU_DEP_1)
	v_lshlrev_b32_e32 v8, 16, v0
	v_and_b32_e32 v0, 0xffff0000, v0
	v_dual_add_f32 v0, v8, v0 :: v_dual_lshlrev_b32 v8, 16, v1
	v_and_b32_e32 v1, 0xffff0000, v1
	s_delay_alu instid0(VALU_DEP_1) | instskip(NEXT) | instid1(VALU_DEP_1)
	v_add_f32_e32 v1, v8, v1
	v_dual_add_f32 v0, v0, v1 :: v_dual_lshlrev_b32 v1, 16, v4
	v_and_b32_e32 v4, 0xffff0000, v4
	s_delay_alu instid0(VALU_DEP_1) | instskip(SKIP_1) | instid1(VALU_DEP_2)
	v_add_f32_e32 v1, v1, v4
	v_and_b32_e32 v4, 0xffff0000, v5
	v_add_f32_e32 v0, v0, v1
	v_lshlrev_b32_e32 v1, 16, v5
	v_perm_b32 v5, v86, v85, 0x5040100
	s_delay_alu instid0(VALU_DEP_2) | instskip(SKIP_1) | instid1(VALU_DEP_3)
	v_add_f32_e32 v1, v1, v4
	v_perm_b32 v4, v83, v84, 0x5040100
	v_pk_mul_bf16 v5, v2, v5
	s_delay_alu instid0(VALU_DEP_3) | instskip(SKIP_1) | instid1(VALU_DEP_4)
	v_add_f32_e32 v0, v0, v1
	v_perm_b32 v1, v87, v112, 0x5040100
	v_pk_mul_bf16 v4, v3, v4
	s_delay_alu instid0(VALU_DEP_3) | instskip(SKIP_1) | instid1(VALU_DEP_4)
	v_add_f32_e32 v28, v28, v0
	v_perm_b32 v0, v113, v114, 0x5040100
	v_pk_mul_bf16 v1, v6, v1
	s_delay_alu instid0(VALU_DEP_2) | instskip(NEXT) | instid1(VALU_DEP_1)
	v_pk_mul_bf16 v0, v7, v0
	v_lshlrev_b32_e32 v8, 16, v0
	v_and_b32_e32 v0, 0xffff0000, v0
	s_delay_alu instid0(VALU_DEP_1) | instskip(SKIP_1) | instid1(VALU_DEP_1)
	v_dual_add_f32 v0, v8, v0 :: v_dual_lshlrev_b32 v8, 16, v1
	v_and_b32_e32 v1, 0xffff0000, v1
	v_add_f32_e32 v1, v8, v1
	s_delay_alu instid0(VALU_DEP_1) | instskip(SKIP_1) | instid1(VALU_DEP_1)
	v_dual_add_f32 v0, v0, v1 :: v_dual_lshlrev_b32 v1, 16, v4
	v_and_b32_e32 v4, 0xffff0000, v4
	v_add_f32_e32 v1, v1, v4
	v_and_b32_e32 v4, 0xffff0000, v5
	s_delay_alu instid0(VALU_DEP_2) | instskip(SKIP_1) | instid1(VALU_DEP_1)
	v_add_f32_e32 v0, v0, v1
	v_lshlrev_b32_e32 v1, 16, v5
	v_add_f32_e32 v1, v1, v4
	s_delay_alu instid0(VALU_DEP_1) | instskip(NEXT) | instid1(VALU_DEP_1)
	v_add_f32_e32 v0, v0, v1
	v_add_f32_e32 v33, v33, v0
	s_clause 0x1
	scratch_load_b32 v0, off, s32 offset:236 th:TH_LOAD_LU
	scratch_load_b32 v1, off, s32 offset:240 th:TH_LOAD_LU
	s_wait_loadcnt 0x0
	v_perm_b32 v0, v0, v1, 0x5040100
	s_clause 0x1
	scratch_load_b32 v1, off, s32 offset:228 th:TH_LOAD_LU
	scratch_load_b32 v4, off, s32 offset:232 th:TH_LOAD_LU
	v_pk_mul_bf16 v0, v7, v0
	s_wait_loadcnt 0x0
	v_perm_b32 v1, v1, v4, 0x5040100
	s_clause 0x1
	scratch_load_b32 v4, off, s32 offset:212 th:TH_LOAD_LU
	scratch_load_b32 v5, off, s32 offset:216 th:TH_LOAD_LU
	v_pk_mul_bf16 v1, v6, v1
	;; [unrolled: 6-line block ×3, first 2 shown]
	s_wait_loadcnt 0x0
	v_perm_b32 v5, v8, v5, 0x5040100
	v_lshlrev_b32_e32 v8, 16, v0
	v_and_b32_e32 v0, 0xffff0000, v0
	s_delay_alu instid0(VALU_DEP_3) | instskip(NEXT) | instid1(VALU_DEP_2)
	v_pk_mul_bf16 v5, v2, v5
	v_dual_add_f32 v0, v8, v0 :: v_dual_lshlrev_b32 v8, 16, v1
	v_and_b32_e32 v1, 0xffff0000, v1
	s_delay_alu instid0(VALU_DEP_1) | instskip(NEXT) | instid1(VALU_DEP_1)
	v_add_f32_e32 v1, v8, v1
	v_dual_add_f32 v0, v0, v1 :: v_dual_lshlrev_b32 v1, 16, v4
	v_and_b32_e32 v4, 0xffff0000, v4
	s_delay_alu instid0(VALU_DEP_1) | instskip(SKIP_1) | instid1(VALU_DEP_2)
	v_add_f32_e32 v1, v1, v4
	v_and_b32_e32 v4, 0xffff0000, v5
	v_add_f32_e32 v0, v0, v1
	v_lshlrev_b32_e32 v1, 16, v5
	s_delay_alu instid0(VALU_DEP_1) | instskip(NEXT) | instid1(VALU_DEP_1)
	v_add_f32_e32 v1, v1, v4
	v_add_f32_e32 v0, v0, v1
	s_delay_alu instid0(VALU_DEP_1) | instskip(SKIP_1) | instid1(VALU_DEP_1)
	v_add_f32_e32 v32, v32, v0
	v_perm_b32 v0, v50, v51, 0x5040100
	v_pk_mul_bf16 v1, v7, v0
	v_perm_b32 v0, v48, v49, 0x5040100
	s_delay_alu instid0(VALU_DEP_1) | instskip(SKIP_1) | instid1(VALU_DEP_1)
	v_pk_mul_bf16 v4, v6, v0
	v_perm_b32 v0, v37, v39, 0x5040100
	v_pk_mul_bf16 v5, v3, v0
	v_perm_b32 v0, v38, v26, 0x5040100
	s_delay_alu instid0(VALU_DEP_4) | instskip(NEXT) | instid1(VALU_DEP_2)
	v_lshlrev_b32_e32 v3, 16, v4
	v_pk_mul_bf16 v6, v2, v0
	v_and_b32_e32 v0, 0xffff0000, v1
	v_lshlrev_b32_e32 v2, 16, v1
	v_and_b32_e32 v1, 0xffff0000, v4
	v_lshlrev_b32_e32 v4, 16, v5
	s_delay_alu instid0(VALU_DEP_2) | instskip(SKIP_2) | instid1(VALU_DEP_3)
	v_pk_add_f32 v[0:1], v[2:3], v[0:1]
	v_and_b32_e32 v2, 0xffff0000, v5
	v_and_b32_e32 v3, 0xffff0000, v6
	v_dual_add_f32 v0, v0, v1 :: v_dual_lshlrev_b32 v5, 16, v6
	s_delay_alu instid0(VALU_DEP_1) | instskip(NEXT) | instid1(VALU_DEP_1)
	v_pk_add_f32 v[2:3], v[4:5], v[2:3]
	v_add_f32_e32 v0, v0, v2
	s_delay_alu instid0(VALU_DEP_1) | instskip(NEXT) | instid1(VALU_DEP_1)
	v_add_f32_e32 v0, v0, v3
	v_add_f32_e32 v13, v13, v0
.LBB329_818:                            ;   in Loop: Header=BB329_819 Depth=1
	s_wait_xcnt 0x0
	s_or_b32 exec_lo, exec_lo, s17
	scratch_load_b32 v0, off, s32 offset:192 ; 4-byte Folded Reload
	v_add_nc_u32_e32 v52, 4, v52
	v_add_nc_u64_e32 v[10:11], 16, v[10:11]
	v_add_nc_u32_e32 v24, 64, v24
	v_add_nc_u32_e32 v54, 0x100, v54
	s_wait_loadcnt 0x0
	v_cmp_ge_i32_e32 vcc_lo, v52, v0
	s_or_b32 s16, vcc_lo, s16
	s_wait_xcnt 0x0
	s_and_not1_b32 exec_lo, exec_lo, s16
	s_cbranch_execz .LBB329_1612
.LBB329_819:                            ; =>This Inner Loop Header: Depth=1
	scratch_load_b64 v[0:1], off, s32 offset:196 ; 8-byte Folded Reload
	v_mov_b32_e32 v25, v27
	s_wait_loadcnt 0x0
	s_delay_alu instid0(VALU_DEP_1) | instskip(NEXT) | instid1(VALU_DEP_1)
	v_mul_u64_e32 v[0:1], v[24:25], v[0:1]
	v_mul_lo_u32 v0, v1, v100
	s_delay_alu instid0(VALU_DEP_1) | instskip(NEXT) | instid1(VALU_DEP_1)
	v_dual_sub_nc_u32 v0, v24, v0 :: v_dual_add_nc_u32 v2, 1, v1
	v_sub_nc_u32_e32 v3, v0, v100
	v_cmp_ge_u32_e32 vcc_lo, v0, v100
	s_delay_alu instid0(VALU_DEP_2) | instskip(NEXT) | instid1(VALU_DEP_1)
	v_dual_cndmask_b32 v1, v1, v2 :: v_dual_cndmask_b32 v0, v0, v3
	v_add_nc_u32_e32 v2, 1, v1
	s_delay_alu instid0(VALU_DEP_2) | instskip(NEXT) | instid1(VALU_DEP_2)
	v_cmp_ge_u32_e32 vcc_lo, v0, v100
	v_cndmask_b32_e32 v0, v1, v2, vcc_lo
	s_delay_alu instid0(VALU_DEP_1) | instskip(NEXT) | instid1(VALU_DEP_1)
	v_xor_b32_e32 v0, v0, v102
	v_sub_nc_u32_e32 v2, v0, v102
	scratch_load_b32 v0, off, s32 offset:204 ; 4-byte Folded Reload
	s_wait_loadcnt 0x0
	v_add_nc_u32_e32 v3, v2, v0
	s_delay_alu instid0(VALU_DEP_1) | instskip(NEXT) | instid1(VALU_DEP_1)
	v_sub_nc_u32_e32 v0, 0, v3
	v_max_i32_e32 v26, v3, v0
	scratch_load_b64 v[0:1], off, s32 offset:244 ; 8-byte Folded Reload
	s_wait_loadcnt 0x0
	v_mul_u64_e32 v[0:1], v[26:27], v[0:1]
	s_delay_alu instid0(VALU_DEP_1) | instskip(NEXT) | instid1(VALU_DEP_1)
	v_mul_lo_u32 v0, v1, v68
	v_sub_nc_u32_e32 v0, v26, v0
	s_delay_alu instid0(VALU_DEP_1) | instskip(SKIP_1) | instid1(VALU_DEP_2)
	v_sub_nc_u32_e32 v1, v0, v68
	v_cmp_ge_u32_e32 vcc_lo, v0, v68
	v_dual_cndmask_b32 v0, v0, v1 :: v_dual_ashrrev_i32 v3, 31, v3
	s_delay_alu instid0(VALU_DEP_1) | instskip(SKIP_1) | instid1(VALU_DEP_2)
	v_sub_nc_u32_e32 v1, v0, v68
	v_cmp_ge_u32_e32 vcc_lo, v0, v68
	v_cndmask_b32_e32 v0, v0, v1, vcc_lo
	s_delay_alu instid0(VALU_DEP_1) | instskip(NEXT) | instid1(VALU_DEP_1)
	v_xor_b32_e32 v0, v0, v3
	v_sub_nc_u32_e32 v0, v0, v3
	s_delay_alu instid0(VALU_DEP_1)
	v_cmp_eq_u32_e32 vcc_lo, 0, v0
	scratch_load_b32 v0, off, s32 offset:208 ; 4-byte Folded Reload
	s_wait_loadcnt 0x0
	v_cmp_gt_i32_e64 s0, v2, v0
	s_or_b32 s0, vcc_lo, s0
	s_wait_xcnt 0x0
	s_and_saveexec_b32 s17, s0
	s_cbranch_execz .LBB329_818
; %bb.820:                              ;   in Loop: Header=BB329_819 Depth=1
	flat_load_b32 v0, v[10:11]
	s_clause 0x1
	scratch_load_b64 v[2:3], off, s32 offset:284
	scratch_load_b64 v[4:5], off, s32 offset:300
	s_wait_loadcnt_dscnt 0x0
	v_mad_nc_i64_i32 v[38:39], v0, v2, v[4:5]
	flat_load_b64 v[48:49], v[38:39]
	scratch_load_b64 v[0:1], off, s32 offset:312 ; 8-byte Folded Reload
	s_load_b32 s0, s[10:11], 0x0
	s_wait_loadcnt 0x0
	flat_load_b32 v82, v[0:1]
	s_wait_kmcnt 0x0
	v_add_nc_u32_e32 v0, s0, v54
	s_mov_b32 s0, exec_lo
	ds_load_2addr_b64 v[2:5], v0 offset1:1
	s_wait_dscnt 0x0
	scratch_store_b128 off, v[2:5], s32 offset:268 ; 16-byte Folded Spill
	s_wait_xcnt 0x0
	ds_load_2addr_b64 v[0:3], v0 offset0:2 offset1:3
	s_wait_dscnt 0x0
	scratch_store_b128 off, v[0:3], s32 offset:252 ; 16-byte Folded Spill
	s_wait_xcnt 0x0
	v_and_b32_e32 v2, 0xff, v48
	v_dual_mov_b32 v1, 0 :: v_dual_mov_b32 v0, 0
	s_delay_alu instid0(VALU_DEP_2)
	v_cmpx_ne_u16_e32 0, v2
	s_cbranch_execz .LBB329_828
; %bb.821:                              ;   in Loop: Header=BB329_819 Depth=1
	v_bfrev_b32_e32 v0, 1
	s_mov_b32 s18, exec_lo
	v_cmpx_ne_u16_e32 0x80, v2
	s_cbranch_execz .LBB329_827
; %bb.822:                              ;   in Loop: Header=BB329_819 Depth=1
	v_and_b32_e32 v2, 0x7f, v48
	v_mov_b32_e32 v0, 0x7f800001
	s_mov_b32 s19, exec_lo
	s_delay_alu instid0(VALU_DEP_2)
	v_cmpx_ne_u32_e32 0x7f, v2
	s_cbranch_execz .LBB329_826
; %bb.823:                              ;   in Loop: Header=BB329_819 Depth=1
	v_mov_b64_e32 v[50:51], v[48:49]
	v_lshrrev_b32_e32 v0, 3, v2
	s_mov_b32 s20, exec_lo
	v_cmpx_gt_u32_e32 8, v2
; %bb.824:                              ;   in Loop: Header=BB329_819 Depth=1
	v_and_b32_e32 v0, 7, v48
	s_delay_alu instid0(VALU_DEP_1) | instskip(NEXT) | instid1(VALU_DEP_1)
	v_clz_i32_u32_e32 v0, v0
	v_min_u32_e32 v0, 32, v0
	s_delay_alu instid0(VALU_DEP_1) | instskip(SKIP_1) | instid1(VALU_DEP_2)
	v_subrev_nc_u32_e32 v2, 28, v0
	v_sub_nc_u32_e32 v0, 29, v0
	v_lshlrev_b64_e32 v[50:51], v2, v[48:49]
; %bb.825:                              ;   in Loop: Header=BB329_819 Depth=1
	s_or_b32 exec_lo, exec_lo, s20
	s_delay_alu instid0(VALU_DEP_1) | instskip(NEXT) | instid1(VALU_DEP_3)
	v_dual_lshlrev_b32 v2, 20, v50 :: v_dual_lshlrev_b32 v3, 24, v48
	v_lshl_add_u32 v0, v0, 23, 0x3c000000
	s_delay_alu instid0(VALU_DEP_2) | instskip(NEXT) | instid1(VALU_DEP_3)
	v_and_b32_e32 v2, 0x700000, v2
	v_and_b32_e32 v3, 0x80000000, v3
	s_delay_alu instid0(VALU_DEP_1)
	v_or3_b32 v0, v2, v3, v0
.LBB329_826:                            ;   in Loop: Header=BB329_819 Depth=1
	s_or_b32 exec_lo, exec_lo, s19
.LBB329_827:                            ;   in Loop: Header=BB329_819 Depth=1
	s_delay_alu instid0(SALU_CYCLE_1)
	s_or_b32 exec_lo, exec_lo, s18
.LBB329_828:                            ;   in Loop: Header=BB329_819 Depth=1
	s_delay_alu instid0(SALU_CYCLE_1) | instskip(SKIP_2) | instid1(VALU_DEP_1)
	s_or_b32 exec_lo, exec_lo, s0
	v_lshrrev_b16 v2, 8, v48
	s_mov_b32 s0, exec_lo
	v_cmpx_ne_u16_e32 0, v2
	s_cbranch_execz .LBB329_836
; %bb.829:                              ;   in Loop: Header=BB329_819 Depth=1
	v_bfrev_b32_e32 v1, 1
	s_mov_b32 s18, exec_lo
	v_cmpx_ne_u16_e32 0x80, v2
	s_cbranch_execz .LBB329_835
; %bb.830:                              ;   in Loop: Header=BB329_819 Depth=1
	v_and_b32_e32 v3, 0xffff, v2
	v_mov_b32_e32 v1, 0x7f800001
	s_mov_b32 s19, exec_lo
	s_delay_alu instid0(VALU_DEP_2) | instskip(NEXT) | instid1(VALU_DEP_1)
	v_and_b32_e32 v2, 0x7f, v3
	v_cmpx_ne_u32_e32 0x7f, v2
	s_cbranch_execz .LBB329_834
; %bb.831:                              ;   in Loop: Header=BB329_819 Depth=1
	v_dual_lshrrev_b32 v1, 3, v2 :: v_dual_bitop2_b32 v26, 7, v3 bitop3:0x40
	s_mov_b32 s20, exec_lo
	v_cmpx_gt_u32_e32 8, v2
; %bb.832:                              ;   in Loop: Header=BB329_819 Depth=1
	s_delay_alu instid0(VALU_DEP_2) | instskip(NEXT) | instid1(VALU_DEP_1)
	v_clz_i32_u32_e32 v1, v26
	v_min_u32_e32 v1, 32, v1
	s_delay_alu instid0(VALU_DEP_1) | instskip(NEXT) | instid1(VALU_DEP_1)
	v_subrev_nc_u32_e32 v2, 28, v1
	v_lshlrev_b64_e32 v[2:3], v2, v[26:27]
	s_delay_alu instid0(VALU_DEP_1)
	v_dual_sub_nc_u32 v1, 29, v1 :: v_dual_bitop2_b32 v26, 7, v2 bitop3:0x40
; %bb.833:                              ;   in Loop: Header=BB329_819 Depth=1
	s_or_b32 exec_lo, exec_lo, s20
	s_delay_alu instid0(VALU_DEP_1) | instskip(NEXT) | instid1(VALU_DEP_2)
	v_dual_lshlrev_b32 v2, 16, v48 :: v_dual_lshlrev_b32 v3, 20, v26
	v_lshl_add_u32 v1, v1, 23, 0x3c000000
	s_delay_alu instid0(VALU_DEP_2) | instskip(NEXT) | instid1(VALU_DEP_1)
	v_and_b32_e32 v2, 0x80000000, v2
	v_or3_b32 v1, v3, v2, v1
.LBB329_834:                            ;   in Loop: Header=BB329_819 Depth=1
	s_or_b32 exec_lo, exec_lo, s19
.LBB329_835:                            ;   in Loop: Header=BB329_819 Depth=1
	s_delay_alu instid0(SALU_CYCLE_1)
	s_or_b32 exec_lo, exec_lo, s18
.LBB329_836:                            ;   in Loop: Header=BB329_819 Depth=1
	s_delay_alu instid0(SALU_CYCLE_1) | instskip(SKIP_3) | instid1(VALU_DEP_2)
	s_or_b32 exec_lo, exec_lo, s0
	v_dual_mov_b32 v17, 0 :: v_dual_lshrrev_b32 v2, 16, v48
	v_mov_b32_e32 v16, 0
	s_mov_b32 s0, exec_lo
	v_and_b32_e32 v3, 0xff, v2
	s_delay_alu instid0(VALU_DEP_1)
	v_cmpx_ne_u16_e32 0, v3
	s_cbranch_execz .LBB329_844
; %bb.837:                              ;   in Loop: Header=BB329_819 Depth=1
	v_bfrev_b32_e32 v16, 1
	s_mov_b32 s18, exec_lo
	v_cmpx_ne_u16_e32 0x80, v3
	s_cbranch_execz .LBB329_843
; %bb.838:                              ;   in Loop: Header=BB329_819 Depth=1
	v_bfe_u32 v4, v48, 16, 7
	v_mov_b32_e32 v16, 0x7f800001
	s_mov_b32 s19, exec_lo
	s_delay_alu instid0(VALU_DEP_2)
	v_cmpx_ne_u32_e32 0x7f, v4
	s_cbranch_execz .LBB329_842
; %bb.839:                              ;   in Loop: Header=BB329_819 Depth=1
	v_dual_lshrrev_b32 v3, 3, v4 :: v_dual_bitop2_b32 v26, 7, v2 bitop3:0x40
	s_mov_b32 s20, exec_lo
	v_cmpx_gt_u32_e32 8, v4
; %bb.840:                              ;   in Loop: Header=BB329_819 Depth=1
	s_delay_alu instid0(VALU_DEP_2) | instskip(NEXT) | instid1(VALU_DEP_1)
	v_clz_i32_u32_e32 v3, v26
	v_min_u32_e32 v3, 32, v3
	s_delay_alu instid0(VALU_DEP_1) | instskip(NEXT) | instid1(VALU_DEP_1)
	v_subrev_nc_u32_e32 v4, 28, v3
	v_lshlrev_b64_e32 v[4:5], v4, v[26:27]
	s_delay_alu instid0(VALU_DEP_1)
	v_dual_sub_nc_u32 v3, 29, v3 :: v_dual_bitop2_b32 v26, 7, v4 bitop3:0x40
; %bb.841:                              ;   in Loop: Header=BB329_819 Depth=1
	s_or_b32 exec_lo, exec_lo, s20
	v_lshlrev_b32_e32 v2, 24, v2
	s_delay_alu instid0(VALU_DEP_2) | instskip(NEXT) | instid1(VALU_DEP_3)
	v_lshlrev_b32_e32 v4, 20, v26
	v_lshl_add_u32 v3, v3, 23, 0x3c000000
	s_delay_alu instid0(VALU_DEP_3) | instskip(NEXT) | instid1(VALU_DEP_1)
	v_and_b32_e32 v2, 0x80000000, v2
	v_or3_b32 v16, v4, v2, v3
.LBB329_842:                            ;   in Loop: Header=BB329_819 Depth=1
	s_or_b32 exec_lo, exec_lo, s19
.LBB329_843:                            ;   in Loop: Header=BB329_819 Depth=1
	s_delay_alu instid0(SALU_CYCLE_1)
	s_or_b32 exec_lo, exec_lo, s18
.LBB329_844:                            ;   in Loop: Header=BB329_819 Depth=1
	s_delay_alu instid0(SALU_CYCLE_1) | instskip(NEXT) | instid1(SALU_CYCLE_1)
	s_or_b32 exec_lo, exec_lo, s0
	s_mov_b32 s0, exec_lo
	v_cmpx_lt_u32_e32 0xffffff, v48
	s_cbranch_execz .LBB329_852
; %bb.845:                              ;   in Loop: Header=BB329_819 Depth=1
	v_lshrrev_b32_e32 v2, 24, v48
	v_bfrev_b32_e32 v17, 1
	s_mov_b32 s18, exec_lo
	s_delay_alu instid0(VALU_DEP_2)
	v_cmpx_ne_u32_e32 0x80, v2
	s_cbranch_execz .LBB329_851
; %bb.846:                              ;   in Loop: Header=BB329_819 Depth=1
	v_bfe_u32 v4, v48, 24, 7
	v_mov_b32_e32 v17, 0x7f800001
	s_mov_b32 s19, exec_lo
	s_delay_alu instid0(VALU_DEP_2)
	v_cmpx_ne_u32_e32 0x7f, v4
	s_cbranch_execz .LBB329_850
; %bb.847:                              ;   in Loop: Header=BB329_819 Depth=1
	v_dual_lshrrev_b32 v3, 3, v4 :: v_dual_bitop2_b32 v26, 7, v2 bitop3:0x40
	s_mov_b32 s20, exec_lo
	v_cmpx_gt_u32_e32 8, v4
; %bb.848:                              ;   in Loop: Header=BB329_819 Depth=1
	s_delay_alu instid0(VALU_DEP_2) | instskip(NEXT) | instid1(VALU_DEP_1)
	v_clz_i32_u32_e32 v3, v26
	v_min_u32_e32 v3, 32, v3
	s_delay_alu instid0(VALU_DEP_1) | instskip(NEXT) | instid1(VALU_DEP_1)
	v_subrev_nc_u32_e32 v4, 28, v3
	v_lshlrev_b64_e32 v[4:5], v4, v[26:27]
	s_delay_alu instid0(VALU_DEP_1)
	v_dual_sub_nc_u32 v3, 29, v3 :: v_dual_bitop2_b32 v26, 7, v4 bitop3:0x40
; %bb.849:                              ;   in Loop: Header=BB329_819 Depth=1
	s_or_b32 exec_lo, exec_lo, s20
	v_lshlrev_b32_e32 v2, 24, v2
	s_delay_alu instid0(VALU_DEP_2) | instskip(NEXT) | instid1(VALU_DEP_3)
	v_lshlrev_b32_e32 v4, 20, v26
	v_lshl_add_u32 v3, v3, 23, 0x3c000000
	s_delay_alu instid0(VALU_DEP_3) | instskip(NEXT) | instid1(VALU_DEP_1)
	v_and_b32_e32 v2, 0x80000000, v2
	v_or3_b32 v17, v4, v2, v3
.LBB329_850:                            ;   in Loop: Header=BB329_819 Depth=1
	s_or_b32 exec_lo, exec_lo, s19
.LBB329_851:                            ;   in Loop: Header=BB329_819 Depth=1
	s_delay_alu instid0(SALU_CYCLE_1)
	s_or_b32 exec_lo, exec_lo, s18
.LBB329_852:                            ;   in Loop: Header=BB329_819 Depth=1
	s_delay_alu instid0(SALU_CYCLE_1) | instskip(SKIP_4) | instid1(VALU_DEP_3)
	s_or_b32 exec_lo, exec_lo, s0
	v_and_b32_e32 v4, 0xff, v49
	v_dual_mov_b32 v26, v49 :: v_dual_mov_b32 v3, 0
	v_mov_b32_e32 v2, 0
	s_mov_b32 s0, exec_lo
	v_cmpx_ne_u16_e32 0, v4
	s_cbranch_execz .LBB329_860
; %bb.853:                              ;   in Loop: Header=BB329_819 Depth=1
	v_bfrev_b32_e32 v2, 1
	s_mov_b32 s18, exec_lo
	v_cmpx_ne_u16_e32 0x80, v4
	s_cbranch_execz .LBB329_859
; %bb.854:                              ;   in Loop: Header=BB329_819 Depth=1
	v_and_b32_e32 v4, 0x7f, v49
	v_mov_b32_e32 v2, 0x7f800001
	s_mov_b32 s19, exec_lo
	s_delay_alu instid0(VALU_DEP_2)
	v_cmpx_ne_u32_e32 0x7f, v4
	s_cbranch_execz .LBB329_858
; %bb.855:                              ;   in Loop: Header=BB329_819 Depth=1
	v_mov_b64_e32 v[50:51], v[26:27]
	v_lshrrev_b32_e32 v2, 3, v4
	s_mov_b32 s20, exec_lo
	v_cmpx_gt_u32_e32 8, v4
; %bb.856:                              ;   in Loop: Header=BB329_819 Depth=1
	v_and_b32_e32 v2, 7, v49
	s_delay_alu instid0(VALU_DEP_1) | instskip(NEXT) | instid1(VALU_DEP_1)
	v_clz_i32_u32_e32 v2, v2
	v_min_u32_e32 v2, 32, v2
	s_delay_alu instid0(VALU_DEP_1) | instskip(SKIP_1) | instid1(VALU_DEP_2)
	v_subrev_nc_u32_e32 v4, 28, v2
	v_sub_nc_u32_e32 v2, 29, v2
	v_lshlrev_b64_e32 v[50:51], v4, v[26:27]
; %bb.857:                              ;   in Loop: Header=BB329_819 Depth=1
	s_or_b32 exec_lo, exec_lo, s20
	s_delay_alu instid0(VALU_DEP_1) | instskip(SKIP_2) | instid1(VALU_DEP_3)
	v_lshlrev_b32_e32 v4, 20, v50
	v_lshlrev_b32_e32 v5, 24, v26
	v_lshl_add_u32 v2, v2, 23, 0x3c000000
	v_and_b32_e32 v4, 0x700000, v4
	s_delay_alu instid0(VALU_DEP_3) | instskip(NEXT) | instid1(VALU_DEP_1)
	v_and_b32_e32 v5, 0x80000000, v5
	v_or3_b32 v2, v4, v5, v2
.LBB329_858:                            ;   in Loop: Header=BB329_819 Depth=1
	s_or_b32 exec_lo, exec_lo, s19
.LBB329_859:                            ;   in Loop: Header=BB329_819 Depth=1
	s_delay_alu instid0(SALU_CYCLE_1)
	s_or_b32 exec_lo, exec_lo, s18
.LBB329_860:                            ;   in Loop: Header=BB329_819 Depth=1
	s_delay_alu instid0(SALU_CYCLE_1) | instskip(SKIP_2) | instid1(VALU_DEP_1)
	s_or_b32 exec_lo, exec_lo, s0
	v_lshrrev_b16 v4, 8, v26
	s_mov_b32 s0, exec_lo
	v_cmpx_ne_u16_e32 0, v4
	s_cbranch_execz .LBB329_868
; %bb.861:                              ;   in Loop: Header=BB329_819 Depth=1
	v_bfrev_b32_e32 v3, 1
	s_mov_b32 s18, exec_lo
	v_cmpx_ne_u16_e32 0x80, v4
	s_cbranch_execz .LBB329_867
; %bb.862:                              ;   in Loop: Header=BB329_819 Depth=1
	v_and_b32_e32 v5, 0xffff, v4
	v_mov_b32_e32 v3, 0x7f800001
	s_mov_b32 s19, exec_lo
	s_delay_alu instid0(VALU_DEP_2) | instskip(NEXT) | instid1(VALU_DEP_1)
	v_and_b32_e32 v4, 0x7f, v5
	v_cmpx_ne_u32_e32 0x7f, v4
	s_cbranch_execz .LBB329_866
; %bb.863:                              ;   in Loop: Header=BB329_819 Depth=1
	v_dual_mov_b32 v51, v27 :: v_dual_bitop2_b32 v50, 7, v5 bitop3:0x40
	v_lshrrev_b32_e32 v3, 3, v4
	s_mov_b32 s20, exec_lo
	v_cmpx_gt_u32_e32 8, v4
; %bb.864:                              ;   in Loop: Header=BB329_819 Depth=1
	s_delay_alu instid0(VALU_DEP_3) | instskip(NEXT) | instid1(VALU_DEP_1)
	v_clz_i32_u32_e32 v3, v50
	v_min_u32_e32 v3, 32, v3
	s_delay_alu instid0(VALU_DEP_1) | instskip(NEXT) | instid1(VALU_DEP_1)
	v_subrev_nc_u32_e32 v4, 28, v3
	v_lshlrev_b64_e32 v[4:5], v4, v[50:51]
	s_delay_alu instid0(VALU_DEP_1)
	v_dual_sub_nc_u32 v3, 29, v3 :: v_dual_bitop2_b32 v50, 7, v4 bitop3:0x40
; %bb.865:                              ;   in Loop: Header=BB329_819 Depth=1
	s_or_b32 exec_lo, exec_lo, s20
	v_lshlrev_b32_e32 v4, 16, v26
	s_delay_alu instid0(VALU_DEP_2) | instskip(NEXT) | instid1(VALU_DEP_3)
	v_lshlrev_b32_e32 v5, 20, v50
	v_lshl_add_u32 v3, v3, 23, 0x3c000000
	s_delay_alu instid0(VALU_DEP_3) | instskip(NEXT) | instid1(VALU_DEP_1)
	v_and_b32_e32 v4, 0x80000000, v4
	v_or3_b32 v3, v5, v4, v3
.LBB329_866:                            ;   in Loop: Header=BB329_819 Depth=1
	s_or_b32 exec_lo, exec_lo, s19
.LBB329_867:                            ;   in Loop: Header=BB329_819 Depth=1
	s_delay_alu instid0(SALU_CYCLE_1)
	s_or_b32 exec_lo, exec_lo, s18
.LBB329_868:                            ;   in Loop: Header=BB329_819 Depth=1
	s_delay_alu instid0(SALU_CYCLE_1) | instskip(SKIP_3) | instid1(VALU_DEP_2)
	s_or_b32 exec_lo, exec_lo, s0
	v_dual_lshrrev_b32 v6, 16, v49 :: v_dual_mov_b32 v4, 0
	v_mov_b32_e32 v5, 0
	s_mov_b32 s0, exec_lo
	v_and_b32_e32 v7, 0xff, v6
	s_delay_alu instid0(VALU_DEP_1)
	v_cmpx_ne_u16_e32 0, v7
	s_cbranch_execz .LBB329_876
; %bb.869:                              ;   in Loop: Header=BB329_819 Depth=1
	v_bfrev_b32_e32 v5, 1
	s_mov_b32 s18, exec_lo
	v_cmpx_ne_u16_e32 0x80, v7
	s_cbranch_execz .LBB329_875
; %bb.870:                              ;   in Loop: Header=BB329_819 Depth=1
	v_bfe_u32 v7, v49, 16, 7
	v_mov_b32_e32 v5, 0x7f800001
	s_mov_b32 s19, exec_lo
	s_delay_alu instid0(VALU_DEP_2)
	v_cmpx_ne_u32_e32 0x7f, v7
	s_cbranch_execz .LBB329_874
; %bb.871:                              ;   in Loop: Header=BB329_819 Depth=1
	v_dual_lshrrev_b32 v5, 3, v7 :: v_dual_bitop2_b32 v26, 7, v6 bitop3:0x40
	s_mov_b32 s20, exec_lo
	v_cmpx_gt_u32_e32 8, v7
; %bb.872:                              ;   in Loop: Header=BB329_819 Depth=1
	s_delay_alu instid0(VALU_DEP_2) | instskip(NEXT) | instid1(VALU_DEP_1)
	v_clz_i32_u32_e32 v5, v26
	v_min_u32_e32 v5, 32, v5
	s_delay_alu instid0(VALU_DEP_1) | instskip(NEXT) | instid1(VALU_DEP_1)
	v_subrev_nc_u32_e32 v7, 28, v5
	v_lshlrev_b64_e32 v[8:9], v7, v[26:27]
	s_delay_alu instid0(VALU_DEP_1)
	v_dual_sub_nc_u32 v5, 29, v5 :: v_dual_bitop2_b32 v26, 7, v8 bitop3:0x40
; %bb.873:                              ;   in Loop: Header=BB329_819 Depth=1
	s_or_b32 exec_lo, exec_lo, s20
	v_lshlrev_b32_e32 v6, 24, v6
	s_delay_alu instid0(VALU_DEP_2) | instskip(NEXT) | instid1(VALU_DEP_3)
	v_lshlrev_b32_e32 v7, 20, v26
	v_lshl_add_u32 v5, v5, 23, 0x3c000000
	s_delay_alu instid0(VALU_DEP_3) | instskip(NEXT) | instid1(VALU_DEP_1)
	v_and_b32_e32 v6, 0x80000000, v6
	v_or3_b32 v5, v7, v6, v5
.LBB329_874:                            ;   in Loop: Header=BB329_819 Depth=1
	s_or_b32 exec_lo, exec_lo, s19
.LBB329_875:                            ;   in Loop: Header=BB329_819 Depth=1
	s_delay_alu instid0(SALU_CYCLE_1)
	s_or_b32 exec_lo, exec_lo, s18
.LBB329_876:                            ;   in Loop: Header=BB329_819 Depth=1
	s_delay_alu instid0(SALU_CYCLE_1) | instskip(NEXT) | instid1(SALU_CYCLE_1)
	s_or_b32 exec_lo, exec_lo, s0
	s_mov_b32 s0, exec_lo
	v_cmpx_lt_u64_e64 s[2:3], v[48:49]
	s_cbranch_execz .LBB329_884
; %bb.877:                              ;   in Loop: Header=BB329_819 Depth=1
	v_lshrrev_b32_e32 v6, 24, v49
	v_bfrev_b32_e32 v4, 1
	s_mov_b32 s18, exec_lo
	s_delay_alu instid0(VALU_DEP_2)
	v_cmpx_ne_u32_e32 0x80, v6
	s_cbranch_execz .LBB329_883
; %bb.878:                              ;   in Loop: Header=BB329_819 Depth=1
	v_bfe_u32 v7, v49, 24, 7
	v_mov_b32_e32 v4, 0x7f800001
	s_mov_b32 s19, exec_lo
	s_delay_alu instid0(VALU_DEP_2)
	v_cmpx_ne_u32_e32 0x7f, v7
	s_cbranch_execz .LBB329_882
; %bb.879:                              ;   in Loop: Header=BB329_819 Depth=1
	v_dual_lshrrev_b32 v4, 3, v7 :: v_dual_bitop2_b32 v26, 7, v6 bitop3:0x40
	s_mov_b32 s20, exec_lo
	v_cmpx_gt_u32_e32 8, v7
; %bb.880:                              ;   in Loop: Header=BB329_819 Depth=1
	s_delay_alu instid0(VALU_DEP_2) | instskip(NEXT) | instid1(VALU_DEP_1)
	v_clz_i32_u32_e32 v4, v26
	v_min_u32_e32 v4, 32, v4
	s_delay_alu instid0(VALU_DEP_1) | instskip(SKIP_1) | instid1(VALU_DEP_2)
	v_subrev_nc_u32_e32 v7, 28, v4
	v_sub_nc_u32_e32 v4, 29, v4
	v_lshlrev_b64_e32 v[8:9], v7, v[26:27]
	s_delay_alu instid0(VALU_DEP_1)
	v_and_b32_e32 v26, 7, v8
; %bb.881:                              ;   in Loop: Header=BB329_819 Depth=1
	s_or_b32 exec_lo, exec_lo, s20
	v_lshlrev_b32_e32 v6, 24, v6
	s_delay_alu instid0(VALU_DEP_2) | instskip(SKIP_1) | instid1(VALU_DEP_3)
	v_lshlrev_b32_e32 v7, 20, v26
	v_lshl_add_u32 v4, v4, 23, 0x3c000000
	v_and_b32_e32 v6, 0x80000000, v6
	s_delay_alu instid0(VALU_DEP_1)
	v_or3_b32 v4, v7, v6, v4
.LBB329_882:                            ;   in Loop: Header=BB329_819 Depth=1
	s_or_b32 exec_lo, exec_lo, s19
.LBB329_883:                            ;   in Loop: Header=BB329_819 Depth=1
	s_delay_alu instid0(SALU_CYCLE_1)
	s_or_b32 exec_lo, exec_lo, s18
.LBB329_884:                            ;   in Loop: Header=BB329_819 Depth=1
	s_delay_alu instid0(SALU_CYCLE_1)
	s_or_b32 exec_lo, exec_lo, s0
	s_clause 0x1
	scratch_load_b32 v6, off, s32 offset:192
	scratch_load_b32 v7, off, s32 offset:292
	s_wait_loadcnt 0x2
	v_fma_mixlo_bf16 v3, v82, v3, 0
	v_fma_mixlo_bf16 v2, v82, v2, 0
	;; [unrolled: 1-line block ×4, first 2 shown]
	s_clause 0x1
	scratch_store_b32 off, v3, s32 offset:212
	scratch_store_b32 off, v0, s32 offset:240
	s_wait_xcnt 0x0
	v_fma_mixlo_bf16 v0, v82, v5, 0
	s_clause 0x1
	scratch_store_b32 off, v2, s32 offset:216
	scratch_store_b32 off, v1, s32 offset:236
	s_wait_xcnt 0x1
	v_fma_mixlo_bf16 v2, v82, v17, 0
	scratch_store_b32 off, v0, s32 offset:220 ; 4-byte Folded Spill
	s_wait_xcnt 0x0
	v_fma_mixlo_bf16 v0, v82, v4, 0
	scratch_store_b32 off, v2, s32 offset:228 ; 4-byte Folded Spill
	s_wait_xcnt 0x0
	v_fma_mixlo_bf16 v2, v82, v16, 0
	s_clause 0x1
	scratch_store_b32 off, v0, s32 offset:224
	scratch_store_b32 off, v2, s32 offset:232
	s_wait_loadcnt 0x0
	v_dual_add_nc_u32 v6, -1, v6 :: v_dual_add_nc_u32 v118, v7, v24
	s_delay_alu instid0(VALU_DEP_1) | instskip(NEXT) | instid1(VALU_DEP_2)
	v_cmp_eq_u32_e32 vcc_lo, v6, v52
	v_dual_add_nc_u32 v42, 1, v118 :: v_dual_add_nc_u32 v41, 2, v118
	v_dual_add_nc_u32 v40, 3, v118 :: v_dual_add_nc_u32 v119, 4, v118
	;; [unrolled: 1-line block ×3, first 2 shown]
	v_add_nc_u32_e32 v115, 7, v118
	s_wait_xcnt 0x0
	s_and_saveexec_b32 s18, vcc_lo
	s_cbranch_execz .LBB329_886
; %bb.885:                              ;   in Loop: Header=BB329_819 Depth=1
	scratch_load_b32 v0, off, s32 offset:240 ; 4-byte Folded Reload
	v_cmp_lt_i32_e64 s0, v118, v99
	s_wait_loadcnt 0x0
	s_delay_alu instid0(VALU_DEP_1)
	v_cndmask_b32_e64 v0, 0, v0, s0
	v_cmp_lt_i32_e64 s0, v42, v99
	s_clause 0x1
	scratch_store_b32 off, v0, s32 offset:240
	scratch_load_b32 v0, off, s32 offset:236
	s_wait_loadcnt 0x0
	v_cndmask_b32_e64 v0, 0, v0, s0
	v_cmp_lt_i32_e64 s0, v41, v99
	s_clause 0x1
	scratch_store_b32 off, v0, s32 offset:236
	scratch_load_b32 v0, off, s32 offset:232
	s_wait_loadcnt 0x0
	v_cndmask_b32_e64 v0, 0, v0, s0
	v_cmp_lt_i32_e64 s0, v40, v99
	s_clause 0x1
	scratch_store_b32 off, v0, s32 offset:232
	scratch_load_b32 v0, off, s32 offset:228
	s_wait_loadcnt 0x0
	v_cndmask_b32_e64 v0, 0, v0, s0
	v_cmp_lt_i32_e64 s0, v119, v99
	s_clause 0x1
	scratch_store_b32 off, v0, s32 offset:228
	scratch_load_b32 v0, off, s32 offset:216
	s_wait_loadcnt 0x0
	v_cndmask_b32_e64 v0, 0, v0, s0
	v_cmp_lt_i32_e64 s0, v117, v99
	s_clause 0x1
	scratch_store_b32 off, v0, s32 offset:216
	scratch_load_b32 v0, off, s32 offset:212
	s_wait_loadcnt 0x0
	v_cndmask_b32_e64 v0, 0, v0, s0
	v_cmp_lt_i32_e64 s0, v116, v99
	s_clause 0x1
	scratch_store_b32 off, v0, s32 offset:212
	scratch_load_b32 v0, off, s32 offset:220
	s_wait_loadcnt 0x0
	v_cndmask_b32_e64 v0, 0, v0, s0
	v_cmp_lt_i32_e64 s0, v115, v99
	s_clause 0x1
	scratch_store_b32 off, v0, s32 offset:220
	scratch_load_b32 v0, off, s32 offset:224
	s_wait_loadcnt 0x0
	v_cndmask_b32_e64 v0, 0, v0, s0
	scratch_store_b32 off, v0, s32 offset:224 ; 4-byte Folded Spill
.LBB329_886:                            ;   in Loop: Header=BB329_819 Depth=1
	s_wait_xcnt 0x0
	s_or_b32 exec_lo, exec_lo, s18
	flat_load_b64 v[48:49], v[38:39] offset:256
	v_dual_mov_b32 v1, 0 :: v_dual_mov_b32 v0, 0
	s_mov_b32 s18, exec_lo
	s_wait_loadcnt_dscnt 0x0
	v_and_b32_e32 v2, 0xff, v48
	s_wait_xcnt 0x0
	s_delay_alu instid0(VALU_DEP_1)
	v_cmpx_ne_u16_e32 0, v2
	s_cbranch_execz .LBB329_894
; %bb.887:                              ;   in Loop: Header=BB329_819 Depth=1
	v_bfrev_b32_e32 v0, 1
	s_mov_b32 s19, exec_lo
	v_cmpx_ne_u16_e32 0x80, v2
	s_cbranch_execz .LBB329_893
; %bb.888:                              ;   in Loop: Header=BB329_819 Depth=1
	v_and_b32_e32 v2, 0x7f, v48
	v_mov_b32_e32 v0, 0x7f800001
	s_mov_b32 s20, exec_lo
	s_delay_alu instid0(VALU_DEP_2)
	v_cmpx_ne_u32_e32 0x7f, v2
	s_cbranch_execz .LBB329_892
; %bb.889:                              ;   in Loop: Header=BB329_819 Depth=1
	v_mov_b64_e32 v[50:51], v[48:49]
	v_lshrrev_b32_e32 v0, 3, v2
	s_mov_b32 s21, exec_lo
	v_cmpx_gt_u32_e32 8, v2
; %bb.890:                              ;   in Loop: Header=BB329_819 Depth=1
	v_and_b32_e32 v0, 7, v48
	s_delay_alu instid0(VALU_DEP_1) | instskip(NEXT) | instid1(VALU_DEP_1)
	v_clz_i32_u32_e32 v0, v0
	v_min_u32_e32 v0, 32, v0
	s_delay_alu instid0(VALU_DEP_1) | instskip(SKIP_1) | instid1(VALU_DEP_2)
	v_subrev_nc_u32_e32 v2, 28, v0
	v_sub_nc_u32_e32 v0, 29, v0
	v_lshlrev_b64_e32 v[50:51], v2, v[48:49]
; %bb.891:                              ;   in Loop: Header=BB329_819 Depth=1
	s_or_b32 exec_lo, exec_lo, s21
	s_delay_alu instid0(VALU_DEP_1) | instskip(NEXT) | instid1(VALU_DEP_3)
	v_dual_lshlrev_b32 v2, 20, v50 :: v_dual_lshlrev_b32 v3, 24, v48
	v_lshl_add_u32 v0, v0, 23, 0x3c000000
	s_delay_alu instid0(VALU_DEP_2) | instskip(NEXT) | instid1(VALU_DEP_3)
	v_and_b32_e32 v2, 0x700000, v2
	v_and_b32_e32 v3, 0x80000000, v3
	s_delay_alu instid0(VALU_DEP_1)
	v_or3_b32 v0, v2, v3, v0
.LBB329_892:                            ;   in Loop: Header=BB329_819 Depth=1
	s_or_b32 exec_lo, exec_lo, s20
.LBB329_893:                            ;   in Loop: Header=BB329_819 Depth=1
	s_delay_alu instid0(SALU_CYCLE_1)
	s_or_b32 exec_lo, exec_lo, s19
.LBB329_894:                            ;   in Loop: Header=BB329_819 Depth=1
	s_delay_alu instid0(SALU_CYCLE_1) | instskip(SKIP_2) | instid1(VALU_DEP_1)
	s_or_b32 exec_lo, exec_lo, s18
	v_lshrrev_b16 v2, 8, v48
	s_mov_b32 s18, exec_lo
	v_cmpx_ne_u16_e32 0, v2
	s_cbranch_execz .LBB329_902
; %bb.895:                              ;   in Loop: Header=BB329_819 Depth=1
	v_bfrev_b32_e32 v1, 1
	s_mov_b32 s19, exec_lo
	v_cmpx_ne_u16_e32 0x80, v2
	s_cbranch_execz .LBB329_901
; %bb.896:                              ;   in Loop: Header=BB329_819 Depth=1
	v_and_b32_e32 v3, 0xffff, v2
	v_mov_b32_e32 v1, 0x7f800001
	s_mov_b32 s20, exec_lo
	s_delay_alu instid0(VALU_DEP_2) | instskip(NEXT) | instid1(VALU_DEP_1)
	v_and_b32_e32 v2, 0x7f, v3
	v_cmpx_ne_u32_e32 0x7f, v2
	s_cbranch_execz .LBB329_900
; %bb.897:                              ;   in Loop: Header=BB329_819 Depth=1
	v_dual_lshrrev_b32 v1, 3, v2 :: v_dual_bitop2_b32 v26, 7, v3 bitop3:0x40
	s_mov_b32 s21, exec_lo
	v_cmpx_gt_u32_e32 8, v2
; %bb.898:                              ;   in Loop: Header=BB329_819 Depth=1
	s_delay_alu instid0(VALU_DEP_2) | instskip(NEXT) | instid1(VALU_DEP_1)
	v_clz_i32_u32_e32 v1, v26
	v_min_u32_e32 v1, 32, v1
	s_delay_alu instid0(VALU_DEP_1) | instskip(NEXT) | instid1(VALU_DEP_1)
	v_subrev_nc_u32_e32 v2, 28, v1
	v_lshlrev_b64_e32 v[2:3], v2, v[26:27]
	s_delay_alu instid0(VALU_DEP_1)
	v_dual_sub_nc_u32 v1, 29, v1 :: v_dual_bitop2_b32 v26, 7, v2 bitop3:0x40
; %bb.899:                              ;   in Loop: Header=BB329_819 Depth=1
	s_or_b32 exec_lo, exec_lo, s21
	s_delay_alu instid0(VALU_DEP_1) | instskip(NEXT) | instid1(VALU_DEP_2)
	v_dual_lshlrev_b32 v2, 16, v48 :: v_dual_lshlrev_b32 v3, 20, v26
	v_lshl_add_u32 v1, v1, 23, 0x3c000000
	s_delay_alu instid0(VALU_DEP_2) | instskip(NEXT) | instid1(VALU_DEP_1)
	v_and_b32_e32 v2, 0x80000000, v2
	v_or3_b32 v1, v3, v2, v1
.LBB329_900:                            ;   in Loop: Header=BB329_819 Depth=1
	s_or_b32 exec_lo, exec_lo, s20
.LBB329_901:                            ;   in Loop: Header=BB329_819 Depth=1
	s_delay_alu instid0(SALU_CYCLE_1)
	s_or_b32 exec_lo, exec_lo, s19
.LBB329_902:                            ;   in Loop: Header=BB329_819 Depth=1
	s_delay_alu instid0(SALU_CYCLE_1) | instskip(SKIP_3) | instid1(VALU_DEP_2)
	s_or_b32 exec_lo, exec_lo, s18
	v_dual_mov_b32 v17, 0 :: v_dual_lshrrev_b32 v2, 16, v48
	v_mov_b32_e32 v16, 0
	s_mov_b32 s18, exec_lo
	v_and_b32_e32 v3, 0xff, v2
	s_delay_alu instid0(VALU_DEP_1)
	v_cmpx_ne_u16_e32 0, v3
	s_cbranch_execz .LBB329_910
; %bb.903:                              ;   in Loop: Header=BB329_819 Depth=1
	v_bfrev_b32_e32 v16, 1
	s_mov_b32 s19, exec_lo
	v_cmpx_ne_u16_e32 0x80, v3
	s_cbranch_execz .LBB329_909
; %bb.904:                              ;   in Loop: Header=BB329_819 Depth=1
	v_bfe_u32 v4, v48, 16, 7
	v_mov_b32_e32 v16, 0x7f800001
	s_mov_b32 s20, exec_lo
	s_delay_alu instid0(VALU_DEP_2)
	v_cmpx_ne_u32_e32 0x7f, v4
	s_cbranch_execz .LBB329_908
; %bb.905:                              ;   in Loop: Header=BB329_819 Depth=1
	v_dual_lshrrev_b32 v3, 3, v4 :: v_dual_bitop2_b32 v26, 7, v2 bitop3:0x40
	s_mov_b32 s21, exec_lo
	v_cmpx_gt_u32_e32 8, v4
; %bb.906:                              ;   in Loop: Header=BB329_819 Depth=1
	s_delay_alu instid0(VALU_DEP_2) | instskip(NEXT) | instid1(VALU_DEP_1)
	v_clz_i32_u32_e32 v3, v26
	v_min_u32_e32 v3, 32, v3
	s_delay_alu instid0(VALU_DEP_1) | instskip(NEXT) | instid1(VALU_DEP_1)
	v_subrev_nc_u32_e32 v4, 28, v3
	v_lshlrev_b64_e32 v[4:5], v4, v[26:27]
	s_delay_alu instid0(VALU_DEP_1)
	v_dual_sub_nc_u32 v3, 29, v3 :: v_dual_bitop2_b32 v26, 7, v4 bitop3:0x40
; %bb.907:                              ;   in Loop: Header=BB329_819 Depth=1
	s_or_b32 exec_lo, exec_lo, s21
	v_lshlrev_b32_e32 v2, 24, v2
	s_delay_alu instid0(VALU_DEP_2) | instskip(NEXT) | instid1(VALU_DEP_3)
	v_lshlrev_b32_e32 v4, 20, v26
	v_lshl_add_u32 v3, v3, 23, 0x3c000000
	s_delay_alu instid0(VALU_DEP_3) | instskip(NEXT) | instid1(VALU_DEP_1)
	v_and_b32_e32 v2, 0x80000000, v2
	v_or3_b32 v16, v4, v2, v3
.LBB329_908:                            ;   in Loop: Header=BB329_819 Depth=1
	s_or_b32 exec_lo, exec_lo, s20
.LBB329_909:                            ;   in Loop: Header=BB329_819 Depth=1
	s_delay_alu instid0(SALU_CYCLE_1)
	s_or_b32 exec_lo, exec_lo, s19
.LBB329_910:                            ;   in Loop: Header=BB329_819 Depth=1
	s_delay_alu instid0(SALU_CYCLE_1) | instskip(NEXT) | instid1(SALU_CYCLE_1)
	s_or_b32 exec_lo, exec_lo, s18
	s_mov_b32 s18, exec_lo
	v_cmpx_lt_u32_e32 0xffffff, v48
	s_cbranch_execz .LBB329_918
; %bb.911:                              ;   in Loop: Header=BB329_819 Depth=1
	v_lshrrev_b32_e32 v2, 24, v48
	v_bfrev_b32_e32 v17, 1
	s_mov_b32 s19, exec_lo
	s_delay_alu instid0(VALU_DEP_2)
	v_cmpx_ne_u32_e32 0x80, v2
	s_cbranch_execz .LBB329_917
; %bb.912:                              ;   in Loop: Header=BB329_819 Depth=1
	v_bfe_u32 v4, v48, 24, 7
	v_mov_b32_e32 v17, 0x7f800001
	s_mov_b32 s20, exec_lo
	s_delay_alu instid0(VALU_DEP_2)
	v_cmpx_ne_u32_e32 0x7f, v4
	s_cbranch_execz .LBB329_916
; %bb.913:                              ;   in Loop: Header=BB329_819 Depth=1
	v_dual_lshrrev_b32 v3, 3, v4 :: v_dual_bitop2_b32 v26, 7, v2 bitop3:0x40
	s_mov_b32 s21, exec_lo
	v_cmpx_gt_u32_e32 8, v4
; %bb.914:                              ;   in Loop: Header=BB329_819 Depth=1
	s_delay_alu instid0(VALU_DEP_2) | instskip(NEXT) | instid1(VALU_DEP_1)
	v_clz_i32_u32_e32 v3, v26
	v_min_u32_e32 v3, 32, v3
	s_delay_alu instid0(VALU_DEP_1) | instskip(NEXT) | instid1(VALU_DEP_1)
	v_subrev_nc_u32_e32 v4, 28, v3
	v_lshlrev_b64_e32 v[4:5], v4, v[26:27]
	s_delay_alu instid0(VALU_DEP_1)
	v_dual_sub_nc_u32 v3, 29, v3 :: v_dual_bitop2_b32 v26, 7, v4 bitop3:0x40
; %bb.915:                              ;   in Loop: Header=BB329_819 Depth=1
	s_or_b32 exec_lo, exec_lo, s21
	v_lshlrev_b32_e32 v2, 24, v2
	s_delay_alu instid0(VALU_DEP_2) | instskip(NEXT) | instid1(VALU_DEP_3)
	v_lshlrev_b32_e32 v4, 20, v26
	v_lshl_add_u32 v3, v3, 23, 0x3c000000
	s_delay_alu instid0(VALU_DEP_3) | instskip(NEXT) | instid1(VALU_DEP_1)
	v_and_b32_e32 v2, 0x80000000, v2
	v_or3_b32 v17, v4, v2, v3
.LBB329_916:                            ;   in Loop: Header=BB329_819 Depth=1
	s_or_b32 exec_lo, exec_lo, s20
.LBB329_917:                            ;   in Loop: Header=BB329_819 Depth=1
	s_delay_alu instid0(SALU_CYCLE_1)
	s_or_b32 exec_lo, exec_lo, s19
.LBB329_918:                            ;   in Loop: Header=BB329_819 Depth=1
	s_delay_alu instid0(SALU_CYCLE_1) | instskip(SKIP_4) | instid1(VALU_DEP_3)
	s_or_b32 exec_lo, exec_lo, s18
	v_and_b32_e32 v4, 0xff, v49
	v_dual_mov_b32 v26, v49 :: v_dual_mov_b32 v3, 0
	v_mov_b32_e32 v2, 0
	s_mov_b32 s18, exec_lo
	v_cmpx_ne_u16_e32 0, v4
	s_cbranch_execz .LBB329_926
; %bb.919:                              ;   in Loop: Header=BB329_819 Depth=1
	v_bfrev_b32_e32 v2, 1
	s_mov_b32 s19, exec_lo
	v_cmpx_ne_u16_e32 0x80, v4
	s_cbranch_execz .LBB329_925
; %bb.920:                              ;   in Loop: Header=BB329_819 Depth=1
	v_and_b32_e32 v4, 0x7f, v49
	v_mov_b32_e32 v2, 0x7f800001
	s_mov_b32 s20, exec_lo
	s_delay_alu instid0(VALU_DEP_2)
	v_cmpx_ne_u32_e32 0x7f, v4
	s_cbranch_execz .LBB329_924
; %bb.921:                              ;   in Loop: Header=BB329_819 Depth=1
	v_mov_b64_e32 v[50:51], v[26:27]
	v_lshrrev_b32_e32 v2, 3, v4
	s_mov_b32 s21, exec_lo
	v_cmpx_gt_u32_e32 8, v4
; %bb.922:                              ;   in Loop: Header=BB329_819 Depth=1
	v_and_b32_e32 v2, 7, v49
	s_delay_alu instid0(VALU_DEP_1) | instskip(NEXT) | instid1(VALU_DEP_1)
	v_clz_i32_u32_e32 v2, v2
	v_min_u32_e32 v2, 32, v2
	s_delay_alu instid0(VALU_DEP_1) | instskip(SKIP_1) | instid1(VALU_DEP_2)
	v_subrev_nc_u32_e32 v4, 28, v2
	v_sub_nc_u32_e32 v2, 29, v2
	v_lshlrev_b64_e32 v[50:51], v4, v[26:27]
; %bb.923:                              ;   in Loop: Header=BB329_819 Depth=1
	s_or_b32 exec_lo, exec_lo, s21
	s_delay_alu instid0(VALU_DEP_1) | instskip(SKIP_2) | instid1(VALU_DEP_3)
	v_lshlrev_b32_e32 v4, 20, v50
	v_lshlrev_b32_e32 v5, 24, v26
	v_lshl_add_u32 v2, v2, 23, 0x3c000000
	v_and_b32_e32 v4, 0x700000, v4
	s_delay_alu instid0(VALU_DEP_3) | instskip(NEXT) | instid1(VALU_DEP_1)
	v_and_b32_e32 v5, 0x80000000, v5
	v_or3_b32 v2, v4, v5, v2
.LBB329_924:                            ;   in Loop: Header=BB329_819 Depth=1
	s_or_b32 exec_lo, exec_lo, s20
.LBB329_925:                            ;   in Loop: Header=BB329_819 Depth=1
	s_delay_alu instid0(SALU_CYCLE_1)
	s_or_b32 exec_lo, exec_lo, s19
.LBB329_926:                            ;   in Loop: Header=BB329_819 Depth=1
	s_delay_alu instid0(SALU_CYCLE_1) | instskip(SKIP_2) | instid1(VALU_DEP_1)
	s_or_b32 exec_lo, exec_lo, s18
	v_lshrrev_b16 v4, 8, v26
	s_mov_b32 s18, exec_lo
	v_cmpx_ne_u16_e32 0, v4
	s_cbranch_execz .LBB329_934
; %bb.927:                              ;   in Loop: Header=BB329_819 Depth=1
	v_bfrev_b32_e32 v3, 1
	s_mov_b32 s19, exec_lo
	v_cmpx_ne_u16_e32 0x80, v4
	s_cbranch_execz .LBB329_933
; %bb.928:                              ;   in Loop: Header=BB329_819 Depth=1
	v_and_b32_e32 v5, 0xffff, v4
	v_mov_b32_e32 v3, 0x7f800001
	s_mov_b32 s20, exec_lo
	s_delay_alu instid0(VALU_DEP_2) | instskip(NEXT) | instid1(VALU_DEP_1)
	v_and_b32_e32 v4, 0x7f, v5
	v_cmpx_ne_u32_e32 0x7f, v4
	s_cbranch_execz .LBB329_932
; %bb.929:                              ;   in Loop: Header=BB329_819 Depth=1
	v_dual_mov_b32 v51, v27 :: v_dual_bitop2_b32 v50, 7, v5 bitop3:0x40
	v_lshrrev_b32_e32 v3, 3, v4
	s_mov_b32 s21, exec_lo
	v_cmpx_gt_u32_e32 8, v4
; %bb.930:                              ;   in Loop: Header=BB329_819 Depth=1
	s_delay_alu instid0(VALU_DEP_3) | instskip(NEXT) | instid1(VALU_DEP_1)
	v_clz_i32_u32_e32 v3, v50
	v_min_u32_e32 v3, 32, v3
	s_delay_alu instid0(VALU_DEP_1) | instskip(NEXT) | instid1(VALU_DEP_1)
	v_subrev_nc_u32_e32 v4, 28, v3
	v_lshlrev_b64_e32 v[4:5], v4, v[50:51]
	s_delay_alu instid0(VALU_DEP_1)
	v_dual_sub_nc_u32 v3, 29, v3 :: v_dual_bitop2_b32 v50, 7, v4 bitop3:0x40
; %bb.931:                              ;   in Loop: Header=BB329_819 Depth=1
	s_or_b32 exec_lo, exec_lo, s21
	v_lshlrev_b32_e32 v4, 16, v26
	s_delay_alu instid0(VALU_DEP_2) | instskip(NEXT) | instid1(VALU_DEP_3)
	v_lshlrev_b32_e32 v5, 20, v50
	v_lshl_add_u32 v3, v3, 23, 0x3c000000
	s_delay_alu instid0(VALU_DEP_3) | instskip(NEXT) | instid1(VALU_DEP_1)
	v_and_b32_e32 v4, 0x80000000, v4
	v_or3_b32 v3, v5, v4, v3
.LBB329_932:                            ;   in Loop: Header=BB329_819 Depth=1
	s_or_b32 exec_lo, exec_lo, s20
.LBB329_933:                            ;   in Loop: Header=BB329_819 Depth=1
	s_delay_alu instid0(SALU_CYCLE_1)
	s_or_b32 exec_lo, exec_lo, s19
.LBB329_934:                            ;   in Loop: Header=BB329_819 Depth=1
	s_delay_alu instid0(SALU_CYCLE_1) | instskip(SKIP_3) | instid1(VALU_DEP_2)
	s_or_b32 exec_lo, exec_lo, s18
	v_dual_lshrrev_b32 v6, 16, v49 :: v_dual_mov_b32 v4, 0
	v_mov_b32_e32 v5, 0
	s_mov_b32 s18, exec_lo
	v_and_b32_e32 v7, 0xff, v6
	s_delay_alu instid0(VALU_DEP_1)
	v_cmpx_ne_u16_e32 0, v7
	s_cbranch_execz .LBB329_942
; %bb.935:                              ;   in Loop: Header=BB329_819 Depth=1
	v_bfrev_b32_e32 v5, 1
	s_mov_b32 s19, exec_lo
	v_cmpx_ne_u16_e32 0x80, v7
	s_cbranch_execz .LBB329_941
; %bb.936:                              ;   in Loop: Header=BB329_819 Depth=1
	v_bfe_u32 v7, v49, 16, 7
	v_mov_b32_e32 v5, 0x7f800001
	s_mov_b32 s20, exec_lo
	s_delay_alu instid0(VALU_DEP_2)
	v_cmpx_ne_u32_e32 0x7f, v7
	s_cbranch_execz .LBB329_940
; %bb.937:                              ;   in Loop: Header=BB329_819 Depth=1
	v_dual_lshrrev_b32 v5, 3, v7 :: v_dual_bitop2_b32 v26, 7, v6 bitop3:0x40
	s_mov_b32 s21, exec_lo
	v_cmpx_gt_u32_e32 8, v7
; %bb.938:                              ;   in Loop: Header=BB329_819 Depth=1
	s_delay_alu instid0(VALU_DEP_2) | instskip(NEXT) | instid1(VALU_DEP_1)
	v_clz_i32_u32_e32 v5, v26
	v_min_u32_e32 v5, 32, v5
	s_delay_alu instid0(VALU_DEP_1) | instskip(NEXT) | instid1(VALU_DEP_1)
	v_subrev_nc_u32_e32 v7, 28, v5
	v_lshlrev_b64_e32 v[8:9], v7, v[26:27]
	s_delay_alu instid0(VALU_DEP_1)
	v_dual_sub_nc_u32 v5, 29, v5 :: v_dual_bitop2_b32 v26, 7, v8 bitop3:0x40
; %bb.939:                              ;   in Loop: Header=BB329_819 Depth=1
	s_or_b32 exec_lo, exec_lo, s21
	v_lshlrev_b32_e32 v6, 24, v6
	s_delay_alu instid0(VALU_DEP_2) | instskip(NEXT) | instid1(VALU_DEP_3)
	v_lshlrev_b32_e32 v7, 20, v26
	v_lshl_add_u32 v5, v5, 23, 0x3c000000
	s_delay_alu instid0(VALU_DEP_3) | instskip(NEXT) | instid1(VALU_DEP_1)
	v_and_b32_e32 v6, 0x80000000, v6
	v_or3_b32 v5, v7, v6, v5
.LBB329_940:                            ;   in Loop: Header=BB329_819 Depth=1
	s_or_b32 exec_lo, exec_lo, s20
.LBB329_941:                            ;   in Loop: Header=BB329_819 Depth=1
	s_delay_alu instid0(SALU_CYCLE_1)
	s_or_b32 exec_lo, exec_lo, s19
.LBB329_942:                            ;   in Loop: Header=BB329_819 Depth=1
	s_delay_alu instid0(SALU_CYCLE_1) | instskip(NEXT) | instid1(SALU_CYCLE_1)
	s_or_b32 exec_lo, exec_lo, s18
	s_mov_b32 s18, exec_lo
	v_cmpx_lt_u64_e64 s[2:3], v[48:49]
	s_cbranch_execz .LBB329_950
; %bb.943:                              ;   in Loop: Header=BB329_819 Depth=1
	v_lshrrev_b32_e32 v6, 24, v49
	v_bfrev_b32_e32 v4, 1
	s_mov_b32 s19, exec_lo
	s_delay_alu instid0(VALU_DEP_2)
	v_cmpx_ne_u32_e32 0x80, v6
	s_cbranch_execz .LBB329_949
; %bb.944:                              ;   in Loop: Header=BB329_819 Depth=1
	v_bfe_u32 v7, v49, 24, 7
	v_mov_b32_e32 v4, 0x7f800001
	s_mov_b32 s20, exec_lo
	s_delay_alu instid0(VALU_DEP_2)
	v_cmpx_ne_u32_e32 0x7f, v7
	s_cbranch_execz .LBB329_948
; %bb.945:                              ;   in Loop: Header=BB329_819 Depth=1
	v_dual_lshrrev_b32 v4, 3, v7 :: v_dual_bitop2_b32 v26, 7, v6 bitop3:0x40
	s_mov_b32 s21, exec_lo
	v_cmpx_gt_u32_e32 8, v7
; %bb.946:                              ;   in Loop: Header=BB329_819 Depth=1
	s_delay_alu instid0(VALU_DEP_2) | instskip(NEXT) | instid1(VALU_DEP_1)
	v_clz_i32_u32_e32 v4, v26
	v_min_u32_e32 v4, 32, v4
	s_delay_alu instid0(VALU_DEP_1) | instskip(SKIP_1) | instid1(VALU_DEP_2)
	v_subrev_nc_u32_e32 v7, 28, v4
	v_sub_nc_u32_e32 v4, 29, v4
	v_lshlrev_b64_e32 v[8:9], v7, v[26:27]
	s_delay_alu instid0(VALU_DEP_1)
	v_and_b32_e32 v26, 7, v8
; %bb.947:                              ;   in Loop: Header=BB329_819 Depth=1
	s_or_b32 exec_lo, exec_lo, s21
	v_lshlrev_b32_e32 v6, 24, v6
	s_delay_alu instid0(VALU_DEP_2) | instskip(SKIP_1) | instid1(VALU_DEP_3)
	v_lshlrev_b32_e32 v7, 20, v26
	v_lshl_add_u32 v4, v4, 23, 0x3c000000
	v_and_b32_e32 v6, 0x80000000, v6
	s_delay_alu instid0(VALU_DEP_1)
	v_or3_b32 v4, v7, v6, v4
.LBB329_948:                            ;   in Loop: Header=BB329_819 Depth=1
	s_or_b32 exec_lo, exec_lo, s20
.LBB329_949:                            ;   in Loop: Header=BB329_819 Depth=1
	s_delay_alu instid0(SALU_CYCLE_1)
	s_or_b32 exec_lo, exec_lo, s19
.LBB329_950:                            ;   in Loop: Header=BB329_819 Depth=1
	s_delay_alu instid0(SALU_CYCLE_1)
	s_or_b32 exec_lo, exec_lo, s18
	v_fma_mixlo_bf16 v83, v82, v3, 0
	v_fma_mixlo_bf16 v84, v82, v2, 0
	;; [unrolled: 1-line block ×8, first 2 shown]
	s_and_saveexec_b32 s18, vcc_lo
	s_cbranch_execz .LBB329_952
; %bb.951:                              ;   in Loop: Header=BB329_819 Depth=1
	v_cmp_lt_i32_e64 s0, v118, v99
	s_delay_alu instid0(VALU_DEP_1) | instskip(SKIP_1) | instid1(VALU_DEP_1)
	v_cndmask_b32_e64 v114, 0, v114, s0
	v_cmp_lt_i32_e64 s0, v42, v99
	v_cndmask_b32_e64 v113, 0, v113, s0
	v_cmp_lt_i32_e64 s0, v41, v99
	s_delay_alu instid0(VALU_DEP_1) | instskip(SKIP_1) | instid1(VALU_DEP_1)
	v_cndmask_b32_e64 v112, 0, v112, s0
	v_cmp_lt_i32_e64 s0, v40, v99
	v_cndmask_b32_e64 v87, 0, v87, s0
	;; [unrolled: 5-line block ×4, first 2 shown]
.LBB329_952:                            ;   in Loop: Header=BB329_819 Depth=1
	s_or_b32 exec_lo, exec_lo, s18
	flat_load_b64 v[48:49], v[38:39] offset:512
	v_dual_mov_b32 v1, 0 :: v_dual_mov_b32 v0, 0
	s_mov_b32 s18, exec_lo
	s_wait_loadcnt_dscnt 0x0
	v_and_b32_e32 v2, 0xff, v48
	s_wait_xcnt 0x0
	s_delay_alu instid0(VALU_DEP_1)
	v_cmpx_ne_u16_e32 0, v2
	s_cbranch_execz .LBB329_960
; %bb.953:                              ;   in Loop: Header=BB329_819 Depth=1
	v_bfrev_b32_e32 v0, 1
	s_mov_b32 s19, exec_lo
	v_cmpx_ne_u16_e32 0x80, v2
	s_cbranch_execz .LBB329_959
; %bb.954:                              ;   in Loop: Header=BB329_819 Depth=1
	v_and_b32_e32 v2, 0x7f, v48
	v_mov_b32_e32 v0, 0x7f800001
	s_mov_b32 s20, exec_lo
	s_delay_alu instid0(VALU_DEP_2)
	v_cmpx_ne_u32_e32 0x7f, v2
	s_cbranch_execz .LBB329_958
; %bb.955:                              ;   in Loop: Header=BB329_819 Depth=1
	v_mov_b64_e32 v[50:51], v[48:49]
	v_lshrrev_b32_e32 v0, 3, v2
	s_mov_b32 s21, exec_lo
	v_cmpx_gt_u32_e32 8, v2
; %bb.956:                              ;   in Loop: Header=BB329_819 Depth=1
	v_and_b32_e32 v0, 7, v48
	s_delay_alu instid0(VALU_DEP_1) | instskip(NEXT) | instid1(VALU_DEP_1)
	v_clz_i32_u32_e32 v0, v0
	v_min_u32_e32 v0, 32, v0
	s_delay_alu instid0(VALU_DEP_1) | instskip(SKIP_1) | instid1(VALU_DEP_2)
	v_subrev_nc_u32_e32 v2, 28, v0
	v_sub_nc_u32_e32 v0, 29, v0
	v_lshlrev_b64_e32 v[50:51], v2, v[48:49]
; %bb.957:                              ;   in Loop: Header=BB329_819 Depth=1
	s_or_b32 exec_lo, exec_lo, s21
	s_delay_alu instid0(VALU_DEP_1) | instskip(NEXT) | instid1(VALU_DEP_3)
	v_dual_lshlrev_b32 v2, 20, v50 :: v_dual_lshlrev_b32 v3, 24, v48
	v_lshl_add_u32 v0, v0, 23, 0x3c000000
	s_delay_alu instid0(VALU_DEP_2) | instskip(NEXT) | instid1(VALU_DEP_3)
	v_and_b32_e32 v2, 0x700000, v2
	v_and_b32_e32 v3, 0x80000000, v3
	s_delay_alu instid0(VALU_DEP_1)
	v_or3_b32 v0, v2, v3, v0
.LBB329_958:                            ;   in Loop: Header=BB329_819 Depth=1
	s_or_b32 exec_lo, exec_lo, s20
.LBB329_959:                            ;   in Loop: Header=BB329_819 Depth=1
	s_delay_alu instid0(SALU_CYCLE_1)
	s_or_b32 exec_lo, exec_lo, s19
.LBB329_960:                            ;   in Loop: Header=BB329_819 Depth=1
	s_delay_alu instid0(SALU_CYCLE_1) | instskip(SKIP_2) | instid1(VALU_DEP_1)
	s_or_b32 exec_lo, exec_lo, s18
	v_lshrrev_b16 v2, 8, v48
	s_mov_b32 s18, exec_lo
	v_cmpx_ne_u16_e32 0, v2
	s_cbranch_execz .LBB329_968
; %bb.961:                              ;   in Loop: Header=BB329_819 Depth=1
	v_bfrev_b32_e32 v1, 1
	s_mov_b32 s19, exec_lo
	v_cmpx_ne_u16_e32 0x80, v2
	s_cbranch_execz .LBB329_967
; %bb.962:                              ;   in Loop: Header=BB329_819 Depth=1
	v_and_b32_e32 v3, 0xffff, v2
	v_mov_b32_e32 v1, 0x7f800001
	s_mov_b32 s20, exec_lo
	s_delay_alu instid0(VALU_DEP_2) | instskip(NEXT) | instid1(VALU_DEP_1)
	v_and_b32_e32 v2, 0x7f, v3
	v_cmpx_ne_u32_e32 0x7f, v2
	s_cbranch_execz .LBB329_966
; %bb.963:                              ;   in Loop: Header=BB329_819 Depth=1
	v_dual_lshrrev_b32 v1, 3, v2 :: v_dual_bitop2_b32 v26, 7, v3 bitop3:0x40
	s_mov_b32 s21, exec_lo
	v_cmpx_gt_u32_e32 8, v2
; %bb.964:                              ;   in Loop: Header=BB329_819 Depth=1
	s_delay_alu instid0(VALU_DEP_2) | instskip(NEXT) | instid1(VALU_DEP_1)
	v_clz_i32_u32_e32 v1, v26
	v_min_u32_e32 v1, 32, v1
	s_delay_alu instid0(VALU_DEP_1) | instskip(NEXT) | instid1(VALU_DEP_1)
	v_subrev_nc_u32_e32 v2, 28, v1
	v_lshlrev_b64_e32 v[2:3], v2, v[26:27]
	s_delay_alu instid0(VALU_DEP_1)
	v_dual_sub_nc_u32 v1, 29, v1 :: v_dual_bitop2_b32 v26, 7, v2 bitop3:0x40
; %bb.965:                              ;   in Loop: Header=BB329_819 Depth=1
	s_or_b32 exec_lo, exec_lo, s21
	s_delay_alu instid0(VALU_DEP_1) | instskip(NEXT) | instid1(VALU_DEP_2)
	v_dual_lshlrev_b32 v2, 16, v48 :: v_dual_lshlrev_b32 v3, 20, v26
	v_lshl_add_u32 v1, v1, 23, 0x3c000000
	s_delay_alu instid0(VALU_DEP_2) | instskip(NEXT) | instid1(VALU_DEP_1)
	v_and_b32_e32 v2, 0x80000000, v2
	v_or3_b32 v1, v3, v2, v1
.LBB329_966:                            ;   in Loop: Header=BB329_819 Depth=1
	s_or_b32 exec_lo, exec_lo, s20
.LBB329_967:                            ;   in Loop: Header=BB329_819 Depth=1
	s_delay_alu instid0(SALU_CYCLE_1)
	s_or_b32 exec_lo, exec_lo, s19
.LBB329_968:                            ;   in Loop: Header=BB329_819 Depth=1
	s_delay_alu instid0(SALU_CYCLE_1) | instskip(SKIP_3) | instid1(VALU_DEP_2)
	s_or_b32 exec_lo, exec_lo, s18
	v_dual_mov_b32 v17, 0 :: v_dual_lshrrev_b32 v2, 16, v48
	v_mov_b32_e32 v16, 0
	s_mov_b32 s18, exec_lo
	v_and_b32_e32 v3, 0xff, v2
	s_delay_alu instid0(VALU_DEP_1)
	v_cmpx_ne_u16_e32 0, v3
	s_cbranch_execz .LBB329_976
; %bb.969:                              ;   in Loop: Header=BB329_819 Depth=1
	v_bfrev_b32_e32 v16, 1
	s_mov_b32 s19, exec_lo
	v_cmpx_ne_u16_e32 0x80, v3
	s_cbranch_execz .LBB329_975
; %bb.970:                              ;   in Loop: Header=BB329_819 Depth=1
	v_bfe_u32 v4, v48, 16, 7
	v_mov_b32_e32 v16, 0x7f800001
	s_mov_b32 s20, exec_lo
	s_delay_alu instid0(VALU_DEP_2)
	v_cmpx_ne_u32_e32 0x7f, v4
	s_cbranch_execz .LBB329_974
; %bb.971:                              ;   in Loop: Header=BB329_819 Depth=1
	v_dual_lshrrev_b32 v3, 3, v4 :: v_dual_bitop2_b32 v26, 7, v2 bitop3:0x40
	s_mov_b32 s21, exec_lo
	v_cmpx_gt_u32_e32 8, v4
; %bb.972:                              ;   in Loop: Header=BB329_819 Depth=1
	s_delay_alu instid0(VALU_DEP_2) | instskip(NEXT) | instid1(VALU_DEP_1)
	v_clz_i32_u32_e32 v3, v26
	v_min_u32_e32 v3, 32, v3
	s_delay_alu instid0(VALU_DEP_1) | instskip(NEXT) | instid1(VALU_DEP_1)
	v_subrev_nc_u32_e32 v4, 28, v3
	v_lshlrev_b64_e32 v[4:5], v4, v[26:27]
	s_delay_alu instid0(VALU_DEP_1)
	v_dual_sub_nc_u32 v3, 29, v3 :: v_dual_bitop2_b32 v26, 7, v4 bitop3:0x40
; %bb.973:                              ;   in Loop: Header=BB329_819 Depth=1
	s_or_b32 exec_lo, exec_lo, s21
	v_lshlrev_b32_e32 v2, 24, v2
	s_delay_alu instid0(VALU_DEP_2) | instskip(NEXT) | instid1(VALU_DEP_3)
	v_lshlrev_b32_e32 v4, 20, v26
	v_lshl_add_u32 v3, v3, 23, 0x3c000000
	s_delay_alu instid0(VALU_DEP_3) | instskip(NEXT) | instid1(VALU_DEP_1)
	v_and_b32_e32 v2, 0x80000000, v2
	v_or3_b32 v16, v4, v2, v3
.LBB329_974:                            ;   in Loop: Header=BB329_819 Depth=1
	s_or_b32 exec_lo, exec_lo, s20
.LBB329_975:                            ;   in Loop: Header=BB329_819 Depth=1
	s_delay_alu instid0(SALU_CYCLE_1)
	s_or_b32 exec_lo, exec_lo, s19
.LBB329_976:                            ;   in Loop: Header=BB329_819 Depth=1
	s_delay_alu instid0(SALU_CYCLE_1) | instskip(NEXT) | instid1(SALU_CYCLE_1)
	s_or_b32 exec_lo, exec_lo, s18
	s_mov_b32 s18, exec_lo
	v_cmpx_lt_u32_e32 0xffffff, v48
	s_cbranch_execz .LBB329_984
; %bb.977:                              ;   in Loop: Header=BB329_819 Depth=1
	v_lshrrev_b32_e32 v2, 24, v48
	v_bfrev_b32_e32 v17, 1
	s_mov_b32 s19, exec_lo
	s_delay_alu instid0(VALU_DEP_2)
	v_cmpx_ne_u32_e32 0x80, v2
	s_cbranch_execz .LBB329_983
; %bb.978:                              ;   in Loop: Header=BB329_819 Depth=1
	v_bfe_u32 v4, v48, 24, 7
	v_mov_b32_e32 v17, 0x7f800001
	s_mov_b32 s20, exec_lo
	s_delay_alu instid0(VALU_DEP_2)
	v_cmpx_ne_u32_e32 0x7f, v4
	s_cbranch_execz .LBB329_982
; %bb.979:                              ;   in Loop: Header=BB329_819 Depth=1
	v_dual_lshrrev_b32 v3, 3, v4 :: v_dual_bitop2_b32 v26, 7, v2 bitop3:0x40
	s_mov_b32 s21, exec_lo
	v_cmpx_gt_u32_e32 8, v4
; %bb.980:                              ;   in Loop: Header=BB329_819 Depth=1
	s_delay_alu instid0(VALU_DEP_2) | instskip(NEXT) | instid1(VALU_DEP_1)
	v_clz_i32_u32_e32 v3, v26
	v_min_u32_e32 v3, 32, v3
	s_delay_alu instid0(VALU_DEP_1) | instskip(NEXT) | instid1(VALU_DEP_1)
	v_subrev_nc_u32_e32 v4, 28, v3
	v_lshlrev_b64_e32 v[4:5], v4, v[26:27]
	s_delay_alu instid0(VALU_DEP_1)
	v_dual_sub_nc_u32 v3, 29, v3 :: v_dual_bitop2_b32 v26, 7, v4 bitop3:0x40
; %bb.981:                              ;   in Loop: Header=BB329_819 Depth=1
	s_or_b32 exec_lo, exec_lo, s21
	v_lshlrev_b32_e32 v2, 24, v2
	s_delay_alu instid0(VALU_DEP_2) | instskip(NEXT) | instid1(VALU_DEP_3)
	v_lshlrev_b32_e32 v4, 20, v26
	v_lshl_add_u32 v3, v3, 23, 0x3c000000
	s_delay_alu instid0(VALU_DEP_3) | instskip(NEXT) | instid1(VALU_DEP_1)
	v_and_b32_e32 v2, 0x80000000, v2
	v_or3_b32 v17, v4, v2, v3
.LBB329_982:                            ;   in Loop: Header=BB329_819 Depth=1
	s_or_b32 exec_lo, exec_lo, s20
.LBB329_983:                            ;   in Loop: Header=BB329_819 Depth=1
	s_delay_alu instid0(SALU_CYCLE_1)
	s_or_b32 exec_lo, exec_lo, s19
.LBB329_984:                            ;   in Loop: Header=BB329_819 Depth=1
	s_delay_alu instid0(SALU_CYCLE_1) | instskip(SKIP_4) | instid1(VALU_DEP_3)
	s_or_b32 exec_lo, exec_lo, s18
	v_and_b32_e32 v4, 0xff, v49
	v_dual_mov_b32 v26, v49 :: v_dual_mov_b32 v3, 0
	v_mov_b32_e32 v2, 0
	s_mov_b32 s18, exec_lo
	v_cmpx_ne_u16_e32 0, v4
	s_cbranch_execz .LBB329_992
; %bb.985:                              ;   in Loop: Header=BB329_819 Depth=1
	v_bfrev_b32_e32 v2, 1
	s_mov_b32 s19, exec_lo
	v_cmpx_ne_u16_e32 0x80, v4
	s_cbranch_execz .LBB329_991
; %bb.986:                              ;   in Loop: Header=BB329_819 Depth=1
	v_and_b32_e32 v4, 0x7f, v49
	v_mov_b32_e32 v2, 0x7f800001
	s_mov_b32 s20, exec_lo
	s_delay_alu instid0(VALU_DEP_2)
	v_cmpx_ne_u32_e32 0x7f, v4
	s_cbranch_execz .LBB329_990
; %bb.987:                              ;   in Loop: Header=BB329_819 Depth=1
	v_mov_b64_e32 v[50:51], v[26:27]
	v_lshrrev_b32_e32 v2, 3, v4
	s_mov_b32 s21, exec_lo
	v_cmpx_gt_u32_e32 8, v4
; %bb.988:                              ;   in Loop: Header=BB329_819 Depth=1
	v_and_b32_e32 v2, 7, v49
	s_delay_alu instid0(VALU_DEP_1) | instskip(NEXT) | instid1(VALU_DEP_1)
	v_clz_i32_u32_e32 v2, v2
	v_min_u32_e32 v2, 32, v2
	s_delay_alu instid0(VALU_DEP_1) | instskip(SKIP_1) | instid1(VALU_DEP_2)
	v_subrev_nc_u32_e32 v4, 28, v2
	v_sub_nc_u32_e32 v2, 29, v2
	v_lshlrev_b64_e32 v[50:51], v4, v[26:27]
; %bb.989:                              ;   in Loop: Header=BB329_819 Depth=1
	s_or_b32 exec_lo, exec_lo, s21
	s_delay_alu instid0(VALU_DEP_1) | instskip(SKIP_2) | instid1(VALU_DEP_3)
	v_lshlrev_b32_e32 v4, 20, v50
	v_lshlrev_b32_e32 v5, 24, v26
	v_lshl_add_u32 v2, v2, 23, 0x3c000000
	v_and_b32_e32 v4, 0x700000, v4
	s_delay_alu instid0(VALU_DEP_3) | instskip(NEXT) | instid1(VALU_DEP_1)
	v_and_b32_e32 v5, 0x80000000, v5
	v_or3_b32 v2, v4, v5, v2
.LBB329_990:                            ;   in Loop: Header=BB329_819 Depth=1
	s_or_b32 exec_lo, exec_lo, s20
.LBB329_991:                            ;   in Loop: Header=BB329_819 Depth=1
	s_delay_alu instid0(SALU_CYCLE_1)
	s_or_b32 exec_lo, exec_lo, s19
.LBB329_992:                            ;   in Loop: Header=BB329_819 Depth=1
	s_delay_alu instid0(SALU_CYCLE_1) | instskip(SKIP_2) | instid1(VALU_DEP_1)
	s_or_b32 exec_lo, exec_lo, s18
	v_lshrrev_b16 v4, 8, v26
	s_mov_b32 s18, exec_lo
	v_cmpx_ne_u16_e32 0, v4
	s_cbranch_execz .LBB329_1000
; %bb.993:                              ;   in Loop: Header=BB329_819 Depth=1
	v_bfrev_b32_e32 v3, 1
	s_mov_b32 s19, exec_lo
	v_cmpx_ne_u16_e32 0x80, v4
	s_cbranch_execz .LBB329_999
; %bb.994:                              ;   in Loop: Header=BB329_819 Depth=1
	v_and_b32_e32 v5, 0xffff, v4
	v_mov_b32_e32 v3, 0x7f800001
	s_mov_b32 s20, exec_lo
	s_delay_alu instid0(VALU_DEP_2) | instskip(NEXT) | instid1(VALU_DEP_1)
	v_and_b32_e32 v4, 0x7f, v5
	v_cmpx_ne_u32_e32 0x7f, v4
	s_cbranch_execz .LBB329_998
; %bb.995:                              ;   in Loop: Header=BB329_819 Depth=1
	v_dual_mov_b32 v51, v27 :: v_dual_bitop2_b32 v50, 7, v5 bitop3:0x40
	v_lshrrev_b32_e32 v3, 3, v4
	s_mov_b32 s21, exec_lo
	v_cmpx_gt_u32_e32 8, v4
; %bb.996:                              ;   in Loop: Header=BB329_819 Depth=1
	s_delay_alu instid0(VALU_DEP_3) | instskip(NEXT) | instid1(VALU_DEP_1)
	v_clz_i32_u32_e32 v3, v50
	v_min_u32_e32 v3, 32, v3
	s_delay_alu instid0(VALU_DEP_1) | instskip(NEXT) | instid1(VALU_DEP_1)
	v_subrev_nc_u32_e32 v4, 28, v3
	v_lshlrev_b64_e32 v[4:5], v4, v[50:51]
	s_delay_alu instid0(VALU_DEP_1)
	v_dual_sub_nc_u32 v3, 29, v3 :: v_dual_bitop2_b32 v50, 7, v4 bitop3:0x40
; %bb.997:                              ;   in Loop: Header=BB329_819 Depth=1
	s_or_b32 exec_lo, exec_lo, s21
	v_lshlrev_b32_e32 v4, 16, v26
	s_delay_alu instid0(VALU_DEP_2) | instskip(NEXT) | instid1(VALU_DEP_3)
	v_lshlrev_b32_e32 v5, 20, v50
	v_lshl_add_u32 v3, v3, 23, 0x3c000000
	s_delay_alu instid0(VALU_DEP_3) | instskip(NEXT) | instid1(VALU_DEP_1)
	v_and_b32_e32 v4, 0x80000000, v4
	v_or3_b32 v3, v5, v4, v3
.LBB329_998:                            ;   in Loop: Header=BB329_819 Depth=1
	s_or_b32 exec_lo, exec_lo, s20
.LBB329_999:                            ;   in Loop: Header=BB329_819 Depth=1
	s_delay_alu instid0(SALU_CYCLE_1)
	s_or_b32 exec_lo, exec_lo, s19
.LBB329_1000:                           ;   in Loop: Header=BB329_819 Depth=1
	s_delay_alu instid0(SALU_CYCLE_1) | instskip(SKIP_3) | instid1(VALU_DEP_2)
	s_or_b32 exec_lo, exec_lo, s18
	v_dual_lshrrev_b32 v6, 16, v49 :: v_dual_mov_b32 v4, 0
	v_mov_b32_e32 v5, 0
	s_mov_b32 s18, exec_lo
	v_and_b32_e32 v7, 0xff, v6
	s_delay_alu instid0(VALU_DEP_1)
	v_cmpx_ne_u16_e32 0, v7
	s_cbranch_execz .LBB329_1008
; %bb.1001:                             ;   in Loop: Header=BB329_819 Depth=1
	v_bfrev_b32_e32 v5, 1
	s_mov_b32 s19, exec_lo
	v_cmpx_ne_u16_e32 0x80, v7
	s_cbranch_execz .LBB329_1007
; %bb.1002:                             ;   in Loop: Header=BB329_819 Depth=1
	v_bfe_u32 v7, v49, 16, 7
	v_mov_b32_e32 v5, 0x7f800001
	s_mov_b32 s20, exec_lo
	s_delay_alu instid0(VALU_DEP_2)
	v_cmpx_ne_u32_e32 0x7f, v7
	s_cbranch_execz .LBB329_1006
; %bb.1003:                             ;   in Loop: Header=BB329_819 Depth=1
	v_dual_lshrrev_b32 v5, 3, v7 :: v_dual_bitop2_b32 v26, 7, v6 bitop3:0x40
	s_mov_b32 s21, exec_lo
	v_cmpx_gt_u32_e32 8, v7
; %bb.1004:                             ;   in Loop: Header=BB329_819 Depth=1
	s_delay_alu instid0(VALU_DEP_2) | instskip(NEXT) | instid1(VALU_DEP_1)
	v_clz_i32_u32_e32 v5, v26
	v_min_u32_e32 v5, 32, v5
	s_delay_alu instid0(VALU_DEP_1) | instskip(NEXT) | instid1(VALU_DEP_1)
	v_subrev_nc_u32_e32 v7, 28, v5
	v_lshlrev_b64_e32 v[8:9], v7, v[26:27]
	s_delay_alu instid0(VALU_DEP_1)
	v_dual_sub_nc_u32 v5, 29, v5 :: v_dual_bitop2_b32 v26, 7, v8 bitop3:0x40
; %bb.1005:                             ;   in Loop: Header=BB329_819 Depth=1
	s_or_b32 exec_lo, exec_lo, s21
	v_lshlrev_b32_e32 v6, 24, v6
	s_delay_alu instid0(VALU_DEP_2) | instskip(NEXT) | instid1(VALU_DEP_3)
	v_lshlrev_b32_e32 v7, 20, v26
	v_lshl_add_u32 v5, v5, 23, 0x3c000000
	s_delay_alu instid0(VALU_DEP_3) | instskip(NEXT) | instid1(VALU_DEP_1)
	v_and_b32_e32 v6, 0x80000000, v6
	v_or3_b32 v5, v7, v6, v5
.LBB329_1006:                           ;   in Loop: Header=BB329_819 Depth=1
	s_or_b32 exec_lo, exec_lo, s20
.LBB329_1007:                           ;   in Loop: Header=BB329_819 Depth=1
	s_delay_alu instid0(SALU_CYCLE_1)
	s_or_b32 exec_lo, exec_lo, s19
.LBB329_1008:                           ;   in Loop: Header=BB329_819 Depth=1
	s_delay_alu instid0(SALU_CYCLE_1) | instskip(NEXT) | instid1(SALU_CYCLE_1)
	s_or_b32 exec_lo, exec_lo, s18
	s_mov_b32 s18, exec_lo
	v_cmpx_lt_u64_e64 s[2:3], v[48:49]
	s_cbranch_execz .LBB329_1016
; %bb.1009:                             ;   in Loop: Header=BB329_819 Depth=1
	v_lshrrev_b32_e32 v6, 24, v49
	v_bfrev_b32_e32 v4, 1
	s_mov_b32 s19, exec_lo
	s_delay_alu instid0(VALU_DEP_2)
	v_cmpx_ne_u32_e32 0x80, v6
	s_cbranch_execz .LBB329_1015
; %bb.1010:                             ;   in Loop: Header=BB329_819 Depth=1
	v_bfe_u32 v7, v49, 24, 7
	v_mov_b32_e32 v4, 0x7f800001
	s_mov_b32 s20, exec_lo
	s_delay_alu instid0(VALU_DEP_2)
	v_cmpx_ne_u32_e32 0x7f, v7
	s_cbranch_execz .LBB329_1014
; %bb.1011:                             ;   in Loop: Header=BB329_819 Depth=1
	v_dual_lshrrev_b32 v4, 3, v7 :: v_dual_bitop2_b32 v26, 7, v6 bitop3:0x40
	s_mov_b32 s21, exec_lo
	v_cmpx_gt_u32_e32 8, v7
; %bb.1012:                             ;   in Loop: Header=BB329_819 Depth=1
	s_delay_alu instid0(VALU_DEP_2) | instskip(NEXT) | instid1(VALU_DEP_1)
	v_clz_i32_u32_e32 v4, v26
	v_min_u32_e32 v4, 32, v4
	s_delay_alu instid0(VALU_DEP_1) | instskip(SKIP_1) | instid1(VALU_DEP_2)
	v_subrev_nc_u32_e32 v7, 28, v4
	v_sub_nc_u32_e32 v4, 29, v4
	v_lshlrev_b64_e32 v[8:9], v7, v[26:27]
	s_delay_alu instid0(VALU_DEP_1)
	v_and_b32_e32 v26, 7, v8
; %bb.1013:                             ;   in Loop: Header=BB329_819 Depth=1
	s_or_b32 exec_lo, exec_lo, s21
	v_lshlrev_b32_e32 v6, 24, v6
	s_delay_alu instid0(VALU_DEP_2) | instskip(SKIP_1) | instid1(VALU_DEP_3)
	v_lshlrev_b32_e32 v7, 20, v26
	v_lshl_add_u32 v4, v4, 23, 0x3c000000
	v_and_b32_e32 v6, 0x80000000, v6
	s_delay_alu instid0(VALU_DEP_1)
	v_or3_b32 v4, v7, v6, v4
.LBB329_1014:                           ;   in Loop: Header=BB329_819 Depth=1
	s_or_b32 exec_lo, exec_lo, s20
.LBB329_1015:                           ;   in Loop: Header=BB329_819 Depth=1
	s_delay_alu instid0(SALU_CYCLE_1)
	s_or_b32 exec_lo, exec_lo, s19
.LBB329_1016:                           ;   in Loop: Header=BB329_819 Depth=1
	s_delay_alu instid0(SALU_CYCLE_1)
	s_or_b32 exec_lo, exec_lo, s18
	v_fma_mixlo_bf16 v43, v82, v3, 0
	v_fma_mixlo_bf16 v44, v82, v2, 0
	;; [unrolled: 1-line block ×8, first 2 shown]
	s_and_saveexec_b32 s18, vcc_lo
	s_cbranch_execz .LBB329_1018
; %bb.1017:                             ;   in Loop: Header=BB329_819 Depth=1
	v_cmp_lt_i32_e64 s0, v118, v99
	s_delay_alu instid0(VALU_DEP_1) | instskip(SKIP_1) | instid1(VALU_DEP_1)
	v_cndmask_b32_e64 v58, 0, v58, s0
	v_cmp_lt_i32_e64 s0, v42, v99
	v_cndmask_b32_e64 v57, 0, v57, s0
	v_cmp_lt_i32_e64 s0, v41, v99
	s_delay_alu instid0(VALU_DEP_1) | instskip(SKIP_1) | instid1(VALU_DEP_1)
	v_cndmask_b32_e64 v56, 0, v56, s0
	v_cmp_lt_i32_e64 s0, v40, v99
	v_cndmask_b32_e64 v47, 0, v47, s0
	;; [unrolled: 5-line block ×4, first 2 shown]
.LBB329_1018:                           ;   in Loop: Header=BB329_819 Depth=1
	s_or_b32 exec_lo, exec_lo, s18
	flat_load_b64 v[48:49], v[38:39] offset:768
	v_dual_mov_b32 v1, 0 :: v_dual_mov_b32 v0, 0
	s_mov_b32 s18, exec_lo
	s_wait_loadcnt_dscnt 0x0
	v_and_b32_e32 v2, 0xff, v48
	s_wait_xcnt 0x0
	s_delay_alu instid0(VALU_DEP_1)
	v_cmpx_ne_u16_e32 0, v2
	s_cbranch_execz .LBB329_1026
; %bb.1019:                             ;   in Loop: Header=BB329_819 Depth=1
	v_bfrev_b32_e32 v0, 1
	s_mov_b32 s19, exec_lo
	v_cmpx_ne_u16_e32 0x80, v2
	s_cbranch_execz .LBB329_1025
; %bb.1020:                             ;   in Loop: Header=BB329_819 Depth=1
	v_and_b32_e32 v2, 0x7f, v48
	v_mov_b32_e32 v0, 0x7f800001
	s_mov_b32 s20, exec_lo
	s_delay_alu instid0(VALU_DEP_2)
	v_cmpx_ne_u32_e32 0x7f, v2
	s_cbranch_execz .LBB329_1024
; %bb.1021:                             ;   in Loop: Header=BB329_819 Depth=1
	v_mov_b64_e32 v[50:51], v[48:49]
	v_lshrrev_b32_e32 v0, 3, v2
	s_mov_b32 s21, exec_lo
	v_cmpx_gt_u32_e32 8, v2
; %bb.1022:                             ;   in Loop: Header=BB329_819 Depth=1
	v_and_b32_e32 v0, 7, v48
	s_delay_alu instid0(VALU_DEP_1) | instskip(NEXT) | instid1(VALU_DEP_1)
	v_clz_i32_u32_e32 v0, v0
	v_min_u32_e32 v0, 32, v0
	s_delay_alu instid0(VALU_DEP_1) | instskip(SKIP_1) | instid1(VALU_DEP_2)
	v_subrev_nc_u32_e32 v2, 28, v0
	v_sub_nc_u32_e32 v0, 29, v0
	v_lshlrev_b64_e32 v[50:51], v2, v[48:49]
; %bb.1023:                             ;   in Loop: Header=BB329_819 Depth=1
	s_or_b32 exec_lo, exec_lo, s21
	s_delay_alu instid0(VALU_DEP_1) | instskip(NEXT) | instid1(VALU_DEP_3)
	v_dual_lshlrev_b32 v2, 20, v50 :: v_dual_lshlrev_b32 v3, 24, v48
	v_lshl_add_u32 v0, v0, 23, 0x3c000000
	s_delay_alu instid0(VALU_DEP_2) | instskip(NEXT) | instid1(VALU_DEP_3)
	v_and_b32_e32 v2, 0x700000, v2
	v_and_b32_e32 v3, 0x80000000, v3
	s_delay_alu instid0(VALU_DEP_1)
	v_or3_b32 v0, v2, v3, v0
.LBB329_1024:                           ;   in Loop: Header=BB329_819 Depth=1
	s_or_b32 exec_lo, exec_lo, s20
.LBB329_1025:                           ;   in Loop: Header=BB329_819 Depth=1
	s_delay_alu instid0(SALU_CYCLE_1)
	s_or_b32 exec_lo, exec_lo, s19
.LBB329_1026:                           ;   in Loop: Header=BB329_819 Depth=1
	s_delay_alu instid0(SALU_CYCLE_1) | instskip(SKIP_2) | instid1(VALU_DEP_1)
	s_or_b32 exec_lo, exec_lo, s18
	v_lshrrev_b16 v2, 8, v48
	s_mov_b32 s18, exec_lo
	v_cmpx_ne_u16_e32 0, v2
	s_cbranch_execz .LBB329_1034
; %bb.1027:                             ;   in Loop: Header=BB329_819 Depth=1
	v_bfrev_b32_e32 v1, 1
	s_mov_b32 s19, exec_lo
	v_cmpx_ne_u16_e32 0x80, v2
	s_cbranch_execz .LBB329_1033
; %bb.1028:                             ;   in Loop: Header=BB329_819 Depth=1
	v_and_b32_e32 v3, 0xffff, v2
	v_mov_b32_e32 v1, 0x7f800001
	s_mov_b32 s20, exec_lo
	s_delay_alu instid0(VALU_DEP_2) | instskip(NEXT) | instid1(VALU_DEP_1)
	v_and_b32_e32 v2, 0x7f, v3
	v_cmpx_ne_u32_e32 0x7f, v2
	s_cbranch_execz .LBB329_1032
; %bb.1029:                             ;   in Loop: Header=BB329_819 Depth=1
	v_dual_lshrrev_b32 v1, 3, v2 :: v_dual_bitop2_b32 v26, 7, v3 bitop3:0x40
	s_mov_b32 s21, exec_lo
	v_cmpx_gt_u32_e32 8, v2
; %bb.1030:                             ;   in Loop: Header=BB329_819 Depth=1
	s_delay_alu instid0(VALU_DEP_2) | instskip(NEXT) | instid1(VALU_DEP_1)
	v_clz_i32_u32_e32 v1, v26
	v_min_u32_e32 v1, 32, v1
	s_delay_alu instid0(VALU_DEP_1) | instskip(NEXT) | instid1(VALU_DEP_1)
	v_subrev_nc_u32_e32 v2, 28, v1
	v_lshlrev_b64_e32 v[2:3], v2, v[26:27]
	s_delay_alu instid0(VALU_DEP_1)
	v_dual_sub_nc_u32 v1, 29, v1 :: v_dual_bitop2_b32 v26, 7, v2 bitop3:0x40
; %bb.1031:                             ;   in Loop: Header=BB329_819 Depth=1
	s_or_b32 exec_lo, exec_lo, s21
	s_delay_alu instid0(VALU_DEP_1) | instskip(NEXT) | instid1(VALU_DEP_2)
	v_dual_lshlrev_b32 v2, 16, v48 :: v_dual_lshlrev_b32 v3, 20, v26
	v_lshl_add_u32 v1, v1, 23, 0x3c000000
	s_delay_alu instid0(VALU_DEP_2) | instskip(NEXT) | instid1(VALU_DEP_1)
	v_and_b32_e32 v2, 0x80000000, v2
	v_or3_b32 v1, v3, v2, v1
.LBB329_1032:                           ;   in Loop: Header=BB329_819 Depth=1
	s_or_b32 exec_lo, exec_lo, s20
.LBB329_1033:                           ;   in Loop: Header=BB329_819 Depth=1
	s_delay_alu instid0(SALU_CYCLE_1)
	s_or_b32 exec_lo, exec_lo, s19
.LBB329_1034:                           ;   in Loop: Header=BB329_819 Depth=1
	s_delay_alu instid0(SALU_CYCLE_1) | instskip(SKIP_3) | instid1(VALU_DEP_2)
	s_or_b32 exec_lo, exec_lo, s18
	v_dual_mov_b32 v17, 0 :: v_dual_lshrrev_b32 v2, 16, v48
	v_mov_b32_e32 v16, 0
	s_mov_b32 s18, exec_lo
	v_and_b32_e32 v3, 0xff, v2
	s_delay_alu instid0(VALU_DEP_1)
	v_cmpx_ne_u16_e32 0, v3
	s_cbranch_execz .LBB329_1042
; %bb.1035:                             ;   in Loop: Header=BB329_819 Depth=1
	v_bfrev_b32_e32 v16, 1
	s_mov_b32 s19, exec_lo
	v_cmpx_ne_u16_e32 0x80, v3
	s_cbranch_execz .LBB329_1041
; %bb.1036:                             ;   in Loop: Header=BB329_819 Depth=1
	v_bfe_u32 v4, v48, 16, 7
	v_mov_b32_e32 v16, 0x7f800001
	s_mov_b32 s20, exec_lo
	s_delay_alu instid0(VALU_DEP_2)
	v_cmpx_ne_u32_e32 0x7f, v4
	s_cbranch_execz .LBB329_1040
; %bb.1037:                             ;   in Loop: Header=BB329_819 Depth=1
	v_dual_lshrrev_b32 v3, 3, v4 :: v_dual_bitop2_b32 v26, 7, v2 bitop3:0x40
	s_mov_b32 s21, exec_lo
	v_cmpx_gt_u32_e32 8, v4
; %bb.1038:                             ;   in Loop: Header=BB329_819 Depth=1
	s_delay_alu instid0(VALU_DEP_2) | instskip(NEXT) | instid1(VALU_DEP_1)
	v_clz_i32_u32_e32 v3, v26
	v_min_u32_e32 v3, 32, v3
	s_delay_alu instid0(VALU_DEP_1) | instskip(NEXT) | instid1(VALU_DEP_1)
	v_subrev_nc_u32_e32 v4, 28, v3
	v_lshlrev_b64_e32 v[4:5], v4, v[26:27]
	s_delay_alu instid0(VALU_DEP_1)
	v_dual_sub_nc_u32 v3, 29, v3 :: v_dual_bitop2_b32 v26, 7, v4 bitop3:0x40
; %bb.1039:                             ;   in Loop: Header=BB329_819 Depth=1
	s_or_b32 exec_lo, exec_lo, s21
	v_lshlrev_b32_e32 v2, 24, v2
	s_delay_alu instid0(VALU_DEP_2) | instskip(NEXT) | instid1(VALU_DEP_3)
	v_lshlrev_b32_e32 v4, 20, v26
	v_lshl_add_u32 v3, v3, 23, 0x3c000000
	s_delay_alu instid0(VALU_DEP_3) | instskip(NEXT) | instid1(VALU_DEP_1)
	v_and_b32_e32 v2, 0x80000000, v2
	v_or3_b32 v16, v4, v2, v3
.LBB329_1040:                           ;   in Loop: Header=BB329_819 Depth=1
	s_or_b32 exec_lo, exec_lo, s20
.LBB329_1041:                           ;   in Loop: Header=BB329_819 Depth=1
	s_delay_alu instid0(SALU_CYCLE_1)
	s_or_b32 exec_lo, exec_lo, s19
.LBB329_1042:                           ;   in Loop: Header=BB329_819 Depth=1
	s_delay_alu instid0(SALU_CYCLE_1) | instskip(NEXT) | instid1(SALU_CYCLE_1)
	s_or_b32 exec_lo, exec_lo, s18
	s_mov_b32 s18, exec_lo
	v_cmpx_lt_u32_e32 0xffffff, v48
	s_cbranch_execz .LBB329_1050
; %bb.1043:                             ;   in Loop: Header=BB329_819 Depth=1
	v_lshrrev_b32_e32 v2, 24, v48
	v_bfrev_b32_e32 v17, 1
	s_mov_b32 s19, exec_lo
	s_delay_alu instid0(VALU_DEP_2)
	v_cmpx_ne_u32_e32 0x80, v2
	s_cbranch_execz .LBB329_1049
; %bb.1044:                             ;   in Loop: Header=BB329_819 Depth=1
	v_bfe_u32 v4, v48, 24, 7
	v_mov_b32_e32 v17, 0x7f800001
	s_mov_b32 s20, exec_lo
	s_delay_alu instid0(VALU_DEP_2)
	v_cmpx_ne_u32_e32 0x7f, v4
	s_cbranch_execz .LBB329_1048
; %bb.1045:                             ;   in Loop: Header=BB329_819 Depth=1
	v_dual_lshrrev_b32 v3, 3, v4 :: v_dual_bitop2_b32 v26, 7, v2 bitop3:0x40
	s_mov_b32 s21, exec_lo
	v_cmpx_gt_u32_e32 8, v4
; %bb.1046:                             ;   in Loop: Header=BB329_819 Depth=1
	s_delay_alu instid0(VALU_DEP_2) | instskip(NEXT) | instid1(VALU_DEP_1)
	v_clz_i32_u32_e32 v3, v26
	v_min_u32_e32 v3, 32, v3
	s_delay_alu instid0(VALU_DEP_1) | instskip(NEXT) | instid1(VALU_DEP_1)
	v_subrev_nc_u32_e32 v4, 28, v3
	v_lshlrev_b64_e32 v[4:5], v4, v[26:27]
	s_delay_alu instid0(VALU_DEP_1)
	v_dual_sub_nc_u32 v3, 29, v3 :: v_dual_bitop2_b32 v26, 7, v4 bitop3:0x40
; %bb.1047:                             ;   in Loop: Header=BB329_819 Depth=1
	s_or_b32 exec_lo, exec_lo, s21
	v_lshlrev_b32_e32 v2, 24, v2
	s_delay_alu instid0(VALU_DEP_2) | instskip(NEXT) | instid1(VALU_DEP_3)
	v_lshlrev_b32_e32 v4, 20, v26
	v_lshl_add_u32 v3, v3, 23, 0x3c000000
	s_delay_alu instid0(VALU_DEP_3) | instskip(NEXT) | instid1(VALU_DEP_1)
	v_and_b32_e32 v2, 0x80000000, v2
	v_or3_b32 v17, v4, v2, v3
.LBB329_1048:                           ;   in Loop: Header=BB329_819 Depth=1
	s_or_b32 exec_lo, exec_lo, s20
.LBB329_1049:                           ;   in Loop: Header=BB329_819 Depth=1
	s_delay_alu instid0(SALU_CYCLE_1)
	s_or_b32 exec_lo, exec_lo, s19
.LBB329_1050:                           ;   in Loop: Header=BB329_819 Depth=1
	s_delay_alu instid0(SALU_CYCLE_1) | instskip(SKIP_4) | instid1(VALU_DEP_3)
	s_or_b32 exec_lo, exec_lo, s18
	v_and_b32_e32 v4, 0xff, v49
	v_dual_mov_b32 v26, v49 :: v_dual_mov_b32 v3, 0
	v_mov_b32_e32 v2, 0
	s_mov_b32 s18, exec_lo
	v_cmpx_ne_u16_e32 0, v4
	s_cbranch_execz .LBB329_1058
; %bb.1051:                             ;   in Loop: Header=BB329_819 Depth=1
	v_bfrev_b32_e32 v2, 1
	s_mov_b32 s19, exec_lo
	v_cmpx_ne_u16_e32 0x80, v4
	s_cbranch_execz .LBB329_1057
; %bb.1052:                             ;   in Loop: Header=BB329_819 Depth=1
	v_and_b32_e32 v4, 0x7f, v49
	v_mov_b32_e32 v2, 0x7f800001
	s_mov_b32 s20, exec_lo
	s_delay_alu instid0(VALU_DEP_2)
	v_cmpx_ne_u32_e32 0x7f, v4
	s_cbranch_execz .LBB329_1056
; %bb.1053:                             ;   in Loop: Header=BB329_819 Depth=1
	v_mov_b64_e32 v[50:51], v[26:27]
	v_lshrrev_b32_e32 v2, 3, v4
	s_mov_b32 s21, exec_lo
	v_cmpx_gt_u32_e32 8, v4
; %bb.1054:                             ;   in Loop: Header=BB329_819 Depth=1
	v_and_b32_e32 v2, 7, v49
	s_delay_alu instid0(VALU_DEP_1) | instskip(NEXT) | instid1(VALU_DEP_1)
	v_clz_i32_u32_e32 v2, v2
	v_min_u32_e32 v2, 32, v2
	s_delay_alu instid0(VALU_DEP_1) | instskip(SKIP_1) | instid1(VALU_DEP_2)
	v_subrev_nc_u32_e32 v4, 28, v2
	v_sub_nc_u32_e32 v2, 29, v2
	v_lshlrev_b64_e32 v[50:51], v4, v[26:27]
; %bb.1055:                             ;   in Loop: Header=BB329_819 Depth=1
	s_or_b32 exec_lo, exec_lo, s21
	s_delay_alu instid0(VALU_DEP_1) | instskip(SKIP_2) | instid1(VALU_DEP_3)
	v_lshlrev_b32_e32 v4, 20, v50
	v_lshlrev_b32_e32 v5, 24, v26
	v_lshl_add_u32 v2, v2, 23, 0x3c000000
	v_and_b32_e32 v4, 0x700000, v4
	s_delay_alu instid0(VALU_DEP_3) | instskip(NEXT) | instid1(VALU_DEP_1)
	v_and_b32_e32 v5, 0x80000000, v5
	v_or3_b32 v2, v4, v5, v2
.LBB329_1056:                           ;   in Loop: Header=BB329_819 Depth=1
	s_or_b32 exec_lo, exec_lo, s20
.LBB329_1057:                           ;   in Loop: Header=BB329_819 Depth=1
	s_delay_alu instid0(SALU_CYCLE_1)
	s_or_b32 exec_lo, exec_lo, s19
.LBB329_1058:                           ;   in Loop: Header=BB329_819 Depth=1
	s_delay_alu instid0(SALU_CYCLE_1) | instskip(SKIP_2) | instid1(VALU_DEP_1)
	s_or_b32 exec_lo, exec_lo, s18
	v_lshrrev_b16 v4, 8, v26
	s_mov_b32 s18, exec_lo
	v_cmpx_ne_u16_e32 0, v4
	s_cbranch_execz .LBB329_1066
; %bb.1059:                             ;   in Loop: Header=BB329_819 Depth=1
	v_bfrev_b32_e32 v3, 1
	s_mov_b32 s19, exec_lo
	v_cmpx_ne_u16_e32 0x80, v4
	s_cbranch_execz .LBB329_1065
; %bb.1060:                             ;   in Loop: Header=BB329_819 Depth=1
	v_and_b32_e32 v5, 0xffff, v4
	v_mov_b32_e32 v3, 0x7f800001
	s_mov_b32 s20, exec_lo
	s_delay_alu instid0(VALU_DEP_2) | instskip(NEXT) | instid1(VALU_DEP_1)
	v_and_b32_e32 v4, 0x7f, v5
	v_cmpx_ne_u32_e32 0x7f, v4
	s_cbranch_execz .LBB329_1064
; %bb.1061:                             ;   in Loop: Header=BB329_819 Depth=1
	v_dual_mov_b32 v51, v27 :: v_dual_bitop2_b32 v50, 7, v5 bitop3:0x40
	v_lshrrev_b32_e32 v3, 3, v4
	s_mov_b32 s21, exec_lo
	v_cmpx_gt_u32_e32 8, v4
; %bb.1062:                             ;   in Loop: Header=BB329_819 Depth=1
	s_delay_alu instid0(VALU_DEP_3) | instskip(NEXT) | instid1(VALU_DEP_1)
	v_clz_i32_u32_e32 v3, v50
	v_min_u32_e32 v3, 32, v3
	s_delay_alu instid0(VALU_DEP_1) | instskip(NEXT) | instid1(VALU_DEP_1)
	v_subrev_nc_u32_e32 v4, 28, v3
	v_lshlrev_b64_e32 v[4:5], v4, v[50:51]
	s_delay_alu instid0(VALU_DEP_1)
	v_dual_sub_nc_u32 v3, 29, v3 :: v_dual_bitop2_b32 v50, 7, v4 bitop3:0x40
; %bb.1063:                             ;   in Loop: Header=BB329_819 Depth=1
	s_or_b32 exec_lo, exec_lo, s21
	v_lshlrev_b32_e32 v4, 16, v26
	s_delay_alu instid0(VALU_DEP_2) | instskip(NEXT) | instid1(VALU_DEP_3)
	v_lshlrev_b32_e32 v5, 20, v50
	v_lshl_add_u32 v3, v3, 23, 0x3c000000
	s_delay_alu instid0(VALU_DEP_3) | instskip(NEXT) | instid1(VALU_DEP_1)
	v_and_b32_e32 v4, 0x80000000, v4
	v_or3_b32 v3, v5, v4, v3
.LBB329_1064:                           ;   in Loop: Header=BB329_819 Depth=1
	s_or_b32 exec_lo, exec_lo, s20
.LBB329_1065:                           ;   in Loop: Header=BB329_819 Depth=1
	s_delay_alu instid0(SALU_CYCLE_1)
	s_or_b32 exec_lo, exec_lo, s19
.LBB329_1066:                           ;   in Loop: Header=BB329_819 Depth=1
	s_delay_alu instid0(SALU_CYCLE_1) | instskip(SKIP_3) | instid1(VALU_DEP_2)
	s_or_b32 exec_lo, exec_lo, s18
	v_dual_lshrrev_b32 v6, 16, v49 :: v_dual_mov_b32 v4, 0
	v_mov_b32_e32 v5, 0
	s_mov_b32 s18, exec_lo
	v_and_b32_e32 v7, 0xff, v6
	s_delay_alu instid0(VALU_DEP_1)
	v_cmpx_ne_u16_e32 0, v7
	s_cbranch_execz .LBB329_1074
; %bb.1067:                             ;   in Loop: Header=BB329_819 Depth=1
	v_bfrev_b32_e32 v5, 1
	s_mov_b32 s19, exec_lo
	v_cmpx_ne_u16_e32 0x80, v7
	s_cbranch_execz .LBB329_1073
; %bb.1068:                             ;   in Loop: Header=BB329_819 Depth=1
	v_bfe_u32 v7, v49, 16, 7
	v_mov_b32_e32 v5, 0x7f800001
	s_mov_b32 s20, exec_lo
	s_delay_alu instid0(VALU_DEP_2)
	v_cmpx_ne_u32_e32 0x7f, v7
	s_cbranch_execz .LBB329_1072
; %bb.1069:                             ;   in Loop: Header=BB329_819 Depth=1
	v_dual_lshrrev_b32 v5, 3, v7 :: v_dual_bitop2_b32 v26, 7, v6 bitop3:0x40
	s_mov_b32 s21, exec_lo
	v_cmpx_gt_u32_e32 8, v7
; %bb.1070:                             ;   in Loop: Header=BB329_819 Depth=1
	s_delay_alu instid0(VALU_DEP_2) | instskip(NEXT) | instid1(VALU_DEP_1)
	v_clz_i32_u32_e32 v5, v26
	v_min_u32_e32 v5, 32, v5
	s_delay_alu instid0(VALU_DEP_1) | instskip(NEXT) | instid1(VALU_DEP_1)
	v_subrev_nc_u32_e32 v7, 28, v5
	v_lshlrev_b64_e32 v[8:9], v7, v[26:27]
	s_delay_alu instid0(VALU_DEP_1)
	v_dual_sub_nc_u32 v5, 29, v5 :: v_dual_bitop2_b32 v26, 7, v8 bitop3:0x40
; %bb.1071:                             ;   in Loop: Header=BB329_819 Depth=1
	s_or_b32 exec_lo, exec_lo, s21
	v_lshlrev_b32_e32 v6, 24, v6
	s_delay_alu instid0(VALU_DEP_2) | instskip(NEXT) | instid1(VALU_DEP_3)
	v_lshlrev_b32_e32 v7, 20, v26
	v_lshl_add_u32 v5, v5, 23, 0x3c000000
	s_delay_alu instid0(VALU_DEP_3) | instskip(NEXT) | instid1(VALU_DEP_1)
	v_and_b32_e32 v6, 0x80000000, v6
	v_or3_b32 v5, v7, v6, v5
.LBB329_1072:                           ;   in Loop: Header=BB329_819 Depth=1
	s_or_b32 exec_lo, exec_lo, s20
.LBB329_1073:                           ;   in Loop: Header=BB329_819 Depth=1
	s_delay_alu instid0(SALU_CYCLE_1)
	s_or_b32 exec_lo, exec_lo, s19
.LBB329_1074:                           ;   in Loop: Header=BB329_819 Depth=1
	s_delay_alu instid0(SALU_CYCLE_1) | instskip(NEXT) | instid1(SALU_CYCLE_1)
	s_or_b32 exec_lo, exec_lo, s18
	s_mov_b32 s18, exec_lo
	v_cmpx_lt_u64_e64 s[2:3], v[48:49]
	s_cbranch_execz .LBB329_1082
; %bb.1075:                             ;   in Loop: Header=BB329_819 Depth=1
	v_lshrrev_b32_e32 v6, 24, v49
	v_bfrev_b32_e32 v4, 1
	s_mov_b32 s19, exec_lo
	s_delay_alu instid0(VALU_DEP_2)
	v_cmpx_ne_u32_e32 0x80, v6
	s_cbranch_execz .LBB329_1081
; %bb.1076:                             ;   in Loop: Header=BB329_819 Depth=1
	v_bfe_u32 v7, v49, 24, 7
	v_mov_b32_e32 v4, 0x7f800001
	s_mov_b32 s20, exec_lo
	s_delay_alu instid0(VALU_DEP_2)
	v_cmpx_ne_u32_e32 0x7f, v7
	s_cbranch_execz .LBB329_1080
; %bb.1077:                             ;   in Loop: Header=BB329_819 Depth=1
	v_dual_lshrrev_b32 v4, 3, v7 :: v_dual_bitop2_b32 v26, 7, v6 bitop3:0x40
	s_mov_b32 s21, exec_lo
	v_cmpx_gt_u32_e32 8, v7
; %bb.1078:                             ;   in Loop: Header=BB329_819 Depth=1
	s_delay_alu instid0(VALU_DEP_2) | instskip(NEXT) | instid1(VALU_DEP_1)
	v_clz_i32_u32_e32 v4, v26
	v_min_u32_e32 v4, 32, v4
	s_delay_alu instid0(VALU_DEP_1) | instskip(SKIP_1) | instid1(VALU_DEP_2)
	v_subrev_nc_u32_e32 v7, 28, v4
	v_sub_nc_u32_e32 v4, 29, v4
	v_lshlrev_b64_e32 v[8:9], v7, v[26:27]
	s_delay_alu instid0(VALU_DEP_1)
	v_and_b32_e32 v26, 7, v8
; %bb.1079:                             ;   in Loop: Header=BB329_819 Depth=1
	s_or_b32 exec_lo, exec_lo, s21
	v_lshlrev_b32_e32 v6, 24, v6
	s_delay_alu instid0(VALU_DEP_2) | instskip(SKIP_1) | instid1(VALU_DEP_3)
	v_lshlrev_b32_e32 v7, 20, v26
	v_lshl_add_u32 v4, v4, 23, 0x3c000000
	v_and_b32_e32 v6, 0x80000000, v6
	s_delay_alu instid0(VALU_DEP_1)
	v_or3_b32 v4, v7, v6, v4
.LBB329_1080:                           ;   in Loop: Header=BB329_819 Depth=1
	s_or_b32 exec_lo, exec_lo, s20
.LBB329_1081:                           ;   in Loop: Header=BB329_819 Depth=1
	s_delay_alu instid0(SALU_CYCLE_1)
	s_or_b32 exec_lo, exec_lo, s19
.LBB329_1082:                           ;   in Loop: Header=BB329_819 Depth=1
	s_delay_alu instid0(SALU_CYCLE_1)
	s_or_b32 exec_lo, exec_lo, s18
	v_fma_mixlo_bf16 v59, v82, v3, 0
	v_fma_mixlo_bf16 v60, v82, v2, 0
	;; [unrolled: 1-line block ×8, first 2 shown]
	s_and_saveexec_b32 s18, vcc_lo
	s_cbranch_execz .LBB329_1084
; %bb.1083:                             ;   in Loop: Header=BB329_819 Depth=1
	v_cmp_lt_i32_e64 s0, v118, v99
	s_delay_alu instid0(VALU_DEP_1) | instskip(SKIP_1) | instid1(VALU_DEP_1)
	v_cndmask_b32_e64 v74, 0, v74, s0
	v_cmp_lt_i32_e64 s0, v42, v99
	v_cndmask_b32_e64 v73, 0, v73, s0
	v_cmp_lt_i32_e64 s0, v41, v99
	s_delay_alu instid0(VALU_DEP_1) | instskip(SKIP_1) | instid1(VALU_DEP_1)
	v_cndmask_b32_e64 v72, 0, v72, s0
	v_cmp_lt_i32_e64 s0, v40, v99
	v_cndmask_b32_e64 v63, 0, v63, s0
	;; [unrolled: 5-line block ×4, first 2 shown]
.LBB329_1084:                           ;   in Loop: Header=BB329_819 Depth=1
	s_or_b32 exec_lo, exec_lo, s18
	flat_load_b64 v[48:49], v[38:39] offset:1024
	v_dual_mov_b32 v1, 0 :: v_dual_mov_b32 v0, 0
	s_mov_b32 s18, exec_lo
	s_wait_loadcnt_dscnt 0x0
	v_and_b32_e32 v2, 0xff, v48
	s_wait_xcnt 0x0
	s_delay_alu instid0(VALU_DEP_1)
	v_cmpx_ne_u16_e32 0, v2
	s_cbranch_execz .LBB329_1092
; %bb.1085:                             ;   in Loop: Header=BB329_819 Depth=1
	v_bfrev_b32_e32 v0, 1
	s_mov_b32 s19, exec_lo
	v_cmpx_ne_u16_e32 0x80, v2
	s_cbranch_execz .LBB329_1091
; %bb.1086:                             ;   in Loop: Header=BB329_819 Depth=1
	v_and_b32_e32 v2, 0x7f, v48
	v_mov_b32_e32 v0, 0x7f800001
	s_mov_b32 s20, exec_lo
	s_delay_alu instid0(VALU_DEP_2)
	v_cmpx_ne_u32_e32 0x7f, v2
	s_cbranch_execz .LBB329_1090
; %bb.1087:                             ;   in Loop: Header=BB329_819 Depth=1
	v_mov_b64_e32 v[50:51], v[48:49]
	v_lshrrev_b32_e32 v0, 3, v2
	s_mov_b32 s21, exec_lo
	v_cmpx_gt_u32_e32 8, v2
; %bb.1088:                             ;   in Loop: Header=BB329_819 Depth=1
	v_and_b32_e32 v0, 7, v48
	s_delay_alu instid0(VALU_DEP_1) | instskip(NEXT) | instid1(VALU_DEP_1)
	v_clz_i32_u32_e32 v0, v0
	v_min_u32_e32 v0, 32, v0
	s_delay_alu instid0(VALU_DEP_1) | instskip(SKIP_1) | instid1(VALU_DEP_2)
	v_subrev_nc_u32_e32 v2, 28, v0
	v_sub_nc_u32_e32 v0, 29, v0
	v_lshlrev_b64_e32 v[50:51], v2, v[48:49]
; %bb.1089:                             ;   in Loop: Header=BB329_819 Depth=1
	s_or_b32 exec_lo, exec_lo, s21
	s_delay_alu instid0(VALU_DEP_1) | instskip(NEXT) | instid1(VALU_DEP_3)
	v_dual_lshlrev_b32 v2, 20, v50 :: v_dual_lshlrev_b32 v3, 24, v48
	v_lshl_add_u32 v0, v0, 23, 0x3c000000
	s_delay_alu instid0(VALU_DEP_2) | instskip(NEXT) | instid1(VALU_DEP_3)
	v_and_b32_e32 v2, 0x700000, v2
	v_and_b32_e32 v3, 0x80000000, v3
	s_delay_alu instid0(VALU_DEP_1)
	v_or3_b32 v0, v2, v3, v0
.LBB329_1090:                           ;   in Loop: Header=BB329_819 Depth=1
	s_or_b32 exec_lo, exec_lo, s20
.LBB329_1091:                           ;   in Loop: Header=BB329_819 Depth=1
	s_delay_alu instid0(SALU_CYCLE_1)
	s_or_b32 exec_lo, exec_lo, s19
.LBB329_1092:                           ;   in Loop: Header=BB329_819 Depth=1
	s_delay_alu instid0(SALU_CYCLE_1) | instskip(SKIP_2) | instid1(VALU_DEP_1)
	s_or_b32 exec_lo, exec_lo, s18
	v_lshrrev_b16 v2, 8, v48
	s_mov_b32 s18, exec_lo
	v_cmpx_ne_u16_e32 0, v2
	s_cbranch_execz .LBB329_1100
; %bb.1093:                             ;   in Loop: Header=BB329_819 Depth=1
	v_bfrev_b32_e32 v1, 1
	s_mov_b32 s19, exec_lo
	v_cmpx_ne_u16_e32 0x80, v2
	s_cbranch_execz .LBB329_1099
; %bb.1094:                             ;   in Loop: Header=BB329_819 Depth=1
	v_and_b32_e32 v3, 0xffff, v2
	v_mov_b32_e32 v1, 0x7f800001
	s_mov_b32 s20, exec_lo
	s_delay_alu instid0(VALU_DEP_2) | instskip(NEXT) | instid1(VALU_DEP_1)
	v_and_b32_e32 v2, 0x7f, v3
	v_cmpx_ne_u32_e32 0x7f, v2
	s_cbranch_execz .LBB329_1098
; %bb.1095:                             ;   in Loop: Header=BB329_819 Depth=1
	v_dual_lshrrev_b32 v1, 3, v2 :: v_dual_bitop2_b32 v26, 7, v3 bitop3:0x40
	s_mov_b32 s21, exec_lo
	v_cmpx_gt_u32_e32 8, v2
; %bb.1096:                             ;   in Loop: Header=BB329_819 Depth=1
	s_delay_alu instid0(VALU_DEP_2) | instskip(NEXT) | instid1(VALU_DEP_1)
	v_clz_i32_u32_e32 v1, v26
	v_min_u32_e32 v1, 32, v1
	s_delay_alu instid0(VALU_DEP_1) | instskip(NEXT) | instid1(VALU_DEP_1)
	v_subrev_nc_u32_e32 v2, 28, v1
	v_lshlrev_b64_e32 v[2:3], v2, v[26:27]
	s_delay_alu instid0(VALU_DEP_1)
	v_dual_sub_nc_u32 v1, 29, v1 :: v_dual_bitop2_b32 v26, 7, v2 bitop3:0x40
; %bb.1097:                             ;   in Loop: Header=BB329_819 Depth=1
	s_or_b32 exec_lo, exec_lo, s21
	s_delay_alu instid0(VALU_DEP_1) | instskip(NEXT) | instid1(VALU_DEP_2)
	v_dual_lshlrev_b32 v2, 16, v48 :: v_dual_lshlrev_b32 v3, 20, v26
	v_lshl_add_u32 v1, v1, 23, 0x3c000000
	s_delay_alu instid0(VALU_DEP_2) | instskip(NEXT) | instid1(VALU_DEP_1)
	v_and_b32_e32 v2, 0x80000000, v2
	v_or3_b32 v1, v3, v2, v1
.LBB329_1098:                           ;   in Loop: Header=BB329_819 Depth=1
	s_or_b32 exec_lo, exec_lo, s20
.LBB329_1099:                           ;   in Loop: Header=BB329_819 Depth=1
	s_delay_alu instid0(SALU_CYCLE_1)
	s_or_b32 exec_lo, exec_lo, s19
.LBB329_1100:                           ;   in Loop: Header=BB329_819 Depth=1
	s_delay_alu instid0(SALU_CYCLE_1) | instskip(SKIP_3) | instid1(VALU_DEP_2)
	s_or_b32 exec_lo, exec_lo, s18
	v_dual_mov_b32 v17, 0 :: v_dual_lshrrev_b32 v2, 16, v48
	v_mov_b32_e32 v16, 0
	s_mov_b32 s18, exec_lo
	v_and_b32_e32 v3, 0xff, v2
	s_delay_alu instid0(VALU_DEP_1)
	v_cmpx_ne_u16_e32 0, v3
	s_cbranch_execz .LBB329_1108
; %bb.1101:                             ;   in Loop: Header=BB329_819 Depth=1
	v_bfrev_b32_e32 v16, 1
	s_mov_b32 s19, exec_lo
	v_cmpx_ne_u16_e32 0x80, v3
	s_cbranch_execz .LBB329_1107
; %bb.1102:                             ;   in Loop: Header=BB329_819 Depth=1
	v_bfe_u32 v4, v48, 16, 7
	v_mov_b32_e32 v16, 0x7f800001
	s_mov_b32 s20, exec_lo
	s_delay_alu instid0(VALU_DEP_2)
	v_cmpx_ne_u32_e32 0x7f, v4
	s_cbranch_execz .LBB329_1106
; %bb.1103:                             ;   in Loop: Header=BB329_819 Depth=1
	v_dual_lshrrev_b32 v3, 3, v4 :: v_dual_bitop2_b32 v26, 7, v2 bitop3:0x40
	s_mov_b32 s21, exec_lo
	v_cmpx_gt_u32_e32 8, v4
; %bb.1104:                             ;   in Loop: Header=BB329_819 Depth=1
	s_delay_alu instid0(VALU_DEP_2) | instskip(NEXT) | instid1(VALU_DEP_1)
	v_clz_i32_u32_e32 v3, v26
	v_min_u32_e32 v3, 32, v3
	s_delay_alu instid0(VALU_DEP_1) | instskip(NEXT) | instid1(VALU_DEP_1)
	v_subrev_nc_u32_e32 v4, 28, v3
	v_lshlrev_b64_e32 v[4:5], v4, v[26:27]
	s_delay_alu instid0(VALU_DEP_1)
	v_dual_sub_nc_u32 v3, 29, v3 :: v_dual_bitop2_b32 v26, 7, v4 bitop3:0x40
; %bb.1105:                             ;   in Loop: Header=BB329_819 Depth=1
	s_or_b32 exec_lo, exec_lo, s21
	v_lshlrev_b32_e32 v2, 24, v2
	s_delay_alu instid0(VALU_DEP_2) | instskip(NEXT) | instid1(VALU_DEP_3)
	v_lshlrev_b32_e32 v4, 20, v26
	v_lshl_add_u32 v3, v3, 23, 0x3c000000
	s_delay_alu instid0(VALU_DEP_3) | instskip(NEXT) | instid1(VALU_DEP_1)
	v_and_b32_e32 v2, 0x80000000, v2
	v_or3_b32 v16, v4, v2, v3
.LBB329_1106:                           ;   in Loop: Header=BB329_819 Depth=1
	s_or_b32 exec_lo, exec_lo, s20
.LBB329_1107:                           ;   in Loop: Header=BB329_819 Depth=1
	s_delay_alu instid0(SALU_CYCLE_1)
	s_or_b32 exec_lo, exec_lo, s19
.LBB329_1108:                           ;   in Loop: Header=BB329_819 Depth=1
	s_delay_alu instid0(SALU_CYCLE_1) | instskip(NEXT) | instid1(SALU_CYCLE_1)
	s_or_b32 exec_lo, exec_lo, s18
	s_mov_b32 s18, exec_lo
	v_cmpx_lt_u32_e32 0xffffff, v48
	s_cbranch_execz .LBB329_1116
; %bb.1109:                             ;   in Loop: Header=BB329_819 Depth=1
	v_lshrrev_b32_e32 v2, 24, v48
	v_bfrev_b32_e32 v17, 1
	s_mov_b32 s19, exec_lo
	s_delay_alu instid0(VALU_DEP_2)
	v_cmpx_ne_u32_e32 0x80, v2
	s_cbranch_execz .LBB329_1115
; %bb.1110:                             ;   in Loop: Header=BB329_819 Depth=1
	v_bfe_u32 v4, v48, 24, 7
	v_mov_b32_e32 v17, 0x7f800001
	s_mov_b32 s20, exec_lo
	s_delay_alu instid0(VALU_DEP_2)
	v_cmpx_ne_u32_e32 0x7f, v4
	s_cbranch_execz .LBB329_1114
; %bb.1111:                             ;   in Loop: Header=BB329_819 Depth=1
	v_dual_lshrrev_b32 v3, 3, v4 :: v_dual_bitop2_b32 v26, 7, v2 bitop3:0x40
	s_mov_b32 s21, exec_lo
	v_cmpx_gt_u32_e32 8, v4
; %bb.1112:                             ;   in Loop: Header=BB329_819 Depth=1
	s_delay_alu instid0(VALU_DEP_2) | instskip(NEXT) | instid1(VALU_DEP_1)
	v_clz_i32_u32_e32 v3, v26
	v_min_u32_e32 v3, 32, v3
	s_delay_alu instid0(VALU_DEP_1) | instskip(NEXT) | instid1(VALU_DEP_1)
	v_subrev_nc_u32_e32 v4, 28, v3
	v_lshlrev_b64_e32 v[4:5], v4, v[26:27]
	s_delay_alu instid0(VALU_DEP_1)
	v_dual_sub_nc_u32 v3, 29, v3 :: v_dual_bitop2_b32 v26, 7, v4 bitop3:0x40
; %bb.1113:                             ;   in Loop: Header=BB329_819 Depth=1
	s_or_b32 exec_lo, exec_lo, s21
	v_lshlrev_b32_e32 v2, 24, v2
	s_delay_alu instid0(VALU_DEP_2) | instskip(NEXT) | instid1(VALU_DEP_3)
	v_lshlrev_b32_e32 v4, 20, v26
	v_lshl_add_u32 v3, v3, 23, 0x3c000000
	s_delay_alu instid0(VALU_DEP_3) | instskip(NEXT) | instid1(VALU_DEP_1)
	v_and_b32_e32 v2, 0x80000000, v2
	v_or3_b32 v17, v4, v2, v3
.LBB329_1114:                           ;   in Loop: Header=BB329_819 Depth=1
	s_or_b32 exec_lo, exec_lo, s20
.LBB329_1115:                           ;   in Loop: Header=BB329_819 Depth=1
	s_delay_alu instid0(SALU_CYCLE_1)
	s_or_b32 exec_lo, exec_lo, s19
.LBB329_1116:                           ;   in Loop: Header=BB329_819 Depth=1
	s_delay_alu instid0(SALU_CYCLE_1) | instskip(SKIP_4) | instid1(VALU_DEP_3)
	s_or_b32 exec_lo, exec_lo, s18
	v_and_b32_e32 v4, 0xff, v49
	v_dual_mov_b32 v26, v49 :: v_dual_mov_b32 v3, 0
	v_mov_b32_e32 v2, 0
	s_mov_b32 s18, exec_lo
	v_cmpx_ne_u16_e32 0, v4
	s_cbranch_execz .LBB329_1124
; %bb.1117:                             ;   in Loop: Header=BB329_819 Depth=1
	v_bfrev_b32_e32 v2, 1
	s_mov_b32 s19, exec_lo
	v_cmpx_ne_u16_e32 0x80, v4
	s_cbranch_execz .LBB329_1123
; %bb.1118:                             ;   in Loop: Header=BB329_819 Depth=1
	v_and_b32_e32 v4, 0x7f, v49
	v_mov_b32_e32 v2, 0x7f800001
	s_mov_b32 s20, exec_lo
	s_delay_alu instid0(VALU_DEP_2)
	v_cmpx_ne_u32_e32 0x7f, v4
	s_cbranch_execz .LBB329_1122
; %bb.1119:                             ;   in Loop: Header=BB329_819 Depth=1
	v_mov_b64_e32 v[50:51], v[26:27]
	v_lshrrev_b32_e32 v2, 3, v4
	s_mov_b32 s21, exec_lo
	v_cmpx_gt_u32_e32 8, v4
; %bb.1120:                             ;   in Loop: Header=BB329_819 Depth=1
	v_and_b32_e32 v2, 7, v49
	s_delay_alu instid0(VALU_DEP_1) | instskip(NEXT) | instid1(VALU_DEP_1)
	v_clz_i32_u32_e32 v2, v2
	v_min_u32_e32 v2, 32, v2
	s_delay_alu instid0(VALU_DEP_1) | instskip(SKIP_1) | instid1(VALU_DEP_2)
	v_subrev_nc_u32_e32 v4, 28, v2
	v_sub_nc_u32_e32 v2, 29, v2
	v_lshlrev_b64_e32 v[50:51], v4, v[26:27]
; %bb.1121:                             ;   in Loop: Header=BB329_819 Depth=1
	s_or_b32 exec_lo, exec_lo, s21
	s_delay_alu instid0(VALU_DEP_1) | instskip(SKIP_2) | instid1(VALU_DEP_3)
	v_lshlrev_b32_e32 v4, 20, v50
	v_lshlrev_b32_e32 v5, 24, v26
	v_lshl_add_u32 v2, v2, 23, 0x3c000000
	v_and_b32_e32 v4, 0x700000, v4
	s_delay_alu instid0(VALU_DEP_3) | instskip(NEXT) | instid1(VALU_DEP_1)
	v_and_b32_e32 v5, 0x80000000, v5
	v_or3_b32 v2, v4, v5, v2
.LBB329_1122:                           ;   in Loop: Header=BB329_819 Depth=1
	s_or_b32 exec_lo, exec_lo, s20
.LBB329_1123:                           ;   in Loop: Header=BB329_819 Depth=1
	s_delay_alu instid0(SALU_CYCLE_1)
	s_or_b32 exec_lo, exec_lo, s19
.LBB329_1124:                           ;   in Loop: Header=BB329_819 Depth=1
	s_delay_alu instid0(SALU_CYCLE_1) | instskip(SKIP_2) | instid1(VALU_DEP_1)
	s_or_b32 exec_lo, exec_lo, s18
	v_lshrrev_b16 v4, 8, v26
	s_mov_b32 s18, exec_lo
	v_cmpx_ne_u16_e32 0, v4
	s_cbranch_execz .LBB329_1132
; %bb.1125:                             ;   in Loop: Header=BB329_819 Depth=1
	v_bfrev_b32_e32 v3, 1
	s_mov_b32 s19, exec_lo
	v_cmpx_ne_u16_e32 0x80, v4
	s_cbranch_execz .LBB329_1131
; %bb.1126:                             ;   in Loop: Header=BB329_819 Depth=1
	v_and_b32_e32 v5, 0xffff, v4
	v_mov_b32_e32 v3, 0x7f800001
	s_mov_b32 s20, exec_lo
	s_delay_alu instid0(VALU_DEP_2) | instskip(NEXT) | instid1(VALU_DEP_1)
	v_and_b32_e32 v4, 0x7f, v5
	v_cmpx_ne_u32_e32 0x7f, v4
	s_cbranch_execz .LBB329_1130
; %bb.1127:                             ;   in Loop: Header=BB329_819 Depth=1
	v_dual_mov_b32 v51, v27 :: v_dual_bitop2_b32 v50, 7, v5 bitop3:0x40
	v_lshrrev_b32_e32 v3, 3, v4
	s_mov_b32 s21, exec_lo
	v_cmpx_gt_u32_e32 8, v4
; %bb.1128:                             ;   in Loop: Header=BB329_819 Depth=1
	s_delay_alu instid0(VALU_DEP_3) | instskip(NEXT) | instid1(VALU_DEP_1)
	v_clz_i32_u32_e32 v3, v50
	v_min_u32_e32 v3, 32, v3
	s_delay_alu instid0(VALU_DEP_1) | instskip(NEXT) | instid1(VALU_DEP_1)
	v_subrev_nc_u32_e32 v4, 28, v3
	v_lshlrev_b64_e32 v[4:5], v4, v[50:51]
	s_delay_alu instid0(VALU_DEP_1)
	v_dual_sub_nc_u32 v3, 29, v3 :: v_dual_bitop2_b32 v50, 7, v4 bitop3:0x40
; %bb.1129:                             ;   in Loop: Header=BB329_819 Depth=1
	s_or_b32 exec_lo, exec_lo, s21
	v_lshlrev_b32_e32 v4, 16, v26
	s_delay_alu instid0(VALU_DEP_2) | instskip(NEXT) | instid1(VALU_DEP_3)
	v_lshlrev_b32_e32 v5, 20, v50
	v_lshl_add_u32 v3, v3, 23, 0x3c000000
	s_delay_alu instid0(VALU_DEP_3) | instskip(NEXT) | instid1(VALU_DEP_1)
	v_and_b32_e32 v4, 0x80000000, v4
	v_or3_b32 v3, v5, v4, v3
.LBB329_1130:                           ;   in Loop: Header=BB329_819 Depth=1
	s_or_b32 exec_lo, exec_lo, s20
.LBB329_1131:                           ;   in Loop: Header=BB329_819 Depth=1
	s_delay_alu instid0(SALU_CYCLE_1)
	s_or_b32 exec_lo, exec_lo, s19
.LBB329_1132:                           ;   in Loop: Header=BB329_819 Depth=1
	s_delay_alu instid0(SALU_CYCLE_1) | instskip(SKIP_3) | instid1(VALU_DEP_2)
	s_or_b32 exec_lo, exec_lo, s18
	v_dual_lshrrev_b32 v6, 16, v49 :: v_dual_mov_b32 v4, 0
	v_mov_b32_e32 v5, 0
	s_mov_b32 s18, exec_lo
	v_and_b32_e32 v7, 0xff, v6
	s_delay_alu instid0(VALU_DEP_1)
	v_cmpx_ne_u16_e32 0, v7
	s_cbranch_execz .LBB329_1140
; %bb.1133:                             ;   in Loop: Header=BB329_819 Depth=1
	v_bfrev_b32_e32 v5, 1
	s_mov_b32 s19, exec_lo
	v_cmpx_ne_u16_e32 0x80, v7
	s_cbranch_execz .LBB329_1139
; %bb.1134:                             ;   in Loop: Header=BB329_819 Depth=1
	v_bfe_u32 v7, v49, 16, 7
	v_mov_b32_e32 v5, 0x7f800001
	s_mov_b32 s20, exec_lo
	s_delay_alu instid0(VALU_DEP_2)
	v_cmpx_ne_u32_e32 0x7f, v7
	s_cbranch_execz .LBB329_1138
; %bb.1135:                             ;   in Loop: Header=BB329_819 Depth=1
	v_dual_lshrrev_b32 v5, 3, v7 :: v_dual_bitop2_b32 v26, 7, v6 bitop3:0x40
	s_mov_b32 s21, exec_lo
	v_cmpx_gt_u32_e32 8, v7
; %bb.1136:                             ;   in Loop: Header=BB329_819 Depth=1
	s_delay_alu instid0(VALU_DEP_2) | instskip(NEXT) | instid1(VALU_DEP_1)
	v_clz_i32_u32_e32 v5, v26
	v_min_u32_e32 v5, 32, v5
	s_delay_alu instid0(VALU_DEP_1) | instskip(NEXT) | instid1(VALU_DEP_1)
	v_subrev_nc_u32_e32 v7, 28, v5
	v_lshlrev_b64_e32 v[8:9], v7, v[26:27]
	s_delay_alu instid0(VALU_DEP_1)
	v_dual_sub_nc_u32 v5, 29, v5 :: v_dual_bitop2_b32 v26, 7, v8 bitop3:0x40
; %bb.1137:                             ;   in Loop: Header=BB329_819 Depth=1
	s_or_b32 exec_lo, exec_lo, s21
	v_lshlrev_b32_e32 v6, 24, v6
	s_delay_alu instid0(VALU_DEP_2) | instskip(NEXT) | instid1(VALU_DEP_3)
	v_lshlrev_b32_e32 v7, 20, v26
	v_lshl_add_u32 v5, v5, 23, 0x3c000000
	s_delay_alu instid0(VALU_DEP_3) | instskip(NEXT) | instid1(VALU_DEP_1)
	v_and_b32_e32 v6, 0x80000000, v6
	v_or3_b32 v5, v7, v6, v5
.LBB329_1138:                           ;   in Loop: Header=BB329_819 Depth=1
	s_or_b32 exec_lo, exec_lo, s20
.LBB329_1139:                           ;   in Loop: Header=BB329_819 Depth=1
	s_delay_alu instid0(SALU_CYCLE_1)
	s_or_b32 exec_lo, exec_lo, s19
.LBB329_1140:                           ;   in Loop: Header=BB329_819 Depth=1
	s_delay_alu instid0(SALU_CYCLE_1) | instskip(NEXT) | instid1(SALU_CYCLE_1)
	s_or_b32 exec_lo, exec_lo, s18
	s_mov_b32 s18, exec_lo
	v_cmpx_lt_u64_e64 s[2:3], v[48:49]
	s_cbranch_execz .LBB329_1148
; %bb.1141:                             ;   in Loop: Header=BB329_819 Depth=1
	v_lshrrev_b32_e32 v6, 24, v49
	v_bfrev_b32_e32 v4, 1
	s_mov_b32 s19, exec_lo
	s_delay_alu instid0(VALU_DEP_2)
	v_cmpx_ne_u32_e32 0x80, v6
	s_cbranch_execz .LBB329_1147
; %bb.1142:                             ;   in Loop: Header=BB329_819 Depth=1
	v_bfe_u32 v7, v49, 24, 7
	v_mov_b32_e32 v4, 0x7f800001
	s_mov_b32 s20, exec_lo
	s_delay_alu instid0(VALU_DEP_2)
	v_cmpx_ne_u32_e32 0x7f, v7
	s_cbranch_execz .LBB329_1146
; %bb.1143:                             ;   in Loop: Header=BB329_819 Depth=1
	v_dual_lshrrev_b32 v4, 3, v7 :: v_dual_bitop2_b32 v26, 7, v6 bitop3:0x40
	s_mov_b32 s21, exec_lo
	v_cmpx_gt_u32_e32 8, v7
; %bb.1144:                             ;   in Loop: Header=BB329_819 Depth=1
	s_delay_alu instid0(VALU_DEP_2) | instskip(NEXT) | instid1(VALU_DEP_1)
	v_clz_i32_u32_e32 v4, v26
	v_min_u32_e32 v4, 32, v4
	s_delay_alu instid0(VALU_DEP_1) | instskip(SKIP_1) | instid1(VALU_DEP_2)
	v_subrev_nc_u32_e32 v7, 28, v4
	v_sub_nc_u32_e32 v4, 29, v4
	v_lshlrev_b64_e32 v[8:9], v7, v[26:27]
	s_delay_alu instid0(VALU_DEP_1)
	v_and_b32_e32 v26, 7, v8
; %bb.1145:                             ;   in Loop: Header=BB329_819 Depth=1
	s_or_b32 exec_lo, exec_lo, s21
	v_lshlrev_b32_e32 v6, 24, v6
	s_delay_alu instid0(VALU_DEP_2) | instskip(SKIP_1) | instid1(VALU_DEP_3)
	v_lshlrev_b32_e32 v7, 20, v26
	v_lshl_add_u32 v4, v4, 23, 0x3c000000
	v_and_b32_e32 v6, 0x80000000, v6
	s_delay_alu instid0(VALU_DEP_1)
	v_or3_b32 v4, v7, v6, v4
.LBB329_1146:                           ;   in Loop: Header=BB329_819 Depth=1
	s_or_b32 exec_lo, exec_lo, s20
.LBB329_1147:                           ;   in Loop: Header=BB329_819 Depth=1
	s_delay_alu instid0(SALU_CYCLE_1)
	s_or_b32 exec_lo, exec_lo, s19
.LBB329_1148:                           ;   in Loop: Header=BB329_819 Depth=1
	s_delay_alu instid0(SALU_CYCLE_1)
	s_or_b32 exec_lo, exec_lo, s18
	v_fma_mixlo_bf16 v75, v82, v3, 0
	v_fma_mixlo_bf16 v76, v82, v2, 0
	;; [unrolled: 1-line block ×8, first 2 shown]
	s_and_saveexec_b32 s18, vcc_lo
	s_cbranch_execz .LBB329_1150
; %bb.1149:                             ;   in Loop: Header=BB329_819 Depth=1
	v_cmp_lt_i32_e64 s0, v118, v99
	s_delay_alu instid0(VALU_DEP_1) | instskip(SKIP_1) | instid1(VALU_DEP_1)
	v_cndmask_b32_e64 v90, 0, v90, s0
	v_cmp_lt_i32_e64 s0, v42, v99
	v_cndmask_b32_e64 v89, 0, v89, s0
	v_cmp_lt_i32_e64 s0, v41, v99
	s_delay_alu instid0(VALU_DEP_1) | instskip(SKIP_1) | instid1(VALU_DEP_1)
	v_cndmask_b32_e64 v88, 0, v88, s0
	v_cmp_lt_i32_e64 s0, v40, v99
	v_cndmask_b32_e64 v79, 0, v79, s0
	;; [unrolled: 5-line block ×4, first 2 shown]
.LBB329_1150:                           ;   in Loop: Header=BB329_819 Depth=1
	s_or_b32 exec_lo, exec_lo, s18
	flat_load_b64 v[48:49], v[38:39] offset:1280
	v_dual_mov_b32 v1, 0 :: v_dual_mov_b32 v0, 0
	s_mov_b32 s18, exec_lo
	s_wait_loadcnt_dscnt 0x0
	v_and_b32_e32 v2, 0xff, v48
	s_wait_xcnt 0x0
	s_delay_alu instid0(VALU_DEP_1)
	v_cmpx_ne_u16_e32 0, v2
	s_cbranch_execz .LBB329_1158
; %bb.1151:                             ;   in Loop: Header=BB329_819 Depth=1
	v_bfrev_b32_e32 v0, 1
	s_mov_b32 s19, exec_lo
	v_cmpx_ne_u16_e32 0x80, v2
	s_cbranch_execz .LBB329_1157
; %bb.1152:                             ;   in Loop: Header=BB329_819 Depth=1
	v_and_b32_e32 v2, 0x7f, v48
	v_mov_b32_e32 v0, 0x7f800001
	s_mov_b32 s20, exec_lo
	s_delay_alu instid0(VALU_DEP_2)
	v_cmpx_ne_u32_e32 0x7f, v2
	s_cbranch_execz .LBB329_1156
; %bb.1153:                             ;   in Loop: Header=BB329_819 Depth=1
	v_mov_b64_e32 v[50:51], v[48:49]
	v_lshrrev_b32_e32 v0, 3, v2
	s_mov_b32 s21, exec_lo
	v_cmpx_gt_u32_e32 8, v2
; %bb.1154:                             ;   in Loop: Header=BB329_819 Depth=1
	v_and_b32_e32 v0, 7, v48
	s_delay_alu instid0(VALU_DEP_1) | instskip(NEXT) | instid1(VALU_DEP_1)
	v_clz_i32_u32_e32 v0, v0
	v_min_u32_e32 v0, 32, v0
	s_delay_alu instid0(VALU_DEP_1) | instskip(SKIP_1) | instid1(VALU_DEP_2)
	v_subrev_nc_u32_e32 v2, 28, v0
	v_sub_nc_u32_e32 v0, 29, v0
	v_lshlrev_b64_e32 v[50:51], v2, v[48:49]
; %bb.1155:                             ;   in Loop: Header=BB329_819 Depth=1
	s_or_b32 exec_lo, exec_lo, s21
	s_delay_alu instid0(VALU_DEP_1) | instskip(NEXT) | instid1(VALU_DEP_3)
	v_dual_lshlrev_b32 v2, 20, v50 :: v_dual_lshlrev_b32 v3, 24, v48
	v_lshl_add_u32 v0, v0, 23, 0x3c000000
	s_delay_alu instid0(VALU_DEP_2) | instskip(NEXT) | instid1(VALU_DEP_3)
	v_and_b32_e32 v2, 0x700000, v2
	v_and_b32_e32 v3, 0x80000000, v3
	s_delay_alu instid0(VALU_DEP_1)
	v_or3_b32 v0, v2, v3, v0
.LBB329_1156:                           ;   in Loop: Header=BB329_819 Depth=1
	s_or_b32 exec_lo, exec_lo, s20
.LBB329_1157:                           ;   in Loop: Header=BB329_819 Depth=1
	s_delay_alu instid0(SALU_CYCLE_1)
	s_or_b32 exec_lo, exec_lo, s19
.LBB329_1158:                           ;   in Loop: Header=BB329_819 Depth=1
	s_delay_alu instid0(SALU_CYCLE_1) | instskip(SKIP_2) | instid1(VALU_DEP_1)
	s_or_b32 exec_lo, exec_lo, s18
	v_lshrrev_b16 v2, 8, v48
	s_mov_b32 s18, exec_lo
	v_cmpx_ne_u16_e32 0, v2
	s_cbranch_execz .LBB329_1166
; %bb.1159:                             ;   in Loop: Header=BB329_819 Depth=1
	v_bfrev_b32_e32 v1, 1
	s_mov_b32 s19, exec_lo
	v_cmpx_ne_u16_e32 0x80, v2
	s_cbranch_execz .LBB329_1165
; %bb.1160:                             ;   in Loop: Header=BB329_819 Depth=1
	v_and_b32_e32 v3, 0xffff, v2
	v_mov_b32_e32 v1, 0x7f800001
	s_mov_b32 s20, exec_lo
	s_delay_alu instid0(VALU_DEP_2) | instskip(NEXT) | instid1(VALU_DEP_1)
	v_and_b32_e32 v2, 0x7f, v3
	v_cmpx_ne_u32_e32 0x7f, v2
	s_cbranch_execz .LBB329_1164
; %bb.1161:                             ;   in Loop: Header=BB329_819 Depth=1
	v_dual_lshrrev_b32 v1, 3, v2 :: v_dual_bitop2_b32 v26, 7, v3 bitop3:0x40
	s_mov_b32 s21, exec_lo
	v_cmpx_gt_u32_e32 8, v2
; %bb.1162:                             ;   in Loop: Header=BB329_819 Depth=1
	s_delay_alu instid0(VALU_DEP_2) | instskip(NEXT) | instid1(VALU_DEP_1)
	v_clz_i32_u32_e32 v1, v26
	v_min_u32_e32 v1, 32, v1
	s_delay_alu instid0(VALU_DEP_1) | instskip(NEXT) | instid1(VALU_DEP_1)
	v_subrev_nc_u32_e32 v2, 28, v1
	v_lshlrev_b64_e32 v[2:3], v2, v[26:27]
	s_delay_alu instid0(VALU_DEP_1)
	v_dual_sub_nc_u32 v1, 29, v1 :: v_dual_bitop2_b32 v26, 7, v2 bitop3:0x40
; %bb.1163:                             ;   in Loop: Header=BB329_819 Depth=1
	s_or_b32 exec_lo, exec_lo, s21
	s_delay_alu instid0(VALU_DEP_1) | instskip(NEXT) | instid1(VALU_DEP_2)
	v_dual_lshlrev_b32 v2, 16, v48 :: v_dual_lshlrev_b32 v3, 20, v26
	v_lshl_add_u32 v1, v1, 23, 0x3c000000
	s_delay_alu instid0(VALU_DEP_2) | instskip(NEXT) | instid1(VALU_DEP_1)
	v_and_b32_e32 v2, 0x80000000, v2
	v_or3_b32 v1, v3, v2, v1
.LBB329_1164:                           ;   in Loop: Header=BB329_819 Depth=1
	s_or_b32 exec_lo, exec_lo, s20
.LBB329_1165:                           ;   in Loop: Header=BB329_819 Depth=1
	s_delay_alu instid0(SALU_CYCLE_1)
	s_or_b32 exec_lo, exec_lo, s19
.LBB329_1166:                           ;   in Loop: Header=BB329_819 Depth=1
	s_delay_alu instid0(SALU_CYCLE_1) | instskip(SKIP_3) | instid1(VALU_DEP_2)
	s_or_b32 exec_lo, exec_lo, s18
	v_dual_mov_b32 v17, 0 :: v_dual_lshrrev_b32 v2, 16, v48
	v_mov_b32_e32 v16, 0
	s_mov_b32 s18, exec_lo
	v_and_b32_e32 v3, 0xff, v2
	s_delay_alu instid0(VALU_DEP_1)
	v_cmpx_ne_u16_e32 0, v3
	s_cbranch_execz .LBB329_1174
; %bb.1167:                             ;   in Loop: Header=BB329_819 Depth=1
	v_bfrev_b32_e32 v16, 1
	s_mov_b32 s19, exec_lo
	v_cmpx_ne_u16_e32 0x80, v3
	s_cbranch_execz .LBB329_1173
; %bb.1168:                             ;   in Loop: Header=BB329_819 Depth=1
	v_bfe_u32 v4, v48, 16, 7
	v_mov_b32_e32 v16, 0x7f800001
	s_mov_b32 s20, exec_lo
	s_delay_alu instid0(VALU_DEP_2)
	v_cmpx_ne_u32_e32 0x7f, v4
	s_cbranch_execz .LBB329_1172
; %bb.1169:                             ;   in Loop: Header=BB329_819 Depth=1
	v_dual_lshrrev_b32 v3, 3, v4 :: v_dual_bitop2_b32 v26, 7, v2 bitop3:0x40
	s_mov_b32 s21, exec_lo
	v_cmpx_gt_u32_e32 8, v4
; %bb.1170:                             ;   in Loop: Header=BB329_819 Depth=1
	s_delay_alu instid0(VALU_DEP_2) | instskip(NEXT) | instid1(VALU_DEP_1)
	v_clz_i32_u32_e32 v3, v26
	v_min_u32_e32 v3, 32, v3
	s_delay_alu instid0(VALU_DEP_1) | instskip(NEXT) | instid1(VALU_DEP_1)
	v_subrev_nc_u32_e32 v4, 28, v3
	v_lshlrev_b64_e32 v[4:5], v4, v[26:27]
	s_delay_alu instid0(VALU_DEP_1)
	v_dual_sub_nc_u32 v3, 29, v3 :: v_dual_bitop2_b32 v26, 7, v4 bitop3:0x40
; %bb.1171:                             ;   in Loop: Header=BB329_819 Depth=1
	s_or_b32 exec_lo, exec_lo, s21
	v_lshlrev_b32_e32 v2, 24, v2
	s_delay_alu instid0(VALU_DEP_2) | instskip(NEXT) | instid1(VALU_DEP_3)
	v_lshlrev_b32_e32 v4, 20, v26
	v_lshl_add_u32 v3, v3, 23, 0x3c000000
	s_delay_alu instid0(VALU_DEP_3) | instskip(NEXT) | instid1(VALU_DEP_1)
	v_and_b32_e32 v2, 0x80000000, v2
	v_or3_b32 v16, v4, v2, v3
.LBB329_1172:                           ;   in Loop: Header=BB329_819 Depth=1
	s_or_b32 exec_lo, exec_lo, s20
.LBB329_1173:                           ;   in Loop: Header=BB329_819 Depth=1
	s_delay_alu instid0(SALU_CYCLE_1)
	s_or_b32 exec_lo, exec_lo, s19
.LBB329_1174:                           ;   in Loop: Header=BB329_819 Depth=1
	s_delay_alu instid0(SALU_CYCLE_1) | instskip(NEXT) | instid1(SALU_CYCLE_1)
	s_or_b32 exec_lo, exec_lo, s18
	s_mov_b32 s18, exec_lo
	v_cmpx_lt_u32_e32 0xffffff, v48
	s_cbranch_execz .LBB329_1182
; %bb.1175:                             ;   in Loop: Header=BB329_819 Depth=1
	v_lshrrev_b32_e32 v2, 24, v48
	v_bfrev_b32_e32 v17, 1
	s_mov_b32 s19, exec_lo
	s_delay_alu instid0(VALU_DEP_2)
	v_cmpx_ne_u32_e32 0x80, v2
	s_cbranch_execz .LBB329_1181
; %bb.1176:                             ;   in Loop: Header=BB329_819 Depth=1
	v_bfe_u32 v4, v48, 24, 7
	v_mov_b32_e32 v17, 0x7f800001
	s_mov_b32 s20, exec_lo
	s_delay_alu instid0(VALU_DEP_2)
	v_cmpx_ne_u32_e32 0x7f, v4
	s_cbranch_execz .LBB329_1180
; %bb.1177:                             ;   in Loop: Header=BB329_819 Depth=1
	v_dual_lshrrev_b32 v3, 3, v4 :: v_dual_bitop2_b32 v26, 7, v2 bitop3:0x40
	s_mov_b32 s21, exec_lo
	v_cmpx_gt_u32_e32 8, v4
; %bb.1178:                             ;   in Loop: Header=BB329_819 Depth=1
	s_delay_alu instid0(VALU_DEP_2) | instskip(NEXT) | instid1(VALU_DEP_1)
	v_clz_i32_u32_e32 v3, v26
	v_min_u32_e32 v3, 32, v3
	s_delay_alu instid0(VALU_DEP_1) | instskip(NEXT) | instid1(VALU_DEP_1)
	v_subrev_nc_u32_e32 v4, 28, v3
	v_lshlrev_b64_e32 v[4:5], v4, v[26:27]
	s_delay_alu instid0(VALU_DEP_1)
	v_dual_sub_nc_u32 v3, 29, v3 :: v_dual_bitop2_b32 v26, 7, v4 bitop3:0x40
; %bb.1179:                             ;   in Loop: Header=BB329_819 Depth=1
	s_or_b32 exec_lo, exec_lo, s21
	v_lshlrev_b32_e32 v2, 24, v2
	s_delay_alu instid0(VALU_DEP_2) | instskip(NEXT) | instid1(VALU_DEP_3)
	v_lshlrev_b32_e32 v4, 20, v26
	v_lshl_add_u32 v3, v3, 23, 0x3c000000
	s_delay_alu instid0(VALU_DEP_3) | instskip(NEXT) | instid1(VALU_DEP_1)
	v_and_b32_e32 v2, 0x80000000, v2
	v_or3_b32 v17, v4, v2, v3
.LBB329_1180:                           ;   in Loop: Header=BB329_819 Depth=1
	s_or_b32 exec_lo, exec_lo, s20
.LBB329_1181:                           ;   in Loop: Header=BB329_819 Depth=1
	s_delay_alu instid0(SALU_CYCLE_1)
	s_or_b32 exec_lo, exec_lo, s19
.LBB329_1182:                           ;   in Loop: Header=BB329_819 Depth=1
	s_delay_alu instid0(SALU_CYCLE_1) | instskip(SKIP_4) | instid1(VALU_DEP_3)
	s_or_b32 exec_lo, exec_lo, s18
	v_and_b32_e32 v4, 0xff, v49
	v_dual_mov_b32 v26, v49 :: v_dual_mov_b32 v3, 0
	v_mov_b32_e32 v2, 0
	s_mov_b32 s18, exec_lo
	v_cmpx_ne_u16_e32 0, v4
	s_cbranch_execz .LBB329_1190
; %bb.1183:                             ;   in Loop: Header=BB329_819 Depth=1
	v_bfrev_b32_e32 v2, 1
	s_mov_b32 s19, exec_lo
	v_cmpx_ne_u16_e32 0x80, v4
	s_cbranch_execz .LBB329_1189
; %bb.1184:                             ;   in Loop: Header=BB329_819 Depth=1
	v_and_b32_e32 v4, 0x7f, v49
	v_mov_b32_e32 v2, 0x7f800001
	s_mov_b32 s20, exec_lo
	s_delay_alu instid0(VALU_DEP_2)
	v_cmpx_ne_u32_e32 0x7f, v4
	s_cbranch_execz .LBB329_1188
; %bb.1185:                             ;   in Loop: Header=BB329_819 Depth=1
	v_mov_b64_e32 v[50:51], v[26:27]
	v_lshrrev_b32_e32 v2, 3, v4
	s_mov_b32 s21, exec_lo
	v_cmpx_gt_u32_e32 8, v4
; %bb.1186:                             ;   in Loop: Header=BB329_819 Depth=1
	v_and_b32_e32 v2, 7, v49
	s_delay_alu instid0(VALU_DEP_1) | instskip(NEXT) | instid1(VALU_DEP_1)
	v_clz_i32_u32_e32 v2, v2
	v_min_u32_e32 v2, 32, v2
	s_delay_alu instid0(VALU_DEP_1) | instskip(SKIP_1) | instid1(VALU_DEP_2)
	v_subrev_nc_u32_e32 v4, 28, v2
	v_sub_nc_u32_e32 v2, 29, v2
	v_lshlrev_b64_e32 v[50:51], v4, v[26:27]
; %bb.1187:                             ;   in Loop: Header=BB329_819 Depth=1
	s_or_b32 exec_lo, exec_lo, s21
	s_delay_alu instid0(VALU_DEP_1) | instskip(SKIP_2) | instid1(VALU_DEP_3)
	v_lshlrev_b32_e32 v4, 20, v50
	v_lshlrev_b32_e32 v5, 24, v26
	v_lshl_add_u32 v2, v2, 23, 0x3c000000
	v_and_b32_e32 v4, 0x700000, v4
	s_delay_alu instid0(VALU_DEP_3) | instskip(NEXT) | instid1(VALU_DEP_1)
	v_and_b32_e32 v5, 0x80000000, v5
	v_or3_b32 v2, v4, v5, v2
.LBB329_1188:                           ;   in Loop: Header=BB329_819 Depth=1
	s_or_b32 exec_lo, exec_lo, s20
.LBB329_1189:                           ;   in Loop: Header=BB329_819 Depth=1
	s_delay_alu instid0(SALU_CYCLE_1)
	s_or_b32 exec_lo, exec_lo, s19
.LBB329_1190:                           ;   in Loop: Header=BB329_819 Depth=1
	s_delay_alu instid0(SALU_CYCLE_1) | instskip(SKIP_2) | instid1(VALU_DEP_1)
	s_or_b32 exec_lo, exec_lo, s18
	v_lshrrev_b16 v4, 8, v26
	s_mov_b32 s18, exec_lo
	v_cmpx_ne_u16_e32 0, v4
	s_cbranch_execz .LBB329_1198
; %bb.1191:                             ;   in Loop: Header=BB329_819 Depth=1
	v_bfrev_b32_e32 v3, 1
	s_mov_b32 s19, exec_lo
	v_cmpx_ne_u16_e32 0x80, v4
	s_cbranch_execz .LBB329_1197
; %bb.1192:                             ;   in Loop: Header=BB329_819 Depth=1
	v_and_b32_e32 v5, 0xffff, v4
	v_mov_b32_e32 v3, 0x7f800001
	s_mov_b32 s20, exec_lo
	s_delay_alu instid0(VALU_DEP_2) | instskip(NEXT) | instid1(VALU_DEP_1)
	v_and_b32_e32 v4, 0x7f, v5
	v_cmpx_ne_u32_e32 0x7f, v4
	s_cbranch_execz .LBB329_1196
; %bb.1193:                             ;   in Loop: Header=BB329_819 Depth=1
	v_dual_mov_b32 v51, v27 :: v_dual_bitop2_b32 v50, 7, v5 bitop3:0x40
	v_lshrrev_b32_e32 v3, 3, v4
	s_mov_b32 s21, exec_lo
	v_cmpx_gt_u32_e32 8, v4
; %bb.1194:                             ;   in Loop: Header=BB329_819 Depth=1
	s_delay_alu instid0(VALU_DEP_3) | instskip(NEXT) | instid1(VALU_DEP_1)
	v_clz_i32_u32_e32 v3, v50
	v_min_u32_e32 v3, 32, v3
	s_delay_alu instid0(VALU_DEP_1) | instskip(NEXT) | instid1(VALU_DEP_1)
	v_subrev_nc_u32_e32 v4, 28, v3
	v_lshlrev_b64_e32 v[4:5], v4, v[50:51]
	s_delay_alu instid0(VALU_DEP_1)
	v_dual_sub_nc_u32 v3, 29, v3 :: v_dual_bitop2_b32 v50, 7, v4 bitop3:0x40
; %bb.1195:                             ;   in Loop: Header=BB329_819 Depth=1
	s_or_b32 exec_lo, exec_lo, s21
	v_lshlrev_b32_e32 v4, 16, v26
	s_delay_alu instid0(VALU_DEP_2) | instskip(NEXT) | instid1(VALU_DEP_3)
	v_lshlrev_b32_e32 v5, 20, v50
	v_lshl_add_u32 v3, v3, 23, 0x3c000000
	s_delay_alu instid0(VALU_DEP_3) | instskip(NEXT) | instid1(VALU_DEP_1)
	v_and_b32_e32 v4, 0x80000000, v4
	v_or3_b32 v3, v5, v4, v3
.LBB329_1196:                           ;   in Loop: Header=BB329_819 Depth=1
	s_or_b32 exec_lo, exec_lo, s20
.LBB329_1197:                           ;   in Loop: Header=BB329_819 Depth=1
	s_delay_alu instid0(SALU_CYCLE_1)
	s_or_b32 exec_lo, exec_lo, s19
.LBB329_1198:                           ;   in Loop: Header=BB329_819 Depth=1
	s_delay_alu instid0(SALU_CYCLE_1) | instskip(SKIP_3) | instid1(VALU_DEP_2)
	s_or_b32 exec_lo, exec_lo, s18
	v_dual_lshrrev_b32 v6, 16, v49 :: v_dual_mov_b32 v4, 0
	v_mov_b32_e32 v5, 0
	s_mov_b32 s18, exec_lo
	v_and_b32_e32 v7, 0xff, v6
	s_delay_alu instid0(VALU_DEP_1)
	v_cmpx_ne_u16_e32 0, v7
	s_cbranch_execz .LBB329_1206
; %bb.1199:                             ;   in Loop: Header=BB329_819 Depth=1
	v_bfrev_b32_e32 v5, 1
	s_mov_b32 s19, exec_lo
	v_cmpx_ne_u16_e32 0x80, v7
	s_cbranch_execz .LBB329_1205
; %bb.1200:                             ;   in Loop: Header=BB329_819 Depth=1
	v_bfe_u32 v7, v49, 16, 7
	v_mov_b32_e32 v5, 0x7f800001
	s_mov_b32 s20, exec_lo
	s_delay_alu instid0(VALU_DEP_2)
	v_cmpx_ne_u32_e32 0x7f, v7
	s_cbranch_execz .LBB329_1204
; %bb.1201:                             ;   in Loop: Header=BB329_819 Depth=1
	v_dual_lshrrev_b32 v5, 3, v7 :: v_dual_bitop2_b32 v26, 7, v6 bitop3:0x40
	s_mov_b32 s21, exec_lo
	v_cmpx_gt_u32_e32 8, v7
; %bb.1202:                             ;   in Loop: Header=BB329_819 Depth=1
	s_delay_alu instid0(VALU_DEP_2) | instskip(NEXT) | instid1(VALU_DEP_1)
	v_clz_i32_u32_e32 v5, v26
	v_min_u32_e32 v5, 32, v5
	s_delay_alu instid0(VALU_DEP_1) | instskip(NEXT) | instid1(VALU_DEP_1)
	v_subrev_nc_u32_e32 v7, 28, v5
	v_lshlrev_b64_e32 v[8:9], v7, v[26:27]
	s_delay_alu instid0(VALU_DEP_1)
	v_dual_sub_nc_u32 v5, 29, v5 :: v_dual_bitop2_b32 v26, 7, v8 bitop3:0x40
; %bb.1203:                             ;   in Loop: Header=BB329_819 Depth=1
	s_or_b32 exec_lo, exec_lo, s21
	v_lshlrev_b32_e32 v6, 24, v6
	s_delay_alu instid0(VALU_DEP_2) | instskip(NEXT) | instid1(VALU_DEP_3)
	v_lshlrev_b32_e32 v7, 20, v26
	v_lshl_add_u32 v5, v5, 23, 0x3c000000
	s_delay_alu instid0(VALU_DEP_3) | instskip(NEXT) | instid1(VALU_DEP_1)
	v_and_b32_e32 v6, 0x80000000, v6
	v_or3_b32 v5, v7, v6, v5
.LBB329_1204:                           ;   in Loop: Header=BB329_819 Depth=1
	s_or_b32 exec_lo, exec_lo, s20
.LBB329_1205:                           ;   in Loop: Header=BB329_819 Depth=1
	s_delay_alu instid0(SALU_CYCLE_1)
	s_or_b32 exec_lo, exec_lo, s19
.LBB329_1206:                           ;   in Loop: Header=BB329_819 Depth=1
	s_delay_alu instid0(SALU_CYCLE_1) | instskip(NEXT) | instid1(SALU_CYCLE_1)
	s_or_b32 exec_lo, exec_lo, s18
	s_mov_b32 s18, exec_lo
	v_cmpx_lt_u64_e64 s[2:3], v[48:49]
	s_cbranch_execz .LBB329_1214
; %bb.1207:                             ;   in Loop: Header=BB329_819 Depth=1
	v_lshrrev_b32_e32 v6, 24, v49
	v_bfrev_b32_e32 v4, 1
	s_mov_b32 s19, exec_lo
	s_delay_alu instid0(VALU_DEP_2)
	v_cmpx_ne_u32_e32 0x80, v6
	s_cbranch_execz .LBB329_1213
; %bb.1208:                             ;   in Loop: Header=BB329_819 Depth=1
	v_bfe_u32 v7, v49, 24, 7
	v_mov_b32_e32 v4, 0x7f800001
	s_mov_b32 s20, exec_lo
	s_delay_alu instid0(VALU_DEP_2)
	v_cmpx_ne_u32_e32 0x7f, v7
	s_cbranch_execz .LBB329_1212
; %bb.1209:                             ;   in Loop: Header=BB329_819 Depth=1
	v_dual_lshrrev_b32 v4, 3, v7 :: v_dual_bitop2_b32 v26, 7, v6 bitop3:0x40
	s_mov_b32 s21, exec_lo
	v_cmpx_gt_u32_e32 8, v7
; %bb.1210:                             ;   in Loop: Header=BB329_819 Depth=1
	s_delay_alu instid0(VALU_DEP_2) | instskip(NEXT) | instid1(VALU_DEP_1)
	v_clz_i32_u32_e32 v4, v26
	v_min_u32_e32 v4, 32, v4
	s_delay_alu instid0(VALU_DEP_1) | instskip(SKIP_1) | instid1(VALU_DEP_2)
	v_subrev_nc_u32_e32 v7, 28, v4
	v_sub_nc_u32_e32 v4, 29, v4
	v_lshlrev_b64_e32 v[8:9], v7, v[26:27]
	s_delay_alu instid0(VALU_DEP_1)
	v_and_b32_e32 v26, 7, v8
; %bb.1211:                             ;   in Loop: Header=BB329_819 Depth=1
	s_or_b32 exec_lo, exec_lo, s21
	v_lshlrev_b32_e32 v6, 24, v6
	s_delay_alu instid0(VALU_DEP_2) | instskip(SKIP_1) | instid1(VALU_DEP_3)
	v_lshlrev_b32_e32 v7, 20, v26
	v_lshl_add_u32 v4, v4, 23, 0x3c000000
	v_and_b32_e32 v6, 0x80000000, v6
	s_delay_alu instid0(VALU_DEP_1)
	v_or3_b32 v4, v7, v6, v4
.LBB329_1212:                           ;   in Loop: Header=BB329_819 Depth=1
	s_or_b32 exec_lo, exec_lo, s20
.LBB329_1213:                           ;   in Loop: Header=BB329_819 Depth=1
	s_delay_alu instid0(SALU_CYCLE_1)
	s_or_b32 exec_lo, exec_lo, s19
.LBB329_1214:                           ;   in Loop: Header=BB329_819 Depth=1
	s_delay_alu instid0(SALU_CYCLE_1)
	s_or_b32 exec_lo, exec_lo, s18
	v_fma_mixlo_bf16 v91, v82, v3, 0
	v_fma_mixlo_bf16 v92, v82, v2, 0
	;; [unrolled: 1-line block ×8, first 2 shown]
	s_and_saveexec_b32 s18, vcc_lo
	s_cbranch_execz .LBB329_1216
; %bb.1215:                             ;   in Loop: Header=BB329_819 Depth=1
	v_cmp_lt_i32_e64 s0, v118, v99
	s_delay_alu instid0(VALU_DEP_1) | instskip(SKIP_1) | instid1(VALU_DEP_1)
	v_cndmask_b32_e64 v106, 0, v106, s0
	v_cmp_lt_i32_e64 s0, v42, v99
	v_cndmask_b32_e64 v105, 0, v105, s0
	v_cmp_lt_i32_e64 s0, v41, v99
	s_delay_alu instid0(VALU_DEP_1) | instskip(SKIP_1) | instid1(VALU_DEP_1)
	v_cndmask_b32_e64 v104, 0, v104, s0
	v_cmp_lt_i32_e64 s0, v40, v99
	v_cndmask_b32_e64 v95, 0, v95, s0
	v_cmp_lt_i32_e64 s0, v119, v99
	s_delay_alu instid0(VALU_DEP_1) | instskip(SKIP_1) | instid1(VALU_DEP_1)
	v_cndmask_b32_e64 v92, 0, v92, s0
	v_cmp_lt_i32_e64 s0, v117, v99
	v_cndmask_b32_e64 v91, 0, v91, s0
	v_cmp_lt_i32_e64 s0, v116, v99
	s_delay_alu instid0(VALU_DEP_1) | instskip(SKIP_1) | instid1(VALU_DEP_1)
	v_cndmask_b32_e64 v93, 0, v93, s0
	v_cmp_lt_i32_e64 s0, v115, v99
	v_cndmask_b32_e64 v94, 0, v94, s0
.LBB329_1216:                           ;   in Loop: Header=BB329_819 Depth=1
	s_or_b32 exec_lo, exec_lo, s18
	flat_load_b64 v[48:49], v[38:39] offset:1536
	v_dual_mov_b32 v16, 0 :: v_dual_mov_b32 v0, 0
	s_mov_b32 s18, exec_lo
	s_wait_loadcnt_dscnt 0x0
	v_and_b32_e32 v1, 0xff, v48
	s_wait_xcnt 0x0
	s_delay_alu instid0(VALU_DEP_1)
	v_cmpx_ne_u16_e32 0, v1
	s_cbranch_execz .LBB329_1224
; %bb.1217:                             ;   in Loop: Header=BB329_819 Depth=1
	v_bfrev_b32_e32 v0, 1
	s_mov_b32 s19, exec_lo
	v_cmpx_ne_u16_e32 0x80, v1
	s_cbranch_execz .LBB329_1223
; %bb.1218:                             ;   in Loop: Header=BB329_819 Depth=1
	v_and_b32_e32 v1, 0x7f, v48
	v_mov_b32_e32 v0, 0x7f800001
	s_mov_b32 s20, exec_lo
	s_delay_alu instid0(VALU_DEP_2)
	v_cmpx_ne_u32_e32 0x7f, v1
	s_cbranch_execz .LBB329_1222
; %bb.1219:                             ;   in Loop: Header=BB329_819 Depth=1
	v_mov_b64_e32 v[50:51], v[48:49]
	v_lshrrev_b32_e32 v0, 3, v1
	s_mov_b32 s21, exec_lo
	v_cmpx_gt_u32_e32 8, v1
; %bb.1220:                             ;   in Loop: Header=BB329_819 Depth=1
	v_and_b32_e32 v0, 7, v48
	s_delay_alu instid0(VALU_DEP_1) | instskip(NEXT) | instid1(VALU_DEP_1)
	v_clz_i32_u32_e32 v0, v0
	v_min_u32_e32 v0, 32, v0
	s_delay_alu instid0(VALU_DEP_1) | instskip(SKIP_1) | instid1(VALU_DEP_2)
	v_subrev_nc_u32_e32 v1, 28, v0
	v_sub_nc_u32_e32 v0, 29, v0
	v_lshlrev_b64_e32 v[50:51], v1, v[48:49]
; %bb.1221:                             ;   in Loop: Header=BB329_819 Depth=1
	s_or_b32 exec_lo, exec_lo, s21
	s_delay_alu instid0(VALU_DEP_1) | instskip(NEXT) | instid1(VALU_DEP_3)
	v_dual_lshlrev_b32 v1, 20, v50 :: v_dual_lshlrev_b32 v2, 24, v48
	v_lshl_add_u32 v0, v0, 23, 0x3c000000
	s_delay_alu instid0(VALU_DEP_2) | instskip(NEXT) | instid1(VALU_DEP_3)
	v_and_b32_e32 v1, 0x700000, v1
	v_and_b32_e32 v2, 0x80000000, v2
	s_delay_alu instid0(VALU_DEP_1)
	v_or3_b32 v0, v1, v2, v0
.LBB329_1222:                           ;   in Loop: Header=BB329_819 Depth=1
	s_or_b32 exec_lo, exec_lo, s20
.LBB329_1223:                           ;   in Loop: Header=BB329_819 Depth=1
	s_delay_alu instid0(SALU_CYCLE_1)
	s_or_b32 exec_lo, exec_lo, s19
.LBB329_1224:                           ;   in Loop: Header=BB329_819 Depth=1
	s_delay_alu instid0(SALU_CYCLE_1) | instskip(SKIP_2) | instid1(VALU_DEP_1)
	s_or_b32 exec_lo, exec_lo, s18
	v_lshrrev_b16 v1, 8, v48
	s_mov_b32 s18, exec_lo
	v_cmpx_ne_u16_e32 0, v1
	s_cbranch_execz .LBB329_1232
; %bb.1225:                             ;   in Loop: Header=BB329_819 Depth=1
	v_bfrev_b32_e32 v16, 1
	s_mov_b32 s19, exec_lo
	v_cmpx_ne_u16_e32 0x80, v1
	s_cbranch_execz .LBB329_1231
; %bb.1226:                             ;   in Loop: Header=BB329_819 Depth=1
	v_and_b32_e32 v1, 0xffff, v1
	v_mov_b32_e32 v16, 0x7f800001
	s_mov_b32 s20, exec_lo
	s_delay_alu instid0(VALU_DEP_2) | instskip(NEXT) | instid1(VALU_DEP_1)
	v_and_b32_e32 v2, 0x7f, v1
	v_cmpx_ne_u32_e32 0x7f, v2
	s_cbranch_execz .LBB329_1230
; %bb.1227:                             ;   in Loop: Header=BB329_819 Depth=1
	v_dual_lshrrev_b32 v1, 3, v2 :: v_dual_bitop2_b32 v26, 7, v1 bitop3:0x40
	s_mov_b32 s21, exec_lo
	v_cmpx_gt_u32_e32 8, v2
; %bb.1228:                             ;   in Loop: Header=BB329_819 Depth=1
	s_delay_alu instid0(VALU_DEP_2) | instskip(NEXT) | instid1(VALU_DEP_1)
	v_clz_i32_u32_e32 v1, v26
	v_min_u32_e32 v1, 32, v1
	s_delay_alu instid0(VALU_DEP_1) | instskip(NEXT) | instid1(VALU_DEP_1)
	v_subrev_nc_u32_e32 v2, 28, v1
	v_lshlrev_b64_e32 v[2:3], v2, v[26:27]
	s_delay_alu instid0(VALU_DEP_1)
	v_dual_sub_nc_u32 v1, 29, v1 :: v_dual_bitop2_b32 v26, 7, v2 bitop3:0x40
; %bb.1229:                             ;   in Loop: Header=BB329_819 Depth=1
	s_or_b32 exec_lo, exec_lo, s21
	s_delay_alu instid0(VALU_DEP_1) | instskip(NEXT) | instid1(VALU_DEP_2)
	v_dual_lshlrev_b32 v2, 16, v48 :: v_dual_lshlrev_b32 v3, 20, v26
	v_lshl_add_u32 v1, v1, 23, 0x3c000000
	s_delay_alu instid0(VALU_DEP_2) | instskip(NEXT) | instid1(VALU_DEP_1)
	v_and_b32_e32 v2, 0x80000000, v2
	v_or3_b32 v16, v3, v2, v1
.LBB329_1230:                           ;   in Loop: Header=BB329_819 Depth=1
	s_or_b32 exec_lo, exec_lo, s20
.LBB329_1231:                           ;   in Loop: Header=BB329_819 Depth=1
	s_delay_alu instid0(SALU_CYCLE_1)
	s_or_b32 exec_lo, exec_lo, s19
.LBB329_1232:                           ;   in Loop: Header=BB329_819 Depth=1
	s_delay_alu instid0(SALU_CYCLE_1) | instskip(SKIP_3) | instid1(VALU_DEP_2)
	s_or_b32 exec_lo, exec_lo, s18
	v_dual_mov_b32 v18, 0 :: v_dual_lshrrev_b32 v1, 16, v48
	v_mov_b32_e32 v17, 0
	s_mov_b32 s18, exec_lo
	v_and_b32_e32 v2, 0xff, v1
	s_delay_alu instid0(VALU_DEP_1)
	v_cmpx_ne_u16_e32 0, v2
	s_cbranch_execz .LBB329_1240
; %bb.1233:                             ;   in Loop: Header=BB329_819 Depth=1
	v_bfrev_b32_e32 v17, 1
	s_mov_b32 s19, exec_lo
	v_cmpx_ne_u16_e32 0x80, v2
	s_cbranch_execz .LBB329_1239
; %bb.1234:                             ;   in Loop: Header=BB329_819 Depth=1
	v_bfe_u32 v3, v48, 16, 7
	v_mov_b32_e32 v17, 0x7f800001
	s_mov_b32 s20, exec_lo
	s_delay_alu instid0(VALU_DEP_2)
	v_cmpx_ne_u32_e32 0x7f, v3
	s_cbranch_execz .LBB329_1238
; %bb.1235:                             ;   in Loop: Header=BB329_819 Depth=1
	v_dual_lshrrev_b32 v2, 3, v3 :: v_dual_bitop2_b32 v26, 7, v1 bitop3:0x40
	s_mov_b32 s21, exec_lo
	v_cmpx_gt_u32_e32 8, v3
; %bb.1236:                             ;   in Loop: Header=BB329_819 Depth=1
	s_delay_alu instid0(VALU_DEP_2) | instskip(NEXT) | instid1(VALU_DEP_1)
	v_clz_i32_u32_e32 v2, v26
	v_min_u32_e32 v2, 32, v2
	s_delay_alu instid0(VALU_DEP_1) | instskip(NEXT) | instid1(VALU_DEP_1)
	v_subrev_nc_u32_e32 v3, 28, v2
	v_lshlrev_b64_e32 v[4:5], v3, v[26:27]
	s_delay_alu instid0(VALU_DEP_1)
	v_dual_sub_nc_u32 v2, 29, v2 :: v_dual_bitop2_b32 v26, 7, v4 bitop3:0x40
; %bb.1237:                             ;   in Loop: Header=BB329_819 Depth=1
	s_or_b32 exec_lo, exec_lo, s21
	s_delay_alu instid0(VALU_DEP_1) | instskip(NEXT) | instid1(VALU_DEP_2)
	v_dual_lshlrev_b32 v1, 24, v1 :: v_dual_lshlrev_b32 v3, 20, v26
	v_lshl_add_u32 v2, v2, 23, 0x3c000000
	s_delay_alu instid0(VALU_DEP_2) | instskip(NEXT) | instid1(VALU_DEP_1)
	v_and_b32_e32 v1, 0x80000000, v1
	v_or3_b32 v17, v3, v1, v2
.LBB329_1238:                           ;   in Loop: Header=BB329_819 Depth=1
	s_or_b32 exec_lo, exec_lo, s20
.LBB329_1239:                           ;   in Loop: Header=BB329_819 Depth=1
	s_delay_alu instid0(SALU_CYCLE_1)
	s_or_b32 exec_lo, exec_lo, s19
.LBB329_1240:                           ;   in Loop: Header=BB329_819 Depth=1
	s_delay_alu instid0(SALU_CYCLE_1) | instskip(NEXT) | instid1(SALU_CYCLE_1)
	s_or_b32 exec_lo, exec_lo, s18
	s_mov_b32 s18, exec_lo
	v_cmpx_lt_u32_e32 0xffffff, v48
	s_cbranch_execz .LBB329_1248
; %bb.1241:                             ;   in Loop: Header=BB329_819 Depth=1
	v_lshrrev_b32_e32 v1, 24, v48
	v_bfrev_b32_e32 v18, 1
	s_mov_b32 s19, exec_lo
	s_delay_alu instid0(VALU_DEP_2)
	v_cmpx_ne_u32_e32 0x80, v1
	s_cbranch_execz .LBB329_1247
; %bb.1242:                             ;   in Loop: Header=BB329_819 Depth=1
	v_bfe_u32 v3, v48, 24, 7
	v_mov_b32_e32 v18, 0x7f800001
	s_mov_b32 s20, exec_lo
	s_delay_alu instid0(VALU_DEP_2)
	v_cmpx_ne_u32_e32 0x7f, v3
	s_cbranch_execz .LBB329_1246
; %bb.1243:                             ;   in Loop: Header=BB329_819 Depth=1
	v_dual_lshrrev_b32 v2, 3, v3 :: v_dual_bitop2_b32 v26, 7, v1 bitop3:0x40
	s_mov_b32 s21, exec_lo
	v_cmpx_gt_u32_e32 8, v3
; %bb.1244:                             ;   in Loop: Header=BB329_819 Depth=1
	s_delay_alu instid0(VALU_DEP_2) | instskip(NEXT) | instid1(VALU_DEP_1)
	v_clz_i32_u32_e32 v2, v26
	v_min_u32_e32 v2, 32, v2
	s_delay_alu instid0(VALU_DEP_1) | instskip(NEXT) | instid1(VALU_DEP_1)
	v_subrev_nc_u32_e32 v3, 28, v2
	v_lshlrev_b64_e32 v[4:5], v3, v[26:27]
	s_delay_alu instid0(VALU_DEP_1)
	v_dual_sub_nc_u32 v2, 29, v2 :: v_dual_bitop2_b32 v26, 7, v4 bitop3:0x40
; %bb.1245:                             ;   in Loop: Header=BB329_819 Depth=1
	s_or_b32 exec_lo, exec_lo, s21
	s_delay_alu instid0(VALU_DEP_1) | instskip(NEXT) | instid1(VALU_DEP_2)
	v_dual_lshlrev_b32 v1, 24, v1 :: v_dual_lshlrev_b32 v3, 20, v26
	v_lshl_add_u32 v2, v2, 23, 0x3c000000
	s_delay_alu instid0(VALU_DEP_2) | instskip(NEXT) | instid1(VALU_DEP_1)
	v_and_b32_e32 v1, 0x80000000, v1
	v_or3_b32 v18, v3, v1, v2
.LBB329_1246:                           ;   in Loop: Header=BB329_819 Depth=1
	s_or_b32 exec_lo, exec_lo, s20
.LBB329_1247:                           ;   in Loop: Header=BB329_819 Depth=1
	s_delay_alu instid0(SALU_CYCLE_1)
	s_or_b32 exec_lo, exec_lo, s19
.LBB329_1248:                           ;   in Loop: Header=BB329_819 Depth=1
	s_delay_alu instid0(SALU_CYCLE_1) | instskip(SKIP_4) | instid1(VALU_DEP_3)
	s_or_b32 exec_lo, exec_lo, s18
	v_and_b32_e32 v3, 0xff, v49
	v_dual_mov_b32 v26, v49 :: v_dual_mov_b32 v1, 0
	v_mov_b32_e32 v2, 0
	s_mov_b32 s18, exec_lo
	v_cmpx_ne_u16_e32 0, v3
	s_cbranch_execz .LBB329_1256
; %bb.1249:                             ;   in Loop: Header=BB329_819 Depth=1
	v_bfrev_b32_e32 v2, 1
	s_mov_b32 s19, exec_lo
	v_cmpx_ne_u16_e32 0x80, v3
	s_cbranch_execz .LBB329_1255
; %bb.1250:                             ;   in Loop: Header=BB329_819 Depth=1
	v_and_b32_e32 v3, 0x7f, v49
	v_mov_b32_e32 v2, 0x7f800001
	s_mov_b32 s20, exec_lo
	s_delay_alu instid0(VALU_DEP_2)
	v_cmpx_ne_u32_e32 0x7f, v3
	s_cbranch_execz .LBB329_1254
; %bb.1251:                             ;   in Loop: Header=BB329_819 Depth=1
	v_mov_b64_e32 v[50:51], v[26:27]
	v_lshrrev_b32_e32 v2, 3, v3
	s_mov_b32 s21, exec_lo
	v_cmpx_gt_u32_e32 8, v3
; %bb.1252:                             ;   in Loop: Header=BB329_819 Depth=1
	v_and_b32_e32 v2, 7, v49
	s_delay_alu instid0(VALU_DEP_1) | instskip(NEXT) | instid1(VALU_DEP_1)
	v_clz_i32_u32_e32 v2, v2
	v_min_u32_e32 v2, 32, v2
	s_delay_alu instid0(VALU_DEP_1) | instskip(SKIP_1) | instid1(VALU_DEP_2)
	v_subrev_nc_u32_e32 v3, 28, v2
	v_sub_nc_u32_e32 v2, 29, v2
	v_lshlrev_b64_e32 v[50:51], v3, v[26:27]
; %bb.1253:                             ;   in Loop: Header=BB329_819 Depth=1
	s_or_b32 exec_lo, exec_lo, s21
	s_delay_alu instid0(VALU_DEP_1) | instskip(SKIP_2) | instid1(VALU_DEP_3)
	v_lshlrev_b32_e32 v3, 20, v50
	v_lshlrev_b32_e32 v4, 24, v26
	v_lshl_add_u32 v2, v2, 23, 0x3c000000
	v_and_b32_e32 v3, 0x700000, v3
	s_delay_alu instid0(VALU_DEP_3) | instskip(NEXT) | instid1(VALU_DEP_1)
	v_and_b32_e32 v4, 0x80000000, v4
	v_or3_b32 v2, v3, v4, v2
.LBB329_1254:                           ;   in Loop: Header=BB329_819 Depth=1
	s_or_b32 exec_lo, exec_lo, s20
.LBB329_1255:                           ;   in Loop: Header=BB329_819 Depth=1
	s_delay_alu instid0(SALU_CYCLE_1)
	s_or_b32 exec_lo, exec_lo, s19
.LBB329_1256:                           ;   in Loop: Header=BB329_819 Depth=1
	s_delay_alu instid0(SALU_CYCLE_1) | instskip(SKIP_2) | instid1(VALU_DEP_1)
	s_or_b32 exec_lo, exec_lo, s18
	v_lshrrev_b16 v3, 8, v26
	s_mov_b32 s18, exec_lo
	v_cmpx_ne_u16_e32 0, v3
	s_cbranch_execz .LBB329_1264
; %bb.1257:                             ;   in Loop: Header=BB329_819 Depth=1
	v_bfrev_b32_e32 v1, 1
	s_mov_b32 s19, exec_lo
	v_cmpx_ne_u16_e32 0x80, v3
	s_cbranch_execz .LBB329_1263
; %bb.1258:                             ;   in Loop: Header=BB329_819 Depth=1
	v_and_b32_e32 v4, 0xffff, v3
	v_mov_b32_e32 v1, 0x7f800001
	s_mov_b32 s20, exec_lo
	s_delay_alu instid0(VALU_DEP_2) | instskip(NEXT) | instid1(VALU_DEP_1)
	v_and_b32_e32 v3, 0x7f, v4
	v_cmpx_ne_u32_e32 0x7f, v3
	s_cbranch_execz .LBB329_1262
; %bb.1259:                             ;   in Loop: Header=BB329_819 Depth=1
	v_dual_mov_b32 v51, v27 :: v_dual_bitop2_b32 v50, 7, v4 bitop3:0x40
	v_lshrrev_b32_e32 v1, 3, v3
	s_mov_b32 s21, exec_lo
	v_cmpx_gt_u32_e32 8, v3
; %bb.1260:                             ;   in Loop: Header=BB329_819 Depth=1
	s_delay_alu instid0(VALU_DEP_3) | instskip(NEXT) | instid1(VALU_DEP_1)
	v_clz_i32_u32_e32 v1, v50
	v_min_u32_e32 v1, 32, v1
	s_delay_alu instid0(VALU_DEP_1) | instskip(NEXT) | instid1(VALU_DEP_1)
	v_subrev_nc_u32_e32 v3, 28, v1
	v_lshlrev_b64_e32 v[4:5], v3, v[50:51]
	s_delay_alu instid0(VALU_DEP_1)
	v_dual_sub_nc_u32 v1, 29, v1 :: v_dual_bitop2_b32 v50, 7, v4 bitop3:0x40
; %bb.1261:                             ;   in Loop: Header=BB329_819 Depth=1
	s_or_b32 exec_lo, exec_lo, s21
	v_lshlrev_b32_e32 v3, 16, v26
	s_delay_alu instid0(VALU_DEP_2) | instskip(NEXT) | instid1(VALU_DEP_3)
	v_lshlrev_b32_e32 v4, 20, v50
	v_lshl_add_u32 v1, v1, 23, 0x3c000000
	s_delay_alu instid0(VALU_DEP_3) | instskip(NEXT) | instid1(VALU_DEP_1)
	v_and_b32_e32 v3, 0x80000000, v3
	v_or3_b32 v1, v4, v3, v1
.LBB329_1262:                           ;   in Loop: Header=BB329_819 Depth=1
	s_or_b32 exec_lo, exec_lo, s20
.LBB329_1263:                           ;   in Loop: Header=BB329_819 Depth=1
	s_delay_alu instid0(SALU_CYCLE_1)
	s_or_b32 exec_lo, exec_lo, s19
.LBB329_1264:                           ;   in Loop: Header=BB329_819 Depth=1
	s_delay_alu instid0(SALU_CYCLE_1) | instskip(SKIP_3) | instid1(VALU_DEP_2)
	s_or_b32 exec_lo, exec_lo, s18
	v_dual_lshrrev_b32 v5, 16, v49 :: v_dual_mov_b32 v3, 0
	v_mov_b32_e32 v4, 0
	s_mov_b32 s18, exec_lo
	v_and_b32_e32 v6, 0xff, v5
	s_delay_alu instid0(VALU_DEP_1)
	v_cmpx_ne_u16_e32 0, v6
	s_cbranch_execz .LBB329_1272
; %bb.1265:                             ;   in Loop: Header=BB329_819 Depth=1
	v_bfrev_b32_e32 v4, 1
	s_mov_b32 s19, exec_lo
	v_cmpx_ne_u16_e32 0x80, v6
	s_cbranch_execz .LBB329_1271
; %bb.1266:                             ;   in Loop: Header=BB329_819 Depth=1
	v_bfe_u32 v6, v49, 16, 7
	v_mov_b32_e32 v4, 0x7f800001
	s_mov_b32 s20, exec_lo
	s_delay_alu instid0(VALU_DEP_2)
	v_cmpx_ne_u32_e32 0x7f, v6
	s_cbranch_execz .LBB329_1270
; %bb.1267:                             ;   in Loop: Header=BB329_819 Depth=1
	v_dual_lshrrev_b32 v4, 3, v6 :: v_dual_bitop2_b32 v26, 7, v5 bitop3:0x40
	s_mov_b32 s21, exec_lo
	v_cmpx_gt_u32_e32 8, v6
; %bb.1268:                             ;   in Loop: Header=BB329_819 Depth=1
	s_delay_alu instid0(VALU_DEP_2) | instskip(NEXT) | instid1(VALU_DEP_1)
	v_clz_i32_u32_e32 v4, v26
	v_min_u32_e32 v4, 32, v4
	s_delay_alu instid0(VALU_DEP_1) | instskip(NEXT) | instid1(VALU_DEP_1)
	v_subrev_nc_u32_e32 v6, 28, v4
	v_lshlrev_b64_e32 v[6:7], v6, v[26:27]
	s_delay_alu instid0(VALU_DEP_1)
	v_dual_sub_nc_u32 v4, 29, v4 :: v_dual_bitop2_b32 v26, 7, v6 bitop3:0x40
; %bb.1269:                             ;   in Loop: Header=BB329_819 Depth=1
	s_or_b32 exec_lo, exec_lo, s21
	s_delay_alu instid0(VALU_DEP_1) | instskip(NEXT) | instid1(VALU_DEP_2)
	v_dual_lshlrev_b32 v5, 24, v5 :: v_dual_lshlrev_b32 v6, 20, v26
	v_lshl_add_u32 v4, v4, 23, 0x3c000000
	s_delay_alu instid0(VALU_DEP_2) | instskip(NEXT) | instid1(VALU_DEP_1)
	v_and_b32_e32 v5, 0x80000000, v5
	v_or3_b32 v4, v6, v5, v4
.LBB329_1270:                           ;   in Loop: Header=BB329_819 Depth=1
	s_or_b32 exec_lo, exec_lo, s20
.LBB329_1271:                           ;   in Loop: Header=BB329_819 Depth=1
	s_delay_alu instid0(SALU_CYCLE_1)
	s_or_b32 exec_lo, exec_lo, s19
.LBB329_1272:                           ;   in Loop: Header=BB329_819 Depth=1
	s_delay_alu instid0(SALU_CYCLE_1) | instskip(NEXT) | instid1(SALU_CYCLE_1)
	s_or_b32 exec_lo, exec_lo, s18
	s_mov_b32 s18, exec_lo
	v_cmpx_lt_u64_e64 s[2:3], v[48:49]
	s_cbranch_execz .LBB329_1280
; %bb.1273:                             ;   in Loop: Header=BB329_819 Depth=1
	v_lshrrev_b32_e32 v5, 24, v49
	v_bfrev_b32_e32 v3, 1
	s_mov_b32 s19, exec_lo
	s_delay_alu instid0(VALU_DEP_2)
	v_cmpx_ne_u32_e32 0x80, v5
	s_cbranch_execz .LBB329_1279
; %bb.1274:                             ;   in Loop: Header=BB329_819 Depth=1
	v_bfe_u32 v6, v49, 24, 7
	v_mov_b32_e32 v3, 0x7f800001
	s_mov_b32 s20, exec_lo
	s_delay_alu instid0(VALU_DEP_2)
	v_cmpx_ne_u32_e32 0x7f, v6
	s_cbranch_execz .LBB329_1278
; %bb.1275:                             ;   in Loop: Header=BB329_819 Depth=1
	v_dual_lshrrev_b32 v3, 3, v6 :: v_dual_bitop2_b32 v26, 7, v5 bitop3:0x40
	s_mov_b32 s21, exec_lo
	v_cmpx_gt_u32_e32 8, v6
; %bb.1276:                             ;   in Loop: Header=BB329_819 Depth=1
	s_delay_alu instid0(VALU_DEP_2) | instskip(NEXT) | instid1(VALU_DEP_1)
	v_clz_i32_u32_e32 v3, v26
	v_min_u32_e32 v3, 32, v3
	s_delay_alu instid0(VALU_DEP_1) | instskip(NEXT) | instid1(VALU_DEP_1)
	v_subrev_nc_u32_e32 v6, 28, v3
	v_lshlrev_b64_e32 v[6:7], v6, v[26:27]
	s_delay_alu instid0(VALU_DEP_1)
	v_dual_sub_nc_u32 v3, 29, v3 :: v_dual_bitop2_b32 v26, 7, v6 bitop3:0x40
; %bb.1277:                             ;   in Loop: Header=BB329_819 Depth=1
	s_or_b32 exec_lo, exec_lo, s21
	s_delay_alu instid0(VALU_DEP_1) | instskip(NEXT) | instid1(VALU_DEP_2)
	v_dual_lshlrev_b32 v5, 24, v5 :: v_dual_lshlrev_b32 v6, 20, v26
	v_lshl_add_u32 v3, v3, 23, 0x3c000000
	s_delay_alu instid0(VALU_DEP_2) | instskip(NEXT) | instid1(VALU_DEP_1)
	v_and_b32_e32 v5, 0x80000000, v5
	v_or3_b32 v3, v6, v5, v3
.LBB329_1278:                           ;   in Loop: Header=BB329_819 Depth=1
	s_or_b32 exec_lo, exec_lo, s20
.LBB329_1279:                           ;   in Loop: Header=BB329_819 Depth=1
	s_delay_alu instid0(SALU_CYCLE_1)
	s_or_b32 exec_lo, exec_lo, s19
.LBB329_1280:                           ;   in Loop: Header=BB329_819 Depth=1
	s_delay_alu instid0(SALU_CYCLE_1)
	s_or_b32 exec_lo, exec_lo, s18
	v_fma_mixlo_bf16 v1, v82, v1, 0
	v_fma_mixlo_bf16 v96, v82, v2, 0
	;; [unrolled: 1-line block ×8, first 2 shown]
	s_and_saveexec_b32 s18, vcc_lo
	s_cbranch_execz .LBB329_1282
; %bb.1281:                             ;   in Loop: Header=BB329_819 Depth=1
	v_cmp_lt_i32_e64 s0, v118, v99
	s_delay_alu instid0(VALU_DEP_1) | instskip(SKIP_1) | instid1(VALU_DEP_1)
	v_cndmask_b32_e64 v111, 0, v111, s0
	v_cmp_lt_i32_e64 s0, v42, v99
	v_cndmask_b32_e64 v110, 0, v110, s0
	v_cmp_lt_i32_e64 s0, v41, v99
	s_delay_alu instid0(VALU_DEP_1) | instskip(SKIP_1) | instid1(VALU_DEP_1)
	v_cndmask_b32_e64 v109, 0, v109, s0
	v_cmp_lt_i32_e64 s0, v40, v99
	v_cndmask_b32_e64 v108, 0, v108, s0
	;; [unrolled: 5-line block ×4, first 2 shown]
.LBB329_1282:                           ;   in Loop: Header=BB329_819 Depth=1
	s_or_b32 exec_lo, exec_lo, s18
	flat_load_b64 v[48:49], v[38:39] offset:1792
	v_dual_mov_b32 v17, 0 :: v_dual_mov_b32 v16, 0
	s_mov_b32 s18, exec_lo
	s_wait_loadcnt_dscnt 0x0
	v_and_b32_e32 v0, 0xff, v48
	s_wait_xcnt 0x0
	s_delay_alu instid0(VALU_DEP_1)
	v_cmpx_ne_u16_e32 0, v0
	s_cbranch_execz .LBB329_1290
; %bb.1283:                             ;   in Loop: Header=BB329_819 Depth=1
	v_bfrev_b32_e32 v16, 1
	s_mov_b32 s19, exec_lo
	v_cmpx_ne_u16_e32 0x80, v0
	s_cbranch_execz .LBB329_1289
; %bb.1284:                             ;   in Loop: Header=BB329_819 Depth=1
	v_and_b32_e32 v2, 0x7f, v48
	v_mov_b32_e32 v16, 0x7f800001
	s_mov_b32 s20, exec_lo
	s_delay_alu instid0(VALU_DEP_2)
	v_cmpx_ne_u32_e32 0x7f, v2
	s_cbranch_execz .LBB329_1288
; %bb.1285:                             ;   in Loop: Header=BB329_819 Depth=1
	v_mov_b64_e32 v[50:51], v[48:49]
	v_lshrrev_b32_e32 v0, 3, v2
	s_mov_b32 s21, exec_lo
	v_cmpx_gt_u32_e32 8, v2
; %bb.1286:                             ;   in Loop: Header=BB329_819 Depth=1
	v_and_b32_e32 v0, 7, v48
	s_delay_alu instid0(VALU_DEP_1) | instskip(NEXT) | instid1(VALU_DEP_1)
	v_clz_i32_u32_e32 v0, v0
	v_min_u32_e32 v0, 32, v0
	s_delay_alu instid0(VALU_DEP_1) | instskip(SKIP_1) | instid1(VALU_DEP_2)
	v_subrev_nc_u32_e32 v2, 28, v0
	v_sub_nc_u32_e32 v0, 29, v0
	v_lshlrev_b64_e32 v[50:51], v2, v[48:49]
; %bb.1287:                             ;   in Loop: Header=BB329_819 Depth=1
	s_or_b32 exec_lo, exec_lo, s21
	s_delay_alu instid0(VALU_DEP_1) | instskip(NEXT) | instid1(VALU_DEP_3)
	v_dual_lshlrev_b32 v2, 20, v50 :: v_dual_lshlrev_b32 v3, 24, v48
	v_lshl_add_u32 v0, v0, 23, 0x3c000000
	s_delay_alu instid0(VALU_DEP_2) | instskip(NEXT) | instid1(VALU_DEP_3)
	v_and_b32_e32 v2, 0x700000, v2
	v_and_b32_e32 v3, 0x80000000, v3
	s_delay_alu instid0(VALU_DEP_1)
	v_or3_b32 v16, v2, v3, v0
.LBB329_1288:                           ;   in Loop: Header=BB329_819 Depth=1
	s_or_b32 exec_lo, exec_lo, s20
.LBB329_1289:                           ;   in Loop: Header=BB329_819 Depth=1
	s_delay_alu instid0(SALU_CYCLE_1)
	s_or_b32 exec_lo, exec_lo, s19
.LBB329_1290:                           ;   in Loop: Header=BB329_819 Depth=1
	s_delay_alu instid0(SALU_CYCLE_1) | instskip(SKIP_2) | instid1(VALU_DEP_1)
	s_or_b32 exec_lo, exec_lo, s18
	v_lshrrev_b16 v0, 8, v48
	s_mov_b32 s18, exec_lo
	v_cmpx_ne_u16_e32 0, v0
	s_cbranch_execz .LBB329_1298
; %bb.1291:                             ;   in Loop: Header=BB329_819 Depth=1
	v_bfrev_b32_e32 v17, 1
	s_mov_b32 s19, exec_lo
	v_cmpx_ne_u16_e32 0x80, v0
	s_cbranch_execz .LBB329_1297
; %bb.1292:                             ;   in Loop: Header=BB329_819 Depth=1
	v_and_b32_e32 v0, 0xffff, v0
	v_mov_b32_e32 v17, 0x7f800001
	s_mov_b32 s20, exec_lo
	s_delay_alu instid0(VALU_DEP_2) | instskip(NEXT) | instid1(VALU_DEP_1)
	v_and_b32_e32 v2, 0x7f, v0
	v_cmpx_ne_u32_e32 0x7f, v2
	s_cbranch_execz .LBB329_1296
; %bb.1293:                             ;   in Loop: Header=BB329_819 Depth=1
	v_dual_lshrrev_b32 v0, 3, v2 :: v_dual_bitop2_b32 v26, 7, v0 bitop3:0x40
	s_mov_b32 s21, exec_lo
	v_cmpx_gt_u32_e32 8, v2
; %bb.1294:                             ;   in Loop: Header=BB329_819 Depth=1
	s_delay_alu instid0(VALU_DEP_2) | instskip(NEXT) | instid1(VALU_DEP_1)
	v_clz_i32_u32_e32 v0, v26
	v_min_u32_e32 v0, 32, v0
	s_delay_alu instid0(VALU_DEP_1) | instskip(NEXT) | instid1(VALU_DEP_1)
	v_subrev_nc_u32_e32 v2, 28, v0
	v_lshlrev_b64_e32 v[2:3], v2, v[26:27]
	s_delay_alu instid0(VALU_DEP_1)
	v_dual_sub_nc_u32 v0, 29, v0 :: v_dual_bitop2_b32 v26, 7, v2 bitop3:0x40
; %bb.1295:                             ;   in Loop: Header=BB329_819 Depth=1
	s_or_b32 exec_lo, exec_lo, s21
	s_delay_alu instid0(VALU_DEP_1) | instskip(NEXT) | instid1(VALU_DEP_2)
	v_dual_lshlrev_b32 v2, 16, v48 :: v_dual_lshlrev_b32 v3, 20, v26
	v_lshl_add_u32 v0, v0, 23, 0x3c000000
	s_delay_alu instid0(VALU_DEP_2) | instskip(NEXT) | instid1(VALU_DEP_1)
	v_and_b32_e32 v2, 0x80000000, v2
	v_or3_b32 v17, v3, v2, v0
.LBB329_1296:                           ;   in Loop: Header=BB329_819 Depth=1
	s_or_b32 exec_lo, exec_lo, s20
.LBB329_1297:                           ;   in Loop: Header=BB329_819 Depth=1
	s_delay_alu instid0(SALU_CYCLE_1)
	s_or_b32 exec_lo, exec_lo, s19
.LBB329_1298:                           ;   in Loop: Header=BB329_819 Depth=1
	s_delay_alu instid0(SALU_CYCLE_1) | instskip(SKIP_3) | instid1(VALU_DEP_2)
	s_or_b32 exec_lo, exec_lo, s18
	v_dual_mov_b32 v19, 0 :: v_dual_lshrrev_b32 v0, 16, v48
	v_mov_b32_e32 v18, 0
	s_mov_b32 s18, exec_lo
	v_and_b32_e32 v2, 0xff, v0
	s_delay_alu instid0(VALU_DEP_1)
	v_cmpx_ne_u16_e32 0, v2
	s_cbranch_execz .LBB329_1306
; %bb.1299:                             ;   in Loop: Header=BB329_819 Depth=1
	v_bfrev_b32_e32 v18, 1
	s_mov_b32 s19, exec_lo
	v_cmpx_ne_u16_e32 0x80, v2
	s_cbranch_execz .LBB329_1305
; %bb.1300:                             ;   in Loop: Header=BB329_819 Depth=1
	v_bfe_u32 v3, v48, 16, 7
	v_mov_b32_e32 v18, 0x7f800001
	s_mov_b32 s20, exec_lo
	s_delay_alu instid0(VALU_DEP_2)
	v_cmpx_ne_u32_e32 0x7f, v3
	s_cbranch_execz .LBB329_1304
; %bb.1301:                             ;   in Loop: Header=BB329_819 Depth=1
	v_dual_lshrrev_b32 v2, 3, v3 :: v_dual_bitop2_b32 v26, 7, v0 bitop3:0x40
	s_mov_b32 s21, exec_lo
	v_cmpx_gt_u32_e32 8, v3
; %bb.1302:                             ;   in Loop: Header=BB329_819 Depth=1
	s_delay_alu instid0(VALU_DEP_2) | instskip(NEXT) | instid1(VALU_DEP_1)
	v_clz_i32_u32_e32 v2, v26
	v_min_u32_e32 v2, 32, v2
	s_delay_alu instid0(VALU_DEP_1) | instskip(NEXT) | instid1(VALU_DEP_1)
	v_subrev_nc_u32_e32 v3, 28, v2
	v_lshlrev_b64_e32 v[4:5], v3, v[26:27]
	s_delay_alu instid0(VALU_DEP_1)
	v_dual_sub_nc_u32 v2, 29, v2 :: v_dual_bitop2_b32 v26, 7, v4 bitop3:0x40
; %bb.1303:                             ;   in Loop: Header=BB329_819 Depth=1
	s_or_b32 exec_lo, exec_lo, s21
	s_delay_alu instid0(VALU_DEP_1) | instskip(NEXT) | instid1(VALU_DEP_2)
	v_dual_lshlrev_b32 v0, 24, v0 :: v_dual_lshlrev_b32 v3, 20, v26
	v_lshl_add_u32 v2, v2, 23, 0x3c000000
	s_delay_alu instid0(VALU_DEP_2) | instskip(NEXT) | instid1(VALU_DEP_1)
	v_and_b32_e32 v0, 0x80000000, v0
	v_or3_b32 v18, v3, v0, v2
.LBB329_1304:                           ;   in Loop: Header=BB329_819 Depth=1
	s_or_b32 exec_lo, exec_lo, s20
.LBB329_1305:                           ;   in Loop: Header=BB329_819 Depth=1
	s_delay_alu instid0(SALU_CYCLE_1)
	s_or_b32 exec_lo, exec_lo, s19
.LBB329_1306:                           ;   in Loop: Header=BB329_819 Depth=1
	s_delay_alu instid0(SALU_CYCLE_1) | instskip(NEXT) | instid1(SALU_CYCLE_1)
	s_or_b32 exec_lo, exec_lo, s18
	s_mov_b32 s18, exec_lo
	v_cmpx_lt_u32_e32 0xffffff, v48
	s_cbranch_execz .LBB329_1314
; %bb.1307:                             ;   in Loop: Header=BB329_819 Depth=1
	v_lshrrev_b32_e32 v0, 24, v48
	v_bfrev_b32_e32 v19, 1
	s_mov_b32 s19, exec_lo
	s_delay_alu instid0(VALU_DEP_2)
	v_cmpx_ne_u32_e32 0x80, v0
	s_cbranch_execz .LBB329_1313
; %bb.1308:                             ;   in Loop: Header=BB329_819 Depth=1
	v_bfe_u32 v3, v48, 24, 7
	v_mov_b32_e32 v19, 0x7f800001
	s_mov_b32 s20, exec_lo
	s_delay_alu instid0(VALU_DEP_2)
	v_cmpx_ne_u32_e32 0x7f, v3
	s_cbranch_execz .LBB329_1312
; %bb.1309:                             ;   in Loop: Header=BB329_819 Depth=1
	v_dual_lshrrev_b32 v2, 3, v3 :: v_dual_bitop2_b32 v26, 7, v0 bitop3:0x40
	s_mov_b32 s21, exec_lo
	v_cmpx_gt_u32_e32 8, v3
; %bb.1310:                             ;   in Loop: Header=BB329_819 Depth=1
	s_delay_alu instid0(VALU_DEP_2) | instskip(NEXT) | instid1(VALU_DEP_1)
	v_clz_i32_u32_e32 v2, v26
	v_min_u32_e32 v2, 32, v2
	s_delay_alu instid0(VALU_DEP_1) | instskip(NEXT) | instid1(VALU_DEP_1)
	v_subrev_nc_u32_e32 v3, 28, v2
	v_lshlrev_b64_e32 v[4:5], v3, v[26:27]
	s_delay_alu instid0(VALU_DEP_1)
	v_dual_sub_nc_u32 v2, 29, v2 :: v_dual_bitop2_b32 v26, 7, v4 bitop3:0x40
; %bb.1311:                             ;   in Loop: Header=BB329_819 Depth=1
	s_or_b32 exec_lo, exec_lo, s21
	s_delay_alu instid0(VALU_DEP_1) | instskip(NEXT) | instid1(VALU_DEP_2)
	v_dual_lshlrev_b32 v0, 24, v0 :: v_dual_lshlrev_b32 v3, 20, v26
	v_lshl_add_u32 v2, v2, 23, 0x3c000000
	s_delay_alu instid0(VALU_DEP_2) | instskip(NEXT) | instid1(VALU_DEP_1)
	v_and_b32_e32 v0, 0x80000000, v0
	v_or3_b32 v19, v3, v0, v2
.LBB329_1312:                           ;   in Loop: Header=BB329_819 Depth=1
	s_or_b32 exec_lo, exec_lo, s20
.LBB329_1313:                           ;   in Loop: Header=BB329_819 Depth=1
	s_delay_alu instid0(SALU_CYCLE_1)
	s_or_b32 exec_lo, exec_lo, s19
.LBB329_1314:                           ;   in Loop: Header=BB329_819 Depth=1
	s_delay_alu instid0(SALU_CYCLE_1) | instskip(SKIP_4) | instid1(VALU_DEP_3)
	s_or_b32 exec_lo, exec_lo, s18
	v_and_b32_e32 v3, 0xff, v49
	v_dual_mov_b32 v26, v49 :: v_dual_mov_b32 v0, 0
	v_mov_b32_e32 v2, 0
	s_mov_b32 s18, exec_lo
	v_cmpx_ne_u16_e32 0, v3
	s_cbranch_execz .LBB329_1322
; %bb.1315:                             ;   in Loop: Header=BB329_819 Depth=1
	v_bfrev_b32_e32 v2, 1
	s_mov_b32 s19, exec_lo
	v_cmpx_ne_u16_e32 0x80, v3
	s_cbranch_execz .LBB329_1321
; %bb.1316:                             ;   in Loop: Header=BB329_819 Depth=1
	v_and_b32_e32 v3, 0x7f, v49
	v_mov_b32_e32 v2, 0x7f800001
	s_mov_b32 s20, exec_lo
	s_delay_alu instid0(VALU_DEP_2)
	v_cmpx_ne_u32_e32 0x7f, v3
	s_cbranch_execz .LBB329_1320
; %bb.1317:                             ;   in Loop: Header=BB329_819 Depth=1
	v_mov_b64_e32 v[50:51], v[26:27]
	v_lshrrev_b32_e32 v2, 3, v3
	s_mov_b32 s21, exec_lo
	v_cmpx_gt_u32_e32 8, v3
; %bb.1318:                             ;   in Loop: Header=BB329_819 Depth=1
	v_and_b32_e32 v2, 7, v49
	s_delay_alu instid0(VALU_DEP_1) | instskip(NEXT) | instid1(VALU_DEP_1)
	v_clz_i32_u32_e32 v2, v2
	v_min_u32_e32 v2, 32, v2
	s_delay_alu instid0(VALU_DEP_1) | instskip(SKIP_1) | instid1(VALU_DEP_2)
	v_subrev_nc_u32_e32 v3, 28, v2
	v_sub_nc_u32_e32 v2, 29, v2
	v_lshlrev_b64_e32 v[50:51], v3, v[26:27]
; %bb.1319:                             ;   in Loop: Header=BB329_819 Depth=1
	s_or_b32 exec_lo, exec_lo, s21
	s_delay_alu instid0(VALU_DEP_1) | instskip(SKIP_2) | instid1(VALU_DEP_3)
	v_lshlrev_b32_e32 v3, 20, v50
	v_lshlrev_b32_e32 v4, 24, v26
	v_lshl_add_u32 v2, v2, 23, 0x3c000000
	v_and_b32_e32 v3, 0x700000, v3
	s_delay_alu instid0(VALU_DEP_3) | instskip(NEXT) | instid1(VALU_DEP_1)
	v_and_b32_e32 v4, 0x80000000, v4
	v_or3_b32 v2, v3, v4, v2
.LBB329_1320:                           ;   in Loop: Header=BB329_819 Depth=1
	s_or_b32 exec_lo, exec_lo, s20
.LBB329_1321:                           ;   in Loop: Header=BB329_819 Depth=1
	s_delay_alu instid0(SALU_CYCLE_1)
	s_or_b32 exec_lo, exec_lo, s19
.LBB329_1322:                           ;   in Loop: Header=BB329_819 Depth=1
	s_delay_alu instid0(SALU_CYCLE_1) | instskip(SKIP_2) | instid1(VALU_DEP_1)
	s_or_b32 exec_lo, exec_lo, s18
	v_lshrrev_b16 v3, 8, v26
	s_mov_b32 s18, exec_lo
	v_cmpx_ne_u16_e32 0, v3
	s_cbranch_execz .LBB329_1330
; %bb.1323:                             ;   in Loop: Header=BB329_819 Depth=1
	v_bfrev_b32_e32 v0, 1
	s_mov_b32 s19, exec_lo
	v_cmpx_ne_u16_e32 0x80, v3
	s_cbranch_execz .LBB329_1329
; %bb.1324:                             ;   in Loop: Header=BB329_819 Depth=1
	v_and_b32_e32 v4, 0xffff, v3
	v_mov_b32_e32 v0, 0x7f800001
	s_mov_b32 s20, exec_lo
	s_delay_alu instid0(VALU_DEP_2) | instskip(NEXT) | instid1(VALU_DEP_1)
	v_and_b32_e32 v3, 0x7f, v4
	v_cmpx_ne_u32_e32 0x7f, v3
	s_cbranch_execz .LBB329_1328
; %bb.1325:                             ;   in Loop: Header=BB329_819 Depth=1
	v_dual_mov_b32 v51, v27 :: v_dual_bitop2_b32 v50, 7, v4 bitop3:0x40
	v_lshrrev_b32_e32 v0, 3, v3
	s_mov_b32 s21, exec_lo
	v_cmpx_gt_u32_e32 8, v3
; %bb.1326:                             ;   in Loop: Header=BB329_819 Depth=1
	s_delay_alu instid0(VALU_DEP_3) | instskip(NEXT) | instid1(VALU_DEP_1)
	v_clz_i32_u32_e32 v0, v50
	v_min_u32_e32 v0, 32, v0
	s_delay_alu instid0(VALU_DEP_1) | instskip(SKIP_1) | instid1(VALU_DEP_2)
	v_subrev_nc_u32_e32 v3, 28, v0
	v_sub_nc_u32_e32 v0, 29, v0
	v_lshlrev_b64_e32 v[4:5], v3, v[50:51]
	s_delay_alu instid0(VALU_DEP_1)
	v_and_b32_e32 v50, 7, v4
; %bb.1327:                             ;   in Loop: Header=BB329_819 Depth=1
	s_or_b32 exec_lo, exec_lo, s21
	v_lshlrev_b32_e32 v3, 16, v26
	s_delay_alu instid0(VALU_DEP_2) | instskip(SKIP_1) | instid1(VALU_DEP_3)
	v_lshlrev_b32_e32 v4, 20, v50
	v_lshl_add_u32 v0, v0, 23, 0x3c000000
	v_and_b32_e32 v3, 0x80000000, v3
	s_delay_alu instid0(VALU_DEP_1)
	v_or3_b32 v0, v4, v3, v0
.LBB329_1328:                           ;   in Loop: Header=BB329_819 Depth=1
	s_or_b32 exec_lo, exec_lo, s20
.LBB329_1329:                           ;   in Loop: Header=BB329_819 Depth=1
	s_delay_alu instid0(SALU_CYCLE_1)
	s_or_b32 exec_lo, exec_lo, s19
.LBB329_1330:                           ;   in Loop: Header=BB329_819 Depth=1
	s_delay_alu instid0(SALU_CYCLE_1) | instskip(SKIP_3) | instid1(VALU_DEP_2)
	s_or_b32 exec_lo, exec_lo, s18
	v_dual_lshrrev_b32 v5, 16, v49 :: v_dual_mov_b32 v3, 0
	v_mov_b32_e32 v4, 0
	s_mov_b32 s18, exec_lo
	v_and_b32_e32 v6, 0xff, v5
	s_delay_alu instid0(VALU_DEP_1)
	v_cmpx_ne_u16_e32 0, v6
	s_cbranch_execz .LBB329_1338
; %bb.1331:                             ;   in Loop: Header=BB329_819 Depth=1
	v_bfrev_b32_e32 v4, 1
	s_mov_b32 s19, exec_lo
	v_cmpx_ne_u16_e32 0x80, v6
	s_cbranch_execz .LBB329_1337
; %bb.1332:                             ;   in Loop: Header=BB329_819 Depth=1
	v_bfe_u32 v6, v49, 16, 7
	v_mov_b32_e32 v4, 0x7f800001
	s_mov_b32 s20, exec_lo
	s_delay_alu instid0(VALU_DEP_2)
	v_cmpx_ne_u32_e32 0x7f, v6
	s_cbranch_execz .LBB329_1336
; %bb.1333:                             ;   in Loop: Header=BB329_819 Depth=1
	v_dual_lshrrev_b32 v4, 3, v6 :: v_dual_bitop2_b32 v26, 7, v5 bitop3:0x40
	s_mov_b32 s21, exec_lo
	v_cmpx_gt_u32_e32 8, v6
; %bb.1334:                             ;   in Loop: Header=BB329_819 Depth=1
	s_delay_alu instid0(VALU_DEP_2) | instskip(NEXT) | instid1(VALU_DEP_1)
	v_clz_i32_u32_e32 v4, v26
	v_min_u32_e32 v4, 32, v4
	s_delay_alu instid0(VALU_DEP_1) | instskip(NEXT) | instid1(VALU_DEP_1)
	v_subrev_nc_u32_e32 v6, 28, v4
	v_lshlrev_b64_e32 v[6:7], v6, v[26:27]
	s_delay_alu instid0(VALU_DEP_1)
	v_dual_sub_nc_u32 v4, 29, v4 :: v_dual_bitop2_b32 v26, 7, v6 bitop3:0x40
; %bb.1335:                             ;   in Loop: Header=BB329_819 Depth=1
	s_or_b32 exec_lo, exec_lo, s21
	s_delay_alu instid0(VALU_DEP_1) | instskip(NEXT) | instid1(VALU_DEP_2)
	v_dual_lshlrev_b32 v5, 24, v5 :: v_dual_lshlrev_b32 v6, 20, v26
	v_lshl_add_u32 v4, v4, 23, 0x3c000000
	s_delay_alu instid0(VALU_DEP_2) | instskip(NEXT) | instid1(VALU_DEP_1)
	v_and_b32_e32 v5, 0x80000000, v5
	v_or3_b32 v4, v6, v5, v4
.LBB329_1336:                           ;   in Loop: Header=BB329_819 Depth=1
	s_or_b32 exec_lo, exec_lo, s20
.LBB329_1337:                           ;   in Loop: Header=BB329_819 Depth=1
	s_delay_alu instid0(SALU_CYCLE_1)
	s_or_b32 exec_lo, exec_lo, s19
.LBB329_1338:                           ;   in Loop: Header=BB329_819 Depth=1
	s_delay_alu instid0(SALU_CYCLE_1) | instskip(NEXT) | instid1(SALU_CYCLE_1)
	s_or_b32 exec_lo, exec_lo, s18
	s_mov_b32 s18, exec_lo
	v_cmpx_lt_u64_e64 s[2:3], v[48:49]
	s_cbranch_execz .LBB329_1346
; %bb.1339:                             ;   in Loop: Header=BB329_819 Depth=1
	v_lshrrev_b32_e32 v5, 24, v49
	v_bfrev_b32_e32 v3, 1
	s_mov_b32 s19, exec_lo
	s_delay_alu instid0(VALU_DEP_2)
	v_cmpx_ne_u32_e32 0x80, v5
	s_cbranch_execz .LBB329_1345
; %bb.1340:                             ;   in Loop: Header=BB329_819 Depth=1
	v_bfe_u32 v6, v49, 24, 7
	v_mov_b32_e32 v3, 0x7f800001
	s_mov_b32 s20, exec_lo
	s_delay_alu instid0(VALU_DEP_2)
	v_cmpx_ne_u32_e32 0x7f, v6
	s_cbranch_execz .LBB329_1344
; %bb.1341:                             ;   in Loop: Header=BB329_819 Depth=1
	v_dual_lshrrev_b32 v3, 3, v6 :: v_dual_bitop2_b32 v26, 7, v5 bitop3:0x40
	s_mov_b32 s21, exec_lo
	v_cmpx_gt_u32_e32 8, v6
; %bb.1342:                             ;   in Loop: Header=BB329_819 Depth=1
	s_delay_alu instid0(VALU_DEP_2) | instskip(NEXT) | instid1(VALU_DEP_1)
	v_clz_i32_u32_e32 v3, v26
	v_min_u32_e32 v3, 32, v3
	s_delay_alu instid0(VALU_DEP_1) | instskip(NEXT) | instid1(VALU_DEP_1)
	v_subrev_nc_u32_e32 v6, 28, v3
	v_lshlrev_b64_e32 v[6:7], v6, v[26:27]
	s_delay_alu instid0(VALU_DEP_1)
	v_dual_sub_nc_u32 v3, 29, v3 :: v_dual_bitop2_b32 v26, 7, v6 bitop3:0x40
; %bb.1343:                             ;   in Loop: Header=BB329_819 Depth=1
	s_or_b32 exec_lo, exec_lo, s21
	s_delay_alu instid0(VALU_DEP_1) | instskip(NEXT) | instid1(VALU_DEP_2)
	v_dual_lshlrev_b32 v5, 24, v5 :: v_dual_lshlrev_b32 v6, 20, v26
	v_lshl_add_u32 v3, v3, 23, 0x3c000000
	s_delay_alu instid0(VALU_DEP_2) | instskip(NEXT) | instid1(VALU_DEP_1)
	v_and_b32_e32 v5, 0x80000000, v5
	v_or3_b32 v3, v6, v5, v3
.LBB329_1344:                           ;   in Loop: Header=BB329_819 Depth=1
	s_or_b32 exec_lo, exec_lo, s20
.LBB329_1345:                           ;   in Loop: Header=BB329_819 Depth=1
	s_delay_alu instid0(SALU_CYCLE_1)
	s_or_b32 exec_lo, exec_lo, s19
.LBB329_1346:                           ;   in Loop: Header=BB329_819 Depth=1
	s_delay_alu instid0(SALU_CYCLE_1)
	s_or_b32 exec_lo, exec_lo, s18
	v_fma_mixlo_bf16 v0, v82, v0, 0
	v_fma_mixlo_bf16 v53, v82, v2, 0
	;; [unrolled: 1-line block ×8, first 2 shown]
	s_and_saveexec_b32 s18, vcc_lo
	s_cbranch_execz .LBB329_1348
; %bb.1347:                             ;   in Loop: Header=BB329_819 Depth=1
	v_cmp_lt_i32_e64 s0, v118, v99
	s_delay_alu instid0(VALU_DEP_1) | instskip(SKIP_1) | instid1(VALU_DEP_1)
	v_cndmask_b32_e64 v125, 0, v125, s0
	v_cmp_lt_i32_e64 s0, v42, v99
	v_cndmask_b32_e64 v124, 0, v124, s0
	v_cmp_lt_i32_e64 s0, v41, v99
	s_delay_alu instid0(VALU_DEP_1) | instskip(SKIP_1) | instid1(VALU_DEP_1)
	v_cndmask_b32_e64 v123, 0, v123, s0
	v_cmp_lt_i32_e64 s0, v40, v99
	v_cndmask_b32_e64 v122, 0, v122, s0
	;; [unrolled: 5-line block ×4, first 2 shown]
.LBB329_1348:                           ;   in Loop: Header=BB329_819 Depth=1
	s_or_b32 exec_lo, exec_lo, s18
	flat_load_b64 v[48:49], v[38:39] offset:2048
	v_dual_mov_b32 v17, 0 :: v_dual_mov_b32 v16, 0
	s_mov_b32 s18, exec_lo
	s_wait_loadcnt_dscnt 0x0
	v_and_b32_e32 v2, 0xff, v48
	s_wait_xcnt 0x0
	s_delay_alu instid0(VALU_DEP_1)
	v_cmpx_ne_u16_e32 0, v2
	s_cbranch_execz .LBB329_1356
; %bb.1349:                             ;   in Loop: Header=BB329_819 Depth=1
	v_bfrev_b32_e32 v16, 1
	s_mov_b32 s19, exec_lo
	v_cmpx_ne_u16_e32 0x80, v2
	s_cbranch_execz .LBB329_1355
; %bb.1350:                             ;   in Loop: Header=BB329_819 Depth=1
	v_and_b32_e32 v3, 0x7f, v48
	v_mov_b32_e32 v16, 0x7f800001
	s_mov_b32 s20, exec_lo
	s_delay_alu instid0(VALU_DEP_2)
	v_cmpx_ne_u32_e32 0x7f, v3
	s_cbranch_execz .LBB329_1354
; %bb.1351:                             ;   in Loop: Header=BB329_819 Depth=1
	v_mov_b64_e32 v[50:51], v[48:49]
	v_lshrrev_b32_e32 v2, 3, v3
	s_mov_b32 s21, exec_lo
	v_cmpx_gt_u32_e32 8, v3
; %bb.1352:                             ;   in Loop: Header=BB329_819 Depth=1
	v_and_b32_e32 v2, 7, v48
	s_delay_alu instid0(VALU_DEP_1) | instskip(NEXT) | instid1(VALU_DEP_1)
	v_clz_i32_u32_e32 v2, v2
	v_min_u32_e32 v2, 32, v2
	s_delay_alu instid0(VALU_DEP_1) | instskip(SKIP_1) | instid1(VALU_DEP_2)
	v_subrev_nc_u32_e32 v3, 28, v2
	v_sub_nc_u32_e32 v2, 29, v2
	v_lshlrev_b64_e32 v[50:51], v3, v[48:49]
; %bb.1353:                             ;   in Loop: Header=BB329_819 Depth=1
	s_or_b32 exec_lo, exec_lo, s21
	s_delay_alu instid0(VALU_DEP_1) | instskip(NEXT) | instid1(VALU_DEP_3)
	v_dual_lshlrev_b32 v3, 20, v50 :: v_dual_lshlrev_b32 v4, 24, v48
	v_lshl_add_u32 v2, v2, 23, 0x3c000000
	s_delay_alu instid0(VALU_DEP_2) | instskip(NEXT) | instid1(VALU_DEP_3)
	v_and_b32_e32 v3, 0x700000, v3
	v_and_b32_e32 v4, 0x80000000, v4
	s_delay_alu instid0(VALU_DEP_1)
	v_or3_b32 v16, v3, v4, v2
.LBB329_1354:                           ;   in Loop: Header=BB329_819 Depth=1
	s_or_b32 exec_lo, exec_lo, s20
.LBB329_1355:                           ;   in Loop: Header=BB329_819 Depth=1
	s_delay_alu instid0(SALU_CYCLE_1)
	s_or_b32 exec_lo, exec_lo, s19
.LBB329_1356:                           ;   in Loop: Header=BB329_819 Depth=1
	s_delay_alu instid0(SALU_CYCLE_1) | instskip(SKIP_2) | instid1(VALU_DEP_1)
	s_or_b32 exec_lo, exec_lo, s18
	v_lshrrev_b16 v2, 8, v48
	s_mov_b32 s18, exec_lo
	v_cmpx_ne_u16_e32 0, v2
	s_cbranch_execz .LBB329_1364
; %bb.1357:                             ;   in Loop: Header=BB329_819 Depth=1
	v_bfrev_b32_e32 v17, 1
	s_mov_b32 s19, exec_lo
	v_cmpx_ne_u16_e32 0x80, v2
	s_cbranch_execz .LBB329_1363
; %bb.1358:                             ;   in Loop: Header=BB329_819 Depth=1
	v_and_b32_e32 v2, 0xffff, v2
	v_mov_b32_e32 v17, 0x7f800001
	s_mov_b32 s20, exec_lo
	s_delay_alu instid0(VALU_DEP_2) | instskip(NEXT) | instid1(VALU_DEP_1)
	v_and_b32_e32 v3, 0x7f, v2
	v_cmpx_ne_u32_e32 0x7f, v3
	s_cbranch_execz .LBB329_1362
; %bb.1359:                             ;   in Loop: Header=BB329_819 Depth=1
	v_dual_lshrrev_b32 v2, 3, v3 :: v_dual_bitop2_b32 v26, 7, v2 bitop3:0x40
	s_mov_b32 s21, exec_lo
	v_cmpx_gt_u32_e32 8, v3
; %bb.1360:                             ;   in Loop: Header=BB329_819 Depth=1
	s_delay_alu instid0(VALU_DEP_2) | instskip(NEXT) | instid1(VALU_DEP_1)
	v_clz_i32_u32_e32 v2, v26
	v_min_u32_e32 v2, 32, v2
	s_delay_alu instid0(VALU_DEP_1) | instskip(NEXT) | instid1(VALU_DEP_1)
	v_subrev_nc_u32_e32 v3, 28, v2
	v_lshlrev_b64_e32 v[4:5], v3, v[26:27]
	s_delay_alu instid0(VALU_DEP_1)
	v_dual_sub_nc_u32 v2, 29, v2 :: v_dual_bitop2_b32 v26, 7, v4 bitop3:0x40
; %bb.1361:                             ;   in Loop: Header=BB329_819 Depth=1
	s_or_b32 exec_lo, exec_lo, s21
	s_delay_alu instid0(VALU_DEP_1) | instskip(NEXT) | instid1(VALU_DEP_2)
	v_dual_lshlrev_b32 v3, 16, v48 :: v_dual_lshlrev_b32 v4, 20, v26
	v_lshl_add_u32 v2, v2, 23, 0x3c000000
	s_delay_alu instid0(VALU_DEP_2) | instskip(NEXT) | instid1(VALU_DEP_1)
	v_and_b32_e32 v3, 0x80000000, v3
	v_or3_b32 v17, v4, v3, v2
.LBB329_1362:                           ;   in Loop: Header=BB329_819 Depth=1
	s_or_b32 exec_lo, exec_lo, s20
.LBB329_1363:                           ;   in Loop: Header=BB329_819 Depth=1
	s_delay_alu instid0(SALU_CYCLE_1)
	s_or_b32 exec_lo, exec_lo, s19
.LBB329_1364:                           ;   in Loop: Header=BB329_819 Depth=1
	s_delay_alu instid0(SALU_CYCLE_1) | instskip(SKIP_3) | instid1(VALU_DEP_2)
	s_or_b32 exec_lo, exec_lo, s18
	v_dual_mov_b32 v19, 0 :: v_dual_lshrrev_b32 v2, 16, v48
	v_mov_b32_e32 v18, 0
	s_mov_b32 s18, exec_lo
	v_and_b32_e32 v3, 0xff, v2
	s_delay_alu instid0(VALU_DEP_1)
	v_cmpx_ne_u16_e32 0, v3
	s_cbranch_execz .LBB329_1372
; %bb.1365:                             ;   in Loop: Header=BB329_819 Depth=1
	v_bfrev_b32_e32 v18, 1
	s_mov_b32 s19, exec_lo
	v_cmpx_ne_u16_e32 0x80, v3
	s_cbranch_execz .LBB329_1371
; %bb.1366:                             ;   in Loop: Header=BB329_819 Depth=1
	v_bfe_u32 v4, v48, 16, 7
	v_mov_b32_e32 v18, 0x7f800001
	s_mov_b32 s20, exec_lo
	s_delay_alu instid0(VALU_DEP_2)
	v_cmpx_ne_u32_e32 0x7f, v4
	s_cbranch_execz .LBB329_1370
; %bb.1367:                             ;   in Loop: Header=BB329_819 Depth=1
	v_dual_lshrrev_b32 v3, 3, v4 :: v_dual_bitop2_b32 v26, 7, v2 bitop3:0x40
	s_mov_b32 s21, exec_lo
	v_cmpx_gt_u32_e32 8, v4
; %bb.1368:                             ;   in Loop: Header=BB329_819 Depth=1
	s_delay_alu instid0(VALU_DEP_2) | instskip(NEXT) | instid1(VALU_DEP_1)
	v_clz_i32_u32_e32 v3, v26
	v_min_u32_e32 v3, 32, v3
	s_delay_alu instid0(VALU_DEP_1) | instskip(NEXT) | instid1(VALU_DEP_1)
	v_subrev_nc_u32_e32 v4, 28, v3
	v_lshlrev_b64_e32 v[4:5], v4, v[26:27]
	s_delay_alu instid0(VALU_DEP_1)
	v_dual_sub_nc_u32 v3, 29, v3 :: v_dual_bitop2_b32 v26, 7, v4 bitop3:0x40
; %bb.1369:                             ;   in Loop: Header=BB329_819 Depth=1
	s_or_b32 exec_lo, exec_lo, s21
	v_lshlrev_b32_e32 v2, 24, v2
	s_delay_alu instid0(VALU_DEP_2) | instskip(NEXT) | instid1(VALU_DEP_3)
	v_lshlrev_b32_e32 v4, 20, v26
	v_lshl_add_u32 v3, v3, 23, 0x3c000000
	s_delay_alu instid0(VALU_DEP_3) | instskip(NEXT) | instid1(VALU_DEP_1)
	v_and_b32_e32 v2, 0x80000000, v2
	v_or3_b32 v18, v4, v2, v3
.LBB329_1370:                           ;   in Loop: Header=BB329_819 Depth=1
	s_or_b32 exec_lo, exec_lo, s20
.LBB329_1371:                           ;   in Loop: Header=BB329_819 Depth=1
	s_delay_alu instid0(SALU_CYCLE_1)
	s_or_b32 exec_lo, exec_lo, s19
.LBB329_1372:                           ;   in Loop: Header=BB329_819 Depth=1
	s_delay_alu instid0(SALU_CYCLE_1) | instskip(NEXT) | instid1(SALU_CYCLE_1)
	s_or_b32 exec_lo, exec_lo, s18
	s_mov_b32 s18, exec_lo
	v_cmpx_lt_u32_e32 0xffffff, v48
	s_cbranch_execz .LBB329_1380
; %bb.1373:                             ;   in Loop: Header=BB329_819 Depth=1
	v_lshrrev_b32_e32 v2, 24, v48
	v_bfrev_b32_e32 v19, 1
	s_mov_b32 s19, exec_lo
	s_delay_alu instid0(VALU_DEP_2)
	v_cmpx_ne_u32_e32 0x80, v2
	s_cbranch_execz .LBB329_1379
; %bb.1374:                             ;   in Loop: Header=BB329_819 Depth=1
	v_bfe_u32 v4, v48, 24, 7
	v_mov_b32_e32 v19, 0x7f800001
	s_mov_b32 s20, exec_lo
	s_delay_alu instid0(VALU_DEP_2)
	v_cmpx_ne_u32_e32 0x7f, v4
	s_cbranch_execz .LBB329_1378
; %bb.1375:                             ;   in Loop: Header=BB329_819 Depth=1
	v_dual_lshrrev_b32 v3, 3, v4 :: v_dual_bitop2_b32 v26, 7, v2 bitop3:0x40
	s_mov_b32 s21, exec_lo
	v_cmpx_gt_u32_e32 8, v4
; %bb.1376:                             ;   in Loop: Header=BB329_819 Depth=1
	s_delay_alu instid0(VALU_DEP_2) | instskip(NEXT) | instid1(VALU_DEP_1)
	v_clz_i32_u32_e32 v3, v26
	v_min_u32_e32 v3, 32, v3
	s_delay_alu instid0(VALU_DEP_1) | instskip(NEXT) | instid1(VALU_DEP_1)
	v_subrev_nc_u32_e32 v4, 28, v3
	v_lshlrev_b64_e32 v[4:5], v4, v[26:27]
	s_delay_alu instid0(VALU_DEP_1)
	v_dual_sub_nc_u32 v3, 29, v3 :: v_dual_bitop2_b32 v26, 7, v4 bitop3:0x40
; %bb.1377:                             ;   in Loop: Header=BB329_819 Depth=1
	s_or_b32 exec_lo, exec_lo, s21
	v_lshlrev_b32_e32 v2, 24, v2
	s_delay_alu instid0(VALU_DEP_2) | instskip(NEXT) | instid1(VALU_DEP_3)
	v_lshlrev_b32_e32 v4, 20, v26
	v_lshl_add_u32 v3, v3, 23, 0x3c000000
	s_delay_alu instid0(VALU_DEP_3) | instskip(NEXT) | instid1(VALU_DEP_1)
	v_and_b32_e32 v2, 0x80000000, v2
	v_or3_b32 v19, v4, v2, v3
.LBB329_1378:                           ;   in Loop: Header=BB329_819 Depth=1
	s_or_b32 exec_lo, exec_lo, s20
.LBB329_1379:                           ;   in Loop: Header=BB329_819 Depth=1
	s_delay_alu instid0(SALU_CYCLE_1)
	s_or_b32 exec_lo, exec_lo, s19
.LBB329_1380:                           ;   in Loop: Header=BB329_819 Depth=1
	s_delay_alu instid0(SALU_CYCLE_1) | instskip(SKIP_4) | instid1(VALU_DEP_3)
	s_or_b32 exec_lo, exec_lo, s18
	v_and_b32_e32 v4, 0xff, v49
	v_dual_mov_b32 v26, v49 :: v_dual_mov_b32 v3, 0
	v_mov_b32_e32 v2, 0
	s_mov_b32 s18, exec_lo
	v_cmpx_ne_u16_e32 0, v4
	s_cbranch_execz .LBB329_1388
; %bb.1381:                             ;   in Loop: Header=BB329_819 Depth=1
	v_bfrev_b32_e32 v2, 1
	s_mov_b32 s19, exec_lo
	v_cmpx_ne_u16_e32 0x80, v4
	s_cbranch_execz .LBB329_1387
; %bb.1382:                             ;   in Loop: Header=BB329_819 Depth=1
	v_and_b32_e32 v4, 0x7f, v49
	v_mov_b32_e32 v2, 0x7f800001
	s_mov_b32 s20, exec_lo
	s_delay_alu instid0(VALU_DEP_2)
	v_cmpx_ne_u32_e32 0x7f, v4
	s_cbranch_execz .LBB329_1386
; %bb.1383:                             ;   in Loop: Header=BB329_819 Depth=1
	v_mov_b64_e32 v[50:51], v[26:27]
	v_lshrrev_b32_e32 v2, 3, v4
	s_mov_b32 s21, exec_lo
	v_cmpx_gt_u32_e32 8, v4
; %bb.1384:                             ;   in Loop: Header=BB329_819 Depth=1
	v_and_b32_e32 v2, 7, v49
	s_delay_alu instid0(VALU_DEP_1) | instskip(NEXT) | instid1(VALU_DEP_1)
	v_clz_i32_u32_e32 v2, v2
	v_min_u32_e32 v2, 32, v2
	s_delay_alu instid0(VALU_DEP_1) | instskip(SKIP_1) | instid1(VALU_DEP_2)
	v_subrev_nc_u32_e32 v4, 28, v2
	v_sub_nc_u32_e32 v2, 29, v2
	v_lshlrev_b64_e32 v[50:51], v4, v[26:27]
; %bb.1385:                             ;   in Loop: Header=BB329_819 Depth=1
	s_or_b32 exec_lo, exec_lo, s21
	s_delay_alu instid0(VALU_DEP_1) | instskip(SKIP_2) | instid1(VALU_DEP_3)
	v_lshlrev_b32_e32 v4, 20, v50
	v_lshlrev_b32_e32 v5, 24, v26
	v_lshl_add_u32 v2, v2, 23, 0x3c000000
	v_and_b32_e32 v4, 0x700000, v4
	s_delay_alu instid0(VALU_DEP_3) | instskip(NEXT) | instid1(VALU_DEP_1)
	v_and_b32_e32 v5, 0x80000000, v5
	v_or3_b32 v2, v4, v5, v2
.LBB329_1386:                           ;   in Loop: Header=BB329_819 Depth=1
	s_or_b32 exec_lo, exec_lo, s20
.LBB329_1387:                           ;   in Loop: Header=BB329_819 Depth=1
	s_delay_alu instid0(SALU_CYCLE_1)
	s_or_b32 exec_lo, exec_lo, s19
.LBB329_1388:                           ;   in Loop: Header=BB329_819 Depth=1
	s_delay_alu instid0(SALU_CYCLE_1) | instskip(SKIP_2) | instid1(VALU_DEP_1)
	s_or_b32 exec_lo, exec_lo, s18
	v_lshrrev_b16 v4, 8, v26
	s_mov_b32 s18, exec_lo
	v_cmpx_ne_u16_e32 0, v4
	s_cbranch_execz .LBB329_1396
; %bb.1389:                             ;   in Loop: Header=BB329_819 Depth=1
	v_bfrev_b32_e32 v3, 1
	s_mov_b32 s19, exec_lo
	v_cmpx_ne_u16_e32 0x80, v4
	s_cbranch_execz .LBB329_1395
; %bb.1390:                             ;   in Loop: Header=BB329_819 Depth=1
	v_and_b32_e32 v5, 0xffff, v4
	v_mov_b32_e32 v3, 0x7f800001
	s_mov_b32 s20, exec_lo
	s_delay_alu instid0(VALU_DEP_2) | instskip(NEXT) | instid1(VALU_DEP_1)
	v_and_b32_e32 v4, 0x7f, v5
	v_cmpx_ne_u32_e32 0x7f, v4
	s_cbranch_execz .LBB329_1394
; %bb.1391:                             ;   in Loop: Header=BB329_819 Depth=1
	v_dual_mov_b32 v51, v27 :: v_dual_bitop2_b32 v50, 7, v5 bitop3:0x40
	v_lshrrev_b32_e32 v3, 3, v4
	s_mov_b32 s21, exec_lo
	v_cmpx_gt_u32_e32 8, v4
; %bb.1392:                             ;   in Loop: Header=BB329_819 Depth=1
	s_delay_alu instid0(VALU_DEP_3) | instskip(NEXT) | instid1(VALU_DEP_1)
	v_clz_i32_u32_e32 v3, v50
	v_min_u32_e32 v3, 32, v3
	s_delay_alu instid0(VALU_DEP_1) | instskip(NEXT) | instid1(VALU_DEP_1)
	v_subrev_nc_u32_e32 v4, 28, v3
	v_lshlrev_b64_e32 v[4:5], v4, v[50:51]
	s_delay_alu instid0(VALU_DEP_1)
	v_dual_sub_nc_u32 v3, 29, v3 :: v_dual_bitop2_b32 v50, 7, v4 bitop3:0x40
; %bb.1393:                             ;   in Loop: Header=BB329_819 Depth=1
	s_or_b32 exec_lo, exec_lo, s21
	v_lshlrev_b32_e32 v4, 16, v26
	s_delay_alu instid0(VALU_DEP_2) | instskip(NEXT) | instid1(VALU_DEP_3)
	v_lshlrev_b32_e32 v5, 20, v50
	v_lshl_add_u32 v3, v3, 23, 0x3c000000
	s_delay_alu instid0(VALU_DEP_3) | instskip(NEXT) | instid1(VALU_DEP_1)
	v_and_b32_e32 v4, 0x80000000, v4
	v_or3_b32 v3, v5, v4, v3
.LBB329_1394:                           ;   in Loop: Header=BB329_819 Depth=1
	s_or_b32 exec_lo, exec_lo, s20
.LBB329_1395:                           ;   in Loop: Header=BB329_819 Depth=1
	s_delay_alu instid0(SALU_CYCLE_1)
	s_or_b32 exec_lo, exec_lo, s19
.LBB329_1396:                           ;   in Loop: Header=BB329_819 Depth=1
	s_delay_alu instid0(SALU_CYCLE_1) | instskip(SKIP_3) | instid1(VALU_DEP_2)
	s_or_b32 exec_lo, exec_lo, s18
	v_dual_lshrrev_b32 v6, 16, v49 :: v_dual_mov_b32 v4, 0
	v_mov_b32_e32 v5, 0
	s_mov_b32 s18, exec_lo
	v_and_b32_e32 v7, 0xff, v6
	s_delay_alu instid0(VALU_DEP_1)
	v_cmpx_ne_u16_e32 0, v7
	s_cbranch_execz .LBB329_1404
; %bb.1397:                             ;   in Loop: Header=BB329_819 Depth=1
	v_bfrev_b32_e32 v5, 1
	s_mov_b32 s19, exec_lo
	v_cmpx_ne_u16_e32 0x80, v7
	s_cbranch_execz .LBB329_1403
; %bb.1398:                             ;   in Loop: Header=BB329_819 Depth=1
	v_bfe_u32 v7, v49, 16, 7
	v_mov_b32_e32 v5, 0x7f800001
	s_mov_b32 s20, exec_lo
	s_delay_alu instid0(VALU_DEP_2)
	v_cmpx_ne_u32_e32 0x7f, v7
	s_cbranch_execz .LBB329_1402
; %bb.1399:                             ;   in Loop: Header=BB329_819 Depth=1
	v_dual_lshrrev_b32 v5, 3, v7 :: v_dual_bitop2_b32 v26, 7, v6 bitop3:0x40
	s_mov_b32 s21, exec_lo
	v_cmpx_gt_u32_e32 8, v7
; %bb.1400:                             ;   in Loop: Header=BB329_819 Depth=1
	s_delay_alu instid0(VALU_DEP_2) | instskip(NEXT) | instid1(VALU_DEP_1)
	v_clz_i32_u32_e32 v5, v26
	v_min_u32_e32 v5, 32, v5
	s_delay_alu instid0(VALU_DEP_1) | instskip(NEXT) | instid1(VALU_DEP_1)
	v_subrev_nc_u32_e32 v7, 28, v5
	v_lshlrev_b64_e32 v[8:9], v7, v[26:27]
	s_delay_alu instid0(VALU_DEP_1)
	v_dual_sub_nc_u32 v5, 29, v5 :: v_dual_bitop2_b32 v26, 7, v8 bitop3:0x40
; %bb.1401:                             ;   in Loop: Header=BB329_819 Depth=1
	s_or_b32 exec_lo, exec_lo, s21
	v_lshlrev_b32_e32 v6, 24, v6
	s_delay_alu instid0(VALU_DEP_2) | instskip(NEXT) | instid1(VALU_DEP_3)
	v_lshlrev_b32_e32 v7, 20, v26
	v_lshl_add_u32 v5, v5, 23, 0x3c000000
	s_delay_alu instid0(VALU_DEP_3) | instskip(NEXT) | instid1(VALU_DEP_1)
	v_and_b32_e32 v6, 0x80000000, v6
	v_or3_b32 v5, v7, v6, v5
.LBB329_1402:                           ;   in Loop: Header=BB329_819 Depth=1
	s_or_b32 exec_lo, exec_lo, s20
.LBB329_1403:                           ;   in Loop: Header=BB329_819 Depth=1
	s_delay_alu instid0(SALU_CYCLE_1)
	s_or_b32 exec_lo, exec_lo, s19
.LBB329_1404:                           ;   in Loop: Header=BB329_819 Depth=1
	s_delay_alu instid0(SALU_CYCLE_1) | instskip(NEXT) | instid1(SALU_CYCLE_1)
	s_or_b32 exec_lo, exec_lo, s18
	s_mov_b32 s18, exec_lo
	v_cmpx_lt_u64_e64 s[2:3], v[48:49]
	s_cbranch_execz .LBB329_1412
; %bb.1405:                             ;   in Loop: Header=BB329_819 Depth=1
	v_lshrrev_b32_e32 v6, 24, v49
	v_bfrev_b32_e32 v4, 1
	s_mov_b32 s19, exec_lo
	s_delay_alu instid0(VALU_DEP_2)
	v_cmpx_ne_u32_e32 0x80, v6
	s_cbranch_execz .LBB329_1411
; %bb.1406:                             ;   in Loop: Header=BB329_819 Depth=1
	v_bfe_u32 v7, v49, 24, 7
	v_mov_b32_e32 v4, 0x7f800001
	s_mov_b32 s20, exec_lo
	s_delay_alu instid0(VALU_DEP_2)
	v_cmpx_ne_u32_e32 0x7f, v7
	s_cbranch_execz .LBB329_1410
; %bb.1407:                             ;   in Loop: Header=BB329_819 Depth=1
	v_dual_lshrrev_b32 v4, 3, v7 :: v_dual_bitop2_b32 v26, 7, v6 bitop3:0x40
	s_mov_b32 s21, exec_lo
	v_cmpx_gt_u32_e32 8, v7
; %bb.1408:                             ;   in Loop: Header=BB329_819 Depth=1
	s_delay_alu instid0(VALU_DEP_2) | instskip(NEXT) | instid1(VALU_DEP_1)
	v_clz_i32_u32_e32 v4, v26
	v_min_u32_e32 v4, 32, v4
	s_delay_alu instid0(VALU_DEP_1) | instskip(SKIP_1) | instid1(VALU_DEP_2)
	v_subrev_nc_u32_e32 v7, 28, v4
	v_sub_nc_u32_e32 v4, 29, v4
	v_lshlrev_b64_e32 v[8:9], v7, v[26:27]
	s_delay_alu instid0(VALU_DEP_1)
	v_and_b32_e32 v26, 7, v8
; %bb.1409:                             ;   in Loop: Header=BB329_819 Depth=1
	s_or_b32 exec_lo, exec_lo, s21
	v_lshlrev_b32_e32 v6, 24, v6
	s_delay_alu instid0(VALU_DEP_2) | instskip(SKIP_1) | instid1(VALU_DEP_3)
	v_lshlrev_b32_e32 v7, 20, v26
	v_lshl_add_u32 v4, v4, 23, 0x3c000000
	v_and_b32_e32 v6, 0x80000000, v6
	s_delay_alu instid0(VALU_DEP_1)
	v_or3_b32 v4, v7, v6, v4
.LBB329_1410:                           ;   in Loop: Header=BB329_819 Depth=1
	s_or_b32 exec_lo, exec_lo, s20
.LBB329_1411:                           ;   in Loop: Header=BB329_819 Depth=1
	s_delay_alu instid0(SALU_CYCLE_1)
	s_or_b32 exec_lo, exec_lo, s19
.LBB329_1412:                           ;   in Loop: Header=BB329_819 Depth=1
	s_delay_alu instid0(SALU_CYCLE_1)
	s_or_b32 exec_lo, exec_lo, s18
	v_fma_mixlo_bf16 v22, v82, v3, 0
	v_fma_mixlo_bf16 v23, v82, v2, 0
	v_fma_mixlo_bf16 v66, v82, v19, 0
	v_fma_mixlo_bf16 v97, v82, v18, 0
	v_fma_mixlo_bf16 v69, v82, v17, 0
	v_fma_mixlo_bf16 v34, v82, v16, 0
	v_fma_mixlo_bf16 v126, v82, v5, 0
	v_fma_mixlo_bf16 v127, v82, v4, 0
	s_and_saveexec_b32 s18, vcc_lo
	s_cbranch_execz .LBB329_1414
; %bb.1413:                             ;   in Loop: Header=BB329_819 Depth=1
	v_cmp_lt_i32_e64 s0, v118, v99
	s_delay_alu instid0(VALU_DEP_1) | instskip(SKIP_1) | instid1(VALU_DEP_1)
	v_cndmask_b32_e64 v34, 0, v34, s0
	v_cmp_lt_i32_e64 s0, v42, v99
	v_cndmask_b32_e64 v69, 0, v69, s0
	v_cmp_lt_i32_e64 s0, v41, v99
	s_delay_alu instid0(VALU_DEP_1) | instskip(SKIP_1) | instid1(VALU_DEP_1)
	v_cndmask_b32_e64 v97, 0, v97, s0
	v_cmp_lt_i32_e64 s0, v40, v99
	v_cndmask_b32_e64 v66, 0, v66, s0
	;; [unrolled: 5-line block ×4, first 2 shown]
.LBB329_1414:                           ;   in Loop: Header=BB329_819 Depth=1
	s_or_b32 exec_lo, exec_lo, s18
	flat_load_b64 v[48:49], v[38:39] offset:2304
	v_dual_mov_b32 v25, 0 :: v_dual_mov_b32 v19, 0
	s_mov_b32 s18, exec_lo
	s_wait_loadcnt_dscnt 0x0
	v_and_b32_e32 v2, 0xff, v48
	s_wait_xcnt 0x0
	s_delay_alu instid0(VALU_DEP_1)
	v_cmpx_ne_u16_e32 0, v2
	s_cbranch_execz .LBB329_1422
; %bb.1415:                             ;   in Loop: Header=BB329_819 Depth=1
	v_bfrev_b32_e32 v19, 1
	s_mov_b32 s19, exec_lo
	v_cmpx_ne_u16_e32 0x80, v2
	s_cbranch_execz .LBB329_1421
; %bb.1416:                             ;   in Loop: Header=BB329_819 Depth=1
	v_and_b32_e32 v3, 0x7f, v48
	v_mov_b32_e32 v19, 0x7f800001
	s_mov_b32 s20, exec_lo
	s_delay_alu instid0(VALU_DEP_2)
	v_cmpx_ne_u32_e32 0x7f, v3
	s_cbranch_execz .LBB329_1420
; %bb.1417:                             ;   in Loop: Header=BB329_819 Depth=1
	v_mov_b64_e32 v[50:51], v[48:49]
	v_lshrrev_b32_e32 v2, 3, v3
	s_mov_b32 s21, exec_lo
	v_cmpx_gt_u32_e32 8, v3
; %bb.1418:                             ;   in Loop: Header=BB329_819 Depth=1
	v_and_b32_e32 v2, 7, v48
	s_delay_alu instid0(VALU_DEP_1) | instskip(NEXT) | instid1(VALU_DEP_1)
	v_clz_i32_u32_e32 v2, v2
	v_min_u32_e32 v2, 32, v2
	s_delay_alu instid0(VALU_DEP_1) | instskip(SKIP_1) | instid1(VALU_DEP_2)
	v_subrev_nc_u32_e32 v3, 28, v2
	v_sub_nc_u32_e32 v2, 29, v2
	v_lshlrev_b64_e32 v[50:51], v3, v[48:49]
; %bb.1419:                             ;   in Loop: Header=BB329_819 Depth=1
	s_or_b32 exec_lo, exec_lo, s21
	s_delay_alu instid0(VALU_DEP_1) | instskip(NEXT) | instid1(VALU_DEP_3)
	v_dual_lshlrev_b32 v3, 20, v50 :: v_dual_lshlrev_b32 v4, 24, v48
	v_lshl_add_u32 v2, v2, 23, 0x3c000000
	s_delay_alu instid0(VALU_DEP_2) | instskip(NEXT) | instid1(VALU_DEP_3)
	v_and_b32_e32 v3, 0x700000, v3
	v_and_b32_e32 v4, 0x80000000, v4
	s_delay_alu instid0(VALU_DEP_1)
	v_or3_b32 v19, v3, v4, v2
.LBB329_1420:                           ;   in Loop: Header=BB329_819 Depth=1
	s_or_b32 exec_lo, exec_lo, s20
.LBB329_1421:                           ;   in Loop: Header=BB329_819 Depth=1
	s_delay_alu instid0(SALU_CYCLE_1)
	s_or_b32 exec_lo, exec_lo, s19
.LBB329_1422:                           ;   in Loop: Header=BB329_819 Depth=1
	s_delay_alu instid0(SALU_CYCLE_1) | instskip(SKIP_2) | instid1(VALU_DEP_1)
	s_or_b32 exec_lo, exec_lo, s18
	v_lshrrev_b16 v2, 8, v48
	s_mov_b32 s18, exec_lo
	v_cmpx_ne_u16_e32 0, v2
	s_cbranch_execz .LBB329_1430
; %bb.1423:                             ;   in Loop: Header=BB329_819 Depth=1
	v_bfrev_b32_e32 v25, 1
	s_mov_b32 s19, exec_lo
	v_cmpx_ne_u16_e32 0x80, v2
	s_cbranch_execz .LBB329_1429
; %bb.1424:                             ;   in Loop: Header=BB329_819 Depth=1
	v_and_b32_e32 v2, 0xffff, v2
	v_mov_b32_e32 v25, 0x7f800001
	s_mov_b32 s20, exec_lo
	s_delay_alu instid0(VALU_DEP_2) | instskip(NEXT) | instid1(VALU_DEP_1)
	v_and_b32_e32 v3, 0x7f, v2
	v_cmpx_ne_u32_e32 0x7f, v3
	s_cbranch_execz .LBB329_1428
; %bb.1425:                             ;   in Loop: Header=BB329_819 Depth=1
	v_dual_lshrrev_b32 v2, 3, v3 :: v_dual_bitop2_b32 v26, 7, v2 bitop3:0x40
	s_mov_b32 s21, exec_lo
	v_cmpx_gt_u32_e32 8, v3
; %bb.1426:                             ;   in Loop: Header=BB329_819 Depth=1
	s_delay_alu instid0(VALU_DEP_2) | instskip(NEXT) | instid1(VALU_DEP_1)
	v_clz_i32_u32_e32 v2, v26
	v_min_u32_e32 v2, 32, v2
	s_delay_alu instid0(VALU_DEP_1) | instskip(NEXT) | instid1(VALU_DEP_1)
	v_subrev_nc_u32_e32 v3, 28, v2
	v_lshlrev_b64_e32 v[4:5], v3, v[26:27]
	s_delay_alu instid0(VALU_DEP_1)
	v_dual_sub_nc_u32 v2, 29, v2 :: v_dual_bitop2_b32 v26, 7, v4 bitop3:0x40
; %bb.1427:                             ;   in Loop: Header=BB329_819 Depth=1
	s_or_b32 exec_lo, exec_lo, s21
	s_delay_alu instid0(VALU_DEP_1) | instskip(NEXT) | instid1(VALU_DEP_2)
	v_dual_lshlrev_b32 v3, 16, v48 :: v_dual_lshlrev_b32 v4, 20, v26
	v_lshl_add_u32 v2, v2, 23, 0x3c000000
	s_delay_alu instid0(VALU_DEP_2) | instskip(NEXT) | instid1(VALU_DEP_1)
	v_and_b32_e32 v3, 0x80000000, v3
	v_or3_b32 v25, v4, v3, v2
.LBB329_1428:                           ;   in Loop: Header=BB329_819 Depth=1
	s_or_b32 exec_lo, exec_lo, s20
.LBB329_1429:                           ;   in Loop: Header=BB329_819 Depth=1
	s_delay_alu instid0(SALU_CYCLE_1)
	s_or_b32 exec_lo, exec_lo, s19
.LBB329_1430:                           ;   in Loop: Header=BB329_819 Depth=1
	s_delay_alu instid0(SALU_CYCLE_1) | instskip(SKIP_3) | instid1(VALU_DEP_2)
	s_or_b32 exec_lo, exec_lo, s18
	v_dual_lshrrev_b32 v2, 16, v48 :: v_dual_mov_b32 v16, 0
	v_mov_b32_e32 v17, 0
	s_mov_b32 s18, exec_lo
	v_and_b32_e32 v3, 0xff, v2
	s_delay_alu instid0(VALU_DEP_1)
	v_cmpx_ne_u16_e32 0, v3
	s_cbranch_execz .LBB329_1438
; %bb.1431:                             ;   in Loop: Header=BB329_819 Depth=1
	v_bfrev_b32_e32 v17, 1
	s_mov_b32 s19, exec_lo
	v_cmpx_ne_u16_e32 0x80, v3
	s_cbranch_execz .LBB329_1437
; %bb.1432:                             ;   in Loop: Header=BB329_819 Depth=1
	v_bfe_u32 v4, v48, 16, 7
	v_mov_b32_e32 v17, 0x7f800001
	s_mov_b32 s20, exec_lo
	s_delay_alu instid0(VALU_DEP_2)
	v_cmpx_ne_u32_e32 0x7f, v4
	s_cbranch_execz .LBB329_1436
; %bb.1433:                             ;   in Loop: Header=BB329_819 Depth=1
	v_dual_lshrrev_b32 v3, 3, v4 :: v_dual_bitop2_b32 v26, 7, v2 bitop3:0x40
	s_mov_b32 s21, exec_lo
	v_cmpx_gt_u32_e32 8, v4
; %bb.1434:                             ;   in Loop: Header=BB329_819 Depth=1
	s_delay_alu instid0(VALU_DEP_2) | instskip(NEXT) | instid1(VALU_DEP_1)
	v_clz_i32_u32_e32 v3, v26
	v_min_u32_e32 v3, 32, v3
	s_delay_alu instid0(VALU_DEP_1) | instskip(NEXT) | instid1(VALU_DEP_1)
	v_subrev_nc_u32_e32 v4, 28, v3
	v_lshlrev_b64_e32 v[4:5], v4, v[26:27]
	s_delay_alu instid0(VALU_DEP_1)
	v_dual_sub_nc_u32 v3, 29, v3 :: v_dual_bitop2_b32 v26, 7, v4 bitop3:0x40
; %bb.1435:                             ;   in Loop: Header=BB329_819 Depth=1
	s_or_b32 exec_lo, exec_lo, s21
	v_lshlrev_b32_e32 v2, 24, v2
	s_delay_alu instid0(VALU_DEP_2) | instskip(NEXT) | instid1(VALU_DEP_3)
	v_lshlrev_b32_e32 v4, 20, v26
	v_lshl_add_u32 v3, v3, 23, 0x3c000000
	s_delay_alu instid0(VALU_DEP_3) | instskip(NEXT) | instid1(VALU_DEP_1)
	v_and_b32_e32 v2, 0x80000000, v2
	v_or3_b32 v17, v4, v2, v3
.LBB329_1436:                           ;   in Loop: Header=BB329_819 Depth=1
	s_or_b32 exec_lo, exec_lo, s20
.LBB329_1437:                           ;   in Loop: Header=BB329_819 Depth=1
	s_delay_alu instid0(SALU_CYCLE_1)
	s_or_b32 exec_lo, exec_lo, s19
.LBB329_1438:                           ;   in Loop: Header=BB329_819 Depth=1
	s_delay_alu instid0(SALU_CYCLE_1) | instskip(NEXT) | instid1(SALU_CYCLE_1)
	s_or_b32 exec_lo, exec_lo, s18
	s_mov_b32 s18, exec_lo
	v_cmpx_lt_u32_e32 0xffffff, v48
	s_cbranch_execz .LBB329_1446
; %bb.1439:                             ;   in Loop: Header=BB329_819 Depth=1
	v_lshrrev_b32_e32 v2, 24, v48
	v_bfrev_b32_e32 v16, 1
	s_mov_b32 s19, exec_lo
	s_delay_alu instid0(VALU_DEP_2)
	v_cmpx_ne_u32_e32 0x80, v2
	s_cbranch_execz .LBB329_1445
; %bb.1440:                             ;   in Loop: Header=BB329_819 Depth=1
	v_bfe_u32 v4, v48, 24, 7
	v_mov_b32_e32 v16, 0x7f800001
	s_mov_b32 s20, exec_lo
	s_delay_alu instid0(VALU_DEP_2)
	v_cmpx_ne_u32_e32 0x7f, v4
	s_cbranch_execz .LBB329_1444
; %bb.1441:                             ;   in Loop: Header=BB329_819 Depth=1
	v_dual_lshrrev_b32 v3, 3, v4 :: v_dual_bitop2_b32 v26, 7, v2 bitop3:0x40
	s_mov_b32 s21, exec_lo
	v_cmpx_gt_u32_e32 8, v4
; %bb.1442:                             ;   in Loop: Header=BB329_819 Depth=1
	s_delay_alu instid0(VALU_DEP_2) | instskip(NEXT) | instid1(VALU_DEP_1)
	v_clz_i32_u32_e32 v3, v26
	v_min_u32_e32 v3, 32, v3
	s_delay_alu instid0(VALU_DEP_1) | instskip(NEXT) | instid1(VALU_DEP_1)
	v_subrev_nc_u32_e32 v4, 28, v3
	v_lshlrev_b64_e32 v[4:5], v4, v[26:27]
	s_delay_alu instid0(VALU_DEP_1)
	v_dual_sub_nc_u32 v3, 29, v3 :: v_dual_bitop2_b32 v26, 7, v4 bitop3:0x40
; %bb.1443:                             ;   in Loop: Header=BB329_819 Depth=1
	s_or_b32 exec_lo, exec_lo, s21
	v_lshlrev_b32_e32 v2, 24, v2
	s_delay_alu instid0(VALU_DEP_2) | instskip(NEXT) | instid1(VALU_DEP_3)
	v_lshlrev_b32_e32 v4, 20, v26
	v_lshl_add_u32 v3, v3, 23, 0x3c000000
	s_delay_alu instid0(VALU_DEP_3) | instskip(NEXT) | instid1(VALU_DEP_1)
	v_and_b32_e32 v2, 0x80000000, v2
	v_or3_b32 v16, v4, v2, v3
.LBB329_1444:                           ;   in Loop: Header=BB329_819 Depth=1
	s_or_b32 exec_lo, exec_lo, s20
.LBB329_1445:                           ;   in Loop: Header=BB329_819 Depth=1
	s_delay_alu instid0(SALU_CYCLE_1)
	s_or_b32 exec_lo, exec_lo, s19
.LBB329_1446:                           ;   in Loop: Header=BB329_819 Depth=1
	s_delay_alu instid0(SALU_CYCLE_1) | instskip(SKIP_4) | instid1(VALU_DEP_3)
	s_or_b32 exec_lo, exec_lo, s18
	v_and_b32_e32 v4, 0xff, v49
	v_dual_mov_b32 v26, v49 :: v_dual_mov_b32 v3, 0
	v_mov_b32_e32 v2, 0
	s_mov_b32 s18, exec_lo
	v_cmpx_ne_u16_e32 0, v4
	s_cbranch_execz .LBB329_1454
; %bb.1447:                             ;   in Loop: Header=BB329_819 Depth=1
	v_bfrev_b32_e32 v2, 1
	s_mov_b32 s19, exec_lo
	v_cmpx_ne_u16_e32 0x80, v4
	s_cbranch_execz .LBB329_1453
; %bb.1448:                             ;   in Loop: Header=BB329_819 Depth=1
	v_and_b32_e32 v4, 0x7f, v49
	v_mov_b32_e32 v2, 0x7f800001
	s_mov_b32 s20, exec_lo
	s_delay_alu instid0(VALU_DEP_2)
	v_cmpx_ne_u32_e32 0x7f, v4
	s_cbranch_execz .LBB329_1452
; %bb.1449:                             ;   in Loop: Header=BB329_819 Depth=1
	v_mov_b64_e32 v[50:51], v[26:27]
	v_lshrrev_b32_e32 v2, 3, v4
	s_mov_b32 s21, exec_lo
	v_cmpx_gt_u32_e32 8, v4
; %bb.1450:                             ;   in Loop: Header=BB329_819 Depth=1
	v_and_b32_e32 v2, 7, v49
	s_delay_alu instid0(VALU_DEP_1) | instskip(NEXT) | instid1(VALU_DEP_1)
	v_clz_i32_u32_e32 v2, v2
	v_min_u32_e32 v2, 32, v2
	s_delay_alu instid0(VALU_DEP_1) | instskip(SKIP_1) | instid1(VALU_DEP_2)
	v_subrev_nc_u32_e32 v4, 28, v2
	v_sub_nc_u32_e32 v2, 29, v2
	v_lshlrev_b64_e32 v[50:51], v4, v[26:27]
; %bb.1451:                             ;   in Loop: Header=BB329_819 Depth=1
	s_or_b32 exec_lo, exec_lo, s21
	s_delay_alu instid0(VALU_DEP_1) | instskip(SKIP_2) | instid1(VALU_DEP_3)
	v_lshlrev_b32_e32 v4, 20, v50
	v_lshlrev_b32_e32 v5, 24, v26
	v_lshl_add_u32 v2, v2, 23, 0x3c000000
	v_and_b32_e32 v4, 0x700000, v4
	s_delay_alu instid0(VALU_DEP_3) | instskip(NEXT) | instid1(VALU_DEP_1)
	v_and_b32_e32 v5, 0x80000000, v5
	v_or3_b32 v2, v4, v5, v2
.LBB329_1452:                           ;   in Loop: Header=BB329_819 Depth=1
	s_or_b32 exec_lo, exec_lo, s20
.LBB329_1453:                           ;   in Loop: Header=BB329_819 Depth=1
	s_delay_alu instid0(SALU_CYCLE_1)
	s_or_b32 exec_lo, exec_lo, s19
.LBB329_1454:                           ;   in Loop: Header=BB329_819 Depth=1
	s_delay_alu instid0(SALU_CYCLE_1) | instskip(SKIP_2) | instid1(VALU_DEP_1)
	s_or_b32 exec_lo, exec_lo, s18
	v_lshrrev_b16 v4, 8, v26
	s_mov_b32 s18, exec_lo
	v_cmpx_ne_u16_e32 0, v4
	s_cbranch_execz .LBB329_1462
; %bb.1455:                             ;   in Loop: Header=BB329_819 Depth=1
	v_bfrev_b32_e32 v3, 1
	s_mov_b32 s19, exec_lo
	v_cmpx_ne_u16_e32 0x80, v4
	s_cbranch_execz .LBB329_1461
; %bb.1456:                             ;   in Loop: Header=BB329_819 Depth=1
	v_and_b32_e32 v5, 0xffff, v4
	v_mov_b32_e32 v3, 0x7f800001
	s_mov_b32 s20, exec_lo
	s_delay_alu instid0(VALU_DEP_2) | instskip(NEXT) | instid1(VALU_DEP_1)
	v_and_b32_e32 v4, 0x7f, v5
	v_cmpx_ne_u32_e32 0x7f, v4
	s_cbranch_execz .LBB329_1460
; %bb.1457:                             ;   in Loop: Header=BB329_819 Depth=1
	v_dual_mov_b32 v51, v27 :: v_dual_bitop2_b32 v50, 7, v5 bitop3:0x40
	v_lshrrev_b32_e32 v3, 3, v4
	s_mov_b32 s21, exec_lo
	v_cmpx_gt_u32_e32 8, v4
; %bb.1458:                             ;   in Loop: Header=BB329_819 Depth=1
	s_delay_alu instid0(VALU_DEP_3) | instskip(NEXT) | instid1(VALU_DEP_1)
	v_clz_i32_u32_e32 v3, v50
	v_min_u32_e32 v3, 32, v3
	s_delay_alu instid0(VALU_DEP_1) | instskip(NEXT) | instid1(VALU_DEP_1)
	v_subrev_nc_u32_e32 v4, 28, v3
	v_lshlrev_b64_e32 v[4:5], v4, v[50:51]
	s_delay_alu instid0(VALU_DEP_1)
	v_dual_sub_nc_u32 v3, 29, v3 :: v_dual_bitop2_b32 v50, 7, v4 bitop3:0x40
; %bb.1459:                             ;   in Loop: Header=BB329_819 Depth=1
	s_or_b32 exec_lo, exec_lo, s21
	v_lshlrev_b32_e32 v4, 16, v26
	s_delay_alu instid0(VALU_DEP_2) | instskip(NEXT) | instid1(VALU_DEP_3)
	v_lshlrev_b32_e32 v5, 20, v50
	v_lshl_add_u32 v3, v3, 23, 0x3c000000
	s_delay_alu instid0(VALU_DEP_3) | instskip(NEXT) | instid1(VALU_DEP_1)
	v_and_b32_e32 v4, 0x80000000, v4
	v_or3_b32 v3, v5, v4, v3
.LBB329_1460:                           ;   in Loop: Header=BB329_819 Depth=1
	s_or_b32 exec_lo, exec_lo, s20
.LBB329_1461:                           ;   in Loop: Header=BB329_819 Depth=1
	s_delay_alu instid0(SALU_CYCLE_1)
	s_or_b32 exec_lo, exec_lo, s19
.LBB329_1462:                           ;   in Loop: Header=BB329_819 Depth=1
	s_delay_alu instid0(SALU_CYCLE_1) | instskip(SKIP_3) | instid1(VALU_DEP_2)
	s_or_b32 exec_lo, exec_lo, s18
	v_dual_lshrrev_b32 v6, 16, v49 :: v_dual_mov_b32 v4, 0
	v_mov_b32_e32 v5, 0
	s_mov_b32 s18, exec_lo
	v_and_b32_e32 v7, 0xff, v6
	s_delay_alu instid0(VALU_DEP_1)
	v_cmpx_ne_u16_e32 0, v7
	s_cbranch_execz .LBB329_1470
; %bb.1463:                             ;   in Loop: Header=BB329_819 Depth=1
	v_bfrev_b32_e32 v5, 1
	s_mov_b32 s19, exec_lo
	v_cmpx_ne_u16_e32 0x80, v7
	s_cbranch_execz .LBB329_1469
; %bb.1464:                             ;   in Loop: Header=BB329_819 Depth=1
	v_bfe_u32 v7, v49, 16, 7
	v_mov_b32_e32 v5, 0x7f800001
	s_mov_b32 s20, exec_lo
	s_delay_alu instid0(VALU_DEP_2)
	v_cmpx_ne_u32_e32 0x7f, v7
	s_cbranch_execz .LBB329_1468
; %bb.1465:                             ;   in Loop: Header=BB329_819 Depth=1
	v_dual_lshrrev_b32 v5, 3, v7 :: v_dual_bitop2_b32 v26, 7, v6 bitop3:0x40
	s_mov_b32 s21, exec_lo
	v_cmpx_gt_u32_e32 8, v7
; %bb.1466:                             ;   in Loop: Header=BB329_819 Depth=1
	s_delay_alu instid0(VALU_DEP_2) | instskip(NEXT) | instid1(VALU_DEP_1)
	v_clz_i32_u32_e32 v5, v26
	v_min_u32_e32 v5, 32, v5
	s_delay_alu instid0(VALU_DEP_1) | instskip(NEXT) | instid1(VALU_DEP_1)
	v_subrev_nc_u32_e32 v7, 28, v5
	v_lshlrev_b64_e32 v[8:9], v7, v[26:27]
	s_delay_alu instid0(VALU_DEP_1)
	v_dual_sub_nc_u32 v5, 29, v5 :: v_dual_bitop2_b32 v26, 7, v8 bitop3:0x40
; %bb.1467:                             ;   in Loop: Header=BB329_819 Depth=1
	s_or_b32 exec_lo, exec_lo, s21
	v_lshlrev_b32_e32 v6, 24, v6
	s_delay_alu instid0(VALU_DEP_2) | instskip(NEXT) | instid1(VALU_DEP_3)
	v_lshlrev_b32_e32 v7, 20, v26
	v_lshl_add_u32 v5, v5, 23, 0x3c000000
	s_delay_alu instid0(VALU_DEP_3) | instskip(NEXT) | instid1(VALU_DEP_1)
	v_and_b32_e32 v6, 0x80000000, v6
	v_or3_b32 v5, v7, v6, v5
.LBB329_1468:                           ;   in Loop: Header=BB329_819 Depth=1
	s_or_b32 exec_lo, exec_lo, s20
.LBB329_1469:                           ;   in Loop: Header=BB329_819 Depth=1
	s_delay_alu instid0(SALU_CYCLE_1)
	s_or_b32 exec_lo, exec_lo, s19
.LBB329_1470:                           ;   in Loop: Header=BB329_819 Depth=1
	s_delay_alu instid0(SALU_CYCLE_1) | instskip(NEXT) | instid1(SALU_CYCLE_1)
	s_or_b32 exec_lo, exec_lo, s18
	s_mov_b32 s18, exec_lo
	v_cmpx_lt_u64_e64 s[2:3], v[48:49]
	s_cbranch_execz .LBB329_1478
; %bb.1471:                             ;   in Loop: Header=BB329_819 Depth=1
	v_lshrrev_b32_e32 v6, 24, v49
	v_bfrev_b32_e32 v4, 1
	s_mov_b32 s19, exec_lo
	s_delay_alu instid0(VALU_DEP_2)
	v_cmpx_ne_u32_e32 0x80, v6
	s_cbranch_execz .LBB329_1477
; %bb.1472:                             ;   in Loop: Header=BB329_819 Depth=1
	v_bfe_u32 v7, v49, 24, 7
	v_mov_b32_e32 v4, 0x7f800001
	s_mov_b32 s20, exec_lo
	s_delay_alu instid0(VALU_DEP_2)
	v_cmpx_ne_u32_e32 0x7f, v7
	s_cbranch_execz .LBB329_1476
; %bb.1473:                             ;   in Loop: Header=BB329_819 Depth=1
	v_dual_lshrrev_b32 v4, 3, v7 :: v_dual_bitop2_b32 v26, 7, v6 bitop3:0x40
	s_mov_b32 s21, exec_lo
	v_cmpx_gt_u32_e32 8, v7
; %bb.1474:                             ;   in Loop: Header=BB329_819 Depth=1
	s_delay_alu instid0(VALU_DEP_2) | instskip(NEXT) | instid1(VALU_DEP_1)
	v_clz_i32_u32_e32 v4, v26
	v_min_u32_e32 v4, 32, v4
	s_delay_alu instid0(VALU_DEP_1) | instskip(SKIP_1) | instid1(VALU_DEP_2)
	v_subrev_nc_u32_e32 v7, 28, v4
	v_sub_nc_u32_e32 v4, 29, v4
	v_lshlrev_b64_e32 v[8:9], v7, v[26:27]
	s_delay_alu instid0(VALU_DEP_1)
	v_and_b32_e32 v26, 7, v8
; %bb.1475:                             ;   in Loop: Header=BB329_819 Depth=1
	s_or_b32 exec_lo, exec_lo, s21
	v_lshlrev_b32_e32 v6, 24, v6
	s_delay_alu instid0(VALU_DEP_2) | instskip(SKIP_1) | instid1(VALU_DEP_3)
	v_lshlrev_b32_e32 v7, 20, v26
	v_lshl_add_u32 v4, v4, 23, 0x3c000000
	v_and_b32_e32 v6, 0x80000000, v6
	s_delay_alu instid0(VALU_DEP_1)
	v_or3_b32 v4, v7, v6, v4
.LBB329_1476:                           ;   in Loop: Header=BB329_819 Depth=1
	s_or_b32 exec_lo, exec_lo, s20
.LBB329_1477:                           ;   in Loop: Header=BB329_819 Depth=1
	s_delay_alu instid0(SALU_CYCLE_1)
	s_or_b32 exec_lo, exec_lo, s19
.LBB329_1478:                           ;   in Loop: Header=BB329_819 Depth=1
	s_delay_alu instid0(SALU_CYCLE_1)
	s_or_b32 exec_lo, exec_lo, s18
	v_fma_mixlo_bf16 v18, v82, v3, 0
	v_fma_mixlo_bf16 v35, v82, v2, 0
	;; [unrolled: 1-line block ×8, first 2 shown]
	s_and_saveexec_b32 s18, vcc_lo
	s_cbranch_execz .LBB329_1480
; %bb.1479:                             ;   in Loop: Header=BB329_819 Depth=1
	v_cmp_lt_i32_e64 s0, v118, v99
	s_delay_alu instid0(VALU_DEP_1) | instskip(SKIP_1) | instid1(VALU_DEP_1)
	v_cndmask_b32_e64 v36, 0, v36, s0
	v_cmp_lt_i32_e64 s0, v42, v99
	v_cndmask_b32_e64 v67, 0, v67, s0
	v_cmp_lt_i32_e64 s0, v41, v99
	s_delay_alu instid0(VALU_DEP_1) | instskip(SKIP_1) | instid1(VALU_DEP_1)
	v_cndmask_b32_e64 v17, 0, v17, s0
	v_cmp_lt_i32_e64 s0, v40, v99
	v_cndmask_b32_e64 v16, 0, v16, s0
	;; [unrolled: 5-line block ×4, first 2 shown]
.LBB329_1480:                           ;   in Loop: Header=BB329_819 Depth=1
	s_or_b32 exec_lo, exec_lo, s18
	flat_load_b64 v[48:49], v[38:39] offset:2560
	v_dual_mov_b32 v55, 0 :: v_dual_mov_b32 v37, 0
	s_mov_b32 s18, exec_lo
	s_wait_loadcnt_dscnt 0x0
	v_and_b32_e32 v2, 0xff, v48
	s_wait_xcnt 0x0
	s_delay_alu instid0(VALU_DEP_1)
	v_cmpx_ne_u16_e32 0, v2
	s_cbranch_execz .LBB329_1488
; %bb.1481:                             ;   in Loop: Header=BB329_819 Depth=1
	v_bfrev_b32_e32 v37, 1
	s_mov_b32 s19, exec_lo
	v_cmpx_ne_u16_e32 0x80, v2
	s_cbranch_execz .LBB329_1487
; %bb.1482:                             ;   in Loop: Header=BB329_819 Depth=1
	v_and_b32_e32 v3, 0x7f, v48
	v_mov_b32_e32 v37, 0x7f800001
	s_mov_b32 s20, exec_lo
	s_delay_alu instid0(VALU_DEP_2)
	v_cmpx_ne_u32_e32 0x7f, v3
	s_cbranch_execz .LBB329_1486
; %bb.1483:                             ;   in Loop: Header=BB329_819 Depth=1
	v_mov_b64_e32 v[50:51], v[48:49]
	v_lshrrev_b32_e32 v2, 3, v3
	s_mov_b32 s21, exec_lo
	v_cmpx_gt_u32_e32 8, v3
; %bb.1484:                             ;   in Loop: Header=BB329_819 Depth=1
	v_and_b32_e32 v2, 7, v48
	s_delay_alu instid0(VALU_DEP_1) | instskip(NEXT) | instid1(VALU_DEP_1)
	v_clz_i32_u32_e32 v2, v2
	v_min_u32_e32 v2, 32, v2
	s_delay_alu instid0(VALU_DEP_1) | instskip(SKIP_1) | instid1(VALU_DEP_2)
	v_subrev_nc_u32_e32 v3, 28, v2
	v_sub_nc_u32_e32 v2, 29, v2
	v_lshlrev_b64_e32 v[50:51], v3, v[48:49]
; %bb.1485:                             ;   in Loop: Header=BB329_819 Depth=1
	s_or_b32 exec_lo, exec_lo, s21
	s_delay_alu instid0(VALU_DEP_1) | instskip(NEXT) | instid1(VALU_DEP_3)
	v_dual_lshlrev_b32 v3, 20, v50 :: v_dual_lshlrev_b32 v4, 24, v48
	v_lshl_add_u32 v2, v2, 23, 0x3c000000
	s_delay_alu instid0(VALU_DEP_2) | instskip(NEXT) | instid1(VALU_DEP_3)
	v_and_b32_e32 v3, 0x700000, v3
	v_and_b32_e32 v4, 0x80000000, v4
	s_delay_alu instid0(VALU_DEP_1)
	v_or3_b32 v37, v3, v4, v2
.LBB329_1486:                           ;   in Loop: Header=BB329_819 Depth=1
	s_or_b32 exec_lo, exec_lo, s20
.LBB329_1487:                           ;   in Loop: Header=BB329_819 Depth=1
	s_delay_alu instid0(SALU_CYCLE_1)
	s_or_b32 exec_lo, exec_lo, s19
.LBB329_1488:                           ;   in Loop: Header=BB329_819 Depth=1
	s_delay_alu instid0(SALU_CYCLE_1) | instskip(SKIP_2) | instid1(VALU_DEP_1)
	s_or_b32 exec_lo, exec_lo, s18
	v_lshrrev_b16 v2, 8, v48
	s_mov_b32 s18, exec_lo
	v_cmpx_ne_u16_e32 0, v2
	s_cbranch_execz .LBB329_1496
; %bb.1489:                             ;   in Loop: Header=BB329_819 Depth=1
	v_bfrev_b32_e32 v55, 1
	s_mov_b32 s19, exec_lo
	v_cmpx_ne_u16_e32 0x80, v2
	s_cbranch_execz .LBB329_1495
; %bb.1490:                             ;   in Loop: Header=BB329_819 Depth=1
	v_and_b32_e32 v2, 0xffff, v2
	v_mov_b32_e32 v55, 0x7f800001
	s_mov_b32 s20, exec_lo
	s_delay_alu instid0(VALU_DEP_2) | instskip(NEXT) | instid1(VALU_DEP_1)
	v_and_b32_e32 v3, 0x7f, v2
	v_cmpx_ne_u32_e32 0x7f, v3
	s_cbranch_execz .LBB329_1494
; %bb.1491:                             ;   in Loop: Header=BB329_819 Depth=1
	v_dual_lshrrev_b32 v2, 3, v3 :: v_dual_bitop2_b32 v26, 7, v2 bitop3:0x40
	s_mov_b32 s21, exec_lo
	v_cmpx_gt_u32_e32 8, v3
; %bb.1492:                             ;   in Loop: Header=BB329_819 Depth=1
	s_delay_alu instid0(VALU_DEP_2) | instskip(NEXT) | instid1(VALU_DEP_1)
	v_clz_i32_u32_e32 v2, v26
	v_min_u32_e32 v2, 32, v2
	s_delay_alu instid0(VALU_DEP_1) | instskip(NEXT) | instid1(VALU_DEP_1)
	v_subrev_nc_u32_e32 v3, 28, v2
	v_lshlrev_b64_e32 v[4:5], v3, v[26:27]
	s_delay_alu instid0(VALU_DEP_1)
	v_dual_sub_nc_u32 v2, 29, v2 :: v_dual_bitop2_b32 v26, 7, v4 bitop3:0x40
; %bb.1493:                             ;   in Loop: Header=BB329_819 Depth=1
	s_or_b32 exec_lo, exec_lo, s21
	s_delay_alu instid0(VALU_DEP_1) | instskip(NEXT) | instid1(VALU_DEP_2)
	v_dual_lshlrev_b32 v3, 16, v48 :: v_dual_lshlrev_b32 v4, 20, v26
	v_lshl_add_u32 v2, v2, 23, 0x3c000000
	s_delay_alu instid0(VALU_DEP_2) | instskip(NEXT) | instid1(VALU_DEP_1)
	v_and_b32_e32 v3, 0x80000000, v3
	v_or3_b32 v55, v4, v3, v2
.LBB329_1494:                           ;   in Loop: Header=BB329_819 Depth=1
	s_or_b32 exec_lo, exec_lo, s20
.LBB329_1495:                           ;   in Loop: Header=BB329_819 Depth=1
	s_delay_alu instid0(SALU_CYCLE_1)
	s_or_b32 exec_lo, exec_lo, s19
.LBB329_1496:                           ;   in Loop: Header=BB329_819 Depth=1
	s_delay_alu instid0(SALU_CYCLE_1) | instskip(SKIP_3) | instid1(VALU_DEP_2)
	s_or_b32 exec_lo, exec_lo, s18
	v_dual_mov_b32 v65, 0 :: v_dual_lshrrev_b32 v2, 16, v48
	v_mov_b32_e32 v64, 0
	s_mov_b32 s18, exec_lo
	v_and_b32_e32 v3, 0xff, v2
	s_delay_alu instid0(VALU_DEP_1)
	v_cmpx_ne_u16_e32 0, v3
	s_cbranch_execz .LBB329_1504
; %bb.1497:                             ;   in Loop: Header=BB329_819 Depth=1
	v_bfrev_b32_e32 v64, 1
	s_mov_b32 s19, exec_lo
	v_cmpx_ne_u16_e32 0x80, v3
	s_cbranch_execz .LBB329_1503
; %bb.1498:                             ;   in Loop: Header=BB329_819 Depth=1
	v_bfe_u32 v4, v48, 16, 7
	v_mov_b32_e32 v64, 0x7f800001
	s_mov_b32 s20, exec_lo
	s_delay_alu instid0(VALU_DEP_2)
	v_cmpx_ne_u32_e32 0x7f, v4
	s_cbranch_execz .LBB329_1502
; %bb.1499:                             ;   in Loop: Header=BB329_819 Depth=1
	v_dual_lshrrev_b32 v3, 3, v4 :: v_dual_bitop2_b32 v26, 7, v2 bitop3:0x40
	s_mov_b32 s21, exec_lo
	v_cmpx_gt_u32_e32 8, v4
; %bb.1500:                             ;   in Loop: Header=BB329_819 Depth=1
	s_delay_alu instid0(VALU_DEP_2) | instskip(NEXT) | instid1(VALU_DEP_1)
	v_clz_i32_u32_e32 v3, v26
	v_min_u32_e32 v3, 32, v3
	s_delay_alu instid0(VALU_DEP_1) | instskip(NEXT) | instid1(VALU_DEP_1)
	v_subrev_nc_u32_e32 v4, 28, v3
	v_lshlrev_b64_e32 v[4:5], v4, v[26:27]
	s_delay_alu instid0(VALU_DEP_1)
	v_dual_sub_nc_u32 v3, 29, v3 :: v_dual_bitop2_b32 v26, 7, v4 bitop3:0x40
; %bb.1501:                             ;   in Loop: Header=BB329_819 Depth=1
	s_or_b32 exec_lo, exec_lo, s21
	v_lshlrev_b32_e32 v2, 24, v2
	s_delay_alu instid0(VALU_DEP_2) | instskip(NEXT) | instid1(VALU_DEP_3)
	v_lshlrev_b32_e32 v4, 20, v26
	v_lshl_add_u32 v3, v3, 23, 0x3c000000
	s_delay_alu instid0(VALU_DEP_3) | instskip(NEXT) | instid1(VALU_DEP_1)
	v_and_b32_e32 v2, 0x80000000, v2
	v_or3_b32 v64, v4, v2, v3
.LBB329_1502:                           ;   in Loop: Header=BB329_819 Depth=1
	s_or_b32 exec_lo, exec_lo, s20
.LBB329_1503:                           ;   in Loop: Header=BB329_819 Depth=1
	s_delay_alu instid0(SALU_CYCLE_1)
	s_or_b32 exec_lo, exec_lo, s19
.LBB329_1504:                           ;   in Loop: Header=BB329_819 Depth=1
	s_delay_alu instid0(SALU_CYCLE_1) | instskip(NEXT) | instid1(SALU_CYCLE_1)
	s_or_b32 exec_lo, exec_lo, s18
	s_mov_b32 s18, exec_lo
	v_cmpx_lt_u32_e32 0xffffff, v48
	s_cbranch_execz .LBB329_1512
; %bb.1505:                             ;   in Loop: Header=BB329_819 Depth=1
	v_lshrrev_b32_e32 v2, 24, v48
	v_bfrev_b32_e32 v65, 1
	s_mov_b32 s19, exec_lo
	s_delay_alu instid0(VALU_DEP_2)
	v_cmpx_ne_u32_e32 0x80, v2
	s_cbranch_execz .LBB329_1511
; %bb.1506:                             ;   in Loop: Header=BB329_819 Depth=1
	v_bfe_u32 v4, v48, 24, 7
	v_mov_b32_e32 v65, 0x7f800001
	s_mov_b32 s20, exec_lo
	s_delay_alu instid0(VALU_DEP_2)
	v_cmpx_ne_u32_e32 0x7f, v4
	s_cbranch_execz .LBB329_1510
; %bb.1507:                             ;   in Loop: Header=BB329_819 Depth=1
	v_dual_lshrrev_b32 v3, 3, v4 :: v_dual_bitop2_b32 v26, 7, v2 bitop3:0x40
	s_mov_b32 s21, exec_lo
	v_cmpx_gt_u32_e32 8, v4
; %bb.1508:                             ;   in Loop: Header=BB329_819 Depth=1
	s_delay_alu instid0(VALU_DEP_2) | instskip(NEXT) | instid1(VALU_DEP_1)
	v_clz_i32_u32_e32 v3, v26
	v_min_u32_e32 v3, 32, v3
	s_delay_alu instid0(VALU_DEP_1) | instskip(NEXT) | instid1(VALU_DEP_1)
	v_subrev_nc_u32_e32 v4, 28, v3
	v_lshlrev_b64_e32 v[4:5], v4, v[26:27]
	s_delay_alu instid0(VALU_DEP_1)
	v_dual_sub_nc_u32 v3, 29, v3 :: v_dual_bitop2_b32 v26, 7, v4 bitop3:0x40
; %bb.1509:                             ;   in Loop: Header=BB329_819 Depth=1
	s_or_b32 exec_lo, exec_lo, s21
	v_lshlrev_b32_e32 v2, 24, v2
	s_delay_alu instid0(VALU_DEP_2) | instskip(NEXT) | instid1(VALU_DEP_3)
	v_lshlrev_b32_e32 v4, 20, v26
	v_lshl_add_u32 v3, v3, 23, 0x3c000000
	s_delay_alu instid0(VALU_DEP_3) | instskip(NEXT) | instid1(VALU_DEP_1)
	v_and_b32_e32 v2, 0x80000000, v2
	v_or3_b32 v65, v4, v2, v3
.LBB329_1510:                           ;   in Loop: Header=BB329_819 Depth=1
	s_or_b32 exec_lo, exec_lo, s20
.LBB329_1511:                           ;   in Loop: Header=BB329_819 Depth=1
	s_delay_alu instid0(SALU_CYCLE_1)
	s_or_b32 exec_lo, exec_lo, s19
.LBB329_1512:                           ;   in Loop: Header=BB329_819 Depth=1
	s_delay_alu instid0(SALU_CYCLE_1) | instskip(SKIP_4) | instid1(VALU_DEP_3)
	s_or_b32 exec_lo, exec_lo, s18
	v_and_b32_e32 v4, 0xff, v49
	v_dual_mov_b32 v26, v49 :: v_dual_mov_b32 v3, 0
	v_mov_b32_e32 v2, 0
	s_mov_b32 s18, exec_lo
	v_cmpx_ne_u16_e32 0, v4
	s_cbranch_execz .LBB329_1520
; %bb.1513:                             ;   in Loop: Header=BB329_819 Depth=1
	v_bfrev_b32_e32 v2, 1
	s_mov_b32 s19, exec_lo
	v_cmpx_ne_u16_e32 0x80, v4
	s_cbranch_execz .LBB329_1519
; %bb.1514:                             ;   in Loop: Header=BB329_819 Depth=1
	v_and_b32_e32 v4, 0x7f, v49
	v_mov_b32_e32 v2, 0x7f800001
	s_mov_b32 s20, exec_lo
	s_delay_alu instid0(VALU_DEP_2)
	v_cmpx_ne_u32_e32 0x7f, v4
	s_cbranch_execz .LBB329_1518
; %bb.1515:                             ;   in Loop: Header=BB329_819 Depth=1
	v_mov_b64_e32 v[50:51], v[26:27]
	v_lshrrev_b32_e32 v2, 3, v4
	s_mov_b32 s21, exec_lo
	v_cmpx_gt_u32_e32 8, v4
; %bb.1516:                             ;   in Loop: Header=BB329_819 Depth=1
	v_and_b32_e32 v2, 7, v49
	s_delay_alu instid0(VALU_DEP_1) | instskip(NEXT) | instid1(VALU_DEP_1)
	v_clz_i32_u32_e32 v2, v2
	v_min_u32_e32 v2, 32, v2
	s_delay_alu instid0(VALU_DEP_1) | instskip(SKIP_1) | instid1(VALU_DEP_2)
	v_subrev_nc_u32_e32 v4, 28, v2
	v_sub_nc_u32_e32 v2, 29, v2
	v_lshlrev_b64_e32 v[50:51], v4, v[26:27]
; %bb.1517:                             ;   in Loop: Header=BB329_819 Depth=1
	s_or_b32 exec_lo, exec_lo, s21
	s_delay_alu instid0(VALU_DEP_1) | instskip(SKIP_2) | instid1(VALU_DEP_3)
	v_lshlrev_b32_e32 v4, 20, v50
	v_lshlrev_b32_e32 v5, 24, v26
	v_lshl_add_u32 v2, v2, 23, 0x3c000000
	v_and_b32_e32 v4, 0x700000, v4
	s_delay_alu instid0(VALU_DEP_3) | instskip(NEXT) | instid1(VALU_DEP_1)
	v_and_b32_e32 v5, 0x80000000, v5
	v_or3_b32 v2, v4, v5, v2
.LBB329_1518:                           ;   in Loop: Header=BB329_819 Depth=1
	s_or_b32 exec_lo, exec_lo, s20
.LBB329_1519:                           ;   in Loop: Header=BB329_819 Depth=1
	s_delay_alu instid0(SALU_CYCLE_1)
	s_or_b32 exec_lo, exec_lo, s19
.LBB329_1520:                           ;   in Loop: Header=BB329_819 Depth=1
	s_delay_alu instid0(SALU_CYCLE_1) | instskip(SKIP_2) | instid1(VALU_DEP_1)
	s_or_b32 exec_lo, exec_lo, s18
	v_lshrrev_b16 v4, 8, v26
	s_mov_b32 s18, exec_lo
	v_cmpx_ne_u16_e32 0, v4
	s_cbranch_execz .LBB329_1528
; %bb.1521:                             ;   in Loop: Header=BB329_819 Depth=1
	v_bfrev_b32_e32 v3, 1
	s_mov_b32 s19, exec_lo
	v_cmpx_ne_u16_e32 0x80, v4
	s_cbranch_execz .LBB329_1527
; %bb.1522:                             ;   in Loop: Header=BB329_819 Depth=1
	v_and_b32_e32 v5, 0xffff, v4
	v_mov_b32_e32 v3, 0x7f800001
	s_mov_b32 s20, exec_lo
	s_delay_alu instid0(VALU_DEP_2) | instskip(NEXT) | instid1(VALU_DEP_1)
	v_and_b32_e32 v4, 0x7f, v5
	v_cmpx_ne_u32_e32 0x7f, v4
	s_cbranch_execz .LBB329_1526
; %bb.1523:                             ;   in Loop: Header=BB329_819 Depth=1
	v_dual_mov_b32 v51, v27 :: v_dual_bitop2_b32 v50, 7, v5 bitop3:0x40
	v_lshrrev_b32_e32 v3, 3, v4
	s_mov_b32 s21, exec_lo
	v_cmpx_gt_u32_e32 8, v4
; %bb.1524:                             ;   in Loop: Header=BB329_819 Depth=1
	s_delay_alu instid0(VALU_DEP_3) | instskip(NEXT) | instid1(VALU_DEP_1)
	v_clz_i32_u32_e32 v3, v50
	v_min_u32_e32 v3, 32, v3
	s_delay_alu instid0(VALU_DEP_1) | instskip(NEXT) | instid1(VALU_DEP_1)
	v_subrev_nc_u32_e32 v4, 28, v3
	v_lshlrev_b64_e32 v[4:5], v4, v[50:51]
	s_delay_alu instid0(VALU_DEP_1)
	v_dual_sub_nc_u32 v3, 29, v3 :: v_dual_bitop2_b32 v50, 7, v4 bitop3:0x40
; %bb.1525:                             ;   in Loop: Header=BB329_819 Depth=1
	s_or_b32 exec_lo, exec_lo, s21
	v_lshlrev_b32_e32 v4, 16, v26
	s_delay_alu instid0(VALU_DEP_2) | instskip(NEXT) | instid1(VALU_DEP_3)
	v_lshlrev_b32_e32 v5, 20, v50
	v_lshl_add_u32 v3, v3, 23, 0x3c000000
	s_delay_alu instid0(VALU_DEP_3) | instskip(NEXT) | instid1(VALU_DEP_1)
	v_and_b32_e32 v4, 0x80000000, v4
	v_or3_b32 v3, v5, v4, v3
.LBB329_1526:                           ;   in Loop: Header=BB329_819 Depth=1
	s_or_b32 exec_lo, exec_lo, s20
.LBB329_1527:                           ;   in Loop: Header=BB329_819 Depth=1
	s_delay_alu instid0(SALU_CYCLE_1)
	s_or_b32 exec_lo, exec_lo, s19
.LBB329_1528:                           ;   in Loop: Header=BB329_819 Depth=1
	s_delay_alu instid0(SALU_CYCLE_1) | instskip(SKIP_3) | instid1(VALU_DEP_2)
	s_or_b32 exec_lo, exec_lo, s18
	v_dual_lshrrev_b32 v6, 16, v49 :: v_dual_mov_b32 v4, 0
	v_mov_b32_e32 v5, 0
	s_mov_b32 s18, exec_lo
	v_and_b32_e32 v7, 0xff, v6
	s_delay_alu instid0(VALU_DEP_1)
	v_cmpx_ne_u16_e32 0, v7
	s_cbranch_execz .LBB329_1536
; %bb.1529:                             ;   in Loop: Header=BB329_819 Depth=1
	v_bfrev_b32_e32 v5, 1
	s_mov_b32 s19, exec_lo
	v_cmpx_ne_u16_e32 0x80, v7
	s_cbranch_execz .LBB329_1535
; %bb.1530:                             ;   in Loop: Header=BB329_819 Depth=1
	v_bfe_u32 v7, v49, 16, 7
	v_mov_b32_e32 v5, 0x7f800001
	s_mov_b32 s20, exec_lo
	s_delay_alu instid0(VALU_DEP_2)
	v_cmpx_ne_u32_e32 0x7f, v7
	s_cbranch_execz .LBB329_1534
; %bb.1531:                             ;   in Loop: Header=BB329_819 Depth=1
	v_dual_lshrrev_b32 v5, 3, v7 :: v_dual_bitop2_b32 v26, 7, v6 bitop3:0x40
	s_mov_b32 s21, exec_lo
	v_cmpx_gt_u32_e32 8, v7
; %bb.1532:                             ;   in Loop: Header=BB329_819 Depth=1
	s_delay_alu instid0(VALU_DEP_2) | instskip(NEXT) | instid1(VALU_DEP_1)
	v_clz_i32_u32_e32 v5, v26
	v_min_u32_e32 v5, 32, v5
	s_delay_alu instid0(VALU_DEP_1) | instskip(NEXT) | instid1(VALU_DEP_1)
	v_subrev_nc_u32_e32 v7, 28, v5
	v_lshlrev_b64_e32 v[8:9], v7, v[26:27]
	s_delay_alu instid0(VALU_DEP_1)
	v_dual_sub_nc_u32 v5, 29, v5 :: v_dual_bitop2_b32 v26, 7, v8 bitop3:0x40
; %bb.1533:                             ;   in Loop: Header=BB329_819 Depth=1
	s_or_b32 exec_lo, exec_lo, s21
	v_lshlrev_b32_e32 v6, 24, v6
	s_delay_alu instid0(VALU_DEP_2) | instskip(NEXT) | instid1(VALU_DEP_3)
	v_lshlrev_b32_e32 v7, 20, v26
	v_lshl_add_u32 v5, v5, 23, 0x3c000000
	s_delay_alu instid0(VALU_DEP_3) | instskip(NEXT) | instid1(VALU_DEP_1)
	v_and_b32_e32 v6, 0x80000000, v6
	v_or3_b32 v5, v7, v6, v5
.LBB329_1534:                           ;   in Loop: Header=BB329_819 Depth=1
	s_or_b32 exec_lo, exec_lo, s20
.LBB329_1535:                           ;   in Loop: Header=BB329_819 Depth=1
	s_delay_alu instid0(SALU_CYCLE_1)
	s_or_b32 exec_lo, exec_lo, s19
.LBB329_1536:                           ;   in Loop: Header=BB329_819 Depth=1
	s_delay_alu instid0(SALU_CYCLE_1) | instskip(NEXT) | instid1(SALU_CYCLE_1)
	s_or_b32 exec_lo, exec_lo, s18
	s_mov_b32 s18, exec_lo
	v_cmpx_lt_u64_e64 s[2:3], v[48:49]
	s_cbranch_execz .LBB329_1544
; %bb.1537:                             ;   in Loop: Header=BB329_819 Depth=1
	v_lshrrev_b32_e32 v6, 24, v49
	v_bfrev_b32_e32 v4, 1
	s_mov_b32 s19, exec_lo
	s_delay_alu instid0(VALU_DEP_2)
	v_cmpx_ne_u32_e32 0x80, v6
	s_cbranch_execz .LBB329_1543
; %bb.1538:                             ;   in Loop: Header=BB329_819 Depth=1
	v_bfe_u32 v7, v49, 24, 7
	v_mov_b32_e32 v4, 0x7f800001
	s_mov_b32 s20, exec_lo
	s_delay_alu instid0(VALU_DEP_2)
	v_cmpx_ne_u32_e32 0x7f, v7
	s_cbranch_execz .LBB329_1542
; %bb.1539:                             ;   in Loop: Header=BB329_819 Depth=1
	v_dual_lshrrev_b32 v4, 3, v7 :: v_dual_bitop2_b32 v26, 7, v6 bitop3:0x40
	s_mov_b32 s21, exec_lo
	v_cmpx_gt_u32_e32 8, v7
; %bb.1540:                             ;   in Loop: Header=BB329_819 Depth=1
	s_delay_alu instid0(VALU_DEP_2) | instskip(NEXT) | instid1(VALU_DEP_1)
	v_clz_i32_u32_e32 v4, v26
	v_min_u32_e32 v4, 32, v4
	s_delay_alu instid0(VALU_DEP_1) | instskip(SKIP_1) | instid1(VALU_DEP_2)
	v_subrev_nc_u32_e32 v7, 28, v4
	v_sub_nc_u32_e32 v4, 29, v4
	v_lshlrev_b64_e32 v[8:9], v7, v[26:27]
	s_delay_alu instid0(VALU_DEP_1)
	v_and_b32_e32 v26, 7, v8
; %bb.1541:                             ;   in Loop: Header=BB329_819 Depth=1
	s_or_b32 exec_lo, exec_lo, s21
	v_lshlrev_b32_e32 v6, 24, v6
	s_delay_alu instid0(VALU_DEP_2) | instskip(SKIP_1) | instid1(VALU_DEP_3)
	v_lshlrev_b32_e32 v7, 20, v26
	v_lshl_add_u32 v4, v4, 23, 0x3c000000
	v_and_b32_e32 v6, 0x80000000, v6
	s_delay_alu instid0(VALU_DEP_1)
	v_or3_b32 v4, v7, v6, v4
.LBB329_1542:                           ;   in Loop: Header=BB329_819 Depth=1
	s_or_b32 exec_lo, exec_lo, s20
.LBB329_1543:                           ;   in Loop: Header=BB329_819 Depth=1
	s_delay_alu instid0(SALU_CYCLE_1)
	s_or_b32 exec_lo, exec_lo, s19
.LBB329_1544:                           ;   in Loop: Header=BB329_819 Depth=1
	s_delay_alu instid0(SALU_CYCLE_1)
	s_or_b32 exec_lo, exec_lo, s18
	v_fma_mixlo_bf16 v19, v82, v3, 0
	v_fma_mixlo_bf16 v25, v82, v2, 0
	;; [unrolled: 1-line block ×8, first 2 shown]
	s_and_saveexec_b32 s18, vcc_lo
	s_cbranch_execz .LBB329_1546
; %bb.1545:                             ;   in Loop: Header=BB329_819 Depth=1
	v_cmp_lt_i32_e64 s0, v118, v99
	s_delay_alu instid0(VALU_DEP_1) | instskip(SKIP_1) | instid1(VALU_DEP_1)
	v_cndmask_b32_e64 v80, 0, v80, s0
	v_cmp_lt_i32_e64 s0, v42, v99
	v_cndmask_b32_e64 v71, 0, v71, s0
	v_cmp_lt_i32_e64 s0, v41, v99
	s_delay_alu instid0(VALU_DEP_1) | instskip(SKIP_1) | instid1(VALU_DEP_1)
	v_cndmask_b32_e64 v70, 0, v70, s0
	v_cmp_lt_i32_e64 s0, v40, v99
	v_cndmask_b32_e64 v65, 0, v65, s0
	;; [unrolled: 5-line block ×4, first 2 shown]
.LBB329_1546:                           ;   in Loop: Header=BB329_819 Depth=1
	s_or_b32 exec_lo, exec_lo, s18
	flat_load_b64 v[38:39], v[38:39] offset:2816
	v_dual_mov_b32 v50, 0 :: v_dual_mov_b32 v51, 0
	s_mov_b32 s18, exec_lo
	s_wait_loadcnt_dscnt 0x0
	v_and_b32_e32 v2, 0xff, v38
	s_wait_xcnt 0x0
	s_delay_alu instid0(VALU_DEP_1)
	v_cmpx_ne_u16_e32 0, v2
	s_cbranch_execz .LBB329_1554
; %bb.1547:                             ;   in Loop: Header=BB329_819 Depth=1
	v_bfrev_b32_e32 v51, 1
	s_mov_b32 s19, exec_lo
	v_cmpx_ne_u16_e32 0x80, v2
	s_cbranch_execz .LBB329_1553
; %bb.1548:                             ;   in Loop: Header=BB329_819 Depth=1
	v_and_b32_e32 v3, 0x7f, v38
	v_mov_b32_e32 v51, 0x7f800001
	s_mov_b32 s20, exec_lo
	s_delay_alu instid0(VALU_DEP_2)
	v_cmpx_ne_u32_e32 0x7f, v3
	s_cbranch_execz .LBB329_1552
; %bb.1549:                             ;   in Loop: Header=BB329_819 Depth=1
	v_mov_b64_e32 v[48:49], v[38:39]
	v_lshrrev_b32_e32 v2, 3, v3
	s_mov_b32 s21, exec_lo
	v_cmpx_gt_u32_e32 8, v3
; %bb.1550:                             ;   in Loop: Header=BB329_819 Depth=1
	v_and_b32_e32 v2, 7, v38
	s_delay_alu instid0(VALU_DEP_1) | instskip(NEXT) | instid1(VALU_DEP_1)
	v_clz_i32_u32_e32 v2, v2
	v_min_u32_e32 v2, 32, v2
	s_delay_alu instid0(VALU_DEP_1) | instskip(SKIP_1) | instid1(VALU_DEP_2)
	v_subrev_nc_u32_e32 v3, 28, v2
	v_sub_nc_u32_e32 v2, 29, v2
	v_lshlrev_b64_e32 v[48:49], v3, v[38:39]
; %bb.1551:                             ;   in Loop: Header=BB329_819 Depth=1
	s_or_b32 exec_lo, exec_lo, s21
	s_delay_alu instid0(VALU_DEP_1) | instskip(NEXT) | instid1(VALU_DEP_3)
	v_dual_lshlrev_b32 v3, 20, v48 :: v_dual_lshlrev_b32 v4, 24, v38
	v_lshl_add_u32 v2, v2, 23, 0x3c000000
	s_delay_alu instid0(VALU_DEP_2) | instskip(NEXT) | instid1(VALU_DEP_3)
	v_and_b32_e32 v3, 0x700000, v3
	v_and_b32_e32 v4, 0x80000000, v4
	s_delay_alu instid0(VALU_DEP_1)
	v_or3_b32 v51, v3, v4, v2
.LBB329_1552:                           ;   in Loop: Header=BB329_819 Depth=1
	s_or_b32 exec_lo, exec_lo, s20
.LBB329_1553:                           ;   in Loop: Header=BB329_819 Depth=1
	s_delay_alu instid0(SALU_CYCLE_1)
	s_or_b32 exec_lo, exec_lo, s19
.LBB329_1554:                           ;   in Loop: Header=BB329_819 Depth=1
	s_delay_alu instid0(SALU_CYCLE_1) | instskip(SKIP_2) | instid1(VALU_DEP_1)
	s_or_b32 exec_lo, exec_lo, s18
	v_lshrrev_b16 v2, 8, v38
	s_mov_b32 s18, exec_lo
	v_cmpx_ne_u16_e32 0, v2
	s_cbranch_execz .LBB329_1562
; %bb.1555:                             ;   in Loop: Header=BB329_819 Depth=1
	v_bfrev_b32_e32 v50, 1
	s_mov_b32 s19, exec_lo
	v_cmpx_ne_u16_e32 0x80, v2
	s_cbranch_execz .LBB329_1561
; %bb.1556:                             ;   in Loop: Header=BB329_819 Depth=1
	v_and_b32_e32 v2, 0xffff, v2
	v_mov_b32_e32 v50, 0x7f800001
	s_mov_b32 s20, exec_lo
	s_delay_alu instid0(VALU_DEP_2) | instskip(NEXT) | instid1(VALU_DEP_1)
	v_and_b32_e32 v3, 0x7f, v2
	v_cmpx_ne_u32_e32 0x7f, v3
	s_cbranch_execz .LBB329_1560
; %bb.1557:                             ;   in Loop: Header=BB329_819 Depth=1
	v_dual_lshrrev_b32 v2, 3, v3 :: v_dual_bitop2_b32 v26, 7, v2 bitop3:0x40
	s_mov_b32 s21, exec_lo
	v_cmpx_gt_u32_e32 8, v3
; %bb.1558:                             ;   in Loop: Header=BB329_819 Depth=1
	s_delay_alu instid0(VALU_DEP_2) | instskip(NEXT) | instid1(VALU_DEP_1)
	v_clz_i32_u32_e32 v2, v26
	v_min_u32_e32 v2, 32, v2
	s_delay_alu instid0(VALU_DEP_1) | instskip(NEXT) | instid1(VALU_DEP_1)
	v_subrev_nc_u32_e32 v3, 28, v2
	v_lshlrev_b64_e32 v[4:5], v3, v[26:27]
	s_delay_alu instid0(VALU_DEP_1)
	v_dual_sub_nc_u32 v2, 29, v2 :: v_dual_bitop2_b32 v26, 7, v4 bitop3:0x40
; %bb.1559:                             ;   in Loop: Header=BB329_819 Depth=1
	s_or_b32 exec_lo, exec_lo, s21
	v_lshlrev_b32_e32 v3, 16, v38
	s_delay_alu instid0(VALU_DEP_2) | instskip(NEXT) | instid1(VALU_DEP_3)
	v_lshlrev_b32_e32 v4, 20, v26
	v_lshl_add_u32 v2, v2, 23, 0x3c000000
	s_delay_alu instid0(VALU_DEP_3) | instskip(NEXT) | instid1(VALU_DEP_1)
	v_and_b32_e32 v3, 0x80000000, v3
	v_or3_b32 v50, v4, v3, v2
.LBB329_1560:                           ;   in Loop: Header=BB329_819 Depth=1
	s_or_b32 exec_lo, exec_lo, s20
.LBB329_1561:                           ;   in Loop: Header=BB329_819 Depth=1
	s_delay_alu instid0(SALU_CYCLE_1)
	s_or_b32 exec_lo, exec_lo, s19
.LBB329_1562:                           ;   in Loop: Header=BB329_819 Depth=1
	s_delay_alu instid0(SALU_CYCLE_1) | instskip(SKIP_3) | instid1(VALU_DEP_2)
	s_or_b32 exec_lo, exec_lo, s18
	v_dual_mov_b32 v2, 0 :: v_dual_lshrrev_b32 v3, 16, v38
	v_mov_b32_e32 v81, 0
	s_mov_b32 s18, exec_lo
	v_and_b32_e32 v4, 0xff, v3
	s_delay_alu instid0(VALU_DEP_1)
	v_cmpx_ne_u16_e32 0, v4
	s_cbranch_execz .LBB329_1570
; %bb.1563:                             ;   in Loop: Header=BB329_819 Depth=1
	v_bfrev_b32_e32 v81, 1
	s_mov_b32 s19, exec_lo
	v_cmpx_ne_u16_e32 0x80, v4
	s_cbranch_execz .LBB329_1569
; %bb.1564:                             ;   in Loop: Header=BB329_819 Depth=1
	v_bfe_u32 v5, v38, 16, 7
	v_mov_b32_e32 v81, 0x7f800001
	s_mov_b32 s20, exec_lo
	s_delay_alu instid0(VALU_DEP_2)
	v_cmpx_ne_u32_e32 0x7f, v5
	s_cbranch_execz .LBB329_1568
; %bb.1565:                             ;   in Loop: Header=BB329_819 Depth=1
	v_dual_lshrrev_b32 v4, 3, v5 :: v_dual_bitop2_b32 v26, 7, v3 bitop3:0x40
	s_mov_b32 s21, exec_lo
	v_cmpx_gt_u32_e32 8, v5
; %bb.1566:                             ;   in Loop: Header=BB329_819 Depth=1
	s_delay_alu instid0(VALU_DEP_2) | instskip(NEXT) | instid1(VALU_DEP_1)
	v_clz_i32_u32_e32 v4, v26
	v_min_u32_e32 v4, 32, v4
	s_delay_alu instid0(VALU_DEP_1) | instskip(NEXT) | instid1(VALU_DEP_1)
	v_subrev_nc_u32_e32 v5, 28, v4
	v_lshlrev_b64_e32 v[6:7], v5, v[26:27]
	s_delay_alu instid0(VALU_DEP_1)
	v_dual_sub_nc_u32 v4, 29, v4 :: v_dual_bitop2_b32 v26, 7, v6 bitop3:0x40
; %bb.1567:                             ;   in Loop: Header=BB329_819 Depth=1
	s_or_b32 exec_lo, exec_lo, s21
	s_delay_alu instid0(VALU_DEP_1) | instskip(NEXT) | instid1(VALU_DEP_2)
	v_dual_lshlrev_b32 v3, 24, v3 :: v_dual_lshlrev_b32 v5, 20, v26
	v_lshl_add_u32 v4, v4, 23, 0x3c000000
	s_delay_alu instid0(VALU_DEP_2) | instskip(NEXT) | instid1(VALU_DEP_1)
	v_and_b32_e32 v3, 0x80000000, v3
	v_or3_b32 v81, v5, v3, v4
.LBB329_1568:                           ;   in Loop: Header=BB329_819 Depth=1
	s_or_b32 exec_lo, exec_lo, s20
.LBB329_1569:                           ;   in Loop: Header=BB329_819 Depth=1
	s_delay_alu instid0(SALU_CYCLE_1)
	s_or_b32 exec_lo, exec_lo, s19
.LBB329_1570:                           ;   in Loop: Header=BB329_819 Depth=1
	s_delay_alu instid0(SALU_CYCLE_1) | instskip(NEXT) | instid1(SALU_CYCLE_1)
	s_or_b32 exec_lo, exec_lo, s18
	s_mov_b32 s18, exec_lo
	v_cmpx_lt_u32_e32 0xffffff, v38
	s_cbranch_execz .LBB329_1578
; %bb.1571:                             ;   in Loop: Header=BB329_819 Depth=1
	v_lshrrev_b32_e32 v3, 24, v38
	v_bfrev_b32_e32 v2, 1
	s_mov_b32 s19, exec_lo
	s_delay_alu instid0(VALU_DEP_2)
	v_cmpx_ne_u32_e32 0x80, v3
	s_cbranch_execz .LBB329_1577
; %bb.1572:                             ;   in Loop: Header=BB329_819 Depth=1
	v_bfe_u32 v4, v38, 24, 7
	v_mov_b32_e32 v2, 0x7f800001
	s_mov_b32 s20, exec_lo
	s_delay_alu instid0(VALU_DEP_2)
	v_cmpx_ne_u32_e32 0x7f, v4
	s_cbranch_execz .LBB329_1576
; %bb.1573:                             ;   in Loop: Header=BB329_819 Depth=1
	v_dual_lshrrev_b32 v2, 3, v4 :: v_dual_bitop2_b32 v26, 7, v3 bitop3:0x40
	s_mov_b32 s21, exec_lo
	v_cmpx_gt_u32_e32 8, v4
; %bb.1574:                             ;   in Loop: Header=BB329_819 Depth=1
	s_delay_alu instid0(VALU_DEP_2) | instskip(NEXT) | instid1(VALU_DEP_1)
	v_clz_i32_u32_e32 v2, v26
	v_min_u32_e32 v2, 32, v2
	s_delay_alu instid0(VALU_DEP_1) | instskip(NEXT) | instid1(VALU_DEP_1)
	v_subrev_nc_u32_e32 v4, 28, v2
	v_lshlrev_b64_e32 v[4:5], v4, v[26:27]
	s_delay_alu instid0(VALU_DEP_1)
	v_dual_sub_nc_u32 v2, 29, v2 :: v_dual_bitop2_b32 v26, 7, v4 bitop3:0x40
; %bb.1575:                             ;   in Loop: Header=BB329_819 Depth=1
	s_or_b32 exec_lo, exec_lo, s21
	s_delay_alu instid0(VALU_DEP_1) | instskip(NEXT) | instid1(VALU_DEP_2)
	v_dual_lshlrev_b32 v3, 24, v3 :: v_dual_lshlrev_b32 v4, 20, v26
	v_lshl_add_u32 v2, v2, 23, 0x3c000000
	s_delay_alu instid0(VALU_DEP_2) | instskip(NEXT) | instid1(VALU_DEP_1)
	v_and_b32_e32 v3, 0x80000000, v3
	v_or3_b32 v2, v4, v3, v2
.LBB329_1576:                           ;   in Loop: Header=BB329_819 Depth=1
	s_or_b32 exec_lo, exec_lo, s20
.LBB329_1577:                           ;   in Loop: Header=BB329_819 Depth=1
	s_delay_alu instid0(SALU_CYCLE_1)
	s_or_b32 exec_lo, exec_lo, s19
.LBB329_1578:                           ;   in Loop: Header=BB329_819 Depth=1
	s_delay_alu instid0(SALU_CYCLE_1) | instskip(SKIP_4) | instid1(VALU_DEP_3)
	s_or_b32 exec_lo, exec_lo, s18
	v_and_b32_e32 v5, 0xff, v39
	v_dual_mov_b32 v26, v39 :: v_dual_mov_b32 v4, 0
	v_mov_b32_e32 v3, 0
	s_mov_b32 s18, exec_lo
	v_cmpx_ne_u16_e32 0, v5
	s_cbranch_execz .LBB329_1586
; %bb.1579:                             ;   in Loop: Header=BB329_819 Depth=1
	v_bfrev_b32_e32 v3, 1
	s_mov_b32 s19, exec_lo
	v_cmpx_ne_u16_e32 0x80, v5
	s_cbranch_execz .LBB329_1585
; %bb.1580:                             ;   in Loop: Header=BB329_819 Depth=1
	v_and_b32_e32 v5, 0x7f, v39
	v_mov_b32_e32 v3, 0x7f800001
	s_mov_b32 s20, exec_lo
	s_delay_alu instid0(VALU_DEP_2)
	v_cmpx_ne_u32_e32 0x7f, v5
	s_cbranch_execz .LBB329_1584
; %bb.1581:                             ;   in Loop: Header=BB329_819 Depth=1
	v_mov_b64_e32 v[48:49], v[26:27]
	v_lshrrev_b32_e32 v3, 3, v5
	s_mov_b32 s21, exec_lo
	v_cmpx_gt_u32_e32 8, v5
; %bb.1582:                             ;   in Loop: Header=BB329_819 Depth=1
	v_and_b32_e32 v3, 7, v39
	s_delay_alu instid0(VALU_DEP_1) | instskip(NEXT) | instid1(VALU_DEP_1)
	v_clz_i32_u32_e32 v3, v3
	v_min_u32_e32 v3, 32, v3
	s_delay_alu instid0(VALU_DEP_1) | instskip(SKIP_1) | instid1(VALU_DEP_2)
	v_subrev_nc_u32_e32 v5, 28, v3
	v_sub_nc_u32_e32 v3, 29, v3
	v_lshlrev_b64_e32 v[48:49], v5, v[26:27]
; %bb.1583:                             ;   in Loop: Header=BB329_819 Depth=1
	s_or_b32 exec_lo, exec_lo, s21
	s_delay_alu instid0(VALU_DEP_1) | instskip(NEXT) | instid1(VALU_DEP_3)
	v_dual_lshlrev_b32 v5, 20, v48 :: v_dual_lshlrev_b32 v6, 24, v26
	v_lshl_add_u32 v3, v3, 23, 0x3c000000
	s_delay_alu instid0(VALU_DEP_2) | instskip(NEXT) | instid1(VALU_DEP_3)
	v_and_b32_e32 v5, 0x700000, v5
	v_and_b32_e32 v6, 0x80000000, v6
	s_delay_alu instid0(VALU_DEP_1)
	v_or3_b32 v3, v5, v6, v3
.LBB329_1584:                           ;   in Loop: Header=BB329_819 Depth=1
	s_or_b32 exec_lo, exec_lo, s20
.LBB329_1585:                           ;   in Loop: Header=BB329_819 Depth=1
	s_delay_alu instid0(SALU_CYCLE_1)
	s_or_b32 exec_lo, exec_lo, s19
.LBB329_1586:                           ;   in Loop: Header=BB329_819 Depth=1
	s_delay_alu instid0(SALU_CYCLE_1) | instskip(SKIP_2) | instid1(VALU_DEP_1)
	s_or_b32 exec_lo, exec_lo, s18
	v_lshrrev_b16 v5, 8, v26
	s_mov_b32 s18, exec_lo
	v_cmpx_ne_u16_e32 0, v5
	s_cbranch_execz .LBB329_1594
; %bb.1587:                             ;   in Loop: Header=BB329_819 Depth=1
	v_bfrev_b32_e32 v4, 1
	s_mov_b32 s19, exec_lo
	v_cmpx_ne_u16_e32 0x80, v5
	s_cbranch_execz .LBB329_1593
; %bb.1588:                             ;   in Loop: Header=BB329_819 Depth=1
	v_and_b32_e32 v6, 0xffff, v5
	v_mov_b32_e32 v4, 0x7f800001
	s_mov_b32 s20, exec_lo
	s_delay_alu instid0(VALU_DEP_2) | instskip(NEXT) | instid1(VALU_DEP_1)
	v_and_b32_e32 v5, 0x7f, v6
	v_cmpx_ne_u32_e32 0x7f, v5
	s_cbranch_execz .LBB329_1592
; %bb.1589:                             ;   in Loop: Header=BB329_819 Depth=1
	v_dual_mov_b32 v49, v27 :: v_dual_bitop2_b32 v48, 7, v6 bitop3:0x40
	v_lshrrev_b32_e32 v4, 3, v5
	s_mov_b32 s21, exec_lo
	v_cmpx_gt_u32_e32 8, v5
; %bb.1590:                             ;   in Loop: Header=BB329_819 Depth=1
	s_delay_alu instid0(VALU_DEP_3) | instskip(NEXT) | instid1(VALU_DEP_1)
	v_clz_i32_u32_e32 v4, v48
	v_min_u32_e32 v4, 32, v4
	s_delay_alu instid0(VALU_DEP_1) | instskip(NEXT) | instid1(VALU_DEP_1)
	v_subrev_nc_u32_e32 v5, 28, v4
	v_lshlrev_b64_e32 v[6:7], v5, v[48:49]
	s_delay_alu instid0(VALU_DEP_1)
	v_dual_sub_nc_u32 v4, 29, v4 :: v_dual_bitop2_b32 v48, 7, v6 bitop3:0x40
; %bb.1591:                             ;   in Loop: Header=BB329_819 Depth=1
	s_or_b32 exec_lo, exec_lo, s21
	s_delay_alu instid0(VALU_DEP_1) | instskip(NEXT) | instid1(VALU_DEP_2)
	v_dual_lshlrev_b32 v5, 16, v26 :: v_dual_lshlrev_b32 v6, 20, v48
	v_lshl_add_u32 v4, v4, 23, 0x3c000000
	s_delay_alu instid0(VALU_DEP_2) | instskip(NEXT) | instid1(VALU_DEP_1)
	v_and_b32_e32 v5, 0x80000000, v5
	v_or3_b32 v4, v6, v5, v4
.LBB329_1592:                           ;   in Loop: Header=BB329_819 Depth=1
	s_or_b32 exec_lo, exec_lo, s20
.LBB329_1593:                           ;   in Loop: Header=BB329_819 Depth=1
	s_delay_alu instid0(SALU_CYCLE_1)
	s_or_b32 exec_lo, exec_lo, s19
.LBB329_1594:                           ;   in Loop: Header=BB329_819 Depth=1
	s_delay_alu instid0(SALU_CYCLE_1) | instskip(SKIP_3) | instid1(VALU_DEP_2)
	s_or_b32 exec_lo, exec_lo, s18
	v_dual_lshrrev_b32 v7, 16, v39 :: v_dual_mov_b32 v5, 0
	v_mov_b32_e32 v6, 0
	s_mov_b32 s18, exec_lo
	v_and_b32_e32 v8, 0xff, v7
	s_delay_alu instid0(VALU_DEP_1)
	v_cmpx_ne_u16_e32 0, v8
	s_cbranch_execz .LBB329_1602
; %bb.1595:                             ;   in Loop: Header=BB329_819 Depth=1
	v_bfrev_b32_e32 v6, 1
	s_mov_b32 s19, exec_lo
	v_cmpx_ne_u16_e32 0x80, v8
	s_cbranch_execz .LBB329_1601
; %bb.1596:                             ;   in Loop: Header=BB329_819 Depth=1
	v_bfe_u32 v8, v39, 16, 7
	v_mov_b32_e32 v6, 0x7f800001
	s_mov_b32 s20, exec_lo
	s_delay_alu instid0(VALU_DEP_2)
	v_cmpx_ne_u32_e32 0x7f, v8
	s_cbranch_execz .LBB329_1600
; %bb.1597:                             ;   in Loop: Header=BB329_819 Depth=1
	v_dual_lshrrev_b32 v6, 3, v8 :: v_dual_bitop2_b32 v26, 7, v7 bitop3:0x40
	s_mov_b32 s21, exec_lo
	v_cmpx_gt_u32_e32 8, v8
; %bb.1598:                             ;   in Loop: Header=BB329_819 Depth=1
	s_delay_alu instid0(VALU_DEP_2) | instskip(NEXT) | instid1(VALU_DEP_1)
	v_clz_i32_u32_e32 v6, v26
	v_min_u32_e32 v6, 32, v6
	s_delay_alu instid0(VALU_DEP_1) | instskip(NEXT) | instid1(VALU_DEP_1)
	v_subrev_nc_u32_e32 v8, 28, v6
	v_lshlrev_b64_e32 v[8:9], v8, v[26:27]
	s_delay_alu instid0(VALU_DEP_1)
	v_dual_sub_nc_u32 v6, 29, v6 :: v_dual_bitop2_b32 v26, 7, v8 bitop3:0x40
; %bb.1599:                             ;   in Loop: Header=BB329_819 Depth=1
	s_or_b32 exec_lo, exec_lo, s21
	s_delay_alu instid0(VALU_DEP_1) | instskip(NEXT) | instid1(VALU_DEP_2)
	v_dual_lshlrev_b32 v7, 24, v7 :: v_dual_lshlrev_b32 v8, 20, v26
	v_lshl_add_u32 v6, v6, 23, 0x3c000000
	s_delay_alu instid0(VALU_DEP_2) | instskip(NEXT) | instid1(VALU_DEP_1)
	v_and_b32_e32 v7, 0x80000000, v7
	v_or3_b32 v6, v8, v7, v6
.LBB329_1600:                           ;   in Loop: Header=BB329_819 Depth=1
	s_or_b32 exec_lo, exec_lo, s20
.LBB329_1601:                           ;   in Loop: Header=BB329_819 Depth=1
	s_delay_alu instid0(SALU_CYCLE_1)
	s_or_b32 exec_lo, exec_lo, s19
.LBB329_1602:                           ;   in Loop: Header=BB329_819 Depth=1
	s_delay_alu instid0(SALU_CYCLE_1) | instskip(NEXT) | instid1(SALU_CYCLE_1)
	s_or_b32 exec_lo, exec_lo, s18
	s_mov_b32 s18, exec_lo
	v_cmpx_lt_u64_e64 s[2:3], v[38:39]
	s_cbranch_execz .LBB329_1610
; %bb.1603:                             ;   in Loop: Header=BB329_819 Depth=1
	v_lshrrev_b32_e32 v7, 24, v39
	v_bfrev_b32_e32 v5, 1
	s_mov_b32 s19, exec_lo
	s_delay_alu instid0(VALU_DEP_2)
	v_cmpx_ne_u32_e32 0x80, v7
	s_cbranch_execz .LBB329_1609
; %bb.1604:                             ;   in Loop: Header=BB329_819 Depth=1
	v_bfe_u32 v8, v39, 24, 7
	v_mov_b32_e32 v5, 0x7f800001
	s_mov_b32 s20, exec_lo
	s_delay_alu instid0(VALU_DEP_2)
	v_cmpx_ne_u32_e32 0x7f, v8
	s_cbranch_execz .LBB329_1608
; %bb.1605:                             ;   in Loop: Header=BB329_819 Depth=1
	v_dual_lshrrev_b32 v5, 3, v8 :: v_dual_bitop2_b32 v26, 7, v7 bitop3:0x40
	s_mov_b32 s21, exec_lo
	v_cmpx_gt_u32_e32 8, v8
; %bb.1606:                             ;   in Loop: Header=BB329_819 Depth=1
	s_delay_alu instid0(VALU_DEP_2) | instskip(NEXT) | instid1(VALU_DEP_1)
	v_clz_i32_u32_e32 v5, v26
	v_min_u32_e32 v5, 32, v5
	s_delay_alu instid0(VALU_DEP_1) | instskip(NEXT) | instid1(VALU_DEP_1)
	v_subrev_nc_u32_e32 v8, 28, v5
	v_lshlrev_b64_e32 v[8:9], v8, v[26:27]
	s_delay_alu instid0(VALU_DEP_1)
	v_dual_sub_nc_u32 v5, 29, v5 :: v_dual_bitop2_b32 v26, 7, v8 bitop3:0x40
; %bb.1607:                             ;   in Loop: Header=BB329_819 Depth=1
	s_or_b32 exec_lo, exec_lo, s21
	s_delay_alu instid0(VALU_DEP_1) | instskip(NEXT) | instid1(VALU_DEP_2)
	v_dual_lshlrev_b32 v7, 24, v7 :: v_dual_lshlrev_b32 v8, 20, v26
	v_lshl_add_u32 v5, v5, 23, 0x3c000000
	s_delay_alu instid0(VALU_DEP_2) | instskip(NEXT) | instid1(VALU_DEP_1)
	v_and_b32_e32 v7, 0x80000000, v7
	v_or3_b32 v5, v8, v7, v5
.LBB329_1608:                           ;   in Loop: Header=BB329_819 Depth=1
	s_or_b32 exec_lo, exec_lo, s20
.LBB329_1609:                           ;   in Loop: Header=BB329_819 Depth=1
	s_delay_alu instid0(SALU_CYCLE_1)
	s_or_b32 exec_lo, exec_lo, s19
.LBB329_1610:                           ;   in Loop: Header=BB329_819 Depth=1
	s_delay_alu instid0(SALU_CYCLE_1)
	s_or_b32 exec_lo, exec_lo, s18
	v_fma_mixlo_bf16 v37, v82, v4, 0
	v_fma_mixlo_bf16 v39, v82, v3, 0
	;; [unrolled: 1-line block ×8, first 2 shown]
	s_and_saveexec_b32 s0, vcc_lo
	s_cbranch_execz .LBB329_817
; %bb.1611:                             ;   in Loop: Header=BB329_819 Depth=1
	v_cmp_lt_i32_e32 vcc_lo, v118, v99
	v_cndmask_b32_e32 v51, 0, v51, vcc_lo
	v_cmp_lt_i32_e32 vcc_lo, v42, v99
	v_cndmask_b32_e32 v50, 0, v50, vcc_lo
	;; [unrolled: 2-line block ×8, first 2 shown]
	s_branch .LBB329_817
.LBB329_1612:
	s_or_b32 exec_lo, exec_lo, s16
	s_clause 0x4
	scratch_load_b32 v34, off, s32 offset:360
	scratch_load_b32 v35, off, s32 offset:364
	;; [unrolled: 1-line block ×5, first 2 shown]
	v_mov_b64_e32 v[2:3], s[6:7]
.LBB329_1613:
	s_wait_xcnt 0x0
	s_or_b32 exec_lo, exec_lo, s1
	s_delay_alu instid0(VALU_DEP_1)
	v_lshl_add_u64 v[0:1], v[2:3], 2, s[8:9]
	s_wait_loadcnt 0x0
	s_wait_storecnt 0x0
	s_barrier_signal -1
	s_barrier_wait -1
	global_load_b32 v0, v[0:1], off
	ds_bpermute_b32 v2, v27, v32
	ds_bpermute_b32 v3, v27, v33
	;; [unrolled: 1-line block ×10, first 2 shown]
	s_wait_xcnt 0x0
	v_and_b32_e32 v1, 0x3c1, v34
	s_mov_b32 s0, exec_lo
	ds_bpermute_b32 v16, v27, v12
	ds_bpermute_b32 v17, v27, v13
	s_wait_dscnt 0xa
	v_pk_add_f32 v[10:11], v[32:33], v[2:3]
	s_wait_dscnt 0x8
	v_pk_add_f32 v[8:9], v[28:29], v[4:5]
	;; [unrolled: 2-line block ×3, first 2 shown]
	v_lshrrev_b32_e32 v14, 1, v25
	s_wait_dscnt 0x4
	v_pk_add_f32 v[4:5], v[30:31], v[18:19]
	s_wait_dscnt 0x2
	v_pk_add_f32 v[2:3], v[20:21], v[22:23]
	v_cmpx_ne_u32_e32 64, v1
	s_xor_b32 s0, exec_lo, s0
	s_delay_alu instid0(SALU_CYCLE_1)
	s_or_saveexec_b32 s0, s0
	s_wait_dscnt 0x0
	v_pk_add_f32 v[12:13], v[12:13], v[16:17]
	s_wait_loadcnt 0x0
	v_lshl_add_u32 v1, v14, 2, v0
	v_mul_u32_u24_e32 v15, 0x300, v119
	s_xor_b32 exec_lo, exec_lo, s0
	s_cbranch_execz .LBB329_1615
; %bb.1614:
	s_delay_alu instid0(VALU_DEP_1) | instskip(NEXT) | instid1(VALU_DEP_1)
	v_add_nc_u32_e32 v16, v1, v15
	v_add_nc_u32_e32 v17, 0xfffffa00, v16
	;; [unrolled: 1-line block ×13, first 2 shown]
	ds_store_b32 v17, v10
	ds_store_b32 v18, v11
	;; [unrolled: 1-line block ×12, first 2 shown]
.LBB329_1615:
	s_or_b32 exec_lo, exec_lo, s0
	v_lshlrev_b32_e32 v14, 2, v14
	s_mov_b32 s1, exec_lo
	v_cmp_eq_u32_e32 vcc_lo, 0, v35
	s_wait_dscnt 0x0
	s_barrier_signal -1
	v_add3_u32 v0, v0, v15, v14
	s_barrier_wait -1
	v_cmpx_gt_u32_e32 64, v34
	s_cbranch_execz .LBB329_1630
; %bb.1616:
	s_and_saveexec_b32 s0, vcc_lo
	s_cbranch_execnz .LBB329_1650
; %bb.1617:
	s_or_b32 exec_lo, exec_lo, s0
	s_and_saveexec_b32 s0, vcc_lo
	s_cbranch_execnz .LBB329_1651
.LBB329_1618:
	s_or_b32 exec_lo, exec_lo, s0
	s_and_saveexec_b32 s0, vcc_lo
	s_cbranch_execnz .LBB329_1652
.LBB329_1619:
	s_or_b32 exec_lo, exec_lo, s0
	s_and_saveexec_b32 s0, vcc_lo
	s_cbranch_execnz .LBB329_1653
.LBB329_1620:
	s_or_b32 exec_lo, exec_lo, s0
	s_and_saveexec_b32 s0, vcc_lo
	s_cbranch_execnz .LBB329_1654
.LBB329_1621:
	s_or_b32 exec_lo, exec_lo, s0
	s_and_saveexec_b32 s0, vcc_lo
	s_cbranch_execnz .LBB329_1655
.LBB329_1622:
	s_or_b32 exec_lo, exec_lo, s0
	s_and_saveexec_b32 s0, vcc_lo
	s_cbranch_execnz .LBB329_1656
.LBB329_1623:
	s_or_b32 exec_lo, exec_lo, s0
	s_and_saveexec_b32 s0, vcc_lo
	s_cbranch_execnz .LBB329_1657
.LBB329_1624:
	s_or_b32 exec_lo, exec_lo, s0
	s_and_saveexec_b32 s0, vcc_lo
	s_cbranch_execnz .LBB329_1658
.LBB329_1625:
	s_or_b32 exec_lo, exec_lo, s0
	s_and_saveexec_b32 s0, vcc_lo
	s_cbranch_execnz .LBB329_1659
.LBB329_1626:
	s_or_b32 exec_lo, exec_lo, s0
	s_and_saveexec_b32 s0, vcc_lo
	s_cbranch_execnz .LBB329_1660
.LBB329_1627:
	s_or_b32 exec_lo, exec_lo, s0
	s_and_saveexec_b32 s0, vcc_lo
	s_cbranch_execz .LBB329_1629
.LBB329_1628:
	ds_load_b32 v14, v0 offset:704
	s_wait_dscnt 0x0
	v_add_f32_e32 v13, v14, v13
.LBB329_1629:
	s_or_b32 exec_lo, exec_lo, s0
.LBB329_1630:
	s_delay_alu instid0(SALU_CYCLE_1) | instskip(SKIP_4) | instid1(VALU_DEP_1)
	s_or_b32 exec_lo, exec_lo, s1
	v_and_b32_e32 v14, 0x3e1, v34
	s_mov_b32 s1, exec_lo
	s_barrier_signal -1
	s_barrier_wait -1
	v_cmpx_eq_u32_e32 32, v14
	s_cbranch_execz .LBB329_1632
; %bb.1631:
	ds_store_2addr_b32 v1, v10, v11 offset1:16
	ds_store_2addr_b32 v1, v8, v9 offset0:32 offset1:48
	ds_store_2addr_b32 v1, v6, v7 offset0:64 offset1:80
	;; [unrolled: 1-line block ×5, first 2 shown]
.LBB329_1632:
	s_or_b32 exec_lo, exec_lo, s1
	s_delay_alu instid0(SALU_CYCLE_1)
	s_mov_b32 s1, exec_lo
	s_wait_dscnt 0x0
	s_barrier_signal -1
	s_barrier_wait -1
	v_cmpx_gt_u32_e32 32, v34
	s_cbranch_execz .LBB329_1647
; %bb.1633:
	s_and_saveexec_b32 s0, vcc_lo
	s_cbranch_execnz .LBB329_1661
; %bb.1634:
	s_or_b32 exec_lo, exec_lo, s0
	s_and_saveexec_b32 s0, vcc_lo
	s_cbranch_execnz .LBB329_1662
.LBB329_1635:
	s_or_b32 exec_lo, exec_lo, s0
	s_and_saveexec_b32 s0, vcc_lo
	s_cbranch_execnz .LBB329_1663
.LBB329_1636:
	s_or_b32 exec_lo, exec_lo, s0
	s_and_saveexec_b32 s0, vcc_lo
	s_cbranch_execnz .LBB329_1664
.LBB329_1637:
	s_or_b32 exec_lo, exec_lo, s0
	s_and_saveexec_b32 s0, vcc_lo
	s_cbranch_execnz .LBB329_1665
.LBB329_1638:
	s_or_b32 exec_lo, exec_lo, s0
	s_and_saveexec_b32 s0, vcc_lo
	s_cbranch_execnz .LBB329_1666
.LBB329_1639:
	s_or_b32 exec_lo, exec_lo, s0
	s_and_saveexec_b32 s0, vcc_lo
	s_cbranch_execnz .LBB329_1667
.LBB329_1640:
	s_or_b32 exec_lo, exec_lo, s0
	s_and_saveexec_b32 s0, vcc_lo
	s_cbranch_execnz .LBB329_1668
.LBB329_1641:
	s_or_b32 exec_lo, exec_lo, s0
	s_and_saveexec_b32 s0, vcc_lo
	s_cbranch_execnz .LBB329_1669
.LBB329_1642:
	s_or_b32 exec_lo, exec_lo, s0
	s_and_saveexec_b32 s0, vcc_lo
	s_cbranch_execnz .LBB329_1670
.LBB329_1643:
	s_or_b32 exec_lo, exec_lo, s0
	s_and_saveexec_b32 s0, vcc_lo
	s_cbranch_execnz .LBB329_1671
.LBB329_1644:
	s_or_b32 exec_lo, exec_lo, s0
	s_and_saveexec_b32 s0, vcc_lo
	s_cbranch_execz .LBB329_1646
.LBB329_1645:
	ds_load_b32 v0, v0 offset:704
	s_wait_dscnt 0x0
	v_add_f32_e32 v13, v0, v13
.LBB329_1646:
	s_or_b32 exec_lo, exec_lo, s0
.LBB329_1647:
	s_delay_alu instid0(SALU_CYCLE_1)
	s_or_b32 exec_lo, exec_lo, s1
	s_mov_b32 s1, 0
	s_mov_b32 s2, exec_lo
	s_barrier_signal -1
	s_barrier_wait -1
	v_cmpx_eq_u32_e32 0, v14
	s_cbranch_execz .LBB329_1649
; %bb.1648:
	s_clause 0x1
	scratch_load_b64 v[0:1], off, s32 offset:372 th:TH_LOAD_LU
	scratch_load_b32 v14, off, s32 offset:356 th:TH_LOAD_LU
	s_and_b32 s0, 0xffff, s15
	v_mov_b32_e32 v15, 0
	s_cmp_lg_u32 s0, 0
	s_cselect_b32 s0, -1, 0
	s_delay_alu instid0(SALU_CYCLE_1)
	s_cmp_lg_u32 s0, 0
	s_add_co_ci_u32 s0, s5, 0
	s_bfe_u32 s8, ttmp6, 0x40014
	s_mul_i32 s5, s0, s13
	s_lshr_b32 s3, ttmp7, 16
	s_mul_i32 s5, s5, s14
	s_add_co_i32 s8, s8, 1
	s_mul_i32 s6, s5, 0xc0
	s_bfe_u32 s9, ttmp6, 0x40008
	s_ashr_i32 s7, s6, 31
	s_mul_i32 s4, s4, s0
	s_mul_i32 s0, s3, s8
	s_ashr_i32 s5, s4, 31
	s_add_co_i32 s9, s9, s0
	s_cmp_eq_u32 s12, 0
	s_cselect_b32 s0, s3, s9
	s_delay_alu instid0(SALU_CYCLE_1) | instskip(NEXT) | instid1(SALU_CYCLE_1)
	s_mulk_i32 s0, 0x180
	v_cvt_pk_bf16_f32 v10, v10, s0
	v_cvt_pk_bf16_f32 v11, v11, s0
	v_cvt_pk_bf16_f32 v8, v8, s0
	v_cvt_pk_bf16_f32 v9, v9, s0
	v_cvt_pk_bf16_f32 v6, v6, s0
	v_cvt_pk_bf16_f32 v7, v7, s0
	v_cvt_pk_bf16_f32 v4, v4, s0
	v_cvt_pk_bf16_f32 v5, v5, s0
	v_cvt_pk_bf16_f32 v2, v2, s0
	v_cvt_pk_bf16_f32 v3, v3, s0
	v_cvt_pk_bf16_f32 v12, v12, s0
	v_cvt_pk_bf16_f32 v13, v13, s0
	s_wait_loadcnt 0x1
	v_lshl_add_u64 v[0:1], s[6:7], 1, v[0:1]
	s_wait_loadcnt 0x0
	v_lshlrev_b32_e32 v14, 1, v14
	s_delay_alu instid0(VALU_DEP_2) | instskip(NEXT) | instid1(VALU_DEP_1)
	v_lshl_add_u64 v[0:1], s[4:5], 1, v[0:1]
	v_add_nc_u64_e32 v[0:1], s[0:1], v[0:1]
	s_delay_alu instid0(VALU_DEP_1)
	v_add_nc_u64_e32 v[0:1], v[0:1], v[14:15]
	s_clause 0xb
	flat_store_b16 v[0:1], v10
	flat_store_b16 v[0:1], v11 offset:32
	flat_store_b16 v[0:1], v8 offset:64
	;; [unrolled: 1-line block ×11, first 2 shown]
.LBB329_1649:
	s_wait_xcnt 0x0
	s_or_b32 exec_lo, exec_lo, s2
	s_clause 0x2f
	scratch_load_b32 v127, off, s32
	scratch_load_b32 v126, off, s32 offset:4
	scratch_load_b32 v125, off, s32 offset:8
	scratch_load_b32 v124, off, s32 offset:12
	scratch_load_b32 v123, off, s32 offset:16
	scratch_load_b32 v122, off, s32 offset:20
	scratch_load_b32 v121, off, s32 offset:24
	scratch_load_b32 v120, off, s32 offset:28
	scratch_load_b32 v111, off, s32 offset:32
	scratch_load_b32 v110, off, s32 offset:36
	scratch_load_b32 v109, off, s32 offset:40
	scratch_load_b32 v108, off, s32 offset:44
	scratch_load_b32 v107, off, s32 offset:48
	scratch_load_b32 v106, off, s32 offset:52
	scratch_load_b32 v105, off, s32 offset:56
	scratch_load_b32 v104, off, s32 offset:60
	scratch_load_b32 v95, off, s32 offset:64
	scratch_load_b32 v94, off, s32 offset:68
	scratch_load_b32 v93, off, s32 offset:72
	scratch_load_b32 v92, off, s32 offset:76
	scratch_load_b32 v91, off, s32 offset:80
	scratch_load_b32 v90, off, s32 offset:84
	scratch_load_b32 v89, off, s32 offset:88
	scratch_load_b32 v88, off, s32 offset:92
	scratch_load_b32 v79, off, s32 offset:96
	scratch_load_b32 v78, off, s32 offset:100
	scratch_load_b32 v77, off, s32 offset:104
	scratch_load_b32 v76, off, s32 offset:108
	scratch_load_b32 v75, off, s32 offset:112
	scratch_load_b32 v74, off, s32 offset:116
	scratch_load_b32 v73, off, s32 offset:120
	scratch_load_b32 v72, off, s32 offset:124
	scratch_load_b32 v63, off, s32 offset:128
	scratch_load_b32 v62, off, s32 offset:132
	scratch_load_b32 v61, off, s32 offset:136
	scratch_load_b32 v60, off, s32 offset:140
	scratch_load_b32 v59, off, s32 offset:144
	scratch_load_b32 v58, off, s32 offset:148
	scratch_load_b32 v57, off, s32 offset:152
	scratch_load_b32 v56, off, s32 offset:156
	scratch_load_b32 v47, off, s32 offset:160
	scratch_load_b32 v46, off, s32 offset:164
	scratch_load_b32 v45, off, s32 offset:168
	scratch_load_b32 v44, off, s32 offset:172
	scratch_load_b32 v43, off, s32 offset:176
	scratch_load_b32 v42, off, s32 offset:180
	scratch_load_b32 v41, off, s32 offset:184
	scratch_load_b32 v40, off, s32 offset:188
	s_wait_loadcnt_dscnt 0x0
	s_set_pc_i64 s[30:31]
.LBB329_1650:
	ds_load_b32 v14, v0
	s_wait_dscnt 0x0
	v_add_f32_e32 v10, v14, v10
	s_or_b32 exec_lo, exec_lo, s0
	s_and_saveexec_b32 s0, vcc_lo
	s_cbranch_execz .LBB329_1618
.LBB329_1651:
	ds_load_b32 v14, v0 offset:64
	s_wait_dscnt 0x0
	v_add_f32_e32 v11, v14, v11
	s_or_b32 exec_lo, exec_lo, s0
	s_and_saveexec_b32 s0, vcc_lo
	s_cbranch_execz .LBB329_1619
.LBB329_1652:
	ds_load_b32 v14, v0 offset:128
	s_wait_dscnt 0x0
	v_add_f32_e32 v8, v14, v8
	s_or_b32 exec_lo, exec_lo, s0
	s_and_saveexec_b32 s0, vcc_lo
	s_cbranch_execz .LBB329_1620
.LBB329_1653:
	ds_load_b32 v14, v0 offset:192
	s_wait_dscnt 0x0
	v_add_f32_e32 v9, v14, v9
	s_or_b32 exec_lo, exec_lo, s0
	s_and_saveexec_b32 s0, vcc_lo
	s_cbranch_execz .LBB329_1621
.LBB329_1654:
	ds_load_b32 v14, v0 offset:256
	s_wait_dscnt 0x0
	v_add_f32_e32 v6, v14, v6
	s_or_b32 exec_lo, exec_lo, s0
	s_and_saveexec_b32 s0, vcc_lo
	s_cbranch_execz .LBB329_1622
.LBB329_1655:
	ds_load_b32 v14, v0 offset:320
	s_wait_dscnt 0x0
	v_add_f32_e32 v7, v14, v7
	s_or_b32 exec_lo, exec_lo, s0
	s_and_saveexec_b32 s0, vcc_lo
	s_cbranch_execz .LBB329_1623
.LBB329_1656:
	ds_load_b32 v14, v0 offset:384
	s_wait_dscnt 0x0
	v_add_f32_e32 v4, v14, v4
	s_or_b32 exec_lo, exec_lo, s0
	s_and_saveexec_b32 s0, vcc_lo
	s_cbranch_execz .LBB329_1624
.LBB329_1657:
	ds_load_b32 v14, v0 offset:448
	s_wait_dscnt 0x0
	v_add_f32_e32 v5, v14, v5
	s_or_b32 exec_lo, exec_lo, s0
	s_and_saveexec_b32 s0, vcc_lo
	s_cbranch_execz .LBB329_1625
.LBB329_1658:
	ds_load_b32 v14, v0 offset:512
	s_wait_dscnt 0x0
	v_add_f32_e32 v2, v14, v2
	s_or_b32 exec_lo, exec_lo, s0
	s_and_saveexec_b32 s0, vcc_lo
	s_cbranch_execz .LBB329_1626
.LBB329_1659:
	ds_load_b32 v14, v0 offset:576
	s_wait_dscnt 0x0
	v_add_f32_e32 v3, v14, v3
	s_or_b32 exec_lo, exec_lo, s0
	s_and_saveexec_b32 s0, vcc_lo
	s_cbranch_execz .LBB329_1627
.LBB329_1660:
	ds_load_b32 v14, v0 offset:640
	s_wait_dscnt 0x0
	v_add_f32_e32 v12, v14, v12
	s_or_b32 exec_lo, exec_lo, s0
	s_and_saveexec_b32 s0, vcc_lo
	s_cbranch_execnz .LBB329_1628
	s_branch .LBB329_1629
.LBB329_1661:
	ds_load_b32 v1, v0
	s_wait_dscnt 0x0
	v_add_f32_e32 v10, v1, v10
	s_or_b32 exec_lo, exec_lo, s0
	s_and_saveexec_b32 s0, vcc_lo
	s_cbranch_execz .LBB329_1635
.LBB329_1662:
	ds_load_b32 v1, v0 offset:64
	s_wait_dscnt 0x0
	v_add_f32_e32 v11, v1, v11
	s_or_b32 exec_lo, exec_lo, s0
	s_and_saveexec_b32 s0, vcc_lo
	s_cbranch_execz .LBB329_1636
.LBB329_1663:
	ds_load_b32 v1, v0 offset:128
	s_wait_dscnt 0x0
	v_add_f32_e32 v8, v1, v8
	s_or_b32 exec_lo, exec_lo, s0
	s_and_saveexec_b32 s0, vcc_lo
	s_cbranch_execz .LBB329_1637
.LBB329_1664:
	ds_load_b32 v1, v0 offset:192
	s_wait_dscnt 0x0
	v_add_f32_e32 v9, v1, v9
	s_or_b32 exec_lo, exec_lo, s0
	s_and_saveexec_b32 s0, vcc_lo
	s_cbranch_execz .LBB329_1638
.LBB329_1665:
	ds_load_b32 v1, v0 offset:256
	s_wait_dscnt 0x0
	v_add_f32_e32 v6, v1, v6
	s_or_b32 exec_lo, exec_lo, s0
	s_and_saveexec_b32 s0, vcc_lo
	s_cbranch_execz .LBB329_1639
.LBB329_1666:
	ds_load_b32 v1, v0 offset:320
	s_wait_dscnt 0x0
	v_add_f32_e32 v7, v1, v7
	s_or_b32 exec_lo, exec_lo, s0
	s_and_saveexec_b32 s0, vcc_lo
	s_cbranch_execz .LBB329_1640
.LBB329_1667:
	ds_load_b32 v1, v0 offset:384
	s_wait_dscnt 0x0
	v_add_f32_e32 v4, v1, v4
	s_or_b32 exec_lo, exec_lo, s0
	s_and_saveexec_b32 s0, vcc_lo
	s_cbranch_execz .LBB329_1641
.LBB329_1668:
	ds_load_b32 v1, v0 offset:448
	s_wait_dscnt 0x0
	v_add_f32_e32 v5, v1, v5
	s_or_b32 exec_lo, exec_lo, s0
	s_and_saveexec_b32 s0, vcc_lo
	s_cbranch_execz .LBB329_1642
.LBB329_1669:
	ds_load_b32 v1, v0 offset:512
	s_wait_dscnt 0x0
	v_add_f32_e32 v2, v1, v2
	s_or_b32 exec_lo, exec_lo, s0
	s_and_saveexec_b32 s0, vcc_lo
	s_cbranch_execz .LBB329_1643
.LBB329_1670:
	ds_load_b32 v1, v0 offset:576
	s_wait_dscnt 0x0
	v_add_f32_e32 v3, v1, v3
	s_or_b32 exec_lo, exec_lo, s0
	s_and_saveexec_b32 s0, vcc_lo
	s_cbranch_execz .LBB329_1644
.LBB329_1671:
	ds_load_b32 v1, v0 offset:640
	s_wait_dscnt 0x0
	v_add_f32_e32 v12, v1, v12
	s_or_b32 exec_lo, exec_lo, s0
	s_and_saveexec_b32 s0, vcc_lo
	s_cbranch_execnz .LBB329_1645
	s_branch .LBB329_1646
.Lfunc_end329:
	.size	_ZN4vllm22paged_attention_kernelI14__hip_bfloat16hLi192ELi16ELi128ELNS_18Fp8KVCacheDataTypeE1ELb1ELi0EEEvPfS3_PT_PKS4_PKT0_SA_ifPKiSC_iPKfiiiSE_SE_iiiii, .Lfunc_end329-_ZN4vllm22paged_attention_kernelI14__hip_bfloat16hLi192ELi16ELi128ELNS_18Fp8KVCacheDataTypeE1ELb1ELi0EEEvPfS3_PT_PKS4_PKT0_SA_ifPKiSC_iPKfiiiSE_SE_iiiii
                                        ; -- End function
	.set .L_ZN4vllm22paged_attention_kernelI14__hip_bfloat16hLi192ELi16ELi128ELNS_18Fp8KVCacheDataTypeE1ELb1ELi0EEEvPfS3_PT_PKS4_PKT0_SA_ifPKiSC_iPKfiiiSE_SE_iiiii.num_vgpr, 128
	.set .L_ZN4vllm22paged_attention_kernelI14__hip_bfloat16hLi192ELi16ELi128ELNS_18Fp8KVCacheDataTypeE1ELb1ELi0EEEvPfS3_PT_PKS4_PKT0_SA_ifPKiSC_iPKfiiiSE_SE_iiiii.num_agpr, 0
	.set .L_ZN4vllm22paged_attention_kernelI14__hip_bfloat16hLi192ELi16ELi128ELNS_18Fp8KVCacheDataTypeE1ELb1ELi0EEEvPfS3_PT_PKS4_PKT0_SA_ifPKiSC_iPKfiiiSE_SE_iiiii.numbered_sgpr, 33
	.set .L_ZN4vllm22paged_attention_kernelI14__hip_bfloat16hLi192ELi16ELi128ELNS_18Fp8KVCacheDataTypeE1ELb1ELi0EEEvPfS3_PT_PKS4_PKT0_SA_ifPKiSC_iPKfiiiSE_SE_iiiii.num_named_barrier, 0
	.set .L_ZN4vllm22paged_attention_kernelI14__hip_bfloat16hLi192ELi16ELi128ELNS_18Fp8KVCacheDataTypeE1ELb1ELi0EEEvPfS3_PT_PKS4_PKT0_SA_ifPKiSC_iPKfiiiSE_SE_iiiii.private_seg_size, 436
	.set .L_ZN4vllm22paged_attention_kernelI14__hip_bfloat16hLi192ELi16ELi128ELNS_18Fp8KVCacheDataTypeE1ELb1ELi0EEEvPfS3_PT_PKS4_PKT0_SA_ifPKiSC_iPKfiiiSE_SE_iiiii.uses_vcc, 1
	.set .L_ZN4vllm22paged_attention_kernelI14__hip_bfloat16hLi192ELi16ELi128ELNS_18Fp8KVCacheDataTypeE1ELb1ELi0EEEvPfS3_PT_PKS4_PKT0_SA_ifPKiSC_iPKfiiiSE_SE_iiiii.uses_flat_scratch, 1
	.set .L_ZN4vllm22paged_attention_kernelI14__hip_bfloat16hLi192ELi16ELi128ELNS_18Fp8KVCacheDataTypeE1ELb1ELi0EEEvPfS3_PT_PKS4_PKT0_SA_ifPKiSC_iPKfiiiSE_SE_iiiii.has_dyn_sized_stack, 0
	.set .L_ZN4vllm22paged_attention_kernelI14__hip_bfloat16hLi192ELi16ELi128ELNS_18Fp8KVCacheDataTypeE1ELb1ELi0EEEvPfS3_PT_PKS4_PKT0_SA_ifPKiSC_iPKfiiiSE_SE_iiiii.has_recursion, 0
	.set .L_ZN4vllm22paged_attention_kernelI14__hip_bfloat16hLi192ELi16ELi128ELNS_18Fp8KVCacheDataTypeE1ELb1ELi0EEEvPfS3_PT_PKS4_PKT0_SA_ifPKiSC_iPKfiiiSE_SE_iiiii.has_indirect_call, 0
	.section	.AMDGPU.csdata,"",@progbits
; Function info:
; codeLenInByte = 59376
; TotalNumSgprs: 35
; NumVgprs: 128
; ScratchSize: 436
; MemoryBound: 0
	.section	.text._ZN4vllm25paged_attention_v1_kernelI14__hip_bfloat16hLi192ELi16ELi128ELNS_18Fp8KVCacheDataTypeE1ELb1EEEvPT_PKS3_PKT0_S9_ifPKiSB_iPKfiiiSD_SD_iiiii,"axG",@progbits,_ZN4vllm25paged_attention_v1_kernelI14__hip_bfloat16hLi192ELi16ELi128ELNS_18Fp8KVCacheDataTypeE1ELb1EEEvPT_PKS3_PKT0_S9_ifPKiSB_iPKfiiiSD_SD_iiiii,comdat
	.protected	_ZN4vllm25paged_attention_v1_kernelI14__hip_bfloat16hLi192ELi16ELi128ELNS_18Fp8KVCacheDataTypeE1ELb1EEEvPT_PKS3_PKT0_S9_ifPKiSB_iPKfiiiSD_SD_iiiii ; -- Begin function _ZN4vllm25paged_attention_v1_kernelI14__hip_bfloat16hLi192ELi16ELi128ELNS_18Fp8KVCacheDataTypeE1ELb1EEEvPT_PKS3_PKT0_S9_ifPKiSB_iPKfiiiSD_SD_iiiii
	.globl	_ZN4vllm25paged_attention_v1_kernelI14__hip_bfloat16hLi192ELi16ELi128ELNS_18Fp8KVCacheDataTypeE1ELb1EEEvPT_PKS3_PKT0_S9_ifPKiSB_iPKfiiiSD_SD_iiiii
	.p2align	8
	.type	_ZN4vllm25paged_attention_v1_kernelI14__hip_bfloat16hLi192ELi16ELi128ELNS_18Fp8KVCacheDataTypeE1ELb1EEEvPT_PKS3_PKT0_S9_ifPKiSB_iPKfiiiSD_SD_iiiii,@function
_ZN4vllm25paged_attention_v1_kernelI14__hip_bfloat16hLi192ELi16ELi128ELNS_18Fp8KVCacheDataTypeE1ELb1EEEvPT_PKS3_PKT0_S9_ifPKiSB_iPKfiiiSD_SD_iiiii: ; @_ZN4vllm25paged_attention_v1_kernelI14__hip_bfloat16hLi192ELi16ELi128ELNS_18Fp8KVCacheDataTypeE1ELb1EEEvPT_PKS3_PKT0_S9_ifPKiSB_iPKfiiiSD_SD_iiiii
; %bb.0:
	s_clause 0x6
	s_load_b256 s[12:19], s[0:1], 0x0
	s_load_b128 s[4:7], s[0:1], 0x20
	s_load_b96 s[28:30], s[0:1], 0x30
	s_load_b64 s[10:11], s[0:1], 0x40
	s_load_b96 s[36:38], s[0:1], 0x48
	s_load_b256 s[20:27], s[0:1], 0x58
	s_load_b32 s31, s[0:1], 0x78
	v_mov_b32_e32 v31, v0
	s_get_pc_i64 s[2:3]
	s_add_nc_u64 s[2:3], s[2:3], _ZN4vllm22paged_attention_kernelI14__hip_bfloat16hLi192ELi16ELi128ELNS_18Fp8KVCacheDataTypeE1ELb1ELi0EEEvPfS3_PT_PKS4_PKT0_SA_ifPKiSC_iPKfiiiSE_SE_iiiii@rel64+4
	s_add_nc_u64 s[8:9], s[0:1], 0x80
	s_mov_b32 s32, 0
	s_wait_kmcnt 0x0
	v_dual_mov_b32 v15, s10 :: v_dual_mov_b32 v16, s11
	v_dual_mov_b32 v0, s12 :: v_dual_mov_b32 v1, s13
	;; [unrolled: 1-line block ×14, first 2 shown]
	v_mov_b32_e32 v28, s31
	s_mov_b32 s15, 7
	s_swap_pc_i64 s[30:31], s[2:3]
	s_endpgm
	.section	.rodata,"a",@progbits
	.p2align	6, 0x0
	.amdhsa_kernel _ZN4vllm25paged_attention_v1_kernelI14__hip_bfloat16hLi192ELi16ELi128ELNS_18Fp8KVCacheDataTypeE1ELb1EEEvPT_PKS3_PKT0_S9_ifPKiSB_iPKfiiiSD_SD_iiiii
		.amdhsa_group_segment_fixed_size 416
		.amdhsa_private_segment_fixed_size 436
		.amdhsa_kernarg_size 384
		.amdhsa_user_sgpr_count 2
		.amdhsa_user_sgpr_dispatch_ptr 0
		.amdhsa_user_sgpr_queue_ptr 0
		.amdhsa_user_sgpr_kernarg_segment_ptr 1
		.amdhsa_user_sgpr_dispatch_id 0
		.amdhsa_user_sgpr_kernarg_preload_length 0
		.amdhsa_user_sgpr_kernarg_preload_offset 0
		.amdhsa_user_sgpr_private_segment_size 0
		.amdhsa_wavefront_size32 1
		.amdhsa_uses_dynamic_stack 0
		.amdhsa_enable_private_segment 1
		.amdhsa_system_sgpr_workgroup_id_x 1
		.amdhsa_system_sgpr_workgroup_id_y 1
		.amdhsa_system_sgpr_workgroup_id_z 1
		.amdhsa_system_sgpr_workgroup_info 0
		.amdhsa_system_vgpr_workitem_id 0
		.amdhsa_next_free_vgpr 128
		.amdhsa_next_free_sgpr 39
		.amdhsa_named_barrier_count 0
		.amdhsa_reserve_vcc 1
		.amdhsa_float_round_mode_32 0
		.amdhsa_float_round_mode_16_64 0
		.amdhsa_float_denorm_mode_32 3
		.amdhsa_float_denorm_mode_16_64 3
		.amdhsa_fp16_overflow 0
		.amdhsa_memory_ordered 1
		.amdhsa_forward_progress 1
		.amdhsa_inst_pref_size 2
		.amdhsa_round_robin_scheduling 0
		.amdhsa_exception_fp_ieee_invalid_op 0
		.amdhsa_exception_fp_denorm_src 0
		.amdhsa_exception_fp_ieee_div_zero 0
		.amdhsa_exception_fp_ieee_overflow 0
		.amdhsa_exception_fp_ieee_underflow 0
		.amdhsa_exception_fp_ieee_inexact 0
		.amdhsa_exception_int_div_zero 0
	.end_amdhsa_kernel
	.section	.text._ZN4vllm25paged_attention_v1_kernelI14__hip_bfloat16hLi192ELi16ELi128ELNS_18Fp8KVCacheDataTypeE1ELb1EEEvPT_PKS3_PKT0_S9_ifPKiSB_iPKfiiiSD_SD_iiiii,"axG",@progbits,_ZN4vllm25paged_attention_v1_kernelI14__hip_bfloat16hLi192ELi16ELi128ELNS_18Fp8KVCacheDataTypeE1ELb1EEEvPT_PKS3_PKT0_S9_ifPKiSB_iPKfiiiSD_SD_iiiii,comdat
.Lfunc_end330:
	.size	_ZN4vllm25paged_attention_v1_kernelI14__hip_bfloat16hLi192ELi16ELi128ELNS_18Fp8KVCacheDataTypeE1ELb1EEEvPT_PKS3_PKT0_S9_ifPKiSB_iPKfiiiSD_SD_iiiii, .Lfunc_end330-_ZN4vllm25paged_attention_v1_kernelI14__hip_bfloat16hLi192ELi16ELi128ELNS_18Fp8KVCacheDataTypeE1ELb1EEEvPT_PKS3_PKT0_S9_ifPKiSB_iPKfiiiSD_SD_iiiii
                                        ; -- End function
	.set _ZN4vllm25paged_attention_v1_kernelI14__hip_bfloat16hLi192ELi16ELi128ELNS_18Fp8KVCacheDataTypeE1ELb1EEEvPT_PKS3_PKT0_S9_ifPKiSB_iPKfiiiSD_SD_iiiii.num_vgpr, max(32, .L_ZN4vllm22paged_attention_kernelI14__hip_bfloat16hLi192ELi16ELi128ELNS_18Fp8KVCacheDataTypeE1ELb1ELi0EEEvPfS3_PT_PKS4_PKT0_SA_ifPKiSC_iPKfiiiSE_SE_iiiii.num_vgpr)
	.set _ZN4vllm25paged_attention_v1_kernelI14__hip_bfloat16hLi192ELi16ELi128ELNS_18Fp8KVCacheDataTypeE1ELb1EEEvPT_PKS3_PKT0_S9_ifPKiSB_iPKfiiiSD_SD_iiiii.num_agpr, max(0, .L_ZN4vllm22paged_attention_kernelI14__hip_bfloat16hLi192ELi16ELi128ELNS_18Fp8KVCacheDataTypeE1ELb1ELi0EEEvPfS3_PT_PKS4_PKT0_SA_ifPKiSC_iPKfiiiSE_SE_iiiii.num_agpr)
	.set _ZN4vllm25paged_attention_v1_kernelI14__hip_bfloat16hLi192ELi16ELi128ELNS_18Fp8KVCacheDataTypeE1ELb1EEEvPT_PKS3_PKT0_S9_ifPKiSB_iPKfiiiSD_SD_iiiii.numbered_sgpr, max(39, .L_ZN4vllm22paged_attention_kernelI14__hip_bfloat16hLi192ELi16ELi128ELNS_18Fp8KVCacheDataTypeE1ELb1ELi0EEEvPfS3_PT_PKS4_PKT0_SA_ifPKiSC_iPKfiiiSE_SE_iiiii.numbered_sgpr)
	.set _ZN4vllm25paged_attention_v1_kernelI14__hip_bfloat16hLi192ELi16ELi128ELNS_18Fp8KVCacheDataTypeE1ELb1EEEvPT_PKS3_PKT0_S9_ifPKiSB_iPKfiiiSD_SD_iiiii.num_named_barrier, max(0, .L_ZN4vllm22paged_attention_kernelI14__hip_bfloat16hLi192ELi16ELi128ELNS_18Fp8KVCacheDataTypeE1ELb1ELi0EEEvPfS3_PT_PKS4_PKT0_SA_ifPKiSC_iPKfiiiSE_SE_iiiii.num_named_barrier)
	.set _ZN4vllm25paged_attention_v1_kernelI14__hip_bfloat16hLi192ELi16ELi128ELNS_18Fp8KVCacheDataTypeE1ELb1EEEvPT_PKS3_PKT0_S9_ifPKiSB_iPKfiiiSD_SD_iiiii.private_seg_size, 0+max(.L_ZN4vllm22paged_attention_kernelI14__hip_bfloat16hLi192ELi16ELi128ELNS_18Fp8KVCacheDataTypeE1ELb1ELi0EEEvPfS3_PT_PKS4_PKT0_SA_ifPKiSC_iPKfiiiSE_SE_iiiii.private_seg_size)
	.set _ZN4vllm25paged_attention_v1_kernelI14__hip_bfloat16hLi192ELi16ELi128ELNS_18Fp8KVCacheDataTypeE1ELb1EEEvPT_PKS3_PKT0_S9_ifPKiSB_iPKfiiiSD_SD_iiiii.uses_vcc, or(1, .L_ZN4vllm22paged_attention_kernelI14__hip_bfloat16hLi192ELi16ELi128ELNS_18Fp8KVCacheDataTypeE1ELb1ELi0EEEvPfS3_PT_PKS4_PKT0_SA_ifPKiSC_iPKfiiiSE_SE_iiiii.uses_vcc)
	.set _ZN4vllm25paged_attention_v1_kernelI14__hip_bfloat16hLi192ELi16ELi128ELNS_18Fp8KVCacheDataTypeE1ELb1EEEvPT_PKS3_PKT0_S9_ifPKiSB_iPKfiiiSD_SD_iiiii.uses_flat_scratch, or(0, .L_ZN4vllm22paged_attention_kernelI14__hip_bfloat16hLi192ELi16ELi128ELNS_18Fp8KVCacheDataTypeE1ELb1ELi0EEEvPfS3_PT_PKS4_PKT0_SA_ifPKiSC_iPKfiiiSE_SE_iiiii.uses_flat_scratch)
	.set _ZN4vllm25paged_attention_v1_kernelI14__hip_bfloat16hLi192ELi16ELi128ELNS_18Fp8KVCacheDataTypeE1ELb1EEEvPT_PKS3_PKT0_S9_ifPKiSB_iPKfiiiSD_SD_iiiii.has_dyn_sized_stack, or(0, .L_ZN4vllm22paged_attention_kernelI14__hip_bfloat16hLi192ELi16ELi128ELNS_18Fp8KVCacheDataTypeE1ELb1ELi0EEEvPfS3_PT_PKS4_PKT0_SA_ifPKiSC_iPKfiiiSE_SE_iiiii.has_dyn_sized_stack)
	.set _ZN4vllm25paged_attention_v1_kernelI14__hip_bfloat16hLi192ELi16ELi128ELNS_18Fp8KVCacheDataTypeE1ELb1EEEvPT_PKS3_PKT0_S9_ifPKiSB_iPKfiiiSD_SD_iiiii.has_recursion, or(0, .L_ZN4vllm22paged_attention_kernelI14__hip_bfloat16hLi192ELi16ELi128ELNS_18Fp8KVCacheDataTypeE1ELb1ELi0EEEvPfS3_PT_PKS4_PKT0_SA_ifPKiSC_iPKfiiiSE_SE_iiiii.has_recursion)
	.set _ZN4vllm25paged_attention_v1_kernelI14__hip_bfloat16hLi192ELi16ELi128ELNS_18Fp8KVCacheDataTypeE1ELb1EEEvPT_PKS3_PKT0_S9_ifPKiSB_iPKfiiiSD_SD_iiiii.has_indirect_call, or(0, .L_ZN4vllm22paged_attention_kernelI14__hip_bfloat16hLi192ELi16ELi128ELNS_18Fp8KVCacheDataTypeE1ELb1ELi0EEEvPfS3_PT_PKS4_PKT0_SA_ifPKiSC_iPKfiiiSE_SE_iiiii.has_indirect_call)
	.section	.AMDGPU.csdata,"",@progbits
; Kernel info:
; codeLenInByte = 224
; TotalNumSgprs: 41
; NumVgprs: 128
; ScratchSize: 436
; MemoryBound: 0
; FloatMode: 240
; IeeeMode: 1
; LDSByteSize: 416 bytes/workgroup (compile time only)
; SGPRBlocks: 0
; VGPRBlocks: 7
; NumSGPRsForWavesPerEU: 41
; NumVGPRsForWavesPerEU: 128
; NamedBarCnt: 0
; Occupancy: 8
; WaveLimiterHint : 1
; COMPUTE_PGM_RSRC2:SCRATCH_EN: 1
; COMPUTE_PGM_RSRC2:USER_SGPR: 2
; COMPUTE_PGM_RSRC2:TRAP_HANDLER: 0
; COMPUTE_PGM_RSRC2:TGID_X_EN: 1
; COMPUTE_PGM_RSRC2:TGID_Y_EN: 1
; COMPUTE_PGM_RSRC2:TGID_Z_EN: 1
; COMPUTE_PGM_RSRC2:TIDIG_COMP_CNT: 0
	.text
	.p2align	2                               ; -- Begin function _ZN4vllm22paged_attention_kernelI14__hip_bfloat16hLi256ELi16ELi128ELNS_18Fp8KVCacheDataTypeE1ELb1ELi0EEEvPfS3_PT_PKS4_PKT0_SA_ifPKiSC_iPKfiiiSE_SE_iiiii
	.type	_ZN4vllm22paged_attention_kernelI14__hip_bfloat16hLi256ELi16ELi128ELNS_18Fp8KVCacheDataTypeE1ELb1ELi0EEEvPfS3_PT_PKS4_PKT0_SA_ifPKiSC_iPKfiiiSE_SE_iiiii,@function
_ZN4vllm22paged_attention_kernelI14__hip_bfloat16hLi256ELi16ELi128ELNS_18Fp8KVCacheDataTypeE1ELb1ELi0EEEvPfS3_PT_PKS4_PKT0_SA_ifPKiSC_iPKfiiiSE_SE_iiiii: ; @_ZN4vllm22paged_attention_kernelI14__hip_bfloat16hLi256ELi16ELi128ELNS_18Fp8KVCacheDataTypeE1ELb1ELi0EEEvPfS3_PT_PKS4_PKT0_SA_ifPKiSC_iPKfiiiSE_SE_iiiii
; %bb.0:
	s_wait_loadcnt_dscnt 0x0
	s_wait_kmcnt 0x0
	s_clause 0x2f
	scratch_store_b32 off, v40, s32 offset:188
	; meta instruction
	scratch_store_b32 off, v41, s32 offset:184
	; meta instruction
	;; [unrolled: 2-line block ×47, first 2 shown]
	scratch_store_b32 off, v127, s32
	v_mov_b32_e32 v35, 0
	s_clause 0x3
	scratch_store_b64 off, v[22:23], s32 offset:432
	scratch_store_b64 off, v[20:21], s32 offset:440
	;; [unrolled: 1-line block ×3, first 2 shown]
	scratch_store_b32 off, v9, s32 offset:464
	v_dual_mov_b32 v39, v7 :: v_dual_mov_b32 v38, v6
	s_bfe_u32 s0, ttmp6, 0x4000c
	global_load_u16 v6, v35, s[8:9] offset:22
	s_add_co_i32 s0, s0, 1
	s_bfe_u32 s2, ttmp6, 0x40010
	s_and_b32 s1, ttmp6, 15
	s_mul_i32 s0, ttmp9, s0
	s_and_b32 s3, ttmp7, 0xffff
	s_add_co_i32 s2, s2, 1
	s_add_co_i32 s1, s1, s0
	s_mul_i32 s0, s3, s2
	s_bfe_u32 s2, ttmp6, 0x40004
	s_getreg_b32 s14, hwreg(HW_REG_IB_STS2, 6, 4)
	s_add_co_i32 s2, s2, s0
	s_cmp_eq_u32 s14, 0
	s_mov_b32 s10, s15
	s_cselect_b32 s15, s3, s2
	s_mov_b32 s5, 0
	s_cselect_b32 s2, ttmp9, s1
	s_lshl_b32 s4, s15, 2
	s_clause 0x1
	s_load_u16 s0, s[8:9], 0x12
	s_load_b32 s1, s[8:9], 0x0
	v_dual_mov_b32 v33, v16 :: v_dual_mov_b32 v32, v15
	s_wait_kmcnt 0x0
	s_cmp_lg_u32 s0, 0
	s_cselect_b32 s0, -1, 0
	s_delay_alu instid0(SALU_CYCLE_1) | instskip(SKIP_1) | instid1(SALU_CYCLE_1)
	s_cmp_lg_u32 s0, 0
	s_add_co_ci_u32 s16, s1, 0
	s_abs_i32 s0, s16
	s_wait_loadcnt 0x0
	v_readfirstlane_b32 s17, v6
	v_mov_b32_e32 v6, v35
	scratch_store_b64 off, v[0:1], s32 offset:492 ; 8-byte Folded Spill
	s_wait_xcnt 0x0
	v_add_nc_u64_e32 v[0:1], s[4:5], v[12:13]
	s_abs_i32 s4, s2
	scratch_store_b32 off, v6, s32 offset:460 ; 4-byte Folded Spill
	flat_load_b32 v99, v[0:1]
	s_wait_xcnt 0x0
	v_sub_nc_u32_e32 v0, 0, v8
	s_delay_alu instid0(VALU_DEP_1) | instskip(NEXT) | instid1(VALU_DEP_1)
	v_max_i32_e32 v0, v8, v0
	v_cvt_f32_u32_e32 v1, v0
	s_delay_alu instid0(VALU_DEP_1) | instskip(SKIP_1) | instid1(TRANS32_DEP_1)
	v_rcp_iflag_f32_e32 v1, v1
	v_nop
	v_mul_f32_e32 v1, 0x4f7ffffe, v1
	v_sub_nc_u32_e32 v7, 0, v0
	s_delay_alu instid0(VALU_DEP_2) | instskip(NEXT) | instid1(VALU_DEP_1)
	v_cvt_u32_f32_e32 v1, v1
	v_mul_lo_u32 v7, v7, v1
	s_delay_alu instid0(VALU_DEP_1) | instskip(NEXT) | instid1(VALU_DEP_1)
	v_mul_hi_u32 v7, v1, v7
	v_add_nc_u32_e32 v1, v1, v7
	s_delay_alu instid0(VALU_DEP_1) | instskip(NEXT) | instid1(VALU_DEP_1)
	v_mul_hi_u32 v1, s0, v1
	v_mul_lo_u32 v7, v1, v0
	s_delay_alu instid0(VALU_DEP_1) | instskip(SKIP_1) | instid1(VALU_DEP_1)
	v_dual_add_nc_u32 v9, 1, v1 :: v_dual_sub_nc_u32 v7, s0, v7
	s_mov_b32 s0, exec_lo
	v_cmp_ge_u32_e32 vcc_lo, v7, v0
	s_delay_alu instid0(VALU_DEP_2) | instskip(SKIP_1) | instid1(VALU_DEP_2)
	v_dual_cndmask_b32 v1, v1, v9 :: v_dual_sub_nc_u32 v12, v7, v0
	v_xor_b32_e32 v9, s16, v8
	v_dual_cndmask_b32 v7, v7, v12 :: v_dual_add_nc_u32 v12, 1, v1
	s_delay_alu instid0(VALU_DEP_2) | instskip(NEXT) | instid1(VALU_DEP_2)
	v_ashrrev_i32_e32 v9, 31, v9
	v_cmp_ge_u32_e32 vcc_lo, v7, v0
	s_delay_alu instid0(VALU_DEP_3) | instskip(NEXT) | instid1(VALU_DEP_1)
	v_cndmask_b32_e32 v0, v1, v12, vcc_lo
	v_xor_b32_e32 v0, v0, v9
	s_delay_alu instid0(VALU_DEP_1) | instskip(NEXT) | instid1(VALU_DEP_1)
	v_sub_nc_u32_e32 v1, v0, v9
	v_sub_nc_u32_e32 v0, 0, v1
	s_delay_alu instid0(VALU_DEP_1) | instskip(NEXT) | instid1(VALU_DEP_1)
	v_max_i32_e32 v0, v1, v0
	v_cvt_f32_u32_e32 v7, v0
	v_sub_nc_u32_e32 v9, 0, v0
	s_delay_alu instid0(VALU_DEP_2) | instskip(SKIP_1) | instid1(TRANS32_DEP_1)
	v_rcp_iflag_f32_e32 v7, v7
	v_nop
	v_mul_f32_e32 v7, 0x4f7ffffe, v7
	s_delay_alu instid0(VALU_DEP_1) | instskip(NEXT) | instid1(VALU_DEP_1)
	v_cvt_u32_f32_e32 v7, v7
	v_mul_lo_u32 v9, v9, v7
	s_delay_alu instid0(VALU_DEP_1) | instskip(NEXT) | instid1(VALU_DEP_1)
	v_mul_hi_u32 v9, v7, v9
	v_add_nc_u32_e32 v34, v7, v9
	v_cmpx_ne_u64_e32 0, v[32:33]
	s_cbranch_execz .LBB331_2
; %bb.1:
	s_ashr_i32 s3, s2, 31
	s_delay_alu instid0(SALU_CYCLE_1)
	v_lshl_add_u64 v[6:7], s[2:3], 2, v[32:33]
	flat_load_b32 v6, v[6:7]
	s_wait_loadcnt_dscnt 0x0
	scratch_store_b32 off, v6, s32 offset:460 ; 4-byte Folded Spill
.LBB331_2:
	s_wait_xcnt 0x0
	s_or_b32 exec_lo, exec_lo, s0
	v_mul_u64_e32 v[12:13], s[4:5], v[34:35]
	v_and_b32_e32 v48, 0x3ff, v31
	v_dual_ashrrev_i32 v1, 31, v1 :: v_dual_bitop2_b32 v49, 1, v31 bitop3:0x40
	v_bfe_u32 v6, v31, 1, 9
	s_ashr_i32 s1, s2, 31
	s_delay_alu instid0(VALU_DEP_3)
	v_cmp_gt_u32_e64 s0, 64, v48
	v_lshlrev_b32_e32 v52, 3, v48
	s_lshl_b32 s6, s2, 8
	scratch_store_b32 off, v6, s32 offset:476 ; 4-byte Folded Spill
	s_wait_xcnt 0x0
	s_and_saveexec_b32 s3, s0
	s_cbranch_execz .LBB331_4
; %bb.3:
	v_mul_lo_u32 v6, v17, s15
	s_ashr_i32 s7, s6, 31
	s_delay_alu instid0(VALU_DEP_1) | instskip(NEXT) | instid1(VALU_DEP_1)
	v_dual_mov_b32 v53, 0 :: v_dual_ashrrev_i32 v7, 31, v6
	v_lshl_add_u64 v[2:3], v[6:7], 1, v[2:3]
	s_delay_alu instid0(VALU_DEP_1) | instskip(NEXT) | instid1(VALU_DEP_1)
	v_lshl_add_u64 v[2:3], s[6:7], 1, v[2:3]
	v_add_nc_u64_e32 v[2:3], v[2:3], v[52:53]
	flat_load_b64 v[2:3], v[2:3]
	scratch_load_b32 v6, off, s32 offset:476 ; 4-byte Folded Reload
	s_wait_loadcnt 0x0
	v_lshlrev_b32_e32 v6, 3, v6
	s_delay_alu instid0(VALU_DEP_1)
	v_lshl_add_u32 v6, v49, 8, v6
	s_wait_dscnt 0x0
	ds_store_b64 v6, v[2:3]
.LBB331_4:
	s_wait_xcnt 0x0
	s_or_b32 exec_lo, exec_lo, s3
	v_sub_nc_u32_e32 v2, 0, v27
	v_mul_lo_u32 v3, v13, v0
	s_wait_loadcnt_dscnt 0x0
	v_dual_add_nc_u32 v1, -1, v99 :: v_dual_bitop2_b32 v12, s1, v1 bitop3:0x14
	s_mov_b32 s1, exec_lo
	v_max_i32_e32 v101, v27, v2
	s_delay_alu instid0(VALU_DEP_1) | instskip(NEXT) | instid1(VALU_DEP_1)
	v_cvt_f32_u32_e32 v2, v101
	v_rcp_iflag_f32_e32 v2, v2
	v_nop
	s_delay_alu instid0(TRANS32_DEP_1) | instskip(SKIP_1) | instid1(VALU_DEP_2)
	v_mul_f32_e32 v2, 0x4f7ffffe, v2
	v_sub_nc_u32_e32 v6, 0, v101
	v_cvt_u32_f32_e32 v7, v2
	v_dual_sub_nc_u32 v2, s4, v3 :: v_dual_add_nc_u32 v3, 1, v13
	s_delay_alu instid0(VALU_DEP_2) | instskip(NEXT) | instid1(VALU_DEP_2)
	v_mul_lo_u32 v6, v6, v7
	v_cmp_ge_u32_e32 vcc_lo, v2, v0
	s_delay_alu instid0(VALU_DEP_3) | instskip(NEXT) | instid1(VALU_DEP_1)
	v_dual_sub_nc_u32 v9, v2, v0 :: v_dual_cndmask_b32 v3, v13, v3, vcc_lo
	v_dual_cndmask_b32 v2, v2, v9 :: v_dual_add_nc_u32 v9, 1, v3
	s_delay_alu instid0(VALU_DEP_1) | instskip(SKIP_1) | instid1(VALU_DEP_3)
	v_cmp_ge_u32_e32 vcc_lo, v2, v0
	v_mul_hi_u32 v6, v7, v6
	v_dual_cndmask_b32 v0, v3, v9 :: v_dual_mov_b32 v3, 0
	s_delay_alu instid0(VALU_DEP_1) | instskip(NEXT) | instid1(VALU_DEP_1)
	v_dual_sub_nc_u32 v2, 0, v1 :: v_dual_bitop2_b32 v0, v0, v12 bitop3:0x14
	v_dual_mov_b32 v13, v3 :: v_dual_max_i32 v2, v1, v2
	s_delay_alu instid0(VALU_DEP_2)
	v_dual_sub_nc_u32 v0, v0, v12 :: v_dual_add_nc_u32 v12, v7, v6
                                        ; implicit-def: $vgpr6
                                        ; kill: killed $vgpr6
	scratch_store_b64 off, v[12:13], s32 offset:196 ; 8-byte Folded Spill
	s_wait_storecnt 0x0
	s_barrier_signal -1
	s_barrier_wait -1
	s_wait_xcnt 0x0
	v_cmpx_gt_i32_e32 0, v28
	s_xor_b32 s1, exec_lo, s1
	s_cbranch_execz .LBB331_6
; %bb.5:
	v_mad_u32 v6, v24, v8, v0
                                        ; implicit-def: $vgpr24
	s_delay_alu instid0(VALU_DEP_1) | instskip(NEXT) | instid1(VALU_DEP_1)
	v_mul_lo_u32 v6, v6, v28
                                        ; implicit-def: $vgpr28
	v_sub_nc_u32_e32 v6, 1, v6
	scratch_store_b32 off, v6, s32 offset:208 ; 4-byte Folded Spill
.LBB331_6:
	s_wait_xcnt 0x0
	s_or_saveexec_b32 s1, s1
	scratch_load_b64 v[6:7], off, s32 offset:196 ; 8-byte Folded Reload
	v_ashrrev_i32_e32 v1, 31, v1
	s_wait_loadcnt 0x0
	v_mul_u64_e32 v[12:13], v[2:3], v[6:7]
	v_ashrrev_i32_e32 v3, 31, v27
	scratch_store_b32 off, v3, s32 offset:204 ; 4-byte Folded Spill
	s_wait_xcnt 0x0
	s_xor_b32 exec_lo, exec_lo, s1
	s_cbranch_execz .LBB331_8
; %bb.7:
	v_mad_u32 v3, s16, v24, s2
	s_delay_alu instid0(VALU_DEP_1)
	v_mad_u32 v3, v3, v28, 1
	scratch_store_b32 off, v3, s32 offset:208 ; 4-byte Folded Spill
.LBB331_8:
	s_wait_xcnt 0x0
	s_or_b32 exec_lo, exec_lo, s1
	scratch_load_b32 v9, off, s32 offset:204 ; 4-byte Folded Reload
	v_mul_lo_u32 v3, v13, v101
	s_load_b32 s7, s[8:9], 0x8
	v_mul_lo_u32 v54, v14, s15
	v_mul_lo_u32 v64, v0, v19
	s_wait_xcnt 0x0
	s_get_pc_i64 s[8:9]
	s_add_nc_u64 s[8:9], s[8:9], llvm.amdgcn.dynlds.offset.table@rel64+4
	v_dual_lshrrev_b32 v119, 5, v48 :: v_dual_lshrrev_b32 v53, 3, v48
	s_delay_alu instid0(VALU_DEP_1) | instskip(SKIP_2) | instid1(VALU_DEP_2)
	v_dual_sub_nc_u32 v27, 0, v26 :: v_dual_lshlrev_b32 v24, 4, v119
	v_dual_sub_nc_u32 v2, v2, v3 :: v_dual_add_nc_u32 v3, 1, v13
	v_dual_add_nc_u32 v6, 15, v99 :: v_dual_ashrrev_i32 v55, 31, v54
	v_dual_ashrrev_i32 v65, 31, v64 :: v_dual_sub_nc_u32 v7, v2, v101
	v_cmp_ge_u32_e32 vcc_lo, v2, v101
	s_delay_alu instid0(VALU_DEP_3) | instskip(NEXT) | instid1(VALU_DEP_3)
	v_dual_cndmask_b32 v3, v13, v3 :: v_dual_ashrrev_i32 v8, 31, v6
	v_cndmask_b32_e32 v2, v2, v7, vcc_lo
	s_wait_loadcnt 0x0
	s_delay_alu instid0(VALU_DEP_2) | instskip(NEXT) | instid1(VALU_DEP_2)
	v_dual_add_nc_u32 v7, 1, v3 :: v_dual_bitop2_b32 v1, v1, v9 bitop3:0x14
	v_cmp_ge_u32_e32 vcc_lo, v2, v101
	s_delay_alu instid0(VALU_DEP_2) | instskip(NEXT) | instid1(VALU_DEP_1)
	v_dual_lshrrev_b32 v8, 28, v8 :: v_dual_cndmask_b32 v2, v3, v7, vcc_lo
	v_dual_mov_b32 v7, 0xff7fffff :: v_dual_add_nc_u32 v0, v6, v8
	s_delay_alu instid0(VALU_DEP_1) | instskip(NEXT) | instid1(VALU_DEP_1)
	v_dual_ashrrev_i32 v3, 4, v0 :: v_dual_bitop2_b32 v2, v2, v1 bitop3:0x14
	v_sub_nc_u32_e32 v0, v2, v1
	s_delay_alu instid0(VALU_DEP_2) | instskip(SKIP_1) | instid1(VALU_DEP_3)
	v_cmp_ge_i32_e64 s1, v119, v3
	v_cmp_lt_i32_e32 vcc_lo, v119, v3
	v_sub_nc_u32_e32 v0, v0, v25
	s_clause 0x1
	scratch_store_b32 off, v3, s32 offset:192
	scratch_store_b32 off, v0, s32 offset:212
	s_wait_xcnt 0x0
	s_mov_b32 s5, exec_lo
	s_delay_alu instid0(SALU_CYCLE_1)
	s_and_b32 s2, s5, vcc_lo
	s_clause 0x2
	scratch_store_b32 off, v48, s32 offset:480
	scratch_store_b32 off, v49, s32 offset:484
	;; [unrolled: 1-line block ×3, first 2 shown]
	s_wait_xcnt 0x0
	s_mov_b32 exec_lo, s2
	s_cbranch_execz .LBB331_1044
; %bb.9:
	v_dual_mov_b32 v67, 0 :: v_dual_max_i32 v114, v26, v27
	s_clause 0x3
	scratch_store_b64 off, v[52:53], s32 offset:520
	scratch_store_b64 off, v[38:39], s32 offset:512
	scratch_store_b32 off, v26, s32 offset:508
	scratch_store_b32 off, v27, s32 offset:548
	s_ashr_i32 s11, s10, 31
	v_bfe_u32 v13, v48, 1, 4
	v_cvt_f32_u32_e32 v0, v114
	s_lshl_b64 s[12:13], s[10:11], 2
	v_lshlrev_b32_e32 v68, 4, v119
	s_add_nc_u64 s[12:13], s[8:9], s[12:13]
	v_dual_mov_b32 v7, v67 :: v_dual_lshlrev_b32 v6, 4, v13
	v_rcp_iflag_f32_e32 v0, v0
	s_load_b32 s11, s[12:13], 0x0
	v_dual_lshlrev_b32 v2, 2, v49 :: v_dual_lshlrev_b32 v116, 8, v49
	scratch_store_b64 off, v[64:65], s32 offset:540 ; 8-byte Folded Spill
	s_mov_b32 s18, 0
	v_dual_mul_f32 v0, 0x4f7ffffe, v0 :: v_dual_sub_nc_u32 v3, 0, v114
	v_cmp_eq_u32_e32 vcc_lo, 0, v49
	v_lshlrev_b32_e32 v12, 2, v13
	s_clause 0x2
	scratch_store_b32 off, v13, s32 offset:468
	scratch_store_b32 off, v53, s32 offset:536
	scratch_store_b64 off, v[54:55], s32 offset:528
	v_cvt_u32_f32_e32 v8, v0
	v_add_nc_u64_e32 v[0:1], v[4:5], v[64:65]
	scratch_load_b32 v4, off, s32 offset:460 ; 4-byte Folded Reload
	v_mov_b32_e32 v5, 0xff7fffff
	s_wait_xcnt 0x3
	v_sub_nc_u32_e32 v13, v13, v99
	v_mul_lo_u32 v3, v3, v8
	v_lshl_or_b32 v117, v119, 6, v12
	scratch_store_b32 off, v5, s32 offset:448 ; 4-byte Folded Spill
	s_wait_xcnt 0x0
	v_mov_b32_e32 v5, v67
	v_add_nc_u64_e32 v[0:1], v[0:1], v[6:7]
	v_mul_hi_u32 v9, v8, v3
	v_dual_mov_b32 v3, v67 :: v_dual_add_nc_u32 v6, 1, v13
	s_clause 0x1
	scratch_store_b32 off, v6, s32 offset:472
	scratch_store_b64 off, v[10:11], s32 offset:500
	v_add_nc_u64_e32 v[0:1], v[0:1], v[2:3]
	s_wait_xcnt 0x1
	v_add_nc_u32_e32 v6, v8, v9
	s_clause 0x1
	scratch_store_b64 off, v[0:1], s32 offset:452
	scratch_store_b64 off, v[6:7], s32 offset:392
	s_wait_loadcnt 0x0
	v_cmp_neq_f32_e64 s2, 0, v4
	v_and_b32_e32 v4, 0x7c, v53
	s_delay_alu instid0(VALU_DEP_1) | instskip(NEXT) | instid1(VALU_DEP_1)
	v_lshl_add_u64 v[4:5], v[54:55], 2, v[4:5]
	v_add_nc_u64_e32 v[80:81], v[10:11], v[4:5]
	s_branch .LBB331_12
.LBB331_10:                             ;   in Loop: Header=BB331_12 Depth=1
	s_wait_xcnt 0x0
	s_or_b32 exec_lo, exec_lo, s19
.LBB331_11:                             ;   in Loop: Header=BB331_12 Depth=1
	s_delay_alu instid0(SALU_CYCLE_1)
	s_or_b32 exec_lo, exec_lo, s4
	scratch_load_b32 v0, off, s32 offset:192 ; 4-byte Folded Reload
	v_dual_add_nc_u32 v119, 4, v119 :: v_dual_add_nc_u32 v68, 64, v68
	v_add_nc_u64_e32 v[80:81], 16, v[80:81]
	v_add_nc_u32_e32 v117, 0x100, v117
	s_wait_loadcnt 0x0
	s_delay_alu instid0(VALU_DEP_3)
	v_cmp_ge_i32_e64 s3, v119, v0
	s_or_b32 s18, s3, s18
	s_wait_xcnt 0x0
	s_and_not1_b32 exec_lo, exec_lo, s18
	s_cbranch_execz .LBB331_1043
.LBB331_12:                             ; =>This Inner Loop Header: Depth=1
	s_wait_dscnt 0x0
	scratch_load_b64 v[0:1], off, s32 offset:196 ; 8-byte Folded Reload
	v_mov_b32_e32 v69, v67
	s_wait_loadcnt 0x0
	s_delay_alu instid0(VALU_DEP_1) | instskip(NEXT) | instid1(VALU_DEP_1)
	v_mul_u64_e32 v[0:1], v[68:69], v[0:1]
	v_mul_lo_u32 v0, v1, v101
	s_delay_alu instid0(VALU_DEP_1) | instskip(NEXT) | instid1(VALU_DEP_1)
	v_sub_nc_u32_e32 v0, v68, v0
	v_cmp_ge_u32_e64 s3, v0, v101
	v_sub_nc_u32_e32 v3, v0, v101
	s_delay_alu instid0(VALU_DEP_1) | instskip(NEXT) | instid1(VALU_DEP_1)
	v_dual_add_nc_u32 v2, 1, v1 :: v_dual_cndmask_b32 v0, v0, v3, s3
	v_cndmask_b32_e64 v1, v1, v2, s3
	s_delay_alu instid0(VALU_DEP_2) | instskip(NEXT) | instid1(VALU_DEP_2)
	v_cmp_ge_u32_e64 s3, v0, v101
	v_add_nc_u32_e32 v2, 1, v1
	s_delay_alu instid0(VALU_DEP_1) | instskip(SKIP_3) | instid1(VALU_DEP_1)
	v_cndmask_b32_e64 v0, v1, v2, s3
	scratch_load_b32 v1, off, s32 offset:204 ; 4-byte Folded Reload
	s_wait_loadcnt 0x0
	v_xor_b32_e32 v0, v0, v1
	v_sub_nc_u32_e32 v2, v0, v1
	scratch_load_b32 v0, off, s32 offset:208 ; 4-byte Folded Reload
	s_wait_loadcnt 0x0
	v_add_nc_u32_e32 v3, v2, v0
	s_delay_alu instid0(VALU_DEP_1) | instskip(NEXT) | instid1(VALU_DEP_1)
	v_sub_nc_u32_e32 v0, 0, v3
	v_max_i32_e32 v66, v3, v0
	scratch_load_b64 v[0:1], off, s32 offset:392 ; 8-byte Folded Reload
	s_wait_loadcnt 0x0
	v_mul_u64_e32 v[0:1], v[66:67], v[0:1]
	s_delay_alu instid0(VALU_DEP_1) | instskip(NEXT) | instid1(VALU_DEP_1)
	v_mul_lo_u32 v0, v1, v114
	v_sub_nc_u32_e32 v0, v66, v0
	s_delay_alu instid0(VALU_DEP_1) | instskip(SKIP_1) | instid1(VALU_DEP_1)
	v_sub_nc_u32_e32 v1, v0, v114
	v_cmp_ge_u32_e64 s3, v0, v114
	v_dual_ashrrev_i32 v3, 31, v3 :: v_dual_cndmask_b32 v0, v0, v1, s3
	s_delay_alu instid0(VALU_DEP_1) | instskip(SKIP_1) | instid1(VALU_DEP_1)
	v_sub_nc_u32_e32 v1, v0, v114
	v_cmp_ge_u32_e64 s3, v0, v114
	v_cndmask_b32_e64 v0, v0, v1, s3
	s_delay_alu instid0(VALU_DEP_1) | instskip(NEXT) | instid1(VALU_DEP_1)
	v_xor_b32_e32 v0, v0, v3
	v_sub_nc_u32_e32 v0, v0, v3
	s_delay_alu instid0(VALU_DEP_1)
	v_cmp_ne_u32_e64 s3, 0, v0
	scratch_load_b32 v0, off, s32 offset:212 ; 4-byte Folded Reload
	s_wait_loadcnt 0x0
	v_cmp_le_i32_e64 s4, v2, v0
	s_and_b32 s3, s3, s4
	s_wait_xcnt 0x0
	s_and_saveexec_b32 s4, s3
	s_delay_alu instid0(SALU_CYCLE_1)
	s_xor_b32 s3, exec_lo, s4
	s_cbranch_execz .LBB331_16
; %bb.13:                               ;   in Loop: Header=BB331_12 Depth=1
	s_and_saveexec_b32 s4, vcc_lo
	s_cbranch_execz .LBB331_15
; %bb.14:                               ;   in Loop: Header=BB331_12 Depth=1
	s_wait_kmcnt 0x0
	v_dual_mov_b32 v1, 0xff7fffff :: v_dual_add_nc_u32 v0, s11, v117
	ds_store_b32 v0, v1
.LBB331_15:                             ;   in Loop: Header=BB331_12 Depth=1
	s_or_b32 exec_lo, exec_lo, s4
.LBB331_16:                             ;   in Loop: Header=BB331_12 Depth=1
	s_and_not1_saveexec_b32 s4, s3
	s_cbranch_execz .LBB331_11
; %bb.17:                               ;   in Loop: Header=BB331_12 Depth=1
	flat_load_b32 v0, v[80:81]
	s_clause 0x1
	scratch_load_b64 v[2:3], off, s32 offset:384
	scratch_load_b64 v[4:5], off, s32 offset:452
	v_dual_mov_b32 v6, 0 :: v_dual_mov_b32 v124, 0
	s_mov_b32 s19, exec_lo
	s_wait_loadcnt_dscnt 0x0
	v_mad_nc_i64_i32 v[84:85], v0, v2, v[4:5]
	flat_load_b32 v0, v[84:85]
	scratch_load_b64 v[2:3], off, s32 offset:440 ; 8-byte Folded Reload
	s_wait_loadcnt 0x0
	flat_load_b32 v69, v[2:3]
	ds_load_b128 v[48:51], v116
	ds_load_b128 v[36:39], v116 offset:16
	ds_load_b128 v[32:35], v116 offset:32
	;; [unrolled: 1-line block ×4, first 2 shown]
	s_wait_xcnt 0x0
	ds_load_b128 v[2:5], v116 offset:80
	ds_load_b32 v1, v116 offset:96
	scratch_store_b32 off, v6, s32 offset:216 ; 4-byte Folded Spill
	s_wait_dscnt 0x0
	scratch_store_b32 off, v1, s32 offset:400 ; 4-byte Folded Spill
	s_wait_xcnt 0x0
	ds_load_u16 v1, v116 offset:100
	s_wait_dscnt 0x0
	scratch_store_b32 off, v1, s32 offset:416 ; 4-byte Folded Spill
	s_wait_xcnt 0x0
	v_and_b32_e32 v1, 0xff, v0
	s_delay_alu instid0(VALU_DEP_1)
	v_cmpx_ne_u16_e32 0, v1
	s_cbranch_execz .LBB331_25
; %bb.18:                               ;   in Loop: Header=BB331_12 Depth=1
	v_bfrev_b32_e32 v124, 1
	s_mov_b32 s20, exec_lo
	v_cmpx_ne_u16_e32 0x80, v1
	s_cbranch_execz .LBB331_24
; %bb.19:                               ;   in Loop: Header=BB331_12 Depth=1
	v_and_b32_e32 v6, 0x7f, v0
	v_mov_b32_e32 v124, 0x7f800001
	s_mov_b32 s21, exec_lo
	s_delay_alu instid0(VALU_DEP_2)
	v_cmpx_ne_u32_e32 0x7f, v6
	s_cbranch_execz .LBB331_23
; %bb.20:                               ;   in Loop: Header=BB331_12 Depth=1
	v_dual_lshrrev_b32 v1, 3, v6 :: v_dual_bitop2_b32 v66, 7, v0 bitop3:0x40
	s_mov_b32 s22, exec_lo
	s_delay_alu instid0(VALU_DEP_1)
	v_mov_b64_e32 v[86:87], v[66:67]
	v_cmpx_gt_u32_e32 8, v6
; %bb.21:                               ;   in Loop: Header=BB331_12 Depth=1
	v_clz_i32_u32_e32 v1, v66
	s_delay_alu instid0(VALU_DEP_1) | instskip(NEXT) | instid1(VALU_DEP_1)
	v_min_u32_e32 v1, 32, v1
	v_subrev_nc_u32_e32 v6, 28, v1
	s_delay_alu instid0(VALU_DEP_1) | instskip(NEXT) | instid1(VALU_DEP_1)
	v_lshlrev_b64_e32 v[6:7], v6, v[66:67]
	v_dual_sub_nc_u32 v1, 29, v1 :: v_dual_bitop2_b32 v86, 7, v6 bitop3:0x40
; %bb.22:                               ;   in Loop: Header=BB331_12 Depth=1
	s_or_b32 exec_lo, exec_lo, s22
	s_delay_alu instid0(VALU_DEP_1) | instskip(NEXT) | instid1(VALU_DEP_2)
	v_dual_lshlrev_b32 v6, 24, v0 :: v_dual_lshlrev_b32 v7, 20, v86
	v_lshl_add_u32 v1, v1, 23, 0x3c000000
	s_delay_alu instid0(VALU_DEP_2) | instskip(NEXT) | instid1(VALU_DEP_1)
	v_and_b32_e32 v6, 0x80000000, v6
	v_or3_b32 v124, v7, v6, v1
.LBB331_23:                             ;   in Loop: Header=BB331_12 Depth=1
	s_or_b32 exec_lo, exec_lo, s21
.LBB331_24:                             ;   in Loop: Header=BB331_12 Depth=1
	s_delay_alu instid0(SALU_CYCLE_1)
	s_or_b32 exec_lo, exec_lo, s20
.LBB331_25:                             ;   in Loop: Header=BB331_12 Depth=1
	s_delay_alu instid0(SALU_CYCLE_1) | instskip(SKIP_2) | instid1(VALU_DEP_1)
	s_or_b32 exec_lo, exec_lo, s19
	v_lshrrev_b16 v1, 8, v0
	s_mov_b32 s19, exec_lo
	v_cmpx_ne_u16_e32 0, v1
	s_cbranch_execz .LBB331_33
; %bb.26:                               ;   in Loop: Header=BB331_12 Depth=1
	v_bfrev_b32_e32 v6, 1
	s_mov_b32 s20, exec_lo
	scratch_store_b32 off, v6, s32 offset:216 ; 4-byte Folded Spill
	s_wait_xcnt 0x0
	v_cmpx_ne_u16_e32 0x80, v1
	s_cbranch_execz .LBB331_32
; %bb.27:                               ;   in Loop: Header=BB331_12 Depth=1
	v_and_b32_e32 v1, 0xffff, v1
	v_mov_b32_e32 v7, 0x7f800001
	s_mov_b32 s21, exec_lo
	s_delay_alu instid0(VALU_DEP_2)
	v_and_b32_e32 v6, 0x7f, v1
	scratch_store_b32 off, v7, s32 offset:216 ; 4-byte Folded Spill
	s_wait_xcnt 0x0
	v_cmpx_ne_u32_e32 0x7f, v6
	s_cbranch_execz .LBB331_31
; %bb.28:                               ;   in Loop: Header=BB331_12 Depth=1
	v_dual_lshrrev_b32 v1, 3, v6 :: v_dual_bitop2_b32 v66, 7, v1 bitop3:0x40
	s_mov_b32 s22, exec_lo
	s_delay_alu instid0(VALU_DEP_1)
	v_mov_b64_e32 v[86:87], v[66:67]
	v_cmpx_gt_u32_e32 8, v6
; %bb.29:                               ;   in Loop: Header=BB331_12 Depth=1
	v_clz_i32_u32_e32 v1, v66
	s_delay_alu instid0(VALU_DEP_1) | instskip(NEXT) | instid1(VALU_DEP_1)
	v_min_u32_e32 v1, 32, v1
	v_subrev_nc_u32_e32 v6, 28, v1
	s_delay_alu instid0(VALU_DEP_1) | instskip(NEXT) | instid1(VALU_DEP_1)
	v_lshlrev_b64_e32 v[6:7], v6, v[66:67]
	v_dual_sub_nc_u32 v1, 29, v1 :: v_dual_bitop2_b32 v86, 7, v6 bitop3:0x40
; %bb.30:                               ;   in Loop: Header=BB331_12 Depth=1
	s_or_b32 exec_lo, exec_lo, s22
	s_delay_alu instid0(VALU_DEP_1) | instskip(NEXT) | instid1(VALU_DEP_2)
	v_dual_lshlrev_b32 v6, 16, v0 :: v_dual_lshlrev_b32 v7, 20, v86
	v_lshl_add_u32 v1, v1, 23, 0x3c000000
	s_delay_alu instid0(VALU_DEP_2) | instskip(NEXT) | instid1(VALU_DEP_1)
	v_and_b32_e32 v6, 0x80000000, v6
	v_or3_b32 v1, v7, v6, v1
	scratch_store_b32 off, v1, s32 offset:216 ; 4-byte Folded Spill
.LBB331_31:                             ;   in Loop: Header=BB331_12 Depth=1
	s_wait_xcnt 0x0
	s_or_b32 exec_lo, exec_lo, s21
.LBB331_32:                             ;   in Loop: Header=BB331_12 Depth=1
	s_delay_alu instid0(SALU_CYCLE_1)
	s_or_b32 exec_lo, exec_lo, s20
.LBB331_33:                             ;   in Loop: Header=BB331_12 Depth=1
	s_delay_alu instid0(SALU_CYCLE_1) | instskip(SKIP_2) | instid1(VALU_DEP_1)
	s_or_b32 exec_lo, exec_lo, s19
	v_dual_lshrrev_b32 v1, 16, v0 :: v_dual_mov_b32 v7, 0
	s_mov_b32 s19, exec_lo
	v_and_b32_e32 v6, 0xff, v1
	scratch_store_b32 off, v7, s32 offset:260 ; 4-byte Folded Spill
	s_wait_xcnt 0x0
	v_mov_b32_e32 v7, 0
	scratch_store_b32 off, v7, s32 offset:304 ; 4-byte Folded Spill
	s_wait_xcnt 0x0
	v_cmpx_ne_u16_e32 0, v6
	s_cbranch_execz .LBB331_41
; %bb.34:                               ;   in Loop: Header=BB331_12 Depth=1
	v_cmp_ne_u16_e64 s3, 0x80, v6
	v_bfrev_b32_e32 v6, 1
	s_and_saveexec_b32 s20, s3
	s_cbranch_execz .LBB331_40
; %bb.35:                               ;   in Loop: Header=BB331_12 Depth=1
	v_bfe_u32 v7, v0, 16, 7
	v_mov_b32_e32 v6, 0x7f800001
	s_mov_b32 s21, exec_lo
	s_delay_alu instid0(VALU_DEP_2)
	v_cmpx_ne_u32_e32 0x7f, v7
	s_cbranch_execz .LBB331_39
; %bb.36:                               ;   in Loop: Header=BB331_12 Depth=1
	v_dual_lshrrev_b32 v6, 3, v7 :: v_dual_bitop2_b32 v66, 7, v1 bitop3:0x40
	s_mov_b32 s22, exec_lo
	s_delay_alu instid0(VALU_DEP_1)
	v_mov_b64_e32 v[86:87], v[66:67]
	v_cmpx_gt_u32_e32 8, v7
; %bb.37:                               ;   in Loop: Header=BB331_12 Depth=1
	v_clz_i32_u32_e32 v6, v66
	s_delay_alu instid0(VALU_DEP_1) | instskip(NEXT) | instid1(VALU_DEP_1)
	v_min_u32_e32 v6, 32, v6
	v_subrev_nc_u32_e32 v7, 28, v6
	s_delay_alu instid0(VALU_DEP_1) | instskip(NEXT) | instid1(VALU_DEP_1)
	v_lshlrev_b64_e32 v[8:9], v7, v[66:67]
	v_dual_sub_nc_u32 v6, 29, v6 :: v_dual_bitop2_b32 v86, 7, v8 bitop3:0x40
; %bb.38:                               ;   in Loop: Header=BB331_12 Depth=1
	s_or_b32 exec_lo, exec_lo, s22
	s_delay_alu instid0(VALU_DEP_1) | instskip(NEXT) | instid1(VALU_DEP_2)
	v_dual_lshlrev_b32 v1, 24, v1 :: v_dual_lshlrev_b32 v7, 20, v86
	v_lshl_add_u32 v6, v6, 23, 0x3c000000
	s_delay_alu instid0(VALU_DEP_2) | instskip(NEXT) | instid1(VALU_DEP_1)
	v_and_b32_e32 v1, 0x80000000, v1
	v_or3_b32 v6, v7, v1, v6
.LBB331_39:                             ;   in Loop: Header=BB331_12 Depth=1
	s_or_b32 exec_lo, exec_lo, s21
.LBB331_40:                             ;   in Loop: Header=BB331_12 Depth=1
	s_delay_alu instid0(SALU_CYCLE_1)
	s_or_b32 exec_lo, exec_lo, s20
	scratch_store_b32 off, v6, s32 offset:304 ; 4-byte Folded Spill
.LBB331_41:                             ;   in Loop: Header=BB331_12 Depth=1
	s_wait_xcnt 0x0
	s_or_b32 exec_lo, exec_lo, s19
	s_delay_alu instid0(SALU_CYCLE_1)
	s_mov_b32 s19, exec_lo
	v_cmpx_lt_u32_e32 0xffffff, v0
	s_cbranch_execz .LBB331_49
; %bb.42:                               ;   in Loop: Header=BB331_12 Depth=1
	v_lshrrev_b32_e32 v1, 24, v0
	v_bfrev_b32_e32 v6, 1
	s_mov_b32 s20, exec_lo
	scratch_store_b32 off, v6, s32 offset:260 ; 4-byte Folded Spill
	s_wait_xcnt 0x0
	v_cmpx_ne_u32_e32 0x80, v1
	s_cbranch_execz .LBB331_48
; %bb.43:                               ;   in Loop: Header=BB331_12 Depth=1
	v_bfe_u32 v6, v0, 24, 7
	v_mov_b32_e32 v0, 0x7f800001
	s_mov_b32 s21, exec_lo
	s_delay_alu instid0(VALU_DEP_2)
	v_cmpx_ne_u32_e32 0x7f, v6
	s_cbranch_execz .LBB331_47
; %bb.44:                               ;   in Loop: Header=BB331_12 Depth=1
	v_dual_lshrrev_b32 v0, 3, v6 :: v_dual_bitop2_b32 v66, 7, v1 bitop3:0x40
	s_mov_b32 s22, exec_lo
	s_delay_alu instid0(VALU_DEP_1)
	v_mov_b64_e32 v[86:87], v[66:67]
	v_cmpx_gt_u32_e32 8, v6
; %bb.45:                               ;   in Loop: Header=BB331_12 Depth=1
	v_clz_i32_u32_e32 v0, v66
	s_delay_alu instid0(VALU_DEP_1) | instskip(NEXT) | instid1(VALU_DEP_1)
	v_min_u32_e32 v0, 32, v0
	v_subrev_nc_u32_e32 v6, 28, v0
	s_delay_alu instid0(VALU_DEP_1) | instskip(NEXT) | instid1(VALU_DEP_1)
	v_lshlrev_b64_e32 v[6:7], v6, v[66:67]
	v_dual_sub_nc_u32 v0, 29, v0 :: v_dual_bitop2_b32 v86, 7, v6 bitop3:0x40
; %bb.46:                               ;   in Loop: Header=BB331_12 Depth=1
	s_or_b32 exec_lo, exec_lo, s22
	s_delay_alu instid0(VALU_DEP_1) | instskip(NEXT) | instid1(VALU_DEP_2)
	v_dual_lshlrev_b32 v1, 24, v1 :: v_dual_lshlrev_b32 v6, 20, v86
	v_lshl_add_u32 v0, v0, 23, 0x3c000000
	s_delay_alu instid0(VALU_DEP_2) | instskip(NEXT) | instid1(VALU_DEP_1)
	v_and_b32_e32 v1, 0x80000000, v1
	v_or3_b32 v0, v6, v1, v0
.LBB331_47:                             ;   in Loop: Header=BB331_12 Depth=1
	s_or_b32 exec_lo, exec_lo, s21
	scratch_store_b32 off, v0, s32 offset:260 ; 4-byte Folded Spill
.LBB331_48:                             ;   in Loop: Header=BB331_12 Depth=1
	s_wait_xcnt 0x0
	s_or_b32 exec_lo, exec_lo, s20
.LBB331_49:                             ;   in Loop: Header=BB331_12 Depth=1
	s_delay_alu instid0(SALU_CYCLE_1)
	s_or_b32 exec_lo, exec_lo, s19
	flat_load_b32 v0, v[84:85] offset:8
	v_mov_b32_e32 v6, 0
	s_mov_b32 s19, exec_lo
	scratch_store_b32 off, v6, s32 offset:220 ; 4-byte Folded Spill
	s_wait_xcnt 0x0
	v_mov_b32_e32 v6, 0
	scratch_store_b32 off, v6, s32 offset:308 ; 4-byte Folded Spill
	s_wait_loadcnt_dscnt 0x0
	v_and_b32_e32 v1, 0xff, v0
	s_wait_xcnt 0x0
	s_delay_alu instid0(VALU_DEP_1)
	v_cmpx_ne_u16_e32 0, v1
	s_cbranch_execz .LBB331_57
; %bb.50:                               ;   in Loop: Header=BB331_12 Depth=1
	v_cmp_ne_u16_e64 s3, 0x80, v1
	v_bfrev_b32_e32 v1, 1
	s_and_saveexec_b32 s20, s3
	s_cbranch_execz .LBB331_56
; %bb.51:                               ;   in Loop: Header=BB331_12 Depth=1
	v_and_b32_e32 v6, 0x7f, v0
	v_mov_b32_e32 v1, 0x7f800001
	s_mov_b32 s21, exec_lo
	s_delay_alu instid0(VALU_DEP_2)
	v_cmpx_ne_u32_e32 0x7f, v6
	s_cbranch_execz .LBB331_55
; %bb.52:                               ;   in Loop: Header=BB331_12 Depth=1
	v_dual_lshrrev_b32 v1, 3, v6 :: v_dual_bitop2_b32 v66, 7, v0 bitop3:0x40
	s_mov_b32 s22, exec_lo
	s_delay_alu instid0(VALU_DEP_1)
	v_mov_b64_e32 v[86:87], v[66:67]
	v_cmpx_gt_u32_e32 8, v6
; %bb.53:                               ;   in Loop: Header=BB331_12 Depth=1
	v_clz_i32_u32_e32 v1, v66
	s_delay_alu instid0(VALU_DEP_1) | instskip(NEXT) | instid1(VALU_DEP_1)
	v_min_u32_e32 v1, 32, v1
	v_subrev_nc_u32_e32 v6, 28, v1
	s_delay_alu instid0(VALU_DEP_1) | instskip(NEXT) | instid1(VALU_DEP_1)
	v_lshlrev_b64_e32 v[6:7], v6, v[66:67]
	v_dual_sub_nc_u32 v1, 29, v1 :: v_dual_bitop2_b32 v86, 7, v6 bitop3:0x40
; %bb.54:                               ;   in Loop: Header=BB331_12 Depth=1
	s_or_b32 exec_lo, exec_lo, s22
	s_delay_alu instid0(VALU_DEP_1) | instskip(NEXT) | instid1(VALU_DEP_2)
	v_dual_lshlrev_b32 v6, 24, v0 :: v_dual_lshlrev_b32 v7, 20, v86
	v_lshl_add_u32 v1, v1, 23, 0x3c000000
	s_delay_alu instid0(VALU_DEP_2) | instskip(NEXT) | instid1(VALU_DEP_1)
	v_and_b32_e32 v6, 0x80000000, v6
	v_or3_b32 v1, v7, v6, v1
.LBB331_55:                             ;   in Loop: Header=BB331_12 Depth=1
	s_or_b32 exec_lo, exec_lo, s21
.LBB331_56:                             ;   in Loop: Header=BB331_12 Depth=1
	s_delay_alu instid0(SALU_CYCLE_1)
	s_or_b32 exec_lo, exec_lo, s20
	scratch_store_b32 off, v1, s32 offset:308 ; 4-byte Folded Spill
.LBB331_57:                             ;   in Loop: Header=BB331_12 Depth=1
	s_wait_xcnt 0x0
	s_or_b32 exec_lo, exec_lo, s19
	v_lshrrev_b16 v1, 8, v0
	s_mov_b32 s19, exec_lo
	s_delay_alu instid0(VALU_DEP_1)
	v_cmpx_ne_u16_e32 0, v1
	s_cbranch_execz .LBB331_65
; %bb.58:                               ;   in Loop: Header=BB331_12 Depth=1
	v_bfrev_b32_e32 v6, 1
	s_mov_b32 s20, exec_lo
	scratch_store_b32 off, v6, s32 offset:220 ; 4-byte Folded Spill
	s_wait_xcnt 0x0
	v_cmpx_ne_u16_e32 0x80, v1
	s_cbranch_execz .LBB331_64
; %bb.59:                               ;   in Loop: Header=BB331_12 Depth=1
	v_and_b32_e32 v1, 0xffff, v1
	v_mov_b32_e32 v7, 0x7f800001
	s_mov_b32 s21, exec_lo
	s_delay_alu instid0(VALU_DEP_2)
	v_and_b32_e32 v6, 0x7f, v1
	scratch_store_b32 off, v7, s32 offset:220 ; 4-byte Folded Spill
	s_wait_xcnt 0x0
	v_cmpx_ne_u32_e32 0x7f, v6
	s_cbranch_execz .LBB331_63
; %bb.60:                               ;   in Loop: Header=BB331_12 Depth=1
	v_dual_lshrrev_b32 v1, 3, v6 :: v_dual_bitop2_b32 v66, 7, v1 bitop3:0x40
	s_mov_b32 s22, exec_lo
	s_delay_alu instid0(VALU_DEP_1)
	v_mov_b64_e32 v[86:87], v[66:67]
	v_cmpx_gt_u32_e32 8, v6
; %bb.61:                               ;   in Loop: Header=BB331_12 Depth=1
	v_clz_i32_u32_e32 v1, v66
	s_delay_alu instid0(VALU_DEP_1) | instskip(NEXT) | instid1(VALU_DEP_1)
	v_min_u32_e32 v1, 32, v1
	v_subrev_nc_u32_e32 v6, 28, v1
	s_delay_alu instid0(VALU_DEP_1) | instskip(NEXT) | instid1(VALU_DEP_1)
	v_lshlrev_b64_e32 v[6:7], v6, v[66:67]
	v_dual_sub_nc_u32 v1, 29, v1 :: v_dual_bitop2_b32 v86, 7, v6 bitop3:0x40
; %bb.62:                               ;   in Loop: Header=BB331_12 Depth=1
	s_or_b32 exec_lo, exec_lo, s22
	s_delay_alu instid0(VALU_DEP_1) | instskip(NEXT) | instid1(VALU_DEP_2)
	v_dual_lshlrev_b32 v6, 16, v0 :: v_dual_lshlrev_b32 v7, 20, v86
	v_lshl_add_u32 v1, v1, 23, 0x3c000000
	s_delay_alu instid0(VALU_DEP_2) | instskip(NEXT) | instid1(VALU_DEP_1)
	v_and_b32_e32 v6, 0x80000000, v6
	v_or3_b32 v1, v7, v6, v1
	scratch_store_b32 off, v1, s32 offset:220 ; 4-byte Folded Spill
.LBB331_63:                             ;   in Loop: Header=BB331_12 Depth=1
	s_wait_xcnt 0x0
	s_or_b32 exec_lo, exec_lo, s21
.LBB331_64:                             ;   in Loop: Header=BB331_12 Depth=1
	s_delay_alu instid0(SALU_CYCLE_1)
	s_or_b32 exec_lo, exec_lo, s20
.LBB331_65:                             ;   in Loop: Header=BB331_12 Depth=1
	s_delay_alu instid0(SALU_CYCLE_1) | instskip(SKIP_2) | instid1(VALU_DEP_1)
	s_or_b32 exec_lo, exec_lo, s19
	v_dual_lshrrev_b32 v1, 16, v0 :: v_dual_mov_b32 v7, 0
	s_mov_b32 s19, exec_lo
	v_and_b32_e32 v6, 0xff, v1
	scratch_store_b32 off, v7, s32 offset:264 ; 4-byte Folded Spill
	s_wait_xcnt 0x0
	v_mov_b32_e32 v7, 0
	scratch_store_b32 off, v7, s32 offset:312 ; 4-byte Folded Spill
	s_wait_xcnt 0x0
	v_cmpx_ne_u16_e32 0, v6
	s_cbranch_execz .LBB331_73
; %bb.66:                               ;   in Loop: Header=BB331_12 Depth=1
	v_cmp_ne_u16_e64 s3, 0x80, v6
	v_bfrev_b32_e32 v6, 1
	s_and_saveexec_b32 s20, s3
	s_cbranch_execz .LBB331_72
; %bb.67:                               ;   in Loop: Header=BB331_12 Depth=1
	v_bfe_u32 v7, v0, 16, 7
	v_mov_b32_e32 v6, 0x7f800001
	s_mov_b32 s21, exec_lo
	s_delay_alu instid0(VALU_DEP_2)
	v_cmpx_ne_u32_e32 0x7f, v7
	s_cbranch_execz .LBB331_71
; %bb.68:                               ;   in Loop: Header=BB331_12 Depth=1
	v_dual_lshrrev_b32 v6, 3, v7 :: v_dual_bitop2_b32 v66, 7, v1 bitop3:0x40
	s_mov_b32 s22, exec_lo
	s_delay_alu instid0(VALU_DEP_1)
	v_mov_b64_e32 v[86:87], v[66:67]
	v_cmpx_gt_u32_e32 8, v7
; %bb.69:                               ;   in Loop: Header=BB331_12 Depth=1
	v_clz_i32_u32_e32 v6, v66
	s_delay_alu instid0(VALU_DEP_1) | instskip(NEXT) | instid1(VALU_DEP_1)
	v_min_u32_e32 v6, 32, v6
	v_subrev_nc_u32_e32 v7, 28, v6
	s_delay_alu instid0(VALU_DEP_1) | instskip(NEXT) | instid1(VALU_DEP_1)
	v_lshlrev_b64_e32 v[8:9], v7, v[66:67]
	v_dual_sub_nc_u32 v6, 29, v6 :: v_dual_bitop2_b32 v86, 7, v8 bitop3:0x40
; %bb.70:                               ;   in Loop: Header=BB331_12 Depth=1
	s_or_b32 exec_lo, exec_lo, s22
	s_delay_alu instid0(VALU_DEP_1) | instskip(NEXT) | instid1(VALU_DEP_2)
	v_dual_lshlrev_b32 v1, 24, v1 :: v_dual_lshlrev_b32 v7, 20, v86
	v_lshl_add_u32 v6, v6, 23, 0x3c000000
	s_delay_alu instid0(VALU_DEP_2) | instskip(NEXT) | instid1(VALU_DEP_1)
	v_and_b32_e32 v1, 0x80000000, v1
	v_or3_b32 v6, v7, v1, v6
.LBB331_71:                             ;   in Loop: Header=BB331_12 Depth=1
	s_or_b32 exec_lo, exec_lo, s21
.LBB331_72:                             ;   in Loop: Header=BB331_12 Depth=1
	s_delay_alu instid0(SALU_CYCLE_1)
	s_or_b32 exec_lo, exec_lo, s20
	scratch_store_b32 off, v6, s32 offset:312 ; 4-byte Folded Spill
.LBB331_73:                             ;   in Loop: Header=BB331_12 Depth=1
	s_wait_xcnt 0x0
	s_or_b32 exec_lo, exec_lo, s19
	s_delay_alu instid0(SALU_CYCLE_1)
	s_mov_b32 s19, exec_lo
	v_cmpx_lt_u32_e32 0xffffff, v0
	s_cbranch_execz .LBB331_81
; %bb.74:                               ;   in Loop: Header=BB331_12 Depth=1
	v_lshrrev_b32_e32 v1, 24, v0
	v_bfrev_b32_e32 v6, 1
	s_mov_b32 s20, exec_lo
	scratch_store_b32 off, v6, s32 offset:264 ; 4-byte Folded Spill
	s_wait_xcnt 0x0
	v_cmpx_ne_u32_e32 0x80, v1
	s_cbranch_execz .LBB331_80
; %bb.75:                               ;   in Loop: Header=BB331_12 Depth=1
	v_bfe_u32 v6, v0, 24, 7
	v_mov_b32_e32 v0, 0x7f800001
	s_mov_b32 s21, exec_lo
	s_delay_alu instid0(VALU_DEP_2)
	v_cmpx_ne_u32_e32 0x7f, v6
	s_cbranch_execz .LBB331_79
; %bb.76:                               ;   in Loop: Header=BB331_12 Depth=1
	v_dual_lshrrev_b32 v0, 3, v6 :: v_dual_bitop2_b32 v66, 7, v1 bitop3:0x40
	s_mov_b32 s22, exec_lo
	s_delay_alu instid0(VALU_DEP_1)
	v_mov_b64_e32 v[86:87], v[66:67]
	v_cmpx_gt_u32_e32 8, v6
; %bb.77:                               ;   in Loop: Header=BB331_12 Depth=1
	v_clz_i32_u32_e32 v0, v66
	s_delay_alu instid0(VALU_DEP_1) | instskip(NEXT) | instid1(VALU_DEP_1)
	v_min_u32_e32 v0, 32, v0
	v_subrev_nc_u32_e32 v6, 28, v0
	s_delay_alu instid0(VALU_DEP_1) | instskip(NEXT) | instid1(VALU_DEP_1)
	v_lshlrev_b64_e32 v[6:7], v6, v[66:67]
	v_dual_sub_nc_u32 v0, 29, v0 :: v_dual_bitop2_b32 v86, 7, v6 bitop3:0x40
; %bb.78:                               ;   in Loop: Header=BB331_12 Depth=1
	s_or_b32 exec_lo, exec_lo, s22
	s_delay_alu instid0(VALU_DEP_1) | instskip(NEXT) | instid1(VALU_DEP_2)
	v_dual_lshlrev_b32 v1, 24, v1 :: v_dual_lshlrev_b32 v6, 20, v86
	v_lshl_add_u32 v0, v0, 23, 0x3c000000
	s_delay_alu instid0(VALU_DEP_2) | instskip(NEXT) | instid1(VALU_DEP_1)
	v_and_b32_e32 v1, 0x80000000, v1
	v_or3_b32 v0, v6, v1, v0
.LBB331_79:                             ;   in Loop: Header=BB331_12 Depth=1
	s_or_b32 exec_lo, exec_lo, s21
	scratch_store_b32 off, v0, s32 offset:264 ; 4-byte Folded Spill
.LBB331_80:                             ;   in Loop: Header=BB331_12 Depth=1
	s_wait_xcnt 0x0
	s_or_b32 exec_lo, exec_lo, s20
.LBB331_81:                             ;   in Loop: Header=BB331_12 Depth=1
	s_delay_alu instid0(SALU_CYCLE_1)
	s_or_b32 exec_lo, exec_lo, s19
	flat_load_b32 v0, v[84:85] offset:256
	v_mov_b32_e32 v6, 0
	s_mov_b32 s19, exec_lo
	scratch_store_b32 off, v6, s32 offset:224 ; 4-byte Folded Spill
	s_wait_xcnt 0x0
	v_mov_b32_e32 v6, 0
	scratch_store_b32 off, v6, s32 offset:316 ; 4-byte Folded Spill
	s_wait_loadcnt_dscnt 0x0
	v_and_b32_e32 v1, 0xff, v0
	s_wait_xcnt 0x0
	s_delay_alu instid0(VALU_DEP_1)
	v_cmpx_ne_u16_e32 0, v1
	s_cbranch_execz .LBB331_89
; %bb.82:                               ;   in Loop: Header=BB331_12 Depth=1
	v_cmp_ne_u16_e64 s3, 0x80, v1
	v_bfrev_b32_e32 v1, 1
	s_and_saveexec_b32 s20, s3
	s_cbranch_execz .LBB331_88
; %bb.83:                               ;   in Loop: Header=BB331_12 Depth=1
	v_and_b32_e32 v6, 0x7f, v0
	v_mov_b32_e32 v1, 0x7f800001
	s_mov_b32 s21, exec_lo
	s_delay_alu instid0(VALU_DEP_2)
	v_cmpx_ne_u32_e32 0x7f, v6
	s_cbranch_execz .LBB331_87
; %bb.84:                               ;   in Loop: Header=BB331_12 Depth=1
	v_dual_lshrrev_b32 v1, 3, v6 :: v_dual_bitop2_b32 v66, 7, v0 bitop3:0x40
	s_mov_b32 s22, exec_lo
	s_delay_alu instid0(VALU_DEP_1)
	v_mov_b64_e32 v[86:87], v[66:67]
	v_cmpx_gt_u32_e32 8, v6
; %bb.85:                               ;   in Loop: Header=BB331_12 Depth=1
	v_clz_i32_u32_e32 v1, v66
	s_delay_alu instid0(VALU_DEP_1) | instskip(NEXT) | instid1(VALU_DEP_1)
	v_min_u32_e32 v1, 32, v1
	v_subrev_nc_u32_e32 v6, 28, v1
	s_delay_alu instid0(VALU_DEP_1) | instskip(NEXT) | instid1(VALU_DEP_1)
	v_lshlrev_b64_e32 v[6:7], v6, v[66:67]
	v_dual_sub_nc_u32 v1, 29, v1 :: v_dual_bitop2_b32 v86, 7, v6 bitop3:0x40
; %bb.86:                               ;   in Loop: Header=BB331_12 Depth=1
	s_or_b32 exec_lo, exec_lo, s22
	s_delay_alu instid0(VALU_DEP_1) | instskip(NEXT) | instid1(VALU_DEP_2)
	v_dual_lshlrev_b32 v6, 24, v0 :: v_dual_lshlrev_b32 v7, 20, v86
	v_lshl_add_u32 v1, v1, 23, 0x3c000000
	s_delay_alu instid0(VALU_DEP_2) | instskip(NEXT) | instid1(VALU_DEP_1)
	v_and_b32_e32 v6, 0x80000000, v6
	v_or3_b32 v1, v7, v6, v1
.LBB331_87:                             ;   in Loop: Header=BB331_12 Depth=1
	s_or_b32 exec_lo, exec_lo, s21
.LBB331_88:                             ;   in Loop: Header=BB331_12 Depth=1
	s_delay_alu instid0(SALU_CYCLE_1)
	s_or_b32 exec_lo, exec_lo, s20
	scratch_store_b32 off, v1, s32 offset:316 ; 4-byte Folded Spill
.LBB331_89:                             ;   in Loop: Header=BB331_12 Depth=1
	s_wait_xcnt 0x0
	s_or_b32 exec_lo, exec_lo, s19
	v_lshrrev_b16 v1, 8, v0
	s_mov_b32 s19, exec_lo
	s_delay_alu instid0(VALU_DEP_1)
	v_cmpx_ne_u16_e32 0, v1
	s_cbranch_execz .LBB331_97
; %bb.90:                               ;   in Loop: Header=BB331_12 Depth=1
	v_bfrev_b32_e32 v6, 1
	s_mov_b32 s20, exec_lo
	scratch_store_b32 off, v6, s32 offset:224 ; 4-byte Folded Spill
	s_wait_xcnt 0x0
	v_cmpx_ne_u16_e32 0x80, v1
	s_cbranch_execz .LBB331_96
; %bb.91:                               ;   in Loop: Header=BB331_12 Depth=1
	v_and_b32_e32 v1, 0xffff, v1
	v_mov_b32_e32 v7, 0x7f800001
	s_mov_b32 s21, exec_lo
	s_delay_alu instid0(VALU_DEP_2)
	v_and_b32_e32 v6, 0x7f, v1
	scratch_store_b32 off, v7, s32 offset:224 ; 4-byte Folded Spill
	s_wait_xcnt 0x0
	v_cmpx_ne_u32_e32 0x7f, v6
	s_cbranch_execz .LBB331_95
; %bb.92:                               ;   in Loop: Header=BB331_12 Depth=1
	v_dual_lshrrev_b32 v1, 3, v6 :: v_dual_bitop2_b32 v66, 7, v1 bitop3:0x40
	s_mov_b32 s22, exec_lo
	s_delay_alu instid0(VALU_DEP_1)
	v_mov_b64_e32 v[86:87], v[66:67]
	v_cmpx_gt_u32_e32 8, v6
; %bb.93:                               ;   in Loop: Header=BB331_12 Depth=1
	v_clz_i32_u32_e32 v1, v66
	s_delay_alu instid0(VALU_DEP_1) | instskip(NEXT) | instid1(VALU_DEP_1)
	v_min_u32_e32 v1, 32, v1
	v_subrev_nc_u32_e32 v6, 28, v1
	s_delay_alu instid0(VALU_DEP_1) | instskip(NEXT) | instid1(VALU_DEP_1)
	v_lshlrev_b64_e32 v[6:7], v6, v[66:67]
	v_dual_sub_nc_u32 v1, 29, v1 :: v_dual_bitop2_b32 v86, 7, v6 bitop3:0x40
; %bb.94:                               ;   in Loop: Header=BB331_12 Depth=1
	s_or_b32 exec_lo, exec_lo, s22
	s_delay_alu instid0(VALU_DEP_1) | instskip(NEXT) | instid1(VALU_DEP_2)
	v_dual_lshlrev_b32 v6, 16, v0 :: v_dual_lshlrev_b32 v7, 20, v86
	v_lshl_add_u32 v1, v1, 23, 0x3c000000
	s_delay_alu instid0(VALU_DEP_2) | instskip(NEXT) | instid1(VALU_DEP_1)
	v_and_b32_e32 v6, 0x80000000, v6
	v_or3_b32 v1, v7, v6, v1
	scratch_store_b32 off, v1, s32 offset:224 ; 4-byte Folded Spill
.LBB331_95:                             ;   in Loop: Header=BB331_12 Depth=1
	s_wait_xcnt 0x0
	s_or_b32 exec_lo, exec_lo, s21
.LBB331_96:                             ;   in Loop: Header=BB331_12 Depth=1
	s_delay_alu instid0(SALU_CYCLE_1)
	s_or_b32 exec_lo, exec_lo, s20
.LBB331_97:                             ;   in Loop: Header=BB331_12 Depth=1
	s_delay_alu instid0(SALU_CYCLE_1) | instskip(SKIP_2) | instid1(VALU_DEP_1)
	s_or_b32 exec_lo, exec_lo, s19
	v_dual_lshrrev_b32 v1, 16, v0 :: v_dual_mov_b32 v7, 0
	s_mov_b32 s19, exec_lo
	v_and_b32_e32 v6, 0xff, v1
	scratch_store_b32 off, v7, s32 offset:268 ; 4-byte Folded Spill
	s_wait_xcnt 0x0
	v_mov_b32_e32 v7, 0
	scratch_store_b32 off, v7, s32 offset:320 ; 4-byte Folded Spill
	s_wait_xcnt 0x0
	v_cmpx_ne_u16_e32 0, v6
	s_cbranch_execz .LBB331_105
; %bb.98:                               ;   in Loop: Header=BB331_12 Depth=1
	v_cmp_ne_u16_e64 s3, 0x80, v6
	v_bfrev_b32_e32 v6, 1
	s_and_saveexec_b32 s20, s3
	s_cbranch_execz .LBB331_104
; %bb.99:                               ;   in Loop: Header=BB331_12 Depth=1
	v_bfe_u32 v7, v0, 16, 7
	v_mov_b32_e32 v6, 0x7f800001
	s_mov_b32 s21, exec_lo
	s_delay_alu instid0(VALU_DEP_2)
	v_cmpx_ne_u32_e32 0x7f, v7
	s_cbranch_execz .LBB331_103
; %bb.100:                              ;   in Loop: Header=BB331_12 Depth=1
	v_dual_lshrrev_b32 v6, 3, v7 :: v_dual_bitop2_b32 v66, 7, v1 bitop3:0x40
	s_mov_b32 s22, exec_lo
	s_delay_alu instid0(VALU_DEP_1)
	v_mov_b64_e32 v[86:87], v[66:67]
	v_cmpx_gt_u32_e32 8, v7
; %bb.101:                              ;   in Loop: Header=BB331_12 Depth=1
	v_clz_i32_u32_e32 v6, v66
	s_delay_alu instid0(VALU_DEP_1) | instskip(NEXT) | instid1(VALU_DEP_1)
	v_min_u32_e32 v6, 32, v6
	v_subrev_nc_u32_e32 v7, 28, v6
	s_delay_alu instid0(VALU_DEP_1) | instskip(NEXT) | instid1(VALU_DEP_1)
	v_lshlrev_b64_e32 v[8:9], v7, v[66:67]
	v_dual_sub_nc_u32 v6, 29, v6 :: v_dual_bitop2_b32 v86, 7, v8 bitop3:0x40
; %bb.102:                              ;   in Loop: Header=BB331_12 Depth=1
	s_or_b32 exec_lo, exec_lo, s22
	s_delay_alu instid0(VALU_DEP_1) | instskip(NEXT) | instid1(VALU_DEP_2)
	v_dual_lshlrev_b32 v1, 24, v1 :: v_dual_lshlrev_b32 v7, 20, v86
	v_lshl_add_u32 v6, v6, 23, 0x3c000000
	s_delay_alu instid0(VALU_DEP_2) | instskip(NEXT) | instid1(VALU_DEP_1)
	v_and_b32_e32 v1, 0x80000000, v1
	v_or3_b32 v6, v7, v1, v6
.LBB331_103:                            ;   in Loop: Header=BB331_12 Depth=1
	s_or_b32 exec_lo, exec_lo, s21
.LBB331_104:                            ;   in Loop: Header=BB331_12 Depth=1
	s_delay_alu instid0(SALU_CYCLE_1)
	s_or_b32 exec_lo, exec_lo, s20
	scratch_store_b32 off, v6, s32 offset:320 ; 4-byte Folded Spill
.LBB331_105:                            ;   in Loop: Header=BB331_12 Depth=1
	s_wait_xcnt 0x0
	s_or_b32 exec_lo, exec_lo, s19
	s_delay_alu instid0(SALU_CYCLE_1)
	s_mov_b32 s19, exec_lo
	v_cmpx_lt_u32_e32 0xffffff, v0
	s_cbranch_execz .LBB331_113
; %bb.106:                              ;   in Loop: Header=BB331_12 Depth=1
	v_lshrrev_b32_e32 v1, 24, v0
	v_bfrev_b32_e32 v6, 1
	s_mov_b32 s20, exec_lo
	scratch_store_b32 off, v6, s32 offset:268 ; 4-byte Folded Spill
	s_wait_xcnt 0x0
	v_cmpx_ne_u32_e32 0x80, v1
	s_cbranch_execz .LBB331_112
; %bb.107:                              ;   in Loop: Header=BB331_12 Depth=1
	v_bfe_u32 v6, v0, 24, 7
	v_mov_b32_e32 v0, 0x7f800001
	s_mov_b32 s21, exec_lo
	s_delay_alu instid0(VALU_DEP_2)
	v_cmpx_ne_u32_e32 0x7f, v6
	s_cbranch_execz .LBB331_111
; %bb.108:                              ;   in Loop: Header=BB331_12 Depth=1
	v_dual_lshrrev_b32 v0, 3, v6 :: v_dual_bitop2_b32 v66, 7, v1 bitop3:0x40
	s_mov_b32 s22, exec_lo
	s_delay_alu instid0(VALU_DEP_1)
	v_mov_b64_e32 v[86:87], v[66:67]
	v_cmpx_gt_u32_e32 8, v6
; %bb.109:                              ;   in Loop: Header=BB331_12 Depth=1
	v_clz_i32_u32_e32 v0, v66
	s_delay_alu instid0(VALU_DEP_1) | instskip(NEXT) | instid1(VALU_DEP_1)
	v_min_u32_e32 v0, 32, v0
	v_subrev_nc_u32_e32 v6, 28, v0
	s_delay_alu instid0(VALU_DEP_1) | instskip(NEXT) | instid1(VALU_DEP_1)
	v_lshlrev_b64_e32 v[6:7], v6, v[66:67]
	v_dual_sub_nc_u32 v0, 29, v0 :: v_dual_bitop2_b32 v86, 7, v6 bitop3:0x40
; %bb.110:                              ;   in Loop: Header=BB331_12 Depth=1
	s_or_b32 exec_lo, exec_lo, s22
	s_delay_alu instid0(VALU_DEP_1) | instskip(NEXT) | instid1(VALU_DEP_2)
	v_dual_lshlrev_b32 v1, 24, v1 :: v_dual_lshlrev_b32 v6, 20, v86
	v_lshl_add_u32 v0, v0, 23, 0x3c000000
	s_delay_alu instid0(VALU_DEP_2) | instskip(NEXT) | instid1(VALU_DEP_1)
	v_and_b32_e32 v1, 0x80000000, v1
	v_or3_b32 v0, v6, v1, v0
.LBB331_111:                            ;   in Loop: Header=BB331_12 Depth=1
	s_or_b32 exec_lo, exec_lo, s21
	scratch_store_b32 off, v0, s32 offset:268 ; 4-byte Folded Spill
.LBB331_112:                            ;   in Loop: Header=BB331_12 Depth=1
	s_wait_xcnt 0x0
	s_or_b32 exec_lo, exec_lo, s20
.LBB331_113:                            ;   in Loop: Header=BB331_12 Depth=1
	s_delay_alu instid0(SALU_CYCLE_1)
	s_or_b32 exec_lo, exec_lo, s19
	flat_load_b32 v0, v[84:85] offset:264
	v_mov_b32_e32 v6, 0
	s_mov_b32 s19, exec_lo
	scratch_store_b32 off, v6, s32 offset:228 ; 4-byte Folded Spill
	s_wait_xcnt 0x0
	v_mov_b32_e32 v6, 0
	scratch_store_b32 off, v6, s32 offset:324 ; 4-byte Folded Spill
	s_wait_loadcnt_dscnt 0x0
	v_and_b32_e32 v1, 0xff, v0
	s_wait_xcnt 0x0
	s_delay_alu instid0(VALU_DEP_1)
	v_cmpx_ne_u16_e32 0, v1
	s_cbranch_execz .LBB331_121
; %bb.114:                              ;   in Loop: Header=BB331_12 Depth=1
	v_cmp_ne_u16_e64 s3, 0x80, v1
	v_bfrev_b32_e32 v1, 1
	s_and_saveexec_b32 s20, s3
	s_cbranch_execz .LBB331_120
; %bb.115:                              ;   in Loop: Header=BB331_12 Depth=1
	v_and_b32_e32 v6, 0x7f, v0
	v_mov_b32_e32 v1, 0x7f800001
	s_mov_b32 s21, exec_lo
	s_delay_alu instid0(VALU_DEP_2)
	v_cmpx_ne_u32_e32 0x7f, v6
	s_cbranch_execz .LBB331_119
; %bb.116:                              ;   in Loop: Header=BB331_12 Depth=1
	v_dual_lshrrev_b32 v1, 3, v6 :: v_dual_bitop2_b32 v66, 7, v0 bitop3:0x40
	s_mov_b32 s22, exec_lo
	s_delay_alu instid0(VALU_DEP_1)
	v_mov_b64_e32 v[86:87], v[66:67]
	v_cmpx_gt_u32_e32 8, v6
; %bb.117:                              ;   in Loop: Header=BB331_12 Depth=1
	v_clz_i32_u32_e32 v1, v66
	s_delay_alu instid0(VALU_DEP_1) | instskip(NEXT) | instid1(VALU_DEP_1)
	v_min_u32_e32 v1, 32, v1
	v_subrev_nc_u32_e32 v6, 28, v1
	s_delay_alu instid0(VALU_DEP_1) | instskip(NEXT) | instid1(VALU_DEP_1)
	v_lshlrev_b64_e32 v[6:7], v6, v[66:67]
	v_dual_sub_nc_u32 v1, 29, v1 :: v_dual_bitop2_b32 v86, 7, v6 bitop3:0x40
; %bb.118:                              ;   in Loop: Header=BB331_12 Depth=1
	s_or_b32 exec_lo, exec_lo, s22
	s_delay_alu instid0(VALU_DEP_1) | instskip(NEXT) | instid1(VALU_DEP_2)
	v_dual_lshlrev_b32 v6, 24, v0 :: v_dual_lshlrev_b32 v7, 20, v86
	v_lshl_add_u32 v1, v1, 23, 0x3c000000
	s_delay_alu instid0(VALU_DEP_2) | instskip(NEXT) | instid1(VALU_DEP_1)
	v_and_b32_e32 v6, 0x80000000, v6
	v_or3_b32 v1, v7, v6, v1
.LBB331_119:                            ;   in Loop: Header=BB331_12 Depth=1
	s_or_b32 exec_lo, exec_lo, s21
.LBB331_120:                            ;   in Loop: Header=BB331_12 Depth=1
	s_delay_alu instid0(SALU_CYCLE_1)
	s_or_b32 exec_lo, exec_lo, s20
	scratch_store_b32 off, v1, s32 offset:324 ; 4-byte Folded Spill
.LBB331_121:                            ;   in Loop: Header=BB331_12 Depth=1
	s_wait_xcnt 0x0
	s_or_b32 exec_lo, exec_lo, s19
	v_lshrrev_b16 v1, 8, v0
	s_mov_b32 s19, exec_lo
	s_delay_alu instid0(VALU_DEP_1)
	v_cmpx_ne_u16_e32 0, v1
	s_cbranch_execz .LBB331_129
; %bb.122:                              ;   in Loop: Header=BB331_12 Depth=1
	v_bfrev_b32_e32 v6, 1
	s_mov_b32 s20, exec_lo
	scratch_store_b32 off, v6, s32 offset:228 ; 4-byte Folded Spill
	s_wait_xcnt 0x0
	v_cmpx_ne_u16_e32 0x80, v1
	s_cbranch_execz .LBB331_128
; %bb.123:                              ;   in Loop: Header=BB331_12 Depth=1
	v_and_b32_e32 v1, 0xffff, v1
	v_mov_b32_e32 v7, 0x7f800001
	s_mov_b32 s21, exec_lo
	s_delay_alu instid0(VALU_DEP_2)
	v_and_b32_e32 v6, 0x7f, v1
	scratch_store_b32 off, v7, s32 offset:228 ; 4-byte Folded Spill
	s_wait_xcnt 0x0
	v_cmpx_ne_u32_e32 0x7f, v6
	s_cbranch_execz .LBB331_127
; %bb.124:                              ;   in Loop: Header=BB331_12 Depth=1
	v_dual_lshrrev_b32 v1, 3, v6 :: v_dual_bitop2_b32 v66, 7, v1 bitop3:0x40
	s_mov_b32 s22, exec_lo
	s_delay_alu instid0(VALU_DEP_1)
	v_mov_b64_e32 v[86:87], v[66:67]
	v_cmpx_gt_u32_e32 8, v6
; %bb.125:                              ;   in Loop: Header=BB331_12 Depth=1
	v_clz_i32_u32_e32 v1, v66
	s_delay_alu instid0(VALU_DEP_1) | instskip(NEXT) | instid1(VALU_DEP_1)
	v_min_u32_e32 v1, 32, v1
	v_subrev_nc_u32_e32 v6, 28, v1
	s_delay_alu instid0(VALU_DEP_1) | instskip(NEXT) | instid1(VALU_DEP_1)
	v_lshlrev_b64_e32 v[6:7], v6, v[66:67]
	v_dual_sub_nc_u32 v1, 29, v1 :: v_dual_bitop2_b32 v86, 7, v6 bitop3:0x40
; %bb.126:                              ;   in Loop: Header=BB331_12 Depth=1
	s_or_b32 exec_lo, exec_lo, s22
	s_delay_alu instid0(VALU_DEP_1) | instskip(NEXT) | instid1(VALU_DEP_2)
	v_dual_lshlrev_b32 v6, 16, v0 :: v_dual_lshlrev_b32 v7, 20, v86
	v_lshl_add_u32 v1, v1, 23, 0x3c000000
	s_delay_alu instid0(VALU_DEP_2) | instskip(NEXT) | instid1(VALU_DEP_1)
	v_and_b32_e32 v6, 0x80000000, v6
	v_or3_b32 v1, v7, v6, v1
	scratch_store_b32 off, v1, s32 offset:228 ; 4-byte Folded Spill
.LBB331_127:                            ;   in Loop: Header=BB331_12 Depth=1
	s_wait_xcnt 0x0
	s_or_b32 exec_lo, exec_lo, s21
.LBB331_128:                            ;   in Loop: Header=BB331_12 Depth=1
	s_delay_alu instid0(SALU_CYCLE_1)
	s_or_b32 exec_lo, exec_lo, s20
.LBB331_129:                            ;   in Loop: Header=BB331_12 Depth=1
	s_delay_alu instid0(SALU_CYCLE_1) | instskip(SKIP_2) | instid1(VALU_DEP_1)
	s_or_b32 exec_lo, exec_lo, s19
	v_dual_lshrrev_b32 v1, 16, v0 :: v_dual_mov_b32 v7, 0
	s_mov_b32 s19, exec_lo
	v_and_b32_e32 v6, 0xff, v1
	scratch_store_b32 off, v7, s32 offset:272 ; 4-byte Folded Spill
	s_wait_xcnt 0x0
	v_mov_b32_e32 v7, 0
	scratch_store_b32 off, v7, s32 offset:328 ; 4-byte Folded Spill
	s_wait_xcnt 0x0
	v_cmpx_ne_u16_e32 0, v6
	s_cbranch_execz .LBB331_137
; %bb.130:                              ;   in Loop: Header=BB331_12 Depth=1
	v_cmp_ne_u16_e64 s3, 0x80, v6
	v_bfrev_b32_e32 v6, 1
	s_and_saveexec_b32 s20, s3
	s_cbranch_execz .LBB331_136
; %bb.131:                              ;   in Loop: Header=BB331_12 Depth=1
	v_bfe_u32 v7, v0, 16, 7
	v_mov_b32_e32 v6, 0x7f800001
	s_mov_b32 s21, exec_lo
	s_delay_alu instid0(VALU_DEP_2)
	v_cmpx_ne_u32_e32 0x7f, v7
	s_cbranch_execz .LBB331_135
; %bb.132:                              ;   in Loop: Header=BB331_12 Depth=1
	v_dual_lshrrev_b32 v6, 3, v7 :: v_dual_bitop2_b32 v66, 7, v1 bitop3:0x40
	s_mov_b32 s22, exec_lo
	s_delay_alu instid0(VALU_DEP_1)
	v_mov_b64_e32 v[86:87], v[66:67]
	v_cmpx_gt_u32_e32 8, v7
; %bb.133:                              ;   in Loop: Header=BB331_12 Depth=1
	v_clz_i32_u32_e32 v6, v66
	s_delay_alu instid0(VALU_DEP_1) | instskip(NEXT) | instid1(VALU_DEP_1)
	v_min_u32_e32 v6, 32, v6
	v_subrev_nc_u32_e32 v7, 28, v6
	s_delay_alu instid0(VALU_DEP_1) | instskip(NEXT) | instid1(VALU_DEP_1)
	v_lshlrev_b64_e32 v[8:9], v7, v[66:67]
	v_dual_sub_nc_u32 v6, 29, v6 :: v_dual_bitop2_b32 v86, 7, v8 bitop3:0x40
; %bb.134:                              ;   in Loop: Header=BB331_12 Depth=1
	s_or_b32 exec_lo, exec_lo, s22
	s_delay_alu instid0(VALU_DEP_1) | instskip(NEXT) | instid1(VALU_DEP_2)
	v_dual_lshlrev_b32 v1, 24, v1 :: v_dual_lshlrev_b32 v7, 20, v86
	v_lshl_add_u32 v6, v6, 23, 0x3c000000
	s_delay_alu instid0(VALU_DEP_2) | instskip(NEXT) | instid1(VALU_DEP_1)
	v_and_b32_e32 v1, 0x80000000, v1
	v_or3_b32 v6, v7, v1, v6
.LBB331_135:                            ;   in Loop: Header=BB331_12 Depth=1
	s_or_b32 exec_lo, exec_lo, s21
.LBB331_136:                            ;   in Loop: Header=BB331_12 Depth=1
	s_delay_alu instid0(SALU_CYCLE_1)
	s_or_b32 exec_lo, exec_lo, s20
	scratch_store_b32 off, v6, s32 offset:328 ; 4-byte Folded Spill
.LBB331_137:                            ;   in Loop: Header=BB331_12 Depth=1
	s_wait_xcnt 0x0
	s_or_b32 exec_lo, exec_lo, s19
	s_delay_alu instid0(SALU_CYCLE_1)
	s_mov_b32 s19, exec_lo
	v_cmpx_lt_u32_e32 0xffffff, v0
	s_cbranch_execz .LBB331_145
; %bb.138:                              ;   in Loop: Header=BB331_12 Depth=1
	v_lshrrev_b32_e32 v1, 24, v0
	v_bfrev_b32_e32 v6, 1
	s_mov_b32 s20, exec_lo
	scratch_store_b32 off, v6, s32 offset:272 ; 4-byte Folded Spill
	s_wait_xcnt 0x0
	v_cmpx_ne_u32_e32 0x80, v1
	s_cbranch_execz .LBB331_144
; %bb.139:                              ;   in Loop: Header=BB331_12 Depth=1
	v_bfe_u32 v6, v0, 24, 7
	v_mov_b32_e32 v0, 0x7f800001
	s_mov_b32 s21, exec_lo
	s_delay_alu instid0(VALU_DEP_2)
	v_cmpx_ne_u32_e32 0x7f, v6
	s_cbranch_execz .LBB331_143
; %bb.140:                              ;   in Loop: Header=BB331_12 Depth=1
	v_dual_lshrrev_b32 v0, 3, v6 :: v_dual_bitop2_b32 v66, 7, v1 bitop3:0x40
	s_mov_b32 s22, exec_lo
	s_delay_alu instid0(VALU_DEP_1)
	v_mov_b64_e32 v[86:87], v[66:67]
	v_cmpx_gt_u32_e32 8, v6
; %bb.141:                              ;   in Loop: Header=BB331_12 Depth=1
	v_clz_i32_u32_e32 v0, v66
	s_delay_alu instid0(VALU_DEP_1) | instskip(NEXT) | instid1(VALU_DEP_1)
	v_min_u32_e32 v0, 32, v0
	v_subrev_nc_u32_e32 v6, 28, v0
	s_delay_alu instid0(VALU_DEP_1) | instskip(NEXT) | instid1(VALU_DEP_1)
	v_lshlrev_b64_e32 v[6:7], v6, v[66:67]
	v_dual_sub_nc_u32 v0, 29, v0 :: v_dual_bitop2_b32 v86, 7, v6 bitop3:0x40
; %bb.142:                              ;   in Loop: Header=BB331_12 Depth=1
	s_or_b32 exec_lo, exec_lo, s22
	s_delay_alu instid0(VALU_DEP_1) | instskip(NEXT) | instid1(VALU_DEP_2)
	v_dual_lshlrev_b32 v1, 24, v1 :: v_dual_lshlrev_b32 v6, 20, v86
	v_lshl_add_u32 v0, v0, 23, 0x3c000000
	s_delay_alu instid0(VALU_DEP_2) | instskip(NEXT) | instid1(VALU_DEP_1)
	v_and_b32_e32 v1, 0x80000000, v1
	v_or3_b32 v0, v6, v1, v0
.LBB331_143:                            ;   in Loop: Header=BB331_12 Depth=1
	s_or_b32 exec_lo, exec_lo, s21
	scratch_store_b32 off, v0, s32 offset:272 ; 4-byte Folded Spill
.LBB331_144:                            ;   in Loop: Header=BB331_12 Depth=1
	s_wait_xcnt 0x0
	s_or_b32 exec_lo, exec_lo, s20
.LBB331_145:                            ;   in Loop: Header=BB331_12 Depth=1
	s_delay_alu instid0(SALU_CYCLE_1)
	s_or_b32 exec_lo, exec_lo, s19
	flat_load_b32 v0, v[84:85] offset:512
	v_mov_b32_e32 v6, 0
	s_mov_b32 s19, exec_lo
	scratch_store_b32 off, v6, s32 offset:232 ; 4-byte Folded Spill
	s_wait_xcnt 0x0
	v_mov_b32_e32 v6, 0
	scratch_store_b32 off, v6, s32 offset:332 ; 4-byte Folded Spill
	s_wait_loadcnt_dscnt 0x0
	v_and_b32_e32 v1, 0xff, v0
	s_wait_xcnt 0x0
	s_delay_alu instid0(VALU_DEP_1)
	v_cmpx_ne_u16_e32 0, v1
	s_cbranch_execz .LBB331_153
; %bb.146:                              ;   in Loop: Header=BB331_12 Depth=1
	v_cmp_ne_u16_e64 s3, 0x80, v1
	v_bfrev_b32_e32 v1, 1
	s_and_saveexec_b32 s20, s3
	s_cbranch_execz .LBB331_152
; %bb.147:                              ;   in Loop: Header=BB331_12 Depth=1
	v_and_b32_e32 v6, 0x7f, v0
	v_mov_b32_e32 v1, 0x7f800001
	s_mov_b32 s21, exec_lo
	s_delay_alu instid0(VALU_DEP_2)
	v_cmpx_ne_u32_e32 0x7f, v6
	s_cbranch_execz .LBB331_151
; %bb.148:                              ;   in Loop: Header=BB331_12 Depth=1
	v_dual_lshrrev_b32 v1, 3, v6 :: v_dual_bitop2_b32 v66, 7, v0 bitop3:0x40
	s_mov_b32 s22, exec_lo
	s_delay_alu instid0(VALU_DEP_1)
	v_mov_b64_e32 v[86:87], v[66:67]
	v_cmpx_gt_u32_e32 8, v6
; %bb.149:                              ;   in Loop: Header=BB331_12 Depth=1
	v_clz_i32_u32_e32 v1, v66
	s_delay_alu instid0(VALU_DEP_1) | instskip(NEXT) | instid1(VALU_DEP_1)
	v_min_u32_e32 v1, 32, v1
	v_subrev_nc_u32_e32 v6, 28, v1
	s_delay_alu instid0(VALU_DEP_1) | instskip(NEXT) | instid1(VALU_DEP_1)
	v_lshlrev_b64_e32 v[6:7], v6, v[66:67]
	v_dual_sub_nc_u32 v1, 29, v1 :: v_dual_bitop2_b32 v86, 7, v6 bitop3:0x40
; %bb.150:                              ;   in Loop: Header=BB331_12 Depth=1
	s_or_b32 exec_lo, exec_lo, s22
	s_delay_alu instid0(VALU_DEP_1) | instskip(NEXT) | instid1(VALU_DEP_2)
	v_dual_lshlrev_b32 v6, 24, v0 :: v_dual_lshlrev_b32 v7, 20, v86
	v_lshl_add_u32 v1, v1, 23, 0x3c000000
	s_delay_alu instid0(VALU_DEP_2) | instskip(NEXT) | instid1(VALU_DEP_1)
	v_and_b32_e32 v6, 0x80000000, v6
	v_or3_b32 v1, v7, v6, v1
.LBB331_151:                            ;   in Loop: Header=BB331_12 Depth=1
	s_or_b32 exec_lo, exec_lo, s21
.LBB331_152:                            ;   in Loop: Header=BB331_12 Depth=1
	s_delay_alu instid0(SALU_CYCLE_1)
	s_or_b32 exec_lo, exec_lo, s20
	scratch_store_b32 off, v1, s32 offset:332 ; 4-byte Folded Spill
.LBB331_153:                            ;   in Loop: Header=BB331_12 Depth=1
	s_wait_xcnt 0x0
	s_or_b32 exec_lo, exec_lo, s19
	v_lshrrev_b16 v1, 8, v0
	s_mov_b32 s19, exec_lo
	s_delay_alu instid0(VALU_DEP_1)
	v_cmpx_ne_u16_e32 0, v1
	s_cbranch_execz .LBB331_161
; %bb.154:                              ;   in Loop: Header=BB331_12 Depth=1
	v_bfrev_b32_e32 v6, 1
	s_mov_b32 s20, exec_lo
	scratch_store_b32 off, v6, s32 offset:232 ; 4-byte Folded Spill
	s_wait_xcnt 0x0
	v_cmpx_ne_u16_e32 0x80, v1
	s_cbranch_execz .LBB331_160
; %bb.155:                              ;   in Loop: Header=BB331_12 Depth=1
	v_and_b32_e32 v1, 0xffff, v1
	v_mov_b32_e32 v7, 0x7f800001
	s_mov_b32 s21, exec_lo
	s_delay_alu instid0(VALU_DEP_2)
	v_and_b32_e32 v6, 0x7f, v1
	scratch_store_b32 off, v7, s32 offset:232 ; 4-byte Folded Spill
	s_wait_xcnt 0x0
	v_cmpx_ne_u32_e32 0x7f, v6
	s_cbranch_execz .LBB331_159
; %bb.156:                              ;   in Loop: Header=BB331_12 Depth=1
	v_dual_lshrrev_b32 v1, 3, v6 :: v_dual_bitop2_b32 v66, 7, v1 bitop3:0x40
	s_mov_b32 s22, exec_lo
	s_delay_alu instid0(VALU_DEP_1)
	v_mov_b64_e32 v[86:87], v[66:67]
	v_cmpx_gt_u32_e32 8, v6
; %bb.157:                              ;   in Loop: Header=BB331_12 Depth=1
	v_clz_i32_u32_e32 v1, v66
	s_delay_alu instid0(VALU_DEP_1) | instskip(NEXT) | instid1(VALU_DEP_1)
	v_min_u32_e32 v1, 32, v1
	v_subrev_nc_u32_e32 v6, 28, v1
	s_delay_alu instid0(VALU_DEP_1) | instskip(NEXT) | instid1(VALU_DEP_1)
	v_lshlrev_b64_e32 v[6:7], v6, v[66:67]
	v_dual_sub_nc_u32 v1, 29, v1 :: v_dual_bitop2_b32 v86, 7, v6 bitop3:0x40
; %bb.158:                              ;   in Loop: Header=BB331_12 Depth=1
	s_or_b32 exec_lo, exec_lo, s22
	s_delay_alu instid0(VALU_DEP_1) | instskip(NEXT) | instid1(VALU_DEP_2)
	v_dual_lshlrev_b32 v6, 16, v0 :: v_dual_lshlrev_b32 v7, 20, v86
	v_lshl_add_u32 v1, v1, 23, 0x3c000000
	s_delay_alu instid0(VALU_DEP_2) | instskip(NEXT) | instid1(VALU_DEP_1)
	v_and_b32_e32 v6, 0x80000000, v6
	v_or3_b32 v1, v7, v6, v1
	scratch_store_b32 off, v1, s32 offset:232 ; 4-byte Folded Spill
.LBB331_159:                            ;   in Loop: Header=BB331_12 Depth=1
	s_wait_xcnt 0x0
	s_or_b32 exec_lo, exec_lo, s21
.LBB331_160:                            ;   in Loop: Header=BB331_12 Depth=1
	s_delay_alu instid0(SALU_CYCLE_1)
	s_or_b32 exec_lo, exec_lo, s20
.LBB331_161:                            ;   in Loop: Header=BB331_12 Depth=1
	s_delay_alu instid0(SALU_CYCLE_1) | instskip(SKIP_2) | instid1(VALU_DEP_1)
	s_or_b32 exec_lo, exec_lo, s19
	v_dual_lshrrev_b32 v1, 16, v0 :: v_dual_mov_b32 v7, 0
	s_mov_b32 s19, exec_lo
	v_and_b32_e32 v6, 0xff, v1
	scratch_store_b32 off, v7, s32 offset:276 ; 4-byte Folded Spill
	s_wait_xcnt 0x0
	v_mov_b32_e32 v7, 0
	scratch_store_b32 off, v7, s32 offset:336 ; 4-byte Folded Spill
	s_wait_xcnt 0x0
	v_cmpx_ne_u16_e32 0, v6
	s_cbranch_execz .LBB331_169
; %bb.162:                              ;   in Loop: Header=BB331_12 Depth=1
	v_cmp_ne_u16_e64 s3, 0x80, v6
	v_bfrev_b32_e32 v6, 1
	s_and_saveexec_b32 s20, s3
	s_cbranch_execz .LBB331_168
; %bb.163:                              ;   in Loop: Header=BB331_12 Depth=1
	v_bfe_u32 v7, v0, 16, 7
	v_mov_b32_e32 v6, 0x7f800001
	s_mov_b32 s21, exec_lo
	s_delay_alu instid0(VALU_DEP_2)
	v_cmpx_ne_u32_e32 0x7f, v7
	s_cbranch_execz .LBB331_167
; %bb.164:                              ;   in Loop: Header=BB331_12 Depth=1
	v_dual_lshrrev_b32 v6, 3, v7 :: v_dual_bitop2_b32 v66, 7, v1 bitop3:0x40
	s_mov_b32 s22, exec_lo
	s_delay_alu instid0(VALU_DEP_1)
	v_mov_b64_e32 v[86:87], v[66:67]
	v_cmpx_gt_u32_e32 8, v7
; %bb.165:                              ;   in Loop: Header=BB331_12 Depth=1
	v_clz_i32_u32_e32 v6, v66
	s_delay_alu instid0(VALU_DEP_1) | instskip(NEXT) | instid1(VALU_DEP_1)
	v_min_u32_e32 v6, 32, v6
	v_subrev_nc_u32_e32 v7, 28, v6
	s_delay_alu instid0(VALU_DEP_1) | instskip(NEXT) | instid1(VALU_DEP_1)
	v_lshlrev_b64_e32 v[8:9], v7, v[66:67]
	v_dual_sub_nc_u32 v6, 29, v6 :: v_dual_bitop2_b32 v86, 7, v8 bitop3:0x40
; %bb.166:                              ;   in Loop: Header=BB331_12 Depth=1
	s_or_b32 exec_lo, exec_lo, s22
	s_delay_alu instid0(VALU_DEP_1) | instskip(NEXT) | instid1(VALU_DEP_2)
	v_dual_lshlrev_b32 v1, 24, v1 :: v_dual_lshlrev_b32 v7, 20, v86
	v_lshl_add_u32 v6, v6, 23, 0x3c000000
	s_delay_alu instid0(VALU_DEP_2) | instskip(NEXT) | instid1(VALU_DEP_1)
	v_and_b32_e32 v1, 0x80000000, v1
	v_or3_b32 v6, v7, v1, v6
.LBB331_167:                            ;   in Loop: Header=BB331_12 Depth=1
	s_or_b32 exec_lo, exec_lo, s21
.LBB331_168:                            ;   in Loop: Header=BB331_12 Depth=1
	s_delay_alu instid0(SALU_CYCLE_1)
	s_or_b32 exec_lo, exec_lo, s20
	scratch_store_b32 off, v6, s32 offset:336 ; 4-byte Folded Spill
.LBB331_169:                            ;   in Loop: Header=BB331_12 Depth=1
	s_wait_xcnt 0x0
	s_or_b32 exec_lo, exec_lo, s19
	s_delay_alu instid0(SALU_CYCLE_1)
	s_mov_b32 s19, exec_lo
	v_cmpx_lt_u32_e32 0xffffff, v0
	s_cbranch_execz .LBB331_177
; %bb.170:                              ;   in Loop: Header=BB331_12 Depth=1
	v_lshrrev_b32_e32 v1, 24, v0
	v_bfrev_b32_e32 v6, 1
	s_mov_b32 s20, exec_lo
	scratch_store_b32 off, v6, s32 offset:276 ; 4-byte Folded Spill
	s_wait_xcnt 0x0
	v_cmpx_ne_u32_e32 0x80, v1
	s_cbranch_execz .LBB331_176
; %bb.171:                              ;   in Loop: Header=BB331_12 Depth=1
	v_bfe_u32 v6, v0, 24, 7
	v_mov_b32_e32 v0, 0x7f800001
	s_mov_b32 s21, exec_lo
	s_delay_alu instid0(VALU_DEP_2)
	v_cmpx_ne_u32_e32 0x7f, v6
	s_cbranch_execz .LBB331_175
; %bb.172:                              ;   in Loop: Header=BB331_12 Depth=1
	v_dual_lshrrev_b32 v0, 3, v6 :: v_dual_bitop2_b32 v66, 7, v1 bitop3:0x40
	s_mov_b32 s22, exec_lo
	s_delay_alu instid0(VALU_DEP_1)
	v_mov_b64_e32 v[86:87], v[66:67]
	v_cmpx_gt_u32_e32 8, v6
; %bb.173:                              ;   in Loop: Header=BB331_12 Depth=1
	v_clz_i32_u32_e32 v0, v66
	s_delay_alu instid0(VALU_DEP_1) | instskip(NEXT) | instid1(VALU_DEP_1)
	v_min_u32_e32 v0, 32, v0
	v_subrev_nc_u32_e32 v6, 28, v0
	s_delay_alu instid0(VALU_DEP_1) | instskip(NEXT) | instid1(VALU_DEP_1)
	v_lshlrev_b64_e32 v[6:7], v6, v[66:67]
	v_dual_sub_nc_u32 v0, 29, v0 :: v_dual_bitop2_b32 v86, 7, v6 bitop3:0x40
; %bb.174:                              ;   in Loop: Header=BB331_12 Depth=1
	s_or_b32 exec_lo, exec_lo, s22
	s_delay_alu instid0(VALU_DEP_1) | instskip(NEXT) | instid1(VALU_DEP_2)
	v_dual_lshlrev_b32 v1, 24, v1 :: v_dual_lshlrev_b32 v6, 20, v86
	v_lshl_add_u32 v0, v0, 23, 0x3c000000
	s_delay_alu instid0(VALU_DEP_2) | instskip(NEXT) | instid1(VALU_DEP_1)
	v_and_b32_e32 v1, 0x80000000, v1
	v_or3_b32 v0, v6, v1, v0
.LBB331_175:                            ;   in Loop: Header=BB331_12 Depth=1
	s_or_b32 exec_lo, exec_lo, s21
	scratch_store_b32 off, v0, s32 offset:276 ; 4-byte Folded Spill
.LBB331_176:                            ;   in Loop: Header=BB331_12 Depth=1
	s_wait_xcnt 0x0
	s_or_b32 exec_lo, exec_lo, s20
.LBB331_177:                            ;   in Loop: Header=BB331_12 Depth=1
	s_delay_alu instid0(SALU_CYCLE_1)
	s_or_b32 exec_lo, exec_lo, s19
	flat_load_b32 v0, v[84:85] offset:520
	v_mov_b32_e32 v6, 0
	s_mov_b32 s19, exec_lo
	scratch_store_b32 off, v6, s32 offset:236 ; 4-byte Folded Spill
	s_wait_xcnt 0x0
	v_mov_b32_e32 v6, 0
	scratch_store_b32 off, v6, s32 offset:340 ; 4-byte Folded Spill
	s_wait_loadcnt_dscnt 0x0
	v_and_b32_e32 v1, 0xff, v0
	s_wait_xcnt 0x0
	s_delay_alu instid0(VALU_DEP_1)
	v_cmpx_ne_u16_e32 0, v1
	s_cbranch_execz .LBB331_185
; %bb.178:                              ;   in Loop: Header=BB331_12 Depth=1
	v_cmp_ne_u16_e64 s3, 0x80, v1
	v_bfrev_b32_e32 v1, 1
	s_and_saveexec_b32 s20, s3
	s_cbranch_execz .LBB331_184
; %bb.179:                              ;   in Loop: Header=BB331_12 Depth=1
	v_and_b32_e32 v6, 0x7f, v0
	v_mov_b32_e32 v1, 0x7f800001
	s_mov_b32 s21, exec_lo
	s_delay_alu instid0(VALU_DEP_2)
	v_cmpx_ne_u32_e32 0x7f, v6
	s_cbranch_execz .LBB331_183
; %bb.180:                              ;   in Loop: Header=BB331_12 Depth=1
	v_dual_lshrrev_b32 v1, 3, v6 :: v_dual_bitop2_b32 v66, 7, v0 bitop3:0x40
	s_mov_b32 s22, exec_lo
	s_delay_alu instid0(VALU_DEP_1)
	v_mov_b64_e32 v[86:87], v[66:67]
	v_cmpx_gt_u32_e32 8, v6
; %bb.181:                              ;   in Loop: Header=BB331_12 Depth=1
	v_clz_i32_u32_e32 v1, v66
	s_delay_alu instid0(VALU_DEP_1) | instskip(NEXT) | instid1(VALU_DEP_1)
	v_min_u32_e32 v1, 32, v1
	v_subrev_nc_u32_e32 v6, 28, v1
	s_delay_alu instid0(VALU_DEP_1) | instskip(NEXT) | instid1(VALU_DEP_1)
	v_lshlrev_b64_e32 v[6:7], v6, v[66:67]
	v_dual_sub_nc_u32 v1, 29, v1 :: v_dual_bitop2_b32 v86, 7, v6 bitop3:0x40
; %bb.182:                              ;   in Loop: Header=BB331_12 Depth=1
	s_or_b32 exec_lo, exec_lo, s22
	s_delay_alu instid0(VALU_DEP_1) | instskip(NEXT) | instid1(VALU_DEP_2)
	v_dual_lshlrev_b32 v6, 24, v0 :: v_dual_lshlrev_b32 v7, 20, v86
	v_lshl_add_u32 v1, v1, 23, 0x3c000000
	s_delay_alu instid0(VALU_DEP_2) | instskip(NEXT) | instid1(VALU_DEP_1)
	v_and_b32_e32 v6, 0x80000000, v6
	v_or3_b32 v1, v7, v6, v1
.LBB331_183:                            ;   in Loop: Header=BB331_12 Depth=1
	s_or_b32 exec_lo, exec_lo, s21
.LBB331_184:                            ;   in Loop: Header=BB331_12 Depth=1
	s_delay_alu instid0(SALU_CYCLE_1)
	s_or_b32 exec_lo, exec_lo, s20
	scratch_store_b32 off, v1, s32 offset:340 ; 4-byte Folded Spill
.LBB331_185:                            ;   in Loop: Header=BB331_12 Depth=1
	s_wait_xcnt 0x0
	s_or_b32 exec_lo, exec_lo, s19
	v_lshrrev_b16 v1, 8, v0
	s_mov_b32 s19, exec_lo
	s_delay_alu instid0(VALU_DEP_1)
	v_cmpx_ne_u16_e32 0, v1
	s_cbranch_execz .LBB331_193
; %bb.186:                              ;   in Loop: Header=BB331_12 Depth=1
	v_bfrev_b32_e32 v6, 1
	s_mov_b32 s20, exec_lo
	scratch_store_b32 off, v6, s32 offset:236 ; 4-byte Folded Spill
	s_wait_xcnt 0x0
	v_cmpx_ne_u16_e32 0x80, v1
	s_cbranch_execz .LBB331_192
; %bb.187:                              ;   in Loop: Header=BB331_12 Depth=1
	v_and_b32_e32 v1, 0xffff, v1
	v_mov_b32_e32 v7, 0x7f800001
	s_mov_b32 s21, exec_lo
	s_delay_alu instid0(VALU_DEP_2)
	v_and_b32_e32 v6, 0x7f, v1
	scratch_store_b32 off, v7, s32 offset:236 ; 4-byte Folded Spill
	s_wait_xcnt 0x0
	v_cmpx_ne_u32_e32 0x7f, v6
	s_cbranch_execz .LBB331_191
; %bb.188:                              ;   in Loop: Header=BB331_12 Depth=1
	v_dual_lshrrev_b32 v1, 3, v6 :: v_dual_bitop2_b32 v66, 7, v1 bitop3:0x40
	s_mov_b32 s22, exec_lo
	s_delay_alu instid0(VALU_DEP_1)
	v_mov_b64_e32 v[86:87], v[66:67]
	v_cmpx_gt_u32_e32 8, v6
; %bb.189:                              ;   in Loop: Header=BB331_12 Depth=1
	v_clz_i32_u32_e32 v1, v66
	s_delay_alu instid0(VALU_DEP_1) | instskip(NEXT) | instid1(VALU_DEP_1)
	v_min_u32_e32 v1, 32, v1
	v_subrev_nc_u32_e32 v6, 28, v1
	s_delay_alu instid0(VALU_DEP_1) | instskip(NEXT) | instid1(VALU_DEP_1)
	v_lshlrev_b64_e32 v[6:7], v6, v[66:67]
	v_dual_sub_nc_u32 v1, 29, v1 :: v_dual_bitop2_b32 v86, 7, v6 bitop3:0x40
; %bb.190:                              ;   in Loop: Header=BB331_12 Depth=1
	s_or_b32 exec_lo, exec_lo, s22
	s_delay_alu instid0(VALU_DEP_1) | instskip(NEXT) | instid1(VALU_DEP_2)
	v_dual_lshlrev_b32 v6, 16, v0 :: v_dual_lshlrev_b32 v7, 20, v86
	v_lshl_add_u32 v1, v1, 23, 0x3c000000
	s_delay_alu instid0(VALU_DEP_2) | instskip(NEXT) | instid1(VALU_DEP_1)
	v_and_b32_e32 v6, 0x80000000, v6
	v_or3_b32 v1, v7, v6, v1
	scratch_store_b32 off, v1, s32 offset:236 ; 4-byte Folded Spill
.LBB331_191:                            ;   in Loop: Header=BB331_12 Depth=1
	s_wait_xcnt 0x0
	s_or_b32 exec_lo, exec_lo, s21
.LBB331_192:                            ;   in Loop: Header=BB331_12 Depth=1
	s_delay_alu instid0(SALU_CYCLE_1)
	s_or_b32 exec_lo, exec_lo, s20
.LBB331_193:                            ;   in Loop: Header=BB331_12 Depth=1
	s_delay_alu instid0(SALU_CYCLE_1) | instskip(SKIP_2) | instid1(VALU_DEP_1)
	s_or_b32 exec_lo, exec_lo, s19
	v_dual_lshrrev_b32 v1, 16, v0 :: v_dual_mov_b32 v7, 0
	s_mov_b32 s19, exec_lo
	v_and_b32_e32 v6, 0xff, v1
	scratch_store_b32 off, v7, s32 offset:280 ; 4-byte Folded Spill
	s_wait_xcnt 0x0
	v_mov_b32_e32 v7, 0
	scratch_store_b32 off, v7, s32 offset:344 ; 4-byte Folded Spill
	s_wait_xcnt 0x0
	v_cmpx_ne_u16_e32 0, v6
	s_cbranch_execz .LBB331_201
; %bb.194:                              ;   in Loop: Header=BB331_12 Depth=1
	v_cmp_ne_u16_e64 s3, 0x80, v6
	v_bfrev_b32_e32 v6, 1
	s_and_saveexec_b32 s20, s3
	s_cbranch_execz .LBB331_200
; %bb.195:                              ;   in Loop: Header=BB331_12 Depth=1
	v_bfe_u32 v7, v0, 16, 7
	v_mov_b32_e32 v6, 0x7f800001
	s_mov_b32 s21, exec_lo
	s_delay_alu instid0(VALU_DEP_2)
	v_cmpx_ne_u32_e32 0x7f, v7
	s_cbranch_execz .LBB331_199
; %bb.196:                              ;   in Loop: Header=BB331_12 Depth=1
	v_dual_lshrrev_b32 v6, 3, v7 :: v_dual_bitop2_b32 v66, 7, v1 bitop3:0x40
	s_mov_b32 s22, exec_lo
	s_delay_alu instid0(VALU_DEP_1)
	v_mov_b64_e32 v[86:87], v[66:67]
	v_cmpx_gt_u32_e32 8, v7
; %bb.197:                              ;   in Loop: Header=BB331_12 Depth=1
	v_clz_i32_u32_e32 v6, v66
	s_delay_alu instid0(VALU_DEP_1) | instskip(NEXT) | instid1(VALU_DEP_1)
	v_min_u32_e32 v6, 32, v6
	v_subrev_nc_u32_e32 v7, 28, v6
	s_delay_alu instid0(VALU_DEP_1) | instskip(NEXT) | instid1(VALU_DEP_1)
	v_lshlrev_b64_e32 v[8:9], v7, v[66:67]
	v_dual_sub_nc_u32 v6, 29, v6 :: v_dual_bitop2_b32 v86, 7, v8 bitop3:0x40
; %bb.198:                              ;   in Loop: Header=BB331_12 Depth=1
	s_or_b32 exec_lo, exec_lo, s22
	s_delay_alu instid0(VALU_DEP_1) | instskip(NEXT) | instid1(VALU_DEP_2)
	v_dual_lshlrev_b32 v1, 24, v1 :: v_dual_lshlrev_b32 v7, 20, v86
	v_lshl_add_u32 v6, v6, 23, 0x3c000000
	s_delay_alu instid0(VALU_DEP_2) | instskip(NEXT) | instid1(VALU_DEP_1)
	v_and_b32_e32 v1, 0x80000000, v1
	v_or3_b32 v6, v7, v1, v6
.LBB331_199:                            ;   in Loop: Header=BB331_12 Depth=1
	s_or_b32 exec_lo, exec_lo, s21
.LBB331_200:                            ;   in Loop: Header=BB331_12 Depth=1
	s_delay_alu instid0(SALU_CYCLE_1)
	s_or_b32 exec_lo, exec_lo, s20
	scratch_store_b32 off, v6, s32 offset:344 ; 4-byte Folded Spill
.LBB331_201:                            ;   in Loop: Header=BB331_12 Depth=1
	s_wait_xcnt 0x0
	s_or_b32 exec_lo, exec_lo, s19
	s_delay_alu instid0(SALU_CYCLE_1)
	s_mov_b32 s19, exec_lo
	v_cmpx_lt_u32_e32 0xffffff, v0
	s_cbranch_execz .LBB331_209
; %bb.202:                              ;   in Loop: Header=BB331_12 Depth=1
	v_lshrrev_b32_e32 v1, 24, v0
	v_bfrev_b32_e32 v6, 1
	s_mov_b32 s20, exec_lo
	scratch_store_b32 off, v6, s32 offset:280 ; 4-byte Folded Spill
	s_wait_xcnt 0x0
	v_cmpx_ne_u32_e32 0x80, v1
	s_cbranch_execz .LBB331_208
; %bb.203:                              ;   in Loop: Header=BB331_12 Depth=1
	v_bfe_u32 v6, v0, 24, 7
	v_mov_b32_e32 v0, 0x7f800001
	s_mov_b32 s21, exec_lo
	s_delay_alu instid0(VALU_DEP_2)
	v_cmpx_ne_u32_e32 0x7f, v6
	s_cbranch_execz .LBB331_207
; %bb.204:                              ;   in Loop: Header=BB331_12 Depth=1
	v_dual_lshrrev_b32 v0, 3, v6 :: v_dual_bitop2_b32 v66, 7, v1 bitop3:0x40
	s_mov_b32 s22, exec_lo
	s_delay_alu instid0(VALU_DEP_1)
	v_mov_b64_e32 v[86:87], v[66:67]
	v_cmpx_gt_u32_e32 8, v6
; %bb.205:                              ;   in Loop: Header=BB331_12 Depth=1
	v_clz_i32_u32_e32 v0, v66
	s_delay_alu instid0(VALU_DEP_1) | instskip(NEXT) | instid1(VALU_DEP_1)
	v_min_u32_e32 v0, 32, v0
	v_subrev_nc_u32_e32 v6, 28, v0
	s_delay_alu instid0(VALU_DEP_1) | instskip(NEXT) | instid1(VALU_DEP_1)
	v_lshlrev_b64_e32 v[6:7], v6, v[66:67]
	v_dual_sub_nc_u32 v0, 29, v0 :: v_dual_bitop2_b32 v86, 7, v6 bitop3:0x40
; %bb.206:                              ;   in Loop: Header=BB331_12 Depth=1
	s_or_b32 exec_lo, exec_lo, s22
	s_delay_alu instid0(VALU_DEP_1) | instskip(NEXT) | instid1(VALU_DEP_2)
	v_dual_lshlrev_b32 v1, 24, v1 :: v_dual_lshlrev_b32 v6, 20, v86
	v_lshl_add_u32 v0, v0, 23, 0x3c000000
	s_delay_alu instid0(VALU_DEP_2) | instskip(NEXT) | instid1(VALU_DEP_1)
	v_and_b32_e32 v1, 0x80000000, v1
	v_or3_b32 v0, v6, v1, v0
.LBB331_207:                            ;   in Loop: Header=BB331_12 Depth=1
	s_or_b32 exec_lo, exec_lo, s21
	scratch_store_b32 off, v0, s32 offset:280 ; 4-byte Folded Spill
.LBB331_208:                            ;   in Loop: Header=BB331_12 Depth=1
	s_wait_xcnt 0x0
	s_or_b32 exec_lo, exec_lo, s20
.LBB331_209:                            ;   in Loop: Header=BB331_12 Depth=1
	s_delay_alu instid0(SALU_CYCLE_1)
	s_or_b32 exec_lo, exec_lo, s19
	flat_load_b32 v0, v[84:85] offset:768
	v_mov_b32_e32 v6, 0
	s_mov_b32 s19, exec_lo
	scratch_store_b32 off, v6, s32 offset:240 ; 4-byte Folded Spill
	s_wait_xcnt 0x0
	v_mov_b32_e32 v6, 0
	scratch_store_b32 off, v6, s32 offset:352 ; 4-byte Folded Spill
	s_wait_loadcnt_dscnt 0x0
	v_and_b32_e32 v1, 0xff, v0
	s_wait_xcnt 0x0
	s_delay_alu instid0(VALU_DEP_1)
	v_cmpx_ne_u16_e32 0, v1
	s_cbranch_execz .LBB331_217
; %bb.210:                              ;   in Loop: Header=BB331_12 Depth=1
	v_cmp_ne_u16_e64 s3, 0x80, v1
	v_bfrev_b32_e32 v1, 1
	s_and_saveexec_b32 s20, s3
	s_cbranch_execz .LBB331_216
; %bb.211:                              ;   in Loop: Header=BB331_12 Depth=1
	v_and_b32_e32 v6, 0x7f, v0
	v_mov_b32_e32 v1, 0x7f800001
	s_mov_b32 s21, exec_lo
	s_delay_alu instid0(VALU_DEP_2)
	v_cmpx_ne_u32_e32 0x7f, v6
	s_cbranch_execz .LBB331_215
; %bb.212:                              ;   in Loop: Header=BB331_12 Depth=1
	v_dual_lshrrev_b32 v1, 3, v6 :: v_dual_bitop2_b32 v66, 7, v0 bitop3:0x40
	s_mov_b32 s22, exec_lo
	s_delay_alu instid0(VALU_DEP_1)
	v_mov_b64_e32 v[86:87], v[66:67]
	v_cmpx_gt_u32_e32 8, v6
; %bb.213:                              ;   in Loop: Header=BB331_12 Depth=1
	v_clz_i32_u32_e32 v1, v66
	s_delay_alu instid0(VALU_DEP_1) | instskip(NEXT) | instid1(VALU_DEP_1)
	v_min_u32_e32 v1, 32, v1
	v_subrev_nc_u32_e32 v6, 28, v1
	s_delay_alu instid0(VALU_DEP_1) | instskip(NEXT) | instid1(VALU_DEP_1)
	v_lshlrev_b64_e32 v[6:7], v6, v[66:67]
	v_dual_sub_nc_u32 v1, 29, v1 :: v_dual_bitop2_b32 v86, 7, v6 bitop3:0x40
; %bb.214:                              ;   in Loop: Header=BB331_12 Depth=1
	s_or_b32 exec_lo, exec_lo, s22
	s_delay_alu instid0(VALU_DEP_1) | instskip(NEXT) | instid1(VALU_DEP_2)
	v_dual_lshlrev_b32 v6, 24, v0 :: v_dual_lshlrev_b32 v7, 20, v86
	v_lshl_add_u32 v1, v1, 23, 0x3c000000
	s_delay_alu instid0(VALU_DEP_2) | instskip(NEXT) | instid1(VALU_DEP_1)
	v_and_b32_e32 v6, 0x80000000, v6
	v_or3_b32 v1, v7, v6, v1
.LBB331_215:                            ;   in Loop: Header=BB331_12 Depth=1
	s_or_b32 exec_lo, exec_lo, s21
.LBB331_216:                            ;   in Loop: Header=BB331_12 Depth=1
	s_delay_alu instid0(SALU_CYCLE_1)
	s_or_b32 exec_lo, exec_lo, s20
	scratch_store_b32 off, v1, s32 offset:352 ; 4-byte Folded Spill
.LBB331_217:                            ;   in Loop: Header=BB331_12 Depth=1
	s_wait_xcnt 0x0
	s_or_b32 exec_lo, exec_lo, s19
	v_lshrrev_b16 v1, 8, v0
	s_mov_b32 s19, exec_lo
	s_delay_alu instid0(VALU_DEP_1)
	v_cmpx_ne_u16_e32 0, v1
	s_cbranch_execz .LBB331_225
; %bb.218:                              ;   in Loop: Header=BB331_12 Depth=1
	v_bfrev_b32_e32 v6, 1
	s_mov_b32 s20, exec_lo
	scratch_store_b32 off, v6, s32 offset:240 ; 4-byte Folded Spill
	s_wait_xcnt 0x0
	v_cmpx_ne_u16_e32 0x80, v1
	s_cbranch_execz .LBB331_224
; %bb.219:                              ;   in Loop: Header=BB331_12 Depth=1
	v_and_b32_e32 v1, 0xffff, v1
	v_mov_b32_e32 v7, 0x7f800001
	s_mov_b32 s21, exec_lo
	s_delay_alu instid0(VALU_DEP_2)
	v_and_b32_e32 v6, 0x7f, v1
	scratch_store_b32 off, v7, s32 offset:240 ; 4-byte Folded Spill
	s_wait_xcnt 0x0
	v_cmpx_ne_u32_e32 0x7f, v6
	s_cbranch_execz .LBB331_223
; %bb.220:                              ;   in Loop: Header=BB331_12 Depth=1
	v_dual_lshrrev_b32 v1, 3, v6 :: v_dual_bitop2_b32 v66, 7, v1 bitop3:0x40
	s_mov_b32 s22, exec_lo
	s_delay_alu instid0(VALU_DEP_1)
	v_mov_b64_e32 v[86:87], v[66:67]
	v_cmpx_gt_u32_e32 8, v6
; %bb.221:                              ;   in Loop: Header=BB331_12 Depth=1
	v_clz_i32_u32_e32 v1, v66
	s_delay_alu instid0(VALU_DEP_1) | instskip(NEXT) | instid1(VALU_DEP_1)
	v_min_u32_e32 v1, 32, v1
	v_subrev_nc_u32_e32 v6, 28, v1
	s_delay_alu instid0(VALU_DEP_1) | instskip(NEXT) | instid1(VALU_DEP_1)
	v_lshlrev_b64_e32 v[6:7], v6, v[66:67]
	v_dual_sub_nc_u32 v1, 29, v1 :: v_dual_bitop2_b32 v86, 7, v6 bitop3:0x40
; %bb.222:                              ;   in Loop: Header=BB331_12 Depth=1
	s_or_b32 exec_lo, exec_lo, s22
	s_delay_alu instid0(VALU_DEP_1) | instskip(NEXT) | instid1(VALU_DEP_2)
	v_dual_lshlrev_b32 v6, 16, v0 :: v_dual_lshlrev_b32 v7, 20, v86
	v_lshl_add_u32 v1, v1, 23, 0x3c000000
	s_delay_alu instid0(VALU_DEP_2) | instskip(NEXT) | instid1(VALU_DEP_1)
	v_and_b32_e32 v6, 0x80000000, v6
	v_or3_b32 v1, v7, v6, v1
	scratch_store_b32 off, v1, s32 offset:240 ; 4-byte Folded Spill
.LBB331_223:                            ;   in Loop: Header=BB331_12 Depth=1
	s_wait_xcnt 0x0
	s_or_b32 exec_lo, exec_lo, s21
.LBB331_224:                            ;   in Loop: Header=BB331_12 Depth=1
	s_delay_alu instid0(SALU_CYCLE_1)
	s_or_b32 exec_lo, exec_lo, s20
.LBB331_225:                            ;   in Loop: Header=BB331_12 Depth=1
	s_delay_alu instid0(SALU_CYCLE_1) | instskip(SKIP_2) | instid1(VALU_DEP_1)
	s_or_b32 exec_lo, exec_lo, s19
	v_dual_lshrrev_b32 v1, 16, v0 :: v_dual_mov_b32 v7, 0
	s_mov_b32 s19, exec_lo
	v_and_b32_e32 v6, 0xff, v1
	scratch_store_b32 off, v7, s32 offset:284 ; 4-byte Folded Spill
	s_wait_xcnt 0x0
	v_mov_b32_e32 v7, 0
	scratch_store_b32 off, v7, s32 offset:348 ; 4-byte Folded Spill
	s_wait_xcnt 0x0
	v_cmpx_ne_u16_e32 0, v6
	s_cbranch_execz .LBB331_233
; %bb.226:                              ;   in Loop: Header=BB331_12 Depth=1
	v_cmp_ne_u16_e64 s3, 0x80, v6
	v_bfrev_b32_e32 v6, 1
	s_and_saveexec_b32 s20, s3
	s_cbranch_execz .LBB331_232
; %bb.227:                              ;   in Loop: Header=BB331_12 Depth=1
	v_bfe_u32 v7, v0, 16, 7
	v_mov_b32_e32 v6, 0x7f800001
	s_mov_b32 s21, exec_lo
	s_delay_alu instid0(VALU_DEP_2)
	v_cmpx_ne_u32_e32 0x7f, v7
	s_cbranch_execz .LBB331_231
; %bb.228:                              ;   in Loop: Header=BB331_12 Depth=1
	v_dual_lshrrev_b32 v6, 3, v7 :: v_dual_bitop2_b32 v66, 7, v1 bitop3:0x40
	s_mov_b32 s22, exec_lo
	s_delay_alu instid0(VALU_DEP_1)
	v_mov_b64_e32 v[86:87], v[66:67]
	v_cmpx_gt_u32_e32 8, v7
; %bb.229:                              ;   in Loop: Header=BB331_12 Depth=1
	v_clz_i32_u32_e32 v6, v66
	s_delay_alu instid0(VALU_DEP_1) | instskip(NEXT) | instid1(VALU_DEP_1)
	v_min_u32_e32 v6, 32, v6
	v_subrev_nc_u32_e32 v7, 28, v6
	s_delay_alu instid0(VALU_DEP_1) | instskip(NEXT) | instid1(VALU_DEP_1)
	v_lshlrev_b64_e32 v[8:9], v7, v[66:67]
	v_dual_sub_nc_u32 v6, 29, v6 :: v_dual_bitop2_b32 v86, 7, v8 bitop3:0x40
; %bb.230:                              ;   in Loop: Header=BB331_12 Depth=1
	s_or_b32 exec_lo, exec_lo, s22
	s_delay_alu instid0(VALU_DEP_1) | instskip(NEXT) | instid1(VALU_DEP_2)
	v_dual_lshlrev_b32 v1, 24, v1 :: v_dual_lshlrev_b32 v7, 20, v86
	v_lshl_add_u32 v6, v6, 23, 0x3c000000
	s_delay_alu instid0(VALU_DEP_2) | instskip(NEXT) | instid1(VALU_DEP_1)
	v_and_b32_e32 v1, 0x80000000, v1
	v_or3_b32 v6, v7, v1, v6
.LBB331_231:                            ;   in Loop: Header=BB331_12 Depth=1
	s_or_b32 exec_lo, exec_lo, s21
.LBB331_232:                            ;   in Loop: Header=BB331_12 Depth=1
	s_delay_alu instid0(SALU_CYCLE_1)
	s_or_b32 exec_lo, exec_lo, s20
	scratch_store_b32 off, v6, s32 offset:348 ; 4-byte Folded Spill
.LBB331_233:                            ;   in Loop: Header=BB331_12 Depth=1
	s_wait_xcnt 0x0
	s_or_b32 exec_lo, exec_lo, s19
	s_delay_alu instid0(SALU_CYCLE_1)
	s_mov_b32 s19, exec_lo
	v_cmpx_lt_u32_e32 0xffffff, v0
	s_cbranch_execz .LBB331_241
; %bb.234:                              ;   in Loop: Header=BB331_12 Depth=1
	v_lshrrev_b32_e32 v1, 24, v0
	v_bfrev_b32_e32 v6, 1
	s_mov_b32 s20, exec_lo
	scratch_store_b32 off, v6, s32 offset:284 ; 4-byte Folded Spill
	s_wait_xcnt 0x0
	v_cmpx_ne_u32_e32 0x80, v1
	s_cbranch_execz .LBB331_240
; %bb.235:                              ;   in Loop: Header=BB331_12 Depth=1
	v_bfe_u32 v6, v0, 24, 7
	v_mov_b32_e32 v0, 0x7f800001
	s_mov_b32 s21, exec_lo
	s_delay_alu instid0(VALU_DEP_2)
	v_cmpx_ne_u32_e32 0x7f, v6
	s_cbranch_execz .LBB331_239
; %bb.236:                              ;   in Loop: Header=BB331_12 Depth=1
	v_dual_lshrrev_b32 v0, 3, v6 :: v_dual_bitop2_b32 v66, 7, v1 bitop3:0x40
	s_mov_b32 s22, exec_lo
	s_delay_alu instid0(VALU_DEP_1)
	v_mov_b64_e32 v[86:87], v[66:67]
	v_cmpx_gt_u32_e32 8, v6
; %bb.237:                              ;   in Loop: Header=BB331_12 Depth=1
	v_clz_i32_u32_e32 v0, v66
	s_delay_alu instid0(VALU_DEP_1) | instskip(NEXT) | instid1(VALU_DEP_1)
	v_min_u32_e32 v0, 32, v0
	v_subrev_nc_u32_e32 v6, 28, v0
	s_delay_alu instid0(VALU_DEP_1) | instskip(NEXT) | instid1(VALU_DEP_1)
	v_lshlrev_b64_e32 v[6:7], v6, v[66:67]
	v_dual_sub_nc_u32 v0, 29, v0 :: v_dual_bitop2_b32 v86, 7, v6 bitop3:0x40
; %bb.238:                              ;   in Loop: Header=BB331_12 Depth=1
	s_or_b32 exec_lo, exec_lo, s22
	s_delay_alu instid0(VALU_DEP_1) | instskip(NEXT) | instid1(VALU_DEP_2)
	v_dual_lshlrev_b32 v1, 24, v1 :: v_dual_lshlrev_b32 v6, 20, v86
	v_lshl_add_u32 v0, v0, 23, 0x3c000000
	s_delay_alu instid0(VALU_DEP_2) | instskip(NEXT) | instid1(VALU_DEP_1)
	v_and_b32_e32 v1, 0x80000000, v1
	v_or3_b32 v0, v6, v1, v0
.LBB331_239:                            ;   in Loop: Header=BB331_12 Depth=1
	s_or_b32 exec_lo, exec_lo, s21
	scratch_store_b32 off, v0, s32 offset:284 ; 4-byte Folded Spill
.LBB331_240:                            ;   in Loop: Header=BB331_12 Depth=1
	s_wait_xcnt 0x0
	s_or_b32 exec_lo, exec_lo, s20
.LBB331_241:                            ;   in Loop: Header=BB331_12 Depth=1
	s_delay_alu instid0(SALU_CYCLE_1)
	s_or_b32 exec_lo, exec_lo, s19
	flat_load_b32 v0, v[84:85] offset:776
	v_mov_b32_e32 v6, 0
	s_mov_b32 s19, exec_lo
	scratch_store_b32 off, v6, s32 offset:244 ; 4-byte Folded Spill
	s_wait_xcnt 0x0
	v_mov_b32_e32 v6, 0
	scratch_store_b32 off, v6, s32 offset:356 ; 4-byte Folded Spill
	s_wait_loadcnt_dscnt 0x0
	v_and_b32_e32 v1, 0xff, v0
	s_wait_xcnt 0x0
	s_delay_alu instid0(VALU_DEP_1)
	v_cmpx_ne_u16_e32 0, v1
	s_cbranch_execz .LBB331_249
; %bb.242:                              ;   in Loop: Header=BB331_12 Depth=1
	v_cmp_ne_u16_e64 s3, 0x80, v1
	v_bfrev_b32_e32 v1, 1
	s_and_saveexec_b32 s20, s3
	s_cbranch_execz .LBB331_248
; %bb.243:                              ;   in Loop: Header=BB331_12 Depth=1
	v_and_b32_e32 v6, 0x7f, v0
	v_mov_b32_e32 v1, 0x7f800001
	s_mov_b32 s21, exec_lo
	s_delay_alu instid0(VALU_DEP_2)
	v_cmpx_ne_u32_e32 0x7f, v6
	s_cbranch_execz .LBB331_247
; %bb.244:                              ;   in Loop: Header=BB331_12 Depth=1
	v_dual_lshrrev_b32 v1, 3, v6 :: v_dual_bitop2_b32 v66, 7, v0 bitop3:0x40
	s_mov_b32 s22, exec_lo
	s_delay_alu instid0(VALU_DEP_1)
	v_mov_b64_e32 v[86:87], v[66:67]
	v_cmpx_gt_u32_e32 8, v6
; %bb.245:                              ;   in Loop: Header=BB331_12 Depth=1
	v_clz_i32_u32_e32 v1, v66
	s_delay_alu instid0(VALU_DEP_1) | instskip(NEXT) | instid1(VALU_DEP_1)
	v_min_u32_e32 v1, 32, v1
	v_subrev_nc_u32_e32 v6, 28, v1
	s_delay_alu instid0(VALU_DEP_1) | instskip(NEXT) | instid1(VALU_DEP_1)
	v_lshlrev_b64_e32 v[6:7], v6, v[66:67]
	v_dual_sub_nc_u32 v1, 29, v1 :: v_dual_bitop2_b32 v86, 7, v6 bitop3:0x40
; %bb.246:                              ;   in Loop: Header=BB331_12 Depth=1
	s_or_b32 exec_lo, exec_lo, s22
	s_delay_alu instid0(VALU_DEP_1) | instskip(NEXT) | instid1(VALU_DEP_2)
	v_dual_lshlrev_b32 v6, 24, v0 :: v_dual_lshlrev_b32 v7, 20, v86
	v_lshl_add_u32 v1, v1, 23, 0x3c000000
	s_delay_alu instid0(VALU_DEP_2) | instskip(NEXT) | instid1(VALU_DEP_1)
	v_and_b32_e32 v6, 0x80000000, v6
	v_or3_b32 v1, v7, v6, v1
.LBB331_247:                            ;   in Loop: Header=BB331_12 Depth=1
	s_or_b32 exec_lo, exec_lo, s21
.LBB331_248:                            ;   in Loop: Header=BB331_12 Depth=1
	s_delay_alu instid0(SALU_CYCLE_1)
	s_or_b32 exec_lo, exec_lo, s20
	scratch_store_b32 off, v1, s32 offset:356 ; 4-byte Folded Spill
.LBB331_249:                            ;   in Loop: Header=BB331_12 Depth=1
	s_wait_xcnt 0x0
	s_or_b32 exec_lo, exec_lo, s19
	v_lshrrev_b16 v1, 8, v0
	s_mov_b32 s19, exec_lo
	s_delay_alu instid0(VALU_DEP_1)
	v_cmpx_ne_u16_e32 0, v1
	s_cbranch_execz .LBB331_257
; %bb.250:                              ;   in Loop: Header=BB331_12 Depth=1
	v_bfrev_b32_e32 v6, 1
	s_mov_b32 s20, exec_lo
	scratch_store_b32 off, v6, s32 offset:244 ; 4-byte Folded Spill
	s_wait_xcnt 0x0
	v_cmpx_ne_u16_e32 0x80, v1
	s_cbranch_execz .LBB331_256
; %bb.251:                              ;   in Loop: Header=BB331_12 Depth=1
	v_and_b32_e32 v1, 0xffff, v1
	v_mov_b32_e32 v7, 0x7f800001
	s_mov_b32 s21, exec_lo
	s_delay_alu instid0(VALU_DEP_2)
	v_and_b32_e32 v6, 0x7f, v1
	scratch_store_b32 off, v7, s32 offset:244 ; 4-byte Folded Spill
	s_wait_xcnt 0x0
	v_cmpx_ne_u32_e32 0x7f, v6
	s_cbranch_execz .LBB331_255
; %bb.252:                              ;   in Loop: Header=BB331_12 Depth=1
	v_dual_lshrrev_b32 v1, 3, v6 :: v_dual_bitop2_b32 v66, 7, v1 bitop3:0x40
	s_mov_b32 s22, exec_lo
	s_delay_alu instid0(VALU_DEP_1)
	v_mov_b64_e32 v[86:87], v[66:67]
	v_cmpx_gt_u32_e32 8, v6
; %bb.253:                              ;   in Loop: Header=BB331_12 Depth=1
	v_clz_i32_u32_e32 v1, v66
	s_delay_alu instid0(VALU_DEP_1) | instskip(NEXT) | instid1(VALU_DEP_1)
	v_min_u32_e32 v1, 32, v1
	v_subrev_nc_u32_e32 v6, 28, v1
	s_delay_alu instid0(VALU_DEP_1) | instskip(NEXT) | instid1(VALU_DEP_1)
	v_lshlrev_b64_e32 v[6:7], v6, v[66:67]
	v_dual_sub_nc_u32 v1, 29, v1 :: v_dual_bitop2_b32 v86, 7, v6 bitop3:0x40
; %bb.254:                              ;   in Loop: Header=BB331_12 Depth=1
	s_or_b32 exec_lo, exec_lo, s22
	s_delay_alu instid0(VALU_DEP_1) | instskip(NEXT) | instid1(VALU_DEP_2)
	v_dual_lshlrev_b32 v6, 16, v0 :: v_dual_lshlrev_b32 v7, 20, v86
	v_lshl_add_u32 v1, v1, 23, 0x3c000000
	s_delay_alu instid0(VALU_DEP_2) | instskip(NEXT) | instid1(VALU_DEP_1)
	v_and_b32_e32 v6, 0x80000000, v6
	v_or3_b32 v1, v7, v6, v1
	scratch_store_b32 off, v1, s32 offset:244 ; 4-byte Folded Spill
.LBB331_255:                            ;   in Loop: Header=BB331_12 Depth=1
	s_wait_xcnt 0x0
	s_or_b32 exec_lo, exec_lo, s21
.LBB331_256:                            ;   in Loop: Header=BB331_12 Depth=1
	s_delay_alu instid0(SALU_CYCLE_1)
	s_or_b32 exec_lo, exec_lo, s20
.LBB331_257:                            ;   in Loop: Header=BB331_12 Depth=1
	s_delay_alu instid0(SALU_CYCLE_1) | instskip(SKIP_2) | instid1(VALU_DEP_1)
	s_or_b32 exec_lo, exec_lo, s19
	v_dual_lshrrev_b32 v1, 16, v0 :: v_dual_mov_b32 v7, 0
	s_mov_b32 s19, exec_lo
	v_and_b32_e32 v6, 0xff, v1
	scratch_store_b32 off, v7, s32 offset:288 ; 4-byte Folded Spill
	s_wait_xcnt 0x0
	v_mov_b32_e32 v7, 0
	scratch_store_b32 off, v7, s32 offset:360 ; 4-byte Folded Spill
	s_wait_xcnt 0x0
	v_cmpx_ne_u16_e32 0, v6
	s_cbranch_execz .LBB331_265
; %bb.258:                              ;   in Loop: Header=BB331_12 Depth=1
	v_cmp_ne_u16_e64 s3, 0x80, v6
	v_bfrev_b32_e32 v6, 1
	s_and_saveexec_b32 s20, s3
	s_cbranch_execz .LBB331_264
; %bb.259:                              ;   in Loop: Header=BB331_12 Depth=1
	v_bfe_u32 v7, v0, 16, 7
	v_mov_b32_e32 v6, 0x7f800001
	s_mov_b32 s21, exec_lo
	s_delay_alu instid0(VALU_DEP_2)
	v_cmpx_ne_u32_e32 0x7f, v7
	s_cbranch_execz .LBB331_263
; %bb.260:                              ;   in Loop: Header=BB331_12 Depth=1
	v_dual_lshrrev_b32 v6, 3, v7 :: v_dual_bitop2_b32 v66, 7, v1 bitop3:0x40
	s_mov_b32 s22, exec_lo
	s_delay_alu instid0(VALU_DEP_1)
	v_mov_b64_e32 v[86:87], v[66:67]
	v_cmpx_gt_u32_e32 8, v7
; %bb.261:                              ;   in Loop: Header=BB331_12 Depth=1
	v_clz_i32_u32_e32 v6, v66
	s_delay_alu instid0(VALU_DEP_1) | instskip(NEXT) | instid1(VALU_DEP_1)
	v_min_u32_e32 v6, 32, v6
	v_subrev_nc_u32_e32 v7, 28, v6
	s_delay_alu instid0(VALU_DEP_1) | instskip(NEXT) | instid1(VALU_DEP_1)
	v_lshlrev_b64_e32 v[8:9], v7, v[66:67]
	v_dual_sub_nc_u32 v6, 29, v6 :: v_dual_bitop2_b32 v86, 7, v8 bitop3:0x40
; %bb.262:                              ;   in Loop: Header=BB331_12 Depth=1
	s_or_b32 exec_lo, exec_lo, s22
	s_delay_alu instid0(VALU_DEP_1) | instskip(NEXT) | instid1(VALU_DEP_2)
	v_dual_lshlrev_b32 v1, 24, v1 :: v_dual_lshlrev_b32 v7, 20, v86
	v_lshl_add_u32 v6, v6, 23, 0x3c000000
	s_delay_alu instid0(VALU_DEP_2) | instskip(NEXT) | instid1(VALU_DEP_1)
	v_and_b32_e32 v1, 0x80000000, v1
	v_or3_b32 v6, v7, v1, v6
.LBB331_263:                            ;   in Loop: Header=BB331_12 Depth=1
	s_or_b32 exec_lo, exec_lo, s21
.LBB331_264:                            ;   in Loop: Header=BB331_12 Depth=1
	s_delay_alu instid0(SALU_CYCLE_1)
	s_or_b32 exec_lo, exec_lo, s20
	scratch_store_b32 off, v6, s32 offset:360 ; 4-byte Folded Spill
.LBB331_265:                            ;   in Loop: Header=BB331_12 Depth=1
	s_wait_xcnt 0x0
	s_or_b32 exec_lo, exec_lo, s19
	s_delay_alu instid0(SALU_CYCLE_1)
	s_mov_b32 s19, exec_lo
	v_cmpx_lt_u32_e32 0xffffff, v0
	s_cbranch_execz .LBB331_273
; %bb.266:                              ;   in Loop: Header=BB331_12 Depth=1
	v_lshrrev_b32_e32 v1, 24, v0
	v_bfrev_b32_e32 v6, 1
	s_mov_b32 s20, exec_lo
	scratch_store_b32 off, v6, s32 offset:288 ; 4-byte Folded Spill
	s_wait_xcnt 0x0
	v_cmpx_ne_u32_e32 0x80, v1
	s_cbranch_execz .LBB331_272
; %bb.267:                              ;   in Loop: Header=BB331_12 Depth=1
	v_bfe_u32 v6, v0, 24, 7
	v_mov_b32_e32 v0, 0x7f800001
	s_mov_b32 s21, exec_lo
	s_delay_alu instid0(VALU_DEP_2)
	v_cmpx_ne_u32_e32 0x7f, v6
	s_cbranch_execz .LBB331_271
; %bb.268:                              ;   in Loop: Header=BB331_12 Depth=1
	v_dual_lshrrev_b32 v0, 3, v6 :: v_dual_bitop2_b32 v66, 7, v1 bitop3:0x40
	s_mov_b32 s22, exec_lo
	s_delay_alu instid0(VALU_DEP_1)
	v_mov_b64_e32 v[86:87], v[66:67]
	v_cmpx_gt_u32_e32 8, v6
; %bb.269:                              ;   in Loop: Header=BB331_12 Depth=1
	v_clz_i32_u32_e32 v0, v66
	s_delay_alu instid0(VALU_DEP_1) | instskip(NEXT) | instid1(VALU_DEP_1)
	v_min_u32_e32 v0, 32, v0
	v_subrev_nc_u32_e32 v6, 28, v0
	s_delay_alu instid0(VALU_DEP_1) | instskip(NEXT) | instid1(VALU_DEP_1)
	v_lshlrev_b64_e32 v[6:7], v6, v[66:67]
	v_dual_sub_nc_u32 v0, 29, v0 :: v_dual_bitop2_b32 v86, 7, v6 bitop3:0x40
; %bb.270:                              ;   in Loop: Header=BB331_12 Depth=1
	s_or_b32 exec_lo, exec_lo, s22
	s_delay_alu instid0(VALU_DEP_1) | instskip(NEXT) | instid1(VALU_DEP_2)
	v_dual_lshlrev_b32 v1, 24, v1 :: v_dual_lshlrev_b32 v6, 20, v86
	v_lshl_add_u32 v0, v0, 23, 0x3c000000
	s_delay_alu instid0(VALU_DEP_2) | instskip(NEXT) | instid1(VALU_DEP_1)
	v_and_b32_e32 v1, 0x80000000, v1
	v_or3_b32 v0, v6, v1, v0
.LBB331_271:                            ;   in Loop: Header=BB331_12 Depth=1
	s_or_b32 exec_lo, exec_lo, s21
	scratch_store_b32 off, v0, s32 offset:288 ; 4-byte Folded Spill
.LBB331_272:                            ;   in Loop: Header=BB331_12 Depth=1
	s_wait_xcnt 0x0
	s_or_b32 exec_lo, exec_lo, s20
.LBB331_273:                            ;   in Loop: Header=BB331_12 Depth=1
	s_delay_alu instid0(SALU_CYCLE_1)
	s_or_b32 exec_lo, exec_lo, s19
	flat_load_b32 v0, v[84:85] offset:1024
	v_mov_b32_e32 v6, 0
	s_mov_b32 s19, exec_lo
	scratch_store_b32 off, v6, s32 offset:248 ; 4-byte Folded Spill
	s_wait_xcnt 0x0
	v_mov_b32_e32 v6, 0
	scratch_store_b32 off, v6, s32 offset:364 ; 4-byte Folded Spill
	s_wait_loadcnt_dscnt 0x0
	v_and_b32_e32 v1, 0xff, v0
	s_wait_xcnt 0x0
	s_delay_alu instid0(VALU_DEP_1)
	v_cmpx_ne_u16_e32 0, v1
	s_cbranch_execz .LBB331_281
; %bb.274:                              ;   in Loop: Header=BB331_12 Depth=1
	v_cmp_ne_u16_e64 s3, 0x80, v1
	v_bfrev_b32_e32 v1, 1
	s_and_saveexec_b32 s20, s3
	s_cbranch_execz .LBB331_280
; %bb.275:                              ;   in Loop: Header=BB331_12 Depth=1
	v_and_b32_e32 v6, 0x7f, v0
	v_mov_b32_e32 v1, 0x7f800001
	s_mov_b32 s21, exec_lo
	s_delay_alu instid0(VALU_DEP_2)
	v_cmpx_ne_u32_e32 0x7f, v6
	s_cbranch_execz .LBB331_279
; %bb.276:                              ;   in Loop: Header=BB331_12 Depth=1
	v_dual_lshrrev_b32 v1, 3, v6 :: v_dual_bitop2_b32 v66, 7, v0 bitop3:0x40
	s_mov_b32 s22, exec_lo
	s_delay_alu instid0(VALU_DEP_1)
	v_mov_b64_e32 v[86:87], v[66:67]
	v_cmpx_gt_u32_e32 8, v6
; %bb.277:                              ;   in Loop: Header=BB331_12 Depth=1
	v_clz_i32_u32_e32 v1, v66
	s_delay_alu instid0(VALU_DEP_1) | instskip(NEXT) | instid1(VALU_DEP_1)
	v_min_u32_e32 v1, 32, v1
	v_subrev_nc_u32_e32 v6, 28, v1
	s_delay_alu instid0(VALU_DEP_1) | instskip(NEXT) | instid1(VALU_DEP_1)
	v_lshlrev_b64_e32 v[6:7], v6, v[66:67]
	v_dual_sub_nc_u32 v1, 29, v1 :: v_dual_bitop2_b32 v86, 7, v6 bitop3:0x40
; %bb.278:                              ;   in Loop: Header=BB331_12 Depth=1
	s_or_b32 exec_lo, exec_lo, s22
	s_delay_alu instid0(VALU_DEP_1) | instskip(NEXT) | instid1(VALU_DEP_2)
	v_dual_lshlrev_b32 v6, 24, v0 :: v_dual_lshlrev_b32 v7, 20, v86
	v_lshl_add_u32 v1, v1, 23, 0x3c000000
	s_delay_alu instid0(VALU_DEP_2) | instskip(NEXT) | instid1(VALU_DEP_1)
	v_and_b32_e32 v6, 0x80000000, v6
	v_or3_b32 v1, v7, v6, v1
.LBB331_279:                            ;   in Loop: Header=BB331_12 Depth=1
	s_or_b32 exec_lo, exec_lo, s21
.LBB331_280:                            ;   in Loop: Header=BB331_12 Depth=1
	s_delay_alu instid0(SALU_CYCLE_1)
	s_or_b32 exec_lo, exec_lo, s20
	scratch_store_b32 off, v1, s32 offset:364 ; 4-byte Folded Spill
.LBB331_281:                            ;   in Loop: Header=BB331_12 Depth=1
	s_wait_xcnt 0x0
	s_or_b32 exec_lo, exec_lo, s19
	v_lshrrev_b16 v1, 8, v0
	s_mov_b32 s19, exec_lo
	s_delay_alu instid0(VALU_DEP_1)
	v_cmpx_ne_u16_e32 0, v1
	s_cbranch_execz .LBB331_289
; %bb.282:                              ;   in Loop: Header=BB331_12 Depth=1
	v_bfrev_b32_e32 v6, 1
	s_mov_b32 s20, exec_lo
	scratch_store_b32 off, v6, s32 offset:248 ; 4-byte Folded Spill
	s_wait_xcnt 0x0
	v_cmpx_ne_u16_e32 0x80, v1
	s_cbranch_execz .LBB331_288
; %bb.283:                              ;   in Loop: Header=BB331_12 Depth=1
	v_and_b32_e32 v1, 0xffff, v1
	v_mov_b32_e32 v7, 0x7f800001
	s_mov_b32 s21, exec_lo
	s_delay_alu instid0(VALU_DEP_2)
	v_and_b32_e32 v6, 0x7f, v1
	scratch_store_b32 off, v7, s32 offset:248 ; 4-byte Folded Spill
	s_wait_xcnt 0x0
	v_cmpx_ne_u32_e32 0x7f, v6
	s_cbranch_execz .LBB331_287
; %bb.284:                              ;   in Loop: Header=BB331_12 Depth=1
	v_dual_lshrrev_b32 v1, 3, v6 :: v_dual_bitop2_b32 v66, 7, v1 bitop3:0x40
	s_mov_b32 s22, exec_lo
	s_delay_alu instid0(VALU_DEP_1)
	v_mov_b64_e32 v[86:87], v[66:67]
	v_cmpx_gt_u32_e32 8, v6
; %bb.285:                              ;   in Loop: Header=BB331_12 Depth=1
	v_clz_i32_u32_e32 v1, v66
	s_delay_alu instid0(VALU_DEP_1) | instskip(NEXT) | instid1(VALU_DEP_1)
	v_min_u32_e32 v1, 32, v1
	v_subrev_nc_u32_e32 v6, 28, v1
	s_delay_alu instid0(VALU_DEP_1) | instskip(NEXT) | instid1(VALU_DEP_1)
	v_lshlrev_b64_e32 v[6:7], v6, v[66:67]
	v_dual_sub_nc_u32 v1, 29, v1 :: v_dual_bitop2_b32 v86, 7, v6 bitop3:0x40
; %bb.286:                              ;   in Loop: Header=BB331_12 Depth=1
	s_or_b32 exec_lo, exec_lo, s22
	s_delay_alu instid0(VALU_DEP_1) | instskip(NEXT) | instid1(VALU_DEP_2)
	v_dual_lshlrev_b32 v6, 16, v0 :: v_dual_lshlrev_b32 v7, 20, v86
	v_lshl_add_u32 v1, v1, 23, 0x3c000000
	s_delay_alu instid0(VALU_DEP_2) | instskip(NEXT) | instid1(VALU_DEP_1)
	v_and_b32_e32 v6, 0x80000000, v6
	v_or3_b32 v1, v7, v6, v1
	scratch_store_b32 off, v1, s32 offset:248 ; 4-byte Folded Spill
.LBB331_287:                            ;   in Loop: Header=BB331_12 Depth=1
	s_wait_xcnt 0x0
	s_or_b32 exec_lo, exec_lo, s21
.LBB331_288:                            ;   in Loop: Header=BB331_12 Depth=1
	s_delay_alu instid0(SALU_CYCLE_1)
	s_or_b32 exec_lo, exec_lo, s20
.LBB331_289:                            ;   in Loop: Header=BB331_12 Depth=1
	s_delay_alu instid0(SALU_CYCLE_1) | instskip(SKIP_2) | instid1(VALU_DEP_1)
	s_or_b32 exec_lo, exec_lo, s19
	v_dual_lshrrev_b32 v1, 16, v0 :: v_dual_mov_b32 v7, 0
	s_mov_b32 s19, exec_lo
	v_and_b32_e32 v6, 0xff, v1
	scratch_store_b32 off, v7, s32 offset:292 ; 4-byte Folded Spill
	s_wait_xcnt 0x0
	v_mov_b32_e32 v7, 0
	scratch_store_b32 off, v7, s32 offset:368 ; 4-byte Folded Spill
	s_wait_xcnt 0x0
	v_cmpx_ne_u16_e32 0, v6
	s_cbranch_execz .LBB331_297
; %bb.290:                              ;   in Loop: Header=BB331_12 Depth=1
	v_cmp_ne_u16_e64 s3, 0x80, v6
	v_bfrev_b32_e32 v6, 1
	s_and_saveexec_b32 s20, s3
	s_cbranch_execz .LBB331_296
; %bb.291:                              ;   in Loop: Header=BB331_12 Depth=1
	v_bfe_u32 v7, v0, 16, 7
	v_mov_b32_e32 v6, 0x7f800001
	s_mov_b32 s21, exec_lo
	s_delay_alu instid0(VALU_DEP_2)
	v_cmpx_ne_u32_e32 0x7f, v7
	s_cbranch_execz .LBB331_295
; %bb.292:                              ;   in Loop: Header=BB331_12 Depth=1
	v_dual_lshrrev_b32 v6, 3, v7 :: v_dual_bitop2_b32 v66, 7, v1 bitop3:0x40
	s_mov_b32 s22, exec_lo
	s_delay_alu instid0(VALU_DEP_1)
	v_mov_b64_e32 v[86:87], v[66:67]
	v_cmpx_gt_u32_e32 8, v7
; %bb.293:                              ;   in Loop: Header=BB331_12 Depth=1
	v_clz_i32_u32_e32 v6, v66
	s_delay_alu instid0(VALU_DEP_1) | instskip(NEXT) | instid1(VALU_DEP_1)
	v_min_u32_e32 v6, 32, v6
	v_subrev_nc_u32_e32 v7, 28, v6
	s_delay_alu instid0(VALU_DEP_1) | instskip(NEXT) | instid1(VALU_DEP_1)
	v_lshlrev_b64_e32 v[8:9], v7, v[66:67]
	v_dual_sub_nc_u32 v6, 29, v6 :: v_dual_bitop2_b32 v86, 7, v8 bitop3:0x40
; %bb.294:                              ;   in Loop: Header=BB331_12 Depth=1
	s_or_b32 exec_lo, exec_lo, s22
	s_delay_alu instid0(VALU_DEP_1) | instskip(NEXT) | instid1(VALU_DEP_2)
	v_dual_lshlrev_b32 v1, 24, v1 :: v_dual_lshlrev_b32 v7, 20, v86
	v_lshl_add_u32 v6, v6, 23, 0x3c000000
	s_delay_alu instid0(VALU_DEP_2) | instskip(NEXT) | instid1(VALU_DEP_1)
	v_and_b32_e32 v1, 0x80000000, v1
	v_or3_b32 v6, v7, v1, v6
.LBB331_295:                            ;   in Loop: Header=BB331_12 Depth=1
	s_or_b32 exec_lo, exec_lo, s21
.LBB331_296:                            ;   in Loop: Header=BB331_12 Depth=1
	s_delay_alu instid0(SALU_CYCLE_1)
	s_or_b32 exec_lo, exec_lo, s20
	scratch_store_b32 off, v6, s32 offset:368 ; 4-byte Folded Spill
.LBB331_297:                            ;   in Loop: Header=BB331_12 Depth=1
	s_wait_xcnt 0x0
	s_or_b32 exec_lo, exec_lo, s19
	s_delay_alu instid0(SALU_CYCLE_1)
	s_mov_b32 s19, exec_lo
	v_cmpx_lt_u32_e32 0xffffff, v0
	s_cbranch_execz .LBB331_305
; %bb.298:                              ;   in Loop: Header=BB331_12 Depth=1
	v_lshrrev_b32_e32 v1, 24, v0
	v_bfrev_b32_e32 v6, 1
	s_mov_b32 s20, exec_lo
	scratch_store_b32 off, v6, s32 offset:292 ; 4-byte Folded Spill
	s_wait_xcnt 0x0
	v_cmpx_ne_u32_e32 0x80, v1
	s_cbranch_execz .LBB331_304
; %bb.299:                              ;   in Loop: Header=BB331_12 Depth=1
	v_bfe_u32 v6, v0, 24, 7
	v_mov_b32_e32 v0, 0x7f800001
	s_mov_b32 s21, exec_lo
	s_delay_alu instid0(VALU_DEP_2)
	v_cmpx_ne_u32_e32 0x7f, v6
	s_cbranch_execz .LBB331_303
; %bb.300:                              ;   in Loop: Header=BB331_12 Depth=1
	v_dual_lshrrev_b32 v0, 3, v6 :: v_dual_bitop2_b32 v66, 7, v1 bitop3:0x40
	s_mov_b32 s22, exec_lo
	s_delay_alu instid0(VALU_DEP_1)
	v_mov_b64_e32 v[86:87], v[66:67]
	v_cmpx_gt_u32_e32 8, v6
; %bb.301:                              ;   in Loop: Header=BB331_12 Depth=1
	v_clz_i32_u32_e32 v0, v66
	s_delay_alu instid0(VALU_DEP_1) | instskip(NEXT) | instid1(VALU_DEP_1)
	v_min_u32_e32 v0, 32, v0
	v_subrev_nc_u32_e32 v6, 28, v0
	s_delay_alu instid0(VALU_DEP_1) | instskip(NEXT) | instid1(VALU_DEP_1)
	v_lshlrev_b64_e32 v[6:7], v6, v[66:67]
	v_dual_sub_nc_u32 v0, 29, v0 :: v_dual_bitop2_b32 v86, 7, v6 bitop3:0x40
; %bb.302:                              ;   in Loop: Header=BB331_12 Depth=1
	s_or_b32 exec_lo, exec_lo, s22
	s_delay_alu instid0(VALU_DEP_1) | instskip(NEXT) | instid1(VALU_DEP_2)
	v_dual_lshlrev_b32 v1, 24, v1 :: v_dual_lshlrev_b32 v6, 20, v86
	v_lshl_add_u32 v0, v0, 23, 0x3c000000
	s_delay_alu instid0(VALU_DEP_2) | instskip(NEXT) | instid1(VALU_DEP_1)
	v_and_b32_e32 v1, 0x80000000, v1
	v_or3_b32 v0, v6, v1, v0
.LBB331_303:                            ;   in Loop: Header=BB331_12 Depth=1
	s_or_b32 exec_lo, exec_lo, s21
	scratch_store_b32 off, v0, s32 offset:292 ; 4-byte Folded Spill
.LBB331_304:                            ;   in Loop: Header=BB331_12 Depth=1
	s_wait_xcnt 0x0
	s_or_b32 exec_lo, exec_lo, s20
.LBB331_305:                            ;   in Loop: Header=BB331_12 Depth=1
	s_delay_alu instid0(SALU_CYCLE_1)
	s_or_b32 exec_lo, exec_lo, s19
	flat_load_b32 v0, v[84:85] offset:1032
	v_mov_b32_e32 v6, 0
	s_mov_b32 s19, exec_lo
	scratch_store_b32 off, v6, s32 offset:252 ; 4-byte Folded Spill
	s_wait_xcnt 0x0
	v_mov_b32_e32 v6, 0
	scratch_store_b32 off, v6, s32 offset:372 ; 4-byte Folded Spill
	s_wait_loadcnt_dscnt 0x0
	v_and_b32_e32 v1, 0xff, v0
	s_wait_xcnt 0x0
	s_delay_alu instid0(VALU_DEP_1)
	v_cmpx_ne_u16_e32 0, v1
	s_cbranch_execz .LBB331_313
; %bb.306:                              ;   in Loop: Header=BB331_12 Depth=1
	v_cmp_ne_u16_e64 s3, 0x80, v1
	v_bfrev_b32_e32 v1, 1
	s_and_saveexec_b32 s20, s3
	s_cbranch_execz .LBB331_312
; %bb.307:                              ;   in Loop: Header=BB331_12 Depth=1
	v_and_b32_e32 v6, 0x7f, v0
	v_mov_b32_e32 v1, 0x7f800001
	s_mov_b32 s21, exec_lo
	s_delay_alu instid0(VALU_DEP_2)
	v_cmpx_ne_u32_e32 0x7f, v6
	s_cbranch_execz .LBB331_311
; %bb.308:                              ;   in Loop: Header=BB331_12 Depth=1
	v_dual_lshrrev_b32 v1, 3, v6 :: v_dual_bitop2_b32 v66, 7, v0 bitop3:0x40
	s_mov_b32 s22, exec_lo
	s_delay_alu instid0(VALU_DEP_1)
	v_mov_b64_e32 v[86:87], v[66:67]
	v_cmpx_gt_u32_e32 8, v6
; %bb.309:                              ;   in Loop: Header=BB331_12 Depth=1
	v_clz_i32_u32_e32 v1, v66
	s_delay_alu instid0(VALU_DEP_1) | instskip(NEXT) | instid1(VALU_DEP_1)
	v_min_u32_e32 v1, 32, v1
	v_subrev_nc_u32_e32 v6, 28, v1
	s_delay_alu instid0(VALU_DEP_1) | instskip(NEXT) | instid1(VALU_DEP_1)
	v_lshlrev_b64_e32 v[6:7], v6, v[66:67]
	v_dual_sub_nc_u32 v1, 29, v1 :: v_dual_bitop2_b32 v86, 7, v6 bitop3:0x40
; %bb.310:                              ;   in Loop: Header=BB331_12 Depth=1
	s_or_b32 exec_lo, exec_lo, s22
	s_delay_alu instid0(VALU_DEP_1) | instskip(NEXT) | instid1(VALU_DEP_2)
	v_dual_lshlrev_b32 v6, 24, v0 :: v_dual_lshlrev_b32 v7, 20, v86
	v_lshl_add_u32 v1, v1, 23, 0x3c000000
	s_delay_alu instid0(VALU_DEP_2) | instskip(NEXT) | instid1(VALU_DEP_1)
	v_and_b32_e32 v6, 0x80000000, v6
	v_or3_b32 v1, v7, v6, v1
.LBB331_311:                            ;   in Loop: Header=BB331_12 Depth=1
	s_or_b32 exec_lo, exec_lo, s21
.LBB331_312:                            ;   in Loop: Header=BB331_12 Depth=1
	s_delay_alu instid0(SALU_CYCLE_1)
	s_or_b32 exec_lo, exec_lo, s20
	scratch_store_b32 off, v1, s32 offset:372 ; 4-byte Folded Spill
.LBB331_313:                            ;   in Loop: Header=BB331_12 Depth=1
	s_wait_xcnt 0x0
	s_or_b32 exec_lo, exec_lo, s19
	v_lshrrev_b16 v1, 8, v0
	s_mov_b32 s19, exec_lo
	s_delay_alu instid0(VALU_DEP_1)
	v_cmpx_ne_u16_e32 0, v1
	s_cbranch_execz .LBB331_321
; %bb.314:                              ;   in Loop: Header=BB331_12 Depth=1
	v_bfrev_b32_e32 v6, 1
	s_mov_b32 s20, exec_lo
	scratch_store_b32 off, v6, s32 offset:252 ; 4-byte Folded Spill
	s_wait_xcnt 0x0
	v_cmpx_ne_u16_e32 0x80, v1
	s_cbranch_execz .LBB331_320
; %bb.315:                              ;   in Loop: Header=BB331_12 Depth=1
	v_and_b32_e32 v1, 0xffff, v1
	v_mov_b32_e32 v7, 0x7f800001
	s_mov_b32 s21, exec_lo
	s_delay_alu instid0(VALU_DEP_2)
	v_and_b32_e32 v6, 0x7f, v1
	scratch_store_b32 off, v7, s32 offset:252 ; 4-byte Folded Spill
	s_wait_xcnt 0x0
	v_cmpx_ne_u32_e32 0x7f, v6
	s_cbranch_execz .LBB331_319
; %bb.316:                              ;   in Loop: Header=BB331_12 Depth=1
	v_dual_lshrrev_b32 v1, 3, v6 :: v_dual_bitop2_b32 v66, 7, v1 bitop3:0x40
	s_mov_b32 s22, exec_lo
	s_delay_alu instid0(VALU_DEP_1)
	v_mov_b64_e32 v[86:87], v[66:67]
	v_cmpx_gt_u32_e32 8, v6
; %bb.317:                              ;   in Loop: Header=BB331_12 Depth=1
	v_clz_i32_u32_e32 v1, v66
	s_delay_alu instid0(VALU_DEP_1) | instskip(NEXT) | instid1(VALU_DEP_1)
	v_min_u32_e32 v1, 32, v1
	v_subrev_nc_u32_e32 v6, 28, v1
	s_delay_alu instid0(VALU_DEP_1) | instskip(NEXT) | instid1(VALU_DEP_1)
	v_lshlrev_b64_e32 v[6:7], v6, v[66:67]
	v_dual_sub_nc_u32 v1, 29, v1 :: v_dual_bitop2_b32 v86, 7, v6 bitop3:0x40
; %bb.318:                              ;   in Loop: Header=BB331_12 Depth=1
	s_or_b32 exec_lo, exec_lo, s22
	s_delay_alu instid0(VALU_DEP_1) | instskip(NEXT) | instid1(VALU_DEP_2)
	v_dual_lshlrev_b32 v6, 16, v0 :: v_dual_lshlrev_b32 v7, 20, v86
	v_lshl_add_u32 v1, v1, 23, 0x3c000000
	s_delay_alu instid0(VALU_DEP_2) | instskip(NEXT) | instid1(VALU_DEP_1)
	v_and_b32_e32 v6, 0x80000000, v6
	v_or3_b32 v1, v7, v6, v1
	scratch_store_b32 off, v1, s32 offset:252 ; 4-byte Folded Spill
.LBB331_319:                            ;   in Loop: Header=BB331_12 Depth=1
	s_wait_xcnt 0x0
	s_or_b32 exec_lo, exec_lo, s21
.LBB331_320:                            ;   in Loop: Header=BB331_12 Depth=1
	s_delay_alu instid0(SALU_CYCLE_1)
	s_or_b32 exec_lo, exec_lo, s20
.LBB331_321:                            ;   in Loop: Header=BB331_12 Depth=1
	s_delay_alu instid0(SALU_CYCLE_1) | instskip(SKIP_2) | instid1(VALU_DEP_1)
	s_or_b32 exec_lo, exec_lo, s19
	v_dual_lshrrev_b32 v1, 16, v0 :: v_dual_mov_b32 v7, 0
	s_mov_b32 s19, exec_lo
	v_and_b32_e32 v6, 0xff, v1
	scratch_store_b32 off, v7, s32 offset:296 ; 4-byte Folded Spill
	s_wait_xcnt 0x0
	v_mov_b32_e32 v7, 0
	scratch_store_b32 off, v7, s32 offset:376 ; 4-byte Folded Spill
	s_wait_xcnt 0x0
	v_cmpx_ne_u16_e32 0, v6
	s_cbranch_execz .LBB331_329
; %bb.322:                              ;   in Loop: Header=BB331_12 Depth=1
	v_cmp_ne_u16_e64 s3, 0x80, v6
	v_bfrev_b32_e32 v6, 1
	s_and_saveexec_b32 s20, s3
	s_cbranch_execz .LBB331_328
; %bb.323:                              ;   in Loop: Header=BB331_12 Depth=1
	v_bfe_u32 v7, v0, 16, 7
	v_mov_b32_e32 v6, 0x7f800001
	s_mov_b32 s21, exec_lo
	s_delay_alu instid0(VALU_DEP_2)
	v_cmpx_ne_u32_e32 0x7f, v7
	s_cbranch_execz .LBB331_327
; %bb.324:                              ;   in Loop: Header=BB331_12 Depth=1
	v_dual_lshrrev_b32 v6, 3, v7 :: v_dual_bitop2_b32 v66, 7, v1 bitop3:0x40
	s_mov_b32 s22, exec_lo
	s_delay_alu instid0(VALU_DEP_1)
	v_mov_b64_e32 v[86:87], v[66:67]
	v_cmpx_gt_u32_e32 8, v7
; %bb.325:                              ;   in Loop: Header=BB331_12 Depth=1
	v_clz_i32_u32_e32 v6, v66
	s_delay_alu instid0(VALU_DEP_1) | instskip(NEXT) | instid1(VALU_DEP_1)
	v_min_u32_e32 v6, 32, v6
	v_subrev_nc_u32_e32 v7, 28, v6
	s_delay_alu instid0(VALU_DEP_1) | instskip(NEXT) | instid1(VALU_DEP_1)
	v_lshlrev_b64_e32 v[8:9], v7, v[66:67]
	v_dual_sub_nc_u32 v6, 29, v6 :: v_dual_bitop2_b32 v86, 7, v8 bitop3:0x40
; %bb.326:                              ;   in Loop: Header=BB331_12 Depth=1
	s_or_b32 exec_lo, exec_lo, s22
	s_delay_alu instid0(VALU_DEP_1) | instskip(NEXT) | instid1(VALU_DEP_2)
	v_dual_lshlrev_b32 v1, 24, v1 :: v_dual_lshlrev_b32 v7, 20, v86
	v_lshl_add_u32 v6, v6, 23, 0x3c000000
	s_delay_alu instid0(VALU_DEP_2) | instskip(NEXT) | instid1(VALU_DEP_1)
	v_and_b32_e32 v1, 0x80000000, v1
	v_or3_b32 v6, v7, v1, v6
.LBB331_327:                            ;   in Loop: Header=BB331_12 Depth=1
	s_or_b32 exec_lo, exec_lo, s21
.LBB331_328:                            ;   in Loop: Header=BB331_12 Depth=1
	s_delay_alu instid0(SALU_CYCLE_1)
	s_or_b32 exec_lo, exec_lo, s20
	scratch_store_b32 off, v6, s32 offset:376 ; 4-byte Folded Spill
.LBB331_329:                            ;   in Loop: Header=BB331_12 Depth=1
	s_wait_xcnt 0x0
	s_or_b32 exec_lo, exec_lo, s19
	s_delay_alu instid0(SALU_CYCLE_1)
	s_mov_b32 s19, exec_lo
	v_cmpx_lt_u32_e32 0xffffff, v0
	s_cbranch_execz .LBB331_337
; %bb.330:                              ;   in Loop: Header=BB331_12 Depth=1
	v_lshrrev_b32_e32 v1, 24, v0
	v_bfrev_b32_e32 v6, 1
	s_mov_b32 s20, exec_lo
	scratch_store_b32 off, v6, s32 offset:296 ; 4-byte Folded Spill
	s_wait_xcnt 0x0
	v_cmpx_ne_u32_e32 0x80, v1
	s_cbranch_execz .LBB331_336
; %bb.331:                              ;   in Loop: Header=BB331_12 Depth=1
	v_bfe_u32 v6, v0, 24, 7
	v_mov_b32_e32 v0, 0x7f800001
	s_mov_b32 s21, exec_lo
	s_delay_alu instid0(VALU_DEP_2)
	v_cmpx_ne_u32_e32 0x7f, v6
	s_cbranch_execz .LBB331_335
; %bb.332:                              ;   in Loop: Header=BB331_12 Depth=1
	v_dual_lshrrev_b32 v0, 3, v6 :: v_dual_bitop2_b32 v66, 7, v1 bitop3:0x40
	s_mov_b32 s22, exec_lo
	s_delay_alu instid0(VALU_DEP_1)
	v_mov_b64_e32 v[86:87], v[66:67]
	v_cmpx_gt_u32_e32 8, v6
; %bb.333:                              ;   in Loop: Header=BB331_12 Depth=1
	v_clz_i32_u32_e32 v0, v66
	s_delay_alu instid0(VALU_DEP_1) | instskip(NEXT) | instid1(VALU_DEP_1)
	v_min_u32_e32 v0, 32, v0
	v_subrev_nc_u32_e32 v6, 28, v0
	s_delay_alu instid0(VALU_DEP_1) | instskip(NEXT) | instid1(VALU_DEP_1)
	v_lshlrev_b64_e32 v[6:7], v6, v[66:67]
	v_dual_sub_nc_u32 v0, 29, v0 :: v_dual_bitop2_b32 v86, 7, v6 bitop3:0x40
; %bb.334:                              ;   in Loop: Header=BB331_12 Depth=1
	s_or_b32 exec_lo, exec_lo, s22
	s_delay_alu instid0(VALU_DEP_1) | instskip(NEXT) | instid1(VALU_DEP_2)
	v_dual_lshlrev_b32 v1, 24, v1 :: v_dual_lshlrev_b32 v6, 20, v86
	v_lshl_add_u32 v0, v0, 23, 0x3c000000
	s_delay_alu instid0(VALU_DEP_2) | instskip(NEXT) | instid1(VALU_DEP_1)
	v_and_b32_e32 v1, 0x80000000, v1
	v_or3_b32 v0, v6, v1, v0
.LBB331_335:                            ;   in Loop: Header=BB331_12 Depth=1
	s_or_b32 exec_lo, exec_lo, s21
	scratch_store_b32 off, v0, s32 offset:296 ; 4-byte Folded Spill
.LBB331_336:                            ;   in Loop: Header=BB331_12 Depth=1
	s_wait_xcnt 0x0
	s_or_b32 exec_lo, exec_lo, s20
.LBB331_337:                            ;   in Loop: Header=BB331_12 Depth=1
	s_delay_alu instid0(SALU_CYCLE_1)
	s_or_b32 exec_lo, exec_lo, s19
	flat_load_b32 v0, v[84:85] offset:1280
	v_mov_b32_e32 v6, 0
	s_mov_b32 s19, exec_lo
	scratch_store_b32 off, v6, s32 offset:256 ; 4-byte Folded Spill
	s_wait_xcnt 0x0
	v_mov_b32_e32 v6, 0
	scratch_store_b32 off, v6, s32 offset:380 ; 4-byte Folded Spill
	s_wait_loadcnt_dscnt 0x0
	v_and_b32_e32 v1, 0xff, v0
	s_wait_xcnt 0x0
	s_delay_alu instid0(VALU_DEP_1)
	v_cmpx_ne_u16_e32 0, v1
	s_cbranch_execz .LBB331_345
; %bb.338:                              ;   in Loop: Header=BB331_12 Depth=1
	v_cmp_ne_u16_e64 s3, 0x80, v1
	v_bfrev_b32_e32 v1, 1
	s_and_saveexec_b32 s20, s3
	s_cbranch_execz .LBB331_344
; %bb.339:                              ;   in Loop: Header=BB331_12 Depth=1
	v_and_b32_e32 v6, 0x7f, v0
	v_mov_b32_e32 v1, 0x7f800001
	s_mov_b32 s21, exec_lo
	s_delay_alu instid0(VALU_DEP_2)
	v_cmpx_ne_u32_e32 0x7f, v6
	s_cbranch_execz .LBB331_343
; %bb.340:                              ;   in Loop: Header=BB331_12 Depth=1
	v_dual_lshrrev_b32 v1, 3, v6 :: v_dual_bitop2_b32 v66, 7, v0 bitop3:0x40
	s_mov_b32 s22, exec_lo
	s_delay_alu instid0(VALU_DEP_1)
	v_mov_b64_e32 v[86:87], v[66:67]
	v_cmpx_gt_u32_e32 8, v6
; %bb.341:                              ;   in Loop: Header=BB331_12 Depth=1
	v_clz_i32_u32_e32 v1, v66
	s_delay_alu instid0(VALU_DEP_1) | instskip(NEXT) | instid1(VALU_DEP_1)
	v_min_u32_e32 v1, 32, v1
	v_subrev_nc_u32_e32 v6, 28, v1
	s_delay_alu instid0(VALU_DEP_1) | instskip(NEXT) | instid1(VALU_DEP_1)
	v_lshlrev_b64_e32 v[6:7], v6, v[66:67]
	v_dual_sub_nc_u32 v1, 29, v1 :: v_dual_bitop2_b32 v86, 7, v6 bitop3:0x40
; %bb.342:                              ;   in Loop: Header=BB331_12 Depth=1
	s_or_b32 exec_lo, exec_lo, s22
	s_delay_alu instid0(VALU_DEP_1) | instskip(NEXT) | instid1(VALU_DEP_2)
	v_dual_lshlrev_b32 v6, 24, v0 :: v_dual_lshlrev_b32 v7, 20, v86
	v_lshl_add_u32 v1, v1, 23, 0x3c000000
	s_delay_alu instid0(VALU_DEP_2) | instskip(NEXT) | instid1(VALU_DEP_1)
	v_and_b32_e32 v6, 0x80000000, v6
	v_or3_b32 v1, v7, v6, v1
.LBB331_343:                            ;   in Loop: Header=BB331_12 Depth=1
	s_or_b32 exec_lo, exec_lo, s21
.LBB331_344:                            ;   in Loop: Header=BB331_12 Depth=1
	s_delay_alu instid0(SALU_CYCLE_1)
	s_or_b32 exec_lo, exec_lo, s20
	scratch_store_b32 off, v1, s32 offset:380 ; 4-byte Folded Spill
.LBB331_345:                            ;   in Loop: Header=BB331_12 Depth=1
	s_wait_xcnt 0x0
	s_or_b32 exec_lo, exec_lo, s19
	v_lshrrev_b16 v1, 8, v0
	s_mov_b32 s19, exec_lo
	s_delay_alu instid0(VALU_DEP_1)
	v_cmpx_ne_u16_e32 0, v1
	s_cbranch_execz .LBB331_353
; %bb.346:                              ;   in Loop: Header=BB331_12 Depth=1
	v_bfrev_b32_e32 v6, 1
	s_mov_b32 s20, exec_lo
	scratch_store_b32 off, v6, s32 offset:256 ; 4-byte Folded Spill
	s_wait_xcnt 0x0
	v_cmpx_ne_u16_e32 0x80, v1
	s_cbranch_execz .LBB331_352
; %bb.347:                              ;   in Loop: Header=BB331_12 Depth=1
	v_and_b32_e32 v1, 0xffff, v1
	v_mov_b32_e32 v7, 0x7f800001
	s_mov_b32 s21, exec_lo
	s_delay_alu instid0(VALU_DEP_2)
	v_and_b32_e32 v6, 0x7f, v1
	scratch_store_b32 off, v7, s32 offset:256 ; 4-byte Folded Spill
	s_wait_xcnt 0x0
	v_cmpx_ne_u32_e32 0x7f, v6
	s_cbranch_execz .LBB331_351
; %bb.348:                              ;   in Loop: Header=BB331_12 Depth=1
	v_dual_lshrrev_b32 v1, 3, v6 :: v_dual_bitop2_b32 v66, 7, v1 bitop3:0x40
	s_mov_b32 s22, exec_lo
	s_delay_alu instid0(VALU_DEP_1)
	v_mov_b64_e32 v[86:87], v[66:67]
	v_cmpx_gt_u32_e32 8, v6
; %bb.349:                              ;   in Loop: Header=BB331_12 Depth=1
	v_clz_i32_u32_e32 v1, v66
	s_delay_alu instid0(VALU_DEP_1) | instskip(NEXT) | instid1(VALU_DEP_1)
	v_min_u32_e32 v1, 32, v1
	v_subrev_nc_u32_e32 v6, 28, v1
	s_delay_alu instid0(VALU_DEP_1) | instskip(NEXT) | instid1(VALU_DEP_1)
	v_lshlrev_b64_e32 v[6:7], v6, v[66:67]
	v_dual_sub_nc_u32 v1, 29, v1 :: v_dual_bitop2_b32 v86, 7, v6 bitop3:0x40
; %bb.350:                              ;   in Loop: Header=BB331_12 Depth=1
	s_or_b32 exec_lo, exec_lo, s22
	s_delay_alu instid0(VALU_DEP_1) | instskip(NEXT) | instid1(VALU_DEP_2)
	v_dual_lshlrev_b32 v6, 16, v0 :: v_dual_lshlrev_b32 v7, 20, v86
	v_lshl_add_u32 v1, v1, 23, 0x3c000000
	s_delay_alu instid0(VALU_DEP_2) | instskip(NEXT) | instid1(VALU_DEP_1)
	v_and_b32_e32 v6, 0x80000000, v6
	v_or3_b32 v1, v7, v6, v1
	scratch_store_b32 off, v1, s32 offset:256 ; 4-byte Folded Spill
.LBB331_351:                            ;   in Loop: Header=BB331_12 Depth=1
	s_wait_xcnt 0x0
	s_or_b32 exec_lo, exec_lo, s21
.LBB331_352:                            ;   in Loop: Header=BB331_12 Depth=1
	s_delay_alu instid0(SALU_CYCLE_1)
	s_or_b32 exec_lo, exec_lo, s20
.LBB331_353:                            ;   in Loop: Header=BB331_12 Depth=1
	s_delay_alu instid0(SALU_CYCLE_1) | instskip(SKIP_3) | instid1(VALU_DEP_2)
	s_or_b32 exec_lo, exec_lo, s19
	v_dual_lshrrev_b32 v1, 16, v0 :: v_dual_mov_b32 v7, 0
	v_mov_b32_e32 v125, 0
	s_mov_b32 s19, exec_lo
	v_and_b32_e32 v6, 0xff, v1
	scratch_store_b32 off, v7, s32 offset:300 ; 4-byte Folded Spill
	s_wait_xcnt 0x0
	v_cmpx_ne_u16_e32 0, v6
	s_cbranch_execz .LBB331_361
; %bb.354:                              ;   in Loop: Header=BB331_12 Depth=1
	v_bfrev_b32_e32 v125, 1
	s_mov_b32 s20, exec_lo
	v_cmpx_ne_u16_e32 0x80, v6
	s_cbranch_execz .LBB331_360
; %bb.355:                              ;   in Loop: Header=BB331_12 Depth=1
	v_bfe_u32 v7, v0, 16, 7
	v_mov_b32_e32 v125, 0x7f800001
	s_mov_b32 s21, exec_lo
	s_delay_alu instid0(VALU_DEP_2)
	v_cmpx_ne_u32_e32 0x7f, v7
	s_cbranch_execz .LBB331_359
; %bb.356:                              ;   in Loop: Header=BB331_12 Depth=1
	v_dual_lshrrev_b32 v6, 3, v7 :: v_dual_bitop2_b32 v66, 7, v1 bitop3:0x40
	s_mov_b32 s22, exec_lo
	s_delay_alu instid0(VALU_DEP_1)
	v_mov_b64_e32 v[86:87], v[66:67]
	v_cmpx_gt_u32_e32 8, v7
; %bb.357:                              ;   in Loop: Header=BB331_12 Depth=1
	v_clz_i32_u32_e32 v6, v66
	s_delay_alu instid0(VALU_DEP_1) | instskip(NEXT) | instid1(VALU_DEP_1)
	v_min_u32_e32 v6, 32, v6
	v_subrev_nc_u32_e32 v7, 28, v6
	s_delay_alu instid0(VALU_DEP_1) | instskip(NEXT) | instid1(VALU_DEP_1)
	v_lshlrev_b64_e32 v[8:9], v7, v[66:67]
	v_dual_sub_nc_u32 v6, 29, v6 :: v_dual_bitop2_b32 v86, 7, v8 bitop3:0x40
; %bb.358:                              ;   in Loop: Header=BB331_12 Depth=1
	s_or_b32 exec_lo, exec_lo, s22
	s_delay_alu instid0(VALU_DEP_1) | instskip(NEXT) | instid1(VALU_DEP_2)
	v_dual_lshlrev_b32 v1, 24, v1 :: v_dual_lshlrev_b32 v7, 20, v86
	v_lshl_add_u32 v6, v6, 23, 0x3c000000
	s_delay_alu instid0(VALU_DEP_2) | instskip(NEXT) | instid1(VALU_DEP_1)
	v_and_b32_e32 v1, 0x80000000, v1
	v_or3_b32 v125, v7, v1, v6
.LBB331_359:                            ;   in Loop: Header=BB331_12 Depth=1
	s_or_b32 exec_lo, exec_lo, s21
.LBB331_360:                            ;   in Loop: Header=BB331_12 Depth=1
	s_delay_alu instid0(SALU_CYCLE_1)
	s_or_b32 exec_lo, exec_lo, s20
.LBB331_361:                            ;   in Loop: Header=BB331_12 Depth=1
	s_delay_alu instid0(SALU_CYCLE_1) | instskip(NEXT) | instid1(SALU_CYCLE_1)
	s_or_b32 exec_lo, exec_lo, s19
	s_mov_b32 s19, exec_lo
	v_cmpx_lt_u32_e32 0xffffff, v0
	s_cbranch_execz .LBB331_369
; %bb.362:                              ;   in Loop: Header=BB331_12 Depth=1
	v_lshrrev_b32_e32 v1, 24, v0
	v_bfrev_b32_e32 v6, 1
	s_mov_b32 s20, exec_lo
	scratch_store_b32 off, v6, s32 offset:300 ; 4-byte Folded Spill
	s_wait_xcnt 0x0
	v_cmpx_ne_u32_e32 0x80, v1
	s_cbranch_execz .LBB331_368
; %bb.363:                              ;   in Loop: Header=BB331_12 Depth=1
	v_bfe_u32 v6, v0, 24, 7
	v_mov_b32_e32 v0, 0x7f800001
	s_mov_b32 s21, exec_lo
	s_delay_alu instid0(VALU_DEP_2)
	v_cmpx_ne_u32_e32 0x7f, v6
	s_cbranch_execz .LBB331_367
; %bb.364:                              ;   in Loop: Header=BB331_12 Depth=1
	v_dual_lshrrev_b32 v0, 3, v6 :: v_dual_bitop2_b32 v66, 7, v1 bitop3:0x40
	s_mov_b32 s22, exec_lo
	s_delay_alu instid0(VALU_DEP_1)
	v_mov_b64_e32 v[86:87], v[66:67]
	v_cmpx_gt_u32_e32 8, v6
; %bb.365:                              ;   in Loop: Header=BB331_12 Depth=1
	v_clz_i32_u32_e32 v0, v66
	s_delay_alu instid0(VALU_DEP_1) | instskip(NEXT) | instid1(VALU_DEP_1)
	v_min_u32_e32 v0, 32, v0
	v_subrev_nc_u32_e32 v6, 28, v0
	s_delay_alu instid0(VALU_DEP_1) | instskip(NEXT) | instid1(VALU_DEP_1)
	v_lshlrev_b64_e32 v[6:7], v6, v[66:67]
	v_dual_sub_nc_u32 v0, 29, v0 :: v_dual_bitop2_b32 v86, 7, v6 bitop3:0x40
; %bb.366:                              ;   in Loop: Header=BB331_12 Depth=1
	s_or_b32 exec_lo, exec_lo, s22
	s_delay_alu instid0(VALU_DEP_1) | instskip(NEXT) | instid1(VALU_DEP_2)
	v_dual_lshlrev_b32 v1, 24, v1 :: v_dual_lshlrev_b32 v6, 20, v86
	v_lshl_add_u32 v0, v0, 23, 0x3c000000
	s_delay_alu instid0(VALU_DEP_2) | instskip(NEXT) | instid1(VALU_DEP_1)
	v_and_b32_e32 v1, 0x80000000, v1
	v_or3_b32 v0, v6, v1, v0
.LBB331_367:                            ;   in Loop: Header=BB331_12 Depth=1
	s_or_b32 exec_lo, exec_lo, s21
	scratch_store_b32 off, v0, s32 offset:300 ; 4-byte Folded Spill
.LBB331_368:                            ;   in Loop: Header=BB331_12 Depth=1
	s_wait_xcnt 0x0
	s_or_b32 exec_lo, exec_lo, s20
.LBB331_369:                            ;   in Loop: Header=BB331_12 Depth=1
	s_delay_alu instid0(SALU_CYCLE_1)
	s_or_b32 exec_lo, exec_lo, s19
	flat_load_b32 v0, v[84:85] offset:1288
	v_dual_mov_b32 v127, 0 :: v_dual_mov_b32 v126, 0
	s_mov_b32 s19, exec_lo
	s_wait_loadcnt_dscnt 0x0
	v_and_b32_e32 v1, 0xff, v0
	s_wait_xcnt 0x0
	s_delay_alu instid0(VALU_DEP_1)
	v_cmpx_ne_u16_e32 0, v1
	s_cbranch_execz .LBB331_377
; %bb.370:                              ;   in Loop: Header=BB331_12 Depth=1
	v_bfrev_b32_e32 v126, 1
	s_mov_b32 s20, exec_lo
	v_cmpx_ne_u16_e32 0x80, v1
	s_cbranch_execz .LBB331_376
; %bb.371:                              ;   in Loop: Header=BB331_12 Depth=1
	v_and_b32_e32 v6, 0x7f, v0
	v_mov_b32_e32 v126, 0x7f800001
	s_mov_b32 s21, exec_lo
	s_delay_alu instid0(VALU_DEP_2)
	v_cmpx_ne_u32_e32 0x7f, v6
	s_cbranch_execz .LBB331_375
; %bb.372:                              ;   in Loop: Header=BB331_12 Depth=1
	v_dual_lshrrev_b32 v1, 3, v6 :: v_dual_bitop2_b32 v66, 7, v0 bitop3:0x40
	s_mov_b32 s22, exec_lo
	s_delay_alu instid0(VALU_DEP_1)
	v_mov_b64_e32 v[86:87], v[66:67]
	v_cmpx_gt_u32_e32 8, v6
; %bb.373:                              ;   in Loop: Header=BB331_12 Depth=1
	v_clz_i32_u32_e32 v1, v66
	s_delay_alu instid0(VALU_DEP_1) | instskip(NEXT) | instid1(VALU_DEP_1)
	v_min_u32_e32 v1, 32, v1
	v_subrev_nc_u32_e32 v6, 28, v1
	s_delay_alu instid0(VALU_DEP_1) | instskip(NEXT) | instid1(VALU_DEP_1)
	v_lshlrev_b64_e32 v[6:7], v6, v[66:67]
	v_dual_sub_nc_u32 v1, 29, v1 :: v_dual_bitop2_b32 v86, 7, v6 bitop3:0x40
; %bb.374:                              ;   in Loop: Header=BB331_12 Depth=1
	s_or_b32 exec_lo, exec_lo, s22
	s_delay_alu instid0(VALU_DEP_1) | instskip(NEXT) | instid1(VALU_DEP_2)
	v_dual_lshlrev_b32 v6, 24, v0 :: v_dual_lshlrev_b32 v7, 20, v86
	v_lshl_add_u32 v1, v1, 23, 0x3c000000
	s_delay_alu instid0(VALU_DEP_2) | instskip(NEXT) | instid1(VALU_DEP_1)
	v_and_b32_e32 v6, 0x80000000, v6
	v_or3_b32 v126, v7, v6, v1
.LBB331_375:                            ;   in Loop: Header=BB331_12 Depth=1
	s_or_b32 exec_lo, exec_lo, s21
.LBB331_376:                            ;   in Loop: Header=BB331_12 Depth=1
	s_delay_alu instid0(SALU_CYCLE_1)
	s_or_b32 exec_lo, exec_lo, s20
.LBB331_377:                            ;   in Loop: Header=BB331_12 Depth=1
	s_delay_alu instid0(SALU_CYCLE_1) | instskip(SKIP_2) | instid1(VALU_DEP_1)
	s_or_b32 exec_lo, exec_lo, s19
	v_lshrrev_b16 v1, 8, v0
	s_mov_b32 s19, exec_lo
	v_cmpx_ne_u16_e32 0, v1
	s_cbranch_execz .LBB331_385
; %bb.378:                              ;   in Loop: Header=BB331_12 Depth=1
	v_bfrev_b32_e32 v127, 1
	s_mov_b32 s20, exec_lo
	v_cmpx_ne_u16_e32 0x80, v1
	s_cbranch_execz .LBB331_384
; %bb.379:                              ;   in Loop: Header=BB331_12 Depth=1
	v_and_b32_e32 v1, 0xffff, v1
	v_mov_b32_e32 v127, 0x7f800001
	s_mov_b32 s21, exec_lo
	s_delay_alu instid0(VALU_DEP_2) | instskip(NEXT) | instid1(VALU_DEP_1)
	v_and_b32_e32 v6, 0x7f, v1
	v_cmpx_ne_u32_e32 0x7f, v6
	s_cbranch_execz .LBB331_383
; %bb.380:                              ;   in Loop: Header=BB331_12 Depth=1
	v_dual_lshrrev_b32 v1, 3, v6 :: v_dual_bitop2_b32 v66, 7, v1 bitop3:0x40
	s_mov_b32 s22, exec_lo
	s_delay_alu instid0(VALU_DEP_1)
	v_mov_b64_e32 v[86:87], v[66:67]
	v_cmpx_gt_u32_e32 8, v6
; %bb.381:                              ;   in Loop: Header=BB331_12 Depth=1
	v_clz_i32_u32_e32 v1, v66
	s_delay_alu instid0(VALU_DEP_1) | instskip(NEXT) | instid1(VALU_DEP_1)
	v_min_u32_e32 v1, 32, v1
	v_subrev_nc_u32_e32 v6, 28, v1
	s_delay_alu instid0(VALU_DEP_1) | instskip(NEXT) | instid1(VALU_DEP_1)
	v_lshlrev_b64_e32 v[6:7], v6, v[66:67]
	v_dual_sub_nc_u32 v1, 29, v1 :: v_dual_bitop2_b32 v86, 7, v6 bitop3:0x40
; %bb.382:                              ;   in Loop: Header=BB331_12 Depth=1
	s_or_b32 exec_lo, exec_lo, s22
	s_delay_alu instid0(VALU_DEP_1) | instskip(NEXT) | instid1(VALU_DEP_2)
	v_dual_lshlrev_b32 v6, 16, v0 :: v_dual_lshlrev_b32 v7, 20, v86
	v_lshl_add_u32 v1, v1, 23, 0x3c000000
	s_delay_alu instid0(VALU_DEP_2) | instskip(NEXT) | instid1(VALU_DEP_1)
	v_and_b32_e32 v6, 0x80000000, v6
	v_or3_b32 v127, v7, v6, v1
.LBB331_383:                            ;   in Loop: Header=BB331_12 Depth=1
	s_or_b32 exec_lo, exec_lo, s21
.LBB331_384:                            ;   in Loop: Header=BB331_12 Depth=1
	s_delay_alu instid0(SALU_CYCLE_1)
	s_or_b32 exec_lo, exec_lo, s20
.LBB331_385:                            ;   in Loop: Header=BB331_12 Depth=1
	s_delay_alu instid0(SALU_CYCLE_1) | instskip(SKIP_3) | instid1(VALU_DEP_2)
	s_or_b32 exec_lo, exec_lo, s19
	v_dual_lshrrev_b32 v6, 16, v0 :: v_dual_mov_b32 v98, 0
	v_mov_b32_e32 v1, 0
	s_mov_b32 s19, exec_lo
	v_and_b32_e32 v7, 0xff, v6
	s_delay_alu instid0(VALU_DEP_1)
	v_cmpx_ne_u16_e32 0, v7
	s_cbranch_execz .LBB331_393
; %bb.386:                              ;   in Loop: Header=BB331_12 Depth=1
	v_bfrev_b32_e32 v1, 1
	s_mov_b32 s20, exec_lo
	v_cmpx_ne_u16_e32 0x80, v7
	s_cbranch_execz .LBB331_392
; %bb.387:                              ;   in Loop: Header=BB331_12 Depth=1
	v_bfe_u32 v7, v0, 16, 7
	v_mov_b32_e32 v1, 0x7f800001
	s_mov_b32 s21, exec_lo
	s_delay_alu instid0(VALU_DEP_2)
	v_cmpx_ne_u32_e32 0x7f, v7
	s_cbranch_execz .LBB331_391
; %bb.388:                              ;   in Loop: Header=BB331_12 Depth=1
	v_dual_lshrrev_b32 v1, 3, v7 :: v_dual_bitop2_b32 v66, 7, v6 bitop3:0x40
	s_mov_b32 s22, exec_lo
	s_delay_alu instid0(VALU_DEP_1)
	v_mov_b64_e32 v[86:87], v[66:67]
	v_cmpx_gt_u32_e32 8, v7
; %bb.389:                              ;   in Loop: Header=BB331_12 Depth=1
	v_clz_i32_u32_e32 v1, v66
	s_delay_alu instid0(VALU_DEP_1) | instskip(NEXT) | instid1(VALU_DEP_1)
	v_min_u32_e32 v1, 32, v1
	v_subrev_nc_u32_e32 v7, 28, v1
	s_delay_alu instid0(VALU_DEP_1) | instskip(NEXT) | instid1(VALU_DEP_1)
	v_lshlrev_b64_e32 v[8:9], v7, v[66:67]
	v_dual_sub_nc_u32 v1, 29, v1 :: v_dual_bitop2_b32 v86, 7, v8 bitop3:0x40
; %bb.390:                              ;   in Loop: Header=BB331_12 Depth=1
	s_or_b32 exec_lo, exec_lo, s22
	v_lshlrev_b32_e32 v6, 24, v6
	s_delay_alu instid0(VALU_DEP_2) | instskip(NEXT) | instid1(VALU_DEP_3)
	v_lshlrev_b32_e32 v7, 20, v86
	v_lshl_add_u32 v1, v1, 23, 0x3c000000
	s_delay_alu instid0(VALU_DEP_3) | instskip(NEXT) | instid1(VALU_DEP_1)
	v_and_b32_e32 v6, 0x80000000, v6
	v_or3_b32 v1, v7, v6, v1
.LBB331_391:                            ;   in Loop: Header=BB331_12 Depth=1
	s_or_b32 exec_lo, exec_lo, s21
.LBB331_392:                            ;   in Loop: Header=BB331_12 Depth=1
	s_delay_alu instid0(SALU_CYCLE_1)
	s_or_b32 exec_lo, exec_lo, s20
.LBB331_393:                            ;   in Loop: Header=BB331_12 Depth=1
	s_delay_alu instid0(SALU_CYCLE_1) | instskip(NEXT) | instid1(SALU_CYCLE_1)
	s_or_b32 exec_lo, exec_lo, s19
	s_mov_b32 s19, exec_lo
	v_cmpx_lt_u32_e32 0xffffff, v0
	s_cbranch_execz .LBB331_401
; %bb.394:                              ;   in Loop: Header=BB331_12 Depth=1
	v_lshrrev_b32_e32 v6, 24, v0
	v_bfrev_b32_e32 v98, 1
	s_mov_b32 s20, exec_lo
	s_delay_alu instid0(VALU_DEP_2)
	v_cmpx_ne_u32_e32 0x80, v6
	s_cbranch_execz .LBB331_400
; %bb.395:                              ;   in Loop: Header=BB331_12 Depth=1
	v_bfe_u32 v7, v0, 24, 7
	v_mov_b32_e32 v98, 0x7f800001
	s_mov_b32 s21, exec_lo
	s_delay_alu instid0(VALU_DEP_2)
	v_cmpx_ne_u32_e32 0x7f, v7
	s_cbranch_execz .LBB331_399
; %bb.396:                              ;   in Loop: Header=BB331_12 Depth=1
	v_dual_lshrrev_b32 v0, 3, v7 :: v_dual_bitop2_b32 v66, 7, v6 bitop3:0x40
	s_mov_b32 s22, exec_lo
	s_delay_alu instid0(VALU_DEP_1)
	v_mov_b64_e32 v[86:87], v[66:67]
	v_cmpx_gt_u32_e32 8, v7
; %bb.397:                              ;   in Loop: Header=BB331_12 Depth=1
	v_clz_i32_u32_e32 v0, v66
	s_delay_alu instid0(VALU_DEP_1) | instskip(NEXT) | instid1(VALU_DEP_1)
	v_min_u32_e32 v0, 32, v0
	v_subrev_nc_u32_e32 v7, 28, v0
	v_sub_nc_u32_e32 v0, 29, v0
	s_delay_alu instid0(VALU_DEP_2) | instskip(NEXT) | instid1(VALU_DEP_1)
	v_lshlrev_b64_e32 v[8:9], v7, v[66:67]
	v_and_b32_e32 v86, 7, v8
; %bb.398:                              ;   in Loop: Header=BB331_12 Depth=1
	s_or_b32 exec_lo, exec_lo, s22
	v_lshlrev_b32_e32 v6, 24, v6
	s_delay_alu instid0(VALU_DEP_2) | instskip(SKIP_1) | instid1(VALU_DEP_3)
	v_lshlrev_b32_e32 v7, 20, v86
	v_lshl_add_u32 v0, v0, 23, 0x3c000000
	v_and_b32_e32 v6, 0x80000000, v6
	s_delay_alu instid0(VALU_DEP_1)
	v_or3_b32 v98, v7, v6, v0
.LBB331_399:                            ;   in Loop: Header=BB331_12 Depth=1
	s_or_b32 exec_lo, exec_lo, s21
.LBB331_400:                            ;   in Loop: Header=BB331_12 Depth=1
	s_delay_alu instid0(SALU_CYCLE_1)
	s_or_b32 exec_lo, exec_lo, s20
.LBB331_401:                            ;   in Loop: Header=BB331_12 Depth=1
	s_delay_alu instid0(SALU_CYCLE_1)
	s_or_b32 exec_lo, exec_lo, s19
	flat_load_b32 v6, v[84:85] offset:1536
	v_dual_mov_b32 v96, 0 :: v_dual_mov_b32 v0, 0
	s_mov_b32 s19, exec_lo
	s_wait_loadcnt_dscnt 0x0
	v_and_b32_e32 v7, 0xff, v6
	s_wait_xcnt 0x0
	s_delay_alu instid0(VALU_DEP_1)
	v_cmpx_ne_u16_e32 0, v7
	s_cbranch_execz .LBB331_409
; %bb.402:                              ;   in Loop: Header=BB331_12 Depth=1
	v_bfrev_b32_e32 v0, 1
	s_mov_b32 s20, exec_lo
	v_cmpx_ne_u16_e32 0x80, v7
	s_cbranch_execz .LBB331_408
; %bb.403:                              ;   in Loop: Header=BB331_12 Depth=1
	v_and_b32_e32 v7, 0x7f, v6
	v_mov_b32_e32 v0, 0x7f800001
	s_mov_b32 s21, exec_lo
	s_delay_alu instid0(VALU_DEP_2)
	v_cmpx_ne_u32_e32 0x7f, v7
	s_cbranch_execz .LBB331_407
; %bb.404:                              ;   in Loop: Header=BB331_12 Depth=1
	v_dual_lshrrev_b32 v0, 3, v7 :: v_dual_bitop2_b32 v66, 7, v6 bitop3:0x40
	s_mov_b32 s22, exec_lo
	s_delay_alu instid0(VALU_DEP_1)
	v_mov_b64_e32 v[86:87], v[66:67]
	v_cmpx_gt_u32_e32 8, v7
; %bb.405:                              ;   in Loop: Header=BB331_12 Depth=1
	v_clz_i32_u32_e32 v0, v66
	s_delay_alu instid0(VALU_DEP_1) | instskip(NEXT) | instid1(VALU_DEP_1)
	v_min_u32_e32 v0, 32, v0
	v_subrev_nc_u32_e32 v7, 28, v0
	v_sub_nc_u32_e32 v0, 29, v0
	s_delay_alu instid0(VALU_DEP_2) | instskip(NEXT) | instid1(VALU_DEP_1)
	v_lshlrev_b64_e32 v[8:9], v7, v[66:67]
	v_and_b32_e32 v86, 7, v8
; %bb.406:                              ;   in Loop: Header=BB331_12 Depth=1
	s_or_b32 exec_lo, exec_lo, s22
	v_lshlrev_b32_e32 v7, 24, v6
	s_delay_alu instid0(VALU_DEP_2) | instskip(SKIP_1) | instid1(VALU_DEP_3)
	v_lshlrev_b32_e32 v8, 20, v86
	v_lshl_add_u32 v0, v0, 23, 0x3c000000
	v_and_b32_e32 v7, 0x80000000, v7
	s_delay_alu instid0(VALU_DEP_1)
	v_or3_b32 v0, v8, v7, v0
.LBB331_407:                            ;   in Loop: Header=BB331_12 Depth=1
	s_or_b32 exec_lo, exec_lo, s21
.LBB331_408:                            ;   in Loop: Header=BB331_12 Depth=1
	s_delay_alu instid0(SALU_CYCLE_1)
	s_or_b32 exec_lo, exec_lo, s20
.LBB331_409:                            ;   in Loop: Header=BB331_12 Depth=1
	s_delay_alu instid0(SALU_CYCLE_1) | instskip(SKIP_2) | instid1(VALU_DEP_1)
	s_or_b32 exec_lo, exec_lo, s19
	v_lshrrev_b16 v7, 8, v6
	s_mov_b32 s19, exec_lo
	v_cmpx_ne_u16_e32 0, v7
	s_cbranch_execz .LBB331_417
; %bb.410:                              ;   in Loop: Header=BB331_12 Depth=1
	v_bfrev_b32_e32 v96, 1
	s_mov_b32 s20, exec_lo
	v_cmpx_ne_u16_e32 0x80, v7
	s_cbranch_execz .LBB331_416
; %bb.411:                              ;   in Loop: Header=BB331_12 Depth=1
	v_and_b32_e32 v7, 0xffff, v7
	v_mov_b32_e32 v96, 0x7f800001
	s_mov_b32 s21, exec_lo
	s_delay_alu instid0(VALU_DEP_2) | instskip(NEXT) | instid1(VALU_DEP_1)
	v_and_b32_e32 v8, 0x7f, v7
	v_cmpx_ne_u32_e32 0x7f, v8
	s_cbranch_execz .LBB331_415
; %bb.412:                              ;   in Loop: Header=BB331_12 Depth=1
	v_dual_lshrrev_b32 v7, 3, v8 :: v_dual_bitop2_b32 v66, 7, v7 bitop3:0x40
	s_mov_b32 s22, exec_lo
	s_delay_alu instid0(VALU_DEP_1)
	v_mov_b64_e32 v[86:87], v[66:67]
	v_cmpx_gt_u32_e32 8, v8
; %bb.413:                              ;   in Loop: Header=BB331_12 Depth=1
	v_clz_i32_u32_e32 v7, v66
	s_delay_alu instid0(VALU_DEP_1) | instskip(NEXT) | instid1(VALU_DEP_1)
	v_min_u32_e32 v7, 32, v7
	v_subrev_nc_u32_e32 v8, 28, v7
	s_delay_alu instid0(VALU_DEP_1) | instskip(NEXT) | instid1(VALU_DEP_1)
	v_lshlrev_b64_e32 v[8:9], v8, v[66:67]
	v_dual_sub_nc_u32 v7, 29, v7 :: v_dual_bitop2_b32 v86, 7, v8 bitop3:0x40
; %bb.414:                              ;   in Loop: Header=BB331_12 Depth=1
	s_or_b32 exec_lo, exec_lo, s22
	v_lshlrev_b32_e32 v8, 16, v6
	s_delay_alu instid0(VALU_DEP_2) | instskip(NEXT) | instid1(VALU_DEP_3)
	v_lshlrev_b32_e32 v9, 20, v86
	v_lshl_add_u32 v7, v7, 23, 0x3c000000
	s_delay_alu instid0(VALU_DEP_3) | instskip(NEXT) | instid1(VALU_DEP_1)
	v_and_b32_e32 v8, 0x80000000, v8
	v_or3_b32 v96, v9, v8, v7
.LBB331_415:                            ;   in Loop: Header=BB331_12 Depth=1
	s_or_b32 exec_lo, exec_lo, s21
.LBB331_416:                            ;   in Loop: Header=BB331_12 Depth=1
	s_delay_alu instid0(SALU_CYCLE_1)
	s_or_b32 exec_lo, exec_lo, s20
.LBB331_417:                            ;   in Loop: Header=BB331_12 Depth=1
	s_delay_alu instid0(SALU_CYCLE_1) | instskip(SKIP_3) | instid1(VALU_DEP_2)
	s_or_b32 exec_lo, exec_lo, s19
	v_dual_mov_b32 v8, 0 :: v_dual_lshrrev_b32 v7, 16, v6
	v_mov_b32_e32 v27, 0
	s_mov_b32 s19, exec_lo
	v_and_b32_e32 v9, 0xff, v7
	s_delay_alu instid0(VALU_DEP_1)
	v_cmpx_ne_u16_e32 0, v9
	s_cbranch_execz .LBB331_425
; %bb.418:                              ;   in Loop: Header=BB331_12 Depth=1
	v_bfrev_b32_e32 v27, 1
	s_mov_b32 s20, exec_lo
	v_cmpx_ne_u16_e32 0x80, v9
	s_cbranch_execz .LBB331_424
; %bb.419:                              ;   in Loop: Header=BB331_12 Depth=1
	v_bfe_u32 v10, v6, 16, 7
	v_mov_b32_e32 v27, 0x7f800001
	s_mov_b32 s21, exec_lo
	s_delay_alu instid0(VALU_DEP_2)
	v_cmpx_ne_u32_e32 0x7f, v10
	s_cbranch_execz .LBB331_423
; %bb.420:                              ;   in Loop: Header=BB331_12 Depth=1
	v_dual_lshrrev_b32 v9, 3, v10 :: v_dual_bitop2_b32 v66, 7, v7 bitop3:0x40
	s_mov_b32 s22, exec_lo
	s_delay_alu instid0(VALU_DEP_1)
	v_mov_b64_e32 v[86:87], v[66:67]
	v_cmpx_gt_u32_e32 8, v10
; %bb.421:                              ;   in Loop: Header=BB331_12 Depth=1
	v_clz_i32_u32_e32 v9, v66
	s_delay_alu instid0(VALU_DEP_1) | instskip(NEXT) | instid1(VALU_DEP_1)
	v_min_u32_e32 v9, 32, v9
	v_subrev_nc_u32_e32 v10, 28, v9
	s_delay_alu instid0(VALU_DEP_1) | instskip(NEXT) | instid1(VALU_DEP_1)
	v_lshlrev_b64_e32 v[10:11], v10, v[66:67]
	v_dual_sub_nc_u32 v9, 29, v9 :: v_dual_bitop2_b32 v86, 7, v10 bitop3:0x40
; %bb.422:                              ;   in Loop: Header=BB331_12 Depth=1
	s_or_b32 exec_lo, exec_lo, s22
	s_delay_alu instid0(VALU_DEP_1) | instskip(NEXT) | instid1(VALU_DEP_2)
	v_dual_lshlrev_b32 v7, 24, v7 :: v_dual_lshlrev_b32 v10, 20, v86
	v_lshl_add_u32 v9, v9, 23, 0x3c000000
	s_delay_alu instid0(VALU_DEP_2) | instskip(NEXT) | instid1(VALU_DEP_1)
	v_and_b32_e32 v7, 0x80000000, v7
	v_or3_b32 v27, v10, v7, v9
.LBB331_423:                            ;   in Loop: Header=BB331_12 Depth=1
	s_or_b32 exec_lo, exec_lo, s21
.LBB331_424:                            ;   in Loop: Header=BB331_12 Depth=1
	s_delay_alu instid0(SALU_CYCLE_1)
	s_or_b32 exec_lo, exec_lo, s20
.LBB331_425:                            ;   in Loop: Header=BB331_12 Depth=1
	s_delay_alu instid0(SALU_CYCLE_1) | instskip(NEXT) | instid1(SALU_CYCLE_1)
	s_or_b32 exec_lo, exec_lo, s19
	s_mov_b32 s19, exec_lo
	v_cmpx_lt_u32_e32 0xffffff, v6
	s_cbranch_execz .LBB331_433
; %bb.426:                              ;   in Loop: Header=BB331_12 Depth=1
	v_lshrrev_b32_e32 v7, 24, v6
	v_bfrev_b32_e32 v8, 1
	s_mov_b32 s20, exec_lo
	s_delay_alu instid0(VALU_DEP_2)
	v_cmpx_ne_u32_e32 0x80, v7
	s_cbranch_execz .LBB331_432
; %bb.427:                              ;   in Loop: Header=BB331_12 Depth=1
	v_bfe_u32 v9, v6, 24, 7
	v_mov_b32_e32 v8, 0x7f800001
	s_mov_b32 s21, exec_lo
	s_delay_alu instid0(VALU_DEP_2)
	v_cmpx_ne_u32_e32 0x7f, v9
	s_cbranch_execz .LBB331_431
; %bb.428:                              ;   in Loop: Header=BB331_12 Depth=1
	v_dual_lshrrev_b32 v6, 3, v9 :: v_dual_bitop2_b32 v66, 7, v7 bitop3:0x40
	s_mov_b32 s22, exec_lo
	s_delay_alu instid0(VALU_DEP_1)
	v_mov_b64_e32 v[86:87], v[66:67]
	v_cmpx_gt_u32_e32 8, v9
; %bb.429:                              ;   in Loop: Header=BB331_12 Depth=1
	v_clz_i32_u32_e32 v6, v66
	s_delay_alu instid0(VALU_DEP_1) | instskip(NEXT) | instid1(VALU_DEP_1)
	v_min_u32_e32 v6, 32, v6
	v_subrev_nc_u32_e32 v8, 28, v6
	s_delay_alu instid0(VALU_DEP_1) | instskip(NEXT) | instid1(VALU_DEP_1)
	v_lshlrev_b64_e32 v[8:9], v8, v[66:67]
	v_dual_sub_nc_u32 v6, 29, v6 :: v_dual_bitop2_b32 v86, 7, v8 bitop3:0x40
; %bb.430:                              ;   in Loop: Header=BB331_12 Depth=1
	s_or_b32 exec_lo, exec_lo, s22
	s_delay_alu instid0(VALU_DEP_1) | instskip(NEXT) | instid1(VALU_DEP_2)
	v_dual_lshlrev_b32 v7, 24, v7 :: v_dual_lshlrev_b32 v8, 20, v86
	v_lshl_add_u32 v6, v6, 23, 0x3c000000
	s_delay_alu instid0(VALU_DEP_2) | instskip(NEXT) | instid1(VALU_DEP_1)
	v_and_b32_e32 v7, 0x80000000, v7
	v_or3_b32 v8, v8, v7, v6
.LBB331_431:                            ;   in Loop: Header=BB331_12 Depth=1
	s_or_b32 exec_lo, exec_lo, s21
.LBB331_432:                            ;   in Loop: Header=BB331_12 Depth=1
	s_delay_alu instid0(SALU_CYCLE_1)
	s_or_b32 exec_lo, exec_lo, s20
.LBB331_433:                            ;   in Loop: Header=BB331_12 Depth=1
	s_delay_alu instid0(SALU_CYCLE_1)
	s_or_b32 exec_lo, exec_lo, s19
	flat_load_b32 v6, v[84:85] offset:1544
	v_dual_mov_b32 v26, 0 :: v_dual_mov_b32 v115, 0
	s_mov_b32 s19, exec_lo
	s_wait_loadcnt_dscnt 0x0
	v_and_b32_e32 v7, 0xff, v6
	s_wait_xcnt 0x0
	s_delay_alu instid0(VALU_DEP_1)
	v_cmpx_ne_u16_e32 0, v7
	s_cbranch_execz .LBB331_441
; %bb.434:                              ;   in Loop: Header=BB331_12 Depth=1
	v_bfrev_b32_e32 v115, 1
	s_mov_b32 s20, exec_lo
	v_cmpx_ne_u16_e32 0x80, v7
	s_cbranch_execz .LBB331_440
; %bb.435:                              ;   in Loop: Header=BB331_12 Depth=1
	v_and_b32_e32 v9, 0x7f, v6
	v_mov_b32_e32 v115, 0x7f800001
	s_mov_b32 s21, exec_lo
	s_delay_alu instid0(VALU_DEP_2)
	v_cmpx_ne_u32_e32 0x7f, v9
	s_cbranch_execz .LBB331_439
; %bb.436:                              ;   in Loop: Header=BB331_12 Depth=1
	v_dual_lshrrev_b32 v7, 3, v9 :: v_dual_bitop2_b32 v66, 7, v6 bitop3:0x40
	s_mov_b32 s22, exec_lo
	s_delay_alu instid0(VALU_DEP_1)
	v_mov_b64_e32 v[86:87], v[66:67]
	v_cmpx_gt_u32_e32 8, v9
; %bb.437:                              ;   in Loop: Header=BB331_12 Depth=1
	v_clz_i32_u32_e32 v7, v66
	s_delay_alu instid0(VALU_DEP_1) | instskip(NEXT) | instid1(VALU_DEP_1)
	v_min_u32_e32 v7, 32, v7
	v_subrev_nc_u32_e32 v9, 28, v7
	s_delay_alu instid0(VALU_DEP_1) | instskip(NEXT) | instid1(VALU_DEP_1)
	v_lshlrev_b64_e32 v[10:11], v9, v[66:67]
	v_dual_sub_nc_u32 v7, 29, v7 :: v_dual_bitop2_b32 v86, 7, v10 bitop3:0x40
; %bb.438:                              ;   in Loop: Header=BB331_12 Depth=1
	s_or_b32 exec_lo, exec_lo, s22
	v_lshlrev_b32_e32 v9, 24, v6
	s_delay_alu instid0(VALU_DEP_2) | instskip(NEXT) | instid1(VALU_DEP_3)
	v_lshlrev_b32_e32 v10, 20, v86
	v_lshl_add_u32 v7, v7, 23, 0x3c000000
	s_delay_alu instid0(VALU_DEP_3) | instskip(NEXT) | instid1(VALU_DEP_1)
	v_and_b32_e32 v9, 0x80000000, v9
	v_or3_b32 v115, v10, v9, v7
.LBB331_439:                            ;   in Loop: Header=BB331_12 Depth=1
	s_or_b32 exec_lo, exec_lo, s21
.LBB331_440:                            ;   in Loop: Header=BB331_12 Depth=1
	s_delay_alu instid0(SALU_CYCLE_1)
	s_or_b32 exec_lo, exec_lo, s20
.LBB331_441:                            ;   in Loop: Header=BB331_12 Depth=1
	s_delay_alu instid0(SALU_CYCLE_1) | instskip(SKIP_2) | instid1(VALU_DEP_1)
	s_or_b32 exec_lo, exec_lo, s19
	v_lshrrev_b16 v7, 8, v6
	s_mov_b32 s19, exec_lo
	v_cmpx_ne_u16_e32 0, v7
	s_cbranch_execz .LBB331_449
; %bb.442:                              ;   in Loop: Header=BB331_12 Depth=1
	v_bfrev_b32_e32 v26, 1
	s_mov_b32 s20, exec_lo
	v_cmpx_ne_u16_e32 0x80, v7
	s_cbranch_execz .LBB331_448
; %bb.443:                              ;   in Loop: Header=BB331_12 Depth=1
	v_and_b32_e32 v7, 0xffff, v7
	v_mov_b32_e32 v26, 0x7f800001
	s_mov_b32 s21, exec_lo
	s_delay_alu instid0(VALU_DEP_2) | instskip(NEXT) | instid1(VALU_DEP_1)
	v_and_b32_e32 v9, 0x7f, v7
	v_cmpx_ne_u32_e32 0x7f, v9
	s_cbranch_execz .LBB331_447
; %bb.444:                              ;   in Loop: Header=BB331_12 Depth=1
	v_dual_lshrrev_b32 v7, 3, v9 :: v_dual_bitop2_b32 v66, 7, v7 bitop3:0x40
	s_mov_b32 s22, exec_lo
	s_delay_alu instid0(VALU_DEP_1)
	v_mov_b64_e32 v[86:87], v[66:67]
	v_cmpx_gt_u32_e32 8, v9
; %bb.445:                              ;   in Loop: Header=BB331_12 Depth=1
	v_clz_i32_u32_e32 v7, v66
	s_delay_alu instid0(VALU_DEP_1) | instskip(NEXT) | instid1(VALU_DEP_1)
	v_min_u32_e32 v7, 32, v7
	v_subrev_nc_u32_e32 v9, 28, v7
	s_delay_alu instid0(VALU_DEP_1) | instskip(NEXT) | instid1(VALU_DEP_1)
	v_lshlrev_b64_e32 v[10:11], v9, v[66:67]
	v_dual_sub_nc_u32 v7, 29, v7 :: v_dual_bitop2_b32 v86, 7, v10 bitop3:0x40
; %bb.446:                              ;   in Loop: Header=BB331_12 Depth=1
	s_or_b32 exec_lo, exec_lo, s22
	v_lshlrev_b32_e32 v9, 16, v6
	s_delay_alu instid0(VALU_DEP_2) | instskip(NEXT) | instid1(VALU_DEP_3)
	v_lshlrev_b32_e32 v10, 20, v86
	v_lshl_add_u32 v7, v7, 23, 0x3c000000
	s_delay_alu instid0(VALU_DEP_3) | instskip(NEXT) | instid1(VALU_DEP_1)
	v_and_b32_e32 v9, 0x80000000, v9
	v_or3_b32 v26, v10, v9, v7
.LBB331_447:                            ;   in Loop: Header=BB331_12 Depth=1
	s_or_b32 exec_lo, exec_lo, s21
.LBB331_448:                            ;   in Loop: Header=BB331_12 Depth=1
	s_delay_alu instid0(SALU_CYCLE_1)
	s_or_b32 exec_lo, exec_lo, s20
.LBB331_449:                            ;   in Loop: Header=BB331_12 Depth=1
	s_delay_alu instid0(SALU_CYCLE_1) | instskip(SKIP_3) | instid1(VALU_DEP_2)
	s_or_b32 exec_lo, exec_lo, s19
	v_dual_mov_b32 v100, 0 :: v_dual_lshrrev_b32 v7, 16, v6
	v_mov_b32_e32 v97, 0
	s_mov_b32 s19, exec_lo
	v_and_b32_e32 v9, 0xff, v7
	s_delay_alu instid0(VALU_DEP_1)
	v_cmpx_ne_u16_e32 0, v9
	s_cbranch_execz .LBB331_457
; %bb.450:                              ;   in Loop: Header=BB331_12 Depth=1
	v_bfrev_b32_e32 v97, 1
	s_mov_b32 s20, exec_lo
	v_cmpx_ne_u16_e32 0x80, v9
	s_cbranch_execz .LBB331_456
; %bb.451:                              ;   in Loop: Header=BB331_12 Depth=1
	v_bfe_u32 v10, v6, 16, 7
	v_mov_b32_e32 v97, 0x7f800001
	s_mov_b32 s21, exec_lo
	s_delay_alu instid0(VALU_DEP_2)
	v_cmpx_ne_u32_e32 0x7f, v10
	s_cbranch_execz .LBB331_455
; %bb.452:                              ;   in Loop: Header=BB331_12 Depth=1
	v_dual_lshrrev_b32 v9, 3, v10 :: v_dual_bitop2_b32 v66, 7, v7 bitop3:0x40
	s_mov_b32 s22, exec_lo
	s_delay_alu instid0(VALU_DEP_1)
	v_mov_b64_e32 v[86:87], v[66:67]
	v_cmpx_gt_u32_e32 8, v10
; %bb.453:                              ;   in Loop: Header=BB331_12 Depth=1
	v_clz_i32_u32_e32 v9, v66
	s_delay_alu instid0(VALU_DEP_1) | instskip(NEXT) | instid1(VALU_DEP_1)
	v_min_u32_e32 v9, 32, v9
	v_subrev_nc_u32_e32 v10, 28, v9
	s_delay_alu instid0(VALU_DEP_1) | instskip(NEXT) | instid1(VALU_DEP_1)
	v_lshlrev_b64_e32 v[10:11], v10, v[66:67]
	v_dual_sub_nc_u32 v9, 29, v9 :: v_dual_bitop2_b32 v86, 7, v10 bitop3:0x40
; %bb.454:                              ;   in Loop: Header=BB331_12 Depth=1
	s_or_b32 exec_lo, exec_lo, s22
	s_delay_alu instid0(VALU_DEP_1) | instskip(NEXT) | instid1(VALU_DEP_2)
	v_dual_lshlrev_b32 v7, 24, v7 :: v_dual_lshlrev_b32 v10, 20, v86
	v_lshl_add_u32 v9, v9, 23, 0x3c000000
	s_delay_alu instid0(VALU_DEP_2) | instskip(NEXT) | instid1(VALU_DEP_1)
	v_and_b32_e32 v7, 0x80000000, v7
	v_or3_b32 v97, v10, v7, v9
.LBB331_455:                            ;   in Loop: Header=BB331_12 Depth=1
	s_or_b32 exec_lo, exec_lo, s21
.LBB331_456:                            ;   in Loop: Header=BB331_12 Depth=1
	s_delay_alu instid0(SALU_CYCLE_1)
	s_or_b32 exec_lo, exec_lo, s20
.LBB331_457:                            ;   in Loop: Header=BB331_12 Depth=1
	s_delay_alu instid0(SALU_CYCLE_1) | instskip(NEXT) | instid1(SALU_CYCLE_1)
	s_or_b32 exec_lo, exec_lo, s19
	s_mov_b32 s19, exec_lo
	v_cmpx_lt_u32_e32 0xffffff, v6
	s_cbranch_execz .LBB331_465
; %bb.458:                              ;   in Loop: Header=BB331_12 Depth=1
	v_lshrrev_b32_e32 v7, 24, v6
	v_bfrev_b32_e32 v100, 1
	s_mov_b32 s20, exec_lo
	s_delay_alu instid0(VALU_DEP_2)
	v_cmpx_ne_u32_e32 0x80, v7
	s_cbranch_execz .LBB331_464
; %bb.459:                              ;   in Loop: Header=BB331_12 Depth=1
	v_bfe_u32 v9, v6, 24, 7
	v_mov_b32_e32 v100, 0x7f800001
	s_mov_b32 s21, exec_lo
	s_delay_alu instid0(VALU_DEP_2)
	v_cmpx_ne_u32_e32 0x7f, v9
	s_cbranch_execz .LBB331_463
; %bb.460:                              ;   in Loop: Header=BB331_12 Depth=1
	v_dual_lshrrev_b32 v6, 3, v9 :: v_dual_bitop2_b32 v66, 7, v7 bitop3:0x40
	s_mov_b32 s22, exec_lo
	s_delay_alu instid0(VALU_DEP_1)
	v_mov_b64_e32 v[86:87], v[66:67]
	v_cmpx_gt_u32_e32 8, v9
; %bb.461:                              ;   in Loop: Header=BB331_12 Depth=1
	v_clz_i32_u32_e32 v6, v66
	s_delay_alu instid0(VALU_DEP_1) | instskip(NEXT) | instid1(VALU_DEP_1)
	v_min_u32_e32 v6, 32, v6
	v_subrev_nc_u32_e32 v9, 28, v6
	v_sub_nc_u32_e32 v6, 29, v6
	s_delay_alu instid0(VALU_DEP_2) | instskip(NEXT) | instid1(VALU_DEP_1)
	v_lshlrev_b64_e32 v[10:11], v9, v[66:67]
	v_and_b32_e32 v86, 7, v10
; %bb.462:                              ;   in Loop: Header=BB331_12 Depth=1
	s_or_b32 exec_lo, exec_lo, s22
	s_delay_alu instid0(VALU_DEP_1) | instskip(SKIP_1) | instid1(VALU_DEP_2)
	v_dual_lshlrev_b32 v7, 24, v7 :: v_dual_lshlrev_b32 v9, 20, v86
	v_lshl_add_u32 v6, v6, 23, 0x3c000000
	v_and_b32_e32 v7, 0x80000000, v7
	s_delay_alu instid0(VALU_DEP_1)
	v_or3_b32 v100, v9, v7, v6
.LBB331_463:                            ;   in Loop: Header=BB331_12 Depth=1
	s_or_b32 exec_lo, exec_lo, s21
.LBB331_464:                            ;   in Loop: Header=BB331_12 Depth=1
	s_delay_alu instid0(SALU_CYCLE_1)
	s_or_b32 exec_lo, exec_lo, s20
.LBB331_465:                            ;   in Loop: Header=BB331_12 Depth=1
	s_delay_alu instid0(SALU_CYCLE_1)
	s_or_b32 exec_lo, exec_lo, s19
	flat_load_b32 v9, v[84:85] offset:1792
	v_dual_mov_b32 v6, 0 :: v_dual_mov_b32 v7, 0
	s_mov_b32 s19, exec_lo
	s_wait_loadcnt_dscnt 0x0
	v_and_b32_e32 v10, 0xff, v9
	s_wait_xcnt 0x0
	s_delay_alu instid0(VALU_DEP_1)
	v_cmpx_ne_u16_e32 0, v10
	s_cbranch_execz .LBB331_473
; %bb.466:                              ;   in Loop: Header=BB331_12 Depth=1
	v_bfrev_b32_e32 v7, 1
	s_mov_b32 s20, exec_lo
	v_cmpx_ne_u16_e32 0x80, v10
	s_cbranch_execz .LBB331_472
; %bb.467:                              ;   in Loop: Header=BB331_12 Depth=1
	v_and_b32_e32 v10, 0x7f, v9
	v_mov_b32_e32 v7, 0x7f800001
	s_mov_b32 s21, exec_lo
	s_delay_alu instid0(VALU_DEP_2)
	v_cmpx_ne_u32_e32 0x7f, v10
	s_cbranch_execz .LBB331_471
; %bb.468:                              ;   in Loop: Header=BB331_12 Depth=1
	v_dual_lshrrev_b32 v7, 3, v10 :: v_dual_bitop2_b32 v66, 7, v9 bitop3:0x40
	s_mov_b32 s22, exec_lo
	s_delay_alu instid0(VALU_DEP_1)
	v_mov_b64_e32 v[86:87], v[66:67]
	v_cmpx_gt_u32_e32 8, v10
; %bb.469:                              ;   in Loop: Header=BB331_12 Depth=1
	v_clz_i32_u32_e32 v7, v66
	s_delay_alu instid0(VALU_DEP_1) | instskip(NEXT) | instid1(VALU_DEP_1)
	v_min_u32_e32 v7, 32, v7
	v_subrev_nc_u32_e32 v10, 28, v7
	s_delay_alu instid0(VALU_DEP_1) | instskip(NEXT) | instid1(VALU_DEP_1)
	v_lshlrev_b64_e32 v[10:11], v10, v[66:67]
	v_dual_sub_nc_u32 v7, 29, v7 :: v_dual_bitop2_b32 v86, 7, v10 bitop3:0x40
; %bb.470:                              ;   in Loop: Header=BB331_12 Depth=1
	s_or_b32 exec_lo, exec_lo, s22
	s_delay_alu instid0(VALU_DEP_1) | instskip(NEXT) | instid1(VALU_DEP_2)
	v_dual_lshlrev_b32 v10, 24, v9 :: v_dual_lshlrev_b32 v11, 20, v86
	v_lshl_add_u32 v7, v7, 23, 0x3c000000
	s_delay_alu instid0(VALU_DEP_2) | instskip(NEXT) | instid1(VALU_DEP_1)
	v_and_b32_e32 v10, 0x80000000, v10
	v_or3_b32 v7, v11, v10, v7
.LBB331_471:                            ;   in Loop: Header=BB331_12 Depth=1
	s_or_b32 exec_lo, exec_lo, s21
.LBB331_472:                            ;   in Loop: Header=BB331_12 Depth=1
	s_delay_alu instid0(SALU_CYCLE_1)
	s_or_b32 exec_lo, exec_lo, s20
.LBB331_473:                            ;   in Loop: Header=BB331_12 Depth=1
	s_delay_alu instid0(SALU_CYCLE_1) | instskip(SKIP_2) | instid1(VALU_DEP_1)
	s_or_b32 exec_lo, exec_lo, s19
	v_lshrrev_b16 v10, 8, v9
	s_mov_b32 s19, exec_lo
	v_cmpx_ne_u16_e32 0, v10
	s_cbranch_execz .LBB331_481
; %bb.474:                              ;   in Loop: Header=BB331_12 Depth=1
	v_bfrev_b32_e32 v6, 1
	s_mov_b32 s20, exec_lo
	v_cmpx_ne_u16_e32 0x80, v10
	s_cbranch_execz .LBB331_480
; %bb.475:                              ;   in Loop: Header=BB331_12 Depth=1
	v_and_b32_e32 v11, 0xffff, v10
	v_mov_b32_e32 v6, 0x7f800001
	s_mov_b32 s21, exec_lo
	s_delay_alu instid0(VALU_DEP_2) | instskip(NEXT) | instid1(VALU_DEP_1)
	v_and_b32_e32 v10, 0x7f, v11
	v_cmpx_ne_u32_e32 0x7f, v10
	s_cbranch_execz .LBB331_479
; %bb.476:                              ;   in Loop: Header=BB331_12 Depth=1
	v_dual_lshrrev_b32 v6, 3, v10 :: v_dual_bitop2_b32 v66, 7, v11 bitop3:0x40
	s_mov_b32 s22, exec_lo
	s_delay_alu instid0(VALU_DEP_1)
	v_mov_b64_e32 v[86:87], v[66:67]
	v_cmpx_gt_u32_e32 8, v10
; %bb.477:                              ;   in Loop: Header=BB331_12 Depth=1
	v_clz_i32_u32_e32 v6, v66
	s_delay_alu instid0(VALU_DEP_1) | instskip(NEXT) | instid1(VALU_DEP_1)
	v_min_u32_e32 v6, 32, v6
	v_subrev_nc_u32_e32 v10, 28, v6
	v_sub_nc_u32_e32 v6, 29, v6
	s_delay_alu instid0(VALU_DEP_2) | instskip(NEXT) | instid1(VALU_DEP_1)
	v_lshlrev_b64_e32 v[10:11], v10, v[66:67]
	v_and_b32_e32 v86, 7, v10
; %bb.478:                              ;   in Loop: Header=BB331_12 Depth=1
	s_or_b32 exec_lo, exec_lo, s22
	s_delay_alu instid0(VALU_DEP_1) | instskip(SKIP_1) | instid1(VALU_DEP_2)
	v_dual_lshlrev_b32 v10, 16, v9 :: v_dual_lshlrev_b32 v11, 20, v86
	v_lshl_add_u32 v6, v6, 23, 0x3c000000
	v_and_b32_e32 v10, 0x80000000, v10
	s_delay_alu instid0(VALU_DEP_1)
	v_or3_b32 v6, v11, v10, v6
.LBB331_479:                            ;   in Loop: Header=BB331_12 Depth=1
	s_or_b32 exec_lo, exec_lo, s21
.LBB331_480:                            ;   in Loop: Header=BB331_12 Depth=1
	s_delay_alu instid0(SALU_CYCLE_1)
	s_or_b32 exec_lo, exec_lo, s20
.LBB331_481:                            ;   in Loop: Header=BB331_12 Depth=1
	s_delay_alu instid0(SALU_CYCLE_1) | instskip(SKIP_3) | instid1(VALU_DEP_2)
	s_or_b32 exec_lo, exec_lo, s19
	v_dual_lshrrev_b32 v10, 16, v9 :: v_dual_mov_b32 v52, 0
	v_mov_b32_e32 v54, 0
	s_mov_b32 s19, exec_lo
	v_and_b32_e32 v11, 0xff, v10
	s_delay_alu instid0(VALU_DEP_1)
	v_cmpx_ne_u16_e32 0, v11
	s_cbranch_execz .LBB331_489
; %bb.482:                              ;   in Loop: Header=BB331_12 Depth=1
	v_bfrev_b32_e32 v54, 1
	s_mov_b32 s20, exec_lo
	v_cmpx_ne_u16_e32 0x80, v11
	s_cbranch_execz .LBB331_488
; %bb.483:                              ;   in Loop: Header=BB331_12 Depth=1
	v_bfe_u32 v16, v9, 16, 7
	v_mov_b32_e32 v54, 0x7f800001
	s_mov_b32 s21, exec_lo
	s_delay_alu instid0(VALU_DEP_2)
	v_cmpx_ne_u32_e32 0x7f, v16
	s_cbranch_execz .LBB331_487
; %bb.484:                              ;   in Loop: Header=BB331_12 Depth=1
	v_dual_lshrrev_b32 v11, 3, v16 :: v_dual_bitop2_b32 v66, 7, v10 bitop3:0x40
	s_mov_b32 s22, exec_lo
	s_delay_alu instid0(VALU_DEP_1)
	v_mov_b64_e32 v[86:87], v[66:67]
	v_cmpx_gt_u32_e32 8, v16
; %bb.485:                              ;   in Loop: Header=BB331_12 Depth=1
	v_clz_i32_u32_e32 v11, v66
	s_delay_alu instid0(VALU_DEP_1) | instskip(NEXT) | instid1(VALU_DEP_1)
	v_min_u32_e32 v11, 32, v11
	v_subrev_nc_u32_e32 v16, 28, v11
	s_delay_alu instid0(VALU_DEP_1) | instskip(NEXT) | instid1(VALU_DEP_1)
	v_lshlrev_b64_e32 v[16:17], v16, v[66:67]
	v_dual_sub_nc_u32 v11, 29, v11 :: v_dual_bitop2_b32 v86, 7, v16 bitop3:0x40
; %bb.486:                              ;   in Loop: Header=BB331_12 Depth=1
	s_or_b32 exec_lo, exec_lo, s22
	v_lshlrev_b32_e32 v10, 24, v10
	s_delay_alu instid0(VALU_DEP_2) | instskip(NEXT) | instid1(VALU_DEP_3)
	v_lshlrev_b32_e32 v16, 20, v86
	v_lshl_add_u32 v11, v11, 23, 0x3c000000
	s_delay_alu instid0(VALU_DEP_3) | instskip(NEXT) | instid1(VALU_DEP_1)
	v_and_b32_e32 v10, 0x80000000, v10
	v_or3_b32 v54, v16, v10, v11
.LBB331_487:                            ;   in Loop: Header=BB331_12 Depth=1
	s_or_b32 exec_lo, exec_lo, s21
.LBB331_488:                            ;   in Loop: Header=BB331_12 Depth=1
	s_delay_alu instid0(SALU_CYCLE_1)
	s_or_b32 exec_lo, exec_lo, s20
.LBB331_489:                            ;   in Loop: Header=BB331_12 Depth=1
	s_delay_alu instid0(SALU_CYCLE_1) | instskip(NEXT) | instid1(SALU_CYCLE_1)
	s_or_b32 exec_lo, exec_lo, s19
	s_mov_b32 s19, exec_lo
	v_cmpx_lt_u32_e32 0xffffff, v9
	s_cbranch_execz .LBB331_497
; %bb.490:                              ;   in Loop: Header=BB331_12 Depth=1
	v_lshrrev_b32_e32 v10, 24, v9
	v_bfrev_b32_e32 v52, 1
	s_mov_b32 s20, exec_lo
	s_delay_alu instid0(VALU_DEP_2)
	v_cmpx_ne_u32_e32 0x80, v10
	s_cbranch_execz .LBB331_496
; %bb.491:                              ;   in Loop: Header=BB331_12 Depth=1
	v_bfe_u32 v11, v9, 24, 7
	v_mov_b32_e32 v52, 0x7f800001
	s_mov_b32 s21, exec_lo
	s_delay_alu instid0(VALU_DEP_2)
	v_cmpx_ne_u32_e32 0x7f, v11
	s_cbranch_execz .LBB331_495
; %bb.492:                              ;   in Loop: Header=BB331_12 Depth=1
	v_dual_lshrrev_b32 v9, 3, v11 :: v_dual_bitop2_b32 v66, 7, v10 bitop3:0x40
	s_mov_b32 s22, exec_lo
	s_delay_alu instid0(VALU_DEP_1)
	v_mov_b64_e32 v[86:87], v[66:67]
	v_cmpx_gt_u32_e32 8, v11
; %bb.493:                              ;   in Loop: Header=BB331_12 Depth=1
	v_clz_i32_u32_e32 v9, v66
	s_delay_alu instid0(VALU_DEP_1) | instskip(NEXT) | instid1(VALU_DEP_1)
	v_min_u32_e32 v9, 32, v9
	v_subrev_nc_u32_e32 v11, 28, v9
	s_delay_alu instid0(VALU_DEP_1) | instskip(NEXT) | instid1(VALU_DEP_1)
	v_lshlrev_b64_e32 v[16:17], v11, v[66:67]
	v_dual_sub_nc_u32 v9, 29, v9 :: v_dual_bitop2_b32 v86, 7, v16 bitop3:0x40
; %bb.494:                              ;   in Loop: Header=BB331_12 Depth=1
	s_or_b32 exec_lo, exec_lo, s22
	v_lshlrev_b32_e32 v10, 24, v10
	s_delay_alu instid0(VALU_DEP_2) | instskip(NEXT) | instid1(VALU_DEP_3)
	v_lshlrev_b32_e32 v11, 20, v86
	v_lshl_add_u32 v9, v9, 23, 0x3c000000
	s_delay_alu instid0(VALU_DEP_3) | instskip(NEXT) | instid1(VALU_DEP_1)
	v_and_b32_e32 v10, 0x80000000, v10
	v_or3_b32 v52, v11, v10, v9
.LBB331_495:                            ;   in Loop: Header=BB331_12 Depth=1
	s_or_b32 exec_lo, exec_lo, s21
.LBB331_496:                            ;   in Loop: Header=BB331_12 Depth=1
	s_delay_alu instid0(SALU_CYCLE_1)
	s_or_b32 exec_lo, exec_lo, s20
.LBB331_497:                            ;   in Loop: Header=BB331_12 Depth=1
	s_delay_alu instid0(SALU_CYCLE_1)
	s_or_b32 exec_lo, exec_lo, s19
	flat_load_b32 v9, v[84:85] offset:1800
	v_dual_mov_b32 v10, 0 :: v_dual_mov_b32 v55, 0
	s_mov_b32 s19, exec_lo
	s_wait_loadcnt_dscnt 0x0
	v_and_b32_e32 v11, 0xff, v9
	s_wait_xcnt 0x0
	s_delay_alu instid0(VALU_DEP_1)
	v_cmpx_ne_u16_e32 0, v11
	s_cbranch_execz .LBB331_505
; %bb.498:                              ;   in Loop: Header=BB331_12 Depth=1
	v_bfrev_b32_e32 v55, 1
	s_mov_b32 s20, exec_lo
	v_cmpx_ne_u16_e32 0x80, v11
	s_cbranch_execz .LBB331_504
; %bb.499:                              ;   in Loop: Header=BB331_12 Depth=1
	v_and_b32_e32 v16, 0x7f, v9
	v_mov_b32_e32 v55, 0x7f800001
	s_mov_b32 s21, exec_lo
	s_delay_alu instid0(VALU_DEP_2)
	v_cmpx_ne_u32_e32 0x7f, v16
	s_cbranch_execz .LBB331_503
; %bb.500:                              ;   in Loop: Header=BB331_12 Depth=1
	v_dual_lshrrev_b32 v11, 3, v16 :: v_dual_bitop2_b32 v66, 7, v9 bitop3:0x40
	s_mov_b32 s22, exec_lo
	s_delay_alu instid0(VALU_DEP_1)
	v_mov_b64_e32 v[86:87], v[66:67]
	v_cmpx_gt_u32_e32 8, v16
; %bb.501:                              ;   in Loop: Header=BB331_12 Depth=1
	v_clz_i32_u32_e32 v11, v66
	s_delay_alu instid0(VALU_DEP_1) | instskip(NEXT) | instid1(VALU_DEP_1)
	v_min_u32_e32 v11, 32, v11
	v_subrev_nc_u32_e32 v16, 28, v11
	s_delay_alu instid0(VALU_DEP_1) | instskip(NEXT) | instid1(VALU_DEP_1)
	v_lshlrev_b64_e32 v[16:17], v16, v[66:67]
	v_dual_sub_nc_u32 v11, 29, v11 :: v_dual_bitop2_b32 v86, 7, v16 bitop3:0x40
; %bb.502:                              ;   in Loop: Header=BB331_12 Depth=1
	s_or_b32 exec_lo, exec_lo, s22
	s_delay_alu instid0(VALU_DEP_1) | instskip(NEXT) | instid1(VALU_DEP_2)
	v_dual_lshlrev_b32 v16, 24, v9 :: v_dual_lshlrev_b32 v17, 20, v86
	v_lshl_add_u32 v11, v11, 23, 0x3c000000
	s_delay_alu instid0(VALU_DEP_2) | instskip(NEXT) | instid1(VALU_DEP_1)
	v_and_b32_e32 v16, 0x80000000, v16
	v_or3_b32 v55, v17, v16, v11
.LBB331_503:                            ;   in Loop: Header=BB331_12 Depth=1
	s_or_b32 exec_lo, exec_lo, s21
.LBB331_504:                            ;   in Loop: Header=BB331_12 Depth=1
	s_delay_alu instid0(SALU_CYCLE_1)
	s_or_b32 exec_lo, exec_lo, s20
.LBB331_505:                            ;   in Loop: Header=BB331_12 Depth=1
	s_delay_alu instid0(SALU_CYCLE_1) | instskip(SKIP_2) | instid1(VALU_DEP_1)
	s_or_b32 exec_lo, exec_lo, s19
	v_lshrrev_b16 v11, 8, v9
	s_mov_b32 s19, exec_lo
	v_cmpx_ne_u16_e32 0, v11
	s_cbranch_execz .LBB331_513
; %bb.506:                              ;   in Loop: Header=BB331_12 Depth=1
	v_bfrev_b32_e32 v10, 1
	s_mov_b32 s20, exec_lo
	v_cmpx_ne_u16_e32 0x80, v11
	s_cbranch_execz .LBB331_512
; %bb.507:                              ;   in Loop: Header=BB331_12 Depth=1
	v_and_b32_e32 v16, 0xffff, v11
	v_mov_b32_e32 v10, 0x7f800001
	s_mov_b32 s21, exec_lo
	s_delay_alu instid0(VALU_DEP_2) | instskip(NEXT) | instid1(VALU_DEP_1)
	v_and_b32_e32 v11, 0x7f, v16
	v_cmpx_ne_u32_e32 0x7f, v11
	s_cbranch_execz .LBB331_511
; %bb.508:                              ;   in Loop: Header=BB331_12 Depth=1
	v_dual_lshrrev_b32 v10, 3, v11 :: v_dual_bitop2_b32 v66, 7, v16 bitop3:0x40
	s_mov_b32 s22, exec_lo
	s_delay_alu instid0(VALU_DEP_1)
	v_mov_b64_e32 v[86:87], v[66:67]
	v_cmpx_gt_u32_e32 8, v11
; %bb.509:                              ;   in Loop: Header=BB331_12 Depth=1
	v_clz_i32_u32_e32 v10, v66
	s_delay_alu instid0(VALU_DEP_1) | instskip(NEXT) | instid1(VALU_DEP_1)
	v_min_u32_e32 v10, 32, v10
	v_subrev_nc_u32_e32 v11, 28, v10
	s_delay_alu instid0(VALU_DEP_1) | instskip(NEXT) | instid1(VALU_DEP_1)
	v_lshlrev_b64_e32 v[16:17], v11, v[66:67]
	v_dual_sub_nc_u32 v10, 29, v10 :: v_dual_bitop2_b32 v86, 7, v16 bitop3:0x40
; %bb.510:                              ;   in Loop: Header=BB331_12 Depth=1
	s_or_b32 exec_lo, exec_lo, s22
	s_delay_alu instid0(VALU_DEP_1) | instskip(NEXT) | instid1(VALU_DEP_2)
	v_dual_lshlrev_b32 v11, 16, v9 :: v_dual_lshlrev_b32 v16, 20, v86
	v_lshl_add_u32 v10, v10, 23, 0x3c000000
	s_delay_alu instid0(VALU_DEP_2) | instskip(NEXT) | instid1(VALU_DEP_1)
	v_and_b32_e32 v11, 0x80000000, v11
	v_or3_b32 v10, v16, v11, v10
.LBB331_511:                            ;   in Loop: Header=BB331_12 Depth=1
	s_or_b32 exec_lo, exec_lo, s21
.LBB331_512:                            ;   in Loop: Header=BB331_12 Depth=1
	s_delay_alu instid0(SALU_CYCLE_1)
	s_or_b32 exec_lo, exec_lo, s20
.LBB331_513:                            ;   in Loop: Header=BB331_12 Depth=1
	s_delay_alu instid0(SALU_CYCLE_1) | instskip(SKIP_3) | instid1(VALU_DEP_2)
	s_or_b32 exec_lo, exec_lo, s19
	v_dual_mov_b32 v11, 0 :: v_dual_lshrrev_b32 v16, 16, v9
	v_mov_b32_e32 v64, 0
	s_mov_b32 s19, exec_lo
	v_and_b32_e32 v17, 0xff, v16
	s_delay_alu instid0(VALU_DEP_1)
	v_cmpx_ne_u16_e32 0, v17
	s_cbranch_execz .LBB331_521
; %bb.514:                              ;   in Loop: Header=BB331_12 Depth=1
	v_bfrev_b32_e32 v64, 1
	s_mov_b32 s20, exec_lo
	v_cmpx_ne_u16_e32 0x80, v17
	s_cbranch_execz .LBB331_520
; %bb.515:                              ;   in Loop: Header=BB331_12 Depth=1
	v_bfe_u32 v18, v9, 16, 7
	v_mov_b32_e32 v64, 0x7f800001
	s_mov_b32 s21, exec_lo
	s_delay_alu instid0(VALU_DEP_2)
	v_cmpx_ne_u32_e32 0x7f, v18
	s_cbranch_execz .LBB331_519
; %bb.516:                              ;   in Loop: Header=BB331_12 Depth=1
	v_dual_lshrrev_b32 v17, 3, v18 :: v_dual_bitop2_b32 v66, 7, v16 bitop3:0x40
	s_mov_b32 s22, exec_lo
	s_delay_alu instid0(VALU_DEP_1)
	v_mov_b64_e32 v[86:87], v[66:67]
	v_cmpx_gt_u32_e32 8, v18
; %bb.517:                              ;   in Loop: Header=BB331_12 Depth=1
	v_clz_i32_u32_e32 v17, v66
	s_delay_alu instid0(VALU_DEP_1) | instskip(NEXT) | instid1(VALU_DEP_1)
	v_min_u32_e32 v17, 32, v17
	v_subrev_nc_u32_e32 v18, 28, v17
	s_delay_alu instid0(VALU_DEP_1) | instskip(NEXT) | instid1(VALU_DEP_1)
	v_lshlrev_b64_e32 v[18:19], v18, v[66:67]
	v_dual_sub_nc_u32 v17, 29, v17 :: v_dual_bitop2_b32 v86, 7, v18 bitop3:0x40
; %bb.518:                              ;   in Loop: Header=BB331_12 Depth=1
	s_or_b32 exec_lo, exec_lo, s22
	s_delay_alu instid0(VALU_DEP_1) | instskip(NEXT) | instid1(VALU_DEP_2)
	v_dual_lshlrev_b32 v16, 24, v16 :: v_dual_lshlrev_b32 v18, 20, v86
	v_lshl_add_u32 v17, v17, 23, 0x3c000000
	s_delay_alu instid0(VALU_DEP_2) | instskip(NEXT) | instid1(VALU_DEP_1)
	v_and_b32_e32 v16, 0x80000000, v16
	v_or3_b32 v64, v18, v16, v17
.LBB331_519:                            ;   in Loop: Header=BB331_12 Depth=1
	s_or_b32 exec_lo, exec_lo, s21
.LBB331_520:                            ;   in Loop: Header=BB331_12 Depth=1
	s_delay_alu instid0(SALU_CYCLE_1)
	s_or_b32 exec_lo, exec_lo, s20
.LBB331_521:                            ;   in Loop: Header=BB331_12 Depth=1
	s_delay_alu instid0(SALU_CYCLE_1) | instskip(NEXT) | instid1(SALU_CYCLE_1)
	s_or_b32 exec_lo, exec_lo, s19
	s_mov_b32 s19, exec_lo
	v_cmpx_lt_u32_e32 0xffffff, v9
	s_cbranch_execz .LBB331_529
; %bb.522:                              ;   in Loop: Header=BB331_12 Depth=1
	v_lshrrev_b32_e32 v16, 24, v9
	v_bfrev_b32_e32 v11, 1
	s_mov_b32 s20, exec_lo
	s_delay_alu instid0(VALU_DEP_2)
	v_cmpx_ne_u32_e32 0x80, v16
	s_cbranch_execz .LBB331_528
; %bb.523:                              ;   in Loop: Header=BB331_12 Depth=1
	v_bfe_u32 v17, v9, 24, 7
	v_mov_b32_e32 v11, 0x7f800001
	s_mov_b32 s21, exec_lo
	s_delay_alu instid0(VALU_DEP_2)
	v_cmpx_ne_u32_e32 0x7f, v17
	s_cbranch_execz .LBB331_527
; %bb.524:                              ;   in Loop: Header=BB331_12 Depth=1
	v_dual_lshrrev_b32 v9, 3, v17 :: v_dual_bitop2_b32 v66, 7, v16 bitop3:0x40
	s_mov_b32 s22, exec_lo
	s_delay_alu instid0(VALU_DEP_1)
	v_mov_b64_e32 v[86:87], v[66:67]
	v_cmpx_gt_u32_e32 8, v17
; %bb.525:                              ;   in Loop: Header=BB331_12 Depth=1
	v_clz_i32_u32_e32 v9, v66
	s_delay_alu instid0(VALU_DEP_1) | instskip(NEXT) | instid1(VALU_DEP_1)
	v_min_u32_e32 v9, 32, v9
	v_subrev_nc_u32_e32 v11, 28, v9
	s_delay_alu instid0(VALU_DEP_1) | instskip(NEXT) | instid1(VALU_DEP_1)
	v_lshlrev_b64_e32 v[18:19], v11, v[66:67]
	v_dual_sub_nc_u32 v9, 29, v9 :: v_dual_bitop2_b32 v86, 7, v18 bitop3:0x40
; %bb.526:                              ;   in Loop: Header=BB331_12 Depth=1
	s_or_b32 exec_lo, exec_lo, s22
	s_delay_alu instid0(VALU_DEP_1) | instskip(NEXT) | instid1(VALU_DEP_2)
	v_dual_lshlrev_b32 v11, 24, v16 :: v_dual_lshlrev_b32 v16, 20, v86
	v_lshl_add_u32 v9, v9, 23, 0x3c000000
	s_delay_alu instid0(VALU_DEP_2) | instskip(NEXT) | instid1(VALU_DEP_1)
	v_and_b32_e32 v11, 0x80000000, v11
	v_or3_b32 v11, v16, v11, v9
.LBB331_527:                            ;   in Loop: Header=BB331_12 Depth=1
	s_or_b32 exec_lo, exec_lo, s21
.LBB331_528:                            ;   in Loop: Header=BB331_12 Depth=1
	s_delay_alu instid0(SALU_CYCLE_1)
	s_or_b32 exec_lo, exec_lo, s20
.LBB331_529:                            ;   in Loop: Header=BB331_12 Depth=1
	s_delay_alu instid0(SALU_CYCLE_1)
	s_or_b32 exec_lo, exec_lo, s19
	flat_load_b32 v9, v[84:85] offset:2048
	v_dual_mov_b32 v22, 0 :: v_dual_mov_b32 v18, 0
	s_mov_b32 s19, exec_lo
	s_wait_loadcnt_dscnt 0x0
	v_and_b32_e32 v16, 0xff, v9
	s_wait_xcnt 0x0
	s_delay_alu instid0(VALU_DEP_1)
	v_cmpx_ne_u16_e32 0, v16
	s_cbranch_execz .LBB331_537
; %bb.530:                              ;   in Loop: Header=BB331_12 Depth=1
	v_bfrev_b32_e32 v18, 1
	s_mov_b32 s20, exec_lo
	v_cmpx_ne_u16_e32 0x80, v16
	s_cbranch_execz .LBB331_536
; %bb.531:                              ;   in Loop: Header=BB331_12 Depth=1
	v_and_b32_e32 v17, 0x7f, v9
	v_mov_b32_e32 v18, 0x7f800001
	s_mov_b32 s21, exec_lo
	s_delay_alu instid0(VALU_DEP_2)
	v_cmpx_ne_u32_e32 0x7f, v17
	s_cbranch_execz .LBB331_535
; %bb.532:                              ;   in Loop: Header=BB331_12 Depth=1
	v_and_b32_e32 v66, 7, v9
	v_lshrrev_b32_e32 v16, 3, v17
	s_mov_b32 s22, exec_lo
	s_delay_alu instid0(VALU_DEP_2)
	v_mov_b64_e32 v[86:87], v[66:67]
	v_cmpx_gt_u32_e32 8, v17
; %bb.533:                              ;   in Loop: Header=BB331_12 Depth=1
	v_clz_i32_u32_e32 v16, v66
	s_delay_alu instid0(VALU_DEP_1) | instskip(NEXT) | instid1(VALU_DEP_1)
	v_min_u32_e32 v16, 32, v16
	v_subrev_nc_u32_e32 v17, 28, v16
	s_delay_alu instid0(VALU_DEP_1) | instskip(NEXT) | instid1(VALU_DEP_1)
	v_lshlrev_b64_e32 v[18:19], v17, v[66:67]
	v_dual_sub_nc_u32 v16, 29, v16 :: v_dual_bitop2_b32 v86, 7, v18 bitop3:0x40
; %bb.534:                              ;   in Loop: Header=BB331_12 Depth=1
	s_or_b32 exec_lo, exec_lo, s22
	s_delay_alu instid0(VALU_DEP_1) | instskip(NEXT) | instid1(VALU_DEP_2)
	v_dual_lshlrev_b32 v17, 24, v9 :: v_dual_lshlrev_b32 v18, 20, v86
	v_lshl_add_u32 v16, v16, 23, 0x3c000000
	s_delay_alu instid0(VALU_DEP_2) | instskip(NEXT) | instid1(VALU_DEP_1)
	v_and_b32_e32 v17, 0x80000000, v17
	v_or3_b32 v18, v18, v17, v16
.LBB331_535:                            ;   in Loop: Header=BB331_12 Depth=1
	s_or_b32 exec_lo, exec_lo, s21
.LBB331_536:                            ;   in Loop: Header=BB331_12 Depth=1
	s_delay_alu instid0(SALU_CYCLE_1)
	s_or_b32 exec_lo, exec_lo, s20
.LBB331_537:                            ;   in Loop: Header=BB331_12 Depth=1
	s_delay_alu instid0(SALU_CYCLE_1) | instskip(SKIP_2) | instid1(VALU_DEP_1)
	s_or_b32 exec_lo, exec_lo, s19
	v_lshrrev_b16 v16, 8, v9
	s_mov_b32 s19, exec_lo
	v_cmpx_ne_u16_e32 0, v16
	s_cbranch_execz .LBB331_545
; %bb.538:                              ;   in Loop: Header=BB331_12 Depth=1
	v_bfrev_b32_e32 v22, 1
	s_mov_b32 s20, exec_lo
	v_cmpx_ne_u16_e32 0x80, v16
	s_cbranch_execz .LBB331_544
; %bb.539:                              ;   in Loop: Header=BB331_12 Depth=1
	v_and_b32_e32 v16, 0xffff, v16
	v_mov_b32_e32 v22, 0x7f800001
	s_mov_b32 s21, exec_lo
	s_delay_alu instid0(VALU_DEP_2) | instskip(NEXT) | instid1(VALU_DEP_1)
	v_and_b32_e32 v17, 0x7f, v16
	v_cmpx_ne_u32_e32 0x7f, v17
	s_cbranch_execz .LBB331_543
; %bb.540:                              ;   in Loop: Header=BB331_12 Depth=1
	v_dual_lshrrev_b32 v16, 3, v17 :: v_dual_bitop2_b32 v66, 7, v16 bitop3:0x40
	s_mov_b32 s22, exec_lo
	s_delay_alu instid0(VALU_DEP_1)
	v_mov_b64_e32 v[86:87], v[66:67]
	v_cmpx_gt_u32_e32 8, v17
; %bb.541:                              ;   in Loop: Header=BB331_12 Depth=1
	v_clz_i32_u32_e32 v16, v66
	s_delay_alu instid0(VALU_DEP_1) | instskip(NEXT) | instid1(VALU_DEP_1)
	v_min_u32_e32 v16, 32, v16
	v_subrev_nc_u32_e32 v17, 28, v16
	v_sub_nc_u32_e32 v16, 29, v16
	s_delay_alu instid0(VALU_DEP_2) | instskip(NEXT) | instid1(VALU_DEP_1)
	v_lshlrev_b64_e32 v[20:21], v17, v[66:67]
	v_and_b32_e32 v86, 7, v20
; %bb.542:                              ;   in Loop: Header=BB331_12 Depth=1
	s_or_b32 exec_lo, exec_lo, s22
	s_delay_alu instid0(VALU_DEP_1) | instskip(SKIP_1) | instid1(VALU_DEP_2)
	v_dual_lshlrev_b32 v17, 16, v9 :: v_dual_lshlrev_b32 v19, 20, v86
	v_lshl_add_u32 v16, v16, 23, 0x3c000000
	v_and_b32_e32 v17, 0x80000000, v17
	s_delay_alu instid0(VALU_DEP_1)
	v_or3_b32 v22, v19, v17, v16
.LBB331_543:                            ;   in Loop: Header=BB331_12 Depth=1
	s_or_b32 exec_lo, exec_lo, s21
.LBB331_544:                            ;   in Loop: Header=BB331_12 Depth=1
	s_delay_alu instid0(SALU_CYCLE_1)
	s_or_b32 exec_lo, exec_lo, s20
.LBB331_545:                            ;   in Loop: Header=BB331_12 Depth=1
	s_delay_alu instid0(SALU_CYCLE_1) | instskip(SKIP_3) | instid1(VALU_DEP_2)
	s_or_b32 exec_lo, exec_lo, s19
	v_dual_mov_b32 v65, 0 :: v_dual_lshrrev_b32 v16, 16, v9
	v_mov_b32_e32 v23, 0
	s_mov_b32 s19, exec_lo
	v_and_b32_e32 v17, 0xff, v16
	s_delay_alu instid0(VALU_DEP_1)
	v_cmpx_ne_u16_e32 0, v17
	s_cbranch_execz .LBB331_553
; %bb.546:                              ;   in Loop: Header=BB331_12 Depth=1
	v_bfrev_b32_e32 v23, 1
	s_mov_b32 s20, exec_lo
	v_cmpx_ne_u16_e32 0x80, v17
	s_cbranch_execz .LBB331_552
; %bb.547:                              ;   in Loop: Header=BB331_12 Depth=1
	v_bfe_u32 v19, v9, 16, 7
	v_mov_b32_e32 v23, 0x7f800001
	s_mov_b32 s21, exec_lo
	s_delay_alu instid0(VALU_DEP_2)
	v_cmpx_ne_u32_e32 0x7f, v19
	s_cbranch_execz .LBB331_551
; %bb.548:                              ;   in Loop: Header=BB331_12 Depth=1
	v_dual_lshrrev_b32 v17, 3, v19 :: v_dual_bitop2_b32 v66, 7, v16 bitop3:0x40
	s_mov_b32 s22, exec_lo
	s_delay_alu instid0(VALU_DEP_1)
	v_mov_b64_e32 v[86:87], v[66:67]
	v_cmpx_gt_u32_e32 8, v19
; %bb.549:                              ;   in Loop: Header=BB331_12 Depth=1
	v_clz_i32_u32_e32 v17, v66
	s_delay_alu instid0(VALU_DEP_1) | instskip(NEXT) | instid1(VALU_DEP_1)
	v_min_u32_e32 v17, 32, v17
	v_subrev_nc_u32_e32 v19, 28, v17
	s_delay_alu instid0(VALU_DEP_1) | instskip(NEXT) | instid1(VALU_DEP_1)
	v_lshlrev_b64_e32 v[20:21], v19, v[66:67]
	v_dual_sub_nc_u32 v17, 29, v17 :: v_dual_bitop2_b32 v86, 7, v20 bitop3:0x40
; %bb.550:                              ;   in Loop: Header=BB331_12 Depth=1
	s_or_b32 exec_lo, exec_lo, s22
	s_delay_alu instid0(VALU_DEP_1) | instskip(NEXT) | instid1(VALU_DEP_2)
	v_dual_lshlrev_b32 v16, 24, v16 :: v_dual_lshlrev_b32 v19, 20, v86
	v_lshl_add_u32 v17, v17, 23, 0x3c000000
	s_delay_alu instid0(VALU_DEP_2) | instskip(NEXT) | instid1(VALU_DEP_1)
	v_and_b32_e32 v16, 0x80000000, v16
	v_or3_b32 v23, v19, v16, v17
.LBB331_551:                            ;   in Loop: Header=BB331_12 Depth=1
	s_or_b32 exec_lo, exec_lo, s21
.LBB331_552:                            ;   in Loop: Header=BB331_12 Depth=1
	s_delay_alu instid0(SALU_CYCLE_1)
	s_or_b32 exec_lo, exec_lo, s20
.LBB331_553:                            ;   in Loop: Header=BB331_12 Depth=1
	s_delay_alu instid0(SALU_CYCLE_1) | instskip(NEXT) | instid1(SALU_CYCLE_1)
	s_or_b32 exec_lo, exec_lo, s19
	s_mov_b32 s19, exec_lo
	v_cmpx_lt_u32_e32 0xffffff, v9
	s_cbranch_execz .LBB331_561
; %bb.554:                              ;   in Loop: Header=BB331_12 Depth=1
	v_lshrrev_b32_e32 v16, 24, v9
	v_bfrev_b32_e32 v65, 1
	s_mov_b32 s20, exec_lo
	s_delay_alu instid0(VALU_DEP_2)
	v_cmpx_ne_u32_e32 0x80, v16
	s_cbranch_execz .LBB331_560
; %bb.555:                              ;   in Loop: Header=BB331_12 Depth=1
	v_bfe_u32 v17, v9, 24, 7
	v_mov_b32_e32 v65, 0x7f800001
	s_mov_b32 s21, exec_lo
	s_delay_alu instid0(VALU_DEP_2)
	v_cmpx_ne_u32_e32 0x7f, v17
	s_cbranch_execz .LBB331_559
; %bb.556:                              ;   in Loop: Header=BB331_12 Depth=1
	v_dual_lshrrev_b32 v9, 3, v17 :: v_dual_bitop2_b32 v66, 7, v16 bitop3:0x40
	s_mov_b32 s22, exec_lo
	s_delay_alu instid0(VALU_DEP_1)
	v_mov_b64_e32 v[86:87], v[66:67]
	v_cmpx_gt_u32_e32 8, v17
; %bb.557:                              ;   in Loop: Header=BB331_12 Depth=1
	v_clz_i32_u32_e32 v9, v66
	s_delay_alu instid0(VALU_DEP_1) | instskip(NEXT) | instid1(VALU_DEP_1)
	v_min_u32_e32 v9, 32, v9
	v_subrev_nc_u32_e32 v17, 28, v9
	s_delay_alu instid0(VALU_DEP_1) | instskip(NEXT) | instid1(VALU_DEP_1)
	v_lshlrev_b64_e32 v[20:21], v17, v[66:67]
	v_dual_sub_nc_u32 v9, 29, v9 :: v_dual_bitop2_b32 v86, 7, v20 bitop3:0x40
; %bb.558:                              ;   in Loop: Header=BB331_12 Depth=1
	s_or_b32 exec_lo, exec_lo, s22
	s_delay_alu instid0(VALU_DEP_1) | instskip(NEXT) | instid1(VALU_DEP_2)
	v_dual_lshlrev_b32 v16, 24, v16 :: v_dual_lshlrev_b32 v17, 20, v86
	v_lshl_add_u32 v9, v9, 23, 0x3c000000
	s_delay_alu instid0(VALU_DEP_2) | instskip(NEXT) | instid1(VALU_DEP_1)
	v_and_b32_e32 v16, 0x80000000, v16
	v_or3_b32 v65, v17, v16, v9
.LBB331_559:                            ;   in Loop: Header=BB331_12 Depth=1
	s_or_b32 exec_lo, exec_lo, s21
.LBB331_560:                            ;   in Loop: Header=BB331_12 Depth=1
	s_delay_alu instid0(SALU_CYCLE_1)
	s_or_b32 exec_lo, exec_lo, s20
.LBB331_561:                            ;   in Loop: Header=BB331_12 Depth=1
	s_delay_alu instid0(SALU_CYCLE_1)
	s_or_b32 exec_lo, exec_lo, s19
	flat_load_b32 v9, v[84:85] offset:2056
	v_dual_mov_b32 v118, 0 :: v_dual_mov_b32 v112, 0
	s_mov_b32 s19, exec_lo
	s_wait_loadcnt_dscnt 0x0
	v_and_b32_e32 v16, 0xff, v9
	s_wait_xcnt 0x0
	s_delay_alu instid0(VALU_DEP_1)
	v_cmpx_ne_u16_e32 0, v16
	s_cbranch_execz .LBB331_569
; %bb.562:                              ;   in Loop: Header=BB331_12 Depth=1
	v_bfrev_b32_e32 v112, 1
	s_mov_b32 s20, exec_lo
	v_cmpx_ne_u16_e32 0x80, v16
	s_cbranch_execz .LBB331_568
; %bb.563:                              ;   in Loop: Header=BB331_12 Depth=1
	v_and_b32_e32 v17, 0x7f, v9
	v_mov_b32_e32 v112, 0x7f800001
	s_mov_b32 s21, exec_lo
	s_delay_alu instid0(VALU_DEP_2)
	v_cmpx_ne_u32_e32 0x7f, v17
	s_cbranch_execz .LBB331_567
; %bb.564:                              ;   in Loop: Header=BB331_12 Depth=1
	v_and_b32_e32 v66, 7, v9
	v_lshrrev_b32_e32 v16, 3, v17
	s_mov_b32 s22, exec_lo
	s_delay_alu instid0(VALU_DEP_2)
	v_mov_b64_e32 v[86:87], v[66:67]
	v_cmpx_gt_u32_e32 8, v17
; %bb.565:                              ;   in Loop: Header=BB331_12 Depth=1
	v_clz_i32_u32_e32 v16, v66
	s_delay_alu instid0(VALU_DEP_1) | instskip(NEXT) | instid1(VALU_DEP_1)
	v_min_u32_e32 v16, 32, v16
	v_subrev_nc_u32_e32 v17, 28, v16
	v_sub_nc_u32_e32 v16, 29, v16
	s_delay_alu instid0(VALU_DEP_2) | instskip(NEXT) | instid1(VALU_DEP_1)
	v_lshlrev_b64_e32 v[20:21], v17, v[66:67]
	v_and_b32_e32 v86, 7, v20
; %bb.566:                              ;   in Loop: Header=BB331_12 Depth=1
	s_or_b32 exec_lo, exec_lo, s22
	s_delay_alu instid0(VALU_DEP_1) | instskip(SKIP_1) | instid1(VALU_DEP_2)
	v_dual_lshlrev_b32 v17, 24, v9 :: v_dual_lshlrev_b32 v19, 20, v86
	v_lshl_add_u32 v16, v16, 23, 0x3c000000
	v_and_b32_e32 v17, 0x80000000, v17
	s_delay_alu instid0(VALU_DEP_1)
	v_or3_b32 v112, v19, v17, v16
.LBB331_567:                            ;   in Loop: Header=BB331_12 Depth=1
	s_or_b32 exec_lo, exec_lo, s21
.LBB331_568:                            ;   in Loop: Header=BB331_12 Depth=1
	s_delay_alu instid0(SALU_CYCLE_1)
	s_or_b32 exec_lo, exec_lo, s20
.LBB331_569:                            ;   in Loop: Header=BB331_12 Depth=1
	s_delay_alu instid0(SALU_CYCLE_1) | instskip(SKIP_2) | instid1(VALU_DEP_1)
	s_or_b32 exec_lo, exec_lo, s19
	v_lshrrev_b16 v16, 8, v9
	s_mov_b32 s19, exec_lo
	v_cmpx_ne_u16_e32 0, v16
	s_cbranch_execz .LBB331_577
; %bb.570:                              ;   in Loop: Header=BB331_12 Depth=1
	v_bfrev_b32_e32 v118, 1
	s_mov_b32 s20, exec_lo
	v_cmpx_ne_u16_e32 0x80, v16
	s_cbranch_execz .LBB331_576
; %bb.571:                              ;   in Loop: Header=BB331_12 Depth=1
	v_and_b32_e32 v16, 0xffff, v16
	v_mov_b32_e32 v118, 0x7f800001
	s_mov_b32 s21, exec_lo
	s_delay_alu instid0(VALU_DEP_2) | instskip(NEXT) | instid1(VALU_DEP_1)
	v_and_b32_e32 v17, 0x7f, v16
	v_cmpx_ne_u32_e32 0x7f, v17
	s_cbranch_execz .LBB331_575
; %bb.572:                              ;   in Loop: Header=BB331_12 Depth=1
	v_dual_lshrrev_b32 v16, 3, v17 :: v_dual_bitop2_b32 v66, 7, v16 bitop3:0x40
	s_mov_b32 s22, exec_lo
	s_delay_alu instid0(VALU_DEP_1)
	v_mov_b64_e32 v[86:87], v[66:67]
	v_cmpx_gt_u32_e32 8, v17
; %bb.573:                              ;   in Loop: Header=BB331_12 Depth=1
	v_clz_i32_u32_e32 v16, v66
	s_delay_alu instid0(VALU_DEP_1) | instskip(NEXT) | instid1(VALU_DEP_1)
	v_min_u32_e32 v16, 32, v16
	v_subrev_nc_u32_e32 v17, 28, v16
	v_sub_nc_u32_e32 v16, 29, v16
	s_delay_alu instid0(VALU_DEP_2) | instskip(NEXT) | instid1(VALU_DEP_1)
	v_lshlrev_b64_e32 v[20:21], v17, v[66:67]
	v_and_b32_e32 v86, 7, v20
; %bb.574:                              ;   in Loop: Header=BB331_12 Depth=1
	s_or_b32 exec_lo, exec_lo, s22
	s_delay_alu instid0(VALU_DEP_1) | instskip(SKIP_1) | instid1(VALU_DEP_2)
	v_dual_lshlrev_b32 v17, 16, v9 :: v_dual_lshlrev_b32 v19, 20, v86
	v_lshl_add_u32 v16, v16, 23, 0x3c000000
	v_and_b32_e32 v17, 0x80000000, v17
	s_delay_alu instid0(VALU_DEP_1)
	v_or3_b32 v118, v19, v17, v16
.LBB331_575:                            ;   in Loop: Header=BB331_12 Depth=1
	s_or_b32 exec_lo, exec_lo, s21
.LBB331_576:                            ;   in Loop: Header=BB331_12 Depth=1
	s_delay_alu instid0(SALU_CYCLE_1)
	s_or_b32 exec_lo, exec_lo, s20
.LBB331_577:                            ;   in Loop: Header=BB331_12 Depth=1
	s_delay_alu instid0(SALU_CYCLE_1) | instskip(SKIP_3) | instid1(VALU_DEP_2)
	s_or_b32 exec_lo, exec_lo, s19
	v_dual_lshrrev_b32 v16, 16, v9 :: v_dual_mov_b32 v102, 0
	v_mov_b32_e32 v113, 0
	s_mov_b32 s19, exec_lo
	v_and_b32_e32 v17, 0xff, v16
	s_delay_alu instid0(VALU_DEP_1)
	v_cmpx_ne_u16_e32 0, v17
	s_cbranch_execz .LBB331_585
; %bb.578:                              ;   in Loop: Header=BB331_12 Depth=1
	v_bfrev_b32_e32 v113, 1
	s_mov_b32 s20, exec_lo
	v_cmpx_ne_u16_e32 0x80, v17
	s_cbranch_execz .LBB331_584
; %bb.579:                              ;   in Loop: Header=BB331_12 Depth=1
	v_bfe_u32 v19, v9, 16, 7
	v_mov_b32_e32 v113, 0x7f800001
	s_mov_b32 s21, exec_lo
	s_delay_alu instid0(VALU_DEP_2)
	v_cmpx_ne_u32_e32 0x7f, v19
	s_cbranch_execz .LBB331_583
; %bb.580:                              ;   in Loop: Header=BB331_12 Depth=1
	v_dual_lshrrev_b32 v17, 3, v19 :: v_dual_bitop2_b32 v66, 7, v16 bitop3:0x40
	s_mov_b32 s22, exec_lo
	s_delay_alu instid0(VALU_DEP_1)
	v_mov_b64_e32 v[86:87], v[66:67]
	v_cmpx_gt_u32_e32 8, v19
; %bb.581:                              ;   in Loop: Header=BB331_12 Depth=1
	v_clz_i32_u32_e32 v17, v66
	s_delay_alu instid0(VALU_DEP_1) | instskip(NEXT) | instid1(VALU_DEP_1)
	v_min_u32_e32 v17, 32, v17
	v_subrev_nc_u32_e32 v19, 28, v17
	s_delay_alu instid0(VALU_DEP_1) | instskip(NEXT) | instid1(VALU_DEP_1)
	v_lshlrev_b64_e32 v[20:21], v19, v[66:67]
	v_dual_sub_nc_u32 v17, 29, v17 :: v_dual_bitop2_b32 v86, 7, v20 bitop3:0x40
; %bb.582:                              ;   in Loop: Header=BB331_12 Depth=1
	s_or_b32 exec_lo, exec_lo, s22
	s_delay_alu instid0(VALU_DEP_1) | instskip(NEXT) | instid1(VALU_DEP_2)
	v_dual_lshlrev_b32 v16, 24, v16 :: v_dual_lshlrev_b32 v19, 20, v86
	v_lshl_add_u32 v17, v17, 23, 0x3c000000
	s_delay_alu instid0(VALU_DEP_2) | instskip(NEXT) | instid1(VALU_DEP_1)
	v_and_b32_e32 v16, 0x80000000, v16
	v_or3_b32 v113, v19, v16, v17
.LBB331_583:                            ;   in Loop: Header=BB331_12 Depth=1
	s_or_b32 exec_lo, exec_lo, s21
.LBB331_584:                            ;   in Loop: Header=BB331_12 Depth=1
	s_delay_alu instid0(SALU_CYCLE_1)
	s_or_b32 exec_lo, exec_lo, s20
.LBB331_585:                            ;   in Loop: Header=BB331_12 Depth=1
	s_delay_alu instid0(SALU_CYCLE_1) | instskip(NEXT) | instid1(SALU_CYCLE_1)
	s_or_b32 exec_lo, exec_lo, s19
	s_mov_b32 s19, exec_lo
	v_cmpx_lt_u32_e32 0xffffff, v9
	s_cbranch_execz .LBB331_593
; %bb.586:                              ;   in Loop: Header=BB331_12 Depth=1
	v_lshrrev_b32_e32 v16, 24, v9
	v_bfrev_b32_e32 v102, 1
	s_mov_b32 s20, exec_lo
	s_delay_alu instid0(VALU_DEP_2)
	v_cmpx_ne_u32_e32 0x80, v16
	s_cbranch_execz .LBB331_592
; %bb.587:                              ;   in Loop: Header=BB331_12 Depth=1
	v_bfe_u32 v17, v9, 24, 7
	v_mov_b32_e32 v102, 0x7f800001
	s_mov_b32 s21, exec_lo
	s_delay_alu instid0(VALU_DEP_2)
	v_cmpx_ne_u32_e32 0x7f, v17
	s_cbranch_execz .LBB331_591
; %bb.588:                              ;   in Loop: Header=BB331_12 Depth=1
	v_dual_lshrrev_b32 v9, 3, v17 :: v_dual_bitop2_b32 v66, 7, v16 bitop3:0x40
	s_mov_b32 s22, exec_lo
	s_delay_alu instid0(VALU_DEP_1)
	v_mov_b64_e32 v[86:87], v[66:67]
	v_cmpx_gt_u32_e32 8, v17
; %bb.589:                              ;   in Loop: Header=BB331_12 Depth=1
	v_clz_i32_u32_e32 v9, v66
	s_delay_alu instid0(VALU_DEP_1) | instskip(NEXT) | instid1(VALU_DEP_1)
	v_min_u32_e32 v9, 32, v9
	v_subrev_nc_u32_e32 v17, 28, v9
	s_delay_alu instid0(VALU_DEP_1) | instskip(NEXT) | instid1(VALU_DEP_1)
	v_lshlrev_b64_e32 v[20:21], v17, v[66:67]
	v_dual_sub_nc_u32 v9, 29, v9 :: v_dual_bitop2_b32 v86, 7, v20 bitop3:0x40
; %bb.590:                              ;   in Loop: Header=BB331_12 Depth=1
	s_or_b32 exec_lo, exec_lo, s22
	s_delay_alu instid0(VALU_DEP_1) | instskip(NEXT) | instid1(VALU_DEP_2)
	v_dual_lshlrev_b32 v16, 24, v16 :: v_dual_lshlrev_b32 v17, 20, v86
	v_lshl_add_u32 v9, v9, 23, 0x3c000000
	s_delay_alu instid0(VALU_DEP_2) | instskip(NEXT) | instid1(VALU_DEP_1)
	v_and_b32_e32 v16, 0x80000000, v16
	v_or3_b32 v102, v17, v16, v9
.LBB331_591:                            ;   in Loop: Header=BB331_12 Depth=1
	s_or_b32 exec_lo, exec_lo, s21
.LBB331_592:                            ;   in Loop: Header=BB331_12 Depth=1
	s_delay_alu instid0(SALU_CYCLE_1)
	s_or_b32 exec_lo, exec_lo, s20
.LBB331_593:                            ;   in Loop: Header=BB331_12 Depth=1
	s_delay_alu instid0(SALU_CYCLE_1)
	s_or_b32 exec_lo, exec_lo, s19
	flat_load_b32 v17, v[84:85] offset:2304
	v_dual_mov_b32 v83, 0 :: v_dual_mov_b32 v82, 0
	s_mov_b32 s19, exec_lo
	s_wait_loadcnt_dscnt 0x0
	v_and_b32_e32 v9, 0xff, v17
	s_wait_xcnt 0x0
	s_delay_alu instid0(VALU_DEP_1)
	v_cmpx_ne_u16_e32 0, v9
	s_cbranch_execz .LBB331_601
; %bb.594:                              ;   in Loop: Header=BB331_12 Depth=1
	v_bfrev_b32_e32 v82, 1
	s_mov_b32 s20, exec_lo
	v_cmpx_ne_u16_e32 0x80, v9
	s_cbranch_execz .LBB331_600
; %bb.595:                              ;   in Loop: Header=BB331_12 Depth=1
	v_and_b32_e32 v16, 0x7f, v17
	v_mov_b32_e32 v82, 0x7f800001
	s_mov_b32 s21, exec_lo
	s_delay_alu instid0(VALU_DEP_2)
	v_cmpx_ne_u32_e32 0x7f, v16
	s_cbranch_execz .LBB331_599
; %bb.596:                              ;   in Loop: Header=BB331_12 Depth=1
	v_dual_lshrrev_b32 v9, 3, v16 :: v_dual_bitop2_b32 v66, 7, v17 bitop3:0x40
	s_mov_b32 s22, exec_lo
	s_delay_alu instid0(VALU_DEP_1)
	v_mov_b64_e32 v[86:87], v[66:67]
	v_cmpx_gt_u32_e32 8, v16
; %bb.597:                              ;   in Loop: Header=BB331_12 Depth=1
	v_clz_i32_u32_e32 v9, v66
	s_delay_alu instid0(VALU_DEP_1) | instskip(NEXT) | instid1(VALU_DEP_1)
	v_min_u32_e32 v9, 32, v9
	v_subrev_nc_u32_e32 v16, 28, v9
	s_delay_alu instid0(VALU_DEP_1) | instskip(NEXT) | instid1(VALU_DEP_1)
	v_lshlrev_b64_e32 v[20:21], v16, v[66:67]
	v_dual_sub_nc_u32 v9, 29, v9 :: v_dual_bitop2_b32 v86, 7, v20 bitop3:0x40
; %bb.598:                              ;   in Loop: Header=BB331_12 Depth=1
	s_or_b32 exec_lo, exec_lo, s22
	s_delay_alu instid0(VALU_DEP_1) | instskip(NEXT) | instid1(VALU_DEP_2)
	v_dual_lshlrev_b32 v16, 24, v17 :: v_dual_lshlrev_b32 v19, 20, v86
	v_lshl_add_u32 v9, v9, 23, 0x3c000000
	s_delay_alu instid0(VALU_DEP_2) | instskip(NEXT) | instid1(VALU_DEP_1)
	v_and_b32_e32 v16, 0x80000000, v16
	v_or3_b32 v82, v19, v16, v9
.LBB331_599:                            ;   in Loop: Header=BB331_12 Depth=1
	s_or_b32 exec_lo, exec_lo, s21
.LBB331_600:                            ;   in Loop: Header=BB331_12 Depth=1
	s_delay_alu instid0(SALU_CYCLE_1)
	s_or_b32 exec_lo, exec_lo, s20
.LBB331_601:                            ;   in Loop: Header=BB331_12 Depth=1
	s_delay_alu instid0(SALU_CYCLE_1) | instskip(SKIP_2) | instid1(VALU_DEP_1)
	s_or_b32 exec_lo, exec_lo, s19
	v_lshrrev_b16 v9, 8, v17
	s_mov_b32 s19, exec_lo
	v_cmpx_ne_u16_e32 0, v9
	s_cbranch_execz .LBB331_609
; %bb.602:                              ;   in Loop: Header=BB331_12 Depth=1
	v_bfrev_b32_e32 v83, 1
	s_mov_b32 s20, exec_lo
	v_cmpx_ne_u16_e32 0x80, v9
	s_cbranch_execz .LBB331_608
; %bb.603:                              ;   in Loop: Header=BB331_12 Depth=1
	v_and_b32_e32 v9, 0xffff, v9
	v_mov_b32_e32 v83, 0x7f800001
	s_mov_b32 s21, exec_lo
	s_delay_alu instid0(VALU_DEP_2) | instskip(NEXT) | instid1(VALU_DEP_1)
	v_and_b32_e32 v16, 0x7f, v9
	v_cmpx_ne_u32_e32 0x7f, v16
	s_cbranch_execz .LBB331_607
; %bb.604:                              ;   in Loop: Header=BB331_12 Depth=1
	v_dual_lshrrev_b32 v9, 3, v16 :: v_dual_bitop2_b32 v66, 7, v9 bitop3:0x40
	s_mov_b32 s22, exec_lo
	s_delay_alu instid0(VALU_DEP_1)
	v_mov_b64_e32 v[86:87], v[66:67]
	v_cmpx_gt_u32_e32 8, v16
; %bb.605:                              ;   in Loop: Header=BB331_12 Depth=1
	v_clz_i32_u32_e32 v9, v66
	s_delay_alu instid0(VALU_DEP_1) | instskip(NEXT) | instid1(VALU_DEP_1)
	v_min_u32_e32 v9, 32, v9
	v_subrev_nc_u32_e32 v16, 28, v9
	s_delay_alu instid0(VALU_DEP_1) | instskip(NEXT) | instid1(VALU_DEP_1)
	v_lshlrev_b64_e32 v[20:21], v16, v[66:67]
	v_dual_sub_nc_u32 v9, 29, v9 :: v_dual_bitop2_b32 v86, 7, v20 bitop3:0x40
; %bb.606:                              ;   in Loop: Header=BB331_12 Depth=1
	s_or_b32 exec_lo, exec_lo, s22
	s_delay_alu instid0(VALU_DEP_1) | instskip(NEXT) | instid1(VALU_DEP_2)
	v_dual_lshlrev_b32 v16, 16, v17 :: v_dual_lshlrev_b32 v19, 20, v86
	v_lshl_add_u32 v9, v9, 23, 0x3c000000
	s_delay_alu instid0(VALU_DEP_2) | instskip(NEXT) | instid1(VALU_DEP_1)
	v_and_b32_e32 v16, 0x80000000, v16
	v_or3_b32 v83, v19, v16, v9
.LBB331_607:                            ;   in Loop: Header=BB331_12 Depth=1
	s_or_b32 exec_lo, exec_lo, s21
.LBB331_608:                            ;   in Loop: Header=BB331_12 Depth=1
	s_delay_alu instid0(SALU_CYCLE_1)
	s_or_b32 exec_lo, exec_lo, s20
.LBB331_609:                            ;   in Loop: Header=BB331_12 Depth=1
	s_delay_alu instid0(SALU_CYCLE_1) | instskip(SKIP_3) | instid1(VALU_DEP_2)
	s_or_b32 exec_lo, exec_lo, s19
	v_dual_lshrrev_b32 v19, 16, v17 :: v_dual_mov_b32 v9, 0
	v_mov_b32_e32 v16, 0
	s_mov_b32 s19, exec_lo
	v_and_b32_e32 v20, 0xff, v19
	s_delay_alu instid0(VALU_DEP_1)
	v_cmpx_ne_u16_e32 0, v20
	s_cbranch_execz .LBB331_617
; %bb.610:                              ;   in Loop: Header=BB331_12 Depth=1
	v_bfrev_b32_e32 v16, 1
	s_mov_b32 s20, exec_lo
	v_cmpx_ne_u16_e32 0x80, v20
	s_cbranch_execz .LBB331_616
; %bb.611:                              ;   in Loop: Header=BB331_12 Depth=1
	v_bfe_u32 v20, v17, 16, 7
	v_mov_b32_e32 v16, 0x7f800001
	s_mov_b32 s21, exec_lo
	s_delay_alu instid0(VALU_DEP_2)
	v_cmpx_ne_u32_e32 0x7f, v20
	s_cbranch_execz .LBB331_615
; %bb.612:                              ;   in Loop: Header=BB331_12 Depth=1
	v_dual_lshrrev_b32 v16, 3, v20 :: v_dual_bitop2_b32 v66, 7, v19 bitop3:0x40
	s_mov_b32 s22, exec_lo
	s_delay_alu instid0(VALU_DEP_1)
	v_mov_b64_e32 v[86:87], v[66:67]
	v_cmpx_gt_u32_e32 8, v20
; %bb.613:                              ;   in Loop: Header=BB331_12 Depth=1
	v_clz_i32_u32_e32 v16, v66
	s_delay_alu instid0(VALU_DEP_1) | instskip(NEXT) | instid1(VALU_DEP_1)
	v_min_u32_e32 v16, 32, v16
	v_subrev_nc_u32_e32 v20, 28, v16
	v_sub_nc_u32_e32 v16, 29, v16
	s_delay_alu instid0(VALU_DEP_2) | instskip(NEXT) | instid1(VALU_DEP_1)
	v_lshlrev_b64_e32 v[20:21], v20, v[66:67]
	v_and_b32_e32 v86, 7, v20
; %bb.614:                              ;   in Loop: Header=BB331_12 Depth=1
	s_or_b32 exec_lo, exec_lo, s22
	s_delay_alu instid0(VALU_DEP_1) | instskip(SKIP_1) | instid1(VALU_DEP_2)
	v_dual_lshlrev_b32 v19, 24, v19 :: v_dual_lshlrev_b32 v20, 20, v86
	v_lshl_add_u32 v16, v16, 23, 0x3c000000
	v_and_b32_e32 v19, 0x80000000, v19
	s_delay_alu instid0(VALU_DEP_1)
	v_or3_b32 v16, v20, v19, v16
.LBB331_615:                            ;   in Loop: Header=BB331_12 Depth=1
	s_or_b32 exec_lo, exec_lo, s21
.LBB331_616:                            ;   in Loop: Header=BB331_12 Depth=1
	s_delay_alu instid0(SALU_CYCLE_1)
	s_or_b32 exec_lo, exec_lo, s20
.LBB331_617:                            ;   in Loop: Header=BB331_12 Depth=1
	s_delay_alu instid0(SALU_CYCLE_1) | instskip(NEXT) | instid1(SALU_CYCLE_1)
	s_or_b32 exec_lo, exec_lo, s19
	s_mov_b32 s19, exec_lo
	v_cmpx_lt_u32_e32 0xffffff, v17
	s_cbranch_execz .LBB331_625
; %bb.618:                              ;   in Loop: Header=BB331_12 Depth=1
	v_lshrrev_b32_e32 v19, 24, v17
	v_bfrev_b32_e32 v9, 1
	s_mov_b32 s20, exec_lo
	s_delay_alu instid0(VALU_DEP_2)
	v_cmpx_ne_u32_e32 0x80, v19
	s_cbranch_execz .LBB331_624
; %bb.619:                              ;   in Loop: Header=BB331_12 Depth=1
	v_bfe_u32 v17, v17, 24, 7
	v_mov_b32_e32 v9, 0x7f800001
	s_mov_b32 s21, exec_lo
	s_delay_alu instid0(VALU_DEP_2)
	v_cmpx_ne_u32_e32 0x7f, v17
	s_cbranch_execz .LBB331_623
; %bb.620:                              ;   in Loop: Header=BB331_12 Depth=1
	v_dual_lshrrev_b32 v9, 3, v17 :: v_dual_bitop2_b32 v66, 7, v19 bitop3:0x40
	s_mov_b32 s22, exec_lo
	s_delay_alu instid0(VALU_DEP_1)
	v_mov_b64_e32 v[86:87], v[66:67]
	v_cmpx_gt_u32_e32 8, v17
; %bb.621:                              ;   in Loop: Header=BB331_12 Depth=1
	v_clz_i32_u32_e32 v9, v66
	s_delay_alu instid0(VALU_DEP_1) | instskip(NEXT) | instid1(VALU_DEP_1)
	v_min_u32_e32 v9, 32, v9
	v_subrev_nc_u32_e32 v17, 28, v9
	s_delay_alu instid0(VALU_DEP_1) | instskip(NEXT) | instid1(VALU_DEP_1)
	v_lshlrev_b64_e32 v[20:21], v17, v[66:67]
	v_dual_sub_nc_u32 v9, 29, v9 :: v_dual_bitop2_b32 v86, 7, v20 bitop3:0x40
; %bb.622:                              ;   in Loop: Header=BB331_12 Depth=1
	s_or_b32 exec_lo, exec_lo, s22
	s_delay_alu instid0(VALU_DEP_1) | instskip(NEXT) | instid1(VALU_DEP_2)
	v_dual_lshlrev_b32 v17, 24, v19 :: v_dual_lshlrev_b32 v19, 20, v86
	v_lshl_add_u32 v9, v9, 23, 0x3c000000
	s_delay_alu instid0(VALU_DEP_2) | instskip(NEXT) | instid1(VALU_DEP_1)
	v_and_b32_e32 v17, 0x80000000, v17
	v_or3_b32 v9, v19, v17, v9
.LBB331_623:                            ;   in Loop: Header=BB331_12 Depth=1
	s_or_b32 exec_lo, exec_lo, s21
.LBB331_624:                            ;   in Loop: Header=BB331_12 Depth=1
	s_delay_alu instid0(SALU_CYCLE_1)
	s_or_b32 exec_lo, exec_lo, s20
.LBB331_625:                            ;   in Loop: Header=BB331_12 Depth=1
	s_delay_alu instid0(SALU_CYCLE_1)
	s_or_b32 exec_lo, exec_lo, s19
	flat_load_b32 v25, v[84:85] offset:2312
	v_dual_mov_b32 v19, 0 :: v_dual_mov_b32 v17, 0
	s_mov_b32 s19, exec_lo
	s_wait_loadcnt_dscnt 0x0
	v_and_b32_e32 v20, 0xff, v25
	s_wait_xcnt 0x0
	s_delay_alu instid0(VALU_DEP_1)
	v_cmpx_ne_u16_e32 0, v20
	s_cbranch_execz .LBB331_633
; %bb.626:                              ;   in Loop: Header=BB331_12 Depth=1
	v_bfrev_b32_e32 v17, 1
	s_mov_b32 s20, exec_lo
	v_cmpx_ne_u16_e32 0x80, v20
	s_cbranch_execz .LBB331_632
; %bb.627:                              ;   in Loop: Header=BB331_12 Depth=1
	v_and_b32_e32 v20, 0x7f, v25
	v_mov_b32_e32 v17, 0x7f800001
	s_mov_b32 s21, exec_lo
	s_delay_alu instid0(VALU_DEP_2)
	v_cmpx_ne_u32_e32 0x7f, v20
	s_cbranch_execz .LBB331_631
; %bb.628:                              ;   in Loop: Header=BB331_12 Depth=1
	v_dual_lshrrev_b32 v17, 3, v20 :: v_dual_bitop2_b32 v66, 7, v25 bitop3:0x40
	s_mov_b32 s22, exec_lo
	s_delay_alu instid0(VALU_DEP_1)
	v_mov_b64_e32 v[86:87], v[66:67]
	v_cmpx_gt_u32_e32 8, v20
; %bb.629:                              ;   in Loop: Header=BB331_12 Depth=1
	v_clz_i32_u32_e32 v17, v66
	s_delay_alu instid0(VALU_DEP_1) | instskip(NEXT) | instid1(VALU_DEP_1)
	v_min_u32_e32 v17, 32, v17
	v_subrev_nc_u32_e32 v20, 28, v17
	s_delay_alu instid0(VALU_DEP_1) | instskip(NEXT) | instid1(VALU_DEP_1)
	v_lshlrev_b64_e32 v[20:21], v20, v[66:67]
	v_dual_sub_nc_u32 v17, 29, v17 :: v_dual_bitop2_b32 v86, 7, v20 bitop3:0x40
; %bb.630:                              ;   in Loop: Header=BB331_12 Depth=1
	s_or_b32 exec_lo, exec_lo, s22
	s_delay_alu instid0(VALU_DEP_1) | instskip(NEXT) | instid1(VALU_DEP_2)
	v_dual_lshlrev_b32 v20, 24, v25 :: v_dual_lshlrev_b32 v21, 20, v86
	v_lshl_add_u32 v17, v17, 23, 0x3c000000
	s_delay_alu instid0(VALU_DEP_2) | instskip(NEXT) | instid1(VALU_DEP_1)
	v_and_b32_e32 v20, 0x80000000, v20
	v_or3_b32 v17, v21, v20, v17
.LBB331_631:                            ;   in Loop: Header=BB331_12 Depth=1
	s_or_b32 exec_lo, exec_lo, s21
.LBB331_632:                            ;   in Loop: Header=BB331_12 Depth=1
	s_delay_alu instid0(SALU_CYCLE_1)
	s_or_b32 exec_lo, exec_lo, s20
.LBB331_633:                            ;   in Loop: Header=BB331_12 Depth=1
	s_delay_alu instid0(SALU_CYCLE_1) | instskip(SKIP_2) | instid1(VALU_DEP_1)
	s_or_b32 exec_lo, exec_lo, s19
	v_lshrrev_b16 v20, 8, v25
	s_mov_b32 s19, exec_lo
	v_cmpx_ne_u16_e32 0, v20
	s_cbranch_execz .LBB331_641
; %bb.634:                              ;   in Loop: Header=BB331_12 Depth=1
	v_bfrev_b32_e32 v19, 1
	s_mov_b32 s20, exec_lo
	v_cmpx_ne_u16_e32 0x80, v20
	s_cbranch_execz .LBB331_640
; %bb.635:                              ;   in Loop: Header=BB331_12 Depth=1
	v_and_b32_e32 v21, 0xffff, v20
	v_mov_b32_e32 v19, 0x7f800001
	s_mov_b32 s21, exec_lo
	s_delay_alu instid0(VALU_DEP_2) | instskip(NEXT) | instid1(VALU_DEP_1)
	v_and_b32_e32 v20, 0x7f, v21
	v_cmpx_ne_u32_e32 0x7f, v20
	s_cbranch_execz .LBB331_639
; %bb.636:                              ;   in Loop: Header=BB331_12 Depth=1
	v_dual_lshrrev_b32 v19, 3, v20 :: v_dual_bitop2_b32 v66, 7, v21 bitop3:0x40
	s_mov_b32 s22, exec_lo
	s_delay_alu instid0(VALU_DEP_1)
	v_mov_b64_e32 v[86:87], v[66:67]
	v_cmpx_gt_u32_e32 8, v20
; %bb.637:                              ;   in Loop: Header=BB331_12 Depth=1
	v_clz_i32_u32_e32 v19, v66
	s_delay_alu instid0(VALU_DEP_1) | instskip(NEXT) | instid1(VALU_DEP_1)
	v_min_u32_e32 v19, 32, v19
	v_subrev_nc_u32_e32 v20, 28, v19
	s_delay_alu instid0(VALU_DEP_1) | instskip(NEXT) | instid1(VALU_DEP_1)
	v_lshlrev_b64_e32 v[20:21], v20, v[66:67]
	v_dual_sub_nc_u32 v19, 29, v19 :: v_dual_bitop2_b32 v86, 7, v20 bitop3:0x40
; %bb.638:                              ;   in Loop: Header=BB331_12 Depth=1
	s_or_b32 exec_lo, exec_lo, s22
	s_delay_alu instid0(VALU_DEP_1) | instskip(NEXT) | instid1(VALU_DEP_2)
	v_dual_lshlrev_b32 v20, 16, v25 :: v_dual_lshlrev_b32 v21, 20, v86
	v_lshl_add_u32 v19, v19, 23, 0x3c000000
	s_delay_alu instid0(VALU_DEP_2) | instskip(NEXT) | instid1(VALU_DEP_1)
	v_and_b32_e32 v20, 0x80000000, v20
	v_or3_b32 v19, v21, v20, v19
.LBB331_639:                            ;   in Loop: Header=BB331_12 Depth=1
	s_or_b32 exec_lo, exec_lo, s21
.LBB331_640:                            ;   in Loop: Header=BB331_12 Depth=1
	s_delay_alu instid0(SALU_CYCLE_1)
	s_or_b32 exec_lo, exec_lo, s20
.LBB331_641:                            ;   in Loop: Header=BB331_12 Depth=1
	s_delay_alu instid0(SALU_CYCLE_1) | instskip(SKIP_3) | instid1(VALU_DEP_2)
	s_or_b32 exec_lo, exec_lo, s19
	v_dual_lshrrev_b32 v53, 16, v25 :: v_dual_mov_b32 v21, 0
	v_mov_b32_e32 v20, 0
	s_mov_b32 s19, exec_lo
	v_and_b32_e32 v66, 0xff, v53
	s_delay_alu instid0(VALU_DEP_1)
	v_cmpx_ne_u16_e32 0, v66
	s_cbranch_execz .LBB331_649
; %bb.642:                              ;   in Loop: Header=BB331_12 Depth=1
	v_bfrev_b32_e32 v20, 1
	s_mov_b32 s20, exec_lo
	v_cmpx_ne_u16_e32 0x80, v66
	s_cbranch_execz .LBB331_648
; %bb.643:                              ;   in Loop: Header=BB331_12 Depth=1
	v_bfe_u32 v70, v25, 16, 7
	v_mov_b32_e32 v20, 0x7f800001
	s_mov_b32 s21, exec_lo
	s_delay_alu instid0(VALU_DEP_2)
	v_cmpx_ne_u32_e32 0x7f, v70
	s_cbranch_execz .LBB331_647
; %bb.644:                              ;   in Loop: Header=BB331_12 Depth=1
	v_dual_lshrrev_b32 v20, 3, v70 :: v_dual_bitop2_b32 v66, 7, v53 bitop3:0x40
	s_mov_b32 s22, exec_lo
	s_delay_alu instid0(VALU_DEP_1)
	v_mov_b64_e32 v[86:87], v[66:67]
	v_cmpx_gt_u32_e32 8, v70
; %bb.645:                              ;   in Loop: Header=BB331_12 Depth=1
	v_clz_i32_u32_e32 v20, v66
	s_delay_alu instid0(VALU_DEP_1) | instskip(NEXT) | instid1(VALU_DEP_1)
	v_min_u32_e32 v20, 32, v20
	v_subrev_nc_u32_e32 v70, 28, v20
	s_delay_alu instid0(VALU_DEP_1) | instskip(NEXT) | instid1(VALU_DEP_1)
	v_lshlrev_b64_e32 v[70:71], v70, v[66:67]
	v_dual_sub_nc_u32 v20, 29, v20 :: v_dual_bitop2_b32 v86, 7, v70 bitop3:0x40
; %bb.646:                              ;   in Loop: Header=BB331_12 Depth=1
	s_or_b32 exec_lo, exec_lo, s22
	s_delay_alu instid0(VALU_DEP_1) | instskip(NEXT) | instid1(VALU_DEP_2)
	v_dual_lshlrev_b32 v53, 24, v53 :: v_dual_lshlrev_b32 v66, 20, v86
	v_lshl_add_u32 v20, v20, 23, 0x3c000000
	s_delay_alu instid0(VALU_DEP_2) | instskip(NEXT) | instid1(VALU_DEP_1)
	v_and_b32_e32 v53, 0x80000000, v53
	v_or3_b32 v20, v66, v53, v20
.LBB331_647:                            ;   in Loop: Header=BB331_12 Depth=1
	s_or_b32 exec_lo, exec_lo, s21
.LBB331_648:                            ;   in Loop: Header=BB331_12 Depth=1
	s_delay_alu instid0(SALU_CYCLE_1)
	s_or_b32 exec_lo, exec_lo, s20
.LBB331_649:                            ;   in Loop: Header=BB331_12 Depth=1
	s_delay_alu instid0(SALU_CYCLE_1) | instskip(NEXT) | instid1(SALU_CYCLE_1)
	s_or_b32 exec_lo, exec_lo, s19
	s_mov_b32 s19, exec_lo
	v_cmpx_lt_u32_e32 0xffffff, v25
	s_cbranch_execz .LBB331_657
; %bb.650:                              ;   in Loop: Header=BB331_12 Depth=1
	v_lshrrev_b32_e32 v53, 24, v25
	v_bfrev_b32_e32 v21, 1
	s_mov_b32 s20, exec_lo
	s_delay_alu instid0(VALU_DEP_2)
	v_cmpx_ne_u32_e32 0x80, v53
	s_cbranch_execz .LBB331_656
; %bb.651:                              ;   in Loop: Header=BB331_12 Depth=1
	v_bfe_u32 v25, v25, 24, 7
	v_mov_b32_e32 v21, 0x7f800001
	s_mov_b32 s21, exec_lo
	s_delay_alu instid0(VALU_DEP_2)
	v_cmpx_ne_u32_e32 0x7f, v25
	s_cbranch_execz .LBB331_655
; %bb.652:                              ;   in Loop: Header=BB331_12 Depth=1
	v_and_b32_e32 v66, 7, v53
	v_lshrrev_b32_e32 v21, 3, v25
	s_mov_b32 s22, exec_lo
	s_delay_alu instid0(VALU_DEP_2)
	v_mov_b64_e32 v[86:87], v[66:67]
	v_cmpx_gt_u32_e32 8, v25
; %bb.653:                              ;   in Loop: Header=BB331_12 Depth=1
	v_clz_i32_u32_e32 v21, v66
	s_delay_alu instid0(VALU_DEP_1) | instskip(NEXT) | instid1(VALU_DEP_1)
	v_min_u32_e32 v21, 32, v21
	v_subrev_nc_u32_e32 v25, 28, v21
	s_delay_alu instid0(VALU_DEP_1) | instskip(NEXT) | instid1(VALU_DEP_1)
	v_lshlrev_b64_e32 v[70:71], v25, v[66:67]
	v_dual_sub_nc_u32 v21, 29, v21 :: v_dual_bitop2_b32 v86, 7, v70 bitop3:0x40
; %bb.654:                              ;   in Loop: Header=BB331_12 Depth=1
	s_or_b32 exec_lo, exec_lo, s22
	s_delay_alu instid0(VALU_DEP_1) | instskip(NEXT) | instid1(VALU_DEP_2)
	v_dual_lshlrev_b32 v25, 24, v53 :: v_dual_lshlrev_b32 v53, 20, v86
	v_lshl_add_u32 v21, v21, 23, 0x3c000000
	s_delay_alu instid0(VALU_DEP_2) | instskip(NEXT) | instid1(VALU_DEP_1)
	v_and_b32_e32 v25, 0x80000000, v25
	v_or3_b32 v21, v53, v25, v21
.LBB331_655:                            ;   in Loop: Header=BB331_12 Depth=1
	s_or_b32 exec_lo, exec_lo, s21
.LBB331_656:                            ;   in Loop: Header=BB331_12 Depth=1
	s_delay_alu instid0(SALU_CYCLE_1)
	s_or_b32 exec_lo, exec_lo, s20
.LBB331_657:                            ;   in Loop: Header=BB331_12 Depth=1
	s_delay_alu instid0(SALU_CYCLE_1)
	s_or_b32 exec_lo, exec_lo, s19
	flat_load_b32 v70, v[84:85] offset:2560
	v_dual_mov_b32 v41, 0 :: v_dual_mov_b32 v53, 0
	s_mov_b32 s19, exec_lo
	s_wait_loadcnt_dscnt 0x0
	v_and_b32_e32 v25, 0xff, v70
	s_wait_xcnt 0x0
	s_delay_alu instid0(VALU_DEP_1)
	v_cmpx_ne_u16_e32 0, v25
	s_cbranch_execz .LBB331_665
; %bb.658:                              ;   in Loop: Header=BB331_12 Depth=1
	v_bfrev_b32_e32 v53, 1
	s_mov_b32 s20, exec_lo
	v_cmpx_ne_u16_e32 0x80, v25
	s_cbranch_execz .LBB331_664
; %bb.659:                              ;   in Loop: Header=BB331_12 Depth=1
	v_and_b32_e32 v71, 0x7f, v70
	v_mov_b32_e32 v53, 0x7f800001
	s_mov_b32 s21, exec_lo
	s_delay_alu instid0(VALU_DEP_2)
	v_cmpx_ne_u32_e32 0x7f, v71
	s_cbranch_execz .LBB331_663
; %bb.660:                              ;   in Loop: Header=BB331_12 Depth=1
	v_dual_lshrrev_b32 v25, 3, v71 :: v_dual_bitop2_b32 v66, 7, v70 bitop3:0x40
	s_mov_b32 s22, exec_lo
	s_delay_alu instid0(VALU_DEP_1)
	v_mov_b64_e32 v[86:87], v[66:67]
	v_cmpx_gt_u32_e32 8, v71
; %bb.661:                              ;   in Loop: Header=BB331_12 Depth=1
	v_clz_i32_u32_e32 v25, v66
	s_delay_alu instid0(VALU_DEP_1) | instskip(NEXT) | instid1(VALU_DEP_1)
	v_min_u32_e32 v25, 32, v25
	v_subrev_nc_u32_e32 v53, 28, v25
	s_delay_alu instid0(VALU_DEP_1) | instskip(NEXT) | instid1(VALU_DEP_1)
	v_lshlrev_b64_e32 v[86:87], v53, v[66:67]
	v_dual_sub_nc_u32 v25, 29, v25 :: v_dual_bitop2_b32 v86, 7, v86 bitop3:0x40
; %bb.662:                              ;   in Loop: Header=BB331_12 Depth=1
	s_or_b32 exec_lo, exec_lo, s22
	v_lshlrev_b32_e32 v53, 24, v70
	s_delay_alu instid0(VALU_DEP_2) | instskip(NEXT) | instid1(VALU_DEP_3)
	v_lshlrev_b32_e32 v66, 20, v86
	v_lshl_add_u32 v25, v25, 23, 0x3c000000
	s_delay_alu instid0(VALU_DEP_3) | instskip(NEXT) | instid1(VALU_DEP_1)
	v_and_b32_e32 v53, 0x80000000, v53
	v_or3_b32 v53, v66, v53, v25
.LBB331_663:                            ;   in Loop: Header=BB331_12 Depth=1
	s_or_b32 exec_lo, exec_lo, s21
.LBB331_664:                            ;   in Loop: Header=BB331_12 Depth=1
	s_delay_alu instid0(SALU_CYCLE_1)
	s_or_b32 exec_lo, exec_lo, s20
.LBB331_665:                            ;   in Loop: Header=BB331_12 Depth=1
	s_delay_alu instid0(SALU_CYCLE_1) | instskip(SKIP_2) | instid1(VALU_DEP_1)
	s_or_b32 exec_lo, exec_lo, s19
	v_lshrrev_b16 v25, 8, v70
	s_mov_b32 s19, exec_lo
	v_cmpx_ne_u16_e32 0, v25
	s_cbranch_execz .LBB331_673
; %bb.666:                              ;   in Loop: Header=BB331_12 Depth=1
	v_bfrev_b32_e32 v41, 1
	s_mov_b32 s20, exec_lo
	v_cmpx_ne_u16_e32 0x80, v25
	s_cbranch_execz .LBB331_672
; %bb.667:                              ;   in Loop: Header=BB331_12 Depth=1
	v_and_b32_e32 v25, 0xffff, v25
	v_mov_b32_e32 v41, 0x7f800001
	s_mov_b32 s21, exec_lo
	s_delay_alu instid0(VALU_DEP_2) | instskip(NEXT) | instid1(VALU_DEP_1)
	v_and_b32_e32 v71, 0x7f, v25
	v_cmpx_ne_u32_e32 0x7f, v71
	s_cbranch_execz .LBB331_671
; %bb.668:                              ;   in Loop: Header=BB331_12 Depth=1
	v_dual_lshrrev_b32 v25, 3, v71 :: v_dual_bitop2_b32 v66, 7, v25 bitop3:0x40
	s_mov_b32 s22, exec_lo
	s_delay_alu instid0(VALU_DEP_1)
	v_mov_b64_e32 v[86:87], v[66:67]
	v_cmpx_gt_u32_e32 8, v71
; %bb.669:                              ;   in Loop: Header=BB331_12 Depth=1
	v_clz_i32_u32_e32 v25, v66
	s_delay_alu instid0(VALU_DEP_1) | instskip(NEXT) | instid1(VALU_DEP_1)
	v_min_u32_e32 v25, 32, v25
	v_subrev_nc_u32_e32 v71, 28, v25
	s_delay_alu instid0(VALU_DEP_1) | instskip(NEXT) | instid1(VALU_DEP_1)
	v_lshlrev_b64_e32 v[86:87], v71, v[66:67]
	v_dual_sub_nc_u32 v25, 29, v25 :: v_dual_bitop2_b32 v86, 7, v86 bitop3:0x40
; %bb.670:                              ;   in Loop: Header=BB331_12 Depth=1
	s_or_b32 exec_lo, exec_lo, s22
	v_lshlrev_b32_e32 v66, 16, v70
	s_delay_alu instid0(VALU_DEP_2) | instskip(NEXT) | instid1(VALU_DEP_3)
	v_lshlrev_b32_e32 v71, 20, v86
	v_lshl_add_u32 v25, v25, 23, 0x3c000000
	s_delay_alu instid0(VALU_DEP_3) | instskip(NEXT) | instid1(VALU_DEP_1)
	v_and_b32_e32 v66, 0x80000000, v66
	v_or3_b32 v41, v71, v66, v25
.LBB331_671:                            ;   in Loop: Header=BB331_12 Depth=1
	s_or_b32 exec_lo, exec_lo, s21
.LBB331_672:                            ;   in Loop: Header=BB331_12 Depth=1
	s_delay_alu instid0(SALU_CYCLE_1)
	s_or_b32 exec_lo, exec_lo, s20
.LBB331_673:                            ;   in Loop: Header=BB331_12 Depth=1
	s_delay_alu instid0(SALU_CYCLE_1) | instskip(SKIP_3) | instid1(VALU_DEP_2)
	s_or_b32 exec_lo, exec_lo, s19
	v_dual_lshrrev_b32 v103, 16, v70 :: v_dual_mov_b32 v25, 0
	v_mov_b32_e32 v71, 0
	s_mov_b32 s19, exec_lo
	v_and_b32_e32 v66, 0xff, v103
	s_delay_alu instid0(VALU_DEP_1)
	v_cmpx_ne_u16_e32 0, v66
	s_cbranch_execz .LBB331_681
; %bb.674:                              ;   in Loop: Header=BB331_12 Depth=1
	v_bfrev_b32_e32 v71, 1
	s_mov_b32 s20, exec_lo
	v_cmpx_ne_u16_e32 0x80, v66
	s_cbranch_execz .LBB331_680
; %bb.675:                              ;   in Loop: Header=BB331_12 Depth=1
	v_bfe_u32 v86, v70, 16, 7
	v_mov_b32_e32 v71, 0x7f800001
	s_mov_b32 s21, exec_lo
	s_delay_alu instid0(VALU_DEP_2)
	v_cmpx_ne_u32_e32 0x7f, v86
	s_cbranch_execz .LBB331_679
; %bb.676:                              ;   in Loop: Header=BB331_12 Depth=1
	v_dual_lshrrev_b32 v71, 3, v86 :: v_dual_bitop2_b32 v66, 7, v103 bitop3:0x40
	v_cmp_gt_u32_e64 s3, 8, v86
	s_delay_alu instid0(VALU_DEP_2)
	v_mov_b64_e32 v[86:87], v[66:67]
	s_and_saveexec_b32 s22, s3
; %bb.677:                              ;   in Loop: Header=BB331_12 Depth=1
	v_clz_i32_u32_e32 v71, v66
	s_delay_alu instid0(VALU_DEP_1) | instskip(NEXT) | instid1(VALU_DEP_1)
	v_min_u32_e32 v71, 32, v71
	v_subrev_nc_u32_e32 v86, 28, v71
	s_delay_alu instid0(VALU_DEP_1) | instskip(NEXT) | instid1(VALU_DEP_1)
	v_lshlrev_b64_e32 v[86:87], v86, v[66:67]
	v_dual_sub_nc_u32 v71, 29, v71 :: v_dual_bitop2_b32 v86, 7, v86 bitop3:0x40
; %bb.678:                              ;   in Loop: Header=BB331_12 Depth=1
	s_or_b32 exec_lo, exec_lo, s22
	s_delay_alu instid0(VALU_DEP_1) | instskip(NEXT) | instid1(VALU_DEP_2)
	v_dual_lshlrev_b32 v66, 24, v103 :: v_dual_lshlrev_b32 v86, 20, v86
	v_lshl_add_u32 v71, v71, 23, 0x3c000000
	s_delay_alu instid0(VALU_DEP_2) | instskip(NEXT) | instid1(VALU_DEP_1)
	v_and_b32_e32 v66, 0x80000000, v66
	v_or3_b32 v71, v86, v66, v71
.LBB331_679:                            ;   in Loop: Header=BB331_12 Depth=1
	s_or_b32 exec_lo, exec_lo, s21
.LBB331_680:                            ;   in Loop: Header=BB331_12 Depth=1
	s_delay_alu instid0(SALU_CYCLE_1)
	s_or_b32 exec_lo, exec_lo, s20
.LBB331_681:                            ;   in Loop: Header=BB331_12 Depth=1
	s_delay_alu instid0(SALU_CYCLE_1) | instskip(NEXT) | instid1(SALU_CYCLE_1)
	s_or_b32 exec_lo, exec_lo, s19
	s_mov_b32 s19, exec_lo
	v_cmpx_lt_u32_e32 0xffffff, v70
	s_cbranch_execz .LBB331_689
; %bb.682:                              ;   in Loop: Header=BB331_12 Depth=1
	v_lshrrev_b32_e32 v103, 24, v70
	v_bfrev_b32_e32 v25, 1
	s_mov_b32 s20, exec_lo
	s_delay_alu instid0(VALU_DEP_2)
	v_cmpx_ne_u32_e32 0x80, v103
	s_cbranch_execz .LBB331_688
; %bb.683:                              ;   in Loop: Header=BB331_12 Depth=1
	v_bfe_u32 v70, v70, 24, 7
	v_mov_b32_e32 v25, 0x7f800001
	s_mov_b32 s21, exec_lo
	s_delay_alu instid0(VALU_DEP_2)
	v_cmpx_ne_u32_e32 0x7f, v70
	s_cbranch_execz .LBB331_687
; %bb.684:                              ;   in Loop: Header=BB331_12 Depth=1
	v_dual_lshrrev_b32 v25, 3, v70 :: v_dual_bitop2_b32 v66, 7, v103 bitop3:0x40
	s_mov_b32 s22, exec_lo
	s_delay_alu instid0(VALU_DEP_1)
	v_mov_b64_e32 v[86:87], v[66:67]
	v_cmpx_gt_u32_e32 8, v70
; %bb.685:                              ;   in Loop: Header=BB331_12 Depth=1
	v_clz_i32_u32_e32 v25, v66
	s_delay_alu instid0(VALU_DEP_1) | instskip(NEXT) | instid1(VALU_DEP_1)
	v_min_u32_e32 v25, 32, v25
	v_subrev_nc_u32_e32 v70, 28, v25
	s_delay_alu instid0(VALU_DEP_1) | instskip(NEXT) | instid1(VALU_DEP_1)
	v_lshlrev_b64_e32 v[86:87], v70, v[66:67]
	v_dual_sub_nc_u32 v25, 29, v25 :: v_dual_bitop2_b32 v86, 7, v86 bitop3:0x40
; %bb.686:                              ;   in Loop: Header=BB331_12 Depth=1
	s_or_b32 exec_lo, exec_lo, s22
	s_delay_alu instid0(VALU_DEP_1) | instskip(NEXT) | instid1(VALU_DEP_2)
	v_dual_lshlrev_b32 v66, 24, v103 :: v_dual_lshlrev_b32 v70, 20, v86
	v_lshl_add_u32 v25, v25, 23, 0x3c000000
	s_delay_alu instid0(VALU_DEP_2) | instskip(NEXT) | instid1(VALU_DEP_1)
	v_and_b32_e32 v66, 0x80000000, v66
	v_or3_b32 v25, v70, v66, v25
.LBB331_687:                            ;   in Loop: Header=BB331_12 Depth=1
	s_or_b32 exec_lo, exec_lo, s21
.LBB331_688:                            ;   in Loop: Header=BB331_12 Depth=1
	s_delay_alu instid0(SALU_CYCLE_1)
	s_or_b32 exec_lo, exec_lo, s20
.LBB331_689:                            ;   in Loop: Header=BB331_12 Depth=1
	s_delay_alu instid0(SALU_CYCLE_1)
	s_or_b32 exec_lo, exec_lo, s19
	flat_load_b32 v103, v[84:85] offset:2568
	v_dual_mov_b32 v43, 0 :: v_dual_mov_b32 v42, 0
	s_mov_b32 s19, exec_lo
	s_wait_loadcnt_dscnt 0x0
	v_and_b32_e32 v66, 0xff, v103
	s_wait_xcnt 0x0
	s_delay_alu instid0(VALU_DEP_1)
	v_cmpx_ne_u16_e32 0, v66
	s_cbranch_execz .LBB331_697
; %bb.690:                              ;   in Loop: Header=BB331_12 Depth=1
	v_bfrev_b32_e32 v42, 1
	s_mov_b32 s20, exec_lo
	v_cmpx_ne_u16_e32 0x80, v66
	s_cbranch_execz .LBB331_696
; %bb.691:                              ;   in Loop: Header=BB331_12 Depth=1
	v_and_b32_e32 v86, 0x7f, v103
	v_mov_b32_e32 v42, 0x7f800001
	s_mov_b32 s21, exec_lo
	s_delay_alu instid0(VALU_DEP_2)
	v_cmpx_ne_u32_e32 0x7f, v86
	s_cbranch_execz .LBB331_695
; %bb.692:                              ;   in Loop: Header=BB331_12 Depth=1
	v_dual_lshrrev_b32 v70, 3, v86 :: v_dual_bitop2_b32 v66, 7, v103 bitop3:0x40
	v_cmp_gt_u32_e64 s3, 8, v86
	s_delay_alu instid0(VALU_DEP_2)
	v_mov_b64_e32 v[86:87], v[66:67]
	s_and_saveexec_b32 s22, s3
; %bb.693:                              ;   in Loop: Header=BB331_12 Depth=1
	v_clz_i32_u32_e32 v70, v66
	s_delay_alu instid0(VALU_DEP_1) | instskip(NEXT) | instid1(VALU_DEP_1)
	v_min_u32_e32 v70, 32, v70
	v_subrev_nc_u32_e32 v86, 28, v70
	v_sub_nc_u32_e32 v70, 29, v70
	s_delay_alu instid0(VALU_DEP_2) | instskip(NEXT) | instid1(VALU_DEP_1)
	v_lshlrev_b64_e32 v[86:87], v86, v[66:67]
	v_and_b32_e32 v86, 7, v86
; %bb.694:                              ;   in Loop: Header=BB331_12 Depth=1
	s_or_b32 exec_lo, exec_lo, s22
	s_delay_alu instid0(VALU_DEP_1) | instskip(SKIP_1) | instid1(VALU_DEP_2)
	v_dual_lshlrev_b32 v66, 24, v103 :: v_dual_lshlrev_b32 v86, 20, v86
	v_lshl_add_u32 v70, v70, 23, 0x3c000000
	v_and_b32_e32 v66, 0x80000000, v66
	s_delay_alu instid0(VALU_DEP_1)
	v_or3_b32 v42, v86, v66, v70
.LBB331_695:                            ;   in Loop: Header=BB331_12 Depth=1
	s_or_b32 exec_lo, exec_lo, s21
.LBB331_696:                            ;   in Loop: Header=BB331_12 Depth=1
	s_delay_alu instid0(SALU_CYCLE_1)
	s_or_b32 exec_lo, exec_lo, s20
.LBB331_697:                            ;   in Loop: Header=BB331_12 Depth=1
	s_delay_alu instid0(SALU_CYCLE_1) | instskip(SKIP_2) | instid1(VALU_DEP_1)
	s_or_b32 exec_lo, exec_lo, s19
	v_lshrrev_b16 v66, 8, v103
	s_mov_b32 s19, exec_lo
	v_cmpx_ne_u16_e32 0, v66
	s_cbranch_execz .LBB331_705
; %bb.698:                              ;   in Loop: Header=BB331_12 Depth=1
	v_bfrev_b32_e32 v43, 1
	s_mov_b32 s20, exec_lo
	v_cmpx_ne_u16_e32 0x80, v66
	s_cbranch_execz .LBB331_704
; %bb.699:                              ;   in Loop: Header=BB331_12 Depth=1
	v_and_b32_e32 v66, 0xffff, v66
	v_mov_b32_e32 v43, 0x7f800001
	s_mov_b32 s21, exec_lo
	s_delay_alu instid0(VALU_DEP_2) | instskip(NEXT) | instid1(VALU_DEP_1)
	v_and_b32_e32 v40, 0x7f, v66
	v_cmpx_ne_u32_e32 0x7f, v40
	s_cbranch_execz .LBB331_703
; %bb.700:                              ;   in Loop: Header=BB331_12 Depth=1
	v_dual_lshrrev_b32 v70, 3, v40 :: v_dual_bitop2_b32 v66, 7, v66 bitop3:0x40
	s_mov_b32 s22, exec_lo
	s_delay_alu instid0(VALU_DEP_1)
	v_mov_b64_e32 v[86:87], v[66:67]
	v_cmpx_gt_u32_e32 8, v40
; %bb.701:                              ;   in Loop: Header=BB331_12 Depth=1
	v_clz_i32_u32_e32 v70, v66
	s_delay_alu instid0(VALU_DEP_1) | instskip(NEXT) | instid1(VALU_DEP_1)
	v_min_u32_e32 v70, 32, v70
	v_subrev_nc_u32_e32 v86, 28, v70
	v_sub_nc_u32_e32 v70, 29, v70
	s_delay_alu instid0(VALU_DEP_2) | instskip(NEXT) | instid1(VALU_DEP_1)
	v_lshlrev_b64_e32 v[86:87], v86, v[66:67]
	v_and_b32_e32 v86, 7, v86
; %bb.702:                              ;   in Loop: Header=BB331_12 Depth=1
	s_or_b32 exec_lo, exec_lo, s22
	s_delay_alu instid0(VALU_DEP_1) | instskip(SKIP_1) | instid1(VALU_DEP_2)
	v_dual_lshlrev_b32 v66, 16, v103 :: v_dual_lshlrev_b32 v86, 20, v86
	v_lshl_add_u32 v70, v70, 23, 0x3c000000
	v_and_b32_e32 v66, 0x80000000, v66
	s_delay_alu instid0(VALU_DEP_1)
	v_or3_b32 v43, v86, v66, v70
.LBB331_703:                            ;   in Loop: Header=BB331_12 Depth=1
	s_or_b32 exec_lo, exec_lo, s21
.LBB331_704:                            ;   in Loop: Header=BB331_12 Depth=1
	s_delay_alu instid0(SALU_CYCLE_1)
	s_or_b32 exec_lo, exec_lo, s20
.LBB331_705:                            ;   in Loop: Header=BB331_12 Depth=1
	s_delay_alu instid0(SALU_CYCLE_1) | instskip(SKIP_3) | instid1(VALU_DEP_2)
	s_or_b32 exec_lo, exec_lo, s19
	v_dual_lshrrev_b32 v40, 16, v103 :: v_dual_mov_b32 v70, 0
	v_mov_b32_e32 v44, 0
	s_mov_b32 s19, exec_lo
	v_and_b32_e32 v66, 0xff, v40
	s_delay_alu instid0(VALU_DEP_1)
	v_cmpx_ne_u16_e32 0, v66
	s_cbranch_execz .LBB331_713
; %bb.706:                              ;   in Loop: Header=BB331_12 Depth=1
	v_bfrev_b32_e32 v44, 1
	s_mov_b32 s20, exec_lo
	v_cmpx_ne_u16_e32 0x80, v66
	s_cbranch_execz .LBB331_712
; %bb.707:                              ;   in Loop: Header=BB331_12 Depth=1
	v_bfe_u32 v45, v103, 16, 7
	v_mov_b32_e32 v44, 0x7f800001
	s_mov_b32 s21, exec_lo
	s_delay_alu instid0(VALU_DEP_2)
	v_cmpx_ne_u32_e32 0x7f, v45
	s_cbranch_execz .LBB331_711
; %bb.708:                              ;   in Loop: Header=BB331_12 Depth=1
	v_and_b32_e32 v66, 7, v40
	s_mov_b32 s22, exec_lo
	s_delay_alu instid0(VALU_DEP_1)
	v_mov_b64_e32 v[86:87], v[66:67]
	v_lshrrev_b32_e32 v87, 3, v45
	v_cmpx_gt_u32_e32 8, v45
; %bb.709:                              ;   in Loop: Header=BB331_12 Depth=1
	v_clz_i32_u32_e32 v86, v66
	s_delay_alu instid0(VALU_DEP_1) | instskip(NEXT) | instid1(VALU_DEP_1)
	v_min_u32_e32 v44, 32, v86
	v_subrev_nc_u32_e32 v86, 28, v44
	s_delay_alu instid0(VALU_DEP_1) | instskip(NEXT) | instid1(VALU_DEP_1)
	v_lshlrev_b64_e32 v[86:87], v86, v[66:67]
	v_dual_sub_nc_u32 v87, 29, v44 :: v_dual_bitop2_b32 v86, 7, v86 bitop3:0x40
; %bb.710:                              ;   in Loop: Header=BB331_12 Depth=1
	s_or_b32 exec_lo, exec_lo, s22
	s_delay_alu instid0(VALU_DEP_1) | instskip(NEXT) | instid1(VALU_DEP_2)
	v_dual_lshlrev_b32 v66, 24, v40 :: v_dual_lshlrev_b32 v86, 20, v86
	v_lshl_add_u32 v87, v87, 23, 0x3c000000
	s_delay_alu instid0(VALU_DEP_2) | instskip(NEXT) | instid1(VALU_DEP_1)
	v_and_b32_e32 v66, 0x80000000, v66
	v_or3_b32 v44, v86, v66, v87
.LBB331_711:                            ;   in Loop: Header=BB331_12 Depth=1
	s_or_b32 exec_lo, exec_lo, s21
.LBB331_712:                            ;   in Loop: Header=BB331_12 Depth=1
	s_delay_alu instid0(SALU_CYCLE_1)
	s_or_b32 exec_lo, exec_lo, s20
.LBB331_713:                            ;   in Loop: Header=BB331_12 Depth=1
	s_delay_alu instid0(SALU_CYCLE_1) | instskip(NEXT) | instid1(SALU_CYCLE_1)
	s_or_b32 exec_lo, exec_lo, s19
	s_mov_b32 s19, exec_lo
	v_cmpx_lt_u32_e32 0xffffff, v103
	s_cbranch_execz .LBB331_721
; %bb.714:                              ;   in Loop: Header=BB331_12 Depth=1
	v_lshrrev_b32_e32 v40, 24, v103
	v_bfrev_b32_e32 v70, 1
	s_mov_b32 s20, exec_lo
	s_delay_alu instid0(VALU_DEP_2)
	v_cmpx_ne_u32_e32 0x80, v40
	s_cbranch_execz .LBB331_720
; %bb.715:                              ;   in Loop: Header=BB331_12 Depth=1
	v_bfe_u32 v103, v103, 24, 7
	v_mov_b32_e32 v70, 0x7f800001
	s_mov_b32 s21, exec_lo
	s_delay_alu instid0(VALU_DEP_2)
	v_cmpx_ne_u32_e32 0x7f, v103
	s_cbranch_execz .LBB331_719
; %bb.716:                              ;   in Loop: Header=BB331_12 Depth=1
	v_dual_lshrrev_b32 v70, 3, v103 :: v_dual_bitop2_b32 v66, 7, v40 bitop3:0x40
	s_mov_b32 s22, exec_lo
	s_delay_alu instid0(VALU_DEP_1)
	v_mov_b64_e32 v[86:87], v[66:67]
	v_cmpx_gt_u32_e32 8, v103
; %bb.717:                              ;   in Loop: Header=BB331_12 Depth=1
	v_clz_i32_u32_e32 v70, v66
	s_delay_alu instid0(VALU_DEP_1) | instskip(NEXT) | instid1(VALU_DEP_1)
	v_min_u32_e32 v70, 32, v70
	v_subrev_nc_u32_e32 v86, 28, v70
	v_sub_nc_u32_e32 v70, 29, v70
	s_delay_alu instid0(VALU_DEP_2) | instskip(NEXT) | instid1(VALU_DEP_1)
	v_lshlrev_b64_e32 v[86:87], v86, v[66:67]
	v_and_b32_e32 v86, 7, v86
; %bb.718:                              ;   in Loop: Header=BB331_12 Depth=1
	s_or_b32 exec_lo, exec_lo, s22
	s_delay_alu instid0(VALU_DEP_1) | instskip(SKIP_1) | instid1(VALU_DEP_2)
	v_dual_lshlrev_b32 v66, 24, v40 :: v_dual_lshlrev_b32 v86, 20, v86
	v_lshl_add_u32 v70, v70, 23, 0x3c000000
	v_and_b32_e32 v66, 0x80000000, v66
	s_delay_alu instid0(VALU_DEP_1)
	v_or3_b32 v70, v86, v66, v70
.LBB331_719:                            ;   in Loop: Header=BB331_12 Depth=1
	s_or_b32 exec_lo, exec_lo, s21
.LBB331_720:                            ;   in Loop: Header=BB331_12 Depth=1
	s_delay_alu instid0(SALU_CYCLE_1)
	s_or_b32 exec_lo, exec_lo, s20
.LBB331_721:                            ;   in Loop: Header=BB331_12 Depth=1
	s_delay_alu instid0(SALU_CYCLE_1)
	s_or_b32 exec_lo, exec_lo, s19
	flat_load_b32 v103, v[84:85] offset:2816
	v_dual_mov_b32 v46, 0 :: v_dual_mov_b32 v45, 0
	s_mov_b32 s19, exec_lo
	s_wait_loadcnt_dscnt 0x0
	v_and_b32_e32 v66, 0xff, v103
	s_wait_xcnt 0x0
	s_delay_alu instid0(VALU_DEP_1)
	v_cmpx_ne_u16_e32 0, v66
	s_cbranch_execz .LBB331_729
; %bb.722:                              ;   in Loop: Header=BB331_12 Depth=1
	v_bfrev_b32_e32 v45, 1
	s_mov_b32 s20, exec_lo
	v_cmpx_ne_u16_e32 0x80, v66
	s_cbranch_execz .LBB331_728
; %bb.723:                              ;   in Loop: Header=BB331_12 Depth=1
	v_and_b32_e32 v40, 0x7f, v103
	v_mov_b32_e32 v45, 0x7f800001
	s_mov_b32 s21, exec_lo
	s_delay_alu instid0(VALU_DEP_2)
	v_cmpx_ne_u32_e32 0x7f, v40
	s_cbranch_execz .LBB331_727
; %bb.724:                              ;   in Loop: Header=BB331_12 Depth=1
	v_and_b32_e32 v66, 7, v103
	s_mov_b32 s22, exec_lo
	s_delay_alu instid0(VALU_DEP_1)
	v_mov_b64_e32 v[86:87], v[66:67]
	v_lshrrev_b32_e32 v87, 3, v40
	v_cmpx_gt_u32_e32 8, v40
; %bb.725:                              ;   in Loop: Header=BB331_12 Depth=1
	v_clz_i32_u32_e32 v86, v66
	s_delay_alu instid0(VALU_DEP_1) | instskip(NEXT) | instid1(VALU_DEP_1)
	v_min_u32_e32 v40, 32, v86
	v_subrev_nc_u32_e32 v86, 28, v40
	s_delay_alu instid0(VALU_DEP_1) | instskip(NEXT) | instid1(VALU_DEP_1)
	v_lshlrev_b64_e32 v[86:87], v86, v[66:67]
	v_dual_sub_nc_u32 v87, 29, v40 :: v_dual_bitop2_b32 v86, 7, v86 bitop3:0x40
; %bb.726:                              ;   in Loop: Header=BB331_12 Depth=1
	s_or_b32 exec_lo, exec_lo, s22
	s_delay_alu instid0(VALU_DEP_1) | instskip(NEXT) | instid1(VALU_DEP_2)
	v_dual_lshlrev_b32 v66, 24, v103 :: v_dual_lshlrev_b32 v86, 20, v86
	v_lshl_add_u32 v87, v87, 23, 0x3c000000
	s_delay_alu instid0(VALU_DEP_2) | instskip(NEXT) | instid1(VALU_DEP_1)
	v_and_b32_e32 v66, 0x80000000, v66
	v_or3_b32 v45, v86, v66, v87
.LBB331_727:                            ;   in Loop: Header=BB331_12 Depth=1
	s_or_b32 exec_lo, exec_lo, s21
.LBB331_728:                            ;   in Loop: Header=BB331_12 Depth=1
	s_delay_alu instid0(SALU_CYCLE_1)
	s_or_b32 exec_lo, exec_lo, s20
.LBB331_729:                            ;   in Loop: Header=BB331_12 Depth=1
	s_delay_alu instid0(SALU_CYCLE_1) | instskip(SKIP_2) | instid1(VALU_DEP_1)
	s_or_b32 exec_lo, exec_lo, s19
	v_lshrrev_b16 v66, 8, v103
	s_mov_b32 s19, exec_lo
	v_cmpx_ne_u16_e32 0, v66
	s_cbranch_execz .LBB331_737
; %bb.730:                              ;   in Loop: Header=BB331_12 Depth=1
	v_bfrev_b32_e32 v46, 1
	s_mov_b32 s20, exec_lo
	v_cmpx_ne_u16_e32 0x80, v66
	s_cbranch_execz .LBB331_736
; %bb.731:                              ;   in Loop: Header=BB331_12 Depth=1
	v_and_b32_e32 v66, 0xffff, v66
	v_mov_b32_e32 v46, 0x7f800001
	s_mov_b32 s21, exec_lo
	s_delay_alu instid0(VALU_DEP_2) | instskip(NEXT) | instid1(VALU_DEP_1)
	v_and_b32_e32 v40, 0x7f, v66
	v_cmpx_ne_u32_e32 0x7f, v40
	s_cbranch_execz .LBB331_735
; %bb.732:                              ;   in Loop: Header=BB331_12 Depth=1
	v_and_b32_e32 v66, 7, v66
	s_mov_b32 s22, exec_lo
	s_delay_alu instid0(VALU_DEP_1)
	v_mov_b64_e32 v[86:87], v[66:67]
	v_lshrrev_b32_e32 v87, 3, v40
	v_cmpx_gt_u32_e32 8, v40
; %bb.733:                              ;   in Loop: Header=BB331_12 Depth=1
	v_clz_i32_u32_e32 v86, v66
	s_delay_alu instid0(VALU_DEP_1) | instskip(NEXT) | instid1(VALU_DEP_1)
	v_min_u32_e32 v40, 32, v86
	v_subrev_nc_u32_e32 v86, 28, v40
	s_delay_alu instid0(VALU_DEP_1) | instskip(NEXT) | instid1(VALU_DEP_1)
	v_lshlrev_b64_e32 v[86:87], v86, v[66:67]
	v_dual_sub_nc_u32 v87, 29, v40 :: v_dual_bitop2_b32 v86, 7, v86 bitop3:0x40
; %bb.734:                              ;   in Loop: Header=BB331_12 Depth=1
	s_or_b32 exec_lo, exec_lo, s22
	s_delay_alu instid0(VALU_DEP_1) | instskip(NEXT) | instid1(VALU_DEP_2)
	v_dual_lshlrev_b32 v66, 16, v103 :: v_dual_lshlrev_b32 v86, 20, v86
	v_lshl_add_u32 v87, v87, 23, 0x3c000000
	s_delay_alu instid0(VALU_DEP_2) | instskip(NEXT) | instid1(VALU_DEP_1)
	v_and_b32_e32 v66, 0x80000000, v66
	v_or3_b32 v46, v86, v66, v87
.LBB331_735:                            ;   in Loop: Header=BB331_12 Depth=1
	s_or_b32 exec_lo, exec_lo, s21
.LBB331_736:                            ;   in Loop: Header=BB331_12 Depth=1
	s_delay_alu instid0(SALU_CYCLE_1)
	s_or_b32 exec_lo, exec_lo, s20
.LBB331_737:                            ;   in Loop: Header=BB331_12 Depth=1
	s_delay_alu instid0(SALU_CYCLE_1) | instskip(SKIP_3) | instid1(VALU_DEP_2)
	s_or_b32 exec_lo, exec_lo, s19
	v_dual_lshrrev_b32 v56, 16, v103 :: v_dual_mov_b32 v40, 0
	v_mov_b32_e32 v47, 0
	s_mov_b32 s19, exec_lo
	v_and_b32_e32 v66, 0xff, v56
	s_delay_alu instid0(VALU_DEP_1)
	v_cmpx_ne_u16_e32 0, v66
	s_cbranch_execz .LBB331_745
; %bb.738:                              ;   in Loop: Header=BB331_12 Depth=1
	v_bfrev_b32_e32 v47, 1
	s_mov_b32 s20, exec_lo
	v_cmpx_ne_u16_e32 0x80, v66
	s_cbranch_execz .LBB331_744
; %bb.739:                              ;   in Loop: Header=BB331_12 Depth=1
	v_bfe_u32 v57, v103, 16, 7
	v_mov_b32_e32 v47, 0x7f800001
	s_mov_b32 s21, exec_lo
	s_delay_alu instid0(VALU_DEP_2)
	v_cmpx_ne_u32_e32 0x7f, v57
	s_cbranch_execz .LBB331_743
; %bb.740:                              ;   in Loop: Header=BB331_12 Depth=1
	v_and_b32_e32 v66, 7, v56
	s_mov_b32 s22, exec_lo
	s_delay_alu instid0(VALU_DEP_1)
	v_mov_b64_e32 v[86:87], v[66:67]
	v_lshrrev_b32_e32 v87, 3, v57
	v_cmpx_gt_u32_e32 8, v57
; %bb.741:                              ;   in Loop: Header=BB331_12 Depth=1
	v_clz_i32_u32_e32 v86, v66
	s_delay_alu instid0(VALU_DEP_1) | instskip(NEXT) | instid1(VALU_DEP_1)
	v_min_u32_e32 v47, 32, v86
	v_subrev_nc_u32_e32 v86, 28, v47
	s_delay_alu instid0(VALU_DEP_1) | instskip(NEXT) | instid1(VALU_DEP_1)
	v_lshlrev_b64_e32 v[86:87], v86, v[66:67]
	v_dual_sub_nc_u32 v87, 29, v47 :: v_dual_bitop2_b32 v86, 7, v86 bitop3:0x40
; %bb.742:                              ;   in Loop: Header=BB331_12 Depth=1
	s_or_b32 exec_lo, exec_lo, s22
	s_delay_alu instid0(VALU_DEP_1) | instskip(NEXT) | instid1(VALU_DEP_2)
	v_dual_lshlrev_b32 v66, 24, v56 :: v_dual_lshlrev_b32 v86, 20, v86
	v_lshl_add_u32 v87, v87, 23, 0x3c000000
	s_delay_alu instid0(VALU_DEP_2) | instskip(NEXT) | instid1(VALU_DEP_1)
	v_and_b32_e32 v66, 0x80000000, v66
	v_or3_b32 v47, v86, v66, v87
.LBB331_743:                            ;   in Loop: Header=BB331_12 Depth=1
	s_or_b32 exec_lo, exec_lo, s21
.LBB331_744:                            ;   in Loop: Header=BB331_12 Depth=1
	s_delay_alu instid0(SALU_CYCLE_1)
	s_or_b32 exec_lo, exec_lo, s20
.LBB331_745:                            ;   in Loop: Header=BB331_12 Depth=1
	s_delay_alu instid0(SALU_CYCLE_1) | instskip(NEXT) | instid1(SALU_CYCLE_1)
	s_or_b32 exec_lo, exec_lo, s19
	s_mov_b32 s19, exec_lo
	v_cmpx_lt_u32_e32 0xffffff, v103
	s_cbranch_execz .LBB331_753
; %bb.746:                              ;   in Loop: Header=BB331_12 Depth=1
	v_lshrrev_b32_e32 v56, 24, v103
	v_bfrev_b32_e32 v40, 1
	s_mov_b32 s20, exec_lo
	s_delay_alu instid0(VALU_DEP_2)
	v_cmpx_ne_u32_e32 0x80, v56
	s_cbranch_execz .LBB331_752
; %bb.747:                              ;   in Loop: Header=BB331_12 Depth=1
	v_bfe_u32 v103, v103, 24, 7
	v_mov_b32_e32 v40, 0x7f800001
	s_mov_b32 s21, exec_lo
	s_delay_alu instid0(VALU_DEP_2)
	v_cmpx_ne_u32_e32 0x7f, v103
	s_cbranch_execz .LBB331_751
; %bb.748:                              ;   in Loop: Header=BB331_12 Depth=1
	v_and_b32_e32 v66, 7, v56
	s_mov_b32 s22, exec_lo
	s_delay_alu instid0(VALU_DEP_1)
	v_mov_b64_e32 v[86:87], v[66:67]
	v_lshrrev_b32_e32 v87, 3, v103
	v_cmpx_gt_u32_e32 8, v103
; %bb.749:                              ;   in Loop: Header=BB331_12 Depth=1
	v_clz_i32_u32_e32 v86, v66
	s_delay_alu instid0(VALU_DEP_1) | instskip(NEXT) | instid1(VALU_DEP_1)
	v_min_u32_e32 v103, 32, v86
	v_subrev_nc_u32_e32 v86, 28, v103
	s_delay_alu instid0(VALU_DEP_1) | instskip(NEXT) | instid1(VALU_DEP_1)
	v_lshlrev_b64_e32 v[86:87], v86, v[66:67]
	v_dual_sub_nc_u32 v87, 29, v103 :: v_dual_bitop2_b32 v86, 7, v86 bitop3:0x40
; %bb.750:                              ;   in Loop: Header=BB331_12 Depth=1
	s_or_b32 exec_lo, exec_lo, s22
	s_delay_alu instid0(VALU_DEP_1) | instskip(NEXT) | instid1(VALU_DEP_2)
	v_dual_lshlrev_b32 v66, 24, v56 :: v_dual_lshlrev_b32 v86, 20, v86
	v_lshl_add_u32 v87, v87, 23, 0x3c000000
	s_delay_alu instid0(VALU_DEP_2) | instskip(NEXT) | instid1(VALU_DEP_1)
	v_and_b32_e32 v66, 0x80000000, v66
	v_or3_b32 v40, v86, v66, v87
.LBB331_751:                            ;   in Loop: Header=BB331_12 Depth=1
	s_or_b32 exec_lo, exec_lo, s21
.LBB331_752:                            ;   in Loop: Header=BB331_12 Depth=1
	s_delay_alu instid0(SALU_CYCLE_1)
	s_or_b32 exec_lo, exec_lo, s20
.LBB331_753:                            ;   in Loop: Header=BB331_12 Depth=1
	s_delay_alu instid0(SALU_CYCLE_1)
	s_or_b32 exec_lo, exec_lo, s19
	flat_load_b32 v103, v[84:85] offset:2824
	v_dual_mov_b32 v57, 0 :: v_dual_mov_b32 v56, 0
	s_mov_b32 s19, exec_lo
	s_wait_loadcnt_dscnt 0x0
	v_and_b32_e32 v66, 0xff, v103
	s_wait_xcnt 0x0
	s_delay_alu instid0(VALU_DEP_1)
	v_cmpx_ne_u16_e32 0, v66
	s_cbranch_execz .LBB331_761
; %bb.754:                              ;   in Loop: Header=BB331_12 Depth=1
	v_bfrev_b32_e32 v56, 1
	s_mov_b32 s20, exec_lo
	v_cmpx_ne_u16_e32 0x80, v66
	s_cbranch_execz .LBB331_760
; %bb.755:                              ;   in Loop: Header=BB331_12 Depth=1
	v_and_b32_e32 v58, 0x7f, v103
	v_mov_b32_e32 v56, 0x7f800001
	s_mov_b32 s21, exec_lo
	s_delay_alu instid0(VALU_DEP_2)
	v_cmpx_ne_u32_e32 0x7f, v58
	s_cbranch_execz .LBB331_759
; %bb.756:                              ;   in Loop: Header=BB331_12 Depth=1
	v_and_b32_e32 v66, 7, v103
	s_mov_b32 s22, exec_lo
	s_delay_alu instid0(VALU_DEP_1)
	v_mov_b64_e32 v[86:87], v[66:67]
	v_lshrrev_b32_e32 v87, 3, v58
	v_cmpx_gt_u32_e32 8, v58
; %bb.757:                              ;   in Loop: Header=BB331_12 Depth=1
	v_clz_i32_u32_e32 v86, v66
	s_delay_alu instid0(VALU_DEP_1) | instskip(NEXT) | instid1(VALU_DEP_1)
	v_min_u32_e32 v56, 32, v86
	v_subrev_nc_u32_e32 v86, 28, v56
	s_delay_alu instid0(VALU_DEP_1) | instskip(NEXT) | instid1(VALU_DEP_1)
	v_lshlrev_b64_e32 v[86:87], v86, v[66:67]
	v_dual_sub_nc_u32 v87, 29, v56 :: v_dual_bitop2_b32 v86, 7, v86 bitop3:0x40
; %bb.758:                              ;   in Loop: Header=BB331_12 Depth=1
	s_or_b32 exec_lo, exec_lo, s22
	s_delay_alu instid0(VALU_DEP_1) | instskip(NEXT) | instid1(VALU_DEP_2)
	v_dual_lshlrev_b32 v66, 24, v103 :: v_dual_lshlrev_b32 v86, 20, v86
	v_lshl_add_u32 v87, v87, 23, 0x3c000000
	s_delay_alu instid0(VALU_DEP_2) | instskip(NEXT) | instid1(VALU_DEP_1)
	v_and_b32_e32 v66, 0x80000000, v66
	v_or3_b32 v56, v86, v66, v87
.LBB331_759:                            ;   in Loop: Header=BB331_12 Depth=1
	s_or_b32 exec_lo, exec_lo, s21
.LBB331_760:                            ;   in Loop: Header=BB331_12 Depth=1
	s_delay_alu instid0(SALU_CYCLE_1)
	s_or_b32 exec_lo, exec_lo, s20
.LBB331_761:                            ;   in Loop: Header=BB331_12 Depth=1
	s_delay_alu instid0(SALU_CYCLE_1) | instskip(SKIP_2) | instid1(VALU_DEP_1)
	s_or_b32 exec_lo, exec_lo, s19
	v_lshrrev_b16 v66, 8, v103
	s_mov_b32 s19, exec_lo
	v_cmpx_ne_u16_e32 0, v66
	s_cbranch_execz .LBB331_769
; %bb.762:                              ;   in Loop: Header=BB331_12 Depth=1
	v_bfrev_b32_e32 v57, 1
	s_mov_b32 s20, exec_lo
	v_cmpx_ne_u16_e32 0x80, v66
	s_cbranch_execz .LBB331_768
; %bb.763:                              ;   in Loop: Header=BB331_12 Depth=1
	v_and_b32_e32 v66, 0xffff, v66
	v_mov_b32_e32 v57, 0x7f800001
	s_mov_b32 s21, exec_lo
	s_delay_alu instid0(VALU_DEP_2) | instskip(NEXT) | instid1(VALU_DEP_1)
	v_and_b32_e32 v58, 0x7f, v66
	v_cmpx_ne_u32_e32 0x7f, v58
	s_cbranch_execz .LBB331_767
; %bb.764:                              ;   in Loop: Header=BB331_12 Depth=1
	v_and_b32_e32 v66, 7, v66
	s_mov_b32 s22, exec_lo
	s_delay_alu instid0(VALU_DEP_1)
	v_mov_b64_e32 v[86:87], v[66:67]
	v_lshrrev_b32_e32 v87, 3, v58
	v_cmpx_gt_u32_e32 8, v58
; %bb.765:                              ;   in Loop: Header=BB331_12 Depth=1
	v_clz_i32_u32_e32 v86, v66
	s_delay_alu instid0(VALU_DEP_1) | instskip(NEXT) | instid1(VALU_DEP_1)
	v_min_u32_e32 v57, 32, v86
	v_subrev_nc_u32_e32 v86, 28, v57
	s_delay_alu instid0(VALU_DEP_1) | instskip(NEXT) | instid1(VALU_DEP_1)
	v_lshlrev_b64_e32 v[86:87], v86, v[66:67]
	v_dual_sub_nc_u32 v87, 29, v57 :: v_dual_bitop2_b32 v86, 7, v86 bitop3:0x40
; %bb.766:                              ;   in Loop: Header=BB331_12 Depth=1
	s_or_b32 exec_lo, exec_lo, s22
	s_delay_alu instid0(VALU_DEP_1) | instskip(NEXT) | instid1(VALU_DEP_2)
	v_dual_lshlrev_b32 v66, 16, v103 :: v_dual_lshlrev_b32 v86, 20, v86
	v_lshl_add_u32 v87, v87, 23, 0x3c000000
	s_delay_alu instid0(VALU_DEP_2) | instskip(NEXT) | instid1(VALU_DEP_1)
	v_and_b32_e32 v66, 0x80000000, v66
	v_or3_b32 v57, v86, v66, v87
.LBB331_767:                            ;   in Loop: Header=BB331_12 Depth=1
	s_or_b32 exec_lo, exec_lo, s21
.LBB331_768:                            ;   in Loop: Header=BB331_12 Depth=1
	s_delay_alu instid0(SALU_CYCLE_1)
	s_or_b32 exec_lo, exec_lo, s20
.LBB331_769:                            ;   in Loop: Header=BB331_12 Depth=1
	s_delay_alu instid0(SALU_CYCLE_1) | instskip(SKIP_3) | instid1(VALU_DEP_2)
	s_or_b32 exec_lo, exec_lo, s19
	v_dual_mov_b32 v59, 0 :: v_dual_lshrrev_b32 v58, 16, v103
	v_mov_b32_e32 v60, 0
	s_mov_b32 s19, exec_lo
	v_and_b32_e32 v66, 0xff, v58
	s_delay_alu instid0(VALU_DEP_1)
	v_cmpx_ne_u16_e32 0, v66
	s_cbranch_execz .LBB331_777
; %bb.770:                              ;   in Loop: Header=BB331_12 Depth=1
	v_bfrev_b32_e32 v60, 1
	s_mov_b32 s20, exec_lo
	v_cmpx_ne_u16_e32 0x80, v66
	s_cbranch_execz .LBB331_776
; %bb.771:                              ;   in Loop: Header=BB331_12 Depth=1
	v_bfe_u32 v61, v103, 16, 7
	v_mov_b32_e32 v60, 0x7f800001
	s_mov_b32 s21, exec_lo
	s_delay_alu instid0(VALU_DEP_2)
	v_cmpx_ne_u32_e32 0x7f, v61
	s_cbranch_execz .LBB331_775
; %bb.772:                              ;   in Loop: Header=BB331_12 Depth=1
	v_and_b32_e32 v66, 7, v58
	s_mov_b32 s22, exec_lo
	s_delay_alu instid0(VALU_DEP_1)
	v_mov_b64_e32 v[86:87], v[66:67]
	v_lshrrev_b32_e32 v87, 3, v61
	v_cmpx_gt_u32_e32 8, v61
; %bb.773:                              ;   in Loop: Header=BB331_12 Depth=1
	v_clz_i32_u32_e32 v86, v66
	s_delay_alu instid0(VALU_DEP_1) | instskip(NEXT) | instid1(VALU_DEP_1)
	v_min_u32_e32 v60, 32, v86
	v_subrev_nc_u32_e32 v86, 28, v60
	s_delay_alu instid0(VALU_DEP_1) | instskip(NEXT) | instid1(VALU_DEP_1)
	v_lshlrev_b64_e32 v[86:87], v86, v[66:67]
	v_dual_sub_nc_u32 v87, 29, v60 :: v_dual_bitop2_b32 v86, 7, v86 bitop3:0x40
; %bb.774:                              ;   in Loop: Header=BB331_12 Depth=1
	s_or_b32 exec_lo, exec_lo, s22
	v_lshlrev_b32_e32 v66, 24, v58
	s_delay_alu instid0(VALU_DEP_2) | instskip(NEXT) | instid1(VALU_DEP_3)
	v_lshlrev_b32_e32 v86, 20, v86
	v_lshl_add_u32 v87, v87, 23, 0x3c000000
	s_delay_alu instid0(VALU_DEP_3) | instskip(NEXT) | instid1(VALU_DEP_1)
	v_and_b32_e32 v66, 0x80000000, v66
	v_or3_b32 v60, v86, v66, v87
.LBB331_775:                            ;   in Loop: Header=BB331_12 Depth=1
	s_or_b32 exec_lo, exec_lo, s21
.LBB331_776:                            ;   in Loop: Header=BB331_12 Depth=1
	s_delay_alu instid0(SALU_CYCLE_1)
	s_or_b32 exec_lo, exec_lo, s20
.LBB331_777:                            ;   in Loop: Header=BB331_12 Depth=1
	s_delay_alu instid0(SALU_CYCLE_1) | instskip(NEXT) | instid1(SALU_CYCLE_1)
	s_or_b32 exec_lo, exec_lo, s19
	s_mov_b32 s19, exec_lo
	v_cmpx_lt_u32_e32 0xffffff, v103
	s_cbranch_execz .LBB331_785
; %bb.778:                              ;   in Loop: Header=BB331_12 Depth=1
	v_lshrrev_b32_e32 v58, 24, v103
	v_bfrev_b32_e32 v59, 1
	s_mov_b32 s20, exec_lo
	s_delay_alu instid0(VALU_DEP_2)
	v_cmpx_ne_u32_e32 0x80, v58
	s_cbranch_execz .LBB331_784
; %bb.779:                              ;   in Loop: Header=BB331_12 Depth=1
	v_bfe_u32 v103, v103, 24, 7
	v_mov_b32_e32 v59, 0x7f800001
	s_mov_b32 s21, exec_lo
	s_delay_alu instid0(VALU_DEP_2)
	v_cmpx_ne_u32_e32 0x7f, v103
	s_cbranch_execz .LBB331_783
; %bb.780:                              ;   in Loop: Header=BB331_12 Depth=1
	v_and_b32_e32 v66, 7, v58
	s_mov_b32 s22, exec_lo
	s_delay_alu instid0(VALU_DEP_1)
	v_mov_b64_e32 v[86:87], v[66:67]
	v_lshrrev_b32_e32 v87, 3, v103
	v_cmpx_gt_u32_e32 8, v103
; %bb.781:                              ;   in Loop: Header=BB331_12 Depth=1
	v_clz_i32_u32_e32 v86, v66
	s_delay_alu instid0(VALU_DEP_1) | instskip(NEXT) | instid1(VALU_DEP_1)
	v_min_u32_e32 v103, 32, v86
	v_subrev_nc_u32_e32 v86, 28, v103
	s_delay_alu instid0(VALU_DEP_1) | instskip(NEXT) | instid1(VALU_DEP_1)
	v_lshlrev_b64_e32 v[86:87], v86, v[66:67]
	v_dual_sub_nc_u32 v87, 29, v103 :: v_dual_bitop2_b32 v86, 7, v86 bitop3:0x40
; %bb.782:                              ;   in Loop: Header=BB331_12 Depth=1
	s_or_b32 exec_lo, exec_lo, s22
	v_lshlrev_b32_e32 v66, 24, v58
	s_delay_alu instid0(VALU_DEP_2) | instskip(NEXT) | instid1(VALU_DEP_3)
	v_lshlrev_b32_e32 v86, 20, v86
	v_lshl_add_u32 v87, v87, 23, 0x3c000000
	s_delay_alu instid0(VALU_DEP_3) | instskip(NEXT) | instid1(VALU_DEP_1)
	v_and_b32_e32 v66, 0x80000000, v66
	v_or3_b32 v59, v86, v66, v87
.LBB331_783:                            ;   in Loop: Header=BB331_12 Depth=1
	s_or_b32 exec_lo, exec_lo, s21
.LBB331_784:                            ;   in Loop: Header=BB331_12 Depth=1
	s_delay_alu instid0(SALU_CYCLE_1)
	s_or_b32 exec_lo, exec_lo, s20
.LBB331_785:                            ;   in Loop: Header=BB331_12 Depth=1
	s_delay_alu instid0(SALU_CYCLE_1)
	s_or_b32 exec_lo, exec_lo, s19
	flat_load_b32 v103, v[84:85] offset:3072
	v_dual_mov_b32 v62, 0 :: v_dual_mov_b32 v61, 0
	s_mov_b32 s19, exec_lo
	s_wait_loadcnt_dscnt 0x0
	v_and_b32_e32 v66, 0xff, v103
	s_wait_xcnt 0x0
	s_delay_alu instid0(VALU_DEP_1)
	v_cmpx_ne_u16_e32 0, v66
	s_cbranch_execz .LBB331_793
; %bb.786:                              ;   in Loop: Header=BB331_12 Depth=1
	v_bfrev_b32_e32 v61, 1
	s_mov_b32 s20, exec_lo
	v_cmpx_ne_u16_e32 0x80, v66
	s_cbranch_execz .LBB331_792
; %bb.787:                              ;   in Loop: Header=BB331_12 Depth=1
	v_and_b32_e32 v58, 0x7f, v103
	v_mov_b32_e32 v61, 0x7f800001
	s_mov_b32 s21, exec_lo
	s_delay_alu instid0(VALU_DEP_2)
	v_cmpx_ne_u32_e32 0x7f, v58
	s_cbranch_execz .LBB331_791
; %bb.788:                              ;   in Loop: Header=BB331_12 Depth=1
	v_and_b32_e32 v66, 7, v103
	s_mov_b32 s22, exec_lo
	s_delay_alu instid0(VALU_DEP_1)
	v_mov_b64_e32 v[86:87], v[66:67]
	v_lshrrev_b32_e32 v87, 3, v58
	v_cmpx_gt_u32_e32 8, v58
; %bb.789:                              ;   in Loop: Header=BB331_12 Depth=1
	v_clz_i32_u32_e32 v86, v66
	s_delay_alu instid0(VALU_DEP_1) | instskip(NEXT) | instid1(VALU_DEP_1)
	v_min_u32_e32 v58, 32, v86
	v_subrev_nc_u32_e32 v86, 28, v58
	s_delay_alu instid0(VALU_DEP_1) | instskip(SKIP_1) | instid1(VALU_DEP_2)
	v_lshlrev_b64_e32 v[86:87], v86, v[66:67]
	v_sub_nc_u32_e32 v87, 29, v58
	v_and_b32_e32 v86, 7, v86
; %bb.790:                              ;   in Loop: Header=BB331_12 Depth=1
	s_or_b32 exec_lo, exec_lo, s22
	s_delay_alu instid0(VALU_DEP_1) | instskip(NEXT) | instid1(VALU_DEP_3)
	v_dual_lshlrev_b32 v66, 24, v103 :: v_dual_lshlrev_b32 v86, 20, v86
	v_lshl_add_u32 v87, v87, 23, 0x3c000000
	s_delay_alu instid0(VALU_DEP_2) | instskip(NEXT) | instid1(VALU_DEP_1)
	v_and_b32_e32 v66, 0x80000000, v66
	v_or3_b32 v61, v86, v66, v87
.LBB331_791:                            ;   in Loop: Header=BB331_12 Depth=1
	s_or_b32 exec_lo, exec_lo, s21
.LBB331_792:                            ;   in Loop: Header=BB331_12 Depth=1
	s_delay_alu instid0(SALU_CYCLE_1)
	s_or_b32 exec_lo, exec_lo, s20
.LBB331_793:                            ;   in Loop: Header=BB331_12 Depth=1
	s_delay_alu instid0(SALU_CYCLE_1) | instskip(SKIP_2) | instid1(VALU_DEP_1)
	s_or_b32 exec_lo, exec_lo, s19
	v_lshrrev_b16 v66, 8, v103
	s_mov_b32 s19, exec_lo
	v_cmpx_ne_u16_e32 0, v66
	s_cbranch_execz .LBB331_801
; %bb.794:                              ;   in Loop: Header=BB331_12 Depth=1
	v_bfrev_b32_e32 v62, 1
	s_mov_b32 s20, exec_lo
	v_cmpx_ne_u16_e32 0x80, v66
	s_cbranch_execz .LBB331_800
; %bb.795:                              ;   in Loop: Header=BB331_12 Depth=1
	v_and_b32_e32 v66, 0xffff, v66
	v_mov_b32_e32 v62, 0x7f800001
	s_mov_b32 s21, exec_lo
	s_delay_alu instid0(VALU_DEP_2) | instskip(NEXT) | instid1(VALU_DEP_1)
	v_and_b32_e32 v58, 0x7f, v66
	v_cmpx_ne_u32_e32 0x7f, v58
	s_cbranch_execz .LBB331_799
; %bb.796:                              ;   in Loop: Header=BB331_12 Depth=1
	v_and_b32_e32 v66, 7, v66
	s_mov_b32 s22, exec_lo
	s_delay_alu instid0(VALU_DEP_1)
	v_mov_b64_e32 v[86:87], v[66:67]
	v_lshrrev_b32_e32 v87, 3, v58
	v_cmpx_gt_u32_e32 8, v58
; %bb.797:                              ;   in Loop: Header=BB331_12 Depth=1
	v_clz_i32_u32_e32 v86, v66
	s_delay_alu instid0(VALU_DEP_1) | instskip(NEXT) | instid1(VALU_DEP_1)
	v_min_u32_e32 v58, 32, v86
	v_subrev_nc_u32_e32 v86, 28, v58
	s_delay_alu instid0(VALU_DEP_1) | instskip(SKIP_1) | instid1(VALU_DEP_2)
	v_lshlrev_b64_e32 v[86:87], v86, v[66:67]
	v_sub_nc_u32_e32 v87, 29, v58
	v_and_b32_e32 v86, 7, v86
; %bb.798:                              ;   in Loop: Header=BB331_12 Depth=1
	s_or_b32 exec_lo, exec_lo, s22
	s_delay_alu instid0(VALU_DEP_1) | instskip(NEXT) | instid1(VALU_DEP_3)
	v_dual_lshlrev_b32 v66, 16, v103 :: v_dual_lshlrev_b32 v86, 20, v86
	v_lshl_add_u32 v87, v87, 23, 0x3c000000
	s_delay_alu instid0(VALU_DEP_2) | instskip(NEXT) | instid1(VALU_DEP_1)
	v_and_b32_e32 v66, 0x80000000, v66
	v_or3_b32 v62, v86, v66, v87
.LBB331_799:                            ;   in Loop: Header=BB331_12 Depth=1
	s_or_b32 exec_lo, exec_lo, s21
.LBB331_800:                            ;   in Loop: Header=BB331_12 Depth=1
	s_delay_alu instid0(SALU_CYCLE_1)
	s_or_b32 exec_lo, exec_lo, s20
.LBB331_801:                            ;   in Loop: Header=BB331_12 Depth=1
	s_delay_alu instid0(SALU_CYCLE_1) | instskip(SKIP_3) | instid1(VALU_DEP_2)
	s_or_b32 exec_lo, exec_lo, s19
	v_dual_mov_b32 v58, 0 :: v_dual_lshrrev_b32 v63, 16, v103
	v_mov_b32_e32 v72, 0
	s_mov_b32 s19, exec_lo
	v_and_b32_e32 v66, 0xff, v63
	s_delay_alu instid0(VALU_DEP_1)
	v_cmpx_ne_u16_e32 0, v66
	s_cbranch_execz .LBB331_809
; %bb.802:                              ;   in Loop: Header=BB331_12 Depth=1
	v_bfrev_b32_e32 v72, 1
	s_mov_b32 s20, exec_lo
	v_cmpx_ne_u16_e32 0x80, v66
	s_cbranch_execz .LBB331_808
; %bb.803:                              ;   in Loop: Header=BB331_12 Depth=1
	v_bfe_u32 v73, v103, 16, 7
	v_mov_b32_e32 v72, 0x7f800001
	s_mov_b32 s21, exec_lo
	s_delay_alu instid0(VALU_DEP_2)
	v_cmpx_ne_u32_e32 0x7f, v73
	s_cbranch_execz .LBB331_807
; %bb.804:                              ;   in Loop: Header=BB331_12 Depth=1
	v_and_b32_e32 v66, 7, v63
	s_mov_b32 s22, exec_lo
	s_delay_alu instid0(VALU_DEP_1)
	v_mov_b64_e32 v[86:87], v[66:67]
	v_lshrrev_b32_e32 v87, 3, v73
	v_cmpx_gt_u32_e32 8, v73
; %bb.805:                              ;   in Loop: Header=BB331_12 Depth=1
	v_clz_i32_u32_e32 v86, v66
	s_delay_alu instid0(VALU_DEP_1) | instskip(NEXT) | instid1(VALU_DEP_1)
	v_min_u32_e32 v72, 32, v86
	v_subrev_nc_u32_e32 v86, 28, v72
	s_delay_alu instid0(VALU_DEP_1) | instskip(NEXT) | instid1(VALU_DEP_1)
	v_lshlrev_b64_e32 v[86:87], v86, v[66:67]
	v_dual_sub_nc_u32 v87, 29, v72 :: v_dual_bitop2_b32 v86, 7, v86 bitop3:0x40
; %bb.806:                              ;   in Loop: Header=BB331_12 Depth=1
	s_or_b32 exec_lo, exec_lo, s22
	s_delay_alu instid0(VALU_DEP_1) | instskip(NEXT) | instid1(VALU_DEP_2)
	v_dual_lshlrev_b32 v66, 24, v63 :: v_dual_lshlrev_b32 v86, 20, v86
	v_lshl_add_u32 v87, v87, 23, 0x3c000000
	s_delay_alu instid0(VALU_DEP_2) | instskip(NEXT) | instid1(VALU_DEP_1)
	v_and_b32_e32 v66, 0x80000000, v66
	v_or3_b32 v72, v86, v66, v87
.LBB331_807:                            ;   in Loop: Header=BB331_12 Depth=1
	s_or_b32 exec_lo, exec_lo, s21
.LBB331_808:                            ;   in Loop: Header=BB331_12 Depth=1
	s_delay_alu instid0(SALU_CYCLE_1)
	s_or_b32 exec_lo, exec_lo, s20
.LBB331_809:                            ;   in Loop: Header=BB331_12 Depth=1
	s_delay_alu instid0(SALU_CYCLE_1) | instskip(NEXT) | instid1(SALU_CYCLE_1)
	s_or_b32 exec_lo, exec_lo, s19
	s_mov_b32 s19, exec_lo
	v_cmpx_lt_u32_e32 0xffffff, v103
	s_cbranch_execz .LBB331_817
; %bb.810:                              ;   in Loop: Header=BB331_12 Depth=1
	v_lshrrev_b32_e32 v63, 24, v103
	v_bfrev_b32_e32 v58, 1
	s_mov_b32 s20, exec_lo
	s_delay_alu instid0(VALU_DEP_2)
	v_cmpx_ne_u32_e32 0x80, v63
	s_cbranch_execz .LBB331_816
; %bb.811:                              ;   in Loop: Header=BB331_12 Depth=1
	v_bfe_u32 v103, v103, 24, 7
	v_mov_b32_e32 v58, 0x7f800001
	s_mov_b32 s21, exec_lo
	s_delay_alu instid0(VALU_DEP_2)
	v_cmpx_ne_u32_e32 0x7f, v103
	s_cbranch_execz .LBB331_815
; %bb.812:                              ;   in Loop: Header=BB331_12 Depth=1
	v_and_b32_e32 v66, 7, v63
	s_mov_b32 s22, exec_lo
	s_delay_alu instid0(VALU_DEP_1)
	v_mov_b64_e32 v[86:87], v[66:67]
	v_lshrrev_b32_e32 v87, 3, v103
	v_cmpx_gt_u32_e32 8, v103
; %bb.813:                              ;   in Loop: Header=BB331_12 Depth=1
	v_clz_i32_u32_e32 v86, v66
	s_delay_alu instid0(VALU_DEP_1) | instskip(NEXT) | instid1(VALU_DEP_1)
	v_min_u32_e32 v103, 32, v86
	v_subrev_nc_u32_e32 v86, 28, v103
	s_delay_alu instid0(VALU_DEP_1) | instskip(NEXT) | instid1(VALU_DEP_1)
	v_lshlrev_b64_e32 v[86:87], v86, v[66:67]
	v_dual_sub_nc_u32 v87, 29, v103 :: v_dual_bitop2_b32 v86, 7, v86 bitop3:0x40
; %bb.814:                              ;   in Loop: Header=BB331_12 Depth=1
	s_or_b32 exec_lo, exec_lo, s22
	s_delay_alu instid0(VALU_DEP_1) | instskip(NEXT) | instid1(VALU_DEP_2)
	v_dual_lshlrev_b32 v66, 24, v63 :: v_dual_lshlrev_b32 v86, 20, v86
	v_lshl_add_u32 v87, v87, 23, 0x3c000000
	s_delay_alu instid0(VALU_DEP_2) | instskip(NEXT) | instid1(VALU_DEP_1)
	v_and_b32_e32 v66, 0x80000000, v66
	v_or3_b32 v58, v86, v66, v87
.LBB331_815:                            ;   in Loop: Header=BB331_12 Depth=1
	s_or_b32 exec_lo, exec_lo, s21
.LBB331_816:                            ;   in Loop: Header=BB331_12 Depth=1
	s_delay_alu instid0(SALU_CYCLE_1)
	s_or_b32 exec_lo, exec_lo, s20
.LBB331_817:                            ;   in Loop: Header=BB331_12 Depth=1
	s_delay_alu instid0(SALU_CYCLE_1)
	s_or_b32 exec_lo, exec_lo, s19
	flat_load_b32 v103, v[84:85] offset:3080
	v_dual_mov_b32 v74, 0 :: v_dual_mov_b32 v73, 0
	s_mov_b32 s19, exec_lo
	s_wait_loadcnt_dscnt 0x0
	v_and_b32_e32 v66, 0xff, v103
	s_wait_xcnt 0x0
	s_delay_alu instid0(VALU_DEP_1)
	v_cmpx_ne_u16_e32 0, v66
	s_cbranch_execz .LBB331_825
; %bb.818:                              ;   in Loop: Header=BB331_12 Depth=1
	v_bfrev_b32_e32 v73, 1
	s_mov_b32 s20, exec_lo
	v_cmpx_ne_u16_e32 0x80, v66
	s_cbranch_execz .LBB331_824
; %bb.819:                              ;   in Loop: Header=BB331_12 Depth=1
	v_and_b32_e32 v63, 0x7f, v103
	v_mov_b32_e32 v73, 0x7f800001
	s_mov_b32 s21, exec_lo
	s_delay_alu instid0(VALU_DEP_2)
	v_cmpx_ne_u32_e32 0x7f, v63
	s_cbranch_execz .LBB331_823
; %bb.820:                              ;   in Loop: Header=BB331_12 Depth=1
	v_and_b32_e32 v66, 7, v103
	s_mov_b32 s22, exec_lo
	s_delay_alu instid0(VALU_DEP_1)
	v_mov_b64_e32 v[86:87], v[66:67]
	v_lshrrev_b32_e32 v87, 3, v63
	v_cmpx_gt_u32_e32 8, v63
; %bb.821:                              ;   in Loop: Header=BB331_12 Depth=1
	v_clz_i32_u32_e32 v86, v66
	s_delay_alu instid0(VALU_DEP_1) | instskip(NEXT) | instid1(VALU_DEP_1)
	v_min_u32_e32 v63, 32, v86
	v_subrev_nc_u32_e32 v86, 28, v63
	s_delay_alu instid0(VALU_DEP_1) | instskip(NEXT) | instid1(VALU_DEP_1)
	v_lshlrev_b64_e32 v[86:87], v86, v[66:67]
	v_dual_sub_nc_u32 v87, 29, v63 :: v_dual_bitop2_b32 v86, 7, v86 bitop3:0x40
; %bb.822:                              ;   in Loop: Header=BB331_12 Depth=1
	s_or_b32 exec_lo, exec_lo, s22
	s_delay_alu instid0(VALU_DEP_1) | instskip(NEXT) | instid1(VALU_DEP_2)
	v_dual_lshlrev_b32 v66, 24, v103 :: v_dual_lshlrev_b32 v86, 20, v86
	v_lshl_add_u32 v87, v87, 23, 0x3c000000
	s_delay_alu instid0(VALU_DEP_2) | instskip(NEXT) | instid1(VALU_DEP_1)
	v_and_b32_e32 v66, 0x80000000, v66
	v_or3_b32 v73, v86, v66, v87
.LBB331_823:                            ;   in Loop: Header=BB331_12 Depth=1
	s_or_b32 exec_lo, exec_lo, s21
.LBB331_824:                            ;   in Loop: Header=BB331_12 Depth=1
	s_delay_alu instid0(SALU_CYCLE_1)
	s_or_b32 exec_lo, exec_lo, s20
.LBB331_825:                            ;   in Loop: Header=BB331_12 Depth=1
	s_delay_alu instid0(SALU_CYCLE_1) | instskip(SKIP_2) | instid1(VALU_DEP_1)
	s_or_b32 exec_lo, exec_lo, s19
	v_lshrrev_b16 v66, 8, v103
	s_mov_b32 s19, exec_lo
	v_cmpx_ne_u16_e32 0, v66
	s_cbranch_execz .LBB331_833
; %bb.826:                              ;   in Loop: Header=BB331_12 Depth=1
	v_bfrev_b32_e32 v74, 1
	s_mov_b32 s20, exec_lo
	v_cmpx_ne_u16_e32 0x80, v66
	s_cbranch_execz .LBB331_832
; %bb.827:                              ;   in Loop: Header=BB331_12 Depth=1
	v_and_b32_e32 v66, 0xffff, v66
	v_mov_b32_e32 v74, 0x7f800001
	s_mov_b32 s21, exec_lo
	s_delay_alu instid0(VALU_DEP_2) | instskip(NEXT) | instid1(VALU_DEP_1)
	v_and_b32_e32 v63, 0x7f, v66
	v_cmpx_ne_u32_e32 0x7f, v63
	s_cbranch_execz .LBB331_831
; %bb.828:                              ;   in Loop: Header=BB331_12 Depth=1
	v_and_b32_e32 v66, 7, v66
	s_mov_b32 s22, exec_lo
	s_delay_alu instid0(VALU_DEP_1)
	v_mov_b64_e32 v[86:87], v[66:67]
	v_lshrrev_b32_e32 v87, 3, v63
	v_cmpx_gt_u32_e32 8, v63
; %bb.829:                              ;   in Loop: Header=BB331_12 Depth=1
	v_clz_i32_u32_e32 v86, v66
	s_delay_alu instid0(VALU_DEP_1) | instskip(NEXT) | instid1(VALU_DEP_1)
	v_min_u32_e32 v63, 32, v86
	v_subrev_nc_u32_e32 v86, 28, v63
	s_delay_alu instid0(VALU_DEP_1) | instskip(NEXT) | instid1(VALU_DEP_1)
	v_lshlrev_b64_e32 v[86:87], v86, v[66:67]
	v_dual_sub_nc_u32 v87, 29, v63 :: v_dual_bitop2_b32 v86, 7, v86 bitop3:0x40
; %bb.830:                              ;   in Loop: Header=BB331_12 Depth=1
	s_or_b32 exec_lo, exec_lo, s22
	s_delay_alu instid0(VALU_DEP_1) | instskip(NEXT) | instid1(VALU_DEP_2)
	v_dual_lshlrev_b32 v66, 16, v103 :: v_dual_lshlrev_b32 v86, 20, v86
	v_lshl_add_u32 v87, v87, 23, 0x3c000000
	s_delay_alu instid0(VALU_DEP_2) | instskip(NEXT) | instid1(VALU_DEP_1)
	v_and_b32_e32 v66, 0x80000000, v66
	v_or3_b32 v74, v86, v66, v87
.LBB331_831:                            ;   in Loop: Header=BB331_12 Depth=1
	s_or_b32 exec_lo, exec_lo, s21
.LBB331_832:                            ;   in Loop: Header=BB331_12 Depth=1
	s_delay_alu instid0(SALU_CYCLE_1)
	s_or_b32 exec_lo, exec_lo, s20
.LBB331_833:                            ;   in Loop: Header=BB331_12 Depth=1
	s_delay_alu instid0(SALU_CYCLE_1) | instskip(SKIP_3) | instid1(VALU_DEP_2)
	s_or_b32 exec_lo, exec_lo, s19
	v_dual_lshrrev_b32 v75, 16, v103 :: v_dual_mov_b32 v63, 0
	v_mov_b32_e32 v76, 0
	s_mov_b32 s19, exec_lo
	v_and_b32_e32 v66, 0xff, v75
	s_delay_alu instid0(VALU_DEP_1)
	v_cmpx_ne_u16_e32 0, v66
	s_cbranch_execz .LBB331_841
; %bb.834:                              ;   in Loop: Header=BB331_12 Depth=1
	v_bfrev_b32_e32 v76, 1
	s_mov_b32 s20, exec_lo
	v_cmpx_ne_u16_e32 0x80, v66
	s_cbranch_execz .LBB331_840
; %bb.835:                              ;   in Loop: Header=BB331_12 Depth=1
	v_bfe_u32 v77, v103, 16, 7
	v_mov_b32_e32 v76, 0x7f800001
	s_mov_b32 s21, exec_lo
	s_delay_alu instid0(VALU_DEP_2)
	v_cmpx_ne_u32_e32 0x7f, v77
	s_cbranch_execz .LBB331_839
; %bb.836:                              ;   in Loop: Header=BB331_12 Depth=1
	v_and_b32_e32 v66, 7, v75
	s_mov_b32 s22, exec_lo
	s_delay_alu instid0(VALU_DEP_1)
	v_mov_b64_e32 v[86:87], v[66:67]
	v_lshrrev_b32_e32 v87, 3, v77
	v_cmpx_gt_u32_e32 8, v77
; %bb.837:                              ;   in Loop: Header=BB331_12 Depth=1
	v_clz_i32_u32_e32 v86, v66
	s_delay_alu instid0(VALU_DEP_1) | instskip(NEXT) | instid1(VALU_DEP_1)
	v_min_u32_e32 v76, 32, v86
	v_subrev_nc_u32_e32 v86, 28, v76
	s_delay_alu instid0(VALU_DEP_1) | instskip(NEXT) | instid1(VALU_DEP_1)
	v_lshlrev_b64_e32 v[86:87], v86, v[66:67]
	v_dual_sub_nc_u32 v87, 29, v76 :: v_dual_bitop2_b32 v86, 7, v86 bitop3:0x40
; %bb.838:                              ;   in Loop: Header=BB331_12 Depth=1
	s_or_b32 exec_lo, exec_lo, s22
	s_delay_alu instid0(VALU_DEP_1) | instskip(NEXT) | instid1(VALU_DEP_2)
	v_dual_lshlrev_b32 v66, 24, v75 :: v_dual_lshlrev_b32 v86, 20, v86
	v_lshl_add_u32 v87, v87, 23, 0x3c000000
	s_delay_alu instid0(VALU_DEP_2) | instskip(NEXT) | instid1(VALU_DEP_1)
	v_and_b32_e32 v66, 0x80000000, v66
	v_or3_b32 v76, v86, v66, v87
.LBB331_839:                            ;   in Loop: Header=BB331_12 Depth=1
	s_or_b32 exec_lo, exec_lo, s21
.LBB331_840:                            ;   in Loop: Header=BB331_12 Depth=1
	s_delay_alu instid0(SALU_CYCLE_1)
	s_or_b32 exec_lo, exec_lo, s20
.LBB331_841:                            ;   in Loop: Header=BB331_12 Depth=1
	s_delay_alu instid0(SALU_CYCLE_1) | instskip(NEXT) | instid1(SALU_CYCLE_1)
	s_or_b32 exec_lo, exec_lo, s19
	s_mov_b32 s19, exec_lo
	v_cmpx_lt_u32_e32 0xffffff, v103
	s_cbranch_execz .LBB331_849
; %bb.842:                              ;   in Loop: Header=BB331_12 Depth=1
	v_lshrrev_b32_e32 v75, 24, v103
	v_bfrev_b32_e32 v63, 1
	s_mov_b32 s20, exec_lo
	s_delay_alu instid0(VALU_DEP_2)
	v_cmpx_ne_u32_e32 0x80, v75
	s_cbranch_execz .LBB331_848
; %bb.843:                              ;   in Loop: Header=BB331_12 Depth=1
	v_bfe_u32 v103, v103, 24, 7
	v_mov_b32_e32 v63, 0x7f800001
	s_mov_b32 s21, exec_lo
	s_delay_alu instid0(VALU_DEP_2)
	v_cmpx_ne_u32_e32 0x7f, v103
	s_cbranch_execz .LBB331_847
; %bb.844:                              ;   in Loop: Header=BB331_12 Depth=1
	v_and_b32_e32 v66, 7, v75
	s_mov_b32 s22, exec_lo
	s_delay_alu instid0(VALU_DEP_1)
	v_mov_b64_e32 v[86:87], v[66:67]
	v_lshrrev_b32_e32 v87, 3, v103
	v_cmpx_gt_u32_e32 8, v103
; %bb.845:                              ;   in Loop: Header=BB331_12 Depth=1
	v_clz_i32_u32_e32 v86, v66
	s_delay_alu instid0(VALU_DEP_1) | instskip(NEXT) | instid1(VALU_DEP_1)
	v_min_u32_e32 v103, 32, v86
	v_subrev_nc_u32_e32 v86, 28, v103
	s_delay_alu instid0(VALU_DEP_1) | instskip(NEXT) | instid1(VALU_DEP_1)
	v_lshlrev_b64_e32 v[86:87], v86, v[66:67]
	v_dual_sub_nc_u32 v87, 29, v103 :: v_dual_bitop2_b32 v86, 7, v86 bitop3:0x40
; %bb.846:                              ;   in Loop: Header=BB331_12 Depth=1
	s_or_b32 exec_lo, exec_lo, s22
	s_delay_alu instid0(VALU_DEP_1) | instskip(NEXT) | instid1(VALU_DEP_2)
	v_dual_lshlrev_b32 v66, 24, v75 :: v_dual_lshlrev_b32 v86, 20, v86
	v_lshl_add_u32 v87, v87, 23, 0x3c000000
	s_delay_alu instid0(VALU_DEP_2) | instskip(NEXT) | instid1(VALU_DEP_1)
	v_and_b32_e32 v66, 0x80000000, v66
	v_or3_b32 v63, v86, v66, v87
.LBB331_847:                            ;   in Loop: Header=BB331_12 Depth=1
	s_or_b32 exec_lo, exec_lo, s21
.LBB331_848:                            ;   in Loop: Header=BB331_12 Depth=1
	s_delay_alu instid0(SALU_CYCLE_1)
	s_or_b32 exec_lo, exec_lo, s20
.LBB331_849:                            ;   in Loop: Header=BB331_12 Depth=1
	s_delay_alu instid0(SALU_CYCLE_1)
	s_or_b32 exec_lo, exec_lo, s19
	flat_load_b32 v103, v[84:85] offset:3328
	v_dual_mov_b32 v78, 0 :: v_dual_mov_b32 v77, 0
	s_mov_b32 s19, exec_lo
	s_wait_loadcnt_dscnt 0x0
	v_and_b32_e32 v66, 0xff, v103
	s_wait_xcnt 0x0
	s_delay_alu instid0(VALU_DEP_1)
	v_cmpx_ne_u16_e32 0, v66
	s_cbranch_execz .LBB331_857
; %bb.850:                              ;   in Loop: Header=BB331_12 Depth=1
	v_bfrev_b32_e32 v77, 1
	s_mov_b32 s20, exec_lo
	v_cmpx_ne_u16_e32 0x80, v66
	s_cbranch_execz .LBB331_856
; %bb.851:                              ;   in Loop: Header=BB331_12 Depth=1
	v_and_b32_e32 v75, 0x7f, v103
	v_mov_b32_e32 v77, 0x7f800001
	s_mov_b32 s21, exec_lo
	s_delay_alu instid0(VALU_DEP_2)
	v_cmpx_ne_u32_e32 0x7f, v75
	s_cbranch_execz .LBB331_855
; %bb.852:                              ;   in Loop: Header=BB331_12 Depth=1
	v_and_b32_e32 v66, 7, v103
	s_mov_b32 s22, exec_lo
	s_delay_alu instid0(VALU_DEP_1)
	v_mov_b64_e32 v[86:87], v[66:67]
	v_lshrrev_b32_e32 v87, 3, v75
	v_cmpx_gt_u32_e32 8, v75
; %bb.853:                              ;   in Loop: Header=BB331_12 Depth=1
	v_clz_i32_u32_e32 v86, v66
	s_delay_alu instid0(VALU_DEP_1) | instskip(NEXT) | instid1(VALU_DEP_1)
	v_min_u32_e32 v75, 32, v86
	v_subrev_nc_u32_e32 v86, 28, v75
	s_delay_alu instid0(VALU_DEP_1) | instskip(NEXT) | instid1(VALU_DEP_1)
	v_lshlrev_b64_e32 v[86:87], v86, v[66:67]
	v_dual_sub_nc_u32 v87, 29, v75 :: v_dual_bitop2_b32 v86, 7, v86 bitop3:0x40
; %bb.854:                              ;   in Loop: Header=BB331_12 Depth=1
	s_or_b32 exec_lo, exec_lo, s22
	s_delay_alu instid0(VALU_DEP_1) | instskip(NEXT) | instid1(VALU_DEP_2)
	v_dual_lshlrev_b32 v66, 24, v103 :: v_dual_lshlrev_b32 v86, 20, v86
	v_lshl_add_u32 v87, v87, 23, 0x3c000000
	s_delay_alu instid0(VALU_DEP_2) | instskip(NEXT) | instid1(VALU_DEP_1)
	v_and_b32_e32 v66, 0x80000000, v66
	v_or3_b32 v77, v86, v66, v87
.LBB331_855:                            ;   in Loop: Header=BB331_12 Depth=1
	s_or_b32 exec_lo, exec_lo, s21
.LBB331_856:                            ;   in Loop: Header=BB331_12 Depth=1
	s_delay_alu instid0(SALU_CYCLE_1)
	s_or_b32 exec_lo, exec_lo, s20
.LBB331_857:                            ;   in Loop: Header=BB331_12 Depth=1
	s_delay_alu instid0(SALU_CYCLE_1) | instskip(SKIP_2) | instid1(VALU_DEP_1)
	s_or_b32 exec_lo, exec_lo, s19
	v_lshrrev_b16 v66, 8, v103
	s_mov_b32 s19, exec_lo
	v_cmpx_ne_u16_e32 0, v66
	s_cbranch_execz .LBB331_865
; %bb.858:                              ;   in Loop: Header=BB331_12 Depth=1
	v_bfrev_b32_e32 v78, 1
	s_mov_b32 s20, exec_lo
	v_cmpx_ne_u16_e32 0x80, v66
	s_cbranch_execz .LBB331_864
; %bb.859:                              ;   in Loop: Header=BB331_12 Depth=1
	v_and_b32_e32 v66, 0xffff, v66
	v_mov_b32_e32 v78, 0x7f800001
	s_mov_b32 s21, exec_lo
	s_delay_alu instid0(VALU_DEP_2) | instskip(NEXT) | instid1(VALU_DEP_1)
	v_and_b32_e32 v75, 0x7f, v66
	v_cmpx_ne_u32_e32 0x7f, v75
	s_cbranch_execz .LBB331_863
; %bb.860:                              ;   in Loop: Header=BB331_12 Depth=1
	v_and_b32_e32 v66, 7, v66
	s_mov_b32 s22, exec_lo
	s_delay_alu instid0(VALU_DEP_1)
	v_mov_b64_e32 v[86:87], v[66:67]
	v_lshrrev_b32_e32 v87, 3, v75
	v_cmpx_gt_u32_e32 8, v75
; %bb.861:                              ;   in Loop: Header=BB331_12 Depth=1
	v_clz_i32_u32_e32 v86, v66
	s_delay_alu instid0(VALU_DEP_1) | instskip(NEXT) | instid1(VALU_DEP_1)
	v_min_u32_e32 v75, 32, v86
	v_subrev_nc_u32_e32 v86, 28, v75
	s_delay_alu instid0(VALU_DEP_1) | instskip(NEXT) | instid1(VALU_DEP_1)
	v_lshlrev_b64_e32 v[86:87], v86, v[66:67]
	v_dual_sub_nc_u32 v87, 29, v75 :: v_dual_bitop2_b32 v86, 7, v86 bitop3:0x40
; %bb.862:                              ;   in Loop: Header=BB331_12 Depth=1
	s_or_b32 exec_lo, exec_lo, s22
	s_delay_alu instid0(VALU_DEP_1) | instskip(NEXT) | instid1(VALU_DEP_2)
	v_dual_lshlrev_b32 v66, 16, v103 :: v_dual_lshlrev_b32 v86, 20, v86
	v_lshl_add_u32 v87, v87, 23, 0x3c000000
	s_delay_alu instid0(VALU_DEP_2) | instskip(NEXT) | instid1(VALU_DEP_1)
	v_and_b32_e32 v66, 0x80000000, v66
	v_or3_b32 v78, v86, v66, v87
.LBB331_863:                            ;   in Loop: Header=BB331_12 Depth=1
	s_or_b32 exec_lo, exec_lo, s21
.LBB331_864:                            ;   in Loop: Header=BB331_12 Depth=1
	s_delay_alu instid0(SALU_CYCLE_1)
	s_or_b32 exec_lo, exec_lo, s20
.LBB331_865:                            ;   in Loop: Header=BB331_12 Depth=1
	s_delay_alu instid0(SALU_CYCLE_1) | instskip(SKIP_3) | instid1(VALU_DEP_2)
	s_or_b32 exec_lo, exec_lo, s19
	v_dual_mov_b32 v75, 0 :: v_dual_lshrrev_b32 v88, 16, v103
	v_mov_b32_e32 v79, 0
	s_mov_b32 s19, exec_lo
	v_and_b32_e32 v66, 0xff, v88
	s_delay_alu instid0(VALU_DEP_1)
	v_cmpx_ne_u16_e32 0, v66
	s_cbranch_execz .LBB331_873
; %bb.866:                              ;   in Loop: Header=BB331_12 Depth=1
	v_bfrev_b32_e32 v79, 1
	s_mov_b32 s20, exec_lo
	v_cmpx_ne_u16_e32 0x80, v66
	s_cbranch_execz .LBB331_872
; %bb.867:                              ;   in Loop: Header=BB331_12 Depth=1
	v_bfe_u32 v89, v103, 16, 7
	v_mov_b32_e32 v79, 0x7f800001
	s_mov_b32 s21, exec_lo
	s_delay_alu instid0(VALU_DEP_2)
	v_cmpx_ne_u32_e32 0x7f, v89
	s_cbranch_execz .LBB331_871
; %bb.868:                              ;   in Loop: Header=BB331_12 Depth=1
	v_and_b32_e32 v66, 7, v88
	s_mov_b32 s22, exec_lo
	s_delay_alu instid0(VALU_DEP_1)
	v_mov_b64_e32 v[86:87], v[66:67]
	v_lshrrev_b32_e32 v87, 3, v89
	v_cmpx_gt_u32_e32 8, v89
; %bb.869:                              ;   in Loop: Header=BB331_12 Depth=1
	v_clz_i32_u32_e32 v86, v66
	s_delay_alu instid0(VALU_DEP_1) | instskip(NEXT) | instid1(VALU_DEP_1)
	v_min_u32_e32 v79, 32, v86
	v_subrev_nc_u32_e32 v86, 28, v79
	s_delay_alu instid0(VALU_DEP_1) | instskip(NEXT) | instid1(VALU_DEP_1)
	v_lshlrev_b64_e32 v[86:87], v86, v[66:67]
	v_dual_sub_nc_u32 v87, 29, v79 :: v_dual_bitop2_b32 v86, 7, v86 bitop3:0x40
; %bb.870:                              ;   in Loop: Header=BB331_12 Depth=1
	s_or_b32 exec_lo, exec_lo, s22
	s_delay_alu instid0(VALU_DEP_1) | instskip(NEXT) | instid1(VALU_DEP_2)
	v_dual_lshlrev_b32 v66, 24, v88 :: v_dual_lshlrev_b32 v86, 20, v86
	v_lshl_add_u32 v87, v87, 23, 0x3c000000
	s_delay_alu instid0(VALU_DEP_2) | instskip(NEXT) | instid1(VALU_DEP_1)
	v_and_b32_e32 v66, 0x80000000, v66
	v_or3_b32 v79, v86, v66, v87
.LBB331_871:                            ;   in Loop: Header=BB331_12 Depth=1
	s_or_b32 exec_lo, exec_lo, s21
.LBB331_872:                            ;   in Loop: Header=BB331_12 Depth=1
	s_delay_alu instid0(SALU_CYCLE_1)
	s_or_b32 exec_lo, exec_lo, s20
.LBB331_873:                            ;   in Loop: Header=BB331_12 Depth=1
	s_delay_alu instid0(SALU_CYCLE_1) | instskip(NEXT) | instid1(SALU_CYCLE_1)
	s_or_b32 exec_lo, exec_lo, s19
	s_mov_b32 s19, exec_lo
	v_cmpx_lt_u32_e32 0xffffff, v103
	s_cbranch_execz .LBB331_881
; %bb.874:                              ;   in Loop: Header=BB331_12 Depth=1
	v_lshrrev_b32_e32 v88, 24, v103
	v_bfrev_b32_e32 v75, 1
	s_mov_b32 s20, exec_lo
	s_delay_alu instid0(VALU_DEP_2)
	v_cmpx_ne_u32_e32 0x80, v88
	s_cbranch_execz .LBB331_880
; %bb.875:                              ;   in Loop: Header=BB331_12 Depth=1
	v_bfe_u32 v103, v103, 24, 7
	v_mov_b32_e32 v75, 0x7f800001
	s_mov_b32 s21, exec_lo
	s_delay_alu instid0(VALU_DEP_2)
	v_cmpx_ne_u32_e32 0x7f, v103
	s_cbranch_execz .LBB331_879
; %bb.876:                              ;   in Loop: Header=BB331_12 Depth=1
	v_and_b32_e32 v66, 7, v88
	s_mov_b32 s22, exec_lo
	s_delay_alu instid0(VALU_DEP_1)
	v_mov_b64_e32 v[86:87], v[66:67]
	v_lshrrev_b32_e32 v87, 3, v103
	v_cmpx_gt_u32_e32 8, v103
; %bb.877:                              ;   in Loop: Header=BB331_12 Depth=1
	v_clz_i32_u32_e32 v86, v66
	s_delay_alu instid0(VALU_DEP_1) | instskip(NEXT) | instid1(VALU_DEP_1)
	v_min_u32_e32 v103, 32, v86
	v_subrev_nc_u32_e32 v86, 28, v103
	s_delay_alu instid0(VALU_DEP_1) | instskip(NEXT) | instid1(VALU_DEP_1)
	v_lshlrev_b64_e32 v[86:87], v86, v[66:67]
	v_dual_sub_nc_u32 v87, 29, v103 :: v_dual_bitop2_b32 v86, 7, v86 bitop3:0x40
; %bb.878:                              ;   in Loop: Header=BB331_12 Depth=1
	s_or_b32 exec_lo, exec_lo, s22
	s_delay_alu instid0(VALU_DEP_1) | instskip(NEXT) | instid1(VALU_DEP_2)
	v_dual_lshlrev_b32 v66, 24, v88 :: v_dual_lshlrev_b32 v86, 20, v86
	v_lshl_add_u32 v87, v87, 23, 0x3c000000
	s_delay_alu instid0(VALU_DEP_2) | instskip(NEXT) | instid1(VALU_DEP_1)
	v_and_b32_e32 v66, 0x80000000, v66
	v_or3_b32 v75, v86, v66, v87
.LBB331_879:                            ;   in Loop: Header=BB331_12 Depth=1
	s_or_b32 exec_lo, exec_lo, s21
.LBB331_880:                            ;   in Loop: Header=BB331_12 Depth=1
	s_delay_alu instid0(SALU_CYCLE_1)
	s_or_b32 exec_lo, exec_lo, s20
.LBB331_881:                            ;   in Loop: Header=BB331_12 Depth=1
	s_delay_alu instid0(SALU_CYCLE_1)
	s_or_b32 exec_lo, exec_lo, s19
	flat_load_b32 v90, v[84:85] offset:3336
	v_dual_mov_b32 v89, 0 :: v_dual_mov_b32 v88, 0
	s_mov_b32 s19, exec_lo
	s_wait_loadcnt_dscnt 0x0
	v_and_b32_e32 v66, 0xff, v90
	s_wait_xcnt 0x0
	s_delay_alu instid0(VALU_DEP_1)
	v_cmpx_ne_u16_e32 0, v66
	s_cbranch_execz .LBB331_889
; %bb.882:                              ;   in Loop: Header=BB331_12 Depth=1
	v_bfrev_b32_e32 v88, 1
	s_mov_b32 s20, exec_lo
	v_cmpx_ne_u16_e32 0x80, v66
	s_cbranch_execz .LBB331_888
; %bb.883:                              ;   in Loop: Header=BB331_12 Depth=1
	v_and_b32_e32 v103, 0x7f, v90
	v_mov_b32_e32 v88, 0x7f800001
	s_mov_b32 s21, exec_lo
	s_delay_alu instid0(VALU_DEP_2)
	v_cmpx_ne_u32_e32 0x7f, v103
	s_cbranch_execz .LBB331_887
; %bb.884:                              ;   in Loop: Header=BB331_12 Depth=1
	v_and_b32_e32 v66, 7, v90
	s_mov_b32 s22, exec_lo
	s_delay_alu instid0(VALU_DEP_1)
	v_mov_b64_e32 v[86:87], v[66:67]
	v_lshrrev_b32_e32 v87, 3, v103
	v_cmpx_gt_u32_e32 8, v103
; %bb.885:                              ;   in Loop: Header=BB331_12 Depth=1
	v_clz_i32_u32_e32 v86, v66
	s_delay_alu instid0(VALU_DEP_1) | instskip(NEXT) | instid1(VALU_DEP_1)
	v_min_u32_e32 v103, 32, v86
	v_subrev_nc_u32_e32 v86, 28, v103
	s_delay_alu instid0(VALU_DEP_1) | instskip(NEXT) | instid1(VALU_DEP_1)
	v_lshlrev_b64_e32 v[86:87], v86, v[66:67]
	v_dual_sub_nc_u32 v87, 29, v103 :: v_dual_bitop2_b32 v86, 7, v86 bitop3:0x40
; %bb.886:                              ;   in Loop: Header=BB331_12 Depth=1
	s_or_b32 exec_lo, exec_lo, s22
	v_lshlrev_b32_e32 v66, 24, v90
	s_delay_alu instid0(VALU_DEP_2) | instskip(NEXT) | instid1(VALU_DEP_3)
	v_lshlrev_b32_e32 v86, 20, v86
	v_lshl_add_u32 v87, v87, 23, 0x3c000000
	s_delay_alu instid0(VALU_DEP_3) | instskip(NEXT) | instid1(VALU_DEP_1)
	v_and_b32_e32 v66, 0x80000000, v66
	v_or3_b32 v88, v86, v66, v87
.LBB331_887:                            ;   in Loop: Header=BB331_12 Depth=1
	s_or_b32 exec_lo, exec_lo, s21
.LBB331_888:                            ;   in Loop: Header=BB331_12 Depth=1
	s_delay_alu instid0(SALU_CYCLE_1)
	s_or_b32 exec_lo, exec_lo, s20
.LBB331_889:                            ;   in Loop: Header=BB331_12 Depth=1
	s_delay_alu instid0(SALU_CYCLE_1) | instskip(SKIP_2) | instid1(VALU_DEP_1)
	s_or_b32 exec_lo, exec_lo, s19
	v_lshrrev_b16 v66, 8, v90
	s_mov_b32 s19, exec_lo
	v_cmpx_ne_u16_e32 0, v66
	s_cbranch_execz .LBB331_897
; %bb.890:                              ;   in Loop: Header=BB331_12 Depth=1
	v_bfrev_b32_e32 v89, 1
	s_mov_b32 s20, exec_lo
	v_cmpx_ne_u16_e32 0x80, v66
	s_cbranch_execz .LBB331_896
; %bb.891:                              ;   in Loop: Header=BB331_12 Depth=1
	v_and_b32_e32 v66, 0xffff, v66
	v_mov_b32_e32 v89, 0x7f800001
	s_mov_b32 s21, exec_lo
	s_delay_alu instid0(VALU_DEP_2) | instskip(NEXT) | instid1(VALU_DEP_1)
	v_and_b32_e32 v103, 0x7f, v66
	v_cmpx_ne_u32_e32 0x7f, v103
	s_cbranch_execz .LBB331_895
; %bb.892:                              ;   in Loop: Header=BB331_12 Depth=1
	v_and_b32_e32 v66, 7, v66
	s_mov_b32 s22, exec_lo
	s_delay_alu instid0(VALU_DEP_1)
	v_mov_b64_e32 v[86:87], v[66:67]
	v_lshrrev_b32_e32 v87, 3, v103
	v_cmpx_gt_u32_e32 8, v103
; %bb.893:                              ;   in Loop: Header=BB331_12 Depth=1
	v_clz_i32_u32_e32 v86, v66
	s_delay_alu instid0(VALU_DEP_1) | instskip(NEXT) | instid1(VALU_DEP_1)
	v_min_u32_e32 v103, 32, v86
	v_subrev_nc_u32_e32 v86, 28, v103
	s_delay_alu instid0(VALU_DEP_1) | instskip(NEXT) | instid1(VALU_DEP_1)
	v_lshlrev_b64_e32 v[86:87], v86, v[66:67]
	v_dual_sub_nc_u32 v87, 29, v103 :: v_dual_bitop2_b32 v86, 7, v86 bitop3:0x40
; %bb.894:                              ;   in Loop: Header=BB331_12 Depth=1
	s_or_b32 exec_lo, exec_lo, s22
	v_lshlrev_b32_e32 v66, 16, v90
	s_delay_alu instid0(VALU_DEP_2) | instskip(NEXT) | instid1(VALU_DEP_3)
	v_lshlrev_b32_e32 v86, 20, v86
	v_lshl_add_u32 v87, v87, 23, 0x3c000000
	s_delay_alu instid0(VALU_DEP_3) | instskip(NEXT) | instid1(VALU_DEP_1)
	v_and_b32_e32 v66, 0x80000000, v66
	v_or3_b32 v89, v86, v66, v87
.LBB331_895:                            ;   in Loop: Header=BB331_12 Depth=1
	s_or_b32 exec_lo, exec_lo, s21
.LBB331_896:                            ;   in Loop: Header=BB331_12 Depth=1
	s_delay_alu instid0(SALU_CYCLE_1)
	s_or_b32 exec_lo, exec_lo, s20
.LBB331_897:                            ;   in Loop: Header=BB331_12 Depth=1
	s_delay_alu instid0(SALU_CYCLE_1) | instskip(SKIP_3) | instid1(VALU_DEP_2)
	s_or_b32 exec_lo, exec_lo, s19
	v_dual_mov_b32 v103, 0 :: v_dual_lshrrev_b32 v92, 16, v90
	v_mov_b32_e32 v91, 0
	s_mov_b32 s19, exec_lo
	v_and_b32_e32 v66, 0xff, v92
	s_delay_alu instid0(VALU_DEP_1)
	v_cmpx_ne_u16_e32 0, v66
	s_cbranch_execz .LBB331_905
; %bb.898:                              ;   in Loop: Header=BB331_12 Depth=1
	v_bfrev_b32_e32 v91, 1
	s_mov_b32 s20, exec_lo
	v_cmpx_ne_u16_e32 0x80, v66
	s_cbranch_execz .LBB331_904
; %bb.899:                              ;   in Loop: Header=BB331_12 Depth=1
	v_bfe_u32 v93, v90, 16, 7
	v_mov_b32_e32 v91, 0x7f800001
	s_mov_b32 s21, exec_lo
	s_delay_alu instid0(VALU_DEP_2)
	v_cmpx_ne_u32_e32 0x7f, v93
	s_cbranch_execz .LBB331_903
; %bb.900:                              ;   in Loop: Header=BB331_12 Depth=1
	v_and_b32_e32 v66, 7, v92
	s_mov_b32 s22, exec_lo
	s_delay_alu instid0(VALU_DEP_1)
	v_mov_b64_e32 v[86:87], v[66:67]
	v_lshrrev_b32_e32 v87, 3, v93
	v_cmpx_gt_u32_e32 8, v93
; %bb.901:                              ;   in Loop: Header=BB331_12 Depth=1
	v_clz_i32_u32_e32 v86, v66
	s_delay_alu instid0(VALU_DEP_1) | instskip(NEXT) | instid1(VALU_DEP_1)
	v_min_u32_e32 v91, 32, v86
	v_subrev_nc_u32_e32 v86, 28, v91
	s_delay_alu instid0(VALU_DEP_1) | instskip(NEXT) | instid1(VALU_DEP_1)
	v_lshlrev_b64_e32 v[86:87], v86, v[66:67]
	v_dual_sub_nc_u32 v87, 29, v91 :: v_dual_bitop2_b32 v86, 7, v86 bitop3:0x40
; %bb.902:                              ;   in Loop: Header=BB331_12 Depth=1
	s_or_b32 exec_lo, exec_lo, s22
	s_delay_alu instid0(VALU_DEP_1) | instskip(NEXT) | instid1(VALU_DEP_2)
	v_dual_lshlrev_b32 v66, 24, v92 :: v_dual_lshlrev_b32 v86, 20, v86
	v_lshl_add_u32 v87, v87, 23, 0x3c000000
	s_delay_alu instid0(VALU_DEP_2) | instskip(NEXT) | instid1(VALU_DEP_1)
	v_and_b32_e32 v66, 0x80000000, v66
	v_or3_b32 v91, v86, v66, v87
.LBB331_903:                            ;   in Loop: Header=BB331_12 Depth=1
	s_or_b32 exec_lo, exec_lo, s21
.LBB331_904:                            ;   in Loop: Header=BB331_12 Depth=1
	s_delay_alu instid0(SALU_CYCLE_1)
	s_or_b32 exec_lo, exec_lo, s20
.LBB331_905:                            ;   in Loop: Header=BB331_12 Depth=1
	s_delay_alu instid0(SALU_CYCLE_1) | instskip(NEXT) | instid1(SALU_CYCLE_1)
	s_or_b32 exec_lo, exec_lo, s19
	s_mov_b32 s19, exec_lo
	v_cmpx_lt_u32_e32 0xffffff, v90
	s_cbranch_execz .LBB331_913
; %bb.906:                              ;   in Loop: Header=BB331_12 Depth=1
	v_lshrrev_b32_e32 v92, 24, v90
	v_bfrev_b32_e32 v103, 1
	s_mov_b32 s20, exec_lo
	s_delay_alu instid0(VALU_DEP_2)
	v_cmpx_ne_u32_e32 0x80, v92
	s_cbranch_execz .LBB331_912
; %bb.907:                              ;   in Loop: Header=BB331_12 Depth=1
	v_bfe_u32 v90, v90, 24, 7
	v_mov_b32_e32 v103, 0x7f800001
	s_mov_b32 s21, exec_lo
	s_delay_alu instid0(VALU_DEP_2)
	v_cmpx_ne_u32_e32 0x7f, v90
	s_cbranch_execz .LBB331_911
; %bb.908:                              ;   in Loop: Header=BB331_12 Depth=1
	v_and_b32_e32 v66, 7, v92
	s_mov_b32 s22, exec_lo
	s_delay_alu instid0(VALU_DEP_1)
	v_mov_b64_e32 v[86:87], v[66:67]
	v_lshrrev_b32_e32 v87, 3, v90
	v_cmpx_gt_u32_e32 8, v90
; %bb.909:                              ;   in Loop: Header=BB331_12 Depth=1
	v_clz_i32_u32_e32 v86, v66
	s_delay_alu instid0(VALU_DEP_1) | instskip(NEXT) | instid1(VALU_DEP_1)
	v_min_u32_e32 v103, 32, v86
	v_subrev_nc_u32_e32 v86, 28, v103
	s_delay_alu instid0(VALU_DEP_1) | instskip(NEXT) | instid1(VALU_DEP_1)
	v_lshlrev_b64_e32 v[86:87], v86, v[66:67]
	v_dual_sub_nc_u32 v87, 29, v103 :: v_dual_bitop2_b32 v86, 7, v86 bitop3:0x40
; %bb.910:                              ;   in Loop: Header=BB331_12 Depth=1
	s_or_b32 exec_lo, exec_lo, s22
	s_delay_alu instid0(VALU_DEP_1) | instskip(NEXT) | instid1(VALU_DEP_2)
	v_dual_lshlrev_b32 v66, 24, v92 :: v_dual_lshlrev_b32 v86, 20, v86
	v_lshl_add_u32 v87, v87, 23, 0x3c000000
	s_delay_alu instid0(VALU_DEP_2) | instskip(NEXT) | instid1(VALU_DEP_1)
	v_and_b32_e32 v66, 0x80000000, v66
	v_or3_b32 v103, v86, v66, v87
.LBB331_911:                            ;   in Loop: Header=BB331_12 Depth=1
	s_or_b32 exec_lo, exec_lo, s21
.LBB331_912:                            ;   in Loop: Header=BB331_12 Depth=1
	s_delay_alu instid0(SALU_CYCLE_1)
	s_or_b32 exec_lo, exec_lo, s20
.LBB331_913:                            ;   in Loop: Header=BB331_12 Depth=1
	s_delay_alu instid0(SALU_CYCLE_1)
	s_or_b32 exec_lo, exec_lo, s19
	flat_load_b32 v94, v[84:85] offset:3584
	v_dual_mov_b32 v93, 0 :: v_dual_mov_b32 v92, 0
	s_mov_b32 s19, exec_lo
	s_wait_loadcnt_dscnt 0x0
	v_and_b32_e32 v66, 0xff, v94
	s_wait_xcnt 0x0
	s_delay_alu instid0(VALU_DEP_1)
	v_cmpx_ne_u16_e32 0, v66
	s_cbranch_execz .LBB331_921
; %bb.914:                              ;   in Loop: Header=BB331_12 Depth=1
	v_bfrev_b32_e32 v92, 1
	s_mov_b32 s20, exec_lo
	v_cmpx_ne_u16_e32 0x80, v66
	s_cbranch_execz .LBB331_920
; %bb.915:                              ;   in Loop: Header=BB331_12 Depth=1
	v_and_b32_e32 v90, 0x7f, v94
	v_mov_b32_e32 v92, 0x7f800001
	s_mov_b32 s21, exec_lo
	s_delay_alu instid0(VALU_DEP_2)
	v_cmpx_ne_u32_e32 0x7f, v90
	s_cbranch_execz .LBB331_919
; %bb.916:                              ;   in Loop: Header=BB331_12 Depth=1
	v_and_b32_e32 v66, 7, v94
	s_mov_b32 s22, exec_lo
	s_delay_alu instid0(VALU_DEP_1)
	v_mov_b64_e32 v[86:87], v[66:67]
	v_lshrrev_b32_e32 v87, 3, v90
	v_cmpx_gt_u32_e32 8, v90
; %bb.917:                              ;   in Loop: Header=BB331_12 Depth=1
	v_clz_i32_u32_e32 v86, v66
	s_delay_alu instid0(VALU_DEP_1) | instskip(NEXT) | instid1(VALU_DEP_1)
	v_min_u32_e32 v90, 32, v86
	v_subrev_nc_u32_e32 v86, 28, v90
	s_delay_alu instid0(VALU_DEP_1) | instskip(SKIP_1) | instid1(VALU_DEP_2)
	v_lshlrev_b64_e32 v[86:87], v86, v[66:67]
	v_sub_nc_u32_e32 v87, 29, v90
	v_and_b32_e32 v86, 7, v86
; %bb.918:                              ;   in Loop: Header=BB331_12 Depth=1
	s_or_b32 exec_lo, exec_lo, s22
	v_lshlrev_b32_e32 v66, 24, v94
	s_delay_alu instid0(VALU_DEP_2) | instskip(SKIP_1) | instid1(VALU_DEP_3)
	v_lshlrev_b32_e32 v86, 20, v86
	v_lshl_add_u32 v87, v87, 23, 0x3c000000
	v_and_b32_e32 v66, 0x80000000, v66
	s_delay_alu instid0(VALU_DEP_1)
	v_or3_b32 v92, v86, v66, v87
.LBB331_919:                            ;   in Loop: Header=BB331_12 Depth=1
	s_or_b32 exec_lo, exec_lo, s21
.LBB331_920:                            ;   in Loop: Header=BB331_12 Depth=1
	s_delay_alu instid0(SALU_CYCLE_1)
	s_or_b32 exec_lo, exec_lo, s20
.LBB331_921:                            ;   in Loop: Header=BB331_12 Depth=1
	s_delay_alu instid0(SALU_CYCLE_1) | instskip(SKIP_2) | instid1(VALU_DEP_1)
	s_or_b32 exec_lo, exec_lo, s19
	v_lshrrev_b16 v66, 8, v94
	s_mov_b32 s19, exec_lo
	v_cmpx_ne_u16_e32 0, v66
	s_cbranch_execz .LBB331_929
; %bb.922:                              ;   in Loop: Header=BB331_12 Depth=1
	v_bfrev_b32_e32 v93, 1
	s_mov_b32 s20, exec_lo
	v_cmpx_ne_u16_e32 0x80, v66
	s_cbranch_execz .LBB331_928
; %bb.923:                              ;   in Loop: Header=BB331_12 Depth=1
	v_and_b32_e32 v66, 0xffff, v66
	v_mov_b32_e32 v93, 0x7f800001
	s_mov_b32 s21, exec_lo
	s_delay_alu instid0(VALU_DEP_2) | instskip(NEXT) | instid1(VALU_DEP_1)
	v_and_b32_e32 v90, 0x7f, v66
	v_cmpx_ne_u32_e32 0x7f, v90
	s_cbranch_execz .LBB331_927
; %bb.924:                              ;   in Loop: Header=BB331_12 Depth=1
	v_and_b32_e32 v66, 7, v66
	s_mov_b32 s22, exec_lo
	s_delay_alu instid0(VALU_DEP_1)
	v_mov_b64_e32 v[86:87], v[66:67]
	v_lshrrev_b32_e32 v87, 3, v90
	v_cmpx_gt_u32_e32 8, v90
; %bb.925:                              ;   in Loop: Header=BB331_12 Depth=1
	v_clz_i32_u32_e32 v86, v66
	s_delay_alu instid0(VALU_DEP_1) | instskip(NEXT) | instid1(VALU_DEP_1)
	v_min_u32_e32 v90, 32, v86
	v_subrev_nc_u32_e32 v86, 28, v90
	s_delay_alu instid0(VALU_DEP_1) | instskip(SKIP_1) | instid1(VALU_DEP_2)
	v_lshlrev_b64_e32 v[86:87], v86, v[66:67]
	v_sub_nc_u32_e32 v87, 29, v90
	v_and_b32_e32 v86, 7, v86
; %bb.926:                              ;   in Loop: Header=BB331_12 Depth=1
	s_or_b32 exec_lo, exec_lo, s22
	v_lshlrev_b32_e32 v66, 16, v94
	s_delay_alu instid0(VALU_DEP_2) | instskip(SKIP_1) | instid1(VALU_DEP_3)
	v_lshlrev_b32_e32 v86, 20, v86
	v_lshl_add_u32 v87, v87, 23, 0x3c000000
	v_and_b32_e32 v66, 0x80000000, v66
	s_delay_alu instid0(VALU_DEP_1)
	v_or3_b32 v93, v86, v66, v87
.LBB331_927:                            ;   in Loop: Header=BB331_12 Depth=1
	s_or_b32 exec_lo, exec_lo, s21
.LBB331_928:                            ;   in Loop: Header=BB331_12 Depth=1
	s_delay_alu instid0(SALU_CYCLE_1)
	s_or_b32 exec_lo, exec_lo, s20
.LBB331_929:                            ;   in Loop: Header=BB331_12 Depth=1
	s_delay_alu instid0(SALU_CYCLE_1) | instskip(SKIP_3) | instid1(VALU_DEP_2)
	s_or_b32 exec_lo, exec_lo, s19
	v_dual_lshrrev_b32 v104, 16, v94 :: v_dual_mov_b32 v90, 0
	v_mov_b32_e32 v95, 0
	s_mov_b32 s19, exec_lo
	v_and_b32_e32 v66, 0xff, v104
	s_delay_alu instid0(VALU_DEP_1)
	v_cmpx_ne_u16_e32 0, v66
	s_cbranch_execz .LBB331_937
; %bb.930:                              ;   in Loop: Header=BB331_12 Depth=1
	v_bfrev_b32_e32 v95, 1
	s_mov_b32 s20, exec_lo
	v_cmpx_ne_u16_e32 0x80, v66
	s_cbranch_execz .LBB331_936
; %bb.931:                              ;   in Loop: Header=BB331_12 Depth=1
	v_bfe_u32 v105, v94, 16, 7
	v_mov_b32_e32 v95, 0x7f800001
	s_mov_b32 s21, exec_lo
	s_delay_alu instid0(VALU_DEP_2)
	v_cmpx_ne_u32_e32 0x7f, v105
	s_cbranch_execz .LBB331_935
; %bb.932:                              ;   in Loop: Header=BB331_12 Depth=1
	v_and_b32_e32 v66, 7, v104
	s_mov_b32 s22, exec_lo
	s_delay_alu instid0(VALU_DEP_1)
	v_mov_b64_e32 v[86:87], v[66:67]
	v_lshrrev_b32_e32 v87, 3, v105
	v_cmpx_gt_u32_e32 8, v105
; %bb.933:                              ;   in Loop: Header=BB331_12 Depth=1
	v_clz_i32_u32_e32 v86, v66
	s_delay_alu instid0(VALU_DEP_1) | instskip(NEXT) | instid1(VALU_DEP_1)
	v_min_u32_e32 v95, 32, v86
	v_subrev_nc_u32_e32 v86, 28, v95
	s_delay_alu instid0(VALU_DEP_1) | instskip(NEXT) | instid1(VALU_DEP_1)
	v_lshlrev_b64_e32 v[86:87], v86, v[66:67]
	v_dual_sub_nc_u32 v87, 29, v95 :: v_dual_bitop2_b32 v86, 7, v86 bitop3:0x40
; %bb.934:                              ;   in Loop: Header=BB331_12 Depth=1
	s_or_b32 exec_lo, exec_lo, s22
	s_delay_alu instid0(VALU_DEP_1) | instskip(NEXT) | instid1(VALU_DEP_2)
	v_dual_lshlrev_b32 v66, 24, v104 :: v_dual_lshlrev_b32 v86, 20, v86
	v_lshl_add_u32 v87, v87, 23, 0x3c000000
	s_delay_alu instid0(VALU_DEP_2) | instskip(NEXT) | instid1(VALU_DEP_1)
	v_and_b32_e32 v66, 0x80000000, v66
	v_or3_b32 v95, v86, v66, v87
.LBB331_935:                            ;   in Loop: Header=BB331_12 Depth=1
	s_or_b32 exec_lo, exec_lo, s21
.LBB331_936:                            ;   in Loop: Header=BB331_12 Depth=1
	s_delay_alu instid0(SALU_CYCLE_1)
	s_or_b32 exec_lo, exec_lo, s20
.LBB331_937:                            ;   in Loop: Header=BB331_12 Depth=1
	s_delay_alu instid0(SALU_CYCLE_1) | instskip(NEXT) | instid1(SALU_CYCLE_1)
	s_or_b32 exec_lo, exec_lo, s19
	s_mov_b32 s19, exec_lo
	v_cmpx_lt_u32_e32 0xffffff, v94
	s_cbranch_execz .LBB331_945
; %bb.938:                              ;   in Loop: Header=BB331_12 Depth=1
	v_lshrrev_b32_e32 v104, 24, v94
	v_bfrev_b32_e32 v90, 1
	s_mov_b32 s20, exec_lo
	s_delay_alu instid0(VALU_DEP_2)
	v_cmpx_ne_u32_e32 0x80, v104
	s_cbranch_execz .LBB331_944
; %bb.939:                              ;   in Loop: Header=BB331_12 Depth=1
	v_bfe_u32 v94, v94, 24, 7
	v_mov_b32_e32 v90, 0x7f800001
	s_mov_b32 s21, exec_lo
	s_delay_alu instid0(VALU_DEP_2)
	v_cmpx_ne_u32_e32 0x7f, v94
	s_cbranch_execz .LBB331_943
; %bb.940:                              ;   in Loop: Header=BB331_12 Depth=1
	v_and_b32_e32 v66, 7, v104
	s_mov_b32 s22, exec_lo
	s_delay_alu instid0(VALU_DEP_1)
	v_mov_b64_e32 v[86:87], v[66:67]
	v_lshrrev_b32_e32 v87, 3, v94
	v_cmpx_gt_u32_e32 8, v94
; %bb.941:                              ;   in Loop: Header=BB331_12 Depth=1
	v_clz_i32_u32_e32 v86, v66
	s_delay_alu instid0(VALU_DEP_1) | instskip(NEXT) | instid1(VALU_DEP_1)
	v_min_u32_e32 v90, 32, v86
	v_subrev_nc_u32_e32 v86, 28, v90
	s_delay_alu instid0(VALU_DEP_1) | instskip(SKIP_1) | instid1(VALU_DEP_2)
	v_lshlrev_b64_e32 v[86:87], v86, v[66:67]
	v_sub_nc_u32_e32 v87, 29, v90
	v_and_b32_e32 v86, 7, v86
; %bb.942:                              ;   in Loop: Header=BB331_12 Depth=1
	s_or_b32 exec_lo, exec_lo, s22
	s_delay_alu instid0(VALU_DEP_1) | instskip(NEXT) | instid1(VALU_DEP_3)
	v_dual_lshlrev_b32 v66, 24, v104 :: v_dual_lshlrev_b32 v86, 20, v86
	v_lshl_add_u32 v87, v87, 23, 0x3c000000
	s_delay_alu instid0(VALU_DEP_2) | instskip(NEXT) | instid1(VALU_DEP_1)
	v_and_b32_e32 v66, 0x80000000, v66
	v_or3_b32 v90, v86, v66, v87
.LBB331_943:                            ;   in Loop: Header=BB331_12 Depth=1
	s_or_b32 exec_lo, exec_lo, s21
.LBB331_944:                            ;   in Loop: Header=BB331_12 Depth=1
	s_delay_alu instid0(SALU_CYCLE_1)
	s_or_b32 exec_lo, exec_lo, s20
.LBB331_945:                            ;   in Loop: Header=BB331_12 Depth=1
	s_delay_alu instid0(SALU_CYCLE_1)
	s_or_b32 exec_lo, exec_lo, s19
	flat_load_b32 v107, v[84:85] offset:3592
	v_dual_mov_b32 v105, 0 :: v_dual_mov_b32 v104, 0
	s_mov_b32 s19, exec_lo
	s_wait_loadcnt_dscnt 0x0
	v_and_b32_e32 v66, 0xff, v107
	s_wait_xcnt 0x0
	s_delay_alu instid0(VALU_DEP_1)
	v_cmpx_ne_u16_e32 0, v66
	s_cbranch_execz .LBB331_953
; %bb.946:                              ;   in Loop: Header=BB331_12 Depth=1
	v_bfrev_b32_e32 v104, 1
	s_mov_b32 s20, exec_lo
	v_cmpx_ne_u16_e32 0x80, v66
	s_cbranch_execz .LBB331_952
; %bb.947:                              ;   in Loop: Header=BB331_12 Depth=1
	v_and_b32_e32 v94, 0x7f, v107
	v_mov_b32_e32 v104, 0x7f800001
	s_mov_b32 s21, exec_lo
	s_delay_alu instid0(VALU_DEP_2)
	v_cmpx_ne_u32_e32 0x7f, v94
	s_cbranch_execz .LBB331_951
; %bb.948:                              ;   in Loop: Header=BB331_12 Depth=1
	v_and_b32_e32 v66, 7, v107
	s_mov_b32 s22, exec_lo
	s_delay_alu instid0(VALU_DEP_1)
	v_mov_b64_e32 v[86:87], v[66:67]
	v_lshrrev_b32_e32 v87, 3, v94
	v_cmpx_gt_u32_e32 8, v94
; %bb.949:                              ;   in Loop: Header=BB331_12 Depth=1
	v_clz_i32_u32_e32 v86, v66
	s_delay_alu instid0(VALU_DEP_1) | instskip(NEXT) | instid1(VALU_DEP_1)
	v_min_u32_e32 v94, 32, v86
	v_subrev_nc_u32_e32 v86, 28, v94
	s_delay_alu instid0(VALU_DEP_1) | instskip(SKIP_1) | instid1(VALU_DEP_2)
	v_lshlrev_b64_e32 v[86:87], v86, v[66:67]
	v_sub_nc_u32_e32 v87, 29, v94
	v_and_b32_e32 v86, 7, v86
; %bb.950:                              ;   in Loop: Header=BB331_12 Depth=1
	s_or_b32 exec_lo, exec_lo, s22
	s_delay_alu instid0(VALU_DEP_1) | instskip(NEXT) | instid1(VALU_DEP_3)
	v_dual_lshlrev_b32 v66, 24, v107 :: v_dual_lshlrev_b32 v86, 20, v86
	v_lshl_add_u32 v87, v87, 23, 0x3c000000
	s_delay_alu instid0(VALU_DEP_2) | instskip(NEXT) | instid1(VALU_DEP_1)
	v_and_b32_e32 v66, 0x80000000, v66
	v_or3_b32 v104, v86, v66, v87
.LBB331_951:                            ;   in Loop: Header=BB331_12 Depth=1
	s_or_b32 exec_lo, exec_lo, s21
.LBB331_952:                            ;   in Loop: Header=BB331_12 Depth=1
	s_delay_alu instid0(SALU_CYCLE_1)
	s_or_b32 exec_lo, exec_lo, s20
.LBB331_953:                            ;   in Loop: Header=BB331_12 Depth=1
	s_delay_alu instid0(SALU_CYCLE_1) | instskip(SKIP_2) | instid1(VALU_DEP_1)
	s_or_b32 exec_lo, exec_lo, s19
	v_lshrrev_b16 v66, 8, v107
	s_mov_b32 s19, exec_lo
	v_cmpx_ne_u16_e32 0, v66
	s_cbranch_execz .LBB331_961
; %bb.954:                              ;   in Loop: Header=BB331_12 Depth=1
	v_bfrev_b32_e32 v105, 1
	s_mov_b32 s20, exec_lo
	v_cmpx_ne_u16_e32 0x80, v66
	s_cbranch_execz .LBB331_960
; %bb.955:                              ;   in Loop: Header=BB331_12 Depth=1
	v_and_b32_e32 v66, 0xffff, v66
	v_mov_b32_e32 v105, 0x7f800001
	s_mov_b32 s21, exec_lo
	s_delay_alu instid0(VALU_DEP_2) | instskip(NEXT) | instid1(VALU_DEP_1)
	v_and_b32_e32 v94, 0x7f, v66
	v_cmpx_ne_u32_e32 0x7f, v94
	s_cbranch_execz .LBB331_959
; %bb.956:                              ;   in Loop: Header=BB331_12 Depth=1
	v_and_b32_e32 v66, 7, v66
	s_mov_b32 s22, exec_lo
	s_delay_alu instid0(VALU_DEP_1)
	v_mov_b64_e32 v[86:87], v[66:67]
	v_lshrrev_b32_e32 v87, 3, v94
	v_cmpx_gt_u32_e32 8, v94
; %bb.957:                              ;   in Loop: Header=BB331_12 Depth=1
	v_clz_i32_u32_e32 v86, v66
	s_delay_alu instid0(VALU_DEP_1) | instskip(NEXT) | instid1(VALU_DEP_1)
	v_min_u32_e32 v94, 32, v86
	v_subrev_nc_u32_e32 v86, 28, v94
	s_delay_alu instid0(VALU_DEP_1) | instskip(SKIP_1) | instid1(VALU_DEP_2)
	v_lshlrev_b64_e32 v[86:87], v86, v[66:67]
	v_sub_nc_u32_e32 v87, 29, v94
	v_and_b32_e32 v86, 7, v86
; %bb.958:                              ;   in Loop: Header=BB331_12 Depth=1
	s_or_b32 exec_lo, exec_lo, s22
	s_delay_alu instid0(VALU_DEP_1) | instskip(NEXT) | instid1(VALU_DEP_3)
	v_dual_lshlrev_b32 v66, 16, v107 :: v_dual_lshlrev_b32 v86, 20, v86
	v_lshl_add_u32 v87, v87, 23, 0x3c000000
	s_delay_alu instid0(VALU_DEP_2) | instskip(NEXT) | instid1(VALU_DEP_1)
	v_and_b32_e32 v66, 0x80000000, v66
	v_or3_b32 v105, v86, v66, v87
.LBB331_959:                            ;   in Loop: Header=BB331_12 Depth=1
	s_or_b32 exec_lo, exec_lo, s21
.LBB331_960:                            ;   in Loop: Header=BB331_12 Depth=1
	s_delay_alu instid0(SALU_CYCLE_1)
	s_or_b32 exec_lo, exec_lo, s20
.LBB331_961:                            ;   in Loop: Header=BB331_12 Depth=1
	s_delay_alu instid0(SALU_CYCLE_1) | instskip(SKIP_3) | instid1(VALU_DEP_2)
	s_or_b32 exec_lo, exec_lo, s19
	v_dual_lshrrev_b32 v108, 16, v107 :: v_dual_mov_b32 v94, 0
	v_mov_b32_e32 v106, 0
	s_mov_b32 s19, exec_lo
	v_and_b32_e32 v66, 0xff, v108
	s_delay_alu instid0(VALU_DEP_1)
	v_cmpx_ne_u16_e32 0, v66
	s_cbranch_execz .LBB331_969
; %bb.962:                              ;   in Loop: Header=BB331_12 Depth=1
	v_bfrev_b32_e32 v106, 1
	s_mov_b32 s20, exec_lo
	v_cmpx_ne_u16_e32 0x80, v66
	s_cbranch_execz .LBB331_968
; %bb.963:                              ;   in Loop: Header=BB331_12 Depth=1
	v_bfe_u32 v109, v107, 16, 7
	v_mov_b32_e32 v106, 0x7f800001
	s_mov_b32 s21, exec_lo
	s_delay_alu instid0(VALU_DEP_2)
	v_cmpx_ne_u32_e32 0x7f, v109
	s_cbranch_execz .LBB331_967
; %bb.964:                              ;   in Loop: Header=BB331_12 Depth=1
	v_and_b32_e32 v66, 7, v108
	s_mov_b32 s22, exec_lo
	s_delay_alu instid0(VALU_DEP_1)
	v_mov_b64_e32 v[86:87], v[66:67]
	v_lshrrev_b32_e32 v87, 3, v109
	v_cmpx_gt_u32_e32 8, v109
; %bb.965:                              ;   in Loop: Header=BB331_12 Depth=1
	v_clz_i32_u32_e32 v86, v66
	s_delay_alu instid0(VALU_DEP_1) | instskip(NEXT) | instid1(VALU_DEP_1)
	v_min_u32_e32 v106, 32, v86
	v_subrev_nc_u32_e32 v86, 28, v106
	s_delay_alu instid0(VALU_DEP_1) | instskip(SKIP_1) | instid1(VALU_DEP_2)
	v_lshlrev_b64_e32 v[86:87], v86, v[66:67]
	v_sub_nc_u32_e32 v87, 29, v106
	v_and_b32_e32 v86, 7, v86
; %bb.966:                              ;   in Loop: Header=BB331_12 Depth=1
	s_or_b32 exec_lo, exec_lo, s22
	s_delay_alu instid0(VALU_DEP_1) | instskip(NEXT) | instid1(VALU_DEP_3)
	v_dual_lshlrev_b32 v66, 24, v108 :: v_dual_lshlrev_b32 v86, 20, v86
	v_lshl_add_u32 v87, v87, 23, 0x3c000000
	s_delay_alu instid0(VALU_DEP_2) | instskip(NEXT) | instid1(VALU_DEP_1)
	v_and_b32_e32 v66, 0x80000000, v66
	v_or3_b32 v106, v86, v66, v87
.LBB331_967:                            ;   in Loop: Header=BB331_12 Depth=1
	s_or_b32 exec_lo, exec_lo, s21
.LBB331_968:                            ;   in Loop: Header=BB331_12 Depth=1
	s_delay_alu instid0(SALU_CYCLE_1)
	s_or_b32 exec_lo, exec_lo, s20
.LBB331_969:                            ;   in Loop: Header=BB331_12 Depth=1
	s_delay_alu instid0(SALU_CYCLE_1) | instskip(NEXT) | instid1(SALU_CYCLE_1)
	s_or_b32 exec_lo, exec_lo, s19
	s_mov_b32 s19, exec_lo
	v_cmpx_lt_u32_e32 0xffffff, v107
	s_cbranch_execz .LBB331_977
; %bb.970:                              ;   in Loop: Header=BB331_12 Depth=1
	v_lshrrev_b32_e32 v108, 24, v107
	v_bfrev_b32_e32 v94, 1
	s_mov_b32 s20, exec_lo
	s_delay_alu instid0(VALU_DEP_2)
	v_cmpx_ne_u32_e32 0x80, v108
	s_cbranch_execz .LBB331_976
; %bb.971:                              ;   in Loop: Header=BB331_12 Depth=1
	v_bfe_u32 v107, v107, 24, 7
	v_mov_b32_e32 v94, 0x7f800001
	s_mov_b32 s21, exec_lo
	s_delay_alu instid0(VALU_DEP_2)
	v_cmpx_ne_u32_e32 0x7f, v107
	s_cbranch_execz .LBB331_975
; %bb.972:                              ;   in Loop: Header=BB331_12 Depth=1
	v_and_b32_e32 v66, 7, v108
	s_mov_b32 s22, exec_lo
	s_delay_alu instid0(VALU_DEP_1)
	v_mov_b64_e32 v[86:87], v[66:67]
	v_lshrrev_b32_e32 v87, 3, v107
	v_cmpx_gt_u32_e32 8, v107
; %bb.973:                              ;   in Loop: Header=BB331_12 Depth=1
	v_clz_i32_u32_e32 v86, v66
	s_delay_alu instid0(VALU_DEP_1) | instskip(NEXT) | instid1(VALU_DEP_1)
	v_min_u32_e32 v94, 32, v86
	v_subrev_nc_u32_e32 v86, 28, v94
	s_delay_alu instid0(VALU_DEP_1) | instskip(SKIP_1) | instid1(VALU_DEP_2)
	v_lshlrev_b64_e32 v[86:87], v86, v[66:67]
	v_sub_nc_u32_e32 v87, 29, v94
	v_and_b32_e32 v86, 7, v86
; %bb.974:                              ;   in Loop: Header=BB331_12 Depth=1
	s_or_b32 exec_lo, exec_lo, s22
	s_delay_alu instid0(VALU_DEP_1) | instskip(NEXT) | instid1(VALU_DEP_3)
	v_dual_lshlrev_b32 v66, 24, v108 :: v_dual_lshlrev_b32 v86, 20, v86
	v_lshl_add_u32 v87, v87, 23, 0x3c000000
	s_delay_alu instid0(VALU_DEP_2) | instskip(NEXT) | instid1(VALU_DEP_1)
	v_and_b32_e32 v66, 0x80000000, v66
	v_or3_b32 v94, v86, v66, v87
.LBB331_975:                            ;   in Loop: Header=BB331_12 Depth=1
	s_or_b32 exec_lo, exec_lo, s21
.LBB331_976:                            ;   in Loop: Header=BB331_12 Depth=1
	s_delay_alu instid0(SALU_CYCLE_1)
	s_or_b32 exec_lo, exec_lo, s20
.LBB331_977:                            ;   in Loop: Header=BB331_12 Depth=1
	s_delay_alu instid0(SALU_CYCLE_1)
	s_or_b32 exec_lo, exec_lo, s19
	flat_load_b32 v111, v[84:85] offset:3840
	v_dual_mov_b32 v108, 0 :: v_dual_mov_b32 v107, 0
	s_mov_b32 s19, exec_lo
	s_wait_loadcnt_dscnt 0x0
	v_and_b32_e32 v66, 0xff, v111
	s_wait_xcnt 0x0
	s_delay_alu instid0(VALU_DEP_1)
	v_cmpx_ne_u16_e32 0, v66
	s_cbranch_execz .LBB331_985
; %bb.978:                              ;   in Loop: Header=BB331_12 Depth=1
	v_bfrev_b32_e32 v107, 1
	s_mov_b32 s20, exec_lo
	v_cmpx_ne_u16_e32 0x80, v66
	s_cbranch_execz .LBB331_984
; %bb.979:                              ;   in Loop: Header=BB331_12 Depth=1
	v_and_b32_e32 v109, 0x7f, v111
	v_mov_b32_e32 v107, 0x7f800001
	s_mov_b32 s21, exec_lo
	s_delay_alu instid0(VALU_DEP_2)
	v_cmpx_ne_u32_e32 0x7f, v109
	s_cbranch_execz .LBB331_983
; %bb.980:                              ;   in Loop: Header=BB331_12 Depth=1
	v_and_b32_e32 v66, 7, v111
	s_mov_b32 s22, exec_lo
	s_delay_alu instid0(VALU_DEP_1)
	v_mov_b64_e32 v[86:87], v[66:67]
	v_lshrrev_b32_e32 v87, 3, v109
	v_cmpx_gt_u32_e32 8, v109
; %bb.981:                              ;   in Loop: Header=BB331_12 Depth=1
	v_clz_i32_u32_e32 v86, v66
	s_delay_alu instid0(VALU_DEP_1) | instskip(NEXT) | instid1(VALU_DEP_1)
	v_min_u32_e32 v107, 32, v86
	v_subrev_nc_u32_e32 v86, 28, v107
	s_delay_alu instid0(VALU_DEP_1) | instskip(NEXT) | instid1(VALU_DEP_1)
	v_lshlrev_b64_e32 v[86:87], v86, v[66:67]
	v_dual_sub_nc_u32 v87, 29, v107 :: v_dual_bitop2_b32 v86, 7, v86 bitop3:0x40
; %bb.982:                              ;   in Loop: Header=BB331_12 Depth=1
	s_or_b32 exec_lo, exec_lo, s22
	s_delay_alu instid0(VALU_DEP_1) | instskip(NEXT) | instid1(VALU_DEP_2)
	v_dual_lshlrev_b32 v66, 24, v111 :: v_dual_lshlrev_b32 v86, 20, v86
	v_lshl_add_u32 v87, v87, 23, 0x3c000000
	s_delay_alu instid0(VALU_DEP_2) | instskip(NEXT) | instid1(VALU_DEP_1)
	v_and_b32_e32 v66, 0x80000000, v66
	v_or3_b32 v107, v86, v66, v87
.LBB331_983:                            ;   in Loop: Header=BB331_12 Depth=1
	s_or_b32 exec_lo, exec_lo, s21
.LBB331_984:                            ;   in Loop: Header=BB331_12 Depth=1
	s_delay_alu instid0(SALU_CYCLE_1)
	s_or_b32 exec_lo, exec_lo, s20
.LBB331_985:                            ;   in Loop: Header=BB331_12 Depth=1
	s_delay_alu instid0(SALU_CYCLE_1) | instskip(SKIP_2) | instid1(VALU_DEP_1)
	s_or_b32 exec_lo, exec_lo, s19
	v_lshrrev_b16 v66, 8, v111
	s_mov_b32 s19, exec_lo
	v_cmpx_ne_u16_e32 0, v66
	s_cbranch_execz .LBB331_993
; %bb.986:                              ;   in Loop: Header=BB331_12 Depth=1
	v_bfrev_b32_e32 v108, 1
	s_mov_b32 s20, exec_lo
	v_cmpx_ne_u16_e32 0x80, v66
	s_cbranch_execz .LBB331_992
; %bb.987:                              ;   in Loop: Header=BB331_12 Depth=1
	v_and_b32_e32 v66, 0xffff, v66
	v_mov_b32_e32 v108, 0x7f800001
	s_mov_b32 s21, exec_lo
	s_delay_alu instid0(VALU_DEP_2) | instskip(NEXT) | instid1(VALU_DEP_1)
	v_and_b32_e32 v109, 0x7f, v66
	v_cmpx_ne_u32_e32 0x7f, v109
	s_cbranch_execz .LBB331_991
; %bb.988:                              ;   in Loop: Header=BB331_12 Depth=1
	v_and_b32_e32 v66, 7, v66
	s_mov_b32 s22, exec_lo
	s_delay_alu instid0(VALU_DEP_1)
	v_mov_b64_e32 v[86:87], v[66:67]
	v_lshrrev_b32_e32 v87, 3, v109
	v_cmpx_gt_u32_e32 8, v109
; %bb.989:                              ;   in Loop: Header=BB331_12 Depth=1
	v_clz_i32_u32_e32 v86, v66
	s_delay_alu instid0(VALU_DEP_1) | instskip(NEXT) | instid1(VALU_DEP_1)
	v_min_u32_e32 v108, 32, v86
	v_subrev_nc_u32_e32 v86, 28, v108
	s_delay_alu instid0(VALU_DEP_1) | instskip(NEXT) | instid1(VALU_DEP_1)
	v_lshlrev_b64_e32 v[86:87], v86, v[66:67]
	v_dual_sub_nc_u32 v87, 29, v108 :: v_dual_bitop2_b32 v86, 7, v86 bitop3:0x40
; %bb.990:                              ;   in Loop: Header=BB331_12 Depth=1
	s_or_b32 exec_lo, exec_lo, s22
	s_delay_alu instid0(VALU_DEP_1) | instskip(NEXT) | instid1(VALU_DEP_2)
	v_dual_lshlrev_b32 v66, 16, v111 :: v_dual_lshlrev_b32 v86, 20, v86
	v_lshl_add_u32 v87, v87, 23, 0x3c000000
	s_delay_alu instid0(VALU_DEP_2) | instskip(NEXT) | instid1(VALU_DEP_1)
	v_and_b32_e32 v66, 0x80000000, v66
	v_or3_b32 v108, v86, v66, v87
.LBB331_991:                            ;   in Loop: Header=BB331_12 Depth=1
	s_or_b32 exec_lo, exec_lo, s21
.LBB331_992:                            ;   in Loop: Header=BB331_12 Depth=1
	s_delay_alu instid0(SALU_CYCLE_1)
	s_or_b32 exec_lo, exec_lo, s20
.LBB331_993:                            ;   in Loop: Header=BB331_12 Depth=1
	s_delay_alu instid0(SALU_CYCLE_1) | instskip(SKIP_3) | instid1(VALU_DEP_2)
	s_or_b32 exec_lo, exec_lo, s19
	v_dual_mov_b32 v109, 0 :: v_dual_lshrrev_b32 v120, 16, v111
	v_mov_b32_e32 v110, 0
	s_mov_b32 s19, exec_lo
	v_and_b32_e32 v66, 0xff, v120
	s_delay_alu instid0(VALU_DEP_1)
	v_cmpx_ne_u16_e32 0, v66
	s_cbranch_execz .LBB331_1001
; %bb.994:                              ;   in Loop: Header=BB331_12 Depth=1
	v_bfrev_b32_e32 v110, 1
	s_mov_b32 s20, exec_lo
	v_cmpx_ne_u16_e32 0x80, v66
	s_cbranch_execz .LBB331_1000
; %bb.995:                              ;   in Loop: Header=BB331_12 Depth=1
	v_bfe_u32 v121, v111, 16, 7
	v_mov_b32_e32 v110, 0x7f800001
	s_mov_b32 s21, exec_lo
	s_delay_alu instid0(VALU_DEP_2)
	v_cmpx_ne_u32_e32 0x7f, v121
	s_cbranch_execz .LBB331_999
; %bb.996:                              ;   in Loop: Header=BB331_12 Depth=1
	v_and_b32_e32 v66, 7, v120
	s_mov_b32 s22, exec_lo
	s_delay_alu instid0(VALU_DEP_1)
	v_mov_b64_e32 v[86:87], v[66:67]
	v_lshrrev_b32_e32 v87, 3, v121
	v_cmpx_gt_u32_e32 8, v121
; %bb.997:                              ;   in Loop: Header=BB331_12 Depth=1
	v_clz_i32_u32_e32 v86, v66
	s_delay_alu instid0(VALU_DEP_1) | instskip(NEXT) | instid1(VALU_DEP_1)
	v_min_u32_e32 v110, 32, v86
	v_subrev_nc_u32_e32 v86, 28, v110
	s_delay_alu instid0(VALU_DEP_1) | instskip(SKIP_1) | instid1(VALU_DEP_2)
	v_lshlrev_b64_e32 v[86:87], v86, v[66:67]
	v_sub_nc_u32_e32 v87, 29, v110
	v_and_b32_e32 v86, 7, v86
; %bb.998:                              ;   in Loop: Header=BB331_12 Depth=1
	s_or_b32 exec_lo, exec_lo, s22
	s_delay_alu instid0(VALU_DEP_1) | instskip(NEXT) | instid1(VALU_DEP_3)
	v_dual_lshlrev_b32 v66, 24, v120 :: v_dual_lshlrev_b32 v86, 20, v86
	v_lshl_add_u32 v87, v87, 23, 0x3c000000
	s_delay_alu instid0(VALU_DEP_2) | instskip(NEXT) | instid1(VALU_DEP_1)
	v_and_b32_e32 v66, 0x80000000, v66
	v_or3_b32 v110, v86, v66, v87
.LBB331_999:                            ;   in Loop: Header=BB331_12 Depth=1
	s_or_b32 exec_lo, exec_lo, s21
.LBB331_1000:                           ;   in Loop: Header=BB331_12 Depth=1
	s_delay_alu instid0(SALU_CYCLE_1)
	s_or_b32 exec_lo, exec_lo, s20
.LBB331_1001:                           ;   in Loop: Header=BB331_12 Depth=1
	s_delay_alu instid0(SALU_CYCLE_1) | instskip(NEXT) | instid1(SALU_CYCLE_1)
	s_or_b32 exec_lo, exec_lo, s19
	s_mov_b32 s19, exec_lo
	v_cmpx_lt_u32_e32 0xffffff, v111
	s_cbranch_execz .LBB331_1009
; %bb.1002:                             ;   in Loop: Header=BB331_12 Depth=1
	v_lshrrev_b32_e32 v120, 24, v111
	v_bfrev_b32_e32 v109, 1
	s_mov_b32 s20, exec_lo
	s_delay_alu instid0(VALU_DEP_2)
	v_cmpx_ne_u32_e32 0x80, v120
	s_cbranch_execz .LBB331_1008
; %bb.1003:                             ;   in Loop: Header=BB331_12 Depth=1
	v_bfe_u32 v111, v111, 24, 7
	v_mov_b32_e32 v109, 0x7f800001
	s_mov_b32 s21, exec_lo
	s_delay_alu instid0(VALU_DEP_2)
	v_cmpx_ne_u32_e32 0x7f, v111
	s_cbranch_execz .LBB331_1007
; %bb.1004:                             ;   in Loop: Header=BB331_12 Depth=1
	v_and_b32_e32 v66, 7, v120
	s_mov_b32 s22, exec_lo
	s_delay_alu instid0(VALU_DEP_1)
	v_mov_b64_e32 v[86:87], v[66:67]
	v_lshrrev_b32_e32 v87, 3, v111
	v_cmpx_gt_u32_e32 8, v111
; %bb.1005:                             ;   in Loop: Header=BB331_12 Depth=1
	v_clz_i32_u32_e32 v86, v66
	s_delay_alu instid0(VALU_DEP_1) | instskip(NEXT) | instid1(VALU_DEP_1)
	v_min_u32_e32 v109, 32, v86
	v_subrev_nc_u32_e32 v86, 28, v109
	s_delay_alu instid0(VALU_DEP_1) | instskip(NEXT) | instid1(VALU_DEP_1)
	v_lshlrev_b64_e32 v[86:87], v86, v[66:67]
	v_dual_sub_nc_u32 v87, 29, v109 :: v_dual_bitop2_b32 v86, 7, v86 bitop3:0x40
; %bb.1006:                             ;   in Loop: Header=BB331_12 Depth=1
	s_or_b32 exec_lo, exec_lo, s22
	s_delay_alu instid0(VALU_DEP_1) | instskip(NEXT) | instid1(VALU_DEP_2)
	v_dual_lshlrev_b32 v66, 24, v120 :: v_dual_lshlrev_b32 v86, 20, v86
	v_lshl_add_u32 v87, v87, 23, 0x3c000000
	s_delay_alu instid0(VALU_DEP_2) | instskip(NEXT) | instid1(VALU_DEP_1)
	v_and_b32_e32 v66, 0x80000000, v66
	v_or3_b32 v109, v86, v66, v87
.LBB331_1007:                           ;   in Loop: Header=BB331_12 Depth=1
	s_or_b32 exec_lo, exec_lo, s21
.LBB331_1008:                           ;   in Loop: Header=BB331_12 Depth=1
	s_delay_alu instid0(SALU_CYCLE_1)
	s_or_b32 exec_lo, exec_lo, s20
.LBB331_1009:                           ;   in Loop: Header=BB331_12 Depth=1
	s_delay_alu instid0(SALU_CYCLE_1)
	s_or_b32 exec_lo, exec_lo, s19
	flat_load_b32 v121, v[84:85] offset:3848
	v_dual_mov_b32 v120, 0 :: v_dual_mov_b32 v111, 0
	s_mov_b32 s19, exec_lo
	s_wait_loadcnt_dscnt 0x0
	v_and_b32_e32 v66, 0xff, v121
	s_wait_xcnt 0x0
	s_delay_alu instid0(VALU_DEP_1)
	v_cmpx_ne_u16_e32 0, v66
	s_cbranch_execz .LBB331_1017
; %bb.1010:                             ;   in Loop: Header=BB331_12 Depth=1
	v_bfrev_b32_e32 v111, 1
	s_mov_b32 s20, exec_lo
	v_cmpx_ne_u16_e32 0x80, v66
	s_cbranch_execz .LBB331_1016
; %bb.1011:                             ;   in Loop: Header=BB331_12 Depth=1
	v_and_b32_e32 v86, 0x7f, v121
	v_mov_b32_e32 v111, 0x7f800001
	s_mov_b32 s21, exec_lo
	s_delay_alu instid0(VALU_DEP_2)
	v_cmpx_ne_u32_e32 0x7f, v86
	s_cbranch_execz .LBB331_1015
; %bb.1012:                             ;   in Loop: Header=BB331_12 Depth=1
	v_and_b32_e32 v66, 7, v121
	s_mov_b32 s22, exec_lo
	s_delay_alu instid0(VALU_DEP_1)
	v_mov_b64_e32 v[84:85], v[66:67]
	v_lshrrev_b32_e32 v85, 3, v86
	v_cmpx_gt_u32_e32 8, v86
; %bb.1013:                             ;   in Loop: Header=BB331_12 Depth=1
	v_clz_i32_u32_e32 v84, v66
	s_delay_alu instid0(VALU_DEP_1) | instskip(NEXT) | instid1(VALU_DEP_1)
	v_min_u32_e32 v86, 32, v84
	v_subrev_nc_u32_e32 v84, 28, v86
	s_delay_alu instid0(VALU_DEP_1) | instskip(NEXT) | instid1(VALU_DEP_1)
	v_lshlrev_b64_e32 v[84:85], v84, v[66:67]
	v_dual_sub_nc_u32 v85, 29, v86 :: v_dual_bitop2_b32 v84, 7, v84 bitop3:0x40
; %bb.1014:                             ;   in Loop: Header=BB331_12 Depth=1
	s_or_b32 exec_lo, exec_lo, s22
	s_delay_alu instid0(VALU_DEP_1) | instskip(NEXT) | instid1(VALU_DEP_2)
	v_dual_lshlrev_b32 v66, 24, v121 :: v_dual_lshlrev_b32 v84, 20, v84
	v_lshl_add_u32 v85, v85, 23, 0x3c000000
	s_delay_alu instid0(VALU_DEP_2) | instskip(NEXT) | instid1(VALU_DEP_1)
	v_and_b32_e32 v66, 0x80000000, v66
	v_or3_b32 v111, v84, v66, v85
.LBB331_1015:                           ;   in Loop: Header=BB331_12 Depth=1
	s_or_b32 exec_lo, exec_lo, s21
.LBB331_1016:                           ;   in Loop: Header=BB331_12 Depth=1
	s_delay_alu instid0(SALU_CYCLE_1)
	s_or_b32 exec_lo, exec_lo, s20
.LBB331_1017:                           ;   in Loop: Header=BB331_12 Depth=1
	s_delay_alu instid0(SALU_CYCLE_1) | instskip(SKIP_2) | instid1(VALU_DEP_1)
	s_or_b32 exec_lo, exec_lo, s19
	v_lshrrev_b16 v66, 8, v121
	s_mov_b32 s19, exec_lo
	v_cmpx_ne_u16_e32 0, v66
	s_cbranch_execz .LBB331_1025
; %bb.1018:                             ;   in Loop: Header=BB331_12 Depth=1
	v_bfrev_b32_e32 v120, 1
	s_mov_b32 s20, exec_lo
	v_cmpx_ne_u16_e32 0x80, v66
	s_cbranch_execz .LBB331_1024
; %bb.1019:                             ;   in Loop: Header=BB331_12 Depth=1
	v_and_b32_e32 v66, 0xffff, v66
	v_mov_b32_e32 v120, 0x7f800001
	s_mov_b32 s21, exec_lo
	s_delay_alu instid0(VALU_DEP_2) | instskip(NEXT) | instid1(VALU_DEP_1)
	v_and_b32_e32 v86, 0x7f, v66
	v_cmpx_ne_u32_e32 0x7f, v86
	s_cbranch_execz .LBB331_1023
; %bb.1020:                             ;   in Loop: Header=BB331_12 Depth=1
	v_and_b32_e32 v66, 7, v66
	s_mov_b32 s22, exec_lo
	s_delay_alu instid0(VALU_DEP_1)
	v_mov_b64_e32 v[84:85], v[66:67]
	v_lshrrev_b32_e32 v85, 3, v86
	v_cmpx_gt_u32_e32 8, v86
; %bb.1021:                             ;   in Loop: Header=BB331_12 Depth=1
	v_clz_i32_u32_e32 v84, v66
	s_delay_alu instid0(VALU_DEP_1) | instskip(NEXT) | instid1(VALU_DEP_1)
	v_min_u32_e32 v86, 32, v84
	v_subrev_nc_u32_e32 v84, 28, v86
	s_delay_alu instid0(VALU_DEP_1) | instskip(NEXT) | instid1(VALU_DEP_1)
	v_lshlrev_b64_e32 v[84:85], v84, v[66:67]
	v_dual_sub_nc_u32 v85, 29, v86 :: v_dual_bitop2_b32 v84, 7, v84 bitop3:0x40
; %bb.1022:                             ;   in Loop: Header=BB331_12 Depth=1
	s_or_b32 exec_lo, exec_lo, s22
	s_delay_alu instid0(VALU_DEP_1) | instskip(NEXT) | instid1(VALU_DEP_2)
	v_dual_lshlrev_b32 v66, 16, v121 :: v_dual_lshlrev_b32 v84, 20, v84
	v_lshl_add_u32 v85, v85, 23, 0x3c000000
	s_delay_alu instid0(VALU_DEP_2) | instskip(NEXT) | instid1(VALU_DEP_1)
	v_and_b32_e32 v66, 0x80000000, v66
	v_or3_b32 v120, v84, v66, v85
.LBB331_1023:                           ;   in Loop: Header=BB331_12 Depth=1
	s_or_b32 exec_lo, exec_lo, s21
.LBB331_1024:                           ;   in Loop: Header=BB331_12 Depth=1
	s_delay_alu instid0(SALU_CYCLE_1)
	s_or_b32 exec_lo, exec_lo, s20
.LBB331_1025:                           ;   in Loop: Header=BB331_12 Depth=1
	s_delay_alu instid0(SALU_CYCLE_1) | instskip(SKIP_3) | instid1(VALU_DEP_2)
	s_or_b32 exec_lo, exec_lo, s19
	v_dual_lshrrev_b32 v122, 16, v121 :: v_dual_mov_b32 v86, 0
	v_mov_b32_e32 v87, 0
	s_mov_b32 s19, exec_lo
	v_and_b32_e32 v66, 0xff, v122
	s_delay_alu instid0(VALU_DEP_1)
	v_cmpx_ne_u16_e32 0, v66
	s_cbranch_execz .LBB331_1033
; %bb.1026:                             ;   in Loop: Header=BB331_12 Depth=1
	v_bfrev_b32_e32 v87, 1
	s_mov_b32 s20, exec_lo
	v_cmpx_ne_u16_e32 0x80, v66
	s_cbranch_execz .LBB331_1032
; %bb.1027:                             ;   in Loop: Header=BB331_12 Depth=1
	v_bfe_u32 v123, v121, 16, 7
	v_mov_b32_e32 v87, 0x7f800001
	s_mov_b32 s21, exec_lo
	s_delay_alu instid0(VALU_DEP_2)
	v_cmpx_ne_u32_e32 0x7f, v123
	s_cbranch_execz .LBB331_1031
; %bb.1028:                             ;   in Loop: Header=BB331_12 Depth=1
	v_and_b32_e32 v66, 7, v122
	s_mov_b32 s22, exec_lo
	s_delay_alu instid0(VALU_DEP_1)
	v_mov_b64_e32 v[84:85], v[66:67]
	v_lshrrev_b32_e32 v85, 3, v123
	v_cmpx_gt_u32_e32 8, v123
; %bb.1029:                             ;   in Loop: Header=BB331_12 Depth=1
	v_clz_i32_u32_e32 v84, v66
	s_delay_alu instid0(VALU_DEP_1) | instskip(NEXT) | instid1(VALU_DEP_1)
	v_min_u32_e32 v87, 32, v84
	v_subrev_nc_u32_e32 v84, 28, v87
	s_delay_alu instid0(VALU_DEP_1) | instskip(NEXT) | instid1(VALU_DEP_1)
	v_lshlrev_b64_e32 v[84:85], v84, v[66:67]
	v_dual_sub_nc_u32 v85, 29, v87 :: v_dual_bitop2_b32 v84, 7, v84 bitop3:0x40
; %bb.1030:                             ;   in Loop: Header=BB331_12 Depth=1
	s_or_b32 exec_lo, exec_lo, s22
	s_delay_alu instid0(VALU_DEP_1) | instskip(NEXT) | instid1(VALU_DEP_2)
	v_dual_lshlrev_b32 v66, 24, v122 :: v_dual_lshlrev_b32 v84, 20, v84
	v_lshl_add_u32 v85, v85, 23, 0x3c000000
	s_delay_alu instid0(VALU_DEP_2) | instskip(NEXT) | instid1(VALU_DEP_1)
	v_and_b32_e32 v66, 0x80000000, v66
	v_or3_b32 v87, v84, v66, v85
.LBB331_1031:                           ;   in Loop: Header=BB331_12 Depth=1
	s_or_b32 exec_lo, exec_lo, s21
.LBB331_1032:                           ;   in Loop: Header=BB331_12 Depth=1
	s_delay_alu instid0(SALU_CYCLE_1)
	s_or_b32 exec_lo, exec_lo, s20
.LBB331_1033:                           ;   in Loop: Header=BB331_12 Depth=1
	s_delay_alu instid0(SALU_CYCLE_1) | instskip(NEXT) | instid1(SALU_CYCLE_1)
	s_or_b32 exec_lo, exec_lo, s19
	s_mov_b32 s19, exec_lo
	v_cmpx_lt_u32_e32 0xffffff, v121
	s_cbranch_execz .LBB331_1041
; %bb.1034:                             ;   in Loop: Header=BB331_12 Depth=1
	v_lshrrev_b32_e32 v122, 24, v121
	v_bfrev_b32_e32 v86, 1
	s_mov_b32 s20, exec_lo
	s_delay_alu instid0(VALU_DEP_2)
	v_cmpx_ne_u32_e32 0x80, v122
	s_cbranch_execz .LBB331_1040
; %bb.1035:                             ;   in Loop: Header=BB331_12 Depth=1
	v_bfe_u32 v121, v121, 24, 7
	v_mov_b32_e32 v86, 0x7f800001
	s_mov_b32 s21, exec_lo
	s_delay_alu instid0(VALU_DEP_2)
	v_cmpx_ne_u32_e32 0x7f, v121
	s_cbranch_execz .LBB331_1039
; %bb.1036:                             ;   in Loop: Header=BB331_12 Depth=1
	v_and_b32_e32 v66, 7, v122
	s_mov_b32 s22, exec_lo
	s_delay_alu instid0(VALU_DEP_1)
	v_mov_b64_e32 v[84:85], v[66:67]
	v_lshrrev_b32_e32 v85, 3, v121
	v_cmpx_gt_u32_e32 8, v121
; %bb.1037:                             ;   in Loop: Header=BB331_12 Depth=1
	v_clz_i32_u32_e32 v84, v66
	s_delay_alu instid0(VALU_DEP_1) | instskip(NEXT) | instid1(VALU_DEP_1)
	v_min_u32_e32 v86, 32, v84
	v_subrev_nc_u32_e32 v84, 28, v86
	s_delay_alu instid0(VALU_DEP_1) | instskip(NEXT) | instid1(VALU_DEP_1)
	v_lshlrev_b64_e32 v[84:85], v84, v[66:67]
	v_dual_sub_nc_u32 v85, 29, v86 :: v_dual_bitop2_b32 v84, 7, v84 bitop3:0x40
; %bb.1038:                             ;   in Loop: Header=BB331_12 Depth=1
	s_or_b32 exec_lo, exec_lo, s22
	s_delay_alu instid0(VALU_DEP_1) | instskip(NEXT) | instid1(VALU_DEP_2)
	v_dual_lshlrev_b32 v66, 24, v122 :: v_dual_lshlrev_b32 v84, 20, v84
	v_lshl_add_u32 v85, v85, 23, 0x3c000000
	s_delay_alu instid0(VALU_DEP_2) | instskip(NEXT) | instid1(VALU_DEP_1)
	v_and_b32_e32 v66, 0x80000000, v66
	v_or3_b32 v86, v84, v66, v85
.LBB331_1039:                           ;   in Loop: Header=BB331_12 Depth=1
	s_or_b32 exec_lo, exec_lo, s21
.LBB331_1040:                           ;   in Loop: Header=BB331_12 Depth=1
	s_delay_alu instid0(SALU_CYCLE_1)
	s_or_b32 exec_lo, exec_lo, s20
.LBB331_1041:                           ;   in Loop: Header=BB331_12 Depth=1
	s_delay_alu instid0(SALU_CYCLE_1)
	s_or_b32 exec_lo, exec_lo, s19
	scratch_load_b32 v66, off, s32 offset:308 th:TH_LOAD_LU ; 4-byte Folded Reload
	v_dual_lshlrev_b32 v84, 16, v50 :: v_dual_lshlrev_b32 v85, 16, v51
	v_and_b32_e32 v50, 0xffff0000, v50
	v_and_b32_e32 v51, 0xffff0000, v51
	v_fma_mixlo_bf16 v0, v69, v0, 0
	v_fma_mixlo_bf16 v1, v69, v1, 0
	;; [unrolled: 1-line block ×44, first 2 shown]
	s_wait_loadcnt 0x0
	v_fma_mixlo_bf16 v66, v69, v66, 0
	s_delay_alu instid0(VALU_DEP_1) | instskip(NEXT) | instid1(VALU_DEP_1)
	v_lshlrev_b32_e32 v66, 16, v66
	v_mul_f32_e32 v66, v84, v66
	scratch_load_b32 v84, off, s32 offset:220 th:TH_LOAD_LU ; 4-byte Folded Reload
	s_wait_loadcnt 0x0
	v_fma_mixlo_bf16 v84, v69, v84, 0
	s_delay_alu instid0(VALU_DEP_1) | instskip(NEXT) | instid1(VALU_DEP_1)
	v_lshlrev_b32_e32 v84, 16, v84
	v_mul_f32_e32 v50, v50, v84
	scratch_load_b32 v84, off, s32 offset:312 th:TH_LOAD_LU ; 4-byte Folded Reload
	s_wait_loadcnt 0x0
	v_fma_mixlo_bf16 v84, v69, v84, 0
	s_delay_alu instid0(VALU_DEP_1) | instskip(NEXT) | instid1(VALU_DEP_1)
	v_lshlrev_b32_e32 v84, 16, v84
	v_mul_f32_e32 v84, v85, v84
	v_fma_mixlo_bf16 v85, v69, v124, 0
	s_delay_alu instid0(VALU_DEP_1) | instskip(SKIP_3) | instid1(VALU_DEP_1)
	v_fma_mix_f32_bf16 v66, v48, v85, v66 op_sel_hi:[1,1,0]
	scratch_load_b32 v85, off, s32 offset:216 th:TH_LOAD_LU ; 4-byte Folded Reload
	s_wait_loadcnt 0x0
	v_fma_mixlo_bf16 v85, v69, v85, 0
	v_fma_mix_f32_bf16 v48, v48, v85, v50 op_sel:[1,0,0] op_sel_hi:[1,1,0]
	scratch_load_b32 v50, off, s32 offset:304 th:TH_LOAD_LU ; 4-byte Folded Reload
	v_fma_mixlo_bf16 v85, v69, v89, 0
	v_fma_mixlo_bf16 v89, v69, v27, 0
	scratch_load_b32 v27, off, s32 offset:368 th:TH_LOAD_LU ; 4-byte Folded Reload
	s_wait_loadcnt 0x1
	v_fma_mixlo_bf16 v50, v69, v50, 0
	s_wait_loadcnt 0x0
	v_fma_mixlo_bf16 v27, v69, v27, 0
	s_delay_alu instid0(VALU_DEP_2) | instskip(SKIP_3) | instid1(VALU_DEP_1)
	v_fma_mix_f32_bf16 v50, v49, v50, v84 op_sel_hi:[1,1,0]
	scratch_load_b32 v84, off, s32 offset:264 th:TH_LOAD_LU ; 4-byte Folded Reload
	s_wait_loadcnt 0x0
	v_fma_mixlo_bf16 v84, v69, v84, 0
	v_lshlrev_b32_e32 v84, 16, v84
	s_delay_alu instid0(VALU_DEP_1) | instskip(SKIP_3) | instid1(VALU_DEP_1)
	v_mul_f32_e32 v51, v51, v84
	scratch_load_b32 v84, off, s32 offset:260 th:TH_LOAD_LU ; 4-byte Folded Reload
	s_wait_loadcnt 0x0
	v_fma_mixlo_bf16 v84, v69, v84, 0
	v_fma_mix_f32_bf16 v49, v49, v84, v51 op_sel:[1,0,0] op_sel_hi:[1,1,0]
	scratch_load_b32 v51, off, s32 offset:316 th:TH_LOAD_LU ; 4-byte Folded Reload
	v_fma_mixlo_bf16 v84, v69, v91, 0
	v_fma_mixlo_bf16 v91, v69, v127, 0
	scratch_load_b32 v127, off, s32 offset:284 th:TH_LOAD_LU ; 4-byte Folded Reload
	s_wait_loadcnt 0x1
	v_fma_mixlo_bf16 v51, v69, v51, 0
	s_wait_loadcnt 0x0
	v_fma_mixlo_bf16 v127, v69, v127, 0
	s_delay_alu instid0(VALU_DEP_2) | instskip(SKIP_3) | instid1(VALU_DEP_1)
	v_fma_mix_f32_bf16 v51, v36, v51, v66 op_sel_hi:[1,1,0]
	scratch_load_b32 v66, off, s32 offset:224 th:TH_LOAD_LU ; 4-byte Folded Reload
	s_wait_loadcnt 0x0
	v_fma_mixlo_bf16 v66, v69, v66, 0
	v_fma_mix_f32_bf16 v36, v36, v66, v48 op_sel:[1,0,0] op_sel_hi:[1,1,0]
	scratch_load_b32 v48, off, s32 offset:320 th:TH_LOAD_LU ; 4-byte Folded Reload
	v_fma_mixlo_bf16 v66, v69, v92, 0
	v_fma_mixlo_bf16 v92, v69, v126, 0
	scratch_load_b32 v126, off, s32 offset:244 th:TH_LOAD_LU ; 4-byte Folded Reload
	s_wait_loadcnt 0x1
	v_fma_mixlo_bf16 v48, v69, v48, 0
	s_wait_loadcnt 0x0
	v_fma_mixlo_bf16 v126, v69, v126, 0
	s_delay_alu instid0(VALU_DEP_2) | instskip(SKIP_3) | instid1(VALU_DEP_1)
	v_fma_mix_f32_bf16 v48, v37, v48, v50 op_sel_hi:[1,1,0]
	scratch_load_b32 v50, off, s32 offset:268 th:TH_LOAD_LU ; 4-byte Folded Reload
	s_wait_loadcnt 0x0
	v_fma_mixlo_bf16 v50, v69, v50, 0
	v_fma_mix_f32_bf16 v37, v37, v50, v49 op_sel:[1,0,0] op_sel_hi:[1,1,0]
	s_clause 0x1
	scratch_load_b32 v49, off, s32 offset:324 th:TH_LOAD_LU
	scratch_load_b32 v50, off, s32 offset:228 th:TH_LOAD_LU
	s_wait_loadcnt 0x1
	v_fma_mixlo_bf16 v49, v69, v49, 0
	s_wait_loadcnt 0x0
	v_fma_mixlo_bf16 v50, v69, v50, 0
	s_delay_alu instid0(VALU_DEP_2) | instskip(NEXT) | instid1(VALU_DEP_2)
	v_fma_mix_f32_bf16 v49, v38, v49, v51 op_sel_hi:[1,1,0]
	v_fma_mix_f32_bf16 v36, v38, v50, v36 op_sel:[1,0,0] op_sel_hi:[1,1,0]
	scratch_load_b32 v38, off, s32 offset:328 th:TH_LOAD_LU ; 4-byte Folded Reload
	v_fma_mixlo_bf16 v50, v69, v93, 0
	v_fma_mixlo_bf16 v93, v69, v125, 0
	v_fma_mixlo_bf16 v51, v69, v103, 0
	v_fma_mixlo_bf16 v103, v69, v88, 0
	v_fma_mixlo_bf16 v88, v69, v20, 0
	v_fma_mixlo_bf16 v20, v69, v21, 0
	v_fma_mixlo_bf16 v21, v69, v83, 0
	v_fma_mixlo_bf16 v83, v69, v113, 0
	v_fma_mixlo_bf16 v113, v69, v118, 0
	v_fma_mixlo_bf16 v118, v69, v26, 0
	s_clause 0x1
	scratch_load_b32 v125, off, s32 offset:356 th:TH_LOAD_LU
	scratch_load_b32 v26, off, s32 offset:256 th:TH_LOAD_LU
	s_wait_loadcnt 0x2
	v_fma_mixlo_bf16 v38, v69, v38, 0
	s_delay_alu instid0(VALU_DEP_1)
	v_fma_mix_f32_bf16 v38, v39, v38, v48 op_sel_hi:[1,1,0]
	scratch_load_b32 v48, off, s32 offset:272 th:TH_LOAD_LU ; 4-byte Folded Reload
	s_wait_loadcnt 0x2
	v_fma_mixlo_bf16 v125, v69, v125, 0
	s_wait_loadcnt 0x0
	v_fma_mixlo_bf16 v48, v69, v48, 0
	s_delay_alu instid0(VALU_DEP_1)
	v_fma_mix_f32_bf16 v37, v39, v48, v37 op_sel:[1,0,0] op_sel_hi:[1,1,0]
	s_clause 0x1
	scratch_load_b32 v39, off, s32 offset:332 th:TH_LOAD_LU
	scratch_load_b32 v48, off, s32 offset:232 th:TH_LOAD_LU
	s_wait_loadcnt 0x1
	v_fma_mixlo_bf16 v39, v69, v39, 0
	s_wait_loadcnt 0x0
	v_fma_mixlo_bf16 v48, v69, v48, 0
	s_delay_alu instid0(VALU_DEP_2) | instskip(NEXT) | instid1(VALU_DEP_2)
	v_fma_mix_f32_bf16 v39, v32, v39, v49 op_sel_hi:[1,1,0]
	v_fma_mix_f32_bf16 v32, v32, v48, v36 op_sel:[1,0,0] op_sel_hi:[1,1,0]
	scratch_load_b32 v36, off, s32 offset:336 th:TH_LOAD_LU ; 4-byte Folded Reload
	v_fma_mixlo_bf16 v49, v69, v95, 0
	v_fma_mixlo_bf16 v95, v69, v26, 0
	scratch_load_b32 v26, off, s32 offset:380 th:TH_LOAD_LU ; 4-byte Folded Reload
	v_fma_mixlo_bf16 v48, v69, v104, 0
	s_wait_loadcnt 0x1
	v_fma_mixlo_bf16 v36, v69, v36, 0
	s_wait_loadcnt 0x0
	v_fma_mixlo_bf16 v104, v69, v26, 0
	scratch_load_b32 v26, off, s32 offset:376 th:TH_LOAD_LU ; 4-byte Folded Reload
	v_fma_mix_f32_bf16 v36, v33, v36, v38 op_sel_hi:[1,1,0]
	scratch_load_b32 v38, off, s32 offset:276 th:TH_LOAD_LU ; 4-byte Folded Reload
	s_wait_loadcnt 0x0
	v_fma_mixlo_bf16 v38, v69, v38, 0
	s_delay_alu instid0(VALU_DEP_1)
	v_fma_mix_f32_bf16 v33, v33, v38, v37 op_sel:[1,0,0] op_sel_hi:[1,1,0]
	s_clause 0x1
	scratch_load_b32 v37, off, s32 offset:340 th:TH_LOAD_LU
	scratch_load_b32 v38, off, s32 offset:236 th:TH_LOAD_LU
	s_wait_loadcnt 0x1
	v_fma_mixlo_bf16 v37, v69, v37, 0
	s_delay_alu instid0(VALU_DEP_1)
	v_fma_mix_f32_bf16 v37, v34, v37, v39 op_sel_hi:[1,1,0]
	v_fma_mixlo_bf16 v39, v69, v105, 0
	v_fma_mixlo_bf16 v105, v69, v26, 0
	scratch_load_b32 v26, off, s32 offset:296 th:TH_LOAD_LU ; 4-byte Folded Reload
	s_wait_loadcnt 0x1
	v_fma_mixlo_bf16 v38, v69, v38, 0
	s_delay_alu instid0(VALU_DEP_1)
	v_fma_mix_f32_bf16 v121, v34, v38, v32 op_sel:[1,0,0] op_sel_hi:[1,1,0]
	scratch_load_b32 v32, off, s32 offset:344 th:TH_LOAD_LU ; 4-byte Folded Reload
	v_fma_mixlo_bf16 v38, v69, v106, 0
	v_fma_mixlo_bf16 v34, v69, v111, 0
	scratch_load_b32 v111, off, s32 offset:240 th:TH_LOAD_LU ; 4-byte Folded Reload
	s_wait_loadcnt 0x2
	v_fma_mixlo_bf16 v106, v69, v26, 0
	scratch_load_b32 v26, off, s32 offset:252 th:TH_LOAD_LU ; 4-byte Folded Reload
	s_wait_loadcnt 0x2
	v_fma_mixlo_bf16 v32, v69, v32, 0
	s_wait_loadcnt 0x1
	v_fma_mixlo_bf16 v111, v69, v111, 0
	s_delay_alu instid0(VALU_DEP_2)
	v_fma_mix_f32_bf16 v122, v35, v32, v36 op_sel_hi:[1,1,0]
	scratch_load_b32 v32, off, s32 offset:280 th:TH_LOAD_LU ; 4-byte Folded Reload
	v_fma_mixlo_bf16 v36, v69, v108, 0
	scratch_load_b32 v108, off, s32 offset:248 th:TH_LOAD_LU ; 4-byte Folded Reload
	s_wait_loadcnt 0x1
	v_fma_mixlo_bf16 v32, v69, v32, 0
	s_wait_loadcnt 0x0
	v_fma_mixlo_bf16 v108, v69, v108, 0
	s_delay_alu instid0(VALU_DEP_2)
	v_fma_mix_f32_bf16 v123, v35, v32, v33 op_sel:[1,0,0] op_sel_hi:[1,1,0]
	scratch_load_b32 v32, off, s32 offset:352 th:TH_LOAD_LU ; 4-byte Folded Reload
	v_fma_mixlo_bf16 v33, v69, v120, 0
	v_fma_mixlo_bf16 v35, v69, v110, 0
	s_clause 0x1
	scratch_load_b32 v110, off, s32 offset:360 th:TH_LOAD_LU
	scratch_load_b32 v120, off, s32 offset:348 th:TH_LOAD_LU
	s_wait_loadcnt 0x2
	v_fma_mixlo_bf16 v32, v69, v32, 0
	s_wait_loadcnt 0x1
	v_fma_mixlo_bf16 v110, v69, v110, 0
	;; [unrolled: 2-line block ×3, first 2 shown]
	v_fma_mix_f32_bf16 v124, v28, v32, v37 op_sel_hi:[1,1,0]
	v_fma_mix_f32_bf16 v28, v28, v111, v121 op_sel:[1,0,0] op_sel_hi:[1,1,0]
	scratch_load_b32 v121, off, s32 offset:288 th:TH_LOAD_LU ; 4-byte Folded Reload
	v_fma_mixlo_bf16 v32, v69, v109, 0
	v_fma_mix_f32_bf16 v111, v29, v120, v122 op_sel_hi:[1,1,0]
	scratch_load_b32 v109, off, s32 offset:364 th:TH_LOAD_LU ; 4-byte Folded Reload
	v_fma_mix_f32_bf16 v120, v30, v125, v124 op_sel_hi:[1,1,0]
	v_fma_mix_f32_bf16 v28, v30, v126, v28 op_sel:[1,0,0] op_sel_hi:[1,1,0]
	v_fma_mixlo_bf16 v37, v69, v107, 0
	v_fma_mix_f32_bf16 v30, v31, v110, v111 op_sel_hi:[1,1,0]
	scratch_load_b32 v110, off, s32 offset:292 th:TH_LOAD_LU ; 4-byte Folded Reload
	v_fma_mixlo_bf16 v107, v69, v26, 0
	scratch_load_b32 v26, off, s32 offset:372 th:TH_LOAD_LU ; 4-byte Folded Reload
	v_fma_mix_f32_bf16 v29, v29, v127, v123 op_sel:[1,0,0] op_sel_hi:[1,1,0]
	v_fma_mix_f32_bf16 v30, v13, v27, v30 op_sel_hi:[1,1,0]
	s_wait_loadcnt 0x3
	v_fma_mixlo_bf16 v121, v69, v121, 0
	s_wait_loadcnt 0x2
	v_fma_mixlo_bf16 v109, v69, v109, 0
	s_delay_alu instid0(VALU_DEP_2) | instskip(SKIP_2) | instid1(VALU_DEP_3)
	v_fma_mix_f32_bf16 v31, v31, v121, v29 op_sel:[1,0,0] op_sel_hi:[1,1,0]
	s_wait_loadcnt 0x1
	v_fma_mixlo_bf16 v110, v69, v110, 0
	v_fma_mix_f32_bf16 v109, v12, v109, v120 op_sel_hi:[1,1,0]
	v_fma_mix_f32_bf16 v12, v12, v108, v28 op_sel:[1,0,0] op_sel_hi:[1,1,0]
	s_delay_alu instid0(VALU_DEP_3) | instskip(SKIP_4) | instid1(VALU_DEP_2)
	v_fma_mix_f32_bf16 v13, v13, v110, v31 op_sel:[1,0,0] op_sel_hi:[1,1,0]
	scratch_load_b32 v31, off, s32 offset:300 th:TH_LOAD_LU ; 4-byte Folded Reload
	s_wait_loadcnt 0x1
	v_fma_mixlo_bf16 v26, v69, v26, 0
	v_fma_mix_f32_bf16 v12, v14, v107, v12 op_sel:[1,0,0] op_sel_hi:[1,1,0]
	v_fma_mix_f32_bf16 v108, v14, v26, v109 op_sel_hi:[1,1,0]
	v_fma_mix_f32_bf16 v14, v15, v105, v30 op_sel_hi:[1,1,0]
	ds_load_b128 v[26:29], v116 offset:102
	v_fma_mix_f32_bf16 v30, v2, v104, v108 op_sel_hi:[1,1,0]
	v_fma_mix_f32_bf16 v2, v2, v95, v12 op_sel:[1,0,0] op_sel_hi:[1,1,0]
	v_fma_mix_f32_bf16 v104, v15, v106, v13 op_sel:[1,0,0] op_sel_hi:[1,1,0]
	v_fma_mix_f32_bf16 v93, v3, v93, v14 op_sel_hi:[1,1,0]
	ds_load_b128 v[12:15], v116 offset:118
	v_fma_mix_f32_bf16 v30, v4, v92, v30 op_sel_hi:[1,1,0]
	v_fma_mix_f32_bf16 v4, v4, v91, v2 op_sel:[1,0,0] op_sel_hi:[1,1,0]
	scratch_load_b32 v91, off, s32 offset:400 th:TH_LOAD_LU ; 4-byte Folded Reload
	s_wait_loadcnt 0x1
	v_fma_mixlo_bf16 v31, v69, v31, 0
	s_delay_alu instid0(VALU_DEP_1) | instskip(SKIP_2) | instid1(VALU_DEP_3)
	v_fma_mix_f32_bf16 v3, v3, v31, v104 op_sel:[1,0,0] op_sel_hi:[1,1,0]
	v_fma_mixlo_bf16 v31, v69, v96, 0
	v_fma_mix_f32_bf16 v96, v5, v1, v93 op_sel_hi:[1,1,0]
	v_fma_mix_f32_bf16 v5, v5, v98, v3 op_sel:[1,0,0] op_sel_hi:[1,1,0]
	s_wait_dscnt 0x1
	s_delay_alu instid0(VALU_DEP_1)
	v_fma_mix_f32_bf16 v5, v26, v8, v5 op_sel_hi:[1,1,0]
	s_wait_loadcnt 0x0
	v_fma_mix_f32_bf16 v4, v91, v31, v4 op_sel:[1,0,0] op_sel_hi:[1,1,0]
	scratch_load_b32 v31, off, s32 offset:416 th:TH_LOAD_LU ; 4-byte Folded Reload
	v_fma_mix_f32_bf16 v30, v91, v0, v30 op_sel_hi:[1,1,0]
	ds_load_b128 v[0:3], v116 offset:134
	v_fma_mix_f32_bf16 v4, v27, v118, v4 op_sel_hi:[1,1,0]
	v_fma_mix_f32_bf16 v30, v26, v115, v30 op_sel:[1,0,0] op_sel_hi:[1,1,0]
	v_fma_mixlo_bf16 v26, v69, v52, 0
	s_delay_alu instid0(VALU_DEP_2) | instskip(SKIP_3) | instid1(VALU_DEP_2)
	v_fma_mix_f32_bf16 v7, v28, v7, v30 op_sel:[1,0,0] op_sel_hi:[1,1,0]
	s_wait_loadcnt 0x0
	v_fma_mix_f32_bf16 v31, v31, v89, v96 op_sel_hi:[1,1,0]
	v_fma_mixlo_bf16 v96, v69, v100, 0
	v_fma_mix_f32_bf16 v8, v27, v97, v31 op_sel:[1,0,0] op_sel_hi:[1,1,0]
	s_delay_alu instid0(VALU_DEP_2) | instskip(SKIP_1) | instid1(VALU_DEP_3)
	v_fma_mix_f32_bf16 v27, v28, v96, v5 op_sel_hi:[1,1,0]
	v_fma_mix_f32_bf16 v28, v29, v6, v4 op_sel_hi:[1,1,0]
	v_fma_mix_f32_bf16 v8, v29, v54, v8 op_sel:[1,0,0] op_sel_hi:[1,1,0]
	s_wait_dscnt 0x1
	v_fma_mix_f32_bf16 v29, v12, v55, v7 op_sel:[1,0,0] op_sel_hi:[1,1,0]
	ds_load_b128 v[4:7], v116 offset:150
	v_fma_mix_f32_bf16 v12, v12, v26, v27 op_sel_hi:[1,1,0]
	v_fma_mix_f32_bf16 v10, v13, v10, v28 op_sel_hi:[1,1,0]
	v_fma_mix_f32_bf16 v8, v13, v64, v8 op_sel:[1,0,0] op_sel_hi:[1,1,0]
	v_fma_mix_f32_bf16 v13, v14, v18, v29 op_sel:[1,0,0] op_sel_hi:[1,1,0]
	v_fma_mixlo_bf16 v18, v69, v65, 0
	v_fma_mix_f32_bf16 v14, v14, v11, v12 op_sel_hi:[1,1,0]
	v_fma_mix_f32_bf16 v22, v15, v22, v10 op_sel_hi:[1,1,0]
	v_fma_mix_f32_bf16 v8, v15, v23, v8 op_sel:[1,0,0] op_sel_hi:[1,1,0]
	s_wait_dscnt 0x1
	v_fma_mix_f32_bf16 v15, v0, v112, v13 op_sel:[1,0,0] op_sel_hi:[1,1,0]
	ds_load_b128 v[10:13], v116 offset:166
	v_fma_mixlo_bf16 v23, v69, v102, 0
	v_fma_mix_f32_bf16 v0, v0, v18, v14 op_sel_hi:[1,1,0]
	v_fma_mix_f32_bf16 v14, v1, v113, v22 op_sel_hi:[1,1,0]
	v_fma_mix_f32_bf16 v1, v1, v83, v8 op_sel:[1,0,0] op_sel_hi:[1,1,0]
	v_fma_mix_f32_bf16 v8, v2, v82, v15 op_sel:[1,0,0] op_sel_hi:[1,1,0]
	s_delay_alu instid0(VALU_DEP_4) | instskip(NEXT) | instid1(VALU_DEP_4)
	v_fma_mix_f32_bf16 v15, v2, v23, v0 op_sel_hi:[1,1,0]
	v_fma_mix_f32_bf16 v14, v3, v21, v14 op_sel_hi:[1,1,0]
	s_delay_alu instid0(VALU_DEP_4)
	v_fma_mix_f32_bf16 v16, v3, v16, v1 op_sel:[1,0,0] op_sel_hi:[1,1,0]
	s_wait_dscnt 0x1
	v_fma_mix_f32_bf16 v8, v4, v17, v8 op_sel:[1,0,0] op_sel_hi:[1,1,0]
	ds_load_b128 v[0:3], v116 offset:182
	v_fma_mix_f32_bf16 v4, v4, v9, v15 op_sel_hi:[1,1,0]
	v_fma_mix_f32_bf16 v9, v5, v19, v14 op_sel_hi:[1,1,0]
	v_fma_mix_f32_bf16 v5, v5, v88, v16 op_sel:[1,0,0] op_sel_hi:[1,1,0]
	v_fma_mix_f32_bf16 v8, v6, v53, v8 op_sel:[1,0,0] op_sel_hi:[1,1,0]
	v_fma_mixlo_bf16 v14, v69, v25, 0
	v_fma_mix_f32_bf16 v15, v6, v20, v4 op_sel_hi:[1,1,0]
	v_fma_mix_f32_bf16 v9, v7, v41, v9 op_sel_hi:[1,1,0]
	v_fma_mix_f32_bf16 v16, v7, v71, v5 op_sel:[1,0,0] op_sel_hi:[1,1,0]
	s_wait_dscnt 0x1
	v_fma_mix_f32_bf16 v8, v10, v42, v8 op_sel:[1,0,0] op_sel_hi:[1,1,0]
	ds_load_b128 v[4:7], v116 offset:198
	v_fma_mixlo_bf16 v17, v69, v70, 0
	v_fma_mix_f32_bf16 v10, v10, v14, v15 op_sel_hi:[1,1,0]
	v_fma_mix_f32_bf16 v9, v11, v43, v9 op_sel_hi:[1,1,0]
	v_fma_mix_f32_bf16 v11, v11, v44, v16 op_sel:[1,0,0] op_sel_hi:[1,1,0]
	v_fma_mix_f32_bf16 v8, v12, v45, v8 op_sel:[1,0,0] op_sel_hi:[1,1,0]
	v_fma_mixlo_bf16 v14, v69, v40, 0
	v_fma_mix_f32_bf16 v12, v12, v17, v10 op_sel_hi:[1,1,0]
	v_fma_mix_f32_bf16 v15, v13, v46, v9 op_sel_hi:[1,1,0]
	v_fma_mix_f32_bf16 v13, v13, v47, v11 op_sel:[1,0,0] op_sel_hi:[1,1,0]
	s_wait_dscnt 0x1
	v_fma_mix_f32_bf16 v16, v0, v56, v8 op_sel:[1,0,0] op_sel_hi:[1,1,0]
	ds_load_b128 v[8:11], v116 offset:214
	v_fma_mix_f32_bf16 v0, v0, v14, v12 op_sel_hi:[1,1,0]
	v_fma_mix_f32_bf16 v12, v1, v57, v15 op_sel_hi:[1,1,0]
	v_fma_mix_f32_bf16 v1, v1, v60, v13 op_sel:[1,0,0] op_sel_hi:[1,1,0]
	v_fma_mix_f32_bf16 v13, v2, v61, v16 op_sel:[1,0,0] op_sel_hi:[1,1,0]
	v_fma_mixlo_bf16 v14, v69, v58, 0
	v_fma_mix_f32_bf16 v15, v2, v59, v0 op_sel_hi:[1,1,0]
	v_fma_mix_f32_bf16 v12, v3, v62, v12 op_sel_hi:[1,1,0]
	v_fma_mix_f32_bf16 v16, v3, v72, v1 op_sel:[1,0,0] op_sel_hi:[1,1,0]
	s_wait_dscnt 0x1
	v_fma_mix_f32_bf16 v13, v4, v73, v13 op_sel:[1,0,0] op_sel_hi:[1,1,0]
	ds_load_b128 v[0:3], v116 offset:230
	v_fma_mixlo_bf16 v17, v69, v63, 0
	v_fma_mix_f32_bf16 v12, v5, v74, v12 op_sel_hi:[1,1,0]
	v_fma_mix_f32_bf16 v4, v4, v14, v15 op_sel_hi:[1,1,0]
	v_fma_mix_f32_bf16 v5, v5, v76, v16 op_sel:[1,0,0] op_sel_hi:[1,1,0]
	v_fma_mix_f32_bf16 v13, v6, v77, v13 op_sel:[1,0,0] op_sel_hi:[1,1,0]
	v_fma_mixlo_bf16 v14, v69, v75, 0
	v_fma_mix_f32_bf16 v12, v7, v78, v12 op_sel_hi:[1,1,0]
	v_fma_mix_f32_bf16 v6, v6, v17, v4 op_sel_hi:[1,1,0]
	v_fma_mix_f32_bf16 v7, v7, v79, v5 op_sel:[1,0,0] op_sel_hi:[1,1,0]
	s_wait_dscnt 0x1
	v_fma_mix_f32_bf16 v13, v8, v103, v13 op_sel:[1,0,0] op_sel_hi:[1,1,0]
	ds_load_b64 v[4:5], v116 offset:246
	v_fma_mix_f32_bf16 v12, v9, v85, v12 op_sel_hi:[1,1,0]
	v_fma_mix_f32_bf16 v6, v8, v14, v6 op_sel_hi:[1,1,0]
	v_fma_mix_f32_bf16 v7, v9, v84, v7 op_sel:[1,0,0] op_sel_hi:[1,1,0]
	v_fma_mix_f32_bf16 v8, v10, v66, v13 op_sel:[1,0,0] op_sel_hi:[1,1,0]
	v_fma_mixlo_bf16 v9, v69, v90, 0
	v_fma_mix_f32_bf16 v12, v11, v50, v12 op_sel_hi:[1,1,0]
	v_fma_mix_f32_bf16 v6, v10, v51, v6 op_sel_hi:[1,1,0]
	v_fma_mix_f32_bf16 v7, v11, v49, v7 op_sel:[1,0,0] op_sel_hi:[1,1,0]
	s_wait_dscnt 0x1
	v_fma_mix_f32_bf16 v8, v0, v48, v8 op_sel:[1,0,0] op_sel_hi:[1,1,0]
	ds_load_u16 v10, v116 offset:254
	v_fma_mix_f32_bf16 v11, v1, v39, v12 op_sel_hi:[1,1,0]
	v_fma_mixlo_bf16 v12, v69, v94, 0
	v_fma_mix_f32_bf16 v0, v0, v9, v6 op_sel_hi:[1,1,0]
	v_fma_mix_f32_bf16 v1, v1, v38, v7 op_sel:[1,0,0] op_sel_hi:[1,1,0]
	v_fma_mix_f32_bf16 v6, v2, v37, v8 op_sel:[1,0,0] op_sel_hi:[1,1,0]
	v_fma_mix_f32_bf16 v7, v3, v36, v11 op_sel_hi:[1,1,0]
	v_mbcnt_lo_u32_b32 v9, -1, 0
	v_fma_mixlo_bf16 v8, v69, v87, 0
	v_fma_mix_f32_bf16 v0, v2, v12, v0 op_sel_hi:[1,1,0]
	v_fma_mix_f32_bf16 v1, v3, v35, v1 op_sel:[1,0,0] op_sel_hi:[1,1,0]
	s_wait_dscnt 0x1
	v_fma_mix_f32_bf16 v2, v4, v34, v6 op_sel:[1,0,0] op_sel_hi:[1,1,0]
	v_fma_mix_f32_bf16 v3, v5, v33, v7 op_sel_hi:[1,1,0]
	v_xor_b32_e32 v6, 1, v9
	v_fma_mixlo_bf16 v7, v69, v86, 0
	v_fma_mix_f32_bf16 v0, v4, v32, v0 op_sel_hi:[1,1,0]
	v_fma_mix_f32_bf16 v1, v5, v8, v1 op_sel:[1,0,0] op_sel_hi:[1,1,0]
	v_add_f32_e32 v2, v2, v3
	v_cmp_gt_i32_e64 s3, 32, v6
	s_wait_dscnt 0x0
	v_fma_mix_f32_bf16 v0, v10, v7, v0 op_sel_hi:[1,1,0]
	s_delay_alu instid0(VALU_DEP_2) | instskip(NEXT) | instid1(VALU_DEP_1)
	v_dual_add_f32 v1, v2, v1 :: v_dual_cndmask_b32 v3, v9, v6, s3
	v_dual_add_f32 v0, v0, v1 :: v_dual_lshlrev_b32 v2, 2, v3
	ds_bpermute_b32 v1, v2, v0
	s_wait_xcnt 0x0
	s_and_saveexec_b32 s19, vcc_lo
	s_cbranch_execz .LBB331_10
; %bb.1042:                             ;   in Loop: Header=BB331_12 Depth=1
	s_clause 0x1
	scratch_load_b32 v2, off, s32 offset:472
	scratch_load_b32 v3, off, s32 offset:460
	s_load_b32 s20, s[12:13], 0x0
	s_wait_loadcnt_dscnt 0x100
	v_dual_add_f32 v0, v0, v1 :: v_dual_add_nc_u32 v2, v2, v68
	s_delay_alu instid0(VALU_DEP_1) | instskip(SKIP_1) | instid1(VALU_DEP_1)
	v_cvt_f32_i32_e32 v2, v2
	s_wait_loadcnt 0x0
	v_mul_f32_e32 v2, v3, v2
	scratch_load_b32 v3, off, s32 offset:464 ; 4-byte Folded Reload
	v_cndmask_b32_e64 v1, 0, v2, s2
	scratch_load_b32 v2, off, s32 offset:468 ; 4-byte Folded Reload
	s_wait_loadcnt 0x1
	v_fmac_f32_e32 v1, v3, v0
	scratch_load_b32 v3, off, s32 offset:448 ; 4-byte Folded Reload
	s_wait_loadcnt 0x1
	v_add_nc_u32_e32 v2, v2, v68
	s_delay_alu instid0(VALU_DEP_1) | instskip(SKIP_3) | instid1(VALU_DEP_1)
	v_cmp_lt_i32_e64 s3, v2, v99
	s_wait_loadcnt 0x0
	s_wait_kmcnt 0x0
	v_dual_add_nc_u32 v2, s20, v117 :: v_dual_max_num_f32 v0, v3, v3
	v_dual_max_num_f32 v0, v0, v1 :: v_dual_cndmask_b32 v1, 0, v1, s3
	s_delay_alu instid0(VALU_DEP_1)
	v_cndmask_b32_e64 v3, v3, v0, s3
	ds_store_b32 v2, v1
	scratch_store_b32 off, v3, s32 offset:448 ; 4-byte Folded Spill
	s_branch .LBB331_10
.LBB331_1043:
	s_or_b32 exec_lo, exec_lo, s18
	s_clause 0x7
	scratch_load_b32 v48, off, s32 offset:480
	scratch_load_b32 v49, off, s32 offset:484
	;; [unrolled: 1-line block ×3, first 2 shown]
	scratch_load_b64 v[10:11], off, s32 offset:500
	scratch_load_b32 v26, off, s32 offset:508
	scratch_load_b64 v[38:39], off, s32 offset:512
	scratch_load_b64 v[52:53], off, s32 offset:520
	;; [unrolled: 1-line block ×3, first 2 shown]
	s_wait_loadcnt 0x1
	s_clause 0x3
	scratch_load_b32 v53, off, s32 offset:536
	scratch_load_b64 v[64:65], off, s32 offset:540
	scratch_load_b32 v27, off, s32 offset:548
	scratch_load_b32 v7, off, s32 offset:448
.LBB331_1044:
	s_wait_xcnt 0x0
	s_or_b32 exec_lo, exec_lo, s5
	v_mbcnt_lo_u32_b32 v6, -1, 0
	s_wait_loadcnt 0x0
	v_dual_max_num_f32 v4, v7, v7 :: v_dual_bitop2_b32 v50, 31, v48 bitop3:0x40
	s_delay_alu instid0(VALU_DEP_2) | instskip(SKIP_2) | instid1(VALU_DEP_2)
	v_xor_b32_e32 v0, 16, v6
	s_wait_dscnt 0x0
	v_xor_b32_e32 v1, 8, v6
	v_cmp_gt_i32_e32 vcc_lo, 32, v0
	v_cndmask_b32_e32 v0, v6, v0, vcc_lo
	s_delay_alu instid0(VALU_DEP_3) | instskip(NEXT) | instid1(VALU_DEP_2)
	v_cmp_gt_i32_e32 vcc_lo, 32, v1
	v_dual_cndmask_b32 v1, v6, v1 :: v_dual_lshlrev_b32 v2, 2, v0
	ds_bpermute_b32 v0, v2, v7
	s_wait_dscnt 0x0
	v_dual_max_num_f32 v0, v0, v0 :: v_dual_lshlrev_b32 v3, 2, v1
	s_delay_alu instid0(VALU_DEP_1) | instskip(SKIP_4) | instid1(VALU_DEP_1)
	v_dual_max_num_f32 v0, v4, v0 :: v_dual_bitop2_b32 v4, 4, v6 bitop3:0x14
	ds_bpermute_b32 v1, v3, v0
	v_cmp_gt_i32_e32 vcc_lo, 32, v4
	s_wait_dscnt 0x0
	v_dual_cndmask_b32 v4, v6, v4 :: v_dual_max_num_f32 v1, v1, v1
	v_dual_lshlrev_b32 v4, 2, v4 :: v_dual_max_num_f32 v0, v0, v1
	ds_bpermute_b32 v1, v4, v0
	s_wait_dscnt 0x0
	v_dual_max_num_f32 v1, v1, v1 :: v_dual_bitop2_b32 v5, 2, v6 bitop3:0x14
	s_delay_alu instid0(VALU_DEP_1) | instskip(NEXT) | instid1(VALU_DEP_2)
	v_cmp_gt_i32_e32 vcc_lo, 32, v5
	v_max_num_f32_e32 v0, v0, v1
	v_cndmask_b32_e32 v5, v6, v5, vcc_lo
	v_cmp_eq_u32_e32 vcc_lo, 0, v50
	s_delay_alu instid0(VALU_DEP_2)
	v_dual_lshlrev_b32 v1, 2, v5 :: v_dual_lshlrev_b32 v5, 2, v119
	ds_bpermute_b32 v6, v1, v0
	s_and_saveexec_b32 s2, vcc_lo
	s_cbranch_execz .LBB331_1046
; %bb.1045:
	s_wait_dscnt 0x0
	v_dual_max_num_f32 v6, v6, v6 :: v_dual_max_num_f32 v0, v0, v0
	s_delay_alu instid0(VALU_DEP_1)
	v_max_num_f32_e32 v0, v0, v6
	ds_store_b32 v5, v0 offset:512
.LBB331_1046:
	s_or_b32 exec_lo, exec_lo, s2
	v_cmp_gt_u32_e64 s2, 4, v50
	v_mov_b32_e32 v0, 0xff7fffff
	s_wait_dscnt 0x0
	v_lshlrev_b32_e32 v6, 2, v50
	s_wait_storecnt 0x0
	s_barrier_signal -1
	s_barrier_wait -1
	s_and_saveexec_b32 s3, s2
; %bb.1047:
	ds_load_b32 v0, v6 offset:512
; %bb.1048:
	s_or_b32 exec_lo, exec_lo, s3
	s_wait_dscnt 0x0
	ds_bpermute_b32 v7, v1, v0
	v_mbcnt_lo_u32_b32 v9, -1, 0
	s_delay_alu instid0(VALU_DEP_1) | instskip(NEXT) | instid1(VALU_DEP_1)
	v_dual_max_num_f32 v0, v0, v0 :: v_dual_bitop2_b32 v8, 1, v9 bitop3:0x14
	v_cmp_gt_i32_e64 s3, 32, v8
	s_wait_dscnt 0x0
	s_delay_alu instid0(VALU_DEP_1) | instskip(NEXT) | instid1(VALU_DEP_1)
	v_dual_cndmask_b32 v8, v9, v8, s3 :: v_dual_max_num_f32 v7, v7, v7
	v_dual_max_num_f32 v0, v0, v7 :: v_dual_lshlrev_b32 v51, 2, v8
	ds_bpermute_b32 v7, v51, v0
	s_wait_dscnt 0x0
	v_max_num_f32_e32 v7, v7, v7
	s_delay_alu instid0(VALU_DEP_1) | instskip(SKIP_4) | instid1(VALU_DEP_1)
	v_dual_max_num_f32 v0, v0, v7 :: v_dual_mov_b32 v7, 0
	ds_bpermute_b32 v8, v7, v0
	scratch_load_b32 v0, off, s32 offset:192 ; 4-byte Folded Reload
	s_wait_loadcnt 0x0
	v_lshlrev_b32_e32 v0, 4, v0
	v_min_i32_e32 v0, v0, v99
	s_delay_alu instid0(VALU_DEP_1)
	v_cmp_lt_i32_e64 s3, v48, v0
	s_and_saveexec_b32 s5, s3
	s_cbranch_execz .LBB331_1052
; %bb.1049:
	s_wait_kmcnt 0x0
	s_ashr_i32 s11, s10, 31
	v_dual_mov_b32 v7, 0 :: v_dual_mov_b32 v12, v48
	s_lshl_b64 s[12:13], s[10:11], 2
	s_mov_b32 s11, 0
	s_add_nc_u64 s[12:13], s[8:9], s[12:13]
	s_load_b32 s4, s[12:13], 0x0
	s_wait_kmcnt 0x0
	v_lshl_add_u32 v9, v48, 2, s4
.LBB331_1050:                           ; =>This Inner Loop Header: Depth=1
	ds_load_b32 v13, v9
	s_wait_dscnt 0x0
	v_sub_f32_e32 v13, v13, v8
	s_delay_alu instid0(VALU_DEP_1) | instskip(NEXT) | instid1(VALU_DEP_1)
	v_mul_f32_e32 v13, 0x3fb8aa3b, v13
	v_exp_f32_e32 v13, v13
	v_nop
	s_delay_alu instid0(TRANS32_DEP_1) | instskip(NEXT) | instid1(VALU_DEP_1)
	v_dual_add_f32 v7, v7, v13 :: v_dual_add_nc_u32 v12, 0x80, v12
	v_cmp_ge_i32_e64 s4, v12, v0
	ds_store_b32 v9, v13
	v_add_nc_u32_e32 v9, 0x200, v9
	s_or_b32 s11, s4, s11
	s_delay_alu instid0(SALU_CYCLE_1)
	s_and_not1_b32 exec_lo, exec_lo, s11
	s_cbranch_execnz .LBB331_1050
; %bb.1051:
	s_or_b32 exec_lo, exec_lo, s11
.LBB331_1052:
	s_delay_alu instid0(SALU_CYCLE_1)
	s_or_b32 exec_lo, exec_lo, s5
	ds_bpermute_b32 v2, v2, v7
	s_wait_dscnt 0x0
	v_add_f32_e32 v2, v7, v2
	ds_bpermute_b32 v3, v3, v2
	s_wait_dscnt 0x0
	v_add_f32_e32 v2, v2, v3
	;; [unrolled: 3-line block ×5, first 2 shown]
	s_and_saveexec_b32 s4, vcc_lo
; %bb.1053:
	ds_store_b32 v5, v2 offset:528
; %bb.1054:
	s_or_b32 exec_lo, exec_lo, s4
	s_wait_dscnt 0x0
	s_barrier_signal -1
	s_barrier_wait -1
	s_and_saveexec_b32 s4, s2
; %bb.1055:
	ds_load_b32 v2, v6 offset:528
; %bb.1056:
	s_or_b32 exec_lo, exec_lo, s4
	s_wait_dscnt 0x0
	ds_bpermute_b32 v1, v1, v2
	s_wait_dscnt 0x0
	v_add_f32_e32 v1, v2, v1
	ds_bpermute_b32 v2, v51, v1
	s_wait_dscnt 0x0
	v_dual_add_f32 v1, v1, v2 :: v_dual_mov_b32 v2, 0
	ds_bpermute_b32 v1, v2, v1
	s_and_saveexec_b32 s2, s3
	s_cbranch_execz .LBB331_1069
; %bb.1057:
	s_wait_dscnt 0x0
	v_add_f32_e32 v1, 0x358637bd, v1
	s_mov_b32 s4, -1
	s_mov_b32 s3, exec_lo
	s_delay_alu instid0(VALU_DEP_1) | instskip(NEXT) | instid1(VALU_DEP_1)
	v_div_scale_f32 v2, null, v1, v1, 1.0
	v_rcp_f32_e32 v4, v2
	v_nop
	s_delay_alu instid0(TRANS32_DEP_1) | instskip(NEXT) | instid1(VALU_DEP_1)
	v_fma_f32 v3, -v2, v4, 1.0
	v_fmac_f32_e32 v4, v3, v4
	v_div_scale_f32 v5, vcc_lo, 1.0, v1, 1.0
	s_delay_alu instid0(VALU_DEP_1) | instskip(NEXT) | instid1(VALU_DEP_1)
	v_mul_f32_e32 v6, v5, v4
	v_fma_f32 v3, -v2, v6, v5
	s_delay_alu instid0(VALU_DEP_1) | instskip(SKIP_1) | instid1(VALU_DEP_2)
	v_fmac_f32_e32 v6, v3, v4
	v_xad_u32 v3, v48, -1, v0
	v_fma_f32 v2, -v2, v6, v5
	s_delay_alu instid0(VALU_DEP_1) | instskip(NEXT) | instid1(VALU_DEP_1)
	v_div_fmas_f32 v2, v2, v4, v6
	v_div_fixup_f32 v2, v2, v1, 1.0
	v_mov_b32_e32 v1, v48
	v_cmpx_lt_u32_e32 0x7f, v3
	s_cbranch_execz .LBB331_1066
; %bb.1058:
	s_delay_alu instid0(VALU_DEP_3) | instskip(NEXT) | instid1(VALU_DEP_1)
	v_dual_lshrrev_b32 v1, 7, v3 :: v_dual_mov_b32 v3, v2
	v_dual_mov_b32 v7, 0 :: v_dual_add_nc_u32 v4, -1, v1
	s_delay_alu instid0(VALU_DEP_1) | instskip(SKIP_1) | instid1(VALU_DEP_2)
	v_lshrrev_b32_e32 v5, 1, v4
	v_cmp_lt_u32_e32 vcc_lo, 13, v4
	v_add_nc_u32_e32 v4, 1, v5
	s_and_saveexec_b32 s4, vcc_lo
	s_cbranch_execz .LBB331_1062
; %bb.1059:
	s_wait_kmcnt 0x0
	s_ashr_i32 s11, s10, 31
	v_and_b32_e32 v5, -8, v4
	s_lshl_b64 s[12:13], s[10:11], 2
	s_mov_b32 s11, 0
	s_add_nc_u64 s[12:13], s[8:9], s[12:13]
	s_load_b32 s5, s[12:13], 0x0
	s_wait_kmcnt 0x0
	v_lshl_add_u32 v6, v48, 2, s5
	s_mov_b32 s5, 0
.LBB331_1060:                           ; =>This Inner Loop Header: Depth=1
	ds_load_2addr_stride64_b32 v[8:9], v6 offset1:2
	ds_load_2addr_stride64_b32 v[28:29], v6 offset0:4 offset1:6
	ds_load_2addr_stride64_b32 v[12:13], v6 offset0:8 offset1:10
	;; [unrolled: 1-line block ×7, first 2 shown]
	s_add_co_i32 s11, s11, 16
	s_delay_alu instid0(SALU_CYCLE_1) | instskip(NEXT) | instid1(VALU_DEP_1)
	v_dual_add_nc_u32 v5, -8, v5 :: v_dual_mov_b32 v7, s11
	v_cmp_eq_u32_e32 vcc_lo, 0, v5
	s_or_b32 s5, vcc_lo, s5
	s_wait_dscnt 0x7
	v_pk_mul_f32 v[8:9], v[2:3], v[8:9]
	s_wait_dscnt 0x6
	v_pk_mul_f32 v[28:29], v[2:3], v[28:29]
	;; [unrolled: 2-line block ×8, first 2 shown]
	ds_store_2addr_stride64_b32 v6, v8, v9 offset1:2
	ds_store_2addr_stride64_b32 v6, v28, v29 offset0:4 offset1:6
	ds_store_2addr_stride64_b32 v6, v12, v13 offset0:8 offset1:10
	;; [unrolled: 1-line block ×7, first 2 shown]
	v_add_nc_u32_e32 v6, 0x2000, v6
	s_and_not1_b32 exec_lo, exec_lo, s5
	s_cbranch_execnz .LBB331_1060
; %bb.1061:
	s_or_b32 exec_lo, exec_lo, s5
.LBB331_1062:
	s_delay_alu instid0(SALU_CYCLE_1) | instskip(NEXT) | instid1(VALU_DEP_1)
	s_or_b32 exec_lo, exec_lo, s4
	v_and_b32_e32 v4, 7, v4
	s_mov_b32 s5, 0
	s_mov_b32 s4, exec_lo
	s_delay_alu instid0(VALU_DEP_1)
	v_cmpx_ne_u32_e32 0, v4
	s_cbranch_execz .LBB331_1065
; %bb.1063:
	s_wait_kmcnt 0x0
	s_ashr_i32 s11, s10, 31
	v_dual_lshlrev_b32 v5, 9, v7 :: v_dual_lshlrev_b32 v6, 2, v48
	s_lshl_b64 s[12:13], s[10:11], 2
	s_delay_alu instid0(SALU_CYCLE_1)
	s_add_nc_u64 s[12:13], s[8:9], s[12:13]
	s_load_b32 s11, s[12:13], 0x0
	s_wait_kmcnt 0x0
	v_add3_u32 v5, v5, v6, s11
.LBB331_1064:                           ; =>This Inner Loop Header: Depth=1
	ds_load_2addr_stride64_b32 v[6:7], v5 offset1:2
	v_add_nc_u32_e32 v4, -1, v4
	s_delay_alu instid0(VALU_DEP_1)
	v_cmp_eq_u32_e32 vcc_lo, 0, v4
	s_or_b32 s5, vcc_lo, s5
	s_wait_dscnt 0x0
	v_pk_mul_f32 v[6:7], v[2:3], v[6:7]
	ds_store_2addr_stride64_b32 v5, v6, v7 offset1:2
	v_add_nc_u32_e32 v5, 0x400, v5
	s_and_not1_b32 exec_lo, exec_lo, s5
	s_cbranch_execnz .LBB331_1064
.LBB331_1065:
	s_or_b32 exec_lo, exec_lo, s4
	v_add_nc_u32_e32 v1, 1, v1
	s_delay_alu instid0(VALU_DEP_1) | instskip(NEXT) | instid1(VALU_DEP_1)
	v_and_b32_e32 v3, 0x3fffffe, v1
	v_cmp_ne_u32_e32 vcc_lo, v1, v3
	v_lshl_add_u32 v1, v3, 7, v48
	s_or_not1_b32 s4, vcc_lo, exec_lo
.LBB331_1066:
	s_or_b32 exec_lo, exec_lo, s3
	s_delay_alu instid0(SALU_CYCLE_1)
	s_and_b32 exec_lo, exec_lo, s4
	s_cbranch_execz .LBB331_1069
; %bb.1067:
	s_wait_kmcnt 0x0
	s_ashr_i32 s11, s10, 31
	s_delay_alu instid0(SALU_CYCLE_1) | instskip(NEXT) | instid1(SALU_CYCLE_1)
	s_lshl_b64 s[4:5], s[10:11], 2
	s_add_nc_u64 s[4:5], s[8:9], s[4:5]
	s_load_b32 s3, s[4:5], 0x0
	s_wait_kmcnt 0x0
	v_lshl_add_u32 v3, v1, 2, s3
	s_mov_b32 s3, 0
.LBB331_1068:                           ; =>This Inner Loop Header: Depth=1
	ds_load_b32 v4, v3
	s_wait_dscnt 0x0
	v_dual_mul_f32 v4, v2, v4 :: v_dual_add_nc_u32 v1, 0x80, v1
	s_delay_alu instid0(VALU_DEP_1) | instskip(SKIP_3) | instid1(SALU_CYCLE_1)
	v_cmp_ge_i32_e32 vcc_lo, v1, v0
	ds_store_b32 v3, v4
	v_add_nc_u32_e32 v3, 0x200, v3
	s_or_b32 s3, vcc_lo, s3
	s_and_not1_b32 exec_lo, exec_lo, s3
	s_cbranch_execnz .LBB331_1068
.LBB331_1069:
	s_or_b32 exec_lo, exec_lo, s2
	s_wait_dscnt 0x0
	s_barrier_signal -1
	s_barrier_wait -1
	s_and_saveexec_b32 s2, s1
	s_delay_alu instid0(SALU_CYCLE_1)
	s_xor_b32 s1, exec_lo, s2
	s_cbranch_execz .LBB331_1071
; %bb.1070:
                                        ; implicit-def: $vgpr0
                                        ; kill: killed $vgpr0
	s_wait_kmcnt 0x0
	s_ashr_i32 s11, s10, 31
                                        ; implicit-def: $vgpr0
                                        ; kill: killed $vgpr0
                                        ; implicit-def: $vgpr99
                                        ; implicit-def: $vgpr101
                                        ; implicit-def: $vgpr26
                                        ; implicit-def: $vgpr54_vgpr55
                                        ; implicit-def: $vgpr10_vgpr11
                                        ; implicit-def: $vgpr38_vgpr39
                                        ; implicit-def: $vgpr64
                                        ; implicit-def: $vgpr27
                                        ; implicit-def: $vgpr24
                                        ; implicit-def: $vgpr53
                                        ; implicit-def: $vgpr52
                                        ; implicit-def: $vgpr0
                                        ; kill: killed $vgpr0
                                        ; implicit-def: $vgpr0
	scratch_store_b64 off, v[0:1], s32 offset:384 ; 8-byte Folded Spill
                                        ; implicit-def: $vgpr0_vgpr1
                                        ; kill: killed $vgpr0_vgpr1
                                        ; implicit-def: $vgpr0_vgpr1
                                        ; kill: killed $vgpr0_vgpr1
                                        ; implicit-def: $vgpr0
                                        ; kill: killed $vgpr0
.LBB331_1071:
	s_wait_xcnt 0x0
	s_or_saveexec_b32 s12, s1
	v_mov_b32_e32 v13, 0
	s_wait_kmcnt 0x0
	v_mov_b64_e32 v[2:3], s[10:11]
	s_delay_alu instid0(VALU_DEP_2)
	v_dual_mov_b32 v12, v13 :: v_dual_mov_b32 v29, v13
	v_dual_mov_b32 v28, v13 :: v_dual_mov_b32 v15, v13
	;; [unrolled: 1-line block ×7, first 2 shown]
	v_mov_b32_e32 v36, v13
	s_xor_b32 exec_lo, exec_lo, s12
	s_cbranch_execz .LBB331_2133
; %bb.1072:
	v_dual_mov_b32 v9, v119 :: v_dual_max_i32 v68, v26, v27
	v_dual_mov_b32 v27, 0 :: v_dual_bitop2_b32 v104, 8, v52 bitop3:0x40
	v_and_b32_e32 v4, 0x7c, v53
	s_delay_alu instid0(VALU_DEP_3)
	v_dual_mov_b32 v37, 0 :: v_dual_sub_nc_u32 v5, 0, v68
	v_cvt_f32_u32_e32 v0, v68
	v_and_b32_e32 v6, 1, v48
	v_and_b32_e32 v2, 0xf8, v52
	v_mov_b32_e32 v29, 0
	s_ashr_i32 s11, s10, 31
	v_rcp_iflag_f32_e32 v3, v0
	v_nop
	v_add_nc_u64_e32 v[0:1], v[38:39], v[64:65]
	v_dual_mov_b32 v64, v119 :: v_dual_lshlrev_b32 v6, 5, v6
	v_dual_mov_b32 v12, 0 :: v_dual_mov_b32 v36, 0
	v_dual_mov_b32 v32, 0 :: v_dual_mov_b32 v33, 0
	s_delay_alu instid0(TRANS32_DEP_1) | instskip(SKIP_2) | instid1(VALU_DEP_3)
	v_dual_mul_f32 v3, 0x4f7ffffe, v3 :: v_dual_mov_b32 v34, 0
	v_dual_mov_b32 v35, 0 :: v_dual_mov_b32 v30, 0
	v_mov_b32_e32 v31, 0
	v_cvt_u32_f32_e32 v7, v3
	v_dual_mov_b32 v20, 0 :: v_dual_mov_b32 v21, 0
	v_dual_mov_b32 v28, 0 :: v_dual_mov_b32 v14, 0
	v_mov_b32_e32 v15, 0
	s_delay_alu instid0(VALU_DEP_4) | instskip(SKIP_4) | instid1(VALU_DEP_3)
	v_mul_lo_u32 v3, v5, v7
	v_dual_mov_b32 v5, v27 :: v_dual_mov_b32 v17, v27
	v_mov_b32_e32 v13, 0
	v_lshl_or_b32 v65, v9, 6, v6
	s_lshl_b64 s[4:5], s[10:11], 2
	v_lshl_add_u64 v[4:5], v[54:55], 2, v[4:5]
	s_mov_b64 s[2:3], 0xffffffffffffff
	s_mov_b32 s13, 0
	s_add_nc_u64 s[4:5], s[8:9], s[4:5]
	s_clause 0x1
	scratch_store_b32 off, v51, s32 offset:452
	scratch_store_b32 off, v50, s32 offset:448
	v_mul_hi_u32 v8, v7, v3
	v_mov_b32_e32 v3, v27
	v_add_nc_u64_e32 v[10:11], v[10:11], v[4:5]
	s_delay_alu instid0(VALU_DEP_2) | instskip(NEXT) | instid1(VALU_DEP_4)
	v_add_nc_u64_e32 v[0:1], v[0:1], v[2:3]
	v_add_nc_u32_e32 v16, v7, v8
	s_clause 0x1
	scratch_store_b64 off, v[0:1], s32 offset:440
	scratch_store_b64 off, v[16:17], s32 offset:392
	s_branch .LBB331_1075
.LBB331_1073:                           ;   in Loop: Header=BB331_1075 Depth=1
	s_or_b32 exec_lo, exec_lo, s1
	scratch_load_b128 v[56:59], off, s32 offset:416 th:TH_LOAD_LU ; 16-byte Folded Reload
	v_perm_b32 v45, v45, v46, 0x5040100
	v_perm_b32 v103, v103, v42, 0x5040100
	;; [unrolled: 1-line block ×10, first 2 shown]
	s_wait_loadcnt 0x0
	v_cvt_pk_bf16_f32 v57, v56, v57
	v_cvt_pk_bf16_f32 v56, v58, v59
	scratch_load_b128 v[58:61], off, s32 offset:400 th:TH_LOAD_LU ; 16-byte Folded Reload
	v_pk_mul_bf16 v2, v57, v2
	v_pk_mul_bf16 v45, v56, v45
	;; [unrolled: 1-line block ×4, first 2 shown]
	s_wait_loadcnt 0x0
	v_cvt_pk_bf16_f32 v47, v58, v59
	v_perm_b32 v58, v79, v88, 0x5040100
	v_perm_b32 v59, v77, v78, 0x5040100
	v_cvt_pk_bf16_f32 v118, v60, v61
	v_perm_b32 v60, v73, v74, 0x5040100
	v_perm_b32 v61, v76, v75, 0x5040100
	v_pk_mul_bf16 v58, v57, v58
	v_pk_mul_bf16 v59, v56, v59
	v_pk_mul_bf16 v103, v47, v103
	v_pk_mul_bf16 v60, v47, v60
	v_pk_mul_bf16 v61, v118, v61
	v_lshlrev_b32_e32 v62, 16, v58
	v_and_b32_e32 v58, 0xffff0000, v58
	v_pk_mul_bf16 v42, v118, v42
	v_pk_mul_bf16 v5, v118, v5
	;; [unrolled: 1-line block ×4, first 2 shown]
	v_dual_add_f32 v58, v62, v58 :: v_dual_lshlrev_b32 v62, 16, v59
	v_and_b32_e32 v59, 0xffff0000, v59
	v_pk_mul_bf16 v1, v118, v1
	s_delay_alu instid0(VALU_DEP_2) | instskip(NEXT) | instid1(VALU_DEP_1)
	v_add_f32_e32 v59, v62, v59
	v_dual_add_f32 v58, v58, v59 :: v_dual_lshlrev_b32 v59, 16, v60
	v_and_b32_e32 v60, 0xffff0000, v60
	s_delay_alu instid0(VALU_DEP_1) | instskip(SKIP_1) | instid1(VALU_DEP_2)
	v_add_f32_e32 v59, v59, v60
	v_and_b32_e32 v60, 0xffff0000, v61
	v_dual_add_f32 v58, v58, v59 :: v_dual_lshlrev_b32 v59, 16, v61
	s_delay_alu instid0(VALU_DEP_1) | instskip(NEXT) | instid1(VALU_DEP_1)
	v_add_f32_e32 v59, v59, v60
	v_add_f32_e32 v58, v58, v59
	s_delay_alu instid0(VALU_DEP_1) | instskip(SKIP_1) | instid1(VALU_DEP_1)
	v_add_f32_e32 v12, v12, v58
	v_perm_b32 v58, v63, v72, 0x5040100
	v_pk_mul_bf16 v58, v57, v58
	s_delay_alu instid0(VALU_DEP_1) | instskip(SKIP_1) | instid1(VALU_DEP_1)
	v_lshlrev_b32_e32 v43, 16, v58
	v_and_b32_e32 v44, 0xffff0000, v58
	v_dual_add_f32 v43, v43, v44 :: v_dual_lshlrev_b32 v44, 16, v45
	v_and_b32_e32 v45, 0xffff0000, v45
	s_delay_alu instid0(VALU_DEP_1) | instskip(NEXT) | instid1(VALU_DEP_1)
	v_add_f32_e32 v44, v44, v45
	v_dual_add_f32 v43, v43, v44 :: v_dual_lshlrev_b32 v44, 16, v103
	v_and_b32_e32 v103, 0xffff0000, v103
	s_delay_alu instid0(VALU_DEP_1) | instskip(NEXT) | instid1(VALU_DEP_1)
	v_add_f32_e32 v103, v44, v103
	;; [unrolled: 4-line block ×3, first 2 shown]
	v_add_f32_e32 v103, v103, v42
	s_delay_alu instid0(VALU_DEP_1) | instskip(SKIP_1) | instid1(VALU_DEP_1)
	v_add_f32_e32 v29, v29, v103
	v_perm_b32 v103, v119, v40, 0x5040100
	v_pk_mul_bf16 v103, v57, v103
	s_delay_alu instid0(VALU_DEP_1) | instskip(SKIP_1) | instid1(VALU_DEP_1)
	v_lshlrev_b32_e32 v6, 16, v103
	v_and_b32_e32 v7, 0xffff0000, v103
	v_dual_add_f32 v6, v6, v7 :: v_dual_lshlrev_b32 v7, 16, v8
	v_and_b32_e32 v8, 0xffff0000, v8
	s_delay_alu instid0(VALU_DEP_1) | instskip(NEXT) | instid1(VALU_DEP_1)
	v_add_f32_e32 v7, v7, v8
	v_dual_add_f32 v6, v6, v7 :: v_dual_lshlrev_b32 v7, 16, v4
	v_and_b32_e32 v4, 0xffff0000, v4
	s_delay_alu instid0(VALU_DEP_1) | instskip(NEXT) | instid1(VALU_DEP_1)
	v_add_f32_e32 v4, v7, v4
	v_dual_add_f32 v4, v6, v4 :: v_dual_lshlrev_b32 v6, 16, v5
	v_and_b32_e32 v5, 0xffff0000, v5
	s_delay_alu instid0(VALU_DEP_1) | instskip(SKIP_1) | instid1(VALU_DEP_1)
	v_dual_add_f32 v5, v6, v5 :: v_dual_lshlrev_b32 v6, 16, v2
	v_and_b32_e32 v2, 0xffff0000, v2
	v_dual_add_f32 v2, v6, v2 :: v_dual_add_f32 v4, v4, v5
	v_lshlrev_b32_e32 v6, 16, v3
	v_and_b32_e32 v3, 0xffff0000, v3
	v_perm_b32 v5, v114, v87, 0x5040100
	s_delay_alu instid0(VALU_DEP_4) | instskip(SKIP_1) | instid1(VALU_DEP_4)
	v_add_f32_e32 v28, v28, v4
	v_perm_b32 v4, v113, v115, 0x5040100
	v_add_f32_e32 v3, v6, v3
	s_delay_alu instid0(VALU_DEP_4) | instskip(NEXT) | instid1(VALU_DEP_3)
	v_pk_mul_bf16 v5, v118, v5
	v_pk_mul_bf16 v4, v47, v4
	s_delay_alu instid0(VALU_DEP_1) | instskip(SKIP_1) | instid1(VALU_DEP_1)
	v_dual_add_f32 v2, v2, v3 :: v_dual_lshlrev_b32 v3, 16, v4
	v_and_b32_e32 v4, 0xffff0000, v4
	v_add_f32_e32 v3, v3, v4
	v_and_b32_e32 v4, 0xffff0000, v5
	s_delay_alu instid0(VALU_DEP_2) | instskip(SKIP_1) | instid1(VALU_DEP_2)
	v_dual_add_f32 v2, v2, v3 :: v_dual_lshlrev_b32 v3, 16, v5
	v_perm_b32 v5, v82, v81, 0x5040100
	v_add_f32_e32 v3, v3, v4
	v_perm_b32 v4, v71, v80, 0x5040100
	s_delay_alu instid0(VALU_DEP_3) | instskip(NEXT) | instid1(VALU_DEP_3)
	v_pk_mul_bf16 v5, v118, v5
	v_add_f32_e32 v2, v2, v3
	v_perm_b32 v3, v83, v84, 0x5040100
	s_delay_alu instid0(VALU_DEP_4) | instskip(NEXT) | instid1(VALU_DEP_3)
	v_pk_mul_bf16 v4, v47, v4
	v_add_f32_e32 v15, v15, v2
	v_perm_b32 v2, v85, v86, 0x5040100
	s_delay_alu instid0(VALU_DEP_4) | instskip(NEXT) | instid1(VALU_DEP_2)
	v_pk_mul_bf16 v3, v56, v3
	v_pk_mul_bf16 v2, v57, v2
	s_delay_alu instid0(VALU_DEP_1) | instskip(SKIP_1) | instid1(VALU_DEP_1)
	v_lshlrev_b32_e32 v6, 16, v2
	v_and_b32_e32 v2, 0xffff0000, v2
	v_dual_add_f32 v2, v6, v2 :: v_dual_lshlrev_b32 v6, 16, v3
	v_and_b32_e32 v3, 0xffff0000, v3
	s_delay_alu instid0(VALU_DEP_1) | instskip(NEXT) | instid1(VALU_DEP_1)
	v_add_f32_e32 v3, v6, v3
	v_dual_add_f32 v2, v2, v3 :: v_dual_lshlrev_b32 v3, 16, v4
	v_and_b32_e32 v4, 0xffff0000, v4
	s_delay_alu instid0(VALU_DEP_1) | instskip(SKIP_1) | instid1(VALU_DEP_2)
	v_add_f32_e32 v3, v3, v4
	v_and_b32_e32 v4, 0xffff0000, v5
	v_dual_add_f32 v2, v2, v3 :: v_dual_lshlrev_b32 v3, 16, v5
	v_perm_b32 v5, v17, v16, 0x5040100
	s_delay_alu instid0(VALU_DEP_2) | instskip(SKIP_1) | instid1(VALU_DEP_3)
	v_add_f32_e32 v3, v3, v4
	v_perm_b32 v4, v38, v39, 0x5040100
	v_pk_mul_bf16 v5, v118, v5
	s_delay_alu instid0(VALU_DEP_3) | instskip(SKIP_1) | instid1(VALU_DEP_4)
	v_add_f32_e32 v2, v2, v3
	v_perm_b32 v3, v67, v19, 0x5040100
	v_pk_mul_bf16 v4, v47, v4
	s_delay_alu instid0(VALU_DEP_3) | instskip(SKIP_1) | instid1(VALU_DEP_4)
	v_add_f32_e32 v14, v14, v2
	v_perm_b32 v2, v25, v70, 0x5040100
	v_pk_mul_bf16 v3, v56, v3
	s_delay_alu instid0(VALU_DEP_2) | instskip(NEXT) | instid1(VALU_DEP_1)
	v_pk_mul_bf16 v2, v57, v2
	v_lshlrev_b32_e32 v6, 16, v2
	v_and_b32_e32 v2, 0xffff0000, v2
	s_delay_alu instid0(VALU_DEP_1) | instskip(SKIP_1) | instid1(VALU_DEP_1)
	v_dual_add_f32 v2, v6, v2 :: v_dual_lshlrev_b32 v6, 16, v3
	v_and_b32_e32 v3, 0xffff0000, v3
	v_add_f32_e32 v3, v6, v3
	s_delay_alu instid0(VALU_DEP_1) | instskip(SKIP_1) | instid1(VALU_DEP_1)
	v_dual_add_f32 v2, v2, v3 :: v_dual_lshlrev_b32 v3, 16, v4
	v_and_b32_e32 v4, 0xffff0000, v4
	v_add_f32_e32 v3, v3, v4
	v_and_b32_e32 v4, 0xffff0000, v5
	s_delay_alu instid0(VALU_DEP_2) | instskip(SKIP_1) | instid1(VALU_DEP_2)
	v_dual_add_f32 v2, v2, v3 :: v_dual_lshlrev_b32 v3, 16, v5
	v_perm_b32 v5, v48, v22, 0x5040100
	v_add_f32_e32 v3, v3, v4
	v_perm_b32 v4, v69, v23, 0x5040100
	s_delay_alu instid0(VALU_DEP_3) | instskip(NEXT) | instid1(VALU_DEP_3)
	v_pk_mul_bf16 v5, v118, v5
	v_add_f32_e32 v2, v2, v3
	v_perm_b32 v3, v49, v102, 0x5040100
	s_delay_alu instid0(VALU_DEP_4) | instskip(NEXT) | instid1(VALU_DEP_3)
	v_pk_mul_bf16 v4, v47, v4
	v_add_f32_e32 v21, v21, v2
	v_perm_b32 v2, v18, v112, 0x5040100
	s_delay_alu instid0(VALU_DEP_4) | instskip(NEXT) | instid1(VALU_DEP_2)
	v_pk_mul_bf16 v3, v56, v3
	v_pk_mul_bf16 v2, v57, v2
	s_delay_alu instid0(VALU_DEP_1) | instskip(SKIP_1) | instid1(VALU_DEP_1)
	v_lshlrev_b32_e32 v6, 16, v2
	v_and_b32_e32 v2, 0xffff0000, v2
	v_dual_add_f32 v2, v6, v2 :: v_dual_lshlrev_b32 v6, 16, v3
	v_and_b32_e32 v3, 0xffff0000, v3
	s_delay_alu instid0(VALU_DEP_1) | instskip(NEXT) | instid1(VALU_DEP_1)
	v_add_f32_e32 v3, v6, v3
	v_dual_add_f32 v2, v2, v3 :: v_dual_lshlrev_b32 v3, 16, v4
	v_and_b32_e32 v4, 0xffff0000, v4
	s_delay_alu instid0(VALU_DEP_1) | instskip(SKIP_1) | instid1(VALU_DEP_2)
	v_add_f32_e32 v3, v3, v4
	v_and_b32_e32 v4, 0xffff0000, v5
	v_dual_add_f32 v2, v2, v3 :: v_dual_lshlrev_b32 v3, 16, v5
	s_delay_alu instid0(VALU_DEP_1) | instskip(NEXT) | instid1(VALU_DEP_1)
	v_add_f32_e32 v3, v3, v4
	v_add_f32_e32 v2, v2, v3
	v_perm_b32 v3, v100, v127, 0x5040100
	s_delay_alu instid0(VALU_DEP_2) | instskip(SKIP_1) | instid1(VALU_DEP_3)
	v_add_f32_e32 v20, v20, v2
	v_perm_b32 v2, v66, v97, 0x5040100
	v_pk_mul_bf16 v3, v56, v3
	s_delay_alu instid0(VALU_DEP_2) | instskip(NEXT) | instid1(VALU_DEP_1)
	v_pk_mul_bf16 v2, v57, v2
	v_lshlrev_b32_e32 v4, 16, v2
	v_and_b32_e32 v2, 0xffff0000, v2
	s_delay_alu instid0(VALU_DEP_1) | instskip(SKIP_1) | instid1(VALU_DEP_1)
	v_dual_add_f32 v2, v4, v2 :: v_dual_lshlrev_b32 v4, 16, v3
	v_and_b32_e32 v3, 0xffff0000, v3
	v_add_f32_e32 v3, v4, v3
	s_delay_alu instid0(VALU_DEP_1) | instskip(SKIP_1) | instid1(VALU_DEP_1)
	v_dual_add_f32 v2, v2, v3 :: v_dual_lshlrev_b32 v3, 16, v0
	v_and_b32_e32 v0, 0xffff0000, v0
	v_add_f32_e32 v0, v3, v0
	v_perm_b32 v3, v122, v121, 0x5040100
	s_delay_alu instid0(VALU_DEP_2) | instskip(SKIP_1) | instid1(VALU_DEP_3)
	v_dual_add_f32 v0, v2, v0 :: v_dual_lshlrev_b32 v2, 16, v1
	v_and_b32_e32 v1, 0xffff0000, v1
	v_pk_mul_bf16 v3, v118, v3
	s_delay_alu instid0(VALU_DEP_2) | instskip(SKIP_1) | instid1(VALU_DEP_2)
	v_add_f32_e32 v1, v2, v1
	v_perm_b32 v2, v111, v120, 0x5040100
	v_add_f32_e32 v0, v0, v1
	v_perm_b32 v1, v123, v124, 0x5040100
	s_delay_alu instid0(VALU_DEP_3) | instskip(NEXT) | instid1(VALU_DEP_3)
	v_pk_mul_bf16 v2, v47, v2
	v_add_f32_e32 v31, v31, v0
	v_perm_b32 v0, v125, v126, 0x5040100
	s_delay_alu instid0(VALU_DEP_4) | instskip(NEXT) | instid1(VALU_DEP_2)
	v_pk_mul_bf16 v1, v56, v1
	v_pk_mul_bf16 v0, v57, v0
	s_delay_alu instid0(VALU_DEP_1) | instskip(SKIP_1) | instid1(VALU_DEP_1)
	v_lshlrev_b32_e32 v4, 16, v0
	v_and_b32_e32 v0, 0xffff0000, v0
	v_dual_add_f32 v0, v4, v0 :: v_dual_lshlrev_b32 v4, 16, v1
	v_and_b32_e32 v1, 0xffff0000, v1
	s_delay_alu instid0(VALU_DEP_1) | instskip(NEXT) | instid1(VALU_DEP_1)
	v_add_f32_e32 v1, v4, v1
	v_dual_add_f32 v0, v0, v1 :: v_dual_lshlrev_b32 v1, 16, v2
	v_and_b32_e32 v2, 0xffff0000, v2
	s_delay_alu instid0(VALU_DEP_1) | instskip(SKIP_1) | instid1(VALU_DEP_2)
	v_add_f32_e32 v1, v1, v2
	v_and_b32_e32 v2, 0xffff0000, v3
	v_dual_add_f32 v0, v0, v1 :: v_dual_lshlrev_b32 v1, 16, v3
	s_delay_alu instid0(VALU_DEP_1)
	v_add_f32_e32 v1, v1, v2
	s_clause 0x1
	scratch_load_b32 v2, off, s32 offset:376 th:TH_LOAD_LU
	scratch_load_b32 v3, off, s32 offset:380 th:TH_LOAD_LU
	v_add_f32_e32 v0, v0, v1
	v_perm_b32 v1, v107, v108, 0x5040100
	s_delay_alu instid0(VALU_DEP_2) | instskip(SKIP_1) | instid1(VALU_DEP_3)
	v_add_f32_e32 v30, v30, v0
	v_perm_b32 v0, v109, v110, 0x5040100
	v_pk_mul_bf16 v1, v56, v1
	s_delay_alu instid0(VALU_DEP_2) | instskip(NEXT) | instid1(VALU_DEP_1)
	v_pk_mul_bf16 v0, v57, v0
	v_lshlrev_b32_e32 v4, 16, v0
	v_and_b32_e32 v0, 0xffff0000, v0
	s_delay_alu instid0(VALU_DEP_1) | instskip(SKIP_1) | instid1(VALU_DEP_1)
	v_dual_add_f32 v0, v4, v0 :: v_dual_lshlrev_b32 v4, 16, v1
	v_and_b32_e32 v1, 0xffff0000, v1
	v_add_f32_e32 v1, v4, v1
	s_wait_loadcnt 0x0
	v_perm_b32 v2, v2, v3, 0x5040100
	v_perm_b32 v3, v106, v105, 0x5040100
	s_delay_alu instid0(VALU_DEP_2) | instskip(SKIP_1) | instid1(VALU_DEP_3)
	v_pk_mul_bf16 v2, v47, v2
	v_add_f32_e32 v0, v0, v1
	v_pk_mul_bf16 v3, v118, v3
	s_delay_alu instid0(VALU_DEP_3) | instskip(SKIP_1) | instid1(VALU_DEP_1)
	v_lshlrev_b32_e32 v1, 16, v2
	v_and_b32_e32 v2, 0xffff0000, v2
	v_add_f32_e32 v1, v1, v2
	s_delay_alu instid0(VALU_DEP_4) | instskip(NEXT) | instid1(VALU_DEP_2)
	v_and_b32_e32 v2, 0xffff0000, v3
	v_dual_add_f32 v0, v0, v1 :: v_dual_lshlrev_b32 v1, 16, v3
	s_delay_alu instid0(VALU_DEP_1) | instskip(NEXT) | instid1(VALU_DEP_1)
	v_add_f32_e32 v1, v1, v2
	v_add_f32_e32 v0, v0, v1
	s_delay_alu instid0(VALU_DEP_1)
	v_add_f32_e32 v35, v35, v0
	s_clause 0x1
	scratch_load_b32 v0, off, s32 offset:368 th:TH_LOAD_LU
	scratch_load_b32 v1, off, s32 offset:372 th:TH_LOAD_LU
	s_wait_loadcnt 0x0
	v_perm_b32 v0, v0, v1, 0x5040100
	s_clause 0x1
	scratch_load_b32 v1, off, s32 offset:360 th:TH_LOAD_LU
	scratch_load_b32 v2, off, s32 offset:364 th:TH_LOAD_LU
	v_pk_mul_bf16 v0, v57, v0
	s_wait_loadcnt 0x0
	v_perm_b32 v1, v1, v2, 0x5040100
	s_clause 0x1
	scratch_load_b32 v2, off, s32 offset:344 th:TH_LOAD_LU
	scratch_load_b32 v3, off, s32 offset:348 th:TH_LOAD_LU
	v_pk_mul_bf16 v1, v56, v1
	s_wait_loadcnt 0x0
	v_perm_b32 v2, v2, v3, 0x5040100
	s_clause 0x1
	scratch_load_b32 v3, off, s32 offset:352 th:TH_LOAD_LU
	scratch_load_b32 v4, off, s32 offset:356 th:TH_LOAD_LU
	v_pk_mul_bf16 v2, v47, v2
	s_wait_loadcnt 0x0
	v_perm_b32 v3, v4, v3, 0x5040100
	v_lshlrev_b32_e32 v4, 16, v0
	v_and_b32_e32 v0, 0xffff0000, v0
	s_delay_alu instid0(VALU_DEP_3) | instskip(NEXT) | instid1(VALU_DEP_2)
	v_pk_mul_bf16 v3, v118, v3
	v_dual_add_f32 v0, v4, v0 :: v_dual_lshlrev_b32 v4, 16, v1
	v_and_b32_e32 v1, 0xffff0000, v1
	s_delay_alu instid0(VALU_DEP_1) | instskip(NEXT) | instid1(VALU_DEP_1)
	v_add_f32_e32 v1, v4, v1
	v_dual_add_f32 v0, v0, v1 :: v_dual_lshlrev_b32 v1, 16, v2
	v_and_b32_e32 v2, 0xffff0000, v2
	s_delay_alu instid0(VALU_DEP_1) | instskip(SKIP_1) | instid1(VALU_DEP_2)
	v_add_f32_e32 v1, v1, v2
	v_and_b32_e32 v2, 0xffff0000, v3
	v_dual_add_f32 v0, v0, v1 :: v_dual_lshlrev_b32 v1, 16, v3
	s_delay_alu instid0(VALU_DEP_1) | instskip(NEXT) | instid1(VALU_DEP_1)
	v_add_f32_e32 v1, v1, v2
	v_add_f32_e32 v0, v0, v1
	s_delay_alu instid0(VALU_DEP_1)
	v_add_f32_e32 v34, v34, v0
	s_clause 0x1
	scratch_load_b32 v0, off, s32 offset:336 th:TH_LOAD_LU
	scratch_load_b32 v1, off, s32 offset:340 th:TH_LOAD_LU
	s_wait_loadcnt 0x0
	v_perm_b32 v0, v0, v1, 0x5040100
	s_clause 0x1
	scratch_load_b32 v1, off, s32 offset:328 th:TH_LOAD_LU
	scratch_load_b32 v2, off, s32 offset:332 th:TH_LOAD_LU
	v_pk_mul_bf16 v0, v57, v0
	s_wait_loadcnt 0x0
	v_perm_b32 v1, v1, v2, 0x5040100
	s_clause 0x1
	scratch_load_b32 v2, off, s32 offset:312 th:TH_LOAD_LU
	scratch_load_b32 v3, off, s32 offset:316 th:TH_LOAD_LU
	v_pk_mul_bf16 v1, v56, v1
	s_wait_loadcnt 0x0
	v_perm_b32 v2, v2, v3, 0x5040100
	s_clause 0x1
	scratch_load_b32 v3, off, s32 offset:320 th:TH_LOAD_LU
	scratch_load_b32 v4, off, s32 offset:324 th:TH_LOAD_LU
	v_pk_mul_bf16 v2, v47, v2
	s_wait_loadcnt 0x0
	v_perm_b32 v3, v4, v3, 0x5040100
	v_lshlrev_b32_e32 v4, 16, v0
	v_and_b32_e32 v0, 0xffff0000, v0
	s_delay_alu instid0(VALU_DEP_3) | instskip(NEXT) | instid1(VALU_DEP_2)
	v_pk_mul_bf16 v3, v118, v3
	v_dual_add_f32 v0, v4, v0 :: v_dual_lshlrev_b32 v4, 16, v1
	v_and_b32_e32 v1, 0xffff0000, v1
	s_delay_alu instid0(VALU_DEP_1) | instskip(NEXT) | instid1(VALU_DEP_1)
	v_add_f32_e32 v1, v4, v1
	v_dual_add_f32 v0, v0, v1 :: v_dual_lshlrev_b32 v1, 16, v2
	v_and_b32_e32 v2, 0xffff0000, v2
	s_delay_alu instid0(VALU_DEP_1) | instskip(SKIP_1) | instid1(VALU_DEP_2)
	v_add_f32_e32 v1, v1, v2
	;; [unrolled: 42-line block ×5, first 2 shown]
	v_and_b32_e32 v2, 0xffff0000, v3
	v_dual_add_f32 v0, v0, v1 :: v_dual_lshlrev_b32 v1, 16, v3
	s_delay_alu instid0(VALU_DEP_1) | instskip(NEXT) | instid1(VALU_DEP_1)
	v_add_f32_e32 v1, v1, v2
	v_add_f32_e32 v0, v0, v1
	s_delay_alu instid0(VALU_DEP_1) | instskip(SKIP_1) | instid1(VALU_DEP_1)
	v_add_f32_e32 v36, v36, v0
	v_perm_b32 v0, v55, v41, 0x5040100
	v_pk_mul_bf16 v1, v57, v0
	v_perm_b32 v0, v53, v54, 0x5040100
	s_delay_alu instid0(VALU_DEP_2) | instskip(NEXT) | instid1(VALU_DEP_2)
	v_lshlrev_b32_e32 v2, 16, v1
	v_pk_mul_bf16 v3, v56, v0
	v_perm_b32 v0, v50, v52, 0x5040100
	s_delay_alu instid0(VALU_DEP_1) | instskip(SKIP_1) | instid1(VALU_DEP_1)
	v_pk_mul_bf16 v4, v47, v0
	v_perm_b32 v0, v51, v26, 0x5040100
	v_pk_mul_bf16 v5, v118, v0
	v_and_b32_e32 v0, 0xffff0000, v1
	v_and_b32_e32 v1, 0xffff0000, v3
	v_lshlrev_b32_e32 v3, 16, v3
	s_delay_alu instid0(VALU_DEP_1)
	v_pk_add_f32 v[0:1], v[2:3], v[0:1]
	v_and_b32_e32 v2, 0xffff0000, v4
	v_lshlrev_b32_e32 v4, 16, v4
	v_and_b32_e32 v3, 0xffff0000, v5
	v_lshlrev_b32_e32 v5, 16, v5
	v_add_f32_e32 v0, v0, v1
	s_delay_alu instid0(VALU_DEP_2) | instskip(NEXT) | instid1(VALU_DEP_1)
	v_pk_add_f32 v[2:3], v[4:5], v[2:3]
	v_add_f32_e32 v0, v0, v2
	s_delay_alu instid0(VALU_DEP_1) | instskip(NEXT) | instid1(VALU_DEP_1)
	v_add_f32_e32 v0, v0, v3
	v_add_f32_e32 v13, v13, v0
.LBB331_1074:                           ;   in Loop: Header=BB331_1075 Depth=1
	s_wait_xcnt 0x0
	s_or_b32 exec_lo, exec_lo, s18
	scratch_load_b32 v0, off, s32 offset:192 ; 4-byte Folded Reload
	v_add_nc_u32_e32 v64, 4, v64
	v_add_nc_u64_e32 v[10:11], 16, v[10:11]
	v_add_nc_u32_e32 v24, 64, v24
	v_add_nc_u32_e32 v65, 0x100, v65
	s_wait_loadcnt 0x0
	v_cmp_ge_i32_e32 vcc_lo, v64, v0
	s_or_b32 s13, vcc_lo, s13
	s_wait_xcnt 0x0
	s_and_not1_b32 exec_lo, exec_lo, s13
	s_cbranch_execz .LBB331_2132
.LBB331_1075:                           ; =>This Inner Loop Header: Depth=1
	scratch_load_b64 v[0:1], off, s32 offset:196 ; 8-byte Folded Reload
	v_mov_b32_e32 v25, v27
	s_wait_loadcnt 0x0
	s_delay_alu instid0(VALU_DEP_1) | instskip(NEXT) | instid1(VALU_DEP_1)
	v_mul_u64_e32 v[0:1], v[24:25], v[0:1]
	v_mul_lo_u32 v0, v1, v101
	s_delay_alu instid0(VALU_DEP_1) | instskip(NEXT) | instid1(VALU_DEP_1)
	v_sub_nc_u32_e32 v0, v24, v0
	v_cmp_ge_u32_e32 vcc_lo, v0, v101
	v_sub_nc_u32_e32 v3, v0, v101
	s_delay_alu instid0(VALU_DEP_1) | instskip(NEXT) | instid1(VALU_DEP_1)
	v_dual_add_nc_u32 v2, 1, v1 :: v_dual_cndmask_b32 v0, v0, v3, vcc_lo
	v_cndmask_b32_e32 v1, v1, v2, vcc_lo
	s_delay_alu instid0(VALU_DEP_2) | instskip(NEXT) | instid1(VALU_DEP_2)
	v_cmp_ge_u32_e32 vcc_lo, v0, v101
	v_add_nc_u32_e32 v2, 1, v1
	s_delay_alu instid0(VALU_DEP_1) | instskip(SKIP_3) | instid1(VALU_DEP_1)
	v_cndmask_b32_e32 v0, v1, v2, vcc_lo
	scratch_load_b32 v1, off, s32 offset:204 ; 4-byte Folded Reload
	s_wait_loadcnt 0x0
	v_xor_b32_e32 v0, v0, v1
	v_sub_nc_u32_e32 v2, v0, v1
	scratch_load_b32 v0, off, s32 offset:208 ; 4-byte Folded Reload
	s_wait_loadcnt 0x0
	v_add_nc_u32_e32 v3, v2, v0
	s_delay_alu instid0(VALU_DEP_1) | instskip(NEXT) | instid1(VALU_DEP_1)
	v_sub_nc_u32_e32 v0, 0, v3
	v_max_i32_e32 v26, v3, v0
	scratch_load_b64 v[0:1], off, s32 offset:392 ; 8-byte Folded Reload
	s_wait_loadcnt 0x0
	v_mul_u64_e32 v[0:1], v[26:27], v[0:1]
	s_delay_alu instid0(VALU_DEP_1) | instskip(NEXT) | instid1(VALU_DEP_1)
	v_mul_lo_u32 v0, v1, v68
	v_sub_nc_u32_e32 v0, v26, v0
	s_delay_alu instid0(VALU_DEP_1) | instskip(SKIP_1) | instid1(VALU_DEP_2)
	v_sub_nc_u32_e32 v1, v0, v68
	v_cmp_ge_u32_e32 vcc_lo, v0, v68
	v_dual_cndmask_b32 v0, v0, v1 :: v_dual_ashrrev_i32 v3, 31, v3
	s_delay_alu instid0(VALU_DEP_1) | instskip(SKIP_1) | instid1(VALU_DEP_2)
	v_sub_nc_u32_e32 v1, v0, v68
	v_cmp_ge_u32_e32 vcc_lo, v0, v68
	v_cndmask_b32_e32 v0, v0, v1, vcc_lo
	s_delay_alu instid0(VALU_DEP_1) | instskip(NEXT) | instid1(VALU_DEP_1)
	v_xor_b32_e32 v0, v0, v3
	v_sub_nc_u32_e32 v0, v0, v3
	s_delay_alu instid0(VALU_DEP_1)
	v_cmp_eq_u32_e32 vcc_lo, 0, v0
	scratch_load_b32 v0, off, s32 offset:212 ; 4-byte Folded Reload
	s_wait_loadcnt 0x0
	v_cmp_gt_i32_e64 s1, v2, v0
	s_or_b32 s1, vcc_lo, s1
	s_wait_xcnt 0x0
	s_and_saveexec_b32 s18, s1
	s_cbranch_execz .LBB331_1074
; %bb.1076:                             ;   in Loop: Header=BB331_1075 Depth=1
	flat_load_b32 v0, v[10:11]
	s_clause 0x1
	scratch_load_b64 v[2:3], off, s32 offset:384
	scratch_load_b64 v[4:5], off, s32 offset:440
	s_wait_loadcnt_dscnt 0x0
	v_mad_nc_i64_i32 v[50:51], v0, v2, v[4:5]
	flat_load_b64 v[52:53], v[50:51]
	scratch_load_b64 v[0:1], off, s32 offset:432 ; 8-byte Folded Reload
	s_load_b32 s1, s[4:5], 0x0
	s_wait_loadcnt 0x0
	flat_load_b32 v118, v[0:1]
	s_wait_kmcnt 0x0
	v_add_nc_u32_e32 v0, s1, v65
	s_mov_b32 s1, exec_lo
	ds_load_2addr_b64 v[2:5], v0 offset1:1
	s_wait_dscnt 0x0
	scratch_store_b128 off, v[2:5], s32 offset:416 ; 16-byte Folded Spill
	s_wait_xcnt 0x0
	ds_load_2addr_b64 v[0:3], v0 offset0:2 offset1:3
	s_wait_dscnt 0x0
	scratch_store_b128 off, v[0:3], s32 offset:400 ; 16-byte Folded Spill
	s_wait_xcnt 0x0
	v_and_b32_e32 v2, 0xff, v52
	v_dual_mov_b32 v1, 0 :: v_dual_mov_b32 v0, 0
	s_delay_alu instid0(VALU_DEP_2)
	v_cmpx_ne_u16_e32 0, v2
	s_cbranch_execz .LBB331_1084
; %bb.1077:                             ;   in Loop: Header=BB331_1075 Depth=1
	v_bfrev_b32_e32 v0, 1
	s_mov_b32 s19, exec_lo
	v_cmpx_ne_u16_e32 0x80, v2
	s_cbranch_execz .LBB331_1083
; %bb.1078:                             ;   in Loop: Header=BB331_1075 Depth=1
	v_and_b32_e32 v2, 0x7f, v52
	v_mov_b32_e32 v0, 0x7f800001
	s_mov_b32 s20, exec_lo
	s_delay_alu instid0(VALU_DEP_2)
	v_cmpx_ne_u32_e32 0x7f, v2
	s_cbranch_execz .LBB331_1082
; %bb.1079:                             ;   in Loop: Header=BB331_1075 Depth=1
	v_mov_b64_e32 v[54:55], v[52:53]
	v_lshrrev_b32_e32 v0, 3, v2
	s_mov_b32 s21, exec_lo
	v_cmpx_gt_u32_e32 8, v2
; %bb.1080:                             ;   in Loop: Header=BB331_1075 Depth=1
	v_and_b32_e32 v0, 7, v52
	s_delay_alu instid0(VALU_DEP_1) | instskip(NEXT) | instid1(VALU_DEP_1)
	v_clz_i32_u32_e32 v0, v0
	v_min_u32_e32 v0, 32, v0
	s_delay_alu instid0(VALU_DEP_1) | instskip(SKIP_1) | instid1(VALU_DEP_2)
	v_subrev_nc_u32_e32 v2, 28, v0
	v_sub_nc_u32_e32 v0, 29, v0
	v_lshlrev_b64_e32 v[54:55], v2, v[52:53]
; %bb.1081:                             ;   in Loop: Header=BB331_1075 Depth=1
	s_or_b32 exec_lo, exec_lo, s21
	s_delay_alu instid0(VALU_DEP_1) | instskip(NEXT) | instid1(VALU_DEP_3)
	v_dual_lshlrev_b32 v2, 20, v54 :: v_dual_lshlrev_b32 v3, 24, v52
	v_lshl_add_u32 v0, v0, 23, 0x3c000000
	s_delay_alu instid0(VALU_DEP_2) | instskip(NEXT) | instid1(VALU_DEP_3)
	v_and_b32_e32 v2, 0x700000, v2
	v_and_b32_e32 v3, 0x80000000, v3
	s_delay_alu instid0(VALU_DEP_1)
	v_or3_b32 v0, v2, v3, v0
.LBB331_1082:                           ;   in Loop: Header=BB331_1075 Depth=1
	s_or_b32 exec_lo, exec_lo, s20
.LBB331_1083:                           ;   in Loop: Header=BB331_1075 Depth=1
	s_delay_alu instid0(SALU_CYCLE_1)
	s_or_b32 exec_lo, exec_lo, s19
.LBB331_1084:                           ;   in Loop: Header=BB331_1075 Depth=1
	s_delay_alu instid0(SALU_CYCLE_1) | instskip(SKIP_2) | instid1(VALU_DEP_1)
	s_or_b32 exec_lo, exec_lo, s1
	v_lshrrev_b16 v2, 8, v52
	s_mov_b32 s1, exec_lo
	v_cmpx_ne_u16_e32 0, v2
	s_cbranch_execz .LBB331_1092
; %bb.1085:                             ;   in Loop: Header=BB331_1075 Depth=1
	v_bfrev_b32_e32 v1, 1
	s_mov_b32 s19, exec_lo
	v_cmpx_ne_u16_e32 0x80, v2
	s_cbranch_execz .LBB331_1091
; %bb.1086:                             ;   in Loop: Header=BB331_1075 Depth=1
	v_and_b32_e32 v3, 0xffff, v2
	v_mov_b32_e32 v1, 0x7f800001
	s_mov_b32 s20, exec_lo
	s_delay_alu instid0(VALU_DEP_2) | instskip(NEXT) | instid1(VALU_DEP_1)
	v_and_b32_e32 v2, 0x7f, v3
	v_cmpx_ne_u32_e32 0x7f, v2
	s_cbranch_execz .LBB331_1090
; %bb.1087:                             ;   in Loop: Header=BB331_1075 Depth=1
	v_dual_lshrrev_b32 v1, 3, v2 :: v_dual_bitop2_b32 v26, 7, v3 bitop3:0x40
	s_mov_b32 s21, exec_lo
	s_delay_alu instid0(VALU_DEP_1)
	v_mov_b64_e32 v[54:55], v[26:27]
	v_cmpx_gt_u32_e32 8, v2
; %bb.1088:                             ;   in Loop: Header=BB331_1075 Depth=1
	v_clz_i32_u32_e32 v1, v26
	s_delay_alu instid0(VALU_DEP_1) | instskip(NEXT) | instid1(VALU_DEP_1)
	v_min_u32_e32 v1, 32, v1
	v_subrev_nc_u32_e32 v2, 28, v1
	s_delay_alu instid0(VALU_DEP_1) | instskip(NEXT) | instid1(VALU_DEP_1)
	v_lshlrev_b64_e32 v[2:3], v2, v[26:27]
	v_dual_sub_nc_u32 v1, 29, v1 :: v_dual_bitop2_b32 v54, 7, v2 bitop3:0x40
; %bb.1089:                             ;   in Loop: Header=BB331_1075 Depth=1
	s_or_b32 exec_lo, exec_lo, s21
	s_delay_alu instid0(VALU_DEP_1) | instskip(NEXT) | instid1(VALU_DEP_2)
	v_dual_lshlrev_b32 v2, 16, v52 :: v_dual_lshlrev_b32 v3, 20, v54
	v_lshl_add_u32 v1, v1, 23, 0x3c000000
	s_delay_alu instid0(VALU_DEP_2) | instskip(NEXT) | instid1(VALU_DEP_1)
	v_and_b32_e32 v2, 0x80000000, v2
	v_or3_b32 v1, v3, v2, v1
.LBB331_1090:                           ;   in Loop: Header=BB331_1075 Depth=1
	s_or_b32 exec_lo, exec_lo, s20
.LBB331_1091:                           ;   in Loop: Header=BB331_1075 Depth=1
	s_delay_alu instid0(SALU_CYCLE_1)
	s_or_b32 exec_lo, exec_lo, s19
.LBB331_1092:                           ;   in Loop: Header=BB331_1075 Depth=1
	s_delay_alu instid0(SALU_CYCLE_1) | instskip(SKIP_3) | instid1(VALU_DEP_2)
	s_or_b32 exec_lo, exec_lo, s1
	v_dual_mov_b32 v3, 0 :: v_dual_lshrrev_b32 v4, 16, v52
	v_mov_b32_e32 v2, 0
	s_mov_b32 s1, exec_lo
	v_and_b32_e32 v5, 0xff, v4
	s_delay_alu instid0(VALU_DEP_1)
	v_cmpx_ne_u16_e32 0, v5
	s_cbranch_execz .LBB331_1100
; %bb.1093:                             ;   in Loop: Header=BB331_1075 Depth=1
	v_bfrev_b32_e32 v2, 1
	s_mov_b32 s19, exec_lo
	v_cmpx_ne_u16_e32 0x80, v5
	s_cbranch_execz .LBB331_1099
; %bb.1094:                             ;   in Loop: Header=BB331_1075 Depth=1
	v_bfe_u32 v5, v52, 16, 7
	v_mov_b32_e32 v2, 0x7f800001
	s_mov_b32 s20, exec_lo
	s_delay_alu instid0(VALU_DEP_2)
	v_cmpx_ne_u32_e32 0x7f, v5
	s_cbranch_execz .LBB331_1098
; %bb.1095:                             ;   in Loop: Header=BB331_1075 Depth=1
	v_dual_lshrrev_b32 v2, 3, v5 :: v_dual_bitop2_b32 v26, 7, v4 bitop3:0x40
	s_mov_b32 s21, exec_lo
	s_delay_alu instid0(VALU_DEP_1)
	v_mov_b64_e32 v[54:55], v[26:27]
	v_cmpx_gt_u32_e32 8, v5
; %bb.1096:                             ;   in Loop: Header=BB331_1075 Depth=1
	v_clz_i32_u32_e32 v2, v26
	s_delay_alu instid0(VALU_DEP_1) | instskip(NEXT) | instid1(VALU_DEP_1)
	v_min_u32_e32 v2, 32, v2
	v_subrev_nc_u32_e32 v5, 28, v2
	v_sub_nc_u32_e32 v2, 29, v2
	s_delay_alu instid0(VALU_DEP_2) | instskip(NEXT) | instid1(VALU_DEP_1)
	v_lshlrev_b64_e32 v[6:7], v5, v[26:27]
	v_and_b32_e32 v54, 7, v6
; %bb.1097:                             ;   in Loop: Header=BB331_1075 Depth=1
	s_or_b32 exec_lo, exec_lo, s21
	s_delay_alu instid0(VALU_DEP_1) | instskip(SKIP_1) | instid1(VALU_DEP_2)
	v_dual_lshlrev_b32 v4, 24, v4 :: v_dual_lshlrev_b32 v5, 20, v54
	v_lshl_add_u32 v2, v2, 23, 0x3c000000
	v_and_b32_e32 v4, 0x80000000, v4
	s_delay_alu instid0(VALU_DEP_1)
	v_or3_b32 v2, v5, v4, v2
.LBB331_1098:                           ;   in Loop: Header=BB331_1075 Depth=1
	s_or_b32 exec_lo, exec_lo, s20
.LBB331_1099:                           ;   in Loop: Header=BB331_1075 Depth=1
	s_delay_alu instid0(SALU_CYCLE_1)
	s_or_b32 exec_lo, exec_lo, s19
.LBB331_1100:                           ;   in Loop: Header=BB331_1075 Depth=1
	s_delay_alu instid0(SALU_CYCLE_1) | instskip(NEXT) | instid1(SALU_CYCLE_1)
	s_or_b32 exec_lo, exec_lo, s1
	s_mov_b32 s1, exec_lo
	v_cmpx_lt_u32_e32 0xffffff, v52
	s_cbranch_execz .LBB331_1108
; %bb.1101:                             ;   in Loop: Header=BB331_1075 Depth=1
	v_lshrrev_b32_e32 v4, 24, v52
	v_bfrev_b32_e32 v3, 1
	s_mov_b32 s19, exec_lo
	s_delay_alu instid0(VALU_DEP_2)
	v_cmpx_ne_u32_e32 0x80, v4
	s_cbranch_execz .LBB331_1107
; %bb.1102:                             ;   in Loop: Header=BB331_1075 Depth=1
	v_bfe_u32 v5, v52, 24, 7
	v_mov_b32_e32 v3, 0x7f800001
	s_mov_b32 s20, exec_lo
	s_delay_alu instid0(VALU_DEP_2)
	v_cmpx_ne_u32_e32 0x7f, v5
	s_cbranch_execz .LBB331_1106
; %bb.1103:                             ;   in Loop: Header=BB331_1075 Depth=1
	v_dual_lshrrev_b32 v3, 3, v5 :: v_dual_bitop2_b32 v26, 7, v4 bitop3:0x40
	s_mov_b32 s21, exec_lo
	s_delay_alu instid0(VALU_DEP_1)
	v_mov_b64_e32 v[54:55], v[26:27]
	v_cmpx_gt_u32_e32 8, v5
; %bb.1104:                             ;   in Loop: Header=BB331_1075 Depth=1
	v_clz_i32_u32_e32 v3, v26
	s_delay_alu instid0(VALU_DEP_1) | instskip(NEXT) | instid1(VALU_DEP_1)
	v_min_u32_e32 v3, 32, v3
	v_subrev_nc_u32_e32 v5, 28, v3
	s_delay_alu instid0(VALU_DEP_1) | instskip(NEXT) | instid1(VALU_DEP_1)
	v_lshlrev_b64_e32 v[6:7], v5, v[26:27]
	v_dual_sub_nc_u32 v3, 29, v3 :: v_dual_bitop2_b32 v54, 7, v6 bitop3:0x40
; %bb.1105:                             ;   in Loop: Header=BB331_1075 Depth=1
	s_or_b32 exec_lo, exec_lo, s21
	s_delay_alu instid0(VALU_DEP_1) | instskip(NEXT) | instid1(VALU_DEP_2)
	v_dual_lshlrev_b32 v4, 24, v4 :: v_dual_lshlrev_b32 v5, 20, v54
	v_lshl_add_u32 v3, v3, 23, 0x3c000000
	s_delay_alu instid0(VALU_DEP_2) | instskip(NEXT) | instid1(VALU_DEP_1)
	v_and_b32_e32 v4, 0x80000000, v4
	v_or3_b32 v3, v5, v4, v3
.LBB331_1106:                           ;   in Loop: Header=BB331_1075 Depth=1
	s_or_b32 exec_lo, exec_lo, s20
.LBB331_1107:                           ;   in Loop: Header=BB331_1075 Depth=1
	s_delay_alu instid0(SALU_CYCLE_1)
	s_or_b32 exec_lo, exec_lo, s19
.LBB331_1108:                           ;   in Loop: Header=BB331_1075 Depth=1
	s_delay_alu instid0(SALU_CYCLE_1) | instskip(SKIP_4) | instid1(VALU_DEP_3)
	s_or_b32 exec_lo, exec_lo, s1
	v_and_b32_e32 v6, 0xff, v53
	v_dual_mov_b32 v26, v53 :: v_dual_mov_b32 v5, 0
	v_mov_b32_e32 v4, 0
	s_mov_b32 s1, exec_lo
	v_cmpx_ne_u16_e32 0, v6
	s_cbranch_execz .LBB331_1116
; %bb.1109:                             ;   in Loop: Header=BB331_1075 Depth=1
	v_bfrev_b32_e32 v4, 1
	s_mov_b32 s19, exec_lo
	v_cmpx_ne_u16_e32 0x80, v6
	s_cbranch_execz .LBB331_1115
; %bb.1110:                             ;   in Loop: Header=BB331_1075 Depth=1
	v_and_b32_e32 v6, 0x7f, v53
	v_mov_b32_e32 v4, 0x7f800001
	s_mov_b32 s20, exec_lo
	s_delay_alu instid0(VALU_DEP_2)
	v_cmpx_ne_u32_e32 0x7f, v6
	s_cbranch_execz .LBB331_1114
; %bb.1111:                             ;   in Loop: Header=BB331_1075 Depth=1
	v_mov_b64_e32 v[54:55], v[26:27]
	v_lshrrev_b32_e32 v4, 3, v6
	s_mov_b32 s21, exec_lo
	v_cmpx_gt_u32_e32 8, v6
; %bb.1112:                             ;   in Loop: Header=BB331_1075 Depth=1
	v_and_b32_e32 v4, 7, v53
	s_delay_alu instid0(VALU_DEP_1) | instskip(NEXT) | instid1(VALU_DEP_1)
	v_clz_i32_u32_e32 v4, v4
	v_min_u32_e32 v4, 32, v4
	s_delay_alu instid0(VALU_DEP_1) | instskip(SKIP_1) | instid1(VALU_DEP_2)
	v_subrev_nc_u32_e32 v6, 28, v4
	v_sub_nc_u32_e32 v4, 29, v4
	v_lshlrev_b64_e32 v[54:55], v6, v[26:27]
; %bb.1113:                             ;   in Loop: Header=BB331_1075 Depth=1
	s_or_b32 exec_lo, exec_lo, s21
	s_delay_alu instid0(VALU_DEP_1) | instskip(SKIP_2) | instid1(VALU_DEP_3)
	v_lshlrev_b32_e32 v6, 20, v54
	v_lshlrev_b32_e32 v7, 24, v26
	v_lshl_add_u32 v4, v4, 23, 0x3c000000
	v_and_b32_e32 v6, 0x700000, v6
	s_delay_alu instid0(VALU_DEP_3) | instskip(NEXT) | instid1(VALU_DEP_1)
	v_and_b32_e32 v7, 0x80000000, v7
	v_or3_b32 v4, v6, v7, v4
.LBB331_1114:                           ;   in Loop: Header=BB331_1075 Depth=1
	s_or_b32 exec_lo, exec_lo, s20
.LBB331_1115:                           ;   in Loop: Header=BB331_1075 Depth=1
	s_delay_alu instid0(SALU_CYCLE_1)
	s_or_b32 exec_lo, exec_lo, s19
.LBB331_1116:                           ;   in Loop: Header=BB331_1075 Depth=1
	s_delay_alu instid0(SALU_CYCLE_1) | instskip(SKIP_2) | instid1(VALU_DEP_1)
	s_or_b32 exec_lo, exec_lo, s1
	v_lshrrev_b16 v6, 8, v26
	s_mov_b32 s1, exec_lo
	v_cmpx_ne_u16_e32 0, v6
	s_cbranch_execz .LBB331_1124
; %bb.1117:                             ;   in Loop: Header=BB331_1075 Depth=1
	v_bfrev_b32_e32 v5, 1
	s_mov_b32 s19, exec_lo
	v_cmpx_ne_u16_e32 0x80, v6
	s_cbranch_execz .LBB331_1123
; %bb.1118:                             ;   in Loop: Header=BB331_1075 Depth=1
	v_and_b32_e32 v7, 0xffff, v6
	v_mov_b32_e32 v5, 0x7f800001
	s_mov_b32 s20, exec_lo
	s_delay_alu instid0(VALU_DEP_2) | instskip(NEXT) | instid1(VALU_DEP_1)
	v_and_b32_e32 v6, 0x7f, v7
	v_cmpx_ne_u32_e32 0x7f, v6
	s_cbranch_execz .LBB331_1122
; %bb.1119:                             ;   in Loop: Header=BB331_1075 Depth=1
	v_dual_mov_b32 v55, v27 :: v_dual_bitop2_b32 v54, 7, v7 bitop3:0x40
	v_lshrrev_b32_e32 v5, 3, v6
	s_mov_b32 s21, exec_lo
	v_cmpx_gt_u32_e32 8, v6
; %bb.1120:                             ;   in Loop: Header=BB331_1075 Depth=1
	s_delay_alu instid0(VALU_DEP_3) | instskip(NEXT) | instid1(VALU_DEP_1)
	v_clz_i32_u32_e32 v5, v54
	v_min_u32_e32 v5, 32, v5
	s_delay_alu instid0(VALU_DEP_1) | instskip(NEXT) | instid1(VALU_DEP_1)
	v_subrev_nc_u32_e32 v6, 28, v5
	v_lshlrev_b64_e32 v[6:7], v6, v[54:55]
	s_delay_alu instid0(VALU_DEP_1)
	v_dual_sub_nc_u32 v5, 29, v5 :: v_dual_bitop2_b32 v54, 7, v6 bitop3:0x40
; %bb.1121:                             ;   in Loop: Header=BB331_1075 Depth=1
	s_or_b32 exec_lo, exec_lo, s21
	v_lshlrev_b32_e32 v6, 16, v26
	s_delay_alu instid0(VALU_DEP_2) | instskip(NEXT) | instid1(VALU_DEP_3)
	v_lshlrev_b32_e32 v7, 20, v54
	v_lshl_add_u32 v5, v5, 23, 0x3c000000
	s_delay_alu instid0(VALU_DEP_3) | instskip(NEXT) | instid1(VALU_DEP_1)
	v_and_b32_e32 v6, 0x80000000, v6
	v_or3_b32 v5, v7, v6, v5
.LBB331_1122:                           ;   in Loop: Header=BB331_1075 Depth=1
	s_or_b32 exec_lo, exec_lo, s20
.LBB331_1123:                           ;   in Loop: Header=BB331_1075 Depth=1
	s_delay_alu instid0(SALU_CYCLE_1)
	s_or_b32 exec_lo, exec_lo, s19
.LBB331_1124:                           ;   in Loop: Header=BB331_1075 Depth=1
	s_delay_alu instid0(SALU_CYCLE_1) | instskip(SKIP_3) | instid1(VALU_DEP_2)
	s_or_b32 exec_lo, exec_lo, s1
	v_dual_lshrrev_b32 v8, 16, v53 :: v_dual_mov_b32 v6, 0
	v_mov_b32_e32 v7, 0
	s_mov_b32 s1, exec_lo
	v_and_b32_e32 v9, 0xff, v8
	s_delay_alu instid0(VALU_DEP_1)
	v_cmpx_ne_u16_e32 0, v9
	s_cbranch_execz .LBB331_1132
; %bb.1125:                             ;   in Loop: Header=BB331_1075 Depth=1
	v_bfrev_b32_e32 v7, 1
	s_mov_b32 s19, exec_lo
	v_cmpx_ne_u16_e32 0x80, v9
	s_cbranch_execz .LBB331_1131
; %bb.1126:                             ;   in Loop: Header=BB331_1075 Depth=1
	v_bfe_u32 v9, v53, 16, 7
	v_mov_b32_e32 v7, 0x7f800001
	s_mov_b32 s20, exec_lo
	s_delay_alu instid0(VALU_DEP_2)
	v_cmpx_ne_u32_e32 0x7f, v9
	s_cbranch_execz .LBB331_1130
; %bb.1127:                             ;   in Loop: Header=BB331_1075 Depth=1
	v_dual_lshrrev_b32 v7, 3, v9 :: v_dual_bitop2_b32 v26, 7, v8 bitop3:0x40
	s_mov_b32 s21, exec_lo
	s_delay_alu instid0(VALU_DEP_1)
	v_mov_b64_e32 v[54:55], v[26:27]
	v_cmpx_gt_u32_e32 8, v9
; %bb.1128:                             ;   in Loop: Header=BB331_1075 Depth=1
	v_clz_i32_u32_e32 v7, v26
	s_delay_alu instid0(VALU_DEP_1) | instskip(NEXT) | instid1(VALU_DEP_1)
	v_min_u32_e32 v7, 32, v7
	v_subrev_nc_u32_e32 v9, 28, v7
	s_delay_alu instid0(VALU_DEP_1) | instskip(NEXT) | instid1(VALU_DEP_1)
	v_lshlrev_b64_e32 v[16:17], v9, v[26:27]
	v_dual_sub_nc_u32 v7, 29, v7 :: v_dual_bitop2_b32 v54, 7, v16 bitop3:0x40
; %bb.1129:                             ;   in Loop: Header=BB331_1075 Depth=1
	s_or_b32 exec_lo, exec_lo, s21
	s_delay_alu instid0(VALU_DEP_1) | instskip(NEXT) | instid1(VALU_DEP_2)
	v_dual_lshlrev_b32 v8, 24, v8 :: v_dual_lshlrev_b32 v9, 20, v54
	v_lshl_add_u32 v7, v7, 23, 0x3c000000
	s_delay_alu instid0(VALU_DEP_2) | instskip(NEXT) | instid1(VALU_DEP_1)
	v_and_b32_e32 v8, 0x80000000, v8
	v_or3_b32 v7, v9, v8, v7
.LBB331_1130:                           ;   in Loop: Header=BB331_1075 Depth=1
	s_or_b32 exec_lo, exec_lo, s20
.LBB331_1131:                           ;   in Loop: Header=BB331_1075 Depth=1
	s_delay_alu instid0(SALU_CYCLE_1)
	s_or_b32 exec_lo, exec_lo, s19
.LBB331_1132:                           ;   in Loop: Header=BB331_1075 Depth=1
	s_delay_alu instid0(SALU_CYCLE_1) | instskip(NEXT) | instid1(SALU_CYCLE_1)
	s_or_b32 exec_lo, exec_lo, s1
	s_mov_b32 s1, exec_lo
	v_cmpx_lt_u64_e64 s[2:3], v[52:53]
	s_cbranch_execz .LBB331_1140
; %bb.1133:                             ;   in Loop: Header=BB331_1075 Depth=1
	v_lshrrev_b32_e32 v8, 24, v53
	v_bfrev_b32_e32 v6, 1
	s_mov_b32 s19, exec_lo
	s_delay_alu instid0(VALU_DEP_2)
	v_cmpx_ne_u32_e32 0x80, v8
	s_cbranch_execz .LBB331_1139
; %bb.1134:                             ;   in Loop: Header=BB331_1075 Depth=1
	v_bfe_u32 v9, v53, 24, 7
	v_mov_b32_e32 v6, 0x7f800001
	s_mov_b32 s20, exec_lo
	s_delay_alu instid0(VALU_DEP_2)
	v_cmpx_ne_u32_e32 0x7f, v9
	s_cbranch_execz .LBB331_1138
; %bb.1135:                             ;   in Loop: Header=BB331_1075 Depth=1
	v_dual_lshrrev_b32 v6, 3, v9 :: v_dual_bitop2_b32 v26, 7, v8 bitop3:0x40
	s_mov_b32 s21, exec_lo
	s_delay_alu instid0(VALU_DEP_1)
	v_mov_b64_e32 v[52:53], v[26:27]
	v_cmpx_gt_u32_e32 8, v9
; %bb.1136:                             ;   in Loop: Header=BB331_1075 Depth=1
	v_clz_i32_u32_e32 v6, v26
	s_delay_alu instid0(VALU_DEP_1) | instskip(NEXT) | instid1(VALU_DEP_1)
	v_min_u32_e32 v6, 32, v6
	v_subrev_nc_u32_e32 v9, 28, v6
	s_delay_alu instid0(VALU_DEP_1) | instskip(NEXT) | instid1(VALU_DEP_1)
	v_lshlrev_b64_e32 v[16:17], v9, v[26:27]
	v_dual_sub_nc_u32 v6, 29, v6 :: v_dual_bitop2_b32 v52, 7, v16 bitop3:0x40
; %bb.1137:                             ;   in Loop: Header=BB331_1075 Depth=1
	s_or_b32 exec_lo, exec_lo, s21
	v_lshlrev_b32_e32 v8, 24, v8
	s_delay_alu instid0(VALU_DEP_2) | instskip(NEXT) | instid1(VALU_DEP_3)
	v_lshlrev_b32_e32 v9, 20, v52
	v_lshl_add_u32 v6, v6, 23, 0x3c000000
	s_delay_alu instid0(VALU_DEP_3) | instskip(NEXT) | instid1(VALU_DEP_1)
	v_and_b32_e32 v8, 0x80000000, v8
	v_or3_b32 v6, v9, v8, v6
.LBB331_1138:                           ;   in Loop: Header=BB331_1075 Depth=1
	s_or_b32 exec_lo, exec_lo, s20
.LBB331_1139:                           ;   in Loop: Header=BB331_1075 Depth=1
	s_delay_alu instid0(SALU_CYCLE_1)
	s_or_b32 exec_lo, exec_lo, s19
.LBB331_1140:                           ;   in Loop: Header=BB331_1075 Depth=1
	s_delay_alu instid0(SALU_CYCLE_1)
	s_or_b32 exec_lo, exec_lo, s1
	scratch_load_b32 v8, off, s32 offset:192 ; 4-byte Folded Reload
	s_wait_loadcnt 0x1
	v_fma_mixlo_bf16 v0, v118, v0, 0
	v_add_nc_u32_e32 v58, v104, v24
	v_fma_mixlo_bf16 v5, v118, v5, 0
	v_fma_mixlo_bf16 v4, v118, v4, 0
	;; [unrolled: 1-line block ×3, first 2 shown]
	scratch_store_b32 off, v0, s32 offset:244 ; 4-byte Folded Spill
	s_wait_xcnt 0x0
	v_fma_mixlo_bf16 v0, v118, v7, 0
	s_clause 0x1
	scratch_store_b32 off, v5, s32 offset:216
	scratch_store_b32 off, v4, s32 offset:220
	v_fma_mixlo_bf16 v2, v118, v2, 0
	v_fma_mixlo_bf16 v1, v118, v1, 0
	s_clause 0x1
	scratch_store_b32 off, v3, s32 offset:232
	scratch_store_b32 off, v0, s32 offset:224
	s_wait_xcnt 0x0
	v_fma_mixlo_bf16 v0, v118, v6, 0
	v_dual_add_nc_u32 v61, 2, v58 :: v_dual_add_nc_u32 v60, 3, v58
	v_dual_add_nc_u32 v59, 4, v58 :: v_dual_add_nc_u32 v57, 5, v58
	;; [unrolled: 1-line block ×3, first 2 shown]
	s_clause 0x2
	scratch_store_b32 off, v2, s32 offset:236
	scratch_store_b32 off, v0, s32 offset:228
	scratch_store_b32 off, v1, s32 offset:240
	s_wait_loadcnt 0x0
	v_dual_add_nc_u32 v62, 1, v58 :: v_dual_add_nc_u32 v8, -1, v8
	s_delay_alu instid0(VALU_DEP_1)
	v_cmp_eq_u32_e32 vcc_lo, v8, v64
	s_wait_xcnt 0x0
	s_and_saveexec_b32 s19, vcc_lo
	s_cbranch_execz .LBB331_1142
; %bb.1141:                             ;   in Loop: Header=BB331_1075 Depth=1
	scratch_load_b32 v0, off, s32 offset:244 ; 4-byte Folded Reload
	v_cmp_lt_i32_e64 s1, v58, v99
	s_wait_loadcnt 0x0
	s_delay_alu instid0(VALU_DEP_1)
	v_cndmask_b32_e64 v0, 0, v0, s1
	v_cmp_lt_i32_e64 s1, v62, v99
	s_clause 0x1
	scratch_store_b32 off, v0, s32 offset:244
	scratch_load_b32 v0, off, s32 offset:240
	s_wait_loadcnt 0x0
	v_cndmask_b32_e64 v0, 0, v0, s1
	v_cmp_lt_i32_e64 s1, v61, v99
	s_clause 0x1
	scratch_store_b32 off, v0, s32 offset:240
	scratch_load_b32 v0, off, s32 offset:236
	s_wait_loadcnt 0x0
	;; [unrolled: 6-line block ×7, first 2 shown]
	v_cndmask_b32_e64 v0, 0, v0, s1
	scratch_store_b32 off, v0, s32 offset:228 ; 4-byte Folded Spill
.LBB331_1142:                           ;   in Loop: Header=BB331_1075 Depth=1
	s_wait_xcnt 0x0
	s_or_b32 exec_lo, exec_lo, s19
	flat_load_b64 v[52:53], v[50:51] offset:256
	v_dual_mov_b32 v1, 0 :: v_dual_mov_b32 v0, 0
	s_mov_b32 s19, exec_lo
	s_wait_loadcnt_dscnt 0x0
	v_and_b32_e32 v2, 0xff, v52
	s_wait_xcnt 0x0
	s_delay_alu instid0(VALU_DEP_1)
	v_cmpx_ne_u16_e32 0, v2
	s_cbranch_execz .LBB331_1150
; %bb.1143:                             ;   in Loop: Header=BB331_1075 Depth=1
	v_bfrev_b32_e32 v0, 1
	s_mov_b32 s20, exec_lo
	v_cmpx_ne_u16_e32 0x80, v2
	s_cbranch_execz .LBB331_1149
; %bb.1144:                             ;   in Loop: Header=BB331_1075 Depth=1
	v_and_b32_e32 v2, 0x7f, v52
	v_mov_b32_e32 v0, 0x7f800001
	s_mov_b32 s21, exec_lo
	s_delay_alu instid0(VALU_DEP_2)
	v_cmpx_ne_u32_e32 0x7f, v2
	s_cbranch_execz .LBB331_1148
; %bb.1145:                             ;   in Loop: Header=BB331_1075 Depth=1
	v_mov_b64_e32 v[54:55], v[52:53]
	v_lshrrev_b32_e32 v0, 3, v2
	s_mov_b32 s22, exec_lo
	v_cmpx_gt_u32_e32 8, v2
; %bb.1146:                             ;   in Loop: Header=BB331_1075 Depth=1
	v_and_b32_e32 v0, 7, v52
	s_delay_alu instid0(VALU_DEP_1) | instskip(NEXT) | instid1(VALU_DEP_1)
	v_clz_i32_u32_e32 v0, v0
	v_min_u32_e32 v0, 32, v0
	s_delay_alu instid0(VALU_DEP_1) | instskip(SKIP_1) | instid1(VALU_DEP_2)
	v_subrev_nc_u32_e32 v2, 28, v0
	v_sub_nc_u32_e32 v0, 29, v0
	v_lshlrev_b64_e32 v[54:55], v2, v[52:53]
; %bb.1147:                             ;   in Loop: Header=BB331_1075 Depth=1
	s_or_b32 exec_lo, exec_lo, s22
	s_delay_alu instid0(VALU_DEP_1) | instskip(NEXT) | instid1(VALU_DEP_3)
	v_dual_lshlrev_b32 v2, 20, v54 :: v_dual_lshlrev_b32 v3, 24, v52
	v_lshl_add_u32 v0, v0, 23, 0x3c000000
	s_delay_alu instid0(VALU_DEP_2) | instskip(NEXT) | instid1(VALU_DEP_3)
	v_and_b32_e32 v2, 0x700000, v2
	v_and_b32_e32 v3, 0x80000000, v3
	s_delay_alu instid0(VALU_DEP_1)
	v_or3_b32 v0, v2, v3, v0
.LBB331_1148:                           ;   in Loop: Header=BB331_1075 Depth=1
	s_or_b32 exec_lo, exec_lo, s21
.LBB331_1149:                           ;   in Loop: Header=BB331_1075 Depth=1
	s_delay_alu instid0(SALU_CYCLE_1)
	s_or_b32 exec_lo, exec_lo, s20
.LBB331_1150:                           ;   in Loop: Header=BB331_1075 Depth=1
	s_delay_alu instid0(SALU_CYCLE_1) | instskip(SKIP_2) | instid1(VALU_DEP_1)
	s_or_b32 exec_lo, exec_lo, s19
	v_lshrrev_b16 v2, 8, v52
	s_mov_b32 s19, exec_lo
	v_cmpx_ne_u16_e32 0, v2
	s_cbranch_execz .LBB331_1158
; %bb.1151:                             ;   in Loop: Header=BB331_1075 Depth=1
	v_bfrev_b32_e32 v1, 1
	s_mov_b32 s20, exec_lo
	v_cmpx_ne_u16_e32 0x80, v2
	s_cbranch_execz .LBB331_1157
; %bb.1152:                             ;   in Loop: Header=BB331_1075 Depth=1
	v_and_b32_e32 v3, 0xffff, v2
	v_mov_b32_e32 v1, 0x7f800001
	s_mov_b32 s21, exec_lo
	s_delay_alu instid0(VALU_DEP_2) | instskip(NEXT) | instid1(VALU_DEP_1)
	v_and_b32_e32 v2, 0x7f, v3
	v_cmpx_ne_u32_e32 0x7f, v2
	s_cbranch_execz .LBB331_1156
; %bb.1153:                             ;   in Loop: Header=BB331_1075 Depth=1
	v_dual_lshrrev_b32 v1, 3, v2 :: v_dual_bitop2_b32 v26, 7, v3 bitop3:0x40
	s_mov_b32 s22, exec_lo
	s_delay_alu instid0(VALU_DEP_1)
	v_mov_b64_e32 v[54:55], v[26:27]
	v_cmpx_gt_u32_e32 8, v2
; %bb.1154:                             ;   in Loop: Header=BB331_1075 Depth=1
	v_clz_i32_u32_e32 v1, v26
	s_delay_alu instid0(VALU_DEP_1) | instskip(NEXT) | instid1(VALU_DEP_1)
	v_min_u32_e32 v1, 32, v1
	v_subrev_nc_u32_e32 v2, 28, v1
	s_delay_alu instid0(VALU_DEP_1) | instskip(NEXT) | instid1(VALU_DEP_1)
	v_lshlrev_b64_e32 v[2:3], v2, v[26:27]
	v_dual_sub_nc_u32 v1, 29, v1 :: v_dual_bitop2_b32 v54, 7, v2 bitop3:0x40
; %bb.1155:                             ;   in Loop: Header=BB331_1075 Depth=1
	s_or_b32 exec_lo, exec_lo, s22
	s_delay_alu instid0(VALU_DEP_1) | instskip(NEXT) | instid1(VALU_DEP_2)
	v_dual_lshlrev_b32 v2, 16, v52 :: v_dual_lshlrev_b32 v3, 20, v54
	v_lshl_add_u32 v1, v1, 23, 0x3c000000
	s_delay_alu instid0(VALU_DEP_2) | instskip(NEXT) | instid1(VALU_DEP_1)
	v_and_b32_e32 v2, 0x80000000, v2
	v_or3_b32 v1, v3, v2, v1
.LBB331_1156:                           ;   in Loop: Header=BB331_1075 Depth=1
	s_or_b32 exec_lo, exec_lo, s21
.LBB331_1157:                           ;   in Loop: Header=BB331_1075 Depth=1
	s_delay_alu instid0(SALU_CYCLE_1)
	s_or_b32 exec_lo, exec_lo, s20
.LBB331_1158:                           ;   in Loop: Header=BB331_1075 Depth=1
	s_delay_alu instid0(SALU_CYCLE_1) | instskip(SKIP_3) | instid1(VALU_DEP_2)
	s_or_b32 exec_lo, exec_lo, s19
	v_dual_mov_b32 v3, 0 :: v_dual_lshrrev_b32 v4, 16, v52
	v_mov_b32_e32 v2, 0
	s_mov_b32 s19, exec_lo
	v_and_b32_e32 v5, 0xff, v4
	s_delay_alu instid0(VALU_DEP_1)
	v_cmpx_ne_u16_e32 0, v5
	s_cbranch_execz .LBB331_1166
; %bb.1159:                             ;   in Loop: Header=BB331_1075 Depth=1
	v_bfrev_b32_e32 v2, 1
	s_mov_b32 s20, exec_lo
	v_cmpx_ne_u16_e32 0x80, v5
	s_cbranch_execz .LBB331_1165
; %bb.1160:                             ;   in Loop: Header=BB331_1075 Depth=1
	v_bfe_u32 v5, v52, 16, 7
	v_mov_b32_e32 v2, 0x7f800001
	s_mov_b32 s21, exec_lo
	s_delay_alu instid0(VALU_DEP_2)
	v_cmpx_ne_u32_e32 0x7f, v5
	s_cbranch_execz .LBB331_1164
; %bb.1161:                             ;   in Loop: Header=BB331_1075 Depth=1
	v_dual_lshrrev_b32 v2, 3, v5 :: v_dual_bitop2_b32 v26, 7, v4 bitop3:0x40
	s_mov_b32 s22, exec_lo
	s_delay_alu instid0(VALU_DEP_1)
	v_mov_b64_e32 v[54:55], v[26:27]
	v_cmpx_gt_u32_e32 8, v5
; %bb.1162:                             ;   in Loop: Header=BB331_1075 Depth=1
	v_clz_i32_u32_e32 v2, v26
	s_delay_alu instid0(VALU_DEP_1) | instskip(NEXT) | instid1(VALU_DEP_1)
	v_min_u32_e32 v2, 32, v2
	v_subrev_nc_u32_e32 v5, 28, v2
	v_sub_nc_u32_e32 v2, 29, v2
	s_delay_alu instid0(VALU_DEP_2) | instskip(NEXT) | instid1(VALU_DEP_1)
	v_lshlrev_b64_e32 v[6:7], v5, v[26:27]
	v_and_b32_e32 v54, 7, v6
; %bb.1163:                             ;   in Loop: Header=BB331_1075 Depth=1
	s_or_b32 exec_lo, exec_lo, s22
	s_delay_alu instid0(VALU_DEP_1) | instskip(SKIP_1) | instid1(VALU_DEP_2)
	v_dual_lshlrev_b32 v4, 24, v4 :: v_dual_lshlrev_b32 v5, 20, v54
	v_lshl_add_u32 v2, v2, 23, 0x3c000000
	v_and_b32_e32 v4, 0x80000000, v4
	s_delay_alu instid0(VALU_DEP_1)
	v_or3_b32 v2, v5, v4, v2
.LBB331_1164:                           ;   in Loop: Header=BB331_1075 Depth=1
	s_or_b32 exec_lo, exec_lo, s21
.LBB331_1165:                           ;   in Loop: Header=BB331_1075 Depth=1
	s_delay_alu instid0(SALU_CYCLE_1)
	s_or_b32 exec_lo, exec_lo, s20
.LBB331_1166:                           ;   in Loop: Header=BB331_1075 Depth=1
	s_delay_alu instid0(SALU_CYCLE_1) | instskip(NEXT) | instid1(SALU_CYCLE_1)
	s_or_b32 exec_lo, exec_lo, s19
	s_mov_b32 s19, exec_lo
	v_cmpx_lt_u32_e32 0xffffff, v52
	s_cbranch_execz .LBB331_1174
; %bb.1167:                             ;   in Loop: Header=BB331_1075 Depth=1
	v_lshrrev_b32_e32 v4, 24, v52
	v_bfrev_b32_e32 v3, 1
	s_mov_b32 s20, exec_lo
	s_delay_alu instid0(VALU_DEP_2)
	v_cmpx_ne_u32_e32 0x80, v4
	s_cbranch_execz .LBB331_1173
; %bb.1168:                             ;   in Loop: Header=BB331_1075 Depth=1
	v_bfe_u32 v5, v52, 24, 7
	v_mov_b32_e32 v3, 0x7f800001
	s_mov_b32 s21, exec_lo
	s_delay_alu instid0(VALU_DEP_2)
	v_cmpx_ne_u32_e32 0x7f, v5
	s_cbranch_execz .LBB331_1172
; %bb.1169:                             ;   in Loop: Header=BB331_1075 Depth=1
	v_dual_lshrrev_b32 v3, 3, v5 :: v_dual_bitop2_b32 v26, 7, v4 bitop3:0x40
	s_mov_b32 s22, exec_lo
	s_delay_alu instid0(VALU_DEP_1)
	v_mov_b64_e32 v[54:55], v[26:27]
	v_cmpx_gt_u32_e32 8, v5
; %bb.1170:                             ;   in Loop: Header=BB331_1075 Depth=1
	v_clz_i32_u32_e32 v3, v26
	s_delay_alu instid0(VALU_DEP_1) | instskip(NEXT) | instid1(VALU_DEP_1)
	v_min_u32_e32 v3, 32, v3
	v_subrev_nc_u32_e32 v5, 28, v3
	s_delay_alu instid0(VALU_DEP_1) | instskip(NEXT) | instid1(VALU_DEP_1)
	v_lshlrev_b64_e32 v[6:7], v5, v[26:27]
	v_dual_sub_nc_u32 v3, 29, v3 :: v_dual_bitop2_b32 v54, 7, v6 bitop3:0x40
; %bb.1171:                             ;   in Loop: Header=BB331_1075 Depth=1
	s_or_b32 exec_lo, exec_lo, s22
	s_delay_alu instid0(VALU_DEP_1) | instskip(NEXT) | instid1(VALU_DEP_2)
	v_dual_lshlrev_b32 v4, 24, v4 :: v_dual_lshlrev_b32 v5, 20, v54
	v_lshl_add_u32 v3, v3, 23, 0x3c000000
	s_delay_alu instid0(VALU_DEP_2) | instskip(NEXT) | instid1(VALU_DEP_1)
	v_and_b32_e32 v4, 0x80000000, v4
	v_or3_b32 v3, v5, v4, v3
.LBB331_1172:                           ;   in Loop: Header=BB331_1075 Depth=1
	s_or_b32 exec_lo, exec_lo, s21
.LBB331_1173:                           ;   in Loop: Header=BB331_1075 Depth=1
	s_delay_alu instid0(SALU_CYCLE_1)
	s_or_b32 exec_lo, exec_lo, s20
.LBB331_1174:                           ;   in Loop: Header=BB331_1075 Depth=1
	s_delay_alu instid0(SALU_CYCLE_1) | instskip(SKIP_4) | instid1(VALU_DEP_3)
	s_or_b32 exec_lo, exec_lo, s19
	v_and_b32_e32 v6, 0xff, v53
	v_dual_mov_b32 v26, v53 :: v_dual_mov_b32 v5, 0
	v_mov_b32_e32 v4, 0
	s_mov_b32 s19, exec_lo
	v_cmpx_ne_u16_e32 0, v6
	s_cbranch_execz .LBB331_1182
; %bb.1175:                             ;   in Loop: Header=BB331_1075 Depth=1
	v_bfrev_b32_e32 v4, 1
	s_mov_b32 s20, exec_lo
	v_cmpx_ne_u16_e32 0x80, v6
	s_cbranch_execz .LBB331_1181
; %bb.1176:                             ;   in Loop: Header=BB331_1075 Depth=1
	v_and_b32_e32 v6, 0x7f, v53
	v_mov_b32_e32 v4, 0x7f800001
	s_mov_b32 s21, exec_lo
	s_delay_alu instid0(VALU_DEP_2)
	v_cmpx_ne_u32_e32 0x7f, v6
	s_cbranch_execz .LBB331_1180
; %bb.1177:                             ;   in Loop: Header=BB331_1075 Depth=1
	v_mov_b64_e32 v[54:55], v[26:27]
	v_lshrrev_b32_e32 v4, 3, v6
	s_mov_b32 s22, exec_lo
	v_cmpx_gt_u32_e32 8, v6
; %bb.1178:                             ;   in Loop: Header=BB331_1075 Depth=1
	v_and_b32_e32 v4, 7, v53
	s_delay_alu instid0(VALU_DEP_1) | instskip(NEXT) | instid1(VALU_DEP_1)
	v_clz_i32_u32_e32 v4, v4
	v_min_u32_e32 v4, 32, v4
	s_delay_alu instid0(VALU_DEP_1) | instskip(SKIP_1) | instid1(VALU_DEP_2)
	v_subrev_nc_u32_e32 v6, 28, v4
	v_sub_nc_u32_e32 v4, 29, v4
	v_lshlrev_b64_e32 v[54:55], v6, v[26:27]
; %bb.1179:                             ;   in Loop: Header=BB331_1075 Depth=1
	s_or_b32 exec_lo, exec_lo, s22
	s_delay_alu instid0(VALU_DEP_1) | instskip(SKIP_2) | instid1(VALU_DEP_3)
	v_lshlrev_b32_e32 v6, 20, v54
	v_lshlrev_b32_e32 v7, 24, v26
	v_lshl_add_u32 v4, v4, 23, 0x3c000000
	v_and_b32_e32 v6, 0x700000, v6
	s_delay_alu instid0(VALU_DEP_3) | instskip(NEXT) | instid1(VALU_DEP_1)
	v_and_b32_e32 v7, 0x80000000, v7
	v_or3_b32 v4, v6, v7, v4
.LBB331_1180:                           ;   in Loop: Header=BB331_1075 Depth=1
	s_or_b32 exec_lo, exec_lo, s21
.LBB331_1181:                           ;   in Loop: Header=BB331_1075 Depth=1
	s_delay_alu instid0(SALU_CYCLE_1)
	s_or_b32 exec_lo, exec_lo, s20
.LBB331_1182:                           ;   in Loop: Header=BB331_1075 Depth=1
	s_delay_alu instid0(SALU_CYCLE_1) | instskip(SKIP_2) | instid1(VALU_DEP_1)
	s_or_b32 exec_lo, exec_lo, s19
	v_lshrrev_b16 v6, 8, v26
	s_mov_b32 s19, exec_lo
	v_cmpx_ne_u16_e32 0, v6
	s_cbranch_execz .LBB331_1190
; %bb.1183:                             ;   in Loop: Header=BB331_1075 Depth=1
	v_bfrev_b32_e32 v5, 1
	s_mov_b32 s20, exec_lo
	v_cmpx_ne_u16_e32 0x80, v6
	s_cbranch_execz .LBB331_1189
; %bb.1184:                             ;   in Loop: Header=BB331_1075 Depth=1
	v_and_b32_e32 v7, 0xffff, v6
	v_mov_b32_e32 v5, 0x7f800001
	s_mov_b32 s21, exec_lo
	s_delay_alu instid0(VALU_DEP_2) | instskip(NEXT) | instid1(VALU_DEP_1)
	v_and_b32_e32 v6, 0x7f, v7
	v_cmpx_ne_u32_e32 0x7f, v6
	s_cbranch_execz .LBB331_1188
; %bb.1185:                             ;   in Loop: Header=BB331_1075 Depth=1
	v_dual_mov_b32 v55, v27 :: v_dual_bitop2_b32 v54, 7, v7 bitop3:0x40
	v_lshrrev_b32_e32 v5, 3, v6
	s_mov_b32 s22, exec_lo
	v_cmpx_gt_u32_e32 8, v6
; %bb.1186:                             ;   in Loop: Header=BB331_1075 Depth=1
	s_delay_alu instid0(VALU_DEP_3) | instskip(NEXT) | instid1(VALU_DEP_1)
	v_clz_i32_u32_e32 v5, v54
	v_min_u32_e32 v5, 32, v5
	s_delay_alu instid0(VALU_DEP_1) | instskip(NEXT) | instid1(VALU_DEP_1)
	v_subrev_nc_u32_e32 v6, 28, v5
	v_lshlrev_b64_e32 v[6:7], v6, v[54:55]
	s_delay_alu instid0(VALU_DEP_1)
	v_dual_sub_nc_u32 v5, 29, v5 :: v_dual_bitop2_b32 v54, 7, v6 bitop3:0x40
; %bb.1187:                             ;   in Loop: Header=BB331_1075 Depth=1
	s_or_b32 exec_lo, exec_lo, s22
	v_lshlrev_b32_e32 v6, 16, v26
	s_delay_alu instid0(VALU_DEP_2) | instskip(NEXT) | instid1(VALU_DEP_3)
	v_lshlrev_b32_e32 v7, 20, v54
	v_lshl_add_u32 v5, v5, 23, 0x3c000000
	s_delay_alu instid0(VALU_DEP_3) | instskip(NEXT) | instid1(VALU_DEP_1)
	v_and_b32_e32 v6, 0x80000000, v6
	v_or3_b32 v5, v7, v6, v5
.LBB331_1188:                           ;   in Loop: Header=BB331_1075 Depth=1
	s_or_b32 exec_lo, exec_lo, s21
.LBB331_1189:                           ;   in Loop: Header=BB331_1075 Depth=1
	s_delay_alu instid0(SALU_CYCLE_1)
	s_or_b32 exec_lo, exec_lo, s20
.LBB331_1190:                           ;   in Loop: Header=BB331_1075 Depth=1
	s_delay_alu instid0(SALU_CYCLE_1) | instskip(SKIP_3) | instid1(VALU_DEP_2)
	s_or_b32 exec_lo, exec_lo, s19
	v_dual_lshrrev_b32 v8, 16, v53 :: v_dual_mov_b32 v6, 0
	v_mov_b32_e32 v7, 0
	s_mov_b32 s19, exec_lo
	v_and_b32_e32 v9, 0xff, v8
	s_delay_alu instid0(VALU_DEP_1)
	v_cmpx_ne_u16_e32 0, v9
	s_cbranch_execz .LBB331_1198
; %bb.1191:                             ;   in Loop: Header=BB331_1075 Depth=1
	v_bfrev_b32_e32 v7, 1
	s_mov_b32 s20, exec_lo
	v_cmpx_ne_u16_e32 0x80, v9
	s_cbranch_execz .LBB331_1197
; %bb.1192:                             ;   in Loop: Header=BB331_1075 Depth=1
	v_bfe_u32 v9, v53, 16, 7
	v_mov_b32_e32 v7, 0x7f800001
	s_mov_b32 s21, exec_lo
	s_delay_alu instid0(VALU_DEP_2)
	v_cmpx_ne_u32_e32 0x7f, v9
	s_cbranch_execz .LBB331_1196
; %bb.1193:                             ;   in Loop: Header=BB331_1075 Depth=1
	v_dual_lshrrev_b32 v7, 3, v9 :: v_dual_bitop2_b32 v26, 7, v8 bitop3:0x40
	s_mov_b32 s22, exec_lo
	s_delay_alu instid0(VALU_DEP_1)
	v_mov_b64_e32 v[54:55], v[26:27]
	v_cmpx_gt_u32_e32 8, v9
; %bb.1194:                             ;   in Loop: Header=BB331_1075 Depth=1
	v_clz_i32_u32_e32 v7, v26
	s_delay_alu instid0(VALU_DEP_1) | instskip(NEXT) | instid1(VALU_DEP_1)
	v_min_u32_e32 v7, 32, v7
	v_subrev_nc_u32_e32 v9, 28, v7
	s_delay_alu instid0(VALU_DEP_1) | instskip(NEXT) | instid1(VALU_DEP_1)
	v_lshlrev_b64_e32 v[16:17], v9, v[26:27]
	v_dual_sub_nc_u32 v7, 29, v7 :: v_dual_bitop2_b32 v54, 7, v16 bitop3:0x40
; %bb.1195:                             ;   in Loop: Header=BB331_1075 Depth=1
	s_or_b32 exec_lo, exec_lo, s22
	s_delay_alu instid0(VALU_DEP_1) | instskip(NEXT) | instid1(VALU_DEP_2)
	v_dual_lshlrev_b32 v8, 24, v8 :: v_dual_lshlrev_b32 v9, 20, v54
	v_lshl_add_u32 v7, v7, 23, 0x3c000000
	s_delay_alu instid0(VALU_DEP_2) | instskip(NEXT) | instid1(VALU_DEP_1)
	v_and_b32_e32 v8, 0x80000000, v8
	v_or3_b32 v7, v9, v8, v7
.LBB331_1196:                           ;   in Loop: Header=BB331_1075 Depth=1
	s_or_b32 exec_lo, exec_lo, s21
.LBB331_1197:                           ;   in Loop: Header=BB331_1075 Depth=1
	s_delay_alu instid0(SALU_CYCLE_1)
	s_or_b32 exec_lo, exec_lo, s20
.LBB331_1198:                           ;   in Loop: Header=BB331_1075 Depth=1
	s_delay_alu instid0(SALU_CYCLE_1) | instskip(NEXT) | instid1(SALU_CYCLE_1)
	s_or_b32 exec_lo, exec_lo, s19
	s_mov_b32 s19, exec_lo
	v_cmpx_lt_u64_e64 s[2:3], v[52:53]
	s_cbranch_execz .LBB331_1206
; %bb.1199:                             ;   in Loop: Header=BB331_1075 Depth=1
	v_lshrrev_b32_e32 v8, 24, v53
	v_bfrev_b32_e32 v6, 1
	s_mov_b32 s20, exec_lo
	s_delay_alu instid0(VALU_DEP_2)
	v_cmpx_ne_u32_e32 0x80, v8
	s_cbranch_execz .LBB331_1205
; %bb.1200:                             ;   in Loop: Header=BB331_1075 Depth=1
	v_bfe_u32 v9, v53, 24, 7
	v_mov_b32_e32 v6, 0x7f800001
	s_mov_b32 s21, exec_lo
	s_delay_alu instid0(VALU_DEP_2)
	v_cmpx_ne_u32_e32 0x7f, v9
	s_cbranch_execz .LBB331_1204
; %bb.1201:                             ;   in Loop: Header=BB331_1075 Depth=1
	v_dual_lshrrev_b32 v6, 3, v9 :: v_dual_bitop2_b32 v26, 7, v8 bitop3:0x40
	s_mov_b32 s22, exec_lo
	s_delay_alu instid0(VALU_DEP_1)
	v_mov_b64_e32 v[52:53], v[26:27]
	v_cmpx_gt_u32_e32 8, v9
; %bb.1202:                             ;   in Loop: Header=BB331_1075 Depth=1
	v_clz_i32_u32_e32 v6, v26
	s_delay_alu instid0(VALU_DEP_1) | instskip(NEXT) | instid1(VALU_DEP_1)
	v_min_u32_e32 v6, 32, v6
	v_subrev_nc_u32_e32 v9, 28, v6
	s_delay_alu instid0(VALU_DEP_1) | instskip(NEXT) | instid1(VALU_DEP_1)
	v_lshlrev_b64_e32 v[16:17], v9, v[26:27]
	v_dual_sub_nc_u32 v6, 29, v6 :: v_dual_bitop2_b32 v52, 7, v16 bitop3:0x40
; %bb.1203:                             ;   in Loop: Header=BB331_1075 Depth=1
	s_or_b32 exec_lo, exec_lo, s22
	v_lshlrev_b32_e32 v8, 24, v8
	s_delay_alu instid0(VALU_DEP_2) | instskip(NEXT) | instid1(VALU_DEP_3)
	v_lshlrev_b32_e32 v9, 20, v52
	v_lshl_add_u32 v6, v6, 23, 0x3c000000
	s_delay_alu instid0(VALU_DEP_3) | instskip(NEXT) | instid1(VALU_DEP_1)
	v_and_b32_e32 v8, 0x80000000, v8
	v_or3_b32 v6, v9, v8, v6
.LBB331_1204:                           ;   in Loop: Header=BB331_1075 Depth=1
	s_or_b32 exec_lo, exec_lo, s21
.LBB331_1205:                           ;   in Loop: Header=BB331_1075 Depth=1
	s_delay_alu instid0(SALU_CYCLE_1)
	s_or_b32 exec_lo, exec_lo, s20
.LBB331_1206:                           ;   in Loop: Header=BB331_1075 Depth=1
	s_delay_alu instid0(SALU_CYCLE_1)
	s_or_b32 exec_lo, exec_lo, s19
	v_fma_mixlo_bf16 v0, v118, v0, 0
	v_fma_mixlo_bf16 v5, v118, v5, 0
	;; [unrolled: 1-line block ×5, first 2 shown]
	scratch_store_b32 off, v0, s32 offset:276 ; 4-byte Folded Spill
	s_wait_xcnt 0x0
	v_fma_mixlo_bf16 v0, v118, v7, 0
	s_clause 0x1
	scratch_store_b32 off, v5, s32 offset:248
	scratch_store_b32 off, v4, s32 offset:252
	v_fma_mixlo_bf16 v1, v118, v1, 0
	s_clause 0x1
	scratch_store_b32 off, v3, s32 offset:264
	scratch_store_b32 off, v0, s32 offset:256
	s_wait_xcnt 0x0
	v_fma_mixlo_bf16 v0, v118, v6, 0
	s_clause 0x2
	scratch_store_b32 off, v2, s32 offset:268
	scratch_store_b32 off, v1, s32 offset:272
	;; [unrolled: 1-line block ×3, first 2 shown]
	s_wait_xcnt 0x0
	s_and_saveexec_b32 s19, vcc_lo
	s_cbranch_execz .LBB331_1208
; %bb.1207:                             ;   in Loop: Header=BB331_1075 Depth=1
	scratch_load_b32 v0, off, s32 offset:276 ; 4-byte Folded Reload
	v_cmp_lt_i32_e64 s1, v58, v99
	s_wait_loadcnt 0x0
	s_delay_alu instid0(VALU_DEP_1)
	v_cndmask_b32_e64 v0, 0, v0, s1
	v_cmp_lt_i32_e64 s1, v62, v99
	s_clause 0x1
	scratch_store_b32 off, v0, s32 offset:276
	scratch_load_b32 v0, off, s32 offset:272
	s_wait_loadcnt 0x0
	v_cndmask_b32_e64 v0, 0, v0, s1
	v_cmp_lt_i32_e64 s1, v61, v99
	s_clause 0x1
	scratch_store_b32 off, v0, s32 offset:272
	scratch_load_b32 v0, off, s32 offset:268
	s_wait_loadcnt 0x0
	;; [unrolled: 6-line block ×7, first 2 shown]
	v_cndmask_b32_e64 v0, 0, v0, s1
	scratch_store_b32 off, v0, s32 offset:260 ; 4-byte Folded Spill
.LBB331_1208:                           ;   in Loop: Header=BB331_1075 Depth=1
	s_wait_xcnt 0x0
	s_or_b32 exec_lo, exec_lo, s19
	flat_load_b64 v[52:53], v[50:51] offset:512
	v_dual_mov_b32 v1, 0 :: v_dual_mov_b32 v0, 0
	s_mov_b32 s19, exec_lo
	s_wait_loadcnt_dscnt 0x0
	v_and_b32_e32 v2, 0xff, v52
	s_wait_xcnt 0x0
	s_delay_alu instid0(VALU_DEP_1)
	v_cmpx_ne_u16_e32 0, v2
	s_cbranch_execz .LBB331_1216
; %bb.1209:                             ;   in Loop: Header=BB331_1075 Depth=1
	v_bfrev_b32_e32 v0, 1
	s_mov_b32 s20, exec_lo
	v_cmpx_ne_u16_e32 0x80, v2
	s_cbranch_execz .LBB331_1215
; %bb.1210:                             ;   in Loop: Header=BB331_1075 Depth=1
	v_and_b32_e32 v2, 0x7f, v52
	v_mov_b32_e32 v0, 0x7f800001
	s_mov_b32 s21, exec_lo
	s_delay_alu instid0(VALU_DEP_2)
	v_cmpx_ne_u32_e32 0x7f, v2
	s_cbranch_execz .LBB331_1214
; %bb.1211:                             ;   in Loop: Header=BB331_1075 Depth=1
	v_mov_b64_e32 v[54:55], v[52:53]
	v_lshrrev_b32_e32 v0, 3, v2
	s_mov_b32 s22, exec_lo
	v_cmpx_gt_u32_e32 8, v2
; %bb.1212:                             ;   in Loop: Header=BB331_1075 Depth=1
	v_and_b32_e32 v0, 7, v52
	s_delay_alu instid0(VALU_DEP_1) | instskip(NEXT) | instid1(VALU_DEP_1)
	v_clz_i32_u32_e32 v0, v0
	v_min_u32_e32 v0, 32, v0
	s_delay_alu instid0(VALU_DEP_1) | instskip(SKIP_1) | instid1(VALU_DEP_2)
	v_subrev_nc_u32_e32 v2, 28, v0
	v_sub_nc_u32_e32 v0, 29, v0
	v_lshlrev_b64_e32 v[54:55], v2, v[52:53]
; %bb.1213:                             ;   in Loop: Header=BB331_1075 Depth=1
	s_or_b32 exec_lo, exec_lo, s22
	s_delay_alu instid0(VALU_DEP_1) | instskip(NEXT) | instid1(VALU_DEP_3)
	v_dual_lshlrev_b32 v2, 20, v54 :: v_dual_lshlrev_b32 v3, 24, v52
	v_lshl_add_u32 v0, v0, 23, 0x3c000000
	s_delay_alu instid0(VALU_DEP_2) | instskip(NEXT) | instid1(VALU_DEP_3)
	v_and_b32_e32 v2, 0x700000, v2
	v_and_b32_e32 v3, 0x80000000, v3
	s_delay_alu instid0(VALU_DEP_1)
	v_or3_b32 v0, v2, v3, v0
.LBB331_1214:                           ;   in Loop: Header=BB331_1075 Depth=1
	s_or_b32 exec_lo, exec_lo, s21
.LBB331_1215:                           ;   in Loop: Header=BB331_1075 Depth=1
	s_delay_alu instid0(SALU_CYCLE_1)
	s_or_b32 exec_lo, exec_lo, s20
.LBB331_1216:                           ;   in Loop: Header=BB331_1075 Depth=1
	s_delay_alu instid0(SALU_CYCLE_1) | instskip(SKIP_2) | instid1(VALU_DEP_1)
	s_or_b32 exec_lo, exec_lo, s19
	v_lshrrev_b16 v2, 8, v52
	s_mov_b32 s19, exec_lo
	v_cmpx_ne_u16_e32 0, v2
	s_cbranch_execz .LBB331_1224
; %bb.1217:                             ;   in Loop: Header=BB331_1075 Depth=1
	v_bfrev_b32_e32 v1, 1
	s_mov_b32 s20, exec_lo
	v_cmpx_ne_u16_e32 0x80, v2
	s_cbranch_execz .LBB331_1223
; %bb.1218:                             ;   in Loop: Header=BB331_1075 Depth=1
	v_and_b32_e32 v3, 0xffff, v2
	v_mov_b32_e32 v1, 0x7f800001
	s_mov_b32 s21, exec_lo
	s_delay_alu instid0(VALU_DEP_2) | instskip(NEXT) | instid1(VALU_DEP_1)
	v_and_b32_e32 v2, 0x7f, v3
	v_cmpx_ne_u32_e32 0x7f, v2
	s_cbranch_execz .LBB331_1222
; %bb.1219:                             ;   in Loop: Header=BB331_1075 Depth=1
	v_dual_lshrrev_b32 v1, 3, v2 :: v_dual_bitop2_b32 v26, 7, v3 bitop3:0x40
	s_mov_b32 s22, exec_lo
	s_delay_alu instid0(VALU_DEP_1)
	v_mov_b64_e32 v[54:55], v[26:27]
	v_cmpx_gt_u32_e32 8, v2
; %bb.1220:                             ;   in Loop: Header=BB331_1075 Depth=1
	v_clz_i32_u32_e32 v1, v26
	s_delay_alu instid0(VALU_DEP_1) | instskip(NEXT) | instid1(VALU_DEP_1)
	v_min_u32_e32 v1, 32, v1
	v_subrev_nc_u32_e32 v2, 28, v1
	s_delay_alu instid0(VALU_DEP_1) | instskip(NEXT) | instid1(VALU_DEP_1)
	v_lshlrev_b64_e32 v[2:3], v2, v[26:27]
	v_dual_sub_nc_u32 v1, 29, v1 :: v_dual_bitop2_b32 v54, 7, v2 bitop3:0x40
; %bb.1221:                             ;   in Loop: Header=BB331_1075 Depth=1
	s_or_b32 exec_lo, exec_lo, s22
	s_delay_alu instid0(VALU_DEP_1) | instskip(NEXT) | instid1(VALU_DEP_2)
	v_dual_lshlrev_b32 v2, 16, v52 :: v_dual_lshlrev_b32 v3, 20, v54
	v_lshl_add_u32 v1, v1, 23, 0x3c000000
	s_delay_alu instid0(VALU_DEP_2) | instskip(NEXT) | instid1(VALU_DEP_1)
	v_and_b32_e32 v2, 0x80000000, v2
	v_or3_b32 v1, v3, v2, v1
.LBB331_1222:                           ;   in Loop: Header=BB331_1075 Depth=1
	s_or_b32 exec_lo, exec_lo, s21
.LBB331_1223:                           ;   in Loop: Header=BB331_1075 Depth=1
	s_delay_alu instid0(SALU_CYCLE_1)
	s_or_b32 exec_lo, exec_lo, s20
.LBB331_1224:                           ;   in Loop: Header=BB331_1075 Depth=1
	s_delay_alu instid0(SALU_CYCLE_1) | instskip(SKIP_3) | instid1(VALU_DEP_2)
	s_or_b32 exec_lo, exec_lo, s19
	v_dual_mov_b32 v3, 0 :: v_dual_lshrrev_b32 v4, 16, v52
	v_mov_b32_e32 v2, 0
	s_mov_b32 s19, exec_lo
	v_and_b32_e32 v5, 0xff, v4
	s_delay_alu instid0(VALU_DEP_1)
	v_cmpx_ne_u16_e32 0, v5
	s_cbranch_execz .LBB331_1232
; %bb.1225:                             ;   in Loop: Header=BB331_1075 Depth=1
	v_bfrev_b32_e32 v2, 1
	s_mov_b32 s20, exec_lo
	v_cmpx_ne_u16_e32 0x80, v5
	s_cbranch_execz .LBB331_1231
; %bb.1226:                             ;   in Loop: Header=BB331_1075 Depth=1
	v_bfe_u32 v5, v52, 16, 7
	v_mov_b32_e32 v2, 0x7f800001
	s_mov_b32 s21, exec_lo
	s_delay_alu instid0(VALU_DEP_2)
	v_cmpx_ne_u32_e32 0x7f, v5
	s_cbranch_execz .LBB331_1230
; %bb.1227:                             ;   in Loop: Header=BB331_1075 Depth=1
	v_dual_lshrrev_b32 v2, 3, v5 :: v_dual_bitop2_b32 v26, 7, v4 bitop3:0x40
	s_mov_b32 s22, exec_lo
	s_delay_alu instid0(VALU_DEP_1)
	v_mov_b64_e32 v[54:55], v[26:27]
	v_cmpx_gt_u32_e32 8, v5
; %bb.1228:                             ;   in Loop: Header=BB331_1075 Depth=1
	v_clz_i32_u32_e32 v2, v26
	s_delay_alu instid0(VALU_DEP_1) | instskip(NEXT) | instid1(VALU_DEP_1)
	v_min_u32_e32 v2, 32, v2
	v_subrev_nc_u32_e32 v5, 28, v2
	v_sub_nc_u32_e32 v2, 29, v2
	s_delay_alu instid0(VALU_DEP_2) | instskip(NEXT) | instid1(VALU_DEP_1)
	v_lshlrev_b64_e32 v[6:7], v5, v[26:27]
	v_and_b32_e32 v54, 7, v6
; %bb.1229:                             ;   in Loop: Header=BB331_1075 Depth=1
	s_or_b32 exec_lo, exec_lo, s22
	s_delay_alu instid0(VALU_DEP_1) | instskip(SKIP_1) | instid1(VALU_DEP_2)
	v_dual_lshlrev_b32 v4, 24, v4 :: v_dual_lshlrev_b32 v5, 20, v54
	v_lshl_add_u32 v2, v2, 23, 0x3c000000
	v_and_b32_e32 v4, 0x80000000, v4
	s_delay_alu instid0(VALU_DEP_1)
	v_or3_b32 v2, v5, v4, v2
.LBB331_1230:                           ;   in Loop: Header=BB331_1075 Depth=1
	s_or_b32 exec_lo, exec_lo, s21
.LBB331_1231:                           ;   in Loop: Header=BB331_1075 Depth=1
	s_delay_alu instid0(SALU_CYCLE_1)
	s_or_b32 exec_lo, exec_lo, s20
.LBB331_1232:                           ;   in Loop: Header=BB331_1075 Depth=1
	s_delay_alu instid0(SALU_CYCLE_1) | instskip(NEXT) | instid1(SALU_CYCLE_1)
	s_or_b32 exec_lo, exec_lo, s19
	s_mov_b32 s19, exec_lo
	v_cmpx_lt_u32_e32 0xffffff, v52
	s_cbranch_execz .LBB331_1240
; %bb.1233:                             ;   in Loop: Header=BB331_1075 Depth=1
	v_lshrrev_b32_e32 v4, 24, v52
	v_bfrev_b32_e32 v3, 1
	s_mov_b32 s20, exec_lo
	s_delay_alu instid0(VALU_DEP_2)
	v_cmpx_ne_u32_e32 0x80, v4
	s_cbranch_execz .LBB331_1239
; %bb.1234:                             ;   in Loop: Header=BB331_1075 Depth=1
	v_bfe_u32 v5, v52, 24, 7
	v_mov_b32_e32 v3, 0x7f800001
	s_mov_b32 s21, exec_lo
	s_delay_alu instid0(VALU_DEP_2)
	v_cmpx_ne_u32_e32 0x7f, v5
	s_cbranch_execz .LBB331_1238
; %bb.1235:                             ;   in Loop: Header=BB331_1075 Depth=1
	v_dual_lshrrev_b32 v3, 3, v5 :: v_dual_bitop2_b32 v26, 7, v4 bitop3:0x40
	s_mov_b32 s22, exec_lo
	s_delay_alu instid0(VALU_DEP_1)
	v_mov_b64_e32 v[54:55], v[26:27]
	v_cmpx_gt_u32_e32 8, v5
; %bb.1236:                             ;   in Loop: Header=BB331_1075 Depth=1
	v_clz_i32_u32_e32 v3, v26
	s_delay_alu instid0(VALU_DEP_1) | instskip(NEXT) | instid1(VALU_DEP_1)
	v_min_u32_e32 v3, 32, v3
	v_subrev_nc_u32_e32 v5, 28, v3
	s_delay_alu instid0(VALU_DEP_1) | instskip(NEXT) | instid1(VALU_DEP_1)
	v_lshlrev_b64_e32 v[6:7], v5, v[26:27]
	v_dual_sub_nc_u32 v3, 29, v3 :: v_dual_bitop2_b32 v54, 7, v6 bitop3:0x40
; %bb.1237:                             ;   in Loop: Header=BB331_1075 Depth=1
	s_or_b32 exec_lo, exec_lo, s22
	s_delay_alu instid0(VALU_DEP_1) | instskip(NEXT) | instid1(VALU_DEP_2)
	v_dual_lshlrev_b32 v4, 24, v4 :: v_dual_lshlrev_b32 v5, 20, v54
	v_lshl_add_u32 v3, v3, 23, 0x3c000000
	s_delay_alu instid0(VALU_DEP_2) | instskip(NEXT) | instid1(VALU_DEP_1)
	v_and_b32_e32 v4, 0x80000000, v4
	v_or3_b32 v3, v5, v4, v3
.LBB331_1238:                           ;   in Loop: Header=BB331_1075 Depth=1
	s_or_b32 exec_lo, exec_lo, s21
.LBB331_1239:                           ;   in Loop: Header=BB331_1075 Depth=1
	s_delay_alu instid0(SALU_CYCLE_1)
	s_or_b32 exec_lo, exec_lo, s20
.LBB331_1240:                           ;   in Loop: Header=BB331_1075 Depth=1
	s_delay_alu instid0(SALU_CYCLE_1) | instskip(SKIP_4) | instid1(VALU_DEP_3)
	s_or_b32 exec_lo, exec_lo, s19
	v_and_b32_e32 v6, 0xff, v53
	v_dual_mov_b32 v26, v53 :: v_dual_mov_b32 v5, 0
	v_mov_b32_e32 v4, 0
	s_mov_b32 s19, exec_lo
	v_cmpx_ne_u16_e32 0, v6
	s_cbranch_execz .LBB331_1248
; %bb.1241:                             ;   in Loop: Header=BB331_1075 Depth=1
	v_bfrev_b32_e32 v4, 1
	s_mov_b32 s20, exec_lo
	v_cmpx_ne_u16_e32 0x80, v6
	s_cbranch_execz .LBB331_1247
; %bb.1242:                             ;   in Loop: Header=BB331_1075 Depth=1
	v_and_b32_e32 v6, 0x7f, v53
	v_mov_b32_e32 v4, 0x7f800001
	s_mov_b32 s21, exec_lo
	s_delay_alu instid0(VALU_DEP_2)
	v_cmpx_ne_u32_e32 0x7f, v6
	s_cbranch_execz .LBB331_1246
; %bb.1243:                             ;   in Loop: Header=BB331_1075 Depth=1
	v_mov_b64_e32 v[54:55], v[26:27]
	v_lshrrev_b32_e32 v4, 3, v6
	s_mov_b32 s22, exec_lo
	v_cmpx_gt_u32_e32 8, v6
; %bb.1244:                             ;   in Loop: Header=BB331_1075 Depth=1
	v_and_b32_e32 v4, 7, v53
	s_delay_alu instid0(VALU_DEP_1) | instskip(NEXT) | instid1(VALU_DEP_1)
	v_clz_i32_u32_e32 v4, v4
	v_min_u32_e32 v4, 32, v4
	s_delay_alu instid0(VALU_DEP_1) | instskip(SKIP_1) | instid1(VALU_DEP_2)
	v_subrev_nc_u32_e32 v6, 28, v4
	v_sub_nc_u32_e32 v4, 29, v4
	v_lshlrev_b64_e32 v[54:55], v6, v[26:27]
; %bb.1245:                             ;   in Loop: Header=BB331_1075 Depth=1
	s_or_b32 exec_lo, exec_lo, s22
	s_delay_alu instid0(VALU_DEP_1) | instskip(SKIP_2) | instid1(VALU_DEP_3)
	v_lshlrev_b32_e32 v6, 20, v54
	v_lshlrev_b32_e32 v7, 24, v26
	v_lshl_add_u32 v4, v4, 23, 0x3c000000
	v_and_b32_e32 v6, 0x700000, v6
	s_delay_alu instid0(VALU_DEP_3) | instskip(NEXT) | instid1(VALU_DEP_1)
	v_and_b32_e32 v7, 0x80000000, v7
	v_or3_b32 v4, v6, v7, v4
.LBB331_1246:                           ;   in Loop: Header=BB331_1075 Depth=1
	s_or_b32 exec_lo, exec_lo, s21
.LBB331_1247:                           ;   in Loop: Header=BB331_1075 Depth=1
	s_delay_alu instid0(SALU_CYCLE_1)
	s_or_b32 exec_lo, exec_lo, s20
.LBB331_1248:                           ;   in Loop: Header=BB331_1075 Depth=1
	s_delay_alu instid0(SALU_CYCLE_1) | instskip(SKIP_2) | instid1(VALU_DEP_1)
	s_or_b32 exec_lo, exec_lo, s19
	v_lshrrev_b16 v6, 8, v26
	s_mov_b32 s19, exec_lo
	v_cmpx_ne_u16_e32 0, v6
	s_cbranch_execz .LBB331_1256
; %bb.1249:                             ;   in Loop: Header=BB331_1075 Depth=1
	v_bfrev_b32_e32 v5, 1
	s_mov_b32 s20, exec_lo
	v_cmpx_ne_u16_e32 0x80, v6
	s_cbranch_execz .LBB331_1255
; %bb.1250:                             ;   in Loop: Header=BB331_1075 Depth=1
	v_and_b32_e32 v7, 0xffff, v6
	v_mov_b32_e32 v5, 0x7f800001
	s_mov_b32 s21, exec_lo
	s_delay_alu instid0(VALU_DEP_2) | instskip(NEXT) | instid1(VALU_DEP_1)
	v_and_b32_e32 v6, 0x7f, v7
	v_cmpx_ne_u32_e32 0x7f, v6
	s_cbranch_execz .LBB331_1254
; %bb.1251:                             ;   in Loop: Header=BB331_1075 Depth=1
	v_dual_mov_b32 v55, v27 :: v_dual_bitop2_b32 v54, 7, v7 bitop3:0x40
	v_lshrrev_b32_e32 v5, 3, v6
	s_mov_b32 s22, exec_lo
	v_cmpx_gt_u32_e32 8, v6
; %bb.1252:                             ;   in Loop: Header=BB331_1075 Depth=1
	s_delay_alu instid0(VALU_DEP_3) | instskip(NEXT) | instid1(VALU_DEP_1)
	v_clz_i32_u32_e32 v5, v54
	v_min_u32_e32 v5, 32, v5
	s_delay_alu instid0(VALU_DEP_1) | instskip(NEXT) | instid1(VALU_DEP_1)
	v_subrev_nc_u32_e32 v6, 28, v5
	v_lshlrev_b64_e32 v[6:7], v6, v[54:55]
	s_delay_alu instid0(VALU_DEP_1)
	v_dual_sub_nc_u32 v5, 29, v5 :: v_dual_bitop2_b32 v54, 7, v6 bitop3:0x40
; %bb.1253:                             ;   in Loop: Header=BB331_1075 Depth=1
	s_or_b32 exec_lo, exec_lo, s22
	v_lshlrev_b32_e32 v6, 16, v26
	s_delay_alu instid0(VALU_DEP_2) | instskip(NEXT) | instid1(VALU_DEP_3)
	v_lshlrev_b32_e32 v7, 20, v54
	v_lshl_add_u32 v5, v5, 23, 0x3c000000
	s_delay_alu instid0(VALU_DEP_3) | instskip(NEXT) | instid1(VALU_DEP_1)
	v_and_b32_e32 v6, 0x80000000, v6
	v_or3_b32 v5, v7, v6, v5
.LBB331_1254:                           ;   in Loop: Header=BB331_1075 Depth=1
	s_or_b32 exec_lo, exec_lo, s21
.LBB331_1255:                           ;   in Loop: Header=BB331_1075 Depth=1
	s_delay_alu instid0(SALU_CYCLE_1)
	s_or_b32 exec_lo, exec_lo, s20
.LBB331_1256:                           ;   in Loop: Header=BB331_1075 Depth=1
	s_delay_alu instid0(SALU_CYCLE_1) | instskip(SKIP_3) | instid1(VALU_DEP_2)
	s_or_b32 exec_lo, exec_lo, s19
	v_dual_lshrrev_b32 v8, 16, v53 :: v_dual_mov_b32 v6, 0
	v_mov_b32_e32 v7, 0
	s_mov_b32 s19, exec_lo
	v_and_b32_e32 v9, 0xff, v8
	s_delay_alu instid0(VALU_DEP_1)
	v_cmpx_ne_u16_e32 0, v9
	s_cbranch_execz .LBB331_1264
; %bb.1257:                             ;   in Loop: Header=BB331_1075 Depth=1
	v_bfrev_b32_e32 v7, 1
	s_mov_b32 s20, exec_lo
	v_cmpx_ne_u16_e32 0x80, v9
	s_cbranch_execz .LBB331_1263
; %bb.1258:                             ;   in Loop: Header=BB331_1075 Depth=1
	v_bfe_u32 v9, v53, 16, 7
	v_mov_b32_e32 v7, 0x7f800001
	s_mov_b32 s21, exec_lo
	s_delay_alu instid0(VALU_DEP_2)
	v_cmpx_ne_u32_e32 0x7f, v9
	s_cbranch_execz .LBB331_1262
; %bb.1259:                             ;   in Loop: Header=BB331_1075 Depth=1
	v_dual_lshrrev_b32 v7, 3, v9 :: v_dual_bitop2_b32 v26, 7, v8 bitop3:0x40
	s_mov_b32 s22, exec_lo
	s_delay_alu instid0(VALU_DEP_1)
	v_mov_b64_e32 v[54:55], v[26:27]
	v_cmpx_gt_u32_e32 8, v9
; %bb.1260:                             ;   in Loop: Header=BB331_1075 Depth=1
	v_clz_i32_u32_e32 v7, v26
	s_delay_alu instid0(VALU_DEP_1) | instskip(NEXT) | instid1(VALU_DEP_1)
	v_min_u32_e32 v7, 32, v7
	v_subrev_nc_u32_e32 v9, 28, v7
	s_delay_alu instid0(VALU_DEP_1) | instskip(NEXT) | instid1(VALU_DEP_1)
	v_lshlrev_b64_e32 v[16:17], v9, v[26:27]
	v_dual_sub_nc_u32 v7, 29, v7 :: v_dual_bitop2_b32 v54, 7, v16 bitop3:0x40
; %bb.1261:                             ;   in Loop: Header=BB331_1075 Depth=1
	s_or_b32 exec_lo, exec_lo, s22
	s_delay_alu instid0(VALU_DEP_1) | instskip(NEXT) | instid1(VALU_DEP_2)
	v_dual_lshlrev_b32 v8, 24, v8 :: v_dual_lshlrev_b32 v9, 20, v54
	v_lshl_add_u32 v7, v7, 23, 0x3c000000
	s_delay_alu instid0(VALU_DEP_2) | instskip(NEXT) | instid1(VALU_DEP_1)
	v_and_b32_e32 v8, 0x80000000, v8
	v_or3_b32 v7, v9, v8, v7
.LBB331_1262:                           ;   in Loop: Header=BB331_1075 Depth=1
	s_or_b32 exec_lo, exec_lo, s21
.LBB331_1263:                           ;   in Loop: Header=BB331_1075 Depth=1
	s_delay_alu instid0(SALU_CYCLE_1)
	s_or_b32 exec_lo, exec_lo, s20
.LBB331_1264:                           ;   in Loop: Header=BB331_1075 Depth=1
	s_delay_alu instid0(SALU_CYCLE_1) | instskip(NEXT) | instid1(SALU_CYCLE_1)
	s_or_b32 exec_lo, exec_lo, s19
	s_mov_b32 s19, exec_lo
	v_cmpx_lt_u64_e64 s[2:3], v[52:53]
	s_cbranch_execz .LBB331_1272
; %bb.1265:                             ;   in Loop: Header=BB331_1075 Depth=1
	v_lshrrev_b32_e32 v8, 24, v53
	v_bfrev_b32_e32 v6, 1
	s_mov_b32 s20, exec_lo
	s_delay_alu instid0(VALU_DEP_2)
	v_cmpx_ne_u32_e32 0x80, v8
	s_cbranch_execz .LBB331_1271
; %bb.1266:                             ;   in Loop: Header=BB331_1075 Depth=1
	v_bfe_u32 v9, v53, 24, 7
	v_mov_b32_e32 v6, 0x7f800001
	s_mov_b32 s21, exec_lo
	s_delay_alu instid0(VALU_DEP_2)
	v_cmpx_ne_u32_e32 0x7f, v9
	s_cbranch_execz .LBB331_1270
; %bb.1267:                             ;   in Loop: Header=BB331_1075 Depth=1
	v_dual_lshrrev_b32 v6, 3, v9 :: v_dual_bitop2_b32 v26, 7, v8 bitop3:0x40
	s_mov_b32 s22, exec_lo
	s_delay_alu instid0(VALU_DEP_1)
	v_mov_b64_e32 v[52:53], v[26:27]
	v_cmpx_gt_u32_e32 8, v9
; %bb.1268:                             ;   in Loop: Header=BB331_1075 Depth=1
	v_clz_i32_u32_e32 v6, v26
	s_delay_alu instid0(VALU_DEP_1) | instskip(NEXT) | instid1(VALU_DEP_1)
	v_min_u32_e32 v6, 32, v6
	v_subrev_nc_u32_e32 v9, 28, v6
	s_delay_alu instid0(VALU_DEP_1) | instskip(NEXT) | instid1(VALU_DEP_1)
	v_lshlrev_b64_e32 v[16:17], v9, v[26:27]
	v_dual_sub_nc_u32 v6, 29, v6 :: v_dual_bitop2_b32 v52, 7, v16 bitop3:0x40
; %bb.1269:                             ;   in Loop: Header=BB331_1075 Depth=1
	s_or_b32 exec_lo, exec_lo, s22
	v_lshlrev_b32_e32 v8, 24, v8
	s_delay_alu instid0(VALU_DEP_2) | instskip(NEXT) | instid1(VALU_DEP_3)
	v_lshlrev_b32_e32 v9, 20, v52
	v_lshl_add_u32 v6, v6, 23, 0x3c000000
	s_delay_alu instid0(VALU_DEP_3) | instskip(NEXT) | instid1(VALU_DEP_1)
	v_and_b32_e32 v8, 0x80000000, v8
	v_or3_b32 v6, v9, v8, v6
.LBB331_1270:                           ;   in Loop: Header=BB331_1075 Depth=1
	s_or_b32 exec_lo, exec_lo, s21
.LBB331_1271:                           ;   in Loop: Header=BB331_1075 Depth=1
	s_delay_alu instid0(SALU_CYCLE_1)
	s_or_b32 exec_lo, exec_lo, s20
.LBB331_1272:                           ;   in Loop: Header=BB331_1075 Depth=1
	s_delay_alu instid0(SALU_CYCLE_1)
	s_or_b32 exec_lo, exec_lo, s19
	v_fma_mixlo_bf16 v0, v118, v0, 0
	v_fma_mixlo_bf16 v5, v118, v5, 0
	;; [unrolled: 1-line block ×5, first 2 shown]
	scratch_store_b32 off, v0, s32 offset:308 ; 4-byte Folded Spill
	s_wait_xcnt 0x0
	v_fma_mixlo_bf16 v0, v118, v7, 0
	s_clause 0x1
	scratch_store_b32 off, v5, s32 offset:280
	scratch_store_b32 off, v4, s32 offset:284
	v_fma_mixlo_bf16 v1, v118, v1, 0
	s_clause 0x1
	scratch_store_b32 off, v3, s32 offset:296
	scratch_store_b32 off, v0, s32 offset:288
	s_wait_xcnt 0x0
	v_fma_mixlo_bf16 v0, v118, v6, 0
	s_clause 0x2
	scratch_store_b32 off, v2, s32 offset:300
	scratch_store_b32 off, v1, s32 offset:304
	;; [unrolled: 1-line block ×3, first 2 shown]
	s_wait_xcnt 0x0
	s_and_saveexec_b32 s19, vcc_lo
	s_cbranch_execz .LBB331_1274
; %bb.1273:                             ;   in Loop: Header=BB331_1075 Depth=1
	scratch_load_b32 v0, off, s32 offset:308 ; 4-byte Folded Reload
	v_cmp_lt_i32_e64 s1, v58, v99
	s_wait_loadcnt 0x0
	s_delay_alu instid0(VALU_DEP_1)
	v_cndmask_b32_e64 v0, 0, v0, s1
	v_cmp_lt_i32_e64 s1, v62, v99
	s_clause 0x1
	scratch_store_b32 off, v0, s32 offset:308
	scratch_load_b32 v0, off, s32 offset:304
	s_wait_loadcnt 0x0
	v_cndmask_b32_e64 v0, 0, v0, s1
	v_cmp_lt_i32_e64 s1, v61, v99
	s_clause 0x1
	scratch_store_b32 off, v0, s32 offset:304
	scratch_load_b32 v0, off, s32 offset:300
	s_wait_loadcnt 0x0
	;; [unrolled: 6-line block ×7, first 2 shown]
	v_cndmask_b32_e64 v0, 0, v0, s1
	scratch_store_b32 off, v0, s32 offset:292 ; 4-byte Folded Spill
.LBB331_1274:                           ;   in Loop: Header=BB331_1075 Depth=1
	s_wait_xcnt 0x0
	s_or_b32 exec_lo, exec_lo, s19
	flat_load_b64 v[52:53], v[50:51] offset:768
	v_dual_mov_b32 v1, 0 :: v_dual_mov_b32 v0, 0
	s_mov_b32 s19, exec_lo
	s_wait_loadcnt_dscnt 0x0
	v_and_b32_e32 v2, 0xff, v52
	s_wait_xcnt 0x0
	s_delay_alu instid0(VALU_DEP_1)
	v_cmpx_ne_u16_e32 0, v2
	s_cbranch_execz .LBB331_1282
; %bb.1275:                             ;   in Loop: Header=BB331_1075 Depth=1
	v_bfrev_b32_e32 v0, 1
	s_mov_b32 s20, exec_lo
	v_cmpx_ne_u16_e32 0x80, v2
	s_cbranch_execz .LBB331_1281
; %bb.1276:                             ;   in Loop: Header=BB331_1075 Depth=1
	v_and_b32_e32 v2, 0x7f, v52
	v_mov_b32_e32 v0, 0x7f800001
	s_mov_b32 s21, exec_lo
	s_delay_alu instid0(VALU_DEP_2)
	v_cmpx_ne_u32_e32 0x7f, v2
	s_cbranch_execz .LBB331_1280
; %bb.1277:                             ;   in Loop: Header=BB331_1075 Depth=1
	v_mov_b64_e32 v[54:55], v[52:53]
	v_lshrrev_b32_e32 v0, 3, v2
	s_mov_b32 s22, exec_lo
	v_cmpx_gt_u32_e32 8, v2
; %bb.1278:                             ;   in Loop: Header=BB331_1075 Depth=1
	v_and_b32_e32 v0, 7, v52
	s_delay_alu instid0(VALU_DEP_1) | instskip(NEXT) | instid1(VALU_DEP_1)
	v_clz_i32_u32_e32 v0, v0
	v_min_u32_e32 v0, 32, v0
	s_delay_alu instid0(VALU_DEP_1) | instskip(SKIP_1) | instid1(VALU_DEP_2)
	v_subrev_nc_u32_e32 v2, 28, v0
	v_sub_nc_u32_e32 v0, 29, v0
	v_lshlrev_b64_e32 v[54:55], v2, v[52:53]
; %bb.1279:                             ;   in Loop: Header=BB331_1075 Depth=1
	s_or_b32 exec_lo, exec_lo, s22
	s_delay_alu instid0(VALU_DEP_1) | instskip(NEXT) | instid1(VALU_DEP_3)
	v_dual_lshlrev_b32 v2, 20, v54 :: v_dual_lshlrev_b32 v3, 24, v52
	v_lshl_add_u32 v0, v0, 23, 0x3c000000
	s_delay_alu instid0(VALU_DEP_2) | instskip(NEXT) | instid1(VALU_DEP_3)
	v_and_b32_e32 v2, 0x700000, v2
	v_and_b32_e32 v3, 0x80000000, v3
	s_delay_alu instid0(VALU_DEP_1)
	v_or3_b32 v0, v2, v3, v0
.LBB331_1280:                           ;   in Loop: Header=BB331_1075 Depth=1
	s_or_b32 exec_lo, exec_lo, s21
.LBB331_1281:                           ;   in Loop: Header=BB331_1075 Depth=1
	s_delay_alu instid0(SALU_CYCLE_1)
	s_or_b32 exec_lo, exec_lo, s20
.LBB331_1282:                           ;   in Loop: Header=BB331_1075 Depth=1
	s_delay_alu instid0(SALU_CYCLE_1) | instskip(SKIP_2) | instid1(VALU_DEP_1)
	s_or_b32 exec_lo, exec_lo, s19
	v_lshrrev_b16 v2, 8, v52
	s_mov_b32 s19, exec_lo
	v_cmpx_ne_u16_e32 0, v2
	s_cbranch_execz .LBB331_1290
; %bb.1283:                             ;   in Loop: Header=BB331_1075 Depth=1
	v_bfrev_b32_e32 v1, 1
	s_mov_b32 s20, exec_lo
	v_cmpx_ne_u16_e32 0x80, v2
	s_cbranch_execz .LBB331_1289
; %bb.1284:                             ;   in Loop: Header=BB331_1075 Depth=1
	v_and_b32_e32 v3, 0xffff, v2
	v_mov_b32_e32 v1, 0x7f800001
	s_mov_b32 s21, exec_lo
	s_delay_alu instid0(VALU_DEP_2) | instskip(NEXT) | instid1(VALU_DEP_1)
	v_and_b32_e32 v2, 0x7f, v3
	v_cmpx_ne_u32_e32 0x7f, v2
	s_cbranch_execz .LBB331_1288
; %bb.1285:                             ;   in Loop: Header=BB331_1075 Depth=1
	v_dual_lshrrev_b32 v1, 3, v2 :: v_dual_bitop2_b32 v26, 7, v3 bitop3:0x40
	s_mov_b32 s22, exec_lo
	s_delay_alu instid0(VALU_DEP_1)
	v_mov_b64_e32 v[54:55], v[26:27]
	v_cmpx_gt_u32_e32 8, v2
; %bb.1286:                             ;   in Loop: Header=BB331_1075 Depth=1
	v_clz_i32_u32_e32 v1, v26
	s_delay_alu instid0(VALU_DEP_1) | instskip(NEXT) | instid1(VALU_DEP_1)
	v_min_u32_e32 v1, 32, v1
	v_subrev_nc_u32_e32 v2, 28, v1
	s_delay_alu instid0(VALU_DEP_1) | instskip(NEXT) | instid1(VALU_DEP_1)
	v_lshlrev_b64_e32 v[2:3], v2, v[26:27]
	v_dual_sub_nc_u32 v1, 29, v1 :: v_dual_bitop2_b32 v54, 7, v2 bitop3:0x40
; %bb.1287:                             ;   in Loop: Header=BB331_1075 Depth=1
	s_or_b32 exec_lo, exec_lo, s22
	s_delay_alu instid0(VALU_DEP_1) | instskip(NEXT) | instid1(VALU_DEP_2)
	v_dual_lshlrev_b32 v2, 16, v52 :: v_dual_lshlrev_b32 v3, 20, v54
	v_lshl_add_u32 v1, v1, 23, 0x3c000000
	s_delay_alu instid0(VALU_DEP_2) | instskip(NEXT) | instid1(VALU_DEP_1)
	v_and_b32_e32 v2, 0x80000000, v2
	v_or3_b32 v1, v3, v2, v1
.LBB331_1288:                           ;   in Loop: Header=BB331_1075 Depth=1
	s_or_b32 exec_lo, exec_lo, s21
.LBB331_1289:                           ;   in Loop: Header=BB331_1075 Depth=1
	s_delay_alu instid0(SALU_CYCLE_1)
	s_or_b32 exec_lo, exec_lo, s20
.LBB331_1290:                           ;   in Loop: Header=BB331_1075 Depth=1
	s_delay_alu instid0(SALU_CYCLE_1) | instskip(SKIP_3) | instid1(VALU_DEP_2)
	s_or_b32 exec_lo, exec_lo, s19
	v_dual_mov_b32 v3, 0 :: v_dual_lshrrev_b32 v4, 16, v52
	v_mov_b32_e32 v2, 0
	s_mov_b32 s19, exec_lo
	v_and_b32_e32 v5, 0xff, v4
	s_delay_alu instid0(VALU_DEP_1)
	v_cmpx_ne_u16_e32 0, v5
	s_cbranch_execz .LBB331_1298
; %bb.1291:                             ;   in Loop: Header=BB331_1075 Depth=1
	v_bfrev_b32_e32 v2, 1
	s_mov_b32 s20, exec_lo
	v_cmpx_ne_u16_e32 0x80, v5
	s_cbranch_execz .LBB331_1297
; %bb.1292:                             ;   in Loop: Header=BB331_1075 Depth=1
	v_bfe_u32 v5, v52, 16, 7
	v_mov_b32_e32 v2, 0x7f800001
	s_mov_b32 s21, exec_lo
	s_delay_alu instid0(VALU_DEP_2)
	v_cmpx_ne_u32_e32 0x7f, v5
	s_cbranch_execz .LBB331_1296
; %bb.1293:                             ;   in Loop: Header=BB331_1075 Depth=1
	v_dual_lshrrev_b32 v2, 3, v5 :: v_dual_bitop2_b32 v26, 7, v4 bitop3:0x40
	s_mov_b32 s22, exec_lo
	s_delay_alu instid0(VALU_DEP_1)
	v_mov_b64_e32 v[54:55], v[26:27]
	v_cmpx_gt_u32_e32 8, v5
; %bb.1294:                             ;   in Loop: Header=BB331_1075 Depth=1
	v_clz_i32_u32_e32 v2, v26
	s_delay_alu instid0(VALU_DEP_1) | instskip(NEXT) | instid1(VALU_DEP_1)
	v_min_u32_e32 v2, 32, v2
	v_subrev_nc_u32_e32 v5, 28, v2
	v_sub_nc_u32_e32 v2, 29, v2
	s_delay_alu instid0(VALU_DEP_2) | instskip(NEXT) | instid1(VALU_DEP_1)
	v_lshlrev_b64_e32 v[6:7], v5, v[26:27]
	v_and_b32_e32 v54, 7, v6
; %bb.1295:                             ;   in Loop: Header=BB331_1075 Depth=1
	s_or_b32 exec_lo, exec_lo, s22
	s_delay_alu instid0(VALU_DEP_1) | instskip(SKIP_1) | instid1(VALU_DEP_2)
	v_dual_lshlrev_b32 v4, 24, v4 :: v_dual_lshlrev_b32 v5, 20, v54
	v_lshl_add_u32 v2, v2, 23, 0x3c000000
	v_and_b32_e32 v4, 0x80000000, v4
	s_delay_alu instid0(VALU_DEP_1)
	v_or3_b32 v2, v5, v4, v2
.LBB331_1296:                           ;   in Loop: Header=BB331_1075 Depth=1
	s_or_b32 exec_lo, exec_lo, s21
.LBB331_1297:                           ;   in Loop: Header=BB331_1075 Depth=1
	s_delay_alu instid0(SALU_CYCLE_1)
	s_or_b32 exec_lo, exec_lo, s20
.LBB331_1298:                           ;   in Loop: Header=BB331_1075 Depth=1
	s_delay_alu instid0(SALU_CYCLE_1) | instskip(NEXT) | instid1(SALU_CYCLE_1)
	s_or_b32 exec_lo, exec_lo, s19
	s_mov_b32 s19, exec_lo
	v_cmpx_lt_u32_e32 0xffffff, v52
	s_cbranch_execz .LBB331_1306
; %bb.1299:                             ;   in Loop: Header=BB331_1075 Depth=1
	v_lshrrev_b32_e32 v4, 24, v52
	v_bfrev_b32_e32 v3, 1
	s_mov_b32 s20, exec_lo
	s_delay_alu instid0(VALU_DEP_2)
	v_cmpx_ne_u32_e32 0x80, v4
	s_cbranch_execz .LBB331_1305
; %bb.1300:                             ;   in Loop: Header=BB331_1075 Depth=1
	v_bfe_u32 v5, v52, 24, 7
	v_mov_b32_e32 v3, 0x7f800001
	s_mov_b32 s21, exec_lo
	s_delay_alu instid0(VALU_DEP_2)
	v_cmpx_ne_u32_e32 0x7f, v5
	s_cbranch_execz .LBB331_1304
; %bb.1301:                             ;   in Loop: Header=BB331_1075 Depth=1
	v_dual_lshrrev_b32 v3, 3, v5 :: v_dual_bitop2_b32 v26, 7, v4 bitop3:0x40
	s_mov_b32 s22, exec_lo
	s_delay_alu instid0(VALU_DEP_1)
	v_mov_b64_e32 v[54:55], v[26:27]
	v_cmpx_gt_u32_e32 8, v5
; %bb.1302:                             ;   in Loop: Header=BB331_1075 Depth=1
	v_clz_i32_u32_e32 v3, v26
	s_delay_alu instid0(VALU_DEP_1) | instskip(NEXT) | instid1(VALU_DEP_1)
	v_min_u32_e32 v3, 32, v3
	v_subrev_nc_u32_e32 v5, 28, v3
	s_delay_alu instid0(VALU_DEP_1) | instskip(NEXT) | instid1(VALU_DEP_1)
	v_lshlrev_b64_e32 v[6:7], v5, v[26:27]
	v_dual_sub_nc_u32 v3, 29, v3 :: v_dual_bitop2_b32 v54, 7, v6 bitop3:0x40
; %bb.1303:                             ;   in Loop: Header=BB331_1075 Depth=1
	s_or_b32 exec_lo, exec_lo, s22
	s_delay_alu instid0(VALU_DEP_1) | instskip(NEXT) | instid1(VALU_DEP_2)
	v_dual_lshlrev_b32 v4, 24, v4 :: v_dual_lshlrev_b32 v5, 20, v54
	v_lshl_add_u32 v3, v3, 23, 0x3c000000
	s_delay_alu instid0(VALU_DEP_2) | instskip(NEXT) | instid1(VALU_DEP_1)
	v_and_b32_e32 v4, 0x80000000, v4
	v_or3_b32 v3, v5, v4, v3
.LBB331_1304:                           ;   in Loop: Header=BB331_1075 Depth=1
	s_or_b32 exec_lo, exec_lo, s21
.LBB331_1305:                           ;   in Loop: Header=BB331_1075 Depth=1
	s_delay_alu instid0(SALU_CYCLE_1)
	s_or_b32 exec_lo, exec_lo, s20
.LBB331_1306:                           ;   in Loop: Header=BB331_1075 Depth=1
	s_delay_alu instid0(SALU_CYCLE_1) | instskip(SKIP_4) | instid1(VALU_DEP_3)
	s_or_b32 exec_lo, exec_lo, s19
	v_and_b32_e32 v6, 0xff, v53
	v_dual_mov_b32 v26, v53 :: v_dual_mov_b32 v5, 0
	v_mov_b32_e32 v4, 0
	s_mov_b32 s19, exec_lo
	v_cmpx_ne_u16_e32 0, v6
	s_cbranch_execz .LBB331_1314
; %bb.1307:                             ;   in Loop: Header=BB331_1075 Depth=1
	v_bfrev_b32_e32 v4, 1
	s_mov_b32 s20, exec_lo
	v_cmpx_ne_u16_e32 0x80, v6
	s_cbranch_execz .LBB331_1313
; %bb.1308:                             ;   in Loop: Header=BB331_1075 Depth=1
	v_and_b32_e32 v6, 0x7f, v53
	v_mov_b32_e32 v4, 0x7f800001
	s_mov_b32 s21, exec_lo
	s_delay_alu instid0(VALU_DEP_2)
	v_cmpx_ne_u32_e32 0x7f, v6
	s_cbranch_execz .LBB331_1312
; %bb.1309:                             ;   in Loop: Header=BB331_1075 Depth=1
	v_mov_b64_e32 v[54:55], v[26:27]
	v_lshrrev_b32_e32 v4, 3, v6
	s_mov_b32 s22, exec_lo
	v_cmpx_gt_u32_e32 8, v6
; %bb.1310:                             ;   in Loop: Header=BB331_1075 Depth=1
	v_and_b32_e32 v4, 7, v53
	s_delay_alu instid0(VALU_DEP_1) | instskip(NEXT) | instid1(VALU_DEP_1)
	v_clz_i32_u32_e32 v4, v4
	v_min_u32_e32 v4, 32, v4
	s_delay_alu instid0(VALU_DEP_1) | instskip(SKIP_1) | instid1(VALU_DEP_2)
	v_subrev_nc_u32_e32 v6, 28, v4
	v_sub_nc_u32_e32 v4, 29, v4
	v_lshlrev_b64_e32 v[54:55], v6, v[26:27]
; %bb.1311:                             ;   in Loop: Header=BB331_1075 Depth=1
	s_or_b32 exec_lo, exec_lo, s22
	s_delay_alu instid0(VALU_DEP_1) | instskip(SKIP_2) | instid1(VALU_DEP_3)
	v_lshlrev_b32_e32 v6, 20, v54
	v_lshlrev_b32_e32 v7, 24, v26
	v_lshl_add_u32 v4, v4, 23, 0x3c000000
	v_and_b32_e32 v6, 0x700000, v6
	s_delay_alu instid0(VALU_DEP_3) | instskip(NEXT) | instid1(VALU_DEP_1)
	v_and_b32_e32 v7, 0x80000000, v7
	v_or3_b32 v4, v6, v7, v4
.LBB331_1312:                           ;   in Loop: Header=BB331_1075 Depth=1
	s_or_b32 exec_lo, exec_lo, s21
.LBB331_1313:                           ;   in Loop: Header=BB331_1075 Depth=1
	s_delay_alu instid0(SALU_CYCLE_1)
	s_or_b32 exec_lo, exec_lo, s20
.LBB331_1314:                           ;   in Loop: Header=BB331_1075 Depth=1
	s_delay_alu instid0(SALU_CYCLE_1) | instskip(SKIP_2) | instid1(VALU_DEP_1)
	s_or_b32 exec_lo, exec_lo, s19
	v_lshrrev_b16 v6, 8, v26
	s_mov_b32 s19, exec_lo
	v_cmpx_ne_u16_e32 0, v6
	s_cbranch_execz .LBB331_1322
; %bb.1315:                             ;   in Loop: Header=BB331_1075 Depth=1
	v_bfrev_b32_e32 v5, 1
	s_mov_b32 s20, exec_lo
	v_cmpx_ne_u16_e32 0x80, v6
	s_cbranch_execz .LBB331_1321
; %bb.1316:                             ;   in Loop: Header=BB331_1075 Depth=1
	v_and_b32_e32 v7, 0xffff, v6
	v_mov_b32_e32 v5, 0x7f800001
	s_mov_b32 s21, exec_lo
	s_delay_alu instid0(VALU_DEP_2) | instskip(NEXT) | instid1(VALU_DEP_1)
	v_and_b32_e32 v6, 0x7f, v7
	v_cmpx_ne_u32_e32 0x7f, v6
	s_cbranch_execz .LBB331_1320
; %bb.1317:                             ;   in Loop: Header=BB331_1075 Depth=1
	v_dual_mov_b32 v55, v27 :: v_dual_bitop2_b32 v54, 7, v7 bitop3:0x40
	v_lshrrev_b32_e32 v5, 3, v6
	s_mov_b32 s22, exec_lo
	v_cmpx_gt_u32_e32 8, v6
; %bb.1318:                             ;   in Loop: Header=BB331_1075 Depth=1
	s_delay_alu instid0(VALU_DEP_3) | instskip(NEXT) | instid1(VALU_DEP_1)
	v_clz_i32_u32_e32 v5, v54
	v_min_u32_e32 v5, 32, v5
	s_delay_alu instid0(VALU_DEP_1) | instskip(NEXT) | instid1(VALU_DEP_1)
	v_subrev_nc_u32_e32 v6, 28, v5
	v_lshlrev_b64_e32 v[6:7], v6, v[54:55]
	s_delay_alu instid0(VALU_DEP_1)
	v_dual_sub_nc_u32 v5, 29, v5 :: v_dual_bitop2_b32 v54, 7, v6 bitop3:0x40
; %bb.1319:                             ;   in Loop: Header=BB331_1075 Depth=1
	s_or_b32 exec_lo, exec_lo, s22
	v_lshlrev_b32_e32 v6, 16, v26
	s_delay_alu instid0(VALU_DEP_2) | instskip(NEXT) | instid1(VALU_DEP_3)
	v_lshlrev_b32_e32 v7, 20, v54
	v_lshl_add_u32 v5, v5, 23, 0x3c000000
	s_delay_alu instid0(VALU_DEP_3) | instskip(NEXT) | instid1(VALU_DEP_1)
	v_and_b32_e32 v6, 0x80000000, v6
	v_or3_b32 v5, v7, v6, v5
.LBB331_1320:                           ;   in Loop: Header=BB331_1075 Depth=1
	s_or_b32 exec_lo, exec_lo, s21
.LBB331_1321:                           ;   in Loop: Header=BB331_1075 Depth=1
	s_delay_alu instid0(SALU_CYCLE_1)
	s_or_b32 exec_lo, exec_lo, s20
.LBB331_1322:                           ;   in Loop: Header=BB331_1075 Depth=1
	s_delay_alu instid0(SALU_CYCLE_1) | instskip(SKIP_3) | instid1(VALU_DEP_2)
	s_or_b32 exec_lo, exec_lo, s19
	v_dual_lshrrev_b32 v8, 16, v53 :: v_dual_mov_b32 v6, 0
	v_mov_b32_e32 v7, 0
	s_mov_b32 s19, exec_lo
	v_and_b32_e32 v9, 0xff, v8
	s_delay_alu instid0(VALU_DEP_1)
	v_cmpx_ne_u16_e32 0, v9
	s_cbranch_execz .LBB331_1330
; %bb.1323:                             ;   in Loop: Header=BB331_1075 Depth=1
	v_bfrev_b32_e32 v7, 1
	s_mov_b32 s20, exec_lo
	v_cmpx_ne_u16_e32 0x80, v9
	s_cbranch_execz .LBB331_1329
; %bb.1324:                             ;   in Loop: Header=BB331_1075 Depth=1
	v_bfe_u32 v9, v53, 16, 7
	v_mov_b32_e32 v7, 0x7f800001
	s_mov_b32 s21, exec_lo
	s_delay_alu instid0(VALU_DEP_2)
	v_cmpx_ne_u32_e32 0x7f, v9
	s_cbranch_execz .LBB331_1328
; %bb.1325:                             ;   in Loop: Header=BB331_1075 Depth=1
	v_dual_lshrrev_b32 v7, 3, v9 :: v_dual_bitop2_b32 v26, 7, v8 bitop3:0x40
	s_mov_b32 s22, exec_lo
	s_delay_alu instid0(VALU_DEP_1)
	v_mov_b64_e32 v[54:55], v[26:27]
	v_cmpx_gt_u32_e32 8, v9
; %bb.1326:                             ;   in Loop: Header=BB331_1075 Depth=1
	v_clz_i32_u32_e32 v7, v26
	s_delay_alu instid0(VALU_DEP_1) | instskip(NEXT) | instid1(VALU_DEP_1)
	v_min_u32_e32 v7, 32, v7
	v_subrev_nc_u32_e32 v9, 28, v7
	s_delay_alu instid0(VALU_DEP_1) | instskip(NEXT) | instid1(VALU_DEP_1)
	v_lshlrev_b64_e32 v[16:17], v9, v[26:27]
	v_dual_sub_nc_u32 v7, 29, v7 :: v_dual_bitop2_b32 v54, 7, v16 bitop3:0x40
; %bb.1327:                             ;   in Loop: Header=BB331_1075 Depth=1
	s_or_b32 exec_lo, exec_lo, s22
	s_delay_alu instid0(VALU_DEP_1) | instskip(NEXT) | instid1(VALU_DEP_2)
	v_dual_lshlrev_b32 v8, 24, v8 :: v_dual_lshlrev_b32 v9, 20, v54
	v_lshl_add_u32 v7, v7, 23, 0x3c000000
	s_delay_alu instid0(VALU_DEP_2) | instskip(NEXT) | instid1(VALU_DEP_1)
	v_and_b32_e32 v8, 0x80000000, v8
	v_or3_b32 v7, v9, v8, v7
.LBB331_1328:                           ;   in Loop: Header=BB331_1075 Depth=1
	s_or_b32 exec_lo, exec_lo, s21
.LBB331_1329:                           ;   in Loop: Header=BB331_1075 Depth=1
	s_delay_alu instid0(SALU_CYCLE_1)
	s_or_b32 exec_lo, exec_lo, s20
.LBB331_1330:                           ;   in Loop: Header=BB331_1075 Depth=1
	s_delay_alu instid0(SALU_CYCLE_1) | instskip(NEXT) | instid1(SALU_CYCLE_1)
	s_or_b32 exec_lo, exec_lo, s19
	s_mov_b32 s19, exec_lo
	v_cmpx_lt_u64_e64 s[2:3], v[52:53]
	s_cbranch_execz .LBB331_1338
; %bb.1331:                             ;   in Loop: Header=BB331_1075 Depth=1
	v_lshrrev_b32_e32 v8, 24, v53
	v_bfrev_b32_e32 v6, 1
	s_mov_b32 s20, exec_lo
	s_delay_alu instid0(VALU_DEP_2)
	v_cmpx_ne_u32_e32 0x80, v8
	s_cbranch_execz .LBB331_1337
; %bb.1332:                             ;   in Loop: Header=BB331_1075 Depth=1
	v_bfe_u32 v9, v53, 24, 7
	v_mov_b32_e32 v6, 0x7f800001
	s_mov_b32 s21, exec_lo
	s_delay_alu instid0(VALU_DEP_2)
	v_cmpx_ne_u32_e32 0x7f, v9
	s_cbranch_execz .LBB331_1336
; %bb.1333:                             ;   in Loop: Header=BB331_1075 Depth=1
	v_dual_lshrrev_b32 v6, 3, v9 :: v_dual_bitop2_b32 v26, 7, v8 bitop3:0x40
	s_mov_b32 s22, exec_lo
	s_delay_alu instid0(VALU_DEP_1)
	v_mov_b64_e32 v[52:53], v[26:27]
	v_cmpx_gt_u32_e32 8, v9
; %bb.1334:                             ;   in Loop: Header=BB331_1075 Depth=1
	v_clz_i32_u32_e32 v6, v26
	s_delay_alu instid0(VALU_DEP_1) | instskip(NEXT) | instid1(VALU_DEP_1)
	v_min_u32_e32 v6, 32, v6
	v_subrev_nc_u32_e32 v9, 28, v6
	s_delay_alu instid0(VALU_DEP_1) | instskip(NEXT) | instid1(VALU_DEP_1)
	v_lshlrev_b64_e32 v[16:17], v9, v[26:27]
	v_dual_sub_nc_u32 v6, 29, v6 :: v_dual_bitop2_b32 v52, 7, v16 bitop3:0x40
; %bb.1335:                             ;   in Loop: Header=BB331_1075 Depth=1
	s_or_b32 exec_lo, exec_lo, s22
	v_lshlrev_b32_e32 v8, 24, v8
	s_delay_alu instid0(VALU_DEP_2) | instskip(NEXT) | instid1(VALU_DEP_3)
	v_lshlrev_b32_e32 v9, 20, v52
	v_lshl_add_u32 v6, v6, 23, 0x3c000000
	s_delay_alu instid0(VALU_DEP_3) | instskip(NEXT) | instid1(VALU_DEP_1)
	v_and_b32_e32 v8, 0x80000000, v8
	v_or3_b32 v6, v9, v8, v6
.LBB331_1336:                           ;   in Loop: Header=BB331_1075 Depth=1
	s_or_b32 exec_lo, exec_lo, s21
.LBB331_1337:                           ;   in Loop: Header=BB331_1075 Depth=1
	s_delay_alu instid0(SALU_CYCLE_1)
	s_or_b32 exec_lo, exec_lo, s20
.LBB331_1338:                           ;   in Loop: Header=BB331_1075 Depth=1
	s_delay_alu instid0(SALU_CYCLE_1)
	s_or_b32 exec_lo, exec_lo, s19
	v_fma_mixlo_bf16 v0, v118, v0, 0
	v_fma_mixlo_bf16 v5, v118, v5, 0
	;; [unrolled: 1-line block ×5, first 2 shown]
	scratch_store_b32 off, v0, s32 offset:340 ; 4-byte Folded Spill
	s_wait_xcnt 0x0
	v_fma_mixlo_bf16 v0, v118, v7, 0
	s_clause 0x1
	scratch_store_b32 off, v5, s32 offset:312
	scratch_store_b32 off, v4, s32 offset:316
	v_fma_mixlo_bf16 v1, v118, v1, 0
	s_clause 0x1
	scratch_store_b32 off, v3, s32 offset:328
	scratch_store_b32 off, v0, s32 offset:320
	s_wait_xcnt 0x0
	v_fma_mixlo_bf16 v0, v118, v6, 0
	s_clause 0x2
	scratch_store_b32 off, v2, s32 offset:332
	scratch_store_b32 off, v1, s32 offset:336
	;; [unrolled: 1-line block ×3, first 2 shown]
	s_wait_xcnt 0x0
	s_and_saveexec_b32 s19, vcc_lo
	s_cbranch_execz .LBB331_1340
; %bb.1339:                             ;   in Loop: Header=BB331_1075 Depth=1
	scratch_load_b32 v0, off, s32 offset:340 ; 4-byte Folded Reload
	v_cmp_lt_i32_e64 s1, v58, v99
	s_wait_loadcnt 0x0
	s_delay_alu instid0(VALU_DEP_1)
	v_cndmask_b32_e64 v0, 0, v0, s1
	v_cmp_lt_i32_e64 s1, v62, v99
	s_clause 0x1
	scratch_store_b32 off, v0, s32 offset:340
	scratch_load_b32 v0, off, s32 offset:336
	s_wait_loadcnt 0x0
	v_cndmask_b32_e64 v0, 0, v0, s1
	v_cmp_lt_i32_e64 s1, v61, v99
	s_clause 0x1
	scratch_store_b32 off, v0, s32 offset:336
	scratch_load_b32 v0, off, s32 offset:332
	s_wait_loadcnt 0x0
	;; [unrolled: 6-line block ×7, first 2 shown]
	v_cndmask_b32_e64 v0, 0, v0, s1
	scratch_store_b32 off, v0, s32 offset:324 ; 4-byte Folded Spill
.LBB331_1340:                           ;   in Loop: Header=BB331_1075 Depth=1
	s_wait_xcnt 0x0
	s_or_b32 exec_lo, exec_lo, s19
	flat_load_b64 v[52:53], v[50:51] offset:1024
	v_dual_mov_b32 v1, 0 :: v_dual_mov_b32 v0, 0
	s_mov_b32 s19, exec_lo
	s_wait_loadcnt_dscnt 0x0
	v_and_b32_e32 v2, 0xff, v52
	s_wait_xcnt 0x0
	s_delay_alu instid0(VALU_DEP_1)
	v_cmpx_ne_u16_e32 0, v2
	s_cbranch_execz .LBB331_1348
; %bb.1341:                             ;   in Loop: Header=BB331_1075 Depth=1
	v_bfrev_b32_e32 v0, 1
	s_mov_b32 s20, exec_lo
	v_cmpx_ne_u16_e32 0x80, v2
	s_cbranch_execz .LBB331_1347
; %bb.1342:                             ;   in Loop: Header=BB331_1075 Depth=1
	v_and_b32_e32 v2, 0x7f, v52
	v_mov_b32_e32 v0, 0x7f800001
	s_mov_b32 s21, exec_lo
	s_delay_alu instid0(VALU_DEP_2)
	v_cmpx_ne_u32_e32 0x7f, v2
	s_cbranch_execz .LBB331_1346
; %bb.1343:                             ;   in Loop: Header=BB331_1075 Depth=1
	v_mov_b64_e32 v[54:55], v[52:53]
	v_lshrrev_b32_e32 v0, 3, v2
	s_mov_b32 s22, exec_lo
	v_cmpx_gt_u32_e32 8, v2
; %bb.1344:                             ;   in Loop: Header=BB331_1075 Depth=1
	v_and_b32_e32 v0, 7, v52
	s_delay_alu instid0(VALU_DEP_1) | instskip(NEXT) | instid1(VALU_DEP_1)
	v_clz_i32_u32_e32 v0, v0
	v_min_u32_e32 v0, 32, v0
	s_delay_alu instid0(VALU_DEP_1) | instskip(SKIP_1) | instid1(VALU_DEP_2)
	v_subrev_nc_u32_e32 v2, 28, v0
	v_sub_nc_u32_e32 v0, 29, v0
	v_lshlrev_b64_e32 v[54:55], v2, v[52:53]
; %bb.1345:                             ;   in Loop: Header=BB331_1075 Depth=1
	s_or_b32 exec_lo, exec_lo, s22
	s_delay_alu instid0(VALU_DEP_1) | instskip(NEXT) | instid1(VALU_DEP_3)
	v_dual_lshlrev_b32 v2, 20, v54 :: v_dual_lshlrev_b32 v3, 24, v52
	v_lshl_add_u32 v0, v0, 23, 0x3c000000
	s_delay_alu instid0(VALU_DEP_2) | instskip(NEXT) | instid1(VALU_DEP_3)
	v_and_b32_e32 v2, 0x700000, v2
	v_and_b32_e32 v3, 0x80000000, v3
	s_delay_alu instid0(VALU_DEP_1)
	v_or3_b32 v0, v2, v3, v0
.LBB331_1346:                           ;   in Loop: Header=BB331_1075 Depth=1
	s_or_b32 exec_lo, exec_lo, s21
.LBB331_1347:                           ;   in Loop: Header=BB331_1075 Depth=1
	s_delay_alu instid0(SALU_CYCLE_1)
	s_or_b32 exec_lo, exec_lo, s20
.LBB331_1348:                           ;   in Loop: Header=BB331_1075 Depth=1
	s_delay_alu instid0(SALU_CYCLE_1) | instskip(SKIP_2) | instid1(VALU_DEP_1)
	s_or_b32 exec_lo, exec_lo, s19
	v_lshrrev_b16 v2, 8, v52
	s_mov_b32 s19, exec_lo
	v_cmpx_ne_u16_e32 0, v2
	s_cbranch_execz .LBB331_1356
; %bb.1349:                             ;   in Loop: Header=BB331_1075 Depth=1
	v_bfrev_b32_e32 v1, 1
	s_mov_b32 s20, exec_lo
	v_cmpx_ne_u16_e32 0x80, v2
	s_cbranch_execz .LBB331_1355
; %bb.1350:                             ;   in Loop: Header=BB331_1075 Depth=1
	v_and_b32_e32 v3, 0xffff, v2
	v_mov_b32_e32 v1, 0x7f800001
	s_mov_b32 s21, exec_lo
	s_delay_alu instid0(VALU_DEP_2) | instskip(NEXT) | instid1(VALU_DEP_1)
	v_and_b32_e32 v2, 0x7f, v3
	v_cmpx_ne_u32_e32 0x7f, v2
	s_cbranch_execz .LBB331_1354
; %bb.1351:                             ;   in Loop: Header=BB331_1075 Depth=1
	v_dual_lshrrev_b32 v1, 3, v2 :: v_dual_bitop2_b32 v26, 7, v3 bitop3:0x40
	s_mov_b32 s22, exec_lo
	s_delay_alu instid0(VALU_DEP_1)
	v_mov_b64_e32 v[54:55], v[26:27]
	v_cmpx_gt_u32_e32 8, v2
; %bb.1352:                             ;   in Loop: Header=BB331_1075 Depth=1
	v_clz_i32_u32_e32 v1, v26
	s_delay_alu instid0(VALU_DEP_1) | instskip(NEXT) | instid1(VALU_DEP_1)
	v_min_u32_e32 v1, 32, v1
	v_subrev_nc_u32_e32 v2, 28, v1
	s_delay_alu instid0(VALU_DEP_1) | instskip(NEXT) | instid1(VALU_DEP_1)
	v_lshlrev_b64_e32 v[2:3], v2, v[26:27]
	v_dual_sub_nc_u32 v1, 29, v1 :: v_dual_bitop2_b32 v54, 7, v2 bitop3:0x40
; %bb.1353:                             ;   in Loop: Header=BB331_1075 Depth=1
	s_or_b32 exec_lo, exec_lo, s22
	s_delay_alu instid0(VALU_DEP_1) | instskip(NEXT) | instid1(VALU_DEP_2)
	v_dual_lshlrev_b32 v2, 16, v52 :: v_dual_lshlrev_b32 v3, 20, v54
	v_lshl_add_u32 v1, v1, 23, 0x3c000000
	s_delay_alu instid0(VALU_DEP_2) | instskip(NEXT) | instid1(VALU_DEP_1)
	v_and_b32_e32 v2, 0x80000000, v2
	v_or3_b32 v1, v3, v2, v1
.LBB331_1354:                           ;   in Loop: Header=BB331_1075 Depth=1
	s_or_b32 exec_lo, exec_lo, s21
.LBB331_1355:                           ;   in Loop: Header=BB331_1075 Depth=1
	s_delay_alu instid0(SALU_CYCLE_1)
	s_or_b32 exec_lo, exec_lo, s20
.LBB331_1356:                           ;   in Loop: Header=BB331_1075 Depth=1
	s_delay_alu instid0(SALU_CYCLE_1) | instskip(SKIP_3) | instid1(VALU_DEP_2)
	s_or_b32 exec_lo, exec_lo, s19
	v_dual_mov_b32 v3, 0 :: v_dual_lshrrev_b32 v4, 16, v52
	v_mov_b32_e32 v2, 0
	s_mov_b32 s19, exec_lo
	v_and_b32_e32 v5, 0xff, v4
	s_delay_alu instid0(VALU_DEP_1)
	v_cmpx_ne_u16_e32 0, v5
	s_cbranch_execz .LBB331_1364
; %bb.1357:                             ;   in Loop: Header=BB331_1075 Depth=1
	v_bfrev_b32_e32 v2, 1
	s_mov_b32 s20, exec_lo
	v_cmpx_ne_u16_e32 0x80, v5
	s_cbranch_execz .LBB331_1363
; %bb.1358:                             ;   in Loop: Header=BB331_1075 Depth=1
	v_bfe_u32 v5, v52, 16, 7
	v_mov_b32_e32 v2, 0x7f800001
	s_mov_b32 s21, exec_lo
	s_delay_alu instid0(VALU_DEP_2)
	v_cmpx_ne_u32_e32 0x7f, v5
	s_cbranch_execz .LBB331_1362
; %bb.1359:                             ;   in Loop: Header=BB331_1075 Depth=1
	v_dual_lshrrev_b32 v2, 3, v5 :: v_dual_bitop2_b32 v26, 7, v4 bitop3:0x40
	s_mov_b32 s22, exec_lo
	s_delay_alu instid0(VALU_DEP_1)
	v_mov_b64_e32 v[54:55], v[26:27]
	v_cmpx_gt_u32_e32 8, v5
; %bb.1360:                             ;   in Loop: Header=BB331_1075 Depth=1
	v_clz_i32_u32_e32 v2, v26
	s_delay_alu instid0(VALU_DEP_1) | instskip(NEXT) | instid1(VALU_DEP_1)
	v_min_u32_e32 v2, 32, v2
	v_subrev_nc_u32_e32 v5, 28, v2
	v_sub_nc_u32_e32 v2, 29, v2
	s_delay_alu instid0(VALU_DEP_2) | instskip(NEXT) | instid1(VALU_DEP_1)
	v_lshlrev_b64_e32 v[6:7], v5, v[26:27]
	v_and_b32_e32 v54, 7, v6
; %bb.1361:                             ;   in Loop: Header=BB331_1075 Depth=1
	s_or_b32 exec_lo, exec_lo, s22
	s_delay_alu instid0(VALU_DEP_1) | instskip(SKIP_1) | instid1(VALU_DEP_2)
	v_dual_lshlrev_b32 v4, 24, v4 :: v_dual_lshlrev_b32 v5, 20, v54
	v_lshl_add_u32 v2, v2, 23, 0x3c000000
	v_and_b32_e32 v4, 0x80000000, v4
	s_delay_alu instid0(VALU_DEP_1)
	v_or3_b32 v2, v5, v4, v2
.LBB331_1362:                           ;   in Loop: Header=BB331_1075 Depth=1
	s_or_b32 exec_lo, exec_lo, s21
.LBB331_1363:                           ;   in Loop: Header=BB331_1075 Depth=1
	s_delay_alu instid0(SALU_CYCLE_1)
	s_or_b32 exec_lo, exec_lo, s20
.LBB331_1364:                           ;   in Loop: Header=BB331_1075 Depth=1
	s_delay_alu instid0(SALU_CYCLE_1) | instskip(NEXT) | instid1(SALU_CYCLE_1)
	s_or_b32 exec_lo, exec_lo, s19
	s_mov_b32 s19, exec_lo
	v_cmpx_lt_u32_e32 0xffffff, v52
	s_cbranch_execz .LBB331_1372
; %bb.1365:                             ;   in Loop: Header=BB331_1075 Depth=1
	v_lshrrev_b32_e32 v4, 24, v52
	v_bfrev_b32_e32 v3, 1
	s_mov_b32 s20, exec_lo
	s_delay_alu instid0(VALU_DEP_2)
	v_cmpx_ne_u32_e32 0x80, v4
	s_cbranch_execz .LBB331_1371
; %bb.1366:                             ;   in Loop: Header=BB331_1075 Depth=1
	v_bfe_u32 v5, v52, 24, 7
	v_mov_b32_e32 v3, 0x7f800001
	s_mov_b32 s21, exec_lo
	s_delay_alu instid0(VALU_DEP_2)
	v_cmpx_ne_u32_e32 0x7f, v5
	s_cbranch_execz .LBB331_1370
; %bb.1367:                             ;   in Loop: Header=BB331_1075 Depth=1
	v_dual_lshrrev_b32 v3, 3, v5 :: v_dual_bitop2_b32 v26, 7, v4 bitop3:0x40
	s_mov_b32 s22, exec_lo
	s_delay_alu instid0(VALU_DEP_1)
	v_mov_b64_e32 v[54:55], v[26:27]
	v_cmpx_gt_u32_e32 8, v5
; %bb.1368:                             ;   in Loop: Header=BB331_1075 Depth=1
	v_clz_i32_u32_e32 v3, v26
	s_delay_alu instid0(VALU_DEP_1) | instskip(NEXT) | instid1(VALU_DEP_1)
	v_min_u32_e32 v3, 32, v3
	v_subrev_nc_u32_e32 v5, 28, v3
	s_delay_alu instid0(VALU_DEP_1) | instskip(NEXT) | instid1(VALU_DEP_1)
	v_lshlrev_b64_e32 v[6:7], v5, v[26:27]
	v_dual_sub_nc_u32 v3, 29, v3 :: v_dual_bitop2_b32 v54, 7, v6 bitop3:0x40
; %bb.1369:                             ;   in Loop: Header=BB331_1075 Depth=1
	s_or_b32 exec_lo, exec_lo, s22
	s_delay_alu instid0(VALU_DEP_1) | instskip(NEXT) | instid1(VALU_DEP_2)
	v_dual_lshlrev_b32 v4, 24, v4 :: v_dual_lshlrev_b32 v5, 20, v54
	v_lshl_add_u32 v3, v3, 23, 0x3c000000
	s_delay_alu instid0(VALU_DEP_2) | instskip(NEXT) | instid1(VALU_DEP_1)
	v_and_b32_e32 v4, 0x80000000, v4
	v_or3_b32 v3, v5, v4, v3
.LBB331_1370:                           ;   in Loop: Header=BB331_1075 Depth=1
	s_or_b32 exec_lo, exec_lo, s21
.LBB331_1371:                           ;   in Loop: Header=BB331_1075 Depth=1
	s_delay_alu instid0(SALU_CYCLE_1)
	s_or_b32 exec_lo, exec_lo, s20
.LBB331_1372:                           ;   in Loop: Header=BB331_1075 Depth=1
	s_delay_alu instid0(SALU_CYCLE_1) | instskip(SKIP_4) | instid1(VALU_DEP_3)
	s_or_b32 exec_lo, exec_lo, s19
	v_and_b32_e32 v6, 0xff, v53
	v_dual_mov_b32 v26, v53 :: v_dual_mov_b32 v5, 0
	v_mov_b32_e32 v4, 0
	s_mov_b32 s19, exec_lo
	v_cmpx_ne_u16_e32 0, v6
	s_cbranch_execz .LBB331_1380
; %bb.1373:                             ;   in Loop: Header=BB331_1075 Depth=1
	v_bfrev_b32_e32 v4, 1
	s_mov_b32 s20, exec_lo
	v_cmpx_ne_u16_e32 0x80, v6
	s_cbranch_execz .LBB331_1379
; %bb.1374:                             ;   in Loop: Header=BB331_1075 Depth=1
	v_and_b32_e32 v6, 0x7f, v53
	v_mov_b32_e32 v4, 0x7f800001
	s_mov_b32 s21, exec_lo
	s_delay_alu instid0(VALU_DEP_2)
	v_cmpx_ne_u32_e32 0x7f, v6
	s_cbranch_execz .LBB331_1378
; %bb.1375:                             ;   in Loop: Header=BB331_1075 Depth=1
	v_mov_b64_e32 v[54:55], v[26:27]
	v_lshrrev_b32_e32 v4, 3, v6
	s_mov_b32 s22, exec_lo
	v_cmpx_gt_u32_e32 8, v6
; %bb.1376:                             ;   in Loop: Header=BB331_1075 Depth=1
	v_and_b32_e32 v4, 7, v53
	s_delay_alu instid0(VALU_DEP_1) | instskip(NEXT) | instid1(VALU_DEP_1)
	v_clz_i32_u32_e32 v4, v4
	v_min_u32_e32 v4, 32, v4
	s_delay_alu instid0(VALU_DEP_1) | instskip(SKIP_1) | instid1(VALU_DEP_2)
	v_subrev_nc_u32_e32 v6, 28, v4
	v_sub_nc_u32_e32 v4, 29, v4
	v_lshlrev_b64_e32 v[54:55], v6, v[26:27]
; %bb.1377:                             ;   in Loop: Header=BB331_1075 Depth=1
	s_or_b32 exec_lo, exec_lo, s22
	s_delay_alu instid0(VALU_DEP_1) | instskip(SKIP_2) | instid1(VALU_DEP_3)
	v_lshlrev_b32_e32 v6, 20, v54
	v_lshlrev_b32_e32 v7, 24, v26
	v_lshl_add_u32 v4, v4, 23, 0x3c000000
	v_and_b32_e32 v6, 0x700000, v6
	s_delay_alu instid0(VALU_DEP_3) | instskip(NEXT) | instid1(VALU_DEP_1)
	v_and_b32_e32 v7, 0x80000000, v7
	v_or3_b32 v4, v6, v7, v4
.LBB331_1378:                           ;   in Loop: Header=BB331_1075 Depth=1
	s_or_b32 exec_lo, exec_lo, s21
.LBB331_1379:                           ;   in Loop: Header=BB331_1075 Depth=1
	s_delay_alu instid0(SALU_CYCLE_1)
	s_or_b32 exec_lo, exec_lo, s20
.LBB331_1380:                           ;   in Loop: Header=BB331_1075 Depth=1
	s_delay_alu instid0(SALU_CYCLE_1) | instskip(SKIP_2) | instid1(VALU_DEP_1)
	s_or_b32 exec_lo, exec_lo, s19
	v_lshrrev_b16 v6, 8, v26
	s_mov_b32 s19, exec_lo
	v_cmpx_ne_u16_e32 0, v6
	s_cbranch_execz .LBB331_1388
; %bb.1381:                             ;   in Loop: Header=BB331_1075 Depth=1
	v_bfrev_b32_e32 v5, 1
	s_mov_b32 s20, exec_lo
	v_cmpx_ne_u16_e32 0x80, v6
	s_cbranch_execz .LBB331_1387
; %bb.1382:                             ;   in Loop: Header=BB331_1075 Depth=1
	v_and_b32_e32 v7, 0xffff, v6
	v_mov_b32_e32 v5, 0x7f800001
	s_mov_b32 s21, exec_lo
	s_delay_alu instid0(VALU_DEP_2) | instskip(NEXT) | instid1(VALU_DEP_1)
	v_and_b32_e32 v6, 0x7f, v7
	v_cmpx_ne_u32_e32 0x7f, v6
	s_cbranch_execz .LBB331_1386
; %bb.1383:                             ;   in Loop: Header=BB331_1075 Depth=1
	v_dual_mov_b32 v55, v27 :: v_dual_bitop2_b32 v54, 7, v7 bitop3:0x40
	v_lshrrev_b32_e32 v5, 3, v6
	s_mov_b32 s22, exec_lo
	v_cmpx_gt_u32_e32 8, v6
; %bb.1384:                             ;   in Loop: Header=BB331_1075 Depth=1
	s_delay_alu instid0(VALU_DEP_3) | instskip(NEXT) | instid1(VALU_DEP_1)
	v_clz_i32_u32_e32 v5, v54
	v_min_u32_e32 v5, 32, v5
	s_delay_alu instid0(VALU_DEP_1) | instskip(NEXT) | instid1(VALU_DEP_1)
	v_subrev_nc_u32_e32 v6, 28, v5
	v_lshlrev_b64_e32 v[6:7], v6, v[54:55]
	s_delay_alu instid0(VALU_DEP_1)
	v_dual_sub_nc_u32 v5, 29, v5 :: v_dual_bitop2_b32 v54, 7, v6 bitop3:0x40
; %bb.1385:                             ;   in Loop: Header=BB331_1075 Depth=1
	s_or_b32 exec_lo, exec_lo, s22
	v_lshlrev_b32_e32 v6, 16, v26
	s_delay_alu instid0(VALU_DEP_2) | instskip(NEXT) | instid1(VALU_DEP_3)
	v_lshlrev_b32_e32 v7, 20, v54
	v_lshl_add_u32 v5, v5, 23, 0x3c000000
	s_delay_alu instid0(VALU_DEP_3) | instskip(NEXT) | instid1(VALU_DEP_1)
	v_and_b32_e32 v6, 0x80000000, v6
	v_or3_b32 v5, v7, v6, v5
.LBB331_1386:                           ;   in Loop: Header=BB331_1075 Depth=1
	s_or_b32 exec_lo, exec_lo, s21
.LBB331_1387:                           ;   in Loop: Header=BB331_1075 Depth=1
	s_delay_alu instid0(SALU_CYCLE_1)
	s_or_b32 exec_lo, exec_lo, s20
.LBB331_1388:                           ;   in Loop: Header=BB331_1075 Depth=1
	s_delay_alu instid0(SALU_CYCLE_1) | instskip(SKIP_3) | instid1(VALU_DEP_2)
	s_or_b32 exec_lo, exec_lo, s19
	v_dual_lshrrev_b32 v8, 16, v53 :: v_dual_mov_b32 v6, 0
	v_mov_b32_e32 v7, 0
	s_mov_b32 s19, exec_lo
	v_and_b32_e32 v9, 0xff, v8
	s_delay_alu instid0(VALU_DEP_1)
	v_cmpx_ne_u16_e32 0, v9
	s_cbranch_execz .LBB331_1396
; %bb.1389:                             ;   in Loop: Header=BB331_1075 Depth=1
	v_bfrev_b32_e32 v7, 1
	s_mov_b32 s20, exec_lo
	v_cmpx_ne_u16_e32 0x80, v9
	s_cbranch_execz .LBB331_1395
; %bb.1390:                             ;   in Loop: Header=BB331_1075 Depth=1
	v_bfe_u32 v9, v53, 16, 7
	v_mov_b32_e32 v7, 0x7f800001
	s_mov_b32 s21, exec_lo
	s_delay_alu instid0(VALU_DEP_2)
	v_cmpx_ne_u32_e32 0x7f, v9
	s_cbranch_execz .LBB331_1394
; %bb.1391:                             ;   in Loop: Header=BB331_1075 Depth=1
	v_dual_lshrrev_b32 v7, 3, v9 :: v_dual_bitop2_b32 v26, 7, v8 bitop3:0x40
	s_mov_b32 s22, exec_lo
	s_delay_alu instid0(VALU_DEP_1)
	v_mov_b64_e32 v[54:55], v[26:27]
	v_cmpx_gt_u32_e32 8, v9
; %bb.1392:                             ;   in Loop: Header=BB331_1075 Depth=1
	v_clz_i32_u32_e32 v7, v26
	s_delay_alu instid0(VALU_DEP_1) | instskip(NEXT) | instid1(VALU_DEP_1)
	v_min_u32_e32 v7, 32, v7
	v_subrev_nc_u32_e32 v9, 28, v7
	s_delay_alu instid0(VALU_DEP_1) | instskip(NEXT) | instid1(VALU_DEP_1)
	v_lshlrev_b64_e32 v[16:17], v9, v[26:27]
	v_dual_sub_nc_u32 v7, 29, v7 :: v_dual_bitop2_b32 v54, 7, v16 bitop3:0x40
; %bb.1393:                             ;   in Loop: Header=BB331_1075 Depth=1
	s_or_b32 exec_lo, exec_lo, s22
	s_delay_alu instid0(VALU_DEP_1) | instskip(NEXT) | instid1(VALU_DEP_2)
	v_dual_lshlrev_b32 v8, 24, v8 :: v_dual_lshlrev_b32 v9, 20, v54
	v_lshl_add_u32 v7, v7, 23, 0x3c000000
	s_delay_alu instid0(VALU_DEP_2) | instskip(NEXT) | instid1(VALU_DEP_1)
	v_and_b32_e32 v8, 0x80000000, v8
	v_or3_b32 v7, v9, v8, v7
.LBB331_1394:                           ;   in Loop: Header=BB331_1075 Depth=1
	s_or_b32 exec_lo, exec_lo, s21
.LBB331_1395:                           ;   in Loop: Header=BB331_1075 Depth=1
	s_delay_alu instid0(SALU_CYCLE_1)
	s_or_b32 exec_lo, exec_lo, s20
.LBB331_1396:                           ;   in Loop: Header=BB331_1075 Depth=1
	s_delay_alu instid0(SALU_CYCLE_1) | instskip(NEXT) | instid1(SALU_CYCLE_1)
	s_or_b32 exec_lo, exec_lo, s19
	s_mov_b32 s19, exec_lo
	v_cmpx_lt_u64_e64 s[2:3], v[52:53]
	s_cbranch_execz .LBB331_1404
; %bb.1397:                             ;   in Loop: Header=BB331_1075 Depth=1
	v_lshrrev_b32_e32 v8, 24, v53
	v_bfrev_b32_e32 v6, 1
	s_mov_b32 s20, exec_lo
	s_delay_alu instid0(VALU_DEP_2)
	v_cmpx_ne_u32_e32 0x80, v8
	s_cbranch_execz .LBB331_1403
; %bb.1398:                             ;   in Loop: Header=BB331_1075 Depth=1
	v_bfe_u32 v9, v53, 24, 7
	v_mov_b32_e32 v6, 0x7f800001
	s_mov_b32 s21, exec_lo
	s_delay_alu instid0(VALU_DEP_2)
	v_cmpx_ne_u32_e32 0x7f, v9
	s_cbranch_execz .LBB331_1402
; %bb.1399:                             ;   in Loop: Header=BB331_1075 Depth=1
	v_dual_lshrrev_b32 v6, 3, v9 :: v_dual_bitop2_b32 v26, 7, v8 bitop3:0x40
	s_mov_b32 s22, exec_lo
	s_delay_alu instid0(VALU_DEP_1)
	v_mov_b64_e32 v[52:53], v[26:27]
	v_cmpx_gt_u32_e32 8, v9
; %bb.1400:                             ;   in Loop: Header=BB331_1075 Depth=1
	v_clz_i32_u32_e32 v6, v26
	s_delay_alu instid0(VALU_DEP_1) | instskip(NEXT) | instid1(VALU_DEP_1)
	v_min_u32_e32 v6, 32, v6
	v_subrev_nc_u32_e32 v9, 28, v6
	s_delay_alu instid0(VALU_DEP_1) | instskip(NEXT) | instid1(VALU_DEP_1)
	v_lshlrev_b64_e32 v[16:17], v9, v[26:27]
	v_dual_sub_nc_u32 v6, 29, v6 :: v_dual_bitop2_b32 v52, 7, v16 bitop3:0x40
; %bb.1401:                             ;   in Loop: Header=BB331_1075 Depth=1
	s_or_b32 exec_lo, exec_lo, s22
	v_lshlrev_b32_e32 v8, 24, v8
	s_delay_alu instid0(VALU_DEP_2) | instskip(NEXT) | instid1(VALU_DEP_3)
	v_lshlrev_b32_e32 v9, 20, v52
	v_lshl_add_u32 v6, v6, 23, 0x3c000000
	s_delay_alu instid0(VALU_DEP_3) | instskip(NEXT) | instid1(VALU_DEP_1)
	v_and_b32_e32 v8, 0x80000000, v8
	v_or3_b32 v6, v9, v8, v6
.LBB331_1402:                           ;   in Loop: Header=BB331_1075 Depth=1
	s_or_b32 exec_lo, exec_lo, s21
.LBB331_1403:                           ;   in Loop: Header=BB331_1075 Depth=1
	s_delay_alu instid0(SALU_CYCLE_1)
	s_or_b32 exec_lo, exec_lo, s20
.LBB331_1404:                           ;   in Loop: Header=BB331_1075 Depth=1
	s_delay_alu instid0(SALU_CYCLE_1)
	s_or_b32 exec_lo, exec_lo, s19
	v_fma_mixlo_bf16 v0, v118, v0, 0
	v_fma_mixlo_bf16 v5, v118, v5, 0
	;; [unrolled: 1-line block ×5, first 2 shown]
	scratch_store_b32 off, v0, s32 offset:372 ; 4-byte Folded Spill
	s_wait_xcnt 0x0
	v_fma_mixlo_bf16 v0, v118, v7, 0
	s_clause 0x1
	scratch_store_b32 off, v5, s32 offset:344
	scratch_store_b32 off, v4, s32 offset:348
	v_fma_mixlo_bf16 v1, v118, v1, 0
	s_clause 0x1
	scratch_store_b32 off, v3, s32 offset:360
	scratch_store_b32 off, v0, s32 offset:352
	s_wait_xcnt 0x0
	v_fma_mixlo_bf16 v0, v118, v6, 0
	s_clause 0x2
	scratch_store_b32 off, v2, s32 offset:364
	scratch_store_b32 off, v1, s32 offset:368
	scratch_store_b32 off, v0, s32 offset:356
	s_wait_xcnt 0x0
	s_and_saveexec_b32 s19, vcc_lo
	s_cbranch_execz .LBB331_1406
; %bb.1405:                             ;   in Loop: Header=BB331_1075 Depth=1
	scratch_load_b32 v0, off, s32 offset:372 ; 4-byte Folded Reload
	v_cmp_lt_i32_e64 s1, v58, v99
	s_wait_loadcnt 0x0
	s_delay_alu instid0(VALU_DEP_1)
	v_cndmask_b32_e64 v0, 0, v0, s1
	v_cmp_lt_i32_e64 s1, v62, v99
	s_clause 0x1
	scratch_store_b32 off, v0, s32 offset:372
	scratch_load_b32 v0, off, s32 offset:368
	s_wait_loadcnt 0x0
	v_cndmask_b32_e64 v0, 0, v0, s1
	v_cmp_lt_i32_e64 s1, v61, v99
	s_clause 0x1
	scratch_store_b32 off, v0, s32 offset:368
	scratch_load_b32 v0, off, s32 offset:364
	s_wait_loadcnt 0x0
	;; [unrolled: 6-line block ×7, first 2 shown]
	v_cndmask_b32_e64 v0, 0, v0, s1
	scratch_store_b32 off, v0, s32 offset:356 ; 4-byte Folded Spill
.LBB331_1406:                           ;   in Loop: Header=BB331_1075 Depth=1
	s_wait_xcnt 0x0
	s_or_b32 exec_lo, exec_lo, s19
	flat_load_b64 v[52:53], v[50:51] offset:1280
	v_dual_mov_b32 v1, 0 :: v_dual_mov_b32 v0, 0
	s_mov_b32 s19, exec_lo
	s_wait_loadcnt_dscnt 0x0
	v_and_b32_e32 v2, 0xff, v52
	s_wait_xcnt 0x0
	s_delay_alu instid0(VALU_DEP_1)
	v_cmpx_ne_u16_e32 0, v2
	s_cbranch_execz .LBB331_1414
; %bb.1407:                             ;   in Loop: Header=BB331_1075 Depth=1
	v_bfrev_b32_e32 v0, 1
	s_mov_b32 s20, exec_lo
	v_cmpx_ne_u16_e32 0x80, v2
	s_cbranch_execz .LBB331_1413
; %bb.1408:                             ;   in Loop: Header=BB331_1075 Depth=1
	v_and_b32_e32 v2, 0x7f, v52
	v_mov_b32_e32 v0, 0x7f800001
	s_mov_b32 s21, exec_lo
	s_delay_alu instid0(VALU_DEP_2)
	v_cmpx_ne_u32_e32 0x7f, v2
	s_cbranch_execz .LBB331_1412
; %bb.1409:                             ;   in Loop: Header=BB331_1075 Depth=1
	v_mov_b64_e32 v[54:55], v[52:53]
	v_lshrrev_b32_e32 v0, 3, v2
	s_mov_b32 s22, exec_lo
	v_cmpx_gt_u32_e32 8, v2
; %bb.1410:                             ;   in Loop: Header=BB331_1075 Depth=1
	v_and_b32_e32 v0, 7, v52
	s_delay_alu instid0(VALU_DEP_1) | instskip(NEXT) | instid1(VALU_DEP_1)
	v_clz_i32_u32_e32 v0, v0
	v_min_u32_e32 v0, 32, v0
	s_delay_alu instid0(VALU_DEP_1) | instskip(SKIP_1) | instid1(VALU_DEP_2)
	v_subrev_nc_u32_e32 v2, 28, v0
	v_sub_nc_u32_e32 v0, 29, v0
	v_lshlrev_b64_e32 v[54:55], v2, v[52:53]
; %bb.1411:                             ;   in Loop: Header=BB331_1075 Depth=1
	s_or_b32 exec_lo, exec_lo, s22
	s_delay_alu instid0(VALU_DEP_1) | instskip(NEXT) | instid1(VALU_DEP_3)
	v_dual_lshlrev_b32 v2, 20, v54 :: v_dual_lshlrev_b32 v3, 24, v52
	v_lshl_add_u32 v0, v0, 23, 0x3c000000
	s_delay_alu instid0(VALU_DEP_2) | instskip(NEXT) | instid1(VALU_DEP_3)
	v_and_b32_e32 v2, 0x700000, v2
	v_and_b32_e32 v3, 0x80000000, v3
	s_delay_alu instid0(VALU_DEP_1)
	v_or3_b32 v0, v2, v3, v0
.LBB331_1412:                           ;   in Loop: Header=BB331_1075 Depth=1
	s_or_b32 exec_lo, exec_lo, s21
.LBB331_1413:                           ;   in Loop: Header=BB331_1075 Depth=1
	s_delay_alu instid0(SALU_CYCLE_1)
	s_or_b32 exec_lo, exec_lo, s20
.LBB331_1414:                           ;   in Loop: Header=BB331_1075 Depth=1
	s_delay_alu instid0(SALU_CYCLE_1) | instskip(SKIP_2) | instid1(VALU_DEP_1)
	s_or_b32 exec_lo, exec_lo, s19
	v_lshrrev_b16 v2, 8, v52
	s_mov_b32 s19, exec_lo
	v_cmpx_ne_u16_e32 0, v2
	s_cbranch_execz .LBB331_1422
; %bb.1415:                             ;   in Loop: Header=BB331_1075 Depth=1
	v_bfrev_b32_e32 v1, 1
	s_mov_b32 s20, exec_lo
	v_cmpx_ne_u16_e32 0x80, v2
	s_cbranch_execz .LBB331_1421
; %bb.1416:                             ;   in Loop: Header=BB331_1075 Depth=1
	v_and_b32_e32 v3, 0xffff, v2
	v_mov_b32_e32 v1, 0x7f800001
	s_mov_b32 s21, exec_lo
	s_delay_alu instid0(VALU_DEP_2) | instskip(NEXT) | instid1(VALU_DEP_1)
	v_and_b32_e32 v2, 0x7f, v3
	v_cmpx_ne_u32_e32 0x7f, v2
	s_cbranch_execz .LBB331_1420
; %bb.1417:                             ;   in Loop: Header=BB331_1075 Depth=1
	v_dual_lshrrev_b32 v1, 3, v2 :: v_dual_bitop2_b32 v26, 7, v3 bitop3:0x40
	s_mov_b32 s22, exec_lo
	s_delay_alu instid0(VALU_DEP_1)
	v_mov_b64_e32 v[54:55], v[26:27]
	v_cmpx_gt_u32_e32 8, v2
; %bb.1418:                             ;   in Loop: Header=BB331_1075 Depth=1
	v_clz_i32_u32_e32 v1, v26
	s_delay_alu instid0(VALU_DEP_1) | instskip(NEXT) | instid1(VALU_DEP_1)
	v_min_u32_e32 v1, 32, v1
	v_subrev_nc_u32_e32 v2, 28, v1
	s_delay_alu instid0(VALU_DEP_1) | instskip(NEXT) | instid1(VALU_DEP_1)
	v_lshlrev_b64_e32 v[2:3], v2, v[26:27]
	v_dual_sub_nc_u32 v1, 29, v1 :: v_dual_bitop2_b32 v54, 7, v2 bitop3:0x40
; %bb.1419:                             ;   in Loop: Header=BB331_1075 Depth=1
	s_or_b32 exec_lo, exec_lo, s22
	s_delay_alu instid0(VALU_DEP_1) | instskip(NEXT) | instid1(VALU_DEP_2)
	v_dual_lshlrev_b32 v2, 16, v52 :: v_dual_lshlrev_b32 v3, 20, v54
	v_lshl_add_u32 v1, v1, 23, 0x3c000000
	s_delay_alu instid0(VALU_DEP_2) | instskip(NEXT) | instid1(VALU_DEP_1)
	v_and_b32_e32 v2, 0x80000000, v2
	v_or3_b32 v1, v3, v2, v1
.LBB331_1420:                           ;   in Loop: Header=BB331_1075 Depth=1
	s_or_b32 exec_lo, exec_lo, s21
.LBB331_1421:                           ;   in Loop: Header=BB331_1075 Depth=1
	s_delay_alu instid0(SALU_CYCLE_1)
	s_or_b32 exec_lo, exec_lo, s20
.LBB331_1422:                           ;   in Loop: Header=BB331_1075 Depth=1
	s_delay_alu instid0(SALU_CYCLE_1) | instskip(SKIP_3) | instid1(VALU_DEP_2)
	s_or_b32 exec_lo, exec_lo, s19
	v_dual_mov_b32 v3, 0 :: v_dual_lshrrev_b32 v4, 16, v52
	v_mov_b32_e32 v2, 0
	s_mov_b32 s19, exec_lo
	v_and_b32_e32 v5, 0xff, v4
	s_delay_alu instid0(VALU_DEP_1)
	v_cmpx_ne_u16_e32 0, v5
	s_cbranch_execz .LBB331_1430
; %bb.1423:                             ;   in Loop: Header=BB331_1075 Depth=1
	v_bfrev_b32_e32 v2, 1
	s_mov_b32 s20, exec_lo
	v_cmpx_ne_u16_e32 0x80, v5
	s_cbranch_execz .LBB331_1429
; %bb.1424:                             ;   in Loop: Header=BB331_1075 Depth=1
	v_bfe_u32 v5, v52, 16, 7
	v_mov_b32_e32 v2, 0x7f800001
	s_mov_b32 s21, exec_lo
	s_delay_alu instid0(VALU_DEP_2)
	v_cmpx_ne_u32_e32 0x7f, v5
	s_cbranch_execz .LBB331_1428
; %bb.1425:                             ;   in Loop: Header=BB331_1075 Depth=1
	v_dual_lshrrev_b32 v2, 3, v5 :: v_dual_bitop2_b32 v26, 7, v4 bitop3:0x40
	s_mov_b32 s22, exec_lo
	s_delay_alu instid0(VALU_DEP_1)
	v_mov_b64_e32 v[54:55], v[26:27]
	v_cmpx_gt_u32_e32 8, v5
; %bb.1426:                             ;   in Loop: Header=BB331_1075 Depth=1
	v_clz_i32_u32_e32 v2, v26
	s_delay_alu instid0(VALU_DEP_1) | instskip(NEXT) | instid1(VALU_DEP_1)
	v_min_u32_e32 v2, 32, v2
	v_subrev_nc_u32_e32 v5, 28, v2
	v_sub_nc_u32_e32 v2, 29, v2
	s_delay_alu instid0(VALU_DEP_2) | instskip(NEXT) | instid1(VALU_DEP_1)
	v_lshlrev_b64_e32 v[6:7], v5, v[26:27]
	v_and_b32_e32 v54, 7, v6
; %bb.1427:                             ;   in Loop: Header=BB331_1075 Depth=1
	s_or_b32 exec_lo, exec_lo, s22
	s_delay_alu instid0(VALU_DEP_1) | instskip(SKIP_1) | instid1(VALU_DEP_2)
	v_dual_lshlrev_b32 v4, 24, v4 :: v_dual_lshlrev_b32 v5, 20, v54
	v_lshl_add_u32 v2, v2, 23, 0x3c000000
	v_and_b32_e32 v4, 0x80000000, v4
	s_delay_alu instid0(VALU_DEP_1)
	v_or3_b32 v2, v5, v4, v2
.LBB331_1428:                           ;   in Loop: Header=BB331_1075 Depth=1
	s_or_b32 exec_lo, exec_lo, s21
.LBB331_1429:                           ;   in Loop: Header=BB331_1075 Depth=1
	s_delay_alu instid0(SALU_CYCLE_1)
	s_or_b32 exec_lo, exec_lo, s20
.LBB331_1430:                           ;   in Loop: Header=BB331_1075 Depth=1
	s_delay_alu instid0(SALU_CYCLE_1) | instskip(NEXT) | instid1(SALU_CYCLE_1)
	s_or_b32 exec_lo, exec_lo, s19
	s_mov_b32 s19, exec_lo
	v_cmpx_lt_u32_e32 0xffffff, v52
	s_cbranch_execz .LBB331_1438
; %bb.1431:                             ;   in Loop: Header=BB331_1075 Depth=1
	v_lshrrev_b32_e32 v4, 24, v52
	v_bfrev_b32_e32 v3, 1
	s_mov_b32 s20, exec_lo
	s_delay_alu instid0(VALU_DEP_2)
	v_cmpx_ne_u32_e32 0x80, v4
	s_cbranch_execz .LBB331_1437
; %bb.1432:                             ;   in Loop: Header=BB331_1075 Depth=1
	v_bfe_u32 v5, v52, 24, 7
	v_mov_b32_e32 v3, 0x7f800001
	s_mov_b32 s21, exec_lo
	s_delay_alu instid0(VALU_DEP_2)
	v_cmpx_ne_u32_e32 0x7f, v5
	s_cbranch_execz .LBB331_1436
; %bb.1433:                             ;   in Loop: Header=BB331_1075 Depth=1
	v_dual_lshrrev_b32 v3, 3, v5 :: v_dual_bitop2_b32 v26, 7, v4 bitop3:0x40
	s_mov_b32 s22, exec_lo
	s_delay_alu instid0(VALU_DEP_1)
	v_mov_b64_e32 v[54:55], v[26:27]
	v_cmpx_gt_u32_e32 8, v5
; %bb.1434:                             ;   in Loop: Header=BB331_1075 Depth=1
	v_clz_i32_u32_e32 v3, v26
	s_delay_alu instid0(VALU_DEP_1) | instskip(NEXT) | instid1(VALU_DEP_1)
	v_min_u32_e32 v3, 32, v3
	v_subrev_nc_u32_e32 v5, 28, v3
	s_delay_alu instid0(VALU_DEP_1) | instskip(NEXT) | instid1(VALU_DEP_1)
	v_lshlrev_b64_e32 v[6:7], v5, v[26:27]
	v_dual_sub_nc_u32 v3, 29, v3 :: v_dual_bitop2_b32 v54, 7, v6 bitop3:0x40
; %bb.1435:                             ;   in Loop: Header=BB331_1075 Depth=1
	s_or_b32 exec_lo, exec_lo, s22
	s_delay_alu instid0(VALU_DEP_1) | instskip(NEXT) | instid1(VALU_DEP_2)
	v_dual_lshlrev_b32 v4, 24, v4 :: v_dual_lshlrev_b32 v5, 20, v54
	v_lshl_add_u32 v3, v3, 23, 0x3c000000
	s_delay_alu instid0(VALU_DEP_2) | instskip(NEXT) | instid1(VALU_DEP_1)
	v_and_b32_e32 v4, 0x80000000, v4
	v_or3_b32 v3, v5, v4, v3
.LBB331_1436:                           ;   in Loop: Header=BB331_1075 Depth=1
	s_or_b32 exec_lo, exec_lo, s21
.LBB331_1437:                           ;   in Loop: Header=BB331_1075 Depth=1
	s_delay_alu instid0(SALU_CYCLE_1)
	s_or_b32 exec_lo, exec_lo, s20
.LBB331_1438:                           ;   in Loop: Header=BB331_1075 Depth=1
	s_delay_alu instid0(SALU_CYCLE_1) | instskip(SKIP_4) | instid1(VALU_DEP_3)
	s_or_b32 exec_lo, exec_lo, s19
	v_and_b32_e32 v6, 0xff, v53
	v_dual_mov_b32 v26, v53 :: v_dual_mov_b32 v5, 0
	v_mov_b32_e32 v4, 0
	s_mov_b32 s19, exec_lo
	v_cmpx_ne_u16_e32 0, v6
	s_cbranch_execz .LBB331_1446
; %bb.1439:                             ;   in Loop: Header=BB331_1075 Depth=1
	v_bfrev_b32_e32 v4, 1
	s_mov_b32 s20, exec_lo
	v_cmpx_ne_u16_e32 0x80, v6
	s_cbranch_execz .LBB331_1445
; %bb.1440:                             ;   in Loop: Header=BB331_1075 Depth=1
	v_and_b32_e32 v6, 0x7f, v53
	v_mov_b32_e32 v4, 0x7f800001
	s_mov_b32 s21, exec_lo
	s_delay_alu instid0(VALU_DEP_2)
	v_cmpx_ne_u32_e32 0x7f, v6
	s_cbranch_execz .LBB331_1444
; %bb.1441:                             ;   in Loop: Header=BB331_1075 Depth=1
	v_mov_b64_e32 v[54:55], v[26:27]
	v_lshrrev_b32_e32 v4, 3, v6
	s_mov_b32 s22, exec_lo
	v_cmpx_gt_u32_e32 8, v6
; %bb.1442:                             ;   in Loop: Header=BB331_1075 Depth=1
	v_and_b32_e32 v4, 7, v53
	s_delay_alu instid0(VALU_DEP_1) | instskip(NEXT) | instid1(VALU_DEP_1)
	v_clz_i32_u32_e32 v4, v4
	v_min_u32_e32 v4, 32, v4
	s_delay_alu instid0(VALU_DEP_1) | instskip(SKIP_1) | instid1(VALU_DEP_2)
	v_subrev_nc_u32_e32 v6, 28, v4
	v_sub_nc_u32_e32 v4, 29, v4
	v_lshlrev_b64_e32 v[54:55], v6, v[26:27]
; %bb.1443:                             ;   in Loop: Header=BB331_1075 Depth=1
	s_or_b32 exec_lo, exec_lo, s22
	s_delay_alu instid0(VALU_DEP_1) | instskip(SKIP_2) | instid1(VALU_DEP_3)
	v_lshlrev_b32_e32 v6, 20, v54
	v_lshlrev_b32_e32 v7, 24, v26
	v_lshl_add_u32 v4, v4, 23, 0x3c000000
	v_and_b32_e32 v6, 0x700000, v6
	s_delay_alu instid0(VALU_DEP_3) | instskip(NEXT) | instid1(VALU_DEP_1)
	v_and_b32_e32 v7, 0x80000000, v7
	v_or3_b32 v4, v6, v7, v4
.LBB331_1444:                           ;   in Loop: Header=BB331_1075 Depth=1
	s_or_b32 exec_lo, exec_lo, s21
.LBB331_1445:                           ;   in Loop: Header=BB331_1075 Depth=1
	s_delay_alu instid0(SALU_CYCLE_1)
	s_or_b32 exec_lo, exec_lo, s20
.LBB331_1446:                           ;   in Loop: Header=BB331_1075 Depth=1
	s_delay_alu instid0(SALU_CYCLE_1) | instskip(SKIP_2) | instid1(VALU_DEP_1)
	s_or_b32 exec_lo, exec_lo, s19
	v_lshrrev_b16 v6, 8, v26
	s_mov_b32 s19, exec_lo
	v_cmpx_ne_u16_e32 0, v6
	s_cbranch_execz .LBB331_1454
; %bb.1447:                             ;   in Loop: Header=BB331_1075 Depth=1
	v_bfrev_b32_e32 v5, 1
	s_mov_b32 s20, exec_lo
	v_cmpx_ne_u16_e32 0x80, v6
	s_cbranch_execz .LBB331_1453
; %bb.1448:                             ;   in Loop: Header=BB331_1075 Depth=1
	v_and_b32_e32 v7, 0xffff, v6
	v_mov_b32_e32 v5, 0x7f800001
	s_mov_b32 s21, exec_lo
	s_delay_alu instid0(VALU_DEP_2) | instskip(NEXT) | instid1(VALU_DEP_1)
	v_and_b32_e32 v6, 0x7f, v7
	v_cmpx_ne_u32_e32 0x7f, v6
	s_cbranch_execz .LBB331_1452
; %bb.1449:                             ;   in Loop: Header=BB331_1075 Depth=1
	v_dual_mov_b32 v55, v27 :: v_dual_bitop2_b32 v54, 7, v7 bitop3:0x40
	v_lshrrev_b32_e32 v5, 3, v6
	s_mov_b32 s22, exec_lo
	v_cmpx_gt_u32_e32 8, v6
; %bb.1450:                             ;   in Loop: Header=BB331_1075 Depth=1
	s_delay_alu instid0(VALU_DEP_3) | instskip(NEXT) | instid1(VALU_DEP_1)
	v_clz_i32_u32_e32 v5, v54
	v_min_u32_e32 v5, 32, v5
	s_delay_alu instid0(VALU_DEP_1) | instskip(NEXT) | instid1(VALU_DEP_1)
	v_subrev_nc_u32_e32 v6, 28, v5
	v_lshlrev_b64_e32 v[6:7], v6, v[54:55]
	s_delay_alu instid0(VALU_DEP_1)
	v_dual_sub_nc_u32 v5, 29, v5 :: v_dual_bitop2_b32 v54, 7, v6 bitop3:0x40
; %bb.1451:                             ;   in Loop: Header=BB331_1075 Depth=1
	s_or_b32 exec_lo, exec_lo, s22
	v_lshlrev_b32_e32 v6, 16, v26
	s_delay_alu instid0(VALU_DEP_2) | instskip(NEXT) | instid1(VALU_DEP_3)
	v_lshlrev_b32_e32 v7, 20, v54
	v_lshl_add_u32 v5, v5, 23, 0x3c000000
	s_delay_alu instid0(VALU_DEP_3) | instskip(NEXT) | instid1(VALU_DEP_1)
	v_and_b32_e32 v6, 0x80000000, v6
	v_or3_b32 v5, v7, v6, v5
.LBB331_1452:                           ;   in Loop: Header=BB331_1075 Depth=1
	s_or_b32 exec_lo, exec_lo, s21
.LBB331_1453:                           ;   in Loop: Header=BB331_1075 Depth=1
	s_delay_alu instid0(SALU_CYCLE_1)
	s_or_b32 exec_lo, exec_lo, s20
.LBB331_1454:                           ;   in Loop: Header=BB331_1075 Depth=1
	s_delay_alu instid0(SALU_CYCLE_1) | instskip(SKIP_3) | instid1(VALU_DEP_2)
	s_or_b32 exec_lo, exec_lo, s19
	v_dual_lshrrev_b32 v8, 16, v53 :: v_dual_mov_b32 v6, 0
	v_mov_b32_e32 v7, 0
	s_mov_b32 s19, exec_lo
	v_and_b32_e32 v9, 0xff, v8
	s_delay_alu instid0(VALU_DEP_1)
	v_cmpx_ne_u16_e32 0, v9
	s_cbranch_execz .LBB331_1462
; %bb.1455:                             ;   in Loop: Header=BB331_1075 Depth=1
	v_bfrev_b32_e32 v7, 1
	s_mov_b32 s20, exec_lo
	v_cmpx_ne_u16_e32 0x80, v9
	s_cbranch_execz .LBB331_1461
; %bb.1456:                             ;   in Loop: Header=BB331_1075 Depth=1
	v_bfe_u32 v9, v53, 16, 7
	v_mov_b32_e32 v7, 0x7f800001
	s_mov_b32 s21, exec_lo
	s_delay_alu instid0(VALU_DEP_2)
	v_cmpx_ne_u32_e32 0x7f, v9
	s_cbranch_execz .LBB331_1460
; %bb.1457:                             ;   in Loop: Header=BB331_1075 Depth=1
	v_dual_lshrrev_b32 v7, 3, v9 :: v_dual_bitop2_b32 v26, 7, v8 bitop3:0x40
	s_mov_b32 s22, exec_lo
	s_delay_alu instid0(VALU_DEP_1)
	v_mov_b64_e32 v[54:55], v[26:27]
	v_cmpx_gt_u32_e32 8, v9
; %bb.1458:                             ;   in Loop: Header=BB331_1075 Depth=1
	v_clz_i32_u32_e32 v7, v26
	s_delay_alu instid0(VALU_DEP_1) | instskip(NEXT) | instid1(VALU_DEP_1)
	v_min_u32_e32 v7, 32, v7
	v_subrev_nc_u32_e32 v9, 28, v7
	s_delay_alu instid0(VALU_DEP_1) | instskip(NEXT) | instid1(VALU_DEP_1)
	v_lshlrev_b64_e32 v[16:17], v9, v[26:27]
	v_dual_sub_nc_u32 v7, 29, v7 :: v_dual_bitop2_b32 v54, 7, v16 bitop3:0x40
; %bb.1459:                             ;   in Loop: Header=BB331_1075 Depth=1
	s_or_b32 exec_lo, exec_lo, s22
	s_delay_alu instid0(VALU_DEP_1) | instskip(NEXT) | instid1(VALU_DEP_2)
	v_dual_lshlrev_b32 v8, 24, v8 :: v_dual_lshlrev_b32 v9, 20, v54
	v_lshl_add_u32 v7, v7, 23, 0x3c000000
	s_delay_alu instid0(VALU_DEP_2) | instskip(NEXT) | instid1(VALU_DEP_1)
	v_and_b32_e32 v8, 0x80000000, v8
	v_or3_b32 v7, v9, v8, v7
.LBB331_1460:                           ;   in Loop: Header=BB331_1075 Depth=1
	s_or_b32 exec_lo, exec_lo, s21
.LBB331_1461:                           ;   in Loop: Header=BB331_1075 Depth=1
	s_delay_alu instid0(SALU_CYCLE_1)
	s_or_b32 exec_lo, exec_lo, s20
.LBB331_1462:                           ;   in Loop: Header=BB331_1075 Depth=1
	s_delay_alu instid0(SALU_CYCLE_1) | instskip(NEXT) | instid1(SALU_CYCLE_1)
	s_or_b32 exec_lo, exec_lo, s19
	s_mov_b32 s19, exec_lo
	v_cmpx_lt_u64_e64 s[2:3], v[52:53]
	s_cbranch_execz .LBB331_1470
; %bb.1463:                             ;   in Loop: Header=BB331_1075 Depth=1
	v_lshrrev_b32_e32 v8, 24, v53
	v_bfrev_b32_e32 v6, 1
	s_mov_b32 s20, exec_lo
	s_delay_alu instid0(VALU_DEP_2)
	v_cmpx_ne_u32_e32 0x80, v8
	s_cbranch_execz .LBB331_1469
; %bb.1464:                             ;   in Loop: Header=BB331_1075 Depth=1
	v_bfe_u32 v9, v53, 24, 7
	v_mov_b32_e32 v6, 0x7f800001
	s_mov_b32 s21, exec_lo
	s_delay_alu instid0(VALU_DEP_2)
	v_cmpx_ne_u32_e32 0x7f, v9
	s_cbranch_execz .LBB331_1468
; %bb.1465:                             ;   in Loop: Header=BB331_1075 Depth=1
	v_dual_lshrrev_b32 v6, 3, v9 :: v_dual_bitop2_b32 v26, 7, v8 bitop3:0x40
	s_mov_b32 s22, exec_lo
	s_delay_alu instid0(VALU_DEP_1)
	v_mov_b64_e32 v[52:53], v[26:27]
	v_cmpx_gt_u32_e32 8, v9
; %bb.1466:                             ;   in Loop: Header=BB331_1075 Depth=1
	v_clz_i32_u32_e32 v6, v26
	s_delay_alu instid0(VALU_DEP_1) | instskip(NEXT) | instid1(VALU_DEP_1)
	v_min_u32_e32 v6, 32, v6
	v_subrev_nc_u32_e32 v9, 28, v6
	s_delay_alu instid0(VALU_DEP_1) | instskip(NEXT) | instid1(VALU_DEP_1)
	v_lshlrev_b64_e32 v[16:17], v9, v[26:27]
	v_dual_sub_nc_u32 v6, 29, v6 :: v_dual_bitop2_b32 v52, 7, v16 bitop3:0x40
; %bb.1467:                             ;   in Loop: Header=BB331_1075 Depth=1
	s_or_b32 exec_lo, exec_lo, s22
	v_lshlrev_b32_e32 v8, 24, v8
	s_delay_alu instid0(VALU_DEP_2) | instskip(NEXT) | instid1(VALU_DEP_3)
	v_lshlrev_b32_e32 v9, 20, v52
	v_lshl_add_u32 v6, v6, 23, 0x3c000000
	s_delay_alu instid0(VALU_DEP_3) | instskip(NEXT) | instid1(VALU_DEP_1)
	v_and_b32_e32 v8, 0x80000000, v8
	v_or3_b32 v6, v9, v8, v6
.LBB331_1468:                           ;   in Loop: Header=BB331_1075 Depth=1
	s_or_b32 exec_lo, exec_lo, s21
.LBB331_1469:                           ;   in Loop: Header=BB331_1075 Depth=1
	s_delay_alu instid0(SALU_CYCLE_1)
	s_or_b32 exec_lo, exec_lo, s20
.LBB331_1470:                           ;   in Loop: Header=BB331_1075 Depth=1
	s_delay_alu instid0(SALU_CYCLE_1)
	s_or_b32 exec_lo, exec_lo, s19
	v_fma_mixlo_bf16 v5, v118, v5, 0
	v_fma_mixlo_bf16 v4, v118, v4, 0
	v_fma_mixlo_bf16 v107, v118, v3, 0
	v_fma_mixlo_bf16 v108, v118, v2, 0
	v_fma_mixlo_bf16 v109, v118, v1, 0
	v_fma_mixlo_bf16 v110, v118, v0, 0
	v_fma_mixlo_bf16 v105, v118, v7, 0
	v_fma_mixlo_bf16 v106, v118, v6, 0
	s_clause 0x1
	scratch_store_b32 off, v5, s32 offset:376
	scratch_store_b32 off, v4, s32 offset:380
	s_wait_xcnt 0x0
	s_and_saveexec_b32 s19, vcc_lo
	s_cbranch_execz .LBB331_1472
; %bb.1471:                             ;   in Loop: Header=BB331_1075 Depth=1
	scratch_load_b32 v0, off, s32 offset:380 ; 4-byte Folded Reload
	v_cmp_lt_i32_e64 s1, v58, v99
	s_delay_alu instid0(VALU_DEP_1) | instskip(SKIP_1) | instid1(VALU_DEP_1)
	v_cndmask_b32_e64 v110, 0, v110, s1
	v_cmp_lt_i32_e64 s1, v62, v99
	v_cndmask_b32_e64 v109, 0, v109, s1
	v_cmp_lt_i32_e64 s1, v61, v99
	s_delay_alu instid0(VALU_DEP_1) | instskip(SKIP_1) | instid1(VALU_DEP_1)
	v_cndmask_b32_e64 v108, 0, v108, s1
	v_cmp_lt_i32_e64 s1, v60, v99
	v_cndmask_b32_e64 v107, 0, v107, s1
	v_cmp_lt_i32_e64 s1, v59, v99
	s_wait_loadcnt 0x0
	s_delay_alu instid0(VALU_DEP_1)
	v_cndmask_b32_e64 v0, 0, v0, s1
	v_cmp_lt_i32_e64 s1, v57, v99
	s_clause 0x1
	scratch_store_b32 off, v0, s32 offset:380
	scratch_load_b32 v0, off, s32 offset:376
	s_wait_loadcnt 0x0
	v_cndmask_b32_e64 v0, 0, v0, s1
	v_cmp_lt_i32_e64 s1, v56, v99
	s_delay_alu instid0(VALU_DEP_1) | instskip(SKIP_1) | instid1(VALU_DEP_1)
	v_cndmask_b32_e64 v105, 0, v105, s1
	v_cmp_lt_i32_e64 s1, v47, v99
	v_cndmask_b32_e64 v106, 0, v106, s1
	scratch_store_b32 off, v0, s32 offset:376 ; 4-byte Folded Spill
.LBB331_1472:                           ;   in Loop: Header=BB331_1075 Depth=1
	s_wait_xcnt 0x0
	s_or_b32 exec_lo, exec_lo, s19
	flat_load_b64 v[52:53], v[50:51] offset:1536
	v_dual_mov_b32 v1, 0 :: v_dual_mov_b32 v0, 0
	s_mov_b32 s19, exec_lo
	s_wait_loadcnt_dscnt 0x0
	v_and_b32_e32 v2, 0xff, v52
	s_wait_xcnt 0x0
	s_delay_alu instid0(VALU_DEP_1)
	v_cmpx_ne_u16_e32 0, v2
	s_cbranch_execz .LBB331_1480
; %bb.1473:                             ;   in Loop: Header=BB331_1075 Depth=1
	v_bfrev_b32_e32 v0, 1
	s_mov_b32 s20, exec_lo
	v_cmpx_ne_u16_e32 0x80, v2
	s_cbranch_execz .LBB331_1479
; %bb.1474:                             ;   in Loop: Header=BB331_1075 Depth=1
	v_and_b32_e32 v2, 0x7f, v52
	v_mov_b32_e32 v0, 0x7f800001
	s_mov_b32 s21, exec_lo
	s_delay_alu instid0(VALU_DEP_2)
	v_cmpx_ne_u32_e32 0x7f, v2
	s_cbranch_execz .LBB331_1478
; %bb.1475:                             ;   in Loop: Header=BB331_1075 Depth=1
	v_mov_b64_e32 v[54:55], v[52:53]
	v_lshrrev_b32_e32 v0, 3, v2
	s_mov_b32 s22, exec_lo
	v_cmpx_gt_u32_e32 8, v2
; %bb.1476:                             ;   in Loop: Header=BB331_1075 Depth=1
	v_and_b32_e32 v0, 7, v52
	s_delay_alu instid0(VALU_DEP_1) | instskip(NEXT) | instid1(VALU_DEP_1)
	v_clz_i32_u32_e32 v0, v0
	v_min_u32_e32 v0, 32, v0
	s_delay_alu instid0(VALU_DEP_1) | instskip(SKIP_1) | instid1(VALU_DEP_2)
	v_subrev_nc_u32_e32 v2, 28, v0
	v_sub_nc_u32_e32 v0, 29, v0
	v_lshlrev_b64_e32 v[54:55], v2, v[52:53]
; %bb.1477:                             ;   in Loop: Header=BB331_1075 Depth=1
	s_or_b32 exec_lo, exec_lo, s22
	s_delay_alu instid0(VALU_DEP_1) | instskip(NEXT) | instid1(VALU_DEP_3)
	v_dual_lshlrev_b32 v2, 20, v54 :: v_dual_lshlrev_b32 v3, 24, v52
	v_lshl_add_u32 v0, v0, 23, 0x3c000000
	s_delay_alu instid0(VALU_DEP_2) | instskip(NEXT) | instid1(VALU_DEP_3)
	v_and_b32_e32 v2, 0x700000, v2
	v_and_b32_e32 v3, 0x80000000, v3
	s_delay_alu instid0(VALU_DEP_1)
	v_or3_b32 v0, v2, v3, v0
.LBB331_1478:                           ;   in Loop: Header=BB331_1075 Depth=1
	s_or_b32 exec_lo, exec_lo, s21
.LBB331_1479:                           ;   in Loop: Header=BB331_1075 Depth=1
	s_delay_alu instid0(SALU_CYCLE_1)
	s_or_b32 exec_lo, exec_lo, s20
.LBB331_1480:                           ;   in Loop: Header=BB331_1075 Depth=1
	s_delay_alu instid0(SALU_CYCLE_1) | instskip(SKIP_2) | instid1(VALU_DEP_1)
	s_or_b32 exec_lo, exec_lo, s19
	v_lshrrev_b16 v2, 8, v52
	s_mov_b32 s19, exec_lo
	v_cmpx_ne_u16_e32 0, v2
	s_cbranch_execz .LBB331_1488
; %bb.1481:                             ;   in Loop: Header=BB331_1075 Depth=1
	v_bfrev_b32_e32 v1, 1
	s_mov_b32 s20, exec_lo
	v_cmpx_ne_u16_e32 0x80, v2
	s_cbranch_execz .LBB331_1487
; %bb.1482:                             ;   in Loop: Header=BB331_1075 Depth=1
	v_and_b32_e32 v3, 0xffff, v2
	v_mov_b32_e32 v1, 0x7f800001
	s_mov_b32 s21, exec_lo
	s_delay_alu instid0(VALU_DEP_2) | instskip(NEXT) | instid1(VALU_DEP_1)
	v_and_b32_e32 v2, 0x7f, v3
	v_cmpx_ne_u32_e32 0x7f, v2
	s_cbranch_execz .LBB331_1486
; %bb.1483:                             ;   in Loop: Header=BB331_1075 Depth=1
	v_dual_lshrrev_b32 v1, 3, v2 :: v_dual_bitop2_b32 v26, 7, v3 bitop3:0x40
	s_mov_b32 s22, exec_lo
	s_delay_alu instid0(VALU_DEP_1)
	v_mov_b64_e32 v[54:55], v[26:27]
	v_cmpx_gt_u32_e32 8, v2
; %bb.1484:                             ;   in Loop: Header=BB331_1075 Depth=1
	v_clz_i32_u32_e32 v1, v26
	s_delay_alu instid0(VALU_DEP_1) | instskip(NEXT) | instid1(VALU_DEP_1)
	v_min_u32_e32 v1, 32, v1
	v_subrev_nc_u32_e32 v2, 28, v1
	s_delay_alu instid0(VALU_DEP_1) | instskip(NEXT) | instid1(VALU_DEP_1)
	v_lshlrev_b64_e32 v[2:3], v2, v[26:27]
	v_dual_sub_nc_u32 v1, 29, v1 :: v_dual_bitop2_b32 v54, 7, v2 bitop3:0x40
; %bb.1485:                             ;   in Loop: Header=BB331_1075 Depth=1
	s_or_b32 exec_lo, exec_lo, s22
	s_delay_alu instid0(VALU_DEP_1) | instskip(NEXT) | instid1(VALU_DEP_2)
	v_dual_lshlrev_b32 v2, 16, v52 :: v_dual_lshlrev_b32 v3, 20, v54
	v_lshl_add_u32 v1, v1, 23, 0x3c000000
	s_delay_alu instid0(VALU_DEP_2) | instskip(NEXT) | instid1(VALU_DEP_1)
	v_and_b32_e32 v2, 0x80000000, v2
	v_or3_b32 v1, v3, v2, v1
.LBB331_1486:                           ;   in Loop: Header=BB331_1075 Depth=1
	s_or_b32 exec_lo, exec_lo, s21
.LBB331_1487:                           ;   in Loop: Header=BB331_1075 Depth=1
	s_delay_alu instid0(SALU_CYCLE_1)
	s_or_b32 exec_lo, exec_lo, s20
.LBB331_1488:                           ;   in Loop: Header=BB331_1075 Depth=1
	s_delay_alu instid0(SALU_CYCLE_1) | instskip(SKIP_3) | instid1(VALU_DEP_2)
	s_or_b32 exec_lo, exec_lo, s19
	v_dual_mov_b32 v3, 0 :: v_dual_lshrrev_b32 v4, 16, v52
	v_mov_b32_e32 v2, 0
	s_mov_b32 s19, exec_lo
	v_and_b32_e32 v5, 0xff, v4
	s_delay_alu instid0(VALU_DEP_1)
	v_cmpx_ne_u16_e32 0, v5
	s_cbranch_execz .LBB331_1496
; %bb.1489:                             ;   in Loop: Header=BB331_1075 Depth=1
	v_bfrev_b32_e32 v2, 1
	s_mov_b32 s20, exec_lo
	v_cmpx_ne_u16_e32 0x80, v5
	s_cbranch_execz .LBB331_1495
; %bb.1490:                             ;   in Loop: Header=BB331_1075 Depth=1
	v_bfe_u32 v5, v52, 16, 7
	v_mov_b32_e32 v2, 0x7f800001
	s_mov_b32 s21, exec_lo
	s_delay_alu instid0(VALU_DEP_2)
	v_cmpx_ne_u32_e32 0x7f, v5
	s_cbranch_execz .LBB331_1494
; %bb.1491:                             ;   in Loop: Header=BB331_1075 Depth=1
	v_dual_lshrrev_b32 v2, 3, v5 :: v_dual_bitop2_b32 v26, 7, v4 bitop3:0x40
	s_mov_b32 s22, exec_lo
	s_delay_alu instid0(VALU_DEP_1)
	v_mov_b64_e32 v[54:55], v[26:27]
	v_cmpx_gt_u32_e32 8, v5
; %bb.1492:                             ;   in Loop: Header=BB331_1075 Depth=1
	v_clz_i32_u32_e32 v2, v26
	s_delay_alu instid0(VALU_DEP_1) | instskip(NEXT) | instid1(VALU_DEP_1)
	v_min_u32_e32 v2, 32, v2
	v_subrev_nc_u32_e32 v5, 28, v2
	v_sub_nc_u32_e32 v2, 29, v2
	s_delay_alu instid0(VALU_DEP_2) | instskip(NEXT) | instid1(VALU_DEP_1)
	v_lshlrev_b64_e32 v[6:7], v5, v[26:27]
	v_and_b32_e32 v54, 7, v6
; %bb.1493:                             ;   in Loop: Header=BB331_1075 Depth=1
	s_or_b32 exec_lo, exec_lo, s22
	s_delay_alu instid0(VALU_DEP_1) | instskip(SKIP_1) | instid1(VALU_DEP_2)
	v_dual_lshlrev_b32 v4, 24, v4 :: v_dual_lshlrev_b32 v5, 20, v54
	v_lshl_add_u32 v2, v2, 23, 0x3c000000
	v_and_b32_e32 v4, 0x80000000, v4
	s_delay_alu instid0(VALU_DEP_1)
	v_or3_b32 v2, v5, v4, v2
.LBB331_1494:                           ;   in Loop: Header=BB331_1075 Depth=1
	s_or_b32 exec_lo, exec_lo, s21
.LBB331_1495:                           ;   in Loop: Header=BB331_1075 Depth=1
	s_delay_alu instid0(SALU_CYCLE_1)
	s_or_b32 exec_lo, exec_lo, s20
.LBB331_1496:                           ;   in Loop: Header=BB331_1075 Depth=1
	s_delay_alu instid0(SALU_CYCLE_1) | instskip(NEXT) | instid1(SALU_CYCLE_1)
	s_or_b32 exec_lo, exec_lo, s19
	s_mov_b32 s19, exec_lo
	v_cmpx_lt_u32_e32 0xffffff, v52
	s_cbranch_execz .LBB331_1504
; %bb.1497:                             ;   in Loop: Header=BB331_1075 Depth=1
	v_lshrrev_b32_e32 v4, 24, v52
	v_bfrev_b32_e32 v3, 1
	s_mov_b32 s20, exec_lo
	s_delay_alu instid0(VALU_DEP_2)
	v_cmpx_ne_u32_e32 0x80, v4
	s_cbranch_execz .LBB331_1503
; %bb.1498:                             ;   in Loop: Header=BB331_1075 Depth=1
	v_bfe_u32 v5, v52, 24, 7
	v_mov_b32_e32 v3, 0x7f800001
	s_mov_b32 s21, exec_lo
	s_delay_alu instid0(VALU_DEP_2)
	v_cmpx_ne_u32_e32 0x7f, v5
	s_cbranch_execz .LBB331_1502
; %bb.1499:                             ;   in Loop: Header=BB331_1075 Depth=1
	v_dual_lshrrev_b32 v3, 3, v5 :: v_dual_bitop2_b32 v26, 7, v4 bitop3:0x40
	s_mov_b32 s22, exec_lo
	s_delay_alu instid0(VALU_DEP_1)
	v_mov_b64_e32 v[54:55], v[26:27]
	v_cmpx_gt_u32_e32 8, v5
; %bb.1500:                             ;   in Loop: Header=BB331_1075 Depth=1
	v_clz_i32_u32_e32 v3, v26
	s_delay_alu instid0(VALU_DEP_1) | instskip(NEXT) | instid1(VALU_DEP_1)
	v_min_u32_e32 v3, 32, v3
	v_subrev_nc_u32_e32 v5, 28, v3
	s_delay_alu instid0(VALU_DEP_1) | instskip(NEXT) | instid1(VALU_DEP_1)
	v_lshlrev_b64_e32 v[6:7], v5, v[26:27]
	v_dual_sub_nc_u32 v3, 29, v3 :: v_dual_bitop2_b32 v54, 7, v6 bitop3:0x40
; %bb.1501:                             ;   in Loop: Header=BB331_1075 Depth=1
	s_or_b32 exec_lo, exec_lo, s22
	s_delay_alu instid0(VALU_DEP_1) | instskip(NEXT) | instid1(VALU_DEP_2)
	v_dual_lshlrev_b32 v4, 24, v4 :: v_dual_lshlrev_b32 v5, 20, v54
	v_lshl_add_u32 v3, v3, 23, 0x3c000000
	s_delay_alu instid0(VALU_DEP_2) | instskip(NEXT) | instid1(VALU_DEP_1)
	v_and_b32_e32 v4, 0x80000000, v4
	v_or3_b32 v3, v5, v4, v3
.LBB331_1502:                           ;   in Loop: Header=BB331_1075 Depth=1
	s_or_b32 exec_lo, exec_lo, s21
.LBB331_1503:                           ;   in Loop: Header=BB331_1075 Depth=1
	s_delay_alu instid0(SALU_CYCLE_1)
	s_or_b32 exec_lo, exec_lo, s20
.LBB331_1504:                           ;   in Loop: Header=BB331_1075 Depth=1
	s_delay_alu instid0(SALU_CYCLE_1) | instskip(SKIP_4) | instid1(VALU_DEP_3)
	s_or_b32 exec_lo, exec_lo, s19
	v_and_b32_e32 v6, 0xff, v53
	v_dual_mov_b32 v26, v53 :: v_dual_mov_b32 v5, 0
	v_mov_b32_e32 v4, 0
	s_mov_b32 s19, exec_lo
	v_cmpx_ne_u16_e32 0, v6
	s_cbranch_execz .LBB331_1512
; %bb.1505:                             ;   in Loop: Header=BB331_1075 Depth=1
	v_bfrev_b32_e32 v4, 1
	s_mov_b32 s20, exec_lo
	v_cmpx_ne_u16_e32 0x80, v6
	s_cbranch_execz .LBB331_1511
; %bb.1506:                             ;   in Loop: Header=BB331_1075 Depth=1
	v_and_b32_e32 v6, 0x7f, v53
	v_mov_b32_e32 v4, 0x7f800001
	s_mov_b32 s21, exec_lo
	s_delay_alu instid0(VALU_DEP_2)
	v_cmpx_ne_u32_e32 0x7f, v6
	s_cbranch_execz .LBB331_1510
; %bb.1507:                             ;   in Loop: Header=BB331_1075 Depth=1
	v_mov_b64_e32 v[54:55], v[26:27]
	v_lshrrev_b32_e32 v4, 3, v6
	s_mov_b32 s22, exec_lo
	v_cmpx_gt_u32_e32 8, v6
; %bb.1508:                             ;   in Loop: Header=BB331_1075 Depth=1
	v_and_b32_e32 v4, 7, v53
	s_delay_alu instid0(VALU_DEP_1) | instskip(NEXT) | instid1(VALU_DEP_1)
	v_clz_i32_u32_e32 v4, v4
	v_min_u32_e32 v4, 32, v4
	s_delay_alu instid0(VALU_DEP_1) | instskip(SKIP_1) | instid1(VALU_DEP_2)
	v_subrev_nc_u32_e32 v6, 28, v4
	v_sub_nc_u32_e32 v4, 29, v4
	v_lshlrev_b64_e32 v[54:55], v6, v[26:27]
; %bb.1509:                             ;   in Loop: Header=BB331_1075 Depth=1
	s_or_b32 exec_lo, exec_lo, s22
	s_delay_alu instid0(VALU_DEP_1) | instskip(SKIP_2) | instid1(VALU_DEP_3)
	v_lshlrev_b32_e32 v6, 20, v54
	v_lshlrev_b32_e32 v7, 24, v26
	v_lshl_add_u32 v4, v4, 23, 0x3c000000
	v_and_b32_e32 v6, 0x700000, v6
	s_delay_alu instid0(VALU_DEP_3) | instskip(NEXT) | instid1(VALU_DEP_1)
	v_and_b32_e32 v7, 0x80000000, v7
	v_or3_b32 v4, v6, v7, v4
.LBB331_1510:                           ;   in Loop: Header=BB331_1075 Depth=1
	s_or_b32 exec_lo, exec_lo, s21
.LBB331_1511:                           ;   in Loop: Header=BB331_1075 Depth=1
	s_delay_alu instid0(SALU_CYCLE_1)
	s_or_b32 exec_lo, exec_lo, s20
.LBB331_1512:                           ;   in Loop: Header=BB331_1075 Depth=1
	s_delay_alu instid0(SALU_CYCLE_1) | instskip(SKIP_2) | instid1(VALU_DEP_1)
	s_or_b32 exec_lo, exec_lo, s19
	v_lshrrev_b16 v6, 8, v26
	s_mov_b32 s19, exec_lo
	v_cmpx_ne_u16_e32 0, v6
	s_cbranch_execz .LBB331_1520
; %bb.1513:                             ;   in Loop: Header=BB331_1075 Depth=1
	v_bfrev_b32_e32 v5, 1
	s_mov_b32 s20, exec_lo
	v_cmpx_ne_u16_e32 0x80, v6
	s_cbranch_execz .LBB331_1519
; %bb.1514:                             ;   in Loop: Header=BB331_1075 Depth=1
	v_and_b32_e32 v7, 0xffff, v6
	v_mov_b32_e32 v5, 0x7f800001
	s_mov_b32 s21, exec_lo
	s_delay_alu instid0(VALU_DEP_2) | instskip(NEXT) | instid1(VALU_DEP_1)
	v_and_b32_e32 v6, 0x7f, v7
	v_cmpx_ne_u32_e32 0x7f, v6
	s_cbranch_execz .LBB331_1518
; %bb.1515:                             ;   in Loop: Header=BB331_1075 Depth=1
	v_dual_mov_b32 v55, v27 :: v_dual_bitop2_b32 v54, 7, v7 bitop3:0x40
	v_lshrrev_b32_e32 v5, 3, v6
	s_mov_b32 s22, exec_lo
	v_cmpx_gt_u32_e32 8, v6
; %bb.1516:                             ;   in Loop: Header=BB331_1075 Depth=1
	s_delay_alu instid0(VALU_DEP_3) | instskip(NEXT) | instid1(VALU_DEP_1)
	v_clz_i32_u32_e32 v5, v54
	v_min_u32_e32 v5, 32, v5
	s_delay_alu instid0(VALU_DEP_1) | instskip(NEXT) | instid1(VALU_DEP_1)
	v_subrev_nc_u32_e32 v6, 28, v5
	v_lshlrev_b64_e32 v[6:7], v6, v[54:55]
	s_delay_alu instid0(VALU_DEP_1)
	v_dual_sub_nc_u32 v5, 29, v5 :: v_dual_bitop2_b32 v54, 7, v6 bitop3:0x40
; %bb.1517:                             ;   in Loop: Header=BB331_1075 Depth=1
	s_or_b32 exec_lo, exec_lo, s22
	v_lshlrev_b32_e32 v6, 16, v26
	s_delay_alu instid0(VALU_DEP_2) | instskip(NEXT) | instid1(VALU_DEP_3)
	v_lshlrev_b32_e32 v7, 20, v54
	v_lshl_add_u32 v5, v5, 23, 0x3c000000
	s_delay_alu instid0(VALU_DEP_3) | instskip(NEXT) | instid1(VALU_DEP_1)
	v_and_b32_e32 v6, 0x80000000, v6
	v_or3_b32 v5, v7, v6, v5
.LBB331_1518:                           ;   in Loop: Header=BB331_1075 Depth=1
	s_or_b32 exec_lo, exec_lo, s21
.LBB331_1519:                           ;   in Loop: Header=BB331_1075 Depth=1
	s_delay_alu instid0(SALU_CYCLE_1)
	s_or_b32 exec_lo, exec_lo, s20
.LBB331_1520:                           ;   in Loop: Header=BB331_1075 Depth=1
	s_delay_alu instid0(SALU_CYCLE_1) | instskip(SKIP_3) | instid1(VALU_DEP_2)
	s_or_b32 exec_lo, exec_lo, s19
	v_dual_lshrrev_b32 v8, 16, v53 :: v_dual_mov_b32 v6, 0
	v_mov_b32_e32 v7, 0
	s_mov_b32 s19, exec_lo
	v_and_b32_e32 v9, 0xff, v8
	s_delay_alu instid0(VALU_DEP_1)
	v_cmpx_ne_u16_e32 0, v9
	s_cbranch_execz .LBB331_1528
; %bb.1521:                             ;   in Loop: Header=BB331_1075 Depth=1
	v_bfrev_b32_e32 v7, 1
	s_mov_b32 s20, exec_lo
	v_cmpx_ne_u16_e32 0x80, v9
	s_cbranch_execz .LBB331_1527
; %bb.1522:                             ;   in Loop: Header=BB331_1075 Depth=1
	v_bfe_u32 v9, v53, 16, 7
	v_mov_b32_e32 v7, 0x7f800001
	s_mov_b32 s21, exec_lo
	s_delay_alu instid0(VALU_DEP_2)
	v_cmpx_ne_u32_e32 0x7f, v9
	s_cbranch_execz .LBB331_1526
; %bb.1523:                             ;   in Loop: Header=BB331_1075 Depth=1
	v_dual_lshrrev_b32 v7, 3, v9 :: v_dual_bitop2_b32 v26, 7, v8 bitop3:0x40
	s_mov_b32 s22, exec_lo
	s_delay_alu instid0(VALU_DEP_1)
	v_mov_b64_e32 v[54:55], v[26:27]
	v_cmpx_gt_u32_e32 8, v9
; %bb.1524:                             ;   in Loop: Header=BB331_1075 Depth=1
	v_clz_i32_u32_e32 v7, v26
	s_delay_alu instid0(VALU_DEP_1) | instskip(NEXT) | instid1(VALU_DEP_1)
	v_min_u32_e32 v7, 32, v7
	v_subrev_nc_u32_e32 v9, 28, v7
	s_delay_alu instid0(VALU_DEP_1) | instskip(NEXT) | instid1(VALU_DEP_1)
	v_lshlrev_b64_e32 v[16:17], v9, v[26:27]
	v_dual_sub_nc_u32 v7, 29, v7 :: v_dual_bitop2_b32 v54, 7, v16 bitop3:0x40
; %bb.1525:                             ;   in Loop: Header=BB331_1075 Depth=1
	s_or_b32 exec_lo, exec_lo, s22
	s_delay_alu instid0(VALU_DEP_1) | instskip(NEXT) | instid1(VALU_DEP_2)
	v_dual_lshlrev_b32 v8, 24, v8 :: v_dual_lshlrev_b32 v9, 20, v54
	v_lshl_add_u32 v7, v7, 23, 0x3c000000
	s_delay_alu instid0(VALU_DEP_2) | instskip(NEXT) | instid1(VALU_DEP_1)
	v_and_b32_e32 v8, 0x80000000, v8
	v_or3_b32 v7, v9, v8, v7
.LBB331_1526:                           ;   in Loop: Header=BB331_1075 Depth=1
	s_or_b32 exec_lo, exec_lo, s21
.LBB331_1527:                           ;   in Loop: Header=BB331_1075 Depth=1
	s_delay_alu instid0(SALU_CYCLE_1)
	s_or_b32 exec_lo, exec_lo, s20
.LBB331_1528:                           ;   in Loop: Header=BB331_1075 Depth=1
	s_delay_alu instid0(SALU_CYCLE_1) | instskip(NEXT) | instid1(SALU_CYCLE_1)
	s_or_b32 exec_lo, exec_lo, s19
	s_mov_b32 s19, exec_lo
	v_cmpx_lt_u64_e64 s[2:3], v[52:53]
	s_cbranch_execz .LBB331_1536
; %bb.1529:                             ;   in Loop: Header=BB331_1075 Depth=1
	v_lshrrev_b32_e32 v8, 24, v53
	v_bfrev_b32_e32 v6, 1
	s_mov_b32 s20, exec_lo
	s_delay_alu instid0(VALU_DEP_2)
	v_cmpx_ne_u32_e32 0x80, v8
	s_cbranch_execz .LBB331_1535
; %bb.1530:                             ;   in Loop: Header=BB331_1075 Depth=1
	v_bfe_u32 v9, v53, 24, 7
	v_mov_b32_e32 v6, 0x7f800001
	s_mov_b32 s21, exec_lo
	s_delay_alu instid0(VALU_DEP_2)
	v_cmpx_ne_u32_e32 0x7f, v9
	s_cbranch_execz .LBB331_1534
; %bb.1531:                             ;   in Loop: Header=BB331_1075 Depth=1
	v_dual_lshrrev_b32 v6, 3, v9 :: v_dual_bitop2_b32 v26, 7, v8 bitop3:0x40
	s_mov_b32 s22, exec_lo
	s_delay_alu instid0(VALU_DEP_1)
	v_mov_b64_e32 v[52:53], v[26:27]
	v_cmpx_gt_u32_e32 8, v9
; %bb.1532:                             ;   in Loop: Header=BB331_1075 Depth=1
	v_clz_i32_u32_e32 v6, v26
	s_delay_alu instid0(VALU_DEP_1) | instskip(NEXT) | instid1(VALU_DEP_1)
	v_min_u32_e32 v6, 32, v6
	v_subrev_nc_u32_e32 v9, 28, v6
	s_delay_alu instid0(VALU_DEP_1) | instskip(NEXT) | instid1(VALU_DEP_1)
	v_lshlrev_b64_e32 v[16:17], v9, v[26:27]
	v_dual_sub_nc_u32 v6, 29, v6 :: v_dual_bitop2_b32 v52, 7, v16 bitop3:0x40
; %bb.1533:                             ;   in Loop: Header=BB331_1075 Depth=1
	s_or_b32 exec_lo, exec_lo, s22
	v_lshlrev_b32_e32 v8, 24, v8
	s_delay_alu instid0(VALU_DEP_2) | instskip(NEXT) | instid1(VALU_DEP_3)
	v_lshlrev_b32_e32 v9, 20, v52
	v_lshl_add_u32 v6, v6, 23, 0x3c000000
	s_delay_alu instid0(VALU_DEP_3) | instskip(NEXT) | instid1(VALU_DEP_1)
	v_and_b32_e32 v8, 0x80000000, v8
	v_or3_b32 v6, v9, v8, v6
.LBB331_1534:                           ;   in Loop: Header=BB331_1075 Depth=1
	s_or_b32 exec_lo, exec_lo, s21
.LBB331_1535:                           ;   in Loop: Header=BB331_1075 Depth=1
	s_delay_alu instid0(SALU_CYCLE_1)
	s_or_b32 exec_lo, exec_lo, s20
.LBB331_1536:                           ;   in Loop: Header=BB331_1075 Depth=1
	s_delay_alu instid0(SALU_CYCLE_1)
	s_or_b32 exec_lo, exec_lo, s19
	v_fma_mixlo_bf16 v111, v118, v5, 0
	v_fma_mixlo_bf16 v120, v118, v4, 0
	;; [unrolled: 1-line block ×8, first 2 shown]
	s_and_saveexec_b32 s19, vcc_lo
	s_cbranch_execz .LBB331_1538
; %bb.1537:                             ;   in Loop: Header=BB331_1075 Depth=1
	v_cmp_lt_i32_e64 s1, v58, v99
	s_delay_alu instid0(VALU_DEP_1) | instskip(SKIP_1) | instid1(VALU_DEP_1)
	v_cndmask_b32_e64 v126, 0, v126, s1
	v_cmp_lt_i32_e64 s1, v62, v99
	v_cndmask_b32_e64 v125, 0, v125, s1
	v_cmp_lt_i32_e64 s1, v61, v99
	s_delay_alu instid0(VALU_DEP_1) | instskip(SKIP_1) | instid1(VALU_DEP_1)
	v_cndmask_b32_e64 v124, 0, v124, s1
	v_cmp_lt_i32_e64 s1, v60, v99
	v_cndmask_b32_e64 v123, 0, v123, s1
	;; [unrolled: 5-line block ×4, first 2 shown]
.LBB331_1538:                           ;   in Loop: Header=BB331_1075 Depth=1
	s_or_b32 exec_lo, exec_lo, s19
	flat_load_b64 v[52:53], v[50:51] offset:1792
	v_dual_mov_b32 v3, 0 :: v_dual_mov_b32 v2, 0
	s_mov_b32 s19, exec_lo
	s_wait_loadcnt_dscnt 0x0
	v_and_b32_e32 v0, 0xff, v52
	s_wait_xcnt 0x0
	s_delay_alu instid0(VALU_DEP_1)
	v_cmpx_ne_u16_e32 0, v0
	s_cbranch_execz .LBB331_1546
; %bb.1539:                             ;   in Loop: Header=BB331_1075 Depth=1
	v_bfrev_b32_e32 v2, 1
	s_mov_b32 s20, exec_lo
	v_cmpx_ne_u16_e32 0x80, v0
	s_cbranch_execz .LBB331_1545
; %bb.1540:                             ;   in Loop: Header=BB331_1075 Depth=1
	v_and_b32_e32 v1, 0x7f, v52
	v_mov_b32_e32 v2, 0x7f800001
	s_mov_b32 s21, exec_lo
	s_delay_alu instid0(VALU_DEP_2)
	v_cmpx_ne_u32_e32 0x7f, v1
	s_cbranch_execz .LBB331_1544
; %bb.1541:                             ;   in Loop: Header=BB331_1075 Depth=1
	v_mov_b64_e32 v[54:55], v[52:53]
	v_lshrrev_b32_e32 v0, 3, v1
	s_mov_b32 s22, exec_lo
	v_cmpx_gt_u32_e32 8, v1
; %bb.1542:                             ;   in Loop: Header=BB331_1075 Depth=1
	v_and_b32_e32 v0, 7, v52
	s_delay_alu instid0(VALU_DEP_1) | instskip(NEXT) | instid1(VALU_DEP_1)
	v_clz_i32_u32_e32 v0, v0
	v_min_u32_e32 v0, 32, v0
	s_delay_alu instid0(VALU_DEP_1) | instskip(SKIP_1) | instid1(VALU_DEP_2)
	v_subrev_nc_u32_e32 v1, 28, v0
	v_sub_nc_u32_e32 v0, 29, v0
	v_lshlrev_b64_e32 v[54:55], v1, v[52:53]
; %bb.1543:                             ;   in Loop: Header=BB331_1075 Depth=1
	s_or_b32 exec_lo, exec_lo, s22
	s_delay_alu instid0(VALU_DEP_1) | instskip(NEXT) | instid1(VALU_DEP_3)
	v_dual_lshlrev_b32 v1, 20, v54 :: v_dual_lshlrev_b32 v2, 24, v52
	v_lshl_add_u32 v0, v0, 23, 0x3c000000
	s_delay_alu instid0(VALU_DEP_2) | instskip(NEXT) | instid1(VALU_DEP_3)
	v_and_b32_e32 v1, 0x700000, v1
	v_and_b32_e32 v2, 0x80000000, v2
	s_delay_alu instid0(VALU_DEP_1)
	v_or3_b32 v2, v1, v2, v0
.LBB331_1544:                           ;   in Loop: Header=BB331_1075 Depth=1
	s_or_b32 exec_lo, exec_lo, s21
.LBB331_1545:                           ;   in Loop: Header=BB331_1075 Depth=1
	s_delay_alu instid0(SALU_CYCLE_1)
	s_or_b32 exec_lo, exec_lo, s20
.LBB331_1546:                           ;   in Loop: Header=BB331_1075 Depth=1
	s_delay_alu instid0(SALU_CYCLE_1) | instskip(SKIP_2) | instid1(VALU_DEP_1)
	s_or_b32 exec_lo, exec_lo, s19
	v_lshrrev_b16 v0, 8, v52
	s_mov_b32 s19, exec_lo
	v_cmpx_ne_u16_e32 0, v0
	s_cbranch_execz .LBB331_1554
; %bb.1547:                             ;   in Loop: Header=BB331_1075 Depth=1
	v_bfrev_b32_e32 v3, 1
	s_mov_b32 s20, exec_lo
	v_cmpx_ne_u16_e32 0x80, v0
	s_cbranch_execz .LBB331_1553
; %bb.1548:                             ;   in Loop: Header=BB331_1075 Depth=1
	v_and_b32_e32 v0, 0xffff, v0
	v_mov_b32_e32 v3, 0x7f800001
	s_mov_b32 s21, exec_lo
	s_delay_alu instid0(VALU_DEP_2) | instskip(NEXT) | instid1(VALU_DEP_1)
	v_and_b32_e32 v1, 0x7f, v0
	v_cmpx_ne_u32_e32 0x7f, v1
	s_cbranch_execz .LBB331_1552
; %bb.1549:                             ;   in Loop: Header=BB331_1075 Depth=1
	v_dual_lshrrev_b32 v0, 3, v1 :: v_dual_bitop2_b32 v26, 7, v0 bitop3:0x40
	s_mov_b32 s22, exec_lo
	s_delay_alu instid0(VALU_DEP_1)
	v_mov_b64_e32 v[54:55], v[26:27]
	v_cmpx_gt_u32_e32 8, v1
; %bb.1550:                             ;   in Loop: Header=BB331_1075 Depth=1
	v_clz_i32_u32_e32 v0, v26
	s_delay_alu instid0(VALU_DEP_1) | instskip(NEXT) | instid1(VALU_DEP_1)
	v_min_u32_e32 v0, 32, v0
	v_subrev_nc_u32_e32 v1, 28, v0
	v_sub_nc_u32_e32 v0, 29, v0
	s_delay_alu instid0(VALU_DEP_2) | instskip(NEXT) | instid1(VALU_DEP_1)
	v_lshlrev_b64_e32 v[4:5], v1, v[26:27]
	v_and_b32_e32 v54, 7, v4
; %bb.1551:                             ;   in Loop: Header=BB331_1075 Depth=1
	s_or_b32 exec_lo, exec_lo, s22
	s_delay_alu instid0(VALU_DEP_1) | instskip(SKIP_1) | instid1(VALU_DEP_2)
	v_dual_lshlrev_b32 v1, 16, v52 :: v_dual_lshlrev_b32 v3, 20, v54
	v_lshl_add_u32 v0, v0, 23, 0x3c000000
	v_and_b32_e32 v1, 0x80000000, v1
	s_delay_alu instid0(VALU_DEP_1)
	v_or3_b32 v3, v3, v1, v0
.LBB331_1552:                           ;   in Loop: Header=BB331_1075 Depth=1
	s_or_b32 exec_lo, exec_lo, s21
.LBB331_1553:                           ;   in Loop: Header=BB331_1075 Depth=1
	s_delay_alu instid0(SALU_CYCLE_1)
	s_or_b32 exec_lo, exec_lo, s20
.LBB331_1554:                           ;   in Loop: Header=BB331_1075 Depth=1
	s_delay_alu instid0(SALU_CYCLE_1) | instskip(SKIP_3) | instid1(VALU_DEP_2)
	s_or_b32 exec_lo, exec_lo, s19
	v_dual_mov_b32 v5, 0 :: v_dual_lshrrev_b32 v0, 16, v52
	v_mov_b32_e32 v4, 0
	s_mov_b32 s19, exec_lo
	v_and_b32_e32 v1, 0xff, v0
	s_delay_alu instid0(VALU_DEP_1)
	v_cmpx_ne_u16_e32 0, v1
	s_cbranch_execz .LBB331_1562
; %bb.1555:                             ;   in Loop: Header=BB331_1075 Depth=1
	v_bfrev_b32_e32 v4, 1
	s_mov_b32 s20, exec_lo
	v_cmpx_ne_u16_e32 0x80, v1
	s_cbranch_execz .LBB331_1561
; %bb.1556:                             ;   in Loop: Header=BB331_1075 Depth=1
	v_bfe_u32 v6, v52, 16, 7
	v_mov_b32_e32 v4, 0x7f800001
	s_mov_b32 s21, exec_lo
	s_delay_alu instid0(VALU_DEP_2)
	v_cmpx_ne_u32_e32 0x7f, v6
	s_cbranch_execz .LBB331_1560
; %bb.1557:                             ;   in Loop: Header=BB331_1075 Depth=1
	v_dual_lshrrev_b32 v1, 3, v6 :: v_dual_bitop2_b32 v26, 7, v0 bitop3:0x40
	s_mov_b32 s22, exec_lo
	s_delay_alu instid0(VALU_DEP_1)
	v_mov_b64_e32 v[54:55], v[26:27]
	v_cmpx_gt_u32_e32 8, v6
; %bb.1558:                             ;   in Loop: Header=BB331_1075 Depth=1
	v_clz_i32_u32_e32 v1, v26
	s_delay_alu instid0(VALU_DEP_1) | instskip(NEXT) | instid1(VALU_DEP_1)
	v_min_u32_e32 v1, 32, v1
	v_subrev_nc_u32_e32 v4, 28, v1
	s_delay_alu instid0(VALU_DEP_1) | instskip(NEXT) | instid1(VALU_DEP_1)
	v_lshlrev_b64_e32 v[6:7], v4, v[26:27]
	v_dual_sub_nc_u32 v1, 29, v1 :: v_dual_bitop2_b32 v54, 7, v6 bitop3:0x40
; %bb.1559:                             ;   in Loop: Header=BB331_1075 Depth=1
	s_or_b32 exec_lo, exec_lo, s22
	s_delay_alu instid0(VALU_DEP_1) | instskip(NEXT) | instid1(VALU_DEP_2)
	v_dual_lshlrev_b32 v0, 24, v0 :: v_dual_lshlrev_b32 v4, 20, v54
	v_lshl_add_u32 v1, v1, 23, 0x3c000000
	s_delay_alu instid0(VALU_DEP_2) | instskip(NEXT) | instid1(VALU_DEP_1)
	v_and_b32_e32 v0, 0x80000000, v0
	v_or3_b32 v4, v4, v0, v1
.LBB331_1560:                           ;   in Loop: Header=BB331_1075 Depth=1
	s_or_b32 exec_lo, exec_lo, s21
.LBB331_1561:                           ;   in Loop: Header=BB331_1075 Depth=1
	s_delay_alu instid0(SALU_CYCLE_1)
	s_or_b32 exec_lo, exec_lo, s20
.LBB331_1562:                           ;   in Loop: Header=BB331_1075 Depth=1
	s_delay_alu instid0(SALU_CYCLE_1) | instskip(NEXT) | instid1(SALU_CYCLE_1)
	s_or_b32 exec_lo, exec_lo, s19
	s_mov_b32 s19, exec_lo
	v_cmpx_lt_u32_e32 0xffffff, v52
	s_cbranch_execz .LBB331_1570
; %bb.1563:                             ;   in Loop: Header=BB331_1075 Depth=1
	v_lshrrev_b32_e32 v0, 24, v52
	v_bfrev_b32_e32 v5, 1
	s_mov_b32 s20, exec_lo
	s_delay_alu instid0(VALU_DEP_2)
	v_cmpx_ne_u32_e32 0x80, v0
	s_cbranch_execz .LBB331_1569
; %bb.1564:                             ;   in Loop: Header=BB331_1075 Depth=1
	v_bfe_u32 v6, v52, 24, 7
	v_mov_b32_e32 v5, 0x7f800001
	s_mov_b32 s21, exec_lo
	s_delay_alu instid0(VALU_DEP_2)
	v_cmpx_ne_u32_e32 0x7f, v6
	s_cbranch_execz .LBB331_1568
; %bb.1565:                             ;   in Loop: Header=BB331_1075 Depth=1
	v_dual_lshrrev_b32 v1, 3, v6 :: v_dual_bitop2_b32 v26, 7, v0 bitop3:0x40
	s_mov_b32 s22, exec_lo
	s_delay_alu instid0(VALU_DEP_1)
	v_mov_b64_e32 v[54:55], v[26:27]
	v_cmpx_gt_u32_e32 8, v6
; %bb.1566:                             ;   in Loop: Header=BB331_1075 Depth=1
	v_clz_i32_u32_e32 v1, v26
	s_delay_alu instid0(VALU_DEP_1) | instskip(NEXT) | instid1(VALU_DEP_1)
	v_min_u32_e32 v1, 32, v1
	v_subrev_nc_u32_e32 v5, 28, v1
	s_delay_alu instid0(VALU_DEP_1) | instskip(NEXT) | instid1(VALU_DEP_1)
	v_lshlrev_b64_e32 v[6:7], v5, v[26:27]
	v_dual_sub_nc_u32 v1, 29, v1 :: v_dual_bitop2_b32 v54, 7, v6 bitop3:0x40
; %bb.1567:                             ;   in Loop: Header=BB331_1075 Depth=1
	s_or_b32 exec_lo, exec_lo, s22
	s_delay_alu instid0(VALU_DEP_1) | instskip(NEXT) | instid1(VALU_DEP_2)
	v_dual_lshlrev_b32 v0, 24, v0 :: v_dual_lshlrev_b32 v5, 20, v54
	v_lshl_add_u32 v1, v1, 23, 0x3c000000
	s_delay_alu instid0(VALU_DEP_2) | instskip(NEXT) | instid1(VALU_DEP_1)
	v_and_b32_e32 v0, 0x80000000, v0
	v_or3_b32 v5, v5, v0, v1
.LBB331_1568:                           ;   in Loop: Header=BB331_1075 Depth=1
	s_or_b32 exec_lo, exec_lo, s21
.LBB331_1569:                           ;   in Loop: Header=BB331_1075 Depth=1
	s_delay_alu instid0(SALU_CYCLE_1)
	s_or_b32 exec_lo, exec_lo, s20
.LBB331_1570:                           ;   in Loop: Header=BB331_1075 Depth=1
	s_delay_alu instid0(SALU_CYCLE_1) | instskip(SKIP_4) | instid1(VALU_DEP_3)
	s_or_b32 exec_lo, exec_lo, s19
	v_and_b32_e32 v6, 0xff, v53
	v_dual_mov_b32 v26, v53 :: v_dual_mov_b32 v0, 0
	v_mov_b32_e32 v1, 0
	s_mov_b32 s19, exec_lo
	v_cmpx_ne_u16_e32 0, v6
	s_cbranch_execz .LBB331_1578
; %bb.1571:                             ;   in Loop: Header=BB331_1075 Depth=1
	v_bfrev_b32_e32 v1, 1
	s_mov_b32 s20, exec_lo
	v_cmpx_ne_u16_e32 0x80, v6
	s_cbranch_execz .LBB331_1577
; %bb.1572:                             ;   in Loop: Header=BB331_1075 Depth=1
	v_and_b32_e32 v6, 0x7f, v53
	v_mov_b32_e32 v1, 0x7f800001
	s_mov_b32 s21, exec_lo
	s_delay_alu instid0(VALU_DEP_2)
	v_cmpx_ne_u32_e32 0x7f, v6
	s_cbranch_execz .LBB331_1576
; %bb.1573:                             ;   in Loop: Header=BB331_1075 Depth=1
	v_mov_b64_e32 v[54:55], v[26:27]
	v_lshrrev_b32_e32 v1, 3, v6
	s_mov_b32 s22, exec_lo
	v_cmpx_gt_u32_e32 8, v6
; %bb.1574:                             ;   in Loop: Header=BB331_1075 Depth=1
	v_and_b32_e32 v1, 7, v53
	s_delay_alu instid0(VALU_DEP_1) | instskip(NEXT) | instid1(VALU_DEP_1)
	v_clz_i32_u32_e32 v1, v1
	v_min_u32_e32 v1, 32, v1
	s_delay_alu instid0(VALU_DEP_1) | instskip(SKIP_1) | instid1(VALU_DEP_2)
	v_subrev_nc_u32_e32 v6, 28, v1
	v_sub_nc_u32_e32 v1, 29, v1
	v_lshlrev_b64_e32 v[54:55], v6, v[26:27]
; %bb.1575:                             ;   in Loop: Header=BB331_1075 Depth=1
	s_or_b32 exec_lo, exec_lo, s22
	s_delay_alu instid0(VALU_DEP_1) | instskip(SKIP_2) | instid1(VALU_DEP_3)
	v_lshlrev_b32_e32 v6, 20, v54
	v_lshlrev_b32_e32 v7, 24, v26
	v_lshl_add_u32 v1, v1, 23, 0x3c000000
	v_and_b32_e32 v6, 0x700000, v6
	s_delay_alu instid0(VALU_DEP_3) | instskip(NEXT) | instid1(VALU_DEP_1)
	v_and_b32_e32 v7, 0x80000000, v7
	v_or3_b32 v1, v6, v7, v1
.LBB331_1576:                           ;   in Loop: Header=BB331_1075 Depth=1
	s_or_b32 exec_lo, exec_lo, s21
.LBB331_1577:                           ;   in Loop: Header=BB331_1075 Depth=1
	s_delay_alu instid0(SALU_CYCLE_1)
	s_or_b32 exec_lo, exec_lo, s20
.LBB331_1578:                           ;   in Loop: Header=BB331_1075 Depth=1
	s_delay_alu instid0(SALU_CYCLE_1) | instskip(SKIP_2) | instid1(VALU_DEP_1)
	s_or_b32 exec_lo, exec_lo, s19
	v_lshrrev_b16 v6, 8, v26
	s_mov_b32 s19, exec_lo
	v_cmpx_ne_u16_e32 0, v6
	s_cbranch_execz .LBB331_1586
; %bb.1579:                             ;   in Loop: Header=BB331_1075 Depth=1
	v_bfrev_b32_e32 v0, 1
	s_mov_b32 s20, exec_lo
	v_cmpx_ne_u16_e32 0x80, v6
	s_cbranch_execz .LBB331_1585
; %bb.1580:                             ;   in Loop: Header=BB331_1075 Depth=1
	v_and_b32_e32 v7, 0xffff, v6
	v_mov_b32_e32 v0, 0x7f800001
	s_mov_b32 s21, exec_lo
	s_delay_alu instid0(VALU_DEP_2) | instskip(NEXT) | instid1(VALU_DEP_1)
	v_and_b32_e32 v6, 0x7f, v7
	v_cmpx_ne_u32_e32 0x7f, v6
	s_cbranch_execz .LBB331_1584
; %bb.1581:                             ;   in Loop: Header=BB331_1075 Depth=1
	v_dual_mov_b32 v55, v27 :: v_dual_bitop2_b32 v54, 7, v7 bitop3:0x40
	v_lshrrev_b32_e32 v0, 3, v6
	s_mov_b32 s22, exec_lo
	v_cmpx_gt_u32_e32 8, v6
; %bb.1582:                             ;   in Loop: Header=BB331_1075 Depth=1
	s_delay_alu instid0(VALU_DEP_3) | instskip(NEXT) | instid1(VALU_DEP_1)
	v_clz_i32_u32_e32 v0, v54
	v_min_u32_e32 v0, 32, v0
	s_delay_alu instid0(VALU_DEP_1) | instskip(NEXT) | instid1(VALU_DEP_1)
	v_subrev_nc_u32_e32 v6, 28, v0
	v_lshlrev_b64_e32 v[6:7], v6, v[54:55]
	s_delay_alu instid0(VALU_DEP_1)
	v_dual_sub_nc_u32 v0, 29, v0 :: v_dual_bitop2_b32 v54, 7, v6 bitop3:0x40
; %bb.1583:                             ;   in Loop: Header=BB331_1075 Depth=1
	s_or_b32 exec_lo, exec_lo, s22
	v_lshlrev_b32_e32 v6, 16, v26
	s_delay_alu instid0(VALU_DEP_2) | instskip(NEXT) | instid1(VALU_DEP_3)
	v_lshlrev_b32_e32 v7, 20, v54
	v_lshl_add_u32 v0, v0, 23, 0x3c000000
	s_delay_alu instid0(VALU_DEP_3) | instskip(NEXT) | instid1(VALU_DEP_1)
	v_and_b32_e32 v6, 0x80000000, v6
	v_or3_b32 v0, v7, v6, v0
.LBB331_1584:                           ;   in Loop: Header=BB331_1075 Depth=1
	s_or_b32 exec_lo, exec_lo, s21
.LBB331_1585:                           ;   in Loop: Header=BB331_1075 Depth=1
	s_delay_alu instid0(SALU_CYCLE_1)
	s_or_b32 exec_lo, exec_lo, s20
.LBB331_1586:                           ;   in Loop: Header=BB331_1075 Depth=1
	s_delay_alu instid0(SALU_CYCLE_1) | instskip(SKIP_3) | instid1(VALU_DEP_2)
	s_or_b32 exec_lo, exec_lo, s19
	v_dual_lshrrev_b32 v8, 16, v53 :: v_dual_mov_b32 v6, 0
	v_mov_b32_e32 v7, 0
	s_mov_b32 s19, exec_lo
	v_and_b32_e32 v9, 0xff, v8
	s_delay_alu instid0(VALU_DEP_1)
	v_cmpx_ne_u16_e32 0, v9
	s_cbranch_execz .LBB331_1594
; %bb.1587:                             ;   in Loop: Header=BB331_1075 Depth=1
	v_bfrev_b32_e32 v7, 1
	s_mov_b32 s20, exec_lo
	v_cmpx_ne_u16_e32 0x80, v9
	s_cbranch_execz .LBB331_1593
; %bb.1588:                             ;   in Loop: Header=BB331_1075 Depth=1
	v_bfe_u32 v9, v53, 16, 7
	v_mov_b32_e32 v7, 0x7f800001
	s_mov_b32 s21, exec_lo
	s_delay_alu instid0(VALU_DEP_2)
	v_cmpx_ne_u32_e32 0x7f, v9
	s_cbranch_execz .LBB331_1592
; %bb.1589:                             ;   in Loop: Header=BB331_1075 Depth=1
	v_dual_lshrrev_b32 v7, 3, v9 :: v_dual_bitop2_b32 v26, 7, v8 bitop3:0x40
	s_mov_b32 s22, exec_lo
	s_delay_alu instid0(VALU_DEP_1)
	v_mov_b64_e32 v[54:55], v[26:27]
	v_cmpx_gt_u32_e32 8, v9
; %bb.1590:                             ;   in Loop: Header=BB331_1075 Depth=1
	v_clz_i32_u32_e32 v7, v26
	s_delay_alu instid0(VALU_DEP_1) | instskip(NEXT) | instid1(VALU_DEP_1)
	v_min_u32_e32 v7, 32, v7
	v_subrev_nc_u32_e32 v9, 28, v7
	s_delay_alu instid0(VALU_DEP_1) | instskip(NEXT) | instid1(VALU_DEP_1)
	v_lshlrev_b64_e32 v[16:17], v9, v[26:27]
	v_dual_sub_nc_u32 v7, 29, v7 :: v_dual_bitop2_b32 v54, 7, v16 bitop3:0x40
; %bb.1591:                             ;   in Loop: Header=BB331_1075 Depth=1
	s_or_b32 exec_lo, exec_lo, s22
	s_delay_alu instid0(VALU_DEP_1) | instskip(NEXT) | instid1(VALU_DEP_2)
	v_dual_lshlrev_b32 v8, 24, v8 :: v_dual_lshlrev_b32 v9, 20, v54
	v_lshl_add_u32 v7, v7, 23, 0x3c000000
	s_delay_alu instid0(VALU_DEP_2) | instskip(NEXT) | instid1(VALU_DEP_1)
	v_and_b32_e32 v8, 0x80000000, v8
	v_or3_b32 v7, v9, v8, v7
.LBB331_1592:                           ;   in Loop: Header=BB331_1075 Depth=1
	s_or_b32 exec_lo, exec_lo, s21
.LBB331_1593:                           ;   in Loop: Header=BB331_1075 Depth=1
	s_delay_alu instid0(SALU_CYCLE_1)
	s_or_b32 exec_lo, exec_lo, s20
.LBB331_1594:                           ;   in Loop: Header=BB331_1075 Depth=1
	s_delay_alu instid0(SALU_CYCLE_1) | instskip(NEXT) | instid1(SALU_CYCLE_1)
	s_or_b32 exec_lo, exec_lo, s19
	s_mov_b32 s19, exec_lo
	v_cmpx_lt_u64_e64 s[2:3], v[52:53]
	s_cbranch_execz .LBB331_1602
; %bb.1595:                             ;   in Loop: Header=BB331_1075 Depth=1
	v_lshrrev_b32_e32 v8, 24, v53
	v_bfrev_b32_e32 v6, 1
	s_mov_b32 s20, exec_lo
	s_delay_alu instid0(VALU_DEP_2)
	v_cmpx_ne_u32_e32 0x80, v8
	s_cbranch_execz .LBB331_1601
; %bb.1596:                             ;   in Loop: Header=BB331_1075 Depth=1
	v_bfe_u32 v9, v53, 24, 7
	v_mov_b32_e32 v6, 0x7f800001
	s_mov_b32 s21, exec_lo
	s_delay_alu instid0(VALU_DEP_2)
	v_cmpx_ne_u32_e32 0x7f, v9
	s_cbranch_execz .LBB331_1600
; %bb.1597:                             ;   in Loop: Header=BB331_1075 Depth=1
	v_dual_lshrrev_b32 v6, 3, v9 :: v_dual_bitop2_b32 v26, 7, v8 bitop3:0x40
	s_mov_b32 s22, exec_lo
	s_delay_alu instid0(VALU_DEP_1)
	v_mov_b64_e32 v[52:53], v[26:27]
	v_cmpx_gt_u32_e32 8, v9
; %bb.1598:                             ;   in Loop: Header=BB331_1075 Depth=1
	v_clz_i32_u32_e32 v6, v26
	s_delay_alu instid0(VALU_DEP_1) | instskip(NEXT) | instid1(VALU_DEP_1)
	v_min_u32_e32 v6, 32, v6
	v_subrev_nc_u32_e32 v9, 28, v6
	s_delay_alu instid0(VALU_DEP_1) | instskip(NEXT) | instid1(VALU_DEP_1)
	v_lshlrev_b64_e32 v[16:17], v9, v[26:27]
	v_dual_sub_nc_u32 v6, 29, v6 :: v_dual_bitop2_b32 v52, 7, v16 bitop3:0x40
; %bb.1599:                             ;   in Loop: Header=BB331_1075 Depth=1
	s_or_b32 exec_lo, exec_lo, s22
	v_lshlrev_b32_e32 v8, 24, v8
	s_delay_alu instid0(VALU_DEP_2) | instskip(NEXT) | instid1(VALU_DEP_3)
	v_lshlrev_b32_e32 v9, 20, v52
	v_lshl_add_u32 v6, v6, 23, 0x3c000000
	s_delay_alu instid0(VALU_DEP_3) | instskip(NEXT) | instid1(VALU_DEP_1)
	v_and_b32_e32 v8, 0x80000000, v8
	v_or3_b32 v6, v9, v8, v6
.LBB331_1600:                           ;   in Loop: Header=BB331_1075 Depth=1
	s_or_b32 exec_lo, exec_lo, s21
.LBB331_1601:                           ;   in Loop: Header=BB331_1075 Depth=1
	s_delay_alu instid0(SALU_CYCLE_1)
	s_or_b32 exec_lo, exec_lo, s20
.LBB331_1602:                           ;   in Loop: Header=BB331_1075 Depth=1
	s_delay_alu instid0(SALU_CYCLE_1)
	s_or_b32 exec_lo, exec_lo, s19
	v_fma_mixlo_bf16 v0, v118, v0, 0
	v_fma_mixlo_bf16 v1, v118, v1, 0
	;; [unrolled: 1-line block ×8, first 2 shown]
	s_and_saveexec_b32 s19, vcc_lo
	s_cbranch_execz .LBB331_1604
; %bb.1603:                             ;   in Loop: Header=BB331_1075 Depth=1
	v_cmp_lt_i32_e64 s1, v58, v99
	s_delay_alu instid0(VALU_DEP_1) | instskip(SKIP_1) | instid1(VALU_DEP_1)
	v_cndmask_b32_e64 v97, 0, v97, s1
	v_cmp_lt_i32_e64 s1, v62, v99
	v_cndmask_b32_e64 v66, 0, v66, s1
	v_cmp_lt_i32_e64 s1, v61, v99
	s_delay_alu instid0(VALU_DEP_1) | instskip(SKIP_1) | instid1(VALU_DEP_1)
	v_cndmask_b32_e64 v127, 0, v127, s1
	v_cmp_lt_i32_e64 s1, v60, v99
	v_cndmask_b32_e64 v100, 0, v100, s1
	;; [unrolled: 5-line block ×4, first 2 shown]
.LBB331_1604:                           ;   in Loop: Header=BB331_1075 Depth=1
	s_or_b32 exec_lo, exec_lo, s19
	flat_load_b64 v[52:53], v[50:51] offset:2048
	v_dual_mov_b32 v3, 0 :: v_dual_mov_b32 v2, 0
	s_mov_b32 s19, exec_lo
	s_wait_loadcnt_dscnt 0x0
	v_and_b32_e32 v4, 0xff, v52
	s_wait_xcnt 0x0
	s_delay_alu instid0(VALU_DEP_1)
	v_cmpx_ne_u16_e32 0, v4
	s_cbranch_execz .LBB331_1612
; %bb.1605:                             ;   in Loop: Header=BB331_1075 Depth=1
	v_bfrev_b32_e32 v2, 1
	s_mov_b32 s20, exec_lo
	v_cmpx_ne_u16_e32 0x80, v4
	s_cbranch_execz .LBB331_1611
; %bb.1606:                             ;   in Loop: Header=BB331_1075 Depth=1
	v_and_b32_e32 v4, 0x7f, v52
	v_mov_b32_e32 v2, 0x7f800001
	s_mov_b32 s21, exec_lo
	s_delay_alu instid0(VALU_DEP_2)
	v_cmpx_ne_u32_e32 0x7f, v4
	s_cbranch_execz .LBB331_1610
; %bb.1607:                             ;   in Loop: Header=BB331_1075 Depth=1
	v_mov_b64_e32 v[54:55], v[52:53]
	v_lshrrev_b32_e32 v2, 3, v4
	s_mov_b32 s22, exec_lo
	v_cmpx_gt_u32_e32 8, v4
; %bb.1608:                             ;   in Loop: Header=BB331_1075 Depth=1
	v_and_b32_e32 v2, 7, v52
	s_delay_alu instid0(VALU_DEP_1) | instskip(NEXT) | instid1(VALU_DEP_1)
	v_clz_i32_u32_e32 v2, v2
	v_min_u32_e32 v2, 32, v2
	s_delay_alu instid0(VALU_DEP_1) | instskip(SKIP_1) | instid1(VALU_DEP_2)
	v_subrev_nc_u32_e32 v4, 28, v2
	v_sub_nc_u32_e32 v2, 29, v2
	v_lshlrev_b64_e32 v[54:55], v4, v[52:53]
; %bb.1609:                             ;   in Loop: Header=BB331_1075 Depth=1
	s_or_b32 exec_lo, exec_lo, s22
	s_delay_alu instid0(VALU_DEP_1) | instskip(NEXT) | instid1(VALU_DEP_3)
	v_dual_lshlrev_b32 v4, 20, v54 :: v_dual_lshlrev_b32 v5, 24, v52
	v_lshl_add_u32 v2, v2, 23, 0x3c000000
	s_delay_alu instid0(VALU_DEP_2) | instskip(NEXT) | instid1(VALU_DEP_3)
	v_and_b32_e32 v4, 0x700000, v4
	v_and_b32_e32 v5, 0x80000000, v5
	s_delay_alu instid0(VALU_DEP_1)
	v_or3_b32 v2, v4, v5, v2
.LBB331_1610:                           ;   in Loop: Header=BB331_1075 Depth=1
	s_or_b32 exec_lo, exec_lo, s21
.LBB331_1611:                           ;   in Loop: Header=BB331_1075 Depth=1
	s_delay_alu instid0(SALU_CYCLE_1)
	s_or_b32 exec_lo, exec_lo, s20
.LBB331_1612:                           ;   in Loop: Header=BB331_1075 Depth=1
	s_delay_alu instid0(SALU_CYCLE_1) | instskip(SKIP_2) | instid1(VALU_DEP_1)
	s_or_b32 exec_lo, exec_lo, s19
	v_lshrrev_b16 v4, 8, v52
	s_mov_b32 s19, exec_lo
	v_cmpx_ne_u16_e32 0, v4
	s_cbranch_execz .LBB331_1620
; %bb.1613:                             ;   in Loop: Header=BB331_1075 Depth=1
	v_bfrev_b32_e32 v3, 1
	s_mov_b32 s20, exec_lo
	v_cmpx_ne_u16_e32 0x80, v4
	s_cbranch_execz .LBB331_1619
; %bb.1614:                             ;   in Loop: Header=BB331_1075 Depth=1
	v_and_b32_e32 v5, 0xffff, v4
	v_mov_b32_e32 v3, 0x7f800001
	s_mov_b32 s21, exec_lo
	s_delay_alu instid0(VALU_DEP_2) | instskip(NEXT) | instid1(VALU_DEP_1)
	v_and_b32_e32 v4, 0x7f, v5
	v_cmpx_ne_u32_e32 0x7f, v4
	s_cbranch_execz .LBB331_1618
; %bb.1615:                             ;   in Loop: Header=BB331_1075 Depth=1
	v_dual_lshrrev_b32 v3, 3, v4 :: v_dual_bitop2_b32 v26, 7, v5 bitop3:0x40
	s_mov_b32 s22, exec_lo
	s_delay_alu instid0(VALU_DEP_1)
	v_mov_b64_e32 v[54:55], v[26:27]
	v_cmpx_gt_u32_e32 8, v4
; %bb.1616:                             ;   in Loop: Header=BB331_1075 Depth=1
	v_clz_i32_u32_e32 v3, v26
	s_delay_alu instid0(VALU_DEP_1) | instskip(NEXT) | instid1(VALU_DEP_1)
	v_min_u32_e32 v3, 32, v3
	v_subrev_nc_u32_e32 v4, 28, v3
	s_delay_alu instid0(VALU_DEP_1) | instskip(NEXT) | instid1(VALU_DEP_1)
	v_lshlrev_b64_e32 v[4:5], v4, v[26:27]
	v_dual_sub_nc_u32 v3, 29, v3 :: v_dual_bitop2_b32 v54, 7, v4 bitop3:0x40
; %bb.1617:                             ;   in Loop: Header=BB331_1075 Depth=1
	s_or_b32 exec_lo, exec_lo, s22
	s_delay_alu instid0(VALU_DEP_1) | instskip(NEXT) | instid1(VALU_DEP_2)
	v_dual_lshlrev_b32 v4, 16, v52 :: v_dual_lshlrev_b32 v5, 20, v54
	v_lshl_add_u32 v3, v3, 23, 0x3c000000
	s_delay_alu instid0(VALU_DEP_2) | instskip(NEXT) | instid1(VALU_DEP_1)
	v_and_b32_e32 v4, 0x80000000, v4
	v_or3_b32 v3, v5, v4, v3
.LBB331_1618:                           ;   in Loop: Header=BB331_1075 Depth=1
	s_or_b32 exec_lo, exec_lo, s21
.LBB331_1619:                           ;   in Loop: Header=BB331_1075 Depth=1
	s_delay_alu instid0(SALU_CYCLE_1)
	s_or_b32 exec_lo, exec_lo, s20
.LBB331_1620:                           ;   in Loop: Header=BB331_1075 Depth=1
	s_delay_alu instid0(SALU_CYCLE_1) | instskip(SKIP_3) | instid1(VALU_DEP_2)
	s_or_b32 exec_lo, exec_lo, s19
	v_dual_mov_b32 v5, 0 :: v_dual_lshrrev_b32 v6, 16, v52
	v_mov_b32_e32 v4, 0
	s_mov_b32 s19, exec_lo
	v_and_b32_e32 v7, 0xff, v6
	s_delay_alu instid0(VALU_DEP_1)
	v_cmpx_ne_u16_e32 0, v7
	s_cbranch_execz .LBB331_1628
; %bb.1621:                             ;   in Loop: Header=BB331_1075 Depth=1
	v_bfrev_b32_e32 v4, 1
	s_mov_b32 s20, exec_lo
	v_cmpx_ne_u16_e32 0x80, v7
	s_cbranch_execz .LBB331_1627
; %bb.1622:                             ;   in Loop: Header=BB331_1075 Depth=1
	v_bfe_u32 v7, v52, 16, 7
	v_mov_b32_e32 v4, 0x7f800001
	s_mov_b32 s21, exec_lo
	s_delay_alu instid0(VALU_DEP_2)
	v_cmpx_ne_u32_e32 0x7f, v7
	s_cbranch_execz .LBB331_1626
; %bb.1623:                             ;   in Loop: Header=BB331_1075 Depth=1
	v_dual_lshrrev_b32 v4, 3, v7 :: v_dual_bitop2_b32 v26, 7, v6 bitop3:0x40
	s_mov_b32 s22, exec_lo
	s_delay_alu instid0(VALU_DEP_1)
	v_mov_b64_e32 v[54:55], v[26:27]
	v_cmpx_gt_u32_e32 8, v7
; %bb.1624:                             ;   in Loop: Header=BB331_1075 Depth=1
	v_clz_i32_u32_e32 v4, v26
	s_delay_alu instid0(VALU_DEP_1) | instskip(NEXT) | instid1(VALU_DEP_1)
	v_min_u32_e32 v4, 32, v4
	v_subrev_nc_u32_e32 v7, 28, v4
	v_sub_nc_u32_e32 v4, 29, v4
	s_delay_alu instid0(VALU_DEP_2) | instskip(NEXT) | instid1(VALU_DEP_1)
	v_lshlrev_b64_e32 v[8:9], v7, v[26:27]
	v_and_b32_e32 v54, 7, v8
; %bb.1625:                             ;   in Loop: Header=BB331_1075 Depth=1
	s_or_b32 exec_lo, exec_lo, s22
	v_lshlrev_b32_e32 v6, 24, v6
	s_delay_alu instid0(VALU_DEP_2) | instskip(SKIP_1) | instid1(VALU_DEP_3)
	v_lshlrev_b32_e32 v7, 20, v54
	v_lshl_add_u32 v4, v4, 23, 0x3c000000
	v_and_b32_e32 v6, 0x80000000, v6
	s_delay_alu instid0(VALU_DEP_1)
	v_or3_b32 v4, v7, v6, v4
.LBB331_1626:                           ;   in Loop: Header=BB331_1075 Depth=1
	s_or_b32 exec_lo, exec_lo, s21
.LBB331_1627:                           ;   in Loop: Header=BB331_1075 Depth=1
	s_delay_alu instid0(SALU_CYCLE_1)
	s_or_b32 exec_lo, exec_lo, s20
.LBB331_1628:                           ;   in Loop: Header=BB331_1075 Depth=1
	s_delay_alu instid0(SALU_CYCLE_1) | instskip(NEXT) | instid1(SALU_CYCLE_1)
	s_or_b32 exec_lo, exec_lo, s19
	s_mov_b32 s19, exec_lo
	v_cmpx_lt_u32_e32 0xffffff, v52
	s_cbranch_execz .LBB331_1636
; %bb.1629:                             ;   in Loop: Header=BB331_1075 Depth=1
	v_lshrrev_b32_e32 v6, 24, v52
	v_bfrev_b32_e32 v5, 1
	s_mov_b32 s20, exec_lo
	s_delay_alu instid0(VALU_DEP_2)
	v_cmpx_ne_u32_e32 0x80, v6
	s_cbranch_execz .LBB331_1635
; %bb.1630:                             ;   in Loop: Header=BB331_1075 Depth=1
	v_bfe_u32 v7, v52, 24, 7
	v_mov_b32_e32 v5, 0x7f800001
	s_mov_b32 s21, exec_lo
	s_delay_alu instid0(VALU_DEP_2)
	v_cmpx_ne_u32_e32 0x7f, v7
	s_cbranch_execz .LBB331_1634
; %bb.1631:                             ;   in Loop: Header=BB331_1075 Depth=1
	v_dual_lshrrev_b32 v5, 3, v7 :: v_dual_bitop2_b32 v26, 7, v6 bitop3:0x40
	s_mov_b32 s22, exec_lo
	s_delay_alu instid0(VALU_DEP_1)
	v_mov_b64_e32 v[54:55], v[26:27]
	v_cmpx_gt_u32_e32 8, v7
; %bb.1632:                             ;   in Loop: Header=BB331_1075 Depth=1
	v_clz_i32_u32_e32 v5, v26
	s_delay_alu instid0(VALU_DEP_1) | instskip(NEXT) | instid1(VALU_DEP_1)
	v_min_u32_e32 v5, 32, v5
	v_subrev_nc_u32_e32 v7, 28, v5
	s_delay_alu instid0(VALU_DEP_1) | instskip(NEXT) | instid1(VALU_DEP_1)
	v_lshlrev_b64_e32 v[8:9], v7, v[26:27]
	v_dual_sub_nc_u32 v5, 29, v5 :: v_dual_bitop2_b32 v54, 7, v8 bitop3:0x40
; %bb.1633:                             ;   in Loop: Header=BB331_1075 Depth=1
	s_or_b32 exec_lo, exec_lo, s22
	v_lshlrev_b32_e32 v6, 24, v6
	s_delay_alu instid0(VALU_DEP_2) | instskip(NEXT) | instid1(VALU_DEP_3)
	v_lshlrev_b32_e32 v7, 20, v54
	v_lshl_add_u32 v5, v5, 23, 0x3c000000
	s_delay_alu instid0(VALU_DEP_3) | instskip(NEXT) | instid1(VALU_DEP_1)
	v_and_b32_e32 v6, 0x80000000, v6
	v_or3_b32 v5, v7, v6, v5
.LBB331_1634:                           ;   in Loop: Header=BB331_1075 Depth=1
	s_or_b32 exec_lo, exec_lo, s21
.LBB331_1635:                           ;   in Loop: Header=BB331_1075 Depth=1
	s_delay_alu instid0(SALU_CYCLE_1)
	s_or_b32 exec_lo, exec_lo, s20
.LBB331_1636:                           ;   in Loop: Header=BB331_1075 Depth=1
	s_delay_alu instid0(SALU_CYCLE_1) | instskip(SKIP_4) | instid1(VALU_DEP_3)
	s_or_b32 exec_lo, exec_lo, s19
	v_and_b32_e32 v8, 0xff, v53
	v_dual_mov_b32 v26, v53 :: v_dual_mov_b32 v7, 0
	v_mov_b32_e32 v6, 0
	s_mov_b32 s19, exec_lo
	v_cmpx_ne_u16_e32 0, v8
	s_cbranch_execz .LBB331_1644
; %bb.1637:                             ;   in Loop: Header=BB331_1075 Depth=1
	v_bfrev_b32_e32 v6, 1
	s_mov_b32 s20, exec_lo
	v_cmpx_ne_u16_e32 0x80, v8
	s_cbranch_execz .LBB331_1643
; %bb.1638:                             ;   in Loop: Header=BB331_1075 Depth=1
	v_and_b32_e32 v8, 0x7f, v53
	v_mov_b32_e32 v6, 0x7f800001
	s_mov_b32 s21, exec_lo
	s_delay_alu instid0(VALU_DEP_2)
	v_cmpx_ne_u32_e32 0x7f, v8
	s_cbranch_execz .LBB331_1642
; %bb.1639:                             ;   in Loop: Header=BB331_1075 Depth=1
	v_mov_b64_e32 v[54:55], v[26:27]
	v_lshrrev_b32_e32 v6, 3, v8
	s_mov_b32 s22, exec_lo
	v_cmpx_gt_u32_e32 8, v8
; %bb.1640:                             ;   in Loop: Header=BB331_1075 Depth=1
	v_and_b32_e32 v6, 7, v53
	s_delay_alu instid0(VALU_DEP_1) | instskip(NEXT) | instid1(VALU_DEP_1)
	v_clz_i32_u32_e32 v6, v6
	v_min_u32_e32 v6, 32, v6
	s_delay_alu instid0(VALU_DEP_1) | instskip(SKIP_1) | instid1(VALU_DEP_2)
	v_subrev_nc_u32_e32 v8, 28, v6
	v_sub_nc_u32_e32 v6, 29, v6
	v_lshlrev_b64_e32 v[54:55], v8, v[26:27]
; %bb.1641:                             ;   in Loop: Header=BB331_1075 Depth=1
	s_or_b32 exec_lo, exec_lo, s22
	s_delay_alu instid0(VALU_DEP_1) | instskip(SKIP_2) | instid1(VALU_DEP_3)
	v_lshlrev_b32_e32 v8, 20, v54
	v_lshlrev_b32_e32 v9, 24, v26
	v_lshl_add_u32 v6, v6, 23, 0x3c000000
	v_and_b32_e32 v8, 0x700000, v8
	s_delay_alu instid0(VALU_DEP_3) | instskip(NEXT) | instid1(VALU_DEP_1)
	v_and_b32_e32 v9, 0x80000000, v9
	v_or3_b32 v6, v8, v9, v6
.LBB331_1642:                           ;   in Loop: Header=BB331_1075 Depth=1
	s_or_b32 exec_lo, exec_lo, s21
.LBB331_1643:                           ;   in Loop: Header=BB331_1075 Depth=1
	s_delay_alu instid0(SALU_CYCLE_1)
	s_or_b32 exec_lo, exec_lo, s20
.LBB331_1644:                           ;   in Loop: Header=BB331_1075 Depth=1
	s_delay_alu instid0(SALU_CYCLE_1) | instskip(SKIP_2) | instid1(VALU_DEP_1)
	s_or_b32 exec_lo, exec_lo, s19
	v_lshrrev_b16 v8, 8, v26
	s_mov_b32 s19, exec_lo
	v_cmpx_ne_u16_e32 0, v8
	s_cbranch_execz .LBB331_1652
; %bb.1645:                             ;   in Loop: Header=BB331_1075 Depth=1
	v_bfrev_b32_e32 v7, 1
	s_mov_b32 s20, exec_lo
	v_cmpx_ne_u16_e32 0x80, v8
	s_cbranch_execz .LBB331_1651
; %bb.1646:                             ;   in Loop: Header=BB331_1075 Depth=1
	v_and_b32_e32 v9, 0xffff, v8
	v_mov_b32_e32 v7, 0x7f800001
	s_mov_b32 s21, exec_lo
	s_delay_alu instid0(VALU_DEP_2) | instskip(NEXT) | instid1(VALU_DEP_1)
	v_and_b32_e32 v8, 0x7f, v9
	v_cmpx_ne_u32_e32 0x7f, v8
	s_cbranch_execz .LBB331_1650
; %bb.1647:                             ;   in Loop: Header=BB331_1075 Depth=1
	v_dual_mov_b32 v55, v27 :: v_dual_bitop2_b32 v54, 7, v9 bitop3:0x40
	v_lshrrev_b32_e32 v7, 3, v8
	s_mov_b32 s22, exec_lo
	v_cmpx_gt_u32_e32 8, v8
; %bb.1648:                             ;   in Loop: Header=BB331_1075 Depth=1
	s_delay_alu instid0(VALU_DEP_3) | instskip(NEXT) | instid1(VALU_DEP_1)
	v_clz_i32_u32_e32 v7, v54
	v_min_u32_e32 v7, 32, v7
	s_delay_alu instid0(VALU_DEP_1) | instskip(NEXT) | instid1(VALU_DEP_1)
	v_subrev_nc_u32_e32 v8, 28, v7
	v_lshlrev_b64_e32 v[8:9], v8, v[54:55]
	s_delay_alu instid0(VALU_DEP_1)
	v_dual_sub_nc_u32 v7, 29, v7 :: v_dual_bitop2_b32 v54, 7, v8 bitop3:0x40
; %bb.1649:                             ;   in Loop: Header=BB331_1075 Depth=1
	s_or_b32 exec_lo, exec_lo, s22
	v_lshlrev_b32_e32 v8, 16, v26
	s_delay_alu instid0(VALU_DEP_2) | instskip(NEXT) | instid1(VALU_DEP_3)
	v_lshlrev_b32_e32 v9, 20, v54
	v_lshl_add_u32 v7, v7, 23, 0x3c000000
	s_delay_alu instid0(VALU_DEP_3) | instskip(NEXT) | instid1(VALU_DEP_1)
	v_and_b32_e32 v8, 0x80000000, v8
	v_or3_b32 v7, v9, v8, v7
.LBB331_1650:                           ;   in Loop: Header=BB331_1075 Depth=1
	s_or_b32 exec_lo, exec_lo, s21
.LBB331_1651:                           ;   in Loop: Header=BB331_1075 Depth=1
	s_delay_alu instid0(SALU_CYCLE_1)
	s_or_b32 exec_lo, exec_lo, s20
.LBB331_1652:                           ;   in Loop: Header=BB331_1075 Depth=1
	s_delay_alu instid0(SALU_CYCLE_1) | instskip(SKIP_3) | instid1(VALU_DEP_2)
	s_or_b32 exec_lo, exec_lo, s19
	v_dual_lshrrev_b32 v16, 16, v53 :: v_dual_mov_b32 v8, 0
	v_mov_b32_e32 v9, 0
	s_mov_b32 s19, exec_lo
	v_and_b32_e32 v17, 0xff, v16
	s_delay_alu instid0(VALU_DEP_1)
	v_cmpx_ne_u16_e32 0, v17
	s_cbranch_execz .LBB331_1660
; %bb.1653:                             ;   in Loop: Header=BB331_1075 Depth=1
	v_bfrev_b32_e32 v9, 1
	s_mov_b32 s20, exec_lo
	v_cmpx_ne_u16_e32 0x80, v17
	s_cbranch_execz .LBB331_1659
; %bb.1654:                             ;   in Loop: Header=BB331_1075 Depth=1
	v_bfe_u32 v17, v53, 16, 7
	v_mov_b32_e32 v9, 0x7f800001
	s_mov_b32 s21, exec_lo
	s_delay_alu instid0(VALU_DEP_2)
	v_cmpx_ne_u32_e32 0x7f, v17
	s_cbranch_execz .LBB331_1658
; %bb.1655:                             ;   in Loop: Header=BB331_1075 Depth=1
	v_dual_lshrrev_b32 v9, 3, v17 :: v_dual_bitop2_b32 v26, 7, v16 bitop3:0x40
	s_mov_b32 s22, exec_lo
	s_delay_alu instid0(VALU_DEP_1)
	v_mov_b64_e32 v[54:55], v[26:27]
	v_cmpx_gt_u32_e32 8, v17
; %bb.1656:                             ;   in Loop: Header=BB331_1075 Depth=1
	v_clz_i32_u32_e32 v9, v26
	s_delay_alu instid0(VALU_DEP_1) | instskip(NEXT) | instid1(VALU_DEP_1)
	v_min_u32_e32 v9, 32, v9
	v_subrev_nc_u32_e32 v17, 28, v9
	s_delay_alu instid0(VALU_DEP_1) | instskip(NEXT) | instid1(VALU_DEP_1)
	v_lshlrev_b64_e32 v[18:19], v17, v[26:27]
	v_dual_sub_nc_u32 v9, 29, v9 :: v_dual_bitop2_b32 v54, 7, v18 bitop3:0x40
; %bb.1657:                             ;   in Loop: Header=BB331_1075 Depth=1
	s_or_b32 exec_lo, exec_lo, s22
	s_delay_alu instid0(VALU_DEP_1) | instskip(NEXT) | instid1(VALU_DEP_2)
	v_dual_lshlrev_b32 v16, 24, v16 :: v_dual_lshlrev_b32 v17, 20, v54
	v_lshl_add_u32 v9, v9, 23, 0x3c000000
	s_delay_alu instid0(VALU_DEP_2) | instskip(NEXT) | instid1(VALU_DEP_1)
	v_and_b32_e32 v16, 0x80000000, v16
	v_or3_b32 v9, v17, v16, v9
.LBB331_1658:                           ;   in Loop: Header=BB331_1075 Depth=1
	s_or_b32 exec_lo, exec_lo, s21
.LBB331_1659:                           ;   in Loop: Header=BB331_1075 Depth=1
	s_delay_alu instid0(SALU_CYCLE_1)
	s_or_b32 exec_lo, exec_lo, s20
.LBB331_1660:                           ;   in Loop: Header=BB331_1075 Depth=1
	s_delay_alu instid0(SALU_CYCLE_1) | instskip(NEXT) | instid1(SALU_CYCLE_1)
	s_or_b32 exec_lo, exec_lo, s19
	s_mov_b32 s19, exec_lo
	v_cmpx_lt_u64_e64 s[2:3], v[52:53]
	s_cbranch_execz .LBB331_1668
; %bb.1661:                             ;   in Loop: Header=BB331_1075 Depth=1
	v_lshrrev_b32_e32 v16, 24, v53
	v_bfrev_b32_e32 v8, 1
	s_mov_b32 s20, exec_lo
	s_delay_alu instid0(VALU_DEP_2)
	v_cmpx_ne_u32_e32 0x80, v16
	s_cbranch_execz .LBB331_1667
; %bb.1662:                             ;   in Loop: Header=BB331_1075 Depth=1
	v_bfe_u32 v17, v53, 24, 7
	v_mov_b32_e32 v8, 0x7f800001
	s_mov_b32 s21, exec_lo
	s_delay_alu instid0(VALU_DEP_2)
	v_cmpx_ne_u32_e32 0x7f, v17
	s_cbranch_execz .LBB331_1666
; %bb.1663:                             ;   in Loop: Header=BB331_1075 Depth=1
	v_dual_lshrrev_b32 v8, 3, v17 :: v_dual_bitop2_b32 v26, 7, v16 bitop3:0x40
	s_mov_b32 s22, exec_lo
	s_delay_alu instid0(VALU_DEP_1)
	v_mov_b64_e32 v[52:53], v[26:27]
	v_cmpx_gt_u32_e32 8, v17
; %bb.1664:                             ;   in Loop: Header=BB331_1075 Depth=1
	v_clz_i32_u32_e32 v8, v26
	s_delay_alu instid0(VALU_DEP_1) | instskip(NEXT) | instid1(VALU_DEP_1)
	v_min_u32_e32 v8, 32, v8
	v_subrev_nc_u32_e32 v17, 28, v8
	s_delay_alu instid0(VALU_DEP_1) | instskip(NEXT) | instid1(VALU_DEP_1)
	v_lshlrev_b64_e32 v[18:19], v17, v[26:27]
	v_dual_sub_nc_u32 v8, 29, v8 :: v_dual_bitop2_b32 v52, 7, v18 bitop3:0x40
; %bb.1665:                             ;   in Loop: Header=BB331_1075 Depth=1
	s_or_b32 exec_lo, exec_lo, s22
	v_lshlrev_b32_e32 v16, 24, v16
	s_delay_alu instid0(VALU_DEP_2) | instskip(NEXT) | instid1(VALU_DEP_3)
	v_lshlrev_b32_e32 v17, 20, v52
	v_lshl_add_u32 v8, v8, 23, 0x3c000000
	s_delay_alu instid0(VALU_DEP_3) | instskip(NEXT) | instid1(VALU_DEP_1)
	v_and_b32_e32 v16, 0x80000000, v16
	v_or3_b32 v8, v17, v16, v8
.LBB331_1666:                           ;   in Loop: Header=BB331_1075 Depth=1
	s_or_b32 exec_lo, exec_lo, s21
.LBB331_1667:                           ;   in Loop: Header=BB331_1075 Depth=1
	s_delay_alu instid0(SALU_CYCLE_1)
	s_or_b32 exec_lo, exec_lo, s20
.LBB331_1668:                           ;   in Loop: Header=BB331_1075 Depth=1
	s_delay_alu instid0(SALU_CYCLE_1)
	s_or_b32 exec_lo, exec_lo, s19
	v_fma_mixlo_bf16 v69, v118, v7, 0
	v_fma_mixlo_bf16 v23, v118, v6, 0
	;; [unrolled: 1-line block ×8, first 2 shown]
	s_and_saveexec_b32 s19, vcc_lo
	s_cbranch_execz .LBB331_1670
; %bb.1669:                             ;   in Loop: Header=BB331_1075 Depth=1
	v_cmp_lt_i32_e64 s1, v58, v99
	s_delay_alu instid0(VALU_DEP_1) | instskip(SKIP_1) | instid1(VALU_DEP_1)
	v_cndmask_b32_e64 v112, 0, v112, s1
	v_cmp_lt_i32_e64 s1, v62, v99
	v_cndmask_b32_e64 v18, 0, v18, s1
	v_cmp_lt_i32_e64 s1, v61, v99
	s_delay_alu instid0(VALU_DEP_1) | instskip(SKIP_1) | instid1(VALU_DEP_1)
	v_cndmask_b32_e64 v102, 0, v102, s1
	v_cmp_lt_i32_e64 s1, v60, v99
	v_cndmask_b32_e64 v49, 0, v49, s1
	;; [unrolled: 5-line block ×4, first 2 shown]
.LBB331_1670:                           ;   in Loop: Header=BB331_1075 Depth=1
	s_or_b32 exec_lo, exec_lo, s19
	flat_load_b64 v[52:53], v[50:51] offset:2304
	v_dual_mov_b32 v3, 0 :: v_dual_mov_b32 v2, 0
	s_mov_b32 s19, exec_lo
	s_wait_loadcnt_dscnt 0x0
	v_and_b32_e32 v4, 0xff, v52
	s_wait_xcnt 0x0
	s_delay_alu instid0(VALU_DEP_1)
	v_cmpx_ne_u16_e32 0, v4
	s_cbranch_execz .LBB331_1678
; %bb.1671:                             ;   in Loop: Header=BB331_1075 Depth=1
	v_bfrev_b32_e32 v2, 1
	s_mov_b32 s20, exec_lo
	v_cmpx_ne_u16_e32 0x80, v4
	s_cbranch_execz .LBB331_1677
; %bb.1672:                             ;   in Loop: Header=BB331_1075 Depth=1
	v_and_b32_e32 v4, 0x7f, v52
	v_mov_b32_e32 v2, 0x7f800001
	s_mov_b32 s21, exec_lo
	s_delay_alu instid0(VALU_DEP_2)
	v_cmpx_ne_u32_e32 0x7f, v4
	s_cbranch_execz .LBB331_1676
; %bb.1673:                             ;   in Loop: Header=BB331_1075 Depth=1
	v_mov_b64_e32 v[54:55], v[52:53]
	v_lshrrev_b32_e32 v2, 3, v4
	s_mov_b32 s22, exec_lo
	v_cmpx_gt_u32_e32 8, v4
; %bb.1674:                             ;   in Loop: Header=BB331_1075 Depth=1
	v_and_b32_e32 v2, 7, v52
	s_delay_alu instid0(VALU_DEP_1) | instskip(NEXT) | instid1(VALU_DEP_1)
	v_clz_i32_u32_e32 v2, v2
	v_min_u32_e32 v2, 32, v2
	s_delay_alu instid0(VALU_DEP_1) | instskip(SKIP_1) | instid1(VALU_DEP_2)
	v_subrev_nc_u32_e32 v4, 28, v2
	v_sub_nc_u32_e32 v2, 29, v2
	v_lshlrev_b64_e32 v[54:55], v4, v[52:53]
; %bb.1675:                             ;   in Loop: Header=BB331_1075 Depth=1
	s_or_b32 exec_lo, exec_lo, s22
	s_delay_alu instid0(VALU_DEP_1) | instskip(NEXT) | instid1(VALU_DEP_3)
	v_dual_lshlrev_b32 v4, 20, v54 :: v_dual_lshlrev_b32 v5, 24, v52
	v_lshl_add_u32 v2, v2, 23, 0x3c000000
	s_delay_alu instid0(VALU_DEP_2) | instskip(NEXT) | instid1(VALU_DEP_3)
	v_and_b32_e32 v4, 0x700000, v4
	v_and_b32_e32 v5, 0x80000000, v5
	s_delay_alu instid0(VALU_DEP_1)
	v_or3_b32 v2, v4, v5, v2
.LBB331_1676:                           ;   in Loop: Header=BB331_1075 Depth=1
	s_or_b32 exec_lo, exec_lo, s21
.LBB331_1677:                           ;   in Loop: Header=BB331_1075 Depth=1
	s_delay_alu instid0(SALU_CYCLE_1)
	s_or_b32 exec_lo, exec_lo, s20
.LBB331_1678:                           ;   in Loop: Header=BB331_1075 Depth=1
	s_delay_alu instid0(SALU_CYCLE_1) | instskip(SKIP_2) | instid1(VALU_DEP_1)
	s_or_b32 exec_lo, exec_lo, s19
	v_lshrrev_b16 v4, 8, v52
	s_mov_b32 s19, exec_lo
	v_cmpx_ne_u16_e32 0, v4
	s_cbranch_execz .LBB331_1686
; %bb.1679:                             ;   in Loop: Header=BB331_1075 Depth=1
	v_bfrev_b32_e32 v3, 1
	s_mov_b32 s20, exec_lo
	v_cmpx_ne_u16_e32 0x80, v4
	s_cbranch_execz .LBB331_1685
; %bb.1680:                             ;   in Loop: Header=BB331_1075 Depth=1
	v_and_b32_e32 v5, 0xffff, v4
	v_mov_b32_e32 v3, 0x7f800001
	s_mov_b32 s21, exec_lo
	s_delay_alu instid0(VALU_DEP_2) | instskip(NEXT) | instid1(VALU_DEP_1)
	v_and_b32_e32 v4, 0x7f, v5
	v_cmpx_ne_u32_e32 0x7f, v4
	s_cbranch_execz .LBB331_1684
; %bb.1681:                             ;   in Loop: Header=BB331_1075 Depth=1
	v_dual_lshrrev_b32 v3, 3, v4 :: v_dual_bitop2_b32 v26, 7, v5 bitop3:0x40
	s_mov_b32 s22, exec_lo
	s_delay_alu instid0(VALU_DEP_1)
	v_mov_b64_e32 v[54:55], v[26:27]
	v_cmpx_gt_u32_e32 8, v4
; %bb.1682:                             ;   in Loop: Header=BB331_1075 Depth=1
	v_clz_i32_u32_e32 v3, v26
	s_delay_alu instid0(VALU_DEP_1) | instskip(NEXT) | instid1(VALU_DEP_1)
	v_min_u32_e32 v3, 32, v3
	v_subrev_nc_u32_e32 v4, 28, v3
	s_delay_alu instid0(VALU_DEP_1) | instskip(NEXT) | instid1(VALU_DEP_1)
	v_lshlrev_b64_e32 v[4:5], v4, v[26:27]
	v_dual_sub_nc_u32 v3, 29, v3 :: v_dual_bitop2_b32 v54, 7, v4 bitop3:0x40
; %bb.1683:                             ;   in Loop: Header=BB331_1075 Depth=1
	s_or_b32 exec_lo, exec_lo, s22
	s_delay_alu instid0(VALU_DEP_1) | instskip(NEXT) | instid1(VALU_DEP_2)
	v_dual_lshlrev_b32 v4, 16, v52 :: v_dual_lshlrev_b32 v5, 20, v54
	v_lshl_add_u32 v3, v3, 23, 0x3c000000
	s_delay_alu instid0(VALU_DEP_2) | instskip(NEXT) | instid1(VALU_DEP_1)
	v_and_b32_e32 v4, 0x80000000, v4
	v_or3_b32 v3, v5, v4, v3
.LBB331_1684:                           ;   in Loop: Header=BB331_1075 Depth=1
	s_or_b32 exec_lo, exec_lo, s21
.LBB331_1685:                           ;   in Loop: Header=BB331_1075 Depth=1
	s_delay_alu instid0(SALU_CYCLE_1)
	s_or_b32 exec_lo, exec_lo, s20
.LBB331_1686:                           ;   in Loop: Header=BB331_1075 Depth=1
	s_delay_alu instid0(SALU_CYCLE_1) | instskip(SKIP_3) | instid1(VALU_DEP_2)
	s_or_b32 exec_lo, exec_lo, s19
	v_dual_mov_b32 v5, 0 :: v_dual_lshrrev_b32 v6, 16, v52
	v_mov_b32_e32 v4, 0
	s_mov_b32 s19, exec_lo
	v_and_b32_e32 v7, 0xff, v6
	s_delay_alu instid0(VALU_DEP_1)
	v_cmpx_ne_u16_e32 0, v7
	s_cbranch_execz .LBB331_1694
; %bb.1687:                             ;   in Loop: Header=BB331_1075 Depth=1
	v_bfrev_b32_e32 v4, 1
	s_mov_b32 s20, exec_lo
	v_cmpx_ne_u16_e32 0x80, v7
	s_cbranch_execz .LBB331_1693
; %bb.1688:                             ;   in Loop: Header=BB331_1075 Depth=1
	v_bfe_u32 v7, v52, 16, 7
	v_mov_b32_e32 v4, 0x7f800001
	s_mov_b32 s21, exec_lo
	s_delay_alu instid0(VALU_DEP_2)
	v_cmpx_ne_u32_e32 0x7f, v7
	s_cbranch_execz .LBB331_1692
; %bb.1689:                             ;   in Loop: Header=BB331_1075 Depth=1
	v_dual_lshrrev_b32 v4, 3, v7 :: v_dual_bitop2_b32 v26, 7, v6 bitop3:0x40
	s_mov_b32 s22, exec_lo
	s_delay_alu instid0(VALU_DEP_1)
	v_mov_b64_e32 v[54:55], v[26:27]
	v_cmpx_gt_u32_e32 8, v7
; %bb.1690:                             ;   in Loop: Header=BB331_1075 Depth=1
	v_clz_i32_u32_e32 v4, v26
	s_delay_alu instid0(VALU_DEP_1) | instskip(NEXT) | instid1(VALU_DEP_1)
	v_min_u32_e32 v4, 32, v4
	v_subrev_nc_u32_e32 v7, 28, v4
	v_sub_nc_u32_e32 v4, 29, v4
	s_delay_alu instid0(VALU_DEP_2) | instskip(NEXT) | instid1(VALU_DEP_1)
	v_lshlrev_b64_e32 v[8:9], v7, v[26:27]
	v_and_b32_e32 v54, 7, v8
; %bb.1691:                             ;   in Loop: Header=BB331_1075 Depth=1
	s_or_b32 exec_lo, exec_lo, s22
	v_lshlrev_b32_e32 v6, 24, v6
	s_delay_alu instid0(VALU_DEP_2) | instskip(SKIP_1) | instid1(VALU_DEP_3)
	v_lshlrev_b32_e32 v7, 20, v54
	v_lshl_add_u32 v4, v4, 23, 0x3c000000
	v_and_b32_e32 v6, 0x80000000, v6
	s_delay_alu instid0(VALU_DEP_1)
	v_or3_b32 v4, v7, v6, v4
.LBB331_1692:                           ;   in Loop: Header=BB331_1075 Depth=1
	s_or_b32 exec_lo, exec_lo, s21
.LBB331_1693:                           ;   in Loop: Header=BB331_1075 Depth=1
	s_delay_alu instid0(SALU_CYCLE_1)
	s_or_b32 exec_lo, exec_lo, s20
.LBB331_1694:                           ;   in Loop: Header=BB331_1075 Depth=1
	s_delay_alu instid0(SALU_CYCLE_1) | instskip(NEXT) | instid1(SALU_CYCLE_1)
	s_or_b32 exec_lo, exec_lo, s19
	s_mov_b32 s19, exec_lo
	v_cmpx_lt_u32_e32 0xffffff, v52
	s_cbranch_execz .LBB331_1702
; %bb.1695:                             ;   in Loop: Header=BB331_1075 Depth=1
	v_lshrrev_b32_e32 v6, 24, v52
	v_bfrev_b32_e32 v5, 1
	s_mov_b32 s20, exec_lo
	s_delay_alu instid0(VALU_DEP_2)
	v_cmpx_ne_u32_e32 0x80, v6
	s_cbranch_execz .LBB331_1701
; %bb.1696:                             ;   in Loop: Header=BB331_1075 Depth=1
	v_bfe_u32 v7, v52, 24, 7
	v_mov_b32_e32 v5, 0x7f800001
	s_mov_b32 s21, exec_lo
	s_delay_alu instid0(VALU_DEP_2)
	v_cmpx_ne_u32_e32 0x7f, v7
	s_cbranch_execz .LBB331_1700
; %bb.1697:                             ;   in Loop: Header=BB331_1075 Depth=1
	v_dual_lshrrev_b32 v5, 3, v7 :: v_dual_bitop2_b32 v26, 7, v6 bitop3:0x40
	s_mov_b32 s22, exec_lo
	s_delay_alu instid0(VALU_DEP_1)
	v_mov_b64_e32 v[54:55], v[26:27]
	v_cmpx_gt_u32_e32 8, v7
; %bb.1698:                             ;   in Loop: Header=BB331_1075 Depth=1
	v_clz_i32_u32_e32 v5, v26
	s_delay_alu instid0(VALU_DEP_1) | instskip(NEXT) | instid1(VALU_DEP_1)
	v_min_u32_e32 v5, 32, v5
	v_subrev_nc_u32_e32 v7, 28, v5
	s_delay_alu instid0(VALU_DEP_1) | instskip(NEXT) | instid1(VALU_DEP_1)
	v_lshlrev_b64_e32 v[8:9], v7, v[26:27]
	v_dual_sub_nc_u32 v5, 29, v5 :: v_dual_bitop2_b32 v54, 7, v8 bitop3:0x40
; %bb.1699:                             ;   in Loop: Header=BB331_1075 Depth=1
	s_or_b32 exec_lo, exec_lo, s22
	v_lshlrev_b32_e32 v6, 24, v6
	s_delay_alu instid0(VALU_DEP_2) | instskip(NEXT) | instid1(VALU_DEP_3)
	v_lshlrev_b32_e32 v7, 20, v54
	v_lshl_add_u32 v5, v5, 23, 0x3c000000
	s_delay_alu instid0(VALU_DEP_3) | instskip(NEXT) | instid1(VALU_DEP_1)
	v_and_b32_e32 v6, 0x80000000, v6
	v_or3_b32 v5, v7, v6, v5
.LBB331_1700:                           ;   in Loop: Header=BB331_1075 Depth=1
	s_or_b32 exec_lo, exec_lo, s21
.LBB331_1701:                           ;   in Loop: Header=BB331_1075 Depth=1
	s_delay_alu instid0(SALU_CYCLE_1)
	s_or_b32 exec_lo, exec_lo, s20
.LBB331_1702:                           ;   in Loop: Header=BB331_1075 Depth=1
	s_delay_alu instid0(SALU_CYCLE_1) | instskip(SKIP_4) | instid1(VALU_DEP_3)
	s_or_b32 exec_lo, exec_lo, s19
	v_and_b32_e32 v8, 0xff, v53
	v_dual_mov_b32 v26, v53 :: v_dual_mov_b32 v7, 0
	v_mov_b32_e32 v6, 0
	s_mov_b32 s19, exec_lo
	v_cmpx_ne_u16_e32 0, v8
	s_cbranch_execz .LBB331_1710
; %bb.1703:                             ;   in Loop: Header=BB331_1075 Depth=1
	v_bfrev_b32_e32 v6, 1
	s_mov_b32 s20, exec_lo
	v_cmpx_ne_u16_e32 0x80, v8
	s_cbranch_execz .LBB331_1709
; %bb.1704:                             ;   in Loop: Header=BB331_1075 Depth=1
	v_and_b32_e32 v8, 0x7f, v53
	v_mov_b32_e32 v6, 0x7f800001
	s_mov_b32 s21, exec_lo
	s_delay_alu instid0(VALU_DEP_2)
	v_cmpx_ne_u32_e32 0x7f, v8
	s_cbranch_execz .LBB331_1708
; %bb.1705:                             ;   in Loop: Header=BB331_1075 Depth=1
	v_mov_b64_e32 v[54:55], v[26:27]
	v_lshrrev_b32_e32 v6, 3, v8
	s_mov_b32 s22, exec_lo
	v_cmpx_gt_u32_e32 8, v8
; %bb.1706:                             ;   in Loop: Header=BB331_1075 Depth=1
	v_and_b32_e32 v6, 7, v53
	s_delay_alu instid0(VALU_DEP_1) | instskip(NEXT) | instid1(VALU_DEP_1)
	v_clz_i32_u32_e32 v6, v6
	v_min_u32_e32 v6, 32, v6
	s_delay_alu instid0(VALU_DEP_1) | instskip(SKIP_1) | instid1(VALU_DEP_2)
	v_subrev_nc_u32_e32 v8, 28, v6
	v_sub_nc_u32_e32 v6, 29, v6
	v_lshlrev_b64_e32 v[54:55], v8, v[26:27]
; %bb.1707:                             ;   in Loop: Header=BB331_1075 Depth=1
	s_or_b32 exec_lo, exec_lo, s22
	s_delay_alu instid0(VALU_DEP_1) | instskip(SKIP_2) | instid1(VALU_DEP_3)
	v_lshlrev_b32_e32 v8, 20, v54
	v_lshlrev_b32_e32 v9, 24, v26
	v_lshl_add_u32 v6, v6, 23, 0x3c000000
	v_and_b32_e32 v8, 0x700000, v8
	s_delay_alu instid0(VALU_DEP_3) | instskip(NEXT) | instid1(VALU_DEP_1)
	v_and_b32_e32 v9, 0x80000000, v9
	v_or3_b32 v6, v8, v9, v6
.LBB331_1708:                           ;   in Loop: Header=BB331_1075 Depth=1
	s_or_b32 exec_lo, exec_lo, s21
.LBB331_1709:                           ;   in Loop: Header=BB331_1075 Depth=1
	s_delay_alu instid0(SALU_CYCLE_1)
	s_or_b32 exec_lo, exec_lo, s20
.LBB331_1710:                           ;   in Loop: Header=BB331_1075 Depth=1
	s_delay_alu instid0(SALU_CYCLE_1) | instskip(SKIP_2) | instid1(VALU_DEP_1)
	s_or_b32 exec_lo, exec_lo, s19
	v_lshrrev_b16 v8, 8, v26
	s_mov_b32 s19, exec_lo
	v_cmpx_ne_u16_e32 0, v8
	s_cbranch_execz .LBB331_1718
; %bb.1711:                             ;   in Loop: Header=BB331_1075 Depth=1
	v_bfrev_b32_e32 v7, 1
	s_mov_b32 s20, exec_lo
	v_cmpx_ne_u16_e32 0x80, v8
	s_cbranch_execz .LBB331_1717
; %bb.1712:                             ;   in Loop: Header=BB331_1075 Depth=1
	v_and_b32_e32 v9, 0xffff, v8
	v_mov_b32_e32 v7, 0x7f800001
	s_mov_b32 s21, exec_lo
	s_delay_alu instid0(VALU_DEP_2) | instskip(NEXT) | instid1(VALU_DEP_1)
	v_and_b32_e32 v8, 0x7f, v9
	v_cmpx_ne_u32_e32 0x7f, v8
	s_cbranch_execz .LBB331_1716
; %bb.1713:                             ;   in Loop: Header=BB331_1075 Depth=1
	v_dual_mov_b32 v55, v27 :: v_dual_bitop2_b32 v54, 7, v9 bitop3:0x40
	v_lshrrev_b32_e32 v7, 3, v8
	s_mov_b32 s22, exec_lo
	v_cmpx_gt_u32_e32 8, v8
; %bb.1714:                             ;   in Loop: Header=BB331_1075 Depth=1
	s_delay_alu instid0(VALU_DEP_3) | instskip(NEXT) | instid1(VALU_DEP_1)
	v_clz_i32_u32_e32 v7, v54
	v_min_u32_e32 v7, 32, v7
	s_delay_alu instid0(VALU_DEP_1) | instskip(NEXT) | instid1(VALU_DEP_1)
	v_subrev_nc_u32_e32 v8, 28, v7
	v_lshlrev_b64_e32 v[8:9], v8, v[54:55]
	s_delay_alu instid0(VALU_DEP_1)
	v_dual_sub_nc_u32 v7, 29, v7 :: v_dual_bitop2_b32 v54, 7, v8 bitop3:0x40
; %bb.1715:                             ;   in Loop: Header=BB331_1075 Depth=1
	s_or_b32 exec_lo, exec_lo, s22
	v_lshlrev_b32_e32 v8, 16, v26
	s_delay_alu instid0(VALU_DEP_2) | instskip(NEXT) | instid1(VALU_DEP_3)
	v_lshlrev_b32_e32 v9, 20, v54
	v_lshl_add_u32 v7, v7, 23, 0x3c000000
	s_delay_alu instid0(VALU_DEP_3) | instskip(NEXT) | instid1(VALU_DEP_1)
	v_and_b32_e32 v8, 0x80000000, v8
	v_or3_b32 v7, v9, v8, v7
.LBB331_1716:                           ;   in Loop: Header=BB331_1075 Depth=1
	s_or_b32 exec_lo, exec_lo, s21
.LBB331_1717:                           ;   in Loop: Header=BB331_1075 Depth=1
	s_delay_alu instid0(SALU_CYCLE_1)
	s_or_b32 exec_lo, exec_lo, s20
.LBB331_1718:                           ;   in Loop: Header=BB331_1075 Depth=1
	s_delay_alu instid0(SALU_CYCLE_1) | instskip(SKIP_3) | instid1(VALU_DEP_2)
	s_or_b32 exec_lo, exec_lo, s19
	v_dual_lshrrev_b32 v16, 16, v53 :: v_dual_mov_b32 v8, 0
	v_mov_b32_e32 v9, 0
	s_mov_b32 s19, exec_lo
	v_and_b32_e32 v17, 0xff, v16
	s_delay_alu instid0(VALU_DEP_1)
	v_cmpx_ne_u16_e32 0, v17
	s_cbranch_execz .LBB331_1726
; %bb.1719:                             ;   in Loop: Header=BB331_1075 Depth=1
	v_bfrev_b32_e32 v9, 1
	s_mov_b32 s20, exec_lo
	v_cmpx_ne_u16_e32 0x80, v17
	s_cbranch_execz .LBB331_1725
; %bb.1720:                             ;   in Loop: Header=BB331_1075 Depth=1
	v_bfe_u32 v17, v53, 16, 7
	v_mov_b32_e32 v9, 0x7f800001
	s_mov_b32 s21, exec_lo
	s_delay_alu instid0(VALU_DEP_2)
	v_cmpx_ne_u32_e32 0x7f, v17
	s_cbranch_execz .LBB331_1724
; %bb.1721:                             ;   in Loop: Header=BB331_1075 Depth=1
	v_dual_lshrrev_b32 v9, 3, v17 :: v_dual_bitop2_b32 v26, 7, v16 bitop3:0x40
	s_mov_b32 s22, exec_lo
	s_delay_alu instid0(VALU_DEP_1)
	v_mov_b64_e32 v[54:55], v[26:27]
	v_cmpx_gt_u32_e32 8, v17
; %bb.1722:                             ;   in Loop: Header=BB331_1075 Depth=1
	v_clz_i32_u32_e32 v9, v26
	s_delay_alu instid0(VALU_DEP_1) | instskip(NEXT) | instid1(VALU_DEP_1)
	v_min_u32_e32 v9, 32, v9
	v_subrev_nc_u32_e32 v17, 28, v9
	s_delay_alu instid0(VALU_DEP_1) | instskip(NEXT) | instid1(VALU_DEP_1)
	v_lshlrev_b64_e32 v[38:39], v17, v[26:27]
	v_dual_sub_nc_u32 v9, 29, v9 :: v_dual_bitop2_b32 v54, 7, v38 bitop3:0x40
; %bb.1723:                             ;   in Loop: Header=BB331_1075 Depth=1
	s_or_b32 exec_lo, exec_lo, s22
	s_delay_alu instid0(VALU_DEP_1) | instskip(NEXT) | instid1(VALU_DEP_2)
	v_dual_lshlrev_b32 v16, 24, v16 :: v_dual_lshlrev_b32 v17, 20, v54
	v_lshl_add_u32 v9, v9, 23, 0x3c000000
	s_delay_alu instid0(VALU_DEP_2) | instskip(NEXT) | instid1(VALU_DEP_1)
	v_and_b32_e32 v16, 0x80000000, v16
	v_or3_b32 v9, v17, v16, v9
.LBB331_1724:                           ;   in Loop: Header=BB331_1075 Depth=1
	s_or_b32 exec_lo, exec_lo, s21
.LBB331_1725:                           ;   in Loop: Header=BB331_1075 Depth=1
	s_delay_alu instid0(SALU_CYCLE_1)
	s_or_b32 exec_lo, exec_lo, s20
.LBB331_1726:                           ;   in Loop: Header=BB331_1075 Depth=1
	s_delay_alu instid0(SALU_CYCLE_1) | instskip(NEXT) | instid1(SALU_CYCLE_1)
	s_or_b32 exec_lo, exec_lo, s19
	s_mov_b32 s19, exec_lo
	v_cmpx_lt_u64_e64 s[2:3], v[52:53]
	s_cbranch_execz .LBB331_1734
; %bb.1727:                             ;   in Loop: Header=BB331_1075 Depth=1
	v_lshrrev_b32_e32 v16, 24, v53
	v_bfrev_b32_e32 v8, 1
	s_mov_b32 s20, exec_lo
	s_delay_alu instid0(VALU_DEP_2)
	v_cmpx_ne_u32_e32 0x80, v16
	s_cbranch_execz .LBB331_1733
; %bb.1728:                             ;   in Loop: Header=BB331_1075 Depth=1
	v_bfe_u32 v17, v53, 24, 7
	v_mov_b32_e32 v8, 0x7f800001
	s_mov_b32 s21, exec_lo
	s_delay_alu instid0(VALU_DEP_2)
	v_cmpx_ne_u32_e32 0x7f, v17
	s_cbranch_execz .LBB331_1732
; %bb.1729:                             ;   in Loop: Header=BB331_1075 Depth=1
	v_dual_lshrrev_b32 v8, 3, v17 :: v_dual_bitop2_b32 v26, 7, v16 bitop3:0x40
	s_mov_b32 s22, exec_lo
	s_delay_alu instid0(VALU_DEP_1)
	v_mov_b64_e32 v[52:53], v[26:27]
	v_cmpx_gt_u32_e32 8, v17
; %bb.1730:                             ;   in Loop: Header=BB331_1075 Depth=1
	v_clz_i32_u32_e32 v8, v26
	s_delay_alu instid0(VALU_DEP_1) | instskip(NEXT) | instid1(VALU_DEP_1)
	v_min_u32_e32 v8, 32, v8
	v_subrev_nc_u32_e32 v17, 28, v8
	s_delay_alu instid0(VALU_DEP_1) | instskip(NEXT) | instid1(VALU_DEP_1)
	v_lshlrev_b64_e32 v[38:39], v17, v[26:27]
	v_dual_sub_nc_u32 v8, 29, v8 :: v_dual_bitop2_b32 v52, 7, v38 bitop3:0x40
; %bb.1731:                             ;   in Loop: Header=BB331_1075 Depth=1
	s_or_b32 exec_lo, exec_lo, s22
	v_lshlrev_b32_e32 v16, 24, v16
	s_delay_alu instid0(VALU_DEP_2) | instskip(NEXT) | instid1(VALU_DEP_3)
	v_lshlrev_b32_e32 v17, 20, v52
	v_lshl_add_u32 v8, v8, 23, 0x3c000000
	s_delay_alu instid0(VALU_DEP_3) | instskip(NEXT) | instid1(VALU_DEP_1)
	v_and_b32_e32 v16, 0x80000000, v16
	v_or3_b32 v8, v17, v16, v8
.LBB331_1732:                           ;   in Loop: Header=BB331_1075 Depth=1
	s_or_b32 exec_lo, exec_lo, s21
.LBB331_1733:                           ;   in Loop: Header=BB331_1075 Depth=1
	s_delay_alu instid0(SALU_CYCLE_1)
	s_or_b32 exec_lo, exec_lo, s20
.LBB331_1734:                           ;   in Loop: Header=BB331_1075 Depth=1
	s_delay_alu instid0(SALU_CYCLE_1)
	s_or_b32 exec_lo, exec_lo, s19
	v_fma_mixlo_bf16 v38, v118, v7, 0
	v_fma_mixlo_bf16 v39, v118, v6, 0
	v_fma_mixlo_bf16 v67, v118, v5, 0
	v_fma_mixlo_bf16 v19, v118, v4, 0
	v_fma_mixlo_bf16 v25, v118, v3, 0
	v_fma_mixlo_bf16 v70, v118, v2, 0
	v_fma_mixlo_bf16 v16, v118, v9, 0
	v_fma_mixlo_bf16 v17, v118, v8, 0
	s_and_saveexec_b32 s19, vcc_lo
	s_cbranch_execz .LBB331_1736
; %bb.1735:                             ;   in Loop: Header=BB331_1075 Depth=1
	v_cmp_lt_i32_e64 s1, v58, v99
	s_delay_alu instid0(VALU_DEP_1) | instskip(SKIP_1) | instid1(VALU_DEP_1)
	v_cndmask_b32_e64 v70, 0, v70, s1
	v_cmp_lt_i32_e64 s1, v62, v99
	v_cndmask_b32_e64 v25, 0, v25, s1
	v_cmp_lt_i32_e64 s1, v61, v99
	s_delay_alu instid0(VALU_DEP_1) | instskip(SKIP_1) | instid1(VALU_DEP_1)
	v_cndmask_b32_e64 v19, 0, v19, s1
	v_cmp_lt_i32_e64 s1, v60, v99
	v_cndmask_b32_e64 v67, 0, v67, s1
	;; [unrolled: 5-line block ×4, first 2 shown]
.LBB331_1736:                           ;   in Loop: Header=BB331_1075 Depth=1
	s_or_b32 exec_lo, exec_lo, s19
	flat_load_b64 v[52:53], v[50:51] offset:2560
	v_dual_mov_b32 v3, 0 :: v_dual_mov_b32 v2, 0
	s_mov_b32 s19, exec_lo
	s_wait_loadcnt_dscnt 0x0
	v_and_b32_e32 v4, 0xff, v52
	s_wait_xcnt 0x0
	s_delay_alu instid0(VALU_DEP_1)
	v_cmpx_ne_u16_e32 0, v4
	s_cbranch_execz .LBB331_1744
; %bb.1737:                             ;   in Loop: Header=BB331_1075 Depth=1
	v_bfrev_b32_e32 v2, 1
	s_mov_b32 s20, exec_lo
	v_cmpx_ne_u16_e32 0x80, v4
	s_cbranch_execz .LBB331_1743
; %bb.1738:                             ;   in Loop: Header=BB331_1075 Depth=1
	v_and_b32_e32 v4, 0x7f, v52
	v_mov_b32_e32 v2, 0x7f800001
	s_mov_b32 s21, exec_lo
	s_delay_alu instid0(VALU_DEP_2)
	v_cmpx_ne_u32_e32 0x7f, v4
	s_cbranch_execz .LBB331_1742
; %bb.1739:                             ;   in Loop: Header=BB331_1075 Depth=1
	v_mov_b64_e32 v[54:55], v[52:53]
	v_lshrrev_b32_e32 v2, 3, v4
	s_mov_b32 s22, exec_lo
	v_cmpx_gt_u32_e32 8, v4
; %bb.1740:                             ;   in Loop: Header=BB331_1075 Depth=1
	v_and_b32_e32 v2, 7, v52
	s_delay_alu instid0(VALU_DEP_1) | instskip(NEXT) | instid1(VALU_DEP_1)
	v_clz_i32_u32_e32 v2, v2
	v_min_u32_e32 v2, 32, v2
	s_delay_alu instid0(VALU_DEP_1) | instskip(SKIP_1) | instid1(VALU_DEP_2)
	v_subrev_nc_u32_e32 v4, 28, v2
	v_sub_nc_u32_e32 v2, 29, v2
	v_lshlrev_b64_e32 v[54:55], v4, v[52:53]
; %bb.1741:                             ;   in Loop: Header=BB331_1075 Depth=1
	s_or_b32 exec_lo, exec_lo, s22
	s_delay_alu instid0(VALU_DEP_1) | instskip(NEXT) | instid1(VALU_DEP_3)
	v_dual_lshlrev_b32 v4, 20, v54 :: v_dual_lshlrev_b32 v5, 24, v52
	v_lshl_add_u32 v2, v2, 23, 0x3c000000
	s_delay_alu instid0(VALU_DEP_2) | instskip(NEXT) | instid1(VALU_DEP_3)
	v_and_b32_e32 v4, 0x700000, v4
	v_and_b32_e32 v5, 0x80000000, v5
	s_delay_alu instid0(VALU_DEP_1)
	v_or3_b32 v2, v4, v5, v2
.LBB331_1742:                           ;   in Loop: Header=BB331_1075 Depth=1
	s_or_b32 exec_lo, exec_lo, s21
.LBB331_1743:                           ;   in Loop: Header=BB331_1075 Depth=1
	s_delay_alu instid0(SALU_CYCLE_1)
	s_or_b32 exec_lo, exec_lo, s20
.LBB331_1744:                           ;   in Loop: Header=BB331_1075 Depth=1
	s_delay_alu instid0(SALU_CYCLE_1) | instskip(SKIP_2) | instid1(VALU_DEP_1)
	s_or_b32 exec_lo, exec_lo, s19
	v_lshrrev_b16 v4, 8, v52
	s_mov_b32 s19, exec_lo
	v_cmpx_ne_u16_e32 0, v4
	s_cbranch_execz .LBB331_1752
; %bb.1745:                             ;   in Loop: Header=BB331_1075 Depth=1
	v_bfrev_b32_e32 v3, 1
	s_mov_b32 s20, exec_lo
	v_cmpx_ne_u16_e32 0x80, v4
	s_cbranch_execz .LBB331_1751
; %bb.1746:                             ;   in Loop: Header=BB331_1075 Depth=1
	v_and_b32_e32 v5, 0xffff, v4
	v_mov_b32_e32 v3, 0x7f800001
	s_mov_b32 s21, exec_lo
	s_delay_alu instid0(VALU_DEP_2) | instskip(NEXT) | instid1(VALU_DEP_1)
	v_and_b32_e32 v4, 0x7f, v5
	v_cmpx_ne_u32_e32 0x7f, v4
	s_cbranch_execz .LBB331_1750
; %bb.1747:                             ;   in Loop: Header=BB331_1075 Depth=1
	v_dual_lshrrev_b32 v3, 3, v4 :: v_dual_bitop2_b32 v26, 7, v5 bitop3:0x40
	s_mov_b32 s22, exec_lo
	s_delay_alu instid0(VALU_DEP_1)
	v_mov_b64_e32 v[54:55], v[26:27]
	v_cmpx_gt_u32_e32 8, v4
; %bb.1748:                             ;   in Loop: Header=BB331_1075 Depth=1
	v_clz_i32_u32_e32 v3, v26
	s_delay_alu instid0(VALU_DEP_1) | instskip(NEXT) | instid1(VALU_DEP_1)
	v_min_u32_e32 v3, 32, v3
	v_subrev_nc_u32_e32 v4, 28, v3
	s_delay_alu instid0(VALU_DEP_1) | instskip(NEXT) | instid1(VALU_DEP_1)
	v_lshlrev_b64_e32 v[4:5], v4, v[26:27]
	v_dual_sub_nc_u32 v3, 29, v3 :: v_dual_bitop2_b32 v54, 7, v4 bitop3:0x40
; %bb.1749:                             ;   in Loop: Header=BB331_1075 Depth=1
	s_or_b32 exec_lo, exec_lo, s22
	s_delay_alu instid0(VALU_DEP_1) | instskip(NEXT) | instid1(VALU_DEP_2)
	v_dual_lshlrev_b32 v4, 16, v52 :: v_dual_lshlrev_b32 v5, 20, v54
	v_lshl_add_u32 v3, v3, 23, 0x3c000000
	s_delay_alu instid0(VALU_DEP_2) | instskip(NEXT) | instid1(VALU_DEP_1)
	v_and_b32_e32 v4, 0x80000000, v4
	v_or3_b32 v3, v5, v4, v3
.LBB331_1750:                           ;   in Loop: Header=BB331_1075 Depth=1
	s_or_b32 exec_lo, exec_lo, s21
.LBB331_1751:                           ;   in Loop: Header=BB331_1075 Depth=1
	s_delay_alu instid0(SALU_CYCLE_1)
	s_or_b32 exec_lo, exec_lo, s20
.LBB331_1752:                           ;   in Loop: Header=BB331_1075 Depth=1
	s_delay_alu instid0(SALU_CYCLE_1) | instskip(SKIP_3) | instid1(VALU_DEP_2)
	s_or_b32 exec_lo, exec_lo, s19
	v_dual_mov_b32 v5, 0 :: v_dual_lshrrev_b32 v6, 16, v52
	v_mov_b32_e32 v4, 0
	s_mov_b32 s19, exec_lo
	v_and_b32_e32 v7, 0xff, v6
	s_delay_alu instid0(VALU_DEP_1)
	v_cmpx_ne_u16_e32 0, v7
	s_cbranch_execz .LBB331_1760
; %bb.1753:                             ;   in Loop: Header=BB331_1075 Depth=1
	v_bfrev_b32_e32 v4, 1
	s_mov_b32 s20, exec_lo
	v_cmpx_ne_u16_e32 0x80, v7
	s_cbranch_execz .LBB331_1759
; %bb.1754:                             ;   in Loop: Header=BB331_1075 Depth=1
	v_bfe_u32 v7, v52, 16, 7
	v_mov_b32_e32 v4, 0x7f800001
	s_mov_b32 s21, exec_lo
	s_delay_alu instid0(VALU_DEP_2)
	v_cmpx_ne_u32_e32 0x7f, v7
	s_cbranch_execz .LBB331_1758
; %bb.1755:                             ;   in Loop: Header=BB331_1075 Depth=1
	v_dual_lshrrev_b32 v4, 3, v7 :: v_dual_bitop2_b32 v26, 7, v6 bitop3:0x40
	s_mov_b32 s22, exec_lo
	s_delay_alu instid0(VALU_DEP_1)
	v_mov_b64_e32 v[54:55], v[26:27]
	v_cmpx_gt_u32_e32 8, v7
; %bb.1756:                             ;   in Loop: Header=BB331_1075 Depth=1
	v_clz_i32_u32_e32 v4, v26
	s_delay_alu instid0(VALU_DEP_1) | instskip(NEXT) | instid1(VALU_DEP_1)
	v_min_u32_e32 v4, 32, v4
	v_subrev_nc_u32_e32 v7, 28, v4
	v_sub_nc_u32_e32 v4, 29, v4
	s_delay_alu instid0(VALU_DEP_2) | instskip(NEXT) | instid1(VALU_DEP_1)
	v_lshlrev_b64_e32 v[8:9], v7, v[26:27]
	v_and_b32_e32 v54, 7, v8
; %bb.1757:                             ;   in Loop: Header=BB331_1075 Depth=1
	s_or_b32 exec_lo, exec_lo, s22
	v_lshlrev_b32_e32 v6, 24, v6
	s_delay_alu instid0(VALU_DEP_2) | instskip(SKIP_1) | instid1(VALU_DEP_3)
	v_lshlrev_b32_e32 v7, 20, v54
	v_lshl_add_u32 v4, v4, 23, 0x3c000000
	v_and_b32_e32 v6, 0x80000000, v6
	s_delay_alu instid0(VALU_DEP_1)
	v_or3_b32 v4, v7, v6, v4
.LBB331_1758:                           ;   in Loop: Header=BB331_1075 Depth=1
	s_or_b32 exec_lo, exec_lo, s21
.LBB331_1759:                           ;   in Loop: Header=BB331_1075 Depth=1
	s_delay_alu instid0(SALU_CYCLE_1)
	s_or_b32 exec_lo, exec_lo, s20
.LBB331_1760:                           ;   in Loop: Header=BB331_1075 Depth=1
	s_delay_alu instid0(SALU_CYCLE_1) | instskip(NEXT) | instid1(SALU_CYCLE_1)
	s_or_b32 exec_lo, exec_lo, s19
	s_mov_b32 s19, exec_lo
	v_cmpx_lt_u32_e32 0xffffff, v52
	s_cbranch_execz .LBB331_1768
; %bb.1761:                             ;   in Loop: Header=BB331_1075 Depth=1
	v_lshrrev_b32_e32 v6, 24, v52
	v_bfrev_b32_e32 v5, 1
	s_mov_b32 s20, exec_lo
	s_delay_alu instid0(VALU_DEP_2)
	v_cmpx_ne_u32_e32 0x80, v6
	s_cbranch_execz .LBB331_1767
; %bb.1762:                             ;   in Loop: Header=BB331_1075 Depth=1
	v_bfe_u32 v7, v52, 24, 7
	v_mov_b32_e32 v5, 0x7f800001
	s_mov_b32 s21, exec_lo
	s_delay_alu instid0(VALU_DEP_2)
	v_cmpx_ne_u32_e32 0x7f, v7
	s_cbranch_execz .LBB331_1766
; %bb.1763:                             ;   in Loop: Header=BB331_1075 Depth=1
	v_dual_lshrrev_b32 v5, 3, v7 :: v_dual_bitop2_b32 v26, 7, v6 bitop3:0x40
	s_mov_b32 s22, exec_lo
	s_delay_alu instid0(VALU_DEP_1)
	v_mov_b64_e32 v[54:55], v[26:27]
	v_cmpx_gt_u32_e32 8, v7
; %bb.1764:                             ;   in Loop: Header=BB331_1075 Depth=1
	v_clz_i32_u32_e32 v5, v26
	s_delay_alu instid0(VALU_DEP_1) | instskip(NEXT) | instid1(VALU_DEP_1)
	v_min_u32_e32 v5, 32, v5
	v_subrev_nc_u32_e32 v7, 28, v5
	s_delay_alu instid0(VALU_DEP_1) | instskip(NEXT) | instid1(VALU_DEP_1)
	v_lshlrev_b64_e32 v[8:9], v7, v[26:27]
	v_dual_sub_nc_u32 v5, 29, v5 :: v_dual_bitop2_b32 v54, 7, v8 bitop3:0x40
; %bb.1765:                             ;   in Loop: Header=BB331_1075 Depth=1
	s_or_b32 exec_lo, exec_lo, s22
	v_lshlrev_b32_e32 v6, 24, v6
	s_delay_alu instid0(VALU_DEP_2) | instskip(NEXT) | instid1(VALU_DEP_3)
	v_lshlrev_b32_e32 v7, 20, v54
	v_lshl_add_u32 v5, v5, 23, 0x3c000000
	s_delay_alu instid0(VALU_DEP_3) | instskip(NEXT) | instid1(VALU_DEP_1)
	v_and_b32_e32 v6, 0x80000000, v6
	v_or3_b32 v5, v7, v6, v5
.LBB331_1766:                           ;   in Loop: Header=BB331_1075 Depth=1
	s_or_b32 exec_lo, exec_lo, s21
.LBB331_1767:                           ;   in Loop: Header=BB331_1075 Depth=1
	s_delay_alu instid0(SALU_CYCLE_1)
	s_or_b32 exec_lo, exec_lo, s20
.LBB331_1768:                           ;   in Loop: Header=BB331_1075 Depth=1
	s_delay_alu instid0(SALU_CYCLE_1) | instskip(SKIP_4) | instid1(VALU_DEP_3)
	s_or_b32 exec_lo, exec_lo, s19
	v_and_b32_e32 v8, 0xff, v53
	v_dual_mov_b32 v26, v53 :: v_dual_mov_b32 v7, 0
	v_mov_b32_e32 v6, 0
	s_mov_b32 s19, exec_lo
	v_cmpx_ne_u16_e32 0, v8
	s_cbranch_execz .LBB331_1776
; %bb.1769:                             ;   in Loop: Header=BB331_1075 Depth=1
	v_bfrev_b32_e32 v6, 1
	s_mov_b32 s20, exec_lo
	v_cmpx_ne_u16_e32 0x80, v8
	s_cbranch_execz .LBB331_1775
; %bb.1770:                             ;   in Loop: Header=BB331_1075 Depth=1
	v_and_b32_e32 v8, 0x7f, v53
	v_mov_b32_e32 v6, 0x7f800001
	s_mov_b32 s21, exec_lo
	s_delay_alu instid0(VALU_DEP_2)
	v_cmpx_ne_u32_e32 0x7f, v8
	s_cbranch_execz .LBB331_1774
; %bb.1771:                             ;   in Loop: Header=BB331_1075 Depth=1
	v_mov_b64_e32 v[54:55], v[26:27]
	v_lshrrev_b32_e32 v6, 3, v8
	s_mov_b32 s22, exec_lo
	v_cmpx_gt_u32_e32 8, v8
; %bb.1772:                             ;   in Loop: Header=BB331_1075 Depth=1
	v_and_b32_e32 v6, 7, v53
	s_delay_alu instid0(VALU_DEP_1) | instskip(NEXT) | instid1(VALU_DEP_1)
	v_clz_i32_u32_e32 v6, v6
	v_min_u32_e32 v6, 32, v6
	s_delay_alu instid0(VALU_DEP_1) | instskip(SKIP_1) | instid1(VALU_DEP_2)
	v_subrev_nc_u32_e32 v8, 28, v6
	v_sub_nc_u32_e32 v6, 29, v6
	v_lshlrev_b64_e32 v[54:55], v8, v[26:27]
; %bb.1773:                             ;   in Loop: Header=BB331_1075 Depth=1
	s_or_b32 exec_lo, exec_lo, s22
	s_delay_alu instid0(VALU_DEP_1) | instskip(SKIP_2) | instid1(VALU_DEP_3)
	v_lshlrev_b32_e32 v8, 20, v54
	v_lshlrev_b32_e32 v9, 24, v26
	v_lshl_add_u32 v6, v6, 23, 0x3c000000
	v_and_b32_e32 v8, 0x700000, v8
	s_delay_alu instid0(VALU_DEP_3) | instskip(NEXT) | instid1(VALU_DEP_1)
	v_and_b32_e32 v9, 0x80000000, v9
	v_or3_b32 v6, v8, v9, v6
.LBB331_1774:                           ;   in Loop: Header=BB331_1075 Depth=1
	s_or_b32 exec_lo, exec_lo, s21
.LBB331_1775:                           ;   in Loop: Header=BB331_1075 Depth=1
	s_delay_alu instid0(SALU_CYCLE_1)
	s_or_b32 exec_lo, exec_lo, s20
.LBB331_1776:                           ;   in Loop: Header=BB331_1075 Depth=1
	s_delay_alu instid0(SALU_CYCLE_1) | instskip(SKIP_2) | instid1(VALU_DEP_1)
	s_or_b32 exec_lo, exec_lo, s19
	v_lshrrev_b16 v8, 8, v26
	s_mov_b32 s19, exec_lo
	v_cmpx_ne_u16_e32 0, v8
	s_cbranch_execz .LBB331_1784
; %bb.1777:                             ;   in Loop: Header=BB331_1075 Depth=1
	v_bfrev_b32_e32 v7, 1
	s_mov_b32 s20, exec_lo
	v_cmpx_ne_u16_e32 0x80, v8
	s_cbranch_execz .LBB331_1783
; %bb.1778:                             ;   in Loop: Header=BB331_1075 Depth=1
	v_and_b32_e32 v9, 0xffff, v8
	v_mov_b32_e32 v7, 0x7f800001
	s_mov_b32 s21, exec_lo
	s_delay_alu instid0(VALU_DEP_2) | instskip(NEXT) | instid1(VALU_DEP_1)
	v_and_b32_e32 v8, 0x7f, v9
	v_cmpx_ne_u32_e32 0x7f, v8
	s_cbranch_execz .LBB331_1782
; %bb.1779:                             ;   in Loop: Header=BB331_1075 Depth=1
	v_dual_mov_b32 v55, v27 :: v_dual_bitop2_b32 v54, 7, v9 bitop3:0x40
	v_lshrrev_b32_e32 v7, 3, v8
	s_mov_b32 s22, exec_lo
	v_cmpx_gt_u32_e32 8, v8
; %bb.1780:                             ;   in Loop: Header=BB331_1075 Depth=1
	s_delay_alu instid0(VALU_DEP_3) | instskip(NEXT) | instid1(VALU_DEP_1)
	v_clz_i32_u32_e32 v7, v54
	v_min_u32_e32 v7, 32, v7
	s_delay_alu instid0(VALU_DEP_1) | instskip(NEXT) | instid1(VALU_DEP_1)
	v_subrev_nc_u32_e32 v8, 28, v7
	v_lshlrev_b64_e32 v[8:9], v8, v[54:55]
	s_delay_alu instid0(VALU_DEP_1)
	v_dual_sub_nc_u32 v7, 29, v7 :: v_dual_bitop2_b32 v54, 7, v8 bitop3:0x40
; %bb.1781:                             ;   in Loop: Header=BB331_1075 Depth=1
	s_or_b32 exec_lo, exec_lo, s22
	v_lshlrev_b32_e32 v8, 16, v26
	s_delay_alu instid0(VALU_DEP_2) | instskip(NEXT) | instid1(VALU_DEP_3)
	v_lshlrev_b32_e32 v9, 20, v54
	v_lshl_add_u32 v7, v7, 23, 0x3c000000
	s_delay_alu instid0(VALU_DEP_3) | instskip(NEXT) | instid1(VALU_DEP_1)
	v_and_b32_e32 v8, 0x80000000, v8
	v_or3_b32 v7, v9, v8, v7
.LBB331_1782:                           ;   in Loop: Header=BB331_1075 Depth=1
	s_or_b32 exec_lo, exec_lo, s21
.LBB331_1783:                           ;   in Loop: Header=BB331_1075 Depth=1
	s_delay_alu instid0(SALU_CYCLE_1)
	s_or_b32 exec_lo, exec_lo, s20
.LBB331_1784:                           ;   in Loop: Header=BB331_1075 Depth=1
	s_delay_alu instid0(SALU_CYCLE_1) | instskip(SKIP_3) | instid1(VALU_DEP_2)
	s_or_b32 exec_lo, exec_lo, s19
	v_dual_mov_b32 v8, 0 :: v_dual_lshrrev_b32 v71, 16, v53
	v_mov_b32_e32 v9, 0
	s_mov_b32 s19, exec_lo
	v_and_b32_e32 v26, 0xff, v71
	s_delay_alu instid0(VALU_DEP_1)
	v_cmpx_ne_u16_e32 0, v26
	s_cbranch_execz .LBB331_1792
; %bb.1785:                             ;   in Loop: Header=BB331_1075 Depth=1
	v_bfrev_b32_e32 v9, 1
	s_mov_b32 s20, exec_lo
	v_cmpx_ne_u16_e32 0x80, v26
	s_cbranch_execz .LBB331_1791
; %bb.1786:                             ;   in Loop: Header=BB331_1075 Depth=1
	v_bfe_u32 v54, v53, 16, 7
	v_mov_b32_e32 v9, 0x7f800001
	s_mov_b32 s21, exec_lo
	s_delay_alu instid0(VALU_DEP_2)
	v_cmpx_ne_u32_e32 0x7f, v54
	s_cbranch_execz .LBB331_1790
; %bb.1787:                             ;   in Loop: Header=BB331_1075 Depth=1
	v_dual_lshrrev_b32 v9, 3, v54 :: v_dual_bitop2_b32 v26, 7, v71 bitop3:0x40
	v_cmp_gt_u32_e64 s1, 8, v54
	s_delay_alu instid0(VALU_DEP_2)
	v_mov_b64_e32 v[54:55], v[26:27]
	s_and_saveexec_b32 s22, s1
; %bb.1788:                             ;   in Loop: Header=BB331_1075 Depth=1
	v_clz_i32_u32_e32 v9, v26
	s_delay_alu instid0(VALU_DEP_1) | instskip(NEXT) | instid1(VALU_DEP_1)
	v_min_u32_e32 v9, 32, v9
	v_subrev_nc_u32_e32 v54, 28, v9
	s_delay_alu instid0(VALU_DEP_1) | instskip(NEXT) | instid1(VALU_DEP_1)
	v_lshlrev_b64_e32 v[54:55], v54, v[26:27]
	v_dual_sub_nc_u32 v9, 29, v9 :: v_dual_bitop2_b32 v54, 7, v54 bitop3:0x40
; %bb.1789:                             ;   in Loop: Header=BB331_1075 Depth=1
	s_or_b32 exec_lo, exec_lo, s22
	s_delay_alu instid0(VALU_DEP_1) | instskip(NEXT) | instid1(VALU_DEP_2)
	v_dual_lshlrev_b32 v26, 24, v71 :: v_dual_lshlrev_b32 v54, 20, v54
	v_lshl_add_u32 v9, v9, 23, 0x3c000000
	s_delay_alu instid0(VALU_DEP_2) | instskip(NEXT) | instid1(VALU_DEP_1)
	v_and_b32_e32 v26, 0x80000000, v26
	v_or3_b32 v9, v54, v26, v9
.LBB331_1790:                           ;   in Loop: Header=BB331_1075 Depth=1
	s_or_b32 exec_lo, exec_lo, s21
.LBB331_1791:                           ;   in Loop: Header=BB331_1075 Depth=1
	s_delay_alu instid0(SALU_CYCLE_1)
	s_or_b32 exec_lo, exec_lo, s20
.LBB331_1792:                           ;   in Loop: Header=BB331_1075 Depth=1
	s_delay_alu instid0(SALU_CYCLE_1) | instskip(NEXT) | instid1(SALU_CYCLE_1)
	s_or_b32 exec_lo, exec_lo, s19
	s_mov_b32 s19, exec_lo
	v_cmpx_lt_u64_e64 s[2:3], v[52:53]
	s_cbranch_execz .LBB331_1800
; %bb.1793:                             ;   in Loop: Header=BB331_1075 Depth=1
	v_lshrrev_b32_e32 v54, 24, v53
	v_bfrev_b32_e32 v8, 1
	s_mov_b32 s20, exec_lo
	s_delay_alu instid0(VALU_DEP_2)
	v_cmpx_ne_u32_e32 0x80, v54
	s_cbranch_execz .LBB331_1799
; %bb.1794:                             ;   in Loop: Header=BB331_1075 Depth=1
	v_bfe_u32 v52, v53, 24, 7
	v_mov_b32_e32 v8, 0x7f800001
	s_mov_b32 s21, exec_lo
	s_delay_alu instid0(VALU_DEP_2)
	v_cmpx_ne_u32_e32 0x7f, v52
	s_cbranch_execz .LBB331_1798
; %bb.1795:                             ;   in Loop: Header=BB331_1075 Depth=1
	v_dual_lshrrev_b32 v8, 3, v52 :: v_dual_bitop2_b32 v26, 7, v54 bitop3:0x40
	v_cmp_gt_u32_e64 s1, 8, v52
	s_delay_alu instid0(VALU_DEP_2)
	v_mov_b64_e32 v[52:53], v[26:27]
	s_and_saveexec_b32 s22, s1
; %bb.1796:                             ;   in Loop: Header=BB331_1075 Depth=1
	v_clz_i32_u32_e32 v8, v26
	s_delay_alu instid0(VALU_DEP_1) | instskip(NEXT) | instid1(VALU_DEP_1)
	v_min_u32_e32 v8, 32, v8
	v_subrev_nc_u32_e32 v52, 28, v8
	v_sub_nc_u32_e32 v8, 29, v8
	s_delay_alu instid0(VALU_DEP_2) | instskip(NEXT) | instid1(VALU_DEP_1)
	v_lshlrev_b64_e32 v[52:53], v52, v[26:27]
	v_and_b32_e32 v52, 7, v52
; %bb.1797:                             ;   in Loop: Header=BB331_1075 Depth=1
	s_or_b32 exec_lo, exec_lo, s22
	s_delay_alu instid0(VALU_DEP_1) | instskip(SKIP_1) | instid1(VALU_DEP_2)
	v_dual_lshlrev_b32 v26, 24, v54 :: v_dual_lshlrev_b32 v52, 20, v52
	v_lshl_add_u32 v8, v8, 23, 0x3c000000
	v_and_b32_e32 v26, 0x80000000, v26
	s_delay_alu instid0(VALU_DEP_1)
	v_or3_b32 v8, v52, v26, v8
.LBB331_1798:                           ;   in Loop: Header=BB331_1075 Depth=1
	s_or_b32 exec_lo, exec_lo, s21
.LBB331_1799:                           ;   in Loop: Header=BB331_1075 Depth=1
	s_delay_alu instid0(SALU_CYCLE_1)
	s_or_b32 exec_lo, exec_lo, s20
.LBB331_1800:                           ;   in Loop: Header=BB331_1075 Depth=1
	s_delay_alu instid0(SALU_CYCLE_1)
	s_or_b32 exec_lo, exec_lo, s19
	v_fma_mixlo_bf16 v71, v118, v7, 0
	v_fma_mixlo_bf16 v80, v118, v6, 0
	;; [unrolled: 1-line block ×8, first 2 shown]
	s_and_saveexec_b32 s19, vcc_lo
	s_cbranch_execz .LBB331_1802
; %bb.1801:                             ;   in Loop: Header=BB331_1075 Depth=1
	v_cmp_lt_i32_e64 s1, v58, v99
	s_delay_alu instid0(VALU_DEP_1) | instskip(SKIP_1) | instid1(VALU_DEP_1)
	v_cndmask_b32_e64 v86, 0, v86, s1
	v_cmp_lt_i32_e64 s1, v62, v99
	v_cndmask_b32_e64 v85, 0, v85, s1
	v_cmp_lt_i32_e64 s1, v61, v99
	s_delay_alu instid0(VALU_DEP_1) | instskip(SKIP_1) | instid1(VALU_DEP_1)
	v_cndmask_b32_e64 v84, 0, v84, s1
	v_cmp_lt_i32_e64 s1, v60, v99
	v_cndmask_b32_e64 v83, 0, v83, s1
	;; [unrolled: 5-line block ×4, first 2 shown]
.LBB331_1802:                           ;   in Loop: Header=BB331_1075 Depth=1
	s_or_b32 exec_lo, exec_lo, s19
	flat_load_b64 v[52:53], v[50:51] offset:2816
	v_dual_mov_b32 v2, 0 :: v_dual_mov_b32 v3, 0
	s_mov_b32 s19, exec_lo
	s_wait_loadcnt_dscnt 0x0
	v_and_b32_e32 v4, 0xff, v52
	s_wait_xcnt 0x0
	s_delay_alu instid0(VALU_DEP_1)
	v_cmpx_ne_u16_e32 0, v4
	s_cbranch_execz .LBB331_1810
; %bb.1803:                             ;   in Loop: Header=BB331_1075 Depth=1
	v_bfrev_b32_e32 v3, 1
	s_mov_b32 s20, exec_lo
	v_cmpx_ne_u16_e32 0x80, v4
	s_cbranch_execz .LBB331_1809
; %bb.1804:                             ;   in Loop: Header=BB331_1075 Depth=1
	v_and_b32_e32 v4, 0x7f, v52
	v_mov_b32_e32 v3, 0x7f800001
	s_mov_b32 s21, exec_lo
	s_delay_alu instid0(VALU_DEP_2)
	v_cmpx_ne_u32_e32 0x7f, v4
	s_cbranch_execz .LBB331_1808
; %bb.1805:                             ;   in Loop: Header=BB331_1075 Depth=1
	v_mov_b64_e32 v[54:55], v[52:53]
	v_lshrrev_b32_e32 v3, 3, v4
	s_mov_b32 s22, exec_lo
	v_cmpx_gt_u32_e32 8, v4
; %bb.1806:                             ;   in Loop: Header=BB331_1075 Depth=1
	v_and_b32_e32 v3, 7, v52
	s_delay_alu instid0(VALU_DEP_1) | instskip(NEXT) | instid1(VALU_DEP_1)
	v_clz_i32_u32_e32 v3, v3
	v_min_u32_e32 v3, 32, v3
	s_delay_alu instid0(VALU_DEP_1) | instskip(SKIP_1) | instid1(VALU_DEP_2)
	v_subrev_nc_u32_e32 v4, 28, v3
	v_sub_nc_u32_e32 v3, 29, v3
	v_lshlrev_b64_e32 v[54:55], v4, v[52:53]
; %bb.1807:                             ;   in Loop: Header=BB331_1075 Depth=1
	s_or_b32 exec_lo, exec_lo, s22
	s_delay_alu instid0(VALU_DEP_1) | instskip(NEXT) | instid1(VALU_DEP_3)
	v_dual_lshlrev_b32 v4, 20, v54 :: v_dual_lshlrev_b32 v5, 24, v52
	v_lshl_add_u32 v3, v3, 23, 0x3c000000
	s_delay_alu instid0(VALU_DEP_2) | instskip(NEXT) | instid1(VALU_DEP_3)
	v_and_b32_e32 v4, 0x700000, v4
	v_and_b32_e32 v5, 0x80000000, v5
	s_delay_alu instid0(VALU_DEP_1)
	v_or3_b32 v3, v4, v5, v3
.LBB331_1808:                           ;   in Loop: Header=BB331_1075 Depth=1
	s_or_b32 exec_lo, exec_lo, s21
.LBB331_1809:                           ;   in Loop: Header=BB331_1075 Depth=1
	s_delay_alu instid0(SALU_CYCLE_1)
	s_or_b32 exec_lo, exec_lo, s20
.LBB331_1810:                           ;   in Loop: Header=BB331_1075 Depth=1
	s_delay_alu instid0(SALU_CYCLE_1) | instskip(SKIP_2) | instid1(VALU_DEP_1)
	s_or_b32 exec_lo, exec_lo, s19
	v_lshrrev_b16 v4, 8, v52
	s_mov_b32 s19, exec_lo
	v_cmpx_ne_u16_e32 0, v4
	s_cbranch_execz .LBB331_1818
; %bb.1811:                             ;   in Loop: Header=BB331_1075 Depth=1
	v_bfrev_b32_e32 v2, 1
	s_mov_b32 s20, exec_lo
	v_cmpx_ne_u16_e32 0x80, v4
	s_cbranch_execz .LBB331_1817
; %bb.1812:                             ;   in Loop: Header=BB331_1075 Depth=1
	v_and_b32_e32 v5, 0xffff, v4
	v_mov_b32_e32 v2, 0x7f800001
	s_mov_b32 s21, exec_lo
	s_delay_alu instid0(VALU_DEP_2) | instskip(NEXT) | instid1(VALU_DEP_1)
	v_and_b32_e32 v4, 0x7f, v5
	v_cmpx_ne_u32_e32 0x7f, v4
	s_cbranch_execz .LBB331_1816
; %bb.1813:                             ;   in Loop: Header=BB331_1075 Depth=1
	v_dual_lshrrev_b32 v2, 3, v4 :: v_dual_bitop2_b32 v26, 7, v5 bitop3:0x40
	s_mov_b32 s22, exec_lo
	s_delay_alu instid0(VALU_DEP_1)
	v_mov_b64_e32 v[54:55], v[26:27]
	v_cmpx_gt_u32_e32 8, v4
; %bb.1814:                             ;   in Loop: Header=BB331_1075 Depth=1
	v_clz_i32_u32_e32 v2, v26
	s_delay_alu instid0(VALU_DEP_1) | instskip(NEXT) | instid1(VALU_DEP_1)
	v_min_u32_e32 v2, 32, v2
	v_subrev_nc_u32_e32 v4, 28, v2
	s_delay_alu instid0(VALU_DEP_1) | instskip(NEXT) | instid1(VALU_DEP_1)
	v_lshlrev_b64_e32 v[4:5], v4, v[26:27]
	v_dual_sub_nc_u32 v2, 29, v2 :: v_dual_bitop2_b32 v54, 7, v4 bitop3:0x40
; %bb.1815:                             ;   in Loop: Header=BB331_1075 Depth=1
	s_or_b32 exec_lo, exec_lo, s22
	s_delay_alu instid0(VALU_DEP_1) | instskip(NEXT) | instid1(VALU_DEP_2)
	v_dual_lshlrev_b32 v4, 16, v52 :: v_dual_lshlrev_b32 v5, 20, v54
	v_lshl_add_u32 v2, v2, 23, 0x3c000000
	s_delay_alu instid0(VALU_DEP_2) | instskip(NEXT) | instid1(VALU_DEP_1)
	v_and_b32_e32 v4, 0x80000000, v4
	v_or3_b32 v2, v5, v4, v2
.LBB331_1816:                           ;   in Loop: Header=BB331_1075 Depth=1
	s_or_b32 exec_lo, exec_lo, s21
.LBB331_1817:                           ;   in Loop: Header=BB331_1075 Depth=1
	s_delay_alu instid0(SALU_CYCLE_1)
	s_or_b32 exec_lo, exec_lo, s20
.LBB331_1818:                           ;   in Loop: Header=BB331_1075 Depth=1
	s_delay_alu instid0(SALU_CYCLE_1) | instskip(SKIP_3) | instid1(VALU_DEP_2)
	s_or_b32 exec_lo, exec_lo, s19
	v_dual_mov_b32 v5, 0 :: v_dual_lshrrev_b32 v6, 16, v52
	v_mov_b32_e32 v4, 0
	s_mov_b32 s19, exec_lo
	v_and_b32_e32 v7, 0xff, v6
	s_delay_alu instid0(VALU_DEP_1)
	v_cmpx_ne_u16_e32 0, v7
	s_cbranch_execz .LBB331_1826
; %bb.1819:                             ;   in Loop: Header=BB331_1075 Depth=1
	v_bfrev_b32_e32 v4, 1
	s_mov_b32 s20, exec_lo
	v_cmpx_ne_u16_e32 0x80, v7
	s_cbranch_execz .LBB331_1825
; %bb.1820:                             ;   in Loop: Header=BB331_1075 Depth=1
	v_bfe_u32 v7, v52, 16, 7
	v_mov_b32_e32 v4, 0x7f800001
	s_mov_b32 s21, exec_lo
	s_delay_alu instid0(VALU_DEP_2)
	v_cmpx_ne_u32_e32 0x7f, v7
	s_cbranch_execz .LBB331_1824
; %bb.1821:                             ;   in Loop: Header=BB331_1075 Depth=1
	v_dual_lshrrev_b32 v4, 3, v7 :: v_dual_bitop2_b32 v26, 7, v6 bitop3:0x40
	s_mov_b32 s22, exec_lo
	s_delay_alu instid0(VALU_DEP_1)
	v_mov_b64_e32 v[54:55], v[26:27]
	v_cmpx_gt_u32_e32 8, v7
; %bb.1822:                             ;   in Loop: Header=BB331_1075 Depth=1
	v_clz_i32_u32_e32 v4, v26
	s_delay_alu instid0(VALU_DEP_1) | instskip(NEXT) | instid1(VALU_DEP_1)
	v_min_u32_e32 v4, 32, v4
	v_subrev_nc_u32_e32 v7, 28, v4
	v_sub_nc_u32_e32 v4, 29, v4
	s_delay_alu instid0(VALU_DEP_2) | instskip(NEXT) | instid1(VALU_DEP_1)
	v_lshlrev_b64_e32 v[8:9], v7, v[26:27]
	v_and_b32_e32 v54, 7, v8
; %bb.1823:                             ;   in Loop: Header=BB331_1075 Depth=1
	s_or_b32 exec_lo, exec_lo, s22
	v_lshlrev_b32_e32 v6, 24, v6
	s_delay_alu instid0(VALU_DEP_2) | instskip(SKIP_1) | instid1(VALU_DEP_3)
	v_lshlrev_b32_e32 v7, 20, v54
	v_lshl_add_u32 v4, v4, 23, 0x3c000000
	v_and_b32_e32 v6, 0x80000000, v6
	s_delay_alu instid0(VALU_DEP_1)
	v_or3_b32 v4, v7, v6, v4
.LBB331_1824:                           ;   in Loop: Header=BB331_1075 Depth=1
	s_or_b32 exec_lo, exec_lo, s21
.LBB331_1825:                           ;   in Loop: Header=BB331_1075 Depth=1
	s_delay_alu instid0(SALU_CYCLE_1)
	s_or_b32 exec_lo, exec_lo, s20
.LBB331_1826:                           ;   in Loop: Header=BB331_1075 Depth=1
	s_delay_alu instid0(SALU_CYCLE_1) | instskip(NEXT) | instid1(SALU_CYCLE_1)
	s_or_b32 exec_lo, exec_lo, s19
	s_mov_b32 s19, exec_lo
	v_cmpx_lt_u32_e32 0xffffff, v52
	s_cbranch_execz .LBB331_1834
; %bb.1827:                             ;   in Loop: Header=BB331_1075 Depth=1
	v_lshrrev_b32_e32 v6, 24, v52
	v_bfrev_b32_e32 v5, 1
	s_mov_b32 s20, exec_lo
	s_delay_alu instid0(VALU_DEP_2)
	v_cmpx_ne_u32_e32 0x80, v6
	s_cbranch_execz .LBB331_1833
; %bb.1828:                             ;   in Loop: Header=BB331_1075 Depth=1
	v_bfe_u32 v7, v52, 24, 7
	v_mov_b32_e32 v5, 0x7f800001
	s_mov_b32 s21, exec_lo
	s_delay_alu instid0(VALU_DEP_2)
	v_cmpx_ne_u32_e32 0x7f, v7
	s_cbranch_execz .LBB331_1832
; %bb.1829:                             ;   in Loop: Header=BB331_1075 Depth=1
	v_dual_lshrrev_b32 v5, 3, v7 :: v_dual_bitop2_b32 v26, 7, v6 bitop3:0x40
	s_mov_b32 s22, exec_lo
	s_delay_alu instid0(VALU_DEP_1)
	v_mov_b64_e32 v[54:55], v[26:27]
	v_cmpx_gt_u32_e32 8, v7
; %bb.1830:                             ;   in Loop: Header=BB331_1075 Depth=1
	v_clz_i32_u32_e32 v5, v26
	s_delay_alu instid0(VALU_DEP_1) | instskip(NEXT) | instid1(VALU_DEP_1)
	v_min_u32_e32 v5, 32, v5
	v_subrev_nc_u32_e32 v7, 28, v5
	s_delay_alu instid0(VALU_DEP_1) | instskip(NEXT) | instid1(VALU_DEP_1)
	v_lshlrev_b64_e32 v[8:9], v7, v[26:27]
	v_dual_sub_nc_u32 v5, 29, v5 :: v_dual_bitop2_b32 v54, 7, v8 bitop3:0x40
; %bb.1831:                             ;   in Loop: Header=BB331_1075 Depth=1
	s_or_b32 exec_lo, exec_lo, s22
	v_lshlrev_b32_e32 v6, 24, v6
	s_delay_alu instid0(VALU_DEP_2) | instskip(NEXT) | instid1(VALU_DEP_3)
	v_lshlrev_b32_e32 v7, 20, v54
	v_lshl_add_u32 v5, v5, 23, 0x3c000000
	s_delay_alu instid0(VALU_DEP_3) | instskip(NEXT) | instid1(VALU_DEP_1)
	v_and_b32_e32 v6, 0x80000000, v6
	v_or3_b32 v5, v7, v6, v5
.LBB331_1832:                           ;   in Loop: Header=BB331_1075 Depth=1
	s_or_b32 exec_lo, exec_lo, s21
.LBB331_1833:                           ;   in Loop: Header=BB331_1075 Depth=1
	s_delay_alu instid0(SALU_CYCLE_1)
	s_or_b32 exec_lo, exec_lo, s20
.LBB331_1834:                           ;   in Loop: Header=BB331_1075 Depth=1
	s_delay_alu instid0(SALU_CYCLE_1) | instskip(SKIP_4) | instid1(VALU_DEP_3)
	s_or_b32 exec_lo, exec_lo, s19
	v_and_b32_e32 v8, 0xff, v53
	v_dual_mov_b32 v26, v53 :: v_dual_mov_b32 v7, 0
	v_mov_b32_e32 v6, 0
	s_mov_b32 s19, exec_lo
	v_cmpx_ne_u16_e32 0, v8
	s_cbranch_execz .LBB331_1842
; %bb.1835:                             ;   in Loop: Header=BB331_1075 Depth=1
	v_bfrev_b32_e32 v6, 1
	s_mov_b32 s20, exec_lo
	v_cmpx_ne_u16_e32 0x80, v8
	s_cbranch_execz .LBB331_1841
; %bb.1836:                             ;   in Loop: Header=BB331_1075 Depth=1
	v_and_b32_e32 v8, 0x7f, v53
	v_mov_b32_e32 v6, 0x7f800001
	s_mov_b32 s21, exec_lo
	s_delay_alu instid0(VALU_DEP_2)
	v_cmpx_ne_u32_e32 0x7f, v8
	s_cbranch_execz .LBB331_1840
; %bb.1837:                             ;   in Loop: Header=BB331_1075 Depth=1
	v_mov_b64_e32 v[54:55], v[26:27]
	v_lshrrev_b32_e32 v6, 3, v8
	s_mov_b32 s22, exec_lo
	v_cmpx_gt_u32_e32 8, v8
; %bb.1838:                             ;   in Loop: Header=BB331_1075 Depth=1
	v_and_b32_e32 v6, 7, v53
	s_delay_alu instid0(VALU_DEP_1) | instskip(NEXT) | instid1(VALU_DEP_1)
	v_clz_i32_u32_e32 v6, v6
	v_min_u32_e32 v6, 32, v6
	s_delay_alu instid0(VALU_DEP_1) | instskip(SKIP_1) | instid1(VALU_DEP_2)
	v_subrev_nc_u32_e32 v8, 28, v6
	v_sub_nc_u32_e32 v6, 29, v6
	v_lshlrev_b64_e32 v[54:55], v8, v[26:27]
; %bb.1839:                             ;   in Loop: Header=BB331_1075 Depth=1
	s_or_b32 exec_lo, exec_lo, s22
	s_delay_alu instid0(VALU_DEP_1) | instskip(SKIP_2) | instid1(VALU_DEP_3)
	v_lshlrev_b32_e32 v8, 20, v54
	v_lshlrev_b32_e32 v9, 24, v26
	v_lshl_add_u32 v6, v6, 23, 0x3c000000
	v_and_b32_e32 v8, 0x700000, v8
	s_delay_alu instid0(VALU_DEP_3) | instskip(NEXT) | instid1(VALU_DEP_1)
	v_and_b32_e32 v9, 0x80000000, v9
	v_or3_b32 v6, v8, v9, v6
.LBB331_1840:                           ;   in Loop: Header=BB331_1075 Depth=1
	s_or_b32 exec_lo, exec_lo, s21
.LBB331_1841:                           ;   in Loop: Header=BB331_1075 Depth=1
	s_delay_alu instid0(SALU_CYCLE_1)
	s_or_b32 exec_lo, exec_lo, s20
.LBB331_1842:                           ;   in Loop: Header=BB331_1075 Depth=1
	s_delay_alu instid0(SALU_CYCLE_1) | instskip(SKIP_2) | instid1(VALU_DEP_1)
	s_or_b32 exec_lo, exec_lo, s19
	v_lshrrev_b16 v8, 8, v26
	s_mov_b32 s19, exec_lo
	v_cmpx_ne_u16_e32 0, v8
	s_cbranch_execz .LBB331_1850
; %bb.1843:                             ;   in Loop: Header=BB331_1075 Depth=1
	v_bfrev_b32_e32 v7, 1
	s_mov_b32 s20, exec_lo
	v_cmpx_ne_u16_e32 0x80, v8
	s_cbranch_execz .LBB331_1849
; %bb.1844:                             ;   in Loop: Header=BB331_1075 Depth=1
	v_and_b32_e32 v9, 0xffff, v8
	v_mov_b32_e32 v7, 0x7f800001
	s_mov_b32 s21, exec_lo
	s_delay_alu instid0(VALU_DEP_2) | instskip(NEXT) | instid1(VALU_DEP_1)
	v_and_b32_e32 v8, 0x7f, v9
	v_cmpx_ne_u32_e32 0x7f, v8
	s_cbranch_execz .LBB331_1848
; %bb.1845:                             ;   in Loop: Header=BB331_1075 Depth=1
	v_dual_mov_b32 v55, v27 :: v_dual_bitop2_b32 v54, 7, v9 bitop3:0x40
	v_lshrrev_b32_e32 v7, 3, v8
	s_mov_b32 s22, exec_lo
	v_cmpx_gt_u32_e32 8, v8
; %bb.1846:                             ;   in Loop: Header=BB331_1075 Depth=1
	s_delay_alu instid0(VALU_DEP_3) | instskip(NEXT) | instid1(VALU_DEP_1)
	v_clz_i32_u32_e32 v7, v54
	v_min_u32_e32 v7, 32, v7
	s_delay_alu instid0(VALU_DEP_1) | instskip(NEXT) | instid1(VALU_DEP_1)
	v_subrev_nc_u32_e32 v8, 28, v7
	v_lshlrev_b64_e32 v[8:9], v8, v[54:55]
	s_delay_alu instid0(VALU_DEP_1)
	v_dual_sub_nc_u32 v7, 29, v7 :: v_dual_bitop2_b32 v54, 7, v8 bitop3:0x40
; %bb.1847:                             ;   in Loop: Header=BB331_1075 Depth=1
	s_or_b32 exec_lo, exec_lo, s22
	v_lshlrev_b32_e32 v8, 16, v26
	s_delay_alu instid0(VALU_DEP_2) | instskip(NEXT) | instid1(VALU_DEP_3)
	v_lshlrev_b32_e32 v9, 20, v54
	v_lshl_add_u32 v7, v7, 23, 0x3c000000
	s_delay_alu instid0(VALU_DEP_3) | instskip(NEXT) | instid1(VALU_DEP_1)
	v_and_b32_e32 v8, 0x80000000, v8
	v_or3_b32 v7, v9, v8, v7
.LBB331_1848:                           ;   in Loop: Header=BB331_1075 Depth=1
	s_or_b32 exec_lo, exec_lo, s21
.LBB331_1849:                           ;   in Loop: Header=BB331_1075 Depth=1
	s_delay_alu instid0(SALU_CYCLE_1)
	s_or_b32 exec_lo, exec_lo, s20
.LBB331_1850:                           ;   in Loop: Header=BB331_1075 Depth=1
	s_delay_alu instid0(SALU_CYCLE_1) | instskip(SKIP_3) | instid1(VALU_DEP_2)
	s_or_b32 exec_lo, exec_lo, s19
	v_dual_mov_b32 v8, 0 :: v_dual_lshrrev_b32 v87, 16, v53
	v_mov_b32_e32 v9, 0
	s_mov_b32 s19, exec_lo
	v_and_b32_e32 v26, 0xff, v87
	s_delay_alu instid0(VALU_DEP_1)
	v_cmpx_ne_u16_e32 0, v26
	s_cbranch_execz .LBB331_1858
; %bb.1851:                             ;   in Loop: Header=BB331_1075 Depth=1
	v_bfrev_b32_e32 v9, 1
	s_mov_b32 s20, exec_lo
	v_cmpx_ne_u16_e32 0x80, v26
	s_cbranch_execz .LBB331_1857
; %bb.1852:                             ;   in Loop: Header=BB331_1075 Depth=1
	v_bfe_u32 v54, v53, 16, 7
	v_mov_b32_e32 v9, 0x7f800001
	s_mov_b32 s21, exec_lo
	s_delay_alu instid0(VALU_DEP_2)
	v_cmpx_ne_u32_e32 0x7f, v54
	s_cbranch_execz .LBB331_1856
; %bb.1853:                             ;   in Loop: Header=BB331_1075 Depth=1
	v_dual_lshrrev_b32 v9, 3, v54 :: v_dual_bitop2_b32 v26, 7, v87 bitop3:0x40
	v_cmp_gt_u32_e64 s1, 8, v54
	s_delay_alu instid0(VALU_DEP_2)
	v_mov_b64_e32 v[54:55], v[26:27]
	s_and_saveexec_b32 s22, s1
; %bb.1854:                             ;   in Loop: Header=BB331_1075 Depth=1
	v_clz_i32_u32_e32 v9, v26
	s_delay_alu instid0(VALU_DEP_1) | instskip(NEXT) | instid1(VALU_DEP_1)
	v_min_u32_e32 v9, 32, v9
	v_subrev_nc_u32_e32 v54, 28, v9
	s_delay_alu instid0(VALU_DEP_1) | instskip(NEXT) | instid1(VALU_DEP_1)
	v_lshlrev_b64_e32 v[54:55], v54, v[26:27]
	v_dual_sub_nc_u32 v9, 29, v9 :: v_dual_bitop2_b32 v54, 7, v54 bitop3:0x40
; %bb.1855:                             ;   in Loop: Header=BB331_1075 Depth=1
	s_or_b32 exec_lo, exec_lo, s22
	s_delay_alu instid0(VALU_DEP_1) | instskip(NEXT) | instid1(VALU_DEP_2)
	v_dual_lshlrev_b32 v26, 24, v87 :: v_dual_lshlrev_b32 v54, 20, v54
	v_lshl_add_u32 v9, v9, 23, 0x3c000000
	s_delay_alu instid0(VALU_DEP_2) | instskip(NEXT) | instid1(VALU_DEP_1)
	v_and_b32_e32 v26, 0x80000000, v26
	v_or3_b32 v9, v54, v26, v9
.LBB331_1856:                           ;   in Loop: Header=BB331_1075 Depth=1
	s_or_b32 exec_lo, exec_lo, s21
.LBB331_1857:                           ;   in Loop: Header=BB331_1075 Depth=1
	s_delay_alu instid0(SALU_CYCLE_1)
	s_or_b32 exec_lo, exec_lo, s20
.LBB331_1858:                           ;   in Loop: Header=BB331_1075 Depth=1
	s_delay_alu instid0(SALU_CYCLE_1) | instskip(NEXT) | instid1(SALU_CYCLE_1)
	s_or_b32 exec_lo, exec_lo, s19
	s_mov_b32 s19, exec_lo
	v_cmpx_lt_u64_e64 s[2:3], v[52:53]
	s_cbranch_execz .LBB331_1866
; %bb.1859:                             ;   in Loop: Header=BB331_1075 Depth=1
	v_lshrrev_b32_e32 v54, 24, v53
	v_bfrev_b32_e32 v8, 1
	s_mov_b32 s20, exec_lo
	s_delay_alu instid0(VALU_DEP_2)
	v_cmpx_ne_u32_e32 0x80, v54
	s_cbranch_execz .LBB331_1865
; %bb.1860:                             ;   in Loop: Header=BB331_1075 Depth=1
	v_bfe_u32 v52, v53, 24, 7
	v_mov_b32_e32 v8, 0x7f800001
	s_mov_b32 s21, exec_lo
	s_delay_alu instid0(VALU_DEP_2)
	v_cmpx_ne_u32_e32 0x7f, v52
	s_cbranch_execz .LBB331_1864
; %bb.1861:                             ;   in Loop: Header=BB331_1075 Depth=1
	v_dual_lshrrev_b32 v8, 3, v52 :: v_dual_bitop2_b32 v26, 7, v54 bitop3:0x40
	v_cmp_gt_u32_e64 s1, 8, v52
	s_delay_alu instid0(VALU_DEP_2)
	v_mov_b64_e32 v[52:53], v[26:27]
	s_and_saveexec_b32 s22, s1
; %bb.1862:                             ;   in Loop: Header=BB331_1075 Depth=1
	v_clz_i32_u32_e32 v8, v26
	s_delay_alu instid0(VALU_DEP_1) | instskip(NEXT) | instid1(VALU_DEP_1)
	v_min_u32_e32 v8, 32, v8
	v_subrev_nc_u32_e32 v52, 28, v8
	v_sub_nc_u32_e32 v8, 29, v8
	s_delay_alu instid0(VALU_DEP_2) | instskip(NEXT) | instid1(VALU_DEP_1)
	v_lshlrev_b64_e32 v[52:53], v52, v[26:27]
	v_and_b32_e32 v52, 7, v52
; %bb.1863:                             ;   in Loop: Header=BB331_1075 Depth=1
	s_or_b32 exec_lo, exec_lo, s22
	s_delay_alu instid0(VALU_DEP_1) | instskip(SKIP_1) | instid1(VALU_DEP_2)
	v_dual_lshlrev_b32 v26, 24, v54 :: v_dual_lshlrev_b32 v52, 20, v52
	v_lshl_add_u32 v8, v8, 23, 0x3c000000
	v_and_b32_e32 v26, 0x80000000, v26
	s_delay_alu instid0(VALU_DEP_1)
	v_or3_b32 v8, v52, v26, v8
.LBB331_1864:                           ;   in Loop: Header=BB331_1075 Depth=1
	s_or_b32 exec_lo, exec_lo, s21
.LBB331_1865:                           ;   in Loop: Header=BB331_1075 Depth=1
	s_delay_alu instid0(SALU_CYCLE_1)
	s_or_b32 exec_lo, exec_lo, s20
.LBB331_1866:                           ;   in Loop: Header=BB331_1075 Depth=1
	s_delay_alu instid0(SALU_CYCLE_1)
	s_or_b32 exec_lo, exec_lo, s19
	v_fma_mixlo_bf16 v113, v118, v7, 0
	v_fma_mixlo_bf16 v115, v118, v6, 0
	;; [unrolled: 1-line block ×8, first 2 shown]
	s_and_saveexec_b32 s19, vcc_lo
	s_cbranch_execz .LBB331_1868
; %bb.1867:                             ;   in Loop: Header=BB331_1075 Depth=1
	v_cmp_lt_i32_e64 s1, v58, v99
	s_delay_alu instid0(VALU_DEP_1) | instskip(SKIP_1) | instid1(VALU_DEP_1)
	v_cndmask_b32_e64 v3, 0, v3, s1
	v_cmp_lt_i32_e64 s1, v62, v99
	v_cndmask_b32_e64 v2, 0, v2, s1
	v_cmp_lt_i32_e64 s1, v61, v99
	s_delay_alu instid0(VALU_DEP_1) | instskip(SKIP_1) | instid1(VALU_DEP_1)
	v_cndmask_b32_e64 v117, 0, v117, s1
	v_cmp_lt_i32_e64 s1, v60, v99
	v_cndmask_b32_e64 v116, 0, v116, s1
	;; [unrolled: 5-line block ×4, first 2 shown]
.LBB331_1868:                           ;   in Loop: Header=BB331_1075 Depth=1
	s_or_b32 exec_lo, exec_lo, s19
	flat_load_b64 v[52:53], v[50:51] offset:3072
	v_dual_mov_b32 v7, 0 :: v_dual_mov_b32 v6, 0
	s_mov_b32 s19, exec_lo
	s_wait_loadcnt_dscnt 0x0
	v_and_b32_e32 v4, 0xff, v52
	s_wait_xcnt 0x0
	s_delay_alu instid0(VALU_DEP_1)
	v_cmpx_ne_u16_e32 0, v4
	s_cbranch_execz .LBB331_1876
; %bb.1869:                             ;   in Loop: Header=BB331_1075 Depth=1
	v_bfrev_b32_e32 v6, 1
	s_mov_b32 s20, exec_lo
	v_cmpx_ne_u16_e32 0x80, v4
	s_cbranch_execz .LBB331_1875
; %bb.1870:                             ;   in Loop: Header=BB331_1075 Depth=1
	v_and_b32_e32 v5, 0x7f, v52
	v_mov_b32_e32 v6, 0x7f800001
	s_mov_b32 s21, exec_lo
	s_delay_alu instid0(VALU_DEP_2)
	v_cmpx_ne_u32_e32 0x7f, v5
	s_cbranch_execz .LBB331_1874
; %bb.1871:                             ;   in Loop: Header=BB331_1075 Depth=1
	v_mov_b64_e32 v[54:55], v[52:53]
	v_lshrrev_b32_e32 v4, 3, v5
	s_mov_b32 s22, exec_lo
	v_cmpx_gt_u32_e32 8, v5
; %bb.1872:                             ;   in Loop: Header=BB331_1075 Depth=1
	v_and_b32_e32 v4, 7, v52
	s_delay_alu instid0(VALU_DEP_1) | instskip(NEXT) | instid1(VALU_DEP_1)
	v_clz_i32_u32_e32 v4, v4
	v_min_u32_e32 v4, 32, v4
	s_delay_alu instid0(VALU_DEP_1) | instskip(SKIP_1) | instid1(VALU_DEP_2)
	v_subrev_nc_u32_e32 v5, 28, v4
	v_sub_nc_u32_e32 v4, 29, v4
	v_lshlrev_b64_e32 v[54:55], v5, v[52:53]
; %bb.1873:                             ;   in Loop: Header=BB331_1075 Depth=1
	s_or_b32 exec_lo, exec_lo, s22
	s_delay_alu instid0(VALU_DEP_1) | instskip(NEXT) | instid1(VALU_DEP_3)
	v_dual_lshlrev_b32 v5, 20, v54 :: v_dual_lshlrev_b32 v6, 24, v52
	v_lshl_add_u32 v4, v4, 23, 0x3c000000
	s_delay_alu instid0(VALU_DEP_2) | instskip(NEXT) | instid1(VALU_DEP_3)
	v_and_b32_e32 v5, 0x700000, v5
	v_and_b32_e32 v6, 0x80000000, v6
	s_delay_alu instid0(VALU_DEP_1)
	v_or3_b32 v6, v5, v6, v4
.LBB331_1874:                           ;   in Loop: Header=BB331_1075 Depth=1
	s_or_b32 exec_lo, exec_lo, s21
.LBB331_1875:                           ;   in Loop: Header=BB331_1075 Depth=1
	s_delay_alu instid0(SALU_CYCLE_1)
	s_or_b32 exec_lo, exec_lo, s20
.LBB331_1876:                           ;   in Loop: Header=BB331_1075 Depth=1
	s_delay_alu instid0(SALU_CYCLE_1) | instskip(SKIP_2) | instid1(VALU_DEP_1)
	s_or_b32 exec_lo, exec_lo, s19
	v_lshrrev_b16 v4, 8, v52
	s_mov_b32 s19, exec_lo
	v_cmpx_ne_u16_e32 0, v4
	s_cbranch_execz .LBB331_1884
; %bb.1877:                             ;   in Loop: Header=BB331_1075 Depth=1
	v_bfrev_b32_e32 v7, 1
	s_mov_b32 s20, exec_lo
	v_cmpx_ne_u16_e32 0x80, v4
	s_cbranch_execz .LBB331_1883
; %bb.1878:                             ;   in Loop: Header=BB331_1075 Depth=1
	v_and_b32_e32 v4, 0xffff, v4
	v_mov_b32_e32 v7, 0x7f800001
	s_mov_b32 s21, exec_lo
	s_delay_alu instid0(VALU_DEP_2) | instskip(NEXT) | instid1(VALU_DEP_1)
	v_and_b32_e32 v5, 0x7f, v4
	v_cmpx_ne_u32_e32 0x7f, v5
	s_cbranch_execz .LBB331_1882
; %bb.1879:                             ;   in Loop: Header=BB331_1075 Depth=1
	v_dual_lshrrev_b32 v4, 3, v5 :: v_dual_bitop2_b32 v26, 7, v4 bitop3:0x40
	s_mov_b32 s22, exec_lo
	s_delay_alu instid0(VALU_DEP_1)
	v_mov_b64_e32 v[54:55], v[26:27]
	v_cmpx_gt_u32_e32 8, v5
; %bb.1880:                             ;   in Loop: Header=BB331_1075 Depth=1
	v_clz_i32_u32_e32 v4, v26
	s_delay_alu instid0(VALU_DEP_1) | instskip(NEXT) | instid1(VALU_DEP_1)
	v_min_u32_e32 v4, 32, v4
	v_subrev_nc_u32_e32 v5, 28, v4
	v_sub_nc_u32_e32 v4, 29, v4
	s_delay_alu instid0(VALU_DEP_2) | instskip(NEXT) | instid1(VALU_DEP_1)
	v_lshlrev_b64_e32 v[8:9], v5, v[26:27]
	v_and_b32_e32 v54, 7, v8
; %bb.1881:                             ;   in Loop: Header=BB331_1075 Depth=1
	s_or_b32 exec_lo, exec_lo, s22
	s_delay_alu instid0(VALU_DEP_1) | instskip(SKIP_1) | instid1(VALU_DEP_2)
	v_dual_lshlrev_b32 v5, 16, v52 :: v_dual_lshlrev_b32 v7, 20, v54
	v_lshl_add_u32 v4, v4, 23, 0x3c000000
	v_and_b32_e32 v5, 0x80000000, v5
	s_delay_alu instid0(VALU_DEP_1)
	v_or3_b32 v7, v7, v5, v4
.LBB331_1882:                           ;   in Loop: Header=BB331_1075 Depth=1
	s_or_b32 exec_lo, exec_lo, s21
.LBB331_1883:                           ;   in Loop: Header=BB331_1075 Depth=1
	s_delay_alu instid0(SALU_CYCLE_1)
	s_or_b32 exec_lo, exec_lo, s20
.LBB331_1884:                           ;   in Loop: Header=BB331_1075 Depth=1
	s_delay_alu instid0(SALU_CYCLE_1) | instskip(SKIP_3) | instid1(VALU_DEP_2)
	s_or_b32 exec_lo, exec_lo, s19
	v_dual_lshrrev_b32 v4, 16, v52 :: v_dual_mov_b32 v8, 0
	v_mov_b32_e32 v9, 0
	s_mov_b32 s19, exec_lo
	v_and_b32_e32 v5, 0xff, v4
	s_delay_alu instid0(VALU_DEP_1)
	v_cmpx_ne_u16_e32 0, v5
	s_cbranch_execz .LBB331_1892
; %bb.1885:                             ;   in Loop: Header=BB331_1075 Depth=1
	v_bfrev_b32_e32 v9, 1
	s_mov_b32 s20, exec_lo
	v_cmpx_ne_u16_e32 0x80, v5
	s_cbranch_execz .LBB331_1891
; %bb.1886:                             ;   in Loop: Header=BB331_1075 Depth=1
	v_bfe_u32 v54, v52, 16, 7
	v_mov_b32_e32 v9, 0x7f800001
	s_mov_b32 s21, exec_lo
	s_delay_alu instid0(VALU_DEP_2)
	v_cmpx_ne_u32_e32 0x7f, v54
	s_cbranch_execz .LBB331_1890
; %bb.1887:                             ;   in Loop: Header=BB331_1075 Depth=1
	v_dual_lshrrev_b32 v5, 3, v54 :: v_dual_bitop2_b32 v26, 7, v4 bitop3:0x40
	v_cmp_gt_u32_e64 s1, 8, v54
	s_delay_alu instid0(VALU_DEP_2)
	v_mov_b64_e32 v[54:55], v[26:27]
	s_and_saveexec_b32 s22, s1
; %bb.1888:                             ;   in Loop: Header=BB331_1075 Depth=1
	v_clz_i32_u32_e32 v5, v26
	s_delay_alu instid0(VALU_DEP_1) | instskip(NEXT) | instid1(VALU_DEP_1)
	v_min_u32_e32 v5, 32, v5
	v_subrev_nc_u32_e32 v9, 28, v5
	s_delay_alu instid0(VALU_DEP_1) | instskip(NEXT) | instid1(VALU_DEP_1)
	v_lshlrev_b64_e32 v[54:55], v9, v[26:27]
	v_dual_sub_nc_u32 v5, 29, v5 :: v_dual_bitop2_b32 v54, 7, v54 bitop3:0x40
; %bb.1889:                             ;   in Loop: Header=BB331_1075 Depth=1
	s_or_b32 exec_lo, exec_lo, s22
	s_delay_alu instid0(VALU_DEP_1) | instskip(NEXT) | instid1(VALU_DEP_2)
	v_dual_lshlrev_b32 v4, 24, v4 :: v_dual_lshlrev_b32 v9, 20, v54
	v_lshl_add_u32 v5, v5, 23, 0x3c000000
	s_delay_alu instid0(VALU_DEP_2) | instskip(NEXT) | instid1(VALU_DEP_1)
	v_and_b32_e32 v4, 0x80000000, v4
	v_or3_b32 v9, v9, v4, v5
.LBB331_1890:                           ;   in Loop: Header=BB331_1075 Depth=1
	s_or_b32 exec_lo, exec_lo, s21
.LBB331_1891:                           ;   in Loop: Header=BB331_1075 Depth=1
	s_delay_alu instid0(SALU_CYCLE_1)
	s_or_b32 exec_lo, exec_lo, s20
.LBB331_1892:                           ;   in Loop: Header=BB331_1075 Depth=1
	s_delay_alu instid0(SALU_CYCLE_1) | instskip(NEXT) | instid1(SALU_CYCLE_1)
	s_or_b32 exec_lo, exec_lo, s19
	s_mov_b32 s19, exec_lo
	v_cmpx_lt_u32_e32 0xffffff, v52
	s_cbranch_execz .LBB331_1900
; %bb.1893:                             ;   in Loop: Header=BB331_1075 Depth=1
	v_lshrrev_b32_e32 v4, 24, v52
	v_bfrev_b32_e32 v8, 1
	s_mov_b32 s20, exec_lo
	s_delay_alu instid0(VALU_DEP_2)
	v_cmpx_ne_u32_e32 0x80, v4
	s_cbranch_execz .LBB331_1899
; %bb.1894:                             ;   in Loop: Header=BB331_1075 Depth=1
	v_bfe_u32 v54, v52, 24, 7
	v_mov_b32_e32 v8, 0x7f800001
	s_mov_b32 s21, exec_lo
	s_delay_alu instid0(VALU_DEP_2)
	v_cmpx_ne_u32_e32 0x7f, v54
	s_cbranch_execz .LBB331_1898
; %bb.1895:                             ;   in Loop: Header=BB331_1075 Depth=1
	v_dual_lshrrev_b32 v5, 3, v54 :: v_dual_bitop2_b32 v26, 7, v4 bitop3:0x40
	v_cmp_gt_u32_e64 s1, 8, v54
	s_delay_alu instid0(VALU_DEP_2)
	v_mov_b64_e32 v[54:55], v[26:27]
	s_and_saveexec_b32 s22, s1
; %bb.1896:                             ;   in Loop: Header=BB331_1075 Depth=1
	v_clz_i32_u32_e32 v5, v26
	s_delay_alu instid0(VALU_DEP_1) | instskip(NEXT) | instid1(VALU_DEP_1)
	v_min_u32_e32 v5, 32, v5
	v_subrev_nc_u32_e32 v8, 28, v5
	s_delay_alu instid0(VALU_DEP_1) | instskip(NEXT) | instid1(VALU_DEP_1)
	v_lshlrev_b64_e32 v[54:55], v8, v[26:27]
	v_dual_sub_nc_u32 v5, 29, v5 :: v_dual_bitop2_b32 v54, 7, v54 bitop3:0x40
; %bb.1897:                             ;   in Loop: Header=BB331_1075 Depth=1
	s_or_b32 exec_lo, exec_lo, s22
	s_delay_alu instid0(VALU_DEP_1) | instskip(NEXT) | instid1(VALU_DEP_2)
	v_dual_lshlrev_b32 v4, 24, v4 :: v_dual_lshlrev_b32 v8, 20, v54
	v_lshl_add_u32 v5, v5, 23, 0x3c000000
	s_delay_alu instid0(VALU_DEP_2) | instskip(NEXT) | instid1(VALU_DEP_1)
	v_and_b32_e32 v4, 0x80000000, v4
	v_or3_b32 v8, v8, v4, v5
.LBB331_1898:                           ;   in Loop: Header=BB331_1075 Depth=1
	s_or_b32 exec_lo, exec_lo, s21
.LBB331_1899:                           ;   in Loop: Header=BB331_1075 Depth=1
	s_delay_alu instid0(SALU_CYCLE_1)
	s_or_b32 exec_lo, exec_lo, s20
.LBB331_1900:                           ;   in Loop: Header=BB331_1075 Depth=1
	s_delay_alu instid0(SALU_CYCLE_1) | instskip(SKIP_4) | instid1(VALU_DEP_3)
	s_or_b32 exec_lo, exec_lo, s19
	v_and_b32_e32 v54, 0xff, v53
	v_dual_mov_b32 v26, v53 :: v_dual_mov_b32 v4, 0
	v_mov_b32_e32 v5, 0
	s_mov_b32 s19, exec_lo
	v_cmpx_ne_u16_e32 0, v54
	s_cbranch_execz .LBB331_1908
; %bb.1901:                             ;   in Loop: Header=BB331_1075 Depth=1
	v_bfrev_b32_e32 v5, 1
	s_mov_b32 s20, exec_lo
	v_cmpx_ne_u16_e32 0x80, v54
	s_cbranch_execz .LBB331_1907
; %bb.1902:                             ;   in Loop: Header=BB331_1075 Depth=1
	v_and_b32_e32 v54, 0x7f, v53
	v_mov_b32_e32 v5, 0x7f800001
	s_mov_b32 s21, exec_lo
	s_delay_alu instid0(VALU_DEP_2)
	v_cmpx_ne_u32_e32 0x7f, v54
	s_cbranch_execz .LBB331_1906
; %bb.1903:                             ;   in Loop: Header=BB331_1075 Depth=1
	v_lshrrev_b32_e32 v5, 3, v54
	v_cmp_gt_u32_e64 s1, 8, v54
	v_mov_b64_e32 v[54:55], v[26:27]
	s_and_saveexec_b32 s22, s1
; %bb.1904:                             ;   in Loop: Header=BB331_1075 Depth=1
	v_and_b32_e32 v5, 7, v53
	s_delay_alu instid0(VALU_DEP_1) | instskip(NEXT) | instid1(VALU_DEP_1)
	v_clz_i32_u32_e32 v5, v5
	v_min_u32_e32 v5, 32, v5
	s_delay_alu instid0(VALU_DEP_1) | instskip(SKIP_1) | instid1(VALU_DEP_2)
	v_subrev_nc_u32_e32 v54, 28, v5
	v_sub_nc_u32_e32 v5, 29, v5
	v_lshlrev_b64_e32 v[54:55], v54, v[26:27]
; %bb.1905:                             ;   in Loop: Header=BB331_1075 Depth=1
	s_or_b32 exec_lo, exec_lo, s22
	s_delay_alu instid0(VALU_DEP_1) | instskip(SKIP_2) | instid1(VALU_DEP_3)
	v_lshlrev_b32_e32 v54, 20, v54
	v_lshlrev_b32_e32 v55, 24, v26
	v_lshl_add_u32 v5, v5, 23, 0x3c000000
	v_and_b32_e32 v54, 0x700000, v54
	s_delay_alu instid0(VALU_DEP_3) | instskip(NEXT) | instid1(VALU_DEP_1)
	v_and_b32_e32 v55, 0x80000000, v55
	v_or3_b32 v5, v54, v55, v5
.LBB331_1906:                           ;   in Loop: Header=BB331_1075 Depth=1
	s_or_b32 exec_lo, exec_lo, s21
.LBB331_1907:                           ;   in Loop: Header=BB331_1075 Depth=1
	s_delay_alu instid0(SALU_CYCLE_1)
	s_or_b32 exec_lo, exec_lo, s20
.LBB331_1908:                           ;   in Loop: Header=BB331_1075 Depth=1
	s_delay_alu instid0(SALU_CYCLE_1) | instskip(SKIP_2) | instid1(VALU_DEP_1)
	s_or_b32 exec_lo, exec_lo, s19
	v_lshrrev_b16 v54, 8, v26
	s_mov_b32 s19, exec_lo
	v_cmpx_ne_u16_e32 0, v54
	s_cbranch_execz .LBB331_1916
; %bb.1909:                             ;   in Loop: Header=BB331_1075 Depth=1
	v_bfrev_b32_e32 v4, 1
	s_mov_b32 s20, exec_lo
	v_cmpx_ne_u16_e32 0x80, v54
	s_cbranch_execz .LBB331_1915
; %bb.1910:                             ;   in Loop: Header=BB331_1075 Depth=1
	v_and_b32_e32 v54, 0xffff, v54
	v_mov_b32_e32 v4, 0x7f800001
	s_mov_b32 s21, exec_lo
	s_delay_alu instid0(VALU_DEP_2) | instskip(NEXT) | instid1(VALU_DEP_1)
	v_and_b32_e32 v103, 0x7f, v54
	v_cmpx_ne_u32_e32 0x7f, v103
	s_cbranch_execz .LBB331_1914
; %bb.1911:                             ;   in Loop: Header=BB331_1075 Depth=1
	v_dual_mov_b32 v55, v27 :: v_dual_bitop2_b32 v54, 7, v54 bitop3:0x40
	v_lshrrev_b32_e32 v4, 3, v103
	s_mov_b32 s22, exec_lo
	v_cmpx_gt_u32_e32 8, v103
; %bb.1912:                             ;   in Loop: Header=BB331_1075 Depth=1
	s_delay_alu instid0(VALU_DEP_3) | instskip(NEXT) | instid1(VALU_DEP_1)
	v_clz_i32_u32_e32 v4, v54
	v_min_u32_e32 v4, 32, v4
	s_delay_alu instid0(VALU_DEP_1) | instskip(NEXT) | instid1(VALU_DEP_1)
	v_subrev_nc_u32_e32 v103, 28, v4
	v_lshlrev_b64_e32 v[54:55], v103, v[54:55]
	s_delay_alu instid0(VALU_DEP_1)
	v_dual_sub_nc_u32 v4, 29, v4 :: v_dual_bitop2_b32 v54, 7, v54 bitop3:0x40
; %bb.1913:                             ;   in Loop: Header=BB331_1075 Depth=1
	s_or_b32 exec_lo, exec_lo, s22
	v_lshlrev_b32_e32 v26, 16, v26
	s_delay_alu instid0(VALU_DEP_2) | instskip(NEXT) | instid1(VALU_DEP_3)
	v_lshlrev_b32_e32 v54, 20, v54
	v_lshl_add_u32 v4, v4, 23, 0x3c000000
	s_delay_alu instid0(VALU_DEP_3) | instskip(NEXT) | instid1(VALU_DEP_1)
	v_and_b32_e32 v26, 0x80000000, v26
	v_or3_b32 v4, v54, v26, v4
.LBB331_1914:                           ;   in Loop: Header=BB331_1075 Depth=1
	s_or_b32 exec_lo, exec_lo, s21
.LBB331_1915:                           ;   in Loop: Header=BB331_1075 Depth=1
	s_delay_alu instid0(SALU_CYCLE_1)
	s_or_b32 exec_lo, exec_lo, s20
.LBB331_1916:                           ;   in Loop: Header=BB331_1075 Depth=1
	s_delay_alu instid0(SALU_CYCLE_1) | instskip(SKIP_3) | instid1(VALU_DEP_2)
	s_or_b32 exec_lo, exec_lo, s19
	v_dual_lshrrev_b32 v119, 16, v53 :: v_dual_mov_b32 v103, 0
	v_mov_b32_e32 v54, 0
	s_mov_b32 s19, exec_lo
	v_and_b32_e32 v26, 0xff, v119
	s_delay_alu instid0(VALU_DEP_1)
	v_cmpx_ne_u16_e32 0, v26
	s_cbranch_execz .LBB331_1924
; %bb.1917:                             ;   in Loop: Header=BB331_1075 Depth=1
	v_bfrev_b32_e32 v54, 1
	s_mov_b32 s20, exec_lo
	v_cmpx_ne_u16_e32 0x80, v26
	s_cbranch_execz .LBB331_1923
; %bb.1918:                             ;   in Loop: Header=BB331_1075 Depth=1
	v_bfe_u32 v55, v53, 16, 7
	v_mov_b32_e32 v54, 0x7f800001
	s_mov_b32 s21, exec_lo
	s_delay_alu instid0(VALU_DEP_2)
	v_cmpx_ne_u32_e32 0x7f, v55
	s_cbranch_execz .LBB331_1922
; %bb.1919:                             ;   in Loop: Header=BB331_1075 Depth=1
	v_and_b32_e32 v26, 7, v119
	v_lshrrev_b32_e32 v40, 3, v55
	v_cmp_gt_u32_e64 s1, 8, v55
	s_delay_alu instid0(VALU_DEP_3)
	v_mov_b64_e32 v[54:55], v[26:27]
	s_and_saveexec_b32 s22, s1
; %bb.1920:                             ;   in Loop: Header=BB331_1075 Depth=1
	v_clz_i32_u32_e32 v54, v26
	s_delay_alu instid0(VALU_DEP_1) | instskip(NEXT) | instid1(VALU_DEP_1)
	v_min_u32_e32 v40, 32, v54
	v_subrev_nc_u32_e32 v54, 28, v40
	s_delay_alu instid0(VALU_DEP_1) | instskip(NEXT) | instid1(VALU_DEP_1)
	v_lshlrev_b64_e32 v[54:55], v54, v[26:27]
	v_dual_sub_nc_u32 v40, 29, v40 :: v_dual_bitop2_b32 v54, 7, v54 bitop3:0x40
; %bb.1921:                             ;   in Loop: Header=BB331_1075 Depth=1
	s_or_b32 exec_lo, exec_lo, s22
	s_delay_alu instid0(VALU_DEP_1) | instskip(NEXT) | instid1(VALU_DEP_2)
	v_dual_lshlrev_b32 v26, 24, v119 :: v_dual_lshlrev_b32 v54, 20, v54
	v_lshl_add_u32 v55, v40, 23, 0x3c000000
	s_delay_alu instid0(VALU_DEP_2) | instskip(NEXT) | instid1(VALU_DEP_1)
	v_and_b32_e32 v26, 0x80000000, v26
	v_or3_b32 v54, v54, v26, v55
.LBB331_1922:                           ;   in Loop: Header=BB331_1075 Depth=1
	s_or_b32 exec_lo, exec_lo, s21
.LBB331_1923:                           ;   in Loop: Header=BB331_1075 Depth=1
	s_delay_alu instid0(SALU_CYCLE_1)
	s_or_b32 exec_lo, exec_lo, s20
.LBB331_1924:                           ;   in Loop: Header=BB331_1075 Depth=1
	s_delay_alu instid0(SALU_CYCLE_1) | instskip(NEXT) | instid1(SALU_CYCLE_1)
	s_or_b32 exec_lo, exec_lo, s19
	s_mov_b32 s19, exec_lo
	v_cmpx_lt_u64_e64 s[2:3], v[52:53]
	s_cbranch_execz .LBB331_1932
; %bb.1925:                             ;   in Loop: Header=BB331_1075 Depth=1
	v_lshrrev_b32_e32 v55, 24, v53
	v_bfrev_b32_e32 v103, 1
	s_mov_b32 s20, exec_lo
	s_delay_alu instid0(VALU_DEP_2)
	v_cmpx_ne_u32_e32 0x80, v55
	s_cbranch_execz .LBB331_1931
; %bb.1926:                             ;   in Loop: Header=BB331_1075 Depth=1
	v_bfe_u32 v52, v53, 24, 7
	v_mov_b32_e32 v103, 0x7f800001
	s_mov_b32 s21, exec_lo
	s_delay_alu instid0(VALU_DEP_2)
	v_cmpx_ne_u32_e32 0x7f, v52
	s_cbranch_execz .LBB331_1930
; %bb.1927:                             ;   in Loop: Header=BB331_1075 Depth=1
	v_dual_lshrrev_b32 v103, 3, v52 :: v_dual_bitop2_b32 v26, 7, v55 bitop3:0x40
	v_cmp_gt_u32_e64 s1, 8, v52
	s_delay_alu instid0(VALU_DEP_2)
	v_mov_b64_e32 v[52:53], v[26:27]
	s_and_saveexec_b32 s22, s1
; %bb.1928:                             ;   in Loop: Header=BB331_1075 Depth=1
	v_clz_i32_u32_e32 v52, v26
	s_delay_alu instid0(VALU_DEP_1) | instskip(NEXT) | instid1(VALU_DEP_1)
	v_min_u32_e32 v103, 32, v52
	v_subrev_nc_u32_e32 v52, 28, v103
	s_delay_alu instid0(VALU_DEP_1) | instskip(NEXT) | instid1(VALU_DEP_1)
	v_lshlrev_b64_e32 v[52:53], v52, v[26:27]
	v_dual_sub_nc_u32 v103, 29, v103 :: v_dual_bitop2_b32 v52, 7, v52 bitop3:0x40
; %bb.1929:                             ;   in Loop: Header=BB331_1075 Depth=1
	s_or_b32 exec_lo, exec_lo, s22
	s_delay_alu instid0(VALU_DEP_1) | instskip(NEXT) | instid1(VALU_DEP_2)
	v_dual_lshlrev_b32 v26, 24, v55 :: v_dual_lshlrev_b32 v52, 20, v52
	v_lshl_add_u32 v53, v103, 23, 0x3c000000
	s_delay_alu instid0(VALU_DEP_2) | instskip(NEXT) | instid1(VALU_DEP_1)
	v_and_b32_e32 v26, 0x80000000, v26
	v_or3_b32 v103, v52, v26, v53
.LBB331_1930:                           ;   in Loop: Header=BB331_1075 Depth=1
	s_or_b32 exec_lo, exec_lo, s21
.LBB331_1931:                           ;   in Loop: Header=BB331_1075 Depth=1
	s_delay_alu instid0(SALU_CYCLE_1)
	s_or_b32 exec_lo, exec_lo, s20
.LBB331_1932:                           ;   in Loop: Header=BB331_1075 Depth=1
	s_delay_alu instid0(SALU_CYCLE_1)
	s_or_b32 exec_lo, exec_lo, s19
	v_fma_mixlo_bf16 v4, v118, v4, 0
	v_fma_mixlo_bf16 v5, v118, v5, 0
	;; [unrolled: 1-line block ×8, first 2 shown]
	s_and_saveexec_b32 s19, vcc_lo
	s_cbranch_execz .LBB331_1934
; %bb.1933:                             ;   in Loop: Header=BB331_1075 Depth=1
	v_cmp_lt_i32_e64 s1, v58, v99
	s_delay_alu instid0(VALU_DEP_1) | instskip(SKIP_1) | instid1(VALU_DEP_1)
	v_cndmask_b32_e64 v40, 0, v40, s1
	v_cmp_lt_i32_e64 s1, v62, v99
	v_cndmask_b32_e64 v119, 0, v119, s1
	v_cmp_lt_i32_e64 s1, v61, v99
	s_delay_alu instid0(VALU_DEP_1) | instskip(SKIP_1) | instid1(VALU_DEP_1)
	v_cndmask_b32_e64 v9, 0, v9, s1
	v_cmp_lt_i32_e64 s1, v60, v99
	v_cndmask_b32_e64 v8, 0, v8, s1
	v_cmp_lt_i32_e64 s1, v59, v99
	s_delay_alu instid0(VALU_DEP_1) | instskip(SKIP_1) | instid1(VALU_DEP_1)
	v_cndmask_b32_e64 v5, 0, v5, s1
	v_cmp_lt_i32_e64 s1, v57, v99
	v_cndmask_b32_e64 v4, 0, v4, s1
	v_cmp_lt_i32_e64 s1, v56, v99
	s_delay_alu instid0(VALU_DEP_1) | instskip(SKIP_1) | instid1(VALU_DEP_1)
	v_cndmask_b32_e64 v6, 0, v6, s1
	v_cmp_lt_i32_e64 s1, v47, v99
	v_cndmask_b32_e64 v7, 0, v7, s1
.LBB331_1934:                           ;   in Loop: Header=BB331_1075 Depth=1
	s_or_b32 exec_lo, exec_lo, s19
	flat_load_b64 v[52:53], v[50:51] offset:3328
	v_dual_mov_b32 v43, 0 :: v_dual_mov_b32 v41, 0
	s_mov_b32 s19, exec_lo
	s_wait_loadcnt_dscnt 0x0
	v_and_b32_e32 v26, 0xff, v52
	s_wait_xcnt 0x0
	s_delay_alu instid0(VALU_DEP_1)
	v_cmpx_ne_u16_e32 0, v26
	s_cbranch_execz .LBB331_1942
; %bb.1935:                             ;   in Loop: Header=BB331_1075 Depth=1
	v_bfrev_b32_e32 v41, 1
	s_mov_b32 s20, exec_lo
	v_cmpx_ne_u16_e32 0x80, v26
	s_cbranch_execz .LBB331_1941
; %bb.1936:                             ;   in Loop: Header=BB331_1075 Depth=1
	v_and_b32_e32 v54, 0x7f, v52
	v_mov_b32_e32 v41, 0x7f800001
	s_mov_b32 s21, exec_lo
	s_delay_alu instid0(VALU_DEP_2)
	v_cmpx_ne_u32_e32 0x7f, v54
	s_cbranch_execz .LBB331_1940
; %bb.1937:                             ;   in Loop: Header=BB331_1075 Depth=1
	v_lshrrev_b32_e32 v26, 3, v54
	v_cmp_gt_u32_e64 s1, 8, v54
	v_mov_b64_e32 v[54:55], v[52:53]
	s_and_saveexec_b32 s22, s1
; %bb.1938:                             ;   in Loop: Header=BB331_1075 Depth=1
	v_and_b32_e32 v26, 7, v52
	s_delay_alu instid0(VALU_DEP_1) | instskip(NEXT) | instid1(VALU_DEP_1)
	v_clz_i32_u32_e32 v26, v26
	v_min_u32_e32 v26, 32, v26
	s_delay_alu instid0(VALU_DEP_1) | instskip(SKIP_1) | instid1(VALU_DEP_2)
	v_subrev_nc_u32_e32 v54, 28, v26
	v_sub_nc_u32_e32 v26, 29, v26
	v_lshlrev_b64_e32 v[54:55], v54, v[52:53]
; %bb.1939:                             ;   in Loop: Header=BB331_1075 Depth=1
	s_or_b32 exec_lo, exec_lo, s22
	s_delay_alu instid0(VALU_DEP_1) | instskip(NEXT) | instid1(VALU_DEP_3)
	v_dual_lshlrev_b32 v54, 20, v54 :: v_dual_lshlrev_b32 v55, 24, v52
	v_lshl_add_u32 v26, v26, 23, 0x3c000000
	s_delay_alu instid0(VALU_DEP_2) | instskip(NEXT) | instid1(VALU_DEP_3)
	v_and_b32_e32 v54, 0x700000, v54
	v_and_b32_e32 v55, 0x80000000, v55
	s_delay_alu instid0(VALU_DEP_1)
	v_or3_b32 v41, v54, v55, v26
.LBB331_1940:                           ;   in Loop: Header=BB331_1075 Depth=1
	s_or_b32 exec_lo, exec_lo, s21
.LBB331_1941:                           ;   in Loop: Header=BB331_1075 Depth=1
	s_delay_alu instid0(SALU_CYCLE_1)
	s_or_b32 exec_lo, exec_lo, s20
.LBB331_1942:                           ;   in Loop: Header=BB331_1075 Depth=1
	s_delay_alu instid0(SALU_CYCLE_1) | instskip(SKIP_2) | instid1(VALU_DEP_1)
	s_or_b32 exec_lo, exec_lo, s19
	v_lshrrev_b16 v26, 8, v52
	s_mov_b32 s19, exec_lo
	v_cmpx_ne_u16_e32 0, v26
	s_cbranch_execz .LBB331_1950
; %bb.1943:                             ;   in Loop: Header=BB331_1075 Depth=1
	v_bfrev_b32_e32 v43, 1
	s_mov_b32 s20, exec_lo
	v_cmpx_ne_u16_e32 0x80, v26
	s_cbranch_execz .LBB331_1949
; %bb.1944:                             ;   in Loop: Header=BB331_1075 Depth=1
	v_and_b32_e32 v26, 0xffff, v26
	v_mov_b32_e32 v43, 0x7f800001
	s_mov_b32 s21, exec_lo
	s_delay_alu instid0(VALU_DEP_2) | instskip(NEXT) | instid1(VALU_DEP_1)
	v_and_b32_e32 v54, 0x7f, v26
	v_cmpx_ne_u32_e32 0x7f, v54
	s_cbranch_execz .LBB331_1948
; %bb.1945:                             ;   in Loop: Header=BB331_1075 Depth=1
	v_and_b32_e32 v26, 7, v26
	v_lshrrev_b32_e32 v103, 3, v54
	v_cmp_gt_u32_e64 s1, 8, v54
	s_delay_alu instid0(VALU_DEP_3)
	v_mov_b64_e32 v[54:55], v[26:27]
	s_and_saveexec_b32 s22, s1
; %bb.1946:                             ;   in Loop: Header=BB331_1075 Depth=1
	v_clz_i32_u32_e32 v54, v26
	s_delay_alu instid0(VALU_DEP_1) | instskip(NEXT) | instid1(VALU_DEP_1)
	v_min_u32_e32 v103, 32, v54
	v_subrev_nc_u32_e32 v54, 28, v103
	s_delay_alu instid0(VALU_DEP_1) | instskip(NEXT) | instid1(VALU_DEP_1)
	v_lshlrev_b64_e32 v[54:55], v54, v[26:27]
	v_dual_sub_nc_u32 v103, 29, v103 :: v_dual_bitop2_b32 v54, 7, v54 bitop3:0x40
; %bb.1947:                             ;   in Loop: Header=BB331_1075 Depth=1
	s_or_b32 exec_lo, exec_lo, s22
	s_delay_alu instid0(VALU_DEP_1) | instskip(NEXT) | instid1(VALU_DEP_2)
	v_dual_lshlrev_b32 v26, 16, v52 :: v_dual_lshlrev_b32 v54, 20, v54
	v_lshl_add_u32 v55, v103, 23, 0x3c000000
	s_delay_alu instid0(VALU_DEP_2) | instskip(NEXT) | instid1(VALU_DEP_1)
	v_and_b32_e32 v26, 0x80000000, v26
	v_or3_b32 v43, v54, v26, v55
.LBB331_1948:                           ;   in Loop: Header=BB331_1075 Depth=1
	s_or_b32 exec_lo, exec_lo, s21
.LBB331_1949:                           ;   in Loop: Header=BB331_1075 Depth=1
	s_delay_alu instid0(SALU_CYCLE_1)
	s_or_b32 exec_lo, exec_lo, s20
.LBB331_1950:                           ;   in Loop: Header=BB331_1075 Depth=1
	s_delay_alu instid0(SALU_CYCLE_1) | instskip(SKIP_3) | instid1(VALU_DEP_2)
	s_or_b32 exec_lo, exec_lo, s19
	v_dual_lshrrev_b32 v103, 16, v52 :: v_dual_mov_b32 v45, 0
	v_mov_b32_e32 v44, 0
	s_mov_b32 s19, exec_lo
	v_and_b32_e32 v26, 0xff, v103
	s_delay_alu instid0(VALU_DEP_1)
	v_cmpx_ne_u16_e32 0, v26
	s_cbranch_execz .LBB331_1958
; %bb.1951:                             ;   in Loop: Header=BB331_1075 Depth=1
	v_bfrev_b32_e32 v44, 1
	s_mov_b32 s20, exec_lo
	v_cmpx_ne_u16_e32 0x80, v26
	s_cbranch_execz .LBB331_1957
; %bb.1952:                             ;   in Loop: Header=BB331_1075 Depth=1
	v_bfe_u32 v54, v52, 16, 7
	v_mov_b32_e32 v44, 0x7f800001
	s_mov_b32 s21, exec_lo
	s_delay_alu instid0(VALU_DEP_2)
	v_cmpx_ne_u32_e32 0x7f, v54
	s_cbranch_execz .LBB331_1956
; %bb.1953:                             ;   in Loop: Header=BB331_1075 Depth=1
	v_dual_lshrrev_b32 v42, 3, v54 :: v_dual_bitop2_b32 v26, 7, v103 bitop3:0x40
	v_cmp_gt_u32_e64 s1, 8, v54
	s_delay_alu instid0(VALU_DEP_2)
	v_mov_b64_e32 v[54:55], v[26:27]
	s_and_saveexec_b32 s22, s1
; %bb.1954:                             ;   in Loop: Header=BB331_1075 Depth=1
	v_clz_i32_u32_e32 v54, v26
	s_delay_alu instid0(VALU_DEP_1) | instskip(NEXT) | instid1(VALU_DEP_1)
	v_min_u32_e32 v42, 32, v54
	v_subrev_nc_u32_e32 v54, 28, v42
	v_sub_nc_u32_e32 v42, 29, v42
	s_delay_alu instid0(VALU_DEP_2) | instskip(NEXT) | instid1(VALU_DEP_1)
	v_lshlrev_b64_e32 v[54:55], v54, v[26:27]
	v_and_b32_e32 v54, 7, v54
; %bb.1955:                             ;   in Loop: Header=BB331_1075 Depth=1
	s_or_b32 exec_lo, exec_lo, s22
	s_delay_alu instid0(VALU_DEP_1) | instskip(SKIP_1) | instid1(VALU_DEP_2)
	v_dual_lshlrev_b32 v26, 24, v103 :: v_dual_lshlrev_b32 v54, 20, v54
	v_lshl_add_u32 v55, v42, 23, 0x3c000000
	v_and_b32_e32 v26, 0x80000000, v26
	s_delay_alu instid0(VALU_DEP_1)
	v_or3_b32 v44, v54, v26, v55
.LBB331_1956:                           ;   in Loop: Header=BB331_1075 Depth=1
	s_or_b32 exec_lo, exec_lo, s21
.LBB331_1957:                           ;   in Loop: Header=BB331_1075 Depth=1
	s_delay_alu instid0(SALU_CYCLE_1)
	s_or_b32 exec_lo, exec_lo, s20
.LBB331_1958:                           ;   in Loop: Header=BB331_1075 Depth=1
	s_delay_alu instid0(SALU_CYCLE_1) | instskip(NEXT) | instid1(SALU_CYCLE_1)
	s_or_b32 exec_lo, exec_lo, s19
	s_mov_b32 s19, exec_lo
	v_cmpx_lt_u32_e32 0xffffff, v52
	s_cbranch_execz .LBB331_1966
; %bb.1959:                             ;   in Loop: Header=BB331_1075 Depth=1
	v_lshrrev_b32_e32 v103, 24, v52
	v_bfrev_b32_e32 v45, 1
	s_mov_b32 s20, exec_lo
	s_delay_alu instid0(VALU_DEP_2)
	v_cmpx_ne_u32_e32 0x80, v103
	s_cbranch_execz .LBB331_1965
; %bb.1960:                             ;   in Loop: Header=BB331_1075 Depth=1
	v_bfe_u32 v54, v52, 24, 7
	v_mov_b32_e32 v45, 0x7f800001
	s_mov_b32 s21, exec_lo
	s_delay_alu instid0(VALU_DEP_2)
	v_cmpx_ne_u32_e32 0x7f, v54
	s_cbranch_execz .LBB331_1964
; %bb.1961:                             ;   in Loop: Header=BB331_1075 Depth=1
	v_dual_lshrrev_b32 v42, 3, v54 :: v_dual_bitop2_b32 v26, 7, v103 bitop3:0x40
	v_cmp_gt_u32_e64 s1, 8, v54
	s_delay_alu instid0(VALU_DEP_2)
	v_mov_b64_e32 v[54:55], v[26:27]
	s_and_saveexec_b32 s22, s1
; %bb.1962:                             ;   in Loop: Header=BB331_1075 Depth=1
	v_clz_i32_u32_e32 v54, v26
	s_delay_alu instid0(VALU_DEP_1) | instskip(NEXT) | instid1(VALU_DEP_1)
	v_min_u32_e32 v42, 32, v54
	v_subrev_nc_u32_e32 v54, 28, v42
	v_sub_nc_u32_e32 v42, 29, v42
	s_delay_alu instid0(VALU_DEP_2) | instskip(NEXT) | instid1(VALU_DEP_1)
	v_lshlrev_b64_e32 v[54:55], v54, v[26:27]
	v_and_b32_e32 v54, 7, v54
; %bb.1963:                             ;   in Loop: Header=BB331_1075 Depth=1
	s_or_b32 exec_lo, exec_lo, s22
	s_delay_alu instid0(VALU_DEP_1) | instskip(SKIP_1) | instid1(VALU_DEP_2)
	v_dual_lshlrev_b32 v26, 24, v103 :: v_dual_lshlrev_b32 v54, 20, v54
	v_lshl_add_u32 v55, v42, 23, 0x3c000000
	v_and_b32_e32 v26, 0x80000000, v26
	s_delay_alu instid0(VALU_DEP_1)
	v_or3_b32 v45, v54, v26, v55
.LBB331_1964:                           ;   in Loop: Header=BB331_1075 Depth=1
	s_or_b32 exec_lo, exec_lo, s21
.LBB331_1965:                           ;   in Loop: Header=BB331_1075 Depth=1
	s_delay_alu instid0(SALU_CYCLE_1)
	s_or_b32 exec_lo, exec_lo, s20
.LBB331_1966:                           ;   in Loop: Header=BB331_1075 Depth=1
	s_delay_alu instid0(SALU_CYCLE_1) | instskip(SKIP_4) | instid1(VALU_DEP_3)
	s_or_b32 exec_lo, exec_lo, s19
	v_and_b32_e32 v54, 0xff, v53
	v_dual_mov_b32 v26, v53 :: v_dual_mov_b32 v103, 0
	v_mov_b32_e32 v42, 0
	s_mov_b32 s19, exec_lo
	v_cmpx_ne_u16_e32 0, v54
	s_cbranch_execz .LBB331_1974
; %bb.1967:                             ;   in Loop: Header=BB331_1075 Depth=1
	v_bfrev_b32_e32 v42, 1
	s_mov_b32 s20, exec_lo
	v_cmpx_ne_u16_e32 0x80, v54
	s_cbranch_execz .LBB331_1973
; %bb.1968:                             ;   in Loop: Header=BB331_1075 Depth=1
	v_and_b32_e32 v54, 0x7f, v53
	v_mov_b32_e32 v42, 0x7f800001
	s_mov_b32 s21, exec_lo
	s_delay_alu instid0(VALU_DEP_2)
	v_cmpx_ne_u32_e32 0x7f, v54
	s_cbranch_execz .LBB331_1972
; %bb.1969:                             ;   in Loop: Header=BB331_1075 Depth=1
	v_lshrrev_b32_e32 v42, 3, v54
	v_cmp_gt_u32_e64 s1, 8, v54
	v_mov_b64_e32 v[54:55], v[26:27]
	s_and_saveexec_b32 s22, s1
; %bb.1970:                             ;   in Loop: Header=BB331_1075 Depth=1
	v_and_b32_e32 v54, 7, v53
	s_delay_alu instid0(VALU_DEP_1) | instskip(NEXT) | instid1(VALU_DEP_1)
	v_clz_i32_u32_e32 v54, v54
	v_min_u32_e32 v42, 32, v54
	s_delay_alu instid0(VALU_DEP_1) | instskip(SKIP_1) | instid1(VALU_DEP_2)
	v_subrev_nc_u32_e32 v54, 28, v42
	v_sub_nc_u32_e32 v42, 29, v42
	v_lshlrev_b64_e32 v[54:55], v54, v[26:27]
; %bb.1971:                             ;   in Loop: Header=BB331_1075 Depth=1
	s_or_b32 exec_lo, exec_lo, s22
	s_delay_alu instid0(VALU_DEP_1) | instskip(SKIP_2) | instid1(VALU_DEP_3)
	v_lshlrev_b32_e32 v54, 20, v54
	v_lshlrev_b32_e32 v55, 24, v26
	v_lshl_add_u32 v42, v42, 23, 0x3c000000
	v_and_b32_e32 v54, 0x700000, v54
	s_delay_alu instid0(VALU_DEP_3) | instskip(NEXT) | instid1(VALU_DEP_1)
	v_and_b32_e32 v55, 0x80000000, v55
	v_or3_b32 v42, v54, v55, v42
.LBB331_1972:                           ;   in Loop: Header=BB331_1075 Depth=1
	s_or_b32 exec_lo, exec_lo, s21
.LBB331_1973:                           ;   in Loop: Header=BB331_1075 Depth=1
	s_delay_alu instid0(SALU_CYCLE_1)
	s_or_b32 exec_lo, exec_lo, s20
.LBB331_1974:                           ;   in Loop: Header=BB331_1075 Depth=1
	s_delay_alu instid0(SALU_CYCLE_1) | instskip(SKIP_2) | instid1(VALU_DEP_1)
	s_or_b32 exec_lo, exec_lo, s19
	v_lshrrev_b16 v54, 8, v26
	s_mov_b32 s19, exec_lo
	v_cmpx_ne_u16_e32 0, v54
	s_cbranch_execz .LBB331_1982
; %bb.1975:                             ;   in Loop: Header=BB331_1075 Depth=1
	v_bfrev_b32_e32 v103, 1
	s_mov_b32 s20, exec_lo
	v_cmpx_ne_u16_e32 0x80, v54
	s_cbranch_execz .LBB331_1981
; %bb.1976:                             ;   in Loop: Header=BB331_1075 Depth=1
	v_and_b32_e32 v54, 0xffff, v54
	v_mov_b32_e32 v103, 0x7f800001
	s_mov_b32 s21, exec_lo
	s_delay_alu instid0(VALU_DEP_2) | instskip(NEXT) | instid1(VALU_DEP_1)
	v_and_b32_e32 v46, 0x7f, v54
	v_cmpx_ne_u32_e32 0x7f, v46
	s_cbranch_execz .LBB331_1980
; %bb.1977:                             ;   in Loop: Header=BB331_1075 Depth=1
	v_dual_mov_b32 v55, v27 :: v_dual_bitop2_b32 v54, 7, v54 bitop3:0x40
	v_lshrrev_b32_e32 v103, 3, v46
	s_mov_b32 s22, exec_lo
	v_cmpx_gt_u32_e32 8, v46
; %bb.1978:                             ;   in Loop: Header=BB331_1075 Depth=1
	s_delay_alu instid0(VALU_DEP_3) | instskip(NEXT) | instid1(VALU_DEP_1)
	v_clz_i32_u32_e32 v103, v54
	v_min_u32_e32 v103, 32, v103
	s_delay_alu instid0(VALU_DEP_1) | instskip(NEXT) | instid1(VALU_DEP_1)
	v_subrev_nc_u32_e32 v46, 28, v103
	v_lshlrev_b64_e32 v[54:55], v46, v[54:55]
	s_delay_alu instid0(VALU_DEP_1)
	v_dual_sub_nc_u32 v103, 29, v103 :: v_dual_bitop2_b32 v54, 7, v54 bitop3:0x40
; %bb.1979:                             ;   in Loop: Header=BB331_1075 Depth=1
	s_or_b32 exec_lo, exec_lo, s22
	v_lshlrev_b32_e32 v26, 16, v26
	s_delay_alu instid0(VALU_DEP_2) | instskip(NEXT) | instid1(VALU_DEP_3)
	v_lshlrev_b32_e32 v54, 20, v54
	v_lshl_add_u32 v55, v103, 23, 0x3c000000
	s_delay_alu instid0(VALU_DEP_3) | instskip(NEXT) | instid1(VALU_DEP_1)
	v_and_b32_e32 v26, 0x80000000, v26
	v_or3_b32 v103, v54, v26, v55
.LBB331_1980:                           ;   in Loop: Header=BB331_1075 Depth=1
	s_or_b32 exec_lo, exec_lo, s21
.LBB331_1981:                           ;   in Loop: Header=BB331_1075 Depth=1
	s_delay_alu instid0(SALU_CYCLE_1)
	s_or_b32 exec_lo, exec_lo, s20
.LBB331_1982:                           ;   in Loop: Header=BB331_1075 Depth=1
	s_delay_alu instid0(SALU_CYCLE_1) | instskip(SKIP_3) | instid1(VALU_DEP_2)
	s_or_b32 exec_lo, exec_lo, s19
	v_dual_mov_b32 v73, 0 :: v_dual_lshrrev_b32 v46, 16, v53
	v_mov_b32_e32 v54, 0
	s_mov_b32 s19, exec_lo
	v_and_b32_e32 v26, 0xff, v46
	s_delay_alu instid0(VALU_DEP_1)
	v_cmpx_ne_u16_e32 0, v26
	s_cbranch_execz .LBB331_1990
; %bb.1983:                             ;   in Loop: Header=BB331_1075 Depth=1
	v_bfrev_b32_e32 v54, 1
	s_mov_b32 s20, exec_lo
	v_cmpx_ne_u16_e32 0x80, v26
	s_cbranch_execz .LBB331_1989
; %bb.1984:                             ;   in Loop: Header=BB331_1075 Depth=1
	v_bfe_u32 v55, v53, 16, 7
	v_mov_b32_e32 v54, 0x7f800001
	s_mov_b32 s21, exec_lo
	s_delay_alu instid0(VALU_DEP_2)
	v_cmpx_ne_u32_e32 0x7f, v55
	s_cbranch_execz .LBB331_1988
; %bb.1985:                             ;   in Loop: Header=BB331_1075 Depth=1
	v_dual_lshrrev_b32 v63, 3, v55 :: v_dual_bitop2_b32 v26, 7, v46 bitop3:0x40
	v_cmp_gt_u32_e64 s1, 8, v55
	s_delay_alu instid0(VALU_DEP_2)
	v_mov_b64_e32 v[54:55], v[26:27]
	s_and_saveexec_b32 s22, s1
; %bb.1986:                             ;   in Loop: Header=BB331_1075 Depth=1
	v_clz_i32_u32_e32 v54, v26
	s_delay_alu instid0(VALU_DEP_1) | instskip(NEXT) | instid1(VALU_DEP_1)
	v_min_u32_e32 v63, 32, v54
	v_subrev_nc_u32_e32 v54, 28, v63
	s_delay_alu instid0(VALU_DEP_1) | instskip(NEXT) | instid1(VALU_DEP_1)
	v_lshlrev_b64_e32 v[54:55], v54, v[26:27]
	v_dual_sub_nc_u32 v63, 29, v63 :: v_dual_bitop2_b32 v54, 7, v54 bitop3:0x40
; %bb.1987:                             ;   in Loop: Header=BB331_1075 Depth=1
	s_or_b32 exec_lo, exec_lo, s22
	v_lshlrev_b32_e32 v26, 24, v46
	s_delay_alu instid0(VALU_DEP_2) | instskip(NEXT) | instid1(VALU_DEP_3)
	v_lshlrev_b32_e32 v54, 20, v54
	v_lshl_add_u32 v55, v63, 23, 0x3c000000
	s_delay_alu instid0(VALU_DEP_3) | instskip(NEXT) | instid1(VALU_DEP_1)
	v_and_b32_e32 v26, 0x80000000, v26
	v_or3_b32 v54, v54, v26, v55
.LBB331_1988:                           ;   in Loop: Header=BB331_1075 Depth=1
	s_or_b32 exec_lo, exec_lo, s21
.LBB331_1989:                           ;   in Loop: Header=BB331_1075 Depth=1
	s_delay_alu instid0(SALU_CYCLE_1)
	s_or_b32 exec_lo, exec_lo, s20
.LBB331_1990:                           ;   in Loop: Header=BB331_1075 Depth=1
	s_delay_alu instid0(SALU_CYCLE_1) | instskip(NEXT) | instid1(SALU_CYCLE_1)
	s_or_b32 exec_lo, exec_lo, s19
	s_mov_b32 s19, exec_lo
	v_cmpx_lt_u64_e64 s[2:3], v[52:53]
	s_cbranch_execz .LBB331_1998
; %bb.1991:                             ;   in Loop: Header=BB331_1075 Depth=1
	v_lshrrev_b32_e32 v55, 24, v53
	v_bfrev_b32_e32 v73, 1
	s_mov_b32 s20, exec_lo
	s_delay_alu instid0(VALU_DEP_2)
	v_cmpx_ne_u32_e32 0x80, v55
	s_cbranch_execz .LBB331_1997
; %bb.1992:                             ;   in Loop: Header=BB331_1075 Depth=1
	v_bfe_u32 v52, v53, 24, 7
	v_mov_b32_e32 v73, 0x7f800001
	s_mov_b32 s21, exec_lo
	s_delay_alu instid0(VALU_DEP_2)
	v_cmpx_ne_u32_e32 0x7f, v52
	s_cbranch_execz .LBB331_1996
; %bb.1993:                             ;   in Loop: Header=BB331_1075 Depth=1
	v_dual_lshrrev_b32 v46, 3, v52 :: v_dual_bitop2_b32 v26, 7, v55 bitop3:0x40
	v_cmp_gt_u32_e64 s1, 8, v52
	s_delay_alu instid0(VALU_DEP_2)
	v_mov_b64_e32 v[52:53], v[26:27]
	s_and_saveexec_b32 s22, s1
; %bb.1994:                             ;   in Loop: Header=BB331_1075 Depth=1
	v_clz_i32_u32_e32 v52, v26
	s_delay_alu instid0(VALU_DEP_1) | instskip(NEXT) | instid1(VALU_DEP_1)
	v_min_u32_e32 v46, 32, v52
	v_subrev_nc_u32_e32 v52, 28, v46
	s_delay_alu instid0(VALU_DEP_1) | instskip(NEXT) | instid1(VALU_DEP_1)
	v_lshlrev_b64_e32 v[52:53], v52, v[26:27]
	v_dual_sub_nc_u32 v46, 29, v46 :: v_dual_bitop2_b32 v52, 7, v52 bitop3:0x40
; %bb.1995:                             ;   in Loop: Header=BB331_1075 Depth=1
	s_or_b32 exec_lo, exec_lo, s22
	s_delay_alu instid0(VALU_DEP_1) | instskip(NEXT) | instid1(VALU_DEP_2)
	v_dual_lshlrev_b32 v26, 24, v55 :: v_dual_lshlrev_b32 v52, 20, v52
	v_lshl_add_u32 v53, v46, 23, 0x3c000000
	s_delay_alu instid0(VALU_DEP_2) | instskip(NEXT) | instid1(VALU_DEP_1)
	v_and_b32_e32 v26, 0x80000000, v26
	v_or3_b32 v73, v52, v26, v53
.LBB331_1996:                           ;   in Loop: Header=BB331_1075 Depth=1
	s_or_b32 exec_lo, exec_lo, s21
.LBB331_1997:                           ;   in Loop: Header=BB331_1075 Depth=1
	s_delay_alu instid0(SALU_CYCLE_1)
	s_or_b32 exec_lo, exec_lo, s20
.LBB331_1998:                           ;   in Loop: Header=BB331_1075 Depth=1
	s_delay_alu instid0(SALU_CYCLE_1)
	s_or_b32 exec_lo, exec_lo, s19
	v_fma_mixlo_bf16 v103, v118, v103, 0
	v_fma_mixlo_bf16 v42, v118, v42, 0
	;; [unrolled: 1-line block ×8, first 2 shown]
	s_and_saveexec_b32 s19, vcc_lo
	s_cbranch_execz .LBB331_2000
; %bb.1999:                             ;   in Loop: Header=BB331_1075 Depth=1
	v_cmp_lt_i32_e64 s1, v58, v99
	s_delay_alu instid0(VALU_DEP_1) | instskip(SKIP_1) | instid1(VALU_DEP_1)
	v_cndmask_b32_e64 v72, 0, v72, s1
	v_cmp_lt_i32_e64 s1, v62, v99
	v_cndmask_b32_e64 v63, 0, v63, s1
	v_cmp_lt_i32_e64 s1, v61, v99
	s_delay_alu instid0(VALU_DEP_1) | instskip(SKIP_1) | instid1(VALU_DEP_1)
	v_cndmask_b32_e64 v46, 0, v46, s1
	v_cmp_lt_i32_e64 s1, v60, v99
	v_cndmask_b32_e64 v45, 0, v45, s1
	;; [unrolled: 5-line block ×4, first 2 shown]
.LBB331_2000:                           ;   in Loop: Header=BB331_1075 Depth=1
	s_or_b32 exec_lo, exec_lo, s19
	flat_load_b64 v[52:53], v[50:51] offset:3584
	v_dual_mov_b32 v75, 0 :: v_dual_mov_b32 v41, 0
	s_mov_b32 s19, exec_lo
	s_wait_loadcnt_dscnt 0x0
	v_and_b32_e32 v26, 0xff, v52
	s_wait_xcnt 0x0
	s_delay_alu instid0(VALU_DEP_1)
	v_cmpx_ne_u16_e32 0, v26
	s_cbranch_execz .LBB331_2008
; %bb.2001:                             ;   in Loop: Header=BB331_1075 Depth=1
	v_bfrev_b32_e32 v41, 1
	s_mov_b32 s20, exec_lo
	v_cmpx_ne_u16_e32 0x80, v26
	s_cbranch_execz .LBB331_2007
; %bb.2002:                             ;   in Loop: Header=BB331_1075 Depth=1
	v_and_b32_e32 v54, 0x7f, v52
	v_mov_b32_e32 v41, 0x7f800001
	s_mov_b32 s21, exec_lo
	s_delay_alu instid0(VALU_DEP_2)
	v_cmpx_ne_u32_e32 0x7f, v54
	s_cbranch_execz .LBB331_2006
; %bb.2003:                             ;   in Loop: Header=BB331_1075 Depth=1
	v_lshrrev_b32_e32 v26, 3, v54
	v_cmp_gt_u32_e64 s1, 8, v54
	v_mov_b64_e32 v[54:55], v[52:53]
	s_and_saveexec_b32 s22, s1
; %bb.2004:                             ;   in Loop: Header=BB331_1075 Depth=1
	v_and_b32_e32 v26, 7, v52
	s_delay_alu instid0(VALU_DEP_1) | instskip(NEXT) | instid1(VALU_DEP_1)
	v_clz_i32_u32_e32 v26, v26
	v_min_u32_e32 v26, 32, v26
	s_delay_alu instid0(VALU_DEP_1) | instskip(SKIP_1) | instid1(VALU_DEP_2)
	v_subrev_nc_u32_e32 v54, 28, v26
	v_sub_nc_u32_e32 v26, 29, v26
	v_lshlrev_b64_e32 v[54:55], v54, v[52:53]
; %bb.2005:                             ;   in Loop: Header=BB331_1075 Depth=1
	s_or_b32 exec_lo, exec_lo, s22
	s_delay_alu instid0(VALU_DEP_1) | instskip(NEXT) | instid1(VALU_DEP_3)
	v_dual_lshlrev_b32 v54, 20, v54 :: v_dual_lshlrev_b32 v55, 24, v52
	v_lshl_add_u32 v26, v26, 23, 0x3c000000
	s_delay_alu instid0(VALU_DEP_2) | instskip(NEXT) | instid1(VALU_DEP_3)
	v_and_b32_e32 v54, 0x700000, v54
	v_and_b32_e32 v55, 0x80000000, v55
	s_delay_alu instid0(VALU_DEP_1)
	v_or3_b32 v41, v54, v55, v26
.LBB331_2006:                           ;   in Loop: Header=BB331_1075 Depth=1
	s_or_b32 exec_lo, exec_lo, s21
.LBB331_2007:                           ;   in Loop: Header=BB331_1075 Depth=1
	s_delay_alu instid0(SALU_CYCLE_1)
	s_or_b32 exec_lo, exec_lo, s20
.LBB331_2008:                           ;   in Loop: Header=BB331_1075 Depth=1
	s_delay_alu instid0(SALU_CYCLE_1) | instskip(SKIP_2) | instid1(VALU_DEP_1)
	s_or_b32 exec_lo, exec_lo, s19
	v_lshrrev_b16 v26, 8, v52
	s_mov_b32 s19, exec_lo
	v_cmpx_ne_u16_e32 0, v26
	s_cbranch_execz .LBB331_2016
; %bb.2009:                             ;   in Loop: Header=BB331_1075 Depth=1
	v_bfrev_b32_e32 v75, 1
	s_mov_b32 s20, exec_lo
	v_cmpx_ne_u16_e32 0x80, v26
	s_cbranch_execz .LBB331_2015
; %bb.2010:                             ;   in Loop: Header=BB331_1075 Depth=1
	v_and_b32_e32 v26, 0xffff, v26
	v_mov_b32_e32 v75, 0x7f800001
	s_mov_b32 s21, exec_lo
	s_delay_alu instid0(VALU_DEP_2) | instskip(NEXT) | instid1(VALU_DEP_1)
	v_and_b32_e32 v54, 0x7f, v26
	v_cmpx_ne_u32_e32 0x7f, v54
	s_cbranch_execz .LBB331_2014
; %bb.2011:                             ;   in Loop: Header=BB331_1075 Depth=1
	v_and_b32_e32 v26, 7, v26
	v_lshrrev_b32_e32 v73, 3, v54
	v_cmp_gt_u32_e64 s1, 8, v54
	s_delay_alu instid0(VALU_DEP_3)
	v_mov_b64_e32 v[54:55], v[26:27]
	s_and_saveexec_b32 s22, s1
; %bb.2012:                             ;   in Loop: Header=BB331_1075 Depth=1
	v_clz_i32_u32_e32 v54, v26
	s_delay_alu instid0(VALU_DEP_1) | instskip(NEXT) | instid1(VALU_DEP_1)
	v_min_u32_e32 v73, 32, v54
	v_subrev_nc_u32_e32 v54, 28, v73
	s_delay_alu instid0(VALU_DEP_1) | instskip(NEXT) | instid1(VALU_DEP_1)
	v_lshlrev_b64_e32 v[54:55], v54, v[26:27]
	v_dual_sub_nc_u32 v73, 29, v73 :: v_dual_bitop2_b32 v54, 7, v54 bitop3:0x40
; %bb.2013:                             ;   in Loop: Header=BB331_1075 Depth=1
	s_or_b32 exec_lo, exec_lo, s22
	s_delay_alu instid0(VALU_DEP_1) | instskip(NEXT) | instid1(VALU_DEP_2)
	v_dual_lshlrev_b32 v26, 16, v52 :: v_dual_lshlrev_b32 v54, 20, v54
	v_lshl_add_u32 v55, v73, 23, 0x3c000000
	s_delay_alu instid0(VALU_DEP_2) | instskip(NEXT) | instid1(VALU_DEP_1)
	v_and_b32_e32 v26, 0x80000000, v26
	v_or3_b32 v75, v54, v26, v55
.LBB331_2014:                           ;   in Loop: Header=BB331_1075 Depth=1
	s_or_b32 exec_lo, exec_lo, s21
.LBB331_2015:                           ;   in Loop: Header=BB331_1075 Depth=1
	s_delay_alu instid0(SALU_CYCLE_1)
	s_or_b32 exec_lo, exec_lo, s20
.LBB331_2016:                           ;   in Loop: Header=BB331_1075 Depth=1
	s_delay_alu instid0(SALU_CYCLE_1) | instskip(SKIP_3) | instid1(VALU_DEP_2)
	s_or_b32 exec_lo, exec_lo, s19
	v_dual_lshrrev_b32 v73, 16, v52 :: v_dual_mov_b32 v77, 0
	v_mov_b32_e32 v76, 0
	s_mov_b32 s19, exec_lo
	v_and_b32_e32 v26, 0xff, v73
	s_delay_alu instid0(VALU_DEP_1)
	v_cmpx_ne_u16_e32 0, v26
	s_cbranch_execz .LBB331_2024
; %bb.2017:                             ;   in Loop: Header=BB331_1075 Depth=1
	v_bfrev_b32_e32 v76, 1
	s_mov_b32 s20, exec_lo
	v_cmpx_ne_u16_e32 0x80, v26
	s_cbranch_execz .LBB331_2023
; %bb.2018:                             ;   in Loop: Header=BB331_1075 Depth=1
	v_bfe_u32 v54, v52, 16, 7
	v_mov_b32_e32 v76, 0x7f800001
	s_mov_b32 s21, exec_lo
	s_delay_alu instid0(VALU_DEP_2)
	v_cmpx_ne_u32_e32 0x7f, v54
	s_cbranch_execz .LBB331_2022
; %bb.2019:                             ;   in Loop: Header=BB331_1075 Depth=1
	v_dual_lshrrev_b32 v74, 3, v54 :: v_dual_bitop2_b32 v26, 7, v73 bitop3:0x40
	v_cmp_gt_u32_e64 s1, 8, v54
	s_delay_alu instid0(VALU_DEP_2)
	v_mov_b64_e32 v[54:55], v[26:27]
	s_and_saveexec_b32 s22, s1
; %bb.2020:                             ;   in Loop: Header=BB331_1075 Depth=1
	v_clz_i32_u32_e32 v54, v26
	s_delay_alu instid0(VALU_DEP_1) | instskip(NEXT) | instid1(VALU_DEP_1)
	v_min_u32_e32 v74, 32, v54
	v_subrev_nc_u32_e32 v54, 28, v74
	v_sub_nc_u32_e32 v74, 29, v74
	s_delay_alu instid0(VALU_DEP_2) | instskip(NEXT) | instid1(VALU_DEP_1)
	v_lshlrev_b64_e32 v[54:55], v54, v[26:27]
	v_and_b32_e32 v54, 7, v54
; %bb.2021:                             ;   in Loop: Header=BB331_1075 Depth=1
	s_or_b32 exec_lo, exec_lo, s22
	s_delay_alu instid0(VALU_DEP_1) | instskip(SKIP_1) | instid1(VALU_DEP_2)
	v_dual_lshlrev_b32 v26, 24, v73 :: v_dual_lshlrev_b32 v54, 20, v54
	v_lshl_add_u32 v55, v74, 23, 0x3c000000
	v_and_b32_e32 v26, 0x80000000, v26
	s_delay_alu instid0(VALU_DEP_1)
	v_or3_b32 v76, v54, v26, v55
.LBB331_2022:                           ;   in Loop: Header=BB331_1075 Depth=1
	s_or_b32 exec_lo, exec_lo, s21
.LBB331_2023:                           ;   in Loop: Header=BB331_1075 Depth=1
	s_delay_alu instid0(SALU_CYCLE_1)
	s_or_b32 exec_lo, exec_lo, s20
.LBB331_2024:                           ;   in Loop: Header=BB331_1075 Depth=1
	s_delay_alu instid0(SALU_CYCLE_1) | instskip(NEXT) | instid1(SALU_CYCLE_1)
	s_or_b32 exec_lo, exec_lo, s19
	s_mov_b32 s19, exec_lo
	v_cmpx_lt_u32_e32 0xffffff, v52
	s_cbranch_execz .LBB331_2032
; %bb.2025:                             ;   in Loop: Header=BB331_1075 Depth=1
	v_lshrrev_b32_e32 v73, 24, v52
	v_bfrev_b32_e32 v77, 1
	s_mov_b32 s20, exec_lo
	s_delay_alu instid0(VALU_DEP_2)
	v_cmpx_ne_u32_e32 0x80, v73
	s_cbranch_execz .LBB331_2031
; %bb.2026:                             ;   in Loop: Header=BB331_1075 Depth=1
	v_bfe_u32 v54, v52, 24, 7
	v_mov_b32_e32 v77, 0x7f800001
	s_mov_b32 s21, exec_lo
	s_delay_alu instid0(VALU_DEP_2)
	v_cmpx_ne_u32_e32 0x7f, v54
	s_cbranch_execz .LBB331_2030
; %bb.2027:                             ;   in Loop: Header=BB331_1075 Depth=1
	v_dual_lshrrev_b32 v74, 3, v54 :: v_dual_bitop2_b32 v26, 7, v73 bitop3:0x40
	v_cmp_gt_u32_e64 s1, 8, v54
	s_delay_alu instid0(VALU_DEP_2)
	v_mov_b64_e32 v[54:55], v[26:27]
	s_and_saveexec_b32 s22, s1
; %bb.2028:                             ;   in Loop: Header=BB331_1075 Depth=1
	v_clz_i32_u32_e32 v54, v26
	s_delay_alu instid0(VALU_DEP_1) | instskip(NEXT) | instid1(VALU_DEP_1)
	v_min_u32_e32 v74, 32, v54
	v_subrev_nc_u32_e32 v54, 28, v74
	v_sub_nc_u32_e32 v74, 29, v74
	s_delay_alu instid0(VALU_DEP_2) | instskip(NEXT) | instid1(VALU_DEP_1)
	v_lshlrev_b64_e32 v[54:55], v54, v[26:27]
	v_and_b32_e32 v54, 7, v54
; %bb.2029:                             ;   in Loop: Header=BB331_1075 Depth=1
	s_or_b32 exec_lo, exec_lo, s22
	s_delay_alu instid0(VALU_DEP_1) | instskip(SKIP_1) | instid1(VALU_DEP_2)
	v_dual_lshlrev_b32 v26, 24, v73 :: v_dual_lshlrev_b32 v54, 20, v54
	v_lshl_add_u32 v55, v74, 23, 0x3c000000
	v_and_b32_e32 v26, 0x80000000, v26
	s_delay_alu instid0(VALU_DEP_1)
	v_or3_b32 v77, v54, v26, v55
.LBB331_2030:                           ;   in Loop: Header=BB331_1075 Depth=1
	s_or_b32 exec_lo, exec_lo, s21
.LBB331_2031:                           ;   in Loop: Header=BB331_1075 Depth=1
	s_delay_alu instid0(SALU_CYCLE_1)
	s_or_b32 exec_lo, exec_lo, s20
.LBB331_2032:                           ;   in Loop: Header=BB331_1075 Depth=1
	s_delay_alu instid0(SALU_CYCLE_1) | instskip(SKIP_4) | instid1(VALU_DEP_3)
	s_or_b32 exec_lo, exec_lo, s19
	v_and_b32_e32 v54, 0xff, v53
	v_dual_mov_b32 v26, v53 :: v_dual_mov_b32 v73, 0
	v_mov_b32_e32 v74, 0
	s_mov_b32 s19, exec_lo
	v_cmpx_ne_u16_e32 0, v54
	s_cbranch_execz .LBB331_2040
; %bb.2033:                             ;   in Loop: Header=BB331_1075 Depth=1
	v_bfrev_b32_e32 v74, 1
	s_mov_b32 s20, exec_lo
	v_cmpx_ne_u16_e32 0x80, v54
	s_cbranch_execz .LBB331_2039
; %bb.2034:                             ;   in Loop: Header=BB331_1075 Depth=1
	v_and_b32_e32 v54, 0x7f, v53
	v_mov_b32_e32 v74, 0x7f800001
	s_mov_b32 s21, exec_lo
	s_delay_alu instid0(VALU_DEP_2)
	v_cmpx_ne_u32_e32 0x7f, v54
	s_cbranch_execz .LBB331_2038
; %bb.2035:                             ;   in Loop: Header=BB331_1075 Depth=1
	v_lshrrev_b32_e32 v74, 3, v54
	v_cmp_gt_u32_e64 s1, 8, v54
	v_mov_b64_e32 v[54:55], v[26:27]
	s_and_saveexec_b32 s22, s1
; %bb.2036:                             ;   in Loop: Header=BB331_1075 Depth=1
	v_and_b32_e32 v54, 7, v53
	s_delay_alu instid0(VALU_DEP_1) | instskip(NEXT) | instid1(VALU_DEP_1)
	v_clz_i32_u32_e32 v54, v54
	v_min_u32_e32 v74, 32, v54
	s_delay_alu instid0(VALU_DEP_1) | instskip(SKIP_1) | instid1(VALU_DEP_2)
	v_subrev_nc_u32_e32 v54, 28, v74
	v_sub_nc_u32_e32 v74, 29, v74
	v_lshlrev_b64_e32 v[54:55], v54, v[26:27]
; %bb.2037:                             ;   in Loop: Header=BB331_1075 Depth=1
	s_or_b32 exec_lo, exec_lo, s22
	s_delay_alu instid0(VALU_DEP_1) | instskip(SKIP_2) | instid1(VALU_DEP_3)
	v_lshlrev_b32_e32 v54, 20, v54
	v_lshlrev_b32_e32 v55, 24, v26
	v_lshl_add_u32 v74, v74, 23, 0x3c000000
	v_and_b32_e32 v54, 0x700000, v54
	s_delay_alu instid0(VALU_DEP_3) | instskip(NEXT) | instid1(VALU_DEP_1)
	v_and_b32_e32 v55, 0x80000000, v55
	v_or3_b32 v74, v54, v55, v74
.LBB331_2038:                           ;   in Loop: Header=BB331_1075 Depth=1
	s_or_b32 exec_lo, exec_lo, s21
.LBB331_2039:                           ;   in Loop: Header=BB331_1075 Depth=1
	s_delay_alu instid0(SALU_CYCLE_1)
	s_or_b32 exec_lo, exec_lo, s20
.LBB331_2040:                           ;   in Loop: Header=BB331_1075 Depth=1
	s_delay_alu instid0(SALU_CYCLE_1) | instskip(SKIP_2) | instid1(VALU_DEP_1)
	s_or_b32 exec_lo, exec_lo, s19
	v_lshrrev_b16 v54, 8, v26
	s_mov_b32 s19, exec_lo
	v_cmpx_ne_u16_e32 0, v54
	s_cbranch_execz .LBB331_2048
; %bb.2041:                             ;   in Loop: Header=BB331_1075 Depth=1
	v_bfrev_b32_e32 v73, 1
	s_mov_b32 s20, exec_lo
	v_cmpx_ne_u16_e32 0x80, v54
	s_cbranch_execz .LBB331_2047
; %bb.2042:                             ;   in Loop: Header=BB331_1075 Depth=1
	v_and_b32_e32 v54, 0xffff, v54
	v_mov_b32_e32 v73, 0x7f800001
	s_mov_b32 s21, exec_lo
	s_delay_alu instid0(VALU_DEP_2) | instskip(NEXT) | instid1(VALU_DEP_1)
	v_and_b32_e32 v78, 0x7f, v54
	v_cmpx_ne_u32_e32 0x7f, v78
	s_cbranch_execz .LBB331_2046
; %bb.2043:                             ;   in Loop: Header=BB331_1075 Depth=1
	v_dual_mov_b32 v55, v27 :: v_dual_bitop2_b32 v54, 7, v54 bitop3:0x40
	v_lshrrev_b32_e32 v73, 3, v78
	s_mov_b32 s22, exec_lo
	v_cmpx_gt_u32_e32 8, v78
; %bb.2044:                             ;   in Loop: Header=BB331_1075 Depth=1
	s_delay_alu instid0(VALU_DEP_3) | instskip(NEXT) | instid1(VALU_DEP_1)
	v_clz_i32_u32_e32 v73, v54
	v_min_u32_e32 v73, 32, v73
	s_delay_alu instid0(VALU_DEP_1) | instskip(NEXT) | instid1(VALU_DEP_1)
	v_subrev_nc_u32_e32 v78, 28, v73
	v_lshlrev_b64_e32 v[54:55], v78, v[54:55]
	s_delay_alu instid0(VALU_DEP_1)
	v_dual_sub_nc_u32 v73, 29, v73 :: v_dual_bitop2_b32 v54, 7, v54 bitop3:0x40
; %bb.2045:                             ;   in Loop: Header=BB331_1075 Depth=1
	s_or_b32 exec_lo, exec_lo, s22
	v_lshlrev_b32_e32 v26, 16, v26
	s_delay_alu instid0(VALU_DEP_2) | instskip(NEXT) | instid1(VALU_DEP_3)
	v_lshlrev_b32_e32 v54, 20, v54
	v_lshl_add_u32 v55, v73, 23, 0x3c000000
	s_delay_alu instid0(VALU_DEP_3) | instskip(NEXT) | instid1(VALU_DEP_1)
	v_and_b32_e32 v26, 0x80000000, v26
	v_or3_b32 v73, v54, v26, v55
.LBB331_2046:                           ;   in Loop: Header=BB331_1075 Depth=1
	s_or_b32 exec_lo, exec_lo, s21
.LBB331_2047:                           ;   in Loop: Header=BB331_1075 Depth=1
	s_delay_alu instid0(SALU_CYCLE_1)
	s_or_b32 exec_lo, exec_lo, s20
.LBB331_2048:                           ;   in Loop: Header=BB331_1075 Depth=1
	s_delay_alu instid0(SALU_CYCLE_1) | instskip(SKIP_3) | instid1(VALU_DEP_2)
	s_or_b32 exec_lo, exec_lo, s19
	v_dual_mov_b32 v89, 0 :: v_dual_lshrrev_b32 v78, 16, v53
	v_mov_b32_e32 v54, 0
	s_mov_b32 s19, exec_lo
	v_and_b32_e32 v26, 0xff, v78
	s_delay_alu instid0(VALU_DEP_1)
	v_cmpx_ne_u16_e32 0, v26
	s_cbranch_execz .LBB331_2056
; %bb.2049:                             ;   in Loop: Header=BB331_1075 Depth=1
	v_bfrev_b32_e32 v54, 1
	s_mov_b32 s20, exec_lo
	v_cmpx_ne_u16_e32 0x80, v26
	s_cbranch_execz .LBB331_2055
; %bb.2050:                             ;   in Loop: Header=BB331_1075 Depth=1
	v_bfe_u32 v55, v53, 16, 7
	v_mov_b32_e32 v54, 0x7f800001
	s_mov_b32 s21, exec_lo
	s_delay_alu instid0(VALU_DEP_2)
	v_cmpx_ne_u32_e32 0x7f, v55
	s_cbranch_execz .LBB331_2054
; %bb.2051:                             ;   in Loop: Header=BB331_1075 Depth=1
	v_dual_lshrrev_b32 v79, 3, v55 :: v_dual_bitop2_b32 v26, 7, v78 bitop3:0x40
	v_cmp_gt_u32_e64 s1, 8, v55
	s_delay_alu instid0(VALU_DEP_2)
	v_mov_b64_e32 v[54:55], v[26:27]
	s_and_saveexec_b32 s22, s1
; %bb.2052:                             ;   in Loop: Header=BB331_1075 Depth=1
	v_clz_i32_u32_e32 v54, v26
	s_delay_alu instid0(VALU_DEP_1) | instskip(NEXT) | instid1(VALU_DEP_1)
	v_min_u32_e32 v79, 32, v54
	v_subrev_nc_u32_e32 v54, 28, v79
	s_delay_alu instid0(VALU_DEP_1) | instskip(NEXT) | instid1(VALU_DEP_1)
	v_lshlrev_b64_e32 v[54:55], v54, v[26:27]
	v_dual_sub_nc_u32 v79, 29, v79 :: v_dual_bitop2_b32 v54, 7, v54 bitop3:0x40
; %bb.2053:                             ;   in Loop: Header=BB331_1075 Depth=1
	s_or_b32 exec_lo, exec_lo, s22
	v_lshlrev_b32_e32 v26, 24, v78
	s_delay_alu instid0(VALU_DEP_2) | instskip(NEXT) | instid1(VALU_DEP_3)
	v_lshlrev_b32_e32 v54, 20, v54
	v_lshl_add_u32 v55, v79, 23, 0x3c000000
	s_delay_alu instid0(VALU_DEP_3) | instskip(NEXT) | instid1(VALU_DEP_1)
	v_and_b32_e32 v26, 0x80000000, v26
	v_or3_b32 v54, v54, v26, v55
.LBB331_2054:                           ;   in Loop: Header=BB331_1075 Depth=1
	s_or_b32 exec_lo, exec_lo, s21
.LBB331_2055:                           ;   in Loop: Header=BB331_1075 Depth=1
	s_delay_alu instid0(SALU_CYCLE_1)
	s_or_b32 exec_lo, exec_lo, s20
.LBB331_2056:                           ;   in Loop: Header=BB331_1075 Depth=1
	s_delay_alu instid0(SALU_CYCLE_1) | instskip(NEXT) | instid1(SALU_CYCLE_1)
	s_or_b32 exec_lo, exec_lo, s19
	s_mov_b32 s19, exec_lo
	v_cmpx_lt_u64_e64 s[2:3], v[52:53]
	s_cbranch_execz .LBB331_2064
; %bb.2057:                             ;   in Loop: Header=BB331_1075 Depth=1
	v_lshrrev_b32_e32 v55, 24, v53
	v_bfrev_b32_e32 v89, 1
	s_mov_b32 s20, exec_lo
	s_delay_alu instid0(VALU_DEP_2)
	v_cmpx_ne_u32_e32 0x80, v55
	s_cbranch_execz .LBB331_2063
; %bb.2058:                             ;   in Loop: Header=BB331_1075 Depth=1
	v_bfe_u32 v52, v53, 24, 7
	v_mov_b32_e32 v89, 0x7f800001
	s_mov_b32 s21, exec_lo
	s_delay_alu instid0(VALU_DEP_2)
	v_cmpx_ne_u32_e32 0x7f, v52
	s_cbranch_execz .LBB331_2062
; %bb.2059:                             ;   in Loop: Header=BB331_1075 Depth=1
	v_dual_lshrrev_b32 v78, 3, v52 :: v_dual_bitop2_b32 v26, 7, v55 bitop3:0x40
	v_cmp_gt_u32_e64 s1, 8, v52
	s_delay_alu instid0(VALU_DEP_2)
	v_mov_b64_e32 v[52:53], v[26:27]
	s_and_saveexec_b32 s22, s1
; %bb.2060:                             ;   in Loop: Header=BB331_1075 Depth=1
	v_clz_i32_u32_e32 v52, v26
	s_delay_alu instid0(VALU_DEP_1) | instskip(NEXT) | instid1(VALU_DEP_1)
	v_min_u32_e32 v78, 32, v52
	v_subrev_nc_u32_e32 v52, 28, v78
	s_delay_alu instid0(VALU_DEP_1) | instskip(NEXT) | instid1(VALU_DEP_1)
	v_lshlrev_b64_e32 v[52:53], v52, v[26:27]
	v_dual_sub_nc_u32 v78, 29, v78 :: v_dual_bitop2_b32 v52, 7, v52 bitop3:0x40
; %bb.2061:                             ;   in Loop: Header=BB331_1075 Depth=1
	s_or_b32 exec_lo, exec_lo, s22
	s_delay_alu instid0(VALU_DEP_1) | instskip(NEXT) | instid1(VALU_DEP_2)
	v_dual_lshlrev_b32 v26, 24, v55 :: v_dual_lshlrev_b32 v52, 20, v52
	v_lshl_add_u32 v53, v78, 23, 0x3c000000
	s_delay_alu instid0(VALU_DEP_2) | instskip(NEXT) | instid1(VALU_DEP_1)
	v_and_b32_e32 v26, 0x80000000, v26
	v_or3_b32 v89, v52, v26, v53
.LBB331_2062:                           ;   in Loop: Header=BB331_1075 Depth=1
	s_or_b32 exec_lo, exec_lo, s21
.LBB331_2063:                           ;   in Loop: Header=BB331_1075 Depth=1
	s_delay_alu instid0(SALU_CYCLE_1)
	s_or_b32 exec_lo, exec_lo, s20
.LBB331_2064:                           ;   in Loop: Header=BB331_1075 Depth=1
	s_delay_alu instid0(SALU_CYCLE_1)
	s_or_b32 exec_lo, exec_lo, s19
	v_fma_mixlo_bf16 v73, v118, v73, 0
	v_fma_mixlo_bf16 v74, v118, v74, 0
	;; [unrolled: 1-line block ×8, first 2 shown]
	s_and_saveexec_b32 s19, vcc_lo
	s_cbranch_execz .LBB331_2066
; %bb.2065:                             ;   in Loop: Header=BB331_1075 Depth=1
	v_cmp_lt_i32_e64 s1, v58, v99
	s_delay_alu instid0(VALU_DEP_1) | instskip(SKIP_1) | instid1(VALU_DEP_1)
	v_cndmask_b32_e64 v88, 0, v88, s1
	v_cmp_lt_i32_e64 s1, v62, v99
	v_cndmask_b32_e64 v79, 0, v79, s1
	v_cmp_lt_i32_e64 s1, v61, v99
	s_delay_alu instid0(VALU_DEP_1) | instskip(SKIP_1) | instid1(VALU_DEP_1)
	v_cndmask_b32_e64 v78, 0, v78, s1
	v_cmp_lt_i32_e64 s1, v60, v99
	v_cndmask_b32_e64 v77, 0, v77, s1
	;; [unrolled: 5-line block ×4, first 2 shown]
.LBB331_2066:                           ;   in Loop: Header=BB331_1075 Depth=1
	s_or_b32 exec_lo, exec_lo, s19
	flat_load_b64 v[50:51], v[50:51] offset:3840
	v_dual_mov_b32 v55, 0 :: v_dual_mov_b32 v41, 0
	s_mov_b32 s19, exec_lo
	s_wait_loadcnt_dscnt 0x0
	v_and_b32_e32 v26, 0xff, v50
	s_wait_xcnt 0x0
	s_delay_alu instid0(VALU_DEP_1)
	v_cmpx_ne_u16_e32 0, v26
	s_cbranch_execz .LBB331_2074
; %bb.2067:                             ;   in Loop: Header=BB331_1075 Depth=1
	v_bfrev_b32_e32 v41, 1
	s_mov_b32 s20, exec_lo
	v_cmpx_ne_u16_e32 0x80, v26
	s_cbranch_execz .LBB331_2073
; %bb.2068:                             ;   in Loop: Header=BB331_1075 Depth=1
	v_and_b32_e32 v52, 0x7f, v50
	v_mov_b32_e32 v41, 0x7f800001
	s_mov_b32 s21, exec_lo
	s_delay_alu instid0(VALU_DEP_2)
	v_cmpx_ne_u32_e32 0x7f, v52
	s_cbranch_execz .LBB331_2072
; %bb.2069:                             ;   in Loop: Header=BB331_1075 Depth=1
	v_lshrrev_b32_e32 v26, 3, v52
	v_cmp_gt_u32_e64 s1, 8, v52
	v_mov_b64_e32 v[52:53], v[50:51]
	s_and_saveexec_b32 s22, s1
; %bb.2070:                             ;   in Loop: Header=BB331_1075 Depth=1
	v_and_b32_e32 v26, 7, v50
	s_delay_alu instid0(VALU_DEP_1) | instskip(NEXT) | instid1(VALU_DEP_1)
	v_clz_i32_u32_e32 v26, v26
	v_min_u32_e32 v26, 32, v26
	s_delay_alu instid0(VALU_DEP_1) | instskip(SKIP_1) | instid1(VALU_DEP_2)
	v_subrev_nc_u32_e32 v52, 28, v26
	v_sub_nc_u32_e32 v26, 29, v26
	v_lshlrev_b64_e32 v[52:53], v52, v[50:51]
; %bb.2071:                             ;   in Loop: Header=BB331_1075 Depth=1
	s_or_b32 exec_lo, exec_lo, s22
	s_delay_alu instid0(VALU_DEP_1) | instskip(NEXT) | instid1(VALU_DEP_3)
	v_dual_lshlrev_b32 v52, 20, v52 :: v_dual_lshlrev_b32 v53, 24, v50
	v_lshl_add_u32 v26, v26, 23, 0x3c000000
	s_delay_alu instid0(VALU_DEP_2) | instskip(NEXT) | instid1(VALU_DEP_3)
	v_and_b32_e32 v52, 0x700000, v52
	v_and_b32_e32 v53, 0x80000000, v53
	s_delay_alu instid0(VALU_DEP_1)
	v_or3_b32 v41, v52, v53, v26
.LBB331_2072:                           ;   in Loop: Header=BB331_1075 Depth=1
	s_or_b32 exec_lo, exec_lo, s21
.LBB331_2073:                           ;   in Loop: Header=BB331_1075 Depth=1
	s_delay_alu instid0(SALU_CYCLE_1)
	s_or_b32 exec_lo, exec_lo, s20
.LBB331_2074:                           ;   in Loop: Header=BB331_1075 Depth=1
	s_delay_alu instid0(SALU_CYCLE_1) | instskip(SKIP_2) | instid1(VALU_DEP_1)
	s_or_b32 exec_lo, exec_lo, s19
	v_lshrrev_b16 v26, 8, v50
	s_mov_b32 s19, exec_lo
	v_cmpx_ne_u16_e32 0, v26
	s_cbranch_execz .LBB331_2082
; %bb.2075:                             ;   in Loop: Header=BB331_1075 Depth=1
	v_bfrev_b32_e32 v55, 1
	s_mov_b32 s20, exec_lo
	v_cmpx_ne_u16_e32 0x80, v26
	s_cbranch_execz .LBB331_2081
; %bb.2076:                             ;   in Loop: Header=BB331_1075 Depth=1
	v_and_b32_e32 v26, 0xffff, v26
	v_mov_b32_e32 v55, 0x7f800001
	s_mov_b32 s21, exec_lo
	s_delay_alu instid0(VALU_DEP_2) | instskip(NEXT) | instid1(VALU_DEP_1)
	v_and_b32_e32 v54, 0x7f, v26
	v_cmpx_ne_u32_e32 0x7f, v54
	s_cbranch_execz .LBB331_2080
; %bb.2077:                             ;   in Loop: Header=BB331_1075 Depth=1
	v_and_b32_e32 v26, 7, v26
	s_mov_b32 s22, exec_lo
	s_delay_alu instid0(VALU_DEP_1)
	v_mov_b64_e32 v[52:53], v[26:27]
	v_lshrrev_b32_e32 v53, 3, v54
	v_cmpx_gt_u32_e32 8, v54
; %bb.2078:                             ;   in Loop: Header=BB331_1075 Depth=1
	v_clz_i32_u32_e32 v52, v26
	s_delay_alu instid0(VALU_DEP_1) | instskip(NEXT) | instid1(VALU_DEP_1)
	v_min_u32_e32 v54, 32, v52
	v_subrev_nc_u32_e32 v52, 28, v54
	s_delay_alu instid0(VALU_DEP_1) | instskip(NEXT) | instid1(VALU_DEP_1)
	v_lshlrev_b64_e32 v[52:53], v52, v[26:27]
	v_dual_sub_nc_u32 v53, 29, v54 :: v_dual_bitop2_b32 v52, 7, v52 bitop3:0x40
; %bb.2079:                             ;   in Loop: Header=BB331_1075 Depth=1
	s_or_b32 exec_lo, exec_lo, s22
	s_delay_alu instid0(VALU_DEP_1) | instskip(NEXT) | instid1(VALU_DEP_2)
	v_dual_lshlrev_b32 v26, 16, v50 :: v_dual_lshlrev_b32 v52, 20, v52
	v_lshl_add_u32 v53, v53, 23, 0x3c000000
	s_delay_alu instid0(VALU_DEP_2) | instskip(NEXT) | instid1(VALU_DEP_1)
	v_and_b32_e32 v26, 0x80000000, v26
	v_or3_b32 v55, v52, v26, v53
.LBB331_2080:                           ;   in Loop: Header=BB331_1075 Depth=1
	s_or_b32 exec_lo, exec_lo, s21
.LBB331_2081:                           ;   in Loop: Header=BB331_1075 Depth=1
	s_delay_alu instid0(SALU_CYCLE_1)
	s_or_b32 exec_lo, exec_lo, s20
.LBB331_2082:                           ;   in Loop: Header=BB331_1075 Depth=1
	s_delay_alu instid0(SALU_CYCLE_1) | instskip(SKIP_3) | instid1(VALU_DEP_2)
	s_or_b32 exec_lo, exec_lo, s19
	v_dual_mov_b32 v89, 0 :: v_dual_lshrrev_b32 v90, 16, v50
	v_mov_b32_e32 v54, 0
	s_mov_b32 s19, exec_lo
	v_and_b32_e32 v26, 0xff, v90
	s_delay_alu instid0(VALU_DEP_1)
	v_cmpx_ne_u16_e32 0, v26
	s_cbranch_execz .LBB331_2090
; %bb.2083:                             ;   in Loop: Header=BB331_1075 Depth=1
	v_bfrev_b32_e32 v54, 1
	s_mov_b32 s20, exec_lo
	v_cmpx_ne_u16_e32 0x80, v26
	s_cbranch_execz .LBB331_2089
; %bb.2084:                             ;   in Loop: Header=BB331_1075 Depth=1
	v_bfe_u32 v91, v50, 16, 7
	v_mov_b32_e32 v54, 0x7f800001
	s_mov_b32 s21, exec_lo
	s_delay_alu instid0(VALU_DEP_2)
	v_cmpx_ne_u32_e32 0x7f, v91
	s_cbranch_execz .LBB331_2088
; %bb.2085:                             ;   in Loop: Header=BB331_1075 Depth=1
	v_and_b32_e32 v26, 7, v90
	s_mov_b32 s22, exec_lo
	s_delay_alu instid0(VALU_DEP_1)
	v_mov_b64_e32 v[52:53], v[26:27]
	v_lshrrev_b32_e32 v53, 3, v91
	v_cmpx_gt_u32_e32 8, v91
; %bb.2086:                             ;   in Loop: Header=BB331_1075 Depth=1
	v_clz_i32_u32_e32 v52, v26
	s_delay_alu instid0(VALU_DEP_1) | instskip(NEXT) | instid1(VALU_DEP_1)
	v_min_u32_e32 v54, 32, v52
	v_subrev_nc_u32_e32 v52, 28, v54
	s_delay_alu instid0(VALU_DEP_1) | instskip(NEXT) | instid1(VALU_DEP_1)
	v_lshlrev_b64_e32 v[52:53], v52, v[26:27]
	v_dual_sub_nc_u32 v53, 29, v54 :: v_dual_bitop2_b32 v52, 7, v52 bitop3:0x40
; %bb.2087:                             ;   in Loop: Header=BB331_1075 Depth=1
	s_or_b32 exec_lo, exec_lo, s22
	s_delay_alu instid0(VALU_DEP_1) | instskip(NEXT) | instid1(VALU_DEP_2)
	v_dual_lshlrev_b32 v26, 24, v90 :: v_dual_lshlrev_b32 v52, 20, v52
	v_lshl_add_u32 v53, v53, 23, 0x3c000000
	s_delay_alu instid0(VALU_DEP_2) | instskip(NEXT) | instid1(VALU_DEP_1)
	v_and_b32_e32 v26, 0x80000000, v26
	v_or3_b32 v54, v52, v26, v53
.LBB331_2088:                           ;   in Loop: Header=BB331_1075 Depth=1
	s_or_b32 exec_lo, exec_lo, s21
.LBB331_2089:                           ;   in Loop: Header=BB331_1075 Depth=1
	s_delay_alu instid0(SALU_CYCLE_1)
	s_or_b32 exec_lo, exec_lo, s20
.LBB331_2090:                           ;   in Loop: Header=BB331_1075 Depth=1
	s_delay_alu instid0(SALU_CYCLE_1) | instskip(NEXT) | instid1(SALU_CYCLE_1)
	s_or_b32 exec_lo, exec_lo, s19
	s_mov_b32 s19, exec_lo
	v_cmpx_lt_u32_e32 0xffffff, v50
	s_cbranch_execz .LBB331_2098
; %bb.2091:                             ;   in Loop: Header=BB331_1075 Depth=1
	v_lshrrev_b32_e32 v90, 24, v50
	v_bfrev_b32_e32 v89, 1
	s_mov_b32 s20, exec_lo
	s_delay_alu instid0(VALU_DEP_2)
	v_cmpx_ne_u32_e32 0x80, v90
	s_cbranch_execz .LBB331_2097
; %bb.2092:                             ;   in Loop: Header=BB331_1075 Depth=1
	v_bfe_u32 v91, v50, 24, 7
	v_mov_b32_e32 v89, 0x7f800001
	s_mov_b32 s21, exec_lo
	s_delay_alu instid0(VALU_DEP_2)
	v_cmpx_ne_u32_e32 0x7f, v91
	s_cbranch_execz .LBB331_2096
; %bb.2093:                             ;   in Loop: Header=BB331_1075 Depth=1
	v_and_b32_e32 v26, 7, v90
	s_mov_b32 s22, exec_lo
	s_delay_alu instid0(VALU_DEP_1)
	v_mov_b64_e32 v[52:53], v[26:27]
	v_lshrrev_b32_e32 v53, 3, v91
	v_cmpx_gt_u32_e32 8, v91
; %bb.2094:                             ;   in Loop: Header=BB331_1075 Depth=1
	v_clz_i32_u32_e32 v52, v26
	s_delay_alu instid0(VALU_DEP_1) | instskip(NEXT) | instid1(VALU_DEP_1)
	v_min_u32_e32 v89, 32, v52
	v_subrev_nc_u32_e32 v52, 28, v89
	s_delay_alu instid0(VALU_DEP_1) | instskip(NEXT) | instid1(VALU_DEP_1)
	v_lshlrev_b64_e32 v[52:53], v52, v[26:27]
	v_dual_sub_nc_u32 v53, 29, v89 :: v_dual_bitop2_b32 v52, 7, v52 bitop3:0x40
; %bb.2095:                             ;   in Loop: Header=BB331_1075 Depth=1
	s_or_b32 exec_lo, exec_lo, s22
	s_delay_alu instid0(VALU_DEP_1) | instskip(NEXT) | instid1(VALU_DEP_2)
	v_dual_lshlrev_b32 v26, 24, v90 :: v_dual_lshlrev_b32 v52, 20, v52
	v_lshl_add_u32 v53, v53, 23, 0x3c000000
	s_delay_alu instid0(VALU_DEP_2) | instskip(NEXT) | instid1(VALU_DEP_1)
	v_and_b32_e32 v26, 0x80000000, v26
	v_or3_b32 v89, v52, v26, v53
.LBB331_2096:                           ;   in Loop: Header=BB331_1075 Depth=1
	s_or_b32 exec_lo, exec_lo, s21
.LBB331_2097:                           ;   in Loop: Header=BB331_1075 Depth=1
	s_delay_alu instid0(SALU_CYCLE_1)
	s_or_b32 exec_lo, exec_lo, s20
.LBB331_2098:                           ;   in Loop: Header=BB331_1075 Depth=1
	s_delay_alu instid0(SALU_CYCLE_1) | instskip(SKIP_4) | instid1(VALU_DEP_3)
	s_or_b32 exec_lo, exec_lo, s19
	v_and_b32_e32 v52, 0xff, v51
	v_dual_mov_b32 v26, v51 :: v_dual_mov_b32 v91, 0
	v_mov_b32_e32 v90, 0
	s_mov_b32 s19, exec_lo
	v_cmpx_ne_u16_e32 0, v52
	s_cbranch_execz .LBB331_2106
; %bb.2099:                             ;   in Loop: Header=BB331_1075 Depth=1
	v_bfrev_b32_e32 v90, 1
	s_mov_b32 s20, exec_lo
	v_cmpx_ne_u16_e32 0x80, v52
	s_cbranch_execz .LBB331_2105
; %bb.2100:                             ;   in Loop: Header=BB331_1075 Depth=1
	v_and_b32_e32 v92, 0x7f, v51
	v_mov_b32_e32 v90, 0x7f800001
	s_mov_b32 s21, exec_lo
	s_delay_alu instid0(VALU_DEP_2)
	v_cmpx_ne_u32_e32 0x7f, v92
	s_cbranch_execz .LBB331_2104
; %bb.2101:                             ;   in Loop: Header=BB331_1075 Depth=1
	v_mov_b64_e32 v[52:53], v[26:27]
	v_lshrrev_b32_e32 v53, 3, v92
	s_mov_b32 s22, exec_lo
	v_cmpx_gt_u32_e32 8, v92
; %bb.2102:                             ;   in Loop: Header=BB331_1075 Depth=1
	v_and_b32_e32 v52, 7, v51
	s_delay_alu instid0(VALU_DEP_1) | instskip(NEXT) | instid1(VALU_DEP_1)
	v_clz_i32_u32_e32 v52, v52
	v_min_u32_e32 v90, 32, v52
	s_delay_alu instid0(VALU_DEP_1) | instskip(NEXT) | instid1(VALU_DEP_1)
	v_subrev_nc_u32_e32 v52, 28, v90
	v_lshlrev_b64_e32 v[52:53], v52, v[26:27]
	v_sub_nc_u32_e32 v53, 29, v90
; %bb.2103:                             ;   in Loop: Header=BB331_1075 Depth=1
	s_or_b32 exec_lo, exec_lo, s22
	s_delay_alu instid0(VALU_DEP_2) | instskip(NEXT) | instid1(VALU_DEP_2)
	v_dual_lshlrev_b32 v52, 20, v52 :: v_dual_lshlrev_b32 v90, 24, v26
	v_lshl_add_u32 v53, v53, 23, 0x3c000000
	s_delay_alu instid0(VALU_DEP_2) | instskip(NEXT) | instid1(VALU_DEP_3)
	v_and_b32_e32 v52, 0x700000, v52
	v_and_b32_e32 v90, 0x80000000, v90
	s_delay_alu instid0(VALU_DEP_1)
	v_or3_b32 v90, v52, v90, v53
.LBB331_2104:                           ;   in Loop: Header=BB331_1075 Depth=1
	s_or_b32 exec_lo, exec_lo, s21
.LBB331_2105:                           ;   in Loop: Header=BB331_1075 Depth=1
	s_delay_alu instid0(SALU_CYCLE_1)
	s_or_b32 exec_lo, exec_lo, s20
.LBB331_2106:                           ;   in Loop: Header=BB331_1075 Depth=1
	s_delay_alu instid0(SALU_CYCLE_1) | instskip(SKIP_2) | instid1(VALU_DEP_1)
	s_or_b32 exec_lo, exec_lo, s19
	v_lshrrev_b16 v52, 8, v26
	s_mov_b32 s19, exec_lo
	v_cmpx_ne_u16_e32 0, v52
	s_cbranch_execz .LBB331_2114
; %bb.2107:                             ;   in Loop: Header=BB331_1075 Depth=1
	v_bfrev_b32_e32 v91, 1
	s_mov_b32 s20, exec_lo
	v_cmpx_ne_u16_e32 0x80, v52
	s_cbranch_execz .LBB331_2113
; %bb.2108:                             ;   in Loop: Header=BB331_1075 Depth=1
	v_and_b32_e32 v52, 0xffff, v52
	v_mov_b32_e32 v91, 0x7f800001
	s_mov_b32 s21, exec_lo
	s_delay_alu instid0(VALU_DEP_2) | instskip(NEXT) | instid1(VALU_DEP_1)
	v_and_b32_e32 v92, 0x7f, v52
	v_cmpx_ne_u32_e32 0x7f, v92
	s_cbranch_execz .LBB331_2112
; %bb.2109:                             ;   in Loop: Header=BB331_1075 Depth=1
	v_dual_mov_b32 v53, v27 :: v_dual_bitop2_b32 v52, 7, v52 bitop3:0x40
	v_lshrrev_b32_e32 v91, 3, v92
	s_mov_b32 s22, exec_lo
	v_cmpx_gt_u32_e32 8, v92
; %bb.2110:                             ;   in Loop: Header=BB331_1075 Depth=1
	s_delay_alu instid0(VALU_DEP_3) | instskip(NEXT) | instid1(VALU_DEP_1)
	v_clz_i32_u32_e32 v91, v52
	v_min_u32_e32 v91, 32, v91
	s_delay_alu instid0(VALU_DEP_1) | instskip(NEXT) | instid1(VALU_DEP_1)
	v_subrev_nc_u32_e32 v92, 28, v91
	v_lshlrev_b64_e32 v[52:53], v92, v[52:53]
	s_delay_alu instid0(VALU_DEP_1)
	v_dual_sub_nc_u32 v91, 29, v91 :: v_dual_bitop2_b32 v52, 7, v52 bitop3:0x40
; %bb.2111:                             ;   in Loop: Header=BB331_1075 Depth=1
	s_or_b32 exec_lo, exec_lo, s22
	s_delay_alu instid0(VALU_DEP_1) | instskip(NEXT) | instid1(VALU_DEP_2)
	v_dual_lshlrev_b32 v26, 16, v26 :: v_dual_lshlrev_b32 v52, 20, v52
	v_lshl_add_u32 v53, v91, 23, 0x3c000000
	s_delay_alu instid0(VALU_DEP_2) | instskip(NEXT) | instid1(VALU_DEP_1)
	v_and_b32_e32 v26, 0x80000000, v26
	v_or3_b32 v91, v52, v26, v53
.LBB331_2112:                           ;   in Loop: Header=BB331_1075 Depth=1
	s_or_b32 exec_lo, exec_lo, s21
.LBB331_2113:                           ;   in Loop: Header=BB331_1075 Depth=1
	s_delay_alu instid0(SALU_CYCLE_1)
	s_or_b32 exec_lo, exec_lo, s20
.LBB331_2114:                           ;   in Loop: Header=BB331_1075 Depth=1
	s_delay_alu instid0(SALU_CYCLE_1) | instskip(SKIP_3) | instid1(VALU_DEP_2)
	s_or_b32 exec_lo, exec_lo, s19
	v_dual_lshrrev_b32 v94, 16, v51 :: v_dual_mov_b32 v92, 0
	v_mov_b32_e32 v93, 0
	s_mov_b32 s19, exec_lo
	v_and_b32_e32 v26, 0xff, v94
	s_delay_alu instid0(VALU_DEP_1)
	v_cmpx_ne_u16_e32 0, v26
	s_cbranch_execz .LBB331_2122
; %bb.2115:                             ;   in Loop: Header=BB331_1075 Depth=1
	v_bfrev_b32_e32 v93, 1
	s_mov_b32 s20, exec_lo
	v_cmpx_ne_u16_e32 0x80, v26
	s_cbranch_execz .LBB331_2121
; %bb.2116:                             ;   in Loop: Header=BB331_1075 Depth=1
	v_bfe_u32 v95, v51, 16, 7
	v_mov_b32_e32 v93, 0x7f800001
	s_mov_b32 s21, exec_lo
	s_delay_alu instid0(VALU_DEP_2)
	v_cmpx_ne_u32_e32 0x7f, v95
	s_cbranch_execz .LBB331_2120
; %bb.2117:                             ;   in Loop: Header=BB331_1075 Depth=1
	v_and_b32_e32 v26, 7, v94
	s_mov_b32 s22, exec_lo
	s_delay_alu instid0(VALU_DEP_1)
	v_mov_b64_e32 v[52:53], v[26:27]
	v_lshrrev_b32_e32 v53, 3, v95
	v_cmpx_gt_u32_e32 8, v95
; %bb.2118:                             ;   in Loop: Header=BB331_1075 Depth=1
	v_clz_i32_u32_e32 v52, v26
	s_delay_alu instid0(VALU_DEP_1) | instskip(NEXT) | instid1(VALU_DEP_1)
	v_min_u32_e32 v93, 32, v52
	v_subrev_nc_u32_e32 v52, 28, v93
	s_delay_alu instid0(VALU_DEP_1) | instskip(NEXT) | instid1(VALU_DEP_1)
	v_lshlrev_b64_e32 v[52:53], v52, v[26:27]
	v_dual_sub_nc_u32 v53, 29, v93 :: v_dual_bitop2_b32 v52, 7, v52 bitop3:0x40
; %bb.2119:                             ;   in Loop: Header=BB331_1075 Depth=1
	s_or_b32 exec_lo, exec_lo, s22
	s_delay_alu instid0(VALU_DEP_1) | instskip(NEXT) | instid1(VALU_DEP_2)
	v_dual_lshlrev_b32 v26, 24, v94 :: v_dual_lshlrev_b32 v52, 20, v52
	v_lshl_add_u32 v53, v53, 23, 0x3c000000
	s_delay_alu instid0(VALU_DEP_2) | instskip(NEXT) | instid1(VALU_DEP_1)
	v_and_b32_e32 v26, 0x80000000, v26
	v_or3_b32 v93, v52, v26, v53
.LBB331_2120:                           ;   in Loop: Header=BB331_1075 Depth=1
	s_or_b32 exec_lo, exec_lo, s21
.LBB331_2121:                           ;   in Loop: Header=BB331_1075 Depth=1
	s_delay_alu instid0(SALU_CYCLE_1)
	s_or_b32 exec_lo, exec_lo, s20
.LBB331_2122:                           ;   in Loop: Header=BB331_1075 Depth=1
	s_delay_alu instid0(SALU_CYCLE_1) | instskip(NEXT) | instid1(SALU_CYCLE_1)
	s_or_b32 exec_lo, exec_lo, s19
	s_mov_b32 s19, exec_lo
	v_cmpx_lt_u64_e64 s[2:3], v[50:51]
	s_cbranch_execz .LBB331_2130
; %bb.2123:                             ;   in Loop: Header=BB331_1075 Depth=1
	v_lshrrev_b32_e32 v52, 24, v51
	v_bfrev_b32_e32 v92, 1
	s_mov_b32 s20, exec_lo
	s_delay_alu instid0(VALU_DEP_2)
	v_cmpx_ne_u32_e32 0x80, v52
	s_cbranch_execz .LBB331_2129
; %bb.2124:                             ;   in Loop: Header=BB331_1075 Depth=1
	v_bfe_u32 v53, v51, 24, 7
	v_mov_b32_e32 v92, 0x7f800001
	s_mov_b32 s21, exec_lo
	s_delay_alu instid0(VALU_DEP_2)
	v_cmpx_ne_u32_e32 0x7f, v53
	s_cbranch_execz .LBB331_2128
; %bb.2125:                             ;   in Loop: Header=BB331_1075 Depth=1
	v_and_b32_e32 v26, 7, v52
	s_mov_b32 s22, exec_lo
	s_delay_alu instid0(VALU_DEP_1)
	v_mov_b64_e32 v[50:51], v[26:27]
	v_lshrrev_b32_e32 v51, 3, v53
	v_cmpx_gt_u32_e32 8, v53
; %bb.2126:                             ;   in Loop: Header=BB331_1075 Depth=1
	v_clz_i32_u32_e32 v50, v26
	s_delay_alu instid0(VALU_DEP_1) | instskip(NEXT) | instid1(VALU_DEP_1)
	v_min_u32_e32 v53, 32, v50
	v_subrev_nc_u32_e32 v50, 28, v53
	s_delay_alu instid0(VALU_DEP_1) | instskip(NEXT) | instid1(VALU_DEP_1)
	v_lshlrev_b64_e32 v[50:51], v50, v[26:27]
	v_dual_sub_nc_u32 v51, 29, v53 :: v_dual_bitop2_b32 v50, 7, v50 bitop3:0x40
; %bb.2127:                             ;   in Loop: Header=BB331_1075 Depth=1
	s_or_b32 exec_lo, exec_lo, s22
	s_delay_alu instid0(VALU_DEP_1) | instskip(NEXT) | instid1(VALU_DEP_2)
	v_dual_lshlrev_b32 v26, 24, v52 :: v_dual_lshlrev_b32 v50, 20, v50
	v_lshl_add_u32 v51, v51, 23, 0x3c000000
	s_delay_alu instid0(VALU_DEP_2) | instskip(NEXT) | instid1(VALU_DEP_1)
	v_and_b32_e32 v26, 0x80000000, v26
	v_or3_b32 v92, v50, v26, v51
.LBB331_2128:                           ;   in Loop: Header=BB331_1075 Depth=1
	s_or_b32 exec_lo, exec_lo, s21
.LBB331_2129:                           ;   in Loop: Header=BB331_1075 Depth=1
	s_delay_alu instid0(SALU_CYCLE_1)
	s_or_b32 exec_lo, exec_lo, s20
.LBB331_2130:                           ;   in Loop: Header=BB331_1075 Depth=1
	s_delay_alu instid0(SALU_CYCLE_1)
	s_or_b32 exec_lo, exec_lo, s19
	v_fma_mixlo_bf16 v50, v118, v91, 0
	v_fma_mixlo_bf16 v52, v118, v90, 0
	;; [unrolled: 1-line block ×8, first 2 shown]
	s_and_saveexec_b32 s1, vcc_lo
	s_cbranch_execz .LBB331_1073
; %bb.2131:                             ;   in Loop: Header=BB331_1075 Depth=1
	v_cmp_lt_i32_e32 vcc_lo, v58, v99
	v_cndmask_b32_e32 v41, 0, v41, vcc_lo
	v_cmp_lt_i32_e32 vcc_lo, v62, v99
	v_cndmask_b32_e32 v55, 0, v55, vcc_lo
	v_cmp_lt_i32_e32 vcc_lo, v61, v99
	v_cndmask_b32_e32 v54, 0, v54, vcc_lo
	v_cmp_lt_i32_e32 vcc_lo, v60, v99
	v_cndmask_b32_e32 v53, 0, v53, vcc_lo
	v_cmp_lt_i32_e32 vcc_lo, v59, v99
	v_cndmask_b32_e32 v52, 0, v52, vcc_lo
	v_cmp_lt_i32_e32 vcc_lo, v57, v99
	v_cndmask_b32_e32 v50, 0, v50, vcc_lo
	v_cmp_lt_i32_e32 vcc_lo, v56, v99
	v_cndmask_b32_e32 v26, 0, v26, vcc_lo
	v_cmp_lt_i32_e32 vcc_lo, v47, v99
	v_cndmask_b32_e32 v51, 0, v51, vcc_lo
	s_branch .LBB331_1073
.LBB331_2132:
	s_or_b32 exec_lo, exec_lo, s13
	s_clause 0x4
	scratch_load_b32 v48, off, s32 offset:480
	scratch_load_b32 v49, off, s32 offset:484
	;; [unrolled: 1-line block ×5, first 2 shown]
	v_mov_b64_e32 v[2:3], s[10:11]
.LBB331_2133:
	s_wait_xcnt 0x0
	s_or_b32 exec_lo, exec_lo, s12
	s_delay_alu instid0(VALU_DEP_1)
	v_lshl_add_u64 v[0:1], v[2:3], 2, s[8:9]
	s_wait_loadcnt 0x0
	s_wait_storecnt 0x0
	s_barrier_signal -1
	s_barrier_wait -1
	global_load_b32 v0, v[0:1], off
	ds_bpermute_b32 v2, v51, v36
	ds_bpermute_b32 v3, v51, v37
	;; [unrolled: 1-line block ×14, first 2 shown]
	s_wait_xcnt 0x0
	v_and_b32_e32 v1, 0x3c1, v48
	s_mov_b32 s1, exec_lo
	ds_bpermute_b32 v22, v51, v12
	ds_bpermute_b32 v23, v51, v13
	s_wait_dscnt 0xe
	v_pk_add_f32 v[18:19], v[36:37], v[2:3]
	s_wait_dscnt 0xc
	v_pk_add_f32 v[16:17], v[32:33], v[4:5]
	;; [unrolled: 2-line block ×6, first 2 shown]
	v_lshrrev_b32_e32 v14, 1, v50
	s_wait_dscnt 0x2
	v_pk_add_f32 v[2:3], v[28:29], v[38:39]
	v_cmpx_ne_u32_e32 64, v1
	s_xor_b32 s1, exec_lo, s1
	s_delay_alu instid0(SALU_CYCLE_1)
	s_or_saveexec_b32 s1, s1
	s_wait_dscnt 0x0
	v_pk_add_f32 v[12:13], v[12:13], v[22:23]
	s_wait_loadcnt 0x0
	v_lshl_add_u32 v1, v14, 2, v0
	v_lshlrev_b32_e32 v15, 10, v119
	s_xor_b32 exec_lo, exec_lo, s1
	s_cbranch_execz .LBB331_2135
; %bb.2134:
	s_delay_alu instid0(VALU_DEP_1) | instskip(NEXT) | instid1(VALU_DEP_1)
	v_add_nc_u32_e32 v20, v1, v15
	v_add_nc_u32_e32 v21, 0xfffff800, v20
	;; [unrolled: 1-line block ×9, first 2 shown]
	ds_store_b32 v21, v18
	ds_store_b32 v22, v19
	;; [unrolled: 1-line block ×8, first 2 shown]
	v_add_nc_u32_e32 v21, 0xfffffa00, v20
	v_add_nc_u32_e32 v22, 0xfffffa40, v20
	;; [unrolled: 1-line block ×8, first 2 shown]
	ds_store_b32 v21, v6
	ds_store_b32 v22, v7
	;; [unrolled: 1-line block ×8, first 2 shown]
.LBB331_2135:
	s_or_b32 exec_lo, exec_lo, s1
	v_lshlrev_b32_e32 v14, 2, v14
	v_cmp_eq_u32_e32 vcc_lo, 0, v49
	s_wait_dscnt 0x0
	s_barrier_signal -1
	s_barrier_wait -1
	v_add3_u32 v0, v0, v15, v14
	s_and_saveexec_b32 s1, s0
	s_cbranch_execz .LBB331_2154
; %bb.2136:
	s_and_saveexec_b32 s0, vcc_lo
	s_cbranch_execnz .LBB331_2178
; %bb.2137:
	s_or_b32 exec_lo, exec_lo, s0
	s_and_saveexec_b32 s0, vcc_lo
	s_cbranch_execnz .LBB331_2179
.LBB331_2138:
	s_or_b32 exec_lo, exec_lo, s0
	s_and_saveexec_b32 s0, vcc_lo
	s_cbranch_execnz .LBB331_2180
.LBB331_2139:
	s_or_b32 exec_lo, exec_lo, s0
	s_and_saveexec_b32 s0, vcc_lo
	s_cbranch_execnz .LBB331_2181
.LBB331_2140:
	s_or_b32 exec_lo, exec_lo, s0
	s_and_saveexec_b32 s0, vcc_lo
	s_cbranch_execnz .LBB331_2182
.LBB331_2141:
	s_or_b32 exec_lo, exec_lo, s0
	s_and_saveexec_b32 s0, vcc_lo
	s_cbranch_execnz .LBB331_2183
.LBB331_2142:
	s_or_b32 exec_lo, exec_lo, s0
	s_and_saveexec_b32 s0, vcc_lo
	s_cbranch_execnz .LBB331_2184
.LBB331_2143:
	s_or_b32 exec_lo, exec_lo, s0
	s_and_saveexec_b32 s0, vcc_lo
	s_cbranch_execnz .LBB331_2185
.LBB331_2144:
	s_or_b32 exec_lo, exec_lo, s0
	s_and_saveexec_b32 s0, vcc_lo
	s_cbranch_execnz .LBB331_2186
.LBB331_2145:
	s_or_b32 exec_lo, exec_lo, s0
	s_and_saveexec_b32 s0, vcc_lo
	s_cbranch_execnz .LBB331_2187
.LBB331_2146:
	s_or_b32 exec_lo, exec_lo, s0
	s_and_saveexec_b32 s0, vcc_lo
	s_cbranch_execnz .LBB331_2188
.LBB331_2147:
	s_or_b32 exec_lo, exec_lo, s0
	s_and_saveexec_b32 s0, vcc_lo
	s_cbranch_execnz .LBB331_2189
.LBB331_2148:
	s_or_b32 exec_lo, exec_lo, s0
	s_and_saveexec_b32 s0, vcc_lo
	s_cbranch_execnz .LBB331_2190
.LBB331_2149:
	s_or_b32 exec_lo, exec_lo, s0
	s_and_saveexec_b32 s0, vcc_lo
	s_cbranch_execnz .LBB331_2191
.LBB331_2150:
	s_or_b32 exec_lo, exec_lo, s0
	s_and_saveexec_b32 s0, vcc_lo
	s_cbranch_execnz .LBB331_2192
.LBB331_2151:
	s_or_b32 exec_lo, exec_lo, s0
	s_and_saveexec_b32 s0, vcc_lo
	s_cbranch_execz .LBB331_2153
.LBB331_2152:
	ds_load_b32 v14, v0 offset:960
	s_wait_dscnt 0x0
	v_add_f32_e32 v13, v14, v13
.LBB331_2153:
	s_or_b32 exec_lo, exec_lo, s0
.LBB331_2154:
	s_delay_alu instid0(SALU_CYCLE_1) | instskip(SKIP_4) | instid1(VALU_DEP_1)
	s_or_b32 exec_lo, exec_lo, s1
	v_and_b32_e32 v14, 0x3e1, v48
	s_mov_b32 s1, exec_lo
	s_barrier_signal -1
	s_barrier_wait -1
	v_cmpx_eq_u32_e32 32, v14
	s_cbranch_execz .LBB331_2156
; %bb.2155:
	ds_store_2addr_b32 v1, v18, v19 offset1:16
	ds_store_2addr_b32 v1, v16, v17 offset0:32 offset1:48
	ds_store_2addr_b32 v1, v10, v11 offset0:64 offset1:80
	;; [unrolled: 1-line block ×7, first 2 shown]
.LBB331_2156:
	s_or_b32 exec_lo, exec_lo, s1
	s_delay_alu instid0(SALU_CYCLE_1)
	s_mov_b32 s1, exec_lo
	s_wait_dscnt 0x0
	s_barrier_signal -1
	s_barrier_wait -1
	v_cmpx_gt_u32_e32 32, v48
	s_cbranch_execz .LBB331_2175
; %bb.2157:
	s_and_saveexec_b32 s0, vcc_lo
	s_cbranch_execnz .LBB331_2193
; %bb.2158:
	s_or_b32 exec_lo, exec_lo, s0
	s_and_saveexec_b32 s0, vcc_lo
	s_cbranch_execnz .LBB331_2194
.LBB331_2159:
	s_or_b32 exec_lo, exec_lo, s0
	s_and_saveexec_b32 s0, vcc_lo
	s_cbranch_execnz .LBB331_2195
.LBB331_2160:
	s_or_b32 exec_lo, exec_lo, s0
	s_and_saveexec_b32 s0, vcc_lo
	s_cbranch_execnz .LBB331_2196
.LBB331_2161:
	s_or_b32 exec_lo, exec_lo, s0
	s_and_saveexec_b32 s0, vcc_lo
	s_cbranch_execnz .LBB331_2197
.LBB331_2162:
	s_or_b32 exec_lo, exec_lo, s0
	s_and_saveexec_b32 s0, vcc_lo
	s_cbranch_execnz .LBB331_2198
.LBB331_2163:
	s_or_b32 exec_lo, exec_lo, s0
	s_and_saveexec_b32 s0, vcc_lo
	s_cbranch_execnz .LBB331_2199
.LBB331_2164:
	s_or_b32 exec_lo, exec_lo, s0
	s_and_saveexec_b32 s0, vcc_lo
	s_cbranch_execnz .LBB331_2200
.LBB331_2165:
	s_or_b32 exec_lo, exec_lo, s0
	s_and_saveexec_b32 s0, vcc_lo
	s_cbranch_execnz .LBB331_2201
.LBB331_2166:
	s_or_b32 exec_lo, exec_lo, s0
	s_and_saveexec_b32 s0, vcc_lo
	s_cbranch_execnz .LBB331_2202
.LBB331_2167:
	s_or_b32 exec_lo, exec_lo, s0
	s_and_saveexec_b32 s0, vcc_lo
	s_cbranch_execnz .LBB331_2203
.LBB331_2168:
	s_or_b32 exec_lo, exec_lo, s0
	s_and_saveexec_b32 s0, vcc_lo
	s_cbranch_execnz .LBB331_2204
.LBB331_2169:
	s_or_b32 exec_lo, exec_lo, s0
	s_and_saveexec_b32 s0, vcc_lo
	s_cbranch_execnz .LBB331_2205
.LBB331_2170:
	s_or_b32 exec_lo, exec_lo, s0
	s_and_saveexec_b32 s0, vcc_lo
	s_cbranch_execnz .LBB331_2206
.LBB331_2171:
	s_or_b32 exec_lo, exec_lo, s0
	s_and_saveexec_b32 s0, vcc_lo
	s_cbranch_execnz .LBB331_2207
.LBB331_2172:
	s_or_b32 exec_lo, exec_lo, s0
	s_and_saveexec_b32 s0, vcc_lo
	s_cbranch_execz .LBB331_2174
.LBB331_2173:
	ds_load_b32 v0, v0 offset:960
	s_wait_dscnt 0x0
	v_add_f32_e32 v13, v0, v13
.LBB331_2174:
	s_or_b32 exec_lo, exec_lo, s0
.LBB331_2175:
	s_delay_alu instid0(SALU_CYCLE_1)
	s_or_b32 exec_lo, exec_lo, s1
	s_mov_b32 s1, 0
	s_mov_b32 s2, exec_lo
	s_barrier_signal -1
	s_barrier_wait -1
	v_cmpx_eq_u32_e32 0, v14
	s_cbranch_execz .LBB331_2177
; %bb.2176:
	s_clause 0x1
	scratch_load_b64 v[0:1], off, s32 offset:492 th:TH_LOAD_LU
	scratch_load_b32 v14, off, s32 offset:476 th:TH_LOAD_LU
	s_and_b32 s0, 0xffff, s17
	v_mov_b32_e32 v15, 0
	s_cmp_lg_u32 s0, 0
	s_cselect_b32 s0, -1, 0
	s_delay_alu instid0(SALU_CYCLE_1)
	s_cmp_lg_u32 s0, 0
	s_add_co_ci_u32 s0, s7, 0
	s_bfe_u32 s7, ttmp6, 0x40014
	s_mul_i32 s4, s15, s0
	s_lshr_b32 s3, ttmp7, 16
	s_mul_i32 s4, s4, s16
	s_add_co_i32 s7, s7, 1
	s_lshl_b32 s4, s4, 8
	s_bfe_u32 s8, ttmp6, 0x40008
	s_ashr_i32 s5, s4, 31
	s_mul_i32 s6, s6, s0
	s_mul_i32 s0, s3, s7
	s_ashr_i32 s7, s6, 31
	s_add_co_i32 s8, s8, s0
	s_cmp_eq_u32 s14, 0
	s_cselect_b32 s0, s3, s8
	s_delay_alu instid0(SALU_CYCLE_1) | instskip(NEXT) | instid1(SALU_CYCLE_1)
	s_lshl_b32 s0, s0, 9
	v_cvt_pk_bf16_f32 v18, v18, s0
	v_cvt_pk_bf16_f32 v6, v6, s0
	;; [unrolled: 1-line block ×13, first 2 shown]
	s_wait_loadcnt 0x1
	v_lshl_add_u64 v[0:1], s[4:5], 1, v[0:1]
	s_wait_loadcnt 0x0
	v_lshlrev_b32_e32 v14, 1, v14
	s_delay_alu instid0(VALU_DEP_2) | instskip(NEXT) | instid1(VALU_DEP_1)
	v_lshl_add_u64 v[0:1], s[6:7], 1, v[0:1]
	v_add_nc_u64_e32 v[0:1], s[0:1], v[0:1]
	s_delay_alu instid0(VALU_DEP_1)
	v_add_nc_u64_e32 v[0:1], v[0:1], v[14:15]
	v_cvt_pk_bf16_f32 v14, v17, s0
	s_clause 0x7
	flat_store_b16 v[0:1], v18
	flat_store_b16 v[0:1], v19 offset:32
	flat_store_b16 v[0:1], v16 offset:64
	;; [unrolled: 1-line block ×7, first 2 shown]
	s_wait_xcnt 0x1
	v_cvt_pk_bf16_f32 v8, v12, s0
	s_wait_xcnt 0x0
	v_cvt_pk_bf16_f32 v9, v13, s0
	s_clause 0x7
	flat_store_b16 v[0:1], v6 offset:256
	flat_store_b16 v[0:1], v7 offset:288
	;; [unrolled: 1-line block ×8, first 2 shown]
.LBB331_2177:
	s_wait_xcnt 0x0
	s_or_b32 exec_lo, exec_lo, s2
	s_clause 0x2f
	scratch_load_b32 v127, off, s32
	scratch_load_b32 v126, off, s32 offset:4
	scratch_load_b32 v125, off, s32 offset:8
	scratch_load_b32 v124, off, s32 offset:12
	scratch_load_b32 v123, off, s32 offset:16
	scratch_load_b32 v122, off, s32 offset:20
	scratch_load_b32 v121, off, s32 offset:24
	scratch_load_b32 v120, off, s32 offset:28
	scratch_load_b32 v111, off, s32 offset:32
	scratch_load_b32 v110, off, s32 offset:36
	scratch_load_b32 v109, off, s32 offset:40
	scratch_load_b32 v108, off, s32 offset:44
	scratch_load_b32 v107, off, s32 offset:48
	scratch_load_b32 v106, off, s32 offset:52
	scratch_load_b32 v105, off, s32 offset:56
	scratch_load_b32 v104, off, s32 offset:60
	scratch_load_b32 v95, off, s32 offset:64
	scratch_load_b32 v94, off, s32 offset:68
	scratch_load_b32 v93, off, s32 offset:72
	scratch_load_b32 v92, off, s32 offset:76
	scratch_load_b32 v91, off, s32 offset:80
	scratch_load_b32 v90, off, s32 offset:84
	scratch_load_b32 v89, off, s32 offset:88
	scratch_load_b32 v88, off, s32 offset:92
	scratch_load_b32 v79, off, s32 offset:96
	scratch_load_b32 v78, off, s32 offset:100
	scratch_load_b32 v77, off, s32 offset:104
	scratch_load_b32 v76, off, s32 offset:108
	scratch_load_b32 v75, off, s32 offset:112
	scratch_load_b32 v74, off, s32 offset:116
	scratch_load_b32 v73, off, s32 offset:120
	scratch_load_b32 v72, off, s32 offset:124
	scratch_load_b32 v63, off, s32 offset:128
	scratch_load_b32 v62, off, s32 offset:132
	scratch_load_b32 v61, off, s32 offset:136
	scratch_load_b32 v60, off, s32 offset:140
	scratch_load_b32 v59, off, s32 offset:144
	scratch_load_b32 v58, off, s32 offset:148
	scratch_load_b32 v57, off, s32 offset:152
	scratch_load_b32 v56, off, s32 offset:156
	scratch_load_b32 v47, off, s32 offset:160
	scratch_load_b32 v46, off, s32 offset:164
	scratch_load_b32 v45, off, s32 offset:168
	scratch_load_b32 v44, off, s32 offset:172
	scratch_load_b32 v43, off, s32 offset:176
	scratch_load_b32 v42, off, s32 offset:180
	scratch_load_b32 v41, off, s32 offset:184
	scratch_load_b32 v40, off, s32 offset:188
	s_wait_loadcnt_dscnt 0x0
	s_set_pc_i64 s[30:31]
.LBB331_2178:
	ds_load_b32 v14, v0
	s_wait_dscnt 0x0
	v_add_f32_e32 v18, v14, v18
	s_or_b32 exec_lo, exec_lo, s0
	s_and_saveexec_b32 s0, vcc_lo
	s_cbranch_execz .LBB331_2138
.LBB331_2179:
	ds_load_b32 v14, v0 offset:64
	s_wait_dscnt 0x0
	v_add_f32_e32 v19, v14, v19
	s_or_b32 exec_lo, exec_lo, s0
	s_and_saveexec_b32 s0, vcc_lo
	s_cbranch_execz .LBB331_2139
.LBB331_2180:
	ds_load_b32 v14, v0 offset:128
	s_wait_dscnt 0x0
	v_add_f32_e32 v16, v14, v16
	s_or_b32 exec_lo, exec_lo, s0
	s_and_saveexec_b32 s0, vcc_lo
	s_cbranch_execz .LBB331_2140
.LBB331_2181:
	ds_load_b32 v14, v0 offset:192
	s_wait_dscnt 0x0
	v_add_f32_e32 v17, v14, v17
	s_or_b32 exec_lo, exec_lo, s0
	s_and_saveexec_b32 s0, vcc_lo
	s_cbranch_execz .LBB331_2141
.LBB331_2182:
	ds_load_b32 v14, v0 offset:256
	s_wait_dscnt 0x0
	v_add_f32_e32 v10, v14, v10
	s_or_b32 exec_lo, exec_lo, s0
	s_and_saveexec_b32 s0, vcc_lo
	s_cbranch_execz .LBB331_2142
.LBB331_2183:
	ds_load_b32 v14, v0 offset:320
	s_wait_dscnt 0x0
	v_add_f32_e32 v11, v14, v11
	s_or_b32 exec_lo, exec_lo, s0
	s_and_saveexec_b32 s0, vcc_lo
	s_cbranch_execz .LBB331_2143
.LBB331_2184:
	ds_load_b32 v14, v0 offset:384
	s_wait_dscnt 0x0
	v_add_f32_e32 v8, v14, v8
	s_or_b32 exec_lo, exec_lo, s0
	s_and_saveexec_b32 s0, vcc_lo
	s_cbranch_execz .LBB331_2144
.LBB331_2185:
	ds_load_b32 v14, v0 offset:448
	s_wait_dscnt 0x0
	v_add_f32_e32 v9, v14, v9
	s_or_b32 exec_lo, exec_lo, s0
	s_and_saveexec_b32 s0, vcc_lo
	s_cbranch_execz .LBB331_2145
.LBB331_2186:
	ds_load_b32 v14, v0 offset:512
	s_wait_dscnt 0x0
	v_add_f32_e32 v6, v14, v6
	s_or_b32 exec_lo, exec_lo, s0
	s_and_saveexec_b32 s0, vcc_lo
	s_cbranch_execz .LBB331_2146
.LBB331_2187:
	ds_load_b32 v14, v0 offset:576
	s_wait_dscnt 0x0
	v_add_f32_e32 v7, v14, v7
	s_or_b32 exec_lo, exec_lo, s0
	s_and_saveexec_b32 s0, vcc_lo
	s_cbranch_execz .LBB331_2147
.LBB331_2188:
	ds_load_b32 v14, v0 offset:640
	s_wait_dscnt 0x0
	v_add_f32_e32 v4, v14, v4
	s_or_b32 exec_lo, exec_lo, s0
	s_and_saveexec_b32 s0, vcc_lo
	s_cbranch_execz .LBB331_2148
.LBB331_2189:
	ds_load_b32 v14, v0 offset:704
	s_wait_dscnt 0x0
	v_add_f32_e32 v5, v14, v5
	s_or_b32 exec_lo, exec_lo, s0
	s_and_saveexec_b32 s0, vcc_lo
	s_cbranch_execz .LBB331_2149
.LBB331_2190:
	ds_load_b32 v14, v0 offset:768
	s_wait_dscnt 0x0
	v_add_f32_e32 v2, v14, v2
	s_or_b32 exec_lo, exec_lo, s0
	s_and_saveexec_b32 s0, vcc_lo
	s_cbranch_execz .LBB331_2150
.LBB331_2191:
	ds_load_b32 v14, v0 offset:832
	s_wait_dscnt 0x0
	v_add_f32_e32 v3, v14, v3
	s_or_b32 exec_lo, exec_lo, s0
	s_and_saveexec_b32 s0, vcc_lo
	s_cbranch_execz .LBB331_2151
.LBB331_2192:
	ds_load_b32 v14, v0 offset:896
	s_wait_dscnt 0x0
	v_add_f32_e32 v12, v14, v12
	s_or_b32 exec_lo, exec_lo, s0
	s_and_saveexec_b32 s0, vcc_lo
	s_cbranch_execnz .LBB331_2152
	s_branch .LBB331_2153
.LBB331_2193:
	ds_load_b32 v1, v0
	s_wait_dscnt 0x0
	v_add_f32_e32 v18, v1, v18
	s_or_b32 exec_lo, exec_lo, s0
	s_and_saveexec_b32 s0, vcc_lo
	s_cbranch_execz .LBB331_2159
.LBB331_2194:
	ds_load_b32 v1, v0 offset:64
	s_wait_dscnt 0x0
	v_add_f32_e32 v19, v1, v19
	s_or_b32 exec_lo, exec_lo, s0
	s_and_saveexec_b32 s0, vcc_lo
	s_cbranch_execz .LBB331_2160
.LBB331_2195:
	ds_load_b32 v1, v0 offset:128
	s_wait_dscnt 0x0
	v_add_f32_e32 v16, v1, v16
	s_or_b32 exec_lo, exec_lo, s0
	s_and_saveexec_b32 s0, vcc_lo
	s_cbranch_execz .LBB331_2161
.LBB331_2196:
	ds_load_b32 v1, v0 offset:192
	s_wait_dscnt 0x0
	v_add_f32_e32 v17, v1, v17
	s_or_b32 exec_lo, exec_lo, s0
	s_and_saveexec_b32 s0, vcc_lo
	s_cbranch_execz .LBB331_2162
.LBB331_2197:
	ds_load_b32 v1, v0 offset:256
	s_wait_dscnt 0x0
	v_add_f32_e32 v10, v1, v10
	s_or_b32 exec_lo, exec_lo, s0
	s_and_saveexec_b32 s0, vcc_lo
	s_cbranch_execz .LBB331_2163
.LBB331_2198:
	ds_load_b32 v1, v0 offset:320
	s_wait_dscnt 0x0
	v_add_f32_e32 v11, v1, v11
	s_or_b32 exec_lo, exec_lo, s0
	s_and_saveexec_b32 s0, vcc_lo
	s_cbranch_execz .LBB331_2164
.LBB331_2199:
	ds_load_b32 v1, v0 offset:384
	s_wait_dscnt 0x0
	v_add_f32_e32 v8, v1, v8
	s_or_b32 exec_lo, exec_lo, s0
	s_and_saveexec_b32 s0, vcc_lo
	s_cbranch_execz .LBB331_2165
.LBB331_2200:
	ds_load_b32 v1, v0 offset:448
	s_wait_dscnt 0x0
	v_add_f32_e32 v9, v1, v9
	s_or_b32 exec_lo, exec_lo, s0
	s_and_saveexec_b32 s0, vcc_lo
	s_cbranch_execz .LBB331_2166
.LBB331_2201:
	ds_load_b32 v1, v0 offset:512
	s_wait_dscnt 0x0
	v_add_f32_e32 v6, v1, v6
	s_or_b32 exec_lo, exec_lo, s0
	s_and_saveexec_b32 s0, vcc_lo
	s_cbranch_execz .LBB331_2167
.LBB331_2202:
	ds_load_b32 v1, v0 offset:576
	s_wait_dscnt 0x0
	v_add_f32_e32 v7, v1, v7
	s_or_b32 exec_lo, exec_lo, s0
	s_and_saveexec_b32 s0, vcc_lo
	s_cbranch_execz .LBB331_2168
.LBB331_2203:
	ds_load_b32 v1, v0 offset:640
	s_wait_dscnt 0x0
	v_add_f32_e32 v4, v1, v4
	s_or_b32 exec_lo, exec_lo, s0
	s_and_saveexec_b32 s0, vcc_lo
	s_cbranch_execz .LBB331_2169
.LBB331_2204:
	ds_load_b32 v1, v0 offset:704
	s_wait_dscnt 0x0
	v_add_f32_e32 v5, v1, v5
	s_or_b32 exec_lo, exec_lo, s0
	s_and_saveexec_b32 s0, vcc_lo
	s_cbranch_execz .LBB331_2170
.LBB331_2205:
	ds_load_b32 v1, v0 offset:768
	s_wait_dscnt 0x0
	v_add_f32_e32 v2, v1, v2
	s_or_b32 exec_lo, exec_lo, s0
	s_and_saveexec_b32 s0, vcc_lo
	s_cbranch_execz .LBB331_2171
.LBB331_2206:
	ds_load_b32 v1, v0 offset:832
	s_wait_dscnt 0x0
	v_add_f32_e32 v3, v1, v3
	s_or_b32 exec_lo, exec_lo, s0
	s_and_saveexec_b32 s0, vcc_lo
	s_cbranch_execz .LBB331_2172
.LBB331_2207:
	ds_load_b32 v1, v0 offset:896
	s_wait_dscnt 0x0
	v_add_f32_e32 v12, v1, v12
	s_or_b32 exec_lo, exec_lo, s0
	s_and_saveexec_b32 s0, vcc_lo
	s_cbranch_execnz .LBB331_2173
	s_branch .LBB331_2174
.Lfunc_end331:
	.size	_ZN4vllm22paged_attention_kernelI14__hip_bfloat16hLi256ELi16ELi128ELNS_18Fp8KVCacheDataTypeE1ELb1ELi0EEEvPfS3_PT_PKS4_PKT0_SA_ifPKiSC_iPKfiiiSE_SE_iiiii, .Lfunc_end331-_ZN4vllm22paged_attention_kernelI14__hip_bfloat16hLi256ELi16ELi128ELNS_18Fp8KVCacheDataTypeE1ELb1ELi0EEEvPfS3_PT_PKS4_PKT0_SA_ifPKiSC_iPKfiiiSE_SE_iiiii
                                        ; -- End function
	.set .L_ZN4vllm22paged_attention_kernelI14__hip_bfloat16hLi256ELi16ELi128ELNS_18Fp8KVCacheDataTypeE1ELb1ELi0EEEvPfS3_PT_PKS4_PKT0_SA_ifPKiSC_iPKfiiiSE_SE_iiiii.num_vgpr, 128
	.set .L_ZN4vllm22paged_attention_kernelI14__hip_bfloat16hLi256ELi16ELi128ELNS_18Fp8KVCacheDataTypeE1ELb1ELi0EEEvPfS3_PT_PKS4_PKT0_SA_ifPKiSC_iPKfiiiSE_SE_iiiii.num_agpr, 0
	.set .L_ZN4vllm22paged_attention_kernelI14__hip_bfloat16hLi256ELi16ELi128ELNS_18Fp8KVCacheDataTypeE1ELb1ELi0EEEvPfS3_PT_PKS4_PKT0_SA_ifPKiSC_iPKfiiiSE_SE_iiiii.numbered_sgpr, 33
	.set .L_ZN4vllm22paged_attention_kernelI14__hip_bfloat16hLi256ELi16ELi128ELNS_18Fp8KVCacheDataTypeE1ELb1ELi0EEEvPfS3_PT_PKS4_PKT0_SA_ifPKiSC_iPKfiiiSE_SE_iiiii.num_named_barrier, 0
	.set .L_ZN4vllm22paged_attention_kernelI14__hip_bfloat16hLi256ELi16ELi128ELNS_18Fp8KVCacheDataTypeE1ELb1ELi0EEEvPfS3_PT_PKS4_PKT0_SA_ifPKiSC_iPKfiiiSE_SE_iiiii.private_seg_size, 556
	.set .L_ZN4vllm22paged_attention_kernelI14__hip_bfloat16hLi256ELi16ELi128ELNS_18Fp8KVCacheDataTypeE1ELb1ELi0EEEvPfS3_PT_PKS4_PKT0_SA_ifPKiSC_iPKfiiiSE_SE_iiiii.uses_vcc, 1
	.set .L_ZN4vllm22paged_attention_kernelI14__hip_bfloat16hLi256ELi16ELi128ELNS_18Fp8KVCacheDataTypeE1ELb1ELi0EEEvPfS3_PT_PKS4_PKT0_SA_ifPKiSC_iPKfiiiSE_SE_iiiii.uses_flat_scratch, 1
	.set .L_ZN4vllm22paged_attention_kernelI14__hip_bfloat16hLi256ELi16ELi128ELNS_18Fp8KVCacheDataTypeE1ELb1ELi0EEEvPfS3_PT_PKS4_PKT0_SA_ifPKiSC_iPKfiiiSE_SE_iiiii.has_dyn_sized_stack, 0
	.set .L_ZN4vllm22paged_attention_kernelI14__hip_bfloat16hLi256ELi16ELi128ELNS_18Fp8KVCacheDataTypeE1ELb1ELi0EEEvPfS3_PT_PKS4_PKT0_SA_ifPKiSC_iPKfiiiSE_SE_iiiii.has_recursion, 0
	.set .L_ZN4vllm22paged_attention_kernelI14__hip_bfloat16hLi256ELi16ELi128ELNS_18Fp8KVCacheDataTypeE1ELb1ELi0EEEvPfS3_PT_PKS4_PKT0_SA_ifPKiSC_iPKfiiiSE_SE_iiiii.has_indirect_call, 0
	.section	.AMDGPU.csdata,"",@progbits
; Function info:
; codeLenInByte = 80560
; TotalNumSgprs: 35
; NumVgprs: 128
; ScratchSize: 556
; MemoryBound: 0
	.section	.text._ZN4vllm25paged_attention_v1_kernelI14__hip_bfloat16hLi256ELi16ELi128ELNS_18Fp8KVCacheDataTypeE1ELb1EEEvPT_PKS3_PKT0_S9_ifPKiSB_iPKfiiiSD_SD_iiiii,"axG",@progbits,_ZN4vllm25paged_attention_v1_kernelI14__hip_bfloat16hLi256ELi16ELi128ELNS_18Fp8KVCacheDataTypeE1ELb1EEEvPT_PKS3_PKT0_S9_ifPKiSB_iPKfiiiSD_SD_iiiii,comdat
	.protected	_ZN4vllm25paged_attention_v1_kernelI14__hip_bfloat16hLi256ELi16ELi128ELNS_18Fp8KVCacheDataTypeE1ELb1EEEvPT_PKS3_PKT0_S9_ifPKiSB_iPKfiiiSD_SD_iiiii ; -- Begin function _ZN4vllm25paged_attention_v1_kernelI14__hip_bfloat16hLi256ELi16ELi128ELNS_18Fp8KVCacheDataTypeE1ELb1EEEvPT_PKS3_PKT0_S9_ifPKiSB_iPKfiiiSD_SD_iiiii
	.globl	_ZN4vllm25paged_attention_v1_kernelI14__hip_bfloat16hLi256ELi16ELi128ELNS_18Fp8KVCacheDataTypeE1ELb1EEEvPT_PKS3_PKT0_S9_ifPKiSB_iPKfiiiSD_SD_iiiii
	.p2align	8
	.type	_ZN4vllm25paged_attention_v1_kernelI14__hip_bfloat16hLi256ELi16ELi128ELNS_18Fp8KVCacheDataTypeE1ELb1EEEvPT_PKS3_PKT0_S9_ifPKiSB_iPKfiiiSD_SD_iiiii,@function
_ZN4vllm25paged_attention_v1_kernelI14__hip_bfloat16hLi256ELi16ELi128ELNS_18Fp8KVCacheDataTypeE1ELb1EEEvPT_PKS3_PKT0_S9_ifPKiSB_iPKfiiiSD_SD_iiiii: ; @_ZN4vllm25paged_attention_v1_kernelI14__hip_bfloat16hLi256ELi16ELi128ELNS_18Fp8KVCacheDataTypeE1ELb1EEEvPT_PKS3_PKT0_S9_ifPKiSB_iPKfiiiSD_SD_iiiii
; %bb.0:
	s_clause 0x6
	s_load_b256 s[12:19], s[0:1], 0x0
	s_load_b128 s[4:7], s[0:1], 0x20
	s_load_b96 s[28:30], s[0:1], 0x30
	s_load_b64 s[10:11], s[0:1], 0x40
	s_load_b96 s[36:38], s[0:1], 0x48
	s_load_b256 s[20:27], s[0:1], 0x58
	s_load_b32 s31, s[0:1], 0x78
	v_mov_b32_e32 v31, v0
	s_get_pc_i64 s[2:3]
	s_add_nc_u64 s[2:3], s[2:3], _ZN4vllm22paged_attention_kernelI14__hip_bfloat16hLi256ELi16ELi128ELNS_18Fp8KVCacheDataTypeE1ELb1ELi0EEEvPfS3_PT_PKS4_PKT0_SA_ifPKiSC_iPKfiiiSE_SE_iiiii@rel64+4
	s_add_nc_u64 s[8:9], s[0:1], 0x80
	s_mov_b32 s32, 0
	s_wait_kmcnt 0x0
	v_dual_mov_b32 v15, s10 :: v_dual_mov_b32 v16, s11
	v_dual_mov_b32 v0, s12 :: v_dual_mov_b32 v1, s13
	v_dual_mov_b32 v2, s14 :: v_dual_mov_b32 v3, s15
	v_dual_mov_b32 v4, s16 :: v_dual_mov_b32 v5, s17
	v_dual_mov_b32 v6, s18 :: v_dual_mov_b32 v7, s19
	v_dual_mov_b32 v8, s4 :: v_dual_mov_b32 v9, s5
	v_dual_mov_b32 v10, s6 :: v_dual_mov_b32 v11, s7
	v_dual_mov_b32 v12, s28 :: v_dual_mov_b32 v13, s29
	v_dual_mov_b32 v14, s30 :: v_dual_mov_b32 v17, s36
	v_dual_mov_b32 v18, s37 :: v_dual_mov_b32 v19, s38
	v_dual_mov_b32 v20, s20 :: v_dual_mov_b32 v21, s21
	v_dual_mov_b32 v22, s22 :: v_dual_mov_b32 v23, s23
	v_dual_mov_b32 v24, s24 :: v_dual_mov_b32 v25, s25
	v_dual_mov_b32 v26, s26 :: v_dual_mov_b32 v27, s27
	v_mov_b32_e32 v28, s31
	s_mov_b32 s15, 11
	s_swap_pc_i64 s[30:31], s[2:3]
	s_endpgm
	.section	.rodata,"a",@progbits
	.p2align	6, 0x0
	.amdhsa_kernel _ZN4vllm25paged_attention_v1_kernelI14__hip_bfloat16hLi256ELi16ELi128ELNS_18Fp8KVCacheDataTypeE1ELb1EEEvPT_PKS3_PKT0_S9_ifPKiSB_iPKfiiiSD_SD_iiiii
		.amdhsa_group_segment_fixed_size 544
		.amdhsa_private_segment_fixed_size 556
		.amdhsa_kernarg_size 384
		.amdhsa_user_sgpr_count 2
		.amdhsa_user_sgpr_dispatch_ptr 0
		.amdhsa_user_sgpr_queue_ptr 0
		.amdhsa_user_sgpr_kernarg_segment_ptr 1
		.amdhsa_user_sgpr_dispatch_id 0
		.amdhsa_user_sgpr_kernarg_preload_length 0
		.amdhsa_user_sgpr_kernarg_preload_offset 0
		.amdhsa_user_sgpr_private_segment_size 0
		.amdhsa_wavefront_size32 1
		.amdhsa_uses_dynamic_stack 0
		.amdhsa_enable_private_segment 1
		.amdhsa_system_sgpr_workgroup_id_x 1
		.amdhsa_system_sgpr_workgroup_id_y 1
		.amdhsa_system_sgpr_workgroup_id_z 1
		.amdhsa_system_sgpr_workgroup_info 0
		.amdhsa_system_vgpr_workitem_id 0
		.amdhsa_next_free_vgpr 128
		.amdhsa_next_free_sgpr 39
		.amdhsa_named_barrier_count 0
		.amdhsa_reserve_vcc 1
		.amdhsa_float_round_mode_32 0
		.amdhsa_float_round_mode_16_64 0
		.amdhsa_float_denorm_mode_32 3
		.amdhsa_float_denorm_mode_16_64 3
		.amdhsa_fp16_overflow 0
		.amdhsa_memory_ordered 1
		.amdhsa_forward_progress 1
		.amdhsa_inst_pref_size 2
		.amdhsa_round_robin_scheduling 0
		.amdhsa_exception_fp_ieee_invalid_op 0
		.amdhsa_exception_fp_denorm_src 0
		.amdhsa_exception_fp_ieee_div_zero 0
		.amdhsa_exception_fp_ieee_overflow 0
		.amdhsa_exception_fp_ieee_underflow 0
		.amdhsa_exception_fp_ieee_inexact 0
		.amdhsa_exception_int_div_zero 0
	.end_amdhsa_kernel
	.section	.text._ZN4vllm25paged_attention_v1_kernelI14__hip_bfloat16hLi256ELi16ELi128ELNS_18Fp8KVCacheDataTypeE1ELb1EEEvPT_PKS3_PKT0_S9_ifPKiSB_iPKfiiiSD_SD_iiiii,"axG",@progbits,_ZN4vllm25paged_attention_v1_kernelI14__hip_bfloat16hLi256ELi16ELi128ELNS_18Fp8KVCacheDataTypeE1ELb1EEEvPT_PKS3_PKT0_S9_ifPKiSB_iPKfiiiSD_SD_iiiii,comdat
.Lfunc_end332:
	.size	_ZN4vllm25paged_attention_v1_kernelI14__hip_bfloat16hLi256ELi16ELi128ELNS_18Fp8KVCacheDataTypeE1ELb1EEEvPT_PKS3_PKT0_S9_ifPKiSB_iPKfiiiSD_SD_iiiii, .Lfunc_end332-_ZN4vllm25paged_attention_v1_kernelI14__hip_bfloat16hLi256ELi16ELi128ELNS_18Fp8KVCacheDataTypeE1ELb1EEEvPT_PKS3_PKT0_S9_ifPKiSB_iPKfiiiSD_SD_iiiii
                                        ; -- End function
	.set _ZN4vllm25paged_attention_v1_kernelI14__hip_bfloat16hLi256ELi16ELi128ELNS_18Fp8KVCacheDataTypeE1ELb1EEEvPT_PKS3_PKT0_S9_ifPKiSB_iPKfiiiSD_SD_iiiii.num_vgpr, max(32, .L_ZN4vllm22paged_attention_kernelI14__hip_bfloat16hLi256ELi16ELi128ELNS_18Fp8KVCacheDataTypeE1ELb1ELi0EEEvPfS3_PT_PKS4_PKT0_SA_ifPKiSC_iPKfiiiSE_SE_iiiii.num_vgpr)
	.set _ZN4vllm25paged_attention_v1_kernelI14__hip_bfloat16hLi256ELi16ELi128ELNS_18Fp8KVCacheDataTypeE1ELb1EEEvPT_PKS3_PKT0_S9_ifPKiSB_iPKfiiiSD_SD_iiiii.num_agpr, max(0, .L_ZN4vllm22paged_attention_kernelI14__hip_bfloat16hLi256ELi16ELi128ELNS_18Fp8KVCacheDataTypeE1ELb1ELi0EEEvPfS3_PT_PKS4_PKT0_SA_ifPKiSC_iPKfiiiSE_SE_iiiii.num_agpr)
	.set _ZN4vllm25paged_attention_v1_kernelI14__hip_bfloat16hLi256ELi16ELi128ELNS_18Fp8KVCacheDataTypeE1ELb1EEEvPT_PKS3_PKT0_S9_ifPKiSB_iPKfiiiSD_SD_iiiii.numbered_sgpr, max(39, .L_ZN4vllm22paged_attention_kernelI14__hip_bfloat16hLi256ELi16ELi128ELNS_18Fp8KVCacheDataTypeE1ELb1ELi0EEEvPfS3_PT_PKS4_PKT0_SA_ifPKiSC_iPKfiiiSE_SE_iiiii.numbered_sgpr)
	.set _ZN4vllm25paged_attention_v1_kernelI14__hip_bfloat16hLi256ELi16ELi128ELNS_18Fp8KVCacheDataTypeE1ELb1EEEvPT_PKS3_PKT0_S9_ifPKiSB_iPKfiiiSD_SD_iiiii.num_named_barrier, max(0, .L_ZN4vllm22paged_attention_kernelI14__hip_bfloat16hLi256ELi16ELi128ELNS_18Fp8KVCacheDataTypeE1ELb1ELi0EEEvPfS3_PT_PKS4_PKT0_SA_ifPKiSC_iPKfiiiSE_SE_iiiii.num_named_barrier)
	.set _ZN4vllm25paged_attention_v1_kernelI14__hip_bfloat16hLi256ELi16ELi128ELNS_18Fp8KVCacheDataTypeE1ELb1EEEvPT_PKS3_PKT0_S9_ifPKiSB_iPKfiiiSD_SD_iiiii.private_seg_size, 0+max(.L_ZN4vllm22paged_attention_kernelI14__hip_bfloat16hLi256ELi16ELi128ELNS_18Fp8KVCacheDataTypeE1ELb1ELi0EEEvPfS3_PT_PKS4_PKT0_SA_ifPKiSC_iPKfiiiSE_SE_iiiii.private_seg_size)
	.set _ZN4vllm25paged_attention_v1_kernelI14__hip_bfloat16hLi256ELi16ELi128ELNS_18Fp8KVCacheDataTypeE1ELb1EEEvPT_PKS3_PKT0_S9_ifPKiSB_iPKfiiiSD_SD_iiiii.uses_vcc, or(1, .L_ZN4vllm22paged_attention_kernelI14__hip_bfloat16hLi256ELi16ELi128ELNS_18Fp8KVCacheDataTypeE1ELb1ELi0EEEvPfS3_PT_PKS4_PKT0_SA_ifPKiSC_iPKfiiiSE_SE_iiiii.uses_vcc)
	.set _ZN4vllm25paged_attention_v1_kernelI14__hip_bfloat16hLi256ELi16ELi128ELNS_18Fp8KVCacheDataTypeE1ELb1EEEvPT_PKS3_PKT0_S9_ifPKiSB_iPKfiiiSD_SD_iiiii.uses_flat_scratch, or(0, .L_ZN4vllm22paged_attention_kernelI14__hip_bfloat16hLi256ELi16ELi128ELNS_18Fp8KVCacheDataTypeE1ELb1ELi0EEEvPfS3_PT_PKS4_PKT0_SA_ifPKiSC_iPKfiiiSE_SE_iiiii.uses_flat_scratch)
	.set _ZN4vllm25paged_attention_v1_kernelI14__hip_bfloat16hLi256ELi16ELi128ELNS_18Fp8KVCacheDataTypeE1ELb1EEEvPT_PKS3_PKT0_S9_ifPKiSB_iPKfiiiSD_SD_iiiii.has_dyn_sized_stack, or(0, .L_ZN4vllm22paged_attention_kernelI14__hip_bfloat16hLi256ELi16ELi128ELNS_18Fp8KVCacheDataTypeE1ELb1ELi0EEEvPfS3_PT_PKS4_PKT0_SA_ifPKiSC_iPKfiiiSE_SE_iiiii.has_dyn_sized_stack)
	.set _ZN4vllm25paged_attention_v1_kernelI14__hip_bfloat16hLi256ELi16ELi128ELNS_18Fp8KVCacheDataTypeE1ELb1EEEvPT_PKS3_PKT0_S9_ifPKiSB_iPKfiiiSD_SD_iiiii.has_recursion, or(0, .L_ZN4vllm22paged_attention_kernelI14__hip_bfloat16hLi256ELi16ELi128ELNS_18Fp8KVCacheDataTypeE1ELb1ELi0EEEvPfS3_PT_PKS4_PKT0_SA_ifPKiSC_iPKfiiiSE_SE_iiiii.has_recursion)
	.set _ZN4vllm25paged_attention_v1_kernelI14__hip_bfloat16hLi256ELi16ELi128ELNS_18Fp8KVCacheDataTypeE1ELb1EEEvPT_PKS3_PKT0_S9_ifPKiSB_iPKfiiiSD_SD_iiiii.has_indirect_call, or(0, .L_ZN4vllm22paged_attention_kernelI14__hip_bfloat16hLi256ELi16ELi128ELNS_18Fp8KVCacheDataTypeE1ELb1ELi0EEEvPfS3_PT_PKS4_PKT0_SA_ifPKiSC_iPKfiiiSE_SE_iiiii.has_indirect_call)
	.section	.AMDGPU.csdata,"",@progbits
; Kernel info:
; codeLenInByte = 224
; TotalNumSgprs: 41
; NumVgprs: 128
; ScratchSize: 556
; MemoryBound: 0
; FloatMode: 240
; IeeeMode: 1
; LDSByteSize: 544 bytes/workgroup (compile time only)
; SGPRBlocks: 0
; VGPRBlocks: 7
; NumSGPRsForWavesPerEU: 41
; NumVGPRsForWavesPerEU: 128
; NamedBarCnt: 0
; Occupancy: 8
; WaveLimiterHint : 1
; COMPUTE_PGM_RSRC2:SCRATCH_EN: 1
; COMPUTE_PGM_RSRC2:USER_SGPR: 2
; COMPUTE_PGM_RSRC2:TRAP_HANDLER: 0
; COMPUTE_PGM_RSRC2:TGID_X_EN: 1
; COMPUTE_PGM_RSRC2:TGID_Y_EN: 1
; COMPUTE_PGM_RSRC2:TGID_Z_EN: 1
; COMPUTE_PGM_RSRC2:TIDIG_COMP_CNT: 0
	.section	.text._ZN4vllm25paged_attention_v1_kernelI14__hip_bfloat16hLi32ELi16ELi128ELNS_18Fp8KVCacheDataTypeE1ELb0EEEvPT_PKS3_PKT0_S9_ifPKiSB_iPKfiiiSD_SD_iiiii,"axG",@progbits,_ZN4vllm25paged_attention_v1_kernelI14__hip_bfloat16hLi32ELi16ELi128ELNS_18Fp8KVCacheDataTypeE1ELb0EEEvPT_PKS3_PKT0_S9_ifPKiSB_iPKfiiiSD_SD_iiiii,comdat
	.protected	_ZN4vllm25paged_attention_v1_kernelI14__hip_bfloat16hLi32ELi16ELi128ELNS_18Fp8KVCacheDataTypeE1ELb0EEEvPT_PKS3_PKT0_S9_ifPKiSB_iPKfiiiSD_SD_iiiii ; -- Begin function _ZN4vllm25paged_attention_v1_kernelI14__hip_bfloat16hLi32ELi16ELi128ELNS_18Fp8KVCacheDataTypeE1ELb0EEEvPT_PKS3_PKT0_S9_ifPKiSB_iPKfiiiSD_SD_iiiii
	.globl	_ZN4vllm25paged_attention_v1_kernelI14__hip_bfloat16hLi32ELi16ELi128ELNS_18Fp8KVCacheDataTypeE1ELb0EEEvPT_PKS3_PKT0_S9_ifPKiSB_iPKfiiiSD_SD_iiiii
	.p2align	8
	.type	_ZN4vllm25paged_attention_v1_kernelI14__hip_bfloat16hLi32ELi16ELi128ELNS_18Fp8KVCacheDataTypeE1ELb0EEEvPT_PKS3_PKT0_S9_ifPKiSB_iPKfiiiSD_SD_iiiii,@function
_ZN4vllm25paged_attention_v1_kernelI14__hip_bfloat16hLi32ELi16ELi128ELNS_18Fp8KVCacheDataTypeE1ELb0EEEvPT_PKS3_PKT0_S9_ifPKiSB_iPKfiiiSD_SD_iiiii: ; @_ZN4vllm25paged_attention_v1_kernelI14__hip_bfloat16hLi32ELi16ELi128ELNS_18Fp8KVCacheDataTypeE1ELb0EEEvPT_PKS3_PKT0_S9_ifPKiSB_iPKfiiiSD_SD_iiiii
; %bb.0:
	s_load_b64 s[18:19], s[0:1], 0x20
	s_bfe_u32 s3, ttmp6, 0x4000c
	s_bfe_u32 s5, ttmp6, 0x40010
	s_and_b32 s4, ttmp7, 0xffff
	s_add_co_i32 s3, s3, 1
	s_add_co_i32 s5, s5, 1
	s_and_b32 s2, ttmp6, 15
	s_bfe_u32 s6, ttmp6, 0x40004
	s_mul_i32 s3, ttmp9, s3
	s_mul_i32 s5, s4, s5
	s_getreg_b32 s20, hwreg(HW_REG_IB_STS2, 6, 4)
	s_add_co_i32 s2, s2, s3
	s_add_co_i32 s3, s6, s5
	s_cmp_eq_u32 s20, 0
	s_clause 0x1
	s_load_b32 s21, s[0:1], 0x80
	s_load_b64 s[6:7], s[0:1], 0x30
	s_cselect_b32 s22, s4, s3
	s_cselect_b32 s4, ttmp9, s2
	s_wait_kmcnt 0x0
	s_abs_i32 s2, s18
	s_delay_alu instid0(SALU_CYCLE_1) | instskip(SKIP_1) | instid1(SALU_CYCLE_2)
	s_cvt_f32_u32 s3, s2
	s_sub_co_i32 s5, 0, s2
	v_rcp_iflag_f32_e32 v1, s3
	s_abs_i32 s8, s21
	v_nop
	s_delay_alu instid0(TRANS32_DEP_1) | instskip(SKIP_1) | instid1(SALU_CYCLE_3)
	v_readfirstlane_b32 s3, v1
	s_mul_f32 s3, s3, 0x4f7ffffe
	s_cvt_u32_f32 s3, s3
	s_delay_alu instid0(SALU_CYCLE_3) | instskip(NEXT) | instid1(SALU_CYCLE_1)
	s_mul_i32 s5, s5, s3
	s_mul_hi_u32 s5, s3, s5
	s_delay_alu instid0(SALU_CYCLE_1) | instskip(SKIP_4) | instid1(SALU_CYCLE_1)
	s_add_co_i32 s3, s3, s5
	s_xor_b32 s5, s21, s18
	s_mul_hi_u32 s3, s8, s3
	s_ashr_i32 s5, s5, 31
	s_mul_i32 s9, s3, s2
	s_sub_co_i32 s8, s8, s9
	s_add_co_i32 s9, s3, 1
	s_sub_co_i32 s10, s8, s2
	s_cmp_ge_u32 s8, s2
	s_cselect_b32 s3, s9, s3
	s_cselect_b32 s8, s10, s8
	s_add_co_i32 s9, s3, 1
	s_cmp_ge_u32 s8, s2
	s_cselect_b32 s2, s9, s3
	s_load_b64 s[8:9], s[0:1], 0x40
	s_xor_b32 s2, s2, s5
	s_mov_b32 s3, 0
	s_sub_co_i32 s14, s2, s5
	s_mov_b32 s13, s3
	s_abs_i32 s11, s14
	s_mov_b32 s18, s3
	s_cvt_f32_u32 s2, s11
	s_delay_alu instid0(SALU_CYCLE_3) | instskip(SKIP_1) | instid1(TRANS32_DEP_1)
	v_rcp_iflag_f32_e32 v1, s2
	v_nop
	v_readfirstlane_b32 s2, v1
	s_mul_f32 s2, s2, 0x4f7ffffe
	s_delay_alu instid0(SALU_CYCLE_3) | instskip(SKIP_1) | instid1(SALU_CYCLE_2)
	s_cvt_u32_f32 s5, s2
	s_sub_co_i32 s2, 0, s11
	s_mul_i32 s2, s2, s5
	s_delay_alu instid0(SALU_CYCLE_1)
	s_mul_hi_u32 s10, s5, s2
	s_abs_i32 s2, s4
	s_add_co_i32 s12, s5, s10
	s_wait_kmcnt 0x0
	s_cmp_eq_u64 s[8:9], 0
	s_cbranch_scc1 .LBB333_2
; %bb.1:
	s_ashr_i32 s5, s4, 31
	s_delay_alu instid0(SALU_CYCLE_1) | instskip(NEXT) | instid1(SALU_CYCLE_1)
	s_lshl_b64 s[16:17], s[4:5], 2
	s_add_nc_u64 s[8:9], s[8:9], s[16:17]
	s_load_b32 s18, s[8:9], 0x0
.LBB333_2:
	s_load_b32 s23, s[6:7], s22 offset:0x0 scale_offset
	s_wait_xcnt 0x0
	s_load_b96 s[8:10], s[0:1], 0x48
	v_dual_lshrrev_b32 v1, 1, v0 :: v_dual_bitop2_b32 v24, 1, v0 bitop3:0x40
	s_ashr_i32 s5, s4, 31
	s_ashr_i32 s14, s14, 31
	s_mul_u64 s[6:7], s[2:3], s[12:13]
	s_lshl_b32 s12, s4, 5
	s_mov_b32 s3, exec_lo
	v_cmpx_gt_u32_e32 8, v0
	s_cbranch_execz .LBB333_4
; %bb.3:
	s_load_b64 s[16:17], s[0:1], 0x8
	s_wait_kmcnt 0x0
	s_mul_i32 s24, s8, s22
	s_ashr_i32 s13, s12, 31
	s_ashr_i32 s25, s24, 31
	v_lshlrev_b32_e32 v4, 3, v1
	s_lshl_b64 s[24:25], s[24:25], 1
	s_delay_alu instid0(VALU_DEP_1) | instskip(SKIP_2) | instid1(SALU_CYCLE_1)
	v_lshl_add_u32 v4, v24, 5, v4
	s_add_nc_u64 s[16:17], s[16:17], s[24:25]
	s_lshl_b64 s[24:25], s[12:13], 1
	s_add_nc_u64 s[16:17], s[16:17], s[24:25]
	global_load_b64 v[2:3], v0, s[16:17] scale_offset
	s_wait_loadcnt 0x0
	ds_store_b64 v4, v[2:3]
.LBB333_4:
	s_or_b32 exec_lo, exec_lo, s3
	s_wait_kmcnt 0x0
	s_add_co_i32 s3, s23, 15
	s_load_b32 s4, s[0:1], 0x38
	s_ashr_i32 s6, s3, 31
	s_mul_i32 s8, s7, s11
	s_lshr_b32 s6, s6, 28
	s_sub_co_i32 s2, s2, s8
	s_add_co_i32 s3, s3, s6
	s_xor_b32 s5, s5, s14
	s_ashr_i32 s13, s3, 4
	s_add_co_i32 s3, s7, 1
	s_sub_co_i32 s6, s2, s11
	s_cmp_ge_u32 s2, s11
	v_lshrrev_b32_e32 v25, 5, v0
	s_cselect_b32 s3, s3, s7
	s_cselect_b32 s2, s6, s2
	s_add_co_i32 s6, s3, 1
	s_cmp_ge_u32 s2, s11
	v_mbcnt_lo_u32_b32 v10, -1, 0
	s_cselect_b32 s2, s6, s3
	s_wait_dscnt 0x0
	s_xor_b32 s2, s2, s5
	s_wait_kmcnt 0x0
	s_mul_i32 s14, s4, s22
	s_sub_co_i32 s3, s2, s5
	v_cmp_gt_i32_e64 s2, s13, v25
	s_ashr_i32 s15, s14, 31
	s_mov_b32 s4, exec_lo
	s_barrier_signal -1
	s_barrier_wait -1
                                        ; implicit-def: $vgpr3
                                        ; implicit-def: $vgpr11
	v_cmpx_le_i32_e64 s13, v25
	s_xor_b32 s4, exec_lo, s4
; %bb.5:
	v_dual_mov_b32 v3, 0 :: v_dual_mov_b32 v11, 32
	v_mbcnt_lo_u32_b32 v10, -1, 0
; %bb.6:
	s_or_saveexec_b32 s24, s4
	s_clause 0x2
	s_load_b32 s8, s[0:1], 0x88
	s_load_b64 s[16:17], s[0:1], 0x28
	s_load_b128 s[4:7], s[0:1], 0x58
	v_dual_mov_b32 v21, 0xff7fffff :: v_dual_lshrrev_b32 v16, 3, v0
	s_mul_i32 s10, s3, s10
	s_xor_b32 exec_lo, exec_lo, s24
	s_cbranch_execz .LBB333_140
; %bb.7:
	v_dual_mov_b32 v3, 0 :: v_dual_lshlrev_b32 v2, 5, v24
	s_load_b64 s[26:27], s[0:1], 0x10
	v_bfe_u32 v21, v0, 1, 4
	s_ashr_i32 s11, s10, 31
	ds_load_b128 v[4:7], v2
	ds_load_b128 v[28:31], v2 offset:16
	v_dual_lshlrev_b32 v2, 4, v21 :: v_dual_bitop2_b32 v11, 1, v10 bitop3:0x14
	s_wait_kmcnt 0x0
	s_load_b32 s5, s[4:5], 0x0
	s_cmp_neq_f32 s18, 0
	v_lshl_or_b32 v33, v25, 4, v21
	v_cmp_gt_i32_e32 vcc_lo, 32, v11
	s_mov_b32 s25, s9
	s_cselect_b32 s3, -1, 0
	v_mov_b32_e32 v35, v25
	s_add_nc_u64 s[26:27], s[26:27], s[10:11]
	s_mov_b32 s11, 0
	v_add_nc_u64_e32 v[8:9], s[26:27], v[2:3]
	s_wait_dscnt 0x1
	v_dual_lshlrev_b32 v2, 2, v24 :: v_dual_lshlrev_b32 v14, 16, v5
	v_dual_lshlrev_b32 v12, 16, v4 :: v_dual_lshlrev_b32 v17, 16, v6
	v_and_b32_e32 v13, 0xffff0000, v4
	v_and_b32_e32 v18, 0xffff0000, v6
	v_dual_cndmask_b32 v4, v10, v11, vcc_lo :: v_dual_lshlrev_b32 v6, 2, v21
	v_and_b32_e32 v15, 0xffff0000, v5
	s_lshl_b64 s[26:27], s[14:15], 2
	s_wait_dscnt 0x0
	v_dual_lshlrev_b32 v19, 16, v7 :: v_dual_lshlrev_b32 v22, 16, v28
	v_dual_mov_b32 v21, 0xff7fffff :: v_dual_lshlrev_b32 v32, 2, v4
	v_add_nc_u64_e32 v[4:5], v[8:9], v[2:3]
	v_lshl_or_b32 v6, v25, 6, v6
	v_and_b32_e32 v2, 0x7c, v16
	s_add_nc_u64 s[26:27], s[16:17], s[26:27]
	v_and_b32_e32 v20, 0xffff0000, v7
	v_and_b32_e32 v23, 0xffff0000, v28
	v_add_nc_u32_e32 v34, 0x60, v6
	v_add_nc_u64_e32 v[6:7], s[26:27], v[2:3]
	v_dual_lshlrev_b32 v26, 16, v29 :: v_dual_lshlrev_b32 v28, 16, v30
	v_and_b32_e32 v27, 0xffff0000, v29
	v_and_b32_e32 v29, 0xffff0000, v30
	v_dual_mov_b32 v11, 32 :: v_dual_lshlrev_b32 v30, 16, v31
	v_and_b32_e32 v31, 0xffff0000, v31
	s_sub_co_i32 s26, 1, s23
	v_cmp_eq_u32_e32 vcc_lo, 0, v24
	s_branch .LBB333_9
.LBB333_8:                              ;   in Loop: Header=BB333_9 Depth=1
	s_or_b32 exec_lo, exec_lo, s27
	v_dual_add_nc_u32 v35, 4, v35 :: v_dual_add_nc_u32 v33, 64, v33
	v_add_nc_u64_e32 v[6:7], 16, v[6:7]
	v_add_nc_u32_e32 v34, 0x100, v34
	s_delay_alu instid0(VALU_DEP_3) | instskip(SKIP_1) | instid1(SALU_CYCLE_1)
	v_cmp_le_i32_e64 s4, s13, v35
	s_or_b32 s11, s4, s11
	s_and_not1_b32 exec_lo, exec_lo, s11
	s_cbranch_execz .LBB333_139
.LBB333_9:                              ; =>This Inner Loop Header: Depth=1
	global_load_b32 v2, v[6:7], off
	v_dual_mov_b32 v37, 0 :: v_dual_mov_b32 v36, 0
	s_mov_b32 s27, exec_lo
	s_wait_loadcnt_dscnt 0x0
	v_mad_nc_i64_i32 v[8:9], v2, s25, v[4:5]
	global_load_b32 v40, v[8:9], off
	s_wait_loadcnt 0x0
	v_and_b32_e32 v2, 0xff, v40
	s_wait_xcnt 0x0
	s_delay_alu instid0(VALU_DEP_1)
	v_cmpx_ne_u16_e32 0, v2
	s_cbranch_execz .LBB333_17
; %bb.10:                               ;   in Loop: Header=BB333_9 Depth=1
	v_bfrev_b32_e32 v36, 1
	s_mov_b32 s28, exec_lo
	v_cmpx_ne_u16_e32 0x80, v2
	s_cbranch_execz .LBB333_16
; %bb.11:                               ;   in Loop: Header=BB333_9 Depth=1
	v_and_b32_e32 v38, 0x7f, v40
	v_mov_b32_e32 v36, 0x7f800001
	s_mov_b32 s29, exec_lo
	s_delay_alu instid0(VALU_DEP_2)
	v_cmpx_ne_u32_e32 0x7f, v38
	s_cbranch_execz .LBB333_15
; %bb.12:                               ;   in Loop: Header=BB333_9 Depth=1
	v_dual_lshrrev_b32 v36, 3, v38 :: v_dual_bitop2_b32 v2, 7, v40 bitop3:0x40
	s_mov_b32 s30, exec_lo
	v_cmpx_gt_u32_e32 8, v38
; %bb.13:                               ;   in Loop: Header=BB333_9 Depth=1
	s_delay_alu instid0(VALU_DEP_2) | instskip(NEXT) | instid1(VALU_DEP_1)
	v_clz_i32_u32_e32 v36, v2
	v_min_u32_e32 v36, 32, v36
	s_delay_alu instid0(VALU_DEP_1) | instskip(NEXT) | instid1(VALU_DEP_1)
	v_subrev_nc_u32_e32 v38, 28, v36
	v_lshlrev_b64_e32 v[38:39], v38, v[2:3]
	s_delay_alu instid0(VALU_DEP_1)
	v_dual_sub_nc_u32 v36, 29, v36 :: v_dual_bitop2_b32 v2, 7, v38 bitop3:0x40
; %bb.14:                               ;   in Loop: Header=BB333_9 Depth=1
	s_or_b32 exec_lo, exec_lo, s30
	s_delay_alu instid0(VALU_DEP_1) | instskip(NEXT) | instid1(VALU_DEP_2)
	v_dual_lshlrev_b32 v38, 24, v40 :: v_dual_lshlrev_b32 v2, 20, v2
	v_lshl_add_u32 v36, v36, 23, 0x3c000000
	s_delay_alu instid0(VALU_DEP_2) | instskip(NEXT) | instid1(VALU_DEP_1)
	v_and_b32_e32 v38, 0x80000000, v38
	v_or3_b32 v36, v2, v38, v36
.LBB333_15:                             ;   in Loop: Header=BB333_9 Depth=1
	s_or_b32 exec_lo, exec_lo, s29
.LBB333_16:                             ;   in Loop: Header=BB333_9 Depth=1
	s_delay_alu instid0(SALU_CYCLE_1)
	s_or_b32 exec_lo, exec_lo, s28
.LBB333_17:                             ;   in Loop: Header=BB333_9 Depth=1
	s_delay_alu instid0(SALU_CYCLE_1) | instskip(SKIP_2) | instid1(VALU_DEP_1)
	s_or_b32 exec_lo, exec_lo, s27
	v_lshrrev_b16 v2, 8, v40
	s_mov_b32 s27, exec_lo
	v_cmpx_ne_u16_e32 0, v2
	s_cbranch_execz .LBB333_25
; %bb.18:                               ;   in Loop: Header=BB333_9 Depth=1
	v_bfrev_b32_e32 v37, 1
	s_mov_b32 s28, exec_lo
	v_cmpx_ne_u16_e32 0x80, v2
	s_cbranch_execz .LBB333_24
; %bb.19:                               ;   in Loop: Header=BB333_9 Depth=1
	v_and_b32_e32 v2, 0xffff, v2
	v_mov_b32_e32 v37, 0x7f800001
	s_mov_b32 s29, exec_lo
	s_delay_alu instid0(VALU_DEP_2) | instskip(NEXT) | instid1(VALU_DEP_1)
	v_and_b32_e32 v38, 0x7f, v2
	v_cmpx_ne_u32_e32 0x7f, v38
	s_cbranch_execz .LBB333_23
; %bb.20:                               ;   in Loop: Header=BB333_9 Depth=1
	v_and_b32_e32 v2, 7, v2
	v_lshrrev_b32_e32 v37, 3, v38
	s_mov_b32 s30, exec_lo
	v_cmpx_gt_u32_e32 8, v38
; %bb.21:                               ;   in Loop: Header=BB333_9 Depth=1
	s_delay_alu instid0(VALU_DEP_3) | instskip(NEXT) | instid1(VALU_DEP_1)
	v_clz_i32_u32_e32 v37, v2
	v_min_u32_e32 v37, 32, v37
	s_delay_alu instid0(VALU_DEP_1) | instskip(NEXT) | instid1(VALU_DEP_1)
	v_subrev_nc_u32_e32 v38, 28, v37
	v_lshlrev_b64_e32 v[38:39], v38, v[2:3]
	s_delay_alu instid0(VALU_DEP_1)
	v_dual_sub_nc_u32 v37, 29, v37 :: v_dual_bitop2_b32 v2, 7, v38 bitop3:0x40
; %bb.22:                               ;   in Loop: Header=BB333_9 Depth=1
	s_or_b32 exec_lo, exec_lo, s30
	s_delay_alu instid0(VALU_DEP_1) | instskip(NEXT) | instid1(VALU_DEP_2)
	v_dual_lshlrev_b32 v38, 16, v40 :: v_dual_lshlrev_b32 v2, 20, v2
	v_lshl_add_u32 v37, v37, 23, 0x3c000000
	s_delay_alu instid0(VALU_DEP_2) | instskip(NEXT) | instid1(VALU_DEP_1)
	v_and_b32_e32 v38, 0x80000000, v38
	v_or3_b32 v37, v2, v38, v37
.LBB333_23:                             ;   in Loop: Header=BB333_9 Depth=1
	s_or_b32 exec_lo, exec_lo, s29
.LBB333_24:                             ;   in Loop: Header=BB333_9 Depth=1
	s_delay_alu instid0(SALU_CYCLE_1)
	s_or_b32 exec_lo, exec_lo, s28
.LBB333_25:                             ;   in Loop: Header=BB333_9 Depth=1
	s_delay_alu instid0(SALU_CYCLE_1) | instskip(SKIP_3) | instid1(VALU_DEP_2)
	s_or_b32 exec_lo, exec_lo, s27
	v_dual_mov_b32 v38, 0 :: v_dual_lshrrev_b32 v41, 16, v40
	v_mov_b32_e32 v39, 0
	s_mov_b32 s27, exec_lo
	v_and_b32_e32 v2, 0xff, v41
	s_delay_alu instid0(VALU_DEP_1)
	v_cmpx_ne_u16_e32 0, v2
	s_cbranch_execz .LBB333_33
; %bb.26:                               ;   in Loop: Header=BB333_9 Depth=1
	v_bfrev_b32_e32 v39, 1
	s_mov_b32 s28, exec_lo
	v_cmpx_ne_u16_e32 0x80, v2
	s_cbranch_execz .LBB333_32
; %bb.27:                               ;   in Loop: Header=BB333_9 Depth=1
	v_bfe_u32 v42, v40, 16, 7
	v_mov_b32_e32 v39, 0x7f800001
	s_mov_b32 s29, exec_lo
	s_delay_alu instid0(VALU_DEP_2)
	v_cmpx_ne_u32_e32 0x7f, v42
	s_cbranch_execz .LBB333_31
; %bb.28:                               ;   in Loop: Header=BB333_9 Depth=1
	v_dual_lshrrev_b32 v39, 3, v42 :: v_dual_bitop2_b32 v2, 7, v41 bitop3:0x40
	s_mov_b32 s30, exec_lo
	v_cmpx_gt_u32_e32 8, v42
; %bb.29:                               ;   in Loop: Header=BB333_9 Depth=1
	s_delay_alu instid0(VALU_DEP_2) | instskip(NEXT) | instid1(VALU_DEP_1)
	v_clz_i32_u32_e32 v39, v2
	v_min_u32_e32 v39, 32, v39
	s_delay_alu instid0(VALU_DEP_1) | instskip(NEXT) | instid1(VALU_DEP_1)
	v_subrev_nc_u32_e32 v42, 28, v39
	v_lshlrev_b64_e32 v[42:43], v42, v[2:3]
	s_delay_alu instid0(VALU_DEP_1)
	v_dual_sub_nc_u32 v39, 29, v39 :: v_dual_bitop2_b32 v2, 7, v42 bitop3:0x40
; %bb.30:                               ;   in Loop: Header=BB333_9 Depth=1
	s_or_b32 exec_lo, exec_lo, s30
	s_delay_alu instid0(VALU_DEP_1) | instskip(NEXT) | instid1(VALU_DEP_2)
	v_dual_lshlrev_b32 v41, 24, v41 :: v_dual_lshlrev_b32 v2, 20, v2
	v_lshl_add_u32 v39, v39, 23, 0x3c000000
	s_delay_alu instid0(VALU_DEP_2) | instskip(NEXT) | instid1(VALU_DEP_1)
	v_and_b32_e32 v41, 0x80000000, v41
	v_or3_b32 v39, v2, v41, v39
.LBB333_31:                             ;   in Loop: Header=BB333_9 Depth=1
	s_or_b32 exec_lo, exec_lo, s29
.LBB333_32:                             ;   in Loop: Header=BB333_9 Depth=1
	s_delay_alu instid0(SALU_CYCLE_1)
	s_or_b32 exec_lo, exec_lo, s28
.LBB333_33:                             ;   in Loop: Header=BB333_9 Depth=1
	s_delay_alu instid0(SALU_CYCLE_1) | instskip(NEXT) | instid1(SALU_CYCLE_1)
	s_or_b32 exec_lo, exec_lo, s27
	s_mov_b32 s27, exec_lo
	v_cmpx_lt_u32_e32 0xffffff, v40
	s_cbranch_execz .LBB333_41
; %bb.34:                               ;   in Loop: Header=BB333_9 Depth=1
	v_lshrrev_b32_e32 v41, 24, v40
	v_bfrev_b32_e32 v38, 1
	s_mov_b32 s28, exec_lo
	s_delay_alu instid0(VALU_DEP_2)
	v_cmpx_ne_u32_e32 0x80, v41
	s_cbranch_execz .LBB333_40
; %bb.35:                               ;   in Loop: Header=BB333_9 Depth=1
	v_bfe_u32 v40, v40, 24, 7
	v_mov_b32_e32 v38, 0x7f800001
	s_mov_b32 s29, exec_lo
	s_delay_alu instid0(VALU_DEP_2)
	v_cmpx_ne_u32_e32 0x7f, v40
	s_cbranch_execz .LBB333_39
; %bb.36:                               ;   in Loop: Header=BB333_9 Depth=1
	v_dual_lshrrev_b32 v38, 3, v40 :: v_dual_bitop2_b32 v2, 7, v41 bitop3:0x40
	s_mov_b32 s30, exec_lo
	v_cmpx_gt_u32_e32 8, v40
; %bb.37:                               ;   in Loop: Header=BB333_9 Depth=1
	s_delay_alu instid0(VALU_DEP_2) | instskip(NEXT) | instid1(VALU_DEP_1)
	v_clz_i32_u32_e32 v38, v2
	v_min_u32_e32 v38, 32, v38
	s_delay_alu instid0(VALU_DEP_1) | instskip(SKIP_1) | instid1(VALU_DEP_2)
	v_subrev_nc_u32_e32 v40, 28, v38
	v_sub_nc_u32_e32 v38, 29, v38
	v_lshlrev_b64_e32 v[42:43], v40, v[2:3]
	s_delay_alu instid0(VALU_DEP_1)
	v_and_b32_e32 v2, 7, v42
; %bb.38:                               ;   in Loop: Header=BB333_9 Depth=1
	s_or_b32 exec_lo, exec_lo, s30
	s_delay_alu instid0(VALU_DEP_1) | instskip(SKIP_1) | instid1(VALU_DEP_2)
	v_dual_lshlrev_b32 v40, 24, v41 :: v_dual_lshlrev_b32 v2, 20, v2
	v_lshl_add_u32 v38, v38, 23, 0x3c000000
	v_and_b32_e32 v40, 0x80000000, v40
	s_delay_alu instid0(VALU_DEP_1)
	v_or3_b32 v38, v2, v40, v38
.LBB333_39:                             ;   in Loop: Header=BB333_9 Depth=1
	s_or_b32 exec_lo, exec_lo, s29
.LBB333_40:                             ;   in Loop: Header=BB333_9 Depth=1
	s_delay_alu instid0(SALU_CYCLE_1)
	s_or_b32 exec_lo, exec_lo, s28
.LBB333_41:                             ;   in Loop: Header=BB333_9 Depth=1
	s_delay_alu instid0(SALU_CYCLE_1)
	s_or_b32 exec_lo, exec_lo, s27
	global_load_b32 v44, v[8:9], off offset:8
	v_dual_mov_b32 v40, 0 :: v_dual_mov_b32 v41, 0
	s_mov_b32 s27, exec_lo
	s_wait_loadcnt 0x0
	v_and_b32_e32 v2, 0xff, v44
	s_delay_alu instid0(VALU_DEP_1)
	v_cmpx_ne_u16_e32 0, v2
	s_cbranch_execz .LBB333_49
; %bb.42:                               ;   in Loop: Header=BB333_9 Depth=1
	v_bfrev_b32_e32 v41, 1
	s_mov_b32 s28, exec_lo
	v_cmpx_ne_u16_e32 0x80, v2
	s_cbranch_execz .LBB333_48
; %bb.43:                               ;   in Loop: Header=BB333_9 Depth=1
	v_and_b32_e32 v42, 0x7f, v44
	v_mov_b32_e32 v41, 0x7f800001
	s_mov_b32 s29, exec_lo
	s_delay_alu instid0(VALU_DEP_2)
	v_cmpx_ne_u32_e32 0x7f, v42
	s_cbranch_execz .LBB333_47
; %bb.44:                               ;   in Loop: Header=BB333_9 Depth=1
	v_dual_lshrrev_b32 v41, 3, v42 :: v_dual_bitop2_b32 v2, 7, v44 bitop3:0x40
	s_mov_b32 s30, exec_lo
	v_cmpx_gt_u32_e32 8, v42
; %bb.45:                               ;   in Loop: Header=BB333_9 Depth=1
	s_delay_alu instid0(VALU_DEP_2) | instskip(NEXT) | instid1(VALU_DEP_1)
	v_clz_i32_u32_e32 v41, v2
	v_min_u32_e32 v41, 32, v41
	s_delay_alu instid0(VALU_DEP_1) | instskip(NEXT) | instid1(VALU_DEP_1)
	v_subrev_nc_u32_e32 v42, 28, v41
	v_lshlrev_b64_e32 v[42:43], v42, v[2:3]
	s_delay_alu instid0(VALU_DEP_1)
	v_dual_sub_nc_u32 v41, 29, v41 :: v_dual_bitop2_b32 v2, 7, v42 bitop3:0x40
; %bb.46:                               ;   in Loop: Header=BB333_9 Depth=1
	s_or_b32 exec_lo, exec_lo, s30
	s_delay_alu instid0(VALU_DEP_1) | instskip(NEXT) | instid1(VALU_DEP_2)
	v_dual_lshlrev_b32 v42, 24, v44 :: v_dual_lshlrev_b32 v2, 20, v2
	v_lshl_add_u32 v41, v41, 23, 0x3c000000
	s_delay_alu instid0(VALU_DEP_2) | instskip(NEXT) | instid1(VALU_DEP_1)
	v_and_b32_e32 v42, 0x80000000, v42
	v_or3_b32 v41, v2, v42, v41
.LBB333_47:                             ;   in Loop: Header=BB333_9 Depth=1
	s_or_b32 exec_lo, exec_lo, s29
.LBB333_48:                             ;   in Loop: Header=BB333_9 Depth=1
	s_delay_alu instid0(SALU_CYCLE_1)
	s_or_b32 exec_lo, exec_lo, s28
.LBB333_49:                             ;   in Loop: Header=BB333_9 Depth=1
	s_delay_alu instid0(SALU_CYCLE_1) | instskip(SKIP_2) | instid1(VALU_DEP_1)
	s_or_b32 exec_lo, exec_lo, s27
	v_lshrrev_b16 v2, 8, v44
	s_mov_b32 s27, exec_lo
	v_cmpx_ne_u16_e32 0, v2
	s_cbranch_execz .LBB333_57
; %bb.50:                               ;   in Loop: Header=BB333_9 Depth=1
	v_bfrev_b32_e32 v40, 1
	s_mov_b32 s28, exec_lo
	v_cmpx_ne_u16_e32 0x80, v2
	s_cbranch_execz .LBB333_56
; %bb.51:                               ;   in Loop: Header=BB333_9 Depth=1
	v_and_b32_e32 v2, 0xffff, v2
	v_mov_b32_e32 v40, 0x7f800001
	s_mov_b32 s29, exec_lo
	s_delay_alu instid0(VALU_DEP_2) | instskip(NEXT) | instid1(VALU_DEP_1)
	v_and_b32_e32 v42, 0x7f, v2
	v_cmpx_ne_u32_e32 0x7f, v42
	s_cbranch_execz .LBB333_55
; %bb.52:                               ;   in Loop: Header=BB333_9 Depth=1
	v_and_b32_e32 v2, 7, v2
	v_lshrrev_b32_e32 v40, 3, v42
	s_mov_b32 s30, exec_lo
	v_cmpx_gt_u32_e32 8, v42
; %bb.53:                               ;   in Loop: Header=BB333_9 Depth=1
	s_delay_alu instid0(VALU_DEP_3) | instskip(NEXT) | instid1(VALU_DEP_1)
	v_clz_i32_u32_e32 v40, v2
	v_min_u32_e32 v40, 32, v40
	s_delay_alu instid0(VALU_DEP_1) | instskip(NEXT) | instid1(VALU_DEP_1)
	v_subrev_nc_u32_e32 v42, 28, v40
	v_lshlrev_b64_e32 v[42:43], v42, v[2:3]
	s_delay_alu instid0(VALU_DEP_1)
	v_dual_sub_nc_u32 v40, 29, v40 :: v_dual_bitop2_b32 v2, 7, v42 bitop3:0x40
; %bb.54:                               ;   in Loop: Header=BB333_9 Depth=1
	s_or_b32 exec_lo, exec_lo, s30
	s_delay_alu instid0(VALU_DEP_1) | instskip(NEXT) | instid1(VALU_DEP_2)
	v_dual_lshlrev_b32 v42, 16, v44 :: v_dual_lshlrev_b32 v2, 20, v2
	v_lshl_add_u32 v40, v40, 23, 0x3c000000
	s_delay_alu instid0(VALU_DEP_2) | instskip(NEXT) | instid1(VALU_DEP_1)
	v_and_b32_e32 v42, 0x80000000, v42
	v_or3_b32 v40, v2, v42, v40
.LBB333_55:                             ;   in Loop: Header=BB333_9 Depth=1
	s_or_b32 exec_lo, exec_lo, s29
.LBB333_56:                             ;   in Loop: Header=BB333_9 Depth=1
	s_delay_alu instid0(SALU_CYCLE_1)
	s_or_b32 exec_lo, exec_lo, s28
.LBB333_57:                             ;   in Loop: Header=BB333_9 Depth=1
	s_delay_alu instid0(SALU_CYCLE_1) | instskip(SKIP_3) | instid1(VALU_DEP_2)
	s_or_b32 exec_lo, exec_lo, s27
	v_dual_mov_b32 v42, 0 :: v_dual_lshrrev_b32 v45, 16, v44
	v_mov_b32_e32 v43, 0
	s_mov_b32 s27, exec_lo
	v_and_b32_e32 v2, 0xff, v45
	s_delay_alu instid0(VALU_DEP_1)
	v_cmpx_ne_u16_e32 0, v2
	s_cbranch_execz .LBB333_65
; %bb.58:                               ;   in Loop: Header=BB333_9 Depth=1
	v_bfrev_b32_e32 v43, 1
	s_mov_b32 s28, exec_lo
	v_cmpx_ne_u16_e32 0x80, v2
	s_cbranch_execz .LBB333_64
; %bb.59:                               ;   in Loop: Header=BB333_9 Depth=1
	v_bfe_u32 v46, v44, 16, 7
	v_mov_b32_e32 v43, 0x7f800001
	s_mov_b32 s29, exec_lo
	s_delay_alu instid0(VALU_DEP_2)
	v_cmpx_ne_u32_e32 0x7f, v46
	s_cbranch_execz .LBB333_63
; %bb.60:                               ;   in Loop: Header=BB333_9 Depth=1
	v_dual_lshrrev_b32 v43, 3, v46 :: v_dual_bitop2_b32 v2, 7, v45 bitop3:0x40
	s_mov_b32 s30, exec_lo
	v_cmpx_gt_u32_e32 8, v46
; %bb.61:                               ;   in Loop: Header=BB333_9 Depth=1
	s_delay_alu instid0(VALU_DEP_2) | instskip(NEXT) | instid1(VALU_DEP_1)
	v_clz_i32_u32_e32 v43, v2
	v_min_u32_e32 v43, 32, v43
	s_delay_alu instid0(VALU_DEP_1) | instskip(NEXT) | instid1(VALU_DEP_1)
	v_subrev_nc_u32_e32 v46, 28, v43
	v_lshlrev_b64_e32 v[46:47], v46, v[2:3]
	s_delay_alu instid0(VALU_DEP_1)
	v_dual_sub_nc_u32 v43, 29, v43 :: v_dual_bitop2_b32 v2, 7, v46 bitop3:0x40
; %bb.62:                               ;   in Loop: Header=BB333_9 Depth=1
	s_or_b32 exec_lo, exec_lo, s30
	s_delay_alu instid0(VALU_DEP_1) | instskip(NEXT) | instid1(VALU_DEP_2)
	v_dual_lshlrev_b32 v45, 24, v45 :: v_dual_lshlrev_b32 v2, 20, v2
	v_lshl_add_u32 v43, v43, 23, 0x3c000000
	s_delay_alu instid0(VALU_DEP_2) | instskip(NEXT) | instid1(VALU_DEP_1)
	v_and_b32_e32 v45, 0x80000000, v45
	v_or3_b32 v43, v2, v45, v43
.LBB333_63:                             ;   in Loop: Header=BB333_9 Depth=1
	s_or_b32 exec_lo, exec_lo, s29
.LBB333_64:                             ;   in Loop: Header=BB333_9 Depth=1
	s_delay_alu instid0(SALU_CYCLE_1)
	s_or_b32 exec_lo, exec_lo, s28
.LBB333_65:                             ;   in Loop: Header=BB333_9 Depth=1
	s_delay_alu instid0(SALU_CYCLE_1) | instskip(NEXT) | instid1(SALU_CYCLE_1)
	s_or_b32 exec_lo, exec_lo, s27
	s_mov_b32 s27, exec_lo
	v_cmpx_lt_u32_e32 0xffffff, v44
	s_cbranch_execz .LBB333_73
; %bb.66:                               ;   in Loop: Header=BB333_9 Depth=1
	v_lshrrev_b32_e32 v45, 24, v44
	v_bfrev_b32_e32 v42, 1
	s_mov_b32 s28, exec_lo
	s_delay_alu instid0(VALU_DEP_2)
	v_cmpx_ne_u32_e32 0x80, v45
	s_cbranch_execz .LBB333_72
; %bb.67:                               ;   in Loop: Header=BB333_9 Depth=1
	v_bfe_u32 v44, v44, 24, 7
	v_mov_b32_e32 v42, 0x7f800001
	s_mov_b32 s29, exec_lo
	s_delay_alu instid0(VALU_DEP_2)
	v_cmpx_ne_u32_e32 0x7f, v44
	s_cbranch_execz .LBB333_71
; %bb.68:                               ;   in Loop: Header=BB333_9 Depth=1
	v_dual_lshrrev_b32 v42, 3, v44 :: v_dual_bitop2_b32 v2, 7, v45 bitop3:0x40
	s_mov_b32 s30, exec_lo
	v_cmpx_gt_u32_e32 8, v44
; %bb.69:                               ;   in Loop: Header=BB333_9 Depth=1
	s_delay_alu instid0(VALU_DEP_2) | instskip(NEXT) | instid1(VALU_DEP_1)
	v_clz_i32_u32_e32 v42, v2
	v_min_u32_e32 v42, 32, v42
	s_delay_alu instid0(VALU_DEP_1) | instskip(SKIP_1) | instid1(VALU_DEP_2)
	v_subrev_nc_u32_e32 v44, 28, v42
	v_sub_nc_u32_e32 v42, 29, v42
	v_lshlrev_b64_e32 v[46:47], v44, v[2:3]
	s_delay_alu instid0(VALU_DEP_1)
	v_and_b32_e32 v2, 7, v46
; %bb.70:                               ;   in Loop: Header=BB333_9 Depth=1
	s_or_b32 exec_lo, exec_lo, s30
	s_delay_alu instid0(VALU_DEP_1) | instskip(SKIP_1) | instid1(VALU_DEP_2)
	v_dual_lshlrev_b32 v44, 24, v45 :: v_dual_lshlrev_b32 v2, 20, v2
	v_lshl_add_u32 v42, v42, 23, 0x3c000000
	v_and_b32_e32 v44, 0x80000000, v44
	s_delay_alu instid0(VALU_DEP_1)
	v_or3_b32 v42, v2, v44, v42
.LBB333_71:                             ;   in Loop: Header=BB333_9 Depth=1
	s_or_b32 exec_lo, exec_lo, s29
.LBB333_72:                             ;   in Loop: Header=BB333_9 Depth=1
	s_delay_alu instid0(SALU_CYCLE_1)
	s_or_b32 exec_lo, exec_lo, s28
.LBB333_73:                             ;   in Loop: Header=BB333_9 Depth=1
	s_delay_alu instid0(SALU_CYCLE_1)
	s_or_b32 exec_lo, exec_lo, s27
	global_load_b32 v48, v[8:9], off offset:256
	v_dual_mov_b32 v45, 0 :: v_dual_mov_b32 v44, 0
	s_mov_b32 s27, exec_lo
	s_wait_loadcnt 0x0
	v_and_b32_e32 v2, 0xff, v48
	s_delay_alu instid0(VALU_DEP_1)
	v_cmpx_ne_u16_e32 0, v2
	s_cbranch_execz .LBB333_81
; %bb.74:                               ;   in Loop: Header=BB333_9 Depth=1
	v_bfrev_b32_e32 v44, 1
	s_mov_b32 s28, exec_lo
	v_cmpx_ne_u16_e32 0x80, v2
	s_cbranch_execz .LBB333_80
; %bb.75:                               ;   in Loop: Header=BB333_9 Depth=1
	v_and_b32_e32 v46, 0x7f, v48
	v_mov_b32_e32 v44, 0x7f800001
	s_mov_b32 s29, exec_lo
	s_delay_alu instid0(VALU_DEP_2)
	v_cmpx_ne_u32_e32 0x7f, v46
	s_cbranch_execz .LBB333_79
; %bb.76:                               ;   in Loop: Header=BB333_9 Depth=1
	v_dual_lshrrev_b32 v44, 3, v46 :: v_dual_bitop2_b32 v2, 7, v48 bitop3:0x40
	s_mov_b32 s30, exec_lo
	v_cmpx_gt_u32_e32 8, v46
; %bb.77:                               ;   in Loop: Header=BB333_9 Depth=1
	s_delay_alu instid0(VALU_DEP_2) | instskip(NEXT) | instid1(VALU_DEP_1)
	v_clz_i32_u32_e32 v44, v2
	v_min_u32_e32 v44, 32, v44
	s_delay_alu instid0(VALU_DEP_1) | instskip(NEXT) | instid1(VALU_DEP_1)
	v_subrev_nc_u32_e32 v46, 28, v44
	v_lshlrev_b64_e32 v[46:47], v46, v[2:3]
	s_delay_alu instid0(VALU_DEP_1)
	v_dual_sub_nc_u32 v44, 29, v44 :: v_dual_bitop2_b32 v2, 7, v46 bitop3:0x40
; %bb.78:                               ;   in Loop: Header=BB333_9 Depth=1
	s_or_b32 exec_lo, exec_lo, s30
	s_delay_alu instid0(VALU_DEP_1) | instskip(NEXT) | instid1(VALU_DEP_2)
	v_dual_lshlrev_b32 v46, 24, v48 :: v_dual_lshlrev_b32 v2, 20, v2
	v_lshl_add_u32 v44, v44, 23, 0x3c000000
	s_delay_alu instid0(VALU_DEP_2) | instskip(NEXT) | instid1(VALU_DEP_1)
	v_and_b32_e32 v46, 0x80000000, v46
	v_or3_b32 v44, v2, v46, v44
.LBB333_79:                             ;   in Loop: Header=BB333_9 Depth=1
	s_or_b32 exec_lo, exec_lo, s29
.LBB333_80:                             ;   in Loop: Header=BB333_9 Depth=1
	s_delay_alu instid0(SALU_CYCLE_1)
	s_or_b32 exec_lo, exec_lo, s28
.LBB333_81:                             ;   in Loop: Header=BB333_9 Depth=1
	s_delay_alu instid0(SALU_CYCLE_1) | instskip(SKIP_2) | instid1(VALU_DEP_1)
	s_or_b32 exec_lo, exec_lo, s27
	v_lshrrev_b16 v2, 8, v48
	s_mov_b32 s27, exec_lo
	v_cmpx_ne_u16_e32 0, v2
	s_cbranch_execz .LBB333_89
; %bb.82:                               ;   in Loop: Header=BB333_9 Depth=1
	v_bfrev_b32_e32 v45, 1
	s_mov_b32 s28, exec_lo
	v_cmpx_ne_u16_e32 0x80, v2
	s_cbranch_execz .LBB333_88
; %bb.83:                               ;   in Loop: Header=BB333_9 Depth=1
	v_and_b32_e32 v2, 0xffff, v2
	v_mov_b32_e32 v45, 0x7f800001
	s_mov_b32 s29, exec_lo
	s_delay_alu instid0(VALU_DEP_2) | instskip(NEXT) | instid1(VALU_DEP_1)
	v_and_b32_e32 v46, 0x7f, v2
	v_cmpx_ne_u32_e32 0x7f, v46
	s_cbranch_execz .LBB333_87
; %bb.84:                               ;   in Loop: Header=BB333_9 Depth=1
	v_and_b32_e32 v2, 7, v2
	v_lshrrev_b32_e32 v45, 3, v46
	s_mov_b32 s30, exec_lo
	v_cmpx_gt_u32_e32 8, v46
; %bb.85:                               ;   in Loop: Header=BB333_9 Depth=1
	s_delay_alu instid0(VALU_DEP_3) | instskip(NEXT) | instid1(VALU_DEP_1)
	v_clz_i32_u32_e32 v45, v2
	v_min_u32_e32 v45, 32, v45
	s_delay_alu instid0(VALU_DEP_1) | instskip(NEXT) | instid1(VALU_DEP_1)
	v_subrev_nc_u32_e32 v46, 28, v45
	v_lshlrev_b64_e32 v[46:47], v46, v[2:3]
	s_delay_alu instid0(VALU_DEP_1)
	v_dual_sub_nc_u32 v45, 29, v45 :: v_dual_bitop2_b32 v2, 7, v46 bitop3:0x40
; %bb.86:                               ;   in Loop: Header=BB333_9 Depth=1
	s_or_b32 exec_lo, exec_lo, s30
	s_delay_alu instid0(VALU_DEP_1) | instskip(NEXT) | instid1(VALU_DEP_2)
	v_dual_lshlrev_b32 v46, 16, v48 :: v_dual_lshlrev_b32 v2, 20, v2
	v_lshl_add_u32 v45, v45, 23, 0x3c000000
	s_delay_alu instid0(VALU_DEP_2) | instskip(NEXT) | instid1(VALU_DEP_1)
	v_and_b32_e32 v46, 0x80000000, v46
	v_or3_b32 v45, v2, v46, v45
.LBB333_87:                             ;   in Loop: Header=BB333_9 Depth=1
	s_or_b32 exec_lo, exec_lo, s29
.LBB333_88:                             ;   in Loop: Header=BB333_9 Depth=1
	s_delay_alu instid0(SALU_CYCLE_1)
	s_or_b32 exec_lo, exec_lo, s28
.LBB333_89:                             ;   in Loop: Header=BB333_9 Depth=1
	s_delay_alu instid0(SALU_CYCLE_1) | instskip(SKIP_3) | instid1(VALU_DEP_2)
	s_or_b32 exec_lo, exec_lo, s27
	v_dual_mov_b32 v46, 0 :: v_dual_lshrrev_b32 v49, 16, v48
	v_mov_b32_e32 v47, 0
	s_mov_b32 s27, exec_lo
	v_and_b32_e32 v2, 0xff, v49
	s_delay_alu instid0(VALU_DEP_1)
	v_cmpx_ne_u16_e32 0, v2
	s_cbranch_execz .LBB333_97
; %bb.90:                               ;   in Loop: Header=BB333_9 Depth=1
	v_bfrev_b32_e32 v47, 1
	s_mov_b32 s28, exec_lo
	v_cmpx_ne_u16_e32 0x80, v2
	s_cbranch_execz .LBB333_96
; %bb.91:                               ;   in Loop: Header=BB333_9 Depth=1
	v_bfe_u32 v50, v48, 16, 7
	v_mov_b32_e32 v47, 0x7f800001
	s_mov_b32 s29, exec_lo
	s_delay_alu instid0(VALU_DEP_2)
	v_cmpx_ne_u32_e32 0x7f, v50
	s_cbranch_execz .LBB333_95
; %bb.92:                               ;   in Loop: Header=BB333_9 Depth=1
	v_dual_lshrrev_b32 v47, 3, v50 :: v_dual_bitop2_b32 v2, 7, v49 bitop3:0x40
	s_mov_b32 s30, exec_lo
	v_cmpx_gt_u32_e32 8, v50
; %bb.93:                               ;   in Loop: Header=BB333_9 Depth=1
	s_delay_alu instid0(VALU_DEP_2) | instskip(NEXT) | instid1(VALU_DEP_1)
	v_clz_i32_u32_e32 v47, v2
	v_min_u32_e32 v47, 32, v47
	s_delay_alu instid0(VALU_DEP_1) | instskip(NEXT) | instid1(VALU_DEP_1)
	v_subrev_nc_u32_e32 v50, 28, v47
	v_lshlrev_b64_e32 v[50:51], v50, v[2:3]
	s_delay_alu instid0(VALU_DEP_1)
	v_dual_sub_nc_u32 v47, 29, v47 :: v_dual_bitop2_b32 v2, 7, v50 bitop3:0x40
; %bb.94:                               ;   in Loop: Header=BB333_9 Depth=1
	s_or_b32 exec_lo, exec_lo, s30
	s_delay_alu instid0(VALU_DEP_1) | instskip(NEXT) | instid1(VALU_DEP_2)
	v_dual_lshlrev_b32 v49, 24, v49 :: v_dual_lshlrev_b32 v2, 20, v2
	v_lshl_add_u32 v47, v47, 23, 0x3c000000
	s_delay_alu instid0(VALU_DEP_2) | instskip(NEXT) | instid1(VALU_DEP_1)
	v_and_b32_e32 v49, 0x80000000, v49
	v_or3_b32 v47, v2, v49, v47
.LBB333_95:                             ;   in Loop: Header=BB333_9 Depth=1
	s_or_b32 exec_lo, exec_lo, s29
.LBB333_96:                             ;   in Loop: Header=BB333_9 Depth=1
	s_delay_alu instid0(SALU_CYCLE_1)
	s_or_b32 exec_lo, exec_lo, s28
.LBB333_97:                             ;   in Loop: Header=BB333_9 Depth=1
	s_delay_alu instid0(SALU_CYCLE_1) | instskip(NEXT) | instid1(SALU_CYCLE_1)
	s_or_b32 exec_lo, exec_lo, s27
	s_mov_b32 s27, exec_lo
	v_cmpx_lt_u32_e32 0xffffff, v48
	s_cbranch_execz .LBB333_105
; %bb.98:                               ;   in Loop: Header=BB333_9 Depth=1
	v_lshrrev_b32_e32 v49, 24, v48
	v_bfrev_b32_e32 v46, 1
	s_mov_b32 s28, exec_lo
	s_delay_alu instid0(VALU_DEP_2)
	v_cmpx_ne_u32_e32 0x80, v49
	s_cbranch_execz .LBB333_104
; %bb.99:                               ;   in Loop: Header=BB333_9 Depth=1
	v_bfe_u32 v48, v48, 24, 7
	v_mov_b32_e32 v46, 0x7f800001
	s_mov_b32 s29, exec_lo
	s_delay_alu instid0(VALU_DEP_2)
	v_cmpx_ne_u32_e32 0x7f, v48
	s_cbranch_execz .LBB333_103
; %bb.100:                              ;   in Loop: Header=BB333_9 Depth=1
	v_dual_lshrrev_b32 v46, 3, v48 :: v_dual_bitop2_b32 v2, 7, v49 bitop3:0x40
	s_mov_b32 s30, exec_lo
	v_cmpx_gt_u32_e32 8, v48
; %bb.101:                              ;   in Loop: Header=BB333_9 Depth=1
	s_delay_alu instid0(VALU_DEP_2) | instskip(NEXT) | instid1(VALU_DEP_1)
	v_clz_i32_u32_e32 v46, v2
	v_min_u32_e32 v46, 32, v46
	s_delay_alu instid0(VALU_DEP_1) | instskip(SKIP_1) | instid1(VALU_DEP_2)
	v_subrev_nc_u32_e32 v48, 28, v46
	v_sub_nc_u32_e32 v46, 29, v46
	v_lshlrev_b64_e32 v[50:51], v48, v[2:3]
	s_delay_alu instid0(VALU_DEP_1)
	v_and_b32_e32 v2, 7, v50
; %bb.102:                              ;   in Loop: Header=BB333_9 Depth=1
	s_or_b32 exec_lo, exec_lo, s30
	s_delay_alu instid0(VALU_DEP_1) | instskip(SKIP_1) | instid1(VALU_DEP_2)
	v_dual_lshlrev_b32 v48, 24, v49 :: v_dual_lshlrev_b32 v2, 20, v2
	v_lshl_add_u32 v46, v46, 23, 0x3c000000
	v_and_b32_e32 v48, 0x80000000, v48
	s_delay_alu instid0(VALU_DEP_1)
	v_or3_b32 v46, v2, v48, v46
.LBB333_103:                            ;   in Loop: Header=BB333_9 Depth=1
	s_or_b32 exec_lo, exec_lo, s29
.LBB333_104:                            ;   in Loop: Header=BB333_9 Depth=1
	s_delay_alu instid0(SALU_CYCLE_1)
	s_or_b32 exec_lo, exec_lo, s28
.LBB333_105:                            ;   in Loop: Header=BB333_9 Depth=1
	s_delay_alu instid0(SALU_CYCLE_1)
	s_or_b32 exec_lo, exec_lo, s27
	global_load_b32 v48, v[8:9], off offset:264
	s_wait_xcnt 0x0
	v_dual_mov_b32 v9, 0 :: v_dual_mov_b32 v8, 0
	s_mov_b32 s27, exec_lo
	s_wait_loadcnt 0x0
	v_and_b32_e32 v2, 0xff, v48
	s_delay_alu instid0(VALU_DEP_1)
	v_cmpx_ne_u16_e32 0, v2
	s_cbranch_execz .LBB333_113
; %bb.106:                              ;   in Loop: Header=BB333_9 Depth=1
	v_bfrev_b32_e32 v8, 1
	s_mov_b32 s28, exec_lo
	v_cmpx_ne_u16_e32 0x80, v2
	s_cbranch_execz .LBB333_112
; %bb.107:                              ;   in Loop: Header=BB333_9 Depth=1
	v_and_b32_e32 v49, 0x7f, v48
	v_mov_b32_e32 v8, 0x7f800001
	s_mov_b32 s29, exec_lo
	s_delay_alu instid0(VALU_DEP_2)
	v_cmpx_ne_u32_e32 0x7f, v49
	s_cbranch_execz .LBB333_111
; %bb.108:                              ;   in Loop: Header=BB333_9 Depth=1
	v_dual_lshrrev_b32 v8, 3, v49 :: v_dual_bitop2_b32 v2, 7, v48 bitop3:0x40
	s_mov_b32 s30, exec_lo
	v_cmpx_gt_u32_e32 8, v49
; %bb.109:                              ;   in Loop: Header=BB333_9 Depth=1
	s_delay_alu instid0(VALU_DEP_2) | instskip(NEXT) | instid1(VALU_DEP_1)
	v_clz_i32_u32_e32 v8, v2
	v_min_u32_e32 v8, 32, v8
	s_delay_alu instid0(VALU_DEP_1) | instskip(NEXT) | instid1(VALU_DEP_1)
	v_subrev_nc_u32_e32 v49, 28, v8
	v_lshlrev_b64_e32 v[50:51], v49, v[2:3]
	s_delay_alu instid0(VALU_DEP_1)
	v_dual_sub_nc_u32 v8, 29, v8 :: v_dual_bitop2_b32 v2, 7, v50 bitop3:0x40
; %bb.110:                              ;   in Loop: Header=BB333_9 Depth=1
	s_or_b32 exec_lo, exec_lo, s30
	s_delay_alu instid0(VALU_DEP_1) | instskip(NEXT) | instid1(VALU_DEP_2)
	v_dual_lshlrev_b32 v49, 24, v48 :: v_dual_lshlrev_b32 v2, 20, v2
	v_lshl_add_u32 v8, v8, 23, 0x3c000000
	s_delay_alu instid0(VALU_DEP_2) | instskip(NEXT) | instid1(VALU_DEP_1)
	v_and_b32_e32 v49, 0x80000000, v49
	v_or3_b32 v8, v2, v49, v8
.LBB333_111:                            ;   in Loop: Header=BB333_9 Depth=1
	s_or_b32 exec_lo, exec_lo, s29
.LBB333_112:                            ;   in Loop: Header=BB333_9 Depth=1
	s_delay_alu instid0(SALU_CYCLE_1)
	s_or_b32 exec_lo, exec_lo, s28
.LBB333_113:                            ;   in Loop: Header=BB333_9 Depth=1
	s_delay_alu instid0(SALU_CYCLE_1) | instskip(SKIP_2) | instid1(VALU_DEP_1)
	s_or_b32 exec_lo, exec_lo, s27
	v_lshrrev_b16 v2, 8, v48
	s_mov_b32 s27, exec_lo
	v_cmpx_ne_u16_e32 0, v2
	s_cbranch_execz .LBB333_121
; %bb.114:                              ;   in Loop: Header=BB333_9 Depth=1
	v_bfrev_b32_e32 v9, 1
	s_mov_b32 s28, exec_lo
	v_cmpx_ne_u16_e32 0x80, v2
	s_cbranch_execz .LBB333_120
; %bb.115:                              ;   in Loop: Header=BB333_9 Depth=1
	v_and_b32_e32 v2, 0xffff, v2
	v_mov_b32_e32 v9, 0x7f800001
	s_mov_b32 s29, exec_lo
	s_delay_alu instid0(VALU_DEP_2) | instskip(NEXT) | instid1(VALU_DEP_1)
	v_and_b32_e32 v49, 0x7f, v2
	v_cmpx_ne_u32_e32 0x7f, v49
	s_cbranch_execz .LBB333_119
; %bb.116:                              ;   in Loop: Header=BB333_9 Depth=1
	v_dual_lshrrev_b32 v9, 3, v49 :: v_dual_bitop2_b32 v2, 7, v2 bitop3:0x40
	s_mov_b32 s30, exec_lo
	v_cmpx_gt_u32_e32 8, v49
; %bb.117:                              ;   in Loop: Header=BB333_9 Depth=1
	s_delay_alu instid0(VALU_DEP_2) | instskip(NEXT) | instid1(VALU_DEP_1)
	v_clz_i32_u32_e32 v9, v2
	v_min_u32_e32 v9, 32, v9
	s_delay_alu instid0(VALU_DEP_1) | instskip(NEXT) | instid1(VALU_DEP_1)
	v_subrev_nc_u32_e32 v49, 28, v9
	v_lshlrev_b64_e32 v[50:51], v49, v[2:3]
	s_delay_alu instid0(VALU_DEP_1)
	v_dual_sub_nc_u32 v9, 29, v9 :: v_dual_bitop2_b32 v2, 7, v50 bitop3:0x40
; %bb.118:                              ;   in Loop: Header=BB333_9 Depth=1
	s_or_b32 exec_lo, exec_lo, s30
	s_delay_alu instid0(VALU_DEP_1) | instskip(NEXT) | instid1(VALU_DEP_2)
	v_dual_lshlrev_b32 v49, 16, v48 :: v_dual_lshlrev_b32 v2, 20, v2
	v_lshl_add_u32 v9, v9, 23, 0x3c000000
	s_delay_alu instid0(VALU_DEP_2) | instskip(NEXT) | instid1(VALU_DEP_1)
	v_and_b32_e32 v49, 0x80000000, v49
	v_or3_b32 v9, v2, v49, v9
.LBB333_119:                            ;   in Loop: Header=BB333_9 Depth=1
	s_or_b32 exec_lo, exec_lo, s29
.LBB333_120:                            ;   in Loop: Header=BB333_9 Depth=1
	s_delay_alu instid0(SALU_CYCLE_1)
	s_or_b32 exec_lo, exec_lo, s28
.LBB333_121:                            ;   in Loop: Header=BB333_9 Depth=1
	s_delay_alu instid0(SALU_CYCLE_1) | instskip(SKIP_3) | instid1(VALU_DEP_2)
	s_or_b32 exec_lo, exec_lo, s27
	v_dual_lshrrev_b32 v51, 16, v48 :: v_dual_mov_b32 v49, 0
	v_mov_b32_e32 v50, 0
	s_mov_b32 s27, exec_lo
	v_and_b32_e32 v2, 0xff, v51
	s_delay_alu instid0(VALU_DEP_1)
	v_cmpx_ne_u16_e32 0, v2
	s_cbranch_execz .LBB333_129
; %bb.122:                              ;   in Loop: Header=BB333_9 Depth=1
	v_bfrev_b32_e32 v50, 1
	s_mov_b32 s28, exec_lo
	v_cmpx_ne_u16_e32 0x80, v2
	s_cbranch_execz .LBB333_128
; %bb.123:                              ;   in Loop: Header=BB333_9 Depth=1
	v_bfe_u32 v52, v48, 16, 7
	v_mov_b32_e32 v50, 0x7f800001
	s_mov_b32 s29, exec_lo
	s_delay_alu instid0(VALU_DEP_2)
	v_cmpx_ne_u32_e32 0x7f, v52
	s_cbranch_execz .LBB333_127
; %bb.124:                              ;   in Loop: Header=BB333_9 Depth=1
	v_dual_lshrrev_b32 v50, 3, v52 :: v_dual_bitop2_b32 v2, 7, v51 bitop3:0x40
	s_mov_b32 s30, exec_lo
	v_cmpx_gt_u32_e32 8, v52
; %bb.125:                              ;   in Loop: Header=BB333_9 Depth=1
	s_delay_alu instid0(VALU_DEP_2) | instskip(NEXT) | instid1(VALU_DEP_1)
	v_clz_i32_u32_e32 v50, v2
	v_min_u32_e32 v50, 32, v50
	s_delay_alu instid0(VALU_DEP_1) | instskip(NEXT) | instid1(VALU_DEP_1)
	v_subrev_nc_u32_e32 v52, 28, v50
	v_lshlrev_b64_e32 v[52:53], v52, v[2:3]
	s_delay_alu instid0(VALU_DEP_1)
	v_dual_sub_nc_u32 v50, 29, v50 :: v_dual_bitop2_b32 v2, 7, v52 bitop3:0x40
; %bb.126:                              ;   in Loop: Header=BB333_9 Depth=1
	s_or_b32 exec_lo, exec_lo, s30
	s_delay_alu instid0(VALU_DEP_1) | instskip(NEXT) | instid1(VALU_DEP_2)
	v_dual_lshlrev_b32 v51, 24, v51 :: v_dual_lshlrev_b32 v2, 20, v2
	v_lshl_add_u32 v50, v50, 23, 0x3c000000
	s_delay_alu instid0(VALU_DEP_2) | instskip(NEXT) | instid1(VALU_DEP_1)
	v_and_b32_e32 v51, 0x80000000, v51
	v_or3_b32 v50, v2, v51, v50
.LBB333_127:                            ;   in Loop: Header=BB333_9 Depth=1
	s_or_b32 exec_lo, exec_lo, s29
.LBB333_128:                            ;   in Loop: Header=BB333_9 Depth=1
	s_delay_alu instid0(SALU_CYCLE_1)
	s_or_b32 exec_lo, exec_lo, s28
.LBB333_129:                            ;   in Loop: Header=BB333_9 Depth=1
	s_delay_alu instid0(SALU_CYCLE_1) | instskip(NEXT) | instid1(SALU_CYCLE_1)
	s_or_b32 exec_lo, exec_lo, s27
	s_mov_b32 s27, exec_lo
	v_cmpx_lt_u32_e32 0xffffff, v48
	s_cbranch_execz .LBB333_137
; %bb.130:                              ;   in Loop: Header=BB333_9 Depth=1
	v_lshrrev_b32_e32 v51, 24, v48
	v_bfrev_b32_e32 v49, 1
	s_mov_b32 s28, exec_lo
	s_delay_alu instid0(VALU_DEP_2)
	v_cmpx_ne_u32_e32 0x80, v51
	s_cbranch_execz .LBB333_136
; %bb.131:                              ;   in Loop: Header=BB333_9 Depth=1
	v_bfe_u32 v52, v48, 24, 7
	v_mov_b32_e32 v49, 0x7f800001
	s_mov_b32 s29, exec_lo
	s_delay_alu instid0(VALU_DEP_2)
	v_cmpx_ne_u32_e32 0x7f, v52
	s_cbranch_execz .LBB333_135
; %bb.132:                              ;   in Loop: Header=BB333_9 Depth=1
	v_dual_lshrrev_b32 v48, 3, v52 :: v_dual_bitop2_b32 v2, 7, v51 bitop3:0x40
	s_mov_b32 s30, exec_lo
	v_cmpx_gt_u32_e32 8, v52
; %bb.133:                              ;   in Loop: Header=BB333_9 Depth=1
	s_delay_alu instid0(VALU_DEP_2) | instskip(NEXT) | instid1(VALU_DEP_1)
	v_clz_i32_u32_e32 v48, v2
	v_min_u32_e32 v48, 32, v48
	s_delay_alu instid0(VALU_DEP_1) | instskip(SKIP_1) | instid1(VALU_DEP_2)
	v_subrev_nc_u32_e32 v49, 28, v48
	v_sub_nc_u32_e32 v48, 29, v48
	v_lshlrev_b64_e32 v[52:53], v49, v[2:3]
	s_delay_alu instid0(VALU_DEP_1)
	v_and_b32_e32 v2, 7, v52
; %bb.134:                              ;   in Loop: Header=BB333_9 Depth=1
	s_or_b32 exec_lo, exec_lo, s30
	s_delay_alu instid0(VALU_DEP_1) | instskip(SKIP_1) | instid1(VALU_DEP_2)
	v_dual_lshlrev_b32 v49, 24, v51 :: v_dual_lshlrev_b32 v2, 20, v2
	v_lshl_add_u32 v48, v48, 23, 0x3c000000
	v_and_b32_e32 v49, 0x80000000, v49
	s_delay_alu instid0(VALU_DEP_1)
	v_or3_b32 v49, v2, v49, v48
.LBB333_135:                            ;   in Loop: Header=BB333_9 Depth=1
	s_or_b32 exec_lo, exec_lo, s29
.LBB333_136:                            ;   in Loop: Header=BB333_9 Depth=1
	s_delay_alu instid0(SALU_CYCLE_1)
	s_or_b32 exec_lo, exec_lo, s28
.LBB333_137:                            ;   in Loop: Header=BB333_9 Depth=1
	s_delay_alu instid0(SALU_CYCLE_1)
	s_or_b32 exec_lo, exec_lo, s27
	s_wait_kmcnt 0x0
	v_fma_mixlo_bf16 v41, s5, v41, 0
	v_fma_mixlo_bf16 v40, s5, v40, 0
	;; [unrolled: 1-line block ×5, first 2 shown]
	s_delay_alu instid0(VALU_DEP_4) | instskip(SKIP_3) | instid1(VALU_DEP_4)
	v_dual_lshlrev_b32 v41, 16, v41 :: v_dual_lshlrev_b32 v40, 16, v40
	v_fma_mixlo_bf16 v36, s5, v36, 0
	v_lshlrev_b32_e32 v43, 16, v43
	v_fma_mixlo_bf16 v45, s5, v45, 0
	v_dual_mul_f32 v41, v17, v41 :: v_dual_mul_f32 v40, v18, v40
	v_lshlrev_b32_e32 v42, 16, v42
	v_fma_mixlo_bf16 v44, s5, v44, 0
	v_fma_mixlo_bf16 v39, s5, v39, 0
	v_mul_f32_e32 v43, v19, v43
	v_fma_mix_f32_bf16 v36, v12, v36, v41 op_sel_hi:[0,1,0]
	v_fma_mix_f32_bf16 v37, v13, v37, v40 op_sel_hi:[0,1,0]
	v_fma_mixlo_bf16 v2, s5, v9, 0
	v_fma_mixlo_bf16 v8, s5, v8, 0
	;; [unrolled: 1-line block ×4, first 2 shown]
	v_mul_f32_e32 v40, v20, v42
	v_fma_mix_f32_bf16 v39, v14, v39, v43 op_sel_hi:[0,1,0]
	v_fma_mix_f32_bf16 v36, v22, v44, v36 op_sel_hi:[0,1,0]
	;; [unrolled: 1-line block ×3, first 2 shown]
	v_fma_mixlo_bf16 v46, s5, v46, 0
	v_fma_mixlo_bf16 v41, s5, v50, 0
	v_fma_mix_f32_bf16 v38, v15, v38, v40 op_sel_hi:[0,1,0]
	v_fma_mix_f32_bf16 v9, v26, v9, v39 op_sel_hi:[0,1,0]
	;; [unrolled: 1-line block ×4, first 2 shown]
	v_fma_mixlo_bf16 v36, s5, v49, 0
	v_fma_mix_f32_bf16 v37, v27, v46, v38 op_sel_hi:[0,1,0]
	v_fma_mix_f32_bf16 v9, v30, v41, v9 op_sel_hi:[0,1,0]
	s_delay_alu instid0(VALU_DEP_4) | instskip(NEXT) | instid1(VALU_DEP_3)
	v_add_f32_e32 v2, v8, v2
	v_fma_mix_f32_bf16 v8, v31, v36, v37 op_sel_hi:[0,1,0]
	s_delay_alu instid0(VALU_DEP_2) | instskip(NEXT) | instid1(VALU_DEP_1)
	v_add_f32_e32 v2, v2, v9
	v_add_f32_e32 v2, v2, v8
	ds_bpermute_b32 v8, v32, v2
	s_and_saveexec_b32 s27, vcc_lo
	s_cbranch_execz .LBB333_8
; %bb.138:                              ;   in Loop: Header=BB333_9 Depth=1
	s_wait_dscnt 0x0
	v_dual_add_f32 v2, v2, v8 :: v_dual_add_nc_u32 v9, s26, v33
	v_cmp_gt_i32_e64 s4, s23, v33
	s_delay_alu instid0(VALU_DEP_2) | instskip(NEXT) | instid1(VALU_DEP_1)
	v_cvt_f32_i32_e32 v9, v9
	v_mul_f32_e32 v9, s18, v9
	s_delay_alu instid0(VALU_DEP_1) | instskip(NEXT) | instid1(VALU_DEP_1)
	v_cndmask_b32_e64 v8, 0, v9, s3
	v_dual_fmac_f32 v8, s19, v2 :: v_dual_max_num_f32 v9, v21, v21
	s_delay_alu instid0(VALU_DEP_1) | instskip(NEXT) | instid1(VALU_DEP_1)
	v_dual_max_num_f32 v2, v9, v8 :: v_dual_cndmask_b32 v8, 0, v8, s4
	v_cndmask_b32_e64 v21, v21, v2, s4
	ds_store_b32 v34, v8
	s_branch .LBB333_8
.LBB333_139:
	s_or_b32 exec_lo, exec_lo, s11
.LBB333_140:
	s_delay_alu instid0(SALU_CYCLE_1)
	s_or_b32 exec_lo, exec_lo, s24
	v_dual_max_num_f32 v6, v21, v21 :: v_dual_bitop2_b32 v2, 16, v10 bitop3:0x14
	v_xor_b32_e32 v7, 4, v10
	v_xor_b32_e32 v5, 8, v10
	s_wait_kmcnt 0x0
	s_clause 0x1
	s_load_b64 s[4:5], s[0:1], 0x0
	s_load_b64 s[18:19], s[0:1], 0x18
	v_cmp_lt_i32_e32 vcc_lo, v2, v11
	v_dual_cndmask_b32 v2, v10, v2, vcc_lo :: v_dual_bitop2_b32 v26, 31, v0 bitop3:0x40
	v_cmp_lt_i32_e32 vcc_lo, v5, v11
	s_delay_alu instid0(VALU_DEP_2) | instskip(SKIP_3) | instid1(VALU_DEP_1)
	v_dual_cndmask_b32 v5, v10, v5 :: v_dual_lshlrev_b32 v4, 2, v2
	ds_bpermute_b32 v2, v4, v21
	s_wait_dscnt 0x0
	v_dual_max_num_f32 v2, v2, v2 :: v_dual_lshlrev_b32 v5, 2, v5
	v_max_num_f32_e32 v2, v6, v2
	ds_bpermute_b32 v6, v5, v2
	s_wait_dscnt 0x0
	v_max_num_f32_e32 v8, v6, v6
	s_delay_alu instid0(VALU_DEP_1) | instskip(SKIP_2) | instid1(VALU_DEP_1)
	v_max_num_f32_e32 v2, v2, v8
	v_cmp_lt_i32_e32 vcc_lo, v7, v11
	v_cndmask_b32_e32 v7, v10, v7, vcc_lo
	v_lshlrev_b32_e32 v6, 2, v7
	ds_bpermute_b32 v7, v6, v2
	s_wait_dscnt 0x0
	v_dual_max_num_f32 v7, v7, v7 :: v_dual_bitop2_b32 v8, 2, v10 bitop3:0x14
	s_delay_alu instid0(VALU_DEP_1) | instskip(SKIP_1) | instid1(VALU_DEP_3)
	v_cmp_lt_i32_e32 vcc_lo, v8, v11
	v_cndmask_b32_e32 v9, v10, v8, vcc_lo
	v_dual_max_num_f32 v8, v2, v7 :: v_dual_lshlrev_b32 v7, 2, v25
	v_cmp_eq_u32_e32 vcc_lo, 0, v26
	s_delay_alu instid0(VALU_DEP_3)
	v_lshlrev_b32_e32 v2, 2, v9
	ds_bpermute_b32 v9, v2, v8
	s_wait_xcnt 0x0
	s_and_saveexec_b32 s0, vcc_lo
	s_cbranch_execz .LBB333_142
; %bb.141:
	s_wait_dscnt 0x0
	v_dual_max_num_f32 v9, v9, v9 :: v_dual_max_num_f32 v8, v8, v8
	s_delay_alu instid0(VALU_DEP_1)
	v_max_num_f32_e32 v8, v8, v9
	ds_store_b32 v7, v8 offset:64
.LBB333_142:
	s_or_b32 exec_lo, exec_lo, s0
	v_cmp_gt_u32_e64 s0, 4, v26
	s_wait_dscnt 0x0
	v_dual_mov_b32 v9, 0xff7fffff :: v_dual_lshlrev_b32 v8, 2, v26
	s_barrier_signal -1
	s_barrier_wait -1
	s_and_saveexec_b32 s1, s0
; %bb.143:
	ds_load_b32 v9, v8 offset:64
; %bb.144:
	s_or_b32 exec_lo, exec_lo, s1
	s_wait_dscnt 0x0
	ds_bpermute_b32 v12, v2, v9
	v_dual_max_num_f32 v9, v9, v9 :: v_dual_bitop2_b32 v13, 1, v10 bitop3:0x14
	v_lshlrev_b32_e32 v3, 2, v3
	s_delay_alu instid0(VALU_DEP_2) | instskip(NEXT) | instid1(VALU_DEP_1)
	v_cmp_lt_i32_e64 s1, v13, v11
	v_cndmask_b32_e64 v11, v10, v13, s1
	s_lshl_b32 s1, s13, 4
	s_delay_alu instid0(SALU_CYCLE_1) | instskip(NEXT) | instid1(SALU_CYCLE_1)
	s_min_i32 s11, s1, s23
	v_cmp_gt_i32_e64 s1, s11, v0
	s_wait_dscnt 0x0
	v_dual_max_num_f32 v12, v12, v12 :: v_dual_lshlrev_b32 v27, 2, v11
	s_delay_alu instid0(VALU_DEP_1) | instskip(SKIP_3) | instid1(VALU_DEP_1)
	v_max_num_f32_e32 v9, v9, v12
	ds_bpermute_b32 v11, v27, v9
	s_wait_dscnt 0x0
	v_max_num_f32_e32 v11, v11, v11
	v_max_num_f32_e32 v9, v9, v11
	ds_bpermute_b32 v9, v3, v9
	v_mov_b32_e32 v3, 0
	s_and_saveexec_b32 s24, s1
	s_cbranch_execz .LBB333_148
; %bb.145:
	v_lshl_add_u32 v11, v0, 2, 0x60
	v_dual_mov_b32 v3, 0 :: v_dual_mov_b32 v12, v0
	s_mov_b32 s25, 0
.LBB333_146:                            ; =>This Inner Loop Header: Depth=1
	ds_load_b32 v13, v11
	v_add_nc_u32_e32 v12, 0x80, v12
	s_delay_alu instid0(VALU_DEP_1) | instskip(SKIP_3) | instid1(VALU_DEP_1)
	v_cmp_le_i32_e64 s3, s11, v12
	s_or_b32 s25, s3, s25
	s_wait_dscnt 0x0
	v_sub_f32_e32 v13, v13, v9
	v_mul_f32_e32 v13, 0x3fb8aa3b, v13
	s_delay_alu instid0(VALU_DEP_1)
	v_exp_f32_e32 v13, v13
	ds_store_b32 v11, v13
	v_nop
	v_add_f32_e32 v3, v3, v13
	v_add_nc_u32_e32 v11, 0x200, v11
	s_and_not1_b32 exec_lo, exec_lo, s25
	s_cbranch_execnz .LBB333_146
; %bb.147:
	s_or_b32 exec_lo, exec_lo, s25
.LBB333_148:
	s_delay_alu instid0(SALU_CYCLE_1)
	s_or_b32 exec_lo, exec_lo, s24
	ds_bpermute_b32 v4, v4, v3
	s_wait_dscnt 0x0
	v_add_f32_e32 v3, v3, v4
	ds_bpermute_b32 v4, v5, v3
	s_wait_dscnt 0x0
	v_add_f32_e32 v3, v3, v4
	;; [unrolled: 3-line block ×5, first 2 shown]
	s_and_saveexec_b32 s3, vcc_lo
; %bb.149:
	ds_store_b32 v7, v3 offset:80
; %bb.150:
	s_or_b32 exec_lo, exec_lo, s3
	s_wait_dscnt 0x0
	s_barrier_signal -1
	s_barrier_wait -1
	s_and_saveexec_b32 s3, s0
; %bb.151:
	ds_load_b32 v3, v8 offset:80
; %bb.152:
	s_or_b32 exec_lo, exec_lo, s3
	s_wait_dscnt 0x0
	ds_bpermute_b32 v2, v2, v3
	s_wait_dscnt 0x0
	v_add_f32_e32 v2, v3, v2
	ds_bpermute_b32 v3, v27, v2
	s_wait_dscnt 0x0
	v_dual_lshlrev_b32 v4, 2, v10 :: v_dual_add_f32 v2, v2, v3
	s_delay_alu instid0(VALU_DEP_1)
	v_and_b32_e32 v3, 0xffffff80, v4
	ds_bpermute_b32 v2, v3, v2
	s_and_saveexec_b32 s0, s1
	s_cbranch_execz .LBB333_165
; %bb.153:
	s_wait_dscnt 0x0
	v_add_f32_e32 v2, 0x358637bd, v2
	s_mov_b32 s3, -1
	s_mov_b32 s1, exec_lo
	s_delay_alu instid0(VALU_DEP_1) | instskip(NEXT) | instid1(VALU_DEP_1)
	v_div_scale_f32 v3, null, v2, v2, 1.0
	v_rcp_f32_e32 v5, v3
	v_nop
	s_delay_alu instid0(TRANS32_DEP_1) | instskip(NEXT) | instid1(VALU_DEP_1)
	v_fma_f32 v4, -v3, v5, 1.0
	v_fmac_f32_e32 v5, v4, v5
	v_div_scale_f32 v6, vcc_lo, 1.0, v2, 1.0
	s_delay_alu instid0(VALU_DEP_1) | instskip(NEXT) | instid1(VALU_DEP_1)
	v_mul_f32_e32 v7, v6, v5
	v_fma_f32 v4, -v3, v7, v6
	s_delay_alu instid0(VALU_DEP_1) | instskip(SKIP_1) | instid1(VALU_DEP_2)
	v_fmac_f32_e32 v7, v4, v5
	v_xad_u32 v4, v0, -1, s11
	v_fma_f32 v3, -v3, v7, v6
	s_delay_alu instid0(VALU_DEP_1) | instskip(NEXT) | instid1(VALU_DEP_1)
	v_div_fmas_f32 v3, v3, v5, v7
	v_div_fixup_f32 v2, v3, v2, 1.0
	v_mov_b32_e32 v3, v0
	v_cmpx_lt_u32_e32 0x7f, v4
	s_cbranch_execz .LBB333_162
; %bb.154:
	s_delay_alu instid0(VALU_DEP_3) | instskip(NEXT) | instid1(VALU_DEP_1)
	v_dual_mov_b32 v3, v2 :: v_dual_lshrrev_b32 v4, 7, v4
	v_dual_mov_b32 v8, 0 :: v_dual_add_nc_u32 v5, -1, v4
	s_delay_alu instid0(VALU_DEP_1) | instskip(SKIP_1) | instid1(VALU_DEP_2)
	v_lshrrev_b32_e32 v6, 1, v5
	v_cmp_lt_u32_e32 vcc_lo, 13, v5
	v_add_nc_u32_e32 v5, 1, v6
	s_and_saveexec_b32 s3, vcc_lo
	s_cbranch_execz .LBB333_158
; %bb.155:
	s_delay_alu instid0(VALU_DEP_1)
	v_and_b32_e32 v6, -8, v5
	v_lshl_add_u32 v7, v0, 2, 0x60
	s_mov_b32 s24, 0
	s_mov_b32 s25, 0
.LBB333_156:                            ; =>This Inner Loop Header: Depth=1
	ds_load_2addr_stride64_b32 v[8:9], v7 offset1:2
	ds_load_2addr_stride64_b32 v[10:11], v7 offset0:4 offset1:6
	ds_load_2addr_stride64_b32 v[12:13], v7 offset0:8 offset1:10
	;; [unrolled: 1-line block ×7, first 2 shown]
	s_add_co_i32 s25, s25, 16
	v_add_nc_u32_e32 v6, -8, v6
	s_wait_dscnt 0x7
	v_pk_mul_f32 v[8:9], v[2:3], v[8:9]
	s_wait_dscnt 0x6
	v_pk_mul_f32 v[10:11], v[2:3], v[10:11]
	;; [unrolled: 2-line block ×8, first 2 shown]
	ds_store_2addr_stride64_b32 v7, v8, v9 offset1:2
	ds_store_2addr_stride64_b32 v7, v10, v11 offset0:4 offset1:6
	ds_store_2addr_stride64_b32 v7, v12, v13 offset0:8 offset1:10
	;; [unrolled: 1-line block ×7, first 2 shown]
	v_mov_b32_e32 v8, s25
	v_cmp_eq_u32_e32 vcc_lo, 0, v6
	v_add_nc_u32_e32 v7, 0x2000, v7
	s_or_b32 s24, vcc_lo, s24
	s_delay_alu instid0(SALU_CYCLE_1)
	s_and_not1_b32 exec_lo, exec_lo, s24
	s_cbranch_execnz .LBB333_156
; %bb.157:
	s_or_b32 exec_lo, exec_lo, s24
.LBB333_158:
	s_delay_alu instid0(SALU_CYCLE_1) | instskip(NEXT) | instid1(VALU_DEP_1)
	s_or_b32 exec_lo, exec_lo, s3
	v_and_b32_e32 v5, 7, v5
	s_mov_b32 s24, 0
	s_mov_b32 s3, exec_lo
	s_delay_alu instid0(VALU_DEP_1)
	v_cmpx_ne_u32_e32 0, v5
	s_cbranch_execz .LBB333_161
; %bb.159:
	v_lshlrev_b32_e32 v6, 9, v8
	v_lshlrev_b32_e32 v7, 2, v0
	s_delay_alu instid0(VALU_DEP_1)
	v_add3_u32 v6, v6, v7, 0x60
.LBB333_160:                            ; =>This Inner Loop Header: Depth=1
	ds_load_2addr_stride64_b32 v[8:9], v6 offset1:2
	v_add_nc_u32_e32 v5, -1, v5
	s_delay_alu instid0(VALU_DEP_1)
	v_cmp_eq_u32_e32 vcc_lo, 0, v5
	s_or_b32 s24, vcc_lo, s24
	s_wait_dscnt 0x0
	v_pk_mul_f32 v[8:9], v[2:3], v[8:9]
	ds_store_2addr_stride64_b32 v6, v8, v9 offset1:2
	v_add_nc_u32_e32 v6, 0x400, v6
	s_and_not1_b32 exec_lo, exec_lo, s24
	s_cbranch_execnz .LBB333_160
.LBB333_161:
	s_or_b32 exec_lo, exec_lo, s3
	v_add_nc_u32_e32 v3, 1, v4
	s_delay_alu instid0(VALU_DEP_1) | instskip(NEXT) | instid1(VALU_DEP_1)
	v_and_b32_e32 v4, 0x3fffffe, v3
	v_cmp_ne_u32_e32 vcc_lo, v3, v4
	v_lshl_add_u32 v3, v4, 7, v0
	s_or_not1_b32 s3, vcc_lo, exec_lo
.LBB333_162:
	s_or_b32 exec_lo, exec_lo, s1
	s_delay_alu instid0(SALU_CYCLE_1)
	s_and_b32 exec_lo, exec_lo, s3
	s_cbranch_execz .LBB333_165
; %bb.163:
	v_lshl_add_u32 v4, v3, 2, 0x60
	s_mov_b32 s1, 0
.LBB333_164:                            ; =>This Inner Loop Header: Depth=1
	ds_load_b32 v5, v4
	v_add_nc_u32_e32 v3, 0x80, v3
	s_delay_alu instid0(VALU_DEP_1)
	v_cmp_le_i32_e32 vcc_lo, s11, v3
	s_or_b32 s1, vcc_lo, s1
	s_wait_dscnt 0x0
	v_mul_f32_e32 v5, v2, v5
	ds_store_b32 v4, v5
	v_add_nc_u32_e32 v4, 0x200, v4
	s_and_not1_b32 exec_lo, exec_lo, s1
	s_cbranch_execnz .LBB333_164
.LBB333_165:
	s_or_b32 exec_lo, exec_lo, s0
	v_mov_b32_e32 v11, 0
	s_wait_dscnt 0x0
	s_barrier_signal -1
	s_barrier_wait -1
	s_delay_alu instid0(VALU_DEP_1)
	v_mov_b32_e32 v10, v11
	s_and_saveexec_b32 s1, s2
	s_cbranch_execz .LBB333_293
; %bb.166:
	v_dual_mov_b32 v13, 0 :: v_dual_lshlrev_b32 v2, 3, v0
	s_load_b32 s6, s[6:7], 0x0
	s_ashr_i32 s11, s10, 31
	v_dual_lshlrev_b32 v3, 5, v24 :: v_dual_lshlrev_b32 v4, 4, v25
	s_delay_alu instid0(VALU_DEP_2)
	v_and_b32_e32 v12, 0xf8, v2
	s_wait_kmcnt 0x0
	s_add_nc_u64 s[2:3], s[18:19], s[10:11]
	v_dual_mov_b32 v30, v25 :: v_dual_bitop2_b32 v2, 8, v2 bitop3:0x40
	v_lshl_or_b32 v3, v25, 6, v3
	v_add_nc_u64_e32 v[14:15], s[2:3], v[12:13]
	v_and_b32_e32 v12, 0x7c, v16
	s_lshl_b64 s[2:3], s[14:15], 2
	v_or3_b32 v28, v4, v2, 7
	s_add_nc_u64 s[2:3], s[16:17], s[2:3]
	v_dual_mov_b32 v10, v13 :: v_dual_add_nc_u32 v29, 0x60, v3
	v_add_nc_u64_e32 v[16:17], s[2:3], v[12:13]
	v_mov_b32_e32 v11, v13
	s_mov_b64 s[2:3], 0xffffffffffffff
	s_mov_b32 s7, s9
	s_add_co_i32 s10, s13, -1
	s_mov_b32 s9, 0
	s_branch .LBB333_168
.LBB333_167:                            ;   in Loop: Header=BB333_168 Depth=1
	s_or_b32 exec_lo, exec_lo, s0
	s_wait_dscnt 0x1
	v_cvt_pk_bf16_f32 v6, v6, v7
	v_perm_b32 v7, v35, v36, 0x5040100
	s_wait_dscnt 0x0
	v_cvt_pk_bf16_f32 v3, v2, v3
	v_cvt_pk_bf16_f32 v8, v8, v9
	;; [unrolled: 1-line block ×3, first 2 shown]
	v_perm_b32 v5, v32, v34, 0x5040100
	v_pk_mul_bf16 v2, v6, v7
	v_perm_b32 v7, v22, v23, 0x5040100
	v_perm_b32 v9, v33, v31, 0x5040100
	;; [unrolled: 1-line block ×3, first 2 shown]
	v_pk_mul_bf16 v5, v8, v5
	v_dual_add_nc_u32 v30, 4, v30 :: v_dual_add_nc_u32 v28, 64, v28
	v_pk_mul_bf16 v31, v3, v7
	v_perm_b32 v7, v20, v46, 0x5040100
	v_pk_mul_bf16 v32, v4, v9
	v_perm_b32 v9, v12, v18, 0x5040100
	v_perm_b32 v12, v21, v19, 0x5040100
	v_pk_mul_bf16 v6, v6, v23
	v_pk_mul_bf16 v8, v8, v7
	v_lshlrev_b32_e32 v22, 16, v2
	v_and_b32_e32 v2, 0xffff0000, v2
	v_and_b32_e32 v20, 0xffff0000, v5
	v_pk_mul_bf16 v3, v3, v9
	v_pk_mul_bf16 v12, v4, v12
	v_lshlrev_b32_e32 v7, 16, v6
	v_dual_add_f32 v2, v2, v22 :: v_dual_lshlrev_b32 v22, 16, v5
	v_and_b32_e32 v5, 0xffff0000, v6
	v_and_b32_e32 v4, 0xffff0000, v8
	v_lshlrev_b32_e32 v6, 16, v8
	v_and_b32_e32 v9, 0xffff0000, v3
	v_lshlrev_b32_e32 v19, 16, v3
	v_and_b32_e32 v8, 0xffff0000, v12
	v_dual_lshlrev_b32 v18, 16, v12 :: v_dual_lshlrev_b32 v12, 16, v31
	v_pk_add_f32 v[4:5], v[6:7], v[4:5]
	v_and_b32_e32 v21, 0xffff0000, v31
	v_add_f32_e32 v6, v20, v22
	s_delay_alu instid0(VALU_DEP_4) | instskip(SKIP_1) | instid1(VALU_DEP_4)
	v_pk_add_f32 v[8:9], v[18:19], v[8:9]
	v_and_b32_e32 v18, 0xffff0000, v32
	v_dual_mov_b32 v7, v4 :: v_dual_add_f32 v4, v21, v12
	v_dual_mov_b32 v3, v5 :: v_dual_lshlrev_b32 v12, 16, v32
	s_delay_alu instid0(VALU_DEP_4) | instskip(SKIP_2) | instid1(VALU_DEP_4)
	v_mov_b32_e32 v5, v9
	v_cmp_le_i32_e32 vcc_lo, s13, v30
	v_add_nc_u64_e32 v[16:17], 16, v[16:17]
	v_pk_add_f32 v[2:3], v[6:7], v[2:3]
	v_dual_add_f32 v6, v18, v12 :: v_dual_mov_b32 v7, v8
	v_add_nc_u32_e32 v29, 0x100, v29
	s_or_b32 s9, vcc_lo, s9
	s_delay_alu instid0(VALU_DEP_3) | instskip(NEXT) | instid1(VALU_DEP_1)
	v_pk_add_f32 v[2:3], v[4:5], v[2:3]
	v_pk_add_f32 v[2:3], v[6:7], v[2:3]
	s_delay_alu instid0(VALU_DEP_1)
	v_pk_add_f32 v[10:11], v[10:11], v[2:3]
	s_and_not1_b32 exec_lo, exec_lo, s9
	s_cbranch_execz .LBB333_292
.LBB333_168:                            ; =>This Inner Loop Header: Depth=1
	global_load_b32 v2, v[16:17], off
	v_mov_b32_e32 v31, 0
	s_mov_b32 s0, exec_lo
	s_wait_loadcnt 0x0
	v_mad_nc_i64_i32 v[18:19], v2, s7, v[14:15]
	global_load_b64 v[20:21], v[18:19], off
	ds_load_2addr_b64 v[6:9], v29 offset1:1
	ds_load_2addr_b64 v[2:5], v29 offset0:2 offset1:3
	s_wait_loadcnt 0x0
	v_and_b32_e32 v12, 0xff, v20
	s_delay_alu instid0(VALU_DEP_1)
	v_cmpx_ne_u16_e32 0, v12
	s_cbranch_execz .LBB333_174
; %bb.169:                              ;   in Loop: Header=BB333_168 Depth=1
	v_bfrev_b32_e32 v31, 1
	s_mov_b32 s11, exec_lo
	v_cmpx_ne_u16_e32 0x80, v12
	s_cbranch_execz .LBB333_173
; %bb.170:                              ;   in Loop: Header=BB333_168 Depth=1
	v_and_b32_e32 v12, 0x7f, v20
	v_mov_b32_e32 v31, 0x7f800001
	s_mov_b32 s14, exec_lo
	s_delay_alu instid0(VALU_DEP_2)
	v_cmpx_ne_u32_e32 0x7f, v12
	s_cbranch_execz .LBB333_172
; %bb.171:                              ;   in Loop: Header=BB333_168 Depth=1
	v_and_b32_e32 v22, 7, v20
	v_cmp_gt_u32_e32 vcc_lo, 8, v12
	s_delay_alu instid0(VALU_DEP_2) | instskip(NEXT) | instid1(VALU_DEP_1)
	v_clz_i32_u32_e32 v22, v22
	v_min_u32_e32 v22, 32, v22
	v_lshrrev_b32_e32 v23, 3, v12
	s_delay_alu instid0(VALU_DEP_2) | instskip(SKIP_1) | instid1(VALU_DEP_1)
	v_subrev_nc_u32_e32 v31, 28, v22
	v_sub_nc_u32_e32 v22, 29, v22
	v_dual_cndmask_b32 v12, v23, v22, vcc_lo :: v_dual_cndmask_b32 v22, 0, v31, vcc_lo
	s_delay_alu instid0(VALU_DEP_1) | instskip(NEXT) | instid1(VALU_DEP_2)
	v_lshl_add_u32 v12, v12, 23, 0x3c000000
	v_lshlrev_b64_e32 v[22:23], v22, v[20:21]
	v_lshlrev_b32_e32 v23, 24, v20
	s_delay_alu instid0(VALU_DEP_1) | instskip(NEXT) | instid1(VALU_DEP_3)
	v_and_b32_e32 v23, 0x80000000, v23
	v_lshlrev_b32_e32 v22, 20, v22
	s_delay_alu instid0(VALU_DEP_1) | instskip(NEXT) | instid1(VALU_DEP_1)
	v_and_b32_e32 v22, 0x700000, v22
	v_or3_b32 v31, v22, v23, v12
.LBB333_172:                            ;   in Loop: Header=BB333_168 Depth=1
	s_or_b32 exec_lo, exec_lo, s14
.LBB333_173:                            ;   in Loop: Header=BB333_168 Depth=1
	s_delay_alu instid0(SALU_CYCLE_1)
	s_or_b32 exec_lo, exec_lo, s11
.LBB333_174:                            ;   in Loop: Header=BB333_168 Depth=1
	s_delay_alu instid0(SALU_CYCLE_1) | instskip(SKIP_3) | instid1(VALU_DEP_2)
	s_or_b32 exec_lo, exec_lo, s0
	v_lshrrev_b16 v12, 8, v20
	v_dual_mov_b32 v33, 0 :: v_dual_mov_b32 v35, 0
	s_mov_b32 s0, exec_lo
	v_cmpx_ne_u16_e32 0, v12
	s_cbranch_execz .LBB333_182
; %bb.175:                              ;   in Loop: Header=BB333_168 Depth=1
	v_bfrev_b32_e32 v35, 1
	s_mov_b32 s11, exec_lo
	v_cmpx_ne_u16_e32 0x80, v12
	s_cbranch_execz .LBB333_181
; %bb.176:                              ;   in Loop: Header=BB333_168 Depth=1
	v_and_b32_e32 v12, 0xffff, v12
	v_mov_b32_e32 v35, 0x7f800001
	s_mov_b32 s14, exec_lo
	s_delay_alu instid0(VALU_DEP_2) | instskip(NEXT) | instid1(VALU_DEP_1)
	v_and_b32_e32 v23, 0x7f, v12
	v_cmpx_ne_u32_e32 0x7f, v23
	s_cbranch_execz .LBB333_180
; %bb.177:                              ;   in Loop: Header=BB333_168 Depth=1
	v_dual_lshrrev_b32 v22, 3, v23 :: v_dual_bitop2_b32 v12, 7, v12 bitop3:0x40
	s_mov_b32 s15, exec_lo
	v_cmpx_gt_u32_e32 8, v23
; %bb.178:                              ;   in Loop: Header=BB333_168 Depth=1
	s_delay_alu instid0(VALU_DEP_2) | instskip(NEXT) | instid1(VALU_DEP_1)
	v_clz_i32_u32_e32 v22, v12
	v_min_u32_e32 v22, 32, v22
	s_delay_alu instid0(VALU_DEP_1) | instskip(SKIP_1) | instid1(VALU_DEP_2)
	v_subrev_nc_u32_e32 v23, 28, v22
	v_sub_nc_u32_e32 v22, 29, v22
	v_lshlrev_b64_e32 v[34:35], v23, v[12:13]
	s_delay_alu instid0(VALU_DEP_1)
	v_and_b32_e32 v12, 7, v34
; %bb.179:                              ;   in Loop: Header=BB333_168 Depth=1
	s_or_b32 exec_lo, exec_lo, s15
	v_lshlrev_b32_e32 v23, 16, v20
	s_delay_alu instid0(VALU_DEP_2) | instskip(SKIP_1) | instid1(VALU_DEP_3)
	v_lshlrev_b32_e32 v12, 20, v12
	v_lshl_add_u32 v22, v22, 23, 0x3c000000
	v_and_b32_e32 v23, 0x80000000, v23
	s_delay_alu instid0(VALU_DEP_1)
	v_or3_b32 v35, v12, v23, v22
.LBB333_180:                            ;   in Loop: Header=BB333_168 Depth=1
	s_or_b32 exec_lo, exec_lo, s14
.LBB333_181:                            ;   in Loop: Header=BB333_168 Depth=1
	s_delay_alu instid0(SALU_CYCLE_1)
	s_or_b32 exec_lo, exec_lo, s11
.LBB333_182:                            ;   in Loop: Header=BB333_168 Depth=1
	s_delay_alu instid0(SALU_CYCLE_1) | instskip(SKIP_2) | instid1(VALU_DEP_1)
	s_or_b32 exec_lo, exec_lo, s0
	v_lshrrev_b32_e32 v22, 16, v20
	s_mov_b32 s0, exec_lo
	v_and_b32_e32 v12, 0xff, v22
	s_delay_alu instid0(VALU_DEP_1)
	v_cmpx_ne_u16_e32 0, v12
	s_cbranch_execz .LBB333_190
; %bb.183:                              ;   in Loop: Header=BB333_168 Depth=1
	v_bfrev_b32_e32 v33, 1
	s_mov_b32 s11, exec_lo
	v_cmpx_ne_u16_e32 0x80, v12
	s_cbranch_execz .LBB333_189
; %bb.184:                              ;   in Loop: Header=BB333_168 Depth=1
	v_bfe_u32 v32, v20, 16, 7
	v_mov_b32_e32 v33, 0x7f800001
	s_mov_b32 s14, exec_lo
	s_delay_alu instid0(VALU_DEP_2)
	v_cmpx_ne_u32_e32 0x7f, v32
	s_cbranch_execz .LBB333_188
; %bb.185:                              ;   in Loop: Header=BB333_168 Depth=1
	v_dual_lshrrev_b32 v23, 3, v32 :: v_dual_bitop2_b32 v12, 7, v22 bitop3:0x40
	s_mov_b32 s15, exec_lo
	v_cmpx_gt_u32_e32 8, v32
; %bb.186:                              ;   in Loop: Header=BB333_168 Depth=1
	s_delay_alu instid0(VALU_DEP_2) | instskip(NEXT) | instid1(VALU_DEP_1)
	v_clz_i32_u32_e32 v23, v12
	v_min_u32_e32 v23, 32, v23
	s_delay_alu instid0(VALU_DEP_1) | instskip(NEXT) | instid1(VALU_DEP_1)
	v_subrev_nc_u32_e32 v32, 28, v23
	v_lshlrev_b64_e32 v[32:33], v32, v[12:13]
	s_delay_alu instid0(VALU_DEP_1)
	v_dual_sub_nc_u32 v23, 29, v23 :: v_dual_bitop2_b32 v12, 7, v32 bitop3:0x40
; %bb.187:                              ;   in Loop: Header=BB333_168 Depth=1
	s_or_b32 exec_lo, exec_lo, s15
	s_delay_alu instid0(VALU_DEP_1) | instskip(NEXT) | instid1(VALU_DEP_2)
	v_dual_lshlrev_b32 v22, 24, v22 :: v_dual_lshlrev_b32 v12, 20, v12
	v_lshl_add_u32 v23, v23, 23, 0x3c000000
	s_delay_alu instid0(VALU_DEP_2) | instskip(NEXT) | instid1(VALU_DEP_1)
	v_and_b32_e32 v22, 0x80000000, v22
	v_or3_b32 v33, v12, v22, v23
.LBB333_188:                            ;   in Loop: Header=BB333_168 Depth=1
	s_or_b32 exec_lo, exec_lo, s14
.LBB333_189:                            ;   in Loop: Header=BB333_168 Depth=1
	s_delay_alu instid0(SALU_CYCLE_1)
	s_or_b32 exec_lo, exec_lo, s11
.LBB333_190:                            ;   in Loop: Header=BB333_168 Depth=1
	s_delay_alu instid0(SALU_CYCLE_1)
	s_or_b32 exec_lo, exec_lo, s0
	v_dual_mov_b32 v32, 0 :: v_dual_mov_b32 v34, 0
	s_mov_b32 s0, exec_lo
	v_cmpx_lt_u32_e32 0xffffff, v20
	s_cbranch_execz .LBB333_198
; %bb.191:                              ;   in Loop: Header=BB333_168 Depth=1
	v_lshrrev_b32_e32 v22, 24, v20
	v_bfrev_b32_e32 v34, 1
	s_mov_b32 s11, exec_lo
	s_delay_alu instid0(VALU_DEP_2)
	v_cmpx_ne_u32_e32 0x80, v22
	s_cbranch_execz .LBB333_197
; %bb.192:                              ;   in Loop: Header=BB333_168 Depth=1
	v_bfe_u32 v36, v20, 24, 7
	v_mov_b32_e32 v34, 0x7f800001
	s_mov_b32 s14, exec_lo
	s_delay_alu instid0(VALU_DEP_2)
	v_cmpx_ne_u32_e32 0x7f, v36
	s_cbranch_execz .LBB333_196
; %bb.193:                              ;   in Loop: Header=BB333_168 Depth=1
	v_dual_lshrrev_b32 v23, 3, v36 :: v_dual_bitop2_b32 v12, 7, v22 bitop3:0x40
	s_mov_b32 s15, exec_lo
	v_cmpx_gt_u32_e32 8, v36
; %bb.194:                              ;   in Loop: Header=BB333_168 Depth=1
	s_delay_alu instid0(VALU_DEP_2) | instskip(NEXT) | instid1(VALU_DEP_1)
	v_clz_i32_u32_e32 v23, v12
	v_min_u32_e32 v23, 32, v23
	s_delay_alu instid0(VALU_DEP_1) | instskip(NEXT) | instid1(VALU_DEP_1)
	v_subrev_nc_u32_e32 v34, 28, v23
	v_lshlrev_b64_e32 v[36:37], v34, v[12:13]
	s_delay_alu instid0(VALU_DEP_1)
	v_dual_sub_nc_u32 v23, 29, v23 :: v_dual_bitop2_b32 v12, 7, v36 bitop3:0x40
; %bb.195:                              ;   in Loop: Header=BB333_168 Depth=1
	s_or_b32 exec_lo, exec_lo, s15
	s_delay_alu instid0(VALU_DEP_1) | instskip(NEXT) | instid1(VALU_DEP_2)
	v_dual_lshlrev_b32 v22, 24, v22 :: v_dual_lshlrev_b32 v12, 20, v12
	v_lshl_add_u32 v23, v23, 23, 0x3c000000
	s_delay_alu instid0(VALU_DEP_2) | instskip(NEXT) | instid1(VALU_DEP_1)
	v_and_b32_e32 v22, 0x80000000, v22
	v_or3_b32 v34, v12, v22, v23
.LBB333_196:                            ;   in Loop: Header=BB333_168 Depth=1
	s_or_b32 exec_lo, exec_lo, s14
.LBB333_197:                            ;   in Loop: Header=BB333_168 Depth=1
	s_delay_alu instid0(SALU_CYCLE_1)
	s_or_b32 exec_lo, exec_lo, s11
.LBB333_198:                            ;   in Loop: Header=BB333_168 Depth=1
	s_delay_alu instid0(SALU_CYCLE_1) | instskip(SKIP_3) | instid1(VALU_DEP_2)
	s_or_b32 exec_lo, exec_lo, s0
	v_and_b32_e32 v22, 0xff, v21
	v_mov_b32_e32 v12, v21
	s_mov_b32 s0, exec_lo
	v_cmpx_ne_u16_e32 0, v22
	s_cbranch_execz .LBB333_204
; %bb.199:                              ;   in Loop: Header=BB333_168 Depth=1
	v_bfrev_b32_e32 v32, 1
	s_mov_b32 s11, exec_lo
	v_cmpx_ne_u16_e32 0x80, v22
	s_cbranch_execz .LBB333_203
; %bb.200:                              ;   in Loop: Header=BB333_168 Depth=1
	v_and_b32_e32 v22, 0x7f, v21
	v_mov_b32_e32 v32, 0x7f800001
	s_mov_b32 s14, exec_lo
	s_delay_alu instid0(VALU_DEP_2)
	v_cmpx_ne_u32_e32 0x7f, v22
	s_cbranch_execz .LBB333_202
; %bb.201:                              ;   in Loop: Header=BB333_168 Depth=1
	v_dual_lshrrev_b32 v32, 3, v22 :: v_dual_bitop2_b32 v23, 7, v21 bitop3:0x40
	v_cmp_gt_u32_e32 vcc_lo, 8, v22
	s_delay_alu instid0(VALU_DEP_2) | instskip(NEXT) | instid1(VALU_DEP_1)
	v_clz_i32_u32_e32 v23, v23
	v_min_u32_e32 v23, 32, v23
	s_delay_alu instid0(VALU_DEP_1) | instskip(NEXT) | instid1(VALU_DEP_1)
	v_subrev_nc_u32_e32 v36, 28, v23
	v_dual_cndmask_b32 v22, 0, v36 :: v_dual_sub_nc_u32 v23, 29, v23
	s_delay_alu instid0(VALU_DEP_1) | instskip(NEXT) | instid1(VALU_DEP_2)
	v_cndmask_b32_e32 v32, v32, v23, vcc_lo
	v_lshlrev_b64_e32 v[22:23], v22, v[12:13]
	v_lshlrev_b32_e32 v23, 24, v12
	s_delay_alu instid0(VALU_DEP_3) | instskip(NEXT) | instid1(VALU_DEP_2)
	v_lshl_add_u32 v32, v32, 23, 0x3c000000
	v_and_b32_e32 v23, 0x80000000, v23
	s_delay_alu instid0(VALU_DEP_4) | instskip(NEXT) | instid1(VALU_DEP_1)
	v_lshlrev_b32_e32 v22, 20, v22
	v_and_b32_e32 v22, 0x700000, v22
	s_delay_alu instid0(VALU_DEP_1)
	v_or3_b32 v32, v22, v23, v32
.LBB333_202:                            ;   in Loop: Header=BB333_168 Depth=1
	s_or_b32 exec_lo, exec_lo, s14
.LBB333_203:                            ;   in Loop: Header=BB333_168 Depth=1
	s_delay_alu instid0(SALU_CYCLE_1)
	s_or_b32 exec_lo, exec_lo, s11
.LBB333_204:                            ;   in Loop: Header=BB333_168 Depth=1
	s_delay_alu instid0(SALU_CYCLE_1) | instskip(SKIP_3) | instid1(VALU_DEP_2)
	s_or_b32 exec_lo, exec_lo, s0
	v_lshrrev_b16 v23, 8, v12
	v_dual_mov_b32 v38, 0 :: v_dual_mov_b32 v22, 0
	s_mov_b32 s0, exec_lo
	v_cmpx_ne_u16_e32 0, v23
	s_cbranch_execz .LBB333_212
; %bb.205:                              ;   in Loop: Header=BB333_168 Depth=1
	v_bfrev_b32_e32 v22, 1
	s_mov_b32 s11, exec_lo
	v_cmpx_ne_u16_e32 0x80, v23
	s_cbranch_execz .LBB333_211
; %bb.206:                              ;   in Loop: Header=BB333_168 Depth=1
	v_and_b32_e32 v23, 0xffff, v23
	v_mov_b32_e32 v22, 0x7f800001
	s_mov_b32 s14, exec_lo
	s_delay_alu instid0(VALU_DEP_2) | instskip(NEXT) | instid1(VALU_DEP_1)
	v_and_b32_e32 v37, 0x7f, v23
	v_cmpx_ne_u32_e32 0x7f, v37
	s_cbranch_execz .LBB333_210
; %bb.207:                              ;   in Loop: Header=BB333_168 Depth=1
	v_dual_mov_b32 v23, v13 :: v_dual_bitop2_b32 v22, 7, v23 bitop3:0x40
	v_lshrrev_b32_e32 v36, 3, v37
	s_mov_b32 s15, exec_lo
	v_cmpx_gt_u32_e32 8, v37
; %bb.208:                              ;   in Loop: Header=BB333_168 Depth=1
	s_delay_alu instid0(VALU_DEP_3) | instskip(NEXT) | instid1(VALU_DEP_1)
	v_clz_i32_u32_e32 v36, v22
	v_min_u32_e32 v36, 32, v36
	s_delay_alu instid0(VALU_DEP_1) | instskip(NEXT) | instid1(VALU_DEP_1)
	v_subrev_nc_u32_e32 v37, 28, v36
	v_lshlrev_b64_e32 v[22:23], v37, v[22:23]
	s_delay_alu instid0(VALU_DEP_1)
	v_dual_sub_nc_u32 v36, 29, v36 :: v_dual_bitop2_b32 v22, 7, v22 bitop3:0x40
; %bb.209:                              ;   in Loop: Header=BB333_168 Depth=1
	s_or_b32 exec_lo, exec_lo, s15
	s_delay_alu instid0(VALU_DEP_1) | instskip(NEXT) | instid1(VALU_DEP_2)
	v_dual_lshlrev_b32 v12, 16, v12 :: v_dual_lshlrev_b32 v22, 20, v22
	v_lshl_add_u32 v23, v36, 23, 0x3c000000
	s_delay_alu instid0(VALU_DEP_2) | instskip(NEXT) | instid1(VALU_DEP_1)
	v_and_b32_e32 v12, 0x80000000, v12
	v_or3_b32 v22, v22, v12, v23
.LBB333_210:                            ;   in Loop: Header=BB333_168 Depth=1
	s_or_b32 exec_lo, exec_lo, s14
.LBB333_211:                            ;   in Loop: Header=BB333_168 Depth=1
	s_delay_alu instid0(SALU_CYCLE_1)
	s_or_b32 exec_lo, exec_lo, s11
.LBB333_212:                            ;   in Loop: Header=BB333_168 Depth=1
	s_delay_alu instid0(SALU_CYCLE_1) | instskip(SKIP_2) | instid1(VALU_DEP_1)
	s_or_b32 exec_lo, exec_lo, s0
	v_lshrrev_b32_e32 v23, 16, v21
	s_mov_b32 s0, exec_lo
	v_and_b32_e32 v12, 0xff, v23
	s_delay_alu instid0(VALU_DEP_1)
	v_cmpx_ne_u16_e32 0, v12
	s_cbranch_execz .LBB333_220
; %bb.213:                              ;   in Loop: Header=BB333_168 Depth=1
	v_bfrev_b32_e32 v38, 1
	s_mov_b32 s11, exec_lo
	v_cmpx_ne_u16_e32 0x80, v12
	s_cbranch_execz .LBB333_219
; %bb.214:                              ;   in Loop: Header=BB333_168 Depth=1
	v_bfe_u32 v37, v21, 16, 7
	v_mov_b32_e32 v38, 0x7f800001
	s_mov_b32 s14, exec_lo
	s_delay_alu instid0(VALU_DEP_2)
	v_cmpx_ne_u32_e32 0x7f, v37
	s_cbranch_execz .LBB333_218
; %bb.215:                              ;   in Loop: Header=BB333_168 Depth=1
	v_dual_lshrrev_b32 v36, 3, v37 :: v_dual_bitop2_b32 v12, 7, v23 bitop3:0x40
	s_mov_b32 s15, exec_lo
	v_cmpx_gt_u32_e32 8, v37
; %bb.216:                              ;   in Loop: Header=BB333_168 Depth=1
	s_delay_alu instid0(VALU_DEP_2) | instskip(NEXT) | instid1(VALU_DEP_1)
	v_clz_i32_u32_e32 v36, v12
	v_min_u32_e32 v36, 32, v36
	s_delay_alu instid0(VALU_DEP_1) | instskip(NEXT) | instid1(VALU_DEP_1)
	v_subrev_nc_u32_e32 v37, 28, v36
	v_lshlrev_b64_e32 v[38:39], v37, v[12:13]
	s_delay_alu instid0(VALU_DEP_1)
	v_dual_sub_nc_u32 v36, 29, v36 :: v_dual_bitop2_b32 v12, 7, v38 bitop3:0x40
; %bb.217:                              ;   in Loop: Header=BB333_168 Depth=1
	s_or_b32 exec_lo, exec_lo, s15
	s_delay_alu instid0(VALU_DEP_1) | instskip(NEXT) | instid1(VALU_DEP_2)
	v_dual_lshlrev_b32 v23, 24, v23 :: v_dual_lshlrev_b32 v12, 20, v12
	v_lshl_add_u32 v36, v36, 23, 0x3c000000
	s_delay_alu instid0(VALU_DEP_2) | instskip(NEXT) | instid1(VALU_DEP_1)
	v_and_b32_e32 v23, 0x80000000, v23
	v_or3_b32 v38, v12, v23, v36
.LBB333_218:                            ;   in Loop: Header=BB333_168 Depth=1
	s_or_b32 exec_lo, exec_lo, s14
.LBB333_219:                            ;   in Loop: Header=BB333_168 Depth=1
	s_delay_alu instid0(SALU_CYCLE_1)
	s_or_b32 exec_lo, exec_lo, s11
.LBB333_220:                            ;   in Loop: Header=BB333_168 Depth=1
	s_delay_alu instid0(SALU_CYCLE_1)
	s_or_b32 exec_lo, exec_lo, s0
	v_mov_b32_e32 v12, 0
	s_mov_b32 s0, exec_lo
	v_cmpx_lt_u64_e64 s[2:3], v[20:21]
	s_cbranch_execz .LBB333_228
; %bb.221:                              ;   in Loop: Header=BB333_168 Depth=1
	v_lshrrev_b32_e32 v20, 24, v21
	v_bfrev_b32_e32 v12, 1
	s_mov_b32 s11, exec_lo
	s_delay_alu instid0(VALU_DEP_2)
	v_cmpx_ne_u32_e32 0x80, v20
	s_cbranch_execz .LBB333_227
; %bb.222:                              ;   in Loop: Header=BB333_168 Depth=1
	v_bfe_u32 v23, v21, 24, 7
	v_mov_b32_e32 v12, 0x7f800001
	s_mov_b32 s14, exec_lo
	s_delay_alu instid0(VALU_DEP_2)
	v_cmpx_ne_u32_e32 0x7f, v23
	s_cbranch_execz .LBB333_226
; %bb.223:                              ;   in Loop: Header=BB333_168 Depth=1
	v_dual_lshrrev_b32 v21, 3, v23 :: v_dual_bitop2_b32 v12, 7, v20 bitop3:0x40
	s_mov_b32 s15, exec_lo
	v_cmpx_gt_u32_e32 8, v23
; %bb.224:                              ;   in Loop: Header=BB333_168 Depth=1
	s_delay_alu instid0(VALU_DEP_2) | instskip(NEXT) | instid1(VALU_DEP_1)
	v_clz_i32_u32_e32 v21, v12
	v_min_u32_e32 v21, 32, v21
	s_delay_alu instid0(VALU_DEP_1) | instskip(NEXT) | instid1(VALU_DEP_1)
	v_subrev_nc_u32_e32 v23, 28, v21
	v_lshlrev_b64_e32 v[36:37], v23, v[12:13]
	s_delay_alu instid0(VALU_DEP_1)
	v_dual_sub_nc_u32 v21, 29, v21 :: v_dual_bitop2_b32 v12, 7, v36 bitop3:0x40
; %bb.225:                              ;   in Loop: Header=BB333_168 Depth=1
	s_or_b32 exec_lo, exec_lo, s15
	v_lshlrev_b32_e32 v20, 24, v20
	s_delay_alu instid0(VALU_DEP_2) | instskip(NEXT) | instid1(VALU_DEP_3)
	v_lshlrev_b32_e32 v12, 20, v12
	v_lshl_add_u32 v21, v21, 23, 0x3c000000
	s_delay_alu instid0(VALU_DEP_3) | instskip(NEXT) | instid1(VALU_DEP_1)
	v_and_b32_e32 v20, 0x80000000, v20
	v_or3_b32 v12, v12, v20, v21
.LBB333_226:                            ;   in Loop: Header=BB333_168 Depth=1
	s_or_b32 exec_lo, exec_lo, s14
.LBB333_227:                            ;   in Loop: Header=BB333_168 Depth=1
	s_delay_alu instid0(SALU_CYCLE_1)
	s_or_b32 exec_lo, exec_lo, s11
.LBB333_228:                            ;   in Loop: Header=BB333_168 Depth=1
	s_delay_alu instid0(SALU_CYCLE_1)
	s_or_b32 exec_lo, exec_lo, s0
	v_dual_add_nc_u32 v37, -7, v28 :: v_dual_add_nc_u32 v43, -6, v28
	v_cmp_eq_u32_e32 vcc_lo, s10, v30
	v_fma_mixlo_bf16 v22, s6, v22, 0
	v_fma_mixlo_bf16 v23, s6, v32, 0
	v_fma_mixlo_bf16 v32, s6, v34, 0
	v_fma_mixlo_bf16 v34, s6, v33, 0
	v_fma_mixlo_bf16 v35, s6, v35, 0
	v_fma_mixlo_bf16 v36, s6, v31, 0
	v_fma_mixlo_bf16 v31, s6, v38, 0
	v_fma_mixlo_bf16 v33, s6, v12, 0
	v_dual_add_nc_u32 v42, -5, v28 :: v_dual_add_nc_u32 v41, -4, v28
	v_dual_add_nc_u32 v40, -3, v28 :: v_dual_add_nc_u32 v39, -2, v28
	v_add_nc_u32_e32 v38, -1, v28
	s_and_saveexec_b32 s11, vcc_lo
	s_cbranch_execz .LBB333_230
; %bb.229:                              ;   in Loop: Header=BB333_168 Depth=1
	v_cmp_gt_i32_e64 s0, s23, v37
	s_delay_alu instid0(VALU_DEP_1) | instskip(SKIP_1) | instid1(VALU_DEP_1)
	v_cndmask_b32_e64 v36, 0, v36, s0
	v_cmp_gt_i32_e64 s0, s23, v43
	v_cndmask_b32_e64 v35, 0, v35, s0
	v_cmp_gt_i32_e64 s0, s23, v42
	s_delay_alu instid0(VALU_DEP_1) | instskip(SKIP_1) | instid1(VALU_DEP_1)
	v_cndmask_b32_e64 v34, 0, v34, s0
	v_cmp_gt_i32_e64 s0, s23, v41
	v_cndmask_b32_e64 v32, 0, v32, s0
	;; [unrolled: 5-line block ×4, first 2 shown]
.LBB333_230:                            ;   in Loop: Header=BB333_168 Depth=1
	s_or_b32 exec_lo, exec_lo, s11
	global_load_b64 v[18:19], v[18:19], off offset:256
	v_dual_mov_b32 v45, 0 :: v_dual_mov_b32 v44, 0
	s_mov_b32 s11, exec_lo
	s_wait_loadcnt 0x0
	v_and_b32_e32 v12, 0xff, v18
	s_delay_alu instid0(VALU_DEP_1)
	v_cmpx_ne_u16_e32 0, v12
	s_cbranch_execz .LBB333_236
; %bb.231:                              ;   in Loop: Header=BB333_168 Depth=1
	v_bfrev_b32_e32 v44, 1
	s_mov_b32 s14, exec_lo
	v_cmpx_ne_u16_e32 0x80, v12
	s_cbranch_execz .LBB333_235
; %bb.232:                              ;   in Loop: Header=BB333_168 Depth=1
	v_and_b32_e32 v12, 0x7f, v18
	v_mov_b32_e32 v44, 0x7f800001
	s_mov_b32 s15, exec_lo
	s_delay_alu instid0(VALU_DEP_2)
	v_cmpx_ne_u32_e32 0x7f, v12
	s_cbranch_execz .LBB333_234
; %bb.233:                              ;   in Loop: Header=BB333_168 Depth=1
	v_dual_lshrrev_b32 v21, 3, v12 :: v_dual_bitop2_b32 v20, 7, v18 bitop3:0x40
	v_cmp_gt_u32_e64 s0, 8, v12
	s_delay_alu instid0(VALU_DEP_2) | instskip(NEXT) | instid1(VALU_DEP_1)
	v_clz_i32_u32_e32 v20, v20
	v_min_u32_e32 v20, 32, v20
	s_delay_alu instid0(VALU_DEP_1) | instskip(SKIP_1) | instid1(VALU_DEP_1)
	v_subrev_nc_u32_e32 v44, 28, v20
	v_sub_nc_u32_e32 v20, 29, v20
	v_cndmask_b32_e64 v12, v21, v20, s0
	s_delay_alu instid0(VALU_DEP_3) | instskip(NEXT) | instid1(VALU_DEP_1)
	v_cndmask_b32_e64 v20, 0, v44, s0
	v_lshlrev_b64_e32 v[20:21], v20, v[18:19]
	v_lshlrev_b32_e32 v21, 24, v18
	s_delay_alu instid0(VALU_DEP_1) | instskip(NEXT) | instid1(VALU_DEP_3)
	v_and_b32_e32 v21, 0x80000000, v21
	v_lshlrev_b32_e32 v20, 20, v20
	v_lshl_add_u32 v12, v12, 23, 0x3c000000
	s_delay_alu instid0(VALU_DEP_2) | instskip(NEXT) | instid1(VALU_DEP_1)
	v_and_b32_e32 v20, 0x700000, v20
	v_or3_b32 v44, v20, v21, v12
.LBB333_234:                            ;   in Loop: Header=BB333_168 Depth=1
	s_or_b32 exec_lo, exec_lo, s15
.LBB333_235:                            ;   in Loop: Header=BB333_168 Depth=1
	s_delay_alu instid0(SALU_CYCLE_1)
	s_or_b32 exec_lo, exec_lo, s14
.LBB333_236:                            ;   in Loop: Header=BB333_168 Depth=1
	s_delay_alu instid0(SALU_CYCLE_1) | instskip(SKIP_2) | instid1(VALU_DEP_1)
	s_or_b32 exec_lo, exec_lo, s11
	v_lshrrev_b16 v12, 8, v18
	s_mov_b32 s11, exec_lo
	v_cmpx_ne_u16_e32 0, v12
	s_cbranch_execz .LBB333_244
; %bb.237:                              ;   in Loop: Header=BB333_168 Depth=1
	v_bfrev_b32_e32 v45, 1
	s_mov_b32 s14, exec_lo
	v_cmpx_ne_u16_e32 0x80, v12
	s_cbranch_execz .LBB333_243
; %bb.238:                              ;   in Loop: Header=BB333_168 Depth=1
	v_and_b32_e32 v12, 0xffff, v12
	v_mov_b32_e32 v45, 0x7f800001
	s_mov_b32 s15, exec_lo
	s_delay_alu instid0(VALU_DEP_2) | instskip(NEXT) | instid1(VALU_DEP_1)
	v_and_b32_e32 v21, 0x7f, v12
	v_cmpx_ne_u32_e32 0x7f, v21
	s_cbranch_execz .LBB333_242
; %bb.239:                              ;   in Loop: Header=BB333_168 Depth=1
	v_dual_lshrrev_b32 v20, 3, v21 :: v_dual_bitop2_b32 v12, 7, v12 bitop3:0x40
	s_mov_b32 s16, exec_lo
	v_cmpx_gt_u32_e32 8, v21
; %bb.240:                              ;   in Loop: Header=BB333_168 Depth=1
	s_delay_alu instid0(VALU_DEP_2) | instskip(NEXT) | instid1(VALU_DEP_1)
	v_clz_i32_u32_e32 v20, v12
	v_min_u32_e32 v20, 32, v20
	s_delay_alu instid0(VALU_DEP_1) | instskip(NEXT) | instid1(VALU_DEP_1)
	v_subrev_nc_u32_e32 v21, 28, v20
	v_lshlrev_b64_e32 v[46:47], v21, v[12:13]
	s_delay_alu instid0(VALU_DEP_1)
	v_dual_sub_nc_u32 v20, 29, v20 :: v_dual_bitop2_b32 v12, 7, v46 bitop3:0x40
; %bb.241:                              ;   in Loop: Header=BB333_168 Depth=1
	s_or_b32 exec_lo, exec_lo, s16
	s_delay_alu instid0(VALU_DEP_1) | instskip(NEXT) | instid1(VALU_DEP_2)
	v_dual_lshlrev_b32 v21, 16, v18 :: v_dual_lshlrev_b32 v12, 20, v12
	v_lshl_add_u32 v20, v20, 23, 0x3c000000
	s_delay_alu instid0(VALU_DEP_2) | instskip(NEXT) | instid1(VALU_DEP_1)
	v_and_b32_e32 v21, 0x80000000, v21
	v_or3_b32 v45, v12, v21, v20
.LBB333_242:                            ;   in Loop: Header=BB333_168 Depth=1
	s_or_b32 exec_lo, exec_lo, s15
.LBB333_243:                            ;   in Loop: Header=BB333_168 Depth=1
	s_delay_alu instid0(SALU_CYCLE_1)
	s_or_b32 exec_lo, exec_lo, s14
.LBB333_244:                            ;   in Loop: Header=BB333_168 Depth=1
	s_delay_alu instid0(SALU_CYCLE_1) | instskip(SKIP_3) | instid1(VALU_DEP_2)
	s_or_b32 exec_lo, exec_lo, s11
	v_dual_mov_b32 v47, 0 :: v_dual_lshrrev_b32 v20, 16, v18
	v_mov_b32_e32 v46, 0
	s_mov_b32 s11, exec_lo
	v_and_b32_e32 v12, 0xff, v20
	s_delay_alu instid0(VALU_DEP_1)
	v_cmpx_ne_u16_e32 0, v12
	s_cbranch_execz .LBB333_252
; %bb.245:                              ;   in Loop: Header=BB333_168 Depth=1
	v_bfrev_b32_e32 v46, 1
	s_mov_b32 s14, exec_lo
	v_cmpx_ne_u16_e32 0x80, v12
	s_cbranch_execz .LBB333_251
; %bb.246:                              ;   in Loop: Header=BB333_168 Depth=1
	v_bfe_u32 v48, v18, 16, 7
	v_mov_b32_e32 v46, 0x7f800001
	s_mov_b32 s15, exec_lo
	s_delay_alu instid0(VALU_DEP_2)
	v_cmpx_ne_u32_e32 0x7f, v48
	s_cbranch_execz .LBB333_250
; %bb.247:                              ;   in Loop: Header=BB333_168 Depth=1
	v_and_b32_e32 v12, 7, v20
	v_lshrrev_b32_e32 v21, 3, v48
	s_mov_b32 s16, exec_lo
	v_cmpx_gt_u32_e32 8, v48
; %bb.248:                              ;   in Loop: Header=BB333_168 Depth=1
	s_delay_alu instid0(VALU_DEP_3) | instskip(NEXT) | instid1(VALU_DEP_1)
	v_clz_i32_u32_e32 v21, v12
	v_min_u32_e32 v21, 32, v21
	s_delay_alu instid0(VALU_DEP_1) | instskip(NEXT) | instid1(VALU_DEP_1)
	v_subrev_nc_u32_e32 v46, 28, v21
	v_lshlrev_b64_e32 v[48:49], v46, v[12:13]
	s_delay_alu instid0(VALU_DEP_1)
	v_dual_sub_nc_u32 v21, 29, v21 :: v_dual_bitop2_b32 v12, 7, v48 bitop3:0x40
; %bb.249:                              ;   in Loop: Header=BB333_168 Depth=1
	s_or_b32 exec_lo, exec_lo, s16
	v_lshlrev_b32_e32 v20, 24, v20
	s_delay_alu instid0(VALU_DEP_2) | instskip(NEXT) | instid1(VALU_DEP_3)
	v_lshlrev_b32_e32 v12, 20, v12
	v_lshl_add_u32 v21, v21, 23, 0x3c000000
	s_delay_alu instid0(VALU_DEP_3) | instskip(NEXT) | instid1(VALU_DEP_1)
	v_and_b32_e32 v20, 0x80000000, v20
	v_or3_b32 v46, v12, v20, v21
.LBB333_250:                            ;   in Loop: Header=BB333_168 Depth=1
	s_or_b32 exec_lo, exec_lo, s15
.LBB333_251:                            ;   in Loop: Header=BB333_168 Depth=1
	s_delay_alu instid0(SALU_CYCLE_1)
	s_or_b32 exec_lo, exec_lo, s14
.LBB333_252:                            ;   in Loop: Header=BB333_168 Depth=1
	s_delay_alu instid0(SALU_CYCLE_1) | instskip(NEXT) | instid1(SALU_CYCLE_1)
	s_or_b32 exec_lo, exec_lo, s11
	s_mov_b32 s11, exec_lo
	v_cmpx_lt_u32_e32 0xffffff, v18
	s_cbranch_execz .LBB333_260
; %bb.253:                              ;   in Loop: Header=BB333_168 Depth=1
	v_lshrrev_b32_e32 v20, 24, v18
	v_bfrev_b32_e32 v47, 1
	s_mov_b32 s14, exec_lo
	s_delay_alu instid0(VALU_DEP_2)
	v_cmpx_ne_u32_e32 0x80, v20
	s_cbranch_execz .LBB333_259
; %bb.254:                              ;   in Loop: Header=BB333_168 Depth=1
	v_bfe_u32 v48, v18, 24, 7
	v_mov_b32_e32 v47, 0x7f800001
	s_mov_b32 s15, exec_lo
	s_delay_alu instid0(VALU_DEP_2)
	v_cmpx_ne_u32_e32 0x7f, v48
	s_cbranch_execz .LBB333_258
; %bb.255:                              ;   in Loop: Header=BB333_168 Depth=1
	v_and_b32_e32 v12, 7, v20
	v_lshrrev_b32_e32 v21, 3, v48
	s_mov_b32 s16, exec_lo
	v_cmpx_gt_u32_e32 8, v48
; %bb.256:                              ;   in Loop: Header=BB333_168 Depth=1
	s_delay_alu instid0(VALU_DEP_3) | instskip(NEXT) | instid1(VALU_DEP_1)
	v_clz_i32_u32_e32 v21, v12
	v_min_u32_e32 v21, 32, v21
	s_delay_alu instid0(VALU_DEP_1) | instskip(NEXT) | instid1(VALU_DEP_1)
	v_subrev_nc_u32_e32 v47, 28, v21
	v_lshlrev_b64_e32 v[48:49], v47, v[12:13]
	s_delay_alu instid0(VALU_DEP_1)
	v_dual_sub_nc_u32 v21, 29, v21 :: v_dual_bitop2_b32 v12, 7, v48 bitop3:0x40
; %bb.257:                              ;   in Loop: Header=BB333_168 Depth=1
	s_or_b32 exec_lo, exec_lo, s16
	v_lshlrev_b32_e32 v20, 24, v20
	s_delay_alu instid0(VALU_DEP_2) | instskip(NEXT) | instid1(VALU_DEP_3)
	v_lshlrev_b32_e32 v12, 20, v12
	v_lshl_add_u32 v21, v21, 23, 0x3c000000
	s_delay_alu instid0(VALU_DEP_3) | instskip(NEXT) | instid1(VALU_DEP_1)
	v_and_b32_e32 v20, 0x80000000, v20
	v_or3_b32 v47, v12, v20, v21
.LBB333_258:                            ;   in Loop: Header=BB333_168 Depth=1
	s_or_b32 exec_lo, exec_lo, s15
.LBB333_259:                            ;   in Loop: Header=BB333_168 Depth=1
	s_delay_alu instid0(SALU_CYCLE_1)
	s_or_b32 exec_lo, exec_lo, s14
.LBB333_260:                            ;   in Loop: Header=BB333_168 Depth=1
	s_delay_alu instid0(SALU_CYCLE_1) | instskip(SKIP_4) | instid1(VALU_DEP_3)
	s_or_b32 exec_lo, exec_lo, s11
	v_and_b32_e32 v21, 0xff, v19
	v_dual_mov_b32 v12, v19 :: v_dual_mov_b32 v20, 0
	v_mov_b32_e32 v48, 0
	s_mov_b32 s11, exec_lo
	v_cmpx_ne_u16_e32 0, v21
	s_cbranch_execz .LBB333_266
; %bb.261:                              ;   in Loop: Header=BB333_168 Depth=1
	v_bfrev_b32_e32 v48, 1
	s_mov_b32 s14, exec_lo
	v_cmpx_ne_u16_e32 0x80, v21
	s_cbranch_execz .LBB333_265
; %bb.262:                              ;   in Loop: Header=BB333_168 Depth=1
	v_and_b32_e32 v21, 0x7f, v19
	v_mov_b32_e32 v48, 0x7f800001
	s_mov_b32 s15, exec_lo
	s_delay_alu instid0(VALU_DEP_2)
	v_cmpx_ne_u32_e32 0x7f, v21
	s_cbranch_execz .LBB333_264
; %bb.263:                              ;   in Loop: Header=BB333_168 Depth=1
	v_dual_lshrrev_b32 v49, 3, v21 :: v_dual_bitop2_b32 v48, 7, v19 bitop3:0x40
	v_cmp_gt_u32_e64 s0, 8, v21
	s_delay_alu instid0(VALU_DEP_2) | instskip(NEXT) | instid1(VALU_DEP_1)
	v_clz_i32_u32_e32 v48, v48
	v_min_u32_e32 v48, 32, v48
	s_delay_alu instid0(VALU_DEP_1) | instskip(SKIP_1) | instid1(VALU_DEP_1)
	v_subrev_nc_u32_e32 v50, 28, v48
	v_sub_nc_u32_e32 v48, 29, v48
	v_dual_cndmask_b32 v21, v49, v48, s0 :: v_dual_cndmask_b32 v48, 0, v50, s0
	s_delay_alu instid0(VALU_DEP_1) | instskip(NEXT) | instid1(VALU_DEP_2)
	v_lshl_add_u32 v21, v21, 23, 0x3c000000
	v_lshlrev_b64_e32 v[48:49], v48, v[12:13]
	v_lshlrev_b32_e32 v49, 24, v12
	s_delay_alu instid0(VALU_DEP_1) | instskip(NEXT) | instid1(VALU_DEP_3)
	v_and_b32_e32 v49, 0x80000000, v49
	v_lshlrev_b32_e32 v48, 20, v48
	s_delay_alu instid0(VALU_DEP_1) | instskip(NEXT) | instid1(VALU_DEP_1)
	v_and_b32_e32 v48, 0x700000, v48
	v_or3_b32 v48, v48, v49, v21
.LBB333_264:                            ;   in Loop: Header=BB333_168 Depth=1
	s_or_b32 exec_lo, exec_lo, s15
.LBB333_265:                            ;   in Loop: Header=BB333_168 Depth=1
	s_delay_alu instid0(SALU_CYCLE_1)
	s_or_b32 exec_lo, exec_lo, s14
.LBB333_266:                            ;   in Loop: Header=BB333_168 Depth=1
	s_delay_alu instid0(SALU_CYCLE_1) | instskip(SKIP_2) | instid1(VALU_DEP_1)
	s_or_b32 exec_lo, exec_lo, s11
	v_lshrrev_b16 v21, 8, v12
	s_mov_b32 s11, exec_lo
	v_cmpx_ne_u16_e32 0, v21
	s_cbranch_execz .LBB333_274
; %bb.267:                              ;   in Loop: Header=BB333_168 Depth=1
	v_bfrev_b32_e32 v20, 1
	s_mov_b32 s14, exec_lo
	v_cmpx_ne_u16_e32 0x80, v21
	s_cbranch_execz .LBB333_273
; %bb.268:                              ;   in Loop: Header=BB333_168 Depth=1
	v_and_b32_e32 v21, 0xffff, v21
	v_mov_b32_e32 v20, 0x7f800001
	s_mov_b32 s15, exec_lo
	s_delay_alu instid0(VALU_DEP_2) | instskip(NEXT) | instid1(VALU_DEP_1)
	v_and_b32_e32 v50, 0x7f, v21
	v_cmpx_ne_u32_e32 0x7f, v50
	s_cbranch_execz .LBB333_272
; %bb.269:                              ;   in Loop: Header=BB333_168 Depth=1
	v_dual_mov_b32 v21, v13 :: v_dual_bitop2_b32 v20, 7, v21 bitop3:0x40
	v_lshrrev_b32_e32 v49, 3, v50
	s_mov_b32 s16, exec_lo
	v_cmpx_gt_u32_e32 8, v50
; %bb.270:                              ;   in Loop: Header=BB333_168 Depth=1
	s_delay_alu instid0(VALU_DEP_3) | instskip(NEXT) | instid1(VALU_DEP_1)
	v_clz_i32_u32_e32 v49, v20
	v_min_u32_e32 v49, 32, v49
	s_delay_alu instid0(VALU_DEP_1) | instskip(NEXT) | instid1(VALU_DEP_1)
	v_subrev_nc_u32_e32 v50, 28, v49
	v_lshlrev_b64_e32 v[20:21], v50, v[20:21]
	s_delay_alu instid0(VALU_DEP_1)
	v_dual_sub_nc_u32 v49, 29, v49 :: v_dual_bitop2_b32 v20, 7, v20 bitop3:0x40
; %bb.271:                              ;   in Loop: Header=BB333_168 Depth=1
	s_or_b32 exec_lo, exec_lo, s16
	v_lshlrev_b32_e32 v12, 16, v12
	s_delay_alu instid0(VALU_DEP_2) | instskip(NEXT) | instid1(VALU_DEP_3)
	v_lshlrev_b32_e32 v20, 20, v20
	v_lshl_add_u32 v21, v49, 23, 0x3c000000
	s_delay_alu instid0(VALU_DEP_3) | instskip(NEXT) | instid1(VALU_DEP_1)
	v_and_b32_e32 v12, 0x80000000, v12
	v_or3_b32 v20, v20, v12, v21
.LBB333_272:                            ;   in Loop: Header=BB333_168 Depth=1
	s_or_b32 exec_lo, exec_lo, s15
.LBB333_273:                            ;   in Loop: Header=BB333_168 Depth=1
	s_delay_alu instid0(SALU_CYCLE_1)
	s_or_b32 exec_lo, exec_lo, s14
.LBB333_274:                            ;   in Loop: Header=BB333_168 Depth=1
	s_delay_alu instid0(SALU_CYCLE_1) | instskip(SKIP_3) | instid1(VALU_DEP_2)
	s_or_b32 exec_lo, exec_lo, s11
	v_dual_mov_b32 v21, 0 :: v_dual_lshrrev_b32 v50, 16, v19
	v_mov_b32_e32 v49, 0
	s_mov_b32 s11, exec_lo
	v_and_b32_e32 v12, 0xff, v50
	s_delay_alu instid0(VALU_DEP_1)
	v_cmpx_ne_u16_e32 0, v12
	s_cbranch_execz .LBB333_282
; %bb.275:                              ;   in Loop: Header=BB333_168 Depth=1
	v_bfrev_b32_e32 v49, 1
	s_mov_b32 s14, exec_lo
	v_cmpx_ne_u16_e32 0x80, v12
	s_cbranch_execz .LBB333_281
; %bb.276:                              ;   in Loop: Header=BB333_168 Depth=1
	v_bfe_u32 v51, v19, 16, 7
	v_mov_b32_e32 v49, 0x7f800001
	s_mov_b32 s15, exec_lo
	s_delay_alu instid0(VALU_DEP_2)
	v_cmpx_ne_u32_e32 0x7f, v51
	s_cbranch_execz .LBB333_280
; %bb.277:                              ;   in Loop: Header=BB333_168 Depth=1
	v_dual_lshrrev_b32 v49, 3, v51 :: v_dual_bitop2_b32 v12, 7, v50 bitop3:0x40
	s_mov_b32 s16, exec_lo
	v_cmpx_gt_u32_e32 8, v51
; %bb.278:                              ;   in Loop: Header=BB333_168 Depth=1
	s_delay_alu instid0(VALU_DEP_2) | instskip(NEXT) | instid1(VALU_DEP_1)
	v_clz_i32_u32_e32 v49, v12
	v_min_u32_e32 v49, 32, v49
	s_delay_alu instid0(VALU_DEP_1) | instskip(NEXT) | instid1(VALU_DEP_1)
	v_subrev_nc_u32_e32 v51, 28, v49
	v_lshlrev_b64_e32 v[52:53], v51, v[12:13]
	s_delay_alu instid0(VALU_DEP_1)
	v_dual_sub_nc_u32 v49, 29, v49 :: v_dual_bitop2_b32 v12, 7, v52 bitop3:0x40
; %bb.279:                              ;   in Loop: Header=BB333_168 Depth=1
	s_or_b32 exec_lo, exec_lo, s16
	s_delay_alu instid0(VALU_DEP_1) | instskip(NEXT) | instid1(VALU_DEP_2)
	v_dual_lshlrev_b32 v50, 24, v50 :: v_dual_lshlrev_b32 v12, 20, v12
	v_lshl_add_u32 v49, v49, 23, 0x3c000000
	s_delay_alu instid0(VALU_DEP_2) | instskip(NEXT) | instid1(VALU_DEP_1)
	v_and_b32_e32 v50, 0x80000000, v50
	v_or3_b32 v49, v12, v50, v49
.LBB333_280:                            ;   in Loop: Header=BB333_168 Depth=1
	s_or_b32 exec_lo, exec_lo, s15
.LBB333_281:                            ;   in Loop: Header=BB333_168 Depth=1
	s_delay_alu instid0(SALU_CYCLE_1)
	s_or_b32 exec_lo, exec_lo, s14
.LBB333_282:                            ;   in Loop: Header=BB333_168 Depth=1
	s_delay_alu instid0(SALU_CYCLE_1) | instskip(NEXT) | instid1(SALU_CYCLE_1)
	s_or_b32 exec_lo, exec_lo, s11
	s_mov_b32 s11, exec_lo
	v_cmpx_lt_u64_e64 s[2:3], v[18:19]
	s_cbranch_execz .LBB333_290
; %bb.283:                              ;   in Loop: Header=BB333_168 Depth=1
	v_lshrrev_b32_e32 v18, 24, v19
	v_bfrev_b32_e32 v21, 1
	s_mov_b32 s14, exec_lo
	s_delay_alu instid0(VALU_DEP_2)
	v_cmpx_ne_u32_e32 0x80, v18
	s_cbranch_execz .LBB333_289
; %bb.284:                              ;   in Loop: Header=BB333_168 Depth=1
	v_bfe_u32 v50, v19, 24, 7
	v_mov_b32_e32 v21, 0x7f800001
	s_mov_b32 s15, exec_lo
	s_delay_alu instid0(VALU_DEP_2)
	v_cmpx_ne_u32_e32 0x7f, v50
	s_cbranch_execz .LBB333_288
; %bb.285:                              ;   in Loop: Header=BB333_168 Depth=1
	v_and_b32_e32 v12, 7, v18
	v_lshrrev_b32_e32 v19, 3, v50
	s_mov_b32 s16, exec_lo
	v_cmpx_gt_u32_e32 8, v50
; %bb.286:                              ;   in Loop: Header=BB333_168 Depth=1
	s_delay_alu instid0(VALU_DEP_3) | instskip(NEXT) | instid1(VALU_DEP_1)
	v_clz_i32_u32_e32 v19, v12
	v_min_u32_e32 v19, 32, v19
	s_delay_alu instid0(VALU_DEP_1) | instskip(NEXT) | instid1(VALU_DEP_1)
	v_subrev_nc_u32_e32 v21, 28, v19
	v_lshlrev_b64_e32 v[50:51], v21, v[12:13]
	s_delay_alu instid0(VALU_DEP_1)
	v_dual_sub_nc_u32 v19, 29, v19 :: v_dual_bitop2_b32 v12, 7, v50 bitop3:0x40
; %bb.287:                              ;   in Loop: Header=BB333_168 Depth=1
	s_or_b32 exec_lo, exec_lo, s16
	s_delay_alu instid0(VALU_DEP_1) | instskip(NEXT) | instid1(VALU_DEP_2)
	v_dual_lshlrev_b32 v18, 24, v18 :: v_dual_lshlrev_b32 v12, 20, v12
	v_lshl_add_u32 v19, v19, 23, 0x3c000000
	s_delay_alu instid0(VALU_DEP_2) | instskip(NEXT) | instid1(VALU_DEP_1)
	v_and_b32_e32 v18, 0x80000000, v18
	v_or3_b32 v21, v12, v18, v19
.LBB333_288:                            ;   in Loop: Header=BB333_168 Depth=1
	s_or_b32 exec_lo, exec_lo, s15
.LBB333_289:                            ;   in Loop: Header=BB333_168 Depth=1
	s_delay_alu instid0(SALU_CYCLE_1)
	s_or_b32 exec_lo, exec_lo, s14
.LBB333_290:                            ;   in Loop: Header=BB333_168 Depth=1
	s_delay_alu instid0(SALU_CYCLE_1)
	s_or_b32 exec_lo, exec_lo, s11
	v_fma_mixlo_bf16 v12, s6, v20, 0
	v_fma_mixlo_bf16 v18, s6, v48, 0
	;; [unrolled: 1-line block ×8, first 2 shown]
	s_and_saveexec_b32 s0, vcc_lo
	s_cbranch_execz .LBB333_167
; %bb.291:                              ;   in Loop: Header=BB333_168 Depth=1
	v_cmp_gt_i32_e32 vcc_lo, s23, v37
	v_cndmask_b32_e32 v44, 0, v44, vcc_lo
	v_cmp_gt_i32_e32 vcc_lo, s23, v43
	v_cndmask_b32_e32 v45, 0, v45, vcc_lo
	;; [unrolled: 2-line block ×8, first 2 shown]
	s_branch .LBB333_167
.LBB333_292:
	s_or_b32 exec_lo, exec_lo, s9
.LBB333_293:
	s_delay_alu instid0(SALU_CYCLE_1)
	s_or_b32 exec_lo, exec_lo, s1
	ds_bpermute_b32 v2, v27, v10
	ds_bpermute_b32 v3, v27, v11
	v_lshrrev_b32_e32 v4, 1, v26
	v_and_b32_e32 v6, 0x3c1, v0
	s_mov_b32 s0, exec_lo
	s_wait_dscnt 0x0
	s_barrier_signal -1
	v_lshl_add_u32 v5, v4, 2, 0x60
	s_barrier_wait -1
	v_pk_add_f32 v[2:3], v[10:11], v[2:3]
	v_cmpx_eq_u32_e32 64, v6
	s_cbranch_execz .LBB333_295
; %bb.294:
	v_lshl_add_u32 v6, v25, 7, v5
	s_delay_alu instid0(VALU_DEP_1)
	v_add_nc_u32_e32 v7, 0xffffff00, v6
	v_add_nc_u32_e32 v6, 0xffffff40, v6
	ds_store_b32 v7, v2
	ds_store_b32 v6, v3
.LBB333_295:
	s_or_b32 exec_lo, exec_lo, s0
	v_and_b32_e32 v6, 0x3e0, v0
	v_lshlrev_b32_e32 v4, 2, v4
	s_mov_b32 s1, exec_lo
	v_cmp_eq_u32_e32 vcc_lo, 0, v24
	s_wait_dscnt 0x0
	v_lshlrev_b32_e32 v6, 2, v6
	s_barrier_signal -1
	s_barrier_wait -1
	s_delay_alu instid0(VALU_DEP_1)
	v_add3_u32 v4, 0x60, v6, v4
	v_cmpx_gt_u32_e32 64, v0
	s_cbranch_execz .LBB333_301
; %bb.296:
	s_and_saveexec_b32 s0, vcc_lo
	s_cbranch_execz .LBB333_298
; %bb.297:
	ds_load_b32 v6, v4
	s_wait_dscnt 0x0
	v_add_f32_e32 v2, v2, v6
.LBB333_298:
	s_or_b32 exec_lo, exec_lo, s0
	s_and_saveexec_b32 s0, vcc_lo
	s_cbranch_execz .LBB333_300
; %bb.299:
	ds_load_b32 v6, v4 offset:64
	s_wait_dscnt 0x0
	v_add_f32_e32 v3, v3, v6
.LBB333_300:
	s_or_b32 exec_lo, exec_lo, s0
.LBB333_301:
	s_delay_alu instid0(SALU_CYCLE_1) | instskip(SKIP_4) | instid1(VALU_DEP_1)
	s_or_b32 exec_lo, exec_lo, s1
	v_and_b32_e32 v6, 0x3e1, v0
	s_mov_b32 s1, exec_lo
	s_barrier_signal -1
	s_barrier_wait -1
	v_cmpx_eq_u32_e32 32, v6
; %bb.302:
	ds_store_2addr_b32 v5, v2, v3 offset1:16
; %bb.303:
	s_or_b32 exec_lo, exec_lo, s1
	s_delay_alu instid0(SALU_CYCLE_1)
	s_mov_b32 s1, exec_lo
	s_wait_dscnt 0x0
	s_barrier_signal -1
	s_barrier_wait -1
	v_cmpx_gt_u32_e32 32, v0
	s_cbranch_execz .LBB333_309
; %bb.304:
	s_and_saveexec_b32 s0, vcc_lo
	s_cbranch_execz .LBB333_306
; %bb.305:
	ds_load_b32 v0, v4
	s_wait_dscnt 0x0
	v_add_f32_e32 v2, v2, v0
.LBB333_306:
	s_or_b32 exec_lo, exec_lo, s0
	s_and_saveexec_b32 s0, vcc_lo
	s_cbranch_execz .LBB333_308
; %bb.307:
	ds_load_b32 v0, v4 offset:64
	s_wait_dscnt 0x0
	v_add_f32_e32 v3, v3, v0
.LBB333_308:
	s_or_b32 exec_lo, exec_lo, s0
.LBB333_309:
	s_delay_alu instid0(SALU_CYCLE_1)
	s_or_b32 exec_lo, exec_lo, s1
	s_mov_b32 s1, 0
	s_barrier_signal -1
	s_barrier_wait -1
	s_mov_b32 s0, exec_lo
	v_cmpx_eq_u32_e32 0, v6
	s_cbranch_execz .LBB333_311
; %bb.310:
	s_mul_i32 s0, s22, s8
	s_mul_i32 s2, s8, s12
	;; [unrolled: 1-line block ×3, first 2 shown]
	s_lshr_b32 s8, ttmp7, 16
	s_lshl_b32 s6, s0, 5
	s_bfe_u32 s0, ttmp6, 0x40014
	s_ashr_i32 s7, s6, 31
	s_add_co_i32 s0, s0, 1
	s_ashr_i32 s3, s2, 31
	s_mul_i32 s0, s8, s0
	s_bfe_u32 s9, ttmp6, 0x40008
	s_lshl_b64 s[6:7], s[6:7], 1
	s_lshl_b64 s[2:3], s[2:3], 1
	s_add_co_i32 s9, s9, s0
	s_cmp_eq_u32 s20, 0
	s_wait_kmcnt 0x0
	s_add_nc_u64 s[4:5], s[4:5], s[6:7]
	s_cselect_b32 s0, s8, s9
	s_add_nc_u64 s[2:3], s[4:5], s[2:3]
	s_lshl_b32 s0, s0, 6
	s_delay_alu instid0(SALU_CYCLE_1)
	v_cvt_pk_bf16_f32 v0, v2, s0
	v_cvt_pk_bf16_f32 v2, v3, s0
	s_add_nc_u64 s[0:1], s[2:3], s[0:1]
	s_clause 0x1
	global_store_b16 v1, v0, s[0:1] scale_offset
	global_store_b16 v1, v2, s[0:1] offset:32 scale_offset
.LBB333_311:
	s_endpgm
	.section	.rodata,"a",@progbits
	.p2align	6, 0x0
	.amdhsa_kernel _ZN4vllm25paged_attention_v1_kernelI14__hip_bfloat16hLi32ELi16ELi128ELNS_18Fp8KVCacheDataTypeE1ELb0EEEvPT_PKS3_PKT0_S9_ifPKiSB_iPKfiiiSD_SD_iiiii
		.amdhsa_group_segment_fixed_size 96
		.amdhsa_private_segment_fixed_size 0
		.amdhsa_kernarg_size 384
		.amdhsa_user_sgpr_count 2
		.amdhsa_user_sgpr_dispatch_ptr 0
		.amdhsa_user_sgpr_queue_ptr 0
		.amdhsa_user_sgpr_kernarg_segment_ptr 1
		.amdhsa_user_sgpr_dispatch_id 0
		.amdhsa_user_sgpr_kernarg_preload_length 0
		.amdhsa_user_sgpr_kernarg_preload_offset 0
		.amdhsa_user_sgpr_private_segment_size 0
		.amdhsa_wavefront_size32 1
		.amdhsa_uses_dynamic_stack 0
		.amdhsa_enable_private_segment 0
		.amdhsa_system_sgpr_workgroup_id_x 1
		.amdhsa_system_sgpr_workgroup_id_y 1
		.amdhsa_system_sgpr_workgroup_id_z 1
		.amdhsa_system_sgpr_workgroup_info 0
		.amdhsa_system_vgpr_workitem_id 0
		.amdhsa_next_free_vgpr 54
		.amdhsa_next_free_sgpr 31
		.amdhsa_named_barrier_count 0
		.amdhsa_reserve_vcc 1
		.amdhsa_float_round_mode_32 0
		.amdhsa_float_round_mode_16_64 0
		.amdhsa_float_denorm_mode_32 3
		.amdhsa_float_denorm_mode_16_64 3
		.amdhsa_fp16_overflow 0
		.amdhsa_memory_ordered 1
		.amdhsa_forward_progress 1
		.amdhsa_inst_pref_size 92
		.amdhsa_round_robin_scheduling 0
		.amdhsa_exception_fp_ieee_invalid_op 0
		.amdhsa_exception_fp_denorm_src 0
		.amdhsa_exception_fp_ieee_div_zero 0
		.amdhsa_exception_fp_ieee_overflow 0
		.amdhsa_exception_fp_ieee_underflow 0
		.amdhsa_exception_fp_ieee_inexact 0
		.amdhsa_exception_int_div_zero 0
	.end_amdhsa_kernel
	.section	.text._ZN4vllm25paged_attention_v1_kernelI14__hip_bfloat16hLi32ELi16ELi128ELNS_18Fp8KVCacheDataTypeE1ELb0EEEvPT_PKS3_PKT0_S9_ifPKiSB_iPKfiiiSD_SD_iiiii,"axG",@progbits,_ZN4vllm25paged_attention_v1_kernelI14__hip_bfloat16hLi32ELi16ELi128ELNS_18Fp8KVCacheDataTypeE1ELb0EEEvPT_PKS3_PKT0_S9_ifPKiSB_iPKfiiiSD_SD_iiiii,comdat
.Lfunc_end333:
	.size	_ZN4vllm25paged_attention_v1_kernelI14__hip_bfloat16hLi32ELi16ELi128ELNS_18Fp8KVCacheDataTypeE1ELb0EEEvPT_PKS3_PKT0_S9_ifPKiSB_iPKfiiiSD_SD_iiiii, .Lfunc_end333-_ZN4vllm25paged_attention_v1_kernelI14__hip_bfloat16hLi32ELi16ELi128ELNS_18Fp8KVCacheDataTypeE1ELb0EEEvPT_PKS3_PKT0_S9_ifPKiSB_iPKfiiiSD_SD_iiiii
                                        ; -- End function
	.set _ZN4vllm25paged_attention_v1_kernelI14__hip_bfloat16hLi32ELi16ELi128ELNS_18Fp8KVCacheDataTypeE1ELb0EEEvPT_PKS3_PKT0_S9_ifPKiSB_iPKfiiiSD_SD_iiiii.num_vgpr, 54
	.set _ZN4vllm25paged_attention_v1_kernelI14__hip_bfloat16hLi32ELi16ELi128ELNS_18Fp8KVCacheDataTypeE1ELb0EEEvPT_PKS3_PKT0_S9_ifPKiSB_iPKfiiiSD_SD_iiiii.num_agpr, 0
	.set _ZN4vllm25paged_attention_v1_kernelI14__hip_bfloat16hLi32ELi16ELi128ELNS_18Fp8KVCacheDataTypeE1ELb0EEEvPT_PKS3_PKT0_S9_ifPKiSB_iPKfiiiSD_SD_iiiii.numbered_sgpr, 31
	.set _ZN4vllm25paged_attention_v1_kernelI14__hip_bfloat16hLi32ELi16ELi128ELNS_18Fp8KVCacheDataTypeE1ELb0EEEvPT_PKS3_PKT0_S9_ifPKiSB_iPKfiiiSD_SD_iiiii.num_named_barrier, 0
	.set _ZN4vllm25paged_attention_v1_kernelI14__hip_bfloat16hLi32ELi16ELi128ELNS_18Fp8KVCacheDataTypeE1ELb0EEEvPT_PKS3_PKT0_S9_ifPKiSB_iPKfiiiSD_SD_iiiii.private_seg_size, 0
	.set _ZN4vllm25paged_attention_v1_kernelI14__hip_bfloat16hLi32ELi16ELi128ELNS_18Fp8KVCacheDataTypeE1ELb0EEEvPT_PKS3_PKT0_S9_ifPKiSB_iPKfiiiSD_SD_iiiii.uses_vcc, 1
	.set _ZN4vllm25paged_attention_v1_kernelI14__hip_bfloat16hLi32ELi16ELi128ELNS_18Fp8KVCacheDataTypeE1ELb0EEEvPT_PKS3_PKT0_S9_ifPKiSB_iPKfiiiSD_SD_iiiii.uses_flat_scratch, 0
	.set _ZN4vllm25paged_attention_v1_kernelI14__hip_bfloat16hLi32ELi16ELi128ELNS_18Fp8KVCacheDataTypeE1ELb0EEEvPT_PKS3_PKT0_S9_ifPKiSB_iPKfiiiSD_SD_iiiii.has_dyn_sized_stack, 0
	.set _ZN4vllm25paged_attention_v1_kernelI14__hip_bfloat16hLi32ELi16ELi128ELNS_18Fp8KVCacheDataTypeE1ELb0EEEvPT_PKS3_PKT0_S9_ifPKiSB_iPKfiiiSD_SD_iiiii.has_recursion, 0
	.set _ZN4vllm25paged_attention_v1_kernelI14__hip_bfloat16hLi32ELi16ELi128ELNS_18Fp8KVCacheDataTypeE1ELb0EEEvPT_PKS3_PKT0_S9_ifPKiSB_iPKfiiiSD_SD_iiiii.has_indirect_call, 0
	.section	.AMDGPU.csdata,"",@progbits
; Kernel info:
; codeLenInByte = 11652
; TotalNumSgprs: 33
; NumVgprs: 54
; ScratchSize: 0
; MemoryBound: 0
; FloatMode: 240
; IeeeMode: 1
; LDSByteSize: 96 bytes/workgroup (compile time only)
; SGPRBlocks: 0
; VGPRBlocks: 3
; NumSGPRsForWavesPerEU: 33
; NumVGPRsForWavesPerEU: 54
; NamedBarCnt: 0
; Occupancy: 16
; WaveLimiterHint : 1
; COMPUTE_PGM_RSRC2:SCRATCH_EN: 0
; COMPUTE_PGM_RSRC2:USER_SGPR: 2
; COMPUTE_PGM_RSRC2:TRAP_HANDLER: 0
; COMPUTE_PGM_RSRC2:TGID_X_EN: 1
; COMPUTE_PGM_RSRC2:TGID_Y_EN: 1
; COMPUTE_PGM_RSRC2:TGID_Z_EN: 1
; COMPUTE_PGM_RSRC2:TIDIG_COMP_CNT: 0
	.section	.text._ZN4vllm25paged_attention_v1_kernelI14__hip_bfloat16hLi64ELi16ELi128ELNS_18Fp8KVCacheDataTypeE1ELb0EEEvPT_PKS3_PKT0_S9_ifPKiSB_iPKfiiiSD_SD_iiiii,"axG",@progbits,_ZN4vllm25paged_attention_v1_kernelI14__hip_bfloat16hLi64ELi16ELi128ELNS_18Fp8KVCacheDataTypeE1ELb0EEEvPT_PKS3_PKT0_S9_ifPKiSB_iPKfiiiSD_SD_iiiii,comdat
	.protected	_ZN4vllm25paged_attention_v1_kernelI14__hip_bfloat16hLi64ELi16ELi128ELNS_18Fp8KVCacheDataTypeE1ELb0EEEvPT_PKS3_PKT0_S9_ifPKiSB_iPKfiiiSD_SD_iiiii ; -- Begin function _ZN4vllm25paged_attention_v1_kernelI14__hip_bfloat16hLi64ELi16ELi128ELNS_18Fp8KVCacheDataTypeE1ELb0EEEvPT_PKS3_PKT0_S9_ifPKiSB_iPKfiiiSD_SD_iiiii
	.globl	_ZN4vllm25paged_attention_v1_kernelI14__hip_bfloat16hLi64ELi16ELi128ELNS_18Fp8KVCacheDataTypeE1ELb0EEEvPT_PKS3_PKT0_S9_ifPKiSB_iPKfiiiSD_SD_iiiii
	.p2align	8
	.type	_ZN4vllm25paged_attention_v1_kernelI14__hip_bfloat16hLi64ELi16ELi128ELNS_18Fp8KVCacheDataTypeE1ELb0EEEvPT_PKS3_PKT0_S9_ifPKiSB_iPKfiiiSD_SD_iiiii,@function
_ZN4vllm25paged_attention_v1_kernelI14__hip_bfloat16hLi64ELi16ELi128ELNS_18Fp8KVCacheDataTypeE1ELb0EEEvPT_PKS3_PKT0_S9_ifPKiSB_iPKfiiiSD_SD_iiiii: ; @_ZN4vllm25paged_attention_v1_kernelI14__hip_bfloat16hLi64ELi16ELi128ELNS_18Fp8KVCacheDataTypeE1ELb0EEEvPT_PKS3_PKT0_S9_ifPKiSB_iPKfiiiSD_SD_iiiii
; %bb.0:
	s_load_b64 s[18:19], s[0:1], 0x20
	s_bfe_u32 s3, ttmp6, 0x4000c
	s_bfe_u32 s5, ttmp6, 0x40010
	s_and_b32 s4, ttmp7, 0xffff
	s_add_co_i32 s3, s3, 1
	s_add_co_i32 s5, s5, 1
	s_and_b32 s2, ttmp6, 15
	s_bfe_u32 s6, ttmp6, 0x40004
	s_mul_i32 s3, ttmp9, s3
	s_mul_i32 s5, s4, s5
	s_getreg_b32 s20, hwreg(HW_REG_IB_STS2, 6, 4)
	s_add_co_i32 s2, s2, s3
	s_add_co_i32 s3, s6, s5
	s_cmp_eq_u32 s20, 0
	s_clause 0x1
	s_load_b32 s21, s[0:1], 0x80
	s_load_b64 s[6:7], s[0:1], 0x30
	s_cselect_b32 s22, s4, s3
	s_cselect_b32 s4, ttmp9, s2
	s_wait_kmcnt 0x0
	s_abs_i32 s2, s18
	s_delay_alu instid0(SALU_CYCLE_1) | instskip(SKIP_1) | instid1(SALU_CYCLE_2)
	s_cvt_f32_u32 s3, s2
	s_sub_co_i32 s5, 0, s2
	v_rcp_iflag_f32_e32 v1, s3
	s_abs_i32 s8, s21
	v_nop
	s_delay_alu instid0(TRANS32_DEP_1) | instskip(SKIP_1) | instid1(SALU_CYCLE_3)
	v_readfirstlane_b32 s3, v1
	s_mul_f32 s3, s3, 0x4f7ffffe
	s_cvt_u32_f32 s3, s3
	s_delay_alu instid0(SALU_CYCLE_3) | instskip(NEXT) | instid1(SALU_CYCLE_1)
	s_mul_i32 s5, s5, s3
	s_mul_hi_u32 s5, s3, s5
	s_delay_alu instid0(SALU_CYCLE_1) | instskip(SKIP_4) | instid1(SALU_CYCLE_1)
	s_add_co_i32 s3, s3, s5
	s_xor_b32 s5, s21, s18
	s_mul_hi_u32 s3, s8, s3
	s_ashr_i32 s5, s5, 31
	s_mul_i32 s9, s3, s2
	s_sub_co_i32 s8, s8, s9
	s_add_co_i32 s9, s3, 1
	s_sub_co_i32 s10, s8, s2
	s_cmp_ge_u32 s8, s2
	s_cselect_b32 s3, s9, s3
	s_cselect_b32 s8, s10, s8
	s_add_co_i32 s9, s3, 1
	s_cmp_ge_u32 s8, s2
	s_cselect_b32 s2, s9, s3
	s_load_b64 s[8:9], s[0:1], 0x40
	s_xor_b32 s2, s2, s5
	s_mov_b32 s3, 0
	s_sub_co_i32 s14, s2, s5
	s_mov_b32 s13, s3
	s_abs_i32 s11, s14
	s_mov_b32 s18, s3
	s_cvt_f32_u32 s2, s11
	s_delay_alu instid0(SALU_CYCLE_3) | instskip(SKIP_1) | instid1(TRANS32_DEP_1)
	v_rcp_iflag_f32_e32 v1, s2
	v_nop
	v_readfirstlane_b32 s2, v1
	s_mul_f32 s2, s2, 0x4f7ffffe
	s_delay_alu instid0(SALU_CYCLE_3) | instskip(SKIP_1) | instid1(SALU_CYCLE_2)
	s_cvt_u32_f32 s5, s2
	s_sub_co_i32 s2, 0, s11
	s_mul_i32 s2, s2, s5
	s_delay_alu instid0(SALU_CYCLE_1)
	s_mul_hi_u32 s10, s5, s2
	s_abs_i32 s2, s4
	s_add_co_i32 s12, s5, s10
	s_wait_kmcnt 0x0
	s_cmp_eq_u64 s[8:9], 0
	s_cbranch_scc1 .LBB334_2
; %bb.1:
	s_ashr_i32 s5, s4, 31
	s_delay_alu instid0(SALU_CYCLE_1) | instskip(NEXT) | instid1(SALU_CYCLE_1)
	s_lshl_b64 s[16:17], s[4:5], 2
	s_add_nc_u64 s[8:9], s[8:9], s[16:17]
	s_load_b32 s18, s[8:9], 0x0
.LBB334_2:
	s_load_b32 s23, s[6:7], s22 offset:0x0 scale_offset
	s_wait_xcnt 0x0
	s_load_b96 s[8:10], s[0:1], 0x48
	v_dual_lshrrev_b32 v1, 1, v0 :: v_dual_bitop2_b32 v26, 1, v0 bitop3:0x40
	s_ashr_i32 s5, s4, 31
	s_ashr_i32 s14, s14, 31
	s_mul_u64 s[6:7], s[2:3], s[12:13]
	s_lshl_b32 s12, s4, 6
	s_mov_b32 s3, exec_lo
	v_cmpx_gt_u32_e32 16, v0
	s_cbranch_execz .LBB334_4
; %bb.3:
	s_load_b64 s[16:17], s[0:1], 0x8
	s_wait_kmcnt 0x0
	s_mul_i32 s24, s8, s22
	s_ashr_i32 s13, s12, 31
	s_ashr_i32 s25, s24, 31
	v_lshlrev_b32_e32 v4, 3, v1
	s_lshl_b64 s[24:25], s[24:25], 1
	s_delay_alu instid0(VALU_DEP_1) | instskip(SKIP_2) | instid1(SALU_CYCLE_1)
	v_lshl_add_u32 v4, v26, 6, v4
	s_add_nc_u64 s[16:17], s[16:17], s[24:25]
	s_lshl_b64 s[24:25], s[12:13], 1
	s_add_nc_u64 s[16:17], s[16:17], s[24:25]
	global_load_b64 v[2:3], v0, s[16:17] scale_offset
	s_wait_loadcnt 0x0
	ds_store_b64 v4, v[2:3]
.LBB334_4:
	s_or_b32 exec_lo, exec_lo, s3
	s_wait_kmcnt 0x0
	s_add_co_i32 s3, s23, 15
	s_load_b32 s4, s[0:1], 0x38
	s_ashr_i32 s6, s3, 31
	s_mul_i32 s8, s7, s11
	s_lshr_b32 s6, s6, 28
	s_sub_co_i32 s2, s2, s8
	s_add_co_i32 s3, s3, s6
	s_xor_b32 s5, s5, s14
	s_ashr_i32 s13, s3, 4
	s_add_co_i32 s3, s7, 1
	s_sub_co_i32 s6, s2, s11
	s_cmp_ge_u32 s2, s11
	v_lshrrev_b32_e32 v27, 5, v0
	s_cselect_b32 s3, s3, s7
	s_cselect_b32 s2, s6, s2
	s_add_co_i32 s6, s3, 1
	s_cmp_ge_u32 s2, s11
	v_mbcnt_lo_u32_b32 v10, -1, 0
	s_cselect_b32 s2, s6, s3
	s_wait_dscnt 0x0
	s_xor_b32 s2, s2, s5
	s_wait_kmcnt 0x0
	s_mul_i32 s14, s4, s22
	s_sub_co_i32 s3, s2, s5
	v_cmp_gt_i32_e64 s2, s13, v27
	s_ashr_i32 s15, s14, 31
	s_mov_b32 s4, exec_lo
	s_barrier_signal -1
	s_barrier_wait -1
                                        ; implicit-def: $vgpr3
                                        ; implicit-def: $vgpr11
	v_cmpx_le_i32_e64 s13, v27
	s_xor_b32 s4, exec_lo, s4
; %bb.5:
	v_dual_mov_b32 v3, 0 :: v_dual_mov_b32 v11, 32
	v_mbcnt_lo_u32_b32 v10, -1, 0
; %bb.6:
	s_or_saveexec_b32 s24, s4
	s_clause 0x2
	s_load_b32 s8, s[0:1], 0x88
	s_load_b64 s[16:17], s[0:1], 0x28
	s_load_b128 s[4:7], s[0:1], 0x58
	v_dual_mov_b32 v43, 0xff7fffff :: v_dual_lshrrev_b32 v18, 3, v0
	s_mul_i32 s10, s3, s10
	s_xor_b32 exec_lo, exec_lo, s24
	s_cbranch_execz .LBB334_268
; %bb.7:
	v_dual_mov_b32 v3, 0 :: v_dual_lshlrev_b32 v8, 6, v26
	s_load_b64 s[26:27], s[0:1], 0x10
	v_bfe_u32 v43, v0, 1, 4
	s_ashr_i32 s11, s10, 31
	ds_load_b128 v[4:7], v8
	ds_load_b128 v[28:31], v8 offset:16
	ds_load_b128 v[36:39], v8 offset:32
	ds_load_b128 v[44:47], v8 offset:48
	v_lshlrev_b32_e32 v2, 4, v43
	s_wait_kmcnt 0x0
	s_load_b32 s5, s[4:5], 0x0
	v_mov_b32_e32 v11, 32
	s_cmp_neq_f32 s18, 0
	v_lshl_or_b32 v49, v27, 4, v43
	s_mov_b32 s25, s9
	v_mov_b32_e32 v51, v27
	s_cselect_b32 s3, -1, 0
	s_add_nc_u64 s[26:27], s[26:27], s[10:11]
	s_mov_b32 s11, 0
	s_wait_dscnt 0x3
	v_lshlrev_b32_e32 v12, 16, v4
	v_and_b32_e32 v13, 0xffff0000, v4
	s_wait_dscnt 0x2
	v_dual_lshlrev_b32 v21, 16, v28 :: v_dual_bitop2_b32 v4, 1, v10 bitop3:0x14
	v_lshlrev_b32_e32 v23, 16, v29
	v_and_b32_e32 v22, 0xffff0000, v28
	v_and_b32_e32 v24, 0xffff0000, v29
	v_dual_lshlrev_b32 v25, 16, v30 :: v_dual_lshlrev_b32 v29, 16, v31
	v_and_b32_e32 v28, 0xffff0000, v30
	v_and_b32_e32 v30, 0xffff0000, v31
	s_wait_dscnt 0x1
	v_dual_lshlrev_b32 v31, 16, v36 :: v_dual_lshlrev_b32 v33, 16, v37
	v_and_b32_e32 v32, 0xffff0000, v36
	v_and_b32_e32 v34, 0xffff0000, v37
	v_dual_lshlrev_b32 v35, 16, v38 :: v_dual_lshlrev_b32 v37, 16, v39
	v_and_b32_e32 v36, 0xffff0000, v38
	v_and_b32_e32 v38, 0xffff0000, v39
	s_wait_dscnt 0x0
	v_dual_lshlrev_b32 v39, 16, v44 :: v_dual_lshlrev_b32 v41, 16, v45
	v_and_b32_e32 v40, 0xffff0000, v44
	v_and_b32_e32 v42, 0xffff0000, v45
	v_lshlrev_b32_e32 v44, 16, v46
	v_and_b32_e32 v45, 0xffff0000, v46
	v_lshlrev_b32_e32 v46, 16, v47
	v_cmp_gt_i32_e32 vcc_lo, 32, v4
	v_add_nc_u64_e32 v[8:9], s[26:27], v[2:3]
	v_dual_lshlrev_b32 v2, 2, v26 :: v_dual_lshlrev_b32 v14, 16, v5
	v_dual_lshlrev_b32 v16, 16, v6 :: v_dual_lshlrev_b32 v19, 16, v7
	v_and_b32_e32 v17, 0xffff0000, v6
	v_dual_cndmask_b32 v4, v10, v4, vcc_lo :: v_dual_lshlrev_b32 v6, 2, v43
	v_and_b32_e32 v15, 0xffff0000, v5
	s_lshl_b64 s[26:27], s[14:15], 2
	v_and_b32_e32 v20, 0xffff0000, v7
	s_delay_alu instid0(VALU_DEP_3)
	v_dual_mov_b32 v43, 0xff7fffff :: v_dual_lshlrev_b32 v48, 2, v4
	v_add_nc_u64_e32 v[4:5], v[8:9], v[2:3]
	v_lshl_or_b32 v6, v27, 6, v6
	v_and_b32_e32 v2, 0x7c, v18
	s_add_nc_u64 s[26:27], s[16:17], s[26:27]
	v_and_b32_e32 v47, 0xffff0000, v47
	v_cmp_eq_u32_e32 vcc_lo, 0, v26
	v_add_nc_u32_e32 v50, 0xa0, v6
	v_add_nc_u64_e32 v[6:7], s[26:27], v[2:3]
	s_sub_co_i32 s26, 1, s23
	s_branch .LBB334_9
.LBB334_8:                              ;   in Loop: Header=BB334_9 Depth=1
	s_or_b32 exec_lo, exec_lo, s27
	v_dual_add_nc_u32 v51, 4, v51 :: v_dual_add_nc_u32 v49, 64, v49
	v_add_nc_u64_e32 v[6:7], 16, v[6:7]
	v_add_nc_u32_e32 v50, 0x100, v50
	s_delay_alu instid0(VALU_DEP_3) | instskip(SKIP_1) | instid1(SALU_CYCLE_1)
	v_cmp_le_i32_e64 s4, s13, v51
	s_or_b32 s11, s4, s11
	s_and_not1_b32 exec_lo, exec_lo, s11
	s_cbranch_execz .LBB334_267
.LBB334_9:                              ; =>This Inner Loop Header: Depth=1
	global_load_b32 v2, v[6:7], off
	v_dual_mov_b32 v53, 0 :: v_dual_mov_b32 v52, 0
	s_mov_b32 s27, exec_lo
	s_wait_loadcnt_dscnt 0x0
	v_mad_nc_i64_i32 v[8:9], v2, s25, v[4:5]
	global_load_b32 v56, v[8:9], off
	s_wait_loadcnt 0x0
	v_and_b32_e32 v2, 0xff, v56
	s_wait_xcnt 0x0
	s_delay_alu instid0(VALU_DEP_1)
	v_cmpx_ne_u16_e32 0, v2
	s_cbranch_execz .LBB334_17
; %bb.10:                               ;   in Loop: Header=BB334_9 Depth=1
	v_bfrev_b32_e32 v52, 1
	s_mov_b32 s28, exec_lo
	v_cmpx_ne_u16_e32 0x80, v2
	s_cbranch_execz .LBB334_16
; %bb.11:                               ;   in Loop: Header=BB334_9 Depth=1
	v_and_b32_e32 v54, 0x7f, v56
	v_mov_b32_e32 v52, 0x7f800001
	s_mov_b32 s29, exec_lo
	s_delay_alu instid0(VALU_DEP_2)
	v_cmpx_ne_u32_e32 0x7f, v54
	s_cbranch_execz .LBB334_15
; %bb.12:                               ;   in Loop: Header=BB334_9 Depth=1
	v_dual_lshrrev_b32 v52, 3, v54 :: v_dual_bitop2_b32 v2, 7, v56 bitop3:0x40
	s_mov_b32 s30, exec_lo
	v_cmpx_gt_u32_e32 8, v54
; %bb.13:                               ;   in Loop: Header=BB334_9 Depth=1
	s_delay_alu instid0(VALU_DEP_2) | instskip(NEXT) | instid1(VALU_DEP_1)
	v_clz_i32_u32_e32 v52, v2
	v_min_u32_e32 v52, 32, v52
	s_delay_alu instid0(VALU_DEP_1) | instskip(NEXT) | instid1(VALU_DEP_1)
	v_subrev_nc_u32_e32 v54, 28, v52
	v_lshlrev_b64_e32 v[54:55], v54, v[2:3]
	s_delay_alu instid0(VALU_DEP_1)
	v_dual_sub_nc_u32 v52, 29, v52 :: v_dual_bitop2_b32 v2, 7, v54 bitop3:0x40
; %bb.14:                               ;   in Loop: Header=BB334_9 Depth=1
	s_or_b32 exec_lo, exec_lo, s30
	s_delay_alu instid0(VALU_DEP_1) | instskip(NEXT) | instid1(VALU_DEP_2)
	v_dual_lshlrev_b32 v54, 24, v56 :: v_dual_lshlrev_b32 v2, 20, v2
	v_lshl_add_u32 v52, v52, 23, 0x3c000000
	s_delay_alu instid0(VALU_DEP_2) | instskip(NEXT) | instid1(VALU_DEP_1)
	v_and_b32_e32 v54, 0x80000000, v54
	v_or3_b32 v52, v2, v54, v52
.LBB334_15:                             ;   in Loop: Header=BB334_9 Depth=1
	s_or_b32 exec_lo, exec_lo, s29
.LBB334_16:                             ;   in Loop: Header=BB334_9 Depth=1
	s_delay_alu instid0(SALU_CYCLE_1)
	s_or_b32 exec_lo, exec_lo, s28
.LBB334_17:                             ;   in Loop: Header=BB334_9 Depth=1
	s_delay_alu instid0(SALU_CYCLE_1) | instskip(SKIP_2) | instid1(VALU_DEP_1)
	s_or_b32 exec_lo, exec_lo, s27
	v_lshrrev_b16 v2, 8, v56
	s_mov_b32 s27, exec_lo
	v_cmpx_ne_u16_e32 0, v2
	s_cbranch_execz .LBB334_25
; %bb.18:                               ;   in Loop: Header=BB334_9 Depth=1
	v_bfrev_b32_e32 v53, 1
	s_mov_b32 s28, exec_lo
	v_cmpx_ne_u16_e32 0x80, v2
	s_cbranch_execz .LBB334_24
; %bb.19:                               ;   in Loop: Header=BB334_9 Depth=1
	v_and_b32_e32 v2, 0xffff, v2
	v_mov_b32_e32 v53, 0x7f800001
	s_mov_b32 s29, exec_lo
	s_delay_alu instid0(VALU_DEP_2) | instskip(NEXT) | instid1(VALU_DEP_1)
	v_and_b32_e32 v54, 0x7f, v2
	v_cmpx_ne_u32_e32 0x7f, v54
	s_cbranch_execz .LBB334_23
; %bb.20:                               ;   in Loop: Header=BB334_9 Depth=1
	v_and_b32_e32 v2, 7, v2
	v_lshrrev_b32_e32 v53, 3, v54
	s_mov_b32 s30, exec_lo
	v_cmpx_gt_u32_e32 8, v54
; %bb.21:                               ;   in Loop: Header=BB334_9 Depth=1
	s_delay_alu instid0(VALU_DEP_3) | instskip(NEXT) | instid1(VALU_DEP_1)
	v_clz_i32_u32_e32 v53, v2
	v_min_u32_e32 v53, 32, v53
	s_delay_alu instid0(VALU_DEP_1) | instskip(NEXT) | instid1(VALU_DEP_1)
	v_subrev_nc_u32_e32 v54, 28, v53
	v_lshlrev_b64_e32 v[54:55], v54, v[2:3]
	s_delay_alu instid0(VALU_DEP_1)
	v_dual_sub_nc_u32 v53, 29, v53 :: v_dual_bitop2_b32 v2, 7, v54 bitop3:0x40
; %bb.22:                               ;   in Loop: Header=BB334_9 Depth=1
	s_or_b32 exec_lo, exec_lo, s30
	s_delay_alu instid0(VALU_DEP_1) | instskip(NEXT) | instid1(VALU_DEP_2)
	v_dual_lshlrev_b32 v54, 16, v56 :: v_dual_lshlrev_b32 v2, 20, v2
	v_lshl_add_u32 v53, v53, 23, 0x3c000000
	s_delay_alu instid0(VALU_DEP_2) | instskip(NEXT) | instid1(VALU_DEP_1)
	v_and_b32_e32 v54, 0x80000000, v54
	v_or3_b32 v53, v2, v54, v53
.LBB334_23:                             ;   in Loop: Header=BB334_9 Depth=1
	s_or_b32 exec_lo, exec_lo, s29
.LBB334_24:                             ;   in Loop: Header=BB334_9 Depth=1
	s_delay_alu instid0(SALU_CYCLE_1)
	s_or_b32 exec_lo, exec_lo, s28
.LBB334_25:                             ;   in Loop: Header=BB334_9 Depth=1
	s_delay_alu instid0(SALU_CYCLE_1) | instskip(SKIP_3) | instid1(VALU_DEP_2)
	s_or_b32 exec_lo, exec_lo, s27
	v_dual_mov_b32 v54, 0 :: v_dual_lshrrev_b32 v57, 16, v56
	v_mov_b32_e32 v55, 0
	s_mov_b32 s27, exec_lo
	v_and_b32_e32 v2, 0xff, v57
	s_delay_alu instid0(VALU_DEP_1)
	v_cmpx_ne_u16_e32 0, v2
	s_cbranch_execz .LBB334_33
; %bb.26:                               ;   in Loop: Header=BB334_9 Depth=1
	v_bfrev_b32_e32 v55, 1
	s_mov_b32 s28, exec_lo
	v_cmpx_ne_u16_e32 0x80, v2
	s_cbranch_execz .LBB334_32
; %bb.27:                               ;   in Loop: Header=BB334_9 Depth=1
	v_bfe_u32 v58, v56, 16, 7
	v_mov_b32_e32 v55, 0x7f800001
	s_mov_b32 s29, exec_lo
	s_delay_alu instid0(VALU_DEP_2)
	v_cmpx_ne_u32_e32 0x7f, v58
	s_cbranch_execz .LBB334_31
; %bb.28:                               ;   in Loop: Header=BB334_9 Depth=1
	v_dual_lshrrev_b32 v55, 3, v58 :: v_dual_bitop2_b32 v2, 7, v57 bitop3:0x40
	s_mov_b32 s30, exec_lo
	v_cmpx_gt_u32_e32 8, v58
; %bb.29:                               ;   in Loop: Header=BB334_9 Depth=1
	s_delay_alu instid0(VALU_DEP_2) | instskip(NEXT) | instid1(VALU_DEP_1)
	v_clz_i32_u32_e32 v55, v2
	v_min_u32_e32 v55, 32, v55
	s_delay_alu instid0(VALU_DEP_1) | instskip(NEXT) | instid1(VALU_DEP_1)
	v_subrev_nc_u32_e32 v58, 28, v55
	v_lshlrev_b64_e32 v[58:59], v58, v[2:3]
	s_delay_alu instid0(VALU_DEP_1)
	v_dual_sub_nc_u32 v55, 29, v55 :: v_dual_bitop2_b32 v2, 7, v58 bitop3:0x40
; %bb.30:                               ;   in Loop: Header=BB334_9 Depth=1
	s_or_b32 exec_lo, exec_lo, s30
	s_delay_alu instid0(VALU_DEP_1) | instskip(NEXT) | instid1(VALU_DEP_2)
	v_dual_lshlrev_b32 v57, 24, v57 :: v_dual_lshlrev_b32 v2, 20, v2
	v_lshl_add_u32 v55, v55, 23, 0x3c000000
	s_delay_alu instid0(VALU_DEP_2) | instskip(NEXT) | instid1(VALU_DEP_1)
	v_and_b32_e32 v57, 0x80000000, v57
	v_or3_b32 v55, v2, v57, v55
.LBB334_31:                             ;   in Loop: Header=BB334_9 Depth=1
	s_or_b32 exec_lo, exec_lo, s29
.LBB334_32:                             ;   in Loop: Header=BB334_9 Depth=1
	s_delay_alu instid0(SALU_CYCLE_1)
	s_or_b32 exec_lo, exec_lo, s28
.LBB334_33:                             ;   in Loop: Header=BB334_9 Depth=1
	s_delay_alu instid0(SALU_CYCLE_1) | instskip(NEXT) | instid1(SALU_CYCLE_1)
	s_or_b32 exec_lo, exec_lo, s27
	s_mov_b32 s27, exec_lo
	v_cmpx_lt_u32_e32 0xffffff, v56
	s_cbranch_execz .LBB334_41
; %bb.34:                               ;   in Loop: Header=BB334_9 Depth=1
	v_lshrrev_b32_e32 v57, 24, v56
	v_bfrev_b32_e32 v54, 1
	s_mov_b32 s28, exec_lo
	s_delay_alu instid0(VALU_DEP_2)
	v_cmpx_ne_u32_e32 0x80, v57
	s_cbranch_execz .LBB334_40
; %bb.35:                               ;   in Loop: Header=BB334_9 Depth=1
	v_bfe_u32 v56, v56, 24, 7
	v_mov_b32_e32 v54, 0x7f800001
	s_mov_b32 s29, exec_lo
	s_delay_alu instid0(VALU_DEP_2)
	v_cmpx_ne_u32_e32 0x7f, v56
	s_cbranch_execz .LBB334_39
; %bb.36:                               ;   in Loop: Header=BB334_9 Depth=1
	v_dual_lshrrev_b32 v54, 3, v56 :: v_dual_bitop2_b32 v2, 7, v57 bitop3:0x40
	s_mov_b32 s30, exec_lo
	v_cmpx_gt_u32_e32 8, v56
; %bb.37:                               ;   in Loop: Header=BB334_9 Depth=1
	s_delay_alu instid0(VALU_DEP_2) | instskip(NEXT) | instid1(VALU_DEP_1)
	v_clz_i32_u32_e32 v54, v2
	v_min_u32_e32 v54, 32, v54
	s_delay_alu instid0(VALU_DEP_1) | instskip(SKIP_1) | instid1(VALU_DEP_2)
	v_subrev_nc_u32_e32 v56, 28, v54
	v_sub_nc_u32_e32 v54, 29, v54
	v_lshlrev_b64_e32 v[58:59], v56, v[2:3]
	s_delay_alu instid0(VALU_DEP_1)
	v_and_b32_e32 v2, 7, v58
; %bb.38:                               ;   in Loop: Header=BB334_9 Depth=1
	s_or_b32 exec_lo, exec_lo, s30
	s_delay_alu instid0(VALU_DEP_1) | instskip(SKIP_1) | instid1(VALU_DEP_2)
	v_dual_lshlrev_b32 v56, 24, v57 :: v_dual_lshlrev_b32 v2, 20, v2
	v_lshl_add_u32 v54, v54, 23, 0x3c000000
	v_and_b32_e32 v56, 0x80000000, v56
	s_delay_alu instid0(VALU_DEP_1)
	v_or3_b32 v54, v2, v56, v54
.LBB334_39:                             ;   in Loop: Header=BB334_9 Depth=1
	s_or_b32 exec_lo, exec_lo, s29
.LBB334_40:                             ;   in Loop: Header=BB334_9 Depth=1
	s_delay_alu instid0(SALU_CYCLE_1)
	s_or_b32 exec_lo, exec_lo, s28
.LBB334_41:                             ;   in Loop: Header=BB334_9 Depth=1
	s_delay_alu instid0(SALU_CYCLE_1)
	s_or_b32 exec_lo, exec_lo, s27
	global_load_b32 v60, v[8:9], off offset:8
	v_dual_mov_b32 v56, 0 :: v_dual_mov_b32 v57, 0
	s_mov_b32 s27, exec_lo
	s_wait_loadcnt 0x0
	v_and_b32_e32 v2, 0xff, v60
	s_delay_alu instid0(VALU_DEP_1)
	v_cmpx_ne_u16_e32 0, v2
	s_cbranch_execz .LBB334_49
; %bb.42:                               ;   in Loop: Header=BB334_9 Depth=1
	v_bfrev_b32_e32 v57, 1
	s_mov_b32 s28, exec_lo
	v_cmpx_ne_u16_e32 0x80, v2
	s_cbranch_execz .LBB334_48
; %bb.43:                               ;   in Loop: Header=BB334_9 Depth=1
	v_and_b32_e32 v58, 0x7f, v60
	v_mov_b32_e32 v57, 0x7f800001
	s_mov_b32 s29, exec_lo
	s_delay_alu instid0(VALU_DEP_2)
	v_cmpx_ne_u32_e32 0x7f, v58
	s_cbranch_execz .LBB334_47
; %bb.44:                               ;   in Loop: Header=BB334_9 Depth=1
	v_dual_lshrrev_b32 v57, 3, v58 :: v_dual_bitop2_b32 v2, 7, v60 bitop3:0x40
	s_mov_b32 s30, exec_lo
	v_cmpx_gt_u32_e32 8, v58
; %bb.45:                               ;   in Loop: Header=BB334_9 Depth=1
	s_delay_alu instid0(VALU_DEP_2) | instskip(NEXT) | instid1(VALU_DEP_1)
	v_clz_i32_u32_e32 v57, v2
	v_min_u32_e32 v57, 32, v57
	s_delay_alu instid0(VALU_DEP_1) | instskip(NEXT) | instid1(VALU_DEP_1)
	v_subrev_nc_u32_e32 v58, 28, v57
	v_lshlrev_b64_e32 v[58:59], v58, v[2:3]
	s_delay_alu instid0(VALU_DEP_1)
	v_dual_sub_nc_u32 v57, 29, v57 :: v_dual_bitop2_b32 v2, 7, v58 bitop3:0x40
; %bb.46:                               ;   in Loop: Header=BB334_9 Depth=1
	s_or_b32 exec_lo, exec_lo, s30
	s_delay_alu instid0(VALU_DEP_1) | instskip(NEXT) | instid1(VALU_DEP_2)
	v_dual_lshlrev_b32 v58, 24, v60 :: v_dual_lshlrev_b32 v2, 20, v2
	v_lshl_add_u32 v57, v57, 23, 0x3c000000
	s_delay_alu instid0(VALU_DEP_2) | instskip(NEXT) | instid1(VALU_DEP_1)
	v_and_b32_e32 v58, 0x80000000, v58
	v_or3_b32 v57, v2, v58, v57
.LBB334_47:                             ;   in Loop: Header=BB334_9 Depth=1
	s_or_b32 exec_lo, exec_lo, s29
.LBB334_48:                             ;   in Loop: Header=BB334_9 Depth=1
	s_delay_alu instid0(SALU_CYCLE_1)
	s_or_b32 exec_lo, exec_lo, s28
.LBB334_49:                             ;   in Loop: Header=BB334_9 Depth=1
	s_delay_alu instid0(SALU_CYCLE_1) | instskip(SKIP_2) | instid1(VALU_DEP_1)
	s_or_b32 exec_lo, exec_lo, s27
	v_lshrrev_b16 v2, 8, v60
	s_mov_b32 s27, exec_lo
	v_cmpx_ne_u16_e32 0, v2
	s_cbranch_execz .LBB334_57
; %bb.50:                               ;   in Loop: Header=BB334_9 Depth=1
	v_bfrev_b32_e32 v56, 1
	s_mov_b32 s28, exec_lo
	v_cmpx_ne_u16_e32 0x80, v2
	s_cbranch_execz .LBB334_56
; %bb.51:                               ;   in Loop: Header=BB334_9 Depth=1
	v_and_b32_e32 v2, 0xffff, v2
	v_mov_b32_e32 v56, 0x7f800001
	s_mov_b32 s29, exec_lo
	s_delay_alu instid0(VALU_DEP_2) | instskip(NEXT) | instid1(VALU_DEP_1)
	v_and_b32_e32 v58, 0x7f, v2
	v_cmpx_ne_u32_e32 0x7f, v58
	s_cbranch_execz .LBB334_55
; %bb.52:                               ;   in Loop: Header=BB334_9 Depth=1
	v_and_b32_e32 v2, 7, v2
	v_lshrrev_b32_e32 v56, 3, v58
	s_mov_b32 s30, exec_lo
	v_cmpx_gt_u32_e32 8, v58
; %bb.53:                               ;   in Loop: Header=BB334_9 Depth=1
	s_delay_alu instid0(VALU_DEP_3) | instskip(NEXT) | instid1(VALU_DEP_1)
	v_clz_i32_u32_e32 v56, v2
	v_min_u32_e32 v56, 32, v56
	s_delay_alu instid0(VALU_DEP_1) | instskip(NEXT) | instid1(VALU_DEP_1)
	v_subrev_nc_u32_e32 v58, 28, v56
	v_lshlrev_b64_e32 v[58:59], v58, v[2:3]
	s_delay_alu instid0(VALU_DEP_1)
	v_dual_sub_nc_u32 v56, 29, v56 :: v_dual_bitop2_b32 v2, 7, v58 bitop3:0x40
; %bb.54:                               ;   in Loop: Header=BB334_9 Depth=1
	s_or_b32 exec_lo, exec_lo, s30
	s_delay_alu instid0(VALU_DEP_1) | instskip(NEXT) | instid1(VALU_DEP_2)
	v_dual_lshlrev_b32 v58, 16, v60 :: v_dual_lshlrev_b32 v2, 20, v2
	v_lshl_add_u32 v56, v56, 23, 0x3c000000
	s_delay_alu instid0(VALU_DEP_2) | instskip(NEXT) | instid1(VALU_DEP_1)
	v_and_b32_e32 v58, 0x80000000, v58
	v_or3_b32 v56, v2, v58, v56
.LBB334_55:                             ;   in Loop: Header=BB334_9 Depth=1
	s_or_b32 exec_lo, exec_lo, s29
.LBB334_56:                             ;   in Loop: Header=BB334_9 Depth=1
	s_delay_alu instid0(SALU_CYCLE_1)
	s_or_b32 exec_lo, exec_lo, s28
.LBB334_57:                             ;   in Loop: Header=BB334_9 Depth=1
	s_delay_alu instid0(SALU_CYCLE_1) | instskip(SKIP_3) | instid1(VALU_DEP_2)
	s_or_b32 exec_lo, exec_lo, s27
	v_dual_mov_b32 v58, 0 :: v_dual_lshrrev_b32 v61, 16, v60
	v_mov_b32_e32 v59, 0
	s_mov_b32 s27, exec_lo
	v_and_b32_e32 v2, 0xff, v61
	s_delay_alu instid0(VALU_DEP_1)
	v_cmpx_ne_u16_e32 0, v2
	s_cbranch_execz .LBB334_65
; %bb.58:                               ;   in Loop: Header=BB334_9 Depth=1
	v_bfrev_b32_e32 v59, 1
	s_mov_b32 s28, exec_lo
	v_cmpx_ne_u16_e32 0x80, v2
	s_cbranch_execz .LBB334_64
; %bb.59:                               ;   in Loop: Header=BB334_9 Depth=1
	v_bfe_u32 v62, v60, 16, 7
	v_mov_b32_e32 v59, 0x7f800001
	s_mov_b32 s29, exec_lo
	s_delay_alu instid0(VALU_DEP_2)
	v_cmpx_ne_u32_e32 0x7f, v62
	s_cbranch_execz .LBB334_63
; %bb.60:                               ;   in Loop: Header=BB334_9 Depth=1
	v_dual_lshrrev_b32 v59, 3, v62 :: v_dual_bitop2_b32 v2, 7, v61 bitop3:0x40
	s_mov_b32 s30, exec_lo
	v_cmpx_gt_u32_e32 8, v62
; %bb.61:                               ;   in Loop: Header=BB334_9 Depth=1
	s_delay_alu instid0(VALU_DEP_2) | instskip(NEXT) | instid1(VALU_DEP_1)
	v_clz_i32_u32_e32 v59, v2
	v_min_u32_e32 v59, 32, v59
	s_delay_alu instid0(VALU_DEP_1) | instskip(NEXT) | instid1(VALU_DEP_1)
	v_subrev_nc_u32_e32 v62, 28, v59
	v_lshlrev_b64_e32 v[62:63], v62, v[2:3]
	s_delay_alu instid0(VALU_DEP_1)
	v_dual_sub_nc_u32 v59, 29, v59 :: v_dual_bitop2_b32 v2, 7, v62 bitop3:0x40
; %bb.62:                               ;   in Loop: Header=BB334_9 Depth=1
	s_or_b32 exec_lo, exec_lo, s30
	s_delay_alu instid0(VALU_DEP_1) | instskip(NEXT) | instid1(VALU_DEP_2)
	v_dual_lshlrev_b32 v61, 24, v61 :: v_dual_lshlrev_b32 v2, 20, v2
	v_lshl_add_u32 v59, v59, 23, 0x3c000000
	s_delay_alu instid0(VALU_DEP_2) | instskip(NEXT) | instid1(VALU_DEP_1)
	v_and_b32_e32 v61, 0x80000000, v61
	v_or3_b32 v59, v2, v61, v59
.LBB334_63:                             ;   in Loop: Header=BB334_9 Depth=1
	s_or_b32 exec_lo, exec_lo, s29
.LBB334_64:                             ;   in Loop: Header=BB334_9 Depth=1
	s_delay_alu instid0(SALU_CYCLE_1)
	s_or_b32 exec_lo, exec_lo, s28
.LBB334_65:                             ;   in Loop: Header=BB334_9 Depth=1
	s_delay_alu instid0(SALU_CYCLE_1) | instskip(NEXT) | instid1(SALU_CYCLE_1)
	s_or_b32 exec_lo, exec_lo, s27
	s_mov_b32 s27, exec_lo
	v_cmpx_lt_u32_e32 0xffffff, v60
	s_cbranch_execz .LBB334_73
; %bb.66:                               ;   in Loop: Header=BB334_9 Depth=1
	v_lshrrev_b32_e32 v61, 24, v60
	v_bfrev_b32_e32 v58, 1
	s_mov_b32 s28, exec_lo
	s_delay_alu instid0(VALU_DEP_2)
	v_cmpx_ne_u32_e32 0x80, v61
	s_cbranch_execz .LBB334_72
; %bb.67:                               ;   in Loop: Header=BB334_9 Depth=1
	v_bfe_u32 v60, v60, 24, 7
	v_mov_b32_e32 v58, 0x7f800001
	s_mov_b32 s29, exec_lo
	s_delay_alu instid0(VALU_DEP_2)
	v_cmpx_ne_u32_e32 0x7f, v60
	s_cbranch_execz .LBB334_71
; %bb.68:                               ;   in Loop: Header=BB334_9 Depth=1
	v_dual_lshrrev_b32 v58, 3, v60 :: v_dual_bitop2_b32 v2, 7, v61 bitop3:0x40
	s_mov_b32 s30, exec_lo
	v_cmpx_gt_u32_e32 8, v60
; %bb.69:                               ;   in Loop: Header=BB334_9 Depth=1
	s_delay_alu instid0(VALU_DEP_2) | instskip(NEXT) | instid1(VALU_DEP_1)
	v_clz_i32_u32_e32 v58, v2
	v_min_u32_e32 v58, 32, v58
	s_delay_alu instid0(VALU_DEP_1) | instskip(SKIP_1) | instid1(VALU_DEP_2)
	v_subrev_nc_u32_e32 v60, 28, v58
	v_sub_nc_u32_e32 v58, 29, v58
	v_lshlrev_b64_e32 v[62:63], v60, v[2:3]
	s_delay_alu instid0(VALU_DEP_1)
	v_and_b32_e32 v2, 7, v62
; %bb.70:                               ;   in Loop: Header=BB334_9 Depth=1
	s_or_b32 exec_lo, exec_lo, s30
	s_delay_alu instid0(VALU_DEP_1) | instskip(SKIP_1) | instid1(VALU_DEP_2)
	v_dual_lshlrev_b32 v60, 24, v61 :: v_dual_lshlrev_b32 v2, 20, v2
	v_lshl_add_u32 v58, v58, 23, 0x3c000000
	v_and_b32_e32 v60, 0x80000000, v60
	s_delay_alu instid0(VALU_DEP_1)
	v_or3_b32 v58, v2, v60, v58
.LBB334_71:                             ;   in Loop: Header=BB334_9 Depth=1
	s_or_b32 exec_lo, exec_lo, s29
.LBB334_72:                             ;   in Loop: Header=BB334_9 Depth=1
	s_delay_alu instid0(SALU_CYCLE_1)
	s_or_b32 exec_lo, exec_lo, s28
.LBB334_73:                             ;   in Loop: Header=BB334_9 Depth=1
	s_delay_alu instid0(SALU_CYCLE_1)
	s_or_b32 exec_lo, exec_lo, s27
	global_load_b32 v64, v[8:9], off offset:256
	v_dual_mov_b32 v61, 0 :: v_dual_mov_b32 v60, 0
	s_mov_b32 s27, exec_lo
	s_wait_loadcnt 0x0
	v_and_b32_e32 v2, 0xff, v64
	s_delay_alu instid0(VALU_DEP_1)
	v_cmpx_ne_u16_e32 0, v2
	s_cbranch_execz .LBB334_81
; %bb.74:                               ;   in Loop: Header=BB334_9 Depth=1
	v_bfrev_b32_e32 v60, 1
	s_mov_b32 s28, exec_lo
	v_cmpx_ne_u16_e32 0x80, v2
	s_cbranch_execz .LBB334_80
; %bb.75:                               ;   in Loop: Header=BB334_9 Depth=1
	v_and_b32_e32 v62, 0x7f, v64
	v_mov_b32_e32 v60, 0x7f800001
	s_mov_b32 s29, exec_lo
	s_delay_alu instid0(VALU_DEP_2)
	v_cmpx_ne_u32_e32 0x7f, v62
	s_cbranch_execz .LBB334_79
; %bb.76:                               ;   in Loop: Header=BB334_9 Depth=1
	v_dual_lshrrev_b32 v60, 3, v62 :: v_dual_bitop2_b32 v2, 7, v64 bitop3:0x40
	s_mov_b32 s30, exec_lo
	v_cmpx_gt_u32_e32 8, v62
; %bb.77:                               ;   in Loop: Header=BB334_9 Depth=1
	s_delay_alu instid0(VALU_DEP_2) | instskip(NEXT) | instid1(VALU_DEP_1)
	v_clz_i32_u32_e32 v60, v2
	v_min_u32_e32 v60, 32, v60
	s_delay_alu instid0(VALU_DEP_1) | instskip(NEXT) | instid1(VALU_DEP_1)
	v_subrev_nc_u32_e32 v62, 28, v60
	v_lshlrev_b64_e32 v[62:63], v62, v[2:3]
	s_delay_alu instid0(VALU_DEP_1)
	v_dual_sub_nc_u32 v60, 29, v60 :: v_dual_bitop2_b32 v2, 7, v62 bitop3:0x40
; %bb.78:                               ;   in Loop: Header=BB334_9 Depth=1
	s_or_b32 exec_lo, exec_lo, s30
	s_delay_alu instid0(VALU_DEP_1) | instskip(NEXT) | instid1(VALU_DEP_2)
	v_dual_lshlrev_b32 v62, 24, v64 :: v_dual_lshlrev_b32 v2, 20, v2
	v_lshl_add_u32 v60, v60, 23, 0x3c000000
	s_delay_alu instid0(VALU_DEP_2) | instskip(NEXT) | instid1(VALU_DEP_1)
	v_and_b32_e32 v62, 0x80000000, v62
	v_or3_b32 v60, v2, v62, v60
.LBB334_79:                             ;   in Loop: Header=BB334_9 Depth=1
	s_or_b32 exec_lo, exec_lo, s29
.LBB334_80:                             ;   in Loop: Header=BB334_9 Depth=1
	s_delay_alu instid0(SALU_CYCLE_1)
	s_or_b32 exec_lo, exec_lo, s28
.LBB334_81:                             ;   in Loop: Header=BB334_9 Depth=1
	s_delay_alu instid0(SALU_CYCLE_1) | instskip(SKIP_2) | instid1(VALU_DEP_1)
	s_or_b32 exec_lo, exec_lo, s27
	v_lshrrev_b16 v2, 8, v64
	s_mov_b32 s27, exec_lo
	v_cmpx_ne_u16_e32 0, v2
	s_cbranch_execz .LBB334_89
; %bb.82:                               ;   in Loop: Header=BB334_9 Depth=1
	v_bfrev_b32_e32 v61, 1
	s_mov_b32 s28, exec_lo
	v_cmpx_ne_u16_e32 0x80, v2
	s_cbranch_execz .LBB334_88
; %bb.83:                               ;   in Loop: Header=BB334_9 Depth=1
	v_and_b32_e32 v2, 0xffff, v2
	v_mov_b32_e32 v61, 0x7f800001
	s_mov_b32 s29, exec_lo
	s_delay_alu instid0(VALU_DEP_2) | instskip(NEXT) | instid1(VALU_DEP_1)
	v_and_b32_e32 v62, 0x7f, v2
	v_cmpx_ne_u32_e32 0x7f, v62
	s_cbranch_execz .LBB334_87
; %bb.84:                               ;   in Loop: Header=BB334_9 Depth=1
	v_and_b32_e32 v2, 7, v2
	v_lshrrev_b32_e32 v61, 3, v62
	s_mov_b32 s30, exec_lo
	v_cmpx_gt_u32_e32 8, v62
; %bb.85:                               ;   in Loop: Header=BB334_9 Depth=1
	s_delay_alu instid0(VALU_DEP_3) | instskip(NEXT) | instid1(VALU_DEP_1)
	v_clz_i32_u32_e32 v61, v2
	v_min_u32_e32 v61, 32, v61
	s_delay_alu instid0(VALU_DEP_1) | instskip(NEXT) | instid1(VALU_DEP_1)
	v_subrev_nc_u32_e32 v62, 28, v61
	v_lshlrev_b64_e32 v[62:63], v62, v[2:3]
	s_delay_alu instid0(VALU_DEP_1)
	v_dual_sub_nc_u32 v61, 29, v61 :: v_dual_bitop2_b32 v2, 7, v62 bitop3:0x40
; %bb.86:                               ;   in Loop: Header=BB334_9 Depth=1
	s_or_b32 exec_lo, exec_lo, s30
	s_delay_alu instid0(VALU_DEP_1) | instskip(NEXT) | instid1(VALU_DEP_2)
	v_dual_lshlrev_b32 v62, 16, v64 :: v_dual_lshlrev_b32 v2, 20, v2
	v_lshl_add_u32 v61, v61, 23, 0x3c000000
	s_delay_alu instid0(VALU_DEP_2) | instskip(NEXT) | instid1(VALU_DEP_1)
	v_and_b32_e32 v62, 0x80000000, v62
	v_or3_b32 v61, v2, v62, v61
.LBB334_87:                             ;   in Loop: Header=BB334_9 Depth=1
	s_or_b32 exec_lo, exec_lo, s29
.LBB334_88:                             ;   in Loop: Header=BB334_9 Depth=1
	s_delay_alu instid0(SALU_CYCLE_1)
	s_or_b32 exec_lo, exec_lo, s28
.LBB334_89:                             ;   in Loop: Header=BB334_9 Depth=1
	s_delay_alu instid0(SALU_CYCLE_1) | instskip(SKIP_3) | instid1(VALU_DEP_2)
	s_or_b32 exec_lo, exec_lo, s27
	v_dual_mov_b32 v62, 0 :: v_dual_lshrrev_b32 v65, 16, v64
	v_mov_b32_e32 v63, 0
	s_mov_b32 s27, exec_lo
	v_and_b32_e32 v2, 0xff, v65
	s_delay_alu instid0(VALU_DEP_1)
	v_cmpx_ne_u16_e32 0, v2
	s_cbranch_execz .LBB334_97
; %bb.90:                               ;   in Loop: Header=BB334_9 Depth=1
	v_bfrev_b32_e32 v63, 1
	s_mov_b32 s28, exec_lo
	v_cmpx_ne_u16_e32 0x80, v2
	s_cbranch_execz .LBB334_96
; %bb.91:                               ;   in Loop: Header=BB334_9 Depth=1
	v_bfe_u32 v66, v64, 16, 7
	v_mov_b32_e32 v63, 0x7f800001
	s_mov_b32 s29, exec_lo
	s_delay_alu instid0(VALU_DEP_2)
	v_cmpx_ne_u32_e32 0x7f, v66
	s_cbranch_execz .LBB334_95
; %bb.92:                               ;   in Loop: Header=BB334_9 Depth=1
	v_dual_lshrrev_b32 v63, 3, v66 :: v_dual_bitop2_b32 v2, 7, v65 bitop3:0x40
	s_mov_b32 s30, exec_lo
	v_cmpx_gt_u32_e32 8, v66
; %bb.93:                               ;   in Loop: Header=BB334_9 Depth=1
	s_delay_alu instid0(VALU_DEP_2) | instskip(NEXT) | instid1(VALU_DEP_1)
	v_clz_i32_u32_e32 v63, v2
	v_min_u32_e32 v63, 32, v63
	s_delay_alu instid0(VALU_DEP_1) | instskip(NEXT) | instid1(VALU_DEP_1)
	v_subrev_nc_u32_e32 v66, 28, v63
	v_lshlrev_b64_e32 v[66:67], v66, v[2:3]
	s_delay_alu instid0(VALU_DEP_1)
	v_dual_sub_nc_u32 v63, 29, v63 :: v_dual_bitop2_b32 v2, 7, v66 bitop3:0x40
; %bb.94:                               ;   in Loop: Header=BB334_9 Depth=1
	s_or_b32 exec_lo, exec_lo, s30
	s_delay_alu instid0(VALU_DEP_1) | instskip(NEXT) | instid1(VALU_DEP_2)
	v_dual_lshlrev_b32 v65, 24, v65 :: v_dual_lshlrev_b32 v2, 20, v2
	v_lshl_add_u32 v63, v63, 23, 0x3c000000
	s_delay_alu instid0(VALU_DEP_2) | instskip(NEXT) | instid1(VALU_DEP_1)
	v_and_b32_e32 v65, 0x80000000, v65
	v_or3_b32 v63, v2, v65, v63
.LBB334_95:                             ;   in Loop: Header=BB334_9 Depth=1
	s_or_b32 exec_lo, exec_lo, s29
.LBB334_96:                             ;   in Loop: Header=BB334_9 Depth=1
	s_delay_alu instid0(SALU_CYCLE_1)
	s_or_b32 exec_lo, exec_lo, s28
.LBB334_97:                             ;   in Loop: Header=BB334_9 Depth=1
	s_delay_alu instid0(SALU_CYCLE_1) | instskip(NEXT) | instid1(SALU_CYCLE_1)
	s_or_b32 exec_lo, exec_lo, s27
	s_mov_b32 s27, exec_lo
	v_cmpx_lt_u32_e32 0xffffff, v64
	s_cbranch_execz .LBB334_105
; %bb.98:                               ;   in Loop: Header=BB334_9 Depth=1
	v_lshrrev_b32_e32 v65, 24, v64
	v_bfrev_b32_e32 v62, 1
	s_mov_b32 s28, exec_lo
	s_delay_alu instid0(VALU_DEP_2)
	v_cmpx_ne_u32_e32 0x80, v65
	s_cbranch_execz .LBB334_104
; %bb.99:                               ;   in Loop: Header=BB334_9 Depth=1
	v_bfe_u32 v64, v64, 24, 7
	v_mov_b32_e32 v62, 0x7f800001
	s_mov_b32 s29, exec_lo
	s_delay_alu instid0(VALU_DEP_2)
	v_cmpx_ne_u32_e32 0x7f, v64
	s_cbranch_execz .LBB334_103
; %bb.100:                              ;   in Loop: Header=BB334_9 Depth=1
	v_dual_lshrrev_b32 v62, 3, v64 :: v_dual_bitop2_b32 v2, 7, v65 bitop3:0x40
	s_mov_b32 s30, exec_lo
	v_cmpx_gt_u32_e32 8, v64
; %bb.101:                              ;   in Loop: Header=BB334_9 Depth=1
	s_delay_alu instid0(VALU_DEP_2) | instskip(NEXT) | instid1(VALU_DEP_1)
	v_clz_i32_u32_e32 v62, v2
	v_min_u32_e32 v62, 32, v62
	s_delay_alu instid0(VALU_DEP_1) | instskip(SKIP_1) | instid1(VALU_DEP_2)
	v_subrev_nc_u32_e32 v64, 28, v62
	v_sub_nc_u32_e32 v62, 29, v62
	v_lshlrev_b64_e32 v[66:67], v64, v[2:3]
	s_delay_alu instid0(VALU_DEP_1)
	v_and_b32_e32 v2, 7, v66
; %bb.102:                              ;   in Loop: Header=BB334_9 Depth=1
	s_or_b32 exec_lo, exec_lo, s30
	s_delay_alu instid0(VALU_DEP_1) | instskip(SKIP_1) | instid1(VALU_DEP_2)
	v_dual_lshlrev_b32 v64, 24, v65 :: v_dual_lshlrev_b32 v2, 20, v2
	v_lshl_add_u32 v62, v62, 23, 0x3c000000
	v_and_b32_e32 v64, 0x80000000, v64
	s_delay_alu instid0(VALU_DEP_1)
	v_or3_b32 v62, v2, v64, v62
.LBB334_103:                            ;   in Loop: Header=BB334_9 Depth=1
	s_or_b32 exec_lo, exec_lo, s29
.LBB334_104:                            ;   in Loop: Header=BB334_9 Depth=1
	s_delay_alu instid0(SALU_CYCLE_1)
	s_or_b32 exec_lo, exec_lo, s28
.LBB334_105:                            ;   in Loop: Header=BB334_9 Depth=1
	s_delay_alu instid0(SALU_CYCLE_1)
	s_or_b32 exec_lo, exec_lo, s27
	global_load_b32 v68, v[8:9], off offset:264
	v_dual_mov_b32 v65, 0 :: v_dual_mov_b32 v64, 0
	s_mov_b32 s27, exec_lo
	s_wait_loadcnt 0x0
	v_and_b32_e32 v2, 0xff, v68
	s_delay_alu instid0(VALU_DEP_1)
	v_cmpx_ne_u16_e32 0, v2
	s_cbranch_execz .LBB334_113
; %bb.106:                              ;   in Loop: Header=BB334_9 Depth=1
	v_bfrev_b32_e32 v64, 1
	s_mov_b32 s28, exec_lo
	v_cmpx_ne_u16_e32 0x80, v2
	s_cbranch_execz .LBB334_112
; %bb.107:                              ;   in Loop: Header=BB334_9 Depth=1
	v_and_b32_e32 v66, 0x7f, v68
	v_mov_b32_e32 v64, 0x7f800001
	s_mov_b32 s29, exec_lo
	s_delay_alu instid0(VALU_DEP_2)
	v_cmpx_ne_u32_e32 0x7f, v66
	s_cbranch_execz .LBB334_111
; %bb.108:                              ;   in Loop: Header=BB334_9 Depth=1
	v_dual_lshrrev_b32 v64, 3, v66 :: v_dual_bitop2_b32 v2, 7, v68 bitop3:0x40
	s_mov_b32 s30, exec_lo
	v_cmpx_gt_u32_e32 8, v66
; %bb.109:                              ;   in Loop: Header=BB334_9 Depth=1
	s_delay_alu instid0(VALU_DEP_2) | instskip(NEXT) | instid1(VALU_DEP_1)
	v_clz_i32_u32_e32 v64, v2
	v_min_u32_e32 v64, 32, v64
	s_delay_alu instid0(VALU_DEP_1) | instskip(NEXT) | instid1(VALU_DEP_1)
	v_subrev_nc_u32_e32 v66, 28, v64
	v_lshlrev_b64_e32 v[66:67], v66, v[2:3]
	s_delay_alu instid0(VALU_DEP_1)
	v_dual_sub_nc_u32 v64, 29, v64 :: v_dual_bitop2_b32 v2, 7, v66 bitop3:0x40
; %bb.110:                              ;   in Loop: Header=BB334_9 Depth=1
	s_or_b32 exec_lo, exec_lo, s30
	s_delay_alu instid0(VALU_DEP_1) | instskip(NEXT) | instid1(VALU_DEP_2)
	v_dual_lshlrev_b32 v66, 24, v68 :: v_dual_lshlrev_b32 v2, 20, v2
	v_lshl_add_u32 v64, v64, 23, 0x3c000000
	s_delay_alu instid0(VALU_DEP_2) | instskip(NEXT) | instid1(VALU_DEP_1)
	v_and_b32_e32 v66, 0x80000000, v66
	v_or3_b32 v64, v2, v66, v64
.LBB334_111:                            ;   in Loop: Header=BB334_9 Depth=1
	s_or_b32 exec_lo, exec_lo, s29
.LBB334_112:                            ;   in Loop: Header=BB334_9 Depth=1
	s_delay_alu instid0(SALU_CYCLE_1)
	s_or_b32 exec_lo, exec_lo, s28
.LBB334_113:                            ;   in Loop: Header=BB334_9 Depth=1
	s_delay_alu instid0(SALU_CYCLE_1) | instskip(SKIP_2) | instid1(VALU_DEP_1)
	s_or_b32 exec_lo, exec_lo, s27
	v_lshrrev_b16 v2, 8, v68
	s_mov_b32 s27, exec_lo
	v_cmpx_ne_u16_e32 0, v2
	s_cbranch_execz .LBB334_121
; %bb.114:                              ;   in Loop: Header=BB334_9 Depth=1
	v_bfrev_b32_e32 v65, 1
	s_mov_b32 s28, exec_lo
	v_cmpx_ne_u16_e32 0x80, v2
	s_cbranch_execz .LBB334_120
; %bb.115:                              ;   in Loop: Header=BB334_9 Depth=1
	v_and_b32_e32 v2, 0xffff, v2
	v_mov_b32_e32 v65, 0x7f800001
	s_mov_b32 s29, exec_lo
	s_delay_alu instid0(VALU_DEP_2) | instskip(NEXT) | instid1(VALU_DEP_1)
	v_and_b32_e32 v66, 0x7f, v2
	v_cmpx_ne_u32_e32 0x7f, v66
	s_cbranch_execz .LBB334_119
; %bb.116:                              ;   in Loop: Header=BB334_9 Depth=1
	v_and_b32_e32 v2, 7, v2
	v_lshrrev_b32_e32 v65, 3, v66
	s_mov_b32 s30, exec_lo
	v_cmpx_gt_u32_e32 8, v66
; %bb.117:                              ;   in Loop: Header=BB334_9 Depth=1
	s_delay_alu instid0(VALU_DEP_3) | instskip(NEXT) | instid1(VALU_DEP_1)
	v_clz_i32_u32_e32 v65, v2
	v_min_u32_e32 v65, 32, v65
	s_delay_alu instid0(VALU_DEP_1) | instskip(NEXT) | instid1(VALU_DEP_1)
	v_subrev_nc_u32_e32 v66, 28, v65
	v_lshlrev_b64_e32 v[66:67], v66, v[2:3]
	s_delay_alu instid0(VALU_DEP_1)
	v_dual_sub_nc_u32 v65, 29, v65 :: v_dual_bitop2_b32 v2, 7, v66 bitop3:0x40
; %bb.118:                              ;   in Loop: Header=BB334_9 Depth=1
	s_or_b32 exec_lo, exec_lo, s30
	s_delay_alu instid0(VALU_DEP_1) | instskip(NEXT) | instid1(VALU_DEP_2)
	v_dual_lshlrev_b32 v66, 16, v68 :: v_dual_lshlrev_b32 v2, 20, v2
	v_lshl_add_u32 v65, v65, 23, 0x3c000000
	s_delay_alu instid0(VALU_DEP_2) | instskip(NEXT) | instid1(VALU_DEP_1)
	v_and_b32_e32 v66, 0x80000000, v66
	v_or3_b32 v65, v2, v66, v65
.LBB334_119:                            ;   in Loop: Header=BB334_9 Depth=1
	s_or_b32 exec_lo, exec_lo, s29
.LBB334_120:                            ;   in Loop: Header=BB334_9 Depth=1
	s_delay_alu instid0(SALU_CYCLE_1)
	s_or_b32 exec_lo, exec_lo, s28
.LBB334_121:                            ;   in Loop: Header=BB334_9 Depth=1
	s_delay_alu instid0(SALU_CYCLE_1) | instskip(SKIP_3) | instid1(VALU_DEP_2)
	s_or_b32 exec_lo, exec_lo, s27
	v_dual_mov_b32 v66, 0 :: v_dual_lshrrev_b32 v69, 16, v68
	v_mov_b32_e32 v67, 0
	s_mov_b32 s27, exec_lo
	v_and_b32_e32 v2, 0xff, v69
	s_delay_alu instid0(VALU_DEP_1)
	v_cmpx_ne_u16_e32 0, v2
	s_cbranch_execz .LBB334_129
; %bb.122:                              ;   in Loop: Header=BB334_9 Depth=1
	v_bfrev_b32_e32 v67, 1
	s_mov_b32 s28, exec_lo
	v_cmpx_ne_u16_e32 0x80, v2
	s_cbranch_execz .LBB334_128
; %bb.123:                              ;   in Loop: Header=BB334_9 Depth=1
	v_bfe_u32 v70, v68, 16, 7
	v_mov_b32_e32 v67, 0x7f800001
	s_mov_b32 s29, exec_lo
	s_delay_alu instid0(VALU_DEP_2)
	v_cmpx_ne_u32_e32 0x7f, v70
	s_cbranch_execz .LBB334_127
; %bb.124:                              ;   in Loop: Header=BB334_9 Depth=1
	v_dual_lshrrev_b32 v67, 3, v70 :: v_dual_bitop2_b32 v2, 7, v69 bitop3:0x40
	s_mov_b32 s30, exec_lo
	v_cmpx_gt_u32_e32 8, v70
; %bb.125:                              ;   in Loop: Header=BB334_9 Depth=1
	s_delay_alu instid0(VALU_DEP_2) | instskip(NEXT) | instid1(VALU_DEP_1)
	v_clz_i32_u32_e32 v67, v2
	v_min_u32_e32 v67, 32, v67
	s_delay_alu instid0(VALU_DEP_1) | instskip(NEXT) | instid1(VALU_DEP_1)
	v_subrev_nc_u32_e32 v70, 28, v67
	v_lshlrev_b64_e32 v[70:71], v70, v[2:3]
	s_delay_alu instid0(VALU_DEP_1)
	v_dual_sub_nc_u32 v67, 29, v67 :: v_dual_bitop2_b32 v2, 7, v70 bitop3:0x40
; %bb.126:                              ;   in Loop: Header=BB334_9 Depth=1
	s_or_b32 exec_lo, exec_lo, s30
	s_delay_alu instid0(VALU_DEP_1) | instskip(NEXT) | instid1(VALU_DEP_2)
	v_dual_lshlrev_b32 v69, 24, v69 :: v_dual_lshlrev_b32 v2, 20, v2
	v_lshl_add_u32 v67, v67, 23, 0x3c000000
	s_delay_alu instid0(VALU_DEP_2) | instskip(NEXT) | instid1(VALU_DEP_1)
	v_and_b32_e32 v69, 0x80000000, v69
	v_or3_b32 v67, v2, v69, v67
.LBB334_127:                            ;   in Loop: Header=BB334_9 Depth=1
	s_or_b32 exec_lo, exec_lo, s29
.LBB334_128:                            ;   in Loop: Header=BB334_9 Depth=1
	s_delay_alu instid0(SALU_CYCLE_1)
	s_or_b32 exec_lo, exec_lo, s28
.LBB334_129:                            ;   in Loop: Header=BB334_9 Depth=1
	s_delay_alu instid0(SALU_CYCLE_1) | instskip(NEXT) | instid1(SALU_CYCLE_1)
	s_or_b32 exec_lo, exec_lo, s27
	s_mov_b32 s27, exec_lo
	v_cmpx_lt_u32_e32 0xffffff, v68
	s_cbranch_execz .LBB334_137
; %bb.130:                              ;   in Loop: Header=BB334_9 Depth=1
	v_lshrrev_b32_e32 v69, 24, v68
	v_bfrev_b32_e32 v66, 1
	s_mov_b32 s28, exec_lo
	s_delay_alu instid0(VALU_DEP_2)
	v_cmpx_ne_u32_e32 0x80, v69
	s_cbranch_execz .LBB334_136
; %bb.131:                              ;   in Loop: Header=BB334_9 Depth=1
	v_bfe_u32 v68, v68, 24, 7
	v_mov_b32_e32 v66, 0x7f800001
	s_mov_b32 s29, exec_lo
	s_delay_alu instid0(VALU_DEP_2)
	v_cmpx_ne_u32_e32 0x7f, v68
	s_cbranch_execz .LBB334_135
; %bb.132:                              ;   in Loop: Header=BB334_9 Depth=1
	v_dual_lshrrev_b32 v66, 3, v68 :: v_dual_bitop2_b32 v2, 7, v69 bitop3:0x40
	s_mov_b32 s30, exec_lo
	v_cmpx_gt_u32_e32 8, v68
; %bb.133:                              ;   in Loop: Header=BB334_9 Depth=1
	s_delay_alu instid0(VALU_DEP_2) | instskip(NEXT) | instid1(VALU_DEP_1)
	v_clz_i32_u32_e32 v66, v2
	v_min_u32_e32 v66, 32, v66
	s_delay_alu instid0(VALU_DEP_1) | instskip(SKIP_1) | instid1(VALU_DEP_2)
	v_subrev_nc_u32_e32 v68, 28, v66
	v_sub_nc_u32_e32 v66, 29, v66
	v_lshlrev_b64_e32 v[70:71], v68, v[2:3]
	s_delay_alu instid0(VALU_DEP_1)
	v_and_b32_e32 v2, 7, v70
; %bb.134:                              ;   in Loop: Header=BB334_9 Depth=1
	s_or_b32 exec_lo, exec_lo, s30
	s_delay_alu instid0(VALU_DEP_1) | instskip(SKIP_1) | instid1(VALU_DEP_2)
	v_dual_lshlrev_b32 v68, 24, v69 :: v_dual_lshlrev_b32 v2, 20, v2
	v_lshl_add_u32 v66, v66, 23, 0x3c000000
	v_and_b32_e32 v68, 0x80000000, v68
	s_delay_alu instid0(VALU_DEP_1)
	v_or3_b32 v66, v2, v68, v66
.LBB334_135:                            ;   in Loop: Header=BB334_9 Depth=1
	s_or_b32 exec_lo, exec_lo, s29
.LBB334_136:                            ;   in Loop: Header=BB334_9 Depth=1
	s_delay_alu instid0(SALU_CYCLE_1)
	s_or_b32 exec_lo, exec_lo, s28
.LBB334_137:                            ;   in Loop: Header=BB334_9 Depth=1
	s_delay_alu instid0(SALU_CYCLE_1)
	s_or_b32 exec_lo, exec_lo, s27
	global_load_b32 v72, v[8:9], off offset:512
	v_dual_mov_b32 v69, 0 :: v_dual_mov_b32 v68, 0
	s_mov_b32 s27, exec_lo
	s_wait_loadcnt 0x0
	v_and_b32_e32 v2, 0xff, v72
	s_delay_alu instid0(VALU_DEP_1)
	v_cmpx_ne_u16_e32 0, v2
	s_cbranch_execz .LBB334_145
; %bb.138:                              ;   in Loop: Header=BB334_9 Depth=1
	v_bfrev_b32_e32 v68, 1
	s_mov_b32 s28, exec_lo
	v_cmpx_ne_u16_e32 0x80, v2
	s_cbranch_execz .LBB334_144
; %bb.139:                              ;   in Loop: Header=BB334_9 Depth=1
	v_and_b32_e32 v70, 0x7f, v72
	v_mov_b32_e32 v68, 0x7f800001
	s_mov_b32 s29, exec_lo
	s_delay_alu instid0(VALU_DEP_2)
	v_cmpx_ne_u32_e32 0x7f, v70
	s_cbranch_execz .LBB334_143
; %bb.140:                              ;   in Loop: Header=BB334_9 Depth=1
	v_dual_lshrrev_b32 v68, 3, v70 :: v_dual_bitop2_b32 v2, 7, v72 bitop3:0x40
	s_mov_b32 s30, exec_lo
	v_cmpx_gt_u32_e32 8, v70
; %bb.141:                              ;   in Loop: Header=BB334_9 Depth=1
	s_delay_alu instid0(VALU_DEP_2) | instskip(NEXT) | instid1(VALU_DEP_1)
	v_clz_i32_u32_e32 v68, v2
	v_min_u32_e32 v68, 32, v68
	s_delay_alu instid0(VALU_DEP_1) | instskip(NEXT) | instid1(VALU_DEP_1)
	v_subrev_nc_u32_e32 v70, 28, v68
	v_lshlrev_b64_e32 v[70:71], v70, v[2:3]
	s_delay_alu instid0(VALU_DEP_1)
	v_dual_sub_nc_u32 v68, 29, v68 :: v_dual_bitop2_b32 v2, 7, v70 bitop3:0x40
; %bb.142:                              ;   in Loop: Header=BB334_9 Depth=1
	s_or_b32 exec_lo, exec_lo, s30
	s_delay_alu instid0(VALU_DEP_1) | instskip(NEXT) | instid1(VALU_DEP_2)
	v_dual_lshlrev_b32 v70, 24, v72 :: v_dual_lshlrev_b32 v2, 20, v2
	v_lshl_add_u32 v68, v68, 23, 0x3c000000
	s_delay_alu instid0(VALU_DEP_2) | instskip(NEXT) | instid1(VALU_DEP_1)
	v_and_b32_e32 v70, 0x80000000, v70
	v_or3_b32 v68, v2, v70, v68
.LBB334_143:                            ;   in Loop: Header=BB334_9 Depth=1
	s_or_b32 exec_lo, exec_lo, s29
.LBB334_144:                            ;   in Loop: Header=BB334_9 Depth=1
	s_delay_alu instid0(SALU_CYCLE_1)
	s_or_b32 exec_lo, exec_lo, s28
.LBB334_145:                            ;   in Loop: Header=BB334_9 Depth=1
	s_delay_alu instid0(SALU_CYCLE_1) | instskip(SKIP_2) | instid1(VALU_DEP_1)
	s_or_b32 exec_lo, exec_lo, s27
	v_lshrrev_b16 v2, 8, v72
	s_mov_b32 s27, exec_lo
	v_cmpx_ne_u16_e32 0, v2
	s_cbranch_execz .LBB334_153
; %bb.146:                              ;   in Loop: Header=BB334_9 Depth=1
	v_bfrev_b32_e32 v69, 1
	s_mov_b32 s28, exec_lo
	v_cmpx_ne_u16_e32 0x80, v2
	s_cbranch_execz .LBB334_152
; %bb.147:                              ;   in Loop: Header=BB334_9 Depth=1
	v_and_b32_e32 v2, 0xffff, v2
	v_mov_b32_e32 v69, 0x7f800001
	s_mov_b32 s29, exec_lo
	s_delay_alu instid0(VALU_DEP_2) | instskip(NEXT) | instid1(VALU_DEP_1)
	v_and_b32_e32 v70, 0x7f, v2
	v_cmpx_ne_u32_e32 0x7f, v70
	s_cbranch_execz .LBB334_151
; %bb.148:                              ;   in Loop: Header=BB334_9 Depth=1
	v_and_b32_e32 v2, 7, v2
	v_lshrrev_b32_e32 v69, 3, v70
	s_mov_b32 s30, exec_lo
	v_cmpx_gt_u32_e32 8, v70
; %bb.149:                              ;   in Loop: Header=BB334_9 Depth=1
	s_delay_alu instid0(VALU_DEP_3) | instskip(NEXT) | instid1(VALU_DEP_1)
	v_clz_i32_u32_e32 v69, v2
	v_min_u32_e32 v69, 32, v69
	s_delay_alu instid0(VALU_DEP_1) | instskip(NEXT) | instid1(VALU_DEP_1)
	v_subrev_nc_u32_e32 v70, 28, v69
	v_lshlrev_b64_e32 v[70:71], v70, v[2:3]
	s_delay_alu instid0(VALU_DEP_1)
	v_dual_sub_nc_u32 v69, 29, v69 :: v_dual_bitop2_b32 v2, 7, v70 bitop3:0x40
; %bb.150:                              ;   in Loop: Header=BB334_9 Depth=1
	s_or_b32 exec_lo, exec_lo, s30
	s_delay_alu instid0(VALU_DEP_1) | instskip(NEXT) | instid1(VALU_DEP_2)
	v_dual_lshlrev_b32 v70, 16, v72 :: v_dual_lshlrev_b32 v2, 20, v2
	v_lshl_add_u32 v69, v69, 23, 0x3c000000
	s_delay_alu instid0(VALU_DEP_2) | instskip(NEXT) | instid1(VALU_DEP_1)
	v_and_b32_e32 v70, 0x80000000, v70
	v_or3_b32 v69, v2, v70, v69
.LBB334_151:                            ;   in Loop: Header=BB334_9 Depth=1
	s_or_b32 exec_lo, exec_lo, s29
.LBB334_152:                            ;   in Loop: Header=BB334_9 Depth=1
	s_delay_alu instid0(SALU_CYCLE_1)
	s_or_b32 exec_lo, exec_lo, s28
.LBB334_153:                            ;   in Loop: Header=BB334_9 Depth=1
	s_delay_alu instid0(SALU_CYCLE_1) | instskip(SKIP_3) | instid1(VALU_DEP_2)
	s_or_b32 exec_lo, exec_lo, s27
	v_dual_mov_b32 v70, 0 :: v_dual_lshrrev_b32 v73, 16, v72
	v_mov_b32_e32 v71, 0
	s_mov_b32 s27, exec_lo
	v_and_b32_e32 v2, 0xff, v73
	s_delay_alu instid0(VALU_DEP_1)
	v_cmpx_ne_u16_e32 0, v2
	s_cbranch_execz .LBB334_161
; %bb.154:                              ;   in Loop: Header=BB334_9 Depth=1
	v_bfrev_b32_e32 v71, 1
	s_mov_b32 s28, exec_lo
	v_cmpx_ne_u16_e32 0x80, v2
	s_cbranch_execz .LBB334_160
; %bb.155:                              ;   in Loop: Header=BB334_9 Depth=1
	v_bfe_u32 v74, v72, 16, 7
	v_mov_b32_e32 v71, 0x7f800001
	s_mov_b32 s29, exec_lo
	s_delay_alu instid0(VALU_DEP_2)
	v_cmpx_ne_u32_e32 0x7f, v74
	s_cbranch_execz .LBB334_159
; %bb.156:                              ;   in Loop: Header=BB334_9 Depth=1
	v_dual_lshrrev_b32 v71, 3, v74 :: v_dual_bitop2_b32 v2, 7, v73 bitop3:0x40
	s_mov_b32 s30, exec_lo
	v_cmpx_gt_u32_e32 8, v74
; %bb.157:                              ;   in Loop: Header=BB334_9 Depth=1
	s_delay_alu instid0(VALU_DEP_2) | instskip(NEXT) | instid1(VALU_DEP_1)
	v_clz_i32_u32_e32 v71, v2
	v_min_u32_e32 v71, 32, v71
	s_delay_alu instid0(VALU_DEP_1) | instskip(NEXT) | instid1(VALU_DEP_1)
	v_subrev_nc_u32_e32 v74, 28, v71
	v_lshlrev_b64_e32 v[74:75], v74, v[2:3]
	s_delay_alu instid0(VALU_DEP_1)
	v_dual_sub_nc_u32 v71, 29, v71 :: v_dual_bitop2_b32 v2, 7, v74 bitop3:0x40
; %bb.158:                              ;   in Loop: Header=BB334_9 Depth=1
	s_or_b32 exec_lo, exec_lo, s30
	s_delay_alu instid0(VALU_DEP_1) | instskip(NEXT) | instid1(VALU_DEP_2)
	v_dual_lshlrev_b32 v73, 24, v73 :: v_dual_lshlrev_b32 v2, 20, v2
	v_lshl_add_u32 v71, v71, 23, 0x3c000000
	s_delay_alu instid0(VALU_DEP_2) | instskip(NEXT) | instid1(VALU_DEP_1)
	v_and_b32_e32 v73, 0x80000000, v73
	v_or3_b32 v71, v2, v73, v71
.LBB334_159:                            ;   in Loop: Header=BB334_9 Depth=1
	s_or_b32 exec_lo, exec_lo, s29
.LBB334_160:                            ;   in Loop: Header=BB334_9 Depth=1
	s_delay_alu instid0(SALU_CYCLE_1)
	s_or_b32 exec_lo, exec_lo, s28
.LBB334_161:                            ;   in Loop: Header=BB334_9 Depth=1
	s_delay_alu instid0(SALU_CYCLE_1) | instskip(NEXT) | instid1(SALU_CYCLE_1)
	s_or_b32 exec_lo, exec_lo, s27
	s_mov_b32 s27, exec_lo
	v_cmpx_lt_u32_e32 0xffffff, v72
	s_cbranch_execz .LBB334_169
; %bb.162:                              ;   in Loop: Header=BB334_9 Depth=1
	v_lshrrev_b32_e32 v73, 24, v72
	v_bfrev_b32_e32 v70, 1
	s_mov_b32 s28, exec_lo
	s_delay_alu instid0(VALU_DEP_2)
	v_cmpx_ne_u32_e32 0x80, v73
	s_cbranch_execz .LBB334_168
; %bb.163:                              ;   in Loop: Header=BB334_9 Depth=1
	v_bfe_u32 v72, v72, 24, 7
	v_mov_b32_e32 v70, 0x7f800001
	s_mov_b32 s29, exec_lo
	s_delay_alu instid0(VALU_DEP_2)
	v_cmpx_ne_u32_e32 0x7f, v72
	s_cbranch_execz .LBB334_167
; %bb.164:                              ;   in Loop: Header=BB334_9 Depth=1
	v_dual_lshrrev_b32 v70, 3, v72 :: v_dual_bitop2_b32 v2, 7, v73 bitop3:0x40
	s_mov_b32 s30, exec_lo
	v_cmpx_gt_u32_e32 8, v72
; %bb.165:                              ;   in Loop: Header=BB334_9 Depth=1
	s_delay_alu instid0(VALU_DEP_2) | instskip(NEXT) | instid1(VALU_DEP_1)
	v_clz_i32_u32_e32 v70, v2
	v_min_u32_e32 v70, 32, v70
	s_delay_alu instid0(VALU_DEP_1) | instskip(SKIP_1) | instid1(VALU_DEP_2)
	v_subrev_nc_u32_e32 v72, 28, v70
	v_sub_nc_u32_e32 v70, 29, v70
	v_lshlrev_b64_e32 v[74:75], v72, v[2:3]
	s_delay_alu instid0(VALU_DEP_1)
	v_and_b32_e32 v2, 7, v74
; %bb.166:                              ;   in Loop: Header=BB334_9 Depth=1
	s_or_b32 exec_lo, exec_lo, s30
	s_delay_alu instid0(VALU_DEP_1) | instskip(SKIP_1) | instid1(VALU_DEP_2)
	v_dual_lshlrev_b32 v72, 24, v73 :: v_dual_lshlrev_b32 v2, 20, v2
	v_lshl_add_u32 v70, v70, 23, 0x3c000000
	v_and_b32_e32 v72, 0x80000000, v72
	s_delay_alu instid0(VALU_DEP_1)
	v_or3_b32 v70, v2, v72, v70
.LBB334_167:                            ;   in Loop: Header=BB334_9 Depth=1
	s_or_b32 exec_lo, exec_lo, s29
.LBB334_168:                            ;   in Loop: Header=BB334_9 Depth=1
	s_delay_alu instid0(SALU_CYCLE_1)
	s_or_b32 exec_lo, exec_lo, s28
.LBB334_169:                            ;   in Loop: Header=BB334_9 Depth=1
	s_delay_alu instid0(SALU_CYCLE_1)
	s_or_b32 exec_lo, exec_lo, s27
	global_load_b32 v76, v[8:9], off offset:520
	v_dual_mov_b32 v73, 0 :: v_dual_mov_b32 v72, 0
	s_mov_b32 s27, exec_lo
	s_wait_loadcnt 0x0
	v_and_b32_e32 v2, 0xff, v76
	s_delay_alu instid0(VALU_DEP_1)
	v_cmpx_ne_u16_e32 0, v2
	s_cbranch_execz .LBB334_177
; %bb.170:                              ;   in Loop: Header=BB334_9 Depth=1
	v_bfrev_b32_e32 v72, 1
	s_mov_b32 s28, exec_lo
	v_cmpx_ne_u16_e32 0x80, v2
	s_cbranch_execz .LBB334_176
; %bb.171:                              ;   in Loop: Header=BB334_9 Depth=1
	v_and_b32_e32 v74, 0x7f, v76
	v_mov_b32_e32 v72, 0x7f800001
	s_mov_b32 s29, exec_lo
	s_delay_alu instid0(VALU_DEP_2)
	v_cmpx_ne_u32_e32 0x7f, v74
	s_cbranch_execz .LBB334_175
; %bb.172:                              ;   in Loop: Header=BB334_9 Depth=1
	v_dual_lshrrev_b32 v72, 3, v74 :: v_dual_bitop2_b32 v2, 7, v76 bitop3:0x40
	s_mov_b32 s30, exec_lo
	v_cmpx_gt_u32_e32 8, v74
; %bb.173:                              ;   in Loop: Header=BB334_9 Depth=1
	s_delay_alu instid0(VALU_DEP_2) | instskip(NEXT) | instid1(VALU_DEP_1)
	v_clz_i32_u32_e32 v72, v2
	v_min_u32_e32 v72, 32, v72
	s_delay_alu instid0(VALU_DEP_1) | instskip(NEXT) | instid1(VALU_DEP_1)
	v_subrev_nc_u32_e32 v74, 28, v72
	v_lshlrev_b64_e32 v[74:75], v74, v[2:3]
	s_delay_alu instid0(VALU_DEP_1)
	v_dual_sub_nc_u32 v72, 29, v72 :: v_dual_bitop2_b32 v2, 7, v74 bitop3:0x40
; %bb.174:                              ;   in Loop: Header=BB334_9 Depth=1
	s_or_b32 exec_lo, exec_lo, s30
	s_delay_alu instid0(VALU_DEP_1) | instskip(NEXT) | instid1(VALU_DEP_2)
	v_dual_lshlrev_b32 v74, 24, v76 :: v_dual_lshlrev_b32 v2, 20, v2
	v_lshl_add_u32 v72, v72, 23, 0x3c000000
	s_delay_alu instid0(VALU_DEP_2) | instskip(NEXT) | instid1(VALU_DEP_1)
	v_and_b32_e32 v74, 0x80000000, v74
	v_or3_b32 v72, v2, v74, v72
.LBB334_175:                            ;   in Loop: Header=BB334_9 Depth=1
	s_or_b32 exec_lo, exec_lo, s29
.LBB334_176:                            ;   in Loop: Header=BB334_9 Depth=1
	s_delay_alu instid0(SALU_CYCLE_1)
	s_or_b32 exec_lo, exec_lo, s28
.LBB334_177:                            ;   in Loop: Header=BB334_9 Depth=1
	s_delay_alu instid0(SALU_CYCLE_1) | instskip(SKIP_2) | instid1(VALU_DEP_1)
	s_or_b32 exec_lo, exec_lo, s27
	v_lshrrev_b16 v2, 8, v76
	s_mov_b32 s27, exec_lo
	v_cmpx_ne_u16_e32 0, v2
	s_cbranch_execz .LBB334_185
; %bb.178:                              ;   in Loop: Header=BB334_9 Depth=1
	v_bfrev_b32_e32 v73, 1
	s_mov_b32 s28, exec_lo
	v_cmpx_ne_u16_e32 0x80, v2
	s_cbranch_execz .LBB334_184
; %bb.179:                              ;   in Loop: Header=BB334_9 Depth=1
	v_and_b32_e32 v2, 0xffff, v2
	v_mov_b32_e32 v73, 0x7f800001
	s_mov_b32 s29, exec_lo
	s_delay_alu instid0(VALU_DEP_2) | instskip(NEXT) | instid1(VALU_DEP_1)
	v_and_b32_e32 v74, 0x7f, v2
	v_cmpx_ne_u32_e32 0x7f, v74
	s_cbranch_execz .LBB334_183
; %bb.180:                              ;   in Loop: Header=BB334_9 Depth=1
	v_and_b32_e32 v2, 7, v2
	v_lshrrev_b32_e32 v73, 3, v74
	s_mov_b32 s30, exec_lo
	v_cmpx_gt_u32_e32 8, v74
; %bb.181:                              ;   in Loop: Header=BB334_9 Depth=1
	s_delay_alu instid0(VALU_DEP_3) | instskip(NEXT) | instid1(VALU_DEP_1)
	v_clz_i32_u32_e32 v73, v2
	v_min_u32_e32 v73, 32, v73
	s_delay_alu instid0(VALU_DEP_1) | instskip(NEXT) | instid1(VALU_DEP_1)
	v_subrev_nc_u32_e32 v74, 28, v73
	v_lshlrev_b64_e32 v[74:75], v74, v[2:3]
	s_delay_alu instid0(VALU_DEP_1)
	v_dual_sub_nc_u32 v73, 29, v73 :: v_dual_bitop2_b32 v2, 7, v74 bitop3:0x40
; %bb.182:                              ;   in Loop: Header=BB334_9 Depth=1
	s_or_b32 exec_lo, exec_lo, s30
	s_delay_alu instid0(VALU_DEP_1) | instskip(NEXT) | instid1(VALU_DEP_2)
	v_dual_lshlrev_b32 v74, 16, v76 :: v_dual_lshlrev_b32 v2, 20, v2
	v_lshl_add_u32 v73, v73, 23, 0x3c000000
	s_delay_alu instid0(VALU_DEP_2) | instskip(NEXT) | instid1(VALU_DEP_1)
	v_and_b32_e32 v74, 0x80000000, v74
	v_or3_b32 v73, v2, v74, v73
.LBB334_183:                            ;   in Loop: Header=BB334_9 Depth=1
	s_or_b32 exec_lo, exec_lo, s29
.LBB334_184:                            ;   in Loop: Header=BB334_9 Depth=1
	s_delay_alu instid0(SALU_CYCLE_1)
	s_or_b32 exec_lo, exec_lo, s28
.LBB334_185:                            ;   in Loop: Header=BB334_9 Depth=1
	s_delay_alu instid0(SALU_CYCLE_1) | instskip(SKIP_3) | instid1(VALU_DEP_2)
	s_or_b32 exec_lo, exec_lo, s27
	v_dual_mov_b32 v74, 0 :: v_dual_lshrrev_b32 v77, 16, v76
	v_mov_b32_e32 v75, 0
	s_mov_b32 s27, exec_lo
	v_and_b32_e32 v2, 0xff, v77
	s_delay_alu instid0(VALU_DEP_1)
	v_cmpx_ne_u16_e32 0, v2
	s_cbranch_execz .LBB334_193
; %bb.186:                              ;   in Loop: Header=BB334_9 Depth=1
	v_bfrev_b32_e32 v75, 1
	s_mov_b32 s28, exec_lo
	v_cmpx_ne_u16_e32 0x80, v2
	s_cbranch_execz .LBB334_192
; %bb.187:                              ;   in Loop: Header=BB334_9 Depth=1
	v_bfe_u32 v78, v76, 16, 7
	v_mov_b32_e32 v75, 0x7f800001
	s_mov_b32 s29, exec_lo
	s_delay_alu instid0(VALU_DEP_2)
	v_cmpx_ne_u32_e32 0x7f, v78
	s_cbranch_execz .LBB334_191
; %bb.188:                              ;   in Loop: Header=BB334_9 Depth=1
	v_dual_lshrrev_b32 v75, 3, v78 :: v_dual_bitop2_b32 v2, 7, v77 bitop3:0x40
	s_mov_b32 s30, exec_lo
	v_cmpx_gt_u32_e32 8, v78
; %bb.189:                              ;   in Loop: Header=BB334_9 Depth=1
	s_delay_alu instid0(VALU_DEP_2) | instskip(NEXT) | instid1(VALU_DEP_1)
	v_clz_i32_u32_e32 v75, v2
	v_min_u32_e32 v75, 32, v75
	s_delay_alu instid0(VALU_DEP_1) | instskip(NEXT) | instid1(VALU_DEP_1)
	v_subrev_nc_u32_e32 v78, 28, v75
	v_lshlrev_b64_e32 v[78:79], v78, v[2:3]
	s_delay_alu instid0(VALU_DEP_1)
	v_dual_sub_nc_u32 v75, 29, v75 :: v_dual_bitop2_b32 v2, 7, v78 bitop3:0x40
; %bb.190:                              ;   in Loop: Header=BB334_9 Depth=1
	s_or_b32 exec_lo, exec_lo, s30
	s_delay_alu instid0(VALU_DEP_1) | instskip(NEXT) | instid1(VALU_DEP_2)
	v_dual_lshlrev_b32 v77, 24, v77 :: v_dual_lshlrev_b32 v2, 20, v2
	v_lshl_add_u32 v75, v75, 23, 0x3c000000
	s_delay_alu instid0(VALU_DEP_2) | instskip(NEXT) | instid1(VALU_DEP_1)
	v_and_b32_e32 v77, 0x80000000, v77
	v_or3_b32 v75, v2, v77, v75
.LBB334_191:                            ;   in Loop: Header=BB334_9 Depth=1
	s_or_b32 exec_lo, exec_lo, s29
.LBB334_192:                            ;   in Loop: Header=BB334_9 Depth=1
	s_delay_alu instid0(SALU_CYCLE_1)
	s_or_b32 exec_lo, exec_lo, s28
.LBB334_193:                            ;   in Loop: Header=BB334_9 Depth=1
	s_delay_alu instid0(SALU_CYCLE_1) | instskip(NEXT) | instid1(SALU_CYCLE_1)
	s_or_b32 exec_lo, exec_lo, s27
	s_mov_b32 s27, exec_lo
	v_cmpx_lt_u32_e32 0xffffff, v76
	s_cbranch_execz .LBB334_201
; %bb.194:                              ;   in Loop: Header=BB334_9 Depth=1
	v_lshrrev_b32_e32 v77, 24, v76
	v_bfrev_b32_e32 v74, 1
	s_mov_b32 s28, exec_lo
	s_delay_alu instid0(VALU_DEP_2)
	v_cmpx_ne_u32_e32 0x80, v77
	s_cbranch_execz .LBB334_200
; %bb.195:                              ;   in Loop: Header=BB334_9 Depth=1
	v_bfe_u32 v76, v76, 24, 7
	v_mov_b32_e32 v74, 0x7f800001
	s_mov_b32 s29, exec_lo
	s_delay_alu instid0(VALU_DEP_2)
	v_cmpx_ne_u32_e32 0x7f, v76
	s_cbranch_execz .LBB334_199
; %bb.196:                              ;   in Loop: Header=BB334_9 Depth=1
	v_dual_lshrrev_b32 v74, 3, v76 :: v_dual_bitop2_b32 v2, 7, v77 bitop3:0x40
	s_mov_b32 s30, exec_lo
	v_cmpx_gt_u32_e32 8, v76
; %bb.197:                              ;   in Loop: Header=BB334_9 Depth=1
	s_delay_alu instid0(VALU_DEP_2) | instskip(NEXT) | instid1(VALU_DEP_1)
	v_clz_i32_u32_e32 v74, v2
	v_min_u32_e32 v74, 32, v74
	s_delay_alu instid0(VALU_DEP_1) | instskip(SKIP_1) | instid1(VALU_DEP_2)
	v_subrev_nc_u32_e32 v76, 28, v74
	v_sub_nc_u32_e32 v74, 29, v74
	v_lshlrev_b64_e32 v[78:79], v76, v[2:3]
	s_delay_alu instid0(VALU_DEP_1)
	v_and_b32_e32 v2, 7, v78
; %bb.198:                              ;   in Loop: Header=BB334_9 Depth=1
	s_or_b32 exec_lo, exec_lo, s30
	s_delay_alu instid0(VALU_DEP_1) | instskip(SKIP_1) | instid1(VALU_DEP_2)
	v_dual_lshlrev_b32 v76, 24, v77 :: v_dual_lshlrev_b32 v2, 20, v2
	v_lshl_add_u32 v74, v74, 23, 0x3c000000
	v_and_b32_e32 v76, 0x80000000, v76
	s_delay_alu instid0(VALU_DEP_1)
	v_or3_b32 v74, v2, v76, v74
.LBB334_199:                            ;   in Loop: Header=BB334_9 Depth=1
	s_or_b32 exec_lo, exec_lo, s29
.LBB334_200:                            ;   in Loop: Header=BB334_9 Depth=1
	s_delay_alu instid0(SALU_CYCLE_1)
	s_or_b32 exec_lo, exec_lo, s28
.LBB334_201:                            ;   in Loop: Header=BB334_9 Depth=1
	s_delay_alu instid0(SALU_CYCLE_1)
	s_or_b32 exec_lo, exec_lo, s27
	global_load_b32 v80, v[8:9], off offset:768
	v_dual_mov_b32 v77, 0 :: v_dual_mov_b32 v76, 0
	s_mov_b32 s27, exec_lo
	s_wait_loadcnt 0x0
	v_and_b32_e32 v2, 0xff, v80
	s_delay_alu instid0(VALU_DEP_1)
	v_cmpx_ne_u16_e32 0, v2
	s_cbranch_execz .LBB334_209
; %bb.202:                              ;   in Loop: Header=BB334_9 Depth=1
	v_bfrev_b32_e32 v76, 1
	s_mov_b32 s28, exec_lo
	v_cmpx_ne_u16_e32 0x80, v2
	s_cbranch_execz .LBB334_208
; %bb.203:                              ;   in Loop: Header=BB334_9 Depth=1
	v_and_b32_e32 v78, 0x7f, v80
	v_mov_b32_e32 v76, 0x7f800001
	s_mov_b32 s29, exec_lo
	s_delay_alu instid0(VALU_DEP_2)
	v_cmpx_ne_u32_e32 0x7f, v78
	s_cbranch_execz .LBB334_207
; %bb.204:                              ;   in Loop: Header=BB334_9 Depth=1
	v_dual_lshrrev_b32 v76, 3, v78 :: v_dual_bitop2_b32 v2, 7, v80 bitop3:0x40
	s_mov_b32 s30, exec_lo
	v_cmpx_gt_u32_e32 8, v78
; %bb.205:                              ;   in Loop: Header=BB334_9 Depth=1
	s_delay_alu instid0(VALU_DEP_2) | instskip(NEXT) | instid1(VALU_DEP_1)
	v_clz_i32_u32_e32 v76, v2
	v_min_u32_e32 v76, 32, v76
	s_delay_alu instid0(VALU_DEP_1) | instskip(NEXT) | instid1(VALU_DEP_1)
	v_subrev_nc_u32_e32 v78, 28, v76
	v_lshlrev_b64_e32 v[78:79], v78, v[2:3]
	s_delay_alu instid0(VALU_DEP_1)
	v_dual_sub_nc_u32 v76, 29, v76 :: v_dual_bitop2_b32 v2, 7, v78 bitop3:0x40
; %bb.206:                              ;   in Loop: Header=BB334_9 Depth=1
	s_or_b32 exec_lo, exec_lo, s30
	s_delay_alu instid0(VALU_DEP_1) | instskip(NEXT) | instid1(VALU_DEP_2)
	v_dual_lshlrev_b32 v78, 24, v80 :: v_dual_lshlrev_b32 v2, 20, v2
	v_lshl_add_u32 v76, v76, 23, 0x3c000000
	s_delay_alu instid0(VALU_DEP_2) | instskip(NEXT) | instid1(VALU_DEP_1)
	v_and_b32_e32 v78, 0x80000000, v78
	v_or3_b32 v76, v2, v78, v76
.LBB334_207:                            ;   in Loop: Header=BB334_9 Depth=1
	s_or_b32 exec_lo, exec_lo, s29
.LBB334_208:                            ;   in Loop: Header=BB334_9 Depth=1
	s_delay_alu instid0(SALU_CYCLE_1)
	s_or_b32 exec_lo, exec_lo, s28
.LBB334_209:                            ;   in Loop: Header=BB334_9 Depth=1
	s_delay_alu instid0(SALU_CYCLE_1) | instskip(SKIP_2) | instid1(VALU_DEP_1)
	s_or_b32 exec_lo, exec_lo, s27
	v_lshrrev_b16 v2, 8, v80
	s_mov_b32 s27, exec_lo
	v_cmpx_ne_u16_e32 0, v2
	s_cbranch_execz .LBB334_217
; %bb.210:                              ;   in Loop: Header=BB334_9 Depth=1
	v_bfrev_b32_e32 v77, 1
	s_mov_b32 s28, exec_lo
	v_cmpx_ne_u16_e32 0x80, v2
	s_cbranch_execz .LBB334_216
; %bb.211:                              ;   in Loop: Header=BB334_9 Depth=1
	v_and_b32_e32 v2, 0xffff, v2
	v_mov_b32_e32 v77, 0x7f800001
	s_mov_b32 s29, exec_lo
	s_delay_alu instid0(VALU_DEP_2) | instskip(NEXT) | instid1(VALU_DEP_1)
	v_and_b32_e32 v78, 0x7f, v2
	v_cmpx_ne_u32_e32 0x7f, v78
	s_cbranch_execz .LBB334_215
; %bb.212:                              ;   in Loop: Header=BB334_9 Depth=1
	v_and_b32_e32 v2, 7, v2
	v_lshrrev_b32_e32 v77, 3, v78
	s_mov_b32 s30, exec_lo
	v_cmpx_gt_u32_e32 8, v78
; %bb.213:                              ;   in Loop: Header=BB334_9 Depth=1
	s_delay_alu instid0(VALU_DEP_3) | instskip(NEXT) | instid1(VALU_DEP_1)
	v_clz_i32_u32_e32 v77, v2
	v_min_u32_e32 v77, 32, v77
	s_delay_alu instid0(VALU_DEP_1) | instskip(NEXT) | instid1(VALU_DEP_1)
	v_subrev_nc_u32_e32 v78, 28, v77
	v_lshlrev_b64_e32 v[78:79], v78, v[2:3]
	s_delay_alu instid0(VALU_DEP_1)
	v_dual_sub_nc_u32 v77, 29, v77 :: v_dual_bitop2_b32 v2, 7, v78 bitop3:0x40
; %bb.214:                              ;   in Loop: Header=BB334_9 Depth=1
	s_or_b32 exec_lo, exec_lo, s30
	s_delay_alu instid0(VALU_DEP_1) | instskip(NEXT) | instid1(VALU_DEP_2)
	v_dual_lshlrev_b32 v78, 16, v80 :: v_dual_lshlrev_b32 v2, 20, v2
	v_lshl_add_u32 v77, v77, 23, 0x3c000000
	s_delay_alu instid0(VALU_DEP_2) | instskip(NEXT) | instid1(VALU_DEP_1)
	v_and_b32_e32 v78, 0x80000000, v78
	v_or3_b32 v77, v2, v78, v77
.LBB334_215:                            ;   in Loop: Header=BB334_9 Depth=1
	s_or_b32 exec_lo, exec_lo, s29
.LBB334_216:                            ;   in Loop: Header=BB334_9 Depth=1
	s_delay_alu instid0(SALU_CYCLE_1)
	s_or_b32 exec_lo, exec_lo, s28
.LBB334_217:                            ;   in Loop: Header=BB334_9 Depth=1
	s_delay_alu instid0(SALU_CYCLE_1) | instskip(SKIP_3) | instid1(VALU_DEP_2)
	s_or_b32 exec_lo, exec_lo, s27
	v_dual_mov_b32 v78, 0 :: v_dual_lshrrev_b32 v81, 16, v80
	v_mov_b32_e32 v79, 0
	s_mov_b32 s27, exec_lo
	v_and_b32_e32 v2, 0xff, v81
	s_delay_alu instid0(VALU_DEP_1)
	v_cmpx_ne_u16_e32 0, v2
	s_cbranch_execz .LBB334_225
; %bb.218:                              ;   in Loop: Header=BB334_9 Depth=1
	v_bfrev_b32_e32 v79, 1
	s_mov_b32 s28, exec_lo
	v_cmpx_ne_u16_e32 0x80, v2
	s_cbranch_execz .LBB334_224
; %bb.219:                              ;   in Loop: Header=BB334_9 Depth=1
	v_bfe_u32 v82, v80, 16, 7
	v_mov_b32_e32 v79, 0x7f800001
	s_mov_b32 s29, exec_lo
	s_delay_alu instid0(VALU_DEP_2)
	v_cmpx_ne_u32_e32 0x7f, v82
	s_cbranch_execz .LBB334_223
; %bb.220:                              ;   in Loop: Header=BB334_9 Depth=1
	v_dual_lshrrev_b32 v79, 3, v82 :: v_dual_bitop2_b32 v2, 7, v81 bitop3:0x40
	s_mov_b32 s30, exec_lo
	v_cmpx_gt_u32_e32 8, v82
; %bb.221:                              ;   in Loop: Header=BB334_9 Depth=1
	s_delay_alu instid0(VALU_DEP_2) | instskip(NEXT) | instid1(VALU_DEP_1)
	v_clz_i32_u32_e32 v79, v2
	v_min_u32_e32 v79, 32, v79
	s_delay_alu instid0(VALU_DEP_1) | instskip(NEXT) | instid1(VALU_DEP_1)
	v_subrev_nc_u32_e32 v82, 28, v79
	v_lshlrev_b64_e32 v[82:83], v82, v[2:3]
	s_delay_alu instid0(VALU_DEP_1)
	v_dual_sub_nc_u32 v79, 29, v79 :: v_dual_bitop2_b32 v2, 7, v82 bitop3:0x40
; %bb.222:                              ;   in Loop: Header=BB334_9 Depth=1
	s_or_b32 exec_lo, exec_lo, s30
	s_delay_alu instid0(VALU_DEP_1) | instskip(NEXT) | instid1(VALU_DEP_2)
	v_dual_lshlrev_b32 v81, 24, v81 :: v_dual_lshlrev_b32 v2, 20, v2
	v_lshl_add_u32 v79, v79, 23, 0x3c000000
	s_delay_alu instid0(VALU_DEP_2) | instskip(NEXT) | instid1(VALU_DEP_1)
	v_and_b32_e32 v81, 0x80000000, v81
	v_or3_b32 v79, v2, v81, v79
.LBB334_223:                            ;   in Loop: Header=BB334_9 Depth=1
	s_or_b32 exec_lo, exec_lo, s29
.LBB334_224:                            ;   in Loop: Header=BB334_9 Depth=1
	s_delay_alu instid0(SALU_CYCLE_1)
	s_or_b32 exec_lo, exec_lo, s28
.LBB334_225:                            ;   in Loop: Header=BB334_9 Depth=1
	s_delay_alu instid0(SALU_CYCLE_1) | instskip(NEXT) | instid1(SALU_CYCLE_1)
	s_or_b32 exec_lo, exec_lo, s27
	s_mov_b32 s27, exec_lo
	v_cmpx_lt_u32_e32 0xffffff, v80
	s_cbranch_execz .LBB334_233
; %bb.226:                              ;   in Loop: Header=BB334_9 Depth=1
	v_lshrrev_b32_e32 v81, 24, v80
	v_bfrev_b32_e32 v78, 1
	s_mov_b32 s28, exec_lo
	s_delay_alu instid0(VALU_DEP_2)
	v_cmpx_ne_u32_e32 0x80, v81
	s_cbranch_execz .LBB334_232
; %bb.227:                              ;   in Loop: Header=BB334_9 Depth=1
	v_bfe_u32 v80, v80, 24, 7
	v_mov_b32_e32 v78, 0x7f800001
	s_mov_b32 s29, exec_lo
	s_delay_alu instid0(VALU_DEP_2)
	v_cmpx_ne_u32_e32 0x7f, v80
	s_cbranch_execz .LBB334_231
; %bb.228:                              ;   in Loop: Header=BB334_9 Depth=1
	v_dual_lshrrev_b32 v78, 3, v80 :: v_dual_bitop2_b32 v2, 7, v81 bitop3:0x40
	s_mov_b32 s30, exec_lo
	v_cmpx_gt_u32_e32 8, v80
; %bb.229:                              ;   in Loop: Header=BB334_9 Depth=1
	s_delay_alu instid0(VALU_DEP_2) | instskip(NEXT) | instid1(VALU_DEP_1)
	v_clz_i32_u32_e32 v78, v2
	v_min_u32_e32 v78, 32, v78
	s_delay_alu instid0(VALU_DEP_1) | instskip(SKIP_1) | instid1(VALU_DEP_2)
	v_subrev_nc_u32_e32 v80, 28, v78
	v_sub_nc_u32_e32 v78, 29, v78
	v_lshlrev_b64_e32 v[82:83], v80, v[2:3]
	s_delay_alu instid0(VALU_DEP_1)
	v_and_b32_e32 v2, 7, v82
; %bb.230:                              ;   in Loop: Header=BB334_9 Depth=1
	s_or_b32 exec_lo, exec_lo, s30
	s_delay_alu instid0(VALU_DEP_1) | instskip(SKIP_1) | instid1(VALU_DEP_2)
	v_dual_lshlrev_b32 v80, 24, v81 :: v_dual_lshlrev_b32 v2, 20, v2
	v_lshl_add_u32 v78, v78, 23, 0x3c000000
	v_and_b32_e32 v80, 0x80000000, v80
	s_delay_alu instid0(VALU_DEP_1)
	v_or3_b32 v78, v2, v80, v78
.LBB334_231:                            ;   in Loop: Header=BB334_9 Depth=1
	s_or_b32 exec_lo, exec_lo, s29
.LBB334_232:                            ;   in Loop: Header=BB334_9 Depth=1
	s_delay_alu instid0(SALU_CYCLE_1)
	s_or_b32 exec_lo, exec_lo, s28
.LBB334_233:                            ;   in Loop: Header=BB334_9 Depth=1
	s_delay_alu instid0(SALU_CYCLE_1)
	s_or_b32 exec_lo, exec_lo, s27
	global_load_b32 v80, v[8:9], off offset:776
	s_wait_xcnt 0x0
	v_dual_mov_b32 v9, 0 :: v_dual_mov_b32 v8, 0
	s_mov_b32 s27, exec_lo
	s_wait_loadcnt 0x0
	v_and_b32_e32 v2, 0xff, v80
	s_delay_alu instid0(VALU_DEP_1)
	v_cmpx_ne_u16_e32 0, v2
	s_cbranch_execz .LBB334_241
; %bb.234:                              ;   in Loop: Header=BB334_9 Depth=1
	v_bfrev_b32_e32 v8, 1
	s_mov_b32 s28, exec_lo
	v_cmpx_ne_u16_e32 0x80, v2
	s_cbranch_execz .LBB334_240
; %bb.235:                              ;   in Loop: Header=BB334_9 Depth=1
	v_and_b32_e32 v81, 0x7f, v80
	v_mov_b32_e32 v8, 0x7f800001
	s_mov_b32 s29, exec_lo
	s_delay_alu instid0(VALU_DEP_2)
	v_cmpx_ne_u32_e32 0x7f, v81
	s_cbranch_execz .LBB334_239
; %bb.236:                              ;   in Loop: Header=BB334_9 Depth=1
	v_dual_lshrrev_b32 v8, 3, v81 :: v_dual_bitop2_b32 v2, 7, v80 bitop3:0x40
	s_mov_b32 s30, exec_lo
	v_cmpx_gt_u32_e32 8, v81
; %bb.237:                              ;   in Loop: Header=BB334_9 Depth=1
	s_delay_alu instid0(VALU_DEP_2) | instskip(NEXT) | instid1(VALU_DEP_1)
	v_clz_i32_u32_e32 v8, v2
	v_min_u32_e32 v8, 32, v8
	s_delay_alu instid0(VALU_DEP_1) | instskip(NEXT) | instid1(VALU_DEP_1)
	v_subrev_nc_u32_e32 v81, 28, v8
	v_lshlrev_b64_e32 v[82:83], v81, v[2:3]
	s_delay_alu instid0(VALU_DEP_1)
	v_dual_sub_nc_u32 v8, 29, v8 :: v_dual_bitop2_b32 v2, 7, v82 bitop3:0x40
; %bb.238:                              ;   in Loop: Header=BB334_9 Depth=1
	s_or_b32 exec_lo, exec_lo, s30
	s_delay_alu instid0(VALU_DEP_1) | instskip(NEXT) | instid1(VALU_DEP_2)
	v_dual_lshlrev_b32 v81, 24, v80 :: v_dual_lshlrev_b32 v2, 20, v2
	v_lshl_add_u32 v8, v8, 23, 0x3c000000
	s_delay_alu instid0(VALU_DEP_2) | instskip(NEXT) | instid1(VALU_DEP_1)
	v_and_b32_e32 v81, 0x80000000, v81
	v_or3_b32 v8, v2, v81, v8
.LBB334_239:                            ;   in Loop: Header=BB334_9 Depth=1
	s_or_b32 exec_lo, exec_lo, s29
.LBB334_240:                            ;   in Loop: Header=BB334_9 Depth=1
	s_delay_alu instid0(SALU_CYCLE_1)
	s_or_b32 exec_lo, exec_lo, s28
.LBB334_241:                            ;   in Loop: Header=BB334_9 Depth=1
	s_delay_alu instid0(SALU_CYCLE_1) | instskip(SKIP_2) | instid1(VALU_DEP_1)
	s_or_b32 exec_lo, exec_lo, s27
	v_lshrrev_b16 v2, 8, v80
	s_mov_b32 s27, exec_lo
	v_cmpx_ne_u16_e32 0, v2
	s_cbranch_execz .LBB334_249
; %bb.242:                              ;   in Loop: Header=BB334_9 Depth=1
	v_bfrev_b32_e32 v9, 1
	s_mov_b32 s28, exec_lo
	v_cmpx_ne_u16_e32 0x80, v2
	s_cbranch_execz .LBB334_248
; %bb.243:                              ;   in Loop: Header=BB334_9 Depth=1
	v_and_b32_e32 v2, 0xffff, v2
	v_mov_b32_e32 v9, 0x7f800001
	s_mov_b32 s29, exec_lo
	s_delay_alu instid0(VALU_DEP_2) | instskip(NEXT) | instid1(VALU_DEP_1)
	v_and_b32_e32 v81, 0x7f, v2
	v_cmpx_ne_u32_e32 0x7f, v81
	s_cbranch_execz .LBB334_247
; %bb.244:                              ;   in Loop: Header=BB334_9 Depth=1
	v_dual_lshrrev_b32 v9, 3, v81 :: v_dual_bitop2_b32 v2, 7, v2 bitop3:0x40
	s_mov_b32 s30, exec_lo
	v_cmpx_gt_u32_e32 8, v81
; %bb.245:                              ;   in Loop: Header=BB334_9 Depth=1
	s_delay_alu instid0(VALU_DEP_2) | instskip(NEXT) | instid1(VALU_DEP_1)
	v_clz_i32_u32_e32 v9, v2
	v_min_u32_e32 v9, 32, v9
	s_delay_alu instid0(VALU_DEP_1) | instskip(NEXT) | instid1(VALU_DEP_1)
	v_subrev_nc_u32_e32 v81, 28, v9
	v_lshlrev_b64_e32 v[82:83], v81, v[2:3]
	s_delay_alu instid0(VALU_DEP_1)
	v_dual_sub_nc_u32 v9, 29, v9 :: v_dual_bitop2_b32 v2, 7, v82 bitop3:0x40
; %bb.246:                              ;   in Loop: Header=BB334_9 Depth=1
	s_or_b32 exec_lo, exec_lo, s30
	s_delay_alu instid0(VALU_DEP_1) | instskip(NEXT) | instid1(VALU_DEP_2)
	v_dual_lshlrev_b32 v81, 16, v80 :: v_dual_lshlrev_b32 v2, 20, v2
	v_lshl_add_u32 v9, v9, 23, 0x3c000000
	s_delay_alu instid0(VALU_DEP_2) | instskip(NEXT) | instid1(VALU_DEP_1)
	v_and_b32_e32 v81, 0x80000000, v81
	v_or3_b32 v9, v2, v81, v9
.LBB334_247:                            ;   in Loop: Header=BB334_9 Depth=1
	s_or_b32 exec_lo, exec_lo, s29
.LBB334_248:                            ;   in Loop: Header=BB334_9 Depth=1
	s_delay_alu instid0(SALU_CYCLE_1)
	s_or_b32 exec_lo, exec_lo, s28
.LBB334_249:                            ;   in Loop: Header=BB334_9 Depth=1
	s_delay_alu instid0(SALU_CYCLE_1) | instskip(SKIP_3) | instid1(VALU_DEP_2)
	s_or_b32 exec_lo, exec_lo, s27
	v_dual_lshrrev_b32 v83, 16, v80 :: v_dual_mov_b32 v81, 0
	v_mov_b32_e32 v82, 0
	s_mov_b32 s27, exec_lo
	v_and_b32_e32 v2, 0xff, v83
	s_delay_alu instid0(VALU_DEP_1)
	v_cmpx_ne_u16_e32 0, v2
	s_cbranch_execz .LBB334_257
; %bb.250:                              ;   in Loop: Header=BB334_9 Depth=1
	v_bfrev_b32_e32 v82, 1
	s_mov_b32 s28, exec_lo
	v_cmpx_ne_u16_e32 0x80, v2
	s_cbranch_execz .LBB334_256
; %bb.251:                              ;   in Loop: Header=BB334_9 Depth=1
	v_bfe_u32 v84, v80, 16, 7
	v_mov_b32_e32 v82, 0x7f800001
	s_mov_b32 s29, exec_lo
	s_delay_alu instid0(VALU_DEP_2)
	v_cmpx_ne_u32_e32 0x7f, v84
	s_cbranch_execz .LBB334_255
; %bb.252:                              ;   in Loop: Header=BB334_9 Depth=1
	v_dual_lshrrev_b32 v82, 3, v84 :: v_dual_bitop2_b32 v2, 7, v83 bitop3:0x40
	s_mov_b32 s30, exec_lo
	v_cmpx_gt_u32_e32 8, v84
; %bb.253:                              ;   in Loop: Header=BB334_9 Depth=1
	s_delay_alu instid0(VALU_DEP_2) | instskip(NEXT) | instid1(VALU_DEP_1)
	v_clz_i32_u32_e32 v82, v2
	v_min_u32_e32 v82, 32, v82
	s_delay_alu instid0(VALU_DEP_1) | instskip(NEXT) | instid1(VALU_DEP_1)
	v_subrev_nc_u32_e32 v84, 28, v82
	v_lshlrev_b64_e32 v[84:85], v84, v[2:3]
	s_delay_alu instid0(VALU_DEP_1)
	v_dual_sub_nc_u32 v82, 29, v82 :: v_dual_bitop2_b32 v2, 7, v84 bitop3:0x40
; %bb.254:                              ;   in Loop: Header=BB334_9 Depth=1
	s_or_b32 exec_lo, exec_lo, s30
	s_delay_alu instid0(VALU_DEP_1) | instskip(NEXT) | instid1(VALU_DEP_2)
	v_dual_lshlrev_b32 v83, 24, v83 :: v_dual_lshlrev_b32 v2, 20, v2
	v_lshl_add_u32 v82, v82, 23, 0x3c000000
	s_delay_alu instid0(VALU_DEP_2) | instskip(NEXT) | instid1(VALU_DEP_1)
	v_and_b32_e32 v83, 0x80000000, v83
	v_or3_b32 v82, v2, v83, v82
.LBB334_255:                            ;   in Loop: Header=BB334_9 Depth=1
	s_or_b32 exec_lo, exec_lo, s29
.LBB334_256:                            ;   in Loop: Header=BB334_9 Depth=1
	s_delay_alu instid0(SALU_CYCLE_1)
	s_or_b32 exec_lo, exec_lo, s28
.LBB334_257:                            ;   in Loop: Header=BB334_9 Depth=1
	s_delay_alu instid0(SALU_CYCLE_1) | instskip(NEXT) | instid1(SALU_CYCLE_1)
	s_or_b32 exec_lo, exec_lo, s27
	s_mov_b32 s27, exec_lo
	v_cmpx_lt_u32_e32 0xffffff, v80
	s_cbranch_execz .LBB334_265
; %bb.258:                              ;   in Loop: Header=BB334_9 Depth=1
	v_lshrrev_b32_e32 v83, 24, v80
	v_bfrev_b32_e32 v81, 1
	s_mov_b32 s28, exec_lo
	s_delay_alu instid0(VALU_DEP_2)
	v_cmpx_ne_u32_e32 0x80, v83
	s_cbranch_execz .LBB334_264
; %bb.259:                              ;   in Loop: Header=BB334_9 Depth=1
	v_bfe_u32 v84, v80, 24, 7
	v_mov_b32_e32 v81, 0x7f800001
	s_mov_b32 s29, exec_lo
	s_delay_alu instid0(VALU_DEP_2)
	v_cmpx_ne_u32_e32 0x7f, v84
	s_cbranch_execz .LBB334_263
; %bb.260:                              ;   in Loop: Header=BB334_9 Depth=1
	v_dual_lshrrev_b32 v80, 3, v84 :: v_dual_bitop2_b32 v2, 7, v83 bitop3:0x40
	s_mov_b32 s30, exec_lo
	v_cmpx_gt_u32_e32 8, v84
; %bb.261:                              ;   in Loop: Header=BB334_9 Depth=1
	s_delay_alu instid0(VALU_DEP_2) | instskip(NEXT) | instid1(VALU_DEP_1)
	v_clz_i32_u32_e32 v80, v2
	v_min_u32_e32 v80, 32, v80
	s_delay_alu instid0(VALU_DEP_1) | instskip(SKIP_1) | instid1(VALU_DEP_2)
	v_subrev_nc_u32_e32 v81, 28, v80
	v_sub_nc_u32_e32 v80, 29, v80
	v_lshlrev_b64_e32 v[84:85], v81, v[2:3]
	s_delay_alu instid0(VALU_DEP_1)
	v_and_b32_e32 v2, 7, v84
; %bb.262:                              ;   in Loop: Header=BB334_9 Depth=1
	s_or_b32 exec_lo, exec_lo, s30
	s_delay_alu instid0(VALU_DEP_1) | instskip(SKIP_1) | instid1(VALU_DEP_2)
	v_dual_lshlrev_b32 v81, 24, v83 :: v_dual_lshlrev_b32 v2, 20, v2
	v_lshl_add_u32 v80, v80, 23, 0x3c000000
	v_and_b32_e32 v81, 0x80000000, v81
	s_delay_alu instid0(VALU_DEP_1)
	v_or3_b32 v81, v2, v81, v80
.LBB334_263:                            ;   in Loop: Header=BB334_9 Depth=1
	s_or_b32 exec_lo, exec_lo, s29
.LBB334_264:                            ;   in Loop: Header=BB334_9 Depth=1
	s_delay_alu instid0(SALU_CYCLE_1)
	s_or_b32 exec_lo, exec_lo, s28
.LBB334_265:                            ;   in Loop: Header=BB334_9 Depth=1
	s_delay_alu instid0(SALU_CYCLE_1)
	s_or_b32 exec_lo, exec_lo, s27
	s_wait_kmcnt 0x0
	v_fma_mixlo_bf16 v57, s5, v57, 0
	v_fma_mixlo_bf16 v56, s5, v56, 0
	;; [unrolled: 1-line block ×5, first 2 shown]
	s_delay_alu instid0(VALU_DEP_4) | instskip(SKIP_3) | instid1(VALU_DEP_4)
	v_dual_lshlrev_b32 v57, 16, v57 :: v_dual_lshlrev_b32 v56, 16, v56
	v_fma_mixlo_bf16 v52, s5, v52, 0
	v_lshlrev_b32_e32 v59, 16, v59
	v_fma_mixlo_bf16 v61, s5, v61, 0
	v_dual_mul_f32 v57, v16, v57 :: v_dual_mul_f32 v56, v17, v56
	v_lshlrev_b32_e32 v58, 16, v58
	v_fma_mixlo_bf16 v60, s5, v60, 0
	v_fma_mixlo_bf16 v55, s5, v55, 0
	v_mul_f32_e32 v59, v19, v59
	v_fma_mix_f32_bf16 v52, v12, v52, v57 op_sel_hi:[0,1,0]
	v_fma_mix_f32_bf16 v53, v13, v53, v56 op_sel_hi:[0,1,0]
	v_fma_mixlo_bf16 v65, s5, v65, 0
	v_fma_mixlo_bf16 v64, s5, v64, 0
	;; [unrolled: 1-line block ×4, first 2 shown]
	v_mul_f32_e32 v56, v20, v58
	v_fma_mix_f32_bf16 v55, v14, v55, v59 op_sel_hi:[0,1,0]
	v_fma_mix_f32_bf16 v52, v21, v60, v52 op_sel_hi:[0,1,0]
	v_fma_mix_f32_bf16 v53, v22, v61, v53 op_sel_hi:[0,1,0]
	v_fma_mixlo_bf16 v69, s5, v69, 0
	v_fma_mixlo_bf16 v68, s5, v68, 0
	v_fma_mixlo_bf16 v67, s5, v67, 0
	v_fma_mixlo_bf16 v57, s5, v62, 0
	v_fma_mix_f32_bf16 v54, v15, v54, v56 op_sel_hi:[0,1,0]
	v_fma_mix_f32_bf16 v55, v23, v63, v55 op_sel_hi:[0,1,0]
	v_fma_mix_f32_bf16 v52, v25, v64, v52 op_sel_hi:[0,1,0]
	v_fma_mix_f32_bf16 v53, v28, v65, v53 op_sel_hi:[0,1,0]
	v_fma_mixlo_bf16 v73, s5, v73, 0
	v_fma_mixlo_bf16 v72, s5, v72, 0
	v_fma_mixlo_bf16 v71, s5, v71, 0
	v_fma_mixlo_bf16 v56, s5, v66, 0
	v_fma_mix_f32_bf16 v54, v24, v57, v54 op_sel_hi:[0,1,0]
	;; [unrolled: 8-line block ×4, first 2 shown]
	v_fma_mix_f32_bf16 v55, v37, v75, v55 op_sel_hi:[0,1,0]
	v_fma_mix_f32_bf16 v52, v39, v76, v52 op_sel_hi:[0,1,0]
	;; [unrolled: 1-line block ×3, first 2 shown]
	v_fma_mixlo_bf16 v78, s5, v78, 0
	v_fma_mixlo_bf16 v57, s5, v82, 0
	v_fma_mix_f32_bf16 v54, v38, v56, v54 op_sel_hi:[0,1,0]
	v_fma_mix_f32_bf16 v9, v41, v9, v55 op_sel_hi:[0,1,0]
	;; [unrolled: 1-line block ×4, first 2 shown]
	v_fma_mixlo_bf16 v52, s5, v81, 0
	v_fma_mix_f32_bf16 v53, v42, v78, v54 op_sel_hi:[0,1,0]
	v_fma_mix_f32_bf16 v9, v46, v57, v9 op_sel_hi:[0,1,0]
	s_delay_alu instid0(VALU_DEP_4) | instskip(NEXT) | instid1(VALU_DEP_3)
	v_add_f32_e32 v2, v8, v2
	v_fma_mix_f32_bf16 v8, v47, v52, v53 op_sel_hi:[0,1,0]
	s_delay_alu instid0(VALU_DEP_2) | instskip(NEXT) | instid1(VALU_DEP_1)
	v_add_f32_e32 v2, v2, v9
	v_add_f32_e32 v2, v2, v8
	ds_bpermute_b32 v8, v48, v2
	s_and_saveexec_b32 s27, vcc_lo
	s_cbranch_execz .LBB334_8
; %bb.266:                              ;   in Loop: Header=BB334_9 Depth=1
	s_wait_dscnt 0x0
	v_dual_add_f32 v2, v2, v8 :: v_dual_add_nc_u32 v9, s26, v49
	v_cmp_gt_i32_e64 s4, s23, v49
	s_delay_alu instid0(VALU_DEP_2) | instskip(NEXT) | instid1(VALU_DEP_1)
	v_cvt_f32_i32_e32 v9, v9
	v_mul_f32_e32 v9, s18, v9
	s_delay_alu instid0(VALU_DEP_1) | instskip(NEXT) | instid1(VALU_DEP_1)
	v_dual_cndmask_b32 v8, 0, v9, s3 :: v_dual_max_num_f32 v9, v43, v43
	v_fmac_f32_e32 v8, s19, v2
	s_delay_alu instid0(VALU_DEP_1) | instskip(NEXT) | instid1(VALU_DEP_1)
	v_dual_max_num_f32 v2, v9, v8 :: v_dual_cndmask_b32 v8, 0, v8, s4
	v_cndmask_b32_e64 v43, v43, v2, s4
	ds_store_b32 v50, v8
	s_branch .LBB334_8
.LBB334_267:
	s_or_b32 exec_lo, exec_lo, s11
.LBB334_268:
	s_delay_alu instid0(SALU_CYCLE_1)
	s_or_b32 exec_lo, exec_lo, s24
	v_dual_max_num_f32 v6, v43, v43 :: v_dual_bitop2_b32 v2, 16, v10 bitop3:0x14
	v_xor_b32_e32 v7, 4, v10
	v_xor_b32_e32 v5, 8, v10
	s_wait_kmcnt 0x0
	s_clause 0x1
	s_load_b64 s[4:5], s[0:1], 0x0
	s_load_b64 s[18:19], s[0:1], 0x18
	v_cmp_lt_i32_e32 vcc_lo, v2, v11
	v_dual_cndmask_b32 v2, v10, v2, vcc_lo :: v_dual_bitop2_b32 v28, 31, v0 bitop3:0x40
	v_cmp_lt_i32_e32 vcc_lo, v5, v11
	s_delay_alu instid0(VALU_DEP_2) | instskip(SKIP_3) | instid1(VALU_DEP_1)
	v_dual_cndmask_b32 v5, v10, v5 :: v_dual_lshlrev_b32 v4, 2, v2
	ds_bpermute_b32 v2, v4, v43
	s_wait_dscnt 0x0
	v_dual_max_num_f32 v2, v2, v2 :: v_dual_lshlrev_b32 v5, 2, v5
	v_max_num_f32_e32 v2, v6, v2
	ds_bpermute_b32 v6, v5, v2
	s_wait_dscnt 0x0
	v_max_num_f32_e32 v8, v6, v6
	s_delay_alu instid0(VALU_DEP_1) | instskip(SKIP_2) | instid1(VALU_DEP_1)
	v_max_num_f32_e32 v2, v2, v8
	v_cmp_lt_i32_e32 vcc_lo, v7, v11
	v_cndmask_b32_e32 v7, v10, v7, vcc_lo
	v_lshlrev_b32_e32 v6, 2, v7
	ds_bpermute_b32 v7, v6, v2
	s_wait_dscnt 0x0
	v_dual_max_num_f32 v7, v7, v7 :: v_dual_bitop2_b32 v8, 2, v10 bitop3:0x14
	s_delay_alu instid0(VALU_DEP_1) | instskip(SKIP_1) | instid1(VALU_DEP_3)
	v_cmp_lt_i32_e32 vcc_lo, v8, v11
	v_cndmask_b32_e32 v9, v10, v8, vcc_lo
	v_max_num_f32_e32 v8, v2, v7
	v_lshlrev_b32_e32 v7, 2, v27
	v_cmp_eq_u32_e32 vcc_lo, 0, v28
	s_delay_alu instid0(VALU_DEP_4)
	v_lshlrev_b32_e32 v2, 2, v9
	ds_bpermute_b32 v9, v2, v8
	s_wait_xcnt 0x0
	s_and_saveexec_b32 s0, vcc_lo
	s_cbranch_execz .LBB334_270
; %bb.269:
	s_wait_dscnt 0x0
	v_dual_max_num_f32 v9, v9, v9 :: v_dual_max_num_f32 v8, v8, v8
	s_delay_alu instid0(VALU_DEP_1)
	v_max_num_f32_e32 v8, v8, v9
	ds_store_b32 v7, v8 offset:128
.LBB334_270:
	s_or_b32 exec_lo, exec_lo, s0
	v_cmp_gt_u32_e64 s0, 4, v28
	s_wait_dscnt 0x0
	v_dual_mov_b32 v9, 0xff7fffff :: v_dual_lshlrev_b32 v8, 2, v28
	s_barrier_signal -1
	s_barrier_wait -1
	s_and_saveexec_b32 s1, s0
; %bb.271:
	ds_load_b32 v9, v8 offset:128
; %bb.272:
	s_or_b32 exec_lo, exec_lo, s1
	s_wait_dscnt 0x0
	ds_bpermute_b32 v12, v2, v9
	v_dual_max_num_f32 v9, v9, v9 :: v_dual_bitop2_b32 v13, 1, v10 bitop3:0x14
	v_lshlrev_b32_e32 v3, 2, v3
	s_delay_alu instid0(VALU_DEP_2) | instskip(NEXT) | instid1(VALU_DEP_1)
	v_cmp_lt_i32_e64 s1, v13, v11
	v_cndmask_b32_e64 v11, v10, v13, s1
	s_lshl_b32 s1, s13, 4
	s_delay_alu instid0(SALU_CYCLE_1) | instskip(NEXT) | instid1(SALU_CYCLE_1)
	s_min_i32 s11, s1, s23
	v_cmp_gt_i32_e64 s1, s11, v0
	s_wait_dscnt 0x0
	v_dual_max_num_f32 v12, v12, v12 :: v_dual_lshlrev_b32 v29, 2, v11
	s_delay_alu instid0(VALU_DEP_1) | instskip(SKIP_3) | instid1(VALU_DEP_1)
	v_max_num_f32_e32 v9, v9, v12
	ds_bpermute_b32 v11, v29, v9
	s_wait_dscnt 0x0
	v_max_num_f32_e32 v11, v11, v11
	v_max_num_f32_e32 v9, v9, v11
	ds_bpermute_b32 v9, v3, v9
	v_mov_b32_e32 v3, 0
	s_and_saveexec_b32 s24, s1
	s_cbranch_execz .LBB334_276
; %bb.273:
	v_lshl_add_u32 v11, v0, 2, 0xa0
	v_dual_mov_b32 v3, 0 :: v_dual_mov_b32 v12, v0
	s_mov_b32 s25, 0
.LBB334_274:                            ; =>This Inner Loop Header: Depth=1
	ds_load_b32 v13, v11
	v_add_nc_u32_e32 v12, 0x80, v12
	s_delay_alu instid0(VALU_DEP_1) | instskip(SKIP_3) | instid1(VALU_DEP_1)
	v_cmp_le_i32_e64 s3, s11, v12
	s_or_b32 s25, s3, s25
	s_wait_dscnt 0x0
	v_sub_f32_e32 v13, v13, v9
	v_mul_f32_e32 v13, 0x3fb8aa3b, v13
	s_delay_alu instid0(VALU_DEP_1)
	v_exp_f32_e32 v13, v13
	ds_store_b32 v11, v13
	v_nop
	v_add_f32_e32 v3, v3, v13
	v_add_nc_u32_e32 v11, 0x200, v11
	s_and_not1_b32 exec_lo, exec_lo, s25
	s_cbranch_execnz .LBB334_274
; %bb.275:
	s_or_b32 exec_lo, exec_lo, s25
.LBB334_276:
	s_delay_alu instid0(SALU_CYCLE_1)
	s_or_b32 exec_lo, exec_lo, s24
	ds_bpermute_b32 v4, v4, v3
	s_wait_dscnt 0x0
	v_add_f32_e32 v3, v3, v4
	ds_bpermute_b32 v4, v5, v3
	s_wait_dscnt 0x0
	v_add_f32_e32 v3, v3, v4
	;; [unrolled: 3-line block ×5, first 2 shown]
	s_and_saveexec_b32 s3, vcc_lo
; %bb.277:
	ds_store_b32 v7, v3 offset:144
; %bb.278:
	s_or_b32 exec_lo, exec_lo, s3
	s_wait_dscnt 0x0
	s_barrier_signal -1
	s_barrier_wait -1
	s_and_saveexec_b32 s3, s0
; %bb.279:
	ds_load_b32 v3, v8 offset:144
; %bb.280:
	s_or_b32 exec_lo, exec_lo, s3
	s_wait_dscnt 0x0
	ds_bpermute_b32 v2, v2, v3
	s_wait_dscnt 0x0
	v_add_f32_e32 v2, v3, v2
	ds_bpermute_b32 v3, v29, v2
	s_wait_dscnt 0x0
	v_dual_lshlrev_b32 v4, 2, v10 :: v_dual_add_f32 v2, v2, v3
	s_delay_alu instid0(VALU_DEP_1)
	v_and_b32_e32 v3, 0xffffff80, v4
	ds_bpermute_b32 v2, v3, v2
	s_and_saveexec_b32 s0, s1
	s_cbranch_execz .LBB334_293
; %bb.281:
	s_wait_dscnt 0x0
	v_add_f32_e32 v2, 0x358637bd, v2
	s_mov_b32 s3, -1
	s_mov_b32 s1, exec_lo
	s_delay_alu instid0(VALU_DEP_1) | instskip(NEXT) | instid1(VALU_DEP_1)
	v_div_scale_f32 v3, null, v2, v2, 1.0
	v_rcp_f32_e32 v5, v3
	v_nop
	s_delay_alu instid0(TRANS32_DEP_1) | instskip(NEXT) | instid1(VALU_DEP_1)
	v_fma_f32 v4, -v3, v5, 1.0
	v_fmac_f32_e32 v5, v4, v5
	v_div_scale_f32 v6, vcc_lo, 1.0, v2, 1.0
	s_delay_alu instid0(VALU_DEP_1) | instskip(NEXT) | instid1(VALU_DEP_1)
	v_mul_f32_e32 v7, v6, v5
	v_fma_f32 v4, -v3, v7, v6
	s_delay_alu instid0(VALU_DEP_1) | instskip(SKIP_1) | instid1(VALU_DEP_2)
	v_fmac_f32_e32 v7, v4, v5
	v_xad_u32 v4, v0, -1, s11
	v_fma_f32 v3, -v3, v7, v6
	s_delay_alu instid0(VALU_DEP_1) | instskip(NEXT) | instid1(VALU_DEP_1)
	v_div_fmas_f32 v3, v3, v5, v7
	v_div_fixup_f32 v2, v3, v2, 1.0
	v_mov_b32_e32 v3, v0
	v_cmpx_lt_u32_e32 0x7f, v4
	s_cbranch_execz .LBB334_290
; %bb.282:
	s_delay_alu instid0(VALU_DEP_3) | instskip(NEXT) | instid1(VALU_DEP_1)
	v_dual_mov_b32 v3, v2 :: v_dual_lshrrev_b32 v4, 7, v4
	v_dual_mov_b32 v8, 0 :: v_dual_add_nc_u32 v5, -1, v4
	s_delay_alu instid0(VALU_DEP_1) | instskip(SKIP_1) | instid1(VALU_DEP_2)
	v_lshrrev_b32_e32 v6, 1, v5
	v_cmp_lt_u32_e32 vcc_lo, 13, v5
	v_add_nc_u32_e32 v5, 1, v6
	s_and_saveexec_b32 s3, vcc_lo
	s_cbranch_execz .LBB334_286
; %bb.283:
	s_delay_alu instid0(VALU_DEP_1)
	v_and_b32_e32 v6, -8, v5
	v_lshl_add_u32 v7, v0, 2, 0xa0
	s_mov_b32 s24, 0
	s_mov_b32 s25, 0
.LBB334_284:                            ; =>This Inner Loop Header: Depth=1
	ds_load_2addr_stride64_b32 v[8:9], v7 offset1:2
	ds_load_2addr_stride64_b32 v[10:11], v7 offset0:4 offset1:6
	ds_load_2addr_stride64_b32 v[12:13], v7 offset0:8 offset1:10
	;; [unrolled: 1-line block ×7, first 2 shown]
	s_add_co_i32 s25, s25, 16
	v_add_nc_u32_e32 v6, -8, v6
	s_wait_dscnt 0x7
	v_pk_mul_f32 v[8:9], v[2:3], v[8:9]
	s_wait_dscnt 0x6
	v_pk_mul_f32 v[10:11], v[2:3], v[10:11]
	;; [unrolled: 2-line block ×8, first 2 shown]
	ds_store_2addr_stride64_b32 v7, v8, v9 offset1:2
	ds_store_2addr_stride64_b32 v7, v10, v11 offset0:4 offset1:6
	ds_store_2addr_stride64_b32 v7, v12, v13 offset0:8 offset1:10
	;; [unrolled: 1-line block ×7, first 2 shown]
	v_mov_b32_e32 v8, s25
	v_cmp_eq_u32_e32 vcc_lo, 0, v6
	v_add_nc_u32_e32 v7, 0x2000, v7
	s_or_b32 s24, vcc_lo, s24
	s_delay_alu instid0(SALU_CYCLE_1)
	s_and_not1_b32 exec_lo, exec_lo, s24
	s_cbranch_execnz .LBB334_284
; %bb.285:
	s_or_b32 exec_lo, exec_lo, s24
.LBB334_286:
	s_delay_alu instid0(SALU_CYCLE_1) | instskip(NEXT) | instid1(VALU_DEP_1)
	s_or_b32 exec_lo, exec_lo, s3
	v_and_b32_e32 v5, 7, v5
	s_mov_b32 s24, 0
	s_mov_b32 s3, exec_lo
	s_delay_alu instid0(VALU_DEP_1)
	v_cmpx_ne_u32_e32 0, v5
	s_cbranch_execz .LBB334_289
; %bb.287:
	v_lshlrev_b32_e32 v6, 9, v8
	v_lshlrev_b32_e32 v7, 2, v0
	s_delay_alu instid0(VALU_DEP_1)
	v_add3_u32 v6, v6, v7, 0xa0
.LBB334_288:                            ; =>This Inner Loop Header: Depth=1
	ds_load_2addr_stride64_b32 v[8:9], v6 offset1:2
	v_add_nc_u32_e32 v5, -1, v5
	s_delay_alu instid0(VALU_DEP_1)
	v_cmp_eq_u32_e32 vcc_lo, 0, v5
	s_or_b32 s24, vcc_lo, s24
	s_wait_dscnt 0x0
	v_pk_mul_f32 v[8:9], v[2:3], v[8:9]
	ds_store_2addr_stride64_b32 v6, v8, v9 offset1:2
	v_add_nc_u32_e32 v6, 0x400, v6
	s_and_not1_b32 exec_lo, exec_lo, s24
	s_cbranch_execnz .LBB334_288
.LBB334_289:
	s_or_b32 exec_lo, exec_lo, s3
	v_add_nc_u32_e32 v3, 1, v4
	s_delay_alu instid0(VALU_DEP_1) | instskip(NEXT) | instid1(VALU_DEP_1)
	v_and_b32_e32 v4, 0x3fffffe, v3
	v_cmp_ne_u32_e32 vcc_lo, v3, v4
	v_lshl_add_u32 v3, v4, 7, v0
	s_or_not1_b32 s3, vcc_lo, exec_lo
.LBB334_290:
	s_or_b32 exec_lo, exec_lo, s1
	s_delay_alu instid0(SALU_CYCLE_1)
	s_and_b32 exec_lo, exec_lo, s3
	s_cbranch_execz .LBB334_293
; %bb.291:
	v_lshl_add_u32 v4, v3, 2, 0xa0
	s_mov_b32 s1, 0
.LBB334_292:                            ; =>This Inner Loop Header: Depth=1
	ds_load_b32 v5, v4
	v_add_nc_u32_e32 v3, 0x80, v3
	s_delay_alu instid0(VALU_DEP_1)
	v_cmp_le_i32_e32 vcc_lo, s11, v3
	s_or_b32 s1, vcc_lo, s1
	s_wait_dscnt 0x0
	v_mul_f32_e32 v5, v2, v5
	ds_store_b32 v4, v5
	v_add_nc_u32_e32 v4, 0x200, v4
	s_and_not1_b32 exec_lo, exec_lo, s1
	s_cbranch_execnz .LBB334_292
.LBB334_293:
	s_or_b32 exec_lo, exec_lo, s0
	v_mov_b32_e32 v11, 0
	s_wait_dscnt 0x0
	s_barrier_signal -1
	s_barrier_wait -1
	s_delay_alu instid0(VALU_DEP_1)
	v_dual_mov_b32 v10, v11 :: v_dual_mov_b32 v13, v11
	v_mov_b32_e32 v12, v11
	s_and_saveexec_b32 s1, s2
	s_cbranch_execz .LBB334_545
; %bb.294:
	v_dual_mov_b32 v15, 0 :: v_dual_lshlrev_b32 v2, 3, v0
	s_load_b32 s6, s[6:7], 0x0
	s_ashr_i32 s11, s10, 31
	v_dual_lshlrev_b32 v3, 5, v26 :: v_dual_lshlrev_b32 v4, 4, v27
	s_delay_alu instid0(VALU_DEP_2)
	v_and_b32_e32 v14, 0xf8, v2
	s_wait_kmcnt 0x0
	s_add_nc_u64 s[2:3], s[18:19], s[10:11]
	v_dual_mov_b32 v11, 0 :: v_dual_bitop2_b32 v2, 8, v2 bitop3:0x40
	v_lshl_or_b32 v3, v27, 6, v3
	v_add_nc_u64_e32 v[16:17], s[2:3], v[14:15]
	v_and_b32_e32 v14, 0x7c, v18
	s_lshl_b64 s[2:3], s[14:15], 2
	v_or3_b32 v30, v4, v2, 7
	s_add_nc_u64 s[2:3], s[16:17], s[2:3]
	v_dual_mov_b32 v10, 0 :: v_dual_add_nc_u32 v31, 0xa0, v3
	v_add_nc_u64_e32 v[18:19], s[2:3], v[14:15]
	v_dual_mov_b32 v13, 0 :: v_dual_mov_b32 v12, 0
	v_mov_b32_e32 v32, v27
	s_mov_b64 s[2:3], 0xffffffffffffff
	s_mov_b32 s7, s9
	s_add_co_i32 s10, s13, -1
	s_mov_b32 s9, 0
	s_branch .LBB334_296
.LBB334_295:                            ;   in Loop: Header=BB334_296 Depth=1
	s_or_b32 exec_lo, exec_lo, s0
	s_wait_dscnt 0x1
	v_cvt_pk_bf16_f32 v6, v6, v7
	v_perm_b32 v7, v60, v61, 0x5040100
	v_cvt_pk_bf16_f32 v8, v8, v9
	v_perm_b32 v9, v58, v59, 0x5040100
	s_wait_dscnt 0x0
	v_cvt_pk_bf16_f32 v2, v2, v3
	v_perm_b32 v3, v56, v57, 0x5040100
	v_pk_mul_bf16 v7, v6, v7
	v_cvt_pk_bf16_f32 v4, v4, v5
	v_pk_mul_bf16 v9, v8, v9
	v_perm_b32 v5, v25, v24, 0x5040100
	v_pk_mul_bf16 v3, v2, v3
	v_lshlrev_b32_e32 v41, 16, v7
	v_and_b32_e32 v7, 0xffff0000, v7
	v_lshlrev_b32_e32 v42, 16, v9
	v_and_b32_e32 v9, 0xffff0000, v9
	v_pk_mul_bf16 v5, v4, v5
	v_lshlrev_b32_e32 v24, 16, v3
	v_add_f32_e32 v7, v41, v7
	v_and_b32_e32 v3, 0xffff0000, v3
	v_add_f32_e32 v9, v42, v9
	v_lshlrev_b32_e32 v25, 16, v5
	v_and_b32_e32 v5, 0xffff0000, v5
	v_perm_b32 v42, v51, v50, 0x5040100
	v_add_f32_e32 v3, v24, v3
	v_add_f32_e32 v7, v9, v7
	v_perm_b32 v9, v54, v55, 0x5040100
	v_perm_b32 v24, v52, v53, 0x5040100
	v_add_f32_e32 v25, v25, v5
	v_add_nc_u64_e32 v[18:19], 16, v[18:19]
	v_add_nc_u32_e32 v30, 64, v30
	v_pk_mul_bf16 v9, v6, v9
	v_pk_mul_bf16 v24, v8, v24
	v_add_f32_e32 v41, v3, v7
	v_add_nc_u32_e32 v31, 0x100, v31
	s_delay_alu instid0(VALU_DEP_4)
	v_dual_add_nc_u32 v32, 4, v32 :: v_dual_lshlrev_b32 v3, 16, v9
	v_and_b32_e32 v5, 0xffff0000, v9
	v_lshlrev_b32_e32 v7, 16, v24
	v_and_b32_e32 v9, 0xffff0000, v24
	v_perm_b32 v24, v48, v49, 0x5040100
	v_cmp_le_i32_e32 vcc_lo, s13, v32
	s_delay_alu instid0(VALU_DEP_3) | instskip(SKIP_1) | instid1(VALU_DEP_4)
	v_add_f32_e32 v7, v7, v9
	v_perm_b32 v9, v37, v38, 0x5040100
	v_pk_mul_bf16 v24, v2, v24
	v_add_f32_e32 v3, v3, v5
	v_perm_b32 v5, v39, v40, 0x5040100
	v_pk_mul_bf16 v37, v4, v42
	s_or_b32 s9, vcc_lo, s9
	s_delay_alu instid0(VALU_DEP_2)
	v_pk_mul_bf16 v5, v6, v5
	v_add_f32_e32 v38, v7, v3
	v_pk_mul_bf16 v3, v8, v9
	v_lshlrev_b32_e32 v7, 16, v24
	v_and_b32_e32 v9, 0xffff0000, v24
	v_lshlrev_b32_e32 v24, 16, v5
	v_and_b32_e32 v5, 0xffff0000, v5
	;; [unrolled: 2-line block ×3, first 2 shown]
	v_add_f32_e32 v40, v7, v9
	v_perm_b32 v7, v33, v34, 0x5040100
	v_add_f32_e32 v5, v24, v5
	v_perm_b32 v9, v36, v35, 0x5040100
	v_add_f32_e32 v3, v39, v3
	v_and_b32_e32 v33, 0xffff0000, v37
	v_pk_mul_bf16 v7, v2, v7
	s_delay_alu instid0(VALU_DEP_4) | instskip(NEXT) | instid1(VALU_DEP_4)
	v_pk_mul_bf16 v34, v4, v9
	v_add_f32_e32 v35, v3, v5
	v_perm_b32 v3, v63, v62, 0x5040100
	v_perm_b32 v5, v22, v64, 0x5040100
	v_lshlrev_b32_e32 v36, 16, v7
	v_perm_b32 v9, v14, v20, 0x5040100
	v_perm_b32 v14, v23, v21, 0x5040100
	v_pk_mul_bf16 v6, v6, v3
	v_and_b32_e32 v20, 0xffff0000, v7
	v_pk_mul_bf16 v7, v8, v5
	v_lshlrev_b32_e32 v24, 16, v37
	v_pk_mul_bf16 v8, v2, v9
	v_pk_mul_bf16 v14, v4, v14
	v_and_b32_e32 v3, 0xffff0000, v6
	v_lshlrev_b32_e32 v5, 16, v6
	v_and_b32_e32 v2, 0xffff0000, v7
	v_lshlrev_b32_e32 v4, 16, v7
	v_and_b32_e32 v7, 0xffff0000, v8
	v_dual_lshlrev_b32 v9, 16, v8 :: v_dual_lshlrev_b32 v8, 16, v14
	v_and_b32_e32 v6, 0xffff0000, v14
	s_delay_alu instid0(VALU_DEP_4) | instskip(SKIP_2) | instid1(VALU_DEP_4)
	v_pk_add_f32 v[2:3], v[4:5], v[2:3]
	v_dual_add_f32 v14, v36, v20 :: v_dual_lshlrev_b32 v20, 16, v34
	v_and_b32_e32 v21, 0xffff0000, v34
	v_pk_add_f32 v[4:5], v[8:9], v[6:7]
	s_delay_alu instid0(VALU_DEP_4) | instskip(NEXT) | instid1(VALU_DEP_4)
	v_dual_add_f32 v2, v2, v3 :: v_dual_add_f32 v3, v40, v38
	v_dual_add_f32 v6, v24, v33 :: v_dual_add_f32 v7, v14, v35
	s_delay_alu instid0(VALU_DEP_2) | instskip(NEXT) | instid1(VALU_DEP_2)
	v_dual_add_f32 v8, v20, v21 :: v_dual_add_f32 v2, v5, v2
	v_dual_add_f32 v5, v25, v41 :: v_dual_add_f32 v3, v6, v3
	s_delay_alu instid0(VALU_DEP_2) | instskip(NEXT) | instid1(VALU_DEP_2)
	v_add_f32_e32 v6, v8, v7
	v_dual_add_f32 v2, v4, v2 :: v_dual_add_f32 v10, v10, v5
	s_delay_alu instid0(VALU_DEP_2) | instskip(NEXT) | instid1(VALU_DEP_2)
	v_dual_add_f32 v13, v13, v3 :: v_dual_add_f32 v12, v12, v6
	v_add_f32_e32 v11, v11, v2
	s_and_not1_b32 exec_lo, exec_lo, s9
	s_cbranch_execz .LBB334_544
.LBB334_296:                            ; =>This Inner Loop Header: Depth=1
	global_load_b32 v2, v[18:19], off
	v_mov_b32_e32 v35, 0
	s_mov_b32 s0, exec_lo
	s_wait_loadcnt 0x0
	v_mad_nc_i64_i32 v[20:21], v2, s7, v[16:17]
	global_load_b64 v[22:23], v[20:21], off
	ds_load_2addr_b64 v[6:9], v31 offset1:1
	ds_load_2addr_b64 v[2:5], v31 offset0:2 offset1:3
	s_wait_loadcnt 0x0
	v_and_b32_e32 v14, 0xff, v22
	s_delay_alu instid0(VALU_DEP_1)
	v_cmpx_ne_u16_e32 0, v14
	s_cbranch_execz .LBB334_302
; %bb.297:                              ;   in Loop: Header=BB334_296 Depth=1
	v_bfrev_b32_e32 v35, 1
	s_mov_b32 s11, exec_lo
	v_cmpx_ne_u16_e32 0x80, v14
	s_cbranch_execz .LBB334_301
; %bb.298:                              ;   in Loop: Header=BB334_296 Depth=1
	v_and_b32_e32 v14, 0x7f, v22
	v_mov_b32_e32 v35, 0x7f800001
	s_mov_b32 s14, exec_lo
	s_delay_alu instid0(VALU_DEP_2)
	v_cmpx_ne_u32_e32 0x7f, v14
	s_cbranch_execz .LBB334_300
; %bb.299:                              ;   in Loop: Header=BB334_296 Depth=1
	v_and_b32_e32 v24, 7, v22
	v_cmp_gt_u32_e32 vcc_lo, 8, v14
	s_delay_alu instid0(VALU_DEP_2) | instskip(NEXT) | instid1(VALU_DEP_1)
	v_clz_i32_u32_e32 v24, v24
	v_min_u32_e32 v24, 32, v24
	v_lshrrev_b32_e32 v25, 3, v14
	s_delay_alu instid0(VALU_DEP_2) | instskip(SKIP_1) | instid1(VALU_DEP_1)
	v_subrev_nc_u32_e32 v33, 28, v24
	v_sub_nc_u32_e32 v24, 29, v24
	v_dual_cndmask_b32 v14, v25, v24, vcc_lo :: v_dual_cndmask_b32 v24, 0, v33, vcc_lo
	s_delay_alu instid0(VALU_DEP_1) | instskip(NEXT) | instid1(VALU_DEP_2)
	v_lshl_add_u32 v14, v14, 23, 0x3c000000
	v_lshlrev_b64_e32 v[24:25], v24, v[22:23]
	v_lshlrev_b32_e32 v25, 24, v22
	s_delay_alu instid0(VALU_DEP_1) | instskip(NEXT) | instid1(VALU_DEP_3)
	v_and_b32_e32 v25, 0x80000000, v25
	v_lshlrev_b32_e32 v24, 20, v24
	s_delay_alu instid0(VALU_DEP_1) | instskip(NEXT) | instid1(VALU_DEP_1)
	v_and_b32_e32 v24, 0x700000, v24
	v_or3_b32 v35, v24, v25, v14
.LBB334_300:                            ;   in Loop: Header=BB334_296 Depth=1
	s_or_b32 exec_lo, exec_lo, s14
.LBB334_301:                            ;   in Loop: Header=BB334_296 Depth=1
	s_delay_alu instid0(SALU_CYCLE_1)
	s_or_b32 exec_lo, exec_lo, s11
.LBB334_302:                            ;   in Loop: Header=BB334_296 Depth=1
	s_delay_alu instid0(SALU_CYCLE_1) | instskip(SKIP_3) | instid1(VALU_DEP_2)
	s_or_b32 exec_lo, exec_lo, s0
	v_lshrrev_b16 v14, 8, v22
	v_dual_mov_b32 v36, 0 :: v_dual_mov_b32 v39, 0
	s_mov_b32 s0, exec_lo
	v_cmpx_ne_u16_e32 0, v14
	s_cbranch_execz .LBB334_310
; %bb.303:                              ;   in Loop: Header=BB334_296 Depth=1
	v_bfrev_b32_e32 v39, 1
	s_mov_b32 s11, exec_lo
	v_cmpx_ne_u16_e32 0x80, v14
	s_cbranch_execz .LBB334_309
; %bb.304:                              ;   in Loop: Header=BB334_296 Depth=1
	v_and_b32_e32 v14, 0xffff, v14
	v_mov_b32_e32 v39, 0x7f800001
	s_mov_b32 s14, exec_lo
	s_delay_alu instid0(VALU_DEP_2) | instskip(NEXT) | instid1(VALU_DEP_1)
	v_and_b32_e32 v25, 0x7f, v14
	v_cmpx_ne_u32_e32 0x7f, v25
	s_cbranch_execz .LBB334_308
; %bb.305:                              ;   in Loop: Header=BB334_296 Depth=1
	v_dual_lshrrev_b32 v24, 3, v25 :: v_dual_bitop2_b32 v14, 7, v14 bitop3:0x40
	s_mov_b32 s15, exec_lo
	v_cmpx_gt_u32_e32 8, v25
; %bb.306:                              ;   in Loop: Header=BB334_296 Depth=1
	s_delay_alu instid0(VALU_DEP_2) | instskip(NEXT) | instid1(VALU_DEP_1)
	v_clz_i32_u32_e32 v24, v14
	v_min_u32_e32 v24, 32, v24
	s_delay_alu instid0(VALU_DEP_1) | instskip(NEXT) | instid1(VALU_DEP_1)
	v_subrev_nc_u32_e32 v25, 28, v24
	v_lshlrev_b64_e32 v[38:39], v25, v[14:15]
	s_delay_alu instid0(VALU_DEP_1)
	v_dual_sub_nc_u32 v24, 29, v24 :: v_dual_bitop2_b32 v14, 7, v38 bitop3:0x40
; %bb.307:                              ;   in Loop: Header=BB334_296 Depth=1
	s_or_b32 exec_lo, exec_lo, s15
	v_lshlrev_b32_e32 v25, 16, v22
	s_delay_alu instid0(VALU_DEP_2) | instskip(NEXT) | instid1(VALU_DEP_3)
	v_lshlrev_b32_e32 v14, 20, v14
	v_lshl_add_u32 v24, v24, 23, 0x3c000000
	s_delay_alu instid0(VALU_DEP_3) | instskip(NEXT) | instid1(VALU_DEP_1)
	v_and_b32_e32 v25, 0x80000000, v25
	v_or3_b32 v39, v14, v25, v24
.LBB334_308:                            ;   in Loop: Header=BB334_296 Depth=1
	s_or_b32 exec_lo, exec_lo, s14
.LBB334_309:                            ;   in Loop: Header=BB334_296 Depth=1
	s_delay_alu instid0(SALU_CYCLE_1)
	s_or_b32 exec_lo, exec_lo, s11
.LBB334_310:                            ;   in Loop: Header=BB334_296 Depth=1
	s_delay_alu instid0(SALU_CYCLE_1) | instskip(SKIP_2) | instid1(VALU_DEP_1)
	s_or_b32 exec_lo, exec_lo, s0
	v_lshrrev_b32_e32 v24, 16, v22
	s_mov_b32 s0, exec_lo
	v_and_b32_e32 v14, 0xff, v24
	s_delay_alu instid0(VALU_DEP_1)
	v_cmpx_ne_u16_e32 0, v14
	s_cbranch_execz .LBB334_318
; %bb.311:                              ;   in Loop: Header=BB334_296 Depth=1
	v_bfrev_b32_e32 v36, 1
	s_mov_b32 s11, exec_lo
	v_cmpx_ne_u16_e32 0x80, v14
	s_cbranch_execz .LBB334_317
; %bb.312:                              ;   in Loop: Header=BB334_296 Depth=1
	v_bfe_u32 v33, v22, 16, 7
	v_mov_b32_e32 v36, 0x7f800001
	s_mov_b32 s14, exec_lo
	s_delay_alu instid0(VALU_DEP_2)
	v_cmpx_ne_u32_e32 0x7f, v33
	s_cbranch_execz .LBB334_316
; %bb.313:                              ;   in Loop: Header=BB334_296 Depth=1
	v_dual_lshrrev_b32 v25, 3, v33 :: v_dual_bitop2_b32 v14, 7, v24 bitop3:0x40
	s_mov_b32 s15, exec_lo
	v_cmpx_gt_u32_e32 8, v33
; %bb.314:                              ;   in Loop: Header=BB334_296 Depth=1
	s_delay_alu instid0(VALU_DEP_2) | instskip(NEXT) | instid1(VALU_DEP_1)
	v_clz_i32_u32_e32 v25, v14
	v_min_u32_e32 v25, 32, v25
	s_delay_alu instid0(VALU_DEP_1) | instskip(NEXT) | instid1(VALU_DEP_1)
	v_subrev_nc_u32_e32 v33, 28, v25
	v_lshlrev_b64_e32 v[36:37], v33, v[14:15]
	s_delay_alu instid0(VALU_DEP_1)
	v_dual_sub_nc_u32 v25, 29, v25 :: v_dual_bitop2_b32 v14, 7, v36 bitop3:0x40
; %bb.315:                              ;   in Loop: Header=BB334_296 Depth=1
	s_or_b32 exec_lo, exec_lo, s15
	s_delay_alu instid0(VALU_DEP_1) | instskip(NEXT) | instid1(VALU_DEP_2)
	v_dual_lshlrev_b32 v24, 24, v24 :: v_dual_lshlrev_b32 v14, 20, v14
	v_lshl_add_u32 v25, v25, 23, 0x3c000000
	s_delay_alu instid0(VALU_DEP_2) | instskip(NEXT) | instid1(VALU_DEP_1)
	v_and_b32_e32 v24, 0x80000000, v24
	v_or3_b32 v36, v14, v24, v25
.LBB334_316:                            ;   in Loop: Header=BB334_296 Depth=1
	s_or_b32 exec_lo, exec_lo, s14
.LBB334_317:                            ;   in Loop: Header=BB334_296 Depth=1
	s_delay_alu instid0(SALU_CYCLE_1)
	s_or_b32 exec_lo, exec_lo, s11
.LBB334_318:                            ;   in Loop: Header=BB334_296 Depth=1
	s_delay_alu instid0(SALU_CYCLE_1)
	s_or_b32 exec_lo, exec_lo, s0
	v_dual_mov_b32 v34, 0 :: v_dual_mov_b32 v37, 0
	s_mov_b32 s0, exec_lo
	v_cmpx_lt_u32_e32 0xffffff, v22
	s_cbranch_execz .LBB334_326
; %bb.319:                              ;   in Loop: Header=BB334_296 Depth=1
	v_lshrrev_b32_e32 v24, 24, v22
	v_bfrev_b32_e32 v37, 1
	s_mov_b32 s11, exec_lo
	s_delay_alu instid0(VALU_DEP_2)
	v_cmpx_ne_u32_e32 0x80, v24
	s_cbranch_execz .LBB334_325
; %bb.320:                              ;   in Loop: Header=BB334_296 Depth=1
	v_bfe_u32 v33, v22, 24, 7
	v_mov_b32_e32 v37, 0x7f800001
	s_mov_b32 s14, exec_lo
	s_delay_alu instid0(VALU_DEP_2)
	v_cmpx_ne_u32_e32 0x7f, v33
	s_cbranch_execz .LBB334_324
; %bb.321:                              ;   in Loop: Header=BB334_296 Depth=1
	v_dual_lshrrev_b32 v25, 3, v33 :: v_dual_bitop2_b32 v14, 7, v24 bitop3:0x40
	s_mov_b32 s15, exec_lo
	v_cmpx_gt_u32_e32 8, v33
; %bb.322:                              ;   in Loop: Header=BB334_296 Depth=1
	s_delay_alu instid0(VALU_DEP_2) | instskip(NEXT) | instid1(VALU_DEP_1)
	v_clz_i32_u32_e32 v25, v14
	v_min_u32_e32 v25, 32, v25
	s_delay_alu instid0(VALU_DEP_1) | instskip(NEXT) | instid1(VALU_DEP_1)
	v_subrev_nc_u32_e32 v33, 28, v25
	v_lshlrev_b64_e32 v[40:41], v33, v[14:15]
	s_delay_alu instid0(VALU_DEP_1)
	v_dual_sub_nc_u32 v25, 29, v25 :: v_dual_bitop2_b32 v14, 7, v40 bitop3:0x40
; %bb.323:                              ;   in Loop: Header=BB334_296 Depth=1
	s_or_b32 exec_lo, exec_lo, s15
	s_delay_alu instid0(VALU_DEP_1) | instskip(NEXT) | instid1(VALU_DEP_2)
	v_dual_lshlrev_b32 v24, 24, v24 :: v_dual_lshlrev_b32 v14, 20, v14
	v_lshl_add_u32 v25, v25, 23, 0x3c000000
	s_delay_alu instid0(VALU_DEP_2) | instskip(NEXT) | instid1(VALU_DEP_1)
	v_and_b32_e32 v24, 0x80000000, v24
	v_or3_b32 v37, v14, v24, v25
.LBB334_324:                            ;   in Loop: Header=BB334_296 Depth=1
	s_or_b32 exec_lo, exec_lo, s14
.LBB334_325:                            ;   in Loop: Header=BB334_296 Depth=1
	s_delay_alu instid0(SALU_CYCLE_1)
	s_or_b32 exec_lo, exec_lo, s11
.LBB334_326:                            ;   in Loop: Header=BB334_296 Depth=1
	s_delay_alu instid0(SALU_CYCLE_1) | instskip(SKIP_3) | instid1(VALU_DEP_2)
	s_or_b32 exec_lo, exec_lo, s0
	v_and_b32_e32 v24, 0xff, v23
	v_mov_b32_e32 v14, v23
	s_mov_b32 s0, exec_lo
	v_cmpx_ne_u16_e32 0, v24
	s_cbranch_execz .LBB334_332
; %bb.327:                              ;   in Loop: Header=BB334_296 Depth=1
	v_bfrev_b32_e32 v34, 1
	s_mov_b32 s11, exec_lo
	v_cmpx_ne_u16_e32 0x80, v24
	s_cbranch_execz .LBB334_331
; %bb.328:                              ;   in Loop: Header=BB334_296 Depth=1
	v_and_b32_e32 v24, 0x7f, v23
	v_mov_b32_e32 v34, 0x7f800001
	s_mov_b32 s14, exec_lo
	s_delay_alu instid0(VALU_DEP_2)
	v_cmpx_ne_u32_e32 0x7f, v24
	s_cbranch_execz .LBB334_330
; %bb.329:                              ;   in Loop: Header=BB334_296 Depth=1
	v_dual_lshrrev_b32 v33, 3, v24 :: v_dual_bitop2_b32 v25, 7, v23 bitop3:0x40
	v_cmp_gt_u32_e32 vcc_lo, 8, v24
	s_delay_alu instid0(VALU_DEP_2) | instskip(NEXT) | instid1(VALU_DEP_1)
	v_clz_i32_u32_e32 v25, v25
	v_min_u32_e32 v25, 32, v25
	s_delay_alu instid0(VALU_DEP_1) | instskip(NEXT) | instid1(VALU_DEP_1)
	v_subrev_nc_u32_e32 v34, 28, v25
	v_dual_cndmask_b32 v24, 0, v34 :: v_dual_sub_nc_u32 v25, 29, v25
	s_delay_alu instid0(VALU_DEP_1) | instskip(NEXT) | instid1(VALU_DEP_2)
	v_cndmask_b32_e32 v33, v33, v25, vcc_lo
	v_lshlrev_b64_e32 v[24:25], v24, v[14:15]
	v_lshlrev_b32_e32 v25, 24, v14
	s_delay_alu instid0(VALU_DEP_3) | instskip(NEXT) | instid1(VALU_DEP_2)
	v_lshl_add_u32 v33, v33, 23, 0x3c000000
	v_and_b32_e32 v25, 0x80000000, v25
	s_delay_alu instid0(VALU_DEP_4) | instskip(NEXT) | instid1(VALU_DEP_1)
	v_lshlrev_b32_e32 v24, 20, v24
	v_and_b32_e32 v24, 0x700000, v24
	s_delay_alu instid0(VALU_DEP_1)
	v_or3_b32 v34, v24, v25, v33
.LBB334_330:                            ;   in Loop: Header=BB334_296 Depth=1
	s_or_b32 exec_lo, exec_lo, s14
.LBB334_331:                            ;   in Loop: Header=BB334_296 Depth=1
	s_delay_alu instid0(SALU_CYCLE_1)
	s_or_b32 exec_lo, exec_lo, s11
.LBB334_332:                            ;   in Loop: Header=BB334_296 Depth=1
	s_delay_alu instid0(SALU_CYCLE_1) | instskip(SKIP_3) | instid1(VALU_DEP_2)
	s_or_b32 exec_lo, exec_lo, s0
	v_lshrrev_b16 v25, 8, v14
	v_dual_mov_b32 v42, 0 :: v_dual_mov_b32 v24, 0
	s_mov_b32 s0, exec_lo
	v_cmpx_ne_u16_e32 0, v25
	s_cbranch_execz .LBB334_340
; %bb.333:                              ;   in Loop: Header=BB334_296 Depth=1
	v_bfrev_b32_e32 v24, 1
	s_mov_b32 s11, exec_lo
	v_cmpx_ne_u16_e32 0x80, v25
	s_cbranch_execz .LBB334_339
; %bb.334:                              ;   in Loop: Header=BB334_296 Depth=1
	v_and_b32_e32 v25, 0xffff, v25
	v_mov_b32_e32 v24, 0x7f800001
	s_mov_b32 s14, exec_lo
	s_delay_alu instid0(VALU_DEP_2) | instskip(NEXT) | instid1(VALU_DEP_1)
	v_and_b32_e32 v38, 0x7f, v25
	v_cmpx_ne_u32_e32 0x7f, v38
	s_cbranch_execz .LBB334_338
; %bb.335:                              ;   in Loop: Header=BB334_296 Depth=1
	v_dual_mov_b32 v25, v15 :: v_dual_bitop2_b32 v24, 7, v25 bitop3:0x40
	v_lshrrev_b32_e32 v33, 3, v38
	s_mov_b32 s15, exec_lo
	v_cmpx_gt_u32_e32 8, v38
; %bb.336:                              ;   in Loop: Header=BB334_296 Depth=1
	s_delay_alu instid0(VALU_DEP_3) | instskip(NEXT) | instid1(VALU_DEP_1)
	v_clz_i32_u32_e32 v33, v24
	v_min_u32_e32 v33, 32, v33
	s_delay_alu instid0(VALU_DEP_1) | instskip(NEXT) | instid1(VALU_DEP_1)
	v_subrev_nc_u32_e32 v38, 28, v33
	v_lshlrev_b64_e32 v[24:25], v38, v[24:25]
	s_delay_alu instid0(VALU_DEP_1)
	v_dual_sub_nc_u32 v33, 29, v33 :: v_dual_bitop2_b32 v24, 7, v24 bitop3:0x40
; %bb.337:                              ;   in Loop: Header=BB334_296 Depth=1
	s_or_b32 exec_lo, exec_lo, s15
	s_delay_alu instid0(VALU_DEP_1) | instskip(NEXT) | instid1(VALU_DEP_2)
	v_dual_lshlrev_b32 v14, 16, v14 :: v_dual_lshlrev_b32 v24, 20, v24
	v_lshl_add_u32 v25, v33, 23, 0x3c000000
	s_delay_alu instid0(VALU_DEP_2) | instskip(NEXT) | instid1(VALU_DEP_1)
	v_and_b32_e32 v14, 0x80000000, v14
	v_or3_b32 v24, v24, v14, v25
.LBB334_338:                            ;   in Loop: Header=BB334_296 Depth=1
	s_or_b32 exec_lo, exec_lo, s14
.LBB334_339:                            ;   in Loop: Header=BB334_296 Depth=1
	s_delay_alu instid0(SALU_CYCLE_1)
	s_or_b32 exec_lo, exec_lo, s11
.LBB334_340:                            ;   in Loop: Header=BB334_296 Depth=1
	s_delay_alu instid0(SALU_CYCLE_1) | instskip(SKIP_2) | instid1(VALU_DEP_1)
	s_or_b32 exec_lo, exec_lo, s0
	v_lshrrev_b32_e32 v25, 16, v23
	s_mov_b32 s0, exec_lo
	v_and_b32_e32 v14, 0xff, v25
	s_delay_alu instid0(VALU_DEP_1)
	v_cmpx_ne_u16_e32 0, v14
	s_cbranch_execz .LBB334_348
; %bb.341:                              ;   in Loop: Header=BB334_296 Depth=1
	v_bfrev_b32_e32 v42, 1
	s_mov_b32 s11, exec_lo
	v_cmpx_ne_u16_e32 0x80, v14
	s_cbranch_execz .LBB334_347
; %bb.342:                              ;   in Loop: Header=BB334_296 Depth=1
	v_bfe_u32 v38, v23, 16, 7
	v_mov_b32_e32 v42, 0x7f800001
	s_mov_b32 s14, exec_lo
	s_delay_alu instid0(VALU_DEP_2)
	v_cmpx_ne_u32_e32 0x7f, v38
	s_cbranch_execz .LBB334_346
; %bb.343:                              ;   in Loop: Header=BB334_296 Depth=1
	v_dual_lshrrev_b32 v33, 3, v38 :: v_dual_bitop2_b32 v14, 7, v25 bitop3:0x40
	s_mov_b32 s15, exec_lo
	v_cmpx_gt_u32_e32 8, v38
; %bb.344:                              ;   in Loop: Header=BB334_296 Depth=1
	s_delay_alu instid0(VALU_DEP_2) | instskip(NEXT) | instid1(VALU_DEP_1)
	v_clz_i32_u32_e32 v33, v14
	v_min_u32_e32 v33, 32, v33
	s_delay_alu instid0(VALU_DEP_1) | instskip(NEXT) | instid1(VALU_DEP_1)
	v_subrev_nc_u32_e32 v38, 28, v33
	v_lshlrev_b64_e32 v[40:41], v38, v[14:15]
	s_delay_alu instid0(VALU_DEP_1)
	v_dual_sub_nc_u32 v33, 29, v33 :: v_dual_bitop2_b32 v14, 7, v40 bitop3:0x40
; %bb.345:                              ;   in Loop: Header=BB334_296 Depth=1
	s_or_b32 exec_lo, exec_lo, s15
	s_delay_alu instid0(VALU_DEP_1) | instskip(NEXT) | instid1(VALU_DEP_2)
	v_dual_lshlrev_b32 v25, 24, v25 :: v_dual_lshlrev_b32 v14, 20, v14
	v_lshl_add_u32 v33, v33, 23, 0x3c000000
	s_delay_alu instid0(VALU_DEP_2) | instskip(NEXT) | instid1(VALU_DEP_1)
	v_and_b32_e32 v25, 0x80000000, v25
	v_or3_b32 v42, v14, v25, v33
.LBB334_346:                            ;   in Loop: Header=BB334_296 Depth=1
	s_or_b32 exec_lo, exec_lo, s14
.LBB334_347:                            ;   in Loop: Header=BB334_296 Depth=1
	s_delay_alu instid0(SALU_CYCLE_1)
	s_or_b32 exec_lo, exec_lo, s11
.LBB334_348:                            ;   in Loop: Header=BB334_296 Depth=1
	s_delay_alu instid0(SALU_CYCLE_1)
	s_or_b32 exec_lo, exec_lo, s0
	v_mov_b32_e32 v14, 0
	s_mov_b32 s0, exec_lo
	v_cmpx_lt_u64_e64 s[2:3], v[22:23]
	s_cbranch_execz .LBB334_356
; %bb.349:                              ;   in Loop: Header=BB334_296 Depth=1
	v_lshrrev_b32_e32 v22, 24, v23
	v_bfrev_b32_e32 v14, 1
	s_mov_b32 s11, exec_lo
	s_delay_alu instid0(VALU_DEP_2)
	v_cmpx_ne_u32_e32 0x80, v22
	s_cbranch_execz .LBB334_355
; %bb.350:                              ;   in Loop: Header=BB334_296 Depth=1
	v_bfe_u32 v25, v23, 24, 7
	v_mov_b32_e32 v14, 0x7f800001
	s_mov_b32 s14, exec_lo
	s_delay_alu instid0(VALU_DEP_2)
	v_cmpx_ne_u32_e32 0x7f, v25
	s_cbranch_execz .LBB334_354
; %bb.351:                              ;   in Loop: Header=BB334_296 Depth=1
	v_dual_lshrrev_b32 v23, 3, v25 :: v_dual_bitop2_b32 v14, 7, v22 bitop3:0x40
	s_mov_b32 s15, exec_lo
	v_cmpx_gt_u32_e32 8, v25
; %bb.352:                              ;   in Loop: Header=BB334_296 Depth=1
	s_delay_alu instid0(VALU_DEP_2) | instskip(NEXT) | instid1(VALU_DEP_1)
	v_clz_i32_u32_e32 v23, v14
	v_min_u32_e32 v23, 32, v23
	s_delay_alu instid0(VALU_DEP_1) | instskip(NEXT) | instid1(VALU_DEP_1)
	v_subrev_nc_u32_e32 v25, 28, v23
	v_lshlrev_b64_e32 v[40:41], v25, v[14:15]
	s_delay_alu instid0(VALU_DEP_1)
	v_dual_sub_nc_u32 v23, 29, v23 :: v_dual_bitop2_b32 v14, 7, v40 bitop3:0x40
; %bb.353:                              ;   in Loop: Header=BB334_296 Depth=1
	s_or_b32 exec_lo, exec_lo, s15
	v_lshlrev_b32_e32 v22, 24, v22
	s_delay_alu instid0(VALU_DEP_2) | instskip(NEXT) | instid1(VALU_DEP_3)
	v_lshlrev_b32_e32 v14, 20, v14
	v_lshl_add_u32 v23, v23, 23, 0x3c000000
	s_delay_alu instid0(VALU_DEP_3) | instskip(NEXT) | instid1(VALU_DEP_1)
	v_and_b32_e32 v22, 0x80000000, v22
	v_or3_b32 v14, v14, v22, v23
.LBB334_354:                            ;   in Loop: Header=BB334_296 Depth=1
	s_or_b32 exec_lo, exec_lo, s14
.LBB334_355:                            ;   in Loop: Header=BB334_296 Depth=1
	s_delay_alu instid0(SALU_CYCLE_1)
	s_or_b32 exec_lo, exec_lo, s11
.LBB334_356:                            ;   in Loop: Header=BB334_296 Depth=1
	s_delay_alu instid0(SALU_CYCLE_1)
	s_or_b32 exec_lo, exec_lo, s0
	v_dual_add_nc_u32 v41, -7, v30 :: v_dual_add_nc_u32 v47, -6, v30
	v_cmp_eq_u32_e32 vcc_lo, s10, v32
	v_fma_mixlo_bf16 v33, s6, v24, 0
	v_fma_mixlo_bf16 v34, s6, v34, 0
	;; [unrolled: 1-line block ×8, first 2 shown]
	v_dual_add_nc_u32 v46, -5, v30 :: v_dual_add_nc_u32 v45, -4, v30
	v_dual_add_nc_u32 v44, -3, v30 :: v_dual_add_nc_u32 v43, -2, v30
	v_add_nc_u32_e32 v42, -1, v30
	s_and_saveexec_b32 s11, vcc_lo
	s_cbranch_execz .LBB334_358
; %bb.357:                              ;   in Loop: Header=BB334_296 Depth=1
	v_cmp_gt_i32_e64 s0, s23, v41
	s_delay_alu instid0(VALU_DEP_1) | instskip(SKIP_1) | instid1(VALU_DEP_1)
	v_cndmask_b32_e64 v40, 0, v40, s0
	v_cmp_gt_i32_e64 s0, s23, v47
	v_cndmask_b32_e64 v39, 0, v39, s0
	v_cmp_gt_i32_e64 s0, s23, v46
	s_delay_alu instid0(VALU_DEP_1) | instskip(SKIP_1) | instid1(VALU_DEP_1)
	v_cndmask_b32_e64 v38, 0, v38, s0
	v_cmp_gt_i32_e64 s0, s23, v45
	v_cndmask_b32_e64 v37, 0, v37, s0
	;; [unrolled: 5-line block ×4, first 2 shown]
.LBB334_358:                            ;   in Loop: Header=BB334_296 Depth=1
	s_or_b32 exec_lo, exec_lo, s11
	global_load_b64 v[22:23], v[20:21], off offset:256
	v_dual_mov_b32 v51, 0 :: v_dual_mov_b32 v50, 0
	s_mov_b32 s11, exec_lo
	s_wait_loadcnt 0x0
	v_and_b32_e32 v14, 0xff, v22
	s_delay_alu instid0(VALU_DEP_1)
	v_cmpx_ne_u16_e32 0, v14
	s_cbranch_execz .LBB334_364
; %bb.359:                              ;   in Loop: Header=BB334_296 Depth=1
	v_bfrev_b32_e32 v50, 1
	s_mov_b32 s14, exec_lo
	v_cmpx_ne_u16_e32 0x80, v14
	s_cbranch_execz .LBB334_363
; %bb.360:                              ;   in Loop: Header=BB334_296 Depth=1
	v_and_b32_e32 v14, 0x7f, v22
	v_mov_b32_e32 v50, 0x7f800001
	s_mov_b32 s15, exec_lo
	s_delay_alu instid0(VALU_DEP_2)
	v_cmpx_ne_u32_e32 0x7f, v14
	s_cbranch_execz .LBB334_362
; %bb.361:                              ;   in Loop: Header=BB334_296 Depth=1
	v_and_b32_e32 v24, 7, v22
	v_cmp_gt_u32_e64 s0, 8, v14
	s_delay_alu instid0(VALU_DEP_2) | instskip(NEXT) | instid1(VALU_DEP_1)
	v_clz_i32_u32_e32 v24, v24
	v_min_u32_e32 v24, 32, v24
	v_lshrrev_b32_e32 v25, 3, v14
	s_delay_alu instid0(VALU_DEP_2) | instskip(SKIP_1) | instid1(VALU_DEP_1)
	v_subrev_nc_u32_e32 v48, 28, v24
	v_sub_nc_u32_e32 v24, 29, v24
	v_cndmask_b32_e64 v14, v25, v24, s0
	s_delay_alu instid0(VALU_DEP_3) | instskip(NEXT) | instid1(VALU_DEP_1)
	v_cndmask_b32_e64 v24, 0, v48, s0
	v_lshlrev_b64_e32 v[24:25], v24, v[22:23]
	v_lshlrev_b32_e32 v25, 24, v22
	s_delay_alu instid0(VALU_DEP_1) | instskip(NEXT) | instid1(VALU_DEP_3)
	v_and_b32_e32 v25, 0x80000000, v25
	v_lshlrev_b32_e32 v24, 20, v24
	v_lshl_add_u32 v14, v14, 23, 0x3c000000
	s_delay_alu instid0(VALU_DEP_2) | instskip(NEXT) | instid1(VALU_DEP_1)
	v_and_b32_e32 v24, 0x700000, v24
	v_or3_b32 v50, v24, v25, v14
.LBB334_362:                            ;   in Loop: Header=BB334_296 Depth=1
	s_or_b32 exec_lo, exec_lo, s15
.LBB334_363:                            ;   in Loop: Header=BB334_296 Depth=1
	s_delay_alu instid0(SALU_CYCLE_1)
	s_or_b32 exec_lo, exec_lo, s14
.LBB334_364:                            ;   in Loop: Header=BB334_296 Depth=1
	s_delay_alu instid0(SALU_CYCLE_1) | instskip(SKIP_2) | instid1(VALU_DEP_1)
	s_or_b32 exec_lo, exec_lo, s11
	v_lshrrev_b16 v14, 8, v22
	s_mov_b32 s11, exec_lo
	v_cmpx_ne_u16_e32 0, v14
	s_cbranch_execz .LBB334_372
; %bb.365:                              ;   in Loop: Header=BB334_296 Depth=1
	v_bfrev_b32_e32 v51, 1
	s_mov_b32 s14, exec_lo
	v_cmpx_ne_u16_e32 0x80, v14
	s_cbranch_execz .LBB334_371
; %bb.366:                              ;   in Loop: Header=BB334_296 Depth=1
	v_and_b32_e32 v14, 0xffff, v14
	v_mov_b32_e32 v51, 0x7f800001
	s_mov_b32 s15, exec_lo
	s_delay_alu instid0(VALU_DEP_2) | instskip(NEXT) | instid1(VALU_DEP_1)
	v_and_b32_e32 v25, 0x7f, v14
	v_cmpx_ne_u32_e32 0x7f, v25
	s_cbranch_execz .LBB334_370
; %bb.367:                              ;   in Loop: Header=BB334_296 Depth=1
	v_dual_lshrrev_b32 v24, 3, v25 :: v_dual_bitop2_b32 v14, 7, v14 bitop3:0x40
	s_mov_b32 s16, exec_lo
	v_cmpx_gt_u32_e32 8, v25
; %bb.368:                              ;   in Loop: Header=BB334_296 Depth=1
	s_delay_alu instid0(VALU_DEP_2) | instskip(NEXT) | instid1(VALU_DEP_1)
	v_clz_i32_u32_e32 v24, v14
	v_min_u32_e32 v24, 32, v24
	s_delay_alu instid0(VALU_DEP_1) | instskip(SKIP_1) | instid1(VALU_DEP_2)
	v_subrev_nc_u32_e32 v25, 28, v24
	v_sub_nc_u32_e32 v24, 29, v24
	v_lshlrev_b64_e32 v[48:49], v25, v[14:15]
	s_delay_alu instid0(VALU_DEP_1)
	v_and_b32_e32 v14, 7, v48
; %bb.369:                              ;   in Loop: Header=BB334_296 Depth=1
	s_or_b32 exec_lo, exec_lo, s16
	v_lshlrev_b32_e32 v25, 16, v22
	s_delay_alu instid0(VALU_DEP_2) | instskip(SKIP_1) | instid1(VALU_DEP_3)
	v_lshlrev_b32_e32 v14, 20, v14
	v_lshl_add_u32 v24, v24, 23, 0x3c000000
	v_and_b32_e32 v25, 0x80000000, v25
	s_delay_alu instid0(VALU_DEP_1)
	v_or3_b32 v51, v14, v25, v24
.LBB334_370:                            ;   in Loop: Header=BB334_296 Depth=1
	s_or_b32 exec_lo, exec_lo, s15
.LBB334_371:                            ;   in Loop: Header=BB334_296 Depth=1
	s_delay_alu instid0(SALU_CYCLE_1)
	s_or_b32 exec_lo, exec_lo, s14
.LBB334_372:                            ;   in Loop: Header=BB334_296 Depth=1
	s_delay_alu instid0(SALU_CYCLE_1) | instskip(SKIP_3) | instid1(VALU_DEP_2)
	s_or_b32 exec_lo, exec_lo, s11
	v_dual_lshrrev_b32 v24, 16, v22 :: v_dual_mov_b32 v52, 0
	v_mov_b32_e32 v53, 0
	s_mov_b32 s11, exec_lo
	v_and_b32_e32 v14, 0xff, v24
	s_delay_alu instid0(VALU_DEP_1)
	v_cmpx_ne_u16_e32 0, v14
	s_cbranch_execz .LBB334_380
; %bb.373:                              ;   in Loop: Header=BB334_296 Depth=1
	v_bfrev_b32_e32 v53, 1
	s_mov_b32 s14, exec_lo
	v_cmpx_ne_u16_e32 0x80, v14
	s_cbranch_execz .LBB334_379
; %bb.374:                              ;   in Loop: Header=BB334_296 Depth=1
	v_bfe_u32 v48, v22, 16, 7
	v_mov_b32_e32 v53, 0x7f800001
	s_mov_b32 s15, exec_lo
	s_delay_alu instid0(VALU_DEP_2)
	v_cmpx_ne_u32_e32 0x7f, v48
	s_cbranch_execz .LBB334_378
; %bb.375:                              ;   in Loop: Header=BB334_296 Depth=1
	v_and_b32_e32 v14, 7, v24
	v_lshrrev_b32_e32 v25, 3, v48
	s_mov_b32 s16, exec_lo
	v_cmpx_gt_u32_e32 8, v48
; %bb.376:                              ;   in Loop: Header=BB334_296 Depth=1
	s_delay_alu instid0(VALU_DEP_3) | instskip(NEXT) | instid1(VALU_DEP_1)
	v_clz_i32_u32_e32 v25, v14
	v_min_u32_e32 v25, 32, v25
	s_delay_alu instid0(VALU_DEP_1) | instskip(NEXT) | instid1(VALU_DEP_1)
	v_subrev_nc_u32_e32 v48, 28, v25
	v_lshlrev_b64_e32 v[48:49], v48, v[14:15]
	s_delay_alu instid0(VALU_DEP_1)
	v_dual_sub_nc_u32 v25, 29, v25 :: v_dual_bitop2_b32 v14, 7, v48 bitop3:0x40
; %bb.377:                              ;   in Loop: Header=BB334_296 Depth=1
	s_or_b32 exec_lo, exec_lo, s16
	s_delay_alu instid0(VALU_DEP_1) | instskip(NEXT) | instid1(VALU_DEP_2)
	v_dual_lshlrev_b32 v24, 24, v24 :: v_dual_lshlrev_b32 v14, 20, v14
	v_lshl_add_u32 v25, v25, 23, 0x3c000000
	s_delay_alu instid0(VALU_DEP_2) | instskip(NEXT) | instid1(VALU_DEP_1)
	v_and_b32_e32 v24, 0x80000000, v24
	v_or3_b32 v53, v14, v24, v25
.LBB334_378:                            ;   in Loop: Header=BB334_296 Depth=1
	s_or_b32 exec_lo, exec_lo, s15
.LBB334_379:                            ;   in Loop: Header=BB334_296 Depth=1
	s_delay_alu instid0(SALU_CYCLE_1)
	s_or_b32 exec_lo, exec_lo, s14
.LBB334_380:                            ;   in Loop: Header=BB334_296 Depth=1
	s_delay_alu instid0(SALU_CYCLE_1) | instskip(NEXT) | instid1(SALU_CYCLE_1)
	s_or_b32 exec_lo, exec_lo, s11
	s_mov_b32 s11, exec_lo
	v_cmpx_lt_u32_e32 0xffffff, v22
	s_cbranch_execz .LBB334_388
; %bb.381:                              ;   in Loop: Header=BB334_296 Depth=1
	v_lshrrev_b32_e32 v24, 24, v22
	v_bfrev_b32_e32 v52, 1
	s_mov_b32 s14, exec_lo
	s_delay_alu instid0(VALU_DEP_2)
	v_cmpx_ne_u32_e32 0x80, v24
	s_cbranch_execz .LBB334_387
; %bb.382:                              ;   in Loop: Header=BB334_296 Depth=1
	v_bfe_u32 v48, v22, 24, 7
	v_mov_b32_e32 v52, 0x7f800001
	s_mov_b32 s15, exec_lo
	s_delay_alu instid0(VALU_DEP_2)
	v_cmpx_ne_u32_e32 0x7f, v48
	s_cbranch_execz .LBB334_386
; %bb.383:                              ;   in Loop: Header=BB334_296 Depth=1
	v_and_b32_e32 v14, 7, v24
	v_lshrrev_b32_e32 v25, 3, v48
	s_mov_b32 s16, exec_lo
	v_cmpx_gt_u32_e32 8, v48
; %bb.384:                              ;   in Loop: Header=BB334_296 Depth=1
	s_delay_alu instid0(VALU_DEP_3) | instskip(NEXT) | instid1(VALU_DEP_1)
	v_clz_i32_u32_e32 v25, v14
	v_min_u32_e32 v25, 32, v25
	s_delay_alu instid0(VALU_DEP_1) | instskip(NEXT) | instid1(VALU_DEP_1)
	v_subrev_nc_u32_e32 v48, 28, v25
	v_lshlrev_b64_e32 v[48:49], v48, v[14:15]
	s_delay_alu instid0(VALU_DEP_1)
	v_dual_sub_nc_u32 v25, 29, v25 :: v_dual_bitop2_b32 v14, 7, v48 bitop3:0x40
; %bb.385:                              ;   in Loop: Header=BB334_296 Depth=1
	s_or_b32 exec_lo, exec_lo, s16
	s_delay_alu instid0(VALU_DEP_1) | instskip(NEXT) | instid1(VALU_DEP_2)
	v_dual_lshlrev_b32 v24, 24, v24 :: v_dual_lshlrev_b32 v14, 20, v14
	v_lshl_add_u32 v25, v25, 23, 0x3c000000
	s_delay_alu instid0(VALU_DEP_2) | instskip(NEXT) | instid1(VALU_DEP_1)
	v_and_b32_e32 v24, 0x80000000, v24
	v_or3_b32 v52, v14, v24, v25
.LBB334_386:                            ;   in Loop: Header=BB334_296 Depth=1
	s_or_b32 exec_lo, exec_lo, s15
.LBB334_387:                            ;   in Loop: Header=BB334_296 Depth=1
	s_delay_alu instid0(SALU_CYCLE_1)
	s_or_b32 exec_lo, exec_lo, s14
.LBB334_388:                            ;   in Loop: Header=BB334_296 Depth=1
	s_delay_alu instid0(SALU_CYCLE_1) | instskip(SKIP_4) | instid1(VALU_DEP_3)
	s_or_b32 exec_lo, exec_lo, s11
	v_and_b32_e32 v25, 0xff, v23
	v_dual_mov_b32 v14, v23 :: v_dual_mov_b32 v24, 0
	v_mov_b32_e32 v49, 0
	s_mov_b32 s11, exec_lo
	v_cmpx_ne_u16_e32 0, v25
	s_cbranch_execz .LBB334_394
; %bb.389:                              ;   in Loop: Header=BB334_296 Depth=1
	v_bfrev_b32_e32 v49, 1
	s_mov_b32 s14, exec_lo
	v_cmpx_ne_u16_e32 0x80, v25
	s_cbranch_execz .LBB334_393
; %bb.390:                              ;   in Loop: Header=BB334_296 Depth=1
	v_and_b32_e32 v25, 0x7f, v23
	v_mov_b32_e32 v49, 0x7f800001
	s_mov_b32 s15, exec_lo
	s_delay_alu instid0(VALU_DEP_2)
	v_cmpx_ne_u32_e32 0x7f, v25
	s_cbranch_execz .LBB334_392
; %bb.391:                              ;   in Loop: Header=BB334_296 Depth=1
	v_dual_lshrrev_b32 v49, 3, v25 :: v_dual_bitop2_b32 v48, 7, v23 bitop3:0x40
	v_cmp_gt_u32_e64 s0, 8, v25
	s_delay_alu instid0(VALU_DEP_2) | instskip(NEXT) | instid1(VALU_DEP_1)
	v_clz_i32_u32_e32 v48, v48
	v_min_u32_e32 v48, 32, v48
	s_delay_alu instid0(VALU_DEP_1) | instskip(SKIP_1) | instid1(VALU_DEP_1)
	v_subrev_nc_u32_e32 v54, 28, v48
	v_sub_nc_u32_e32 v48, 29, v48
	v_dual_cndmask_b32 v25, v49, v48, s0 :: v_dual_cndmask_b32 v48, 0, v54, s0
	s_delay_alu instid0(VALU_DEP_1) | instskip(NEXT) | instid1(VALU_DEP_2)
	v_lshl_add_u32 v25, v25, 23, 0x3c000000
	v_lshlrev_b64_e32 v[48:49], v48, v[14:15]
	v_lshlrev_b32_e32 v49, 24, v14
	s_delay_alu instid0(VALU_DEP_1) | instskip(NEXT) | instid1(VALU_DEP_3)
	v_and_b32_e32 v49, 0x80000000, v49
	v_lshlrev_b32_e32 v48, 20, v48
	s_delay_alu instid0(VALU_DEP_1) | instskip(NEXT) | instid1(VALU_DEP_1)
	v_and_b32_e32 v48, 0x700000, v48
	v_or3_b32 v49, v48, v49, v25
.LBB334_392:                            ;   in Loop: Header=BB334_296 Depth=1
	s_or_b32 exec_lo, exec_lo, s15
.LBB334_393:                            ;   in Loop: Header=BB334_296 Depth=1
	s_delay_alu instid0(SALU_CYCLE_1)
	s_or_b32 exec_lo, exec_lo, s14
.LBB334_394:                            ;   in Loop: Header=BB334_296 Depth=1
	s_delay_alu instid0(SALU_CYCLE_1) | instskip(SKIP_2) | instid1(VALU_DEP_1)
	s_or_b32 exec_lo, exec_lo, s11
	v_lshrrev_b16 v25, 8, v14
	s_mov_b32 s11, exec_lo
	v_cmpx_ne_u16_e32 0, v25
	s_cbranch_execz .LBB334_402
; %bb.395:                              ;   in Loop: Header=BB334_296 Depth=1
	v_bfrev_b32_e32 v24, 1
	s_mov_b32 s14, exec_lo
	v_cmpx_ne_u16_e32 0x80, v25
	s_cbranch_execz .LBB334_401
; %bb.396:                              ;   in Loop: Header=BB334_296 Depth=1
	v_and_b32_e32 v25, 0xffff, v25
	v_mov_b32_e32 v24, 0x7f800001
	s_mov_b32 s15, exec_lo
	s_delay_alu instid0(VALU_DEP_2) | instskip(NEXT) | instid1(VALU_DEP_1)
	v_and_b32_e32 v54, 0x7f, v25
	v_cmpx_ne_u32_e32 0x7f, v54
	s_cbranch_execz .LBB334_400
; %bb.397:                              ;   in Loop: Header=BB334_296 Depth=1
	v_dual_mov_b32 v25, v15 :: v_dual_bitop2_b32 v24, 7, v25 bitop3:0x40
	v_lshrrev_b32_e32 v48, 3, v54
	s_mov_b32 s16, exec_lo
	v_cmpx_gt_u32_e32 8, v54
; %bb.398:                              ;   in Loop: Header=BB334_296 Depth=1
	s_delay_alu instid0(VALU_DEP_3) | instskip(NEXT) | instid1(VALU_DEP_1)
	v_clz_i32_u32_e32 v48, v24
	v_min_u32_e32 v48, 32, v48
	s_delay_alu instid0(VALU_DEP_1) | instskip(SKIP_1) | instid1(VALU_DEP_2)
	v_subrev_nc_u32_e32 v54, 28, v48
	v_sub_nc_u32_e32 v48, 29, v48
	v_lshlrev_b64_e32 v[24:25], v54, v[24:25]
	s_delay_alu instid0(VALU_DEP_1)
	v_and_b32_e32 v24, 7, v24
; %bb.399:                              ;   in Loop: Header=BB334_296 Depth=1
	s_or_b32 exec_lo, exec_lo, s16
	s_delay_alu instid0(VALU_DEP_1) | instskip(SKIP_1) | instid1(VALU_DEP_2)
	v_dual_lshlrev_b32 v14, 16, v14 :: v_dual_lshlrev_b32 v24, 20, v24
	v_lshl_add_u32 v25, v48, 23, 0x3c000000
	v_and_b32_e32 v14, 0x80000000, v14
	s_delay_alu instid0(VALU_DEP_1)
	v_or3_b32 v24, v24, v14, v25
.LBB334_400:                            ;   in Loop: Header=BB334_296 Depth=1
	s_or_b32 exec_lo, exec_lo, s15
.LBB334_401:                            ;   in Loop: Header=BB334_296 Depth=1
	s_delay_alu instid0(SALU_CYCLE_1)
	s_or_b32 exec_lo, exec_lo, s14
.LBB334_402:                            ;   in Loop: Header=BB334_296 Depth=1
	s_delay_alu instid0(SALU_CYCLE_1) | instskip(SKIP_3) | instid1(VALU_DEP_2)
	s_or_b32 exec_lo, exec_lo, s11
	v_dual_mov_b32 v25, 0 :: v_dual_lshrrev_b32 v48, 16, v23
	v_mov_b32_e32 v56, 0
	s_mov_b32 s11, exec_lo
	v_and_b32_e32 v14, 0xff, v48
	s_delay_alu instid0(VALU_DEP_1)
	v_cmpx_ne_u16_e32 0, v14
	s_cbranch_execz .LBB334_410
; %bb.403:                              ;   in Loop: Header=BB334_296 Depth=1
	v_bfrev_b32_e32 v56, 1
	s_mov_b32 s14, exec_lo
	v_cmpx_ne_u16_e32 0x80, v14
	s_cbranch_execz .LBB334_409
; %bb.404:                              ;   in Loop: Header=BB334_296 Depth=1
	v_bfe_u32 v55, v23, 16, 7
	v_mov_b32_e32 v56, 0x7f800001
	s_mov_b32 s15, exec_lo
	s_delay_alu instid0(VALU_DEP_2)
	v_cmpx_ne_u32_e32 0x7f, v55
	s_cbranch_execz .LBB334_408
; %bb.405:                              ;   in Loop: Header=BB334_296 Depth=1
	v_dual_lshrrev_b32 v54, 3, v55 :: v_dual_bitop2_b32 v14, 7, v48 bitop3:0x40
	s_mov_b32 s16, exec_lo
	v_cmpx_gt_u32_e32 8, v55
; %bb.406:                              ;   in Loop: Header=BB334_296 Depth=1
	s_delay_alu instid0(VALU_DEP_2) | instskip(NEXT) | instid1(VALU_DEP_1)
	v_clz_i32_u32_e32 v54, v14
	v_min_u32_e32 v54, 32, v54
	s_delay_alu instid0(VALU_DEP_1) | instskip(NEXT) | instid1(VALU_DEP_1)
	v_subrev_nc_u32_e32 v55, 28, v54
	v_lshlrev_b64_e32 v[56:57], v55, v[14:15]
	s_delay_alu instid0(VALU_DEP_1)
	v_dual_sub_nc_u32 v54, 29, v54 :: v_dual_bitop2_b32 v14, 7, v56 bitop3:0x40
; %bb.407:                              ;   in Loop: Header=BB334_296 Depth=1
	s_or_b32 exec_lo, exec_lo, s16
	s_delay_alu instid0(VALU_DEP_1) | instskip(NEXT) | instid1(VALU_DEP_2)
	v_dual_lshlrev_b32 v48, 24, v48 :: v_dual_lshlrev_b32 v14, 20, v14
	v_lshl_add_u32 v54, v54, 23, 0x3c000000
	s_delay_alu instid0(VALU_DEP_2) | instskip(NEXT) | instid1(VALU_DEP_1)
	v_and_b32_e32 v48, 0x80000000, v48
	v_or3_b32 v56, v14, v48, v54
.LBB334_408:                            ;   in Loop: Header=BB334_296 Depth=1
	s_or_b32 exec_lo, exec_lo, s15
.LBB334_409:                            ;   in Loop: Header=BB334_296 Depth=1
	s_delay_alu instid0(SALU_CYCLE_1)
	s_or_b32 exec_lo, exec_lo, s14
.LBB334_410:                            ;   in Loop: Header=BB334_296 Depth=1
	s_delay_alu instid0(SALU_CYCLE_1) | instskip(NEXT) | instid1(SALU_CYCLE_1)
	s_or_b32 exec_lo, exec_lo, s11
	s_mov_b32 s11, exec_lo
	v_cmpx_lt_u64_e64 s[2:3], v[22:23]
	s_cbranch_execz .LBB334_418
; %bb.411:                              ;   in Loop: Header=BB334_296 Depth=1
	v_lshrrev_b32_e32 v22, 24, v23
	v_bfrev_b32_e32 v25, 1
	s_mov_b32 s14, exec_lo
	s_delay_alu instid0(VALU_DEP_2)
	v_cmpx_ne_u32_e32 0x80, v22
	s_cbranch_execz .LBB334_417
; %bb.412:                              ;   in Loop: Header=BB334_296 Depth=1
	v_bfe_u32 v48, v23, 24, 7
	v_mov_b32_e32 v25, 0x7f800001
	s_mov_b32 s15, exec_lo
	s_delay_alu instid0(VALU_DEP_2)
	v_cmpx_ne_u32_e32 0x7f, v48
	s_cbranch_execz .LBB334_416
; %bb.413:                              ;   in Loop: Header=BB334_296 Depth=1
	v_dual_lshrrev_b32 v23, 3, v48 :: v_dual_bitop2_b32 v14, 7, v22 bitop3:0x40
	s_mov_b32 s16, exec_lo
	v_cmpx_gt_u32_e32 8, v48
; %bb.414:                              ;   in Loop: Header=BB334_296 Depth=1
	s_delay_alu instid0(VALU_DEP_2) | instskip(NEXT) | instid1(VALU_DEP_1)
	v_clz_i32_u32_e32 v23, v14
	v_min_u32_e32 v23, 32, v23
	s_delay_alu instid0(VALU_DEP_1) | instskip(NEXT) | instid1(VALU_DEP_1)
	v_subrev_nc_u32_e32 v25, 28, v23
	v_lshlrev_b64_e32 v[54:55], v25, v[14:15]
	s_delay_alu instid0(VALU_DEP_1)
	v_dual_sub_nc_u32 v23, 29, v23 :: v_dual_bitop2_b32 v14, 7, v54 bitop3:0x40
; %bb.415:                              ;   in Loop: Header=BB334_296 Depth=1
	s_or_b32 exec_lo, exec_lo, s16
	v_lshlrev_b32_e32 v22, 24, v22
	s_delay_alu instid0(VALU_DEP_2) | instskip(NEXT) | instid1(VALU_DEP_3)
	v_lshlrev_b32_e32 v14, 20, v14
	v_lshl_add_u32 v23, v23, 23, 0x3c000000
	s_delay_alu instid0(VALU_DEP_3) | instskip(NEXT) | instid1(VALU_DEP_1)
	v_and_b32_e32 v22, 0x80000000, v22
	v_or3_b32 v25, v14, v22, v23
.LBB334_416:                            ;   in Loop: Header=BB334_296 Depth=1
	s_or_b32 exec_lo, exec_lo, s15
.LBB334_417:                            ;   in Loop: Header=BB334_296 Depth=1
	s_delay_alu instid0(SALU_CYCLE_1)
	s_or_b32 exec_lo, exec_lo, s14
.LBB334_418:                            ;   in Loop: Header=BB334_296 Depth=1
	s_delay_alu instid0(SALU_CYCLE_1)
	s_or_b32 exec_lo, exec_lo, s11
	v_fma_mixlo_bf16 v48, s6, v24, 0
	v_fma_mixlo_bf16 v49, s6, v49, 0
	;; [unrolled: 1-line block ×8, first 2 shown]
	s_and_saveexec_b32 s11, vcc_lo
	s_cbranch_execz .LBB334_420
; %bb.419:                              ;   in Loop: Header=BB334_296 Depth=1
	v_cmp_gt_i32_e64 s0, s23, v41
	s_delay_alu instid0(VALU_DEP_1) | instskip(SKIP_1) | instid1(VALU_DEP_1)
	v_cndmask_b32_e64 v55, 0, v55, s0
	v_cmp_gt_i32_e64 s0, s23, v47
	v_cndmask_b32_e64 v54, 0, v54, s0
	v_cmp_gt_i32_e64 s0, s23, v46
	s_delay_alu instid0(VALU_DEP_1) | instskip(SKIP_1) | instid1(VALU_DEP_1)
	v_cndmask_b32_e64 v53, 0, v53, s0
	v_cmp_gt_i32_e64 s0, s23, v45
	v_cndmask_b32_e64 v52, 0, v52, s0
	v_cmp_gt_i32_e64 s0, s23, v44
	s_delay_alu instid0(VALU_DEP_1) | instskip(SKIP_1) | instid1(VALU_DEP_1)
	v_cndmask_b32_e64 v49, 0, v49, s0
	v_cmp_gt_i32_e64 s0, s23, v43
	v_cndmask_b32_e64 v48, 0, v48, s0
	v_cmp_gt_i32_e64 s0, s23, v42
	s_delay_alu instid0(VALU_DEP_1) | instskip(SKIP_1) | instid1(VALU_DEP_1)
	v_cndmask_b32_e64 v50, 0, v50, s0
	v_cmp_gt_i32_e64 s0, s23, v30
	v_cndmask_b32_e64 v51, 0, v51, s0
.LBB334_420:                            ;   in Loop: Header=BB334_296 Depth=1
	s_or_b32 exec_lo, exec_lo, s11
	global_load_b64 v[22:23], v[20:21], off offset:512
	v_dual_mov_b32 v60, 0 :: v_dual_mov_b32 v61, 0
	s_mov_b32 s11, exec_lo
	s_wait_loadcnt 0x0
	v_and_b32_e32 v14, 0xff, v22
	s_delay_alu instid0(VALU_DEP_1)
	v_cmpx_ne_u16_e32 0, v14
	s_cbranch_execz .LBB334_426
; %bb.421:                              ;   in Loop: Header=BB334_296 Depth=1
	v_bfrev_b32_e32 v61, 1
	s_mov_b32 s14, exec_lo
	v_cmpx_ne_u16_e32 0x80, v14
	s_cbranch_execz .LBB334_425
; %bb.422:                              ;   in Loop: Header=BB334_296 Depth=1
	v_and_b32_e32 v14, 0x7f, v22
	v_mov_b32_e32 v61, 0x7f800001
	s_mov_b32 s15, exec_lo
	s_delay_alu instid0(VALU_DEP_2)
	v_cmpx_ne_u32_e32 0x7f, v14
	s_cbranch_execz .LBB334_424
; %bb.423:                              ;   in Loop: Header=BB334_296 Depth=1
	v_and_b32_e32 v24, 7, v22
	v_cmp_gt_u32_e64 s0, 8, v14
	s_delay_alu instid0(VALU_DEP_2) | instskip(NEXT) | instid1(VALU_DEP_1)
	v_clz_i32_u32_e32 v24, v24
	v_min_u32_e32 v24, 32, v24
	v_lshrrev_b32_e32 v25, 3, v14
	s_delay_alu instid0(VALU_DEP_2) | instskip(SKIP_1) | instid1(VALU_DEP_1)
	v_subrev_nc_u32_e32 v56, 28, v24
	v_sub_nc_u32_e32 v24, 29, v24
	v_cndmask_b32_e64 v14, v25, v24, s0
	s_delay_alu instid0(VALU_DEP_3) | instskip(NEXT) | instid1(VALU_DEP_1)
	v_cndmask_b32_e64 v24, 0, v56, s0
	v_lshlrev_b64_e32 v[24:25], v24, v[22:23]
	v_lshlrev_b32_e32 v25, 24, v22
	s_delay_alu instid0(VALU_DEP_1) | instskip(NEXT) | instid1(VALU_DEP_3)
	v_and_b32_e32 v25, 0x80000000, v25
	v_lshlrev_b32_e32 v24, 20, v24
	v_lshl_add_u32 v14, v14, 23, 0x3c000000
	s_delay_alu instid0(VALU_DEP_2) | instskip(NEXT) | instid1(VALU_DEP_1)
	v_and_b32_e32 v24, 0x700000, v24
	v_or3_b32 v61, v24, v25, v14
.LBB334_424:                            ;   in Loop: Header=BB334_296 Depth=1
	s_or_b32 exec_lo, exec_lo, s15
.LBB334_425:                            ;   in Loop: Header=BB334_296 Depth=1
	s_delay_alu instid0(SALU_CYCLE_1)
	s_or_b32 exec_lo, exec_lo, s14
.LBB334_426:                            ;   in Loop: Header=BB334_296 Depth=1
	s_delay_alu instid0(SALU_CYCLE_1) | instskip(SKIP_2) | instid1(VALU_DEP_1)
	s_or_b32 exec_lo, exec_lo, s11
	v_lshrrev_b16 v14, 8, v22
	s_mov_b32 s11, exec_lo
	v_cmpx_ne_u16_e32 0, v14
	s_cbranch_execz .LBB334_434
; %bb.427:                              ;   in Loop: Header=BB334_296 Depth=1
	v_bfrev_b32_e32 v60, 1
	s_mov_b32 s14, exec_lo
	v_cmpx_ne_u16_e32 0x80, v14
	s_cbranch_execz .LBB334_433
; %bb.428:                              ;   in Loop: Header=BB334_296 Depth=1
	v_and_b32_e32 v14, 0xffff, v14
	v_mov_b32_e32 v60, 0x7f800001
	s_mov_b32 s15, exec_lo
	s_delay_alu instid0(VALU_DEP_2) | instskip(NEXT) | instid1(VALU_DEP_1)
	v_and_b32_e32 v25, 0x7f, v14
	v_cmpx_ne_u32_e32 0x7f, v25
	s_cbranch_execz .LBB334_432
; %bb.429:                              ;   in Loop: Header=BB334_296 Depth=1
	v_dual_lshrrev_b32 v24, 3, v25 :: v_dual_bitop2_b32 v14, 7, v14 bitop3:0x40
	s_mov_b32 s16, exec_lo
	v_cmpx_gt_u32_e32 8, v25
; %bb.430:                              ;   in Loop: Header=BB334_296 Depth=1
	s_delay_alu instid0(VALU_DEP_2) | instskip(NEXT) | instid1(VALU_DEP_1)
	v_clz_i32_u32_e32 v24, v14
	v_min_u32_e32 v24, 32, v24
	s_delay_alu instid0(VALU_DEP_1) | instskip(SKIP_1) | instid1(VALU_DEP_2)
	v_subrev_nc_u32_e32 v25, 28, v24
	v_sub_nc_u32_e32 v24, 29, v24
	v_lshlrev_b64_e32 v[56:57], v25, v[14:15]
	s_delay_alu instid0(VALU_DEP_1)
	v_and_b32_e32 v14, 7, v56
; %bb.431:                              ;   in Loop: Header=BB334_296 Depth=1
	s_or_b32 exec_lo, exec_lo, s16
	v_lshlrev_b32_e32 v25, 16, v22
	s_delay_alu instid0(VALU_DEP_2) | instskip(SKIP_1) | instid1(VALU_DEP_3)
	v_lshlrev_b32_e32 v14, 20, v14
	v_lshl_add_u32 v24, v24, 23, 0x3c000000
	v_and_b32_e32 v25, 0x80000000, v25
	s_delay_alu instid0(VALU_DEP_1)
	v_or3_b32 v60, v14, v25, v24
.LBB334_432:                            ;   in Loop: Header=BB334_296 Depth=1
	s_or_b32 exec_lo, exec_lo, s15
.LBB334_433:                            ;   in Loop: Header=BB334_296 Depth=1
	s_delay_alu instid0(SALU_CYCLE_1)
	s_or_b32 exec_lo, exec_lo, s14
.LBB334_434:                            ;   in Loop: Header=BB334_296 Depth=1
	s_delay_alu instid0(SALU_CYCLE_1) | instskip(SKIP_3) | instid1(VALU_DEP_2)
	s_or_b32 exec_lo, exec_lo, s11
	v_dual_lshrrev_b32 v24, 16, v22 :: v_dual_mov_b32 v58, 0
	v_mov_b32_e32 v59, 0
	s_mov_b32 s11, exec_lo
	v_and_b32_e32 v14, 0xff, v24
	s_delay_alu instid0(VALU_DEP_1)
	v_cmpx_ne_u16_e32 0, v14
	s_cbranch_execz .LBB334_442
; %bb.435:                              ;   in Loop: Header=BB334_296 Depth=1
	v_bfrev_b32_e32 v59, 1
	s_mov_b32 s14, exec_lo
	v_cmpx_ne_u16_e32 0x80, v14
	s_cbranch_execz .LBB334_441
; %bb.436:                              ;   in Loop: Header=BB334_296 Depth=1
	v_bfe_u32 v56, v22, 16, 7
	v_mov_b32_e32 v59, 0x7f800001
	s_mov_b32 s15, exec_lo
	s_delay_alu instid0(VALU_DEP_2)
	v_cmpx_ne_u32_e32 0x7f, v56
	s_cbranch_execz .LBB334_440
; %bb.437:                              ;   in Loop: Header=BB334_296 Depth=1
	v_and_b32_e32 v14, 7, v24
	v_lshrrev_b32_e32 v25, 3, v56
	s_mov_b32 s16, exec_lo
	v_cmpx_gt_u32_e32 8, v56
; %bb.438:                              ;   in Loop: Header=BB334_296 Depth=1
	s_delay_alu instid0(VALU_DEP_3) | instskip(NEXT) | instid1(VALU_DEP_1)
	v_clz_i32_u32_e32 v25, v14
	v_min_u32_e32 v25, 32, v25
	s_delay_alu instid0(VALU_DEP_1) | instskip(NEXT) | instid1(VALU_DEP_1)
	v_subrev_nc_u32_e32 v56, 28, v25
	v_lshlrev_b64_e32 v[56:57], v56, v[14:15]
	s_delay_alu instid0(VALU_DEP_1)
	v_dual_sub_nc_u32 v25, 29, v25 :: v_dual_bitop2_b32 v14, 7, v56 bitop3:0x40
; %bb.439:                              ;   in Loop: Header=BB334_296 Depth=1
	s_or_b32 exec_lo, exec_lo, s16
	s_delay_alu instid0(VALU_DEP_1) | instskip(NEXT) | instid1(VALU_DEP_2)
	v_dual_lshlrev_b32 v24, 24, v24 :: v_dual_lshlrev_b32 v14, 20, v14
	v_lshl_add_u32 v25, v25, 23, 0x3c000000
	s_delay_alu instid0(VALU_DEP_2) | instskip(NEXT) | instid1(VALU_DEP_1)
	v_and_b32_e32 v24, 0x80000000, v24
	v_or3_b32 v59, v14, v24, v25
.LBB334_440:                            ;   in Loop: Header=BB334_296 Depth=1
	s_or_b32 exec_lo, exec_lo, s15
.LBB334_441:                            ;   in Loop: Header=BB334_296 Depth=1
	s_delay_alu instid0(SALU_CYCLE_1)
	s_or_b32 exec_lo, exec_lo, s14
.LBB334_442:                            ;   in Loop: Header=BB334_296 Depth=1
	s_delay_alu instid0(SALU_CYCLE_1) | instskip(NEXT) | instid1(SALU_CYCLE_1)
	s_or_b32 exec_lo, exec_lo, s11
	s_mov_b32 s11, exec_lo
	v_cmpx_lt_u32_e32 0xffffff, v22
	s_cbranch_execz .LBB334_450
; %bb.443:                              ;   in Loop: Header=BB334_296 Depth=1
	v_lshrrev_b32_e32 v24, 24, v22
	v_bfrev_b32_e32 v58, 1
	s_mov_b32 s14, exec_lo
	s_delay_alu instid0(VALU_DEP_2)
	v_cmpx_ne_u32_e32 0x80, v24
	s_cbranch_execz .LBB334_449
; %bb.444:                              ;   in Loop: Header=BB334_296 Depth=1
	v_bfe_u32 v56, v22, 24, 7
	v_mov_b32_e32 v58, 0x7f800001
	s_mov_b32 s15, exec_lo
	s_delay_alu instid0(VALU_DEP_2)
	v_cmpx_ne_u32_e32 0x7f, v56
	s_cbranch_execz .LBB334_448
; %bb.445:                              ;   in Loop: Header=BB334_296 Depth=1
	v_and_b32_e32 v14, 7, v24
	v_lshrrev_b32_e32 v25, 3, v56
	s_mov_b32 s16, exec_lo
	v_cmpx_gt_u32_e32 8, v56
; %bb.446:                              ;   in Loop: Header=BB334_296 Depth=1
	s_delay_alu instid0(VALU_DEP_3) | instskip(NEXT) | instid1(VALU_DEP_1)
	v_clz_i32_u32_e32 v25, v14
	v_min_u32_e32 v25, 32, v25
	s_delay_alu instid0(VALU_DEP_1) | instskip(NEXT) | instid1(VALU_DEP_1)
	v_subrev_nc_u32_e32 v56, 28, v25
	v_lshlrev_b64_e32 v[56:57], v56, v[14:15]
	s_delay_alu instid0(VALU_DEP_1)
	v_dual_sub_nc_u32 v25, 29, v25 :: v_dual_bitop2_b32 v14, 7, v56 bitop3:0x40
; %bb.447:                              ;   in Loop: Header=BB334_296 Depth=1
	s_or_b32 exec_lo, exec_lo, s16
	s_delay_alu instid0(VALU_DEP_1) | instskip(NEXT) | instid1(VALU_DEP_2)
	v_dual_lshlrev_b32 v24, 24, v24 :: v_dual_lshlrev_b32 v14, 20, v14
	v_lshl_add_u32 v25, v25, 23, 0x3c000000
	s_delay_alu instid0(VALU_DEP_2) | instskip(NEXT) | instid1(VALU_DEP_1)
	v_and_b32_e32 v24, 0x80000000, v24
	v_or3_b32 v58, v14, v24, v25
.LBB334_448:                            ;   in Loop: Header=BB334_296 Depth=1
	s_or_b32 exec_lo, exec_lo, s15
.LBB334_449:                            ;   in Loop: Header=BB334_296 Depth=1
	s_delay_alu instid0(SALU_CYCLE_1)
	s_or_b32 exec_lo, exec_lo, s14
.LBB334_450:                            ;   in Loop: Header=BB334_296 Depth=1
	s_delay_alu instid0(SALU_CYCLE_1) | instskip(SKIP_4) | instid1(VALU_DEP_3)
	s_or_b32 exec_lo, exec_lo, s11
	v_and_b32_e32 v25, 0xff, v23
	v_dual_mov_b32 v14, v23 :: v_dual_mov_b32 v24, 0
	v_mov_b32_e32 v57, 0
	s_mov_b32 s11, exec_lo
	v_cmpx_ne_u16_e32 0, v25
	s_cbranch_execz .LBB334_456
; %bb.451:                              ;   in Loop: Header=BB334_296 Depth=1
	v_bfrev_b32_e32 v57, 1
	s_mov_b32 s14, exec_lo
	v_cmpx_ne_u16_e32 0x80, v25
	s_cbranch_execz .LBB334_455
; %bb.452:                              ;   in Loop: Header=BB334_296 Depth=1
	v_and_b32_e32 v25, 0x7f, v23
	v_mov_b32_e32 v57, 0x7f800001
	s_mov_b32 s15, exec_lo
	s_delay_alu instid0(VALU_DEP_2)
	v_cmpx_ne_u32_e32 0x7f, v25
	s_cbranch_execz .LBB334_454
; %bb.453:                              ;   in Loop: Header=BB334_296 Depth=1
	v_dual_lshrrev_b32 v57, 3, v25 :: v_dual_bitop2_b32 v56, 7, v23 bitop3:0x40
	v_cmp_gt_u32_e64 s0, 8, v25
	s_delay_alu instid0(VALU_DEP_2) | instskip(NEXT) | instid1(VALU_DEP_1)
	v_clz_i32_u32_e32 v56, v56
	v_min_u32_e32 v56, 32, v56
	s_delay_alu instid0(VALU_DEP_1) | instskip(SKIP_1) | instid1(VALU_DEP_1)
	v_subrev_nc_u32_e32 v62, 28, v56
	v_sub_nc_u32_e32 v56, 29, v56
	v_dual_cndmask_b32 v25, v57, v56, s0 :: v_dual_cndmask_b32 v56, 0, v62, s0
	s_delay_alu instid0(VALU_DEP_1) | instskip(NEXT) | instid1(VALU_DEP_2)
	v_lshl_add_u32 v25, v25, 23, 0x3c000000
	v_lshlrev_b64_e32 v[56:57], v56, v[14:15]
	v_lshlrev_b32_e32 v57, 24, v14
	s_delay_alu instid0(VALU_DEP_1) | instskip(NEXT) | instid1(VALU_DEP_3)
	v_and_b32_e32 v57, 0x80000000, v57
	v_lshlrev_b32_e32 v56, 20, v56
	s_delay_alu instid0(VALU_DEP_1) | instskip(NEXT) | instid1(VALU_DEP_1)
	v_and_b32_e32 v56, 0x700000, v56
	v_or3_b32 v57, v56, v57, v25
.LBB334_454:                            ;   in Loop: Header=BB334_296 Depth=1
	s_or_b32 exec_lo, exec_lo, s15
.LBB334_455:                            ;   in Loop: Header=BB334_296 Depth=1
	s_delay_alu instid0(SALU_CYCLE_1)
	s_or_b32 exec_lo, exec_lo, s14
.LBB334_456:                            ;   in Loop: Header=BB334_296 Depth=1
	s_delay_alu instid0(SALU_CYCLE_1) | instskip(SKIP_2) | instid1(VALU_DEP_1)
	s_or_b32 exec_lo, exec_lo, s11
	v_lshrrev_b16 v25, 8, v14
	s_mov_b32 s11, exec_lo
	v_cmpx_ne_u16_e32 0, v25
	s_cbranch_execz .LBB334_464
; %bb.457:                              ;   in Loop: Header=BB334_296 Depth=1
	v_bfrev_b32_e32 v24, 1
	s_mov_b32 s14, exec_lo
	v_cmpx_ne_u16_e32 0x80, v25
	s_cbranch_execz .LBB334_463
; %bb.458:                              ;   in Loop: Header=BB334_296 Depth=1
	v_and_b32_e32 v25, 0xffff, v25
	v_mov_b32_e32 v24, 0x7f800001
	s_mov_b32 s15, exec_lo
	s_delay_alu instid0(VALU_DEP_2) | instskip(NEXT) | instid1(VALU_DEP_1)
	v_and_b32_e32 v62, 0x7f, v25
	v_cmpx_ne_u32_e32 0x7f, v62
	s_cbranch_execz .LBB334_462
; %bb.459:                              ;   in Loop: Header=BB334_296 Depth=1
	v_dual_mov_b32 v25, v15 :: v_dual_bitop2_b32 v24, 7, v25 bitop3:0x40
	v_lshrrev_b32_e32 v56, 3, v62
	s_mov_b32 s16, exec_lo
	v_cmpx_gt_u32_e32 8, v62
; %bb.460:                              ;   in Loop: Header=BB334_296 Depth=1
	s_delay_alu instid0(VALU_DEP_3) | instskip(NEXT) | instid1(VALU_DEP_1)
	v_clz_i32_u32_e32 v56, v24
	v_min_u32_e32 v56, 32, v56
	s_delay_alu instid0(VALU_DEP_1) | instskip(SKIP_1) | instid1(VALU_DEP_2)
	v_subrev_nc_u32_e32 v62, 28, v56
	v_sub_nc_u32_e32 v56, 29, v56
	v_lshlrev_b64_e32 v[24:25], v62, v[24:25]
	s_delay_alu instid0(VALU_DEP_1)
	v_and_b32_e32 v24, 7, v24
; %bb.461:                              ;   in Loop: Header=BB334_296 Depth=1
	s_or_b32 exec_lo, exec_lo, s16
	s_delay_alu instid0(VALU_DEP_1) | instskip(SKIP_1) | instid1(VALU_DEP_2)
	v_dual_lshlrev_b32 v14, 16, v14 :: v_dual_lshlrev_b32 v24, 20, v24
	v_lshl_add_u32 v25, v56, 23, 0x3c000000
	v_and_b32_e32 v14, 0x80000000, v14
	s_delay_alu instid0(VALU_DEP_1)
	v_or3_b32 v24, v24, v14, v25
.LBB334_462:                            ;   in Loop: Header=BB334_296 Depth=1
	s_or_b32 exec_lo, exec_lo, s15
.LBB334_463:                            ;   in Loop: Header=BB334_296 Depth=1
	s_delay_alu instid0(SALU_CYCLE_1)
	s_or_b32 exec_lo, exec_lo, s14
.LBB334_464:                            ;   in Loop: Header=BB334_296 Depth=1
	s_delay_alu instid0(SALU_CYCLE_1) | instskip(SKIP_3) | instid1(VALU_DEP_2)
	s_or_b32 exec_lo, exec_lo, s11
	v_dual_mov_b32 v25, 0 :: v_dual_lshrrev_b32 v56, 16, v23
	v_mov_b32_e32 v62, 0
	s_mov_b32 s11, exec_lo
	v_and_b32_e32 v14, 0xff, v56
	s_delay_alu instid0(VALU_DEP_1)
	v_cmpx_ne_u16_e32 0, v14
	s_cbranch_execz .LBB334_472
; %bb.465:                              ;   in Loop: Header=BB334_296 Depth=1
	v_bfrev_b32_e32 v62, 1
	s_mov_b32 s14, exec_lo
	v_cmpx_ne_u16_e32 0x80, v14
	s_cbranch_execz .LBB334_471
; %bb.466:                              ;   in Loop: Header=BB334_296 Depth=1
	v_bfe_u32 v63, v23, 16, 7
	v_mov_b32_e32 v62, 0x7f800001
	s_mov_b32 s15, exec_lo
	s_delay_alu instid0(VALU_DEP_2)
	v_cmpx_ne_u32_e32 0x7f, v63
	s_cbranch_execz .LBB334_470
; %bb.467:                              ;   in Loop: Header=BB334_296 Depth=1
	v_dual_lshrrev_b32 v62, 3, v63 :: v_dual_bitop2_b32 v14, 7, v56 bitop3:0x40
	s_mov_b32 s16, exec_lo
	v_cmpx_gt_u32_e32 8, v63
; %bb.468:                              ;   in Loop: Header=BB334_296 Depth=1
	s_delay_alu instid0(VALU_DEP_2) | instskip(NEXT) | instid1(VALU_DEP_1)
	v_clz_i32_u32_e32 v62, v14
	v_min_u32_e32 v62, 32, v62
	s_delay_alu instid0(VALU_DEP_1) | instskip(NEXT) | instid1(VALU_DEP_1)
	v_subrev_nc_u32_e32 v63, 28, v62
	v_lshlrev_b64_e32 v[64:65], v63, v[14:15]
	s_delay_alu instid0(VALU_DEP_1)
	v_dual_sub_nc_u32 v62, 29, v62 :: v_dual_bitop2_b32 v14, 7, v64 bitop3:0x40
; %bb.469:                              ;   in Loop: Header=BB334_296 Depth=1
	s_or_b32 exec_lo, exec_lo, s16
	s_delay_alu instid0(VALU_DEP_1) | instskip(NEXT) | instid1(VALU_DEP_2)
	v_dual_lshlrev_b32 v56, 24, v56 :: v_dual_lshlrev_b32 v14, 20, v14
	v_lshl_add_u32 v62, v62, 23, 0x3c000000
	s_delay_alu instid0(VALU_DEP_2) | instskip(NEXT) | instid1(VALU_DEP_1)
	v_and_b32_e32 v56, 0x80000000, v56
	v_or3_b32 v62, v14, v56, v62
.LBB334_470:                            ;   in Loop: Header=BB334_296 Depth=1
	s_or_b32 exec_lo, exec_lo, s15
.LBB334_471:                            ;   in Loop: Header=BB334_296 Depth=1
	s_delay_alu instid0(SALU_CYCLE_1)
	s_or_b32 exec_lo, exec_lo, s14
.LBB334_472:                            ;   in Loop: Header=BB334_296 Depth=1
	s_delay_alu instid0(SALU_CYCLE_1) | instskip(NEXT) | instid1(SALU_CYCLE_1)
	s_or_b32 exec_lo, exec_lo, s11
	s_mov_b32 s11, exec_lo
	v_cmpx_lt_u64_e64 s[2:3], v[22:23]
	s_cbranch_execz .LBB334_480
; %bb.473:                              ;   in Loop: Header=BB334_296 Depth=1
	v_lshrrev_b32_e32 v22, 24, v23
	v_bfrev_b32_e32 v25, 1
	s_mov_b32 s14, exec_lo
	s_delay_alu instid0(VALU_DEP_2)
	v_cmpx_ne_u32_e32 0x80, v22
	s_cbranch_execz .LBB334_479
; %bb.474:                              ;   in Loop: Header=BB334_296 Depth=1
	v_bfe_u32 v56, v23, 24, 7
	v_mov_b32_e32 v25, 0x7f800001
	s_mov_b32 s15, exec_lo
	s_delay_alu instid0(VALU_DEP_2)
	v_cmpx_ne_u32_e32 0x7f, v56
	s_cbranch_execz .LBB334_478
; %bb.475:                              ;   in Loop: Header=BB334_296 Depth=1
	v_dual_lshrrev_b32 v23, 3, v56 :: v_dual_bitop2_b32 v14, 7, v22 bitop3:0x40
	s_mov_b32 s16, exec_lo
	v_cmpx_gt_u32_e32 8, v56
; %bb.476:                              ;   in Loop: Header=BB334_296 Depth=1
	s_delay_alu instid0(VALU_DEP_2) | instskip(NEXT) | instid1(VALU_DEP_1)
	v_clz_i32_u32_e32 v23, v14
	v_min_u32_e32 v23, 32, v23
	s_delay_alu instid0(VALU_DEP_1) | instskip(NEXT) | instid1(VALU_DEP_1)
	v_subrev_nc_u32_e32 v25, 28, v23
	v_lshlrev_b64_e32 v[64:65], v25, v[14:15]
	s_delay_alu instid0(VALU_DEP_1)
	v_dual_sub_nc_u32 v23, 29, v23 :: v_dual_bitop2_b32 v14, 7, v64 bitop3:0x40
; %bb.477:                              ;   in Loop: Header=BB334_296 Depth=1
	s_or_b32 exec_lo, exec_lo, s16
	v_lshlrev_b32_e32 v22, 24, v22
	s_delay_alu instid0(VALU_DEP_2) | instskip(NEXT) | instid1(VALU_DEP_3)
	v_lshlrev_b32_e32 v14, 20, v14
	v_lshl_add_u32 v23, v23, 23, 0x3c000000
	s_delay_alu instid0(VALU_DEP_3) | instskip(NEXT) | instid1(VALU_DEP_1)
	v_and_b32_e32 v22, 0x80000000, v22
	v_or3_b32 v25, v14, v22, v23
.LBB334_478:                            ;   in Loop: Header=BB334_296 Depth=1
	s_or_b32 exec_lo, exec_lo, s15
.LBB334_479:                            ;   in Loop: Header=BB334_296 Depth=1
	s_delay_alu instid0(SALU_CYCLE_1)
	s_or_b32 exec_lo, exec_lo, s14
.LBB334_480:                            ;   in Loop: Header=BB334_296 Depth=1
	s_delay_alu instid0(SALU_CYCLE_1)
	s_or_b32 exec_lo, exec_lo, s11
	v_fma_mixlo_bf16 v56, s6, v24, 0
	v_fma_mixlo_bf16 v57, s6, v57, 0
	v_fma_mixlo_bf16 v58, s6, v58, 0
	v_fma_mixlo_bf16 v59, s6, v59, 0
	v_fma_mixlo_bf16 v60, s6, v60, 0
	v_fma_mixlo_bf16 v61, s6, v61, 0
	v_fma_mixlo_bf16 v24, s6, v62, 0
	v_fma_mixlo_bf16 v25, s6, v25, 0
	s_and_saveexec_b32 s11, vcc_lo
	s_cbranch_execz .LBB334_482
; %bb.481:                              ;   in Loop: Header=BB334_296 Depth=1
	v_cmp_gt_i32_e64 s0, s23, v41
	s_delay_alu instid0(VALU_DEP_1) | instskip(SKIP_1) | instid1(VALU_DEP_1)
	v_cndmask_b32_e64 v61, 0, v61, s0
	v_cmp_gt_i32_e64 s0, s23, v47
	v_cndmask_b32_e64 v60, 0, v60, s0
	v_cmp_gt_i32_e64 s0, s23, v46
	s_delay_alu instid0(VALU_DEP_1) | instskip(SKIP_1) | instid1(VALU_DEP_1)
	v_cndmask_b32_e64 v59, 0, v59, s0
	v_cmp_gt_i32_e64 s0, s23, v45
	v_cndmask_b32_e64 v58, 0, v58, s0
	v_cmp_gt_i32_e64 s0, s23, v44
	s_delay_alu instid0(VALU_DEP_1) | instskip(SKIP_1) | instid1(VALU_DEP_1)
	v_cndmask_b32_e64 v57, 0, v57, s0
	v_cmp_gt_i32_e64 s0, s23, v43
	v_cndmask_b32_e64 v56, 0, v56, s0
	v_cmp_gt_i32_e64 s0, s23, v42
	s_delay_alu instid0(VALU_DEP_1) | instskip(SKIP_1) | instid1(VALU_DEP_1)
	v_cndmask_b32_e64 v24, 0, v24, s0
	v_cmp_gt_i32_e64 s0, s23, v30
	v_cndmask_b32_e64 v25, 0, v25, s0
.LBB334_482:                            ;   in Loop: Header=BB334_296 Depth=1
	s_or_b32 exec_lo, exec_lo, s11
	global_load_b64 v[20:21], v[20:21], off offset:768
	v_dual_mov_b32 v63, 0 :: v_dual_mov_b32 v62, 0
	s_mov_b32 s11, exec_lo
	s_wait_loadcnt 0x0
	v_and_b32_e32 v14, 0xff, v20
	s_delay_alu instid0(VALU_DEP_1)
	v_cmpx_ne_u16_e32 0, v14
	s_cbranch_execz .LBB334_488
; %bb.483:                              ;   in Loop: Header=BB334_296 Depth=1
	v_bfrev_b32_e32 v62, 1
	s_mov_b32 s14, exec_lo
	v_cmpx_ne_u16_e32 0x80, v14
	s_cbranch_execz .LBB334_487
; %bb.484:                              ;   in Loop: Header=BB334_296 Depth=1
	v_and_b32_e32 v14, 0x7f, v20
	v_mov_b32_e32 v62, 0x7f800001
	s_mov_b32 s15, exec_lo
	s_delay_alu instid0(VALU_DEP_2)
	v_cmpx_ne_u32_e32 0x7f, v14
	s_cbranch_execz .LBB334_486
; %bb.485:                              ;   in Loop: Header=BB334_296 Depth=1
	v_dual_lshrrev_b32 v23, 3, v14 :: v_dual_bitop2_b32 v22, 7, v20 bitop3:0x40
	v_cmp_gt_u32_e64 s0, 8, v14
	s_delay_alu instid0(VALU_DEP_2) | instskip(NEXT) | instid1(VALU_DEP_1)
	v_clz_i32_u32_e32 v22, v22
	v_min_u32_e32 v22, 32, v22
	s_delay_alu instid0(VALU_DEP_1) | instskip(SKIP_1) | instid1(VALU_DEP_1)
	v_subrev_nc_u32_e32 v62, 28, v22
	v_sub_nc_u32_e32 v22, 29, v22
	v_cndmask_b32_e64 v14, v23, v22, s0
	s_delay_alu instid0(VALU_DEP_3) | instskip(NEXT) | instid1(VALU_DEP_1)
	v_cndmask_b32_e64 v22, 0, v62, s0
	v_lshlrev_b64_e32 v[22:23], v22, v[20:21]
	v_lshlrev_b32_e32 v23, 24, v20
	s_delay_alu instid0(VALU_DEP_1) | instskip(NEXT) | instid1(VALU_DEP_3)
	v_and_b32_e32 v23, 0x80000000, v23
	v_lshlrev_b32_e32 v22, 20, v22
	v_lshl_add_u32 v14, v14, 23, 0x3c000000
	s_delay_alu instid0(VALU_DEP_2) | instskip(NEXT) | instid1(VALU_DEP_1)
	v_and_b32_e32 v22, 0x700000, v22
	v_or3_b32 v62, v22, v23, v14
.LBB334_486:                            ;   in Loop: Header=BB334_296 Depth=1
	s_or_b32 exec_lo, exec_lo, s15
.LBB334_487:                            ;   in Loop: Header=BB334_296 Depth=1
	s_delay_alu instid0(SALU_CYCLE_1)
	s_or_b32 exec_lo, exec_lo, s14
.LBB334_488:                            ;   in Loop: Header=BB334_296 Depth=1
	s_delay_alu instid0(SALU_CYCLE_1) | instskip(SKIP_2) | instid1(VALU_DEP_1)
	s_or_b32 exec_lo, exec_lo, s11
	v_lshrrev_b16 v14, 8, v20
	s_mov_b32 s11, exec_lo
	v_cmpx_ne_u16_e32 0, v14
	s_cbranch_execz .LBB334_496
; %bb.489:                              ;   in Loop: Header=BB334_296 Depth=1
	v_bfrev_b32_e32 v63, 1
	s_mov_b32 s14, exec_lo
	v_cmpx_ne_u16_e32 0x80, v14
	s_cbranch_execz .LBB334_495
; %bb.490:                              ;   in Loop: Header=BB334_296 Depth=1
	v_and_b32_e32 v14, 0xffff, v14
	v_mov_b32_e32 v63, 0x7f800001
	s_mov_b32 s15, exec_lo
	s_delay_alu instid0(VALU_DEP_2) | instskip(NEXT) | instid1(VALU_DEP_1)
	v_and_b32_e32 v23, 0x7f, v14
	v_cmpx_ne_u32_e32 0x7f, v23
	s_cbranch_execz .LBB334_494
; %bb.491:                              ;   in Loop: Header=BB334_296 Depth=1
	v_dual_lshrrev_b32 v22, 3, v23 :: v_dual_bitop2_b32 v14, 7, v14 bitop3:0x40
	s_mov_b32 s16, exec_lo
	v_cmpx_gt_u32_e32 8, v23
; %bb.492:                              ;   in Loop: Header=BB334_296 Depth=1
	s_delay_alu instid0(VALU_DEP_2) | instskip(NEXT) | instid1(VALU_DEP_1)
	v_clz_i32_u32_e32 v22, v14
	v_min_u32_e32 v22, 32, v22
	s_delay_alu instid0(VALU_DEP_1) | instskip(NEXT) | instid1(VALU_DEP_1)
	v_subrev_nc_u32_e32 v23, 28, v22
	v_lshlrev_b64_e32 v[64:65], v23, v[14:15]
	s_delay_alu instid0(VALU_DEP_1)
	v_dual_sub_nc_u32 v22, 29, v22 :: v_dual_bitop2_b32 v14, 7, v64 bitop3:0x40
; %bb.493:                              ;   in Loop: Header=BB334_296 Depth=1
	s_or_b32 exec_lo, exec_lo, s16
	s_delay_alu instid0(VALU_DEP_1) | instskip(NEXT) | instid1(VALU_DEP_2)
	v_dual_lshlrev_b32 v23, 16, v20 :: v_dual_lshlrev_b32 v14, 20, v14
	v_lshl_add_u32 v22, v22, 23, 0x3c000000
	s_delay_alu instid0(VALU_DEP_2) | instskip(NEXT) | instid1(VALU_DEP_1)
	v_and_b32_e32 v23, 0x80000000, v23
	v_or3_b32 v63, v14, v23, v22
.LBB334_494:                            ;   in Loop: Header=BB334_296 Depth=1
	s_or_b32 exec_lo, exec_lo, s15
.LBB334_495:                            ;   in Loop: Header=BB334_296 Depth=1
	s_delay_alu instid0(SALU_CYCLE_1)
	s_or_b32 exec_lo, exec_lo, s14
.LBB334_496:                            ;   in Loop: Header=BB334_296 Depth=1
	s_delay_alu instid0(SALU_CYCLE_1) | instskip(SKIP_3) | instid1(VALU_DEP_2)
	s_or_b32 exec_lo, exec_lo, s11
	v_dual_mov_b32 v65, 0 :: v_dual_lshrrev_b32 v22, 16, v20
	v_mov_b32_e32 v64, 0
	s_mov_b32 s11, exec_lo
	v_and_b32_e32 v14, 0xff, v22
	s_delay_alu instid0(VALU_DEP_1)
	v_cmpx_ne_u16_e32 0, v14
	s_cbranch_execz .LBB334_504
; %bb.497:                              ;   in Loop: Header=BB334_296 Depth=1
	v_bfrev_b32_e32 v64, 1
	s_mov_b32 s14, exec_lo
	v_cmpx_ne_u16_e32 0x80, v14
	s_cbranch_execz .LBB334_503
; %bb.498:                              ;   in Loop: Header=BB334_296 Depth=1
	v_bfe_u32 v66, v20, 16, 7
	v_mov_b32_e32 v64, 0x7f800001
	s_mov_b32 s15, exec_lo
	s_delay_alu instid0(VALU_DEP_2)
	v_cmpx_ne_u32_e32 0x7f, v66
	s_cbranch_execz .LBB334_502
; %bb.499:                              ;   in Loop: Header=BB334_296 Depth=1
	v_and_b32_e32 v14, 7, v22
	v_lshrrev_b32_e32 v23, 3, v66
	s_mov_b32 s16, exec_lo
	v_cmpx_gt_u32_e32 8, v66
; %bb.500:                              ;   in Loop: Header=BB334_296 Depth=1
	s_delay_alu instid0(VALU_DEP_3) | instskip(NEXT) | instid1(VALU_DEP_1)
	v_clz_i32_u32_e32 v23, v14
	v_min_u32_e32 v23, 32, v23
	s_delay_alu instid0(VALU_DEP_1) | instskip(NEXT) | instid1(VALU_DEP_1)
	v_subrev_nc_u32_e32 v64, 28, v23
	v_lshlrev_b64_e32 v[66:67], v64, v[14:15]
	s_delay_alu instid0(VALU_DEP_1)
	v_dual_sub_nc_u32 v23, 29, v23 :: v_dual_bitop2_b32 v14, 7, v66 bitop3:0x40
; %bb.501:                              ;   in Loop: Header=BB334_296 Depth=1
	s_or_b32 exec_lo, exec_lo, s16
	v_lshlrev_b32_e32 v22, 24, v22
	s_delay_alu instid0(VALU_DEP_2) | instskip(NEXT) | instid1(VALU_DEP_3)
	v_lshlrev_b32_e32 v14, 20, v14
	v_lshl_add_u32 v23, v23, 23, 0x3c000000
	s_delay_alu instid0(VALU_DEP_3) | instskip(NEXT) | instid1(VALU_DEP_1)
	v_and_b32_e32 v22, 0x80000000, v22
	v_or3_b32 v64, v14, v22, v23
.LBB334_502:                            ;   in Loop: Header=BB334_296 Depth=1
	s_or_b32 exec_lo, exec_lo, s15
.LBB334_503:                            ;   in Loop: Header=BB334_296 Depth=1
	s_delay_alu instid0(SALU_CYCLE_1)
	s_or_b32 exec_lo, exec_lo, s14
.LBB334_504:                            ;   in Loop: Header=BB334_296 Depth=1
	s_delay_alu instid0(SALU_CYCLE_1) | instskip(NEXT) | instid1(SALU_CYCLE_1)
	s_or_b32 exec_lo, exec_lo, s11
	s_mov_b32 s11, exec_lo
	v_cmpx_lt_u32_e32 0xffffff, v20
	s_cbranch_execz .LBB334_512
; %bb.505:                              ;   in Loop: Header=BB334_296 Depth=1
	v_lshrrev_b32_e32 v22, 24, v20
	v_bfrev_b32_e32 v65, 1
	s_mov_b32 s14, exec_lo
	s_delay_alu instid0(VALU_DEP_2)
	v_cmpx_ne_u32_e32 0x80, v22
	s_cbranch_execz .LBB334_511
; %bb.506:                              ;   in Loop: Header=BB334_296 Depth=1
	v_bfe_u32 v66, v20, 24, 7
	v_mov_b32_e32 v65, 0x7f800001
	s_mov_b32 s15, exec_lo
	s_delay_alu instid0(VALU_DEP_2)
	v_cmpx_ne_u32_e32 0x7f, v66
	s_cbranch_execz .LBB334_510
; %bb.507:                              ;   in Loop: Header=BB334_296 Depth=1
	v_and_b32_e32 v14, 7, v22
	v_lshrrev_b32_e32 v23, 3, v66
	s_mov_b32 s16, exec_lo
	v_cmpx_gt_u32_e32 8, v66
; %bb.508:                              ;   in Loop: Header=BB334_296 Depth=1
	s_delay_alu instid0(VALU_DEP_3) | instskip(NEXT) | instid1(VALU_DEP_1)
	v_clz_i32_u32_e32 v23, v14
	v_min_u32_e32 v23, 32, v23
	s_delay_alu instid0(VALU_DEP_1) | instskip(NEXT) | instid1(VALU_DEP_1)
	v_subrev_nc_u32_e32 v65, 28, v23
	v_lshlrev_b64_e32 v[66:67], v65, v[14:15]
	s_delay_alu instid0(VALU_DEP_1)
	v_dual_sub_nc_u32 v23, 29, v23 :: v_dual_bitop2_b32 v14, 7, v66 bitop3:0x40
; %bb.509:                              ;   in Loop: Header=BB334_296 Depth=1
	s_or_b32 exec_lo, exec_lo, s16
	v_lshlrev_b32_e32 v22, 24, v22
	s_delay_alu instid0(VALU_DEP_2) | instskip(NEXT) | instid1(VALU_DEP_3)
	v_lshlrev_b32_e32 v14, 20, v14
	v_lshl_add_u32 v23, v23, 23, 0x3c000000
	s_delay_alu instid0(VALU_DEP_3) | instskip(NEXT) | instid1(VALU_DEP_1)
	v_and_b32_e32 v22, 0x80000000, v22
	v_or3_b32 v65, v14, v22, v23
.LBB334_510:                            ;   in Loop: Header=BB334_296 Depth=1
	s_or_b32 exec_lo, exec_lo, s15
.LBB334_511:                            ;   in Loop: Header=BB334_296 Depth=1
	s_delay_alu instid0(SALU_CYCLE_1)
	s_or_b32 exec_lo, exec_lo, s14
.LBB334_512:                            ;   in Loop: Header=BB334_296 Depth=1
	s_delay_alu instid0(SALU_CYCLE_1) | instskip(SKIP_4) | instid1(VALU_DEP_3)
	s_or_b32 exec_lo, exec_lo, s11
	v_and_b32_e32 v23, 0xff, v21
	v_dual_mov_b32 v14, v21 :: v_dual_mov_b32 v22, 0
	v_mov_b32_e32 v66, 0
	s_mov_b32 s11, exec_lo
	v_cmpx_ne_u16_e32 0, v23
	s_cbranch_execz .LBB334_518
; %bb.513:                              ;   in Loop: Header=BB334_296 Depth=1
	v_bfrev_b32_e32 v66, 1
	s_mov_b32 s14, exec_lo
	v_cmpx_ne_u16_e32 0x80, v23
	s_cbranch_execz .LBB334_517
; %bb.514:                              ;   in Loop: Header=BB334_296 Depth=1
	v_and_b32_e32 v23, 0x7f, v21
	v_mov_b32_e32 v66, 0x7f800001
	s_mov_b32 s15, exec_lo
	s_delay_alu instid0(VALU_DEP_2)
	v_cmpx_ne_u32_e32 0x7f, v23
	s_cbranch_execz .LBB334_516
; %bb.515:                              ;   in Loop: Header=BB334_296 Depth=1
	v_dual_lshrrev_b32 v67, 3, v23 :: v_dual_bitop2_b32 v66, 7, v21 bitop3:0x40
	v_cmp_gt_u32_e64 s0, 8, v23
	s_delay_alu instid0(VALU_DEP_2) | instskip(NEXT) | instid1(VALU_DEP_1)
	v_clz_i32_u32_e32 v66, v66
	v_min_u32_e32 v66, 32, v66
	s_delay_alu instid0(VALU_DEP_1) | instskip(SKIP_1) | instid1(VALU_DEP_1)
	v_subrev_nc_u32_e32 v68, 28, v66
	v_sub_nc_u32_e32 v66, 29, v66
	v_dual_cndmask_b32 v23, v67, v66, s0 :: v_dual_cndmask_b32 v66, 0, v68, s0
	s_delay_alu instid0(VALU_DEP_1) | instskip(NEXT) | instid1(VALU_DEP_2)
	v_lshl_add_u32 v23, v23, 23, 0x3c000000
	v_lshlrev_b64_e32 v[66:67], v66, v[14:15]
	v_lshlrev_b32_e32 v67, 24, v14
	s_delay_alu instid0(VALU_DEP_1) | instskip(NEXT) | instid1(VALU_DEP_3)
	v_and_b32_e32 v67, 0x80000000, v67
	v_lshlrev_b32_e32 v66, 20, v66
	s_delay_alu instid0(VALU_DEP_1) | instskip(NEXT) | instid1(VALU_DEP_1)
	v_and_b32_e32 v66, 0x700000, v66
	v_or3_b32 v66, v66, v67, v23
.LBB334_516:                            ;   in Loop: Header=BB334_296 Depth=1
	s_or_b32 exec_lo, exec_lo, s15
.LBB334_517:                            ;   in Loop: Header=BB334_296 Depth=1
	s_delay_alu instid0(SALU_CYCLE_1)
	s_or_b32 exec_lo, exec_lo, s14
.LBB334_518:                            ;   in Loop: Header=BB334_296 Depth=1
	s_delay_alu instid0(SALU_CYCLE_1) | instskip(SKIP_2) | instid1(VALU_DEP_1)
	s_or_b32 exec_lo, exec_lo, s11
	v_lshrrev_b16 v23, 8, v14
	s_mov_b32 s11, exec_lo
	v_cmpx_ne_u16_e32 0, v23
	s_cbranch_execz .LBB334_526
; %bb.519:                              ;   in Loop: Header=BB334_296 Depth=1
	v_bfrev_b32_e32 v22, 1
	s_mov_b32 s14, exec_lo
	v_cmpx_ne_u16_e32 0x80, v23
	s_cbranch_execz .LBB334_525
; %bb.520:                              ;   in Loop: Header=BB334_296 Depth=1
	v_and_b32_e32 v23, 0xffff, v23
	v_mov_b32_e32 v22, 0x7f800001
	s_mov_b32 s15, exec_lo
	s_delay_alu instid0(VALU_DEP_2) | instskip(NEXT) | instid1(VALU_DEP_1)
	v_and_b32_e32 v68, 0x7f, v23
	v_cmpx_ne_u32_e32 0x7f, v68
	s_cbranch_execz .LBB334_524
; %bb.521:                              ;   in Loop: Header=BB334_296 Depth=1
	v_dual_mov_b32 v23, v15 :: v_dual_bitop2_b32 v22, 7, v23 bitop3:0x40
	v_lshrrev_b32_e32 v67, 3, v68
	s_mov_b32 s16, exec_lo
	v_cmpx_gt_u32_e32 8, v68
; %bb.522:                              ;   in Loop: Header=BB334_296 Depth=1
	s_delay_alu instid0(VALU_DEP_3) | instskip(NEXT) | instid1(VALU_DEP_1)
	v_clz_i32_u32_e32 v67, v22
	v_min_u32_e32 v67, 32, v67
	s_delay_alu instid0(VALU_DEP_1) | instskip(NEXT) | instid1(VALU_DEP_1)
	v_subrev_nc_u32_e32 v68, 28, v67
	v_lshlrev_b64_e32 v[22:23], v68, v[22:23]
	s_delay_alu instid0(VALU_DEP_1)
	v_dual_sub_nc_u32 v67, 29, v67 :: v_dual_bitop2_b32 v22, 7, v22 bitop3:0x40
; %bb.523:                              ;   in Loop: Header=BB334_296 Depth=1
	s_or_b32 exec_lo, exec_lo, s16
	v_lshlrev_b32_e32 v14, 16, v14
	s_delay_alu instid0(VALU_DEP_2) | instskip(NEXT) | instid1(VALU_DEP_3)
	v_lshlrev_b32_e32 v22, 20, v22
	v_lshl_add_u32 v23, v67, 23, 0x3c000000
	s_delay_alu instid0(VALU_DEP_3) | instskip(NEXT) | instid1(VALU_DEP_1)
	v_and_b32_e32 v14, 0x80000000, v14
	v_or3_b32 v22, v22, v14, v23
.LBB334_524:                            ;   in Loop: Header=BB334_296 Depth=1
	s_or_b32 exec_lo, exec_lo, s15
.LBB334_525:                            ;   in Loop: Header=BB334_296 Depth=1
	s_delay_alu instid0(SALU_CYCLE_1)
	s_or_b32 exec_lo, exec_lo, s14
.LBB334_526:                            ;   in Loop: Header=BB334_296 Depth=1
	s_delay_alu instid0(SALU_CYCLE_1) | instskip(SKIP_3) | instid1(VALU_DEP_2)
	s_or_b32 exec_lo, exec_lo, s11
	v_dual_mov_b32 v23, 0 :: v_dual_lshrrev_b32 v68, 16, v21
	v_mov_b32_e32 v67, 0
	s_mov_b32 s11, exec_lo
	v_and_b32_e32 v14, 0xff, v68
	s_delay_alu instid0(VALU_DEP_1)
	v_cmpx_ne_u16_e32 0, v14
	s_cbranch_execz .LBB334_534
; %bb.527:                              ;   in Loop: Header=BB334_296 Depth=1
	v_bfrev_b32_e32 v67, 1
	s_mov_b32 s14, exec_lo
	v_cmpx_ne_u16_e32 0x80, v14
	s_cbranch_execz .LBB334_533
; %bb.528:                              ;   in Loop: Header=BB334_296 Depth=1
	v_bfe_u32 v69, v21, 16, 7
	v_mov_b32_e32 v67, 0x7f800001
	s_mov_b32 s15, exec_lo
	s_delay_alu instid0(VALU_DEP_2)
	v_cmpx_ne_u32_e32 0x7f, v69
	s_cbranch_execz .LBB334_532
; %bb.529:                              ;   in Loop: Header=BB334_296 Depth=1
	v_dual_lshrrev_b32 v67, 3, v69 :: v_dual_bitop2_b32 v14, 7, v68 bitop3:0x40
	s_mov_b32 s16, exec_lo
	v_cmpx_gt_u32_e32 8, v69
; %bb.530:                              ;   in Loop: Header=BB334_296 Depth=1
	s_delay_alu instid0(VALU_DEP_2) | instskip(NEXT) | instid1(VALU_DEP_1)
	v_clz_i32_u32_e32 v67, v14
	v_min_u32_e32 v67, 32, v67
	s_delay_alu instid0(VALU_DEP_1) | instskip(NEXT) | instid1(VALU_DEP_1)
	v_subrev_nc_u32_e32 v69, 28, v67
	v_lshlrev_b64_e32 v[70:71], v69, v[14:15]
	s_delay_alu instid0(VALU_DEP_1)
	v_dual_sub_nc_u32 v67, 29, v67 :: v_dual_bitop2_b32 v14, 7, v70 bitop3:0x40
; %bb.531:                              ;   in Loop: Header=BB334_296 Depth=1
	s_or_b32 exec_lo, exec_lo, s16
	s_delay_alu instid0(VALU_DEP_1) | instskip(NEXT) | instid1(VALU_DEP_2)
	v_dual_lshlrev_b32 v68, 24, v68 :: v_dual_lshlrev_b32 v14, 20, v14
	v_lshl_add_u32 v67, v67, 23, 0x3c000000
	s_delay_alu instid0(VALU_DEP_2) | instskip(NEXT) | instid1(VALU_DEP_1)
	v_and_b32_e32 v68, 0x80000000, v68
	v_or3_b32 v67, v14, v68, v67
.LBB334_532:                            ;   in Loop: Header=BB334_296 Depth=1
	s_or_b32 exec_lo, exec_lo, s15
.LBB334_533:                            ;   in Loop: Header=BB334_296 Depth=1
	s_delay_alu instid0(SALU_CYCLE_1)
	s_or_b32 exec_lo, exec_lo, s14
.LBB334_534:                            ;   in Loop: Header=BB334_296 Depth=1
	s_delay_alu instid0(SALU_CYCLE_1) | instskip(NEXT) | instid1(SALU_CYCLE_1)
	s_or_b32 exec_lo, exec_lo, s11
	s_mov_b32 s11, exec_lo
	v_cmpx_lt_u64_e64 s[2:3], v[20:21]
	s_cbranch_execz .LBB334_542
; %bb.535:                              ;   in Loop: Header=BB334_296 Depth=1
	v_lshrrev_b32_e32 v20, 24, v21
	v_bfrev_b32_e32 v23, 1
	s_mov_b32 s14, exec_lo
	s_delay_alu instid0(VALU_DEP_2)
	v_cmpx_ne_u32_e32 0x80, v20
	s_cbranch_execz .LBB334_541
; %bb.536:                              ;   in Loop: Header=BB334_296 Depth=1
	v_bfe_u32 v68, v21, 24, 7
	v_mov_b32_e32 v23, 0x7f800001
	s_mov_b32 s15, exec_lo
	s_delay_alu instid0(VALU_DEP_2)
	v_cmpx_ne_u32_e32 0x7f, v68
	s_cbranch_execz .LBB334_540
; %bb.537:                              ;   in Loop: Header=BB334_296 Depth=1
	v_and_b32_e32 v14, 7, v20
	v_lshrrev_b32_e32 v21, 3, v68
	s_mov_b32 s16, exec_lo
	v_cmpx_gt_u32_e32 8, v68
; %bb.538:                              ;   in Loop: Header=BB334_296 Depth=1
	s_delay_alu instid0(VALU_DEP_3) | instskip(NEXT) | instid1(VALU_DEP_1)
	v_clz_i32_u32_e32 v21, v14
	v_min_u32_e32 v21, 32, v21
	s_delay_alu instid0(VALU_DEP_1) | instskip(NEXT) | instid1(VALU_DEP_1)
	v_subrev_nc_u32_e32 v23, 28, v21
	v_lshlrev_b64_e32 v[68:69], v23, v[14:15]
	s_delay_alu instid0(VALU_DEP_1)
	v_dual_sub_nc_u32 v21, 29, v21 :: v_dual_bitop2_b32 v14, 7, v68 bitop3:0x40
; %bb.539:                              ;   in Loop: Header=BB334_296 Depth=1
	s_or_b32 exec_lo, exec_lo, s16
	s_delay_alu instid0(VALU_DEP_1) | instskip(NEXT) | instid1(VALU_DEP_2)
	v_dual_lshlrev_b32 v20, 24, v20 :: v_dual_lshlrev_b32 v14, 20, v14
	v_lshl_add_u32 v21, v21, 23, 0x3c000000
	s_delay_alu instid0(VALU_DEP_2) | instskip(NEXT) | instid1(VALU_DEP_1)
	v_and_b32_e32 v20, 0x80000000, v20
	v_or3_b32 v23, v14, v20, v21
.LBB334_540:                            ;   in Loop: Header=BB334_296 Depth=1
	s_or_b32 exec_lo, exec_lo, s15
.LBB334_541:                            ;   in Loop: Header=BB334_296 Depth=1
	s_delay_alu instid0(SALU_CYCLE_1)
	s_or_b32 exec_lo, exec_lo, s14
.LBB334_542:                            ;   in Loop: Header=BB334_296 Depth=1
	s_delay_alu instid0(SALU_CYCLE_1)
	s_or_b32 exec_lo, exec_lo, s11
	v_fma_mixlo_bf16 v14, s6, v22, 0
	v_fma_mixlo_bf16 v20, s6, v66, 0
	;; [unrolled: 1-line block ×8, first 2 shown]
	s_and_saveexec_b32 s0, vcc_lo
	s_cbranch_execz .LBB334_295
; %bb.543:                              ;   in Loop: Header=BB334_296 Depth=1
	v_cmp_gt_i32_e32 vcc_lo, s23, v41
	v_cndmask_b32_e32 v62, 0, v62, vcc_lo
	v_cmp_gt_i32_e32 vcc_lo, s23, v47
	v_cndmask_b32_e32 v63, 0, v63, vcc_lo
	;; [unrolled: 2-line block ×8, first 2 shown]
	s_branch .LBB334_295
.LBB334_544:
	s_or_b32 exec_lo, exec_lo, s9
.LBB334_545:
	s_delay_alu instid0(SALU_CYCLE_1)
	s_or_b32 exec_lo, exec_lo, s1
	ds_bpermute_b32 v2, v29, v12
	ds_bpermute_b32 v3, v29, v13
	;; [unrolled: 1-line block ×4, first 2 shown]
	v_and_b32_e32 v7, 0x3c1, v0
	v_lshrrev_b32_e32 v6, 1, v28
	s_mov_b32 s0, exec_lo
	s_wait_dscnt 0x0
	s_barrier_signal -1
	s_barrier_wait -1
	v_pk_add_f32 v[2:3], v[12:13], v[2:3]
	v_cmpx_ne_u32_e32 64, v7
	s_xor_b32 s0, exec_lo, s0
	s_delay_alu instid0(SALU_CYCLE_1)
	s_or_saveexec_b32 s0, s0
	v_pk_add_f32 v[4:5], v[10:11], v[4:5]
	v_lshl_add_u32 v7, v6, 2, 0xa0
	v_lshlrev_b32_e32 v8, 8, v27
	s_xor_b32 exec_lo, exec_lo, s0
	s_cbranch_execz .LBB334_547
; %bb.546:
	s_delay_alu instid0(VALU_DEP_1) | instskip(NEXT) | instid1(VALU_DEP_1)
	v_add_nc_u32_e32 v9, v7, v8
	v_add_nc_u32_e32 v10, 0xfffffe00, v9
	;; [unrolled: 1-line block ×5, first 2 shown]
	ds_store_b32 v10, v2
	ds_store_b32 v11, v3
	;; [unrolled: 1-line block ×4, first 2 shown]
.LBB334_547:
	s_or_b32 exec_lo, exec_lo, s0
	v_lshlrev_b32_e32 v6, 2, v6
	s_mov_b32 s1, exec_lo
	v_cmp_eq_u32_e32 vcc_lo, 0, v26
	s_wait_dscnt 0x0
	s_barrier_signal -1
	v_add3_u32 v6, 0xa0, v8, v6
	s_barrier_wait -1
	v_cmpx_gt_u32_e32 64, v0
	s_cbranch_execz .LBB334_554
; %bb.548:
	s_and_saveexec_b32 s0, vcc_lo
	s_cbranch_execnz .LBB334_566
; %bb.549:
	s_or_b32 exec_lo, exec_lo, s0
	s_and_saveexec_b32 s0, vcc_lo
	s_cbranch_execnz .LBB334_567
.LBB334_550:
	s_or_b32 exec_lo, exec_lo, s0
	s_and_saveexec_b32 s0, vcc_lo
	s_cbranch_execnz .LBB334_568
.LBB334_551:
	s_or_b32 exec_lo, exec_lo, s0
	s_and_saveexec_b32 s0, vcc_lo
	s_cbranch_execz .LBB334_553
.LBB334_552:
	ds_load_b32 v8, v6 offset:192
	s_wait_dscnt 0x0
	v_add_f32_e32 v5, v5, v8
.LBB334_553:
	s_or_b32 exec_lo, exec_lo, s0
.LBB334_554:
	s_delay_alu instid0(SALU_CYCLE_1) | instskip(SKIP_4) | instid1(VALU_DEP_1)
	s_or_b32 exec_lo, exec_lo, s1
	v_and_b32_e32 v8, 0x3e1, v0
	s_mov_b32 s1, exec_lo
	s_barrier_signal -1
	s_barrier_wait -1
	v_cmpx_eq_u32_e32 32, v8
	s_cbranch_execz .LBB334_556
; %bb.555:
	ds_store_2addr_b32 v7, v2, v3 offset1:16
	ds_store_2addr_b32 v7, v4, v5 offset0:32 offset1:48
.LBB334_556:
	s_or_b32 exec_lo, exec_lo, s1
	s_delay_alu instid0(SALU_CYCLE_1)
	s_mov_b32 s1, exec_lo
	s_wait_dscnt 0x0
	s_barrier_signal -1
	s_barrier_wait -1
	v_cmpx_gt_u32_e32 32, v0
	s_cbranch_execz .LBB334_563
; %bb.557:
	s_and_saveexec_b32 s0, vcc_lo
	s_cbranch_execnz .LBB334_569
; %bb.558:
	s_or_b32 exec_lo, exec_lo, s0
	s_and_saveexec_b32 s0, vcc_lo
	s_cbranch_execnz .LBB334_570
.LBB334_559:
	s_or_b32 exec_lo, exec_lo, s0
	s_and_saveexec_b32 s0, vcc_lo
	s_cbranch_execnz .LBB334_571
.LBB334_560:
	s_or_b32 exec_lo, exec_lo, s0
	s_and_saveexec_b32 s0, vcc_lo
	s_cbranch_execz .LBB334_562
.LBB334_561:
	ds_load_b32 v0, v6 offset:192
	s_wait_dscnt 0x0
	v_add_f32_e32 v5, v5, v0
.LBB334_562:
	s_or_b32 exec_lo, exec_lo, s0
.LBB334_563:
	s_delay_alu instid0(SALU_CYCLE_1)
	s_or_b32 exec_lo, exec_lo, s1
	s_mov_b32 s1, 0
	s_barrier_signal -1
	s_barrier_wait -1
	s_mov_b32 s0, exec_lo
	v_cmpx_eq_u32_e32 0, v8
	s_cbranch_execz .LBB334_565
; %bb.564:
	s_mul_i32 s0, s22, s8
	s_mul_i32 s2, s8, s12
	;; [unrolled: 1-line block ×3, first 2 shown]
	s_lshr_b32 s8, ttmp7, 16
	s_lshl_b32 s6, s0, 6
	s_bfe_u32 s0, ttmp6, 0x40014
	s_ashr_i32 s7, s6, 31
	s_add_co_i32 s0, s0, 1
	s_ashr_i32 s3, s2, 31
	s_mul_i32 s0, s8, s0
	s_bfe_u32 s9, ttmp6, 0x40008
	s_lshl_b64 s[6:7], s[6:7], 1
	s_lshl_b64 s[2:3], s[2:3], 1
	s_add_co_i32 s9, s9, s0
	s_cmp_eq_u32 s20, 0
	s_wait_kmcnt 0x0
	s_add_nc_u64 s[4:5], s[4:5], s[6:7]
	s_cselect_b32 s0, s8, s9
	s_add_nc_u64 s[2:3], s[4:5], s[2:3]
	s_lshl_b32 s0, s0, 7
	s_delay_alu instid0(SALU_CYCLE_1) | instskip(NEXT) | instid1(SALU_CYCLE_1)
	s_add_nc_u64 s[0:1], s[2:3], s[0:1]
	v_cvt_pk_bf16_f32 v0, v2, s0
	v_cvt_pk_bf16_f32 v2, v3, s0
	;; [unrolled: 1-line block ×4, first 2 shown]
	s_clause 0x3
	global_store_b16 v1, v0, s[0:1] scale_offset
	global_store_b16 v1, v2, s[0:1] offset:32 scale_offset
	global_store_b16 v1, v3, s[0:1] offset:64 scale_offset
	;; [unrolled: 1-line block ×3, first 2 shown]
.LBB334_565:
	s_sendmsg sendmsg(MSG_DEALLOC_VGPRS)
	s_endpgm
.LBB334_566:
	ds_load_b32 v8, v6
	s_wait_dscnt 0x0
	v_add_f32_e32 v2, v2, v8
	s_or_b32 exec_lo, exec_lo, s0
	s_and_saveexec_b32 s0, vcc_lo
	s_cbranch_execz .LBB334_550
.LBB334_567:
	ds_load_b32 v8, v6 offset:64
	s_wait_dscnt 0x0
	v_add_f32_e32 v3, v3, v8
	s_or_b32 exec_lo, exec_lo, s0
	s_and_saveexec_b32 s0, vcc_lo
	s_cbranch_execz .LBB334_551
.LBB334_568:
	ds_load_b32 v8, v6 offset:128
	s_wait_dscnt 0x0
	v_add_f32_e32 v4, v4, v8
	s_or_b32 exec_lo, exec_lo, s0
	s_and_saveexec_b32 s0, vcc_lo
	s_cbranch_execnz .LBB334_552
	s_branch .LBB334_553
.LBB334_569:
	ds_load_b32 v0, v6
	s_wait_dscnt 0x0
	v_add_f32_e32 v2, v2, v0
	s_or_b32 exec_lo, exec_lo, s0
	s_and_saveexec_b32 s0, vcc_lo
	s_cbranch_execz .LBB334_559
.LBB334_570:
	ds_load_b32 v0, v6 offset:64
	s_wait_dscnt 0x0
	v_add_f32_e32 v3, v3, v0
	s_or_b32 exec_lo, exec_lo, s0
	s_and_saveexec_b32 s0, vcc_lo
	s_cbranch_execz .LBB334_560
.LBB334_571:
	ds_load_b32 v0, v6 offset:128
	s_wait_dscnt 0x0
	v_add_f32_e32 v4, v4, v0
	s_or_b32 exec_lo, exec_lo, s0
	s_and_saveexec_b32 s0, vcc_lo
	s_cbranch_execnz .LBB334_561
	s_branch .LBB334_562
	.section	.rodata,"a",@progbits
	.p2align	6, 0x0
	.amdhsa_kernel _ZN4vllm25paged_attention_v1_kernelI14__hip_bfloat16hLi64ELi16ELi128ELNS_18Fp8KVCacheDataTypeE1ELb0EEEvPT_PKS3_PKT0_S9_ifPKiSB_iPKfiiiSD_SD_iiiii
		.amdhsa_group_segment_fixed_size 160
		.amdhsa_private_segment_fixed_size 0
		.amdhsa_kernarg_size 384
		.amdhsa_user_sgpr_count 2
		.amdhsa_user_sgpr_dispatch_ptr 0
		.amdhsa_user_sgpr_queue_ptr 0
		.amdhsa_user_sgpr_kernarg_segment_ptr 1
		.amdhsa_user_sgpr_dispatch_id 0
		.amdhsa_user_sgpr_kernarg_preload_length 0
		.amdhsa_user_sgpr_kernarg_preload_offset 0
		.amdhsa_user_sgpr_private_segment_size 0
		.amdhsa_wavefront_size32 1
		.amdhsa_uses_dynamic_stack 0
		.amdhsa_enable_private_segment 0
		.amdhsa_system_sgpr_workgroup_id_x 1
		.amdhsa_system_sgpr_workgroup_id_y 1
		.amdhsa_system_sgpr_workgroup_id_z 1
		.amdhsa_system_sgpr_workgroup_info 0
		.amdhsa_system_vgpr_workitem_id 0
		.amdhsa_next_free_vgpr 86
		.amdhsa_next_free_sgpr 31
		.amdhsa_named_barrier_count 0
		.amdhsa_reserve_vcc 1
		.amdhsa_float_round_mode_32 0
		.amdhsa_float_round_mode_16_64 0
		.amdhsa_float_denorm_mode_32 3
		.amdhsa_float_denorm_mode_16_64 3
		.amdhsa_fp16_overflow 0
		.amdhsa_memory_ordered 1
		.amdhsa_forward_progress 1
		.amdhsa_inst_pref_size 158
		.amdhsa_round_robin_scheduling 0
		.amdhsa_exception_fp_ieee_invalid_op 0
		.amdhsa_exception_fp_denorm_src 0
		.amdhsa_exception_fp_ieee_div_zero 0
		.amdhsa_exception_fp_ieee_overflow 0
		.amdhsa_exception_fp_ieee_underflow 0
		.amdhsa_exception_fp_ieee_inexact 0
		.amdhsa_exception_int_div_zero 0
	.end_amdhsa_kernel
	.section	.text._ZN4vllm25paged_attention_v1_kernelI14__hip_bfloat16hLi64ELi16ELi128ELNS_18Fp8KVCacheDataTypeE1ELb0EEEvPT_PKS3_PKT0_S9_ifPKiSB_iPKfiiiSD_SD_iiiii,"axG",@progbits,_ZN4vllm25paged_attention_v1_kernelI14__hip_bfloat16hLi64ELi16ELi128ELNS_18Fp8KVCacheDataTypeE1ELb0EEEvPT_PKS3_PKT0_S9_ifPKiSB_iPKfiiiSD_SD_iiiii,comdat
.Lfunc_end334:
	.size	_ZN4vllm25paged_attention_v1_kernelI14__hip_bfloat16hLi64ELi16ELi128ELNS_18Fp8KVCacheDataTypeE1ELb0EEEvPT_PKS3_PKT0_S9_ifPKiSB_iPKfiiiSD_SD_iiiii, .Lfunc_end334-_ZN4vllm25paged_attention_v1_kernelI14__hip_bfloat16hLi64ELi16ELi128ELNS_18Fp8KVCacheDataTypeE1ELb0EEEvPT_PKS3_PKT0_S9_ifPKiSB_iPKfiiiSD_SD_iiiii
                                        ; -- End function
	.set _ZN4vllm25paged_attention_v1_kernelI14__hip_bfloat16hLi64ELi16ELi128ELNS_18Fp8KVCacheDataTypeE1ELb0EEEvPT_PKS3_PKT0_S9_ifPKiSB_iPKfiiiSD_SD_iiiii.num_vgpr, 86
	.set _ZN4vllm25paged_attention_v1_kernelI14__hip_bfloat16hLi64ELi16ELi128ELNS_18Fp8KVCacheDataTypeE1ELb0EEEvPT_PKS3_PKT0_S9_ifPKiSB_iPKfiiiSD_SD_iiiii.num_agpr, 0
	.set _ZN4vllm25paged_attention_v1_kernelI14__hip_bfloat16hLi64ELi16ELi128ELNS_18Fp8KVCacheDataTypeE1ELb0EEEvPT_PKS3_PKT0_S9_ifPKiSB_iPKfiiiSD_SD_iiiii.numbered_sgpr, 31
	.set _ZN4vllm25paged_attention_v1_kernelI14__hip_bfloat16hLi64ELi16ELi128ELNS_18Fp8KVCacheDataTypeE1ELb0EEEvPT_PKS3_PKT0_S9_ifPKiSB_iPKfiiiSD_SD_iiiii.num_named_barrier, 0
	.set _ZN4vllm25paged_attention_v1_kernelI14__hip_bfloat16hLi64ELi16ELi128ELNS_18Fp8KVCacheDataTypeE1ELb0EEEvPT_PKS3_PKT0_S9_ifPKiSB_iPKfiiiSD_SD_iiiii.private_seg_size, 0
	.set _ZN4vllm25paged_attention_v1_kernelI14__hip_bfloat16hLi64ELi16ELi128ELNS_18Fp8KVCacheDataTypeE1ELb0EEEvPT_PKS3_PKT0_S9_ifPKiSB_iPKfiiiSD_SD_iiiii.uses_vcc, 1
	.set _ZN4vllm25paged_attention_v1_kernelI14__hip_bfloat16hLi64ELi16ELi128ELNS_18Fp8KVCacheDataTypeE1ELb0EEEvPT_PKS3_PKT0_S9_ifPKiSB_iPKfiiiSD_SD_iiiii.uses_flat_scratch, 0
	.set _ZN4vllm25paged_attention_v1_kernelI14__hip_bfloat16hLi64ELi16ELi128ELNS_18Fp8KVCacheDataTypeE1ELb0EEEvPT_PKS3_PKT0_S9_ifPKiSB_iPKfiiiSD_SD_iiiii.has_dyn_sized_stack, 0
	.set _ZN4vllm25paged_attention_v1_kernelI14__hip_bfloat16hLi64ELi16ELi128ELNS_18Fp8KVCacheDataTypeE1ELb0EEEvPT_PKS3_PKT0_S9_ifPKiSB_iPKfiiiSD_SD_iiiii.has_recursion, 0
	.set _ZN4vllm25paged_attention_v1_kernelI14__hip_bfloat16hLi64ELi16ELi128ELNS_18Fp8KVCacheDataTypeE1ELb0EEEvPT_PKS3_PKT0_S9_ifPKiSB_iPKfiiiSD_SD_iiiii.has_indirect_call, 0
	.section	.AMDGPU.csdata,"",@progbits
; Kernel info:
; codeLenInByte = 20164
; TotalNumSgprs: 33
; NumVgprs: 86
; ScratchSize: 0
; MemoryBound: 0
; FloatMode: 240
; IeeeMode: 1
; LDSByteSize: 160 bytes/workgroup (compile time only)
; SGPRBlocks: 0
; VGPRBlocks: 5
; NumSGPRsForWavesPerEU: 33
; NumVGPRsForWavesPerEU: 86
; NamedBarCnt: 0
; Occupancy: 10
; WaveLimiterHint : 1
; COMPUTE_PGM_RSRC2:SCRATCH_EN: 0
; COMPUTE_PGM_RSRC2:USER_SGPR: 2
; COMPUTE_PGM_RSRC2:TRAP_HANDLER: 0
; COMPUTE_PGM_RSRC2:TGID_X_EN: 1
; COMPUTE_PGM_RSRC2:TGID_Y_EN: 1
; COMPUTE_PGM_RSRC2:TGID_Z_EN: 1
; COMPUTE_PGM_RSRC2:TIDIG_COMP_CNT: 0
	.section	.text._ZN4vllm25paged_attention_v1_kernelI14__hip_bfloat16hLi80ELi16ELi128ELNS_18Fp8KVCacheDataTypeE1ELb0EEEvPT_PKS3_PKT0_S9_ifPKiSB_iPKfiiiSD_SD_iiiii,"axG",@progbits,_ZN4vllm25paged_attention_v1_kernelI14__hip_bfloat16hLi80ELi16ELi128ELNS_18Fp8KVCacheDataTypeE1ELb0EEEvPT_PKS3_PKT0_S9_ifPKiSB_iPKfiiiSD_SD_iiiii,comdat
	.protected	_ZN4vllm25paged_attention_v1_kernelI14__hip_bfloat16hLi80ELi16ELi128ELNS_18Fp8KVCacheDataTypeE1ELb0EEEvPT_PKS3_PKT0_S9_ifPKiSB_iPKfiiiSD_SD_iiiii ; -- Begin function _ZN4vllm25paged_attention_v1_kernelI14__hip_bfloat16hLi80ELi16ELi128ELNS_18Fp8KVCacheDataTypeE1ELb0EEEvPT_PKS3_PKT0_S9_ifPKiSB_iPKfiiiSD_SD_iiiii
	.globl	_ZN4vllm25paged_attention_v1_kernelI14__hip_bfloat16hLi80ELi16ELi128ELNS_18Fp8KVCacheDataTypeE1ELb0EEEvPT_PKS3_PKT0_S9_ifPKiSB_iPKfiiiSD_SD_iiiii
	.p2align	8
	.type	_ZN4vllm25paged_attention_v1_kernelI14__hip_bfloat16hLi80ELi16ELi128ELNS_18Fp8KVCacheDataTypeE1ELb0EEEvPT_PKS3_PKT0_S9_ifPKiSB_iPKfiiiSD_SD_iiiii,@function
_ZN4vllm25paged_attention_v1_kernelI14__hip_bfloat16hLi80ELi16ELi128ELNS_18Fp8KVCacheDataTypeE1ELb0EEEvPT_PKS3_PKT0_S9_ifPKiSB_iPKfiiiSD_SD_iiiii: ; @_ZN4vllm25paged_attention_v1_kernelI14__hip_bfloat16hLi80ELi16ELi128ELNS_18Fp8KVCacheDataTypeE1ELb0EEEvPT_PKS3_PKT0_S9_ifPKiSB_iPKfiiiSD_SD_iiiii
; %bb.0:
	s_load_b64 s[18:19], s[0:1], 0x20
	s_bfe_u32 s3, ttmp6, 0x4000c
	s_bfe_u32 s5, ttmp6, 0x40010
	s_and_b32 s4, ttmp7, 0xffff
	s_add_co_i32 s3, s3, 1
	s_add_co_i32 s5, s5, 1
	s_and_b32 s2, ttmp6, 15
	s_bfe_u32 s6, ttmp6, 0x40004
	s_mul_i32 s3, ttmp9, s3
	s_mul_i32 s5, s4, s5
	s_getreg_b32 s20, hwreg(HW_REG_IB_STS2, 6, 4)
	s_add_co_i32 s2, s2, s3
	s_add_co_i32 s3, s6, s5
	s_cmp_eq_u32 s20, 0
	s_clause 0x1
	s_load_b32 s21, s[0:1], 0x80
	s_load_b64 s[6:7], s[0:1], 0x30
	s_cselect_b32 s22, s4, s3
	s_cselect_b32 s4, ttmp9, s2
	s_wait_kmcnt 0x0
	s_abs_i32 s2, s18
	s_delay_alu instid0(SALU_CYCLE_1) | instskip(SKIP_1) | instid1(SALU_CYCLE_2)
	s_cvt_f32_u32 s3, s2
	s_sub_co_i32 s5, 0, s2
	v_rcp_iflag_f32_e32 v1, s3
	s_abs_i32 s8, s21
	v_nop
	s_delay_alu instid0(TRANS32_DEP_1) | instskip(SKIP_1) | instid1(SALU_CYCLE_3)
	v_readfirstlane_b32 s3, v1
	s_mul_f32 s3, s3, 0x4f7ffffe
	s_cvt_u32_f32 s3, s3
	s_delay_alu instid0(SALU_CYCLE_3) | instskip(NEXT) | instid1(SALU_CYCLE_1)
	s_mul_i32 s5, s5, s3
	s_mul_hi_u32 s5, s3, s5
	s_delay_alu instid0(SALU_CYCLE_1) | instskip(SKIP_4) | instid1(SALU_CYCLE_1)
	s_add_co_i32 s3, s3, s5
	s_xor_b32 s5, s21, s18
	s_mul_hi_u32 s3, s8, s3
	s_ashr_i32 s5, s5, 31
	s_mul_i32 s9, s3, s2
	s_sub_co_i32 s8, s8, s9
	s_add_co_i32 s9, s3, 1
	s_sub_co_i32 s10, s8, s2
	s_cmp_ge_u32 s8, s2
	s_cselect_b32 s3, s9, s3
	s_cselect_b32 s8, s10, s8
	s_add_co_i32 s9, s3, 1
	s_cmp_ge_u32 s8, s2
	s_cselect_b32 s2, s9, s3
	s_load_b64 s[8:9], s[0:1], 0x40
	s_xor_b32 s2, s2, s5
	s_mov_b32 s3, 0
	s_sub_co_i32 s14, s2, s5
	s_mov_b32 s13, s3
	s_abs_i32 s11, s14
	s_mov_b32 s18, s3
	s_cvt_f32_u32 s2, s11
	s_delay_alu instid0(SALU_CYCLE_3) | instskip(SKIP_1) | instid1(TRANS32_DEP_1)
	v_rcp_iflag_f32_e32 v1, s2
	v_nop
	v_readfirstlane_b32 s2, v1
	s_mul_f32 s2, s2, 0x4f7ffffe
	s_delay_alu instid0(SALU_CYCLE_3) | instskip(SKIP_1) | instid1(SALU_CYCLE_2)
	s_cvt_u32_f32 s5, s2
	s_sub_co_i32 s2, 0, s11
	s_mul_i32 s2, s2, s5
	s_delay_alu instid0(SALU_CYCLE_1)
	s_mul_hi_u32 s10, s5, s2
	s_abs_i32 s2, s4
	s_add_co_i32 s12, s5, s10
	s_wait_kmcnt 0x0
	s_cmp_eq_u64 s[8:9], 0
	s_cbranch_scc1 .LBB335_2
; %bb.1:
	s_ashr_i32 s5, s4, 31
	s_delay_alu instid0(SALU_CYCLE_1) | instskip(NEXT) | instid1(SALU_CYCLE_1)
	s_lshl_b64 s[16:17], s[4:5], 2
	s_add_nc_u64 s[8:9], s[8:9], s[16:17]
	s_load_b32 s18, s[8:9], 0x0
.LBB335_2:
	s_load_b32 s23, s[6:7], s22 offset:0x0 scale_offset
	s_wait_xcnt 0x0
	s_load_b96 s[8:10], s[0:1], 0x48
	v_dual_lshrrev_b32 v1, 1, v0 :: v_dual_bitop2_b32 v26, 1, v0 bitop3:0x40
	s_ashr_i32 s5, s4, 31
	s_ashr_i32 s14, s14, 31
	s_mul_u64 s[6:7], s[2:3], s[12:13]
	s_mul_i32 s12, s4, 0x50
	s_mov_b32 s3, exec_lo
	v_cmpx_gt_u32_e32 20, v0
	s_cbranch_execz .LBB335_4
; %bb.3:
	s_load_b64 s[16:17], s[0:1], 0x8
	s_wait_kmcnt 0x0
	s_mul_i32 s24, s8, s22
	s_ashr_i32 s13, s12, 31
	s_ashr_i32 s25, s24, 31
	v_lshlrev_b32_e32 v4, 3, v1
	s_lshl_b64 s[24:25], s[24:25], 1
	s_delay_alu instid0(VALU_DEP_1) | instskip(SKIP_2) | instid1(SALU_CYCLE_1)
	v_mad_u32_u24 v4, 0x50, v26, v4
	s_add_nc_u64 s[16:17], s[16:17], s[24:25]
	s_lshl_b64 s[24:25], s[12:13], 1
	s_add_nc_u64 s[16:17], s[16:17], s[24:25]
	global_load_b64 v[2:3], v0, s[16:17] scale_offset
	s_wait_loadcnt 0x0
	ds_store_b64 v4, v[2:3]
.LBB335_4:
	s_or_b32 exec_lo, exec_lo, s3
	s_wait_kmcnt 0x0
	s_add_co_i32 s3, s23, 15
	s_load_b32 s4, s[0:1], 0x38
	s_ashr_i32 s6, s3, 31
	s_mul_i32 s8, s7, s11
	s_lshr_b32 s6, s6, 28
	s_sub_co_i32 s2, s2, s8
	s_add_co_i32 s3, s3, s6
	s_xor_b32 s5, s5, s14
	s_ashr_i32 s13, s3, 4
	s_add_co_i32 s3, s7, 1
	s_sub_co_i32 s6, s2, s11
	s_cmp_ge_u32 s2, s11
	v_lshrrev_b32_e32 v27, 5, v0
	s_cselect_b32 s3, s3, s7
	s_cselect_b32 s2, s6, s2
	s_add_co_i32 s6, s3, 1
	s_cmp_ge_u32 s2, s11
	v_mbcnt_lo_u32_b32 v10, -1, 0
	s_cselect_b32 s2, s6, s3
	s_wait_dscnt 0x0
	s_xor_b32 s2, s2, s5
	s_wait_kmcnt 0x0
	s_mul_i32 s14, s4, s22
	s_sub_co_i32 s3, s2, s5
	v_cmp_gt_i32_e64 s2, s13, v27
	s_ashr_i32 s15, s14, 31
	s_mov_b32 s4, exec_lo
	s_barrier_signal -1
	s_barrier_wait -1
                                        ; implicit-def: $vgpr3
                                        ; implicit-def: $vgpr11
	v_cmpx_le_i32_e64 s13, v27
	s_xor_b32 s4, exec_lo, s4
; %bb.5:
	v_dual_mov_b32 v3, 0 :: v_dual_mov_b32 v11, 32
	v_mbcnt_lo_u32_b32 v10, -1, 0
; %bb.6:
	s_or_saveexec_b32 s24, s4
	s_clause 0x2
	s_load_b32 s8, s[0:1], 0x88
	s_load_b64 s[16:17], s[0:1], 0x28
	s_load_b128 s[4:7], s[0:1], 0x58
	v_dual_mov_b32 v51, 0xff7fffff :: v_dual_lshrrev_b32 v18, 3, v0
	s_mul_i32 s10, s3, s10
	s_xor_b32 exec_lo, exec_lo, s24
	s_cbranch_execz .LBB335_332
; %bb.7:
	v_mul_u32_u24_e32 v11, 0x50, v26
	s_load_b64 s[26:27], s[0:1], 0x10
	v_bfe_u32 v51, v0, 1, 4
	v_mov_b32_e32 v3, 0
	s_ashr_i32 s11, s10, 31
	ds_load_b128 v[4:7], v11
	ds_load_b128 v[28:31], v11 offset:16
	v_lshlrev_b32_e32 v2, 4, v51
	ds_load_b128 v[36:39], v11 offset:32
	ds_load_b128 v[44:47], v11 offset:48
	s_wait_kmcnt 0x0
	s_load_b32 s5, s[4:5], 0x0
	s_cmp_neq_f32 s18, 0
	v_lshl_or_b32 v57, v27, 4, v51
	s_mov_b32 s25, s9
	v_mov_b32_e32 v59, v27
	s_cselect_b32 s3, -1, 0
	s_add_nc_u64 s[26:27], s[26:27], s[10:11]
	s_mov_b32 s11, 0
	v_add_nc_u64_e32 v[8:9], s[26:27], v[2:3]
	s_wait_dscnt 0x3
	v_dual_lshlrev_b32 v2, 2, v26 :: v_dual_lshlrev_b32 v12, 16, v4
	v_and_b32_e32 v13, 0xffff0000, v4
	v_dual_lshlrev_b32 v14, 16, v5 :: v_dual_lshlrev_b32 v16, 16, v6
	v_and_b32_e32 v15, 0xffff0000, v5
	v_and_b32_e32 v17, 0xffff0000, v6
	s_wait_dscnt 0x2
	v_dual_lshlrev_b32 v19, 16, v7 :: v_dual_lshlrev_b32 v21, 16, v28
	v_and_b32_e32 v20, 0xffff0000, v7
	ds_load_b128 v[4:7], v11 offset:64
	v_and_b32_e32 v22, 0xffff0000, v28
	v_dual_lshlrev_b32 v23, 16, v29 :: v_dual_lshlrev_b32 v25, 16, v30
	v_and_b32_e32 v24, 0xffff0000, v29
	v_and_b32_e32 v28, 0xffff0000, v30
	v_lshlrev_b32_e32 v29, 16, v31
	v_and_b32_e32 v30, 0xffff0000, v31
	s_wait_dscnt 0x2
	v_lshlrev_b32_e32 v31, 16, v36
	v_and_b32_e32 v32, 0xffff0000, v36
	v_dual_lshlrev_b32 v33, 16, v37 :: v_dual_lshlrev_b32 v35, 16, v38
	v_and_b32_e32 v34, 0xffff0000, v37
	v_and_b32_e32 v36, 0xffff0000, v38
	v_lshlrev_b32_e32 v37, 16, v39
	v_and_b32_e32 v38, 0xffff0000, v39
	s_wait_dscnt 0x1
	v_lshlrev_b32_e32 v39, 16, v44
	;; [unrolled: 8-line block ×3, first 2 shown]
	v_and_b32_e32 v48, 0xffff0000, v4
	v_dual_lshlrev_b32 v49, 16, v5 :: v_dual_bitop2_b32 v4, 1, v10 bitop3:0x14
	v_dual_lshlrev_b32 v52, 16, v6 :: v_dual_lshlrev_b32 v54, 16, v7
	v_and_b32_e32 v53, 0xffff0000, v6
	v_mov_b32_e32 v11, 32
	s_delay_alu instid0(VALU_DEP_4)
	v_cmp_gt_i32_e32 vcc_lo, 32, v4
	v_and_b32_e32 v50, 0xffff0000, v5
	s_lshl_b64 s[26:27], s[14:15], 2
	v_and_b32_e32 v55, 0xffff0000, v7
	s_add_nc_u64 s[26:27], s[16:17], s[26:27]
	v_dual_cndmask_b32 v4, v10, v4, vcc_lo :: v_dual_lshlrev_b32 v6, 2, v51
	v_mov_b32_e32 v51, 0xff7fffff
	v_cmp_eq_u32_e32 vcc_lo, 0, v26
	s_delay_alu instid0(VALU_DEP_3) | instskip(SKIP_3) | instid1(VALU_DEP_2)
	v_lshlrev_b32_e32 v56, 2, v4
	v_add_nc_u64_e32 v[4:5], v[8:9], v[2:3]
	v_lshl_or_b32 v6, v27, 6, v6
	v_and_b32_e32 v2, 0x7c, v18
	v_add_nc_u32_e32 v58, 0xc0, v6
	s_delay_alu instid0(VALU_DEP_2)
	v_add_nc_u64_e32 v[6:7], s[26:27], v[2:3]
	s_sub_co_i32 s26, 1, s23
	s_branch .LBB335_9
.LBB335_8:                              ;   in Loop: Header=BB335_9 Depth=1
	s_or_b32 exec_lo, exec_lo, s27
	v_dual_add_nc_u32 v59, 4, v59 :: v_dual_add_nc_u32 v57, 64, v57
	v_add_nc_u64_e32 v[6:7], 16, v[6:7]
	v_add_nc_u32_e32 v58, 0x100, v58
	s_delay_alu instid0(VALU_DEP_3) | instskip(SKIP_1) | instid1(SALU_CYCLE_1)
	v_cmp_le_i32_e64 s4, s13, v59
	s_or_b32 s11, s4, s11
	s_and_not1_b32 exec_lo, exec_lo, s11
	s_cbranch_execz .LBB335_331
.LBB335_9:                              ; =>This Inner Loop Header: Depth=1
	global_load_b32 v2, v[6:7], off
	v_dual_mov_b32 v61, 0 :: v_dual_mov_b32 v60, 0
	s_mov_b32 s27, exec_lo
	s_wait_loadcnt_dscnt 0x0
	v_mad_nc_i64_i32 v[8:9], v2, s25, v[4:5]
	global_load_b32 v64, v[8:9], off
	s_wait_loadcnt 0x0
	v_and_b32_e32 v2, 0xff, v64
	s_wait_xcnt 0x0
	s_delay_alu instid0(VALU_DEP_1)
	v_cmpx_ne_u16_e32 0, v2
	s_cbranch_execz .LBB335_17
; %bb.10:                               ;   in Loop: Header=BB335_9 Depth=1
	v_bfrev_b32_e32 v60, 1
	s_mov_b32 s28, exec_lo
	v_cmpx_ne_u16_e32 0x80, v2
	s_cbranch_execz .LBB335_16
; %bb.11:                               ;   in Loop: Header=BB335_9 Depth=1
	v_and_b32_e32 v62, 0x7f, v64
	v_mov_b32_e32 v60, 0x7f800001
	s_mov_b32 s29, exec_lo
	s_delay_alu instid0(VALU_DEP_2)
	v_cmpx_ne_u32_e32 0x7f, v62
	s_cbranch_execz .LBB335_15
; %bb.12:                               ;   in Loop: Header=BB335_9 Depth=1
	v_dual_lshrrev_b32 v60, 3, v62 :: v_dual_bitop2_b32 v2, 7, v64 bitop3:0x40
	s_mov_b32 s30, exec_lo
	v_cmpx_gt_u32_e32 8, v62
; %bb.13:                               ;   in Loop: Header=BB335_9 Depth=1
	s_delay_alu instid0(VALU_DEP_2) | instskip(NEXT) | instid1(VALU_DEP_1)
	v_clz_i32_u32_e32 v60, v2
	v_min_u32_e32 v60, 32, v60
	s_delay_alu instid0(VALU_DEP_1) | instskip(NEXT) | instid1(VALU_DEP_1)
	v_subrev_nc_u32_e32 v62, 28, v60
	v_lshlrev_b64_e32 v[62:63], v62, v[2:3]
	s_delay_alu instid0(VALU_DEP_1)
	v_dual_sub_nc_u32 v60, 29, v60 :: v_dual_bitop2_b32 v2, 7, v62 bitop3:0x40
; %bb.14:                               ;   in Loop: Header=BB335_9 Depth=1
	s_or_b32 exec_lo, exec_lo, s30
	s_delay_alu instid0(VALU_DEP_1) | instskip(NEXT) | instid1(VALU_DEP_2)
	v_dual_lshlrev_b32 v62, 24, v64 :: v_dual_lshlrev_b32 v2, 20, v2
	v_lshl_add_u32 v60, v60, 23, 0x3c000000
	s_delay_alu instid0(VALU_DEP_2) | instskip(NEXT) | instid1(VALU_DEP_1)
	v_and_b32_e32 v62, 0x80000000, v62
	v_or3_b32 v60, v2, v62, v60
.LBB335_15:                             ;   in Loop: Header=BB335_9 Depth=1
	s_or_b32 exec_lo, exec_lo, s29
.LBB335_16:                             ;   in Loop: Header=BB335_9 Depth=1
	s_delay_alu instid0(SALU_CYCLE_1)
	s_or_b32 exec_lo, exec_lo, s28
.LBB335_17:                             ;   in Loop: Header=BB335_9 Depth=1
	s_delay_alu instid0(SALU_CYCLE_1) | instskip(SKIP_2) | instid1(VALU_DEP_1)
	s_or_b32 exec_lo, exec_lo, s27
	v_lshrrev_b16 v2, 8, v64
	s_mov_b32 s27, exec_lo
	v_cmpx_ne_u16_e32 0, v2
	s_cbranch_execz .LBB335_25
; %bb.18:                               ;   in Loop: Header=BB335_9 Depth=1
	v_bfrev_b32_e32 v61, 1
	s_mov_b32 s28, exec_lo
	v_cmpx_ne_u16_e32 0x80, v2
	s_cbranch_execz .LBB335_24
; %bb.19:                               ;   in Loop: Header=BB335_9 Depth=1
	v_and_b32_e32 v2, 0xffff, v2
	v_mov_b32_e32 v61, 0x7f800001
	s_mov_b32 s29, exec_lo
	s_delay_alu instid0(VALU_DEP_2) | instskip(NEXT) | instid1(VALU_DEP_1)
	v_and_b32_e32 v62, 0x7f, v2
	v_cmpx_ne_u32_e32 0x7f, v62
	s_cbranch_execz .LBB335_23
; %bb.20:                               ;   in Loop: Header=BB335_9 Depth=1
	v_and_b32_e32 v2, 7, v2
	v_lshrrev_b32_e32 v61, 3, v62
	s_mov_b32 s30, exec_lo
	v_cmpx_gt_u32_e32 8, v62
; %bb.21:                               ;   in Loop: Header=BB335_9 Depth=1
	s_delay_alu instid0(VALU_DEP_3) | instskip(NEXT) | instid1(VALU_DEP_1)
	v_clz_i32_u32_e32 v61, v2
	v_min_u32_e32 v61, 32, v61
	s_delay_alu instid0(VALU_DEP_1) | instskip(NEXT) | instid1(VALU_DEP_1)
	v_subrev_nc_u32_e32 v62, 28, v61
	v_lshlrev_b64_e32 v[62:63], v62, v[2:3]
	s_delay_alu instid0(VALU_DEP_1)
	v_dual_sub_nc_u32 v61, 29, v61 :: v_dual_bitop2_b32 v2, 7, v62 bitop3:0x40
; %bb.22:                               ;   in Loop: Header=BB335_9 Depth=1
	s_or_b32 exec_lo, exec_lo, s30
	s_delay_alu instid0(VALU_DEP_1) | instskip(NEXT) | instid1(VALU_DEP_2)
	v_dual_lshlrev_b32 v62, 16, v64 :: v_dual_lshlrev_b32 v2, 20, v2
	v_lshl_add_u32 v61, v61, 23, 0x3c000000
	s_delay_alu instid0(VALU_DEP_2) | instskip(NEXT) | instid1(VALU_DEP_1)
	v_and_b32_e32 v62, 0x80000000, v62
	v_or3_b32 v61, v2, v62, v61
.LBB335_23:                             ;   in Loop: Header=BB335_9 Depth=1
	s_or_b32 exec_lo, exec_lo, s29
.LBB335_24:                             ;   in Loop: Header=BB335_9 Depth=1
	s_delay_alu instid0(SALU_CYCLE_1)
	s_or_b32 exec_lo, exec_lo, s28
.LBB335_25:                             ;   in Loop: Header=BB335_9 Depth=1
	s_delay_alu instid0(SALU_CYCLE_1) | instskip(SKIP_3) | instid1(VALU_DEP_2)
	s_or_b32 exec_lo, exec_lo, s27
	v_dual_mov_b32 v62, 0 :: v_dual_lshrrev_b32 v65, 16, v64
	v_mov_b32_e32 v63, 0
	s_mov_b32 s27, exec_lo
	v_and_b32_e32 v2, 0xff, v65
	s_delay_alu instid0(VALU_DEP_1)
	v_cmpx_ne_u16_e32 0, v2
	s_cbranch_execz .LBB335_33
; %bb.26:                               ;   in Loop: Header=BB335_9 Depth=1
	v_bfrev_b32_e32 v63, 1
	s_mov_b32 s28, exec_lo
	v_cmpx_ne_u16_e32 0x80, v2
	s_cbranch_execz .LBB335_32
; %bb.27:                               ;   in Loop: Header=BB335_9 Depth=1
	v_bfe_u32 v66, v64, 16, 7
	v_mov_b32_e32 v63, 0x7f800001
	s_mov_b32 s29, exec_lo
	s_delay_alu instid0(VALU_DEP_2)
	v_cmpx_ne_u32_e32 0x7f, v66
	s_cbranch_execz .LBB335_31
; %bb.28:                               ;   in Loop: Header=BB335_9 Depth=1
	v_dual_lshrrev_b32 v63, 3, v66 :: v_dual_bitop2_b32 v2, 7, v65 bitop3:0x40
	s_mov_b32 s30, exec_lo
	v_cmpx_gt_u32_e32 8, v66
; %bb.29:                               ;   in Loop: Header=BB335_9 Depth=1
	s_delay_alu instid0(VALU_DEP_2) | instskip(NEXT) | instid1(VALU_DEP_1)
	v_clz_i32_u32_e32 v63, v2
	v_min_u32_e32 v63, 32, v63
	s_delay_alu instid0(VALU_DEP_1) | instskip(NEXT) | instid1(VALU_DEP_1)
	v_subrev_nc_u32_e32 v66, 28, v63
	v_lshlrev_b64_e32 v[66:67], v66, v[2:3]
	s_delay_alu instid0(VALU_DEP_1)
	v_dual_sub_nc_u32 v63, 29, v63 :: v_dual_bitop2_b32 v2, 7, v66 bitop3:0x40
; %bb.30:                               ;   in Loop: Header=BB335_9 Depth=1
	s_or_b32 exec_lo, exec_lo, s30
	s_delay_alu instid0(VALU_DEP_1) | instskip(NEXT) | instid1(VALU_DEP_2)
	v_dual_lshlrev_b32 v65, 24, v65 :: v_dual_lshlrev_b32 v2, 20, v2
	v_lshl_add_u32 v63, v63, 23, 0x3c000000
	s_delay_alu instid0(VALU_DEP_2) | instskip(NEXT) | instid1(VALU_DEP_1)
	v_and_b32_e32 v65, 0x80000000, v65
	v_or3_b32 v63, v2, v65, v63
.LBB335_31:                             ;   in Loop: Header=BB335_9 Depth=1
	s_or_b32 exec_lo, exec_lo, s29
.LBB335_32:                             ;   in Loop: Header=BB335_9 Depth=1
	s_delay_alu instid0(SALU_CYCLE_1)
	s_or_b32 exec_lo, exec_lo, s28
.LBB335_33:                             ;   in Loop: Header=BB335_9 Depth=1
	s_delay_alu instid0(SALU_CYCLE_1) | instskip(NEXT) | instid1(SALU_CYCLE_1)
	s_or_b32 exec_lo, exec_lo, s27
	s_mov_b32 s27, exec_lo
	v_cmpx_lt_u32_e32 0xffffff, v64
	s_cbranch_execz .LBB335_41
; %bb.34:                               ;   in Loop: Header=BB335_9 Depth=1
	v_lshrrev_b32_e32 v65, 24, v64
	v_bfrev_b32_e32 v62, 1
	s_mov_b32 s28, exec_lo
	s_delay_alu instid0(VALU_DEP_2)
	v_cmpx_ne_u32_e32 0x80, v65
	s_cbranch_execz .LBB335_40
; %bb.35:                               ;   in Loop: Header=BB335_9 Depth=1
	v_bfe_u32 v64, v64, 24, 7
	v_mov_b32_e32 v62, 0x7f800001
	s_mov_b32 s29, exec_lo
	s_delay_alu instid0(VALU_DEP_2)
	v_cmpx_ne_u32_e32 0x7f, v64
	s_cbranch_execz .LBB335_39
; %bb.36:                               ;   in Loop: Header=BB335_9 Depth=1
	v_dual_lshrrev_b32 v62, 3, v64 :: v_dual_bitop2_b32 v2, 7, v65 bitop3:0x40
	s_mov_b32 s30, exec_lo
	v_cmpx_gt_u32_e32 8, v64
; %bb.37:                               ;   in Loop: Header=BB335_9 Depth=1
	s_delay_alu instid0(VALU_DEP_2) | instskip(NEXT) | instid1(VALU_DEP_1)
	v_clz_i32_u32_e32 v62, v2
	v_min_u32_e32 v62, 32, v62
	s_delay_alu instid0(VALU_DEP_1) | instskip(SKIP_1) | instid1(VALU_DEP_2)
	v_subrev_nc_u32_e32 v64, 28, v62
	v_sub_nc_u32_e32 v62, 29, v62
	v_lshlrev_b64_e32 v[66:67], v64, v[2:3]
	s_delay_alu instid0(VALU_DEP_1)
	v_and_b32_e32 v2, 7, v66
; %bb.38:                               ;   in Loop: Header=BB335_9 Depth=1
	s_or_b32 exec_lo, exec_lo, s30
	s_delay_alu instid0(VALU_DEP_1) | instskip(SKIP_1) | instid1(VALU_DEP_2)
	v_dual_lshlrev_b32 v64, 24, v65 :: v_dual_lshlrev_b32 v2, 20, v2
	v_lshl_add_u32 v62, v62, 23, 0x3c000000
	v_and_b32_e32 v64, 0x80000000, v64
	s_delay_alu instid0(VALU_DEP_1)
	v_or3_b32 v62, v2, v64, v62
.LBB335_39:                             ;   in Loop: Header=BB335_9 Depth=1
	s_or_b32 exec_lo, exec_lo, s29
.LBB335_40:                             ;   in Loop: Header=BB335_9 Depth=1
	s_delay_alu instid0(SALU_CYCLE_1)
	s_or_b32 exec_lo, exec_lo, s28
.LBB335_41:                             ;   in Loop: Header=BB335_9 Depth=1
	s_delay_alu instid0(SALU_CYCLE_1)
	s_or_b32 exec_lo, exec_lo, s27
	global_load_b32 v68, v[8:9], off offset:8
	v_dual_mov_b32 v64, 0 :: v_dual_mov_b32 v65, 0
	s_mov_b32 s27, exec_lo
	s_wait_loadcnt 0x0
	v_and_b32_e32 v2, 0xff, v68
	s_delay_alu instid0(VALU_DEP_1)
	v_cmpx_ne_u16_e32 0, v2
	s_cbranch_execz .LBB335_49
; %bb.42:                               ;   in Loop: Header=BB335_9 Depth=1
	v_bfrev_b32_e32 v65, 1
	s_mov_b32 s28, exec_lo
	v_cmpx_ne_u16_e32 0x80, v2
	s_cbranch_execz .LBB335_48
; %bb.43:                               ;   in Loop: Header=BB335_9 Depth=1
	v_and_b32_e32 v66, 0x7f, v68
	v_mov_b32_e32 v65, 0x7f800001
	s_mov_b32 s29, exec_lo
	s_delay_alu instid0(VALU_DEP_2)
	v_cmpx_ne_u32_e32 0x7f, v66
	s_cbranch_execz .LBB335_47
; %bb.44:                               ;   in Loop: Header=BB335_9 Depth=1
	v_dual_lshrrev_b32 v65, 3, v66 :: v_dual_bitop2_b32 v2, 7, v68 bitop3:0x40
	s_mov_b32 s30, exec_lo
	v_cmpx_gt_u32_e32 8, v66
; %bb.45:                               ;   in Loop: Header=BB335_9 Depth=1
	s_delay_alu instid0(VALU_DEP_2) | instskip(NEXT) | instid1(VALU_DEP_1)
	v_clz_i32_u32_e32 v65, v2
	v_min_u32_e32 v65, 32, v65
	s_delay_alu instid0(VALU_DEP_1) | instskip(NEXT) | instid1(VALU_DEP_1)
	v_subrev_nc_u32_e32 v66, 28, v65
	v_lshlrev_b64_e32 v[66:67], v66, v[2:3]
	s_delay_alu instid0(VALU_DEP_1)
	v_dual_sub_nc_u32 v65, 29, v65 :: v_dual_bitop2_b32 v2, 7, v66 bitop3:0x40
; %bb.46:                               ;   in Loop: Header=BB335_9 Depth=1
	s_or_b32 exec_lo, exec_lo, s30
	s_delay_alu instid0(VALU_DEP_1) | instskip(NEXT) | instid1(VALU_DEP_2)
	v_dual_lshlrev_b32 v66, 24, v68 :: v_dual_lshlrev_b32 v2, 20, v2
	v_lshl_add_u32 v65, v65, 23, 0x3c000000
	s_delay_alu instid0(VALU_DEP_2) | instskip(NEXT) | instid1(VALU_DEP_1)
	v_and_b32_e32 v66, 0x80000000, v66
	v_or3_b32 v65, v2, v66, v65
.LBB335_47:                             ;   in Loop: Header=BB335_9 Depth=1
	s_or_b32 exec_lo, exec_lo, s29
.LBB335_48:                             ;   in Loop: Header=BB335_9 Depth=1
	s_delay_alu instid0(SALU_CYCLE_1)
	s_or_b32 exec_lo, exec_lo, s28
.LBB335_49:                             ;   in Loop: Header=BB335_9 Depth=1
	s_delay_alu instid0(SALU_CYCLE_1) | instskip(SKIP_2) | instid1(VALU_DEP_1)
	s_or_b32 exec_lo, exec_lo, s27
	v_lshrrev_b16 v2, 8, v68
	s_mov_b32 s27, exec_lo
	v_cmpx_ne_u16_e32 0, v2
	s_cbranch_execz .LBB335_57
; %bb.50:                               ;   in Loop: Header=BB335_9 Depth=1
	v_bfrev_b32_e32 v64, 1
	s_mov_b32 s28, exec_lo
	v_cmpx_ne_u16_e32 0x80, v2
	s_cbranch_execz .LBB335_56
; %bb.51:                               ;   in Loop: Header=BB335_9 Depth=1
	v_and_b32_e32 v2, 0xffff, v2
	v_mov_b32_e32 v64, 0x7f800001
	s_mov_b32 s29, exec_lo
	s_delay_alu instid0(VALU_DEP_2) | instskip(NEXT) | instid1(VALU_DEP_1)
	v_and_b32_e32 v66, 0x7f, v2
	v_cmpx_ne_u32_e32 0x7f, v66
	s_cbranch_execz .LBB335_55
; %bb.52:                               ;   in Loop: Header=BB335_9 Depth=1
	v_and_b32_e32 v2, 7, v2
	v_lshrrev_b32_e32 v64, 3, v66
	s_mov_b32 s30, exec_lo
	v_cmpx_gt_u32_e32 8, v66
; %bb.53:                               ;   in Loop: Header=BB335_9 Depth=1
	s_delay_alu instid0(VALU_DEP_3) | instskip(NEXT) | instid1(VALU_DEP_1)
	v_clz_i32_u32_e32 v64, v2
	v_min_u32_e32 v64, 32, v64
	s_delay_alu instid0(VALU_DEP_1) | instskip(NEXT) | instid1(VALU_DEP_1)
	v_subrev_nc_u32_e32 v66, 28, v64
	v_lshlrev_b64_e32 v[66:67], v66, v[2:3]
	s_delay_alu instid0(VALU_DEP_1)
	v_dual_sub_nc_u32 v64, 29, v64 :: v_dual_bitop2_b32 v2, 7, v66 bitop3:0x40
; %bb.54:                               ;   in Loop: Header=BB335_9 Depth=1
	s_or_b32 exec_lo, exec_lo, s30
	s_delay_alu instid0(VALU_DEP_1) | instskip(NEXT) | instid1(VALU_DEP_2)
	v_dual_lshlrev_b32 v66, 16, v68 :: v_dual_lshlrev_b32 v2, 20, v2
	v_lshl_add_u32 v64, v64, 23, 0x3c000000
	s_delay_alu instid0(VALU_DEP_2) | instskip(NEXT) | instid1(VALU_DEP_1)
	v_and_b32_e32 v66, 0x80000000, v66
	v_or3_b32 v64, v2, v66, v64
.LBB335_55:                             ;   in Loop: Header=BB335_9 Depth=1
	s_or_b32 exec_lo, exec_lo, s29
.LBB335_56:                             ;   in Loop: Header=BB335_9 Depth=1
	s_delay_alu instid0(SALU_CYCLE_1)
	s_or_b32 exec_lo, exec_lo, s28
.LBB335_57:                             ;   in Loop: Header=BB335_9 Depth=1
	s_delay_alu instid0(SALU_CYCLE_1) | instskip(SKIP_3) | instid1(VALU_DEP_2)
	s_or_b32 exec_lo, exec_lo, s27
	v_dual_mov_b32 v66, 0 :: v_dual_lshrrev_b32 v69, 16, v68
	v_mov_b32_e32 v67, 0
	s_mov_b32 s27, exec_lo
	v_and_b32_e32 v2, 0xff, v69
	s_delay_alu instid0(VALU_DEP_1)
	v_cmpx_ne_u16_e32 0, v2
	s_cbranch_execz .LBB335_65
; %bb.58:                               ;   in Loop: Header=BB335_9 Depth=1
	v_bfrev_b32_e32 v67, 1
	s_mov_b32 s28, exec_lo
	v_cmpx_ne_u16_e32 0x80, v2
	s_cbranch_execz .LBB335_64
; %bb.59:                               ;   in Loop: Header=BB335_9 Depth=1
	v_bfe_u32 v70, v68, 16, 7
	v_mov_b32_e32 v67, 0x7f800001
	s_mov_b32 s29, exec_lo
	s_delay_alu instid0(VALU_DEP_2)
	v_cmpx_ne_u32_e32 0x7f, v70
	s_cbranch_execz .LBB335_63
; %bb.60:                               ;   in Loop: Header=BB335_9 Depth=1
	v_dual_lshrrev_b32 v67, 3, v70 :: v_dual_bitop2_b32 v2, 7, v69 bitop3:0x40
	s_mov_b32 s30, exec_lo
	v_cmpx_gt_u32_e32 8, v70
; %bb.61:                               ;   in Loop: Header=BB335_9 Depth=1
	s_delay_alu instid0(VALU_DEP_2) | instskip(NEXT) | instid1(VALU_DEP_1)
	v_clz_i32_u32_e32 v67, v2
	v_min_u32_e32 v67, 32, v67
	s_delay_alu instid0(VALU_DEP_1) | instskip(NEXT) | instid1(VALU_DEP_1)
	v_subrev_nc_u32_e32 v70, 28, v67
	v_lshlrev_b64_e32 v[70:71], v70, v[2:3]
	s_delay_alu instid0(VALU_DEP_1)
	v_dual_sub_nc_u32 v67, 29, v67 :: v_dual_bitop2_b32 v2, 7, v70 bitop3:0x40
; %bb.62:                               ;   in Loop: Header=BB335_9 Depth=1
	s_or_b32 exec_lo, exec_lo, s30
	s_delay_alu instid0(VALU_DEP_1) | instskip(NEXT) | instid1(VALU_DEP_2)
	v_dual_lshlrev_b32 v69, 24, v69 :: v_dual_lshlrev_b32 v2, 20, v2
	v_lshl_add_u32 v67, v67, 23, 0x3c000000
	s_delay_alu instid0(VALU_DEP_2) | instskip(NEXT) | instid1(VALU_DEP_1)
	v_and_b32_e32 v69, 0x80000000, v69
	v_or3_b32 v67, v2, v69, v67
.LBB335_63:                             ;   in Loop: Header=BB335_9 Depth=1
	s_or_b32 exec_lo, exec_lo, s29
.LBB335_64:                             ;   in Loop: Header=BB335_9 Depth=1
	s_delay_alu instid0(SALU_CYCLE_1)
	s_or_b32 exec_lo, exec_lo, s28
.LBB335_65:                             ;   in Loop: Header=BB335_9 Depth=1
	s_delay_alu instid0(SALU_CYCLE_1) | instskip(NEXT) | instid1(SALU_CYCLE_1)
	s_or_b32 exec_lo, exec_lo, s27
	s_mov_b32 s27, exec_lo
	v_cmpx_lt_u32_e32 0xffffff, v68
	s_cbranch_execz .LBB335_73
; %bb.66:                               ;   in Loop: Header=BB335_9 Depth=1
	v_lshrrev_b32_e32 v69, 24, v68
	v_bfrev_b32_e32 v66, 1
	s_mov_b32 s28, exec_lo
	s_delay_alu instid0(VALU_DEP_2)
	v_cmpx_ne_u32_e32 0x80, v69
	s_cbranch_execz .LBB335_72
; %bb.67:                               ;   in Loop: Header=BB335_9 Depth=1
	v_bfe_u32 v68, v68, 24, 7
	v_mov_b32_e32 v66, 0x7f800001
	s_mov_b32 s29, exec_lo
	s_delay_alu instid0(VALU_DEP_2)
	v_cmpx_ne_u32_e32 0x7f, v68
	s_cbranch_execz .LBB335_71
; %bb.68:                               ;   in Loop: Header=BB335_9 Depth=1
	v_dual_lshrrev_b32 v66, 3, v68 :: v_dual_bitop2_b32 v2, 7, v69 bitop3:0x40
	s_mov_b32 s30, exec_lo
	v_cmpx_gt_u32_e32 8, v68
; %bb.69:                               ;   in Loop: Header=BB335_9 Depth=1
	s_delay_alu instid0(VALU_DEP_2) | instskip(NEXT) | instid1(VALU_DEP_1)
	v_clz_i32_u32_e32 v66, v2
	v_min_u32_e32 v66, 32, v66
	s_delay_alu instid0(VALU_DEP_1) | instskip(SKIP_1) | instid1(VALU_DEP_2)
	v_subrev_nc_u32_e32 v68, 28, v66
	v_sub_nc_u32_e32 v66, 29, v66
	v_lshlrev_b64_e32 v[70:71], v68, v[2:3]
	s_delay_alu instid0(VALU_DEP_1)
	v_and_b32_e32 v2, 7, v70
; %bb.70:                               ;   in Loop: Header=BB335_9 Depth=1
	s_or_b32 exec_lo, exec_lo, s30
	s_delay_alu instid0(VALU_DEP_1) | instskip(SKIP_1) | instid1(VALU_DEP_2)
	v_dual_lshlrev_b32 v68, 24, v69 :: v_dual_lshlrev_b32 v2, 20, v2
	v_lshl_add_u32 v66, v66, 23, 0x3c000000
	v_and_b32_e32 v68, 0x80000000, v68
	s_delay_alu instid0(VALU_DEP_1)
	v_or3_b32 v66, v2, v68, v66
.LBB335_71:                             ;   in Loop: Header=BB335_9 Depth=1
	s_or_b32 exec_lo, exec_lo, s29
.LBB335_72:                             ;   in Loop: Header=BB335_9 Depth=1
	s_delay_alu instid0(SALU_CYCLE_1)
	s_or_b32 exec_lo, exec_lo, s28
.LBB335_73:                             ;   in Loop: Header=BB335_9 Depth=1
	s_delay_alu instid0(SALU_CYCLE_1)
	s_or_b32 exec_lo, exec_lo, s27
	global_load_b32 v72, v[8:9], off offset:256
	v_dual_mov_b32 v69, 0 :: v_dual_mov_b32 v68, 0
	s_mov_b32 s27, exec_lo
	s_wait_loadcnt 0x0
	v_and_b32_e32 v2, 0xff, v72
	s_delay_alu instid0(VALU_DEP_1)
	v_cmpx_ne_u16_e32 0, v2
	s_cbranch_execz .LBB335_81
; %bb.74:                               ;   in Loop: Header=BB335_9 Depth=1
	v_bfrev_b32_e32 v68, 1
	s_mov_b32 s28, exec_lo
	v_cmpx_ne_u16_e32 0x80, v2
	s_cbranch_execz .LBB335_80
; %bb.75:                               ;   in Loop: Header=BB335_9 Depth=1
	v_and_b32_e32 v70, 0x7f, v72
	v_mov_b32_e32 v68, 0x7f800001
	s_mov_b32 s29, exec_lo
	s_delay_alu instid0(VALU_DEP_2)
	v_cmpx_ne_u32_e32 0x7f, v70
	s_cbranch_execz .LBB335_79
; %bb.76:                               ;   in Loop: Header=BB335_9 Depth=1
	v_dual_lshrrev_b32 v68, 3, v70 :: v_dual_bitop2_b32 v2, 7, v72 bitop3:0x40
	s_mov_b32 s30, exec_lo
	v_cmpx_gt_u32_e32 8, v70
; %bb.77:                               ;   in Loop: Header=BB335_9 Depth=1
	s_delay_alu instid0(VALU_DEP_2) | instskip(NEXT) | instid1(VALU_DEP_1)
	v_clz_i32_u32_e32 v68, v2
	v_min_u32_e32 v68, 32, v68
	s_delay_alu instid0(VALU_DEP_1) | instskip(NEXT) | instid1(VALU_DEP_1)
	v_subrev_nc_u32_e32 v70, 28, v68
	v_lshlrev_b64_e32 v[70:71], v70, v[2:3]
	s_delay_alu instid0(VALU_DEP_1)
	v_dual_sub_nc_u32 v68, 29, v68 :: v_dual_bitop2_b32 v2, 7, v70 bitop3:0x40
; %bb.78:                               ;   in Loop: Header=BB335_9 Depth=1
	s_or_b32 exec_lo, exec_lo, s30
	s_delay_alu instid0(VALU_DEP_1) | instskip(NEXT) | instid1(VALU_DEP_2)
	v_dual_lshlrev_b32 v70, 24, v72 :: v_dual_lshlrev_b32 v2, 20, v2
	v_lshl_add_u32 v68, v68, 23, 0x3c000000
	s_delay_alu instid0(VALU_DEP_2) | instskip(NEXT) | instid1(VALU_DEP_1)
	v_and_b32_e32 v70, 0x80000000, v70
	v_or3_b32 v68, v2, v70, v68
.LBB335_79:                             ;   in Loop: Header=BB335_9 Depth=1
	s_or_b32 exec_lo, exec_lo, s29
.LBB335_80:                             ;   in Loop: Header=BB335_9 Depth=1
	s_delay_alu instid0(SALU_CYCLE_1)
	s_or_b32 exec_lo, exec_lo, s28
.LBB335_81:                             ;   in Loop: Header=BB335_9 Depth=1
	s_delay_alu instid0(SALU_CYCLE_1) | instskip(SKIP_2) | instid1(VALU_DEP_1)
	s_or_b32 exec_lo, exec_lo, s27
	v_lshrrev_b16 v2, 8, v72
	s_mov_b32 s27, exec_lo
	v_cmpx_ne_u16_e32 0, v2
	s_cbranch_execz .LBB335_89
; %bb.82:                               ;   in Loop: Header=BB335_9 Depth=1
	v_bfrev_b32_e32 v69, 1
	s_mov_b32 s28, exec_lo
	v_cmpx_ne_u16_e32 0x80, v2
	s_cbranch_execz .LBB335_88
; %bb.83:                               ;   in Loop: Header=BB335_9 Depth=1
	v_and_b32_e32 v2, 0xffff, v2
	v_mov_b32_e32 v69, 0x7f800001
	s_mov_b32 s29, exec_lo
	s_delay_alu instid0(VALU_DEP_2) | instskip(NEXT) | instid1(VALU_DEP_1)
	v_and_b32_e32 v70, 0x7f, v2
	v_cmpx_ne_u32_e32 0x7f, v70
	s_cbranch_execz .LBB335_87
; %bb.84:                               ;   in Loop: Header=BB335_9 Depth=1
	v_and_b32_e32 v2, 7, v2
	v_lshrrev_b32_e32 v69, 3, v70
	s_mov_b32 s30, exec_lo
	v_cmpx_gt_u32_e32 8, v70
; %bb.85:                               ;   in Loop: Header=BB335_9 Depth=1
	s_delay_alu instid0(VALU_DEP_3) | instskip(NEXT) | instid1(VALU_DEP_1)
	v_clz_i32_u32_e32 v69, v2
	v_min_u32_e32 v69, 32, v69
	s_delay_alu instid0(VALU_DEP_1) | instskip(NEXT) | instid1(VALU_DEP_1)
	v_subrev_nc_u32_e32 v70, 28, v69
	v_lshlrev_b64_e32 v[70:71], v70, v[2:3]
	s_delay_alu instid0(VALU_DEP_1)
	v_dual_sub_nc_u32 v69, 29, v69 :: v_dual_bitop2_b32 v2, 7, v70 bitop3:0x40
; %bb.86:                               ;   in Loop: Header=BB335_9 Depth=1
	s_or_b32 exec_lo, exec_lo, s30
	s_delay_alu instid0(VALU_DEP_1) | instskip(NEXT) | instid1(VALU_DEP_2)
	v_dual_lshlrev_b32 v70, 16, v72 :: v_dual_lshlrev_b32 v2, 20, v2
	v_lshl_add_u32 v69, v69, 23, 0x3c000000
	s_delay_alu instid0(VALU_DEP_2) | instskip(NEXT) | instid1(VALU_DEP_1)
	v_and_b32_e32 v70, 0x80000000, v70
	v_or3_b32 v69, v2, v70, v69
.LBB335_87:                             ;   in Loop: Header=BB335_9 Depth=1
	s_or_b32 exec_lo, exec_lo, s29
.LBB335_88:                             ;   in Loop: Header=BB335_9 Depth=1
	s_delay_alu instid0(SALU_CYCLE_1)
	s_or_b32 exec_lo, exec_lo, s28
.LBB335_89:                             ;   in Loop: Header=BB335_9 Depth=1
	s_delay_alu instid0(SALU_CYCLE_1) | instskip(SKIP_3) | instid1(VALU_DEP_2)
	s_or_b32 exec_lo, exec_lo, s27
	v_dual_mov_b32 v70, 0 :: v_dual_lshrrev_b32 v73, 16, v72
	v_mov_b32_e32 v71, 0
	s_mov_b32 s27, exec_lo
	v_and_b32_e32 v2, 0xff, v73
	s_delay_alu instid0(VALU_DEP_1)
	v_cmpx_ne_u16_e32 0, v2
	s_cbranch_execz .LBB335_97
; %bb.90:                               ;   in Loop: Header=BB335_9 Depth=1
	v_bfrev_b32_e32 v71, 1
	s_mov_b32 s28, exec_lo
	v_cmpx_ne_u16_e32 0x80, v2
	s_cbranch_execz .LBB335_96
; %bb.91:                               ;   in Loop: Header=BB335_9 Depth=1
	v_bfe_u32 v74, v72, 16, 7
	v_mov_b32_e32 v71, 0x7f800001
	s_mov_b32 s29, exec_lo
	s_delay_alu instid0(VALU_DEP_2)
	v_cmpx_ne_u32_e32 0x7f, v74
	s_cbranch_execz .LBB335_95
; %bb.92:                               ;   in Loop: Header=BB335_9 Depth=1
	v_dual_lshrrev_b32 v71, 3, v74 :: v_dual_bitop2_b32 v2, 7, v73 bitop3:0x40
	s_mov_b32 s30, exec_lo
	v_cmpx_gt_u32_e32 8, v74
; %bb.93:                               ;   in Loop: Header=BB335_9 Depth=1
	s_delay_alu instid0(VALU_DEP_2) | instskip(NEXT) | instid1(VALU_DEP_1)
	v_clz_i32_u32_e32 v71, v2
	v_min_u32_e32 v71, 32, v71
	s_delay_alu instid0(VALU_DEP_1) | instskip(NEXT) | instid1(VALU_DEP_1)
	v_subrev_nc_u32_e32 v74, 28, v71
	v_lshlrev_b64_e32 v[74:75], v74, v[2:3]
	s_delay_alu instid0(VALU_DEP_1)
	v_dual_sub_nc_u32 v71, 29, v71 :: v_dual_bitop2_b32 v2, 7, v74 bitop3:0x40
; %bb.94:                               ;   in Loop: Header=BB335_9 Depth=1
	s_or_b32 exec_lo, exec_lo, s30
	s_delay_alu instid0(VALU_DEP_1) | instskip(NEXT) | instid1(VALU_DEP_2)
	v_dual_lshlrev_b32 v73, 24, v73 :: v_dual_lshlrev_b32 v2, 20, v2
	v_lshl_add_u32 v71, v71, 23, 0x3c000000
	s_delay_alu instid0(VALU_DEP_2) | instskip(NEXT) | instid1(VALU_DEP_1)
	v_and_b32_e32 v73, 0x80000000, v73
	v_or3_b32 v71, v2, v73, v71
.LBB335_95:                             ;   in Loop: Header=BB335_9 Depth=1
	s_or_b32 exec_lo, exec_lo, s29
.LBB335_96:                             ;   in Loop: Header=BB335_9 Depth=1
	s_delay_alu instid0(SALU_CYCLE_1)
	s_or_b32 exec_lo, exec_lo, s28
.LBB335_97:                             ;   in Loop: Header=BB335_9 Depth=1
	s_delay_alu instid0(SALU_CYCLE_1) | instskip(NEXT) | instid1(SALU_CYCLE_1)
	s_or_b32 exec_lo, exec_lo, s27
	s_mov_b32 s27, exec_lo
	v_cmpx_lt_u32_e32 0xffffff, v72
	s_cbranch_execz .LBB335_105
; %bb.98:                               ;   in Loop: Header=BB335_9 Depth=1
	v_lshrrev_b32_e32 v73, 24, v72
	v_bfrev_b32_e32 v70, 1
	s_mov_b32 s28, exec_lo
	s_delay_alu instid0(VALU_DEP_2)
	v_cmpx_ne_u32_e32 0x80, v73
	s_cbranch_execz .LBB335_104
; %bb.99:                               ;   in Loop: Header=BB335_9 Depth=1
	v_bfe_u32 v72, v72, 24, 7
	v_mov_b32_e32 v70, 0x7f800001
	s_mov_b32 s29, exec_lo
	s_delay_alu instid0(VALU_DEP_2)
	v_cmpx_ne_u32_e32 0x7f, v72
	s_cbranch_execz .LBB335_103
; %bb.100:                              ;   in Loop: Header=BB335_9 Depth=1
	v_dual_lshrrev_b32 v70, 3, v72 :: v_dual_bitop2_b32 v2, 7, v73 bitop3:0x40
	s_mov_b32 s30, exec_lo
	v_cmpx_gt_u32_e32 8, v72
; %bb.101:                              ;   in Loop: Header=BB335_9 Depth=1
	s_delay_alu instid0(VALU_DEP_2) | instskip(NEXT) | instid1(VALU_DEP_1)
	v_clz_i32_u32_e32 v70, v2
	v_min_u32_e32 v70, 32, v70
	s_delay_alu instid0(VALU_DEP_1) | instskip(SKIP_1) | instid1(VALU_DEP_2)
	v_subrev_nc_u32_e32 v72, 28, v70
	v_sub_nc_u32_e32 v70, 29, v70
	v_lshlrev_b64_e32 v[74:75], v72, v[2:3]
	s_delay_alu instid0(VALU_DEP_1)
	v_and_b32_e32 v2, 7, v74
; %bb.102:                              ;   in Loop: Header=BB335_9 Depth=1
	s_or_b32 exec_lo, exec_lo, s30
	s_delay_alu instid0(VALU_DEP_1) | instskip(SKIP_1) | instid1(VALU_DEP_2)
	v_dual_lshlrev_b32 v72, 24, v73 :: v_dual_lshlrev_b32 v2, 20, v2
	v_lshl_add_u32 v70, v70, 23, 0x3c000000
	v_and_b32_e32 v72, 0x80000000, v72
	s_delay_alu instid0(VALU_DEP_1)
	v_or3_b32 v70, v2, v72, v70
.LBB335_103:                            ;   in Loop: Header=BB335_9 Depth=1
	s_or_b32 exec_lo, exec_lo, s29
.LBB335_104:                            ;   in Loop: Header=BB335_9 Depth=1
	s_delay_alu instid0(SALU_CYCLE_1)
	s_or_b32 exec_lo, exec_lo, s28
.LBB335_105:                            ;   in Loop: Header=BB335_9 Depth=1
	s_delay_alu instid0(SALU_CYCLE_1)
	s_or_b32 exec_lo, exec_lo, s27
	global_load_b32 v76, v[8:9], off offset:264
	v_dual_mov_b32 v73, 0 :: v_dual_mov_b32 v72, 0
	s_mov_b32 s27, exec_lo
	s_wait_loadcnt 0x0
	v_and_b32_e32 v2, 0xff, v76
	s_delay_alu instid0(VALU_DEP_1)
	v_cmpx_ne_u16_e32 0, v2
	s_cbranch_execz .LBB335_113
; %bb.106:                              ;   in Loop: Header=BB335_9 Depth=1
	v_bfrev_b32_e32 v72, 1
	s_mov_b32 s28, exec_lo
	v_cmpx_ne_u16_e32 0x80, v2
	s_cbranch_execz .LBB335_112
; %bb.107:                              ;   in Loop: Header=BB335_9 Depth=1
	v_and_b32_e32 v74, 0x7f, v76
	v_mov_b32_e32 v72, 0x7f800001
	s_mov_b32 s29, exec_lo
	s_delay_alu instid0(VALU_DEP_2)
	v_cmpx_ne_u32_e32 0x7f, v74
	s_cbranch_execz .LBB335_111
; %bb.108:                              ;   in Loop: Header=BB335_9 Depth=1
	v_dual_lshrrev_b32 v72, 3, v74 :: v_dual_bitop2_b32 v2, 7, v76 bitop3:0x40
	s_mov_b32 s30, exec_lo
	v_cmpx_gt_u32_e32 8, v74
; %bb.109:                              ;   in Loop: Header=BB335_9 Depth=1
	s_delay_alu instid0(VALU_DEP_2) | instskip(NEXT) | instid1(VALU_DEP_1)
	v_clz_i32_u32_e32 v72, v2
	v_min_u32_e32 v72, 32, v72
	s_delay_alu instid0(VALU_DEP_1) | instskip(NEXT) | instid1(VALU_DEP_1)
	v_subrev_nc_u32_e32 v74, 28, v72
	v_lshlrev_b64_e32 v[74:75], v74, v[2:3]
	s_delay_alu instid0(VALU_DEP_1)
	v_dual_sub_nc_u32 v72, 29, v72 :: v_dual_bitop2_b32 v2, 7, v74 bitop3:0x40
; %bb.110:                              ;   in Loop: Header=BB335_9 Depth=1
	s_or_b32 exec_lo, exec_lo, s30
	s_delay_alu instid0(VALU_DEP_1) | instskip(NEXT) | instid1(VALU_DEP_2)
	v_dual_lshlrev_b32 v74, 24, v76 :: v_dual_lshlrev_b32 v2, 20, v2
	v_lshl_add_u32 v72, v72, 23, 0x3c000000
	s_delay_alu instid0(VALU_DEP_2) | instskip(NEXT) | instid1(VALU_DEP_1)
	v_and_b32_e32 v74, 0x80000000, v74
	v_or3_b32 v72, v2, v74, v72
.LBB335_111:                            ;   in Loop: Header=BB335_9 Depth=1
	s_or_b32 exec_lo, exec_lo, s29
.LBB335_112:                            ;   in Loop: Header=BB335_9 Depth=1
	s_delay_alu instid0(SALU_CYCLE_1)
	s_or_b32 exec_lo, exec_lo, s28
.LBB335_113:                            ;   in Loop: Header=BB335_9 Depth=1
	s_delay_alu instid0(SALU_CYCLE_1) | instskip(SKIP_2) | instid1(VALU_DEP_1)
	s_or_b32 exec_lo, exec_lo, s27
	v_lshrrev_b16 v2, 8, v76
	s_mov_b32 s27, exec_lo
	v_cmpx_ne_u16_e32 0, v2
	s_cbranch_execz .LBB335_121
; %bb.114:                              ;   in Loop: Header=BB335_9 Depth=1
	v_bfrev_b32_e32 v73, 1
	s_mov_b32 s28, exec_lo
	v_cmpx_ne_u16_e32 0x80, v2
	s_cbranch_execz .LBB335_120
; %bb.115:                              ;   in Loop: Header=BB335_9 Depth=1
	v_and_b32_e32 v2, 0xffff, v2
	v_mov_b32_e32 v73, 0x7f800001
	s_mov_b32 s29, exec_lo
	s_delay_alu instid0(VALU_DEP_2) | instskip(NEXT) | instid1(VALU_DEP_1)
	v_and_b32_e32 v74, 0x7f, v2
	v_cmpx_ne_u32_e32 0x7f, v74
	s_cbranch_execz .LBB335_119
; %bb.116:                              ;   in Loop: Header=BB335_9 Depth=1
	v_and_b32_e32 v2, 7, v2
	v_lshrrev_b32_e32 v73, 3, v74
	s_mov_b32 s30, exec_lo
	v_cmpx_gt_u32_e32 8, v74
; %bb.117:                              ;   in Loop: Header=BB335_9 Depth=1
	s_delay_alu instid0(VALU_DEP_3) | instskip(NEXT) | instid1(VALU_DEP_1)
	v_clz_i32_u32_e32 v73, v2
	v_min_u32_e32 v73, 32, v73
	s_delay_alu instid0(VALU_DEP_1) | instskip(NEXT) | instid1(VALU_DEP_1)
	v_subrev_nc_u32_e32 v74, 28, v73
	v_lshlrev_b64_e32 v[74:75], v74, v[2:3]
	s_delay_alu instid0(VALU_DEP_1)
	v_dual_sub_nc_u32 v73, 29, v73 :: v_dual_bitop2_b32 v2, 7, v74 bitop3:0x40
; %bb.118:                              ;   in Loop: Header=BB335_9 Depth=1
	s_or_b32 exec_lo, exec_lo, s30
	s_delay_alu instid0(VALU_DEP_1) | instskip(NEXT) | instid1(VALU_DEP_2)
	v_dual_lshlrev_b32 v74, 16, v76 :: v_dual_lshlrev_b32 v2, 20, v2
	v_lshl_add_u32 v73, v73, 23, 0x3c000000
	s_delay_alu instid0(VALU_DEP_2) | instskip(NEXT) | instid1(VALU_DEP_1)
	v_and_b32_e32 v74, 0x80000000, v74
	v_or3_b32 v73, v2, v74, v73
.LBB335_119:                            ;   in Loop: Header=BB335_9 Depth=1
	s_or_b32 exec_lo, exec_lo, s29
.LBB335_120:                            ;   in Loop: Header=BB335_9 Depth=1
	s_delay_alu instid0(SALU_CYCLE_1)
	s_or_b32 exec_lo, exec_lo, s28
.LBB335_121:                            ;   in Loop: Header=BB335_9 Depth=1
	s_delay_alu instid0(SALU_CYCLE_1) | instskip(SKIP_3) | instid1(VALU_DEP_2)
	s_or_b32 exec_lo, exec_lo, s27
	v_dual_mov_b32 v74, 0 :: v_dual_lshrrev_b32 v77, 16, v76
	v_mov_b32_e32 v75, 0
	s_mov_b32 s27, exec_lo
	v_and_b32_e32 v2, 0xff, v77
	s_delay_alu instid0(VALU_DEP_1)
	v_cmpx_ne_u16_e32 0, v2
	s_cbranch_execz .LBB335_129
; %bb.122:                              ;   in Loop: Header=BB335_9 Depth=1
	v_bfrev_b32_e32 v75, 1
	s_mov_b32 s28, exec_lo
	v_cmpx_ne_u16_e32 0x80, v2
	s_cbranch_execz .LBB335_128
; %bb.123:                              ;   in Loop: Header=BB335_9 Depth=1
	v_bfe_u32 v78, v76, 16, 7
	v_mov_b32_e32 v75, 0x7f800001
	s_mov_b32 s29, exec_lo
	s_delay_alu instid0(VALU_DEP_2)
	v_cmpx_ne_u32_e32 0x7f, v78
	s_cbranch_execz .LBB335_127
; %bb.124:                              ;   in Loop: Header=BB335_9 Depth=1
	v_dual_lshrrev_b32 v75, 3, v78 :: v_dual_bitop2_b32 v2, 7, v77 bitop3:0x40
	s_mov_b32 s30, exec_lo
	v_cmpx_gt_u32_e32 8, v78
; %bb.125:                              ;   in Loop: Header=BB335_9 Depth=1
	s_delay_alu instid0(VALU_DEP_2) | instskip(NEXT) | instid1(VALU_DEP_1)
	v_clz_i32_u32_e32 v75, v2
	v_min_u32_e32 v75, 32, v75
	s_delay_alu instid0(VALU_DEP_1) | instskip(NEXT) | instid1(VALU_DEP_1)
	v_subrev_nc_u32_e32 v78, 28, v75
	v_lshlrev_b64_e32 v[78:79], v78, v[2:3]
	s_delay_alu instid0(VALU_DEP_1)
	v_dual_sub_nc_u32 v75, 29, v75 :: v_dual_bitop2_b32 v2, 7, v78 bitop3:0x40
; %bb.126:                              ;   in Loop: Header=BB335_9 Depth=1
	s_or_b32 exec_lo, exec_lo, s30
	s_delay_alu instid0(VALU_DEP_1) | instskip(NEXT) | instid1(VALU_DEP_2)
	v_dual_lshlrev_b32 v77, 24, v77 :: v_dual_lshlrev_b32 v2, 20, v2
	v_lshl_add_u32 v75, v75, 23, 0x3c000000
	s_delay_alu instid0(VALU_DEP_2) | instskip(NEXT) | instid1(VALU_DEP_1)
	v_and_b32_e32 v77, 0x80000000, v77
	v_or3_b32 v75, v2, v77, v75
.LBB335_127:                            ;   in Loop: Header=BB335_9 Depth=1
	s_or_b32 exec_lo, exec_lo, s29
.LBB335_128:                            ;   in Loop: Header=BB335_9 Depth=1
	s_delay_alu instid0(SALU_CYCLE_1)
	s_or_b32 exec_lo, exec_lo, s28
.LBB335_129:                            ;   in Loop: Header=BB335_9 Depth=1
	s_delay_alu instid0(SALU_CYCLE_1) | instskip(NEXT) | instid1(SALU_CYCLE_1)
	s_or_b32 exec_lo, exec_lo, s27
	s_mov_b32 s27, exec_lo
	v_cmpx_lt_u32_e32 0xffffff, v76
	s_cbranch_execz .LBB335_137
; %bb.130:                              ;   in Loop: Header=BB335_9 Depth=1
	v_lshrrev_b32_e32 v77, 24, v76
	v_bfrev_b32_e32 v74, 1
	s_mov_b32 s28, exec_lo
	s_delay_alu instid0(VALU_DEP_2)
	v_cmpx_ne_u32_e32 0x80, v77
	s_cbranch_execz .LBB335_136
; %bb.131:                              ;   in Loop: Header=BB335_9 Depth=1
	v_bfe_u32 v76, v76, 24, 7
	v_mov_b32_e32 v74, 0x7f800001
	s_mov_b32 s29, exec_lo
	s_delay_alu instid0(VALU_DEP_2)
	v_cmpx_ne_u32_e32 0x7f, v76
	s_cbranch_execz .LBB335_135
; %bb.132:                              ;   in Loop: Header=BB335_9 Depth=1
	v_dual_lshrrev_b32 v74, 3, v76 :: v_dual_bitop2_b32 v2, 7, v77 bitop3:0x40
	s_mov_b32 s30, exec_lo
	v_cmpx_gt_u32_e32 8, v76
; %bb.133:                              ;   in Loop: Header=BB335_9 Depth=1
	s_delay_alu instid0(VALU_DEP_2) | instskip(NEXT) | instid1(VALU_DEP_1)
	v_clz_i32_u32_e32 v74, v2
	v_min_u32_e32 v74, 32, v74
	s_delay_alu instid0(VALU_DEP_1) | instskip(SKIP_1) | instid1(VALU_DEP_2)
	v_subrev_nc_u32_e32 v76, 28, v74
	v_sub_nc_u32_e32 v74, 29, v74
	v_lshlrev_b64_e32 v[78:79], v76, v[2:3]
	s_delay_alu instid0(VALU_DEP_1)
	v_and_b32_e32 v2, 7, v78
; %bb.134:                              ;   in Loop: Header=BB335_9 Depth=1
	s_or_b32 exec_lo, exec_lo, s30
	s_delay_alu instid0(VALU_DEP_1) | instskip(SKIP_1) | instid1(VALU_DEP_2)
	v_dual_lshlrev_b32 v76, 24, v77 :: v_dual_lshlrev_b32 v2, 20, v2
	v_lshl_add_u32 v74, v74, 23, 0x3c000000
	v_and_b32_e32 v76, 0x80000000, v76
	s_delay_alu instid0(VALU_DEP_1)
	v_or3_b32 v74, v2, v76, v74
.LBB335_135:                            ;   in Loop: Header=BB335_9 Depth=1
	s_or_b32 exec_lo, exec_lo, s29
.LBB335_136:                            ;   in Loop: Header=BB335_9 Depth=1
	s_delay_alu instid0(SALU_CYCLE_1)
	s_or_b32 exec_lo, exec_lo, s28
.LBB335_137:                            ;   in Loop: Header=BB335_9 Depth=1
	s_delay_alu instid0(SALU_CYCLE_1)
	s_or_b32 exec_lo, exec_lo, s27
	global_load_b32 v80, v[8:9], off offset:512
	v_dual_mov_b32 v77, 0 :: v_dual_mov_b32 v76, 0
	s_mov_b32 s27, exec_lo
	s_wait_loadcnt 0x0
	v_and_b32_e32 v2, 0xff, v80
	s_delay_alu instid0(VALU_DEP_1)
	v_cmpx_ne_u16_e32 0, v2
	s_cbranch_execz .LBB335_145
; %bb.138:                              ;   in Loop: Header=BB335_9 Depth=1
	v_bfrev_b32_e32 v76, 1
	s_mov_b32 s28, exec_lo
	v_cmpx_ne_u16_e32 0x80, v2
	s_cbranch_execz .LBB335_144
; %bb.139:                              ;   in Loop: Header=BB335_9 Depth=1
	v_and_b32_e32 v78, 0x7f, v80
	v_mov_b32_e32 v76, 0x7f800001
	s_mov_b32 s29, exec_lo
	s_delay_alu instid0(VALU_DEP_2)
	v_cmpx_ne_u32_e32 0x7f, v78
	s_cbranch_execz .LBB335_143
; %bb.140:                              ;   in Loop: Header=BB335_9 Depth=1
	v_dual_lshrrev_b32 v76, 3, v78 :: v_dual_bitop2_b32 v2, 7, v80 bitop3:0x40
	s_mov_b32 s30, exec_lo
	v_cmpx_gt_u32_e32 8, v78
; %bb.141:                              ;   in Loop: Header=BB335_9 Depth=1
	s_delay_alu instid0(VALU_DEP_2) | instskip(NEXT) | instid1(VALU_DEP_1)
	v_clz_i32_u32_e32 v76, v2
	v_min_u32_e32 v76, 32, v76
	s_delay_alu instid0(VALU_DEP_1) | instskip(NEXT) | instid1(VALU_DEP_1)
	v_subrev_nc_u32_e32 v78, 28, v76
	v_lshlrev_b64_e32 v[78:79], v78, v[2:3]
	s_delay_alu instid0(VALU_DEP_1)
	v_dual_sub_nc_u32 v76, 29, v76 :: v_dual_bitop2_b32 v2, 7, v78 bitop3:0x40
; %bb.142:                              ;   in Loop: Header=BB335_9 Depth=1
	s_or_b32 exec_lo, exec_lo, s30
	s_delay_alu instid0(VALU_DEP_1) | instskip(NEXT) | instid1(VALU_DEP_2)
	v_dual_lshlrev_b32 v78, 24, v80 :: v_dual_lshlrev_b32 v2, 20, v2
	v_lshl_add_u32 v76, v76, 23, 0x3c000000
	s_delay_alu instid0(VALU_DEP_2) | instskip(NEXT) | instid1(VALU_DEP_1)
	v_and_b32_e32 v78, 0x80000000, v78
	v_or3_b32 v76, v2, v78, v76
.LBB335_143:                            ;   in Loop: Header=BB335_9 Depth=1
	s_or_b32 exec_lo, exec_lo, s29
.LBB335_144:                            ;   in Loop: Header=BB335_9 Depth=1
	s_delay_alu instid0(SALU_CYCLE_1)
	s_or_b32 exec_lo, exec_lo, s28
.LBB335_145:                            ;   in Loop: Header=BB335_9 Depth=1
	s_delay_alu instid0(SALU_CYCLE_1) | instskip(SKIP_2) | instid1(VALU_DEP_1)
	s_or_b32 exec_lo, exec_lo, s27
	v_lshrrev_b16 v2, 8, v80
	s_mov_b32 s27, exec_lo
	v_cmpx_ne_u16_e32 0, v2
	s_cbranch_execz .LBB335_153
; %bb.146:                              ;   in Loop: Header=BB335_9 Depth=1
	v_bfrev_b32_e32 v77, 1
	s_mov_b32 s28, exec_lo
	v_cmpx_ne_u16_e32 0x80, v2
	s_cbranch_execz .LBB335_152
; %bb.147:                              ;   in Loop: Header=BB335_9 Depth=1
	v_and_b32_e32 v2, 0xffff, v2
	v_mov_b32_e32 v77, 0x7f800001
	s_mov_b32 s29, exec_lo
	s_delay_alu instid0(VALU_DEP_2) | instskip(NEXT) | instid1(VALU_DEP_1)
	v_and_b32_e32 v78, 0x7f, v2
	v_cmpx_ne_u32_e32 0x7f, v78
	s_cbranch_execz .LBB335_151
; %bb.148:                              ;   in Loop: Header=BB335_9 Depth=1
	v_and_b32_e32 v2, 7, v2
	v_lshrrev_b32_e32 v77, 3, v78
	s_mov_b32 s30, exec_lo
	v_cmpx_gt_u32_e32 8, v78
; %bb.149:                              ;   in Loop: Header=BB335_9 Depth=1
	s_delay_alu instid0(VALU_DEP_3) | instskip(NEXT) | instid1(VALU_DEP_1)
	v_clz_i32_u32_e32 v77, v2
	v_min_u32_e32 v77, 32, v77
	s_delay_alu instid0(VALU_DEP_1) | instskip(NEXT) | instid1(VALU_DEP_1)
	v_subrev_nc_u32_e32 v78, 28, v77
	v_lshlrev_b64_e32 v[78:79], v78, v[2:3]
	s_delay_alu instid0(VALU_DEP_1)
	v_dual_sub_nc_u32 v77, 29, v77 :: v_dual_bitop2_b32 v2, 7, v78 bitop3:0x40
; %bb.150:                              ;   in Loop: Header=BB335_9 Depth=1
	s_or_b32 exec_lo, exec_lo, s30
	s_delay_alu instid0(VALU_DEP_1) | instskip(NEXT) | instid1(VALU_DEP_2)
	v_dual_lshlrev_b32 v78, 16, v80 :: v_dual_lshlrev_b32 v2, 20, v2
	v_lshl_add_u32 v77, v77, 23, 0x3c000000
	s_delay_alu instid0(VALU_DEP_2) | instskip(NEXT) | instid1(VALU_DEP_1)
	v_and_b32_e32 v78, 0x80000000, v78
	v_or3_b32 v77, v2, v78, v77
.LBB335_151:                            ;   in Loop: Header=BB335_9 Depth=1
	s_or_b32 exec_lo, exec_lo, s29
.LBB335_152:                            ;   in Loop: Header=BB335_9 Depth=1
	s_delay_alu instid0(SALU_CYCLE_1)
	s_or_b32 exec_lo, exec_lo, s28
.LBB335_153:                            ;   in Loop: Header=BB335_9 Depth=1
	s_delay_alu instid0(SALU_CYCLE_1) | instskip(SKIP_3) | instid1(VALU_DEP_2)
	s_or_b32 exec_lo, exec_lo, s27
	v_dual_mov_b32 v78, 0 :: v_dual_lshrrev_b32 v81, 16, v80
	v_mov_b32_e32 v79, 0
	s_mov_b32 s27, exec_lo
	v_and_b32_e32 v2, 0xff, v81
	s_delay_alu instid0(VALU_DEP_1)
	v_cmpx_ne_u16_e32 0, v2
	s_cbranch_execz .LBB335_161
; %bb.154:                              ;   in Loop: Header=BB335_9 Depth=1
	v_bfrev_b32_e32 v79, 1
	s_mov_b32 s28, exec_lo
	v_cmpx_ne_u16_e32 0x80, v2
	s_cbranch_execz .LBB335_160
; %bb.155:                              ;   in Loop: Header=BB335_9 Depth=1
	v_bfe_u32 v82, v80, 16, 7
	v_mov_b32_e32 v79, 0x7f800001
	s_mov_b32 s29, exec_lo
	s_delay_alu instid0(VALU_DEP_2)
	v_cmpx_ne_u32_e32 0x7f, v82
	s_cbranch_execz .LBB335_159
; %bb.156:                              ;   in Loop: Header=BB335_9 Depth=1
	v_dual_lshrrev_b32 v79, 3, v82 :: v_dual_bitop2_b32 v2, 7, v81 bitop3:0x40
	s_mov_b32 s30, exec_lo
	v_cmpx_gt_u32_e32 8, v82
; %bb.157:                              ;   in Loop: Header=BB335_9 Depth=1
	s_delay_alu instid0(VALU_DEP_2) | instskip(NEXT) | instid1(VALU_DEP_1)
	v_clz_i32_u32_e32 v79, v2
	v_min_u32_e32 v79, 32, v79
	s_delay_alu instid0(VALU_DEP_1) | instskip(NEXT) | instid1(VALU_DEP_1)
	v_subrev_nc_u32_e32 v82, 28, v79
	v_lshlrev_b64_e32 v[82:83], v82, v[2:3]
	s_delay_alu instid0(VALU_DEP_1)
	v_dual_sub_nc_u32 v79, 29, v79 :: v_dual_bitop2_b32 v2, 7, v82 bitop3:0x40
; %bb.158:                              ;   in Loop: Header=BB335_9 Depth=1
	s_or_b32 exec_lo, exec_lo, s30
	s_delay_alu instid0(VALU_DEP_1) | instskip(NEXT) | instid1(VALU_DEP_2)
	v_dual_lshlrev_b32 v81, 24, v81 :: v_dual_lshlrev_b32 v2, 20, v2
	v_lshl_add_u32 v79, v79, 23, 0x3c000000
	s_delay_alu instid0(VALU_DEP_2) | instskip(NEXT) | instid1(VALU_DEP_1)
	v_and_b32_e32 v81, 0x80000000, v81
	v_or3_b32 v79, v2, v81, v79
.LBB335_159:                            ;   in Loop: Header=BB335_9 Depth=1
	s_or_b32 exec_lo, exec_lo, s29
.LBB335_160:                            ;   in Loop: Header=BB335_9 Depth=1
	s_delay_alu instid0(SALU_CYCLE_1)
	s_or_b32 exec_lo, exec_lo, s28
.LBB335_161:                            ;   in Loop: Header=BB335_9 Depth=1
	s_delay_alu instid0(SALU_CYCLE_1) | instskip(NEXT) | instid1(SALU_CYCLE_1)
	s_or_b32 exec_lo, exec_lo, s27
	s_mov_b32 s27, exec_lo
	v_cmpx_lt_u32_e32 0xffffff, v80
	s_cbranch_execz .LBB335_169
; %bb.162:                              ;   in Loop: Header=BB335_9 Depth=1
	v_lshrrev_b32_e32 v81, 24, v80
	v_bfrev_b32_e32 v78, 1
	s_mov_b32 s28, exec_lo
	s_delay_alu instid0(VALU_DEP_2)
	v_cmpx_ne_u32_e32 0x80, v81
	s_cbranch_execz .LBB335_168
; %bb.163:                              ;   in Loop: Header=BB335_9 Depth=1
	v_bfe_u32 v80, v80, 24, 7
	v_mov_b32_e32 v78, 0x7f800001
	s_mov_b32 s29, exec_lo
	s_delay_alu instid0(VALU_DEP_2)
	v_cmpx_ne_u32_e32 0x7f, v80
	s_cbranch_execz .LBB335_167
; %bb.164:                              ;   in Loop: Header=BB335_9 Depth=1
	v_dual_lshrrev_b32 v78, 3, v80 :: v_dual_bitop2_b32 v2, 7, v81 bitop3:0x40
	s_mov_b32 s30, exec_lo
	v_cmpx_gt_u32_e32 8, v80
; %bb.165:                              ;   in Loop: Header=BB335_9 Depth=1
	s_delay_alu instid0(VALU_DEP_2) | instskip(NEXT) | instid1(VALU_DEP_1)
	v_clz_i32_u32_e32 v78, v2
	v_min_u32_e32 v78, 32, v78
	s_delay_alu instid0(VALU_DEP_1) | instskip(SKIP_1) | instid1(VALU_DEP_2)
	v_subrev_nc_u32_e32 v80, 28, v78
	v_sub_nc_u32_e32 v78, 29, v78
	v_lshlrev_b64_e32 v[82:83], v80, v[2:3]
	s_delay_alu instid0(VALU_DEP_1)
	v_and_b32_e32 v2, 7, v82
; %bb.166:                              ;   in Loop: Header=BB335_9 Depth=1
	s_or_b32 exec_lo, exec_lo, s30
	s_delay_alu instid0(VALU_DEP_1) | instskip(SKIP_1) | instid1(VALU_DEP_2)
	v_dual_lshlrev_b32 v80, 24, v81 :: v_dual_lshlrev_b32 v2, 20, v2
	v_lshl_add_u32 v78, v78, 23, 0x3c000000
	v_and_b32_e32 v80, 0x80000000, v80
	s_delay_alu instid0(VALU_DEP_1)
	v_or3_b32 v78, v2, v80, v78
.LBB335_167:                            ;   in Loop: Header=BB335_9 Depth=1
	s_or_b32 exec_lo, exec_lo, s29
.LBB335_168:                            ;   in Loop: Header=BB335_9 Depth=1
	s_delay_alu instid0(SALU_CYCLE_1)
	s_or_b32 exec_lo, exec_lo, s28
.LBB335_169:                            ;   in Loop: Header=BB335_9 Depth=1
	s_delay_alu instid0(SALU_CYCLE_1)
	s_or_b32 exec_lo, exec_lo, s27
	global_load_b32 v84, v[8:9], off offset:520
	v_dual_mov_b32 v81, 0 :: v_dual_mov_b32 v80, 0
	s_mov_b32 s27, exec_lo
	s_wait_loadcnt 0x0
	v_and_b32_e32 v2, 0xff, v84
	s_delay_alu instid0(VALU_DEP_1)
	v_cmpx_ne_u16_e32 0, v2
	s_cbranch_execz .LBB335_177
; %bb.170:                              ;   in Loop: Header=BB335_9 Depth=1
	v_bfrev_b32_e32 v80, 1
	s_mov_b32 s28, exec_lo
	v_cmpx_ne_u16_e32 0x80, v2
	s_cbranch_execz .LBB335_176
; %bb.171:                              ;   in Loop: Header=BB335_9 Depth=1
	v_and_b32_e32 v82, 0x7f, v84
	v_mov_b32_e32 v80, 0x7f800001
	s_mov_b32 s29, exec_lo
	s_delay_alu instid0(VALU_DEP_2)
	v_cmpx_ne_u32_e32 0x7f, v82
	s_cbranch_execz .LBB335_175
; %bb.172:                              ;   in Loop: Header=BB335_9 Depth=1
	v_dual_lshrrev_b32 v80, 3, v82 :: v_dual_bitop2_b32 v2, 7, v84 bitop3:0x40
	s_mov_b32 s30, exec_lo
	v_cmpx_gt_u32_e32 8, v82
; %bb.173:                              ;   in Loop: Header=BB335_9 Depth=1
	s_delay_alu instid0(VALU_DEP_2) | instskip(NEXT) | instid1(VALU_DEP_1)
	v_clz_i32_u32_e32 v80, v2
	v_min_u32_e32 v80, 32, v80
	s_delay_alu instid0(VALU_DEP_1) | instskip(NEXT) | instid1(VALU_DEP_1)
	v_subrev_nc_u32_e32 v82, 28, v80
	v_lshlrev_b64_e32 v[82:83], v82, v[2:3]
	s_delay_alu instid0(VALU_DEP_1)
	v_dual_sub_nc_u32 v80, 29, v80 :: v_dual_bitop2_b32 v2, 7, v82 bitop3:0x40
; %bb.174:                              ;   in Loop: Header=BB335_9 Depth=1
	s_or_b32 exec_lo, exec_lo, s30
	s_delay_alu instid0(VALU_DEP_1) | instskip(NEXT) | instid1(VALU_DEP_2)
	v_dual_lshlrev_b32 v82, 24, v84 :: v_dual_lshlrev_b32 v2, 20, v2
	v_lshl_add_u32 v80, v80, 23, 0x3c000000
	s_delay_alu instid0(VALU_DEP_2) | instskip(NEXT) | instid1(VALU_DEP_1)
	v_and_b32_e32 v82, 0x80000000, v82
	v_or3_b32 v80, v2, v82, v80
.LBB335_175:                            ;   in Loop: Header=BB335_9 Depth=1
	s_or_b32 exec_lo, exec_lo, s29
.LBB335_176:                            ;   in Loop: Header=BB335_9 Depth=1
	s_delay_alu instid0(SALU_CYCLE_1)
	s_or_b32 exec_lo, exec_lo, s28
.LBB335_177:                            ;   in Loop: Header=BB335_9 Depth=1
	s_delay_alu instid0(SALU_CYCLE_1) | instskip(SKIP_2) | instid1(VALU_DEP_1)
	s_or_b32 exec_lo, exec_lo, s27
	v_lshrrev_b16 v2, 8, v84
	s_mov_b32 s27, exec_lo
	v_cmpx_ne_u16_e32 0, v2
	s_cbranch_execz .LBB335_185
; %bb.178:                              ;   in Loop: Header=BB335_9 Depth=1
	v_bfrev_b32_e32 v81, 1
	s_mov_b32 s28, exec_lo
	v_cmpx_ne_u16_e32 0x80, v2
	s_cbranch_execz .LBB335_184
; %bb.179:                              ;   in Loop: Header=BB335_9 Depth=1
	v_and_b32_e32 v2, 0xffff, v2
	v_mov_b32_e32 v81, 0x7f800001
	s_mov_b32 s29, exec_lo
	s_delay_alu instid0(VALU_DEP_2) | instskip(NEXT) | instid1(VALU_DEP_1)
	v_and_b32_e32 v82, 0x7f, v2
	v_cmpx_ne_u32_e32 0x7f, v82
	s_cbranch_execz .LBB335_183
; %bb.180:                              ;   in Loop: Header=BB335_9 Depth=1
	v_and_b32_e32 v2, 7, v2
	v_lshrrev_b32_e32 v81, 3, v82
	s_mov_b32 s30, exec_lo
	v_cmpx_gt_u32_e32 8, v82
; %bb.181:                              ;   in Loop: Header=BB335_9 Depth=1
	s_delay_alu instid0(VALU_DEP_3) | instskip(NEXT) | instid1(VALU_DEP_1)
	v_clz_i32_u32_e32 v81, v2
	v_min_u32_e32 v81, 32, v81
	s_delay_alu instid0(VALU_DEP_1) | instskip(NEXT) | instid1(VALU_DEP_1)
	v_subrev_nc_u32_e32 v82, 28, v81
	v_lshlrev_b64_e32 v[82:83], v82, v[2:3]
	s_delay_alu instid0(VALU_DEP_1)
	v_dual_sub_nc_u32 v81, 29, v81 :: v_dual_bitop2_b32 v2, 7, v82 bitop3:0x40
; %bb.182:                              ;   in Loop: Header=BB335_9 Depth=1
	s_or_b32 exec_lo, exec_lo, s30
	s_delay_alu instid0(VALU_DEP_1) | instskip(NEXT) | instid1(VALU_DEP_2)
	v_dual_lshlrev_b32 v82, 16, v84 :: v_dual_lshlrev_b32 v2, 20, v2
	v_lshl_add_u32 v81, v81, 23, 0x3c000000
	s_delay_alu instid0(VALU_DEP_2) | instskip(NEXT) | instid1(VALU_DEP_1)
	v_and_b32_e32 v82, 0x80000000, v82
	v_or3_b32 v81, v2, v82, v81
.LBB335_183:                            ;   in Loop: Header=BB335_9 Depth=1
	s_or_b32 exec_lo, exec_lo, s29
.LBB335_184:                            ;   in Loop: Header=BB335_9 Depth=1
	s_delay_alu instid0(SALU_CYCLE_1)
	s_or_b32 exec_lo, exec_lo, s28
.LBB335_185:                            ;   in Loop: Header=BB335_9 Depth=1
	s_delay_alu instid0(SALU_CYCLE_1) | instskip(SKIP_3) | instid1(VALU_DEP_2)
	s_or_b32 exec_lo, exec_lo, s27
	v_dual_mov_b32 v82, 0 :: v_dual_lshrrev_b32 v85, 16, v84
	v_mov_b32_e32 v83, 0
	s_mov_b32 s27, exec_lo
	v_and_b32_e32 v2, 0xff, v85
	s_delay_alu instid0(VALU_DEP_1)
	v_cmpx_ne_u16_e32 0, v2
	s_cbranch_execz .LBB335_193
; %bb.186:                              ;   in Loop: Header=BB335_9 Depth=1
	v_bfrev_b32_e32 v83, 1
	s_mov_b32 s28, exec_lo
	v_cmpx_ne_u16_e32 0x80, v2
	s_cbranch_execz .LBB335_192
; %bb.187:                              ;   in Loop: Header=BB335_9 Depth=1
	v_bfe_u32 v86, v84, 16, 7
	v_mov_b32_e32 v83, 0x7f800001
	s_mov_b32 s29, exec_lo
	s_delay_alu instid0(VALU_DEP_2)
	v_cmpx_ne_u32_e32 0x7f, v86
	s_cbranch_execz .LBB335_191
; %bb.188:                              ;   in Loop: Header=BB335_9 Depth=1
	v_dual_lshrrev_b32 v83, 3, v86 :: v_dual_bitop2_b32 v2, 7, v85 bitop3:0x40
	s_mov_b32 s30, exec_lo
	v_cmpx_gt_u32_e32 8, v86
; %bb.189:                              ;   in Loop: Header=BB335_9 Depth=1
	s_delay_alu instid0(VALU_DEP_2) | instskip(NEXT) | instid1(VALU_DEP_1)
	v_clz_i32_u32_e32 v83, v2
	v_min_u32_e32 v83, 32, v83
	s_delay_alu instid0(VALU_DEP_1) | instskip(NEXT) | instid1(VALU_DEP_1)
	v_subrev_nc_u32_e32 v86, 28, v83
	v_lshlrev_b64_e32 v[86:87], v86, v[2:3]
	s_delay_alu instid0(VALU_DEP_1)
	v_dual_sub_nc_u32 v83, 29, v83 :: v_dual_bitop2_b32 v2, 7, v86 bitop3:0x40
; %bb.190:                              ;   in Loop: Header=BB335_9 Depth=1
	s_or_b32 exec_lo, exec_lo, s30
	s_delay_alu instid0(VALU_DEP_1) | instskip(NEXT) | instid1(VALU_DEP_2)
	v_dual_lshlrev_b32 v85, 24, v85 :: v_dual_lshlrev_b32 v2, 20, v2
	v_lshl_add_u32 v83, v83, 23, 0x3c000000
	s_delay_alu instid0(VALU_DEP_2) | instskip(NEXT) | instid1(VALU_DEP_1)
	v_and_b32_e32 v85, 0x80000000, v85
	v_or3_b32 v83, v2, v85, v83
.LBB335_191:                            ;   in Loop: Header=BB335_9 Depth=1
	s_or_b32 exec_lo, exec_lo, s29
.LBB335_192:                            ;   in Loop: Header=BB335_9 Depth=1
	s_delay_alu instid0(SALU_CYCLE_1)
	s_or_b32 exec_lo, exec_lo, s28
.LBB335_193:                            ;   in Loop: Header=BB335_9 Depth=1
	s_delay_alu instid0(SALU_CYCLE_1) | instskip(NEXT) | instid1(SALU_CYCLE_1)
	s_or_b32 exec_lo, exec_lo, s27
	s_mov_b32 s27, exec_lo
	v_cmpx_lt_u32_e32 0xffffff, v84
	s_cbranch_execz .LBB335_201
; %bb.194:                              ;   in Loop: Header=BB335_9 Depth=1
	v_lshrrev_b32_e32 v85, 24, v84
	v_bfrev_b32_e32 v82, 1
	s_mov_b32 s28, exec_lo
	s_delay_alu instid0(VALU_DEP_2)
	v_cmpx_ne_u32_e32 0x80, v85
	s_cbranch_execz .LBB335_200
; %bb.195:                              ;   in Loop: Header=BB335_9 Depth=1
	v_bfe_u32 v84, v84, 24, 7
	v_mov_b32_e32 v82, 0x7f800001
	s_mov_b32 s29, exec_lo
	s_delay_alu instid0(VALU_DEP_2)
	v_cmpx_ne_u32_e32 0x7f, v84
	s_cbranch_execz .LBB335_199
; %bb.196:                              ;   in Loop: Header=BB335_9 Depth=1
	v_dual_lshrrev_b32 v82, 3, v84 :: v_dual_bitop2_b32 v2, 7, v85 bitop3:0x40
	s_mov_b32 s30, exec_lo
	v_cmpx_gt_u32_e32 8, v84
; %bb.197:                              ;   in Loop: Header=BB335_9 Depth=1
	s_delay_alu instid0(VALU_DEP_2) | instskip(NEXT) | instid1(VALU_DEP_1)
	v_clz_i32_u32_e32 v82, v2
	v_min_u32_e32 v82, 32, v82
	s_delay_alu instid0(VALU_DEP_1) | instskip(SKIP_1) | instid1(VALU_DEP_2)
	v_subrev_nc_u32_e32 v84, 28, v82
	v_sub_nc_u32_e32 v82, 29, v82
	v_lshlrev_b64_e32 v[86:87], v84, v[2:3]
	s_delay_alu instid0(VALU_DEP_1)
	v_and_b32_e32 v2, 7, v86
; %bb.198:                              ;   in Loop: Header=BB335_9 Depth=1
	s_or_b32 exec_lo, exec_lo, s30
	s_delay_alu instid0(VALU_DEP_1) | instskip(SKIP_1) | instid1(VALU_DEP_2)
	v_dual_lshlrev_b32 v84, 24, v85 :: v_dual_lshlrev_b32 v2, 20, v2
	v_lshl_add_u32 v82, v82, 23, 0x3c000000
	v_and_b32_e32 v84, 0x80000000, v84
	s_delay_alu instid0(VALU_DEP_1)
	v_or3_b32 v82, v2, v84, v82
.LBB335_199:                            ;   in Loop: Header=BB335_9 Depth=1
	s_or_b32 exec_lo, exec_lo, s29
.LBB335_200:                            ;   in Loop: Header=BB335_9 Depth=1
	s_delay_alu instid0(SALU_CYCLE_1)
	s_or_b32 exec_lo, exec_lo, s28
.LBB335_201:                            ;   in Loop: Header=BB335_9 Depth=1
	s_delay_alu instid0(SALU_CYCLE_1)
	s_or_b32 exec_lo, exec_lo, s27
	global_load_b32 v88, v[8:9], off offset:768
	v_dual_mov_b32 v85, 0 :: v_dual_mov_b32 v84, 0
	s_mov_b32 s27, exec_lo
	s_wait_loadcnt 0x0
	v_and_b32_e32 v2, 0xff, v88
	s_delay_alu instid0(VALU_DEP_1)
	v_cmpx_ne_u16_e32 0, v2
	s_cbranch_execz .LBB335_209
; %bb.202:                              ;   in Loop: Header=BB335_9 Depth=1
	v_bfrev_b32_e32 v84, 1
	s_mov_b32 s28, exec_lo
	v_cmpx_ne_u16_e32 0x80, v2
	s_cbranch_execz .LBB335_208
; %bb.203:                              ;   in Loop: Header=BB335_9 Depth=1
	v_and_b32_e32 v86, 0x7f, v88
	v_mov_b32_e32 v84, 0x7f800001
	s_mov_b32 s29, exec_lo
	s_delay_alu instid0(VALU_DEP_2)
	v_cmpx_ne_u32_e32 0x7f, v86
	s_cbranch_execz .LBB335_207
; %bb.204:                              ;   in Loop: Header=BB335_9 Depth=1
	v_dual_lshrrev_b32 v84, 3, v86 :: v_dual_bitop2_b32 v2, 7, v88 bitop3:0x40
	s_mov_b32 s30, exec_lo
	v_cmpx_gt_u32_e32 8, v86
; %bb.205:                              ;   in Loop: Header=BB335_9 Depth=1
	s_delay_alu instid0(VALU_DEP_2) | instskip(NEXT) | instid1(VALU_DEP_1)
	v_clz_i32_u32_e32 v84, v2
	v_min_u32_e32 v84, 32, v84
	s_delay_alu instid0(VALU_DEP_1) | instskip(NEXT) | instid1(VALU_DEP_1)
	v_subrev_nc_u32_e32 v86, 28, v84
	v_lshlrev_b64_e32 v[86:87], v86, v[2:3]
	s_delay_alu instid0(VALU_DEP_1)
	v_dual_sub_nc_u32 v84, 29, v84 :: v_dual_bitop2_b32 v2, 7, v86 bitop3:0x40
; %bb.206:                              ;   in Loop: Header=BB335_9 Depth=1
	s_or_b32 exec_lo, exec_lo, s30
	s_delay_alu instid0(VALU_DEP_1) | instskip(NEXT) | instid1(VALU_DEP_2)
	v_dual_lshlrev_b32 v86, 24, v88 :: v_dual_lshlrev_b32 v2, 20, v2
	v_lshl_add_u32 v84, v84, 23, 0x3c000000
	s_delay_alu instid0(VALU_DEP_2) | instskip(NEXT) | instid1(VALU_DEP_1)
	v_and_b32_e32 v86, 0x80000000, v86
	v_or3_b32 v84, v2, v86, v84
.LBB335_207:                            ;   in Loop: Header=BB335_9 Depth=1
	s_or_b32 exec_lo, exec_lo, s29
.LBB335_208:                            ;   in Loop: Header=BB335_9 Depth=1
	s_delay_alu instid0(SALU_CYCLE_1)
	s_or_b32 exec_lo, exec_lo, s28
.LBB335_209:                            ;   in Loop: Header=BB335_9 Depth=1
	s_delay_alu instid0(SALU_CYCLE_1) | instskip(SKIP_2) | instid1(VALU_DEP_1)
	s_or_b32 exec_lo, exec_lo, s27
	v_lshrrev_b16 v2, 8, v88
	s_mov_b32 s27, exec_lo
	v_cmpx_ne_u16_e32 0, v2
	s_cbranch_execz .LBB335_217
; %bb.210:                              ;   in Loop: Header=BB335_9 Depth=1
	v_bfrev_b32_e32 v85, 1
	s_mov_b32 s28, exec_lo
	v_cmpx_ne_u16_e32 0x80, v2
	s_cbranch_execz .LBB335_216
; %bb.211:                              ;   in Loop: Header=BB335_9 Depth=1
	v_and_b32_e32 v2, 0xffff, v2
	v_mov_b32_e32 v85, 0x7f800001
	s_mov_b32 s29, exec_lo
	s_delay_alu instid0(VALU_DEP_2) | instskip(NEXT) | instid1(VALU_DEP_1)
	v_and_b32_e32 v86, 0x7f, v2
	v_cmpx_ne_u32_e32 0x7f, v86
	s_cbranch_execz .LBB335_215
; %bb.212:                              ;   in Loop: Header=BB335_9 Depth=1
	v_and_b32_e32 v2, 7, v2
	v_lshrrev_b32_e32 v85, 3, v86
	s_mov_b32 s30, exec_lo
	v_cmpx_gt_u32_e32 8, v86
; %bb.213:                              ;   in Loop: Header=BB335_9 Depth=1
	s_delay_alu instid0(VALU_DEP_3) | instskip(NEXT) | instid1(VALU_DEP_1)
	v_clz_i32_u32_e32 v85, v2
	v_min_u32_e32 v85, 32, v85
	s_delay_alu instid0(VALU_DEP_1) | instskip(NEXT) | instid1(VALU_DEP_1)
	v_subrev_nc_u32_e32 v86, 28, v85
	v_lshlrev_b64_e32 v[86:87], v86, v[2:3]
	s_delay_alu instid0(VALU_DEP_1)
	v_dual_sub_nc_u32 v85, 29, v85 :: v_dual_bitop2_b32 v2, 7, v86 bitop3:0x40
; %bb.214:                              ;   in Loop: Header=BB335_9 Depth=1
	s_or_b32 exec_lo, exec_lo, s30
	s_delay_alu instid0(VALU_DEP_1) | instskip(NEXT) | instid1(VALU_DEP_2)
	v_dual_lshlrev_b32 v86, 16, v88 :: v_dual_lshlrev_b32 v2, 20, v2
	v_lshl_add_u32 v85, v85, 23, 0x3c000000
	s_delay_alu instid0(VALU_DEP_2) | instskip(NEXT) | instid1(VALU_DEP_1)
	v_and_b32_e32 v86, 0x80000000, v86
	v_or3_b32 v85, v2, v86, v85
.LBB335_215:                            ;   in Loop: Header=BB335_9 Depth=1
	s_or_b32 exec_lo, exec_lo, s29
.LBB335_216:                            ;   in Loop: Header=BB335_9 Depth=1
	s_delay_alu instid0(SALU_CYCLE_1)
	s_or_b32 exec_lo, exec_lo, s28
.LBB335_217:                            ;   in Loop: Header=BB335_9 Depth=1
	s_delay_alu instid0(SALU_CYCLE_1) | instskip(SKIP_3) | instid1(VALU_DEP_2)
	s_or_b32 exec_lo, exec_lo, s27
	v_dual_mov_b32 v86, 0 :: v_dual_lshrrev_b32 v89, 16, v88
	v_mov_b32_e32 v87, 0
	s_mov_b32 s27, exec_lo
	v_and_b32_e32 v2, 0xff, v89
	s_delay_alu instid0(VALU_DEP_1)
	v_cmpx_ne_u16_e32 0, v2
	s_cbranch_execz .LBB335_225
; %bb.218:                              ;   in Loop: Header=BB335_9 Depth=1
	v_bfrev_b32_e32 v87, 1
	s_mov_b32 s28, exec_lo
	v_cmpx_ne_u16_e32 0x80, v2
	s_cbranch_execz .LBB335_224
; %bb.219:                              ;   in Loop: Header=BB335_9 Depth=1
	v_bfe_u32 v90, v88, 16, 7
	v_mov_b32_e32 v87, 0x7f800001
	s_mov_b32 s29, exec_lo
	s_delay_alu instid0(VALU_DEP_2)
	v_cmpx_ne_u32_e32 0x7f, v90
	s_cbranch_execz .LBB335_223
; %bb.220:                              ;   in Loop: Header=BB335_9 Depth=1
	v_dual_lshrrev_b32 v87, 3, v90 :: v_dual_bitop2_b32 v2, 7, v89 bitop3:0x40
	s_mov_b32 s30, exec_lo
	v_cmpx_gt_u32_e32 8, v90
; %bb.221:                              ;   in Loop: Header=BB335_9 Depth=1
	s_delay_alu instid0(VALU_DEP_2) | instskip(NEXT) | instid1(VALU_DEP_1)
	v_clz_i32_u32_e32 v87, v2
	v_min_u32_e32 v87, 32, v87
	s_delay_alu instid0(VALU_DEP_1) | instskip(NEXT) | instid1(VALU_DEP_1)
	v_subrev_nc_u32_e32 v90, 28, v87
	v_lshlrev_b64_e32 v[90:91], v90, v[2:3]
	s_delay_alu instid0(VALU_DEP_1)
	v_dual_sub_nc_u32 v87, 29, v87 :: v_dual_bitop2_b32 v2, 7, v90 bitop3:0x40
; %bb.222:                              ;   in Loop: Header=BB335_9 Depth=1
	s_or_b32 exec_lo, exec_lo, s30
	s_delay_alu instid0(VALU_DEP_1) | instskip(NEXT) | instid1(VALU_DEP_2)
	v_dual_lshlrev_b32 v89, 24, v89 :: v_dual_lshlrev_b32 v2, 20, v2
	v_lshl_add_u32 v87, v87, 23, 0x3c000000
	s_delay_alu instid0(VALU_DEP_2) | instskip(NEXT) | instid1(VALU_DEP_1)
	v_and_b32_e32 v89, 0x80000000, v89
	v_or3_b32 v87, v2, v89, v87
.LBB335_223:                            ;   in Loop: Header=BB335_9 Depth=1
	s_or_b32 exec_lo, exec_lo, s29
.LBB335_224:                            ;   in Loop: Header=BB335_9 Depth=1
	s_delay_alu instid0(SALU_CYCLE_1)
	s_or_b32 exec_lo, exec_lo, s28
.LBB335_225:                            ;   in Loop: Header=BB335_9 Depth=1
	s_delay_alu instid0(SALU_CYCLE_1) | instskip(NEXT) | instid1(SALU_CYCLE_1)
	s_or_b32 exec_lo, exec_lo, s27
	s_mov_b32 s27, exec_lo
	v_cmpx_lt_u32_e32 0xffffff, v88
	s_cbranch_execz .LBB335_233
; %bb.226:                              ;   in Loop: Header=BB335_9 Depth=1
	v_lshrrev_b32_e32 v89, 24, v88
	v_bfrev_b32_e32 v86, 1
	s_mov_b32 s28, exec_lo
	s_delay_alu instid0(VALU_DEP_2)
	v_cmpx_ne_u32_e32 0x80, v89
	s_cbranch_execz .LBB335_232
; %bb.227:                              ;   in Loop: Header=BB335_9 Depth=1
	v_bfe_u32 v88, v88, 24, 7
	v_mov_b32_e32 v86, 0x7f800001
	s_mov_b32 s29, exec_lo
	s_delay_alu instid0(VALU_DEP_2)
	v_cmpx_ne_u32_e32 0x7f, v88
	s_cbranch_execz .LBB335_231
; %bb.228:                              ;   in Loop: Header=BB335_9 Depth=1
	v_dual_lshrrev_b32 v86, 3, v88 :: v_dual_bitop2_b32 v2, 7, v89 bitop3:0x40
	s_mov_b32 s30, exec_lo
	v_cmpx_gt_u32_e32 8, v88
; %bb.229:                              ;   in Loop: Header=BB335_9 Depth=1
	s_delay_alu instid0(VALU_DEP_2) | instskip(NEXT) | instid1(VALU_DEP_1)
	v_clz_i32_u32_e32 v86, v2
	v_min_u32_e32 v86, 32, v86
	s_delay_alu instid0(VALU_DEP_1) | instskip(SKIP_1) | instid1(VALU_DEP_2)
	v_subrev_nc_u32_e32 v88, 28, v86
	v_sub_nc_u32_e32 v86, 29, v86
	v_lshlrev_b64_e32 v[90:91], v88, v[2:3]
	s_delay_alu instid0(VALU_DEP_1)
	v_and_b32_e32 v2, 7, v90
; %bb.230:                              ;   in Loop: Header=BB335_9 Depth=1
	s_or_b32 exec_lo, exec_lo, s30
	s_delay_alu instid0(VALU_DEP_1) | instskip(SKIP_1) | instid1(VALU_DEP_2)
	v_dual_lshlrev_b32 v88, 24, v89 :: v_dual_lshlrev_b32 v2, 20, v2
	v_lshl_add_u32 v86, v86, 23, 0x3c000000
	v_and_b32_e32 v88, 0x80000000, v88
	s_delay_alu instid0(VALU_DEP_1)
	v_or3_b32 v86, v2, v88, v86
.LBB335_231:                            ;   in Loop: Header=BB335_9 Depth=1
	s_or_b32 exec_lo, exec_lo, s29
.LBB335_232:                            ;   in Loop: Header=BB335_9 Depth=1
	s_delay_alu instid0(SALU_CYCLE_1)
	s_or_b32 exec_lo, exec_lo, s28
.LBB335_233:                            ;   in Loop: Header=BB335_9 Depth=1
	s_delay_alu instid0(SALU_CYCLE_1)
	s_or_b32 exec_lo, exec_lo, s27
	global_load_b32 v92, v[8:9], off offset:776
	v_dual_mov_b32 v89, 0 :: v_dual_mov_b32 v88, 0
	s_mov_b32 s27, exec_lo
	s_wait_loadcnt 0x0
	v_and_b32_e32 v2, 0xff, v92
	s_delay_alu instid0(VALU_DEP_1)
	v_cmpx_ne_u16_e32 0, v2
	s_cbranch_execz .LBB335_241
; %bb.234:                              ;   in Loop: Header=BB335_9 Depth=1
	v_bfrev_b32_e32 v88, 1
	s_mov_b32 s28, exec_lo
	v_cmpx_ne_u16_e32 0x80, v2
	s_cbranch_execz .LBB335_240
; %bb.235:                              ;   in Loop: Header=BB335_9 Depth=1
	v_and_b32_e32 v90, 0x7f, v92
	v_mov_b32_e32 v88, 0x7f800001
	s_mov_b32 s29, exec_lo
	s_delay_alu instid0(VALU_DEP_2)
	v_cmpx_ne_u32_e32 0x7f, v90
	s_cbranch_execz .LBB335_239
; %bb.236:                              ;   in Loop: Header=BB335_9 Depth=1
	v_dual_lshrrev_b32 v88, 3, v90 :: v_dual_bitop2_b32 v2, 7, v92 bitop3:0x40
	s_mov_b32 s30, exec_lo
	v_cmpx_gt_u32_e32 8, v90
; %bb.237:                              ;   in Loop: Header=BB335_9 Depth=1
	s_delay_alu instid0(VALU_DEP_2) | instskip(NEXT) | instid1(VALU_DEP_1)
	v_clz_i32_u32_e32 v88, v2
	v_min_u32_e32 v88, 32, v88
	s_delay_alu instid0(VALU_DEP_1) | instskip(NEXT) | instid1(VALU_DEP_1)
	v_subrev_nc_u32_e32 v90, 28, v88
	v_lshlrev_b64_e32 v[90:91], v90, v[2:3]
	s_delay_alu instid0(VALU_DEP_1)
	v_dual_sub_nc_u32 v88, 29, v88 :: v_dual_bitop2_b32 v2, 7, v90 bitop3:0x40
; %bb.238:                              ;   in Loop: Header=BB335_9 Depth=1
	s_or_b32 exec_lo, exec_lo, s30
	s_delay_alu instid0(VALU_DEP_1) | instskip(NEXT) | instid1(VALU_DEP_2)
	v_dual_lshlrev_b32 v90, 24, v92 :: v_dual_lshlrev_b32 v2, 20, v2
	v_lshl_add_u32 v88, v88, 23, 0x3c000000
	s_delay_alu instid0(VALU_DEP_2) | instskip(NEXT) | instid1(VALU_DEP_1)
	v_and_b32_e32 v90, 0x80000000, v90
	v_or3_b32 v88, v2, v90, v88
.LBB335_239:                            ;   in Loop: Header=BB335_9 Depth=1
	s_or_b32 exec_lo, exec_lo, s29
.LBB335_240:                            ;   in Loop: Header=BB335_9 Depth=1
	s_delay_alu instid0(SALU_CYCLE_1)
	s_or_b32 exec_lo, exec_lo, s28
.LBB335_241:                            ;   in Loop: Header=BB335_9 Depth=1
	s_delay_alu instid0(SALU_CYCLE_1) | instskip(SKIP_2) | instid1(VALU_DEP_1)
	s_or_b32 exec_lo, exec_lo, s27
	v_lshrrev_b16 v2, 8, v92
	s_mov_b32 s27, exec_lo
	v_cmpx_ne_u16_e32 0, v2
	s_cbranch_execz .LBB335_249
; %bb.242:                              ;   in Loop: Header=BB335_9 Depth=1
	v_bfrev_b32_e32 v89, 1
	s_mov_b32 s28, exec_lo
	v_cmpx_ne_u16_e32 0x80, v2
	s_cbranch_execz .LBB335_248
; %bb.243:                              ;   in Loop: Header=BB335_9 Depth=1
	v_and_b32_e32 v2, 0xffff, v2
	v_mov_b32_e32 v89, 0x7f800001
	s_mov_b32 s29, exec_lo
	s_delay_alu instid0(VALU_DEP_2) | instskip(NEXT) | instid1(VALU_DEP_1)
	v_and_b32_e32 v90, 0x7f, v2
	v_cmpx_ne_u32_e32 0x7f, v90
	s_cbranch_execz .LBB335_247
; %bb.244:                              ;   in Loop: Header=BB335_9 Depth=1
	v_and_b32_e32 v2, 7, v2
	v_lshrrev_b32_e32 v89, 3, v90
	s_mov_b32 s30, exec_lo
	v_cmpx_gt_u32_e32 8, v90
; %bb.245:                              ;   in Loop: Header=BB335_9 Depth=1
	s_delay_alu instid0(VALU_DEP_3) | instskip(NEXT) | instid1(VALU_DEP_1)
	v_clz_i32_u32_e32 v89, v2
	v_min_u32_e32 v89, 32, v89
	s_delay_alu instid0(VALU_DEP_1) | instskip(NEXT) | instid1(VALU_DEP_1)
	v_subrev_nc_u32_e32 v90, 28, v89
	v_lshlrev_b64_e32 v[90:91], v90, v[2:3]
	s_delay_alu instid0(VALU_DEP_1)
	v_dual_sub_nc_u32 v89, 29, v89 :: v_dual_bitop2_b32 v2, 7, v90 bitop3:0x40
; %bb.246:                              ;   in Loop: Header=BB335_9 Depth=1
	s_or_b32 exec_lo, exec_lo, s30
	s_delay_alu instid0(VALU_DEP_1) | instskip(NEXT) | instid1(VALU_DEP_2)
	v_dual_lshlrev_b32 v90, 16, v92 :: v_dual_lshlrev_b32 v2, 20, v2
	v_lshl_add_u32 v89, v89, 23, 0x3c000000
	s_delay_alu instid0(VALU_DEP_2) | instskip(NEXT) | instid1(VALU_DEP_1)
	v_and_b32_e32 v90, 0x80000000, v90
	v_or3_b32 v89, v2, v90, v89
.LBB335_247:                            ;   in Loop: Header=BB335_9 Depth=1
	s_or_b32 exec_lo, exec_lo, s29
.LBB335_248:                            ;   in Loop: Header=BB335_9 Depth=1
	s_delay_alu instid0(SALU_CYCLE_1)
	s_or_b32 exec_lo, exec_lo, s28
.LBB335_249:                            ;   in Loop: Header=BB335_9 Depth=1
	s_delay_alu instid0(SALU_CYCLE_1) | instskip(SKIP_3) | instid1(VALU_DEP_2)
	s_or_b32 exec_lo, exec_lo, s27
	v_dual_mov_b32 v90, 0 :: v_dual_lshrrev_b32 v93, 16, v92
	v_mov_b32_e32 v91, 0
	s_mov_b32 s27, exec_lo
	v_and_b32_e32 v2, 0xff, v93
	s_delay_alu instid0(VALU_DEP_1)
	v_cmpx_ne_u16_e32 0, v2
	s_cbranch_execz .LBB335_257
; %bb.250:                              ;   in Loop: Header=BB335_9 Depth=1
	v_bfrev_b32_e32 v91, 1
	s_mov_b32 s28, exec_lo
	v_cmpx_ne_u16_e32 0x80, v2
	s_cbranch_execz .LBB335_256
; %bb.251:                              ;   in Loop: Header=BB335_9 Depth=1
	v_bfe_u32 v94, v92, 16, 7
	v_mov_b32_e32 v91, 0x7f800001
	s_mov_b32 s29, exec_lo
	s_delay_alu instid0(VALU_DEP_2)
	v_cmpx_ne_u32_e32 0x7f, v94
	s_cbranch_execz .LBB335_255
; %bb.252:                              ;   in Loop: Header=BB335_9 Depth=1
	v_dual_lshrrev_b32 v91, 3, v94 :: v_dual_bitop2_b32 v2, 7, v93 bitop3:0x40
	s_mov_b32 s30, exec_lo
	v_cmpx_gt_u32_e32 8, v94
; %bb.253:                              ;   in Loop: Header=BB335_9 Depth=1
	s_delay_alu instid0(VALU_DEP_2) | instskip(NEXT) | instid1(VALU_DEP_1)
	v_clz_i32_u32_e32 v91, v2
	v_min_u32_e32 v91, 32, v91
	s_delay_alu instid0(VALU_DEP_1) | instskip(NEXT) | instid1(VALU_DEP_1)
	v_subrev_nc_u32_e32 v94, 28, v91
	v_lshlrev_b64_e32 v[94:95], v94, v[2:3]
	s_delay_alu instid0(VALU_DEP_1)
	v_dual_sub_nc_u32 v91, 29, v91 :: v_dual_bitop2_b32 v2, 7, v94 bitop3:0x40
; %bb.254:                              ;   in Loop: Header=BB335_9 Depth=1
	s_or_b32 exec_lo, exec_lo, s30
	s_delay_alu instid0(VALU_DEP_1) | instskip(NEXT) | instid1(VALU_DEP_2)
	v_dual_lshlrev_b32 v93, 24, v93 :: v_dual_lshlrev_b32 v2, 20, v2
	v_lshl_add_u32 v91, v91, 23, 0x3c000000
	s_delay_alu instid0(VALU_DEP_2) | instskip(NEXT) | instid1(VALU_DEP_1)
	v_and_b32_e32 v93, 0x80000000, v93
	v_or3_b32 v91, v2, v93, v91
.LBB335_255:                            ;   in Loop: Header=BB335_9 Depth=1
	s_or_b32 exec_lo, exec_lo, s29
.LBB335_256:                            ;   in Loop: Header=BB335_9 Depth=1
	s_delay_alu instid0(SALU_CYCLE_1)
	s_or_b32 exec_lo, exec_lo, s28
.LBB335_257:                            ;   in Loop: Header=BB335_9 Depth=1
	s_delay_alu instid0(SALU_CYCLE_1) | instskip(NEXT) | instid1(SALU_CYCLE_1)
	s_or_b32 exec_lo, exec_lo, s27
	s_mov_b32 s27, exec_lo
	v_cmpx_lt_u32_e32 0xffffff, v92
	s_cbranch_execz .LBB335_265
; %bb.258:                              ;   in Loop: Header=BB335_9 Depth=1
	v_lshrrev_b32_e32 v93, 24, v92
	v_bfrev_b32_e32 v90, 1
	s_mov_b32 s28, exec_lo
	s_delay_alu instid0(VALU_DEP_2)
	v_cmpx_ne_u32_e32 0x80, v93
	s_cbranch_execz .LBB335_264
; %bb.259:                              ;   in Loop: Header=BB335_9 Depth=1
	v_bfe_u32 v92, v92, 24, 7
	v_mov_b32_e32 v90, 0x7f800001
	s_mov_b32 s29, exec_lo
	s_delay_alu instid0(VALU_DEP_2)
	v_cmpx_ne_u32_e32 0x7f, v92
	s_cbranch_execz .LBB335_263
; %bb.260:                              ;   in Loop: Header=BB335_9 Depth=1
	v_dual_lshrrev_b32 v90, 3, v92 :: v_dual_bitop2_b32 v2, 7, v93 bitop3:0x40
	s_mov_b32 s30, exec_lo
	v_cmpx_gt_u32_e32 8, v92
; %bb.261:                              ;   in Loop: Header=BB335_9 Depth=1
	s_delay_alu instid0(VALU_DEP_2) | instskip(NEXT) | instid1(VALU_DEP_1)
	v_clz_i32_u32_e32 v90, v2
	v_min_u32_e32 v90, 32, v90
	s_delay_alu instid0(VALU_DEP_1) | instskip(SKIP_1) | instid1(VALU_DEP_2)
	v_subrev_nc_u32_e32 v92, 28, v90
	v_sub_nc_u32_e32 v90, 29, v90
	v_lshlrev_b64_e32 v[94:95], v92, v[2:3]
	s_delay_alu instid0(VALU_DEP_1)
	v_and_b32_e32 v2, 7, v94
; %bb.262:                              ;   in Loop: Header=BB335_9 Depth=1
	s_or_b32 exec_lo, exec_lo, s30
	s_delay_alu instid0(VALU_DEP_1) | instskip(SKIP_1) | instid1(VALU_DEP_2)
	v_dual_lshlrev_b32 v92, 24, v93 :: v_dual_lshlrev_b32 v2, 20, v2
	v_lshl_add_u32 v90, v90, 23, 0x3c000000
	v_and_b32_e32 v92, 0x80000000, v92
	s_delay_alu instid0(VALU_DEP_1)
	v_or3_b32 v90, v2, v92, v90
.LBB335_263:                            ;   in Loop: Header=BB335_9 Depth=1
	s_or_b32 exec_lo, exec_lo, s29
.LBB335_264:                            ;   in Loop: Header=BB335_9 Depth=1
	s_delay_alu instid0(SALU_CYCLE_1)
	s_or_b32 exec_lo, exec_lo, s28
.LBB335_265:                            ;   in Loop: Header=BB335_9 Depth=1
	s_delay_alu instid0(SALU_CYCLE_1)
	s_or_b32 exec_lo, exec_lo, s27
	global_load_b32 v96, v[8:9], off offset:1024
	v_dual_mov_b32 v93, 0 :: v_dual_mov_b32 v92, 0
	s_mov_b32 s27, exec_lo
	s_wait_loadcnt 0x0
	v_and_b32_e32 v2, 0xff, v96
	s_delay_alu instid0(VALU_DEP_1)
	v_cmpx_ne_u16_e32 0, v2
	s_cbranch_execz .LBB335_273
; %bb.266:                              ;   in Loop: Header=BB335_9 Depth=1
	v_bfrev_b32_e32 v92, 1
	s_mov_b32 s28, exec_lo
	v_cmpx_ne_u16_e32 0x80, v2
	s_cbranch_execz .LBB335_272
; %bb.267:                              ;   in Loop: Header=BB335_9 Depth=1
	v_and_b32_e32 v94, 0x7f, v96
	v_mov_b32_e32 v92, 0x7f800001
	s_mov_b32 s29, exec_lo
	s_delay_alu instid0(VALU_DEP_2)
	v_cmpx_ne_u32_e32 0x7f, v94
	s_cbranch_execz .LBB335_271
; %bb.268:                              ;   in Loop: Header=BB335_9 Depth=1
	v_dual_lshrrev_b32 v92, 3, v94 :: v_dual_bitop2_b32 v2, 7, v96 bitop3:0x40
	s_mov_b32 s30, exec_lo
	v_cmpx_gt_u32_e32 8, v94
; %bb.269:                              ;   in Loop: Header=BB335_9 Depth=1
	s_delay_alu instid0(VALU_DEP_2) | instskip(NEXT) | instid1(VALU_DEP_1)
	v_clz_i32_u32_e32 v92, v2
	v_min_u32_e32 v92, 32, v92
	s_delay_alu instid0(VALU_DEP_1) | instskip(NEXT) | instid1(VALU_DEP_1)
	v_subrev_nc_u32_e32 v94, 28, v92
	v_lshlrev_b64_e32 v[94:95], v94, v[2:3]
	s_delay_alu instid0(VALU_DEP_1)
	v_dual_sub_nc_u32 v92, 29, v92 :: v_dual_bitop2_b32 v2, 7, v94 bitop3:0x40
; %bb.270:                              ;   in Loop: Header=BB335_9 Depth=1
	s_or_b32 exec_lo, exec_lo, s30
	s_delay_alu instid0(VALU_DEP_1) | instskip(NEXT) | instid1(VALU_DEP_2)
	v_dual_lshlrev_b32 v94, 24, v96 :: v_dual_lshlrev_b32 v2, 20, v2
	v_lshl_add_u32 v92, v92, 23, 0x3c000000
	s_delay_alu instid0(VALU_DEP_2) | instskip(NEXT) | instid1(VALU_DEP_1)
	v_and_b32_e32 v94, 0x80000000, v94
	v_or3_b32 v92, v2, v94, v92
.LBB335_271:                            ;   in Loop: Header=BB335_9 Depth=1
	s_or_b32 exec_lo, exec_lo, s29
.LBB335_272:                            ;   in Loop: Header=BB335_9 Depth=1
	s_delay_alu instid0(SALU_CYCLE_1)
	s_or_b32 exec_lo, exec_lo, s28
.LBB335_273:                            ;   in Loop: Header=BB335_9 Depth=1
	s_delay_alu instid0(SALU_CYCLE_1) | instskip(SKIP_2) | instid1(VALU_DEP_1)
	s_or_b32 exec_lo, exec_lo, s27
	v_lshrrev_b16 v2, 8, v96
	s_mov_b32 s27, exec_lo
	v_cmpx_ne_u16_e32 0, v2
	s_cbranch_execz .LBB335_281
; %bb.274:                              ;   in Loop: Header=BB335_9 Depth=1
	v_bfrev_b32_e32 v93, 1
	s_mov_b32 s28, exec_lo
	v_cmpx_ne_u16_e32 0x80, v2
	s_cbranch_execz .LBB335_280
; %bb.275:                              ;   in Loop: Header=BB335_9 Depth=1
	v_and_b32_e32 v2, 0xffff, v2
	v_mov_b32_e32 v93, 0x7f800001
	s_mov_b32 s29, exec_lo
	s_delay_alu instid0(VALU_DEP_2) | instskip(NEXT) | instid1(VALU_DEP_1)
	v_and_b32_e32 v94, 0x7f, v2
	v_cmpx_ne_u32_e32 0x7f, v94
	s_cbranch_execz .LBB335_279
; %bb.276:                              ;   in Loop: Header=BB335_9 Depth=1
	v_and_b32_e32 v2, 7, v2
	v_lshrrev_b32_e32 v93, 3, v94
	s_mov_b32 s30, exec_lo
	v_cmpx_gt_u32_e32 8, v94
; %bb.277:                              ;   in Loop: Header=BB335_9 Depth=1
	s_delay_alu instid0(VALU_DEP_3) | instskip(NEXT) | instid1(VALU_DEP_1)
	v_clz_i32_u32_e32 v93, v2
	v_min_u32_e32 v93, 32, v93
	s_delay_alu instid0(VALU_DEP_1) | instskip(NEXT) | instid1(VALU_DEP_1)
	v_subrev_nc_u32_e32 v94, 28, v93
	v_lshlrev_b64_e32 v[94:95], v94, v[2:3]
	s_delay_alu instid0(VALU_DEP_1)
	v_dual_sub_nc_u32 v93, 29, v93 :: v_dual_bitop2_b32 v2, 7, v94 bitop3:0x40
; %bb.278:                              ;   in Loop: Header=BB335_9 Depth=1
	s_or_b32 exec_lo, exec_lo, s30
	s_delay_alu instid0(VALU_DEP_1) | instskip(NEXT) | instid1(VALU_DEP_2)
	v_dual_lshlrev_b32 v94, 16, v96 :: v_dual_lshlrev_b32 v2, 20, v2
	v_lshl_add_u32 v93, v93, 23, 0x3c000000
	s_delay_alu instid0(VALU_DEP_2) | instskip(NEXT) | instid1(VALU_DEP_1)
	v_and_b32_e32 v94, 0x80000000, v94
	v_or3_b32 v93, v2, v94, v93
.LBB335_279:                            ;   in Loop: Header=BB335_9 Depth=1
	s_or_b32 exec_lo, exec_lo, s29
.LBB335_280:                            ;   in Loop: Header=BB335_9 Depth=1
	s_delay_alu instid0(SALU_CYCLE_1)
	s_or_b32 exec_lo, exec_lo, s28
.LBB335_281:                            ;   in Loop: Header=BB335_9 Depth=1
	s_delay_alu instid0(SALU_CYCLE_1) | instskip(SKIP_3) | instid1(VALU_DEP_2)
	s_or_b32 exec_lo, exec_lo, s27
	v_dual_mov_b32 v94, 0 :: v_dual_lshrrev_b32 v97, 16, v96
	v_mov_b32_e32 v95, 0
	s_mov_b32 s27, exec_lo
	v_and_b32_e32 v2, 0xff, v97
	s_delay_alu instid0(VALU_DEP_1)
	v_cmpx_ne_u16_e32 0, v2
	s_cbranch_execz .LBB335_289
; %bb.282:                              ;   in Loop: Header=BB335_9 Depth=1
	v_bfrev_b32_e32 v95, 1
	s_mov_b32 s28, exec_lo
	v_cmpx_ne_u16_e32 0x80, v2
	s_cbranch_execz .LBB335_288
; %bb.283:                              ;   in Loop: Header=BB335_9 Depth=1
	v_bfe_u32 v98, v96, 16, 7
	v_mov_b32_e32 v95, 0x7f800001
	s_mov_b32 s29, exec_lo
	s_delay_alu instid0(VALU_DEP_2)
	v_cmpx_ne_u32_e32 0x7f, v98
	s_cbranch_execz .LBB335_287
; %bb.284:                              ;   in Loop: Header=BB335_9 Depth=1
	v_dual_lshrrev_b32 v95, 3, v98 :: v_dual_bitop2_b32 v2, 7, v97 bitop3:0x40
	s_mov_b32 s30, exec_lo
	v_cmpx_gt_u32_e32 8, v98
; %bb.285:                              ;   in Loop: Header=BB335_9 Depth=1
	s_delay_alu instid0(VALU_DEP_2) | instskip(NEXT) | instid1(VALU_DEP_1)
	v_clz_i32_u32_e32 v95, v2
	v_min_u32_e32 v95, 32, v95
	s_delay_alu instid0(VALU_DEP_1) | instskip(NEXT) | instid1(VALU_DEP_1)
	v_subrev_nc_u32_e32 v98, 28, v95
	v_lshlrev_b64_e32 v[98:99], v98, v[2:3]
	s_delay_alu instid0(VALU_DEP_1)
	v_dual_sub_nc_u32 v95, 29, v95 :: v_dual_bitop2_b32 v2, 7, v98 bitop3:0x40
; %bb.286:                              ;   in Loop: Header=BB335_9 Depth=1
	s_or_b32 exec_lo, exec_lo, s30
	s_delay_alu instid0(VALU_DEP_1) | instskip(NEXT) | instid1(VALU_DEP_2)
	v_dual_lshlrev_b32 v97, 24, v97 :: v_dual_lshlrev_b32 v2, 20, v2
	v_lshl_add_u32 v95, v95, 23, 0x3c000000
	s_delay_alu instid0(VALU_DEP_2) | instskip(NEXT) | instid1(VALU_DEP_1)
	v_and_b32_e32 v97, 0x80000000, v97
	v_or3_b32 v95, v2, v97, v95
.LBB335_287:                            ;   in Loop: Header=BB335_9 Depth=1
	s_or_b32 exec_lo, exec_lo, s29
.LBB335_288:                            ;   in Loop: Header=BB335_9 Depth=1
	s_delay_alu instid0(SALU_CYCLE_1)
	s_or_b32 exec_lo, exec_lo, s28
.LBB335_289:                            ;   in Loop: Header=BB335_9 Depth=1
	s_delay_alu instid0(SALU_CYCLE_1) | instskip(NEXT) | instid1(SALU_CYCLE_1)
	s_or_b32 exec_lo, exec_lo, s27
	s_mov_b32 s27, exec_lo
	v_cmpx_lt_u32_e32 0xffffff, v96
	s_cbranch_execz .LBB335_297
; %bb.290:                              ;   in Loop: Header=BB335_9 Depth=1
	v_lshrrev_b32_e32 v97, 24, v96
	v_bfrev_b32_e32 v94, 1
	s_mov_b32 s28, exec_lo
	s_delay_alu instid0(VALU_DEP_2)
	v_cmpx_ne_u32_e32 0x80, v97
	s_cbranch_execz .LBB335_296
; %bb.291:                              ;   in Loop: Header=BB335_9 Depth=1
	v_bfe_u32 v96, v96, 24, 7
	v_mov_b32_e32 v94, 0x7f800001
	s_mov_b32 s29, exec_lo
	s_delay_alu instid0(VALU_DEP_2)
	v_cmpx_ne_u32_e32 0x7f, v96
	s_cbranch_execz .LBB335_295
; %bb.292:                              ;   in Loop: Header=BB335_9 Depth=1
	v_dual_lshrrev_b32 v94, 3, v96 :: v_dual_bitop2_b32 v2, 7, v97 bitop3:0x40
	s_mov_b32 s30, exec_lo
	v_cmpx_gt_u32_e32 8, v96
; %bb.293:                              ;   in Loop: Header=BB335_9 Depth=1
	s_delay_alu instid0(VALU_DEP_2) | instskip(NEXT) | instid1(VALU_DEP_1)
	v_clz_i32_u32_e32 v94, v2
	v_min_u32_e32 v94, 32, v94
	s_delay_alu instid0(VALU_DEP_1) | instskip(SKIP_1) | instid1(VALU_DEP_2)
	v_subrev_nc_u32_e32 v96, 28, v94
	v_sub_nc_u32_e32 v94, 29, v94
	v_lshlrev_b64_e32 v[98:99], v96, v[2:3]
	s_delay_alu instid0(VALU_DEP_1)
	v_and_b32_e32 v2, 7, v98
; %bb.294:                              ;   in Loop: Header=BB335_9 Depth=1
	s_or_b32 exec_lo, exec_lo, s30
	s_delay_alu instid0(VALU_DEP_1) | instskip(SKIP_1) | instid1(VALU_DEP_2)
	v_dual_lshlrev_b32 v96, 24, v97 :: v_dual_lshlrev_b32 v2, 20, v2
	v_lshl_add_u32 v94, v94, 23, 0x3c000000
	v_and_b32_e32 v96, 0x80000000, v96
	s_delay_alu instid0(VALU_DEP_1)
	v_or3_b32 v94, v2, v96, v94
.LBB335_295:                            ;   in Loop: Header=BB335_9 Depth=1
	s_or_b32 exec_lo, exec_lo, s29
.LBB335_296:                            ;   in Loop: Header=BB335_9 Depth=1
	s_delay_alu instid0(SALU_CYCLE_1)
	s_or_b32 exec_lo, exec_lo, s28
.LBB335_297:                            ;   in Loop: Header=BB335_9 Depth=1
	s_delay_alu instid0(SALU_CYCLE_1)
	s_or_b32 exec_lo, exec_lo, s27
	global_load_b32 v96, v[8:9], off offset:1032
	s_wait_xcnt 0x0
	v_dual_mov_b32 v9, 0 :: v_dual_mov_b32 v8, 0
	s_mov_b32 s27, exec_lo
	s_wait_loadcnt 0x0
	v_and_b32_e32 v2, 0xff, v96
	s_delay_alu instid0(VALU_DEP_1)
	v_cmpx_ne_u16_e32 0, v2
	s_cbranch_execz .LBB335_305
; %bb.298:                              ;   in Loop: Header=BB335_9 Depth=1
	v_bfrev_b32_e32 v8, 1
	s_mov_b32 s28, exec_lo
	v_cmpx_ne_u16_e32 0x80, v2
	s_cbranch_execz .LBB335_304
; %bb.299:                              ;   in Loop: Header=BB335_9 Depth=1
	v_and_b32_e32 v97, 0x7f, v96
	v_mov_b32_e32 v8, 0x7f800001
	s_mov_b32 s29, exec_lo
	s_delay_alu instid0(VALU_DEP_2)
	v_cmpx_ne_u32_e32 0x7f, v97
	s_cbranch_execz .LBB335_303
; %bb.300:                              ;   in Loop: Header=BB335_9 Depth=1
	v_dual_lshrrev_b32 v8, 3, v97 :: v_dual_bitop2_b32 v2, 7, v96 bitop3:0x40
	s_mov_b32 s30, exec_lo
	v_cmpx_gt_u32_e32 8, v97
; %bb.301:                              ;   in Loop: Header=BB335_9 Depth=1
	s_delay_alu instid0(VALU_DEP_2) | instskip(NEXT) | instid1(VALU_DEP_1)
	v_clz_i32_u32_e32 v8, v2
	v_min_u32_e32 v8, 32, v8
	s_delay_alu instid0(VALU_DEP_1) | instskip(NEXT) | instid1(VALU_DEP_1)
	v_subrev_nc_u32_e32 v97, 28, v8
	v_lshlrev_b64_e32 v[98:99], v97, v[2:3]
	s_delay_alu instid0(VALU_DEP_1)
	v_dual_sub_nc_u32 v8, 29, v8 :: v_dual_bitop2_b32 v2, 7, v98 bitop3:0x40
; %bb.302:                              ;   in Loop: Header=BB335_9 Depth=1
	s_or_b32 exec_lo, exec_lo, s30
	s_delay_alu instid0(VALU_DEP_1) | instskip(NEXT) | instid1(VALU_DEP_2)
	v_dual_lshlrev_b32 v97, 24, v96 :: v_dual_lshlrev_b32 v2, 20, v2
	v_lshl_add_u32 v8, v8, 23, 0x3c000000
	s_delay_alu instid0(VALU_DEP_2) | instskip(NEXT) | instid1(VALU_DEP_1)
	v_and_b32_e32 v97, 0x80000000, v97
	v_or3_b32 v8, v2, v97, v8
.LBB335_303:                            ;   in Loop: Header=BB335_9 Depth=1
	s_or_b32 exec_lo, exec_lo, s29
.LBB335_304:                            ;   in Loop: Header=BB335_9 Depth=1
	s_delay_alu instid0(SALU_CYCLE_1)
	s_or_b32 exec_lo, exec_lo, s28
.LBB335_305:                            ;   in Loop: Header=BB335_9 Depth=1
	s_delay_alu instid0(SALU_CYCLE_1) | instskip(SKIP_2) | instid1(VALU_DEP_1)
	s_or_b32 exec_lo, exec_lo, s27
	v_lshrrev_b16 v2, 8, v96
	s_mov_b32 s27, exec_lo
	v_cmpx_ne_u16_e32 0, v2
	s_cbranch_execz .LBB335_313
; %bb.306:                              ;   in Loop: Header=BB335_9 Depth=1
	v_bfrev_b32_e32 v9, 1
	s_mov_b32 s28, exec_lo
	v_cmpx_ne_u16_e32 0x80, v2
	s_cbranch_execz .LBB335_312
; %bb.307:                              ;   in Loop: Header=BB335_9 Depth=1
	v_and_b32_e32 v2, 0xffff, v2
	v_mov_b32_e32 v9, 0x7f800001
	s_mov_b32 s29, exec_lo
	s_delay_alu instid0(VALU_DEP_2) | instskip(NEXT) | instid1(VALU_DEP_1)
	v_and_b32_e32 v97, 0x7f, v2
	v_cmpx_ne_u32_e32 0x7f, v97
	s_cbranch_execz .LBB335_311
; %bb.308:                              ;   in Loop: Header=BB335_9 Depth=1
	v_dual_lshrrev_b32 v9, 3, v97 :: v_dual_bitop2_b32 v2, 7, v2 bitop3:0x40
	s_mov_b32 s30, exec_lo
	v_cmpx_gt_u32_e32 8, v97
; %bb.309:                              ;   in Loop: Header=BB335_9 Depth=1
	s_delay_alu instid0(VALU_DEP_2) | instskip(NEXT) | instid1(VALU_DEP_1)
	v_clz_i32_u32_e32 v9, v2
	v_min_u32_e32 v9, 32, v9
	s_delay_alu instid0(VALU_DEP_1) | instskip(NEXT) | instid1(VALU_DEP_1)
	v_subrev_nc_u32_e32 v97, 28, v9
	v_lshlrev_b64_e32 v[98:99], v97, v[2:3]
	s_delay_alu instid0(VALU_DEP_1)
	v_dual_sub_nc_u32 v9, 29, v9 :: v_dual_bitop2_b32 v2, 7, v98 bitop3:0x40
; %bb.310:                              ;   in Loop: Header=BB335_9 Depth=1
	s_or_b32 exec_lo, exec_lo, s30
	s_delay_alu instid0(VALU_DEP_1) | instskip(NEXT) | instid1(VALU_DEP_2)
	v_dual_lshlrev_b32 v97, 16, v96 :: v_dual_lshlrev_b32 v2, 20, v2
	v_lshl_add_u32 v9, v9, 23, 0x3c000000
	s_delay_alu instid0(VALU_DEP_2) | instskip(NEXT) | instid1(VALU_DEP_1)
	v_and_b32_e32 v97, 0x80000000, v97
	v_or3_b32 v9, v2, v97, v9
.LBB335_311:                            ;   in Loop: Header=BB335_9 Depth=1
	s_or_b32 exec_lo, exec_lo, s29
.LBB335_312:                            ;   in Loop: Header=BB335_9 Depth=1
	s_delay_alu instid0(SALU_CYCLE_1)
	s_or_b32 exec_lo, exec_lo, s28
.LBB335_313:                            ;   in Loop: Header=BB335_9 Depth=1
	s_delay_alu instid0(SALU_CYCLE_1) | instskip(SKIP_3) | instid1(VALU_DEP_2)
	s_or_b32 exec_lo, exec_lo, s27
	v_dual_lshrrev_b32 v99, 16, v96 :: v_dual_mov_b32 v97, 0
	v_mov_b32_e32 v98, 0
	s_mov_b32 s27, exec_lo
	v_and_b32_e32 v2, 0xff, v99
	s_delay_alu instid0(VALU_DEP_1)
	v_cmpx_ne_u16_e32 0, v2
	s_cbranch_execz .LBB335_321
; %bb.314:                              ;   in Loop: Header=BB335_9 Depth=1
	v_bfrev_b32_e32 v98, 1
	s_mov_b32 s28, exec_lo
	v_cmpx_ne_u16_e32 0x80, v2
	s_cbranch_execz .LBB335_320
; %bb.315:                              ;   in Loop: Header=BB335_9 Depth=1
	v_bfe_u32 v100, v96, 16, 7
	v_mov_b32_e32 v98, 0x7f800001
	s_mov_b32 s29, exec_lo
	s_delay_alu instid0(VALU_DEP_2)
	v_cmpx_ne_u32_e32 0x7f, v100
	s_cbranch_execz .LBB335_319
; %bb.316:                              ;   in Loop: Header=BB335_9 Depth=1
	v_dual_lshrrev_b32 v98, 3, v100 :: v_dual_bitop2_b32 v2, 7, v99 bitop3:0x40
	s_mov_b32 s30, exec_lo
	v_cmpx_gt_u32_e32 8, v100
; %bb.317:                              ;   in Loop: Header=BB335_9 Depth=1
	s_delay_alu instid0(VALU_DEP_2) | instskip(NEXT) | instid1(VALU_DEP_1)
	v_clz_i32_u32_e32 v98, v2
	v_min_u32_e32 v98, 32, v98
	s_delay_alu instid0(VALU_DEP_1) | instskip(NEXT) | instid1(VALU_DEP_1)
	v_subrev_nc_u32_e32 v100, 28, v98
	v_lshlrev_b64_e32 v[100:101], v100, v[2:3]
	s_delay_alu instid0(VALU_DEP_1)
	v_dual_sub_nc_u32 v98, 29, v98 :: v_dual_bitop2_b32 v2, 7, v100 bitop3:0x40
; %bb.318:                              ;   in Loop: Header=BB335_9 Depth=1
	s_or_b32 exec_lo, exec_lo, s30
	s_delay_alu instid0(VALU_DEP_1) | instskip(NEXT) | instid1(VALU_DEP_2)
	v_dual_lshlrev_b32 v99, 24, v99 :: v_dual_lshlrev_b32 v2, 20, v2
	v_lshl_add_u32 v98, v98, 23, 0x3c000000
	s_delay_alu instid0(VALU_DEP_2) | instskip(NEXT) | instid1(VALU_DEP_1)
	v_and_b32_e32 v99, 0x80000000, v99
	v_or3_b32 v98, v2, v99, v98
.LBB335_319:                            ;   in Loop: Header=BB335_9 Depth=1
	s_or_b32 exec_lo, exec_lo, s29
.LBB335_320:                            ;   in Loop: Header=BB335_9 Depth=1
	s_delay_alu instid0(SALU_CYCLE_1)
	s_or_b32 exec_lo, exec_lo, s28
.LBB335_321:                            ;   in Loop: Header=BB335_9 Depth=1
	s_delay_alu instid0(SALU_CYCLE_1) | instskip(NEXT) | instid1(SALU_CYCLE_1)
	s_or_b32 exec_lo, exec_lo, s27
	s_mov_b32 s27, exec_lo
	v_cmpx_lt_u32_e32 0xffffff, v96
	s_cbranch_execz .LBB335_329
; %bb.322:                              ;   in Loop: Header=BB335_9 Depth=1
	v_lshrrev_b32_e32 v99, 24, v96
	v_bfrev_b32_e32 v97, 1
	s_mov_b32 s28, exec_lo
	s_delay_alu instid0(VALU_DEP_2)
	v_cmpx_ne_u32_e32 0x80, v99
	s_cbranch_execz .LBB335_328
; %bb.323:                              ;   in Loop: Header=BB335_9 Depth=1
	v_bfe_u32 v100, v96, 24, 7
	v_mov_b32_e32 v97, 0x7f800001
	s_mov_b32 s29, exec_lo
	s_delay_alu instid0(VALU_DEP_2)
	v_cmpx_ne_u32_e32 0x7f, v100
	s_cbranch_execz .LBB335_327
; %bb.324:                              ;   in Loop: Header=BB335_9 Depth=1
	v_dual_lshrrev_b32 v96, 3, v100 :: v_dual_bitop2_b32 v2, 7, v99 bitop3:0x40
	s_mov_b32 s30, exec_lo
	v_cmpx_gt_u32_e32 8, v100
; %bb.325:                              ;   in Loop: Header=BB335_9 Depth=1
	s_delay_alu instid0(VALU_DEP_2) | instskip(NEXT) | instid1(VALU_DEP_1)
	v_clz_i32_u32_e32 v96, v2
	v_min_u32_e32 v96, 32, v96
	s_delay_alu instid0(VALU_DEP_1) | instskip(SKIP_1) | instid1(VALU_DEP_2)
	v_subrev_nc_u32_e32 v97, 28, v96
	v_sub_nc_u32_e32 v96, 29, v96
	v_lshlrev_b64_e32 v[100:101], v97, v[2:3]
	s_delay_alu instid0(VALU_DEP_1)
	v_and_b32_e32 v2, 7, v100
; %bb.326:                              ;   in Loop: Header=BB335_9 Depth=1
	s_or_b32 exec_lo, exec_lo, s30
	s_delay_alu instid0(VALU_DEP_1) | instskip(SKIP_1) | instid1(VALU_DEP_2)
	v_dual_lshlrev_b32 v97, 24, v99 :: v_dual_lshlrev_b32 v2, 20, v2
	v_lshl_add_u32 v96, v96, 23, 0x3c000000
	v_and_b32_e32 v97, 0x80000000, v97
	s_delay_alu instid0(VALU_DEP_1)
	v_or3_b32 v97, v2, v97, v96
.LBB335_327:                            ;   in Loop: Header=BB335_9 Depth=1
	s_or_b32 exec_lo, exec_lo, s29
.LBB335_328:                            ;   in Loop: Header=BB335_9 Depth=1
	s_delay_alu instid0(SALU_CYCLE_1)
	s_or_b32 exec_lo, exec_lo, s28
.LBB335_329:                            ;   in Loop: Header=BB335_9 Depth=1
	s_delay_alu instid0(SALU_CYCLE_1)
	s_or_b32 exec_lo, exec_lo, s27
	s_wait_kmcnt 0x0
	v_fma_mixlo_bf16 v65, s5, v65, 0
	v_fma_mixlo_bf16 v64, s5, v64, 0
	;; [unrolled: 1-line block ×5, first 2 shown]
	s_delay_alu instid0(VALU_DEP_4) | instskip(SKIP_3) | instid1(VALU_DEP_4)
	v_dual_lshlrev_b32 v65, 16, v65 :: v_dual_lshlrev_b32 v64, 16, v64
	v_fma_mixlo_bf16 v60, s5, v60, 0
	v_lshlrev_b32_e32 v67, 16, v67
	v_fma_mixlo_bf16 v69, s5, v69, 0
	v_dual_mul_f32 v65, v16, v65 :: v_dual_mul_f32 v64, v17, v64
	v_lshlrev_b32_e32 v66, 16, v66
	v_fma_mixlo_bf16 v68, s5, v68, 0
	v_fma_mixlo_bf16 v63, s5, v63, 0
	v_mul_f32_e32 v67, v19, v67
	v_fma_mix_f32_bf16 v60, v12, v60, v65 op_sel_hi:[0,1,0]
	v_fma_mix_f32_bf16 v61, v13, v61, v64 op_sel_hi:[0,1,0]
	v_fma_mixlo_bf16 v73, s5, v73, 0
	v_fma_mixlo_bf16 v72, s5, v72, 0
	;; [unrolled: 1-line block ×4, first 2 shown]
	v_mul_f32_e32 v64, v20, v66
	v_fma_mix_f32_bf16 v63, v14, v63, v67 op_sel_hi:[0,1,0]
	v_fma_mix_f32_bf16 v60, v21, v68, v60 op_sel_hi:[0,1,0]
	v_fma_mix_f32_bf16 v61, v22, v69, v61 op_sel_hi:[0,1,0]
	v_fma_mixlo_bf16 v77, s5, v77, 0
	v_fma_mixlo_bf16 v76, s5, v76, 0
	v_fma_mixlo_bf16 v75, s5, v75, 0
	v_fma_mixlo_bf16 v65, s5, v70, 0
	v_fma_mix_f32_bf16 v62, v15, v62, v64 op_sel_hi:[0,1,0]
	v_fma_mix_f32_bf16 v63, v23, v71, v63 op_sel_hi:[0,1,0]
	v_fma_mix_f32_bf16 v60, v25, v72, v60 op_sel_hi:[0,1,0]
	v_fma_mix_f32_bf16 v61, v28, v73, v61 op_sel_hi:[0,1,0]
	v_fma_mixlo_bf16 v81, s5, v81, 0
	v_fma_mixlo_bf16 v80, s5, v80, 0
	v_fma_mixlo_bf16 v79, s5, v79, 0
	v_fma_mixlo_bf16 v64, s5, v74, 0
	v_fma_mix_f32_bf16 v62, v24, v65, v62 op_sel_hi:[0,1,0]
	;; [unrolled: 8-line block ×6, first 2 shown]
	v_fma_mix_f32_bf16 v63, v45, v91, v63 op_sel_hi:[0,1,0]
	v_fma_mix_f32_bf16 v60, v47, v92, v60 op_sel_hi:[0,1,0]
	;; [unrolled: 1-line block ×3, first 2 shown]
	v_fma_mixlo_bf16 v94, s5, v94, 0
	v_fma_mixlo_bf16 v65, s5, v98, 0
	v_fma_mix_f32_bf16 v62, v46, v64, v62 op_sel_hi:[0,1,0]
	v_fma_mix_f32_bf16 v9, v49, v9, v63 op_sel_hi:[0,1,0]
	;; [unrolled: 1-line block ×4, first 2 shown]
	v_fma_mixlo_bf16 v60, s5, v97, 0
	v_fma_mix_f32_bf16 v61, v50, v94, v62 op_sel_hi:[0,1,0]
	v_fma_mix_f32_bf16 v9, v54, v65, v9 op_sel_hi:[0,1,0]
	s_delay_alu instid0(VALU_DEP_4) | instskip(NEXT) | instid1(VALU_DEP_3)
	v_add_f32_e32 v2, v8, v2
	v_fma_mix_f32_bf16 v8, v55, v60, v61 op_sel_hi:[0,1,0]
	s_delay_alu instid0(VALU_DEP_2) | instskip(NEXT) | instid1(VALU_DEP_1)
	v_add_f32_e32 v2, v2, v9
	v_add_f32_e32 v2, v2, v8
	ds_bpermute_b32 v8, v56, v2
	s_and_saveexec_b32 s27, vcc_lo
	s_cbranch_execz .LBB335_8
; %bb.330:                              ;   in Loop: Header=BB335_9 Depth=1
	s_wait_dscnt 0x0
	v_dual_add_f32 v2, v2, v8 :: v_dual_add_nc_u32 v9, s26, v57
	v_cmp_gt_i32_e64 s4, s23, v57
	s_delay_alu instid0(VALU_DEP_2) | instskip(NEXT) | instid1(VALU_DEP_1)
	v_cvt_f32_i32_e32 v9, v9
	v_mul_f32_e32 v9, s18, v9
	s_delay_alu instid0(VALU_DEP_1) | instskip(NEXT) | instid1(VALU_DEP_1)
	v_dual_cndmask_b32 v8, 0, v9, s3 :: v_dual_max_num_f32 v9, v51, v51
	v_fmac_f32_e32 v8, s19, v2
	s_delay_alu instid0(VALU_DEP_1) | instskip(NEXT) | instid1(VALU_DEP_1)
	v_dual_max_num_f32 v2, v9, v8 :: v_dual_cndmask_b32 v8, 0, v8, s4
	v_cndmask_b32_e64 v51, v51, v2, s4
	ds_store_b32 v58, v8
	s_branch .LBB335_8
.LBB335_331:
	s_or_b32 exec_lo, exec_lo, s11
.LBB335_332:
	s_delay_alu instid0(SALU_CYCLE_1)
	s_or_b32 exec_lo, exec_lo, s24
	v_dual_max_num_f32 v6, v51, v51 :: v_dual_bitop2_b32 v2, 16, v10 bitop3:0x14
	v_xor_b32_e32 v7, 4, v10
	v_xor_b32_e32 v5, 8, v10
	s_wait_kmcnt 0x0
	s_clause 0x1
	s_load_b64 s[4:5], s[0:1], 0x0
	s_load_b64 s[18:19], s[0:1], 0x18
	v_cmp_lt_i32_e32 vcc_lo, v2, v11
	v_dual_cndmask_b32 v2, v10, v2, vcc_lo :: v_dual_bitop2_b32 v28, 31, v0 bitop3:0x40
	v_cmp_lt_i32_e32 vcc_lo, v5, v11
	s_delay_alu instid0(VALU_DEP_2) | instskip(SKIP_3) | instid1(VALU_DEP_1)
	v_dual_cndmask_b32 v5, v10, v5 :: v_dual_lshlrev_b32 v4, 2, v2
	ds_bpermute_b32 v2, v4, v51
	s_wait_dscnt 0x0
	v_dual_max_num_f32 v2, v2, v2 :: v_dual_lshlrev_b32 v5, 2, v5
	v_max_num_f32_e32 v2, v6, v2
	ds_bpermute_b32 v6, v5, v2
	s_wait_dscnt 0x0
	v_max_num_f32_e32 v8, v6, v6
	s_delay_alu instid0(VALU_DEP_1) | instskip(SKIP_2) | instid1(VALU_DEP_1)
	v_max_num_f32_e32 v2, v2, v8
	v_cmp_lt_i32_e32 vcc_lo, v7, v11
	v_cndmask_b32_e32 v7, v10, v7, vcc_lo
	v_lshlrev_b32_e32 v6, 2, v7
	ds_bpermute_b32 v7, v6, v2
	s_wait_dscnt 0x0
	v_dual_max_num_f32 v7, v7, v7 :: v_dual_bitop2_b32 v8, 2, v10 bitop3:0x14
	s_delay_alu instid0(VALU_DEP_1) | instskip(SKIP_1) | instid1(VALU_DEP_3)
	v_cmp_lt_i32_e32 vcc_lo, v8, v11
	v_cndmask_b32_e32 v9, v10, v8, vcc_lo
	v_max_num_f32_e32 v8, v2, v7
	v_lshlrev_b32_e32 v7, 2, v27
	v_cmp_eq_u32_e32 vcc_lo, 0, v28
	s_delay_alu instid0(VALU_DEP_4)
	v_lshlrev_b32_e32 v2, 2, v9
	ds_bpermute_b32 v9, v2, v8
	s_wait_xcnt 0x0
	s_and_saveexec_b32 s0, vcc_lo
	s_cbranch_execz .LBB335_334
; %bb.333:
	s_wait_dscnt 0x0
	v_dual_max_num_f32 v9, v9, v9 :: v_dual_max_num_f32 v8, v8, v8
	s_delay_alu instid0(VALU_DEP_1)
	v_max_num_f32_e32 v8, v8, v9
	ds_store_b32 v7, v8 offset:160
.LBB335_334:
	s_or_b32 exec_lo, exec_lo, s0
	v_cmp_gt_u32_e64 s0, 4, v28
	s_wait_dscnt 0x0
	v_dual_mov_b32 v9, 0xff7fffff :: v_dual_lshlrev_b32 v8, 2, v28
	s_barrier_signal -1
	s_barrier_wait -1
	s_and_saveexec_b32 s1, s0
; %bb.335:
	ds_load_b32 v9, v8 offset:160
; %bb.336:
	s_or_b32 exec_lo, exec_lo, s1
	s_wait_dscnt 0x0
	ds_bpermute_b32 v12, v2, v9
	v_dual_max_num_f32 v9, v9, v9 :: v_dual_bitop2_b32 v13, 1, v10 bitop3:0x14
	v_lshlrev_b32_e32 v3, 2, v3
	s_delay_alu instid0(VALU_DEP_2) | instskip(NEXT) | instid1(VALU_DEP_1)
	v_cmp_lt_i32_e64 s1, v13, v11
	v_cndmask_b32_e64 v11, v10, v13, s1
	s_lshl_b32 s1, s13, 4
	s_delay_alu instid0(SALU_CYCLE_1) | instskip(NEXT) | instid1(SALU_CYCLE_1)
	s_min_i32 s11, s1, s23
	v_cmp_gt_i32_e64 s1, s11, v0
	s_wait_dscnt 0x0
	v_dual_max_num_f32 v12, v12, v12 :: v_dual_lshlrev_b32 v29, 2, v11
	s_delay_alu instid0(VALU_DEP_1) | instskip(SKIP_3) | instid1(VALU_DEP_1)
	v_max_num_f32_e32 v9, v9, v12
	ds_bpermute_b32 v11, v29, v9
	s_wait_dscnt 0x0
	v_max_num_f32_e32 v11, v11, v11
	v_max_num_f32_e32 v9, v9, v11
	ds_bpermute_b32 v9, v3, v9
	v_mov_b32_e32 v3, 0
	s_and_saveexec_b32 s24, s1
	s_cbranch_execz .LBB335_340
; %bb.337:
	v_lshl_add_u32 v11, v0, 2, 0xc0
	v_dual_mov_b32 v3, 0 :: v_dual_mov_b32 v12, v0
	s_mov_b32 s25, 0
.LBB335_338:                            ; =>This Inner Loop Header: Depth=1
	ds_load_b32 v13, v11
	v_add_nc_u32_e32 v12, 0x80, v12
	s_delay_alu instid0(VALU_DEP_1) | instskip(SKIP_3) | instid1(VALU_DEP_1)
	v_cmp_le_i32_e64 s3, s11, v12
	s_or_b32 s25, s3, s25
	s_wait_dscnt 0x0
	v_sub_f32_e32 v13, v13, v9
	v_mul_f32_e32 v13, 0x3fb8aa3b, v13
	s_delay_alu instid0(VALU_DEP_1)
	v_exp_f32_e32 v13, v13
	ds_store_b32 v11, v13
	v_nop
	v_add_f32_e32 v3, v3, v13
	v_add_nc_u32_e32 v11, 0x200, v11
	s_and_not1_b32 exec_lo, exec_lo, s25
	s_cbranch_execnz .LBB335_338
; %bb.339:
	s_or_b32 exec_lo, exec_lo, s25
.LBB335_340:
	s_delay_alu instid0(SALU_CYCLE_1)
	s_or_b32 exec_lo, exec_lo, s24
	ds_bpermute_b32 v4, v4, v3
	s_wait_dscnt 0x0
	v_add_f32_e32 v3, v3, v4
	ds_bpermute_b32 v4, v5, v3
	s_wait_dscnt 0x0
	v_add_f32_e32 v3, v3, v4
	;; [unrolled: 3-line block ×5, first 2 shown]
	s_and_saveexec_b32 s3, vcc_lo
; %bb.341:
	ds_store_b32 v7, v3 offset:176
; %bb.342:
	s_or_b32 exec_lo, exec_lo, s3
	s_wait_dscnt 0x0
	s_barrier_signal -1
	s_barrier_wait -1
	s_and_saveexec_b32 s3, s0
; %bb.343:
	ds_load_b32 v3, v8 offset:176
; %bb.344:
	s_or_b32 exec_lo, exec_lo, s3
	s_wait_dscnt 0x0
	ds_bpermute_b32 v2, v2, v3
	s_wait_dscnt 0x0
	v_add_f32_e32 v2, v3, v2
	ds_bpermute_b32 v3, v29, v2
	s_wait_dscnt 0x0
	v_dual_lshlrev_b32 v4, 2, v10 :: v_dual_add_f32 v2, v2, v3
	s_delay_alu instid0(VALU_DEP_1)
	v_and_b32_e32 v3, 0xffffff80, v4
	ds_bpermute_b32 v2, v3, v2
	s_and_saveexec_b32 s0, s1
	s_cbranch_execz .LBB335_357
; %bb.345:
	s_wait_dscnt 0x0
	v_add_f32_e32 v2, 0x358637bd, v2
	s_mov_b32 s3, -1
	s_mov_b32 s1, exec_lo
	s_delay_alu instid0(VALU_DEP_1) | instskip(NEXT) | instid1(VALU_DEP_1)
	v_div_scale_f32 v3, null, v2, v2, 1.0
	v_rcp_f32_e32 v5, v3
	v_nop
	s_delay_alu instid0(TRANS32_DEP_1) | instskip(NEXT) | instid1(VALU_DEP_1)
	v_fma_f32 v4, -v3, v5, 1.0
	v_fmac_f32_e32 v5, v4, v5
	v_div_scale_f32 v6, vcc_lo, 1.0, v2, 1.0
	s_delay_alu instid0(VALU_DEP_1) | instskip(NEXT) | instid1(VALU_DEP_1)
	v_mul_f32_e32 v7, v6, v5
	v_fma_f32 v4, -v3, v7, v6
	s_delay_alu instid0(VALU_DEP_1) | instskip(SKIP_1) | instid1(VALU_DEP_2)
	v_fmac_f32_e32 v7, v4, v5
	v_xad_u32 v4, v0, -1, s11
	v_fma_f32 v3, -v3, v7, v6
	s_delay_alu instid0(VALU_DEP_1) | instskip(NEXT) | instid1(VALU_DEP_1)
	v_div_fmas_f32 v3, v3, v5, v7
	v_div_fixup_f32 v2, v3, v2, 1.0
	v_mov_b32_e32 v3, v0
	v_cmpx_lt_u32_e32 0x7f, v4
	s_cbranch_execz .LBB335_354
; %bb.346:
	s_delay_alu instid0(VALU_DEP_3) | instskip(NEXT) | instid1(VALU_DEP_1)
	v_dual_mov_b32 v3, v2 :: v_dual_lshrrev_b32 v4, 7, v4
	v_dual_mov_b32 v8, 0 :: v_dual_add_nc_u32 v5, -1, v4
	s_delay_alu instid0(VALU_DEP_1) | instskip(SKIP_1) | instid1(VALU_DEP_2)
	v_lshrrev_b32_e32 v6, 1, v5
	v_cmp_lt_u32_e32 vcc_lo, 13, v5
	v_add_nc_u32_e32 v5, 1, v6
	s_and_saveexec_b32 s3, vcc_lo
	s_cbranch_execz .LBB335_350
; %bb.347:
	s_delay_alu instid0(VALU_DEP_1)
	v_and_b32_e32 v6, -8, v5
	v_lshl_add_u32 v7, v0, 2, 0xc0
	s_mov_b32 s24, 0
	s_mov_b32 s25, 0
.LBB335_348:                            ; =>This Inner Loop Header: Depth=1
	ds_load_2addr_stride64_b32 v[8:9], v7 offset1:2
	ds_load_2addr_stride64_b32 v[10:11], v7 offset0:4 offset1:6
	ds_load_2addr_stride64_b32 v[12:13], v7 offset0:8 offset1:10
	;; [unrolled: 1-line block ×7, first 2 shown]
	s_add_co_i32 s25, s25, 16
	v_add_nc_u32_e32 v6, -8, v6
	s_wait_dscnt 0x7
	v_pk_mul_f32 v[8:9], v[2:3], v[8:9]
	s_wait_dscnt 0x6
	v_pk_mul_f32 v[10:11], v[2:3], v[10:11]
	;; [unrolled: 2-line block ×8, first 2 shown]
	ds_store_2addr_stride64_b32 v7, v8, v9 offset1:2
	ds_store_2addr_stride64_b32 v7, v10, v11 offset0:4 offset1:6
	ds_store_2addr_stride64_b32 v7, v12, v13 offset0:8 offset1:10
	;; [unrolled: 1-line block ×7, first 2 shown]
	v_mov_b32_e32 v8, s25
	v_cmp_eq_u32_e32 vcc_lo, 0, v6
	v_add_nc_u32_e32 v7, 0x2000, v7
	s_or_b32 s24, vcc_lo, s24
	s_delay_alu instid0(SALU_CYCLE_1)
	s_and_not1_b32 exec_lo, exec_lo, s24
	s_cbranch_execnz .LBB335_348
; %bb.349:
	s_or_b32 exec_lo, exec_lo, s24
.LBB335_350:
	s_delay_alu instid0(SALU_CYCLE_1) | instskip(NEXT) | instid1(VALU_DEP_1)
	s_or_b32 exec_lo, exec_lo, s3
	v_and_b32_e32 v5, 7, v5
	s_mov_b32 s24, 0
	s_mov_b32 s3, exec_lo
	s_delay_alu instid0(VALU_DEP_1)
	v_cmpx_ne_u32_e32 0, v5
	s_cbranch_execz .LBB335_353
; %bb.351:
	v_lshlrev_b32_e32 v6, 9, v8
	v_lshlrev_b32_e32 v7, 2, v0
	s_delay_alu instid0(VALU_DEP_1)
	v_add3_u32 v6, v6, v7, 0xc0
.LBB335_352:                            ; =>This Inner Loop Header: Depth=1
	ds_load_2addr_stride64_b32 v[8:9], v6 offset1:2
	v_add_nc_u32_e32 v5, -1, v5
	s_delay_alu instid0(VALU_DEP_1)
	v_cmp_eq_u32_e32 vcc_lo, 0, v5
	s_or_b32 s24, vcc_lo, s24
	s_wait_dscnt 0x0
	v_pk_mul_f32 v[8:9], v[2:3], v[8:9]
	ds_store_2addr_stride64_b32 v6, v8, v9 offset1:2
	v_add_nc_u32_e32 v6, 0x400, v6
	s_and_not1_b32 exec_lo, exec_lo, s24
	s_cbranch_execnz .LBB335_352
.LBB335_353:
	s_or_b32 exec_lo, exec_lo, s3
	v_add_nc_u32_e32 v3, 1, v4
	s_delay_alu instid0(VALU_DEP_1) | instskip(NEXT) | instid1(VALU_DEP_1)
	v_and_b32_e32 v4, 0x3fffffe, v3
	v_cmp_ne_u32_e32 vcc_lo, v3, v4
	v_lshl_add_u32 v3, v4, 7, v0
	s_or_not1_b32 s3, vcc_lo, exec_lo
.LBB335_354:
	s_or_b32 exec_lo, exec_lo, s1
	s_delay_alu instid0(SALU_CYCLE_1)
	s_and_b32 exec_lo, exec_lo, s3
	s_cbranch_execz .LBB335_357
; %bb.355:
	v_lshl_add_u32 v4, v3, 2, 0xc0
	s_mov_b32 s1, 0
.LBB335_356:                            ; =>This Inner Loop Header: Depth=1
	ds_load_b32 v5, v4
	v_add_nc_u32_e32 v3, 0x80, v3
	s_delay_alu instid0(VALU_DEP_1)
	v_cmp_le_i32_e32 vcc_lo, s11, v3
	s_or_b32 s1, vcc_lo, s1
	s_wait_dscnt 0x0
	v_mul_f32_e32 v5, v2, v5
	ds_store_b32 v4, v5
	v_add_nc_u32_e32 v4, 0x200, v4
	s_and_not1_b32 exec_lo, exec_lo, s1
	s_cbranch_execnz .LBB335_356
.LBB335_357:
	s_or_b32 exec_lo, exec_lo, s0
	v_dual_mov_b32 v11, 0 :: v_dual_mov_b32 v10, 0
	v_dual_mov_b32 v13, 0 :: v_dual_mov_b32 v12, 0
	v_mov_b32_e32 v30, 0
	s_wait_dscnt 0x0
	s_barrier_signal -1
	s_barrier_wait -1
	s_and_saveexec_b32 s1, s2
	s_cbranch_execz .LBB335_671
; %bb.358:
	v_dual_mov_b32 v15, 0 :: v_dual_lshlrev_b32 v2, 3, v0
	s_load_b32 s6, s[6:7], 0x0
	s_ashr_i32 s11, s10, 31
	v_dual_lshlrev_b32 v3, 5, v26 :: v_dual_lshlrev_b32 v4, 4, v27
	s_delay_alu instid0(VALU_DEP_2)
	v_and_b32_e32 v14, 0xf8, v2
	s_wait_kmcnt 0x0
	s_add_nc_u64 s[2:3], s[18:19], s[10:11]
	v_dual_mov_b32 v30, 0 :: v_dual_bitop2_b32 v2, 8, v2 bitop3:0x40
	v_lshl_or_b32 v3, v27, 6, v3
	v_add_nc_u64_e32 v[16:17], s[2:3], v[14:15]
	v_and_b32_e32 v14, 0x7c, v18
	s_lshl_b64 s[2:3], s[14:15], 2
	v_or3_b32 v31, v4, v2, 7
	s_add_nc_u64 s[2:3], s[16:17], s[2:3]
	v_dual_mov_b32 v11, 0 :: v_dual_add_nc_u32 v32, 0xc0, v3
	v_add_nc_u64_e32 v[18:19], s[2:3], v[14:15]
	v_dual_mov_b32 v10, 0 :: v_dual_mov_b32 v13, 0
	v_dual_mov_b32 v12, 0 :: v_dual_mov_b32 v33, v27
	s_mov_b64 s[2:3], 0xffffffffffffff
	s_mov_b32 s7, s9
	s_add_co_i32 s10, s13, -1
	s_mov_b32 s9, 0
	s_branch .LBB335_360
.LBB335_359:                            ;   in Loop: Header=BB335_360 Depth=1
	s_or_b32 exec_lo, exec_lo, s0
	s_wait_dscnt 0x1
	v_cvt_pk_bf16_f32 v6, v6, v7
	v_perm_b32 v7, v69, v70, 0x5040100
	v_cvt_pk_bf16_f32 v8, v8, v9
	v_perm_b32 v9, v67, v68, 0x5040100
	s_wait_dscnt 0x0
	v_cvt_pk_bf16_f32 v2, v2, v3
	v_perm_b32 v3, v65, v66, 0x5040100
	v_pk_mul_bf16 v7, v6, v7
	v_cvt_pk_bf16_f32 v4, v4, v5
	v_pk_mul_bf16 v9, v8, v9
	v_perm_b32 v5, v25, v24, 0x5040100
	v_pk_mul_bf16 v3, v2, v3
	v_lshlrev_b32_e32 v42, 16, v7
	v_and_b32_e32 v7, 0xffff0000, v7
	v_lshlrev_b32_e32 v43, 16, v9
	v_and_b32_e32 v9, 0xffff0000, v9
	v_perm_b32 v24, v63, v64, 0x5040100
	v_lshlrev_b32_e32 v44, 16, v3
	v_and_b32_e32 v3, 0xffff0000, v3
	v_pk_mul_bf16 v5, v4, v5
	v_dual_add_f32 v7, v42, v7 :: v_dual_add_f32 v9, v43, v9
	v_pk_mul_bf16 v24, v6, v24
	v_perm_b32 v25, v59, v60, 0x5040100
	v_add_nc_u64_e32 v[18:19], 16, v[18:19]
	s_delay_alu instid0(VALU_DEP_4) | instskip(NEXT) | instid1(VALU_DEP_4)
	v_dual_add_f32 v7, v9, v7 :: v_dual_add_nc_u32 v32, 0x100, v32
	v_lshlrev_b32_e32 v42, 16, v24
	v_perm_b32 v9, v61, v62, 0x5040100
	v_and_b32_e32 v24, 0xffff0000, v24
	v_add_f32_e32 v3, v44, v3
	v_pk_mul_bf16 v25, v2, v25
	v_perm_b32 v44, v58, v57, 0x5040100
	s_delay_alu instid0(VALU_DEP_4) | instskip(NEXT) | instid1(VALU_DEP_4)
	v_dual_add_f32 v24, v42, v24 :: v_dual_add_nc_u32 v31, 64, v31
	v_add_f32_e32 v3, v3, v7
	v_pk_mul_bf16 v7, v8, v9
	v_lshlrev_b32_e32 v9, 16, v5
	v_and_b32_e32 v5, 0xffff0000, v5
	v_lshlrev_b32_e32 v42, 16, v25
	v_and_b32_e32 v25, 0xffff0000, v25
	;; [unrolled: 2-line block ×3, first 2 shown]
	s_delay_alu instid0(VALU_DEP_1) | instskip(SKIP_1) | instid1(VALU_DEP_2)
	v_dual_add_f32 v7, v43, v7 :: v_dual_add_f32 v5, v9, v5
	v_pk_mul_bf16 v9, v4, v44
	v_add_f32_e32 v7, v7, v24
	v_perm_b32 v24, v55, v56, 0x5040100
	s_delay_alu instid0(VALU_DEP_4)
	v_dual_add_f32 v25, v42, v25 :: v_dual_add_f32 v44, v5, v3
	v_perm_b32 v42, v53, v54, 0x5040100
	v_lshlrev_b32_e32 v43, 16, v9
	v_and_b32_e32 v9, 0xffff0000, v9
	v_pk_mul_bf16 v24, v6, v24
	v_add_f32_e32 v25, v25, v7
	v_pk_mul_bf16 v3, v8, v42
	v_add_f32_e32 v11, v11, v44
	s_delay_alu instid0(VALU_DEP_4) | instskip(SKIP_3) | instid1(VALU_DEP_3)
	v_dual_add_f32 v42, v43, v9 :: v_dual_lshlrev_b32 v5, 16, v24
	v_and_b32_e32 v7, 0xffff0000, v24
	v_perm_b32 v24, v49, v50, 0x5040100
	v_perm_b32 v43, v52, v51, 0x5040100
	v_add_f32_e32 v5, v5, v7
	v_lshlrev_b32_e32 v9, 16, v3
	v_and_b32_e32 v3, 0xffff0000, v3
	v_perm_b32 v7, v40, v41, 0x5040100
	v_pk_mul_bf16 v24, v2, v24
	s_delay_alu instid0(VALU_DEP_3) | instskip(SKIP_1) | instid1(VALU_DEP_4)
	v_add_f32_e32 v3, v9, v3
	v_perm_b32 v9, v38, v39, 0x5040100
	v_pk_mul_bf16 v7, v6, v7
	v_pk_mul_bf16 v38, v4, v43
	s_delay_alu instid0(VALU_DEP_4) | instskip(NEXT) | instid1(VALU_DEP_4)
	v_add_f32_e32 v39, v3, v5
	v_pk_mul_bf16 v3, v8, v9
	v_lshlrev_b32_e32 v5, 16, v24
	v_and_b32_e32 v9, 0xffff0000, v24
	v_lshlrev_b32_e32 v24, 16, v7
	v_and_b32_e32 v7, 0xffff0000, v7
	v_lshlrev_b32_e32 v40, 16, v3
	v_and_b32_e32 v3, 0xffff0000, v3
	v_add_f32_e32 v41, v5, v9
	v_perm_b32 v5, v34, v35, 0x5040100
	v_dual_add_f32 v7, v24, v7 :: v_dual_lshlrev_b32 v24, 16, v38
	v_perm_b32 v9, v37, v36, 0x5040100
	v_and_b32_e32 v34, 0xffff0000, v38
	s_delay_alu instid0(VALU_DEP_4) | instskip(SKIP_1) | instid1(VALU_DEP_4)
	v_pk_mul_bf16 v5, v2, v5
	v_add_f32_e32 v3, v40, v3
	v_pk_mul_bf16 v35, v4, v9
	v_perm_b32 v9, v14, v20, 0x5040100
	s_delay_alu instid0(VALU_DEP_3)
	v_dual_add_f32 v36, v3, v7 :: v_dual_lshlrev_b32 v37, 16, v5
	v_perm_b32 v3, v72, v71, 0x5040100
	v_perm_b32 v7, v22, v73, 0x5040100
	;; [unrolled: 1-line block ×3, first 2 shown]
	v_and_b32_e32 v20, 0xffff0000, v5
	v_and_b32_e32 v21, 0xffff0000, v35
	v_pk_mul_bf16 v6, v6, v3
	v_pk_mul_bf16 v7, v8, v7
	;; [unrolled: 1-line block ×4, first 2 shown]
	s_delay_alu instid0(VALU_DEP_4)
	v_and_b32_e32 v3, 0xffff0000, v6
	v_lshlrev_b32_e32 v5, 16, v6
	v_and_b32_e32 v2, 0xffff0000, v7
	v_dual_lshlrev_b32 v4, 16, v7 :: v_dual_lshlrev_b32 v9, 16, v8
	v_and_b32_e32 v7, 0xffff0000, v8
	v_and_b32_e32 v6, 0xffff0000, v14
	v_dual_lshlrev_b32 v8, 16, v14 :: v_dual_add_f32 v14, v37, v20
	s_delay_alu instid0(VALU_DEP_4) | instskip(SKIP_1) | instid1(VALU_DEP_3)
	v_pk_add_f32 v[2:3], v[4:5], v[2:3]
	v_lshlrev_b32_e32 v20, 16, v35
	v_pk_add_f32 v[4:5], v[8:9], v[6:7]
	s_delay_alu instid0(VALU_DEP_3) | instskip(NEXT) | instid1(VALU_DEP_3)
	v_dual_add_f32 v6, v24, v34 :: v_dual_add_f32 v2, v2, v3
	v_dual_add_f32 v8, v20, v21 :: v_dual_add_f32 v3, v41, v39
	s_delay_alu instid0(VALU_DEP_2) | instskip(SKIP_1) | instid1(VALU_DEP_3)
	v_dual_add_f32 v7, v14, v36 :: v_dual_add_f32 v2, v5, v2
	v_add_f32_e32 v5, v42, v25
	v_add_f32_e32 v3, v6, v3
	s_delay_alu instid0(VALU_DEP_3) | instskip(NEXT) | instid1(VALU_DEP_4)
	v_add_f32_e32 v6, v8, v7
	v_dual_add_f32 v2, v4, v2 :: v_dual_add_nc_u32 v33, 4, v33
	s_delay_alu instid0(VALU_DEP_3) | instskip(NEXT) | instid1(VALU_DEP_3)
	v_dual_add_f32 v13, v13, v3 :: v_dual_add_f32 v10, v10, v5
	v_add_f32_e32 v12, v12, v6
	s_delay_alu instid0(VALU_DEP_3) | instskip(NEXT) | instid1(VALU_DEP_4)
	v_add_f32_e32 v30, v30, v2
	v_cmp_le_i32_e32 vcc_lo, s13, v33
	s_or_b32 s9, vcc_lo, s9
	s_delay_alu instid0(SALU_CYCLE_1)
	s_and_not1_b32 exec_lo, exec_lo, s9
	s_cbranch_execz .LBB335_670
.LBB335_360:                            ; =>This Inner Loop Header: Depth=1
	global_load_b32 v2, v[18:19], off
	v_mov_b32_e32 v36, 0
	s_mov_b32 s0, exec_lo
	s_wait_loadcnt 0x0
	v_mad_nc_i64_i32 v[20:21], v2, s7, v[16:17]
	global_load_b64 v[22:23], v[20:21], off
	ds_load_2addr_b64 v[6:9], v32 offset1:1
	ds_load_2addr_b64 v[2:5], v32 offset0:2 offset1:3
	s_wait_loadcnt 0x0
	v_and_b32_e32 v14, 0xff, v22
	s_delay_alu instid0(VALU_DEP_1)
	v_cmpx_ne_u16_e32 0, v14
	s_cbranch_execz .LBB335_366
; %bb.361:                              ;   in Loop: Header=BB335_360 Depth=1
	v_bfrev_b32_e32 v36, 1
	s_mov_b32 s11, exec_lo
	v_cmpx_ne_u16_e32 0x80, v14
	s_cbranch_execz .LBB335_365
; %bb.362:                              ;   in Loop: Header=BB335_360 Depth=1
	v_and_b32_e32 v14, 0x7f, v22
	v_mov_b32_e32 v36, 0x7f800001
	s_mov_b32 s14, exec_lo
	s_delay_alu instid0(VALU_DEP_2)
	v_cmpx_ne_u32_e32 0x7f, v14
	s_cbranch_execz .LBB335_364
; %bb.363:                              ;   in Loop: Header=BB335_360 Depth=1
	v_and_b32_e32 v24, 7, v22
	v_cmp_gt_u32_e32 vcc_lo, 8, v14
	s_delay_alu instid0(VALU_DEP_2) | instskip(NEXT) | instid1(VALU_DEP_1)
	v_clz_i32_u32_e32 v24, v24
	v_min_u32_e32 v24, 32, v24
	v_lshrrev_b32_e32 v25, 3, v14
	s_delay_alu instid0(VALU_DEP_2) | instskip(SKIP_1) | instid1(VALU_DEP_1)
	v_subrev_nc_u32_e32 v34, 28, v24
	v_sub_nc_u32_e32 v24, 29, v24
	v_dual_cndmask_b32 v14, v25, v24, vcc_lo :: v_dual_cndmask_b32 v24, 0, v34, vcc_lo
	s_delay_alu instid0(VALU_DEP_1) | instskip(NEXT) | instid1(VALU_DEP_2)
	v_lshl_add_u32 v14, v14, 23, 0x3c000000
	v_lshlrev_b64_e32 v[24:25], v24, v[22:23]
	v_lshlrev_b32_e32 v25, 24, v22
	s_delay_alu instid0(VALU_DEP_1) | instskip(NEXT) | instid1(VALU_DEP_3)
	v_and_b32_e32 v25, 0x80000000, v25
	v_lshlrev_b32_e32 v24, 20, v24
	s_delay_alu instid0(VALU_DEP_1) | instskip(NEXT) | instid1(VALU_DEP_1)
	v_and_b32_e32 v24, 0x700000, v24
	v_or3_b32 v36, v24, v25, v14
.LBB335_364:                            ;   in Loop: Header=BB335_360 Depth=1
	s_or_b32 exec_lo, exec_lo, s14
.LBB335_365:                            ;   in Loop: Header=BB335_360 Depth=1
	s_delay_alu instid0(SALU_CYCLE_1)
	s_or_b32 exec_lo, exec_lo, s11
.LBB335_366:                            ;   in Loop: Header=BB335_360 Depth=1
	s_delay_alu instid0(SALU_CYCLE_1) | instskip(SKIP_3) | instid1(VALU_DEP_2)
	s_or_b32 exec_lo, exec_lo, s0
	v_lshrrev_b16 v14, 8, v22
	v_dual_mov_b32 v37, 0 :: v_dual_mov_b32 v40, 0
	s_mov_b32 s0, exec_lo
	v_cmpx_ne_u16_e32 0, v14
	s_cbranch_execz .LBB335_374
; %bb.367:                              ;   in Loop: Header=BB335_360 Depth=1
	v_bfrev_b32_e32 v40, 1
	s_mov_b32 s11, exec_lo
	v_cmpx_ne_u16_e32 0x80, v14
	s_cbranch_execz .LBB335_373
; %bb.368:                              ;   in Loop: Header=BB335_360 Depth=1
	v_and_b32_e32 v14, 0xffff, v14
	v_mov_b32_e32 v40, 0x7f800001
	s_mov_b32 s14, exec_lo
	s_delay_alu instid0(VALU_DEP_2) | instskip(NEXT) | instid1(VALU_DEP_1)
	v_and_b32_e32 v25, 0x7f, v14
	v_cmpx_ne_u32_e32 0x7f, v25
	s_cbranch_execz .LBB335_372
; %bb.369:                              ;   in Loop: Header=BB335_360 Depth=1
	v_dual_lshrrev_b32 v24, 3, v25 :: v_dual_bitop2_b32 v14, 7, v14 bitop3:0x40
	s_mov_b32 s15, exec_lo
	v_cmpx_gt_u32_e32 8, v25
; %bb.370:                              ;   in Loop: Header=BB335_360 Depth=1
	s_delay_alu instid0(VALU_DEP_2) | instskip(NEXT) | instid1(VALU_DEP_1)
	v_clz_i32_u32_e32 v24, v14
	v_min_u32_e32 v24, 32, v24
	s_delay_alu instid0(VALU_DEP_1) | instskip(NEXT) | instid1(VALU_DEP_1)
	v_subrev_nc_u32_e32 v25, 28, v24
	v_lshlrev_b64_e32 v[34:35], v25, v[14:15]
	s_delay_alu instid0(VALU_DEP_1)
	v_dual_sub_nc_u32 v24, 29, v24 :: v_dual_bitop2_b32 v14, 7, v34 bitop3:0x40
; %bb.371:                              ;   in Loop: Header=BB335_360 Depth=1
	s_or_b32 exec_lo, exec_lo, s15
	v_lshlrev_b32_e32 v25, 16, v22
	s_delay_alu instid0(VALU_DEP_2) | instskip(NEXT) | instid1(VALU_DEP_3)
	v_lshlrev_b32_e32 v14, 20, v14
	v_lshl_add_u32 v24, v24, 23, 0x3c000000
	s_delay_alu instid0(VALU_DEP_3) | instskip(NEXT) | instid1(VALU_DEP_1)
	v_and_b32_e32 v25, 0x80000000, v25
	v_or3_b32 v40, v14, v25, v24
.LBB335_372:                            ;   in Loop: Header=BB335_360 Depth=1
	s_or_b32 exec_lo, exec_lo, s14
.LBB335_373:                            ;   in Loop: Header=BB335_360 Depth=1
	s_delay_alu instid0(SALU_CYCLE_1)
	s_or_b32 exec_lo, exec_lo, s11
.LBB335_374:                            ;   in Loop: Header=BB335_360 Depth=1
	s_delay_alu instid0(SALU_CYCLE_1) | instskip(SKIP_2) | instid1(VALU_DEP_1)
	s_or_b32 exec_lo, exec_lo, s0
	v_lshrrev_b32_e32 v24, 16, v22
	s_mov_b32 s0, exec_lo
	v_and_b32_e32 v14, 0xff, v24
	s_delay_alu instid0(VALU_DEP_1)
	v_cmpx_ne_u16_e32 0, v14
	s_cbranch_execz .LBB335_382
; %bb.375:                              ;   in Loop: Header=BB335_360 Depth=1
	v_bfrev_b32_e32 v37, 1
	s_mov_b32 s11, exec_lo
	v_cmpx_ne_u16_e32 0x80, v14
	s_cbranch_execz .LBB335_381
; %bb.376:                              ;   in Loop: Header=BB335_360 Depth=1
	v_bfe_u32 v34, v22, 16, 7
	v_mov_b32_e32 v37, 0x7f800001
	s_mov_b32 s14, exec_lo
	s_delay_alu instid0(VALU_DEP_2)
	v_cmpx_ne_u32_e32 0x7f, v34
	s_cbranch_execz .LBB335_380
; %bb.377:                              ;   in Loop: Header=BB335_360 Depth=1
	v_dual_lshrrev_b32 v25, 3, v34 :: v_dual_bitop2_b32 v14, 7, v24 bitop3:0x40
	s_mov_b32 s15, exec_lo
	v_cmpx_gt_u32_e32 8, v34
; %bb.378:                              ;   in Loop: Header=BB335_360 Depth=1
	s_delay_alu instid0(VALU_DEP_2) | instskip(NEXT) | instid1(VALU_DEP_1)
	v_clz_i32_u32_e32 v25, v14
	v_min_u32_e32 v25, 32, v25
	s_delay_alu instid0(VALU_DEP_1) | instskip(NEXT) | instid1(VALU_DEP_1)
	v_subrev_nc_u32_e32 v34, 28, v25
	v_lshlrev_b64_e32 v[34:35], v34, v[14:15]
	s_delay_alu instid0(VALU_DEP_1)
	v_dual_sub_nc_u32 v25, 29, v25 :: v_dual_bitop2_b32 v14, 7, v34 bitop3:0x40
; %bb.379:                              ;   in Loop: Header=BB335_360 Depth=1
	s_or_b32 exec_lo, exec_lo, s15
	s_delay_alu instid0(VALU_DEP_1) | instskip(NEXT) | instid1(VALU_DEP_2)
	v_dual_lshlrev_b32 v24, 24, v24 :: v_dual_lshlrev_b32 v14, 20, v14
	v_lshl_add_u32 v25, v25, 23, 0x3c000000
	s_delay_alu instid0(VALU_DEP_2) | instskip(NEXT) | instid1(VALU_DEP_1)
	v_and_b32_e32 v24, 0x80000000, v24
	v_or3_b32 v37, v14, v24, v25
.LBB335_380:                            ;   in Loop: Header=BB335_360 Depth=1
	s_or_b32 exec_lo, exec_lo, s14
.LBB335_381:                            ;   in Loop: Header=BB335_360 Depth=1
	s_delay_alu instid0(SALU_CYCLE_1)
	s_or_b32 exec_lo, exec_lo, s11
.LBB335_382:                            ;   in Loop: Header=BB335_360 Depth=1
	s_delay_alu instid0(SALU_CYCLE_1)
	s_or_b32 exec_lo, exec_lo, s0
	v_dual_mov_b32 v35, 0 :: v_dual_mov_b32 v38, 0
	s_mov_b32 s0, exec_lo
	v_cmpx_lt_u32_e32 0xffffff, v22
	s_cbranch_execz .LBB335_390
; %bb.383:                              ;   in Loop: Header=BB335_360 Depth=1
	v_lshrrev_b32_e32 v24, 24, v22
	v_bfrev_b32_e32 v38, 1
	s_mov_b32 s11, exec_lo
	s_delay_alu instid0(VALU_DEP_2)
	v_cmpx_ne_u32_e32 0x80, v24
	s_cbranch_execz .LBB335_389
; %bb.384:                              ;   in Loop: Header=BB335_360 Depth=1
	v_bfe_u32 v34, v22, 24, 7
	v_mov_b32_e32 v38, 0x7f800001
	s_mov_b32 s14, exec_lo
	s_delay_alu instid0(VALU_DEP_2)
	v_cmpx_ne_u32_e32 0x7f, v34
	s_cbranch_execz .LBB335_388
; %bb.385:                              ;   in Loop: Header=BB335_360 Depth=1
	v_dual_lshrrev_b32 v25, 3, v34 :: v_dual_bitop2_b32 v14, 7, v24 bitop3:0x40
	s_mov_b32 s15, exec_lo
	v_cmpx_gt_u32_e32 8, v34
; %bb.386:                              ;   in Loop: Header=BB335_360 Depth=1
	s_delay_alu instid0(VALU_DEP_2) | instskip(NEXT) | instid1(VALU_DEP_1)
	v_clz_i32_u32_e32 v25, v14
	v_min_u32_e32 v25, 32, v25
	s_delay_alu instid0(VALU_DEP_1) | instskip(NEXT) | instid1(VALU_DEP_1)
	v_subrev_nc_u32_e32 v34, 28, v25
	v_lshlrev_b64_e32 v[38:39], v34, v[14:15]
	s_delay_alu instid0(VALU_DEP_1)
	v_dual_sub_nc_u32 v25, 29, v25 :: v_dual_bitop2_b32 v14, 7, v38 bitop3:0x40
; %bb.387:                              ;   in Loop: Header=BB335_360 Depth=1
	s_or_b32 exec_lo, exec_lo, s15
	s_delay_alu instid0(VALU_DEP_1) | instskip(NEXT) | instid1(VALU_DEP_2)
	v_dual_lshlrev_b32 v24, 24, v24 :: v_dual_lshlrev_b32 v14, 20, v14
	v_lshl_add_u32 v25, v25, 23, 0x3c000000
	s_delay_alu instid0(VALU_DEP_2) | instskip(NEXT) | instid1(VALU_DEP_1)
	v_and_b32_e32 v24, 0x80000000, v24
	v_or3_b32 v38, v14, v24, v25
.LBB335_388:                            ;   in Loop: Header=BB335_360 Depth=1
	s_or_b32 exec_lo, exec_lo, s14
.LBB335_389:                            ;   in Loop: Header=BB335_360 Depth=1
	s_delay_alu instid0(SALU_CYCLE_1)
	s_or_b32 exec_lo, exec_lo, s11
.LBB335_390:                            ;   in Loop: Header=BB335_360 Depth=1
	s_delay_alu instid0(SALU_CYCLE_1) | instskip(SKIP_3) | instid1(VALU_DEP_2)
	s_or_b32 exec_lo, exec_lo, s0
	v_and_b32_e32 v24, 0xff, v23
	v_mov_b32_e32 v14, v23
	s_mov_b32 s0, exec_lo
	v_cmpx_ne_u16_e32 0, v24
	s_cbranch_execz .LBB335_396
; %bb.391:                              ;   in Loop: Header=BB335_360 Depth=1
	v_bfrev_b32_e32 v35, 1
	s_mov_b32 s11, exec_lo
	v_cmpx_ne_u16_e32 0x80, v24
	s_cbranch_execz .LBB335_395
; %bb.392:                              ;   in Loop: Header=BB335_360 Depth=1
	v_and_b32_e32 v24, 0x7f, v23
	v_mov_b32_e32 v35, 0x7f800001
	s_mov_b32 s14, exec_lo
	s_delay_alu instid0(VALU_DEP_2)
	v_cmpx_ne_u32_e32 0x7f, v24
	s_cbranch_execz .LBB335_394
; %bb.393:                              ;   in Loop: Header=BB335_360 Depth=1
	v_dual_lshrrev_b32 v34, 3, v24 :: v_dual_bitop2_b32 v25, 7, v23 bitop3:0x40
	v_cmp_gt_u32_e32 vcc_lo, 8, v24
	s_delay_alu instid0(VALU_DEP_2) | instskip(NEXT) | instid1(VALU_DEP_1)
	v_clz_i32_u32_e32 v25, v25
	v_min_u32_e32 v25, 32, v25
	s_delay_alu instid0(VALU_DEP_1) | instskip(NEXT) | instid1(VALU_DEP_1)
	v_subrev_nc_u32_e32 v35, 28, v25
	v_dual_cndmask_b32 v24, 0, v35 :: v_dual_sub_nc_u32 v25, 29, v25
	s_delay_alu instid0(VALU_DEP_1) | instskip(NEXT) | instid1(VALU_DEP_2)
	v_cndmask_b32_e32 v34, v34, v25, vcc_lo
	v_lshlrev_b64_e32 v[24:25], v24, v[14:15]
	v_lshlrev_b32_e32 v25, 24, v14
	s_delay_alu instid0(VALU_DEP_3) | instskip(NEXT) | instid1(VALU_DEP_2)
	v_lshl_add_u32 v34, v34, 23, 0x3c000000
	v_and_b32_e32 v25, 0x80000000, v25
	s_delay_alu instid0(VALU_DEP_4) | instskip(NEXT) | instid1(VALU_DEP_1)
	v_lshlrev_b32_e32 v24, 20, v24
	v_and_b32_e32 v24, 0x700000, v24
	s_delay_alu instid0(VALU_DEP_1)
	v_or3_b32 v35, v24, v25, v34
.LBB335_394:                            ;   in Loop: Header=BB335_360 Depth=1
	s_or_b32 exec_lo, exec_lo, s14
.LBB335_395:                            ;   in Loop: Header=BB335_360 Depth=1
	s_delay_alu instid0(SALU_CYCLE_1)
	s_or_b32 exec_lo, exec_lo, s11
.LBB335_396:                            ;   in Loop: Header=BB335_360 Depth=1
	s_delay_alu instid0(SALU_CYCLE_1) | instskip(SKIP_3) | instid1(VALU_DEP_2)
	s_or_b32 exec_lo, exec_lo, s0
	v_lshrrev_b16 v25, 8, v14
	v_dual_mov_b32 v43, 0 :: v_dual_mov_b32 v24, 0
	s_mov_b32 s0, exec_lo
	v_cmpx_ne_u16_e32 0, v25
	s_cbranch_execz .LBB335_404
; %bb.397:                              ;   in Loop: Header=BB335_360 Depth=1
	v_bfrev_b32_e32 v24, 1
	s_mov_b32 s11, exec_lo
	v_cmpx_ne_u16_e32 0x80, v25
	s_cbranch_execz .LBB335_403
; %bb.398:                              ;   in Loop: Header=BB335_360 Depth=1
	v_and_b32_e32 v25, 0xffff, v25
	v_mov_b32_e32 v24, 0x7f800001
	s_mov_b32 s14, exec_lo
	s_delay_alu instid0(VALU_DEP_2) | instskip(NEXT) | instid1(VALU_DEP_1)
	v_and_b32_e32 v39, 0x7f, v25
	v_cmpx_ne_u32_e32 0x7f, v39
	s_cbranch_execz .LBB335_402
; %bb.399:                              ;   in Loop: Header=BB335_360 Depth=1
	v_dual_mov_b32 v25, v15 :: v_dual_bitop2_b32 v24, 7, v25 bitop3:0x40
	v_lshrrev_b32_e32 v34, 3, v39
	s_mov_b32 s15, exec_lo
	v_cmpx_gt_u32_e32 8, v39
; %bb.400:                              ;   in Loop: Header=BB335_360 Depth=1
	s_delay_alu instid0(VALU_DEP_3) | instskip(NEXT) | instid1(VALU_DEP_1)
	v_clz_i32_u32_e32 v34, v24
	v_min_u32_e32 v34, 32, v34
	s_delay_alu instid0(VALU_DEP_1) | instskip(NEXT) | instid1(VALU_DEP_1)
	v_subrev_nc_u32_e32 v39, 28, v34
	v_lshlrev_b64_e32 v[24:25], v39, v[24:25]
	s_delay_alu instid0(VALU_DEP_1)
	v_dual_sub_nc_u32 v34, 29, v34 :: v_dual_bitop2_b32 v24, 7, v24 bitop3:0x40
; %bb.401:                              ;   in Loop: Header=BB335_360 Depth=1
	s_or_b32 exec_lo, exec_lo, s15
	s_delay_alu instid0(VALU_DEP_1) | instskip(NEXT) | instid1(VALU_DEP_2)
	v_dual_lshlrev_b32 v14, 16, v14 :: v_dual_lshlrev_b32 v24, 20, v24
	v_lshl_add_u32 v25, v34, 23, 0x3c000000
	s_delay_alu instid0(VALU_DEP_2) | instskip(NEXT) | instid1(VALU_DEP_1)
	v_and_b32_e32 v14, 0x80000000, v14
	v_or3_b32 v24, v24, v14, v25
.LBB335_402:                            ;   in Loop: Header=BB335_360 Depth=1
	s_or_b32 exec_lo, exec_lo, s14
.LBB335_403:                            ;   in Loop: Header=BB335_360 Depth=1
	s_delay_alu instid0(SALU_CYCLE_1)
	s_or_b32 exec_lo, exec_lo, s11
.LBB335_404:                            ;   in Loop: Header=BB335_360 Depth=1
	s_delay_alu instid0(SALU_CYCLE_1) | instskip(SKIP_2) | instid1(VALU_DEP_1)
	s_or_b32 exec_lo, exec_lo, s0
	v_lshrrev_b32_e32 v25, 16, v23
	s_mov_b32 s0, exec_lo
	v_and_b32_e32 v14, 0xff, v25
	s_delay_alu instid0(VALU_DEP_1)
	v_cmpx_ne_u16_e32 0, v14
	s_cbranch_execz .LBB335_412
; %bb.405:                              ;   in Loop: Header=BB335_360 Depth=1
	v_bfrev_b32_e32 v43, 1
	s_mov_b32 s11, exec_lo
	v_cmpx_ne_u16_e32 0x80, v14
	s_cbranch_execz .LBB335_411
; %bb.406:                              ;   in Loop: Header=BB335_360 Depth=1
	v_bfe_u32 v39, v23, 16, 7
	v_mov_b32_e32 v43, 0x7f800001
	s_mov_b32 s14, exec_lo
	s_delay_alu instid0(VALU_DEP_2)
	v_cmpx_ne_u32_e32 0x7f, v39
	s_cbranch_execz .LBB335_410
; %bb.407:                              ;   in Loop: Header=BB335_360 Depth=1
	v_dual_lshrrev_b32 v34, 3, v39 :: v_dual_bitop2_b32 v14, 7, v25 bitop3:0x40
	s_mov_b32 s15, exec_lo
	v_cmpx_gt_u32_e32 8, v39
; %bb.408:                              ;   in Loop: Header=BB335_360 Depth=1
	s_delay_alu instid0(VALU_DEP_2) | instskip(NEXT) | instid1(VALU_DEP_1)
	v_clz_i32_u32_e32 v34, v14
	v_min_u32_e32 v34, 32, v34
	s_delay_alu instid0(VALU_DEP_1) | instskip(SKIP_1) | instid1(VALU_DEP_2)
	v_subrev_nc_u32_e32 v39, 28, v34
	v_sub_nc_u32_e32 v34, 29, v34
	v_lshlrev_b64_e32 v[42:43], v39, v[14:15]
	s_delay_alu instid0(VALU_DEP_1)
	v_and_b32_e32 v14, 7, v42
; %bb.409:                              ;   in Loop: Header=BB335_360 Depth=1
	s_or_b32 exec_lo, exec_lo, s15
	s_delay_alu instid0(VALU_DEP_1) | instskip(SKIP_1) | instid1(VALU_DEP_2)
	v_dual_lshlrev_b32 v25, 24, v25 :: v_dual_lshlrev_b32 v14, 20, v14
	v_lshl_add_u32 v34, v34, 23, 0x3c000000
	v_and_b32_e32 v25, 0x80000000, v25
	s_delay_alu instid0(VALU_DEP_1)
	v_or3_b32 v43, v14, v25, v34
.LBB335_410:                            ;   in Loop: Header=BB335_360 Depth=1
	s_or_b32 exec_lo, exec_lo, s14
.LBB335_411:                            ;   in Loop: Header=BB335_360 Depth=1
	s_delay_alu instid0(SALU_CYCLE_1)
	s_or_b32 exec_lo, exec_lo, s11
.LBB335_412:                            ;   in Loop: Header=BB335_360 Depth=1
	s_delay_alu instid0(SALU_CYCLE_1)
	s_or_b32 exec_lo, exec_lo, s0
	v_mov_b32_e32 v14, 0
	s_mov_b32 s0, exec_lo
	v_cmpx_lt_u64_e64 s[2:3], v[22:23]
	s_cbranch_execz .LBB335_420
; %bb.413:                              ;   in Loop: Header=BB335_360 Depth=1
	v_lshrrev_b32_e32 v22, 24, v23
	v_bfrev_b32_e32 v14, 1
	s_mov_b32 s11, exec_lo
	s_delay_alu instid0(VALU_DEP_2)
	v_cmpx_ne_u32_e32 0x80, v22
	s_cbranch_execz .LBB335_419
; %bb.414:                              ;   in Loop: Header=BB335_360 Depth=1
	v_bfe_u32 v25, v23, 24, 7
	v_mov_b32_e32 v14, 0x7f800001
	s_mov_b32 s14, exec_lo
	s_delay_alu instid0(VALU_DEP_2)
	v_cmpx_ne_u32_e32 0x7f, v25
	s_cbranch_execz .LBB335_418
; %bb.415:                              ;   in Loop: Header=BB335_360 Depth=1
	v_dual_lshrrev_b32 v23, 3, v25 :: v_dual_bitop2_b32 v14, 7, v22 bitop3:0x40
	s_mov_b32 s15, exec_lo
	v_cmpx_gt_u32_e32 8, v25
; %bb.416:                              ;   in Loop: Header=BB335_360 Depth=1
	s_delay_alu instid0(VALU_DEP_2) | instskip(NEXT) | instid1(VALU_DEP_1)
	v_clz_i32_u32_e32 v23, v14
	v_min_u32_e32 v23, 32, v23
	s_delay_alu instid0(VALU_DEP_1) | instskip(NEXT) | instid1(VALU_DEP_1)
	v_subrev_nc_u32_e32 v25, 28, v23
	v_lshlrev_b64_e32 v[44:45], v25, v[14:15]
	s_delay_alu instid0(VALU_DEP_1)
	v_dual_sub_nc_u32 v23, 29, v23 :: v_dual_bitop2_b32 v14, 7, v44 bitop3:0x40
; %bb.417:                              ;   in Loop: Header=BB335_360 Depth=1
	s_or_b32 exec_lo, exec_lo, s15
	v_lshlrev_b32_e32 v22, 24, v22
	s_delay_alu instid0(VALU_DEP_2) | instskip(NEXT) | instid1(VALU_DEP_3)
	v_lshlrev_b32_e32 v14, 20, v14
	v_lshl_add_u32 v23, v23, 23, 0x3c000000
	s_delay_alu instid0(VALU_DEP_3) | instskip(NEXT) | instid1(VALU_DEP_1)
	v_and_b32_e32 v22, 0x80000000, v22
	v_or3_b32 v14, v14, v22, v23
.LBB335_418:                            ;   in Loop: Header=BB335_360 Depth=1
	s_or_b32 exec_lo, exec_lo, s14
.LBB335_419:                            ;   in Loop: Header=BB335_360 Depth=1
	s_delay_alu instid0(SALU_CYCLE_1)
	s_or_b32 exec_lo, exec_lo, s11
.LBB335_420:                            ;   in Loop: Header=BB335_360 Depth=1
	s_delay_alu instid0(SALU_CYCLE_1)
	s_or_b32 exec_lo, exec_lo, s0
	v_dual_add_nc_u32 v42, -7, v31 :: v_dual_add_nc_u32 v48, -6, v31
	v_cmp_eq_u32_e32 vcc_lo, s10, v33
	v_fma_mixlo_bf16 v34, s6, v24, 0
	v_fma_mixlo_bf16 v35, s6, v35, 0
	;; [unrolled: 1-line block ×8, first 2 shown]
	v_dual_add_nc_u32 v47, -5, v31 :: v_dual_add_nc_u32 v46, -4, v31
	v_dual_add_nc_u32 v45, -3, v31 :: v_dual_add_nc_u32 v44, -2, v31
	v_add_nc_u32_e32 v43, -1, v31
	s_and_saveexec_b32 s11, vcc_lo
	s_cbranch_execz .LBB335_422
; %bb.421:                              ;   in Loop: Header=BB335_360 Depth=1
	v_cmp_gt_i32_e64 s0, s23, v42
	s_delay_alu instid0(VALU_DEP_1) | instskip(SKIP_1) | instid1(VALU_DEP_1)
	v_cndmask_b32_e64 v41, 0, v41, s0
	v_cmp_gt_i32_e64 s0, s23, v48
	v_cndmask_b32_e64 v40, 0, v40, s0
	v_cmp_gt_i32_e64 s0, s23, v47
	s_delay_alu instid0(VALU_DEP_1) | instskip(SKIP_1) | instid1(VALU_DEP_1)
	v_cndmask_b32_e64 v39, 0, v39, s0
	v_cmp_gt_i32_e64 s0, s23, v46
	v_cndmask_b32_e64 v38, 0, v38, s0
	;; [unrolled: 5-line block ×4, first 2 shown]
.LBB335_422:                            ;   in Loop: Header=BB335_360 Depth=1
	s_or_b32 exec_lo, exec_lo, s11
	global_load_b64 v[22:23], v[20:21], off offset:256
	v_dual_mov_b32 v52, 0 :: v_dual_mov_b32 v51, 0
	s_mov_b32 s11, exec_lo
	s_wait_loadcnt 0x0
	v_and_b32_e32 v14, 0xff, v22
	s_delay_alu instid0(VALU_DEP_1)
	v_cmpx_ne_u16_e32 0, v14
	s_cbranch_execz .LBB335_428
; %bb.423:                              ;   in Loop: Header=BB335_360 Depth=1
	v_bfrev_b32_e32 v51, 1
	s_mov_b32 s14, exec_lo
	v_cmpx_ne_u16_e32 0x80, v14
	s_cbranch_execz .LBB335_427
; %bb.424:                              ;   in Loop: Header=BB335_360 Depth=1
	v_and_b32_e32 v14, 0x7f, v22
	v_mov_b32_e32 v51, 0x7f800001
	s_mov_b32 s15, exec_lo
	s_delay_alu instid0(VALU_DEP_2)
	v_cmpx_ne_u32_e32 0x7f, v14
	s_cbranch_execz .LBB335_426
; %bb.425:                              ;   in Loop: Header=BB335_360 Depth=1
	v_and_b32_e32 v24, 7, v22
	v_cmp_gt_u32_e64 s0, 8, v14
	s_delay_alu instid0(VALU_DEP_2) | instskip(NEXT) | instid1(VALU_DEP_1)
	v_clz_i32_u32_e32 v24, v24
	v_min_u32_e32 v24, 32, v24
	v_lshrrev_b32_e32 v25, 3, v14
	s_delay_alu instid0(VALU_DEP_2) | instskip(SKIP_1) | instid1(VALU_DEP_1)
	v_subrev_nc_u32_e32 v49, 28, v24
	v_sub_nc_u32_e32 v24, 29, v24
	v_dual_cndmask_b32 v14, v25, v24, s0 :: v_dual_cndmask_b32 v24, 0, v49, s0
	s_delay_alu instid0(VALU_DEP_1) | instskip(NEXT) | instid1(VALU_DEP_2)
	v_lshl_add_u32 v14, v14, 23, 0x3c000000
	v_lshlrev_b64_e32 v[24:25], v24, v[22:23]
	v_lshlrev_b32_e32 v25, 24, v22
	s_delay_alu instid0(VALU_DEP_1) | instskip(NEXT) | instid1(VALU_DEP_3)
	v_and_b32_e32 v25, 0x80000000, v25
	v_lshlrev_b32_e32 v24, 20, v24
	s_delay_alu instid0(VALU_DEP_1) | instskip(NEXT) | instid1(VALU_DEP_1)
	v_and_b32_e32 v24, 0x700000, v24
	v_or3_b32 v51, v24, v25, v14
.LBB335_426:                            ;   in Loop: Header=BB335_360 Depth=1
	s_or_b32 exec_lo, exec_lo, s15
.LBB335_427:                            ;   in Loop: Header=BB335_360 Depth=1
	s_delay_alu instid0(SALU_CYCLE_1)
	s_or_b32 exec_lo, exec_lo, s14
.LBB335_428:                            ;   in Loop: Header=BB335_360 Depth=1
	s_delay_alu instid0(SALU_CYCLE_1) | instskip(SKIP_2) | instid1(VALU_DEP_1)
	s_or_b32 exec_lo, exec_lo, s11
	v_lshrrev_b16 v14, 8, v22
	s_mov_b32 s11, exec_lo
	v_cmpx_ne_u16_e32 0, v14
	s_cbranch_execz .LBB335_436
; %bb.429:                              ;   in Loop: Header=BB335_360 Depth=1
	v_bfrev_b32_e32 v52, 1
	s_mov_b32 s14, exec_lo
	v_cmpx_ne_u16_e32 0x80, v14
	s_cbranch_execz .LBB335_435
; %bb.430:                              ;   in Loop: Header=BB335_360 Depth=1
	v_and_b32_e32 v14, 0xffff, v14
	v_mov_b32_e32 v52, 0x7f800001
	s_mov_b32 s15, exec_lo
	s_delay_alu instid0(VALU_DEP_2) | instskip(NEXT) | instid1(VALU_DEP_1)
	v_and_b32_e32 v25, 0x7f, v14
	v_cmpx_ne_u32_e32 0x7f, v25
	s_cbranch_execz .LBB335_434
; %bb.431:                              ;   in Loop: Header=BB335_360 Depth=1
	v_dual_lshrrev_b32 v24, 3, v25 :: v_dual_bitop2_b32 v14, 7, v14 bitop3:0x40
	s_mov_b32 s16, exec_lo
	v_cmpx_gt_u32_e32 8, v25
; %bb.432:                              ;   in Loop: Header=BB335_360 Depth=1
	s_delay_alu instid0(VALU_DEP_2) | instskip(NEXT) | instid1(VALU_DEP_1)
	v_clz_i32_u32_e32 v24, v14
	v_min_u32_e32 v24, 32, v24
	s_delay_alu instid0(VALU_DEP_1) | instskip(SKIP_1) | instid1(VALU_DEP_2)
	v_subrev_nc_u32_e32 v25, 28, v24
	v_sub_nc_u32_e32 v24, 29, v24
	v_lshlrev_b64_e32 v[52:53], v25, v[14:15]
	s_delay_alu instid0(VALU_DEP_1)
	v_and_b32_e32 v14, 7, v52
; %bb.433:                              ;   in Loop: Header=BB335_360 Depth=1
	s_or_b32 exec_lo, exec_lo, s16
	v_lshlrev_b32_e32 v25, 16, v22
	s_delay_alu instid0(VALU_DEP_2) | instskip(SKIP_1) | instid1(VALU_DEP_3)
	v_lshlrev_b32_e32 v14, 20, v14
	v_lshl_add_u32 v24, v24, 23, 0x3c000000
	v_and_b32_e32 v25, 0x80000000, v25
	s_delay_alu instid0(VALU_DEP_1)
	v_or3_b32 v52, v14, v25, v24
.LBB335_434:                            ;   in Loop: Header=BB335_360 Depth=1
	s_or_b32 exec_lo, exec_lo, s15
.LBB335_435:                            ;   in Loop: Header=BB335_360 Depth=1
	s_delay_alu instid0(SALU_CYCLE_1)
	s_or_b32 exec_lo, exec_lo, s14
.LBB335_436:                            ;   in Loop: Header=BB335_360 Depth=1
	s_delay_alu instid0(SALU_CYCLE_1) | instskip(SKIP_3) | instid1(VALU_DEP_2)
	s_or_b32 exec_lo, exec_lo, s11
	v_dual_mov_b32 v53, 0 :: v_dual_lshrrev_b32 v24, 16, v22
	v_mov_b32_e32 v54, 0
	s_mov_b32 s11, exec_lo
	v_and_b32_e32 v14, 0xff, v24
	s_delay_alu instid0(VALU_DEP_1)
	v_cmpx_ne_u16_e32 0, v14
	s_cbranch_execz .LBB335_444
; %bb.437:                              ;   in Loop: Header=BB335_360 Depth=1
	v_bfrev_b32_e32 v54, 1
	s_mov_b32 s14, exec_lo
	v_cmpx_ne_u16_e32 0x80, v14
	s_cbranch_execz .LBB335_443
; %bb.438:                              ;   in Loop: Header=BB335_360 Depth=1
	v_bfe_u32 v49, v22, 16, 7
	v_mov_b32_e32 v54, 0x7f800001
	s_mov_b32 s15, exec_lo
	s_delay_alu instid0(VALU_DEP_2)
	v_cmpx_ne_u32_e32 0x7f, v49
	s_cbranch_execz .LBB335_442
; %bb.439:                              ;   in Loop: Header=BB335_360 Depth=1
	v_dual_lshrrev_b32 v25, 3, v49 :: v_dual_bitop2_b32 v14, 7, v24 bitop3:0x40
	s_mov_b32 s16, exec_lo
	v_cmpx_gt_u32_e32 8, v49
; %bb.440:                              ;   in Loop: Header=BB335_360 Depth=1
	s_delay_alu instid0(VALU_DEP_2) | instskip(NEXT) | instid1(VALU_DEP_1)
	v_clz_i32_u32_e32 v25, v14
	v_min_u32_e32 v25, 32, v25
	s_delay_alu instid0(VALU_DEP_1) | instskip(NEXT) | instid1(VALU_DEP_1)
	v_subrev_nc_u32_e32 v49, 28, v25
	v_lshlrev_b64_e32 v[54:55], v49, v[14:15]
	s_delay_alu instid0(VALU_DEP_1)
	v_dual_sub_nc_u32 v25, 29, v25 :: v_dual_bitop2_b32 v14, 7, v54 bitop3:0x40
; %bb.441:                              ;   in Loop: Header=BB335_360 Depth=1
	s_or_b32 exec_lo, exec_lo, s16
	s_delay_alu instid0(VALU_DEP_1) | instskip(NEXT) | instid1(VALU_DEP_2)
	v_dual_lshlrev_b32 v24, 24, v24 :: v_dual_lshlrev_b32 v14, 20, v14
	v_lshl_add_u32 v25, v25, 23, 0x3c000000
	s_delay_alu instid0(VALU_DEP_2) | instskip(NEXT) | instid1(VALU_DEP_1)
	v_and_b32_e32 v24, 0x80000000, v24
	v_or3_b32 v54, v14, v24, v25
.LBB335_442:                            ;   in Loop: Header=BB335_360 Depth=1
	s_or_b32 exec_lo, exec_lo, s15
.LBB335_443:                            ;   in Loop: Header=BB335_360 Depth=1
	s_delay_alu instid0(SALU_CYCLE_1)
	s_or_b32 exec_lo, exec_lo, s14
.LBB335_444:                            ;   in Loop: Header=BB335_360 Depth=1
	s_delay_alu instid0(SALU_CYCLE_1) | instskip(NEXT) | instid1(SALU_CYCLE_1)
	s_or_b32 exec_lo, exec_lo, s11
	s_mov_b32 s11, exec_lo
	v_cmpx_lt_u32_e32 0xffffff, v22
	s_cbranch_execz .LBB335_452
; %bb.445:                              ;   in Loop: Header=BB335_360 Depth=1
	v_lshrrev_b32_e32 v24, 24, v22
	v_bfrev_b32_e32 v53, 1
	s_mov_b32 s14, exec_lo
	s_delay_alu instid0(VALU_DEP_2)
	v_cmpx_ne_u32_e32 0x80, v24
	s_cbranch_execz .LBB335_451
; %bb.446:                              ;   in Loop: Header=BB335_360 Depth=1
	v_bfe_u32 v49, v22, 24, 7
	v_mov_b32_e32 v53, 0x7f800001
	s_mov_b32 s15, exec_lo
	s_delay_alu instid0(VALU_DEP_2)
	v_cmpx_ne_u32_e32 0x7f, v49
	s_cbranch_execz .LBB335_450
; %bb.447:                              ;   in Loop: Header=BB335_360 Depth=1
	v_dual_lshrrev_b32 v25, 3, v49 :: v_dual_bitop2_b32 v14, 7, v24 bitop3:0x40
	s_mov_b32 s16, exec_lo
	v_cmpx_gt_u32_e32 8, v49
; %bb.448:                              ;   in Loop: Header=BB335_360 Depth=1
	s_delay_alu instid0(VALU_DEP_2) | instskip(NEXT) | instid1(VALU_DEP_1)
	v_clz_i32_u32_e32 v25, v14
	v_min_u32_e32 v25, 32, v25
	s_delay_alu instid0(VALU_DEP_1) | instskip(NEXT) | instid1(VALU_DEP_1)
	v_subrev_nc_u32_e32 v49, 28, v25
	v_lshlrev_b64_e32 v[56:57], v49, v[14:15]
	s_delay_alu instid0(VALU_DEP_1)
	v_dual_sub_nc_u32 v25, 29, v25 :: v_dual_bitop2_b32 v14, 7, v56 bitop3:0x40
; %bb.449:                              ;   in Loop: Header=BB335_360 Depth=1
	s_or_b32 exec_lo, exec_lo, s16
	s_delay_alu instid0(VALU_DEP_1) | instskip(NEXT) | instid1(VALU_DEP_2)
	v_dual_lshlrev_b32 v24, 24, v24 :: v_dual_lshlrev_b32 v14, 20, v14
	v_lshl_add_u32 v25, v25, 23, 0x3c000000
	s_delay_alu instid0(VALU_DEP_2) | instskip(NEXT) | instid1(VALU_DEP_1)
	v_and_b32_e32 v24, 0x80000000, v24
	v_or3_b32 v53, v14, v24, v25
.LBB335_450:                            ;   in Loop: Header=BB335_360 Depth=1
	s_or_b32 exec_lo, exec_lo, s15
.LBB335_451:                            ;   in Loop: Header=BB335_360 Depth=1
	s_delay_alu instid0(SALU_CYCLE_1)
	s_or_b32 exec_lo, exec_lo, s14
.LBB335_452:                            ;   in Loop: Header=BB335_360 Depth=1
	s_delay_alu instid0(SALU_CYCLE_1) | instskip(SKIP_4) | instid1(VALU_DEP_3)
	s_or_b32 exec_lo, exec_lo, s11
	v_and_b32_e32 v25, 0xff, v23
	v_dual_mov_b32 v14, v23 :: v_dual_mov_b32 v24, 0
	v_mov_b32_e32 v50, 0
	s_mov_b32 s11, exec_lo
	v_cmpx_ne_u16_e32 0, v25
	s_cbranch_execz .LBB335_458
; %bb.453:                              ;   in Loop: Header=BB335_360 Depth=1
	v_bfrev_b32_e32 v50, 1
	s_mov_b32 s14, exec_lo
	v_cmpx_ne_u16_e32 0x80, v25
	s_cbranch_execz .LBB335_457
; %bb.454:                              ;   in Loop: Header=BB335_360 Depth=1
	v_and_b32_e32 v25, 0x7f, v23
	v_mov_b32_e32 v50, 0x7f800001
	s_mov_b32 s15, exec_lo
	s_delay_alu instid0(VALU_DEP_2)
	v_cmpx_ne_u32_e32 0x7f, v25
	s_cbranch_execz .LBB335_456
; %bb.455:                              ;   in Loop: Header=BB335_360 Depth=1
	v_dual_lshrrev_b32 v50, 3, v25 :: v_dual_bitop2_b32 v49, 7, v23 bitop3:0x40
	v_cmp_gt_u32_e64 s0, 8, v25
	s_delay_alu instid0(VALU_DEP_2) | instskip(NEXT) | instid1(VALU_DEP_1)
	v_clz_i32_u32_e32 v49, v49
	v_min_u32_e32 v49, 32, v49
	s_delay_alu instid0(VALU_DEP_1) | instskip(SKIP_1) | instid1(VALU_DEP_1)
	v_subrev_nc_u32_e32 v55, 28, v49
	v_sub_nc_u32_e32 v49, 29, v49
	v_dual_cndmask_b32 v25, v50, v49, s0 :: v_dual_cndmask_b32 v49, 0, v55, s0
	s_delay_alu instid0(VALU_DEP_1) | instskip(NEXT) | instid1(VALU_DEP_2)
	v_lshl_add_u32 v25, v25, 23, 0x3c000000
	v_lshlrev_b64_e32 v[56:57], v49, v[14:15]
	v_lshlrev_b32_e32 v49, 24, v14
	s_delay_alu instid0(VALU_DEP_1) | instskip(NEXT) | instid1(VALU_DEP_3)
	v_and_b32_e32 v49, 0x80000000, v49
	v_lshlrev_b32_e32 v50, 20, v56
	s_delay_alu instid0(VALU_DEP_1) | instskip(NEXT) | instid1(VALU_DEP_1)
	v_and_b32_e32 v50, 0x700000, v50
	v_or3_b32 v50, v50, v49, v25
.LBB335_456:                            ;   in Loop: Header=BB335_360 Depth=1
	s_or_b32 exec_lo, exec_lo, s15
.LBB335_457:                            ;   in Loop: Header=BB335_360 Depth=1
	s_delay_alu instid0(SALU_CYCLE_1)
	s_or_b32 exec_lo, exec_lo, s14
.LBB335_458:                            ;   in Loop: Header=BB335_360 Depth=1
	s_delay_alu instid0(SALU_CYCLE_1) | instskip(SKIP_2) | instid1(VALU_DEP_1)
	s_or_b32 exec_lo, exec_lo, s11
	v_lshrrev_b16 v25, 8, v14
	s_mov_b32 s11, exec_lo
	v_cmpx_ne_u16_e32 0, v25
	s_cbranch_execz .LBB335_466
; %bb.459:                              ;   in Loop: Header=BB335_360 Depth=1
	v_bfrev_b32_e32 v24, 1
	s_mov_b32 s14, exec_lo
	v_cmpx_ne_u16_e32 0x80, v25
	s_cbranch_execz .LBB335_465
; %bb.460:                              ;   in Loop: Header=BB335_360 Depth=1
	v_and_b32_e32 v25, 0xffff, v25
	v_mov_b32_e32 v24, 0x7f800001
	s_mov_b32 s15, exec_lo
	s_delay_alu instid0(VALU_DEP_2) | instskip(NEXT) | instid1(VALU_DEP_1)
	v_and_b32_e32 v55, 0x7f, v25
	v_cmpx_ne_u32_e32 0x7f, v55
	s_cbranch_execz .LBB335_464
; %bb.461:                              ;   in Loop: Header=BB335_360 Depth=1
	v_dual_mov_b32 v25, v15 :: v_dual_bitop2_b32 v24, 7, v25 bitop3:0x40
	v_lshrrev_b32_e32 v49, 3, v55
	s_mov_b32 s16, exec_lo
	v_cmpx_gt_u32_e32 8, v55
; %bb.462:                              ;   in Loop: Header=BB335_360 Depth=1
	s_delay_alu instid0(VALU_DEP_3) | instskip(NEXT) | instid1(VALU_DEP_1)
	v_clz_i32_u32_e32 v49, v24
	v_min_u32_e32 v49, 32, v49
	s_delay_alu instid0(VALU_DEP_1) | instskip(NEXT) | instid1(VALU_DEP_1)
	v_subrev_nc_u32_e32 v55, 28, v49
	v_lshlrev_b64_e32 v[24:25], v55, v[24:25]
	s_delay_alu instid0(VALU_DEP_1)
	v_dual_sub_nc_u32 v49, 29, v49 :: v_dual_bitop2_b32 v24, 7, v24 bitop3:0x40
; %bb.463:                              ;   in Loop: Header=BB335_360 Depth=1
	s_or_b32 exec_lo, exec_lo, s16
	s_delay_alu instid0(VALU_DEP_1) | instskip(NEXT) | instid1(VALU_DEP_2)
	v_dual_lshlrev_b32 v14, 16, v14 :: v_dual_lshlrev_b32 v24, 20, v24
	v_lshl_add_u32 v25, v49, 23, 0x3c000000
	s_delay_alu instid0(VALU_DEP_2) | instskip(NEXT) | instid1(VALU_DEP_1)
	v_and_b32_e32 v14, 0x80000000, v14
	v_or3_b32 v24, v24, v14, v25
.LBB335_464:                            ;   in Loop: Header=BB335_360 Depth=1
	s_or_b32 exec_lo, exec_lo, s15
.LBB335_465:                            ;   in Loop: Header=BB335_360 Depth=1
	s_delay_alu instid0(SALU_CYCLE_1)
	s_or_b32 exec_lo, exec_lo, s14
.LBB335_466:                            ;   in Loop: Header=BB335_360 Depth=1
	s_delay_alu instid0(SALU_CYCLE_1) | instskip(SKIP_3) | instid1(VALU_DEP_2)
	s_or_b32 exec_lo, exec_lo, s11
	v_dual_lshrrev_b32 v49, 16, v23 :: v_dual_mov_b32 v25, 0
	v_mov_b32_e32 v57, 0
	s_mov_b32 s11, exec_lo
	v_and_b32_e32 v14, 0xff, v49
	s_delay_alu instid0(VALU_DEP_1)
	v_cmpx_ne_u16_e32 0, v14
	s_cbranch_execz .LBB335_474
; %bb.467:                              ;   in Loop: Header=BB335_360 Depth=1
	v_bfrev_b32_e32 v57, 1
	s_mov_b32 s14, exec_lo
	v_cmpx_ne_u16_e32 0x80, v14
	s_cbranch_execz .LBB335_473
; %bb.468:                              ;   in Loop: Header=BB335_360 Depth=1
	v_bfe_u32 v56, v23, 16, 7
	v_mov_b32_e32 v57, 0x7f800001
	s_mov_b32 s15, exec_lo
	s_delay_alu instid0(VALU_DEP_2)
	v_cmpx_ne_u32_e32 0x7f, v56
	s_cbranch_execz .LBB335_472
; %bb.469:                              ;   in Loop: Header=BB335_360 Depth=1
	v_dual_lshrrev_b32 v55, 3, v56 :: v_dual_bitop2_b32 v14, 7, v49 bitop3:0x40
	s_mov_b32 s16, exec_lo
	v_cmpx_gt_u32_e32 8, v56
; %bb.470:                              ;   in Loop: Header=BB335_360 Depth=1
	s_delay_alu instid0(VALU_DEP_2) | instskip(NEXT) | instid1(VALU_DEP_1)
	v_clz_i32_u32_e32 v55, v14
	v_min_u32_e32 v55, 32, v55
	s_delay_alu instid0(VALU_DEP_1) | instskip(NEXT) | instid1(VALU_DEP_1)
	v_subrev_nc_u32_e32 v56, 28, v55
	v_lshlrev_b64_e32 v[56:57], v56, v[14:15]
	s_delay_alu instid0(VALU_DEP_1)
	v_dual_sub_nc_u32 v55, 29, v55 :: v_dual_bitop2_b32 v14, 7, v56 bitop3:0x40
; %bb.471:                              ;   in Loop: Header=BB335_360 Depth=1
	s_or_b32 exec_lo, exec_lo, s16
	s_delay_alu instid0(VALU_DEP_1) | instskip(NEXT) | instid1(VALU_DEP_2)
	v_dual_lshlrev_b32 v49, 24, v49 :: v_dual_lshlrev_b32 v14, 20, v14
	v_lshl_add_u32 v55, v55, 23, 0x3c000000
	s_delay_alu instid0(VALU_DEP_2) | instskip(NEXT) | instid1(VALU_DEP_1)
	v_and_b32_e32 v49, 0x80000000, v49
	v_or3_b32 v57, v14, v49, v55
.LBB335_472:                            ;   in Loop: Header=BB335_360 Depth=1
	s_or_b32 exec_lo, exec_lo, s15
.LBB335_473:                            ;   in Loop: Header=BB335_360 Depth=1
	s_delay_alu instid0(SALU_CYCLE_1)
	s_or_b32 exec_lo, exec_lo, s14
.LBB335_474:                            ;   in Loop: Header=BB335_360 Depth=1
	s_delay_alu instid0(SALU_CYCLE_1) | instskip(NEXT) | instid1(SALU_CYCLE_1)
	s_or_b32 exec_lo, exec_lo, s11
	s_mov_b32 s11, exec_lo
	v_cmpx_lt_u64_e64 s[2:3], v[22:23]
	s_cbranch_execz .LBB335_482
; %bb.475:                              ;   in Loop: Header=BB335_360 Depth=1
	v_lshrrev_b32_e32 v22, 24, v23
	v_bfrev_b32_e32 v25, 1
	s_mov_b32 s14, exec_lo
	s_delay_alu instid0(VALU_DEP_2)
	v_cmpx_ne_u32_e32 0x80, v22
	s_cbranch_execz .LBB335_481
; %bb.476:                              ;   in Loop: Header=BB335_360 Depth=1
	v_bfe_u32 v49, v23, 24, 7
	v_mov_b32_e32 v25, 0x7f800001
	s_mov_b32 s15, exec_lo
	s_delay_alu instid0(VALU_DEP_2)
	v_cmpx_ne_u32_e32 0x7f, v49
	s_cbranch_execz .LBB335_480
; %bb.477:                              ;   in Loop: Header=BB335_360 Depth=1
	v_dual_lshrrev_b32 v23, 3, v49 :: v_dual_bitop2_b32 v14, 7, v22 bitop3:0x40
	s_mov_b32 s16, exec_lo
	v_cmpx_gt_u32_e32 8, v49
; %bb.478:                              ;   in Loop: Header=BB335_360 Depth=1
	s_delay_alu instid0(VALU_DEP_2) | instskip(NEXT) | instid1(VALU_DEP_1)
	v_clz_i32_u32_e32 v23, v14
	v_min_u32_e32 v23, 32, v23
	s_delay_alu instid0(VALU_DEP_1) | instskip(NEXT) | instid1(VALU_DEP_1)
	v_subrev_nc_u32_e32 v25, 28, v23
	v_lshlrev_b64_e32 v[58:59], v25, v[14:15]
	s_delay_alu instid0(VALU_DEP_1)
	v_dual_sub_nc_u32 v23, 29, v23 :: v_dual_bitop2_b32 v14, 7, v58 bitop3:0x40
; %bb.479:                              ;   in Loop: Header=BB335_360 Depth=1
	s_or_b32 exec_lo, exec_lo, s16
	v_lshlrev_b32_e32 v22, 24, v22
	s_delay_alu instid0(VALU_DEP_2) | instskip(NEXT) | instid1(VALU_DEP_3)
	v_lshlrev_b32_e32 v14, 20, v14
	v_lshl_add_u32 v23, v23, 23, 0x3c000000
	s_delay_alu instid0(VALU_DEP_3) | instskip(NEXT) | instid1(VALU_DEP_1)
	v_and_b32_e32 v22, 0x80000000, v22
	v_or3_b32 v25, v14, v22, v23
.LBB335_480:                            ;   in Loop: Header=BB335_360 Depth=1
	s_or_b32 exec_lo, exec_lo, s15
.LBB335_481:                            ;   in Loop: Header=BB335_360 Depth=1
	s_delay_alu instid0(SALU_CYCLE_1)
	s_or_b32 exec_lo, exec_lo, s14
.LBB335_482:                            ;   in Loop: Header=BB335_360 Depth=1
	s_delay_alu instid0(SALU_CYCLE_1)
	s_or_b32 exec_lo, exec_lo, s11
	v_fma_mixlo_bf16 v49, s6, v24, 0
	v_fma_mixlo_bf16 v50, s6, v50, 0
	;; [unrolled: 1-line block ×8, first 2 shown]
	s_and_saveexec_b32 s11, vcc_lo
	s_cbranch_execz .LBB335_484
; %bb.483:                              ;   in Loop: Header=BB335_360 Depth=1
	v_cmp_gt_i32_e64 s0, s23, v42
	s_delay_alu instid0(VALU_DEP_1) | instskip(SKIP_1) | instid1(VALU_DEP_1)
	v_cndmask_b32_e64 v56, 0, v56, s0
	v_cmp_gt_i32_e64 s0, s23, v48
	v_cndmask_b32_e64 v55, 0, v55, s0
	v_cmp_gt_i32_e64 s0, s23, v47
	s_delay_alu instid0(VALU_DEP_1) | instskip(SKIP_1) | instid1(VALU_DEP_1)
	v_cndmask_b32_e64 v54, 0, v54, s0
	v_cmp_gt_i32_e64 s0, s23, v46
	v_cndmask_b32_e64 v53, 0, v53, s0
	;; [unrolled: 5-line block ×4, first 2 shown]
.LBB335_484:                            ;   in Loop: Header=BB335_360 Depth=1
	s_or_b32 exec_lo, exec_lo, s11
	global_load_b64 v[22:23], v[20:21], off offset:512
	v_dual_mov_b32 v58, 0 :: v_dual_mov_b32 v57, 0
	s_mov_b32 s11, exec_lo
	s_wait_loadcnt 0x0
	v_and_b32_e32 v14, 0xff, v22
	s_delay_alu instid0(VALU_DEP_1)
	v_cmpx_ne_u16_e32 0, v14
	s_cbranch_execz .LBB335_490
; %bb.485:                              ;   in Loop: Header=BB335_360 Depth=1
	v_bfrev_b32_e32 v57, 1
	s_mov_b32 s14, exec_lo
	v_cmpx_ne_u16_e32 0x80, v14
	s_cbranch_execz .LBB335_489
; %bb.486:                              ;   in Loop: Header=BB335_360 Depth=1
	v_and_b32_e32 v14, 0x7f, v22
	v_mov_b32_e32 v57, 0x7f800001
	s_mov_b32 s15, exec_lo
	s_delay_alu instid0(VALU_DEP_2)
	v_cmpx_ne_u32_e32 0x7f, v14
	s_cbranch_execz .LBB335_488
; %bb.487:                              ;   in Loop: Header=BB335_360 Depth=1
	v_and_b32_e32 v24, 7, v22
	v_cmp_gt_u32_e64 s0, 8, v14
	s_delay_alu instid0(VALU_DEP_2) | instskip(NEXT) | instid1(VALU_DEP_1)
	v_clz_i32_u32_e32 v24, v24
	v_min_u32_e32 v24, 32, v24
	v_lshrrev_b32_e32 v25, 3, v14
	s_delay_alu instid0(VALU_DEP_2) | instskip(SKIP_1) | instid1(VALU_DEP_1)
	v_subrev_nc_u32_e32 v57, 28, v24
	v_sub_nc_u32_e32 v24, 29, v24
	v_dual_cndmask_b32 v14, v25, v24, s0 :: v_dual_cndmask_b32 v24, 0, v57, s0
	s_delay_alu instid0(VALU_DEP_1) | instskip(NEXT) | instid1(VALU_DEP_2)
	v_lshl_add_u32 v14, v14, 23, 0x3c000000
	v_lshlrev_b64_e32 v[24:25], v24, v[22:23]
	v_lshlrev_b32_e32 v25, 24, v22
	s_delay_alu instid0(VALU_DEP_1) | instskip(NEXT) | instid1(VALU_DEP_3)
	v_and_b32_e32 v25, 0x80000000, v25
	v_lshlrev_b32_e32 v24, 20, v24
	s_delay_alu instid0(VALU_DEP_1) | instskip(NEXT) | instid1(VALU_DEP_1)
	v_and_b32_e32 v24, 0x700000, v24
	v_or3_b32 v57, v24, v25, v14
.LBB335_488:                            ;   in Loop: Header=BB335_360 Depth=1
	s_or_b32 exec_lo, exec_lo, s15
.LBB335_489:                            ;   in Loop: Header=BB335_360 Depth=1
	s_delay_alu instid0(SALU_CYCLE_1)
	s_or_b32 exec_lo, exec_lo, s14
.LBB335_490:                            ;   in Loop: Header=BB335_360 Depth=1
	s_delay_alu instid0(SALU_CYCLE_1) | instskip(SKIP_2) | instid1(VALU_DEP_1)
	s_or_b32 exec_lo, exec_lo, s11
	v_lshrrev_b16 v14, 8, v22
	s_mov_b32 s11, exec_lo
	v_cmpx_ne_u16_e32 0, v14
	s_cbranch_execz .LBB335_498
; %bb.491:                              ;   in Loop: Header=BB335_360 Depth=1
	v_bfrev_b32_e32 v58, 1
	s_mov_b32 s14, exec_lo
	v_cmpx_ne_u16_e32 0x80, v14
	s_cbranch_execz .LBB335_497
; %bb.492:                              ;   in Loop: Header=BB335_360 Depth=1
	v_and_b32_e32 v14, 0xffff, v14
	v_mov_b32_e32 v58, 0x7f800001
	s_mov_b32 s15, exec_lo
	s_delay_alu instid0(VALU_DEP_2) | instskip(NEXT) | instid1(VALU_DEP_1)
	v_and_b32_e32 v25, 0x7f, v14
	v_cmpx_ne_u32_e32 0x7f, v25
	s_cbranch_execz .LBB335_496
; %bb.493:                              ;   in Loop: Header=BB335_360 Depth=1
	v_dual_lshrrev_b32 v24, 3, v25 :: v_dual_bitop2_b32 v14, 7, v14 bitop3:0x40
	s_mov_b32 s16, exec_lo
	v_cmpx_gt_u32_e32 8, v25
; %bb.494:                              ;   in Loop: Header=BB335_360 Depth=1
	s_delay_alu instid0(VALU_DEP_2) | instskip(NEXT) | instid1(VALU_DEP_1)
	v_clz_i32_u32_e32 v24, v14
	v_min_u32_e32 v24, 32, v24
	s_delay_alu instid0(VALU_DEP_1) | instskip(NEXT) | instid1(VALU_DEP_1)
	v_subrev_nc_u32_e32 v25, 28, v24
	v_lshlrev_b64_e32 v[58:59], v25, v[14:15]
	s_delay_alu instid0(VALU_DEP_1)
	v_dual_sub_nc_u32 v24, 29, v24 :: v_dual_bitop2_b32 v14, 7, v58 bitop3:0x40
; %bb.495:                              ;   in Loop: Header=BB335_360 Depth=1
	s_or_b32 exec_lo, exec_lo, s16
	v_lshlrev_b32_e32 v25, 16, v22
	s_delay_alu instid0(VALU_DEP_2) | instskip(NEXT) | instid1(VALU_DEP_3)
	v_lshlrev_b32_e32 v14, 20, v14
	v_lshl_add_u32 v24, v24, 23, 0x3c000000
	s_delay_alu instid0(VALU_DEP_3) | instskip(NEXT) | instid1(VALU_DEP_1)
	v_and_b32_e32 v25, 0x80000000, v25
	v_or3_b32 v58, v14, v25, v24
.LBB335_496:                            ;   in Loop: Header=BB335_360 Depth=1
	s_or_b32 exec_lo, exec_lo, s15
.LBB335_497:                            ;   in Loop: Header=BB335_360 Depth=1
	s_delay_alu instid0(SALU_CYCLE_1)
	s_or_b32 exec_lo, exec_lo, s14
.LBB335_498:                            ;   in Loop: Header=BB335_360 Depth=1
	s_delay_alu instid0(SALU_CYCLE_1) | instskip(SKIP_3) | instid1(VALU_DEP_2)
	s_or_b32 exec_lo, exec_lo, s11
	v_dual_mov_b32 v61, 0 :: v_dual_lshrrev_b32 v24, 16, v22
	v_mov_b32_e32 v62, 0
	s_mov_b32 s11, exec_lo
	v_and_b32_e32 v14, 0xff, v24
	s_delay_alu instid0(VALU_DEP_1)
	v_cmpx_ne_u16_e32 0, v14
	s_cbranch_execz .LBB335_506
; %bb.499:                              ;   in Loop: Header=BB335_360 Depth=1
	v_bfrev_b32_e32 v62, 1
	s_mov_b32 s14, exec_lo
	v_cmpx_ne_u16_e32 0x80, v14
	s_cbranch_execz .LBB335_505
; %bb.500:                              ;   in Loop: Header=BB335_360 Depth=1
	v_bfe_u32 v59, v22, 16, 7
	v_mov_b32_e32 v62, 0x7f800001
	s_mov_b32 s15, exec_lo
	s_delay_alu instid0(VALU_DEP_2)
	v_cmpx_ne_u32_e32 0x7f, v59
	s_cbranch_execz .LBB335_504
; %bb.501:                              ;   in Loop: Header=BB335_360 Depth=1
	v_dual_lshrrev_b32 v25, 3, v59 :: v_dual_bitop2_b32 v14, 7, v24 bitop3:0x40
	s_mov_b32 s16, exec_lo
	v_cmpx_gt_u32_e32 8, v59
; %bb.502:                              ;   in Loop: Header=BB335_360 Depth=1
	s_delay_alu instid0(VALU_DEP_2) | instskip(NEXT) | instid1(VALU_DEP_1)
	v_clz_i32_u32_e32 v25, v14
	v_min_u32_e32 v25, 32, v25
	s_delay_alu instid0(VALU_DEP_1) | instskip(NEXT) | instid1(VALU_DEP_1)
	v_subrev_nc_u32_e32 v59, 28, v25
	v_lshlrev_b64_e32 v[62:63], v59, v[14:15]
	s_delay_alu instid0(VALU_DEP_1)
	v_dual_sub_nc_u32 v25, 29, v25 :: v_dual_bitop2_b32 v14, 7, v62 bitop3:0x40
; %bb.503:                              ;   in Loop: Header=BB335_360 Depth=1
	s_or_b32 exec_lo, exec_lo, s16
	s_delay_alu instid0(VALU_DEP_1) | instskip(NEXT) | instid1(VALU_DEP_2)
	v_dual_lshlrev_b32 v24, 24, v24 :: v_dual_lshlrev_b32 v14, 20, v14
	v_lshl_add_u32 v25, v25, 23, 0x3c000000
	s_delay_alu instid0(VALU_DEP_2) | instskip(NEXT) | instid1(VALU_DEP_1)
	v_and_b32_e32 v24, 0x80000000, v24
	v_or3_b32 v62, v14, v24, v25
.LBB335_504:                            ;   in Loop: Header=BB335_360 Depth=1
	s_or_b32 exec_lo, exec_lo, s15
.LBB335_505:                            ;   in Loop: Header=BB335_360 Depth=1
	s_delay_alu instid0(SALU_CYCLE_1)
	s_or_b32 exec_lo, exec_lo, s14
.LBB335_506:                            ;   in Loop: Header=BB335_360 Depth=1
	s_delay_alu instid0(SALU_CYCLE_1) | instskip(NEXT) | instid1(SALU_CYCLE_1)
	s_or_b32 exec_lo, exec_lo, s11
	s_mov_b32 s11, exec_lo
	v_cmpx_lt_u32_e32 0xffffff, v22
	s_cbranch_execz .LBB335_514
; %bb.507:                              ;   in Loop: Header=BB335_360 Depth=1
	v_lshrrev_b32_e32 v24, 24, v22
	v_bfrev_b32_e32 v61, 1
	s_mov_b32 s14, exec_lo
	s_delay_alu instid0(VALU_DEP_2)
	v_cmpx_ne_u32_e32 0x80, v24
	s_cbranch_execz .LBB335_513
; %bb.508:                              ;   in Loop: Header=BB335_360 Depth=1
	v_bfe_u32 v59, v22, 24, 7
	v_mov_b32_e32 v61, 0x7f800001
	s_mov_b32 s15, exec_lo
	s_delay_alu instid0(VALU_DEP_2)
	v_cmpx_ne_u32_e32 0x7f, v59
	s_cbranch_execz .LBB335_512
; %bb.509:                              ;   in Loop: Header=BB335_360 Depth=1
	v_dual_lshrrev_b32 v25, 3, v59 :: v_dual_bitop2_b32 v14, 7, v24 bitop3:0x40
	s_mov_b32 s16, exec_lo
	v_cmpx_gt_u32_e32 8, v59
; %bb.510:                              ;   in Loop: Header=BB335_360 Depth=1
	s_delay_alu instid0(VALU_DEP_2) | instskip(NEXT) | instid1(VALU_DEP_1)
	v_clz_i32_u32_e32 v25, v14
	v_min_u32_e32 v25, 32, v25
	s_delay_alu instid0(VALU_DEP_1) | instskip(NEXT) | instid1(VALU_DEP_1)
	v_subrev_nc_u32_e32 v59, 28, v25
	v_lshlrev_b64_e32 v[60:61], v59, v[14:15]
	s_delay_alu instid0(VALU_DEP_1)
	v_dual_sub_nc_u32 v25, 29, v25 :: v_dual_bitop2_b32 v14, 7, v60 bitop3:0x40
; %bb.511:                              ;   in Loop: Header=BB335_360 Depth=1
	s_or_b32 exec_lo, exec_lo, s16
	s_delay_alu instid0(VALU_DEP_1) | instskip(NEXT) | instid1(VALU_DEP_2)
	v_dual_lshlrev_b32 v24, 24, v24 :: v_dual_lshlrev_b32 v14, 20, v14
	v_lshl_add_u32 v25, v25, 23, 0x3c000000
	s_delay_alu instid0(VALU_DEP_2) | instskip(NEXT) | instid1(VALU_DEP_1)
	v_and_b32_e32 v24, 0x80000000, v24
	v_or3_b32 v61, v14, v24, v25
.LBB335_512:                            ;   in Loop: Header=BB335_360 Depth=1
	s_or_b32 exec_lo, exec_lo, s15
.LBB335_513:                            ;   in Loop: Header=BB335_360 Depth=1
	s_delay_alu instid0(SALU_CYCLE_1)
	s_or_b32 exec_lo, exec_lo, s14
.LBB335_514:                            ;   in Loop: Header=BB335_360 Depth=1
	s_delay_alu instid0(SALU_CYCLE_1) | instskip(SKIP_4) | instid1(VALU_DEP_3)
	s_or_b32 exec_lo, exec_lo, s11
	v_and_b32_e32 v25, 0xff, v23
	v_dual_mov_b32 v14, v23 :: v_dual_mov_b32 v24, 0
	v_mov_b32_e32 v60, 0
	s_mov_b32 s11, exec_lo
	v_cmpx_ne_u16_e32 0, v25
	s_cbranch_execz .LBB335_520
; %bb.515:                              ;   in Loop: Header=BB335_360 Depth=1
	v_bfrev_b32_e32 v60, 1
	s_mov_b32 s14, exec_lo
	v_cmpx_ne_u16_e32 0x80, v25
	s_cbranch_execz .LBB335_519
; %bb.516:                              ;   in Loop: Header=BB335_360 Depth=1
	v_and_b32_e32 v25, 0x7f, v23
	v_mov_b32_e32 v60, 0x7f800001
	s_mov_b32 s15, exec_lo
	s_delay_alu instid0(VALU_DEP_2)
	v_cmpx_ne_u32_e32 0x7f, v25
	s_cbranch_execz .LBB335_518
; %bb.517:                              ;   in Loop: Header=BB335_360 Depth=1
	v_dual_lshrrev_b32 v60, 3, v25 :: v_dual_bitop2_b32 v59, 7, v23 bitop3:0x40
	v_cmp_gt_u32_e64 s0, 8, v25
	s_delay_alu instid0(VALU_DEP_2) | instskip(NEXT) | instid1(VALU_DEP_1)
	v_clz_i32_u32_e32 v59, v59
	v_min_u32_e32 v59, 32, v59
	s_delay_alu instid0(VALU_DEP_1) | instskip(SKIP_1) | instid1(VALU_DEP_1)
	v_subrev_nc_u32_e32 v63, 28, v59
	v_sub_nc_u32_e32 v59, 29, v59
	v_cndmask_b32_e64 v25, v60, v59, s0
	s_delay_alu instid0(VALU_DEP_3) | instskip(NEXT) | instid1(VALU_DEP_1)
	v_cndmask_b32_e64 v59, 0, v63, s0
	v_lshlrev_b64_e32 v[64:65], v59, v[14:15]
	v_lshlrev_b32_e32 v59, 24, v14
	s_delay_alu instid0(VALU_DEP_4) | instskip(NEXT) | instid1(VALU_DEP_2)
	v_lshl_add_u32 v25, v25, 23, 0x3c000000
	v_and_b32_e32 v59, 0x80000000, v59
	s_delay_alu instid0(VALU_DEP_4) | instskip(NEXT) | instid1(VALU_DEP_1)
	v_lshlrev_b32_e32 v60, 20, v64
	v_and_b32_e32 v60, 0x700000, v60
	s_delay_alu instid0(VALU_DEP_1)
	v_or3_b32 v60, v60, v59, v25
.LBB335_518:                            ;   in Loop: Header=BB335_360 Depth=1
	s_or_b32 exec_lo, exec_lo, s15
.LBB335_519:                            ;   in Loop: Header=BB335_360 Depth=1
	s_delay_alu instid0(SALU_CYCLE_1)
	s_or_b32 exec_lo, exec_lo, s14
.LBB335_520:                            ;   in Loop: Header=BB335_360 Depth=1
	s_delay_alu instid0(SALU_CYCLE_1) | instskip(SKIP_2) | instid1(VALU_DEP_1)
	s_or_b32 exec_lo, exec_lo, s11
	v_lshrrev_b16 v25, 8, v14
	s_mov_b32 s11, exec_lo
	v_cmpx_ne_u16_e32 0, v25
	s_cbranch_execz .LBB335_528
; %bb.521:                              ;   in Loop: Header=BB335_360 Depth=1
	v_bfrev_b32_e32 v24, 1
	s_mov_b32 s14, exec_lo
	v_cmpx_ne_u16_e32 0x80, v25
	s_cbranch_execz .LBB335_527
; %bb.522:                              ;   in Loop: Header=BB335_360 Depth=1
	v_and_b32_e32 v25, 0xffff, v25
	v_mov_b32_e32 v24, 0x7f800001
	s_mov_b32 s15, exec_lo
	s_delay_alu instid0(VALU_DEP_2) | instskip(NEXT) | instid1(VALU_DEP_1)
	v_and_b32_e32 v63, 0x7f, v25
	v_cmpx_ne_u32_e32 0x7f, v63
	s_cbranch_execz .LBB335_526
; %bb.523:                              ;   in Loop: Header=BB335_360 Depth=1
	v_dual_mov_b32 v25, v15 :: v_dual_bitop2_b32 v24, 7, v25 bitop3:0x40
	v_lshrrev_b32_e32 v59, 3, v63
	s_mov_b32 s16, exec_lo
	v_cmpx_gt_u32_e32 8, v63
; %bb.524:                              ;   in Loop: Header=BB335_360 Depth=1
	s_delay_alu instid0(VALU_DEP_3) | instskip(NEXT) | instid1(VALU_DEP_1)
	v_clz_i32_u32_e32 v59, v24
	v_min_u32_e32 v59, 32, v59
	s_delay_alu instid0(VALU_DEP_1) | instskip(NEXT) | instid1(VALU_DEP_1)
	v_subrev_nc_u32_e32 v63, 28, v59
	v_lshlrev_b64_e32 v[24:25], v63, v[24:25]
	s_delay_alu instid0(VALU_DEP_1)
	v_dual_sub_nc_u32 v59, 29, v59 :: v_dual_bitop2_b32 v24, 7, v24 bitop3:0x40
; %bb.525:                              ;   in Loop: Header=BB335_360 Depth=1
	s_or_b32 exec_lo, exec_lo, s16
	s_delay_alu instid0(VALU_DEP_1) | instskip(NEXT) | instid1(VALU_DEP_2)
	v_dual_lshlrev_b32 v14, 16, v14 :: v_dual_lshlrev_b32 v24, 20, v24
	v_lshl_add_u32 v25, v59, 23, 0x3c000000
	s_delay_alu instid0(VALU_DEP_2) | instskip(NEXT) | instid1(VALU_DEP_1)
	v_and_b32_e32 v14, 0x80000000, v14
	v_or3_b32 v24, v24, v14, v25
.LBB335_526:                            ;   in Loop: Header=BB335_360 Depth=1
	s_or_b32 exec_lo, exec_lo, s15
.LBB335_527:                            ;   in Loop: Header=BB335_360 Depth=1
	s_delay_alu instid0(SALU_CYCLE_1)
	s_or_b32 exec_lo, exec_lo, s14
.LBB335_528:                            ;   in Loop: Header=BB335_360 Depth=1
	s_delay_alu instid0(SALU_CYCLE_1) | instskip(SKIP_3) | instid1(VALU_DEP_2)
	s_or_b32 exec_lo, exec_lo, s11
	v_dual_lshrrev_b32 v59, 16, v23 :: v_dual_mov_b32 v25, 0
	v_mov_b32_e32 v65, 0
	s_mov_b32 s11, exec_lo
	v_and_b32_e32 v14, 0xff, v59
	s_delay_alu instid0(VALU_DEP_1)
	v_cmpx_ne_u16_e32 0, v14
	s_cbranch_execz .LBB335_536
; %bb.529:                              ;   in Loop: Header=BB335_360 Depth=1
	v_bfrev_b32_e32 v65, 1
	s_mov_b32 s14, exec_lo
	v_cmpx_ne_u16_e32 0x80, v14
	s_cbranch_execz .LBB335_535
; %bb.530:                              ;   in Loop: Header=BB335_360 Depth=1
	v_bfe_u32 v64, v23, 16, 7
	v_mov_b32_e32 v65, 0x7f800001
	s_mov_b32 s15, exec_lo
	s_delay_alu instid0(VALU_DEP_2)
	v_cmpx_ne_u32_e32 0x7f, v64
	s_cbranch_execz .LBB335_534
; %bb.531:                              ;   in Loop: Header=BB335_360 Depth=1
	v_dual_lshrrev_b32 v63, 3, v64 :: v_dual_bitop2_b32 v14, 7, v59 bitop3:0x40
	s_mov_b32 s16, exec_lo
	v_cmpx_gt_u32_e32 8, v64
; %bb.532:                              ;   in Loop: Header=BB335_360 Depth=1
	s_delay_alu instid0(VALU_DEP_2) | instskip(NEXT) | instid1(VALU_DEP_1)
	v_clz_i32_u32_e32 v63, v14
	v_min_u32_e32 v63, 32, v63
	s_delay_alu instid0(VALU_DEP_1) | instskip(NEXT) | instid1(VALU_DEP_1)
	v_subrev_nc_u32_e32 v64, 28, v63
	v_lshlrev_b64_e32 v[64:65], v64, v[14:15]
	s_delay_alu instid0(VALU_DEP_1)
	v_dual_sub_nc_u32 v63, 29, v63 :: v_dual_bitop2_b32 v14, 7, v64 bitop3:0x40
; %bb.533:                              ;   in Loop: Header=BB335_360 Depth=1
	s_or_b32 exec_lo, exec_lo, s16
	s_delay_alu instid0(VALU_DEP_1) | instskip(NEXT) | instid1(VALU_DEP_2)
	v_dual_lshlrev_b32 v59, 24, v59 :: v_dual_lshlrev_b32 v14, 20, v14
	v_lshl_add_u32 v63, v63, 23, 0x3c000000
	s_delay_alu instid0(VALU_DEP_2) | instskip(NEXT) | instid1(VALU_DEP_1)
	v_and_b32_e32 v59, 0x80000000, v59
	v_or3_b32 v65, v14, v59, v63
.LBB335_534:                            ;   in Loop: Header=BB335_360 Depth=1
	s_or_b32 exec_lo, exec_lo, s15
.LBB335_535:                            ;   in Loop: Header=BB335_360 Depth=1
	s_delay_alu instid0(SALU_CYCLE_1)
	s_or_b32 exec_lo, exec_lo, s14
.LBB335_536:                            ;   in Loop: Header=BB335_360 Depth=1
	s_delay_alu instid0(SALU_CYCLE_1) | instskip(NEXT) | instid1(SALU_CYCLE_1)
	s_or_b32 exec_lo, exec_lo, s11
	s_mov_b32 s11, exec_lo
	v_cmpx_lt_u64_e64 s[2:3], v[22:23]
	s_cbranch_execz .LBB335_544
; %bb.537:                              ;   in Loop: Header=BB335_360 Depth=1
	v_lshrrev_b32_e32 v22, 24, v23
	v_bfrev_b32_e32 v25, 1
	s_mov_b32 s14, exec_lo
	s_delay_alu instid0(VALU_DEP_2)
	v_cmpx_ne_u32_e32 0x80, v22
	s_cbranch_execz .LBB335_543
; %bb.538:                              ;   in Loop: Header=BB335_360 Depth=1
	v_bfe_u32 v59, v23, 24, 7
	v_mov_b32_e32 v25, 0x7f800001
	s_mov_b32 s15, exec_lo
	s_delay_alu instid0(VALU_DEP_2)
	v_cmpx_ne_u32_e32 0x7f, v59
	s_cbranch_execz .LBB335_542
; %bb.539:                              ;   in Loop: Header=BB335_360 Depth=1
	v_dual_lshrrev_b32 v23, 3, v59 :: v_dual_bitop2_b32 v14, 7, v22 bitop3:0x40
	s_mov_b32 s16, exec_lo
	v_cmpx_gt_u32_e32 8, v59
; %bb.540:                              ;   in Loop: Header=BB335_360 Depth=1
	s_delay_alu instid0(VALU_DEP_2) | instskip(NEXT) | instid1(VALU_DEP_1)
	v_clz_i32_u32_e32 v23, v14
	v_min_u32_e32 v23, 32, v23
	s_delay_alu instid0(VALU_DEP_1) | instskip(NEXT) | instid1(VALU_DEP_1)
	v_subrev_nc_u32_e32 v25, 28, v23
	v_lshlrev_b64_e32 v[66:67], v25, v[14:15]
	s_delay_alu instid0(VALU_DEP_1)
	v_dual_sub_nc_u32 v23, 29, v23 :: v_dual_bitop2_b32 v14, 7, v66 bitop3:0x40
; %bb.541:                              ;   in Loop: Header=BB335_360 Depth=1
	s_or_b32 exec_lo, exec_lo, s16
	v_lshlrev_b32_e32 v22, 24, v22
	s_delay_alu instid0(VALU_DEP_2) | instskip(NEXT) | instid1(VALU_DEP_3)
	v_lshlrev_b32_e32 v14, 20, v14
	v_lshl_add_u32 v23, v23, 23, 0x3c000000
	s_delay_alu instid0(VALU_DEP_3) | instskip(NEXT) | instid1(VALU_DEP_1)
	v_and_b32_e32 v22, 0x80000000, v22
	v_or3_b32 v25, v14, v22, v23
.LBB335_542:                            ;   in Loop: Header=BB335_360 Depth=1
	s_or_b32 exec_lo, exec_lo, s15
.LBB335_543:                            ;   in Loop: Header=BB335_360 Depth=1
	s_delay_alu instid0(SALU_CYCLE_1)
	s_or_b32 exec_lo, exec_lo, s14
.LBB335_544:                            ;   in Loop: Header=BB335_360 Depth=1
	s_delay_alu instid0(SALU_CYCLE_1)
	s_or_b32 exec_lo, exec_lo, s11
	v_fma_mixlo_bf16 v59, s6, v24, 0
	v_fma_mixlo_bf16 v60, s6, v60, 0
	;; [unrolled: 1-line block ×8, first 2 shown]
	s_and_saveexec_b32 s11, vcc_lo
	s_cbranch_execz .LBB335_546
; %bb.545:                              ;   in Loop: Header=BB335_360 Depth=1
	v_cmp_gt_i32_e64 s0, s23, v42
	s_delay_alu instid0(VALU_DEP_1) | instskip(SKIP_1) | instid1(VALU_DEP_1)
	v_cndmask_b32_e64 v64, 0, v64, s0
	v_cmp_gt_i32_e64 s0, s23, v48
	v_cndmask_b32_e64 v63, 0, v63, s0
	v_cmp_gt_i32_e64 s0, s23, v47
	s_delay_alu instid0(VALU_DEP_1) | instskip(SKIP_1) | instid1(VALU_DEP_1)
	v_cndmask_b32_e64 v62, 0, v62, s0
	v_cmp_gt_i32_e64 s0, s23, v46
	v_cndmask_b32_e64 v61, 0, v61, s0
	;; [unrolled: 5-line block ×4, first 2 shown]
.LBB335_546:                            ;   in Loop: Header=BB335_360 Depth=1
	s_or_b32 exec_lo, exec_lo, s11
	global_load_b64 v[22:23], v[20:21], off offset:768
	v_dual_mov_b32 v69, 0 :: v_dual_mov_b32 v70, 0
	s_mov_b32 s11, exec_lo
	s_wait_loadcnt 0x0
	v_and_b32_e32 v14, 0xff, v22
	s_delay_alu instid0(VALU_DEP_1)
	v_cmpx_ne_u16_e32 0, v14
	s_cbranch_execz .LBB335_552
; %bb.547:                              ;   in Loop: Header=BB335_360 Depth=1
	v_bfrev_b32_e32 v70, 1
	s_mov_b32 s14, exec_lo
	v_cmpx_ne_u16_e32 0x80, v14
	s_cbranch_execz .LBB335_551
; %bb.548:                              ;   in Loop: Header=BB335_360 Depth=1
	v_and_b32_e32 v14, 0x7f, v22
	v_mov_b32_e32 v70, 0x7f800001
	s_mov_b32 s15, exec_lo
	s_delay_alu instid0(VALU_DEP_2)
	v_cmpx_ne_u32_e32 0x7f, v14
	s_cbranch_execz .LBB335_550
; %bb.549:                              ;   in Loop: Header=BB335_360 Depth=1
	v_and_b32_e32 v24, 7, v22
	v_cmp_gt_u32_e64 s0, 8, v14
	s_delay_alu instid0(VALU_DEP_2) | instskip(NEXT) | instid1(VALU_DEP_1)
	v_clz_i32_u32_e32 v24, v24
	v_min_u32_e32 v24, 32, v24
	v_lshrrev_b32_e32 v25, 3, v14
	s_delay_alu instid0(VALU_DEP_2) | instskip(SKIP_1) | instid1(VALU_DEP_1)
	v_subrev_nc_u32_e32 v65, 28, v24
	v_sub_nc_u32_e32 v24, 29, v24
	v_dual_cndmask_b32 v14, v25, v24, s0 :: v_dual_cndmask_b32 v24, 0, v65, s0
	s_delay_alu instid0(VALU_DEP_1) | instskip(NEXT) | instid1(VALU_DEP_2)
	v_lshl_add_u32 v14, v14, 23, 0x3c000000
	v_lshlrev_b64_e32 v[24:25], v24, v[22:23]
	v_lshlrev_b32_e32 v25, 24, v22
	s_delay_alu instid0(VALU_DEP_1) | instskip(NEXT) | instid1(VALU_DEP_3)
	v_and_b32_e32 v25, 0x80000000, v25
	v_lshlrev_b32_e32 v24, 20, v24
	s_delay_alu instid0(VALU_DEP_1) | instskip(NEXT) | instid1(VALU_DEP_1)
	v_and_b32_e32 v24, 0x700000, v24
	v_or3_b32 v70, v24, v25, v14
.LBB335_550:                            ;   in Loop: Header=BB335_360 Depth=1
	s_or_b32 exec_lo, exec_lo, s15
.LBB335_551:                            ;   in Loop: Header=BB335_360 Depth=1
	s_delay_alu instid0(SALU_CYCLE_1)
	s_or_b32 exec_lo, exec_lo, s14
.LBB335_552:                            ;   in Loop: Header=BB335_360 Depth=1
	s_delay_alu instid0(SALU_CYCLE_1) | instskip(SKIP_2) | instid1(VALU_DEP_1)
	s_or_b32 exec_lo, exec_lo, s11
	v_lshrrev_b16 v14, 8, v22
	s_mov_b32 s11, exec_lo
	v_cmpx_ne_u16_e32 0, v14
	s_cbranch_execz .LBB335_560
; %bb.553:                              ;   in Loop: Header=BB335_360 Depth=1
	v_bfrev_b32_e32 v69, 1
	s_mov_b32 s14, exec_lo
	v_cmpx_ne_u16_e32 0x80, v14
	s_cbranch_execz .LBB335_559
; %bb.554:                              ;   in Loop: Header=BB335_360 Depth=1
	v_and_b32_e32 v14, 0xffff, v14
	v_mov_b32_e32 v69, 0x7f800001
	s_mov_b32 s15, exec_lo
	s_delay_alu instid0(VALU_DEP_2) | instskip(NEXT) | instid1(VALU_DEP_1)
	v_and_b32_e32 v25, 0x7f, v14
	v_cmpx_ne_u32_e32 0x7f, v25
	s_cbranch_execz .LBB335_558
; %bb.555:                              ;   in Loop: Header=BB335_360 Depth=1
	v_dual_lshrrev_b32 v24, 3, v25 :: v_dual_bitop2_b32 v14, 7, v14 bitop3:0x40
	s_mov_b32 s16, exec_lo
	v_cmpx_gt_u32_e32 8, v25
; %bb.556:                              ;   in Loop: Header=BB335_360 Depth=1
	s_delay_alu instid0(VALU_DEP_2) | instskip(NEXT) | instid1(VALU_DEP_1)
	v_clz_i32_u32_e32 v24, v14
	v_min_u32_e32 v24, 32, v24
	s_delay_alu instid0(VALU_DEP_1) | instskip(NEXT) | instid1(VALU_DEP_1)
	v_subrev_nc_u32_e32 v25, 28, v24
	v_lshlrev_b64_e32 v[66:67], v25, v[14:15]
	s_delay_alu instid0(VALU_DEP_1)
	v_dual_sub_nc_u32 v24, 29, v24 :: v_dual_bitop2_b32 v14, 7, v66 bitop3:0x40
; %bb.557:                              ;   in Loop: Header=BB335_360 Depth=1
	s_or_b32 exec_lo, exec_lo, s16
	v_lshlrev_b32_e32 v25, 16, v22
	s_delay_alu instid0(VALU_DEP_2) | instskip(NEXT) | instid1(VALU_DEP_3)
	v_lshlrev_b32_e32 v14, 20, v14
	v_lshl_add_u32 v24, v24, 23, 0x3c000000
	s_delay_alu instid0(VALU_DEP_3) | instskip(NEXT) | instid1(VALU_DEP_1)
	v_and_b32_e32 v25, 0x80000000, v25
	v_or3_b32 v69, v14, v25, v24
.LBB335_558:                            ;   in Loop: Header=BB335_360 Depth=1
	s_or_b32 exec_lo, exec_lo, s15
.LBB335_559:                            ;   in Loop: Header=BB335_360 Depth=1
	s_delay_alu instid0(SALU_CYCLE_1)
	s_or_b32 exec_lo, exec_lo, s14
.LBB335_560:                            ;   in Loop: Header=BB335_360 Depth=1
	s_delay_alu instid0(SALU_CYCLE_1) | instskip(SKIP_3) | instid1(VALU_DEP_2)
	s_or_b32 exec_lo, exec_lo, s11
	v_dual_mov_b32 v67, 0 :: v_dual_lshrrev_b32 v24, 16, v22
	v_mov_b32_e32 v68, 0
	s_mov_b32 s11, exec_lo
	v_and_b32_e32 v14, 0xff, v24
	s_delay_alu instid0(VALU_DEP_1)
	v_cmpx_ne_u16_e32 0, v14
	s_cbranch_execz .LBB335_568
; %bb.561:                              ;   in Loop: Header=BB335_360 Depth=1
	v_bfrev_b32_e32 v68, 1
	s_mov_b32 s14, exec_lo
	v_cmpx_ne_u16_e32 0x80, v14
	s_cbranch_execz .LBB335_567
; %bb.562:                              ;   in Loop: Header=BB335_360 Depth=1
	v_bfe_u32 v65, v22, 16, 7
	v_mov_b32_e32 v68, 0x7f800001
	s_mov_b32 s15, exec_lo
	s_delay_alu instid0(VALU_DEP_2)
	v_cmpx_ne_u32_e32 0x7f, v65
	s_cbranch_execz .LBB335_566
; %bb.563:                              ;   in Loop: Header=BB335_360 Depth=1
	v_dual_lshrrev_b32 v25, 3, v65 :: v_dual_bitop2_b32 v14, 7, v24 bitop3:0x40
	s_mov_b32 s16, exec_lo
	v_cmpx_gt_u32_e32 8, v65
; %bb.564:                              ;   in Loop: Header=BB335_360 Depth=1
	s_delay_alu instid0(VALU_DEP_2) | instskip(NEXT) | instid1(VALU_DEP_1)
	v_clz_i32_u32_e32 v25, v14
	v_min_u32_e32 v25, 32, v25
	s_delay_alu instid0(VALU_DEP_1) | instskip(NEXT) | instid1(VALU_DEP_1)
	v_subrev_nc_u32_e32 v65, 28, v25
	v_lshlrev_b64_e32 v[72:73], v65, v[14:15]
	s_delay_alu instid0(VALU_DEP_1)
	v_dual_sub_nc_u32 v25, 29, v25 :: v_dual_bitop2_b32 v14, 7, v72 bitop3:0x40
; %bb.565:                              ;   in Loop: Header=BB335_360 Depth=1
	s_or_b32 exec_lo, exec_lo, s16
	s_delay_alu instid0(VALU_DEP_1) | instskip(NEXT) | instid1(VALU_DEP_2)
	v_dual_lshlrev_b32 v24, 24, v24 :: v_dual_lshlrev_b32 v14, 20, v14
	v_lshl_add_u32 v25, v25, 23, 0x3c000000
	s_delay_alu instid0(VALU_DEP_2) | instskip(NEXT) | instid1(VALU_DEP_1)
	v_and_b32_e32 v24, 0x80000000, v24
	v_or3_b32 v68, v14, v24, v25
.LBB335_566:                            ;   in Loop: Header=BB335_360 Depth=1
	s_or_b32 exec_lo, exec_lo, s15
.LBB335_567:                            ;   in Loop: Header=BB335_360 Depth=1
	s_delay_alu instid0(SALU_CYCLE_1)
	s_or_b32 exec_lo, exec_lo, s14
.LBB335_568:                            ;   in Loop: Header=BB335_360 Depth=1
	s_delay_alu instid0(SALU_CYCLE_1) | instskip(NEXT) | instid1(SALU_CYCLE_1)
	s_or_b32 exec_lo, exec_lo, s11
	s_mov_b32 s11, exec_lo
	v_cmpx_lt_u32_e32 0xffffff, v22
	s_cbranch_execz .LBB335_576
; %bb.569:                              ;   in Loop: Header=BB335_360 Depth=1
	v_lshrrev_b32_e32 v24, 24, v22
	v_bfrev_b32_e32 v67, 1
	s_mov_b32 s14, exec_lo
	s_delay_alu instid0(VALU_DEP_2)
	v_cmpx_ne_u32_e32 0x80, v24
	s_cbranch_execz .LBB335_575
; %bb.570:                              ;   in Loop: Header=BB335_360 Depth=1
	v_bfe_u32 v65, v22, 24, 7
	v_mov_b32_e32 v67, 0x7f800001
	s_mov_b32 s15, exec_lo
	s_delay_alu instid0(VALU_DEP_2)
	v_cmpx_ne_u32_e32 0x7f, v65
	s_cbranch_execz .LBB335_574
; %bb.571:                              ;   in Loop: Header=BB335_360 Depth=1
	v_dual_lshrrev_b32 v25, 3, v65 :: v_dual_bitop2_b32 v14, 7, v24 bitop3:0x40
	s_mov_b32 s16, exec_lo
	v_cmpx_gt_u32_e32 8, v65
; %bb.572:                              ;   in Loop: Header=BB335_360 Depth=1
	s_delay_alu instid0(VALU_DEP_2) | instskip(NEXT) | instid1(VALU_DEP_1)
	v_clz_i32_u32_e32 v25, v14
	v_min_u32_e32 v25, 32, v25
	s_delay_alu instid0(VALU_DEP_1) | instskip(NEXT) | instid1(VALU_DEP_1)
	v_subrev_nc_u32_e32 v65, 28, v25
	v_lshlrev_b64_e32 v[66:67], v65, v[14:15]
	s_delay_alu instid0(VALU_DEP_1)
	v_dual_sub_nc_u32 v25, 29, v25 :: v_dual_bitop2_b32 v14, 7, v66 bitop3:0x40
; %bb.573:                              ;   in Loop: Header=BB335_360 Depth=1
	s_or_b32 exec_lo, exec_lo, s16
	s_delay_alu instid0(VALU_DEP_1) | instskip(NEXT) | instid1(VALU_DEP_2)
	v_dual_lshlrev_b32 v24, 24, v24 :: v_dual_lshlrev_b32 v14, 20, v14
	v_lshl_add_u32 v25, v25, 23, 0x3c000000
	s_delay_alu instid0(VALU_DEP_2) | instskip(NEXT) | instid1(VALU_DEP_1)
	v_and_b32_e32 v24, 0x80000000, v24
	v_or3_b32 v67, v14, v24, v25
.LBB335_574:                            ;   in Loop: Header=BB335_360 Depth=1
	s_or_b32 exec_lo, exec_lo, s15
.LBB335_575:                            ;   in Loop: Header=BB335_360 Depth=1
	s_delay_alu instid0(SALU_CYCLE_1)
	s_or_b32 exec_lo, exec_lo, s14
.LBB335_576:                            ;   in Loop: Header=BB335_360 Depth=1
	s_delay_alu instid0(SALU_CYCLE_1) | instskip(SKIP_4) | instid1(VALU_DEP_3)
	s_or_b32 exec_lo, exec_lo, s11
	v_and_b32_e32 v25, 0xff, v23
	v_dual_mov_b32 v14, v23 :: v_dual_mov_b32 v24, 0
	v_mov_b32_e32 v66, 0
	s_mov_b32 s11, exec_lo
	v_cmpx_ne_u16_e32 0, v25
	s_cbranch_execz .LBB335_582
; %bb.577:                              ;   in Loop: Header=BB335_360 Depth=1
	v_bfrev_b32_e32 v66, 1
	s_mov_b32 s14, exec_lo
	v_cmpx_ne_u16_e32 0x80, v25
	s_cbranch_execz .LBB335_581
; %bb.578:                              ;   in Loop: Header=BB335_360 Depth=1
	v_and_b32_e32 v25, 0x7f, v23
	v_mov_b32_e32 v66, 0x7f800001
	s_mov_b32 s15, exec_lo
	s_delay_alu instid0(VALU_DEP_2)
	v_cmpx_ne_u32_e32 0x7f, v25
	s_cbranch_execz .LBB335_580
; %bb.579:                              ;   in Loop: Header=BB335_360 Depth=1
	v_dual_lshrrev_b32 v66, 3, v25 :: v_dual_bitop2_b32 v65, 7, v23 bitop3:0x40
	v_cmp_gt_u32_e64 s0, 8, v25
	s_delay_alu instid0(VALU_DEP_2) | instskip(NEXT) | instid1(VALU_DEP_1)
	v_clz_i32_u32_e32 v65, v65
	v_min_u32_e32 v65, 32, v65
	s_delay_alu instid0(VALU_DEP_1) | instskip(SKIP_1) | instid1(VALU_DEP_1)
	v_subrev_nc_u32_e32 v71, 28, v65
	v_sub_nc_u32_e32 v65, 29, v65
	v_dual_cndmask_b32 v25, v66, v65, s0 :: v_dual_cndmask_b32 v65, 0, v71, s0
	s_delay_alu instid0(VALU_DEP_1) | instskip(NEXT) | instid1(VALU_DEP_2)
	v_lshl_add_u32 v25, v25, 23, 0x3c000000
	v_lshlrev_b64_e32 v[72:73], v65, v[14:15]
	v_lshlrev_b32_e32 v65, 24, v14
	s_delay_alu instid0(VALU_DEP_1) | instskip(NEXT) | instid1(VALU_DEP_3)
	v_and_b32_e32 v65, 0x80000000, v65
	v_lshlrev_b32_e32 v66, 20, v72
	s_delay_alu instid0(VALU_DEP_1) | instskip(NEXT) | instid1(VALU_DEP_1)
	v_and_b32_e32 v66, 0x700000, v66
	v_or3_b32 v66, v66, v65, v25
.LBB335_580:                            ;   in Loop: Header=BB335_360 Depth=1
	s_or_b32 exec_lo, exec_lo, s15
.LBB335_581:                            ;   in Loop: Header=BB335_360 Depth=1
	s_delay_alu instid0(SALU_CYCLE_1)
	s_or_b32 exec_lo, exec_lo, s14
.LBB335_582:                            ;   in Loop: Header=BB335_360 Depth=1
	s_delay_alu instid0(SALU_CYCLE_1) | instskip(SKIP_2) | instid1(VALU_DEP_1)
	s_or_b32 exec_lo, exec_lo, s11
	v_lshrrev_b16 v25, 8, v14
	s_mov_b32 s11, exec_lo
	v_cmpx_ne_u16_e32 0, v25
	s_cbranch_execz .LBB335_590
; %bb.583:                              ;   in Loop: Header=BB335_360 Depth=1
	v_bfrev_b32_e32 v24, 1
	s_mov_b32 s14, exec_lo
	v_cmpx_ne_u16_e32 0x80, v25
	s_cbranch_execz .LBB335_589
; %bb.584:                              ;   in Loop: Header=BB335_360 Depth=1
	v_and_b32_e32 v25, 0xffff, v25
	v_mov_b32_e32 v24, 0x7f800001
	s_mov_b32 s15, exec_lo
	s_delay_alu instid0(VALU_DEP_2) | instskip(NEXT) | instid1(VALU_DEP_1)
	v_and_b32_e32 v71, 0x7f, v25
	v_cmpx_ne_u32_e32 0x7f, v71
	s_cbranch_execz .LBB335_588
; %bb.585:                              ;   in Loop: Header=BB335_360 Depth=1
	v_dual_mov_b32 v25, v15 :: v_dual_bitop2_b32 v24, 7, v25 bitop3:0x40
	v_lshrrev_b32_e32 v65, 3, v71
	s_mov_b32 s16, exec_lo
	v_cmpx_gt_u32_e32 8, v71
; %bb.586:                              ;   in Loop: Header=BB335_360 Depth=1
	s_delay_alu instid0(VALU_DEP_3) | instskip(NEXT) | instid1(VALU_DEP_1)
	v_clz_i32_u32_e32 v65, v24
	v_min_u32_e32 v65, 32, v65
	s_delay_alu instid0(VALU_DEP_1) | instskip(NEXT) | instid1(VALU_DEP_1)
	v_subrev_nc_u32_e32 v71, 28, v65
	v_lshlrev_b64_e32 v[24:25], v71, v[24:25]
	s_delay_alu instid0(VALU_DEP_1)
	v_dual_sub_nc_u32 v65, 29, v65 :: v_dual_bitop2_b32 v24, 7, v24 bitop3:0x40
; %bb.587:                              ;   in Loop: Header=BB335_360 Depth=1
	s_or_b32 exec_lo, exec_lo, s16
	s_delay_alu instid0(VALU_DEP_1) | instskip(NEXT) | instid1(VALU_DEP_2)
	v_dual_lshlrev_b32 v14, 16, v14 :: v_dual_lshlrev_b32 v24, 20, v24
	v_lshl_add_u32 v25, v65, 23, 0x3c000000
	s_delay_alu instid0(VALU_DEP_2) | instskip(NEXT) | instid1(VALU_DEP_1)
	v_and_b32_e32 v14, 0x80000000, v14
	v_or3_b32 v24, v24, v14, v25
.LBB335_588:                            ;   in Loop: Header=BB335_360 Depth=1
	s_or_b32 exec_lo, exec_lo, s15
.LBB335_589:                            ;   in Loop: Header=BB335_360 Depth=1
	s_delay_alu instid0(SALU_CYCLE_1)
	s_or_b32 exec_lo, exec_lo, s14
.LBB335_590:                            ;   in Loop: Header=BB335_360 Depth=1
	s_delay_alu instid0(SALU_CYCLE_1) | instskip(SKIP_3) | instid1(VALU_DEP_2)
	s_or_b32 exec_lo, exec_lo, s11
	v_dual_lshrrev_b32 v65, 16, v23 :: v_dual_mov_b32 v25, 0
	v_mov_b32_e32 v71, 0
	s_mov_b32 s11, exec_lo
	v_and_b32_e32 v14, 0xff, v65
	s_delay_alu instid0(VALU_DEP_1)
	v_cmpx_ne_u16_e32 0, v14
	s_cbranch_execz .LBB335_598
; %bb.591:                              ;   in Loop: Header=BB335_360 Depth=1
	v_bfrev_b32_e32 v71, 1
	s_mov_b32 s14, exec_lo
	v_cmpx_ne_u16_e32 0x80, v14
	s_cbranch_execz .LBB335_597
; %bb.592:                              ;   in Loop: Header=BB335_360 Depth=1
	v_bfe_u32 v72, v23, 16, 7
	v_mov_b32_e32 v71, 0x7f800001
	s_mov_b32 s15, exec_lo
	s_delay_alu instid0(VALU_DEP_2)
	v_cmpx_ne_u32_e32 0x7f, v72
	s_cbranch_execz .LBB335_596
; %bb.593:                              ;   in Loop: Header=BB335_360 Depth=1
	v_dual_lshrrev_b32 v71, 3, v72 :: v_dual_bitop2_b32 v14, 7, v65 bitop3:0x40
	s_mov_b32 s16, exec_lo
	v_cmpx_gt_u32_e32 8, v72
; %bb.594:                              ;   in Loop: Header=BB335_360 Depth=1
	s_delay_alu instid0(VALU_DEP_2) | instskip(NEXT) | instid1(VALU_DEP_1)
	v_clz_i32_u32_e32 v71, v14
	v_min_u32_e32 v71, 32, v71
	s_delay_alu instid0(VALU_DEP_1) | instskip(NEXT) | instid1(VALU_DEP_1)
	v_subrev_nc_u32_e32 v72, 28, v71
	v_lshlrev_b64_e32 v[72:73], v72, v[14:15]
	s_delay_alu instid0(VALU_DEP_1)
	v_dual_sub_nc_u32 v71, 29, v71 :: v_dual_bitop2_b32 v14, 7, v72 bitop3:0x40
; %bb.595:                              ;   in Loop: Header=BB335_360 Depth=1
	s_or_b32 exec_lo, exec_lo, s16
	s_delay_alu instid0(VALU_DEP_1) | instskip(NEXT) | instid1(VALU_DEP_2)
	v_dual_lshlrev_b32 v65, 24, v65 :: v_dual_lshlrev_b32 v14, 20, v14
	v_lshl_add_u32 v71, v71, 23, 0x3c000000
	s_delay_alu instid0(VALU_DEP_2) | instskip(NEXT) | instid1(VALU_DEP_1)
	v_and_b32_e32 v65, 0x80000000, v65
	v_or3_b32 v71, v14, v65, v71
.LBB335_596:                            ;   in Loop: Header=BB335_360 Depth=1
	s_or_b32 exec_lo, exec_lo, s15
.LBB335_597:                            ;   in Loop: Header=BB335_360 Depth=1
	s_delay_alu instid0(SALU_CYCLE_1)
	s_or_b32 exec_lo, exec_lo, s14
.LBB335_598:                            ;   in Loop: Header=BB335_360 Depth=1
	s_delay_alu instid0(SALU_CYCLE_1) | instskip(NEXT) | instid1(SALU_CYCLE_1)
	s_or_b32 exec_lo, exec_lo, s11
	s_mov_b32 s11, exec_lo
	v_cmpx_lt_u64_e64 s[2:3], v[22:23]
	s_cbranch_execz .LBB335_606
; %bb.599:                              ;   in Loop: Header=BB335_360 Depth=1
	v_lshrrev_b32_e32 v22, 24, v23
	v_bfrev_b32_e32 v25, 1
	s_mov_b32 s14, exec_lo
	s_delay_alu instid0(VALU_DEP_2)
	v_cmpx_ne_u32_e32 0x80, v22
	s_cbranch_execz .LBB335_605
; %bb.600:                              ;   in Loop: Header=BB335_360 Depth=1
	v_bfe_u32 v65, v23, 24, 7
	v_mov_b32_e32 v25, 0x7f800001
	s_mov_b32 s15, exec_lo
	s_delay_alu instid0(VALU_DEP_2)
	v_cmpx_ne_u32_e32 0x7f, v65
	s_cbranch_execz .LBB335_604
; %bb.601:                              ;   in Loop: Header=BB335_360 Depth=1
	v_dual_lshrrev_b32 v23, 3, v65 :: v_dual_bitop2_b32 v14, 7, v22 bitop3:0x40
	s_mov_b32 s16, exec_lo
	v_cmpx_gt_u32_e32 8, v65
; %bb.602:                              ;   in Loop: Header=BB335_360 Depth=1
	s_delay_alu instid0(VALU_DEP_2) | instskip(NEXT) | instid1(VALU_DEP_1)
	v_clz_i32_u32_e32 v23, v14
	v_min_u32_e32 v23, 32, v23
	s_delay_alu instid0(VALU_DEP_1) | instskip(NEXT) | instid1(VALU_DEP_1)
	v_subrev_nc_u32_e32 v25, 28, v23
	v_lshlrev_b64_e32 v[72:73], v25, v[14:15]
	s_delay_alu instid0(VALU_DEP_1)
	v_dual_sub_nc_u32 v23, 29, v23 :: v_dual_bitop2_b32 v14, 7, v72 bitop3:0x40
; %bb.603:                              ;   in Loop: Header=BB335_360 Depth=1
	s_or_b32 exec_lo, exec_lo, s16
	v_lshlrev_b32_e32 v22, 24, v22
	s_delay_alu instid0(VALU_DEP_2) | instskip(NEXT) | instid1(VALU_DEP_3)
	v_lshlrev_b32_e32 v14, 20, v14
	v_lshl_add_u32 v23, v23, 23, 0x3c000000
	s_delay_alu instid0(VALU_DEP_3) | instskip(NEXT) | instid1(VALU_DEP_1)
	v_and_b32_e32 v22, 0x80000000, v22
	v_or3_b32 v25, v14, v22, v23
.LBB335_604:                            ;   in Loop: Header=BB335_360 Depth=1
	s_or_b32 exec_lo, exec_lo, s15
.LBB335_605:                            ;   in Loop: Header=BB335_360 Depth=1
	s_delay_alu instid0(SALU_CYCLE_1)
	s_or_b32 exec_lo, exec_lo, s14
.LBB335_606:                            ;   in Loop: Header=BB335_360 Depth=1
	s_delay_alu instid0(SALU_CYCLE_1)
	s_or_b32 exec_lo, exec_lo, s11
	v_fma_mixlo_bf16 v65, s6, v24, 0
	v_fma_mixlo_bf16 v66, s6, v66, 0
	;; [unrolled: 1-line block ×8, first 2 shown]
	s_and_saveexec_b32 s11, vcc_lo
	s_cbranch_execz .LBB335_608
; %bb.607:                              ;   in Loop: Header=BB335_360 Depth=1
	v_cmp_gt_i32_e64 s0, s23, v42
	s_delay_alu instid0(VALU_DEP_1) | instskip(SKIP_1) | instid1(VALU_DEP_1)
	v_cndmask_b32_e64 v70, 0, v70, s0
	v_cmp_gt_i32_e64 s0, s23, v48
	v_cndmask_b32_e64 v69, 0, v69, s0
	v_cmp_gt_i32_e64 s0, s23, v47
	s_delay_alu instid0(VALU_DEP_1) | instskip(SKIP_1) | instid1(VALU_DEP_1)
	v_cndmask_b32_e64 v68, 0, v68, s0
	v_cmp_gt_i32_e64 s0, s23, v46
	v_cndmask_b32_e64 v67, 0, v67, s0
	;; [unrolled: 5-line block ×4, first 2 shown]
.LBB335_608:                            ;   in Loop: Header=BB335_360 Depth=1
	s_or_b32 exec_lo, exec_lo, s11
	global_load_b64 v[20:21], v[20:21], off offset:1024
	v_dual_mov_b32 v72, 0 :: v_dual_mov_b32 v71, 0
	s_mov_b32 s11, exec_lo
	s_wait_loadcnt 0x0
	v_and_b32_e32 v14, 0xff, v20
	s_delay_alu instid0(VALU_DEP_1)
	v_cmpx_ne_u16_e32 0, v14
	s_cbranch_execz .LBB335_614
; %bb.609:                              ;   in Loop: Header=BB335_360 Depth=1
	v_bfrev_b32_e32 v71, 1
	s_mov_b32 s14, exec_lo
	v_cmpx_ne_u16_e32 0x80, v14
	s_cbranch_execz .LBB335_613
; %bb.610:                              ;   in Loop: Header=BB335_360 Depth=1
	v_and_b32_e32 v14, 0x7f, v20
	v_mov_b32_e32 v71, 0x7f800001
	s_mov_b32 s15, exec_lo
	s_delay_alu instid0(VALU_DEP_2)
	v_cmpx_ne_u32_e32 0x7f, v14
	s_cbranch_execz .LBB335_612
; %bb.611:                              ;   in Loop: Header=BB335_360 Depth=1
	v_dual_lshrrev_b32 v23, 3, v14 :: v_dual_bitop2_b32 v22, 7, v20 bitop3:0x40
	v_cmp_gt_u32_e64 s0, 8, v14
	s_delay_alu instid0(VALU_DEP_2) | instskip(NEXT) | instid1(VALU_DEP_1)
	v_clz_i32_u32_e32 v22, v22
	v_min_u32_e32 v22, 32, v22
	s_delay_alu instid0(VALU_DEP_1) | instskip(SKIP_1) | instid1(VALU_DEP_1)
	v_subrev_nc_u32_e32 v71, 28, v22
	v_sub_nc_u32_e32 v22, 29, v22
	v_dual_cndmask_b32 v14, v23, v22, s0 :: v_dual_cndmask_b32 v22, 0, v71, s0
	s_delay_alu instid0(VALU_DEP_1) | instskip(NEXT) | instid1(VALU_DEP_2)
	v_lshl_add_u32 v14, v14, 23, 0x3c000000
	v_lshlrev_b64_e32 v[22:23], v22, v[20:21]
	v_lshlrev_b32_e32 v23, 24, v20
	s_delay_alu instid0(VALU_DEP_1) | instskip(NEXT) | instid1(VALU_DEP_3)
	v_and_b32_e32 v23, 0x80000000, v23
	v_lshlrev_b32_e32 v22, 20, v22
	s_delay_alu instid0(VALU_DEP_1) | instskip(NEXT) | instid1(VALU_DEP_1)
	v_and_b32_e32 v22, 0x700000, v22
	v_or3_b32 v71, v22, v23, v14
.LBB335_612:                            ;   in Loop: Header=BB335_360 Depth=1
	s_or_b32 exec_lo, exec_lo, s15
.LBB335_613:                            ;   in Loop: Header=BB335_360 Depth=1
	s_delay_alu instid0(SALU_CYCLE_1)
	s_or_b32 exec_lo, exec_lo, s14
.LBB335_614:                            ;   in Loop: Header=BB335_360 Depth=1
	s_delay_alu instid0(SALU_CYCLE_1) | instskip(SKIP_2) | instid1(VALU_DEP_1)
	s_or_b32 exec_lo, exec_lo, s11
	v_lshrrev_b16 v14, 8, v20
	s_mov_b32 s11, exec_lo
	v_cmpx_ne_u16_e32 0, v14
	s_cbranch_execz .LBB335_622
; %bb.615:                              ;   in Loop: Header=BB335_360 Depth=1
	v_bfrev_b32_e32 v72, 1
	s_mov_b32 s14, exec_lo
	v_cmpx_ne_u16_e32 0x80, v14
	s_cbranch_execz .LBB335_621
; %bb.616:                              ;   in Loop: Header=BB335_360 Depth=1
	v_and_b32_e32 v14, 0xffff, v14
	v_mov_b32_e32 v72, 0x7f800001
	s_mov_b32 s15, exec_lo
	s_delay_alu instid0(VALU_DEP_2) | instskip(NEXT) | instid1(VALU_DEP_1)
	v_and_b32_e32 v23, 0x7f, v14
	v_cmpx_ne_u32_e32 0x7f, v23
	s_cbranch_execz .LBB335_620
; %bb.617:                              ;   in Loop: Header=BB335_360 Depth=1
	v_dual_lshrrev_b32 v22, 3, v23 :: v_dual_bitop2_b32 v14, 7, v14 bitop3:0x40
	s_mov_b32 s16, exec_lo
	v_cmpx_gt_u32_e32 8, v23
; %bb.618:                              ;   in Loop: Header=BB335_360 Depth=1
	s_delay_alu instid0(VALU_DEP_2) | instskip(NEXT) | instid1(VALU_DEP_1)
	v_clz_i32_u32_e32 v22, v14
	v_min_u32_e32 v22, 32, v22
	s_delay_alu instid0(VALU_DEP_1) | instskip(NEXT) | instid1(VALU_DEP_1)
	v_subrev_nc_u32_e32 v23, 28, v22
	v_lshlrev_b64_e32 v[72:73], v23, v[14:15]
	s_delay_alu instid0(VALU_DEP_1)
	v_dual_sub_nc_u32 v22, 29, v22 :: v_dual_bitop2_b32 v14, 7, v72 bitop3:0x40
; %bb.619:                              ;   in Loop: Header=BB335_360 Depth=1
	s_or_b32 exec_lo, exec_lo, s16
	s_delay_alu instid0(VALU_DEP_1) | instskip(NEXT) | instid1(VALU_DEP_2)
	v_dual_lshlrev_b32 v23, 16, v20 :: v_dual_lshlrev_b32 v14, 20, v14
	v_lshl_add_u32 v22, v22, 23, 0x3c000000
	s_delay_alu instid0(VALU_DEP_2) | instskip(NEXT) | instid1(VALU_DEP_1)
	v_and_b32_e32 v23, 0x80000000, v23
	v_or3_b32 v72, v14, v23, v22
.LBB335_620:                            ;   in Loop: Header=BB335_360 Depth=1
	s_or_b32 exec_lo, exec_lo, s15
.LBB335_621:                            ;   in Loop: Header=BB335_360 Depth=1
	s_delay_alu instid0(SALU_CYCLE_1)
	s_or_b32 exec_lo, exec_lo, s14
.LBB335_622:                            ;   in Loop: Header=BB335_360 Depth=1
	s_delay_alu instid0(SALU_CYCLE_1) | instskip(SKIP_3) | instid1(VALU_DEP_2)
	s_or_b32 exec_lo, exec_lo, s11
	v_dual_lshrrev_b32 v22, 16, v20 :: v_dual_mov_b32 v74, 0
	v_mov_b32_e32 v73, 0
	s_mov_b32 s11, exec_lo
	v_and_b32_e32 v14, 0xff, v22
	s_delay_alu instid0(VALU_DEP_1)
	v_cmpx_ne_u16_e32 0, v14
	s_cbranch_execz .LBB335_630
; %bb.623:                              ;   in Loop: Header=BB335_360 Depth=1
	v_bfrev_b32_e32 v73, 1
	s_mov_b32 s14, exec_lo
	v_cmpx_ne_u16_e32 0x80, v14
	s_cbranch_execz .LBB335_629
; %bb.624:                              ;   in Loop: Header=BB335_360 Depth=1
	v_bfe_u32 v75, v20, 16, 7
	v_mov_b32_e32 v73, 0x7f800001
	s_mov_b32 s15, exec_lo
	s_delay_alu instid0(VALU_DEP_2)
	v_cmpx_ne_u32_e32 0x7f, v75
	s_cbranch_execz .LBB335_628
; %bb.625:                              ;   in Loop: Header=BB335_360 Depth=1
	v_dual_lshrrev_b32 v23, 3, v75 :: v_dual_bitop2_b32 v14, 7, v22 bitop3:0x40
	s_mov_b32 s16, exec_lo
	v_cmpx_gt_u32_e32 8, v75
; %bb.626:                              ;   in Loop: Header=BB335_360 Depth=1
	s_delay_alu instid0(VALU_DEP_2) | instskip(NEXT) | instid1(VALU_DEP_1)
	v_clz_i32_u32_e32 v23, v14
	v_min_u32_e32 v23, 32, v23
	s_delay_alu instid0(VALU_DEP_1) | instskip(NEXT) | instid1(VALU_DEP_1)
	v_subrev_nc_u32_e32 v73, 28, v23
	v_lshlrev_b64_e32 v[76:77], v73, v[14:15]
	s_delay_alu instid0(VALU_DEP_1)
	v_dual_sub_nc_u32 v23, 29, v23 :: v_dual_bitop2_b32 v14, 7, v76 bitop3:0x40
; %bb.627:                              ;   in Loop: Header=BB335_360 Depth=1
	s_or_b32 exec_lo, exec_lo, s16
	v_lshlrev_b32_e32 v22, 24, v22
	s_delay_alu instid0(VALU_DEP_2) | instskip(NEXT) | instid1(VALU_DEP_3)
	v_lshlrev_b32_e32 v14, 20, v14
	v_lshl_add_u32 v23, v23, 23, 0x3c000000
	s_delay_alu instid0(VALU_DEP_3) | instskip(NEXT) | instid1(VALU_DEP_1)
	v_and_b32_e32 v22, 0x80000000, v22
	v_or3_b32 v73, v14, v22, v23
.LBB335_628:                            ;   in Loop: Header=BB335_360 Depth=1
	s_or_b32 exec_lo, exec_lo, s15
.LBB335_629:                            ;   in Loop: Header=BB335_360 Depth=1
	s_delay_alu instid0(SALU_CYCLE_1)
	s_or_b32 exec_lo, exec_lo, s14
.LBB335_630:                            ;   in Loop: Header=BB335_360 Depth=1
	s_delay_alu instid0(SALU_CYCLE_1) | instskip(NEXT) | instid1(SALU_CYCLE_1)
	s_or_b32 exec_lo, exec_lo, s11
	s_mov_b32 s11, exec_lo
	v_cmpx_lt_u32_e32 0xffffff, v20
	s_cbranch_execz .LBB335_638
; %bb.631:                              ;   in Loop: Header=BB335_360 Depth=1
	v_lshrrev_b32_e32 v22, 24, v20
	v_bfrev_b32_e32 v74, 1
	s_mov_b32 s14, exec_lo
	s_delay_alu instid0(VALU_DEP_2)
	v_cmpx_ne_u32_e32 0x80, v22
	s_cbranch_execz .LBB335_637
; %bb.632:                              ;   in Loop: Header=BB335_360 Depth=1
	v_bfe_u32 v75, v20, 24, 7
	v_mov_b32_e32 v74, 0x7f800001
	s_mov_b32 s15, exec_lo
	s_delay_alu instid0(VALU_DEP_2)
	v_cmpx_ne_u32_e32 0x7f, v75
	s_cbranch_execz .LBB335_636
; %bb.633:                              ;   in Loop: Header=BB335_360 Depth=1
	v_dual_lshrrev_b32 v23, 3, v75 :: v_dual_bitop2_b32 v14, 7, v22 bitop3:0x40
	s_mov_b32 s16, exec_lo
	v_cmpx_gt_u32_e32 8, v75
; %bb.634:                              ;   in Loop: Header=BB335_360 Depth=1
	s_delay_alu instid0(VALU_DEP_2) | instskip(NEXT) | instid1(VALU_DEP_1)
	v_clz_i32_u32_e32 v23, v14
	v_min_u32_e32 v23, 32, v23
	s_delay_alu instid0(VALU_DEP_1) | instskip(NEXT) | instid1(VALU_DEP_1)
	v_subrev_nc_u32_e32 v74, 28, v23
	v_lshlrev_b64_e32 v[74:75], v74, v[14:15]
	s_delay_alu instid0(VALU_DEP_1)
	v_dual_sub_nc_u32 v23, 29, v23 :: v_dual_bitop2_b32 v14, 7, v74 bitop3:0x40
; %bb.635:                              ;   in Loop: Header=BB335_360 Depth=1
	s_or_b32 exec_lo, exec_lo, s16
	v_lshlrev_b32_e32 v22, 24, v22
	s_delay_alu instid0(VALU_DEP_2) | instskip(NEXT) | instid1(VALU_DEP_3)
	v_lshlrev_b32_e32 v14, 20, v14
	v_lshl_add_u32 v23, v23, 23, 0x3c000000
	s_delay_alu instid0(VALU_DEP_3) | instskip(NEXT) | instid1(VALU_DEP_1)
	v_and_b32_e32 v22, 0x80000000, v22
	v_or3_b32 v74, v14, v22, v23
.LBB335_636:                            ;   in Loop: Header=BB335_360 Depth=1
	s_or_b32 exec_lo, exec_lo, s15
.LBB335_637:                            ;   in Loop: Header=BB335_360 Depth=1
	s_delay_alu instid0(SALU_CYCLE_1)
	s_or_b32 exec_lo, exec_lo, s14
.LBB335_638:                            ;   in Loop: Header=BB335_360 Depth=1
	s_delay_alu instid0(SALU_CYCLE_1) | instskip(SKIP_4) | instid1(VALU_DEP_3)
	s_or_b32 exec_lo, exec_lo, s11
	v_and_b32_e32 v23, 0xff, v21
	v_dual_mov_b32 v14, v21 :: v_dual_mov_b32 v22, 0
	v_mov_b32_e32 v75, 0
	s_mov_b32 s11, exec_lo
	v_cmpx_ne_u16_e32 0, v23
	s_cbranch_execz .LBB335_644
; %bb.639:                              ;   in Loop: Header=BB335_360 Depth=1
	v_bfrev_b32_e32 v75, 1
	s_mov_b32 s14, exec_lo
	v_cmpx_ne_u16_e32 0x80, v23
	s_cbranch_execz .LBB335_643
; %bb.640:                              ;   in Loop: Header=BB335_360 Depth=1
	v_and_b32_e32 v23, 0x7f, v21
	v_mov_b32_e32 v75, 0x7f800001
	s_mov_b32 s15, exec_lo
	s_delay_alu instid0(VALU_DEP_2)
	v_cmpx_ne_u32_e32 0x7f, v23
	s_cbranch_execz .LBB335_642
; %bb.641:                              ;   in Loop: Header=BB335_360 Depth=1
	v_dual_lshrrev_b32 v76, 3, v23 :: v_dual_bitop2_b32 v75, 7, v21 bitop3:0x40
	v_cmp_gt_u32_e64 s0, 8, v23
	s_delay_alu instid0(VALU_DEP_2) | instskip(NEXT) | instid1(VALU_DEP_1)
	v_clz_i32_u32_e32 v75, v75
	v_min_u32_e32 v75, 32, v75
	s_delay_alu instid0(VALU_DEP_1) | instskip(SKIP_1) | instid1(VALU_DEP_1)
	v_subrev_nc_u32_e32 v77, 28, v75
	v_sub_nc_u32_e32 v75, 29, v75
	v_dual_cndmask_b32 v23, v76, v75, s0 :: v_dual_cndmask_b32 v75, 0, v77, s0
	s_delay_alu instid0(VALU_DEP_1) | instskip(NEXT) | instid1(VALU_DEP_2)
	v_lshl_add_u32 v23, v23, 23, 0x3c000000
	v_lshlrev_b64_e32 v[76:77], v75, v[14:15]
	v_lshlrev_b32_e32 v75, 24, v14
	s_delay_alu instid0(VALU_DEP_1) | instskip(NEXT) | instid1(VALU_DEP_3)
	v_and_b32_e32 v75, 0x80000000, v75
	v_lshlrev_b32_e32 v76, 20, v76
	s_delay_alu instid0(VALU_DEP_1) | instskip(NEXT) | instid1(VALU_DEP_1)
	v_and_b32_e32 v76, 0x700000, v76
	v_or3_b32 v75, v76, v75, v23
.LBB335_642:                            ;   in Loop: Header=BB335_360 Depth=1
	s_or_b32 exec_lo, exec_lo, s15
.LBB335_643:                            ;   in Loop: Header=BB335_360 Depth=1
	s_delay_alu instid0(SALU_CYCLE_1)
	s_or_b32 exec_lo, exec_lo, s14
.LBB335_644:                            ;   in Loop: Header=BB335_360 Depth=1
	s_delay_alu instid0(SALU_CYCLE_1) | instskip(SKIP_2) | instid1(VALU_DEP_1)
	s_or_b32 exec_lo, exec_lo, s11
	v_lshrrev_b16 v23, 8, v14
	s_mov_b32 s11, exec_lo
	v_cmpx_ne_u16_e32 0, v23
	s_cbranch_execz .LBB335_652
; %bb.645:                              ;   in Loop: Header=BB335_360 Depth=1
	v_bfrev_b32_e32 v22, 1
	s_mov_b32 s14, exec_lo
	v_cmpx_ne_u16_e32 0x80, v23
	s_cbranch_execz .LBB335_651
; %bb.646:                              ;   in Loop: Header=BB335_360 Depth=1
	v_and_b32_e32 v23, 0xffff, v23
	v_mov_b32_e32 v22, 0x7f800001
	s_mov_b32 s15, exec_lo
	s_delay_alu instid0(VALU_DEP_2) | instskip(NEXT) | instid1(VALU_DEP_1)
	v_and_b32_e32 v77, 0x7f, v23
	v_cmpx_ne_u32_e32 0x7f, v77
	s_cbranch_execz .LBB335_650
; %bb.647:                              ;   in Loop: Header=BB335_360 Depth=1
	v_dual_mov_b32 v23, v15 :: v_dual_bitop2_b32 v22, 7, v23 bitop3:0x40
	v_lshrrev_b32_e32 v76, 3, v77
	s_mov_b32 s16, exec_lo
	v_cmpx_gt_u32_e32 8, v77
; %bb.648:                              ;   in Loop: Header=BB335_360 Depth=1
	s_delay_alu instid0(VALU_DEP_3) | instskip(NEXT) | instid1(VALU_DEP_1)
	v_clz_i32_u32_e32 v76, v22
	v_min_u32_e32 v76, 32, v76
	s_delay_alu instid0(VALU_DEP_1) | instskip(NEXT) | instid1(VALU_DEP_1)
	v_subrev_nc_u32_e32 v77, 28, v76
	v_lshlrev_b64_e32 v[22:23], v77, v[22:23]
	s_delay_alu instid0(VALU_DEP_1)
	v_dual_sub_nc_u32 v76, 29, v76 :: v_dual_bitop2_b32 v22, 7, v22 bitop3:0x40
; %bb.649:                              ;   in Loop: Header=BB335_360 Depth=1
	s_or_b32 exec_lo, exec_lo, s16
	v_lshlrev_b32_e32 v14, 16, v14
	s_delay_alu instid0(VALU_DEP_2) | instskip(NEXT) | instid1(VALU_DEP_3)
	v_lshlrev_b32_e32 v22, 20, v22
	v_lshl_add_u32 v23, v76, 23, 0x3c000000
	s_delay_alu instid0(VALU_DEP_3) | instskip(NEXT) | instid1(VALU_DEP_1)
	v_and_b32_e32 v14, 0x80000000, v14
	v_or3_b32 v22, v22, v14, v23
.LBB335_650:                            ;   in Loop: Header=BB335_360 Depth=1
	s_or_b32 exec_lo, exec_lo, s15
.LBB335_651:                            ;   in Loop: Header=BB335_360 Depth=1
	s_delay_alu instid0(SALU_CYCLE_1)
	s_or_b32 exec_lo, exec_lo, s14
.LBB335_652:                            ;   in Loop: Header=BB335_360 Depth=1
	s_delay_alu instid0(SALU_CYCLE_1) | instskip(SKIP_3) | instid1(VALU_DEP_2)
	s_or_b32 exec_lo, exec_lo, s11
	v_dual_lshrrev_b32 v77, 16, v21 :: v_dual_mov_b32 v23, 0
	v_mov_b32_e32 v76, 0
	s_mov_b32 s11, exec_lo
	v_and_b32_e32 v14, 0xff, v77
	s_delay_alu instid0(VALU_DEP_1)
	v_cmpx_ne_u16_e32 0, v14
	s_cbranch_execz .LBB335_660
; %bb.653:                              ;   in Loop: Header=BB335_360 Depth=1
	v_bfrev_b32_e32 v76, 1
	s_mov_b32 s14, exec_lo
	v_cmpx_ne_u16_e32 0x80, v14
	s_cbranch_execz .LBB335_659
; %bb.654:                              ;   in Loop: Header=BB335_360 Depth=1
	v_bfe_u32 v78, v21, 16, 7
	v_mov_b32_e32 v76, 0x7f800001
	s_mov_b32 s15, exec_lo
	s_delay_alu instid0(VALU_DEP_2)
	v_cmpx_ne_u32_e32 0x7f, v78
	s_cbranch_execz .LBB335_658
; %bb.655:                              ;   in Loop: Header=BB335_360 Depth=1
	v_dual_lshrrev_b32 v76, 3, v78 :: v_dual_bitop2_b32 v14, 7, v77 bitop3:0x40
	s_mov_b32 s16, exec_lo
	v_cmpx_gt_u32_e32 8, v78
; %bb.656:                              ;   in Loop: Header=BB335_360 Depth=1
	s_delay_alu instid0(VALU_DEP_2) | instskip(NEXT) | instid1(VALU_DEP_1)
	v_clz_i32_u32_e32 v76, v14
	v_min_u32_e32 v76, 32, v76
	s_delay_alu instid0(VALU_DEP_1) | instskip(NEXT) | instid1(VALU_DEP_1)
	v_subrev_nc_u32_e32 v78, 28, v76
	v_lshlrev_b64_e32 v[78:79], v78, v[14:15]
	s_delay_alu instid0(VALU_DEP_1)
	v_dual_sub_nc_u32 v76, 29, v76 :: v_dual_bitop2_b32 v14, 7, v78 bitop3:0x40
; %bb.657:                              ;   in Loop: Header=BB335_360 Depth=1
	s_or_b32 exec_lo, exec_lo, s16
	s_delay_alu instid0(VALU_DEP_1) | instskip(NEXT) | instid1(VALU_DEP_2)
	v_dual_lshlrev_b32 v77, 24, v77 :: v_dual_lshlrev_b32 v14, 20, v14
	v_lshl_add_u32 v76, v76, 23, 0x3c000000
	s_delay_alu instid0(VALU_DEP_2) | instskip(NEXT) | instid1(VALU_DEP_1)
	v_and_b32_e32 v77, 0x80000000, v77
	v_or3_b32 v76, v14, v77, v76
.LBB335_658:                            ;   in Loop: Header=BB335_360 Depth=1
	s_or_b32 exec_lo, exec_lo, s15
.LBB335_659:                            ;   in Loop: Header=BB335_360 Depth=1
	s_delay_alu instid0(SALU_CYCLE_1)
	s_or_b32 exec_lo, exec_lo, s14
.LBB335_660:                            ;   in Loop: Header=BB335_360 Depth=1
	s_delay_alu instid0(SALU_CYCLE_1) | instskip(NEXT) | instid1(SALU_CYCLE_1)
	s_or_b32 exec_lo, exec_lo, s11
	s_mov_b32 s11, exec_lo
	v_cmpx_lt_u64_e64 s[2:3], v[20:21]
	s_cbranch_execz .LBB335_668
; %bb.661:                              ;   in Loop: Header=BB335_360 Depth=1
	v_lshrrev_b32_e32 v20, 24, v21
	v_bfrev_b32_e32 v23, 1
	s_mov_b32 s14, exec_lo
	s_delay_alu instid0(VALU_DEP_2)
	v_cmpx_ne_u32_e32 0x80, v20
	s_cbranch_execz .LBB335_667
; %bb.662:                              ;   in Loop: Header=BB335_360 Depth=1
	v_bfe_u32 v77, v21, 24, 7
	v_mov_b32_e32 v23, 0x7f800001
	s_mov_b32 s15, exec_lo
	s_delay_alu instid0(VALU_DEP_2)
	v_cmpx_ne_u32_e32 0x7f, v77
	s_cbranch_execz .LBB335_666
; %bb.663:                              ;   in Loop: Header=BB335_360 Depth=1
	v_dual_lshrrev_b32 v21, 3, v77 :: v_dual_bitop2_b32 v14, 7, v20 bitop3:0x40
	s_mov_b32 s16, exec_lo
	v_cmpx_gt_u32_e32 8, v77
; %bb.664:                              ;   in Loop: Header=BB335_360 Depth=1
	s_delay_alu instid0(VALU_DEP_2) | instskip(NEXT) | instid1(VALU_DEP_1)
	v_clz_i32_u32_e32 v21, v14
	v_min_u32_e32 v21, 32, v21
	s_delay_alu instid0(VALU_DEP_1) | instskip(NEXT) | instid1(VALU_DEP_1)
	v_subrev_nc_u32_e32 v23, 28, v21
	v_lshlrev_b64_e32 v[78:79], v23, v[14:15]
	s_delay_alu instid0(VALU_DEP_1)
	v_dual_sub_nc_u32 v21, 29, v21 :: v_dual_bitop2_b32 v14, 7, v78 bitop3:0x40
; %bb.665:                              ;   in Loop: Header=BB335_360 Depth=1
	s_or_b32 exec_lo, exec_lo, s16
	s_delay_alu instid0(VALU_DEP_1) | instskip(NEXT) | instid1(VALU_DEP_2)
	v_dual_lshlrev_b32 v20, 24, v20 :: v_dual_lshlrev_b32 v14, 20, v14
	v_lshl_add_u32 v21, v21, 23, 0x3c000000
	s_delay_alu instid0(VALU_DEP_2) | instskip(NEXT) | instid1(VALU_DEP_1)
	v_and_b32_e32 v20, 0x80000000, v20
	v_or3_b32 v23, v14, v20, v21
.LBB335_666:                            ;   in Loop: Header=BB335_360 Depth=1
	s_or_b32 exec_lo, exec_lo, s15
.LBB335_667:                            ;   in Loop: Header=BB335_360 Depth=1
	s_delay_alu instid0(SALU_CYCLE_1)
	s_or_b32 exec_lo, exec_lo, s14
.LBB335_668:                            ;   in Loop: Header=BB335_360 Depth=1
	s_delay_alu instid0(SALU_CYCLE_1)
	s_or_b32 exec_lo, exec_lo, s11
	v_fma_mixlo_bf16 v14, s6, v22, 0
	v_fma_mixlo_bf16 v20, s6, v75, 0
	;; [unrolled: 1-line block ×8, first 2 shown]
	s_and_saveexec_b32 s0, vcc_lo
	s_cbranch_execz .LBB335_359
; %bb.669:                              ;   in Loop: Header=BB335_360 Depth=1
	v_cmp_gt_i32_e32 vcc_lo, s23, v42
	v_cndmask_b32_e32 v71, 0, v71, vcc_lo
	v_cmp_gt_i32_e32 vcc_lo, s23, v48
	v_cndmask_b32_e32 v72, 0, v72, vcc_lo
	;; [unrolled: 2-line block ×8, first 2 shown]
	s_branch .LBB335_359
.LBB335_670:
	s_or_b32 exec_lo, exec_lo, s9
.LBB335_671:
	s_delay_alu instid0(SALU_CYCLE_1)
	s_or_b32 exec_lo, exec_lo, s1
	ds_bpermute_b32 v2, v29, v12
	ds_bpermute_b32 v3, v29, v13
	;; [unrolled: 1-line block ×5, first 2 shown]
	v_and_b32_e32 v14, 0x3c1, v0
	v_lshrrev_b32_e32 v7, 1, v28
	s_mov_b32 s0, exec_lo
	s_wait_dscnt 0x0
	s_barrier_signal -1
	s_barrier_wait -1
	v_pk_add_f32 v[4:5], v[12:13], v[2:3]
	v_pk_add_f32 v[2:3], v[10:11], v[8:9]
	v_cmpx_ne_u32_e32 64, v14
	s_xor_b32 s0, exec_lo, s0
	s_delay_alu instid0(SALU_CYCLE_1)
	s_or_saveexec_b32 s0, s0
	v_add_f32_e32 v6, v30, v6
	v_lshl_add_u32 v8, v7, 2, 0xc0
	v_mul_u32_u24_e32 v9, 0x140, v27
	s_xor_b32 exec_lo, exec_lo, s0
	s_cbranch_execz .LBB335_673
; %bb.672:
	s_delay_alu instid0(VALU_DEP_1) | instskip(NEXT) | instid1(VALU_DEP_1)
	v_add_nc_u32_e32 v10, v8, v9
	v_add_nc_u32_e32 v11, 0xfffffd80, v10
	;; [unrolled: 1-line block ×6, first 2 shown]
	ds_store_b32 v11, v4
	ds_store_b32 v12, v5
	;; [unrolled: 1-line block ×5, first 2 shown]
.LBB335_673:
	s_or_b32 exec_lo, exec_lo, s0
	v_lshlrev_b32_e32 v7, 2, v7
	s_mov_b32 s1, exec_lo
	v_cmp_eq_u32_e32 vcc_lo, 0, v26
	s_wait_dscnt 0x0
	s_barrier_signal -1
	v_add3_u32 v7, 0xc0, v9, v7
	s_barrier_wait -1
	v_cmpx_gt_u32_e32 64, v0
	s_cbranch_execz .LBB335_681
; %bb.674:
	s_and_saveexec_b32 s0, vcc_lo
	s_cbranch_execnz .LBB335_694
; %bb.675:
	s_or_b32 exec_lo, exec_lo, s0
	s_and_saveexec_b32 s0, vcc_lo
	s_cbranch_execnz .LBB335_695
.LBB335_676:
	s_or_b32 exec_lo, exec_lo, s0
	s_and_saveexec_b32 s0, vcc_lo
	s_cbranch_execnz .LBB335_696
.LBB335_677:
	s_or_b32 exec_lo, exec_lo, s0
	s_and_saveexec_b32 s0, vcc_lo
	s_cbranch_execnz .LBB335_697
.LBB335_678:
	s_or_b32 exec_lo, exec_lo, s0
	s_and_saveexec_b32 s0, vcc_lo
	s_cbranch_execz .LBB335_680
.LBB335_679:
	ds_load_b32 v9, v7 offset:256
	s_wait_dscnt 0x0
	v_add_f32_e32 v6, v6, v9
.LBB335_680:
	s_or_b32 exec_lo, exec_lo, s0
.LBB335_681:
	s_delay_alu instid0(SALU_CYCLE_1) | instskip(SKIP_4) | instid1(VALU_DEP_1)
	s_or_b32 exec_lo, exec_lo, s1
	v_and_b32_e32 v9, 0x3e1, v0
	s_mov_b32 s1, exec_lo
	s_barrier_signal -1
	s_barrier_wait -1
	v_cmpx_eq_u32_e32 32, v9
	s_cbranch_execz .LBB335_683
; %bb.682:
	ds_store_2addr_b32 v8, v4, v5 offset1:16
	ds_store_2addr_b32 v8, v2, v3 offset0:32 offset1:48
	ds_store_b32 v8, v6 offset:256
.LBB335_683:
	s_or_b32 exec_lo, exec_lo, s1
	s_delay_alu instid0(SALU_CYCLE_1)
	s_mov_b32 s1, exec_lo
	s_wait_dscnt 0x0
	s_barrier_signal -1
	s_barrier_wait -1
	v_cmpx_gt_u32_e32 32, v0
	s_cbranch_execz .LBB335_691
; %bb.684:
	s_and_saveexec_b32 s0, vcc_lo
	s_cbranch_execnz .LBB335_698
; %bb.685:
	s_or_b32 exec_lo, exec_lo, s0
	s_and_saveexec_b32 s0, vcc_lo
	s_cbranch_execnz .LBB335_699
.LBB335_686:
	s_or_b32 exec_lo, exec_lo, s0
	s_and_saveexec_b32 s0, vcc_lo
	s_cbranch_execnz .LBB335_700
.LBB335_687:
	s_or_b32 exec_lo, exec_lo, s0
	s_and_saveexec_b32 s0, vcc_lo
	s_cbranch_execnz .LBB335_701
.LBB335_688:
	s_or_b32 exec_lo, exec_lo, s0
	s_and_saveexec_b32 s0, vcc_lo
	s_cbranch_execz .LBB335_690
.LBB335_689:
	ds_load_b32 v0, v7 offset:256
	s_wait_dscnt 0x0
	v_add_f32_e32 v6, v6, v0
.LBB335_690:
	s_or_b32 exec_lo, exec_lo, s0
.LBB335_691:
	s_delay_alu instid0(SALU_CYCLE_1)
	s_or_b32 exec_lo, exec_lo, s1
	s_mov_b32 s1, 0
	s_barrier_signal -1
	s_barrier_wait -1
	s_mov_b32 s0, exec_lo
	v_cmpx_eq_u32_e32 0, v9
	s_cbranch_execz .LBB335_693
; %bb.692:
	s_mul_i32 s0, s22, s8
	s_mul_i32 s2, s8, s12
	;; [unrolled: 1-line block ×3, first 2 shown]
	s_lshr_b32 s8, ttmp7, 16
	s_mul_i32 s6, s0, 0x50
	s_bfe_u32 s0, ttmp6, 0x40014
	s_ashr_i32 s7, s6, 31
	s_add_co_i32 s0, s0, 1
	s_ashr_i32 s3, s2, 31
	s_mul_i32 s0, s8, s0
	s_bfe_u32 s9, ttmp6, 0x40008
	s_lshl_b64 s[6:7], s[6:7], 1
	s_lshl_b64 s[2:3], s[2:3], 1
	s_add_co_i32 s9, s9, s0
	s_cmp_eq_u32 s20, 0
	s_wait_kmcnt 0x0
	s_add_nc_u64 s[4:5], s[4:5], s[6:7]
	s_cselect_b32 s0, s8, s9
	s_add_nc_u64 s[2:3], s[4:5], s[2:3]
	s_mulk_i32 s0, 0xa0
	s_delay_alu instid0(SALU_CYCLE_1) | instskip(NEXT) | instid1(SALU_CYCLE_1)
	s_add_nc_u64 s[0:1], s[2:3], s[0:1]
	v_cvt_pk_bf16_f32 v0, v4, s0
	v_cvt_pk_bf16_f32 v4, v5, s0
	;; [unrolled: 1-line block ×5, first 2 shown]
	s_clause 0x4
	global_store_b16 v1, v0, s[0:1] scale_offset
	global_store_b16 v1, v4, s[0:1] offset:32 scale_offset
	global_store_b16 v1, v2, s[0:1] offset:64 scale_offset
	;; [unrolled: 1-line block ×4, first 2 shown]
.LBB335_693:
	s_sendmsg sendmsg(MSG_DEALLOC_VGPRS)
	s_endpgm
.LBB335_694:
	ds_load_b32 v9, v7
	s_wait_dscnt 0x0
	v_add_f32_e32 v4, v4, v9
	s_or_b32 exec_lo, exec_lo, s0
	s_and_saveexec_b32 s0, vcc_lo
	s_cbranch_execz .LBB335_676
.LBB335_695:
	ds_load_b32 v9, v7 offset:64
	s_wait_dscnt 0x0
	v_add_f32_e32 v5, v5, v9
	s_or_b32 exec_lo, exec_lo, s0
	s_and_saveexec_b32 s0, vcc_lo
	s_cbranch_execz .LBB335_677
.LBB335_696:
	ds_load_b32 v9, v7 offset:128
	s_wait_dscnt 0x0
	v_add_f32_e32 v2, v2, v9
	s_or_b32 exec_lo, exec_lo, s0
	s_and_saveexec_b32 s0, vcc_lo
	s_cbranch_execz .LBB335_678
.LBB335_697:
	ds_load_b32 v9, v7 offset:192
	s_wait_dscnt 0x0
	v_add_f32_e32 v3, v3, v9
	s_or_b32 exec_lo, exec_lo, s0
	s_and_saveexec_b32 s0, vcc_lo
	s_cbranch_execnz .LBB335_679
	s_branch .LBB335_680
.LBB335_698:
	ds_load_b32 v0, v7
	s_wait_dscnt 0x0
	v_add_f32_e32 v4, v4, v0
	s_or_b32 exec_lo, exec_lo, s0
	s_and_saveexec_b32 s0, vcc_lo
	s_cbranch_execz .LBB335_686
.LBB335_699:
	ds_load_b32 v0, v7 offset:64
	s_wait_dscnt 0x0
	v_add_f32_e32 v5, v5, v0
	s_or_b32 exec_lo, exec_lo, s0
	s_and_saveexec_b32 s0, vcc_lo
	s_cbranch_execz .LBB335_687
.LBB335_700:
	ds_load_b32 v0, v7 offset:128
	s_wait_dscnt 0x0
	v_add_f32_e32 v2, v2, v0
	s_or_b32 exec_lo, exec_lo, s0
	s_and_saveexec_b32 s0, vcc_lo
	s_cbranch_execz .LBB335_688
.LBB335_701:
	ds_load_b32 v0, v7 offset:192
	s_wait_dscnt 0x0
	v_add_f32_e32 v3, v3, v0
	s_or_b32 exec_lo, exec_lo, s0
	s_and_saveexec_b32 s0, vcc_lo
	s_cbranch_execnz .LBB335_689
	s_branch .LBB335_690
	.section	.rodata,"a",@progbits
	.p2align	6, 0x0
	.amdhsa_kernel _ZN4vllm25paged_attention_v1_kernelI14__hip_bfloat16hLi80ELi16ELi128ELNS_18Fp8KVCacheDataTypeE1ELb0EEEvPT_PKS3_PKT0_S9_ifPKiSB_iPKfiiiSD_SD_iiiii
		.amdhsa_group_segment_fixed_size 192
		.amdhsa_private_segment_fixed_size 0
		.amdhsa_kernarg_size 384
		.amdhsa_user_sgpr_count 2
		.amdhsa_user_sgpr_dispatch_ptr 0
		.amdhsa_user_sgpr_queue_ptr 0
		.amdhsa_user_sgpr_kernarg_segment_ptr 1
		.amdhsa_user_sgpr_dispatch_id 0
		.amdhsa_user_sgpr_kernarg_preload_length 0
		.amdhsa_user_sgpr_kernarg_preload_offset 0
		.amdhsa_user_sgpr_private_segment_size 0
		.amdhsa_wavefront_size32 1
		.amdhsa_uses_dynamic_stack 0
		.amdhsa_enable_private_segment 0
		.amdhsa_system_sgpr_workgroup_id_x 1
		.amdhsa_system_sgpr_workgroup_id_y 1
		.amdhsa_system_sgpr_workgroup_id_z 1
		.amdhsa_system_sgpr_workgroup_info 0
		.amdhsa_system_vgpr_workitem_id 0
		.amdhsa_next_free_vgpr 102
		.amdhsa_next_free_sgpr 31
		.amdhsa_named_barrier_count 0
		.amdhsa_reserve_vcc 1
		.amdhsa_float_round_mode_32 0
		.amdhsa_float_round_mode_16_64 0
		.amdhsa_float_denorm_mode_32 3
		.amdhsa_float_denorm_mode_16_64 3
		.amdhsa_fp16_overflow 0
		.amdhsa_memory_ordered 1
		.amdhsa_forward_progress 1
		.amdhsa_inst_pref_size 192
		.amdhsa_round_robin_scheduling 0
		.amdhsa_exception_fp_ieee_invalid_op 0
		.amdhsa_exception_fp_denorm_src 0
		.amdhsa_exception_fp_ieee_div_zero 0
		.amdhsa_exception_fp_ieee_overflow 0
		.amdhsa_exception_fp_ieee_underflow 0
		.amdhsa_exception_fp_ieee_inexact 0
		.amdhsa_exception_int_div_zero 0
	.end_amdhsa_kernel
	.section	.text._ZN4vllm25paged_attention_v1_kernelI14__hip_bfloat16hLi80ELi16ELi128ELNS_18Fp8KVCacheDataTypeE1ELb0EEEvPT_PKS3_PKT0_S9_ifPKiSB_iPKfiiiSD_SD_iiiii,"axG",@progbits,_ZN4vllm25paged_attention_v1_kernelI14__hip_bfloat16hLi80ELi16ELi128ELNS_18Fp8KVCacheDataTypeE1ELb0EEEvPT_PKS3_PKT0_S9_ifPKiSB_iPKfiiiSD_SD_iiiii,comdat
.Lfunc_end335:
	.size	_ZN4vllm25paged_attention_v1_kernelI14__hip_bfloat16hLi80ELi16ELi128ELNS_18Fp8KVCacheDataTypeE1ELb0EEEvPT_PKS3_PKT0_S9_ifPKiSB_iPKfiiiSD_SD_iiiii, .Lfunc_end335-_ZN4vllm25paged_attention_v1_kernelI14__hip_bfloat16hLi80ELi16ELi128ELNS_18Fp8KVCacheDataTypeE1ELb0EEEvPT_PKS3_PKT0_S9_ifPKiSB_iPKfiiiSD_SD_iiiii
                                        ; -- End function
	.set _ZN4vllm25paged_attention_v1_kernelI14__hip_bfloat16hLi80ELi16ELi128ELNS_18Fp8KVCacheDataTypeE1ELb0EEEvPT_PKS3_PKT0_S9_ifPKiSB_iPKfiiiSD_SD_iiiii.num_vgpr, 102
	.set _ZN4vllm25paged_attention_v1_kernelI14__hip_bfloat16hLi80ELi16ELi128ELNS_18Fp8KVCacheDataTypeE1ELb0EEEvPT_PKS3_PKT0_S9_ifPKiSB_iPKfiiiSD_SD_iiiii.num_agpr, 0
	.set _ZN4vllm25paged_attention_v1_kernelI14__hip_bfloat16hLi80ELi16ELi128ELNS_18Fp8KVCacheDataTypeE1ELb0EEEvPT_PKS3_PKT0_S9_ifPKiSB_iPKfiiiSD_SD_iiiii.numbered_sgpr, 31
	.set _ZN4vllm25paged_attention_v1_kernelI14__hip_bfloat16hLi80ELi16ELi128ELNS_18Fp8KVCacheDataTypeE1ELb0EEEvPT_PKS3_PKT0_S9_ifPKiSB_iPKfiiiSD_SD_iiiii.num_named_barrier, 0
	.set _ZN4vllm25paged_attention_v1_kernelI14__hip_bfloat16hLi80ELi16ELi128ELNS_18Fp8KVCacheDataTypeE1ELb0EEEvPT_PKS3_PKT0_S9_ifPKiSB_iPKfiiiSD_SD_iiiii.private_seg_size, 0
	.set _ZN4vllm25paged_attention_v1_kernelI14__hip_bfloat16hLi80ELi16ELi128ELNS_18Fp8KVCacheDataTypeE1ELb0EEEvPT_PKS3_PKT0_S9_ifPKiSB_iPKfiiiSD_SD_iiiii.uses_vcc, 1
	.set _ZN4vllm25paged_attention_v1_kernelI14__hip_bfloat16hLi80ELi16ELi128ELNS_18Fp8KVCacheDataTypeE1ELb0EEEvPT_PKS3_PKT0_S9_ifPKiSB_iPKfiiiSD_SD_iiiii.uses_flat_scratch, 0
	.set _ZN4vllm25paged_attention_v1_kernelI14__hip_bfloat16hLi80ELi16ELi128ELNS_18Fp8KVCacheDataTypeE1ELb0EEEvPT_PKS3_PKT0_S9_ifPKiSB_iPKfiiiSD_SD_iiiii.has_dyn_sized_stack, 0
	.set _ZN4vllm25paged_attention_v1_kernelI14__hip_bfloat16hLi80ELi16ELi128ELNS_18Fp8KVCacheDataTypeE1ELb0EEEvPT_PKS3_PKT0_S9_ifPKiSB_iPKfiiiSD_SD_iiiii.has_recursion, 0
	.set _ZN4vllm25paged_attention_v1_kernelI14__hip_bfloat16hLi80ELi16ELi128ELNS_18Fp8KVCacheDataTypeE1ELb0EEEvPT_PKS3_PKT0_S9_ifPKiSB_iPKfiiiSD_SD_iiiii.has_indirect_call, 0
	.section	.AMDGPU.csdata,"",@progbits
; Kernel info:
; codeLenInByte = 24496
; TotalNumSgprs: 33
; NumVgprs: 102
; ScratchSize: 0
; MemoryBound: 0
; FloatMode: 240
; IeeeMode: 1
; LDSByteSize: 192 bytes/workgroup (compile time only)
; SGPRBlocks: 0
; VGPRBlocks: 6
; NumSGPRsForWavesPerEU: 33
; NumVGPRsForWavesPerEU: 102
; NamedBarCnt: 0
; Occupancy: 9
; WaveLimiterHint : 1
; COMPUTE_PGM_RSRC2:SCRATCH_EN: 0
; COMPUTE_PGM_RSRC2:USER_SGPR: 2
; COMPUTE_PGM_RSRC2:TRAP_HANDLER: 0
; COMPUTE_PGM_RSRC2:TGID_X_EN: 1
; COMPUTE_PGM_RSRC2:TGID_Y_EN: 1
; COMPUTE_PGM_RSRC2:TGID_Z_EN: 1
; COMPUTE_PGM_RSRC2:TIDIG_COMP_CNT: 0
	.section	.text._ZN4vllm25paged_attention_v1_kernelI14__hip_bfloat16hLi96ELi16ELi128ELNS_18Fp8KVCacheDataTypeE1ELb0EEEvPT_PKS3_PKT0_S9_ifPKiSB_iPKfiiiSD_SD_iiiii,"axG",@progbits,_ZN4vllm25paged_attention_v1_kernelI14__hip_bfloat16hLi96ELi16ELi128ELNS_18Fp8KVCacheDataTypeE1ELb0EEEvPT_PKS3_PKT0_S9_ifPKiSB_iPKfiiiSD_SD_iiiii,comdat
	.protected	_ZN4vllm25paged_attention_v1_kernelI14__hip_bfloat16hLi96ELi16ELi128ELNS_18Fp8KVCacheDataTypeE1ELb0EEEvPT_PKS3_PKT0_S9_ifPKiSB_iPKfiiiSD_SD_iiiii ; -- Begin function _ZN4vllm25paged_attention_v1_kernelI14__hip_bfloat16hLi96ELi16ELi128ELNS_18Fp8KVCacheDataTypeE1ELb0EEEvPT_PKS3_PKT0_S9_ifPKiSB_iPKfiiiSD_SD_iiiii
	.globl	_ZN4vllm25paged_attention_v1_kernelI14__hip_bfloat16hLi96ELi16ELi128ELNS_18Fp8KVCacheDataTypeE1ELb0EEEvPT_PKS3_PKT0_S9_ifPKiSB_iPKfiiiSD_SD_iiiii
	.p2align	8
	.type	_ZN4vllm25paged_attention_v1_kernelI14__hip_bfloat16hLi96ELi16ELi128ELNS_18Fp8KVCacheDataTypeE1ELb0EEEvPT_PKS3_PKT0_S9_ifPKiSB_iPKfiiiSD_SD_iiiii,@function
_ZN4vllm25paged_attention_v1_kernelI14__hip_bfloat16hLi96ELi16ELi128ELNS_18Fp8KVCacheDataTypeE1ELb0EEEvPT_PKS3_PKT0_S9_ifPKiSB_iPKfiiiSD_SD_iiiii: ; @_ZN4vllm25paged_attention_v1_kernelI14__hip_bfloat16hLi96ELi16ELi128ELNS_18Fp8KVCacheDataTypeE1ELb0EEEvPT_PKS3_PKT0_S9_ifPKiSB_iPKfiiiSD_SD_iiiii
; %bb.0:
	s_load_b64 s[18:19], s[0:1], 0x20
	s_bfe_u32 s3, ttmp6, 0x4000c
	s_bfe_u32 s5, ttmp6, 0x40010
	s_and_b32 s4, ttmp7, 0xffff
	s_add_co_i32 s3, s3, 1
	s_add_co_i32 s5, s5, 1
	s_and_b32 s2, ttmp6, 15
	s_bfe_u32 s6, ttmp6, 0x40004
	s_mul_i32 s3, ttmp9, s3
	s_mul_i32 s5, s4, s5
	s_getreg_b32 s20, hwreg(HW_REG_IB_STS2, 6, 4)
	s_add_co_i32 s2, s2, s3
	s_add_co_i32 s3, s6, s5
	s_cmp_eq_u32 s20, 0
	s_clause 0x1
	s_load_b32 s21, s[0:1], 0x80
	s_load_b64 s[6:7], s[0:1], 0x30
	s_cselect_b32 s22, s4, s3
	s_cselect_b32 s4, ttmp9, s2
	s_wait_kmcnt 0x0
	s_abs_i32 s2, s18
	s_delay_alu instid0(SALU_CYCLE_1) | instskip(SKIP_1) | instid1(SALU_CYCLE_2)
	s_cvt_f32_u32 s3, s2
	s_sub_co_i32 s5, 0, s2
	v_rcp_iflag_f32_e32 v1, s3
	s_abs_i32 s8, s21
	v_nop
	s_delay_alu instid0(TRANS32_DEP_1) | instskip(SKIP_1) | instid1(SALU_CYCLE_3)
	v_readfirstlane_b32 s3, v1
	s_mul_f32 s3, s3, 0x4f7ffffe
	s_cvt_u32_f32 s3, s3
	s_delay_alu instid0(SALU_CYCLE_3) | instskip(NEXT) | instid1(SALU_CYCLE_1)
	s_mul_i32 s5, s5, s3
	s_mul_hi_u32 s5, s3, s5
	s_delay_alu instid0(SALU_CYCLE_1) | instskip(SKIP_4) | instid1(SALU_CYCLE_1)
	s_add_co_i32 s3, s3, s5
	s_xor_b32 s5, s21, s18
	s_mul_hi_u32 s3, s8, s3
	s_ashr_i32 s5, s5, 31
	s_mul_i32 s9, s3, s2
	s_sub_co_i32 s8, s8, s9
	s_add_co_i32 s9, s3, 1
	s_sub_co_i32 s10, s8, s2
	s_cmp_ge_u32 s8, s2
	s_cselect_b32 s3, s9, s3
	s_cselect_b32 s8, s10, s8
	s_add_co_i32 s9, s3, 1
	s_cmp_ge_u32 s8, s2
	s_cselect_b32 s2, s9, s3
	s_load_b64 s[8:9], s[0:1], 0x40
	s_xor_b32 s2, s2, s5
	s_mov_b32 s3, 0
	s_sub_co_i32 s14, s2, s5
	s_mov_b32 s13, s3
	s_abs_i32 s11, s14
	s_mov_b32 s18, s3
	s_cvt_f32_u32 s2, s11
	s_delay_alu instid0(SALU_CYCLE_3) | instskip(SKIP_1) | instid1(TRANS32_DEP_1)
	v_rcp_iflag_f32_e32 v1, s2
	v_nop
	v_readfirstlane_b32 s2, v1
	s_mul_f32 s2, s2, 0x4f7ffffe
	s_delay_alu instid0(SALU_CYCLE_3) | instskip(SKIP_1) | instid1(SALU_CYCLE_2)
	s_cvt_u32_f32 s5, s2
	s_sub_co_i32 s2, 0, s11
	s_mul_i32 s2, s2, s5
	s_delay_alu instid0(SALU_CYCLE_1)
	s_mul_hi_u32 s10, s5, s2
	s_abs_i32 s2, s4
	s_add_co_i32 s12, s5, s10
	s_wait_kmcnt 0x0
	s_cmp_eq_u64 s[8:9], 0
	s_cbranch_scc1 .LBB336_2
; %bb.1:
	s_ashr_i32 s5, s4, 31
	s_delay_alu instid0(SALU_CYCLE_1) | instskip(NEXT) | instid1(SALU_CYCLE_1)
	s_lshl_b64 s[16:17], s[4:5], 2
	s_add_nc_u64 s[8:9], s[8:9], s[16:17]
	s_load_b32 s18, s[8:9], 0x0
.LBB336_2:
	s_load_b32 s23, s[6:7], s22 offset:0x0 scale_offset
	s_wait_xcnt 0x0
	s_load_b96 s[8:10], s[0:1], 0x48
	v_dual_lshrrev_b32 v1, 1, v0 :: v_dual_bitop2_b32 v28, 1, v0 bitop3:0x40
	s_ashr_i32 s5, s4, 31
	s_ashr_i32 s14, s14, 31
	s_mul_u64 s[6:7], s[2:3], s[12:13]
	s_mul_i32 s12, s4, 0x60
	s_mov_b32 s3, exec_lo
	v_cmpx_gt_u32_e32 24, v0
	s_cbranch_execz .LBB336_4
; %bb.3:
	s_load_b64 s[16:17], s[0:1], 0x8
	s_wait_kmcnt 0x0
	s_mul_i32 s24, s8, s22
	s_ashr_i32 s13, s12, 31
	s_ashr_i32 s25, s24, 31
	v_lshlrev_b32_e32 v4, 3, v1
	s_lshl_b64 s[24:25], s[24:25], 1
	s_delay_alu instid0(VALU_DEP_1) | instskip(SKIP_2) | instid1(SALU_CYCLE_1)
	v_mad_u32_u24 v4, 0x60, v28, v4
	s_add_nc_u64 s[16:17], s[16:17], s[24:25]
	s_lshl_b64 s[24:25], s[12:13], 1
	s_add_nc_u64 s[16:17], s[16:17], s[24:25]
	global_load_b64 v[2:3], v0, s[16:17] scale_offset
	s_wait_loadcnt 0x0
	ds_store_b64 v4, v[2:3]
.LBB336_4:
	s_or_b32 exec_lo, exec_lo, s3
	s_wait_kmcnt 0x0
	s_add_co_i32 s3, s23, 15
	s_load_b32 s4, s[0:1], 0x38
	s_ashr_i32 s6, s3, 31
	s_mul_i32 s8, s7, s11
	s_lshr_b32 s6, s6, 28
	s_sub_co_i32 s2, s2, s8
	s_add_co_i32 s3, s3, s6
	s_xor_b32 s5, s5, s14
	s_ashr_i32 s13, s3, 4
	s_add_co_i32 s3, s7, 1
	s_sub_co_i32 s6, s2, s11
	s_cmp_ge_u32 s2, s11
	v_lshrrev_b32_e32 v29, 5, v0
	s_cselect_b32 s3, s3, s7
	s_cselect_b32 s2, s6, s2
	s_add_co_i32 s6, s3, 1
	s_cmp_ge_u32 s2, s11
	v_mbcnt_lo_u32_b32 v10, -1, 0
	s_cselect_b32 s2, s6, s3
	s_wait_dscnt 0x0
	s_xor_b32 s2, s2, s5
	s_wait_kmcnt 0x0
	s_mul_i32 s14, s4, s22
	s_sub_co_i32 s3, s2, s5
	v_cmp_gt_i32_e64 s2, s13, v29
	s_ashr_i32 s15, s14, 31
	s_mov_b32 s4, exec_lo
	s_barrier_signal -1
	s_barrier_wait -1
                                        ; implicit-def: $vgpr3
                                        ; implicit-def: $vgpr11
	v_cmpx_le_i32_e64 s13, v29
	s_xor_b32 s4, exec_lo, s4
; %bb.5:
	v_dual_mov_b32 v3, 0 :: v_dual_mov_b32 v11, 32
	v_mbcnt_lo_u32_b32 v10, -1, 0
; %bb.6:
	s_or_saveexec_b32 s24, s4
	s_clause 0x2
	s_load_b32 s8, s[0:1], 0x88
	s_load_b64 s[16:17], s[0:1], 0x28
	s_load_b128 s[4:7], s[0:1], 0x58
	v_dual_mov_b32 v63, 0xff7fffff :: v_dual_lshrrev_b32 v20, 3, v0
	s_mul_i32 s10, s3, s10
	s_xor_b32 exec_lo, exec_lo, s24
	s_cbranch_execz .LBB336_396
; %bb.7:
	v_mul_u32_u24_e32 v8, 0x60, v28
	s_load_b64 s[26:27], s[0:1], 0x10
	v_bfe_u32 v9, v0, 1, 4
	v_mov_b32_e32 v3, 0
	s_ashr_i32 s11, s10, 31
	ds_load_b128 v[4:7], v8
	ds_load_b128 v[30:33], v8 offset:16
	ds_load_b128 v[36:39], v8 offset:32
	ds_load_b128 v[44:47], v8 offset:48
	ds_load_b128 v[52:55], v8 offset:64
	v_lshlrev_b32_e32 v2, 4, v9
	s_wait_kmcnt 0x0
	s_load_b32 s5, s[4:5], 0x0
	s_cmp_neq_f32 s18, 0
	v_lshl_or_b32 v65, v29, 4, v9
	v_mov_b32_e32 v63, 0xff7fffff
	s_mov_b32 s25, s9
	s_cselect_b32 s3, -1, 0
	v_dual_mov_b32 v11, 32 :: v_dual_mov_b32 v67, v29
	s_add_nc_u64 s[26:27], s[26:27], s[10:11]
	s_mov_b32 s11, 0
	s_wait_dscnt 0x4
	v_dual_lshlrev_b32 v12, 16, v4 :: v_dual_lshlrev_b32 v14, 16, v5
	v_and_b32_e32 v13, 0xffff0000, v4
	v_and_b32_e32 v15, 0xffff0000, v5
	v_dual_lshlrev_b32 v16, 16, v6 :: v_dual_lshlrev_b32 v18, 16, v7
	v_and_b32_e32 v17, 0xffff0000, v6
	v_and_b32_e32 v19, 0xffff0000, v7
	ds_load_b128 v[4:7], v8 offset:80
	s_wait_dscnt 0x4
	v_dual_lshlrev_b32 v21, 16, v30 :: v_dual_lshlrev_b32 v23, 16, v31
	v_and_b32_e32 v22, 0xffff0000, v30
	v_and_b32_e32 v24, 0xffff0000, v31
	v_dual_lshlrev_b32 v25, 16, v32 :: v_dual_lshlrev_b32 v27, 16, v33
	v_and_b32_e32 v26, 0xffff0000, v32
	v_and_b32_e32 v30, 0xffff0000, v33
	s_wait_dscnt 0x3
	v_dual_lshlrev_b32 v31, 16, v36 :: v_dual_lshlrev_b32 v33, 16, v37
	v_and_b32_e32 v32, 0xffff0000, v36
	v_and_b32_e32 v34, 0xffff0000, v37
	v_dual_lshlrev_b32 v35, 16, v38 :: v_dual_lshlrev_b32 v37, 16, v39
	v_and_b32_e32 v36, 0xffff0000, v38
	v_and_b32_e32 v38, 0xffff0000, v39
	s_wait_dscnt 0x2
	v_dual_lshlrev_b32 v39, 16, v44 :: v_dual_lshlrev_b32 v41, 16, v45
	v_and_b32_e32 v40, 0xffff0000, v44
	v_and_b32_e32 v42, 0xffff0000, v45
	v_dual_lshlrev_b32 v43, 16, v46 :: v_dual_lshlrev_b32 v45, 16, v47
	v_and_b32_e32 v44, 0xffff0000, v46
	v_and_b32_e32 v46, 0xffff0000, v47
	s_wait_dscnt 0x1
	v_dual_lshlrev_b32 v47, 16, v52 :: v_dual_lshlrev_b32 v49, 16, v53
	v_and_b32_e32 v48, 0xffff0000, v52
	v_and_b32_e32 v50, 0xffff0000, v53
	v_dual_lshlrev_b32 v51, 16, v54 :: v_dual_lshlrev_b32 v53, 16, v55
	v_and_b32_e32 v52, 0xffff0000, v54
	v_and_b32_e32 v54, 0xffff0000, v55
	s_wait_dscnt 0x0
	v_lshlrev_b32_e32 v55, 16, v4
	v_and_b32_e32 v56, 0xffff0000, v4
	v_dual_lshlrev_b32 v57, 16, v5 :: v_dual_bitop2_b32 v4, 1, v10 bitop3:0x14
	v_lshlrev_b32_e32 v59, 16, v6
	v_and_b32_e32 v58, 0xffff0000, v5
	v_and_b32_e32 v60, 0xffff0000, v6
	s_delay_alu instid0(VALU_DEP_4)
	v_cmp_gt_i32_e32 vcc_lo, 32, v4
	v_lshlrev_b32_e32 v61, 16, v7
	v_and_b32_e32 v62, 0xffff0000, v7
	v_dual_cndmask_b32 v6, v10, v4 :: v_dual_lshlrev_b32 v7, 2, v9
	v_add_nc_u64_e32 v[4:5], s[26:27], v[2:3]
	v_lshlrev_b32_e32 v2, 2, v28
	s_lshl_b64 s[26:27], s[14:15], 2
	v_cmp_eq_u32_e32 vcc_lo, 0, v28
	v_lshlrev_b32_e32 v64, 2, v6
	v_lshl_or_b32 v6, v29, 6, v7
	s_add_nc_u64 s[26:27], s[16:17], s[26:27]
	v_add_nc_u64_e32 v[4:5], v[4:5], v[2:3]
	v_and_b32_e32 v2, 0x7c, v20
	s_delay_alu instid0(VALU_DEP_3) | instskip(NEXT) | instid1(VALU_DEP_2)
	v_add_nc_u32_e32 v66, 0xe0, v6
	v_add_nc_u64_e32 v[6:7], s[26:27], v[2:3]
	s_sub_co_i32 s26, 1, s23
	s_branch .LBB336_9
.LBB336_8:                              ;   in Loop: Header=BB336_9 Depth=1
	s_or_b32 exec_lo, exec_lo, s27
	v_dual_add_nc_u32 v67, 4, v67 :: v_dual_add_nc_u32 v65, 64, v65
	v_add_nc_u64_e32 v[6:7], 16, v[6:7]
	v_add_nc_u32_e32 v66, 0x100, v66
	s_delay_alu instid0(VALU_DEP_3) | instskip(SKIP_1) | instid1(SALU_CYCLE_1)
	v_cmp_le_i32_e64 s4, s13, v67
	s_or_b32 s11, s4, s11
	s_and_not1_b32 exec_lo, exec_lo, s11
	s_cbranch_execz .LBB336_395
.LBB336_9:                              ; =>This Inner Loop Header: Depth=1
	global_load_b32 v2, v[6:7], off
	v_dual_mov_b32 v69, 0 :: v_dual_mov_b32 v68, 0
	s_mov_b32 s27, exec_lo
	s_wait_loadcnt_dscnt 0x0
	v_mad_nc_i64_i32 v[8:9], v2, s25, v[4:5]
	global_load_b32 v72, v[8:9], off
	s_wait_loadcnt 0x0
	v_and_b32_e32 v2, 0xff, v72
	s_wait_xcnt 0x0
	s_delay_alu instid0(VALU_DEP_1)
	v_cmpx_ne_u16_e32 0, v2
	s_cbranch_execz .LBB336_17
; %bb.10:                               ;   in Loop: Header=BB336_9 Depth=1
	v_bfrev_b32_e32 v68, 1
	s_mov_b32 s28, exec_lo
	v_cmpx_ne_u16_e32 0x80, v2
	s_cbranch_execz .LBB336_16
; %bb.11:                               ;   in Loop: Header=BB336_9 Depth=1
	v_and_b32_e32 v70, 0x7f, v72
	v_mov_b32_e32 v68, 0x7f800001
	s_mov_b32 s29, exec_lo
	s_delay_alu instid0(VALU_DEP_2)
	v_cmpx_ne_u32_e32 0x7f, v70
	s_cbranch_execz .LBB336_15
; %bb.12:                               ;   in Loop: Header=BB336_9 Depth=1
	v_dual_lshrrev_b32 v68, 3, v70 :: v_dual_bitop2_b32 v2, 7, v72 bitop3:0x40
	s_mov_b32 s30, exec_lo
	v_cmpx_gt_u32_e32 8, v70
; %bb.13:                               ;   in Loop: Header=BB336_9 Depth=1
	s_delay_alu instid0(VALU_DEP_2) | instskip(NEXT) | instid1(VALU_DEP_1)
	v_clz_i32_u32_e32 v68, v2
	v_min_u32_e32 v68, 32, v68
	s_delay_alu instid0(VALU_DEP_1) | instskip(NEXT) | instid1(VALU_DEP_1)
	v_subrev_nc_u32_e32 v70, 28, v68
	v_lshlrev_b64_e32 v[70:71], v70, v[2:3]
	s_delay_alu instid0(VALU_DEP_1)
	v_dual_sub_nc_u32 v68, 29, v68 :: v_dual_bitop2_b32 v2, 7, v70 bitop3:0x40
; %bb.14:                               ;   in Loop: Header=BB336_9 Depth=1
	s_or_b32 exec_lo, exec_lo, s30
	s_delay_alu instid0(VALU_DEP_1) | instskip(NEXT) | instid1(VALU_DEP_2)
	v_dual_lshlrev_b32 v70, 24, v72 :: v_dual_lshlrev_b32 v2, 20, v2
	v_lshl_add_u32 v68, v68, 23, 0x3c000000
	s_delay_alu instid0(VALU_DEP_2) | instskip(NEXT) | instid1(VALU_DEP_1)
	v_and_b32_e32 v70, 0x80000000, v70
	v_or3_b32 v68, v2, v70, v68
.LBB336_15:                             ;   in Loop: Header=BB336_9 Depth=1
	s_or_b32 exec_lo, exec_lo, s29
.LBB336_16:                             ;   in Loop: Header=BB336_9 Depth=1
	s_delay_alu instid0(SALU_CYCLE_1)
	s_or_b32 exec_lo, exec_lo, s28
.LBB336_17:                             ;   in Loop: Header=BB336_9 Depth=1
	s_delay_alu instid0(SALU_CYCLE_1) | instskip(SKIP_2) | instid1(VALU_DEP_1)
	s_or_b32 exec_lo, exec_lo, s27
	v_lshrrev_b16 v2, 8, v72
	s_mov_b32 s27, exec_lo
	v_cmpx_ne_u16_e32 0, v2
	s_cbranch_execz .LBB336_25
; %bb.18:                               ;   in Loop: Header=BB336_9 Depth=1
	v_bfrev_b32_e32 v69, 1
	s_mov_b32 s28, exec_lo
	v_cmpx_ne_u16_e32 0x80, v2
	s_cbranch_execz .LBB336_24
; %bb.19:                               ;   in Loop: Header=BB336_9 Depth=1
	v_and_b32_e32 v2, 0xffff, v2
	v_mov_b32_e32 v69, 0x7f800001
	s_mov_b32 s29, exec_lo
	s_delay_alu instid0(VALU_DEP_2) | instskip(NEXT) | instid1(VALU_DEP_1)
	v_and_b32_e32 v70, 0x7f, v2
	v_cmpx_ne_u32_e32 0x7f, v70
	s_cbranch_execz .LBB336_23
; %bb.20:                               ;   in Loop: Header=BB336_9 Depth=1
	v_and_b32_e32 v2, 7, v2
	v_lshrrev_b32_e32 v69, 3, v70
	s_mov_b32 s30, exec_lo
	v_cmpx_gt_u32_e32 8, v70
; %bb.21:                               ;   in Loop: Header=BB336_9 Depth=1
	s_delay_alu instid0(VALU_DEP_3) | instskip(NEXT) | instid1(VALU_DEP_1)
	v_clz_i32_u32_e32 v69, v2
	v_min_u32_e32 v69, 32, v69
	s_delay_alu instid0(VALU_DEP_1) | instskip(NEXT) | instid1(VALU_DEP_1)
	v_subrev_nc_u32_e32 v70, 28, v69
	v_lshlrev_b64_e32 v[70:71], v70, v[2:3]
	s_delay_alu instid0(VALU_DEP_1)
	v_dual_sub_nc_u32 v69, 29, v69 :: v_dual_bitop2_b32 v2, 7, v70 bitop3:0x40
; %bb.22:                               ;   in Loop: Header=BB336_9 Depth=1
	s_or_b32 exec_lo, exec_lo, s30
	s_delay_alu instid0(VALU_DEP_1) | instskip(NEXT) | instid1(VALU_DEP_2)
	v_dual_lshlrev_b32 v70, 16, v72 :: v_dual_lshlrev_b32 v2, 20, v2
	v_lshl_add_u32 v69, v69, 23, 0x3c000000
	s_delay_alu instid0(VALU_DEP_2) | instskip(NEXT) | instid1(VALU_DEP_1)
	v_and_b32_e32 v70, 0x80000000, v70
	v_or3_b32 v69, v2, v70, v69
.LBB336_23:                             ;   in Loop: Header=BB336_9 Depth=1
	s_or_b32 exec_lo, exec_lo, s29
.LBB336_24:                             ;   in Loop: Header=BB336_9 Depth=1
	s_delay_alu instid0(SALU_CYCLE_1)
	s_or_b32 exec_lo, exec_lo, s28
.LBB336_25:                             ;   in Loop: Header=BB336_9 Depth=1
	s_delay_alu instid0(SALU_CYCLE_1) | instskip(SKIP_3) | instid1(VALU_DEP_2)
	s_or_b32 exec_lo, exec_lo, s27
	v_dual_mov_b32 v70, 0 :: v_dual_lshrrev_b32 v73, 16, v72
	v_mov_b32_e32 v71, 0
	s_mov_b32 s27, exec_lo
	v_and_b32_e32 v2, 0xff, v73
	s_delay_alu instid0(VALU_DEP_1)
	v_cmpx_ne_u16_e32 0, v2
	s_cbranch_execz .LBB336_33
; %bb.26:                               ;   in Loop: Header=BB336_9 Depth=1
	v_bfrev_b32_e32 v71, 1
	s_mov_b32 s28, exec_lo
	v_cmpx_ne_u16_e32 0x80, v2
	s_cbranch_execz .LBB336_32
; %bb.27:                               ;   in Loop: Header=BB336_9 Depth=1
	v_bfe_u32 v74, v72, 16, 7
	v_mov_b32_e32 v71, 0x7f800001
	s_mov_b32 s29, exec_lo
	s_delay_alu instid0(VALU_DEP_2)
	v_cmpx_ne_u32_e32 0x7f, v74
	s_cbranch_execz .LBB336_31
; %bb.28:                               ;   in Loop: Header=BB336_9 Depth=1
	v_dual_lshrrev_b32 v71, 3, v74 :: v_dual_bitop2_b32 v2, 7, v73 bitop3:0x40
	s_mov_b32 s30, exec_lo
	v_cmpx_gt_u32_e32 8, v74
; %bb.29:                               ;   in Loop: Header=BB336_9 Depth=1
	s_delay_alu instid0(VALU_DEP_2) | instskip(NEXT) | instid1(VALU_DEP_1)
	v_clz_i32_u32_e32 v71, v2
	v_min_u32_e32 v71, 32, v71
	s_delay_alu instid0(VALU_DEP_1) | instskip(NEXT) | instid1(VALU_DEP_1)
	v_subrev_nc_u32_e32 v74, 28, v71
	v_lshlrev_b64_e32 v[74:75], v74, v[2:3]
	s_delay_alu instid0(VALU_DEP_1)
	v_dual_sub_nc_u32 v71, 29, v71 :: v_dual_bitop2_b32 v2, 7, v74 bitop3:0x40
; %bb.30:                               ;   in Loop: Header=BB336_9 Depth=1
	s_or_b32 exec_lo, exec_lo, s30
	s_delay_alu instid0(VALU_DEP_1) | instskip(NEXT) | instid1(VALU_DEP_2)
	v_dual_lshlrev_b32 v73, 24, v73 :: v_dual_lshlrev_b32 v2, 20, v2
	v_lshl_add_u32 v71, v71, 23, 0x3c000000
	s_delay_alu instid0(VALU_DEP_2) | instskip(NEXT) | instid1(VALU_DEP_1)
	v_and_b32_e32 v73, 0x80000000, v73
	v_or3_b32 v71, v2, v73, v71
.LBB336_31:                             ;   in Loop: Header=BB336_9 Depth=1
	s_or_b32 exec_lo, exec_lo, s29
.LBB336_32:                             ;   in Loop: Header=BB336_9 Depth=1
	s_delay_alu instid0(SALU_CYCLE_1)
	s_or_b32 exec_lo, exec_lo, s28
.LBB336_33:                             ;   in Loop: Header=BB336_9 Depth=1
	s_delay_alu instid0(SALU_CYCLE_1) | instskip(NEXT) | instid1(SALU_CYCLE_1)
	s_or_b32 exec_lo, exec_lo, s27
	s_mov_b32 s27, exec_lo
	v_cmpx_lt_u32_e32 0xffffff, v72
	s_cbranch_execz .LBB336_41
; %bb.34:                               ;   in Loop: Header=BB336_9 Depth=1
	v_lshrrev_b32_e32 v73, 24, v72
	v_bfrev_b32_e32 v70, 1
	s_mov_b32 s28, exec_lo
	s_delay_alu instid0(VALU_DEP_2)
	v_cmpx_ne_u32_e32 0x80, v73
	s_cbranch_execz .LBB336_40
; %bb.35:                               ;   in Loop: Header=BB336_9 Depth=1
	v_bfe_u32 v72, v72, 24, 7
	v_mov_b32_e32 v70, 0x7f800001
	s_mov_b32 s29, exec_lo
	s_delay_alu instid0(VALU_DEP_2)
	v_cmpx_ne_u32_e32 0x7f, v72
	s_cbranch_execz .LBB336_39
; %bb.36:                               ;   in Loop: Header=BB336_9 Depth=1
	v_dual_lshrrev_b32 v70, 3, v72 :: v_dual_bitop2_b32 v2, 7, v73 bitop3:0x40
	s_mov_b32 s30, exec_lo
	v_cmpx_gt_u32_e32 8, v72
; %bb.37:                               ;   in Loop: Header=BB336_9 Depth=1
	s_delay_alu instid0(VALU_DEP_2) | instskip(NEXT) | instid1(VALU_DEP_1)
	v_clz_i32_u32_e32 v70, v2
	v_min_u32_e32 v70, 32, v70
	s_delay_alu instid0(VALU_DEP_1) | instskip(SKIP_1) | instid1(VALU_DEP_2)
	v_subrev_nc_u32_e32 v72, 28, v70
	v_sub_nc_u32_e32 v70, 29, v70
	v_lshlrev_b64_e32 v[74:75], v72, v[2:3]
	s_delay_alu instid0(VALU_DEP_1)
	v_and_b32_e32 v2, 7, v74
; %bb.38:                               ;   in Loop: Header=BB336_9 Depth=1
	s_or_b32 exec_lo, exec_lo, s30
	s_delay_alu instid0(VALU_DEP_1) | instskip(SKIP_1) | instid1(VALU_DEP_2)
	v_dual_lshlrev_b32 v72, 24, v73 :: v_dual_lshlrev_b32 v2, 20, v2
	v_lshl_add_u32 v70, v70, 23, 0x3c000000
	v_and_b32_e32 v72, 0x80000000, v72
	s_delay_alu instid0(VALU_DEP_1)
	v_or3_b32 v70, v2, v72, v70
.LBB336_39:                             ;   in Loop: Header=BB336_9 Depth=1
	s_or_b32 exec_lo, exec_lo, s29
.LBB336_40:                             ;   in Loop: Header=BB336_9 Depth=1
	s_delay_alu instid0(SALU_CYCLE_1)
	s_or_b32 exec_lo, exec_lo, s28
.LBB336_41:                             ;   in Loop: Header=BB336_9 Depth=1
	s_delay_alu instid0(SALU_CYCLE_1)
	s_or_b32 exec_lo, exec_lo, s27
	global_load_b32 v76, v[8:9], off offset:8
	v_dual_mov_b32 v72, 0 :: v_dual_mov_b32 v73, 0
	s_mov_b32 s27, exec_lo
	s_wait_loadcnt 0x0
	v_and_b32_e32 v2, 0xff, v76
	s_delay_alu instid0(VALU_DEP_1)
	v_cmpx_ne_u16_e32 0, v2
	s_cbranch_execz .LBB336_49
; %bb.42:                               ;   in Loop: Header=BB336_9 Depth=1
	v_bfrev_b32_e32 v73, 1
	s_mov_b32 s28, exec_lo
	v_cmpx_ne_u16_e32 0x80, v2
	s_cbranch_execz .LBB336_48
; %bb.43:                               ;   in Loop: Header=BB336_9 Depth=1
	v_and_b32_e32 v74, 0x7f, v76
	v_mov_b32_e32 v73, 0x7f800001
	s_mov_b32 s29, exec_lo
	s_delay_alu instid0(VALU_DEP_2)
	v_cmpx_ne_u32_e32 0x7f, v74
	s_cbranch_execz .LBB336_47
; %bb.44:                               ;   in Loop: Header=BB336_9 Depth=1
	v_dual_lshrrev_b32 v73, 3, v74 :: v_dual_bitop2_b32 v2, 7, v76 bitop3:0x40
	s_mov_b32 s30, exec_lo
	v_cmpx_gt_u32_e32 8, v74
; %bb.45:                               ;   in Loop: Header=BB336_9 Depth=1
	s_delay_alu instid0(VALU_DEP_2) | instskip(NEXT) | instid1(VALU_DEP_1)
	v_clz_i32_u32_e32 v73, v2
	v_min_u32_e32 v73, 32, v73
	s_delay_alu instid0(VALU_DEP_1) | instskip(NEXT) | instid1(VALU_DEP_1)
	v_subrev_nc_u32_e32 v74, 28, v73
	v_lshlrev_b64_e32 v[74:75], v74, v[2:3]
	s_delay_alu instid0(VALU_DEP_1)
	v_dual_sub_nc_u32 v73, 29, v73 :: v_dual_bitop2_b32 v2, 7, v74 bitop3:0x40
; %bb.46:                               ;   in Loop: Header=BB336_9 Depth=1
	s_or_b32 exec_lo, exec_lo, s30
	s_delay_alu instid0(VALU_DEP_1) | instskip(NEXT) | instid1(VALU_DEP_2)
	v_dual_lshlrev_b32 v74, 24, v76 :: v_dual_lshlrev_b32 v2, 20, v2
	v_lshl_add_u32 v73, v73, 23, 0x3c000000
	s_delay_alu instid0(VALU_DEP_2) | instskip(NEXT) | instid1(VALU_DEP_1)
	v_and_b32_e32 v74, 0x80000000, v74
	v_or3_b32 v73, v2, v74, v73
.LBB336_47:                             ;   in Loop: Header=BB336_9 Depth=1
	s_or_b32 exec_lo, exec_lo, s29
.LBB336_48:                             ;   in Loop: Header=BB336_9 Depth=1
	s_delay_alu instid0(SALU_CYCLE_1)
	s_or_b32 exec_lo, exec_lo, s28
.LBB336_49:                             ;   in Loop: Header=BB336_9 Depth=1
	s_delay_alu instid0(SALU_CYCLE_1) | instskip(SKIP_2) | instid1(VALU_DEP_1)
	s_or_b32 exec_lo, exec_lo, s27
	v_lshrrev_b16 v2, 8, v76
	s_mov_b32 s27, exec_lo
	v_cmpx_ne_u16_e32 0, v2
	s_cbranch_execz .LBB336_57
; %bb.50:                               ;   in Loop: Header=BB336_9 Depth=1
	v_bfrev_b32_e32 v72, 1
	s_mov_b32 s28, exec_lo
	v_cmpx_ne_u16_e32 0x80, v2
	s_cbranch_execz .LBB336_56
; %bb.51:                               ;   in Loop: Header=BB336_9 Depth=1
	v_and_b32_e32 v2, 0xffff, v2
	v_mov_b32_e32 v72, 0x7f800001
	s_mov_b32 s29, exec_lo
	s_delay_alu instid0(VALU_DEP_2) | instskip(NEXT) | instid1(VALU_DEP_1)
	v_and_b32_e32 v74, 0x7f, v2
	v_cmpx_ne_u32_e32 0x7f, v74
	s_cbranch_execz .LBB336_55
; %bb.52:                               ;   in Loop: Header=BB336_9 Depth=1
	v_and_b32_e32 v2, 7, v2
	v_lshrrev_b32_e32 v72, 3, v74
	s_mov_b32 s30, exec_lo
	v_cmpx_gt_u32_e32 8, v74
; %bb.53:                               ;   in Loop: Header=BB336_9 Depth=1
	s_delay_alu instid0(VALU_DEP_3) | instskip(NEXT) | instid1(VALU_DEP_1)
	v_clz_i32_u32_e32 v72, v2
	v_min_u32_e32 v72, 32, v72
	s_delay_alu instid0(VALU_DEP_1) | instskip(NEXT) | instid1(VALU_DEP_1)
	v_subrev_nc_u32_e32 v74, 28, v72
	v_lshlrev_b64_e32 v[74:75], v74, v[2:3]
	s_delay_alu instid0(VALU_DEP_1)
	v_dual_sub_nc_u32 v72, 29, v72 :: v_dual_bitop2_b32 v2, 7, v74 bitop3:0x40
; %bb.54:                               ;   in Loop: Header=BB336_9 Depth=1
	s_or_b32 exec_lo, exec_lo, s30
	s_delay_alu instid0(VALU_DEP_1) | instskip(NEXT) | instid1(VALU_DEP_2)
	v_dual_lshlrev_b32 v74, 16, v76 :: v_dual_lshlrev_b32 v2, 20, v2
	v_lshl_add_u32 v72, v72, 23, 0x3c000000
	s_delay_alu instid0(VALU_DEP_2) | instskip(NEXT) | instid1(VALU_DEP_1)
	v_and_b32_e32 v74, 0x80000000, v74
	v_or3_b32 v72, v2, v74, v72
.LBB336_55:                             ;   in Loop: Header=BB336_9 Depth=1
	s_or_b32 exec_lo, exec_lo, s29
.LBB336_56:                             ;   in Loop: Header=BB336_9 Depth=1
	s_delay_alu instid0(SALU_CYCLE_1)
	s_or_b32 exec_lo, exec_lo, s28
.LBB336_57:                             ;   in Loop: Header=BB336_9 Depth=1
	s_delay_alu instid0(SALU_CYCLE_1) | instskip(SKIP_3) | instid1(VALU_DEP_2)
	s_or_b32 exec_lo, exec_lo, s27
	v_dual_mov_b32 v74, 0 :: v_dual_lshrrev_b32 v77, 16, v76
	v_mov_b32_e32 v75, 0
	s_mov_b32 s27, exec_lo
	v_and_b32_e32 v2, 0xff, v77
	s_delay_alu instid0(VALU_DEP_1)
	v_cmpx_ne_u16_e32 0, v2
	s_cbranch_execz .LBB336_65
; %bb.58:                               ;   in Loop: Header=BB336_9 Depth=1
	v_bfrev_b32_e32 v75, 1
	s_mov_b32 s28, exec_lo
	v_cmpx_ne_u16_e32 0x80, v2
	s_cbranch_execz .LBB336_64
; %bb.59:                               ;   in Loop: Header=BB336_9 Depth=1
	v_bfe_u32 v78, v76, 16, 7
	v_mov_b32_e32 v75, 0x7f800001
	s_mov_b32 s29, exec_lo
	s_delay_alu instid0(VALU_DEP_2)
	v_cmpx_ne_u32_e32 0x7f, v78
	s_cbranch_execz .LBB336_63
; %bb.60:                               ;   in Loop: Header=BB336_9 Depth=1
	v_dual_lshrrev_b32 v75, 3, v78 :: v_dual_bitop2_b32 v2, 7, v77 bitop3:0x40
	s_mov_b32 s30, exec_lo
	v_cmpx_gt_u32_e32 8, v78
; %bb.61:                               ;   in Loop: Header=BB336_9 Depth=1
	s_delay_alu instid0(VALU_DEP_2) | instskip(NEXT) | instid1(VALU_DEP_1)
	v_clz_i32_u32_e32 v75, v2
	v_min_u32_e32 v75, 32, v75
	s_delay_alu instid0(VALU_DEP_1) | instskip(NEXT) | instid1(VALU_DEP_1)
	v_subrev_nc_u32_e32 v78, 28, v75
	v_lshlrev_b64_e32 v[78:79], v78, v[2:3]
	s_delay_alu instid0(VALU_DEP_1)
	v_dual_sub_nc_u32 v75, 29, v75 :: v_dual_bitop2_b32 v2, 7, v78 bitop3:0x40
; %bb.62:                               ;   in Loop: Header=BB336_9 Depth=1
	s_or_b32 exec_lo, exec_lo, s30
	s_delay_alu instid0(VALU_DEP_1) | instskip(NEXT) | instid1(VALU_DEP_2)
	v_dual_lshlrev_b32 v77, 24, v77 :: v_dual_lshlrev_b32 v2, 20, v2
	v_lshl_add_u32 v75, v75, 23, 0x3c000000
	s_delay_alu instid0(VALU_DEP_2) | instskip(NEXT) | instid1(VALU_DEP_1)
	v_and_b32_e32 v77, 0x80000000, v77
	v_or3_b32 v75, v2, v77, v75
.LBB336_63:                             ;   in Loop: Header=BB336_9 Depth=1
	s_or_b32 exec_lo, exec_lo, s29
.LBB336_64:                             ;   in Loop: Header=BB336_9 Depth=1
	s_delay_alu instid0(SALU_CYCLE_1)
	s_or_b32 exec_lo, exec_lo, s28
.LBB336_65:                             ;   in Loop: Header=BB336_9 Depth=1
	s_delay_alu instid0(SALU_CYCLE_1) | instskip(NEXT) | instid1(SALU_CYCLE_1)
	s_or_b32 exec_lo, exec_lo, s27
	s_mov_b32 s27, exec_lo
	v_cmpx_lt_u32_e32 0xffffff, v76
	s_cbranch_execz .LBB336_73
; %bb.66:                               ;   in Loop: Header=BB336_9 Depth=1
	v_lshrrev_b32_e32 v77, 24, v76
	v_bfrev_b32_e32 v74, 1
	s_mov_b32 s28, exec_lo
	s_delay_alu instid0(VALU_DEP_2)
	v_cmpx_ne_u32_e32 0x80, v77
	s_cbranch_execz .LBB336_72
; %bb.67:                               ;   in Loop: Header=BB336_9 Depth=1
	v_bfe_u32 v76, v76, 24, 7
	v_mov_b32_e32 v74, 0x7f800001
	s_mov_b32 s29, exec_lo
	s_delay_alu instid0(VALU_DEP_2)
	v_cmpx_ne_u32_e32 0x7f, v76
	s_cbranch_execz .LBB336_71
; %bb.68:                               ;   in Loop: Header=BB336_9 Depth=1
	v_dual_lshrrev_b32 v74, 3, v76 :: v_dual_bitop2_b32 v2, 7, v77 bitop3:0x40
	s_mov_b32 s30, exec_lo
	v_cmpx_gt_u32_e32 8, v76
; %bb.69:                               ;   in Loop: Header=BB336_9 Depth=1
	s_delay_alu instid0(VALU_DEP_2) | instskip(NEXT) | instid1(VALU_DEP_1)
	v_clz_i32_u32_e32 v74, v2
	v_min_u32_e32 v74, 32, v74
	s_delay_alu instid0(VALU_DEP_1) | instskip(SKIP_1) | instid1(VALU_DEP_2)
	v_subrev_nc_u32_e32 v76, 28, v74
	v_sub_nc_u32_e32 v74, 29, v74
	v_lshlrev_b64_e32 v[78:79], v76, v[2:3]
	s_delay_alu instid0(VALU_DEP_1)
	v_and_b32_e32 v2, 7, v78
; %bb.70:                               ;   in Loop: Header=BB336_9 Depth=1
	s_or_b32 exec_lo, exec_lo, s30
	s_delay_alu instid0(VALU_DEP_1) | instskip(SKIP_1) | instid1(VALU_DEP_2)
	v_dual_lshlrev_b32 v76, 24, v77 :: v_dual_lshlrev_b32 v2, 20, v2
	v_lshl_add_u32 v74, v74, 23, 0x3c000000
	v_and_b32_e32 v76, 0x80000000, v76
	s_delay_alu instid0(VALU_DEP_1)
	v_or3_b32 v74, v2, v76, v74
.LBB336_71:                             ;   in Loop: Header=BB336_9 Depth=1
	s_or_b32 exec_lo, exec_lo, s29
.LBB336_72:                             ;   in Loop: Header=BB336_9 Depth=1
	s_delay_alu instid0(SALU_CYCLE_1)
	s_or_b32 exec_lo, exec_lo, s28
.LBB336_73:                             ;   in Loop: Header=BB336_9 Depth=1
	s_delay_alu instid0(SALU_CYCLE_1)
	s_or_b32 exec_lo, exec_lo, s27
	global_load_b32 v80, v[8:9], off offset:256
	v_dual_mov_b32 v77, 0 :: v_dual_mov_b32 v76, 0
	s_mov_b32 s27, exec_lo
	s_wait_loadcnt 0x0
	v_and_b32_e32 v2, 0xff, v80
	s_delay_alu instid0(VALU_DEP_1)
	v_cmpx_ne_u16_e32 0, v2
	s_cbranch_execz .LBB336_81
; %bb.74:                               ;   in Loop: Header=BB336_9 Depth=1
	v_bfrev_b32_e32 v76, 1
	s_mov_b32 s28, exec_lo
	v_cmpx_ne_u16_e32 0x80, v2
	s_cbranch_execz .LBB336_80
; %bb.75:                               ;   in Loop: Header=BB336_9 Depth=1
	v_and_b32_e32 v78, 0x7f, v80
	v_mov_b32_e32 v76, 0x7f800001
	s_mov_b32 s29, exec_lo
	s_delay_alu instid0(VALU_DEP_2)
	v_cmpx_ne_u32_e32 0x7f, v78
	s_cbranch_execz .LBB336_79
; %bb.76:                               ;   in Loop: Header=BB336_9 Depth=1
	v_dual_lshrrev_b32 v76, 3, v78 :: v_dual_bitop2_b32 v2, 7, v80 bitop3:0x40
	s_mov_b32 s30, exec_lo
	v_cmpx_gt_u32_e32 8, v78
; %bb.77:                               ;   in Loop: Header=BB336_9 Depth=1
	s_delay_alu instid0(VALU_DEP_2) | instskip(NEXT) | instid1(VALU_DEP_1)
	v_clz_i32_u32_e32 v76, v2
	v_min_u32_e32 v76, 32, v76
	s_delay_alu instid0(VALU_DEP_1) | instskip(NEXT) | instid1(VALU_DEP_1)
	v_subrev_nc_u32_e32 v78, 28, v76
	v_lshlrev_b64_e32 v[78:79], v78, v[2:3]
	s_delay_alu instid0(VALU_DEP_1)
	v_dual_sub_nc_u32 v76, 29, v76 :: v_dual_bitop2_b32 v2, 7, v78 bitop3:0x40
; %bb.78:                               ;   in Loop: Header=BB336_9 Depth=1
	s_or_b32 exec_lo, exec_lo, s30
	s_delay_alu instid0(VALU_DEP_1) | instskip(NEXT) | instid1(VALU_DEP_2)
	v_dual_lshlrev_b32 v78, 24, v80 :: v_dual_lshlrev_b32 v2, 20, v2
	v_lshl_add_u32 v76, v76, 23, 0x3c000000
	s_delay_alu instid0(VALU_DEP_2) | instskip(NEXT) | instid1(VALU_DEP_1)
	v_and_b32_e32 v78, 0x80000000, v78
	v_or3_b32 v76, v2, v78, v76
.LBB336_79:                             ;   in Loop: Header=BB336_9 Depth=1
	s_or_b32 exec_lo, exec_lo, s29
.LBB336_80:                             ;   in Loop: Header=BB336_9 Depth=1
	s_delay_alu instid0(SALU_CYCLE_1)
	s_or_b32 exec_lo, exec_lo, s28
.LBB336_81:                             ;   in Loop: Header=BB336_9 Depth=1
	s_delay_alu instid0(SALU_CYCLE_1) | instskip(SKIP_2) | instid1(VALU_DEP_1)
	s_or_b32 exec_lo, exec_lo, s27
	v_lshrrev_b16 v2, 8, v80
	s_mov_b32 s27, exec_lo
	v_cmpx_ne_u16_e32 0, v2
	s_cbranch_execz .LBB336_89
; %bb.82:                               ;   in Loop: Header=BB336_9 Depth=1
	v_bfrev_b32_e32 v77, 1
	s_mov_b32 s28, exec_lo
	v_cmpx_ne_u16_e32 0x80, v2
	s_cbranch_execz .LBB336_88
; %bb.83:                               ;   in Loop: Header=BB336_9 Depth=1
	v_and_b32_e32 v2, 0xffff, v2
	v_mov_b32_e32 v77, 0x7f800001
	s_mov_b32 s29, exec_lo
	s_delay_alu instid0(VALU_DEP_2) | instskip(NEXT) | instid1(VALU_DEP_1)
	v_and_b32_e32 v78, 0x7f, v2
	v_cmpx_ne_u32_e32 0x7f, v78
	s_cbranch_execz .LBB336_87
; %bb.84:                               ;   in Loop: Header=BB336_9 Depth=1
	v_and_b32_e32 v2, 7, v2
	v_lshrrev_b32_e32 v77, 3, v78
	s_mov_b32 s30, exec_lo
	v_cmpx_gt_u32_e32 8, v78
; %bb.85:                               ;   in Loop: Header=BB336_9 Depth=1
	s_delay_alu instid0(VALU_DEP_3) | instskip(NEXT) | instid1(VALU_DEP_1)
	v_clz_i32_u32_e32 v77, v2
	v_min_u32_e32 v77, 32, v77
	s_delay_alu instid0(VALU_DEP_1) | instskip(NEXT) | instid1(VALU_DEP_1)
	v_subrev_nc_u32_e32 v78, 28, v77
	v_lshlrev_b64_e32 v[78:79], v78, v[2:3]
	s_delay_alu instid0(VALU_DEP_1)
	v_dual_sub_nc_u32 v77, 29, v77 :: v_dual_bitop2_b32 v2, 7, v78 bitop3:0x40
; %bb.86:                               ;   in Loop: Header=BB336_9 Depth=1
	s_or_b32 exec_lo, exec_lo, s30
	s_delay_alu instid0(VALU_DEP_1) | instskip(NEXT) | instid1(VALU_DEP_2)
	v_dual_lshlrev_b32 v78, 16, v80 :: v_dual_lshlrev_b32 v2, 20, v2
	v_lshl_add_u32 v77, v77, 23, 0x3c000000
	s_delay_alu instid0(VALU_DEP_2) | instskip(NEXT) | instid1(VALU_DEP_1)
	v_and_b32_e32 v78, 0x80000000, v78
	v_or3_b32 v77, v2, v78, v77
.LBB336_87:                             ;   in Loop: Header=BB336_9 Depth=1
	s_or_b32 exec_lo, exec_lo, s29
.LBB336_88:                             ;   in Loop: Header=BB336_9 Depth=1
	s_delay_alu instid0(SALU_CYCLE_1)
	s_or_b32 exec_lo, exec_lo, s28
.LBB336_89:                             ;   in Loop: Header=BB336_9 Depth=1
	s_delay_alu instid0(SALU_CYCLE_1) | instskip(SKIP_3) | instid1(VALU_DEP_2)
	s_or_b32 exec_lo, exec_lo, s27
	v_dual_mov_b32 v78, 0 :: v_dual_lshrrev_b32 v81, 16, v80
	v_mov_b32_e32 v79, 0
	s_mov_b32 s27, exec_lo
	v_and_b32_e32 v2, 0xff, v81
	s_delay_alu instid0(VALU_DEP_1)
	v_cmpx_ne_u16_e32 0, v2
	s_cbranch_execz .LBB336_97
; %bb.90:                               ;   in Loop: Header=BB336_9 Depth=1
	v_bfrev_b32_e32 v79, 1
	s_mov_b32 s28, exec_lo
	v_cmpx_ne_u16_e32 0x80, v2
	s_cbranch_execz .LBB336_96
; %bb.91:                               ;   in Loop: Header=BB336_9 Depth=1
	v_bfe_u32 v82, v80, 16, 7
	v_mov_b32_e32 v79, 0x7f800001
	s_mov_b32 s29, exec_lo
	s_delay_alu instid0(VALU_DEP_2)
	v_cmpx_ne_u32_e32 0x7f, v82
	s_cbranch_execz .LBB336_95
; %bb.92:                               ;   in Loop: Header=BB336_9 Depth=1
	v_dual_lshrrev_b32 v79, 3, v82 :: v_dual_bitop2_b32 v2, 7, v81 bitop3:0x40
	s_mov_b32 s30, exec_lo
	v_cmpx_gt_u32_e32 8, v82
; %bb.93:                               ;   in Loop: Header=BB336_9 Depth=1
	s_delay_alu instid0(VALU_DEP_2) | instskip(NEXT) | instid1(VALU_DEP_1)
	v_clz_i32_u32_e32 v79, v2
	v_min_u32_e32 v79, 32, v79
	s_delay_alu instid0(VALU_DEP_1) | instskip(NEXT) | instid1(VALU_DEP_1)
	v_subrev_nc_u32_e32 v82, 28, v79
	v_lshlrev_b64_e32 v[82:83], v82, v[2:3]
	s_delay_alu instid0(VALU_DEP_1)
	v_dual_sub_nc_u32 v79, 29, v79 :: v_dual_bitop2_b32 v2, 7, v82 bitop3:0x40
; %bb.94:                               ;   in Loop: Header=BB336_9 Depth=1
	s_or_b32 exec_lo, exec_lo, s30
	s_delay_alu instid0(VALU_DEP_1) | instskip(NEXT) | instid1(VALU_DEP_2)
	v_dual_lshlrev_b32 v81, 24, v81 :: v_dual_lshlrev_b32 v2, 20, v2
	v_lshl_add_u32 v79, v79, 23, 0x3c000000
	s_delay_alu instid0(VALU_DEP_2) | instskip(NEXT) | instid1(VALU_DEP_1)
	v_and_b32_e32 v81, 0x80000000, v81
	v_or3_b32 v79, v2, v81, v79
.LBB336_95:                             ;   in Loop: Header=BB336_9 Depth=1
	s_or_b32 exec_lo, exec_lo, s29
.LBB336_96:                             ;   in Loop: Header=BB336_9 Depth=1
	s_delay_alu instid0(SALU_CYCLE_1)
	s_or_b32 exec_lo, exec_lo, s28
.LBB336_97:                             ;   in Loop: Header=BB336_9 Depth=1
	s_delay_alu instid0(SALU_CYCLE_1) | instskip(NEXT) | instid1(SALU_CYCLE_1)
	s_or_b32 exec_lo, exec_lo, s27
	s_mov_b32 s27, exec_lo
	v_cmpx_lt_u32_e32 0xffffff, v80
	s_cbranch_execz .LBB336_105
; %bb.98:                               ;   in Loop: Header=BB336_9 Depth=1
	v_lshrrev_b32_e32 v81, 24, v80
	v_bfrev_b32_e32 v78, 1
	s_mov_b32 s28, exec_lo
	s_delay_alu instid0(VALU_DEP_2)
	v_cmpx_ne_u32_e32 0x80, v81
	s_cbranch_execz .LBB336_104
; %bb.99:                               ;   in Loop: Header=BB336_9 Depth=1
	v_bfe_u32 v80, v80, 24, 7
	v_mov_b32_e32 v78, 0x7f800001
	s_mov_b32 s29, exec_lo
	s_delay_alu instid0(VALU_DEP_2)
	v_cmpx_ne_u32_e32 0x7f, v80
	s_cbranch_execz .LBB336_103
; %bb.100:                              ;   in Loop: Header=BB336_9 Depth=1
	v_dual_lshrrev_b32 v78, 3, v80 :: v_dual_bitop2_b32 v2, 7, v81 bitop3:0x40
	s_mov_b32 s30, exec_lo
	v_cmpx_gt_u32_e32 8, v80
; %bb.101:                              ;   in Loop: Header=BB336_9 Depth=1
	s_delay_alu instid0(VALU_DEP_2) | instskip(NEXT) | instid1(VALU_DEP_1)
	v_clz_i32_u32_e32 v78, v2
	v_min_u32_e32 v78, 32, v78
	s_delay_alu instid0(VALU_DEP_1) | instskip(SKIP_1) | instid1(VALU_DEP_2)
	v_subrev_nc_u32_e32 v80, 28, v78
	v_sub_nc_u32_e32 v78, 29, v78
	v_lshlrev_b64_e32 v[82:83], v80, v[2:3]
	s_delay_alu instid0(VALU_DEP_1)
	v_and_b32_e32 v2, 7, v82
; %bb.102:                              ;   in Loop: Header=BB336_9 Depth=1
	s_or_b32 exec_lo, exec_lo, s30
	s_delay_alu instid0(VALU_DEP_1) | instskip(SKIP_1) | instid1(VALU_DEP_2)
	v_dual_lshlrev_b32 v80, 24, v81 :: v_dual_lshlrev_b32 v2, 20, v2
	v_lshl_add_u32 v78, v78, 23, 0x3c000000
	v_and_b32_e32 v80, 0x80000000, v80
	s_delay_alu instid0(VALU_DEP_1)
	v_or3_b32 v78, v2, v80, v78
.LBB336_103:                            ;   in Loop: Header=BB336_9 Depth=1
	s_or_b32 exec_lo, exec_lo, s29
.LBB336_104:                            ;   in Loop: Header=BB336_9 Depth=1
	s_delay_alu instid0(SALU_CYCLE_1)
	s_or_b32 exec_lo, exec_lo, s28
.LBB336_105:                            ;   in Loop: Header=BB336_9 Depth=1
	s_delay_alu instid0(SALU_CYCLE_1)
	s_or_b32 exec_lo, exec_lo, s27
	global_load_b32 v84, v[8:9], off offset:264
	v_dual_mov_b32 v81, 0 :: v_dual_mov_b32 v80, 0
	s_mov_b32 s27, exec_lo
	s_wait_loadcnt 0x0
	v_and_b32_e32 v2, 0xff, v84
	s_delay_alu instid0(VALU_DEP_1)
	v_cmpx_ne_u16_e32 0, v2
	s_cbranch_execz .LBB336_113
; %bb.106:                              ;   in Loop: Header=BB336_9 Depth=1
	v_bfrev_b32_e32 v80, 1
	s_mov_b32 s28, exec_lo
	v_cmpx_ne_u16_e32 0x80, v2
	s_cbranch_execz .LBB336_112
; %bb.107:                              ;   in Loop: Header=BB336_9 Depth=1
	v_and_b32_e32 v82, 0x7f, v84
	v_mov_b32_e32 v80, 0x7f800001
	s_mov_b32 s29, exec_lo
	s_delay_alu instid0(VALU_DEP_2)
	v_cmpx_ne_u32_e32 0x7f, v82
	s_cbranch_execz .LBB336_111
; %bb.108:                              ;   in Loop: Header=BB336_9 Depth=1
	v_dual_lshrrev_b32 v80, 3, v82 :: v_dual_bitop2_b32 v2, 7, v84 bitop3:0x40
	s_mov_b32 s30, exec_lo
	v_cmpx_gt_u32_e32 8, v82
; %bb.109:                              ;   in Loop: Header=BB336_9 Depth=1
	s_delay_alu instid0(VALU_DEP_2) | instskip(NEXT) | instid1(VALU_DEP_1)
	v_clz_i32_u32_e32 v80, v2
	v_min_u32_e32 v80, 32, v80
	s_delay_alu instid0(VALU_DEP_1) | instskip(NEXT) | instid1(VALU_DEP_1)
	v_subrev_nc_u32_e32 v82, 28, v80
	v_lshlrev_b64_e32 v[82:83], v82, v[2:3]
	s_delay_alu instid0(VALU_DEP_1)
	v_dual_sub_nc_u32 v80, 29, v80 :: v_dual_bitop2_b32 v2, 7, v82 bitop3:0x40
; %bb.110:                              ;   in Loop: Header=BB336_9 Depth=1
	s_or_b32 exec_lo, exec_lo, s30
	s_delay_alu instid0(VALU_DEP_1) | instskip(NEXT) | instid1(VALU_DEP_2)
	v_dual_lshlrev_b32 v82, 24, v84 :: v_dual_lshlrev_b32 v2, 20, v2
	v_lshl_add_u32 v80, v80, 23, 0x3c000000
	s_delay_alu instid0(VALU_DEP_2) | instskip(NEXT) | instid1(VALU_DEP_1)
	v_and_b32_e32 v82, 0x80000000, v82
	v_or3_b32 v80, v2, v82, v80
.LBB336_111:                            ;   in Loop: Header=BB336_9 Depth=1
	s_or_b32 exec_lo, exec_lo, s29
.LBB336_112:                            ;   in Loop: Header=BB336_9 Depth=1
	s_delay_alu instid0(SALU_CYCLE_1)
	s_or_b32 exec_lo, exec_lo, s28
.LBB336_113:                            ;   in Loop: Header=BB336_9 Depth=1
	s_delay_alu instid0(SALU_CYCLE_1) | instskip(SKIP_2) | instid1(VALU_DEP_1)
	s_or_b32 exec_lo, exec_lo, s27
	v_lshrrev_b16 v2, 8, v84
	s_mov_b32 s27, exec_lo
	v_cmpx_ne_u16_e32 0, v2
	s_cbranch_execz .LBB336_121
; %bb.114:                              ;   in Loop: Header=BB336_9 Depth=1
	v_bfrev_b32_e32 v81, 1
	s_mov_b32 s28, exec_lo
	v_cmpx_ne_u16_e32 0x80, v2
	s_cbranch_execz .LBB336_120
; %bb.115:                              ;   in Loop: Header=BB336_9 Depth=1
	v_and_b32_e32 v2, 0xffff, v2
	v_mov_b32_e32 v81, 0x7f800001
	s_mov_b32 s29, exec_lo
	s_delay_alu instid0(VALU_DEP_2) | instskip(NEXT) | instid1(VALU_DEP_1)
	v_and_b32_e32 v82, 0x7f, v2
	v_cmpx_ne_u32_e32 0x7f, v82
	s_cbranch_execz .LBB336_119
; %bb.116:                              ;   in Loop: Header=BB336_9 Depth=1
	v_and_b32_e32 v2, 7, v2
	v_lshrrev_b32_e32 v81, 3, v82
	s_mov_b32 s30, exec_lo
	v_cmpx_gt_u32_e32 8, v82
; %bb.117:                              ;   in Loop: Header=BB336_9 Depth=1
	s_delay_alu instid0(VALU_DEP_3) | instskip(NEXT) | instid1(VALU_DEP_1)
	v_clz_i32_u32_e32 v81, v2
	v_min_u32_e32 v81, 32, v81
	s_delay_alu instid0(VALU_DEP_1) | instskip(NEXT) | instid1(VALU_DEP_1)
	v_subrev_nc_u32_e32 v82, 28, v81
	v_lshlrev_b64_e32 v[82:83], v82, v[2:3]
	s_delay_alu instid0(VALU_DEP_1)
	v_dual_sub_nc_u32 v81, 29, v81 :: v_dual_bitop2_b32 v2, 7, v82 bitop3:0x40
; %bb.118:                              ;   in Loop: Header=BB336_9 Depth=1
	s_or_b32 exec_lo, exec_lo, s30
	s_delay_alu instid0(VALU_DEP_1) | instskip(NEXT) | instid1(VALU_DEP_2)
	v_dual_lshlrev_b32 v82, 16, v84 :: v_dual_lshlrev_b32 v2, 20, v2
	v_lshl_add_u32 v81, v81, 23, 0x3c000000
	s_delay_alu instid0(VALU_DEP_2) | instskip(NEXT) | instid1(VALU_DEP_1)
	v_and_b32_e32 v82, 0x80000000, v82
	v_or3_b32 v81, v2, v82, v81
.LBB336_119:                            ;   in Loop: Header=BB336_9 Depth=1
	s_or_b32 exec_lo, exec_lo, s29
.LBB336_120:                            ;   in Loop: Header=BB336_9 Depth=1
	s_delay_alu instid0(SALU_CYCLE_1)
	s_or_b32 exec_lo, exec_lo, s28
.LBB336_121:                            ;   in Loop: Header=BB336_9 Depth=1
	s_delay_alu instid0(SALU_CYCLE_1) | instskip(SKIP_3) | instid1(VALU_DEP_2)
	s_or_b32 exec_lo, exec_lo, s27
	v_dual_mov_b32 v82, 0 :: v_dual_lshrrev_b32 v85, 16, v84
	v_mov_b32_e32 v83, 0
	s_mov_b32 s27, exec_lo
	v_and_b32_e32 v2, 0xff, v85
	s_delay_alu instid0(VALU_DEP_1)
	v_cmpx_ne_u16_e32 0, v2
	s_cbranch_execz .LBB336_129
; %bb.122:                              ;   in Loop: Header=BB336_9 Depth=1
	v_bfrev_b32_e32 v83, 1
	s_mov_b32 s28, exec_lo
	v_cmpx_ne_u16_e32 0x80, v2
	s_cbranch_execz .LBB336_128
; %bb.123:                              ;   in Loop: Header=BB336_9 Depth=1
	v_bfe_u32 v86, v84, 16, 7
	v_mov_b32_e32 v83, 0x7f800001
	s_mov_b32 s29, exec_lo
	s_delay_alu instid0(VALU_DEP_2)
	v_cmpx_ne_u32_e32 0x7f, v86
	s_cbranch_execz .LBB336_127
; %bb.124:                              ;   in Loop: Header=BB336_9 Depth=1
	v_dual_lshrrev_b32 v83, 3, v86 :: v_dual_bitop2_b32 v2, 7, v85 bitop3:0x40
	s_mov_b32 s30, exec_lo
	v_cmpx_gt_u32_e32 8, v86
; %bb.125:                              ;   in Loop: Header=BB336_9 Depth=1
	s_delay_alu instid0(VALU_DEP_2) | instskip(NEXT) | instid1(VALU_DEP_1)
	v_clz_i32_u32_e32 v83, v2
	v_min_u32_e32 v83, 32, v83
	s_delay_alu instid0(VALU_DEP_1) | instskip(NEXT) | instid1(VALU_DEP_1)
	v_subrev_nc_u32_e32 v86, 28, v83
	v_lshlrev_b64_e32 v[86:87], v86, v[2:3]
	s_delay_alu instid0(VALU_DEP_1)
	v_dual_sub_nc_u32 v83, 29, v83 :: v_dual_bitop2_b32 v2, 7, v86 bitop3:0x40
; %bb.126:                              ;   in Loop: Header=BB336_9 Depth=1
	s_or_b32 exec_lo, exec_lo, s30
	s_delay_alu instid0(VALU_DEP_1) | instskip(NEXT) | instid1(VALU_DEP_2)
	v_dual_lshlrev_b32 v85, 24, v85 :: v_dual_lshlrev_b32 v2, 20, v2
	v_lshl_add_u32 v83, v83, 23, 0x3c000000
	s_delay_alu instid0(VALU_DEP_2) | instskip(NEXT) | instid1(VALU_DEP_1)
	v_and_b32_e32 v85, 0x80000000, v85
	v_or3_b32 v83, v2, v85, v83
.LBB336_127:                            ;   in Loop: Header=BB336_9 Depth=1
	s_or_b32 exec_lo, exec_lo, s29
.LBB336_128:                            ;   in Loop: Header=BB336_9 Depth=1
	s_delay_alu instid0(SALU_CYCLE_1)
	s_or_b32 exec_lo, exec_lo, s28
.LBB336_129:                            ;   in Loop: Header=BB336_9 Depth=1
	s_delay_alu instid0(SALU_CYCLE_1) | instskip(NEXT) | instid1(SALU_CYCLE_1)
	s_or_b32 exec_lo, exec_lo, s27
	s_mov_b32 s27, exec_lo
	v_cmpx_lt_u32_e32 0xffffff, v84
	s_cbranch_execz .LBB336_137
; %bb.130:                              ;   in Loop: Header=BB336_9 Depth=1
	v_lshrrev_b32_e32 v85, 24, v84
	v_bfrev_b32_e32 v82, 1
	s_mov_b32 s28, exec_lo
	s_delay_alu instid0(VALU_DEP_2)
	v_cmpx_ne_u32_e32 0x80, v85
	s_cbranch_execz .LBB336_136
; %bb.131:                              ;   in Loop: Header=BB336_9 Depth=1
	v_bfe_u32 v84, v84, 24, 7
	v_mov_b32_e32 v82, 0x7f800001
	s_mov_b32 s29, exec_lo
	s_delay_alu instid0(VALU_DEP_2)
	v_cmpx_ne_u32_e32 0x7f, v84
	s_cbranch_execz .LBB336_135
; %bb.132:                              ;   in Loop: Header=BB336_9 Depth=1
	v_dual_lshrrev_b32 v82, 3, v84 :: v_dual_bitop2_b32 v2, 7, v85 bitop3:0x40
	s_mov_b32 s30, exec_lo
	v_cmpx_gt_u32_e32 8, v84
; %bb.133:                              ;   in Loop: Header=BB336_9 Depth=1
	s_delay_alu instid0(VALU_DEP_2) | instskip(NEXT) | instid1(VALU_DEP_1)
	v_clz_i32_u32_e32 v82, v2
	v_min_u32_e32 v82, 32, v82
	s_delay_alu instid0(VALU_DEP_1) | instskip(SKIP_1) | instid1(VALU_DEP_2)
	v_subrev_nc_u32_e32 v84, 28, v82
	v_sub_nc_u32_e32 v82, 29, v82
	v_lshlrev_b64_e32 v[86:87], v84, v[2:3]
	s_delay_alu instid0(VALU_DEP_1)
	v_and_b32_e32 v2, 7, v86
; %bb.134:                              ;   in Loop: Header=BB336_9 Depth=1
	s_or_b32 exec_lo, exec_lo, s30
	s_delay_alu instid0(VALU_DEP_1) | instskip(SKIP_1) | instid1(VALU_DEP_2)
	v_dual_lshlrev_b32 v84, 24, v85 :: v_dual_lshlrev_b32 v2, 20, v2
	v_lshl_add_u32 v82, v82, 23, 0x3c000000
	v_and_b32_e32 v84, 0x80000000, v84
	s_delay_alu instid0(VALU_DEP_1)
	v_or3_b32 v82, v2, v84, v82
.LBB336_135:                            ;   in Loop: Header=BB336_9 Depth=1
	s_or_b32 exec_lo, exec_lo, s29
.LBB336_136:                            ;   in Loop: Header=BB336_9 Depth=1
	s_delay_alu instid0(SALU_CYCLE_1)
	s_or_b32 exec_lo, exec_lo, s28
.LBB336_137:                            ;   in Loop: Header=BB336_9 Depth=1
	s_delay_alu instid0(SALU_CYCLE_1)
	s_or_b32 exec_lo, exec_lo, s27
	global_load_b32 v88, v[8:9], off offset:512
	v_dual_mov_b32 v85, 0 :: v_dual_mov_b32 v84, 0
	s_mov_b32 s27, exec_lo
	s_wait_loadcnt 0x0
	v_and_b32_e32 v2, 0xff, v88
	s_delay_alu instid0(VALU_DEP_1)
	v_cmpx_ne_u16_e32 0, v2
	s_cbranch_execz .LBB336_145
; %bb.138:                              ;   in Loop: Header=BB336_9 Depth=1
	v_bfrev_b32_e32 v84, 1
	s_mov_b32 s28, exec_lo
	v_cmpx_ne_u16_e32 0x80, v2
	s_cbranch_execz .LBB336_144
; %bb.139:                              ;   in Loop: Header=BB336_9 Depth=1
	v_and_b32_e32 v86, 0x7f, v88
	v_mov_b32_e32 v84, 0x7f800001
	s_mov_b32 s29, exec_lo
	s_delay_alu instid0(VALU_DEP_2)
	v_cmpx_ne_u32_e32 0x7f, v86
	s_cbranch_execz .LBB336_143
; %bb.140:                              ;   in Loop: Header=BB336_9 Depth=1
	v_dual_lshrrev_b32 v84, 3, v86 :: v_dual_bitop2_b32 v2, 7, v88 bitop3:0x40
	s_mov_b32 s30, exec_lo
	v_cmpx_gt_u32_e32 8, v86
; %bb.141:                              ;   in Loop: Header=BB336_9 Depth=1
	s_delay_alu instid0(VALU_DEP_2) | instskip(NEXT) | instid1(VALU_DEP_1)
	v_clz_i32_u32_e32 v84, v2
	v_min_u32_e32 v84, 32, v84
	s_delay_alu instid0(VALU_DEP_1) | instskip(NEXT) | instid1(VALU_DEP_1)
	v_subrev_nc_u32_e32 v86, 28, v84
	v_lshlrev_b64_e32 v[86:87], v86, v[2:3]
	s_delay_alu instid0(VALU_DEP_1)
	v_dual_sub_nc_u32 v84, 29, v84 :: v_dual_bitop2_b32 v2, 7, v86 bitop3:0x40
; %bb.142:                              ;   in Loop: Header=BB336_9 Depth=1
	s_or_b32 exec_lo, exec_lo, s30
	s_delay_alu instid0(VALU_DEP_1) | instskip(NEXT) | instid1(VALU_DEP_2)
	v_dual_lshlrev_b32 v86, 24, v88 :: v_dual_lshlrev_b32 v2, 20, v2
	v_lshl_add_u32 v84, v84, 23, 0x3c000000
	s_delay_alu instid0(VALU_DEP_2) | instskip(NEXT) | instid1(VALU_DEP_1)
	v_and_b32_e32 v86, 0x80000000, v86
	v_or3_b32 v84, v2, v86, v84
.LBB336_143:                            ;   in Loop: Header=BB336_9 Depth=1
	s_or_b32 exec_lo, exec_lo, s29
.LBB336_144:                            ;   in Loop: Header=BB336_9 Depth=1
	s_delay_alu instid0(SALU_CYCLE_1)
	s_or_b32 exec_lo, exec_lo, s28
.LBB336_145:                            ;   in Loop: Header=BB336_9 Depth=1
	s_delay_alu instid0(SALU_CYCLE_1) | instskip(SKIP_2) | instid1(VALU_DEP_1)
	s_or_b32 exec_lo, exec_lo, s27
	v_lshrrev_b16 v2, 8, v88
	s_mov_b32 s27, exec_lo
	v_cmpx_ne_u16_e32 0, v2
	s_cbranch_execz .LBB336_153
; %bb.146:                              ;   in Loop: Header=BB336_9 Depth=1
	v_bfrev_b32_e32 v85, 1
	s_mov_b32 s28, exec_lo
	v_cmpx_ne_u16_e32 0x80, v2
	s_cbranch_execz .LBB336_152
; %bb.147:                              ;   in Loop: Header=BB336_9 Depth=1
	v_and_b32_e32 v2, 0xffff, v2
	v_mov_b32_e32 v85, 0x7f800001
	s_mov_b32 s29, exec_lo
	s_delay_alu instid0(VALU_DEP_2) | instskip(NEXT) | instid1(VALU_DEP_1)
	v_and_b32_e32 v86, 0x7f, v2
	v_cmpx_ne_u32_e32 0x7f, v86
	s_cbranch_execz .LBB336_151
; %bb.148:                              ;   in Loop: Header=BB336_9 Depth=1
	v_and_b32_e32 v2, 7, v2
	v_lshrrev_b32_e32 v85, 3, v86
	s_mov_b32 s30, exec_lo
	v_cmpx_gt_u32_e32 8, v86
; %bb.149:                              ;   in Loop: Header=BB336_9 Depth=1
	s_delay_alu instid0(VALU_DEP_3) | instskip(NEXT) | instid1(VALU_DEP_1)
	v_clz_i32_u32_e32 v85, v2
	v_min_u32_e32 v85, 32, v85
	s_delay_alu instid0(VALU_DEP_1) | instskip(NEXT) | instid1(VALU_DEP_1)
	v_subrev_nc_u32_e32 v86, 28, v85
	v_lshlrev_b64_e32 v[86:87], v86, v[2:3]
	s_delay_alu instid0(VALU_DEP_1)
	v_dual_sub_nc_u32 v85, 29, v85 :: v_dual_bitop2_b32 v2, 7, v86 bitop3:0x40
; %bb.150:                              ;   in Loop: Header=BB336_9 Depth=1
	s_or_b32 exec_lo, exec_lo, s30
	s_delay_alu instid0(VALU_DEP_1) | instskip(NEXT) | instid1(VALU_DEP_2)
	v_dual_lshlrev_b32 v86, 16, v88 :: v_dual_lshlrev_b32 v2, 20, v2
	v_lshl_add_u32 v85, v85, 23, 0x3c000000
	s_delay_alu instid0(VALU_DEP_2) | instskip(NEXT) | instid1(VALU_DEP_1)
	v_and_b32_e32 v86, 0x80000000, v86
	v_or3_b32 v85, v2, v86, v85
.LBB336_151:                            ;   in Loop: Header=BB336_9 Depth=1
	s_or_b32 exec_lo, exec_lo, s29
.LBB336_152:                            ;   in Loop: Header=BB336_9 Depth=1
	s_delay_alu instid0(SALU_CYCLE_1)
	s_or_b32 exec_lo, exec_lo, s28
.LBB336_153:                            ;   in Loop: Header=BB336_9 Depth=1
	s_delay_alu instid0(SALU_CYCLE_1) | instskip(SKIP_3) | instid1(VALU_DEP_2)
	s_or_b32 exec_lo, exec_lo, s27
	v_dual_mov_b32 v86, 0 :: v_dual_lshrrev_b32 v89, 16, v88
	v_mov_b32_e32 v87, 0
	s_mov_b32 s27, exec_lo
	v_and_b32_e32 v2, 0xff, v89
	s_delay_alu instid0(VALU_DEP_1)
	v_cmpx_ne_u16_e32 0, v2
	s_cbranch_execz .LBB336_161
; %bb.154:                              ;   in Loop: Header=BB336_9 Depth=1
	v_bfrev_b32_e32 v87, 1
	s_mov_b32 s28, exec_lo
	v_cmpx_ne_u16_e32 0x80, v2
	s_cbranch_execz .LBB336_160
; %bb.155:                              ;   in Loop: Header=BB336_9 Depth=1
	v_bfe_u32 v90, v88, 16, 7
	v_mov_b32_e32 v87, 0x7f800001
	s_mov_b32 s29, exec_lo
	s_delay_alu instid0(VALU_DEP_2)
	v_cmpx_ne_u32_e32 0x7f, v90
	s_cbranch_execz .LBB336_159
; %bb.156:                              ;   in Loop: Header=BB336_9 Depth=1
	v_dual_lshrrev_b32 v87, 3, v90 :: v_dual_bitop2_b32 v2, 7, v89 bitop3:0x40
	s_mov_b32 s30, exec_lo
	v_cmpx_gt_u32_e32 8, v90
; %bb.157:                              ;   in Loop: Header=BB336_9 Depth=1
	s_delay_alu instid0(VALU_DEP_2) | instskip(NEXT) | instid1(VALU_DEP_1)
	v_clz_i32_u32_e32 v87, v2
	v_min_u32_e32 v87, 32, v87
	s_delay_alu instid0(VALU_DEP_1) | instskip(NEXT) | instid1(VALU_DEP_1)
	v_subrev_nc_u32_e32 v90, 28, v87
	v_lshlrev_b64_e32 v[90:91], v90, v[2:3]
	s_delay_alu instid0(VALU_DEP_1)
	v_dual_sub_nc_u32 v87, 29, v87 :: v_dual_bitop2_b32 v2, 7, v90 bitop3:0x40
; %bb.158:                              ;   in Loop: Header=BB336_9 Depth=1
	s_or_b32 exec_lo, exec_lo, s30
	s_delay_alu instid0(VALU_DEP_1) | instskip(NEXT) | instid1(VALU_DEP_2)
	v_dual_lshlrev_b32 v89, 24, v89 :: v_dual_lshlrev_b32 v2, 20, v2
	v_lshl_add_u32 v87, v87, 23, 0x3c000000
	s_delay_alu instid0(VALU_DEP_2) | instskip(NEXT) | instid1(VALU_DEP_1)
	v_and_b32_e32 v89, 0x80000000, v89
	v_or3_b32 v87, v2, v89, v87
.LBB336_159:                            ;   in Loop: Header=BB336_9 Depth=1
	s_or_b32 exec_lo, exec_lo, s29
.LBB336_160:                            ;   in Loop: Header=BB336_9 Depth=1
	s_delay_alu instid0(SALU_CYCLE_1)
	s_or_b32 exec_lo, exec_lo, s28
.LBB336_161:                            ;   in Loop: Header=BB336_9 Depth=1
	s_delay_alu instid0(SALU_CYCLE_1) | instskip(NEXT) | instid1(SALU_CYCLE_1)
	s_or_b32 exec_lo, exec_lo, s27
	s_mov_b32 s27, exec_lo
	v_cmpx_lt_u32_e32 0xffffff, v88
	s_cbranch_execz .LBB336_169
; %bb.162:                              ;   in Loop: Header=BB336_9 Depth=1
	v_lshrrev_b32_e32 v89, 24, v88
	v_bfrev_b32_e32 v86, 1
	s_mov_b32 s28, exec_lo
	s_delay_alu instid0(VALU_DEP_2)
	v_cmpx_ne_u32_e32 0x80, v89
	s_cbranch_execz .LBB336_168
; %bb.163:                              ;   in Loop: Header=BB336_9 Depth=1
	v_bfe_u32 v88, v88, 24, 7
	v_mov_b32_e32 v86, 0x7f800001
	s_mov_b32 s29, exec_lo
	s_delay_alu instid0(VALU_DEP_2)
	v_cmpx_ne_u32_e32 0x7f, v88
	s_cbranch_execz .LBB336_167
; %bb.164:                              ;   in Loop: Header=BB336_9 Depth=1
	v_dual_lshrrev_b32 v86, 3, v88 :: v_dual_bitop2_b32 v2, 7, v89 bitop3:0x40
	s_mov_b32 s30, exec_lo
	v_cmpx_gt_u32_e32 8, v88
; %bb.165:                              ;   in Loop: Header=BB336_9 Depth=1
	s_delay_alu instid0(VALU_DEP_2) | instskip(NEXT) | instid1(VALU_DEP_1)
	v_clz_i32_u32_e32 v86, v2
	v_min_u32_e32 v86, 32, v86
	s_delay_alu instid0(VALU_DEP_1) | instskip(SKIP_1) | instid1(VALU_DEP_2)
	v_subrev_nc_u32_e32 v88, 28, v86
	v_sub_nc_u32_e32 v86, 29, v86
	v_lshlrev_b64_e32 v[90:91], v88, v[2:3]
	s_delay_alu instid0(VALU_DEP_1)
	v_and_b32_e32 v2, 7, v90
; %bb.166:                              ;   in Loop: Header=BB336_9 Depth=1
	s_or_b32 exec_lo, exec_lo, s30
	s_delay_alu instid0(VALU_DEP_1) | instskip(SKIP_1) | instid1(VALU_DEP_2)
	v_dual_lshlrev_b32 v88, 24, v89 :: v_dual_lshlrev_b32 v2, 20, v2
	v_lshl_add_u32 v86, v86, 23, 0x3c000000
	v_and_b32_e32 v88, 0x80000000, v88
	s_delay_alu instid0(VALU_DEP_1)
	v_or3_b32 v86, v2, v88, v86
.LBB336_167:                            ;   in Loop: Header=BB336_9 Depth=1
	s_or_b32 exec_lo, exec_lo, s29
.LBB336_168:                            ;   in Loop: Header=BB336_9 Depth=1
	s_delay_alu instid0(SALU_CYCLE_1)
	s_or_b32 exec_lo, exec_lo, s28
.LBB336_169:                            ;   in Loop: Header=BB336_9 Depth=1
	s_delay_alu instid0(SALU_CYCLE_1)
	s_or_b32 exec_lo, exec_lo, s27
	global_load_b32 v92, v[8:9], off offset:520
	v_dual_mov_b32 v89, 0 :: v_dual_mov_b32 v88, 0
	s_mov_b32 s27, exec_lo
	s_wait_loadcnt 0x0
	v_and_b32_e32 v2, 0xff, v92
	s_delay_alu instid0(VALU_DEP_1)
	v_cmpx_ne_u16_e32 0, v2
	s_cbranch_execz .LBB336_177
; %bb.170:                              ;   in Loop: Header=BB336_9 Depth=1
	v_bfrev_b32_e32 v88, 1
	s_mov_b32 s28, exec_lo
	v_cmpx_ne_u16_e32 0x80, v2
	s_cbranch_execz .LBB336_176
; %bb.171:                              ;   in Loop: Header=BB336_9 Depth=1
	v_and_b32_e32 v90, 0x7f, v92
	v_mov_b32_e32 v88, 0x7f800001
	s_mov_b32 s29, exec_lo
	s_delay_alu instid0(VALU_DEP_2)
	v_cmpx_ne_u32_e32 0x7f, v90
	s_cbranch_execz .LBB336_175
; %bb.172:                              ;   in Loop: Header=BB336_9 Depth=1
	v_dual_lshrrev_b32 v88, 3, v90 :: v_dual_bitop2_b32 v2, 7, v92 bitop3:0x40
	s_mov_b32 s30, exec_lo
	v_cmpx_gt_u32_e32 8, v90
; %bb.173:                              ;   in Loop: Header=BB336_9 Depth=1
	s_delay_alu instid0(VALU_DEP_2) | instskip(NEXT) | instid1(VALU_DEP_1)
	v_clz_i32_u32_e32 v88, v2
	v_min_u32_e32 v88, 32, v88
	s_delay_alu instid0(VALU_DEP_1) | instskip(NEXT) | instid1(VALU_DEP_1)
	v_subrev_nc_u32_e32 v90, 28, v88
	v_lshlrev_b64_e32 v[90:91], v90, v[2:3]
	s_delay_alu instid0(VALU_DEP_1)
	v_dual_sub_nc_u32 v88, 29, v88 :: v_dual_bitop2_b32 v2, 7, v90 bitop3:0x40
; %bb.174:                              ;   in Loop: Header=BB336_9 Depth=1
	s_or_b32 exec_lo, exec_lo, s30
	s_delay_alu instid0(VALU_DEP_1) | instskip(NEXT) | instid1(VALU_DEP_2)
	v_dual_lshlrev_b32 v90, 24, v92 :: v_dual_lshlrev_b32 v2, 20, v2
	v_lshl_add_u32 v88, v88, 23, 0x3c000000
	s_delay_alu instid0(VALU_DEP_2) | instskip(NEXT) | instid1(VALU_DEP_1)
	v_and_b32_e32 v90, 0x80000000, v90
	v_or3_b32 v88, v2, v90, v88
.LBB336_175:                            ;   in Loop: Header=BB336_9 Depth=1
	s_or_b32 exec_lo, exec_lo, s29
.LBB336_176:                            ;   in Loop: Header=BB336_9 Depth=1
	s_delay_alu instid0(SALU_CYCLE_1)
	s_or_b32 exec_lo, exec_lo, s28
.LBB336_177:                            ;   in Loop: Header=BB336_9 Depth=1
	s_delay_alu instid0(SALU_CYCLE_1) | instskip(SKIP_2) | instid1(VALU_DEP_1)
	s_or_b32 exec_lo, exec_lo, s27
	v_lshrrev_b16 v2, 8, v92
	s_mov_b32 s27, exec_lo
	v_cmpx_ne_u16_e32 0, v2
	s_cbranch_execz .LBB336_185
; %bb.178:                              ;   in Loop: Header=BB336_9 Depth=1
	v_bfrev_b32_e32 v89, 1
	s_mov_b32 s28, exec_lo
	v_cmpx_ne_u16_e32 0x80, v2
	s_cbranch_execz .LBB336_184
; %bb.179:                              ;   in Loop: Header=BB336_9 Depth=1
	v_and_b32_e32 v2, 0xffff, v2
	v_mov_b32_e32 v89, 0x7f800001
	s_mov_b32 s29, exec_lo
	s_delay_alu instid0(VALU_DEP_2) | instskip(NEXT) | instid1(VALU_DEP_1)
	v_and_b32_e32 v90, 0x7f, v2
	v_cmpx_ne_u32_e32 0x7f, v90
	s_cbranch_execz .LBB336_183
; %bb.180:                              ;   in Loop: Header=BB336_9 Depth=1
	v_and_b32_e32 v2, 7, v2
	v_lshrrev_b32_e32 v89, 3, v90
	s_mov_b32 s30, exec_lo
	v_cmpx_gt_u32_e32 8, v90
; %bb.181:                              ;   in Loop: Header=BB336_9 Depth=1
	s_delay_alu instid0(VALU_DEP_3) | instskip(NEXT) | instid1(VALU_DEP_1)
	v_clz_i32_u32_e32 v89, v2
	v_min_u32_e32 v89, 32, v89
	s_delay_alu instid0(VALU_DEP_1) | instskip(NEXT) | instid1(VALU_DEP_1)
	v_subrev_nc_u32_e32 v90, 28, v89
	v_lshlrev_b64_e32 v[90:91], v90, v[2:3]
	s_delay_alu instid0(VALU_DEP_1)
	v_dual_sub_nc_u32 v89, 29, v89 :: v_dual_bitop2_b32 v2, 7, v90 bitop3:0x40
; %bb.182:                              ;   in Loop: Header=BB336_9 Depth=1
	s_or_b32 exec_lo, exec_lo, s30
	s_delay_alu instid0(VALU_DEP_1) | instskip(NEXT) | instid1(VALU_DEP_2)
	v_dual_lshlrev_b32 v90, 16, v92 :: v_dual_lshlrev_b32 v2, 20, v2
	v_lshl_add_u32 v89, v89, 23, 0x3c000000
	s_delay_alu instid0(VALU_DEP_2) | instskip(NEXT) | instid1(VALU_DEP_1)
	v_and_b32_e32 v90, 0x80000000, v90
	v_or3_b32 v89, v2, v90, v89
.LBB336_183:                            ;   in Loop: Header=BB336_9 Depth=1
	s_or_b32 exec_lo, exec_lo, s29
.LBB336_184:                            ;   in Loop: Header=BB336_9 Depth=1
	s_delay_alu instid0(SALU_CYCLE_1)
	s_or_b32 exec_lo, exec_lo, s28
.LBB336_185:                            ;   in Loop: Header=BB336_9 Depth=1
	s_delay_alu instid0(SALU_CYCLE_1) | instskip(SKIP_3) | instid1(VALU_DEP_2)
	s_or_b32 exec_lo, exec_lo, s27
	v_dual_mov_b32 v90, 0 :: v_dual_lshrrev_b32 v93, 16, v92
	v_mov_b32_e32 v91, 0
	s_mov_b32 s27, exec_lo
	v_and_b32_e32 v2, 0xff, v93
	s_delay_alu instid0(VALU_DEP_1)
	v_cmpx_ne_u16_e32 0, v2
	s_cbranch_execz .LBB336_193
; %bb.186:                              ;   in Loop: Header=BB336_9 Depth=1
	v_bfrev_b32_e32 v91, 1
	s_mov_b32 s28, exec_lo
	v_cmpx_ne_u16_e32 0x80, v2
	s_cbranch_execz .LBB336_192
; %bb.187:                              ;   in Loop: Header=BB336_9 Depth=1
	v_bfe_u32 v94, v92, 16, 7
	v_mov_b32_e32 v91, 0x7f800001
	s_mov_b32 s29, exec_lo
	s_delay_alu instid0(VALU_DEP_2)
	v_cmpx_ne_u32_e32 0x7f, v94
	s_cbranch_execz .LBB336_191
; %bb.188:                              ;   in Loop: Header=BB336_9 Depth=1
	v_dual_lshrrev_b32 v91, 3, v94 :: v_dual_bitop2_b32 v2, 7, v93 bitop3:0x40
	s_mov_b32 s30, exec_lo
	v_cmpx_gt_u32_e32 8, v94
; %bb.189:                              ;   in Loop: Header=BB336_9 Depth=1
	s_delay_alu instid0(VALU_DEP_2) | instskip(NEXT) | instid1(VALU_DEP_1)
	v_clz_i32_u32_e32 v91, v2
	v_min_u32_e32 v91, 32, v91
	s_delay_alu instid0(VALU_DEP_1) | instskip(NEXT) | instid1(VALU_DEP_1)
	v_subrev_nc_u32_e32 v94, 28, v91
	v_lshlrev_b64_e32 v[94:95], v94, v[2:3]
	s_delay_alu instid0(VALU_DEP_1)
	v_dual_sub_nc_u32 v91, 29, v91 :: v_dual_bitop2_b32 v2, 7, v94 bitop3:0x40
; %bb.190:                              ;   in Loop: Header=BB336_9 Depth=1
	s_or_b32 exec_lo, exec_lo, s30
	s_delay_alu instid0(VALU_DEP_1) | instskip(NEXT) | instid1(VALU_DEP_2)
	v_dual_lshlrev_b32 v93, 24, v93 :: v_dual_lshlrev_b32 v2, 20, v2
	v_lshl_add_u32 v91, v91, 23, 0x3c000000
	s_delay_alu instid0(VALU_DEP_2) | instskip(NEXT) | instid1(VALU_DEP_1)
	v_and_b32_e32 v93, 0x80000000, v93
	v_or3_b32 v91, v2, v93, v91
.LBB336_191:                            ;   in Loop: Header=BB336_9 Depth=1
	s_or_b32 exec_lo, exec_lo, s29
.LBB336_192:                            ;   in Loop: Header=BB336_9 Depth=1
	s_delay_alu instid0(SALU_CYCLE_1)
	s_or_b32 exec_lo, exec_lo, s28
.LBB336_193:                            ;   in Loop: Header=BB336_9 Depth=1
	s_delay_alu instid0(SALU_CYCLE_1) | instskip(NEXT) | instid1(SALU_CYCLE_1)
	s_or_b32 exec_lo, exec_lo, s27
	s_mov_b32 s27, exec_lo
	v_cmpx_lt_u32_e32 0xffffff, v92
	s_cbranch_execz .LBB336_201
; %bb.194:                              ;   in Loop: Header=BB336_9 Depth=1
	v_lshrrev_b32_e32 v93, 24, v92
	v_bfrev_b32_e32 v90, 1
	s_mov_b32 s28, exec_lo
	s_delay_alu instid0(VALU_DEP_2)
	v_cmpx_ne_u32_e32 0x80, v93
	s_cbranch_execz .LBB336_200
; %bb.195:                              ;   in Loop: Header=BB336_9 Depth=1
	v_bfe_u32 v92, v92, 24, 7
	v_mov_b32_e32 v90, 0x7f800001
	s_mov_b32 s29, exec_lo
	s_delay_alu instid0(VALU_DEP_2)
	v_cmpx_ne_u32_e32 0x7f, v92
	s_cbranch_execz .LBB336_199
; %bb.196:                              ;   in Loop: Header=BB336_9 Depth=1
	v_dual_lshrrev_b32 v90, 3, v92 :: v_dual_bitop2_b32 v2, 7, v93 bitop3:0x40
	s_mov_b32 s30, exec_lo
	v_cmpx_gt_u32_e32 8, v92
; %bb.197:                              ;   in Loop: Header=BB336_9 Depth=1
	s_delay_alu instid0(VALU_DEP_2) | instskip(NEXT) | instid1(VALU_DEP_1)
	v_clz_i32_u32_e32 v90, v2
	v_min_u32_e32 v90, 32, v90
	s_delay_alu instid0(VALU_DEP_1) | instskip(SKIP_1) | instid1(VALU_DEP_2)
	v_subrev_nc_u32_e32 v92, 28, v90
	v_sub_nc_u32_e32 v90, 29, v90
	v_lshlrev_b64_e32 v[94:95], v92, v[2:3]
	s_delay_alu instid0(VALU_DEP_1)
	v_and_b32_e32 v2, 7, v94
; %bb.198:                              ;   in Loop: Header=BB336_9 Depth=1
	s_or_b32 exec_lo, exec_lo, s30
	s_delay_alu instid0(VALU_DEP_1) | instskip(SKIP_1) | instid1(VALU_DEP_2)
	v_dual_lshlrev_b32 v92, 24, v93 :: v_dual_lshlrev_b32 v2, 20, v2
	v_lshl_add_u32 v90, v90, 23, 0x3c000000
	v_and_b32_e32 v92, 0x80000000, v92
	s_delay_alu instid0(VALU_DEP_1)
	v_or3_b32 v90, v2, v92, v90
.LBB336_199:                            ;   in Loop: Header=BB336_9 Depth=1
	s_or_b32 exec_lo, exec_lo, s29
.LBB336_200:                            ;   in Loop: Header=BB336_9 Depth=1
	s_delay_alu instid0(SALU_CYCLE_1)
	s_or_b32 exec_lo, exec_lo, s28
.LBB336_201:                            ;   in Loop: Header=BB336_9 Depth=1
	s_delay_alu instid0(SALU_CYCLE_1)
	s_or_b32 exec_lo, exec_lo, s27
	global_load_b32 v96, v[8:9], off offset:768
	v_dual_mov_b32 v93, 0 :: v_dual_mov_b32 v92, 0
	s_mov_b32 s27, exec_lo
	s_wait_loadcnt 0x0
	v_and_b32_e32 v2, 0xff, v96
	s_delay_alu instid0(VALU_DEP_1)
	v_cmpx_ne_u16_e32 0, v2
	s_cbranch_execz .LBB336_209
; %bb.202:                              ;   in Loop: Header=BB336_9 Depth=1
	v_bfrev_b32_e32 v92, 1
	s_mov_b32 s28, exec_lo
	v_cmpx_ne_u16_e32 0x80, v2
	s_cbranch_execz .LBB336_208
; %bb.203:                              ;   in Loop: Header=BB336_9 Depth=1
	v_and_b32_e32 v94, 0x7f, v96
	v_mov_b32_e32 v92, 0x7f800001
	s_mov_b32 s29, exec_lo
	s_delay_alu instid0(VALU_DEP_2)
	v_cmpx_ne_u32_e32 0x7f, v94
	s_cbranch_execz .LBB336_207
; %bb.204:                              ;   in Loop: Header=BB336_9 Depth=1
	v_dual_lshrrev_b32 v92, 3, v94 :: v_dual_bitop2_b32 v2, 7, v96 bitop3:0x40
	s_mov_b32 s30, exec_lo
	v_cmpx_gt_u32_e32 8, v94
; %bb.205:                              ;   in Loop: Header=BB336_9 Depth=1
	s_delay_alu instid0(VALU_DEP_2) | instskip(NEXT) | instid1(VALU_DEP_1)
	v_clz_i32_u32_e32 v92, v2
	v_min_u32_e32 v92, 32, v92
	s_delay_alu instid0(VALU_DEP_1) | instskip(NEXT) | instid1(VALU_DEP_1)
	v_subrev_nc_u32_e32 v94, 28, v92
	v_lshlrev_b64_e32 v[94:95], v94, v[2:3]
	s_delay_alu instid0(VALU_DEP_1)
	v_dual_sub_nc_u32 v92, 29, v92 :: v_dual_bitop2_b32 v2, 7, v94 bitop3:0x40
; %bb.206:                              ;   in Loop: Header=BB336_9 Depth=1
	s_or_b32 exec_lo, exec_lo, s30
	s_delay_alu instid0(VALU_DEP_1) | instskip(NEXT) | instid1(VALU_DEP_2)
	v_dual_lshlrev_b32 v94, 24, v96 :: v_dual_lshlrev_b32 v2, 20, v2
	v_lshl_add_u32 v92, v92, 23, 0x3c000000
	s_delay_alu instid0(VALU_DEP_2) | instskip(NEXT) | instid1(VALU_DEP_1)
	v_and_b32_e32 v94, 0x80000000, v94
	v_or3_b32 v92, v2, v94, v92
.LBB336_207:                            ;   in Loop: Header=BB336_9 Depth=1
	s_or_b32 exec_lo, exec_lo, s29
.LBB336_208:                            ;   in Loop: Header=BB336_9 Depth=1
	s_delay_alu instid0(SALU_CYCLE_1)
	s_or_b32 exec_lo, exec_lo, s28
.LBB336_209:                            ;   in Loop: Header=BB336_9 Depth=1
	s_delay_alu instid0(SALU_CYCLE_1) | instskip(SKIP_2) | instid1(VALU_DEP_1)
	s_or_b32 exec_lo, exec_lo, s27
	v_lshrrev_b16 v2, 8, v96
	s_mov_b32 s27, exec_lo
	v_cmpx_ne_u16_e32 0, v2
	s_cbranch_execz .LBB336_217
; %bb.210:                              ;   in Loop: Header=BB336_9 Depth=1
	v_bfrev_b32_e32 v93, 1
	s_mov_b32 s28, exec_lo
	v_cmpx_ne_u16_e32 0x80, v2
	s_cbranch_execz .LBB336_216
; %bb.211:                              ;   in Loop: Header=BB336_9 Depth=1
	v_and_b32_e32 v2, 0xffff, v2
	v_mov_b32_e32 v93, 0x7f800001
	s_mov_b32 s29, exec_lo
	s_delay_alu instid0(VALU_DEP_2) | instskip(NEXT) | instid1(VALU_DEP_1)
	v_and_b32_e32 v94, 0x7f, v2
	v_cmpx_ne_u32_e32 0x7f, v94
	s_cbranch_execz .LBB336_215
; %bb.212:                              ;   in Loop: Header=BB336_9 Depth=1
	v_and_b32_e32 v2, 7, v2
	v_lshrrev_b32_e32 v93, 3, v94
	s_mov_b32 s30, exec_lo
	v_cmpx_gt_u32_e32 8, v94
; %bb.213:                              ;   in Loop: Header=BB336_9 Depth=1
	s_delay_alu instid0(VALU_DEP_3) | instskip(NEXT) | instid1(VALU_DEP_1)
	v_clz_i32_u32_e32 v93, v2
	v_min_u32_e32 v93, 32, v93
	s_delay_alu instid0(VALU_DEP_1) | instskip(NEXT) | instid1(VALU_DEP_1)
	v_subrev_nc_u32_e32 v94, 28, v93
	v_lshlrev_b64_e32 v[94:95], v94, v[2:3]
	s_delay_alu instid0(VALU_DEP_1)
	v_dual_sub_nc_u32 v93, 29, v93 :: v_dual_bitop2_b32 v2, 7, v94 bitop3:0x40
; %bb.214:                              ;   in Loop: Header=BB336_9 Depth=1
	s_or_b32 exec_lo, exec_lo, s30
	s_delay_alu instid0(VALU_DEP_1) | instskip(NEXT) | instid1(VALU_DEP_2)
	v_dual_lshlrev_b32 v94, 16, v96 :: v_dual_lshlrev_b32 v2, 20, v2
	v_lshl_add_u32 v93, v93, 23, 0x3c000000
	s_delay_alu instid0(VALU_DEP_2) | instskip(NEXT) | instid1(VALU_DEP_1)
	v_and_b32_e32 v94, 0x80000000, v94
	v_or3_b32 v93, v2, v94, v93
.LBB336_215:                            ;   in Loop: Header=BB336_9 Depth=1
	s_or_b32 exec_lo, exec_lo, s29
.LBB336_216:                            ;   in Loop: Header=BB336_9 Depth=1
	s_delay_alu instid0(SALU_CYCLE_1)
	s_or_b32 exec_lo, exec_lo, s28
.LBB336_217:                            ;   in Loop: Header=BB336_9 Depth=1
	s_delay_alu instid0(SALU_CYCLE_1) | instskip(SKIP_3) | instid1(VALU_DEP_2)
	s_or_b32 exec_lo, exec_lo, s27
	v_dual_mov_b32 v94, 0 :: v_dual_lshrrev_b32 v97, 16, v96
	v_mov_b32_e32 v95, 0
	s_mov_b32 s27, exec_lo
	v_and_b32_e32 v2, 0xff, v97
	s_delay_alu instid0(VALU_DEP_1)
	v_cmpx_ne_u16_e32 0, v2
	s_cbranch_execz .LBB336_225
; %bb.218:                              ;   in Loop: Header=BB336_9 Depth=1
	v_bfrev_b32_e32 v95, 1
	s_mov_b32 s28, exec_lo
	v_cmpx_ne_u16_e32 0x80, v2
	s_cbranch_execz .LBB336_224
; %bb.219:                              ;   in Loop: Header=BB336_9 Depth=1
	v_bfe_u32 v98, v96, 16, 7
	v_mov_b32_e32 v95, 0x7f800001
	s_mov_b32 s29, exec_lo
	s_delay_alu instid0(VALU_DEP_2)
	v_cmpx_ne_u32_e32 0x7f, v98
	s_cbranch_execz .LBB336_223
; %bb.220:                              ;   in Loop: Header=BB336_9 Depth=1
	v_dual_lshrrev_b32 v95, 3, v98 :: v_dual_bitop2_b32 v2, 7, v97 bitop3:0x40
	s_mov_b32 s30, exec_lo
	v_cmpx_gt_u32_e32 8, v98
; %bb.221:                              ;   in Loop: Header=BB336_9 Depth=1
	s_delay_alu instid0(VALU_DEP_2) | instskip(NEXT) | instid1(VALU_DEP_1)
	v_clz_i32_u32_e32 v95, v2
	v_min_u32_e32 v95, 32, v95
	s_delay_alu instid0(VALU_DEP_1) | instskip(NEXT) | instid1(VALU_DEP_1)
	v_subrev_nc_u32_e32 v98, 28, v95
	v_lshlrev_b64_e32 v[98:99], v98, v[2:3]
	s_delay_alu instid0(VALU_DEP_1)
	v_dual_sub_nc_u32 v95, 29, v95 :: v_dual_bitop2_b32 v2, 7, v98 bitop3:0x40
; %bb.222:                              ;   in Loop: Header=BB336_9 Depth=1
	s_or_b32 exec_lo, exec_lo, s30
	s_delay_alu instid0(VALU_DEP_1) | instskip(NEXT) | instid1(VALU_DEP_2)
	v_dual_lshlrev_b32 v97, 24, v97 :: v_dual_lshlrev_b32 v2, 20, v2
	v_lshl_add_u32 v95, v95, 23, 0x3c000000
	s_delay_alu instid0(VALU_DEP_2) | instskip(NEXT) | instid1(VALU_DEP_1)
	v_and_b32_e32 v97, 0x80000000, v97
	v_or3_b32 v95, v2, v97, v95
.LBB336_223:                            ;   in Loop: Header=BB336_9 Depth=1
	s_or_b32 exec_lo, exec_lo, s29
.LBB336_224:                            ;   in Loop: Header=BB336_9 Depth=1
	s_delay_alu instid0(SALU_CYCLE_1)
	s_or_b32 exec_lo, exec_lo, s28
.LBB336_225:                            ;   in Loop: Header=BB336_9 Depth=1
	s_delay_alu instid0(SALU_CYCLE_1) | instskip(NEXT) | instid1(SALU_CYCLE_1)
	s_or_b32 exec_lo, exec_lo, s27
	s_mov_b32 s27, exec_lo
	v_cmpx_lt_u32_e32 0xffffff, v96
	s_cbranch_execz .LBB336_233
; %bb.226:                              ;   in Loop: Header=BB336_9 Depth=1
	v_lshrrev_b32_e32 v97, 24, v96
	v_bfrev_b32_e32 v94, 1
	s_mov_b32 s28, exec_lo
	s_delay_alu instid0(VALU_DEP_2)
	v_cmpx_ne_u32_e32 0x80, v97
	s_cbranch_execz .LBB336_232
; %bb.227:                              ;   in Loop: Header=BB336_9 Depth=1
	v_bfe_u32 v96, v96, 24, 7
	v_mov_b32_e32 v94, 0x7f800001
	s_mov_b32 s29, exec_lo
	s_delay_alu instid0(VALU_DEP_2)
	v_cmpx_ne_u32_e32 0x7f, v96
	s_cbranch_execz .LBB336_231
; %bb.228:                              ;   in Loop: Header=BB336_9 Depth=1
	v_dual_lshrrev_b32 v94, 3, v96 :: v_dual_bitop2_b32 v2, 7, v97 bitop3:0x40
	s_mov_b32 s30, exec_lo
	v_cmpx_gt_u32_e32 8, v96
; %bb.229:                              ;   in Loop: Header=BB336_9 Depth=1
	s_delay_alu instid0(VALU_DEP_2) | instskip(NEXT) | instid1(VALU_DEP_1)
	v_clz_i32_u32_e32 v94, v2
	v_min_u32_e32 v94, 32, v94
	s_delay_alu instid0(VALU_DEP_1) | instskip(SKIP_1) | instid1(VALU_DEP_2)
	v_subrev_nc_u32_e32 v96, 28, v94
	v_sub_nc_u32_e32 v94, 29, v94
	v_lshlrev_b64_e32 v[98:99], v96, v[2:3]
	s_delay_alu instid0(VALU_DEP_1)
	v_and_b32_e32 v2, 7, v98
; %bb.230:                              ;   in Loop: Header=BB336_9 Depth=1
	s_or_b32 exec_lo, exec_lo, s30
	s_delay_alu instid0(VALU_DEP_1) | instskip(SKIP_1) | instid1(VALU_DEP_2)
	v_dual_lshlrev_b32 v96, 24, v97 :: v_dual_lshlrev_b32 v2, 20, v2
	v_lshl_add_u32 v94, v94, 23, 0x3c000000
	v_and_b32_e32 v96, 0x80000000, v96
	s_delay_alu instid0(VALU_DEP_1)
	v_or3_b32 v94, v2, v96, v94
.LBB336_231:                            ;   in Loop: Header=BB336_9 Depth=1
	s_or_b32 exec_lo, exec_lo, s29
.LBB336_232:                            ;   in Loop: Header=BB336_9 Depth=1
	s_delay_alu instid0(SALU_CYCLE_1)
	s_or_b32 exec_lo, exec_lo, s28
.LBB336_233:                            ;   in Loop: Header=BB336_9 Depth=1
	s_delay_alu instid0(SALU_CYCLE_1)
	s_or_b32 exec_lo, exec_lo, s27
	global_load_b32 v100, v[8:9], off offset:776
	v_dual_mov_b32 v97, 0 :: v_dual_mov_b32 v96, 0
	s_mov_b32 s27, exec_lo
	s_wait_loadcnt 0x0
	v_and_b32_e32 v2, 0xff, v100
	s_delay_alu instid0(VALU_DEP_1)
	v_cmpx_ne_u16_e32 0, v2
	s_cbranch_execz .LBB336_241
; %bb.234:                              ;   in Loop: Header=BB336_9 Depth=1
	v_bfrev_b32_e32 v96, 1
	s_mov_b32 s28, exec_lo
	v_cmpx_ne_u16_e32 0x80, v2
	s_cbranch_execz .LBB336_240
; %bb.235:                              ;   in Loop: Header=BB336_9 Depth=1
	v_and_b32_e32 v98, 0x7f, v100
	v_mov_b32_e32 v96, 0x7f800001
	s_mov_b32 s29, exec_lo
	s_delay_alu instid0(VALU_DEP_2)
	v_cmpx_ne_u32_e32 0x7f, v98
	s_cbranch_execz .LBB336_239
; %bb.236:                              ;   in Loop: Header=BB336_9 Depth=1
	v_dual_lshrrev_b32 v96, 3, v98 :: v_dual_bitop2_b32 v2, 7, v100 bitop3:0x40
	s_mov_b32 s30, exec_lo
	v_cmpx_gt_u32_e32 8, v98
; %bb.237:                              ;   in Loop: Header=BB336_9 Depth=1
	s_delay_alu instid0(VALU_DEP_2) | instskip(NEXT) | instid1(VALU_DEP_1)
	v_clz_i32_u32_e32 v96, v2
	v_min_u32_e32 v96, 32, v96
	s_delay_alu instid0(VALU_DEP_1) | instskip(NEXT) | instid1(VALU_DEP_1)
	v_subrev_nc_u32_e32 v98, 28, v96
	v_lshlrev_b64_e32 v[98:99], v98, v[2:3]
	s_delay_alu instid0(VALU_DEP_1)
	v_dual_sub_nc_u32 v96, 29, v96 :: v_dual_bitop2_b32 v2, 7, v98 bitop3:0x40
; %bb.238:                              ;   in Loop: Header=BB336_9 Depth=1
	s_or_b32 exec_lo, exec_lo, s30
	s_delay_alu instid0(VALU_DEP_1) | instskip(NEXT) | instid1(VALU_DEP_2)
	v_dual_lshlrev_b32 v98, 24, v100 :: v_dual_lshlrev_b32 v2, 20, v2
	v_lshl_add_u32 v96, v96, 23, 0x3c000000
	s_delay_alu instid0(VALU_DEP_2) | instskip(NEXT) | instid1(VALU_DEP_1)
	v_and_b32_e32 v98, 0x80000000, v98
	v_or3_b32 v96, v2, v98, v96
.LBB336_239:                            ;   in Loop: Header=BB336_9 Depth=1
	s_or_b32 exec_lo, exec_lo, s29
.LBB336_240:                            ;   in Loop: Header=BB336_9 Depth=1
	s_delay_alu instid0(SALU_CYCLE_1)
	s_or_b32 exec_lo, exec_lo, s28
.LBB336_241:                            ;   in Loop: Header=BB336_9 Depth=1
	s_delay_alu instid0(SALU_CYCLE_1) | instskip(SKIP_2) | instid1(VALU_DEP_1)
	s_or_b32 exec_lo, exec_lo, s27
	v_lshrrev_b16 v2, 8, v100
	s_mov_b32 s27, exec_lo
	v_cmpx_ne_u16_e32 0, v2
	s_cbranch_execz .LBB336_249
; %bb.242:                              ;   in Loop: Header=BB336_9 Depth=1
	v_bfrev_b32_e32 v97, 1
	s_mov_b32 s28, exec_lo
	v_cmpx_ne_u16_e32 0x80, v2
	s_cbranch_execz .LBB336_248
; %bb.243:                              ;   in Loop: Header=BB336_9 Depth=1
	v_and_b32_e32 v2, 0xffff, v2
	v_mov_b32_e32 v97, 0x7f800001
	s_mov_b32 s29, exec_lo
	s_delay_alu instid0(VALU_DEP_2) | instskip(NEXT) | instid1(VALU_DEP_1)
	v_and_b32_e32 v98, 0x7f, v2
	v_cmpx_ne_u32_e32 0x7f, v98
	s_cbranch_execz .LBB336_247
; %bb.244:                              ;   in Loop: Header=BB336_9 Depth=1
	v_and_b32_e32 v2, 7, v2
	v_lshrrev_b32_e32 v97, 3, v98
	s_mov_b32 s30, exec_lo
	v_cmpx_gt_u32_e32 8, v98
; %bb.245:                              ;   in Loop: Header=BB336_9 Depth=1
	s_delay_alu instid0(VALU_DEP_3) | instskip(NEXT) | instid1(VALU_DEP_1)
	v_clz_i32_u32_e32 v97, v2
	v_min_u32_e32 v97, 32, v97
	s_delay_alu instid0(VALU_DEP_1) | instskip(NEXT) | instid1(VALU_DEP_1)
	v_subrev_nc_u32_e32 v98, 28, v97
	v_lshlrev_b64_e32 v[98:99], v98, v[2:3]
	s_delay_alu instid0(VALU_DEP_1)
	v_dual_sub_nc_u32 v97, 29, v97 :: v_dual_bitop2_b32 v2, 7, v98 bitop3:0x40
; %bb.246:                              ;   in Loop: Header=BB336_9 Depth=1
	s_or_b32 exec_lo, exec_lo, s30
	s_delay_alu instid0(VALU_DEP_1) | instskip(NEXT) | instid1(VALU_DEP_2)
	v_dual_lshlrev_b32 v98, 16, v100 :: v_dual_lshlrev_b32 v2, 20, v2
	v_lshl_add_u32 v97, v97, 23, 0x3c000000
	s_delay_alu instid0(VALU_DEP_2) | instskip(NEXT) | instid1(VALU_DEP_1)
	v_and_b32_e32 v98, 0x80000000, v98
	v_or3_b32 v97, v2, v98, v97
.LBB336_247:                            ;   in Loop: Header=BB336_9 Depth=1
	s_or_b32 exec_lo, exec_lo, s29
.LBB336_248:                            ;   in Loop: Header=BB336_9 Depth=1
	s_delay_alu instid0(SALU_CYCLE_1)
	s_or_b32 exec_lo, exec_lo, s28
.LBB336_249:                            ;   in Loop: Header=BB336_9 Depth=1
	s_delay_alu instid0(SALU_CYCLE_1) | instskip(SKIP_3) | instid1(VALU_DEP_2)
	s_or_b32 exec_lo, exec_lo, s27
	v_dual_mov_b32 v98, 0 :: v_dual_lshrrev_b32 v101, 16, v100
	v_mov_b32_e32 v99, 0
	s_mov_b32 s27, exec_lo
	v_and_b32_e32 v2, 0xff, v101
	s_delay_alu instid0(VALU_DEP_1)
	v_cmpx_ne_u16_e32 0, v2
	s_cbranch_execz .LBB336_257
; %bb.250:                              ;   in Loop: Header=BB336_9 Depth=1
	v_bfrev_b32_e32 v99, 1
	s_mov_b32 s28, exec_lo
	v_cmpx_ne_u16_e32 0x80, v2
	s_cbranch_execz .LBB336_256
; %bb.251:                              ;   in Loop: Header=BB336_9 Depth=1
	v_bfe_u32 v102, v100, 16, 7
	v_mov_b32_e32 v99, 0x7f800001
	s_mov_b32 s29, exec_lo
	s_delay_alu instid0(VALU_DEP_2)
	v_cmpx_ne_u32_e32 0x7f, v102
	s_cbranch_execz .LBB336_255
; %bb.252:                              ;   in Loop: Header=BB336_9 Depth=1
	v_dual_lshrrev_b32 v99, 3, v102 :: v_dual_bitop2_b32 v2, 7, v101 bitop3:0x40
	s_mov_b32 s30, exec_lo
	v_cmpx_gt_u32_e32 8, v102
; %bb.253:                              ;   in Loop: Header=BB336_9 Depth=1
	s_delay_alu instid0(VALU_DEP_2) | instskip(NEXT) | instid1(VALU_DEP_1)
	v_clz_i32_u32_e32 v99, v2
	v_min_u32_e32 v99, 32, v99
	s_delay_alu instid0(VALU_DEP_1) | instskip(NEXT) | instid1(VALU_DEP_1)
	v_subrev_nc_u32_e32 v102, 28, v99
	v_lshlrev_b64_e32 v[102:103], v102, v[2:3]
	s_delay_alu instid0(VALU_DEP_1)
	v_dual_sub_nc_u32 v99, 29, v99 :: v_dual_bitop2_b32 v2, 7, v102 bitop3:0x40
; %bb.254:                              ;   in Loop: Header=BB336_9 Depth=1
	s_or_b32 exec_lo, exec_lo, s30
	s_delay_alu instid0(VALU_DEP_1) | instskip(NEXT) | instid1(VALU_DEP_2)
	v_dual_lshlrev_b32 v101, 24, v101 :: v_dual_lshlrev_b32 v2, 20, v2
	v_lshl_add_u32 v99, v99, 23, 0x3c000000
	s_delay_alu instid0(VALU_DEP_2) | instskip(NEXT) | instid1(VALU_DEP_1)
	v_and_b32_e32 v101, 0x80000000, v101
	v_or3_b32 v99, v2, v101, v99
.LBB336_255:                            ;   in Loop: Header=BB336_9 Depth=1
	s_or_b32 exec_lo, exec_lo, s29
.LBB336_256:                            ;   in Loop: Header=BB336_9 Depth=1
	s_delay_alu instid0(SALU_CYCLE_1)
	s_or_b32 exec_lo, exec_lo, s28
.LBB336_257:                            ;   in Loop: Header=BB336_9 Depth=1
	s_delay_alu instid0(SALU_CYCLE_1) | instskip(NEXT) | instid1(SALU_CYCLE_1)
	s_or_b32 exec_lo, exec_lo, s27
	s_mov_b32 s27, exec_lo
	v_cmpx_lt_u32_e32 0xffffff, v100
	s_cbranch_execz .LBB336_265
; %bb.258:                              ;   in Loop: Header=BB336_9 Depth=1
	v_lshrrev_b32_e32 v101, 24, v100
	v_bfrev_b32_e32 v98, 1
	s_mov_b32 s28, exec_lo
	s_delay_alu instid0(VALU_DEP_2)
	v_cmpx_ne_u32_e32 0x80, v101
	s_cbranch_execz .LBB336_264
; %bb.259:                              ;   in Loop: Header=BB336_9 Depth=1
	v_bfe_u32 v100, v100, 24, 7
	v_mov_b32_e32 v98, 0x7f800001
	s_mov_b32 s29, exec_lo
	s_delay_alu instid0(VALU_DEP_2)
	v_cmpx_ne_u32_e32 0x7f, v100
	s_cbranch_execz .LBB336_263
; %bb.260:                              ;   in Loop: Header=BB336_9 Depth=1
	v_dual_lshrrev_b32 v98, 3, v100 :: v_dual_bitop2_b32 v2, 7, v101 bitop3:0x40
	s_mov_b32 s30, exec_lo
	v_cmpx_gt_u32_e32 8, v100
; %bb.261:                              ;   in Loop: Header=BB336_9 Depth=1
	s_delay_alu instid0(VALU_DEP_2) | instskip(NEXT) | instid1(VALU_DEP_1)
	v_clz_i32_u32_e32 v98, v2
	v_min_u32_e32 v98, 32, v98
	s_delay_alu instid0(VALU_DEP_1) | instskip(SKIP_1) | instid1(VALU_DEP_2)
	v_subrev_nc_u32_e32 v100, 28, v98
	v_sub_nc_u32_e32 v98, 29, v98
	v_lshlrev_b64_e32 v[102:103], v100, v[2:3]
	s_delay_alu instid0(VALU_DEP_1)
	v_and_b32_e32 v2, 7, v102
; %bb.262:                              ;   in Loop: Header=BB336_9 Depth=1
	s_or_b32 exec_lo, exec_lo, s30
	s_delay_alu instid0(VALU_DEP_1) | instskip(SKIP_1) | instid1(VALU_DEP_2)
	v_dual_lshlrev_b32 v100, 24, v101 :: v_dual_lshlrev_b32 v2, 20, v2
	v_lshl_add_u32 v98, v98, 23, 0x3c000000
	v_and_b32_e32 v100, 0x80000000, v100
	s_delay_alu instid0(VALU_DEP_1)
	v_or3_b32 v98, v2, v100, v98
.LBB336_263:                            ;   in Loop: Header=BB336_9 Depth=1
	s_or_b32 exec_lo, exec_lo, s29
.LBB336_264:                            ;   in Loop: Header=BB336_9 Depth=1
	s_delay_alu instid0(SALU_CYCLE_1)
	s_or_b32 exec_lo, exec_lo, s28
.LBB336_265:                            ;   in Loop: Header=BB336_9 Depth=1
	s_delay_alu instid0(SALU_CYCLE_1)
	s_or_b32 exec_lo, exec_lo, s27
	global_load_b32 v104, v[8:9], off offset:1024
	v_dual_mov_b32 v101, 0 :: v_dual_mov_b32 v100, 0
	s_mov_b32 s27, exec_lo
	s_wait_loadcnt 0x0
	v_and_b32_e32 v2, 0xff, v104
	s_delay_alu instid0(VALU_DEP_1)
	v_cmpx_ne_u16_e32 0, v2
	s_cbranch_execz .LBB336_273
; %bb.266:                              ;   in Loop: Header=BB336_9 Depth=1
	v_bfrev_b32_e32 v100, 1
	s_mov_b32 s28, exec_lo
	v_cmpx_ne_u16_e32 0x80, v2
	s_cbranch_execz .LBB336_272
; %bb.267:                              ;   in Loop: Header=BB336_9 Depth=1
	v_and_b32_e32 v102, 0x7f, v104
	v_mov_b32_e32 v100, 0x7f800001
	s_mov_b32 s29, exec_lo
	s_delay_alu instid0(VALU_DEP_2)
	v_cmpx_ne_u32_e32 0x7f, v102
	s_cbranch_execz .LBB336_271
; %bb.268:                              ;   in Loop: Header=BB336_9 Depth=1
	v_dual_lshrrev_b32 v100, 3, v102 :: v_dual_bitop2_b32 v2, 7, v104 bitop3:0x40
	s_mov_b32 s30, exec_lo
	v_cmpx_gt_u32_e32 8, v102
; %bb.269:                              ;   in Loop: Header=BB336_9 Depth=1
	s_delay_alu instid0(VALU_DEP_2) | instskip(NEXT) | instid1(VALU_DEP_1)
	v_clz_i32_u32_e32 v100, v2
	v_min_u32_e32 v100, 32, v100
	s_delay_alu instid0(VALU_DEP_1) | instskip(NEXT) | instid1(VALU_DEP_1)
	v_subrev_nc_u32_e32 v102, 28, v100
	v_lshlrev_b64_e32 v[102:103], v102, v[2:3]
	s_delay_alu instid0(VALU_DEP_1)
	v_dual_sub_nc_u32 v100, 29, v100 :: v_dual_bitop2_b32 v2, 7, v102 bitop3:0x40
; %bb.270:                              ;   in Loop: Header=BB336_9 Depth=1
	s_or_b32 exec_lo, exec_lo, s30
	s_delay_alu instid0(VALU_DEP_1) | instskip(NEXT) | instid1(VALU_DEP_2)
	v_dual_lshlrev_b32 v102, 24, v104 :: v_dual_lshlrev_b32 v2, 20, v2
	v_lshl_add_u32 v100, v100, 23, 0x3c000000
	s_delay_alu instid0(VALU_DEP_2) | instskip(NEXT) | instid1(VALU_DEP_1)
	v_and_b32_e32 v102, 0x80000000, v102
	v_or3_b32 v100, v2, v102, v100
.LBB336_271:                            ;   in Loop: Header=BB336_9 Depth=1
	s_or_b32 exec_lo, exec_lo, s29
.LBB336_272:                            ;   in Loop: Header=BB336_9 Depth=1
	s_delay_alu instid0(SALU_CYCLE_1)
	s_or_b32 exec_lo, exec_lo, s28
.LBB336_273:                            ;   in Loop: Header=BB336_9 Depth=1
	s_delay_alu instid0(SALU_CYCLE_1) | instskip(SKIP_2) | instid1(VALU_DEP_1)
	s_or_b32 exec_lo, exec_lo, s27
	v_lshrrev_b16 v2, 8, v104
	s_mov_b32 s27, exec_lo
	v_cmpx_ne_u16_e32 0, v2
	s_cbranch_execz .LBB336_281
; %bb.274:                              ;   in Loop: Header=BB336_9 Depth=1
	v_bfrev_b32_e32 v101, 1
	s_mov_b32 s28, exec_lo
	v_cmpx_ne_u16_e32 0x80, v2
	s_cbranch_execz .LBB336_280
; %bb.275:                              ;   in Loop: Header=BB336_9 Depth=1
	v_and_b32_e32 v2, 0xffff, v2
	v_mov_b32_e32 v101, 0x7f800001
	s_mov_b32 s29, exec_lo
	s_delay_alu instid0(VALU_DEP_2) | instskip(NEXT) | instid1(VALU_DEP_1)
	v_and_b32_e32 v102, 0x7f, v2
	v_cmpx_ne_u32_e32 0x7f, v102
	s_cbranch_execz .LBB336_279
; %bb.276:                              ;   in Loop: Header=BB336_9 Depth=1
	v_and_b32_e32 v2, 7, v2
	v_lshrrev_b32_e32 v101, 3, v102
	s_mov_b32 s30, exec_lo
	v_cmpx_gt_u32_e32 8, v102
; %bb.277:                              ;   in Loop: Header=BB336_9 Depth=1
	s_delay_alu instid0(VALU_DEP_3) | instskip(NEXT) | instid1(VALU_DEP_1)
	v_clz_i32_u32_e32 v101, v2
	v_min_u32_e32 v101, 32, v101
	s_delay_alu instid0(VALU_DEP_1) | instskip(NEXT) | instid1(VALU_DEP_1)
	v_subrev_nc_u32_e32 v102, 28, v101
	v_lshlrev_b64_e32 v[102:103], v102, v[2:3]
	s_delay_alu instid0(VALU_DEP_1)
	v_dual_sub_nc_u32 v101, 29, v101 :: v_dual_bitop2_b32 v2, 7, v102 bitop3:0x40
; %bb.278:                              ;   in Loop: Header=BB336_9 Depth=1
	s_or_b32 exec_lo, exec_lo, s30
	s_delay_alu instid0(VALU_DEP_1) | instskip(NEXT) | instid1(VALU_DEP_2)
	v_dual_lshlrev_b32 v102, 16, v104 :: v_dual_lshlrev_b32 v2, 20, v2
	v_lshl_add_u32 v101, v101, 23, 0x3c000000
	s_delay_alu instid0(VALU_DEP_2) | instskip(NEXT) | instid1(VALU_DEP_1)
	v_and_b32_e32 v102, 0x80000000, v102
	v_or3_b32 v101, v2, v102, v101
.LBB336_279:                            ;   in Loop: Header=BB336_9 Depth=1
	s_or_b32 exec_lo, exec_lo, s29
.LBB336_280:                            ;   in Loop: Header=BB336_9 Depth=1
	s_delay_alu instid0(SALU_CYCLE_1)
	s_or_b32 exec_lo, exec_lo, s28
.LBB336_281:                            ;   in Loop: Header=BB336_9 Depth=1
	s_delay_alu instid0(SALU_CYCLE_1) | instskip(SKIP_3) | instid1(VALU_DEP_2)
	s_or_b32 exec_lo, exec_lo, s27
	v_dual_mov_b32 v102, 0 :: v_dual_lshrrev_b32 v105, 16, v104
	v_mov_b32_e32 v103, 0
	s_mov_b32 s27, exec_lo
	v_and_b32_e32 v2, 0xff, v105
	s_delay_alu instid0(VALU_DEP_1)
	v_cmpx_ne_u16_e32 0, v2
	s_cbranch_execz .LBB336_289
; %bb.282:                              ;   in Loop: Header=BB336_9 Depth=1
	v_bfrev_b32_e32 v103, 1
	s_mov_b32 s28, exec_lo
	v_cmpx_ne_u16_e32 0x80, v2
	s_cbranch_execz .LBB336_288
; %bb.283:                              ;   in Loop: Header=BB336_9 Depth=1
	v_bfe_u32 v106, v104, 16, 7
	v_mov_b32_e32 v103, 0x7f800001
	s_mov_b32 s29, exec_lo
	s_delay_alu instid0(VALU_DEP_2)
	v_cmpx_ne_u32_e32 0x7f, v106
	s_cbranch_execz .LBB336_287
; %bb.284:                              ;   in Loop: Header=BB336_9 Depth=1
	v_dual_lshrrev_b32 v103, 3, v106 :: v_dual_bitop2_b32 v2, 7, v105 bitop3:0x40
	s_mov_b32 s30, exec_lo
	v_cmpx_gt_u32_e32 8, v106
; %bb.285:                              ;   in Loop: Header=BB336_9 Depth=1
	s_delay_alu instid0(VALU_DEP_2) | instskip(NEXT) | instid1(VALU_DEP_1)
	v_clz_i32_u32_e32 v103, v2
	v_min_u32_e32 v103, 32, v103
	s_delay_alu instid0(VALU_DEP_1) | instskip(NEXT) | instid1(VALU_DEP_1)
	v_subrev_nc_u32_e32 v106, 28, v103
	v_lshlrev_b64_e32 v[106:107], v106, v[2:3]
	s_delay_alu instid0(VALU_DEP_1)
	v_dual_sub_nc_u32 v103, 29, v103 :: v_dual_bitop2_b32 v2, 7, v106 bitop3:0x40
; %bb.286:                              ;   in Loop: Header=BB336_9 Depth=1
	s_or_b32 exec_lo, exec_lo, s30
	s_delay_alu instid0(VALU_DEP_1) | instskip(NEXT) | instid1(VALU_DEP_2)
	v_dual_lshlrev_b32 v105, 24, v105 :: v_dual_lshlrev_b32 v2, 20, v2
	v_lshl_add_u32 v103, v103, 23, 0x3c000000
	s_delay_alu instid0(VALU_DEP_2) | instskip(NEXT) | instid1(VALU_DEP_1)
	v_and_b32_e32 v105, 0x80000000, v105
	v_or3_b32 v103, v2, v105, v103
.LBB336_287:                            ;   in Loop: Header=BB336_9 Depth=1
	s_or_b32 exec_lo, exec_lo, s29
.LBB336_288:                            ;   in Loop: Header=BB336_9 Depth=1
	s_delay_alu instid0(SALU_CYCLE_1)
	s_or_b32 exec_lo, exec_lo, s28
.LBB336_289:                            ;   in Loop: Header=BB336_9 Depth=1
	s_delay_alu instid0(SALU_CYCLE_1) | instskip(NEXT) | instid1(SALU_CYCLE_1)
	s_or_b32 exec_lo, exec_lo, s27
	s_mov_b32 s27, exec_lo
	v_cmpx_lt_u32_e32 0xffffff, v104
	s_cbranch_execz .LBB336_297
; %bb.290:                              ;   in Loop: Header=BB336_9 Depth=1
	v_lshrrev_b32_e32 v105, 24, v104
	v_bfrev_b32_e32 v102, 1
	s_mov_b32 s28, exec_lo
	s_delay_alu instid0(VALU_DEP_2)
	v_cmpx_ne_u32_e32 0x80, v105
	s_cbranch_execz .LBB336_296
; %bb.291:                              ;   in Loop: Header=BB336_9 Depth=1
	v_bfe_u32 v104, v104, 24, 7
	v_mov_b32_e32 v102, 0x7f800001
	s_mov_b32 s29, exec_lo
	s_delay_alu instid0(VALU_DEP_2)
	v_cmpx_ne_u32_e32 0x7f, v104
	s_cbranch_execz .LBB336_295
; %bb.292:                              ;   in Loop: Header=BB336_9 Depth=1
	v_dual_lshrrev_b32 v102, 3, v104 :: v_dual_bitop2_b32 v2, 7, v105 bitop3:0x40
	s_mov_b32 s30, exec_lo
	v_cmpx_gt_u32_e32 8, v104
; %bb.293:                              ;   in Loop: Header=BB336_9 Depth=1
	s_delay_alu instid0(VALU_DEP_2) | instskip(NEXT) | instid1(VALU_DEP_1)
	v_clz_i32_u32_e32 v102, v2
	v_min_u32_e32 v102, 32, v102
	s_delay_alu instid0(VALU_DEP_1) | instskip(SKIP_1) | instid1(VALU_DEP_2)
	v_subrev_nc_u32_e32 v104, 28, v102
	v_sub_nc_u32_e32 v102, 29, v102
	v_lshlrev_b64_e32 v[106:107], v104, v[2:3]
	s_delay_alu instid0(VALU_DEP_1)
	v_and_b32_e32 v2, 7, v106
; %bb.294:                              ;   in Loop: Header=BB336_9 Depth=1
	s_or_b32 exec_lo, exec_lo, s30
	s_delay_alu instid0(VALU_DEP_1) | instskip(SKIP_1) | instid1(VALU_DEP_2)
	v_dual_lshlrev_b32 v104, 24, v105 :: v_dual_lshlrev_b32 v2, 20, v2
	v_lshl_add_u32 v102, v102, 23, 0x3c000000
	v_and_b32_e32 v104, 0x80000000, v104
	s_delay_alu instid0(VALU_DEP_1)
	v_or3_b32 v102, v2, v104, v102
.LBB336_295:                            ;   in Loop: Header=BB336_9 Depth=1
	s_or_b32 exec_lo, exec_lo, s29
.LBB336_296:                            ;   in Loop: Header=BB336_9 Depth=1
	s_delay_alu instid0(SALU_CYCLE_1)
	s_or_b32 exec_lo, exec_lo, s28
.LBB336_297:                            ;   in Loop: Header=BB336_9 Depth=1
	s_delay_alu instid0(SALU_CYCLE_1)
	s_or_b32 exec_lo, exec_lo, s27
	global_load_b32 v108, v[8:9], off offset:1032
	v_dual_mov_b32 v105, 0 :: v_dual_mov_b32 v104, 0
	s_mov_b32 s27, exec_lo
	s_wait_loadcnt 0x0
	v_and_b32_e32 v2, 0xff, v108
	s_delay_alu instid0(VALU_DEP_1)
	v_cmpx_ne_u16_e32 0, v2
	s_cbranch_execz .LBB336_305
; %bb.298:                              ;   in Loop: Header=BB336_9 Depth=1
	v_bfrev_b32_e32 v104, 1
	s_mov_b32 s28, exec_lo
	v_cmpx_ne_u16_e32 0x80, v2
	s_cbranch_execz .LBB336_304
; %bb.299:                              ;   in Loop: Header=BB336_9 Depth=1
	v_and_b32_e32 v106, 0x7f, v108
	v_mov_b32_e32 v104, 0x7f800001
	s_mov_b32 s29, exec_lo
	s_delay_alu instid0(VALU_DEP_2)
	v_cmpx_ne_u32_e32 0x7f, v106
	s_cbranch_execz .LBB336_303
; %bb.300:                              ;   in Loop: Header=BB336_9 Depth=1
	v_dual_lshrrev_b32 v104, 3, v106 :: v_dual_bitop2_b32 v2, 7, v108 bitop3:0x40
	s_mov_b32 s30, exec_lo
	v_cmpx_gt_u32_e32 8, v106
; %bb.301:                              ;   in Loop: Header=BB336_9 Depth=1
	s_delay_alu instid0(VALU_DEP_2) | instskip(NEXT) | instid1(VALU_DEP_1)
	v_clz_i32_u32_e32 v104, v2
	v_min_u32_e32 v104, 32, v104
	s_delay_alu instid0(VALU_DEP_1) | instskip(NEXT) | instid1(VALU_DEP_1)
	v_subrev_nc_u32_e32 v106, 28, v104
	v_lshlrev_b64_e32 v[106:107], v106, v[2:3]
	s_delay_alu instid0(VALU_DEP_1)
	v_dual_sub_nc_u32 v104, 29, v104 :: v_dual_bitop2_b32 v2, 7, v106 bitop3:0x40
; %bb.302:                              ;   in Loop: Header=BB336_9 Depth=1
	s_or_b32 exec_lo, exec_lo, s30
	s_delay_alu instid0(VALU_DEP_1) | instskip(NEXT) | instid1(VALU_DEP_2)
	v_dual_lshlrev_b32 v106, 24, v108 :: v_dual_lshlrev_b32 v2, 20, v2
	v_lshl_add_u32 v104, v104, 23, 0x3c000000
	s_delay_alu instid0(VALU_DEP_2) | instskip(NEXT) | instid1(VALU_DEP_1)
	v_and_b32_e32 v106, 0x80000000, v106
	v_or3_b32 v104, v2, v106, v104
.LBB336_303:                            ;   in Loop: Header=BB336_9 Depth=1
	s_or_b32 exec_lo, exec_lo, s29
.LBB336_304:                            ;   in Loop: Header=BB336_9 Depth=1
	s_delay_alu instid0(SALU_CYCLE_1)
	s_or_b32 exec_lo, exec_lo, s28
.LBB336_305:                            ;   in Loop: Header=BB336_9 Depth=1
	s_delay_alu instid0(SALU_CYCLE_1) | instskip(SKIP_2) | instid1(VALU_DEP_1)
	s_or_b32 exec_lo, exec_lo, s27
	v_lshrrev_b16 v2, 8, v108
	s_mov_b32 s27, exec_lo
	v_cmpx_ne_u16_e32 0, v2
	s_cbranch_execz .LBB336_313
; %bb.306:                              ;   in Loop: Header=BB336_9 Depth=1
	v_bfrev_b32_e32 v105, 1
	s_mov_b32 s28, exec_lo
	v_cmpx_ne_u16_e32 0x80, v2
	s_cbranch_execz .LBB336_312
; %bb.307:                              ;   in Loop: Header=BB336_9 Depth=1
	v_and_b32_e32 v2, 0xffff, v2
	v_mov_b32_e32 v105, 0x7f800001
	s_mov_b32 s29, exec_lo
	s_delay_alu instid0(VALU_DEP_2) | instskip(NEXT) | instid1(VALU_DEP_1)
	v_and_b32_e32 v106, 0x7f, v2
	v_cmpx_ne_u32_e32 0x7f, v106
	s_cbranch_execz .LBB336_311
; %bb.308:                              ;   in Loop: Header=BB336_9 Depth=1
	v_and_b32_e32 v2, 7, v2
	v_lshrrev_b32_e32 v105, 3, v106
	s_mov_b32 s30, exec_lo
	v_cmpx_gt_u32_e32 8, v106
; %bb.309:                              ;   in Loop: Header=BB336_9 Depth=1
	s_delay_alu instid0(VALU_DEP_3) | instskip(NEXT) | instid1(VALU_DEP_1)
	v_clz_i32_u32_e32 v105, v2
	v_min_u32_e32 v105, 32, v105
	s_delay_alu instid0(VALU_DEP_1) | instskip(NEXT) | instid1(VALU_DEP_1)
	v_subrev_nc_u32_e32 v106, 28, v105
	v_lshlrev_b64_e32 v[106:107], v106, v[2:3]
	s_delay_alu instid0(VALU_DEP_1)
	v_dual_sub_nc_u32 v105, 29, v105 :: v_dual_bitop2_b32 v2, 7, v106 bitop3:0x40
; %bb.310:                              ;   in Loop: Header=BB336_9 Depth=1
	s_or_b32 exec_lo, exec_lo, s30
	s_delay_alu instid0(VALU_DEP_1) | instskip(NEXT) | instid1(VALU_DEP_2)
	v_dual_lshlrev_b32 v106, 16, v108 :: v_dual_lshlrev_b32 v2, 20, v2
	v_lshl_add_u32 v105, v105, 23, 0x3c000000
	s_delay_alu instid0(VALU_DEP_2) | instskip(NEXT) | instid1(VALU_DEP_1)
	v_and_b32_e32 v106, 0x80000000, v106
	v_or3_b32 v105, v2, v106, v105
.LBB336_311:                            ;   in Loop: Header=BB336_9 Depth=1
	s_or_b32 exec_lo, exec_lo, s29
.LBB336_312:                            ;   in Loop: Header=BB336_9 Depth=1
	s_delay_alu instid0(SALU_CYCLE_1)
	s_or_b32 exec_lo, exec_lo, s28
.LBB336_313:                            ;   in Loop: Header=BB336_9 Depth=1
	s_delay_alu instid0(SALU_CYCLE_1) | instskip(SKIP_3) | instid1(VALU_DEP_2)
	s_or_b32 exec_lo, exec_lo, s27
	v_dual_mov_b32 v106, 0 :: v_dual_lshrrev_b32 v109, 16, v108
	v_mov_b32_e32 v107, 0
	s_mov_b32 s27, exec_lo
	v_and_b32_e32 v2, 0xff, v109
	s_delay_alu instid0(VALU_DEP_1)
	v_cmpx_ne_u16_e32 0, v2
	s_cbranch_execz .LBB336_321
; %bb.314:                              ;   in Loop: Header=BB336_9 Depth=1
	v_bfrev_b32_e32 v107, 1
	s_mov_b32 s28, exec_lo
	v_cmpx_ne_u16_e32 0x80, v2
	s_cbranch_execz .LBB336_320
; %bb.315:                              ;   in Loop: Header=BB336_9 Depth=1
	v_bfe_u32 v110, v108, 16, 7
	v_mov_b32_e32 v107, 0x7f800001
	s_mov_b32 s29, exec_lo
	s_delay_alu instid0(VALU_DEP_2)
	v_cmpx_ne_u32_e32 0x7f, v110
	s_cbranch_execz .LBB336_319
; %bb.316:                              ;   in Loop: Header=BB336_9 Depth=1
	v_dual_lshrrev_b32 v107, 3, v110 :: v_dual_bitop2_b32 v2, 7, v109 bitop3:0x40
	s_mov_b32 s30, exec_lo
	v_cmpx_gt_u32_e32 8, v110
; %bb.317:                              ;   in Loop: Header=BB336_9 Depth=1
	s_delay_alu instid0(VALU_DEP_2) | instskip(NEXT) | instid1(VALU_DEP_1)
	v_clz_i32_u32_e32 v107, v2
	v_min_u32_e32 v107, 32, v107
	s_delay_alu instid0(VALU_DEP_1) | instskip(NEXT) | instid1(VALU_DEP_1)
	v_subrev_nc_u32_e32 v110, 28, v107
	v_lshlrev_b64_e32 v[110:111], v110, v[2:3]
	s_delay_alu instid0(VALU_DEP_1)
	v_dual_sub_nc_u32 v107, 29, v107 :: v_dual_bitop2_b32 v2, 7, v110 bitop3:0x40
; %bb.318:                              ;   in Loop: Header=BB336_9 Depth=1
	s_or_b32 exec_lo, exec_lo, s30
	s_delay_alu instid0(VALU_DEP_1) | instskip(NEXT) | instid1(VALU_DEP_2)
	v_dual_lshlrev_b32 v109, 24, v109 :: v_dual_lshlrev_b32 v2, 20, v2
	v_lshl_add_u32 v107, v107, 23, 0x3c000000
	s_delay_alu instid0(VALU_DEP_2) | instskip(NEXT) | instid1(VALU_DEP_1)
	v_and_b32_e32 v109, 0x80000000, v109
	v_or3_b32 v107, v2, v109, v107
.LBB336_319:                            ;   in Loop: Header=BB336_9 Depth=1
	s_or_b32 exec_lo, exec_lo, s29
.LBB336_320:                            ;   in Loop: Header=BB336_9 Depth=1
	s_delay_alu instid0(SALU_CYCLE_1)
	s_or_b32 exec_lo, exec_lo, s28
.LBB336_321:                            ;   in Loop: Header=BB336_9 Depth=1
	s_delay_alu instid0(SALU_CYCLE_1) | instskip(NEXT) | instid1(SALU_CYCLE_1)
	s_or_b32 exec_lo, exec_lo, s27
	s_mov_b32 s27, exec_lo
	v_cmpx_lt_u32_e32 0xffffff, v108
	s_cbranch_execz .LBB336_329
; %bb.322:                              ;   in Loop: Header=BB336_9 Depth=1
	v_lshrrev_b32_e32 v109, 24, v108
	v_bfrev_b32_e32 v106, 1
	s_mov_b32 s28, exec_lo
	s_delay_alu instid0(VALU_DEP_2)
	v_cmpx_ne_u32_e32 0x80, v109
	s_cbranch_execz .LBB336_328
; %bb.323:                              ;   in Loop: Header=BB336_9 Depth=1
	v_bfe_u32 v108, v108, 24, 7
	v_mov_b32_e32 v106, 0x7f800001
	s_mov_b32 s29, exec_lo
	s_delay_alu instid0(VALU_DEP_2)
	v_cmpx_ne_u32_e32 0x7f, v108
	s_cbranch_execz .LBB336_327
; %bb.324:                              ;   in Loop: Header=BB336_9 Depth=1
	v_dual_lshrrev_b32 v106, 3, v108 :: v_dual_bitop2_b32 v2, 7, v109 bitop3:0x40
	s_mov_b32 s30, exec_lo
	v_cmpx_gt_u32_e32 8, v108
; %bb.325:                              ;   in Loop: Header=BB336_9 Depth=1
	s_delay_alu instid0(VALU_DEP_2) | instskip(NEXT) | instid1(VALU_DEP_1)
	v_clz_i32_u32_e32 v106, v2
	v_min_u32_e32 v106, 32, v106
	s_delay_alu instid0(VALU_DEP_1) | instskip(SKIP_1) | instid1(VALU_DEP_2)
	v_subrev_nc_u32_e32 v108, 28, v106
	v_sub_nc_u32_e32 v106, 29, v106
	v_lshlrev_b64_e32 v[110:111], v108, v[2:3]
	s_delay_alu instid0(VALU_DEP_1)
	v_and_b32_e32 v2, 7, v110
; %bb.326:                              ;   in Loop: Header=BB336_9 Depth=1
	s_or_b32 exec_lo, exec_lo, s30
	s_delay_alu instid0(VALU_DEP_1) | instskip(SKIP_1) | instid1(VALU_DEP_2)
	v_dual_lshlrev_b32 v108, 24, v109 :: v_dual_lshlrev_b32 v2, 20, v2
	v_lshl_add_u32 v106, v106, 23, 0x3c000000
	v_and_b32_e32 v108, 0x80000000, v108
	s_delay_alu instid0(VALU_DEP_1)
	v_or3_b32 v106, v2, v108, v106
.LBB336_327:                            ;   in Loop: Header=BB336_9 Depth=1
	s_or_b32 exec_lo, exec_lo, s29
.LBB336_328:                            ;   in Loop: Header=BB336_9 Depth=1
	s_delay_alu instid0(SALU_CYCLE_1)
	s_or_b32 exec_lo, exec_lo, s28
.LBB336_329:                            ;   in Loop: Header=BB336_9 Depth=1
	s_delay_alu instid0(SALU_CYCLE_1)
	s_or_b32 exec_lo, exec_lo, s27
	global_load_b32 v112, v[8:9], off offset:1280
	v_dual_mov_b32 v109, 0 :: v_dual_mov_b32 v108, 0
	s_mov_b32 s27, exec_lo
	s_wait_loadcnt 0x0
	v_and_b32_e32 v2, 0xff, v112
	s_delay_alu instid0(VALU_DEP_1)
	v_cmpx_ne_u16_e32 0, v2
	s_cbranch_execz .LBB336_337
; %bb.330:                              ;   in Loop: Header=BB336_9 Depth=1
	v_bfrev_b32_e32 v108, 1
	s_mov_b32 s28, exec_lo
	v_cmpx_ne_u16_e32 0x80, v2
	s_cbranch_execz .LBB336_336
; %bb.331:                              ;   in Loop: Header=BB336_9 Depth=1
	v_and_b32_e32 v110, 0x7f, v112
	v_mov_b32_e32 v108, 0x7f800001
	s_mov_b32 s29, exec_lo
	s_delay_alu instid0(VALU_DEP_2)
	v_cmpx_ne_u32_e32 0x7f, v110
	s_cbranch_execz .LBB336_335
; %bb.332:                              ;   in Loop: Header=BB336_9 Depth=1
	v_dual_lshrrev_b32 v108, 3, v110 :: v_dual_bitop2_b32 v2, 7, v112 bitop3:0x40
	s_mov_b32 s30, exec_lo
	v_cmpx_gt_u32_e32 8, v110
; %bb.333:                              ;   in Loop: Header=BB336_9 Depth=1
	s_delay_alu instid0(VALU_DEP_2) | instskip(NEXT) | instid1(VALU_DEP_1)
	v_clz_i32_u32_e32 v108, v2
	v_min_u32_e32 v108, 32, v108
	s_delay_alu instid0(VALU_DEP_1) | instskip(NEXT) | instid1(VALU_DEP_1)
	v_subrev_nc_u32_e32 v110, 28, v108
	v_lshlrev_b64_e32 v[110:111], v110, v[2:3]
	s_delay_alu instid0(VALU_DEP_1)
	v_dual_sub_nc_u32 v108, 29, v108 :: v_dual_bitop2_b32 v2, 7, v110 bitop3:0x40
; %bb.334:                              ;   in Loop: Header=BB336_9 Depth=1
	s_or_b32 exec_lo, exec_lo, s30
	s_delay_alu instid0(VALU_DEP_1) | instskip(NEXT) | instid1(VALU_DEP_2)
	v_dual_lshlrev_b32 v110, 24, v112 :: v_dual_lshlrev_b32 v2, 20, v2
	v_lshl_add_u32 v108, v108, 23, 0x3c000000
	s_delay_alu instid0(VALU_DEP_2) | instskip(NEXT) | instid1(VALU_DEP_1)
	v_and_b32_e32 v110, 0x80000000, v110
	v_or3_b32 v108, v2, v110, v108
.LBB336_335:                            ;   in Loop: Header=BB336_9 Depth=1
	s_or_b32 exec_lo, exec_lo, s29
.LBB336_336:                            ;   in Loop: Header=BB336_9 Depth=1
	s_delay_alu instid0(SALU_CYCLE_1)
	s_or_b32 exec_lo, exec_lo, s28
.LBB336_337:                            ;   in Loop: Header=BB336_9 Depth=1
	s_delay_alu instid0(SALU_CYCLE_1) | instskip(SKIP_2) | instid1(VALU_DEP_1)
	s_or_b32 exec_lo, exec_lo, s27
	v_lshrrev_b16 v2, 8, v112
	s_mov_b32 s27, exec_lo
	v_cmpx_ne_u16_e32 0, v2
	s_cbranch_execz .LBB336_345
; %bb.338:                              ;   in Loop: Header=BB336_9 Depth=1
	v_bfrev_b32_e32 v109, 1
	s_mov_b32 s28, exec_lo
	v_cmpx_ne_u16_e32 0x80, v2
	s_cbranch_execz .LBB336_344
; %bb.339:                              ;   in Loop: Header=BB336_9 Depth=1
	v_and_b32_e32 v2, 0xffff, v2
	v_mov_b32_e32 v109, 0x7f800001
	s_mov_b32 s29, exec_lo
	s_delay_alu instid0(VALU_DEP_2) | instskip(NEXT) | instid1(VALU_DEP_1)
	v_and_b32_e32 v110, 0x7f, v2
	v_cmpx_ne_u32_e32 0x7f, v110
	s_cbranch_execz .LBB336_343
; %bb.340:                              ;   in Loop: Header=BB336_9 Depth=1
	v_and_b32_e32 v2, 7, v2
	v_lshrrev_b32_e32 v109, 3, v110
	s_mov_b32 s30, exec_lo
	v_cmpx_gt_u32_e32 8, v110
; %bb.341:                              ;   in Loop: Header=BB336_9 Depth=1
	s_delay_alu instid0(VALU_DEP_3) | instskip(NEXT) | instid1(VALU_DEP_1)
	v_clz_i32_u32_e32 v109, v2
	v_min_u32_e32 v109, 32, v109
	s_delay_alu instid0(VALU_DEP_1) | instskip(NEXT) | instid1(VALU_DEP_1)
	v_subrev_nc_u32_e32 v110, 28, v109
	v_lshlrev_b64_e32 v[110:111], v110, v[2:3]
	s_delay_alu instid0(VALU_DEP_1)
	v_dual_sub_nc_u32 v109, 29, v109 :: v_dual_bitop2_b32 v2, 7, v110 bitop3:0x40
; %bb.342:                              ;   in Loop: Header=BB336_9 Depth=1
	s_or_b32 exec_lo, exec_lo, s30
	s_delay_alu instid0(VALU_DEP_1) | instskip(NEXT) | instid1(VALU_DEP_2)
	v_dual_lshlrev_b32 v110, 16, v112 :: v_dual_lshlrev_b32 v2, 20, v2
	v_lshl_add_u32 v109, v109, 23, 0x3c000000
	s_delay_alu instid0(VALU_DEP_2) | instskip(NEXT) | instid1(VALU_DEP_1)
	v_and_b32_e32 v110, 0x80000000, v110
	v_or3_b32 v109, v2, v110, v109
.LBB336_343:                            ;   in Loop: Header=BB336_9 Depth=1
	s_or_b32 exec_lo, exec_lo, s29
.LBB336_344:                            ;   in Loop: Header=BB336_9 Depth=1
	s_delay_alu instid0(SALU_CYCLE_1)
	s_or_b32 exec_lo, exec_lo, s28
.LBB336_345:                            ;   in Loop: Header=BB336_9 Depth=1
	s_delay_alu instid0(SALU_CYCLE_1) | instskip(SKIP_3) | instid1(VALU_DEP_2)
	s_or_b32 exec_lo, exec_lo, s27
	v_dual_mov_b32 v110, 0 :: v_dual_lshrrev_b32 v113, 16, v112
	v_mov_b32_e32 v111, 0
	s_mov_b32 s27, exec_lo
	v_and_b32_e32 v2, 0xff, v113
	s_delay_alu instid0(VALU_DEP_1)
	v_cmpx_ne_u16_e32 0, v2
	s_cbranch_execz .LBB336_353
; %bb.346:                              ;   in Loop: Header=BB336_9 Depth=1
	v_bfrev_b32_e32 v111, 1
	s_mov_b32 s28, exec_lo
	v_cmpx_ne_u16_e32 0x80, v2
	s_cbranch_execz .LBB336_352
; %bb.347:                              ;   in Loop: Header=BB336_9 Depth=1
	v_bfe_u32 v114, v112, 16, 7
	v_mov_b32_e32 v111, 0x7f800001
	s_mov_b32 s29, exec_lo
	s_delay_alu instid0(VALU_DEP_2)
	v_cmpx_ne_u32_e32 0x7f, v114
	s_cbranch_execz .LBB336_351
; %bb.348:                              ;   in Loop: Header=BB336_9 Depth=1
	v_dual_lshrrev_b32 v111, 3, v114 :: v_dual_bitop2_b32 v2, 7, v113 bitop3:0x40
	s_mov_b32 s30, exec_lo
	v_cmpx_gt_u32_e32 8, v114
; %bb.349:                              ;   in Loop: Header=BB336_9 Depth=1
	s_delay_alu instid0(VALU_DEP_2) | instskip(NEXT) | instid1(VALU_DEP_1)
	v_clz_i32_u32_e32 v111, v2
	v_min_u32_e32 v111, 32, v111
	s_delay_alu instid0(VALU_DEP_1) | instskip(NEXT) | instid1(VALU_DEP_1)
	v_subrev_nc_u32_e32 v114, 28, v111
	v_lshlrev_b64_e32 v[114:115], v114, v[2:3]
	s_delay_alu instid0(VALU_DEP_1)
	v_dual_sub_nc_u32 v111, 29, v111 :: v_dual_bitop2_b32 v2, 7, v114 bitop3:0x40
; %bb.350:                              ;   in Loop: Header=BB336_9 Depth=1
	s_or_b32 exec_lo, exec_lo, s30
	s_delay_alu instid0(VALU_DEP_1) | instskip(NEXT) | instid1(VALU_DEP_2)
	v_dual_lshlrev_b32 v113, 24, v113 :: v_dual_lshlrev_b32 v2, 20, v2
	v_lshl_add_u32 v111, v111, 23, 0x3c000000
	s_delay_alu instid0(VALU_DEP_2) | instskip(NEXT) | instid1(VALU_DEP_1)
	v_and_b32_e32 v113, 0x80000000, v113
	v_or3_b32 v111, v2, v113, v111
.LBB336_351:                            ;   in Loop: Header=BB336_9 Depth=1
	s_or_b32 exec_lo, exec_lo, s29
.LBB336_352:                            ;   in Loop: Header=BB336_9 Depth=1
	s_delay_alu instid0(SALU_CYCLE_1)
	s_or_b32 exec_lo, exec_lo, s28
.LBB336_353:                            ;   in Loop: Header=BB336_9 Depth=1
	s_delay_alu instid0(SALU_CYCLE_1) | instskip(NEXT) | instid1(SALU_CYCLE_1)
	s_or_b32 exec_lo, exec_lo, s27
	s_mov_b32 s27, exec_lo
	v_cmpx_lt_u32_e32 0xffffff, v112
	s_cbranch_execz .LBB336_361
; %bb.354:                              ;   in Loop: Header=BB336_9 Depth=1
	v_lshrrev_b32_e32 v113, 24, v112
	v_bfrev_b32_e32 v110, 1
	s_mov_b32 s28, exec_lo
	s_delay_alu instid0(VALU_DEP_2)
	v_cmpx_ne_u32_e32 0x80, v113
	s_cbranch_execz .LBB336_360
; %bb.355:                              ;   in Loop: Header=BB336_9 Depth=1
	v_bfe_u32 v112, v112, 24, 7
	v_mov_b32_e32 v110, 0x7f800001
	s_mov_b32 s29, exec_lo
	s_delay_alu instid0(VALU_DEP_2)
	v_cmpx_ne_u32_e32 0x7f, v112
	s_cbranch_execz .LBB336_359
; %bb.356:                              ;   in Loop: Header=BB336_9 Depth=1
	v_dual_lshrrev_b32 v110, 3, v112 :: v_dual_bitop2_b32 v2, 7, v113 bitop3:0x40
	s_mov_b32 s30, exec_lo
	v_cmpx_gt_u32_e32 8, v112
; %bb.357:                              ;   in Loop: Header=BB336_9 Depth=1
	s_delay_alu instid0(VALU_DEP_2) | instskip(NEXT) | instid1(VALU_DEP_1)
	v_clz_i32_u32_e32 v110, v2
	v_min_u32_e32 v110, 32, v110
	s_delay_alu instid0(VALU_DEP_1) | instskip(SKIP_1) | instid1(VALU_DEP_2)
	v_subrev_nc_u32_e32 v112, 28, v110
	v_sub_nc_u32_e32 v110, 29, v110
	v_lshlrev_b64_e32 v[114:115], v112, v[2:3]
	s_delay_alu instid0(VALU_DEP_1)
	v_and_b32_e32 v2, 7, v114
; %bb.358:                              ;   in Loop: Header=BB336_9 Depth=1
	s_or_b32 exec_lo, exec_lo, s30
	s_delay_alu instid0(VALU_DEP_1) | instskip(SKIP_1) | instid1(VALU_DEP_2)
	v_dual_lshlrev_b32 v112, 24, v113 :: v_dual_lshlrev_b32 v2, 20, v2
	v_lshl_add_u32 v110, v110, 23, 0x3c000000
	v_and_b32_e32 v112, 0x80000000, v112
	s_delay_alu instid0(VALU_DEP_1)
	v_or3_b32 v110, v2, v112, v110
.LBB336_359:                            ;   in Loop: Header=BB336_9 Depth=1
	s_or_b32 exec_lo, exec_lo, s29
.LBB336_360:                            ;   in Loop: Header=BB336_9 Depth=1
	s_delay_alu instid0(SALU_CYCLE_1)
	s_or_b32 exec_lo, exec_lo, s28
.LBB336_361:                            ;   in Loop: Header=BB336_9 Depth=1
	s_delay_alu instid0(SALU_CYCLE_1)
	s_or_b32 exec_lo, exec_lo, s27
	global_load_b32 v112, v[8:9], off offset:1288
	s_wait_xcnt 0x0
	v_dual_mov_b32 v9, 0 :: v_dual_mov_b32 v8, 0
	s_mov_b32 s27, exec_lo
	s_wait_loadcnt 0x0
	v_and_b32_e32 v2, 0xff, v112
	s_delay_alu instid0(VALU_DEP_1)
	v_cmpx_ne_u16_e32 0, v2
	s_cbranch_execz .LBB336_369
; %bb.362:                              ;   in Loop: Header=BB336_9 Depth=1
	v_bfrev_b32_e32 v8, 1
	s_mov_b32 s28, exec_lo
	v_cmpx_ne_u16_e32 0x80, v2
	s_cbranch_execz .LBB336_368
; %bb.363:                              ;   in Loop: Header=BB336_9 Depth=1
	v_and_b32_e32 v113, 0x7f, v112
	v_mov_b32_e32 v8, 0x7f800001
	s_mov_b32 s29, exec_lo
	s_delay_alu instid0(VALU_DEP_2)
	v_cmpx_ne_u32_e32 0x7f, v113
	s_cbranch_execz .LBB336_367
; %bb.364:                              ;   in Loop: Header=BB336_9 Depth=1
	v_dual_lshrrev_b32 v8, 3, v113 :: v_dual_bitop2_b32 v2, 7, v112 bitop3:0x40
	s_mov_b32 s30, exec_lo
	v_cmpx_gt_u32_e32 8, v113
; %bb.365:                              ;   in Loop: Header=BB336_9 Depth=1
	s_delay_alu instid0(VALU_DEP_2) | instskip(NEXT) | instid1(VALU_DEP_1)
	v_clz_i32_u32_e32 v8, v2
	v_min_u32_e32 v8, 32, v8
	s_delay_alu instid0(VALU_DEP_1) | instskip(NEXT) | instid1(VALU_DEP_1)
	v_subrev_nc_u32_e32 v113, 28, v8
	v_lshlrev_b64_e32 v[114:115], v113, v[2:3]
	s_delay_alu instid0(VALU_DEP_1)
	v_dual_sub_nc_u32 v8, 29, v8 :: v_dual_bitop2_b32 v2, 7, v114 bitop3:0x40
; %bb.366:                              ;   in Loop: Header=BB336_9 Depth=1
	s_or_b32 exec_lo, exec_lo, s30
	s_delay_alu instid0(VALU_DEP_1) | instskip(NEXT) | instid1(VALU_DEP_2)
	v_dual_lshlrev_b32 v113, 24, v112 :: v_dual_lshlrev_b32 v2, 20, v2
	v_lshl_add_u32 v8, v8, 23, 0x3c000000
	s_delay_alu instid0(VALU_DEP_2) | instskip(NEXT) | instid1(VALU_DEP_1)
	v_and_b32_e32 v113, 0x80000000, v113
	v_or3_b32 v8, v2, v113, v8
.LBB336_367:                            ;   in Loop: Header=BB336_9 Depth=1
	s_or_b32 exec_lo, exec_lo, s29
.LBB336_368:                            ;   in Loop: Header=BB336_9 Depth=1
	s_delay_alu instid0(SALU_CYCLE_1)
	s_or_b32 exec_lo, exec_lo, s28
.LBB336_369:                            ;   in Loop: Header=BB336_9 Depth=1
	s_delay_alu instid0(SALU_CYCLE_1) | instskip(SKIP_2) | instid1(VALU_DEP_1)
	s_or_b32 exec_lo, exec_lo, s27
	v_lshrrev_b16 v2, 8, v112
	s_mov_b32 s27, exec_lo
	v_cmpx_ne_u16_e32 0, v2
	s_cbranch_execz .LBB336_377
; %bb.370:                              ;   in Loop: Header=BB336_9 Depth=1
	v_bfrev_b32_e32 v9, 1
	s_mov_b32 s28, exec_lo
	v_cmpx_ne_u16_e32 0x80, v2
	s_cbranch_execz .LBB336_376
; %bb.371:                              ;   in Loop: Header=BB336_9 Depth=1
	v_and_b32_e32 v2, 0xffff, v2
	v_mov_b32_e32 v9, 0x7f800001
	s_mov_b32 s29, exec_lo
	s_delay_alu instid0(VALU_DEP_2) | instskip(NEXT) | instid1(VALU_DEP_1)
	v_and_b32_e32 v113, 0x7f, v2
	v_cmpx_ne_u32_e32 0x7f, v113
	s_cbranch_execz .LBB336_375
; %bb.372:                              ;   in Loop: Header=BB336_9 Depth=1
	v_dual_lshrrev_b32 v9, 3, v113 :: v_dual_bitop2_b32 v2, 7, v2 bitop3:0x40
	s_mov_b32 s30, exec_lo
	v_cmpx_gt_u32_e32 8, v113
; %bb.373:                              ;   in Loop: Header=BB336_9 Depth=1
	s_delay_alu instid0(VALU_DEP_2) | instskip(NEXT) | instid1(VALU_DEP_1)
	v_clz_i32_u32_e32 v9, v2
	v_min_u32_e32 v9, 32, v9
	s_delay_alu instid0(VALU_DEP_1) | instskip(NEXT) | instid1(VALU_DEP_1)
	v_subrev_nc_u32_e32 v113, 28, v9
	v_lshlrev_b64_e32 v[114:115], v113, v[2:3]
	s_delay_alu instid0(VALU_DEP_1)
	v_dual_sub_nc_u32 v9, 29, v9 :: v_dual_bitop2_b32 v2, 7, v114 bitop3:0x40
; %bb.374:                              ;   in Loop: Header=BB336_9 Depth=1
	s_or_b32 exec_lo, exec_lo, s30
	s_delay_alu instid0(VALU_DEP_1) | instskip(NEXT) | instid1(VALU_DEP_2)
	v_dual_lshlrev_b32 v113, 16, v112 :: v_dual_lshlrev_b32 v2, 20, v2
	v_lshl_add_u32 v9, v9, 23, 0x3c000000
	s_delay_alu instid0(VALU_DEP_2) | instskip(NEXT) | instid1(VALU_DEP_1)
	v_and_b32_e32 v113, 0x80000000, v113
	v_or3_b32 v9, v2, v113, v9
.LBB336_375:                            ;   in Loop: Header=BB336_9 Depth=1
	s_or_b32 exec_lo, exec_lo, s29
.LBB336_376:                            ;   in Loop: Header=BB336_9 Depth=1
	s_delay_alu instid0(SALU_CYCLE_1)
	s_or_b32 exec_lo, exec_lo, s28
.LBB336_377:                            ;   in Loop: Header=BB336_9 Depth=1
	s_delay_alu instid0(SALU_CYCLE_1) | instskip(SKIP_3) | instid1(VALU_DEP_2)
	s_or_b32 exec_lo, exec_lo, s27
	v_dual_lshrrev_b32 v115, 16, v112 :: v_dual_mov_b32 v113, 0
	v_mov_b32_e32 v114, 0
	s_mov_b32 s27, exec_lo
	v_and_b32_e32 v2, 0xff, v115
	s_delay_alu instid0(VALU_DEP_1)
	v_cmpx_ne_u16_e32 0, v2
	s_cbranch_execz .LBB336_385
; %bb.378:                              ;   in Loop: Header=BB336_9 Depth=1
	v_bfrev_b32_e32 v114, 1
	s_mov_b32 s28, exec_lo
	v_cmpx_ne_u16_e32 0x80, v2
	s_cbranch_execz .LBB336_384
; %bb.379:                              ;   in Loop: Header=BB336_9 Depth=1
	v_bfe_u32 v116, v112, 16, 7
	v_mov_b32_e32 v114, 0x7f800001
	s_mov_b32 s29, exec_lo
	s_delay_alu instid0(VALU_DEP_2)
	v_cmpx_ne_u32_e32 0x7f, v116
	s_cbranch_execz .LBB336_383
; %bb.380:                              ;   in Loop: Header=BB336_9 Depth=1
	v_dual_lshrrev_b32 v114, 3, v116 :: v_dual_bitop2_b32 v2, 7, v115 bitop3:0x40
	s_mov_b32 s30, exec_lo
	v_cmpx_gt_u32_e32 8, v116
; %bb.381:                              ;   in Loop: Header=BB336_9 Depth=1
	s_delay_alu instid0(VALU_DEP_2) | instskip(NEXT) | instid1(VALU_DEP_1)
	v_clz_i32_u32_e32 v114, v2
	v_min_u32_e32 v114, 32, v114
	s_delay_alu instid0(VALU_DEP_1) | instskip(NEXT) | instid1(VALU_DEP_1)
	v_subrev_nc_u32_e32 v116, 28, v114
	v_lshlrev_b64_e32 v[116:117], v116, v[2:3]
	s_delay_alu instid0(VALU_DEP_1)
	v_dual_sub_nc_u32 v114, 29, v114 :: v_dual_bitop2_b32 v2, 7, v116 bitop3:0x40
; %bb.382:                              ;   in Loop: Header=BB336_9 Depth=1
	s_or_b32 exec_lo, exec_lo, s30
	s_delay_alu instid0(VALU_DEP_1) | instskip(NEXT) | instid1(VALU_DEP_2)
	v_dual_lshlrev_b32 v115, 24, v115 :: v_dual_lshlrev_b32 v2, 20, v2
	v_lshl_add_u32 v114, v114, 23, 0x3c000000
	s_delay_alu instid0(VALU_DEP_2) | instskip(NEXT) | instid1(VALU_DEP_1)
	v_and_b32_e32 v115, 0x80000000, v115
	v_or3_b32 v114, v2, v115, v114
.LBB336_383:                            ;   in Loop: Header=BB336_9 Depth=1
	s_or_b32 exec_lo, exec_lo, s29
.LBB336_384:                            ;   in Loop: Header=BB336_9 Depth=1
	s_delay_alu instid0(SALU_CYCLE_1)
	s_or_b32 exec_lo, exec_lo, s28
.LBB336_385:                            ;   in Loop: Header=BB336_9 Depth=1
	s_delay_alu instid0(SALU_CYCLE_1) | instskip(NEXT) | instid1(SALU_CYCLE_1)
	s_or_b32 exec_lo, exec_lo, s27
	s_mov_b32 s27, exec_lo
	v_cmpx_lt_u32_e32 0xffffff, v112
	s_cbranch_execz .LBB336_393
; %bb.386:                              ;   in Loop: Header=BB336_9 Depth=1
	v_lshrrev_b32_e32 v115, 24, v112
	v_bfrev_b32_e32 v113, 1
	s_mov_b32 s28, exec_lo
	s_delay_alu instid0(VALU_DEP_2)
	v_cmpx_ne_u32_e32 0x80, v115
	s_cbranch_execz .LBB336_392
; %bb.387:                              ;   in Loop: Header=BB336_9 Depth=1
	v_bfe_u32 v116, v112, 24, 7
	v_mov_b32_e32 v113, 0x7f800001
	s_mov_b32 s29, exec_lo
	s_delay_alu instid0(VALU_DEP_2)
	v_cmpx_ne_u32_e32 0x7f, v116
	s_cbranch_execz .LBB336_391
; %bb.388:                              ;   in Loop: Header=BB336_9 Depth=1
	v_dual_lshrrev_b32 v112, 3, v116 :: v_dual_bitop2_b32 v2, 7, v115 bitop3:0x40
	s_mov_b32 s30, exec_lo
	v_cmpx_gt_u32_e32 8, v116
; %bb.389:                              ;   in Loop: Header=BB336_9 Depth=1
	s_delay_alu instid0(VALU_DEP_2) | instskip(NEXT) | instid1(VALU_DEP_1)
	v_clz_i32_u32_e32 v112, v2
	v_min_u32_e32 v112, 32, v112
	s_delay_alu instid0(VALU_DEP_1) | instskip(SKIP_1) | instid1(VALU_DEP_2)
	v_subrev_nc_u32_e32 v113, 28, v112
	v_sub_nc_u32_e32 v112, 29, v112
	v_lshlrev_b64_e32 v[116:117], v113, v[2:3]
	s_delay_alu instid0(VALU_DEP_1)
	v_and_b32_e32 v2, 7, v116
; %bb.390:                              ;   in Loop: Header=BB336_9 Depth=1
	s_or_b32 exec_lo, exec_lo, s30
	s_delay_alu instid0(VALU_DEP_1) | instskip(SKIP_1) | instid1(VALU_DEP_2)
	v_dual_lshlrev_b32 v113, 24, v115 :: v_dual_lshlrev_b32 v2, 20, v2
	v_lshl_add_u32 v112, v112, 23, 0x3c000000
	v_and_b32_e32 v113, 0x80000000, v113
	s_delay_alu instid0(VALU_DEP_1)
	v_or3_b32 v113, v2, v113, v112
.LBB336_391:                            ;   in Loop: Header=BB336_9 Depth=1
	s_or_b32 exec_lo, exec_lo, s29
.LBB336_392:                            ;   in Loop: Header=BB336_9 Depth=1
	s_delay_alu instid0(SALU_CYCLE_1)
	s_or_b32 exec_lo, exec_lo, s28
.LBB336_393:                            ;   in Loop: Header=BB336_9 Depth=1
	s_delay_alu instid0(SALU_CYCLE_1)
	s_or_b32 exec_lo, exec_lo, s27
	s_wait_kmcnt 0x0
	v_fma_mixlo_bf16 v73, s5, v73, 0
	v_fma_mixlo_bf16 v72, s5, v72, 0
	;; [unrolled: 1-line block ×5, first 2 shown]
	s_delay_alu instid0(VALU_DEP_4) | instskip(SKIP_3) | instid1(VALU_DEP_4)
	v_dual_lshlrev_b32 v73, 16, v73 :: v_dual_lshlrev_b32 v72, 16, v72
	v_fma_mixlo_bf16 v68, s5, v68, 0
	v_lshlrev_b32_e32 v75, 16, v75
	v_fma_mixlo_bf16 v77, s5, v77, 0
	v_dual_mul_f32 v73, v16, v73 :: v_dual_mul_f32 v72, v17, v72
	v_lshlrev_b32_e32 v74, 16, v74
	v_fma_mixlo_bf16 v76, s5, v76, 0
	v_fma_mixlo_bf16 v71, s5, v71, 0
	v_mul_f32_e32 v75, v18, v75
	v_fma_mix_f32_bf16 v68, v12, v68, v73 op_sel_hi:[0,1,0]
	v_fma_mix_f32_bf16 v69, v13, v69, v72 op_sel_hi:[0,1,0]
	v_fma_mixlo_bf16 v81, s5, v81, 0
	v_fma_mixlo_bf16 v80, s5, v80, 0
	;; [unrolled: 1-line block ×4, first 2 shown]
	v_mul_f32_e32 v72, v19, v74
	v_fma_mix_f32_bf16 v71, v14, v71, v75 op_sel_hi:[0,1,0]
	v_fma_mix_f32_bf16 v68, v21, v76, v68 op_sel_hi:[0,1,0]
	v_fma_mix_f32_bf16 v69, v22, v77, v69 op_sel_hi:[0,1,0]
	v_fma_mixlo_bf16 v85, s5, v85, 0
	v_fma_mixlo_bf16 v84, s5, v84, 0
	v_fma_mixlo_bf16 v83, s5, v83, 0
	v_fma_mixlo_bf16 v73, s5, v78, 0
	v_fma_mix_f32_bf16 v70, v15, v70, v72 op_sel_hi:[0,1,0]
	v_fma_mix_f32_bf16 v71, v23, v79, v71 op_sel_hi:[0,1,0]
	v_fma_mix_f32_bf16 v68, v25, v80, v68 op_sel_hi:[0,1,0]
	v_fma_mix_f32_bf16 v69, v26, v81, v69 op_sel_hi:[0,1,0]
	v_fma_mixlo_bf16 v89, s5, v89, 0
	v_fma_mixlo_bf16 v88, s5, v88, 0
	v_fma_mixlo_bf16 v87, s5, v87, 0
	v_fma_mixlo_bf16 v72, s5, v82, 0
	v_fma_mix_f32_bf16 v70, v24, v73, v70 op_sel_hi:[0,1,0]
	;; [unrolled: 8-line block ×8, first 2 shown]
	v_fma_mix_f32_bf16 v71, v53, v107, v71 op_sel_hi:[0,1,0]
	v_fma_mix_f32_bf16 v68, v55, v108, v68 op_sel_hi:[0,1,0]
	v_fma_mix_f32_bf16 v69, v56, v109, v69 op_sel_hi:[0,1,0]
	v_fma_mixlo_bf16 v110, s5, v110, 0
	v_fma_mixlo_bf16 v73, s5, v114, 0
	v_fma_mix_f32_bf16 v70, v54, v72, v70 op_sel_hi:[0,1,0]
	v_fma_mix_f32_bf16 v9, v57, v9, v71 op_sel_hi:[0,1,0]
	;; [unrolled: 1-line block ×4, first 2 shown]
	v_fma_mixlo_bf16 v68, s5, v113, 0
	v_fma_mix_f32_bf16 v69, v58, v110, v70 op_sel_hi:[0,1,0]
	v_fma_mix_f32_bf16 v9, v61, v73, v9 op_sel_hi:[0,1,0]
	s_delay_alu instid0(VALU_DEP_4) | instskip(NEXT) | instid1(VALU_DEP_3)
	v_add_f32_e32 v2, v8, v2
	v_fma_mix_f32_bf16 v8, v62, v68, v69 op_sel_hi:[0,1,0]
	s_delay_alu instid0(VALU_DEP_2) | instskip(NEXT) | instid1(VALU_DEP_1)
	v_add_f32_e32 v2, v2, v9
	v_add_f32_e32 v2, v2, v8
	ds_bpermute_b32 v8, v64, v2
	s_and_saveexec_b32 s27, vcc_lo
	s_cbranch_execz .LBB336_8
; %bb.394:                              ;   in Loop: Header=BB336_9 Depth=1
	s_wait_dscnt 0x0
	v_dual_add_f32 v2, v2, v8 :: v_dual_add_nc_u32 v9, s26, v65
	v_cmp_gt_i32_e64 s4, s23, v65
	s_delay_alu instid0(VALU_DEP_2) | instskip(NEXT) | instid1(VALU_DEP_1)
	v_cvt_f32_i32_e32 v9, v9
	v_mul_f32_e32 v9, s18, v9
	s_delay_alu instid0(VALU_DEP_1) | instskip(NEXT) | instid1(VALU_DEP_1)
	v_dual_cndmask_b32 v8, 0, v9, s3 :: v_dual_max_num_f32 v9, v63, v63
	v_fmac_f32_e32 v8, s19, v2
	s_delay_alu instid0(VALU_DEP_1) | instskip(NEXT) | instid1(VALU_DEP_1)
	v_dual_max_num_f32 v2, v9, v8 :: v_dual_cndmask_b32 v8, 0, v8, s4
	v_cndmask_b32_e64 v63, v63, v2, s4
	ds_store_b32 v66, v8
	s_branch .LBB336_8
.LBB336_395:
	s_or_b32 exec_lo, exec_lo, s11
.LBB336_396:
	s_delay_alu instid0(SALU_CYCLE_1)
	s_or_b32 exec_lo, exec_lo, s24
	v_dual_max_num_f32 v6, v63, v63 :: v_dual_bitop2_b32 v2, 16, v10 bitop3:0x14
	v_xor_b32_e32 v7, 4, v10
	v_xor_b32_e32 v5, 8, v10
	s_wait_kmcnt 0x0
	s_clause 0x1
	s_load_b64 s[4:5], s[0:1], 0x0
	s_load_b64 s[18:19], s[0:1], 0x18
	v_cmp_lt_i32_e32 vcc_lo, v2, v11
	v_dual_cndmask_b32 v2, v10, v2, vcc_lo :: v_dual_bitop2_b32 v30, 31, v0 bitop3:0x40
	v_cmp_lt_i32_e32 vcc_lo, v5, v11
	s_delay_alu instid0(VALU_DEP_2) | instskip(SKIP_3) | instid1(VALU_DEP_1)
	v_dual_cndmask_b32 v5, v10, v5 :: v_dual_lshlrev_b32 v4, 2, v2
	ds_bpermute_b32 v2, v4, v63
	s_wait_dscnt 0x0
	v_dual_max_num_f32 v2, v2, v2 :: v_dual_lshlrev_b32 v5, 2, v5
	v_max_num_f32_e32 v2, v6, v2
	ds_bpermute_b32 v6, v5, v2
	s_wait_dscnt 0x0
	v_max_num_f32_e32 v8, v6, v6
	s_delay_alu instid0(VALU_DEP_1) | instskip(SKIP_2) | instid1(VALU_DEP_1)
	v_max_num_f32_e32 v2, v2, v8
	v_cmp_lt_i32_e32 vcc_lo, v7, v11
	v_cndmask_b32_e32 v7, v10, v7, vcc_lo
	v_lshlrev_b32_e32 v6, 2, v7
	ds_bpermute_b32 v7, v6, v2
	s_wait_dscnt 0x0
	v_dual_max_num_f32 v7, v7, v7 :: v_dual_bitop2_b32 v8, 2, v10 bitop3:0x14
	s_delay_alu instid0(VALU_DEP_1) | instskip(SKIP_1) | instid1(VALU_DEP_3)
	v_cmp_lt_i32_e32 vcc_lo, v8, v11
	v_cndmask_b32_e32 v9, v10, v8, vcc_lo
	v_dual_max_num_f32 v8, v2, v7 :: v_dual_lshlrev_b32 v7, 2, v29
	v_cmp_eq_u32_e32 vcc_lo, 0, v30
	s_delay_alu instid0(VALU_DEP_3)
	v_lshlrev_b32_e32 v2, 2, v9
	ds_bpermute_b32 v9, v2, v8
	s_wait_xcnt 0x0
	s_and_saveexec_b32 s0, vcc_lo
	s_cbranch_execz .LBB336_398
; %bb.397:
	s_wait_dscnt 0x0
	v_dual_max_num_f32 v9, v9, v9 :: v_dual_max_num_f32 v8, v8, v8
	s_delay_alu instid0(VALU_DEP_1)
	v_max_num_f32_e32 v8, v8, v9
	ds_store_b32 v7, v8 offset:192
.LBB336_398:
	s_or_b32 exec_lo, exec_lo, s0
	v_cmp_gt_u32_e64 s0, 4, v30
	s_wait_dscnt 0x0
	v_dual_mov_b32 v9, 0xff7fffff :: v_dual_lshlrev_b32 v8, 2, v30
	s_barrier_signal -1
	s_barrier_wait -1
	s_and_saveexec_b32 s1, s0
; %bb.399:
	ds_load_b32 v9, v8 offset:192
; %bb.400:
	s_or_b32 exec_lo, exec_lo, s1
	s_wait_dscnt 0x0
	ds_bpermute_b32 v12, v2, v9
	v_dual_max_num_f32 v9, v9, v9 :: v_dual_bitop2_b32 v13, 1, v10 bitop3:0x14
	v_lshlrev_b32_e32 v3, 2, v3
	s_delay_alu instid0(VALU_DEP_2) | instskip(NEXT) | instid1(VALU_DEP_1)
	v_cmp_lt_i32_e64 s1, v13, v11
	v_cndmask_b32_e64 v11, v10, v13, s1
	s_lshl_b32 s1, s13, 4
	s_delay_alu instid0(SALU_CYCLE_1) | instskip(NEXT) | instid1(SALU_CYCLE_1)
	s_min_i32 s11, s1, s23
	v_cmp_gt_i32_e64 s1, s11, v0
	s_wait_dscnt 0x0
	v_dual_max_num_f32 v12, v12, v12 :: v_dual_lshlrev_b32 v31, 2, v11
	s_delay_alu instid0(VALU_DEP_1) | instskip(SKIP_3) | instid1(VALU_DEP_1)
	v_max_num_f32_e32 v9, v9, v12
	ds_bpermute_b32 v11, v31, v9
	s_wait_dscnt 0x0
	v_max_num_f32_e32 v11, v11, v11
	v_max_num_f32_e32 v9, v9, v11
	ds_bpermute_b32 v9, v3, v9
	v_mov_b32_e32 v3, 0
	s_and_saveexec_b32 s24, s1
	s_cbranch_execz .LBB336_404
; %bb.401:
	v_lshl_add_u32 v11, v0, 2, 0xe0
	v_dual_mov_b32 v3, 0 :: v_dual_mov_b32 v12, v0
	s_mov_b32 s25, 0
.LBB336_402:                            ; =>This Inner Loop Header: Depth=1
	ds_load_b32 v13, v11
	v_add_nc_u32_e32 v12, 0x80, v12
	s_delay_alu instid0(VALU_DEP_1) | instskip(SKIP_3) | instid1(VALU_DEP_1)
	v_cmp_le_i32_e64 s3, s11, v12
	s_or_b32 s25, s3, s25
	s_wait_dscnt 0x0
	v_sub_f32_e32 v13, v13, v9
	v_mul_f32_e32 v13, 0x3fb8aa3b, v13
	s_delay_alu instid0(VALU_DEP_1)
	v_exp_f32_e32 v13, v13
	ds_store_b32 v11, v13
	v_nop
	v_add_f32_e32 v3, v3, v13
	v_add_nc_u32_e32 v11, 0x200, v11
	s_and_not1_b32 exec_lo, exec_lo, s25
	s_cbranch_execnz .LBB336_402
; %bb.403:
	s_or_b32 exec_lo, exec_lo, s25
.LBB336_404:
	s_delay_alu instid0(SALU_CYCLE_1)
	s_or_b32 exec_lo, exec_lo, s24
	ds_bpermute_b32 v4, v4, v3
	s_wait_dscnt 0x0
	v_add_f32_e32 v3, v3, v4
	ds_bpermute_b32 v4, v5, v3
	s_wait_dscnt 0x0
	v_add_f32_e32 v3, v3, v4
	;; [unrolled: 3-line block ×5, first 2 shown]
	s_and_saveexec_b32 s3, vcc_lo
; %bb.405:
	ds_store_b32 v7, v3 offset:208
; %bb.406:
	s_or_b32 exec_lo, exec_lo, s3
	s_wait_dscnt 0x0
	s_barrier_signal -1
	s_barrier_wait -1
	s_and_saveexec_b32 s3, s0
; %bb.407:
	ds_load_b32 v3, v8 offset:208
; %bb.408:
	s_or_b32 exec_lo, exec_lo, s3
	s_wait_dscnt 0x0
	ds_bpermute_b32 v2, v2, v3
	s_wait_dscnt 0x0
	v_add_f32_e32 v2, v3, v2
	ds_bpermute_b32 v3, v31, v2
	s_wait_dscnt 0x0
	v_dual_lshlrev_b32 v4, 2, v10 :: v_dual_add_f32 v2, v2, v3
	s_delay_alu instid0(VALU_DEP_1)
	v_and_b32_e32 v3, 0xffffff80, v4
	ds_bpermute_b32 v2, v3, v2
	s_and_saveexec_b32 s0, s1
	s_cbranch_execz .LBB336_421
; %bb.409:
	s_wait_dscnt 0x0
	v_add_f32_e32 v2, 0x358637bd, v2
	s_mov_b32 s3, -1
	s_mov_b32 s1, exec_lo
	s_delay_alu instid0(VALU_DEP_1) | instskip(NEXT) | instid1(VALU_DEP_1)
	v_div_scale_f32 v3, null, v2, v2, 1.0
	v_rcp_f32_e32 v5, v3
	v_nop
	s_delay_alu instid0(TRANS32_DEP_1) | instskip(NEXT) | instid1(VALU_DEP_1)
	v_fma_f32 v4, -v3, v5, 1.0
	v_fmac_f32_e32 v5, v4, v5
	v_div_scale_f32 v6, vcc_lo, 1.0, v2, 1.0
	s_delay_alu instid0(VALU_DEP_1) | instskip(NEXT) | instid1(VALU_DEP_1)
	v_mul_f32_e32 v7, v6, v5
	v_fma_f32 v4, -v3, v7, v6
	s_delay_alu instid0(VALU_DEP_1) | instskip(SKIP_1) | instid1(VALU_DEP_2)
	v_fmac_f32_e32 v7, v4, v5
	v_xad_u32 v4, v0, -1, s11
	v_fma_f32 v3, -v3, v7, v6
	s_delay_alu instid0(VALU_DEP_1) | instskip(NEXT) | instid1(VALU_DEP_1)
	v_div_fmas_f32 v3, v3, v5, v7
	v_div_fixup_f32 v2, v3, v2, 1.0
	v_mov_b32_e32 v3, v0
	v_cmpx_lt_u32_e32 0x7f, v4
	s_cbranch_execz .LBB336_418
; %bb.410:
	s_delay_alu instid0(VALU_DEP_3) | instskip(NEXT) | instid1(VALU_DEP_1)
	v_dual_mov_b32 v3, v2 :: v_dual_lshrrev_b32 v4, 7, v4
	v_dual_mov_b32 v8, 0 :: v_dual_add_nc_u32 v5, -1, v4
	s_delay_alu instid0(VALU_DEP_1) | instskip(SKIP_1) | instid1(VALU_DEP_2)
	v_lshrrev_b32_e32 v6, 1, v5
	v_cmp_lt_u32_e32 vcc_lo, 13, v5
	v_add_nc_u32_e32 v5, 1, v6
	s_and_saveexec_b32 s3, vcc_lo
	s_cbranch_execz .LBB336_414
; %bb.411:
	s_delay_alu instid0(VALU_DEP_1)
	v_and_b32_e32 v6, -8, v5
	v_lshl_add_u32 v7, v0, 2, 0xe0
	s_mov_b32 s24, 0
	s_mov_b32 s25, 0
.LBB336_412:                            ; =>This Inner Loop Header: Depth=1
	ds_load_2addr_stride64_b32 v[8:9], v7 offset1:2
	ds_load_2addr_stride64_b32 v[10:11], v7 offset0:4 offset1:6
	ds_load_2addr_stride64_b32 v[12:13], v7 offset0:8 offset1:10
	;; [unrolled: 1-line block ×7, first 2 shown]
	s_add_co_i32 s25, s25, 16
	v_add_nc_u32_e32 v6, -8, v6
	s_wait_dscnt 0x7
	v_pk_mul_f32 v[8:9], v[2:3], v[8:9]
	s_wait_dscnt 0x6
	v_pk_mul_f32 v[10:11], v[2:3], v[10:11]
	;; [unrolled: 2-line block ×8, first 2 shown]
	ds_store_2addr_stride64_b32 v7, v8, v9 offset1:2
	ds_store_2addr_stride64_b32 v7, v10, v11 offset0:4 offset1:6
	ds_store_2addr_stride64_b32 v7, v12, v13 offset0:8 offset1:10
	;; [unrolled: 1-line block ×7, first 2 shown]
	v_mov_b32_e32 v8, s25
	v_cmp_eq_u32_e32 vcc_lo, 0, v6
	v_add_nc_u32_e32 v7, 0x2000, v7
	s_or_b32 s24, vcc_lo, s24
	s_delay_alu instid0(SALU_CYCLE_1)
	s_and_not1_b32 exec_lo, exec_lo, s24
	s_cbranch_execnz .LBB336_412
; %bb.413:
	s_or_b32 exec_lo, exec_lo, s24
.LBB336_414:
	s_delay_alu instid0(SALU_CYCLE_1) | instskip(NEXT) | instid1(VALU_DEP_1)
	s_or_b32 exec_lo, exec_lo, s3
	v_and_b32_e32 v5, 7, v5
	s_mov_b32 s24, 0
	s_mov_b32 s3, exec_lo
	s_delay_alu instid0(VALU_DEP_1)
	v_cmpx_ne_u32_e32 0, v5
	s_cbranch_execz .LBB336_417
; %bb.415:
	v_lshlrev_b32_e32 v6, 9, v8
	v_lshlrev_b32_e32 v7, 2, v0
	s_delay_alu instid0(VALU_DEP_1)
	v_add3_u32 v6, v6, v7, 0xe0
.LBB336_416:                            ; =>This Inner Loop Header: Depth=1
	ds_load_2addr_stride64_b32 v[8:9], v6 offset1:2
	v_add_nc_u32_e32 v5, -1, v5
	s_delay_alu instid0(VALU_DEP_1)
	v_cmp_eq_u32_e32 vcc_lo, 0, v5
	s_or_b32 s24, vcc_lo, s24
	s_wait_dscnt 0x0
	v_pk_mul_f32 v[8:9], v[2:3], v[8:9]
	ds_store_2addr_stride64_b32 v6, v8, v9 offset1:2
	v_add_nc_u32_e32 v6, 0x400, v6
	s_and_not1_b32 exec_lo, exec_lo, s24
	s_cbranch_execnz .LBB336_416
.LBB336_417:
	s_or_b32 exec_lo, exec_lo, s3
	v_add_nc_u32_e32 v3, 1, v4
	s_delay_alu instid0(VALU_DEP_1) | instskip(NEXT) | instid1(VALU_DEP_1)
	v_and_b32_e32 v4, 0x3fffffe, v3
	v_cmp_ne_u32_e32 vcc_lo, v3, v4
	v_lshl_add_u32 v3, v4, 7, v0
	s_or_not1_b32 s3, vcc_lo, exec_lo
.LBB336_418:
	s_or_b32 exec_lo, exec_lo, s1
	s_delay_alu instid0(SALU_CYCLE_1)
	s_and_b32 exec_lo, exec_lo, s3
	s_cbranch_execz .LBB336_421
; %bb.419:
	v_lshl_add_u32 v4, v3, 2, 0xe0
	s_mov_b32 s1, 0
.LBB336_420:                            ; =>This Inner Loop Header: Depth=1
	ds_load_b32 v5, v4
	v_add_nc_u32_e32 v3, 0x80, v3
	s_delay_alu instid0(VALU_DEP_1)
	v_cmp_le_i32_e32 vcc_lo, s11, v3
	s_or_b32 s1, vcc_lo, s1
	s_wait_dscnt 0x0
	v_mul_f32_e32 v5, v2, v5
	ds_store_b32 v4, v5
	v_add_nc_u32_e32 v4, 0x200, v4
	s_and_not1_b32 exec_lo, exec_lo, s1
	s_cbranch_execnz .LBB336_420
.LBB336_421:
	s_or_b32 exec_lo, exec_lo, s0
	v_mov_b32_e32 v11, 0
	s_wait_dscnt 0x0
	s_barrier_signal -1
	s_barrier_wait -1
	s_delay_alu instid0(VALU_DEP_1)
	v_dual_mov_b32 v10, v11 :: v_dual_mov_b32 v13, v11
	v_dual_mov_b32 v12, v11 :: v_dual_mov_b32 v15, v11
	v_mov_b32_e32 v14, v11
	s_and_saveexec_b32 s1, s2
	s_cbranch_execz .LBB336_797
; %bb.422:
	v_dual_mov_b32 v17, 0 :: v_dual_lshlrev_b32 v2, 3, v0
	s_load_b32 s6, s[6:7], 0x0
	s_ashr_i32 s11, s10, 31
	v_dual_lshlrev_b32 v3, 5, v28 :: v_dual_lshlrev_b32 v4, 4, v29
	s_delay_alu instid0(VALU_DEP_2)
	v_and_b32_e32 v16, 0xf8, v2
	s_wait_kmcnt 0x0
	s_add_nc_u64 s[2:3], s[18:19], s[10:11]
	v_dual_mov_b32 v11, 0 :: v_dual_bitop2_b32 v2, 8, v2 bitop3:0x40
	v_lshl_or_b32 v3, v29, 6, v3
	v_add_nc_u64_e32 v[18:19], s[2:3], v[16:17]
	v_and_b32_e32 v16, 0x7c, v20
	s_lshl_b64 s[2:3], s[14:15], 2
	v_or3_b32 v32, v4, v2, 7
	s_add_nc_u64 s[2:3], s[16:17], s[2:3]
	v_dual_mov_b32 v10, 0 :: v_dual_add_nc_u32 v33, 0xe0, v3
	v_add_nc_u64_e32 v[20:21], s[2:3], v[16:17]
	v_dual_mov_b32 v13, 0 :: v_dual_mov_b32 v12, 0
	v_dual_mov_b32 v15, 0 :: v_dual_mov_b32 v14, 0
	v_mov_b32_e32 v34, v29
	s_mov_b64 s[2:3], 0xffffffffffffff
	s_mov_b32 s7, s9
	s_add_co_i32 s10, s13, -1
	s_mov_b32 s9, 0
	s_branch .LBB336_424
.LBB336_423:                            ;   in Loop: Header=BB336_424 Depth=1
	s_or_b32 exec_lo, exec_lo, s0
	s_wait_dscnt 0x1
	v_cvt_pk_bf16_f32 v6, v6, v7
	v_perm_b32 v7, v78, v79, 0x5040100
	v_cvt_pk_bf16_f32 v8, v8, v9
	v_perm_b32 v9, v76, v77, 0x5040100
	s_wait_dscnt 0x0
	v_cvt_pk_bf16_f32 v2, v2, v3
	v_perm_b32 v3, v74, v75, 0x5040100
	v_pk_mul_bf16 v7, v6, v7
	v_cvt_pk_bf16_f32 v4, v4, v5
	v_pk_mul_bf16 v9, v8, v9
	v_perm_b32 v5, v27, v26, 0x5040100
	v_pk_mul_bf16 v3, v2, v3
	v_lshlrev_b32_e32 v43, 16, v7
	v_and_b32_e32 v7, 0xffff0000, v7
	v_lshlrev_b32_e32 v44, 16, v9
	v_and_b32_e32 v9, 0xffff0000, v9
	v_perm_b32 v27, v72, v73, 0x5040100
	v_pk_mul_bf16 v5, v4, v5
	v_add_f32_e32 v7, v43, v7
	v_perm_b32 v43, v70, v71, 0x5040100
	v_add_f32_e32 v9, v44, v9
	v_add_nc_u64_e32 v[20:21], 16, v[20:21]
	v_add_nc_u32_e32 v33, 0x100, v33
	v_dual_add_nc_u32 v34, 4, v34 :: v_dual_add_nc_u32 v32, 64, v32
	s_delay_alu instid0(VALU_DEP_4)
	v_add_f32_e32 v7, v9, v7
	v_pk_mul_bf16 v9, v6, v27
	v_lshlrev_b32_e32 v26, 16, v3
	v_and_b32_e32 v3, 0xffff0000, v3
	v_pk_mul_bf16 v27, v8, v43
	v_perm_b32 v43, v68, v69, 0x5040100
	v_lshlrev_b32_e32 v44, 16, v9
	v_and_b32_e32 v9, 0xffff0000, v9
	v_dual_add_f32 v3, v26, v3 :: v_dual_lshlrev_b32 v26, 16, v5
	v_and_b32_e32 v5, 0xffff0000, v5
	v_lshlrev_b32_e32 v45, 16, v27
	v_and_b32_e32 v27, 0xffff0000, v27
	v_pk_mul_bf16 v43, v2, v43
	v_cmp_le_i32_e32 vcc_lo, s13, v34
	v_dual_add_f32 v5, v26, v5 :: v_dual_add_f32 v3, v3, v7
	s_delay_alu instid0(VALU_DEP_3) | instskip(SKIP_4) | instid1(VALU_DEP_2)
	v_dual_add_f32 v7, v44, v9 :: v_dual_lshlrev_b32 v26, 16, v43
	v_add_f32_e32 v9, v45, v27
	v_and_b32_e32 v27, 0xffff0000, v43
	v_perm_b32 v45, v59, v58, 0x5040100
	s_or_b32 s9, vcc_lo, s9
	v_add_f32_e32 v26, v26, v27
	v_add_f32_e32 v7, v9, v7
	;; [unrolled: 1-line block ×3, first 2 shown]
	v_perm_b32 v5, v67, v66, 0x5040100
	v_perm_b32 v9, v64, v65, 0x5040100
	;; [unrolled: 1-line block ×3, first 2 shown]
	v_add_f32_e32 v7, v26, v7
	s_delay_alu instid0(VALU_DEP_4) | instskip(NEXT) | instid1(VALU_DEP_1)
	v_pk_mul_bf16 v5, v4, v5
	v_dual_lshlrev_b32 v26, 16, v5 :: v_dual_add_f32 v10, v10, v3
	v_pk_mul_bf16 v3, v6, v9
	v_pk_mul_bf16 v9, v8, v27
	v_perm_b32 v27, v60, v61, 0x5040100
	v_and_b32_e32 v5, 0xffff0000, v5
	s_delay_alu instid0(VALU_DEP_4) | instskip(SKIP_4) | instid1(VALU_DEP_4)
	v_lshlrev_b32_e32 v43, 16, v3
	v_and_b32_e32 v3, 0xffff0000, v3
	v_lshlrev_b32_e32 v44, 16, v9
	v_and_b32_e32 v9, 0xffff0000, v9
	v_pk_mul_bf16 v27, v2, v27
	v_dual_add_f32 v5, v26, v5 :: v_dual_add_f32 v3, v43, v3
	v_pk_mul_bf16 v26, v4, v45
	s_delay_alu instid0(VALU_DEP_3) | instskip(SKIP_1) | instid1(VALU_DEP_3)
	v_dual_add_f32 v9, v44, v9 :: v_dual_lshlrev_b32 v43, 16, v27
	v_and_b32_e32 v27, 0xffff0000, v27
	v_dual_add_f32 v45, v5, v7 :: v_dual_lshlrev_b32 v44, 16, v26
	v_and_b32_e32 v26, 0xffff0000, v26
	s_delay_alu instid0(VALU_DEP_4) | instskip(SKIP_1) | instid1(VALU_DEP_3)
	v_add_f32_e32 v3, v9, v3
	v_perm_b32 v9, v56, v57, 0x5040100
	v_add_f32_e32 v26, v44, v26
	v_perm_b32 v44, v53, v52, 0x5040100
	s_delay_alu instid0(VALU_DEP_3) | instskip(SKIP_2) | instid1(VALU_DEP_3)
	v_pk_mul_bf16 v9, v6, v9
	v_add_f32_e32 v27, v43, v27
	v_perm_b32 v43, v54, v55, 0x5040100
	v_and_b32_e32 v7, 0xffff0000, v9
	s_delay_alu instid0(VALU_DEP_3) | instskip(NEXT) | instid1(VALU_DEP_3)
	v_add_f32_e32 v27, v27, v3
	v_pk_mul_bf16 v5, v8, v43
	v_lshlrev_b32_e32 v3, 16, v9
	v_perm_b32 v43, v50, v51, 0x5040100
	s_delay_alu instid0(VALU_DEP_3) | instskip(SKIP_1) | instid1(VALU_DEP_4)
	v_lshlrev_b32_e32 v9, 16, v5
	v_and_b32_e32 v5, 0xffff0000, v5
	v_add_f32_e32 v3, v3, v7
	v_perm_b32 v7, v41, v42, 0x5040100
	s_delay_alu instid0(VALU_DEP_3)
	v_add_f32_e32 v5, v9, v5
	v_perm_b32 v9, v39, v40, 0x5040100
	v_pk_mul_bf16 v39, v2, v43
	v_pk_mul_bf16 v40, v4, v44
	;; [unrolled: 1-line block ×3, first 2 shown]
	v_add_f32_e32 v41, v5, v3
	v_pk_mul_bf16 v3, v8, v9
	v_lshlrev_b32_e32 v5, 16, v39
	v_and_b32_e32 v9, 0xffff0000, v39
	v_lshlrev_b32_e32 v39, 16, v7
	v_and_b32_e32 v7, 0xffff0000, v7
	;; [unrolled: 2-line block ×3, first 2 shown]
	v_add_f32_e32 v43, v5, v9
	v_perm_b32 v5, v35, v36, 0x5040100
	v_add_f32_e32 v7, v39, v7
	v_perm_b32 v9, v38, v37, 0x5040100
	v_lshlrev_b32_e32 v35, 16, v40
	v_and_b32_e32 v36, 0xffff0000, v40
	v_pk_mul_bf16 v5, v2, v5
	v_add_f32_e32 v3, v42, v3
	v_pk_mul_bf16 v37, v4, v9
	v_perm_b32 v9, v16, v22, 0x5040100
	v_perm_b32 v16, v25, v23, 0x5040100
	s_delay_alu instid0(VALU_DEP_4)
	v_dual_add_f32 v38, v3, v7 :: v_dual_lshlrev_b32 v39, 16, v5
	v_perm_b32 v3, v81, v80, 0x5040100
	v_perm_b32 v7, v24, v82, 0x5040100
	v_and_b32_e32 v22, 0xffff0000, v5
	v_pk_mul_bf16 v16, v4, v16
	v_and_b32_e32 v23, 0xffff0000, v37
	v_pk_mul_bf16 v6, v6, v3
	v_pk_mul_bf16 v7, v8, v7
	;; [unrolled: 1-line block ×3, first 2 shown]
	s_delay_alu instid0(VALU_DEP_3) | instskip(SKIP_1) | instid1(VALU_DEP_4)
	v_and_b32_e32 v3, 0xffff0000, v6
	v_lshlrev_b32_e32 v5, 16, v6
	v_and_b32_e32 v2, 0xffff0000, v7
	s_delay_alu instid0(VALU_DEP_4) | instskip(SKIP_3) | instid1(VALU_DEP_4)
	v_dual_lshlrev_b32 v4, 16, v7 :: v_dual_lshlrev_b32 v9, 16, v8
	v_and_b32_e32 v7, 0xffff0000, v8
	v_and_b32_e32 v6, 0xffff0000, v16
	v_dual_lshlrev_b32 v8, 16, v16 :: v_dual_add_f32 v16, v39, v22
	v_pk_add_f32 v[2:3], v[4:5], v[2:3]
	v_lshlrev_b32_e32 v22, 16, v37
	s_delay_alu instid0(VALU_DEP_3) | instskip(NEXT) | instid1(VALU_DEP_3)
	v_pk_add_f32 v[4:5], v[8:9], v[6:7]
	v_dual_add_f32 v7, v16, v38 :: v_dual_add_f32 v2, v2, v3
	v_add_f32_e32 v3, v43, v41
	s_delay_alu instid0(VALU_DEP_4) | instskip(SKIP_1) | instid1(VALU_DEP_4)
	v_dual_add_f32 v6, v35, v36 :: v_dual_add_f32 v8, v22, v23
	v_add_f32_e32 v13, v13, v45
	v_dual_add_f32 v2, v5, v2 :: v_dual_add_f32 v5, v26, v27
	s_delay_alu instid0(VALU_DEP_3) | instskip(NEXT) | instid1(VALU_DEP_4)
	v_add_f32_e32 v3, v6, v3
	v_add_f32_e32 v6, v8, v7
	s_delay_alu instid0(VALU_DEP_3) | instskip(NEXT) | instid1(VALU_DEP_3)
	v_add_f32_e32 v2, v4, v2
	v_dual_add_f32 v12, v12, v5 :: v_dual_add_f32 v15, v15, v3
	s_delay_alu instid0(VALU_DEP_3) | instskip(NEXT) | instid1(VALU_DEP_3)
	v_add_f32_e32 v14, v14, v6
	v_add_f32_e32 v11, v11, v2
	s_and_not1_b32 exec_lo, exec_lo, s9
	s_cbranch_execz .LBB336_796
.LBB336_424:                            ; =>This Inner Loop Header: Depth=1
	global_load_b32 v2, v[20:21], off
	v_mov_b32_e32 v37, 0
	s_mov_b32 s0, exec_lo
	s_wait_loadcnt 0x0
	v_mad_nc_i64_i32 v[22:23], v2, s7, v[18:19]
	global_load_b64 v[24:25], v[22:23], off
	ds_load_2addr_b64 v[6:9], v33 offset1:1
	ds_load_2addr_b64 v[2:5], v33 offset0:2 offset1:3
	s_wait_loadcnt 0x0
	v_and_b32_e32 v16, 0xff, v24
	s_delay_alu instid0(VALU_DEP_1)
	v_cmpx_ne_u16_e32 0, v16
	s_cbranch_execz .LBB336_430
; %bb.425:                              ;   in Loop: Header=BB336_424 Depth=1
	v_bfrev_b32_e32 v37, 1
	s_mov_b32 s11, exec_lo
	v_cmpx_ne_u16_e32 0x80, v16
	s_cbranch_execz .LBB336_429
; %bb.426:                              ;   in Loop: Header=BB336_424 Depth=1
	v_and_b32_e32 v16, 0x7f, v24
	v_mov_b32_e32 v37, 0x7f800001
	s_mov_b32 s14, exec_lo
	s_delay_alu instid0(VALU_DEP_2)
	v_cmpx_ne_u32_e32 0x7f, v16
	s_cbranch_execz .LBB336_428
; %bb.427:                              ;   in Loop: Header=BB336_424 Depth=1
	v_and_b32_e32 v26, 7, v24
	v_cmp_gt_u32_e32 vcc_lo, 8, v16
	s_delay_alu instid0(VALU_DEP_2) | instskip(NEXT) | instid1(VALU_DEP_1)
	v_clz_i32_u32_e32 v26, v26
	v_min_u32_e32 v26, 32, v26
	v_lshrrev_b32_e32 v27, 3, v16
	s_delay_alu instid0(VALU_DEP_2) | instskip(SKIP_1) | instid1(VALU_DEP_1)
	v_subrev_nc_u32_e32 v35, 28, v26
	v_sub_nc_u32_e32 v26, 29, v26
	v_dual_cndmask_b32 v16, v27, v26, vcc_lo :: v_dual_cndmask_b32 v26, 0, v35, vcc_lo
	s_delay_alu instid0(VALU_DEP_1) | instskip(NEXT) | instid1(VALU_DEP_2)
	v_lshl_add_u32 v16, v16, 23, 0x3c000000
	v_lshlrev_b64_e32 v[26:27], v26, v[24:25]
	v_lshlrev_b32_e32 v27, 24, v24
	s_delay_alu instid0(VALU_DEP_1) | instskip(NEXT) | instid1(VALU_DEP_3)
	v_and_b32_e32 v27, 0x80000000, v27
	v_lshlrev_b32_e32 v26, 20, v26
	s_delay_alu instid0(VALU_DEP_1) | instskip(NEXT) | instid1(VALU_DEP_1)
	v_and_b32_e32 v26, 0x700000, v26
	v_or3_b32 v37, v26, v27, v16
.LBB336_428:                            ;   in Loop: Header=BB336_424 Depth=1
	s_or_b32 exec_lo, exec_lo, s14
.LBB336_429:                            ;   in Loop: Header=BB336_424 Depth=1
	s_delay_alu instid0(SALU_CYCLE_1)
	s_or_b32 exec_lo, exec_lo, s11
.LBB336_430:                            ;   in Loop: Header=BB336_424 Depth=1
	s_delay_alu instid0(SALU_CYCLE_1) | instskip(SKIP_3) | instid1(VALU_DEP_2)
	s_or_b32 exec_lo, exec_lo, s0
	v_lshrrev_b16 v16, 8, v24
	v_dual_mov_b32 v38, 0 :: v_dual_mov_b32 v41, 0
	s_mov_b32 s0, exec_lo
	v_cmpx_ne_u16_e32 0, v16
	s_cbranch_execz .LBB336_438
; %bb.431:                              ;   in Loop: Header=BB336_424 Depth=1
	v_bfrev_b32_e32 v41, 1
	s_mov_b32 s11, exec_lo
	v_cmpx_ne_u16_e32 0x80, v16
	s_cbranch_execz .LBB336_437
; %bb.432:                              ;   in Loop: Header=BB336_424 Depth=1
	v_and_b32_e32 v16, 0xffff, v16
	v_mov_b32_e32 v41, 0x7f800001
	s_mov_b32 s14, exec_lo
	s_delay_alu instid0(VALU_DEP_2) | instskip(NEXT) | instid1(VALU_DEP_1)
	v_and_b32_e32 v27, 0x7f, v16
	v_cmpx_ne_u32_e32 0x7f, v27
	s_cbranch_execz .LBB336_436
; %bb.433:                              ;   in Loop: Header=BB336_424 Depth=1
	v_dual_lshrrev_b32 v26, 3, v27 :: v_dual_bitop2_b32 v16, 7, v16 bitop3:0x40
	s_mov_b32 s15, exec_lo
	v_cmpx_gt_u32_e32 8, v27
; %bb.434:                              ;   in Loop: Header=BB336_424 Depth=1
	s_delay_alu instid0(VALU_DEP_2) | instskip(NEXT) | instid1(VALU_DEP_1)
	v_clz_i32_u32_e32 v26, v16
	v_min_u32_e32 v26, 32, v26
	s_delay_alu instid0(VALU_DEP_1) | instskip(NEXT) | instid1(VALU_DEP_1)
	v_subrev_nc_u32_e32 v27, 28, v26
	v_lshlrev_b64_e32 v[40:41], v27, v[16:17]
	s_delay_alu instid0(VALU_DEP_1)
	v_dual_sub_nc_u32 v26, 29, v26 :: v_dual_bitop2_b32 v16, 7, v40 bitop3:0x40
; %bb.435:                              ;   in Loop: Header=BB336_424 Depth=1
	s_or_b32 exec_lo, exec_lo, s15
	v_lshlrev_b32_e32 v27, 16, v24
	s_delay_alu instid0(VALU_DEP_2) | instskip(NEXT) | instid1(VALU_DEP_3)
	v_lshlrev_b32_e32 v16, 20, v16
	v_lshl_add_u32 v26, v26, 23, 0x3c000000
	s_delay_alu instid0(VALU_DEP_3) | instskip(NEXT) | instid1(VALU_DEP_1)
	v_and_b32_e32 v27, 0x80000000, v27
	v_or3_b32 v41, v16, v27, v26
.LBB336_436:                            ;   in Loop: Header=BB336_424 Depth=1
	s_or_b32 exec_lo, exec_lo, s14
.LBB336_437:                            ;   in Loop: Header=BB336_424 Depth=1
	s_delay_alu instid0(SALU_CYCLE_1)
	s_or_b32 exec_lo, exec_lo, s11
.LBB336_438:                            ;   in Loop: Header=BB336_424 Depth=1
	s_delay_alu instid0(SALU_CYCLE_1) | instskip(SKIP_2) | instid1(VALU_DEP_1)
	s_or_b32 exec_lo, exec_lo, s0
	v_lshrrev_b32_e32 v26, 16, v24
	s_mov_b32 s0, exec_lo
	v_and_b32_e32 v16, 0xff, v26
	s_delay_alu instid0(VALU_DEP_1)
	v_cmpx_ne_u16_e32 0, v16
	s_cbranch_execz .LBB336_446
; %bb.439:                              ;   in Loop: Header=BB336_424 Depth=1
	v_bfrev_b32_e32 v38, 1
	s_mov_b32 s11, exec_lo
	v_cmpx_ne_u16_e32 0x80, v16
	s_cbranch_execz .LBB336_445
; %bb.440:                              ;   in Loop: Header=BB336_424 Depth=1
	v_bfe_u32 v35, v24, 16, 7
	v_mov_b32_e32 v38, 0x7f800001
	s_mov_b32 s14, exec_lo
	s_delay_alu instid0(VALU_DEP_2)
	v_cmpx_ne_u32_e32 0x7f, v35
	s_cbranch_execz .LBB336_444
; %bb.441:                              ;   in Loop: Header=BB336_424 Depth=1
	v_dual_lshrrev_b32 v27, 3, v35 :: v_dual_bitop2_b32 v16, 7, v26 bitop3:0x40
	s_mov_b32 s15, exec_lo
	v_cmpx_gt_u32_e32 8, v35
; %bb.442:                              ;   in Loop: Header=BB336_424 Depth=1
	s_delay_alu instid0(VALU_DEP_2) | instskip(NEXT) | instid1(VALU_DEP_1)
	v_clz_i32_u32_e32 v27, v16
	v_min_u32_e32 v27, 32, v27
	s_delay_alu instid0(VALU_DEP_1) | instskip(NEXT) | instid1(VALU_DEP_1)
	v_subrev_nc_u32_e32 v35, 28, v27
	v_lshlrev_b64_e32 v[38:39], v35, v[16:17]
	s_delay_alu instid0(VALU_DEP_1)
	v_dual_sub_nc_u32 v27, 29, v27 :: v_dual_bitop2_b32 v16, 7, v38 bitop3:0x40
; %bb.443:                              ;   in Loop: Header=BB336_424 Depth=1
	s_or_b32 exec_lo, exec_lo, s15
	s_delay_alu instid0(VALU_DEP_1) | instskip(NEXT) | instid1(VALU_DEP_2)
	v_dual_lshlrev_b32 v26, 24, v26 :: v_dual_lshlrev_b32 v16, 20, v16
	v_lshl_add_u32 v27, v27, 23, 0x3c000000
	s_delay_alu instid0(VALU_DEP_2) | instskip(NEXT) | instid1(VALU_DEP_1)
	v_and_b32_e32 v26, 0x80000000, v26
	v_or3_b32 v38, v16, v26, v27
.LBB336_444:                            ;   in Loop: Header=BB336_424 Depth=1
	s_or_b32 exec_lo, exec_lo, s14
.LBB336_445:                            ;   in Loop: Header=BB336_424 Depth=1
	s_delay_alu instid0(SALU_CYCLE_1)
	s_or_b32 exec_lo, exec_lo, s11
.LBB336_446:                            ;   in Loop: Header=BB336_424 Depth=1
	s_delay_alu instid0(SALU_CYCLE_1)
	s_or_b32 exec_lo, exec_lo, s0
	v_dual_mov_b32 v36, 0 :: v_dual_mov_b32 v39, 0
	s_mov_b32 s0, exec_lo
	v_cmpx_lt_u32_e32 0xffffff, v24
	s_cbranch_execz .LBB336_454
; %bb.447:                              ;   in Loop: Header=BB336_424 Depth=1
	v_lshrrev_b32_e32 v26, 24, v24
	v_bfrev_b32_e32 v39, 1
	s_mov_b32 s11, exec_lo
	s_delay_alu instid0(VALU_DEP_2)
	v_cmpx_ne_u32_e32 0x80, v26
	s_cbranch_execz .LBB336_453
; %bb.448:                              ;   in Loop: Header=BB336_424 Depth=1
	v_bfe_u32 v35, v24, 24, 7
	v_mov_b32_e32 v39, 0x7f800001
	s_mov_b32 s14, exec_lo
	s_delay_alu instid0(VALU_DEP_2)
	v_cmpx_ne_u32_e32 0x7f, v35
	s_cbranch_execz .LBB336_452
; %bb.449:                              ;   in Loop: Header=BB336_424 Depth=1
	v_dual_lshrrev_b32 v27, 3, v35 :: v_dual_bitop2_b32 v16, 7, v26 bitop3:0x40
	s_mov_b32 s15, exec_lo
	v_cmpx_gt_u32_e32 8, v35
; %bb.450:                              ;   in Loop: Header=BB336_424 Depth=1
	s_delay_alu instid0(VALU_DEP_2) | instskip(NEXT) | instid1(VALU_DEP_1)
	v_clz_i32_u32_e32 v27, v16
	v_min_u32_e32 v27, 32, v27
	s_delay_alu instid0(VALU_DEP_1) | instskip(NEXT) | instid1(VALU_DEP_1)
	v_subrev_nc_u32_e32 v35, 28, v27
	v_lshlrev_b64_e32 v[42:43], v35, v[16:17]
	s_delay_alu instid0(VALU_DEP_1)
	v_dual_sub_nc_u32 v27, 29, v27 :: v_dual_bitop2_b32 v16, 7, v42 bitop3:0x40
; %bb.451:                              ;   in Loop: Header=BB336_424 Depth=1
	s_or_b32 exec_lo, exec_lo, s15
	s_delay_alu instid0(VALU_DEP_1) | instskip(NEXT) | instid1(VALU_DEP_2)
	v_dual_lshlrev_b32 v26, 24, v26 :: v_dual_lshlrev_b32 v16, 20, v16
	v_lshl_add_u32 v27, v27, 23, 0x3c000000
	s_delay_alu instid0(VALU_DEP_2) | instskip(NEXT) | instid1(VALU_DEP_1)
	v_and_b32_e32 v26, 0x80000000, v26
	v_or3_b32 v39, v16, v26, v27
.LBB336_452:                            ;   in Loop: Header=BB336_424 Depth=1
	s_or_b32 exec_lo, exec_lo, s14
.LBB336_453:                            ;   in Loop: Header=BB336_424 Depth=1
	s_delay_alu instid0(SALU_CYCLE_1)
	s_or_b32 exec_lo, exec_lo, s11
.LBB336_454:                            ;   in Loop: Header=BB336_424 Depth=1
	s_delay_alu instid0(SALU_CYCLE_1) | instskip(SKIP_3) | instid1(VALU_DEP_2)
	s_or_b32 exec_lo, exec_lo, s0
	v_and_b32_e32 v26, 0xff, v25
	v_mov_b32_e32 v16, v25
	s_mov_b32 s0, exec_lo
	v_cmpx_ne_u16_e32 0, v26
	s_cbranch_execz .LBB336_460
; %bb.455:                              ;   in Loop: Header=BB336_424 Depth=1
	v_bfrev_b32_e32 v36, 1
	s_mov_b32 s11, exec_lo
	v_cmpx_ne_u16_e32 0x80, v26
	s_cbranch_execz .LBB336_459
; %bb.456:                              ;   in Loop: Header=BB336_424 Depth=1
	v_and_b32_e32 v26, 0x7f, v25
	v_mov_b32_e32 v36, 0x7f800001
	s_mov_b32 s14, exec_lo
	s_delay_alu instid0(VALU_DEP_2)
	v_cmpx_ne_u32_e32 0x7f, v26
	s_cbranch_execz .LBB336_458
; %bb.457:                              ;   in Loop: Header=BB336_424 Depth=1
	v_dual_lshrrev_b32 v35, 3, v26 :: v_dual_bitop2_b32 v27, 7, v25 bitop3:0x40
	v_cmp_gt_u32_e32 vcc_lo, 8, v26
	s_delay_alu instid0(VALU_DEP_2) | instskip(NEXT) | instid1(VALU_DEP_1)
	v_clz_i32_u32_e32 v27, v27
	v_min_u32_e32 v27, 32, v27
	s_delay_alu instid0(VALU_DEP_1) | instskip(NEXT) | instid1(VALU_DEP_1)
	v_subrev_nc_u32_e32 v36, 28, v27
	v_dual_cndmask_b32 v26, 0, v36 :: v_dual_sub_nc_u32 v27, 29, v27
	s_delay_alu instid0(VALU_DEP_1) | instskip(NEXT) | instid1(VALU_DEP_2)
	v_cndmask_b32_e32 v35, v35, v27, vcc_lo
	v_lshlrev_b64_e32 v[26:27], v26, v[16:17]
	v_lshlrev_b32_e32 v27, 24, v16
	s_delay_alu instid0(VALU_DEP_3) | instskip(NEXT) | instid1(VALU_DEP_2)
	v_lshl_add_u32 v35, v35, 23, 0x3c000000
	v_and_b32_e32 v27, 0x80000000, v27
	s_delay_alu instid0(VALU_DEP_4) | instskip(NEXT) | instid1(VALU_DEP_1)
	v_lshlrev_b32_e32 v26, 20, v26
	v_and_b32_e32 v26, 0x700000, v26
	s_delay_alu instid0(VALU_DEP_1)
	v_or3_b32 v36, v26, v27, v35
.LBB336_458:                            ;   in Loop: Header=BB336_424 Depth=1
	s_or_b32 exec_lo, exec_lo, s14
.LBB336_459:                            ;   in Loop: Header=BB336_424 Depth=1
	s_delay_alu instid0(SALU_CYCLE_1)
	s_or_b32 exec_lo, exec_lo, s11
.LBB336_460:                            ;   in Loop: Header=BB336_424 Depth=1
	s_delay_alu instid0(SALU_CYCLE_1) | instskip(SKIP_3) | instid1(VALU_DEP_2)
	s_or_b32 exec_lo, exec_lo, s0
	v_lshrrev_b16 v27, 8, v16
	v_dual_mov_b32 v44, 0 :: v_dual_mov_b32 v26, 0
	s_mov_b32 s0, exec_lo
	v_cmpx_ne_u16_e32 0, v27
	s_cbranch_execz .LBB336_468
; %bb.461:                              ;   in Loop: Header=BB336_424 Depth=1
	v_bfrev_b32_e32 v26, 1
	s_mov_b32 s11, exec_lo
	v_cmpx_ne_u16_e32 0x80, v27
	s_cbranch_execz .LBB336_467
; %bb.462:                              ;   in Loop: Header=BB336_424 Depth=1
	v_and_b32_e32 v27, 0xffff, v27
	v_mov_b32_e32 v26, 0x7f800001
	s_mov_b32 s14, exec_lo
	s_delay_alu instid0(VALU_DEP_2) | instskip(NEXT) | instid1(VALU_DEP_1)
	v_and_b32_e32 v40, 0x7f, v27
	v_cmpx_ne_u32_e32 0x7f, v40
	s_cbranch_execz .LBB336_466
; %bb.463:                              ;   in Loop: Header=BB336_424 Depth=1
	v_dual_mov_b32 v27, v17 :: v_dual_bitop2_b32 v26, 7, v27 bitop3:0x40
	v_lshrrev_b32_e32 v35, 3, v40
	s_mov_b32 s15, exec_lo
	v_cmpx_gt_u32_e32 8, v40
; %bb.464:                              ;   in Loop: Header=BB336_424 Depth=1
	s_delay_alu instid0(VALU_DEP_3) | instskip(NEXT) | instid1(VALU_DEP_1)
	v_clz_i32_u32_e32 v35, v26
	v_min_u32_e32 v35, 32, v35
	s_delay_alu instid0(VALU_DEP_1) | instskip(NEXT) | instid1(VALU_DEP_1)
	v_subrev_nc_u32_e32 v40, 28, v35
	v_lshlrev_b64_e32 v[26:27], v40, v[26:27]
	s_delay_alu instid0(VALU_DEP_1)
	v_dual_sub_nc_u32 v35, 29, v35 :: v_dual_bitop2_b32 v26, 7, v26 bitop3:0x40
; %bb.465:                              ;   in Loop: Header=BB336_424 Depth=1
	s_or_b32 exec_lo, exec_lo, s15
	s_delay_alu instid0(VALU_DEP_1) | instskip(NEXT) | instid1(VALU_DEP_2)
	v_dual_lshlrev_b32 v16, 16, v16 :: v_dual_lshlrev_b32 v26, 20, v26
	v_lshl_add_u32 v27, v35, 23, 0x3c000000
	s_delay_alu instid0(VALU_DEP_2) | instskip(NEXT) | instid1(VALU_DEP_1)
	v_and_b32_e32 v16, 0x80000000, v16
	v_or3_b32 v26, v26, v16, v27
.LBB336_466:                            ;   in Loop: Header=BB336_424 Depth=1
	s_or_b32 exec_lo, exec_lo, s14
.LBB336_467:                            ;   in Loop: Header=BB336_424 Depth=1
	s_delay_alu instid0(SALU_CYCLE_1)
	s_or_b32 exec_lo, exec_lo, s11
.LBB336_468:                            ;   in Loop: Header=BB336_424 Depth=1
	s_delay_alu instid0(SALU_CYCLE_1) | instskip(SKIP_2) | instid1(VALU_DEP_1)
	s_or_b32 exec_lo, exec_lo, s0
	v_lshrrev_b32_e32 v27, 16, v25
	s_mov_b32 s0, exec_lo
	v_and_b32_e32 v16, 0xff, v27
	s_delay_alu instid0(VALU_DEP_1)
	v_cmpx_ne_u16_e32 0, v16
	s_cbranch_execz .LBB336_476
; %bb.469:                              ;   in Loop: Header=BB336_424 Depth=1
	v_bfrev_b32_e32 v44, 1
	s_mov_b32 s11, exec_lo
	v_cmpx_ne_u16_e32 0x80, v16
	s_cbranch_execz .LBB336_475
; %bb.470:                              ;   in Loop: Header=BB336_424 Depth=1
	v_bfe_u32 v40, v25, 16, 7
	v_mov_b32_e32 v44, 0x7f800001
	s_mov_b32 s14, exec_lo
	s_delay_alu instid0(VALU_DEP_2)
	v_cmpx_ne_u32_e32 0x7f, v40
	s_cbranch_execz .LBB336_474
; %bb.471:                              ;   in Loop: Header=BB336_424 Depth=1
	v_dual_lshrrev_b32 v35, 3, v40 :: v_dual_bitop2_b32 v16, 7, v27 bitop3:0x40
	s_mov_b32 s15, exec_lo
	v_cmpx_gt_u32_e32 8, v40
; %bb.472:                              ;   in Loop: Header=BB336_424 Depth=1
	s_delay_alu instid0(VALU_DEP_2) | instskip(NEXT) | instid1(VALU_DEP_1)
	v_clz_i32_u32_e32 v35, v16
	v_min_u32_e32 v35, 32, v35
	s_delay_alu instid0(VALU_DEP_1) | instskip(NEXT) | instid1(VALU_DEP_1)
	v_subrev_nc_u32_e32 v40, 28, v35
	v_lshlrev_b64_e32 v[42:43], v40, v[16:17]
	s_delay_alu instid0(VALU_DEP_1)
	v_dual_sub_nc_u32 v35, 29, v35 :: v_dual_bitop2_b32 v16, 7, v42 bitop3:0x40
; %bb.473:                              ;   in Loop: Header=BB336_424 Depth=1
	s_or_b32 exec_lo, exec_lo, s15
	s_delay_alu instid0(VALU_DEP_1) | instskip(NEXT) | instid1(VALU_DEP_2)
	v_dual_lshlrev_b32 v27, 24, v27 :: v_dual_lshlrev_b32 v16, 20, v16
	v_lshl_add_u32 v35, v35, 23, 0x3c000000
	s_delay_alu instid0(VALU_DEP_2) | instskip(NEXT) | instid1(VALU_DEP_1)
	v_and_b32_e32 v27, 0x80000000, v27
	v_or3_b32 v44, v16, v27, v35
.LBB336_474:                            ;   in Loop: Header=BB336_424 Depth=1
	s_or_b32 exec_lo, exec_lo, s14
.LBB336_475:                            ;   in Loop: Header=BB336_424 Depth=1
	s_delay_alu instid0(SALU_CYCLE_1)
	s_or_b32 exec_lo, exec_lo, s11
.LBB336_476:                            ;   in Loop: Header=BB336_424 Depth=1
	s_delay_alu instid0(SALU_CYCLE_1)
	s_or_b32 exec_lo, exec_lo, s0
	v_mov_b32_e32 v16, 0
	s_mov_b32 s0, exec_lo
	v_cmpx_lt_u64_e64 s[2:3], v[24:25]
	s_cbranch_execz .LBB336_484
; %bb.477:                              ;   in Loop: Header=BB336_424 Depth=1
	v_lshrrev_b32_e32 v24, 24, v25
	v_bfrev_b32_e32 v16, 1
	s_mov_b32 s11, exec_lo
	s_delay_alu instid0(VALU_DEP_2)
	v_cmpx_ne_u32_e32 0x80, v24
	s_cbranch_execz .LBB336_483
; %bb.478:                              ;   in Loop: Header=BB336_424 Depth=1
	v_bfe_u32 v27, v25, 24, 7
	v_mov_b32_e32 v16, 0x7f800001
	s_mov_b32 s14, exec_lo
	s_delay_alu instid0(VALU_DEP_2)
	v_cmpx_ne_u32_e32 0x7f, v27
	s_cbranch_execz .LBB336_482
; %bb.479:                              ;   in Loop: Header=BB336_424 Depth=1
	v_dual_lshrrev_b32 v25, 3, v27 :: v_dual_bitop2_b32 v16, 7, v24 bitop3:0x40
	s_mov_b32 s15, exec_lo
	v_cmpx_gt_u32_e32 8, v27
; %bb.480:                              ;   in Loop: Header=BB336_424 Depth=1
	s_delay_alu instid0(VALU_DEP_2) | instskip(NEXT) | instid1(VALU_DEP_1)
	v_clz_i32_u32_e32 v25, v16
	v_min_u32_e32 v25, 32, v25
	s_delay_alu instid0(VALU_DEP_1) | instskip(NEXT) | instid1(VALU_DEP_1)
	v_subrev_nc_u32_e32 v27, 28, v25
	v_lshlrev_b64_e32 v[42:43], v27, v[16:17]
	s_delay_alu instid0(VALU_DEP_1)
	v_dual_sub_nc_u32 v25, 29, v25 :: v_dual_bitop2_b32 v16, 7, v42 bitop3:0x40
; %bb.481:                              ;   in Loop: Header=BB336_424 Depth=1
	s_or_b32 exec_lo, exec_lo, s15
	v_lshlrev_b32_e32 v24, 24, v24
	s_delay_alu instid0(VALU_DEP_2) | instskip(NEXT) | instid1(VALU_DEP_3)
	v_lshlrev_b32_e32 v16, 20, v16
	v_lshl_add_u32 v25, v25, 23, 0x3c000000
	s_delay_alu instid0(VALU_DEP_3) | instskip(NEXT) | instid1(VALU_DEP_1)
	v_and_b32_e32 v24, 0x80000000, v24
	v_or3_b32 v16, v16, v24, v25
.LBB336_482:                            ;   in Loop: Header=BB336_424 Depth=1
	s_or_b32 exec_lo, exec_lo, s14
.LBB336_483:                            ;   in Loop: Header=BB336_424 Depth=1
	s_delay_alu instid0(SALU_CYCLE_1)
	s_or_b32 exec_lo, exec_lo, s11
.LBB336_484:                            ;   in Loop: Header=BB336_424 Depth=1
	s_delay_alu instid0(SALU_CYCLE_1)
	s_or_b32 exec_lo, exec_lo, s0
	v_dual_add_nc_u32 v43, -7, v32 :: v_dual_add_nc_u32 v49, -6, v32
	v_cmp_eq_u32_e32 vcc_lo, s10, v34
	v_fma_mixlo_bf16 v35, s6, v26, 0
	v_fma_mixlo_bf16 v36, s6, v36, 0
	;; [unrolled: 1-line block ×8, first 2 shown]
	v_dual_add_nc_u32 v48, -5, v32 :: v_dual_add_nc_u32 v47, -4, v32
	v_dual_add_nc_u32 v46, -3, v32 :: v_dual_add_nc_u32 v45, -2, v32
	v_add_nc_u32_e32 v44, -1, v32
	s_and_saveexec_b32 s11, vcc_lo
	s_cbranch_execz .LBB336_486
; %bb.485:                              ;   in Loop: Header=BB336_424 Depth=1
	v_cmp_gt_i32_e64 s0, s23, v43
	s_delay_alu instid0(VALU_DEP_1) | instskip(SKIP_1) | instid1(VALU_DEP_1)
	v_cndmask_b32_e64 v42, 0, v42, s0
	v_cmp_gt_i32_e64 s0, s23, v49
	v_cndmask_b32_e64 v41, 0, v41, s0
	v_cmp_gt_i32_e64 s0, s23, v48
	s_delay_alu instid0(VALU_DEP_1) | instskip(SKIP_1) | instid1(VALU_DEP_1)
	v_cndmask_b32_e64 v40, 0, v40, s0
	v_cmp_gt_i32_e64 s0, s23, v47
	v_cndmask_b32_e64 v39, 0, v39, s0
	;; [unrolled: 5-line block ×4, first 2 shown]
.LBB336_486:                            ;   in Loop: Header=BB336_424 Depth=1
	s_or_b32 exec_lo, exec_lo, s11
	global_load_b64 v[24:25], v[22:23], off offset:256
	v_dual_mov_b32 v53, 0 :: v_dual_mov_b32 v52, 0
	s_mov_b32 s11, exec_lo
	s_wait_loadcnt 0x0
	v_and_b32_e32 v16, 0xff, v24
	s_delay_alu instid0(VALU_DEP_1)
	v_cmpx_ne_u16_e32 0, v16
	s_cbranch_execz .LBB336_492
; %bb.487:                              ;   in Loop: Header=BB336_424 Depth=1
	v_bfrev_b32_e32 v52, 1
	s_mov_b32 s14, exec_lo
	v_cmpx_ne_u16_e32 0x80, v16
	s_cbranch_execz .LBB336_491
; %bb.488:                              ;   in Loop: Header=BB336_424 Depth=1
	v_and_b32_e32 v16, 0x7f, v24
	v_mov_b32_e32 v52, 0x7f800001
	s_mov_b32 s15, exec_lo
	s_delay_alu instid0(VALU_DEP_2)
	v_cmpx_ne_u32_e32 0x7f, v16
	s_cbranch_execz .LBB336_490
; %bb.489:                              ;   in Loop: Header=BB336_424 Depth=1
	v_and_b32_e32 v26, 7, v24
	v_cmp_gt_u32_e64 s0, 8, v16
	s_delay_alu instid0(VALU_DEP_2) | instskip(NEXT) | instid1(VALU_DEP_1)
	v_clz_i32_u32_e32 v26, v26
	v_min_u32_e32 v26, 32, v26
	v_lshrrev_b32_e32 v27, 3, v16
	s_delay_alu instid0(VALU_DEP_2) | instskip(SKIP_1) | instid1(VALU_DEP_1)
	v_subrev_nc_u32_e32 v50, 28, v26
	v_sub_nc_u32_e32 v26, 29, v26
	v_cndmask_b32_e64 v16, v27, v26, s0
	s_delay_alu instid0(VALU_DEP_3) | instskip(NEXT) | instid1(VALU_DEP_1)
	v_cndmask_b32_e64 v26, 0, v50, s0
	v_lshlrev_b64_e32 v[26:27], v26, v[24:25]
	v_lshlrev_b32_e32 v27, 24, v24
	s_delay_alu instid0(VALU_DEP_1) | instskip(NEXT) | instid1(VALU_DEP_3)
	v_and_b32_e32 v27, 0x80000000, v27
	v_lshlrev_b32_e32 v26, 20, v26
	v_lshl_add_u32 v16, v16, 23, 0x3c000000
	s_delay_alu instid0(VALU_DEP_2) | instskip(NEXT) | instid1(VALU_DEP_1)
	v_and_b32_e32 v26, 0x700000, v26
	v_or3_b32 v52, v26, v27, v16
.LBB336_490:                            ;   in Loop: Header=BB336_424 Depth=1
	s_or_b32 exec_lo, exec_lo, s15
.LBB336_491:                            ;   in Loop: Header=BB336_424 Depth=1
	s_delay_alu instid0(SALU_CYCLE_1)
	s_or_b32 exec_lo, exec_lo, s14
.LBB336_492:                            ;   in Loop: Header=BB336_424 Depth=1
	s_delay_alu instid0(SALU_CYCLE_1) | instskip(SKIP_2) | instid1(VALU_DEP_1)
	s_or_b32 exec_lo, exec_lo, s11
	v_lshrrev_b16 v16, 8, v24
	s_mov_b32 s11, exec_lo
	v_cmpx_ne_u16_e32 0, v16
	s_cbranch_execz .LBB336_500
; %bb.493:                              ;   in Loop: Header=BB336_424 Depth=1
	v_bfrev_b32_e32 v53, 1
	s_mov_b32 s14, exec_lo
	v_cmpx_ne_u16_e32 0x80, v16
	s_cbranch_execz .LBB336_499
; %bb.494:                              ;   in Loop: Header=BB336_424 Depth=1
	v_and_b32_e32 v16, 0xffff, v16
	v_mov_b32_e32 v53, 0x7f800001
	s_mov_b32 s15, exec_lo
	s_delay_alu instid0(VALU_DEP_2) | instskip(NEXT) | instid1(VALU_DEP_1)
	v_and_b32_e32 v27, 0x7f, v16
	v_cmpx_ne_u32_e32 0x7f, v27
	s_cbranch_execz .LBB336_498
; %bb.495:                              ;   in Loop: Header=BB336_424 Depth=1
	v_dual_lshrrev_b32 v26, 3, v27 :: v_dual_bitop2_b32 v16, 7, v16 bitop3:0x40
	s_mov_b32 s16, exec_lo
	v_cmpx_gt_u32_e32 8, v27
; %bb.496:                              ;   in Loop: Header=BB336_424 Depth=1
	s_delay_alu instid0(VALU_DEP_2) | instskip(NEXT) | instid1(VALU_DEP_1)
	v_clz_i32_u32_e32 v26, v16
	v_min_u32_e32 v26, 32, v26
	s_delay_alu instid0(VALU_DEP_1) | instskip(SKIP_1) | instid1(VALU_DEP_2)
	v_subrev_nc_u32_e32 v27, 28, v26
	v_sub_nc_u32_e32 v26, 29, v26
	v_lshlrev_b64_e32 v[50:51], v27, v[16:17]
	s_delay_alu instid0(VALU_DEP_1)
	v_and_b32_e32 v16, 7, v50
; %bb.497:                              ;   in Loop: Header=BB336_424 Depth=1
	s_or_b32 exec_lo, exec_lo, s16
	v_lshlrev_b32_e32 v27, 16, v24
	s_delay_alu instid0(VALU_DEP_2) | instskip(SKIP_1) | instid1(VALU_DEP_3)
	v_lshlrev_b32_e32 v16, 20, v16
	v_lshl_add_u32 v26, v26, 23, 0x3c000000
	v_and_b32_e32 v27, 0x80000000, v27
	s_delay_alu instid0(VALU_DEP_1)
	v_or3_b32 v53, v16, v27, v26
.LBB336_498:                            ;   in Loop: Header=BB336_424 Depth=1
	s_or_b32 exec_lo, exec_lo, s15
.LBB336_499:                            ;   in Loop: Header=BB336_424 Depth=1
	s_delay_alu instid0(SALU_CYCLE_1)
	s_or_b32 exec_lo, exec_lo, s14
.LBB336_500:                            ;   in Loop: Header=BB336_424 Depth=1
	s_delay_alu instid0(SALU_CYCLE_1) | instskip(SKIP_3) | instid1(VALU_DEP_2)
	s_or_b32 exec_lo, exec_lo, s11
	v_dual_lshrrev_b32 v26, 16, v24 :: v_dual_mov_b32 v54, 0
	v_mov_b32_e32 v55, 0
	s_mov_b32 s11, exec_lo
	v_and_b32_e32 v16, 0xff, v26
	s_delay_alu instid0(VALU_DEP_1)
	v_cmpx_ne_u16_e32 0, v16
	s_cbranch_execz .LBB336_508
; %bb.501:                              ;   in Loop: Header=BB336_424 Depth=1
	v_bfrev_b32_e32 v55, 1
	s_mov_b32 s14, exec_lo
	v_cmpx_ne_u16_e32 0x80, v16
	s_cbranch_execz .LBB336_507
; %bb.502:                              ;   in Loop: Header=BB336_424 Depth=1
	v_bfe_u32 v50, v24, 16, 7
	v_mov_b32_e32 v55, 0x7f800001
	s_mov_b32 s15, exec_lo
	s_delay_alu instid0(VALU_DEP_2)
	v_cmpx_ne_u32_e32 0x7f, v50
	s_cbranch_execz .LBB336_506
; %bb.503:                              ;   in Loop: Header=BB336_424 Depth=1
	v_and_b32_e32 v16, 7, v26
	v_lshrrev_b32_e32 v27, 3, v50
	s_mov_b32 s16, exec_lo
	v_cmpx_gt_u32_e32 8, v50
; %bb.504:                              ;   in Loop: Header=BB336_424 Depth=1
	s_delay_alu instid0(VALU_DEP_3) | instskip(NEXT) | instid1(VALU_DEP_1)
	v_clz_i32_u32_e32 v27, v16
	v_min_u32_e32 v27, 32, v27
	s_delay_alu instid0(VALU_DEP_1) | instskip(NEXT) | instid1(VALU_DEP_1)
	v_subrev_nc_u32_e32 v50, 28, v27
	v_lshlrev_b64_e32 v[50:51], v50, v[16:17]
	s_delay_alu instid0(VALU_DEP_1)
	v_dual_sub_nc_u32 v27, 29, v27 :: v_dual_bitop2_b32 v16, 7, v50 bitop3:0x40
; %bb.505:                              ;   in Loop: Header=BB336_424 Depth=1
	s_or_b32 exec_lo, exec_lo, s16
	s_delay_alu instid0(VALU_DEP_1) | instskip(NEXT) | instid1(VALU_DEP_2)
	v_dual_lshlrev_b32 v26, 24, v26 :: v_dual_lshlrev_b32 v16, 20, v16
	v_lshl_add_u32 v27, v27, 23, 0x3c000000
	s_delay_alu instid0(VALU_DEP_2) | instskip(NEXT) | instid1(VALU_DEP_1)
	v_and_b32_e32 v26, 0x80000000, v26
	v_or3_b32 v55, v16, v26, v27
.LBB336_506:                            ;   in Loop: Header=BB336_424 Depth=1
	s_or_b32 exec_lo, exec_lo, s15
.LBB336_507:                            ;   in Loop: Header=BB336_424 Depth=1
	s_delay_alu instid0(SALU_CYCLE_1)
	s_or_b32 exec_lo, exec_lo, s14
.LBB336_508:                            ;   in Loop: Header=BB336_424 Depth=1
	s_delay_alu instid0(SALU_CYCLE_1) | instskip(NEXT) | instid1(SALU_CYCLE_1)
	s_or_b32 exec_lo, exec_lo, s11
	s_mov_b32 s11, exec_lo
	v_cmpx_lt_u32_e32 0xffffff, v24
	s_cbranch_execz .LBB336_516
; %bb.509:                              ;   in Loop: Header=BB336_424 Depth=1
	v_lshrrev_b32_e32 v26, 24, v24
	v_bfrev_b32_e32 v54, 1
	s_mov_b32 s14, exec_lo
	s_delay_alu instid0(VALU_DEP_2)
	v_cmpx_ne_u32_e32 0x80, v26
	s_cbranch_execz .LBB336_515
; %bb.510:                              ;   in Loop: Header=BB336_424 Depth=1
	v_bfe_u32 v50, v24, 24, 7
	v_mov_b32_e32 v54, 0x7f800001
	s_mov_b32 s15, exec_lo
	s_delay_alu instid0(VALU_DEP_2)
	v_cmpx_ne_u32_e32 0x7f, v50
	s_cbranch_execz .LBB336_514
; %bb.511:                              ;   in Loop: Header=BB336_424 Depth=1
	v_and_b32_e32 v16, 7, v26
	v_lshrrev_b32_e32 v27, 3, v50
	s_mov_b32 s16, exec_lo
	v_cmpx_gt_u32_e32 8, v50
; %bb.512:                              ;   in Loop: Header=BB336_424 Depth=1
	s_delay_alu instid0(VALU_DEP_3) | instskip(NEXT) | instid1(VALU_DEP_1)
	v_clz_i32_u32_e32 v27, v16
	v_min_u32_e32 v27, 32, v27
	s_delay_alu instid0(VALU_DEP_1) | instskip(NEXT) | instid1(VALU_DEP_1)
	v_subrev_nc_u32_e32 v50, 28, v27
	v_lshlrev_b64_e32 v[50:51], v50, v[16:17]
	s_delay_alu instid0(VALU_DEP_1)
	v_dual_sub_nc_u32 v27, 29, v27 :: v_dual_bitop2_b32 v16, 7, v50 bitop3:0x40
; %bb.513:                              ;   in Loop: Header=BB336_424 Depth=1
	s_or_b32 exec_lo, exec_lo, s16
	s_delay_alu instid0(VALU_DEP_1) | instskip(NEXT) | instid1(VALU_DEP_2)
	v_dual_lshlrev_b32 v26, 24, v26 :: v_dual_lshlrev_b32 v16, 20, v16
	v_lshl_add_u32 v27, v27, 23, 0x3c000000
	s_delay_alu instid0(VALU_DEP_2) | instskip(NEXT) | instid1(VALU_DEP_1)
	v_and_b32_e32 v26, 0x80000000, v26
	v_or3_b32 v54, v16, v26, v27
.LBB336_514:                            ;   in Loop: Header=BB336_424 Depth=1
	s_or_b32 exec_lo, exec_lo, s15
.LBB336_515:                            ;   in Loop: Header=BB336_424 Depth=1
	s_delay_alu instid0(SALU_CYCLE_1)
	s_or_b32 exec_lo, exec_lo, s14
.LBB336_516:                            ;   in Loop: Header=BB336_424 Depth=1
	s_delay_alu instid0(SALU_CYCLE_1) | instskip(SKIP_4) | instid1(VALU_DEP_3)
	s_or_b32 exec_lo, exec_lo, s11
	v_and_b32_e32 v27, 0xff, v25
	v_dual_mov_b32 v16, v25 :: v_dual_mov_b32 v26, 0
	v_mov_b32_e32 v51, 0
	s_mov_b32 s11, exec_lo
	v_cmpx_ne_u16_e32 0, v27
	s_cbranch_execz .LBB336_522
; %bb.517:                              ;   in Loop: Header=BB336_424 Depth=1
	v_bfrev_b32_e32 v51, 1
	s_mov_b32 s14, exec_lo
	v_cmpx_ne_u16_e32 0x80, v27
	s_cbranch_execz .LBB336_521
; %bb.518:                              ;   in Loop: Header=BB336_424 Depth=1
	v_and_b32_e32 v27, 0x7f, v25
	v_mov_b32_e32 v51, 0x7f800001
	s_mov_b32 s15, exec_lo
	s_delay_alu instid0(VALU_DEP_2)
	v_cmpx_ne_u32_e32 0x7f, v27
	s_cbranch_execz .LBB336_520
; %bb.519:                              ;   in Loop: Header=BB336_424 Depth=1
	v_dual_lshrrev_b32 v51, 3, v27 :: v_dual_bitop2_b32 v50, 7, v25 bitop3:0x40
	v_cmp_gt_u32_e64 s0, 8, v27
	s_delay_alu instid0(VALU_DEP_2) | instskip(NEXT) | instid1(VALU_DEP_1)
	v_clz_i32_u32_e32 v50, v50
	v_min_u32_e32 v50, 32, v50
	s_delay_alu instid0(VALU_DEP_1) | instskip(SKIP_1) | instid1(VALU_DEP_1)
	v_subrev_nc_u32_e32 v56, 28, v50
	v_sub_nc_u32_e32 v50, 29, v50
	v_dual_cndmask_b32 v27, v51, v50, s0 :: v_dual_cndmask_b32 v50, 0, v56, s0
	s_delay_alu instid0(VALU_DEP_1) | instskip(NEXT) | instid1(VALU_DEP_2)
	v_lshl_add_u32 v27, v27, 23, 0x3c000000
	v_lshlrev_b64_e32 v[50:51], v50, v[16:17]
	v_lshlrev_b32_e32 v51, 24, v16
	s_delay_alu instid0(VALU_DEP_1) | instskip(NEXT) | instid1(VALU_DEP_3)
	v_and_b32_e32 v51, 0x80000000, v51
	v_lshlrev_b32_e32 v50, 20, v50
	s_delay_alu instid0(VALU_DEP_1) | instskip(NEXT) | instid1(VALU_DEP_1)
	v_and_b32_e32 v50, 0x700000, v50
	v_or3_b32 v51, v50, v51, v27
.LBB336_520:                            ;   in Loop: Header=BB336_424 Depth=1
	s_or_b32 exec_lo, exec_lo, s15
.LBB336_521:                            ;   in Loop: Header=BB336_424 Depth=1
	s_delay_alu instid0(SALU_CYCLE_1)
	s_or_b32 exec_lo, exec_lo, s14
.LBB336_522:                            ;   in Loop: Header=BB336_424 Depth=1
	s_delay_alu instid0(SALU_CYCLE_1) | instskip(SKIP_2) | instid1(VALU_DEP_1)
	s_or_b32 exec_lo, exec_lo, s11
	v_lshrrev_b16 v27, 8, v16
	s_mov_b32 s11, exec_lo
	v_cmpx_ne_u16_e32 0, v27
	s_cbranch_execz .LBB336_530
; %bb.523:                              ;   in Loop: Header=BB336_424 Depth=1
	v_bfrev_b32_e32 v26, 1
	s_mov_b32 s14, exec_lo
	v_cmpx_ne_u16_e32 0x80, v27
	s_cbranch_execz .LBB336_529
; %bb.524:                              ;   in Loop: Header=BB336_424 Depth=1
	v_and_b32_e32 v27, 0xffff, v27
	v_mov_b32_e32 v26, 0x7f800001
	s_mov_b32 s15, exec_lo
	s_delay_alu instid0(VALU_DEP_2) | instskip(NEXT) | instid1(VALU_DEP_1)
	v_and_b32_e32 v56, 0x7f, v27
	v_cmpx_ne_u32_e32 0x7f, v56
	s_cbranch_execz .LBB336_528
; %bb.525:                              ;   in Loop: Header=BB336_424 Depth=1
	v_dual_mov_b32 v27, v17 :: v_dual_bitop2_b32 v26, 7, v27 bitop3:0x40
	v_lshrrev_b32_e32 v50, 3, v56
	s_mov_b32 s16, exec_lo
	v_cmpx_gt_u32_e32 8, v56
; %bb.526:                              ;   in Loop: Header=BB336_424 Depth=1
	s_delay_alu instid0(VALU_DEP_3) | instskip(NEXT) | instid1(VALU_DEP_1)
	v_clz_i32_u32_e32 v50, v26
	v_min_u32_e32 v50, 32, v50
	s_delay_alu instid0(VALU_DEP_1) | instskip(SKIP_1) | instid1(VALU_DEP_2)
	v_subrev_nc_u32_e32 v56, 28, v50
	v_sub_nc_u32_e32 v50, 29, v50
	v_lshlrev_b64_e32 v[26:27], v56, v[26:27]
	s_delay_alu instid0(VALU_DEP_1)
	v_and_b32_e32 v26, 7, v26
; %bb.527:                              ;   in Loop: Header=BB336_424 Depth=1
	s_or_b32 exec_lo, exec_lo, s16
	s_delay_alu instid0(VALU_DEP_1) | instskip(SKIP_1) | instid1(VALU_DEP_2)
	v_dual_lshlrev_b32 v16, 16, v16 :: v_dual_lshlrev_b32 v26, 20, v26
	v_lshl_add_u32 v27, v50, 23, 0x3c000000
	v_and_b32_e32 v16, 0x80000000, v16
	s_delay_alu instid0(VALU_DEP_1)
	v_or3_b32 v26, v26, v16, v27
.LBB336_528:                            ;   in Loop: Header=BB336_424 Depth=1
	s_or_b32 exec_lo, exec_lo, s15
.LBB336_529:                            ;   in Loop: Header=BB336_424 Depth=1
	s_delay_alu instid0(SALU_CYCLE_1)
	s_or_b32 exec_lo, exec_lo, s14
.LBB336_530:                            ;   in Loop: Header=BB336_424 Depth=1
	s_delay_alu instid0(SALU_CYCLE_1) | instskip(SKIP_3) | instid1(VALU_DEP_2)
	s_or_b32 exec_lo, exec_lo, s11
	v_dual_mov_b32 v27, 0 :: v_dual_lshrrev_b32 v50, 16, v25
	v_mov_b32_e32 v58, 0
	s_mov_b32 s11, exec_lo
	v_and_b32_e32 v16, 0xff, v50
	s_delay_alu instid0(VALU_DEP_1)
	v_cmpx_ne_u16_e32 0, v16
	s_cbranch_execz .LBB336_538
; %bb.531:                              ;   in Loop: Header=BB336_424 Depth=1
	v_bfrev_b32_e32 v58, 1
	s_mov_b32 s14, exec_lo
	v_cmpx_ne_u16_e32 0x80, v16
	s_cbranch_execz .LBB336_537
; %bb.532:                              ;   in Loop: Header=BB336_424 Depth=1
	v_bfe_u32 v57, v25, 16, 7
	v_mov_b32_e32 v58, 0x7f800001
	s_mov_b32 s15, exec_lo
	s_delay_alu instid0(VALU_DEP_2)
	v_cmpx_ne_u32_e32 0x7f, v57
	s_cbranch_execz .LBB336_536
; %bb.533:                              ;   in Loop: Header=BB336_424 Depth=1
	v_dual_lshrrev_b32 v56, 3, v57 :: v_dual_bitop2_b32 v16, 7, v50 bitop3:0x40
	s_mov_b32 s16, exec_lo
	v_cmpx_gt_u32_e32 8, v57
; %bb.534:                              ;   in Loop: Header=BB336_424 Depth=1
	s_delay_alu instid0(VALU_DEP_2) | instskip(NEXT) | instid1(VALU_DEP_1)
	v_clz_i32_u32_e32 v56, v16
	v_min_u32_e32 v56, 32, v56
	s_delay_alu instid0(VALU_DEP_1) | instskip(NEXT) | instid1(VALU_DEP_1)
	v_subrev_nc_u32_e32 v57, 28, v56
	v_lshlrev_b64_e32 v[58:59], v57, v[16:17]
	s_delay_alu instid0(VALU_DEP_1)
	v_dual_sub_nc_u32 v56, 29, v56 :: v_dual_bitop2_b32 v16, 7, v58 bitop3:0x40
; %bb.535:                              ;   in Loop: Header=BB336_424 Depth=1
	s_or_b32 exec_lo, exec_lo, s16
	s_delay_alu instid0(VALU_DEP_1) | instskip(NEXT) | instid1(VALU_DEP_2)
	v_dual_lshlrev_b32 v50, 24, v50 :: v_dual_lshlrev_b32 v16, 20, v16
	v_lshl_add_u32 v56, v56, 23, 0x3c000000
	s_delay_alu instid0(VALU_DEP_2) | instskip(NEXT) | instid1(VALU_DEP_1)
	v_and_b32_e32 v50, 0x80000000, v50
	v_or3_b32 v58, v16, v50, v56
.LBB336_536:                            ;   in Loop: Header=BB336_424 Depth=1
	s_or_b32 exec_lo, exec_lo, s15
.LBB336_537:                            ;   in Loop: Header=BB336_424 Depth=1
	s_delay_alu instid0(SALU_CYCLE_1)
	s_or_b32 exec_lo, exec_lo, s14
.LBB336_538:                            ;   in Loop: Header=BB336_424 Depth=1
	s_delay_alu instid0(SALU_CYCLE_1) | instskip(NEXT) | instid1(SALU_CYCLE_1)
	s_or_b32 exec_lo, exec_lo, s11
	s_mov_b32 s11, exec_lo
	v_cmpx_lt_u64_e64 s[2:3], v[24:25]
	s_cbranch_execz .LBB336_546
; %bb.539:                              ;   in Loop: Header=BB336_424 Depth=1
	v_lshrrev_b32_e32 v24, 24, v25
	v_bfrev_b32_e32 v27, 1
	s_mov_b32 s14, exec_lo
	s_delay_alu instid0(VALU_DEP_2)
	v_cmpx_ne_u32_e32 0x80, v24
	s_cbranch_execz .LBB336_545
; %bb.540:                              ;   in Loop: Header=BB336_424 Depth=1
	v_bfe_u32 v50, v25, 24, 7
	v_mov_b32_e32 v27, 0x7f800001
	s_mov_b32 s15, exec_lo
	s_delay_alu instid0(VALU_DEP_2)
	v_cmpx_ne_u32_e32 0x7f, v50
	s_cbranch_execz .LBB336_544
; %bb.541:                              ;   in Loop: Header=BB336_424 Depth=1
	v_dual_lshrrev_b32 v25, 3, v50 :: v_dual_bitop2_b32 v16, 7, v24 bitop3:0x40
	s_mov_b32 s16, exec_lo
	v_cmpx_gt_u32_e32 8, v50
; %bb.542:                              ;   in Loop: Header=BB336_424 Depth=1
	s_delay_alu instid0(VALU_DEP_2) | instskip(NEXT) | instid1(VALU_DEP_1)
	v_clz_i32_u32_e32 v25, v16
	v_min_u32_e32 v25, 32, v25
	s_delay_alu instid0(VALU_DEP_1) | instskip(NEXT) | instid1(VALU_DEP_1)
	v_subrev_nc_u32_e32 v27, 28, v25
	v_lshlrev_b64_e32 v[56:57], v27, v[16:17]
	s_delay_alu instid0(VALU_DEP_1)
	v_dual_sub_nc_u32 v25, 29, v25 :: v_dual_bitop2_b32 v16, 7, v56 bitop3:0x40
; %bb.543:                              ;   in Loop: Header=BB336_424 Depth=1
	s_or_b32 exec_lo, exec_lo, s16
	v_lshlrev_b32_e32 v24, 24, v24
	s_delay_alu instid0(VALU_DEP_2) | instskip(NEXT) | instid1(VALU_DEP_3)
	v_lshlrev_b32_e32 v16, 20, v16
	v_lshl_add_u32 v25, v25, 23, 0x3c000000
	s_delay_alu instid0(VALU_DEP_3) | instskip(NEXT) | instid1(VALU_DEP_1)
	v_and_b32_e32 v24, 0x80000000, v24
	v_or3_b32 v27, v16, v24, v25
.LBB336_544:                            ;   in Loop: Header=BB336_424 Depth=1
	s_or_b32 exec_lo, exec_lo, s15
.LBB336_545:                            ;   in Loop: Header=BB336_424 Depth=1
	s_delay_alu instid0(SALU_CYCLE_1)
	s_or_b32 exec_lo, exec_lo, s14
.LBB336_546:                            ;   in Loop: Header=BB336_424 Depth=1
	s_delay_alu instid0(SALU_CYCLE_1)
	s_or_b32 exec_lo, exec_lo, s11
	v_fma_mixlo_bf16 v50, s6, v26, 0
	v_fma_mixlo_bf16 v51, s6, v51, 0
	;; [unrolled: 1-line block ×8, first 2 shown]
	s_and_saveexec_b32 s11, vcc_lo
	s_cbranch_execz .LBB336_548
; %bb.547:                              ;   in Loop: Header=BB336_424 Depth=1
	v_cmp_gt_i32_e64 s0, s23, v43
	s_delay_alu instid0(VALU_DEP_1) | instskip(SKIP_1) | instid1(VALU_DEP_1)
	v_cndmask_b32_e64 v57, 0, v57, s0
	v_cmp_gt_i32_e64 s0, s23, v49
	v_cndmask_b32_e64 v56, 0, v56, s0
	v_cmp_gt_i32_e64 s0, s23, v48
	s_delay_alu instid0(VALU_DEP_1) | instskip(SKIP_1) | instid1(VALU_DEP_1)
	v_cndmask_b32_e64 v55, 0, v55, s0
	v_cmp_gt_i32_e64 s0, s23, v47
	v_cndmask_b32_e64 v54, 0, v54, s0
	;; [unrolled: 5-line block ×4, first 2 shown]
.LBB336_548:                            ;   in Loop: Header=BB336_424 Depth=1
	s_or_b32 exec_lo, exec_lo, s11
	global_load_b64 v[24:25], v[22:23], off offset:512
	v_dual_mov_b32 v59, 0 :: v_dual_mov_b32 v58, 0
	s_mov_b32 s11, exec_lo
	s_wait_loadcnt 0x0
	v_and_b32_e32 v16, 0xff, v24
	s_delay_alu instid0(VALU_DEP_1)
	v_cmpx_ne_u16_e32 0, v16
	s_cbranch_execz .LBB336_554
; %bb.549:                              ;   in Loop: Header=BB336_424 Depth=1
	v_bfrev_b32_e32 v58, 1
	s_mov_b32 s14, exec_lo
	v_cmpx_ne_u16_e32 0x80, v16
	s_cbranch_execz .LBB336_553
; %bb.550:                              ;   in Loop: Header=BB336_424 Depth=1
	v_and_b32_e32 v16, 0x7f, v24
	v_mov_b32_e32 v58, 0x7f800001
	s_mov_b32 s15, exec_lo
	s_delay_alu instid0(VALU_DEP_2)
	v_cmpx_ne_u32_e32 0x7f, v16
	s_cbranch_execz .LBB336_552
; %bb.551:                              ;   in Loop: Header=BB336_424 Depth=1
	v_and_b32_e32 v26, 7, v24
	v_cmp_gt_u32_e64 s0, 8, v16
	s_delay_alu instid0(VALU_DEP_2) | instskip(NEXT) | instid1(VALU_DEP_1)
	v_clz_i32_u32_e32 v26, v26
	v_min_u32_e32 v26, 32, v26
	v_lshrrev_b32_e32 v27, 3, v16
	s_delay_alu instid0(VALU_DEP_2) | instskip(SKIP_1) | instid1(VALU_DEP_1)
	v_subrev_nc_u32_e32 v58, 28, v26
	v_sub_nc_u32_e32 v26, 29, v26
	v_cndmask_b32_e64 v16, v27, v26, s0
	s_delay_alu instid0(VALU_DEP_3) | instskip(NEXT) | instid1(VALU_DEP_1)
	v_cndmask_b32_e64 v26, 0, v58, s0
	v_lshlrev_b64_e32 v[26:27], v26, v[24:25]
	v_lshlrev_b32_e32 v27, 24, v24
	s_delay_alu instid0(VALU_DEP_1) | instskip(NEXT) | instid1(VALU_DEP_3)
	v_and_b32_e32 v27, 0x80000000, v27
	v_lshlrev_b32_e32 v26, 20, v26
	v_lshl_add_u32 v16, v16, 23, 0x3c000000
	s_delay_alu instid0(VALU_DEP_2) | instskip(NEXT) | instid1(VALU_DEP_1)
	v_and_b32_e32 v26, 0x700000, v26
	v_or3_b32 v58, v26, v27, v16
.LBB336_552:                            ;   in Loop: Header=BB336_424 Depth=1
	s_or_b32 exec_lo, exec_lo, s15
.LBB336_553:                            ;   in Loop: Header=BB336_424 Depth=1
	s_delay_alu instid0(SALU_CYCLE_1)
	s_or_b32 exec_lo, exec_lo, s14
.LBB336_554:                            ;   in Loop: Header=BB336_424 Depth=1
	s_delay_alu instid0(SALU_CYCLE_1) | instskip(SKIP_2) | instid1(VALU_DEP_1)
	s_or_b32 exec_lo, exec_lo, s11
	v_lshrrev_b16 v16, 8, v24
	s_mov_b32 s11, exec_lo
	v_cmpx_ne_u16_e32 0, v16
	s_cbranch_execz .LBB336_562
; %bb.555:                              ;   in Loop: Header=BB336_424 Depth=1
	v_bfrev_b32_e32 v59, 1
	s_mov_b32 s14, exec_lo
	v_cmpx_ne_u16_e32 0x80, v16
	s_cbranch_execz .LBB336_561
; %bb.556:                              ;   in Loop: Header=BB336_424 Depth=1
	v_and_b32_e32 v16, 0xffff, v16
	v_mov_b32_e32 v59, 0x7f800001
	s_mov_b32 s15, exec_lo
	s_delay_alu instid0(VALU_DEP_2) | instskip(NEXT) | instid1(VALU_DEP_1)
	v_and_b32_e32 v27, 0x7f, v16
	v_cmpx_ne_u32_e32 0x7f, v27
	s_cbranch_execz .LBB336_560
; %bb.557:                              ;   in Loop: Header=BB336_424 Depth=1
	v_dual_lshrrev_b32 v26, 3, v27 :: v_dual_bitop2_b32 v16, 7, v16 bitop3:0x40
	s_mov_b32 s16, exec_lo
	v_cmpx_gt_u32_e32 8, v27
; %bb.558:                              ;   in Loop: Header=BB336_424 Depth=1
	s_delay_alu instid0(VALU_DEP_2) | instskip(NEXT) | instid1(VALU_DEP_1)
	v_clz_i32_u32_e32 v26, v16
	v_min_u32_e32 v26, 32, v26
	s_delay_alu instid0(VALU_DEP_1) | instskip(NEXT) | instid1(VALU_DEP_1)
	v_subrev_nc_u32_e32 v27, 28, v26
	v_lshlrev_b64_e32 v[60:61], v27, v[16:17]
	s_delay_alu instid0(VALU_DEP_1)
	v_dual_sub_nc_u32 v26, 29, v26 :: v_dual_bitop2_b32 v16, 7, v60 bitop3:0x40
; %bb.559:                              ;   in Loop: Header=BB336_424 Depth=1
	s_or_b32 exec_lo, exec_lo, s16
	v_lshlrev_b32_e32 v27, 16, v24
	s_delay_alu instid0(VALU_DEP_2) | instskip(NEXT) | instid1(VALU_DEP_3)
	v_lshlrev_b32_e32 v16, 20, v16
	v_lshl_add_u32 v26, v26, 23, 0x3c000000
	s_delay_alu instid0(VALU_DEP_3) | instskip(NEXT) | instid1(VALU_DEP_1)
	v_and_b32_e32 v27, 0x80000000, v27
	v_or3_b32 v59, v16, v27, v26
.LBB336_560:                            ;   in Loop: Header=BB336_424 Depth=1
	s_or_b32 exec_lo, exec_lo, s15
.LBB336_561:                            ;   in Loop: Header=BB336_424 Depth=1
	s_delay_alu instid0(SALU_CYCLE_1)
	s_or_b32 exec_lo, exec_lo, s14
.LBB336_562:                            ;   in Loop: Header=BB336_424 Depth=1
	s_delay_alu instid0(SALU_CYCLE_1) | instskip(SKIP_3) | instid1(VALU_DEP_2)
	s_or_b32 exec_lo, exec_lo, s11
	v_dual_lshrrev_b32 v26, 16, v24 :: v_dual_mov_b32 v62, 0
	v_mov_b32_e32 v63, 0
	s_mov_b32 s11, exec_lo
	v_and_b32_e32 v16, 0xff, v26
	s_delay_alu instid0(VALU_DEP_1)
	v_cmpx_ne_u16_e32 0, v16
	s_cbranch_execz .LBB336_570
; %bb.563:                              ;   in Loop: Header=BB336_424 Depth=1
	v_bfrev_b32_e32 v63, 1
	s_mov_b32 s14, exec_lo
	v_cmpx_ne_u16_e32 0x80, v16
	s_cbranch_execz .LBB336_569
; %bb.564:                              ;   in Loop: Header=BB336_424 Depth=1
	v_bfe_u32 v60, v24, 16, 7
	v_mov_b32_e32 v63, 0x7f800001
	s_mov_b32 s15, exec_lo
	s_delay_alu instid0(VALU_DEP_2)
	v_cmpx_ne_u32_e32 0x7f, v60
	s_cbranch_execz .LBB336_568
; %bb.565:                              ;   in Loop: Header=BB336_424 Depth=1
	v_dual_lshrrev_b32 v27, 3, v60 :: v_dual_bitop2_b32 v16, 7, v26 bitop3:0x40
	s_mov_b32 s16, exec_lo
	v_cmpx_gt_u32_e32 8, v60
; %bb.566:                              ;   in Loop: Header=BB336_424 Depth=1
	s_delay_alu instid0(VALU_DEP_2) | instskip(NEXT) | instid1(VALU_DEP_1)
	v_clz_i32_u32_e32 v27, v16
	v_min_u32_e32 v27, 32, v27
	s_delay_alu instid0(VALU_DEP_1) | instskip(NEXT) | instid1(VALU_DEP_1)
	v_subrev_nc_u32_e32 v60, 28, v27
	v_lshlrev_b64_e32 v[60:61], v60, v[16:17]
	s_delay_alu instid0(VALU_DEP_1)
	v_dual_sub_nc_u32 v27, 29, v27 :: v_dual_bitop2_b32 v16, 7, v60 bitop3:0x40
; %bb.567:                              ;   in Loop: Header=BB336_424 Depth=1
	s_or_b32 exec_lo, exec_lo, s16
	s_delay_alu instid0(VALU_DEP_1) | instskip(NEXT) | instid1(VALU_DEP_2)
	v_dual_lshlrev_b32 v26, 24, v26 :: v_dual_lshlrev_b32 v16, 20, v16
	v_lshl_add_u32 v27, v27, 23, 0x3c000000
	s_delay_alu instid0(VALU_DEP_2) | instskip(NEXT) | instid1(VALU_DEP_1)
	v_and_b32_e32 v26, 0x80000000, v26
	v_or3_b32 v63, v16, v26, v27
.LBB336_568:                            ;   in Loop: Header=BB336_424 Depth=1
	s_or_b32 exec_lo, exec_lo, s15
.LBB336_569:                            ;   in Loop: Header=BB336_424 Depth=1
	s_delay_alu instid0(SALU_CYCLE_1)
	s_or_b32 exec_lo, exec_lo, s14
.LBB336_570:                            ;   in Loop: Header=BB336_424 Depth=1
	s_delay_alu instid0(SALU_CYCLE_1) | instskip(NEXT) | instid1(SALU_CYCLE_1)
	s_or_b32 exec_lo, exec_lo, s11
	s_mov_b32 s11, exec_lo
	v_cmpx_lt_u32_e32 0xffffff, v24
	s_cbranch_execz .LBB336_578
; %bb.571:                              ;   in Loop: Header=BB336_424 Depth=1
	v_lshrrev_b32_e32 v26, 24, v24
	v_bfrev_b32_e32 v62, 1
	s_mov_b32 s14, exec_lo
	s_delay_alu instid0(VALU_DEP_2)
	v_cmpx_ne_u32_e32 0x80, v26
	s_cbranch_execz .LBB336_577
; %bb.572:                              ;   in Loop: Header=BB336_424 Depth=1
	v_bfe_u32 v60, v24, 24, 7
	v_mov_b32_e32 v62, 0x7f800001
	s_mov_b32 s15, exec_lo
	s_delay_alu instid0(VALU_DEP_2)
	v_cmpx_ne_u32_e32 0x7f, v60
	s_cbranch_execz .LBB336_576
; %bb.573:                              ;   in Loop: Header=BB336_424 Depth=1
	v_dual_lshrrev_b32 v27, 3, v60 :: v_dual_bitop2_b32 v16, 7, v26 bitop3:0x40
	s_mov_b32 s16, exec_lo
	v_cmpx_gt_u32_e32 8, v60
; %bb.574:                              ;   in Loop: Header=BB336_424 Depth=1
	s_delay_alu instid0(VALU_DEP_2) | instskip(NEXT) | instid1(VALU_DEP_1)
	v_clz_i32_u32_e32 v27, v16
	v_min_u32_e32 v27, 32, v27
	s_delay_alu instid0(VALU_DEP_1) | instskip(NEXT) | instid1(VALU_DEP_1)
	v_subrev_nc_u32_e32 v60, 28, v27
	v_lshlrev_b64_e32 v[60:61], v60, v[16:17]
	s_delay_alu instid0(VALU_DEP_1)
	v_dual_sub_nc_u32 v27, 29, v27 :: v_dual_bitop2_b32 v16, 7, v60 bitop3:0x40
; %bb.575:                              ;   in Loop: Header=BB336_424 Depth=1
	s_or_b32 exec_lo, exec_lo, s16
	s_delay_alu instid0(VALU_DEP_1) | instskip(NEXT) | instid1(VALU_DEP_2)
	v_dual_lshlrev_b32 v26, 24, v26 :: v_dual_lshlrev_b32 v16, 20, v16
	v_lshl_add_u32 v27, v27, 23, 0x3c000000
	s_delay_alu instid0(VALU_DEP_2) | instskip(NEXT) | instid1(VALU_DEP_1)
	v_and_b32_e32 v26, 0x80000000, v26
	v_or3_b32 v62, v16, v26, v27
.LBB336_576:                            ;   in Loop: Header=BB336_424 Depth=1
	s_or_b32 exec_lo, exec_lo, s15
.LBB336_577:                            ;   in Loop: Header=BB336_424 Depth=1
	s_delay_alu instid0(SALU_CYCLE_1)
	s_or_b32 exec_lo, exec_lo, s14
.LBB336_578:                            ;   in Loop: Header=BB336_424 Depth=1
	s_delay_alu instid0(SALU_CYCLE_1) | instskip(SKIP_4) | instid1(VALU_DEP_3)
	s_or_b32 exec_lo, exec_lo, s11
	v_and_b32_e32 v27, 0xff, v25
	v_dual_mov_b32 v16, v25 :: v_dual_mov_b32 v26, 0
	v_mov_b32_e32 v61, 0
	s_mov_b32 s11, exec_lo
	v_cmpx_ne_u16_e32 0, v27
	s_cbranch_execz .LBB336_584
; %bb.579:                              ;   in Loop: Header=BB336_424 Depth=1
	v_bfrev_b32_e32 v61, 1
	s_mov_b32 s14, exec_lo
	v_cmpx_ne_u16_e32 0x80, v27
	s_cbranch_execz .LBB336_583
; %bb.580:                              ;   in Loop: Header=BB336_424 Depth=1
	v_and_b32_e32 v27, 0x7f, v25
	v_mov_b32_e32 v61, 0x7f800001
	s_mov_b32 s15, exec_lo
	s_delay_alu instid0(VALU_DEP_2)
	v_cmpx_ne_u32_e32 0x7f, v27
	s_cbranch_execz .LBB336_582
; %bb.581:                              ;   in Loop: Header=BB336_424 Depth=1
	v_dual_lshrrev_b32 v61, 3, v27 :: v_dual_bitop2_b32 v60, 7, v25 bitop3:0x40
	v_cmp_gt_u32_e64 s0, 8, v27
	s_delay_alu instid0(VALU_DEP_2) | instskip(NEXT) | instid1(VALU_DEP_1)
	v_clz_i32_u32_e32 v60, v60
	v_min_u32_e32 v60, 32, v60
	s_delay_alu instid0(VALU_DEP_1) | instskip(SKIP_1) | instid1(VALU_DEP_1)
	v_subrev_nc_u32_e32 v64, 28, v60
	v_sub_nc_u32_e32 v60, 29, v60
	v_cndmask_b32_e64 v27, v61, v60, s0
	s_delay_alu instid0(VALU_DEP_3) | instskip(NEXT) | instid1(VALU_DEP_1)
	v_cndmask_b32_e64 v60, 0, v64, s0
	v_lshlrev_b64_e32 v[60:61], v60, v[16:17]
	v_lshlrev_b32_e32 v61, 24, v16
	s_delay_alu instid0(VALU_DEP_1) | instskip(NEXT) | instid1(VALU_DEP_3)
	v_and_b32_e32 v61, 0x80000000, v61
	v_lshlrev_b32_e32 v60, 20, v60
	v_lshl_add_u32 v27, v27, 23, 0x3c000000
	s_delay_alu instid0(VALU_DEP_2) | instskip(NEXT) | instid1(VALU_DEP_1)
	v_and_b32_e32 v60, 0x700000, v60
	v_or3_b32 v61, v60, v61, v27
.LBB336_582:                            ;   in Loop: Header=BB336_424 Depth=1
	s_or_b32 exec_lo, exec_lo, s15
.LBB336_583:                            ;   in Loop: Header=BB336_424 Depth=1
	s_delay_alu instid0(SALU_CYCLE_1)
	s_or_b32 exec_lo, exec_lo, s14
.LBB336_584:                            ;   in Loop: Header=BB336_424 Depth=1
	s_delay_alu instid0(SALU_CYCLE_1) | instskip(SKIP_2) | instid1(VALU_DEP_1)
	s_or_b32 exec_lo, exec_lo, s11
	v_lshrrev_b16 v27, 8, v16
	s_mov_b32 s11, exec_lo
	v_cmpx_ne_u16_e32 0, v27
	s_cbranch_execz .LBB336_592
; %bb.585:                              ;   in Loop: Header=BB336_424 Depth=1
	v_bfrev_b32_e32 v26, 1
	s_mov_b32 s14, exec_lo
	v_cmpx_ne_u16_e32 0x80, v27
	s_cbranch_execz .LBB336_591
; %bb.586:                              ;   in Loop: Header=BB336_424 Depth=1
	v_and_b32_e32 v27, 0xffff, v27
	v_mov_b32_e32 v26, 0x7f800001
	s_mov_b32 s15, exec_lo
	s_delay_alu instid0(VALU_DEP_2) | instskip(NEXT) | instid1(VALU_DEP_1)
	v_and_b32_e32 v64, 0x7f, v27
	v_cmpx_ne_u32_e32 0x7f, v64
	s_cbranch_execz .LBB336_590
; %bb.587:                              ;   in Loop: Header=BB336_424 Depth=1
	v_dual_mov_b32 v27, v17 :: v_dual_bitop2_b32 v26, 7, v27 bitop3:0x40
	v_lshrrev_b32_e32 v60, 3, v64
	s_mov_b32 s16, exec_lo
	v_cmpx_gt_u32_e32 8, v64
; %bb.588:                              ;   in Loop: Header=BB336_424 Depth=1
	s_delay_alu instid0(VALU_DEP_3) | instskip(NEXT) | instid1(VALU_DEP_1)
	v_clz_i32_u32_e32 v60, v26
	v_min_u32_e32 v60, 32, v60
	s_delay_alu instid0(VALU_DEP_1) | instskip(NEXT) | instid1(VALU_DEP_1)
	v_subrev_nc_u32_e32 v64, 28, v60
	v_lshlrev_b64_e32 v[26:27], v64, v[26:27]
	s_delay_alu instid0(VALU_DEP_1)
	v_dual_sub_nc_u32 v60, 29, v60 :: v_dual_bitop2_b32 v26, 7, v26 bitop3:0x40
; %bb.589:                              ;   in Loop: Header=BB336_424 Depth=1
	s_or_b32 exec_lo, exec_lo, s16
	s_delay_alu instid0(VALU_DEP_1) | instskip(NEXT) | instid1(VALU_DEP_2)
	v_dual_lshlrev_b32 v16, 16, v16 :: v_dual_lshlrev_b32 v26, 20, v26
	v_lshl_add_u32 v27, v60, 23, 0x3c000000
	s_delay_alu instid0(VALU_DEP_2) | instskip(NEXT) | instid1(VALU_DEP_1)
	v_and_b32_e32 v16, 0x80000000, v16
	v_or3_b32 v26, v26, v16, v27
.LBB336_590:                            ;   in Loop: Header=BB336_424 Depth=1
	s_or_b32 exec_lo, exec_lo, s15
.LBB336_591:                            ;   in Loop: Header=BB336_424 Depth=1
	s_delay_alu instid0(SALU_CYCLE_1)
	s_or_b32 exec_lo, exec_lo, s14
.LBB336_592:                            ;   in Loop: Header=BB336_424 Depth=1
	s_delay_alu instid0(SALU_CYCLE_1) | instskip(SKIP_3) | instid1(VALU_DEP_2)
	s_or_b32 exec_lo, exec_lo, s11
	v_dual_mov_b32 v27, 0 :: v_dual_lshrrev_b32 v60, 16, v25
	v_mov_b32_e32 v66, 0
	s_mov_b32 s11, exec_lo
	v_and_b32_e32 v16, 0xff, v60
	s_delay_alu instid0(VALU_DEP_1)
	v_cmpx_ne_u16_e32 0, v16
	s_cbranch_execz .LBB336_600
; %bb.593:                              ;   in Loop: Header=BB336_424 Depth=1
	v_bfrev_b32_e32 v66, 1
	s_mov_b32 s14, exec_lo
	v_cmpx_ne_u16_e32 0x80, v16
	s_cbranch_execz .LBB336_599
; %bb.594:                              ;   in Loop: Header=BB336_424 Depth=1
	v_bfe_u32 v65, v25, 16, 7
	v_mov_b32_e32 v66, 0x7f800001
	s_mov_b32 s15, exec_lo
	s_delay_alu instid0(VALU_DEP_2)
	v_cmpx_ne_u32_e32 0x7f, v65
	s_cbranch_execz .LBB336_598
; %bb.595:                              ;   in Loop: Header=BB336_424 Depth=1
	v_dual_lshrrev_b32 v64, 3, v65 :: v_dual_bitop2_b32 v16, 7, v60 bitop3:0x40
	s_mov_b32 s16, exec_lo
	v_cmpx_gt_u32_e32 8, v65
; %bb.596:                              ;   in Loop: Header=BB336_424 Depth=1
	s_delay_alu instid0(VALU_DEP_2) | instskip(NEXT) | instid1(VALU_DEP_1)
	v_clz_i32_u32_e32 v64, v16
	v_min_u32_e32 v64, 32, v64
	s_delay_alu instid0(VALU_DEP_1) | instskip(NEXT) | instid1(VALU_DEP_1)
	v_subrev_nc_u32_e32 v65, 28, v64
	v_lshlrev_b64_e32 v[66:67], v65, v[16:17]
	s_delay_alu instid0(VALU_DEP_1)
	v_dual_sub_nc_u32 v64, 29, v64 :: v_dual_bitop2_b32 v16, 7, v66 bitop3:0x40
; %bb.597:                              ;   in Loop: Header=BB336_424 Depth=1
	s_or_b32 exec_lo, exec_lo, s16
	v_lshlrev_b32_e32 v60, 24, v60
	s_delay_alu instid0(VALU_DEP_2) | instskip(NEXT) | instid1(VALU_DEP_3)
	v_lshlrev_b32_e32 v16, 20, v16
	v_lshl_add_u32 v64, v64, 23, 0x3c000000
	s_delay_alu instid0(VALU_DEP_3) | instskip(NEXT) | instid1(VALU_DEP_1)
	v_and_b32_e32 v60, 0x80000000, v60
	v_or3_b32 v66, v16, v60, v64
.LBB336_598:                            ;   in Loop: Header=BB336_424 Depth=1
	s_or_b32 exec_lo, exec_lo, s15
.LBB336_599:                            ;   in Loop: Header=BB336_424 Depth=1
	s_delay_alu instid0(SALU_CYCLE_1)
	s_or_b32 exec_lo, exec_lo, s14
.LBB336_600:                            ;   in Loop: Header=BB336_424 Depth=1
	s_delay_alu instid0(SALU_CYCLE_1) | instskip(NEXT) | instid1(SALU_CYCLE_1)
	s_or_b32 exec_lo, exec_lo, s11
	s_mov_b32 s11, exec_lo
	v_cmpx_lt_u64_e64 s[2:3], v[24:25]
	s_cbranch_execz .LBB336_608
; %bb.601:                              ;   in Loop: Header=BB336_424 Depth=1
	v_lshrrev_b32_e32 v24, 24, v25
	v_bfrev_b32_e32 v27, 1
	s_mov_b32 s14, exec_lo
	s_delay_alu instid0(VALU_DEP_2)
	v_cmpx_ne_u32_e32 0x80, v24
	s_cbranch_execz .LBB336_607
; %bb.602:                              ;   in Loop: Header=BB336_424 Depth=1
	v_bfe_u32 v60, v25, 24, 7
	v_mov_b32_e32 v27, 0x7f800001
	s_mov_b32 s15, exec_lo
	s_delay_alu instid0(VALU_DEP_2)
	v_cmpx_ne_u32_e32 0x7f, v60
	s_cbranch_execz .LBB336_606
; %bb.603:                              ;   in Loop: Header=BB336_424 Depth=1
	v_and_b32_e32 v16, 7, v24
	v_lshrrev_b32_e32 v25, 3, v60
	s_mov_b32 s16, exec_lo
	v_cmpx_gt_u32_e32 8, v60
; %bb.604:                              ;   in Loop: Header=BB336_424 Depth=1
	s_delay_alu instid0(VALU_DEP_3) | instskip(NEXT) | instid1(VALU_DEP_1)
	v_clz_i32_u32_e32 v25, v16
	v_min_u32_e32 v25, 32, v25
	s_delay_alu instid0(VALU_DEP_1) | instskip(NEXT) | instid1(VALU_DEP_1)
	v_subrev_nc_u32_e32 v27, 28, v25
	v_lshlrev_b64_e32 v[64:65], v27, v[16:17]
	s_delay_alu instid0(VALU_DEP_1)
	v_dual_sub_nc_u32 v25, 29, v25 :: v_dual_bitop2_b32 v16, 7, v64 bitop3:0x40
; %bb.605:                              ;   in Loop: Header=BB336_424 Depth=1
	s_or_b32 exec_lo, exec_lo, s16
	v_lshlrev_b32_e32 v24, 24, v24
	s_delay_alu instid0(VALU_DEP_2) | instskip(NEXT) | instid1(VALU_DEP_3)
	v_lshlrev_b32_e32 v16, 20, v16
	v_lshl_add_u32 v25, v25, 23, 0x3c000000
	s_delay_alu instid0(VALU_DEP_3) | instskip(NEXT) | instid1(VALU_DEP_1)
	v_and_b32_e32 v24, 0x80000000, v24
	v_or3_b32 v27, v16, v24, v25
.LBB336_606:                            ;   in Loop: Header=BB336_424 Depth=1
	s_or_b32 exec_lo, exec_lo, s15
.LBB336_607:                            ;   in Loop: Header=BB336_424 Depth=1
	s_delay_alu instid0(SALU_CYCLE_1)
	s_or_b32 exec_lo, exec_lo, s14
.LBB336_608:                            ;   in Loop: Header=BB336_424 Depth=1
	s_delay_alu instid0(SALU_CYCLE_1)
	s_or_b32 exec_lo, exec_lo, s11
	v_fma_mixlo_bf16 v60, s6, v26, 0
	v_fma_mixlo_bf16 v61, s6, v61, 0
	v_fma_mixlo_bf16 v62, s6, v62, 0
	v_fma_mixlo_bf16 v63, s6, v63, 0
	v_fma_mixlo_bf16 v64, s6, v59, 0
	v_fma_mixlo_bf16 v65, s6, v58, 0
	v_fma_mixlo_bf16 v58, s6, v66, 0
	v_fma_mixlo_bf16 v59, s6, v27, 0
	s_and_saveexec_b32 s11, vcc_lo
	s_cbranch_execz .LBB336_610
; %bb.609:                              ;   in Loop: Header=BB336_424 Depth=1
	v_cmp_gt_i32_e64 s0, s23, v43
	s_delay_alu instid0(VALU_DEP_1) | instskip(SKIP_1) | instid1(VALU_DEP_1)
	v_cndmask_b32_e64 v65, 0, v65, s0
	v_cmp_gt_i32_e64 s0, s23, v49
	v_cndmask_b32_e64 v64, 0, v64, s0
	v_cmp_gt_i32_e64 s0, s23, v48
	s_delay_alu instid0(VALU_DEP_1) | instskip(SKIP_1) | instid1(VALU_DEP_1)
	v_cndmask_b32_e64 v63, 0, v63, s0
	v_cmp_gt_i32_e64 s0, s23, v47
	v_cndmask_b32_e64 v62, 0, v62, s0
	;; [unrolled: 5-line block ×4, first 2 shown]
.LBB336_610:                            ;   in Loop: Header=BB336_424 Depth=1
	s_or_b32 exec_lo, exec_lo, s11
	global_load_b64 v[24:25], v[22:23], off offset:768
	v_dual_mov_b32 v67, 0 :: v_dual_mov_b32 v66, 0
	s_mov_b32 s11, exec_lo
	s_wait_loadcnt 0x0
	v_and_b32_e32 v16, 0xff, v24
	s_delay_alu instid0(VALU_DEP_1)
	v_cmpx_ne_u16_e32 0, v16
	s_cbranch_execz .LBB336_616
; %bb.611:                              ;   in Loop: Header=BB336_424 Depth=1
	v_bfrev_b32_e32 v66, 1
	s_mov_b32 s14, exec_lo
	v_cmpx_ne_u16_e32 0x80, v16
	s_cbranch_execz .LBB336_615
; %bb.612:                              ;   in Loop: Header=BB336_424 Depth=1
	v_and_b32_e32 v16, 0x7f, v24
	v_mov_b32_e32 v66, 0x7f800001
	s_mov_b32 s15, exec_lo
	s_delay_alu instid0(VALU_DEP_2)
	v_cmpx_ne_u32_e32 0x7f, v16
	s_cbranch_execz .LBB336_614
; %bb.613:                              ;   in Loop: Header=BB336_424 Depth=1
	v_and_b32_e32 v26, 7, v24
	v_cmp_gt_u32_e64 s0, 8, v16
	s_delay_alu instid0(VALU_DEP_2) | instskip(NEXT) | instid1(VALU_DEP_1)
	v_clz_i32_u32_e32 v26, v26
	v_min_u32_e32 v26, 32, v26
	v_lshrrev_b32_e32 v27, 3, v16
	s_delay_alu instid0(VALU_DEP_2) | instskip(SKIP_1) | instid1(VALU_DEP_1)
	v_subrev_nc_u32_e32 v66, 28, v26
	v_sub_nc_u32_e32 v26, 29, v26
	v_cndmask_b32_e64 v16, v27, v26, s0
	s_delay_alu instid0(VALU_DEP_3) | instskip(NEXT) | instid1(VALU_DEP_1)
	v_cndmask_b32_e64 v26, 0, v66, s0
	v_lshlrev_b64_e32 v[26:27], v26, v[24:25]
	v_lshlrev_b32_e32 v27, 24, v24
	s_delay_alu instid0(VALU_DEP_1) | instskip(NEXT) | instid1(VALU_DEP_3)
	v_and_b32_e32 v27, 0x80000000, v27
	v_lshlrev_b32_e32 v26, 20, v26
	v_lshl_add_u32 v16, v16, 23, 0x3c000000
	s_delay_alu instid0(VALU_DEP_2) | instskip(NEXT) | instid1(VALU_DEP_1)
	v_and_b32_e32 v26, 0x700000, v26
	v_or3_b32 v66, v26, v27, v16
.LBB336_614:                            ;   in Loop: Header=BB336_424 Depth=1
	s_or_b32 exec_lo, exec_lo, s15
.LBB336_615:                            ;   in Loop: Header=BB336_424 Depth=1
	s_delay_alu instid0(SALU_CYCLE_1)
	s_or_b32 exec_lo, exec_lo, s14
.LBB336_616:                            ;   in Loop: Header=BB336_424 Depth=1
	s_delay_alu instid0(SALU_CYCLE_1) | instskip(SKIP_2) | instid1(VALU_DEP_1)
	s_or_b32 exec_lo, exec_lo, s11
	v_lshrrev_b16 v16, 8, v24
	s_mov_b32 s11, exec_lo
	v_cmpx_ne_u16_e32 0, v16
	s_cbranch_execz .LBB336_624
; %bb.617:                              ;   in Loop: Header=BB336_424 Depth=1
	v_bfrev_b32_e32 v67, 1
	s_mov_b32 s14, exec_lo
	v_cmpx_ne_u16_e32 0x80, v16
	s_cbranch_execz .LBB336_623
; %bb.618:                              ;   in Loop: Header=BB336_424 Depth=1
	v_and_b32_e32 v16, 0xffff, v16
	v_mov_b32_e32 v67, 0x7f800001
	s_mov_b32 s15, exec_lo
	s_delay_alu instid0(VALU_DEP_2) | instskip(NEXT) | instid1(VALU_DEP_1)
	v_and_b32_e32 v27, 0x7f, v16
	v_cmpx_ne_u32_e32 0x7f, v27
	s_cbranch_execz .LBB336_622
; %bb.619:                              ;   in Loop: Header=BB336_424 Depth=1
	v_dual_lshrrev_b32 v26, 3, v27 :: v_dual_bitop2_b32 v16, 7, v16 bitop3:0x40
	s_mov_b32 s16, exec_lo
	v_cmpx_gt_u32_e32 8, v27
; %bb.620:                              ;   in Loop: Header=BB336_424 Depth=1
	s_delay_alu instid0(VALU_DEP_2) | instskip(NEXT) | instid1(VALU_DEP_1)
	v_clz_i32_u32_e32 v26, v16
	v_min_u32_e32 v26, 32, v26
	s_delay_alu instid0(VALU_DEP_1) | instskip(NEXT) | instid1(VALU_DEP_1)
	v_subrev_nc_u32_e32 v27, 28, v26
	v_lshlrev_b64_e32 v[68:69], v27, v[16:17]
	s_delay_alu instid0(VALU_DEP_1)
	v_dual_sub_nc_u32 v26, 29, v26 :: v_dual_bitop2_b32 v16, 7, v68 bitop3:0x40
; %bb.621:                              ;   in Loop: Header=BB336_424 Depth=1
	s_or_b32 exec_lo, exec_lo, s16
	v_lshlrev_b32_e32 v27, 16, v24
	s_delay_alu instid0(VALU_DEP_2) | instskip(NEXT) | instid1(VALU_DEP_3)
	v_lshlrev_b32_e32 v16, 20, v16
	v_lshl_add_u32 v26, v26, 23, 0x3c000000
	s_delay_alu instid0(VALU_DEP_3) | instskip(NEXT) | instid1(VALU_DEP_1)
	v_and_b32_e32 v27, 0x80000000, v27
	v_or3_b32 v67, v16, v27, v26
.LBB336_622:                            ;   in Loop: Header=BB336_424 Depth=1
	s_or_b32 exec_lo, exec_lo, s15
.LBB336_623:                            ;   in Loop: Header=BB336_424 Depth=1
	s_delay_alu instid0(SALU_CYCLE_1)
	s_or_b32 exec_lo, exec_lo, s14
.LBB336_624:                            ;   in Loop: Header=BB336_424 Depth=1
	s_delay_alu instid0(SALU_CYCLE_1) | instskip(SKIP_3) | instid1(VALU_DEP_2)
	s_or_b32 exec_lo, exec_lo, s11
	v_dual_lshrrev_b32 v26, 16, v24 :: v_dual_mov_b32 v70, 0
	v_mov_b32_e32 v71, 0
	s_mov_b32 s11, exec_lo
	v_and_b32_e32 v16, 0xff, v26
	s_delay_alu instid0(VALU_DEP_1)
	v_cmpx_ne_u16_e32 0, v16
	s_cbranch_execz .LBB336_632
; %bb.625:                              ;   in Loop: Header=BB336_424 Depth=1
	v_bfrev_b32_e32 v71, 1
	s_mov_b32 s14, exec_lo
	v_cmpx_ne_u16_e32 0x80, v16
	s_cbranch_execz .LBB336_631
; %bb.626:                              ;   in Loop: Header=BB336_424 Depth=1
	v_bfe_u32 v68, v24, 16, 7
	v_mov_b32_e32 v71, 0x7f800001
	s_mov_b32 s15, exec_lo
	s_delay_alu instid0(VALU_DEP_2)
	v_cmpx_ne_u32_e32 0x7f, v68
	s_cbranch_execz .LBB336_630
; %bb.627:                              ;   in Loop: Header=BB336_424 Depth=1
	v_dual_lshrrev_b32 v27, 3, v68 :: v_dual_bitop2_b32 v16, 7, v26 bitop3:0x40
	s_mov_b32 s16, exec_lo
	v_cmpx_gt_u32_e32 8, v68
; %bb.628:                              ;   in Loop: Header=BB336_424 Depth=1
	s_delay_alu instid0(VALU_DEP_2) | instskip(NEXT) | instid1(VALU_DEP_1)
	v_clz_i32_u32_e32 v27, v16
	v_min_u32_e32 v27, 32, v27
	s_delay_alu instid0(VALU_DEP_1) | instskip(NEXT) | instid1(VALU_DEP_1)
	v_subrev_nc_u32_e32 v68, 28, v27
	v_lshlrev_b64_e32 v[68:69], v68, v[16:17]
	s_delay_alu instid0(VALU_DEP_1)
	v_dual_sub_nc_u32 v27, 29, v27 :: v_dual_bitop2_b32 v16, 7, v68 bitop3:0x40
; %bb.629:                              ;   in Loop: Header=BB336_424 Depth=1
	s_or_b32 exec_lo, exec_lo, s16
	s_delay_alu instid0(VALU_DEP_1) | instskip(NEXT) | instid1(VALU_DEP_2)
	v_dual_lshlrev_b32 v26, 24, v26 :: v_dual_lshlrev_b32 v16, 20, v16
	v_lshl_add_u32 v27, v27, 23, 0x3c000000
	s_delay_alu instid0(VALU_DEP_2) | instskip(NEXT) | instid1(VALU_DEP_1)
	v_and_b32_e32 v26, 0x80000000, v26
	v_or3_b32 v71, v16, v26, v27
.LBB336_630:                            ;   in Loop: Header=BB336_424 Depth=1
	s_or_b32 exec_lo, exec_lo, s15
.LBB336_631:                            ;   in Loop: Header=BB336_424 Depth=1
	s_delay_alu instid0(SALU_CYCLE_1)
	s_or_b32 exec_lo, exec_lo, s14
.LBB336_632:                            ;   in Loop: Header=BB336_424 Depth=1
	s_delay_alu instid0(SALU_CYCLE_1) | instskip(NEXT) | instid1(SALU_CYCLE_1)
	s_or_b32 exec_lo, exec_lo, s11
	s_mov_b32 s11, exec_lo
	v_cmpx_lt_u32_e32 0xffffff, v24
	s_cbranch_execz .LBB336_640
; %bb.633:                              ;   in Loop: Header=BB336_424 Depth=1
	v_lshrrev_b32_e32 v26, 24, v24
	v_bfrev_b32_e32 v70, 1
	s_mov_b32 s14, exec_lo
	s_delay_alu instid0(VALU_DEP_2)
	v_cmpx_ne_u32_e32 0x80, v26
	s_cbranch_execz .LBB336_639
; %bb.634:                              ;   in Loop: Header=BB336_424 Depth=1
	v_bfe_u32 v68, v24, 24, 7
	v_mov_b32_e32 v70, 0x7f800001
	s_mov_b32 s15, exec_lo
	s_delay_alu instid0(VALU_DEP_2)
	v_cmpx_ne_u32_e32 0x7f, v68
	s_cbranch_execz .LBB336_638
; %bb.635:                              ;   in Loop: Header=BB336_424 Depth=1
	v_dual_lshrrev_b32 v27, 3, v68 :: v_dual_bitop2_b32 v16, 7, v26 bitop3:0x40
	s_mov_b32 s16, exec_lo
	v_cmpx_gt_u32_e32 8, v68
; %bb.636:                              ;   in Loop: Header=BB336_424 Depth=1
	s_delay_alu instid0(VALU_DEP_2) | instskip(NEXT) | instid1(VALU_DEP_1)
	v_clz_i32_u32_e32 v27, v16
	v_min_u32_e32 v27, 32, v27
	s_delay_alu instid0(VALU_DEP_1) | instskip(NEXT) | instid1(VALU_DEP_1)
	v_subrev_nc_u32_e32 v68, 28, v27
	v_lshlrev_b64_e32 v[68:69], v68, v[16:17]
	s_delay_alu instid0(VALU_DEP_1)
	v_dual_sub_nc_u32 v27, 29, v27 :: v_dual_bitop2_b32 v16, 7, v68 bitop3:0x40
; %bb.637:                              ;   in Loop: Header=BB336_424 Depth=1
	s_or_b32 exec_lo, exec_lo, s16
	s_delay_alu instid0(VALU_DEP_1) | instskip(NEXT) | instid1(VALU_DEP_2)
	v_dual_lshlrev_b32 v26, 24, v26 :: v_dual_lshlrev_b32 v16, 20, v16
	v_lshl_add_u32 v27, v27, 23, 0x3c000000
	s_delay_alu instid0(VALU_DEP_2) | instskip(NEXT) | instid1(VALU_DEP_1)
	v_and_b32_e32 v26, 0x80000000, v26
	v_or3_b32 v70, v16, v26, v27
.LBB336_638:                            ;   in Loop: Header=BB336_424 Depth=1
	s_or_b32 exec_lo, exec_lo, s15
.LBB336_639:                            ;   in Loop: Header=BB336_424 Depth=1
	s_delay_alu instid0(SALU_CYCLE_1)
	s_or_b32 exec_lo, exec_lo, s14
.LBB336_640:                            ;   in Loop: Header=BB336_424 Depth=1
	s_delay_alu instid0(SALU_CYCLE_1) | instskip(SKIP_4) | instid1(VALU_DEP_3)
	s_or_b32 exec_lo, exec_lo, s11
	v_and_b32_e32 v27, 0xff, v25
	v_dual_mov_b32 v16, v25 :: v_dual_mov_b32 v26, 0
	v_mov_b32_e32 v69, 0
	s_mov_b32 s11, exec_lo
	v_cmpx_ne_u16_e32 0, v27
	s_cbranch_execz .LBB336_646
; %bb.641:                              ;   in Loop: Header=BB336_424 Depth=1
	v_bfrev_b32_e32 v69, 1
	s_mov_b32 s14, exec_lo
	v_cmpx_ne_u16_e32 0x80, v27
	s_cbranch_execz .LBB336_645
; %bb.642:                              ;   in Loop: Header=BB336_424 Depth=1
	v_and_b32_e32 v27, 0x7f, v25
	v_mov_b32_e32 v69, 0x7f800001
	s_mov_b32 s15, exec_lo
	s_delay_alu instid0(VALU_DEP_2)
	v_cmpx_ne_u32_e32 0x7f, v27
	s_cbranch_execz .LBB336_644
; %bb.643:                              ;   in Loop: Header=BB336_424 Depth=1
	v_dual_lshrrev_b32 v69, 3, v27 :: v_dual_bitop2_b32 v68, 7, v25 bitop3:0x40
	v_cmp_gt_u32_e64 s0, 8, v27
	s_delay_alu instid0(VALU_DEP_2) | instskip(NEXT) | instid1(VALU_DEP_1)
	v_clz_i32_u32_e32 v68, v68
	v_min_u32_e32 v68, 32, v68
	s_delay_alu instid0(VALU_DEP_1) | instskip(SKIP_1) | instid1(VALU_DEP_1)
	v_subrev_nc_u32_e32 v72, 28, v68
	v_sub_nc_u32_e32 v68, 29, v68
	v_cndmask_b32_e64 v27, v69, v68, s0
	s_delay_alu instid0(VALU_DEP_3) | instskip(NEXT) | instid1(VALU_DEP_1)
	v_cndmask_b32_e64 v68, 0, v72, s0
	v_lshlrev_b64_e32 v[68:69], v68, v[16:17]
	v_lshlrev_b32_e32 v69, 24, v16
	s_delay_alu instid0(VALU_DEP_1) | instskip(NEXT) | instid1(VALU_DEP_3)
	v_and_b32_e32 v69, 0x80000000, v69
	v_lshlrev_b32_e32 v68, 20, v68
	v_lshl_add_u32 v27, v27, 23, 0x3c000000
	s_delay_alu instid0(VALU_DEP_2) | instskip(NEXT) | instid1(VALU_DEP_1)
	v_and_b32_e32 v68, 0x700000, v68
	v_or3_b32 v69, v68, v69, v27
.LBB336_644:                            ;   in Loop: Header=BB336_424 Depth=1
	s_or_b32 exec_lo, exec_lo, s15
.LBB336_645:                            ;   in Loop: Header=BB336_424 Depth=1
	s_delay_alu instid0(SALU_CYCLE_1)
	s_or_b32 exec_lo, exec_lo, s14
.LBB336_646:                            ;   in Loop: Header=BB336_424 Depth=1
	s_delay_alu instid0(SALU_CYCLE_1) | instskip(SKIP_2) | instid1(VALU_DEP_1)
	s_or_b32 exec_lo, exec_lo, s11
	v_lshrrev_b16 v27, 8, v16
	s_mov_b32 s11, exec_lo
	v_cmpx_ne_u16_e32 0, v27
	s_cbranch_execz .LBB336_654
; %bb.647:                              ;   in Loop: Header=BB336_424 Depth=1
	v_bfrev_b32_e32 v26, 1
	s_mov_b32 s14, exec_lo
	v_cmpx_ne_u16_e32 0x80, v27
	s_cbranch_execz .LBB336_653
; %bb.648:                              ;   in Loop: Header=BB336_424 Depth=1
	v_and_b32_e32 v27, 0xffff, v27
	v_mov_b32_e32 v26, 0x7f800001
	s_mov_b32 s15, exec_lo
	s_delay_alu instid0(VALU_DEP_2) | instskip(NEXT) | instid1(VALU_DEP_1)
	v_and_b32_e32 v72, 0x7f, v27
	v_cmpx_ne_u32_e32 0x7f, v72
	s_cbranch_execz .LBB336_652
; %bb.649:                              ;   in Loop: Header=BB336_424 Depth=1
	v_dual_mov_b32 v27, v17 :: v_dual_bitop2_b32 v26, 7, v27 bitop3:0x40
	v_lshrrev_b32_e32 v68, 3, v72
	s_mov_b32 s16, exec_lo
	v_cmpx_gt_u32_e32 8, v72
; %bb.650:                              ;   in Loop: Header=BB336_424 Depth=1
	s_delay_alu instid0(VALU_DEP_3) | instskip(NEXT) | instid1(VALU_DEP_1)
	v_clz_i32_u32_e32 v68, v26
	v_min_u32_e32 v68, 32, v68
	s_delay_alu instid0(VALU_DEP_1) | instskip(NEXT) | instid1(VALU_DEP_1)
	v_subrev_nc_u32_e32 v72, 28, v68
	v_lshlrev_b64_e32 v[26:27], v72, v[26:27]
	s_delay_alu instid0(VALU_DEP_1)
	v_dual_sub_nc_u32 v68, 29, v68 :: v_dual_bitop2_b32 v26, 7, v26 bitop3:0x40
; %bb.651:                              ;   in Loop: Header=BB336_424 Depth=1
	s_or_b32 exec_lo, exec_lo, s16
	s_delay_alu instid0(VALU_DEP_1) | instskip(NEXT) | instid1(VALU_DEP_2)
	v_dual_lshlrev_b32 v16, 16, v16 :: v_dual_lshlrev_b32 v26, 20, v26
	v_lshl_add_u32 v27, v68, 23, 0x3c000000
	s_delay_alu instid0(VALU_DEP_2) | instskip(NEXT) | instid1(VALU_DEP_1)
	v_and_b32_e32 v16, 0x80000000, v16
	v_or3_b32 v26, v26, v16, v27
.LBB336_652:                            ;   in Loop: Header=BB336_424 Depth=1
	s_or_b32 exec_lo, exec_lo, s15
.LBB336_653:                            ;   in Loop: Header=BB336_424 Depth=1
	s_delay_alu instid0(SALU_CYCLE_1)
	s_or_b32 exec_lo, exec_lo, s14
.LBB336_654:                            ;   in Loop: Header=BB336_424 Depth=1
	s_delay_alu instid0(SALU_CYCLE_1) | instskip(SKIP_3) | instid1(VALU_DEP_2)
	s_or_b32 exec_lo, exec_lo, s11
	v_dual_mov_b32 v27, 0 :: v_dual_lshrrev_b32 v68, 16, v25
	v_mov_b32_e32 v74, 0
	s_mov_b32 s11, exec_lo
	v_and_b32_e32 v16, 0xff, v68
	s_delay_alu instid0(VALU_DEP_1)
	v_cmpx_ne_u16_e32 0, v16
	s_cbranch_execz .LBB336_662
; %bb.655:                              ;   in Loop: Header=BB336_424 Depth=1
	v_bfrev_b32_e32 v74, 1
	s_mov_b32 s14, exec_lo
	v_cmpx_ne_u16_e32 0x80, v16
	s_cbranch_execz .LBB336_661
; %bb.656:                              ;   in Loop: Header=BB336_424 Depth=1
	v_bfe_u32 v73, v25, 16, 7
	v_mov_b32_e32 v74, 0x7f800001
	s_mov_b32 s15, exec_lo
	s_delay_alu instid0(VALU_DEP_2)
	v_cmpx_ne_u32_e32 0x7f, v73
	s_cbranch_execz .LBB336_660
; %bb.657:                              ;   in Loop: Header=BB336_424 Depth=1
	v_dual_lshrrev_b32 v72, 3, v73 :: v_dual_bitop2_b32 v16, 7, v68 bitop3:0x40
	s_mov_b32 s16, exec_lo
	v_cmpx_gt_u32_e32 8, v73
; %bb.658:                              ;   in Loop: Header=BB336_424 Depth=1
	s_delay_alu instid0(VALU_DEP_2) | instskip(NEXT) | instid1(VALU_DEP_1)
	v_clz_i32_u32_e32 v72, v16
	v_min_u32_e32 v72, 32, v72
	s_delay_alu instid0(VALU_DEP_1) | instskip(NEXT) | instid1(VALU_DEP_1)
	v_subrev_nc_u32_e32 v73, 28, v72
	v_lshlrev_b64_e32 v[74:75], v73, v[16:17]
	s_delay_alu instid0(VALU_DEP_1)
	v_dual_sub_nc_u32 v72, 29, v72 :: v_dual_bitop2_b32 v16, 7, v74 bitop3:0x40
; %bb.659:                              ;   in Loop: Header=BB336_424 Depth=1
	s_or_b32 exec_lo, exec_lo, s16
	v_lshlrev_b32_e32 v68, 24, v68
	s_delay_alu instid0(VALU_DEP_2) | instskip(NEXT) | instid1(VALU_DEP_3)
	v_lshlrev_b32_e32 v16, 20, v16
	v_lshl_add_u32 v72, v72, 23, 0x3c000000
	s_delay_alu instid0(VALU_DEP_3) | instskip(NEXT) | instid1(VALU_DEP_1)
	v_and_b32_e32 v68, 0x80000000, v68
	v_or3_b32 v74, v16, v68, v72
.LBB336_660:                            ;   in Loop: Header=BB336_424 Depth=1
	s_or_b32 exec_lo, exec_lo, s15
.LBB336_661:                            ;   in Loop: Header=BB336_424 Depth=1
	s_delay_alu instid0(SALU_CYCLE_1)
	s_or_b32 exec_lo, exec_lo, s14
.LBB336_662:                            ;   in Loop: Header=BB336_424 Depth=1
	s_delay_alu instid0(SALU_CYCLE_1) | instskip(NEXT) | instid1(SALU_CYCLE_1)
	s_or_b32 exec_lo, exec_lo, s11
	s_mov_b32 s11, exec_lo
	v_cmpx_lt_u64_e64 s[2:3], v[24:25]
	s_cbranch_execz .LBB336_670
; %bb.663:                              ;   in Loop: Header=BB336_424 Depth=1
	v_lshrrev_b32_e32 v24, 24, v25
	v_bfrev_b32_e32 v27, 1
	s_mov_b32 s14, exec_lo
	s_delay_alu instid0(VALU_DEP_2)
	v_cmpx_ne_u32_e32 0x80, v24
	s_cbranch_execz .LBB336_669
; %bb.664:                              ;   in Loop: Header=BB336_424 Depth=1
	v_bfe_u32 v68, v25, 24, 7
	v_mov_b32_e32 v27, 0x7f800001
	s_mov_b32 s15, exec_lo
	s_delay_alu instid0(VALU_DEP_2)
	v_cmpx_ne_u32_e32 0x7f, v68
	s_cbranch_execz .LBB336_668
; %bb.665:                              ;   in Loop: Header=BB336_424 Depth=1
	v_and_b32_e32 v16, 7, v24
	v_lshrrev_b32_e32 v25, 3, v68
	s_mov_b32 s16, exec_lo
	v_cmpx_gt_u32_e32 8, v68
; %bb.666:                              ;   in Loop: Header=BB336_424 Depth=1
	s_delay_alu instid0(VALU_DEP_3) | instskip(NEXT) | instid1(VALU_DEP_1)
	v_clz_i32_u32_e32 v25, v16
	v_min_u32_e32 v25, 32, v25
	s_delay_alu instid0(VALU_DEP_1) | instskip(NEXT) | instid1(VALU_DEP_1)
	v_subrev_nc_u32_e32 v27, 28, v25
	v_lshlrev_b64_e32 v[72:73], v27, v[16:17]
	s_delay_alu instid0(VALU_DEP_1)
	v_dual_sub_nc_u32 v25, 29, v25 :: v_dual_bitop2_b32 v16, 7, v72 bitop3:0x40
; %bb.667:                              ;   in Loop: Header=BB336_424 Depth=1
	s_or_b32 exec_lo, exec_lo, s16
	v_lshlrev_b32_e32 v24, 24, v24
	s_delay_alu instid0(VALU_DEP_2) | instskip(NEXT) | instid1(VALU_DEP_3)
	v_lshlrev_b32_e32 v16, 20, v16
	v_lshl_add_u32 v25, v25, 23, 0x3c000000
	s_delay_alu instid0(VALU_DEP_3) | instskip(NEXT) | instid1(VALU_DEP_1)
	v_and_b32_e32 v24, 0x80000000, v24
	v_or3_b32 v27, v16, v24, v25
.LBB336_668:                            ;   in Loop: Header=BB336_424 Depth=1
	s_or_b32 exec_lo, exec_lo, s15
.LBB336_669:                            ;   in Loop: Header=BB336_424 Depth=1
	s_delay_alu instid0(SALU_CYCLE_1)
	s_or_b32 exec_lo, exec_lo, s14
.LBB336_670:                            ;   in Loop: Header=BB336_424 Depth=1
	s_delay_alu instid0(SALU_CYCLE_1)
	s_or_b32 exec_lo, exec_lo, s11
	v_fma_mixlo_bf16 v68, s6, v26, 0
	v_fma_mixlo_bf16 v69, s6, v69, 0
	;; [unrolled: 1-line block ×8, first 2 shown]
	s_and_saveexec_b32 s11, vcc_lo
	s_cbranch_execz .LBB336_672
; %bb.671:                              ;   in Loop: Header=BB336_424 Depth=1
	v_cmp_gt_i32_e64 s0, s23, v43
	s_delay_alu instid0(VALU_DEP_1) | instskip(SKIP_1) | instid1(VALU_DEP_1)
	v_cndmask_b32_e64 v73, 0, v73, s0
	v_cmp_gt_i32_e64 s0, s23, v49
	v_cndmask_b32_e64 v72, 0, v72, s0
	v_cmp_gt_i32_e64 s0, s23, v48
	s_delay_alu instid0(VALU_DEP_1) | instskip(SKIP_1) | instid1(VALU_DEP_1)
	v_cndmask_b32_e64 v71, 0, v71, s0
	v_cmp_gt_i32_e64 s0, s23, v47
	v_cndmask_b32_e64 v70, 0, v70, s0
	;; [unrolled: 5-line block ×4, first 2 shown]
.LBB336_672:                            ;   in Loop: Header=BB336_424 Depth=1
	s_or_b32 exec_lo, exec_lo, s11
	global_load_b64 v[24:25], v[22:23], off offset:1024
	v_dual_mov_b32 v78, 0 :: v_dual_mov_b32 v79, 0
	s_mov_b32 s11, exec_lo
	s_wait_loadcnt 0x0
	v_and_b32_e32 v16, 0xff, v24
	s_delay_alu instid0(VALU_DEP_1)
	v_cmpx_ne_u16_e32 0, v16
	s_cbranch_execz .LBB336_678
; %bb.673:                              ;   in Loop: Header=BB336_424 Depth=1
	v_bfrev_b32_e32 v79, 1
	s_mov_b32 s14, exec_lo
	v_cmpx_ne_u16_e32 0x80, v16
	s_cbranch_execz .LBB336_677
; %bb.674:                              ;   in Loop: Header=BB336_424 Depth=1
	v_and_b32_e32 v16, 0x7f, v24
	v_mov_b32_e32 v79, 0x7f800001
	s_mov_b32 s15, exec_lo
	s_delay_alu instid0(VALU_DEP_2)
	v_cmpx_ne_u32_e32 0x7f, v16
	s_cbranch_execz .LBB336_676
; %bb.675:                              ;   in Loop: Header=BB336_424 Depth=1
	v_and_b32_e32 v26, 7, v24
	v_cmp_gt_u32_e64 s0, 8, v16
	s_delay_alu instid0(VALU_DEP_2) | instskip(NEXT) | instid1(VALU_DEP_1)
	v_clz_i32_u32_e32 v26, v26
	v_min_u32_e32 v26, 32, v26
	v_lshrrev_b32_e32 v27, 3, v16
	s_delay_alu instid0(VALU_DEP_2) | instskip(SKIP_1) | instid1(VALU_DEP_1)
	v_subrev_nc_u32_e32 v74, 28, v26
	v_sub_nc_u32_e32 v26, 29, v26
	v_cndmask_b32_e64 v16, v27, v26, s0
	s_delay_alu instid0(VALU_DEP_3) | instskip(NEXT) | instid1(VALU_DEP_1)
	v_cndmask_b32_e64 v26, 0, v74, s0
	v_lshlrev_b64_e32 v[26:27], v26, v[24:25]
	v_lshlrev_b32_e32 v27, 24, v24
	s_delay_alu instid0(VALU_DEP_1) | instskip(NEXT) | instid1(VALU_DEP_3)
	v_and_b32_e32 v27, 0x80000000, v27
	v_lshlrev_b32_e32 v26, 20, v26
	v_lshl_add_u32 v16, v16, 23, 0x3c000000
	s_delay_alu instid0(VALU_DEP_2) | instskip(NEXT) | instid1(VALU_DEP_1)
	v_and_b32_e32 v26, 0x700000, v26
	v_or3_b32 v79, v26, v27, v16
.LBB336_676:                            ;   in Loop: Header=BB336_424 Depth=1
	s_or_b32 exec_lo, exec_lo, s15
.LBB336_677:                            ;   in Loop: Header=BB336_424 Depth=1
	s_delay_alu instid0(SALU_CYCLE_1)
	s_or_b32 exec_lo, exec_lo, s14
.LBB336_678:                            ;   in Loop: Header=BB336_424 Depth=1
	s_delay_alu instid0(SALU_CYCLE_1) | instskip(SKIP_2) | instid1(VALU_DEP_1)
	s_or_b32 exec_lo, exec_lo, s11
	v_lshrrev_b16 v16, 8, v24
	s_mov_b32 s11, exec_lo
	v_cmpx_ne_u16_e32 0, v16
	s_cbranch_execz .LBB336_686
; %bb.679:                              ;   in Loop: Header=BB336_424 Depth=1
	v_bfrev_b32_e32 v78, 1
	s_mov_b32 s14, exec_lo
	v_cmpx_ne_u16_e32 0x80, v16
	s_cbranch_execz .LBB336_685
; %bb.680:                              ;   in Loop: Header=BB336_424 Depth=1
	v_and_b32_e32 v16, 0xffff, v16
	v_mov_b32_e32 v78, 0x7f800001
	s_mov_b32 s15, exec_lo
	s_delay_alu instid0(VALU_DEP_2) | instskip(NEXT) | instid1(VALU_DEP_1)
	v_and_b32_e32 v27, 0x7f, v16
	v_cmpx_ne_u32_e32 0x7f, v27
	s_cbranch_execz .LBB336_684
; %bb.681:                              ;   in Loop: Header=BB336_424 Depth=1
	v_dual_lshrrev_b32 v26, 3, v27 :: v_dual_bitop2_b32 v16, 7, v16 bitop3:0x40
	s_mov_b32 s16, exec_lo
	v_cmpx_gt_u32_e32 8, v27
; %bb.682:                              ;   in Loop: Header=BB336_424 Depth=1
	s_delay_alu instid0(VALU_DEP_2) | instskip(NEXT) | instid1(VALU_DEP_1)
	v_clz_i32_u32_e32 v26, v16
	v_min_u32_e32 v26, 32, v26
	s_delay_alu instid0(VALU_DEP_1) | instskip(SKIP_1) | instid1(VALU_DEP_2)
	v_subrev_nc_u32_e32 v27, 28, v26
	v_sub_nc_u32_e32 v26, 29, v26
	v_lshlrev_b64_e32 v[74:75], v27, v[16:17]
	s_delay_alu instid0(VALU_DEP_1)
	v_and_b32_e32 v16, 7, v74
; %bb.683:                              ;   in Loop: Header=BB336_424 Depth=1
	s_or_b32 exec_lo, exec_lo, s16
	v_lshlrev_b32_e32 v27, 16, v24
	s_delay_alu instid0(VALU_DEP_2) | instskip(SKIP_1) | instid1(VALU_DEP_3)
	v_lshlrev_b32_e32 v16, 20, v16
	v_lshl_add_u32 v26, v26, 23, 0x3c000000
	v_and_b32_e32 v27, 0x80000000, v27
	s_delay_alu instid0(VALU_DEP_1)
	v_or3_b32 v78, v16, v27, v26
.LBB336_684:                            ;   in Loop: Header=BB336_424 Depth=1
	s_or_b32 exec_lo, exec_lo, s15
.LBB336_685:                            ;   in Loop: Header=BB336_424 Depth=1
	s_delay_alu instid0(SALU_CYCLE_1)
	s_or_b32 exec_lo, exec_lo, s14
.LBB336_686:                            ;   in Loop: Header=BB336_424 Depth=1
	s_delay_alu instid0(SALU_CYCLE_1) | instskip(SKIP_3) | instid1(VALU_DEP_2)
	s_or_b32 exec_lo, exec_lo, s11
	v_dual_lshrrev_b32 v26, 16, v24 :: v_dual_mov_b32 v76, 0
	v_mov_b32_e32 v77, 0
	s_mov_b32 s11, exec_lo
	v_and_b32_e32 v16, 0xff, v26
	s_delay_alu instid0(VALU_DEP_1)
	v_cmpx_ne_u16_e32 0, v16
	s_cbranch_execz .LBB336_694
; %bb.687:                              ;   in Loop: Header=BB336_424 Depth=1
	v_bfrev_b32_e32 v77, 1
	s_mov_b32 s14, exec_lo
	v_cmpx_ne_u16_e32 0x80, v16
	s_cbranch_execz .LBB336_693
; %bb.688:                              ;   in Loop: Header=BB336_424 Depth=1
	v_bfe_u32 v74, v24, 16, 7
	v_mov_b32_e32 v77, 0x7f800001
	s_mov_b32 s15, exec_lo
	s_delay_alu instid0(VALU_DEP_2)
	v_cmpx_ne_u32_e32 0x7f, v74
	s_cbranch_execz .LBB336_692
; %bb.689:                              ;   in Loop: Header=BB336_424 Depth=1
	v_and_b32_e32 v16, 7, v26
	v_lshrrev_b32_e32 v27, 3, v74
	s_mov_b32 s16, exec_lo
	v_cmpx_gt_u32_e32 8, v74
; %bb.690:                              ;   in Loop: Header=BB336_424 Depth=1
	s_delay_alu instid0(VALU_DEP_3) | instskip(NEXT) | instid1(VALU_DEP_1)
	v_clz_i32_u32_e32 v27, v16
	v_min_u32_e32 v27, 32, v27
	s_delay_alu instid0(VALU_DEP_1) | instskip(NEXT) | instid1(VALU_DEP_1)
	v_subrev_nc_u32_e32 v74, 28, v27
	v_lshlrev_b64_e32 v[74:75], v74, v[16:17]
	s_delay_alu instid0(VALU_DEP_1)
	v_dual_sub_nc_u32 v27, 29, v27 :: v_dual_bitop2_b32 v16, 7, v74 bitop3:0x40
; %bb.691:                              ;   in Loop: Header=BB336_424 Depth=1
	s_or_b32 exec_lo, exec_lo, s16
	s_delay_alu instid0(VALU_DEP_1) | instskip(NEXT) | instid1(VALU_DEP_2)
	v_dual_lshlrev_b32 v26, 24, v26 :: v_dual_lshlrev_b32 v16, 20, v16
	v_lshl_add_u32 v27, v27, 23, 0x3c000000
	s_delay_alu instid0(VALU_DEP_2) | instskip(NEXT) | instid1(VALU_DEP_1)
	v_and_b32_e32 v26, 0x80000000, v26
	v_or3_b32 v77, v16, v26, v27
.LBB336_692:                            ;   in Loop: Header=BB336_424 Depth=1
	s_or_b32 exec_lo, exec_lo, s15
.LBB336_693:                            ;   in Loop: Header=BB336_424 Depth=1
	s_delay_alu instid0(SALU_CYCLE_1)
	s_or_b32 exec_lo, exec_lo, s14
.LBB336_694:                            ;   in Loop: Header=BB336_424 Depth=1
	s_delay_alu instid0(SALU_CYCLE_1) | instskip(NEXT) | instid1(SALU_CYCLE_1)
	s_or_b32 exec_lo, exec_lo, s11
	s_mov_b32 s11, exec_lo
	v_cmpx_lt_u32_e32 0xffffff, v24
	s_cbranch_execz .LBB336_702
; %bb.695:                              ;   in Loop: Header=BB336_424 Depth=1
	v_lshrrev_b32_e32 v26, 24, v24
	v_bfrev_b32_e32 v76, 1
	s_mov_b32 s14, exec_lo
	s_delay_alu instid0(VALU_DEP_2)
	v_cmpx_ne_u32_e32 0x80, v26
	s_cbranch_execz .LBB336_701
; %bb.696:                              ;   in Loop: Header=BB336_424 Depth=1
	v_bfe_u32 v74, v24, 24, 7
	v_mov_b32_e32 v76, 0x7f800001
	s_mov_b32 s15, exec_lo
	s_delay_alu instid0(VALU_DEP_2)
	v_cmpx_ne_u32_e32 0x7f, v74
	s_cbranch_execz .LBB336_700
; %bb.697:                              ;   in Loop: Header=BB336_424 Depth=1
	v_and_b32_e32 v16, 7, v26
	v_lshrrev_b32_e32 v27, 3, v74
	s_mov_b32 s16, exec_lo
	v_cmpx_gt_u32_e32 8, v74
; %bb.698:                              ;   in Loop: Header=BB336_424 Depth=1
	s_delay_alu instid0(VALU_DEP_3) | instskip(NEXT) | instid1(VALU_DEP_1)
	v_clz_i32_u32_e32 v27, v16
	v_min_u32_e32 v27, 32, v27
	s_delay_alu instid0(VALU_DEP_1) | instskip(NEXT) | instid1(VALU_DEP_1)
	v_subrev_nc_u32_e32 v74, 28, v27
	v_lshlrev_b64_e32 v[74:75], v74, v[16:17]
	s_delay_alu instid0(VALU_DEP_1)
	v_dual_sub_nc_u32 v27, 29, v27 :: v_dual_bitop2_b32 v16, 7, v74 bitop3:0x40
; %bb.699:                              ;   in Loop: Header=BB336_424 Depth=1
	s_or_b32 exec_lo, exec_lo, s16
	s_delay_alu instid0(VALU_DEP_1) | instskip(NEXT) | instid1(VALU_DEP_2)
	v_dual_lshlrev_b32 v26, 24, v26 :: v_dual_lshlrev_b32 v16, 20, v16
	v_lshl_add_u32 v27, v27, 23, 0x3c000000
	s_delay_alu instid0(VALU_DEP_2) | instskip(NEXT) | instid1(VALU_DEP_1)
	v_and_b32_e32 v26, 0x80000000, v26
	v_or3_b32 v76, v16, v26, v27
.LBB336_700:                            ;   in Loop: Header=BB336_424 Depth=1
	s_or_b32 exec_lo, exec_lo, s15
.LBB336_701:                            ;   in Loop: Header=BB336_424 Depth=1
	s_delay_alu instid0(SALU_CYCLE_1)
	s_or_b32 exec_lo, exec_lo, s14
.LBB336_702:                            ;   in Loop: Header=BB336_424 Depth=1
	s_delay_alu instid0(SALU_CYCLE_1) | instskip(SKIP_4) | instid1(VALU_DEP_3)
	s_or_b32 exec_lo, exec_lo, s11
	v_and_b32_e32 v27, 0xff, v25
	v_dual_mov_b32 v16, v25 :: v_dual_mov_b32 v26, 0
	v_mov_b32_e32 v75, 0
	s_mov_b32 s11, exec_lo
	v_cmpx_ne_u16_e32 0, v27
	s_cbranch_execz .LBB336_708
; %bb.703:                              ;   in Loop: Header=BB336_424 Depth=1
	v_bfrev_b32_e32 v75, 1
	s_mov_b32 s14, exec_lo
	v_cmpx_ne_u16_e32 0x80, v27
	s_cbranch_execz .LBB336_707
; %bb.704:                              ;   in Loop: Header=BB336_424 Depth=1
	v_and_b32_e32 v27, 0x7f, v25
	v_mov_b32_e32 v75, 0x7f800001
	s_mov_b32 s15, exec_lo
	s_delay_alu instid0(VALU_DEP_2)
	v_cmpx_ne_u32_e32 0x7f, v27
	s_cbranch_execz .LBB336_706
; %bb.705:                              ;   in Loop: Header=BB336_424 Depth=1
	v_dual_lshrrev_b32 v75, 3, v27 :: v_dual_bitop2_b32 v74, 7, v25 bitop3:0x40
	v_cmp_gt_u32_e64 s0, 8, v27
	s_delay_alu instid0(VALU_DEP_2) | instskip(NEXT) | instid1(VALU_DEP_1)
	v_clz_i32_u32_e32 v74, v74
	v_min_u32_e32 v74, 32, v74
	s_delay_alu instid0(VALU_DEP_1) | instskip(SKIP_1) | instid1(VALU_DEP_1)
	v_subrev_nc_u32_e32 v80, 28, v74
	v_sub_nc_u32_e32 v74, 29, v74
	v_dual_cndmask_b32 v27, v75, v74, s0 :: v_dual_cndmask_b32 v74, 0, v80, s0
	s_delay_alu instid0(VALU_DEP_1) | instskip(NEXT) | instid1(VALU_DEP_2)
	v_lshl_add_u32 v27, v27, 23, 0x3c000000
	v_lshlrev_b64_e32 v[74:75], v74, v[16:17]
	v_lshlrev_b32_e32 v75, 24, v16
	s_delay_alu instid0(VALU_DEP_1) | instskip(NEXT) | instid1(VALU_DEP_3)
	v_and_b32_e32 v75, 0x80000000, v75
	v_lshlrev_b32_e32 v74, 20, v74
	s_delay_alu instid0(VALU_DEP_1) | instskip(NEXT) | instid1(VALU_DEP_1)
	v_and_b32_e32 v74, 0x700000, v74
	v_or3_b32 v75, v74, v75, v27
.LBB336_706:                            ;   in Loop: Header=BB336_424 Depth=1
	s_or_b32 exec_lo, exec_lo, s15
.LBB336_707:                            ;   in Loop: Header=BB336_424 Depth=1
	s_delay_alu instid0(SALU_CYCLE_1)
	s_or_b32 exec_lo, exec_lo, s14
.LBB336_708:                            ;   in Loop: Header=BB336_424 Depth=1
	s_delay_alu instid0(SALU_CYCLE_1) | instskip(SKIP_2) | instid1(VALU_DEP_1)
	s_or_b32 exec_lo, exec_lo, s11
	v_lshrrev_b16 v27, 8, v16
	s_mov_b32 s11, exec_lo
	v_cmpx_ne_u16_e32 0, v27
	s_cbranch_execz .LBB336_716
; %bb.709:                              ;   in Loop: Header=BB336_424 Depth=1
	v_bfrev_b32_e32 v26, 1
	s_mov_b32 s14, exec_lo
	v_cmpx_ne_u16_e32 0x80, v27
	s_cbranch_execz .LBB336_715
; %bb.710:                              ;   in Loop: Header=BB336_424 Depth=1
	v_and_b32_e32 v27, 0xffff, v27
	v_mov_b32_e32 v26, 0x7f800001
	s_mov_b32 s15, exec_lo
	s_delay_alu instid0(VALU_DEP_2) | instskip(NEXT) | instid1(VALU_DEP_1)
	v_and_b32_e32 v80, 0x7f, v27
	v_cmpx_ne_u32_e32 0x7f, v80
	s_cbranch_execz .LBB336_714
; %bb.711:                              ;   in Loop: Header=BB336_424 Depth=1
	v_dual_mov_b32 v27, v17 :: v_dual_bitop2_b32 v26, 7, v27 bitop3:0x40
	v_lshrrev_b32_e32 v74, 3, v80
	s_mov_b32 s16, exec_lo
	v_cmpx_gt_u32_e32 8, v80
; %bb.712:                              ;   in Loop: Header=BB336_424 Depth=1
	s_delay_alu instid0(VALU_DEP_3) | instskip(NEXT) | instid1(VALU_DEP_1)
	v_clz_i32_u32_e32 v74, v26
	v_min_u32_e32 v74, 32, v74
	s_delay_alu instid0(VALU_DEP_1) | instskip(SKIP_1) | instid1(VALU_DEP_2)
	v_subrev_nc_u32_e32 v80, 28, v74
	v_sub_nc_u32_e32 v74, 29, v74
	v_lshlrev_b64_e32 v[26:27], v80, v[26:27]
	s_delay_alu instid0(VALU_DEP_1)
	v_and_b32_e32 v26, 7, v26
; %bb.713:                              ;   in Loop: Header=BB336_424 Depth=1
	s_or_b32 exec_lo, exec_lo, s16
	s_delay_alu instid0(VALU_DEP_1) | instskip(SKIP_1) | instid1(VALU_DEP_2)
	v_dual_lshlrev_b32 v16, 16, v16 :: v_dual_lshlrev_b32 v26, 20, v26
	v_lshl_add_u32 v27, v74, 23, 0x3c000000
	v_and_b32_e32 v16, 0x80000000, v16
	s_delay_alu instid0(VALU_DEP_1)
	v_or3_b32 v26, v26, v16, v27
.LBB336_714:                            ;   in Loop: Header=BB336_424 Depth=1
	s_or_b32 exec_lo, exec_lo, s15
.LBB336_715:                            ;   in Loop: Header=BB336_424 Depth=1
	s_delay_alu instid0(SALU_CYCLE_1)
	s_or_b32 exec_lo, exec_lo, s14
.LBB336_716:                            ;   in Loop: Header=BB336_424 Depth=1
	s_delay_alu instid0(SALU_CYCLE_1) | instskip(SKIP_3) | instid1(VALU_DEP_2)
	s_or_b32 exec_lo, exec_lo, s11
	v_dual_mov_b32 v27, 0 :: v_dual_lshrrev_b32 v74, 16, v25
	v_mov_b32_e32 v80, 0
	s_mov_b32 s11, exec_lo
	v_and_b32_e32 v16, 0xff, v74
	s_delay_alu instid0(VALU_DEP_1)
	v_cmpx_ne_u16_e32 0, v16
	s_cbranch_execz .LBB336_724
; %bb.717:                              ;   in Loop: Header=BB336_424 Depth=1
	v_bfrev_b32_e32 v80, 1
	s_mov_b32 s14, exec_lo
	v_cmpx_ne_u16_e32 0x80, v16
	s_cbranch_execz .LBB336_723
; %bb.718:                              ;   in Loop: Header=BB336_424 Depth=1
	v_bfe_u32 v81, v25, 16, 7
	v_mov_b32_e32 v80, 0x7f800001
	s_mov_b32 s15, exec_lo
	s_delay_alu instid0(VALU_DEP_2)
	v_cmpx_ne_u32_e32 0x7f, v81
	s_cbranch_execz .LBB336_722
; %bb.719:                              ;   in Loop: Header=BB336_424 Depth=1
	v_dual_lshrrev_b32 v80, 3, v81 :: v_dual_bitop2_b32 v16, 7, v74 bitop3:0x40
	s_mov_b32 s16, exec_lo
	v_cmpx_gt_u32_e32 8, v81
; %bb.720:                              ;   in Loop: Header=BB336_424 Depth=1
	s_delay_alu instid0(VALU_DEP_2) | instskip(NEXT) | instid1(VALU_DEP_1)
	v_clz_i32_u32_e32 v80, v16
	v_min_u32_e32 v80, 32, v80
	s_delay_alu instid0(VALU_DEP_1) | instskip(NEXT) | instid1(VALU_DEP_1)
	v_subrev_nc_u32_e32 v81, 28, v80
	v_lshlrev_b64_e32 v[82:83], v81, v[16:17]
	s_delay_alu instid0(VALU_DEP_1)
	v_dual_sub_nc_u32 v80, 29, v80 :: v_dual_bitop2_b32 v16, 7, v82 bitop3:0x40
; %bb.721:                              ;   in Loop: Header=BB336_424 Depth=1
	s_or_b32 exec_lo, exec_lo, s16
	s_delay_alu instid0(VALU_DEP_1) | instskip(NEXT) | instid1(VALU_DEP_2)
	v_dual_lshlrev_b32 v74, 24, v74 :: v_dual_lshlrev_b32 v16, 20, v16
	v_lshl_add_u32 v80, v80, 23, 0x3c000000
	s_delay_alu instid0(VALU_DEP_2) | instskip(NEXT) | instid1(VALU_DEP_1)
	v_and_b32_e32 v74, 0x80000000, v74
	v_or3_b32 v80, v16, v74, v80
.LBB336_722:                            ;   in Loop: Header=BB336_424 Depth=1
	s_or_b32 exec_lo, exec_lo, s15
.LBB336_723:                            ;   in Loop: Header=BB336_424 Depth=1
	s_delay_alu instid0(SALU_CYCLE_1)
	s_or_b32 exec_lo, exec_lo, s14
.LBB336_724:                            ;   in Loop: Header=BB336_424 Depth=1
	s_delay_alu instid0(SALU_CYCLE_1) | instskip(NEXT) | instid1(SALU_CYCLE_1)
	s_or_b32 exec_lo, exec_lo, s11
	s_mov_b32 s11, exec_lo
	v_cmpx_lt_u64_e64 s[2:3], v[24:25]
	s_cbranch_execz .LBB336_732
; %bb.725:                              ;   in Loop: Header=BB336_424 Depth=1
	v_lshrrev_b32_e32 v24, 24, v25
	v_bfrev_b32_e32 v27, 1
	s_mov_b32 s14, exec_lo
	s_delay_alu instid0(VALU_DEP_2)
	v_cmpx_ne_u32_e32 0x80, v24
	s_cbranch_execz .LBB336_731
; %bb.726:                              ;   in Loop: Header=BB336_424 Depth=1
	v_bfe_u32 v74, v25, 24, 7
	v_mov_b32_e32 v27, 0x7f800001
	s_mov_b32 s15, exec_lo
	s_delay_alu instid0(VALU_DEP_2)
	v_cmpx_ne_u32_e32 0x7f, v74
	s_cbranch_execz .LBB336_730
; %bb.727:                              ;   in Loop: Header=BB336_424 Depth=1
	v_dual_lshrrev_b32 v25, 3, v74 :: v_dual_bitop2_b32 v16, 7, v24 bitop3:0x40
	s_mov_b32 s16, exec_lo
	v_cmpx_gt_u32_e32 8, v74
; %bb.728:                              ;   in Loop: Header=BB336_424 Depth=1
	s_delay_alu instid0(VALU_DEP_2) | instskip(NEXT) | instid1(VALU_DEP_1)
	v_clz_i32_u32_e32 v25, v16
	v_min_u32_e32 v25, 32, v25
	s_delay_alu instid0(VALU_DEP_1) | instskip(NEXT) | instid1(VALU_DEP_1)
	v_subrev_nc_u32_e32 v27, 28, v25
	v_lshlrev_b64_e32 v[82:83], v27, v[16:17]
	s_delay_alu instid0(VALU_DEP_1)
	v_dual_sub_nc_u32 v25, 29, v25 :: v_dual_bitop2_b32 v16, 7, v82 bitop3:0x40
; %bb.729:                              ;   in Loop: Header=BB336_424 Depth=1
	s_or_b32 exec_lo, exec_lo, s16
	v_lshlrev_b32_e32 v24, 24, v24
	s_delay_alu instid0(VALU_DEP_2) | instskip(NEXT) | instid1(VALU_DEP_3)
	v_lshlrev_b32_e32 v16, 20, v16
	v_lshl_add_u32 v25, v25, 23, 0x3c000000
	s_delay_alu instid0(VALU_DEP_3) | instskip(NEXT) | instid1(VALU_DEP_1)
	v_and_b32_e32 v24, 0x80000000, v24
	v_or3_b32 v27, v16, v24, v25
.LBB336_730:                            ;   in Loop: Header=BB336_424 Depth=1
	s_or_b32 exec_lo, exec_lo, s15
.LBB336_731:                            ;   in Loop: Header=BB336_424 Depth=1
	s_delay_alu instid0(SALU_CYCLE_1)
	s_or_b32 exec_lo, exec_lo, s14
.LBB336_732:                            ;   in Loop: Header=BB336_424 Depth=1
	s_delay_alu instid0(SALU_CYCLE_1)
	s_or_b32 exec_lo, exec_lo, s11
	v_fma_mixlo_bf16 v74, s6, v26, 0
	v_fma_mixlo_bf16 v75, s6, v75, 0
	;; [unrolled: 1-line block ×8, first 2 shown]
	s_and_saveexec_b32 s11, vcc_lo
	s_cbranch_execz .LBB336_734
; %bb.733:                              ;   in Loop: Header=BB336_424 Depth=1
	v_cmp_gt_i32_e64 s0, s23, v43
	s_delay_alu instid0(VALU_DEP_1) | instskip(SKIP_1) | instid1(VALU_DEP_1)
	v_cndmask_b32_e64 v79, 0, v79, s0
	v_cmp_gt_i32_e64 s0, s23, v49
	v_cndmask_b32_e64 v78, 0, v78, s0
	v_cmp_gt_i32_e64 s0, s23, v48
	s_delay_alu instid0(VALU_DEP_1) | instskip(SKIP_1) | instid1(VALU_DEP_1)
	v_cndmask_b32_e64 v77, 0, v77, s0
	v_cmp_gt_i32_e64 s0, s23, v47
	v_cndmask_b32_e64 v76, 0, v76, s0
	;; [unrolled: 5-line block ×4, first 2 shown]
.LBB336_734:                            ;   in Loop: Header=BB336_424 Depth=1
	s_or_b32 exec_lo, exec_lo, s11
	global_load_b64 v[22:23], v[22:23], off offset:1280
	v_dual_mov_b32 v81, 0 :: v_dual_mov_b32 v80, 0
	s_mov_b32 s11, exec_lo
	s_wait_loadcnt 0x0
	v_and_b32_e32 v16, 0xff, v22
	s_delay_alu instid0(VALU_DEP_1)
	v_cmpx_ne_u16_e32 0, v16
	s_cbranch_execz .LBB336_740
; %bb.735:                              ;   in Loop: Header=BB336_424 Depth=1
	v_bfrev_b32_e32 v80, 1
	s_mov_b32 s14, exec_lo
	v_cmpx_ne_u16_e32 0x80, v16
	s_cbranch_execz .LBB336_739
; %bb.736:                              ;   in Loop: Header=BB336_424 Depth=1
	v_and_b32_e32 v16, 0x7f, v22
	v_mov_b32_e32 v80, 0x7f800001
	s_mov_b32 s15, exec_lo
	s_delay_alu instid0(VALU_DEP_2)
	v_cmpx_ne_u32_e32 0x7f, v16
	s_cbranch_execz .LBB336_738
; %bb.737:                              ;   in Loop: Header=BB336_424 Depth=1
	v_dual_lshrrev_b32 v25, 3, v16 :: v_dual_bitop2_b32 v24, 7, v22 bitop3:0x40
	v_cmp_gt_u32_e64 s0, 8, v16
	s_delay_alu instid0(VALU_DEP_2) | instskip(NEXT) | instid1(VALU_DEP_1)
	v_clz_i32_u32_e32 v24, v24
	v_min_u32_e32 v24, 32, v24
	s_delay_alu instid0(VALU_DEP_1) | instskip(SKIP_1) | instid1(VALU_DEP_1)
	v_subrev_nc_u32_e32 v80, 28, v24
	v_sub_nc_u32_e32 v24, 29, v24
	v_cndmask_b32_e64 v16, v25, v24, s0
	s_delay_alu instid0(VALU_DEP_3) | instskip(NEXT) | instid1(VALU_DEP_1)
	v_cndmask_b32_e64 v24, 0, v80, s0
	v_lshlrev_b64_e32 v[24:25], v24, v[22:23]
	v_lshlrev_b32_e32 v25, 24, v22
	s_delay_alu instid0(VALU_DEP_1) | instskip(NEXT) | instid1(VALU_DEP_3)
	v_and_b32_e32 v25, 0x80000000, v25
	v_lshlrev_b32_e32 v24, 20, v24
	v_lshl_add_u32 v16, v16, 23, 0x3c000000
	s_delay_alu instid0(VALU_DEP_2) | instskip(NEXT) | instid1(VALU_DEP_1)
	v_and_b32_e32 v24, 0x700000, v24
	v_or3_b32 v80, v24, v25, v16
.LBB336_738:                            ;   in Loop: Header=BB336_424 Depth=1
	s_or_b32 exec_lo, exec_lo, s15
.LBB336_739:                            ;   in Loop: Header=BB336_424 Depth=1
	s_delay_alu instid0(SALU_CYCLE_1)
	s_or_b32 exec_lo, exec_lo, s14
.LBB336_740:                            ;   in Loop: Header=BB336_424 Depth=1
	s_delay_alu instid0(SALU_CYCLE_1) | instskip(SKIP_2) | instid1(VALU_DEP_1)
	s_or_b32 exec_lo, exec_lo, s11
	v_lshrrev_b16 v16, 8, v22
	s_mov_b32 s11, exec_lo
	v_cmpx_ne_u16_e32 0, v16
	s_cbranch_execz .LBB336_748
; %bb.741:                              ;   in Loop: Header=BB336_424 Depth=1
	v_bfrev_b32_e32 v81, 1
	s_mov_b32 s14, exec_lo
	v_cmpx_ne_u16_e32 0x80, v16
	s_cbranch_execz .LBB336_747
; %bb.742:                              ;   in Loop: Header=BB336_424 Depth=1
	v_and_b32_e32 v16, 0xffff, v16
	v_mov_b32_e32 v81, 0x7f800001
	s_mov_b32 s15, exec_lo
	s_delay_alu instid0(VALU_DEP_2) | instskip(NEXT) | instid1(VALU_DEP_1)
	v_and_b32_e32 v25, 0x7f, v16
	v_cmpx_ne_u32_e32 0x7f, v25
	s_cbranch_execz .LBB336_746
; %bb.743:                              ;   in Loop: Header=BB336_424 Depth=1
	v_dual_lshrrev_b32 v24, 3, v25 :: v_dual_bitop2_b32 v16, 7, v16 bitop3:0x40
	s_mov_b32 s16, exec_lo
	v_cmpx_gt_u32_e32 8, v25
; %bb.744:                              ;   in Loop: Header=BB336_424 Depth=1
	s_delay_alu instid0(VALU_DEP_2) | instskip(NEXT) | instid1(VALU_DEP_1)
	v_clz_i32_u32_e32 v24, v16
	v_min_u32_e32 v24, 32, v24
	s_delay_alu instid0(VALU_DEP_1) | instskip(NEXT) | instid1(VALU_DEP_1)
	v_subrev_nc_u32_e32 v25, 28, v24
	v_lshlrev_b64_e32 v[82:83], v25, v[16:17]
	s_delay_alu instid0(VALU_DEP_1)
	v_dual_sub_nc_u32 v24, 29, v24 :: v_dual_bitop2_b32 v16, 7, v82 bitop3:0x40
; %bb.745:                              ;   in Loop: Header=BB336_424 Depth=1
	s_or_b32 exec_lo, exec_lo, s16
	s_delay_alu instid0(VALU_DEP_1) | instskip(NEXT) | instid1(VALU_DEP_2)
	v_dual_lshlrev_b32 v25, 16, v22 :: v_dual_lshlrev_b32 v16, 20, v16
	v_lshl_add_u32 v24, v24, 23, 0x3c000000
	s_delay_alu instid0(VALU_DEP_2) | instskip(NEXT) | instid1(VALU_DEP_1)
	v_and_b32_e32 v25, 0x80000000, v25
	v_or3_b32 v81, v16, v25, v24
.LBB336_746:                            ;   in Loop: Header=BB336_424 Depth=1
	s_or_b32 exec_lo, exec_lo, s15
.LBB336_747:                            ;   in Loop: Header=BB336_424 Depth=1
	s_delay_alu instid0(SALU_CYCLE_1)
	s_or_b32 exec_lo, exec_lo, s14
.LBB336_748:                            ;   in Loop: Header=BB336_424 Depth=1
	s_delay_alu instid0(SALU_CYCLE_1) | instskip(SKIP_3) | instid1(VALU_DEP_2)
	s_or_b32 exec_lo, exec_lo, s11
	v_dual_mov_b32 v83, 0 :: v_dual_lshrrev_b32 v24, 16, v22
	v_mov_b32_e32 v82, 0
	s_mov_b32 s11, exec_lo
	v_and_b32_e32 v16, 0xff, v24
	s_delay_alu instid0(VALU_DEP_1)
	v_cmpx_ne_u16_e32 0, v16
	s_cbranch_execz .LBB336_756
; %bb.749:                              ;   in Loop: Header=BB336_424 Depth=1
	v_bfrev_b32_e32 v82, 1
	s_mov_b32 s14, exec_lo
	v_cmpx_ne_u16_e32 0x80, v16
	s_cbranch_execz .LBB336_755
; %bb.750:                              ;   in Loop: Header=BB336_424 Depth=1
	v_bfe_u32 v84, v22, 16, 7
	v_mov_b32_e32 v82, 0x7f800001
	s_mov_b32 s15, exec_lo
	s_delay_alu instid0(VALU_DEP_2)
	v_cmpx_ne_u32_e32 0x7f, v84
	s_cbranch_execz .LBB336_754
; %bb.751:                              ;   in Loop: Header=BB336_424 Depth=1
	v_and_b32_e32 v16, 7, v24
	v_lshrrev_b32_e32 v25, 3, v84
	s_mov_b32 s16, exec_lo
	v_cmpx_gt_u32_e32 8, v84
; %bb.752:                              ;   in Loop: Header=BB336_424 Depth=1
	s_delay_alu instid0(VALU_DEP_3) | instskip(NEXT) | instid1(VALU_DEP_1)
	v_clz_i32_u32_e32 v25, v16
	v_min_u32_e32 v25, 32, v25
	s_delay_alu instid0(VALU_DEP_1) | instskip(NEXT) | instid1(VALU_DEP_1)
	v_subrev_nc_u32_e32 v82, 28, v25
	v_lshlrev_b64_e32 v[84:85], v82, v[16:17]
	s_delay_alu instid0(VALU_DEP_1)
	v_dual_sub_nc_u32 v25, 29, v25 :: v_dual_bitop2_b32 v16, 7, v84 bitop3:0x40
; %bb.753:                              ;   in Loop: Header=BB336_424 Depth=1
	s_or_b32 exec_lo, exec_lo, s16
	v_lshlrev_b32_e32 v24, 24, v24
	s_delay_alu instid0(VALU_DEP_2) | instskip(NEXT) | instid1(VALU_DEP_3)
	v_lshlrev_b32_e32 v16, 20, v16
	v_lshl_add_u32 v25, v25, 23, 0x3c000000
	s_delay_alu instid0(VALU_DEP_3) | instskip(NEXT) | instid1(VALU_DEP_1)
	v_and_b32_e32 v24, 0x80000000, v24
	v_or3_b32 v82, v16, v24, v25
.LBB336_754:                            ;   in Loop: Header=BB336_424 Depth=1
	s_or_b32 exec_lo, exec_lo, s15
.LBB336_755:                            ;   in Loop: Header=BB336_424 Depth=1
	s_delay_alu instid0(SALU_CYCLE_1)
	s_or_b32 exec_lo, exec_lo, s14
.LBB336_756:                            ;   in Loop: Header=BB336_424 Depth=1
	s_delay_alu instid0(SALU_CYCLE_1) | instskip(NEXT) | instid1(SALU_CYCLE_1)
	s_or_b32 exec_lo, exec_lo, s11
	s_mov_b32 s11, exec_lo
	v_cmpx_lt_u32_e32 0xffffff, v22
	s_cbranch_execz .LBB336_764
; %bb.757:                              ;   in Loop: Header=BB336_424 Depth=1
	v_lshrrev_b32_e32 v24, 24, v22
	v_bfrev_b32_e32 v83, 1
	s_mov_b32 s14, exec_lo
	s_delay_alu instid0(VALU_DEP_2)
	v_cmpx_ne_u32_e32 0x80, v24
	s_cbranch_execz .LBB336_763
; %bb.758:                              ;   in Loop: Header=BB336_424 Depth=1
	v_bfe_u32 v84, v22, 24, 7
	v_mov_b32_e32 v83, 0x7f800001
	s_mov_b32 s15, exec_lo
	s_delay_alu instid0(VALU_DEP_2)
	v_cmpx_ne_u32_e32 0x7f, v84
	s_cbranch_execz .LBB336_762
; %bb.759:                              ;   in Loop: Header=BB336_424 Depth=1
	v_and_b32_e32 v16, 7, v24
	v_lshrrev_b32_e32 v25, 3, v84
	s_mov_b32 s16, exec_lo
	v_cmpx_gt_u32_e32 8, v84
; %bb.760:                              ;   in Loop: Header=BB336_424 Depth=1
	s_delay_alu instid0(VALU_DEP_3) | instskip(NEXT) | instid1(VALU_DEP_1)
	v_clz_i32_u32_e32 v25, v16
	v_min_u32_e32 v25, 32, v25
	s_delay_alu instid0(VALU_DEP_1) | instskip(NEXT) | instid1(VALU_DEP_1)
	v_subrev_nc_u32_e32 v83, 28, v25
	v_lshlrev_b64_e32 v[84:85], v83, v[16:17]
	s_delay_alu instid0(VALU_DEP_1)
	v_dual_sub_nc_u32 v25, 29, v25 :: v_dual_bitop2_b32 v16, 7, v84 bitop3:0x40
; %bb.761:                              ;   in Loop: Header=BB336_424 Depth=1
	s_or_b32 exec_lo, exec_lo, s16
	v_lshlrev_b32_e32 v24, 24, v24
	s_delay_alu instid0(VALU_DEP_2) | instskip(NEXT) | instid1(VALU_DEP_3)
	v_lshlrev_b32_e32 v16, 20, v16
	v_lshl_add_u32 v25, v25, 23, 0x3c000000
	s_delay_alu instid0(VALU_DEP_3) | instskip(NEXT) | instid1(VALU_DEP_1)
	v_and_b32_e32 v24, 0x80000000, v24
	v_or3_b32 v83, v16, v24, v25
.LBB336_762:                            ;   in Loop: Header=BB336_424 Depth=1
	s_or_b32 exec_lo, exec_lo, s15
.LBB336_763:                            ;   in Loop: Header=BB336_424 Depth=1
	s_delay_alu instid0(SALU_CYCLE_1)
	s_or_b32 exec_lo, exec_lo, s14
.LBB336_764:                            ;   in Loop: Header=BB336_424 Depth=1
	s_delay_alu instid0(SALU_CYCLE_1) | instskip(SKIP_4) | instid1(VALU_DEP_3)
	s_or_b32 exec_lo, exec_lo, s11
	v_and_b32_e32 v25, 0xff, v23
	v_dual_mov_b32 v16, v23 :: v_dual_mov_b32 v24, 0
	v_mov_b32_e32 v84, 0
	s_mov_b32 s11, exec_lo
	v_cmpx_ne_u16_e32 0, v25
	s_cbranch_execz .LBB336_770
; %bb.765:                              ;   in Loop: Header=BB336_424 Depth=1
	v_bfrev_b32_e32 v84, 1
	s_mov_b32 s14, exec_lo
	v_cmpx_ne_u16_e32 0x80, v25
	s_cbranch_execz .LBB336_769
; %bb.766:                              ;   in Loop: Header=BB336_424 Depth=1
	v_and_b32_e32 v25, 0x7f, v23
	v_mov_b32_e32 v84, 0x7f800001
	s_mov_b32 s15, exec_lo
	s_delay_alu instid0(VALU_DEP_2)
	v_cmpx_ne_u32_e32 0x7f, v25
	s_cbranch_execz .LBB336_768
; %bb.767:                              ;   in Loop: Header=BB336_424 Depth=1
	v_dual_lshrrev_b32 v85, 3, v25 :: v_dual_bitop2_b32 v84, 7, v23 bitop3:0x40
	v_cmp_gt_u32_e64 s0, 8, v25
	s_delay_alu instid0(VALU_DEP_2) | instskip(NEXT) | instid1(VALU_DEP_1)
	v_clz_i32_u32_e32 v84, v84
	v_min_u32_e32 v84, 32, v84
	s_delay_alu instid0(VALU_DEP_1) | instskip(SKIP_1) | instid1(VALU_DEP_1)
	v_subrev_nc_u32_e32 v86, 28, v84
	v_sub_nc_u32_e32 v84, 29, v84
	v_dual_cndmask_b32 v25, v85, v84, s0 :: v_dual_cndmask_b32 v84, 0, v86, s0
	s_delay_alu instid0(VALU_DEP_1) | instskip(NEXT) | instid1(VALU_DEP_2)
	v_lshl_add_u32 v25, v25, 23, 0x3c000000
	v_lshlrev_b64_e32 v[84:85], v84, v[16:17]
	v_lshlrev_b32_e32 v85, 24, v16
	s_delay_alu instid0(VALU_DEP_1) | instskip(NEXT) | instid1(VALU_DEP_3)
	v_and_b32_e32 v85, 0x80000000, v85
	v_lshlrev_b32_e32 v84, 20, v84
	s_delay_alu instid0(VALU_DEP_1) | instskip(NEXT) | instid1(VALU_DEP_1)
	v_and_b32_e32 v84, 0x700000, v84
	v_or3_b32 v84, v84, v85, v25
.LBB336_768:                            ;   in Loop: Header=BB336_424 Depth=1
	s_or_b32 exec_lo, exec_lo, s15
.LBB336_769:                            ;   in Loop: Header=BB336_424 Depth=1
	s_delay_alu instid0(SALU_CYCLE_1)
	s_or_b32 exec_lo, exec_lo, s14
.LBB336_770:                            ;   in Loop: Header=BB336_424 Depth=1
	s_delay_alu instid0(SALU_CYCLE_1) | instskip(SKIP_2) | instid1(VALU_DEP_1)
	s_or_b32 exec_lo, exec_lo, s11
	v_lshrrev_b16 v25, 8, v16
	s_mov_b32 s11, exec_lo
	v_cmpx_ne_u16_e32 0, v25
	s_cbranch_execz .LBB336_778
; %bb.771:                              ;   in Loop: Header=BB336_424 Depth=1
	v_bfrev_b32_e32 v24, 1
	s_mov_b32 s14, exec_lo
	v_cmpx_ne_u16_e32 0x80, v25
	s_cbranch_execz .LBB336_777
; %bb.772:                              ;   in Loop: Header=BB336_424 Depth=1
	v_and_b32_e32 v25, 0xffff, v25
	v_mov_b32_e32 v24, 0x7f800001
	s_mov_b32 s15, exec_lo
	s_delay_alu instid0(VALU_DEP_2) | instskip(NEXT) | instid1(VALU_DEP_1)
	v_and_b32_e32 v86, 0x7f, v25
	v_cmpx_ne_u32_e32 0x7f, v86
	s_cbranch_execz .LBB336_776
; %bb.773:                              ;   in Loop: Header=BB336_424 Depth=1
	v_dual_mov_b32 v25, v17 :: v_dual_bitop2_b32 v24, 7, v25 bitop3:0x40
	v_lshrrev_b32_e32 v85, 3, v86
	s_mov_b32 s16, exec_lo
	v_cmpx_gt_u32_e32 8, v86
; %bb.774:                              ;   in Loop: Header=BB336_424 Depth=1
	s_delay_alu instid0(VALU_DEP_3) | instskip(NEXT) | instid1(VALU_DEP_1)
	v_clz_i32_u32_e32 v85, v24
	v_min_u32_e32 v85, 32, v85
	s_delay_alu instid0(VALU_DEP_1) | instskip(NEXT) | instid1(VALU_DEP_1)
	v_subrev_nc_u32_e32 v86, 28, v85
	v_lshlrev_b64_e32 v[24:25], v86, v[24:25]
	s_delay_alu instid0(VALU_DEP_1)
	v_dual_sub_nc_u32 v85, 29, v85 :: v_dual_bitop2_b32 v24, 7, v24 bitop3:0x40
; %bb.775:                              ;   in Loop: Header=BB336_424 Depth=1
	s_or_b32 exec_lo, exec_lo, s16
	v_lshlrev_b32_e32 v16, 16, v16
	s_delay_alu instid0(VALU_DEP_2) | instskip(NEXT) | instid1(VALU_DEP_3)
	v_lshlrev_b32_e32 v24, 20, v24
	v_lshl_add_u32 v25, v85, 23, 0x3c000000
	s_delay_alu instid0(VALU_DEP_3) | instskip(NEXT) | instid1(VALU_DEP_1)
	v_and_b32_e32 v16, 0x80000000, v16
	v_or3_b32 v24, v24, v16, v25
.LBB336_776:                            ;   in Loop: Header=BB336_424 Depth=1
	s_or_b32 exec_lo, exec_lo, s15
.LBB336_777:                            ;   in Loop: Header=BB336_424 Depth=1
	s_delay_alu instid0(SALU_CYCLE_1)
	s_or_b32 exec_lo, exec_lo, s14
.LBB336_778:                            ;   in Loop: Header=BB336_424 Depth=1
	s_delay_alu instid0(SALU_CYCLE_1) | instskip(SKIP_3) | instid1(VALU_DEP_2)
	s_or_b32 exec_lo, exec_lo, s11
	v_dual_mov_b32 v25, 0 :: v_dual_lshrrev_b32 v86, 16, v23
	v_mov_b32_e32 v85, 0
	s_mov_b32 s11, exec_lo
	v_and_b32_e32 v16, 0xff, v86
	s_delay_alu instid0(VALU_DEP_1)
	v_cmpx_ne_u16_e32 0, v16
	s_cbranch_execz .LBB336_786
; %bb.779:                              ;   in Loop: Header=BB336_424 Depth=1
	v_bfrev_b32_e32 v85, 1
	s_mov_b32 s14, exec_lo
	v_cmpx_ne_u16_e32 0x80, v16
	s_cbranch_execz .LBB336_785
; %bb.780:                              ;   in Loop: Header=BB336_424 Depth=1
	v_bfe_u32 v87, v23, 16, 7
	v_mov_b32_e32 v85, 0x7f800001
	s_mov_b32 s15, exec_lo
	s_delay_alu instid0(VALU_DEP_2)
	v_cmpx_ne_u32_e32 0x7f, v87
	s_cbranch_execz .LBB336_784
; %bb.781:                              ;   in Loop: Header=BB336_424 Depth=1
	v_dual_lshrrev_b32 v85, 3, v87 :: v_dual_bitop2_b32 v16, 7, v86 bitop3:0x40
	s_mov_b32 s16, exec_lo
	v_cmpx_gt_u32_e32 8, v87
; %bb.782:                              ;   in Loop: Header=BB336_424 Depth=1
	s_delay_alu instid0(VALU_DEP_2) | instskip(NEXT) | instid1(VALU_DEP_1)
	v_clz_i32_u32_e32 v85, v16
	v_min_u32_e32 v85, 32, v85
	s_delay_alu instid0(VALU_DEP_1) | instskip(NEXT) | instid1(VALU_DEP_1)
	v_subrev_nc_u32_e32 v87, 28, v85
	v_lshlrev_b64_e32 v[88:89], v87, v[16:17]
	s_delay_alu instid0(VALU_DEP_1)
	v_dual_sub_nc_u32 v85, 29, v85 :: v_dual_bitop2_b32 v16, 7, v88 bitop3:0x40
; %bb.783:                              ;   in Loop: Header=BB336_424 Depth=1
	s_or_b32 exec_lo, exec_lo, s16
	s_delay_alu instid0(VALU_DEP_1) | instskip(NEXT) | instid1(VALU_DEP_2)
	v_dual_lshlrev_b32 v86, 24, v86 :: v_dual_lshlrev_b32 v16, 20, v16
	v_lshl_add_u32 v85, v85, 23, 0x3c000000
	s_delay_alu instid0(VALU_DEP_2) | instskip(NEXT) | instid1(VALU_DEP_1)
	v_and_b32_e32 v86, 0x80000000, v86
	v_or3_b32 v85, v16, v86, v85
.LBB336_784:                            ;   in Loop: Header=BB336_424 Depth=1
	s_or_b32 exec_lo, exec_lo, s15
.LBB336_785:                            ;   in Loop: Header=BB336_424 Depth=1
	s_delay_alu instid0(SALU_CYCLE_1)
	s_or_b32 exec_lo, exec_lo, s14
.LBB336_786:                            ;   in Loop: Header=BB336_424 Depth=1
	s_delay_alu instid0(SALU_CYCLE_1) | instskip(NEXT) | instid1(SALU_CYCLE_1)
	s_or_b32 exec_lo, exec_lo, s11
	s_mov_b32 s11, exec_lo
	v_cmpx_lt_u64_e64 s[2:3], v[22:23]
	s_cbranch_execz .LBB336_794
; %bb.787:                              ;   in Loop: Header=BB336_424 Depth=1
	v_lshrrev_b32_e32 v22, 24, v23
	v_bfrev_b32_e32 v25, 1
	s_mov_b32 s14, exec_lo
	s_delay_alu instid0(VALU_DEP_2)
	v_cmpx_ne_u32_e32 0x80, v22
	s_cbranch_execz .LBB336_793
; %bb.788:                              ;   in Loop: Header=BB336_424 Depth=1
	v_bfe_u32 v86, v23, 24, 7
	v_mov_b32_e32 v25, 0x7f800001
	s_mov_b32 s15, exec_lo
	s_delay_alu instid0(VALU_DEP_2)
	v_cmpx_ne_u32_e32 0x7f, v86
	s_cbranch_execz .LBB336_792
; %bb.789:                              ;   in Loop: Header=BB336_424 Depth=1
	v_and_b32_e32 v16, 7, v22
	v_lshrrev_b32_e32 v23, 3, v86
	s_mov_b32 s16, exec_lo
	v_cmpx_gt_u32_e32 8, v86
; %bb.790:                              ;   in Loop: Header=BB336_424 Depth=1
	s_delay_alu instid0(VALU_DEP_3) | instskip(NEXT) | instid1(VALU_DEP_1)
	v_clz_i32_u32_e32 v23, v16
	v_min_u32_e32 v23, 32, v23
	s_delay_alu instid0(VALU_DEP_1) | instskip(NEXT) | instid1(VALU_DEP_1)
	v_subrev_nc_u32_e32 v25, 28, v23
	v_lshlrev_b64_e32 v[86:87], v25, v[16:17]
	s_delay_alu instid0(VALU_DEP_1)
	v_dual_sub_nc_u32 v23, 29, v23 :: v_dual_bitop2_b32 v16, 7, v86 bitop3:0x40
; %bb.791:                              ;   in Loop: Header=BB336_424 Depth=1
	s_or_b32 exec_lo, exec_lo, s16
	s_delay_alu instid0(VALU_DEP_1) | instskip(NEXT) | instid1(VALU_DEP_2)
	v_dual_lshlrev_b32 v22, 24, v22 :: v_dual_lshlrev_b32 v16, 20, v16
	v_lshl_add_u32 v23, v23, 23, 0x3c000000
	s_delay_alu instid0(VALU_DEP_2) | instskip(NEXT) | instid1(VALU_DEP_1)
	v_and_b32_e32 v22, 0x80000000, v22
	v_or3_b32 v25, v16, v22, v23
.LBB336_792:                            ;   in Loop: Header=BB336_424 Depth=1
	s_or_b32 exec_lo, exec_lo, s15
.LBB336_793:                            ;   in Loop: Header=BB336_424 Depth=1
	s_delay_alu instid0(SALU_CYCLE_1)
	s_or_b32 exec_lo, exec_lo, s14
.LBB336_794:                            ;   in Loop: Header=BB336_424 Depth=1
	s_delay_alu instid0(SALU_CYCLE_1)
	s_or_b32 exec_lo, exec_lo, s11
	v_fma_mixlo_bf16 v16, s6, v24, 0
	v_fma_mixlo_bf16 v22, s6, v84, 0
	;; [unrolled: 1-line block ×8, first 2 shown]
	s_and_saveexec_b32 s0, vcc_lo
	s_cbranch_execz .LBB336_423
; %bb.795:                              ;   in Loop: Header=BB336_424 Depth=1
	v_cmp_gt_i32_e32 vcc_lo, s23, v43
	v_cndmask_b32_e32 v80, 0, v80, vcc_lo
	v_cmp_gt_i32_e32 vcc_lo, s23, v49
	v_cndmask_b32_e32 v81, 0, v81, vcc_lo
	;; [unrolled: 2-line block ×8, first 2 shown]
	s_branch .LBB336_423
.LBB336_796:
	s_or_b32 exec_lo, exec_lo, s9
.LBB336_797:
	s_delay_alu instid0(SALU_CYCLE_1)
	s_or_b32 exec_lo, exec_lo, s1
	ds_bpermute_b32 v2, v31, v14
	ds_bpermute_b32 v3, v31, v15
	;; [unrolled: 1-line block ×6, first 2 shown]
	v_and_b32_e32 v9, 0x3c1, v0
	v_lshrrev_b32_e32 v8, 1, v30
	s_mov_b32 s0, exec_lo
	s_wait_dscnt 0x0
	s_barrier_signal -1
	s_barrier_wait -1
	v_pk_add_f32 v[4:5], v[14:15], v[2:3]
	v_pk_add_f32 v[2:3], v[12:13], v[16:17]
	v_cmpx_ne_u32_e32 64, v9
	s_xor_b32 s0, exec_lo, s0
	s_delay_alu instid0(SALU_CYCLE_1)
	s_or_saveexec_b32 s0, s0
	v_pk_add_f32 v[6:7], v[10:11], v[6:7]
	v_lshl_add_u32 v9, v8, 2, 0xe0
	v_mul_u32_u24_e32 v10, 0x180, v29
	s_xor_b32 exec_lo, exec_lo, s0
	s_cbranch_execz .LBB336_799
; %bb.798:
	s_delay_alu instid0(VALU_DEP_1) | instskip(NEXT) | instid1(VALU_DEP_1)
	v_add_nc_u32_e32 v11, v9, v10
	v_add_nc_u32_e32 v12, 0xfffffd00, v11
	;; [unrolled: 1-line block ×7, first 2 shown]
	ds_store_b32 v12, v4
	ds_store_b32 v13, v5
	;; [unrolled: 1-line block ×6, first 2 shown]
.LBB336_799:
	s_or_b32 exec_lo, exec_lo, s0
	v_lshlrev_b32_e32 v8, 2, v8
	s_mov_b32 s1, exec_lo
	v_cmp_eq_u32_e32 vcc_lo, 0, v28
	s_wait_dscnt 0x0
	s_barrier_signal -1
	v_add3_u32 v8, 0xe0, v10, v8
	s_barrier_wait -1
	v_cmpx_gt_u32_e32 64, v0
	s_cbranch_execz .LBB336_808
; %bb.800:
	s_and_saveexec_b32 s0, vcc_lo
	s_cbranch_execnz .LBB336_822
; %bb.801:
	s_or_b32 exec_lo, exec_lo, s0
	s_and_saveexec_b32 s0, vcc_lo
	s_cbranch_execnz .LBB336_823
.LBB336_802:
	s_or_b32 exec_lo, exec_lo, s0
	s_and_saveexec_b32 s0, vcc_lo
	s_cbranch_execnz .LBB336_824
.LBB336_803:
	s_or_b32 exec_lo, exec_lo, s0
	s_and_saveexec_b32 s0, vcc_lo
	s_cbranch_execnz .LBB336_825
.LBB336_804:
	s_or_b32 exec_lo, exec_lo, s0
	s_and_saveexec_b32 s0, vcc_lo
	s_cbranch_execnz .LBB336_826
.LBB336_805:
	s_or_b32 exec_lo, exec_lo, s0
	s_and_saveexec_b32 s0, vcc_lo
	s_cbranch_execz .LBB336_807
.LBB336_806:
	ds_load_b32 v10, v8 offset:320
	s_wait_dscnt 0x0
	v_add_f32_e32 v7, v7, v10
.LBB336_807:
	s_or_b32 exec_lo, exec_lo, s0
.LBB336_808:
	s_delay_alu instid0(SALU_CYCLE_1) | instskip(SKIP_4) | instid1(VALU_DEP_1)
	s_or_b32 exec_lo, exec_lo, s1
	v_and_b32_e32 v10, 0x3e1, v0
	s_mov_b32 s1, exec_lo
	s_barrier_signal -1
	s_barrier_wait -1
	v_cmpx_eq_u32_e32 32, v10
	s_cbranch_execz .LBB336_810
; %bb.809:
	ds_store_2addr_b32 v9, v4, v5 offset1:16
	ds_store_2addr_b32 v9, v2, v3 offset0:32 offset1:48
	ds_store_2addr_b32 v9, v6, v7 offset0:64 offset1:80
.LBB336_810:
	s_or_b32 exec_lo, exec_lo, s1
	s_delay_alu instid0(SALU_CYCLE_1)
	s_mov_b32 s1, exec_lo
	s_wait_dscnt 0x0
	s_barrier_signal -1
	s_barrier_wait -1
	v_cmpx_gt_u32_e32 32, v0
	s_cbranch_execz .LBB336_819
; %bb.811:
	s_and_saveexec_b32 s0, vcc_lo
	s_cbranch_execnz .LBB336_827
; %bb.812:
	s_or_b32 exec_lo, exec_lo, s0
	s_and_saveexec_b32 s0, vcc_lo
	s_cbranch_execnz .LBB336_828
.LBB336_813:
	s_or_b32 exec_lo, exec_lo, s0
	s_and_saveexec_b32 s0, vcc_lo
	s_cbranch_execnz .LBB336_829
.LBB336_814:
	s_or_b32 exec_lo, exec_lo, s0
	s_and_saveexec_b32 s0, vcc_lo
	s_cbranch_execnz .LBB336_830
.LBB336_815:
	s_or_b32 exec_lo, exec_lo, s0
	s_and_saveexec_b32 s0, vcc_lo
	s_cbranch_execnz .LBB336_831
.LBB336_816:
	s_or_b32 exec_lo, exec_lo, s0
	s_and_saveexec_b32 s0, vcc_lo
	s_cbranch_execz .LBB336_818
.LBB336_817:
	ds_load_b32 v0, v8 offset:320
	s_wait_dscnt 0x0
	v_add_f32_e32 v7, v7, v0
.LBB336_818:
	s_or_b32 exec_lo, exec_lo, s0
.LBB336_819:
	s_delay_alu instid0(SALU_CYCLE_1)
	s_or_b32 exec_lo, exec_lo, s1
	s_mov_b32 s1, 0
	s_barrier_signal -1
	s_barrier_wait -1
	s_mov_b32 s0, exec_lo
	v_cmpx_eq_u32_e32 0, v10
	s_cbranch_execz .LBB336_821
; %bb.820:
	s_mul_i32 s0, s22, s8
	s_mul_i32 s2, s8, s12
	;; [unrolled: 1-line block ×3, first 2 shown]
	s_lshr_b32 s8, ttmp7, 16
	s_mul_i32 s6, s0, 0x60
	s_bfe_u32 s0, ttmp6, 0x40014
	s_ashr_i32 s7, s6, 31
	s_add_co_i32 s0, s0, 1
	s_ashr_i32 s3, s2, 31
	s_mul_i32 s0, s8, s0
	s_bfe_u32 s9, ttmp6, 0x40008
	s_lshl_b64 s[6:7], s[6:7], 1
	s_lshl_b64 s[2:3], s[2:3], 1
	s_add_co_i32 s9, s9, s0
	s_cmp_eq_u32 s20, 0
	s_wait_kmcnt 0x0
	s_add_nc_u64 s[4:5], s[4:5], s[6:7]
	s_cselect_b32 s0, s8, s9
	s_add_nc_u64 s[2:3], s[4:5], s[2:3]
	s_mulk_i32 s0, 0xc0
	s_delay_alu instid0(SALU_CYCLE_1) | instskip(NEXT) | instid1(SALU_CYCLE_1)
	s_add_nc_u64 s[0:1], s[2:3], s[0:1]
	v_cvt_pk_bf16_f32 v0, v4, s0
	v_cvt_pk_bf16_f32 v4, v5, s0
	;; [unrolled: 1-line block ×6, first 2 shown]
	s_clause 0x5
	global_store_b16 v1, v0, s[0:1] scale_offset
	global_store_b16 v1, v4, s[0:1] offset:32 scale_offset
	global_store_b16 v1, v2, s[0:1] offset:64 scale_offset
	;; [unrolled: 1-line block ×5, first 2 shown]
.LBB336_821:
	s_sendmsg sendmsg(MSG_DEALLOC_VGPRS)
	s_endpgm
.LBB336_822:
	ds_load_b32 v10, v8
	s_wait_dscnt 0x0
	v_add_f32_e32 v4, v4, v10
	s_or_b32 exec_lo, exec_lo, s0
	s_and_saveexec_b32 s0, vcc_lo
	s_cbranch_execz .LBB336_802
.LBB336_823:
	ds_load_b32 v10, v8 offset:64
	s_wait_dscnt 0x0
	v_add_f32_e32 v5, v5, v10
	s_or_b32 exec_lo, exec_lo, s0
	s_and_saveexec_b32 s0, vcc_lo
	s_cbranch_execz .LBB336_803
.LBB336_824:
	ds_load_b32 v10, v8 offset:128
	s_wait_dscnt 0x0
	v_add_f32_e32 v2, v2, v10
	s_or_b32 exec_lo, exec_lo, s0
	s_and_saveexec_b32 s0, vcc_lo
	s_cbranch_execz .LBB336_804
.LBB336_825:
	ds_load_b32 v10, v8 offset:192
	s_wait_dscnt 0x0
	v_add_f32_e32 v3, v3, v10
	s_or_b32 exec_lo, exec_lo, s0
	s_and_saveexec_b32 s0, vcc_lo
	s_cbranch_execz .LBB336_805
.LBB336_826:
	ds_load_b32 v10, v8 offset:256
	s_wait_dscnt 0x0
	v_add_f32_e32 v6, v6, v10
	s_or_b32 exec_lo, exec_lo, s0
	s_and_saveexec_b32 s0, vcc_lo
	s_cbranch_execnz .LBB336_806
	s_branch .LBB336_807
.LBB336_827:
	ds_load_b32 v0, v8
	s_wait_dscnt 0x0
	v_add_f32_e32 v4, v4, v0
	s_or_b32 exec_lo, exec_lo, s0
	s_and_saveexec_b32 s0, vcc_lo
	s_cbranch_execz .LBB336_813
.LBB336_828:
	ds_load_b32 v0, v8 offset:64
	s_wait_dscnt 0x0
	v_add_f32_e32 v5, v5, v0
	s_or_b32 exec_lo, exec_lo, s0
	s_and_saveexec_b32 s0, vcc_lo
	s_cbranch_execz .LBB336_814
.LBB336_829:
	ds_load_b32 v0, v8 offset:128
	s_wait_dscnt 0x0
	v_add_f32_e32 v2, v2, v0
	s_or_b32 exec_lo, exec_lo, s0
	s_and_saveexec_b32 s0, vcc_lo
	s_cbranch_execz .LBB336_815
.LBB336_830:
	ds_load_b32 v0, v8 offset:192
	s_wait_dscnt 0x0
	v_add_f32_e32 v3, v3, v0
	s_or_b32 exec_lo, exec_lo, s0
	s_and_saveexec_b32 s0, vcc_lo
	s_cbranch_execz .LBB336_816
.LBB336_831:
	ds_load_b32 v0, v8 offset:256
	s_wait_dscnt 0x0
	v_add_f32_e32 v6, v6, v0
	s_or_b32 exec_lo, exec_lo, s0
	s_and_saveexec_b32 s0, vcc_lo
	s_cbranch_execnz .LBB336_817
	s_branch .LBB336_818
	.section	.rodata,"a",@progbits
	.p2align	6, 0x0
	.amdhsa_kernel _ZN4vllm25paged_attention_v1_kernelI14__hip_bfloat16hLi96ELi16ELi128ELNS_18Fp8KVCacheDataTypeE1ELb0EEEvPT_PKS3_PKT0_S9_ifPKiSB_iPKfiiiSD_SD_iiiii
		.amdhsa_group_segment_fixed_size 224
		.amdhsa_private_segment_fixed_size 0
		.amdhsa_kernarg_size 384
		.amdhsa_user_sgpr_count 2
		.amdhsa_user_sgpr_dispatch_ptr 0
		.amdhsa_user_sgpr_queue_ptr 0
		.amdhsa_user_sgpr_kernarg_segment_ptr 1
		.amdhsa_user_sgpr_dispatch_id 0
		.amdhsa_user_sgpr_kernarg_preload_length 0
		.amdhsa_user_sgpr_kernarg_preload_offset 0
		.amdhsa_user_sgpr_private_segment_size 0
		.amdhsa_wavefront_size32 1
		.amdhsa_uses_dynamic_stack 0
		.amdhsa_enable_private_segment 0
		.amdhsa_system_sgpr_workgroup_id_x 1
		.amdhsa_system_sgpr_workgroup_id_y 1
		.amdhsa_system_sgpr_workgroup_id_z 1
		.amdhsa_system_sgpr_workgroup_info 0
		.amdhsa_system_vgpr_workitem_id 0
		.amdhsa_next_free_vgpr 118
		.amdhsa_next_free_sgpr 31
		.amdhsa_named_barrier_count 0
		.amdhsa_reserve_vcc 1
		.amdhsa_float_round_mode_32 0
		.amdhsa_float_round_mode_16_64 0
		.amdhsa_float_denorm_mode_32 3
		.amdhsa_float_denorm_mode_16_64 3
		.amdhsa_fp16_overflow 0
		.amdhsa_memory_ordered 1
		.amdhsa_forward_progress 1
		.amdhsa_inst_pref_size 225
		.amdhsa_round_robin_scheduling 0
		.amdhsa_exception_fp_ieee_invalid_op 0
		.amdhsa_exception_fp_denorm_src 0
		.amdhsa_exception_fp_ieee_div_zero 0
		.amdhsa_exception_fp_ieee_overflow 0
		.amdhsa_exception_fp_ieee_underflow 0
		.amdhsa_exception_fp_ieee_inexact 0
		.amdhsa_exception_int_div_zero 0
	.end_amdhsa_kernel
	.section	.text._ZN4vllm25paged_attention_v1_kernelI14__hip_bfloat16hLi96ELi16ELi128ELNS_18Fp8KVCacheDataTypeE1ELb0EEEvPT_PKS3_PKT0_S9_ifPKiSB_iPKfiiiSD_SD_iiiii,"axG",@progbits,_ZN4vllm25paged_attention_v1_kernelI14__hip_bfloat16hLi96ELi16ELi128ELNS_18Fp8KVCacheDataTypeE1ELb0EEEvPT_PKS3_PKT0_S9_ifPKiSB_iPKfiiiSD_SD_iiiii,comdat
.Lfunc_end336:
	.size	_ZN4vllm25paged_attention_v1_kernelI14__hip_bfloat16hLi96ELi16ELi128ELNS_18Fp8KVCacheDataTypeE1ELb0EEEvPT_PKS3_PKT0_S9_ifPKiSB_iPKfiiiSD_SD_iiiii, .Lfunc_end336-_ZN4vllm25paged_attention_v1_kernelI14__hip_bfloat16hLi96ELi16ELi128ELNS_18Fp8KVCacheDataTypeE1ELb0EEEvPT_PKS3_PKT0_S9_ifPKiSB_iPKfiiiSD_SD_iiiii
                                        ; -- End function
	.set _ZN4vllm25paged_attention_v1_kernelI14__hip_bfloat16hLi96ELi16ELi128ELNS_18Fp8KVCacheDataTypeE1ELb0EEEvPT_PKS3_PKT0_S9_ifPKiSB_iPKfiiiSD_SD_iiiii.num_vgpr, 118
	.set _ZN4vllm25paged_attention_v1_kernelI14__hip_bfloat16hLi96ELi16ELi128ELNS_18Fp8KVCacheDataTypeE1ELb0EEEvPT_PKS3_PKT0_S9_ifPKiSB_iPKfiiiSD_SD_iiiii.num_agpr, 0
	.set _ZN4vllm25paged_attention_v1_kernelI14__hip_bfloat16hLi96ELi16ELi128ELNS_18Fp8KVCacheDataTypeE1ELb0EEEvPT_PKS3_PKT0_S9_ifPKiSB_iPKfiiiSD_SD_iiiii.numbered_sgpr, 31
	.set _ZN4vllm25paged_attention_v1_kernelI14__hip_bfloat16hLi96ELi16ELi128ELNS_18Fp8KVCacheDataTypeE1ELb0EEEvPT_PKS3_PKT0_S9_ifPKiSB_iPKfiiiSD_SD_iiiii.num_named_barrier, 0
	.set _ZN4vllm25paged_attention_v1_kernelI14__hip_bfloat16hLi96ELi16ELi128ELNS_18Fp8KVCacheDataTypeE1ELb0EEEvPT_PKS3_PKT0_S9_ifPKiSB_iPKfiiiSD_SD_iiiii.private_seg_size, 0
	.set _ZN4vllm25paged_attention_v1_kernelI14__hip_bfloat16hLi96ELi16ELi128ELNS_18Fp8KVCacheDataTypeE1ELb0EEEvPT_PKS3_PKT0_S9_ifPKiSB_iPKfiiiSD_SD_iiiii.uses_vcc, 1
	.set _ZN4vllm25paged_attention_v1_kernelI14__hip_bfloat16hLi96ELi16ELi128ELNS_18Fp8KVCacheDataTypeE1ELb0EEEvPT_PKS3_PKT0_S9_ifPKiSB_iPKfiiiSD_SD_iiiii.uses_flat_scratch, 0
	.set _ZN4vllm25paged_attention_v1_kernelI14__hip_bfloat16hLi96ELi16ELi128ELNS_18Fp8KVCacheDataTypeE1ELb0EEEvPT_PKS3_PKT0_S9_ifPKiSB_iPKfiiiSD_SD_iiiii.has_dyn_sized_stack, 0
	.set _ZN4vllm25paged_attention_v1_kernelI14__hip_bfloat16hLi96ELi16ELi128ELNS_18Fp8KVCacheDataTypeE1ELb0EEEvPT_PKS3_PKT0_S9_ifPKiSB_iPKfiiiSD_SD_iiiii.has_recursion, 0
	.set _ZN4vllm25paged_attention_v1_kernelI14__hip_bfloat16hLi96ELi16ELi128ELNS_18Fp8KVCacheDataTypeE1ELb0EEEvPT_PKS3_PKT0_S9_ifPKiSB_iPKfiiiSD_SD_iiiii.has_indirect_call, 0
	.section	.AMDGPU.csdata,"",@progbits
; Kernel info:
; codeLenInByte = 28720
; TotalNumSgprs: 33
; NumVgprs: 118
; ScratchSize: 0
; MemoryBound: 0
; FloatMode: 240
; IeeeMode: 1
; LDSByteSize: 224 bytes/workgroup (compile time only)
; SGPRBlocks: 0
; VGPRBlocks: 7
; NumSGPRsForWavesPerEU: 33
; NumVGPRsForWavesPerEU: 118
; NamedBarCnt: 0
; Occupancy: 8
; WaveLimiterHint : 1
; COMPUTE_PGM_RSRC2:SCRATCH_EN: 0
; COMPUTE_PGM_RSRC2:USER_SGPR: 2
; COMPUTE_PGM_RSRC2:TRAP_HANDLER: 0
; COMPUTE_PGM_RSRC2:TGID_X_EN: 1
; COMPUTE_PGM_RSRC2:TGID_Y_EN: 1
; COMPUTE_PGM_RSRC2:TGID_Z_EN: 1
; COMPUTE_PGM_RSRC2:TIDIG_COMP_CNT: 0
	.section	.text._ZN4vllm25paged_attention_v1_kernelI14__hip_bfloat16hLi112ELi16ELi128ELNS_18Fp8KVCacheDataTypeE1ELb0EEEvPT_PKS3_PKT0_S9_ifPKiSB_iPKfiiiSD_SD_iiiii,"axG",@progbits,_ZN4vllm25paged_attention_v1_kernelI14__hip_bfloat16hLi112ELi16ELi128ELNS_18Fp8KVCacheDataTypeE1ELb0EEEvPT_PKS3_PKT0_S9_ifPKiSB_iPKfiiiSD_SD_iiiii,comdat
	.protected	_ZN4vllm25paged_attention_v1_kernelI14__hip_bfloat16hLi112ELi16ELi128ELNS_18Fp8KVCacheDataTypeE1ELb0EEEvPT_PKS3_PKT0_S9_ifPKiSB_iPKfiiiSD_SD_iiiii ; -- Begin function _ZN4vllm25paged_attention_v1_kernelI14__hip_bfloat16hLi112ELi16ELi128ELNS_18Fp8KVCacheDataTypeE1ELb0EEEvPT_PKS3_PKT0_S9_ifPKiSB_iPKfiiiSD_SD_iiiii
	.globl	_ZN4vllm25paged_attention_v1_kernelI14__hip_bfloat16hLi112ELi16ELi128ELNS_18Fp8KVCacheDataTypeE1ELb0EEEvPT_PKS3_PKT0_S9_ifPKiSB_iPKfiiiSD_SD_iiiii
	.p2align	8
	.type	_ZN4vllm25paged_attention_v1_kernelI14__hip_bfloat16hLi112ELi16ELi128ELNS_18Fp8KVCacheDataTypeE1ELb0EEEvPT_PKS3_PKT0_S9_ifPKiSB_iPKfiiiSD_SD_iiiii,@function
_ZN4vllm25paged_attention_v1_kernelI14__hip_bfloat16hLi112ELi16ELi128ELNS_18Fp8KVCacheDataTypeE1ELb0EEEvPT_PKS3_PKT0_S9_ifPKiSB_iPKfiiiSD_SD_iiiii: ; @_ZN4vllm25paged_attention_v1_kernelI14__hip_bfloat16hLi112ELi16ELi128ELNS_18Fp8KVCacheDataTypeE1ELb0EEEvPT_PKS3_PKT0_S9_ifPKiSB_iPKfiiiSD_SD_iiiii
; %bb.0:
	s_load_b64 s[18:19], s[0:1], 0x20
	s_bfe_u32 s3, ttmp6, 0x4000c
	s_bfe_u32 s5, ttmp6, 0x40010
	s_and_b32 s4, ttmp7, 0xffff
	s_add_co_i32 s3, s3, 1
	s_add_co_i32 s5, s5, 1
	s_and_b32 s2, ttmp6, 15
	s_bfe_u32 s6, ttmp6, 0x40004
	s_mul_i32 s3, ttmp9, s3
	s_mul_i32 s5, s4, s5
	s_getreg_b32 s20, hwreg(HW_REG_IB_STS2, 6, 4)
	s_add_co_i32 s2, s2, s3
	s_add_co_i32 s3, s6, s5
	s_cmp_eq_u32 s20, 0
	v_mov_b32_e32 v28, v0
	s_cselect_b32 s22, s4, s3
	s_cselect_b32 s4, ttmp9, s2
	s_clause 0x1
	s_load_b32 s21, s[0:1], 0x80
	s_load_b64 s[6:7], s[0:1], 0x30
	s_wait_kmcnt 0x0
	s_abs_i32 s2, s18
	s_delay_alu instid0(SALU_CYCLE_1) | instskip(SKIP_1) | instid1(SALU_CYCLE_2)
	s_cvt_f32_u32 s3, s2
	s_sub_co_i32 s5, 0, s2
	v_rcp_iflag_f32_e32 v0, s3
	v_nop
	s_delay_alu instid0(TRANS32_DEP_1) | instskip(SKIP_2) | instid1(SALU_CYCLE_3)
	v_readfirstlane_b32 s3, v0
	s_abs_i32 s8, s21
	s_mul_f32 s3, s3, 0x4f7ffffe
	s_cvt_u32_f32 s3, s3
	s_delay_alu instid0(SALU_CYCLE_3) | instskip(NEXT) | instid1(SALU_CYCLE_1)
	s_mul_i32 s5, s5, s3
	s_mul_hi_u32 s5, s3, s5
	s_delay_alu instid0(SALU_CYCLE_1) | instskip(SKIP_4) | instid1(SALU_CYCLE_1)
	s_add_co_i32 s3, s3, s5
	s_xor_b32 s5, s21, s18
	s_mul_hi_u32 s3, s8, s3
	s_ashr_i32 s5, s5, 31
	s_mul_i32 s9, s3, s2
	s_sub_co_i32 s8, s8, s9
	s_add_co_i32 s9, s3, 1
	s_sub_co_i32 s10, s8, s2
	s_cmp_ge_u32 s8, s2
	s_cselect_b32 s3, s9, s3
	s_cselect_b32 s8, s10, s8
	s_add_co_i32 s9, s3, 1
	s_cmp_ge_u32 s8, s2
	s_cselect_b32 s2, s9, s3
	s_load_b64 s[8:9], s[0:1], 0x40
	s_xor_b32 s2, s2, s5
	s_mov_b32 s3, 0
	s_sub_co_i32 s14, s2, s5
	s_mov_b32 s13, s3
	s_abs_i32 s11, s14
	s_mov_b32 s18, s3
	s_cvt_f32_u32 s2, s11
	s_delay_alu instid0(SALU_CYCLE_3) | instskip(SKIP_1) | instid1(TRANS32_DEP_1)
	v_rcp_iflag_f32_e32 v0, s2
	v_nop
	v_readfirstlane_b32 s2, v0
	s_mul_f32 s2, s2, 0x4f7ffffe
	s_delay_alu instid0(SALU_CYCLE_3) | instskip(SKIP_1) | instid1(SALU_CYCLE_2)
	s_cvt_u32_f32 s5, s2
	s_sub_co_i32 s2, 0, s11
	s_mul_i32 s2, s2, s5
	s_delay_alu instid0(SALU_CYCLE_1)
	s_mul_hi_u32 s10, s5, s2
	s_abs_i32 s2, s4
	s_add_co_i32 s12, s5, s10
	s_wait_kmcnt 0x0
	s_cmp_eq_u64 s[8:9], 0
	s_cbranch_scc1 .LBB337_2
; %bb.1:
	s_ashr_i32 s5, s4, 31
	s_delay_alu instid0(SALU_CYCLE_1) | instskip(NEXT) | instid1(SALU_CYCLE_1)
	s_lshl_b64 s[16:17], s[4:5], 2
	s_add_nc_u64 s[8:9], s[8:9], s[16:17]
	s_load_b32 s18, s[8:9], 0x0
.LBB337_2:
	s_load_b32 s23, s[6:7], s22 offset:0x0 scale_offset
	s_wait_xcnt 0x0
	s_load_b96 s[8:10], s[0:1], 0x48
	v_dual_lshrrev_b32 v1, 1, v28 :: v_dual_bitop2_b32 v29, 1, v28 bitop3:0x40
	s_ashr_i32 s5, s4, 31
	s_ashr_i32 s14, s14, 31
	s_mul_u64 s[6:7], s[2:3], s[12:13]
	s_mul_i32 s12, s4, 0x70
	s_mov_b32 s3, exec_lo
	v_cmpx_gt_u32_e32 28, v28
	s_cbranch_execz .LBB337_4
; %bb.3:
	s_load_b64 s[16:17], s[0:1], 0x8
	s_wait_kmcnt 0x0
	s_mul_i32 s24, s8, s22
	s_ashr_i32 s13, s12, 31
	s_ashr_i32 s25, s24, 31
	v_lshlrev_b32_e32 v0, 3, v1
	s_lshl_b64 s[24:25], s[24:25], 1
	s_delay_alu instid0(VALU_DEP_1) | instskip(SKIP_2) | instid1(SALU_CYCLE_1)
	v_mad_u32_u24 v0, 0x70, v29, v0
	s_add_nc_u64 s[16:17], s[16:17], s[24:25]
	s_lshl_b64 s[24:25], s[12:13], 1
	s_add_nc_u64 s[16:17], s[16:17], s[24:25]
	global_load_b64 v[2:3], v28, s[16:17] scale_offset
	s_wait_loadcnt 0x0
	ds_store_b64 v0, v[2:3]
.LBB337_4:
	s_or_b32 exec_lo, exec_lo, s3
	s_wait_kmcnt 0x0
	s_add_co_i32 s3, s23, 15
	s_load_b32 s4, s[0:1], 0x38
	s_ashr_i32 s6, s3, 31
	s_mul_i32 s8, s7, s11
	s_lshr_b32 s6, s6, 28
	s_sub_co_i32 s2, s2, s8
	s_add_co_i32 s3, s3, s6
	s_xor_b32 s5, s5, s14
	s_ashr_i32 s13, s3, 4
	s_add_co_i32 s3, s7, 1
	s_sub_co_i32 s6, s2, s11
	s_cmp_ge_u32 s2, s11
	v_lshrrev_b32_e32 v75, 5, v28
	s_cselect_b32 s3, s3, s7
	s_cselect_b32 s2, s6, s2
	s_add_co_i32 s6, s3, 1
	s_cmp_ge_u32 s2, s11
	v_mbcnt_lo_u32_b32 v0, -1, 0
	s_cselect_b32 s2, s6, s3
	s_wait_dscnt 0x0
	s_xor_b32 s2, s2, s5
	s_wait_kmcnt 0x0
	s_mul_i32 s14, s4, s22
	s_sub_co_i32 s3, s2, s5
	v_cmp_gt_i32_e64 s2, s13, v75
	s_ashr_i32 s15, s14, 31
	s_mov_b32 s4, exec_lo
	s_barrier_signal -1
	s_barrier_wait -1
                                        ; implicit-def: $vgpr3
                                        ; implicit-def: $vgpr11
	v_cmpx_le_i32_e64 s13, v75
	s_xor_b32 s4, exec_lo, s4
; %bb.5:
	v_dual_mov_b32 v3, 0 :: v_dual_mov_b32 v11, 32
	v_mbcnt_lo_u32_b32 v0, -1, 0
; %bb.6:
	s_or_saveexec_b32 s24, s4
	scratch_store_b32 off, v1, off offset:4 ; 4-byte Folded Spill
	s_clause 0x2
	s_load_b32 s8, s[0:1], 0x88
	s_load_b64 s[16:17], s[0:1], 0x28
	s_load_b128 s[4:7], s[0:1], 0x58
	v_dual_mov_b32 v71, 0xff7fffff :: v_dual_lshrrev_b32 v74, 3, v28
	s_mul_i32 s10, s3, s10
	s_xor_b32 exec_lo, exec_lo, s24
	s_cbranch_execz .LBB337_460
; %bb.7:
	v_mul_u32_u24_e32 v1, 0x70, v29
	s_load_b64 s[26:27], s[0:1], 0x10
	s_ashr_i32 s11, s10, 31
	s_cmp_neq_f32 s18, 0
	v_mov_b32_e32 v71, 0xff7fffff
	ds_load_b128 v[2:5], v1
	ds_load_b128 v[6:9], v1 offset:16
	ds_load_b128 v[36:39], v1 offset:32
	;; [unrolled: 1-line block ×4, first 2 shown]
	s_wait_kmcnt 0x0
	s_load_b32 s5, s[4:5], 0x0
	s_cselect_b32 s3, -1, 0
	s_mov_b32 s25, s9
	s_clause 0x3
	scratch_store_b32 off, v28, off offset:8
	scratch_store_b32 off, v29, off offset:12
	;; [unrolled: 1-line block ×4, first 2 shown]
	s_wait_dscnt 0x4
	v_dual_lshlrev_b32 v10, 16, v2 :: v_dual_lshlrev_b32 v13, 16, v3
	v_and_b32_e32 v12, 0xffff0000, v2
	v_and_b32_e32 v14, 0xffff0000, v3
	v_dual_lshlrev_b32 v15, 16, v4 :: v_dual_lshlrev_b32 v18, 16, v5
	v_and_b32_e32 v16, 0xffff0000, v4
	v_and_b32_e32 v19, 0xffff0000, v5
	ds_load_b128 v[2:5], v1 offset:80
	s_wait_dscnt 0x4
	v_dual_lshlrev_b32 v21, 16, v6 :: v_dual_lshlrev_b32 v23, 16, v7
	v_and_b32_e32 v22, 0xffff0000, v6
	v_and_b32_e32 v24, 0xffff0000, v7
	v_dual_lshlrev_b32 v25, 16, v8 :: v_dual_lshlrev_b32 v27, 16, v9
	v_and_b32_e32 v26, 0xffff0000, v8
	v_and_b32_e32 v30, 0xffff0000, v9
	ds_load_b128 v[6:9], v1 offset:96
	v_bfe_u32 v1, v28, 1, 4
	s_wait_dscnt 0x4
	v_dual_lshlrev_b32 v31, 16, v36 :: v_dual_lshlrev_b32 v33, 16, v37
	v_and_b32_e32 v32, 0xffff0000, v36
	v_and_b32_e32 v34, 0xffff0000, v37
	v_dual_lshlrev_b32 v35, 16, v38 :: v_dual_lshlrev_b32 v37, 16, v39
	v_and_b32_e32 v36, 0xffff0000, v38
	v_and_b32_e32 v38, 0xffff0000, v39
	s_wait_dscnt 0x3
	v_dual_lshlrev_b32 v39, 16, v44 :: v_dual_lshlrev_b32 v41, 16, v45
	s_wait_dscnt 0x1
	v_dual_lshlrev_b32 v59, 16, v4 :: v_dual_lshlrev_b32 v61, 16, v5
	v_and_b32_e32 v60, 0xffff0000, v4
	v_xor_b32_e32 v4, 1, v0
	v_and_b32_e32 v40, 0xffff0000, v44
	v_and_b32_e32 v42, 0xffff0000, v45
	v_dual_lshlrev_b32 v43, 16, v46 :: v_dual_lshlrev_b32 v45, 16, v47
	v_and_b32_e32 v44, 0xffff0000, v46
	v_and_b32_e32 v46, 0xffff0000, v47
	v_dual_lshlrev_b32 v47, 16, v52 :: v_dual_lshlrev_b32 v49, 16, v53
	v_and_b32_e32 v48, 0xffff0000, v52
	v_and_b32_e32 v50, 0xffff0000, v53
	v_dual_lshlrev_b32 v51, 16, v54 :: v_dual_lshlrev_b32 v53, 16, v55
	v_and_b32_e32 v52, 0xffff0000, v54
	v_and_b32_e32 v54, 0xffff0000, v55
	v_dual_lshlrev_b32 v55, 16, v2 :: v_dual_lshlrev_b32 v57, 16, v3
	v_and_b32_e32 v56, 0xffff0000, v2
	v_and_b32_e32 v58, 0xffff0000, v3
	v_lshlrev_b32_e32 v2, 4, v1
	v_cmp_gt_i32_e32 vcc_lo, 32, v4
	v_mov_b32_e32 v3, 0
	s_add_nc_u64 s[26:27], s[26:27], s[10:11]
	v_and_b32_e32 v62, 0xffff0000, v5
	s_wait_dscnt 0x0
	v_dual_lshlrev_b32 v63, 16, v6 :: v_dual_lshlrev_b32 v65, 16, v7
	v_and_b32_e32 v64, 0xffff0000, v6
	v_cndmask_b32_e32 v6, v0, v4, vcc_lo
	v_add_nc_u64_e32 v[4:5], s[26:27], v[2:3]
	v_and_b32_e32 v66, 0xffff0000, v7
	v_lshlrev_b32_e32 v2, 2, v29
	s_delay_alu instid0(VALU_DEP_4)
	v_dual_lshlrev_b32 v7, 2, v1 :: v_dual_lshlrev_b32 v72, 2, v6
	s_lshl_b64 s[26:27], s[14:15], 2
	scratch_store_b32 off, v10, off         ; 4-byte Folded Spill
	v_add_nc_u64_e32 v[4:5], v[4:5], v[2:3]
	v_lshl_or_b32 v6, v75, 6, v7
	v_and_b32_e32 v2, 0x7c, v74
	s_add_nc_u64 s[26:27], s[16:17], s[26:27]
	v_dual_lshlrev_b32 v67, 16, v8 :: v_dual_lshlrev_b32 v69, 16, v9
	s_wait_xcnt 0x2
	v_add_nc_u32_e32 v74, 0x100, v6
	v_add_nc_u64_e32 v[6:7], s[26:27], v[2:3]
	v_and_b32_e32 v68, 0xffff0000, v8
	v_and_b32_e32 v70, 0xffff0000, v9
	v_lshl_or_b32 v73, v75, 4, v1
	s_mov_b32 s11, 0
	s_sub_co_i32 s26, 1, s23
	v_cmp_eq_u32_e32 vcc_lo, 0, v29
	s_branch .LBB337_9
.LBB337_8:                              ;   in Loop: Header=BB337_9 Depth=1
	s_or_b32 exec_lo, exec_lo, s27
	v_dual_add_nc_u32 v75, 4, v75 :: v_dual_add_nc_u32 v73, 64, v73
	v_add_nc_u64_e32 v[6:7], 16, v[6:7]
	v_add_nc_u32_e32 v74, 0x100, v74
	s_delay_alu instid0(VALU_DEP_3) | instskip(SKIP_1) | instid1(SALU_CYCLE_1)
	v_cmp_le_i32_e64 s4, s13, v75
	s_or_b32 s11, s4, s11
	s_and_not1_b32 exec_lo, exec_lo, s11
	s_cbranch_execz .LBB337_459
.LBB337_9:                              ; =>This Inner Loop Header: Depth=1
	global_load_b32 v1, v[6:7], off
	v_dual_mov_b32 v77, 0 :: v_dual_mov_b32 v76, 0
	s_mov_b32 s27, exec_lo
	s_wait_loadcnt 0x0
	v_mad_nc_i64_i32 v[8:9], v1, s25, v[4:5]
	global_load_b32 v20, v[8:9], off
	s_wait_loadcnt 0x0
	v_and_b32_e32 v1, 0xff, v20
	s_wait_xcnt 0x0
	s_delay_alu instid0(VALU_DEP_1)
	v_cmpx_ne_u16_e32 0, v1
	s_cbranch_execz .LBB337_17
; %bb.10:                               ;   in Loop: Header=BB337_9 Depth=1
	v_bfrev_b32_e32 v76, 1
	s_mov_b32 s28, exec_lo
	v_cmpx_ne_u16_e32 0x80, v1
	s_cbranch_execz .LBB337_16
; %bb.11:                               ;   in Loop: Header=BB337_9 Depth=1
	v_and_b32_e32 v28, 0x7f, v20
	v_mov_b32_e32 v76, 0x7f800001
	s_mov_b32 s29, exec_lo
	s_delay_alu instid0(VALU_DEP_2)
	v_cmpx_ne_u32_e32 0x7f, v28
	s_cbranch_execz .LBB337_15
; %bb.12:                               ;   in Loop: Header=BB337_9 Depth=1
	s_wait_dscnt 0x0
	v_and_b32_e32 v2, 7, v20
	v_lshrrev_b32_e32 v1, 3, v28
	s_mov_b32 s30, exec_lo
	v_cmpx_gt_u32_e32 8, v28
; %bb.13:                               ;   in Loop: Header=BB337_9 Depth=1
	s_delay_alu instid0(VALU_DEP_3) | instskip(NEXT) | instid1(VALU_DEP_1)
	v_clz_i32_u32_e32 v1, v2
	v_min_u32_e32 v1, 32, v1
	s_delay_alu instid0(VALU_DEP_1) | instskip(NEXT) | instid1(VALU_DEP_1)
	v_subrev_nc_u32_e32 v10, 28, v1
	v_lshlrev_b64_e32 v[28:29], v10, v[2:3]
	s_delay_alu instid0(VALU_DEP_1)
	v_dual_sub_nc_u32 v1, 29, v1 :: v_dual_bitop2_b32 v2, 7, v28 bitop3:0x40
; %bb.14:                               ;   in Loop: Header=BB337_9 Depth=1
	s_or_b32 exec_lo, exec_lo, s30
	s_delay_alu instid0(VALU_DEP_1) | instskip(NEXT) | instid1(VALU_DEP_2)
	v_dual_lshlrev_b32 v10, 24, v20 :: v_dual_lshlrev_b32 v2, 20, v2
	v_lshl_add_u32 v1, v1, 23, 0x3c000000
	s_delay_alu instid0(VALU_DEP_2) | instskip(NEXT) | instid1(VALU_DEP_1)
	v_and_b32_e32 v10, 0x80000000, v10
	v_or3_b32 v76, v2, v10, v1
.LBB337_15:                             ;   in Loop: Header=BB337_9 Depth=1
	s_or_b32 exec_lo, exec_lo, s29
.LBB337_16:                             ;   in Loop: Header=BB337_9 Depth=1
	s_delay_alu instid0(SALU_CYCLE_1)
	s_or_b32 exec_lo, exec_lo, s28
.LBB337_17:                             ;   in Loop: Header=BB337_9 Depth=1
	s_delay_alu instid0(SALU_CYCLE_1) | instskip(SKIP_2) | instid1(VALU_DEP_1)
	s_or_b32 exec_lo, exec_lo, s27
	v_lshrrev_b16 v1, 8, v20
	s_mov_b32 s27, exec_lo
	v_cmpx_ne_u16_e32 0, v1
	s_cbranch_execz .LBB337_25
; %bb.18:                               ;   in Loop: Header=BB337_9 Depth=1
	v_bfrev_b32_e32 v77, 1
	s_mov_b32 s28, exec_lo
	v_cmpx_ne_u16_e32 0x80, v1
	s_cbranch_execz .LBB337_24
; %bb.19:                               ;   in Loop: Header=BB337_9 Depth=1
	v_and_b32_e32 v1, 0xffff, v1
	v_mov_b32_e32 v77, 0x7f800001
	s_mov_b32 s29, exec_lo
	s_delay_alu instid0(VALU_DEP_2) | instskip(NEXT) | instid1(VALU_DEP_1)
	v_and_b32_e32 v28, 0x7f, v1
	v_cmpx_ne_u32_e32 0x7f, v28
	s_cbranch_execz .LBB337_23
; %bb.20:                               ;   in Loop: Header=BB337_9 Depth=1
	s_wait_dscnt 0x0
	v_dual_lshrrev_b32 v1, 3, v28 :: v_dual_bitop2_b32 v2, 7, v1 bitop3:0x40
	s_mov_b32 s30, exec_lo
	v_cmpx_gt_u32_e32 8, v28
; %bb.21:                               ;   in Loop: Header=BB337_9 Depth=1
	s_delay_alu instid0(VALU_DEP_2) | instskip(NEXT) | instid1(VALU_DEP_1)
	v_clz_i32_u32_e32 v1, v2
	v_min_u32_e32 v1, 32, v1
	s_delay_alu instid0(VALU_DEP_1) | instskip(NEXT) | instid1(VALU_DEP_1)
	v_subrev_nc_u32_e32 v10, 28, v1
	v_lshlrev_b64_e32 v[28:29], v10, v[2:3]
	s_delay_alu instid0(VALU_DEP_1)
	v_dual_sub_nc_u32 v1, 29, v1 :: v_dual_bitop2_b32 v2, 7, v28 bitop3:0x40
; %bb.22:                               ;   in Loop: Header=BB337_9 Depth=1
	s_or_b32 exec_lo, exec_lo, s30
	s_delay_alu instid0(VALU_DEP_1) | instskip(NEXT) | instid1(VALU_DEP_2)
	v_dual_lshlrev_b32 v10, 16, v20 :: v_dual_lshlrev_b32 v2, 20, v2
	v_lshl_add_u32 v1, v1, 23, 0x3c000000
	s_delay_alu instid0(VALU_DEP_2) | instskip(NEXT) | instid1(VALU_DEP_1)
	v_and_b32_e32 v10, 0x80000000, v10
	v_or3_b32 v77, v2, v10, v1
.LBB337_23:                             ;   in Loop: Header=BB337_9 Depth=1
	s_or_b32 exec_lo, exec_lo, s29
.LBB337_24:                             ;   in Loop: Header=BB337_9 Depth=1
	s_delay_alu instid0(SALU_CYCLE_1)
	s_or_b32 exec_lo, exec_lo, s28
.LBB337_25:                             ;   in Loop: Header=BB337_9 Depth=1
	s_delay_alu instid0(SALU_CYCLE_1) | instskip(SKIP_3) | instid1(VALU_DEP_2)
	s_or_b32 exec_lo, exec_lo, s27
	v_dual_lshrrev_b32 v28, 16, v20 :: v_dual_mov_b32 v78, 0
	v_mov_b32_e32 v79, 0
	s_mov_b32 s27, exec_lo
	v_and_b32_e32 v1, 0xff, v28
	s_delay_alu instid0(VALU_DEP_1)
	v_cmpx_ne_u16_e32 0, v1
	s_cbranch_execz .LBB337_33
; %bb.26:                               ;   in Loop: Header=BB337_9 Depth=1
	v_bfrev_b32_e32 v79, 1
	s_mov_b32 s28, exec_lo
	v_cmpx_ne_u16_e32 0x80, v1
	s_cbranch_execz .LBB337_32
; %bb.27:                               ;   in Loop: Header=BB337_9 Depth=1
	v_bfe_u32 v29, v20, 16, 7
	v_mov_b32_e32 v79, 0x7f800001
	s_mov_b32 s29, exec_lo
	s_delay_alu instid0(VALU_DEP_2)
	v_cmpx_ne_u32_e32 0x7f, v29
	s_cbranch_execz .LBB337_31
; %bb.28:                               ;   in Loop: Header=BB337_9 Depth=1
	s_wait_dscnt 0x0
	v_dual_lshrrev_b32 v1, 3, v29 :: v_dual_bitop2_b32 v2, 7, v28 bitop3:0x40
	s_mov_b32 s30, exec_lo
	v_cmpx_gt_u32_e32 8, v29
; %bb.29:                               ;   in Loop: Header=BB337_9 Depth=1
	s_delay_alu instid0(VALU_DEP_2) | instskip(NEXT) | instid1(VALU_DEP_1)
	v_clz_i32_u32_e32 v1, v2
	v_min_u32_e32 v1, 32, v1
	s_delay_alu instid0(VALU_DEP_1) | instskip(NEXT) | instid1(VALU_DEP_1)
	v_subrev_nc_u32_e32 v10, 28, v1
	v_lshlrev_b64_e32 v[80:81], v10, v[2:3]
	s_delay_alu instid0(VALU_DEP_1)
	v_dual_sub_nc_u32 v1, 29, v1 :: v_dual_bitop2_b32 v2, 7, v80 bitop3:0x40
; %bb.30:                               ;   in Loop: Header=BB337_9 Depth=1
	s_or_b32 exec_lo, exec_lo, s30
	s_delay_alu instid0(VALU_DEP_1) | instskip(NEXT) | instid1(VALU_DEP_2)
	v_dual_lshlrev_b32 v10, 24, v28 :: v_dual_lshlrev_b32 v2, 20, v2
	v_lshl_add_u32 v1, v1, 23, 0x3c000000
	s_delay_alu instid0(VALU_DEP_2) | instskip(NEXT) | instid1(VALU_DEP_1)
	v_and_b32_e32 v10, 0x80000000, v10
	v_or3_b32 v79, v2, v10, v1
.LBB337_31:                             ;   in Loop: Header=BB337_9 Depth=1
	s_or_b32 exec_lo, exec_lo, s29
.LBB337_32:                             ;   in Loop: Header=BB337_9 Depth=1
	s_delay_alu instid0(SALU_CYCLE_1)
	s_or_b32 exec_lo, exec_lo, s28
.LBB337_33:                             ;   in Loop: Header=BB337_9 Depth=1
	s_delay_alu instid0(SALU_CYCLE_1) | instskip(NEXT) | instid1(SALU_CYCLE_1)
	s_or_b32 exec_lo, exec_lo, s27
	s_mov_b32 s27, exec_lo
	v_cmpx_lt_u32_e32 0xffffff, v20
	s_cbranch_execz .LBB337_41
; %bb.34:                               ;   in Loop: Header=BB337_9 Depth=1
	v_lshrrev_b32_e32 v1, 24, v20
	v_bfrev_b32_e32 v78, 1
	s_mov_b32 s28, exec_lo
	s_delay_alu instid0(VALU_DEP_2)
	v_cmpx_ne_u32_e32 0x80, v1
	s_cbranch_execz .LBB337_40
; %bb.35:                               ;   in Loop: Header=BB337_9 Depth=1
	v_bfe_u32 v28, v20, 24, 7
	v_mov_b32_e32 v78, 0x7f800001
	s_mov_b32 s29, exec_lo
	s_delay_alu instid0(VALU_DEP_2)
	v_cmpx_ne_u32_e32 0x7f, v28
	s_cbranch_execz .LBB337_39
; %bb.36:                               ;   in Loop: Header=BB337_9 Depth=1
	s_wait_dscnt 0x0
	v_dual_lshrrev_b32 v20, 3, v28 :: v_dual_bitop2_b32 v2, 7, v1 bitop3:0x40
	s_mov_b32 s30, exec_lo
	v_cmpx_gt_u32_e32 8, v28
; %bb.37:                               ;   in Loop: Header=BB337_9 Depth=1
	s_delay_alu instid0(VALU_DEP_2) | instskip(NEXT) | instid1(VALU_DEP_1)
	v_clz_i32_u32_e32 v10, v2
	v_min_u32_e32 v10, 32, v10
	s_delay_alu instid0(VALU_DEP_1) | instskip(NEXT) | instid1(VALU_DEP_1)
	v_subrev_nc_u32_e32 v11, 28, v10
	v_lshlrev_b64_e32 v[28:29], v11, v[2:3]
	s_delay_alu instid0(VALU_DEP_1)
	v_dual_sub_nc_u32 v20, 29, v10 :: v_dual_bitop2_b32 v2, 7, v28 bitop3:0x40
; %bb.38:                               ;   in Loop: Header=BB337_9 Depth=1
	s_or_b32 exec_lo, exec_lo, s30
	s_delay_alu instid0(VALU_DEP_1) | instskip(NEXT) | instid1(VALU_DEP_2)
	v_dual_lshlrev_b32 v1, 24, v1 :: v_dual_lshlrev_b32 v2, 20, v2
	v_lshl_add_u32 v10, v20, 23, 0x3c000000
	s_delay_alu instid0(VALU_DEP_2) | instskip(NEXT) | instid1(VALU_DEP_1)
	v_and_b32_e32 v1, 0x80000000, v1
	v_or3_b32 v78, v2, v1, v10
.LBB337_39:                             ;   in Loop: Header=BB337_9 Depth=1
	s_or_b32 exec_lo, exec_lo, s29
.LBB337_40:                             ;   in Loop: Header=BB337_9 Depth=1
	s_delay_alu instid0(SALU_CYCLE_1)
	s_or_b32 exec_lo, exec_lo, s28
.LBB337_41:                             ;   in Loop: Header=BB337_9 Depth=1
	s_delay_alu instid0(SALU_CYCLE_1)
	s_or_b32 exec_lo, exec_lo, s27
	global_load_b32 v20, v[8:9], off offset:8
	v_dual_mov_b32 v80, 0 :: v_dual_mov_b32 v81, 0
	s_mov_b32 s27, exec_lo
	s_wait_loadcnt 0x0
	v_and_b32_e32 v1, 0xff, v20
	s_wait_xcnt 0x0
	s_delay_alu instid0(VALU_DEP_1)
	v_cmpx_ne_u16_e32 0, v1
	s_cbranch_execz .LBB337_49
; %bb.42:                               ;   in Loop: Header=BB337_9 Depth=1
	v_bfrev_b32_e32 v81, 1
	s_mov_b32 s28, exec_lo
	v_cmpx_ne_u16_e32 0x80, v1
	s_cbranch_execz .LBB337_48
; %bb.43:                               ;   in Loop: Header=BB337_9 Depth=1
	v_and_b32_e32 v28, 0x7f, v20
	v_mov_b32_e32 v81, 0x7f800001
	s_mov_b32 s29, exec_lo
	s_delay_alu instid0(VALU_DEP_2)
	v_cmpx_ne_u32_e32 0x7f, v28
	s_cbranch_execz .LBB337_47
; %bb.44:                               ;   in Loop: Header=BB337_9 Depth=1
	s_wait_dscnt 0x0
	v_and_b32_e32 v2, 7, v20
	v_lshrrev_b32_e32 v1, 3, v28
	s_mov_b32 s30, exec_lo
	v_cmpx_gt_u32_e32 8, v28
; %bb.45:                               ;   in Loop: Header=BB337_9 Depth=1
	s_delay_alu instid0(VALU_DEP_3) | instskip(NEXT) | instid1(VALU_DEP_1)
	v_clz_i32_u32_e32 v1, v2
	v_min_u32_e32 v1, 32, v1
	s_delay_alu instid0(VALU_DEP_1) | instskip(NEXT) | instid1(VALU_DEP_1)
	v_subrev_nc_u32_e32 v10, 28, v1
	v_lshlrev_b64_e32 v[28:29], v10, v[2:3]
	s_delay_alu instid0(VALU_DEP_1)
	v_dual_sub_nc_u32 v1, 29, v1 :: v_dual_bitop2_b32 v2, 7, v28 bitop3:0x40
; %bb.46:                               ;   in Loop: Header=BB337_9 Depth=1
	s_or_b32 exec_lo, exec_lo, s30
	s_delay_alu instid0(VALU_DEP_1) | instskip(NEXT) | instid1(VALU_DEP_2)
	v_dual_lshlrev_b32 v10, 24, v20 :: v_dual_lshlrev_b32 v2, 20, v2
	v_lshl_add_u32 v1, v1, 23, 0x3c000000
	s_delay_alu instid0(VALU_DEP_2) | instskip(NEXT) | instid1(VALU_DEP_1)
	v_and_b32_e32 v10, 0x80000000, v10
	v_or3_b32 v81, v2, v10, v1
.LBB337_47:                             ;   in Loop: Header=BB337_9 Depth=1
	s_or_b32 exec_lo, exec_lo, s29
.LBB337_48:                             ;   in Loop: Header=BB337_9 Depth=1
	s_delay_alu instid0(SALU_CYCLE_1)
	s_or_b32 exec_lo, exec_lo, s28
.LBB337_49:                             ;   in Loop: Header=BB337_9 Depth=1
	s_delay_alu instid0(SALU_CYCLE_1) | instskip(SKIP_2) | instid1(VALU_DEP_1)
	s_or_b32 exec_lo, exec_lo, s27
	v_lshrrev_b16 v1, 8, v20
	s_mov_b32 s27, exec_lo
	v_cmpx_ne_u16_e32 0, v1
	s_cbranch_execz .LBB337_57
; %bb.50:                               ;   in Loop: Header=BB337_9 Depth=1
	v_bfrev_b32_e32 v80, 1
	s_mov_b32 s28, exec_lo
	v_cmpx_ne_u16_e32 0x80, v1
	s_cbranch_execz .LBB337_56
; %bb.51:                               ;   in Loop: Header=BB337_9 Depth=1
	v_and_b32_e32 v1, 0xffff, v1
	v_mov_b32_e32 v80, 0x7f800001
	s_mov_b32 s29, exec_lo
	s_delay_alu instid0(VALU_DEP_2) | instskip(NEXT) | instid1(VALU_DEP_1)
	v_and_b32_e32 v28, 0x7f, v1
	v_cmpx_ne_u32_e32 0x7f, v28
	s_cbranch_execz .LBB337_55
; %bb.52:                               ;   in Loop: Header=BB337_9 Depth=1
	s_wait_dscnt 0x0
	v_dual_lshrrev_b32 v1, 3, v28 :: v_dual_bitop2_b32 v2, 7, v1 bitop3:0x40
	s_mov_b32 s30, exec_lo
	v_cmpx_gt_u32_e32 8, v28
; %bb.53:                               ;   in Loop: Header=BB337_9 Depth=1
	s_delay_alu instid0(VALU_DEP_2) | instskip(NEXT) | instid1(VALU_DEP_1)
	v_clz_i32_u32_e32 v1, v2
	v_min_u32_e32 v1, 32, v1
	s_delay_alu instid0(VALU_DEP_1) | instskip(NEXT) | instid1(VALU_DEP_1)
	v_subrev_nc_u32_e32 v10, 28, v1
	v_lshlrev_b64_e32 v[28:29], v10, v[2:3]
	s_delay_alu instid0(VALU_DEP_1)
	v_dual_sub_nc_u32 v1, 29, v1 :: v_dual_bitop2_b32 v2, 7, v28 bitop3:0x40
; %bb.54:                               ;   in Loop: Header=BB337_9 Depth=1
	s_or_b32 exec_lo, exec_lo, s30
	s_delay_alu instid0(VALU_DEP_1) | instskip(NEXT) | instid1(VALU_DEP_2)
	v_dual_lshlrev_b32 v10, 16, v20 :: v_dual_lshlrev_b32 v2, 20, v2
	v_lshl_add_u32 v1, v1, 23, 0x3c000000
	s_delay_alu instid0(VALU_DEP_2) | instskip(NEXT) | instid1(VALU_DEP_1)
	v_and_b32_e32 v10, 0x80000000, v10
	v_or3_b32 v80, v2, v10, v1
.LBB337_55:                             ;   in Loop: Header=BB337_9 Depth=1
	s_or_b32 exec_lo, exec_lo, s29
.LBB337_56:                             ;   in Loop: Header=BB337_9 Depth=1
	s_delay_alu instid0(SALU_CYCLE_1)
	s_or_b32 exec_lo, exec_lo, s28
.LBB337_57:                             ;   in Loop: Header=BB337_9 Depth=1
	s_delay_alu instid0(SALU_CYCLE_1) | instskip(SKIP_3) | instid1(VALU_DEP_2)
	s_or_b32 exec_lo, exec_lo, s27
	v_dual_lshrrev_b32 v28, 16, v20 :: v_dual_mov_b32 v82, 0
	v_mov_b32_e32 v83, 0
	s_mov_b32 s27, exec_lo
	v_and_b32_e32 v1, 0xff, v28
	s_delay_alu instid0(VALU_DEP_1)
	v_cmpx_ne_u16_e32 0, v1
	s_cbranch_execz .LBB337_65
; %bb.58:                               ;   in Loop: Header=BB337_9 Depth=1
	v_bfrev_b32_e32 v83, 1
	s_mov_b32 s28, exec_lo
	v_cmpx_ne_u16_e32 0x80, v1
	s_cbranch_execz .LBB337_64
; %bb.59:                               ;   in Loop: Header=BB337_9 Depth=1
	v_bfe_u32 v29, v20, 16, 7
	v_mov_b32_e32 v83, 0x7f800001
	s_mov_b32 s29, exec_lo
	s_delay_alu instid0(VALU_DEP_2)
	v_cmpx_ne_u32_e32 0x7f, v29
	s_cbranch_execz .LBB337_63
; %bb.60:                               ;   in Loop: Header=BB337_9 Depth=1
	s_wait_dscnt 0x0
	v_dual_lshrrev_b32 v1, 3, v29 :: v_dual_bitop2_b32 v2, 7, v28 bitop3:0x40
	s_mov_b32 s30, exec_lo
	v_cmpx_gt_u32_e32 8, v29
; %bb.61:                               ;   in Loop: Header=BB337_9 Depth=1
	s_delay_alu instid0(VALU_DEP_2) | instskip(NEXT) | instid1(VALU_DEP_1)
	v_clz_i32_u32_e32 v1, v2
	v_min_u32_e32 v1, 32, v1
	s_delay_alu instid0(VALU_DEP_1) | instskip(NEXT) | instid1(VALU_DEP_1)
	v_subrev_nc_u32_e32 v10, 28, v1
	v_lshlrev_b64_e32 v[84:85], v10, v[2:3]
	s_delay_alu instid0(VALU_DEP_1)
	v_dual_sub_nc_u32 v1, 29, v1 :: v_dual_bitop2_b32 v2, 7, v84 bitop3:0x40
; %bb.62:                               ;   in Loop: Header=BB337_9 Depth=1
	s_or_b32 exec_lo, exec_lo, s30
	s_delay_alu instid0(VALU_DEP_1) | instskip(NEXT) | instid1(VALU_DEP_2)
	v_dual_lshlrev_b32 v10, 24, v28 :: v_dual_lshlrev_b32 v2, 20, v2
	v_lshl_add_u32 v1, v1, 23, 0x3c000000
	s_delay_alu instid0(VALU_DEP_2) | instskip(NEXT) | instid1(VALU_DEP_1)
	v_and_b32_e32 v10, 0x80000000, v10
	v_or3_b32 v83, v2, v10, v1
.LBB337_63:                             ;   in Loop: Header=BB337_9 Depth=1
	s_or_b32 exec_lo, exec_lo, s29
.LBB337_64:                             ;   in Loop: Header=BB337_9 Depth=1
	s_delay_alu instid0(SALU_CYCLE_1)
	s_or_b32 exec_lo, exec_lo, s28
.LBB337_65:                             ;   in Loop: Header=BB337_9 Depth=1
	s_delay_alu instid0(SALU_CYCLE_1) | instskip(NEXT) | instid1(SALU_CYCLE_1)
	s_or_b32 exec_lo, exec_lo, s27
	s_mov_b32 s27, exec_lo
	v_cmpx_lt_u32_e32 0xffffff, v20
	s_cbranch_execz .LBB337_73
; %bb.66:                               ;   in Loop: Header=BB337_9 Depth=1
	v_lshrrev_b32_e32 v1, 24, v20
	v_bfrev_b32_e32 v82, 1
	s_mov_b32 s28, exec_lo
	s_delay_alu instid0(VALU_DEP_2)
	v_cmpx_ne_u32_e32 0x80, v1
	s_cbranch_execz .LBB337_72
; %bb.67:                               ;   in Loop: Header=BB337_9 Depth=1
	v_bfe_u32 v28, v20, 24, 7
	v_mov_b32_e32 v82, 0x7f800001
	s_mov_b32 s29, exec_lo
	s_delay_alu instid0(VALU_DEP_2)
	v_cmpx_ne_u32_e32 0x7f, v28
	s_cbranch_execz .LBB337_71
; %bb.68:                               ;   in Loop: Header=BB337_9 Depth=1
	s_wait_dscnt 0x0
	v_dual_lshrrev_b32 v20, 3, v28 :: v_dual_bitop2_b32 v2, 7, v1 bitop3:0x40
	s_mov_b32 s30, exec_lo
	v_cmpx_gt_u32_e32 8, v28
; %bb.69:                               ;   in Loop: Header=BB337_9 Depth=1
	s_delay_alu instid0(VALU_DEP_2) | instskip(NEXT) | instid1(VALU_DEP_1)
	v_clz_i32_u32_e32 v10, v2
	v_min_u32_e32 v10, 32, v10
	s_delay_alu instid0(VALU_DEP_1) | instskip(NEXT) | instid1(VALU_DEP_1)
	v_subrev_nc_u32_e32 v11, 28, v10
	v_lshlrev_b64_e32 v[28:29], v11, v[2:3]
	s_delay_alu instid0(VALU_DEP_1)
	v_dual_sub_nc_u32 v20, 29, v10 :: v_dual_bitop2_b32 v2, 7, v28 bitop3:0x40
; %bb.70:                               ;   in Loop: Header=BB337_9 Depth=1
	s_or_b32 exec_lo, exec_lo, s30
	s_delay_alu instid0(VALU_DEP_1) | instskip(NEXT) | instid1(VALU_DEP_2)
	v_dual_lshlrev_b32 v1, 24, v1 :: v_dual_lshlrev_b32 v2, 20, v2
	v_lshl_add_u32 v10, v20, 23, 0x3c000000
	s_delay_alu instid0(VALU_DEP_2) | instskip(NEXT) | instid1(VALU_DEP_1)
	v_and_b32_e32 v1, 0x80000000, v1
	v_or3_b32 v82, v2, v1, v10
.LBB337_71:                             ;   in Loop: Header=BB337_9 Depth=1
	s_or_b32 exec_lo, exec_lo, s29
.LBB337_72:                             ;   in Loop: Header=BB337_9 Depth=1
	s_delay_alu instid0(SALU_CYCLE_1)
	s_or_b32 exec_lo, exec_lo, s28
.LBB337_73:                             ;   in Loop: Header=BB337_9 Depth=1
	s_delay_alu instid0(SALU_CYCLE_1)
	s_or_b32 exec_lo, exec_lo, s27
	global_load_b32 v20, v[8:9], off offset:256
	v_dual_mov_b32 v85, 0 :: v_dual_mov_b32 v84, 0
	s_mov_b32 s27, exec_lo
	s_wait_loadcnt 0x0
	v_and_b32_e32 v1, 0xff, v20
	s_wait_xcnt 0x0
	s_delay_alu instid0(VALU_DEP_1)
	v_cmpx_ne_u16_e32 0, v1
	s_cbranch_execz .LBB337_81
; %bb.74:                               ;   in Loop: Header=BB337_9 Depth=1
	v_bfrev_b32_e32 v84, 1
	s_mov_b32 s28, exec_lo
	v_cmpx_ne_u16_e32 0x80, v1
	s_cbranch_execz .LBB337_80
; %bb.75:                               ;   in Loop: Header=BB337_9 Depth=1
	v_and_b32_e32 v28, 0x7f, v20
	v_mov_b32_e32 v84, 0x7f800001
	s_mov_b32 s29, exec_lo
	s_delay_alu instid0(VALU_DEP_2)
	v_cmpx_ne_u32_e32 0x7f, v28
	s_cbranch_execz .LBB337_79
; %bb.76:                               ;   in Loop: Header=BB337_9 Depth=1
	s_wait_dscnt 0x0
	v_and_b32_e32 v2, 7, v20
	v_lshrrev_b32_e32 v1, 3, v28
	s_mov_b32 s30, exec_lo
	v_cmpx_gt_u32_e32 8, v28
; %bb.77:                               ;   in Loop: Header=BB337_9 Depth=1
	s_delay_alu instid0(VALU_DEP_3) | instskip(NEXT) | instid1(VALU_DEP_1)
	v_clz_i32_u32_e32 v1, v2
	v_min_u32_e32 v1, 32, v1
	s_delay_alu instid0(VALU_DEP_1) | instskip(NEXT) | instid1(VALU_DEP_1)
	v_subrev_nc_u32_e32 v10, 28, v1
	v_lshlrev_b64_e32 v[28:29], v10, v[2:3]
	s_delay_alu instid0(VALU_DEP_1)
	v_dual_sub_nc_u32 v1, 29, v1 :: v_dual_bitop2_b32 v2, 7, v28 bitop3:0x40
; %bb.78:                               ;   in Loop: Header=BB337_9 Depth=1
	s_or_b32 exec_lo, exec_lo, s30
	s_delay_alu instid0(VALU_DEP_1) | instskip(NEXT) | instid1(VALU_DEP_2)
	v_dual_lshlrev_b32 v10, 24, v20 :: v_dual_lshlrev_b32 v2, 20, v2
	v_lshl_add_u32 v1, v1, 23, 0x3c000000
	s_delay_alu instid0(VALU_DEP_2) | instskip(NEXT) | instid1(VALU_DEP_1)
	v_and_b32_e32 v10, 0x80000000, v10
	v_or3_b32 v84, v2, v10, v1
.LBB337_79:                             ;   in Loop: Header=BB337_9 Depth=1
	s_or_b32 exec_lo, exec_lo, s29
.LBB337_80:                             ;   in Loop: Header=BB337_9 Depth=1
	s_delay_alu instid0(SALU_CYCLE_1)
	s_or_b32 exec_lo, exec_lo, s28
.LBB337_81:                             ;   in Loop: Header=BB337_9 Depth=1
	s_delay_alu instid0(SALU_CYCLE_1) | instskip(SKIP_2) | instid1(VALU_DEP_1)
	s_or_b32 exec_lo, exec_lo, s27
	v_lshrrev_b16 v1, 8, v20
	s_mov_b32 s27, exec_lo
	v_cmpx_ne_u16_e32 0, v1
	s_cbranch_execz .LBB337_89
; %bb.82:                               ;   in Loop: Header=BB337_9 Depth=1
	v_bfrev_b32_e32 v85, 1
	s_mov_b32 s28, exec_lo
	v_cmpx_ne_u16_e32 0x80, v1
	s_cbranch_execz .LBB337_88
; %bb.83:                               ;   in Loop: Header=BB337_9 Depth=1
	v_and_b32_e32 v1, 0xffff, v1
	v_mov_b32_e32 v85, 0x7f800001
	s_mov_b32 s29, exec_lo
	s_delay_alu instid0(VALU_DEP_2) | instskip(NEXT) | instid1(VALU_DEP_1)
	v_and_b32_e32 v28, 0x7f, v1
	v_cmpx_ne_u32_e32 0x7f, v28
	s_cbranch_execz .LBB337_87
; %bb.84:                               ;   in Loop: Header=BB337_9 Depth=1
	s_wait_dscnt 0x0
	v_dual_lshrrev_b32 v1, 3, v28 :: v_dual_bitop2_b32 v2, 7, v1 bitop3:0x40
	s_mov_b32 s30, exec_lo
	v_cmpx_gt_u32_e32 8, v28
; %bb.85:                               ;   in Loop: Header=BB337_9 Depth=1
	s_delay_alu instid0(VALU_DEP_2) | instskip(NEXT) | instid1(VALU_DEP_1)
	v_clz_i32_u32_e32 v1, v2
	v_min_u32_e32 v1, 32, v1
	s_delay_alu instid0(VALU_DEP_1) | instskip(NEXT) | instid1(VALU_DEP_1)
	v_subrev_nc_u32_e32 v10, 28, v1
	v_lshlrev_b64_e32 v[28:29], v10, v[2:3]
	s_delay_alu instid0(VALU_DEP_1)
	v_dual_sub_nc_u32 v1, 29, v1 :: v_dual_bitop2_b32 v2, 7, v28 bitop3:0x40
; %bb.86:                               ;   in Loop: Header=BB337_9 Depth=1
	s_or_b32 exec_lo, exec_lo, s30
	s_delay_alu instid0(VALU_DEP_1) | instskip(NEXT) | instid1(VALU_DEP_2)
	v_dual_lshlrev_b32 v10, 16, v20 :: v_dual_lshlrev_b32 v2, 20, v2
	v_lshl_add_u32 v1, v1, 23, 0x3c000000
	s_delay_alu instid0(VALU_DEP_2) | instskip(NEXT) | instid1(VALU_DEP_1)
	v_and_b32_e32 v10, 0x80000000, v10
	v_or3_b32 v85, v2, v10, v1
.LBB337_87:                             ;   in Loop: Header=BB337_9 Depth=1
	s_or_b32 exec_lo, exec_lo, s29
.LBB337_88:                             ;   in Loop: Header=BB337_9 Depth=1
	s_delay_alu instid0(SALU_CYCLE_1)
	s_or_b32 exec_lo, exec_lo, s28
.LBB337_89:                             ;   in Loop: Header=BB337_9 Depth=1
	s_delay_alu instid0(SALU_CYCLE_1) | instskip(SKIP_3) | instid1(VALU_DEP_2)
	s_or_b32 exec_lo, exec_lo, s27
	v_dual_lshrrev_b32 v28, 16, v20 :: v_dual_mov_b32 v86, 0
	v_mov_b32_e32 v87, 0
	s_mov_b32 s27, exec_lo
	v_and_b32_e32 v1, 0xff, v28
	s_delay_alu instid0(VALU_DEP_1)
	v_cmpx_ne_u16_e32 0, v1
	s_cbranch_execz .LBB337_97
; %bb.90:                               ;   in Loop: Header=BB337_9 Depth=1
	v_bfrev_b32_e32 v87, 1
	s_mov_b32 s28, exec_lo
	v_cmpx_ne_u16_e32 0x80, v1
	s_cbranch_execz .LBB337_96
; %bb.91:                               ;   in Loop: Header=BB337_9 Depth=1
	v_bfe_u32 v29, v20, 16, 7
	v_mov_b32_e32 v87, 0x7f800001
	s_mov_b32 s29, exec_lo
	s_delay_alu instid0(VALU_DEP_2)
	v_cmpx_ne_u32_e32 0x7f, v29
	s_cbranch_execz .LBB337_95
; %bb.92:                               ;   in Loop: Header=BB337_9 Depth=1
	s_wait_dscnt 0x0
	v_dual_lshrrev_b32 v1, 3, v29 :: v_dual_bitop2_b32 v2, 7, v28 bitop3:0x40
	s_mov_b32 s30, exec_lo
	v_cmpx_gt_u32_e32 8, v29
; %bb.93:                               ;   in Loop: Header=BB337_9 Depth=1
	s_delay_alu instid0(VALU_DEP_2) | instskip(NEXT) | instid1(VALU_DEP_1)
	v_clz_i32_u32_e32 v1, v2
	v_min_u32_e32 v1, 32, v1
	s_delay_alu instid0(VALU_DEP_1) | instskip(NEXT) | instid1(VALU_DEP_1)
	v_subrev_nc_u32_e32 v10, 28, v1
	v_lshlrev_b64_e32 v[88:89], v10, v[2:3]
	s_delay_alu instid0(VALU_DEP_1)
	v_dual_sub_nc_u32 v1, 29, v1 :: v_dual_bitop2_b32 v2, 7, v88 bitop3:0x40
; %bb.94:                               ;   in Loop: Header=BB337_9 Depth=1
	s_or_b32 exec_lo, exec_lo, s30
	s_delay_alu instid0(VALU_DEP_1) | instskip(NEXT) | instid1(VALU_DEP_2)
	v_dual_lshlrev_b32 v10, 24, v28 :: v_dual_lshlrev_b32 v2, 20, v2
	v_lshl_add_u32 v1, v1, 23, 0x3c000000
	s_delay_alu instid0(VALU_DEP_2) | instskip(NEXT) | instid1(VALU_DEP_1)
	v_and_b32_e32 v10, 0x80000000, v10
	v_or3_b32 v87, v2, v10, v1
.LBB337_95:                             ;   in Loop: Header=BB337_9 Depth=1
	s_or_b32 exec_lo, exec_lo, s29
.LBB337_96:                             ;   in Loop: Header=BB337_9 Depth=1
	s_delay_alu instid0(SALU_CYCLE_1)
	s_or_b32 exec_lo, exec_lo, s28
.LBB337_97:                             ;   in Loop: Header=BB337_9 Depth=1
	s_delay_alu instid0(SALU_CYCLE_1) | instskip(NEXT) | instid1(SALU_CYCLE_1)
	s_or_b32 exec_lo, exec_lo, s27
	s_mov_b32 s27, exec_lo
	v_cmpx_lt_u32_e32 0xffffff, v20
	s_cbranch_execz .LBB337_105
; %bb.98:                               ;   in Loop: Header=BB337_9 Depth=1
	v_lshrrev_b32_e32 v1, 24, v20
	v_bfrev_b32_e32 v86, 1
	s_mov_b32 s28, exec_lo
	s_delay_alu instid0(VALU_DEP_2)
	v_cmpx_ne_u32_e32 0x80, v1
	s_cbranch_execz .LBB337_104
; %bb.99:                               ;   in Loop: Header=BB337_9 Depth=1
	v_bfe_u32 v28, v20, 24, 7
	v_mov_b32_e32 v86, 0x7f800001
	s_mov_b32 s29, exec_lo
	s_delay_alu instid0(VALU_DEP_2)
	v_cmpx_ne_u32_e32 0x7f, v28
	s_cbranch_execz .LBB337_103
; %bb.100:                              ;   in Loop: Header=BB337_9 Depth=1
	s_wait_dscnt 0x0
	v_dual_lshrrev_b32 v20, 3, v28 :: v_dual_bitop2_b32 v2, 7, v1 bitop3:0x40
	s_mov_b32 s30, exec_lo
	v_cmpx_gt_u32_e32 8, v28
; %bb.101:                              ;   in Loop: Header=BB337_9 Depth=1
	s_delay_alu instid0(VALU_DEP_2) | instskip(NEXT) | instid1(VALU_DEP_1)
	v_clz_i32_u32_e32 v10, v2
	v_min_u32_e32 v10, 32, v10
	s_delay_alu instid0(VALU_DEP_1) | instskip(NEXT) | instid1(VALU_DEP_1)
	v_subrev_nc_u32_e32 v11, 28, v10
	v_lshlrev_b64_e32 v[28:29], v11, v[2:3]
	s_delay_alu instid0(VALU_DEP_1)
	v_dual_sub_nc_u32 v20, 29, v10 :: v_dual_bitop2_b32 v2, 7, v28 bitop3:0x40
; %bb.102:                              ;   in Loop: Header=BB337_9 Depth=1
	s_or_b32 exec_lo, exec_lo, s30
	s_delay_alu instid0(VALU_DEP_1) | instskip(NEXT) | instid1(VALU_DEP_2)
	v_dual_lshlrev_b32 v1, 24, v1 :: v_dual_lshlrev_b32 v2, 20, v2
	v_lshl_add_u32 v10, v20, 23, 0x3c000000
	s_delay_alu instid0(VALU_DEP_2) | instskip(NEXT) | instid1(VALU_DEP_1)
	v_and_b32_e32 v1, 0x80000000, v1
	v_or3_b32 v86, v2, v1, v10
.LBB337_103:                            ;   in Loop: Header=BB337_9 Depth=1
	s_or_b32 exec_lo, exec_lo, s29
.LBB337_104:                            ;   in Loop: Header=BB337_9 Depth=1
	s_delay_alu instid0(SALU_CYCLE_1)
	s_or_b32 exec_lo, exec_lo, s28
.LBB337_105:                            ;   in Loop: Header=BB337_9 Depth=1
	s_delay_alu instid0(SALU_CYCLE_1)
	s_or_b32 exec_lo, exec_lo, s27
	global_load_b32 v20, v[8:9], off offset:264
	v_dual_mov_b32 v89, 0 :: v_dual_mov_b32 v88, 0
	s_mov_b32 s27, exec_lo
	s_wait_loadcnt 0x0
	v_and_b32_e32 v1, 0xff, v20
	s_wait_xcnt 0x0
	s_delay_alu instid0(VALU_DEP_1)
	v_cmpx_ne_u16_e32 0, v1
	s_cbranch_execz .LBB337_113
; %bb.106:                              ;   in Loop: Header=BB337_9 Depth=1
	v_bfrev_b32_e32 v88, 1
	s_mov_b32 s28, exec_lo
	v_cmpx_ne_u16_e32 0x80, v1
	s_cbranch_execz .LBB337_112
; %bb.107:                              ;   in Loop: Header=BB337_9 Depth=1
	v_and_b32_e32 v28, 0x7f, v20
	v_mov_b32_e32 v88, 0x7f800001
	s_mov_b32 s29, exec_lo
	s_delay_alu instid0(VALU_DEP_2)
	v_cmpx_ne_u32_e32 0x7f, v28
	s_cbranch_execz .LBB337_111
; %bb.108:                              ;   in Loop: Header=BB337_9 Depth=1
	s_wait_dscnt 0x0
	v_and_b32_e32 v2, 7, v20
	v_lshrrev_b32_e32 v1, 3, v28
	s_mov_b32 s30, exec_lo
	v_cmpx_gt_u32_e32 8, v28
; %bb.109:                              ;   in Loop: Header=BB337_9 Depth=1
	s_delay_alu instid0(VALU_DEP_3) | instskip(NEXT) | instid1(VALU_DEP_1)
	v_clz_i32_u32_e32 v1, v2
	v_min_u32_e32 v1, 32, v1
	s_delay_alu instid0(VALU_DEP_1) | instskip(NEXT) | instid1(VALU_DEP_1)
	v_subrev_nc_u32_e32 v10, 28, v1
	v_lshlrev_b64_e32 v[28:29], v10, v[2:3]
	s_delay_alu instid0(VALU_DEP_1)
	v_dual_sub_nc_u32 v1, 29, v1 :: v_dual_bitop2_b32 v2, 7, v28 bitop3:0x40
; %bb.110:                              ;   in Loop: Header=BB337_9 Depth=1
	s_or_b32 exec_lo, exec_lo, s30
	s_delay_alu instid0(VALU_DEP_1) | instskip(NEXT) | instid1(VALU_DEP_2)
	v_dual_lshlrev_b32 v10, 24, v20 :: v_dual_lshlrev_b32 v2, 20, v2
	v_lshl_add_u32 v1, v1, 23, 0x3c000000
	s_delay_alu instid0(VALU_DEP_2) | instskip(NEXT) | instid1(VALU_DEP_1)
	v_and_b32_e32 v10, 0x80000000, v10
	v_or3_b32 v88, v2, v10, v1
.LBB337_111:                            ;   in Loop: Header=BB337_9 Depth=1
	s_or_b32 exec_lo, exec_lo, s29
.LBB337_112:                            ;   in Loop: Header=BB337_9 Depth=1
	s_delay_alu instid0(SALU_CYCLE_1)
	s_or_b32 exec_lo, exec_lo, s28
.LBB337_113:                            ;   in Loop: Header=BB337_9 Depth=1
	s_delay_alu instid0(SALU_CYCLE_1) | instskip(SKIP_2) | instid1(VALU_DEP_1)
	s_or_b32 exec_lo, exec_lo, s27
	v_lshrrev_b16 v1, 8, v20
	s_mov_b32 s27, exec_lo
	v_cmpx_ne_u16_e32 0, v1
	s_cbranch_execz .LBB337_121
; %bb.114:                              ;   in Loop: Header=BB337_9 Depth=1
	v_bfrev_b32_e32 v89, 1
	s_mov_b32 s28, exec_lo
	v_cmpx_ne_u16_e32 0x80, v1
	s_cbranch_execz .LBB337_120
; %bb.115:                              ;   in Loop: Header=BB337_9 Depth=1
	v_and_b32_e32 v1, 0xffff, v1
	v_mov_b32_e32 v89, 0x7f800001
	s_mov_b32 s29, exec_lo
	s_delay_alu instid0(VALU_DEP_2) | instskip(NEXT) | instid1(VALU_DEP_1)
	v_and_b32_e32 v28, 0x7f, v1
	v_cmpx_ne_u32_e32 0x7f, v28
	s_cbranch_execz .LBB337_119
; %bb.116:                              ;   in Loop: Header=BB337_9 Depth=1
	s_wait_dscnt 0x0
	v_dual_lshrrev_b32 v1, 3, v28 :: v_dual_bitop2_b32 v2, 7, v1 bitop3:0x40
	s_mov_b32 s30, exec_lo
	v_cmpx_gt_u32_e32 8, v28
; %bb.117:                              ;   in Loop: Header=BB337_9 Depth=1
	s_delay_alu instid0(VALU_DEP_2) | instskip(NEXT) | instid1(VALU_DEP_1)
	v_clz_i32_u32_e32 v1, v2
	v_min_u32_e32 v1, 32, v1
	s_delay_alu instid0(VALU_DEP_1) | instskip(NEXT) | instid1(VALU_DEP_1)
	v_subrev_nc_u32_e32 v10, 28, v1
	v_lshlrev_b64_e32 v[28:29], v10, v[2:3]
	s_delay_alu instid0(VALU_DEP_1)
	v_dual_sub_nc_u32 v1, 29, v1 :: v_dual_bitop2_b32 v2, 7, v28 bitop3:0x40
; %bb.118:                              ;   in Loop: Header=BB337_9 Depth=1
	s_or_b32 exec_lo, exec_lo, s30
	s_delay_alu instid0(VALU_DEP_1) | instskip(NEXT) | instid1(VALU_DEP_2)
	v_dual_lshlrev_b32 v10, 16, v20 :: v_dual_lshlrev_b32 v2, 20, v2
	v_lshl_add_u32 v1, v1, 23, 0x3c000000
	s_delay_alu instid0(VALU_DEP_2) | instskip(NEXT) | instid1(VALU_DEP_1)
	v_and_b32_e32 v10, 0x80000000, v10
	v_or3_b32 v89, v2, v10, v1
.LBB337_119:                            ;   in Loop: Header=BB337_9 Depth=1
	s_or_b32 exec_lo, exec_lo, s29
.LBB337_120:                            ;   in Loop: Header=BB337_9 Depth=1
	s_delay_alu instid0(SALU_CYCLE_1)
	s_or_b32 exec_lo, exec_lo, s28
.LBB337_121:                            ;   in Loop: Header=BB337_9 Depth=1
	s_delay_alu instid0(SALU_CYCLE_1) | instskip(SKIP_3) | instid1(VALU_DEP_2)
	s_or_b32 exec_lo, exec_lo, s27
	v_dual_lshrrev_b32 v28, 16, v20 :: v_dual_mov_b32 v90, 0
	v_mov_b32_e32 v91, 0
	s_mov_b32 s27, exec_lo
	v_and_b32_e32 v1, 0xff, v28
	s_delay_alu instid0(VALU_DEP_1)
	v_cmpx_ne_u16_e32 0, v1
	s_cbranch_execz .LBB337_129
; %bb.122:                              ;   in Loop: Header=BB337_9 Depth=1
	v_bfrev_b32_e32 v91, 1
	s_mov_b32 s28, exec_lo
	v_cmpx_ne_u16_e32 0x80, v1
	s_cbranch_execz .LBB337_128
; %bb.123:                              ;   in Loop: Header=BB337_9 Depth=1
	v_bfe_u32 v29, v20, 16, 7
	v_mov_b32_e32 v91, 0x7f800001
	s_mov_b32 s29, exec_lo
	s_delay_alu instid0(VALU_DEP_2)
	v_cmpx_ne_u32_e32 0x7f, v29
	s_cbranch_execz .LBB337_127
; %bb.124:                              ;   in Loop: Header=BB337_9 Depth=1
	s_wait_dscnt 0x0
	v_dual_lshrrev_b32 v1, 3, v29 :: v_dual_bitop2_b32 v2, 7, v28 bitop3:0x40
	s_mov_b32 s30, exec_lo
	v_cmpx_gt_u32_e32 8, v29
; %bb.125:                              ;   in Loop: Header=BB337_9 Depth=1
	s_delay_alu instid0(VALU_DEP_2) | instskip(NEXT) | instid1(VALU_DEP_1)
	v_clz_i32_u32_e32 v1, v2
	v_min_u32_e32 v1, 32, v1
	s_delay_alu instid0(VALU_DEP_1) | instskip(NEXT) | instid1(VALU_DEP_1)
	v_subrev_nc_u32_e32 v10, 28, v1
	v_lshlrev_b64_e32 v[92:93], v10, v[2:3]
	s_delay_alu instid0(VALU_DEP_1)
	v_dual_sub_nc_u32 v1, 29, v1 :: v_dual_bitop2_b32 v2, 7, v92 bitop3:0x40
; %bb.126:                              ;   in Loop: Header=BB337_9 Depth=1
	s_or_b32 exec_lo, exec_lo, s30
	s_delay_alu instid0(VALU_DEP_1) | instskip(NEXT) | instid1(VALU_DEP_2)
	v_dual_lshlrev_b32 v10, 24, v28 :: v_dual_lshlrev_b32 v2, 20, v2
	v_lshl_add_u32 v1, v1, 23, 0x3c000000
	s_delay_alu instid0(VALU_DEP_2) | instskip(NEXT) | instid1(VALU_DEP_1)
	v_and_b32_e32 v10, 0x80000000, v10
	v_or3_b32 v91, v2, v10, v1
.LBB337_127:                            ;   in Loop: Header=BB337_9 Depth=1
	s_or_b32 exec_lo, exec_lo, s29
.LBB337_128:                            ;   in Loop: Header=BB337_9 Depth=1
	s_delay_alu instid0(SALU_CYCLE_1)
	s_or_b32 exec_lo, exec_lo, s28
.LBB337_129:                            ;   in Loop: Header=BB337_9 Depth=1
	s_delay_alu instid0(SALU_CYCLE_1) | instskip(NEXT) | instid1(SALU_CYCLE_1)
	s_or_b32 exec_lo, exec_lo, s27
	s_mov_b32 s27, exec_lo
	v_cmpx_lt_u32_e32 0xffffff, v20
	s_cbranch_execz .LBB337_137
; %bb.130:                              ;   in Loop: Header=BB337_9 Depth=1
	v_lshrrev_b32_e32 v1, 24, v20
	v_bfrev_b32_e32 v90, 1
	s_mov_b32 s28, exec_lo
	s_delay_alu instid0(VALU_DEP_2)
	v_cmpx_ne_u32_e32 0x80, v1
	s_cbranch_execz .LBB337_136
; %bb.131:                              ;   in Loop: Header=BB337_9 Depth=1
	v_bfe_u32 v28, v20, 24, 7
	v_mov_b32_e32 v90, 0x7f800001
	s_mov_b32 s29, exec_lo
	s_delay_alu instid0(VALU_DEP_2)
	v_cmpx_ne_u32_e32 0x7f, v28
	s_cbranch_execz .LBB337_135
; %bb.132:                              ;   in Loop: Header=BB337_9 Depth=1
	s_wait_dscnt 0x0
	v_dual_lshrrev_b32 v20, 3, v28 :: v_dual_bitop2_b32 v2, 7, v1 bitop3:0x40
	s_mov_b32 s30, exec_lo
	v_cmpx_gt_u32_e32 8, v28
; %bb.133:                              ;   in Loop: Header=BB337_9 Depth=1
	s_delay_alu instid0(VALU_DEP_2) | instskip(NEXT) | instid1(VALU_DEP_1)
	v_clz_i32_u32_e32 v10, v2
	v_min_u32_e32 v10, 32, v10
	s_delay_alu instid0(VALU_DEP_1) | instskip(NEXT) | instid1(VALU_DEP_1)
	v_subrev_nc_u32_e32 v11, 28, v10
	v_lshlrev_b64_e32 v[28:29], v11, v[2:3]
	s_delay_alu instid0(VALU_DEP_1)
	v_dual_sub_nc_u32 v20, 29, v10 :: v_dual_bitop2_b32 v2, 7, v28 bitop3:0x40
; %bb.134:                              ;   in Loop: Header=BB337_9 Depth=1
	s_or_b32 exec_lo, exec_lo, s30
	s_delay_alu instid0(VALU_DEP_1) | instskip(NEXT) | instid1(VALU_DEP_2)
	v_dual_lshlrev_b32 v1, 24, v1 :: v_dual_lshlrev_b32 v2, 20, v2
	v_lshl_add_u32 v10, v20, 23, 0x3c000000
	s_delay_alu instid0(VALU_DEP_2) | instskip(NEXT) | instid1(VALU_DEP_1)
	v_and_b32_e32 v1, 0x80000000, v1
	v_or3_b32 v90, v2, v1, v10
.LBB337_135:                            ;   in Loop: Header=BB337_9 Depth=1
	s_or_b32 exec_lo, exec_lo, s29
.LBB337_136:                            ;   in Loop: Header=BB337_9 Depth=1
	s_delay_alu instid0(SALU_CYCLE_1)
	s_or_b32 exec_lo, exec_lo, s28
.LBB337_137:                            ;   in Loop: Header=BB337_9 Depth=1
	s_delay_alu instid0(SALU_CYCLE_1)
	s_or_b32 exec_lo, exec_lo, s27
	global_load_b32 v20, v[8:9], off offset:512
	v_dual_mov_b32 v93, 0 :: v_dual_mov_b32 v92, 0
	s_mov_b32 s27, exec_lo
	s_wait_loadcnt 0x0
	v_and_b32_e32 v1, 0xff, v20
	s_wait_xcnt 0x0
	s_delay_alu instid0(VALU_DEP_1)
	v_cmpx_ne_u16_e32 0, v1
	s_cbranch_execz .LBB337_145
; %bb.138:                              ;   in Loop: Header=BB337_9 Depth=1
	v_bfrev_b32_e32 v92, 1
	s_mov_b32 s28, exec_lo
	v_cmpx_ne_u16_e32 0x80, v1
	s_cbranch_execz .LBB337_144
; %bb.139:                              ;   in Loop: Header=BB337_9 Depth=1
	v_and_b32_e32 v28, 0x7f, v20
	v_mov_b32_e32 v92, 0x7f800001
	s_mov_b32 s29, exec_lo
	s_delay_alu instid0(VALU_DEP_2)
	v_cmpx_ne_u32_e32 0x7f, v28
	s_cbranch_execz .LBB337_143
; %bb.140:                              ;   in Loop: Header=BB337_9 Depth=1
	s_wait_dscnt 0x0
	v_and_b32_e32 v2, 7, v20
	v_lshrrev_b32_e32 v1, 3, v28
	s_mov_b32 s30, exec_lo
	v_cmpx_gt_u32_e32 8, v28
; %bb.141:                              ;   in Loop: Header=BB337_9 Depth=1
	s_delay_alu instid0(VALU_DEP_3) | instskip(NEXT) | instid1(VALU_DEP_1)
	v_clz_i32_u32_e32 v1, v2
	v_min_u32_e32 v1, 32, v1
	s_delay_alu instid0(VALU_DEP_1) | instskip(NEXT) | instid1(VALU_DEP_1)
	v_subrev_nc_u32_e32 v10, 28, v1
	v_lshlrev_b64_e32 v[28:29], v10, v[2:3]
	s_delay_alu instid0(VALU_DEP_1)
	v_dual_sub_nc_u32 v1, 29, v1 :: v_dual_bitop2_b32 v2, 7, v28 bitop3:0x40
; %bb.142:                              ;   in Loop: Header=BB337_9 Depth=1
	s_or_b32 exec_lo, exec_lo, s30
	s_delay_alu instid0(VALU_DEP_1) | instskip(NEXT) | instid1(VALU_DEP_2)
	v_dual_lshlrev_b32 v10, 24, v20 :: v_dual_lshlrev_b32 v2, 20, v2
	v_lshl_add_u32 v1, v1, 23, 0x3c000000
	s_delay_alu instid0(VALU_DEP_2) | instskip(NEXT) | instid1(VALU_DEP_1)
	v_and_b32_e32 v10, 0x80000000, v10
	v_or3_b32 v92, v2, v10, v1
.LBB337_143:                            ;   in Loop: Header=BB337_9 Depth=1
	s_or_b32 exec_lo, exec_lo, s29
.LBB337_144:                            ;   in Loop: Header=BB337_9 Depth=1
	s_delay_alu instid0(SALU_CYCLE_1)
	s_or_b32 exec_lo, exec_lo, s28
.LBB337_145:                            ;   in Loop: Header=BB337_9 Depth=1
	s_delay_alu instid0(SALU_CYCLE_1) | instskip(SKIP_2) | instid1(VALU_DEP_1)
	s_or_b32 exec_lo, exec_lo, s27
	v_lshrrev_b16 v1, 8, v20
	s_mov_b32 s27, exec_lo
	v_cmpx_ne_u16_e32 0, v1
	s_cbranch_execz .LBB337_153
; %bb.146:                              ;   in Loop: Header=BB337_9 Depth=1
	v_bfrev_b32_e32 v93, 1
	s_mov_b32 s28, exec_lo
	v_cmpx_ne_u16_e32 0x80, v1
	s_cbranch_execz .LBB337_152
; %bb.147:                              ;   in Loop: Header=BB337_9 Depth=1
	v_and_b32_e32 v1, 0xffff, v1
	v_mov_b32_e32 v93, 0x7f800001
	s_mov_b32 s29, exec_lo
	s_delay_alu instid0(VALU_DEP_2) | instskip(NEXT) | instid1(VALU_DEP_1)
	v_and_b32_e32 v28, 0x7f, v1
	v_cmpx_ne_u32_e32 0x7f, v28
	s_cbranch_execz .LBB337_151
; %bb.148:                              ;   in Loop: Header=BB337_9 Depth=1
	s_wait_dscnt 0x0
	v_dual_lshrrev_b32 v1, 3, v28 :: v_dual_bitop2_b32 v2, 7, v1 bitop3:0x40
	s_mov_b32 s30, exec_lo
	v_cmpx_gt_u32_e32 8, v28
; %bb.149:                              ;   in Loop: Header=BB337_9 Depth=1
	s_delay_alu instid0(VALU_DEP_2) | instskip(NEXT) | instid1(VALU_DEP_1)
	v_clz_i32_u32_e32 v1, v2
	v_min_u32_e32 v1, 32, v1
	s_delay_alu instid0(VALU_DEP_1) | instskip(NEXT) | instid1(VALU_DEP_1)
	v_subrev_nc_u32_e32 v10, 28, v1
	v_lshlrev_b64_e32 v[28:29], v10, v[2:3]
	s_delay_alu instid0(VALU_DEP_1)
	v_dual_sub_nc_u32 v1, 29, v1 :: v_dual_bitop2_b32 v2, 7, v28 bitop3:0x40
; %bb.150:                              ;   in Loop: Header=BB337_9 Depth=1
	s_or_b32 exec_lo, exec_lo, s30
	s_delay_alu instid0(VALU_DEP_1) | instskip(NEXT) | instid1(VALU_DEP_2)
	v_dual_lshlrev_b32 v10, 16, v20 :: v_dual_lshlrev_b32 v2, 20, v2
	v_lshl_add_u32 v1, v1, 23, 0x3c000000
	s_delay_alu instid0(VALU_DEP_2) | instskip(NEXT) | instid1(VALU_DEP_1)
	v_and_b32_e32 v10, 0x80000000, v10
	v_or3_b32 v93, v2, v10, v1
.LBB337_151:                            ;   in Loop: Header=BB337_9 Depth=1
	s_or_b32 exec_lo, exec_lo, s29
.LBB337_152:                            ;   in Loop: Header=BB337_9 Depth=1
	s_delay_alu instid0(SALU_CYCLE_1)
	s_or_b32 exec_lo, exec_lo, s28
.LBB337_153:                            ;   in Loop: Header=BB337_9 Depth=1
	s_delay_alu instid0(SALU_CYCLE_1) | instskip(SKIP_3) | instid1(VALU_DEP_2)
	s_or_b32 exec_lo, exec_lo, s27
	v_dual_lshrrev_b32 v28, 16, v20 :: v_dual_mov_b32 v94, 0
	v_mov_b32_e32 v95, 0
	s_mov_b32 s27, exec_lo
	v_and_b32_e32 v1, 0xff, v28
	s_delay_alu instid0(VALU_DEP_1)
	v_cmpx_ne_u16_e32 0, v1
	s_cbranch_execz .LBB337_161
; %bb.154:                              ;   in Loop: Header=BB337_9 Depth=1
	v_bfrev_b32_e32 v95, 1
	s_mov_b32 s28, exec_lo
	v_cmpx_ne_u16_e32 0x80, v1
	s_cbranch_execz .LBB337_160
; %bb.155:                              ;   in Loop: Header=BB337_9 Depth=1
	v_bfe_u32 v29, v20, 16, 7
	v_mov_b32_e32 v95, 0x7f800001
	s_mov_b32 s29, exec_lo
	s_delay_alu instid0(VALU_DEP_2)
	v_cmpx_ne_u32_e32 0x7f, v29
	s_cbranch_execz .LBB337_159
; %bb.156:                              ;   in Loop: Header=BB337_9 Depth=1
	s_wait_dscnt 0x0
	v_dual_lshrrev_b32 v1, 3, v29 :: v_dual_bitop2_b32 v2, 7, v28 bitop3:0x40
	s_mov_b32 s30, exec_lo
	v_cmpx_gt_u32_e32 8, v29
; %bb.157:                              ;   in Loop: Header=BB337_9 Depth=1
	s_delay_alu instid0(VALU_DEP_2) | instskip(NEXT) | instid1(VALU_DEP_1)
	v_clz_i32_u32_e32 v1, v2
	v_min_u32_e32 v1, 32, v1
	s_delay_alu instid0(VALU_DEP_1) | instskip(NEXT) | instid1(VALU_DEP_1)
	v_subrev_nc_u32_e32 v10, 28, v1
	v_lshlrev_b64_e32 v[96:97], v10, v[2:3]
	s_delay_alu instid0(VALU_DEP_1)
	v_dual_sub_nc_u32 v1, 29, v1 :: v_dual_bitop2_b32 v2, 7, v96 bitop3:0x40
; %bb.158:                              ;   in Loop: Header=BB337_9 Depth=1
	s_or_b32 exec_lo, exec_lo, s30
	s_delay_alu instid0(VALU_DEP_1) | instskip(NEXT) | instid1(VALU_DEP_2)
	v_dual_lshlrev_b32 v10, 24, v28 :: v_dual_lshlrev_b32 v2, 20, v2
	v_lshl_add_u32 v1, v1, 23, 0x3c000000
	s_delay_alu instid0(VALU_DEP_2) | instskip(NEXT) | instid1(VALU_DEP_1)
	v_and_b32_e32 v10, 0x80000000, v10
	v_or3_b32 v95, v2, v10, v1
.LBB337_159:                            ;   in Loop: Header=BB337_9 Depth=1
	s_or_b32 exec_lo, exec_lo, s29
.LBB337_160:                            ;   in Loop: Header=BB337_9 Depth=1
	s_delay_alu instid0(SALU_CYCLE_1)
	s_or_b32 exec_lo, exec_lo, s28
.LBB337_161:                            ;   in Loop: Header=BB337_9 Depth=1
	s_delay_alu instid0(SALU_CYCLE_1) | instskip(NEXT) | instid1(SALU_CYCLE_1)
	s_or_b32 exec_lo, exec_lo, s27
	s_mov_b32 s27, exec_lo
	v_cmpx_lt_u32_e32 0xffffff, v20
	s_cbranch_execz .LBB337_169
; %bb.162:                              ;   in Loop: Header=BB337_9 Depth=1
	v_lshrrev_b32_e32 v1, 24, v20
	v_bfrev_b32_e32 v94, 1
	s_mov_b32 s28, exec_lo
	s_delay_alu instid0(VALU_DEP_2)
	v_cmpx_ne_u32_e32 0x80, v1
	s_cbranch_execz .LBB337_168
; %bb.163:                              ;   in Loop: Header=BB337_9 Depth=1
	v_bfe_u32 v28, v20, 24, 7
	v_mov_b32_e32 v94, 0x7f800001
	s_mov_b32 s29, exec_lo
	s_delay_alu instid0(VALU_DEP_2)
	v_cmpx_ne_u32_e32 0x7f, v28
	s_cbranch_execz .LBB337_167
; %bb.164:                              ;   in Loop: Header=BB337_9 Depth=1
	s_wait_dscnt 0x0
	v_dual_lshrrev_b32 v20, 3, v28 :: v_dual_bitop2_b32 v2, 7, v1 bitop3:0x40
	s_mov_b32 s30, exec_lo
	v_cmpx_gt_u32_e32 8, v28
; %bb.165:                              ;   in Loop: Header=BB337_9 Depth=1
	s_delay_alu instid0(VALU_DEP_2) | instskip(NEXT) | instid1(VALU_DEP_1)
	v_clz_i32_u32_e32 v10, v2
	v_min_u32_e32 v10, 32, v10
	s_delay_alu instid0(VALU_DEP_1) | instskip(NEXT) | instid1(VALU_DEP_1)
	v_subrev_nc_u32_e32 v11, 28, v10
	v_lshlrev_b64_e32 v[28:29], v11, v[2:3]
	s_delay_alu instid0(VALU_DEP_1)
	v_dual_sub_nc_u32 v20, 29, v10 :: v_dual_bitop2_b32 v2, 7, v28 bitop3:0x40
; %bb.166:                              ;   in Loop: Header=BB337_9 Depth=1
	s_or_b32 exec_lo, exec_lo, s30
	s_delay_alu instid0(VALU_DEP_1) | instskip(NEXT) | instid1(VALU_DEP_2)
	v_dual_lshlrev_b32 v1, 24, v1 :: v_dual_lshlrev_b32 v2, 20, v2
	v_lshl_add_u32 v10, v20, 23, 0x3c000000
	s_delay_alu instid0(VALU_DEP_2) | instskip(NEXT) | instid1(VALU_DEP_1)
	v_and_b32_e32 v1, 0x80000000, v1
	v_or3_b32 v94, v2, v1, v10
.LBB337_167:                            ;   in Loop: Header=BB337_9 Depth=1
	s_or_b32 exec_lo, exec_lo, s29
.LBB337_168:                            ;   in Loop: Header=BB337_9 Depth=1
	s_delay_alu instid0(SALU_CYCLE_1)
	s_or_b32 exec_lo, exec_lo, s28
.LBB337_169:                            ;   in Loop: Header=BB337_9 Depth=1
	s_delay_alu instid0(SALU_CYCLE_1)
	s_or_b32 exec_lo, exec_lo, s27
	global_load_b32 v20, v[8:9], off offset:520
	v_dual_mov_b32 v97, 0 :: v_dual_mov_b32 v96, 0
	s_mov_b32 s27, exec_lo
	s_wait_loadcnt 0x0
	v_and_b32_e32 v1, 0xff, v20
	s_wait_xcnt 0x0
	s_delay_alu instid0(VALU_DEP_1)
	v_cmpx_ne_u16_e32 0, v1
	s_cbranch_execz .LBB337_177
; %bb.170:                              ;   in Loop: Header=BB337_9 Depth=1
	v_bfrev_b32_e32 v96, 1
	s_mov_b32 s28, exec_lo
	v_cmpx_ne_u16_e32 0x80, v1
	s_cbranch_execz .LBB337_176
; %bb.171:                              ;   in Loop: Header=BB337_9 Depth=1
	v_and_b32_e32 v28, 0x7f, v20
	v_mov_b32_e32 v96, 0x7f800001
	s_mov_b32 s29, exec_lo
	s_delay_alu instid0(VALU_DEP_2)
	v_cmpx_ne_u32_e32 0x7f, v28
	s_cbranch_execz .LBB337_175
; %bb.172:                              ;   in Loop: Header=BB337_9 Depth=1
	s_wait_dscnt 0x0
	v_and_b32_e32 v2, 7, v20
	v_lshrrev_b32_e32 v1, 3, v28
	s_mov_b32 s30, exec_lo
	v_cmpx_gt_u32_e32 8, v28
; %bb.173:                              ;   in Loop: Header=BB337_9 Depth=1
	s_delay_alu instid0(VALU_DEP_3) | instskip(NEXT) | instid1(VALU_DEP_1)
	v_clz_i32_u32_e32 v1, v2
	v_min_u32_e32 v1, 32, v1
	s_delay_alu instid0(VALU_DEP_1) | instskip(NEXT) | instid1(VALU_DEP_1)
	v_subrev_nc_u32_e32 v10, 28, v1
	v_lshlrev_b64_e32 v[28:29], v10, v[2:3]
	s_delay_alu instid0(VALU_DEP_1)
	v_dual_sub_nc_u32 v1, 29, v1 :: v_dual_bitop2_b32 v2, 7, v28 bitop3:0x40
; %bb.174:                              ;   in Loop: Header=BB337_9 Depth=1
	s_or_b32 exec_lo, exec_lo, s30
	s_delay_alu instid0(VALU_DEP_1) | instskip(NEXT) | instid1(VALU_DEP_2)
	v_dual_lshlrev_b32 v10, 24, v20 :: v_dual_lshlrev_b32 v2, 20, v2
	v_lshl_add_u32 v1, v1, 23, 0x3c000000
	s_delay_alu instid0(VALU_DEP_2) | instskip(NEXT) | instid1(VALU_DEP_1)
	v_and_b32_e32 v10, 0x80000000, v10
	v_or3_b32 v96, v2, v10, v1
.LBB337_175:                            ;   in Loop: Header=BB337_9 Depth=1
	s_or_b32 exec_lo, exec_lo, s29
.LBB337_176:                            ;   in Loop: Header=BB337_9 Depth=1
	s_delay_alu instid0(SALU_CYCLE_1)
	s_or_b32 exec_lo, exec_lo, s28
.LBB337_177:                            ;   in Loop: Header=BB337_9 Depth=1
	s_delay_alu instid0(SALU_CYCLE_1) | instskip(SKIP_2) | instid1(VALU_DEP_1)
	s_or_b32 exec_lo, exec_lo, s27
	v_lshrrev_b16 v1, 8, v20
	s_mov_b32 s27, exec_lo
	v_cmpx_ne_u16_e32 0, v1
	s_cbranch_execz .LBB337_185
; %bb.178:                              ;   in Loop: Header=BB337_9 Depth=1
	v_bfrev_b32_e32 v97, 1
	s_mov_b32 s28, exec_lo
	v_cmpx_ne_u16_e32 0x80, v1
	s_cbranch_execz .LBB337_184
; %bb.179:                              ;   in Loop: Header=BB337_9 Depth=1
	v_and_b32_e32 v1, 0xffff, v1
	v_mov_b32_e32 v97, 0x7f800001
	s_mov_b32 s29, exec_lo
	s_delay_alu instid0(VALU_DEP_2) | instskip(NEXT) | instid1(VALU_DEP_1)
	v_and_b32_e32 v28, 0x7f, v1
	v_cmpx_ne_u32_e32 0x7f, v28
	s_cbranch_execz .LBB337_183
; %bb.180:                              ;   in Loop: Header=BB337_9 Depth=1
	s_wait_dscnt 0x0
	v_dual_lshrrev_b32 v1, 3, v28 :: v_dual_bitop2_b32 v2, 7, v1 bitop3:0x40
	s_mov_b32 s30, exec_lo
	v_cmpx_gt_u32_e32 8, v28
; %bb.181:                              ;   in Loop: Header=BB337_9 Depth=1
	s_delay_alu instid0(VALU_DEP_2) | instskip(NEXT) | instid1(VALU_DEP_1)
	v_clz_i32_u32_e32 v1, v2
	v_min_u32_e32 v1, 32, v1
	s_delay_alu instid0(VALU_DEP_1) | instskip(NEXT) | instid1(VALU_DEP_1)
	v_subrev_nc_u32_e32 v10, 28, v1
	v_lshlrev_b64_e32 v[28:29], v10, v[2:3]
	s_delay_alu instid0(VALU_DEP_1)
	v_dual_sub_nc_u32 v1, 29, v1 :: v_dual_bitop2_b32 v2, 7, v28 bitop3:0x40
; %bb.182:                              ;   in Loop: Header=BB337_9 Depth=1
	s_or_b32 exec_lo, exec_lo, s30
	s_delay_alu instid0(VALU_DEP_1) | instskip(NEXT) | instid1(VALU_DEP_2)
	v_dual_lshlrev_b32 v10, 16, v20 :: v_dual_lshlrev_b32 v2, 20, v2
	v_lshl_add_u32 v1, v1, 23, 0x3c000000
	s_delay_alu instid0(VALU_DEP_2) | instskip(NEXT) | instid1(VALU_DEP_1)
	v_and_b32_e32 v10, 0x80000000, v10
	v_or3_b32 v97, v2, v10, v1
.LBB337_183:                            ;   in Loop: Header=BB337_9 Depth=1
	s_or_b32 exec_lo, exec_lo, s29
.LBB337_184:                            ;   in Loop: Header=BB337_9 Depth=1
	s_delay_alu instid0(SALU_CYCLE_1)
	s_or_b32 exec_lo, exec_lo, s28
.LBB337_185:                            ;   in Loop: Header=BB337_9 Depth=1
	s_delay_alu instid0(SALU_CYCLE_1) | instskip(SKIP_3) | instid1(VALU_DEP_2)
	s_or_b32 exec_lo, exec_lo, s27
	v_dual_lshrrev_b32 v28, 16, v20 :: v_dual_mov_b32 v98, 0
	v_mov_b32_e32 v99, 0
	s_mov_b32 s27, exec_lo
	v_and_b32_e32 v1, 0xff, v28
	s_delay_alu instid0(VALU_DEP_1)
	v_cmpx_ne_u16_e32 0, v1
	s_cbranch_execz .LBB337_193
; %bb.186:                              ;   in Loop: Header=BB337_9 Depth=1
	v_bfrev_b32_e32 v99, 1
	s_mov_b32 s28, exec_lo
	v_cmpx_ne_u16_e32 0x80, v1
	s_cbranch_execz .LBB337_192
; %bb.187:                              ;   in Loop: Header=BB337_9 Depth=1
	v_bfe_u32 v29, v20, 16, 7
	v_mov_b32_e32 v99, 0x7f800001
	s_mov_b32 s29, exec_lo
	s_delay_alu instid0(VALU_DEP_2)
	v_cmpx_ne_u32_e32 0x7f, v29
	s_cbranch_execz .LBB337_191
; %bb.188:                              ;   in Loop: Header=BB337_9 Depth=1
	s_wait_dscnt 0x0
	v_dual_lshrrev_b32 v1, 3, v29 :: v_dual_bitop2_b32 v2, 7, v28 bitop3:0x40
	s_mov_b32 s30, exec_lo
	v_cmpx_gt_u32_e32 8, v29
; %bb.189:                              ;   in Loop: Header=BB337_9 Depth=1
	s_delay_alu instid0(VALU_DEP_2) | instskip(NEXT) | instid1(VALU_DEP_1)
	v_clz_i32_u32_e32 v1, v2
	v_min_u32_e32 v1, 32, v1
	s_delay_alu instid0(VALU_DEP_1) | instskip(NEXT) | instid1(VALU_DEP_1)
	v_subrev_nc_u32_e32 v10, 28, v1
	v_lshlrev_b64_e32 v[100:101], v10, v[2:3]
	s_delay_alu instid0(VALU_DEP_1)
	v_dual_sub_nc_u32 v1, 29, v1 :: v_dual_bitop2_b32 v2, 7, v100 bitop3:0x40
; %bb.190:                              ;   in Loop: Header=BB337_9 Depth=1
	s_or_b32 exec_lo, exec_lo, s30
	s_delay_alu instid0(VALU_DEP_1) | instskip(NEXT) | instid1(VALU_DEP_2)
	v_dual_lshlrev_b32 v10, 24, v28 :: v_dual_lshlrev_b32 v2, 20, v2
	v_lshl_add_u32 v1, v1, 23, 0x3c000000
	s_delay_alu instid0(VALU_DEP_2) | instskip(NEXT) | instid1(VALU_DEP_1)
	v_and_b32_e32 v10, 0x80000000, v10
	v_or3_b32 v99, v2, v10, v1
.LBB337_191:                            ;   in Loop: Header=BB337_9 Depth=1
	s_or_b32 exec_lo, exec_lo, s29
.LBB337_192:                            ;   in Loop: Header=BB337_9 Depth=1
	s_delay_alu instid0(SALU_CYCLE_1)
	s_or_b32 exec_lo, exec_lo, s28
.LBB337_193:                            ;   in Loop: Header=BB337_9 Depth=1
	s_delay_alu instid0(SALU_CYCLE_1) | instskip(NEXT) | instid1(SALU_CYCLE_1)
	s_or_b32 exec_lo, exec_lo, s27
	s_mov_b32 s27, exec_lo
	v_cmpx_lt_u32_e32 0xffffff, v20
	s_cbranch_execz .LBB337_201
; %bb.194:                              ;   in Loop: Header=BB337_9 Depth=1
	v_lshrrev_b32_e32 v1, 24, v20
	v_bfrev_b32_e32 v98, 1
	s_mov_b32 s28, exec_lo
	s_delay_alu instid0(VALU_DEP_2)
	v_cmpx_ne_u32_e32 0x80, v1
	s_cbranch_execz .LBB337_200
; %bb.195:                              ;   in Loop: Header=BB337_9 Depth=1
	v_bfe_u32 v28, v20, 24, 7
	v_mov_b32_e32 v98, 0x7f800001
	s_mov_b32 s29, exec_lo
	s_delay_alu instid0(VALU_DEP_2)
	v_cmpx_ne_u32_e32 0x7f, v28
	s_cbranch_execz .LBB337_199
; %bb.196:                              ;   in Loop: Header=BB337_9 Depth=1
	s_wait_dscnt 0x0
	v_dual_lshrrev_b32 v20, 3, v28 :: v_dual_bitop2_b32 v2, 7, v1 bitop3:0x40
	s_mov_b32 s30, exec_lo
	v_cmpx_gt_u32_e32 8, v28
; %bb.197:                              ;   in Loop: Header=BB337_9 Depth=1
	s_delay_alu instid0(VALU_DEP_2) | instskip(NEXT) | instid1(VALU_DEP_1)
	v_clz_i32_u32_e32 v10, v2
	v_min_u32_e32 v10, 32, v10
	s_delay_alu instid0(VALU_DEP_1) | instskip(NEXT) | instid1(VALU_DEP_1)
	v_subrev_nc_u32_e32 v11, 28, v10
	v_lshlrev_b64_e32 v[28:29], v11, v[2:3]
	s_delay_alu instid0(VALU_DEP_1)
	v_dual_sub_nc_u32 v20, 29, v10 :: v_dual_bitop2_b32 v2, 7, v28 bitop3:0x40
; %bb.198:                              ;   in Loop: Header=BB337_9 Depth=1
	s_or_b32 exec_lo, exec_lo, s30
	s_delay_alu instid0(VALU_DEP_1) | instskip(NEXT) | instid1(VALU_DEP_2)
	v_dual_lshlrev_b32 v1, 24, v1 :: v_dual_lshlrev_b32 v2, 20, v2
	v_lshl_add_u32 v10, v20, 23, 0x3c000000
	s_delay_alu instid0(VALU_DEP_2) | instskip(NEXT) | instid1(VALU_DEP_1)
	v_and_b32_e32 v1, 0x80000000, v1
	v_or3_b32 v98, v2, v1, v10
.LBB337_199:                            ;   in Loop: Header=BB337_9 Depth=1
	s_or_b32 exec_lo, exec_lo, s29
.LBB337_200:                            ;   in Loop: Header=BB337_9 Depth=1
	s_delay_alu instid0(SALU_CYCLE_1)
	s_or_b32 exec_lo, exec_lo, s28
.LBB337_201:                            ;   in Loop: Header=BB337_9 Depth=1
	s_delay_alu instid0(SALU_CYCLE_1)
	s_or_b32 exec_lo, exec_lo, s27
	global_load_b32 v20, v[8:9], off offset:768
	v_dual_mov_b32 v101, 0 :: v_dual_mov_b32 v100, 0
	s_mov_b32 s27, exec_lo
	s_wait_loadcnt 0x0
	v_and_b32_e32 v1, 0xff, v20
	s_wait_xcnt 0x0
	s_delay_alu instid0(VALU_DEP_1)
	v_cmpx_ne_u16_e32 0, v1
	s_cbranch_execz .LBB337_209
; %bb.202:                              ;   in Loop: Header=BB337_9 Depth=1
	v_bfrev_b32_e32 v100, 1
	s_mov_b32 s28, exec_lo
	v_cmpx_ne_u16_e32 0x80, v1
	s_cbranch_execz .LBB337_208
; %bb.203:                              ;   in Loop: Header=BB337_9 Depth=1
	v_and_b32_e32 v28, 0x7f, v20
	v_mov_b32_e32 v100, 0x7f800001
	s_mov_b32 s29, exec_lo
	s_delay_alu instid0(VALU_DEP_2)
	v_cmpx_ne_u32_e32 0x7f, v28
	s_cbranch_execz .LBB337_207
; %bb.204:                              ;   in Loop: Header=BB337_9 Depth=1
	s_wait_dscnt 0x0
	v_and_b32_e32 v2, 7, v20
	v_lshrrev_b32_e32 v1, 3, v28
	s_mov_b32 s30, exec_lo
	v_cmpx_gt_u32_e32 8, v28
; %bb.205:                              ;   in Loop: Header=BB337_9 Depth=1
	s_delay_alu instid0(VALU_DEP_3) | instskip(NEXT) | instid1(VALU_DEP_1)
	v_clz_i32_u32_e32 v1, v2
	v_min_u32_e32 v1, 32, v1
	s_delay_alu instid0(VALU_DEP_1) | instskip(NEXT) | instid1(VALU_DEP_1)
	v_subrev_nc_u32_e32 v10, 28, v1
	v_lshlrev_b64_e32 v[28:29], v10, v[2:3]
	s_delay_alu instid0(VALU_DEP_1)
	v_dual_sub_nc_u32 v1, 29, v1 :: v_dual_bitop2_b32 v2, 7, v28 bitop3:0x40
; %bb.206:                              ;   in Loop: Header=BB337_9 Depth=1
	s_or_b32 exec_lo, exec_lo, s30
	s_delay_alu instid0(VALU_DEP_1) | instskip(NEXT) | instid1(VALU_DEP_2)
	v_dual_lshlrev_b32 v10, 24, v20 :: v_dual_lshlrev_b32 v2, 20, v2
	v_lshl_add_u32 v1, v1, 23, 0x3c000000
	s_delay_alu instid0(VALU_DEP_2) | instskip(NEXT) | instid1(VALU_DEP_1)
	v_and_b32_e32 v10, 0x80000000, v10
	v_or3_b32 v100, v2, v10, v1
.LBB337_207:                            ;   in Loop: Header=BB337_9 Depth=1
	s_or_b32 exec_lo, exec_lo, s29
.LBB337_208:                            ;   in Loop: Header=BB337_9 Depth=1
	s_delay_alu instid0(SALU_CYCLE_1)
	s_or_b32 exec_lo, exec_lo, s28
.LBB337_209:                            ;   in Loop: Header=BB337_9 Depth=1
	s_delay_alu instid0(SALU_CYCLE_1) | instskip(SKIP_2) | instid1(VALU_DEP_1)
	s_or_b32 exec_lo, exec_lo, s27
	v_lshrrev_b16 v1, 8, v20
	s_mov_b32 s27, exec_lo
	v_cmpx_ne_u16_e32 0, v1
	s_cbranch_execz .LBB337_217
; %bb.210:                              ;   in Loop: Header=BB337_9 Depth=1
	v_bfrev_b32_e32 v101, 1
	s_mov_b32 s28, exec_lo
	v_cmpx_ne_u16_e32 0x80, v1
	s_cbranch_execz .LBB337_216
; %bb.211:                              ;   in Loop: Header=BB337_9 Depth=1
	v_and_b32_e32 v1, 0xffff, v1
	v_mov_b32_e32 v101, 0x7f800001
	s_mov_b32 s29, exec_lo
	s_delay_alu instid0(VALU_DEP_2) | instskip(NEXT) | instid1(VALU_DEP_1)
	v_and_b32_e32 v28, 0x7f, v1
	v_cmpx_ne_u32_e32 0x7f, v28
	s_cbranch_execz .LBB337_215
; %bb.212:                              ;   in Loop: Header=BB337_9 Depth=1
	s_wait_dscnt 0x0
	v_dual_lshrrev_b32 v1, 3, v28 :: v_dual_bitop2_b32 v2, 7, v1 bitop3:0x40
	s_mov_b32 s30, exec_lo
	v_cmpx_gt_u32_e32 8, v28
; %bb.213:                              ;   in Loop: Header=BB337_9 Depth=1
	s_delay_alu instid0(VALU_DEP_2) | instskip(NEXT) | instid1(VALU_DEP_1)
	v_clz_i32_u32_e32 v1, v2
	v_min_u32_e32 v1, 32, v1
	s_delay_alu instid0(VALU_DEP_1) | instskip(NEXT) | instid1(VALU_DEP_1)
	v_subrev_nc_u32_e32 v10, 28, v1
	v_lshlrev_b64_e32 v[28:29], v10, v[2:3]
	s_delay_alu instid0(VALU_DEP_1)
	v_dual_sub_nc_u32 v1, 29, v1 :: v_dual_bitop2_b32 v2, 7, v28 bitop3:0x40
; %bb.214:                              ;   in Loop: Header=BB337_9 Depth=1
	s_or_b32 exec_lo, exec_lo, s30
	s_delay_alu instid0(VALU_DEP_1) | instskip(NEXT) | instid1(VALU_DEP_2)
	v_dual_lshlrev_b32 v10, 16, v20 :: v_dual_lshlrev_b32 v2, 20, v2
	v_lshl_add_u32 v1, v1, 23, 0x3c000000
	s_delay_alu instid0(VALU_DEP_2) | instskip(NEXT) | instid1(VALU_DEP_1)
	v_and_b32_e32 v10, 0x80000000, v10
	v_or3_b32 v101, v2, v10, v1
.LBB337_215:                            ;   in Loop: Header=BB337_9 Depth=1
	s_or_b32 exec_lo, exec_lo, s29
.LBB337_216:                            ;   in Loop: Header=BB337_9 Depth=1
	s_delay_alu instid0(SALU_CYCLE_1)
	s_or_b32 exec_lo, exec_lo, s28
.LBB337_217:                            ;   in Loop: Header=BB337_9 Depth=1
	s_delay_alu instid0(SALU_CYCLE_1) | instskip(SKIP_3) | instid1(VALU_DEP_2)
	s_or_b32 exec_lo, exec_lo, s27
	v_dual_lshrrev_b32 v28, 16, v20 :: v_dual_mov_b32 v102, 0
	v_mov_b32_e32 v103, 0
	s_mov_b32 s27, exec_lo
	v_and_b32_e32 v1, 0xff, v28
	s_delay_alu instid0(VALU_DEP_1)
	v_cmpx_ne_u16_e32 0, v1
	s_cbranch_execz .LBB337_225
; %bb.218:                              ;   in Loop: Header=BB337_9 Depth=1
	v_bfrev_b32_e32 v103, 1
	s_mov_b32 s28, exec_lo
	v_cmpx_ne_u16_e32 0x80, v1
	s_cbranch_execz .LBB337_224
; %bb.219:                              ;   in Loop: Header=BB337_9 Depth=1
	v_bfe_u32 v29, v20, 16, 7
	v_mov_b32_e32 v103, 0x7f800001
	s_mov_b32 s29, exec_lo
	s_delay_alu instid0(VALU_DEP_2)
	v_cmpx_ne_u32_e32 0x7f, v29
	s_cbranch_execz .LBB337_223
; %bb.220:                              ;   in Loop: Header=BB337_9 Depth=1
	s_wait_dscnt 0x0
	v_dual_lshrrev_b32 v1, 3, v29 :: v_dual_bitop2_b32 v2, 7, v28 bitop3:0x40
	s_mov_b32 s30, exec_lo
	v_cmpx_gt_u32_e32 8, v29
; %bb.221:                              ;   in Loop: Header=BB337_9 Depth=1
	s_delay_alu instid0(VALU_DEP_2) | instskip(NEXT) | instid1(VALU_DEP_1)
	v_clz_i32_u32_e32 v1, v2
	v_min_u32_e32 v1, 32, v1
	s_delay_alu instid0(VALU_DEP_1) | instskip(NEXT) | instid1(VALU_DEP_1)
	v_subrev_nc_u32_e32 v10, 28, v1
	v_lshlrev_b64_e32 v[104:105], v10, v[2:3]
	s_delay_alu instid0(VALU_DEP_1)
	v_dual_sub_nc_u32 v1, 29, v1 :: v_dual_bitop2_b32 v2, 7, v104 bitop3:0x40
; %bb.222:                              ;   in Loop: Header=BB337_9 Depth=1
	s_or_b32 exec_lo, exec_lo, s30
	s_delay_alu instid0(VALU_DEP_1) | instskip(NEXT) | instid1(VALU_DEP_2)
	v_dual_lshlrev_b32 v10, 24, v28 :: v_dual_lshlrev_b32 v2, 20, v2
	v_lshl_add_u32 v1, v1, 23, 0x3c000000
	s_delay_alu instid0(VALU_DEP_2) | instskip(NEXT) | instid1(VALU_DEP_1)
	v_and_b32_e32 v10, 0x80000000, v10
	v_or3_b32 v103, v2, v10, v1
.LBB337_223:                            ;   in Loop: Header=BB337_9 Depth=1
	s_or_b32 exec_lo, exec_lo, s29
.LBB337_224:                            ;   in Loop: Header=BB337_9 Depth=1
	s_delay_alu instid0(SALU_CYCLE_1)
	s_or_b32 exec_lo, exec_lo, s28
.LBB337_225:                            ;   in Loop: Header=BB337_9 Depth=1
	s_delay_alu instid0(SALU_CYCLE_1) | instskip(NEXT) | instid1(SALU_CYCLE_1)
	s_or_b32 exec_lo, exec_lo, s27
	s_mov_b32 s27, exec_lo
	v_cmpx_lt_u32_e32 0xffffff, v20
	s_cbranch_execz .LBB337_233
; %bb.226:                              ;   in Loop: Header=BB337_9 Depth=1
	v_lshrrev_b32_e32 v1, 24, v20
	v_bfrev_b32_e32 v102, 1
	s_mov_b32 s28, exec_lo
	s_delay_alu instid0(VALU_DEP_2)
	v_cmpx_ne_u32_e32 0x80, v1
	s_cbranch_execz .LBB337_232
; %bb.227:                              ;   in Loop: Header=BB337_9 Depth=1
	v_bfe_u32 v28, v20, 24, 7
	v_mov_b32_e32 v102, 0x7f800001
	s_mov_b32 s29, exec_lo
	s_delay_alu instid0(VALU_DEP_2)
	v_cmpx_ne_u32_e32 0x7f, v28
	s_cbranch_execz .LBB337_231
; %bb.228:                              ;   in Loop: Header=BB337_9 Depth=1
	s_wait_dscnt 0x0
	v_dual_lshrrev_b32 v20, 3, v28 :: v_dual_bitop2_b32 v2, 7, v1 bitop3:0x40
	s_mov_b32 s30, exec_lo
	v_cmpx_gt_u32_e32 8, v28
; %bb.229:                              ;   in Loop: Header=BB337_9 Depth=1
	s_delay_alu instid0(VALU_DEP_2) | instskip(NEXT) | instid1(VALU_DEP_1)
	v_clz_i32_u32_e32 v10, v2
	v_min_u32_e32 v10, 32, v10
	s_delay_alu instid0(VALU_DEP_1) | instskip(NEXT) | instid1(VALU_DEP_1)
	v_subrev_nc_u32_e32 v11, 28, v10
	v_lshlrev_b64_e32 v[28:29], v11, v[2:3]
	s_delay_alu instid0(VALU_DEP_1)
	v_dual_sub_nc_u32 v20, 29, v10 :: v_dual_bitop2_b32 v2, 7, v28 bitop3:0x40
; %bb.230:                              ;   in Loop: Header=BB337_9 Depth=1
	s_or_b32 exec_lo, exec_lo, s30
	s_delay_alu instid0(VALU_DEP_1) | instskip(NEXT) | instid1(VALU_DEP_2)
	v_dual_lshlrev_b32 v1, 24, v1 :: v_dual_lshlrev_b32 v2, 20, v2
	v_lshl_add_u32 v10, v20, 23, 0x3c000000
	s_delay_alu instid0(VALU_DEP_2) | instskip(NEXT) | instid1(VALU_DEP_1)
	v_and_b32_e32 v1, 0x80000000, v1
	v_or3_b32 v102, v2, v1, v10
.LBB337_231:                            ;   in Loop: Header=BB337_9 Depth=1
	s_or_b32 exec_lo, exec_lo, s29
.LBB337_232:                            ;   in Loop: Header=BB337_9 Depth=1
	s_delay_alu instid0(SALU_CYCLE_1)
	s_or_b32 exec_lo, exec_lo, s28
.LBB337_233:                            ;   in Loop: Header=BB337_9 Depth=1
	s_delay_alu instid0(SALU_CYCLE_1)
	s_or_b32 exec_lo, exec_lo, s27
	global_load_b32 v20, v[8:9], off offset:776
	v_dual_mov_b32 v105, 0 :: v_dual_mov_b32 v104, 0
	s_mov_b32 s27, exec_lo
	s_wait_loadcnt 0x0
	v_and_b32_e32 v1, 0xff, v20
	s_wait_xcnt 0x0
	s_delay_alu instid0(VALU_DEP_1)
	v_cmpx_ne_u16_e32 0, v1
	s_cbranch_execz .LBB337_241
; %bb.234:                              ;   in Loop: Header=BB337_9 Depth=1
	v_bfrev_b32_e32 v104, 1
	s_mov_b32 s28, exec_lo
	v_cmpx_ne_u16_e32 0x80, v1
	s_cbranch_execz .LBB337_240
; %bb.235:                              ;   in Loop: Header=BB337_9 Depth=1
	v_and_b32_e32 v28, 0x7f, v20
	v_mov_b32_e32 v104, 0x7f800001
	s_mov_b32 s29, exec_lo
	s_delay_alu instid0(VALU_DEP_2)
	v_cmpx_ne_u32_e32 0x7f, v28
	s_cbranch_execz .LBB337_239
; %bb.236:                              ;   in Loop: Header=BB337_9 Depth=1
	s_wait_dscnt 0x0
	v_and_b32_e32 v2, 7, v20
	v_lshrrev_b32_e32 v1, 3, v28
	s_mov_b32 s30, exec_lo
	v_cmpx_gt_u32_e32 8, v28
; %bb.237:                              ;   in Loop: Header=BB337_9 Depth=1
	s_delay_alu instid0(VALU_DEP_3) | instskip(NEXT) | instid1(VALU_DEP_1)
	v_clz_i32_u32_e32 v1, v2
	v_min_u32_e32 v1, 32, v1
	s_delay_alu instid0(VALU_DEP_1) | instskip(NEXT) | instid1(VALU_DEP_1)
	v_subrev_nc_u32_e32 v10, 28, v1
	v_lshlrev_b64_e32 v[28:29], v10, v[2:3]
	s_delay_alu instid0(VALU_DEP_1)
	v_dual_sub_nc_u32 v1, 29, v1 :: v_dual_bitop2_b32 v2, 7, v28 bitop3:0x40
; %bb.238:                              ;   in Loop: Header=BB337_9 Depth=1
	s_or_b32 exec_lo, exec_lo, s30
	s_delay_alu instid0(VALU_DEP_1) | instskip(NEXT) | instid1(VALU_DEP_2)
	v_dual_lshlrev_b32 v10, 24, v20 :: v_dual_lshlrev_b32 v2, 20, v2
	v_lshl_add_u32 v1, v1, 23, 0x3c000000
	s_delay_alu instid0(VALU_DEP_2) | instskip(NEXT) | instid1(VALU_DEP_1)
	v_and_b32_e32 v10, 0x80000000, v10
	v_or3_b32 v104, v2, v10, v1
.LBB337_239:                            ;   in Loop: Header=BB337_9 Depth=1
	s_or_b32 exec_lo, exec_lo, s29
.LBB337_240:                            ;   in Loop: Header=BB337_9 Depth=1
	s_delay_alu instid0(SALU_CYCLE_1)
	s_or_b32 exec_lo, exec_lo, s28
.LBB337_241:                            ;   in Loop: Header=BB337_9 Depth=1
	s_delay_alu instid0(SALU_CYCLE_1) | instskip(SKIP_2) | instid1(VALU_DEP_1)
	s_or_b32 exec_lo, exec_lo, s27
	v_lshrrev_b16 v1, 8, v20
	s_mov_b32 s27, exec_lo
	v_cmpx_ne_u16_e32 0, v1
	s_cbranch_execz .LBB337_249
; %bb.242:                              ;   in Loop: Header=BB337_9 Depth=1
	v_bfrev_b32_e32 v105, 1
	s_mov_b32 s28, exec_lo
	v_cmpx_ne_u16_e32 0x80, v1
	s_cbranch_execz .LBB337_248
; %bb.243:                              ;   in Loop: Header=BB337_9 Depth=1
	v_and_b32_e32 v1, 0xffff, v1
	v_mov_b32_e32 v105, 0x7f800001
	s_mov_b32 s29, exec_lo
	s_delay_alu instid0(VALU_DEP_2) | instskip(NEXT) | instid1(VALU_DEP_1)
	v_and_b32_e32 v28, 0x7f, v1
	v_cmpx_ne_u32_e32 0x7f, v28
	s_cbranch_execz .LBB337_247
; %bb.244:                              ;   in Loop: Header=BB337_9 Depth=1
	s_wait_dscnt 0x0
	v_dual_lshrrev_b32 v1, 3, v28 :: v_dual_bitop2_b32 v2, 7, v1 bitop3:0x40
	s_mov_b32 s30, exec_lo
	v_cmpx_gt_u32_e32 8, v28
; %bb.245:                              ;   in Loop: Header=BB337_9 Depth=1
	s_delay_alu instid0(VALU_DEP_2) | instskip(NEXT) | instid1(VALU_DEP_1)
	v_clz_i32_u32_e32 v1, v2
	v_min_u32_e32 v1, 32, v1
	s_delay_alu instid0(VALU_DEP_1) | instskip(NEXT) | instid1(VALU_DEP_1)
	v_subrev_nc_u32_e32 v10, 28, v1
	v_lshlrev_b64_e32 v[28:29], v10, v[2:3]
	s_delay_alu instid0(VALU_DEP_1)
	v_dual_sub_nc_u32 v1, 29, v1 :: v_dual_bitop2_b32 v2, 7, v28 bitop3:0x40
; %bb.246:                              ;   in Loop: Header=BB337_9 Depth=1
	s_or_b32 exec_lo, exec_lo, s30
	s_delay_alu instid0(VALU_DEP_1) | instskip(NEXT) | instid1(VALU_DEP_2)
	v_dual_lshlrev_b32 v10, 16, v20 :: v_dual_lshlrev_b32 v2, 20, v2
	v_lshl_add_u32 v1, v1, 23, 0x3c000000
	s_delay_alu instid0(VALU_DEP_2) | instskip(NEXT) | instid1(VALU_DEP_1)
	v_and_b32_e32 v10, 0x80000000, v10
	v_or3_b32 v105, v2, v10, v1
.LBB337_247:                            ;   in Loop: Header=BB337_9 Depth=1
	s_or_b32 exec_lo, exec_lo, s29
.LBB337_248:                            ;   in Loop: Header=BB337_9 Depth=1
	s_delay_alu instid0(SALU_CYCLE_1)
	s_or_b32 exec_lo, exec_lo, s28
.LBB337_249:                            ;   in Loop: Header=BB337_9 Depth=1
	s_delay_alu instid0(SALU_CYCLE_1) | instskip(SKIP_3) | instid1(VALU_DEP_2)
	s_or_b32 exec_lo, exec_lo, s27
	v_dual_lshrrev_b32 v28, 16, v20 :: v_dual_mov_b32 v106, 0
	v_mov_b32_e32 v107, 0
	s_mov_b32 s27, exec_lo
	v_and_b32_e32 v1, 0xff, v28
	s_delay_alu instid0(VALU_DEP_1)
	v_cmpx_ne_u16_e32 0, v1
	s_cbranch_execz .LBB337_257
; %bb.250:                              ;   in Loop: Header=BB337_9 Depth=1
	v_bfrev_b32_e32 v107, 1
	s_mov_b32 s28, exec_lo
	v_cmpx_ne_u16_e32 0x80, v1
	s_cbranch_execz .LBB337_256
; %bb.251:                              ;   in Loop: Header=BB337_9 Depth=1
	v_bfe_u32 v29, v20, 16, 7
	v_mov_b32_e32 v107, 0x7f800001
	s_mov_b32 s29, exec_lo
	s_delay_alu instid0(VALU_DEP_2)
	v_cmpx_ne_u32_e32 0x7f, v29
	s_cbranch_execz .LBB337_255
; %bb.252:                              ;   in Loop: Header=BB337_9 Depth=1
	s_wait_dscnt 0x0
	v_dual_lshrrev_b32 v1, 3, v29 :: v_dual_bitop2_b32 v2, 7, v28 bitop3:0x40
	s_mov_b32 s30, exec_lo
	v_cmpx_gt_u32_e32 8, v29
; %bb.253:                              ;   in Loop: Header=BB337_9 Depth=1
	s_delay_alu instid0(VALU_DEP_2) | instskip(NEXT) | instid1(VALU_DEP_1)
	v_clz_i32_u32_e32 v1, v2
	v_min_u32_e32 v1, 32, v1
	s_delay_alu instid0(VALU_DEP_1) | instskip(NEXT) | instid1(VALU_DEP_1)
	v_subrev_nc_u32_e32 v10, 28, v1
	v_lshlrev_b64_e32 v[108:109], v10, v[2:3]
	s_delay_alu instid0(VALU_DEP_1)
	v_dual_sub_nc_u32 v1, 29, v1 :: v_dual_bitop2_b32 v2, 7, v108 bitop3:0x40
; %bb.254:                              ;   in Loop: Header=BB337_9 Depth=1
	s_or_b32 exec_lo, exec_lo, s30
	s_delay_alu instid0(VALU_DEP_1) | instskip(NEXT) | instid1(VALU_DEP_2)
	v_dual_lshlrev_b32 v10, 24, v28 :: v_dual_lshlrev_b32 v2, 20, v2
	v_lshl_add_u32 v1, v1, 23, 0x3c000000
	s_delay_alu instid0(VALU_DEP_2) | instskip(NEXT) | instid1(VALU_DEP_1)
	v_and_b32_e32 v10, 0x80000000, v10
	v_or3_b32 v107, v2, v10, v1
.LBB337_255:                            ;   in Loop: Header=BB337_9 Depth=1
	s_or_b32 exec_lo, exec_lo, s29
.LBB337_256:                            ;   in Loop: Header=BB337_9 Depth=1
	s_delay_alu instid0(SALU_CYCLE_1)
	s_or_b32 exec_lo, exec_lo, s28
.LBB337_257:                            ;   in Loop: Header=BB337_9 Depth=1
	s_delay_alu instid0(SALU_CYCLE_1) | instskip(NEXT) | instid1(SALU_CYCLE_1)
	s_or_b32 exec_lo, exec_lo, s27
	s_mov_b32 s27, exec_lo
	v_cmpx_lt_u32_e32 0xffffff, v20
	s_cbranch_execz .LBB337_265
; %bb.258:                              ;   in Loop: Header=BB337_9 Depth=1
	v_lshrrev_b32_e32 v1, 24, v20
	v_bfrev_b32_e32 v106, 1
	s_mov_b32 s28, exec_lo
	s_delay_alu instid0(VALU_DEP_2)
	v_cmpx_ne_u32_e32 0x80, v1
	s_cbranch_execz .LBB337_264
; %bb.259:                              ;   in Loop: Header=BB337_9 Depth=1
	v_bfe_u32 v28, v20, 24, 7
	v_mov_b32_e32 v106, 0x7f800001
	s_mov_b32 s29, exec_lo
	s_delay_alu instid0(VALU_DEP_2)
	v_cmpx_ne_u32_e32 0x7f, v28
	s_cbranch_execz .LBB337_263
; %bb.260:                              ;   in Loop: Header=BB337_9 Depth=1
	s_wait_dscnt 0x0
	v_dual_lshrrev_b32 v20, 3, v28 :: v_dual_bitop2_b32 v2, 7, v1 bitop3:0x40
	s_mov_b32 s30, exec_lo
	v_cmpx_gt_u32_e32 8, v28
; %bb.261:                              ;   in Loop: Header=BB337_9 Depth=1
	s_delay_alu instid0(VALU_DEP_2) | instskip(NEXT) | instid1(VALU_DEP_1)
	v_clz_i32_u32_e32 v10, v2
	v_min_u32_e32 v10, 32, v10
	s_delay_alu instid0(VALU_DEP_1) | instskip(NEXT) | instid1(VALU_DEP_1)
	v_subrev_nc_u32_e32 v11, 28, v10
	v_lshlrev_b64_e32 v[28:29], v11, v[2:3]
	s_delay_alu instid0(VALU_DEP_1)
	v_dual_sub_nc_u32 v20, 29, v10 :: v_dual_bitop2_b32 v2, 7, v28 bitop3:0x40
; %bb.262:                              ;   in Loop: Header=BB337_9 Depth=1
	s_or_b32 exec_lo, exec_lo, s30
	s_delay_alu instid0(VALU_DEP_1) | instskip(NEXT) | instid1(VALU_DEP_2)
	v_dual_lshlrev_b32 v1, 24, v1 :: v_dual_lshlrev_b32 v2, 20, v2
	v_lshl_add_u32 v10, v20, 23, 0x3c000000
	s_delay_alu instid0(VALU_DEP_2) | instskip(NEXT) | instid1(VALU_DEP_1)
	v_and_b32_e32 v1, 0x80000000, v1
	v_or3_b32 v106, v2, v1, v10
.LBB337_263:                            ;   in Loop: Header=BB337_9 Depth=1
	s_or_b32 exec_lo, exec_lo, s29
.LBB337_264:                            ;   in Loop: Header=BB337_9 Depth=1
	s_delay_alu instid0(SALU_CYCLE_1)
	s_or_b32 exec_lo, exec_lo, s28
.LBB337_265:                            ;   in Loop: Header=BB337_9 Depth=1
	s_delay_alu instid0(SALU_CYCLE_1)
	s_or_b32 exec_lo, exec_lo, s27
	global_load_b32 v20, v[8:9], off offset:1024
	v_dual_mov_b32 v109, 0 :: v_dual_mov_b32 v108, 0
	s_mov_b32 s27, exec_lo
	s_wait_loadcnt 0x0
	v_and_b32_e32 v1, 0xff, v20
	s_wait_xcnt 0x0
	s_delay_alu instid0(VALU_DEP_1)
	v_cmpx_ne_u16_e32 0, v1
	s_cbranch_execz .LBB337_273
; %bb.266:                              ;   in Loop: Header=BB337_9 Depth=1
	v_bfrev_b32_e32 v108, 1
	s_mov_b32 s28, exec_lo
	v_cmpx_ne_u16_e32 0x80, v1
	s_cbranch_execz .LBB337_272
; %bb.267:                              ;   in Loop: Header=BB337_9 Depth=1
	v_and_b32_e32 v28, 0x7f, v20
	v_mov_b32_e32 v108, 0x7f800001
	s_mov_b32 s29, exec_lo
	s_delay_alu instid0(VALU_DEP_2)
	v_cmpx_ne_u32_e32 0x7f, v28
	s_cbranch_execz .LBB337_271
; %bb.268:                              ;   in Loop: Header=BB337_9 Depth=1
	s_wait_dscnt 0x0
	v_and_b32_e32 v2, 7, v20
	v_lshrrev_b32_e32 v1, 3, v28
	s_mov_b32 s30, exec_lo
	v_cmpx_gt_u32_e32 8, v28
; %bb.269:                              ;   in Loop: Header=BB337_9 Depth=1
	s_delay_alu instid0(VALU_DEP_3) | instskip(NEXT) | instid1(VALU_DEP_1)
	v_clz_i32_u32_e32 v1, v2
	v_min_u32_e32 v1, 32, v1
	s_delay_alu instid0(VALU_DEP_1) | instskip(NEXT) | instid1(VALU_DEP_1)
	v_subrev_nc_u32_e32 v10, 28, v1
	v_lshlrev_b64_e32 v[28:29], v10, v[2:3]
	s_delay_alu instid0(VALU_DEP_1)
	v_dual_sub_nc_u32 v1, 29, v1 :: v_dual_bitop2_b32 v2, 7, v28 bitop3:0x40
; %bb.270:                              ;   in Loop: Header=BB337_9 Depth=1
	s_or_b32 exec_lo, exec_lo, s30
	s_delay_alu instid0(VALU_DEP_1) | instskip(NEXT) | instid1(VALU_DEP_2)
	v_dual_lshlrev_b32 v10, 24, v20 :: v_dual_lshlrev_b32 v2, 20, v2
	v_lshl_add_u32 v1, v1, 23, 0x3c000000
	s_delay_alu instid0(VALU_DEP_2) | instskip(NEXT) | instid1(VALU_DEP_1)
	v_and_b32_e32 v10, 0x80000000, v10
	v_or3_b32 v108, v2, v10, v1
.LBB337_271:                            ;   in Loop: Header=BB337_9 Depth=1
	s_or_b32 exec_lo, exec_lo, s29
.LBB337_272:                            ;   in Loop: Header=BB337_9 Depth=1
	s_delay_alu instid0(SALU_CYCLE_1)
	s_or_b32 exec_lo, exec_lo, s28
.LBB337_273:                            ;   in Loop: Header=BB337_9 Depth=1
	s_delay_alu instid0(SALU_CYCLE_1) | instskip(SKIP_2) | instid1(VALU_DEP_1)
	s_or_b32 exec_lo, exec_lo, s27
	v_lshrrev_b16 v1, 8, v20
	s_mov_b32 s27, exec_lo
	v_cmpx_ne_u16_e32 0, v1
	s_cbranch_execz .LBB337_281
; %bb.274:                              ;   in Loop: Header=BB337_9 Depth=1
	v_bfrev_b32_e32 v109, 1
	s_mov_b32 s28, exec_lo
	v_cmpx_ne_u16_e32 0x80, v1
	s_cbranch_execz .LBB337_280
; %bb.275:                              ;   in Loop: Header=BB337_9 Depth=1
	v_and_b32_e32 v1, 0xffff, v1
	v_mov_b32_e32 v109, 0x7f800001
	s_mov_b32 s29, exec_lo
	s_delay_alu instid0(VALU_DEP_2) | instskip(NEXT) | instid1(VALU_DEP_1)
	v_and_b32_e32 v28, 0x7f, v1
	v_cmpx_ne_u32_e32 0x7f, v28
	s_cbranch_execz .LBB337_279
; %bb.276:                              ;   in Loop: Header=BB337_9 Depth=1
	s_wait_dscnt 0x0
	v_dual_lshrrev_b32 v1, 3, v28 :: v_dual_bitop2_b32 v2, 7, v1 bitop3:0x40
	s_mov_b32 s30, exec_lo
	v_cmpx_gt_u32_e32 8, v28
; %bb.277:                              ;   in Loop: Header=BB337_9 Depth=1
	s_delay_alu instid0(VALU_DEP_2) | instskip(NEXT) | instid1(VALU_DEP_1)
	v_clz_i32_u32_e32 v1, v2
	v_min_u32_e32 v1, 32, v1
	s_delay_alu instid0(VALU_DEP_1) | instskip(NEXT) | instid1(VALU_DEP_1)
	v_subrev_nc_u32_e32 v10, 28, v1
	v_lshlrev_b64_e32 v[28:29], v10, v[2:3]
	s_delay_alu instid0(VALU_DEP_1)
	v_dual_sub_nc_u32 v1, 29, v1 :: v_dual_bitop2_b32 v2, 7, v28 bitop3:0x40
; %bb.278:                              ;   in Loop: Header=BB337_9 Depth=1
	s_or_b32 exec_lo, exec_lo, s30
	s_delay_alu instid0(VALU_DEP_1) | instskip(NEXT) | instid1(VALU_DEP_2)
	v_dual_lshlrev_b32 v10, 16, v20 :: v_dual_lshlrev_b32 v2, 20, v2
	v_lshl_add_u32 v1, v1, 23, 0x3c000000
	s_delay_alu instid0(VALU_DEP_2) | instskip(NEXT) | instid1(VALU_DEP_1)
	v_and_b32_e32 v10, 0x80000000, v10
	v_or3_b32 v109, v2, v10, v1
.LBB337_279:                            ;   in Loop: Header=BB337_9 Depth=1
	s_or_b32 exec_lo, exec_lo, s29
.LBB337_280:                            ;   in Loop: Header=BB337_9 Depth=1
	s_delay_alu instid0(SALU_CYCLE_1)
	s_or_b32 exec_lo, exec_lo, s28
.LBB337_281:                            ;   in Loop: Header=BB337_9 Depth=1
	s_delay_alu instid0(SALU_CYCLE_1) | instskip(SKIP_3) | instid1(VALU_DEP_2)
	s_or_b32 exec_lo, exec_lo, s27
	v_dual_lshrrev_b32 v28, 16, v20 :: v_dual_mov_b32 v110, 0
	v_mov_b32_e32 v111, 0
	s_mov_b32 s27, exec_lo
	v_and_b32_e32 v1, 0xff, v28
	s_delay_alu instid0(VALU_DEP_1)
	v_cmpx_ne_u16_e32 0, v1
	s_cbranch_execz .LBB337_289
; %bb.282:                              ;   in Loop: Header=BB337_9 Depth=1
	v_bfrev_b32_e32 v111, 1
	s_mov_b32 s28, exec_lo
	v_cmpx_ne_u16_e32 0x80, v1
	s_cbranch_execz .LBB337_288
; %bb.283:                              ;   in Loop: Header=BB337_9 Depth=1
	v_bfe_u32 v29, v20, 16, 7
	v_mov_b32_e32 v111, 0x7f800001
	s_mov_b32 s29, exec_lo
	s_delay_alu instid0(VALU_DEP_2)
	v_cmpx_ne_u32_e32 0x7f, v29
	s_cbranch_execz .LBB337_287
; %bb.284:                              ;   in Loop: Header=BB337_9 Depth=1
	s_wait_dscnt 0x0
	v_dual_lshrrev_b32 v1, 3, v29 :: v_dual_bitop2_b32 v2, 7, v28 bitop3:0x40
	s_mov_b32 s30, exec_lo
	v_cmpx_gt_u32_e32 8, v29
; %bb.285:                              ;   in Loop: Header=BB337_9 Depth=1
	s_delay_alu instid0(VALU_DEP_2) | instskip(NEXT) | instid1(VALU_DEP_1)
	v_clz_i32_u32_e32 v1, v2
	v_min_u32_e32 v1, 32, v1
	s_delay_alu instid0(VALU_DEP_1) | instskip(NEXT) | instid1(VALU_DEP_1)
	v_subrev_nc_u32_e32 v10, 28, v1
	v_lshlrev_b64_e32 v[112:113], v10, v[2:3]
	s_delay_alu instid0(VALU_DEP_1)
	v_dual_sub_nc_u32 v1, 29, v1 :: v_dual_bitop2_b32 v2, 7, v112 bitop3:0x40
; %bb.286:                              ;   in Loop: Header=BB337_9 Depth=1
	s_or_b32 exec_lo, exec_lo, s30
	s_delay_alu instid0(VALU_DEP_1) | instskip(NEXT) | instid1(VALU_DEP_2)
	v_dual_lshlrev_b32 v10, 24, v28 :: v_dual_lshlrev_b32 v2, 20, v2
	v_lshl_add_u32 v1, v1, 23, 0x3c000000
	s_delay_alu instid0(VALU_DEP_2) | instskip(NEXT) | instid1(VALU_DEP_1)
	v_and_b32_e32 v10, 0x80000000, v10
	v_or3_b32 v111, v2, v10, v1
.LBB337_287:                            ;   in Loop: Header=BB337_9 Depth=1
	s_or_b32 exec_lo, exec_lo, s29
.LBB337_288:                            ;   in Loop: Header=BB337_9 Depth=1
	s_delay_alu instid0(SALU_CYCLE_1)
	s_or_b32 exec_lo, exec_lo, s28
.LBB337_289:                            ;   in Loop: Header=BB337_9 Depth=1
	s_delay_alu instid0(SALU_CYCLE_1) | instskip(NEXT) | instid1(SALU_CYCLE_1)
	s_or_b32 exec_lo, exec_lo, s27
	s_mov_b32 s27, exec_lo
	v_cmpx_lt_u32_e32 0xffffff, v20
	s_cbranch_execz .LBB337_297
; %bb.290:                              ;   in Loop: Header=BB337_9 Depth=1
	v_lshrrev_b32_e32 v1, 24, v20
	v_bfrev_b32_e32 v110, 1
	s_mov_b32 s28, exec_lo
	s_delay_alu instid0(VALU_DEP_2)
	v_cmpx_ne_u32_e32 0x80, v1
	s_cbranch_execz .LBB337_296
; %bb.291:                              ;   in Loop: Header=BB337_9 Depth=1
	v_bfe_u32 v28, v20, 24, 7
	v_mov_b32_e32 v110, 0x7f800001
	s_mov_b32 s29, exec_lo
	s_delay_alu instid0(VALU_DEP_2)
	v_cmpx_ne_u32_e32 0x7f, v28
	s_cbranch_execz .LBB337_295
; %bb.292:                              ;   in Loop: Header=BB337_9 Depth=1
	s_wait_dscnt 0x0
	v_dual_lshrrev_b32 v20, 3, v28 :: v_dual_bitop2_b32 v2, 7, v1 bitop3:0x40
	s_mov_b32 s30, exec_lo
	v_cmpx_gt_u32_e32 8, v28
; %bb.293:                              ;   in Loop: Header=BB337_9 Depth=1
	s_delay_alu instid0(VALU_DEP_2) | instskip(NEXT) | instid1(VALU_DEP_1)
	v_clz_i32_u32_e32 v10, v2
	v_min_u32_e32 v10, 32, v10
	s_delay_alu instid0(VALU_DEP_1) | instskip(NEXT) | instid1(VALU_DEP_1)
	v_subrev_nc_u32_e32 v11, 28, v10
	v_lshlrev_b64_e32 v[28:29], v11, v[2:3]
	s_delay_alu instid0(VALU_DEP_1)
	v_dual_sub_nc_u32 v20, 29, v10 :: v_dual_bitop2_b32 v2, 7, v28 bitop3:0x40
; %bb.294:                              ;   in Loop: Header=BB337_9 Depth=1
	s_or_b32 exec_lo, exec_lo, s30
	s_delay_alu instid0(VALU_DEP_1) | instskip(NEXT) | instid1(VALU_DEP_2)
	v_dual_lshlrev_b32 v1, 24, v1 :: v_dual_lshlrev_b32 v2, 20, v2
	v_lshl_add_u32 v10, v20, 23, 0x3c000000
	s_delay_alu instid0(VALU_DEP_2) | instskip(NEXT) | instid1(VALU_DEP_1)
	v_and_b32_e32 v1, 0x80000000, v1
	v_or3_b32 v110, v2, v1, v10
.LBB337_295:                            ;   in Loop: Header=BB337_9 Depth=1
	s_or_b32 exec_lo, exec_lo, s29
.LBB337_296:                            ;   in Loop: Header=BB337_9 Depth=1
	s_delay_alu instid0(SALU_CYCLE_1)
	s_or_b32 exec_lo, exec_lo, s28
.LBB337_297:                            ;   in Loop: Header=BB337_9 Depth=1
	s_delay_alu instid0(SALU_CYCLE_1)
	s_or_b32 exec_lo, exec_lo, s27
	global_load_b32 v20, v[8:9], off offset:1032
	v_dual_mov_b32 v113, 0 :: v_dual_mov_b32 v112, 0
	s_mov_b32 s27, exec_lo
	s_wait_loadcnt 0x0
	v_and_b32_e32 v1, 0xff, v20
	s_wait_xcnt 0x0
	s_delay_alu instid0(VALU_DEP_1)
	v_cmpx_ne_u16_e32 0, v1
	s_cbranch_execz .LBB337_305
; %bb.298:                              ;   in Loop: Header=BB337_9 Depth=1
	v_bfrev_b32_e32 v112, 1
	s_mov_b32 s28, exec_lo
	v_cmpx_ne_u16_e32 0x80, v1
	s_cbranch_execz .LBB337_304
; %bb.299:                              ;   in Loop: Header=BB337_9 Depth=1
	v_and_b32_e32 v28, 0x7f, v20
	v_mov_b32_e32 v112, 0x7f800001
	s_mov_b32 s29, exec_lo
	s_delay_alu instid0(VALU_DEP_2)
	v_cmpx_ne_u32_e32 0x7f, v28
	s_cbranch_execz .LBB337_303
; %bb.300:                              ;   in Loop: Header=BB337_9 Depth=1
	s_wait_dscnt 0x0
	v_and_b32_e32 v2, 7, v20
	v_lshrrev_b32_e32 v1, 3, v28
	s_mov_b32 s30, exec_lo
	v_cmpx_gt_u32_e32 8, v28
; %bb.301:                              ;   in Loop: Header=BB337_9 Depth=1
	s_delay_alu instid0(VALU_DEP_3) | instskip(NEXT) | instid1(VALU_DEP_1)
	v_clz_i32_u32_e32 v1, v2
	v_min_u32_e32 v1, 32, v1
	s_delay_alu instid0(VALU_DEP_1) | instskip(NEXT) | instid1(VALU_DEP_1)
	v_subrev_nc_u32_e32 v10, 28, v1
	v_lshlrev_b64_e32 v[28:29], v10, v[2:3]
	s_delay_alu instid0(VALU_DEP_1)
	v_dual_sub_nc_u32 v1, 29, v1 :: v_dual_bitop2_b32 v2, 7, v28 bitop3:0x40
; %bb.302:                              ;   in Loop: Header=BB337_9 Depth=1
	s_or_b32 exec_lo, exec_lo, s30
	s_delay_alu instid0(VALU_DEP_1) | instskip(NEXT) | instid1(VALU_DEP_2)
	v_dual_lshlrev_b32 v10, 24, v20 :: v_dual_lshlrev_b32 v2, 20, v2
	v_lshl_add_u32 v1, v1, 23, 0x3c000000
	s_delay_alu instid0(VALU_DEP_2) | instskip(NEXT) | instid1(VALU_DEP_1)
	v_and_b32_e32 v10, 0x80000000, v10
	v_or3_b32 v112, v2, v10, v1
.LBB337_303:                            ;   in Loop: Header=BB337_9 Depth=1
	s_or_b32 exec_lo, exec_lo, s29
.LBB337_304:                            ;   in Loop: Header=BB337_9 Depth=1
	s_delay_alu instid0(SALU_CYCLE_1)
	s_or_b32 exec_lo, exec_lo, s28
.LBB337_305:                            ;   in Loop: Header=BB337_9 Depth=1
	s_delay_alu instid0(SALU_CYCLE_1) | instskip(SKIP_2) | instid1(VALU_DEP_1)
	s_or_b32 exec_lo, exec_lo, s27
	v_lshrrev_b16 v1, 8, v20
	s_mov_b32 s27, exec_lo
	v_cmpx_ne_u16_e32 0, v1
	s_cbranch_execz .LBB337_313
; %bb.306:                              ;   in Loop: Header=BB337_9 Depth=1
	v_bfrev_b32_e32 v113, 1
	s_mov_b32 s28, exec_lo
	v_cmpx_ne_u16_e32 0x80, v1
	s_cbranch_execz .LBB337_312
; %bb.307:                              ;   in Loop: Header=BB337_9 Depth=1
	v_and_b32_e32 v1, 0xffff, v1
	v_mov_b32_e32 v113, 0x7f800001
	s_mov_b32 s29, exec_lo
	s_delay_alu instid0(VALU_DEP_2) | instskip(NEXT) | instid1(VALU_DEP_1)
	v_and_b32_e32 v28, 0x7f, v1
	v_cmpx_ne_u32_e32 0x7f, v28
	s_cbranch_execz .LBB337_311
; %bb.308:                              ;   in Loop: Header=BB337_9 Depth=1
	s_wait_dscnt 0x0
	v_dual_lshrrev_b32 v1, 3, v28 :: v_dual_bitop2_b32 v2, 7, v1 bitop3:0x40
	s_mov_b32 s30, exec_lo
	v_cmpx_gt_u32_e32 8, v28
; %bb.309:                              ;   in Loop: Header=BB337_9 Depth=1
	s_delay_alu instid0(VALU_DEP_2) | instskip(NEXT) | instid1(VALU_DEP_1)
	v_clz_i32_u32_e32 v1, v2
	v_min_u32_e32 v1, 32, v1
	s_delay_alu instid0(VALU_DEP_1) | instskip(NEXT) | instid1(VALU_DEP_1)
	v_subrev_nc_u32_e32 v10, 28, v1
	v_lshlrev_b64_e32 v[28:29], v10, v[2:3]
	s_delay_alu instid0(VALU_DEP_1)
	v_dual_sub_nc_u32 v1, 29, v1 :: v_dual_bitop2_b32 v2, 7, v28 bitop3:0x40
; %bb.310:                              ;   in Loop: Header=BB337_9 Depth=1
	s_or_b32 exec_lo, exec_lo, s30
	s_delay_alu instid0(VALU_DEP_1) | instskip(NEXT) | instid1(VALU_DEP_2)
	v_dual_lshlrev_b32 v10, 16, v20 :: v_dual_lshlrev_b32 v2, 20, v2
	v_lshl_add_u32 v1, v1, 23, 0x3c000000
	s_delay_alu instid0(VALU_DEP_2) | instskip(NEXT) | instid1(VALU_DEP_1)
	v_and_b32_e32 v10, 0x80000000, v10
	v_or3_b32 v113, v2, v10, v1
.LBB337_311:                            ;   in Loop: Header=BB337_9 Depth=1
	s_or_b32 exec_lo, exec_lo, s29
.LBB337_312:                            ;   in Loop: Header=BB337_9 Depth=1
	s_delay_alu instid0(SALU_CYCLE_1)
	s_or_b32 exec_lo, exec_lo, s28
.LBB337_313:                            ;   in Loop: Header=BB337_9 Depth=1
	s_delay_alu instid0(SALU_CYCLE_1) | instskip(SKIP_3) | instid1(VALU_DEP_2)
	s_or_b32 exec_lo, exec_lo, s27
	v_dual_lshrrev_b32 v28, 16, v20 :: v_dual_mov_b32 v114, 0
	v_mov_b32_e32 v115, 0
	s_mov_b32 s27, exec_lo
	v_and_b32_e32 v1, 0xff, v28
	s_delay_alu instid0(VALU_DEP_1)
	v_cmpx_ne_u16_e32 0, v1
	s_cbranch_execz .LBB337_321
; %bb.314:                              ;   in Loop: Header=BB337_9 Depth=1
	v_bfrev_b32_e32 v115, 1
	s_mov_b32 s28, exec_lo
	v_cmpx_ne_u16_e32 0x80, v1
	s_cbranch_execz .LBB337_320
; %bb.315:                              ;   in Loop: Header=BB337_9 Depth=1
	v_bfe_u32 v29, v20, 16, 7
	v_mov_b32_e32 v115, 0x7f800001
	s_mov_b32 s29, exec_lo
	s_delay_alu instid0(VALU_DEP_2)
	v_cmpx_ne_u32_e32 0x7f, v29
	s_cbranch_execz .LBB337_319
; %bb.316:                              ;   in Loop: Header=BB337_9 Depth=1
	s_wait_dscnt 0x0
	v_dual_lshrrev_b32 v1, 3, v29 :: v_dual_bitop2_b32 v2, 7, v28 bitop3:0x40
	s_mov_b32 s30, exec_lo
	v_cmpx_gt_u32_e32 8, v29
; %bb.317:                              ;   in Loop: Header=BB337_9 Depth=1
	s_delay_alu instid0(VALU_DEP_2) | instskip(NEXT) | instid1(VALU_DEP_1)
	v_clz_i32_u32_e32 v1, v2
	v_min_u32_e32 v1, 32, v1
	s_delay_alu instid0(VALU_DEP_1) | instskip(NEXT) | instid1(VALU_DEP_1)
	v_subrev_nc_u32_e32 v10, 28, v1
	v_lshlrev_b64_e32 v[116:117], v10, v[2:3]
	s_delay_alu instid0(VALU_DEP_1)
	v_dual_sub_nc_u32 v1, 29, v1 :: v_dual_bitop2_b32 v2, 7, v116 bitop3:0x40
; %bb.318:                              ;   in Loop: Header=BB337_9 Depth=1
	s_or_b32 exec_lo, exec_lo, s30
	s_delay_alu instid0(VALU_DEP_1) | instskip(NEXT) | instid1(VALU_DEP_2)
	v_dual_lshlrev_b32 v10, 24, v28 :: v_dual_lshlrev_b32 v2, 20, v2
	v_lshl_add_u32 v1, v1, 23, 0x3c000000
	s_delay_alu instid0(VALU_DEP_2) | instskip(NEXT) | instid1(VALU_DEP_1)
	v_and_b32_e32 v10, 0x80000000, v10
	v_or3_b32 v115, v2, v10, v1
.LBB337_319:                            ;   in Loop: Header=BB337_9 Depth=1
	s_or_b32 exec_lo, exec_lo, s29
.LBB337_320:                            ;   in Loop: Header=BB337_9 Depth=1
	s_delay_alu instid0(SALU_CYCLE_1)
	s_or_b32 exec_lo, exec_lo, s28
.LBB337_321:                            ;   in Loop: Header=BB337_9 Depth=1
	s_delay_alu instid0(SALU_CYCLE_1) | instskip(NEXT) | instid1(SALU_CYCLE_1)
	s_or_b32 exec_lo, exec_lo, s27
	s_mov_b32 s27, exec_lo
	v_cmpx_lt_u32_e32 0xffffff, v20
	s_cbranch_execz .LBB337_329
; %bb.322:                              ;   in Loop: Header=BB337_9 Depth=1
	v_lshrrev_b32_e32 v1, 24, v20
	v_bfrev_b32_e32 v114, 1
	s_mov_b32 s28, exec_lo
	s_delay_alu instid0(VALU_DEP_2)
	v_cmpx_ne_u32_e32 0x80, v1
	s_cbranch_execz .LBB337_328
; %bb.323:                              ;   in Loop: Header=BB337_9 Depth=1
	v_bfe_u32 v28, v20, 24, 7
	v_mov_b32_e32 v114, 0x7f800001
	s_mov_b32 s29, exec_lo
	s_delay_alu instid0(VALU_DEP_2)
	v_cmpx_ne_u32_e32 0x7f, v28
	s_cbranch_execz .LBB337_327
; %bb.324:                              ;   in Loop: Header=BB337_9 Depth=1
	s_wait_dscnt 0x0
	v_dual_lshrrev_b32 v20, 3, v28 :: v_dual_bitop2_b32 v2, 7, v1 bitop3:0x40
	s_mov_b32 s30, exec_lo
	v_cmpx_gt_u32_e32 8, v28
; %bb.325:                              ;   in Loop: Header=BB337_9 Depth=1
	s_delay_alu instid0(VALU_DEP_2) | instskip(NEXT) | instid1(VALU_DEP_1)
	v_clz_i32_u32_e32 v10, v2
	v_min_u32_e32 v10, 32, v10
	s_delay_alu instid0(VALU_DEP_1) | instskip(NEXT) | instid1(VALU_DEP_1)
	v_subrev_nc_u32_e32 v11, 28, v10
	v_lshlrev_b64_e32 v[28:29], v11, v[2:3]
	s_delay_alu instid0(VALU_DEP_1)
	v_dual_sub_nc_u32 v20, 29, v10 :: v_dual_bitop2_b32 v2, 7, v28 bitop3:0x40
; %bb.326:                              ;   in Loop: Header=BB337_9 Depth=1
	s_or_b32 exec_lo, exec_lo, s30
	s_delay_alu instid0(VALU_DEP_1) | instskip(NEXT) | instid1(VALU_DEP_2)
	v_dual_lshlrev_b32 v1, 24, v1 :: v_dual_lshlrev_b32 v2, 20, v2
	v_lshl_add_u32 v10, v20, 23, 0x3c000000
	s_delay_alu instid0(VALU_DEP_2) | instskip(NEXT) | instid1(VALU_DEP_1)
	v_and_b32_e32 v1, 0x80000000, v1
	v_or3_b32 v114, v2, v1, v10
.LBB337_327:                            ;   in Loop: Header=BB337_9 Depth=1
	s_or_b32 exec_lo, exec_lo, s29
.LBB337_328:                            ;   in Loop: Header=BB337_9 Depth=1
	s_delay_alu instid0(SALU_CYCLE_1)
	s_or_b32 exec_lo, exec_lo, s28
.LBB337_329:                            ;   in Loop: Header=BB337_9 Depth=1
	s_delay_alu instid0(SALU_CYCLE_1)
	s_or_b32 exec_lo, exec_lo, s27
	global_load_b32 v20, v[8:9], off offset:1280
	v_dual_mov_b32 v117, 0 :: v_dual_mov_b32 v116, 0
	s_mov_b32 s27, exec_lo
	s_wait_loadcnt 0x0
	v_and_b32_e32 v1, 0xff, v20
	s_wait_xcnt 0x0
	s_delay_alu instid0(VALU_DEP_1)
	v_cmpx_ne_u16_e32 0, v1
	s_cbranch_execz .LBB337_337
; %bb.330:                              ;   in Loop: Header=BB337_9 Depth=1
	v_bfrev_b32_e32 v116, 1
	s_mov_b32 s28, exec_lo
	v_cmpx_ne_u16_e32 0x80, v1
	s_cbranch_execz .LBB337_336
; %bb.331:                              ;   in Loop: Header=BB337_9 Depth=1
	v_and_b32_e32 v28, 0x7f, v20
	v_mov_b32_e32 v116, 0x7f800001
	s_mov_b32 s29, exec_lo
	s_delay_alu instid0(VALU_DEP_2)
	v_cmpx_ne_u32_e32 0x7f, v28
	s_cbranch_execz .LBB337_335
; %bb.332:                              ;   in Loop: Header=BB337_9 Depth=1
	s_wait_dscnt 0x0
	v_and_b32_e32 v2, 7, v20
	v_lshrrev_b32_e32 v1, 3, v28
	s_mov_b32 s30, exec_lo
	v_cmpx_gt_u32_e32 8, v28
; %bb.333:                              ;   in Loop: Header=BB337_9 Depth=1
	s_delay_alu instid0(VALU_DEP_3) | instskip(NEXT) | instid1(VALU_DEP_1)
	v_clz_i32_u32_e32 v1, v2
	v_min_u32_e32 v1, 32, v1
	s_delay_alu instid0(VALU_DEP_1) | instskip(NEXT) | instid1(VALU_DEP_1)
	v_subrev_nc_u32_e32 v10, 28, v1
	v_lshlrev_b64_e32 v[28:29], v10, v[2:3]
	s_delay_alu instid0(VALU_DEP_1)
	v_dual_sub_nc_u32 v1, 29, v1 :: v_dual_bitop2_b32 v2, 7, v28 bitop3:0x40
; %bb.334:                              ;   in Loop: Header=BB337_9 Depth=1
	s_or_b32 exec_lo, exec_lo, s30
	s_delay_alu instid0(VALU_DEP_1) | instskip(NEXT) | instid1(VALU_DEP_2)
	v_dual_lshlrev_b32 v10, 24, v20 :: v_dual_lshlrev_b32 v2, 20, v2
	v_lshl_add_u32 v1, v1, 23, 0x3c000000
	s_delay_alu instid0(VALU_DEP_2) | instskip(NEXT) | instid1(VALU_DEP_1)
	v_and_b32_e32 v10, 0x80000000, v10
	v_or3_b32 v116, v2, v10, v1
.LBB337_335:                            ;   in Loop: Header=BB337_9 Depth=1
	s_or_b32 exec_lo, exec_lo, s29
.LBB337_336:                            ;   in Loop: Header=BB337_9 Depth=1
	s_delay_alu instid0(SALU_CYCLE_1)
	s_or_b32 exec_lo, exec_lo, s28
.LBB337_337:                            ;   in Loop: Header=BB337_9 Depth=1
	s_delay_alu instid0(SALU_CYCLE_1) | instskip(SKIP_2) | instid1(VALU_DEP_1)
	s_or_b32 exec_lo, exec_lo, s27
	v_lshrrev_b16 v1, 8, v20
	s_mov_b32 s27, exec_lo
	v_cmpx_ne_u16_e32 0, v1
	s_cbranch_execz .LBB337_345
; %bb.338:                              ;   in Loop: Header=BB337_9 Depth=1
	v_bfrev_b32_e32 v117, 1
	s_mov_b32 s28, exec_lo
	v_cmpx_ne_u16_e32 0x80, v1
	s_cbranch_execz .LBB337_344
; %bb.339:                              ;   in Loop: Header=BB337_9 Depth=1
	v_and_b32_e32 v1, 0xffff, v1
	v_mov_b32_e32 v117, 0x7f800001
	s_mov_b32 s29, exec_lo
	s_delay_alu instid0(VALU_DEP_2) | instskip(NEXT) | instid1(VALU_DEP_1)
	v_and_b32_e32 v28, 0x7f, v1
	v_cmpx_ne_u32_e32 0x7f, v28
	s_cbranch_execz .LBB337_343
; %bb.340:                              ;   in Loop: Header=BB337_9 Depth=1
	s_wait_dscnt 0x0
	v_dual_lshrrev_b32 v1, 3, v28 :: v_dual_bitop2_b32 v2, 7, v1 bitop3:0x40
	s_mov_b32 s30, exec_lo
	v_cmpx_gt_u32_e32 8, v28
; %bb.341:                              ;   in Loop: Header=BB337_9 Depth=1
	s_delay_alu instid0(VALU_DEP_2) | instskip(NEXT) | instid1(VALU_DEP_1)
	v_clz_i32_u32_e32 v1, v2
	v_min_u32_e32 v1, 32, v1
	s_delay_alu instid0(VALU_DEP_1) | instskip(NEXT) | instid1(VALU_DEP_1)
	v_subrev_nc_u32_e32 v10, 28, v1
	v_lshlrev_b64_e32 v[28:29], v10, v[2:3]
	s_delay_alu instid0(VALU_DEP_1)
	v_dual_sub_nc_u32 v1, 29, v1 :: v_dual_bitop2_b32 v2, 7, v28 bitop3:0x40
; %bb.342:                              ;   in Loop: Header=BB337_9 Depth=1
	s_or_b32 exec_lo, exec_lo, s30
	s_delay_alu instid0(VALU_DEP_1) | instskip(NEXT) | instid1(VALU_DEP_2)
	v_dual_lshlrev_b32 v10, 16, v20 :: v_dual_lshlrev_b32 v2, 20, v2
	v_lshl_add_u32 v1, v1, 23, 0x3c000000
	s_delay_alu instid0(VALU_DEP_2) | instskip(NEXT) | instid1(VALU_DEP_1)
	v_and_b32_e32 v10, 0x80000000, v10
	v_or3_b32 v117, v2, v10, v1
.LBB337_343:                            ;   in Loop: Header=BB337_9 Depth=1
	s_or_b32 exec_lo, exec_lo, s29
.LBB337_344:                            ;   in Loop: Header=BB337_9 Depth=1
	s_delay_alu instid0(SALU_CYCLE_1)
	s_or_b32 exec_lo, exec_lo, s28
.LBB337_345:                            ;   in Loop: Header=BB337_9 Depth=1
	s_delay_alu instid0(SALU_CYCLE_1) | instskip(SKIP_3) | instid1(VALU_DEP_2)
	s_or_b32 exec_lo, exec_lo, s27
	v_dual_lshrrev_b32 v28, 16, v20 :: v_dual_mov_b32 v118, 0
	v_mov_b32_e32 v119, 0
	s_mov_b32 s27, exec_lo
	v_and_b32_e32 v1, 0xff, v28
	s_delay_alu instid0(VALU_DEP_1)
	v_cmpx_ne_u16_e32 0, v1
	s_cbranch_execz .LBB337_353
; %bb.346:                              ;   in Loop: Header=BB337_9 Depth=1
	v_bfrev_b32_e32 v119, 1
	s_mov_b32 s28, exec_lo
	v_cmpx_ne_u16_e32 0x80, v1
	s_cbranch_execz .LBB337_352
; %bb.347:                              ;   in Loop: Header=BB337_9 Depth=1
	v_bfe_u32 v29, v20, 16, 7
	v_mov_b32_e32 v119, 0x7f800001
	s_mov_b32 s29, exec_lo
	s_delay_alu instid0(VALU_DEP_2)
	v_cmpx_ne_u32_e32 0x7f, v29
	s_cbranch_execz .LBB337_351
; %bb.348:                              ;   in Loop: Header=BB337_9 Depth=1
	s_wait_dscnt 0x0
	v_dual_lshrrev_b32 v1, 3, v29 :: v_dual_bitop2_b32 v2, 7, v28 bitop3:0x40
	s_mov_b32 s30, exec_lo
	v_cmpx_gt_u32_e32 8, v29
; %bb.349:                              ;   in Loop: Header=BB337_9 Depth=1
	s_delay_alu instid0(VALU_DEP_2) | instskip(NEXT) | instid1(VALU_DEP_1)
	v_clz_i32_u32_e32 v1, v2
	v_min_u32_e32 v1, 32, v1
	s_delay_alu instid0(VALU_DEP_1) | instskip(NEXT) | instid1(VALU_DEP_1)
	v_subrev_nc_u32_e32 v10, 28, v1
	v_lshlrev_b64_e32 v[120:121], v10, v[2:3]
	s_delay_alu instid0(VALU_DEP_1)
	v_dual_sub_nc_u32 v1, 29, v1 :: v_dual_bitop2_b32 v2, 7, v120 bitop3:0x40
; %bb.350:                              ;   in Loop: Header=BB337_9 Depth=1
	s_or_b32 exec_lo, exec_lo, s30
	s_delay_alu instid0(VALU_DEP_1) | instskip(NEXT) | instid1(VALU_DEP_2)
	v_dual_lshlrev_b32 v10, 24, v28 :: v_dual_lshlrev_b32 v2, 20, v2
	v_lshl_add_u32 v1, v1, 23, 0x3c000000
	s_delay_alu instid0(VALU_DEP_2) | instskip(NEXT) | instid1(VALU_DEP_1)
	v_and_b32_e32 v10, 0x80000000, v10
	v_or3_b32 v119, v2, v10, v1
.LBB337_351:                            ;   in Loop: Header=BB337_9 Depth=1
	s_or_b32 exec_lo, exec_lo, s29
.LBB337_352:                            ;   in Loop: Header=BB337_9 Depth=1
	s_delay_alu instid0(SALU_CYCLE_1)
	s_or_b32 exec_lo, exec_lo, s28
.LBB337_353:                            ;   in Loop: Header=BB337_9 Depth=1
	s_delay_alu instid0(SALU_CYCLE_1) | instskip(NEXT) | instid1(SALU_CYCLE_1)
	s_or_b32 exec_lo, exec_lo, s27
	s_mov_b32 s27, exec_lo
	v_cmpx_lt_u32_e32 0xffffff, v20
	s_cbranch_execz .LBB337_361
; %bb.354:                              ;   in Loop: Header=BB337_9 Depth=1
	v_lshrrev_b32_e32 v1, 24, v20
	v_bfrev_b32_e32 v118, 1
	s_mov_b32 s28, exec_lo
	s_delay_alu instid0(VALU_DEP_2)
	v_cmpx_ne_u32_e32 0x80, v1
	s_cbranch_execz .LBB337_360
; %bb.355:                              ;   in Loop: Header=BB337_9 Depth=1
	v_bfe_u32 v28, v20, 24, 7
	v_mov_b32_e32 v118, 0x7f800001
	s_mov_b32 s29, exec_lo
	s_delay_alu instid0(VALU_DEP_2)
	v_cmpx_ne_u32_e32 0x7f, v28
	s_cbranch_execz .LBB337_359
; %bb.356:                              ;   in Loop: Header=BB337_9 Depth=1
	s_wait_dscnt 0x0
	v_dual_lshrrev_b32 v20, 3, v28 :: v_dual_bitop2_b32 v2, 7, v1 bitop3:0x40
	s_mov_b32 s30, exec_lo
	v_cmpx_gt_u32_e32 8, v28
; %bb.357:                              ;   in Loop: Header=BB337_9 Depth=1
	s_delay_alu instid0(VALU_DEP_2) | instskip(NEXT) | instid1(VALU_DEP_1)
	v_clz_i32_u32_e32 v10, v2
	v_min_u32_e32 v10, 32, v10
	s_delay_alu instid0(VALU_DEP_1) | instskip(NEXT) | instid1(VALU_DEP_1)
	v_subrev_nc_u32_e32 v11, 28, v10
	v_lshlrev_b64_e32 v[28:29], v11, v[2:3]
	s_delay_alu instid0(VALU_DEP_1)
	v_dual_sub_nc_u32 v20, 29, v10 :: v_dual_bitop2_b32 v2, 7, v28 bitop3:0x40
; %bb.358:                              ;   in Loop: Header=BB337_9 Depth=1
	s_or_b32 exec_lo, exec_lo, s30
	s_delay_alu instid0(VALU_DEP_1) | instskip(NEXT) | instid1(VALU_DEP_2)
	v_dual_lshlrev_b32 v1, 24, v1 :: v_dual_lshlrev_b32 v2, 20, v2
	v_lshl_add_u32 v10, v20, 23, 0x3c000000
	s_delay_alu instid0(VALU_DEP_2) | instskip(NEXT) | instid1(VALU_DEP_1)
	v_and_b32_e32 v1, 0x80000000, v1
	v_or3_b32 v118, v2, v1, v10
.LBB337_359:                            ;   in Loop: Header=BB337_9 Depth=1
	s_or_b32 exec_lo, exec_lo, s29
.LBB337_360:                            ;   in Loop: Header=BB337_9 Depth=1
	s_delay_alu instid0(SALU_CYCLE_1)
	s_or_b32 exec_lo, exec_lo, s28
.LBB337_361:                            ;   in Loop: Header=BB337_9 Depth=1
	s_delay_alu instid0(SALU_CYCLE_1)
	s_or_b32 exec_lo, exec_lo, s27
	global_load_b32 v20, v[8:9], off offset:1288
	v_dual_mov_b32 v121, 0 :: v_dual_mov_b32 v120, 0
	s_mov_b32 s27, exec_lo
	s_wait_loadcnt 0x0
	v_and_b32_e32 v1, 0xff, v20
	s_wait_xcnt 0x0
	s_delay_alu instid0(VALU_DEP_1)
	v_cmpx_ne_u16_e32 0, v1
	s_cbranch_execz .LBB337_369
; %bb.362:                              ;   in Loop: Header=BB337_9 Depth=1
	v_bfrev_b32_e32 v120, 1
	s_mov_b32 s28, exec_lo
	v_cmpx_ne_u16_e32 0x80, v1
	s_cbranch_execz .LBB337_368
; %bb.363:                              ;   in Loop: Header=BB337_9 Depth=1
	v_and_b32_e32 v28, 0x7f, v20
	v_mov_b32_e32 v120, 0x7f800001
	s_mov_b32 s29, exec_lo
	s_delay_alu instid0(VALU_DEP_2)
	v_cmpx_ne_u32_e32 0x7f, v28
	s_cbranch_execz .LBB337_367
; %bb.364:                              ;   in Loop: Header=BB337_9 Depth=1
	s_wait_dscnt 0x0
	v_and_b32_e32 v2, 7, v20
	v_lshrrev_b32_e32 v1, 3, v28
	s_mov_b32 s30, exec_lo
	v_cmpx_gt_u32_e32 8, v28
; %bb.365:                              ;   in Loop: Header=BB337_9 Depth=1
	s_delay_alu instid0(VALU_DEP_3) | instskip(NEXT) | instid1(VALU_DEP_1)
	v_clz_i32_u32_e32 v1, v2
	v_min_u32_e32 v1, 32, v1
	s_delay_alu instid0(VALU_DEP_1) | instskip(NEXT) | instid1(VALU_DEP_1)
	v_subrev_nc_u32_e32 v10, 28, v1
	v_lshlrev_b64_e32 v[28:29], v10, v[2:3]
	s_delay_alu instid0(VALU_DEP_1)
	v_dual_sub_nc_u32 v1, 29, v1 :: v_dual_bitop2_b32 v2, 7, v28 bitop3:0x40
; %bb.366:                              ;   in Loop: Header=BB337_9 Depth=1
	s_or_b32 exec_lo, exec_lo, s30
	s_delay_alu instid0(VALU_DEP_1) | instskip(NEXT) | instid1(VALU_DEP_2)
	v_dual_lshlrev_b32 v10, 24, v20 :: v_dual_lshlrev_b32 v2, 20, v2
	v_lshl_add_u32 v1, v1, 23, 0x3c000000
	s_delay_alu instid0(VALU_DEP_2) | instskip(NEXT) | instid1(VALU_DEP_1)
	v_and_b32_e32 v10, 0x80000000, v10
	v_or3_b32 v120, v2, v10, v1
.LBB337_367:                            ;   in Loop: Header=BB337_9 Depth=1
	s_or_b32 exec_lo, exec_lo, s29
.LBB337_368:                            ;   in Loop: Header=BB337_9 Depth=1
	s_delay_alu instid0(SALU_CYCLE_1)
	s_or_b32 exec_lo, exec_lo, s28
.LBB337_369:                            ;   in Loop: Header=BB337_9 Depth=1
	s_delay_alu instid0(SALU_CYCLE_1) | instskip(SKIP_2) | instid1(VALU_DEP_1)
	s_or_b32 exec_lo, exec_lo, s27
	v_lshrrev_b16 v1, 8, v20
	s_mov_b32 s27, exec_lo
	v_cmpx_ne_u16_e32 0, v1
	s_cbranch_execz .LBB337_377
; %bb.370:                              ;   in Loop: Header=BB337_9 Depth=1
	v_bfrev_b32_e32 v121, 1
	s_mov_b32 s28, exec_lo
	v_cmpx_ne_u16_e32 0x80, v1
	s_cbranch_execz .LBB337_376
; %bb.371:                              ;   in Loop: Header=BB337_9 Depth=1
	v_and_b32_e32 v1, 0xffff, v1
	v_mov_b32_e32 v121, 0x7f800001
	s_mov_b32 s29, exec_lo
	s_delay_alu instid0(VALU_DEP_2) | instskip(NEXT) | instid1(VALU_DEP_1)
	v_and_b32_e32 v28, 0x7f, v1
	v_cmpx_ne_u32_e32 0x7f, v28
	s_cbranch_execz .LBB337_375
; %bb.372:                              ;   in Loop: Header=BB337_9 Depth=1
	s_wait_dscnt 0x0
	v_dual_lshrrev_b32 v1, 3, v28 :: v_dual_bitop2_b32 v2, 7, v1 bitop3:0x40
	s_mov_b32 s30, exec_lo
	v_cmpx_gt_u32_e32 8, v28
; %bb.373:                              ;   in Loop: Header=BB337_9 Depth=1
	s_delay_alu instid0(VALU_DEP_2) | instskip(NEXT) | instid1(VALU_DEP_1)
	v_clz_i32_u32_e32 v1, v2
	v_min_u32_e32 v1, 32, v1
	s_delay_alu instid0(VALU_DEP_1) | instskip(NEXT) | instid1(VALU_DEP_1)
	v_subrev_nc_u32_e32 v10, 28, v1
	v_lshlrev_b64_e32 v[28:29], v10, v[2:3]
	s_delay_alu instid0(VALU_DEP_1)
	v_dual_sub_nc_u32 v1, 29, v1 :: v_dual_bitop2_b32 v2, 7, v28 bitop3:0x40
; %bb.374:                              ;   in Loop: Header=BB337_9 Depth=1
	s_or_b32 exec_lo, exec_lo, s30
	s_delay_alu instid0(VALU_DEP_1) | instskip(NEXT) | instid1(VALU_DEP_2)
	v_dual_lshlrev_b32 v10, 16, v20 :: v_dual_lshlrev_b32 v2, 20, v2
	v_lshl_add_u32 v1, v1, 23, 0x3c000000
	s_delay_alu instid0(VALU_DEP_2) | instskip(NEXT) | instid1(VALU_DEP_1)
	v_and_b32_e32 v10, 0x80000000, v10
	v_or3_b32 v121, v2, v10, v1
.LBB337_375:                            ;   in Loop: Header=BB337_9 Depth=1
	s_or_b32 exec_lo, exec_lo, s29
.LBB337_376:                            ;   in Loop: Header=BB337_9 Depth=1
	s_delay_alu instid0(SALU_CYCLE_1)
	s_or_b32 exec_lo, exec_lo, s28
.LBB337_377:                            ;   in Loop: Header=BB337_9 Depth=1
	s_delay_alu instid0(SALU_CYCLE_1) | instskip(SKIP_3) | instid1(VALU_DEP_2)
	s_or_b32 exec_lo, exec_lo, s27
	v_dual_lshrrev_b32 v28, 16, v20 :: v_dual_mov_b32 v122, 0
	v_mov_b32_e32 v123, 0
	s_mov_b32 s27, exec_lo
	v_and_b32_e32 v1, 0xff, v28
	s_delay_alu instid0(VALU_DEP_1)
	v_cmpx_ne_u16_e32 0, v1
	s_cbranch_execz .LBB337_385
; %bb.378:                              ;   in Loop: Header=BB337_9 Depth=1
	v_bfrev_b32_e32 v123, 1
	s_mov_b32 s28, exec_lo
	v_cmpx_ne_u16_e32 0x80, v1
	s_cbranch_execz .LBB337_384
; %bb.379:                              ;   in Loop: Header=BB337_9 Depth=1
	v_bfe_u32 v29, v20, 16, 7
	v_mov_b32_e32 v123, 0x7f800001
	s_mov_b32 s29, exec_lo
	s_delay_alu instid0(VALU_DEP_2)
	v_cmpx_ne_u32_e32 0x7f, v29
	s_cbranch_execz .LBB337_383
; %bb.380:                              ;   in Loop: Header=BB337_9 Depth=1
	s_wait_dscnt 0x0
	v_dual_lshrrev_b32 v1, 3, v29 :: v_dual_bitop2_b32 v2, 7, v28 bitop3:0x40
	s_mov_b32 s30, exec_lo
	v_cmpx_gt_u32_e32 8, v29
; %bb.381:                              ;   in Loop: Header=BB337_9 Depth=1
	s_delay_alu instid0(VALU_DEP_2) | instskip(NEXT) | instid1(VALU_DEP_1)
	v_clz_i32_u32_e32 v1, v2
	v_min_u32_e32 v1, 32, v1
	s_delay_alu instid0(VALU_DEP_1) | instskip(NEXT) | instid1(VALU_DEP_1)
	v_subrev_nc_u32_e32 v10, 28, v1
	v_lshlrev_b64_e32 v[124:125], v10, v[2:3]
	s_delay_alu instid0(VALU_DEP_1)
	v_dual_sub_nc_u32 v1, 29, v1 :: v_dual_bitop2_b32 v2, 7, v124 bitop3:0x40
; %bb.382:                              ;   in Loop: Header=BB337_9 Depth=1
	s_or_b32 exec_lo, exec_lo, s30
	s_delay_alu instid0(VALU_DEP_1) | instskip(NEXT) | instid1(VALU_DEP_2)
	v_dual_lshlrev_b32 v10, 24, v28 :: v_dual_lshlrev_b32 v2, 20, v2
	v_lshl_add_u32 v1, v1, 23, 0x3c000000
	s_delay_alu instid0(VALU_DEP_2) | instskip(NEXT) | instid1(VALU_DEP_1)
	v_and_b32_e32 v10, 0x80000000, v10
	v_or3_b32 v123, v2, v10, v1
.LBB337_383:                            ;   in Loop: Header=BB337_9 Depth=1
	s_or_b32 exec_lo, exec_lo, s29
.LBB337_384:                            ;   in Loop: Header=BB337_9 Depth=1
	s_delay_alu instid0(SALU_CYCLE_1)
	s_or_b32 exec_lo, exec_lo, s28
.LBB337_385:                            ;   in Loop: Header=BB337_9 Depth=1
	s_delay_alu instid0(SALU_CYCLE_1) | instskip(NEXT) | instid1(SALU_CYCLE_1)
	s_or_b32 exec_lo, exec_lo, s27
	s_mov_b32 s27, exec_lo
	v_cmpx_lt_u32_e32 0xffffff, v20
	s_cbranch_execz .LBB337_393
; %bb.386:                              ;   in Loop: Header=BB337_9 Depth=1
	v_lshrrev_b32_e32 v1, 24, v20
	v_bfrev_b32_e32 v122, 1
	s_mov_b32 s28, exec_lo
	s_delay_alu instid0(VALU_DEP_2)
	v_cmpx_ne_u32_e32 0x80, v1
	s_cbranch_execz .LBB337_392
; %bb.387:                              ;   in Loop: Header=BB337_9 Depth=1
	v_bfe_u32 v28, v20, 24, 7
	v_mov_b32_e32 v122, 0x7f800001
	s_mov_b32 s29, exec_lo
	s_delay_alu instid0(VALU_DEP_2)
	v_cmpx_ne_u32_e32 0x7f, v28
	s_cbranch_execz .LBB337_391
; %bb.388:                              ;   in Loop: Header=BB337_9 Depth=1
	s_wait_dscnt 0x0
	v_dual_lshrrev_b32 v20, 3, v28 :: v_dual_bitop2_b32 v2, 7, v1 bitop3:0x40
	s_mov_b32 s30, exec_lo
	v_cmpx_gt_u32_e32 8, v28
; %bb.389:                              ;   in Loop: Header=BB337_9 Depth=1
	s_delay_alu instid0(VALU_DEP_2) | instskip(NEXT) | instid1(VALU_DEP_1)
	v_clz_i32_u32_e32 v10, v2
	v_min_u32_e32 v10, 32, v10
	s_delay_alu instid0(VALU_DEP_1) | instskip(NEXT) | instid1(VALU_DEP_1)
	v_subrev_nc_u32_e32 v11, 28, v10
	v_lshlrev_b64_e32 v[28:29], v11, v[2:3]
	s_delay_alu instid0(VALU_DEP_1)
	v_dual_sub_nc_u32 v20, 29, v10 :: v_dual_bitop2_b32 v2, 7, v28 bitop3:0x40
; %bb.390:                              ;   in Loop: Header=BB337_9 Depth=1
	s_or_b32 exec_lo, exec_lo, s30
	s_delay_alu instid0(VALU_DEP_1) | instskip(NEXT) | instid1(VALU_DEP_2)
	v_dual_lshlrev_b32 v1, 24, v1 :: v_dual_lshlrev_b32 v2, 20, v2
	v_lshl_add_u32 v10, v20, 23, 0x3c000000
	s_delay_alu instid0(VALU_DEP_2) | instskip(NEXT) | instid1(VALU_DEP_1)
	v_and_b32_e32 v1, 0x80000000, v1
	v_or3_b32 v122, v2, v1, v10
.LBB337_391:                            ;   in Loop: Header=BB337_9 Depth=1
	s_or_b32 exec_lo, exec_lo, s29
.LBB337_392:                            ;   in Loop: Header=BB337_9 Depth=1
	s_delay_alu instid0(SALU_CYCLE_1)
	s_or_b32 exec_lo, exec_lo, s28
.LBB337_393:                            ;   in Loop: Header=BB337_9 Depth=1
	s_delay_alu instid0(SALU_CYCLE_1)
	s_or_b32 exec_lo, exec_lo, s27
	global_load_b32 v20, v[8:9], off offset:1536
	v_dual_mov_b32 v125, 0 :: v_dual_mov_b32 v124, 0
	s_mov_b32 s27, exec_lo
	s_wait_loadcnt 0x0
	v_and_b32_e32 v1, 0xff, v20
	s_wait_xcnt 0x0
	s_delay_alu instid0(VALU_DEP_1)
	v_cmpx_ne_u16_e32 0, v1
	s_cbranch_execz .LBB337_401
; %bb.394:                              ;   in Loop: Header=BB337_9 Depth=1
	v_bfrev_b32_e32 v124, 1
	s_mov_b32 s28, exec_lo
	v_cmpx_ne_u16_e32 0x80, v1
	s_cbranch_execz .LBB337_400
; %bb.395:                              ;   in Loop: Header=BB337_9 Depth=1
	v_and_b32_e32 v28, 0x7f, v20
	v_mov_b32_e32 v124, 0x7f800001
	s_mov_b32 s29, exec_lo
	s_delay_alu instid0(VALU_DEP_2)
	v_cmpx_ne_u32_e32 0x7f, v28
	s_cbranch_execz .LBB337_399
; %bb.396:                              ;   in Loop: Header=BB337_9 Depth=1
	s_wait_dscnt 0x0
	v_and_b32_e32 v2, 7, v20
	v_lshrrev_b32_e32 v1, 3, v28
	s_mov_b32 s30, exec_lo
	v_cmpx_gt_u32_e32 8, v28
; %bb.397:                              ;   in Loop: Header=BB337_9 Depth=1
	s_delay_alu instid0(VALU_DEP_3) | instskip(NEXT) | instid1(VALU_DEP_1)
	v_clz_i32_u32_e32 v1, v2
	v_min_u32_e32 v1, 32, v1
	s_delay_alu instid0(VALU_DEP_1) | instskip(NEXT) | instid1(VALU_DEP_1)
	v_subrev_nc_u32_e32 v10, 28, v1
	v_lshlrev_b64_e32 v[28:29], v10, v[2:3]
	s_delay_alu instid0(VALU_DEP_1)
	v_dual_sub_nc_u32 v1, 29, v1 :: v_dual_bitop2_b32 v2, 7, v28 bitop3:0x40
; %bb.398:                              ;   in Loop: Header=BB337_9 Depth=1
	s_or_b32 exec_lo, exec_lo, s30
	s_delay_alu instid0(VALU_DEP_1) | instskip(NEXT) | instid1(VALU_DEP_2)
	v_dual_lshlrev_b32 v10, 24, v20 :: v_dual_lshlrev_b32 v2, 20, v2
	v_lshl_add_u32 v1, v1, 23, 0x3c000000
	s_delay_alu instid0(VALU_DEP_2) | instskip(NEXT) | instid1(VALU_DEP_1)
	v_and_b32_e32 v10, 0x80000000, v10
	v_or3_b32 v124, v2, v10, v1
.LBB337_399:                            ;   in Loop: Header=BB337_9 Depth=1
	s_or_b32 exec_lo, exec_lo, s29
.LBB337_400:                            ;   in Loop: Header=BB337_9 Depth=1
	s_delay_alu instid0(SALU_CYCLE_1)
	s_or_b32 exec_lo, exec_lo, s28
.LBB337_401:                            ;   in Loop: Header=BB337_9 Depth=1
	s_delay_alu instid0(SALU_CYCLE_1) | instskip(SKIP_2) | instid1(VALU_DEP_1)
	s_or_b32 exec_lo, exec_lo, s27
	v_lshrrev_b16 v1, 8, v20
	s_mov_b32 s27, exec_lo
	v_cmpx_ne_u16_e32 0, v1
	s_cbranch_execz .LBB337_409
; %bb.402:                              ;   in Loop: Header=BB337_9 Depth=1
	v_bfrev_b32_e32 v125, 1
	s_mov_b32 s28, exec_lo
	v_cmpx_ne_u16_e32 0x80, v1
	s_cbranch_execz .LBB337_408
; %bb.403:                              ;   in Loop: Header=BB337_9 Depth=1
	v_and_b32_e32 v1, 0xffff, v1
	v_mov_b32_e32 v125, 0x7f800001
	s_mov_b32 s29, exec_lo
	s_delay_alu instid0(VALU_DEP_2) | instskip(NEXT) | instid1(VALU_DEP_1)
	v_and_b32_e32 v28, 0x7f, v1
	v_cmpx_ne_u32_e32 0x7f, v28
	s_cbranch_execz .LBB337_407
; %bb.404:                              ;   in Loop: Header=BB337_9 Depth=1
	s_wait_dscnt 0x0
	v_dual_lshrrev_b32 v1, 3, v28 :: v_dual_bitop2_b32 v2, 7, v1 bitop3:0x40
	s_mov_b32 s30, exec_lo
	v_cmpx_gt_u32_e32 8, v28
; %bb.405:                              ;   in Loop: Header=BB337_9 Depth=1
	s_delay_alu instid0(VALU_DEP_2) | instskip(NEXT) | instid1(VALU_DEP_1)
	v_clz_i32_u32_e32 v1, v2
	v_min_u32_e32 v1, 32, v1
	s_delay_alu instid0(VALU_DEP_1) | instskip(NEXT) | instid1(VALU_DEP_1)
	v_subrev_nc_u32_e32 v10, 28, v1
	v_lshlrev_b64_e32 v[28:29], v10, v[2:3]
	s_delay_alu instid0(VALU_DEP_1)
	v_dual_sub_nc_u32 v1, 29, v1 :: v_dual_bitop2_b32 v2, 7, v28 bitop3:0x40
; %bb.406:                              ;   in Loop: Header=BB337_9 Depth=1
	s_or_b32 exec_lo, exec_lo, s30
	s_delay_alu instid0(VALU_DEP_1) | instskip(NEXT) | instid1(VALU_DEP_2)
	v_dual_lshlrev_b32 v10, 16, v20 :: v_dual_lshlrev_b32 v2, 20, v2
	v_lshl_add_u32 v1, v1, 23, 0x3c000000
	s_delay_alu instid0(VALU_DEP_2) | instskip(NEXT) | instid1(VALU_DEP_1)
	v_and_b32_e32 v10, 0x80000000, v10
	v_or3_b32 v125, v2, v10, v1
.LBB337_407:                            ;   in Loop: Header=BB337_9 Depth=1
	s_or_b32 exec_lo, exec_lo, s29
.LBB337_408:                            ;   in Loop: Header=BB337_9 Depth=1
	s_delay_alu instid0(SALU_CYCLE_1)
	s_or_b32 exec_lo, exec_lo, s28
.LBB337_409:                            ;   in Loop: Header=BB337_9 Depth=1
	s_delay_alu instid0(SALU_CYCLE_1) | instskip(SKIP_3) | instid1(VALU_DEP_2)
	s_or_b32 exec_lo, exec_lo, s27
	v_dual_lshrrev_b32 v28, 16, v20 :: v_dual_mov_b32 v126, 0
	v_mov_b32_e32 v127, 0
	s_mov_b32 s27, exec_lo
	v_and_b32_e32 v1, 0xff, v28
	s_delay_alu instid0(VALU_DEP_1)
	v_cmpx_ne_u16_e32 0, v1
	s_cbranch_execz .LBB337_417
; %bb.410:                              ;   in Loop: Header=BB337_9 Depth=1
	v_bfrev_b32_e32 v127, 1
	s_mov_b32 s28, exec_lo
	v_cmpx_ne_u16_e32 0x80, v1
	s_cbranch_execz .LBB337_416
; %bb.411:                              ;   in Loop: Header=BB337_9 Depth=1
	v_bfe_u32 v29, v20, 16, 7
	v_mov_b32_e32 v127, 0x7f800001
	s_mov_b32 s29, exec_lo
	s_delay_alu instid0(VALU_DEP_2)
	v_cmpx_ne_u32_e32 0x7f, v29
	s_cbranch_execz .LBB337_415
; %bb.412:                              ;   in Loop: Header=BB337_9 Depth=1
	s_wait_dscnt 0x0
	v_dual_lshrrev_b32 v1, 3, v29 :: v_dual_bitop2_b32 v2, 7, v28 bitop3:0x40
	s_mov_b32 s30, exec_lo
	v_cmpx_gt_u32_e32 8, v29
; %bb.413:                              ;   in Loop: Header=BB337_9 Depth=1
	s_delay_alu instid0(VALU_DEP_2) | instskip(NEXT) | instid1(VALU_DEP_1)
	v_clz_i32_u32_e32 v1, v2
	v_min_u32_e32 v1, 32, v1
	s_delay_alu instid0(VALU_DEP_1) | instskip(NEXT) | instid1(VALU_DEP_1)
	v_subrev_nc_u32_e32 v10, 28, v1
	v_lshlrev_b64_e32 v[10:11], v10, v[2:3]
	s_delay_alu instid0(VALU_DEP_1)
	v_dual_sub_nc_u32 v1, 29, v1 :: v_dual_bitop2_b32 v2, 7, v10 bitop3:0x40
; %bb.414:                              ;   in Loop: Header=BB337_9 Depth=1
	s_or_b32 exec_lo, exec_lo, s30
	s_delay_alu instid0(VALU_DEP_1) | instskip(NEXT) | instid1(VALU_DEP_2)
	v_dual_lshlrev_b32 v10, 24, v28 :: v_dual_lshlrev_b32 v2, 20, v2
	v_lshl_add_u32 v1, v1, 23, 0x3c000000
	s_delay_alu instid0(VALU_DEP_2) | instskip(NEXT) | instid1(VALU_DEP_1)
	v_and_b32_e32 v10, 0x80000000, v10
	v_or3_b32 v127, v2, v10, v1
.LBB337_415:                            ;   in Loop: Header=BB337_9 Depth=1
	s_or_b32 exec_lo, exec_lo, s29
.LBB337_416:                            ;   in Loop: Header=BB337_9 Depth=1
	s_delay_alu instid0(SALU_CYCLE_1)
	s_or_b32 exec_lo, exec_lo, s28
.LBB337_417:                            ;   in Loop: Header=BB337_9 Depth=1
	s_delay_alu instid0(SALU_CYCLE_1) | instskip(NEXT) | instid1(SALU_CYCLE_1)
	s_or_b32 exec_lo, exec_lo, s27
	s_mov_b32 s27, exec_lo
	v_cmpx_lt_u32_e32 0xffffff, v20
	s_cbranch_execz .LBB337_425
; %bb.418:                              ;   in Loop: Header=BB337_9 Depth=1
	v_lshrrev_b32_e32 v1, 24, v20
	v_bfrev_b32_e32 v126, 1
	s_mov_b32 s28, exec_lo
	s_delay_alu instid0(VALU_DEP_2)
	v_cmpx_ne_u32_e32 0x80, v1
	s_cbranch_execz .LBB337_424
; %bb.419:                              ;   in Loop: Header=BB337_9 Depth=1
	v_bfe_u32 v28, v20, 24, 7
	v_mov_b32_e32 v126, 0x7f800001
	s_mov_b32 s29, exec_lo
	s_delay_alu instid0(VALU_DEP_2)
	v_cmpx_ne_u32_e32 0x7f, v28
	s_cbranch_execz .LBB337_423
; %bb.420:                              ;   in Loop: Header=BB337_9 Depth=1
	s_wait_dscnt 0x0
	v_dual_lshrrev_b32 v20, 3, v28 :: v_dual_bitop2_b32 v2, 7, v1 bitop3:0x40
	s_mov_b32 s30, exec_lo
	v_cmpx_gt_u32_e32 8, v28
; %bb.421:                              ;   in Loop: Header=BB337_9 Depth=1
	s_delay_alu instid0(VALU_DEP_2) | instskip(NEXT) | instid1(VALU_DEP_1)
	v_clz_i32_u32_e32 v10, v2
	v_min_u32_e32 v17, 32, v10
	s_delay_alu instid0(VALU_DEP_1) | instskip(NEXT) | instid1(VALU_DEP_1)
	v_subrev_nc_u32_e32 v10, 28, v17
	v_lshlrev_b64_e32 v[10:11], v10, v[2:3]
	s_delay_alu instid0(VALU_DEP_1)
	v_dual_sub_nc_u32 v20, 29, v17 :: v_dual_bitop2_b32 v2, 7, v10 bitop3:0x40
; %bb.422:                              ;   in Loop: Header=BB337_9 Depth=1
	s_or_b32 exec_lo, exec_lo, s30
	s_delay_alu instid0(VALU_DEP_1) | instskip(NEXT) | instid1(VALU_DEP_2)
	v_dual_lshlrev_b32 v1, 24, v1 :: v_dual_lshlrev_b32 v2, 20, v2
	v_lshl_add_u32 v10, v20, 23, 0x3c000000
	s_delay_alu instid0(VALU_DEP_2) | instskip(NEXT) | instid1(VALU_DEP_1)
	v_and_b32_e32 v1, 0x80000000, v1
	v_or3_b32 v126, v2, v1, v10
.LBB337_423:                            ;   in Loop: Header=BB337_9 Depth=1
	s_or_b32 exec_lo, exec_lo, s29
.LBB337_424:                            ;   in Loop: Header=BB337_9 Depth=1
	s_delay_alu instid0(SALU_CYCLE_1)
	s_or_b32 exec_lo, exec_lo, s28
.LBB337_425:                            ;   in Loop: Header=BB337_9 Depth=1
	s_delay_alu instid0(SALU_CYCLE_1)
	s_or_b32 exec_lo, exec_lo, s27
	global_load_b32 v28, v[8:9], off offset:1544
	s_wait_xcnt 0x0
	v_dual_mov_b32 v9, 0 :: v_dual_mov_b32 v8, 0
	s_mov_b32 s27, exec_lo
	s_wait_loadcnt 0x0
	v_and_b32_e32 v1, 0xff, v28
	s_delay_alu instid0(VALU_DEP_1)
	v_cmpx_ne_u16_e32 0, v1
	s_cbranch_execz .LBB337_433
; %bb.426:                              ;   in Loop: Header=BB337_9 Depth=1
	v_bfrev_b32_e32 v8, 1
	s_mov_b32 s28, exec_lo
	v_cmpx_ne_u16_e32 0x80, v1
	s_cbranch_execz .LBB337_432
; %bb.427:                              ;   in Loop: Header=BB337_9 Depth=1
	v_and_b32_e32 v20, 0x7f, v28
	v_mov_b32_e32 v8, 0x7f800001
	s_mov_b32 s29, exec_lo
	s_delay_alu instid0(VALU_DEP_2)
	v_cmpx_ne_u32_e32 0x7f, v20
	s_cbranch_execz .LBB337_431
; %bb.428:                              ;   in Loop: Header=BB337_9 Depth=1
	s_wait_dscnt 0x0
	v_and_b32_e32 v2, 7, v28
	v_lshrrev_b32_e32 v1, 3, v20
	s_mov_b32 s30, exec_lo
	v_cmpx_gt_u32_e32 8, v20
; %bb.429:                              ;   in Loop: Header=BB337_9 Depth=1
	s_delay_alu instid0(VALU_DEP_3) | instskip(NEXT) | instid1(VALU_DEP_1)
	v_clz_i32_u32_e32 v1, v2
	v_min_u32_e32 v1, 32, v1
	s_delay_alu instid0(VALU_DEP_1) | instskip(NEXT) | instid1(VALU_DEP_1)
	v_subrev_nc_u32_e32 v8, 28, v1
	v_lshlrev_b64_e32 v[10:11], v8, v[2:3]
	s_delay_alu instid0(VALU_DEP_1)
	v_dual_sub_nc_u32 v1, 29, v1 :: v_dual_bitop2_b32 v2, 7, v10 bitop3:0x40
; %bb.430:                              ;   in Loop: Header=BB337_9 Depth=1
	s_or_b32 exec_lo, exec_lo, s30
	s_delay_alu instid0(VALU_DEP_1) | instskip(NEXT) | instid1(VALU_DEP_2)
	v_dual_lshlrev_b32 v8, 24, v28 :: v_dual_lshlrev_b32 v2, 20, v2
	v_lshl_add_u32 v1, v1, 23, 0x3c000000
	s_delay_alu instid0(VALU_DEP_2) | instskip(NEXT) | instid1(VALU_DEP_1)
	v_and_b32_e32 v8, 0x80000000, v8
	v_or3_b32 v8, v2, v8, v1
.LBB337_431:                            ;   in Loop: Header=BB337_9 Depth=1
	s_or_b32 exec_lo, exec_lo, s29
.LBB337_432:                            ;   in Loop: Header=BB337_9 Depth=1
	s_delay_alu instid0(SALU_CYCLE_1)
	s_or_b32 exec_lo, exec_lo, s28
.LBB337_433:                            ;   in Loop: Header=BB337_9 Depth=1
	s_delay_alu instid0(SALU_CYCLE_1) | instskip(SKIP_2) | instid1(VALU_DEP_1)
	s_or_b32 exec_lo, exec_lo, s27
	v_lshrrev_b16 v1, 8, v28
	s_mov_b32 s27, exec_lo
	v_cmpx_ne_u16_e32 0, v1
	s_cbranch_execz .LBB337_441
; %bb.434:                              ;   in Loop: Header=BB337_9 Depth=1
	v_bfrev_b32_e32 v9, 1
	s_mov_b32 s28, exec_lo
	v_cmpx_ne_u16_e32 0x80, v1
	s_cbranch_execz .LBB337_440
; %bb.435:                              ;   in Loop: Header=BB337_9 Depth=1
	v_and_b32_e32 v1, 0xffff, v1
	v_mov_b32_e32 v9, 0x7f800001
	s_mov_b32 s29, exec_lo
	s_delay_alu instid0(VALU_DEP_2) | instskip(NEXT) | instid1(VALU_DEP_1)
	v_and_b32_e32 v20, 0x7f, v1
	v_cmpx_ne_u32_e32 0x7f, v20
	s_cbranch_execz .LBB337_439
; %bb.436:                              ;   in Loop: Header=BB337_9 Depth=1
	s_wait_dscnt 0x0
	v_dual_lshrrev_b32 v1, 3, v20 :: v_dual_bitop2_b32 v2, 7, v1 bitop3:0x40
	s_mov_b32 s30, exec_lo
	v_cmpx_gt_u32_e32 8, v20
; %bb.437:                              ;   in Loop: Header=BB337_9 Depth=1
	s_delay_alu instid0(VALU_DEP_2) | instskip(NEXT) | instid1(VALU_DEP_1)
	v_clz_i32_u32_e32 v1, v2
	v_min_u32_e32 v1, 32, v1
	s_delay_alu instid0(VALU_DEP_1) | instskip(NEXT) | instid1(VALU_DEP_1)
	v_subrev_nc_u32_e32 v9, 28, v1
	v_lshlrev_b64_e32 v[10:11], v9, v[2:3]
	s_delay_alu instid0(VALU_DEP_1)
	v_dual_sub_nc_u32 v1, 29, v1 :: v_dual_bitop2_b32 v2, 7, v10 bitop3:0x40
; %bb.438:                              ;   in Loop: Header=BB337_9 Depth=1
	s_or_b32 exec_lo, exec_lo, s30
	s_delay_alu instid0(VALU_DEP_1) | instskip(NEXT) | instid1(VALU_DEP_2)
	v_dual_lshlrev_b32 v9, 16, v28 :: v_dual_lshlrev_b32 v2, 20, v2
	v_lshl_add_u32 v1, v1, 23, 0x3c000000
	s_delay_alu instid0(VALU_DEP_2) | instskip(NEXT) | instid1(VALU_DEP_1)
	v_and_b32_e32 v9, 0x80000000, v9
	v_or3_b32 v9, v2, v9, v1
.LBB337_439:                            ;   in Loop: Header=BB337_9 Depth=1
	s_or_b32 exec_lo, exec_lo, s29
.LBB337_440:                            ;   in Loop: Header=BB337_9 Depth=1
	s_delay_alu instid0(SALU_CYCLE_1)
	s_or_b32 exec_lo, exec_lo, s28
.LBB337_441:                            ;   in Loop: Header=BB337_9 Depth=1
	s_delay_alu instid0(SALU_CYCLE_1) | instskip(SKIP_4) | instid1(VALU_DEP_2)
	s_or_b32 exec_lo, exec_lo, s27
	v_dual_mov_b32 v20, 0 :: v_dual_lshrrev_b32 v1, 16, v28
	v_mov_b32_e32 v29, 0
	s_mov_b32 s27, exec_lo
	s_wait_dscnt 0x0
	v_and_b32_e32 v2, 0xff, v1
	s_delay_alu instid0(VALU_DEP_1)
	v_cmpx_ne_u16_e32 0, v2
	s_cbranch_execz .LBB337_449
; %bb.442:                              ;   in Loop: Header=BB337_9 Depth=1
	v_bfrev_b32_e32 v29, 1
	s_mov_b32 s28, exec_lo
	v_cmpx_ne_u16_e32 0x80, v2
	s_cbranch_execz .LBB337_448
; %bb.443:                              ;   in Loop: Header=BB337_9 Depth=1
	v_bfe_u32 v17, v28, 16, 7
	v_mov_b32_e32 v29, 0x7f800001
	s_mov_b32 s29, exec_lo
	s_delay_alu instid0(VALU_DEP_2)
	v_cmpx_ne_u32_e32 0x7f, v17
	s_cbranch_execz .LBB337_447
; %bb.444:                              ;   in Loop: Header=BB337_9 Depth=1
	v_and_b32_e32 v2, 7, v1
	v_lshrrev_b32_e32 v29, 3, v17
	s_mov_b32 s30, exec_lo
	v_cmpx_gt_u32_e32 8, v17
; %bb.445:                              ;   in Loop: Header=BB337_9 Depth=1
	s_delay_alu instid0(VALU_DEP_3) | instskip(NEXT) | instid1(VALU_DEP_1)
	v_clz_i32_u32_e32 v10, v2
	v_min_u32_e32 v17, 32, v10
	s_delay_alu instid0(VALU_DEP_1) | instskip(NEXT) | instid1(VALU_DEP_1)
	v_subrev_nc_u32_e32 v10, 28, v17
	v_lshlrev_b64_e32 v[10:11], v10, v[2:3]
	s_delay_alu instid0(VALU_DEP_1)
	v_dual_sub_nc_u32 v29, 29, v17 :: v_dual_bitop2_b32 v2, 7, v10 bitop3:0x40
; %bb.446:                              ;   in Loop: Header=BB337_9 Depth=1
	s_or_b32 exec_lo, exec_lo, s30
	s_delay_alu instid0(VALU_DEP_1) | instskip(NEXT) | instid1(VALU_DEP_2)
	v_dual_lshlrev_b32 v1, 24, v1 :: v_dual_lshlrev_b32 v2, 20, v2
	v_lshl_add_u32 v10, v29, 23, 0x3c000000
	s_delay_alu instid0(VALU_DEP_2) | instskip(NEXT) | instid1(VALU_DEP_1)
	v_and_b32_e32 v1, 0x80000000, v1
	v_or3_b32 v29, v2, v1, v10
.LBB337_447:                            ;   in Loop: Header=BB337_9 Depth=1
	s_or_b32 exec_lo, exec_lo, s29
.LBB337_448:                            ;   in Loop: Header=BB337_9 Depth=1
	s_delay_alu instid0(SALU_CYCLE_1)
	s_or_b32 exec_lo, exec_lo, s28
.LBB337_449:                            ;   in Loop: Header=BB337_9 Depth=1
	s_delay_alu instid0(SALU_CYCLE_1) | instskip(NEXT) | instid1(SALU_CYCLE_1)
	s_or_b32 exec_lo, exec_lo, s27
	s_mov_b32 s27, exec_lo
	v_cmpx_lt_u32_e32 0xffffff, v28
	s_cbranch_execz .LBB337_457
; %bb.450:                              ;   in Loop: Header=BB337_9 Depth=1
	v_lshrrev_b32_e32 v1, 24, v28
	v_bfrev_b32_e32 v20, 1
	s_mov_b32 s28, exec_lo
	s_delay_alu instid0(VALU_DEP_2)
	v_cmpx_ne_u32_e32 0x80, v1
	s_cbranch_execz .LBB337_456
; %bb.451:                              ;   in Loop: Header=BB337_9 Depth=1
	v_bfe_u32 v17, v28, 24, 7
	v_mov_b32_e32 v20, 0x7f800001
	s_mov_b32 s29, exec_lo
	s_delay_alu instid0(VALU_DEP_2)
	v_cmpx_ne_u32_e32 0x7f, v17
	s_cbranch_execz .LBB337_455
; %bb.452:                              ;   in Loop: Header=BB337_9 Depth=1
	v_and_b32_e32 v2, 7, v1
	v_lshrrev_b32_e32 v20, 3, v17
	s_mov_b32 s30, exec_lo
	v_cmpx_gt_u32_e32 8, v17
; %bb.453:                              ;   in Loop: Header=BB337_9 Depth=1
	s_delay_alu instid0(VALU_DEP_3) | instskip(NEXT) | instid1(VALU_DEP_1)
	v_clz_i32_u32_e32 v10, v2
	v_min_u32_e32 v17, 32, v10
	s_delay_alu instid0(VALU_DEP_1) | instskip(NEXT) | instid1(VALU_DEP_1)
	v_subrev_nc_u32_e32 v10, 28, v17
	v_lshlrev_b64_e32 v[10:11], v10, v[2:3]
	s_delay_alu instid0(VALU_DEP_1)
	v_dual_sub_nc_u32 v20, 29, v17 :: v_dual_bitop2_b32 v2, 7, v10 bitop3:0x40
; %bb.454:                              ;   in Loop: Header=BB337_9 Depth=1
	s_or_b32 exec_lo, exec_lo, s30
	s_delay_alu instid0(VALU_DEP_1) | instskip(NEXT) | instid1(VALU_DEP_2)
	v_dual_lshlrev_b32 v1, 24, v1 :: v_dual_lshlrev_b32 v2, 20, v2
	v_lshl_add_u32 v10, v20, 23, 0x3c000000
	s_delay_alu instid0(VALU_DEP_2) | instskip(NEXT) | instid1(VALU_DEP_1)
	v_and_b32_e32 v1, 0x80000000, v1
	v_or3_b32 v20, v2, v1, v10
.LBB337_455:                            ;   in Loop: Header=BB337_9 Depth=1
	s_or_b32 exec_lo, exec_lo, s29
.LBB337_456:                            ;   in Loop: Header=BB337_9 Depth=1
	s_delay_alu instid0(SALU_CYCLE_1)
	s_or_b32 exec_lo, exec_lo, s28
.LBB337_457:                            ;   in Loop: Header=BB337_9 Depth=1
	s_delay_alu instid0(SALU_CYCLE_1)
	s_or_b32 exec_lo, exec_lo, s27
	s_wait_kmcnt 0x0
	v_fma_mixlo_bf16 v28, s5, v121, 0
	scratch_load_b32 v121, off, off         ; 4-byte Folded Reload
	v_fma_mixlo_bf16 v81, s5, v81, 0
	v_fma_mixlo_bf16 v80, s5, v80, 0
	;; [unrolled: 1-line block ×5, first 2 shown]
	s_delay_alu instid0(VALU_DEP_4) | instskip(SKIP_3) | instid1(VALU_DEP_4)
	v_dual_lshlrev_b32 v81, 16, v81 :: v_dual_lshlrev_b32 v80, 16, v80
	v_fma_mixlo_bf16 v76, s5, v76, 0
	v_lshlrev_b32_e32 v83, 16, v83
	v_fma_mixlo_bf16 v85, s5, v85, 0
	v_dual_mul_f32 v81, v15, v81 :: v_dual_mul_f32 v80, v16, v80
	v_lshlrev_b32_e32 v82, 16, v82
	v_fma_mixlo_bf16 v84, s5, v84, 0
	v_fma_mixlo_bf16 v79, s5, v79, 0
	v_mul_f32_e32 v83, v18, v83
	v_fma_mix_f32_bf16 v77, v12, v77, v80 op_sel_hi:[0,1,0]
	v_fma_mixlo_bf16 v89, s5, v89, 0
	v_fma_mixlo_bf16 v88, s5, v88, 0
	;; [unrolled: 1-line block ×4, first 2 shown]
	v_mul_f32_e32 v80, v19, v82
	v_fma_mix_f32_bf16 v79, v13, v79, v83 op_sel_hi:[0,1,0]
	v_fma_mix_f32_bf16 v77, v22, v85, v77 op_sel_hi:[0,1,0]
	v_fma_mixlo_bf16 v93, s5, v93, 0
	v_fma_mixlo_bf16 v92, s5, v92, 0
	;; [unrolled: 1-line block ×3, first 2 shown]
	v_fma_mix_f32_bf16 v78, v14, v78, v80 op_sel_hi:[0,1,0]
	v_fma_mix_f32_bf16 v79, v23, v87, v79 op_sel_hi:[0,1,0]
	;; [unrolled: 1-line block ×3, first 2 shown]
	v_fma_mixlo_bf16 v97, s5, v97, 0
	v_fma_mixlo_bf16 v96, s5, v96, 0
	;; [unrolled: 1-line block ×4, first 2 shown]
	v_fma_mix_f32_bf16 v79, v27, v91, v79 op_sel_hi:[0,1,0]
	v_fma_mix_f32_bf16 v77, v32, v93, v77 op_sel_hi:[0,1,0]
	v_fma_mixlo_bf16 v101, s5, v101, 0
	v_fma_mixlo_bf16 v100, s5, v100, 0
	v_fma_mixlo_bf16 v99, s5, v99, 0
	v_fma_mix_f32_bf16 v79, v33, v95, v79 op_sel_hi:[0,1,0]
	v_fma_mix_f32_bf16 v77, v36, v97, v77 op_sel_hi:[0,1,0]
	v_fma_mixlo_bf16 v105, s5, v105, 0
	v_fma_mixlo_bf16 v104, s5, v104, 0
	v_fma_mixlo_bf16 v103, s5, v103, 0
	;; [unrolled: 5-line block ×8, first 2 shown]
	v_fma_mix_f32_bf16 v17, v61, v17, v79 op_sel_hi:[0,1,0]
	v_fma_mix_f32_bf16 v10, v64, v10, v28 op_sel_hi:[0,1,0]
	v_fma_mixlo_bf16 v9, s5, v126, 0
	v_fma_mixlo_bf16 v28, s5, v29, 0
	s_delay_alu instid0(VALU_DEP_4) | instskip(NEXT) | instid1(VALU_DEP_4)
	v_fma_mix_f32_bf16 v8, v65, v8, v17 op_sel_hi:[0,1,0]
	v_fma_mix_f32_bf16 v1, v68, v1, v10 op_sel_hi:[0,1,0]
	v_fma_mixlo_bf16 v10, s5, v20, 0
	s_delay_alu instid0(VALU_DEP_3) | instskip(SKIP_3) | instid1(VALU_DEP_2)
	v_fma_mix_f32_bf16 v8, v69, v28, v8 op_sel_hi:[0,1,0]
	s_wait_loadcnt 0x0
	v_fma_mix_f32_bf16 v76, v121, v76, v81 op_sel_hi:[0,1,0]
	v_fma_mixlo_bf16 v81, s5, v86, 0
	v_fma_mix_f32_bf16 v76, v21, v84, v76 op_sel_hi:[0,1,0]
	s_delay_alu instid0(VALU_DEP_2) | instskip(SKIP_1) | instid1(VALU_DEP_3)
	v_fma_mix_f32_bf16 v78, v24, v81, v78 op_sel_hi:[0,1,0]
	v_fma_mixlo_bf16 v81, s5, v94, 0
	v_fma_mix_f32_bf16 v76, v25, v88, v76 op_sel_hi:[0,1,0]
	s_delay_alu instid0(VALU_DEP_3) | instskip(SKIP_1) | instid1(VALU_DEP_3)
	v_fma_mix_f32_bf16 v78, v30, v80, v78 op_sel_hi:[0,1,0]
	v_fma_mixlo_bf16 v80, s5, v98, 0
	v_fma_mix_f32_bf16 v76, v31, v92, v76 op_sel_hi:[0,1,0]
	s_delay_alu instid0(VALU_DEP_3) | instskip(SKIP_1) | instid1(VALU_DEP_3)
	v_fma_mix_f32_bf16 v78, v34, v81, v78 op_sel_hi:[0,1,0]
	v_fma_mixlo_bf16 v81, s5, v102, 0
	v_fma_mix_f32_bf16 v76, v35, v96, v76 op_sel_hi:[0,1,0]
	s_delay_alu instid0(VALU_DEP_3) | instskip(SKIP_1) | instid1(VALU_DEP_3)
	v_fma_mix_f32_bf16 v78, v38, v80, v78 op_sel_hi:[0,1,0]
	v_fma_mixlo_bf16 v80, s5, v106, 0
	v_fma_mix_f32_bf16 v76, v39, v100, v76 op_sel_hi:[0,1,0]
	s_delay_alu instid0(VALU_DEP_3) | instskip(SKIP_1) | instid1(VALU_DEP_3)
	v_fma_mix_f32_bf16 v78, v42, v81, v78 op_sel_hi:[0,1,0]
	v_fma_mixlo_bf16 v81, s5, v110, 0
	v_fma_mix_f32_bf16 v76, v43, v104, v76 op_sel_hi:[0,1,0]
	s_delay_alu instid0(VALU_DEP_3) | instskip(SKIP_1) | instid1(VALU_DEP_3)
	v_fma_mix_f32_bf16 v78, v46, v80, v78 op_sel_hi:[0,1,0]
	v_fma_mixlo_bf16 v80, s5, v114, 0
	v_fma_mix_f32_bf16 v76, v47, v108, v76 op_sel_hi:[0,1,0]
	s_delay_alu instid0(VALU_DEP_3) | instskip(SKIP_1) | instid1(VALU_DEP_3)
	v_fma_mix_f32_bf16 v78, v50, v81, v78 op_sel_hi:[0,1,0]
	v_fma_mixlo_bf16 v81, s5, v118, 0
	v_fma_mix_f32_bf16 v76, v51, v112, v76 op_sel_hi:[0,1,0]
	s_delay_alu instid0(VALU_DEP_3) | instskip(NEXT) | instid1(VALU_DEP_2)
	v_fma_mix_f32_bf16 v78, v54, v80, v78 op_sel_hi:[0,1,0]
	v_fma_mix_f32_bf16 v76, v55, v116, v76 op_sel_hi:[0,1,0]
	s_delay_alu instid0(VALU_DEP_2) | instskip(NEXT) | instid1(VALU_DEP_2)
	v_fma_mix_f32_bf16 v78, v58, v81, v78 op_sel_hi:[0,1,0]
	v_fma_mix_f32_bf16 v76, v59, v120, v76 op_sel_hi:[0,1,0]
	s_delay_alu instid0(VALU_DEP_2) | instskip(NEXT) | instid1(VALU_DEP_2)
	;; [unrolled: 3-line block ×3, first 2 shown]
	v_fma_mix_f32_bf16 v9, v66, v9, v29 op_sel_hi:[0,1,0]
	v_fma_mix_f32_bf16 v2, v67, v2, v11 op_sel_hi:[0,1,0]
	s_delay_alu instid0(VALU_DEP_1) | instskip(NEXT) | instid1(VALU_DEP_3)
	v_add_f32_e32 v1, v2, v1
	v_fma_mix_f32_bf16 v2, v70, v10, v9 op_sel_hi:[0,1,0]
	s_delay_alu instid0(VALU_DEP_2) | instskip(NEXT) | instid1(VALU_DEP_1)
	v_add_f32_e32 v1, v1, v8
	v_add_f32_e32 v1, v1, v2
	ds_bpermute_b32 v2, v72, v1
	s_wait_xcnt 0x0
	s_and_saveexec_b32 s27, vcc_lo
	s_cbranch_execz .LBB337_8
; %bb.458:                              ;   in Loop: Header=BB337_9 Depth=1
	s_wait_dscnt 0x0
	v_dual_add_f32 v1, v1, v2 :: v_dual_add_nc_u32 v8, s26, v73
	v_cmp_gt_i32_e64 s4, s23, v73
	s_delay_alu instid0(VALU_DEP_2) | instskip(NEXT) | instid1(VALU_DEP_1)
	v_cvt_f32_i32_e32 v8, v8
	v_mul_f32_e32 v8, s18, v8
	s_delay_alu instid0(VALU_DEP_1) | instskip(NEXT) | instid1(VALU_DEP_1)
	v_dual_cndmask_b32 v2, 0, v8, s3 :: v_dual_max_num_f32 v8, v71, v71
	v_fmac_f32_e32 v2, s19, v1
	s_delay_alu instid0(VALU_DEP_1) | instskip(NEXT) | instid1(VALU_DEP_1)
	v_dual_max_num_f32 v1, v8, v2 :: v_dual_cndmask_b32 v2, 0, v2, s4
	v_cndmask_b32_e64 v71, v71, v1, s4
	ds_store_b32 v74, v2
	s_branch .LBB337_8
.LBB337_459:
	s_or_b32 exec_lo, exec_lo, s11
	s_clause 0x3
	scratch_load_b32 v28, off, off offset:8
	scratch_load_b32 v29, off, off offset:12
	;; [unrolled: 1-line block ×4, first 2 shown]
	v_mov_b32_e32 v11, 32
.LBB337_460:
	s_wait_xcnt 0x0
	s_or_b32 exec_lo, exec_lo, s24
	v_dual_max_num_f32 v6, v71, v71 :: v_dual_bitop2_b32 v1, 16, v0 bitop3:0x14
	s_wait_kmcnt 0x0
	s_clause 0x1
	s_load_b64 s[4:5], s[0:1], 0x0
	s_load_b64 s[18:19], s[0:1], 0x18
	s_wait_dscnt 0x0
	v_xor_b32_e32 v2, 8, v0
	v_xor_b32_e32 v7, 2, v0
	v_cmp_lt_i32_e32 vcc_lo, v1, v11
	s_wait_loadcnt 0x3
	v_dual_cndmask_b32 v1, v0, v1, vcc_lo :: v_dual_bitop2_b32 v30, 31, v28 bitop3:0x40
	v_cmp_lt_i32_e32 vcc_lo, v2, v11
	s_delay_alu instid0(VALU_DEP_2) | instskip(SKIP_3) | instid1(VALU_DEP_1)
	v_dual_lshlrev_b32 v4, 2, v1 :: v_dual_cndmask_b32 v2, v0, v2, vcc_lo
	ds_bpermute_b32 v1, v4, v71
	s_wait_dscnt 0x0
	v_dual_lshlrev_b32 v5, 2, v2 :: v_dual_max_num_f32 v1, v1, v1
	v_dual_max_num_f32 v1, v6, v1 :: v_dual_bitop2_b32 v6, 4, v0 bitop3:0x14
	ds_bpermute_b32 v2, v5, v1
	v_cmp_lt_i32_e32 vcc_lo, v6, v11
	v_cndmask_b32_e32 v6, v0, v6, vcc_lo
	v_cmp_lt_i32_e32 vcc_lo, v7, v11
	s_delay_alu instid0(VALU_DEP_2) | instskip(SKIP_3) | instid1(VALU_DEP_1)
	v_dual_cndmask_b32 v7, v0, v7 :: v_dual_lshlrev_b32 v6, 2, v6
	v_cmp_eq_u32_e32 vcc_lo, 0, v30
	s_wait_dscnt 0x0
	v_max_num_f32_e32 v2, v2, v2
	v_max_num_f32_e32 v1, v1, v2
	ds_bpermute_b32 v2, v6, v1
	s_wait_dscnt 0x0
	v_max_num_f32_e32 v2, v2, v2
	s_delay_alu instid0(VALU_DEP_1)
	v_dual_max_num_f32 v1, v1, v2 :: v_dual_lshlrev_b32 v2, 2, v7
	s_wait_loadcnt 0x1
	v_lshlrev_b32_e32 v7, 2, v75
	ds_bpermute_b32 v8, v2, v1
	s_wait_xcnt 0x0
	s_and_saveexec_b32 s0, vcc_lo
	s_cbranch_execz .LBB337_462
; %bb.461:
	s_wait_dscnt 0x0
	v_dual_max_num_f32 v8, v8, v8 :: v_dual_max_num_f32 v1, v1, v1
	s_delay_alu instid0(VALU_DEP_1)
	v_max_num_f32_e32 v1, v1, v8
	ds_store_b32 v7, v1 offset:224
.LBB337_462:
	s_or_b32 exec_lo, exec_lo, s0
	v_cmp_gt_u32_e64 s0, 4, v30
	s_wait_dscnt 0x0
	v_dual_mov_b32 v1, 0xff7fffff :: v_dual_lshlrev_b32 v8, 2, v30
	s_wait_loadcnt 0x0
	s_wait_storecnt 0x0
	s_barrier_signal -1
	s_barrier_wait -1
	s_and_saveexec_b32 s1, s0
; %bb.463:
	ds_load_b32 v1, v8 offset:224
; %bb.464:
	s_or_b32 exec_lo, exec_lo, s1
	s_wait_dscnt 0x0
	ds_bpermute_b32 v9, v2, v1
	v_dual_max_num_f32 v1, v1, v1 :: v_dual_bitop2_b32 v10, 1, v0 bitop3:0x14
	v_lshlrev_b32_e32 v3, 2, v3
	s_delay_alu instid0(VALU_DEP_2) | instskip(NEXT) | instid1(VALU_DEP_1)
	v_cmp_lt_i32_e64 s1, v10, v11
	v_cndmask_b32_e64 v10, v0, v10, s1
	s_lshl_b32 s1, s13, 4
	s_delay_alu instid0(SALU_CYCLE_1) | instskip(NEXT) | instid1(SALU_CYCLE_1)
	s_min_i32 s11, s1, s23
	v_cmp_gt_i32_e64 s1, s11, v28
	s_wait_dscnt 0x0
	v_dual_max_num_f32 v9, v9, v9 :: v_dual_lshlrev_b32 v31, 2, v10
	s_delay_alu instid0(VALU_DEP_1) | instskip(SKIP_3) | instid1(VALU_DEP_1)
	v_max_num_f32_e32 v1, v1, v9
	ds_bpermute_b32 v9, v31, v1
	s_wait_dscnt 0x0
	v_max_num_f32_e32 v9, v9, v9
	v_max_num_f32_e32 v1, v1, v9
	ds_bpermute_b32 v3, v3, v1
	v_mov_b32_e32 v1, 0
	s_and_saveexec_b32 s24, s1
	s_cbranch_execz .LBB337_468
; %bb.465:
	v_lshl_add_u32 v9, v28, 2, 0x100
	v_dual_mov_b32 v1, 0 :: v_dual_mov_b32 v11, v28
	s_mov_b32 s25, 0
.LBB337_466:                            ; =>This Inner Loop Header: Depth=1
	ds_load_b32 v10, v9
	v_add_nc_u32_e32 v11, 0x80, v11
	s_delay_alu instid0(VALU_DEP_1) | instskip(SKIP_3) | instid1(VALU_DEP_1)
	v_cmp_le_i32_e64 s3, s11, v11
	s_or_b32 s25, s3, s25
	s_wait_dscnt 0x0
	v_sub_f32_e32 v10, v10, v3
	v_mul_f32_e32 v10, 0x3fb8aa3b, v10
	s_delay_alu instid0(VALU_DEP_1)
	v_exp_f32_e32 v10, v10
	ds_store_b32 v9, v10
	v_nop
	v_add_f32_e32 v1, v1, v10
	v_add_nc_u32_e32 v9, 0x200, v9
	s_and_not1_b32 exec_lo, exec_lo, s25
	s_cbranch_execnz .LBB337_466
; %bb.467:
	s_or_b32 exec_lo, exec_lo, s25
.LBB337_468:
	s_delay_alu instid0(SALU_CYCLE_1)
	s_or_b32 exec_lo, exec_lo, s24
	s_wait_dscnt 0x0
	ds_bpermute_b32 v3, v4, v1
	s_wait_dscnt 0x0
	v_add_f32_e32 v1, v1, v3
	ds_bpermute_b32 v3, v5, v1
	s_wait_dscnt 0x0
	v_add_f32_e32 v1, v1, v3
	;; [unrolled: 3-line block ×5, first 2 shown]
	s_and_saveexec_b32 s3, vcc_lo
; %bb.469:
	ds_store_b32 v7, v1 offset:240
; %bb.470:
	s_or_b32 exec_lo, exec_lo, s3
	s_wait_dscnt 0x0
	s_barrier_signal -1
	s_barrier_wait -1
	s_and_saveexec_b32 s3, s0
; %bb.471:
	ds_load_b32 v1, v8 offset:240
; %bb.472:
	s_or_b32 exec_lo, exec_lo, s3
	s_wait_dscnt 0x0
	ds_bpermute_b32 v2, v2, v1
	v_lshlrev_b32_e32 v0, 2, v0
	s_delay_alu instid0(VALU_DEP_1)
	v_and_b32_e32 v0, 0xffffff80, v0
	s_wait_dscnt 0x0
	v_add_f32_e32 v1, v1, v2
	ds_bpermute_b32 v2, v31, v1
	s_wait_dscnt 0x0
	v_add_f32_e32 v1, v1, v2
	ds_bpermute_b32 v1, v0, v1
	s_and_saveexec_b32 s0, s1
	s_cbranch_execz .LBB337_485
; %bb.473:
	s_wait_dscnt 0x0
	v_add_f32_e32 v0, 0x358637bd, v1
	s_mov_b32 s3, -1
	s_mov_b32 s1, exec_lo
	s_delay_alu instid0(VALU_DEP_1) | instskip(SKIP_1) | instid1(VALU_DEP_2)
	v_div_scale_f32 v1, null, v0, v0, 1.0
	v_div_scale_f32 v4, vcc_lo, 1.0, v0, 1.0
	v_rcp_f32_e32 v2, v1
	v_nop
	s_delay_alu instid0(TRANS32_DEP_1) | instskip(NEXT) | instid1(VALU_DEP_1)
	v_fma_f32 v3, -v1, v2, 1.0
	v_fmac_f32_e32 v2, v3, v2
	s_delay_alu instid0(VALU_DEP_1) | instskip(NEXT) | instid1(VALU_DEP_1)
	v_mul_f32_e32 v5, v4, v2
	v_fma_f32 v3, -v1, v5, v4
	s_delay_alu instid0(VALU_DEP_1) | instskip(SKIP_1) | instid1(VALU_DEP_2)
	v_fmac_f32_e32 v5, v3, v2
	v_xad_u32 v3, v28, -1, s11
	v_fma_f32 v1, -v1, v5, v4
	s_delay_alu instid0(VALU_DEP_1) | instskip(NEXT) | instid1(VALU_DEP_1)
	v_div_fmas_f32 v1, v1, v2, v5
	v_div_fixup_f32 v2, v1, v0, 1.0
	v_mov_b32_e32 v1, v28
	v_cmpx_lt_u32_e32 0x7f, v3
	s_cbranch_execz .LBB337_482
; %bb.474:
	v_lshrrev_b32_e32 v4, 7, v3
	s_mov_b32 s3, exec_lo
	v_dual_mov_b32 v3, v2 :: v_dual_mov_b32 v8, 0
	s_delay_alu instid0(VALU_DEP_2) | instskip(NEXT) | instid1(VALU_DEP_1)
	v_add_nc_u32_e32 v0, -1, v4
	v_lshrrev_b32_e32 v1, 1, v0
	s_delay_alu instid0(VALU_DEP_1)
	v_add_nc_u32_e32 v5, 1, v1
	v_cmpx_lt_u32_e32 13, v0
	s_cbranch_execz .LBB337_478
; %bb.475:
	s_delay_alu instid0(VALU_DEP_2)
	v_and_b32_e32 v6, -8, v5
	v_lshl_add_u32 v7, v28, 2, 0x100
	s_mov_b32 s24, 0
	s_mov_b32 s25, 0
.LBB337_476:                            ; =>This Inner Loop Header: Depth=1
	ds_load_2addr_stride64_b32 v[0:1], v7 offset1:2
	ds_load_2addr_stride64_b32 v[8:9], v7 offset0:4 offset1:6
	ds_load_2addr_stride64_b32 v[10:11], v7 offset0:8 offset1:10
	;; [unrolled: 1-line block ×7, first 2 shown]
	s_add_co_i32 s25, s25, 16
	v_add_nc_u32_e32 v6, -8, v6
	s_wait_dscnt 0x7
	v_pk_mul_f32 v[0:1], v[2:3], v[0:1]
	s_wait_dscnt 0x6
	v_pk_mul_f32 v[8:9], v[2:3], v[8:9]
	;; [unrolled: 2-line block ×8, first 2 shown]
	ds_store_2addr_stride64_b32 v7, v0, v1 offset1:2
	ds_store_2addr_stride64_b32 v7, v8, v9 offset0:4 offset1:6
	ds_store_2addr_stride64_b32 v7, v10, v11 offset0:8 offset1:10
	;; [unrolled: 1-line block ×7, first 2 shown]
	v_mov_b32_e32 v8, s25
	v_cmp_eq_u32_e32 vcc_lo, 0, v6
	v_add_nc_u32_e32 v7, 0x2000, v7
	s_or_b32 s24, vcc_lo, s24
	s_delay_alu instid0(SALU_CYCLE_1)
	s_and_not1_b32 exec_lo, exec_lo, s24
	s_cbranch_execnz .LBB337_476
; %bb.477:
	s_or_b32 exec_lo, exec_lo, s24
.LBB337_478:
	s_delay_alu instid0(SALU_CYCLE_1) | instskip(NEXT) | instid1(VALU_DEP_2)
	s_or_b32 exec_lo, exec_lo, s3
	v_and_b32_e32 v1, 7, v5
	s_mov_b32 s24, 0
	s_mov_b32 s3, exec_lo
	s_delay_alu instid0(VALU_DEP_1)
	v_cmpx_ne_u32_e32 0, v1
	s_cbranch_execz .LBB337_481
; %bb.479:
	v_lshlrev_b32_e32 v0, 9, v8
	v_lshlrev_b32_e32 v5, 2, v28
	s_delay_alu instid0(VALU_DEP_1)
	v_add3_u32 v5, v0, v5, 0x100
.LBB337_480:                            ; =>This Inner Loop Header: Depth=1
	ds_load_2addr_stride64_b32 v[6:7], v5 offset1:2
	v_add_nc_u32_e32 v1, -1, v1
	s_delay_alu instid0(VALU_DEP_1)
	v_cmp_eq_u32_e32 vcc_lo, 0, v1
	s_or_b32 s24, vcc_lo, s24
	s_wait_dscnt 0x0
	v_pk_mul_f32 v[6:7], v[2:3], v[6:7]
	ds_store_2addr_stride64_b32 v5, v6, v7 offset1:2
	v_add_nc_u32_e32 v5, 0x400, v5
	s_and_not1_b32 exec_lo, exec_lo, s24
	s_cbranch_execnz .LBB337_480
.LBB337_481:
	s_or_b32 exec_lo, exec_lo, s3
	v_add_nc_u32_e32 v0, 1, v4
	s_delay_alu instid0(VALU_DEP_1) | instskip(NEXT) | instid1(VALU_DEP_1)
	v_and_b32_e32 v1, 0x3fffffe, v0
	v_cmp_ne_u32_e32 vcc_lo, v0, v1
	v_lshl_add_u32 v1, v1, 7, v28
	s_or_not1_b32 s3, vcc_lo, exec_lo
.LBB337_482:
	s_or_b32 exec_lo, exec_lo, s1
	s_delay_alu instid0(SALU_CYCLE_1)
	s_and_b32 exec_lo, exec_lo, s3
	s_cbranch_execz .LBB337_485
; %bb.483:
	v_lshl_add_u32 v3, v1, 2, 0x100
	s_mov_b32 s1, 0
.LBB337_484:                            ; =>This Inner Loop Header: Depth=1
	ds_load_b32 v0, v3
	s_wait_dscnt 0x0
	v_dual_mul_f32 v0, v2, v0 :: v_dual_add_nc_u32 v1, 0x80, v1
	s_delay_alu instid0(VALU_DEP_1) | instskip(SKIP_3) | instid1(SALU_CYCLE_1)
	v_cmp_le_i32_e32 vcc_lo, s11, v1
	ds_store_b32 v3, v0
	v_add_nc_u32_e32 v3, 0x200, v3
	s_or_b32 s1, vcc_lo, s1
	s_and_not1_b32 exec_lo, exec_lo, s1
	s_cbranch_execnz .LBB337_484
.LBB337_485:
	s_or_b32 exec_lo, exec_lo, s0
	v_dual_mov_b32 v11, 0 :: v_dual_mov_b32 v10, 0
	v_dual_mov_b32 v13, 0 :: v_dual_mov_b32 v12, 0
	;; [unrolled: 1-line block ×3, first 2 shown]
	v_mov_b32_e32 v32, 0
	s_wait_dscnt 0x0
	s_barrier_signal -1
	s_barrier_wait -1
	s_and_saveexec_b32 s1, s2
	s_cbranch_execz .LBB337_923
; %bb.486:
	v_dual_mov_b32 v96, v28 :: v_dual_lshlrev_b32 v0, 3, v28
	s_load_b32 s6, s[6:7], 0x0
	v_dual_mov_b32 v17, 0 :: v_dual_mov_b32 v97, v29
	s_ashr_i32 s11, s10, 31
	s_delay_alu instid0(VALU_DEP_2)
	v_and_b32_e32 v16, 0xf8, v0
	v_dual_lshlrev_b32 v1, 5, v29 :: v_dual_lshlrev_b32 v2, 4, v75
	s_wait_kmcnt 0x0
	s_add_nc_u64 s[2:3], s[18:19], s[10:11]
	v_dual_mov_b32 v32, 0 :: v_dual_bitop2_b32 v0, 8, v0 bitop3:0x40
	v_add_nc_u64_e32 v[18:19], s[2:3], v[16:17]
	v_and_b32_e32 v16, 0x7c, v74
	s_lshl_b64 s[2:3], s[14:15], 2
	v_lshl_or_b32 v1, v75, 6, v1
	s_add_nc_u64 s[2:3], s[16:17], s[2:3]
	v_or3_b32 v33, v2, v0, 7
	v_add_nc_u64_e32 v[20:21], s[2:3], v[16:17]
	s_delay_alu instid0(VALU_DEP_3)
	v_dual_mov_b32 v11, 0 :: v_dual_add_nc_u32 v34, 0x100, v1
	v_dual_mov_b32 v10, 0 :: v_dual_mov_b32 v13, 0
	v_dual_mov_b32 v12, 0 :: v_dual_mov_b32 v15, 0
	;; [unrolled: 1-line block ×3, first 2 shown]
	v_mov_b32_e32 v35, v75
	s_mov_b64 s[2:3], 0xffffffffffffff
	s_mov_b32 s7, s9
	s_add_co_i32 s10, s13, -1
	s_mov_b32 s9, 0
	s_branch .LBB337_488
.LBB337_487:                            ;   in Loop: Header=BB337_488 Depth=1
	s_or_b32 exec_lo, exec_lo, s0
	s_wait_dscnt 0x1
	v_cvt_pk_bf16_f32 v0, v6, v7
	v_perm_b32 v1, v87, v88, 0x5040100
	v_cvt_pk_bf16_f32 v6, v8, v9
	v_perm_b32 v7, v85, v86, 0x5040100
	s_wait_dscnt 0x0
	v_cvt_pk_bf16_f32 v2, v2, v3
	v_perm_b32 v3, v83, v84, 0x5040100
	v_pk_mul_bf16 v1, v0, v1
	v_cvt_pk_bf16_f32 v4, v4, v5
	v_pk_mul_bf16 v7, v6, v7
	v_perm_b32 v5, v27, v26, 0x5040100
	v_pk_mul_bf16 v3, v2, v3
	v_lshlrev_b32_e32 v8, 16, v1
	v_and_b32_e32 v1, 0xffff0000, v1
	v_lshlrev_b32_e32 v9, 16, v7
	v_and_b32_e32 v7, 0xffff0000, v7
	v_pk_mul_bf16 v5, v4, v5
	v_perm_b32 v26, v71, v72, 0x5040100
	v_add_f32_e32 v1, v8, v1
	v_add_nc_u64_e32 v[20:21], 16, v[20:21]
	v_add_f32_e32 v7, v9, v7
	v_lshlrev_b32_e32 v8, 16, v3
	v_and_b32_e32 v3, 0xffff0000, v3
	v_add_nc_u32_e32 v34, 0x100, v34
	s_delay_alu instid0(VALU_DEP_4) | instskip(NEXT) | instid1(VALU_DEP_3)
	v_dual_add_nc_u32 v35, 4, v35 :: v_dual_add_f32 v1, v7, v1
	v_dual_lshlrev_b32 v7, 16, v5 :: v_dual_add_f32 v3, v8, v3
	v_and_b32_e32 v5, 0xffff0000, v5
	v_perm_b32 v8, v81, v82, 0x5040100
	s_delay_alu instid0(VALU_DEP_4) | instskip(SKIP_1) | instid1(VALU_DEP_4)
	v_cmp_le_i32_e32 vcc_lo, s13, v35
	v_add_nc_u32_e32 v33, 64, v33
	v_add_f32_e32 v5, v7, v5
	s_delay_alu instid0(VALU_DEP_4) | instskip(SKIP_3) | instid1(VALU_DEP_3)
	v_pk_mul_bf16 v7, v0, v8
	v_add_f32_e32 v1, v3, v1
	v_perm_b32 v3, v79, v80, 0x5040100
	s_or_b32 s9, vcc_lo, s9
	v_lshlrev_b32_e32 v8, 16, v7
	v_and_b32_e32 v7, 0xffff0000, v7
	s_delay_alu instid0(VALU_DEP_3) | instskip(NEXT) | instid1(VALU_DEP_2)
	v_pk_mul_bf16 v3, v6, v3
	v_add_f32_e32 v7, v8, v7
	s_delay_alu instid0(VALU_DEP_2) | instskip(SKIP_2) | instid1(VALU_DEP_3)
	v_dual_lshlrev_b32 v9, 16, v3 :: v_dual_add_f32 v1, v5, v1
	v_perm_b32 v5, v77, v78, 0x5040100
	v_and_b32_e32 v3, 0xffff0000, v3
	v_add_f32_e32 v11, v11, v1
	s_delay_alu instid0(VALU_DEP_3) | instskip(SKIP_1) | instid1(VALU_DEP_4)
	v_pk_mul_bf16 v5, v2, v5
	v_perm_b32 v1, v76, v75, 0x5040100
	v_add_f32_e32 v3, v9, v3
	v_perm_b32 v9, v73, v74, 0x5040100
	s_delay_alu instid0(VALU_DEP_4)
	v_lshlrev_b32_e32 v8, 16, v5
	v_and_b32_e32 v5, 0xffff0000, v5
	v_pk_mul_bf16 v1, v4, v1
	v_add_f32_e32 v3, v3, v7
	v_pk_mul_bf16 v7, v0, v9
	v_pk_mul_bf16 v9, v6, v26
	v_add_f32_e32 v5, v8, v5
	v_perm_b32 v26, v69, v70, 0x5040100
	s_delay_alu instid0(VALU_DEP_4) | instskip(NEXT) | instid1(VALU_DEP_3)
	v_dual_lshlrev_b32 v27, 16, v7 :: v_dual_lshlrev_b32 v8, 16, v1
	v_add_f32_e32 v3, v5, v3
	v_and_b32_e32 v1, 0xffff0000, v1
	v_and_b32_e32 v7, 0xffff0000, v7
	v_lshlrev_b32_e32 v28, 16, v9
	v_and_b32_e32 v9, 0xffff0000, v9
	v_pk_mul_bf16 v26, v2, v26
	s_delay_alu instid0(VALU_DEP_4) | instskip(NEXT) | instid1(VALU_DEP_2)
	v_dual_add_f32 v1, v8, v1 :: v_dual_add_f32 v5, v27, v7
	v_dual_add_f32 v7, v28, v9 :: v_dual_lshlrev_b32 v8, 16, v26
	s_delay_alu instid0(VALU_DEP_2) | instskip(SKIP_3) | instid1(VALU_DEP_4)
	v_add_f32_e32 v1, v1, v3
	v_and_b32_e32 v9, 0xffff0000, v26
	v_perm_b32 v3, v68, v67, 0x5040100
	v_perm_b32 v28, v60, v59, 0x5040100
	v_add_f32_e32 v10, v10, v1
	s_delay_alu instid0(VALU_DEP_4) | instskip(SKIP_4) | instid1(VALU_DEP_1)
	v_add_f32_e32 v8, v8, v9
	v_perm_b32 v9, v63, v64, 0x5040100
	v_pk_mul_bf16 v3, v4, v3
	v_add_f32_e32 v5, v7, v5
	v_perm_b32 v7, v65, v66, 0x5040100
	v_pk_mul_bf16 v1, v0, v7
	v_pk_mul_bf16 v7, v6, v9
	v_perm_b32 v9, v61, v62, 0x5040100
	s_delay_alu instid0(VALU_DEP_3) | instskip(SKIP_1) | instid1(VALU_DEP_4)
	v_lshlrev_b32_e32 v26, 16, v1
	v_and_b32_e32 v1, 0xffff0000, v1
	v_lshlrev_b32_e32 v27, 16, v7
	v_and_b32_e32 v7, 0xffff0000, v7
	v_dual_add_f32 v5, v8, v5 :: v_dual_lshlrev_b32 v8, 16, v3
	v_pk_mul_bf16 v9, v2, v9
	v_and_b32_e32 v3, 0xffff0000, v3
	s_delay_alu instid0(VALU_DEP_4) | instskip(NEXT) | instid1(VALU_DEP_2)
	v_dual_add_f32 v1, v26, v1 :: v_dual_add_f32 v7, v27, v7
	v_add_f32_e32 v3, v8, v3
	v_pk_mul_bf16 v8, v4, v28
	v_lshlrev_b32_e32 v26, 16, v9
	v_and_b32_e32 v9, 0xffff0000, v9
	s_delay_alu instid0(VALU_DEP_3) | instskip(SKIP_1) | instid1(VALU_DEP_3)
	v_dual_add_f32 v28, v3, v5 :: v_dual_lshlrev_b32 v27, 16, v8
	v_and_b32_e32 v8, 0xffff0000, v8
	v_add_f32_e32 v9, v26, v9
	v_perm_b32 v26, v55, v56, 0x5040100
	s_delay_alu instid0(VALU_DEP_3) | instskip(SKIP_1) | instid1(VALU_DEP_3)
	v_add_f32_e32 v8, v27, v8
	v_perm_b32 v27, v54, v53, 0x5040100
	v_pk_mul_bf16 v3, v6, v26
	v_add_f32_e32 v1, v7, v1
	v_perm_b32 v7, v57, v58, 0x5040100
	v_perm_b32 v26, v51, v52, 0x5040100
	v_pk_mul_bf16 v27, v4, v27
	s_delay_alu instid0(VALU_DEP_4) | instskip(NEXT) | instid1(VALU_DEP_4)
	v_add_f32_e32 v9, v9, v1
	v_pk_mul_bf16 v7, v0, v7
	s_delay_alu instid0(VALU_DEP_4) | instskip(NEXT) | instid1(VALU_DEP_2)
	v_pk_mul_bf16 v26, v2, v26
	v_lshlrev_b32_e32 v1, 16, v7
	v_and_b32_e32 v5, 0xffff0000, v7
	v_lshlrev_b32_e32 v7, 16, v3
	v_and_b32_e32 v3, 0xffff0000, v3
	s_delay_alu instid0(VALU_DEP_3) | instskip(SKIP_1) | instid1(VALU_DEP_3)
	v_add_f32_e32 v1, v1, v5
	v_perm_b32 v5, v42, v43, 0x5040100
	v_add_f32_e32 v3, v7, v3
	v_perm_b32 v7, v40, v41, 0x5040100
	s_delay_alu instid0(VALU_DEP_3) | instskip(NEXT) | instid1(VALU_DEP_3)
	v_pk_mul_bf16 v5, v0, v5
	v_add_f32_e32 v29, v3, v1
	s_delay_alu instid0(VALU_DEP_3)
	v_pk_mul_bf16 v1, v6, v7
	v_lshlrev_b32_e32 v3, 16, v26
	v_and_b32_e32 v7, 0xffff0000, v26
	v_lshlrev_b32_e32 v26, 16, v5
	v_and_b32_e32 v5, 0xffff0000, v5
	;; [unrolled: 2-line block ×3, first 2 shown]
	v_add_f32_e32 v41, v3, v7
	v_perm_b32 v3, v36, v37, 0x5040100
	v_dual_add_f32 v5, v26, v5 :: v_dual_lshlrev_b32 v26, 16, v27
	v_perm_b32 v7, v39, v38, 0x5040100
	v_and_b32_e32 v27, 0xffff0000, v27
	s_delay_alu instid0(VALU_DEP_4) | instskip(SKIP_1) | instid1(VALU_DEP_4)
	v_pk_mul_bf16 v3, v2, v3
	v_add_f32_e32 v1, v40, v1
	v_pk_mul_bf16 v36, v4, v7
	v_perm_b32 v7, v16, v22, 0x5040100
	s_delay_alu instid0(VALU_DEP_3)
	v_dual_add_f32 v37, v1, v5 :: v_dual_lshlrev_b32 v38, 16, v3
	v_perm_b32 v1, v90, v89, 0x5040100
	v_perm_b32 v5, v24, v91, 0x5040100
	;; [unrolled: 1-line block ×3, first 2 shown]
	v_and_b32_e32 v22, 0xffff0000, v3
	v_and_b32_e32 v23, 0xffff0000, v36
	v_pk_mul_bf16 v0, v0, v1
	v_pk_mul_bf16 v5, v6, v5
	v_pk_mul_bf16 v6, v2, v7
	v_pk_mul_bf16 v16, v4, v16
	s_delay_alu instid0(VALU_DEP_4)
	v_and_b32_e32 v1, 0xffff0000, v0
	v_lshlrev_b32_e32 v3, 16, v0
	v_and_b32_e32 v0, 0xffff0000, v5
	v_dual_lshlrev_b32 v2, 16, v5 :: v_dual_lshlrev_b32 v7, 16, v6
	v_and_b32_e32 v5, 0xffff0000, v6
	v_and_b32_e32 v4, 0xffff0000, v16
	v_dual_lshlrev_b32 v6, 16, v16 :: v_dual_add_f32 v16, v38, v22
	s_delay_alu instid0(VALU_DEP_4) | instskip(SKIP_1) | instid1(VALU_DEP_3)
	v_pk_add_f32 v[0:1], v[2:3], v[0:1]
	v_lshlrev_b32_e32 v22, 16, v36
	v_pk_add_f32 v[2:3], v[6:7], v[4:5]
	s_delay_alu instid0(VALU_DEP_3) | instskip(SKIP_1) | instid1(VALU_DEP_4)
	v_dual_add_f32 v4, v26, v27 :: v_dual_add_f32 v0, v0, v1
	v_add_f32_e32 v1, v41, v29
	v_dual_add_f32 v5, v16, v37 :: v_dual_add_f32 v6, v22, v23
	v_add_f32_e32 v13, v13, v28
	s_delay_alu instid0(VALU_DEP_4) | instskip(NEXT) | instid1(VALU_DEP_4)
	v_dual_add_f32 v0, v3, v0 :: v_dual_add_f32 v3, v8, v9
	v_add_f32_e32 v1, v4, v1
	s_delay_alu instid0(VALU_DEP_4) | instskip(NEXT) | instid1(VALU_DEP_3)
	v_add_f32_e32 v4, v6, v5
	v_dual_add_f32 v0, v2, v0 :: v_dual_add_f32 v12, v12, v3
	s_delay_alu instid0(VALU_DEP_2) | instskip(NEXT) | instid1(VALU_DEP_2)
	v_dual_add_f32 v15, v15, v1 :: v_dual_add_f32 v14, v14, v4
	v_add_f32_e32 v32, v32, v0
	s_and_not1_b32 exec_lo, exec_lo, s9
	s_cbranch_execz .LBB337_922
.LBB337_488:                            ; =>This Inner Loop Header: Depth=1
	global_load_b32 v0, v[20:21], off
	v_mov_b32_e32 v38, 0
	s_mov_b32 s0, exec_lo
	s_wait_loadcnt 0x0
	v_mad_nc_i64_i32 v[22:23], v0, s7, v[18:19]
	global_load_b64 v[24:25], v[22:23], off
	ds_load_2addr_b64 v[6:9], v34 offset1:1
	ds_load_2addr_b64 v[2:5], v34 offset0:2 offset1:3
	s_wait_loadcnt 0x0
	v_and_b32_e32 v1, 0xff, v24
	s_delay_alu instid0(VALU_DEP_1)
	v_cmpx_ne_u16_e32 0, v1
	s_cbranch_execz .LBB337_494
; %bb.489:                              ;   in Loop: Header=BB337_488 Depth=1
	v_bfrev_b32_e32 v38, 1
	s_mov_b32 s11, exec_lo
	v_cmpx_ne_u16_e32 0x80, v1
	s_cbranch_execz .LBB337_493
; %bb.490:                              ;   in Loop: Header=BB337_488 Depth=1
	v_and_b32_e32 v1, 0x7f, v24
	v_mov_b32_e32 v38, 0x7f800001
	s_mov_b32 s14, exec_lo
	s_delay_alu instid0(VALU_DEP_2)
	v_cmpx_ne_u32_e32 0x7f, v1
	s_cbranch_execz .LBB337_492
; %bb.491:                              ;   in Loop: Header=BB337_488 Depth=1
	v_dual_lshrrev_b32 v16, 3, v1 :: v_dual_bitop2_b32 v0, 7, v24 bitop3:0x40
	v_cmp_gt_u32_e32 vcc_lo, 8, v1
	s_delay_alu instid0(VALU_DEP_2) | instskip(NEXT) | instid1(VALU_DEP_1)
	v_clz_i32_u32_e32 v0, v0
	v_min_u32_e32 v0, 32, v0
	s_delay_alu instid0(VALU_DEP_1) | instskip(SKIP_1) | instid1(VALU_DEP_1)
	v_subrev_nc_u32_e32 v26, 28, v0
	v_sub_nc_u32_e32 v0, 29, v0
	v_dual_cndmask_b32 v16, v16, v0, vcc_lo :: v_dual_cndmask_b32 v0, 0, v26, vcc_lo
	s_delay_alu instid0(VALU_DEP_1) | instskip(NEXT) | instid1(VALU_DEP_2)
	v_lshl_add_u32 v16, v16, 23, 0x3c000000
	v_lshlrev_b64_e32 v[0:1], v0, v[24:25]
	v_lshlrev_b32_e32 v1, 24, v24
	s_delay_alu instid0(VALU_DEP_1) | instskip(NEXT) | instid1(VALU_DEP_3)
	v_and_b32_e32 v1, 0x80000000, v1
	v_lshlrev_b32_e32 v0, 20, v0
	s_delay_alu instid0(VALU_DEP_1) | instskip(NEXT) | instid1(VALU_DEP_1)
	v_and_b32_e32 v0, 0x700000, v0
	v_or3_b32 v38, v0, v1, v16
.LBB337_492:                            ;   in Loop: Header=BB337_488 Depth=1
	s_or_b32 exec_lo, exec_lo, s14
.LBB337_493:                            ;   in Loop: Header=BB337_488 Depth=1
	s_delay_alu instid0(SALU_CYCLE_1)
	s_or_b32 exec_lo, exec_lo, s11
.LBB337_494:                            ;   in Loop: Header=BB337_488 Depth=1
	s_delay_alu instid0(SALU_CYCLE_1) | instskip(SKIP_3) | instid1(VALU_DEP_2)
	s_or_b32 exec_lo, exec_lo, s0
	v_lshrrev_b16 v1, 8, v24
	v_dual_mov_b32 v39, 0 :: v_dual_mov_b32 v42, 0
	s_mov_b32 s0, exec_lo
	v_cmpx_ne_u16_e32 0, v1
	s_cbranch_execz .LBB337_502
; %bb.495:                              ;   in Loop: Header=BB337_488 Depth=1
	v_bfrev_b32_e32 v42, 1
	s_mov_b32 s11, exec_lo
	v_cmpx_ne_u16_e32 0x80, v1
	s_cbranch_execz .LBB337_501
; %bb.496:                              ;   in Loop: Header=BB337_488 Depth=1
	v_and_b32_e32 v1, 0xffff, v1
	v_mov_b32_e32 v42, 0x7f800001
	s_mov_b32 s14, exec_lo
	s_delay_alu instid0(VALU_DEP_2) | instskip(NEXT) | instid1(VALU_DEP_1)
	v_and_b32_e32 v26, 0x7f, v1
	v_cmpx_ne_u32_e32 0x7f, v26
	s_cbranch_execz .LBB337_500
; %bb.497:                              ;   in Loop: Header=BB337_488 Depth=1
	v_dual_lshrrev_b32 v1, 3, v26 :: v_dual_bitop2_b32 v16, 7, v1 bitop3:0x40
	s_mov_b32 s15, exec_lo
	v_cmpx_gt_u32_e32 8, v26
; %bb.498:                              ;   in Loop: Header=BB337_488 Depth=1
	s_delay_alu instid0(VALU_DEP_2) | instskip(NEXT) | instid1(VALU_DEP_1)
	v_clz_i32_u32_e32 v0, v16
	v_min_u32_e32 v26, 32, v0
	s_delay_alu instid0(VALU_DEP_1) | instskip(NEXT) | instid1(VALU_DEP_1)
	v_subrev_nc_u32_e32 v0, 28, v26
	v_lshlrev_b64_e32 v[0:1], v0, v[16:17]
	s_delay_alu instid0(VALU_DEP_1)
	v_dual_sub_nc_u32 v1, 29, v26 :: v_dual_bitop2_b32 v16, 7, v0 bitop3:0x40
; %bb.499:                              ;   in Loop: Header=BB337_488 Depth=1
	s_or_b32 exec_lo, exec_lo, s15
	v_lshlrev_b32_e32 v0, 16, v24
	s_delay_alu instid0(VALU_DEP_2) | instskip(NEXT) | instid1(VALU_DEP_3)
	v_lshlrev_b32_e32 v16, 20, v16
	v_lshl_add_u32 v1, v1, 23, 0x3c000000
	s_delay_alu instid0(VALU_DEP_3) | instskip(NEXT) | instid1(VALU_DEP_1)
	v_and_b32_e32 v0, 0x80000000, v0
	v_or3_b32 v42, v16, v0, v1
.LBB337_500:                            ;   in Loop: Header=BB337_488 Depth=1
	s_or_b32 exec_lo, exec_lo, s14
.LBB337_501:                            ;   in Loop: Header=BB337_488 Depth=1
	s_delay_alu instid0(SALU_CYCLE_1)
	s_or_b32 exec_lo, exec_lo, s11
.LBB337_502:                            ;   in Loop: Header=BB337_488 Depth=1
	s_delay_alu instid0(SALU_CYCLE_1) | instskip(SKIP_2) | instid1(VALU_DEP_1)
	s_or_b32 exec_lo, exec_lo, s0
	v_lshrrev_b32_e32 v1, 16, v24
	s_mov_b32 s0, exec_lo
	v_and_b32_e32 v16, 0xff, v1
	s_delay_alu instid0(VALU_DEP_1)
	v_cmpx_ne_u16_e32 0, v16
	s_cbranch_execz .LBB337_510
; %bb.503:                              ;   in Loop: Header=BB337_488 Depth=1
	v_bfrev_b32_e32 v39, 1
	s_mov_b32 s11, exec_lo
	v_cmpx_ne_u16_e32 0x80, v16
	s_cbranch_execz .LBB337_509
; %bb.504:                              ;   in Loop: Header=BB337_488 Depth=1
	v_bfe_u32 v27, v24, 16, 7
	v_mov_b32_e32 v39, 0x7f800001
	s_mov_b32 s14, exec_lo
	s_delay_alu instid0(VALU_DEP_2)
	v_cmpx_ne_u32_e32 0x7f, v27
	s_cbranch_execz .LBB337_508
; %bb.505:                              ;   in Loop: Header=BB337_488 Depth=1
	v_dual_lshrrev_b32 v26, 3, v27 :: v_dual_bitop2_b32 v16, 7, v1 bitop3:0x40
	s_mov_b32 s15, exec_lo
	v_cmpx_gt_u32_e32 8, v27
; %bb.506:                              ;   in Loop: Header=BB337_488 Depth=1
	s_delay_alu instid0(VALU_DEP_2) | instskip(NEXT) | instid1(VALU_DEP_1)
	v_clz_i32_u32_e32 v0, v16
	v_min_u32_e32 v0, 32, v0
	s_delay_alu instid0(VALU_DEP_1) | instskip(NEXT) | instid1(VALU_DEP_1)
	v_subrev_nc_u32_e32 v26, 28, v0
	v_lshlrev_b64_e32 v[28:29], v26, v[16:17]
	v_sub_nc_u32_e32 v26, 29, v0
	s_delay_alu instid0(VALU_DEP_2)
	v_and_b32_e32 v16, 7, v28
; %bb.507:                              ;   in Loop: Header=BB337_488 Depth=1
	s_or_b32 exec_lo, exec_lo, s15
	s_delay_alu instid0(VALU_DEP_1) | instskip(NEXT) | instid1(VALU_DEP_3)
	v_dual_lshlrev_b32 v0, 24, v1 :: v_dual_lshlrev_b32 v1, 20, v16
	v_lshl_add_u32 v16, v26, 23, 0x3c000000
	s_delay_alu instid0(VALU_DEP_2) | instskip(NEXT) | instid1(VALU_DEP_1)
	v_and_b32_e32 v0, 0x80000000, v0
	v_or3_b32 v39, v1, v0, v16
.LBB337_508:                            ;   in Loop: Header=BB337_488 Depth=1
	s_or_b32 exec_lo, exec_lo, s14
.LBB337_509:                            ;   in Loop: Header=BB337_488 Depth=1
	s_delay_alu instid0(SALU_CYCLE_1)
	s_or_b32 exec_lo, exec_lo, s11
.LBB337_510:                            ;   in Loop: Header=BB337_488 Depth=1
	s_delay_alu instid0(SALU_CYCLE_1)
	s_or_b32 exec_lo, exec_lo, s0
	v_dual_mov_b32 v37, 0 :: v_dual_mov_b32 v40, 0
	s_mov_b32 s0, exec_lo
	v_cmpx_lt_u32_e32 0xffffff, v24
	s_cbranch_execz .LBB337_518
; %bb.511:                              ;   in Loop: Header=BB337_488 Depth=1
	v_lshrrev_b32_e32 v1, 24, v24
	v_bfrev_b32_e32 v40, 1
	s_mov_b32 s11, exec_lo
	s_delay_alu instid0(VALU_DEP_2)
	v_cmpx_ne_u32_e32 0x80, v1
	s_cbranch_execz .LBB337_517
; %bb.512:                              ;   in Loop: Header=BB337_488 Depth=1
	v_bfe_u32 v27, v24, 24, 7
	v_mov_b32_e32 v40, 0x7f800001
	s_mov_b32 s14, exec_lo
	s_delay_alu instid0(VALU_DEP_2)
	v_cmpx_ne_u32_e32 0x7f, v27
	s_cbranch_execz .LBB337_516
; %bb.513:                              ;   in Loop: Header=BB337_488 Depth=1
	v_dual_lshrrev_b32 v26, 3, v27 :: v_dual_bitop2_b32 v16, 7, v1 bitop3:0x40
	s_mov_b32 s15, exec_lo
	v_cmpx_gt_u32_e32 8, v27
; %bb.514:                              ;   in Loop: Header=BB337_488 Depth=1
	s_delay_alu instid0(VALU_DEP_2) | instskip(NEXT) | instid1(VALU_DEP_1)
	v_clz_i32_u32_e32 v0, v16
	v_min_u32_e32 v0, 32, v0
	s_delay_alu instid0(VALU_DEP_1) | instskip(NEXT) | instid1(VALU_DEP_1)
	v_subrev_nc_u32_e32 v26, 28, v0
	v_lshlrev_b64_e32 v[28:29], v26, v[16:17]
	v_sub_nc_u32_e32 v26, 29, v0
	s_delay_alu instid0(VALU_DEP_2)
	v_and_b32_e32 v16, 7, v28
; %bb.515:                              ;   in Loop: Header=BB337_488 Depth=1
	s_or_b32 exec_lo, exec_lo, s15
	s_delay_alu instid0(VALU_DEP_1) | instskip(NEXT) | instid1(VALU_DEP_3)
	v_dual_lshlrev_b32 v0, 24, v1 :: v_dual_lshlrev_b32 v1, 20, v16
	v_lshl_add_u32 v16, v26, 23, 0x3c000000
	s_delay_alu instid0(VALU_DEP_2) | instskip(NEXT) | instid1(VALU_DEP_1)
	v_and_b32_e32 v0, 0x80000000, v0
	v_or3_b32 v40, v1, v0, v16
.LBB337_516:                            ;   in Loop: Header=BB337_488 Depth=1
	s_or_b32 exec_lo, exec_lo, s14
.LBB337_517:                            ;   in Loop: Header=BB337_488 Depth=1
	s_delay_alu instid0(SALU_CYCLE_1)
	s_or_b32 exec_lo, exec_lo, s11
.LBB337_518:                            ;   in Loop: Header=BB337_488 Depth=1
	s_delay_alu instid0(SALU_CYCLE_1) | instskip(SKIP_3) | instid1(VALU_DEP_2)
	s_or_b32 exec_lo, exec_lo, s0
	v_and_b32_e32 v1, 0xff, v25
	v_mov_b32_e32 v16, v25
	s_mov_b32 s0, exec_lo
	v_cmpx_ne_u16_e32 0, v1
	s_cbranch_execz .LBB337_524
; %bb.519:                              ;   in Loop: Header=BB337_488 Depth=1
	v_bfrev_b32_e32 v37, 1
	s_mov_b32 s11, exec_lo
	v_cmpx_ne_u16_e32 0x80, v1
	s_cbranch_execz .LBB337_523
; %bb.520:                              ;   in Loop: Header=BB337_488 Depth=1
	v_and_b32_e32 v1, 0x7f, v25
	v_mov_b32_e32 v37, 0x7f800001
	s_mov_b32 s14, exec_lo
	s_delay_alu instid0(VALU_DEP_2)
	v_cmpx_ne_u32_e32 0x7f, v1
	s_cbranch_execz .LBB337_522
; %bb.521:                              ;   in Loop: Header=BB337_488 Depth=1
	v_and_b32_e32 v0, 7, v25
	v_cmp_gt_u32_e32 vcc_lo, 8, v1
	s_delay_alu instid0(VALU_DEP_2) | instskip(NEXT) | instid1(VALU_DEP_1)
	v_clz_i32_u32_e32 v0, v0
	v_min_u32_e32 v0, 32, v0
	v_lshrrev_b32_e32 v26, 3, v1
	s_delay_alu instid0(VALU_DEP_2) | instskip(SKIP_1) | instid1(VALU_DEP_1)
	v_subrev_nc_u32_e32 v27, 28, v0
	v_sub_nc_u32_e32 v0, 29, v0
	v_dual_cndmask_b32 v26, v26, v0, vcc_lo :: v_dual_cndmask_b32 v0, 0, v27, vcc_lo
	s_delay_alu instid0(VALU_DEP_1) | instskip(NEXT) | instid1(VALU_DEP_2)
	v_lshl_add_u32 v26, v26, 23, 0x3c000000
	v_lshlrev_b64_e32 v[0:1], v0, v[16:17]
	v_lshlrev_b32_e32 v1, 24, v16
	s_delay_alu instid0(VALU_DEP_1) | instskip(NEXT) | instid1(VALU_DEP_3)
	v_and_b32_e32 v1, 0x80000000, v1
	v_lshlrev_b32_e32 v0, 20, v0
	s_delay_alu instid0(VALU_DEP_1) | instskip(NEXT) | instid1(VALU_DEP_1)
	v_and_b32_e32 v0, 0x700000, v0
	v_or3_b32 v37, v0, v1, v26
.LBB337_522:                            ;   in Loop: Header=BB337_488 Depth=1
	s_or_b32 exec_lo, exec_lo, s14
.LBB337_523:                            ;   in Loop: Header=BB337_488 Depth=1
	s_delay_alu instid0(SALU_CYCLE_1)
	s_or_b32 exec_lo, exec_lo, s11
.LBB337_524:                            ;   in Loop: Header=BB337_488 Depth=1
	s_delay_alu instid0(SALU_CYCLE_1) | instskip(SKIP_3) | instid1(VALU_DEP_2)
	s_or_b32 exec_lo, exec_lo, s0
	v_lshrrev_b16 v1, 8, v16
	v_dual_mov_b32 v28, 0 :: v_dual_mov_b32 v26, 0
	s_mov_b32 s0, exec_lo
	v_cmpx_ne_u16_e32 0, v1
	s_cbranch_execz .LBB337_532
; %bb.525:                              ;   in Loop: Header=BB337_488 Depth=1
	v_bfrev_b32_e32 v26, 1
	s_mov_b32 s11, exec_lo
	v_cmpx_ne_u16_e32 0x80, v1
	s_cbranch_execz .LBB337_531
; %bb.526:                              ;   in Loop: Header=BB337_488 Depth=1
	v_and_b32_e32 v1, 0xffff, v1
	v_mov_b32_e32 v26, 0x7f800001
	s_mov_b32 s14, exec_lo
	s_delay_alu instid0(VALU_DEP_2) | instskip(NEXT) | instid1(VALU_DEP_1)
	v_and_b32_e32 v29, 0x7f, v1
	v_cmpx_ne_u32_e32 0x7f, v29
	s_cbranch_execz .LBB337_530
; %bb.527:                              ;   in Loop: Header=BB337_488 Depth=1
	v_dual_mov_b32 v27, v17 :: v_dual_bitop2_b32 v26, 7, v1 bitop3:0x40
	v_lshrrev_b32_e32 v1, 3, v29
	s_mov_b32 s15, exec_lo
	v_cmpx_gt_u32_e32 8, v29
; %bb.528:                              ;   in Loop: Header=BB337_488 Depth=1
	s_delay_alu instid0(VALU_DEP_3) | instskip(NEXT) | instid1(VALU_DEP_1)
	v_clz_i32_u32_e32 v0, v26
	v_min_u32_e32 v29, 32, v0
	s_delay_alu instid0(VALU_DEP_1) | instskip(NEXT) | instid1(VALU_DEP_1)
	v_subrev_nc_u32_e32 v0, 28, v29
	v_lshlrev_b64_e32 v[0:1], v0, v[26:27]
	s_delay_alu instid0(VALU_DEP_1)
	v_dual_sub_nc_u32 v1, 29, v29 :: v_dual_bitop2_b32 v26, 7, v0 bitop3:0x40
; %bb.529:                              ;   in Loop: Header=BB337_488 Depth=1
	s_or_b32 exec_lo, exec_lo, s15
	s_delay_alu instid0(VALU_DEP_1) | instskip(NEXT) | instid1(VALU_DEP_2)
	v_dual_lshlrev_b32 v0, 16, v16 :: v_dual_lshlrev_b32 v16, 20, v26
	v_lshl_add_u32 v1, v1, 23, 0x3c000000
	s_delay_alu instid0(VALU_DEP_2) | instskip(NEXT) | instid1(VALU_DEP_1)
	v_and_b32_e32 v0, 0x80000000, v0
	v_or3_b32 v26, v16, v0, v1
.LBB337_530:                            ;   in Loop: Header=BB337_488 Depth=1
	s_or_b32 exec_lo, exec_lo, s14
.LBB337_531:                            ;   in Loop: Header=BB337_488 Depth=1
	s_delay_alu instid0(SALU_CYCLE_1)
	s_or_b32 exec_lo, exec_lo, s11
.LBB337_532:                            ;   in Loop: Header=BB337_488 Depth=1
	s_delay_alu instid0(SALU_CYCLE_1) | instskip(SKIP_2) | instid1(VALU_DEP_1)
	s_or_b32 exec_lo, exec_lo, s0
	v_lshrrev_b32_e32 v1, 16, v25
	s_mov_b32 s0, exec_lo
	v_and_b32_e32 v16, 0xff, v1
	s_delay_alu instid0(VALU_DEP_1)
	v_cmpx_ne_u16_e32 0, v16
	s_cbranch_execz .LBB337_540
; %bb.533:                              ;   in Loop: Header=BB337_488 Depth=1
	v_bfrev_b32_e32 v28, 1
	s_mov_b32 s11, exec_lo
	v_cmpx_ne_u16_e32 0x80, v16
	s_cbranch_execz .LBB337_539
; %bb.534:                              ;   in Loop: Header=BB337_488 Depth=1
	v_bfe_u32 v29, v25, 16, 7
	v_mov_b32_e32 v28, 0x7f800001
	s_mov_b32 s14, exec_lo
	s_delay_alu instid0(VALU_DEP_2)
	v_cmpx_ne_u32_e32 0x7f, v29
	s_cbranch_execz .LBB337_538
; %bb.535:                              ;   in Loop: Header=BB337_488 Depth=1
	v_and_b32_e32 v16, 7, v1
	v_lshrrev_b32_e32 v27, 3, v29
	s_mov_b32 s15, exec_lo
	v_cmpx_gt_u32_e32 8, v29
; %bb.536:                              ;   in Loop: Header=BB337_488 Depth=1
	s_delay_alu instid0(VALU_DEP_3) | instskip(NEXT) | instid1(VALU_DEP_1)
	v_clz_i32_u32_e32 v0, v16
	v_min_u32_e32 v0, 32, v0
	s_delay_alu instid0(VALU_DEP_1) | instskip(NEXT) | instid1(VALU_DEP_1)
	v_subrev_nc_u32_e32 v27, 28, v0
	v_lshlrev_b64_e32 v[28:29], v27, v[16:17]
	v_sub_nc_u32_e32 v27, 29, v0
	s_delay_alu instid0(VALU_DEP_2)
	v_and_b32_e32 v16, 7, v28
; %bb.537:                              ;   in Loop: Header=BB337_488 Depth=1
	s_or_b32 exec_lo, exec_lo, s15
	s_delay_alu instid0(VALU_DEP_1) | instskip(NEXT) | instid1(VALU_DEP_3)
	v_dual_lshlrev_b32 v0, 24, v1 :: v_dual_lshlrev_b32 v1, 20, v16
	v_lshl_add_u32 v16, v27, 23, 0x3c000000
	s_delay_alu instid0(VALU_DEP_2) | instskip(NEXT) | instid1(VALU_DEP_1)
	v_and_b32_e32 v0, 0x80000000, v0
	v_or3_b32 v28, v1, v0, v16
.LBB337_538:                            ;   in Loop: Header=BB337_488 Depth=1
	s_or_b32 exec_lo, exec_lo, s14
.LBB337_539:                            ;   in Loop: Header=BB337_488 Depth=1
	s_delay_alu instid0(SALU_CYCLE_1)
	s_or_b32 exec_lo, exec_lo, s11
.LBB337_540:                            ;   in Loop: Header=BB337_488 Depth=1
	s_delay_alu instid0(SALU_CYCLE_1)
	s_or_b32 exec_lo, exec_lo, s0
	v_mov_b32_e32 v16, 0
	s_mov_b32 s0, exec_lo
	v_cmpx_lt_u64_e64 s[2:3], v[24:25]
	s_cbranch_execz .LBB337_548
; %bb.541:                              ;   in Loop: Header=BB337_488 Depth=1
	v_lshrrev_b32_e32 v1, 24, v25
	v_bfrev_b32_e32 v16, 1
	s_mov_b32 s11, exec_lo
	s_delay_alu instid0(VALU_DEP_2)
	v_cmpx_ne_u32_e32 0x80, v1
	s_cbranch_execz .LBB337_547
; %bb.542:                              ;   in Loop: Header=BB337_488 Depth=1
	v_bfe_u32 v25, v25, 24, 7
	v_mov_b32_e32 v16, 0x7f800001
	s_mov_b32 s14, exec_lo
	s_delay_alu instid0(VALU_DEP_2)
	v_cmpx_ne_u32_e32 0x7f, v25
	s_cbranch_execz .LBB337_546
; %bb.543:                              ;   in Loop: Header=BB337_488 Depth=1
	v_and_b32_e32 v16, 7, v1
	v_lshrrev_b32_e32 v24, 3, v25
	s_mov_b32 s15, exec_lo
	v_cmpx_gt_u32_e32 8, v25
; %bb.544:                              ;   in Loop: Header=BB337_488 Depth=1
	s_delay_alu instid0(VALU_DEP_3) | instskip(NEXT) | instid1(VALU_DEP_1)
	v_clz_i32_u32_e32 v0, v16
	v_min_u32_e32 v0, 32, v0
	s_delay_alu instid0(VALU_DEP_1) | instskip(NEXT) | instid1(VALU_DEP_1)
	v_subrev_nc_u32_e32 v24, 28, v0
	v_lshlrev_b64_e32 v[44:45], v24, v[16:17]
	v_sub_nc_u32_e32 v24, 29, v0
	s_delay_alu instid0(VALU_DEP_2)
	v_and_b32_e32 v16, 7, v44
; %bb.545:                              ;   in Loop: Header=BB337_488 Depth=1
	s_or_b32 exec_lo, exec_lo, s15
	s_delay_alu instid0(VALU_DEP_1) | instskip(NEXT) | instid1(VALU_DEP_3)
	v_dual_lshlrev_b32 v0, 24, v1 :: v_dual_lshlrev_b32 v1, 20, v16
	v_lshl_add_u32 v16, v24, 23, 0x3c000000
	s_delay_alu instid0(VALU_DEP_2) | instskip(NEXT) | instid1(VALU_DEP_1)
	v_and_b32_e32 v0, 0x80000000, v0
	v_or3_b32 v16, v1, v0, v16
.LBB337_546:                            ;   in Loop: Header=BB337_488 Depth=1
	s_or_b32 exec_lo, exec_lo, s14
.LBB337_547:                            ;   in Loop: Header=BB337_488 Depth=1
	s_delay_alu instid0(SALU_CYCLE_1)
	s_or_b32 exec_lo, exec_lo, s11
.LBB337_548:                            ;   in Loop: Header=BB337_488 Depth=1
	s_delay_alu instid0(SALU_CYCLE_1)
	s_or_b32 exec_lo, exec_lo, s0
	v_dual_add_nc_u32 v44, -7, v33 :: v_dual_add_nc_u32 v50, -6, v33
	v_cmp_eq_u32_e32 vcc_lo, s10, v35
	v_fma_mixlo_bf16 v36, s6, v26, 0
	v_fma_mixlo_bf16 v37, s6, v37, 0
	;; [unrolled: 1-line block ×8, first 2 shown]
	v_dual_add_nc_u32 v49, -5, v33 :: v_dual_add_nc_u32 v48, -4, v33
	v_dual_add_nc_u32 v47, -3, v33 :: v_dual_add_nc_u32 v46, -2, v33
	v_add_nc_u32_e32 v45, -1, v33
	s_and_saveexec_b32 s11, vcc_lo
	s_cbranch_execz .LBB337_550
; %bb.549:                              ;   in Loop: Header=BB337_488 Depth=1
	v_cmp_gt_i32_e64 s0, s23, v44
	s_delay_alu instid0(VALU_DEP_1) | instskip(SKIP_1) | instid1(VALU_DEP_1)
	v_cndmask_b32_e64 v43, 0, v43, s0
	v_cmp_gt_i32_e64 s0, s23, v50
	v_cndmask_b32_e64 v42, 0, v42, s0
	v_cmp_gt_i32_e64 s0, s23, v49
	s_delay_alu instid0(VALU_DEP_1) | instskip(SKIP_1) | instid1(VALU_DEP_1)
	v_cndmask_b32_e64 v41, 0, v41, s0
	v_cmp_gt_i32_e64 s0, s23, v48
	v_cndmask_b32_e64 v40, 0, v40, s0
	;; [unrolled: 5-line block ×4, first 2 shown]
.LBB337_550:                            ;   in Loop: Header=BB337_488 Depth=1
	s_or_b32 exec_lo, exec_lo, s11
	global_load_b64 v[24:25], v[22:23], off offset:256
	v_dual_mov_b32 v54, 0 :: v_dual_mov_b32 v53, 0
	s_mov_b32 s11, exec_lo
	s_wait_loadcnt 0x0
	v_and_b32_e32 v1, 0xff, v24
	s_delay_alu instid0(VALU_DEP_1)
	v_cmpx_ne_u16_e32 0, v1
	s_cbranch_execz .LBB337_556
; %bb.551:                              ;   in Loop: Header=BB337_488 Depth=1
	v_bfrev_b32_e32 v53, 1
	s_mov_b32 s14, exec_lo
	v_cmpx_ne_u16_e32 0x80, v1
	s_cbranch_execz .LBB337_555
; %bb.552:                              ;   in Loop: Header=BB337_488 Depth=1
	v_and_b32_e32 v1, 0x7f, v24
	v_mov_b32_e32 v53, 0x7f800001
	s_mov_b32 s15, exec_lo
	s_delay_alu instid0(VALU_DEP_2)
	v_cmpx_ne_u32_e32 0x7f, v1
	s_cbranch_execz .LBB337_554
; %bb.553:                              ;   in Loop: Header=BB337_488 Depth=1
	v_dual_lshrrev_b32 v16, 3, v1 :: v_dual_bitop2_b32 v0, 7, v24 bitop3:0x40
	v_cmp_gt_u32_e64 s0, 8, v1
	s_delay_alu instid0(VALU_DEP_2) | instskip(NEXT) | instid1(VALU_DEP_1)
	v_clz_i32_u32_e32 v0, v0
	v_min_u32_e32 v0, 32, v0
	s_delay_alu instid0(VALU_DEP_1) | instskip(SKIP_1) | instid1(VALU_DEP_1)
	v_subrev_nc_u32_e32 v26, 28, v0
	v_sub_nc_u32_e32 v0, 29, v0
	v_dual_cndmask_b32 v16, v16, v0, s0 :: v_dual_cndmask_b32 v0, 0, v26, s0
	s_delay_alu instid0(VALU_DEP_1) | instskip(NEXT) | instid1(VALU_DEP_2)
	v_lshl_add_u32 v16, v16, 23, 0x3c000000
	v_lshlrev_b64_e32 v[0:1], v0, v[24:25]
	v_lshlrev_b32_e32 v1, 24, v24
	s_delay_alu instid0(VALU_DEP_1) | instskip(NEXT) | instid1(VALU_DEP_3)
	v_and_b32_e32 v1, 0x80000000, v1
	v_lshlrev_b32_e32 v0, 20, v0
	s_delay_alu instid0(VALU_DEP_1) | instskip(NEXT) | instid1(VALU_DEP_1)
	v_and_b32_e32 v0, 0x700000, v0
	v_or3_b32 v53, v0, v1, v16
.LBB337_554:                            ;   in Loop: Header=BB337_488 Depth=1
	s_or_b32 exec_lo, exec_lo, s15
.LBB337_555:                            ;   in Loop: Header=BB337_488 Depth=1
	s_delay_alu instid0(SALU_CYCLE_1)
	s_or_b32 exec_lo, exec_lo, s14
.LBB337_556:                            ;   in Loop: Header=BB337_488 Depth=1
	s_delay_alu instid0(SALU_CYCLE_1) | instskip(SKIP_2) | instid1(VALU_DEP_1)
	s_or_b32 exec_lo, exec_lo, s11
	v_lshrrev_b16 v1, 8, v24
	s_mov_b32 s11, exec_lo
	v_cmpx_ne_u16_e32 0, v1
	s_cbranch_execz .LBB337_564
; %bb.557:                              ;   in Loop: Header=BB337_488 Depth=1
	v_bfrev_b32_e32 v54, 1
	s_mov_b32 s14, exec_lo
	v_cmpx_ne_u16_e32 0x80, v1
	s_cbranch_execz .LBB337_563
; %bb.558:                              ;   in Loop: Header=BB337_488 Depth=1
	v_and_b32_e32 v1, 0xffff, v1
	v_mov_b32_e32 v54, 0x7f800001
	s_mov_b32 s15, exec_lo
	s_delay_alu instid0(VALU_DEP_2) | instskip(NEXT) | instid1(VALU_DEP_1)
	v_and_b32_e32 v26, 0x7f, v1
	v_cmpx_ne_u32_e32 0x7f, v26
	s_cbranch_execz .LBB337_562
; %bb.559:                              ;   in Loop: Header=BB337_488 Depth=1
	v_dual_lshrrev_b32 v1, 3, v26 :: v_dual_bitop2_b32 v16, 7, v1 bitop3:0x40
	s_mov_b32 s16, exec_lo
	v_cmpx_gt_u32_e32 8, v26
; %bb.560:                              ;   in Loop: Header=BB337_488 Depth=1
	s_delay_alu instid0(VALU_DEP_2) | instskip(NEXT) | instid1(VALU_DEP_1)
	v_clz_i32_u32_e32 v0, v16
	v_min_u32_e32 v26, 32, v0
	s_delay_alu instid0(VALU_DEP_1) | instskip(NEXT) | instid1(VALU_DEP_1)
	v_subrev_nc_u32_e32 v0, 28, v26
	v_lshlrev_b64_e32 v[0:1], v0, v[16:17]
	s_delay_alu instid0(VALU_DEP_1)
	v_dual_sub_nc_u32 v1, 29, v26 :: v_dual_bitop2_b32 v16, 7, v0 bitop3:0x40
; %bb.561:                              ;   in Loop: Header=BB337_488 Depth=1
	s_or_b32 exec_lo, exec_lo, s16
	v_lshlrev_b32_e32 v0, 16, v24
	s_delay_alu instid0(VALU_DEP_2) | instskip(NEXT) | instid1(VALU_DEP_3)
	v_lshlrev_b32_e32 v16, 20, v16
	v_lshl_add_u32 v1, v1, 23, 0x3c000000
	s_delay_alu instid0(VALU_DEP_3) | instskip(NEXT) | instid1(VALU_DEP_1)
	v_and_b32_e32 v0, 0x80000000, v0
	v_or3_b32 v54, v16, v0, v1
.LBB337_562:                            ;   in Loop: Header=BB337_488 Depth=1
	s_or_b32 exec_lo, exec_lo, s15
.LBB337_563:                            ;   in Loop: Header=BB337_488 Depth=1
	s_delay_alu instid0(SALU_CYCLE_1)
	s_or_b32 exec_lo, exec_lo, s14
.LBB337_564:                            ;   in Loop: Header=BB337_488 Depth=1
	s_delay_alu instid0(SALU_CYCLE_1) | instskip(SKIP_3) | instid1(VALU_DEP_2)
	s_or_b32 exec_lo, exec_lo, s11
	v_dual_lshrrev_b32 v1, 16, v24 :: v_dual_mov_b32 v55, 0
	v_mov_b32_e32 v56, 0
	s_mov_b32 s11, exec_lo
	v_and_b32_e32 v16, 0xff, v1
	s_delay_alu instid0(VALU_DEP_1)
	v_cmpx_ne_u16_e32 0, v16
	s_cbranch_execz .LBB337_572
; %bb.565:                              ;   in Loop: Header=BB337_488 Depth=1
	v_bfrev_b32_e32 v56, 1
	s_mov_b32 s14, exec_lo
	v_cmpx_ne_u16_e32 0x80, v16
	s_cbranch_execz .LBB337_571
; %bb.566:                              ;   in Loop: Header=BB337_488 Depth=1
	v_bfe_u32 v27, v24, 16, 7
	v_mov_b32_e32 v56, 0x7f800001
	s_mov_b32 s15, exec_lo
	s_delay_alu instid0(VALU_DEP_2)
	v_cmpx_ne_u32_e32 0x7f, v27
	s_cbranch_execz .LBB337_570
; %bb.567:                              ;   in Loop: Header=BB337_488 Depth=1
	v_dual_lshrrev_b32 v26, 3, v27 :: v_dual_bitop2_b32 v16, 7, v1 bitop3:0x40
	s_mov_b32 s16, exec_lo
	v_cmpx_gt_u32_e32 8, v27
; %bb.568:                              ;   in Loop: Header=BB337_488 Depth=1
	s_delay_alu instid0(VALU_DEP_2) | instskip(NEXT) | instid1(VALU_DEP_1)
	v_clz_i32_u32_e32 v0, v16
	v_min_u32_e32 v0, 32, v0
	s_delay_alu instid0(VALU_DEP_1) | instskip(NEXT) | instid1(VALU_DEP_1)
	v_subrev_nc_u32_e32 v26, 28, v0
	v_lshlrev_b64_e32 v[28:29], v26, v[16:17]
	v_sub_nc_u32_e32 v26, 29, v0
	s_delay_alu instid0(VALU_DEP_2)
	v_and_b32_e32 v16, 7, v28
; %bb.569:                              ;   in Loop: Header=BB337_488 Depth=1
	s_or_b32 exec_lo, exec_lo, s16
	s_delay_alu instid0(VALU_DEP_1) | instskip(NEXT) | instid1(VALU_DEP_3)
	v_dual_lshlrev_b32 v0, 24, v1 :: v_dual_lshlrev_b32 v1, 20, v16
	v_lshl_add_u32 v16, v26, 23, 0x3c000000
	s_delay_alu instid0(VALU_DEP_2) | instskip(NEXT) | instid1(VALU_DEP_1)
	v_and_b32_e32 v0, 0x80000000, v0
	v_or3_b32 v56, v1, v0, v16
.LBB337_570:                            ;   in Loop: Header=BB337_488 Depth=1
	s_or_b32 exec_lo, exec_lo, s15
.LBB337_571:                            ;   in Loop: Header=BB337_488 Depth=1
	s_delay_alu instid0(SALU_CYCLE_1)
	s_or_b32 exec_lo, exec_lo, s14
.LBB337_572:                            ;   in Loop: Header=BB337_488 Depth=1
	s_delay_alu instid0(SALU_CYCLE_1) | instskip(NEXT) | instid1(SALU_CYCLE_1)
	s_or_b32 exec_lo, exec_lo, s11
	s_mov_b32 s11, exec_lo
	v_cmpx_lt_u32_e32 0xffffff, v24
	s_cbranch_execz .LBB337_580
; %bb.573:                              ;   in Loop: Header=BB337_488 Depth=1
	v_lshrrev_b32_e32 v1, 24, v24
	v_bfrev_b32_e32 v55, 1
	s_mov_b32 s14, exec_lo
	s_delay_alu instid0(VALU_DEP_2)
	v_cmpx_ne_u32_e32 0x80, v1
	s_cbranch_execz .LBB337_579
; %bb.574:                              ;   in Loop: Header=BB337_488 Depth=1
	v_bfe_u32 v27, v24, 24, 7
	v_mov_b32_e32 v55, 0x7f800001
	s_mov_b32 s15, exec_lo
	s_delay_alu instid0(VALU_DEP_2)
	v_cmpx_ne_u32_e32 0x7f, v27
	s_cbranch_execz .LBB337_578
; %bb.575:                              ;   in Loop: Header=BB337_488 Depth=1
	v_dual_lshrrev_b32 v26, 3, v27 :: v_dual_bitop2_b32 v16, 7, v1 bitop3:0x40
	s_mov_b32 s16, exec_lo
	v_cmpx_gt_u32_e32 8, v27
; %bb.576:                              ;   in Loop: Header=BB337_488 Depth=1
	s_delay_alu instid0(VALU_DEP_2) | instskip(NEXT) | instid1(VALU_DEP_1)
	v_clz_i32_u32_e32 v0, v16
	v_min_u32_e32 v0, 32, v0
	s_delay_alu instid0(VALU_DEP_1) | instskip(NEXT) | instid1(VALU_DEP_1)
	v_subrev_nc_u32_e32 v26, 28, v0
	v_lshlrev_b64_e32 v[28:29], v26, v[16:17]
	v_sub_nc_u32_e32 v26, 29, v0
	s_delay_alu instid0(VALU_DEP_2)
	v_and_b32_e32 v16, 7, v28
; %bb.577:                              ;   in Loop: Header=BB337_488 Depth=1
	s_or_b32 exec_lo, exec_lo, s16
	s_delay_alu instid0(VALU_DEP_1) | instskip(NEXT) | instid1(VALU_DEP_3)
	v_dual_lshlrev_b32 v0, 24, v1 :: v_dual_lshlrev_b32 v1, 20, v16
	v_lshl_add_u32 v16, v26, 23, 0x3c000000
	s_delay_alu instid0(VALU_DEP_2) | instskip(NEXT) | instid1(VALU_DEP_1)
	v_and_b32_e32 v0, 0x80000000, v0
	v_or3_b32 v55, v1, v0, v16
.LBB337_578:                            ;   in Loop: Header=BB337_488 Depth=1
	s_or_b32 exec_lo, exec_lo, s15
.LBB337_579:                            ;   in Loop: Header=BB337_488 Depth=1
	s_delay_alu instid0(SALU_CYCLE_1)
	s_or_b32 exec_lo, exec_lo, s14
.LBB337_580:                            ;   in Loop: Header=BB337_488 Depth=1
	s_delay_alu instid0(SALU_CYCLE_1) | instskip(SKIP_4) | instid1(VALU_DEP_3)
	s_or_b32 exec_lo, exec_lo, s11
	v_and_b32_e32 v1, 0xff, v25
	v_dual_mov_b32 v16, v25 :: v_dual_mov_b32 v26, 0
	v_mov_b32_e32 v52, 0
	s_mov_b32 s11, exec_lo
	v_cmpx_ne_u16_e32 0, v1
	s_cbranch_execz .LBB337_586
; %bb.581:                              ;   in Loop: Header=BB337_488 Depth=1
	v_bfrev_b32_e32 v52, 1
	s_mov_b32 s14, exec_lo
	v_cmpx_ne_u16_e32 0x80, v1
	s_cbranch_execz .LBB337_585
; %bb.582:                              ;   in Loop: Header=BB337_488 Depth=1
	v_and_b32_e32 v1, 0x7f, v25
	v_mov_b32_e32 v52, 0x7f800001
	s_mov_b32 s15, exec_lo
	s_delay_alu instid0(VALU_DEP_2)
	v_cmpx_ne_u32_e32 0x7f, v1
	s_cbranch_execz .LBB337_584
; %bb.583:                              ;   in Loop: Header=BB337_488 Depth=1
	v_and_b32_e32 v0, 7, v25
	v_cmp_gt_u32_e64 s0, 8, v1
	s_delay_alu instid0(VALU_DEP_2) | instskip(NEXT) | instid1(VALU_DEP_1)
	v_clz_i32_u32_e32 v0, v0
	v_min_u32_e32 v0, 32, v0
	v_lshrrev_b32_e32 v27, 3, v1
	s_delay_alu instid0(VALU_DEP_2) | instskip(SKIP_1) | instid1(VALU_DEP_1)
	v_subrev_nc_u32_e32 v28, 28, v0
	v_sub_nc_u32_e32 v0, 29, v0
	v_cndmask_b32_e64 v27, v27, v0, s0
	s_delay_alu instid0(VALU_DEP_3) | instskip(NEXT) | instid1(VALU_DEP_1)
	v_cndmask_b32_e64 v0, 0, v28, s0
	v_lshlrev_b64_e32 v[0:1], v0, v[16:17]
	v_lshlrev_b32_e32 v1, 24, v16
	s_delay_alu instid0(VALU_DEP_1) | instskip(NEXT) | instid1(VALU_DEP_3)
	v_and_b32_e32 v1, 0x80000000, v1
	v_lshlrev_b32_e32 v0, 20, v0
	v_lshl_add_u32 v27, v27, 23, 0x3c000000
	s_delay_alu instid0(VALU_DEP_2) | instskip(NEXT) | instid1(VALU_DEP_1)
	v_and_b32_e32 v0, 0x700000, v0
	v_or3_b32 v52, v0, v1, v27
.LBB337_584:                            ;   in Loop: Header=BB337_488 Depth=1
	s_or_b32 exec_lo, exec_lo, s15
.LBB337_585:                            ;   in Loop: Header=BB337_488 Depth=1
	s_delay_alu instid0(SALU_CYCLE_1)
	s_or_b32 exec_lo, exec_lo, s14
.LBB337_586:                            ;   in Loop: Header=BB337_488 Depth=1
	s_delay_alu instid0(SALU_CYCLE_1) | instskip(SKIP_2) | instid1(VALU_DEP_1)
	s_or_b32 exec_lo, exec_lo, s11
	v_lshrrev_b16 v1, 8, v16
	s_mov_b32 s11, exec_lo
	v_cmpx_ne_u16_e32 0, v1
	s_cbranch_execz .LBB337_594
; %bb.587:                              ;   in Loop: Header=BB337_488 Depth=1
	v_bfrev_b32_e32 v26, 1
	s_mov_b32 s14, exec_lo
	v_cmpx_ne_u16_e32 0x80, v1
	s_cbranch_execz .LBB337_593
; %bb.588:                              ;   in Loop: Header=BB337_488 Depth=1
	v_and_b32_e32 v1, 0xffff, v1
	v_mov_b32_e32 v26, 0x7f800001
	s_mov_b32 s15, exec_lo
	s_delay_alu instid0(VALU_DEP_2) | instskip(NEXT) | instid1(VALU_DEP_1)
	v_and_b32_e32 v28, 0x7f, v1
	v_cmpx_ne_u32_e32 0x7f, v28
	s_cbranch_execz .LBB337_592
; %bb.589:                              ;   in Loop: Header=BB337_488 Depth=1
	v_dual_mov_b32 v27, v17 :: v_dual_bitop2_b32 v26, 7, v1 bitop3:0x40
	v_lshrrev_b32_e32 v1, 3, v28
	s_mov_b32 s16, exec_lo
	v_cmpx_gt_u32_e32 8, v28
; %bb.590:                              ;   in Loop: Header=BB337_488 Depth=1
	s_delay_alu instid0(VALU_DEP_3) | instskip(NEXT) | instid1(VALU_DEP_1)
	v_clz_i32_u32_e32 v0, v26
	v_min_u32_e32 v28, 32, v0
	s_delay_alu instid0(VALU_DEP_1) | instskip(NEXT) | instid1(VALU_DEP_1)
	v_subrev_nc_u32_e32 v0, 28, v28
	v_lshlrev_b64_e32 v[0:1], v0, v[26:27]
	v_sub_nc_u32_e32 v1, 29, v28
	s_delay_alu instid0(VALU_DEP_2)
	v_and_b32_e32 v26, 7, v0
; %bb.591:                              ;   in Loop: Header=BB337_488 Depth=1
	s_or_b32 exec_lo, exec_lo, s16
	s_delay_alu instid0(VALU_DEP_1) | instskip(NEXT) | instid1(VALU_DEP_3)
	v_dual_lshlrev_b32 v0, 16, v16 :: v_dual_lshlrev_b32 v16, 20, v26
	v_lshl_add_u32 v1, v1, 23, 0x3c000000
	s_delay_alu instid0(VALU_DEP_2) | instskip(NEXT) | instid1(VALU_DEP_1)
	v_and_b32_e32 v0, 0x80000000, v0
	v_or3_b32 v26, v16, v0, v1
.LBB337_592:                            ;   in Loop: Header=BB337_488 Depth=1
	s_or_b32 exec_lo, exec_lo, s15
.LBB337_593:                            ;   in Loop: Header=BB337_488 Depth=1
	s_delay_alu instid0(SALU_CYCLE_1)
	s_or_b32 exec_lo, exec_lo, s14
.LBB337_594:                            ;   in Loop: Header=BB337_488 Depth=1
	s_delay_alu instid0(SALU_CYCLE_1) | instskip(SKIP_3) | instid1(VALU_DEP_2)
	s_or_b32 exec_lo, exec_lo, s11
	v_dual_lshrrev_b32 v1, 16, v25 :: v_dual_mov_b32 v27, 0
	v_mov_b32_e32 v28, 0
	s_mov_b32 s11, exec_lo
	v_and_b32_e32 v16, 0xff, v1
	s_delay_alu instid0(VALU_DEP_1)
	v_cmpx_ne_u16_e32 0, v16
	s_cbranch_execz .LBB337_602
; %bb.595:                              ;   in Loop: Header=BB337_488 Depth=1
	v_bfrev_b32_e32 v28, 1
	s_mov_b32 s14, exec_lo
	v_cmpx_ne_u16_e32 0x80, v16
	s_cbranch_execz .LBB337_601
; %bb.596:                              ;   in Loop: Header=BB337_488 Depth=1
	v_bfe_u32 v29, v25, 16, 7
	v_mov_b32_e32 v28, 0x7f800001
	s_mov_b32 s15, exec_lo
	s_delay_alu instid0(VALU_DEP_2)
	v_cmpx_ne_u32_e32 0x7f, v29
	s_cbranch_execz .LBB337_600
; %bb.597:                              ;   in Loop: Header=BB337_488 Depth=1
	v_and_b32_e32 v16, 7, v1
	v_lshrrev_b32_e32 v28, 3, v29
	s_mov_b32 s16, exec_lo
	v_cmpx_gt_u32_e32 8, v29
; %bb.598:                              ;   in Loop: Header=BB337_488 Depth=1
	s_delay_alu instid0(VALU_DEP_3) | instskip(NEXT) | instid1(VALU_DEP_1)
	v_clz_i32_u32_e32 v0, v16
	v_min_u32_e32 v0, 32, v0
	s_delay_alu instid0(VALU_DEP_1) | instskip(NEXT) | instid1(VALU_DEP_1)
	v_subrev_nc_u32_e32 v28, 28, v0
	v_lshlrev_b64_e32 v[58:59], v28, v[16:17]
	s_delay_alu instid0(VALU_DEP_1)
	v_dual_sub_nc_u32 v28, 29, v0 :: v_dual_bitop2_b32 v16, 7, v58 bitop3:0x40
; %bb.599:                              ;   in Loop: Header=BB337_488 Depth=1
	s_or_b32 exec_lo, exec_lo, s16
	s_delay_alu instid0(VALU_DEP_1) | instskip(NEXT) | instid1(VALU_DEP_2)
	v_dual_lshlrev_b32 v0, 24, v1 :: v_dual_lshlrev_b32 v1, 20, v16
	v_lshl_add_u32 v16, v28, 23, 0x3c000000
	s_delay_alu instid0(VALU_DEP_2) | instskip(NEXT) | instid1(VALU_DEP_1)
	v_and_b32_e32 v0, 0x80000000, v0
	v_or3_b32 v28, v1, v0, v16
.LBB337_600:                            ;   in Loop: Header=BB337_488 Depth=1
	s_or_b32 exec_lo, exec_lo, s15
.LBB337_601:                            ;   in Loop: Header=BB337_488 Depth=1
	s_delay_alu instid0(SALU_CYCLE_1)
	s_or_b32 exec_lo, exec_lo, s14
.LBB337_602:                            ;   in Loop: Header=BB337_488 Depth=1
	s_delay_alu instid0(SALU_CYCLE_1) | instskip(NEXT) | instid1(SALU_CYCLE_1)
	s_or_b32 exec_lo, exec_lo, s11
	s_mov_b32 s11, exec_lo
	v_cmpx_lt_u64_e64 s[2:3], v[24:25]
	s_cbranch_execz .LBB337_610
; %bb.603:                              ;   in Loop: Header=BB337_488 Depth=1
	v_lshrrev_b32_e32 v1, 24, v25
	v_bfrev_b32_e32 v27, 1
	s_mov_b32 s14, exec_lo
	s_delay_alu instid0(VALU_DEP_2)
	v_cmpx_ne_u32_e32 0x80, v1
	s_cbranch_execz .LBB337_609
; %bb.604:                              ;   in Loop: Header=BB337_488 Depth=1
	v_bfe_u32 v25, v25, 24, 7
	v_mov_b32_e32 v27, 0x7f800001
	s_mov_b32 s15, exec_lo
	s_delay_alu instid0(VALU_DEP_2)
	v_cmpx_ne_u32_e32 0x7f, v25
	s_cbranch_execz .LBB337_608
; %bb.605:                              ;   in Loop: Header=BB337_488 Depth=1
	v_and_b32_e32 v16, 7, v1
	v_lshrrev_b32_e32 v24, 3, v25
	s_mov_b32 s16, exec_lo
	v_cmpx_gt_u32_e32 8, v25
; %bb.606:                              ;   in Loop: Header=BB337_488 Depth=1
	s_delay_alu instid0(VALU_DEP_3) | instskip(NEXT) | instid1(VALU_DEP_1)
	v_clz_i32_u32_e32 v0, v16
	v_min_u32_e32 v0, 32, v0
	s_delay_alu instid0(VALU_DEP_1) | instskip(NEXT) | instid1(VALU_DEP_1)
	v_subrev_nc_u32_e32 v24, 28, v0
	v_lshlrev_b64_e32 v[58:59], v24, v[16:17]
	s_delay_alu instid0(VALU_DEP_1)
	v_dual_sub_nc_u32 v24, 29, v0 :: v_dual_bitop2_b32 v16, 7, v58 bitop3:0x40
; %bb.607:                              ;   in Loop: Header=BB337_488 Depth=1
	s_or_b32 exec_lo, exec_lo, s16
	s_delay_alu instid0(VALU_DEP_1) | instskip(NEXT) | instid1(VALU_DEP_2)
	v_dual_lshlrev_b32 v0, 24, v1 :: v_dual_lshlrev_b32 v1, 20, v16
	v_lshl_add_u32 v16, v24, 23, 0x3c000000
	s_delay_alu instid0(VALU_DEP_2) | instskip(NEXT) | instid1(VALU_DEP_1)
	v_and_b32_e32 v0, 0x80000000, v0
	v_or3_b32 v27, v1, v0, v16
.LBB337_608:                            ;   in Loop: Header=BB337_488 Depth=1
	s_or_b32 exec_lo, exec_lo, s15
.LBB337_609:                            ;   in Loop: Header=BB337_488 Depth=1
	s_delay_alu instid0(SALU_CYCLE_1)
	s_or_b32 exec_lo, exec_lo, s14
.LBB337_610:                            ;   in Loop: Header=BB337_488 Depth=1
	s_delay_alu instid0(SALU_CYCLE_1)
	s_or_b32 exec_lo, exec_lo, s11
	v_fma_mixlo_bf16 v51, s6, v26, 0
	v_fma_mixlo_bf16 v52, s6, v52, 0
	;; [unrolled: 1-line block ×8, first 2 shown]
	s_and_saveexec_b32 s11, vcc_lo
	s_cbranch_execz .LBB337_612
; %bb.611:                              ;   in Loop: Header=BB337_488 Depth=1
	v_cmp_gt_i32_e64 s0, s23, v44
	s_delay_alu instid0(VALU_DEP_1) | instskip(SKIP_1) | instid1(VALU_DEP_1)
	v_cndmask_b32_e64 v58, 0, v58, s0
	v_cmp_gt_i32_e64 s0, s23, v50
	v_cndmask_b32_e64 v57, 0, v57, s0
	v_cmp_gt_i32_e64 s0, s23, v49
	s_delay_alu instid0(VALU_DEP_1) | instskip(SKIP_1) | instid1(VALU_DEP_1)
	v_cndmask_b32_e64 v56, 0, v56, s0
	v_cmp_gt_i32_e64 s0, s23, v48
	v_cndmask_b32_e64 v55, 0, v55, s0
	;; [unrolled: 5-line block ×4, first 2 shown]
.LBB337_612:                            ;   in Loop: Header=BB337_488 Depth=1
	s_or_b32 exec_lo, exec_lo, s11
	global_load_b64 v[24:25], v[22:23], off offset:512
	v_dual_mov_b32 v60, 0 :: v_dual_mov_b32 v59, 0
	s_mov_b32 s11, exec_lo
	s_wait_loadcnt 0x0
	v_and_b32_e32 v1, 0xff, v24
	s_delay_alu instid0(VALU_DEP_1)
	v_cmpx_ne_u16_e32 0, v1
	s_cbranch_execz .LBB337_618
; %bb.613:                              ;   in Loop: Header=BB337_488 Depth=1
	v_bfrev_b32_e32 v59, 1
	s_mov_b32 s14, exec_lo
	v_cmpx_ne_u16_e32 0x80, v1
	s_cbranch_execz .LBB337_617
; %bb.614:                              ;   in Loop: Header=BB337_488 Depth=1
	v_and_b32_e32 v1, 0x7f, v24
	v_mov_b32_e32 v59, 0x7f800001
	s_mov_b32 s15, exec_lo
	s_delay_alu instid0(VALU_DEP_2)
	v_cmpx_ne_u32_e32 0x7f, v1
	s_cbranch_execz .LBB337_616
; %bb.615:                              ;   in Loop: Header=BB337_488 Depth=1
	v_dual_lshrrev_b32 v16, 3, v1 :: v_dual_bitop2_b32 v0, 7, v24 bitop3:0x40
	v_cmp_gt_u32_e64 s0, 8, v1
	s_delay_alu instid0(VALU_DEP_2) | instskip(NEXT) | instid1(VALU_DEP_1)
	v_clz_i32_u32_e32 v0, v0
	v_min_u32_e32 v0, 32, v0
	s_delay_alu instid0(VALU_DEP_1) | instskip(SKIP_1) | instid1(VALU_DEP_1)
	v_subrev_nc_u32_e32 v26, 28, v0
	v_sub_nc_u32_e32 v0, 29, v0
	v_dual_cndmask_b32 v16, v16, v0, s0 :: v_dual_cndmask_b32 v0, 0, v26, s0
	s_delay_alu instid0(VALU_DEP_1) | instskip(NEXT) | instid1(VALU_DEP_2)
	v_lshl_add_u32 v16, v16, 23, 0x3c000000
	v_lshlrev_b64_e32 v[0:1], v0, v[24:25]
	v_lshlrev_b32_e32 v1, 24, v24
	s_delay_alu instid0(VALU_DEP_1) | instskip(NEXT) | instid1(VALU_DEP_3)
	v_and_b32_e32 v1, 0x80000000, v1
	v_lshlrev_b32_e32 v0, 20, v0
	s_delay_alu instid0(VALU_DEP_1) | instskip(NEXT) | instid1(VALU_DEP_1)
	v_and_b32_e32 v0, 0x700000, v0
	v_or3_b32 v59, v0, v1, v16
.LBB337_616:                            ;   in Loop: Header=BB337_488 Depth=1
	s_or_b32 exec_lo, exec_lo, s15
.LBB337_617:                            ;   in Loop: Header=BB337_488 Depth=1
	s_delay_alu instid0(SALU_CYCLE_1)
	s_or_b32 exec_lo, exec_lo, s14
.LBB337_618:                            ;   in Loop: Header=BB337_488 Depth=1
	s_delay_alu instid0(SALU_CYCLE_1) | instskip(SKIP_2) | instid1(VALU_DEP_1)
	s_or_b32 exec_lo, exec_lo, s11
	v_lshrrev_b16 v1, 8, v24
	s_mov_b32 s11, exec_lo
	v_cmpx_ne_u16_e32 0, v1
	s_cbranch_execz .LBB337_626
; %bb.619:                              ;   in Loop: Header=BB337_488 Depth=1
	v_bfrev_b32_e32 v60, 1
	s_mov_b32 s14, exec_lo
	v_cmpx_ne_u16_e32 0x80, v1
	s_cbranch_execz .LBB337_625
; %bb.620:                              ;   in Loop: Header=BB337_488 Depth=1
	v_and_b32_e32 v1, 0xffff, v1
	v_mov_b32_e32 v60, 0x7f800001
	s_mov_b32 s15, exec_lo
	s_delay_alu instid0(VALU_DEP_2) | instskip(NEXT) | instid1(VALU_DEP_1)
	v_and_b32_e32 v26, 0x7f, v1
	v_cmpx_ne_u32_e32 0x7f, v26
	s_cbranch_execz .LBB337_624
; %bb.621:                              ;   in Loop: Header=BB337_488 Depth=1
	v_dual_lshrrev_b32 v1, 3, v26 :: v_dual_bitop2_b32 v16, 7, v1 bitop3:0x40
	s_mov_b32 s16, exec_lo
	v_cmpx_gt_u32_e32 8, v26
; %bb.622:                              ;   in Loop: Header=BB337_488 Depth=1
	s_delay_alu instid0(VALU_DEP_2) | instskip(NEXT) | instid1(VALU_DEP_1)
	v_clz_i32_u32_e32 v0, v16
	v_min_u32_e32 v26, 32, v0
	s_delay_alu instid0(VALU_DEP_1) | instskip(NEXT) | instid1(VALU_DEP_1)
	v_subrev_nc_u32_e32 v0, 28, v26
	v_lshlrev_b64_e32 v[0:1], v0, v[16:17]
	s_delay_alu instid0(VALU_DEP_1)
	v_dual_sub_nc_u32 v1, 29, v26 :: v_dual_bitop2_b32 v16, 7, v0 bitop3:0x40
; %bb.623:                              ;   in Loop: Header=BB337_488 Depth=1
	s_or_b32 exec_lo, exec_lo, s16
	v_lshlrev_b32_e32 v0, 16, v24
	s_delay_alu instid0(VALU_DEP_2) | instskip(NEXT) | instid1(VALU_DEP_3)
	v_lshlrev_b32_e32 v16, 20, v16
	v_lshl_add_u32 v1, v1, 23, 0x3c000000
	s_delay_alu instid0(VALU_DEP_3) | instskip(NEXT) | instid1(VALU_DEP_1)
	v_and_b32_e32 v0, 0x80000000, v0
	v_or3_b32 v60, v16, v0, v1
.LBB337_624:                            ;   in Loop: Header=BB337_488 Depth=1
	s_or_b32 exec_lo, exec_lo, s15
.LBB337_625:                            ;   in Loop: Header=BB337_488 Depth=1
	s_delay_alu instid0(SALU_CYCLE_1)
	s_or_b32 exec_lo, exec_lo, s14
.LBB337_626:                            ;   in Loop: Header=BB337_488 Depth=1
	s_delay_alu instid0(SALU_CYCLE_1) | instskip(SKIP_3) | instid1(VALU_DEP_2)
	s_or_b32 exec_lo, exec_lo, s11
	v_dual_lshrrev_b32 v1, 16, v24 :: v_dual_mov_b32 v63, 0
	v_mov_b32_e32 v64, 0
	s_mov_b32 s11, exec_lo
	v_and_b32_e32 v16, 0xff, v1
	s_delay_alu instid0(VALU_DEP_1)
	v_cmpx_ne_u16_e32 0, v16
	s_cbranch_execz .LBB337_634
; %bb.627:                              ;   in Loop: Header=BB337_488 Depth=1
	v_bfrev_b32_e32 v64, 1
	s_mov_b32 s14, exec_lo
	v_cmpx_ne_u16_e32 0x80, v16
	s_cbranch_execz .LBB337_633
; %bb.628:                              ;   in Loop: Header=BB337_488 Depth=1
	v_bfe_u32 v27, v24, 16, 7
	v_mov_b32_e32 v64, 0x7f800001
	s_mov_b32 s15, exec_lo
	s_delay_alu instid0(VALU_DEP_2)
	v_cmpx_ne_u32_e32 0x7f, v27
	s_cbranch_execz .LBB337_632
; %bb.629:                              ;   in Loop: Header=BB337_488 Depth=1
	v_dual_lshrrev_b32 v26, 3, v27 :: v_dual_bitop2_b32 v16, 7, v1 bitop3:0x40
	s_mov_b32 s16, exec_lo
	v_cmpx_gt_u32_e32 8, v27
; %bb.630:                              ;   in Loop: Header=BB337_488 Depth=1
	s_delay_alu instid0(VALU_DEP_2) | instskip(NEXT) | instid1(VALU_DEP_1)
	v_clz_i32_u32_e32 v0, v16
	v_min_u32_e32 v0, 32, v0
	s_delay_alu instid0(VALU_DEP_1) | instskip(NEXT) | instid1(VALU_DEP_1)
	v_subrev_nc_u32_e32 v26, 28, v0
	v_lshlrev_b64_e32 v[28:29], v26, v[16:17]
	v_sub_nc_u32_e32 v26, 29, v0
	s_delay_alu instid0(VALU_DEP_2)
	v_and_b32_e32 v16, 7, v28
; %bb.631:                              ;   in Loop: Header=BB337_488 Depth=1
	s_or_b32 exec_lo, exec_lo, s16
	s_delay_alu instid0(VALU_DEP_1) | instskip(NEXT) | instid1(VALU_DEP_3)
	v_dual_lshlrev_b32 v0, 24, v1 :: v_dual_lshlrev_b32 v1, 20, v16
	v_lshl_add_u32 v16, v26, 23, 0x3c000000
	s_delay_alu instid0(VALU_DEP_2) | instskip(NEXT) | instid1(VALU_DEP_1)
	v_and_b32_e32 v0, 0x80000000, v0
	v_or3_b32 v64, v1, v0, v16
.LBB337_632:                            ;   in Loop: Header=BB337_488 Depth=1
	s_or_b32 exec_lo, exec_lo, s15
.LBB337_633:                            ;   in Loop: Header=BB337_488 Depth=1
	s_delay_alu instid0(SALU_CYCLE_1)
	s_or_b32 exec_lo, exec_lo, s14
.LBB337_634:                            ;   in Loop: Header=BB337_488 Depth=1
	s_delay_alu instid0(SALU_CYCLE_1) | instskip(NEXT) | instid1(SALU_CYCLE_1)
	s_or_b32 exec_lo, exec_lo, s11
	s_mov_b32 s11, exec_lo
	v_cmpx_lt_u32_e32 0xffffff, v24
	s_cbranch_execz .LBB337_642
; %bb.635:                              ;   in Loop: Header=BB337_488 Depth=1
	v_lshrrev_b32_e32 v1, 24, v24
	v_bfrev_b32_e32 v63, 1
	s_mov_b32 s14, exec_lo
	s_delay_alu instid0(VALU_DEP_2)
	v_cmpx_ne_u32_e32 0x80, v1
	s_cbranch_execz .LBB337_641
; %bb.636:                              ;   in Loop: Header=BB337_488 Depth=1
	v_bfe_u32 v27, v24, 24, 7
	v_mov_b32_e32 v63, 0x7f800001
	s_mov_b32 s15, exec_lo
	s_delay_alu instid0(VALU_DEP_2)
	v_cmpx_ne_u32_e32 0x7f, v27
	s_cbranch_execz .LBB337_640
; %bb.637:                              ;   in Loop: Header=BB337_488 Depth=1
	v_dual_lshrrev_b32 v26, 3, v27 :: v_dual_bitop2_b32 v16, 7, v1 bitop3:0x40
	s_mov_b32 s16, exec_lo
	v_cmpx_gt_u32_e32 8, v27
; %bb.638:                              ;   in Loop: Header=BB337_488 Depth=1
	s_delay_alu instid0(VALU_DEP_2) | instskip(NEXT) | instid1(VALU_DEP_1)
	v_clz_i32_u32_e32 v0, v16
	v_min_u32_e32 v0, 32, v0
	s_delay_alu instid0(VALU_DEP_1) | instskip(NEXT) | instid1(VALU_DEP_1)
	v_subrev_nc_u32_e32 v26, 28, v0
	v_lshlrev_b64_e32 v[28:29], v26, v[16:17]
	v_sub_nc_u32_e32 v26, 29, v0
	s_delay_alu instid0(VALU_DEP_2)
	v_and_b32_e32 v16, 7, v28
; %bb.639:                              ;   in Loop: Header=BB337_488 Depth=1
	s_or_b32 exec_lo, exec_lo, s16
	s_delay_alu instid0(VALU_DEP_1) | instskip(NEXT) | instid1(VALU_DEP_3)
	v_dual_lshlrev_b32 v0, 24, v1 :: v_dual_lshlrev_b32 v1, 20, v16
	v_lshl_add_u32 v16, v26, 23, 0x3c000000
	s_delay_alu instid0(VALU_DEP_2) | instskip(NEXT) | instid1(VALU_DEP_1)
	v_and_b32_e32 v0, 0x80000000, v0
	v_or3_b32 v63, v1, v0, v16
.LBB337_640:                            ;   in Loop: Header=BB337_488 Depth=1
	s_or_b32 exec_lo, exec_lo, s15
.LBB337_641:                            ;   in Loop: Header=BB337_488 Depth=1
	s_delay_alu instid0(SALU_CYCLE_1)
	s_or_b32 exec_lo, exec_lo, s14
.LBB337_642:                            ;   in Loop: Header=BB337_488 Depth=1
	s_delay_alu instid0(SALU_CYCLE_1) | instskip(SKIP_4) | instid1(VALU_DEP_3)
	s_or_b32 exec_lo, exec_lo, s11
	v_and_b32_e32 v1, 0xff, v25
	v_dual_mov_b32 v16, v25 :: v_dual_mov_b32 v26, 0
	v_mov_b32_e32 v62, 0
	s_mov_b32 s11, exec_lo
	v_cmpx_ne_u16_e32 0, v1
	s_cbranch_execz .LBB337_648
; %bb.643:                              ;   in Loop: Header=BB337_488 Depth=1
	v_bfrev_b32_e32 v62, 1
	s_mov_b32 s14, exec_lo
	v_cmpx_ne_u16_e32 0x80, v1
	s_cbranch_execz .LBB337_647
; %bb.644:                              ;   in Loop: Header=BB337_488 Depth=1
	v_and_b32_e32 v1, 0x7f, v25
	v_mov_b32_e32 v62, 0x7f800001
	s_mov_b32 s15, exec_lo
	s_delay_alu instid0(VALU_DEP_2)
	v_cmpx_ne_u32_e32 0x7f, v1
	s_cbranch_execz .LBB337_646
; %bb.645:                              ;   in Loop: Header=BB337_488 Depth=1
	v_and_b32_e32 v0, 7, v25
	v_cmp_gt_u32_e64 s0, 8, v1
	s_delay_alu instid0(VALU_DEP_2) | instskip(NEXT) | instid1(VALU_DEP_1)
	v_clz_i32_u32_e32 v0, v0
	v_min_u32_e32 v0, 32, v0
	v_lshrrev_b32_e32 v27, 3, v1
	s_delay_alu instid0(VALU_DEP_2) | instskip(SKIP_1) | instid1(VALU_DEP_1)
	v_subrev_nc_u32_e32 v28, 28, v0
	v_sub_nc_u32_e32 v0, 29, v0
	v_cndmask_b32_e64 v27, v27, v0, s0
	s_delay_alu instid0(VALU_DEP_3) | instskip(NEXT) | instid1(VALU_DEP_1)
	v_cndmask_b32_e64 v0, 0, v28, s0
	v_lshlrev_b64_e32 v[0:1], v0, v[16:17]
	v_lshlrev_b32_e32 v1, 24, v16
	s_delay_alu instid0(VALU_DEP_1) | instskip(NEXT) | instid1(VALU_DEP_3)
	v_and_b32_e32 v1, 0x80000000, v1
	v_lshlrev_b32_e32 v0, 20, v0
	v_lshl_add_u32 v27, v27, 23, 0x3c000000
	s_delay_alu instid0(VALU_DEP_2) | instskip(NEXT) | instid1(VALU_DEP_1)
	v_and_b32_e32 v0, 0x700000, v0
	v_or3_b32 v62, v0, v1, v27
.LBB337_646:                            ;   in Loop: Header=BB337_488 Depth=1
	s_or_b32 exec_lo, exec_lo, s15
.LBB337_647:                            ;   in Loop: Header=BB337_488 Depth=1
	s_delay_alu instid0(SALU_CYCLE_1)
	s_or_b32 exec_lo, exec_lo, s14
.LBB337_648:                            ;   in Loop: Header=BB337_488 Depth=1
	s_delay_alu instid0(SALU_CYCLE_1) | instskip(SKIP_2) | instid1(VALU_DEP_1)
	s_or_b32 exec_lo, exec_lo, s11
	v_lshrrev_b16 v1, 8, v16
	s_mov_b32 s11, exec_lo
	v_cmpx_ne_u16_e32 0, v1
	s_cbranch_execz .LBB337_656
; %bb.649:                              ;   in Loop: Header=BB337_488 Depth=1
	v_bfrev_b32_e32 v26, 1
	s_mov_b32 s14, exec_lo
	v_cmpx_ne_u16_e32 0x80, v1
	s_cbranch_execz .LBB337_655
; %bb.650:                              ;   in Loop: Header=BB337_488 Depth=1
	v_and_b32_e32 v1, 0xffff, v1
	v_mov_b32_e32 v26, 0x7f800001
	s_mov_b32 s15, exec_lo
	s_delay_alu instid0(VALU_DEP_2) | instskip(NEXT) | instid1(VALU_DEP_1)
	v_and_b32_e32 v28, 0x7f, v1
	v_cmpx_ne_u32_e32 0x7f, v28
	s_cbranch_execz .LBB337_654
; %bb.651:                              ;   in Loop: Header=BB337_488 Depth=1
	v_dual_mov_b32 v27, v17 :: v_dual_bitop2_b32 v26, 7, v1 bitop3:0x40
	v_lshrrev_b32_e32 v1, 3, v28
	s_mov_b32 s16, exec_lo
	v_cmpx_gt_u32_e32 8, v28
; %bb.652:                              ;   in Loop: Header=BB337_488 Depth=1
	s_delay_alu instid0(VALU_DEP_3) | instskip(NEXT) | instid1(VALU_DEP_1)
	v_clz_i32_u32_e32 v0, v26
	v_min_u32_e32 v28, 32, v0
	s_delay_alu instid0(VALU_DEP_1) | instskip(NEXT) | instid1(VALU_DEP_1)
	v_subrev_nc_u32_e32 v0, 28, v28
	v_lshlrev_b64_e32 v[0:1], v0, v[26:27]
	v_sub_nc_u32_e32 v1, 29, v28
	s_delay_alu instid0(VALU_DEP_2)
	v_and_b32_e32 v26, 7, v0
; %bb.653:                              ;   in Loop: Header=BB337_488 Depth=1
	s_or_b32 exec_lo, exec_lo, s16
	s_delay_alu instid0(VALU_DEP_1) | instskip(NEXT) | instid1(VALU_DEP_3)
	v_dual_lshlrev_b32 v0, 16, v16 :: v_dual_lshlrev_b32 v16, 20, v26
	v_lshl_add_u32 v1, v1, 23, 0x3c000000
	s_delay_alu instid0(VALU_DEP_2) | instskip(NEXT) | instid1(VALU_DEP_1)
	v_and_b32_e32 v0, 0x80000000, v0
	v_or3_b32 v26, v16, v0, v1
.LBB337_654:                            ;   in Loop: Header=BB337_488 Depth=1
	s_or_b32 exec_lo, exec_lo, s15
.LBB337_655:                            ;   in Loop: Header=BB337_488 Depth=1
	s_delay_alu instid0(SALU_CYCLE_1)
	s_or_b32 exec_lo, exec_lo, s14
.LBB337_656:                            ;   in Loop: Header=BB337_488 Depth=1
	s_delay_alu instid0(SALU_CYCLE_1) | instskip(SKIP_3) | instid1(VALU_DEP_2)
	s_or_b32 exec_lo, exec_lo, s11
	v_dual_lshrrev_b32 v1, 16, v25 :: v_dual_mov_b32 v27, 0
	v_mov_b32_e32 v28, 0
	s_mov_b32 s11, exec_lo
	v_and_b32_e32 v16, 0xff, v1
	s_delay_alu instid0(VALU_DEP_1)
	v_cmpx_ne_u16_e32 0, v16
	s_cbranch_execz .LBB337_664
; %bb.657:                              ;   in Loop: Header=BB337_488 Depth=1
	v_bfrev_b32_e32 v28, 1
	s_mov_b32 s14, exec_lo
	v_cmpx_ne_u16_e32 0x80, v16
	s_cbranch_execz .LBB337_663
; %bb.658:                              ;   in Loop: Header=BB337_488 Depth=1
	v_bfe_u32 v29, v25, 16, 7
	v_mov_b32_e32 v28, 0x7f800001
	s_mov_b32 s15, exec_lo
	s_delay_alu instid0(VALU_DEP_2)
	v_cmpx_ne_u32_e32 0x7f, v29
	s_cbranch_execz .LBB337_662
; %bb.659:                              ;   in Loop: Header=BB337_488 Depth=1
	v_and_b32_e32 v16, 7, v1
	v_lshrrev_b32_e32 v28, 3, v29
	s_mov_b32 s16, exec_lo
	v_cmpx_gt_u32_e32 8, v29
; %bb.660:                              ;   in Loop: Header=BB337_488 Depth=1
	s_delay_alu instid0(VALU_DEP_3) | instskip(NEXT) | instid1(VALU_DEP_1)
	v_clz_i32_u32_e32 v0, v16
	v_min_u32_e32 v0, 32, v0
	s_delay_alu instid0(VALU_DEP_1) | instskip(NEXT) | instid1(VALU_DEP_1)
	v_subrev_nc_u32_e32 v28, 28, v0
	v_lshlrev_b64_e32 v[66:67], v28, v[16:17]
	s_delay_alu instid0(VALU_DEP_1)
	v_dual_sub_nc_u32 v28, 29, v0 :: v_dual_bitop2_b32 v16, 7, v66 bitop3:0x40
; %bb.661:                              ;   in Loop: Header=BB337_488 Depth=1
	s_or_b32 exec_lo, exec_lo, s16
	s_delay_alu instid0(VALU_DEP_1) | instskip(NEXT) | instid1(VALU_DEP_2)
	v_dual_lshlrev_b32 v0, 24, v1 :: v_dual_lshlrev_b32 v1, 20, v16
	v_lshl_add_u32 v16, v28, 23, 0x3c000000
	s_delay_alu instid0(VALU_DEP_2) | instskip(NEXT) | instid1(VALU_DEP_1)
	v_and_b32_e32 v0, 0x80000000, v0
	v_or3_b32 v28, v1, v0, v16
.LBB337_662:                            ;   in Loop: Header=BB337_488 Depth=1
	s_or_b32 exec_lo, exec_lo, s15
.LBB337_663:                            ;   in Loop: Header=BB337_488 Depth=1
	s_delay_alu instid0(SALU_CYCLE_1)
	s_or_b32 exec_lo, exec_lo, s14
.LBB337_664:                            ;   in Loop: Header=BB337_488 Depth=1
	s_delay_alu instid0(SALU_CYCLE_1) | instskip(NEXT) | instid1(SALU_CYCLE_1)
	s_or_b32 exec_lo, exec_lo, s11
	s_mov_b32 s11, exec_lo
	v_cmpx_lt_u64_e64 s[2:3], v[24:25]
	s_cbranch_execz .LBB337_672
; %bb.665:                              ;   in Loop: Header=BB337_488 Depth=1
	v_lshrrev_b32_e32 v1, 24, v25
	v_bfrev_b32_e32 v27, 1
	s_mov_b32 s14, exec_lo
	s_delay_alu instid0(VALU_DEP_2)
	v_cmpx_ne_u32_e32 0x80, v1
	s_cbranch_execz .LBB337_671
; %bb.666:                              ;   in Loop: Header=BB337_488 Depth=1
	v_bfe_u32 v25, v25, 24, 7
	v_mov_b32_e32 v27, 0x7f800001
	s_mov_b32 s15, exec_lo
	s_delay_alu instid0(VALU_DEP_2)
	v_cmpx_ne_u32_e32 0x7f, v25
	s_cbranch_execz .LBB337_670
; %bb.667:                              ;   in Loop: Header=BB337_488 Depth=1
	v_and_b32_e32 v16, 7, v1
	v_lshrrev_b32_e32 v24, 3, v25
	s_mov_b32 s16, exec_lo
	v_cmpx_gt_u32_e32 8, v25
; %bb.668:                              ;   in Loop: Header=BB337_488 Depth=1
	s_delay_alu instid0(VALU_DEP_3) | instskip(NEXT) | instid1(VALU_DEP_1)
	v_clz_i32_u32_e32 v0, v16
	v_min_u32_e32 v0, 32, v0
	s_delay_alu instid0(VALU_DEP_1) | instskip(NEXT) | instid1(VALU_DEP_1)
	v_subrev_nc_u32_e32 v24, 28, v0
	v_lshlrev_b64_e32 v[66:67], v24, v[16:17]
	s_delay_alu instid0(VALU_DEP_1)
	v_dual_sub_nc_u32 v24, 29, v0 :: v_dual_bitop2_b32 v16, 7, v66 bitop3:0x40
; %bb.669:                              ;   in Loop: Header=BB337_488 Depth=1
	s_or_b32 exec_lo, exec_lo, s16
	s_delay_alu instid0(VALU_DEP_1) | instskip(NEXT) | instid1(VALU_DEP_2)
	v_dual_lshlrev_b32 v0, 24, v1 :: v_dual_lshlrev_b32 v1, 20, v16
	v_lshl_add_u32 v16, v24, 23, 0x3c000000
	s_delay_alu instid0(VALU_DEP_2) | instskip(NEXT) | instid1(VALU_DEP_1)
	v_and_b32_e32 v0, 0x80000000, v0
	v_or3_b32 v27, v1, v0, v16
.LBB337_670:                            ;   in Loop: Header=BB337_488 Depth=1
	s_or_b32 exec_lo, exec_lo, s15
.LBB337_671:                            ;   in Loop: Header=BB337_488 Depth=1
	s_delay_alu instid0(SALU_CYCLE_1)
	s_or_b32 exec_lo, exec_lo, s14
.LBB337_672:                            ;   in Loop: Header=BB337_488 Depth=1
	s_delay_alu instid0(SALU_CYCLE_1)
	s_or_b32 exec_lo, exec_lo, s11
	v_fma_mixlo_bf16 v61, s6, v26, 0
	v_fma_mixlo_bf16 v62, s6, v62, 0
	;; [unrolled: 1-line block ×8, first 2 shown]
	s_and_saveexec_b32 s11, vcc_lo
	s_cbranch_execz .LBB337_674
; %bb.673:                              ;   in Loop: Header=BB337_488 Depth=1
	v_cmp_gt_i32_e64 s0, s23, v44
	s_delay_alu instid0(VALU_DEP_1) | instskip(SKIP_1) | instid1(VALU_DEP_1)
	v_cndmask_b32_e64 v66, 0, v66, s0
	v_cmp_gt_i32_e64 s0, s23, v50
	v_cndmask_b32_e64 v65, 0, v65, s0
	v_cmp_gt_i32_e64 s0, s23, v49
	s_delay_alu instid0(VALU_DEP_1) | instskip(SKIP_1) | instid1(VALU_DEP_1)
	v_cndmask_b32_e64 v64, 0, v64, s0
	v_cmp_gt_i32_e64 s0, s23, v48
	v_cndmask_b32_e64 v63, 0, v63, s0
	;; [unrolled: 5-line block ×4, first 2 shown]
.LBB337_674:                            ;   in Loop: Header=BB337_488 Depth=1
	s_or_b32 exec_lo, exec_lo, s11
	global_load_b64 v[24:25], v[22:23], off offset:768
	v_dual_mov_b32 v68, 0 :: v_dual_mov_b32 v67, 0
	s_mov_b32 s11, exec_lo
	s_wait_loadcnt 0x0
	v_and_b32_e32 v1, 0xff, v24
	s_delay_alu instid0(VALU_DEP_1)
	v_cmpx_ne_u16_e32 0, v1
	s_cbranch_execz .LBB337_680
; %bb.675:                              ;   in Loop: Header=BB337_488 Depth=1
	v_bfrev_b32_e32 v67, 1
	s_mov_b32 s14, exec_lo
	v_cmpx_ne_u16_e32 0x80, v1
	s_cbranch_execz .LBB337_679
; %bb.676:                              ;   in Loop: Header=BB337_488 Depth=1
	v_and_b32_e32 v1, 0x7f, v24
	v_mov_b32_e32 v67, 0x7f800001
	s_mov_b32 s15, exec_lo
	s_delay_alu instid0(VALU_DEP_2)
	v_cmpx_ne_u32_e32 0x7f, v1
	s_cbranch_execz .LBB337_678
; %bb.677:                              ;   in Loop: Header=BB337_488 Depth=1
	v_dual_lshrrev_b32 v16, 3, v1 :: v_dual_bitop2_b32 v0, 7, v24 bitop3:0x40
	v_cmp_gt_u32_e64 s0, 8, v1
	s_delay_alu instid0(VALU_DEP_2) | instskip(NEXT) | instid1(VALU_DEP_1)
	v_clz_i32_u32_e32 v0, v0
	v_min_u32_e32 v0, 32, v0
	s_delay_alu instid0(VALU_DEP_1) | instskip(SKIP_1) | instid1(VALU_DEP_1)
	v_subrev_nc_u32_e32 v26, 28, v0
	v_sub_nc_u32_e32 v0, 29, v0
	v_dual_cndmask_b32 v16, v16, v0, s0 :: v_dual_cndmask_b32 v0, 0, v26, s0
	s_delay_alu instid0(VALU_DEP_1) | instskip(NEXT) | instid1(VALU_DEP_2)
	v_lshl_add_u32 v16, v16, 23, 0x3c000000
	v_lshlrev_b64_e32 v[0:1], v0, v[24:25]
	v_lshlrev_b32_e32 v1, 24, v24
	s_delay_alu instid0(VALU_DEP_1) | instskip(NEXT) | instid1(VALU_DEP_3)
	v_and_b32_e32 v1, 0x80000000, v1
	v_lshlrev_b32_e32 v0, 20, v0
	s_delay_alu instid0(VALU_DEP_1) | instskip(NEXT) | instid1(VALU_DEP_1)
	v_and_b32_e32 v0, 0x700000, v0
	v_or3_b32 v67, v0, v1, v16
.LBB337_678:                            ;   in Loop: Header=BB337_488 Depth=1
	s_or_b32 exec_lo, exec_lo, s15
.LBB337_679:                            ;   in Loop: Header=BB337_488 Depth=1
	s_delay_alu instid0(SALU_CYCLE_1)
	s_or_b32 exec_lo, exec_lo, s14
.LBB337_680:                            ;   in Loop: Header=BB337_488 Depth=1
	s_delay_alu instid0(SALU_CYCLE_1) | instskip(SKIP_2) | instid1(VALU_DEP_1)
	s_or_b32 exec_lo, exec_lo, s11
	v_lshrrev_b16 v1, 8, v24
	s_mov_b32 s11, exec_lo
	v_cmpx_ne_u16_e32 0, v1
	s_cbranch_execz .LBB337_688
; %bb.681:                              ;   in Loop: Header=BB337_488 Depth=1
	v_bfrev_b32_e32 v68, 1
	s_mov_b32 s14, exec_lo
	v_cmpx_ne_u16_e32 0x80, v1
	s_cbranch_execz .LBB337_687
; %bb.682:                              ;   in Loop: Header=BB337_488 Depth=1
	v_and_b32_e32 v1, 0xffff, v1
	v_mov_b32_e32 v68, 0x7f800001
	s_mov_b32 s15, exec_lo
	s_delay_alu instid0(VALU_DEP_2) | instskip(NEXT) | instid1(VALU_DEP_1)
	v_and_b32_e32 v26, 0x7f, v1
	v_cmpx_ne_u32_e32 0x7f, v26
	s_cbranch_execz .LBB337_686
; %bb.683:                              ;   in Loop: Header=BB337_488 Depth=1
	v_dual_lshrrev_b32 v1, 3, v26 :: v_dual_bitop2_b32 v16, 7, v1 bitop3:0x40
	s_mov_b32 s16, exec_lo
	v_cmpx_gt_u32_e32 8, v26
; %bb.684:                              ;   in Loop: Header=BB337_488 Depth=1
	s_delay_alu instid0(VALU_DEP_2) | instskip(NEXT) | instid1(VALU_DEP_1)
	v_clz_i32_u32_e32 v0, v16
	v_min_u32_e32 v26, 32, v0
	s_delay_alu instid0(VALU_DEP_1) | instskip(NEXT) | instid1(VALU_DEP_1)
	v_subrev_nc_u32_e32 v0, 28, v26
	v_lshlrev_b64_e32 v[0:1], v0, v[16:17]
	s_delay_alu instid0(VALU_DEP_1)
	v_dual_sub_nc_u32 v1, 29, v26 :: v_dual_bitop2_b32 v16, 7, v0 bitop3:0x40
; %bb.685:                              ;   in Loop: Header=BB337_488 Depth=1
	s_or_b32 exec_lo, exec_lo, s16
	v_lshlrev_b32_e32 v0, 16, v24
	s_delay_alu instid0(VALU_DEP_2) | instskip(NEXT) | instid1(VALU_DEP_3)
	v_lshlrev_b32_e32 v16, 20, v16
	v_lshl_add_u32 v1, v1, 23, 0x3c000000
	s_delay_alu instid0(VALU_DEP_3) | instskip(NEXT) | instid1(VALU_DEP_1)
	v_and_b32_e32 v0, 0x80000000, v0
	v_or3_b32 v68, v16, v0, v1
.LBB337_686:                            ;   in Loop: Header=BB337_488 Depth=1
	s_or_b32 exec_lo, exec_lo, s15
.LBB337_687:                            ;   in Loop: Header=BB337_488 Depth=1
	s_delay_alu instid0(SALU_CYCLE_1)
	s_or_b32 exec_lo, exec_lo, s14
.LBB337_688:                            ;   in Loop: Header=BB337_488 Depth=1
	s_delay_alu instid0(SALU_CYCLE_1) | instskip(SKIP_3) | instid1(VALU_DEP_2)
	s_or_b32 exec_lo, exec_lo, s11
	v_dual_lshrrev_b32 v1, 16, v24 :: v_dual_mov_b32 v71, 0
	v_mov_b32_e32 v72, 0
	s_mov_b32 s11, exec_lo
	v_and_b32_e32 v16, 0xff, v1
	s_delay_alu instid0(VALU_DEP_1)
	v_cmpx_ne_u16_e32 0, v16
	s_cbranch_execz .LBB337_696
; %bb.689:                              ;   in Loop: Header=BB337_488 Depth=1
	v_bfrev_b32_e32 v72, 1
	s_mov_b32 s14, exec_lo
	v_cmpx_ne_u16_e32 0x80, v16
	s_cbranch_execz .LBB337_695
; %bb.690:                              ;   in Loop: Header=BB337_488 Depth=1
	v_bfe_u32 v27, v24, 16, 7
	v_mov_b32_e32 v72, 0x7f800001
	s_mov_b32 s15, exec_lo
	s_delay_alu instid0(VALU_DEP_2)
	v_cmpx_ne_u32_e32 0x7f, v27
	s_cbranch_execz .LBB337_694
; %bb.691:                              ;   in Loop: Header=BB337_488 Depth=1
	v_dual_lshrrev_b32 v26, 3, v27 :: v_dual_bitop2_b32 v16, 7, v1 bitop3:0x40
	s_mov_b32 s16, exec_lo
	v_cmpx_gt_u32_e32 8, v27
; %bb.692:                              ;   in Loop: Header=BB337_488 Depth=1
	s_delay_alu instid0(VALU_DEP_2) | instskip(NEXT) | instid1(VALU_DEP_1)
	v_clz_i32_u32_e32 v0, v16
	v_min_u32_e32 v0, 32, v0
	s_delay_alu instid0(VALU_DEP_1) | instskip(NEXT) | instid1(VALU_DEP_1)
	v_subrev_nc_u32_e32 v26, 28, v0
	v_lshlrev_b64_e32 v[28:29], v26, v[16:17]
	v_sub_nc_u32_e32 v26, 29, v0
	s_delay_alu instid0(VALU_DEP_2)
	v_and_b32_e32 v16, 7, v28
; %bb.693:                              ;   in Loop: Header=BB337_488 Depth=1
	s_or_b32 exec_lo, exec_lo, s16
	s_delay_alu instid0(VALU_DEP_1) | instskip(NEXT) | instid1(VALU_DEP_3)
	v_dual_lshlrev_b32 v0, 24, v1 :: v_dual_lshlrev_b32 v1, 20, v16
	v_lshl_add_u32 v16, v26, 23, 0x3c000000
	s_delay_alu instid0(VALU_DEP_2) | instskip(NEXT) | instid1(VALU_DEP_1)
	v_and_b32_e32 v0, 0x80000000, v0
	v_or3_b32 v72, v1, v0, v16
.LBB337_694:                            ;   in Loop: Header=BB337_488 Depth=1
	s_or_b32 exec_lo, exec_lo, s15
.LBB337_695:                            ;   in Loop: Header=BB337_488 Depth=1
	s_delay_alu instid0(SALU_CYCLE_1)
	s_or_b32 exec_lo, exec_lo, s14
.LBB337_696:                            ;   in Loop: Header=BB337_488 Depth=1
	s_delay_alu instid0(SALU_CYCLE_1) | instskip(NEXT) | instid1(SALU_CYCLE_1)
	s_or_b32 exec_lo, exec_lo, s11
	s_mov_b32 s11, exec_lo
	v_cmpx_lt_u32_e32 0xffffff, v24
	s_cbranch_execz .LBB337_704
; %bb.697:                              ;   in Loop: Header=BB337_488 Depth=1
	v_lshrrev_b32_e32 v1, 24, v24
	v_bfrev_b32_e32 v71, 1
	s_mov_b32 s14, exec_lo
	s_delay_alu instid0(VALU_DEP_2)
	v_cmpx_ne_u32_e32 0x80, v1
	s_cbranch_execz .LBB337_703
; %bb.698:                              ;   in Loop: Header=BB337_488 Depth=1
	v_bfe_u32 v27, v24, 24, 7
	v_mov_b32_e32 v71, 0x7f800001
	s_mov_b32 s15, exec_lo
	s_delay_alu instid0(VALU_DEP_2)
	v_cmpx_ne_u32_e32 0x7f, v27
	s_cbranch_execz .LBB337_702
; %bb.699:                              ;   in Loop: Header=BB337_488 Depth=1
	v_dual_lshrrev_b32 v26, 3, v27 :: v_dual_bitop2_b32 v16, 7, v1 bitop3:0x40
	s_mov_b32 s16, exec_lo
	v_cmpx_gt_u32_e32 8, v27
; %bb.700:                              ;   in Loop: Header=BB337_488 Depth=1
	s_delay_alu instid0(VALU_DEP_2) | instskip(NEXT) | instid1(VALU_DEP_1)
	v_clz_i32_u32_e32 v0, v16
	v_min_u32_e32 v0, 32, v0
	s_delay_alu instid0(VALU_DEP_1) | instskip(NEXT) | instid1(VALU_DEP_1)
	v_subrev_nc_u32_e32 v26, 28, v0
	v_lshlrev_b64_e32 v[28:29], v26, v[16:17]
	v_sub_nc_u32_e32 v26, 29, v0
	s_delay_alu instid0(VALU_DEP_2)
	v_and_b32_e32 v16, 7, v28
; %bb.701:                              ;   in Loop: Header=BB337_488 Depth=1
	s_or_b32 exec_lo, exec_lo, s16
	s_delay_alu instid0(VALU_DEP_1) | instskip(NEXT) | instid1(VALU_DEP_3)
	v_dual_lshlrev_b32 v0, 24, v1 :: v_dual_lshlrev_b32 v1, 20, v16
	v_lshl_add_u32 v16, v26, 23, 0x3c000000
	s_delay_alu instid0(VALU_DEP_2) | instskip(NEXT) | instid1(VALU_DEP_1)
	v_and_b32_e32 v0, 0x80000000, v0
	v_or3_b32 v71, v1, v0, v16
.LBB337_702:                            ;   in Loop: Header=BB337_488 Depth=1
	s_or_b32 exec_lo, exec_lo, s15
.LBB337_703:                            ;   in Loop: Header=BB337_488 Depth=1
	s_delay_alu instid0(SALU_CYCLE_1)
	s_or_b32 exec_lo, exec_lo, s14
.LBB337_704:                            ;   in Loop: Header=BB337_488 Depth=1
	s_delay_alu instid0(SALU_CYCLE_1) | instskip(SKIP_4) | instid1(VALU_DEP_3)
	s_or_b32 exec_lo, exec_lo, s11
	v_and_b32_e32 v1, 0xff, v25
	v_dual_mov_b32 v16, v25 :: v_dual_mov_b32 v26, 0
	v_mov_b32_e32 v70, 0
	s_mov_b32 s11, exec_lo
	v_cmpx_ne_u16_e32 0, v1
	s_cbranch_execz .LBB337_710
; %bb.705:                              ;   in Loop: Header=BB337_488 Depth=1
	v_bfrev_b32_e32 v70, 1
	s_mov_b32 s14, exec_lo
	v_cmpx_ne_u16_e32 0x80, v1
	s_cbranch_execz .LBB337_709
; %bb.706:                              ;   in Loop: Header=BB337_488 Depth=1
	v_and_b32_e32 v1, 0x7f, v25
	v_mov_b32_e32 v70, 0x7f800001
	s_mov_b32 s15, exec_lo
	s_delay_alu instid0(VALU_DEP_2)
	v_cmpx_ne_u32_e32 0x7f, v1
	s_cbranch_execz .LBB337_708
; %bb.707:                              ;   in Loop: Header=BB337_488 Depth=1
	v_and_b32_e32 v0, 7, v25
	v_cmp_gt_u32_e64 s0, 8, v1
	s_delay_alu instid0(VALU_DEP_2) | instskip(NEXT) | instid1(VALU_DEP_1)
	v_clz_i32_u32_e32 v0, v0
	v_min_u32_e32 v0, 32, v0
	v_lshrrev_b32_e32 v27, 3, v1
	s_delay_alu instid0(VALU_DEP_2) | instskip(SKIP_1) | instid1(VALU_DEP_1)
	v_subrev_nc_u32_e32 v28, 28, v0
	v_sub_nc_u32_e32 v0, 29, v0
	v_cndmask_b32_e64 v27, v27, v0, s0
	s_delay_alu instid0(VALU_DEP_3) | instskip(NEXT) | instid1(VALU_DEP_1)
	v_cndmask_b32_e64 v0, 0, v28, s0
	v_lshlrev_b64_e32 v[0:1], v0, v[16:17]
	v_lshlrev_b32_e32 v1, 24, v16
	s_delay_alu instid0(VALU_DEP_1) | instskip(NEXT) | instid1(VALU_DEP_3)
	v_and_b32_e32 v1, 0x80000000, v1
	v_lshlrev_b32_e32 v0, 20, v0
	v_lshl_add_u32 v27, v27, 23, 0x3c000000
	s_delay_alu instid0(VALU_DEP_2) | instskip(NEXT) | instid1(VALU_DEP_1)
	v_and_b32_e32 v0, 0x700000, v0
	v_or3_b32 v70, v0, v1, v27
.LBB337_708:                            ;   in Loop: Header=BB337_488 Depth=1
	s_or_b32 exec_lo, exec_lo, s15
.LBB337_709:                            ;   in Loop: Header=BB337_488 Depth=1
	s_delay_alu instid0(SALU_CYCLE_1)
	s_or_b32 exec_lo, exec_lo, s14
.LBB337_710:                            ;   in Loop: Header=BB337_488 Depth=1
	s_delay_alu instid0(SALU_CYCLE_1) | instskip(SKIP_2) | instid1(VALU_DEP_1)
	s_or_b32 exec_lo, exec_lo, s11
	v_lshrrev_b16 v1, 8, v16
	s_mov_b32 s11, exec_lo
	v_cmpx_ne_u16_e32 0, v1
	s_cbranch_execz .LBB337_718
; %bb.711:                              ;   in Loop: Header=BB337_488 Depth=1
	v_bfrev_b32_e32 v26, 1
	s_mov_b32 s14, exec_lo
	v_cmpx_ne_u16_e32 0x80, v1
	s_cbranch_execz .LBB337_717
; %bb.712:                              ;   in Loop: Header=BB337_488 Depth=1
	v_and_b32_e32 v1, 0xffff, v1
	v_mov_b32_e32 v26, 0x7f800001
	s_mov_b32 s15, exec_lo
	s_delay_alu instid0(VALU_DEP_2) | instskip(NEXT) | instid1(VALU_DEP_1)
	v_and_b32_e32 v28, 0x7f, v1
	v_cmpx_ne_u32_e32 0x7f, v28
	s_cbranch_execz .LBB337_716
; %bb.713:                              ;   in Loop: Header=BB337_488 Depth=1
	v_dual_mov_b32 v27, v17 :: v_dual_bitop2_b32 v26, 7, v1 bitop3:0x40
	v_lshrrev_b32_e32 v1, 3, v28
	s_mov_b32 s16, exec_lo
	v_cmpx_gt_u32_e32 8, v28
; %bb.714:                              ;   in Loop: Header=BB337_488 Depth=1
	s_delay_alu instid0(VALU_DEP_3) | instskip(NEXT) | instid1(VALU_DEP_1)
	v_clz_i32_u32_e32 v0, v26
	v_min_u32_e32 v28, 32, v0
	s_delay_alu instid0(VALU_DEP_1) | instskip(NEXT) | instid1(VALU_DEP_1)
	v_subrev_nc_u32_e32 v0, 28, v28
	v_lshlrev_b64_e32 v[0:1], v0, v[26:27]
	v_sub_nc_u32_e32 v1, 29, v28
	s_delay_alu instid0(VALU_DEP_2)
	v_and_b32_e32 v26, 7, v0
; %bb.715:                              ;   in Loop: Header=BB337_488 Depth=1
	s_or_b32 exec_lo, exec_lo, s16
	s_delay_alu instid0(VALU_DEP_1) | instskip(NEXT) | instid1(VALU_DEP_3)
	v_dual_lshlrev_b32 v0, 16, v16 :: v_dual_lshlrev_b32 v16, 20, v26
	v_lshl_add_u32 v1, v1, 23, 0x3c000000
	s_delay_alu instid0(VALU_DEP_2) | instskip(NEXT) | instid1(VALU_DEP_1)
	v_and_b32_e32 v0, 0x80000000, v0
	v_or3_b32 v26, v16, v0, v1
.LBB337_716:                            ;   in Loop: Header=BB337_488 Depth=1
	s_or_b32 exec_lo, exec_lo, s15
.LBB337_717:                            ;   in Loop: Header=BB337_488 Depth=1
	s_delay_alu instid0(SALU_CYCLE_1)
	s_or_b32 exec_lo, exec_lo, s14
.LBB337_718:                            ;   in Loop: Header=BB337_488 Depth=1
	s_delay_alu instid0(SALU_CYCLE_1) | instskip(SKIP_3) | instid1(VALU_DEP_2)
	s_or_b32 exec_lo, exec_lo, s11
	v_dual_lshrrev_b32 v1, 16, v25 :: v_dual_mov_b32 v27, 0
	v_mov_b32_e32 v28, 0
	s_mov_b32 s11, exec_lo
	v_and_b32_e32 v16, 0xff, v1
	s_delay_alu instid0(VALU_DEP_1)
	v_cmpx_ne_u16_e32 0, v16
	s_cbranch_execz .LBB337_726
; %bb.719:                              ;   in Loop: Header=BB337_488 Depth=1
	v_bfrev_b32_e32 v28, 1
	s_mov_b32 s14, exec_lo
	v_cmpx_ne_u16_e32 0x80, v16
	s_cbranch_execz .LBB337_725
; %bb.720:                              ;   in Loop: Header=BB337_488 Depth=1
	v_bfe_u32 v29, v25, 16, 7
	v_mov_b32_e32 v28, 0x7f800001
	s_mov_b32 s15, exec_lo
	s_delay_alu instid0(VALU_DEP_2)
	v_cmpx_ne_u32_e32 0x7f, v29
	s_cbranch_execz .LBB337_724
; %bb.721:                              ;   in Loop: Header=BB337_488 Depth=1
	v_and_b32_e32 v16, 7, v1
	v_lshrrev_b32_e32 v28, 3, v29
	s_mov_b32 s16, exec_lo
	v_cmpx_gt_u32_e32 8, v29
; %bb.722:                              ;   in Loop: Header=BB337_488 Depth=1
	s_delay_alu instid0(VALU_DEP_3) | instskip(NEXT) | instid1(VALU_DEP_1)
	v_clz_i32_u32_e32 v0, v16
	v_min_u32_e32 v0, 32, v0
	s_delay_alu instid0(VALU_DEP_1) | instskip(NEXT) | instid1(VALU_DEP_1)
	v_subrev_nc_u32_e32 v28, 28, v0
	v_lshlrev_b64_e32 v[74:75], v28, v[16:17]
	s_delay_alu instid0(VALU_DEP_1)
	v_dual_sub_nc_u32 v28, 29, v0 :: v_dual_bitop2_b32 v16, 7, v74 bitop3:0x40
; %bb.723:                              ;   in Loop: Header=BB337_488 Depth=1
	s_or_b32 exec_lo, exec_lo, s16
	s_delay_alu instid0(VALU_DEP_1) | instskip(NEXT) | instid1(VALU_DEP_2)
	v_dual_lshlrev_b32 v0, 24, v1 :: v_dual_lshlrev_b32 v1, 20, v16
	v_lshl_add_u32 v16, v28, 23, 0x3c000000
	s_delay_alu instid0(VALU_DEP_2) | instskip(NEXT) | instid1(VALU_DEP_1)
	v_and_b32_e32 v0, 0x80000000, v0
	v_or3_b32 v28, v1, v0, v16
.LBB337_724:                            ;   in Loop: Header=BB337_488 Depth=1
	s_or_b32 exec_lo, exec_lo, s15
.LBB337_725:                            ;   in Loop: Header=BB337_488 Depth=1
	s_delay_alu instid0(SALU_CYCLE_1)
	s_or_b32 exec_lo, exec_lo, s14
.LBB337_726:                            ;   in Loop: Header=BB337_488 Depth=1
	s_delay_alu instid0(SALU_CYCLE_1) | instskip(NEXT) | instid1(SALU_CYCLE_1)
	s_or_b32 exec_lo, exec_lo, s11
	s_mov_b32 s11, exec_lo
	v_cmpx_lt_u64_e64 s[2:3], v[24:25]
	s_cbranch_execz .LBB337_734
; %bb.727:                              ;   in Loop: Header=BB337_488 Depth=1
	v_lshrrev_b32_e32 v1, 24, v25
	v_bfrev_b32_e32 v27, 1
	s_mov_b32 s14, exec_lo
	s_delay_alu instid0(VALU_DEP_2)
	v_cmpx_ne_u32_e32 0x80, v1
	s_cbranch_execz .LBB337_733
; %bb.728:                              ;   in Loop: Header=BB337_488 Depth=1
	v_bfe_u32 v25, v25, 24, 7
	v_mov_b32_e32 v27, 0x7f800001
	s_mov_b32 s15, exec_lo
	s_delay_alu instid0(VALU_DEP_2)
	v_cmpx_ne_u32_e32 0x7f, v25
	s_cbranch_execz .LBB337_732
; %bb.729:                              ;   in Loop: Header=BB337_488 Depth=1
	v_and_b32_e32 v16, 7, v1
	v_lshrrev_b32_e32 v24, 3, v25
	s_mov_b32 s16, exec_lo
	v_cmpx_gt_u32_e32 8, v25
; %bb.730:                              ;   in Loop: Header=BB337_488 Depth=1
	s_delay_alu instid0(VALU_DEP_3) | instskip(NEXT) | instid1(VALU_DEP_1)
	v_clz_i32_u32_e32 v0, v16
	v_min_u32_e32 v0, 32, v0
	s_delay_alu instid0(VALU_DEP_1) | instskip(NEXT) | instid1(VALU_DEP_1)
	v_subrev_nc_u32_e32 v24, 28, v0
	v_lshlrev_b64_e32 v[74:75], v24, v[16:17]
	s_delay_alu instid0(VALU_DEP_1)
	v_dual_sub_nc_u32 v24, 29, v0 :: v_dual_bitop2_b32 v16, 7, v74 bitop3:0x40
; %bb.731:                              ;   in Loop: Header=BB337_488 Depth=1
	s_or_b32 exec_lo, exec_lo, s16
	s_delay_alu instid0(VALU_DEP_1) | instskip(NEXT) | instid1(VALU_DEP_2)
	v_dual_lshlrev_b32 v0, 24, v1 :: v_dual_lshlrev_b32 v1, 20, v16
	v_lshl_add_u32 v16, v24, 23, 0x3c000000
	s_delay_alu instid0(VALU_DEP_2) | instskip(NEXT) | instid1(VALU_DEP_1)
	v_and_b32_e32 v0, 0x80000000, v0
	v_or3_b32 v27, v1, v0, v16
.LBB337_732:                            ;   in Loop: Header=BB337_488 Depth=1
	s_or_b32 exec_lo, exec_lo, s15
.LBB337_733:                            ;   in Loop: Header=BB337_488 Depth=1
	s_delay_alu instid0(SALU_CYCLE_1)
	s_or_b32 exec_lo, exec_lo, s14
.LBB337_734:                            ;   in Loop: Header=BB337_488 Depth=1
	s_delay_alu instid0(SALU_CYCLE_1)
	s_or_b32 exec_lo, exec_lo, s11
	v_fma_mixlo_bf16 v69, s6, v26, 0
	v_fma_mixlo_bf16 v70, s6, v70, 0
	v_fma_mixlo_bf16 v71, s6, v71, 0
	v_fma_mixlo_bf16 v72, s6, v72, 0
	v_fma_mixlo_bf16 v73, s6, v68, 0
	v_fma_mixlo_bf16 v74, s6, v67, 0
	v_fma_mixlo_bf16 v67, s6, v28, 0
	v_fma_mixlo_bf16 v68, s6, v27, 0
	s_and_saveexec_b32 s11, vcc_lo
	s_cbranch_execz .LBB337_736
; %bb.735:                              ;   in Loop: Header=BB337_488 Depth=1
	v_cmp_gt_i32_e64 s0, s23, v44
	s_delay_alu instid0(VALU_DEP_1) | instskip(SKIP_1) | instid1(VALU_DEP_1)
	v_cndmask_b32_e64 v74, 0, v74, s0
	v_cmp_gt_i32_e64 s0, s23, v50
	v_cndmask_b32_e64 v73, 0, v73, s0
	v_cmp_gt_i32_e64 s0, s23, v49
	s_delay_alu instid0(VALU_DEP_1) | instskip(SKIP_1) | instid1(VALU_DEP_1)
	v_cndmask_b32_e64 v72, 0, v72, s0
	v_cmp_gt_i32_e64 s0, s23, v48
	v_cndmask_b32_e64 v71, 0, v71, s0
	;; [unrolled: 5-line block ×4, first 2 shown]
.LBB337_736:                            ;   in Loop: Header=BB337_488 Depth=1
	s_or_b32 exec_lo, exec_lo, s11
	global_load_b64 v[24:25], v[22:23], off offset:1024
	v_dual_mov_b32 v76, 0 :: v_dual_mov_b32 v75, 0
	s_mov_b32 s11, exec_lo
	s_wait_loadcnt 0x0
	v_and_b32_e32 v1, 0xff, v24
	s_delay_alu instid0(VALU_DEP_1)
	v_cmpx_ne_u16_e32 0, v1
	s_cbranch_execz .LBB337_742
; %bb.737:                              ;   in Loop: Header=BB337_488 Depth=1
	v_bfrev_b32_e32 v75, 1
	s_mov_b32 s14, exec_lo
	v_cmpx_ne_u16_e32 0x80, v1
	s_cbranch_execz .LBB337_741
; %bb.738:                              ;   in Loop: Header=BB337_488 Depth=1
	v_and_b32_e32 v1, 0x7f, v24
	v_mov_b32_e32 v75, 0x7f800001
	s_mov_b32 s15, exec_lo
	s_delay_alu instid0(VALU_DEP_2)
	v_cmpx_ne_u32_e32 0x7f, v1
	s_cbranch_execz .LBB337_740
; %bb.739:                              ;   in Loop: Header=BB337_488 Depth=1
	v_dual_lshrrev_b32 v16, 3, v1 :: v_dual_bitop2_b32 v0, 7, v24 bitop3:0x40
	v_cmp_gt_u32_e64 s0, 8, v1
	s_delay_alu instid0(VALU_DEP_2) | instskip(NEXT) | instid1(VALU_DEP_1)
	v_clz_i32_u32_e32 v0, v0
	v_min_u32_e32 v0, 32, v0
	s_delay_alu instid0(VALU_DEP_1) | instskip(SKIP_1) | instid1(VALU_DEP_1)
	v_subrev_nc_u32_e32 v26, 28, v0
	v_sub_nc_u32_e32 v0, 29, v0
	v_dual_cndmask_b32 v16, v16, v0, s0 :: v_dual_cndmask_b32 v0, 0, v26, s0
	s_delay_alu instid0(VALU_DEP_1) | instskip(NEXT) | instid1(VALU_DEP_2)
	v_lshl_add_u32 v16, v16, 23, 0x3c000000
	v_lshlrev_b64_e32 v[0:1], v0, v[24:25]
	v_lshlrev_b32_e32 v1, 24, v24
	s_delay_alu instid0(VALU_DEP_1) | instskip(NEXT) | instid1(VALU_DEP_3)
	v_and_b32_e32 v1, 0x80000000, v1
	v_lshlrev_b32_e32 v0, 20, v0
	s_delay_alu instid0(VALU_DEP_1) | instskip(NEXT) | instid1(VALU_DEP_1)
	v_and_b32_e32 v0, 0x700000, v0
	v_or3_b32 v75, v0, v1, v16
.LBB337_740:                            ;   in Loop: Header=BB337_488 Depth=1
	s_or_b32 exec_lo, exec_lo, s15
.LBB337_741:                            ;   in Loop: Header=BB337_488 Depth=1
	s_delay_alu instid0(SALU_CYCLE_1)
	s_or_b32 exec_lo, exec_lo, s14
.LBB337_742:                            ;   in Loop: Header=BB337_488 Depth=1
	s_delay_alu instid0(SALU_CYCLE_1) | instskip(SKIP_2) | instid1(VALU_DEP_1)
	s_or_b32 exec_lo, exec_lo, s11
	v_lshrrev_b16 v1, 8, v24
	s_mov_b32 s11, exec_lo
	v_cmpx_ne_u16_e32 0, v1
	s_cbranch_execz .LBB337_750
; %bb.743:                              ;   in Loop: Header=BB337_488 Depth=1
	v_bfrev_b32_e32 v76, 1
	s_mov_b32 s14, exec_lo
	v_cmpx_ne_u16_e32 0x80, v1
	s_cbranch_execz .LBB337_749
; %bb.744:                              ;   in Loop: Header=BB337_488 Depth=1
	v_and_b32_e32 v1, 0xffff, v1
	v_mov_b32_e32 v76, 0x7f800001
	s_mov_b32 s15, exec_lo
	s_delay_alu instid0(VALU_DEP_2) | instskip(NEXT) | instid1(VALU_DEP_1)
	v_and_b32_e32 v26, 0x7f, v1
	v_cmpx_ne_u32_e32 0x7f, v26
	s_cbranch_execz .LBB337_748
; %bb.745:                              ;   in Loop: Header=BB337_488 Depth=1
	v_dual_lshrrev_b32 v1, 3, v26 :: v_dual_bitop2_b32 v16, 7, v1 bitop3:0x40
	s_mov_b32 s16, exec_lo
	v_cmpx_gt_u32_e32 8, v26
; %bb.746:                              ;   in Loop: Header=BB337_488 Depth=1
	s_delay_alu instid0(VALU_DEP_2) | instskip(NEXT) | instid1(VALU_DEP_1)
	v_clz_i32_u32_e32 v0, v16
	v_min_u32_e32 v26, 32, v0
	s_delay_alu instid0(VALU_DEP_1) | instskip(NEXT) | instid1(VALU_DEP_1)
	v_subrev_nc_u32_e32 v0, 28, v26
	v_lshlrev_b64_e32 v[0:1], v0, v[16:17]
	s_delay_alu instid0(VALU_DEP_1)
	v_dual_sub_nc_u32 v1, 29, v26 :: v_dual_bitop2_b32 v16, 7, v0 bitop3:0x40
; %bb.747:                              ;   in Loop: Header=BB337_488 Depth=1
	s_or_b32 exec_lo, exec_lo, s16
	v_lshlrev_b32_e32 v0, 16, v24
	s_delay_alu instid0(VALU_DEP_2) | instskip(NEXT) | instid1(VALU_DEP_3)
	v_lshlrev_b32_e32 v16, 20, v16
	v_lshl_add_u32 v1, v1, 23, 0x3c000000
	s_delay_alu instid0(VALU_DEP_3) | instskip(NEXT) | instid1(VALU_DEP_1)
	v_and_b32_e32 v0, 0x80000000, v0
	v_or3_b32 v76, v16, v0, v1
.LBB337_748:                            ;   in Loop: Header=BB337_488 Depth=1
	s_or_b32 exec_lo, exec_lo, s15
.LBB337_749:                            ;   in Loop: Header=BB337_488 Depth=1
	s_delay_alu instid0(SALU_CYCLE_1)
	s_or_b32 exec_lo, exec_lo, s14
.LBB337_750:                            ;   in Loop: Header=BB337_488 Depth=1
	s_delay_alu instid0(SALU_CYCLE_1) | instskip(SKIP_3) | instid1(VALU_DEP_2)
	s_or_b32 exec_lo, exec_lo, s11
	v_dual_lshrrev_b32 v1, 16, v24 :: v_dual_mov_b32 v79, 0
	v_mov_b32_e32 v80, 0
	s_mov_b32 s11, exec_lo
	v_and_b32_e32 v16, 0xff, v1
	s_delay_alu instid0(VALU_DEP_1)
	v_cmpx_ne_u16_e32 0, v16
	s_cbranch_execz .LBB337_758
; %bb.751:                              ;   in Loop: Header=BB337_488 Depth=1
	v_bfrev_b32_e32 v80, 1
	s_mov_b32 s14, exec_lo
	v_cmpx_ne_u16_e32 0x80, v16
	s_cbranch_execz .LBB337_757
; %bb.752:                              ;   in Loop: Header=BB337_488 Depth=1
	v_bfe_u32 v27, v24, 16, 7
	v_mov_b32_e32 v80, 0x7f800001
	s_mov_b32 s15, exec_lo
	s_delay_alu instid0(VALU_DEP_2)
	v_cmpx_ne_u32_e32 0x7f, v27
	s_cbranch_execz .LBB337_756
; %bb.753:                              ;   in Loop: Header=BB337_488 Depth=1
	v_dual_lshrrev_b32 v26, 3, v27 :: v_dual_bitop2_b32 v16, 7, v1 bitop3:0x40
	s_mov_b32 s16, exec_lo
	v_cmpx_gt_u32_e32 8, v27
; %bb.754:                              ;   in Loop: Header=BB337_488 Depth=1
	s_delay_alu instid0(VALU_DEP_2) | instskip(NEXT) | instid1(VALU_DEP_1)
	v_clz_i32_u32_e32 v0, v16
	v_min_u32_e32 v0, 32, v0
	s_delay_alu instid0(VALU_DEP_1) | instskip(NEXT) | instid1(VALU_DEP_1)
	v_subrev_nc_u32_e32 v26, 28, v0
	v_lshlrev_b64_e32 v[28:29], v26, v[16:17]
	v_sub_nc_u32_e32 v26, 29, v0
	s_delay_alu instid0(VALU_DEP_2)
	v_and_b32_e32 v16, 7, v28
; %bb.755:                              ;   in Loop: Header=BB337_488 Depth=1
	s_or_b32 exec_lo, exec_lo, s16
	s_delay_alu instid0(VALU_DEP_1) | instskip(NEXT) | instid1(VALU_DEP_3)
	v_dual_lshlrev_b32 v0, 24, v1 :: v_dual_lshlrev_b32 v1, 20, v16
	v_lshl_add_u32 v16, v26, 23, 0x3c000000
	s_delay_alu instid0(VALU_DEP_2) | instskip(NEXT) | instid1(VALU_DEP_1)
	v_and_b32_e32 v0, 0x80000000, v0
	v_or3_b32 v80, v1, v0, v16
.LBB337_756:                            ;   in Loop: Header=BB337_488 Depth=1
	s_or_b32 exec_lo, exec_lo, s15
.LBB337_757:                            ;   in Loop: Header=BB337_488 Depth=1
	s_delay_alu instid0(SALU_CYCLE_1)
	s_or_b32 exec_lo, exec_lo, s14
.LBB337_758:                            ;   in Loop: Header=BB337_488 Depth=1
	s_delay_alu instid0(SALU_CYCLE_1) | instskip(NEXT) | instid1(SALU_CYCLE_1)
	s_or_b32 exec_lo, exec_lo, s11
	s_mov_b32 s11, exec_lo
	v_cmpx_lt_u32_e32 0xffffff, v24
	s_cbranch_execz .LBB337_766
; %bb.759:                              ;   in Loop: Header=BB337_488 Depth=1
	v_lshrrev_b32_e32 v1, 24, v24
	v_bfrev_b32_e32 v79, 1
	s_mov_b32 s14, exec_lo
	s_delay_alu instid0(VALU_DEP_2)
	v_cmpx_ne_u32_e32 0x80, v1
	s_cbranch_execz .LBB337_765
; %bb.760:                              ;   in Loop: Header=BB337_488 Depth=1
	v_bfe_u32 v27, v24, 24, 7
	v_mov_b32_e32 v79, 0x7f800001
	s_mov_b32 s15, exec_lo
	s_delay_alu instid0(VALU_DEP_2)
	v_cmpx_ne_u32_e32 0x7f, v27
	s_cbranch_execz .LBB337_764
; %bb.761:                              ;   in Loop: Header=BB337_488 Depth=1
	v_dual_lshrrev_b32 v26, 3, v27 :: v_dual_bitop2_b32 v16, 7, v1 bitop3:0x40
	s_mov_b32 s16, exec_lo
	v_cmpx_gt_u32_e32 8, v27
; %bb.762:                              ;   in Loop: Header=BB337_488 Depth=1
	s_delay_alu instid0(VALU_DEP_2) | instskip(NEXT) | instid1(VALU_DEP_1)
	v_clz_i32_u32_e32 v0, v16
	v_min_u32_e32 v0, 32, v0
	s_delay_alu instid0(VALU_DEP_1) | instskip(NEXT) | instid1(VALU_DEP_1)
	v_subrev_nc_u32_e32 v26, 28, v0
	v_lshlrev_b64_e32 v[28:29], v26, v[16:17]
	v_sub_nc_u32_e32 v26, 29, v0
	s_delay_alu instid0(VALU_DEP_2)
	v_and_b32_e32 v16, 7, v28
; %bb.763:                              ;   in Loop: Header=BB337_488 Depth=1
	s_or_b32 exec_lo, exec_lo, s16
	s_delay_alu instid0(VALU_DEP_1) | instskip(NEXT) | instid1(VALU_DEP_3)
	v_dual_lshlrev_b32 v0, 24, v1 :: v_dual_lshlrev_b32 v1, 20, v16
	v_lshl_add_u32 v16, v26, 23, 0x3c000000
	s_delay_alu instid0(VALU_DEP_2) | instskip(NEXT) | instid1(VALU_DEP_1)
	v_and_b32_e32 v0, 0x80000000, v0
	v_or3_b32 v79, v1, v0, v16
.LBB337_764:                            ;   in Loop: Header=BB337_488 Depth=1
	s_or_b32 exec_lo, exec_lo, s15
.LBB337_765:                            ;   in Loop: Header=BB337_488 Depth=1
	s_delay_alu instid0(SALU_CYCLE_1)
	s_or_b32 exec_lo, exec_lo, s14
.LBB337_766:                            ;   in Loop: Header=BB337_488 Depth=1
	s_delay_alu instid0(SALU_CYCLE_1) | instskip(SKIP_4) | instid1(VALU_DEP_3)
	s_or_b32 exec_lo, exec_lo, s11
	v_and_b32_e32 v1, 0xff, v25
	v_dual_mov_b32 v16, v25 :: v_dual_mov_b32 v26, 0
	v_mov_b32_e32 v78, 0
	s_mov_b32 s11, exec_lo
	v_cmpx_ne_u16_e32 0, v1
	s_cbranch_execz .LBB337_772
; %bb.767:                              ;   in Loop: Header=BB337_488 Depth=1
	v_bfrev_b32_e32 v78, 1
	s_mov_b32 s14, exec_lo
	v_cmpx_ne_u16_e32 0x80, v1
	s_cbranch_execz .LBB337_771
; %bb.768:                              ;   in Loop: Header=BB337_488 Depth=1
	v_and_b32_e32 v1, 0x7f, v25
	v_mov_b32_e32 v78, 0x7f800001
	s_mov_b32 s15, exec_lo
	s_delay_alu instid0(VALU_DEP_2)
	v_cmpx_ne_u32_e32 0x7f, v1
	s_cbranch_execz .LBB337_770
; %bb.769:                              ;   in Loop: Header=BB337_488 Depth=1
	v_and_b32_e32 v0, 7, v25
	v_cmp_gt_u32_e64 s0, 8, v1
	s_delay_alu instid0(VALU_DEP_2) | instskip(NEXT) | instid1(VALU_DEP_1)
	v_clz_i32_u32_e32 v0, v0
	v_min_u32_e32 v0, 32, v0
	v_lshrrev_b32_e32 v27, 3, v1
	s_delay_alu instid0(VALU_DEP_2) | instskip(SKIP_1) | instid1(VALU_DEP_1)
	v_subrev_nc_u32_e32 v28, 28, v0
	v_sub_nc_u32_e32 v0, 29, v0
	v_cndmask_b32_e64 v27, v27, v0, s0
	s_delay_alu instid0(VALU_DEP_3) | instskip(NEXT) | instid1(VALU_DEP_1)
	v_cndmask_b32_e64 v0, 0, v28, s0
	v_lshlrev_b64_e32 v[0:1], v0, v[16:17]
	v_lshlrev_b32_e32 v1, 24, v16
	s_delay_alu instid0(VALU_DEP_1) | instskip(NEXT) | instid1(VALU_DEP_3)
	v_and_b32_e32 v1, 0x80000000, v1
	v_lshlrev_b32_e32 v0, 20, v0
	v_lshl_add_u32 v27, v27, 23, 0x3c000000
	s_delay_alu instid0(VALU_DEP_2) | instskip(NEXT) | instid1(VALU_DEP_1)
	v_and_b32_e32 v0, 0x700000, v0
	v_or3_b32 v78, v0, v1, v27
.LBB337_770:                            ;   in Loop: Header=BB337_488 Depth=1
	s_or_b32 exec_lo, exec_lo, s15
.LBB337_771:                            ;   in Loop: Header=BB337_488 Depth=1
	s_delay_alu instid0(SALU_CYCLE_1)
	s_or_b32 exec_lo, exec_lo, s14
.LBB337_772:                            ;   in Loop: Header=BB337_488 Depth=1
	s_delay_alu instid0(SALU_CYCLE_1) | instskip(SKIP_2) | instid1(VALU_DEP_1)
	s_or_b32 exec_lo, exec_lo, s11
	v_lshrrev_b16 v1, 8, v16
	s_mov_b32 s11, exec_lo
	v_cmpx_ne_u16_e32 0, v1
	s_cbranch_execz .LBB337_780
; %bb.773:                              ;   in Loop: Header=BB337_488 Depth=1
	v_bfrev_b32_e32 v26, 1
	s_mov_b32 s14, exec_lo
	v_cmpx_ne_u16_e32 0x80, v1
	s_cbranch_execz .LBB337_779
; %bb.774:                              ;   in Loop: Header=BB337_488 Depth=1
	v_and_b32_e32 v1, 0xffff, v1
	v_mov_b32_e32 v26, 0x7f800001
	s_mov_b32 s15, exec_lo
	s_delay_alu instid0(VALU_DEP_2) | instskip(NEXT) | instid1(VALU_DEP_1)
	v_and_b32_e32 v28, 0x7f, v1
	v_cmpx_ne_u32_e32 0x7f, v28
	s_cbranch_execz .LBB337_778
; %bb.775:                              ;   in Loop: Header=BB337_488 Depth=1
	v_dual_mov_b32 v27, v17 :: v_dual_bitop2_b32 v26, 7, v1 bitop3:0x40
	v_lshrrev_b32_e32 v1, 3, v28
	s_mov_b32 s16, exec_lo
	v_cmpx_gt_u32_e32 8, v28
; %bb.776:                              ;   in Loop: Header=BB337_488 Depth=1
	s_delay_alu instid0(VALU_DEP_3) | instskip(NEXT) | instid1(VALU_DEP_1)
	v_clz_i32_u32_e32 v0, v26
	v_min_u32_e32 v28, 32, v0
	s_delay_alu instid0(VALU_DEP_1) | instskip(NEXT) | instid1(VALU_DEP_1)
	v_subrev_nc_u32_e32 v0, 28, v28
	v_lshlrev_b64_e32 v[0:1], v0, v[26:27]
	v_sub_nc_u32_e32 v1, 29, v28
	s_delay_alu instid0(VALU_DEP_2)
	v_and_b32_e32 v26, 7, v0
; %bb.777:                              ;   in Loop: Header=BB337_488 Depth=1
	s_or_b32 exec_lo, exec_lo, s16
	s_delay_alu instid0(VALU_DEP_1) | instskip(NEXT) | instid1(VALU_DEP_3)
	v_dual_lshlrev_b32 v0, 16, v16 :: v_dual_lshlrev_b32 v16, 20, v26
	v_lshl_add_u32 v1, v1, 23, 0x3c000000
	s_delay_alu instid0(VALU_DEP_2) | instskip(NEXT) | instid1(VALU_DEP_1)
	v_and_b32_e32 v0, 0x80000000, v0
	v_or3_b32 v26, v16, v0, v1
.LBB337_778:                            ;   in Loop: Header=BB337_488 Depth=1
	s_or_b32 exec_lo, exec_lo, s15
.LBB337_779:                            ;   in Loop: Header=BB337_488 Depth=1
	s_delay_alu instid0(SALU_CYCLE_1)
	s_or_b32 exec_lo, exec_lo, s14
.LBB337_780:                            ;   in Loop: Header=BB337_488 Depth=1
	s_delay_alu instid0(SALU_CYCLE_1) | instskip(SKIP_3) | instid1(VALU_DEP_2)
	s_or_b32 exec_lo, exec_lo, s11
	v_dual_lshrrev_b32 v1, 16, v25 :: v_dual_mov_b32 v27, 0
	v_mov_b32_e32 v28, 0
	s_mov_b32 s11, exec_lo
	v_and_b32_e32 v16, 0xff, v1
	s_delay_alu instid0(VALU_DEP_1)
	v_cmpx_ne_u16_e32 0, v16
	s_cbranch_execz .LBB337_788
; %bb.781:                              ;   in Loop: Header=BB337_488 Depth=1
	v_bfrev_b32_e32 v28, 1
	s_mov_b32 s14, exec_lo
	v_cmpx_ne_u16_e32 0x80, v16
	s_cbranch_execz .LBB337_787
; %bb.782:                              ;   in Loop: Header=BB337_488 Depth=1
	v_bfe_u32 v29, v25, 16, 7
	v_mov_b32_e32 v28, 0x7f800001
	s_mov_b32 s15, exec_lo
	s_delay_alu instid0(VALU_DEP_2)
	v_cmpx_ne_u32_e32 0x7f, v29
	s_cbranch_execz .LBB337_786
; %bb.783:                              ;   in Loop: Header=BB337_488 Depth=1
	v_and_b32_e32 v16, 7, v1
	v_lshrrev_b32_e32 v28, 3, v29
	s_mov_b32 s16, exec_lo
	v_cmpx_gt_u32_e32 8, v29
; %bb.784:                              ;   in Loop: Header=BB337_488 Depth=1
	s_delay_alu instid0(VALU_DEP_3) | instskip(NEXT) | instid1(VALU_DEP_1)
	v_clz_i32_u32_e32 v0, v16
	v_min_u32_e32 v0, 32, v0
	s_delay_alu instid0(VALU_DEP_1) | instskip(NEXT) | instid1(VALU_DEP_1)
	v_subrev_nc_u32_e32 v28, 28, v0
	v_lshlrev_b64_e32 v[82:83], v28, v[16:17]
	s_delay_alu instid0(VALU_DEP_1)
	v_dual_sub_nc_u32 v28, 29, v0 :: v_dual_bitop2_b32 v16, 7, v82 bitop3:0x40
; %bb.785:                              ;   in Loop: Header=BB337_488 Depth=1
	s_or_b32 exec_lo, exec_lo, s16
	s_delay_alu instid0(VALU_DEP_1) | instskip(NEXT) | instid1(VALU_DEP_2)
	v_dual_lshlrev_b32 v0, 24, v1 :: v_dual_lshlrev_b32 v1, 20, v16
	v_lshl_add_u32 v16, v28, 23, 0x3c000000
	s_delay_alu instid0(VALU_DEP_2) | instskip(NEXT) | instid1(VALU_DEP_1)
	v_and_b32_e32 v0, 0x80000000, v0
	v_or3_b32 v28, v1, v0, v16
.LBB337_786:                            ;   in Loop: Header=BB337_488 Depth=1
	s_or_b32 exec_lo, exec_lo, s15
.LBB337_787:                            ;   in Loop: Header=BB337_488 Depth=1
	s_delay_alu instid0(SALU_CYCLE_1)
	s_or_b32 exec_lo, exec_lo, s14
.LBB337_788:                            ;   in Loop: Header=BB337_488 Depth=1
	s_delay_alu instid0(SALU_CYCLE_1) | instskip(NEXT) | instid1(SALU_CYCLE_1)
	s_or_b32 exec_lo, exec_lo, s11
	s_mov_b32 s11, exec_lo
	v_cmpx_lt_u64_e64 s[2:3], v[24:25]
	s_cbranch_execz .LBB337_796
; %bb.789:                              ;   in Loop: Header=BB337_488 Depth=1
	v_lshrrev_b32_e32 v1, 24, v25
	v_bfrev_b32_e32 v27, 1
	s_mov_b32 s14, exec_lo
	s_delay_alu instid0(VALU_DEP_2)
	v_cmpx_ne_u32_e32 0x80, v1
	s_cbranch_execz .LBB337_795
; %bb.790:                              ;   in Loop: Header=BB337_488 Depth=1
	v_bfe_u32 v25, v25, 24, 7
	v_mov_b32_e32 v27, 0x7f800001
	s_mov_b32 s15, exec_lo
	s_delay_alu instid0(VALU_DEP_2)
	v_cmpx_ne_u32_e32 0x7f, v25
	s_cbranch_execz .LBB337_794
; %bb.791:                              ;   in Loop: Header=BB337_488 Depth=1
	v_and_b32_e32 v16, 7, v1
	v_lshrrev_b32_e32 v24, 3, v25
	s_mov_b32 s16, exec_lo
	v_cmpx_gt_u32_e32 8, v25
; %bb.792:                              ;   in Loop: Header=BB337_488 Depth=1
	s_delay_alu instid0(VALU_DEP_3) | instskip(NEXT) | instid1(VALU_DEP_1)
	v_clz_i32_u32_e32 v0, v16
	v_min_u32_e32 v0, 32, v0
	s_delay_alu instid0(VALU_DEP_1) | instskip(NEXT) | instid1(VALU_DEP_1)
	v_subrev_nc_u32_e32 v24, 28, v0
	v_lshlrev_b64_e32 v[82:83], v24, v[16:17]
	s_delay_alu instid0(VALU_DEP_1)
	v_dual_sub_nc_u32 v24, 29, v0 :: v_dual_bitop2_b32 v16, 7, v82 bitop3:0x40
; %bb.793:                              ;   in Loop: Header=BB337_488 Depth=1
	s_or_b32 exec_lo, exec_lo, s16
	s_delay_alu instid0(VALU_DEP_1) | instskip(NEXT) | instid1(VALU_DEP_2)
	v_dual_lshlrev_b32 v0, 24, v1 :: v_dual_lshlrev_b32 v1, 20, v16
	v_lshl_add_u32 v16, v24, 23, 0x3c000000
	s_delay_alu instid0(VALU_DEP_2) | instskip(NEXT) | instid1(VALU_DEP_1)
	v_and_b32_e32 v0, 0x80000000, v0
	v_or3_b32 v27, v1, v0, v16
.LBB337_794:                            ;   in Loop: Header=BB337_488 Depth=1
	s_or_b32 exec_lo, exec_lo, s15
.LBB337_795:                            ;   in Loop: Header=BB337_488 Depth=1
	s_delay_alu instid0(SALU_CYCLE_1)
	s_or_b32 exec_lo, exec_lo, s14
.LBB337_796:                            ;   in Loop: Header=BB337_488 Depth=1
	s_delay_alu instid0(SALU_CYCLE_1)
	s_or_b32 exec_lo, exec_lo, s11
	v_fma_mixlo_bf16 v77, s6, v26, 0
	v_fma_mixlo_bf16 v78, s6, v78, 0
	;; [unrolled: 1-line block ×8, first 2 shown]
	s_and_saveexec_b32 s11, vcc_lo
	s_cbranch_execz .LBB337_798
; %bb.797:                              ;   in Loop: Header=BB337_488 Depth=1
	v_cmp_gt_i32_e64 s0, s23, v44
	s_delay_alu instid0(VALU_DEP_1) | instskip(SKIP_1) | instid1(VALU_DEP_1)
	v_cndmask_b32_e64 v82, 0, v82, s0
	v_cmp_gt_i32_e64 s0, s23, v50
	v_cndmask_b32_e64 v81, 0, v81, s0
	v_cmp_gt_i32_e64 s0, s23, v49
	s_delay_alu instid0(VALU_DEP_1) | instskip(SKIP_1) | instid1(VALU_DEP_1)
	v_cndmask_b32_e64 v80, 0, v80, s0
	v_cmp_gt_i32_e64 s0, s23, v48
	v_cndmask_b32_e64 v79, 0, v79, s0
	;; [unrolled: 5-line block ×4, first 2 shown]
.LBB337_798:                            ;   in Loop: Header=BB337_488 Depth=1
	s_or_b32 exec_lo, exec_lo, s11
	global_load_b64 v[24:25], v[22:23], off offset:1280
	v_dual_mov_b32 v87, 0 :: v_dual_mov_b32 v88, 0
	s_mov_b32 s11, exec_lo
	s_wait_loadcnt 0x0
	v_and_b32_e32 v1, 0xff, v24
	s_delay_alu instid0(VALU_DEP_1)
	v_cmpx_ne_u16_e32 0, v1
	s_cbranch_execz .LBB337_804
; %bb.799:                              ;   in Loop: Header=BB337_488 Depth=1
	v_bfrev_b32_e32 v88, 1
	s_mov_b32 s14, exec_lo
	v_cmpx_ne_u16_e32 0x80, v1
	s_cbranch_execz .LBB337_803
; %bb.800:                              ;   in Loop: Header=BB337_488 Depth=1
	v_and_b32_e32 v1, 0x7f, v24
	v_mov_b32_e32 v88, 0x7f800001
	s_mov_b32 s15, exec_lo
	s_delay_alu instid0(VALU_DEP_2)
	v_cmpx_ne_u32_e32 0x7f, v1
	s_cbranch_execz .LBB337_802
; %bb.801:                              ;   in Loop: Header=BB337_488 Depth=1
	v_dual_lshrrev_b32 v16, 3, v1 :: v_dual_bitop2_b32 v0, 7, v24 bitop3:0x40
	v_cmp_gt_u32_e64 s0, 8, v1
	s_delay_alu instid0(VALU_DEP_2) | instskip(NEXT) | instid1(VALU_DEP_1)
	v_clz_i32_u32_e32 v0, v0
	v_min_u32_e32 v0, 32, v0
	s_delay_alu instid0(VALU_DEP_1) | instskip(SKIP_1) | instid1(VALU_DEP_1)
	v_subrev_nc_u32_e32 v26, 28, v0
	v_sub_nc_u32_e32 v0, 29, v0
	v_dual_cndmask_b32 v16, v16, v0, s0 :: v_dual_cndmask_b32 v0, 0, v26, s0
	s_delay_alu instid0(VALU_DEP_1) | instskip(NEXT) | instid1(VALU_DEP_2)
	v_lshl_add_u32 v16, v16, 23, 0x3c000000
	v_lshlrev_b64_e32 v[0:1], v0, v[24:25]
	v_lshlrev_b32_e32 v1, 24, v24
	s_delay_alu instid0(VALU_DEP_1) | instskip(NEXT) | instid1(VALU_DEP_3)
	v_and_b32_e32 v1, 0x80000000, v1
	v_lshlrev_b32_e32 v0, 20, v0
	s_delay_alu instid0(VALU_DEP_1) | instskip(NEXT) | instid1(VALU_DEP_1)
	v_and_b32_e32 v0, 0x700000, v0
	v_or3_b32 v88, v0, v1, v16
.LBB337_802:                            ;   in Loop: Header=BB337_488 Depth=1
	s_or_b32 exec_lo, exec_lo, s15
.LBB337_803:                            ;   in Loop: Header=BB337_488 Depth=1
	s_delay_alu instid0(SALU_CYCLE_1)
	s_or_b32 exec_lo, exec_lo, s14
.LBB337_804:                            ;   in Loop: Header=BB337_488 Depth=1
	s_delay_alu instid0(SALU_CYCLE_1) | instskip(SKIP_2) | instid1(VALU_DEP_1)
	s_or_b32 exec_lo, exec_lo, s11
	v_lshrrev_b16 v1, 8, v24
	s_mov_b32 s11, exec_lo
	v_cmpx_ne_u16_e32 0, v1
	s_cbranch_execz .LBB337_812
; %bb.805:                              ;   in Loop: Header=BB337_488 Depth=1
	v_bfrev_b32_e32 v87, 1
	s_mov_b32 s14, exec_lo
	v_cmpx_ne_u16_e32 0x80, v1
	s_cbranch_execz .LBB337_811
; %bb.806:                              ;   in Loop: Header=BB337_488 Depth=1
	v_and_b32_e32 v1, 0xffff, v1
	v_mov_b32_e32 v87, 0x7f800001
	s_mov_b32 s15, exec_lo
	s_delay_alu instid0(VALU_DEP_2) | instskip(NEXT) | instid1(VALU_DEP_1)
	v_and_b32_e32 v26, 0x7f, v1
	v_cmpx_ne_u32_e32 0x7f, v26
	s_cbranch_execz .LBB337_810
; %bb.807:                              ;   in Loop: Header=BB337_488 Depth=1
	v_dual_lshrrev_b32 v1, 3, v26 :: v_dual_bitop2_b32 v16, 7, v1 bitop3:0x40
	s_mov_b32 s16, exec_lo
	v_cmpx_gt_u32_e32 8, v26
; %bb.808:                              ;   in Loop: Header=BB337_488 Depth=1
	s_delay_alu instid0(VALU_DEP_2) | instskip(NEXT) | instid1(VALU_DEP_1)
	v_clz_i32_u32_e32 v0, v16
	v_min_u32_e32 v26, 32, v0
	s_delay_alu instid0(VALU_DEP_1) | instskip(NEXT) | instid1(VALU_DEP_1)
	v_subrev_nc_u32_e32 v0, 28, v26
	v_lshlrev_b64_e32 v[0:1], v0, v[16:17]
	s_delay_alu instid0(VALU_DEP_1)
	v_dual_sub_nc_u32 v1, 29, v26 :: v_dual_bitop2_b32 v16, 7, v0 bitop3:0x40
; %bb.809:                              ;   in Loop: Header=BB337_488 Depth=1
	s_or_b32 exec_lo, exec_lo, s16
	v_lshlrev_b32_e32 v0, 16, v24
	s_delay_alu instid0(VALU_DEP_2) | instskip(NEXT) | instid1(VALU_DEP_3)
	v_lshlrev_b32_e32 v16, 20, v16
	v_lshl_add_u32 v1, v1, 23, 0x3c000000
	s_delay_alu instid0(VALU_DEP_3) | instskip(NEXT) | instid1(VALU_DEP_1)
	v_and_b32_e32 v0, 0x80000000, v0
	v_or3_b32 v87, v16, v0, v1
.LBB337_810:                            ;   in Loop: Header=BB337_488 Depth=1
	s_or_b32 exec_lo, exec_lo, s15
.LBB337_811:                            ;   in Loop: Header=BB337_488 Depth=1
	s_delay_alu instid0(SALU_CYCLE_1)
	s_or_b32 exec_lo, exec_lo, s14
.LBB337_812:                            ;   in Loop: Header=BB337_488 Depth=1
	s_delay_alu instid0(SALU_CYCLE_1) | instskip(SKIP_3) | instid1(VALU_DEP_2)
	s_or_b32 exec_lo, exec_lo, s11
	v_dual_lshrrev_b32 v1, 16, v24 :: v_dual_mov_b32 v85, 0
	v_mov_b32_e32 v86, 0
	s_mov_b32 s11, exec_lo
	v_and_b32_e32 v16, 0xff, v1
	s_delay_alu instid0(VALU_DEP_1)
	v_cmpx_ne_u16_e32 0, v16
	s_cbranch_execz .LBB337_820
; %bb.813:                              ;   in Loop: Header=BB337_488 Depth=1
	v_bfrev_b32_e32 v86, 1
	s_mov_b32 s14, exec_lo
	v_cmpx_ne_u16_e32 0x80, v16
	s_cbranch_execz .LBB337_819
; %bb.814:                              ;   in Loop: Header=BB337_488 Depth=1
	v_bfe_u32 v27, v24, 16, 7
	v_mov_b32_e32 v86, 0x7f800001
	s_mov_b32 s15, exec_lo
	s_delay_alu instid0(VALU_DEP_2)
	v_cmpx_ne_u32_e32 0x7f, v27
	s_cbranch_execz .LBB337_818
; %bb.815:                              ;   in Loop: Header=BB337_488 Depth=1
	v_dual_lshrrev_b32 v26, 3, v27 :: v_dual_bitop2_b32 v16, 7, v1 bitop3:0x40
	s_mov_b32 s16, exec_lo
	v_cmpx_gt_u32_e32 8, v27
; %bb.816:                              ;   in Loop: Header=BB337_488 Depth=1
	s_delay_alu instid0(VALU_DEP_2) | instskip(NEXT) | instid1(VALU_DEP_1)
	v_clz_i32_u32_e32 v0, v16
	v_min_u32_e32 v0, 32, v0
	s_delay_alu instid0(VALU_DEP_1) | instskip(NEXT) | instid1(VALU_DEP_1)
	v_subrev_nc_u32_e32 v26, 28, v0
	v_lshlrev_b64_e32 v[28:29], v26, v[16:17]
	v_sub_nc_u32_e32 v26, 29, v0
	s_delay_alu instid0(VALU_DEP_2)
	v_and_b32_e32 v16, 7, v28
; %bb.817:                              ;   in Loop: Header=BB337_488 Depth=1
	s_or_b32 exec_lo, exec_lo, s16
	s_delay_alu instid0(VALU_DEP_1) | instskip(NEXT) | instid1(VALU_DEP_3)
	v_dual_lshlrev_b32 v0, 24, v1 :: v_dual_lshlrev_b32 v1, 20, v16
	v_lshl_add_u32 v16, v26, 23, 0x3c000000
	s_delay_alu instid0(VALU_DEP_2) | instskip(NEXT) | instid1(VALU_DEP_1)
	v_and_b32_e32 v0, 0x80000000, v0
	v_or3_b32 v86, v1, v0, v16
.LBB337_818:                            ;   in Loop: Header=BB337_488 Depth=1
	s_or_b32 exec_lo, exec_lo, s15
.LBB337_819:                            ;   in Loop: Header=BB337_488 Depth=1
	s_delay_alu instid0(SALU_CYCLE_1)
	s_or_b32 exec_lo, exec_lo, s14
.LBB337_820:                            ;   in Loop: Header=BB337_488 Depth=1
	s_delay_alu instid0(SALU_CYCLE_1) | instskip(NEXT) | instid1(SALU_CYCLE_1)
	s_or_b32 exec_lo, exec_lo, s11
	s_mov_b32 s11, exec_lo
	v_cmpx_lt_u32_e32 0xffffff, v24
	s_cbranch_execz .LBB337_828
; %bb.821:                              ;   in Loop: Header=BB337_488 Depth=1
	v_lshrrev_b32_e32 v1, 24, v24
	v_bfrev_b32_e32 v85, 1
	s_mov_b32 s14, exec_lo
	s_delay_alu instid0(VALU_DEP_2)
	v_cmpx_ne_u32_e32 0x80, v1
	s_cbranch_execz .LBB337_827
; %bb.822:                              ;   in Loop: Header=BB337_488 Depth=1
	v_bfe_u32 v27, v24, 24, 7
	v_mov_b32_e32 v85, 0x7f800001
	s_mov_b32 s15, exec_lo
	s_delay_alu instid0(VALU_DEP_2)
	v_cmpx_ne_u32_e32 0x7f, v27
	s_cbranch_execz .LBB337_826
; %bb.823:                              ;   in Loop: Header=BB337_488 Depth=1
	v_dual_lshrrev_b32 v26, 3, v27 :: v_dual_bitop2_b32 v16, 7, v1 bitop3:0x40
	s_mov_b32 s16, exec_lo
	v_cmpx_gt_u32_e32 8, v27
; %bb.824:                              ;   in Loop: Header=BB337_488 Depth=1
	s_delay_alu instid0(VALU_DEP_2) | instskip(NEXT) | instid1(VALU_DEP_1)
	v_clz_i32_u32_e32 v0, v16
	v_min_u32_e32 v0, 32, v0
	s_delay_alu instid0(VALU_DEP_1) | instskip(NEXT) | instid1(VALU_DEP_1)
	v_subrev_nc_u32_e32 v26, 28, v0
	v_lshlrev_b64_e32 v[28:29], v26, v[16:17]
	v_sub_nc_u32_e32 v26, 29, v0
	s_delay_alu instid0(VALU_DEP_2)
	v_and_b32_e32 v16, 7, v28
; %bb.825:                              ;   in Loop: Header=BB337_488 Depth=1
	s_or_b32 exec_lo, exec_lo, s16
	s_delay_alu instid0(VALU_DEP_1) | instskip(NEXT) | instid1(VALU_DEP_3)
	v_dual_lshlrev_b32 v0, 24, v1 :: v_dual_lshlrev_b32 v1, 20, v16
	v_lshl_add_u32 v16, v26, 23, 0x3c000000
	s_delay_alu instid0(VALU_DEP_2) | instskip(NEXT) | instid1(VALU_DEP_1)
	v_and_b32_e32 v0, 0x80000000, v0
	v_or3_b32 v85, v1, v0, v16
.LBB337_826:                            ;   in Loop: Header=BB337_488 Depth=1
	s_or_b32 exec_lo, exec_lo, s15
.LBB337_827:                            ;   in Loop: Header=BB337_488 Depth=1
	s_delay_alu instid0(SALU_CYCLE_1)
	s_or_b32 exec_lo, exec_lo, s14
.LBB337_828:                            ;   in Loop: Header=BB337_488 Depth=1
	s_delay_alu instid0(SALU_CYCLE_1) | instskip(SKIP_4) | instid1(VALU_DEP_3)
	s_or_b32 exec_lo, exec_lo, s11
	v_and_b32_e32 v1, 0xff, v25
	v_dual_mov_b32 v16, v25 :: v_dual_mov_b32 v26, 0
	v_mov_b32_e32 v84, 0
	s_mov_b32 s11, exec_lo
	v_cmpx_ne_u16_e32 0, v1
	s_cbranch_execz .LBB337_834
; %bb.829:                              ;   in Loop: Header=BB337_488 Depth=1
	v_bfrev_b32_e32 v84, 1
	s_mov_b32 s14, exec_lo
	v_cmpx_ne_u16_e32 0x80, v1
	s_cbranch_execz .LBB337_833
; %bb.830:                              ;   in Loop: Header=BB337_488 Depth=1
	v_and_b32_e32 v1, 0x7f, v25
	v_mov_b32_e32 v84, 0x7f800001
	s_mov_b32 s15, exec_lo
	s_delay_alu instid0(VALU_DEP_2)
	v_cmpx_ne_u32_e32 0x7f, v1
	s_cbranch_execz .LBB337_832
; %bb.831:                              ;   in Loop: Header=BB337_488 Depth=1
	v_and_b32_e32 v0, 7, v25
	v_cmp_gt_u32_e64 s0, 8, v1
	s_delay_alu instid0(VALU_DEP_2) | instskip(NEXT) | instid1(VALU_DEP_1)
	v_clz_i32_u32_e32 v0, v0
	v_min_u32_e32 v0, 32, v0
	v_lshrrev_b32_e32 v27, 3, v1
	s_delay_alu instid0(VALU_DEP_2) | instskip(SKIP_1) | instid1(VALU_DEP_1)
	v_subrev_nc_u32_e32 v28, 28, v0
	v_sub_nc_u32_e32 v0, 29, v0
	v_cndmask_b32_e64 v27, v27, v0, s0
	s_delay_alu instid0(VALU_DEP_3) | instskip(NEXT) | instid1(VALU_DEP_1)
	v_cndmask_b32_e64 v0, 0, v28, s0
	v_lshlrev_b64_e32 v[0:1], v0, v[16:17]
	v_lshlrev_b32_e32 v1, 24, v16
	s_delay_alu instid0(VALU_DEP_1) | instskip(NEXT) | instid1(VALU_DEP_3)
	v_and_b32_e32 v1, 0x80000000, v1
	v_lshlrev_b32_e32 v0, 20, v0
	v_lshl_add_u32 v27, v27, 23, 0x3c000000
	s_delay_alu instid0(VALU_DEP_2) | instskip(NEXT) | instid1(VALU_DEP_1)
	v_and_b32_e32 v0, 0x700000, v0
	v_or3_b32 v84, v0, v1, v27
.LBB337_832:                            ;   in Loop: Header=BB337_488 Depth=1
	s_or_b32 exec_lo, exec_lo, s15
.LBB337_833:                            ;   in Loop: Header=BB337_488 Depth=1
	s_delay_alu instid0(SALU_CYCLE_1)
	s_or_b32 exec_lo, exec_lo, s14
.LBB337_834:                            ;   in Loop: Header=BB337_488 Depth=1
	s_delay_alu instid0(SALU_CYCLE_1) | instskip(SKIP_2) | instid1(VALU_DEP_1)
	s_or_b32 exec_lo, exec_lo, s11
	v_lshrrev_b16 v1, 8, v16
	s_mov_b32 s11, exec_lo
	v_cmpx_ne_u16_e32 0, v1
	s_cbranch_execz .LBB337_842
; %bb.835:                              ;   in Loop: Header=BB337_488 Depth=1
	v_bfrev_b32_e32 v26, 1
	s_mov_b32 s14, exec_lo
	v_cmpx_ne_u16_e32 0x80, v1
	s_cbranch_execz .LBB337_841
; %bb.836:                              ;   in Loop: Header=BB337_488 Depth=1
	v_and_b32_e32 v1, 0xffff, v1
	v_mov_b32_e32 v26, 0x7f800001
	s_mov_b32 s15, exec_lo
	s_delay_alu instid0(VALU_DEP_2) | instskip(NEXT) | instid1(VALU_DEP_1)
	v_and_b32_e32 v28, 0x7f, v1
	v_cmpx_ne_u32_e32 0x7f, v28
	s_cbranch_execz .LBB337_840
; %bb.837:                              ;   in Loop: Header=BB337_488 Depth=1
	v_dual_mov_b32 v27, v17 :: v_dual_bitop2_b32 v26, 7, v1 bitop3:0x40
	v_lshrrev_b32_e32 v1, 3, v28
	s_mov_b32 s16, exec_lo
	v_cmpx_gt_u32_e32 8, v28
; %bb.838:                              ;   in Loop: Header=BB337_488 Depth=1
	s_delay_alu instid0(VALU_DEP_3) | instskip(NEXT) | instid1(VALU_DEP_1)
	v_clz_i32_u32_e32 v0, v26
	v_min_u32_e32 v28, 32, v0
	s_delay_alu instid0(VALU_DEP_1) | instskip(NEXT) | instid1(VALU_DEP_1)
	v_subrev_nc_u32_e32 v0, 28, v28
	v_lshlrev_b64_e32 v[0:1], v0, v[26:27]
	v_sub_nc_u32_e32 v1, 29, v28
	s_delay_alu instid0(VALU_DEP_2)
	v_and_b32_e32 v26, 7, v0
; %bb.839:                              ;   in Loop: Header=BB337_488 Depth=1
	s_or_b32 exec_lo, exec_lo, s16
	s_delay_alu instid0(VALU_DEP_1) | instskip(NEXT) | instid1(VALU_DEP_3)
	v_dual_lshlrev_b32 v0, 16, v16 :: v_dual_lshlrev_b32 v16, 20, v26
	v_lshl_add_u32 v1, v1, 23, 0x3c000000
	s_delay_alu instid0(VALU_DEP_2) | instskip(NEXT) | instid1(VALU_DEP_1)
	v_and_b32_e32 v0, 0x80000000, v0
	v_or3_b32 v26, v16, v0, v1
.LBB337_840:                            ;   in Loop: Header=BB337_488 Depth=1
	s_or_b32 exec_lo, exec_lo, s15
.LBB337_841:                            ;   in Loop: Header=BB337_488 Depth=1
	s_delay_alu instid0(SALU_CYCLE_1)
	s_or_b32 exec_lo, exec_lo, s14
.LBB337_842:                            ;   in Loop: Header=BB337_488 Depth=1
	s_delay_alu instid0(SALU_CYCLE_1) | instskip(SKIP_3) | instid1(VALU_DEP_2)
	s_or_b32 exec_lo, exec_lo, s11
	v_dual_lshrrev_b32 v1, 16, v25 :: v_dual_mov_b32 v27, 0
	v_mov_b32_e32 v28, 0
	s_mov_b32 s11, exec_lo
	v_and_b32_e32 v16, 0xff, v1
	s_delay_alu instid0(VALU_DEP_1)
	v_cmpx_ne_u16_e32 0, v16
	s_cbranch_execz .LBB337_850
; %bb.843:                              ;   in Loop: Header=BB337_488 Depth=1
	v_bfrev_b32_e32 v28, 1
	s_mov_b32 s14, exec_lo
	v_cmpx_ne_u16_e32 0x80, v16
	s_cbranch_execz .LBB337_849
; %bb.844:                              ;   in Loop: Header=BB337_488 Depth=1
	v_bfe_u32 v29, v25, 16, 7
	v_mov_b32_e32 v28, 0x7f800001
	s_mov_b32 s15, exec_lo
	s_delay_alu instid0(VALU_DEP_2)
	v_cmpx_ne_u32_e32 0x7f, v29
	s_cbranch_execz .LBB337_848
; %bb.845:                              ;   in Loop: Header=BB337_488 Depth=1
	v_and_b32_e32 v16, 7, v1
	v_lshrrev_b32_e32 v28, 3, v29
	s_mov_b32 s16, exec_lo
	v_cmpx_gt_u32_e32 8, v29
; %bb.846:                              ;   in Loop: Header=BB337_488 Depth=1
	s_delay_alu instid0(VALU_DEP_3) | instskip(NEXT) | instid1(VALU_DEP_1)
	v_clz_i32_u32_e32 v0, v16
	v_min_u32_e32 v0, 32, v0
	s_delay_alu instid0(VALU_DEP_1) | instskip(NEXT) | instid1(VALU_DEP_1)
	v_subrev_nc_u32_e32 v28, 28, v0
	v_lshlrev_b64_e32 v[90:91], v28, v[16:17]
	s_delay_alu instid0(VALU_DEP_1)
	v_dual_sub_nc_u32 v28, 29, v0 :: v_dual_bitop2_b32 v16, 7, v90 bitop3:0x40
; %bb.847:                              ;   in Loop: Header=BB337_488 Depth=1
	s_or_b32 exec_lo, exec_lo, s16
	s_delay_alu instid0(VALU_DEP_1) | instskip(NEXT) | instid1(VALU_DEP_2)
	v_dual_lshlrev_b32 v0, 24, v1 :: v_dual_lshlrev_b32 v1, 20, v16
	v_lshl_add_u32 v16, v28, 23, 0x3c000000
	s_delay_alu instid0(VALU_DEP_2) | instskip(NEXT) | instid1(VALU_DEP_1)
	v_and_b32_e32 v0, 0x80000000, v0
	v_or3_b32 v28, v1, v0, v16
.LBB337_848:                            ;   in Loop: Header=BB337_488 Depth=1
	s_or_b32 exec_lo, exec_lo, s15
.LBB337_849:                            ;   in Loop: Header=BB337_488 Depth=1
	s_delay_alu instid0(SALU_CYCLE_1)
	s_or_b32 exec_lo, exec_lo, s14
.LBB337_850:                            ;   in Loop: Header=BB337_488 Depth=1
	s_delay_alu instid0(SALU_CYCLE_1) | instskip(NEXT) | instid1(SALU_CYCLE_1)
	s_or_b32 exec_lo, exec_lo, s11
	s_mov_b32 s11, exec_lo
	v_cmpx_lt_u64_e64 s[2:3], v[24:25]
	s_cbranch_execz .LBB337_858
; %bb.851:                              ;   in Loop: Header=BB337_488 Depth=1
	v_lshrrev_b32_e32 v1, 24, v25
	v_bfrev_b32_e32 v27, 1
	s_mov_b32 s14, exec_lo
	s_delay_alu instid0(VALU_DEP_2)
	v_cmpx_ne_u32_e32 0x80, v1
	s_cbranch_execz .LBB337_857
; %bb.852:                              ;   in Loop: Header=BB337_488 Depth=1
	v_bfe_u32 v25, v25, 24, 7
	v_mov_b32_e32 v27, 0x7f800001
	s_mov_b32 s15, exec_lo
	s_delay_alu instid0(VALU_DEP_2)
	v_cmpx_ne_u32_e32 0x7f, v25
	s_cbranch_execz .LBB337_856
; %bb.853:                              ;   in Loop: Header=BB337_488 Depth=1
	v_and_b32_e32 v16, 7, v1
	v_lshrrev_b32_e32 v24, 3, v25
	s_mov_b32 s16, exec_lo
	v_cmpx_gt_u32_e32 8, v25
; %bb.854:                              ;   in Loop: Header=BB337_488 Depth=1
	s_delay_alu instid0(VALU_DEP_3) | instskip(NEXT) | instid1(VALU_DEP_1)
	v_clz_i32_u32_e32 v0, v16
	v_min_u32_e32 v0, 32, v0
	s_delay_alu instid0(VALU_DEP_1) | instskip(NEXT) | instid1(VALU_DEP_1)
	v_subrev_nc_u32_e32 v24, 28, v0
	v_lshlrev_b64_e32 v[90:91], v24, v[16:17]
	s_delay_alu instid0(VALU_DEP_1)
	v_dual_sub_nc_u32 v24, 29, v0 :: v_dual_bitop2_b32 v16, 7, v90 bitop3:0x40
; %bb.855:                              ;   in Loop: Header=BB337_488 Depth=1
	s_or_b32 exec_lo, exec_lo, s16
	s_delay_alu instid0(VALU_DEP_1) | instskip(NEXT) | instid1(VALU_DEP_2)
	v_dual_lshlrev_b32 v0, 24, v1 :: v_dual_lshlrev_b32 v1, 20, v16
	v_lshl_add_u32 v16, v24, 23, 0x3c000000
	s_delay_alu instid0(VALU_DEP_2) | instskip(NEXT) | instid1(VALU_DEP_1)
	v_and_b32_e32 v0, 0x80000000, v0
	v_or3_b32 v27, v1, v0, v16
.LBB337_856:                            ;   in Loop: Header=BB337_488 Depth=1
	s_or_b32 exec_lo, exec_lo, s15
.LBB337_857:                            ;   in Loop: Header=BB337_488 Depth=1
	s_delay_alu instid0(SALU_CYCLE_1)
	s_or_b32 exec_lo, exec_lo, s14
.LBB337_858:                            ;   in Loop: Header=BB337_488 Depth=1
	s_delay_alu instid0(SALU_CYCLE_1)
	s_or_b32 exec_lo, exec_lo, s11
	v_fma_mixlo_bf16 v83, s6, v26, 0
	v_fma_mixlo_bf16 v84, s6, v84, 0
	;; [unrolled: 1-line block ×8, first 2 shown]
	s_and_saveexec_b32 s11, vcc_lo
	s_cbranch_execz .LBB337_860
; %bb.859:                              ;   in Loop: Header=BB337_488 Depth=1
	v_cmp_gt_i32_e64 s0, s23, v44
	s_delay_alu instid0(VALU_DEP_1) | instskip(SKIP_1) | instid1(VALU_DEP_1)
	v_cndmask_b32_e64 v88, 0, v88, s0
	v_cmp_gt_i32_e64 s0, s23, v50
	v_cndmask_b32_e64 v87, 0, v87, s0
	v_cmp_gt_i32_e64 s0, s23, v49
	s_delay_alu instid0(VALU_DEP_1) | instskip(SKIP_1) | instid1(VALU_DEP_1)
	v_cndmask_b32_e64 v86, 0, v86, s0
	v_cmp_gt_i32_e64 s0, s23, v48
	v_cndmask_b32_e64 v85, 0, v85, s0
	;; [unrolled: 5-line block ×4, first 2 shown]
.LBB337_860:                            ;   in Loop: Header=BB337_488 Depth=1
	s_or_b32 exec_lo, exec_lo, s11
	global_load_b64 v[22:23], v[22:23], off offset:1536
	v_dual_mov_b32 v90, 0 :: v_dual_mov_b32 v89, 0
	s_mov_b32 s11, exec_lo
	s_wait_loadcnt 0x0
	v_and_b32_e32 v1, 0xff, v22
	s_delay_alu instid0(VALU_DEP_1)
	v_cmpx_ne_u16_e32 0, v1
	s_cbranch_execz .LBB337_866
; %bb.861:                              ;   in Loop: Header=BB337_488 Depth=1
	v_bfrev_b32_e32 v89, 1
	s_mov_b32 s14, exec_lo
	v_cmpx_ne_u16_e32 0x80, v1
	s_cbranch_execz .LBB337_865
; %bb.862:                              ;   in Loop: Header=BB337_488 Depth=1
	v_and_b32_e32 v1, 0x7f, v22
	v_mov_b32_e32 v89, 0x7f800001
	s_mov_b32 s15, exec_lo
	s_delay_alu instid0(VALU_DEP_2)
	v_cmpx_ne_u32_e32 0x7f, v1
	s_cbranch_execz .LBB337_864
; %bb.863:                              ;   in Loop: Header=BB337_488 Depth=1
	v_dual_lshrrev_b32 v16, 3, v1 :: v_dual_bitop2_b32 v0, 7, v22 bitop3:0x40
	v_cmp_gt_u32_e64 s0, 8, v1
	s_delay_alu instid0(VALU_DEP_2) | instskip(NEXT) | instid1(VALU_DEP_1)
	v_clz_i32_u32_e32 v0, v0
	v_min_u32_e32 v0, 32, v0
	s_delay_alu instid0(VALU_DEP_1) | instskip(SKIP_1) | instid1(VALU_DEP_1)
	v_subrev_nc_u32_e32 v24, 28, v0
	v_sub_nc_u32_e32 v0, 29, v0
	v_cndmask_b32_e64 v16, v16, v0, s0
	s_delay_alu instid0(VALU_DEP_3) | instskip(NEXT) | instid1(VALU_DEP_1)
	v_cndmask_b32_e64 v0, 0, v24, s0
	v_lshlrev_b64_e32 v[0:1], v0, v[22:23]
	v_lshlrev_b32_e32 v1, 24, v22
	s_delay_alu instid0(VALU_DEP_1) | instskip(NEXT) | instid1(VALU_DEP_3)
	v_and_b32_e32 v1, 0x80000000, v1
	v_lshlrev_b32_e32 v0, 20, v0
	v_lshl_add_u32 v16, v16, 23, 0x3c000000
	s_delay_alu instid0(VALU_DEP_2) | instskip(NEXT) | instid1(VALU_DEP_1)
	v_and_b32_e32 v0, 0x700000, v0
	v_or3_b32 v89, v0, v1, v16
.LBB337_864:                            ;   in Loop: Header=BB337_488 Depth=1
	s_or_b32 exec_lo, exec_lo, s15
.LBB337_865:                            ;   in Loop: Header=BB337_488 Depth=1
	s_delay_alu instid0(SALU_CYCLE_1)
	s_or_b32 exec_lo, exec_lo, s14
.LBB337_866:                            ;   in Loop: Header=BB337_488 Depth=1
	s_delay_alu instid0(SALU_CYCLE_1) | instskip(SKIP_2) | instid1(VALU_DEP_1)
	s_or_b32 exec_lo, exec_lo, s11
	v_lshrrev_b16 v1, 8, v22
	s_mov_b32 s11, exec_lo
	v_cmpx_ne_u16_e32 0, v1
	s_cbranch_execz .LBB337_874
; %bb.867:                              ;   in Loop: Header=BB337_488 Depth=1
	v_bfrev_b32_e32 v90, 1
	s_mov_b32 s14, exec_lo
	v_cmpx_ne_u16_e32 0x80, v1
	s_cbranch_execz .LBB337_873
; %bb.868:                              ;   in Loop: Header=BB337_488 Depth=1
	v_and_b32_e32 v1, 0xffff, v1
	v_mov_b32_e32 v90, 0x7f800001
	s_mov_b32 s15, exec_lo
	s_delay_alu instid0(VALU_DEP_2) | instskip(NEXT) | instid1(VALU_DEP_1)
	v_and_b32_e32 v24, 0x7f, v1
	v_cmpx_ne_u32_e32 0x7f, v24
	s_cbranch_execz .LBB337_872
; %bb.869:                              ;   in Loop: Header=BB337_488 Depth=1
	v_dual_lshrrev_b32 v1, 3, v24 :: v_dual_bitop2_b32 v16, 7, v1 bitop3:0x40
	s_mov_b32 s16, exec_lo
	v_cmpx_gt_u32_e32 8, v24
; %bb.870:                              ;   in Loop: Header=BB337_488 Depth=1
	s_delay_alu instid0(VALU_DEP_2) | instskip(NEXT) | instid1(VALU_DEP_1)
	v_clz_i32_u32_e32 v0, v16
	v_min_u32_e32 v24, 32, v0
	s_delay_alu instid0(VALU_DEP_1) | instskip(NEXT) | instid1(VALU_DEP_1)
	v_subrev_nc_u32_e32 v0, 28, v24
	v_lshlrev_b64_e32 v[0:1], v0, v[16:17]
	v_sub_nc_u32_e32 v1, 29, v24
	s_delay_alu instid0(VALU_DEP_2)
	v_and_b32_e32 v16, 7, v0
; %bb.871:                              ;   in Loop: Header=BB337_488 Depth=1
	s_or_b32 exec_lo, exec_lo, s16
	s_delay_alu instid0(VALU_DEP_1) | instskip(NEXT) | instid1(VALU_DEP_3)
	v_dual_lshlrev_b32 v0, 16, v22 :: v_dual_lshlrev_b32 v16, 20, v16
	v_lshl_add_u32 v1, v1, 23, 0x3c000000
	s_delay_alu instid0(VALU_DEP_2) | instskip(NEXT) | instid1(VALU_DEP_1)
	v_and_b32_e32 v0, 0x80000000, v0
	v_or3_b32 v90, v16, v0, v1
.LBB337_872:                            ;   in Loop: Header=BB337_488 Depth=1
	s_or_b32 exec_lo, exec_lo, s15
.LBB337_873:                            ;   in Loop: Header=BB337_488 Depth=1
	s_delay_alu instid0(SALU_CYCLE_1)
	s_or_b32 exec_lo, exec_lo, s14
.LBB337_874:                            ;   in Loop: Header=BB337_488 Depth=1
	s_delay_alu instid0(SALU_CYCLE_1) | instskip(SKIP_3) | instid1(VALU_DEP_2)
	s_or_b32 exec_lo, exec_lo, s11
	v_dual_mov_b32 v92, 0 :: v_dual_lshrrev_b32 v1, 16, v22
	v_mov_b32_e32 v91, 0
	s_mov_b32 s11, exec_lo
	v_and_b32_e32 v16, 0xff, v1
	s_delay_alu instid0(VALU_DEP_1)
	v_cmpx_ne_u16_e32 0, v16
	s_cbranch_execz .LBB337_882
; %bb.875:                              ;   in Loop: Header=BB337_488 Depth=1
	v_bfrev_b32_e32 v91, 1
	s_mov_b32 s14, exec_lo
	v_cmpx_ne_u16_e32 0x80, v16
	s_cbranch_execz .LBB337_881
; %bb.876:                              ;   in Loop: Header=BB337_488 Depth=1
	v_bfe_u32 v25, v22, 16, 7
	v_mov_b32_e32 v91, 0x7f800001
	s_mov_b32 s15, exec_lo
	s_delay_alu instid0(VALU_DEP_2)
	v_cmpx_ne_u32_e32 0x7f, v25
	s_cbranch_execz .LBB337_880
; %bb.877:                              ;   in Loop: Header=BB337_488 Depth=1
	v_and_b32_e32 v16, 7, v1
	v_lshrrev_b32_e32 v24, 3, v25
	s_mov_b32 s16, exec_lo
	v_cmpx_gt_u32_e32 8, v25
; %bb.878:                              ;   in Loop: Header=BB337_488 Depth=1
	s_delay_alu instid0(VALU_DEP_3) | instskip(NEXT) | instid1(VALU_DEP_1)
	v_clz_i32_u32_e32 v0, v16
	v_min_u32_e32 v0, 32, v0
	s_delay_alu instid0(VALU_DEP_1) | instskip(NEXT) | instid1(VALU_DEP_1)
	v_subrev_nc_u32_e32 v24, 28, v0
	v_lshlrev_b64_e32 v[28:29], v24, v[16:17]
	v_sub_nc_u32_e32 v24, 29, v0
	s_delay_alu instid0(VALU_DEP_2)
	v_and_b32_e32 v16, 7, v28
; %bb.879:                              ;   in Loop: Header=BB337_488 Depth=1
	s_or_b32 exec_lo, exec_lo, s16
	s_delay_alu instid0(VALU_DEP_1) | instskip(NEXT) | instid1(VALU_DEP_3)
	v_dual_lshlrev_b32 v0, 24, v1 :: v_dual_lshlrev_b32 v1, 20, v16
	v_lshl_add_u32 v16, v24, 23, 0x3c000000
	s_delay_alu instid0(VALU_DEP_2) | instskip(NEXT) | instid1(VALU_DEP_1)
	v_and_b32_e32 v0, 0x80000000, v0
	v_or3_b32 v91, v1, v0, v16
.LBB337_880:                            ;   in Loop: Header=BB337_488 Depth=1
	s_or_b32 exec_lo, exec_lo, s15
.LBB337_881:                            ;   in Loop: Header=BB337_488 Depth=1
	s_delay_alu instid0(SALU_CYCLE_1)
	s_or_b32 exec_lo, exec_lo, s14
.LBB337_882:                            ;   in Loop: Header=BB337_488 Depth=1
	s_delay_alu instid0(SALU_CYCLE_1) | instskip(NEXT) | instid1(SALU_CYCLE_1)
	s_or_b32 exec_lo, exec_lo, s11
	s_mov_b32 s11, exec_lo
	v_cmpx_lt_u32_e32 0xffffff, v22
	s_cbranch_execz .LBB337_890
; %bb.883:                              ;   in Loop: Header=BB337_488 Depth=1
	v_lshrrev_b32_e32 v1, 24, v22
	v_bfrev_b32_e32 v92, 1
	s_mov_b32 s14, exec_lo
	s_delay_alu instid0(VALU_DEP_2)
	v_cmpx_ne_u32_e32 0x80, v1
	s_cbranch_execz .LBB337_889
; %bb.884:                              ;   in Loop: Header=BB337_488 Depth=1
	v_bfe_u32 v25, v22, 24, 7
	v_mov_b32_e32 v92, 0x7f800001
	s_mov_b32 s15, exec_lo
	s_delay_alu instid0(VALU_DEP_2)
	v_cmpx_ne_u32_e32 0x7f, v25
	s_cbranch_execz .LBB337_888
; %bb.885:                              ;   in Loop: Header=BB337_488 Depth=1
	v_and_b32_e32 v16, 7, v1
	v_lshrrev_b32_e32 v24, 3, v25
	s_mov_b32 s16, exec_lo
	v_cmpx_gt_u32_e32 8, v25
; %bb.886:                              ;   in Loop: Header=BB337_488 Depth=1
	s_delay_alu instid0(VALU_DEP_3) | instskip(NEXT) | instid1(VALU_DEP_1)
	v_clz_i32_u32_e32 v0, v16
	v_min_u32_e32 v0, 32, v0
	s_delay_alu instid0(VALU_DEP_1) | instskip(NEXT) | instid1(VALU_DEP_1)
	v_subrev_nc_u32_e32 v24, 28, v0
	v_lshlrev_b64_e32 v[28:29], v24, v[16:17]
	v_sub_nc_u32_e32 v24, 29, v0
	s_delay_alu instid0(VALU_DEP_2)
	v_and_b32_e32 v16, 7, v28
; %bb.887:                              ;   in Loop: Header=BB337_488 Depth=1
	s_or_b32 exec_lo, exec_lo, s16
	s_delay_alu instid0(VALU_DEP_1) | instskip(NEXT) | instid1(VALU_DEP_3)
	v_dual_lshlrev_b32 v0, 24, v1 :: v_dual_lshlrev_b32 v1, 20, v16
	v_lshl_add_u32 v16, v24, 23, 0x3c000000
	s_delay_alu instid0(VALU_DEP_2) | instskip(NEXT) | instid1(VALU_DEP_1)
	v_and_b32_e32 v0, 0x80000000, v0
	v_or3_b32 v92, v1, v0, v16
.LBB337_888:                            ;   in Loop: Header=BB337_488 Depth=1
	s_or_b32 exec_lo, exec_lo, s15
.LBB337_889:                            ;   in Loop: Header=BB337_488 Depth=1
	s_delay_alu instid0(SALU_CYCLE_1)
	s_or_b32 exec_lo, exec_lo, s14
.LBB337_890:                            ;   in Loop: Header=BB337_488 Depth=1
	s_delay_alu instid0(SALU_CYCLE_1) | instskip(SKIP_4) | instid1(VALU_DEP_3)
	s_or_b32 exec_lo, exec_lo, s11
	v_and_b32_e32 v1, 0xff, v23
	v_dual_mov_b32 v16, v23 :: v_dual_mov_b32 v24, 0
	v_mov_b32_e32 v93, 0
	s_mov_b32 s11, exec_lo
	v_cmpx_ne_u16_e32 0, v1
	s_cbranch_execz .LBB337_896
; %bb.891:                              ;   in Loop: Header=BB337_488 Depth=1
	v_bfrev_b32_e32 v93, 1
	s_mov_b32 s14, exec_lo
	v_cmpx_ne_u16_e32 0x80, v1
	s_cbranch_execz .LBB337_895
; %bb.892:                              ;   in Loop: Header=BB337_488 Depth=1
	v_and_b32_e32 v1, 0x7f, v23
	v_mov_b32_e32 v93, 0x7f800001
	s_mov_b32 s15, exec_lo
	s_delay_alu instid0(VALU_DEP_2)
	v_cmpx_ne_u32_e32 0x7f, v1
	s_cbranch_execz .LBB337_894
; %bb.893:                              ;   in Loop: Header=BB337_488 Depth=1
	v_dual_lshrrev_b32 v25, 3, v1 :: v_dual_bitop2_b32 v0, 7, v23 bitop3:0x40
	v_cmp_gt_u32_e64 s0, 8, v1
	s_delay_alu instid0(VALU_DEP_2) | instskip(NEXT) | instid1(VALU_DEP_1)
	v_clz_i32_u32_e32 v0, v0
	v_min_u32_e32 v0, 32, v0
	s_delay_alu instid0(VALU_DEP_1) | instskip(SKIP_1) | instid1(VALU_DEP_1)
	v_subrev_nc_u32_e32 v28, 28, v0
	v_sub_nc_u32_e32 v0, 29, v0
	v_cndmask_b32_e64 v25, v25, v0, s0
	s_delay_alu instid0(VALU_DEP_3) | instskip(NEXT) | instid1(VALU_DEP_1)
	v_cndmask_b32_e64 v0, 0, v28, s0
	v_lshlrev_b64_e32 v[0:1], v0, v[16:17]
	v_lshlrev_b32_e32 v1, 24, v16
	s_delay_alu instid0(VALU_DEP_1) | instskip(NEXT) | instid1(VALU_DEP_3)
	v_and_b32_e32 v1, 0x80000000, v1
	v_lshlrev_b32_e32 v0, 20, v0
	v_lshl_add_u32 v25, v25, 23, 0x3c000000
	s_delay_alu instid0(VALU_DEP_2) | instskip(NEXT) | instid1(VALU_DEP_1)
	v_and_b32_e32 v0, 0x700000, v0
	v_or3_b32 v93, v0, v1, v25
.LBB337_894:                            ;   in Loop: Header=BB337_488 Depth=1
	s_or_b32 exec_lo, exec_lo, s15
.LBB337_895:                            ;   in Loop: Header=BB337_488 Depth=1
	s_delay_alu instid0(SALU_CYCLE_1)
	s_or_b32 exec_lo, exec_lo, s14
.LBB337_896:                            ;   in Loop: Header=BB337_488 Depth=1
	s_delay_alu instid0(SALU_CYCLE_1) | instskip(SKIP_2) | instid1(VALU_DEP_1)
	s_or_b32 exec_lo, exec_lo, s11
	v_lshrrev_b16 v1, 8, v16
	s_mov_b32 s11, exec_lo
	v_cmpx_ne_u16_e32 0, v1
	s_cbranch_execz .LBB337_904
; %bb.897:                              ;   in Loop: Header=BB337_488 Depth=1
	v_bfrev_b32_e32 v24, 1
	s_mov_b32 s14, exec_lo
	v_cmpx_ne_u16_e32 0x80, v1
	s_cbranch_execz .LBB337_903
; %bb.898:                              ;   in Loop: Header=BB337_488 Depth=1
	v_and_b32_e32 v1, 0xffff, v1
	v_mov_b32_e32 v24, 0x7f800001
	s_mov_b32 s15, exec_lo
	s_delay_alu instid0(VALU_DEP_2) | instskip(NEXT) | instid1(VALU_DEP_1)
	v_and_b32_e32 v28, 0x7f, v1
	v_cmpx_ne_u32_e32 0x7f, v28
	s_cbranch_execz .LBB337_902
; %bb.899:                              ;   in Loop: Header=BB337_488 Depth=1
	v_dual_mov_b32 v25, v17 :: v_dual_bitop2_b32 v24, 7, v1 bitop3:0x40
	v_lshrrev_b32_e32 v1, 3, v28
	s_mov_b32 s16, exec_lo
	v_cmpx_gt_u32_e32 8, v28
; %bb.900:                              ;   in Loop: Header=BB337_488 Depth=1
	s_delay_alu instid0(VALU_DEP_3) | instskip(NEXT) | instid1(VALU_DEP_1)
	v_clz_i32_u32_e32 v0, v24
	v_min_u32_e32 v28, 32, v0
	s_delay_alu instid0(VALU_DEP_1) | instskip(NEXT) | instid1(VALU_DEP_1)
	v_subrev_nc_u32_e32 v0, 28, v28
	v_lshlrev_b64_e32 v[0:1], v0, v[24:25]
	v_sub_nc_u32_e32 v1, 29, v28
	s_delay_alu instid0(VALU_DEP_2)
	v_and_b32_e32 v24, 7, v0
; %bb.901:                              ;   in Loop: Header=BB337_488 Depth=1
	s_or_b32 exec_lo, exec_lo, s16
	v_lshlrev_b32_e32 v0, 16, v16
	s_delay_alu instid0(VALU_DEP_2) | instskip(SKIP_1) | instid1(VALU_DEP_3)
	v_lshlrev_b32_e32 v16, 20, v24
	v_lshl_add_u32 v1, v1, 23, 0x3c000000
	v_and_b32_e32 v0, 0x80000000, v0
	s_delay_alu instid0(VALU_DEP_1)
	v_or3_b32 v24, v16, v0, v1
.LBB337_902:                            ;   in Loop: Header=BB337_488 Depth=1
	s_or_b32 exec_lo, exec_lo, s15
.LBB337_903:                            ;   in Loop: Header=BB337_488 Depth=1
	s_delay_alu instid0(SALU_CYCLE_1)
	s_or_b32 exec_lo, exec_lo, s14
.LBB337_904:                            ;   in Loop: Header=BB337_488 Depth=1
	s_delay_alu instid0(SALU_CYCLE_1) | instskip(SKIP_3) | instid1(VALU_DEP_2)
	s_or_b32 exec_lo, exec_lo, s11
	v_dual_lshrrev_b32 v1, 16, v23 :: v_dual_mov_b32 v25, 0
	v_mov_b32_e32 v28, 0
	s_mov_b32 s11, exec_lo
	v_and_b32_e32 v16, 0xff, v1
	s_delay_alu instid0(VALU_DEP_1)
	v_cmpx_ne_u16_e32 0, v16
	s_cbranch_execz .LBB337_912
; %bb.905:                              ;   in Loop: Header=BB337_488 Depth=1
	v_bfrev_b32_e32 v28, 1
	s_mov_b32 s14, exec_lo
	v_cmpx_ne_u16_e32 0x80, v16
	s_cbranch_execz .LBB337_911
; %bb.906:                              ;   in Loop: Header=BB337_488 Depth=1
	v_bfe_u32 v29, v23, 16, 7
	v_mov_b32_e32 v28, 0x7f800001
	s_mov_b32 s15, exec_lo
	s_delay_alu instid0(VALU_DEP_2)
	v_cmpx_ne_u32_e32 0x7f, v29
	s_cbranch_execz .LBB337_910
; %bb.907:                              ;   in Loop: Header=BB337_488 Depth=1
	v_and_b32_e32 v16, 7, v1
	v_lshrrev_b32_e32 v28, 3, v29
	s_mov_b32 s16, exec_lo
	v_cmpx_gt_u32_e32 8, v29
; %bb.908:                              ;   in Loop: Header=BB337_488 Depth=1
	s_delay_alu instid0(VALU_DEP_3) | instskip(NEXT) | instid1(VALU_DEP_1)
	v_clz_i32_u32_e32 v0, v16
	v_min_u32_e32 v0, 32, v0
	s_delay_alu instid0(VALU_DEP_1) | instskip(NEXT) | instid1(VALU_DEP_1)
	v_subrev_nc_u32_e32 v28, 28, v0
	v_lshlrev_b64_e32 v[94:95], v28, v[16:17]
	s_delay_alu instid0(VALU_DEP_1)
	v_dual_sub_nc_u32 v28, 29, v0 :: v_dual_bitop2_b32 v16, 7, v94 bitop3:0x40
; %bb.909:                              ;   in Loop: Header=BB337_488 Depth=1
	s_or_b32 exec_lo, exec_lo, s16
	s_delay_alu instid0(VALU_DEP_1) | instskip(NEXT) | instid1(VALU_DEP_2)
	v_dual_lshlrev_b32 v0, 24, v1 :: v_dual_lshlrev_b32 v1, 20, v16
	v_lshl_add_u32 v16, v28, 23, 0x3c000000
	s_delay_alu instid0(VALU_DEP_2) | instskip(NEXT) | instid1(VALU_DEP_1)
	v_and_b32_e32 v0, 0x80000000, v0
	v_or3_b32 v28, v1, v0, v16
.LBB337_910:                            ;   in Loop: Header=BB337_488 Depth=1
	s_or_b32 exec_lo, exec_lo, s15
.LBB337_911:                            ;   in Loop: Header=BB337_488 Depth=1
	s_delay_alu instid0(SALU_CYCLE_1)
	s_or_b32 exec_lo, exec_lo, s14
.LBB337_912:                            ;   in Loop: Header=BB337_488 Depth=1
	s_delay_alu instid0(SALU_CYCLE_1) | instskip(NEXT) | instid1(SALU_CYCLE_1)
	s_or_b32 exec_lo, exec_lo, s11
	s_mov_b32 s11, exec_lo
	v_cmpx_lt_u64_e64 s[2:3], v[22:23]
	s_cbranch_execz .LBB337_920
; %bb.913:                              ;   in Loop: Header=BB337_488 Depth=1
	v_lshrrev_b32_e32 v1, 24, v23
	v_bfrev_b32_e32 v25, 1
	s_mov_b32 s14, exec_lo
	s_delay_alu instid0(VALU_DEP_2)
	v_cmpx_ne_u32_e32 0x80, v1
	s_cbranch_execz .LBB337_919
; %bb.914:                              ;   in Loop: Header=BB337_488 Depth=1
	v_bfe_u32 v23, v23, 24, 7
	v_mov_b32_e32 v25, 0x7f800001
	s_mov_b32 s15, exec_lo
	s_delay_alu instid0(VALU_DEP_2)
	v_cmpx_ne_u32_e32 0x7f, v23
	s_cbranch_execz .LBB337_918
; %bb.915:                              ;   in Loop: Header=BB337_488 Depth=1
	v_dual_lshrrev_b32 v22, 3, v23 :: v_dual_bitop2_b32 v16, 7, v1 bitop3:0x40
	s_mov_b32 s16, exec_lo
	v_cmpx_gt_u32_e32 8, v23
; %bb.916:                              ;   in Loop: Header=BB337_488 Depth=1
	s_delay_alu instid0(VALU_DEP_2) | instskip(NEXT) | instid1(VALU_DEP_1)
	v_clz_i32_u32_e32 v0, v16
	v_min_u32_e32 v0, 32, v0
	s_delay_alu instid0(VALU_DEP_1) | instskip(NEXT) | instid1(VALU_DEP_1)
	v_subrev_nc_u32_e32 v22, 28, v0
	v_lshlrev_b64_e32 v[94:95], v22, v[16:17]
	s_delay_alu instid0(VALU_DEP_1)
	v_dual_sub_nc_u32 v22, 29, v0 :: v_dual_bitop2_b32 v16, 7, v94 bitop3:0x40
; %bb.917:                              ;   in Loop: Header=BB337_488 Depth=1
	s_or_b32 exec_lo, exec_lo, s16
	s_delay_alu instid0(VALU_DEP_1) | instskip(NEXT) | instid1(VALU_DEP_2)
	v_dual_lshlrev_b32 v0, 24, v1 :: v_dual_lshlrev_b32 v1, 20, v16
	v_lshl_add_u32 v16, v22, 23, 0x3c000000
	s_delay_alu instid0(VALU_DEP_2) | instskip(NEXT) | instid1(VALU_DEP_1)
	v_and_b32_e32 v0, 0x80000000, v0
	v_or3_b32 v25, v1, v0, v16
.LBB337_918:                            ;   in Loop: Header=BB337_488 Depth=1
	s_or_b32 exec_lo, exec_lo, s15
.LBB337_919:                            ;   in Loop: Header=BB337_488 Depth=1
	s_delay_alu instid0(SALU_CYCLE_1)
	s_or_b32 exec_lo, exec_lo, s14
.LBB337_920:                            ;   in Loop: Header=BB337_488 Depth=1
	s_delay_alu instid0(SALU_CYCLE_1)
	s_or_b32 exec_lo, exec_lo, s11
	v_fma_mixlo_bf16 v16, s6, v24, 0
	v_fma_mixlo_bf16 v22, s6, v93, 0
	;; [unrolled: 1-line block ×8, first 2 shown]
	s_and_saveexec_b32 s0, vcc_lo
	s_cbranch_execz .LBB337_487
; %bb.921:                              ;   in Loop: Header=BB337_488 Depth=1
	v_cmp_gt_i32_e32 vcc_lo, s23, v44
	v_cndmask_b32_e32 v89, 0, v89, vcc_lo
	v_cmp_gt_i32_e32 vcc_lo, s23, v50
	v_cndmask_b32_e32 v90, 0, v90, vcc_lo
	;; [unrolled: 2-line block ×8, first 2 shown]
	s_branch .LBB337_487
.LBB337_922:
	s_or_b32 exec_lo, exec_lo, s9
	v_dual_mov_b32 v28, v96 :: v_dual_mov_b32 v29, v97
	v_mov_b32_e32 v75, v98
.LBB337_923:
	s_or_b32 exec_lo, exec_lo, s1
	ds_bpermute_b32 v0, v31, v14
	ds_bpermute_b32 v1, v31, v15
	;; [unrolled: 1-line block ×7, first 2 shown]
	v_and_b32_e32 v18, 0x3c1, v28
	v_lshrrev_b32_e32 v9, 1, v30
	s_mov_b32 s0, exec_lo
	s_wait_dscnt 0x0
	s_barrier_signal -1
	s_barrier_wait -1
	v_pk_add_f32 v[6:7], v[14:15], v[0:1]
	v_pk_add_f32 v[4:5], v[12:13], v[2:3]
	;; [unrolled: 1-line block ×3, first 2 shown]
	v_cmpx_ne_u32_e32 64, v18
	s_xor_b32 s0, exec_lo, s0
	s_delay_alu instid0(SALU_CYCLE_1)
	s_or_saveexec_b32 s0, s0
	v_add_f32_e32 v8, v32, v8
	v_lshl_add_u32 v10, v9, 2, 0x100
	v_mul_u32_u24_e32 v1, 0x1c0, v75
	s_xor_b32 exec_lo, exec_lo, s0
	s_cbranch_execz .LBB337_925
; %bb.924:
	s_delay_alu instid0(VALU_DEP_1) | instskip(NEXT) | instid1(VALU_DEP_1)
	v_add_nc_u32_e32 v0, v10, v1
	v_add_nc_u32_e32 v11, 0xfffffc80, v0
	v_add_nc_u32_e32 v12, 0xfffffcc0, v0
	v_add_nc_u32_e32 v13, 0xfffffd00, v0
	v_add_nc_u32_e32 v14, 0xfffffd40, v0
	v_add_nc_u32_e32 v15, 0xfffffd80, v0
	v_add_nc_u32_e32 v16, 0xfffffdc0, v0
	v_add_nc_u32_e32 v0, 0xfffffe00, v0
	ds_store_b32 v11, v6
	ds_store_b32 v12, v7
	;; [unrolled: 1-line block ×7, first 2 shown]
.LBB337_925:
	s_or_b32 exec_lo, exec_lo, s0
	v_lshlrev_b32_e32 v0, 2, v9
	s_mov_b32 s1, exec_lo
	v_cmp_eq_u32_e32 vcc_lo, 0, v29
	s_wait_dscnt 0x0
	s_barrier_signal -1
	v_add3_u32 v9, 0x100, v1, v0
	s_barrier_wait -1
	v_cmpx_gt_u32_e32 64, v28
	s_cbranch_execz .LBB337_935
; %bb.926:
	s_and_saveexec_b32 s0, vcc_lo
	s_cbranch_execnz .LBB337_950
; %bb.927:
	s_or_b32 exec_lo, exec_lo, s0
	s_and_saveexec_b32 s0, vcc_lo
	s_cbranch_execnz .LBB337_951
.LBB337_928:
	s_or_b32 exec_lo, exec_lo, s0
	s_and_saveexec_b32 s0, vcc_lo
	s_cbranch_execnz .LBB337_952
.LBB337_929:
	s_or_b32 exec_lo, exec_lo, s0
	s_and_saveexec_b32 s0, vcc_lo
	s_cbranch_execnz .LBB337_953
.LBB337_930:
	s_or_b32 exec_lo, exec_lo, s0
	s_and_saveexec_b32 s0, vcc_lo
	s_cbranch_execnz .LBB337_954
.LBB337_931:
	s_or_b32 exec_lo, exec_lo, s0
	s_and_saveexec_b32 s0, vcc_lo
	s_cbranch_execnz .LBB337_955
.LBB337_932:
	s_or_b32 exec_lo, exec_lo, s0
	s_and_saveexec_b32 s0, vcc_lo
	s_cbranch_execz .LBB337_934
.LBB337_933:
	ds_load_b32 v0, v9 offset:384
	s_wait_dscnt 0x0
	v_add_f32_e32 v8, v8, v0
.LBB337_934:
	s_or_b32 exec_lo, exec_lo, s0
.LBB337_935:
	s_delay_alu instid0(SALU_CYCLE_1) | instskip(SKIP_4) | instid1(VALU_DEP_1)
	s_or_b32 exec_lo, exec_lo, s1
	v_and_b32_e32 v11, 0x3e1, v28
	s_mov_b32 s1, exec_lo
	s_barrier_signal -1
	s_barrier_wait -1
	v_cmpx_eq_u32_e32 32, v11
	s_cbranch_execz .LBB337_937
; %bb.936:
	ds_store_2addr_b32 v10, v6, v7 offset1:16
	ds_store_2addr_b32 v10, v4, v5 offset0:32 offset1:48
	ds_store_2addr_b32 v10, v2, v3 offset0:64 offset1:80
	ds_store_b32 v10, v8 offset:384
.LBB337_937:
	s_or_b32 exec_lo, exec_lo, s1
	s_delay_alu instid0(SALU_CYCLE_1)
	s_mov_b32 s1, exec_lo
	s_wait_dscnt 0x0
	s_barrier_signal -1
	s_barrier_wait -1
	v_cmpx_gt_u32_e32 32, v28
	s_cbranch_execz .LBB337_947
; %bb.938:
	s_and_saveexec_b32 s0, vcc_lo
	s_cbranch_execnz .LBB337_956
; %bb.939:
	s_or_b32 exec_lo, exec_lo, s0
	s_and_saveexec_b32 s0, vcc_lo
	s_cbranch_execnz .LBB337_957
.LBB337_940:
	s_or_b32 exec_lo, exec_lo, s0
	s_and_saveexec_b32 s0, vcc_lo
	s_cbranch_execnz .LBB337_958
.LBB337_941:
	s_or_b32 exec_lo, exec_lo, s0
	s_and_saveexec_b32 s0, vcc_lo
	s_cbranch_execnz .LBB337_959
.LBB337_942:
	s_or_b32 exec_lo, exec_lo, s0
	s_and_saveexec_b32 s0, vcc_lo
	s_cbranch_execnz .LBB337_960
.LBB337_943:
	s_or_b32 exec_lo, exec_lo, s0
	s_and_saveexec_b32 s0, vcc_lo
	s_cbranch_execnz .LBB337_961
.LBB337_944:
	s_or_b32 exec_lo, exec_lo, s0
	s_and_saveexec_b32 s0, vcc_lo
	s_cbranch_execz .LBB337_946
.LBB337_945:
	ds_load_b32 v0, v9 offset:384
	s_wait_dscnt 0x0
	v_add_f32_e32 v8, v8, v0
.LBB337_946:
	s_or_b32 exec_lo, exec_lo, s0
.LBB337_947:
	s_delay_alu instid0(SALU_CYCLE_1)
	s_or_b32 exec_lo, exec_lo, s1
	s_mov_b32 s1, 0
	s_barrier_signal -1
	s_barrier_wait -1
	s_mov_b32 s0, exec_lo
	v_cmpx_eq_u32_e32 0, v11
	s_cbranch_execz .LBB337_949
; %bb.948:
	s_mul_i32 s0, s22, s8
	s_mul_i32 s2, s8, s12
	;; [unrolled: 1-line block ×3, first 2 shown]
	s_lshr_b32 s8, ttmp7, 16
	s_mul_i32 s6, s0, 0x70
	s_bfe_u32 s0, ttmp6, 0x40014
	s_ashr_i32 s7, s6, 31
	s_add_co_i32 s0, s0, 1
	s_ashr_i32 s3, s2, 31
	s_mul_i32 s0, s8, s0
	s_bfe_u32 s9, ttmp6, 0x40008
	s_lshl_b64 s[6:7], s[6:7], 1
	s_lshl_b64 s[2:3], s[2:3], 1
	s_add_co_i32 s9, s9, s0
	s_cmp_eq_u32 s20, 0
	s_wait_kmcnt 0x0
	s_add_nc_u64 s[4:5], s[4:5], s[6:7]
	s_cselect_b32 s0, s8, s9
	s_add_nc_u64 s[2:3], s[4:5], s[2:3]
	s_mulk_i32 s0, 0xe0
	s_delay_alu instid0(SALU_CYCLE_1) | instskip(NEXT) | instid1(SALU_CYCLE_1)
	s_add_nc_u64 s[0:1], s[2:3], s[0:1]
	v_cvt_pk_bf16_f32 v1, v7, s0
	scratch_load_b32 v7, off, off offset:4 th:TH_LOAD_LU ; 4-byte Folded Reload
	v_cvt_pk_bf16_f32 v0, v6, s0
	v_cvt_pk_bf16_f32 v4, v4, s0
	;; [unrolled: 1-line block ×6, first 2 shown]
	s_wait_loadcnt 0x0
	s_clause 0x6
	global_store_b16 v7, v0, s[0:1] scale_offset
	global_store_b16 v7, v1, s[0:1] offset:32 scale_offset
	global_store_b16 v7, v4, s[0:1] offset:64 scale_offset
	;; [unrolled: 1-line block ×6, first 2 shown]
.LBB337_949:
	s_sendmsg sendmsg(MSG_DEALLOC_VGPRS)
	s_endpgm
.LBB337_950:
	ds_load_b32 v0, v9
	s_wait_dscnt 0x0
	v_add_f32_e32 v6, v6, v0
	s_or_b32 exec_lo, exec_lo, s0
	s_and_saveexec_b32 s0, vcc_lo
	s_cbranch_execz .LBB337_928
.LBB337_951:
	ds_load_b32 v0, v9 offset:64
	s_wait_dscnt 0x0
	v_add_f32_e32 v7, v7, v0
	s_or_b32 exec_lo, exec_lo, s0
	s_and_saveexec_b32 s0, vcc_lo
	s_cbranch_execz .LBB337_929
.LBB337_952:
	ds_load_b32 v0, v9 offset:128
	s_wait_dscnt 0x0
	v_add_f32_e32 v4, v4, v0
	s_or_b32 exec_lo, exec_lo, s0
	s_and_saveexec_b32 s0, vcc_lo
	s_cbranch_execz .LBB337_930
.LBB337_953:
	ds_load_b32 v0, v9 offset:192
	s_wait_dscnt 0x0
	v_add_f32_e32 v5, v5, v0
	s_or_b32 exec_lo, exec_lo, s0
	s_and_saveexec_b32 s0, vcc_lo
	s_cbranch_execz .LBB337_931
.LBB337_954:
	ds_load_b32 v0, v9 offset:256
	s_wait_dscnt 0x0
	v_add_f32_e32 v2, v2, v0
	s_or_b32 exec_lo, exec_lo, s0
	s_and_saveexec_b32 s0, vcc_lo
	s_cbranch_execz .LBB337_932
.LBB337_955:
	ds_load_b32 v0, v9 offset:320
	s_wait_dscnt 0x0
	v_add_f32_e32 v3, v3, v0
	s_or_b32 exec_lo, exec_lo, s0
	s_and_saveexec_b32 s0, vcc_lo
	s_cbranch_execnz .LBB337_933
	s_branch .LBB337_934
.LBB337_956:
	ds_load_b32 v0, v9
	s_wait_dscnt 0x0
	v_add_f32_e32 v6, v6, v0
	s_or_b32 exec_lo, exec_lo, s0
	s_and_saveexec_b32 s0, vcc_lo
	s_cbranch_execz .LBB337_940
.LBB337_957:
	ds_load_b32 v0, v9 offset:64
	s_wait_dscnt 0x0
	v_add_f32_e32 v7, v7, v0
	s_or_b32 exec_lo, exec_lo, s0
	s_and_saveexec_b32 s0, vcc_lo
	s_cbranch_execz .LBB337_941
.LBB337_958:
	ds_load_b32 v0, v9 offset:128
	s_wait_dscnt 0x0
	v_add_f32_e32 v4, v4, v0
	s_or_b32 exec_lo, exec_lo, s0
	s_and_saveexec_b32 s0, vcc_lo
	s_cbranch_execz .LBB337_942
.LBB337_959:
	ds_load_b32 v0, v9 offset:192
	s_wait_dscnt 0x0
	v_add_f32_e32 v5, v5, v0
	s_or_b32 exec_lo, exec_lo, s0
	s_and_saveexec_b32 s0, vcc_lo
	s_cbranch_execz .LBB337_943
.LBB337_960:
	ds_load_b32 v0, v9 offset:256
	s_wait_dscnt 0x0
	v_add_f32_e32 v2, v2, v0
	s_or_b32 exec_lo, exec_lo, s0
	s_and_saveexec_b32 s0, vcc_lo
	s_cbranch_execz .LBB337_944
.LBB337_961:
	ds_load_b32 v0, v9 offset:320
	s_wait_dscnt 0x0
	v_add_f32_e32 v3, v3, v0
	s_or_b32 exec_lo, exec_lo, s0
	s_and_saveexec_b32 s0, vcc_lo
	s_cbranch_execnz .LBB337_945
	s_branch .LBB337_946
	.section	.rodata,"a",@progbits
	.p2align	6, 0x0
	.amdhsa_kernel _ZN4vllm25paged_attention_v1_kernelI14__hip_bfloat16hLi112ELi16ELi128ELNS_18Fp8KVCacheDataTypeE1ELb0EEEvPT_PKS3_PKT0_S9_ifPKiSB_iPKfiiiSD_SD_iiiii
		.amdhsa_group_segment_fixed_size 256
		.amdhsa_private_segment_fixed_size 28
		.amdhsa_kernarg_size 384
		.amdhsa_user_sgpr_count 2
		.amdhsa_user_sgpr_dispatch_ptr 0
		.amdhsa_user_sgpr_queue_ptr 0
		.amdhsa_user_sgpr_kernarg_segment_ptr 1
		.amdhsa_user_sgpr_dispatch_id 0
		.amdhsa_user_sgpr_kernarg_preload_length 0
		.amdhsa_user_sgpr_kernarg_preload_offset 0
		.amdhsa_user_sgpr_private_segment_size 0
		.amdhsa_wavefront_size32 1
		.amdhsa_uses_dynamic_stack 0
		.amdhsa_enable_private_segment 1
		.amdhsa_system_sgpr_workgroup_id_x 1
		.amdhsa_system_sgpr_workgroup_id_y 1
		.amdhsa_system_sgpr_workgroup_id_z 1
		.amdhsa_system_sgpr_workgroup_info 0
		.amdhsa_system_vgpr_workitem_id 0
		.amdhsa_next_free_vgpr 128
		.amdhsa_next_free_sgpr 31
		.amdhsa_named_barrier_count 0
		.amdhsa_reserve_vcc 1
		.amdhsa_float_round_mode_32 0
		.amdhsa_float_round_mode_16_64 0
		.amdhsa_float_denorm_mode_32 3
		.amdhsa_float_denorm_mode_16_64 3
		.amdhsa_fp16_overflow 0
		.amdhsa_memory_ordered 1
		.amdhsa_forward_progress 1
		.amdhsa_inst_pref_size 255
		.amdhsa_round_robin_scheduling 0
		.amdhsa_exception_fp_ieee_invalid_op 0
		.amdhsa_exception_fp_denorm_src 0
		.amdhsa_exception_fp_ieee_div_zero 0
		.amdhsa_exception_fp_ieee_overflow 0
		.amdhsa_exception_fp_ieee_underflow 0
		.amdhsa_exception_fp_ieee_inexact 0
		.amdhsa_exception_int_div_zero 0
	.end_amdhsa_kernel
	.section	.text._ZN4vllm25paged_attention_v1_kernelI14__hip_bfloat16hLi112ELi16ELi128ELNS_18Fp8KVCacheDataTypeE1ELb0EEEvPT_PKS3_PKT0_S9_ifPKiSB_iPKfiiiSD_SD_iiiii,"axG",@progbits,_ZN4vllm25paged_attention_v1_kernelI14__hip_bfloat16hLi112ELi16ELi128ELNS_18Fp8KVCacheDataTypeE1ELb0EEEvPT_PKS3_PKT0_S9_ifPKiSB_iPKfiiiSD_SD_iiiii,comdat
.Lfunc_end337:
	.size	_ZN4vllm25paged_attention_v1_kernelI14__hip_bfloat16hLi112ELi16ELi128ELNS_18Fp8KVCacheDataTypeE1ELb0EEEvPT_PKS3_PKT0_S9_ifPKiSB_iPKfiiiSD_SD_iiiii, .Lfunc_end337-_ZN4vllm25paged_attention_v1_kernelI14__hip_bfloat16hLi112ELi16ELi128ELNS_18Fp8KVCacheDataTypeE1ELb0EEEvPT_PKS3_PKT0_S9_ifPKiSB_iPKfiiiSD_SD_iiiii
                                        ; -- End function
	.set _ZN4vllm25paged_attention_v1_kernelI14__hip_bfloat16hLi112ELi16ELi128ELNS_18Fp8KVCacheDataTypeE1ELb0EEEvPT_PKS3_PKT0_S9_ifPKiSB_iPKfiiiSD_SD_iiiii.num_vgpr, 128
	.set _ZN4vllm25paged_attention_v1_kernelI14__hip_bfloat16hLi112ELi16ELi128ELNS_18Fp8KVCacheDataTypeE1ELb0EEEvPT_PKS3_PKT0_S9_ifPKiSB_iPKfiiiSD_SD_iiiii.num_agpr, 0
	.set _ZN4vllm25paged_attention_v1_kernelI14__hip_bfloat16hLi112ELi16ELi128ELNS_18Fp8KVCacheDataTypeE1ELb0EEEvPT_PKS3_PKT0_S9_ifPKiSB_iPKfiiiSD_SD_iiiii.numbered_sgpr, 31
	.set _ZN4vllm25paged_attention_v1_kernelI14__hip_bfloat16hLi112ELi16ELi128ELNS_18Fp8KVCacheDataTypeE1ELb0EEEvPT_PKS3_PKT0_S9_ifPKiSB_iPKfiiiSD_SD_iiiii.num_named_barrier, 0
	.set _ZN4vllm25paged_attention_v1_kernelI14__hip_bfloat16hLi112ELi16ELi128ELNS_18Fp8KVCacheDataTypeE1ELb0EEEvPT_PKS3_PKT0_S9_ifPKiSB_iPKfiiiSD_SD_iiiii.private_seg_size, 28
	.set _ZN4vllm25paged_attention_v1_kernelI14__hip_bfloat16hLi112ELi16ELi128ELNS_18Fp8KVCacheDataTypeE1ELb0EEEvPT_PKS3_PKT0_S9_ifPKiSB_iPKfiiiSD_SD_iiiii.uses_vcc, 1
	.set _ZN4vllm25paged_attention_v1_kernelI14__hip_bfloat16hLi112ELi16ELi128ELNS_18Fp8KVCacheDataTypeE1ELb0EEEvPT_PKS3_PKT0_S9_ifPKiSB_iPKfiiiSD_SD_iiiii.uses_flat_scratch, 1
	.set _ZN4vllm25paged_attention_v1_kernelI14__hip_bfloat16hLi112ELi16ELi128ELNS_18Fp8KVCacheDataTypeE1ELb0EEEvPT_PKS3_PKT0_S9_ifPKiSB_iPKfiiiSD_SD_iiiii.has_dyn_sized_stack, 0
	.set _ZN4vllm25paged_attention_v1_kernelI14__hip_bfloat16hLi112ELi16ELi128ELNS_18Fp8KVCacheDataTypeE1ELb0EEEvPT_PKS3_PKT0_S9_ifPKiSB_iPKfiiiSD_SD_iiiii.has_recursion, 0
	.set _ZN4vllm25paged_attention_v1_kernelI14__hip_bfloat16hLi112ELi16ELi128ELNS_18Fp8KVCacheDataTypeE1ELb0EEEvPT_PKS3_PKT0_S9_ifPKiSB_iPKfiiiSD_SD_iiiii.has_indirect_call, 0
	.section	.AMDGPU.csdata,"",@progbits
; Kernel info:
; codeLenInByte = 33620
; TotalNumSgprs: 33
; NumVgprs: 128
; ScratchSize: 28
; MemoryBound: 0
; FloatMode: 240
; IeeeMode: 1
; LDSByteSize: 256 bytes/workgroup (compile time only)
; SGPRBlocks: 0
; VGPRBlocks: 7
; NumSGPRsForWavesPerEU: 33
; NumVGPRsForWavesPerEU: 128
; NamedBarCnt: 0
; Occupancy: 8
; WaveLimiterHint : 1
; COMPUTE_PGM_RSRC2:SCRATCH_EN: 1
; COMPUTE_PGM_RSRC2:USER_SGPR: 2
; COMPUTE_PGM_RSRC2:TRAP_HANDLER: 0
; COMPUTE_PGM_RSRC2:TGID_X_EN: 1
; COMPUTE_PGM_RSRC2:TGID_Y_EN: 1
; COMPUTE_PGM_RSRC2:TGID_Z_EN: 1
; COMPUTE_PGM_RSRC2:TIDIG_COMP_CNT: 0
	.section	.text._ZN4vllm25paged_attention_v1_kernelI14__hip_bfloat16hLi120ELi16ELi128ELNS_18Fp8KVCacheDataTypeE1ELb0EEEvPT_PKS3_PKT0_S9_ifPKiSB_iPKfiiiSD_SD_iiiii,"axG",@progbits,_ZN4vllm25paged_attention_v1_kernelI14__hip_bfloat16hLi120ELi16ELi128ELNS_18Fp8KVCacheDataTypeE1ELb0EEEvPT_PKS3_PKT0_S9_ifPKiSB_iPKfiiiSD_SD_iiiii,comdat
	.protected	_ZN4vllm25paged_attention_v1_kernelI14__hip_bfloat16hLi120ELi16ELi128ELNS_18Fp8KVCacheDataTypeE1ELb0EEEvPT_PKS3_PKT0_S9_ifPKiSB_iPKfiiiSD_SD_iiiii ; -- Begin function _ZN4vllm25paged_attention_v1_kernelI14__hip_bfloat16hLi120ELi16ELi128ELNS_18Fp8KVCacheDataTypeE1ELb0EEEvPT_PKS3_PKT0_S9_ifPKiSB_iPKfiiiSD_SD_iiiii
	.globl	_ZN4vllm25paged_attention_v1_kernelI14__hip_bfloat16hLi120ELi16ELi128ELNS_18Fp8KVCacheDataTypeE1ELb0EEEvPT_PKS3_PKT0_S9_ifPKiSB_iPKfiiiSD_SD_iiiii
	.p2align	8
	.type	_ZN4vllm25paged_attention_v1_kernelI14__hip_bfloat16hLi120ELi16ELi128ELNS_18Fp8KVCacheDataTypeE1ELb0EEEvPT_PKS3_PKT0_S9_ifPKiSB_iPKfiiiSD_SD_iiiii,@function
_ZN4vllm25paged_attention_v1_kernelI14__hip_bfloat16hLi120ELi16ELi128ELNS_18Fp8KVCacheDataTypeE1ELb0EEEvPT_PKS3_PKT0_S9_ifPKiSB_iPKfiiiSD_SD_iiiii: ; @_ZN4vllm25paged_attention_v1_kernelI14__hip_bfloat16hLi120ELi16ELi128ELNS_18Fp8KVCacheDataTypeE1ELb0EEEvPT_PKS3_PKT0_S9_ifPKiSB_iPKfiiiSD_SD_iiiii
; %bb.0:
	s_load_b64 s[18:19], s[0:1], 0x20
	s_bfe_u32 s3, ttmp6, 0x4000c
	s_bfe_u32 s5, ttmp6, 0x40010
	s_and_b32 s4, ttmp7, 0xffff
	s_add_co_i32 s3, s3, 1
	s_add_co_i32 s5, s5, 1
	s_and_b32 s2, ttmp6, 15
	s_bfe_u32 s6, ttmp6, 0x40004
	s_mul_i32 s3, ttmp9, s3
	s_mul_i32 s5, s4, s5
	s_getreg_b32 s20, hwreg(HW_REG_IB_STS2, 6, 4)
	s_add_co_i32 s2, s2, s3
	s_add_co_i32 s3, s6, s5
	s_cmp_eq_u32 s20, 0
	v_mov_b32_e32 v24, v0
	s_cselect_b32 s22, s4, s3
	s_cselect_b32 s4, ttmp9, s2
	s_clause 0x1
	s_load_b32 s21, s[0:1], 0x80
	s_load_b64 s[6:7], s[0:1], 0x30
	s_wait_kmcnt 0x0
	s_abs_i32 s2, s18
	s_delay_alu instid0(SALU_CYCLE_1) | instskip(SKIP_1) | instid1(SALU_CYCLE_2)
	s_cvt_f32_u32 s3, s2
	s_sub_co_i32 s5, 0, s2
	v_rcp_iflag_f32_e32 v0, s3
	v_nop
	s_delay_alu instid0(TRANS32_DEP_1) | instskip(SKIP_2) | instid1(SALU_CYCLE_3)
	v_readfirstlane_b32 s3, v0
	s_abs_i32 s8, s21
	s_mul_f32 s3, s3, 0x4f7ffffe
	s_cvt_u32_f32 s3, s3
	s_delay_alu instid0(SALU_CYCLE_3) | instskip(NEXT) | instid1(SALU_CYCLE_1)
	s_mul_i32 s5, s5, s3
	s_mul_hi_u32 s5, s3, s5
	s_delay_alu instid0(SALU_CYCLE_1) | instskip(SKIP_4) | instid1(SALU_CYCLE_1)
	s_add_co_i32 s3, s3, s5
	s_xor_b32 s5, s21, s18
	s_mul_hi_u32 s3, s8, s3
	s_ashr_i32 s5, s5, 31
	s_mul_i32 s9, s3, s2
	s_sub_co_i32 s8, s8, s9
	s_add_co_i32 s9, s3, 1
	s_sub_co_i32 s10, s8, s2
	s_cmp_ge_u32 s8, s2
	s_cselect_b32 s3, s9, s3
	s_cselect_b32 s8, s10, s8
	s_add_co_i32 s9, s3, 1
	s_cmp_ge_u32 s8, s2
	s_cselect_b32 s2, s9, s3
	s_load_b64 s[8:9], s[0:1], 0x40
	s_xor_b32 s2, s2, s5
	s_mov_b32 s3, 0
	s_sub_co_i32 s14, s2, s5
	s_mov_b32 s13, s3
	s_abs_i32 s11, s14
	s_mov_b32 s18, s3
	s_cvt_f32_u32 s2, s11
	s_delay_alu instid0(SALU_CYCLE_3) | instskip(SKIP_1) | instid1(TRANS32_DEP_1)
	v_rcp_iflag_f32_e32 v0, s2
	v_nop
	v_readfirstlane_b32 s2, v0
	s_mul_f32 s2, s2, 0x4f7ffffe
	s_delay_alu instid0(SALU_CYCLE_3) | instskip(SKIP_1) | instid1(SALU_CYCLE_2)
	s_cvt_u32_f32 s5, s2
	s_sub_co_i32 s2, 0, s11
	s_mul_i32 s2, s2, s5
	s_delay_alu instid0(SALU_CYCLE_1)
	s_mul_hi_u32 s10, s5, s2
	s_abs_i32 s2, s4
	s_add_co_i32 s12, s5, s10
	s_wait_kmcnt 0x0
	s_cmp_eq_u64 s[8:9], 0
	s_cbranch_scc1 .LBB338_2
; %bb.1:
	s_ashr_i32 s5, s4, 31
	s_delay_alu instid0(SALU_CYCLE_1) | instskip(NEXT) | instid1(SALU_CYCLE_1)
	s_lshl_b64 s[16:17], s[4:5], 2
	s_add_nc_u64 s[8:9], s[8:9], s[16:17]
	s_load_b32 s18, s[8:9], 0x0
.LBB338_2:
	s_load_b32 s23, s[6:7], s22 offset:0x0 scale_offset
	s_wait_xcnt 0x0
	s_load_b96 s[8:10], s[0:1], 0x48
	v_dual_lshrrev_b32 v96, 1, v24 :: v_dual_bitop2_b32 v25, 1, v24 bitop3:0x40
	s_ashr_i32 s5, s4, 31
	s_ashr_i32 s14, s14, 31
	s_mul_u64 s[6:7], s[2:3], s[12:13]
	s_mul_i32 s12, s4, 0x78
	s_mov_b32 s3, exec_lo
	v_cmpx_gt_u32_e32 30, v24
	s_cbranch_execz .LBB338_4
; %bb.3:
	s_load_b64 s[16:17], s[0:1], 0x8
	s_wait_kmcnt 0x0
	s_mul_i32 s24, s8, s22
	s_ashr_i32 s13, s12, 31
	s_ashr_i32 s25, s24, 31
	v_lshlrev_b32_e32 v2, 3, v96
	s_lshl_b64 s[24:25], s[24:25], 1
	s_delay_alu instid0(VALU_DEP_1) | instskip(SKIP_2) | instid1(SALU_CYCLE_1)
	v_mad_u32_u24 v2, 0x78, v25, v2
	s_add_nc_u64 s[16:17], s[16:17], s[24:25]
	s_lshl_b64 s[24:25], s[12:13], 1
	s_add_nc_u64 s[16:17], s[16:17], s[24:25]
	global_load_b64 v[0:1], v24, s[16:17] scale_offset
	s_wait_loadcnt 0x0
	ds_store_b64 v2, v[0:1]
.LBB338_4:
	s_or_b32 exec_lo, exec_lo, s3
	s_wait_kmcnt 0x0
	s_add_co_i32 s3, s23, 15
	s_load_b32 s4, s[0:1], 0x38
	s_ashr_i32 s6, s3, 31
	s_mul_i32 s8, s7, s11
	s_lshr_b32 s6, s6, 28
	s_sub_co_i32 s2, s2, s8
	s_add_co_i32 s3, s3, s6
	s_xor_b32 s5, s5, s14
	s_ashr_i32 s13, s3, 4
	s_add_co_i32 s3, s7, 1
	s_sub_co_i32 s6, s2, s11
	s_cmp_ge_u32 s2, s11
	v_lshrrev_b32_e32 v79, 5, v24
	s_cselect_b32 s3, s3, s7
	s_cselect_b32 s2, s6, s2
	s_add_co_i32 s6, s3, 1
	s_cmp_ge_u32 s2, s11
	v_mbcnt_lo_u32_b32 v34, -1, 0
	s_cselect_b32 s2, s6, s3
	s_wait_dscnt 0x0
	s_xor_b32 s2, s2, s5
	s_wait_kmcnt 0x0
	s_mul_i32 s14, s4, s22
	s_sub_co_i32 s3, s2, s5
	v_cmp_le_i32_e64 s2, s13, v79
	s_ashr_i32 s15, s14, 31
	s_barrier_signal -1
	s_barrier_wait -1
                                        ; implicit-def: $vgpr3
                                        ; implicit-def: $vgpr11
	s_and_saveexec_b32 s4, s2
	s_delay_alu instid0(SALU_CYCLE_1)
	s_xor_b32 s4, exec_lo, s4
; %bb.5:
	v_dual_mov_b32 v3, 0 :: v_dual_mov_b32 v11, 32
	v_mbcnt_lo_u32_b32 v34, -1, 0
; %bb.6:
	s_or_saveexec_b32 s24, s4
	s_clause 0x2
	s_load_b32 s8, s[0:1], 0x88
	s_load_b64 s[16:17], s[0:1], 0x28
	s_load_b128 s[4:7], s[0:1], 0x58
	v_mov_b32_e32 v75, 0xff7fffff
	v_lshrrev_b32_e32 v33, 3, v24
	s_mul_i32 s10, s3, s10
	s_xor_b32 exec_lo, exec_lo, s24
	s_cbranch_execz .LBB338_492
; %bb.7:
	v_mul_u32_u24_e32 v16, 0x78, v25
	s_load_b64 s[26:27], s[0:1], 0x10
	s_ashr_i32 s11, s10, 31
	s_cmp_neq_f32 s18, 0
	v_mov_b32_e32 v75, 0xff7fffff
	ds_load_2addr_b64 v[0:3], v16 offset1:1
	ds_load_2addr_b64 v[4:7], v16 offset0:2 offset1:3
	ds_load_2addr_b64 v[8:11], v16 offset0:4 offset1:5
	;; [unrolled: 1-line block ×4, first 2 shown]
	v_mov_b32_e32 v18, v25
	s_wait_kmcnt 0x0
	s_load_b32 s5, s[4:5], 0x0
	s_cselect_b32 s3, -1, 0
	s_mov_b32 s25, s9
	s_clause 0x2
	scratch_store_b32 off, v79, off offset:36
	scratch_store_b32 off, v33, off offset:40
	;; [unrolled: 1-line block ×3, first 2 shown]
	s_wait_dscnt 0x4
	v_lshlrev_b32_e32 v17, 16, v0
	v_and_b32_e32 v0, 0xffff0000, v0
	s_wait_dscnt 0x3
	v_dual_lshlrev_b32 v26, 16, v7 :: v_dual_lshlrev_b32 v20, 16, v4
	v_and_b32_e32 v19, 0xffff0000, v3
	scratch_store_b32 off, v17, off         ; 4-byte Folded Spill
	s_wait_xcnt 0x0
	v_dual_mov_b32 v17, v24 :: v_dual_lshlrev_b32 v24, 16, v6
	scratch_store_b32 off, v0, off offset:4 ; 4-byte Folded Spill
	s_wait_xcnt 0x0
	v_lshlrev_b32_e32 v0, 16, v1
	v_and_b32_e32 v21, 0xffff0000, v4
	v_lshlrev_b32_e32 v22, 16, v5
	v_and_b32_e32 v23, 0xffff0000, v5
	v_and_b32_e32 v25, 0xffff0000, v6
	s_clause 0x1
	scratch_store_b32 off, v0, off offset:8
	scratch_store_b32 off, v18, off offset:32
	s_wait_xcnt 0x1
	v_and_b32_e32 v0, 0xffff0000, v1
	v_and_b32_e32 v27, 0xffff0000, v7
	s_wait_dscnt 0x0
	v_dual_lshlrev_b32 v47, 16, v52 :: v_dual_lshlrev_b32 v49, 16, v53
	v_and_b32_e32 v48, 0xffff0000, v52
	scratch_store_b32 off, v0, off offset:12 ; 4-byte Folded Spill
	s_wait_xcnt 0x0
	v_lshlrev_b32_e32 v0, 16, v2
	v_and_b32_e32 v50, 0xffff0000, v53
	v_dual_lshlrev_b32 v51, 16, v54 :: v_dual_lshlrev_b32 v53, 16, v55
	v_and_b32_e32 v52, 0xffff0000, v54
	scratch_store_b32 off, v0, off offset:16 ; 4-byte Folded Spill
	s_wait_xcnt 0x0
	v_and_b32_e32 v0, 0xffff0000, v2
	v_and_b32_e32 v54, 0xffff0000, v55
	ds_load_2addr_b64 v[4:7], v16 offset0:12 offset1:13
	v_dual_lshlrev_b32 v28, 16, v8 :: v_dual_lshlrev_b32 v30, 16, v9
	scratch_store_b32 off, v0, off offset:20 ; 4-byte Folded Spill
	s_wait_xcnt 0x0
	v_lshlrev_b32_e32 v0, 16, v3
	v_and_b32_e32 v29, 0xffff0000, v8
	v_and_b32_e32 v31, 0xffff0000, v9
	ds_load_b64 v[8:9], v16 offset:112
	s_add_nc_u64 s[26:27], s[26:27], s[10:11]
	scratch_store_b32 off, v0, off offset:24 ; 4-byte Folded Spill
	s_wait_xcnt 0x0
	ds_load_2addr_b64 v[0:3], v16 offset0:10 offset1:11
	v_dual_lshlrev_b32 v32, 16, v10 :: v_dual_lshlrev_b32 v37, 16, v11
	v_and_b32_e32 v36, 0xffff0000, v10
	v_and_b32_e32 v38, 0xffff0000, v11
	v_dual_lshlrev_b32 v39, 16, v12 :: v_dual_lshlrev_b32 v41, 16, v13
	v_and_b32_e32 v40, 0xffff0000, v12
	v_and_b32_e32 v42, 0xffff0000, v13
	v_dual_lshlrev_b32 v43, 16, v14 :: v_dual_lshlrev_b32 v45, 16, v15
	s_wait_dscnt 0x2
	v_dual_lshlrev_b32 v67, 16, v6 :: v_dual_lshlrev_b32 v69, 16, v7
	v_and_b32_e32 v68, 0xffff0000, v6
	v_bfe_u32 v6, v17, 1, 4
	v_dual_lshlrev_b32 v63, 16, v4 :: v_dual_lshlrev_b32 v65, 16, v5
	v_and_b32_e32 v64, 0xffff0000, v4
	v_and_b32_e32 v66, 0xffff0000, v5
	s_wait_dscnt 0x0
	v_dual_lshlrev_b32 v5, 2, v6 :: v_dual_lshlrev_b32 v55, 16, v0
	v_lshlrev_b32_e32 v57, 16, v1
	v_and_b32_e32 v56, 0xffff0000, v0
	v_xor_b32_e32 v0, 1, v34
	v_dual_lshlrev_b32 v59, 16, v2 :: v_dual_lshlrev_b32 v61, 16, v3
	v_and_b32_e32 v60, 0xffff0000, v2
	v_and_b32_e32 v62, 0xffff0000, v3
	v_mov_b32_e32 v3, 0
	v_cmp_gt_i32_e32 vcc_lo, 32, v0
	v_lshlrev_b32_e32 v2, 4, v6
	v_and_b32_e32 v58, 0xffff0000, v1
	v_and_b32_e32 v70, 0xffff0000, v7
	v_lshl_or_b32 v7, v79, 6, v5
	v_cndmask_b32_e32 v4, v34, v0, vcc_lo
	v_add_nc_u64_e32 v[0:1], s[26:27], v[2:3]
	v_lshlrev_b32_e32 v2, 2, v18
	s_lshl_b64 s[26:27], s[14:15], 2
	v_lshl_or_b32 v77, v79, 4, v6
	v_lshlrev_b32_e32 v76, 2, v4
	s_add_nc_u64 s[26:27], s[16:17], s[26:27]
	v_add_nc_u32_e32 v78, 0x110, v7
	v_add_nc_u64_e32 v[4:5], v[0:1], v[2:3]
	v_and_b32_e32 v2, 0x7c, v33
	v_and_b32_e32 v44, 0xffff0000, v14
	;; [unrolled: 1-line block ×3, first 2 shown]
	v_dual_lshlrev_b32 v71, 16, v8 :: v_dual_lshlrev_b32 v73, 16, v9
	s_delay_alu instid0(VALU_DEP_4)
	v_add_nc_u64_e32 v[6:7], s[26:27], v[2:3]
	v_and_b32_e32 v72, 0xffff0000, v8
	v_and_b32_e32 v74, 0xffff0000, v9
	s_mov_b32 s11, 0
	s_sub_co_i32 s26, 1, s23
	scratch_store_b32 off, v17, off offset:28 ; 4-byte Folded Spill
	v_cmp_eq_u32_e32 vcc_lo, 0, v18
	s_branch .LBB338_9
.LBB338_8:                              ;   in Loop: Header=BB338_9 Depth=1
	s_or_b32 exec_lo, exec_lo, s27
	v_dual_add_nc_u32 v79, 4, v79 :: v_dual_add_nc_u32 v77, 64, v77
	v_add_nc_u64_e32 v[6:7], 16, v[6:7]
	v_add_nc_u32_e32 v78, 0x100, v78
	s_delay_alu instid0(VALU_DEP_3) | instskip(SKIP_1) | instid1(SALU_CYCLE_1)
	v_cmp_le_i32_e64 s4, s13, v79
	s_or_b32 s11, s4, s11
	s_and_not1_b32 exec_lo, exec_lo, s11
	s_cbranch_execz .LBB338_491
.LBB338_9:                              ; =>This Inner Loop Header: Depth=1
	global_load_b32 v0, v[6:7], off
	v_dual_mov_b32 v81, 0 :: v_dual_mov_b32 v80, 0
	s_mov_b32 s27, exec_lo
	s_wait_loadcnt 0x0
	v_mad_nc_i64_i32 v[8:9], v0, s25, v[4:5]
	global_load_b32 v0, v[8:9], off
	s_wait_loadcnt_dscnt 0x0
	v_and_b32_e32 v1, 0xff, v0
	s_wait_xcnt 0x0
	s_delay_alu instid0(VALU_DEP_1)
	v_cmpx_ne_u16_e32 0, v1
	s_cbranch_execz .LBB338_17
; %bb.10:                               ;   in Loop: Header=BB338_9 Depth=1
	v_bfrev_b32_e32 v80, 1
	s_mov_b32 s28, exec_lo
	v_cmpx_ne_u16_e32 0x80, v1
	s_cbranch_execz .LBB338_16
; %bb.11:                               ;   in Loop: Header=BB338_9 Depth=1
	v_and_b32_e32 v10, 0x7f, v0
	v_mov_b32_e32 v80, 0x7f800001
	s_mov_b32 s29, exec_lo
	s_delay_alu instid0(VALU_DEP_2)
	v_cmpx_ne_u32_e32 0x7f, v10
	s_cbranch_execz .LBB338_15
; %bb.12:                               ;   in Loop: Header=BB338_9 Depth=1
	v_dual_lshrrev_b32 v1, 3, v10 :: v_dual_bitop2_b32 v2, 7, v0 bitop3:0x40
	s_mov_b32 s30, exec_lo
	v_cmpx_gt_u32_e32 8, v10
; %bb.13:                               ;   in Loop: Header=BB338_9 Depth=1
	s_delay_alu instid0(VALU_DEP_2) | instskip(NEXT) | instid1(VALU_DEP_1)
	v_clz_i32_u32_e32 v1, v2
	v_min_u32_e32 v1, 32, v1
	s_delay_alu instid0(VALU_DEP_1) | instskip(NEXT) | instid1(VALU_DEP_1)
	v_subrev_nc_u32_e32 v10, 28, v1
	v_lshlrev_b64_e32 v[10:11], v10, v[2:3]
	s_delay_alu instid0(VALU_DEP_1)
	v_dual_sub_nc_u32 v1, 29, v1 :: v_dual_bitop2_b32 v2, 7, v10 bitop3:0x40
; %bb.14:                               ;   in Loop: Header=BB338_9 Depth=1
	s_or_b32 exec_lo, exec_lo, s30
	s_delay_alu instid0(VALU_DEP_1) | instskip(NEXT) | instid1(VALU_DEP_2)
	v_dual_lshlrev_b32 v10, 24, v0 :: v_dual_lshlrev_b32 v2, 20, v2
	v_lshl_add_u32 v1, v1, 23, 0x3c000000
	s_delay_alu instid0(VALU_DEP_2) | instskip(NEXT) | instid1(VALU_DEP_1)
	v_and_b32_e32 v10, 0x80000000, v10
	v_or3_b32 v80, v2, v10, v1
.LBB338_15:                             ;   in Loop: Header=BB338_9 Depth=1
	s_or_b32 exec_lo, exec_lo, s29
.LBB338_16:                             ;   in Loop: Header=BB338_9 Depth=1
	s_delay_alu instid0(SALU_CYCLE_1)
	s_or_b32 exec_lo, exec_lo, s28
.LBB338_17:                             ;   in Loop: Header=BB338_9 Depth=1
	s_delay_alu instid0(SALU_CYCLE_1) | instskip(SKIP_2) | instid1(VALU_DEP_1)
	s_or_b32 exec_lo, exec_lo, s27
	v_lshrrev_b16 v1, 8, v0
	s_mov_b32 s27, exec_lo
	v_cmpx_ne_u16_e32 0, v1
	s_cbranch_execz .LBB338_25
; %bb.18:                               ;   in Loop: Header=BB338_9 Depth=1
	v_bfrev_b32_e32 v81, 1
	s_mov_b32 s28, exec_lo
	v_cmpx_ne_u16_e32 0x80, v1
	s_cbranch_execz .LBB338_24
; %bb.19:                               ;   in Loop: Header=BB338_9 Depth=1
	v_and_b32_e32 v1, 0xffff, v1
	v_mov_b32_e32 v81, 0x7f800001
	s_mov_b32 s29, exec_lo
	s_delay_alu instid0(VALU_DEP_2) | instskip(NEXT) | instid1(VALU_DEP_1)
	v_and_b32_e32 v10, 0x7f, v1
	v_cmpx_ne_u32_e32 0x7f, v10
	s_cbranch_execz .LBB338_23
; %bb.20:                               ;   in Loop: Header=BB338_9 Depth=1
	v_dual_lshrrev_b32 v1, 3, v10 :: v_dual_bitop2_b32 v2, 7, v1 bitop3:0x40
	s_mov_b32 s30, exec_lo
	v_cmpx_gt_u32_e32 8, v10
; %bb.21:                               ;   in Loop: Header=BB338_9 Depth=1
	s_delay_alu instid0(VALU_DEP_2) | instskip(NEXT) | instid1(VALU_DEP_1)
	v_clz_i32_u32_e32 v1, v2
	v_min_u32_e32 v1, 32, v1
	s_delay_alu instid0(VALU_DEP_1) | instskip(NEXT) | instid1(VALU_DEP_1)
	v_subrev_nc_u32_e32 v10, 28, v1
	v_lshlrev_b64_e32 v[10:11], v10, v[2:3]
	s_delay_alu instid0(VALU_DEP_1)
	v_dual_sub_nc_u32 v1, 29, v1 :: v_dual_bitop2_b32 v2, 7, v10 bitop3:0x40
; %bb.22:                               ;   in Loop: Header=BB338_9 Depth=1
	s_or_b32 exec_lo, exec_lo, s30
	s_delay_alu instid0(VALU_DEP_1) | instskip(NEXT) | instid1(VALU_DEP_2)
	v_dual_lshlrev_b32 v10, 16, v0 :: v_dual_lshlrev_b32 v2, 20, v2
	v_lshl_add_u32 v1, v1, 23, 0x3c000000
	s_delay_alu instid0(VALU_DEP_2) | instskip(NEXT) | instid1(VALU_DEP_1)
	v_and_b32_e32 v10, 0x80000000, v10
	v_or3_b32 v81, v2, v10, v1
.LBB338_23:                             ;   in Loop: Header=BB338_9 Depth=1
	s_or_b32 exec_lo, exec_lo, s29
.LBB338_24:                             ;   in Loop: Header=BB338_9 Depth=1
	s_delay_alu instid0(SALU_CYCLE_1)
	s_or_b32 exec_lo, exec_lo, s28
.LBB338_25:                             ;   in Loop: Header=BB338_9 Depth=1
	s_delay_alu instid0(SALU_CYCLE_1) | instskip(SKIP_3) | instid1(VALU_DEP_2)
	s_or_b32 exec_lo, exec_lo, s27
	v_dual_mov_b32 v82, 0 :: v_dual_lshrrev_b32 v1, 16, v0
	v_mov_b32_e32 v83, 0
	s_mov_b32 s27, exec_lo
	v_and_b32_e32 v2, 0xff, v1
	s_delay_alu instid0(VALU_DEP_1)
	v_cmpx_ne_u16_e32 0, v2
	s_cbranch_execz .LBB338_33
; %bb.26:                               ;   in Loop: Header=BB338_9 Depth=1
	v_bfrev_b32_e32 v83, 1
	s_mov_b32 s28, exec_lo
	v_cmpx_ne_u16_e32 0x80, v2
	s_cbranch_execz .LBB338_32
; %bb.27:                               ;   in Loop: Header=BB338_9 Depth=1
	v_bfe_u32 v11, v0, 16, 7
	v_mov_b32_e32 v83, 0x7f800001
	s_mov_b32 s29, exec_lo
	s_delay_alu instid0(VALU_DEP_2)
	v_cmpx_ne_u32_e32 0x7f, v11
	s_cbranch_execz .LBB338_31
; %bb.28:                               ;   in Loop: Header=BB338_9 Depth=1
	v_dual_lshrrev_b32 v10, 3, v11 :: v_dual_bitop2_b32 v2, 7, v1 bitop3:0x40
	s_mov_b32 s30, exec_lo
	v_cmpx_gt_u32_e32 8, v11
; %bb.29:                               ;   in Loop: Header=BB338_9 Depth=1
	s_delay_alu instid0(VALU_DEP_2) | instskip(NEXT) | instid1(VALU_DEP_1)
	v_clz_i32_u32_e32 v10, v2
	v_min_u32_e32 v10, 32, v10
	s_delay_alu instid0(VALU_DEP_1) | instskip(NEXT) | instid1(VALU_DEP_1)
	v_subrev_nc_u32_e32 v11, 28, v10
	v_lshlrev_b64_e32 v[12:13], v11, v[2:3]
	s_delay_alu instid0(VALU_DEP_1)
	v_dual_sub_nc_u32 v10, 29, v10 :: v_dual_bitop2_b32 v2, 7, v12 bitop3:0x40
; %bb.30:                               ;   in Loop: Header=BB338_9 Depth=1
	s_or_b32 exec_lo, exec_lo, s30
	s_delay_alu instid0(VALU_DEP_1) | instskip(NEXT) | instid1(VALU_DEP_2)
	v_dual_lshlrev_b32 v1, 24, v1 :: v_dual_lshlrev_b32 v2, 20, v2
	v_lshl_add_u32 v10, v10, 23, 0x3c000000
	s_delay_alu instid0(VALU_DEP_2) | instskip(NEXT) | instid1(VALU_DEP_1)
	v_and_b32_e32 v1, 0x80000000, v1
	v_or3_b32 v83, v2, v1, v10
.LBB338_31:                             ;   in Loop: Header=BB338_9 Depth=1
	s_or_b32 exec_lo, exec_lo, s29
.LBB338_32:                             ;   in Loop: Header=BB338_9 Depth=1
	s_delay_alu instid0(SALU_CYCLE_1)
	s_or_b32 exec_lo, exec_lo, s28
.LBB338_33:                             ;   in Loop: Header=BB338_9 Depth=1
	s_delay_alu instid0(SALU_CYCLE_1) | instskip(NEXT) | instid1(SALU_CYCLE_1)
	s_or_b32 exec_lo, exec_lo, s27
	s_mov_b32 s27, exec_lo
	v_cmpx_lt_u32_e32 0xffffff, v0
	s_cbranch_execz .LBB338_41
; %bb.34:                               ;   in Loop: Header=BB338_9 Depth=1
	v_lshrrev_b32_e32 v1, 24, v0
	v_bfrev_b32_e32 v82, 1
	s_mov_b32 s28, exec_lo
	s_delay_alu instid0(VALU_DEP_2)
	v_cmpx_ne_u32_e32 0x80, v1
	s_cbranch_execz .LBB338_40
; %bb.35:                               ;   in Loop: Header=BB338_9 Depth=1
	v_bfe_u32 v10, v0, 24, 7
	v_mov_b32_e32 v82, 0x7f800001
	s_mov_b32 s29, exec_lo
	s_delay_alu instid0(VALU_DEP_2)
	v_cmpx_ne_u32_e32 0x7f, v10
	s_cbranch_execz .LBB338_39
; %bb.36:                               ;   in Loop: Header=BB338_9 Depth=1
	v_dual_lshrrev_b32 v0, 3, v10 :: v_dual_bitop2_b32 v2, 7, v1 bitop3:0x40
	s_mov_b32 s30, exec_lo
	v_cmpx_gt_u32_e32 8, v10
; %bb.37:                               ;   in Loop: Header=BB338_9 Depth=1
	s_delay_alu instid0(VALU_DEP_2) | instskip(NEXT) | instid1(VALU_DEP_1)
	v_clz_i32_u32_e32 v0, v2
	v_min_u32_e32 v0, 32, v0
	s_delay_alu instid0(VALU_DEP_1) | instskip(NEXT) | instid1(VALU_DEP_1)
	v_subrev_nc_u32_e32 v10, 28, v0
	v_lshlrev_b64_e32 v[10:11], v10, v[2:3]
	s_delay_alu instid0(VALU_DEP_1)
	v_dual_sub_nc_u32 v0, 29, v0 :: v_dual_bitop2_b32 v2, 7, v10 bitop3:0x40
; %bb.38:                               ;   in Loop: Header=BB338_9 Depth=1
	s_or_b32 exec_lo, exec_lo, s30
	s_delay_alu instid0(VALU_DEP_1) | instskip(NEXT) | instid1(VALU_DEP_2)
	v_dual_lshlrev_b32 v1, 24, v1 :: v_dual_lshlrev_b32 v2, 20, v2
	v_lshl_add_u32 v0, v0, 23, 0x3c000000
	s_delay_alu instid0(VALU_DEP_2) | instskip(NEXT) | instid1(VALU_DEP_1)
	v_and_b32_e32 v1, 0x80000000, v1
	v_or3_b32 v82, v2, v1, v0
.LBB338_39:                             ;   in Loop: Header=BB338_9 Depth=1
	s_or_b32 exec_lo, exec_lo, s29
.LBB338_40:                             ;   in Loop: Header=BB338_9 Depth=1
	s_delay_alu instid0(SALU_CYCLE_1)
	s_or_b32 exec_lo, exec_lo, s28
.LBB338_41:                             ;   in Loop: Header=BB338_9 Depth=1
	s_delay_alu instid0(SALU_CYCLE_1)
	s_or_b32 exec_lo, exec_lo, s27
	global_load_b32 v0, v[8:9], off offset:8
	v_dual_mov_b32 v84, 0 :: v_dual_mov_b32 v85, 0
	s_mov_b32 s27, exec_lo
	s_wait_loadcnt 0x0
	v_and_b32_e32 v1, 0xff, v0
	s_wait_xcnt 0x0
	s_delay_alu instid0(VALU_DEP_1)
	v_cmpx_ne_u16_e32 0, v1
	s_cbranch_execz .LBB338_49
; %bb.42:                               ;   in Loop: Header=BB338_9 Depth=1
	v_bfrev_b32_e32 v85, 1
	s_mov_b32 s28, exec_lo
	v_cmpx_ne_u16_e32 0x80, v1
	s_cbranch_execz .LBB338_48
; %bb.43:                               ;   in Loop: Header=BB338_9 Depth=1
	v_and_b32_e32 v10, 0x7f, v0
	v_mov_b32_e32 v85, 0x7f800001
	s_mov_b32 s29, exec_lo
	s_delay_alu instid0(VALU_DEP_2)
	v_cmpx_ne_u32_e32 0x7f, v10
	s_cbranch_execz .LBB338_47
; %bb.44:                               ;   in Loop: Header=BB338_9 Depth=1
	v_dual_lshrrev_b32 v1, 3, v10 :: v_dual_bitop2_b32 v2, 7, v0 bitop3:0x40
	s_mov_b32 s30, exec_lo
	v_cmpx_gt_u32_e32 8, v10
; %bb.45:                               ;   in Loop: Header=BB338_9 Depth=1
	s_delay_alu instid0(VALU_DEP_2) | instskip(NEXT) | instid1(VALU_DEP_1)
	v_clz_i32_u32_e32 v1, v2
	v_min_u32_e32 v1, 32, v1
	s_delay_alu instid0(VALU_DEP_1) | instskip(NEXT) | instid1(VALU_DEP_1)
	v_subrev_nc_u32_e32 v10, 28, v1
	v_lshlrev_b64_e32 v[10:11], v10, v[2:3]
	s_delay_alu instid0(VALU_DEP_1)
	v_dual_sub_nc_u32 v1, 29, v1 :: v_dual_bitop2_b32 v2, 7, v10 bitop3:0x40
; %bb.46:                               ;   in Loop: Header=BB338_9 Depth=1
	s_or_b32 exec_lo, exec_lo, s30
	s_delay_alu instid0(VALU_DEP_1) | instskip(NEXT) | instid1(VALU_DEP_2)
	v_dual_lshlrev_b32 v10, 24, v0 :: v_dual_lshlrev_b32 v2, 20, v2
	v_lshl_add_u32 v1, v1, 23, 0x3c000000
	s_delay_alu instid0(VALU_DEP_2) | instskip(NEXT) | instid1(VALU_DEP_1)
	v_and_b32_e32 v10, 0x80000000, v10
	v_or3_b32 v85, v2, v10, v1
.LBB338_47:                             ;   in Loop: Header=BB338_9 Depth=1
	s_or_b32 exec_lo, exec_lo, s29
.LBB338_48:                             ;   in Loop: Header=BB338_9 Depth=1
	s_delay_alu instid0(SALU_CYCLE_1)
	s_or_b32 exec_lo, exec_lo, s28
.LBB338_49:                             ;   in Loop: Header=BB338_9 Depth=1
	s_delay_alu instid0(SALU_CYCLE_1) | instskip(SKIP_2) | instid1(VALU_DEP_1)
	s_or_b32 exec_lo, exec_lo, s27
	v_lshrrev_b16 v1, 8, v0
	s_mov_b32 s27, exec_lo
	v_cmpx_ne_u16_e32 0, v1
	s_cbranch_execz .LBB338_57
; %bb.50:                               ;   in Loop: Header=BB338_9 Depth=1
	v_bfrev_b32_e32 v84, 1
	s_mov_b32 s28, exec_lo
	v_cmpx_ne_u16_e32 0x80, v1
	s_cbranch_execz .LBB338_56
; %bb.51:                               ;   in Loop: Header=BB338_9 Depth=1
	v_and_b32_e32 v1, 0xffff, v1
	v_mov_b32_e32 v84, 0x7f800001
	s_mov_b32 s29, exec_lo
	s_delay_alu instid0(VALU_DEP_2) | instskip(NEXT) | instid1(VALU_DEP_1)
	v_and_b32_e32 v10, 0x7f, v1
	v_cmpx_ne_u32_e32 0x7f, v10
	s_cbranch_execz .LBB338_55
; %bb.52:                               ;   in Loop: Header=BB338_9 Depth=1
	v_dual_lshrrev_b32 v1, 3, v10 :: v_dual_bitop2_b32 v2, 7, v1 bitop3:0x40
	s_mov_b32 s30, exec_lo
	v_cmpx_gt_u32_e32 8, v10
; %bb.53:                               ;   in Loop: Header=BB338_9 Depth=1
	s_delay_alu instid0(VALU_DEP_2) | instskip(NEXT) | instid1(VALU_DEP_1)
	v_clz_i32_u32_e32 v1, v2
	v_min_u32_e32 v1, 32, v1
	s_delay_alu instid0(VALU_DEP_1) | instskip(NEXT) | instid1(VALU_DEP_1)
	v_subrev_nc_u32_e32 v10, 28, v1
	v_lshlrev_b64_e32 v[10:11], v10, v[2:3]
	s_delay_alu instid0(VALU_DEP_1)
	v_dual_sub_nc_u32 v1, 29, v1 :: v_dual_bitop2_b32 v2, 7, v10 bitop3:0x40
; %bb.54:                               ;   in Loop: Header=BB338_9 Depth=1
	s_or_b32 exec_lo, exec_lo, s30
	s_delay_alu instid0(VALU_DEP_1) | instskip(NEXT) | instid1(VALU_DEP_2)
	v_dual_lshlrev_b32 v10, 16, v0 :: v_dual_lshlrev_b32 v2, 20, v2
	v_lshl_add_u32 v1, v1, 23, 0x3c000000
	s_delay_alu instid0(VALU_DEP_2) | instskip(NEXT) | instid1(VALU_DEP_1)
	v_and_b32_e32 v10, 0x80000000, v10
	v_or3_b32 v84, v2, v10, v1
.LBB338_55:                             ;   in Loop: Header=BB338_9 Depth=1
	s_or_b32 exec_lo, exec_lo, s29
.LBB338_56:                             ;   in Loop: Header=BB338_9 Depth=1
	s_delay_alu instid0(SALU_CYCLE_1)
	s_or_b32 exec_lo, exec_lo, s28
.LBB338_57:                             ;   in Loop: Header=BB338_9 Depth=1
	s_delay_alu instid0(SALU_CYCLE_1) | instskip(SKIP_3) | instid1(VALU_DEP_2)
	s_or_b32 exec_lo, exec_lo, s27
	v_dual_mov_b32 v86, 0 :: v_dual_lshrrev_b32 v1, 16, v0
	v_mov_b32_e32 v87, 0
	s_mov_b32 s27, exec_lo
	v_and_b32_e32 v2, 0xff, v1
	s_delay_alu instid0(VALU_DEP_1)
	v_cmpx_ne_u16_e32 0, v2
	s_cbranch_execz .LBB338_65
; %bb.58:                               ;   in Loop: Header=BB338_9 Depth=1
	v_bfrev_b32_e32 v87, 1
	s_mov_b32 s28, exec_lo
	v_cmpx_ne_u16_e32 0x80, v2
	s_cbranch_execz .LBB338_64
; %bb.59:                               ;   in Loop: Header=BB338_9 Depth=1
	v_bfe_u32 v11, v0, 16, 7
	v_mov_b32_e32 v87, 0x7f800001
	s_mov_b32 s29, exec_lo
	s_delay_alu instid0(VALU_DEP_2)
	v_cmpx_ne_u32_e32 0x7f, v11
	s_cbranch_execz .LBB338_63
; %bb.60:                               ;   in Loop: Header=BB338_9 Depth=1
	v_dual_lshrrev_b32 v10, 3, v11 :: v_dual_bitop2_b32 v2, 7, v1 bitop3:0x40
	s_mov_b32 s30, exec_lo
	v_cmpx_gt_u32_e32 8, v11
; %bb.61:                               ;   in Loop: Header=BB338_9 Depth=1
	s_delay_alu instid0(VALU_DEP_2) | instskip(NEXT) | instid1(VALU_DEP_1)
	v_clz_i32_u32_e32 v10, v2
	v_min_u32_e32 v10, 32, v10
	s_delay_alu instid0(VALU_DEP_1) | instskip(NEXT) | instid1(VALU_DEP_1)
	v_subrev_nc_u32_e32 v11, 28, v10
	v_lshlrev_b64_e32 v[12:13], v11, v[2:3]
	s_delay_alu instid0(VALU_DEP_1)
	v_dual_sub_nc_u32 v10, 29, v10 :: v_dual_bitop2_b32 v2, 7, v12 bitop3:0x40
; %bb.62:                               ;   in Loop: Header=BB338_9 Depth=1
	s_or_b32 exec_lo, exec_lo, s30
	s_delay_alu instid0(VALU_DEP_1) | instskip(NEXT) | instid1(VALU_DEP_2)
	v_dual_lshlrev_b32 v1, 24, v1 :: v_dual_lshlrev_b32 v2, 20, v2
	v_lshl_add_u32 v10, v10, 23, 0x3c000000
	s_delay_alu instid0(VALU_DEP_2) | instskip(NEXT) | instid1(VALU_DEP_1)
	v_and_b32_e32 v1, 0x80000000, v1
	v_or3_b32 v87, v2, v1, v10
.LBB338_63:                             ;   in Loop: Header=BB338_9 Depth=1
	s_or_b32 exec_lo, exec_lo, s29
.LBB338_64:                             ;   in Loop: Header=BB338_9 Depth=1
	s_delay_alu instid0(SALU_CYCLE_1)
	s_or_b32 exec_lo, exec_lo, s28
.LBB338_65:                             ;   in Loop: Header=BB338_9 Depth=1
	s_delay_alu instid0(SALU_CYCLE_1) | instskip(NEXT) | instid1(SALU_CYCLE_1)
	s_or_b32 exec_lo, exec_lo, s27
	s_mov_b32 s27, exec_lo
	v_cmpx_lt_u32_e32 0xffffff, v0
	s_cbranch_execz .LBB338_73
; %bb.66:                               ;   in Loop: Header=BB338_9 Depth=1
	v_lshrrev_b32_e32 v1, 24, v0
	v_bfrev_b32_e32 v86, 1
	s_mov_b32 s28, exec_lo
	s_delay_alu instid0(VALU_DEP_2)
	v_cmpx_ne_u32_e32 0x80, v1
	s_cbranch_execz .LBB338_72
; %bb.67:                               ;   in Loop: Header=BB338_9 Depth=1
	v_bfe_u32 v10, v0, 24, 7
	v_mov_b32_e32 v86, 0x7f800001
	s_mov_b32 s29, exec_lo
	s_delay_alu instid0(VALU_DEP_2)
	v_cmpx_ne_u32_e32 0x7f, v10
	s_cbranch_execz .LBB338_71
; %bb.68:                               ;   in Loop: Header=BB338_9 Depth=1
	v_dual_lshrrev_b32 v0, 3, v10 :: v_dual_bitop2_b32 v2, 7, v1 bitop3:0x40
	s_mov_b32 s30, exec_lo
	v_cmpx_gt_u32_e32 8, v10
; %bb.69:                               ;   in Loop: Header=BB338_9 Depth=1
	s_delay_alu instid0(VALU_DEP_2) | instskip(NEXT) | instid1(VALU_DEP_1)
	v_clz_i32_u32_e32 v0, v2
	v_min_u32_e32 v0, 32, v0
	s_delay_alu instid0(VALU_DEP_1) | instskip(NEXT) | instid1(VALU_DEP_1)
	v_subrev_nc_u32_e32 v10, 28, v0
	v_lshlrev_b64_e32 v[10:11], v10, v[2:3]
	s_delay_alu instid0(VALU_DEP_1)
	v_dual_sub_nc_u32 v0, 29, v0 :: v_dual_bitop2_b32 v2, 7, v10 bitop3:0x40
; %bb.70:                               ;   in Loop: Header=BB338_9 Depth=1
	s_or_b32 exec_lo, exec_lo, s30
	s_delay_alu instid0(VALU_DEP_1) | instskip(NEXT) | instid1(VALU_DEP_2)
	v_dual_lshlrev_b32 v1, 24, v1 :: v_dual_lshlrev_b32 v2, 20, v2
	v_lshl_add_u32 v0, v0, 23, 0x3c000000
	s_delay_alu instid0(VALU_DEP_2) | instskip(NEXT) | instid1(VALU_DEP_1)
	v_and_b32_e32 v1, 0x80000000, v1
	v_or3_b32 v86, v2, v1, v0
.LBB338_71:                             ;   in Loop: Header=BB338_9 Depth=1
	s_or_b32 exec_lo, exec_lo, s29
.LBB338_72:                             ;   in Loop: Header=BB338_9 Depth=1
	s_delay_alu instid0(SALU_CYCLE_1)
	s_or_b32 exec_lo, exec_lo, s28
.LBB338_73:                             ;   in Loop: Header=BB338_9 Depth=1
	s_delay_alu instid0(SALU_CYCLE_1)
	s_or_b32 exec_lo, exec_lo, s27
	global_load_b32 v0, v[8:9], off offset:256
	v_dual_mov_b32 v89, 0 :: v_dual_mov_b32 v88, 0
	s_mov_b32 s27, exec_lo
	s_wait_loadcnt 0x0
	v_and_b32_e32 v1, 0xff, v0
	s_wait_xcnt 0x0
	s_delay_alu instid0(VALU_DEP_1)
	v_cmpx_ne_u16_e32 0, v1
	s_cbranch_execz .LBB338_81
; %bb.74:                               ;   in Loop: Header=BB338_9 Depth=1
	v_bfrev_b32_e32 v88, 1
	s_mov_b32 s28, exec_lo
	v_cmpx_ne_u16_e32 0x80, v1
	s_cbranch_execz .LBB338_80
; %bb.75:                               ;   in Loop: Header=BB338_9 Depth=1
	v_and_b32_e32 v10, 0x7f, v0
	v_mov_b32_e32 v88, 0x7f800001
	s_mov_b32 s29, exec_lo
	s_delay_alu instid0(VALU_DEP_2)
	v_cmpx_ne_u32_e32 0x7f, v10
	s_cbranch_execz .LBB338_79
; %bb.76:                               ;   in Loop: Header=BB338_9 Depth=1
	v_dual_lshrrev_b32 v1, 3, v10 :: v_dual_bitop2_b32 v2, 7, v0 bitop3:0x40
	s_mov_b32 s30, exec_lo
	v_cmpx_gt_u32_e32 8, v10
; %bb.77:                               ;   in Loop: Header=BB338_9 Depth=1
	s_delay_alu instid0(VALU_DEP_2) | instskip(NEXT) | instid1(VALU_DEP_1)
	v_clz_i32_u32_e32 v1, v2
	v_min_u32_e32 v1, 32, v1
	s_delay_alu instid0(VALU_DEP_1) | instskip(NEXT) | instid1(VALU_DEP_1)
	v_subrev_nc_u32_e32 v10, 28, v1
	v_lshlrev_b64_e32 v[10:11], v10, v[2:3]
	s_delay_alu instid0(VALU_DEP_1)
	v_dual_sub_nc_u32 v1, 29, v1 :: v_dual_bitop2_b32 v2, 7, v10 bitop3:0x40
; %bb.78:                               ;   in Loop: Header=BB338_9 Depth=1
	s_or_b32 exec_lo, exec_lo, s30
	s_delay_alu instid0(VALU_DEP_1) | instskip(NEXT) | instid1(VALU_DEP_2)
	v_dual_lshlrev_b32 v10, 24, v0 :: v_dual_lshlrev_b32 v2, 20, v2
	v_lshl_add_u32 v1, v1, 23, 0x3c000000
	s_delay_alu instid0(VALU_DEP_2) | instskip(NEXT) | instid1(VALU_DEP_1)
	v_and_b32_e32 v10, 0x80000000, v10
	v_or3_b32 v88, v2, v10, v1
.LBB338_79:                             ;   in Loop: Header=BB338_9 Depth=1
	s_or_b32 exec_lo, exec_lo, s29
.LBB338_80:                             ;   in Loop: Header=BB338_9 Depth=1
	s_delay_alu instid0(SALU_CYCLE_1)
	s_or_b32 exec_lo, exec_lo, s28
.LBB338_81:                             ;   in Loop: Header=BB338_9 Depth=1
	s_delay_alu instid0(SALU_CYCLE_1) | instskip(SKIP_2) | instid1(VALU_DEP_1)
	s_or_b32 exec_lo, exec_lo, s27
	v_lshrrev_b16 v1, 8, v0
	s_mov_b32 s27, exec_lo
	v_cmpx_ne_u16_e32 0, v1
	s_cbranch_execz .LBB338_89
; %bb.82:                               ;   in Loop: Header=BB338_9 Depth=1
	v_bfrev_b32_e32 v89, 1
	s_mov_b32 s28, exec_lo
	v_cmpx_ne_u16_e32 0x80, v1
	s_cbranch_execz .LBB338_88
; %bb.83:                               ;   in Loop: Header=BB338_9 Depth=1
	v_and_b32_e32 v1, 0xffff, v1
	v_mov_b32_e32 v89, 0x7f800001
	s_mov_b32 s29, exec_lo
	s_delay_alu instid0(VALU_DEP_2) | instskip(NEXT) | instid1(VALU_DEP_1)
	v_and_b32_e32 v10, 0x7f, v1
	v_cmpx_ne_u32_e32 0x7f, v10
	s_cbranch_execz .LBB338_87
; %bb.84:                               ;   in Loop: Header=BB338_9 Depth=1
	v_dual_lshrrev_b32 v1, 3, v10 :: v_dual_bitop2_b32 v2, 7, v1 bitop3:0x40
	s_mov_b32 s30, exec_lo
	v_cmpx_gt_u32_e32 8, v10
; %bb.85:                               ;   in Loop: Header=BB338_9 Depth=1
	s_delay_alu instid0(VALU_DEP_2) | instskip(NEXT) | instid1(VALU_DEP_1)
	v_clz_i32_u32_e32 v1, v2
	v_min_u32_e32 v1, 32, v1
	s_delay_alu instid0(VALU_DEP_1) | instskip(NEXT) | instid1(VALU_DEP_1)
	v_subrev_nc_u32_e32 v10, 28, v1
	v_lshlrev_b64_e32 v[10:11], v10, v[2:3]
	s_delay_alu instid0(VALU_DEP_1)
	v_dual_sub_nc_u32 v1, 29, v1 :: v_dual_bitop2_b32 v2, 7, v10 bitop3:0x40
; %bb.86:                               ;   in Loop: Header=BB338_9 Depth=1
	s_or_b32 exec_lo, exec_lo, s30
	s_delay_alu instid0(VALU_DEP_1) | instskip(NEXT) | instid1(VALU_DEP_2)
	v_dual_lshlrev_b32 v10, 16, v0 :: v_dual_lshlrev_b32 v2, 20, v2
	v_lshl_add_u32 v1, v1, 23, 0x3c000000
	s_delay_alu instid0(VALU_DEP_2) | instskip(NEXT) | instid1(VALU_DEP_1)
	v_and_b32_e32 v10, 0x80000000, v10
	v_or3_b32 v89, v2, v10, v1
.LBB338_87:                             ;   in Loop: Header=BB338_9 Depth=1
	s_or_b32 exec_lo, exec_lo, s29
.LBB338_88:                             ;   in Loop: Header=BB338_9 Depth=1
	s_delay_alu instid0(SALU_CYCLE_1)
	s_or_b32 exec_lo, exec_lo, s28
.LBB338_89:                             ;   in Loop: Header=BB338_9 Depth=1
	s_delay_alu instid0(SALU_CYCLE_1) | instskip(SKIP_3) | instid1(VALU_DEP_2)
	s_or_b32 exec_lo, exec_lo, s27
	v_dual_mov_b32 v90, 0 :: v_dual_lshrrev_b32 v1, 16, v0
	v_mov_b32_e32 v91, 0
	s_mov_b32 s27, exec_lo
	v_and_b32_e32 v2, 0xff, v1
	s_delay_alu instid0(VALU_DEP_1)
	v_cmpx_ne_u16_e32 0, v2
	s_cbranch_execz .LBB338_97
; %bb.90:                               ;   in Loop: Header=BB338_9 Depth=1
	v_bfrev_b32_e32 v91, 1
	s_mov_b32 s28, exec_lo
	v_cmpx_ne_u16_e32 0x80, v2
	s_cbranch_execz .LBB338_96
; %bb.91:                               ;   in Loop: Header=BB338_9 Depth=1
	v_bfe_u32 v11, v0, 16, 7
	v_mov_b32_e32 v91, 0x7f800001
	s_mov_b32 s29, exec_lo
	s_delay_alu instid0(VALU_DEP_2)
	v_cmpx_ne_u32_e32 0x7f, v11
	s_cbranch_execz .LBB338_95
; %bb.92:                               ;   in Loop: Header=BB338_9 Depth=1
	v_dual_lshrrev_b32 v10, 3, v11 :: v_dual_bitop2_b32 v2, 7, v1 bitop3:0x40
	s_mov_b32 s30, exec_lo
	v_cmpx_gt_u32_e32 8, v11
; %bb.93:                               ;   in Loop: Header=BB338_9 Depth=1
	s_delay_alu instid0(VALU_DEP_2) | instskip(NEXT) | instid1(VALU_DEP_1)
	v_clz_i32_u32_e32 v10, v2
	v_min_u32_e32 v10, 32, v10
	s_delay_alu instid0(VALU_DEP_1) | instskip(NEXT) | instid1(VALU_DEP_1)
	v_subrev_nc_u32_e32 v11, 28, v10
	v_lshlrev_b64_e32 v[12:13], v11, v[2:3]
	s_delay_alu instid0(VALU_DEP_1)
	v_dual_sub_nc_u32 v10, 29, v10 :: v_dual_bitop2_b32 v2, 7, v12 bitop3:0x40
; %bb.94:                               ;   in Loop: Header=BB338_9 Depth=1
	s_or_b32 exec_lo, exec_lo, s30
	s_delay_alu instid0(VALU_DEP_1) | instskip(NEXT) | instid1(VALU_DEP_2)
	v_dual_lshlrev_b32 v1, 24, v1 :: v_dual_lshlrev_b32 v2, 20, v2
	v_lshl_add_u32 v10, v10, 23, 0x3c000000
	s_delay_alu instid0(VALU_DEP_2) | instskip(NEXT) | instid1(VALU_DEP_1)
	v_and_b32_e32 v1, 0x80000000, v1
	v_or3_b32 v91, v2, v1, v10
.LBB338_95:                             ;   in Loop: Header=BB338_9 Depth=1
	s_or_b32 exec_lo, exec_lo, s29
.LBB338_96:                             ;   in Loop: Header=BB338_9 Depth=1
	s_delay_alu instid0(SALU_CYCLE_1)
	s_or_b32 exec_lo, exec_lo, s28
.LBB338_97:                             ;   in Loop: Header=BB338_9 Depth=1
	s_delay_alu instid0(SALU_CYCLE_1) | instskip(NEXT) | instid1(SALU_CYCLE_1)
	s_or_b32 exec_lo, exec_lo, s27
	s_mov_b32 s27, exec_lo
	v_cmpx_lt_u32_e32 0xffffff, v0
	s_cbranch_execz .LBB338_105
; %bb.98:                               ;   in Loop: Header=BB338_9 Depth=1
	v_lshrrev_b32_e32 v1, 24, v0
	v_bfrev_b32_e32 v90, 1
	s_mov_b32 s28, exec_lo
	s_delay_alu instid0(VALU_DEP_2)
	v_cmpx_ne_u32_e32 0x80, v1
	s_cbranch_execz .LBB338_104
; %bb.99:                               ;   in Loop: Header=BB338_9 Depth=1
	v_bfe_u32 v10, v0, 24, 7
	v_mov_b32_e32 v90, 0x7f800001
	s_mov_b32 s29, exec_lo
	s_delay_alu instid0(VALU_DEP_2)
	v_cmpx_ne_u32_e32 0x7f, v10
	s_cbranch_execz .LBB338_103
; %bb.100:                              ;   in Loop: Header=BB338_9 Depth=1
	v_dual_lshrrev_b32 v0, 3, v10 :: v_dual_bitop2_b32 v2, 7, v1 bitop3:0x40
	s_mov_b32 s30, exec_lo
	v_cmpx_gt_u32_e32 8, v10
; %bb.101:                              ;   in Loop: Header=BB338_9 Depth=1
	s_delay_alu instid0(VALU_DEP_2) | instskip(NEXT) | instid1(VALU_DEP_1)
	v_clz_i32_u32_e32 v0, v2
	v_min_u32_e32 v0, 32, v0
	s_delay_alu instid0(VALU_DEP_1) | instskip(NEXT) | instid1(VALU_DEP_1)
	v_subrev_nc_u32_e32 v10, 28, v0
	v_lshlrev_b64_e32 v[10:11], v10, v[2:3]
	s_delay_alu instid0(VALU_DEP_1)
	v_dual_sub_nc_u32 v0, 29, v0 :: v_dual_bitop2_b32 v2, 7, v10 bitop3:0x40
; %bb.102:                              ;   in Loop: Header=BB338_9 Depth=1
	s_or_b32 exec_lo, exec_lo, s30
	s_delay_alu instid0(VALU_DEP_1) | instskip(NEXT) | instid1(VALU_DEP_2)
	v_dual_lshlrev_b32 v1, 24, v1 :: v_dual_lshlrev_b32 v2, 20, v2
	v_lshl_add_u32 v0, v0, 23, 0x3c000000
	s_delay_alu instid0(VALU_DEP_2) | instskip(NEXT) | instid1(VALU_DEP_1)
	v_and_b32_e32 v1, 0x80000000, v1
	v_or3_b32 v90, v2, v1, v0
.LBB338_103:                            ;   in Loop: Header=BB338_9 Depth=1
	s_or_b32 exec_lo, exec_lo, s29
.LBB338_104:                            ;   in Loop: Header=BB338_9 Depth=1
	s_delay_alu instid0(SALU_CYCLE_1)
	s_or_b32 exec_lo, exec_lo, s28
.LBB338_105:                            ;   in Loop: Header=BB338_9 Depth=1
	s_delay_alu instid0(SALU_CYCLE_1)
	s_or_b32 exec_lo, exec_lo, s27
	global_load_b32 v0, v[8:9], off offset:264
	v_dual_mov_b32 v94, 0 :: v_dual_mov_b32 v93, 0
	s_mov_b32 s27, exec_lo
	s_wait_loadcnt 0x0
	v_and_b32_e32 v1, 0xff, v0
	s_wait_xcnt 0x0
	s_delay_alu instid0(VALU_DEP_1)
	v_cmpx_ne_u16_e32 0, v1
	s_cbranch_execz .LBB338_113
; %bb.106:                              ;   in Loop: Header=BB338_9 Depth=1
	v_bfrev_b32_e32 v93, 1
	s_mov_b32 s28, exec_lo
	v_cmpx_ne_u16_e32 0x80, v1
	s_cbranch_execz .LBB338_112
; %bb.107:                              ;   in Loop: Header=BB338_9 Depth=1
	v_and_b32_e32 v10, 0x7f, v0
	v_mov_b32_e32 v93, 0x7f800001
	s_mov_b32 s29, exec_lo
	s_delay_alu instid0(VALU_DEP_2)
	v_cmpx_ne_u32_e32 0x7f, v10
	s_cbranch_execz .LBB338_111
; %bb.108:                              ;   in Loop: Header=BB338_9 Depth=1
	v_dual_lshrrev_b32 v1, 3, v10 :: v_dual_bitop2_b32 v2, 7, v0 bitop3:0x40
	s_mov_b32 s30, exec_lo
	v_cmpx_gt_u32_e32 8, v10
; %bb.109:                              ;   in Loop: Header=BB338_9 Depth=1
	s_delay_alu instid0(VALU_DEP_2) | instskip(NEXT) | instid1(VALU_DEP_1)
	v_clz_i32_u32_e32 v1, v2
	v_min_u32_e32 v1, 32, v1
	s_delay_alu instid0(VALU_DEP_1) | instskip(NEXT) | instid1(VALU_DEP_1)
	v_subrev_nc_u32_e32 v10, 28, v1
	v_lshlrev_b64_e32 v[10:11], v10, v[2:3]
	s_delay_alu instid0(VALU_DEP_1)
	v_dual_sub_nc_u32 v1, 29, v1 :: v_dual_bitop2_b32 v2, 7, v10 bitop3:0x40
; %bb.110:                              ;   in Loop: Header=BB338_9 Depth=1
	s_or_b32 exec_lo, exec_lo, s30
	s_delay_alu instid0(VALU_DEP_1) | instskip(NEXT) | instid1(VALU_DEP_2)
	v_dual_lshlrev_b32 v10, 24, v0 :: v_dual_lshlrev_b32 v2, 20, v2
	v_lshl_add_u32 v1, v1, 23, 0x3c000000
	s_delay_alu instid0(VALU_DEP_2) | instskip(NEXT) | instid1(VALU_DEP_1)
	v_and_b32_e32 v10, 0x80000000, v10
	v_or3_b32 v93, v2, v10, v1
.LBB338_111:                            ;   in Loop: Header=BB338_9 Depth=1
	s_or_b32 exec_lo, exec_lo, s29
.LBB338_112:                            ;   in Loop: Header=BB338_9 Depth=1
	s_delay_alu instid0(SALU_CYCLE_1)
	s_or_b32 exec_lo, exec_lo, s28
.LBB338_113:                            ;   in Loop: Header=BB338_9 Depth=1
	s_delay_alu instid0(SALU_CYCLE_1) | instskip(SKIP_2) | instid1(VALU_DEP_1)
	s_or_b32 exec_lo, exec_lo, s27
	v_lshrrev_b16 v1, 8, v0
	s_mov_b32 s27, exec_lo
	v_cmpx_ne_u16_e32 0, v1
	s_cbranch_execz .LBB338_121
; %bb.114:                              ;   in Loop: Header=BB338_9 Depth=1
	v_bfrev_b32_e32 v94, 1
	s_mov_b32 s28, exec_lo
	v_cmpx_ne_u16_e32 0x80, v1
	s_cbranch_execz .LBB338_120
; %bb.115:                              ;   in Loop: Header=BB338_9 Depth=1
	v_and_b32_e32 v1, 0xffff, v1
	v_mov_b32_e32 v94, 0x7f800001
	s_mov_b32 s29, exec_lo
	s_delay_alu instid0(VALU_DEP_2) | instskip(NEXT) | instid1(VALU_DEP_1)
	v_and_b32_e32 v10, 0x7f, v1
	v_cmpx_ne_u32_e32 0x7f, v10
	s_cbranch_execz .LBB338_119
; %bb.116:                              ;   in Loop: Header=BB338_9 Depth=1
	v_dual_lshrrev_b32 v1, 3, v10 :: v_dual_bitop2_b32 v2, 7, v1 bitop3:0x40
	s_mov_b32 s30, exec_lo
	v_cmpx_gt_u32_e32 8, v10
; %bb.117:                              ;   in Loop: Header=BB338_9 Depth=1
	s_delay_alu instid0(VALU_DEP_2) | instskip(NEXT) | instid1(VALU_DEP_1)
	v_clz_i32_u32_e32 v1, v2
	v_min_u32_e32 v1, 32, v1
	s_delay_alu instid0(VALU_DEP_1) | instskip(NEXT) | instid1(VALU_DEP_1)
	v_subrev_nc_u32_e32 v10, 28, v1
	v_lshlrev_b64_e32 v[10:11], v10, v[2:3]
	s_delay_alu instid0(VALU_DEP_1)
	v_dual_sub_nc_u32 v1, 29, v1 :: v_dual_bitop2_b32 v2, 7, v10 bitop3:0x40
; %bb.118:                              ;   in Loop: Header=BB338_9 Depth=1
	s_or_b32 exec_lo, exec_lo, s30
	s_delay_alu instid0(VALU_DEP_1) | instskip(NEXT) | instid1(VALU_DEP_2)
	v_dual_lshlrev_b32 v10, 16, v0 :: v_dual_lshlrev_b32 v2, 20, v2
	v_lshl_add_u32 v1, v1, 23, 0x3c000000
	s_delay_alu instid0(VALU_DEP_2) | instskip(NEXT) | instid1(VALU_DEP_1)
	v_and_b32_e32 v10, 0x80000000, v10
	v_or3_b32 v94, v2, v10, v1
.LBB338_119:                            ;   in Loop: Header=BB338_9 Depth=1
	s_or_b32 exec_lo, exec_lo, s29
.LBB338_120:                            ;   in Loop: Header=BB338_9 Depth=1
	s_delay_alu instid0(SALU_CYCLE_1)
	s_or_b32 exec_lo, exec_lo, s28
.LBB338_121:                            ;   in Loop: Header=BB338_9 Depth=1
	s_delay_alu instid0(SALU_CYCLE_1) | instskip(SKIP_3) | instid1(VALU_DEP_2)
	s_or_b32 exec_lo, exec_lo, s27
	v_dual_mov_b32 v92, 0 :: v_dual_lshrrev_b32 v1, 16, v0
	v_mov_b32_e32 v95, 0
	s_mov_b32 s27, exec_lo
	v_and_b32_e32 v2, 0xff, v1
	s_delay_alu instid0(VALU_DEP_1)
	v_cmpx_ne_u16_e32 0, v2
	s_cbranch_execz .LBB338_129
; %bb.122:                              ;   in Loop: Header=BB338_9 Depth=1
	v_bfrev_b32_e32 v95, 1
	s_mov_b32 s28, exec_lo
	v_cmpx_ne_u16_e32 0x80, v2
	s_cbranch_execz .LBB338_128
; %bb.123:                              ;   in Loop: Header=BB338_9 Depth=1
	v_bfe_u32 v11, v0, 16, 7
	v_mov_b32_e32 v95, 0x7f800001
	s_mov_b32 s29, exec_lo
	s_delay_alu instid0(VALU_DEP_2)
	v_cmpx_ne_u32_e32 0x7f, v11
	s_cbranch_execz .LBB338_127
; %bb.124:                              ;   in Loop: Header=BB338_9 Depth=1
	v_dual_lshrrev_b32 v10, 3, v11 :: v_dual_bitop2_b32 v2, 7, v1 bitop3:0x40
	s_mov_b32 s30, exec_lo
	v_cmpx_gt_u32_e32 8, v11
; %bb.125:                              ;   in Loop: Header=BB338_9 Depth=1
	s_delay_alu instid0(VALU_DEP_2) | instskip(NEXT) | instid1(VALU_DEP_1)
	v_clz_i32_u32_e32 v10, v2
	v_min_u32_e32 v10, 32, v10
	s_delay_alu instid0(VALU_DEP_1) | instskip(NEXT) | instid1(VALU_DEP_1)
	v_subrev_nc_u32_e32 v11, 28, v10
	v_lshlrev_b64_e32 v[12:13], v11, v[2:3]
	s_delay_alu instid0(VALU_DEP_1)
	v_dual_sub_nc_u32 v10, 29, v10 :: v_dual_bitop2_b32 v2, 7, v12 bitop3:0x40
; %bb.126:                              ;   in Loop: Header=BB338_9 Depth=1
	s_or_b32 exec_lo, exec_lo, s30
	s_delay_alu instid0(VALU_DEP_1) | instskip(NEXT) | instid1(VALU_DEP_2)
	v_dual_lshlrev_b32 v1, 24, v1 :: v_dual_lshlrev_b32 v2, 20, v2
	v_lshl_add_u32 v10, v10, 23, 0x3c000000
	s_delay_alu instid0(VALU_DEP_2) | instskip(NEXT) | instid1(VALU_DEP_1)
	v_and_b32_e32 v1, 0x80000000, v1
	v_or3_b32 v95, v2, v1, v10
.LBB338_127:                            ;   in Loop: Header=BB338_9 Depth=1
	s_or_b32 exec_lo, exec_lo, s29
.LBB338_128:                            ;   in Loop: Header=BB338_9 Depth=1
	s_delay_alu instid0(SALU_CYCLE_1)
	s_or_b32 exec_lo, exec_lo, s28
.LBB338_129:                            ;   in Loop: Header=BB338_9 Depth=1
	s_delay_alu instid0(SALU_CYCLE_1) | instskip(NEXT) | instid1(SALU_CYCLE_1)
	s_or_b32 exec_lo, exec_lo, s27
	s_mov_b32 s27, exec_lo
	v_cmpx_lt_u32_e32 0xffffff, v0
	s_cbranch_execz .LBB338_137
; %bb.130:                              ;   in Loop: Header=BB338_9 Depth=1
	v_lshrrev_b32_e32 v1, 24, v0
	v_bfrev_b32_e32 v92, 1
	s_mov_b32 s28, exec_lo
	s_delay_alu instid0(VALU_DEP_2)
	v_cmpx_ne_u32_e32 0x80, v1
	s_cbranch_execz .LBB338_136
; %bb.131:                              ;   in Loop: Header=BB338_9 Depth=1
	v_bfe_u32 v10, v0, 24, 7
	v_mov_b32_e32 v92, 0x7f800001
	s_mov_b32 s29, exec_lo
	s_delay_alu instid0(VALU_DEP_2)
	v_cmpx_ne_u32_e32 0x7f, v10
	s_cbranch_execz .LBB338_135
; %bb.132:                              ;   in Loop: Header=BB338_9 Depth=1
	v_dual_lshrrev_b32 v0, 3, v10 :: v_dual_bitop2_b32 v2, 7, v1 bitop3:0x40
	s_mov_b32 s30, exec_lo
	v_cmpx_gt_u32_e32 8, v10
; %bb.133:                              ;   in Loop: Header=BB338_9 Depth=1
	s_delay_alu instid0(VALU_DEP_2) | instskip(NEXT) | instid1(VALU_DEP_1)
	v_clz_i32_u32_e32 v0, v2
	v_min_u32_e32 v0, 32, v0
	s_delay_alu instid0(VALU_DEP_1) | instskip(NEXT) | instid1(VALU_DEP_1)
	v_subrev_nc_u32_e32 v10, 28, v0
	v_lshlrev_b64_e32 v[10:11], v10, v[2:3]
	s_delay_alu instid0(VALU_DEP_1)
	v_dual_sub_nc_u32 v0, 29, v0 :: v_dual_bitop2_b32 v2, 7, v10 bitop3:0x40
; %bb.134:                              ;   in Loop: Header=BB338_9 Depth=1
	s_or_b32 exec_lo, exec_lo, s30
	s_delay_alu instid0(VALU_DEP_1) | instskip(NEXT) | instid1(VALU_DEP_2)
	v_dual_lshlrev_b32 v1, 24, v1 :: v_dual_lshlrev_b32 v2, 20, v2
	v_lshl_add_u32 v0, v0, 23, 0x3c000000
	s_delay_alu instid0(VALU_DEP_2) | instskip(NEXT) | instid1(VALU_DEP_1)
	v_and_b32_e32 v1, 0x80000000, v1
	v_or3_b32 v92, v2, v1, v0
.LBB338_135:                            ;   in Loop: Header=BB338_9 Depth=1
	s_or_b32 exec_lo, exec_lo, s29
.LBB338_136:                            ;   in Loop: Header=BB338_9 Depth=1
	s_delay_alu instid0(SALU_CYCLE_1)
	s_or_b32 exec_lo, exec_lo, s28
.LBB338_137:                            ;   in Loop: Header=BB338_9 Depth=1
	s_delay_alu instid0(SALU_CYCLE_1)
	s_or_b32 exec_lo, exec_lo, s27
	global_load_b32 v0, v[8:9], off offset:512
	v_dual_mov_b32 v98, 0 :: v_dual_mov_b32 v97, 0
	s_mov_b32 s27, exec_lo
	s_wait_loadcnt 0x0
	v_and_b32_e32 v1, 0xff, v0
	s_wait_xcnt 0x0
	s_delay_alu instid0(VALU_DEP_1)
	v_cmpx_ne_u16_e32 0, v1
	s_cbranch_execz .LBB338_145
; %bb.138:                              ;   in Loop: Header=BB338_9 Depth=1
	v_bfrev_b32_e32 v97, 1
	s_mov_b32 s28, exec_lo
	v_cmpx_ne_u16_e32 0x80, v1
	s_cbranch_execz .LBB338_144
; %bb.139:                              ;   in Loop: Header=BB338_9 Depth=1
	v_and_b32_e32 v10, 0x7f, v0
	v_mov_b32_e32 v97, 0x7f800001
	s_mov_b32 s29, exec_lo
	s_delay_alu instid0(VALU_DEP_2)
	v_cmpx_ne_u32_e32 0x7f, v10
	s_cbranch_execz .LBB338_143
; %bb.140:                              ;   in Loop: Header=BB338_9 Depth=1
	v_dual_lshrrev_b32 v1, 3, v10 :: v_dual_bitop2_b32 v2, 7, v0 bitop3:0x40
	s_mov_b32 s30, exec_lo
	v_cmpx_gt_u32_e32 8, v10
; %bb.141:                              ;   in Loop: Header=BB338_9 Depth=1
	s_delay_alu instid0(VALU_DEP_2) | instskip(NEXT) | instid1(VALU_DEP_1)
	v_clz_i32_u32_e32 v1, v2
	v_min_u32_e32 v1, 32, v1
	s_delay_alu instid0(VALU_DEP_1) | instskip(NEXT) | instid1(VALU_DEP_1)
	v_subrev_nc_u32_e32 v10, 28, v1
	v_lshlrev_b64_e32 v[10:11], v10, v[2:3]
	s_delay_alu instid0(VALU_DEP_1)
	v_dual_sub_nc_u32 v1, 29, v1 :: v_dual_bitop2_b32 v2, 7, v10 bitop3:0x40
; %bb.142:                              ;   in Loop: Header=BB338_9 Depth=1
	s_or_b32 exec_lo, exec_lo, s30
	s_delay_alu instid0(VALU_DEP_1) | instskip(NEXT) | instid1(VALU_DEP_2)
	v_dual_lshlrev_b32 v10, 24, v0 :: v_dual_lshlrev_b32 v2, 20, v2
	v_lshl_add_u32 v1, v1, 23, 0x3c000000
	s_delay_alu instid0(VALU_DEP_2) | instskip(NEXT) | instid1(VALU_DEP_1)
	v_and_b32_e32 v10, 0x80000000, v10
	v_or3_b32 v97, v2, v10, v1
.LBB338_143:                            ;   in Loop: Header=BB338_9 Depth=1
	s_or_b32 exec_lo, exec_lo, s29
.LBB338_144:                            ;   in Loop: Header=BB338_9 Depth=1
	s_delay_alu instid0(SALU_CYCLE_1)
	s_or_b32 exec_lo, exec_lo, s28
.LBB338_145:                            ;   in Loop: Header=BB338_9 Depth=1
	s_delay_alu instid0(SALU_CYCLE_1) | instskip(SKIP_2) | instid1(VALU_DEP_1)
	s_or_b32 exec_lo, exec_lo, s27
	v_lshrrev_b16 v1, 8, v0
	s_mov_b32 s27, exec_lo
	v_cmpx_ne_u16_e32 0, v1
	s_cbranch_execz .LBB338_153
; %bb.146:                              ;   in Loop: Header=BB338_9 Depth=1
	v_bfrev_b32_e32 v98, 1
	s_mov_b32 s28, exec_lo
	v_cmpx_ne_u16_e32 0x80, v1
	s_cbranch_execz .LBB338_152
; %bb.147:                              ;   in Loop: Header=BB338_9 Depth=1
	v_and_b32_e32 v1, 0xffff, v1
	v_mov_b32_e32 v98, 0x7f800001
	s_mov_b32 s29, exec_lo
	s_delay_alu instid0(VALU_DEP_2) | instskip(NEXT) | instid1(VALU_DEP_1)
	v_and_b32_e32 v10, 0x7f, v1
	v_cmpx_ne_u32_e32 0x7f, v10
	s_cbranch_execz .LBB338_151
; %bb.148:                              ;   in Loop: Header=BB338_9 Depth=1
	v_dual_lshrrev_b32 v1, 3, v10 :: v_dual_bitop2_b32 v2, 7, v1 bitop3:0x40
	s_mov_b32 s30, exec_lo
	v_cmpx_gt_u32_e32 8, v10
; %bb.149:                              ;   in Loop: Header=BB338_9 Depth=1
	s_delay_alu instid0(VALU_DEP_2) | instskip(NEXT) | instid1(VALU_DEP_1)
	v_clz_i32_u32_e32 v1, v2
	v_min_u32_e32 v1, 32, v1
	s_delay_alu instid0(VALU_DEP_1) | instskip(NEXT) | instid1(VALU_DEP_1)
	v_subrev_nc_u32_e32 v10, 28, v1
	v_lshlrev_b64_e32 v[10:11], v10, v[2:3]
	s_delay_alu instid0(VALU_DEP_1)
	v_dual_sub_nc_u32 v1, 29, v1 :: v_dual_bitop2_b32 v2, 7, v10 bitop3:0x40
; %bb.150:                              ;   in Loop: Header=BB338_9 Depth=1
	s_or_b32 exec_lo, exec_lo, s30
	s_delay_alu instid0(VALU_DEP_1) | instskip(NEXT) | instid1(VALU_DEP_2)
	v_dual_lshlrev_b32 v10, 16, v0 :: v_dual_lshlrev_b32 v2, 20, v2
	v_lshl_add_u32 v1, v1, 23, 0x3c000000
	s_delay_alu instid0(VALU_DEP_2) | instskip(NEXT) | instid1(VALU_DEP_1)
	v_and_b32_e32 v10, 0x80000000, v10
	v_or3_b32 v98, v2, v10, v1
.LBB338_151:                            ;   in Loop: Header=BB338_9 Depth=1
	s_or_b32 exec_lo, exec_lo, s29
.LBB338_152:                            ;   in Loop: Header=BB338_9 Depth=1
	s_delay_alu instid0(SALU_CYCLE_1)
	s_or_b32 exec_lo, exec_lo, s28
.LBB338_153:                            ;   in Loop: Header=BB338_9 Depth=1
	s_delay_alu instid0(SALU_CYCLE_1) | instskip(SKIP_3) | instid1(VALU_DEP_2)
	s_or_b32 exec_lo, exec_lo, s27
	v_dual_mov_b32 v96, 0 :: v_dual_lshrrev_b32 v1, 16, v0
	v_mov_b32_e32 v99, 0
	s_mov_b32 s27, exec_lo
	v_and_b32_e32 v2, 0xff, v1
	s_delay_alu instid0(VALU_DEP_1)
	v_cmpx_ne_u16_e32 0, v2
	s_cbranch_execz .LBB338_161
; %bb.154:                              ;   in Loop: Header=BB338_9 Depth=1
	v_bfrev_b32_e32 v99, 1
	s_mov_b32 s28, exec_lo
	v_cmpx_ne_u16_e32 0x80, v2
	s_cbranch_execz .LBB338_160
; %bb.155:                              ;   in Loop: Header=BB338_9 Depth=1
	v_bfe_u32 v11, v0, 16, 7
	v_mov_b32_e32 v99, 0x7f800001
	s_mov_b32 s29, exec_lo
	s_delay_alu instid0(VALU_DEP_2)
	v_cmpx_ne_u32_e32 0x7f, v11
	s_cbranch_execz .LBB338_159
; %bb.156:                              ;   in Loop: Header=BB338_9 Depth=1
	v_dual_lshrrev_b32 v10, 3, v11 :: v_dual_bitop2_b32 v2, 7, v1 bitop3:0x40
	s_mov_b32 s30, exec_lo
	v_cmpx_gt_u32_e32 8, v11
; %bb.157:                              ;   in Loop: Header=BB338_9 Depth=1
	s_delay_alu instid0(VALU_DEP_2) | instskip(NEXT) | instid1(VALU_DEP_1)
	v_clz_i32_u32_e32 v10, v2
	v_min_u32_e32 v10, 32, v10
	s_delay_alu instid0(VALU_DEP_1) | instskip(NEXT) | instid1(VALU_DEP_1)
	v_subrev_nc_u32_e32 v11, 28, v10
	v_lshlrev_b64_e32 v[12:13], v11, v[2:3]
	s_delay_alu instid0(VALU_DEP_1)
	v_dual_sub_nc_u32 v10, 29, v10 :: v_dual_bitop2_b32 v2, 7, v12 bitop3:0x40
; %bb.158:                              ;   in Loop: Header=BB338_9 Depth=1
	s_or_b32 exec_lo, exec_lo, s30
	s_delay_alu instid0(VALU_DEP_1) | instskip(NEXT) | instid1(VALU_DEP_2)
	v_dual_lshlrev_b32 v1, 24, v1 :: v_dual_lshlrev_b32 v2, 20, v2
	v_lshl_add_u32 v10, v10, 23, 0x3c000000
	s_delay_alu instid0(VALU_DEP_2) | instskip(NEXT) | instid1(VALU_DEP_1)
	v_and_b32_e32 v1, 0x80000000, v1
	v_or3_b32 v99, v2, v1, v10
.LBB338_159:                            ;   in Loop: Header=BB338_9 Depth=1
	s_or_b32 exec_lo, exec_lo, s29
.LBB338_160:                            ;   in Loop: Header=BB338_9 Depth=1
	s_delay_alu instid0(SALU_CYCLE_1)
	s_or_b32 exec_lo, exec_lo, s28
.LBB338_161:                            ;   in Loop: Header=BB338_9 Depth=1
	s_delay_alu instid0(SALU_CYCLE_1) | instskip(NEXT) | instid1(SALU_CYCLE_1)
	s_or_b32 exec_lo, exec_lo, s27
	s_mov_b32 s27, exec_lo
	v_cmpx_lt_u32_e32 0xffffff, v0
	s_cbranch_execz .LBB338_169
; %bb.162:                              ;   in Loop: Header=BB338_9 Depth=1
	v_lshrrev_b32_e32 v1, 24, v0
	v_bfrev_b32_e32 v96, 1
	s_mov_b32 s28, exec_lo
	s_delay_alu instid0(VALU_DEP_2)
	v_cmpx_ne_u32_e32 0x80, v1
	s_cbranch_execz .LBB338_168
; %bb.163:                              ;   in Loop: Header=BB338_9 Depth=1
	v_bfe_u32 v10, v0, 24, 7
	v_mov_b32_e32 v96, 0x7f800001
	s_mov_b32 s29, exec_lo
	s_delay_alu instid0(VALU_DEP_2)
	v_cmpx_ne_u32_e32 0x7f, v10
	s_cbranch_execz .LBB338_167
; %bb.164:                              ;   in Loop: Header=BB338_9 Depth=1
	v_dual_lshrrev_b32 v0, 3, v10 :: v_dual_bitop2_b32 v2, 7, v1 bitop3:0x40
	s_mov_b32 s30, exec_lo
	v_cmpx_gt_u32_e32 8, v10
; %bb.165:                              ;   in Loop: Header=BB338_9 Depth=1
	s_delay_alu instid0(VALU_DEP_2) | instskip(NEXT) | instid1(VALU_DEP_1)
	v_clz_i32_u32_e32 v0, v2
	v_min_u32_e32 v0, 32, v0
	s_delay_alu instid0(VALU_DEP_1) | instskip(NEXT) | instid1(VALU_DEP_1)
	v_subrev_nc_u32_e32 v10, 28, v0
	v_lshlrev_b64_e32 v[10:11], v10, v[2:3]
	s_delay_alu instid0(VALU_DEP_1)
	v_dual_sub_nc_u32 v0, 29, v0 :: v_dual_bitop2_b32 v2, 7, v10 bitop3:0x40
; %bb.166:                              ;   in Loop: Header=BB338_9 Depth=1
	s_or_b32 exec_lo, exec_lo, s30
	s_delay_alu instid0(VALU_DEP_1) | instskip(NEXT) | instid1(VALU_DEP_2)
	v_dual_lshlrev_b32 v1, 24, v1 :: v_dual_lshlrev_b32 v2, 20, v2
	v_lshl_add_u32 v0, v0, 23, 0x3c000000
	s_delay_alu instid0(VALU_DEP_2) | instskip(NEXT) | instid1(VALU_DEP_1)
	v_and_b32_e32 v1, 0x80000000, v1
	v_or3_b32 v96, v2, v1, v0
.LBB338_167:                            ;   in Loop: Header=BB338_9 Depth=1
	s_or_b32 exec_lo, exec_lo, s29
.LBB338_168:                            ;   in Loop: Header=BB338_9 Depth=1
	s_delay_alu instid0(SALU_CYCLE_1)
	s_or_b32 exec_lo, exec_lo, s28
.LBB338_169:                            ;   in Loop: Header=BB338_9 Depth=1
	s_delay_alu instid0(SALU_CYCLE_1)
	s_or_b32 exec_lo, exec_lo, s27
	global_load_b32 v0, v[8:9], off offset:520
	v_dual_mov_b32 v102, 0 :: v_dual_mov_b32 v101, 0
	s_mov_b32 s27, exec_lo
	s_wait_loadcnt 0x0
	v_and_b32_e32 v1, 0xff, v0
	s_wait_xcnt 0x0
	s_delay_alu instid0(VALU_DEP_1)
	v_cmpx_ne_u16_e32 0, v1
	s_cbranch_execz .LBB338_177
; %bb.170:                              ;   in Loop: Header=BB338_9 Depth=1
	v_bfrev_b32_e32 v101, 1
	s_mov_b32 s28, exec_lo
	v_cmpx_ne_u16_e32 0x80, v1
	s_cbranch_execz .LBB338_176
; %bb.171:                              ;   in Loop: Header=BB338_9 Depth=1
	v_and_b32_e32 v10, 0x7f, v0
	v_mov_b32_e32 v101, 0x7f800001
	s_mov_b32 s29, exec_lo
	s_delay_alu instid0(VALU_DEP_2)
	v_cmpx_ne_u32_e32 0x7f, v10
	s_cbranch_execz .LBB338_175
; %bb.172:                              ;   in Loop: Header=BB338_9 Depth=1
	v_dual_lshrrev_b32 v1, 3, v10 :: v_dual_bitop2_b32 v2, 7, v0 bitop3:0x40
	s_mov_b32 s30, exec_lo
	v_cmpx_gt_u32_e32 8, v10
; %bb.173:                              ;   in Loop: Header=BB338_9 Depth=1
	s_delay_alu instid0(VALU_DEP_2) | instskip(NEXT) | instid1(VALU_DEP_1)
	v_clz_i32_u32_e32 v1, v2
	v_min_u32_e32 v1, 32, v1
	s_delay_alu instid0(VALU_DEP_1) | instskip(NEXT) | instid1(VALU_DEP_1)
	v_subrev_nc_u32_e32 v10, 28, v1
	v_lshlrev_b64_e32 v[10:11], v10, v[2:3]
	s_delay_alu instid0(VALU_DEP_1)
	v_dual_sub_nc_u32 v1, 29, v1 :: v_dual_bitop2_b32 v2, 7, v10 bitop3:0x40
; %bb.174:                              ;   in Loop: Header=BB338_9 Depth=1
	s_or_b32 exec_lo, exec_lo, s30
	s_delay_alu instid0(VALU_DEP_1) | instskip(NEXT) | instid1(VALU_DEP_2)
	v_dual_lshlrev_b32 v10, 24, v0 :: v_dual_lshlrev_b32 v2, 20, v2
	v_lshl_add_u32 v1, v1, 23, 0x3c000000
	s_delay_alu instid0(VALU_DEP_2) | instskip(NEXT) | instid1(VALU_DEP_1)
	v_and_b32_e32 v10, 0x80000000, v10
	v_or3_b32 v101, v2, v10, v1
.LBB338_175:                            ;   in Loop: Header=BB338_9 Depth=1
	s_or_b32 exec_lo, exec_lo, s29
.LBB338_176:                            ;   in Loop: Header=BB338_9 Depth=1
	s_delay_alu instid0(SALU_CYCLE_1)
	s_or_b32 exec_lo, exec_lo, s28
.LBB338_177:                            ;   in Loop: Header=BB338_9 Depth=1
	s_delay_alu instid0(SALU_CYCLE_1) | instskip(SKIP_2) | instid1(VALU_DEP_1)
	s_or_b32 exec_lo, exec_lo, s27
	v_lshrrev_b16 v1, 8, v0
	s_mov_b32 s27, exec_lo
	v_cmpx_ne_u16_e32 0, v1
	s_cbranch_execz .LBB338_185
; %bb.178:                              ;   in Loop: Header=BB338_9 Depth=1
	v_bfrev_b32_e32 v102, 1
	s_mov_b32 s28, exec_lo
	v_cmpx_ne_u16_e32 0x80, v1
	s_cbranch_execz .LBB338_184
; %bb.179:                              ;   in Loop: Header=BB338_9 Depth=1
	v_and_b32_e32 v1, 0xffff, v1
	v_mov_b32_e32 v102, 0x7f800001
	s_mov_b32 s29, exec_lo
	s_delay_alu instid0(VALU_DEP_2) | instskip(NEXT) | instid1(VALU_DEP_1)
	v_and_b32_e32 v10, 0x7f, v1
	v_cmpx_ne_u32_e32 0x7f, v10
	s_cbranch_execz .LBB338_183
; %bb.180:                              ;   in Loop: Header=BB338_9 Depth=1
	v_dual_lshrrev_b32 v1, 3, v10 :: v_dual_bitop2_b32 v2, 7, v1 bitop3:0x40
	s_mov_b32 s30, exec_lo
	v_cmpx_gt_u32_e32 8, v10
; %bb.181:                              ;   in Loop: Header=BB338_9 Depth=1
	s_delay_alu instid0(VALU_DEP_2) | instskip(NEXT) | instid1(VALU_DEP_1)
	v_clz_i32_u32_e32 v1, v2
	v_min_u32_e32 v1, 32, v1
	s_delay_alu instid0(VALU_DEP_1) | instskip(NEXT) | instid1(VALU_DEP_1)
	v_subrev_nc_u32_e32 v10, 28, v1
	v_lshlrev_b64_e32 v[10:11], v10, v[2:3]
	s_delay_alu instid0(VALU_DEP_1)
	v_dual_sub_nc_u32 v1, 29, v1 :: v_dual_bitop2_b32 v2, 7, v10 bitop3:0x40
; %bb.182:                              ;   in Loop: Header=BB338_9 Depth=1
	s_or_b32 exec_lo, exec_lo, s30
	s_delay_alu instid0(VALU_DEP_1) | instskip(NEXT) | instid1(VALU_DEP_2)
	v_dual_lshlrev_b32 v10, 16, v0 :: v_dual_lshlrev_b32 v2, 20, v2
	v_lshl_add_u32 v1, v1, 23, 0x3c000000
	s_delay_alu instid0(VALU_DEP_2) | instskip(NEXT) | instid1(VALU_DEP_1)
	v_and_b32_e32 v10, 0x80000000, v10
	v_or3_b32 v102, v2, v10, v1
.LBB338_183:                            ;   in Loop: Header=BB338_9 Depth=1
	s_or_b32 exec_lo, exec_lo, s29
.LBB338_184:                            ;   in Loop: Header=BB338_9 Depth=1
	s_delay_alu instid0(SALU_CYCLE_1)
	s_or_b32 exec_lo, exec_lo, s28
.LBB338_185:                            ;   in Loop: Header=BB338_9 Depth=1
	s_delay_alu instid0(SALU_CYCLE_1) | instskip(SKIP_3) | instid1(VALU_DEP_2)
	s_or_b32 exec_lo, exec_lo, s27
	v_dual_mov_b32 v100, 0 :: v_dual_lshrrev_b32 v1, 16, v0
	v_mov_b32_e32 v103, 0
	s_mov_b32 s27, exec_lo
	v_and_b32_e32 v2, 0xff, v1
	s_delay_alu instid0(VALU_DEP_1)
	v_cmpx_ne_u16_e32 0, v2
	s_cbranch_execz .LBB338_193
; %bb.186:                              ;   in Loop: Header=BB338_9 Depth=1
	v_bfrev_b32_e32 v103, 1
	s_mov_b32 s28, exec_lo
	v_cmpx_ne_u16_e32 0x80, v2
	s_cbranch_execz .LBB338_192
; %bb.187:                              ;   in Loop: Header=BB338_9 Depth=1
	v_bfe_u32 v11, v0, 16, 7
	v_mov_b32_e32 v103, 0x7f800001
	s_mov_b32 s29, exec_lo
	s_delay_alu instid0(VALU_DEP_2)
	v_cmpx_ne_u32_e32 0x7f, v11
	s_cbranch_execz .LBB338_191
; %bb.188:                              ;   in Loop: Header=BB338_9 Depth=1
	v_dual_lshrrev_b32 v10, 3, v11 :: v_dual_bitop2_b32 v2, 7, v1 bitop3:0x40
	s_mov_b32 s30, exec_lo
	v_cmpx_gt_u32_e32 8, v11
; %bb.189:                              ;   in Loop: Header=BB338_9 Depth=1
	s_delay_alu instid0(VALU_DEP_2) | instskip(NEXT) | instid1(VALU_DEP_1)
	v_clz_i32_u32_e32 v10, v2
	v_min_u32_e32 v10, 32, v10
	s_delay_alu instid0(VALU_DEP_1) | instskip(NEXT) | instid1(VALU_DEP_1)
	v_subrev_nc_u32_e32 v11, 28, v10
	v_lshlrev_b64_e32 v[12:13], v11, v[2:3]
	s_delay_alu instid0(VALU_DEP_1)
	v_dual_sub_nc_u32 v10, 29, v10 :: v_dual_bitop2_b32 v2, 7, v12 bitop3:0x40
; %bb.190:                              ;   in Loop: Header=BB338_9 Depth=1
	s_or_b32 exec_lo, exec_lo, s30
	s_delay_alu instid0(VALU_DEP_1) | instskip(NEXT) | instid1(VALU_DEP_2)
	v_dual_lshlrev_b32 v1, 24, v1 :: v_dual_lshlrev_b32 v2, 20, v2
	v_lshl_add_u32 v10, v10, 23, 0x3c000000
	s_delay_alu instid0(VALU_DEP_2) | instskip(NEXT) | instid1(VALU_DEP_1)
	v_and_b32_e32 v1, 0x80000000, v1
	v_or3_b32 v103, v2, v1, v10
.LBB338_191:                            ;   in Loop: Header=BB338_9 Depth=1
	s_or_b32 exec_lo, exec_lo, s29
.LBB338_192:                            ;   in Loop: Header=BB338_9 Depth=1
	s_delay_alu instid0(SALU_CYCLE_1)
	s_or_b32 exec_lo, exec_lo, s28
.LBB338_193:                            ;   in Loop: Header=BB338_9 Depth=1
	s_delay_alu instid0(SALU_CYCLE_1) | instskip(NEXT) | instid1(SALU_CYCLE_1)
	s_or_b32 exec_lo, exec_lo, s27
	s_mov_b32 s27, exec_lo
	v_cmpx_lt_u32_e32 0xffffff, v0
	s_cbranch_execz .LBB338_201
; %bb.194:                              ;   in Loop: Header=BB338_9 Depth=1
	v_lshrrev_b32_e32 v1, 24, v0
	v_bfrev_b32_e32 v100, 1
	s_mov_b32 s28, exec_lo
	s_delay_alu instid0(VALU_DEP_2)
	v_cmpx_ne_u32_e32 0x80, v1
	s_cbranch_execz .LBB338_200
; %bb.195:                              ;   in Loop: Header=BB338_9 Depth=1
	v_bfe_u32 v10, v0, 24, 7
	v_mov_b32_e32 v100, 0x7f800001
	s_mov_b32 s29, exec_lo
	s_delay_alu instid0(VALU_DEP_2)
	v_cmpx_ne_u32_e32 0x7f, v10
	s_cbranch_execz .LBB338_199
; %bb.196:                              ;   in Loop: Header=BB338_9 Depth=1
	v_dual_lshrrev_b32 v0, 3, v10 :: v_dual_bitop2_b32 v2, 7, v1 bitop3:0x40
	s_mov_b32 s30, exec_lo
	v_cmpx_gt_u32_e32 8, v10
; %bb.197:                              ;   in Loop: Header=BB338_9 Depth=1
	s_delay_alu instid0(VALU_DEP_2) | instskip(NEXT) | instid1(VALU_DEP_1)
	v_clz_i32_u32_e32 v0, v2
	v_min_u32_e32 v0, 32, v0
	s_delay_alu instid0(VALU_DEP_1) | instskip(NEXT) | instid1(VALU_DEP_1)
	v_subrev_nc_u32_e32 v10, 28, v0
	v_lshlrev_b64_e32 v[10:11], v10, v[2:3]
	s_delay_alu instid0(VALU_DEP_1)
	v_dual_sub_nc_u32 v0, 29, v0 :: v_dual_bitop2_b32 v2, 7, v10 bitop3:0x40
; %bb.198:                              ;   in Loop: Header=BB338_9 Depth=1
	s_or_b32 exec_lo, exec_lo, s30
	s_delay_alu instid0(VALU_DEP_1) | instskip(NEXT) | instid1(VALU_DEP_2)
	v_dual_lshlrev_b32 v1, 24, v1 :: v_dual_lshlrev_b32 v2, 20, v2
	v_lshl_add_u32 v0, v0, 23, 0x3c000000
	s_delay_alu instid0(VALU_DEP_2) | instskip(NEXT) | instid1(VALU_DEP_1)
	v_and_b32_e32 v1, 0x80000000, v1
	v_or3_b32 v100, v2, v1, v0
.LBB338_199:                            ;   in Loop: Header=BB338_9 Depth=1
	s_or_b32 exec_lo, exec_lo, s29
.LBB338_200:                            ;   in Loop: Header=BB338_9 Depth=1
	s_delay_alu instid0(SALU_CYCLE_1)
	s_or_b32 exec_lo, exec_lo, s28
.LBB338_201:                            ;   in Loop: Header=BB338_9 Depth=1
	s_delay_alu instid0(SALU_CYCLE_1)
	s_or_b32 exec_lo, exec_lo, s27
	global_load_b32 v0, v[8:9], off offset:768
	v_dual_mov_b32 v106, 0 :: v_dual_mov_b32 v105, 0
	s_mov_b32 s27, exec_lo
	s_wait_loadcnt 0x0
	v_and_b32_e32 v1, 0xff, v0
	s_wait_xcnt 0x0
	s_delay_alu instid0(VALU_DEP_1)
	v_cmpx_ne_u16_e32 0, v1
	s_cbranch_execz .LBB338_209
; %bb.202:                              ;   in Loop: Header=BB338_9 Depth=1
	v_bfrev_b32_e32 v105, 1
	s_mov_b32 s28, exec_lo
	v_cmpx_ne_u16_e32 0x80, v1
	s_cbranch_execz .LBB338_208
; %bb.203:                              ;   in Loop: Header=BB338_9 Depth=1
	v_and_b32_e32 v10, 0x7f, v0
	v_mov_b32_e32 v105, 0x7f800001
	s_mov_b32 s29, exec_lo
	s_delay_alu instid0(VALU_DEP_2)
	v_cmpx_ne_u32_e32 0x7f, v10
	s_cbranch_execz .LBB338_207
; %bb.204:                              ;   in Loop: Header=BB338_9 Depth=1
	v_dual_lshrrev_b32 v1, 3, v10 :: v_dual_bitop2_b32 v2, 7, v0 bitop3:0x40
	s_mov_b32 s30, exec_lo
	v_cmpx_gt_u32_e32 8, v10
; %bb.205:                              ;   in Loop: Header=BB338_9 Depth=1
	s_delay_alu instid0(VALU_DEP_2) | instskip(NEXT) | instid1(VALU_DEP_1)
	v_clz_i32_u32_e32 v1, v2
	v_min_u32_e32 v1, 32, v1
	s_delay_alu instid0(VALU_DEP_1) | instskip(NEXT) | instid1(VALU_DEP_1)
	v_subrev_nc_u32_e32 v10, 28, v1
	v_lshlrev_b64_e32 v[10:11], v10, v[2:3]
	s_delay_alu instid0(VALU_DEP_1)
	v_dual_sub_nc_u32 v1, 29, v1 :: v_dual_bitop2_b32 v2, 7, v10 bitop3:0x40
; %bb.206:                              ;   in Loop: Header=BB338_9 Depth=1
	s_or_b32 exec_lo, exec_lo, s30
	s_delay_alu instid0(VALU_DEP_1) | instskip(NEXT) | instid1(VALU_DEP_2)
	v_dual_lshlrev_b32 v10, 24, v0 :: v_dual_lshlrev_b32 v2, 20, v2
	v_lshl_add_u32 v1, v1, 23, 0x3c000000
	s_delay_alu instid0(VALU_DEP_2) | instskip(NEXT) | instid1(VALU_DEP_1)
	v_and_b32_e32 v10, 0x80000000, v10
	v_or3_b32 v105, v2, v10, v1
.LBB338_207:                            ;   in Loop: Header=BB338_9 Depth=1
	s_or_b32 exec_lo, exec_lo, s29
.LBB338_208:                            ;   in Loop: Header=BB338_9 Depth=1
	s_delay_alu instid0(SALU_CYCLE_1)
	s_or_b32 exec_lo, exec_lo, s28
.LBB338_209:                            ;   in Loop: Header=BB338_9 Depth=1
	s_delay_alu instid0(SALU_CYCLE_1) | instskip(SKIP_2) | instid1(VALU_DEP_1)
	s_or_b32 exec_lo, exec_lo, s27
	v_lshrrev_b16 v1, 8, v0
	s_mov_b32 s27, exec_lo
	v_cmpx_ne_u16_e32 0, v1
	s_cbranch_execz .LBB338_217
; %bb.210:                              ;   in Loop: Header=BB338_9 Depth=1
	v_bfrev_b32_e32 v106, 1
	s_mov_b32 s28, exec_lo
	v_cmpx_ne_u16_e32 0x80, v1
	s_cbranch_execz .LBB338_216
; %bb.211:                              ;   in Loop: Header=BB338_9 Depth=1
	v_and_b32_e32 v1, 0xffff, v1
	v_mov_b32_e32 v106, 0x7f800001
	s_mov_b32 s29, exec_lo
	s_delay_alu instid0(VALU_DEP_2) | instskip(NEXT) | instid1(VALU_DEP_1)
	v_and_b32_e32 v10, 0x7f, v1
	v_cmpx_ne_u32_e32 0x7f, v10
	s_cbranch_execz .LBB338_215
; %bb.212:                              ;   in Loop: Header=BB338_9 Depth=1
	v_dual_lshrrev_b32 v1, 3, v10 :: v_dual_bitop2_b32 v2, 7, v1 bitop3:0x40
	s_mov_b32 s30, exec_lo
	v_cmpx_gt_u32_e32 8, v10
; %bb.213:                              ;   in Loop: Header=BB338_9 Depth=1
	s_delay_alu instid0(VALU_DEP_2) | instskip(NEXT) | instid1(VALU_DEP_1)
	v_clz_i32_u32_e32 v1, v2
	v_min_u32_e32 v1, 32, v1
	s_delay_alu instid0(VALU_DEP_1) | instskip(NEXT) | instid1(VALU_DEP_1)
	v_subrev_nc_u32_e32 v10, 28, v1
	v_lshlrev_b64_e32 v[10:11], v10, v[2:3]
	s_delay_alu instid0(VALU_DEP_1)
	v_dual_sub_nc_u32 v1, 29, v1 :: v_dual_bitop2_b32 v2, 7, v10 bitop3:0x40
; %bb.214:                              ;   in Loop: Header=BB338_9 Depth=1
	s_or_b32 exec_lo, exec_lo, s30
	s_delay_alu instid0(VALU_DEP_1) | instskip(NEXT) | instid1(VALU_DEP_2)
	v_dual_lshlrev_b32 v10, 16, v0 :: v_dual_lshlrev_b32 v2, 20, v2
	v_lshl_add_u32 v1, v1, 23, 0x3c000000
	s_delay_alu instid0(VALU_DEP_2) | instskip(NEXT) | instid1(VALU_DEP_1)
	v_and_b32_e32 v10, 0x80000000, v10
	v_or3_b32 v106, v2, v10, v1
.LBB338_215:                            ;   in Loop: Header=BB338_9 Depth=1
	s_or_b32 exec_lo, exec_lo, s29
.LBB338_216:                            ;   in Loop: Header=BB338_9 Depth=1
	s_delay_alu instid0(SALU_CYCLE_1)
	s_or_b32 exec_lo, exec_lo, s28
.LBB338_217:                            ;   in Loop: Header=BB338_9 Depth=1
	s_delay_alu instid0(SALU_CYCLE_1) | instskip(SKIP_3) | instid1(VALU_DEP_2)
	s_or_b32 exec_lo, exec_lo, s27
	v_dual_mov_b32 v104, 0 :: v_dual_lshrrev_b32 v1, 16, v0
	v_mov_b32_e32 v107, 0
	s_mov_b32 s27, exec_lo
	v_and_b32_e32 v2, 0xff, v1
	s_delay_alu instid0(VALU_DEP_1)
	v_cmpx_ne_u16_e32 0, v2
	s_cbranch_execz .LBB338_225
; %bb.218:                              ;   in Loop: Header=BB338_9 Depth=1
	v_bfrev_b32_e32 v107, 1
	s_mov_b32 s28, exec_lo
	v_cmpx_ne_u16_e32 0x80, v2
	s_cbranch_execz .LBB338_224
; %bb.219:                              ;   in Loop: Header=BB338_9 Depth=1
	v_bfe_u32 v11, v0, 16, 7
	v_mov_b32_e32 v107, 0x7f800001
	s_mov_b32 s29, exec_lo
	s_delay_alu instid0(VALU_DEP_2)
	v_cmpx_ne_u32_e32 0x7f, v11
	s_cbranch_execz .LBB338_223
; %bb.220:                              ;   in Loop: Header=BB338_9 Depth=1
	v_dual_lshrrev_b32 v10, 3, v11 :: v_dual_bitop2_b32 v2, 7, v1 bitop3:0x40
	s_mov_b32 s30, exec_lo
	v_cmpx_gt_u32_e32 8, v11
; %bb.221:                              ;   in Loop: Header=BB338_9 Depth=1
	s_delay_alu instid0(VALU_DEP_2) | instskip(NEXT) | instid1(VALU_DEP_1)
	v_clz_i32_u32_e32 v10, v2
	v_min_u32_e32 v10, 32, v10
	s_delay_alu instid0(VALU_DEP_1) | instskip(NEXT) | instid1(VALU_DEP_1)
	v_subrev_nc_u32_e32 v11, 28, v10
	v_lshlrev_b64_e32 v[12:13], v11, v[2:3]
	s_delay_alu instid0(VALU_DEP_1)
	v_dual_sub_nc_u32 v10, 29, v10 :: v_dual_bitop2_b32 v2, 7, v12 bitop3:0x40
; %bb.222:                              ;   in Loop: Header=BB338_9 Depth=1
	s_or_b32 exec_lo, exec_lo, s30
	s_delay_alu instid0(VALU_DEP_1) | instskip(NEXT) | instid1(VALU_DEP_2)
	v_dual_lshlrev_b32 v1, 24, v1 :: v_dual_lshlrev_b32 v2, 20, v2
	v_lshl_add_u32 v10, v10, 23, 0x3c000000
	s_delay_alu instid0(VALU_DEP_2) | instskip(NEXT) | instid1(VALU_DEP_1)
	v_and_b32_e32 v1, 0x80000000, v1
	v_or3_b32 v107, v2, v1, v10
.LBB338_223:                            ;   in Loop: Header=BB338_9 Depth=1
	s_or_b32 exec_lo, exec_lo, s29
.LBB338_224:                            ;   in Loop: Header=BB338_9 Depth=1
	s_delay_alu instid0(SALU_CYCLE_1)
	s_or_b32 exec_lo, exec_lo, s28
.LBB338_225:                            ;   in Loop: Header=BB338_9 Depth=1
	s_delay_alu instid0(SALU_CYCLE_1) | instskip(NEXT) | instid1(SALU_CYCLE_1)
	s_or_b32 exec_lo, exec_lo, s27
	s_mov_b32 s27, exec_lo
	v_cmpx_lt_u32_e32 0xffffff, v0
	s_cbranch_execz .LBB338_233
; %bb.226:                              ;   in Loop: Header=BB338_9 Depth=1
	v_lshrrev_b32_e32 v1, 24, v0
	v_bfrev_b32_e32 v104, 1
	s_mov_b32 s28, exec_lo
	s_delay_alu instid0(VALU_DEP_2)
	v_cmpx_ne_u32_e32 0x80, v1
	s_cbranch_execz .LBB338_232
; %bb.227:                              ;   in Loop: Header=BB338_9 Depth=1
	v_bfe_u32 v10, v0, 24, 7
	v_mov_b32_e32 v104, 0x7f800001
	s_mov_b32 s29, exec_lo
	s_delay_alu instid0(VALU_DEP_2)
	v_cmpx_ne_u32_e32 0x7f, v10
	s_cbranch_execz .LBB338_231
; %bb.228:                              ;   in Loop: Header=BB338_9 Depth=1
	v_dual_lshrrev_b32 v0, 3, v10 :: v_dual_bitop2_b32 v2, 7, v1 bitop3:0x40
	s_mov_b32 s30, exec_lo
	v_cmpx_gt_u32_e32 8, v10
; %bb.229:                              ;   in Loop: Header=BB338_9 Depth=1
	s_delay_alu instid0(VALU_DEP_2) | instskip(NEXT) | instid1(VALU_DEP_1)
	v_clz_i32_u32_e32 v0, v2
	v_min_u32_e32 v0, 32, v0
	s_delay_alu instid0(VALU_DEP_1) | instskip(NEXT) | instid1(VALU_DEP_1)
	v_subrev_nc_u32_e32 v10, 28, v0
	v_lshlrev_b64_e32 v[10:11], v10, v[2:3]
	s_delay_alu instid0(VALU_DEP_1)
	v_dual_sub_nc_u32 v0, 29, v0 :: v_dual_bitop2_b32 v2, 7, v10 bitop3:0x40
; %bb.230:                              ;   in Loop: Header=BB338_9 Depth=1
	s_or_b32 exec_lo, exec_lo, s30
	s_delay_alu instid0(VALU_DEP_1) | instskip(NEXT) | instid1(VALU_DEP_2)
	v_dual_lshlrev_b32 v1, 24, v1 :: v_dual_lshlrev_b32 v2, 20, v2
	v_lshl_add_u32 v0, v0, 23, 0x3c000000
	s_delay_alu instid0(VALU_DEP_2) | instskip(NEXT) | instid1(VALU_DEP_1)
	v_and_b32_e32 v1, 0x80000000, v1
	v_or3_b32 v104, v2, v1, v0
.LBB338_231:                            ;   in Loop: Header=BB338_9 Depth=1
	s_or_b32 exec_lo, exec_lo, s29
.LBB338_232:                            ;   in Loop: Header=BB338_9 Depth=1
	s_delay_alu instid0(SALU_CYCLE_1)
	s_or_b32 exec_lo, exec_lo, s28
.LBB338_233:                            ;   in Loop: Header=BB338_9 Depth=1
	s_delay_alu instid0(SALU_CYCLE_1)
	s_or_b32 exec_lo, exec_lo, s27
	global_load_b32 v0, v[8:9], off offset:776
	v_dual_mov_b32 v110, 0 :: v_dual_mov_b32 v109, 0
	s_mov_b32 s27, exec_lo
	s_wait_loadcnt 0x0
	v_and_b32_e32 v1, 0xff, v0
	s_wait_xcnt 0x0
	s_delay_alu instid0(VALU_DEP_1)
	v_cmpx_ne_u16_e32 0, v1
	s_cbranch_execz .LBB338_241
; %bb.234:                              ;   in Loop: Header=BB338_9 Depth=1
	v_bfrev_b32_e32 v109, 1
	s_mov_b32 s28, exec_lo
	v_cmpx_ne_u16_e32 0x80, v1
	s_cbranch_execz .LBB338_240
; %bb.235:                              ;   in Loop: Header=BB338_9 Depth=1
	v_and_b32_e32 v10, 0x7f, v0
	v_mov_b32_e32 v109, 0x7f800001
	s_mov_b32 s29, exec_lo
	s_delay_alu instid0(VALU_DEP_2)
	v_cmpx_ne_u32_e32 0x7f, v10
	s_cbranch_execz .LBB338_239
; %bb.236:                              ;   in Loop: Header=BB338_9 Depth=1
	v_dual_lshrrev_b32 v1, 3, v10 :: v_dual_bitop2_b32 v2, 7, v0 bitop3:0x40
	s_mov_b32 s30, exec_lo
	v_cmpx_gt_u32_e32 8, v10
; %bb.237:                              ;   in Loop: Header=BB338_9 Depth=1
	s_delay_alu instid0(VALU_DEP_2) | instskip(NEXT) | instid1(VALU_DEP_1)
	v_clz_i32_u32_e32 v1, v2
	v_min_u32_e32 v1, 32, v1
	s_delay_alu instid0(VALU_DEP_1) | instskip(NEXT) | instid1(VALU_DEP_1)
	v_subrev_nc_u32_e32 v10, 28, v1
	v_lshlrev_b64_e32 v[10:11], v10, v[2:3]
	s_delay_alu instid0(VALU_DEP_1)
	v_dual_sub_nc_u32 v1, 29, v1 :: v_dual_bitop2_b32 v2, 7, v10 bitop3:0x40
; %bb.238:                              ;   in Loop: Header=BB338_9 Depth=1
	s_or_b32 exec_lo, exec_lo, s30
	s_delay_alu instid0(VALU_DEP_1) | instskip(NEXT) | instid1(VALU_DEP_2)
	v_dual_lshlrev_b32 v10, 24, v0 :: v_dual_lshlrev_b32 v2, 20, v2
	v_lshl_add_u32 v1, v1, 23, 0x3c000000
	s_delay_alu instid0(VALU_DEP_2) | instskip(NEXT) | instid1(VALU_DEP_1)
	v_and_b32_e32 v10, 0x80000000, v10
	v_or3_b32 v109, v2, v10, v1
.LBB338_239:                            ;   in Loop: Header=BB338_9 Depth=1
	s_or_b32 exec_lo, exec_lo, s29
.LBB338_240:                            ;   in Loop: Header=BB338_9 Depth=1
	s_delay_alu instid0(SALU_CYCLE_1)
	s_or_b32 exec_lo, exec_lo, s28
.LBB338_241:                            ;   in Loop: Header=BB338_9 Depth=1
	s_delay_alu instid0(SALU_CYCLE_1) | instskip(SKIP_2) | instid1(VALU_DEP_1)
	s_or_b32 exec_lo, exec_lo, s27
	v_lshrrev_b16 v1, 8, v0
	s_mov_b32 s27, exec_lo
	v_cmpx_ne_u16_e32 0, v1
	s_cbranch_execz .LBB338_249
; %bb.242:                              ;   in Loop: Header=BB338_9 Depth=1
	v_bfrev_b32_e32 v110, 1
	s_mov_b32 s28, exec_lo
	v_cmpx_ne_u16_e32 0x80, v1
	s_cbranch_execz .LBB338_248
; %bb.243:                              ;   in Loop: Header=BB338_9 Depth=1
	v_and_b32_e32 v1, 0xffff, v1
	v_mov_b32_e32 v110, 0x7f800001
	s_mov_b32 s29, exec_lo
	s_delay_alu instid0(VALU_DEP_2) | instskip(NEXT) | instid1(VALU_DEP_1)
	v_and_b32_e32 v10, 0x7f, v1
	v_cmpx_ne_u32_e32 0x7f, v10
	s_cbranch_execz .LBB338_247
; %bb.244:                              ;   in Loop: Header=BB338_9 Depth=1
	v_dual_lshrrev_b32 v1, 3, v10 :: v_dual_bitop2_b32 v2, 7, v1 bitop3:0x40
	s_mov_b32 s30, exec_lo
	v_cmpx_gt_u32_e32 8, v10
; %bb.245:                              ;   in Loop: Header=BB338_9 Depth=1
	s_delay_alu instid0(VALU_DEP_2) | instskip(NEXT) | instid1(VALU_DEP_1)
	v_clz_i32_u32_e32 v1, v2
	v_min_u32_e32 v1, 32, v1
	s_delay_alu instid0(VALU_DEP_1) | instskip(NEXT) | instid1(VALU_DEP_1)
	v_subrev_nc_u32_e32 v10, 28, v1
	v_lshlrev_b64_e32 v[10:11], v10, v[2:3]
	s_delay_alu instid0(VALU_DEP_1)
	v_dual_sub_nc_u32 v1, 29, v1 :: v_dual_bitop2_b32 v2, 7, v10 bitop3:0x40
; %bb.246:                              ;   in Loop: Header=BB338_9 Depth=1
	s_or_b32 exec_lo, exec_lo, s30
	s_delay_alu instid0(VALU_DEP_1) | instskip(NEXT) | instid1(VALU_DEP_2)
	v_dual_lshlrev_b32 v10, 16, v0 :: v_dual_lshlrev_b32 v2, 20, v2
	v_lshl_add_u32 v1, v1, 23, 0x3c000000
	s_delay_alu instid0(VALU_DEP_2) | instskip(NEXT) | instid1(VALU_DEP_1)
	v_and_b32_e32 v10, 0x80000000, v10
	v_or3_b32 v110, v2, v10, v1
.LBB338_247:                            ;   in Loop: Header=BB338_9 Depth=1
	s_or_b32 exec_lo, exec_lo, s29
.LBB338_248:                            ;   in Loop: Header=BB338_9 Depth=1
	s_delay_alu instid0(SALU_CYCLE_1)
	s_or_b32 exec_lo, exec_lo, s28
.LBB338_249:                            ;   in Loop: Header=BB338_9 Depth=1
	s_delay_alu instid0(SALU_CYCLE_1) | instskip(SKIP_3) | instid1(VALU_DEP_2)
	s_or_b32 exec_lo, exec_lo, s27
	v_dual_mov_b32 v108, 0 :: v_dual_lshrrev_b32 v1, 16, v0
	v_mov_b32_e32 v111, 0
	s_mov_b32 s27, exec_lo
	v_and_b32_e32 v2, 0xff, v1
	s_delay_alu instid0(VALU_DEP_1)
	v_cmpx_ne_u16_e32 0, v2
	s_cbranch_execz .LBB338_257
; %bb.250:                              ;   in Loop: Header=BB338_9 Depth=1
	v_bfrev_b32_e32 v111, 1
	s_mov_b32 s28, exec_lo
	v_cmpx_ne_u16_e32 0x80, v2
	s_cbranch_execz .LBB338_256
; %bb.251:                              ;   in Loop: Header=BB338_9 Depth=1
	v_bfe_u32 v11, v0, 16, 7
	v_mov_b32_e32 v111, 0x7f800001
	s_mov_b32 s29, exec_lo
	s_delay_alu instid0(VALU_DEP_2)
	v_cmpx_ne_u32_e32 0x7f, v11
	s_cbranch_execz .LBB338_255
; %bb.252:                              ;   in Loop: Header=BB338_9 Depth=1
	v_dual_lshrrev_b32 v10, 3, v11 :: v_dual_bitop2_b32 v2, 7, v1 bitop3:0x40
	s_mov_b32 s30, exec_lo
	v_cmpx_gt_u32_e32 8, v11
; %bb.253:                              ;   in Loop: Header=BB338_9 Depth=1
	s_delay_alu instid0(VALU_DEP_2) | instskip(NEXT) | instid1(VALU_DEP_1)
	v_clz_i32_u32_e32 v10, v2
	v_min_u32_e32 v10, 32, v10
	s_delay_alu instid0(VALU_DEP_1) | instskip(NEXT) | instid1(VALU_DEP_1)
	v_subrev_nc_u32_e32 v11, 28, v10
	v_lshlrev_b64_e32 v[12:13], v11, v[2:3]
	s_delay_alu instid0(VALU_DEP_1)
	v_dual_sub_nc_u32 v10, 29, v10 :: v_dual_bitop2_b32 v2, 7, v12 bitop3:0x40
; %bb.254:                              ;   in Loop: Header=BB338_9 Depth=1
	s_or_b32 exec_lo, exec_lo, s30
	s_delay_alu instid0(VALU_DEP_1) | instskip(NEXT) | instid1(VALU_DEP_2)
	v_dual_lshlrev_b32 v1, 24, v1 :: v_dual_lshlrev_b32 v2, 20, v2
	v_lshl_add_u32 v10, v10, 23, 0x3c000000
	s_delay_alu instid0(VALU_DEP_2) | instskip(NEXT) | instid1(VALU_DEP_1)
	v_and_b32_e32 v1, 0x80000000, v1
	v_or3_b32 v111, v2, v1, v10
.LBB338_255:                            ;   in Loop: Header=BB338_9 Depth=1
	s_or_b32 exec_lo, exec_lo, s29
.LBB338_256:                            ;   in Loop: Header=BB338_9 Depth=1
	s_delay_alu instid0(SALU_CYCLE_1)
	s_or_b32 exec_lo, exec_lo, s28
.LBB338_257:                            ;   in Loop: Header=BB338_9 Depth=1
	s_delay_alu instid0(SALU_CYCLE_1) | instskip(NEXT) | instid1(SALU_CYCLE_1)
	s_or_b32 exec_lo, exec_lo, s27
	s_mov_b32 s27, exec_lo
	v_cmpx_lt_u32_e32 0xffffff, v0
	s_cbranch_execz .LBB338_265
; %bb.258:                              ;   in Loop: Header=BB338_9 Depth=1
	v_lshrrev_b32_e32 v1, 24, v0
	v_bfrev_b32_e32 v108, 1
	s_mov_b32 s28, exec_lo
	s_delay_alu instid0(VALU_DEP_2)
	v_cmpx_ne_u32_e32 0x80, v1
	s_cbranch_execz .LBB338_264
; %bb.259:                              ;   in Loop: Header=BB338_9 Depth=1
	v_bfe_u32 v10, v0, 24, 7
	v_mov_b32_e32 v108, 0x7f800001
	s_mov_b32 s29, exec_lo
	s_delay_alu instid0(VALU_DEP_2)
	v_cmpx_ne_u32_e32 0x7f, v10
	s_cbranch_execz .LBB338_263
; %bb.260:                              ;   in Loop: Header=BB338_9 Depth=1
	v_dual_lshrrev_b32 v0, 3, v10 :: v_dual_bitop2_b32 v2, 7, v1 bitop3:0x40
	s_mov_b32 s30, exec_lo
	v_cmpx_gt_u32_e32 8, v10
; %bb.261:                              ;   in Loop: Header=BB338_9 Depth=1
	s_delay_alu instid0(VALU_DEP_2) | instskip(NEXT) | instid1(VALU_DEP_1)
	v_clz_i32_u32_e32 v0, v2
	v_min_u32_e32 v0, 32, v0
	s_delay_alu instid0(VALU_DEP_1) | instskip(NEXT) | instid1(VALU_DEP_1)
	v_subrev_nc_u32_e32 v10, 28, v0
	v_lshlrev_b64_e32 v[10:11], v10, v[2:3]
	s_delay_alu instid0(VALU_DEP_1)
	v_dual_sub_nc_u32 v0, 29, v0 :: v_dual_bitop2_b32 v2, 7, v10 bitop3:0x40
; %bb.262:                              ;   in Loop: Header=BB338_9 Depth=1
	s_or_b32 exec_lo, exec_lo, s30
	s_delay_alu instid0(VALU_DEP_1) | instskip(NEXT) | instid1(VALU_DEP_2)
	v_dual_lshlrev_b32 v1, 24, v1 :: v_dual_lshlrev_b32 v2, 20, v2
	v_lshl_add_u32 v0, v0, 23, 0x3c000000
	s_delay_alu instid0(VALU_DEP_2) | instskip(NEXT) | instid1(VALU_DEP_1)
	v_and_b32_e32 v1, 0x80000000, v1
	v_or3_b32 v108, v2, v1, v0
.LBB338_263:                            ;   in Loop: Header=BB338_9 Depth=1
	s_or_b32 exec_lo, exec_lo, s29
.LBB338_264:                            ;   in Loop: Header=BB338_9 Depth=1
	s_delay_alu instid0(SALU_CYCLE_1)
	s_or_b32 exec_lo, exec_lo, s28
.LBB338_265:                            ;   in Loop: Header=BB338_9 Depth=1
	s_delay_alu instid0(SALU_CYCLE_1)
	s_or_b32 exec_lo, exec_lo, s27
	global_load_b32 v0, v[8:9], off offset:1024
	v_dual_mov_b32 v114, 0 :: v_dual_mov_b32 v113, 0
	s_mov_b32 s27, exec_lo
	s_wait_loadcnt 0x0
	v_and_b32_e32 v1, 0xff, v0
	s_wait_xcnt 0x0
	s_delay_alu instid0(VALU_DEP_1)
	v_cmpx_ne_u16_e32 0, v1
	s_cbranch_execz .LBB338_273
; %bb.266:                              ;   in Loop: Header=BB338_9 Depth=1
	v_bfrev_b32_e32 v113, 1
	s_mov_b32 s28, exec_lo
	v_cmpx_ne_u16_e32 0x80, v1
	s_cbranch_execz .LBB338_272
; %bb.267:                              ;   in Loop: Header=BB338_9 Depth=1
	v_and_b32_e32 v10, 0x7f, v0
	v_mov_b32_e32 v113, 0x7f800001
	s_mov_b32 s29, exec_lo
	s_delay_alu instid0(VALU_DEP_2)
	v_cmpx_ne_u32_e32 0x7f, v10
	s_cbranch_execz .LBB338_271
; %bb.268:                              ;   in Loop: Header=BB338_9 Depth=1
	v_dual_lshrrev_b32 v1, 3, v10 :: v_dual_bitop2_b32 v2, 7, v0 bitop3:0x40
	s_mov_b32 s30, exec_lo
	v_cmpx_gt_u32_e32 8, v10
; %bb.269:                              ;   in Loop: Header=BB338_9 Depth=1
	s_delay_alu instid0(VALU_DEP_2) | instskip(NEXT) | instid1(VALU_DEP_1)
	v_clz_i32_u32_e32 v1, v2
	v_min_u32_e32 v1, 32, v1
	s_delay_alu instid0(VALU_DEP_1) | instskip(NEXT) | instid1(VALU_DEP_1)
	v_subrev_nc_u32_e32 v10, 28, v1
	v_lshlrev_b64_e32 v[10:11], v10, v[2:3]
	s_delay_alu instid0(VALU_DEP_1)
	v_dual_sub_nc_u32 v1, 29, v1 :: v_dual_bitop2_b32 v2, 7, v10 bitop3:0x40
; %bb.270:                              ;   in Loop: Header=BB338_9 Depth=1
	s_or_b32 exec_lo, exec_lo, s30
	s_delay_alu instid0(VALU_DEP_1) | instskip(NEXT) | instid1(VALU_DEP_2)
	v_dual_lshlrev_b32 v10, 24, v0 :: v_dual_lshlrev_b32 v2, 20, v2
	v_lshl_add_u32 v1, v1, 23, 0x3c000000
	s_delay_alu instid0(VALU_DEP_2) | instskip(NEXT) | instid1(VALU_DEP_1)
	v_and_b32_e32 v10, 0x80000000, v10
	v_or3_b32 v113, v2, v10, v1
.LBB338_271:                            ;   in Loop: Header=BB338_9 Depth=1
	s_or_b32 exec_lo, exec_lo, s29
.LBB338_272:                            ;   in Loop: Header=BB338_9 Depth=1
	s_delay_alu instid0(SALU_CYCLE_1)
	s_or_b32 exec_lo, exec_lo, s28
.LBB338_273:                            ;   in Loop: Header=BB338_9 Depth=1
	s_delay_alu instid0(SALU_CYCLE_1) | instskip(SKIP_2) | instid1(VALU_DEP_1)
	s_or_b32 exec_lo, exec_lo, s27
	v_lshrrev_b16 v1, 8, v0
	s_mov_b32 s27, exec_lo
	v_cmpx_ne_u16_e32 0, v1
	s_cbranch_execz .LBB338_281
; %bb.274:                              ;   in Loop: Header=BB338_9 Depth=1
	v_bfrev_b32_e32 v114, 1
	s_mov_b32 s28, exec_lo
	v_cmpx_ne_u16_e32 0x80, v1
	s_cbranch_execz .LBB338_280
; %bb.275:                              ;   in Loop: Header=BB338_9 Depth=1
	v_and_b32_e32 v1, 0xffff, v1
	v_mov_b32_e32 v114, 0x7f800001
	s_mov_b32 s29, exec_lo
	s_delay_alu instid0(VALU_DEP_2) | instskip(NEXT) | instid1(VALU_DEP_1)
	v_and_b32_e32 v10, 0x7f, v1
	v_cmpx_ne_u32_e32 0x7f, v10
	s_cbranch_execz .LBB338_279
; %bb.276:                              ;   in Loop: Header=BB338_9 Depth=1
	v_dual_lshrrev_b32 v1, 3, v10 :: v_dual_bitop2_b32 v2, 7, v1 bitop3:0x40
	s_mov_b32 s30, exec_lo
	v_cmpx_gt_u32_e32 8, v10
; %bb.277:                              ;   in Loop: Header=BB338_9 Depth=1
	s_delay_alu instid0(VALU_DEP_2) | instskip(NEXT) | instid1(VALU_DEP_1)
	v_clz_i32_u32_e32 v1, v2
	v_min_u32_e32 v1, 32, v1
	s_delay_alu instid0(VALU_DEP_1) | instskip(NEXT) | instid1(VALU_DEP_1)
	v_subrev_nc_u32_e32 v10, 28, v1
	v_lshlrev_b64_e32 v[10:11], v10, v[2:3]
	s_delay_alu instid0(VALU_DEP_1)
	v_dual_sub_nc_u32 v1, 29, v1 :: v_dual_bitop2_b32 v2, 7, v10 bitop3:0x40
; %bb.278:                              ;   in Loop: Header=BB338_9 Depth=1
	s_or_b32 exec_lo, exec_lo, s30
	s_delay_alu instid0(VALU_DEP_1) | instskip(NEXT) | instid1(VALU_DEP_2)
	v_dual_lshlrev_b32 v10, 16, v0 :: v_dual_lshlrev_b32 v2, 20, v2
	v_lshl_add_u32 v1, v1, 23, 0x3c000000
	s_delay_alu instid0(VALU_DEP_2) | instskip(NEXT) | instid1(VALU_DEP_1)
	v_and_b32_e32 v10, 0x80000000, v10
	v_or3_b32 v114, v2, v10, v1
.LBB338_279:                            ;   in Loop: Header=BB338_9 Depth=1
	s_or_b32 exec_lo, exec_lo, s29
.LBB338_280:                            ;   in Loop: Header=BB338_9 Depth=1
	s_delay_alu instid0(SALU_CYCLE_1)
	s_or_b32 exec_lo, exec_lo, s28
.LBB338_281:                            ;   in Loop: Header=BB338_9 Depth=1
	s_delay_alu instid0(SALU_CYCLE_1) | instskip(SKIP_3) | instid1(VALU_DEP_2)
	s_or_b32 exec_lo, exec_lo, s27
	v_dual_mov_b32 v112, 0 :: v_dual_lshrrev_b32 v1, 16, v0
	v_mov_b32_e32 v115, 0
	s_mov_b32 s27, exec_lo
	v_and_b32_e32 v2, 0xff, v1
	s_delay_alu instid0(VALU_DEP_1)
	v_cmpx_ne_u16_e32 0, v2
	s_cbranch_execz .LBB338_289
; %bb.282:                              ;   in Loop: Header=BB338_9 Depth=1
	v_bfrev_b32_e32 v115, 1
	s_mov_b32 s28, exec_lo
	v_cmpx_ne_u16_e32 0x80, v2
	s_cbranch_execz .LBB338_288
; %bb.283:                              ;   in Loop: Header=BB338_9 Depth=1
	v_bfe_u32 v11, v0, 16, 7
	v_mov_b32_e32 v115, 0x7f800001
	s_mov_b32 s29, exec_lo
	s_delay_alu instid0(VALU_DEP_2)
	v_cmpx_ne_u32_e32 0x7f, v11
	s_cbranch_execz .LBB338_287
; %bb.284:                              ;   in Loop: Header=BB338_9 Depth=1
	v_dual_lshrrev_b32 v10, 3, v11 :: v_dual_bitop2_b32 v2, 7, v1 bitop3:0x40
	s_mov_b32 s30, exec_lo
	v_cmpx_gt_u32_e32 8, v11
; %bb.285:                              ;   in Loop: Header=BB338_9 Depth=1
	s_delay_alu instid0(VALU_DEP_2) | instskip(NEXT) | instid1(VALU_DEP_1)
	v_clz_i32_u32_e32 v10, v2
	v_min_u32_e32 v10, 32, v10
	s_delay_alu instid0(VALU_DEP_1) | instskip(NEXT) | instid1(VALU_DEP_1)
	v_subrev_nc_u32_e32 v11, 28, v10
	v_lshlrev_b64_e32 v[12:13], v11, v[2:3]
	s_delay_alu instid0(VALU_DEP_1)
	v_dual_sub_nc_u32 v10, 29, v10 :: v_dual_bitop2_b32 v2, 7, v12 bitop3:0x40
; %bb.286:                              ;   in Loop: Header=BB338_9 Depth=1
	s_or_b32 exec_lo, exec_lo, s30
	s_delay_alu instid0(VALU_DEP_1) | instskip(NEXT) | instid1(VALU_DEP_2)
	v_dual_lshlrev_b32 v1, 24, v1 :: v_dual_lshlrev_b32 v2, 20, v2
	v_lshl_add_u32 v10, v10, 23, 0x3c000000
	s_delay_alu instid0(VALU_DEP_2) | instskip(NEXT) | instid1(VALU_DEP_1)
	v_and_b32_e32 v1, 0x80000000, v1
	v_or3_b32 v115, v2, v1, v10
.LBB338_287:                            ;   in Loop: Header=BB338_9 Depth=1
	s_or_b32 exec_lo, exec_lo, s29
.LBB338_288:                            ;   in Loop: Header=BB338_9 Depth=1
	s_delay_alu instid0(SALU_CYCLE_1)
	s_or_b32 exec_lo, exec_lo, s28
.LBB338_289:                            ;   in Loop: Header=BB338_9 Depth=1
	s_delay_alu instid0(SALU_CYCLE_1) | instskip(NEXT) | instid1(SALU_CYCLE_1)
	s_or_b32 exec_lo, exec_lo, s27
	s_mov_b32 s27, exec_lo
	v_cmpx_lt_u32_e32 0xffffff, v0
	s_cbranch_execz .LBB338_297
; %bb.290:                              ;   in Loop: Header=BB338_9 Depth=1
	v_lshrrev_b32_e32 v1, 24, v0
	v_bfrev_b32_e32 v112, 1
	s_mov_b32 s28, exec_lo
	s_delay_alu instid0(VALU_DEP_2)
	v_cmpx_ne_u32_e32 0x80, v1
	s_cbranch_execz .LBB338_296
; %bb.291:                              ;   in Loop: Header=BB338_9 Depth=1
	v_bfe_u32 v10, v0, 24, 7
	v_mov_b32_e32 v112, 0x7f800001
	s_mov_b32 s29, exec_lo
	s_delay_alu instid0(VALU_DEP_2)
	v_cmpx_ne_u32_e32 0x7f, v10
	s_cbranch_execz .LBB338_295
; %bb.292:                              ;   in Loop: Header=BB338_9 Depth=1
	v_dual_lshrrev_b32 v0, 3, v10 :: v_dual_bitop2_b32 v2, 7, v1 bitop3:0x40
	s_mov_b32 s30, exec_lo
	v_cmpx_gt_u32_e32 8, v10
; %bb.293:                              ;   in Loop: Header=BB338_9 Depth=1
	s_delay_alu instid0(VALU_DEP_2) | instskip(NEXT) | instid1(VALU_DEP_1)
	v_clz_i32_u32_e32 v0, v2
	v_min_u32_e32 v0, 32, v0
	s_delay_alu instid0(VALU_DEP_1) | instskip(NEXT) | instid1(VALU_DEP_1)
	v_subrev_nc_u32_e32 v10, 28, v0
	v_lshlrev_b64_e32 v[10:11], v10, v[2:3]
	s_delay_alu instid0(VALU_DEP_1)
	v_dual_sub_nc_u32 v0, 29, v0 :: v_dual_bitop2_b32 v2, 7, v10 bitop3:0x40
; %bb.294:                              ;   in Loop: Header=BB338_9 Depth=1
	s_or_b32 exec_lo, exec_lo, s30
	s_delay_alu instid0(VALU_DEP_1) | instskip(NEXT) | instid1(VALU_DEP_2)
	v_dual_lshlrev_b32 v1, 24, v1 :: v_dual_lshlrev_b32 v2, 20, v2
	v_lshl_add_u32 v0, v0, 23, 0x3c000000
	s_delay_alu instid0(VALU_DEP_2) | instskip(NEXT) | instid1(VALU_DEP_1)
	v_and_b32_e32 v1, 0x80000000, v1
	v_or3_b32 v112, v2, v1, v0
.LBB338_295:                            ;   in Loop: Header=BB338_9 Depth=1
	s_or_b32 exec_lo, exec_lo, s29
.LBB338_296:                            ;   in Loop: Header=BB338_9 Depth=1
	s_delay_alu instid0(SALU_CYCLE_1)
	s_or_b32 exec_lo, exec_lo, s28
.LBB338_297:                            ;   in Loop: Header=BB338_9 Depth=1
	s_delay_alu instid0(SALU_CYCLE_1)
	s_or_b32 exec_lo, exec_lo, s27
	global_load_b32 v0, v[8:9], off offset:1032
	v_dual_mov_b32 v118, 0 :: v_dual_mov_b32 v117, 0
	s_mov_b32 s27, exec_lo
	s_wait_loadcnt 0x0
	v_and_b32_e32 v1, 0xff, v0
	s_wait_xcnt 0x0
	s_delay_alu instid0(VALU_DEP_1)
	v_cmpx_ne_u16_e32 0, v1
	s_cbranch_execz .LBB338_305
; %bb.298:                              ;   in Loop: Header=BB338_9 Depth=1
	v_bfrev_b32_e32 v117, 1
	s_mov_b32 s28, exec_lo
	v_cmpx_ne_u16_e32 0x80, v1
	s_cbranch_execz .LBB338_304
; %bb.299:                              ;   in Loop: Header=BB338_9 Depth=1
	v_and_b32_e32 v10, 0x7f, v0
	v_mov_b32_e32 v117, 0x7f800001
	s_mov_b32 s29, exec_lo
	s_delay_alu instid0(VALU_DEP_2)
	v_cmpx_ne_u32_e32 0x7f, v10
	s_cbranch_execz .LBB338_303
; %bb.300:                              ;   in Loop: Header=BB338_9 Depth=1
	v_dual_lshrrev_b32 v1, 3, v10 :: v_dual_bitop2_b32 v2, 7, v0 bitop3:0x40
	s_mov_b32 s30, exec_lo
	v_cmpx_gt_u32_e32 8, v10
; %bb.301:                              ;   in Loop: Header=BB338_9 Depth=1
	s_delay_alu instid0(VALU_DEP_2) | instskip(NEXT) | instid1(VALU_DEP_1)
	v_clz_i32_u32_e32 v1, v2
	v_min_u32_e32 v1, 32, v1
	s_delay_alu instid0(VALU_DEP_1) | instskip(NEXT) | instid1(VALU_DEP_1)
	v_subrev_nc_u32_e32 v10, 28, v1
	v_lshlrev_b64_e32 v[10:11], v10, v[2:3]
	s_delay_alu instid0(VALU_DEP_1)
	v_dual_sub_nc_u32 v1, 29, v1 :: v_dual_bitop2_b32 v2, 7, v10 bitop3:0x40
; %bb.302:                              ;   in Loop: Header=BB338_9 Depth=1
	s_or_b32 exec_lo, exec_lo, s30
	s_delay_alu instid0(VALU_DEP_1) | instskip(NEXT) | instid1(VALU_DEP_2)
	v_dual_lshlrev_b32 v10, 24, v0 :: v_dual_lshlrev_b32 v2, 20, v2
	v_lshl_add_u32 v1, v1, 23, 0x3c000000
	s_delay_alu instid0(VALU_DEP_2) | instskip(NEXT) | instid1(VALU_DEP_1)
	v_and_b32_e32 v10, 0x80000000, v10
	v_or3_b32 v117, v2, v10, v1
.LBB338_303:                            ;   in Loop: Header=BB338_9 Depth=1
	s_or_b32 exec_lo, exec_lo, s29
.LBB338_304:                            ;   in Loop: Header=BB338_9 Depth=1
	s_delay_alu instid0(SALU_CYCLE_1)
	s_or_b32 exec_lo, exec_lo, s28
.LBB338_305:                            ;   in Loop: Header=BB338_9 Depth=1
	s_delay_alu instid0(SALU_CYCLE_1) | instskip(SKIP_2) | instid1(VALU_DEP_1)
	s_or_b32 exec_lo, exec_lo, s27
	v_lshrrev_b16 v1, 8, v0
	s_mov_b32 s27, exec_lo
	v_cmpx_ne_u16_e32 0, v1
	s_cbranch_execz .LBB338_313
; %bb.306:                              ;   in Loop: Header=BB338_9 Depth=1
	v_bfrev_b32_e32 v118, 1
	s_mov_b32 s28, exec_lo
	v_cmpx_ne_u16_e32 0x80, v1
	s_cbranch_execz .LBB338_312
; %bb.307:                              ;   in Loop: Header=BB338_9 Depth=1
	v_and_b32_e32 v1, 0xffff, v1
	v_mov_b32_e32 v118, 0x7f800001
	s_mov_b32 s29, exec_lo
	s_delay_alu instid0(VALU_DEP_2) | instskip(NEXT) | instid1(VALU_DEP_1)
	v_and_b32_e32 v10, 0x7f, v1
	v_cmpx_ne_u32_e32 0x7f, v10
	s_cbranch_execz .LBB338_311
; %bb.308:                              ;   in Loop: Header=BB338_9 Depth=1
	v_dual_lshrrev_b32 v1, 3, v10 :: v_dual_bitop2_b32 v2, 7, v1 bitop3:0x40
	s_mov_b32 s30, exec_lo
	v_cmpx_gt_u32_e32 8, v10
; %bb.309:                              ;   in Loop: Header=BB338_9 Depth=1
	s_delay_alu instid0(VALU_DEP_2) | instskip(NEXT) | instid1(VALU_DEP_1)
	v_clz_i32_u32_e32 v1, v2
	v_min_u32_e32 v1, 32, v1
	s_delay_alu instid0(VALU_DEP_1) | instskip(NEXT) | instid1(VALU_DEP_1)
	v_subrev_nc_u32_e32 v10, 28, v1
	v_lshlrev_b64_e32 v[10:11], v10, v[2:3]
	s_delay_alu instid0(VALU_DEP_1)
	v_dual_sub_nc_u32 v1, 29, v1 :: v_dual_bitop2_b32 v2, 7, v10 bitop3:0x40
; %bb.310:                              ;   in Loop: Header=BB338_9 Depth=1
	s_or_b32 exec_lo, exec_lo, s30
	s_delay_alu instid0(VALU_DEP_1) | instskip(NEXT) | instid1(VALU_DEP_2)
	v_dual_lshlrev_b32 v10, 16, v0 :: v_dual_lshlrev_b32 v2, 20, v2
	v_lshl_add_u32 v1, v1, 23, 0x3c000000
	s_delay_alu instid0(VALU_DEP_2) | instskip(NEXT) | instid1(VALU_DEP_1)
	v_and_b32_e32 v10, 0x80000000, v10
	v_or3_b32 v118, v2, v10, v1
.LBB338_311:                            ;   in Loop: Header=BB338_9 Depth=1
	s_or_b32 exec_lo, exec_lo, s29
.LBB338_312:                            ;   in Loop: Header=BB338_9 Depth=1
	s_delay_alu instid0(SALU_CYCLE_1)
	s_or_b32 exec_lo, exec_lo, s28
.LBB338_313:                            ;   in Loop: Header=BB338_9 Depth=1
	s_delay_alu instid0(SALU_CYCLE_1) | instskip(SKIP_3) | instid1(VALU_DEP_2)
	s_or_b32 exec_lo, exec_lo, s27
	v_dual_mov_b32 v116, 0 :: v_dual_lshrrev_b32 v1, 16, v0
	v_mov_b32_e32 v119, 0
	s_mov_b32 s27, exec_lo
	v_and_b32_e32 v2, 0xff, v1
	s_delay_alu instid0(VALU_DEP_1)
	v_cmpx_ne_u16_e32 0, v2
	s_cbranch_execz .LBB338_321
; %bb.314:                              ;   in Loop: Header=BB338_9 Depth=1
	v_bfrev_b32_e32 v119, 1
	s_mov_b32 s28, exec_lo
	v_cmpx_ne_u16_e32 0x80, v2
	s_cbranch_execz .LBB338_320
; %bb.315:                              ;   in Loop: Header=BB338_9 Depth=1
	v_bfe_u32 v11, v0, 16, 7
	v_mov_b32_e32 v119, 0x7f800001
	s_mov_b32 s29, exec_lo
	s_delay_alu instid0(VALU_DEP_2)
	v_cmpx_ne_u32_e32 0x7f, v11
	s_cbranch_execz .LBB338_319
; %bb.316:                              ;   in Loop: Header=BB338_9 Depth=1
	v_dual_lshrrev_b32 v10, 3, v11 :: v_dual_bitop2_b32 v2, 7, v1 bitop3:0x40
	s_mov_b32 s30, exec_lo
	v_cmpx_gt_u32_e32 8, v11
; %bb.317:                              ;   in Loop: Header=BB338_9 Depth=1
	s_delay_alu instid0(VALU_DEP_2) | instskip(NEXT) | instid1(VALU_DEP_1)
	v_clz_i32_u32_e32 v10, v2
	v_min_u32_e32 v10, 32, v10
	s_delay_alu instid0(VALU_DEP_1) | instskip(NEXT) | instid1(VALU_DEP_1)
	v_subrev_nc_u32_e32 v11, 28, v10
	v_lshlrev_b64_e32 v[12:13], v11, v[2:3]
	s_delay_alu instid0(VALU_DEP_1)
	v_dual_sub_nc_u32 v10, 29, v10 :: v_dual_bitop2_b32 v2, 7, v12 bitop3:0x40
; %bb.318:                              ;   in Loop: Header=BB338_9 Depth=1
	s_or_b32 exec_lo, exec_lo, s30
	s_delay_alu instid0(VALU_DEP_1) | instskip(NEXT) | instid1(VALU_DEP_2)
	v_dual_lshlrev_b32 v1, 24, v1 :: v_dual_lshlrev_b32 v2, 20, v2
	v_lshl_add_u32 v10, v10, 23, 0x3c000000
	s_delay_alu instid0(VALU_DEP_2) | instskip(NEXT) | instid1(VALU_DEP_1)
	v_and_b32_e32 v1, 0x80000000, v1
	v_or3_b32 v119, v2, v1, v10
.LBB338_319:                            ;   in Loop: Header=BB338_9 Depth=1
	s_or_b32 exec_lo, exec_lo, s29
.LBB338_320:                            ;   in Loop: Header=BB338_9 Depth=1
	s_delay_alu instid0(SALU_CYCLE_1)
	s_or_b32 exec_lo, exec_lo, s28
.LBB338_321:                            ;   in Loop: Header=BB338_9 Depth=1
	s_delay_alu instid0(SALU_CYCLE_1) | instskip(NEXT) | instid1(SALU_CYCLE_1)
	s_or_b32 exec_lo, exec_lo, s27
	s_mov_b32 s27, exec_lo
	v_cmpx_lt_u32_e32 0xffffff, v0
	s_cbranch_execz .LBB338_329
; %bb.322:                              ;   in Loop: Header=BB338_9 Depth=1
	v_lshrrev_b32_e32 v1, 24, v0
	v_bfrev_b32_e32 v116, 1
	s_mov_b32 s28, exec_lo
	s_delay_alu instid0(VALU_DEP_2)
	v_cmpx_ne_u32_e32 0x80, v1
	s_cbranch_execz .LBB338_328
; %bb.323:                              ;   in Loop: Header=BB338_9 Depth=1
	v_bfe_u32 v10, v0, 24, 7
	v_mov_b32_e32 v116, 0x7f800001
	s_mov_b32 s29, exec_lo
	s_delay_alu instid0(VALU_DEP_2)
	v_cmpx_ne_u32_e32 0x7f, v10
	s_cbranch_execz .LBB338_327
; %bb.324:                              ;   in Loop: Header=BB338_9 Depth=1
	v_dual_lshrrev_b32 v0, 3, v10 :: v_dual_bitop2_b32 v2, 7, v1 bitop3:0x40
	s_mov_b32 s30, exec_lo
	v_cmpx_gt_u32_e32 8, v10
; %bb.325:                              ;   in Loop: Header=BB338_9 Depth=1
	s_delay_alu instid0(VALU_DEP_2) | instskip(NEXT) | instid1(VALU_DEP_1)
	v_clz_i32_u32_e32 v0, v2
	v_min_u32_e32 v0, 32, v0
	s_delay_alu instid0(VALU_DEP_1) | instskip(NEXT) | instid1(VALU_DEP_1)
	v_subrev_nc_u32_e32 v10, 28, v0
	v_lshlrev_b64_e32 v[10:11], v10, v[2:3]
	s_delay_alu instid0(VALU_DEP_1)
	v_dual_sub_nc_u32 v0, 29, v0 :: v_dual_bitop2_b32 v2, 7, v10 bitop3:0x40
; %bb.326:                              ;   in Loop: Header=BB338_9 Depth=1
	s_or_b32 exec_lo, exec_lo, s30
	s_delay_alu instid0(VALU_DEP_1) | instskip(NEXT) | instid1(VALU_DEP_2)
	v_dual_lshlrev_b32 v1, 24, v1 :: v_dual_lshlrev_b32 v2, 20, v2
	v_lshl_add_u32 v0, v0, 23, 0x3c000000
	s_delay_alu instid0(VALU_DEP_2) | instskip(NEXT) | instid1(VALU_DEP_1)
	v_and_b32_e32 v1, 0x80000000, v1
	v_or3_b32 v116, v2, v1, v0
.LBB338_327:                            ;   in Loop: Header=BB338_9 Depth=1
	s_or_b32 exec_lo, exec_lo, s29
.LBB338_328:                            ;   in Loop: Header=BB338_9 Depth=1
	s_delay_alu instid0(SALU_CYCLE_1)
	s_or_b32 exec_lo, exec_lo, s28
.LBB338_329:                            ;   in Loop: Header=BB338_9 Depth=1
	s_delay_alu instid0(SALU_CYCLE_1)
	s_or_b32 exec_lo, exec_lo, s27
	global_load_b32 v0, v[8:9], off offset:1280
	v_dual_mov_b32 v122, 0 :: v_dual_mov_b32 v121, 0
	s_mov_b32 s27, exec_lo
	s_wait_loadcnt 0x0
	v_and_b32_e32 v1, 0xff, v0
	s_wait_xcnt 0x0
	s_delay_alu instid0(VALU_DEP_1)
	v_cmpx_ne_u16_e32 0, v1
	s_cbranch_execz .LBB338_337
; %bb.330:                              ;   in Loop: Header=BB338_9 Depth=1
	v_bfrev_b32_e32 v121, 1
	s_mov_b32 s28, exec_lo
	v_cmpx_ne_u16_e32 0x80, v1
	s_cbranch_execz .LBB338_336
; %bb.331:                              ;   in Loop: Header=BB338_9 Depth=1
	v_and_b32_e32 v10, 0x7f, v0
	v_mov_b32_e32 v121, 0x7f800001
	s_mov_b32 s29, exec_lo
	s_delay_alu instid0(VALU_DEP_2)
	v_cmpx_ne_u32_e32 0x7f, v10
	s_cbranch_execz .LBB338_335
; %bb.332:                              ;   in Loop: Header=BB338_9 Depth=1
	v_dual_lshrrev_b32 v1, 3, v10 :: v_dual_bitop2_b32 v2, 7, v0 bitop3:0x40
	s_mov_b32 s30, exec_lo
	v_cmpx_gt_u32_e32 8, v10
; %bb.333:                              ;   in Loop: Header=BB338_9 Depth=1
	s_delay_alu instid0(VALU_DEP_2) | instskip(NEXT) | instid1(VALU_DEP_1)
	v_clz_i32_u32_e32 v1, v2
	v_min_u32_e32 v1, 32, v1
	s_delay_alu instid0(VALU_DEP_1) | instskip(NEXT) | instid1(VALU_DEP_1)
	v_subrev_nc_u32_e32 v10, 28, v1
	v_lshlrev_b64_e32 v[10:11], v10, v[2:3]
	s_delay_alu instid0(VALU_DEP_1)
	v_dual_sub_nc_u32 v1, 29, v1 :: v_dual_bitop2_b32 v2, 7, v10 bitop3:0x40
; %bb.334:                              ;   in Loop: Header=BB338_9 Depth=1
	s_or_b32 exec_lo, exec_lo, s30
	s_delay_alu instid0(VALU_DEP_1) | instskip(NEXT) | instid1(VALU_DEP_2)
	v_dual_lshlrev_b32 v10, 24, v0 :: v_dual_lshlrev_b32 v2, 20, v2
	v_lshl_add_u32 v1, v1, 23, 0x3c000000
	s_delay_alu instid0(VALU_DEP_2) | instskip(NEXT) | instid1(VALU_DEP_1)
	v_and_b32_e32 v10, 0x80000000, v10
	v_or3_b32 v121, v2, v10, v1
.LBB338_335:                            ;   in Loop: Header=BB338_9 Depth=1
	s_or_b32 exec_lo, exec_lo, s29
.LBB338_336:                            ;   in Loop: Header=BB338_9 Depth=1
	s_delay_alu instid0(SALU_CYCLE_1)
	s_or_b32 exec_lo, exec_lo, s28
.LBB338_337:                            ;   in Loop: Header=BB338_9 Depth=1
	s_delay_alu instid0(SALU_CYCLE_1) | instskip(SKIP_2) | instid1(VALU_DEP_1)
	s_or_b32 exec_lo, exec_lo, s27
	v_lshrrev_b16 v1, 8, v0
	s_mov_b32 s27, exec_lo
	v_cmpx_ne_u16_e32 0, v1
	s_cbranch_execz .LBB338_345
; %bb.338:                              ;   in Loop: Header=BB338_9 Depth=1
	v_bfrev_b32_e32 v122, 1
	s_mov_b32 s28, exec_lo
	v_cmpx_ne_u16_e32 0x80, v1
	s_cbranch_execz .LBB338_344
; %bb.339:                              ;   in Loop: Header=BB338_9 Depth=1
	v_and_b32_e32 v1, 0xffff, v1
	v_mov_b32_e32 v122, 0x7f800001
	s_mov_b32 s29, exec_lo
	s_delay_alu instid0(VALU_DEP_2) | instskip(NEXT) | instid1(VALU_DEP_1)
	v_and_b32_e32 v10, 0x7f, v1
	v_cmpx_ne_u32_e32 0x7f, v10
	s_cbranch_execz .LBB338_343
; %bb.340:                              ;   in Loop: Header=BB338_9 Depth=1
	v_dual_lshrrev_b32 v1, 3, v10 :: v_dual_bitop2_b32 v2, 7, v1 bitop3:0x40
	s_mov_b32 s30, exec_lo
	v_cmpx_gt_u32_e32 8, v10
; %bb.341:                              ;   in Loop: Header=BB338_9 Depth=1
	s_delay_alu instid0(VALU_DEP_2) | instskip(NEXT) | instid1(VALU_DEP_1)
	v_clz_i32_u32_e32 v1, v2
	v_min_u32_e32 v1, 32, v1
	s_delay_alu instid0(VALU_DEP_1) | instskip(NEXT) | instid1(VALU_DEP_1)
	v_subrev_nc_u32_e32 v10, 28, v1
	v_lshlrev_b64_e32 v[10:11], v10, v[2:3]
	s_delay_alu instid0(VALU_DEP_1)
	v_dual_sub_nc_u32 v1, 29, v1 :: v_dual_bitop2_b32 v2, 7, v10 bitop3:0x40
; %bb.342:                              ;   in Loop: Header=BB338_9 Depth=1
	s_or_b32 exec_lo, exec_lo, s30
	s_delay_alu instid0(VALU_DEP_1) | instskip(NEXT) | instid1(VALU_DEP_2)
	v_dual_lshlrev_b32 v10, 16, v0 :: v_dual_lshlrev_b32 v2, 20, v2
	v_lshl_add_u32 v1, v1, 23, 0x3c000000
	s_delay_alu instid0(VALU_DEP_2) | instskip(NEXT) | instid1(VALU_DEP_1)
	v_and_b32_e32 v10, 0x80000000, v10
	v_or3_b32 v122, v2, v10, v1
.LBB338_343:                            ;   in Loop: Header=BB338_9 Depth=1
	s_or_b32 exec_lo, exec_lo, s29
.LBB338_344:                            ;   in Loop: Header=BB338_9 Depth=1
	s_delay_alu instid0(SALU_CYCLE_1)
	s_or_b32 exec_lo, exec_lo, s28
.LBB338_345:                            ;   in Loop: Header=BB338_9 Depth=1
	s_delay_alu instid0(SALU_CYCLE_1) | instskip(SKIP_3) | instid1(VALU_DEP_2)
	s_or_b32 exec_lo, exec_lo, s27
	v_dual_mov_b32 v120, 0 :: v_dual_lshrrev_b32 v1, 16, v0
	v_mov_b32_e32 v123, 0
	s_mov_b32 s27, exec_lo
	v_and_b32_e32 v2, 0xff, v1
	s_delay_alu instid0(VALU_DEP_1)
	v_cmpx_ne_u16_e32 0, v2
	s_cbranch_execz .LBB338_353
; %bb.346:                              ;   in Loop: Header=BB338_9 Depth=1
	v_bfrev_b32_e32 v123, 1
	s_mov_b32 s28, exec_lo
	v_cmpx_ne_u16_e32 0x80, v2
	s_cbranch_execz .LBB338_352
; %bb.347:                              ;   in Loop: Header=BB338_9 Depth=1
	v_bfe_u32 v11, v0, 16, 7
	v_mov_b32_e32 v123, 0x7f800001
	s_mov_b32 s29, exec_lo
	s_delay_alu instid0(VALU_DEP_2)
	v_cmpx_ne_u32_e32 0x7f, v11
	s_cbranch_execz .LBB338_351
; %bb.348:                              ;   in Loop: Header=BB338_9 Depth=1
	v_dual_lshrrev_b32 v10, 3, v11 :: v_dual_bitop2_b32 v2, 7, v1 bitop3:0x40
	s_mov_b32 s30, exec_lo
	v_cmpx_gt_u32_e32 8, v11
; %bb.349:                              ;   in Loop: Header=BB338_9 Depth=1
	s_delay_alu instid0(VALU_DEP_2) | instskip(NEXT) | instid1(VALU_DEP_1)
	v_clz_i32_u32_e32 v10, v2
	v_min_u32_e32 v10, 32, v10
	s_delay_alu instid0(VALU_DEP_1) | instskip(NEXT) | instid1(VALU_DEP_1)
	v_subrev_nc_u32_e32 v11, 28, v10
	v_lshlrev_b64_e32 v[12:13], v11, v[2:3]
	s_delay_alu instid0(VALU_DEP_1)
	v_dual_sub_nc_u32 v10, 29, v10 :: v_dual_bitop2_b32 v2, 7, v12 bitop3:0x40
; %bb.350:                              ;   in Loop: Header=BB338_9 Depth=1
	s_or_b32 exec_lo, exec_lo, s30
	s_delay_alu instid0(VALU_DEP_1) | instskip(NEXT) | instid1(VALU_DEP_2)
	v_dual_lshlrev_b32 v1, 24, v1 :: v_dual_lshlrev_b32 v2, 20, v2
	v_lshl_add_u32 v10, v10, 23, 0x3c000000
	s_delay_alu instid0(VALU_DEP_2) | instskip(NEXT) | instid1(VALU_DEP_1)
	v_and_b32_e32 v1, 0x80000000, v1
	v_or3_b32 v123, v2, v1, v10
.LBB338_351:                            ;   in Loop: Header=BB338_9 Depth=1
	s_or_b32 exec_lo, exec_lo, s29
.LBB338_352:                            ;   in Loop: Header=BB338_9 Depth=1
	s_delay_alu instid0(SALU_CYCLE_1)
	s_or_b32 exec_lo, exec_lo, s28
.LBB338_353:                            ;   in Loop: Header=BB338_9 Depth=1
	s_delay_alu instid0(SALU_CYCLE_1) | instskip(NEXT) | instid1(SALU_CYCLE_1)
	s_or_b32 exec_lo, exec_lo, s27
	s_mov_b32 s27, exec_lo
	v_cmpx_lt_u32_e32 0xffffff, v0
	s_cbranch_execz .LBB338_361
; %bb.354:                              ;   in Loop: Header=BB338_9 Depth=1
	v_lshrrev_b32_e32 v1, 24, v0
	v_bfrev_b32_e32 v120, 1
	s_mov_b32 s28, exec_lo
	s_delay_alu instid0(VALU_DEP_2)
	v_cmpx_ne_u32_e32 0x80, v1
	s_cbranch_execz .LBB338_360
; %bb.355:                              ;   in Loop: Header=BB338_9 Depth=1
	v_bfe_u32 v10, v0, 24, 7
	v_mov_b32_e32 v120, 0x7f800001
	s_mov_b32 s29, exec_lo
	s_delay_alu instid0(VALU_DEP_2)
	v_cmpx_ne_u32_e32 0x7f, v10
	s_cbranch_execz .LBB338_359
; %bb.356:                              ;   in Loop: Header=BB338_9 Depth=1
	v_dual_lshrrev_b32 v0, 3, v10 :: v_dual_bitop2_b32 v2, 7, v1 bitop3:0x40
	s_mov_b32 s30, exec_lo
	v_cmpx_gt_u32_e32 8, v10
; %bb.357:                              ;   in Loop: Header=BB338_9 Depth=1
	s_delay_alu instid0(VALU_DEP_2) | instskip(NEXT) | instid1(VALU_DEP_1)
	v_clz_i32_u32_e32 v0, v2
	v_min_u32_e32 v0, 32, v0
	s_delay_alu instid0(VALU_DEP_1) | instskip(NEXT) | instid1(VALU_DEP_1)
	v_subrev_nc_u32_e32 v10, 28, v0
	v_lshlrev_b64_e32 v[10:11], v10, v[2:3]
	s_delay_alu instid0(VALU_DEP_1)
	v_dual_sub_nc_u32 v0, 29, v0 :: v_dual_bitop2_b32 v2, 7, v10 bitop3:0x40
; %bb.358:                              ;   in Loop: Header=BB338_9 Depth=1
	s_or_b32 exec_lo, exec_lo, s30
	s_delay_alu instid0(VALU_DEP_1) | instskip(NEXT) | instid1(VALU_DEP_2)
	v_dual_lshlrev_b32 v1, 24, v1 :: v_dual_lshlrev_b32 v2, 20, v2
	v_lshl_add_u32 v0, v0, 23, 0x3c000000
	s_delay_alu instid0(VALU_DEP_2) | instskip(NEXT) | instid1(VALU_DEP_1)
	v_and_b32_e32 v1, 0x80000000, v1
	v_or3_b32 v120, v2, v1, v0
.LBB338_359:                            ;   in Loop: Header=BB338_9 Depth=1
	s_or_b32 exec_lo, exec_lo, s29
.LBB338_360:                            ;   in Loop: Header=BB338_9 Depth=1
	s_delay_alu instid0(SALU_CYCLE_1)
	s_or_b32 exec_lo, exec_lo, s28
.LBB338_361:                            ;   in Loop: Header=BB338_9 Depth=1
	s_delay_alu instid0(SALU_CYCLE_1)
	s_or_b32 exec_lo, exec_lo, s27
	global_load_b32 v0, v[8:9], off offset:1288
	v_dual_mov_b32 v126, 0 :: v_dual_mov_b32 v125, 0
	s_mov_b32 s27, exec_lo
	s_wait_loadcnt 0x0
	v_and_b32_e32 v1, 0xff, v0
	s_wait_xcnt 0x0
	s_delay_alu instid0(VALU_DEP_1)
	v_cmpx_ne_u16_e32 0, v1
	s_cbranch_execz .LBB338_369
; %bb.362:                              ;   in Loop: Header=BB338_9 Depth=1
	v_bfrev_b32_e32 v125, 1
	s_mov_b32 s28, exec_lo
	v_cmpx_ne_u16_e32 0x80, v1
	s_cbranch_execz .LBB338_368
; %bb.363:                              ;   in Loop: Header=BB338_9 Depth=1
	v_and_b32_e32 v10, 0x7f, v0
	v_mov_b32_e32 v125, 0x7f800001
	s_mov_b32 s29, exec_lo
	s_delay_alu instid0(VALU_DEP_2)
	v_cmpx_ne_u32_e32 0x7f, v10
	s_cbranch_execz .LBB338_367
; %bb.364:                              ;   in Loop: Header=BB338_9 Depth=1
	v_dual_lshrrev_b32 v1, 3, v10 :: v_dual_bitop2_b32 v2, 7, v0 bitop3:0x40
	s_mov_b32 s30, exec_lo
	v_cmpx_gt_u32_e32 8, v10
; %bb.365:                              ;   in Loop: Header=BB338_9 Depth=1
	s_delay_alu instid0(VALU_DEP_2) | instskip(NEXT) | instid1(VALU_DEP_1)
	v_clz_i32_u32_e32 v1, v2
	v_min_u32_e32 v1, 32, v1
	s_delay_alu instid0(VALU_DEP_1) | instskip(NEXT) | instid1(VALU_DEP_1)
	v_subrev_nc_u32_e32 v10, 28, v1
	v_lshlrev_b64_e32 v[10:11], v10, v[2:3]
	s_delay_alu instid0(VALU_DEP_1)
	v_dual_sub_nc_u32 v1, 29, v1 :: v_dual_bitop2_b32 v2, 7, v10 bitop3:0x40
; %bb.366:                              ;   in Loop: Header=BB338_9 Depth=1
	s_or_b32 exec_lo, exec_lo, s30
	s_delay_alu instid0(VALU_DEP_1) | instskip(NEXT) | instid1(VALU_DEP_2)
	v_dual_lshlrev_b32 v10, 24, v0 :: v_dual_lshlrev_b32 v2, 20, v2
	v_lshl_add_u32 v1, v1, 23, 0x3c000000
	s_delay_alu instid0(VALU_DEP_2) | instskip(NEXT) | instid1(VALU_DEP_1)
	v_and_b32_e32 v10, 0x80000000, v10
	v_or3_b32 v125, v2, v10, v1
.LBB338_367:                            ;   in Loop: Header=BB338_9 Depth=1
	s_or_b32 exec_lo, exec_lo, s29
.LBB338_368:                            ;   in Loop: Header=BB338_9 Depth=1
	s_delay_alu instid0(SALU_CYCLE_1)
	s_or_b32 exec_lo, exec_lo, s28
.LBB338_369:                            ;   in Loop: Header=BB338_9 Depth=1
	s_delay_alu instid0(SALU_CYCLE_1) | instskip(SKIP_2) | instid1(VALU_DEP_1)
	s_or_b32 exec_lo, exec_lo, s27
	v_lshrrev_b16 v1, 8, v0
	s_mov_b32 s27, exec_lo
	v_cmpx_ne_u16_e32 0, v1
	s_cbranch_execz .LBB338_377
; %bb.370:                              ;   in Loop: Header=BB338_9 Depth=1
	v_bfrev_b32_e32 v126, 1
	s_mov_b32 s28, exec_lo
	v_cmpx_ne_u16_e32 0x80, v1
	s_cbranch_execz .LBB338_376
; %bb.371:                              ;   in Loop: Header=BB338_9 Depth=1
	v_and_b32_e32 v1, 0xffff, v1
	v_mov_b32_e32 v126, 0x7f800001
	s_mov_b32 s29, exec_lo
	s_delay_alu instid0(VALU_DEP_2) | instskip(NEXT) | instid1(VALU_DEP_1)
	v_and_b32_e32 v10, 0x7f, v1
	v_cmpx_ne_u32_e32 0x7f, v10
	s_cbranch_execz .LBB338_375
; %bb.372:                              ;   in Loop: Header=BB338_9 Depth=1
	v_dual_lshrrev_b32 v1, 3, v10 :: v_dual_bitop2_b32 v2, 7, v1 bitop3:0x40
	s_mov_b32 s30, exec_lo
	v_cmpx_gt_u32_e32 8, v10
; %bb.373:                              ;   in Loop: Header=BB338_9 Depth=1
	s_delay_alu instid0(VALU_DEP_2) | instskip(NEXT) | instid1(VALU_DEP_1)
	v_clz_i32_u32_e32 v1, v2
	v_min_u32_e32 v1, 32, v1
	s_delay_alu instid0(VALU_DEP_1) | instskip(NEXT) | instid1(VALU_DEP_1)
	v_subrev_nc_u32_e32 v10, 28, v1
	v_lshlrev_b64_e32 v[10:11], v10, v[2:3]
	s_delay_alu instid0(VALU_DEP_1)
	v_dual_sub_nc_u32 v1, 29, v1 :: v_dual_bitop2_b32 v2, 7, v10 bitop3:0x40
; %bb.374:                              ;   in Loop: Header=BB338_9 Depth=1
	s_or_b32 exec_lo, exec_lo, s30
	s_delay_alu instid0(VALU_DEP_1) | instskip(NEXT) | instid1(VALU_DEP_2)
	v_dual_lshlrev_b32 v10, 16, v0 :: v_dual_lshlrev_b32 v2, 20, v2
	v_lshl_add_u32 v1, v1, 23, 0x3c000000
	s_delay_alu instid0(VALU_DEP_2) | instskip(NEXT) | instid1(VALU_DEP_1)
	v_and_b32_e32 v10, 0x80000000, v10
	v_or3_b32 v126, v2, v10, v1
.LBB338_375:                            ;   in Loop: Header=BB338_9 Depth=1
	s_or_b32 exec_lo, exec_lo, s29
.LBB338_376:                            ;   in Loop: Header=BB338_9 Depth=1
	s_delay_alu instid0(SALU_CYCLE_1)
	s_or_b32 exec_lo, exec_lo, s28
.LBB338_377:                            ;   in Loop: Header=BB338_9 Depth=1
	s_delay_alu instid0(SALU_CYCLE_1) | instskip(SKIP_3) | instid1(VALU_DEP_2)
	s_or_b32 exec_lo, exec_lo, s27
	v_dual_mov_b32 v124, 0 :: v_dual_lshrrev_b32 v1, 16, v0
	v_mov_b32_e32 v127, 0
	s_mov_b32 s27, exec_lo
	v_and_b32_e32 v2, 0xff, v1
	s_delay_alu instid0(VALU_DEP_1)
	v_cmpx_ne_u16_e32 0, v2
	s_cbranch_execz .LBB338_385
; %bb.378:                              ;   in Loop: Header=BB338_9 Depth=1
	v_bfrev_b32_e32 v127, 1
	s_mov_b32 s28, exec_lo
	v_cmpx_ne_u16_e32 0x80, v2
	s_cbranch_execz .LBB338_384
; %bb.379:                              ;   in Loop: Header=BB338_9 Depth=1
	v_bfe_u32 v11, v0, 16, 7
	v_mov_b32_e32 v127, 0x7f800001
	s_mov_b32 s29, exec_lo
	s_delay_alu instid0(VALU_DEP_2)
	v_cmpx_ne_u32_e32 0x7f, v11
	s_cbranch_execz .LBB338_383
; %bb.380:                              ;   in Loop: Header=BB338_9 Depth=1
	v_dual_lshrrev_b32 v10, 3, v11 :: v_dual_bitop2_b32 v2, 7, v1 bitop3:0x40
	s_mov_b32 s30, exec_lo
	v_cmpx_gt_u32_e32 8, v11
; %bb.381:                              ;   in Loop: Header=BB338_9 Depth=1
	s_delay_alu instid0(VALU_DEP_2) | instskip(NEXT) | instid1(VALU_DEP_1)
	v_clz_i32_u32_e32 v10, v2
	v_min_u32_e32 v10, 32, v10
	s_delay_alu instid0(VALU_DEP_1) | instskip(NEXT) | instid1(VALU_DEP_1)
	v_subrev_nc_u32_e32 v11, 28, v10
	v_lshlrev_b64_e32 v[12:13], v11, v[2:3]
	s_delay_alu instid0(VALU_DEP_1)
	v_dual_sub_nc_u32 v10, 29, v10 :: v_dual_bitop2_b32 v2, 7, v12 bitop3:0x40
; %bb.382:                              ;   in Loop: Header=BB338_9 Depth=1
	s_or_b32 exec_lo, exec_lo, s30
	s_delay_alu instid0(VALU_DEP_1) | instskip(NEXT) | instid1(VALU_DEP_2)
	v_dual_lshlrev_b32 v1, 24, v1 :: v_dual_lshlrev_b32 v2, 20, v2
	v_lshl_add_u32 v10, v10, 23, 0x3c000000
	s_delay_alu instid0(VALU_DEP_2) | instskip(NEXT) | instid1(VALU_DEP_1)
	v_and_b32_e32 v1, 0x80000000, v1
	v_or3_b32 v127, v2, v1, v10
.LBB338_383:                            ;   in Loop: Header=BB338_9 Depth=1
	s_or_b32 exec_lo, exec_lo, s29
.LBB338_384:                            ;   in Loop: Header=BB338_9 Depth=1
	s_delay_alu instid0(SALU_CYCLE_1)
	s_or_b32 exec_lo, exec_lo, s28
.LBB338_385:                            ;   in Loop: Header=BB338_9 Depth=1
	s_delay_alu instid0(SALU_CYCLE_1) | instskip(NEXT) | instid1(SALU_CYCLE_1)
	s_or_b32 exec_lo, exec_lo, s27
	s_mov_b32 s27, exec_lo
	v_cmpx_lt_u32_e32 0xffffff, v0
	s_cbranch_execz .LBB338_393
; %bb.386:                              ;   in Loop: Header=BB338_9 Depth=1
	v_lshrrev_b32_e32 v1, 24, v0
	v_bfrev_b32_e32 v124, 1
	s_mov_b32 s28, exec_lo
	s_delay_alu instid0(VALU_DEP_2)
	v_cmpx_ne_u32_e32 0x80, v1
	s_cbranch_execz .LBB338_392
; %bb.387:                              ;   in Loop: Header=BB338_9 Depth=1
	v_bfe_u32 v10, v0, 24, 7
	v_mov_b32_e32 v124, 0x7f800001
	s_mov_b32 s29, exec_lo
	s_delay_alu instid0(VALU_DEP_2)
	v_cmpx_ne_u32_e32 0x7f, v10
	s_cbranch_execz .LBB338_391
; %bb.388:                              ;   in Loop: Header=BB338_9 Depth=1
	v_dual_lshrrev_b32 v0, 3, v10 :: v_dual_bitop2_b32 v2, 7, v1 bitop3:0x40
	s_mov_b32 s30, exec_lo
	v_cmpx_gt_u32_e32 8, v10
; %bb.389:                              ;   in Loop: Header=BB338_9 Depth=1
	s_delay_alu instid0(VALU_DEP_2) | instskip(NEXT) | instid1(VALU_DEP_1)
	v_clz_i32_u32_e32 v0, v2
	v_min_u32_e32 v0, 32, v0
	s_delay_alu instid0(VALU_DEP_1) | instskip(NEXT) | instid1(VALU_DEP_1)
	v_subrev_nc_u32_e32 v10, 28, v0
	v_lshlrev_b64_e32 v[10:11], v10, v[2:3]
	s_delay_alu instid0(VALU_DEP_1)
	v_dual_sub_nc_u32 v0, 29, v0 :: v_dual_bitop2_b32 v2, 7, v10 bitop3:0x40
; %bb.390:                              ;   in Loop: Header=BB338_9 Depth=1
	s_or_b32 exec_lo, exec_lo, s30
	s_delay_alu instid0(VALU_DEP_1) | instskip(NEXT) | instid1(VALU_DEP_2)
	v_dual_lshlrev_b32 v1, 24, v1 :: v_dual_lshlrev_b32 v2, 20, v2
	v_lshl_add_u32 v0, v0, 23, 0x3c000000
	s_delay_alu instid0(VALU_DEP_2) | instskip(NEXT) | instid1(VALU_DEP_1)
	v_and_b32_e32 v1, 0x80000000, v1
	v_or3_b32 v124, v2, v1, v0
.LBB338_391:                            ;   in Loop: Header=BB338_9 Depth=1
	s_or_b32 exec_lo, exec_lo, s29
.LBB338_392:                            ;   in Loop: Header=BB338_9 Depth=1
	s_delay_alu instid0(SALU_CYCLE_1)
	s_or_b32 exec_lo, exec_lo, s28
.LBB338_393:                            ;   in Loop: Header=BB338_9 Depth=1
	s_delay_alu instid0(SALU_CYCLE_1)
	s_or_b32 exec_lo, exec_lo, s27
	global_load_b32 v0, v[8:9], off offset:1536
	v_dual_mov_b32 v18, 0 :: v_dual_mov_b32 v35, 0
	s_mov_b32 s27, exec_lo
	s_wait_loadcnt 0x0
	v_and_b32_e32 v1, 0xff, v0
	s_wait_xcnt 0x0
	s_delay_alu instid0(VALU_DEP_1)
	v_cmpx_ne_u16_e32 0, v1
	s_cbranch_execz .LBB338_401
; %bb.394:                              ;   in Loop: Header=BB338_9 Depth=1
	v_bfrev_b32_e32 v35, 1
	s_mov_b32 s28, exec_lo
	v_cmpx_ne_u16_e32 0x80, v1
	s_cbranch_execz .LBB338_400
; %bb.395:                              ;   in Loop: Header=BB338_9 Depth=1
	v_and_b32_e32 v10, 0x7f, v0
	v_mov_b32_e32 v35, 0x7f800001
	s_mov_b32 s29, exec_lo
	s_delay_alu instid0(VALU_DEP_2)
	v_cmpx_ne_u32_e32 0x7f, v10
	s_cbranch_execz .LBB338_399
; %bb.396:                              ;   in Loop: Header=BB338_9 Depth=1
	v_dual_lshrrev_b32 v1, 3, v10 :: v_dual_bitop2_b32 v2, 7, v0 bitop3:0x40
	s_mov_b32 s30, exec_lo
	v_cmpx_gt_u32_e32 8, v10
; %bb.397:                              ;   in Loop: Header=BB338_9 Depth=1
	s_delay_alu instid0(VALU_DEP_2) | instskip(NEXT) | instid1(VALU_DEP_1)
	v_clz_i32_u32_e32 v1, v2
	v_min_u32_e32 v1, 32, v1
	s_delay_alu instid0(VALU_DEP_1) | instskip(NEXT) | instid1(VALU_DEP_1)
	v_subrev_nc_u32_e32 v10, 28, v1
	v_lshlrev_b64_e32 v[10:11], v10, v[2:3]
	s_delay_alu instid0(VALU_DEP_1)
	v_dual_sub_nc_u32 v1, 29, v1 :: v_dual_bitop2_b32 v2, 7, v10 bitop3:0x40
; %bb.398:                              ;   in Loop: Header=BB338_9 Depth=1
	s_or_b32 exec_lo, exec_lo, s30
	s_delay_alu instid0(VALU_DEP_1) | instskip(NEXT) | instid1(VALU_DEP_2)
	v_dual_lshlrev_b32 v10, 24, v0 :: v_dual_lshlrev_b32 v2, 20, v2
	v_lshl_add_u32 v1, v1, 23, 0x3c000000
	s_delay_alu instid0(VALU_DEP_2) | instskip(NEXT) | instid1(VALU_DEP_1)
	v_and_b32_e32 v10, 0x80000000, v10
	v_or3_b32 v35, v2, v10, v1
.LBB338_399:                            ;   in Loop: Header=BB338_9 Depth=1
	s_or_b32 exec_lo, exec_lo, s29
.LBB338_400:                            ;   in Loop: Header=BB338_9 Depth=1
	s_delay_alu instid0(SALU_CYCLE_1)
	s_or_b32 exec_lo, exec_lo, s28
.LBB338_401:                            ;   in Loop: Header=BB338_9 Depth=1
	s_delay_alu instid0(SALU_CYCLE_1) | instskip(SKIP_2) | instid1(VALU_DEP_1)
	s_or_b32 exec_lo, exec_lo, s27
	v_lshrrev_b16 v1, 8, v0
	s_mov_b32 s27, exec_lo
	v_cmpx_ne_u16_e32 0, v1
	s_cbranch_execz .LBB338_409
; %bb.402:                              ;   in Loop: Header=BB338_9 Depth=1
	v_bfrev_b32_e32 v18, 1
	s_mov_b32 s28, exec_lo
	v_cmpx_ne_u16_e32 0x80, v1
	s_cbranch_execz .LBB338_408
; %bb.403:                              ;   in Loop: Header=BB338_9 Depth=1
	v_and_b32_e32 v1, 0xffff, v1
	v_mov_b32_e32 v18, 0x7f800001
	s_mov_b32 s29, exec_lo
	s_delay_alu instid0(VALU_DEP_2) | instskip(NEXT) | instid1(VALU_DEP_1)
	v_and_b32_e32 v10, 0x7f, v1
	v_cmpx_ne_u32_e32 0x7f, v10
	s_cbranch_execz .LBB338_407
; %bb.404:                              ;   in Loop: Header=BB338_9 Depth=1
	v_dual_lshrrev_b32 v1, 3, v10 :: v_dual_bitop2_b32 v2, 7, v1 bitop3:0x40
	s_mov_b32 s30, exec_lo
	v_cmpx_gt_u32_e32 8, v10
; %bb.405:                              ;   in Loop: Header=BB338_9 Depth=1
	s_delay_alu instid0(VALU_DEP_2) | instskip(NEXT) | instid1(VALU_DEP_1)
	v_clz_i32_u32_e32 v1, v2
	v_min_u32_e32 v1, 32, v1
	s_delay_alu instid0(VALU_DEP_1) | instskip(NEXT) | instid1(VALU_DEP_1)
	v_subrev_nc_u32_e32 v10, 28, v1
	v_lshlrev_b64_e32 v[10:11], v10, v[2:3]
	s_delay_alu instid0(VALU_DEP_1)
	v_dual_sub_nc_u32 v1, 29, v1 :: v_dual_bitop2_b32 v2, 7, v10 bitop3:0x40
; %bb.406:                              ;   in Loop: Header=BB338_9 Depth=1
	s_or_b32 exec_lo, exec_lo, s30
	s_delay_alu instid0(VALU_DEP_1) | instskip(NEXT) | instid1(VALU_DEP_2)
	v_dual_lshlrev_b32 v10, 16, v0 :: v_dual_lshlrev_b32 v2, 20, v2
	v_lshl_add_u32 v1, v1, 23, 0x3c000000
	s_delay_alu instid0(VALU_DEP_2) | instskip(NEXT) | instid1(VALU_DEP_1)
	v_and_b32_e32 v10, 0x80000000, v10
	v_or3_b32 v18, v2, v10, v1
.LBB338_407:                            ;   in Loop: Header=BB338_9 Depth=1
	s_or_b32 exec_lo, exec_lo, s29
.LBB338_408:                            ;   in Loop: Header=BB338_9 Depth=1
	s_delay_alu instid0(SALU_CYCLE_1)
	s_or_b32 exec_lo, exec_lo, s28
.LBB338_409:                            ;   in Loop: Header=BB338_9 Depth=1
	s_delay_alu instid0(SALU_CYCLE_1) | instskip(SKIP_3) | instid1(VALU_DEP_2)
	s_or_b32 exec_lo, exec_lo, s27
	v_dual_lshrrev_b32 v10, 16, v0 :: v_dual_mov_b32 v34, 0
	v_mov_b32_e32 v1, 0
	s_mov_b32 s27, exec_lo
	v_and_b32_e32 v2, 0xff, v10
	s_delay_alu instid0(VALU_DEP_1)
	v_cmpx_ne_u16_e32 0, v2
	s_cbranch_execz .LBB338_417
; %bb.410:                              ;   in Loop: Header=BB338_9 Depth=1
	v_bfrev_b32_e32 v1, 1
	s_mov_b32 s28, exec_lo
	v_cmpx_ne_u16_e32 0x80, v2
	s_cbranch_execz .LBB338_416
; %bb.411:                              ;   in Loop: Header=BB338_9 Depth=1
	v_bfe_u32 v11, v0, 16, 7
	v_mov_b32_e32 v1, 0x7f800001
	s_mov_b32 s29, exec_lo
	s_delay_alu instid0(VALU_DEP_2)
	v_cmpx_ne_u32_e32 0x7f, v11
	s_cbranch_execz .LBB338_415
; %bb.412:                              ;   in Loop: Header=BB338_9 Depth=1
	v_dual_lshrrev_b32 v1, 3, v11 :: v_dual_bitop2_b32 v2, 7, v10 bitop3:0x40
	s_mov_b32 s30, exec_lo
	v_cmpx_gt_u32_e32 8, v11
; %bb.413:                              ;   in Loop: Header=BB338_9 Depth=1
	s_delay_alu instid0(VALU_DEP_2) | instskip(NEXT) | instid1(VALU_DEP_1)
	v_clz_i32_u32_e32 v1, v2
	v_min_u32_e32 v1, 32, v1
	s_delay_alu instid0(VALU_DEP_1) | instskip(NEXT) | instid1(VALU_DEP_1)
	v_subrev_nc_u32_e32 v11, 28, v1
	v_lshlrev_b64_e32 v[12:13], v11, v[2:3]
	s_delay_alu instid0(VALU_DEP_1)
	v_dual_sub_nc_u32 v1, 29, v1 :: v_dual_bitop2_b32 v2, 7, v12 bitop3:0x40
; %bb.414:                              ;   in Loop: Header=BB338_9 Depth=1
	s_or_b32 exec_lo, exec_lo, s30
	v_lshlrev_b32_e32 v10, 24, v10
	s_delay_alu instid0(VALU_DEP_2) | instskip(NEXT) | instid1(VALU_DEP_3)
	v_lshlrev_b32_e32 v2, 20, v2
	v_lshl_add_u32 v1, v1, 23, 0x3c000000
	s_delay_alu instid0(VALU_DEP_3) | instskip(NEXT) | instid1(VALU_DEP_1)
	v_and_b32_e32 v10, 0x80000000, v10
	v_or3_b32 v1, v2, v10, v1
.LBB338_415:                            ;   in Loop: Header=BB338_9 Depth=1
	s_or_b32 exec_lo, exec_lo, s29
.LBB338_416:                            ;   in Loop: Header=BB338_9 Depth=1
	s_delay_alu instid0(SALU_CYCLE_1)
	s_or_b32 exec_lo, exec_lo, s28
.LBB338_417:                            ;   in Loop: Header=BB338_9 Depth=1
	s_delay_alu instid0(SALU_CYCLE_1) | instskip(NEXT) | instid1(SALU_CYCLE_1)
	s_or_b32 exec_lo, exec_lo, s27
	s_mov_b32 s27, exec_lo
	v_cmpx_lt_u32_e32 0xffffff, v0
	s_cbranch_execz .LBB338_425
; %bb.418:                              ;   in Loop: Header=BB338_9 Depth=1
	v_lshrrev_b32_e32 v10, 24, v0
	v_bfrev_b32_e32 v34, 1
	s_mov_b32 s28, exec_lo
	s_delay_alu instid0(VALU_DEP_2)
	v_cmpx_ne_u32_e32 0x80, v10
	s_cbranch_execz .LBB338_424
; %bb.419:                              ;   in Loop: Header=BB338_9 Depth=1
	v_bfe_u32 v11, v0, 24, 7
	v_mov_b32_e32 v34, 0x7f800001
	s_mov_b32 s29, exec_lo
	s_delay_alu instid0(VALU_DEP_2)
	v_cmpx_ne_u32_e32 0x7f, v11
	s_cbranch_execz .LBB338_423
; %bb.420:                              ;   in Loop: Header=BB338_9 Depth=1
	v_dual_lshrrev_b32 v0, 3, v11 :: v_dual_bitop2_b32 v2, 7, v10 bitop3:0x40
	s_mov_b32 s30, exec_lo
	v_cmpx_gt_u32_e32 8, v11
; %bb.421:                              ;   in Loop: Header=BB338_9 Depth=1
	s_delay_alu instid0(VALU_DEP_2) | instskip(NEXT) | instid1(VALU_DEP_1)
	v_clz_i32_u32_e32 v0, v2
	v_min_u32_e32 v0, 32, v0
	s_delay_alu instid0(VALU_DEP_1) | instskip(SKIP_1) | instid1(VALU_DEP_2)
	v_subrev_nc_u32_e32 v11, 28, v0
	v_sub_nc_u32_e32 v0, 29, v0
	v_lshlrev_b64_e32 v[12:13], v11, v[2:3]
	s_delay_alu instid0(VALU_DEP_1)
	v_and_b32_e32 v2, 7, v12
; %bb.422:                              ;   in Loop: Header=BB338_9 Depth=1
	s_or_b32 exec_lo, exec_lo, s30
	v_lshlrev_b32_e32 v10, 24, v10
	s_delay_alu instid0(VALU_DEP_2) | instskip(SKIP_1) | instid1(VALU_DEP_3)
	v_lshlrev_b32_e32 v2, 20, v2
	v_lshl_add_u32 v0, v0, 23, 0x3c000000
	v_and_b32_e32 v10, 0x80000000, v10
	s_delay_alu instid0(VALU_DEP_1)
	v_or3_b32 v34, v2, v10, v0
.LBB338_423:                            ;   in Loop: Header=BB338_9 Depth=1
	s_or_b32 exec_lo, exec_lo, s29
.LBB338_424:                            ;   in Loop: Header=BB338_9 Depth=1
	s_delay_alu instid0(SALU_CYCLE_1)
	s_or_b32 exec_lo, exec_lo, s28
.LBB338_425:                            ;   in Loop: Header=BB338_9 Depth=1
	s_delay_alu instid0(SALU_CYCLE_1)
	s_or_b32 exec_lo, exec_lo, s27
	global_load_b32 v12, v[8:9], off offset:1544
	v_dual_mov_b32 v10, 0 :: v_dual_mov_b32 v33, 0
	s_mov_b32 s27, exec_lo
	s_wait_loadcnt 0x0
	v_and_b32_e32 v0, 0xff, v12
	s_wait_xcnt 0x0
	s_delay_alu instid0(VALU_DEP_1)
	v_cmpx_ne_u16_e32 0, v0
	s_cbranch_execz .LBB338_433
; %bb.426:                              ;   in Loop: Header=BB338_9 Depth=1
	v_bfrev_b32_e32 v33, 1
	s_mov_b32 s28, exec_lo
	v_cmpx_ne_u16_e32 0x80, v0
	s_cbranch_execz .LBB338_432
; %bb.427:                              ;   in Loop: Header=BB338_9 Depth=1
	v_and_b32_e32 v11, 0x7f, v12
	v_mov_b32_e32 v33, 0x7f800001
	s_mov_b32 s29, exec_lo
	s_delay_alu instid0(VALU_DEP_2)
	v_cmpx_ne_u32_e32 0x7f, v11
	s_cbranch_execz .LBB338_431
; %bb.428:                              ;   in Loop: Header=BB338_9 Depth=1
	v_dual_lshrrev_b32 v0, 3, v11 :: v_dual_bitop2_b32 v2, 7, v12 bitop3:0x40
	s_mov_b32 s30, exec_lo
	v_cmpx_gt_u32_e32 8, v11
; %bb.429:                              ;   in Loop: Header=BB338_9 Depth=1
	s_delay_alu instid0(VALU_DEP_2) | instskip(NEXT) | instid1(VALU_DEP_1)
	v_clz_i32_u32_e32 v0, v2
	v_min_u32_e32 v0, 32, v0
	s_delay_alu instid0(VALU_DEP_1) | instskip(NEXT) | instid1(VALU_DEP_1)
	v_subrev_nc_u32_e32 v11, 28, v0
	v_lshlrev_b64_e32 v[14:15], v11, v[2:3]
	s_delay_alu instid0(VALU_DEP_1)
	v_dual_sub_nc_u32 v0, 29, v0 :: v_dual_bitop2_b32 v2, 7, v14 bitop3:0x40
; %bb.430:                              ;   in Loop: Header=BB338_9 Depth=1
	s_or_b32 exec_lo, exec_lo, s30
	s_delay_alu instid0(VALU_DEP_1) | instskip(NEXT) | instid1(VALU_DEP_2)
	v_dual_lshlrev_b32 v11, 24, v12 :: v_dual_lshlrev_b32 v2, 20, v2
	v_lshl_add_u32 v0, v0, 23, 0x3c000000
	s_delay_alu instid0(VALU_DEP_2) | instskip(NEXT) | instid1(VALU_DEP_1)
	v_and_b32_e32 v11, 0x80000000, v11
	v_or3_b32 v33, v2, v11, v0
.LBB338_431:                            ;   in Loop: Header=BB338_9 Depth=1
	s_or_b32 exec_lo, exec_lo, s29
.LBB338_432:                            ;   in Loop: Header=BB338_9 Depth=1
	s_delay_alu instid0(SALU_CYCLE_1)
	s_or_b32 exec_lo, exec_lo, s28
.LBB338_433:                            ;   in Loop: Header=BB338_9 Depth=1
	s_delay_alu instid0(SALU_CYCLE_1) | instskip(SKIP_2) | instid1(VALU_DEP_1)
	s_or_b32 exec_lo, exec_lo, s27
	v_lshrrev_b16 v0, 8, v12
	s_mov_b32 s27, exec_lo
	v_cmpx_ne_u16_e32 0, v0
	s_cbranch_execz .LBB338_441
; %bb.434:                              ;   in Loop: Header=BB338_9 Depth=1
	v_bfrev_b32_e32 v10, 1
	s_mov_b32 s28, exec_lo
	v_cmpx_ne_u16_e32 0x80, v0
	s_cbranch_execz .LBB338_440
; %bb.435:                              ;   in Loop: Header=BB338_9 Depth=1
	v_and_b32_e32 v0, 0xffff, v0
	v_mov_b32_e32 v10, 0x7f800001
	s_mov_b32 s29, exec_lo
	s_delay_alu instid0(VALU_DEP_2) | instskip(NEXT) | instid1(VALU_DEP_1)
	v_and_b32_e32 v11, 0x7f, v0
	v_cmpx_ne_u32_e32 0x7f, v11
	s_cbranch_execz .LBB338_439
; %bb.436:                              ;   in Loop: Header=BB338_9 Depth=1
	v_dual_lshrrev_b32 v0, 3, v11 :: v_dual_bitop2_b32 v2, 7, v0 bitop3:0x40
	s_mov_b32 s30, exec_lo
	v_cmpx_gt_u32_e32 8, v11
; %bb.437:                              ;   in Loop: Header=BB338_9 Depth=1
	s_delay_alu instid0(VALU_DEP_2) | instskip(NEXT) | instid1(VALU_DEP_1)
	v_clz_i32_u32_e32 v0, v2
	v_min_u32_e32 v0, 32, v0
	s_delay_alu instid0(VALU_DEP_1) | instskip(NEXT) | instid1(VALU_DEP_1)
	v_subrev_nc_u32_e32 v10, 28, v0
	v_lshlrev_b64_e32 v[10:11], v10, v[2:3]
	s_delay_alu instid0(VALU_DEP_1)
	v_dual_sub_nc_u32 v0, 29, v0 :: v_dual_bitop2_b32 v2, 7, v10 bitop3:0x40
; %bb.438:                              ;   in Loop: Header=BB338_9 Depth=1
	s_or_b32 exec_lo, exec_lo, s30
	s_delay_alu instid0(VALU_DEP_1) | instskip(NEXT) | instid1(VALU_DEP_2)
	v_dual_lshlrev_b32 v10, 16, v12 :: v_dual_lshlrev_b32 v2, 20, v2
	v_lshl_add_u32 v0, v0, 23, 0x3c000000
	s_delay_alu instid0(VALU_DEP_2) | instskip(NEXT) | instid1(VALU_DEP_1)
	v_and_b32_e32 v10, 0x80000000, v10
	v_or3_b32 v10, v2, v10, v0
.LBB338_439:                            ;   in Loop: Header=BB338_9 Depth=1
	s_or_b32 exec_lo, exec_lo, s29
.LBB338_440:                            ;   in Loop: Header=BB338_9 Depth=1
	s_delay_alu instid0(SALU_CYCLE_1)
	s_or_b32 exec_lo, exec_lo, s28
.LBB338_441:                            ;   in Loop: Header=BB338_9 Depth=1
	s_delay_alu instid0(SALU_CYCLE_1) | instskip(SKIP_3) | instid1(VALU_DEP_2)
	s_or_b32 exec_lo, exec_lo, s27
	v_dual_mov_b32 v0, 0 :: v_dual_lshrrev_b32 v13, 16, v12
	v_mov_b32_e32 v11, 0
	s_mov_b32 s27, exec_lo
	v_and_b32_e32 v2, 0xff, v13
	s_delay_alu instid0(VALU_DEP_1)
	v_cmpx_ne_u16_e32 0, v2
	s_cbranch_execz .LBB338_449
; %bb.442:                              ;   in Loop: Header=BB338_9 Depth=1
	v_bfrev_b32_e32 v11, 1
	s_mov_b32 s28, exec_lo
	v_cmpx_ne_u16_e32 0x80, v2
	s_cbranch_execz .LBB338_448
; %bb.443:                              ;   in Loop: Header=BB338_9 Depth=1
	v_bfe_u32 v14, v12, 16, 7
	v_mov_b32_e32 v11, 0x7f800001
	s_mov_b32 s29, exec_lo
	s_delay_alu instid0(VALU_DEP_2)
	v_cmpx_ne_u32_e32 0x7f, v14
	s_cbranch_execz .LBB338_447
; %bb.444:                              ;   in Loop: Header=BB338_9 Depth=1
	v_dual_lshrrev_b32 v11, 3, v14 :: v_dual_bitop2_b32 v2, 7, v13 bitop3:0x40
	s_mov_b32 s30, exec_lo
	v_cmpx_gt_u32_e32 8, v14
; %bb.445:                              ;   in Loop: Header=BB338_9 Depth=1
	s_delay_alu instid0(VALU_DEP_2) | instskip(NEXT) | instid1(VALU_DEP_1)
	v_clz_i32_u32_e32 v11, v2
	v_min_u32_e32 v11, 32, v11
	s_delay_alu instid0(VALU_DEP_1) | instskip(NEXT) | instid1(VALU_DEP_1)
	v_subrev_nc_u32_e32 v14, 28, v11
	v_lshlrev_b64_e32 v[14:15], v14, v[2:3]
	s_delay_alu instid0(VALU_DEP_1)
	v_dual_sub_nc_u32 v11, 29, v11 :: v_dual_bitop2_b32 v2, 7, v14 bitop3:0x40
; %bb.446:                              ;   in Loop: Header=BB338_9 Depth=1
	s_or_b32 exec_lo, exec_lo, s30
	s_delay_alu instid0(VALU_DEP_1) | instskip(NEXT) | instid1(VALU_DEP_2)
	v_dual_lshlrev_b32 v13, 24, v13 :: v_dual_lshlrev_b32 v2, 20, v2
	v_lshl_add_u32 v11, v11, 23, 0x3c000000
	s_delay_alu instid0(VALU_DEP_2) | instskip(NEXT) | instid1(VALU_DEP_1)
	v_and_b32_e32 v13, 0x80000000, v13
	v_or3_b32 v11, v2, v13, v11
.LBB338_447:                            ;   in Loop: Header=BB338_9 Depth=1
	s_or_b32 exec_lo, exec_lo, s29
.LBB338_448:                            ;   in Loop: Header=BB338_9 Depth=1
	s_delay_alu instid0(SALU_CYCLE_1)
	s_or_b32 exec_lo, exec_lo, s28
.LBB338_449:                            ;   in Loop: Header=BB338_9 Depth=1
	s_delay_alu instid0(SALU_CYCLE_1) | instskip(NEXT) | instid1(SALU_CYCLE_1)
	s_or_b32 exec_lo, exec_lo, s27
	s_mov_b32 s27, exec_lo
	v_cmpx_lt_u32_e32 0xffffff, v12
	s_cbranch_execz .LBB338_457
; %bb.450:                              ;   in Loop: Header=BB338_9 Depth=1
	v_lshrrev_b32_e32 v13, 24, v12
	v_bfrev_b32_e32 v0, 1
	s_mov_b32 s28, exec_lo
	s_delay_alu instid0(VALU_DEP_2)
	v_cmpx_ne_u32_e32 0x80, v13
	s_cbranch_execz .LBB338_456
; %bb.451:                              ;   in Loop: Header=BB338_9 Depth=1
	v_bfe_u32 v12, v12, 24, 7
	v_mov_b32_e32 v0, 0x7f800001
	s_mov_b32 s29, exec_lo
	s_delay_alu instid0(VALU_DEP_2)
	v_cmpx_ne_u32_e32 0x7f, v12
	s_cbranch_execz .LBB338_455
; %bb.452:                              ;   in Loop: Header=BB338_9 Depth=1
	v_dual_lshrrev_b32 v0, 3, v12 :: v_dual_bitop2_b32 v2, 7, v13 bitop3:0x40
	s_mov_b32 s30, exec_lo
	v_cmpx_gt_u32_e32 8, v12
; %bb.453:                              ;   in Loop: Header=BB338_9 Depth=1
	s_delay_alu instid0(VALU_DEP_2) | instskip(NEXT) | instid1(VALU_DEP_1)
	v_clz_i32_u32_e32 v0, v2
	v_min_u32_e32 v0, 32, v0
	s_delay_alu instid0(VALU_DEP_1) | instskip(NEXT) | instid1(VALU_DEP_1)
	v_subrev_nc_u32_e32 v12, 28, v0
	v_lshlrev_b64_e32 v[14:15], v12, v[2:3]
	s_delay_alu instid0(VALU_DEP_1)
	v_dual_sub_nc_u32 v0, 29, v0 :: v_dual_bitop2_b32 v2, 7, v14 bitop3:0x40
; %bb.454:                              ;   in Loop: Header=BB338_9 Depth=1
	s_or_b32 exec_lo, exec_lo, s30
	s_delay_alu instid0(VALU_DEP_1) | instskip(NEXT) | instid1(VALU_DEP_2)
	v_dual_lshlrev_b32 v12, 24, v13 :: v_dual_lshlrev_b32 v2, 20, v2
	v_lshl_add_u32 v0, v0, 23, 0x3c000000
	s_delay_alu instid0(VALU_DEP_2) | instskip(NEXT) | instid1(VALU_DEP_1)
	v_and_b32_e32 v12, 0x80000000, v12
	v_or3_b32 v0, v2, v12, v0
.LBB338_455:                            ;   in Loop: Header=BB338_9 Depth=1
	s_or_b32 exec_lo, exec_lo, s29
.LBB338_456:                            ;   in Loop: Header=BB338_9 Depth=1
	s_delay_alu instid0(SALU_CYCLE_1)
	s_or_b32 exec_lo, exec_lo, s28
.LBB338_457:                            ;   in Loop: Header=BB338_9 Depth=1
	s_delay_alu instid0(SALU_CYCLE_1)
	s_or_b32 exec_lo, exec_lo, s27
	global_load_b32 v14, v[8:9], off offset:1792
	v_dual_mov_b32 v13, 0 :: v_dual_mov_b32 v12, 0
	s_mov_b32 s27, exec_lo
	s_wait_loadcnt 0x0
	v_and_b32_e32 v2, 0xff, v14
	s_wait_xcnt 0x0
	s_delay_alu instid0(VALU_DEP_1)
	v_cmpx_ne_u16_e32 0, v2
	s_cbranch_execz .LBB338_465
; %bb.458:                              ;   in Loop: Header=BB338_9 Depth=1
	v_bfrev_b32_e32 v12, 1
	s_mov_b32 s28, exec_lo
	v_cmpx_ne_u16_e32 0x80, v2
	s_cbranch_execz .LBB338_464
; %bb.459:                              ;   in Loop: Header=BB338_9 Depth=1
	v_and_b32_e32 v9, 0x7f, v14
	v_mov_b32_e32 v12, 0x7f800001
	s_mov_b32 s29, exec_lo
	s_delay_alu instid0(VALU_DEP_2)
	v_cmpx_ne_u32_e32 0x7f, v9
	s_cbranch_execz .LBB338_463
; %bb.460:                              ;   in Loop: Header=BB338_9 Depth=1
	v_dual_lshrrev_b32 v8, 3, v9 :: v_dual_bitop2_b32 v2, 7, v14 bitop3:0x40
	s_mov_b32 s30, exec_lo
	v_cmpx_gt_u32_e32 8, v9
; %bb.461:                              ;   in Loop: Header=BB338_9 Depth=1
	s_delay_alu instid0(VALU_DEP_2) | instskip(NEXT) | instid1(VALU_DEP_1)
	v_clz_i32_u32_e32 v8, v2
	v_min_u32_e32 v8, 32, v8
	s_delay_alu instid0(VALU_DEP_1) | instskip(SKIP_1) | instid1(VALU_DEP_2)
	v_subrev_nc_u32_e32 v9, 28, v8
	v_sub_nc_u32_e32 v8, 29, v8
	v_lshlrev_b64_e32 v[16:17], v9, v[2:3]
	s_delay_alu instid0(VALU_DEP_1)
	v_and_b32_e32 v2, 7, v16
; %bb.462:                              ;   in Loop: Header=BB338_9 Depth=1
	s_or_b32 exec_lo, exec_lo, s30
	v_lshlrev_b32_e32 v9, 24, v14
	s_delay_alu instid0(VALU_DEP_2) | instskip(SKIP_1) | instid1(VALU_DEP_3)
	v_lshlrev_b32_e32 v2, 20, v2
	v_lshl_add_u32 v8, v8, 23, 0x3c000000
	v_and_b32_e32 v9, 0x80000000, v9
	s_delay_alu instid0(VALU_DEP_1)
	v_or3_b32 v12, v2, v9, v8
.LBB338_463:                            ;   in Loop: Header=BB338_9 Depth=1
	s_or_b32 exec_lo, exec_lo, s29
.LBB338_464:                            ;   in Loop: Header=BB338_9 Depth=1
	s_delay_alu instid0(SALU_CYCLE_1)
	s_or_b32 exec_lo, exec_lo, s28
.LBB338_465:                            ;   in Loop: Header=BB338_9 Depth=1
	s_delay_alu instid0(SALU_CYCLE_1) | instskip(SKIP_2) | instid1(VALU_DEP_1)
	s_or_b32 exec_lo, exec_lo, s27
	v_lshrrev_b16 v2, 8, v14
	s_mov_b32 s27, exec_lo
	v_cmpx_ne_u16_e32 0, v2
	s_cbranch_execz .LBB338_473
; %bb.466:                              ;   in Loop: Header=BB338_9 Depth=1
	v_bfrev_b32_e32 v13, 1
	s_mov_b32 s28, exec_lo
	v_cmpx_ne_u16_e32 0x80, v2
	s_cbranch_execz .LBB338_472
; %bb.467:                              ;   in Loop: Header=BB338_9 Depth=1
	v_and_b32_e32 v2, 0xffff, v2
	v_mov_b32_e32 v13, 0x7f800001
	s_mov_b32 s29, exec_lo
	s_delay_alu instid0(VALU_DEP_2) | instskip(NEXT) | instid1(VALU_DEP_1)
	v_and_b32_e32 v9, 0x7f, v2
	v_cmpx_ne_u32_e32 0x7f, v9
	s_cbranch_execz .LBB338_471
; %bb.468:                              ;   in Loop: Header=BB338_9 Depth=1
	v_dual_lshrrev_b32 v8, 3, v9 :: v_dual_bitop2_b32 v2, 7, v2 bitop3:0x40
	s_mov_b32 s30, exec_lo
	v_cmpx_gt_u32_e32 8, v9
; %bb.469:                              ;   in Loop: Header=BB338_9 Depth=1
	s_delay_alu instid0(VALU_DEP_2) | instskip(NEXT) | instid1(VALU_DEP_1)
	v_clz_i32_u32_e32 v8, v2
	v_min_u32_e32 v8, 32, v8
	s_delay_alu instid0(VALU_DEP_1) | instskip(SKIP_1) | instid1(VALU_DEP_2)
	v_subrev_nc_u32_e32 v9, 28, v8
	v_sub_nc_u32_e32 v8, 29, v8
	v_lshlrev_b64_e32 v[16:17], v9, v[2:3]
	s_delay_alu instid0(VALU_DEP_1)
	v_and_b32_e32 v2, 7, v16
; %bb.470:                              ;   in Loop: Header=BB338_9 Depth=1
	s_or_b32 exec_lo, exec_lo, s30
	v_lshlrev_b32_e32 v9, 16, v14
	s_delay_alu instid0(VALU_DEP_2) | instskip(SKIP_1) | instid1(VALU_DEP_3)
	v_lshlrev_b32_e32 v2, 20, v2
	v_lshl_add_u32 v8, v8, 23, 0x3c000000
	v_and_b32_e32 v9, 0x80000000, v9
	s_delay_alu instid0(VALU_DEP_1)
	v_or3_b32 v13, v2, v9, v8
.LBB338_471:                            ;   in Loop: Header=BB338_9 Depth=1
	s_or_b32 exec_lo, exec_lo, s29
.LBB338_472:                            ;   in Loop: Header=BB338_9 Depth=1
	s_delay_alu instid0(SALU_CYCLE_1)
	s_or_b32 exec_lo, exec_lo, s28
.LBB338_473:                            ;   in Loop: Header=BB338_9 Depth=1
	s_delay_alu instid0(SALU_CYCLE_1) | instskip(SKIP_3) | instid1(VALU_DEP_2)
	s_or_b32 exec_lo, exec_lo, s27
	v_dual_mov_b32 v8, 0 :: v_dual_lshrrev_b32 v15, 16, v14
	v_mov_b32_e32 v9, 0
	s_mov_b32 s27, exec_lo
	v_and_b32_e32 v2, 0xff, v15
	s_delay_alu instid0(VALU_DEP_1)
	v_cmpx_ne_u16_e32 0, v2
	s_cbranch_execz .LBB338_481
; %bb.474:                              ;   in Loop: Header=BB338_9 Depth=1
	v_bfrev_b32_e32 v9, 1
	s_mov_b32 s28, exec_lo
	v_cmpx_ne_u16_e32 0x80, v2
	s_cbranch_execz .LBB338_480
; %bb.475:                              ;   in Loop: Header=BB338_9 Depth=1
	v_bfe_u32 v16, v14, 16, 7
	v_mov_b32_e32 v9, 0x7f800001
	s_mov_b32 s29, exec_lo
	s_delay_alu instid0(VALU_DEP_2)
	v_cmpx_ne_u32_e32 0x7f, v16
	s_cbranch_execz .LBB338_479
; %bb.476:                              ;   in Loop: Header=BB338_9 Depth=1
	v_dual_lshrrev_b32 v9, 3, v16 :: v_dual_bitop2_b32 v2, 7, v15 bitop3:0x40
	s_mov_b32 s30, exec_lo
	v_cmpx_gt_u32_e32 8, v16
; %bb.477:                              ;   in Loop: Header=BB338_9 Depth=1
	s_delay_alu instid0(VALU_DEP_2) | instskip(NEXT) | instid1(VALU_DEP_1)
	v_clz_i32_u32_e32 v9, v2
	v_min_u32_e32 v9, 32, v9
	s_delay_alu instid0(VALU_DEP_1) | instskip(NEXT) | instid1(VALU_DEP_1)
	v_subrev_nc_u32_e32 v16, 28, v9
	v_lshlrev_b64_e32 v[16:17], v16, v[2:3]
	s_delay_alu instid0(VALU_DEP_1)
	v_dual_sub_nc_u32 v9, 29, v9 :: v_dual_bitop2_b32 v2, 7, v16 bitop3:0x40
; %bb.478:                              ;   in Loop: Header=BB338_9 Depth=1
	s_or_b32 exec_lo, exec_lo, s30
	s_delay_alu instid0(VALU_DEP_1) | instskip(NEXT) | instid1(VALU_DEP_2)
	v_dual_lshlrev_b32 v15, 24, v15 :: v_dual_lshlrev_b32 v2, 20, v2
	v_lshl_add_u32 v9, v9, 23, 0x3c000000
	s_delay_alu instid0(VALU_DEP_2) | instskip(NEXT) | instid1(VALU_DEP_1)
	v_and_b32_e32 v15, 0x80000000, v15
	v_or3_b32 v9, v2, v15, v9
.LBB338_479:                            ;   in Loop: Header=BB338_9 Depth=1
	s_or_b32 exec_lo, exec_lo, s29
.LBB338_480:                            ;   in Loop: Header=BB338_9 Depth=1
	s_delay_alu instid0(SALU_CYCLE_1)
	s_or_b32 exec_lo, exec_lo, s28
.LBB338_481:                            ;   in Loop: Header=BB338_9 Depth=1
	s_delay_alu instid0(SALU_CYCLE_1) | instskip(NEXT) | instid1(SALU_CYCLE_1)
	s_or_b32 exec_lo, exec_lo, s27
	s_mov_b32 s27, exec_lo
	v_cmpx_lt_u32_e32 0xffffff, v14
	s_cbranch_execz .LBB338_489
; %bb.482:                              ;   in Loop: Header=BB338_9 Depth=1
	v_lshrrev_b32_e32 v15, 24, v14
	v_bfrev_b32_e32 v8, 1
	s_mov_b32 s28, exec_lo
	s_delay_alu instid0(VALU_DEP_2)
	v_cmpx_ne_u32_e32 0x80, v15
	s_cbranch_execz .LBB338_488
; %bb.483:                              ;   in Loop: Header=BB338_9 Depth=1
	v_bfe_u32 v14, v14, 24, 7
	v_mov_b32_e32 v8, 0x7f800001
	s_mov_b32 s29, exec_lo
	s_delay_alu instid0(VALU_DEP_2)
	v_cmpx_ne_u32_e32 0x7f, v14
	s_cbranch_execz .LBB338_487
; %bb.484:                              ;   in Loop: Header=BB338_9 Depth=1
	v_dual_lshrrev_b32 v8, 3, v14 :: v_dual_bitop2_b32 v2, 7, v15 bitop3:0x40
	s_mov_b32 s30, exec_lo
	v_cmpx_gt_u32_e32 8, v14
; %bb.485:                              ;   in Loop: Header=BB338_9 Depth=1
	s_delay_alu instid0(VALU_DEP_2) | instskip(NEXT) | instid1(VALU_DEP_1)
	v_clz_i32_u32_e32 v8, v2
	v_min_u32_e32 v8, 32, v8
	s_delay_alu instid0(VALU_DEP_1) | instskip(SKIP_1) | instid1(VALU_DEP_2)
	v_subrev_nc_u32_e32 v14, 28, v8
	v_sub_nc_u32_e32 v8, 29, v8
	v_lshlrev_b64_e32 v[16:17], v14, v[2:3]
	s_delay_alu instid0(VALU_DEP_1)
	v_and_b32_e32 v2, 7, v16
; %bb.486:                              ;   in Loop: Header=BB338_9 Depth=1
	s_or_b32 exec_lo, exec_lo, s30
	s_delay_alu instid0(VALU_DEP_1) | instskip(SKIP_1) | instid1(VALU_DEP_2)
	v_dual_lshlrev_b32 v14, 24, v15 :: v_dual_lshlrev_b32 v2, 20, v2
	v_lshl_add_u32 v8, v8, 23, 0x3c000000
	v_and_b32_e32 v14, 0x80000000, v14
	s_delay_alu instid0(VALU_DEP_1)
	v_or3_b32 v8, v2, v14, v8
.LBB338_487:                            ;   in Loop: Header=BB338_9 Depth=1
	s_or_b32 exec_lo, exec_lo, s29
.LBB338_488:                            ;   in Loop: Header=BB338_9 Depth=1
	s_delay_alu instid0(SALU_CYCLE_1)
	s_or_b32 exec_lo, exec_lo, s28
.LBB338_489:                            ;   in Loop: Header=BB338_9 Depth=1
	s_delay_alu instid0(SALU_CYCLE_1)
	s_or_b32 exec_lo, exec_lo, s27
	s_wait_kmcnt 0x0
	v_fma_mixlo_bf16 v15, s5, v35, 0
	v_fma_mixlo_bf16 v35, s5, v122, 0
	scratch_load_b32 v122, off, off offset:16 ; 4-byte Folded Reload
	v_fma_mixlo_bf16 v85, s5, v85, 0
	v_fma_mixlo_bf16 v84, s5, v84, 0
	;; [unrolled: 1-line block ×5, first 2 shown]
	s_delay_alu instid0(VALU_DEP_4) | instskip(NEXT) | instid1(VALU_DEP_4)
	v_dual_lshlrev_b32 v85, 16, v85 :: v_dual_lshlrev_b32 v84, 16, v84
	v_lshlrev_b32_e32 v87, 16, v87
	v_fma_mixlo_bf16 v81, s5, v81, 0
	v_fma_mixlo_bf16 v89, s5, v89, 0
	;; [unrolled: 1-line block ×42, first 2 shown]
	s_wait_loadcnt 0x0
	v_dual_mul_f32 v85, v122, v85 :: v_dual_lshlrev_b32 v86, 16, v86
	scratch_load_b32 v122, off, off offset:20 ; 4-byte Folded Reload
	s_wait_loadcnt 0x0
	v_mul_f32_e32 v84, v122, v84
	scratch_load_b32 v122, off, off offset:24 ; 4-byte Folded Reload
	s_wait_loadcnt 0x0
	v_mul_f32_e32 v87, v122, v87
	scratch_load_b32 v122, off, off         ; 4-byte Folded Reload
	s_wait_loadcnt 0x0
	v_fma_mix_f32_bf16 v80, v122, v80, v85 op_sel_hi:[0,1,0]
	scratch_load_b32 v85, off, off offset:4 ; 4-byte Folded Reload
	v_fma_mix_f32_bf16 v80, v20, v88, v80 op_sel_hi:[0,1,0]
	s_delay_alu instid0(VALU_DEP_1) | instskip(NEXT) | instid1(VALU_DEP_1)
	v_fma_mix_f32_bf16 v80, v24, v93, v80 op_sel_hi:[0,1,0]
	v_fma_mix_f32_bf16 v80, v28, v97, v80 op_sel_hi:[0,1,0]
	s_delay_alu instid0(VALU_DEP_1) | instskip(NEXT) | instid1(VALU_DEP_1)
	v_fma_mix_f32_bf16 v80, v32, v101, v80 op_sel_hi:[0,1,0]
	;; [unrolled: 3-line block ×5, first 2 shown]
	v_fma_mix_f32_bf16 v15, v63, v15, v18 op_sel_hi:[0,1,0]
	s_delay_alu instid0(VALU_DEP_1)
	v_fma_mix_f32_bf16 v13, v67, v13, v15 op_sel_hi:[0,1,0]
	s_wait_loadcnt 0x0
	v_fma_mix_f32_bf16 v81, v85, v81, v84 op_sel_hi:[0,1,0]
	v_mul_f32_e32 v84, v19, v86
	s_clause 0x1
	scratch_load_b32 v85, off, off offset:8
	scratch_load_b32 v86, off, off offset:12
	v_fma_mix_f32_bf16 v81, v21, v89, v81 op_sel_hi:[0,1,0]
	s_delay_alu instid0(VALU_DEP_1) | instskip(NEXT) | instid1(VALU_DEP_1)
	v_fma_mix_f32_bf16 v81, v25, v94, v81 op_sel_hi:[0,1,0]
	v_fma_mix_f32_bf16 v81, v29, v98, v81 op_sel_hi:[0,1,0]
	s_delay_alu instid0(VALU_DEP_1) | instskip(NEXT) | instid1(VALU_DEP_1)
	v_fma_mix_f32_bf16 v81, v36, v102, v81 op_sel_hi:[0,1,0]
	;; [unrolled: 3-line block ×4, first 2 shown]
	v_fma_mix_f32_bf16 v35, v56, v35, v81 op_sel_hi:[0,1,0]
	v_fma_mixlo_bf16 v81, s5, v120, 0
	s_delay_alu instid0(VALU_DEP_2) | instskip(SKIP_1) | instid1(VALU_DEP_2)
	v_fma_mix_f32_bf16 v17, v60, v17, v35 op_sel_hi:[0,1,0]
	v_fma_mixlo_bf16 v35, s5, v124, 0
	v_fma_mix_f32_bf16 v14, v64, v14, v17 op_sel_hi:[0,1,0]
	v_fma_mixlo_bf16 v17, s5, v34, 0
	s_delay_alu instid0(VALU_DEP_2) | instskip(NEXT) | instid1(VALU_DEP_1)
	v_fma_mix_f32_bf16 v10, v68, v10, v14 op_sel_hi:[0,1,0]
	v_fma_mix_f32_bf16 v2, v72, v2, v10 op_sel_hi:[0,1,0]
	s_wait_loadcnt 0x1
	v_fma_mix_f32_bf16 v83, v85, v83, v87 op_sel_hi:[0,1,0]
	v_fma_mixlo_bf16 v85, s5, v90, 0
	s_wait_loadcnt 0x0
	v_fma_mix_f32_bf16 v82, v86, v82, v84 op_sel_hi:[0,1,0]
	v_fma_mixlo_bf16 v84, s5, v92, 0
	v_fma_mix_f32_bf16 v83, v22, v91, v83 op_sel_hi:[0,1,0]
	s_delay_alu instid0(VALU_DEP_3) | instskip(SKIP_1) | instid1(VALU_DEP_3)
	v_fma_mix_f32_bf16 v82, v23, v85, v82 op_sel_hi:[0,1,0]
	v_fma_mixlo_bf16 v85, s5, v96, 0
	v_fma_mix_f32_bf16 v83, v26, v95, v83 op_sel_hi:[0,1,0]
	s_delay_alu instid0(VALU_DEP_3) | instskip(SKIP_1) | instid1(VALU_DEP_3)
	;; [unrolled: 4-line block ×6, first 2 shown]
	v_fma_mix_f32_bf16 v82, v46, v84, v82 op_sel_hi:[0,1,0]
	v_fma_mixlo_bf16 v84, s5, v116, 0
	v_fma_mix_f32_bf16 v83, v49, v115, v83 op_sel_hi:[0,1,0]
	s_delay_alu instid0(VALU_DEP_3) | instskip(NEXT) | instid1(VALU_DEP_2)
	v_fma_mix_f32_bf16 v82, v50, v85, v82 op_sel_hi:[0,1,0]
	v_fma_mix_f32_bf16 v83, v53, v119, v83 op_sel_hi:[0,1,0]
	s_delay_alu instid0(VALU_DEP_2) | instskip(NEXT) | instid1(VALU_DEP_2)
	v_fma_mix_f32_bf16 v82, v54, v84, v82 op_sel_hi:[0,1,0]
	v_fma_mix_f32_bf16 v33, v57, v33, v83 op_sel_hi:[0,1,0]
	s_delay_alu instid0(VALU_DEP_2) | instskip(NEXT) | instid1(VALU_DEP_2)
	;; [unrolled: 3-line block ×4, first 2 shown]
	v_fma_mix_f32_bf16 v14, v66, v17, v18 op_sel_hi:[0,1,0]
	v_fma_mix_f32_bf16 v1, v69, v11, v1 op_sel_hi:[0,1,0]
	;; [unrolled: 1-line block ×3, first 2 shown]
	s_delay_alu instid0(VALU_DEP_3) | instskip(NEXT) | instid1(VALU_DEP_3)
	v_fma_mix_f32_bf16 v0, v70, v0, v14 op_sel_hi:[0,1,0]
	v_fma_mix_f32_bf16 v1, v73, v9, v1 op_sel_hi:[0,1,0]
	s_delay_alu instid0(VALU_DEP_2) | instskip(NEXT) | instid1(VALU_DEP_4)
	v_fma_mix_f32_bf16 v0, v74, v8, v0 op_sel_hi:[0,1,0]
	v_add_f32_e32 v2, v11, v2
	s_delay_alu instid0(VALU_DEP_1) | instskip(NEXT) | instid1(VALU_DEP_1)
	v_add_f32_e32 v1, v2, v1
	v_add_f32_e32 v0, v1, v0
	ds_bpermute_b32 v1, v76, v0
	s_wait_xcnt 0x0
	s_and_saveexec_b32 s27, vcc_lo
	s_cbranch_execz .LBB338_8
; %bb.490:                              ;   in Loop: Header=BB338_9 Depth=1
	s_wait_dscnt 0x0
	v_add_f32_e32 v0, v0, v1
	v_add_nc_u32_e32 v2, s26, v77
	v_cmp_gt_i32_e64 s4, s23, v77
	s_delay_alu instid0(VALU_DEP_2) | instskip(NEXT) | instid1(VALU_DEP_1)
	v_cvt_f32_i32_e32 v2, v2
	v_mul_f32_e32 v2, s18, v2
	s_delay_alu instid0(VALU_DEP_1) | instskip(NEXT) | instid1(VALU_DEP_1)
	v_dual_cndmask_b32 v1, 0, v2, s3 :: v_dual_max_num_f32 v2, v75, v75
	v_fmac_f32_e32 v1, s19, v0
	s_delay_alu instid0(VALU_DEP_1) | instskip(NEXT) | instid1(VALU_DEP_1)
	v_dual_max_num_f32 v0, v2, v1 :: v_dual_cndmask_b32 v1, 0, v1, s4
	v_cndmask_b32_e64 v75, v75, v0, s4
	ds_store_b32 v78, v1
	s_branch .LBB338_8
.LBB338_491:
	s_or_b32 exec_lo, exec_lo, s11
	s_clause 0x4
	scratch_load_b32 v24, off, off offset:28
	scratch_load_b32 v25, off, off offset:32
	;; [unrolled: 1-line block ×5, first 2 shown]
	s_wait_loadcnt 0x4
	v_dual_mov_b32 v11, 32 :: v_dual_lshrrev_b32 v96, 1, v24
.LBB338_492:
	s_wait_xcnt 0x0
	s_or_b32 exec_lo, exec_lo, s24
	s_wait_loadcnt 0x0
	v_dual_max_num_f32 v5, v75, v75 :: v_dual_bitop2_b32 v0, 16, v34 bitop3:0x14
	s_wait_kmcnt 0x0
	s_clause 0x1
	s_load_b64 s[4:5], s[0:1], 0x0
	s_load_b64 s[18:19], s[0:1], 0x18
	s_wait_dscnt 0x0
	v_xor_b32_e32 v1, 8, v34
	v_xor_b32_e32 v6, 2, v34
	v_cmp_lt_i32_e32 vcc_lo, v0, v11
	v_cndmask_b32_e32 v0, v34, v0, vcc_lo
	s_delay_alu instid0(VALU_DEP_4) | instskip(NEXT) | instid1(VALU_DEP_2)
	v_cmp_lt_i32_e32 vcc_lo, v1, v11
	v_dual_cndmask_b32 v1, v34, v1 :: v_dual_lshlrev_b32 v2, 2, v0
	ds_bpermute_b32 v0, v2, v75
	s_wait_dscnt 0x0
	v_dual_lshlrev_b32 v4, 2, v1 :: v_dual_max_num_f32 v0, v0, v0
	s_delay_alu instid0(VALU_DEP_1) | instskip(SKIP_4) | instid1(VALU_DEP_2)
	v_dual_max_num_f32 v0, v5, v0 :: v_dual_bitop2_b32 v5, 4, v34 bitop3:0x14
	ds_bpermute_b32 v1, v4, v0
	v_cmp_lt_i32_e32 vcc_lo, v5, v11
	v_cndmask_b32_e32 v5, v34, v5, vcc_lo
	v_cmp_lt_i32_e32 vcc_lo, v6, v11
	v_dual_cndmask_b32 v6, v34, v6 :: v_dual_lshlrev_b32 v5, 2, v5
	s_wait_dscnt 0x0
	v_max_num_f32_e32 v1, v1, v1
	s_delay_alu instid0(VALU_DEP_1) | instskip(SKIP_3) | instid1(VALU_DEP_1)
	v_max_num_f32_e32 v0, v0, v1
	ds_bpermute_b32 v1, v5, v0
	s_wait_dscnt 0x0
	v_max_num_f32_e32 v1, v1, v1
	v_dual_max_num_f32 v7, v0, v1 :: v_dual_bitop2_b32 v0, 31, v24 bitop3:0x40
	v_dual_lshlrev_b32 v1, 2, v6 :: v_dual_lshlrev_b32 v6, 2, v79
	s_delay_alu instid0(VALU_DEP_2)
	v_cmp_eq_u32_e32 vcc_lo, 0, v0
	ds_bpermute_b32 v8, v1, v7
	s_wait_xcnt 0x0
	s_and_saveexec_b32 s0, vcc_lo
	s_cbranch_execz .LBB338_494
; %bb.493:
	s_wait_dscnt 0x0
	v_dual_max_num_f32 v8, v8, v8 :: v_dual_max_num_f32 v7, v7, v7
	s_delay_alu instid0(VALU_DEP_1)
	v_max_num_f32_e32 v7, v7, v8
	ds_store_b32 v6, v7 offset:240
.LBB338_494:
	s_or_b32 exec_lo, exec_lo, s0
	v_cmp_gt_u32_e64 s0, 4, v0
	s_wait_dscnt 0x0
	v_dual_mov_b32 v8, 0xff7fffff :: v_dual_lshlrev_b32 v7, 2, v0
	s_wait_storecnt 0x0
	s_barrier_signal -1
	s_barrier_wait -1
	s_and_saveexec_b32 s1, s0
; %bb.495:
	ds_load_b32 v8, v7 offset:240
; %bb.496:
	s_or_b32 exec_lo, exec_lo, s1
	s_wait_dscnt 0x0
	ds_bpermute_b32 v9, v1, v8
	v_dual_max_num_f32 v8, v8, v8 :: v_dual_bitop2_b32 v10, 1, v34 bitop3:0x14
	v_lshlrev_b32_e32 v3, 2, v3
	s_delay_alu instid0(VALU_DEP_2) | instskip(NEXT) | instid1(VALU_DEP_1)
	v_cmp_lt_i32_e64 s1, v10, v11
	v_cndmask_b32_e64 v10, v34, v10, s1
	s_lshl_b32 s1, s13, 4
	s_delay_alu instid0(SALU_CYCLE_1) | instskip(NEXT) | instid1(SALU_CYCLE_1)
	s_min_i32 s11, s1, s23
	v_cmp_gt_i32_e64 s1, s11, v24
	s_wait_dscnt 0x0
	v_dual_max_num_f32 v9, v9, v9 :: v_dual_lshlrev_b32 v37, 2, v10
	s_delay_alu instid0(VALU_DEP_1) | instskip(SKIP_3) | instid1(VALU_DEP_1)
	v_max_num_f32_e32 v8, v8, v9
	ds_bpermute_b32 v9, v37, v8
	s_wait_dscnt 0x0
	v_max_num_f32_e32 v9, v9, v9
	v_max_num_f32_e32 v8, v8, v9
	ds_bpermute_b32 v8, v3, v8
	v_mov_b32_e32 v3, 0
	s_and_saveexec_b32 s24, s1
	s_cbranch_execz .LBB338_500
; %bb.497:
	v_lshl_add_u32 v9, v24, 2, 0x110
	v_dual_mov_b32 v3, 0 :: v_dual_mov_b32 v10, v24
	s_mov_b32 s25, 0
.LBB338_498:                            ; =>This Inner Loop Header: Depth=1
	ds_load_b32 v11, v9
	v_add_nc_u32_e32 v10, 0x80, v10
	s_delay_alu instid0(VALU_DEP_1) | instskip(SKIP_3) | instid1(VALU_DEP_1)
	v_cmp_le_i32_e64 s3, s11, v10
	s_or_b32 s25, s3, s25
	s_wait_dscnt 0x0
	v_sub_f32_e32 v11, v11, v8
	v_mul_f32_e32 v11, 0x3fb8aa3b, v11
	s_delay_alu instid0(VALU_DEP_1)
	v_exp_f32_e32 v11, v11
	ds_store_b32 v9, v11
	v_nop
	v_add_f32_e32 v3, v3, v11
	v_add_nc_u32_e32 v9, 0x200, v9
	s_and_not1_b32 exec_lo, exec_lo, s25
	s_cbranch_execnz .LBB338_498
; %bb.499:
	s_or_b32 exec_lo, exec_lo, s25
.LBB338_500:
	s_delay_alu instid0(SALU_CYCLE_1)
	s_or_b32 exec_lo, exec_lo, s24
	ds_bpermute_b32 v2, v2, v3
	s_wait_dscnt 0x0
	v_add_f32_e32 v2, v3, v2
	ds_bpermute_b32 v3, v4, v2
	s_wait_dscnt 0x0
	v_add_f32_e32 v2, v2, v3
	;; [unrolled: 3-line block ×5, first 2 shown]
	s_and_saveexec_b32 s3, vcc_lo
; %bb.501:
	ds_store_b32 v6, v2 offset:256
; %bb.502:
	s_or_b32 exec_lo, exec_lo, s3
	s_wait_dscnt 0x0
	s_barrier_signal -1
	s_barrier_wait -1
	s_and_saveexec_b32 s3, s0
; %bb.503:
	ds_load_b32 v2, v7 offset:256
; %bb.504:
	s_or_b32 exec_lo, exec_lo, s3
	s_wait_dscnt 0x0
	ds_bpermute_b32 v1, v1, v2
	s_wait_dscnt 0x0
	v_dual_lshlrev_b32 v3, 2, v34 :: v_dual_add_f32 v1, v2, v1
	ds_bpermute_b32 v2, v37, v1
	s_wait_dscnt 0x0
	v_add_f32_e32 v1, v1, v2
	v_and_b32_e32 v2, 0xffffff80, v3
	ds_bpermute_b32 v1, v2, v1
	s_and_saveexec_b32 s0, s1
	s_cbranch_execz .LBB338_517
; %bb.505:
	s_wait_dscnt 0x0
	v_add_f32_e32 v1, 0x358637bd, v1
	s_mov_b32 s3, -1
	s_mov_b32 s1, exec_lo
	s_delay_alu instid0(VALU_DEP_1) | instskip(NEXT) | instid1(VALU_DEP_1)
	v_div_scale_f32 v2, null, v1, v1, 1.0
	v_rcp_f32_e32 v4, v2
	v_nop
	s_delay_alu instid0(TRANS32_DEP_1) | instskip(NEXT) | instid1(VALU_DEP_1)
	v_fma_f32 v3, -v2, v4, 1.0
	v_fmac_f32_e32 v4, v3, v4
	v_div_scale_f32 v5, vcc_lo, 1.0, v1, 1.0
	s_delay_alu instid0(VALU_DEP_1) | instskip(NEXT) | instid1(VALU_DEP_1)
	v_mul_f32_e32 v6, v5, v4
	v_fma_f32 v3, -v2, v6, v5
	s_delay_alu instid0(VALU_DEP_1) | instskip(SKIP_1) | instid1(VALU_DEP_2)
	v_fmac_f32_e32 v6, v3, v4
	v_xad_u32 v3, v24, -1, s11
	v_fma_f32 v2, -v2, v6, v5
	s_delay_alu instid0(VALU_DEP_1) | instskip(NEXT) | instid1(VALU_DEP_1)
	v_div_fmas_f32 v2, v2, v4, v6
	v_div_fixup_f32 v2, v2, v1, 1.0
	v_mov_b32_e32 v1, v24
	v_cmpx_lt_u32_e32 0x7f, v3
	s_cbranch_execz .LBB338_514
; %bb.506:
	s_delay_alu instid0(VALU_DEP_3) | instskip(NEXT) | instid1(VALU_DEP_1)
	v_dual_lshrrev_b32 v1, 7, v3 :: v_dual_mov_b32 v3, v2
	v_dual_mov_b32 v7, 0 :: v_dual_add_nc_u32 v4, -1, v1
	s_delay_alu instid0(VALU_DEP_1) | instskip(SKIP_1) | instid1(VALU_DEP_2)
	v_lshrrev_b32_e32 v5, 1, v4
	v_cmp_lt_u32_e32 vcc_lo, 13, v4
	v_add_nc_u32_e32 v4, 1, v5
	s_and_saveexec_b32 s3, vcc_lo
	s_cbranch_execz .LBB338_510
; %bb.507:
	s_delay_alu instid0(VALU_DEP_1)
	v_and_b32_e32 v5, -8, v4
	v_lshl_add_u32 v6, v24, 2, 0x110
	s_mov_b32 s24, 0
	s_mov_b32 s25, 0
.LBB338_508:                            ; =>This Inner Loop Header: Depth=1
	ds_load_2addr_stride64_b32 v[8:9], v6 offset1:2
	ds_load_2addr_stride64_b32 v[10:11], v6 offset0:4 offset1:6
	ds_load_2addr_stride64_b32 v[12:13], v6 offset0:8 offset1:10
	;; [unrolled: 1-line block ×7, first 2 shown]
	s_add_co_i32 s25, s25, 16
	s_delay_alu instid0(SALU_CYCLE_1) | instskip(NEXT) | instid1(VALU_DEP_1)
	v_dual_add_nc_u32 v5, -8, v5 :: v_dual_mov_b32 v7, s25
	v_cmp_eq_u32_e32 vcc_lo, 0, v5
	s_or_b32 s24, vcc_lo, s24
	s_wait_dscnt 0x7
	v_pk_mul_f32 v[8:9], v[2:3], v[8:9]
	s_wait_dscnt 0x6
	v_pk_mul_f32 v[10:11], v[2:3], v[10:11]
	;; [unrolled: 2-line block ×8, first 2 shown]
	ds_store_2addr_stride64_b32 v6, v8, v9 offset1:2
	ds_store_2addr_stride64_b32 v6, v10, v11 offset0:4 offset1:6
	ds_store_2addr_stride64_b32 v6, v12, v13 offset0:8 offset1:10
	;; [unrolled: 1-line block ×7, first 2 shown]
	v_add_nc_u32_e32 v6, 0x2000, v6
	s_and_not1_b32 exec_lo, exec_lo, s24
	s_cbranch_execnz .LBB338_508
; %bb.509:
	s_or_b32 exec_lo, exec_lo, s24
.LBB338_510:
	s_delay_alu instid0(SALU_CYCLE_1) | instskip(NEXT) | instid1(VALU_DEP_1)
	s_or_b32 exec_lo, exec_lo, s3
	v_and_b32_e32 v4, 7, v4
	s_mov_b32 s24, 0
	s_mov_b32 s3, exec_lo
	s_delay_alu instid0(VALU_DEP_1)
	v_cmpx_ne_u32_e32 0, v4
	s_cbranch_execz .LBB338_513
; %bb.511:
	v_dual_lshlrev_b32 v5, 9, v7 :: v_dual_lshlrev_b32 v6, 2, v24
	s_delay_alu instid0(VALU_DEP_1)
	v_add3_u32 v5, v5, v6, 0x110
.LBB338_512:                            ; =>This Inner Loop Header: Depth=1
	ds_load_2addr_stride64_b32 v[6:7], v5 offset1:2
	v_add_nc_u32_e32 v4, -1, v4
	s_delay_alu instid0(VALU_DEP_1)
	v_cmp_eq_u32_e32 vcc_lo, 0, v4
	s_or_b32 s24, vcc_lo, s24
	s_wait_dscnt 0x0
	v_pk_mul_f32 v[6:7], v[2:3], v[6:7]
	ds_store_2addr_stride64_b32 v5, v6, v7 offset1:2
	v_add_nc_u32_e32 v5, 0x400, v5
	s_and_not1_b32 exec_lo, exec_lo, s24
	s_cbranch_execnz .LBB338_512
.LBB338_513:
	s_or_b32 exec_lo, exec_lo, s3
	v_add_nc_u32_e32 v1, 1, v1
	s_delay_alu instid0(VALU_DEP_1) | instskip(NEXT) | instid1(VALU_DEP_1)
	v_and_b32_e32 v3, 0x3fffffe, v1
	v_cmp_ne_u32_e32 vcc_lo, v1, v3
	v_lshl_add_u32 v1, v3, 7, v24
	s_or_not1_b32 s3, vcc_lo, exec_lo
.LBB338_514:
	s_or_b32 exec_lo, exec_lo, s1
	s_delay_alu instid0(SALU_CYCLE_1)
	s_and_b32 exec_lo, exec_lo, s3
	s_cbranch_execz .LBB338_517
; %bb.515:
	v_lshl_add_u32 v3, v1, 2, 0x110
	s_mov_b32 s1, 0
.LBB338_516:                            ; =>This Inner Loop Header: Depth=1
	ds_load_b32 v4, v3
	s_wait_dscnt 0x0
	v_dual_mul_f32 v4, v2, v4 :: v_dual_add_nc_u32 v1, 0x80, v1
	s_delay_alu instid0(VALU_DEP_1) | instskip(SKIP_3) | instid1(SALU_CYCLE_1)
	v_cmp_le_i32_e32 vcc_lo, s11, v1
	ds_store_b32 v3, v4
	v_add_nc_u32_e32 v3, 0x200, v3
	s_or_b32 s1, vcc_lo, s1
	s_and_not1_b32 exec_lo, exec_lo, s1
	s_cbranch_execnz .LBB338_516
.LBB338_517:
	s_or_b32 exec_lo, exec_lo, s0
	v_lshrrev_b32_e32 v36, 1, v0
	s_wait_dscnt 0x0
	s_barrier_signal -1
	s_barrier_wait -1
	s_and_saveexec_b32 s0, s2
	s_delay_alu instid0(SALU_CYCLE_1)
	s_xor_b32 s0, exec_lo, s0
; %bb.518:
	v_lshrrev_b32_e32 v36, 1, v0
                                        ; implicit-def: $vgpr33
; %bb.519:
	s_or_saveexec_b32 s24, s0
	v_dual_mov_b32 v11, 0 :: v_dual_mov_b32 v10, 0
	v_dual_mov_b32 v13, 0 :: v_dual_mov_b32 v12, 0
	;; [unrolled: 1-line block ×4, first 2 shown]
	s_xor_b32 exec_lo, exec_lo, s24
	s_cbranch_execz .LBB338_1021
; %bb.520:
	v_dual_mov_b32 v97, v24 :: v_dual_lshlrev_b32 v0, 3, v24
	s_load_b32 s25, s[6:7], 0x0
	v_mov_b32_e32 v19, 0
	v_or_b32_e32 v1, 0x70, v36
	v_dual_mov_b32 v98, v25 :: v_dual_lshlrev_b32 v2, 5, v25
	v_and_b32_e32 v0, 8, v0
	v_and_b32_e32 v18, 0x7c, v33
	s_lshl_b64 s[0:1], s[14:15], 2
	v_mov_b32_e32 v21, v19
	v_cmp_gt_u32_e32 vcc_lo, 0x78, v1
	v_lshl_or_b32 v22, v1, 4, v0
	v_lshlrev_b32_e32 v1, 4, v79
	v_lshl_or_b32 v2, v79, 6, v2
	s_add_nc_u64 s[0:1], s[16:17], s[0:1]
	v_lshl_or_b32 v20, v36, 4, v0
	v_add_nc_u64_e32 v[24:25], s[0:1], v[18:19]
	v_dual_mov_b32 v23, v19 :: v_dual_mov_b32 v11, 0
	v_or3_b32 v38, v1, v0, 7
	v_dual_mov_b32 v10, 0 :: v_dual_add_nc_u32 v39, 0x110, v2
	v_dual_mov_b32 v13, 0 :: v_dual_mov_b32 v12, 0
	v_dual_mov_b32 v15, 0 :: v_dual_mov_b32 v14, 0
	;; [unrolled: 1-line block ×4, first 2 shown]
	s_ashr_i32 s11, s10, 31
	s_mov_b64 s[2:3], 0xffffffffffffff
	s_wait_kmcnt 0x0
	s_add_nc_u64 s[6:7], s[18:19], s[10:11]
	s_add_co_i32 s11, s13, -1
	s_mov_b32 s10, 0
	s_branch .LBB338_523
.LBB338_521:                            ;   in Loop: Header=BB338_523 Depth=1
	s_or_b32 exec_lo, exec_lo, s1
	v_perm_b32 v5, v18, v26, 0x5040100
	v_perm_b32 v4, v4, v9, 0x5040100
	;; [unrolled: 1-line block ×4, first 2 shown]
	s_delay_alu instid0(VALU_DEP_4) | instskip(NEXT) | instid1(VALU_DEP_4)
	v_pk_mul_bf16 v3, v28, v5
	v_pk_mul_bf16 v4, v8, v4
	s_delay_alu instid0(VALU_DEP_4) | instskip(NEXT) | instid1(VALU_DEP_4)
	v_pk_mul_bf16 v1, v7, v2
	v_pk_mul_bf16 v0, v6, v0
	s_delay_alu instid0(VALU_DEP_3) | instskip(SKIP_4) | instid1(VALU_DEP_3)
	v_dual_lshlrev_b32 v2, 16, v3 :: v_dual_lshlrev_b32 v5, 16, v4
	v_and_b32_e32 v3, 0xffff0000, v3
	v_and_b32_e32 v4, 0xffff0000, v4
	v_lshlrev_b32_e32 v9, 16, v1
	v_and_b32_e32 v1, 0xffff0000, v1
	v_dual_add_f32 v2, v3, v2 :: v_dual_add_f32 v3, v4, v5
	s_delay_alu instid0(VALU_DEP_2) | instskip(SKIP_1) | instid1(VALU_DEP_1)
	v_dual_add_f32 v1, v1, v9 :: v_dual_lshlrev_b32 v4, 16, v0
	v_and_b32_e32 v0, 0xffff0000, v0
	v_dual_add_f32 v2, v3, v2 :: v_dual_add_f32 v0, v0, v4
	s_delay_alu instid0(VALU_DEP_1) | instskip(NEXT) | instid1(VALU_DEP_1)
	v_add_f32_e32 v1, v1, v2
	v_add_f32_e32 v0, v0, v1
	s_delay_alu instid0(VALU_DEP_1)
	v_add_f32_e32 v11, v11, v0
.LBB338_522:                            ;   in Loop: Header=BB338_523 Depth=1
	s_or_b32 exec_lo, exec_lo, s14
	v_perm_b32 v0, v89, v90, 0x5040100
	v_perm_b32 v1, v35, v88, 0x5040100
	;; [unrolled: 1-line block ×5, first 2 shown]
	v_pk_mul_bf16 v0, v28, v0
	v_pk_mul_bf16 v1, v8, v1
	v_pk_mul_bf16 v2, v7, v2
	v_pk_mul_bf16 v3, v6, v3
	v_perm_b32 v27, v33, v32, 0x5040100
	s_delay_alu instid0(VALU_DEP_4)
	v_dual_lshlrev_b32 v4, 16, v0 :: v_dual_lshlrev_b32 v5, 16, v1
	v_and_b32_e32 v0, 0xffff0000, v0
	v_and_b32_e32 v1, 0xffff0000, v1
	v_lshlrev_b32_e32 v18, 16, v2
	v_and_b32_e32 v2, 0xffff0000, v2
	v_perm_b32 v29, v50, v51, 0x5040100
	s_delay_alu instid0(VALU_DEP_4)
	v_dual_add_f32 v0, v4, v0 :: v_dual_add_f32 v1, v5, v1
	v_perm_b32 v4, v84, v85, 0x5040100
	v_pk_mul_bf16 v5, v28, v9
	v_add_f32_e32 v2, v18, v2
	v_perm_b32 v9, v82, v83, 0x5040100
	v_add_f32_e32 v0, v1, v0
	v_pk_mul_bf16 v1, v8, v4
	v_lshlrev_b32_e32 v4, 16, v3
	v_and_b32_e32 v3, 0xffff0000, v3
	s_delay_alu instid0(VALU_DEP_4) | instskip(NEXT) | instid1(VALU_DEP_4)
	v_dual_lshlrev_b32 v18, 16, v5 :: v_dual_add_f32 v0, v2, v0
	v_lshlrev_b32_e32 v26, 16, v1
	v_and_b32_e32 v5, 0xffff0000, v5
	s_delay_alu instid0(VALU_DEP_4)
	v_add_f32_e32 v2, v4, v3
	v_and_b32_e32 v1, 0xffff0000, v1
	v_pk_mul_bf16 v9, v7, v9
	v_perm_b32 v30, v53, v52, 0x5040100
	v_add_nc_u64_e32 v[24:25], 16, v[24:25]
	v_add_f32_e32 v0, v2, v0
	v_perm_b32 v2, v80, v81, 0x5040100
	v_add_nc_u32_e32 v39, 0x100, v39
	v_pk_mul_bf16 v30, v6, v30
	s_delay_alu instid0(VALU_DEP_4) | instskip(NEXT) | instid1(VALU_DEP_4)
	v_dual_add_nc_u32 v38, 64, v38 :: v_dual_add_f32 v10, v10, v0
	v_pk_mul_bf16 v2, v28, v2
	v_add_f32_e32 v1, v26, v1
	v_pk_mul_bf16 v26, v6, v27
	v_add_f32_e32 v5, v18, v5
	v_lshlrev_b32_e32 v18, 16, v9
	v_and_b32_e32 v9, 0xffff0000, v9
	v_perm_b32 v27, v56, v57, 0x5040100
	s_delay_alu instid0(VALU_DEP_4) | instskip(SKIP_1) | instid1(VALU_DEP_4)
	v_dual_add_f32 v1, v1, v5 :: v_dual_lshlrev_b32 v4, 16, v26
	v_and_b32_e32 v5, 0xffff0000, v26
	v_add_f32_e32 v3, v18, v9
	v_perm_b32 v9, v70, v71, 0x5040100
	s_delay_alu instid0(VALU_DEP_3) | instskip(NEXT) | instid1(VALU_DEP_3)
	v_add_f32_e32 v4, v4, v5
	v_add_f32_e32 v1, v3, v1
	v_perm_b32 v3, v78, v79, 0x5040100
	s_delay_alu instid0(VALU_DEP_2) | instskip(NEXT) | instid1(VALU_DEP_2)
	v_add_f32_e32 v1, v4, v1
	v_pk_mul_bf16 v0, v8, v3
	v_perm_b32 v3, v76, v77, 0x5040100
	v_lshlrev_b32_e32 v4, 16, v2
	v_and_b32_e32 v2, 0xffff0000, v2
	s_delay_alu instid0(VALU_DEP_4) | instskip(SKIP_2) | instid1(VALU_DEP_4)
	v_lshlrev_b32_e32 v5, 16, v0
	v_and_b32_e32 v0, 0xffff0000, v0
	v_pk_mul_bf16 v3, v7, v3
	v_dual_add_f32 v2, v4, v2 :: v_dual_add_f32 v13, v13, v1
	v_perm_b32 v1, v75, v74, 0x5040100
	s_delay_alu instid0(VALU_DEP_3) | instskip(SKIP_4) | instid1(VALU_DEP_3)
	v_lshlrev_b32_e32 v4, 16, v3
	v_and_b32_e32 v3, 0xffff0000, v3
	v_add_f32_e32 v0, v5, v0
	v_perm_b32 v5, v72, v73, 0x5040100
	v_pk_mul_bf16 v1, v6, v1
	v_add_f32_e32 v0, v0, v2
	v_add_f32_e32 v2, v4, v3
	s_delay_alu instid0(VALU_DEP_4) | instskip(SKIP_4) | instid1(VALU_DEP_4)
	v_pk_mul_bf16 v3, v28, v5
	v_pk_mul_bf16 v5, v8, v9
	v_perm_b32 v9, v68, v69, 0x5040100
	v_lshlrev_b32_e32 v4, 16, v1
	v_and_b32_e32 v1, 0xffff0000, v1
	v_dual_lshlrev_b32 v18, 16, v3 :: v_dual_lshlrev_b32 v26, 16, v5
	v_and_b32_e32 v3, 0xffff0000, v3
	v_and_b32_e32 v5, 0xffff0000, v5
	v_pk_mul_bf16 v9, v7, v9
	v_dual_add_f32 v0, v2, v0 :: v_dual_add_f32 v1, v4, v1
	s_delay_alu instid0(VALU_DEP_4) | instskip(SKIP_1) | instid1(VALU_DEP_4)
	v_add_f32_e32 v2, v18, v3
	v_perm_b32 v18, v64, v65, 0x5040100
	v_lshlrev_b32_e32 v4, 16, v9
	v_add_f32_e32 v3, v26, v5
	v_and_b32_e32 v5, 0xffff0000, v9
	v_perm_b32 v9, v67, v66, 0x5040100
	v_add_f32_e32 v0, v1, v0
	v_pk_mul_bf16 v1, v28, v18
	s_delay_alu instid0(VALU_DEP_4) | instskip(SKIP_2) | instid1(VALU_DEP_4)
	v_dual_add_f32 v4, v4, v5 :: v_dual_add_f32 v2, v3, v2
	v_perm_b32 v3, v62, v63, 0x5040100
	v_pk_mul_bf16 v5, v6, v9
	v_lshlrev_b32_e32 v9, 16, v1
	v_and_b32_e32 v1, 0xffff0000, v1
	v_add_f32_e32 v2, v4, v2
	v_pk_mul_bf16 v3, v8, v3
	v_perm_b32 v4, v60, v61, 0x5040100
	v_lshlrev_b32_e32 v26, 16, v5
	v_and_b32_e32 v5, 0xffff0000, v5
	s_delay_alu instid0(VALU_DEP_4) | instskip(SKIP_4) | instid1(VALU_DEP_3)
	v_lshlrev_b32_e32 v18, 16, v3
	v_and_b32_e32 v3, 0xffff0000, v3
	v_pk_mul_bf16 v4, v7, v4
	v_add_f32_e32 v1, v9, v1
	v_add_f32_e32 v5, v26, v5
	v_dual_add_f32 v3, v18, v3 :: v_dual_lshlrev_b32 v9, 16, v4
	v_and_b32_e32 v4, 0xffff0000, v4
	v_perm_b32 v18, v59, v58, 0x5040100
	s_delay_alu instid0(VALU_DEP_3) | instskip(SKIP_1) | instid1(VALU_DEP_4)
	v_add_f32_e32 v1, v3, v1
	v_perm_b32 v3, v54, v55, 0x5040100
	v_add_f32_e32 v4, v9, v4
	s_delay_alu instid0(VALU_DEP_4) | instskip(SKIP_1) | instid1(VALU_DEP_4)
	v_pk_mul_bf16 v9, v6, v18
	v_pk_mul_bf16 v18, v28, v27
	;; [unrolled: 1-line block ×3, first 2 shown]
	s_delay_alu instid0(VALU_DEP_4) | instskip(NEXT) | instid1(VALU_DEP_3)
	v_add_f32_e32 v1, v4, v1
	v_dual_lshlrev_b32 v4, 16, v9 :: v_dual_lshlrev_b32 v26, 16, v18
	v_and_b32_e32 v18, 0xffff0000, v18
	s_delay_alu instid0(VALU_DEP_4) | instskip(SKIP_2) | instid1(VALU_DEP_4)
	v_lshlrev_b32_e32 v27, 16, v3
	v_and_b32_e32 v3, 0xffff0000, v3
	v_and_b32_e32 v9, 0xffff0000, v9
	v_add_f32_e32 v18, v26, v18
	v_perm_b32 v26, v47, v48, 0x5040100
	s_delay_alu instid0(VALU_DEP_4) | instskip(SKIP_2) | instid1(VALU_DEP_3)
	v_add_f32_e32 v3, v27, v3
	v_pk_mul_bf16 v27, v7, v29
	v_perm_b32 v29, v45, v46, 0x5040100
	v_dual_add_f32 v4, v4, v9 :: v_dual_add_f32 v3, v3, v18
	v_pk_mul_bf16 v18, v28, v26
	s_delay_alu instid0(VALU_DEP_4) | instskip(NEXT) | instid1(VALU_DEP_4)
	v_lshlrev_b32_e32 v26, 16, v27
	v_pk_mul_bf16 v8, v8, v29
	v_and_b32_e32 v27, 0xffff0000, v27
	v_perm_b32 v28, v43, v44, 0x5040100
	v_lshlrev_b32_e32 v29, 16, v18
	v_and_b32_e32 v18, 0xffff0000, v18
	v_lshlrev_b32_e32 v31, 16, v8
	v_and_b32_e32 v8, 0xffff0000, v8
	v_pk_mul_bf16 v7, v7, v28
	s_delay_alu instid0(VALU_DEP_4) | instskip(SKIP_1) | instid1(VALU_DEP_3)
	v_dual_add_f32 v26, v26, v27 :: v_dual_add_f32 v18, v29, v18
	v_perm_b32 v27, v42, v41, 0x5040100
	v_dual_add_f32 v8, v31, v8 :: v_dual_lshlrev_b32 v28, 16, v7
	v_and_b32_e32 v7, 0xffff0000, v7
	v_and_b32_e32 v29, 0xffff0000, v30
	s_delay_alu instid0(VALU_DEP_4) | instskip(SKIP_2) | instid1(VALU_DEP_3)
	v_pk_mul_bf16 v6, v6, v27
	v_lshlrev_b32_e32 v27, 16, v30
	v_dual_add_f32 v8, v8, v18 :: v_dual_add_f32 v3, v26, v3
	v_dual_add_f32 v7, v28, v7 :: v_dual_lshlrev_b32 v18, 16, v6
	v_and_b32_e32 v6, 0xffff0000, v6
	s_delay_alu instid0(VALU_DEP_4) | instskip(NEXT) | instid1(VALU_DEP_2)
	v_add_f32_e32 v9, v27, v29
	v_dual_add_f32 v7, v7, v8 :: v_dual_add_f32 v6, v18, v6
	v_dual_add_f32 v12, v12, v0 :: v_dual_add_f32 v0, v5, v2
	s_delay_alu instid0(VALU_DEP_3) | instskip(NEXT) | instid1(VALU_DEP_3)
	v_dual_add_f32 v1, v4, v1 :: v_dual_add_f32 v2, v9, v3
	v_dual_add_f32 v3, v6, v7 :: v_dual_add_nc_u32 v40, 4, v40
	s_delay_alu instid0(VALU_DEP_2) | instskip(NEXT) | instid1(VALU_DEP_2)
	v_dual_add_f32 v15, v15, v0 :: v_dual_add_f32 v14, v14, v1
	v_dual_add_f32 v17, v17, v2 :: v_dual_add_f32 v16, v16, v3
	s_delay_alu instid0(VALU_DEP_3) | instskip(SKIP_1) | instid1(SALU_CYCLE_1)
	v_cmp_le_i32_e64 s0, s13, v40
	s_or_b32 s10, s0, s10
	s_and_not1_b32 exec_lo, exec_lo, s10
	s_cbranch_execz .LBB338_1020
.LBB338_523:                            ; =>This Inner Loop Header: Depth=1
	global_load_b32 v0, v[24:25], off
	s_mov_b32 s1, exec_lo
	s_wait_loadcnt 0x0
	v_mad_nc_i64_i32 v[26:27], v0, s9, s[6:7]
	v_mov_b32_e32 v0, 0
	s_delay_alu instid0(VALU_DEP_2)
	v_add_nc_u64_e32 v[28:29], v[26:27], v[20:21]
	global_load_b64 v[30:31], v[28:29], off
	ds_load_2addr_b64 v[6:9], v39 offset1:1
	ds_load_2addr_b64 v[2:5], v39 offset0:2 offset1:3
	s_wait_loadcnt 0x0
	v_and_b32_e32 v1, 0xff, v30
	s_delay_alu instid0(VALU_DEP_1)
	v_cmpx_ne_u16_e32 0, v1
	s_cbranch_execz .LBB338_529
; %bb.524:                              ;   in Loop: Header=BB338_523 Depth=1
	v_bfrev_b32_e32 v0, 1
	s_mov_b32 s14, exec_lo
	v_cmpx_ne_u16_e32 0x80, v1
	s_cbranch_execz .LBB338_528
; %bb.525:                              ;   in Loop: Header=BB338_523 Depth=1
	v_and_b32_e32 v1, 0x7f, v30
	v_mov_b32_e32 v0, 0x7f800001
	s_mov_b32 s15, exec_lo
	s_delay_alu instid0(VALU_DEP_2)
	v_cmpx_ne_u32_e32 0x7f, v1
	s_cbranch_execz .LBB338_527
; %bb.526:                              ;   in Loop: Header=BB338_523 Depth=1
	v_dual_lshrrev_b32 v18, 3, v1 :: v_dual_bitop2_b32 v0, 7, v30 bitop3:0x40
	v_cmp_gt_u32_e64 s0, 8, v1
	s_delay_alu instid0(VALU_DEP_2) | instskip(NEXT) | instid1(VALU_DEP_1)
	v_clz_i32_u32_e32 v0, v0
	v_min_u32_e32 v0, 32, v0
	s_delay_alu instid0(VALU_DEP_1) | instskip(SKIP_1) | instid1(VALU_DEP_1)
	v_subrev_nc_u32_e32 v32, 28, v0
	v_sub_nc_u32_e32 v0, 29, v0
	v_cndmask_b32_e64 v18, v18, v0, s0
	s_delay_alu instid0(VALU_DEP_3) | instskip(NEXT) | instid1(VALU_DEP_1)
	v_cndmask_b32_e64 v0, 0, v32, s0
	v_lshlrev_b64_e32 v[0:1], v0, v[30:31]
	v_lshlrev_b32_e32 v1, 24, v30
	s_delay_alu instid0(VALU_DEP_1) | instskip(NEXT) | instid1(VALU_DEP_3)
	v_and_b32_e32 v1, 0x80000000, v1
	v_lshlrev_b32_e32 v0, 20, v0
	v_lshl_add_u32 v18, v18, 23, 0x3c000000
	s_delay_alu instid0(VALU_DEP_2) | instskip(NEXT) | instid1(VALU_DEP_1)
	v_and_b32_e32 v0, 0x700000, v0
	v_or3_b32 v0, v0, v1, v18
.LBB338_527:                            ;   in Loop: Header=BB338_523 Depth=1
	s_or_b32 exec_lo, exec_lo, s15
.LBB338_528:                            ;   in Loop: Header=BB338_523 Depth=1
	s_delay_alu instid0(SALU_CYCLE_1)
	s_or_b32 exec_lo, exec_lo, s14
.LBB338_529:                            ;   in Loop: Header=BB338_523 Depth=1
	s_delay_alu instid0(SALU_CYCLE_1) | instskip(SKIP_3) | instid1(VALU_DEP_2)
	s_or_b32 exec_lo, exec_lo, s1
	v_lshrrev_b16 v18, 8, v30
	v_dual_mov_b32 v1, 0 :: v_dual_mov_b32 v34, 0
	s_mov_b32 s1, exec_lo
	v_cmpx_ne_u16_e32 0, v18
	s_cbranch_execz .LBB338_537
; %bb.530:                              ;   in Loop: Header=BB338_523 Depth=1
	v_bfrev_b32_e32 v34, 1
	s_mov_b32 s14, exec_lo
	v_cmpx_ne_u16_e32 0x80, v18
	s_cbranch_execz .LBB338_536
; %bb.531:                              ;   in Loop: Header=BB338_523 Depth=1
	v_and_b32_e32 v18, 0xffff, v18
	v_mov_b32_e32 v34, 0x7f800001
	s_mov_b32 s15, exec_lo
	s_delay_alu instid0(VALU_DEP_2) | instskip(NEXT) | instid1(VALU_DEP_1)
	v_and_b32_e32 v33, 0x7f, v18
	v_cmpx_ne_u32_e32 0x7f, v33
	s_cbranch_execz .LBB338_535
; %bb.532:                              ;   in Loop: Header=BB338_523 Depth=1
	v_dual_lshrrev_b32 v32, 3, v33 :: v_dual_bitop2_b32 v18, 7, v18 bitop3:0x40
	s_mov_b32 s16, exec_lo
	v_cmpx_gt_u32_e32 8, v33
; %bb.533:                              ;   in Loop: Header=BB338_523 Depth=1
	s_delay_alu instid0(VALU_DEP_2) | instskip(NEXT) | instid1(VALU_DEP_1)
	v_clz_i32_u32_e32 v32, v18
	v_min_u32_e32 v32, 32, v32
	s_delay_alu instid0(VALU_DEP_1) | instskip(NEXT) | instid1(VALU_DEP_1)
	v_subrev_nc_u32_e32 v33, 28, v32
	v_lshlrev_b64_e32 v[34:35], v33, v[18:19]
	s_delay_alu instid0(VALU_DEP_1)
	v_dual_sub_nc_u32 v32, 29, v32 :: v_dual_bitop2_b32 v18, 7, v34 bitop3:0x40
; %bb.534:                              ;   in Loop: Header=BB338_523 Depth=1
	s_or_b32 exec_lo, exec_lo, s16
	v_lshlrev_b32_e32 v33, 16, v30
	s_delay_alu instid0(VALU_DEP_2) | instskip(NEXT) | instid1(VALU_DEP_3)
	v_lshlrev_b32_e32 v18, 20, v18
	v_lshl_add_u32 v32, v32, 23, 0x3c000000
	s_delay_alu instid0(VALU_DEP_3) | instskip(NEXT) | instid1(VALU_DEP_1)
	v_and_b32_e32 v33, 0x80000000, v33
	v_or3_b32 v34, v18, v33, v32
.LBB338_535:                            ;   in Loop: Header=BB338_523 Depth=1
	s_or_b32 exec_lo, exec_lo, s15
.LBB338_536:                            ;   in Loop: Header=BB338_523 Depth=1
	s_delay_alu instid0(SALU_CYCLE_1)
	s_or_b32 exec_lo, exec_lo, s14
.LBB338_537:                            ;   in Loop: Header=BB338_523 Depth=1
	s_delay_alu instid0(SALU_CYCLE_1) | instskip(SKIP_2) | instid1(VALU_DEP_1)
	s_or_b32 exec_lo, exec_lo, s1
	v_lshrrev_b32_e32 v32, 16, v30
	s_mov_b32 s1, exec_lo
	v_and_b32_e32 v18, 0xff, v32
	s_delay_alu instid0(VALU_DEP_1)
	v_cmpx_ne_u16_e32 0, v18
	s_cbranch_execz .LBB338_545
; %bb.538:                              ;   in Loop: Header=BB338_523 Depth=1
	v_bfrev_b32_e32 v1, 1
	s_mov_b32 s14, exec_lo
	v_cmpx_ne_u16_e32 0x80, v18
	s_cbranch_execz .LBB338_544
; %bb.539:                              ;   in Loop: Header=BB338_523 Depth=1
	v_bfe_u32 v33, v30, 16, 7
	v_mov_b32_e32 v1, 0x7f800001
	s_mov_b32 s15, exec_lo
	s_delay_alu instid0(VALU_DEP_2)
	v_cmpx_ne_u32_e32 0x7f, v33
	s_cbranch_execz .LBB338_543
; %bb.540:                              ;   in Loop: Header=BB338_523 Depth=1
	v_dual_lshrrev_b32 v1, 3, v33 :: v_dual_bitop2_b32 v18, 7, v32 bitop3:0x40
	s_mov_b32 s16, exec_lo
	v_cmpx_gt_u32_e32 8, v33
; %bb.541:                              ;   in Loop: Header=BB338_523 Depth=1
	s_delay_alu instid0(VALU_DEP_2) | instskip(NEXT) | instid1(VALU_DEP_1)
	v_clz_i32_u32_e32 v1, v18
	v_min_u32_e32 v1, 32, v1
	s_delay_alu instid0(VALU_DEP_1) | instskip(NEXT) | instid1(VALU_DEP_1)
	v_subrev_nc_u32_e32 v33, 28, v1
	v_lshlrev_b64_e32 v[42:43], v33, v[18:19]
	s_delay_alu instid0(VALU_DEP_1)
	v_dual_sub_nc_u32 v1, 29, v1 :: v_dual_bitop2_b32 v18, 7, v42 bitop3:0x40
; %bb.542:                              ;   in Loop: Header=BB338_523 Depth=1
	s_or_b32 exec_lo, exec_lo, s16
	s_delay_alu instid0(VALU_DEP_1) | instskip(NEXT) | instid1(VALU_DEP_2)
	v_dual_lshlrev_b32 v32, 24, v32 :: v_dual_lshlrev_b32 v18, 20, v18
	v_lshl_add_u32 v1, v1, 23, 0x3c000000
	s_delay_alu instid0(VALU_DEP_2) | instskip(NEXT) | instid1(VALU_DEP_1)
	v_and_b32_e32 v32, 0x80000000, v32
	v_or3_b32 v1, v18, v32, v1
.LBB338_543:                            ;   in Loop: Header=BB338_523 Depth=1
	s_or_b32 exec_lo, exec_lo, s15
.LBB338_544:                            ;   in Loop: Header=BB338_523 Depth=1
	s_delay_alu instid0(SALU_CYCLE_1)
	s_or_b32 exec_lo, exec_lo, s14
.LBB338_545:                            ;   in Loop: Header=BB338_523 Depth=1
	s_delay_alu instid0(SALU_CYCLE_1)
	s_or_b32 exec_lo, exec_lo, s1
	v_dual_mov_b32 v35, 0 :: v_dual_mov_b32 v41, 0
	s_mov_b32 s1, exec_lo
	v_cmpx_lt_u32_e32 0xffffff, v30
	s_cbranch_execz .LBB338_553
; %bb.546:                              ;   in Loop: Header=BB338_523 Depth=1
	v_lshrrev_b32_e32 v32, 24, v30
	v_bfrev_b32_e32 v41, 1
	s_mov_b32 s14, exec_lo
	s_delay_alu instid0(VALU_DEP_2)
	v_cmpx_ne_u32_e32 0x80, v32
	s_cbranch_execz .LBB338_552
; %bb.547:                              ;   in Loop: Header=BB338_523 Depth=1
	v_bfe_u32 v42, v30, 24, 7
	v_mov_b32_e32 v41, 0x7f800001
	s_mov_b32 s15, exec_lo
	s_delay_alu instid0(VALU_DEP_2)
	v_cmpx_ne_u32_e32 0x7f, v42
	s_cbranch_execz .LBB338_551
; %bb.548:                              ;   in Loop: Header=BB338_523 Depth=1
	v_dual_lshrrev_b32 v33, 3, v42 :: v_dual_bitop2_b32 v18, 7, v32 bitop3:0x40
	s_mov_b32 s16, exec_lo
	v_cmpx_gt_u32_e32 8, v42
; %bb.549:                              ;   in Loop: Header=BB338_523 Depth=1
	s_delay_alu instid0(VALU_DEP_2) | instskip(NEXT) | instid1(VALU_DEP_1)
	v_clz_i32_u32_e32 v33, v18
	v_min_u32_e32 v33, 32, v33
	s_delay_alu instid0(VALU_DEP_1) | instskip(NEXT) | instid1(VALU_DEP_1)
	v_subrev_nc_u32_e32 v41, 28, v33
	v_lshlrev_b64_e32 v[42:43], v41, v[18:19]
	s_delay_alu instid0(VALU_DEP_1)
	v_dual_sub_nc_u32 v33, 29, v33 :: v_dual_bitop2_b32 v18, 7, v42 bitop3:0x40
; %bb.550:                              ;   in Loop: Header=BB338_523 Depth=1
	s_or_b32 exec_lo, exec_lo, s16
	s_delay_alu instid0(VALU_DEP_1) | instskip(NEXT) | instid1(VALU_DEP_2)
	v_dual_lshlrev_b32 v32, 24, v32 :: v_dual_lshlrev_b32 v18, 20, v18
	v_lshl_add_u32 v33, v33, 23, 0x3c000000
	s_delay_alu instid0(VALU_DEP_2) | instskip(NEXT) | instid1(VALU_DEP_1)
	v_and_b32_e32 v32, 0x80000000, v32
	v_or3_b32 v41, v18, v32, v33
.LBB338_551:                            ;   in Loop: Header=BB338_523 Depth=1
	s_or_b32 exec_lo, exec_lo, s15
.LBB338_552:                            ;   in Loop: Header=BB338_523 Depth=1
	s_delay_alu instid0(SALU_CYCLE_1)
	s_or_b32 exec_lo, exec_lo, s14
.LBB338_553:                            ;   in Loop: Header=BB338_523 Depth=1
	s_delay_alu instid0(SALU_CYCLE_1) | instskip(SKIP_3) | instid1(VALU_DEP_2)
	s_or_b32 exec_lo, exec_lo, s1
	v_and_b32_e32 v32, 0xff, v31
	v_mov_b32_e32 v18, v31
	s_mov_b32 s1, exec_lo
	v_cmpx_ne_u16_e32 0, v32
	s_cbranch_execz .LBB338_559
; %bb.554:                              ;   in Loop: Header=BB338_523 Depth=1
	v_bfrev_b32_e32 v35, 1
	s_mov_b32 s14, exec_lo
	v_cmpx_ne_u16_e32 0x80, v32
	s_cbranch_execz .LBB338_558
; %bb.555:                              ;   in Loop: Header=BB338_523 Depth=1
	v_and_b32_e32 v32, 0x7f, v31
	v_mov_b32_e32 v35, 0x7f800001
	s_mov_b32 s15, exec_lo
	s_delay_alu instid0(VALU_DEP_2)
	v_cmpx_ne_u32_e32 0x7f, v32
	s_cbranch_execz .LBB338_557
; %bb.556:                              ;   in Loop: Header=BB338_523 Depth=1
	v_dual_lshrrev_b32 v35, 3, v32 :: v_dual_bitop2_b32 v33, 7, v31 bitop3:0x40
	v_cmp_gt_u32_e64 s0, 8, v32
	s_delay_alu instid0(VALU_DEP_2) | instskip(NEXT) | instid1(VALU_DEP_1)
	v_clz_i32_u32_e32 v33, v33
	v_min_u32_e32 v33, 32, v33
	s_delay_alu instid0(VALU_DEP_1) | instskip(NEXT) | instid1(VALU_DEP_1)
	v_subrev_nc_u32_e32 v42, 28, v33
	v_dual_sub_nc_u32 v33, 29, v33 :: v_dual_cndmask_b32 v32, 0, v42, s0
	s_delay_alu instid0(VALU_DEP_1) | instskip(NEXT) | instid1(VALU_DEP_2)
	v_cndmask_b32_e64 v35, v35, v33, s0
	v_lshlrev_b64_e32 v[32:33], v32, v[18:19]
	v_lshlrev_b32_e32 v33, 24, v18
	s_delay_alu instid0(VALU_DEP_3) | instskip(NEXT) | instid1(VALU_DEP_2)
	v_lshl_add_u32 v35, v35, 23, 0x3c000000
	v_and_b32_e32 v33, 0x80000000, v33
	s_delay_alu instid0(VALU_DEP_4) | instskip(NEXT) | instid1(VALU_DEP_1)
	v_lshlrev_b32_e32 v32, 20, v32
	v_and_b32_e32 v32, 0x700000, v32
	s_delay_alu instid0(VALU_DEP_1)
	v_or3_b32 v35, v32, v33, v35
.LBB338_557:                            ;   in Loop: Header=BB338_523 Depth=1
	s_or_b32 exec_lo, exec_lo, s15
.LBB338_558:                            ;   in Loop: Header=BB338_523 Depth=1
	s_delay_alu instid0(SALU_CYCLE_1)
	s_or_b32 exec_lo, exec_lo, s14
.LBB338_559:                            ;   in Loop: Header=BB338_523 Depth=1
	s_delay_alu instid0(SALU_CYCLE_1) | instskip(SKIP_3) | instid1(VALU_DEP_2)
	s_or_b32 exec_lo, exec_lo, s1
	v_lshrrev_b16 v33, 8, v18
	v_dual_mov_b32 v42, 0 :: v_dual_mov_b32 v32, 0
	s_mov_b32 s1, exec_lo
	v_cmpx_ne_u16_e32 0, v33
	s_cbranch_execz .LBB338_567
; %bb.560:                              ;   in Loop: Header=BB338_523 Depth=1
	v_bfrev_b32_e32 v32, 1
	s_mov_b32 s14, exec_lo
	v_cmpx_ne_u16_e32 0x80, v33
	s_cbranch_execz .LBB338_566
; %bb.561:                              ;   in Loop: Header=BB338_523 Depth=1
	v_and_b32_e32 v33, 0xffff, v33
	v_mov_b32_e32 v32, 0x7f800001
	s_mov_b32 s15, exec_lo
	s_delay_alu instid0(VALU_DEP_2) | instskip(NEXT) | instid1(VALU_DEP_1)
	v_and_b32_e32 v44, 0x7f, v33
	v_cmpx_ne_u32_e32 0x7f, v44
	s_cbranch_execz .LBB338_565
; %bb.562:                              ;   in Loop: Header=BB338_523 Depth=1
	v_dual_mov_b32 v33, v19 :: v_dual_bitop2_b32 v32, 7, v33 bitop3:0x40
	v_lshrrev_b32_e32 v43, 3, v44
	s_mov_b32 s16, exec_lo
	v_cmpx_gt_u32_e32 8, v44
; %bb.563:                              ;   in Loop: Header=BB338_523 Depth=1
	s_delay_alu instid0(VALU_DEP_3) | instskip(NEXT) | instid1(VALU_DEP_1)
	v_clz_i32_u32_e32 v43, v32
	v_min_u32_e32 v43, 32, v43
	s_delay_alu instid0(VALU_DEP_1) | instskip(NEXT) | instid1(VALU_DEP_1)
	v_subrev_nc_u32_e32 v44, 28, v43
	v_lshlrev_b64_e32 v[32:33], v44, v[32:33]
	s_delay_alu instid0(VALU_DEP_1)
	v_dual_sub_nc_u32 v43, 29, v43 :: v_dual_bitop2_b32 v32, 7, v32 bitop3:0x40
; %bb.564:                              ;   in Loop: Header=BB338_523 Depth=1
	s_or_b32 exec_lo, exec_lo, s16
	s_delay_alu instid0(VALU_DEP_1) | instskip(NEXT) | instid1(VALU_DEP_2)
	v_dual_lshlrev_b32 v18, 16, v18 :: v_dual_lshlrev_b32 v32, 20, v32
	v_lshl_add_u32 v33, v43, 23, 0x3c000000
	s_delay_alu instid0(VALU_DEP_2) | instskip(NEXT) | instid1(VALU_DEP_1)
	v_and_b32_e32 v18, 0x80000000, v18
	v_or3_b32 v32, v32, v18, v33
.LBB338_565:                            ;   in Loop: Header=BB338_523 Depth=1
	s_or_b32 exec_lo, exec_lo, s15
.LBB338_566:                            ;   in Loop: Header=BB338_523 Depth=1
	s_delay_alu instid0(SALU_CYCLE_1)
	s_or_b32 exec_lo, exec_lo, s14
.LBB338_567:                            ;   in Loop: Header=BB338_523 Depth=1
	s_delay_alu instid0(SALU_CYCLE_1) | instskip(SKIP_2) | instid1(VALU_DEP_1)
	s_or_b32 exec_lo, exec_lo, s1
	v_lshrrev_b32_e32 v33, 16, v31
	s_mov_b32 s1, exec_lo
	v_and_b32_e32 v18, 0xff, v33
	s_delay_alu instid0(VALU_DEP_1)
	v_cmpx_ne_u16_e32 0, v18
	s_cbranch_execz .LBB338_575
; %bb.568:                              ;   in Loop: Header=BB338_523 Depth=1
	v_bfrev_b32_e32 v42, 1
	s_mov_b32 s14, exec_lo
	v_cmpx_ne_u16_e32 0x80, v18
	s_cbranch_execz .LBB338_574
; %bb.569:                              ;   in Loop: Header=BB338_523 Depth=1
	v_bfe_u32 v43, v31, 16, 7
	v_mov_b32_e32 v42, 0x7f800001
	s_mov_b32 s15, exec_lo
	s_delay_alu instid0(VALU_DEP_2)
	v_cmpx_ne_u32_e32 0x7f, v43
	s_cbranch_execz .LBB338_573
; %bb.570:                              ;   in Loop: Header=BB338_523 Depth=1
	v_dual_lshrrev_b32 v42, 3, v43 :: v_dual_bitop2_b32 v18, 7, v33 bitop3:0x40
	s_mov_b32 s16, exec_lo
	v_cmpx_gt_u32_e32 8, v43
; %bb.571:                              ;   in Loop: Header=BB338_523 Depth=1
	s_delay_alu instid0(VALU_DEP_2) | instskip(NEXT) | instid1(VALU_DEP_1)
	v_clz_i32_u32_e32 v42, v18
	v_min_u32_e32 v42, 32, v42
	s_delay_alu instid0(VALU_DEP_1) | instskip(NEXT) | instid1(VALU_DEP_1)
	v_subrev_nc_u32_e32 v43, 28, v42
	v_lshlrev_b64_e32 v[44:45], v43, v[18:19]
	s_delay_alu instid0(VALU_DEP_1)
	v_dual_sub_nc_u32 v42, 29, v42 :: v_dual_bitop2_b32 v18, 7, v44 bitop3:0x40
; %bb.572:                              ;   in Loop: Header=BB338_523 Depth=1
	s_or_b32 exec_lo, exec_lo, s16
	s_delay_alu instid0(VALU_DEP_1) | instskip(NEXT) | instid1(VALU_DEP_2)
	v_dual_lshlrev_b32 v33, 24, v33 :: v_dual_lshlrev_b32 v18, 20, v18
	v_lshl_add_u32 v42, v42, 23, 0x3c000000
	s_delay_alu instid0(VALU_DEP_2) | instskip(NEXT) | instid1(VALU_DEP_1)
	v_and_b32_e32 v33, 0x80000000, v33
	v_or3_b32 v42, v18, v33, v42
.LBB338_573:                            ;   in Loop: Header=BB338_523 Depth=1
	s_or_b32 exec_lo, exec_lo, s15
.LBB338_574:                            ;   in Loop: Header=BB338_523 Depth=1
	s_delay_alu instid0(SALU_CYCLE_1)
	s_or_b32 exec_lo, exec_lo, s14
.LBB338_575:                            ;   in Loop: Header=BB338_523 Depth=1
	s_delay_alu instid0(SALU_CYCLE_1)
	s_or_b32 exec_lo, exec_lo, s1
	v_mov_b32_e32 v18, 0
	s_mov_b32 s1, exec_lo
	v_cmpx_lt_u64_e64 s[2:3], v[30:31]
	s_cbranch_execz .LBB338_583
; %bb.576:                              ;   in Loop: Header=BB338_523 Depth=1
	v_lshrrev_b32_e32 v30, 24, v31
	v_bfrev_b32_e32 v18, 1
	s_mov_b32 s14, exec_lo
	s_delay_alu instid0(VALU_DEP_2)
	v_cmpx_ne_u32_e32 0x80, v30
	s_cbranch_execz .LBB338_582
; %bb.577:                              ;   in Loop: Header=BB338_523 Depth=1
	v_bfe_u32 v33, v31, 24, 7
	v_mov_b32_e32 v18, 0x7f800001
	s_mov_b32 s15, exec_lo
	s_delay_alu instid0(VALU_DEP_2)
	v_cmpx_ne_u32_e32 0x7f, v33
	s_cbranch_execz .LBB338_581
; %bb.578:                              ;   in Loop: Header=BB338_523 Depth=1
	v_dual_lshrrev_b32 v31, 3, v33 :: v_dual_bitop2_b32 v18, 7, v30 bitop3:0x40
	s_mov_b32 s16, exec_lo
	v_cmpx_gt_u32_e32 8, v33
; %bb.579:                              ;   in Loop: Header=BB338_523 Depth=1
	s_delay_alu instid0(VALU_DEP_2) | instskip(NEXT) | instid1(VALU_DEP_1)
	v_clz_i32_u32_e32 v31, v18
	v_min_u32_e32 v31, 32, v31
	s_delay_alu instid0(VALU_DEP_1) | instskip(NEXT) | instid1(VALU_DEP_1)
	v_subrev_nc_u32_e32 v33, 28, v31
	v_lshlrev_b64_e32 v[44:45], v33, v[18:19]
	s_delay_alu instid0(VALU_DEP_1)
	v_dual_sub_nc_u32 v31, 29, v31 :: v_dual_bitop2_b32 v18, 7, v44 bitop3:0x40
; %bb.580:                              ;   in Loop: Header=BB338_523 Depth=1
	s_or_b32 exec_lo, exec_lo, s16
	v_lshlrev_b32_e32 v30, 24, v30
	s_delay_alu instid0(VALU_DEP_2) | instskip(NEXT) | instid1(VALU_DEP_3)
	v_lshlrev_b32_e32 v18, 20, v18
	v_lshl_add_u32 v31, v31, 23, 0x3c000000
	s_delay_alu instid0(VALU_DEP_3) | instskip(NEXT) | instid1(VALU_DEP_1)
	v_and_b32_e32 v30, 0x80000000, v30
	v_or3_b32 v18, v18, v30, v31
.LBB338_581:                            ;   in Loop: Header=BB338_523 Depth=1
	s_or_b32 exec_lo, exec_lo, s15
.LBB338_582:                            ;   in Loop: Header=BB338_523 Depth=1
	s_delay_alu instid0(SALU_CYCLE_1)
	s_or_b32 exec_lo, exec_lo, s14
.LBB338_583:                            ;   in Loop: Header=BB338_523 Depth=1
	s_delay_alu instid0(SALU_CYCLE_1)
	s_or_b32 exec_lo, exec_lo, s1
	v_add_nc_u32_e32 v49, -7, v38
	v_cmp_eq_u32_e64 s0, s11, v40
	v_fma_mixlo_bf16 v43, s25, v32, 0
	v_fma_mixlo_bf16 v44, s25, v35, 0
	;; [unrolled: 1-line block ×8, first 2 shown]
	s_and_saveexec_b32 s14, s0
	s_cbranch_execz .LBB338_585
; %bb.584:                              ;   in Loop: Header=BB338_523 Depth=1
	v_dual_add_nc_u32 v0, -6, v38 :: v_dual_add_nc_u32 v1, -5, v38
	v_cmp_gt_i32_e64 s1, s23, v49
	s_delay_alu instid0(VALU_DEP_1) | instskip(NEXT) | instid1(VALU_DEP_3)
	v_dual_add_nc_u32 v18, -2, v38 :: v_dual_cndmask_b32 v48, 0, v48, s1
	v_cmp_gt_i32_e64 s1, s23, v0
	s_delay_alu instid0(VALU_DEP_1) | instskip(SKIP_2) | instid1(VALU_DEP_2)
	v_dual_add_nc_u32 v0, -4, v38 :: v_dual_cndmask_b32 v47, 0, v47, s1
	v_cmp_gt_i32_e64 s1, s23, v1
	v_add_nc_u32_e32 v1, -3, v38
	v_cndmask_b32_e64 v46, 0, v46, s1
	s_delay_alu instid0(VALU_DEP_4) | instskip(NEXT) | instid1(VALU_DEP_1)
	v_cmp_gt_i32_e64 s1, s23, v0
	v_dual_add_nc_u32 v0, -1, v38 :: v_dual_cndmask_b32 v45, 0, v45, s1
	s_delay_alu instid0(VALU_DEP_4) | instskip(NEXT) | instid1(VALU_DEP_1)
	v_cmp_gt_i32_e64 s1, s23, v1
	v_cndmask_b32_e64 v44, 0, v44, s1
	v_cmp_gt_i32_e64 s1, s23, v18
	s_delay_alu instid0(VALU_DEP_1) | instskip(SKIP_1) | instid1(VALU_DEP_1)
	v_cndmask_b32_e64 v43, 0, v43, s1
	v_cmp_gt_i32_e64 s1, s23, v0
	v_cndmask_b32_e64 v41, 0, v41, s1
	v_cmp_gt_i32_e64 s1, s23, v38
	s_delay_alu instid0(VALU_DEP_1)
	v_cndmask_b32_e64 v42, 0, v42, s1
.LBB338_585:                            ;   in Loop: Header=BB338_523 Depth=1
	s_or_b32 exec_lo, exec_lo, s14
	global_load_b64 v[30:31], v[28:29], off offset:256
	v_dual_mov_b32 v1, 0 :: v_dual_mov_b32 v0, 0
	s_mov_b32 s14, exec_lo
	s_wait_loadcnt 0x0
	v_and_b32_e32 v18, 0xff, v30
	s_delay_alu instid0(VALU_DEP_1)
	v_cmpx_ne_u16_e32 0, v18
	s_cbranch_execz .LBB338_591
; %bb.586:                              ;   in Loop: Header=BB338_523 Depth=1
	v_bfrev_b32_e32 v0, 1
	s_mov_b32 s15, exec_lo
	v_cmpx_ne_u16_e32 0x80, v18
	s_cbranch_execz .LBB338_590
; %bb.587:                              ;   in Loop: Header=BB338_523 Depth=1
	v_and_b32_e32 v18, 0x7f, v30
	v_mov_b32_e32 v0, 0x7f800001
	s_mov_b32 s16, exec_lo
	s_delay_alu instid0(VALU_DEP_2)
	v_cmpx_ne_u32_e32 0x7f, v18
	s_cbranch_execz .LBB338_589
; %bb.588:                              ;   in Loop: Header=BB338_523 Depth=1
	v_cmp_gt_u32_e64 s1, 8, v18
	v_and_b32_e32 v0, 7, v30
	s_delay_alu instid0(VALU_DEP_1) | instskip(NEXT) | instid1(VALU_DEP_1)
	v_clz_i32_u32_e32 v0, v0
	v_min_u32_e32 v0, 32, v0
	v_lshrrev_b32_e32 v32, 3, v18
	s_delay_alu instid0(VALU_DEP_2) | instskip(NEXT) | instid1(VALU_DEP_1)
	v_subrev_nc_u32_e32 v33, 28, v0
	v_dual_sub_nc_u32 v0, 29, v0 :: v_dual_cndmask_b32 v18, 0, v33, s1
	s_delay_alu instid0(VALU_DEP_1) | instskip(NEXT) | instid1(VALU_DEP_2)
	v_cndmask_b32_e64 v0, v32, v0, s1
	v_lshlrev_b64_e32 v[32:33], v18, v[30:31]
	v_lshlrev_b32_e32 v18, 24, v30
	s_delay_alu instid0(VALU_DEP_3) | instskip(NEXT) | instid1(VALU_DEP_2)
	v_lshl_add_u32 v0, v0, 23, 0x3c000000
	v_and_b32_e32 v18, 0x80000000, v18
	s_delay_alu instid0(VALU_DEP_4) | instskip(NEXT) | instid1(VALU_DEP_1)
	v_lshlrev_b32_e32 v32, 20, v32
	v_and_b32_e32 v32, 0x700000, v32
	s_delay_alu instid0(VALU_DEP_1)
	v_or3_b32 v0, v32, v18, v0
.LBB338_589:                            ;   in Loop: Header=BB338_523 Depth=1
	s_or_b32 exec_lo, exec_lo, s16
.LBB338_590:                            ;   in Loop: Header=BB338_523 Depth=1
	s_delay_alu instid0(SALU_CYCLE_1)
	s_or_b32 exec_lo, exec_lo, s15
.LBB338_591:                            ;   in Loop: Header=BB338_523 Depth=1
	s_delay_alu instid0(SALU_CYCLE_1) | instskip(SKIP_2) | instid1(VALU_DEP_1)
	s_or_b32 exec_lo, exec_lo, s14
	v_lshrrev_b16 v18, 8, v30
	s_mov_b32 s14, exec_lo
	v_cmpx_ne_u16_e32 0, v18
	s_cbranch_execz .LBB338_599
; %bb.592:                              ;   in Loop: Header=BB338_523 Depth=1
	v_bfrev_b32_e32 v1, 1
	s_mov_b32 s15, exec_lo
	v_cmpx_ne_u16_e32 0x80, v18
	s_cbranch_execz .LBB338_598
; %bb.593:                              ;   in Loop: Header=BB338_523 Depth=1
	v_and_b32_e32 v18, 0xffff, v18
	v_mov_b32_e32 v1, 0x7f800001
	s_mov_b32 s16, exec_lo
	s_delay_alu instid0(VALU_DEP_2) | instskip(NEXT) | instid1(VALU_DEP_1)
	v_and_b32_e32 v32, 0x7f, v18
	v_cmpx_ne_u32_e32 0x7f, v32
	s_cbranch_execz .LBB338_597
; %bb.594:                              ;   in Loop: Header=BB338_523 Depth=1
	v_dual_lshrrev_b32 v1, 3, v32 :: v_dual_bitop2_b32 v18, 7, v18 bitop3:0x40
	s_mov_b32 s17, exec_lo
	v_cmpx_gt_u32_e32 8, v32
; %bb.595:                              ;   in Loop: Header=BB338_523 Depth=1
	s_delay_alu instid0(VALU_DEP_2) | instskip(NEXT) | instid1(VALU_DEP_1)
	v_clz_i32_u32_e32 v1, v18
	v_min_u32_e32 v1, 32, v1
	s_delay_alu instid0(VALU_DEP_1) | instskip(NEXT) | instid1(VALU_DEP_1)
	v_subrev_nc_u32_e32 v32, 28, v1
	v_lshlrev_b64_e32 v[32:33], v32, v[18:19]
	s_delay_alu instid0(VALU_DEP_1)
	v_dual_sub_nc_u32 v1, 29, v1 :: v_dual_bitop2_b32 v18, 7, v32 bitop3:0x40
; %bb.596:                              ;   in Loop: Header=BB338_523 Depth=1
	s_or_b32 exec_lo, exec_lo, s17
	v_lshlrev_b32_e32 v32, 16, v30
	s_delay_alu instid0(VALU_DEP_2) | instskip(NEXT) | instid1(VALU_DEP_3)
	v_lshlrev_b32_e32 v18, 20, v18
	v_lshl_add_u32 v1, v1, 23, 0x3c000000
	s_delay_alu instid0(VALU_DEP_3) | instskip(NEXT) | instid1(VALU_DEP_1)
	v_and_b32_e32 v32, 0x80000000, v32
	v_or3_b32 v1, v18, v32, v1
.LBB338_597:                            ;   in Loop: Header=BB338_523 Depth=1
	s_or_b32 exec_lo, exec_lo, s16
.LBB338_598:                            ;   in Loop: Header=BB338_523 Depth=1
	s_delay_alu instid0(SALU_CYCLE_1)
	s_or_b32 exec_lo, exec_lo, s15
.LBB338_599:                            ;   in Loop: Header=BB338_523 Depth=1
	s_delay_alu instid0(SALU_CYCLE_1) | instskip(SKIP_3) | instid1(VALU_DEP_2)
	s_or_b32 exec_lo, exec_lo, s14
	v_dual_mov_b32 v35, 0 :: v_dual_lshrrev_b32 v32, 16, v30
	v_mov_b32_e32 v34, 0
	s_mov_b32 s14, exec_lo
	v_and_b32_e32 v18, 0xff, v32
	s_delay_alu instid0(VALU_DEP_1)
	v_cmpx_ne_u16_e32 0, v18
	s_cbranch_execz .LBB338_607
; %bb.600:                              ;   in Loop: Header=BB338_523 Depth=1
	v_bfrev_b32_e32 v34, 1
	s_mov_b32 s15, exec_lo
	v_cmpx_ne_u16_e32 0x80, v18
	s_cbranch_execz .LBB338_606
; %bb.601:                              ;   in Loop: Header=BB338_523 Depth=1
	v_bfe_u32 v50, v30, 16, 7
	v_mov_b32_e32 v34, 0x7f800001
	s_mov_b32 s16, exec_lo
	s_delay_alu instid0(VALU_DEP_2)
	v_cmpx_ne_u32_e32 0x7f, v50
	s_cbranch_execz .LBB338_605
; %bb.602:                              ;   in Loop: Header=BB338_523 Depth=1
	v_dual_lshrrev_b32 v33, 3, v50 :: v_dual_bitop2_b32 v18, 7, v32 bitop3:0x40
	s_mov_b32 s17, exec_lo
	v_cmpx_gt_u32_e32 8, v50
; %bb.603:                              ;   in Loop: Header=BB338_523 Depth=1
	s_delay_alu instid0(VALU_DEP_2) | instskip(NEXT) | instid1(VALU_DEP_1)
	v_clz_i32_u32_e32 v33, v18
	v_min_u32_e32 v33, 32, v33
	s_delay_alu instid0(VALU_DEP_1) | instskip(NEXT) | instid1(VALU_DEP_1)
	v_subrev_nc_u32_e32 v34, 28, v33
	v_lshlrev_b64_e32 v[50:51], v34, v[18:19]
	s_delay_alu instid0(VALU_DEP_1)
	v_dual_sub_nc_u32 v33, 29, v33 :: v_dual_bitop2_b32 v18, 7, v50 bitop3:0x40
; %bb.604:                              ;   in Loop: Header=BB338_523 Depth=1
	s_or_b32 exec_lo, exec_lo, s17
	s_delay_alu instid0(VALU_DEP_1) | instskip(NEXT) | instid1(VALU_DEP_2)
	v_dual_lshlrev_b32 v32, 24, v32 :: v_dual_lshlrev_b32 v18, 20, v18
	v_lshl_add_u32 v33, v33, 23, 0x3c000000
	s_delay_alu instid0(VALU_DEP_2) | instskip(NEXT) | instid1(VALU_DEP_1)
	v_and_b32_e32 v32, 0x80000000, v32
	v_or3_b32 v34, v18, v32, v33
.LBB338_605:                            ;   in Loop: Header=BB338_523 Depth=1
	s_or_b32 exec_lo, exec_lo, s16
.LBB338_606:                            ;   in Loop: Header=BB338_523 Depth=1
	s_delay_alu instid0(SALU_CYCLE_1)
	s_or_b32 exec_lo, exec_lo, s15
.LBB338_607:                            ;   in Loop: Header=BB338_523 Depth=1
	s_delay_alu instid0(SALU_CYCLE_1) | instskip(NEXT) | instid1(SALU_CYCLE_1)
	s_or_b32 exec_lo, exec_lo, s14
	s_mov_b32 s14, exec_lo
	v_cmpx_lt_u32_e32 0xffffff, v30
	s_cbranch_execz .LBB338_615
; %bb.608:                              ;   in Loop: Header=BB338_523 Depth=1
	v_lshrrev_b32_e32 v32, 24, v30
	v_bfrev_b32_e32 v35, 1
	s_mov_b32 s15, exec_lo
	s_delay_alu instid0(VALU_DEP_2)
	v_cmpx_ne_u32_e32 0x80, v32
	s_cbranch_execz .LBB338_614
; %bb.609:                              ;   in Loop: Header=BB338_523 Depth=1
	v_bfe_u32 v50, v30, 24, 7
	v_mov_b32_e32 v35, 0x7f800001
	s_mov_b32 s16, exec_lo
	s_delay_alu instid0(VALU_DEP_2)
	v_cmpx_ne_u32_e32 0x7f, v50
	s_cbranch_execz .LBB338_613
; %bb.610:                              ;   in Loop: Header=BB338_523 Depth=1
	v_dual_lshrrev_b32 v33, 3, v50 :: v_dual_bitop2_b32 v18, 7, v32 bitop3:0x40
	s_mov_b32 s17, exec_lo
	v_cmpx_gt_u32_e32 8, v50
; %bb.611:                              ;   in Loop: Header=BB338_523 Depth=1
	s_delay_alu instid0(VALU_DEP_2) | instskip(NEXT) | instid1(VALU_DEP_1)
	v_clz_i32_u32_e32 v33, v18
	v_min_u32_e32 v33, 32, v33
	s_delay_alu instid0(VALU_DEP_1) | instskip(NEXT) | instid1(VALU_DEP_1)
	v_subrev_nc_u32_e32 v35, 28, v33
	v_lshlrev_b64_e32 v[50:51], v35, v[18:19]
	s_delay_alu instid0(VALU_DEP_1)
	v_dual_sub_nc_u32 v33, 29, v33 :: v_dual_bitop2_b32 v18, 7, v50 bitop3:0x40
; %bb.612:                              ;   in Loop: Header=BB338_523 Depth=1
	s_or_b32 exec_lo, exec_lo, s17
	s_delay_alu instid0(VALU_DEP_1) | instskip(NEXT) | instid1(VALU_DEP_2)
	v_dual_lshlrev_b32 v32, 24, v32 :: v_dual_lshlrev_b32 v18, 20, v18
	v_lshl_add_u32 v33, v33, 23, 0x3c000000
	s_delay_alu instid0(VALU_DEP_2) | instskip(NEXT) | instid1(VALU_DEP_1)
	v_and_b32_e32 v32, 0x80000000, v32
	v_or3_b32 v35, v18, v32, v33
.LBB338_613:                            ;   in Loop: Header=BB338_523 Depth=1
	s_or_b32 exec_lo, exec_lo, s16
.LBB338_614:                            ;   in Loop: Header=BB338_523 Depth=1
	s_delay_alu instid0(SALU_CYCLE_1)
	s_or_b32 exec_lo, exec_lo, s15
.LBB338_615:                            ;   in Loop: Header=BB338_523 Depth=1
	s_delay_alu instid0(SALU_CYCLE_1) | instskip(SKIP_4) | instid1(VALU_DEP_3)
	s_or_b32 exec_lo, exec_lo, s14
	v_and_b32_e32 v33, 0xff, v31
	v_dual_mov_b32 v18, v31 :: v_dual_mov_b32 v32, 0
	v_mov_b32_e32 v51, 0
	s_mov_b32 s14, exec_lo
	v_cmpx_ne_u16_e32 0, v33
	s_cbranch_execz .LBB338_621
; %bb.616:                              ;   in Loop: Header=BB338_523 Depth=1
	v_bfrev_b32_e32 v51, 1
	s_mov_b32 s15, exec_lo
	v_cmpx_ne_u16_e32 0x80, v33
	s_cbranch_execz .LBB338_620
; %bb.617:                              ;   in Loop: Header=BB338_523 Depth=1
	v_and_b32_e32 v33, 0x7f, v31
	v_mov_b32_e32 v51, 0x7f800001
	s_mov_b32 s16, exec_lo
	s_delay_alu instid0(VALU_DEP_2)
	v_cmpx_ne_u32_e32 0x7f, v33
	s_cbranch_execz .LBB338_619
; %bb.618:                              ;   in Loop: Header=BB338_523 Depth=1
	v_dual_lshrrev_b32 v51, 3, v33 :: v_dual_bitop2_b32 v50, 7, v31 bitop3:0x40
	v_cmp_gt_u32_e64 s1, 8, v33
	s_delay_alu instid0(VALU_DEP_2) | instskip(NEXT) | instid1(VALU_DEP_1)
	v_clz_i32_u32_e32 v50, v50
	v_min_u32_e32 v50, 32, v50
	s_delay_alu instid0(VALU_DEP_1) | instskip(SKIP_1) | instid1(VALU_DEP_1)
	v_subrev_nc_u32_e32 v52, 28, v50
	v_sub_nc_u32_e32 v50, 29, v50
	v_dual_cndmask_b32 v33, v51, v50, s1 :: v_dual_cndmask_b32 v50, 0, v52, s1
	s_delay_alu instid0(VALU_DEP_1) | instskip(NEXT) | instid1(VALU_DEP_2)
	v_lshl_add_u32 v33, v33, 23, 0x3c000000
	v_lshlrev_b64_e32 v[50:51], v50, v[18:19]
	v_lshlrev_b32_e32 v51, 24, v18
	s_delay_alu instid0(VALU_DEP_1) | instskip(NEXT) | instid1(VALU_DEP_3)
	v_and_b32_e32 v51, 0x80000000, v51
	v_lshlrev_b32_e32 v50, 20, v50
	s_delay_alu instid0(VALU_DEP_1) | instskip(NEXT) | instid1(VALU_DEP_1)
	v_and_b32_e32 v50, 0x700000, v50
	v_or3_b32 v51, v50, v51, v33
.LBB338_619:                            ;   in Loop: Header=BB338_523 Depth=1
	s_or_b32 exec_lo, exec_lo, s16
.LBB338_620:                            ;   in Loop: Header=BB338_523 Depth=1
	s_delay_alu instid0(SALU_CYCLE_1)
	s_or_b32 exec_lo, exec_lo, s15
.LBB338_621:                            ;   in Loop: Header=BB338_523 Depth=1
	s_delay_alu instid0(SALU_CYCLE_1) | instskip(SKIP_2) | instid1(VALU_DEP_1)
	s_or_b32 exec_lo, exec_lo, s14
	v_lshrrev_b16 v33, 8, v18
	s_mov_b32 s14, exec_lo
	v_cmpx_ne_u16_e32 0, v33
	s_cbranch_execz .LBB338_629
; %bb.622:                              ;   in Loop: Header=BB338_523 Depth=1
	v_bfrev_b32_e32 v32, 1
	s_mov_b32 s15, exec_lo
	v_cmpx_ne_u16_e32 0x80, v33
	s_cbranch_execz .LBB338_628
; %bb.623:                              ;   in Loop: Header=BB338_523 Depth=1
	v_and_b32_e32 v33, 0xffff, v33
	v_mov_b32_e32 v32, 0x7f800001
	s_mov_b32 s16, exec_lo
	s_delay_alu instid0(VALU_DEP_2) | instskip(NEXT) | instid1(VALU_DEP_1)
	v_and_b32_e32 v52, 0x7f, v33
	v_cmpx_ne_u32_e32 0x7f, v52
	s_cbranch_execz .LBB338_627
; %bb.624:                              ;   in Loop: Header=BB338_523 Depth=1
	v_dual_mov_b32 v33, v19 :: v_dual_bitop2_b32 v32, 7, v33 bitop3:0x40
	v_lshrrev_b32_e32 v50, 3, v52
	s_mov_b32 s17, exec_lo
	v_cmpx_gt_u32_e32 8, v52
; %bb.625:                              ;   in Loop: Header=BB338_523 Depth=1
	s_delay_alu instid0(VALU_DEP_3) | instskip(NEXT) | instid1(VALU_DEP_1)
	v_clz_i32_u32_e32 v50, v32
	v_min_u32_e32 v50, 32, v50
	s_delay_alu instid0(VALU_DEP_1) | instskip(NEXT) | instid1(VALU_DEP_1)
	v_subrev_nc_u32_e32 v52, 28, v50
	v_lshlrev_b64_e32 v[32:33], v52, v[32:33]
	s_delay_alu instid0(VALU_DEP_1)
	v_dual_sub_nc_u32 v50, 29, v50 :: v_dual_bitop2_b32 v32, 7, v32 bitop3:0x40
; %bb.626:                              ;   in Loop: Header=BB338_523 Depth=1
	s_or_b32 exec_lo, exec_lo, s17
	s_delay_alu instid0(VALU_DEP_1) | instskip(NEXT) | instid1(VALU_DEP_2)
	v_dual_lshlrev_b32 v18, 16, v18 :: v_dual_lshlrev_b32 v32, 20, v32
	v_lshl_add_u32 v33, v50, 23, 0x3c000000
	s_delay_alu instid0(VALU_DEP_2) | instskip(NEXT) | instid1(VALU_DEP_1)
	v_and_b32_e32 v18, 0x80000000, v18
	v_or3_b32 v32, v32, v18, v33
.LBB338_627:                            ;   in Loop: Header=BB338_523 Depth=1
	s_or_b32 exec_lo, exec_lo, s16
.LBB338_628:                            ;   in Loop: Header=BB338_523 Depth=1
	s_delay_alu instid0(SALU_CYCLE_1)
	s_or_b32 exec_lo, exec_lo, s15
.LBB338_629:                            ;   in Loop: Header=BB338_523 Depth=1
	s_delay_alu instid0(SALU_CYCLE_1) | instskip(SKIP_3) | instid1(VALU_DEP_2)
	s_or_b32 exec_lo, exec_lo, s14
	v_dual_mov_b32 v33, 0 :: v_dual_lshrrev_b32 v50, 16, v31
	v_mov_b32_e32 v52, 0
	s_mov_b32 s14, exec_lo
	v_and_b32_e32 v18, 0xff, v50
	s_delay_alu instid0(VALU_DEP_1)
	v_cmpx_ne_u16_e32 0, v18
	s_cbranch_execz .LBB338_637
; %bb.630:                              ;   in Loop: Header=BB338_523 Depth=1
	v_bfrev_b32_e32 v52, 1
	s_mov_b32 s15, exec_lo
	v_cmpx_ne_u16_e32 0x80, v18
	s_cbranch_execz .LBB338_636
; %bb.631:                              ;   in Loop: Header=BB338_523 Depth=1
	v_bfe_u32 v53, v31, 16, 7
	v_mov_b32_e32 v52, 0x7f800001
	s_mov_b32 s16, exec_lo
	s_delay_alu instid0(VALU_DEP_2)
	v_cmpx_ne_u32_e32 0x7f, v53
	s_cbranch_execz .LBB338_635
; %bb.632:                              ;   in Loop: Header=BB338_523 Depth=1
	v_dual_lshrrev_b32 v52, 3, v53 :: v_dual_bitop2_b32 v18, 7, v50 bitop3:0x40
	s_mov_b32 s17, exec_lo
	v_cmpx_gt_u32_e32 8, v53
; %bb.633:                              ;   in Loop: Header=BB338_523 Depth=1
	s_delay_alu instid0(VALU_DEP_2) | instskip(NEXT) | instid1(VALU_DEP_1)
	v_clz_i32_u32_e32 v52, v18
	v_min_u32_e32 v52, 32, v52
	s_delay_alu instid0(VALU_DEP_1) | instskip(NEXT) | instid1(VALU_DEP_1)
	v_subrev_nc_u32_e32 v53, 28, v52
	v_lshlrev_b64_e32 v[54:55], v53, v[18:19]
	s_delay_alu instid0(VALU_DEP_1)
	v_dual_sub_nc_u32 v52, 29, v52 :: v_dual_bitop2_b32 v18, 7, v54 bitop3:0x40
; %bb.634:                              ;   in Loop: Header=BB338_523 Depth=1
	s_or_b32 exec_lo, exec_lo, s17
	v_lshlrev_b32_e32 v50, 24, v50
	s_delay_alu instid0(VALU_DEP_2) | instskip(NEXT) | instid1(VALU_DEP_3)
	v_lshlrev_b32_e32 v18, 20, v18
	v_lshl_add_u32 v52, v52, 23, 0x3c000000
	s_delay_alu instid0(VALU_DEP_3) | instskip(NEXT) | instid1(VALU_DEP_1)
	v_and_b32_e32 v50, 0x80000000, v50
	v_or3_b32 v52, v18, v50, v52
.LBB338_635:                            ;   in Loop: Header=BB338_523 Depth=1
	s_or_b32 exec_lo, exec_lo, s16
.LBB338_636:                            ;   in Loop: Header=BB338_523 Depth=1
	s_delay_alu instid0(SALU_CYCLE_1)
	s_or_b32 exec_lo, exec_lo, s15
.LBB338_637:                            ;   in Loop: Header=BB338_523 Depth=1
	s_delay_alu instid0(SALU_CYCLE_1) | instskip(NEXT) | instid1(SALU_CYCLE_1)
	s_or_b32 exec_lo, exec_lo, s14
	s_mov_b32 s14, exec_lo
	v_cmpx_lt_u64_e64 s[2:3], v[30:31]
	s_cbranch_execz .LBB338_645
; %bb.638:                              ;   in Loop: Header=BB338_523 Depth=1
	v_lshrrev_b32_e32 v30, 24, v31
	v_bfrev_b32_e32 v33, 1
	s_mov_b32 s15, exec_lo
	s_delay_alu instid0(VALU_DEP_2)
	v_cmpx_ne_u32_e32 0x80, v30
	s_cbranch_execz .LBB338_644
; %bb.639:                              ;   in Loop: Header=BB338_523 Depth=1
	v_bfe_u32 v50, v31, 24, 7
	v_mov_b32_e32 v33, 0x7f800001
	s_mov_b32 s16, exec_lo
	s_delay_alu instid0(VALU_DEP_2)
	v_cmpx_ne_u32_e32 0x7f, v50
	s_cbranch_execz .LBB338_643
; %bb.640:                              ;   in Loop: Header=BB338_523 Depth=1
	v_and_b32_e32 v18, 7, v30
	v_lshrrev_b32_e32 v31, 3, v50
	s_mov_b32 s17, exec_lo
	v_cmpx_gt_u32_e32 8, v50
; %bb.641:                              ;   in Loop: Header=BB338_523 Depth=1
	s_delay_alu instid0(VALU_DEP_3) | instskip(NEXT) | instid1(VALU_DEP_1)
	v_clz_i32_u32_e32 v31, v18
	v_min_u32_e32 v31, 32, v31
	s_delay_alu instid0(VALU_DEP_1) | instskip(NEXT) | instid1(VALU_DEP_1)
	v_subrev_nc_u32_e32 v33, 28, v31
	v_lshlrev_b64_e32 v[54:55], v33, v[18:19]
	s_delay_alu instid0(VALU_DEP_1)
	v_dual_sub_nc_u32 v31, 29, v31 :: v_dual_bitop2_b32 v18, 7, v54 bitop3:0x40
; %bb.642:                              ;   in Loop: Header=BB338_523 Depth=1
	s_or_b32 exec_lo, exec_lo, s17
	v_lshlrev_b32_e32 v30, 24, v30
	s_delay_alu instid0(VALU_DEP_2) | instskip(NEXT) | instid1(VALU_DEP_3)
	v_lshlrev_b32_e32 v18, 20, v18
	v_lshl_add_u32 v31, v31, 23, 0x3c000000
	s_delay_alu instid0(VALU_DEP_3) | instskip(NEXT) | instid1(VALU_DEP_1)
	v_and_b32_e32 v30, 0x80000000, v30
	v_or3_b32 v33, v18, v30, v31
.LBB338_643:                            ;   in Loop: Header=BB338_523 Depth=1
	s_or_b32 exec_lo, exec_lo, s16
.LBB338_644:                            ;   in Loop: Header=BB338_523 Depth=1
	s_delay_alu instid0(SALU_CYCLE_1)
	s_or_b32 exec_lo, exec_lo, s15
.LBB338_645:                            ;   in Loop: Header=BB338_523 Depth=1
	s_delay_alu instid0(SALU_CYCLE_1)
	s_or_b32 exec_lo, exec_lo, s14
	v_fma_mixlo_bf16 v50, s25, v32, 0
	v_fma_mixlo_bf16 v51, s25, v51, 0
	;; [unrolled: 1-line block ×8, first 2 shown]
	s_and_saveexec_b32 s14, s0
	s_cbranch_execz .LBB338_647
; %bb.646:                              ;   in Loop: Header=BB338_523 Depth=1
	v_dual_add_nc_u32 v0, -6, v38 :: v_dual_add_nc_u32 v1, -5, v38
	v_cmp_gt_i32_e64 s1, s23, v49
	s_delay_alu instid0(VALU_DEP_1) | instskip(NEXT) | instid1(VALU_DEP_3)
	v_dual_add_nc_u32 v18, -2, v38 :: v_dual_cndmask_b32 v57, 0, v57, s1
	v_cmp_gt_i32_e64 s1, s23, v0
	s_delay_alu instid0(VALU_DEP_1) | instskip(SKIP_2) | instid1(VALU_DEP_2)
	v_cndmask_b32_e64 v56, 0, v56, s1
	v_cmp_gt_i32_e64 s1, s23, v1
	v_dual_add_nc_u32 v0, -4, v38 :: v_dual_add_nc_u32 v1, -3, v38
	v_cndmask_b32_e64 v55, 0, v55, s1
	s_delay_alu instid0(VALU_DEP_2) | instskip(SKIP_1) | instid1(VALU_DEP_2)
	v_cmp_gt_i32_e64 s1, s23, v0
	v_add_nc_u32_e32 v0, -1, v38
	v_cndmask_b32_e64 v54, 0, v54, s1
	v_cmp_gt_i32_e64 s1, s23, v1
	s_delay_alu instid0(VALU_DEP_1) | instskip(SKIP_1) | instid1(VALU_DEP_1)
	v_cndmask_b32_e64 v51, 0, v51, s1
	v_cmp_gt_i32_e64 s1, s23, v18
	v_cndmask_b32_e64 v50, 0, v50, s1
	v_cmp_gt_i32_e64 s1, s23, v0
	s_delay_alu instid0(VALU_DEP_1) | instskip(SKIP_1) | instid1(VALU_DEP_1)
	v_cndmask_b32_e64 v52, 0, v52, s1
	v_cmp_gt_i32_e64 s1, s23, v38
	v_cndmask_b32_e64 v53, 0, v53, s1
.LBB338_647:                            ;   in Loop: Header=BB338_523 Depth=1
	s_or_b32 exec_lo, exec_lo, s14
	global_load_b64 v[30:31], v[28:29], off offset:512
	v_dual_mov_b32 v1, 0 :: v_dual_mov_b32 v0, 0
	s_mov_b32 s14, exec_lo
	s_wait_loadcnt 0x0
	v_and_b32_e32 v18, 0xff, v30
	s_delay_alu instid0(VALU_DEP_1)
	v_cmpx_ne_u16_e32 0, v18
	s_cbranch_execz .LBB338_653
; %bb.648:                              ;   in Loop: Header=BB338_523 Depth=1
	v_bfrev_b32_e32 v0, 1
	s_mov_b32 s15, exec_lo
	v_cmpx_ne_u16_e32 0x80, v18
	s_cbranch_execz .LBB338_652
; %bb.649:                              ;   in Loop: Header=BB338_523 Depth=1
	v_and_b32_e32 v18, 0x7f, v30
	v_mov_b32_e32 v0, 0x7f800001
	s_mov_b32 s16, exec_lo
	s_delay_alu instid0(VALU_DEP_2)
	v_cmpx_ne_u32_e32 0x7f, v18
	s_cbranch_execz .LBB338_651
; %bb.650:                              ;   in Loop: Header=BB338_523 Depth=1
	v_cmp_gt_u32_e64 s1, 8, v18
	v_and_b32_e32 v0, 7, v30
	s_delay_alu instid0(VALU_DEP_1) | instskip(NEXT) | instid1(VALU_DEP_1)
	v_clz_i32_u32_e32 v0, v0
	v_min_u32_e32 v0, 32, v0
	v_lshrrev_b32_e32 v32, 3, v18
	s_delay_alu instid0(VALU_DEP_2) | instskip(NEXT) | instid1(VALU_DEP_1)
	v_subrev_nc_u32_e32 v33, 28, v0
	v_dual_sub_nc_u32 v0, 29, v0 :: v_dual_cndmask_b32 v18, 0, v33, s1
	s_delay_alu instid0(VALU_DEP_1) | instskip(NEXT) | instid1(VALU_DEP_2)
	v_cndmask_b32_e64 v0, v32, v0, s1
	v_lshlrev_b64_e32 v[32:33], v18, v[30:31]
	v_lshlrev_b32_e32 v18, 24, v30
	s_delay_alu instid0(VALU_DEP_3) | instskip(NEXT) | instid1(VALU_DEP_2)
	v_lshl_add_u32 v0, v0, 23, 0x3c000000
	v_and_b32_e32 v18, 0x80000000, v18
	s_delay_alu instid0(VALU_DEP_4) | instskip(NEXT) | instid1(VALU_DEP_1)
	v_lshlrev_b32_e32 v32, 20, v32
	v_and_b32_e32 v32, 0x700000, v32
	s_delay_alu instid0(VALU_DEP_1)
	v_or3_b32 v0, v32, v18, v0
.LBB338_651:                            ;   in Loop: Header=BB338_523 Depth=1
	s_or_b32 exec_lo, exec_lo, s16
.LBB338_652:                            ;   in Loop: Header=BB338_523 Depth=1
	s_delay_alu instid0(SALU_CYCLE_1)
	s_or_b32 exec_lo, exec_lo, s15
.LBB338_653:                            ;   in Loop: Header=BB338_523 Depth=1
	s_delay_alu instid0(SALU_CYCLE_1) | instskip(SKIP_2) | instid1(VALU_DEP_1)
	s_or_b32 exec_lo, exec_lo, s14
	v_lshrrev_b16 v18, 8, v30
	s_mov_b32 s14, exec_lo
	v_cmpx_ne_u16_e32 0, v18
	s_cbranch_execz .LBB338_661
; %bb.654:                              ;   in Loop: Header=BB338_523 Depth=1
	v_bfrev_b32_e32 v1, 1
	s_mov_b32 s15, exec_lo
	v_cmpx_ne_u16_e32 0x80, v18
	s_cbranch_execz .LBB338_660
; %bb.655:                              ;   in Loop: Header=BB338_523 Depth=1
	v_and_b32_e32 v18, 0xffff, v18
	v_mov_b32_e32 v1, 0x7f800001
	s_mov_b32 s16, exec_lo
	s_delay_alu instid0(VALU_DEP_2) | instskip(NEXT) | instid1(VALU_DEP_1)
	v_and_b32_e32 v32, 0x7f, v18
	v_cmpx_ne_u32_e32 0x7f, v32
	s_cbranch_execz .LBB338_659
; %bb.656:                              ;   in Loop: Header=BB338_523 Depth=1
	v_dual_lshrrev_b32 v1, 3, v32 :: v_dual_bitop2_b32 v18, 7, v18 bitop3:0x40
	s_mov_b32 s17, exec_lo
	v_cmpx_gt_u32_e32 8, v32
; %bb.657:                              ;   in Loop: Header=BB338_523 Depth=1
	s_delay_alu instid0(VALU_DEP_2) | instskip(NEXT) | instid1(VALU_DEP_1)
	v_clz_i32_u32_e32 v1, v18
	v_min_u32_e32 v1, 32, v1
	s_delay_alu instid0(VALU_DEP_1) | instskip(NEXT) | instid1(VALU_DEP_1)
	v_subrev_nc_u32_e32 v32, 28, v1
	v_lshlrev_b64_e32 v[32:33], v32, v[18:19]
	s_delay_alu instid0(VALU_DEP_1)
	v_dual_sub_nc_u32 v1, 29, v1 :: v_dual_bitop2_b32 v18, 7, v32 bitop3:0x40
; %bb.658:                              ;   in Loop: Header=BB338_523 Depth=1
	s_or_b32 exec_lo, exec_lo, s17
	v_lshlrev_b32_e32 v32, 16, v30
	s_delay_alu instid0(VALU_DEP_2) | instskip(NEXT) | instid1(VALU_DEP_3)
	v_lshlrev_b32_e32 v18, 20, v18
	v_lshl_add_u32 v1, v1, 23, 0x3c000000
	s_delay_alu instid0(VALU_DEP_3) | instskip(NEXT) | instid1(VALU_DEP_1)
	v_and_b32_e32 v32, 0x80000000, v32
	v_or3_b32 v1, v18, v32, v1
.LBB338_659:                            ;   in Loop: Header=BB338_523 Depth=1
	s_or_b32 exec_lo, exec_lo, s16
.LBB338_660:                            ;   in Loop: Header=BB338_523 Depth=1
	s_delay_alu instid0(SALU_CYCLE_1)
	s_or_b32 exec_lo, exec_lo, s15
.LBB338_661:                            ;   in Loop: Header=BB338_523 Depth=1
	s_delay_alu instid0(SALU_CYCLE_1) | instskip(SKIP_3) | instid1(VALU_DEP_2)
	s_or_b32 exec_lo, exec_lo, s14
	v_dual_mov_b32 v35, 0 :: v_dual_lshrrev_b32 v32, 16, v30
	v_mov_b32_e32 v34, 0
	s_mov_b32 s14, exec_lo
	v_and_b32_e32 v18, 0xff, v32
	s_delay_alu instid0(VALU_DEP_1)
	v_cmpx_ne_u16_e32 0, v18
	s_cbranch_execz .LBB338_669
; %bb.662:                              ;   in Loop: Header=BB338_523 Depth=1
	v_bfrev_b32_e32 v34, 1
	s_mov_b32 s15, exec_lo
	v_cmpx_ne_u16_e32 0x80, v18
	s_cbranch_execz .LBB338_668
; %bb.663:                              ;   in Loop: Header=BB338_523 Depth=1
	v_bfe_u32 v58, v30, 16, 7
	v_mov_b32_e32 v34, 0x7f800001
	s_mov_b32 s16, exec_lo
	s_delay_alu instid0(VALU_DEP_2)
	v_cmpx_ne_u32_e32 0x7f, v58
	s_cbranch_execz .LBB338_667
; %bb.664:                              ;   in Loop: Header=BB338_523 Depth=1
	v_dual_lshrrev_b32 v33, 3, v58 :: v_dual_bitop2_b32 v18, 7, v32 bitop3:0x40
	s_mov_b32 s17, exec_lo
	v_cmpx_gt_u32_e32 8, v58
; %bb.665:                              ;   in Loop: Header=BB338_523 Depth=1
	s_delay_alu instid0(VALU_DEP_2) | instskip(NEXT) | instid1(VALU_DEP_1)
	v_clz_i32_u32_e32 v33, v18
	v_min_u32_e32 v33, 32, v33
	s_delay_alu instid0(VALU_DEP_1) | instskip(NEXT) | instid1(VALU_DEP_1)
	v_subrev_nc_u32_e32 v34, 28, v33
	v_lshlrev_b64_e32 v[58:59], v34, v[18:19]
	s_delay_alu instid0(VALU_DEP_1)
	v_dual_sub_nc_u32 v33, 29, v33 :: v_dual_bitop2_b32 v18, 7, v58 bitop3:0x40
; %bb.666:                              ;   in Loop: Header=BB338_523 Depth=1
	s_or_b32 exec_lo, exec_lo, s17
	s_delay_alu instid0(VALU_DEP_1) | instskip(NEXT) | instid1(VALU_DEP_2)
	v_dual_lshlrev_b32 v32, 24, v32 :: v_dual_lshlrev_b32 v18, 20, v18
	v_lshl_add_u32 v33, v33, 23, 0x3c000000
	s_delay_alu instid0(VALU_DEP_2) | instskip(NEXT) | instid1(VALU_DEP_1)
	v_and_b32_e32 v32, 0x80000000, v32
	v_or3_b32 v34, v18, v32, v33
.LBB338_667:                            ;   in Loop: Header=BB338_523 Depth=1
	s_or_b32 exec_lo, exec_lo, s16
.LBB338_668:                            ;   in Loop: Header=BB338_523 Depth=1
	s_delay_alu instid0(SALU_CYCLE_1)
	s_or_b32 exec_lo, exec_lo, s15
.LBB338_669:                            ;   in Loop: Header=BB338_523 Depth=1
	s_delay_alu instid0(SALU_CYCLE_1) | instskip(NEXT) | instid1(SALU_CYCLE_1)
	s_or_b32 exec_lo, exec_lo, s14
	s_mov_b32 s14, exec_lo
	v_cmpx_lt_u32_e32 0xffffff, v30
	s_cbranch_execz .LBB338_677
; %bb.670:                              ;   in Loop: Header=BB338_523 Depth=1
	v_lshrrev_b32_e32 v32, 24, v30
	v_bfrev_b32_e32 v35, 1
	s_mov_b32 s15, exec_lo
	s_delay_alu instid0(VALU_DEP_2)
	v_cmpx_ne_u32_e32 0x80, v32
	s_cbranch_execz .LBB338_676
; %bb.671:                              ;   in Loop: Header=BB338_523 Depth=1
	v_bfe_u32 v58, v30, 24, 7
	v_mov_b32_e32 v35, 0x7f800001
	s_mov_b32 s16, exec_lo
	s_delay_alu instid0(VALU_DEP_2)
	v_cmpx_ne_u32_e32 0x7f, v58
	s_cbranch_execz .LBB338_675
; %bb.672:                              ;   in Loop: Header=BB338_523 Depth=1
	v_dual_lshrrev_b32 v33, 3, v58 :: v_dual_bitop2_b32 v18, 7, v32 bitop3:0x40
	s_mov_b32 s17, exec_lo
	v_cmpx_gt_u32_e32 8, v58
; %bb.673:                              ;   in Loop: Header=BB338_523 Depth=1
	s_delay_alu instid0(VALU_DEP_2) | instskip(NEXT) | instid1(VALU_DEP_1)
	v_clz_i32_u32_e32 v33, v18
	v_min_u32_e32 v33, 32, v33
	s_delay_alu instid0(VALU_DEP_1) | instskip(NEXT) | instid1(VALU_DEP_1)
	v_subrev_nc_u32_e32 v35, 28, v33
	v_lshlrev_b64_e32 v[58:59], v35, v[18:19]
	s_delay_alu instid0(VALU_DEP_1)
	v_dual_sub_nc_u32 v33, 29, v33 :: v_dual_bitop2_b32 v18, 7, v58 bitop3:0x40
; %bb.674:                              ;   in Loop: Header=BB338_523 Depth=1
	s_or_b32 exec_lo, exec_lo, s17
	s_delay_alu instid0(VALU_DEP_1) | instskip(NEXT) | instid1(VALU_DEP_2)
	v_dual_lshlrev_b32 v32, 24, v32 :: v_dual_lshlrev_b32 v18, 20, v18
	v_lshl_add_u32 v33, v33, 23, 0x3c000000
	s_delay_alu instid0(VALU_DEP_2) | instskip(NEXT) | instid1(VALU_DEP_1)
	v_and_b32_e32 v32, 0x80000000, v32
	v_or3_b32 v35, v18, v32, v33
.LBB338_675:                            ;   in Loop: Header=BB338_523 Depth=1
	s_or_b32 exec_lo, exec_lo, s16
.LBB338_676:                            ;   in Loop: Header=BB338_523 Depth=1
	s_delay_alu instid0(SALU_CYCLE_1)
	s_or_b32 exec_lo, exec_lo, s15
.LBB338_677:                            ;   in Loop: Header=BB338_523 Depth=1
	s_delay_alu instid0(SALU_CYCLE_1) | instskip(SKIP_4) | instid1(VALU_DEP_3)
	s_or_b32 exec_lo, exec_lo, s14
	v_and_b32_e32 v33, 0xff, v31
	v_dual_mov_b32 v18, v31 :: v_dual_mov_b32 v32, 0
	v_mov_b32_e32 v58, 0
	s_mov_b32 s14, exec_lo
	v_cmpx_ne_u16_e32 0, v33
	s_cbranch_execz .LBB338_683
; %bb.678:                              ;   in Loop: Header=BB338_523 Depth=1
	v_bfrev_b32_e32 v58, 1
	s_mov_b32 s15, exec_lo
	v_cmpx_ne_u16_e32 0x80, v33
	s_cbranch_execz .LBB338_682
; %bb.679:                              ;   in Loop: Header=BB338_523 Depth=1
	v_and_b32_e32 v33, 0x7f, v31
	v_mov_b32_e32 v58, 0x7f800001
	s_mov_b32 s16, exec_lo
	s_delay_alu instid0(VALU_DEP_2)
	v_cmpx_ne_u32_e32 0x7f, v33
	s_cbranch_execz .LBB338_681
; %bb.680:                              ;   in Loop: Header=BB338_523 Depth=1
	v_dual_lshrrev_b32 v59, 3, v33 :: v_dual_bitop2_b32 v58, 7, v31 bitop3:0x40
	v_cmp_gt_u32_e64 s1, 8, v33
	s_delay_alu instid0(VALU_DEP_2) | instskip(NEXT) | instid1(VALU_DEP_1)
	v_clz_i32_u32_e32 v58, v58
	v_min_u32_e32 v58, 32, v58
	s_delay_alu instid0(VALU_DEP_1) | instskip(SKIP_1) | instid1(VALU_DEP_1)
	v_subrev_nc_u32_e32 v60, 28, v58
	v_sub_nc_u32_e32 v58, 29, v58
	v_dual_cndmask_b32 v33, v59, v58, s1 :: v_dual_cndmask_b32 v58, 0, v60, s1
	s_delay_alu instid0(VALU_DEP_1) | instskip(NEXT) | instid1(VALU_DEP_2)
	v_lshl_add_u32 v33, v33, 23, 0x3c000000
	v_lshlrev_b64_e32 v[58:59], v58, v[18:19]
	v_lshlrev_b32_e32 v59, 24, v18
	s_delay_alu instid0(VALU_DEP_1) | instskip(NEXT) | instid1(VALU_DEP_3)
	v_and_b32_e32 v59, 0x80000000, v59
	v_lshlrev_b32_e32 v58, 20, v58
	s_delay_alu instid0(VALU_DEP_1) | instskip(NEXT) | instid1(VALU_DEP_1)
	v_and_b32_e32 v58, 0x700000, v58
	v_or3_b32 v58, v58, v59, v33
.LBB338_681:                            ;   in Loop: Header=BB338_523 Depth=1
	s_or_b32 exec_lo, exec_lo, s16
.LBB338_682:                            ;   in Loop: Header=BB338_523 Depth=1
	s_delay_alu instid0(SALU_CYCLE_1)
	s_or_b32 exec_lo, exec_lo, s15
.LBB338_683:                            ;   in Loop: Header=BB338_523 Depth=1
	s_delay_alu instid0(SALU_CYCLE_1) | instskip(SKIP_2) | instid1(VALU_DEP_1)
	s_or_b32 exec_lo, exec_lo, s14
	v_lshrrev_b16 v33, 8, v18
	s_mov_b32 s14, exec_lo
	v_cmpx_ne_u16_e32 0, v33
	s_cbranch_execz .LBB338_691
; %bb.684:                              ;   in Loop: Header=BB338_523 Depth=1
	v_bfrev_b32_e32 v32, 1
	s_mov_b32 s15, exec_lo
	v_cmpx_ne_u16_e32 0x80, v33
	s_cbranch_execz .LBB338_690
; %bb.685:                              ;   in Loop: Header=BB338_523 Depth=1
	v_and_b32_e32 v33, 0xffff, v33
	v_mov_b32_e32 v32, 0x7f800001
	s_mov_b32 s16, exec_lo
	s_delay_alu instid0(VALU_DEP_2) | instskip(NEXT) | instid1(VALU_DEP_1)
	v_and_b32_e32 v60, 0x7f, v33
	v_cmpx_ne_u32_e32 0x7f, v60
	s_cbranch_execz .LBB338_689
; %bb.686:                              ;   in Loop: Header=BB338_523 Depth=1
	v_dual_mov_b32 v33, v19 :: v_dual_bitop2_b32 v32, 7, v33 bitop3:0x40
	v_lshrrev_b32_e32 v59, 3, v60
	s_mov_b32 s17, exec_lo
	v_cmpx_gt_u32_e32 8, v60
; %bb.687:                              ;   in Loop: Header=BB338_523 Depth=1
	s_delay_alu instid0(VALU_DEP_3) | instskip(NEXT) | instid1(VALU_DEP_1)
	v_clz_i32_u32_e32 v59, v32
	v_min_u32_e32 v59, 32, v59
	s_delay_alu instid0(VALU_DEP_1) | instskip(NEXT) | instid1(VALU_DEP_1)
	v_subrev_nc_u32_e32 v60, 28, v59
	v_lshlrev_b64_e32 v[32:33], v60, v[32:33]
	s_delay_alu instid0(VALU_DEP_1)
	v_dual_sub_nc_u32 v59, 29, v59 :: v_dual_bitop2_b32 v32, 7, v32 bitop3:0x40
; %bb.688:                              ;   in Loop: Header=BB338_523 Depth=1
	s_or_b32 exec_lo, exec_lo, s17
	s_delay_alu instid0(VALU_DEP_1) | instskip(NEXT) | instid1(VALU_DEP_2)
	v_dual_lshlrev_b32 v18, 16, v18 :: v_dual_lshlrev_b32 v32, 20, v32
	v_lshl_add_u32 v33, v59, 23, 0x3c000000
	s_delay_alu instid0(VALU_DEP_2) | instskip(NEXT) | instid1(VALU_DEP_1)
	v_and_b32_e32 v18, 0x80000000, v18
	v_or3_b32 v32, v32, v18, v33
.LBB338_689:                            ;   in Loop: Header=BB338_523 Depth=1
	s_or_b32 exec_lo, exec_lo, s16
.LBB338_690:                            ;   in Loop: Header=BB338_523 Depth=1
	s_delay_alu instid0(SALU_CYCLE_1)
	s_or_b32 exec_lo, exec_lo, s15
.LBB338_691:                            ;   in Loop: Header=BB338_523 Depth=1
	s_delay_alu instid0(SALU_CYCLE_1) | instskip(SKIP_3) | instid1(VALU_DEP_2)
	s_or_b32 exec_lo, exec_lo, s14
	v_dual_mov_b32 v33, 0 :: v_dual_lshrrev_b32 v60, 16, v31
	v_mov_b32_e32 v59, 0
	s_mov_b32 s14, exec_lo
	v_and_b32_e32 v18, 0xff, v60
	s_delay_alu instid0(VALU_DEP_1)
	v_cmpx_ne_u16_e32 0, v18
	s_cbranch_execz .LBB338_699
; %bb.692:                              ;   in Loop: Header=BB338_523 Depth=1
	v_bfrev_b32_e32 v59, 1
	s_mov_b32 s15, exec_lo
	v_cmpx_ne_u16_e32 0x80, v18
	s_cbranch_execz .LBB338_698
; %bb.693:                              ;   in Loop: Header=BB338_523 Depth=1
	v_bfe_u32 v61, v31, 16, 7
	v_mov_b32_e32 v59, 0x7f800001
	s_mov_b32 s16, exec_lo
	s_delay_alu instid0(VALU_DEP_2)
	v_cmpx_ne_u32_e32 0x7f, v61
	s_cbranch_execz .LBB338_697
; %bb.694:                              ;   in Loop: Header=BB338_523 Depth=1
	v_dual_lshrrev_b32 v59, 3, v61 :: v_dual_bitop2_b32 v18, 7, v60 bitop3:0x40
	s_mov_b32 s17, exec_lo
	v_cmpx_gt_u32_e32 8, v61
; %bb.695:                              ;   in Loop: Header=BB338_523 Depth=1
	s_delay_alu instid0(VALU_DEP_2) | instskip(NEXT) | instid1(VALU_DEP_1)
	v_clz_i32_u32_e32 v59, v18
	v_min_u32_e32 v59, 32, v59
	s_delay_alu instid0(VALU_DEP_1) | instskip(NEXT) | instid1(VALU_DEP_1)
	v_subrev_nc_u32_e32 v61, 28, v59
	v_lshlrev_b64_e32 v[62:63], v61, v[18:19]
	s_delay_alu instid0(VALU_DEP_1)
	v_dual_sub_nc_u32 v59, 29, v59 :: v_dual_bitop2_b32 v18, 7, v62 bitop3:0x40
; %bb.696:                              ;   in Loop: Header=BB338_523 Depth=1
	s_or_b32 exec_lo, exec_lo, s17
	s_delay_alu instid0(VALU_DEP_1) | instskip(NEXT) | instid1(VALU_DEP_2)
	v_dual_lshlrev_b32 v60, 24, v60 :: v_dual_lshlrev_b32 v18, 20, v18
	v_lshl_add_u32 v59, v59, 23, 0x3c000000
	s_delay_alu instid0(VALU_DEP_2) | instskip(NEXT) | instid1(VALU_DEP_1)
	v_and_b32_e32 v60, 0x80000000, v60
	v_or3_b32 v59, v18, v60, v59
.LBB338_697:                            ;   in Loop: Header=BB338_523 Depth=1
	s_or_b32 exec_lo, exec_lo, s16
.LBB338_698:                            ;   in Loop: Header=BB338_523 Depth=1
	s_delay_alu instid0(SALU_CYCLE_1)
	s_or_b32 exec_lo, exec_lo, s15
.LBB338_699:                            ;   in Loop: Header=BB338_523 Depth=1
	s_delay_alu instid0(SALU_CYCLE_1) | instskip(NEXT) | instid1(SALU_CYCLE_1)
	s_or_b32 exec_lo, exec_lo, s14
	s_mov_b32 s14, exec_lo
	v_cmpx_lt_u64_e64 s[2:3], v[30:31]
	s_cbranch_execz .LBB338_707
; %bb.700:                              ;   in Loop: Header=BB338_523 Depth=1
	v_lshrrev_b32_e32 v30, 24, v31
	v_bfrev_b32_e32 v33, 1
	s_mov_b32 s15, exec_lo
	s_delay_alu instid0(VALU_DEP_2)
	v_cmpx_ne_u32_e32 0x80, v30
	s_cbranch_execz .LBB338_706
; %bb.701:                              ;   in Loop: Header=BB338_523 Depth=1
	v_bfe_u32 v60, v31, 24, 7
	v_mov_b32_e32 v33, 0x7f800001
	s_mov_b32 s16, exec_lo
	s_delay_alu instid0(VALU_DEP_2)
	v_cmpx_ne_u32_e32 0x7f, v60
	s_cbranch_execz .LBB338_705
; %bb.702:                              ;   in Loop: Header=BB338_523 Depth=1
	v_dual_lshrrev_b32 v31, 3, v60 :: v_dual_bitop2_b32 v18, 7, v30 bitop3:0x40
	s_mov_b32 s17, exec_lo
	v_cmpx_gt_u32_e32 8, v60
; %bb.703:                              ;   in Loop: Header=BB338_523 Depth=1
	s_delay_alu instid0(VALU_DEP_2) | instskip(NEXT) | instid1(VALU_DEP_1)
	v_clz_i32_u32_e32 v31, v18
	v_min_u32_e32 v31, 32, v31
	s_delay_alu instid0(VALU_DEP_1) | instskip(NEXT) | instid1(VALU_DEP_1)
	v_subrev_nc_u32_e32 v33, 28, v31
	v_lshlrev_b64_e32 v[60:61], v33, v[18:19]
	s_delay_alu instid0(VALU_DEP_1)
	v_dual_sub_nc_u32 v31, 29, v31 :: v_dual_bitop2_b32 v18, 7, v60 bitop3:0x40
; %bb.704:                              ;   in Loop: Header=BB338_523 Depth=1
	s_or_b32 exec_lo, exec_lo, s17
	v_lshlrev_b32_e32 v30, 24, v30
	s_delay_alu instid0(VALU_DEP_2) | instskip(NEXT) | instid1(VALU_DEP_3)
	v_lshlrev_b32_e32 v18, 20, v18
	v_lshl_add_u32 v31, v31, 23, 0x3c000000
	s_delay_alu instid0(VALU_DEP_3) | instskip(NEXT) | instid1(VALU_DEP_1)
	v_and_b32_e32 v30, 0x80000000, v30
	v_or3_b32 v33, v18, v30, v31
.LBB338_705:                            ;   in Loop: Header=BB338_523 Depth=1
	s_or_b32 exec_lo, exec_lo, s16
.LBB338_706:                            ;   in Loop: Header=BB338_523 Depth=1
	s_delay_alu instid0(SALU_CYCLE_1)
	s_or_b32 exec_lo, exec_lo, s15
.LBB338_707:                            ;   in Loop: Header=BB338_523 Depth=1
	s_delay_alu instid0(SALU_CYCLE_1)
	s_or_b32 exec_lo, exec_lo, s14
	v_fma_mixlo_bf16 v60, s25, v32, 0
	v_fma_mixlo_bf16 v61, s25, v58, 0
	v_fma_mixlo_bf16 v62, s25, v35, 0
	v_fma_mixlo_bf16 v63, s25, v34, 0
	v_fma_mixlo_bf16 v64, s25, v1, 0
	v_fma_mixlo_bf16 v65, s25, v0, 0
	v_fma_mixlo_bf16 v58, s25, v59, 0
	v_fma_mixlo_bf16 v59, s25, v33, 0
	s_and_saveexec_b32 s14, s0
	s_cbranch_execz .LBB338_709
; %bb.708:                              ;   in Loop: Header=BB338_523 Depth=1
	v_dual_add_nc_u32 v0, -6, v38 :: v_dual_add_nc_u32 v1, -5, v38
	v_cmp_gt_i32_e64 s1, s23, v49
	s_delay_alu instid0(VALU_DEP_1) | instskip(NEXT) | instid1(VALU_DEP_3)
	v_dual_add_nc_u32 v18, -2, v38 :: v_dual_cndmask_b32 v65, 0, v65, s1
	v_cmp_gt_i32_e64 s1, s23, v0
	s_delay_alu instid0(VALU_DEP_1) | instskip(SKIP_2) | instid1(VALU_DEP_2)
	v_cndmask_b32_e64 v64, 0, v64, s1
	v_cmp_gt_i32_e64 s1, s23, v1
	v_dual_add_nc_u32 v0, -4, v38 :: v_dual_add_nc_u32 v1, -3, v38
	v_cndmask_b32_e64 v63, 0, v63, s1
	s_delay_alu instid0(VALU_DEP_2) | instskip(NEXT) | instid1(VALU_DEP_1)
	v_cmp_gt_i32_e64 s1, s23, v0
	v_cndmask_b32_e64 v62, 0, v62, s1
	s_delay_alu instid0(VALU_DEP_4) | instskip(NEXT) | instid1(VALU_DEP_1)
	v_cmp_gt_i32_e64 s1, s23, v1
	v_cndmask_b32_e64 v61, 0, v61, s1
	v_cmp_gt_i32_e64 s1, s23, v18
	s_delay_alu instid0(VALU_DEP_1) | instskip(NEXT) | instid1(VALU_DEP_1)
	v_dual_add_nc_u32 v0, -1, v38 :: v_dual_cndmask_b32 v60, 0, v60, s1
	v_cmp_gt_i32_e64 s1, s23, v0
	s_delay_alu instid0(VALU_DEP_1) | instskip(SKIP_1) | instid1(VALU_DEP_1)
	v_cndmask_b32_e64 v58, 0, v58, s1
	v_cmp_gt_i32_e64 s1, s23, v38
	v_cndmask_b32_e64 v59, 0, v59, s1
.LBB338_709:                            ;   in Loop: Header=BB338_523 Depth=1
	s_or_b32 exec_lo, exec_lo, s14
	global_load_b64 v[30:31], v[28:29], off offset:768
	v_dual_mov_b32 v1, 0 :: v_dual_mov_b32 v0, 0
	s_mov_b32 s14, exec_lo
	s_wait_loadcnt 0x0
	v_and_b32_e32 v18, 0xff, v30
	s_delay_alu instid0(VALU_DEP_1)
	v_cmpx_ne_u16_e32 0, v18
	s_cbranch_execz .LBB338_715
; %bb.710:                              ;   in Loop: Header=BB338_523 Depth=1
	v_bfrev_b32_e32 v0, 1
	s_mov_b32 s15, exec_lo
	v_cmpx_ne_u16_e32 0x80, v18
	s_cbranch_execz .LBB338_714
; %bb.711:                              ;   in Loop: Header=BB338_523 Depth=1
	v_and_b32_e32 v18, 0x7f, v30
	v_mov_b32_e32 v0, 0x7f800001
	s_mov_b32 s16, exec_lo
	s_delay_alu instid0(VALU_DEP_2)
	v_cmpx_ne_u32_e32 0x7f, v18
	s_cbranch_execz .LBB338_713
; %bb.712:                              ;   in Loop: Header=BB338_523 Depth=1
	v_cmp_gt_u32_e64 s1, 8, v18
	v_and_b32_e32 v0, 7, v30
	s_delay_alu instid0(VALU_DEP_1) | instskip(NEXT) | instid1(VALU_DEP_1)
	v_clz_i32_u32_e32 v0, v0
	v_min_u32_e32 v0, 32, v0
	v_lshrrev_b32_e32 v32, 3, v18
	s_delay_alu instid0(VALU_DEP_2) | instskip(NEXT) | instid1(VALU_DEP_1)
	v_subrev_nc_u32_e32 v33, 28, v0
	v_dual_sub_nc_u32 v0, 29, v0 :: v_dual_cndmask_b32 v18, 0, v33, s1
	s_delay_alu instid0(VALU_DEP_1) | instskip(NEXT) | instid1(VALU_DEP_2)
	v_cndmask_b32_e64 v0, v32, v0, s1
	v_lshlrev_b64_e32 v[32:33], v18, v[30:31]
	v_lshlrev_b32_e32 v18, 24, v30
	s_delay_alu instid0(VALU_DEP_3) | instskip(NEXT) | instid1(VALU_DEP_2)
	v_lshl_add_u32 v0, v0, 23, 0x3c000000
	v_and_b32_e32 v18, 0x80000000, v18
	s_delay_alu instid0(VALU_DEP_4) | instskip(NEXT) | instid1(VALU_DEP_1)
	v_lshlrev_b32_e32 v32, 20, v32
	v_and_b32_e32 v32, 0x700000, v32
	s_delay_alu instid0(VALU_DEP_1)
	v_or3_b32 v0, v32, v18, v0
.LBB338_713:                            ;   in Loop: Header=BB338_523 Depth=1
	s_or_b32 exec_lo, exec_lo, s16
.LBB338_714:                            ;   in Loop: Header=BB338_523 Depth=1
	s_delay_alu instid0(SALU_CYCLE_1)
	s_or_b32 exec_lo, exec_lo, s15
.LBB338_715:                            ;   in Loop: Header=BB338_523 Depth=1
	s_delay_alu instid0(SALU_CYCLE_1) | instskip(SKIP_2) | instid1(VALU_DEP_1)
	s_or_b32 exec_lo, exec_lo, s14
	v_lshrrev_b16 v18, 8, v30
	s_mov_b32 s14, exec_lo
	v_cmpx_ne_u16_e32 0, v18
	s_cbranch_execz .LBB338_723
; %bb.716:                              ;   in Loop: Header=BB338_523 Depth=1
	v_bfrev_b32_e32 v1, 1
	s_mov_b32 s15, exec_lo
	v_cmpx_ne_u16_e32 0x80, v18
	s_cbranch_execz .LBB338_722
; %bb.717:                              ;   in Loop: Header=BB338_523 Depth=1
	v_and_b32_e32 v18, 0xffff, v18
	v_mov_b32_e32 v1, 0x7f800001
	s_mov_b32 s16, exec_lo
	s_delay_alu instid0(VALU_DEP_2) | instskip(NEXT) | instid1(VALU_DEP_1)
	v_and_b32_e32 v32, 0x7f, v18
	v_cmpx_ne_u32_e32 0x7f, v32
	s_cbranch_execz .LBB338_721
; %bb.718:                              ;   in Loop: Header=BB338_523 Depth=1
	v_dual_lshrrev_b32 v1, 3, v32 :: v_dual_bitop2_b32 v18, 7, v18 bitop3:0x40
	s_mov_b32 s17, exec_lo
	v_cmpx_gt_u32_e32 8, v32
; %bb.719:                              ;   in Loop: Header=BB338_523 Depth=1
	s_delay_alu instid0(VALU_DEP_2) | instskip(NEXT) | instid1(VALU_DEP_1)
	v_clz_i32_u32_e32 v1, v18
	v_min_u32_e32 v1, 32, v1
	s_delay_alu instid0(VALU_DEP_1) | instskip(NEXT) | instid1(VALU_DEP_1)
	v_subrev_nc_u32_e32 v32, 28, v1
	v_lshlrev_b64_e32 v[32:33], v32, v[18:19]
	s_delay_alu instid0(VALU_DEP_1)
	v_dual_sub_nc_u32 v1, 29, v1 :: v_dual_bitop2_b32 v18, 7, v32 bitop3:0x40
; %bb.720:                              ;   in Loop: Header=BB338_523 Depth=1
	s_or_b32 exec_lo, exec_lo, s17
	v_lshlrev_b32_e32 v32, 16, v30
	s_delay_alu instid0(VALU_DEP_2) | instskip(NEXT) | instid1(VALU_DEP_3)
	v_lshlrev_b32_e32 v18, 20, v18
	v_lshl_add_u32 v1, v1, 23, 0x3c000000
	s_delay_alu instid0(VALU_DEP_3) | instskip(NEXT) | instid1(VALU_DEP_1)
	v_and_b32_e32 v32, 0x80000000, v32
	v_or3_b32 v1, v18, v32, v1
.LBB338_721:                            ;   in Loop: Header=BB338_523 Depth=1
	s_or_b32 exec_lo, exec_lo, s16
.LBB338_722:                            ;   in Loop: Header=BB338_523 Depth=1
	s_delay_alu instid0(SALU_CYCLE_1)
	s_or_b32 exec_lo, exec_lo, s15
.LBB338_723:                            ;   in Loop: Header=BB338_523 Depth=1
	s_delay_alu instid0(SALU_CYCLE_1) | instskip(SKIP_3) | instid1(VALU_DEP_2)
	s_or_b32 exec_lo, exec_lo, s14
	v_dual_mov_b32 v35, 0 :: v_dual_lshrrev_b32 v32, 16, v30
	v_mov_b32_e32 v34, 0
	s_mov_b32 s14, exec_lo
	v_and_b32_e32 v18, 0xff, v32
	s_delay_alu instid0(VALU_DEP_1)
	v_cmpx_ne_u16_e32 0, v18
	s_cbranch_execz .LBB338_731
; %bb.724:                              ;   in Loop: Header=BB338_523 Depth=1
	v_bfrev_b32_e32 v34, 1
	s_mov_b32 s15, exec_lo
	v_cmpx_ne_u16_e32 0x80, v18
	s_cbranch_execz .LBB338_730
; %bb.725:                              ;   in Loop: Header=BB338_523 Depth=1
	v_bfe_u32 v66, v30, 16, 7
	v_mov_b32_e32 v34, 0x7f800001
	s_mov_b32 s16, exec_lo
	s_delay_alu instid0(VALU_DEP_2)
	v_cmpx_ne_u32_e32 0x7f, v66
	s_cbranch_execz .LBB338_729
; %bb.726:                              ;   in Loop: Header=BB338_523 Depth=1
	v_dual_lshrrev_b32 v33, 3, v66 :: v_dual_bitop2_b32 v18, 7, v32 bitop3:0x40
	s_mov_b32 s17, exec_lo
	v_cmpx_gt_u32_e32 8, v66
; %bb.727:                              ;   in Loop: Header=BB338_523 Depth=1
	s_delay_alu instid0(VALU_DEP_2) | instskip(NEXT) | instid1(VALU_DEP_1)
	v_clz_i32_u32_e32 v33, v18
	v_min_u32_e32 v33, 32, v33
	s_delay_alu instid0(VALU_DEP_1) | instskip(NEXT) | instid1(VALU_DEP_1)
	v_subrev_nc_u32_e32 v34, 28, v33
	v_lshlrev_b64_e32 v[66:67], v34, v[18:19]
	s_delay_alu instid0(VALU_DEP_1)
	v_dual_sub_nc_u32 v33, 29, v33 :: v_dual_bitop2_b32 v18, 7, v66 bitop3:0x40
; %bb.728:                              ;   in Loop: Header=BB338_523 Depth=1
	s_or_b32 exec_lo, exec_lo, s17
	s_delay_alu instid0(VALU_DEP_1) | instskip(NEXT) | instid1(VALU_DEP_2)
	v_dual_lshlrev_b32 v32, 24, v32 :: v_dual_lshlrev_b32 v18, 20, v18
	v_lshl_add_u32 v33, v33, 23, 0x3c000000
	s_delay_alu instid0(VALU_DEP_2) | instskip(NEXT) | instid1(VALU_DEP_1)
	v_and_b32_e32 v32, 0x80000000, v32
	v_or3_b32 v34, v18, v32, v33
.LBB338_729:                            ;   in Loop: Header=BB338_523 Depth=1
	s_or_b32 exec_lo, exec_lo, s16
.LBB338_730:                            ;   in Loop: Header=BB338_523 Depth=1
	s_delay_alu instid0(SALU_CYCLE_1)
	s_or_b32 exec_lo, exec_lo, s15
.LBB338_731:                            ;   in Loop: Header=BB338_523 Depth=1
	s_delay_alu instid0(SALU_CYCLE_1) | instskip(NEXT) | instid1(SALU_CYCLE_1)
	s_or_b32 exec_lo, exec_lo, s14
	s_mov_b32 s14, exec_lo
	v_cmpx_lt_u32_e32 0xffffff, v30
	s_cbranch_execz .LBB338_739
; %bb.732:                              ;   in Loop: Header=BB338_523 Depth=1
	v_lshrrev_b32_e32 v32, 24, v30
	v_bfrev_b32_e32 v35, 1
	s_mov_b32 s15, exec_lo
	s_delay_alu instid0(VALU_DEP_2)
	v_cmpx_ne_u32_e32 0x80, v32
	s_cbranch_execz .LBB338_738
; %bb.733:                              ;   in Loop: Header=BB338_523 Depth=1
	v_bfe_u32 v66, v30, 24, 7
	v_mov_b32_e32 v35, 0x7f800001
	s_mov_b32 s16, exec_lo
	s_delay_alu instid0(VALU_DEP_2)
	v_cmpx_ne_u32_e32 0x7f, v66
	s_cbranch_execz .LBB338_737
; %bb.734:                              ;   in Loop: Header=BB338_523 Depth=1
	v_dual_lshrrev_b32 v33, 3, v66 :: v_dual_bitop2_b32 v18, 7, v32 bitop3:0x40
	s_mov_b32 s17, exec_lo
	v_cmpx_gt_u32_e32 8, v66
; %bb.735:                              ;   in Loop: Header=BB338_523 Depth=1
	s_delay_alu instid0(VALU_DEP_2) | instskip(NEXT) | instid1(VALU_DEP_1)
	v_clz_i32_u32_e32 v33, v18
	v_min_u32_e32 v33, 32, v33
	s_delay_alu instid0(VALU_DEP_1) | instskip(NEXT) | instid1(VALU_DEP_1)
	v_subrev_nc_u32_e32 v35, 28, v33
	v_lshlrev_b64_e32 v[66:67], v35, v[18:19]
	s_delay_alu instid0(VALU_DEP_1)
	v_dual_sub_nc_u32 v33, 29, v33 :: v_dual_bitop2_b32 v18, 7, v66 bitop3:0x40
; %bb.736:                              ;   in Loop: Header=BB338_523 Depth=1
	s_or_b32 exec_lo, exec_lo, s17
	s_delay_alu instid0(VALU_DEP_1) | instskip(NEXT) | instid1(VALU_DEP_2)
	v_dual_lshlrev_b32 v32, 24, v32 :: v_dual_lshlrev_b32 v18, 20, v18
	v_lshl_add_u32 v33, v33, 23, 0x3c000000
	s_delay_alu instid0(VALU_DEP_2) | instskip(NEXT) | instid1(VALU_DEP_1)
	v_and_b32_e32 v32, 0x80000000, v32
	v_or3_b32 v35, v18, v32, v33
.LBB338_737:                            ;   in Loop: Header=BB338_523 Depth=1
	s_or_b32 exec_lo, exec_lo, s16
.LBB338_738:                            ;   in Loop: Header=BB338_523 Depth=1
	s_delay_alu instid0(SALU_CYCLE_1)
	s_or_b32 exec_lo, exec_lo, s15
.LBB338_739:                            ;   in Loop: Header=BB338_523 Depth=1
	s_delay_alu instid0(SALU_CYCLE_1) | instskip(SKIP_4) | instid1(VALU_DEP_3)
	s_or_b32 exec_lo, exec_lo, s14
	v_and_b32_e32 v33, 0xff, v31
	v_dual_mov_b32 v18, v31 :: v_dual_mov_b32 v32, 0
	v_mov_b32_e32 v66, 0
	s_mov_b32 s14, exec_lo
	v_cmpx_ne_u16_e32 0, v33
	s_cbranch_execz .LBB338_745
; %bb.740:                              ;   in Loop: Header=BB338_523 Depth=1
	v_bfrev_b32_e32 v66, 1
	s_mov_b32 s15, exec_lo
	v_cmpx_ne_u16_e32 0x80, v33
	s_cbranch_execz .LBB338_744
; %bb.741:                              ;   in Loop: Header=BB338_523 Depth=1
	v_and_b32_e32 v33, 0x7f, v31
	v_mov_b32_e32 v66, 0x7f800001
	s_mov_b32 s16, exec_lo
	s_delay_alu instid0(VALU_DEP_2)
	v_cmpx_ne_u32_e32 0x7f, v33
	s_cbranch_execz .LBB338_743
; %bb.742:                              ;   in Loop: Header=BB338_523 Depth=1
	v_dual_lshrrev_b32 v67, 3, v33 :: v_dual_bitop2_b32 v66, 7, v31 bitop3:0x40
	v_cmp_gt_u32_e64 s1, 8, v33
	s_delay_alu instid0(VALU_DEP_2) | instskip(NEXT) | instid1(VALU_DEP_1)
	v_clz_i32_u32_e32 v66, v66
	v_min_u32_e32 v66, 32, v66
	s_delay_alu instid0(VALU_DEP_1) | instskip(SKIP_1) | instid1(VALU_DEP_1)
	v_subrev_nc_u32_e32 v68, 28, v66
	v_sub_nc_u32_e32 v66, 29, v66
	v_dual_cndmask_b32 v33, v67, v66, s1 :: v_dual_cndmask_b32 v66, 0, v68, s1
	s_delay_alu instid0(VALU_DEP_1) | instskip(NEXT) | instid1(VALU_DEP_2)
	v_lshl_add_u32 v33, v33, 23, 0x3c000000
	v_lshlrev_b64_e32 v[66:67], v66, v[18:19]
	v_lshlrev_b32_e32 v67, 24, v18
	s_delay_alu instid0(VALU_DEP_1) | instskip(NEXT) | instid1(VALU_DEP_3)
	v_and_b32_e32 v67, 0x80000000, v67
	v_lshlrev_b32_e32 v66, 20, v66
	s_delay_alu instid0(VALU_DEP_1) | instskip(NEXT) | instid1(VALU_DEP_1)
	v_and_b32_e32 v66, 0x700000, v66
	v_or3_b32 v66, v66, v67, v33
.LBB338_743:                            ;   in Loop: Header=BB338_523 Depth=1
	s_or_b32 exec_lo, exec_lo, s16
.LBB338_744:                            ;   in Loop: Header=BB338_523 Depth=1
	s_delay_alu instid0(SALU_CYCLE_1)
	s_or_b32 exec_lo, exec_lo, s15
.LBB338_745:                            ;   in Loop: Header=BB338_523 Depth=1
	s_delay_alu instid0(SALU_CYCLE_1) | instskip(SKIP_2) | instid1(VALU_DEP_1)
	s_or_b32 exec_lo, exec_lo, s14
	v_lshrrev_b16 v33, 8, v18
	s_mov_b32 s14, exec_lo
	v_cmpx_ne_u16_e32 0, v33
	s_cbranch_execz .LBB338_753
; %bb.746:                              ;   in Loop: Header=BB338_523 Depth=1
	v_bfrev_b32_e32 v32, 1
	s_mov_b32 s15, exec_lo
	v_cmpx_ne_u16_e32 0x80, v33
	s_cbranch_execz .LBB338_752
; %bb.747:                              ;   in Loop: Header=BB338_523 Depth=1
	v_and_b32_e32 v33, 0xffff, v33
	v_mov_b32_e32 v32, 0x7f800001
	s_mov_b32 s16, exec_lo
	s_delay_alu instid0(VALU_DEP_2) | instskip(NEXT) | instid1(VALU_DEP_1)
	v_and_b32_e32 v68, 0x7f, v33
	v_cmpx_ne_u32_e32 0x7f, v68
	s_cbranch_execz .LBB338_751
; %bb.748:                              ;   in Loop: Header=BB338_523 Depth=1
	v_dual_mov_b32 v33, v19 :: v_dual_bitop2_b32 v32, 7, v33 bitop3:0x40
	v_lshrrev_b32_e32 v67, 3, v68
	s_mov_b32 s17, exec_lo
	v_cmpx_gt_u32_e32 8, v68
; %bb.749:                              ;   in Loop: Header=BB338_523 Depth=1
	s_delay_alu instid0(VALU_DEP_3) | instskip(NEXT) | instid1(VALU_DEP_1)
	v_clz_i32_u32_e32 v67, v32
	v_min_u32_e32 v67, 32, v67
	s_delay_alu instid0(VALU_DEP_1) | instskip(NEXT) | instid1(VALU_DEP_1)
	v_subrev_nc_u32_e32 v68, 28, v67
	v_lshlrev_b64_e32 v[32:33], v68, v[32:33]
	s_delay_alu instid0(VALU_DEP_1)
	v_dual_sub_nc_u32 v67, 29, v67 :: v_dual_bitop2_b32 v32, 7, v32 bitop3:0x40
; %bb.750:                              ;   in Loop: Header=BB338_523 Depth=1
	s_or_b32 exec_lo, exec_lo, s17
	s_delay_alu instid0(VALU_DEP_1) | instskip(NEXT) | instid1(VALU_DEP_2)
	v_dual_lshlrev_b32 v18, 16, v18 :: v_dual_lshlrev_b32 v32, 20, v32
	v_lshl_add_u32 v33, v67, 23, 0x3c000000
	s_delay_alu instid0(VALU_DEP_2) | instskip(NEXT) | instid1(VALU_DEP_1)
	v_and_b32_e32 v18, 0x80000000, v18
	v_or3_b32 v32, v32, v18, v33
.LBB338_751:                            ;   in Loop: Header=BB338_523 Depth=1
	s_or_b32 exec_lo, exec_lo, s16
.LBB338_752:                            ;   in Loop: Header=BB338_523 Depth=1
	s_delay_alu instid0(SALU_CYCLE_1)
	s_or_b32 exec_lo, exec_lo, s15
.LBB338_753:                            ;   in Loop: Header=BB338_523 Depth=1
	s_delay_alu instid0(SALU_CYCLE_1) | instskip(SKIP_3) | instid1(VALU_DEP_2)
	s_or_b32 exec_lo, exec_lo, s14
	v_dual_mov_b32 v33, 0 :: v_dual_lshrrev_b32 v68, 16, v31
	v_mov_b32_e32 v67, 0
	s_mov_b32 s14, exec_lo
	v_and_b32_e32 v18, 0xff, v68
	s_delay_alu instid0(VALU_DEP_1)
	v_cmpx_ne_u16_e32 0, v18
	s_cbranch_execz .LBB338_761
; %bb.754:                              ;   in Loop: Header=BB338_523 Depth=1
	v_bfrev_b32_e32 v67, 1
	s_mov_b32 s15, exec_lo
	v_cmpx_ne_u16_e32 0x80, v18
	s_cbranch_execz .LBB338_760
; %bb.755:                              ;   in Loop: Header=BB338_523 Depth=1
	v_bfe_u32 v69, v31, 16, 7
	v_mov_b32_e32 v67, 0x7f800001
	s_mov_b32 s16, exec_lo
	s_delay_alu instid0(VALU_DEP_2)
	v_cmpx_ne_u32_e32 0x7f, v69
	s_cbranch_execz .LBB338_759
; %bb.756:                              ;   in Loop: Header=BB338_523 Depth=1
	v_dual_lshrrev_b32 v67, 3, v69 :: v_dual_bitop2_b32 v18, 7, v68 bitop3:0x40
	s_mov_b32 s17, exec_lo
	v_cmpx_gt_u32_e32 8, v69
; %bb.757:                              ;   in Loop: Header=BB338_523 Depth=1
	s_delay_alu instid0(VALU_DEP_2) | instskip(NEXT) | instid1(VALU_DEP_1)
	v_clz_i32_u32_e32 v67, v18
	v_min_u32_e32 v67, 32, v67
	s_delay_alu instid0(VALU_DEP_1) | instskip(NEXT) | instid1(VALU_DEP_1)
	v_subrev_nc_u32_e32 v69, 28, v67
	v_lshlrev_b64_e32 v[70:71], v69, v[18:19]
	s_delay_alu instid0(VALU_DEP_1)
	v_dual_sub_nc_u32 v67, 29, v67 :: v_dual_bitop2_b32 v18, 7, v70 bitop3:0x40
; %bb.758:                              ;   in Loop: Header=BB338_523 Depth=1
	s_or_b32 exec_lo, exec_lo, s17
	s_delay_alu instid0(VALU_DEP_1) | instskip(NEXT) | instid1(VALU_DEP_2)
	v_dual_lshlrev_b32 v68, 24, v68 :: v_dual_lshlrev_b32 v18, 20, v18
	v_lshl_add_u32 v67, v67, 23, 0x3c000000
	s_delay_alu instid0(VALU_DEP_2) | instskip(NEXT) | instid1(VALU_DEP_1)
	v_and_b32_e32 v68, 0x80000000, v68
	v_or3_b32 v67, v18, v68, v67
.LBB338_759:                            ;   in Loop: Header=BB338_523 Depth=1
	s_or_b32 exec_lo, exec_lo, s16
.LBB338_760:                            ;   in Loop: Header=BB338_523 Depth=1
	s_delay_alu instid0(SALU_CYCLE_1)
	s_or_b32 exec_lo, exec_lo, s15
.LBB338_761:                            ;   in Loop: Header=BB338_523 Depth=1
	s_delay_alu instid0(SALU_CYCLE_1) | instskip(NEXT) | instid1(SALU_CYCLE_1)
	s_or_b32 exec_lo, exec_lo, s14
	s_mov_b32 s14, exec_lo
	v_cmpx_lt_u64_e64 s[2:3], v[30:31]
	s_cbranch_execz .LBB338_769
; %bb.762:                              ;   in Loop: Header=BB338_523 Depth=1
	v_lshrrev_b32_e32 v30, 24, v31
	v_bfrev_b32_e32 v33, 1
	s_mov_b32 s15, exec_lo
	s_delay_alu instid0(VALU_DEP_2)
	v_cmpx_ne_u32_e32 0x80, v30
	s_cbranch_execz .LBB338_768
; %bb.763:                              ;   in Loop: Header=BB338_523 Depth=1
	v_bfe_u32 v68, v31, 24, 7
	v_mov_b32_e32 v33, 0x7f800001
	s_mov_b32 s16, exec_lo
	s_delay_alu instid0(VALU_DEP_2)
	v_cmpx_ne_u32_e32 0x7f, v68
	s_cbranch_execz .LBB338_767
; %bb.764:                              ;   in Loop: Header=BB338_523 Depth=1
	v_dual_lshrrev_b32 v31, 3, v68 :: v_dual_bitop2_b32 v18, 7, v30 bitop3:0x40
	s_mov_b32 s17, exec_lo
	v_cmpx_gt_u32_e32 8, v68
; %bb.765:                              ;   in Loop: Header=BB338_523 Depth=1
	s_delay_alu instid0(VALU_DEP_2) | instskip(NEXT) | instid1(VALU_DEP_1)
	v_clz_i32_u32_e32 v31, v18
	v_min_u32_e32 v31, 32, v31
	s_delay_alu instid0(VALU_DEP_1) | instskip(NEXT) | instid1(VALU_DEP_1)
	v_subrev_nc_u32_e32 v33, 28, v31
	v_lshlrev_b64_e32 v[68:69], v33, v[18:19]
	s_delay_alu instid0(VALU_DEP_1)
	v_dual_sub_nc_u32 v31, 29, v31 :: v_dual_bitop2_b32 v18, 7, v68 bitop3:0x40
; %bb.766:                              ;   in Loop: Header=BB338_523 Depth=1
	s_or_b32 exec_lo, exec_lo, s17
	v_lshlrev_b32_e32 v30, 24, v30
	s_delay_alu instid0(VALU_DEP_2) | instskip(NEXT) | instid1(VALU_DEP_3)
	v_lshlrev_b32_e32 v18, 20, v18
	v_lshl_add_u32 v31, v31, 23, 0x3c000000
	s_delay_alu instid0(VALU_DEP_3) | instskip(NEXT) | instid1(VALU_DEP_1)
	v_and_b32_e32 v30, 0x80000000, v30
	v_or3_b32 v33, v18, v30, v31
.LBB338_767:                            ;   in Loop: Header=BB338_523 Depth=1
	s_or_b32 exec_lo, exec_lo, s16
.LBB338_768:                            ;   in Loop: Header=BB338_523 Depth=1
	s_delay_alu instid0(SALU_CYCLE_1)
	s_or_b32 exec_lo, exec_lo, s15
.LBB338_769:                            ;   in Loop: Header=BB338_523 Depth=1
	s_delay_alu instid0(SALU_CYCLE_1)
	s_or_b32 exec_lo, exec_lo, s14
	v_fma_mixlo_bf16 v68, s25, v32, 0
	v_fma_mixlo_bf16 v69, s25, v66, 0
	;; [unrolled: 1-line block ×8, first 2 shown]
	s_and_saveexec_b32 s14, s0
	s_cbranch_execz .LBB338_771
; %bb.770:                              ;   in Loop: Header=BB338_523 Depth=1
	v_dual_add_nc_u32 v0, -6, v38 :: v_dual_add_nc_u32 v1, -5, v38
	v_cmp_gt_i32_e64 s1, s23, v49
	s_delay_alu instid0(VALU_DEP_1) | instskip(NEXT) | instid1(VALU_DEP_3)
	v_dual_add_nc_u32 v18, -2, v38 :: v_dual_cndmask_b32 v73, 0, v73, s1
	v_cmp_gt_i32_e64 s1, s23, v0
	s_delay_alu instid0(VALU_DEP_1) | instskip(SKIP_2) | instid1(VALU_DEP_2)
	v_cndmask_b32_e64 v72, 0, v72, s1
	v_cmp_gt_i32_e64 s1, s23, v1
	v_dual_add_nc_u32 v0, -4, v38 :: v_dual_add_nc_u32 v1, -3, v38
	v_cndmask_b32_e64 v71, 0, v71, s1
	s_delay_alu instid0(VALU_DEP_2) | instskip(NEXT) | instid1(VALU_DEP_1)
	v_cmp_gt_i32_e64 s1, s23, v0
	v_cndmask_b32_e64 v70, 0, v70, s1
	s_delay_alu instid0(VALU_DEP_4) | instskip(NEXT) | instid1(VALU_DEP_1)
	v_cmp_gt_i32_e64 s1, s23, v1
	v_cndmask_b32_e64 v69, 0, v69, s1
	v_cmp_gt_i32_e64 s1, s23, v18
	s_delay_alu instid0(VALU_DEP_1) | instskip(NEXT) | instid1(VALU_DEP_1)
	v_dual_add_nc_u32 v0, -1, v38 :: v_dual_cndmask_b32 v68, 0, v68, s1
	v_cmp_gt_i32_e64 s1, s23, v0
	s_delay_alu instid0(VALU_DEP_1) | instskip(SKIP_1) | instid1(VALU_DEP_1)
	v_cndmask_b32_e64 v66, 0, v66, s1
	v_cmp_gt_i32_e64 s1, s23, v38
	v_cndmask_b32_e64 v67, 0, v67, s1
.LBB338_771:                            ;   in Loop: Header=BB338_523 Depth=1
	s_or_b32 exec_lo, exec_lo, s14
	global_load_b64 v[30:31], v[28:29], off offset:1024
	v_dual_mov_b32 v1, 0 :: v_dual_mov_b32 v0, 0
	s_mov_b32 s14, exec_lo
	s_wait_loadcnt 0x0
	v_and_b32_e32 v18, 0xff, v30
	s_delay_alu instid0(VALU_DEP_1)
	v_cmpx_ne_u16_e32 0, v18
	s_cbranch_execz .LBB338_777
; %bb.772:                              ;   in Loop: Header=BB338_523 Depth=1
	v_bfrev_b32_e32 v0, 1
	s_mov_b32 s15, exec_lo
	v_cmpx_ne_u16_e32 0x80, v18
	s_cbranch_execz .LBB338_776
; %bb.773:                              ;   in Loop: Header=BB338_523 Depth=1
	v_and_b32_e32 v18, 0x7f, v30
	v_mov_b32_e32 v0, 0x7f800001
	s_mov_b32 s16, exec_lo
	s_delay_alu instid0(VALU_DEP_2)
	v_cmpx_ne_u32_e32 0x7f, v18
	s_cbranch_execz .LBB338_775
; %bb.774:                              ;   in Loop: Header=BB338_523 Depth=1
	v_cmp_gt_u32_e64 s1, 8, v18
	v_and_b32_e32 v0, 7, v30
	s_delay_alu instid0(VALU_DEP_1) | instskip(NEXT) | instid1(VALU_DEP_1)
	v_clz_i32_u32_e32 v0, v0
	v_min_u32_e32 v0, 32, v0
	v_lshrrev_b32_e32 v32, 3, v18
	s_delay_alu instid0(VALU_DEP_2) | instskip(NEXT) | instid1(VALU_DEP_1)
	v_subrev_nc_u32_e32 v33, 28, v0
	v_dual_sub_nc_u32 v0, 29, v0 :: v_dual_cndmask_b32 v18, 0, v33, s1
	s_delay_alu instid0(VALU_DEP_1) | instskip(NEXT) | instid1(VALU_DEP_2)
	v_cndmask_b32_e64 v0, v32, v0, s1
	v_lshlrev_b64_e32 v[32:33], v18, v[30:31]
	v_lshlrev_b32_e32 v18, 24, v30
	s_delay_alu instid0(VALU_DEP_3) | instskip(NEXT) | instid1(VALU_DEP_2)
	v_lshl_add_u32 v0, v0, 23, 0x3c000000
	v_and_b32_e32 v18, 0x80000000, v18
	s_delay_alu instid0(VALU_DEP_4) | instskip(NEXT) | instid1(VALU_DEP_1)
	v_lshlrev_b32_e32 v32, 20, v32
	v_and_b32_e32 v32, 0x700000, v32
	s_delay_alu instid0(VALU_DEP_1)
	v_or3_b32 v0, v32, v18, v0
.LBB338_775:                            ;   in Loop: Header=BB338_523 Depth=1
	s_or_b32 exec_lo, exec_lo, s16
.LBB338_776:                            ;   in Loop: Header=BB338_523 Depth=1
	s_delay_alu instid0(SALU_CYCLE_1)
	s_or_b32 exec_lo, exec_lo, s15
.LBB338_777:                            ;   in Loop: Header=BB338_523 Depth=1
	s_delay_alu instid0(SALU_CYCLE_1) | instskip(SKIP_2) | instid1(VALU_DEP_1)
	s_or_b32 exec_lo, exec_lo, s14
	v_lshrrev_b16 v18, 8, v30
	s_mov_b32 s14, exec_lo
	v_cmpx_ne_u16_e32 0, v18
	s_cbranch_execz .LBB338_785
; %bb.778:                              ;   in Loop: Header=BB338_523 Depth=1
	v_bfrev_b32_e32 v1, 1
	s_mov_b32 s15, exec_lo
	v_cmpx_ne_u16_e32 0x80, v18
	s_cbranch_execz .LBB338_784
; %bb.779:                              ;   in Loop: Header=BB338_523 Depth=1
	v_and_b32_e32 v18, 0xffff, v18
	v_mov_b32_e32 v1, 0x7f800001
	s_mov_b32 s16, exec_lo
	s_delay_alu instid0(VALU_DEP_2) | instskip(NEXT) | instid1(VALU_DEP_1)
	v_and_b32_e32 v32, 0x7f, v18
	v_cmpx_ne_u32_e32 0x7f, v32
	s_cbranch_execz .LBB338_783
; %bb.780:                              ;   in Loop: Header=BB338_523 Depth=1
	v_dual_lshrrev_b32 v1, 3, v32 :: v_dual_bitop2_b32 v18, 7, v18 bitop3:0x40
	s_mov_b32 s17, exec_lo
	v_cmpx_gt_u32_e32 8, v32
; %bb.781:                              ;   in Loop: Header=BB338_523 Depth=1
	s_delay_alu instid0(VALU_DEP_2) | instskip(NEXT) | instid1(VALU_DEP_1)
	v_clz_i32_u32_e32 v1, v18
	v_min_u32_e32 v1, 32, v1
	s_delay_alu instid0(VALU_DEP_1) | instskip(NEXT) | instid1(VALU_DEP_1)
	v_subrev_nc_u32_e32 v32, 28, v1
	v_lshlrev_b64_e32 v[32:33], v32, v[18:19]
	s_delay_alu instid0(VALU_DEP_1)
	v_dual_sub_nc_u32 v1, 29, v1 :: v_dual_bitop2_b32 v18, 7, v32 bitop3:0x40
; %bb.782:                              ;   in Loop: Header=BB338_523 Depth=1
	s_or_b32 exec_lo, exec_lo, s17
	v_lshlrev_b32_e32 v32, 16, v30
	s_delay_alu instid0(VALU_DEP_2) | instskip(NEXT) | instid1(VALU_DEP_3)
	v_lshlrev_b32_e32 v18, 20, v18
	v_lshl_add_u32 v1, v1, 23, 0x3c000000
	s_delay_alu instid0(VALU_DEP_3) | instskip(NEXT) | instid1(VALU_DEP_1)
	v_and_b32_e32 v32, 0x80000000, v32
	v_or3_b32 v1, v18, v32, v1
.LBB338_783:                            ;   in Loop: Header=BB338_523 Depth=1
	s_or_b32 exec_lo, exec_lo, s16
.LBB338_784:                            ;   in Loop: Header=BB338_523 Depth=1
	s_delay_alu instid0(SALU_CYCLE_1)
	s_or_b32 exec_lo, exec_lo, s15
.LBB338_785:                            ;   in Loop: Header=BB338_523 Depth=1
	s_delay_alu instid0(SALU_CYCLE_1) | instskip(SKIP_3) | instid1(VALU_DEP_2)
	s_or_b32 exec_lo, exec_lo, s14
	v_dual_mov_b32 v35, 0 :: v_dual_lshrrev_b32 v32, 16, v30
	v_mov_b32_e32 v34, 0
	s_mov_b32 s14, exec_lo
	v_and_b32_e32 v18, 0xff, v32
	s_delay_alu instid0(VALU_DEP_1)
	v_cmpx_ne_u16_e32 0, v18
	s_cbranch_execz .LBB338_793
; %bb.786:                              ;   in Loop: Header=BB338_523 Depth=1
	v_bfrev_b32_e32 v34, 1
	s_mov_b32 s15, exec_lo
	v_cmpx_ne_u16_e32 0x80, v18
	s_cbranch_execz .LBB338_792
; %bb.787:                              ;   in Loop: Header=BB338_523 Depth=1
	v_bfe_u32 v74, v30, 16, 7
	v_mov_b32_e32 v34, 0x7f800001
	s_mov_b32 s16, exec_lo
	s_delay_alu instid0(VALU_DEP_2)
	v_cmpx_ne_u32_e32 0x7f, v74
	s_cbranch_execz .LBB338_791
; %bb.788:                              ;   in Loop: Header=BB338_523 Depth=1
	v_dual_lshrrev_b32 v33, 3, v74 :: v_dual_bitop2_b32 v18, 7, v32 bitop3:0x40
	s_mov_b32 s17, exec_lo
	v_cmpx_gt_u32_e32 8, v74
; %bb.789:                              ;   in Loop: Header=BB338_523 Depth=1
	s_delay_alu instid0(VALU_DEP_2) | instskip(NEXT) | instid1(VALU_DEP_1)
	v_clz_i32_u32_e32 v33, v18
	v_min_u32_e32 v33, 32, v33
	s_delay_alu instid0(VALU_DEP_1) | instskip(NEXT) | instid1(VALU_DEP_1)
	v_subrev_nc_u32_e32 v34, 28, v33
	v_lshlrev_b64_e32 v[74:75], v34, v[18:19]
	s_delay_alu instid0(VALU_DEP_1)
	v_dual_sub_nc_u32 v33, 29, v33 :: v_dual_bitop2_b32 v18, 7, v74 bitop3:0x40
; %bb.790:                              ;   in Loop: Header=BB338_523 Depth=1
	s_or_b32 exec_lo, exec_lo, s17
	s_delay_alu instid0(VALU_DEP_1) | instskip(NEXT) | instid1(VALU_DEP_2)
	v_dual_lshlrev_b32 v32, 24, v32 :: v_dual_lshlrev_b32 v18, 20, v18
	v_lshl_add_u32 v33, v33, 23, 0x3c000000
	s_delay_alu instid0(VALU_DEP_2) | instskip(NEXT) | instid1(VALU_DEP_1)
	v_and_b32_e32 v32, 0x80000000, v32
	v_or3_b32 v34, v18, v32, v33
.LBB338_791:                            ;   in Loop: Header=BB338_523 Depth=1
	s_or_b32 exec_lo, exec_lo, s16
.LBB338_792:                            ;   in Loop: Header=BB338_523 Depth=1
	s_delay_alu instid0(SALU_CYCLE_1)
	s_or_b32 exec_lo, exec_lo, s15
.LBB338_793:                            ;   in Loop: Header=BB338_523 Depth=1
	s_delay_alu instid0(SALU_CYCLE_1) | instskip(NEXT) | instid1(SALU_CYCLE_1)
	s_or_b32 exec_lo, exec_lo, s14
	s_mov_b32 s14, exec_lo
	v_cmpx_lt_u32_e32 0xffffff, v30
	s_cbranch_execz .LBB338_801
; %bb.794:                              ;   in Loop: Header=BB338_523 Depth=1
	v_lshrrev_b32_e32 v32, 24, v30
	v_bfrev_b32_e32 v35, 1
	s_mov_b32 s15, exec_lo
	s_delay_alu instid0(VALU_DEP_2)
	v_cmpx_ne_u32_e32 0x80, v32
	s_cbranch_execz .LBB338_800
; %bb.795:                              ;   in Loop: Header=BB338_523 Depth=1
	v_bfe_u32 v74, v30, 24, 7
	v_mov_b32_e32 v35, 0x7f800001
	s_mov_b32 s16, exec_lo
	s_delay_alu instid0(VALU_DEP_2)
	v_cmpx_ne_u32_e32 0x7f, v74
	s_cbranch_execz .LBB338_799
; %bb.796:                              ;   in Loop: Header=BB338_523 Depth=1
	v_dual_lshrrev_b32 v33, 3, v74 :: v_dual_bitop2_b32 v18, 7, v32 bitop3:0x40
	s_mov_b32 s17, exec_lo
	v_cmpx_gt_u32_e32 8, v74
; %bb.797:                              ;   in Loop: Header=BB338_523 Depth=1
	s_delay_alu instid0(VALU_DEP_2) | instskip(NEXT) | instid1(VALU_DEP_1)
	v_clz_i32_u32_e32 v33, v18
	v_min_u32_e32 v33, 32, v33
	s_delay_alu instid0(VALU_DEP_1) | instskip(NEXT) | instid1(VALU_DEP_1)
	v_subrev_nc_u32_e32 v35, 28, v33
	v_lshlrev_b64_e32 v[74:75], v35, v[18:19]
	s_delay_alu instid0(VALU_DEP_1)
	v_dual_sub_nc_u32 v33, 29, v33 :: v_dual_bitop2_b32 v18, 7, v74 bitop3:0x40
; %bb.798:                              ;   in Loop: Header=BB338_523 Depth=1
	s_or_b32 exec_lo, exec_lo, s17
	s_delay_alu instid0(VALU_DEP_1) | instskip(NEXT) | instid1(VALU_DEP_2)
	v_dual_lshlrev_b32 v32, 24, v32 :: v_dual_lshlrev_b32 v18, 20, v18
	v_lshl_add_u32 v33, v33, 23, 0x3c000000
	s_delay_alu instid0(VALU_DEP_2) | instskip(NEXT) | instid1(VALU_DEP_1)
	v_and_b32_e32 v32, 0x80000000, v32
	v_or3_b32 v35, v18, v32, v33
.LBB338_799:                            ;   in Loop: Header=BB338_523 Depth=1
	s_or_b32 exec_lo, exec_lo, s16
.LBB338_800:                            ;   in Loop: Header=BB338_523 Depth=1
	s_delay_alu instid0(SALU_CYCLE_1)
	s_or_b32 exec_lo, exec_lo, s15
.LBB338_801:                            ;   in Loop: Header=BB338_523 Depth=1
	s_delay_alu instid0(SALU_CYCLE_1) | instskip(SKIP_4) | instid1(VALU_DEP_3)
	s_or_b32 exec_lo, exec_lo, s14
	v_and_b32_e32 v33, 0xff, v31
	v_dual_mov_b32 v18, v31 :: v_dual_mov_b32 v32, 0
	v_mov_b32_e32 v74, 0
	s_mov_b32 s14, exec_lo
	v_cmpx_ne_u16_e32 0, v33
	s_cbranch_execz .LBB338_807
; %bb.802:                              ;   in Loop: Header=BB338_523 Depth=1
	v_bfrev_b32_e32 v74, 1
	s_mov_b32 s15, exec_lo
	v_cmpx_ne_u16_e32 0x80, v33
	s_cbranch_execz .LBB338_806
; %bb.803:                              ;   in Loop: Header=BB338_523 Depth=1
	v_and_b32_e32 v33, 0x7f, v31
	v_mov_b32_e32 v74, 0x7f800001
	s_mov_b32 s16, exec_lo
	s_delay_alu instid0(VALU_DEP_2)
	v_cmpx_ne_u32_e32 0x7f, v33
	s_cbranch_execz .LBB338_805
; %bb.804:                              ;   in Loop: Header=BB338_523 Depth=1
	v_dual_lshrrev_b32 v75, 3, v33 :: v_dual_bitop2_b32 v74, 7, v31 bitop3:0x40
	v_cmp_gt_u32_e64 s1, 8, v33
	s_delay_alu instid0(VALU_DEP_2) | instskip(NEXT) | instid1(VALU_DEP_1)
	v_clz_i32_u32_e32 v74, v74
	v_min_u32_e32 v74, 32, v74
	s_delay_alu instid0(VALU_DEP_1) | instskip(SKIP_1) | instid1(VALU_DEP_1)
	v_subrev_nc_u32_e32 v76, 28, v74
	v_sub_nc_u32_e32 v74, 29, v74
	v_dual_cndmask_b32 v33, v75, v74, s1 :: v_dual_cndmask_b32 v74, 0, v76, s1
	s_delay_alu instid0(VALU_DEP_1) | instskip(NEXT) | instid1(VALU_DEP_2)
	v_lshl_add_u32 v33, v33, 23, 0x3c000000
	v_lshlrev_b64_e32 v[74:75], v74, v[18:19]
	v_lshlrev_b32_e32 v75, 24, v18
	s_delay_alu instid0(VALU_DEP_1) | instskip(NEXT) | instid1(VALU_DEP_3)
	v_and_b32_e32 v75, 0x80000000, v75
	v_lshlrev_b32_e32 v74, 20, v74
	s_delay_alu instid0(VALU_DEP_1) | instskip(NEXT) | instid1(VALU_DEP_1)
	v_and_b32_e32 v74, 0x700000, v74
	v_or3_b32 v74, v74, v75, v33
.LBB338_805:                            ;   in Loop: Header=BB338_523 Depth=1
	s_or_b32 exec_lo, exec_lo, s16
.LBB338_806:                            ;   in Loop: Header=BB338_523 Depth=1
	s_delay_alu instid0(SALU_CYCLE_1)
	s_or_b32 exec_lo, exec_lo, s15
.LBB338_807:                            ;   in Loop: Header=BB338_523 Depth=1
	s_delay_alu instid0(SALU_CYCLE_1) | instskip(SKIP_2) | instid1(VALU_DEP_1)
	s_or_b32 exec_lo, exec_lo, s14
	v_lshrrev_b16 v33, 8, v18
	s_mov_b32 s14, exec_lo
	v_cmpx_ne_u16_e32 0, v33
	s_cbranch_execz .LBB338_815
; %bb.808:                              ;   in Loop: Header=BB338_523 Depth=1
	v_bfrev_b32_e32 v32, 1
	s_mov_b32 s15, exec_lo
	v_cmpx_ne_u16_e32 0x80, v33
	s_cbranch_execz .LBB338_814
; %bb.809:                              ;   in Loop: Header=BB338_523 Depth=1
	v_and_b32_e32 v33, 0xffff, v33
	v_mov_b32_e32 v32, 0x7f800001
	s_mov_b32 s16, exec_lo
	s_delay_alu instid0(VALU_DEP_2) | instskip(NEXT) | instid1(VALU_DEP_1)
	v_and_b32_e32 v76, 0x7f, v33
	v_cmpx_ne_u32_e32 0x7f, v76
	s_cbranch_execz .LBB338_813
; %bb.810:                              ;   in Loop: Header=BB338_523 Depth=1
	v_dual_mov_b32 v33, v19 :: v_dual_bitop2_b32 v32, 7, v33 bitop3:0x40
	v_lshrrev_b32_e32 v75, 3, v76
	s_mov_b32 s17, exec_lo
	v_cmpx_gt_u32_e32 8, v76
; %bb.811:                              ;   in Loop: Header=BB338_523 Depth=1
	s_delay_alu instid0(VALU_DEP_3) | instskip(NEXT) | instid1(VALU_DEP_1)
	v_clz_i32_u32_e32 v75, v32
	v_min_u32_e32 v75, 32, v75
	s_delay_alu instid0(VALU_DEP_1) | instskip(NEXT) | instid1(VALU_DEP_1)
	v_subrev_nc_u32_e32 v76, 28, v75
	v_lshlrev_b64_e32 v[32:33], v76, v[32:33]
	s_delay_alu instid0(VALU_DEP_1)
	v_dual_sub_nc_u32 v75, 29, v75 :: v_dual_bitop2_b32 v32, 7, v32 bitop3:0x40
; %bb.812:                              ;   in Loop: Header=BB338_523 Depth=1
	s_or_b32 exec_lo, exec_lo, s17
	s_delay_alu instid0(VALU_DEP_1) | instskip(NEXT) | instid1(VALU_DEP_2)
	v_dual_lshlrev_b32 v18, 16, v18 :: v_dual_lshlrev_b32 v32, 20, v32
	v_lshl_add_u32 v33, v75, 23, 0x3c000000
	s_delay_alu instid0(VALU_DEP_2) | instskip(NEXT) | instid1(VALU_DEP_1)
	v_and_b32_e32 v18, 0x80000000, v18
	v_or3_b32 v32, v32, v18, v33
.LBB338_813:                            ;   in Loop: Header=BB338_523 Depth=1
	s_or_b32 exec_lo, exec_lo, s16
.LBB338_814:                            ;   in Loop: Header=BB338_523 Depth=1
	s_delay_alu instid0(SALU_CYCLE_1)
	s_or_b32 exec_lo, exec_lo, s15
.LBB338_815:                            ;   in Loop: Header=BB338_523 Depth=1
	s_delay_alu instid0(SALU_CYCLE_1) | instskip(SKIP_3) | instid1(VALU_DEP_2)
	s_or_b32 exec_lo, exec_lo, s14
	v_dual_mov_b32 v33, 0 :: v_dual_lshrrev_b32 v76, 16, v31
	v_mov_b32_e32 v75, 0
	s_mov_b32 s14, exec_lo
	v_and_b32_e32 v18, 0xff, v76
	s_delay_alu instid0(VALU_DEP_1)
	v_cmpx_ne_u16_e32 0, v18
	s_cbranch_execz .LBB338_823
; %bb.816:                              ;   in Loop: Header=BB338_523 Depth=1
	v_bfrev_b32_e32 v75, 1
	s_mov_b32 s15, exec_lo
	v_cmpx_ne_u16_e32 0x80, v18
	s_cbranch_execz .LBB338_822
; %bb.817:                              ;   in Loop: Header=BB338_523 Depth=1
	v_bfe_u32 v77, v31, 16, 7
	v_mov_b32_e32 v75, 0x7f800001
	s_mov_b32 s16, exec_lo
	s_delay_alu instid0(VALU_DEP_2)
	v_cmpx_ne_u32_e32 0x7f, v77
	s_cbranch_execz .LBB338_821
; %bb.818:                              ;   in Loop: Header=BB338_523 Depth=1
	v_dual_lshrrev_b32 v75, 3, v77 :: v_dual_bitop2_b32 v18, 7, v76 bitop3:0x40
	s_mov_b32 s17, exec_lo
	v_cmpx_gt_u32_e32 8, v77
; %bb.819:                              ;   in Loop: Header=BB338_523 Depth=1
	s_delay_alu instid0(VALU_DEP_2) | instskip(NEXT) | instid1(VALU_DEP_1)
	v_clz_i32_u32_e32 v75, v18
	v_min_u32_e32 v75, 32, v75
	s_delay_alu instid0(VALU_DEP_1) | instskip(NEXT) | instid1(VALU_DEP_1)
	v_subrev_nc_u32_e32 v77, 28, v75
	v_lshlrev_b64_e32 v[78:79], v77, v[18:19]
	s_delay_alu instid0(VALU_DEP_1)
	v_dual_sub_nc_u32 v75, 29, v75 :: v_dual_bitop2_b32 v18, 7, v78 bitop3:0x40
; %bb.820:                              ;   in Loop: Header=BB338_523 Depth=1
	s_or_b32 exec_lo, exec_lo, s17
	s_delay_alu instid0(VALU_DEP_1) | instskip(NEXT) | instid1(VALU_DEP_2)
	v_dual_lshlrev_b32 v76, 24, v76 :: v_dual_lshlrev_b32 v18, 20, v18
	v_lshl_add_u32 v75, v75, 23, 0x3c000000
	s_delay_alu instid0(VALU_DEP_2) | instskip(NEXT) | instid1(VALU_DEP_1)
	v_and_b32_e32 v76, 0x80000000, v76
	v_or3_b32 v75, v18, v76, v75
.LBB338_821:                            ;   in Loop: Header=BB338_523 Depth=1
	s_or_b32 exec_lo, exec_lo, s16
.LBB338_822:                            ;   in Loop: Header=BB338_523 Depth=1
	s_delay_alu instid0(SALU_CYCLE_1)
	s_or_b32 exec_lo, exec_lo, s15
.LBB338_823:                            ;   in Loop: Header=BB338_523 Depth=1
	s_delay_alu instid0(SALU_CYCLE_1) | instskip(NEXT) | instid1(SALU_CYCLE_1)
	s_or_b32 exec_lo, exec_lo, s14
	s_mov_b32 s14, exec_lo
	v_cmpx_lt_u64_e64 s[2:3], v[30:31]
	s_cbranch_execz .LBB338_831
; %bb.824:                              ;   in Loop: Header=BB338_523 Depth=1
	v_lshrrev_b32_e32 v30, 24, v31
	v_bfrev_b32_e32 v33, 1
	s_mov_b32 s15, exec_lo
	s_delay_alu instid0(VALU_DEP_2)
	v_cmpx_ne_u32_e32 0x80, v30
	s_cbranch_execz .LBB338_830
; %bb.825:                              ;   in Loop: Header=BB338_523 Depth=1
	v_bfe_u32 v76, v31, 24, 7
	v_mov_b32_e32 v33, 0x7f800001
	s_mov_b32 s16, exec_lo
	s_delay_alu instid0(VALU_DEP_2)
	v_cmpx_ne_u32_e32 0x7f, v76
	s_cbranch_execz .LBB338_829
; %bb.826:                              ;   in Loop: Header=BB338_523 Depth=1
	v_dual_lshrrev_b32 v31, 3, v76 :: v_dual_bitop2_b32 v18, 7, v30 bitop3:0x40
	s_mov_b32 s17, exec_lo
	v_cmpx_gt_u32_e32 8, v76
; %bb.827:                              ;   in Loop: Header=BB338_523 Depth=1
	s_delay_alu instid0(VALU_DEP_2) | instskip(NEXT) | instid1(VALU_DEP_1)
	v_clz_i32_u32_e32 v31, v18
	v_min_u32_e32 v31, 32, v31
	s_delay_alu instid0(VALU_DEP_1) | instskip(NEXT) | instid1(VALU_DEP_1)
	v_subrev_nc_u32_e32 v33, 28, v31
	v_lshlrev_b64_e32 v[76:77], v33, v[18:19]
	s_delay_alu instid0(VALU_DEP_1)
	v_dual_sub_nc_u32 v31, 29, v31 :: v_dual_bitop2_b32 v18, 7, v76 bitop3:0x40
; %bb.828:                              ;   in Loop: Header=BB338_523 Depth=1
	s_or_b32 exec_lo, exec_lo, s17
	v_lshlrev_b32_e32 v30, 24, v30
	s_delay_alu instid0(VALU_DEP_2) | instskip(NEXT) | instid1(VALU_DEP_3)
	v_lshlrev_b32_e32 v18, 20, v18
	v_lshl_add_u32 v31, v31, 23, 0x3c000000
	s_delay_alu instid0(VALU_DEP_3) | instskip(NEXT) | instid1(VALU_DEP_1)
	v_and_b32_e32 v30, 0x80000000, v30
	v_or3_b32 v33, v18, v30, v31
.LBB338_829:                            ;   in Loop: Header=BB338_523 Depth=1
	s_or_b32 exec_lo, exec_lo, s16
.LBB338_830:                            ;   in Loop: Header=BB338_523 Depth=1
	s_delay_alu instid0(SALU_CYCLE_1)
	s_or_b32 exec_lo, exec_lo, s15
.LBB338_831:                            ;   in Loop: Header=BB338_523 Depth=1
	s_delay_alu instid0(SALU_CYCLE_1)
	s_or_b32 exec_lo, exec_lo, s14
	v_fma_mixlo_bf16 v76, s25, v32, 0
	v_fma_mixlo_bf16 v77, s25, v74, 0
	;; [unrolled: 1-line block ×8, first 2 shown]
	s_and_saveexec_b32 s14, s0
	s_cbranch_execz .LBB338_833
; %bb.832:                              ;   in Loop: Header=BB338_523 Depth=1
	v_dual_add_nc_u32 v0, -6, v38 :: v_dual_add_nc_u32 v1, -5, v38
	v_cmp_gt_i32_e64 s1, s23, v49
	s_delay_alu instid0(VALU_DEP_1) | instskip(NEXT) | instid1(VALU_DEP_3)
	v_dual_add_nc_u32 v18, -2, v38 :: v_dual_cndmask_b32 v81, 0, v81, s1
	v_cmp_gt_i32_e64 s1, s23, v0
	s_delay_alu instid0(VALU_DEP_1) | instskip(SKIP_2) | instid1(VALU_DEP_2)
	v_cndmask_b32_e64 v80, 0, v80, s1
	v_cmp_gt_i32_e64 s1, s23, v1
	v_dual_add_nc_u32 v0, -4, v38 :: v_dual_add_nc_u32 v1, -3, v38
	v_cndmask_b32_e64 v79, 0, v79, s1
	s_delay_alu instid0(VALU_DEP_2) | instskip(NEXT) | instid1(VALU_DEP_1)
	v_cmp_gt_i32_e64 s1, s23, v0
	v_cndmask_b32_e64 v78, 0, v78, s1
	s_delay_alu instid0(VALU_DEP_4) | instskip(NEXT) | instid1(VALU_DEP_1)
	v_cmp_gt_i32_e64 s1, s23, v1
	v_cndmask_b32_e64 v77, 0, v77, s1
	v_cmp_gt_i32_e64 s1, s23, v18
	s_delay_alu instid0(VALU_DEP_1) | instskip(NEXT) | instid1(VALU_DEP_1)
	v_dual_add_nc_u32 v0, -1, v38 :: v_dual_cndmask_b32 v76, 0, v76, s1
	v_cmp_gt_i32_e64 s1, s23, v0
	s_delay_alu instid0(VALU_DEP_1) | instskip(SKIP_1) | instid1(VALU_DEP_1)
	v_cndmask_b32_e64 v74, 0, v74, s1
	v_cmp_gt_i32_e64 s1, s23, v38
	v_cndmask_b32_e64 v75, 0, v75, s1
.LBB338_833:                            ;   in Loop: Header=BB338_523 Depth=1
	s_or_b32 exec_lo, exec_lo, s14
	global_load_b64 v[30:31], v[28:29], off offset:1280
	v_dual_mov_b32 v1, 0 :: v_dual_mov_b32 v0, 0
	s_mov_b32 s14, exec_lo
	s_wait_loadcnt 0x0
	v_and_b32_e32 v18, 0xff, v30
	s_delay_alu instid0(VALU_DEP_1)
	v_cmpx_ne_u16_e32 0, v18
	s_cbranch_execz .LBB338_839
; %bb.834:                              ;   in Loop: Header=BB338_523 Depth=1
	v_bfrev_b32_e32 v0, 1
	s_mov_b32 s15, exec_lo
	v_cmpx_ne_u16_e32 0x80, v18
	s_cbranch_execz .LBB338_838
; %bb.835:                              ;   in Loop: Header=BB338_523 Depth=1
	v_and_b32_e32 v18, 0x7f, v30
	v_mov_b32_e32 v0, 0x7f800001
	s_mov_b32 s16, exec_lo
	s_delay_alu instid0(VALU_DEP_2)
	v_cmpx_ne_u32_e32 0x7f, v18
	s_cbranch_execz .LBB338_837
; %bb.836:                              ;   in Loop: Header=BB338_523 Depth=1
	v_cmp_gt_u32_e64 s1, 8, v18
	v_and_b32_e32 v0, 7, v30
	s_delay_alu instid0(VALU_DEP_1) | instskip(NEXT) | instid1(VALU_DEP_1)
	v_clz_i32_u32_e32 v0, v0
	v_min_u32_e32 v0, 32, v0
	v_lshrrev_b32_e32 v32, 3, v18
	s_delay_alu instid0(VALU_DEP_2) | instskip(NEXT) | instid1(VALU_DEP_1)
	v_subrev_nc_u32_e32 v33, 28, v0
	v_dual_sub_nc_u32 v0, 29, v0 :: v_dual_cndmask_b32 v18, 0, v33, s1
	s_delay_alu instid0(VALU_DEP_1) | instskip(NEXT) | instid1(VALU_DEP_2)
	v_cndmask_b32_e64 v0, v32, v0, s1
	v_lshlrev_b64_e32 v[32:33], v18, v[30:31]
	v_lshlrev_b32_e32 v18, 24, v30
	s_delay_alu instid0(VALU_DEP_3) | instskip(NEXT) | instid1(VALU_DEP_2)
	v_lshl_add_u32 v0, v0, 23, 0x3c000000
	v_and_b32_e32 v18, 0x80000000, v18
	s_delay_alu instid0(VALU_DEP_4) | instskip(NEXT) | instid1(VALU_DEP_1)
	v_lshlrev_b32_e32 v32, 20, v32
	v_and_b32_e32 v32, 0x700000, v32
	s_delay_alu instid0(VALU_DEP_1)
	v_or3_b32 v0, v32, v18, v0
.LBB338_837:                            ;   in Loop: Header=BB338_523 Depth=1
	s_or_b32 exec_lo, exec_lo, s16
.LBB338_838:                            ;   in Loop: Header=BB338_523 Depth=1
	s_delay_alu instid0(SALU_CYCLE_1)
	s_or_b32 exec_lo, exec_lo, s15
.LBB338_839:                            ;   in Loop: Header=BB338_523 Depth=1
	s_delay_alu instid0(SALU_CYCLE_1) | instskip(SKIP_2) | instid1(VALU_DEP_1)
	s_or_b32 exec_lo, exec_lo, s14
	v_lshrrev_b16 v18, 8, v30
	s_mov_b32 s14, exec_lo
	v_cmpx_ne_u16_e32 0, v18
	s_cbranch_execz .LBB338_847
; %bb.840:                              ;   in Loop: Header=BB338_523 Depth=1
	v_bfrev_b32_e32 v1, 1
	s_mov_b32 s15, exec_lo
	v_cmpx_ne_u16_e32 0x80, v18
	s_cbranch_execz .LBB338_846
; %bb.841:                              ;   in Loop: Header=BB338_523 Depth=1
	v_and_b32_e32 v18, 0xffff, v18
	v_mov_b32_e32 v1, 0x7f800001
	s_mov_b32 s16, exec_lo
	s_delay_alu instid0(VALU_DEP_2) | instskip(NEXT) | instid1(VALU_DEP_1)
	v_and_b32_e32 v32, 0x7f, v18
	v_cmpx_ne_u32_e32 0x7f, v32
	s_cbranch_execz .LBB338_845
; %bb.842:                              ;   in Loop: Header=BB338_523 Depth=1
	v_dual_lshrrev_b32 v1, 3, v32 :: v_dual_bitop2_b32 v18, 7, v18 bitop3:0x40
	s_mov_b32 s17, exec_lo
	v_cmpx_gt_u32_e32 8, v32
; %bb.843:                              ;   in Loop: Header=BB338_523 Depth=1
	s_delay_alu instid0(VALU_DEP_2) | instskip(NEXT) | instid1(VALU_DEP_1)
	v_clz_i32_u32_e32 v1, v18
	v_min_u32_e32 v1, 32, v1
	s_delay_alu instid0(VALU_DEP_1) | instskip(NEXT) | instid1(VALU_DEP_1)
	v_subrev_nc_u32_e32 v32, 28, v1
	v_lshlrev_b64_e32 v[32:33], v32, v[18:19]
	s_delay_alu instid0(VALU_DEP_1)
	v_dual_sub_nc_u32 v1, 29, v1 :: v_dual_bitop2_b32 v18, 7, v32 bitop3:0x40
; %bb.844:                              ;   in Loop: Header=BB338_523 Depth=1
	s_or_b32 exec_lo, exec_lo, s17
	v_lshlrev_b32_e32 v32, 16, v30
	s_delay_alu instid0(VALU_DEP_2) | instskip(NEXT) | instid1(VALU_DEP_3)
	v_lshlrev_b32_e32 v18, 20, v18
	v_lshl_add_u32 v1, v1, 23, 0x3c000000
	s_delay_alu instid0(VALU_DEP_3) | instskip(NEXT) | instid1(VALU_DEP_1)
	v_and_b32_e32 v32, 0x80000000, v32
	v_or3_b32 v1, v18, v32, v1
.LBB338_845:                            ;   in Loop: Header=BB338_523 Depth=1
	s_or_b32 exec_lo, exec_lo, s16
.LBB338_846:                            ;   in Loop: Header=BB338_523 Depth=1
	s_delay_alu instid0(SALU_CYCLE_1)
	s_or_b32 exec_lo, exec_lo, s15
.LBB338_847:                            ;   in Loop: Header=BB338_523 Depth=1
	s_delay_alu instid0(SALU_CYCLE_1) | instskip(SKIP_3) | instid1(VALU_DEP_2)
	s_or_b32 exec_lo, exec_lo, s14
	v_dual_mov_b32 v35, 0 :: v_dual_lshrrev_b32 v32, 16, v30
	v_mov_b32_e32 v34, 0
	s_mov_b32 s14, exec_lo
	v_and_b32_e32 v18, 0xff, v32
	s_delay_alu instid0(VALU_DEP_1)
	v_cmpx_ne_u16_e32 0, v18
	s_cbranch_execz .LBB338_855
; %bb.848:                              ;   in Loop: Header=BB338_523 Depth=1
	v_bfrev_b32_e32 v34, 1
	s_mov_b32 s15, exec_lo
	v_cmpx_ne_u16_e32 0x80, v18
	s_cbranch_execz .LBB338_854
; %bb.849:                              ;   in Loop: Header=BB338_523 Depth=1
	v_bfe_u32 v82, v30, 16, 7
	v_mov_b32_e32 v34, 0x7f800001
	s_mov_b32 s16, exec_lo
	s_delay_alu instid0(VALU_DEP_2)
	v_cmpx_ne_u32_e32 0x7f, v82
	s_cbranch_execz .LBB338_853
; %bb.850:                              ;   in Loop: Header=BB338_523 Depth=1
	v_dual_lshrrev_b32 v33, 3, v82 :: v_dual_bitop2_b32 v18, 7, v32 bitop3:0x40
	s_mov_b32 s17, exec_lo
	v_cmpx_gt_u32_e32 8, v82
; %bb.851:                              ;   in Loop: Header=BB338_523 Depth=1
	s_delay_alu instid0(VALU_DEP_2) | instskip(NEXT) | instid1(VALU_DEP_1)
	v_clz_i32_u32_e32 v33, v18
	v_min_u32_e32 v33, 32, v33
	s_delay_alu instid0(VALU_DEP_1) | instskip(NEXT) | instid1(VALU_DEP_1)
	v_subrev_nc_u32_e32 v34, 28, v33
	v_lshlrev_b64_e32 v[82:83], v34, v[18:19]
	s_delay_alu instid0(VALU_DEP_1)
	v_dual_sub_nc_u32 v33, 29, v33 :: v_dual_bitop2_b32 v18, 7, v82 bitop3:0x40
; %bb.852:                              ;   in Loop: Header=BB338_523 Depth=1
	s_or_b32 exec_lo, exec_lo, s17
	s_delay_alu instid0(VALU_DEP_1) | instskip(NEXT) | instid1(VALU_DEP_2)
	v_dual_lshlrev_b32 v32, 24, v32 :: v_dual_lshlrev_b32 v18, 20, v18
	v_lshl_add_u32 v33, v33, 23, 0x3c000000
	s_delay_alu instid0(VALU_DEP_2) | instskip(NEXT) | instid1(VALU_DEP_1)
	v_and_b32_e32 v32, 0x80000000, v32
	v_or3_b32 v34, v18, v32, v33
.LBB338_853:                            ;   in Loop: Header=BB338_523 Depth=1
	s_or_b32 exec_lo, exec_lo, s16
.LBB338_854:                            ;   in Loop: Header=BB338_523 Depth=1
	s_delay_alu instid0(SALU_CYCLE_1)
	s_or_b32 exec_lo, exec_lo, s15
.LBB338_855:                            ;   in Loop: Header=BB338_523 Depth=1
	s_delay_alu instid0(SALU_CYCLE_1) | instskip(NEXT) | instid1(SALU_CYCLE_1)
	s_or_b32 exec_lo, exec_lo, s14
	s_mov_b32 s14, exec_lo
	v_cmpx_lt_u32_e32 0xffffff, v30
	s_cbranch_execz .LBB338_863
; %bb.856:                              ;   in Loop: Header=BB338_523 Depth=1
	v_lshrrev_b32_e32 v32, 24, v30
	v_bfrev_b32_e32 v35, 1
	s_mov_b32 s15, exec_lo
	s_delay_alu instid0(VALU_DEP_2)
	v_cmpx_ne_u32_e32 0x80, v32
	s_cbranch_execz .LBB338_862
; %bb.857:                              ;   in Loop: Header=BB338_523 Depth=1
	v_bfe_u32 v82, v30, 24, 7
	v_mov_b32_e32 v35, 0x7f800001
	s_mov_b32 s16, exec_lo
	s_delay_alu instid0(VALU_DEP_2)
	v_cmpx_ne_u32_e32 0x7f, v82
	s_cbranch_execz .LBB338_861
; %bb.858:                              ;   in Loop: Header=BB338_523 Depth=1
	v_dual_lshrrev_b32 v33, 3, v82 :: v_dual_bitop2_b32 v18, 7, v32 bitop3:0x40
	s_mov_b32 s17, exec_lo
	v_cmpx_gt_u32_e32 8, v82
; %bb.859:                              ;   in Loop: Header=BB338_523 Depth=1
	s_delay_alu instid0(VALU_DEP_2) | instskip(NEXT) | instid1(VALU_DEP_1)
	v_clz_i32_u32_e32 v33, v18
	v_min_u32_e32 v33, 32, v33
	s_delay_alu instid0(VALU_DEP_1) | instskip(NEXT) | instid1(VALU_DEP_1)
	v_subrev_nc_u32_e32 v35, 28, v33
	v_lshlrev_b64_e32 v[82:83], v35, v[18:19]
	s_delay_alu instid0(VALU_DEP_1)
	v_dual_sub_nc_u32 v33, 29, v33 :: v_dual_bitop2_b32 v18, 7, v82 bitop3:0x40
; %bb.860:                              ;   in Loop: Header=BB338_523 Depth=1
	s_or_b32 exec_lo, exec_lo, s17
	s_delay_alu instid0(VALU_DEP_1) | instskip(NEXT) | instid1(VALU_DEP_2)
	v_dual_lshlrev_b32 v32, 24, v32 :: v_dual_lshlrev_b32 v18, 20, v18
	v_lshl_add_u32 v33, v33, 23, 0x3c000000
	s_delay_alu instid0(VALU_DEP_2) | instskip(NEXT) | instid1(VALU_DEP_1)
	v_and_b32_e32 v32, 0x80000000, v32
	v_or3_b32 v35, v18, v32, v33
.LBB338_861:                            ;   in Loop: Header=BB338_523 Depth=1
	s_or_b32 exec_lo, exec_lo, s16
.LBB338_862:                            ;   in Loop: Header=BB338_523 Depth=1
	s_delay_alu instid0(SALU_CYCLE_1)
	s_or_b32 exec_lo, exec_lo, s15
.LBB338_863:                            ;   in Loop: Header=BB338_523 Depth=1
	s_delay_alu instid0(SALU_CYCLE_1) | instskip(SKIP_4) | instid1(VALU_DEP_3)
	s_or_b32 exec_lo, exec_lo, s14
	v_and_b32_e32 v33, 0xff, v31
	v_dual_mov_b32 v18, v31 :: v_dual_mov_b32 v32, 0
	v_mov_b32_e32 v83, 0
	s_mov_b32 s14, exec_lo
	v_cmpx_ne_u16_e32 0, v33
	s_cbranch_execz .LBB338_869
; %bb.864:                              ;   in Loop: Header=BB338_523 Depth=1
	v_bfrev_b32_e32 v83, 1
	s_mov_b32 s15, exec_lo
	v_cmpx_ne_u16_e32 0x80, v33
	s_cbranch_execz .LBB338_868
; %bb.865:                              ;   in Loop: Header=BB338_523 Depth=1
	v_and_b32_e32 v33, 0x7f, v31
	v_mov_b32_e32 v83, 0x7f800001
	s_mov_b32 s16, exec_lo
	s_delay_alu instid0(VALU_DEP_2)
	v_cmpx_ne_u32_e32 0x7f, v33
	s_cbranch_execz .LBB338_867
; %bb.866:                              ;   in Loop: Header=BB338_523 Depth=1
	v_dual_lshrrev_b32 v83, 3, v33 :: v_dual_bitop2_b32 v82, 7, v31 bitop3:0x40
	v_cmp_gt_u32_e64 s1, 8, v33
	s_delay_alu instid0(VALU_DEP_2) | instskip(NEXT) | instid1(VALU_DEP_1)
	v_clz_i32_u32_e32 v82, v82
	v_min_u32_e32 v82, 32, v82
	s_delay_alu instid0(VALU_DEP_1) | instskip(SKIP_1) | instid1(VALU_DEP_1)
	v_subrev_nc_u32_e32 v84, 28, v82
	v_sub_nc_u32_e32 v82, 29, v82
	v_dual_cndmask_b32 v33, v83, v82, s1 :: v_dual_cndmask_b32 v82, 0, v84, s1
	s_delay_alu instid0(VALU_DEP_1) | instskip(NEXT) | instid1(VALU_DEP_2)
	v_lshl_add_u32 v33, v33, 23, 0x3c000000
	v_lshlrev_b64_e32 v[82:83], v82, v[18:19]
	v_lshlrev_b32_e32 v83, 24, v18
	s_delay_alu instid0(VALU_DEP_1) | instskip(NEXT) | instid1(VALU_DEP_3)
	v_and_b32_e32 v83, 0x80000000, v83
	v_lshlrev_b32_e32 v82, 20, v82
	s_delay_alu instid0(VALU_DEP_1) | instskip(NEXT) | instid1(VALU_DEP_1)
	v_and_b32_e32 v82, 0x700000, v82
	v_or3_b32 v83, v82, v83, v33
.LBB338_867:                            ;   in Loop: Header=BB338_523 Depth=1
	s_or_b32 exec_lo, exec_lo, s16
.LBB338_868:                            ;   in Loop: Header=BB338_523 Depth=1
	s_delay_alu instid0(SALU_CYCLE_1)
	s_or_b32 exec_lo, exec_lo, s15
.LBB338_869:                            ;   in Loop: Header=BB338_523 Depth=1
	s_delay_alu instid0(SALU_CYCLE_1) | instskip(SKIP_2) | instid1(VALU_DEP_1)
	s_or_b32 exec_lo, exec_lo, s14
	v_lshrrev_b16 v33, 8, v18
	s_mov_b32 s14, exec_lo
	v_cmpx_ne_u16_e32 0, v33
	s_cbranch_execz .LBB338_877
; %bb.870:                              ;   in Loop: Header=BB338_523 Depth=1
	v_bfrev_b32_e32 v32, 1
	s_mov_b32 s15, exec_lo
	v_cmpx_ne_u16_e32 0x80, v33
	s_cbranch_execz .LBB338_876
; %bb.871:                              ;   in Loop: Header=BB338_523 Depth=1
	v_and_b32_e32 v33, 0xffff, v33
	v_mov_b32_e32 v32, 0x7f800001
	s_mov_b32 s16, exec_lo
	s_delay_alu instid0(VALU_DEP_2) | instskip(NEXT) | instid1(VALU_DEP_1)
	v_and_b32_e32 v84, 0x7f, v33
	v_cmpx_ne_u32_e32 0x7f, v84
	s_cbranch_execz .LBB338_875
; %bb.872:                              ;   in Loop: Header=BB338_523 Depth=1
	v_dual_mov_b32 v33, v19 :: v_dual_bitop2_b32 v32, 7, v33 bitop3:0x40
	v_lshrrev_b32_e32 v82, 3, v84
	s_mov_b32 s17, exec_lo
	v_cmpx_gt_u32_e32 8, v84
; %bb.873:                              ;   in Loop: Header=BB338_523 Depth=1
	s_delay_alu instid0(VALU_DEP_3) | instskip(NEXT) | instid1(VALU_DEP_1)
	v_clz_i32_u32_e32 v82, v32
	v_min_u32_e32 v82, 32, v82
	s_delay_alu instid0(VALU_DEP_1) | instskip(NEXT) | instid1(VALU_DEP_1)
	v_subrev_nc_u32_e32 v84, 28, v82
	v_lshlrev_b64_e32 v[32:33], v84, v[32:33]
	s_delay_alu instid0(VALU_DEP_1)
	v_dual_sub_nc_u32 v82, 29, v82 :: v_dual_bitop2_b32 v32, 7, v32 bitop3:0x40
; %bb.874:                              ;   in Loop: Header=BB338_523 Depth=1
	s_or_b32 exec_lo, exec_lo, s17
	s_delay_alu instid0(VALU_DEP_1) | instskip(NEXT) | instid1(VALU_DEP_2)
	v_dual_lshlrev_b32 v18, 16, v18 :: v_dual_lshlrev_b32 v32, 20, v32
	v_lshl_add_u32 v33, v82, 23, 0x3c000000
	s_delay_alu instid0(VALU_DEP_2) | instskip(NEXT) | instid1(VALU_DEP_1)
	v_and_b32_e32 v18, 0x80000000, v18
	v_or3_b32 v32, v32, v18, v33
.LBB338_875:                            ;   in Loop: Header=BB338_523 Depth=1
	s_or_b32 exec_lo, exec_lo, s16
.LBB338_876:                            ;   in Loop: Header=BB338_523 Depth=1
	s_delay_alu instid0(SALU_CYCLE_1)
	s_or_b32 exec_lo, exec_lo, s15
.LBB338_877:                            ;   in Loop: Header=BB338_523 Depth=1
	s_delay_alu instid0(SALU_CYCLE_1) | instskip(SKIP_3) | instid1(VALU_DEP_2)
	s_or_b32 exec_lo, exec_lo, s14
	v_dual_mov_b32 v33, 0 :: v_dual_lshrrev_b32 v82, 16, v31
	v_mov_b32_e32 v88, 0
	s_mov_b32 s14, exec_lo
	v_and_b32_e32 v18, 0xff, v82
	s_delay_alu instid0(VALU_DEP_1)
	v_cmpx_ne_u16_e32 0, v18
	s_cbranch_execz .LBB338_885
; %bb.878:                              ;   in Loop: Header=BB338_523 Depth=1
	v_bfrev_b32_e32 v88, 1
	s_mov_b32 s15, exec_lo
	v_cmpx_ne_u16_e32 0x80, v18
	s_cbranch_execz .LBB338_884
; %bb.879:                              ;   in Loop: Header=BB338_523 Depth=1
	v_bfe_u32 v85, v31, 16, 7
	v_mov_b32_e32 v88, 0x7f800001
	s_mov_b32 s16, exec_lo
	s_delay_alu instid0(VALU_DEP_2)
	v_cmpx_ne_u32_e32 0x7f, v85
	s_cbranch_execz .LBB338_883
; %bb.880:                              ;   in Loop: Header=BB338_523 Depth=1
	v_dual_lshrrev_b32 v84, 3, v85 :: v_dual_bitop2_b32 v18, 7, v82 bitop3:0x40
	s_mov_b32 s17, exec_lo
	v_cmpx_gt_u32_e32 8, v85
; %bb.881:                              ;   in Loop: Header=BB338_523 Depth=1
	s_delay_alu instid0(VALU_DEP_2) | instskip(NEXT) | instid1(VALU_DEP_1)
	v_clz_i32_u32_e32 v84, v18
	v_min_u32_e32 v84, 32, v84
	s_delay_alu instid0(VALU_DEP_1) | instskip(NEXT) | instid1(VALU_DEP_1)
	v_subrev_nc_u32_e32 v85, 28, v84
	v_lshlrev_b64_e32 v[86:87], v85, v[18:19]
	s_delay_alu instid0(VALU_DEP_1)
	v_dual_sub_nc_u32 v84, 29, v84 :: v_dual_bitop2_b32 v18, 7, v86 bitop3:0x40
; %bb.882:                              ;   in Loop: Header=BB338_523 Depth=1
	s_or_b32 exec_lo, exec_lo, s17
	v_lshlrev_b32_e32 v82, 24, v82
	s_delay_alu instid0(VALU_DEP_2) | instskip(NEXT) | instid1(VALU_DEP_3)
	v_lshlrev_b32_e32 v18, 20, v18
	v_lshl_add_u32 v84, v84, 23, 0x3c000000
	s_delay_alu instid0(VALU_DEP_3) | instskip(NEXT) | instid1(VALU_DEP_1)
	v_and_b32_e32 v82, 0x80000000, v82
	v_or3_b32 v88, v18, v82, v84
.LBB338_883:                            ;   in Loop: Header=BB338_523 Depth=1
	s_or_b32 exec_lo, exec_lo, s16
.LBB338_884:                            ;   in Loop: Header=BB338_523 Depth=1
	s_delay_alu instid0(SALU_CYCLE_1)
	s_or_b32 exec_lo, exec_lo, s15
.LBB338_885:                            ;   in Loop: Header=BB338_523 Depth=1
	s_delay_alu instid0(SALU_CYCLE_1) | instskip(NEXT) | instid1(SALU_CYCLE_1)
	s_or_b32 exec_lo, exec_lo, s14
	s_mov_b32 s14, exec_lo
	v_cmpx_lt_u64_e64 s[2:3], v[30:31]
	s_cbranch_execz .LBB338_893
; %bb.886:                              ;   in Loop: Header=BB338_523 Depth=1
	v_lshrrev_b32_e32 v30, 24, v31
	v_bfrev_b32_e32 v33, 1
	s_mov_b32 s15, exec_lo
	s_delay_alu instid0(VALU_DEP_2)
	v_cmpx_ne_u32_e32 0x80, v30
	s_cbranch_execz .LBB338_892
; %bb.887:                              ;   in Loop: Header=BB338_523 Depth=1
	v_bfe_u32 v82, v31, 24, 7
	v_mov_b32_e32 v33, 0x7f800001
	s_mov_b32 s16, exec_lo
	s_delay_alu instid0(VALU_DEP_2)
	v_cmpx_ne_u32_e32 0x7f, v82
	s_cbranch_execz .LBB338_891
; %bb.888:                              ;   in Loop: Header=BB338_523 Depth=1
	v_and_b32_e32 v18, 7, v30
	v_lshrrev_b32_e32 v31, 3, v82
	s_mov_b32 s17, exec_lo
	v_cmpx_gt_u32_e32 8, v82
; %bb.889:                              ;   in Loop: Header=BB338_523 Depth=1
	s_delay_alu instid0(VALU_DEP_3) | instskip(NEXT) | instid1(VALU_DEP_1)
	v_clz_i32_u32_e32 v31, v18
	v_min_u32_e32 v31, 32, v31
	s_delay_alu instid0(VALU_DEP_1) | instskip(NEXT) | instid1(VALU_DEP_1)
	v_subrev_nc_u32_e32 v33, 28, v31
	v_lshlrev_b64_e32 v[84:85], v33, v[18:19]
	s_delay_alu instid0(VALU_DEP_1)
	v_dual_sub_nc_u32 v31, 29, v31 :: v_dual_bitop2_b32 v18, 7, v84 bitop3:0x40
; %bb.890:                              ;   in Loop: Header=BB338_523 Depth=1
	s_or_b32 exec_lo, exec_lo, s17
	v_lshlrev_b32_e32 v30, 24, v30
	s_delay_alu instid0(VALU_DEP_2) | instskip(NEXT) | instid1(VALU_DEP_3)
	v_lshlrev_b32_e32 v18, 20, v18
	v_lshl_add_u32 v31, v31, 23, 0x3c000000
	s_delay_alu instid0(VALU_DEP_3) | instskip(NEXT) | instid1(VALU_DEP_1)
	v_and_b32_e32 v30, 0x80000000, v30
	v_or3_b32 v33, v18, v30, v31
.LBB338_891:                            ;   in Loop: Header=BB338_523 Depth=1
	s_or_b32 exec_lo, exec_lo, s16
.LBB338_892:                            ;   in Loop: Header=BB338_523 Depth=1
	s_delay_alu instid0(SALU_CYCLE_1)
	s_or_b32 exec_lo, exec_lo, s15
.LBB338_893:                            ;   in Loop: Header=BB338_523 Depth=1
	s_delay_alu instid0(SALU_CYCLE_1)
	s_or_b32 exec_lo, exec_lo, s14
	v_fma_mixlo_bf16 v82, s25, v32, 0
	v_fma_mixlo_bf16 v83, s25, v83, 0
	;; [unrolled: 1-line block ×8, first 2 shown]
	s_and_saveexec_b32 s14, s0
	s_cbranch_execz .LBB338_895
; %bb.894:                              ;   in Loop: Header=BB338_523 Depth=1
	v_dual_add_nc_u32 v0, -6, v38 :: v_dual_add_nc_u32 v1, -5, v38
	v_cmp_gt_i32_e64 s1, s23, v49
	s_delay_alu instid0(VALU_DEP_1) | instskip(NEXT) | instid1(VALU_DEP_3)
	v_dual_add_nc_u32 v18, -2, v38 :: v_dual_cndmask_b32 v87, 0, v87, s1
	v_cmp_gt_i32_e64 s1, s23, v0
	s_delay_alu instid0(VALU_DEP_1) | instskip(SKIP_2) | instid1(VALU_DEP_2)
	v_cndmask_b32_e64 v86, 0, v86, s1
	v_cmp_gt_i32_e64 s1, s23, v1
	v_dual_add_nc_u32 v0, -4, v38 :: v_dual_add_nc_u32 v1, -3, v38
	v_cndmask_b32_e64 v85, 0, v85, s1
	s_delay_alu instid0(VALU_DEP_2) | instskip(NEXT) | instid1(VALU_DEP_1)
	v_cmp_gt_i32_e64 s1, s23, v0
	v_dual_add_nc_u32 v0, -1, v38 :: v_dual_cndmask_b32 v84, 0, v84, s1
	s_delay_alu instid0(VALU_DEP_4) | instskip(NEXT) | instid1(VALU_DEP_1)
	v_cmp_gt_i32_e64 s1, s23, v1
	v_cndmask_b32_e64 v83, 0, v83, s1
	v_cmp_gt_i32_e64 s1, s23, v18
	s_delay_alu instid0(VALU_DEP_1) | instskip(SKIP_1) | instid1(VALU_DEP_1)
	v_cndmask_b32_e64 v82, 0, v82, s1
	v_cmp_gt_i32_e64 s1, s23, v0
	v_cndmask_b32_e64 v32, 0, v32, s1
	v_cmp_gt_i32_e64 s1, s23, v38
	s_delay_alu instid0(VALU_DEP_1)
	v_cndmask_b32_e64 v33, 0, v33, s1
.LBB338_895:                            ;   in Loop: Header=BB338_523 Depth=1
	s_or_b32 exec_lo, exec_lo, s14
	global_load_b64 v[28:29], v[28:29], off offset:1536
	v_dual_mov_b32 v1, 0 :: v_dual_mov_b32 v0, 0
	s_mov_b32 s14, exec_lo
	s_wait_loadcnt 0x0
	v_and_b32_e32 v18, 0xff, v28
	s_delay_alu instid0(VALU_DEP_1)
	v_cmpx_ne_u16_e32 0, v18
	s_cbranch_execz .LBB338_901
; %bb.896:                              ;   in Loop: Header=BB338_523 Depth=1
	v_bfrev_b32_e32 v0, 1
	s_mov_b32 s15, exec_lo
	v_cmpx_ne_u16_e32 0x80, v18
	s_cbranch_execz .LBB338_900
; %bb.897:                              ;   in Loop: Header=BB338_523 Depth=1
	v_and_b32_e32 v18, 0x7f, v28
	v_mov_b32_e32 v0, 0x7f800001
	s_mov_b32 s16, exec_lo
	s_delay_alu instid0(VALU_DEP_2)
	v_cmpx_ne_u32_e32 0x7f, v18
	s_cbranch_execz .LBB338_899
; %bb.898:                              ;   in Loop: Header=BB338_523 Depth=1
	v_dual_lshrrev_b32 v30, 3, v18 :: v_dual_bitop2_b32 v0, 7, v28 bitop3:0x40
	v_cmp_gt_u32_e64 s1, 8, v18
	s_delay_alu instid0(VALU_DEP_2) | instskip(NEXT) | instid1(VALU_DEP_1)
	v_clz_i32_u32_e32 v0, v0
	v_min_u32_e32 v0, 32, v0
	s_delay_alu instid0(VALU_DEP_1) | instskip(NEXT) | instid1(VALU_DEP_1)
	v_subrev_nc_u32_e32 v31, 28, v0
	v_dual_sub_nc_u32 v0, 29, v0 :: v_dual_cndmask_b32 v18, 0, v31, s1
	s_delay_alu instid0(VALU_DEP_1) | instskip(NEXT) | instid1(VALU_DEP_2)
	v_cndmask_b32_e64 v0, v30, v0, s1
	v_lshlrev_b64_e32 v[30:31], v18, v[28:29]
	v_lshlrev_b32_e32 v18, 24, v28
	s_delay_alu instid0(VALU_DEP_1) | instskip(NEXT) | instid1(VALU_DEP_3)
	v_and_b32_e32 v18, 0x80000000, v18
	v_lshlrev_b32_e32 v30, 20, v30
	v_lshl_add_u32 v0, v0, 23, 0x3c000000
	s_delay_alu instid0(VALU_DEP_2) | instskip(NEXT) | instid1(VALU_DEP_1)
	v_and_b32_e32 v30, 0x700000, v30
	v_or3_b32 v0, v30, v18, v0
.LBB338_899:                            ;   in Loop: Header=BB338_523 Depth=1
	s_or_b32 exec_lo, exec_lo, s16
.LBB338_900:                            ;   in Loop: Header=BB338_523 Depth=1
	s_delay_alu instid0(SALU_CYCLE_1)
	s_or_b32 exec_lo, exec_lo, s15
.LBB338_901:                            ;   in Loop: Header=BB338_523 Depth=1
	s_delay_alu instid0(SALU_CYCLE_1) | instskip(SKIP_2) | instid1(VALU_DEP_1)
	s_or_b32 exec_lo, exec_lo, s14
	v_lshrrev_b16 v18, 8, v28
	s_mov_b32 s14, exec_lo
	v_cmpx_ne_u16_e32 0, v18
	s_cbranch_execz .LBB338_909
; %bb.902:                              ;   in Loop: Header=BB338_523 Depth=1
	v_bfrev_b32_e32 v1, 1
	s_mov_b32 s15, exec_lo
	v_cmpx_ne_u16_e32 0x80, v18
	s_cbranch_execz .LBB338_908
; %bb.903:                              ;   in Loop: Header=BB338_523 Depth=1
	v_and_b32_e32 v18, 0xffff, v18
	v_mov_b32_e32 v1, 0x7f800001
	s_mov_b32 s16, exec_lo
	s_delay_alu instid0(VALU_DEP_2) | instskip(NEXT) | instid1(VALU_DEP_1)
	v_and_b32_e32 v30, 0x7f, v18
	v_cmpx_ne_u32_e32 0x7f, v30
	s_cbranch_execz .LBB338_907
; %bb.904:                              ;   in Loop: Header=BB338_523 Depth=1
	v_and_b32_e32 v18, 7, v18
	v_lshrrev_b32_e32 v1, 3, v30
	s_mov_b32 s17, exec_lo
	v_cmpx_gt_u32_e32 8, v30
; %bb.905:                              ;   in Loop: Header=BB338_523 Depth=1
	s_delay_alu instid0(VALU_DEP_3) | instskip(NEXT) | instid1(VALU_DEP_1)
	v_clz_i32_u32_e32 v1, v18
	v_min_u32_e32 v1, 32, v1
	s_delay_alu instid0(VALU_DEP_1) | instskip(NEXT) | instid1(VALU_DEP_1)
	v_subrev_nc_u32_e32 v30, 28, v1
	v_lshlrev_b64_e32 v[30:31], v30, v[18:19]
	s_delay_alu instid0(VALU_DEP_1)
	v_dual_sub_nc_u32 v1, 29, v1 :: v_dual_bitop2_b32 v18, 7, v30 bitop3:0x40
; %bb.906:                              ;   in Loop: Header=BB338_523 Depth=1
	s_or_b32 exec_lo, exec_lo, s17
	s_delay_alu instid0(VALU_DEP_1) | instskip(NEXT) | instid1(VALU_DEP_2)
	v_dual_lshlrev_b32 v30, 16, v28 :: v_dual_lshlrev_b32 v18, 20, v18
	v_lshl_add_u32 v1, v1, 23, 0x3c000000
	s_delay_alu instid0(VALU_DEP_2) | instskip(NEXT) | instid1(VALU_DEP_1)
	v_and_b32_e32 v30, 0x80000000, v30
	v_or3_b32 v1, v18, v30, v1
.LBB338_907:                            ;   in Loop: Header=BB338_523 Depth=1
	s_or_b32 exec_lo, exec_lo, s16
.LBB338_908:                            ;   in Loop: Header=BB338_523 Depth=1
	s_delay_alu instid0(SALU_CYCLE_1)
	s_or_b32 exec_lo, exec_lo, s15
.LBB338_909:                            ;   in Loop: Header=BB338_523 Depth=1
	s_delay_alu instid0(SALU_CYCLE_1) | instskip(SKIP_3) | instid1(VALU_DEP_2)
	s_or_b32 exec_lo, exec_lo, s14
	v_dual_mov_b32 v35, 0 :: v_dual_lshrrev_b32 v30, 16, v28
	v_mov_b32_e32 v34, 0
	s_mov_b32 s14, exec_lo
	v_and_b32_e32 v18, 0xff, v30
	s_delay_alu instid0(VALU_DEP_1)
	v_cmpx_ne_u16_e32 0, v18
	s_cbranch_execz .LBB338_917
; %bb.910:                              ;   in Loop: Header=BB338_523 Depth=1
	v_bfrev_b32_e32 v34, 1
	s_mov_b32 s15, exec_lo
	v_cmpx_ne_u16_e32 0x80, v18
	s_cbranch_execz .LBB338_916
; %bb.911:                              ;   in Loop: Header=BB338_523 Depth=1
	v_bfe_u32 v88, v28, 16, 7
	v_mov_b32_e32 v34, 0x7f800001
	s_mov_b32 s16, exec_lo
	s_delay_alu instid0(VALU_DEP_2)
	v_cmpx_ne_u32_e32 0x7f, v88
	s_cbranch_execz .LBB338_915
; %bb.912:                              ;   in Loop: Header=BB338_523 Depth=1
	v_dual_lshrrev_b32 v31, 3, v88 :: v_dual_bitop2_b32 v18, 7, v30 bitop3:0x40
	s_mov_b32 s17, exec_lo
	v_cmpx_gt_u32_e32 8, v88
; %bb.913:                              ;   in Loop: Header=BB338_523 Depth=1
	s_delay_alu instid0(VALU_DEP_2) | instskip(NEXT) | instid1(VALU_DEP_1)
	v_clz_i32_u32_e32 v31, v18
	v_min_u32_e32 v31, 32, v31
	s_delay_alu instid0(VALU_DEP_1) | instskip(NEXT) | instid1(VALU_DEP_1)
	v_subrev_nc_u32_e32 v34, 28, v31
	v_lshlrev_b64_e32 v[88:89], v34, v[18:19]
	s_delay_alu instid0(VALU_DEP_1)
	v_dual_sub_nc_u32 v31, 29, v31 :: v_dual_bitop2_b32 v18, 7, v88 bitop3:0x40
; %bb.914:                              ;   in Loop: Header=BB338_523 Depth=1
	s_or_b32 exec_lo, exec_lo, s17
	v_lshlrev_b32_e32 v30, 24, v30
	s_delay_alu instid0(VALU_DEP_2) | instskip(NEXT) | instid1(VALU_DEP_3)
	v_lshlrev_b32_e32 v18, 20, v18
	v_lshl_add_u32 v31, v31, 23, 0x3c000000
	s_delay_alu instid0(VALU_DEP_3) | instskip(NEXT) | instid1(VALU_DEP_1)
	v_and_b32_e32 v30, 0x80000000, v30
	v_or3_b32 v34, v18, v30, v31
.LBB338_915:                            ;   in Loop: Header=BB338_523 Depth=1
	s_or_b32 exec_lo, exec_lo, s16
.LBB338_916:                            ;   in Loop: Header=BB338_523 Depth=1
	s_delay_alu instid0(SALU_CYCLE_1)
	s_or_b32 exec_lo, exec_lo, s15
.LBB338_917:                            ;   in Loop: Header=BB338_523 Depth=1
	s_delay_alu instid0(SALU_CYCLE_1) | instskip(NEXT) | instid1(SALU_CYCLE_1)
	s_or_b32 exec_lo, exec_lo, s14
	s_mov_b32 s14, exec_lo
	v_cmpx_lt_u32_e32 0xffffff, v28
	s_cbranch_execz .LBB338_925
; %bb.918:                              ;   in Loop: Header=BB338_523 Depth=1
	v_lshrrev_b32_e32 v30, 24, v28
	v_bfrev_b32_e32 v35, 1
	s_mov_b32 s15, exec_lo
	s_delay_alu instid0(VALU_DEP_2)
	v_cmpx_ne_u32_e32 0x80, v30
	s_cbranch_execz .LBB338_924
; %bb.919:                              ;   in Loop: Header=BB338_523 Depth=1
	v_bfe_u32 v88, v28, 24, 7
	v_mov_b32_e32 v35, 0x7f800001
	s_mov_b32 s16, exec_lo
	s_delay_alu instid0(VALU_DEP_2)
	v_cmpx_ne_u32_e32 0x7f, v88
	s_cbranch_execz .LBB338_923
; %bb.920:                              ;   in Loop: Header=BB338_523 Depth=1
	v_dual_lshrrev_b32 v31, 3, v88 :: v_dual_bitop2_b32 v18, 7, v30 bitop3:0x40
	s_mov_b32 s17, exec_lo
	v_cmpx_gt_u32_e32 8, v88
; %bb.921:                              ;   in Loop: Header=BB338_523 Depth=1
	s_delay_alu instid0(VALU_DEP_2) | instskip(NEXT) | instid1(VALU_DEP_1)
	v_clz_i32_u32_e32 v31, v18
	v_min_u32_e32 v31, 32, v31
	s_delay_alu instid0(VALU_DEP_1) | instskip(NEXT) | instid1(VALU_DEP_1)
	v_subrev_nc_u32_e32 v35, 28, v31
	v_lshlrev_b64_e32 v[88:89], v35, v[18:19]
	s_delay_alu instid0(VALU_DEP_1)
	v_dual_sub_nc_u32 v31, 29, v31 :: v_dual_bitop2_b32 v18, 7, v88 bitop3:0x40
; %bb.922:                              ;   in Loop: Header=BB338_523 Depth=1
	s_or_b32 exec_lo, exec_lo, s17
	v_lshlrev_b32_e32 v30, 24, v30
	s_delay_alu instid0(VALU_DEP_2) | instskip(NEXT) | instid1(VALU_DEP_3)
	v_lshlrev_b32_e32 v18, 20, v18
	v_lshl_add_u32 v31, v31, 23, 0x3c000000
	s_delay_alu instid0(VALU_DEP_3) | instskip(NEXT) | instid1(VALU_DEP_1)
	v_and_b32_e32 v30, 0x80000000, v30
	v_or3_b32 v35, v18, v30, v31
.LBB338_923:                            ;   in Loop: Header=BB338_523 Depth=1
	s_or_b32 exec_lo, exec_lo, s16
.LBB338_924:                            ;   in Loop: Header=BB338_523 Depth=1
	s_delay_alu instid0(SALU_CYCLE_1)
	s_or_b32 exec_lo, exec_lo, s15
.LBB338_925:                            ;   in Loop: Header=BB338_523 Depth=1
	s_delay_alu instid0(SALU_CYCLE_1) | instskip(SKIP_4) | instid1(VALU_DEP_3)
	s_or_b32 exec_lo, exec_lo, s14
	v_and_b32_e32 v31, 0xff, v29
	v_dual_mov_b32 v18, v29 :: v_dual_mov_b32 v30, 0
	v_mov_b32_e32 v88, 0
	s_mov_b32 s14, exec_lo
	v_cmpx_ne_u16_e32 0, v31
	s_cbranch_execz .LBB338_931
; %bb.926:                              ;   in Loop: Header=BB338_523 Depth=1
	v_bfrev_b32_e32 v88, 1
	s_mov_b32 s15, exec_lo
	v_cmpx_ne_u16_e32 0x80, v31
	s_cbranch_execz .LBB338_930
; %bb.927:                              ;   in Loop: Header=BB338_523 Depth=1
	v_and_b32_e32 v31, 0x7f, v29
	v_mov_b32_e32 v88, 0x7f800001
	s_mov_b32 s16, exec_lo
	s_delay_alu instid0(VALU_DEP_2)
	v_cmpx_ne_u32_e32 0x7f, v31
	s_cbranch_execz .LBB338_929
; %bb.928:                              ;   in Loop: Header=BB338_523 Depth=1
	v_dual_lshrrev_b32 v89, 3, v31 :: v_dual_bitop2_b32 v88, 7, v29 bitop3:0x40
	v_cmp_gt_u32_e64 s1, 8, v31
	s_delay_alu instid0(VALU_DEP_2) | instskip(NEXT) | instid1(VALU_DEP_1)
	v_clz_i32_u32_e32 v88, v88
	v_min_u32_e32 v88, 32, v88
	s_delay_alu instid0(VALU_DEP_1) | instskip(SKIP_1) | instid1(VALU_DEP_1)
	v_subrev_nc_u32_e32 v90, 28, v88
	v_sub_nc_u32_e32 v88, 29, v88
	v_dual_cndmask_b32 v31, v89, v88, s1 :: v_dual_cndmask_b32 v88, 0, v90, s1
	s_delay_alu instid0(VALU_DEP_1) | instskip(NEXT) | instid1(VALU_DEP_2)
	v_lshl_add_u32 v31, v31, 23, 0x3c000000
	v_lshlrev_b64_e32 v[88:89], v88, v[18:19]
	v_lshlrev_b32_e32 v89, 24, v18
	s_delay_alu instid0(VALU_DEP_1) | instskip(NEXT) | instid1(VALU_DEP_3)
	v_and_b32_e32 v89, 0x80000000, v89
	v_lshlrev_b32_e32 v88, 20, v88
	s_delay_alu instid0(VALU_DEP_1) | instskip(NEXT) | instid1(VALU_DEP_1)
	v_and_b32_e32 v88, 0x700000, v88
	v_or3_b32 v88, v88, v89, v31
.LBB338_929:                            ;   in Loop: Header=BB338_523 Depth=1
	s_or_b32 exec_lo, exec_lo, s16
.LBB338_930:                            ;   in Loop: Header=BB338_523 Depth=1
	s_delay_alu instid0(SALU_CYCLE_1)
	s_or_b32 exec_lo, exec_lo, s15
.LBB338_931:                            ;   in Loop: Header=BB338_523 Depth=1
	s_delay_alu instid0(SALU_CYCLE_1) | instskip(SKIP_2) | instid1(VALU_DEP_1)
	s_or_b32 exec_lo, exec_lo, s14
	v_lshrrev_b16 v31, 8, v18
	s_mov_b32 s14, exec_lo
	v_cmpx_ne_u16_e32 0, v31
	s_cbranch_execz .LBB338_939
; %bb.932:                              ;   in Loop: Header=BB338_523 Depth=1
	v_bfrev_b32_e32 v30, 1
	s_mov_b32 s15, exec_lo
	v_cmpx_ne_u16_e32 0x80, v31
	s_cbranch_execz .LBB338_938
; %bb.933:                              ;   in Loop: Header=BB338_523 Depth=1
	v_and_b32_e32 v31, 0xffff, v31
	v_mov_b32_e32 v30, 0x7f800001
	s_mov_b32 s16, exec_lo
	s_delay_alu instid0(VALU_DEP_2) | instskip(NEXT) | instid1(VALU_DEP_1)
	v_and_b32_e32 v90, 0x7f, v31
	v_cmpx_ne_u32_e32 0x7f, v90
	s_cbranch_execz .LBB338_937
; %bb.934:                              ;   in Loop: Header=BB338_523 Depth=1
	v_dual_mov_b32 v31, v19 :: v_dual_bitop2_b32 v30, 7, v31 bitop3:0x40
	v_lshrrev_b32_e32 v89, 3, v90
	s_mov_b32 s17, exec_lo
	v_cmpx_gt_u32_e32 8, v90
; %bb.935:                              ;   in Loop: Header=BB338_523 Depth=1
	s_delay_alu instid0(VALU_DEP_3) | instskip(NEXT) | instid1(VALU_DEP_1)
	v_clz_i32_u32_e32 v89, v30
	v_min_u32_e32 v89, 32, v89
	s_delay_alu instid0(VALU_DEP_1) | instskip(NEXT) | instid1(VALU_DEP_1)
	v_subrev_nc_u32_e32 v90, 28, v89
	v_lshlrev_b64_e32 v[30:31], v90, v[30:31]
	s_delay_alu instid0(VALU_DEP_1)
	v_dual_sub_nc_u32 v89, 29, v89 :: v_dual_bitop2_b32 v30, 7, v30 bitop3:0x40
; %bb.936:                              ;   in Loop: Header=BB338_523 Depth=1
	s_or_b32 exec_lo, exec_lo, s17
	v_lshlrev_b32_e32 v18, 16, v18
	s_delay_alu instid0(VALU_DEP_2) | instskip(NEXT) | instid1(VALU_DEP_3)
	v_lshlrev_b32_e32 v30, 20, v30
	v_lshl_add_u32 v31, v89, 23, 0x3c000000
	s_delay_alu instid0(VALU_DEP_3) | instskip(NEXT) | instid1(VALU_DEP_1)
	v_and_b32_e32 v18, 0x80000000, v18
	v_or3_b32 v30, v30, v18, v31
.LBB338_937:                            ;   in Loop: Header=BB338_523 Depth=1
	s_or_b32 exec_lo, exec_lo, s16
.LBB338_938:                            ;   in Loop: Header=BB338_523 Depth=1
	s_delay_alu instid0(SALU_CYCLE_1)
	s_or_b32 exec_lo, exec_lo, s15
.LBB338_939:                            ;   in Loop: Header=BB338_523 Depth=1
	s_delay_alu instid0(SALU_CYCLE_1) | instskip(SKIP_3) | instid1(VALU_DEP_2)
	s_or_b32 exec_lo, exec_lo, s14
	v_dual_lshrrev_b32 v89, 16, v29 :: v_dual_mov_b32 v91, 0
	v_mov_b32_e32 v31, 0
	s_mov_b32 s14, exec_lo
	v_and_b32_e32 v18, 0xff, v89
	s_delay_alu instid0(VALU_DEP_1)
	v_cmpx_ne_u16_e32 0, v18
	s_cbranch_execz .LBB338_947
; %bb.940:                              ;   in Loop: Header=BB338_523 Depth=1
	v_bfrev_b32_e32 v31, 1
	s_mov_b32 s15, exec_lo
	v_cmpx_ne_u16_e32 0x80, v18
	s_cbranch_execz .LBB338_946
; %bb.941:                              ;   in Loop: Header=BB338_523 Depth=1
	v_bfe_u32 v90, v29, 16, 7
	v_mov_b32_e32 v31, 0x7f800001
	s_mov_b32 s16, exec_lo
	s_delay_alu instid0(VALU_DEP_2)
	v_cmpx_ne_u32_e32 0x7f, v90
	s_cbranch_execz .LBB338_945
; %bb.942:                              ;   in Loop: Header=BB338_523 Depth=1
	v_dual_lshrrev_b32 v31, 3, v90 :: v_dual_bitop2_b32 v18, 7, v89 bitop3:0x40
	s_mov_b32 s17, exec_lo
	v_cmpx_gt_u32_e32 8, v90
; %bb.943:                              ;   in Loop: Header=BB338_523 Depth=1
	s_delay_alu instid0(VALU_DEP_2) | instskip(NEXT) | instid1(VALU_DEP_1)
	v_clz_i32_u32_e32 v31, v18
	v_min_u32_e32 v31, 32, v31
	s_delay_alu instid0(VALU_DEP_1) | instskip(NEXT) | instid1(VALU_DEP_1)
	v_subrev_nc_u32_e32 v90, 28, v31
	v_lshlrev_b64_e32 v[92:93], v90, v[18:19]
	s_delay_alu instid0(VALU_DEP_1)
	v_dual_sub_nc_u32 v31, 29, v31 :: v_dual_bitop2_b32 v18, 7, v92 bitop3:0x40
; %bb.944:                              ;   in Loop: Header=BB338_523 Depth=1
	s_or_b32 exec_lo, exec_lo, s17
	s_delay_alu instid0(VALU_DEP_1) | instskip(NEXT) | instid1(VALU_DEP_2)
	v_dual_lshlrev_b32 v89, 24, v89 :: v_dual_lshlrev_b32 v18, 20, v18
	v_lshl_add_u32 v31, v31, 23, 0x3c000000
	s_delay_alu instid0(VALU_DEP_2) | instskip(NEXT) | instid1(VALU_DEP_1)
	v_and_b32_e32 v89, 0x80000000, v89
	v_or3_b32 v31, v18, v89, v31
.LBB338_945:                            ;   in Loop: Header=BB338_523 Depth=1
	s_or_b32 exec_lo, exec_lo, s16
.LBB338_946:                            ;   in Loop: Header=BB338_523 Depth=1
	s_delay_alu instid0(SALU_CYCLE_1)
	s_or_b32 exec_lo, exec_lo, s15
.LBB338_947:                            ;   in Loop: Header=BB338_523 Depth=1
	s_delay_alu instid0(SALU_CYCLE_1) | instskip(NEXT) | instid1(SALU_CYCLE_1)
	s_or_b32 exec_lo, exec_lo, s14
	s_mov_b32 s14, exec_lo
	v_cmpx_lt_u64_e64 s[2:3], v[28:29]
	s_cbranch_execz .LBB338_955
; %bb.948:                              ;   in Loop: Header=BB338_523 Depth=1
	v_lshrrev_b32_e32 v28, 24, v29
	v_bfrev_b32_e32 v91, 1
	s_mov_b32 s15, exec_lo
	s_delay_alu instid0(VALU_DEP_2)
	v_cmpx_ne_u32_e32 0x80, v28
	s_cbranch_execz .LBB338_954
; %bb.949:                              ;   in Loop: Header=BB338_523 Depth=1
	v_bfe_u32 v89, v29, 24, 7
	v_mov_b32_e32 v91, 0x7f800001
	s_mov_b32 s16, exec_lo
	s_delay_alu instid0(VALU_DEP_2)
	v_cmpx_ne_u32_e32 0x7f, v89
	s_cbranch_execz .LBB338_953
; %bb.950:                              ;   in Loop: Header=BB338_523 Depth=1
	v_dual_lshrrev_b32 v29, 3, v89 :: v_dual_bitop2_b32 v18, 7, v28 bitop3:0x40
	s_mov_b32 s17, exec_lo
	v_cmpx_gt_u32_e32 8, v89
; %bb.951:                              ;   in Loop: Header=BB338_523 Depth=1
	s_delay_alu instid0(VALU_DEP_2) | instskip(NEXT) | instid1(VALU_DEP_1)
	v_clz_i32_u32_e32 v29, v18
	v_min_u32_e32 v29, 32, v29
	s_delay_alu instid0(VALU_DEP_1) | instskip(NEXT) | instid1(VALU_DEP_1)
	v_subrev_nc_u32_e32 v89, 28, v29
	v_lshlrev_b64_e32 v[90:91], v89, v[18:19]
	s_delay_alu instid0(VALU_DEP_1)
	v_dual_sub_nc_u32 v29, 29, v29 :: v_dual_bitop2_b32 v18, 7, v90 bitop3:0x40
; %bb.952:                              ;   in Loop: Header=BB338_523 Depth=1
	s_or_b32 exec_lo, exec_lo, s17
	s_delay_alu instid0(VALU_DEP_1) | instskip(NEXT) | instid1(VALU_DEP_2)
	v_dual_lshlrev_b32 v28, 24, v28 :: v_dual_lshlrev_b32 v18, 20, v18
	v_lshl_add_u32 v29, v29, 23, 0x3c000000
	s_delay_alu instid0(VALU_DEP_2) | instskip(NEXT) | instid1(VALU_DEP_1)
	v_and_b32_e32 v28, 0x80000000, v28
	v_or3_b32 v91, v18, v28, v29
.LBB338_953:                            ;   in Loop: Header=BB338_523 Depth=1
	s_or_b32 exec_lo, exec_lo, s16
.LBB338_954:                            ;   in Loop: Header=BB338_523 Depth=1
	s_delay_alu instid0(SALU_CYCLE_1)
	s_or_b32 exec_lo, exec_lo, s15
.LBB338_955:                            ;   in Loop: Header=BB338_523 Depth=1
	s_delay_alu instid0(SALU_CYCLE_1)
	s_or_b32 exec_lo, exec_lo, s14
	v_fma_mixlo_bf16 v29, s25, v30, 0
	v_fma_mixlo_bf16 v30, s25, v88, 0
	;; [unrolled: 1-line block ×8, first 2 shown]
	s_and_saveexec_b32 s14, s0
	s_cbranch_execz .LBB338_957
; %bb.956:                              ;   in Loop: Header=BB338_523 Depth=1
	v_dual_add_nc_u32 v0, -6, v38 :: v_dual_add_nc_u32 v1, -5, v38
	v_cmp_gt_i32_e64 s1, s23, v49
	v_add_nc_u32_e32 v18, -2, v38
	s_delay_alu instid0(VALU_DEP_2) | instskip(NEXT) | instid1(VALU_DEP_4)
	v_cndmask_b32_e64 v90, 0, v90, s1
	v_cmp_gt_i32_e64 s1, s23, v0
	s_delay_alu instid0(VALU_DEP_1) | instskip(SKIP_2) | instid1(VALU_DEP_2)
	v_cndmask_b32_e64 v89, 0, v89, s1
	v_cmp_gt_i32_e64 s1, s23, v1
	v_dual_add_nc_u32 v0, -4, v38 :: v_dual_add_nc_u32 v1, -3, v38
	v_cndmask_b32_e64 v88, 0, v88, s1
	s_delay_alu instid0(VALU_DEP_2) | instskip(NEXT) | instid1(VALU_DEP_1)
	v_cmp_gt_i32_e64 s1, s23, v0
	v_dual_add_nc_u32 v0, -1, v38 :: v_dual_cndmask_b32 v35, 0, v35, s1
	s_delay_alu instid0(VALU_DEP_4) | instskip(NEXT) | instid1(VALU_DEP_1)
	v_cmp_gt_i32_e64 s1, s23, v1
	v_cndmask_b32_e64 v30, 0, v30, s1
	v_cmp_gt_i32_e64 s1, s23, v18
	s_delay_alu instid0(VALU_DEP_1) | instskip(SKIP_1) | instid1(VALU_DEP_1)
	v_cndmask_b32_e64 v29, 0, v29, s1
	v_cmp_gt_i32_e64 s1, s23, v0
	v_cndmask_b32_e64 v31, 0, v31, s1
	v_cmp_gt_i32_e64 s1, s23, v38
	s_delay_alu instid0(VALU_DEP_1)
	v_cndmask_b32_e64 v34, 0, v34, s1
.LBB338_957:                            ;   in Loop: Header=BB338_523 Depth=1
	s_or_b32 exec_lo, exec_lo, s14
	s_wait_dscnt 0x1
	v_cvt_pk_bf16_f32 v28, v6, v7
	v_cvt_pk_bf16_f32 v8, v8, v9
	s_wait_dscnt 0x0
	v_cvt_pk_bf16_f32 v7, v2, v3
	v_cvt_pk_bf16_f32 v6, v4, v5
	s_and_saveexec_b32 s14, vcc_lo
	s_cbranch_execz .LBB338_522
; %bb.958:                              ;   in Loop: Header=BB338_523 Depth=1
	v_add_nc_u64_e32 v[0:1], v[26:27], v[22:23]
	s_mov_b32 s15, exec_lo
	global_load_b64 v[2:3], v[0:1], off
	s_wait_xcnt 0x0
	v_dual_mov_b32 v1, 0 :: v_dual_mov_b32 v0, 0
	s_wait_loadcnt 0x0
	v_and_b32_e32 v4, 0xff, v2
	s_delay_alu instid0(VALU_DEP_1)
	v_cmpx_ne_u16_e32 0, v4
	s_cbranch_execz .LBB338_964
; %bb.959:                              ;   in Loop: Header=BB338_523 Depth=1
	v_bfrev_b32_e32 v0, 1
	s_mov_b32 s16, exec_lo
	v_cmpx_ne_u16_e32 0x80, v4
	s_cbranch_execz .LBB338_963
; %bb.960:                              ;   in Loop: Header=BB338_523 Depth=1
	v_and_b32_e32 v4, 0x7f, v2
	v_mov_b32_e32 v0, 0x7f800001
	s_mov_b32 s17, exec_lo
	s_delay_alu instid0(VALU_DEP_2)
	v_cmpx_ne_u32_e32 0x7f, v4
	s_cbranch_execz .LBB338_962
; %bb.961:                              ;   in Loop: Header=BB338_523 Depth=1
	v_dual_lshrrev_b32 v5, 3, v4 :: v_dual_bitop2_b32 v0, 7, v2 bitop3:0x40
	v_cmp_gt_u32_e64 s1, 8, v4
	s_delay_alu instid0(VALU_DEP_2) | instskip(NEXT) | instid1(VALU_DEP_1)
	v_clz_i32_u32_e32 v0, v0
	v_min_u32_e32 v0, 32, v0
	s_delay_alu instid0(VALU_DEP_1) | instskip(NEXT) | instid1(VALU_DEP_1)
	v_subrev_nc_u32_e32 v9, 28, v0
	v_dual_sub_nc_u32 v0, 29, v0 :: v_dual_cndmask_b32 v4, 0, v9, s1
	s_delay_alu instid0(VALU_DEP_1) | instskip(NEXT) | instid1(VALU_DEP_2)
	v_cndmask_b32_e64 v0, v5, v0, s1
	v_lshlrev_b64_e32 v[4:5], v4, v[2:3]
	v_lshlrev_b32_e32 v5, 24, v2
	s_delay_alu instid0(VALU_DEP_3) | instskip(NEXT) | instid1(VALU_DEP_2)
	v_lshl_add_u32 v0, v0, 23, 0x3c000000
	v_and_b32_e32 v5, 0x80000000, v5
	s_delay_alu instid0(VALU_DEP_4) | instskip(NEXT) | instid1(VALU_DEP_1)
	v_lshlrev_b32_e32 v4, 20, v4
	v_and_b32_e32 v4, 0x700000, v4
	s_delay_alu instid0(VALU_DEP_1)
	v_or3_b32 v0, v4, v5, v0
.LBB338_962:                            ;   in Loop: Header=BB338_523 Depth=1
	s_or_b32 exec_lo, exec_lo, s17
.LBB338_963:                            ;   in Loop: Header=BB338_523 Depth=1
	s_delay_alu instid0(SALU_CYCLE_1)
	s_or_b32 exec_lo, exec_lo, s16
.LBB338_964:                            ;   in Loop: Header=BB338_523 Depth=1
	s_delay_alu instid0(SALU_CYCLE_1) | instskip(SKIP_2) | instid1(VALU_DEP_1)
	s_or_b32 exec_lo, exec_lo, s15
	v_lshrrev_b16 v4, 8, v2
	s_mov_b32 s15, exec_lo
	v_cmpx_ne_u16_e32 0, v4
	s_cbranch_execz .LBB338_972
; %bb.965:                              ;   in Loop: Header=BB338_523 Depth=1
	v_bfrev_b32_e32 v1, 1
	s_mov_b32 s16, exec_lo
	v_cmpx_ne_u16_e32 0x80, v4
	s_cbranch_execz .LBB338_971
; %bb.966:                              ;   in Loop: Header=BB338_523 Depth=1
	v_and_b32_e32 v5, 0xffff, v4
	v_mov_b32_e32 v1, 0x7f800001
	s_mov_b32 s17, exec_lo
	s_delay_alu instid0(VALU_DEP_2) | instskip(NEXT) | instid1(VALU_DEP_1)
	v_and_b32_e32 v4, 0x7f, v5
	v_cmpx_ne_u32_e32 0x7f, v4
	s_cbranch_execz .LBB338_970
; %bb.967:                              ;   in Loop: Header=BB338_523 Depth=1
	v_dual_lshrrev_b32 v1, 3, v4 :: v_dual_bitop2_b32 v18, 7, v5 bitop3:0x40
	s_mov_b32 s18, exec_lo
	v_cmpx_gt_u32_e32 8, v4
; %bb.968:                              ;   in Loop: Header=BB338_523 Depth=1
	s_delay_alu instid0(VALU_DEP_2) | instskip(NEXT) | instid1(VALU_DEP_1)
	v_clz_i32_u32_e32 v1, v18
	v_min_u32_e32 v1, 32, v1
	s_delay_alu instid0(VALU_DEP_1) | instskip(NEXT) | instid1(VALU_DEP_1)
	v_subrev_nc_u32_e32 v4, 28, v1
	v_lshlrev_b64_e32 v[4:5], v4, v[18:19]
	s_delay_alu instid0(VALU_DEP_1)
	v_dual_sub_nc_u32 v1, 29, v1 :: v_dual_bitop2_b32 v18, 7, v4 bitop3:0x40
; %bb.969:                              ;   in Loop: Header=BB338_523 Depth=1
	s_or_b32 exec_lo, exec_lo, s18
	v_lshlrev_b32_e32 v4, 16, v2
	s_delay_alu instid0(VALU_DEP_2) | instskip(NEXT) | instid1(VALU_DEP_3)
	v_lshlrev_b32_e32 v5, 20, v18
	v_lshl_add_u32 v1, v1, 23, 0x3c000000
	s_delay_alu instid0(VALU_DEP_3) | instskip(NEXT) | instid1(VALU_DEP_1)
	v_and_b32_e32 v4, 0x80000000, v4
	v_or3_b32 v1, v5, v4, v1
.LBB338_970:                            ;   in Loop: Header=BB338_523 Depth=1
	s_or_b32 exec_lo, exec_lo, s17
.LBB338_971:                            ;   in Loop: Header=BB338_523 Depth=1
	s_delay_alu instid0(SALU_CYCLE_1)
	s_or_b32 exec_lo, exec_lo, s16
.LBB338_972:                            ;   in Loop: Header=BB338_523 Depth=1
	s_delay_alu instid0(SALU_CYCLE_1) | instskip(SKIP_3) | instid1(VALU_DEP_2)
	s_or_b32 exec_lo, exec_lo, s15
	v_dual_lshrrev_b32 v4, 16, v2 :: v_dual_mov_b32 v26, 0
	v_mov_b32_e32 v9, 0
	s_mov_b32 s15, exec_lo
	v_and_b32_e32 v5, 0xff, v4
	s_delay_alu instid0(VALU_DEP_1)
	v_cmpx_ne_u16_e32 0, v5
	s_cbranch_execz .LBB338_980
; %bb.973:                              ;   in Loop: Header=BB338_523 Depth=1
	v_bfrev_b32_e32 v9, 1
	s_mov_b32 s16, exec_lo
	v_cmpx_ne_u16_e32 0x80, v5
	s_cbranch_execz .LBB338_979
; %bb.974:                              ;   in Loop: Header=BB338_523 Depth=1
	v_bfe_u32 v27, v2, 16, 7
	v_mov_b32_e32 v9, 0x7f800001
	s_mov_b32 s17, exec_lo
	s_delay_alu instid0(VALU_DEP_2)
	v_cmpx_ne_u32_e32 0x7f, v27
	s_cbranch_execz .LBB338_978
; %bb.975:                              ;   in Loop: Header=BB338_523 Depth=1
	v_dual_lshrrev_b32 v5, 3, v27 :: v_dual_bitop2_b32 v18, 7, v4 bitop3:0x40
	s_mov_b32 s18, exec_lo
	v_cmpx_gt_u32_e32 8, v27
; %bb.976:                              ;   in Loop: Header=BB338_523 Depth=1
	s_delay_alu instid0(VALU_DEP_2) | instskip(NEXT) | instid1(VALU_DEP_1)
	v_clz_i32_u32_e32 v5, v18
	v_min_u32_e32 v5, 32, v5
	s_delay_alu instid0(VALU_DEP_1) | instskip(NEXT) | instid1(VALU_DEP_1)
	v_subrev_nc_u32_e32 v9, 28, v5
	v_lshlrev_b64_e32 v[92:93], v9, v[18:19]
	s_delay_alu instid0(VALU_DEP_1)
	v_dual_sub_nc_u32 v5, 29, v5 :: v_dual_bitop2_b32 v18, 7, v92 bitop3:0x40
; %bb.977:                              ;   in Loop: Header=BB338_523 Depth=1
	s_or_b32 exec_lo, exec_lo, s18
	s_delay_alu instid0(VALU_DEP_1) | instskip(NEXT) | instid1(VALU_DEP_2)
	v_dual_lshlrev_b32 v4, 24, v4 :: v_dual_lshlrev_b32 v9, 20, v18
	v_lshl_add_u32 v5, v5, 23, 0x3c000000
	s_delay_alu instid0(VALU_DEP_2) | instskip(NEXT) | instid1(VALU_DEP_1)
	v_and_b32_e32 v4, 0x80000000, v4
	v_or3_b32 v9, v9, v4, v5
.LBB338_978:                            ;   in Loop: Header=BB338_523 Depth=1
	s_or_b32 exec_lo, exec_lo, s17
.LBB338_979:                            ;   in Loop: Header=BB338_523 Depth=1
	s_delay_alu instid0(SALU_CYCLE_1)
	s_or_b32 exec_lo, exec_lo, s16
.LBB338_980:                            ;   in Loop: Header=BB338_523 Depth=1
	s_delay_alu instid0(SALU_CYCLE_1) | instskip(NEXT) | instid1(SALU_CYCLE_1)
	s_or_b32 exec_lo, exec_lo, s15
	s_mov_b32 s15, exec_lo
	v_cmpx_lt_u32_e32 0xffffff, v2
	s_cbranch_execz .LBB338_988
; %bb.981:                              ;   in Loop: Header=BB338_523 Depth=1
	v_lshrrev_b32_e32 v4, 24, v2
	v_bfrev_b32_e32 v26, 1
	s_mov_b32 s16, exec_lo
	s_delay_alu instid0(VALU_DEP_2)
	v_cmpx_ne_u32_e32 0x80, v4
	s_cbranch_execz .LBB338_987
; %bb.982:                              ;   in Loop: Header=BB338_523 Depth=1
	v_bfe_u32 v27, v2, 24, 7
	v_mov_b32_e32 v26, 0x7f800001
	s_mov_b32 s17, exec_lo
	s_delay_alu instid0(VALU_DEP_2)
	v_cmpx_ne_u32_e32 0x7f, v27
	s_cbranch_execz .LBB338_986
; %bb.983:                              ;   in Loop: Header=BB338_523 Depth=1
	v_dual_lshrrev_b32 v5, 3, v27 :: v_dual_bitop2_b32 v18, 7, v4 bitop3:0x40
	s_mov_b32 s18, exec_lo
	v_cmpx_gt_u32_e32 8, v27
; %bb.984:                              ;   in Loop: Header=BB338_523 Depth=1
	s_delay_alu instid0(VALU_DEP_2) | instskip(NEXT) | instid1(VALU_DEP_1)
	v_clz_i32_u32_e32 v5, v18
	v_min_u32_e32 v5, 32, v5
	s_delay_alu instid0(VALU_DEP_1) | instskip(NEXT) | instid1(VALU_DEP_1)
	v_subrev_nc_u32_e32 v26, 28, v5
	v_lshlrev_b64_e32 v[26:27], v26, v[18:19]
	s_delay_alu instid0(VALU_DEP_1)
	v_dual_sub_nc_u32 v5, 29, v5 :: v_dual_bitop2_b32 v18, 7, v26 bitop3:0x40
; %bb.985:                              ;   in Loop: Header=BB338_523 Depth=1
	s_or_b32 exec_lo, exec_lo, s18
	s_delay_alu instid0(VALU_DEP_1) | instskip(NEXT) | instid1(VALU_DEP_2)
	v_dual_lshlrev_b32 v4, 24, v4 :: v_dual_lshlrev_b32 v18, 20, v18
	v_lshl_add_u32 v5, v5, 23, 0x3c000000
	s_delay_alu instid0(VALU_DEP_2) | instskip(NEXT) | instid1(VALU_DEP_1)
	v_and_b32_e32 v4, 0x80000000, v4
	v_or3_b32 v26, v18, v4, v5
.LBB338_986:                            ;   in Loop: Header=BB338_523 Depth=1
	s_or_b32 exec_lo, exec_lo, s17
.LBB338_987:                            ;   in Loop: Header=BB338_523 Depth=1
	s_delay_alu instid0(SALU_CYCLE_1)
	s_or_b32 exec_lo, exec_lo, s16
.LBB338_988:                            ;   in Loop: Header=BB338_523 Depth=1
	s_delay_alu instid0(SALU_CYCLE_1) | instskip(SKIP_4) | instid1(VALU_DEP_3)
	s_or_b32 exec_lo, exec_lo, s15
	v_and_b32_e32 v5, 0xff, v3
	v_dual_mov_b32 v18, v3 :: v_dual_mov_b32 v4, 0
	v_mov_b32_e32 v27, 0
	s_mov_b32 s15, exec_lo
	v_cmpx_ne_u16_e32 0, v5
	s_cbranch_execz .LBB338_994
; %bb.989:                              ;   in Loop: Header=BB338_523 Depth=1
	v_bfrev_b32_e32 v27, 1
	s_mov_b32 s16, exec_lo
	v_cmpx_ne_u16_e32 0x80, v5
	s_cbranch_execz .LBB338_993
; %bb.990:                              ;   in Loop: Header=BB338_523 Depth=1
	v_and_b32_e32 v5, 0x7f, v3
	v_mov_b32_e32 v27, 0x7f800001
	s_mov_b32 s17, exec_lo
	s_delay_alu instid0(VALU_DEP_2)
	v_cmpx_ne_u32_e32 0x7f, v5
	s_cbranch_execz .LBB338_992
; %bb.991:                              ;   in Loop: Header=BB338_523 Depth=1
	v_dual_lshrrev_b32 v91, 3, v5 :: v_dual_bitop2_b32 v27, 7, v3 bitop3:0x40
	v_cmp_gt_u32_e64 s1, 8, v5
	s_delay_alu instid0(VALU_DEP_2) | instskip(NEXT) | instid1(VALU_DEP_1)
	v_clz_i32_u32_e32 v27, v27
	v_min_u32_e32 v27, 32, v27
	s_delay_alu instid0(VALU_DEP_1) | instskip(SKIP_1) | instid1(VALU_DEP_1)
	v_subrev_nc_u32_e32 v92, 28, v27
	v_sub_nc_u32_e32 v27, 29, v27
	v_dual_cndmask_b32 v5, v91, v27, s1 :: v_dual_cndmask_b32 v27, 0, v92, s1
	s_delay_alu instid0(VALU_DEP_1) | instskip(NEXT) | instid1(VALU_DEP_2)
	v_lshl_add_u32 v5, v5, 23, 0x3c000000
	v_lshlrev_b64_e32 v[92:93], v27, v[18:19]
	v_lshlrev_b32_e32 v27, 24, v18
	s_delay_alu instid0(VALU_DEP_1) | instskip(NEXT) | instid1(VALU_DEP_3)
	v_and_b32_e32 v27, 0x80000000, v27
	v_lshlrev_b32_e32 v91, 20, v92
	s_delay_alu instid0(VALU_DEP_1) | instskip(NEXT) | instid1(VALU_DEP_1)
	v_and_b32_e32 v91, 0x700000, v91
	v_or3_b32 v27, v91, v27, v5
.LBB338_992:                            ;   in Loop: Header=BB338_523 Depth=1
	s_or_b32 exec_lo, exec_lo, s17
.LBB338_993:                            ;   in Loop: Header=BB338_523 Depth=1
	s_delay_alu instid0(SALU_CYCLE_1)
	s_or_b32 exec_lo, exec_lo, s16
.LBB338_994:                            ;   in Loop: Header=BB338_523 Depth=1
	s_delay_alu instid0(SALU_CYCLE_1) | instskip(SKIP_2) | instid1(VALU_DEP_1)
	s_or_b32 exec_lo, exec_lo, s15
	v_lshrrev_b16 v5, 8, v18
	s_mov_b32 s15, exec_lo
	v_cmpx_ne_u16_e32 0, v5
	s_cbranch_execz .LBB338_1002
; %bb.995:                              ;   in Loop: Header=BB338_523 Depth=1
	v_bfrev_b32_e32 v4, 1
	s_mov_b32 s16, exec_lo
	v_cmpx_ne_u16_e32 0x80, v5
	s_cbranch_execz .LBB338_1001
; %bb.996:                              ;   in Loop: Header=BB338_523 Depth=1
	v_and_b32_e32 v5, 0xffff, v5
	v_mov_b32_e32 v4, 0x7f800001
	s_mov_b32 s17, exec_lo
	s_delay_alu instid0(VALU_DEP_2) | instskip(NEXT) | instid1(VALU_DEP_1)
	v_and_b32_e32 v92, 0x7f, v5
	v_cmpx_ne_u32_e32 0x7f, v92
	s_cbranch_execz .LBB338_1000
; %bb.997:                              ;   in Loop: Header=BB338_523 Depth=1
	v_dual_mov_b32 v5, v19 :: v_dual_bitop2_b32 v4, 7, v5 bitop3:0x40
	v_lshrrev_b32_e32 v91, 3, v92
	s_mov_b32 s18, exec_lo
	v_cmpx_gt_u32_e32 8, v92
; %bb.998:                              ;   in Loop: Header=BB338_523 Depth=1
	s_delay_alu instid0(VALU_DEP_3) | instskip(NEXT) | instid1(VALU_DEP_1)
	v_clz_i32_u32_e32 v91, v4
	v_min_u32_e32 v91, 32, v91
	s_delay_alu instid0(VALU_DEP_1) | instskip(NEXT) | instid1(VALU_DEP_1)
	v_subrev_nc_u32_e32 v92, 28, v91
	v_lshlrev_b64_e32 v[4:5], v92, v[4:5]
	s_delay_alu instid0(VALU_DEP_1)
	v_dual_sub_nc_u32 v91, 29, v91 :: v_dual_bitop2_b32 v4, 7, v4 bitop3:0x40
; %bb.999:                              ;   in Loop: Header=BB338_523 Depth=1
	s_or_b32 exec_lo, exec_lo, s18
	s_delay_alu instid0(VALU_DEP_1) | instskip(NEXT) | instid1(VALU_DEP_2)
	v_dual_lshlrev_b32 v5, 16, v18 :: v_dual_lshlrev_b32 v4, 20, v4
	v_lshl_add_u32 v18, v91, 23, 0x3c000000
	s_delay_alu instid0(VALU_DEP_2) | instskip(NEXT) | instid1(VALU_DEP_1)
	v_and_b32_e32 v5, 0x80000000, v5
	v_or3_b32 v4, v4, v5, v18
.LBB338_1000:                           ;   in Loop: Header=BB338_523 Depth=1
	s_or_b32 exec_lo, exec_lo, s17
.LBB338_1001:                           ;   in Loop: Header=BB338_523 Depth=1
	s_delay_alu instid0(SALU_CYCLE_1)
	s_or_b32 exec_lo, exec_lo, s16
.LBB338_1002:                           ;   in Loop: Header=BB338_523 Depth=1
	s_delay_alu instid0(SALU_CYCLE_1) | instskip(SKIP_3) | instid1(VALU_DEP_2)
	s_or_b32 exec_lo, exec_lo, s15
	v_dual_mov_b32 v5, 0 :: v_dual_lshrrev_b32 v92, 16, v3
	v_mov_b32_e32 v91, 0
	s_mov_b32 s15, exec_lo
	v_and_b32_e32 v18, 0xff, v92
	s_delay_alu instid0(VALU_DEP_1)
	v_cmpx_ne_u16_e32 0, v18
	s_cbranch_execz .LBB338_1010
; %bb.1003:                             ;   in Loop: Header=BB338_523 Depth=1
	v_bfrev_b32_e32 v91, 1
	s_mov_b32 s16, exec_lo
	v_cmpx_ne_u16_e32 0x80, v18
	s_cbranch_execz .LBB338_1009
; %bb.1004:                             ;   in Loop: Header=BB338_523 Depth=1
	v_bfe_u32 v93, v3, 16, 7
	v_mov_b32_e32 v91, 0x7f800001
	s_mov_b32 s17, exec_lo
	s_delay_alu instid0(VALU_DEP_2)
	v_cmpx_ne_u32_e32 0x7f, v93
	s_cbranch_execz .LBB338_1008
; %bb.1005:                             ;   in Loop: Header=BB338_523 Depth=1
	v_dual_lshrrev_b32 v91, 3, v93 :: v_dual_bitop2_b32 v18, 7, v92 bitop3:0x40
	s_mov_b32 s18, exec_lo
	v_cmpx_gt_u32_e32 8, v93
; %bb.1006:                             ;   in Loop: Header=BB338_523 Depth=1
	s_delay_alu instid0(VALU_DEP_2) | instskip(NEXT) | instid1(VALU_DEP_1)
	v_clz_i32_u32_e32 v91, v18
	v_min_u32_e32 v91, 32, v91
	s_delay_alu instid0(VALU_DEP_1) | instskip(NEXT) | instid1(VALU_DEP_1)
	v_subrev_nc_u32_e32 v93, 28, v91
	v_lshlrev_b64_e32 v[94:95], v93, v[18:19]
	s_delay_alu instid0(VALU_DEP_1)
	v_dual_sub_nc_u32 v91, 29, v91 :: v_dual_bitop2_b32 v18, 7, v94 bitop3:0x40
; %bb.1007:                             ;   in Loop: Header=BB338_523 Depth=1
	s_or_b32 exec_lo, exec_lo, s18
	s_delay_alu instid0(VALU_DEP_1) | instskip(NEXT) | instid1(VALU_DEP_2)
	v_dual_lshlrev_b32 v92, 24, v92 :: v_dual_lshlrev_b32 v18, 20, v18
	v_lshl_add_u32 v91, v91, 23, 0x3c000000
	s_delay_alu instid0(VALU_DEP_2) | instskip(NEXT) | instid1(VALU_DEP_1)
	v_and_b32_e32 v92, 0x80000000, v92
	v_or3_b32 v91, v18, v92, v91
.LBB338_1008:                           ;   in Loop: Header=BB338_523 Depth=1
	s_or_b32 exec_lo, exec_lo, s17
.LBB338_1009:                           ;   in Loop: Header=BB338_523 Depth=1
	s_delay_alu instid0(SALU_CYCLE_1)
	s_or_b32 exec_lo, exec_lo, s16
.LBB338_1010:                           ;   in Loop: Header=BB338_523 Depth=1
	s_delay_alu instid0(SALU_CYCLE_1) | instskip(NEXT) | instid1(SALU_CYCLE_1)
	s_or_b32 exec_lo, exec_lo, s15
	s_mov_b32 s15, exec_lo
	v_cmpx_lt_u64_e64 s[2:3], v[2:3]
	s_cbranch_execz .LBB338_1018
; %bb.1011:                             ;   in Loop: Header=BB338_523 Depth=1
	v_lshrrev_b32_e32 v2, 24, v3
	v_bfrev_b32_e32 v5, 1
	s_mov_b32 s16, exec_lo
	s_delay_alu instid0(VALU_DEP_2)
	v_cmpx_ne_u32_e32 0x80, v2
	s_cbranch_execz .LBB338_1017
; %bb.1012:                             ;   in Loop: Header=BB338_523 Depth=1
	v_bfe_u32 v92, v3, 24, 7
	v_mov_b32_e32 v5, 0x7f800001
	s_mov_b32 s17, exec_lo
	s_delay_alu instid0(VALU_DEP_2)
	v_cmpx_ne_u32_e32 0x7f, v92
	s_cbranch_execz .LBB338_1016
; %bb.1013:                             ;   in Loop: Header=BB338_523 Depth=1
	v_dual_lshrrev_b32 v3, 3, v92 :: v_dual_bitop2_b32 v18, 7, v2 bitop3:0x40
	s_mov_b32 s18, exec_lo
	v_cmpx_gt_u32_e32 8, v92
; %bb.1014:                             ;   in Loop: Header=BB338_523 Depth=1
	s_delay_alu instid0(VALU_DEP_2) | instskip(NEXT) | instid1(VALU_DEP_1)
	v_clz_i32_u32_e32 v3, v18
	v_min_u32_e32 v3, 32, v3
	s_delay_alu instid0(VALU_DEP_1) | instskip(NEXT) | instid1(VALU_DEP_1)
	v_subrev_nc_u32_e32 v5, 28, v3
	v_lshlrev_b64_e32 v[92:93], v5, v[18:19]
	s_delay_alu instid0(VALU_DEP_1)
	v_dual_sub_nc_u32 v3, 29, v3 :: v_dual_bitop2_b32 v18, 7, v92 bitop3:0x40
; %bb.1015:                             ;   in Loop: Header=BB338_523 Depth=1
	s_or_b32 exec_lo, exec_lo, s18
	v_lshlrev_b32_e32 v2, 24, v2
	s_delay_alu instid0(VALU_DEP_2) | instskip(NEXT) | instid1(VALU_DEP_3)
	v_lshlrev_b32_e32 v5, 20, v18
	v_lshl_add_u32 v3, v3, 23, 0x3c000000
	s_delay_alu instid0(VALU_DEP_3) | instskip(NEXT) | instid1(VALU_DEP_1)
	v_and_b32_e32 v2, 0x80000000, v2
	v_or3_b32 v5, v5, v2, v3
.LBB338_1016:                           ;   in Loop: Header=BB338_523 Depth=1
	s_or_b32 exec_lo, exec_lo, s17
.LBB338_1017:                           ;   in Loop: Header=BB338_523 Depth=1
	s_delay_alu instid0(SALU_CYCLE_1)
	s_or_b32 exec_lo, exec_lo, s16
.LBB338_1018:                           ;   in Loop: Header=BB338_523 Depth=1
	s_delay_alu instid0(SALU_CYCLE_1)
	s_or_b32 exec_lo, exec_lo, s15
	v_fma_mixlo_bf16 v2, s25, v4, 0
	v_fma_mixlo_bf16 v3, s25, v27, 0
	;; [unrolled: 1-line block ×8, first 2 shown]
	s_and_saveexec_b32 s1, s0
	s_cbranch_execz .LBB338_521
; %bb.1019:                             ;   in Loop: Header=BB338_523 Depth=1
	v_dual_add_nc_u32 v5, -6, v38 :: v_dual_add_nc_u32 v27, -5, v38
	v_cmp_gt_i32_e64 s0, s23, v49
	v_add_nc_u32_e32 v49, -2, v38
	s_delay_alu instid0(VALU_DEP_2) | instskip(NEXT) | instid1(VALU_DEP_4)
	v_cndmask_b32_e64 v26, 0, v26, s0
	v_cmp_gt_i32_e64 s0, s23, v5
	v_add_nc_u32_e32 v5, -4, v38
	s_delay_alu instid0(VALU_DEP_2) | instskip(SKIP_1) | instid1(VALU_DEP_1)
	v_cndmask_b32_e64 v18, 0, v18, s0
	v_cmp_gt_i32_e64 s0, s23, v27
	v_dual_add_nc_u32 v27, -3, v38 :: v_dual_cndmask_b32 v9, 0, v9, s0
	s_delay_alu instid0(VALU_DEP_4) | instskip(NEXT) | instid1(VALU_DEP_1)
	v_cmp_gt_i32_e64 s0, s23, v5
	v_dual_add_nc_u32 v5, -1, v38 :: v_dual_cndmask_b32 v4, 0, v4, s0
	s_delay_alu instid0(VALU_DEP_3) | instskip(NEXT) | instid1(VALU_DEP_1)
	v_cmp_gt_i32_e64 s0, s23, v27
	v_cndmask_b32_e64 v3, 0, v3, s0
	v_cmp_gt_i32_e64 s0, s23, v49
	s_delay_alu instid0(VALU_DEP_1) | instskip(SKIP_1) | instid1(VALU_DEP_1)
	v_cndmask_b32_e64 v2, 0, v2, s0
	v_cmp_gt_i32_e64 s0, s23, v5
	v_cndmask_b32_e64 v0, 0, v0, s0
	v_cmp_gt_i32_e64 s0, s23, v38
	s_delay_alu instid0(VALU_DEP_1)
	v_cndmask_b32_e64 v1, 0, v1, s0
	s_branch .LBB338_521
.LBB338_1020:
	s_or_b32 exec_lo, exec_lo, s10
	v_dual_mov_b32 v24, v97 :: v_dual_mov_b32 v25, v98
	v_mov_b32_e32 v79, v99
.LBB338_1021:
	s_or_b32 exec_lo, exec_lo, s24
	ds_bpermute_b32 v2, v37, v16
	ds_bpermute_b32 v3, v37, v17
	ds_bpermute_b32 v4, v37, v14
	ds_bpermute_b32 v5, v37, v15
	ds_bpermute_b32 v18, v37, v12
	ds_bpermute_b32 v19, v37, v13
	ds_bpermute_b32 v20, v37, v10
	ds_bpermute_b32 v21, v37, v11
	s_movk_i32 s0, 0x1e0
	v_and_b32_e32 v1, 0x3c0, v24
	v_mad_u32_u24 v0, v79, s0, 0x110
	s_mov_b32 s1, exec_lo
	v_cmp_eq_u32_e32 vcc_lo, 0, v25
	s_wait_dscnt 0x0
	s_barrier_signal -1
	s_barrier_wait -1
	v_pk_add_f32 v[8:9], v[16:17], v[2:3]
	v_pk_add_f32 v[6:7], v[14:15], v[4:5]
	;; [unrolled: 1-line block ×4, first 2 shown]
	v_cmpx_eq_u32_e32 64, v1
	s_cbranch_execz .LBB338_1026
; %bb.1022:
	v_add_nc_u32_e32 v1, 0xfffffc40, v0
	s_and_saveexec_b32 s0, vcc_lo
	s_cbranch_execz .LBB338_1024
; %bb.1023:
	s_delay_alu instid0(VALU_DEP_1)
	v_lshl_add_u32 v10, v36, 2, v1
	ds_store_2addr_b32 v10, v8, v9 offset1:16
	ds_store_2addr_b32 v10, v6, v7 offset0:32 offset1:48
	ds_store_2addr_b32 v10, v4, v5 offset0:64 offset1:80
	ds_store_b32 v10, v2 offset:384
.LBB338_1024:
	s_or_b32 exec_lo, exec_lo, s0
	v_or_b32_e32 v10, 0x70, v36
	s_delay_alu instid0(VALU_DEP_1) | instskip(SKIP_1) | instid1(SALU_CYCLE_1)
	v_cmp_gt_u32_e64 s0, 0x78, v10
	s_and_b32 s0, vcc_lo, s0
	s_and_b32 exec_lo, exec_lo, s0
; %bb.1025:
	v_lshl_add_u32 v1, v10, 2, v1
	ds_store_b32 v1, v3
.LBB338_1026:
	s_or_b32 exec_lo, exec_lo, s1
	s_delay_alu instid0(SALU_CYCLE_1)
	s_mov_b32 s1, exec_lo
	s_wait_dscnt 0x0
	s_barrier_signal -1
	s_barrier_wait -1
	v_cmpx_gt_u32_e32 64, v24
	s_cbranch_execz .LBB338_1038
; %bb.1027:
	s_and_saveexec_b32 s0, vcc_lo
	s_cbranch_execnz .LBB338_1073
; %bb.1028:
	s_or_b32 exec_lo, exec_lo, s0
	s_and_saveexec_b32 s0, vcc_lo
	s_cbranch_execnz .LBB338_1074
.LBB338_1029:
	s_or_b32 exec_lo, exec_lo, s0
	s_and_saveexec_b32 s0, vcc_lo
	s_cbranch_execnz .LBB338_1075
.LBB338_1030:
	s_or_b32 exec_lo, exec_lo, s0
	s_and_saveexec_b32 s0, vcc_lo
	s_cbranch_execnz .LBB338_1076
.LBB338_1031:
	s_or_b32 exec_lo, exec_lo, s0
	s_and_saveexec_b32 s0, vcc_lo
	s_cbranch_execnz .LBB338_1077
.LBB338_1032:
	s_or_b32 exec_lo, exec_lo, s0
	s_and_saveexec_b32 s0, vcc_lo
	s_cbranch_execnz .LBB338_1078
.LBB338_1033:
	s_or_b32 exec_lo, exec_lo, s0
	s_and_saveexec_b32 s0, vcc_lo
	s_cbranch_execz .LBB338_1035
.LBB338_1034:
	v_lshl_add_u32 v1, v36, 2, v0
	ds_load_b32 v1, v1 offset:384
	s_wait_dscnt 0x0
	v_add_f32_e32 v2, v2, v1
.LBB338_1035:
	s_or_b32 exec_lo, exec_lo, s0
	v_or_b32_e32 v1, 0x70, v36
	s_delay_alu instid0(VALU_DEP_1) | instskip(SKIP_1) | instid1(SALU_CYCLE_1)
	v_cmp_gt_u32_e64 s0, 0x78, v1
	s_and_b32 s2, vcc_lo, s0
	s_and_saveexec_b32 s0, s2
	s_cbranch_execz .LBB338_1037
; %bb.1036:
	v_lshl_add_u32 v1, v36, 2, v0
	ds_load_b32 v1, v1 offset:448
	s_wait_dscnt 0x0
	v_add_f32_e32 v3, v3, v1
.LBB338_1037:
	s_or_b32 exec_lo, exec_lo, s0
.LBB338_1038:
	s_delay_alu instid0(SALU_CYCLE_1) | instskip(SKIP_4) | instid1(VALU_DEP_1)
	s_or_b32 exec_lo, exec_lo, s1
	v_and_b32_e32 v1, 0x3e0, v24
	s_mov_b32 s1, exec_lo
	s_barrier_signal -1
	s_barrier_wait -1
	v_cmpx_eq_u32_e32 32, v1
	s_cbranch_execz .LBB338_1043
; %bb.1039:
	v_lshl_add_u32 v1, v36, 2, 0x110
	s_and_saveexec_b32 s0, vcc_lo
	s_cbranch_execz .LBB338_1041
; %bb.1040:
	ds_store_2addr_b32 v1, v8, v9 offset1:16
	ds_store_2addr_b32 v1, v6, v7 offset0:32 offset1:48
	ds_store_2addr_b32 v1, v4, v5 offset0:64 offset1:80
	ds_store_b32 v1, v2 offset:384
.LBB338_1041:
	s_or_b32 exec_lo, exec_lo, s0
	v_or_b32_e32 v10, 0x70, v36
	s_delay_alu instid0(VALU_DEP_1) | instskip(SKIP_1) | instid1(SALU_CYCLE_1)
	v_cmp_gt_u32_e64 s0, 0x78, v10
	s_and_b32 s0, vcc_lo, s0
	s_and_b32 exec_lo, exec_lo, s0
; %bb.1042:
	ds_store_b32 v1, v3 offset:448
.LBB338_1043:
	s_or_b32 exec_lo, exec_lo, s1
	v_cmp_gt_u32_e64 s0, 32, v24
	s_wait_dscnt 0x0
	s_barrier_signal -1
	s_barrier_wait -1
	s_and_saveexec_b32 s2, s0
	s_cbranch_execz .LBB338_1055
; %bb.1044:
	v_lshl_add_u32 v0, v36, 2, v0
	s_and_saveexec_b32 s1, vcc_lo
	s_cbranch_execnz .LBB338_1079
; %bb.1045:
	s_or_b32 exec_lo, exec_lo, s1
	s_and_saveexec_b32 s1, vcc_lo
	s_cbranch_execnz .LBB338_1080
.LBB338_1046:
	s_or_b32 exec_lo, exec_lo, s1
	s_and_saveexec_b32 s1, vcc_lo
	s_cbranch_execnz .LBB338_1081
.LBB338_1047:
	s_or_b32 exec_lo, exec_lo, s1
	s_and_saveexec_b32 s1, vcc_lo
	s_cbranch_execnz .LBB338_1082
.LBB338_1048:
	s_or_b32 exec_lo, exec_lo, s1
	s_and_saveexec_b32 s1, vcc_lo
	s_cbranch_execnz .LBB338_1083
.LBB338_1049:
	s_or_b32 exec_lo, exec_lo, s1
	s_and_saveexec_b32 s1, vcc_lo
	s_cbranch_execnz .LBB338_1084
.LBB338_1050:
	s_or_b32 exec_lo, exec_lo, s1
	s_and_saveexec_b32 s1, vcc_lo
	s_cbranch_execz .LBB338_1052
.LBB338_1051:
	ds_load_b32 v1, v0 offset:384
	s_wait_dscnt 0x0
	v_add_f32_e32 v2, v2, v1
.LBB338_1052:
	s_or_b32 exec_lo, exec_lo, s1
	v_or_b32_e32 v1, 0x70, v36
	s_delay_alu instid0(VALU_DEP_1) | instskip(SKIP_1) | instid1(SALU_CYCLE_1)
	v_cmp_gt_u32_e64 s1, 0x78, v1
	s_and_b32 s3, vcc_lo, s1
	s_and_saveexec_b32 s1, s3
	s_cbranch_execz .LBB338_1054
; %bb.1053:
	ds_load_b32 v0, v0 offset:448
	s_wait_dscnt 0x0
	v_add_f32_e32 v3, v3, v0
.LBB338_1054:
	s_or_b32 exec_lo, exec_lo, s1
.LBB338_1055:
	s_delay_alu instid0(SALU_CYCLE_1)
	s_or_b32 exec_lo, exec_lo, s2
	s_barrier_signal -1
	s_barrier_wait -1
	s_and_saveexec_b32 s1, s0
	s_cbranch_execz .LBB338_1072
; %bb.1056:
	s_mul_i32 s1, s22, s8
	s_bfe_u32 s7, ttmp6, 0x40014
	s_mul_i32 s1, s1, s21
	s_mul_i32 s0, s8, s12
	;; [unrolled: 1-line block ×3, first 2 shown]
	s_lshr_b32 s6, ttmp7, 16
	s_ashr_i32 s3, s2, 31
	s_add_co_i32 s7, s7, 1
	s_lshl_b64 s[2:3], s[2:3], 1
	s_ashr_i32 s1, s0, 31
	s_wait_kmcnt 0x0
	s_add_nc_u64 s[2:3], s[4:5], s[2:3]
	s_mul_i32 s4, s6, s7
	s_bfe_u32 s5, ttmp6, 0x40008
	s_lshl_b64 s[0:1], s[0:1], 1
	s_add_co_i32 s5, s5, s4
	s_cmp_eq_u32 s20, 0
	s_add_nc_u64 s[0:1], s[2:3], s[0:1]
	s_cselect_b32 s2, s6, s5
	s_mov_b32 s3, 0
	s_mulk_i32 s2, 0xf0
	s_delay_alu instid0(SALU_CYCLE_1)
	s_add_nc_u64 s[2:3], s[0:1], s[2:3]
	s_and_saveexec_b32 s0, vcc_lo
	s_cbranch_execz .LBB338_1058
; %bb.1057:
	v_cvt_pk_bf16_f32 v0, v8, s0
	global_store_b16 v96, v0, s[2:3] scale_offset
.LBB338_1058:
	s_wait_xcnt 0x0
	s_or_b32 exec_lo, exec_lo, s0
	v_or_b32_e32 v0, 16, v96
	s_delay_alu instid0(VALU_DEP_1) | instskip(SKIP_1) | instid1(SALU_CYCLE_1)
	v_cmp_gt_u32_e64 s0, 0x78, v0
	s_and_b32 s1, vcc_lo, s0
	s_and_saveexec_b32 s0, s1
	s_cbranch_execz .LBB338_1060
; %bb.1059:
	v_cvt_pk_bf16_f32 v0, v9, s0
	global_store_b16 v96, v0, s[2:3] offset:32 scale_offset
.LBB338_1060:
	s_wait_xcnt 0x0
	s_or_b32 exec_lo, exec_lo, s0
	v_or_b32_e32 v0, 32, v96
	s_delay_alu instid0(VALU_DEP_1) | instskip(SKIP_1) | instid1(SALU_CYCLE_1)
	v_cmp_gt_u32_e64 s0, 0x78, v0
	s_and_b32 s1, vcc_lo, s0
	s_and_saveexec_b32 s0, s1
	s_cbranch_execz .LBB338_1062
; %bb.1061:
	v_cvt_pk_bf16_f32 v0, v6, s0
	global_store_b16 v96, v0, s[2:3] offset:64 scale_offset
.LBB338_1062:
	;; [unrolled: 12-line block ×6, first 2 shown]
	s_wait_xcnt 0x0
	s_or_b32 exec_lo, exec_lo, s0
	v_or_b32_e32 v0, 0x70, v96
	s_delay_alu instid0(VALU_DEP_1) | instskip(SKIP_1) | instid1(SALU_CYCLE_1)
	v_cmp_gt_u32_e64 s0, 0x78, v0
	s_and_b32 s0, vcc_lo, s0
	s_and_b32 exec_lo, exec_lo, s0
	s_cbranch_execz .LBB338_1072
; %bb.1071:
	v_cvt_pk_bf16_f32 v0, v3, s0
	global_store_b16 v96, v0, s[2:3] offset:224 scale_offset
.LBB338_1072:
	s_sendmsg sendmsg(MSG_DEALLOC_VGPRS)
	s_endpgm
.LBB338_1073:
	v_lshl_add_u32 v1, v36, 2, v0
	ds_load_b32 v1, v1
	s_wait_dscnt 0x0
	v_add_f32_e32 v8, v8, v1
	s_or_b32 exec_lo, exec_lo, s0
	s_and_saveexec_b32 s0, vcc_lo
	s_cbranch_execz .LBB338_1029
.LBB338_1074:
	v_lshl_add_u32 v1, v36, 2, v0
	ds_load_b32 v1, v1 offset:64
	s_wait_dscnt 0x0
	v_add_f32_e32 v9, v9, v1
	s_or_b32 exec_lo, exec_lo, s0
	s_and_saveexec_b32 s0, vcc_lo
	s_cbranch_execz .LBB338_1030
.LBB338_1075:
	v_lshl_add_u32 v1, v36, 2, v0
	ds_load_b32 v1, v1 offset:128
	s_wait_dscnt 0x0
	v_add_f32_e32 v6, v6, v1
	s_or_b32 exec_lo, exec_lo, s0
	s_and_saveexec_b32 s0, vcc_lo
	s_cbranch_execz .LBB338_1031
.LBB338_1076:
	v_lshl_add_u32 v1, v36, 2, v0
	ds_load_b32 v1, v1 offset:192
	s_wait_dscnt 0x0
	v_add_f32_e32 v7, v7, v1
	s_or_b32 exec_lo, exec_lo, s0
	s_and_saveexec_b32 s0, vcc_lo
	s_cbranch_execz .LBB338_1032
.LBB338_1077:
	v_lshl_add_u32 v1, v36, 2, v0
	ds_load_b32 v1, v1 offset:256
	s_wait_dscnt 0x0
	v_add_f32_e32 v4, v4, v1
	s_or_b32 exec_lo, exec_lo, s0
	s_and_saveexec_b32 s0, vcc_lo
	s_cbranch_execz .LBB338_1033
.LBB338_1078:
	v_lshl_add_u32 v1, v36, 2, v0
	ds_load_b32 v1, v1 offset:320
	s_wait_dscnt 0x0
	v_add_f32_e32 v5, v5, v1
	s_or_b32 exec_lo, exec_lo, s0
	s_and_saveexec_b32 s0, vcc_lo
	s_cbranch_execnz .LBB338_1034
	s_branch .LBB338_1035
.LBB338_1079:
	ds_load_b32 v1, v0
	s_wait_dscnt 0x0
	v_add_f32_e32 v8, v8, v1
	s_or_b32 exec_lo, exec_lo, s1
	s_and_saveexec_b32 s1, vcc_lo
	s_cbranch_execz .LBB338_1046
.LBB338_1080:
	ds_load_b32 v1, v0 offset:64
	s_wait_dscnt 0x0
	v_add_f32_e32 v9, v9, v1
	s_or_b32 exec_lo, exec_lo, s1
	s_and_saveexec_b32 s1, vcc_lo
	s_cbranch_execz .LBB338_1047
.LBB338_1081:
	ds_load_b32 v1, v0 offset:128
	s_wait_dscnt 0x0
	v_add_f32_e32 v6, v6, v1
	s_or_b32 exec_lo, exec_lo, s1
	s_and_saveexec_b32 s1, vcc_lo
	s_cbranch_execz .LBB338_1048
.LBB338_1082:
	ds_load_b32 v1, v0 offset:192
	s_wait_dscnt 0x0
	v_add_f32_e32 v7, v7, v1
	s_or_b32 exec_lo, exec_lo, s1
	s_and_saveexec_b32 s1, vcc_lo
	s_cbranch_execz .LBB338_1049
.LBB338_1083:
	ds_load_b32 v1, v0 offset:256
	s_wait_dscnt 0x0
	v_add_f32_e32 v4, v4, v1
	s_or_b32 exec_lo, exec_lo, s1
	s_and_saveexec_b32 s1, vcc_lo
	s_cbranch_execz .LBB338_1050
.LBB338_1084:
	ds_load_b32 v1, v0 offset:320
	s_wait_dscnt 0x0
	v_add_f32_e32 v5, v5, v1
	s_or_b32 exec_lo, exec_lo, s1
	s_and_saveexec_b32 s1, vcc_lo
	s_cbranch_execnz .LBB338_1051
	s_branch .LBB338_1052
	.section	.rodata,"a",@progbits
	.p2align	6, 0x0
	.amdhsa_kernel _ZN4vllm25paged_attention_v1_kernelI14__hip_bfloat16hLi120ELi16ELi128ELNS_18Fp8KVCacheDataTypeE1ELb0EEEvPT_PKS3_PKT0_S9_ifPKiSB_iPKfiiiSD_SD_iiiii
		.amdhsa_group_segment_fixed_size 272
		.amdhsa_private_segment_fixed_size 52
		.amdhsa_kernarg_size 384
		.amdhsa_user_sgpr_count 2
		.amdhsa_user_sgpr_dispatch_ptr 0
		.amdhsa_user_sgpr_queue_ptr 0
		.amdhsa_user_sgpr_kernarg_segment_ptr 1
		.amdhsa_user_sgpr_dispatch_id 0
		.amdhsa_user_sgpr_kernarg_preload_length 0
		.amdhsa_user_sgpr_kernarg_preload_offset 0
		.amdhsa_user_sgpr_private_segment_size 0
		.amdhsa_wavefront_size32 1
		.amdhsa_uses_dynamic_stack 0
		.amdhsa_enable_private_segment 1
		.amdhsa_system_sgpr_workgroup_id_x 1
		.amdhsa_system_sgpr_workgroup_id_y 1
		.amdhsa_system_sgpr_workgroup_id_z 1
		.amdhsa_system_sgpr_workgroup_info 0
		.amdhsa_system_vgpr_workitem_id 0
		.amdhsa_next_free_vgpr 128
		.amdhsa_next_free_sgpr 31
		.amdhsa_named_barrier_count 0
		.amdhsa_reserve_vcc 1
		.amdhsa_float_round_mode_32 0
		.amdhsa_float_round_mode_16_64 0
		.amdhsa_float_denorm_mode_32 3
		.amdhsa_float_denorm_mode_16_64 3
		.amdhsa_fp16_overflow 0
		.amdhsa_memory_ordered 1
		.amdhsa_forward_progress 1
		.amdhsa_inst_pref_size 255
		.amdhsa_round_robin_scheduling 0
		.amdhsa_exception_fp_ieee_invalid_op 0
		.amdhsa_exception_fp_denorm_src 0
		.amdhsa_exception_fp_ieee_div_zero 0
		.amdhsa_exception_fp_ieee_overflow 0
		.amdhsa_exception_fp_ieee_underflow 0
		.amdhsa_exception_fp_ieee_inexact 0
		.amdhsa_exception_int_div_zero 0
	.end_amdhsa_kernel
	.section	.text._ZN4vllm25paged_attention_v1_kernelI14__hip_bfloat16hLi120ELi16ELi128ELNS_18Fp8KVCacheDataTypeE1ELb0EEEvPT_PKS3_PKT0_S9_ifPKiSB_iPKfiiiSD_SD_iiiii,"axG",@progbits,_ZN4vllm25paged_attention_v1_kernelI14__hip_bfloat16hLi120ELi16ELi128ELNS_18Fp8KVCacheDataTypeE1ELb0EEEvPT_PKS3_PKT0_S9_ifPKiSB_iPKfiiiSD_SD_iiiii,comdat
.Lfunc_end338:
	.size	_ZN4vllm25paged_attention_v1_kernelI14__hip_bfloat16hLi120ELi16ELi128ELNS_18Fp8KVCacheDataTypeE1ELb0EEEvPT_PKS3_PKT0_S9_ifPKiSB_iPKfiiiSD_SD_iiiii, .Lfunc_end338-_ZN4vllm25paged_attention_v1_kernelI14__hip_bfloat16hLi120ELi16ELi128ELNS_18Fp8KVCacheDataTypeE1ELb0EEEvPT_PKS3_PKT0_S9_ifPKiSB_iPKfiiiSD_SD_iiiii
                                        ; -- End function
	.set _ZN4vllm25paged_attention_v1_kernelI14__hip_bfloat16hLi120ELi16ELi128ELNS_18Fp8KVCacheDataTypeE1ELb0EEEvPT_PKS3_PKT0_S9_ifPKiSB_iPKfiiiSD_SD_iiiii.num_vgpr, 128
	.set _ZN4vllm25paged_attention_v1_kernelI14__hip_bfloat16hLi120ELi16ELi128ELNS_18Fp8KVCacheDataTypeE1ELb0EEEvPT_PKS3_PKT0_S9_ifPKiSB_iPKfiiiSD_SD_iiiii.num_agpr, 0
	.set _ZN4vllm25paged_attention_v1_kernelI14__hip_bfloat16hLi120ELi16ELi128ELNS_18Fp8KVCacheDataTypeE1ELb0EEEvPT_PKS3_PKT0_S9_ifPKiSB_iPKfiiiSD_SD_iiiii.numbered_sgpr, 31
	.set _ZN4vllm25paged_attention_v1_kernelI14__hip_bfloat16hLi120ELi16ELi128ELNS_18Fp8KVCacheDataTypeE1ELb0EEEvPT_PKS3_PKT0_S9_ifPKiSB_iPKfiiiSD_SD_iiiii.num_named_barrier, 0
	.set _ZN4vllm25paged_attention_v1_kernelI14__hip_bfloat16hLi120ELi16ELi128ELNS_18Fp8KVCacheDataTypeE1ELb0EEEvPT_PKS3_PKT0_S9_ifPKiSB_iPKfiiiSD_SD_iiiii.private_seg_size, 52
	.set _ZN4vllm25paged_attention_v1_kernelI14__hip_bfloat16hLi120ELi16ELi128ELNS_18Fp8KVCacheDataTypeE1ELb0EEEvPT_PKS3_PKT0_S9_ifPKiSB_iPKfiiiSD_SD_iiiii.uses_vcc, 1
	.set _ZN4vllm25paged_attention_v1_kernelI14__hip_bfloat16hLi120ELi16ELi128ELNS_18Fp8KVCacheDataTypeE1ELb0EEEvPT_PKS3_PKT0_S9_ifPKiSB_iPKfiiiSD_SD_iiiii.uses_flat_scratch, 1
	.set _ZN4vllm25paged_attention_v1_kernelI14__hip_bfloat16hLi120ELi16ELi128ELNS_18Fp8KVCacheDataTypeE1ELb0EEEvPT_PKS3_PKT0_S9_ifPKiSB_iPKfiiiSD_SD_iiiii.has_dyn_sized_stack, 0
	.set _ZN4vllm25paged_attention_v1_kernelI14__hip_bfloat16hLi120ELi16ELi128ELNS_18Fp8KVCacheDataTypeE1ELb0EEEvPT_PKS3_PKT0_S9_ifPKiSB_iPKfiiiSD_SD_iiiii.has_recursion, 0
	.set _ZN4vllm25paged_attention_v1_kernelI14__hip_bfloat16hLi120ELi16ELi128ELNS_18Fp8KVCacheDataTypeE1ELb0EEEvPT_PKS3_PKT0_S9_ifPKiSB_iPKfiiiSD_SD_iiiii.has_indirect_call, 0
	.section	.AMDGPU.csdata,"",@progbits
; Kernel info:
; codeLenInByte = 37848
; TotalNumSgprs: 33
; NumVgprs: 128
; ScratchSize: 52
; MemoryBound: 0
; FloatMode: 240
; IeeeMode: 1
; LDSByteSize: 272 bytes/workgroup (compile time only)
; SGPRBlocks: 0
; VGPRBlocks: 7
; NumSGPRsForWavesPerEU: 33
; NumVGPRsForWavesPerEU: 128
; NamedBarCnt: 0
; Occupancy: 8
; WaveLimiterHint : 1
; COMPUTE_PGM_RSRC2:SCRATCH_EN: 1
; COMPUTE_PGM_RSRC2:USER_SGPR: 2
; COMPUTE_PGM_RSRC2:TRAP_HANDLER: 0
; COMPUTE_PGM_RSRC2:TGID_X_EN: 1
; COMPUTE_PGM_RSRC2:TGID_Y_EN: 1
; COMPUTE_PGM_RSRC2:TGID_Z_EN: 1
; COMPUTE_PGM_RSRC2:TIDIG_COMP_CNT: 0
	.section	.text._ZN4vllm25paged_attention_v1_kernelI14__hip_bfloat16hLi128ELi16ELi128ELNS_18Fp8KVCacheDataTypeE1ELb0EEEvPT_PKS3_PKT0_S9_ifPKiSB_iPKfiiiSD_SD_iiiii,"axG",@progbits,_ZN4vllm25paged_attention_v1_kernelI14__hip_bfloat16hLi128ELi16ELi128ELNS_18Fp8KVCacheDataTypeE1ELb0EEEvPT_PKS3_PKT0_S9_ifPKiSB_iPKfiiiSD_SD_iiiii,comdat
	.protected	_ZN4vllm25paged_attention_v1_kernelI14__hip_bfloat16hLi128ELi16ELi128ELNS_18Fp8KVCacheDataTypeE1ELb0EEEvPT_PKS3_PKT0_S9_ifPKiSB_iPKfiiiSD_SD_iiiii ; -- Begin function _ZN4vllm25paged_attention_v1_kernelI14__hip_bfloat16hLi128ELi16ELi128ELNS_18Fp8KVCacheDataTypeE1ELb0EEEvPT_PKS3_PKT0_S9_ifPKiSB_iPKfiiiSD_SD_iiiii
	.globl	_ZN4vllm25paged_attention_v1_kernelI14__hip_bfloat16hLi128ELi16ELi128ELNS_18Fp8KVCacheDataTypeE1ELb0EEEvPT_PKS3_PKT0_S9_ifPKiSB_iPKfiiiSD_SD_iiiii
	.p2align	8
	.type	_ZN4vllm25paged_attention_v1_kernelI14__hip_bfloat16hLi128ELi16ELi128ELNS_18Fp8KVCacheDataTypeE1ELb0EEEvPT_PKS3_PKT0_S9_ifPKiSB_iPKfiiiSD_SD_iiiii,@function
_ZN4vllm25paged_attention_v1_kernelI14__hip_bfloat16hLi128ELi16ELi128ELNS_18Fp8KVCacheDataTypeE1ELb0EEEvPT_PKS3_PKT0_S9_ifPKiSB_iPKfiiiSD_SD_iiiii: ; @_ZN4vllm25paged_attention_v1_kernelI14__hip_bfloat16hLi128ELi16ELi128ELNS_18Fp8KVCacheDataTypeE1ELb0EEEvPT_PKS3_PKT0_S9_ifPKiSB_iPKfiiiSD_SD_iiiii
; %bb.0:
	s_load_b64 s[10:11], s[0:1], 0x20
	s_bfe_u32 s3, ttmp6, 0x4000c
	s_bfe_u32 s5, ttmp6, 0x40010
	s_and_b32 s4, ttmp7, 0xffff
	s_add_co_i32 s3, s3, 1
	s_add_co_i32 s5, s5, 1
	s_and_b32 s2, ttmp6, 15
	s_bfe_u32 s6, ttmp6, 0x40004
	s_mul_i32 s3, ttmp9, s3
	s_mul_i32 s5, s4, s5
	s_getreg_b32 s22, hwreg(HW_REG_IB_STS2, 6, 4)
	s_add_co_i32 s7, s2, s3
	s_add_co_i32 s6, s6, s5
	s_cmp_eq_u32 s22, 0
	v_mov_b32_e32 v22, v0
	s_cselect_b32 s24, s4, s6
	s_cselect_b32 s6, ttmp9, s7
	s_clause 0x1
	s_load_b32 s23, s[0:1], 0x80
	s_load_b64 s[2:3], s[0:1], 0x30
	s_wait_kmcnt 0x0
	s_abs_i32 s4, s10
	s_delay_alu instid0(SALU_CYCLE_1) | instskip(SKIP_1) | instid1(SALU_CYCLE_2)
	s_cvt_f32_u32 s5, s4
	s_sub_co_i32 s7, 0, s4
	v_rcp_iflag_f32_e32 v0, s5
	v_nop
	s_delay_alu instid0(TRANS32_DEP_1) | instskip(SKIP_2) | instid1(SALU_CYCLE_3)
	v_readfirstlane_b32 s5, v0
	s_abs_i32 s8, s23
	s_mul_f32 s5, s5, 0x4f7ffffe
	s_cvt_u32_f32 s5, s5
	s_delay_alu instid0(SALU_CYCLE_3) | instskip(NEXT) | instid1(SALU_CYCLE_1)
	s_mul_i32 s7, s7, s5
	s_mul_hi_u32 s7, s5, s7
	s_delay_alu instid0(SALU_CYCLE_1) | instskip(SKIP_4) | instid1(SALU_CYCLE_1)
	s_add_co_i32 s5, s5, s7
	s_xor_b32 s7, s23, s10
	s_mul_hi_u32 s5, s8, s5
	s_ashr_i32 s7, s7, 31
	s_mul_i32 s9, s5, s4
	s_sub_co_i32 s8, s8, s9
	s_add_co_i32 s9, s5, 1
	s_sub_co_i32 s10, s8, s4
	s_cmp_ge_u32 s8, s4
	s_cselect_b32 s5, s9, s5
	s_cselect_b32 s8, s10, s8
	s_add_co_i32 s9, s5, 1
	s_cmp_ge_u32 s8, s4
	s_cselect_b32 s4, s9, s5
	s_load_b64 s[8:9], s[0:1], 0x40
	s_xor_b32 s4, s4, s7
	s_mov_b32 s5, 0
	s_sub_co_i32 s14, s4, s7
	s_mov_b32 s13, s5
	s_abs_i32 s16, s14
	s_mov_b32 s20, s5
	s_cvt_f32_u32 s4, s16
	s_delay_alu instid0(SALU_CYCLE_3) | instskip(SKIP_1) | instid1(TRANS32_DEP_1)
	v_rcp_iflag_f32_e32 v0, s4
	v_nop
	v_readfirstlane_b32 s4, v0
	s_mul_f32 s4, s4, 0x4f7ffffe
	s_delay_alu instid0(SALU_CYCLE_3) | instskip(SKIP_1) | instid1(SALU_CYCLE_2)
	s_cvt_u32_f32 s7, s4
	s_sub_co_i32 s4, 0, s16
	s_mul_i32 s4, s4, s7
	s_delay_alu instid0(SALU_CYCLE_1)
	s_mul_hi_u32 s10, s7, s4
	s_abs_i32 s4, s6
	s_add_co_i32 s12, s7, s10
	s_wait_kmcnt 0x0
	s_cmp_eq_u64 s[8:9], 0
	s_cbranch_scc1 .LBB339_2
; %bb.1:
	s_ashr_i32 s7, s6, 31
	s_delay_alu instid0(SALU_CYCLE_1) | instskip(NEXT) | instid1(SALU_CYCLE_1)
	s_lshl_b64 s[18:19], s[6:7], 2
	s_add_nc_u64 s[8:9], s[8:9], s[18:19]
	s_load_b32 s20, s[8:9], 0x0
.LBB339_2:
	s_load_b32 s25, s[2:3], s24 offset:0x0 scale_offset
	s_wait_xcnt 0x0
	s_load_b96 s[8:10], s[0:1], 0x48
	v_dual_lshrrev_b32 v4, 1, v22 :: v_dual_bitop2_b32 v23, 1, v22 bitop3:0x40
	v_cmp_gt_u32_e64 s2, 32, v22
	s_ashr_i32 s3, s6, 31
	s_ashr_i32 s7, s14, 31
	s_mul_u64 s[14:15], s[4:5], s[12:13]
	s_lshl_b32 s12, s6, 7
	s_and_saveexec_b32 s5, s2
	s_cbranch_execz .LBB339_4
; %bb.3:
	s_load_b64 s[18:19], s[0:1], 0x8
	s_wait_kmcnt 0x0
	s_mul_i32 s26, s8, s24
	s_ashr_i32 s13, s12, 31
	s_ashr_i32 s27, s26, 31
	v_lshlrev_b32_e32 v2, 3, v4
	s_lshl_b64 s[26:27], s[26:27], 1
	s_delay_alu instid0(VALU_DEP_1) | instskip(SKIP_2) | instid1(SALU_CYCLE_1)
	v_lshl_add_u32 v2, v23, 7, v2
	s_add_nc_u64 s[18:19], s[18:19], s[26:27]
	s_lshl_b64 s[26:27], s[12:13], 1
	s_add_nc_u64 s[18:19], s[18:19], s[26:27]
	global_load_b64 v[0:1], v22, s[18:19] scale_offset
	s_wait_loadcnt 0x0
	ds_store_b64 v2, v[0:1]
.LBB339_4:
	s_or_b32 exec_lo, exec_lo, s5
	s_wait_kmcnt 0x0
	s_add_co_i32 s5, s25, 15
	s_load_b32 s6, s[0:1], 0x38
	s_ashr_i32 s8, s5, 31
	s_xor_b32 s3, s3, s7
	s_lshr_b32 s7, s8, 28
	s_mul_i32 s8, s15, s16
	s_add_co_i32 s5, s5, s7
	s_sub_co_i32 s4, s4, s8
	s_ashr_i32 s13, s5, 4
	s_add_co_i32 s5, s15, 1
	s_sub_co_i32 s7, s4, s16
	s_cmp_ge_u32 s4, s16
	v_lshrrev_b32_e32 v83, 5, v22
	s_cselect_b32 s5, s5, s15
	s_cselect_b32 s4, s7, s4
	s_add_co_i32 s7, s5, 1
	s_cmp_ge_u32 s4, s16
	v_mbcnt_lo_u32_b32 v21, -1, 0
	s_cselect_b32 s4, s7, s5
	s_wait_dscnt 0x0
	s_xor_b32 s4, s4, s3
	s_wait_kmcnt 0x0
	s_mul_i32 s14, s6, s24
	s_sub_co_i32 s18, s4, s3
	v_cmp_gt_i32_e64 s3, s13, v83
	s_ashr_i32 s15, s14, 31
	s_mov_b32 s4, exec_lo
	s_barrier_signal -1
	s_barrier_wait -1
                                        ; implicit-def: $vgpr3
                                        ; implicit-def: $vgpr10
	v_cmpx_le_i32_e64 s13, v83
	s_xor_b32 s4, exec_lo, s4
; %bb.5:
	v_dual_mov_b32 v3, 0 :: v_dual_mov_b32 v10, 32
	v_mbcnt_lo_u32_b32 v21, -1, 0
; %bb.6:
	s_or_saveexec_b32 s21, s4
	scratch_store_b32 off, v4, off offset:64 ; 4-byte Folded Spill
	s_clause 0x2
	s_load_b32 s8, s[0:1], 0x88
	s_load_b64 s[16:17], s[0:1], 0x28
	s_load_b128 s[4:7], s[0:1], 0x58
	v_dual_mov_b32 v79, 0xff7fffff :: v_dual_lshrrev_b32 v24, 3, v22
	s_mul_i32 s18, s18, s10
	s_xor_b32 exec_lo, exec_lo, s21
	s_cbranch_execz .LBB339_524
; %bb.7:
	v_lshlrev_b32_e32 v20, 7, v23
	s_load_b64 s[26:27], s[0:1], 0x10
	s_ashr_i32 s19, s18, 31
	s_cmp_neq_f32 s20, 0
	v_mov_b32_e32 v79, 0xff7fffff
	ds_load_b128 v[0:3], v20
	ds_load_b128 v[4:7], v20 offset:16
	ds_load_b128 v[8:11], v20 offset:32
	;; [unrolled: 1-line block ×4, first 2 shown]
	s_wait_kmcnt 0x0
	s_load_b32 s10, s[4:5], 0x0
	s_wait_xcnt 0x0
	s_cselect_b32 s4, -1, 0
	s_clause 0x4
	scratch_store_b32 off, v22, off offset:68
	scratch_store_b32 off, v23, off offset:72
	;; [unrolled: 1-line block ×5, first 2 shown]
	s_wait_dscnt 0x4
	v_lshlrev_b32_e32 v25, 16, v0
	v_and_b32_e32 v0, 0xffff0000, v0
	s_wait_dscnt 0x2
	v_dual_lshlrev_b32 v28, 16, v8 :: v_dual_lshlrev_b32 v32, 16, v9
	v_lshlrev_b32_e32 v34, 16, v10
	s_clause 0x1
	scratch_store_b32 off, v25, off
	scratch_store_b32 off, v0, off offset:4
	s_wait_xcnt 0x0
	v_lshlrev_b32_e32 v0, 16, v1
	v_and_b32_e32 v29, 0xffff0000, v8
	v_and_b32_e32 v33, 0xffff0000, v9
	;; [unrolled: 1-line block ×4, first 2 shown]
	scratch_store_b32 off, v0, off offset:8 ; 4-byte Folded Spill
	s_wait_xcnt 0x0
	v_and_b32_e32 v0, 0xffff0000, v1
	s_add_nc_u64 s[26:27], s[26:27], s[18:19]
	s_wait_dscnt 0x1
	v_and_b32_e32 v40, 0xffff0000, v12
	v_and_b32_e32 v42, 0xffff0000, v13
	;; [unrolled: 1-line block ×3, first 2 shown]
	scratch_store_b32 off, v0, off offset:12 ; 4-byte Folded Spill
	s_wait_xcnt 0x0
	v_dual_lshlrev_b32 v0, 16, v2 :: v_dual_lshlrev_b32 v45, 16, v15
	s_wait_dscnt 0x0
	v_lshlrev_b32_e32 v47, 16, v16
	v_and_b32_e32 v46, 0xffff0000, v15
	v_and_b32_e32 v48, 0xffff0000, v16
	scratch_store_b32 off, v0, off offset:16 ; 4-byte Folded Spill
	s_wait_xcnt 0x0
	v_and_b32_e32 v0, 0xffff0000, v2
	v_dual_lshlrev_b32 v49, 16, v17 :: v_dual_lshlrev_b32 v51, 16, v18
	v_and_b32_e32 v50, 0xffff0000, v17
	v_and_b32_e32 v52, 0xffff0000, v18
	scratch_store_b32 off, v0, off offset:20 ; 4-byte Folded Spill
	s_wait_xcnt 0x0
	v_lshlrev_b32_e32 v0, 16, v3
	v_and_b32_e32 v54, 0xffff0000, v19
	s_mov_b32 s19, 0
	v_lshlrev_b32_e32 v36, 16, v11
	ds_load_b128 v[8:11], v20 offset:112
	scratch_store_b32 off, v0, off offset:24 ; 4-byte Folded Spill
	s_wait_xcnt 0x0
	v_and_b32_e32 v0, 0xffff0000, v3
	v_dual_lshlrev_b32 v39, 16, v12 :: v_dual_lshlrev_b32 v41, 16, v13
	v_lshlrev_b32_e32 v43, 16, v14
	scratch_store_b32 off, v0, off offset:28 ; 4-byte Folded Spill
	s_wait_xcnt 0x0
	v_lshlrev_b32_e32 v0, 16, v4
	scratch_store_b32 off, v0, off offset:32 ; 4-byte Folded Spill
	s_wait_xcnt 0x0
	v_and_b32_e32 v0, 0xffff0000, v4
	scratch_store_b32 off, v0, off offset:36 ; 4-byte Folded Spill
	s_wait_xcnt 0x0
	v_lshlrev_b32_e32 v0, 16, v5
	s_wait_dscnt 0x0
	v_and_b32_e32 v72, 0xffff0000, v8
	v_dual_lshlrev_b32 v73, 16, v9 :: v_dual_lshlrev_b32 v75, 16, v10
	v_and_b32_e32 v74, 0xffff0000, v9
	scratch_store_b32 off, v0, off offset:40 ; 4-byte Folded Spill
	s_wait_xcnt 0x0
	v_and_b32_e32 v0, 0xffff0000, v5
	v_and_b32_e32 v76, 0xffff0000, v10
	;; [unrolled: 1-line block ×3, first 2 shown]
	v_lshlrev_b32_e32 v71, 16, v8
	scratch_store_b32 off, v0, off offset:44 ; 4-byte Folded Spill
	s_wait_xcnt 0x0
	v_lshlrev_b32_e32 v0, 16, v6
	scratch_store_b32 off, v0, off offset:48 ; 4-byte Folded Spill
	s_wait_xcnt 0x0
	v_and_b32_e32 v0, 0xffff0000, v6
	scratch_store_b32 off, v0, off offset:52 ; 4-byte Folded Spill
	s_wait_xcnt 0x0
	v_lshlrev_b32_e32 v0, 16, v7
	scratch_store_b32 off, v0, off offset:56 ; 4-byte Folded Spill
	s_wait_xcnt 0x0
	v_and_b32_e32 v0, 0xffff0000, v7
	ds_load_b128 v[4:7], v20 offset:96
	v_lshlrev_b32_e32 v77, 16, v11
	scratch_store_b32 off, v0, off offset:60 ; 4-byte Folded Spill
	s_wait_xcnt 0x0
	ds_load_b128 v[0:3], v20 offset:80
	s_wait_dscnt 0x1
	v_dual_lshlrev_b32 v53, 16, v19 :: v_dual_lshlrev_b32 v65, 16, v5
	v_lshlrev_b32_e32 v67, 16, v6
	v_and_b32_e32 v68, 0xffff0000, v6
	v_bfe_u32 v6, v22, 1, 4
	s_wait_dscnt 0x0
	v_dual_lshlrev_b32 v63, 16, v4 :: v_dual_lshlrev_b32 v61, 16, v3
	v_lshlrev_b32_e32 v55, 16, v0
	v_and_b32_e32 v56, 0xffff0000, v0
	v_xor_b32_e32 v0, 1, v21
	v_dual_lshlrev_b32 v57, 16, v1 :: v_dual_lshlrev_b32 v59, 16, v2
	v_and_b32_e32 v60, 0xffff0000, v2
	v_and_b32_e32 v62, 0xffff0000, v3
	v_dual_mov_b32 v3, 0 :: v_dual_lshlrev_b32 v2, 4, v6
	v_cmp_gt_i32_e32 vcc_lo, 32, v0
	v_and_b32_e32 v58, 0xffff0000, v1
	v_and_b32_e32 v64, 0xffff0000, v4
	;; [unrolled: 1-line block ×3, first 2 shown]
	v_dual_cndmask_b32 v4, v21, v0 :: v_dual_lshlrev_b32 v69, 16, v7
	v_add_nc_u64_e32 v[0:1], s[26:27], v[2:3]
	v_dual_lshlrev_b32 v2, 2, v23 :: v_dual_lshlrev_b32 v5, 2, v6
	v_and_b32_e32 v70, 0xffff0000, v7
	s_delay_alu instid0(VALU_DEP_4)
	v_lshlrev_b32_e32 v80, 2, v4
	s_lshl_b64 s[26:27], s[14:15], 2
	v_lshl_or_b32 v81, v83, 4, v6
	v_lshl_or_b32 v7, v83, 6, v5
	v_add_nc_u64_e32 v[4:5], v[0:1], v[2:3]
	v_and_b32_e32 v2, 0x7c, v24
	s_add_nc_u64 s[26:27], s[16:17], s[26:27]
	v_cmp_eq_u32_e32 vcc_lo, 0, v23
	v_add_nc_u32_e32 v82, 0x120, v7
	s_delay_alu instid0(VALU_DEP_3)
	v_add_nc_u64_e32 v[6:7], s[26:27], v[2:3]
	s_mov_b32 s26, s9
	s_sub_co_i32 s27, 1, s25
	s_branch .LBB339_9
.LBB339_8:                              ;   in Loop: Header=BB339_9 Depth=1
	s_or_b32 exec_lo, exec_lo, s28
	v_dual_add_nc_u32 v83, 4, v83 :: v_dual_add_nc_u32 v81, 64, v81
	v_add_nc_u64_e32 v[6:7], 16, v[6:7]
	v_add_nc_u32_e32 v82, 0x100, v82
	s_delay_alu instid0(VALU_DEP_3) | instskip(SKIP_1) | instid1(SALU_CYCLE_1)
	v_cmp_le_i32_e64 s5, s13, v83
	s_or_b32 s19, s5, s19
	s_and_not1_b32 exec_lo, exec_lo, s19
	s_cbranch_execz .LBB339_523
.LBB339_9:                              ; =>This Inner Loop Header: Depth=1
	global_load_b32 v0, v[6:7], off
	v_dual_mov_b32 v84, 0 :: v_dual_mov_b32 v85, 0
	s_mov_b32 s28, exec_lo
	s_wait_loadcnt 0x0
	v_mad_nc_i64_i32 v[8:9], v0, s26, v[4:5]
	global_load_b32 v0, v[8:9], off
	s_wait_loadcnt_dscnt 0x0
	v_and_b32_e32 v1, 0xff, v0
	s_wait_xcnt 0x0
	s_delay_alu instid0(VALU_DEP_1)
	v_cmpx_ne_u16_e32 0, v1
	s_cbranch_execz .LBB339_17
; %bb.10:                               ;   in Loop: Header=BB339_9 Depth=1
	v_bfrev_b32_e32 v85, 1
	s_mov_b32 s29, exec_lo
	v_cmpx_ne_u16_e32 0x80, v1
	s_cbranch_execz .LBB339_16
; %bb.11:                               ;   in Loop: Header=BB339_9 Depth=1
	v_and_b32_e32 v10, 0x7f, v0
	v_mov_b32_e32 v85, 0x7f800001
	s_mov_b32 s30, exec_lo
	s_delay_alu instid0(VALU_DEP_2)
	v_cmpx_ne_u32_e32 0x7f, v10
	s_cbranch_execz .LBB339_15
; %bb.12:                               ;   in Loop: Header=BB339_9 Depth=1
	v_dual_lshrrev_b32 v1, 3, v10 :: v_dual_bitop2_b32 v2, 7, v0 bitop3:0x40
	s_mov_b32 s31, exec_lo
	v_cmpx_gt_u32_e32 8, v10
; %bb.13:                               ;   in Loop: Header=BB339_9 Depth=1
	s_delay_alu instid0(VALU_DEP_2) | instskip(NEXT) | instid1(VALU_DEP_1)
	v_clz_i32_u32_e32 v1, v2
	v_min_u32_e32 v1, 32, v1
	s_delay_alu instid0(VALU_DEP_1) | instskip(NEXT) | instid1(VALU_DEP_1)
	v_subrev_nc_u32_e32 v10, 28, v1
	v_lshlrev_b64_e32 v[10:11], v10, v[2:3]
	s_delay_alu instid0(VALU_DEP_1)
	v_dual_sub_nc_u32 v1, 29, v1 :: v_dual_bitop2_b32 v2, 7, v10 bitop3:0x40
; %bb.14:                               ;   in Loop: Header=BB339_9 Depth=1
	s_or_b32 exec_lo, exec_lo, s31
	s_delay_alu instid0(VALU_DEP_1) | instskip(NEXT) | instid1(VALU_DEP_2)
	v_dual_lshlrev_b32 v10, 24, v0 :: v_dual_lshlrev_b32 v2, 20, v2
	v_lshl_add_u32 v1, v1, 23, 0x3c000000
	s_delay_alu instid0(VALU_DEP_2) | instskip(NEXT) | instid1(VALU_DEP_1)
	v_and_b32_e32 v10, 0x80000000, v10
	v_or3_b32 v85, v2, v10, v1
.LBB339_15:                             ;   in Loop: Header=BB339_9 Depth=1
	s_or_b32 exec_lo, exec_lo, s30
.LBB339_16:                             ;   in Loop: Header=BB339_9 Depth=1
	s_delay_alu instid0(SALU_CYCLE_1)
	s_or_b32 exec_lo, exec_lo, s29
.LBB339_17:                             ;   in Loop: Header=BB339_9 Depth=1
	s_delay_alu instid0(SALU_CYCLE_1) | instskip(SKIP_2) | instid1(VALU_DEP_1)
	s_or_b32 exec_lo, exec_lo, s28
	v_lshrrev_b16 v1, 8, v0
	s_mov_b32 s28, exec_lo
	v_cmpx_ne_u16_e32 0, v1
	s_cbranch_execz .LBB339_25
; %bb.18:                               ;   in Loop: Header=BB339_9 Depth=1
	v_bfrev_b32_e32 v84, 1
	s_mov_b32 s29, exec_lo
	v_cmpx_ne_u16_e32 0x80, v1
	s_cbranch_execz .LBB339_24
; %bb.19:                               ;   in Loop: Header=BB339_9 Depth=1
	v_and_b32_e32 v1, 0xffff, v1
	v_mov_b32_e32 v84, 0x7f800001
	s_mov_b32 s30, exec_lo
	s_delay_alu instid0(VALU_DEP_2) | instskip(NEXT) | instid1(VALU_DEP_1)
	v_and_b32_e32 v10, 0x7f, v1
	v_cmpx_ne_u32_e32 0x7f, v10
	s_cbranch_execz .LBB339_23
; %bb.20:                               ;   in Loop: Header=BB339_9 Depth=1
	v_dual_lshrrev_b32 v1, 3, v10 :: v_dual_bitop2_b32 v2, 7, v1 bitop3:0x40
	s_mov_b32 s31, exec_lo
	v_cmpx_gt_u32_e32 8, v10
; %bb.21:                               ;   in Loop: Header=BB339_9 Depth=1
	s_delay_alu instid0(VALU_DEP_2) | instskip(NEXT) | instid1(VALU_DEP_1)
	v_clz_i32_u32_e32 v1, v2
	v_min_u32_e32 v1, 32, v1
	s_delay_alu instid0(VALU_DEP_1) | instskip(NEXT) | instid1(VALU_DEP_1)
	v_subrev_nc_u32_e32 v10, 28, v1
	v_lshlrev_b64_e32 v[10:11], v10, v[2:3]
	s_delay_alu instid0(VALU_DEP_1)
	v_dual_sub_nc_u32 v1, 29, v1 :: v_dual_bitop2_b32 v2, 7, v10 bitop3:0x40
; %bb.22:                               ;   in Loop: Header=BB339_9 Depth=1
	s_or_b32 exec_lo, exec_lo, s31
	s_delay_alu instid0(VALU_DEP_1) | instskip(NEXT) | instid1(VALU_DEP_2)
	v_dual_lshlrev_b32 v10, 16, v0 :: v_dual_lshlrev_b32 v2, 20, v2
	v_lshl_add_u32 v1, v1, 23, 0x3c000000
	s_delay_alu instid0(VALU_DEP_2) | instskip(NEXT) | instid1(VALU_DEP_1)
	v_and_b32_e32 v10, 0x80000000, v10
	v_or3_b32 v84, v2, v10, v1
.LBB339_23:                             ;   in Loop: Header=BB339_9 Depth=1
	s_or_b32 exec_lo, exec_lo, s30
.LBB339_24:                             ;   in Loop: Header=BB339_9 Depth=1
	s_delay_alu instid0(SALU_CYCLE_1)
	s_or_b32 exec_lo, exec_lo, s29
.LBB339_25:                             ;   in Loop: Header=BB339_9 Depth=1
	s_delay_alu instid0(SALU_CYCLE_1) | instskip(SKIP_3) | instid1(VALU_DEP_2)
	s_or_b32 exec_lo, exec_lo, s28
	v_dual_mov_b32 v86, 0 :: v_dual_lshrrev_b32 v1, 16, v0
	v_mov_b32_e32 v87, 0
	s_mov_b32 s28, exec_lo
	v_and_b32_e32 v2, 0xff, v1
	s_delay_alu instid0(VALU_DEP_1)
	v_cmpx_ne_u16_e32 0, v2
	s_cbranch_execz .LBB339_33
; %bb.26:                               ;   in Loop: Header=BB339_9 Depth=1
	v_bfrev_b32_e32 v87, 1
	s_mov_b32 s29, exec_lo
	v_cmpx_ne_u16_e32 0x80, v2
	s_cbranch_execz .LBB339_32
; %bb.27:                               ;   in Loop: Header=BB339_9 Depth=1
	v_bfe_u32 v11, v0, 16, 7
	v_mov_b32_e32 v87, 0x7f800001
	s_mov_b32 s30, exec_lo
	s_delay_alu instid0(VALU_DEP_2)
	v_cmpx_ne_u32_e32 0x7f, v11
	s_cbranch_execz .LBB339_31
; %bb.28:                               ;   in Loop: Header=BB339_9 Depth=1
	v_dual_lshrrev_b32 v10, 3, v11 :: v_dual_bitop2_b32 v2, 7, v1 bitop3:0x40
	s_mov_b32 s31, exec_lo
	v_cmpx_gt_u32_e32 8, v11
; %bb.29:                               ;   in Loop: Header=BB339_9 Depth=1
	s_delay_alu instid0(VALU_DEP_2) | instskip(NEXT) | instid1(VALU_DEP_1)
	v_clz_i32_u32_e32 v10, v2
	v_min_u32_e32 v10, 32, v10
	s_delay_alu instid0(VALU_DEP_1) | instskip(NEXT) | instid1(VALU_DEP_1)
	v_subrev_nc_u32_e32 v11, 28, v10
	v_lshlrev_b64_e32 v[12:13], v11, v[2:3]
	s_delay_alu instid0(VALU_DEP_1)
	v_dual_sub_nc_u32 v10, 29, v10 :: v_dual_bitop2_b32 v2, 7, v12 bitop3:0x40
; %bb.30:                               ;   in Loop: Header=BB339_9 Depth=1
	s_or_b32 exec_lo, exec_lo, s31
	s_delay_alu instid0(VALU_DEP_1) | instskip(NEXT) | instid1(VALU_DEP_2)
	v_dual_lshlrev_b32 v1, 24, v1 :: v_dual_lshlrev_b32 v2, 20, v2
	v_lshl_add_u32 v10, v10, 23, 0x3c000000
	s_delay_alu instid0(VALU_DEP_2) | instskip(NEXT) | instid1(VALU_DEP_1)
	v_and_b32_e32 v1, 0x80000000, v1
	v_or3_b32 v87, v2, v1, v10
.LBB339_31:                             ;   in Loop: Header=BB339_9 Depth=1
	s_or_b32 exec_lo, exec_lo, s30
.LBB339_32:                             ;   in Loop: Header=BB339_9 Depth=1
	s_delay_alu instid0(SALU_CYCLE_1)
	s_or_b32 exec_lo, exec_lo, s29
.LBB339_33:                             ;   in Loop: Header=BB339_9 Depth=1
	s_delay_alu instid0(SALU_CYCLE_1) | instskip(NEXT) | instid1(SALU_CYCLE_1)
	s_or_b32 exec_lo, exec_lo, s28
	s_mov_b32 s28, exec_lo
	v_cmpx_lt_u32_e32 0xffffff, v0
	s_cbranch_execz .LBB339_41
; %bb.34:                               ;   in Loop: Header=BB339_9 Depth=1
	v_lshrrev_b32_e32 v1, 24, v0
	v_bfrev_b32_e32 v86, 1
	s_mov_b32 s29, exec_lo
	s_delay_alu instid0(VALU_DEP_2)
	v_cmpx_ne_u32_e32 0x80, v1
	s_cbranch_execz .LBB339_40
; %bb.35:                               ;   in Loop: Header=BB339_9 Depth=1
	v_bfe_u32 v10, v0, 24, 7
	v_mov_b32_e32 v86, 0x7f800001
	s_mov_b32 s30, exec_lo
	s_delay_alu instid0(VALU_DEP_2)
	v_cmpx_ne_u32_e32 0x7f, v10
	s_cbranch_execz .LBB339_39
; %bb.36:                               ;   in Loop: Header=BB339_9 Depth=1
	v_dual_lshrrev_b32 v0, 3, v10 :: v_dual_bitop2_b32 v2, 7, v1 bitop3:0x40
	s_mov_b32 s31, exec_lo
	v_cmpx_gt_u32_e32 8, v10
; %bb.37:                               ;   in Loop: Header=BB339_9 Depth=1
	s_delay_alu instid0(VALU_DEP_2) | instskip(NEXT) | instid1(VALU_DEP_1)
	v_clz_i32_u32_e32 v0, v2
	v_min_u32_e32 v0, 32, v0
	s_delay_alu instid0(VALU_DEP_1) | instskip(NEXT) | instid1(VALU_DEP_1)
	v_subrev_nc_u32_e32 v10, 28, v0
	v_lshlrev_b64_e32 v[10:11], v10, v[2:3]
	s_delay_alu instid0(VALU_DEP_1)
	v_dual_sub_nc_u32 v0, 29, v0 :: v_dual_bitop2_b32 v2, 7, v10 bitop3:0x40
; %bb.38:                               ;   in Loop: Header=BB339_9 Depth=1
	s_or_b32 exec_lo, exec_lo, s31
	s_delay_alu instid0(VALU_DEP_1) | instskip(NEXT) | instid1(VALU_DEP_2)
	v_dual_lshlrev_b32 v1, 24, v1 :: v_dual_lshlrev_b32 v2, 20, v2
	v_lshl_add_u32 v0, v0, 23, 0x3c000000
	s_delay_alu instid0(VALU_DEP_2) | instskip(NEXT) | instid1(VALU_DEP_1)
	v_and_b32_e32 v1, 0x80000000, v1
	v_or3_b32 v86, v2, v1, v0
.LBB339_39:                             ;   in Loop: Header=BB339_9 Depth=1
	s_or_b32 exec_lo, exec_lo, s30
.LBB339_40:                             ;   in Loop: Header=BB339_9 Depth=1
	s_delay_alu instid0(SALU_CYCLE_1)
	s_or_b32 exec_lo, exec_lo, s29
.LBB339_41:                             ;   in Loop: Header=BB339_9 Depth=1
	s_delay_alu instid0(SALU_CYCLE_1)
	s_or_b32 exec_lo, exec_lo, s28
	global_load_b32 v0, v[8:9], off offset:8
	v_dual_mov_b32 v88, 0 :: v_dual_mov_b32 v89, 0
	s_mov_b32 s28, exec_lo
	s_wait_loadcnt 0x0
	v_and_b32_e32 v1, 0xff, v0
	s_wait_xcnt 0x0
	s_delay_alu instid0(VALU_DEP_1)
	v_cmpx_ne_u16_e32 0, v1
	s_cbranch_execz .LBB339_49
; %bb.42:                               ;   in Loop: Header=BB339_9 Depth=1
	v_bfrev_b32_e32 v89, 1
	s_mov_b32 s29, exec_lo
	v_cmpx_ne_u16_e32 0x80, v1
	s_cbranch_execz .LBB339_48
; %bb.43:                               ;   in Loop: Header=BB339_9 Depth=1
	v_and_b32_e32 v10, 0x7f, v0
	v_mov_b32_e32 v89, 0x7f800001
	s_mov_b32 s30, exec_lo
	s_delay_alu instid0(VALU_DEP_2)
	v_cmpx_ne_u32_e32 0x7f, v10
	s_cbranch_execz .LBB339_47
; %bb.44:                               ;   in Loop: Header=BB339_9 Depth=1
	v_dual_lshrrev_b32 v1, 3, v10 :: v_dual_bitop2_b32 v2, 7, v0 bitop3:0x40
	s_mov_b32 s31, exec_lo
	v_cmpx_gt_u32_e32 8, v10
; %bb.45:                               ;   in Loop: Header=BB339_9 Depth=1
	s_delay_alu instid0(VALU_DEP_2) | instskip(NEXT) | instid1(VALU_DEP_1)
	v_clz_i32_u32_e32 v1, v2
	v_min_u32_e32 v1, 32, v1
	s_delay_alu instid0(VALU_DEP_1) | instskip(NEXT) | instid1(VALU_DEP_1)
	v_subrev_nc_u32_e32 v10, 28, v1
	v_lshlrev_b64_e32 v[10:11], v10, v[2:3]
	s_delay_alu instid0(VALU_DEP_1)
	v_dual_sub_nc_u32 v1, 29, v1 :: v_dual_bitop2_b32 v2, 7, v10 bitop3:0x40
; %bb.46:                               ;   in Loop: Header=BB339_9 Depth=1
	s_or_b32 exec_lo, exec_lo, s31
	s_delay_alu instid0(VALU_DEP_1) | instskip(NEXT) | instid1(VALU_DEP_2)
	v_dual_lshlrev_b32 v10, 24, v0 :: v_dual_lshlrev_b32 v2, 20, v2
	v_lshl_add_u32 v1, v1, 23, 0x3c000000
	s_delay_alu instid0(VALU_DEP_2) | instskip(NEXT) | instid1(VALU_DEP_1)
	v_and_b32_e32 v10, 0x80000000, v10
	v_or3_b32 v89, v2, v10, v1
.LBB339_47:                             ;   in Loop: Header=BB339_9 Depth=1
	s_or_b32 exec_lo, exec_lo, s30
.LBB339_48:                             ;   in Loop: Header=BB339_9 Depth=1
	s_delay_alu instid0(SALU_CYCLE_1)
	s_or_b32 exec_lo, exec_lo, s29
.LBB339_49:                             ;   in Loop: Header=BB339_9 Depth=1
	s_delay_alu instid0(SALU_CYCLE_1) | instskip(SKIP_2) | instid1(VALU_DEP_1)
	s_or_b32 exec_lo, exec_lo, s28
	v_lshrrev_b16 v1, 8, v0
	s_mov_b32 s28, exec_lo
	v_cmpx_ne_u16_e32 0, v1
	s_cbranch_execz .LBB339_57
; %bb.50:                               ;   in Loop: Header=BB339_9 Depth=1
	v_bfrev_b32_e32 v88, 1
	s_mov_b32 s29, exec_lo
	v_cmpx_ne_u16_e32 0x80, v1
	s_cbranch_execz .LBB339_56
; %bb.51:                               ;   in Loop: Header=BB339_9 Depth=1
	v_and_b32_e32 v1, 0xffff, v1
	v_mov_b32_e32 v88, 0x7f800001
	s_mov_b32 s30, exec_lo
	s_delay_alu instid0(VALU_DEP_2) | instskip(NEXT) | instid1(VALU_DEP_1)
	v_and_b32_e32 v10, 0x7f, v1
	v_cmpx_ne_u32_e32 0x7f, v10
	s_cbranch_execz .LBB339_55
; %bb.52:                               ;   in Loop: Header=BB339_9 Depth=1
	v_dual_lshrrev_b32 v1, 3, v10 :: v_dual_bitop2_b32 v2, 7, v1 bitop3:0x40
	s_mov_b32 s31, exec_lo
	v_cmpx_gt_u32_e32 8, v10
; %bb.53:                               ;   in Loop: Header=BB339_9 Depth=1
	s_delay_alu instid0(VALU_DEP_2) | instskip(NEXT) | instid1(VALU_DEP_1)
	v_clz_i32_u32_e32 v1, v2
	v_min_u32_e32 v1, 32, v1
	s_delay_alu instid0(VALU_DEP_1) | instskip(NEXT) | instid1(VALU_DEP_1)
	v_subrev_nc_u32_e32 v10, 28, v1
	v_lshlrev_b64_e32 v[10:11], v10, v[2:3]
	s_delay_alu instid0(VALU_DEP_1)
	v_dual_sub_nc_u32 v1, 29, v1 :: v_dual_bitop2_b32 v2, 7, v10 bitop3:0x40
; %bb.54:                               ;   in Loop: Header=BB339_9 Depth=1
	s_or_b32 exec_lo, exec_lo, s31
	s_delay_alu instid0(VALU_DEP_1) | instskip(NEXT) | instid1(VALU_DEP_2)
	v_dual_lshlrev_b32 v10, 16, v0 :: v_dual_lshlrev_b32 v2, 20, v2
	v_lshl_add_u32 v1, v1, 23, 0x3c000000
	s_delay_alu instid0(VALU_DEP_2) | instskip(NEXT) | instid1(VALU_DEP_1)
	v_and_b32_e32 v10, 0x80000000, v10
	v_or3_b32 v88, v2, v10, v1
.LBB339_55:                             ;   in Loop: Header=BB339_9 Depth=1
	s_or_b32 exec_lo, exec_lo, s30
.LBB339_56:                             ;   in Loop: Header=BB339_9 Depth=1
	s_delay_alu instid0(SALU_CYCLE_1)
	s_or_b32 exec_lo, exec_lo, s29
.LBB339_57:                             ;   in Loop: Header=BB339_9 Depth=1
	s_delay_alu instid0(SALU_CYCLE_1) | instskip(SKIP_3) | instid1(VALU_DEP_2)
	s_or_b32 exec_lo, exec_lo, s28
	v_dual_mov_b32 v90, 0 :: v_dual_lshrrev_b32 v1, 16, v0
	v_mov_b32_e32 v91, 0
	s_mov_b32 s28, exec_lo
	v_and_b32_e32 v2, 0xff, v1
	s_delay_alu instid0(VALU_DEP_1)
	v_cmpx_ne_u16_e32 0, v2
	s_cbranch_execz .LBB339_65
; %bb.58:                               ;   in Loop: Header=BB339_9 Depth=1
	v_bfrev_b32_e32 v91, 1
	s_mov_b32 s29, exec_lo
	v_cmpx_ne_u16_e32 0x80, v2
	s_cbranch_execz .LBB339_64
; %bb.59:                               ;   in Loop: Header=BB339_9 Depth=1
	v_bfe_u32 v11, v0, 16, 7
	v_mov_b32_e32 v91, 0x7f800001
	s_mov_b32 s30, exec_lo
	s_delay_alu instid0(VALU_DEP_2)
	v_cmpx_ne_u32_e32 0x7f, v11
	s_cbranch_execz .LBB339_63
; %bb.60:                               ;   in Loop: Header=BB339_9 Depth=1
	v_dual_lshrrev_b32 v10, 3, v11 :: v_dual_bitop2_b32 v2, 7, v1 bitop3:0x40
	s_mov_b32 s31, exec_lo
	v_cmpx_gt_u32_e32 8, v11
; %bb.61:                               ;   in Loop: Header=BB339_9 Depth=1
	s_delay_alu instid0(VALU_DEP_2) | instskip(NEXT) | instid1(VALU_DEP_1)
	v_clz_i32_u32_e32 v10, v2
	v_min_u32_e32 v10, 32, v10
	s_delay_alu instid0(VALU_DEP_1) | instskip(NEXT) | instid1(VALU_DEP_1)
	v_subrev_nc_u32_e32 v11, 28, v10
	v_lshlrev_b64_e32 v[12:13], v11, v[2:3]
	s_delay_alu instid0(VALU_DEP_1)
	v_dual_sub_nc_u32 v10, 29, v10 :: v_dual_bitop2_b32 v2, 7, v12 bitop3:0x40
; %bb.62:                               ;   in Loop: Header=BB339_9 Depth=1
	s_or_b32 exec_lo, exec_lo, s31
	s_delay_alu instid0(VALU_DEP_1) | instskip(NEXT) | instid1(VALU_DEP_2)
	v_dual_lshlrev_b32 v1, 24, v1 :: v_dual_lshlrev_b32 v2, 20, v2
	v_lshl_add_u32 v10, v10, 23, 0x3c000000
	s_delay_alu instid0(VALU_DEP_2) | instskip(NEXT) | instid1(VALU_DEP_1)
	v_and_b32_e32 v1, 0x80000000, v1
	v_or3_b32 v91, v2, v1, v10
.LBB339_63:                             ;   in Loop: Header=BB339_9 Depth=1
	s_or_b32 exec_lo, exec_lo, s30
.LBB339_64:                             ;   in Loop: Header=BB339_9 Depth=1
	s_delay_alu instid0(SALU_CYCLE_1)
	s_or_b32 exec_lo, exec_lo, s29
.LBB339_65:                             ;   in Loop: Header=BB339_9 Depth=1
	s_delay_alu instid0(SALU_CYCLE_1) | instskip(NEXT) | instid1(SALU_CYCLE_1)
	s_or_b32 exec_lo, exec_lo, s28
	s_mov_b32 s28, exec_lo
	v_cmpx_lt_u32_e32 0xffffff, v0
	s_cbranch_execz .LBB339_73
; %bb.66:                               ;   in Loop: Header=BB339_9 Depth=1
	v_lshrrev_b32_e32 v1, 24, v0
	v_bfrev_b32_e32 v90, 1
	s_mov_b32 s29, exec_lo
	s_delay_alu instid0(VALU_DEP_2)
	v_cmpx_ne_u32_e32 0x80, v1
	s_cbranch_execz .LBB339_72
; %bb.67:                               ;   in Loop: Header=BB339_9 Depth=1
	v_bfe_u32 v10, v0, 24, 7
	v_mov_b32_e32 v90, 0x7f800001
	s_mov_b32 s30, exec_lo
	s_delay_alu instid0(VALU_DEP_2)
	v_cmpx_ne_u32_e32 0x7f, v10
	s_cbranch_execz .LBB339_71
; %bb.68:                               ;   in Loop: Header=BB339_9 Depth=1
	v_dual_lshrrev_b32 v0, 3, v10 :: v_dual_bitop2_b32 v2, 7, v1 bitop3:0x40
	s_mov_b32 s31, exec_lo
	v_cmpx_gt_u32_e32 8, v10
; %bb.69:                               ;   in Loop: Header=BB339_9 Depth=1
	s_delay_alu instid0(VALU_DEP_2) | instskip(NEXT) | instid1(VALU_DEP_1)
	v_clz_i32_u32_e32 v0, v2
	v_min_u32_e32 v0, 32, v0
	s_delay_alu instid0(VALU_DEP_1) | instskip(NEXT) | instid1(VALU_DEP_1)
	v_subrev_nc_u32_e32 v10, 28, v0
	v_lshlrev_b64_e32 v[10:11], v10, v[2:3]
	s_delay_alu instid0(VALU_DEP_1)
	v_dual_sub_nc_u32 v0, 29, v0 :: v_dual_bitop2_b32 v2, 7, v10 bitop3:0x40
; %bb.70:                               ;   in Loop: Header=BB339_9 Depth=1
	s_or_b32 exec_lo, exec_lo, s31
	s_delay_alu instid0(VALU_DEP_1) | instskip(NEXT) | instid1(VALU_DEP_2)
	v_dual_lshlrev_b32 v1, 24, v1 :: v_dual_lshlrev_b32 v2, 20, v2
	v_lshl_add_u32 v0, v0, 23, 0x3c000000
	s_delay_alu instid0(VALU_DEP_2) | instskip(NEXT) | instid1(VALU_DEP_1)
	v_and_b32_e32 v1, 0x80000000, v1
	v_or3_b32 v90, v2, v1, v0
.LBB339_71:                             ;   in Loop: Header=BB339_9 Depth=1
	s_or_b32 exec_lo, exec_lo, s30
.LBB339_72:                             ;   in Loop: Header=BB339_9 Depth=1
	s_delay_alu instid0(SALU_CYCLE_1)
	s_or_b32 exec_lo, exec_lo, s29
.LBB339_73:                             ;   in Loop: Header=BB339_9 Depth=1
	s_delay_alu instid0(SALU_CYCLE_1)
	s_or_b32 exec_lo, exec_lo, s28
	global_load_b32 v0, v[8:9], off offset:256
	v_dual_mov_b32 v92, 0 :: v_dual_mov_b32 v93, 0
	s_mov_b32 s28, exec_lo
	s_wait_loadcnt 0x0
	v_and_b32_e32 v1, 0xff, v0
	s_wait_xcnt 0x0
	s_delay_alu instid0(VALU_DEP_1)
	v_cmpx_ne_u16_e32 0, v1
	s_cbranch_execz .LBB339_81
; %bb.74:                               ;   in Loop: Header=BB339_9 Depth=1
	v_bfrev_b32_e32 v93, 1
	s_mov_b32 s29, exec_lo
	v_cmpx_ne_u16_e32 0x80, v1
	s_cbranch_execz .LBB339_80
; %bb.75:                               ;   in Loop: Header=BB339_9 Depth=1
	v_and_b32_e32 v10, 0x7f, v0
	v_mov_b32_e32 v93, 0x7f800001
	s_mov_b32 s30, exec_lo
	s_delay_alu instid0(VALU_DEP_2)
	v_cmpx_ne_u32_e32 0x7f, v10
	s_cbranch_execz .LBB339_79
; %bb.76:                               ;   in Loop: Header=BB339_9 Depth=1
	v_dual_lshrrev_b32 v1, 3, v10 :: v_dual_bitop2_b32 v2, 7, v0 bitop3:0x40
	s_mov_b32 s31, exec_lo
	v_cmpx_gt_u32_e32 8, v10
; %bb.77:                               ;   in Loop: Header=BB339_9 Depth=1
	s_delay_alu instid0(VALU_DEP_2) | instskip(NEXT) | instid1(VALU_DEP_1)
	v_clz_i32_u32_e32 v1, v2
	v_min_u32_e32 v1, 32, v1
	s_delay_alu instid0(VALU_DEP_1) | instskip(NEXT) | instid1(VALU_DEP_1)
	v_subrev_nc_u32_e32 v10, 28, v1
	v_lshlrev_b64_e32 v[10:11], v10, v[2:3]
	s_delay_alu instid0(VALU_DEP_1)
	v_dual_sub_nc_u32 v1, 29, v1 :: v_dual_bitop2_b32 v2, 7, v10 bitop3:0x40
; %bb.78:                               ;   in Loop: Header=BB339_9 Depth=1
	s_or_b32 exec_lo, exec_lo, s31
	s_delay_alu instid0(VALU_DEP_1) | instskip(NEXT) | instid1(VALU_DEP_2)
	v_dual_lshlrev_b32 v10, 24, v0 :: v_dual_lshlrev_b32 v2, 20, v2
	v_lshl_add_u32 v1, v1, 23, 0x3c000000
	s_delay_alu instid0(VALU_DEP_2) | instskip(NEXT) | instid1(VALU_DEP_1)
	v_and_b32_e32 v10, 0x80000000, v10
	v_or3_b32 v93, v2, v10, v1
.LBB339_79:                             ;   in Loop: Header=BB339_9 Depth=1
	s_or_b32 exec_lo, exec_lo, s30
.LBB339_80:                             ;   in Loop: Header=BB339_9 Depth=1
	s_delay_alu instid0(SALU_CYCLE_1)
	s_or_b32 exec_lo, exec_lo, s29
.LBB339_81:                             ;   in Loop: Header=BB339_9 Depth=1
	s_delay_alu instid0(SALU_CYCLE_1) | instskip(SKIP_2) | instid1(VALU_DEP_1)
	s_or_b32 exec_lo, exec_lo, s28
	v_lshrrev_b16 v1, 8, v0
	s_mov_b32 s28, exec_lo
	v_cmpx_ne_u16_e32 0, v1
	s_cbranch_execz .LBB339_89
; %bb.82:                               ;   in Loop: Header=BB339_9 Depth=1
	v_bfrev_b32_e32 v92, 1
	s_mov_b32 s29, exec_lo
	v_cmpx_ne_u16_e32 0x80, v1
	s_cbranch_execz .LBB339_88
; %bb.83:                               ;   in Loop: Header=BB339_9 Depth=1
	v_and_b32_e32 v1, 0xffff, v1
	v_mov_b32_e32 v92, 0x7f800001
	s_mov_b32 s30, exec_lo
	s_delay_alu instid0(VALU_DEP_2) | instskip(NEXT) | instid1(VALU_DEP_1)
	v_and_b32_e32 v10, 0x7f, v1
	v_cmpx_ne_u32_e32 0x7f, v10
	s_cbranch_execz .LBB339_87
; %bb.84:                               ;   in Loop: Header=BB339_9 Depth=1
	v_dual_lshrrev_b32 v1, 3, v10 :: v_dual_bitop2_b32 v2, 7, v1 bitop3:0x40
	s_mov_b32 s31, exec_lo
	v_cmpx_gt_u32_e32 8, v10
; %bb.85:                               ;   in Loop: Header=BB339_9 Depth=1
	s_delay_alu instid0(VALU_DEP_2) | instskip(NEXT) | instid1(VALU_DEP_1)
	v_clz_i32_u32_e32 v1, v2
	v_min_u32_e32 v1, 32, v1
	s_delay_alu instid0(VALU_DEP_1) | instskip(NEXT) | instid1(VALU_DEP_1)
	v_subrev_nc_u32_e32 v10, 28, v1
	v_lshlrev_b64_e32 v[10:11], v10, v[2:3]
	s_delay_alu instid0(VALU_DEP_1)
	v_dual_sub_nc_u32 v1, 29, v1 :: v_dual_bitop2_b32 v2, 7, v10 bitop3:0x40
; %bb.86:                               ;   in Loop: Header=BB339_9 Depth=1
	s_or_b32 exec_lo, exec_lo, s31
	s_delay_alu instid0(VALU_DEP_1) | instskip(NEXT) | instid1(VALU_DEP_2)
	v_dual_lshlrev_b32 v10, 16, v0 :: v_dual_lshlrev_b32 v2, 20, v2
	v_lshl_add_u32 v1, v1, 23, 0x3c000000
	s_delay_alu instid0(VALU_DEP_2) | instskip(NEXT) | instid1(VALU_DEP_1)
	v_and_b32_e32 v10, 0x80000000, v10
	v_or3_b32 v92, v2, v10, v1
.LBB339_87:                             ;   in Loop: Header=BB339_9 Depth=1
	s_or_b32 exec_lo, exec_lo, s30
.LBB339_88:                             ;   in Loop: Header=BB339_9 Depth=1
	s_delay_alu instid0(SALU_CYCLE_1)
	s_or_b32 exec_lo, exec_lo, s29
.LBB339_89:                             ;   in Loop: Header=BB339_9 Depth=1
	s_delay_alu instid0(SALU_CYCLE_1) | instskip(SKIP_3) | instid1(VALU_DEP_2)
	s_or_b32 exec_lo, exec_lo, s28
	v_dual_mov_b32 v94, 0 :: v_dual_lshrrev_b32 v1, 16, v0
	v_mov_b32_e32 v95, 0
	s_mov_b32 s28, exec_lo
	v_and_b32_e32 v2, 0xff, v1
	s_delay_alu instid0(VALU_DEP_1)
	v_cmpx_ne_u16_e32 0, v2
	s_cbranch_execz .LBB339_97
; %bb.90:                               ;   in Loop: Header=BB339_9 Depth=1
	v_bfrev_b32_e32 v95, 1
	s_mov_b32 s29, exec_lo
	v_cmpx_ne_u16_e32 0x80, v2
	s_cbranch_execz .LBB339_96
; %bb.91:                               ;   in Loop: Header=BB339_9 Depth=1
	v_bfe_u32 v11, v0, 16, 7
	v_mov_b32_e32 v95, 0x7f800001
	s_mov_b32 s30, exec_lo
	s_delay_alu instid0(VALU_DEP_2)
	v_cmpx_ne_u32_e32 0x7f, v11
	s_cbranch_execz .LBB339_95
; %bb.92:                               ;   in Loop: Header=BB339_9 Depth=1
	v_dual_lshrrev_b32 v10, 3, v11 :: v_dual_bitop2_b32 v2, 7, v1 bitop3:0x40
	s_mov_b32 s31, exec_lo
	v_cmpx_gt_u32_e32 8, v11
; %bb.93:                               ;   in Loop: Header=BB339_9 Depth=1
	s_delay_alu instid0(VALU_DEP_2) | instskip(NEXT) | instid1(VALU_DEP_1)
	v_clz_i32_u32_e32 v10, v2
	v_min_u32_e32 v10, 32, v10
	s_delay_alu instid0(VALU_DEP_1) | instskip(NEXT) | instid1(VALU_DEP_1)
	v_subrev_nc_u32_e32 v11, 28, v10
	v_lshlrev_b64_e32 v[12:13], v11, v[2:3]
	s_delay_alu instid0(VALU_DEP_1)
	v_dual_sub_nc_u32 v10, 29, v10 :: v_dual_bitop2_b32 v2, 7, v12 bitop3:0x40
; %bb.94:                               ;   in Loop: Header=BB339_9 Depth=1
	s_or_b32 exec_lo, exec_lo, s31
	s_delay_alu instid0(VALU_DEP_1) | instskip(NEXT) | instid1(VALU_DEP_2)
	v_dual_lshlrev_b32 v1, 24, v1 :: v_dual_lshlrev_b32 v2, 20, v2
	v_lshl_add_u32 v10, v10, 23, 0x3c000000
	s_delay_alu instid0(VALU_DEP_2) | instskip(NEXT) | instid1(VALU_DEP_1)
	v_and_b32_e32 v1, 0x80000000, v1
	v_or3_b32 v95, v2, v1, v10
.LBB339_95:                             ;   in Loop: Header=BB339_9 Depth=1
	s_or_b32 exec_lo, exec_lo, s30
.LBB339_96:                             ;   in Loop: Header=BB339_9 Depth=1
	s_delay_alu instid0(SALU_CYCLE_1)
	s_or_b32 exec_lo, exec_lo, s29
.LBB339_97:                             ;   in Loop: Header=BB339_9 Depth=1
	s_delay_alu instid0(SALU_CYCLE_1) | instskip(NEXT) | instid1(SALU_CYCLE_1)
	s_or_b32 exec_lo, exec_lo, s28
	s_mov_b32 s28, exec_lo
	v_cmpx_lt_u32_e32 0xffffff, v0
	s_cbranch_execz .LBB339_105
; %bb.98:                               ;   in Loop: Header=BB339_9 Depth=1
	v_lshrrev_b32_e32 v1, 24, v0
	v_bfrev_b32_e32 v94, 1
	s_mov_b32 s29, exec_lo
	s_delay_alu instid0(VALU_DEP_2)
	v_cmpx_ne_u32_e32 0x80, v1
	s_cbranch_execz .LBB339_104
; %bb.99:                               ;   in Loop: Header=BB339_9 Depth=1
	v_bfe_u32 v10, v0, 24, 7
	v_mov_b32_e32 v94, 0x7f800001
	s_mov_b32 s30, exec_lo
	s_delay_alu instid0(VALU_DEP_2)
	v_cmpx_ne_u32_e32 0x7f, v10
	s_cbranch_execz .LBB339_103
; %bb.100:                              ;   in Loop: Header=BB339_9 Depth=1
	v_dual_lshrrev_b32 v0, 3, v10 :: v_dual_bitop2_b32 v2, 7, v1 bitop3:0x40
	s_mov_b32 s31, exec_lo
	v_cmpx_gt_u32_e32 8, v10
; %bb.101:                              ;   in Loop: Header=BB339_9 Depth=1
	s_delay_alu instid0(VALU_DEP_2) | instskip(NEXT) | instid1(VALU_DEP_1)
	v_clz_i32_u32_e32 v0, v2
	v_min_u32_e32 v0, 32, v0
	s_delay_alu instid0(VALU_DEP_1) | instskip(NEXT) | instid1(VALU_DEP_1)
	v_subrev_nc_u32_e32 v10, 28, v0
	v_lshlrev_b64_e32 v[10:11], v10, v[2:3]
	s_delay_alu instid0(VALU_DEP_1)
	v_dual_sub_nc_u32 v0, 29, v0 :: v_dual_bitop2_b32 v2, 7, v10 bitop3:0x40
; %bb.102:                              ;   in Loop: Header=BB339_9 Depth=1
	s_or_b32 exec_lo, exec_lo, s31
	s_delay_alu instid0(VALU_DEP_1) | instskip(NEXT) | instid1(VALU_DEP_2)
	v_dual_lshlrev_b32 v1, 24, v1 :: v_dual_lshlrev_b32 v2, 20, v2
	v_lshl_add_u32 v0, v0, 23, 0x3c000000
	s_delay_alu instid0(VALU_DEP_2) | instskip(NEXT) | instid1(VALU_DEP_1)
	v_and_b32_e32 v1, 0x80000000, v1
	v_or3_b32 v94, v2, v1, v0
.LBB339_103:                            ;   in Loop: Header=BB339_9 Depth=1
	s_or_b32 exec_lo, exec_lo, s30
.LBB339_104:                            ;   in Loop: Header=BB339_9 Depth=1
	s_delay_alu instid0(SALU_CYCLE_1)
	s_or_b32 exec_lo, exec_lo, s29
.LBB339_105:                            ;   in Loop: Header=BB339_9 Depth=1
	s_delay_alu instid0(SALU_CYCLE_1)
	s_or_b32 exec_lo, exec_lo, s28
	global_load_b32 v0, v[8:9], off offset:264
	v_dual_mov_b32 v96, 0 :: v_dual_mov_b32 v97, 0
	s_mov_b32 s28, exec_lo
	s_wait_loadcnt 0x0
	v_and_b32_e32 v1, 0xff, v0
	s_wait_xcnt 0x0
	s_delay_alu instid0(VALU_DEP_1)
	v_cmpx_ne_u16_e32 0, v1
	s_cbranch_execz .LBB339_113
; %bb.106:                              ;   in Loop: Header=BB339_9 Depth=1
	v_bfrev_b32_e32 v97, 1
	s_mov_b32 s29, exec_lo
	v_cmpx_ne_u16_e32 0x80, v1
	s_cbranch_execz .LBB339_112
; %bb.107:                              ;   in Loop: Header=BB339_9 Depth=1
	v_and_b32_e32 v10, 0x7f, v0
	v_mov_b32_e32 v97, 0x7f800001
	s_mov_b32 s30, exec_lo
	s_delay_alu instid0(VALU_DEP_2)
	v_cmpx_ne_u32_e32 0x7f, v10
	s_cbranch_execz .LBB339_111
; %bb.108:                              ;   in Loop: Header=BB339_9 Depth=1
	v_dual_lshrrev_b32 v1, 3, v10 :: v_dual_bitop2_b32 v2, 7, v0 bitop3:0x40
	s_mov_b32 s31, exec_lo
	v_cmpx_gt_u32_e32 8, v10
; %bb.109:                              ;   in Loop: Header=BB339_9 Depth=1
	s_delay_alu instid0(VALU_DEP_2) | instskip(NEXT) | instid1(VALU_DEP_1)
	v_clz_i32_u32_e32 v1, v2
	v_min_u32_e32 v1, 32, v1
	s_delay_alu instid0(VALU_DEP_1) | instskip(NEXT) | instid1(VALU_DEP_1)
	v_subrev_nc_u32_e32 v10, 28, v1
	v_lshlrev_b64_e32 v[10:11], v10, v[2:3]
	s_delay_alu instid0(VALU_DEP_1)
	v_dual_sub_nc_u32 v1, 29, v1 :: v_dual_bitop2_b32 v2, 7, v10 bitop3:0x40
; %bb.110:                              ;   in Loop: Header=BB339_9 Depth=1
	s_or_b32 exec_lo, exec_lo, s31
	s_delay_alu instid0(VALU_DEP_1) | instskip(NEXT) | instid1(VALU_DEP_2)
	v_dual_lshlrev_b32 v10, 24, v0 :: v_dual_lshlrev_b32 v2, 20, v2
	v_lshl_add_u32 v1, v1, 23, 0x3c000000
	s_delay_alu instid0(VALU_DEP_2) | instskip(NEXT) | instid1(VALU_DEP_1)
	v_and_b32_e32 v10, 0x80000000, v10
	v_or3_b32 v97, v2, v10, v1
.LBB339_111:                            ;   in Loop: Header=BB339_9 Depth=1
	s_or_b32 exec_lo, exec_lo, s30
.LBB339_112:                            ;   in Loop: Header=BB339_9 Depth=1
	s_delay_alu instid0(SALU_CYCLE_1)
	s_or_b32 exec_lo, exec_lo, s29
.LBB339_113:                            ;   in Loop: Header=BB339_9 Depth=1
	s_delay_alu instid0(SALU_CYCLE_1) | instskip(SKIP_2) | instid1(VALU_DEP_1)
	s_or_b32 exec_lo, exec_lo, s28
	v_lshrrev_b16 v1, 8, v0
	s_mov_b32 s28, exec_lo
	v_cmpx_ne_u16_e32 0, v1
	s_cbranch_execz .LBB339_121
; %bb.114:                              ;   in Loop: Header=BB339_9 Depth=1
	v_bfrev_b32_e32 v96, 1
	s_mov_b32 s29, exec_lo
	v_cmpx_ne_u16_e32 0x80, v1
	s_cbranch_execz .LBB339_120
; %bb.115:                              ;   in Loop: Header=BB339_9 Depth=1
	v_and_b32_e32 v1, 0xffff, v1
	v_mov_b32_e32 v96, 0x7f800001
	s_mov_b32 s30, exec_lo
	s_delay_alu instid0(VALU_DEP_2) | instskip(NEXT) | instid1(VALU_DEP_1)
	v_and_b32_e32 v10, 0x7f, v1
	v_cmpx_ne_u32_e32 0x7f, v10
	s_cbranch_execz .LBB339_119
; %bb.116:                              ;   in Loop: Header=BB339_9 Depth=1
	v_dual_lshrrev_b32 v1, 3, v10 :: v_dual_bitop2_b32 v2, 7, v1 bitop3:0x40
	s_mov_b32 s31, exec_lo
	v_cmpx_gt_u32_e32 8, v10
; %bb.117:                              ;   in Loop: Header=BB339_9 Depth=1
	s_delay_alu instid0(VALU_DEP_2) | instskip(NEXT) | instid1(VALU_DEP_1)
	v_clz_i32_u32_e32 v1, v2
	v_min_u32_e32 v1, 32, v1
	s_delay_alu instid0(VALU_DEP_1) | instskip(NEXT) | instid1(VALU_DEP_1)
	v_subrev_nc_u32_e32 v10, 28, v1
	v_lshlrev_b64_e32 v[10:11], v10, v[2:3]
	s_delay_alu instid0(VALU_DEP_1)
	v_dual_sub_nc_u32 v1, 29, v1 :: v_dual_bitop2_b32 v2, 7, v10 bitop3:0x40
; %bb.118:                              ;   in Loop: Header=BB339_9 Depth=1
	s_or_b32 exec_lo, exec_lo, s31
	s_delay_alu instid0(VALU_DEP_1) | instskip(NEXT) | instid1(VALU_DEP_2)
	v_dual_lshlrev_b32 v10, 16, v0 :: v_dual_lshlrev_b32 v2, 20, v2
	v_lshl_add_u32 v1, v1, 23, 0x3c000000
	s_delay_alu instid0(VALU_DEP_2) | instskip(NEXT) | instid1(VALU_DEP_1)
	v_and_b32_e32 v10, 0x80000000, v10
	v_or3_b32 v96, v2, v10, v1
.LBB339_119:                            ;   in Loop: Header=BB339_9 Depth=1
	s_or_b32 exec_lo, exec_lo, s30
.LBB339_120:                            ;   in Loop: Header=BB339_9 Depth=1
	s_delay_alu instid0(SALU_CYCLE_1)
	s_or_b32 exec_lo, exec_lo, s29
.LBB339_121:                            ;   in Loop: Header=BB339_9 Depth=1
	s_delay_alu instid0(SALU_CYCLE_1) | instskip(SKIP_3) | instid1(VALU_DEP_2)
	s_or_b32 exec_lo, exec_lo, s28
	v_dual_mov_b32 v98, 0 :: v_dual_lshrrev_b32 v1, 16, v0
	v_mov_b32_e32 v99, 0
	s_mov_b32 s28, exec_lo
	v_and_b32_e32 v2, 0xff, v1
	s_delay_alu instid0(VALU_DEP_1)
	v_cmpx_ne_u16_e32 0, v2
	s_cbranch_execz .LBB339_129
; %bb.122:                              ;   in Loop: Header=BB339_9 Depth=1
	v_bfrev_b32_e32 v99, 1
	s_mov_b32 s29, exec_lo
	v_cmpx_ne_u16_e32 0x80, v2
	s_cbranch_execz .LBB339_128
; %bb.123:                              ;   in Loop: Header=BB339_9 Depth=1
	v_bfe_u32 v11, v0, 16, 7
	v_mov_b32_e32 v99, 0x7f800001
	s_mov_b32 s30, exec_lo
	s_delay_alu instid0(VALU_DEP_2)
	v_cmpx_ne_u32_e32 0x7f, v11
	s_cbranch_execz .LBB339_127
; %bb.124:                              ;   in Loop: Header=BB339_9 Depth=1
	v_dual_lshrrev_b32 v10, 3, v11 :: v_dual_bitop2_b32 v2, 7, v1 bitop3:0x40
	s_mov_b32 s31, exec_lo
	v_cmpx_gt_u32_e32 8, v11
; %bb.125:                              ;   in Loop: Header=BB339_9 Depth=1
	s_delay_alu instid0(VALU_DEP_2) | instskip(NEXT) | instid1(VALU_DEP_1)
	v_clz_i32_u32_e32 v10, v2
	v_min_u32_e32 v10, 32, v10
	s_delay_alu instid0(VALU_DEP_1) | instskip(NEXT) | instid1(VALU_DEP_1)
	v_subrev_nc_u32_e32 v11, 28, v10
	v_lshlrev_b64_e32 v[12:13], v11, v[2:3]
	s_delay_alu instid0(VALU_DEP_1)
	v_dual_sub_nc_u32 v10, 29, v10 :: v_dual_bitop2_b32 v2, 7, v12 bitop3:0x40
; %bb.126:                              ;   in Loop: Header=BB339_9 Depth=1
	s_or_b32 exec_lo, exec_lo, s31
	s_delay_alu instid0(VALU_DEP_1) | instskip(NEXT) | instid1(VALU_DEP_2)
	v_dual_lshlrev_b32 v1, 24, v1 :: v_dual_lshlrev_b32 v2, 20, v2
	v_lshl_add_u32 v10, v10, 23, 0x3c000000
	s_delay_alu instid0(VALU_DEP_2) | instskip(NEXT) | instid1(VALU_DEP_1)
	v_and_b32_e32 v1, 0x80000000, v1
	v_or3_b32 v99, v2, v1, v10
.LBB339_127:                            ;   in Loop: Header=BB339_9 Depth=1
	s_or_b32 exec_lo, exec_lo, s30
.LBB339_128:                            ;   in Loop: Header=BB339_9 Depth=1
	s_delay_alu instid0(SALU_CYCLE_1)
	s_or_b32 exec_lo, exec_lo, s29
.LBB339_129:                            ;   in Loop: Header=BB339_9 Depth=1
	s_delay_alu instid0(SALU_CYCLE_1) | instskip(NEXT) | instid1(SALU_CYCLE_1)
	s_or_b32 exec_lo, exec_lo, s28
	s_mov_b32 s28, exec_lo
	v_cmpx_lt_u32_e32 0xffffff, v0
	s_cbranch_execz .LBB339_137
; %bb.130:                              ;   in Loop: Header=BB339_9 Depth=1
	v_lshrrev_b32_e32 v1, 24, v0
	v_bfrev_b32_e32 v98, 1
	s_mov_b32 s29, exec_lo
	s_delay_alu instid0(VALU_DEP_2)
	v_cmpx_ne_u32_e32 0x80, v1
	s_cbranch_execz .LBB339_136
; %bb.131:                              ;   in Loop: Header=BB339_9 Depth=1
	v_bfe_u32 v10, v0, 24, 7
	v_mov_b32_e32 v98, 0x7f800001
	s_mov_b32 s30, exec_lo
	s_delay_alu instid0(VALU_DEP_2)
	v_cmpx_ne_u32_e32 0x7f, v10
	s_cbranch_execz .LBB339_135
; %bb.132:                              ;   in Loop: Header=BB339_9 Depth=1
	v_dual_lshrrev_b32 v0, 3, v10 :: v_dual_bitop2_b32 v2, 7, v1 bitop3:0x40
	s_mov_b32 s31, exec_lo
	v_cmpx_gt_u32_e32 8, v10
; %bb.133:                              ;   in Loop: Header=BB339_9 Depth=1
	s_delay_alu instid0(VALU_DEP_2) | instskip(NEXT) | instid1(VALU_DEP_1)
	v_clz_i32_u32_e32 v0, v2
	v_min_u32_e32 v0, 32, v0
	s_delay_alu instid0(VALU_DEP_1) | instskip(NEXT) | instid1(VALU_DEP_1)
	v_subrev_nc_u32_e32 v10, 28, v0
	v_lshlrev_b64_e32 v[10:11], v10, v[2:3]
	s_delay_alu instid0(VALU_DEP_1)
	v_dual_sub_nc_u32 v0, 29, v0 :: v_dual_bitop2_b32 v2, 7, v10 bitop3:0x40
; %bb.134:                              ;   in Loop: Header=BB339_9 Depth=1
	s_or_b32 exec_lo, exec_lo, s31
	s_delay_alu instid0(VALU_DEP_1) | instskip(NEXT) | instid1(VALU_DEP_2)
	v_dual_lshlrev_b32 v1, 24, v1 :: v_dual_lshlrev_b32 v2, 20, v2
	v_lshl_add_u32 v0, v0, 23, 0x3c000000
	s_delay_alu instid0(VALU_DEP_2) | instskip(NEXT) | instid1(VALU_DEP_1)
	v_and_b32_e32 v1, 0x80000000, v1
	v_or3_b32 v98, v2, v1, v0
.LBB339_135:                            ;   in Loop: Header=BB339_9 Depth=1
	s_or_b32 exec_lo, exec_lo, s30
.LBB339_136:                            ;   in Loop: Header=BB339_9 Depth=1
	s_delay_alu instid0(SALU_CYCLE_1)
	s_or_b32 exec_lo, exec_lo, s29
.LBB339_137:                            ;   in Loop: Header=BB339_9 Depth=1
	s_delay_alu instid0(SALU_CYCLE_1)
	s_or_b32 exec_lo, exec_lo, s28
	global_load_b32 v0, v[8:9], off offset:512
	v_dual_mov_b32 v101, 0 :: v_dual_mov_b32 v100, 0
	s_mov_b32 s28, exec_lo
	s_wait_loadcnt 0x0
	v_and_b32_e32 v1, 0xff, v0
	s_wait_xcnt 0x0
	s_delay_alu instid0(VALU_DEP_1)
	v_cmpx_ne_u16_e32 0, v1
	s_cbranch_execz .LBB339_145
; %bb.138:                              ;   in Loop: Header=BB339_9 Depth=1
	v_bfrev_b32_e32 v100, 1
	s_mov_b32 s29, exec_lo
	v_cmpx_ne_u16_e32 0x80, v1
	s_cbranch_execz .LBB339_144
; %bb.139:                              ;   in Loop: Header=BB339_9 Depth=1
	v_and_b32_e32 v10, 0x7f, v0
	v_mov_b32_e32 v100, 0x7f800001
	s_mov_b32 s30, exec_lo
	s_delay_alu instid0(VALU_DEP_2)
	v_cmpx_ne_u32_e32 0x7f, v10
	s_cbranch_execz .LBB339_143
; %bb.140:                              ;   in Loop: Header=BB339_9 Depth=1
	v_dual_lshrrev_b32 v1, 3, v10 :: v_dual_bitop2_b32 v2, 7, v0 bitop3:0x40
	s_mov_b32 s31, exec_lo
	v_cmpx_gt_u32_e32 8, v10
; %bb.141:                              ;   in Loop: Header=BB339_9 Depth=1
	s_delay_alu instid0(VALU_DEP_2) | instskip(NEXT) | instid1(VALU_DEP_1)
	v_clz_i32_u32_e32 v1, v2
	v_min_u32_e32 v1, 32, v1
	s_delay_alu instid0(VALU_DEP_1) | instskip(NEXT) | instid1(VALU_DEP_1)
	v_subrev_nc_u32_e32 v10, 28, v1
	v_lshlrev_b64_e32 v[10:11], v10, v[2:3]
	s_delay_alu instid0(VALU_DEP_1)
	v_dual_sub_nc_u32 v1, 29, v1 :: v_dual_bitop2_b32 v2, 7, v10 bitop3:0x40
; %bb.142:                              ;   in Loop: Header=BB339_9 Depth=1
	s_or_b32 exec_lo, exec_lo, s31
	s_delay_alu instid0(VALU_DEP_1) | instskip(NEXT) | instid1(VALU_DEP_2)
	v_dual_lshlrev_b32 v10, 24, v0 :: v_dual_lshlrev_b32 v2, 20, v2
	v_lshl_add_u32 v1, v1, 23, 0x3c000000
	s_delay_alu instid0(VALU_DEP_2) | instskip(NEXT) | instid1(VALU_DEP_1)
	v_and_b32_e32 v10, 0x80000000, v10
	v_or3_b32 v100, v2, v10, v1
.LBB339_143:                            ;   in Loop: Header=BB339_9 Depth=1
	s_or_b32 exec_lo, exec_lo, s30
.LBB339_144:                            ;   in Loop: Header=BB339_9 Depth=1
	s_delay_alu instid0(SALU_CYCLE_1)
	s_or_b32 exec_lo, exec_lo, s29
.LBB339_145:                            ;   in Loop: Header=BB339_9 Depth=1
	s_delay_alu instid0(SALU_CYCLE_1) | instskip(SKIP_2) | instid1(VALU_DEP_1)
	s_or_b32 exec_lo, exec_lo, s28
	v_lshrrev_b16 v1, 8, v0
	s_mov_b32 s28, exec_lo
	v_cmpx_ne_u16_e32 0, v1
	s_cbranch_execz .LBB339_153
; %bb.146:                              ;   in Loop: Header=BB339_9 Depth=1
	v_bfrev_b32_e32 v101, 1
	s_mov_b32 s29, exec_lo
	v_cmpx_ne_u16_e32 0x80, v1
	s_cbranch_execz .LBB339_152
; %bb.147:                              ;   in Loop: Header=BB339_9 Depth=1
	v_and_b32_e32 v1, 0xffff, v1
	v_mov_b32_e32 v101, 0x7f800001
	s_mov_b32 s30, exec_lo
	s_delay_alu instid0(VALU_DEP_2) | instskip(NEXT) | instid1(VALU_DEP_1)
	v_and_b32_e32 v10, 0x7f, v1
	v_cmpx_ne_u32_e32 0x7f, v10
	s_cbranch_execz .LBB339_151
; %bb.148:                              ;   in Loop: Header=BB339_9 Depth=1
	v_dual_lshrrev_b32 v1, 3, v10 :: v_dual_bitop2_b32 v2, 7, v1 bitop3:0x40
	s_mov_b32 s31, exec_lo
	v_cmpx_gt_u32_e32 8, v10
; %bb.149:                              ;   in Loop: Header=BB339_9 Depth=1
	s_delay_alu instid0(VALU_DEP_2) | instskip(NEXT) | instid1(VALU_DEP_1)
	v_clz_i32_u32_e32 v1, v2
	v_min_u32_e32 v1, 32, v1
	s_delay_alu instid0(VALU_DEP_1) | instskip(NEXT) | instid1(VALU_DEP_1)
	v_subrev_nc_u32_e32 v10, 28, v1
	v_lshlrev_b64_e32 v[10:11], v10, v[2:3]
	s_delay_alu instid0(VALU_DEP_1)
	v_dual_sub_nc_u32 v1, 29, v1 :: v_dual_bitop2_b32 v2, 7, v10 bitop3:0x40
; %bb.150:                              ;   in Loop: Header=BB339_9 Depth=1
	s_or_b32 exec_lo, exec_lo, s31
	s_delay_alu instid0(VALU_DEP_1) | instskip(NEXT) | instid1(VALU_DEP_2)
	v_dual_lshlrev_b32 v10, 16, v0 :: v_dual_lshlrev_b32 v2, 20, v2
	v_lshl_add_u32 v1, v1, 23, 0x3c000000
	s_delay_alu instid0(VALU_DEP_2) | instskip(NEXT) | instid1(VALU_DEP_1)
	v_and_b32_e32 v10, 0x80000000, v10
	v_or3_b32 v101, v2, v10, v1
.LBB339_151:                            ;   in Loop: Header=BB339_9 Depth=1
	s_or_b32 exec_lo, exec_lo, s30
.LBB339_152:                            ;   in Loop: Header=BB339_9 Depth=1
	s_delay_alu instid0(SALU_CYCLE_1)
	s_or_b32 exec_lo, exec_lo, s29
.LBB339_153:                            ;   in Loop: Header=BB339_9 Depth=1
	s_delay_alu instid0(SALU_CYCLE_1) | instskip(SKIP_3) | instid1(VALU_DEP_2)
	s_or_b32 exec_lo, exec_lo, s28
	v_dual_mov_b32 v102, 0 :: v_dual_lshrrev_b32 v1, 16, v0
	v_mov_b32_e32 v103, 0
	s_mov_b32 s28, exec_lo
	v_and_b32_e32 v2, 0xff, v1
	s_delay_alu instid0(VALU_DEP_1)
	v_cmpx_ne_u16_e32 0, v2
	s_cbranch_execz .LBB339_161
; %bb.154:                              ;   in Loop: Header=BB339_9 Depth=1
	v_bfrev_b32_e32 v103, 1
	s_mov_b32 s29, exec_lo
	v_cmpx_ne_u16_e32 0x80, v2
	s_cbranch_execz .LBB339_160
; %bb.155:                              ;   in Loop: Header=BB339_9 Depth=1
	v_bfe_u32 v11, v0, 16, 7
	v_mov_b32_e32 v103, 0x7f800001
	s_mov_b32 s30, exec_lo
	s_delay_alu instid0(VALU_DEP_2)
	v_cmpx_ne_u32_e32 0x7f, v11
	s_cbranch_execz .LBB339_159
; %bb.156:                              ;   in Loop: Header=BB339_9 Depth=1
	v_dual_lshrrev_b32 v10, 3, v11 :: v_dual_bitop2_b32 v2, 7, v1 bitop3:0x40
	s_mov_b32 s31, exec_lo
	v_cmpx_gt_u32_e32 8, v11
; %bb.157:                              ;   in Loop: Header=BB339_9 Depth=1
	s_delay_alu instid0(VALU_DEP_2) | instskip(NEXT) | instid1(VALU_DEP_1)
	v_clz_i32_u32_e32 v10, v2
	v_min_u32_e32 v10, 32, v10
	s_delay_alu instid0(VALU_DEP_1) | instskip(NEXT) | instid1(VALU_DEP_1)
	v_subrev_nc_u32_e32 v11, 28, v10
	v_lshlrev_b64_e32 v[12:13], v11, v[2:3]
	s_delay_alu instid0(VALU_DEP_1)
	v_dual_sub_nc_u32 v10, 29, v10 :: v_dual_bitop2_b32 v2, 7, v12 bitop3:0x40
; %bb.158:                              ;   in Loop: Header=BB339_9 Depth=1
	s_or_b32 exec_lo, exec_lo, s31
	s_delay_alu instid0(VALU_DEP_1) | instskip(NEXT) | instid1(VALU_DEP_2)
	v_dual_lshlrev_b32 v1, 24, v1 :: v_dual_lshlrev_b32 v2, 20, v2
	v_lshl_add_u32 v10, v10, 23, 0x3c000000
	s_delay_alu instid0(VALU_DEP_2) | instskip(NEXT) | instid1(VALU_DEP_1)
	v_and_b32_e32 v1, 0x80000000, v1
	v_or3_b32 v103, v2, v1, v10
.LBB339_159:                            ;   in Loop: Header=BB339_9 Depth=1
	s_or_b32 exec_lo, exec_lo, s30
.LBB339_160:                            ;   in Loop: Header=BB339_9 Depth=1
	s_delay_alu instid0(SALU_CYCLE_1)
	s_or_b32 exec_lo, exec_lo, s29
.LBB339_161:                            ;   in Loop: Header=BB339_9 Depth=1
	s_delay_alu instid0(SALU_CYCLE_1) | instskip(NEXT) | instid1(SALU_CYCLE_1)
	s_or_b32 exec_lo, exec_lo, s28
	s_mov_b32 s28, exec_lo
	v_cmpx_lt_u32_e32 0xffffff, v0
	s_cbranch_execz .LBB339_169
; %bb.162:                              ;   in Loop: Header=BB339_9 Depth=1
	v_lshrrev_b32_e32 v1, 24, v0
	v_bfrev_b32_e32 v102, 1
	s_mov_b32 s29, exec_lo
	s_delay_alu instid0(VALU_DEP_2)
	v_cmpx_ne_u32_e32 0x80, v1
	s_cbranch_execz .LBB339_168
; %bb.163:                              ;   in Loop: Header=BB339_9 Depth=1
	v_bfe_u32 v10, v0, 24, 7
	v_mov_b32_e32 v102, 0x7f800001
	s_mov_b32 s30, exec_lo
	s_delay_alu instid0(VALU_DEP_2)
	v_cmpx_ne_u32_e32 0x7f, v10
	s_cbranch_execz .LBB339_167
; %bb.164:                              ;   in Loop: Header=BB339_9 Depth=1
	v_dual_lshrrev_b32 v0, 3, v10 :: v_dual_bitop2_b32 v2, 7, v1 bitop3:0x40
	s_mov_b32 s31, exec_lo
	v_cmpx_gt_u32_e32 8, v10
; %bb.165:                              ;   in Loop: Header=BB339_9 Depth=1
	s_delay_alu instid0(VALU_DEP_2) | instskip(NEXT) | instid1(VALU_DEP_1)
	v_clz_i32_u32_e32 v0, v2
	v_min_u32_e32 v0, 32, v0
	s_delay_alu instid0(VALU_DEP_1) | instskip(NEXT) | instid1(VALU_DEP_1)
	v_subrev_nc_u32_e32 v10, 28, v0
	v_lshlrev_b64_e32 v[10:11], v10, v[2:3]
	s_delay_alu instid0(VALU_DEP_1)
	v_dual_sub_nc_u32 v0, 29, v0 :: v_dual_bitop2_b32 v2, 7, v10 bitop3:0x40
; %bb.166:                              ;   in Loop: Header=BB339_9 Depth=1
	s_or_b32 exec_lo, exec_lo, s31
	s_delay_alu instid0(VALU_DEP_1) | instskip(NEXT) | instid1(VALU_DEP_2)
	v_dual_lshlrev_b32 v1, 24, v1 :: v_dual_lshlrev_b32 v2, 20, v2
	v_lshl_add_u32 v0, v0, 23, 0x3c000000
	s_delay_alu instid0(VALU_DEP_2) | instskip(NEXT) | instid1(VALU_DEP_1)
	v_and_b32_e32 v1, 0x80000000, v1
	v_or3_b32 v102, v2, v1, v0
.LBB339_167:                            ;   in Loop: Header=BB339_9 Depth=1
	s_or_b32 exec_lo, exec_lo, s30
.LBB339_168:                            ;   in Loop: Header=BB339_9 Depth=1
	s_delay_alu instid0(SALU_CYCLE_1)
	s_or_b32 exec_lo, exec_lo, s29
.LBB339_169:                            ;   in Loop: Header=BB339_9 Depth=1
	s_delay_alu instid0(SALU_CYCLE_1)
	s_or_b32 exec_lo, exec_lo, s28
	global_load_b32 v0, v[8:9], off offset:520
	v_dual_mov_b32 v105, 0 :: v_dual_mov_b32 v104, 0
	s_mov_b32 s28, exec_lo
	s_wait_loadcnt 0x0
	v_and_b32_e32 v1, 0xff, v0
	s_wait_xcnt 0x0
	s_delay_alu instid0(VALU_DEP_1)
	v_cmpx_ne_u16_e32 0, v1
	s_cbranch_execz .LBB339_177
; %bb.170:                              ;   in Loop: Header=BB339_9 Depth=1
	v_bfrev_b32_e32 v104, 1
	s_mov_b32 s29, exec_lo
	v_cmpx_ne_u16_e32 0x80, v1
	s_cbranch_execz .LBB339_176
; %bb.171:                              ;   in Loop: Header=BB339_9 Depth=1
	v_and_b32_e32 v10, 0x7f, v0
	v_mov_b32_e32 v104, 0x7f800001
	s_mov_b32 s30, exec_lo
	s_delay_alu instid0(VALU_DEP_2)
	v_cmpx_ne_u32_e32 0x7f, v10
	s_cbranch_execz .LBB339_175
; %bb.172:                              ;   in Loop: Header=BB339_9 Depth=1
	v_dual_lshrrev_b32 v1, 3, v10 :: v_dual_bitop2_b32 v2, 7, v0 bitop3:0x40
	s_mov_b32 s31, exec_lo
	v_cmpx_gt_u32_e32 8, v10
; %bb.173:                              ;   in Loop: Header=BB339_9 Depth=1
	s_delay_alu instid0(VALU_DEP_2) | instskip(NEXT) | instid1(VALU_DEP_1)
	v_clz_i32_u32_e32 v1, v2
	v_min_u32_e32 v1, 32, v1
	s_delay_alu instid0(VALU_DEP_1) | instskip(NEXT) | instid1(VALU_DEP_1)
	v_subrev_nc_u32_e32 v10, 28, v1
	v_lshlrev_b64_e32 v[10:11], v10, v[2:3]
	s_delay_alu instid0(VALU_DEP_1)
	v_dual_sub_nc_u32 v1, 29, v1 :: v_dual_bitop2_b32 v2, 7, v10 bitop3:0x40
; %bb.174:                              ;   in Loop: Header=BB339_9 Depth=1
	s_or_b32 exec_lo, exec_lo, s31
	s_delay_alu instid0(VALU_DEP_1) | instskip(NEXT) | instid1(VALU_DEP_2)
	v_dual_lshlrev_b32 v10, 24, v0 :: v_dual_lshlrev_b32 v2, 20, v2
	v_lshl_add_u32 v1, v1, 23, 0x3c000000
	s_delay_alu instid0(VALU_DEP_2) | instskip(NEXT) | instid1(VALU_DEP_1)
	v_and_b32_e32 v10, 0x80000000, v10
	v_or3_b32 v104, v2, v10, v1
.LBB339_175:                            ;   in Loop: Header=BB339_9 Depth=1
	s_or_b32 exec_lo, exec_lo, s30
.LBB339_176:                            ;   in Loop: Header=BB339_9 Depth=1
	s_delay_alu instid0(SALU_CYCLE_1)
	s_or_b32 exec_lo, exec_lo, s29
.LBB339_177:                            ;   in Loop: Header=BB339_9 Depth=1
	s_delay_alu instid0(SALU_CYCLE_1) | instskip(SKIP_2) | instid1(VALU_DEP_1)
	s_or_b32 exec_lo, exec_lo, s28
	v_lshrrev_b16 v1, 8, v0
	s_mov_b32 s28, exec_lo
	v_cmpx_ne_u16_e32 0, v1
	s_cbranch_execz .LBB339_185
; %bb.178:                              ;   in Loop: Header=BB339_9 Depth=1
	v_bfrev_b32_e32 v105, 1
	s_mov_b32 s29, exec_lo
	v_cmpx_ne_u16_e32 0x80, v1
	s_cbranch_execz .LBB339_184
; %bb.179:                              ;   in Loop: Header=BB339_9 Depth=1
	v_and_b32_e32 v1, 0xffff, v1
	v_mov_b32_e32 v105, 0x7f800001
	s_mov_b32 s30, exec_lo
	s_delay_alu instid0(VALU_DEP_2) | instskip(NEXT) | instid1(VALU_DEP_1)
	v_and_b32_e32 v10, 0x7f, v1
	v_cmpx_ne_u32_e32 0x7f, v10
	s_cbranch_execz .LBB339_183
; %bb.180:                              ;   in Loop: Header=BB339_9 Depth=1
	v_dual_lshrrev_b32 v1, 3, v10 :: v_dual_bitop2_b32 v2, 7, v1 bitop3:0x40
	s_mov_b32 s31, exec_lo
	v_cmpx_gt_u32_e32 8, v10
; %bb.181:                              ;   in Loop: Header=BB339_9 Depth=1
	s_delay_alu instid0(VALU_DEP_2) | instskip(NEXT) | instid1(VALU_DEP_1)
	v_clz_i32_u32_e32 v1, v2
	v_min_u32_e32 v1, 32, v1
	s_delay_alu instid0(VALU_DEP_1) | instskip(NEXT) | instid1(VALU_DEP_1)
	v_subrev_nc_u32_e32 v10, 28, v1
	v_lshlrev_b64_e32 v[10:11], v10, v[2:3]
	s_delay_alu instid0(VALU_DEP_1)
	v_dual_sub_nc_u32 v1, 29, v1 :: v_dual_bitop2_b32 v2, 7, v10 bitop3:0x40
; %bb.182:                              ;   in Loop: Header=BB339_9 Depth=1
	s_or_b32 exec_lo, exec_lo, s31
	s_delay_alu instid0(VALU_DEP_1) | instskip(NEXT) | instid1(VALU_DEP_2)
	v_dual_lshlrev_b32 v10, 16, v0 :: v_dual_lshlrev_b32 v2, 20, v2
	v_lshl_add_u32 v1, v1, 23, 0x3c000000
	s_delay_alu instid0(VALU_DEP_2) | instskip(NEXT) | instid1(VALU_DEP_1)
	v_and_b32_e32 v10, 0x80000000, v10
	v_or3_b32 v105, v2, v10, v1
.LBB339_183:                            ;   in Loop: Header=BB339_9 Depth=1
	s_or_b32 exec_lo, exec_lo, s30
.LBB339_184:                            ;   in Loop: Header=BB339_9 Depth=1
	s_delay_alu instid0(SALU_CYCLE_1)
	s_or_b32 exec_lo, exec_lo, s29
.LBB339_185:                            ;   in Loop: Header=BB339_9 Depth=1
	s_delay_alu instid0(SALU_CYCLE_1) | instskip(SKIP_3) | instid1(VALU_DEP_2)
	s_or_b32 exec_lo, exec_lo, s28
	v_dual_mov_b32 v106, 0 :: v_dual_lshrrev_b32 v1, 16, v0
	v_mov_b32_e32 v107, 0
	s_mov_b32 s28, exec_lo
	v_and_b32_e32 v2, 0xff, v1
	s_delay_alu instid0(VALU_DEP_1)
	v_cmpx_ne_u16_e32 0, v2
	s_cbranch_execz .LBB339_193
; %bb.186:                              ;   in Loop: Header=BB339_9 Depth=1
	v_bfrev_b32_e32 v107, 1
	s_mov_b32 s29, exec_lo
	v_cmpx_ne_u16_e32 0x80, v2
	s_cbranch_execz .LBB339_192
; %bb.187:                              ;   in Loop: Header=BB339_9 Depth=1
	v_bfe_u32 v11, v0, 16, 7
	v_mov_b32_e32 v107, 0x7f800001
	s_mov_b32 s30, exec_lo
	s_delay_alu instid0(VALU_DEP_2)
	v_cmpx_ne_u32_e32 0x7f, v11
	s_cbranch_execz .LBB339_191
; %bb.188:                              ;   in Loop: Header=BB339_9 Depth=1
	v_dual_lshrrev_b32 v10, 3, v11 :: v_dual_bitop2_b32 v2, 7, v1 bitop3:0x40
	s_mov_b32 s31, exec_lo
	v_cmpx_gt_u32_e32 8, v11
; %bb.189:                              ;   in Loop: Header=BB339_9 Depth=1
	s_delay_alu instid0(VALU_DEP_2) | instskip(NEXT) | instid1(VALU_DEP_1)
	v_clz_i32_u32_e32 v10, v2
	v_min_u32_e32 v10, 32, v10
	s_delay_alu instid0(VALU_DEP_1) | instskip(NEXT) | instid1(VALU_DEP_1)
	v_subrev_nc_u32_e32 v11, 28, v10
	v_lshlrev_b64_e32 v[12:13], v11, v[2:3]
	s_delay_alu instid0(VALU_DEP_1)
	v_dual_sub_nc_u32 v10, 29, v10 :: v_dual_bitop2_b32 v2, 7, v12 bitop3:0x40
; %bb.190:                              ;   in Loop: Header=BB339_9 Depth=1
	s_or_b32 exec_lo, exec_lo, s31
	s_delay_alu instid0(VALU_DEP_1) | instskip(NEXT) | instid1(VALU_DEP_2)
	v_dual_lshlrev_b32 v1, 24, v1 :: v_dual_lshlrev_b32 v2, 20, v2
	v_lshl_add_u32 v10, v10, 23, 0x3c000000
	s_delay_alu instid0(VALU_DEP_2) | instskip(NEXT) | instid1(VALU_DEP_1)
	v_and_b32_e32 v1, 0x80000000, v1
	v_or3_b32 v107, v2, v1, v10
.LBB339_191:                            ;   in Loop: Header=BB339_9 Depth=1
	s_or_b32 exec_lo, exec_lo, s30
.LBB339_192:                            ;   in Loop: Header=BB339_9 Depth=1
	s_delay_alu instid0(SALU_CYCLE_1)
	s_or_b32 exec_lo, exec_lo, s29
.LBB339_193:                            ;   in Loop: Header=BB339_9 Depth=1
	s_delay_alu instid0(SALU_CYCLE_1) | instskip(NEXT) | instid1(SALU_CYCLE_1)
	s_or_b32 exec_lo, exec_lo, s28
	s_mov_b32 s28, exec_lo
	v_cmpx_lt_u32_e32 0xffffff, v0
	s_cbranch_execz .LBB339_201
; %bb.194:                              ;   in Loop: Header=BB339_9 Depth=1
	v_lshrrev_b32_e32 v1, 24, v0
	v_bfrev_b32_e32 v106, 1
	s_mov_b32 s29, exec_lo
	s_delay_alu instid0(VALU_DEP_2)
	v_cmpx_ne_u32_e32 0x80, v1
	s_cbranch_execz .LBB339_200
; %bb.195:                              ;   in Loop: Header=BB339_9 Depth=1
	v_bfe_u32 v10, v0, 24, 7
	v_mov_b32_e32 v106, 0x7f800001
	s_mov_b32 s30, exec_lo
	s_delay_alu instid0(VALU_DEP_2)
	v_cmpx_ne_u32_e32 0x7f, v10
	s_cbranch_execz .LBB339_199
; %bb.196:                              ;   in Loop: Header=BB339_9 Depth=1
	v_dual_lshrrev_b32 v0, 3, v10 :: v_dual_bitop2_b32 v2, 7, v1 bitop3:0x40
	s_mov_b32 s31, exec_lo
	v_cmpx_gt_u32_e32 8, v10
; %bb.197:                              ;   in Loop: Header=BB339_9 Depth=1
	s_delay_alu instid0(VALU_DEP_2) | instskip(NEXT) | instid1(VALU_DEP_1)
	v_clz_i32_u32_e32 v0, v2
	v_min_u32_e32 v0, 32, v0
	s_delay_alu instid0(VALU_DEP_1) | instskip(NEXT) | instid1(VALU_DEP_1)
	v_subrev_nc_u32_e32 v10, 28, v0
	v_lshlrev_b64_e32 v[10:11], v10, v[2:3]
	s_delay_alu instid0(VALU_DEP_1)
	v_dual_sub_nc_u32 v0, 29, v0 :: v_dual_bitop2_b32 v2, 7, v10 bitop3:0x40
; %bb.198:                              ;   in Loop: Header=BB339_9 Depth=1
	s_or_b32 exec_lo, exec_lo, s31
	s_delay_alu instid0(VALU_DEP_1) | instskip(NEXT) | instid1(VALU_DEP_2)
	v_dual_lshlrev_b32 v1, 24, v1 :: v_dual_lshlrev_b32 v2, 20, v2
	v_lshl_add_u32 v0, v0, 23, 0x3c000000
	s_delay_alu instid0(VALU_DEP_2) | instskip(NEXT) | instid1(VALU_DEP_1)
	v_and_b32_e32 v1, 0x80000000, v1
	v_or3_b32 v106, v2, v1, v0
.LBB339_199:                            ;   in Loop: Header=BB339_9 Depth=1
	s_or_b32 exec_lo, exec_lo, s30
.LBB339_200:                            ;   in Loop: Header=BB339_9 Depth=1
	s_delay_alu instid0(SALU_CYCLE_1)
	s_or_b32 exec_lo, exec_lo, s29
.LBB339_201:                            ;   in Loop: Header=BB339_9 Depth=1
	s_delay_alu instid0(SALU_CYCLE_1)
	s_or_b32 exec_lo, exec_lo, s28
	global_load_b32 v0, v[8:9], off offset:768
	v_dual_mov_b32 v109, 0 :: v_dual_mov_b32 v108, 0
	s_mov_b32 s28, exec_lo
	s_wait_loadcnt 0x0
	v_and_b32_e32 v1, 0xff, v0
	s_wait_xcnt 0x0
	s_delay_alu instid0(VALU_DEP_1)
	v_cmpx_ne_u16_e32 0, v1
	s_cbranch_execz .LBB339_209
; %bb.202:                              ;   in Loop: Header=BB339_9 Depth=1
	v_bfrev_b32_e32 v108, 1
	s_mov_b32 s29, exec_lo
	v_cmpx_ne_u16_e32 0x80, v1
	s_cbranch_execz .LBB339_208
; %bb.203:                              ;   in Loop: Header=BB339_9 Depth=1
	v_and_b32_e32 v10, 0x7f, v0
	v_mov_b32_e32 v108, 0x7f800001
	s_mov_b32 s30, exec_lo
	s_delay_alu instid0(VALU_DEP_2)
	v_cmpx_ne_u32_e32 0x7f, v10
	s_cbranch_execz .LBB339_207
; %bb.204:                              ;   in Loop: Header=BB339_9 Depth=1
	v_dual_lshrrev_b32 v1, 3, v10 :: v_dual_bitop2_b32 v2, 7, v0 bitop3:0x40
	s_mov_b32 s31, exec_lo
	v_cmpx_gt_u32_e32 8, v10
; %bb.205:                              ;   in Loop: Header=BB339_9 Depth=1
	s_delay_alu instid0(VALU_DEP_2) | instskip(NEXT) | instid1(VALU_DEP_1)
	v_clz_i32_u32_e32 v1, v2
	v_min_u32_e32 v1, 32, v1
	s_delay_alu instid0(VALU_DEP_1) | instskip(NEXT) | instid1(VALU_DEP_1)
	v_subrev_nc_u32_e32 v10, 28, v1
	v_lshlrev_b64_e32 v[10:11], v10, v[2:3]
	s_delay_alu instid0(VALU_DEP_1)
	v_dual_sub_nc_u32 v1, 29, v1 :: v_dual_bitop2_b32 v2, 7, v10 bitop3:0x40
; %bb.206:                              ;   in Loop: Header=BB339_9 Depth=1
	s_or_b32 exec_lo, exec_lo, s31
	s_delay_alu instid0(VALU_DEP_1) | instskip(NEXT) | instid1(VALU_DEP_2)
	v_dual_lshlrev_b32 v10, 24, v0 :: v_dual_lshlrev_b32 v2, 20, v2
	v_lshl_add_u32 v1, v1, 23, 0x3c000000
	s_delay_alu instid0(VALU_DEP_2) | instskip(NEXT) | instid1(VALU_DEP_1)
	v_and_b32_e32 v10, 0x80000000, v10
	v_or3_b32 v108, v2, v10, v1
.LBB339_207:                            ;   in Loop: Header=BB339_9 Depth=1
	s_or_b32 exec_lo, exec_lo, s30
.LBB339_208:                            ;   in Loop: Header=BB339_9 Depth=1
	s_delay_alu instid0(SALU_CYCLE_1)
	s_or_b32 exec_lo, exec_lo, s29
.LBB339_209:                            ;   in Loop: Header=BB339_9 Depth=1
	s_delay_alu instid0(SALU_CYCLE_1) | instskip(SKIP_2) | instid1(VALU_DEP_1)
	s_or_b32 exec_lo, exec_lo, s28
	v_lshrrev_b16 v1, 8, v0
	s_mov_b32 s28, exec_lo
	v_cmpx_ne_u16_e32 0, v1
	s_cbranch_execz .LBB339_217
; %bb.210:                              ;   in Loop: Header=BB339_9 Depth=1
	v_bfrev_b32_e32 v109, 1
	s_mov_b32 s29, exec_lo
	v_cmpx_ne_u16_e32 0x80, v1
	s_cbranch_execz .LBB339_216
; %bb.211:                              ;   in Loop: Header=BB339_9 Depth=1
	v_and_b32_e32 v1, 0xffff, v1
	v_mov_b32_e32 v109, 0x7f800001
	s_mov_b32 s30, exec_lo
	s_delay_alu instid0(VALU_DEP_2) | instskip(NEXT) | instid1(VALU_DEP_1)
	v_and_b32_e32 v10, 0x7f, v1
	v_cmpx_ne_u32_e32 0x7f, v10
	s_cbranch_execz .LBB339_215
; %bb.212:                              ;   in Loop: Header=BB339_9 Depth=1
	v_dual_lshrrev_b32 v1, 3, v10 :: v_dual_bitop2_b32 v2, 7, v1 bitop3:0x40
	s_mov_b32 s31, exec_lo
	v_cmpx_gt_u32_e32 8, v10
; %bb.213:                              ;   in Loop: Header=BB339_9 Depth=1
	s_delay_alu instid0(VALU_DEP_2) | instskip(NEXT) | instid1(VALU_DEP_1)
	v_clz_i32_u32_e32 v1, v2
	v_min_u32_e32 v1, 32, v1
	s_delay_alu instid0(VALU_DEP_1) | instskip(NEXT) | instid1(VALU_DEP_1)
	v_subrev_nc_u32_e32 v10, 28, v1
	v_lshlrev_b64_e32 v[10:11], v10, v[2:3]
	s_delay_alu instid0(VALU_DEP_1)
	v_dual_sub_nc_u32 v1, 29, v1 :: v_dual_bitop2_b32 v2, 7, v10 bitop3:0x40
; %bb.214:                              ;   in Loop: Header=BB339_9 Depth=1
	s_or_b32 exec_lo, exec_lo, s31
	s_delay_alu instid0(VALU_DEP_1) | instskip(NEXT) | instid1(VALU_DEP_2)
	v_dual_lshlrev_b32 v10, 16, v0 :: v_dual_lshlrev_b32 v2, 20, v2
	v_lshl_add_u32 v1, v1, 23, 0x3c000000
	s_delay_alu instid0(VALU_DEP_2) | instskip(NEXT) | instid1(VALU_DEP_1)
	v_and_b32_e32 v10, 0x80000000, v10
	v_or3_b32 v109, v2, v10, v1
.LBB339_215:                            ;   in Loop: Header=BB339_9 Depth=1
	s_or_b32 exec_lo, exec_lo, s30
.LBB339_216:                            ;   in Loop: Header=BB339_9 Depth=1
	s_delay_alu instid0(SALU_CYCLE_1)
	s_or_b32 exec_lo, exec_lo, s29
.LBB339_217:                            ;   in Loop: Header=BB339_9 Depth=1
	s_delay_alu instid0(SALU_CYCLE_1) | instskip(SKIP_3) | instid1(VALU_DEP_2)
	s_or_b32 exec_lo, exec_lo, s28
	v_dual_mov_b32 v110, 0 :: v_dual_lshrrev_b32 v1, 16, v0
	v_mov_b32_e32 v111, 0
	s_mov_b32 s28, exec_lo
	v_and_b32_e32 v2, 0xff, v1
	s_delay_alu instid0(VALU_DEP_1)
	v_cmpx_ne_u16_e32 0, v2
	s_cbranch_execz .LBB339_225
; %bb.218:                              ;   in Loop: Header=BB339_9 Depth=1
	v_bfrev_b32_e32 v111, 1
	s_mov_b32 s29, exec_lo
	v_cmpx_ne_u16_e32 0x80, v2
	s_cbranch_execz .LBB339_224
; %bb.219:                              ;   in Loop: Header=BB339_9 Depth=1
	v_bfe_u32 v11, v0, 16, 7
	v_mov_b32_e32 v111, 0x7f800001
	s_mov_b32 s30, exec_lo
	s_delay_alu instid0(VALU_DEP_2)
	v_cmpx_ne_u32_e32 0x7f, v11
	s_cbranch_execz .LBB339_223
; %bb.220:                              ;   in Loop: Header=BB339_9 Depth=1
	v_dual_lshrrev_b32 v10, 3, v11 :: v_dual_bitop2_b32 v2, 7, v1 bitop3:0x40
	s_mov_b32 s31, exec_lo
	v_cmpx_gt_u32_e32 8, v11
; %bb.221:                              ;   in Loop: Header=BB339_9 Depth=1
	s_delay_alu instid0(VALU_DEP_2) | instskip(NEXT) | instid1(VALU_DEP_1)
	v_clz_i32_u32_e32 v10, v2
	v_min_u32_e32 v10, 32, v10
	s_delay_alu instid0(VALU_DEP_1) | instskip(NEXT) | instid1(VALU_DEP_1)
	v_subrev_nc_u32_e32 v11, 28, v10
	v_lshlrev_b64_e32 v[12:13], v11, v[2:3]
	s_delay_alu instid0(VALU_DEP_1)
	v_dual_sub_nc_u32 v10, 29, v10 :: v_dual_bitop2_b32 v2, 7, v12 bitop3:0x40
; %bb.222:                              ;   in Loop: Header=BB339_9 Depth=1
	s_or_b32 exec_lo, exec_lo, s31
	s_delay_alu instid0(VALU_DEP_1) | instskip(NEXT) | instid1(VALU_DEP_2)
	v_dual_lshlrev_b32 v1, 24, v1 :: v_dual_lshlrev_b32 v2, 20, v2
	v_lshl_add_u32 v10, v10, 23, 0x3c000000
	s_delay_alu instid0(VALU_DEP_2) | instskip(NEXT) | instid1(VALU_DEP_1)
	v_and_b32_e32 v1, 0x80000000, v1
	v_or3_b32 v111, v2, v1, v10
.LBB339_223:                            ;   in Loop: Header=BB339_9 Depth=1
	s_or_b32 exec_lo, exec_lo, s30
.LBB339_224:                            ;   in Loop: Header=BB339_9 Depth=1
	s_delay_alu instid0(SALU_CYCLE_1)
	s_or_b32 exec_lo, exec_lo, s29
.LBB339_225:                            ;   in Loop: Header=BB339_9 Depth=1
	s_delay_alu instid0(SALU_CYCLE_1) | instskip(NEXT) | instid1(SALU_CYCLE_1)
	s_or_b32 exec_lo, exec_lo, s28
	s_mov_b32 s28, exec_lo
	v_cmpx_lt_u32_e32 0xffffff, v0
	s_cbranch_execz .LBB339_233
; %bb.226:                              ;   in Loop: Header=BB339_9 Depth=1
	v_lshrrev_b32_e32 v1, 24, v0
	v_bfrev_b32_e32 v110, 1
	s_mov_b32 s29, exec_lo
	s_delay_alu instid0(VALU_DEP_2)
	v_cmpx_ne_u32_e32 0x80, v1
	s_cbranch_execz .LBB339_232
; %bb.227:                              ;   in Loop: Header=BB339_9 Depth=1
	v_bfe_u32 v10, v0, 24, 7
	v_mov_b32_e32 v110, 0x7f800001
	s_mov_b32 s30, exec_lo
	s_delay_alu instid0(VALU_DEP_2)
	v_cmpx_ne_u32_e32 0x7f, v10
	s_cbranch_execz .LBB339_231
; %bb.228:                              ;   in Loop: Header=BB339_9 Depth=1
	v_dual_lshrrev_b32 v0, 3, v10 :: v_dual_bitop2_b32 v2, 7, v1 bitop3:0x40
	s_mov_b32 s31, exec_lo
	v_cmpx_gt_u32_e32 8, v10
; %bb.229:                              ;   in Loop: Header=BB339_9 Depth=1
	s_delay_alu instid0(VALU_DEP_2) | instskip(NEXT) | instid1(VALU_DEP_1)
	v_clz_i32_u32_e32 v0, v2
	v_min_u32_e32 v0, 32, v0
	s_delay_alu instid0(VALU_DEP_1) | instskip(NEXT) | instid1(VALU_DEP_1)
	v_subrev_nc_u32_e32 v10, 28, v0
	v_lshlrev_b64_e32 v[10:11], v10, v[2:3]
	s_delay_alu instid0(VALU_DEP_1)
	v_dual_sub_nc_u32 v0, 29, v0 :: v_dual_bitop2_b32 v2, 7, v10 bitop3:0x40
; %bb.230:                              ;   in Loop: Header=BB339_9 Depth=1
	s_or_b32 exec_lo, exec_lo, s31
	s_delay_alu instid0(VALU_DEP_1) | instskip(NEXT) | instid1(VALU_DEP_2)
	v_dual_lshlrev_b32 v1, 24, v1 :: v_dual_lshlrev_b32 v2, 20, v2
	v_lshl_add_u32 v0, v0, 23, 0x3c000000
	s_delay_alu instid0(VALU_DEP_2) | instskip(NEXT) | instid1(VALU_DEP_1)
	v_and_b32_e32 v1, 0x80000000, v1
	v_or3_b32 v110, v2, v1, v0
.LBB339_231:                            ;   in Loop: Header=BB339_9 Depth=1
	s_or_b32 exec_lo, exec_lo, s30
.LBB339_232:                            ;   in Loop: Header=BB339_9 Depth=1
	s_delay_alu instid0(SALU_CYCLE_1)
	s_or_b32 exec_lo, exec_lo, s29
.LBB339_233:                            ;   in Loop: Header=BB339_9 Depth=1
	s_delay_alu instid0(SALU_CYCLE_1)
	s_or_b32 exec_lo, exec_lo, s28
	global_load_b32 v0, v[8:9], off offset:776
	v_dual_mov_b32 v113, 0 :: v_dual_mov_b32 v112, 0
	s_mov_b32 s28, exec_lo
	s_wait_loadcnt 0x0
	v_and_b32_e32 v1, 0xff, v0
	s_wait_xcnt 0x0
	s_delay_alu instid0(VALU_DEP_1)
	v_cmpx_ne_u16_e32 0, v1
	s_cbranch_execz .LBB339_241
; %bb.234:                              ;   in Loop: Header=BB339_9 Depth=1
	v_bfrev_b32_e32 v112, 1
	s_mov_b32 s29, exec_lo
	v_cmpx_ne_u16_e32 0x80, v1
	s_cbranch_execz .LBB339_240
; %bb.235:                              ;   in Loop: Header=BB339_9 Depth=1
	v_and_b32_e32 v10, 0x7f, v0
	v_mov_b32_e32 v112, 0x7f800001
	s_mov_b32 s30, exec_lo
	s_delay_alu instid0(VALU_DEP_2)
	v_cmpx_ne_u32_e32 0x7f, v10
	s_cbranch_execz .LBB339_239
; %bb.236:                              ;   in Loop: Header=BB339_9 Depth=1
	v_dual_lshrrev_b32 v1, 3, v10 :: v_dual_bitop2_b32 v2, 7, v0 bitop3:0x40
	s_mov_b32 s31, exec_lo
	v_cmpx_gt_u32_e32 8, v10
; %bb.237:                              ;   in Loop: Header=BB339_9 Depth=1
	s_delay_alu instid0(VALU_DEP_2) | instskip(NEXT) | instid1(VALU_DEP_1)
	v_clz_i32_u32_e32 v1, v2
	v_min_u32_e32 v1, 32, v1
	s_delay_alu instid0(VALU_DEP_1) | instskip(NEXT) | instid1(VALU_DEP_1)
	v_subrev_nc_u32_e32 v10, 28, v1
	v_lshlrev_b64_e32 v[10:11], v10, v[2:3]
	s_delay_alu instid0(VALU_DEP_1)
	v_dual_sub_nc_u32 v1, 29, v1 :: v_dual_bitop2_b32 v2, 7, v10 bitop3:0x40
; %bb.238:                              ;   in Loop: Header=BB339_9 Depth=1
	s_or_b32 exec_lo, exec_lo, s31
	s_delay_alu instid0(VALU_DEP_1) | instskip(NEXT) | instid1(VALU_DEP_2)
	v_dual_lshlrev_b32 v10, 24, v0 :: v_dual_lshlrev_b32 v2, 20, v2
	v_lshl_add_u32 v1, v1, 23, 0x3c000000
	s_delay_alu instid0(VALU_DEP_2) | instskip(NEXT) | instid1(VALU_DEP_1)
	v_and_b32_e32 v10, 0x80000000, v10
	v_or3_b32 v112, v2, v10, v1
.LBB339_239:                            ;   in Loop: Header=BB339_9 Depth=1
	s_or_b32 exec_lo, exec_lo, s30
.LBB339_240:                            ;   in Loop: Header=BB339_9 Depth=1
	s_delay_alu instid0(SALU_CYCLE_1)
	s_or_b32 exec_lo, exec_lo, s29
.LBB339_241:                            ;   in Loop: Header=BB339_9 Depth=1
	s_delay_alu instid0(SALU_CYCLE_1) | instskip(SKIP_2) | instid1(VALU_DEP_1)
	s_or_b32 exec_lo, exec_lo, s28
	v_lshrrev_b16 v1, 8, v0
	s_mov_b32 s28, exec_lo
	v_cmpx_ne_u16_e32 0, v1
	s_cbranch_execz .LBB339_249
; %bb.242:                              ;   in Loop: Header=BB339_9 Depth=1
	v_bfrev_b32_e32 v113, 1
	s_mov_b32 s29, exec_lo
	v_cmpx_ne_u16_e32 0x80, v1
	s_cbranch_execz .LBB339_248
; %bb.243:                              ;   in Loop: Header=BB339_9 Depth=1
	v_and_b32_e32 v1, 0xffff, v1
	v_mov_b32_e32 v113, 0x7f800001
	s_mov_b32 s30, exec_lo
	s_delay_alu instid0(VALU_DEP_2) | instskip(NEXT) | instid1(VALU_DEP_1)
	v_and_b32_e32 v10, 0x7f, v1
	v_cmpx_ne_u32_e32 0x7f, v10
	s_cbranch_execz .LBB339_247
; %bb.244:                              ;   in Loop: Header=BB339_9 Depth=1
	v_dual_lshrrev_b32 v1, 3, v10 :: v_dual_bitop2_b32 v2, 7, v1 bitop3:0x40
	s_mov_b32 s31, exec_lo
	v_cmpx_gt_u32_e32 8, v10
; %bb.245:                              ;   in Loop: Header=BB339_9 Depth=1
	s_delay_alu instid0(VALU_DEP_2) | instskip(NEXT) | instid1(VALU_DEP_1)
	v_clz_i32_u32_e32 v1, v2
	v_min_u32_e32 v1, 32, v1
	s_delay_alu instid0(VALU_DEP_1) | instskip(NEXT) | instid1(VALU_DEP_1)
	v_subrev_nc_u32_e32 v10, 28, v1
	v_lshlrev_b64_e32 v[10:11], v10, v[2:3]
	s_delay_alu instid0(VALU_DEP_1)
	v_dual_sub_nc_u32 v1, 29, v1 :: v_dual_bitop2_b32 v2, 7, v10 bitop3:0x40
; %bb.246:                              ;   in Loop: Header=BB339_9 Depth=1
	s_or_b32 exec_lo, exec_lo, s31
	s_delay_alu instid0(VALU_DEP_1) | instskip(NEXT) | instid1(VALU_DEP_2)
	v_dual_lshlrev_b32 v10, 16, v0 :: v_dual_lshlrev_b32 v2, 20, v2
	v_lshl_add_u32 v1, v1, 23, 0x3c000000
	s_delay_alu instid0(VALU_DEP_2) | instskip(NEXT) | instid1(VALU_DEP_1)
	v_and_b32_e32 v10, 0x80000000, v10
	v_or3_b32 v113, v2, v10, v1
.LBB339_247:                            ;   in Loop: Header=BB339_9 Depth=1
	s_or_b32 exec_lo, exec_lo, s30
.LBB339_248:                            ;   in Loop: Header=BB339_9 Depth=1
	s_delay_alu instid0(SALU_CYCLE_1)
	s_or_b32 exec_lo, exec_lo, s29
.LBB339_249:                            ;   in Loop: Header=BB339_9 Depth=1
	s_delay_alu instid0(SALU_CYCLE_1) | instskip(SKIP_3) | instid1(VALU_DEP_2)
	s_or_b32 exec_lo, exec_lo, s28
	v_dual_mov_b32 v114, 0 :: v_dual_lshrrev_b32 v1, 16, v0
	v_mov_b32_e32 v115, 0
	s_mov_b32 s28, exec_lo
	v_and_b32_e32 v2, 0xff, v1
	s_delay_alu instid0(VALU_DEP_1)
	v_cmpx_ne_u16_e32 0, v2
	s_cbranch_execz .LBB339_257
; %bb.250:                              ;   in Loop: Header=BB339_9 Depth=1
	v_bfrev_b32_e32 v115, 1
	s_mov_b32 s29, exec_lo
	v_cmpx_ne_u16_e32 0x80, v2
	s_cbranch_execz .LBB339_256
; %bb.251:                              ;   in Loop: Header=BB339_9 Depth=1
	v_bfe_u32 v11, v0, 16, 7
	v_mov_b32_e32 v115, 0x7f800001
	s_mov_b32 s30, exec_lo
	s_delay_alu instid0(VALU_DEP_2)
	v_cmpx_ne_u32_e32 0x7f, v11
	s_cbranch_execz .LBB339_255
; %bb.252:                              ;   in Loop: Header=BB339_9 Depth=1
	v_dual_lshrrev_b32 v10, 3, v11 :: v_dual_bitop2_b32 v2, 7, v1 bitop3:0x40
	s_mov_b32 s31, exec_lo
	v_cmpx_gt_u32_e32 8, v11
; %bb.253:                              ;   in Loop: Header=BB339_9 Depth=1
	s_delay_alu instid0(VALU_DEP_2) | instskip(NEXT) | instid1(VALU_DEP_1)
	v_clz_i32_u32_e32 v10, v2
	v_min_u32_e32 v10, 32, v10
	s_delay_alu instid0(VALU_DEP_1) | instskip(NEXT) | instid1(VALU_DEP_1)
	v_subrev_nc_u32_e32 v11, 28, v10
	v_lshlrev_b64_e32 v[12:13], v11, v[2:3]
	s_delay_alu instid0(VALU_DEP_1)
	v_dual_sub_nc_u32 v10, 29, v10 :: v_dual_bitop2_b32 v2, 7, v12 bitop3:0x40
; %bb.254:                              ;   in Loop: Header=BB339_9 Depth=1
	s_or_b32 exec_lo, exec_lo, s31
	s_delay_alu instid0(VALU_DEP_1) | instskip(NEXT) | instid1(VALU_DEP_2)
	v_dual_lshlrev_b32 v1, 24, v1 :: v_dual_lshlrev_b32 v2, 20, v2
	v_lshl_add_u32 v10, v10, 23, 0x3c000000
	s_delay_alu instid0(VALU_DEP_2) | instskip(NEXT) | instid1(VALU_DEP_1)
	v_and_b32_e32 v1, 0x80000000, v1
	v_or3_b32 v115, v2, v1, v10
.LBB339_255:                            ;   in Loop: Header=BB339_9 Depth=1
	s_or_b32 exec_lo, exec_lo, s30
.LBB339_256:                            ;   in Loop: Header=BB339_9 Depth=1
	s_delay_alu instid0(SALU_CYCLE_1)
	s_or_b32 exec_lo, exec_lo, s29
.LBB339_257:                            ;   in Loop: Header=BB339_9 Depth=1
	s_delay_alu instid0(SALU_CYCLE_1) | instskip(NEXT) | instid1(SALU_CYCLE_1)
	s_or_b32 exec_lo, exec_lo, s28
	s_mov_b32 s28, exec_lo
	v_cmpx_lt_u32_e32 0xffffff, v0
	s_cbranch_execz .LBB339_265
; %bb.258:                              ;   in Loop: Header=BB339_9 Depth=1
	v_lshrrev_b32_e32 v1, 24, v0
	v_bfrev_b32_e32 v114, 1
	s_mov_b32 s29, exec_lo
	s_delay_alu instid0(VALU_DEP_2)
	v_cmpx_ne_u32_e32 0x80, v1
	s_cbranch_execz .LBB339_264
; %bb.259:                              ;   in Loop: Header=BB339_9 Depth=1
	v_bfe_u32 v10, v0, 24, 7
	v_mov_b32_e32 v114, 0x7f800001
	s_mov_b32 s30, exec_lo
	s_delay_alu instid0(VALU_DEP_2)
	v_cmpx_ne_u32_e32 0x7f, v10
	s_cbranch_execz .LBB339_263
; %bb.260:                              ;   in Loop: Header=BB339_9 Depth=1
	v_dual_lshrrev_b32 v0, 3, v10 :: v_dual_bitop2_b32 v2, 7, v1 bitop3:0x40
	s_mov_b32 s31, exec_lo
	v_cmpx_gt_u32_e32 8, v10
; %bb.261:                              ;   in Loop: Header=BB339_9 Depth=1
	s_delay_alu instid0(VALU_DEP_2) | instskip(NEXT) | instid1(VALU_DEP_1)
	v_clz_i32_u32_e32 v0, v2
	v_min_u32_e32 v0, 32, v0
	s_delay_alu instid0(VALU_DEP_1) | instskip(NEXT) | instid1(VALU_DEP_1)
	v_subrev_nc_u32_e32 v10, 28, v0
	v_lshlrev_b64_e32 v[10:11], v10, v[2:3]
	s_delay_alu instid0(VALU_DEP_1)
	v_dual_sub_nc_u32 v0, 29, v0 :: v_dual_bitop2_b32 v2, 7, v10 bitop3:0x40
; %bb.262:                              ;   in Loop: Header=BB339_9 Depth=1
	s_or_b32 exec_lo, exec_lo, s31
	s_delay_alu instid0(VALU_DEP_1) | instskip(NEXT) | instid1(VALU_DEP_2)
	v_dual_lshlrev_b32 v1, 24, v1 :: v_dual_lshlrev_b32 v2, 20, v2
	v_lshl_add_u32 v0, v0, 23, 0x3c000000
	s_delay_alu instid0(VALU_DEP_2) | instskip(NEXT) | instid1(VALU_DEP_1)
	v_and_b32_e32 v1, 0x80000000, v1
	v_or3_b32 v114, v2, v1, v0
.LBB339_263:                            ;   in Loop: Header=BB339_9 Depth=1
	s_or_b32 exec_lo, exec_lo, s30
.LBB339_264:                            ;   in Loop: Header=BB339_9 Depth=1
	s_delay_alu instid0(SALU_CYCLE_1)
	s_or_b32 exec_lo, exec_lo, s29
.LBB339_265:                            ;   in Loop: Header=BB339_9 Depth=1
	s_delay_alu instid0(SALU_CYCLE_1)
	s_or_b32 exec_lo, exec_lo, s28
	global_load_b32 v0, v[8:9], off offset:1024
	v_dual_mov_b32 v117, 0 :: v_dual_mov_b32 v116, 0
	s_mov_b32 s28, exec_lo
	s_wait_loadcnt 0x0
	v_and_b32_e32 v1, 0xff, v0
	s_wait_xcnt 0x0
	s_delay_alu instid0(VALU_DEP_1)
	v_cmpx_ne_u16_e32 0, v1
	s_cbranch_execz .LBB339_273
; %bb.266:                              ;   in Loop: Header=BB339_9 Depth=1
	v_bfrev_b32_e32 v116, 1
	s_mov_b32 s29, exec_lo
	v_cmpx_ne_u16_e32 0x80, v1
	s_cbranch_execz .LBB339_272
; %bb.267:                              ;   in Loop: Header=BB339_9 Depth=1
	v_and_b32_e32 v10, 0x7f, v0
	v_mov_b32_e32 v116, 0x7f800001
	s_mov_b32 s30, exec_lo
	s_delay_alu instid0(VALU_DEP_2)
	v_cmpx_ne_u32_e32 0x7f, v10
	s_cbranch_execz .LBB339_271
; %bb.268:                              ;   in Loop: Header=BB339_9 Depth=1
	v_dual_lshrrev_b32 v1, 3, v10 :: v_dual_bitop2_b32 v2, 7, v0 bitop3:0x40
	s_mov_b32 s31, exec_lo
	v_cmpx_gt_u32_e32 8, v10
; %bb.269:                              ;   in Loop: Header=BB339_9 Depth=1
	s_delay_alu instid0(VALU_DEP_2) | instskip(NEXT) | instid1(VALU_DEP_1)
	v_clz_i32_u32_e32 v1, v2
	v_min_u32_e32 v1, 32, v1
	s_delay_alu instid0(VALU_DEP_1) | instskip(NEXT) | instid1(VALU_DEP_1)
	v_subrev_nc_u32_e32 v10, 28, v1
	v_lshlrev_b64_e32 v[10:11], v10, v[2:3]
	s_delay_alu instid0(VALU_DEP_1)
	v_dual_sub_nc_u32 v1, 29, v1 :: v_dual_bitop2_b32 v2, 7, v10 bitop3:0x40
; %bb.270:                              ;   in Loop: Header=BB339_9 Depth=1
	s_or_b32 exec_lo, exec_lo, s31
	s_delay_alu instid0(VALU_DEP_1) | instskip(NEXT) | instid1(VALU_DEP_2)
	v_dual_lshlrev_b32 v10, 24, v0 :: v_dual_lshlrev_b32 v2, 20, v2
	v_lshl_add_u32 v1, v1, 23, 0x3c000000
	s_delay_alu instid0(VALU_DEP_2) | instskip(NEXT) | instid1(VALU_DEP_1)
	v_and_b32_e32 v10, 0x80000000, v10
	v_or3_b32 v116, v2, v10, v1
.LBB339_271:                            ;   in Loop: Header=BB339_9 Depth=1
	s_or_b32 exec_lo, exec_lo, s30
.LBB339_272:                            ;   in Loop: Header=BB339_9 Depth=1
	s_delay_alu instid0(SALU_CYCLE_1)
	s_or_b32 exec_lo, exec_lo, s29
.LBB339_273:                            ;   in Loop: Header=BB339_9 Depth=1
	s_delay_alu instid0(SALU_CYCLE_1) | instskip(SKIP_2) | instid1(VALU_DEP_1)
	s_or_b32 exec_lo, exec_lo, s28
	v_lshrrev_b16 v1, 8, v0
	s_mov_b32 s28, exec_lo
	v_cmpx_ne_u16_e32 0, v1
	s_cbranch_execz .LBB339_281
; %bb.274:                              ;   in Loop: Header=BB339_9 Depth=1
	v_bfrev_b32_e32 v117, 1
	s_mov_b32 s29, exec_lo
	v_cmpx_ne_u16_e32 0x80, v1
	s_cbranch_execz .LBB339_280
; %bb.275:                              ;   in Loop: Header=BB339_9 Depth=1
	v_and_b32_e32 v1, 0xffff, v1
	v_mov_b32_e32 v117, 0x7f800001
	s_mov_b32 s30, exec_lo
	s_delay_alu instid0(VALU_DEP_2) | instskip(NEXT) | instid1(VALU_DEP_1)
	v_and_b32_e32 v10, 0x7f, v1
	v_cmpx_ne_u32_e32 0x7f, v10
	s_cbranch_execz .LBB339_279
; %bb.276:                              ;   in Loop: Header=BB339_9 Depth=1
	v_dual_lshrrev_b32 v1, 3, v10 :: v_dual_bitop2_b32 v2, 7, v1 bitop3:0x40
	s_mov_b32 s31, exec_lo
	v_cmpx_gt_u32_e32 8, v10
; %bb.277:                              ;   in Loop: Header=BB339_9 Depth=1
	s_delay_alu instid0(VALU_DEP_2) | instskip(NEXT) | instid1(VALU_DEP_1)
	v_clz_i32_u32_e32 v1, v2
	v_min_u32_e32 v1, 32, v1
	s_delay_alu instid0(VALU_DEP_1) | instskip(NEXT) | instid1(VALU_DEP_1)
	v_subrev_nc_u32_e32 v10, 28, v1
	v_lshlrev_b64_e32 v[10:11], v10, v[2:3]
	s_delay_alu instid0(VALU_DEP_1)
	v_dual_sub_nc_u32 v1, 29, v1 :: v_dual_bitop2_b32 v2, 7, v10 bitop3:0x40
; %bb.278:                              ;   in Loop: Header=BB339_9 Depth=1
	s_or_b32 exec_lo, exec_lo, s31
	s_delay_alu instid0(VALU_DEP_1) | instskip(NEXT) | instid1(VALU_DEP_2)
	v_dual_lshlrev_b32 v10, 16, v0 :: v_dual_lshlrev_b32 v2, 20, v2
	v_lshl_add_u32 v1, v1, 23, 0x3c000000
	s_delay_alu instid0(VALU_DEP_2) | instskip(NEXT) | instid1(VALU_DEP_1)
	v_and_b32_e32 v10, 0x80000000, v10
	v_or3_b32 v117, v2, v10, v1
.LBB339_279:                            ;   in Loop: Header=BB339_9 Depth=1
	s_or_b32 exec_lo, exec_lo, s30
.LBB339_280:                            ;   in Loop: Header=BB339_9 Depth=1
	s_delay_alu instid0(SALU_CYCLE_1)
	s_or_b32 exec_lo, exec_lo, s29
.LBB339_281:                            ;   in Loop: Header=BB339_9 Depth=1
	s_delay_alu instid0(SALU_CYCLE_1) | instskip(SKIP_3) | instid1(VALU_DEP_2)
	s_or_b32 exec_lo, exec_lo, s28
	v_dual_mov_b32 v118, 0 :: v_dual_lshrrev_b32 v1, 16, v0
	v_mov_b32_e32 v119, 0
	s_mov_b32 s28, exec_lo
	v_and_b32_e32 v2, 0xff, v1
	s_delay_alu instid0(VALU_DEP_1)
	v_cmpx_ne_u16_e32 0, v2
	s_cbranch_execz .LBB339_289
; %bb.282:                              ;   in Loop: Header=BB339_9 Depth=1
	v_bfrev_b32_e32 v119, 1
	s_mov_b32 s29, exec_lo
	v_cmpx_ne_u16_e32 0x80, v2
	s_cbranch_execz .LBB339_288
; %bb.283:                              ;   in Loop: Header=BB339_9 Depth=1
	v_bfe_u32 v11, v0, 16, 7
	v_mov_b32_e32 v119, 0x7f800001
	s_mov_b32 s30, exec_lo
	s_delay_alu instid0(VALU_DEP_2)
	v_cmpx_ne_u32_e32 0x7f, v11
	s_cbranch_execz .LBB339_287
; %bb.284:                              ;   in Loop: Header=BB339_9 Depth=1
	v_dual_lshrrev_b32 v10, 3, v11 :: v_dual_bitop2_b32 v2, 7, v1 bitop3:0x40
	s_mov_b32 s31, exec_lo
	v_cmpx_gt_u32_e32 8, v11
; %bb.285:                              ;   in Loop: Header=BB339_9 Depth=1
	s_delay_alu instid0(VALU_DEP_2) | instskip(NEXT) | instid1(VALU_DEP_1)
	v_clz_i32_u32_e32 v10, v2
	v_min_u32_e32 v10, 32, v10
	s_delay_alu instid0(VALU_DEP_1) | instskip(NEXT) | instid1(VALU_DEP_1)
	v_subrev_nc_u32_e32 v11, 28, v10
	v_lshlrev_b64_e32 v[12:13], v11, v[2:3]
	s_delay_alu instid0(VALU_DEP_1)
	v_dual_sub_nc_u32 v10, 29, v10 :: v_dual_bitop2_b32 v2, 7, v12 bitop3:0x40
; %bb.286:                              ;   in Loop: Header=BB339_9 Depth=1
	s_or_b32 exec_lo, exec_lo, s31
	s_delay_alu instid0(VALU_DEP_1) | instskip(NEXT) | instid1(VALU_DEP_2)
	v_dual_lshlrev_b32 v1, 24, v1 :: v_dual_lshlrev_b32 v2, 20, v2
	v_lshl_add_u32 v10, v10, 23, 0x3c000000
	s_delay_alu instid0(VALU_DEP_2) | instskip(NEXT) | instid1(VALU_DEP_1)
	v_and_b32_e32 v1, 0x80000000, v1
	v_or3_b32 v119, v2, v1, v10
.LBB339_287:                            ;   in Loop: Header=BB339_9 Depth=1
	s_or_b32 exec_lo, exec_lo, s30
.LBB339_288:                            ;   in Loop: Header=BB339_9 Depth=1
	s_delay_alu instid0(SALU_CYCLE_1)
	s_or_b32 exec_lo, exec_lo, s29
.LBB339_289:                            ;   in Loop: Header=BB339_9 Depth=1
	s_delay_alu instid0(SALU_CYCLE_1) | instskip(NEXT) | instid1(SALU_CYCLE_1)
	s_or_b32 exec_lo, exec_lo, s28
	s_mov_b32 s28, exec_lo
	v_cmpx_lt_u32_e32 0xffffff, v0
	s_cbranch_execz .LBB339_297
; %bb.290:                              ;   in Loop: Header=BB339_9 Depth=1
	v_lshrrev_b32_e32 v1, 24, v0
	v_bfrev_b32_e32 v118, 1
	s_mov_b32 s29, exec_lo
	s_delay_alu instid0(VALU_DEP_2)
	v_cmpx_ne_u32_e32 0x80, v1
	s_cbranch_execz .LBB339_296
; %bb.291:                              ;   in Loop: Header=BB339_9 Depth=1
	v_bfe_u32 v10, v0, 24, 7
	v_mov_b32_e32 v118, 0x7f800001
	s_mov_b32 s30, exec_lo
	s_delay_alu instid0(VALU_DEP_2)
	v_cmpx_ne_u32_e32 0x7f, v10
	s_cbranch_execz .LBB339_295
; %bb.292:                              ;   in Loop: Header=BB339_9 Depth=1
	v_dual_lshrrev_b32 v0, 3, v10 :: v_dual_bitop2_b32 v2, 7, v1 bitop3:0x40
	s_mov_b32 s31, exec_lo
	v_cmpx_gt_u32_e32 8, v10
; %bb.293:                              ;   in Loop: Header=BB339_9 Depth=1
	s_delay_alu instid0(VALU_DEP_2) | instskip(NEXT) | instid1(VALU_DEP_1)
	v_clz_i32_u32_e32 v0, v2
	v_min_u32_e32 v0, 32, v0
	s_delay_alu instid0(VALU_DEP_1) | instskip(NEXT) | instid1(VALU_DEP_1)
	v_subrev_nc_u32_e32 v10, 28, v0
	v_lshlrev_b64_e32 v[10:11], v10, v[2:3]
	s_delay_alu instid0(VALU_DEP_1)
	v_dual_sub_nc_u32 v0, 29, v0 :: v_dual_bitop2_b32 v2, 7, v10 bitop3:0x40
; %bb.294:                              ;   in Loop: Header=BB339_9 Depth=1
	s_or_b32 exec_lo, exec_lo, s31
	s_delay_alu instid0(VALU_DEP_1) | instskip(NEXT) | instid1(VALU_DEP_2)
	v_dual_lshlrev_b32 v1, 24, v1 :: v_dual_lshlrev_b32 v2, 20, v2
	v_lshl_add_u32 v0, v0, 23, 0x3c000000
	s_delay_alu instid0(VALU_DEP_2) | instskip(NEXT) | instid1(VALU_DEP_1)
	v_and_b32_e32 v1, 0x80000000, v1
	v_or3_b32 v118, v2, v1, v0
.LBB339_295:                            ;   in Loop: Header=BB339_9 Depth=1
	s_or_b32 exec_lo, exec_lo, s30
.LBB339_296:                            ;   in Loop: Header=BB339_9 Depth=1
	s_delay_alu instid0(SALU_CYCLE_1)
	s_or_b32 exec_lo, exec_lo, s29
.LBB339_297:                            ;   in Loop: Header=BB339_9 Depth=1
	s_delay_alu instid0(SALU_CYCLE_1)
	s_or_b32 exec_lo, exec_lo, s28
	global_load_b32 v0, v[8:9], off offset:1032
	v_dual_mov_b32 v121, 0 :: v_dual_mov_b32 v120, 0
	s_mov_b32 s28, exec_lo
	s_wait_loadcnt 0x0
	v_and_b32_e32 v1, 0xff, v0
	s_wait_xcnt 0x0
	s_delay_alu instid0(VALU_DEP_1)
	v_cmpx_ne_u16_e32 0, v1
	s_cbranch_execz .LBB339_305
; %bb.298:                              ;   in Loop: Header=BB339_9 Depth=1
	v_bfrev_b32_e32 v120, 1
	s_mov_b32 s29, exec_lo
	v_cmpx_ne_u16_e32 0x80, v1
	s_cbranch_execz .LBB339_304
; %bb.299:                              ;   in Loop: Header=BB339_9 Depth=1
	v_and_b32_e32 v10, 0x7f, v0
	v_mov_b32_e32 v120, 0x7f800001
	s_mov_b32 s30, exec_lo
	s_delay_alu instid0(VALU_DEP_2)
	v_cmpx_ne_u32_e32 0x7f, v10
	s_cbranch_execz .LBB339_303
; %bb.300:                              ;   in Loop: Header=BB339_9 Depth=1
	v_dual_lshrrev_b32 v1, 3, v10 :: v_dual_bitop2_b32 v2, 7, v0 bitop3:0x40
	s_mov_b32 s31, exec_lo
	v_cmpx_gt_u32_e32 8, v10
; %bb.301:                              ;   in Loop: Header=BB339_9 Depth=1
	s_delay_alu instid0(VALU_DEP_2) | instskip(NEXT) | instid1(VALU_DEP_1)
	v_clz_i32_u32_e32 v1, v2
	v_min_u32_e32 v1, 32, v1
	s_delay_alu instid0(VALU_DEP_1) | instskip(NEXT) | instid1(VALU_DEP_1)
	v_subrev_nc_u32_e32 v10, 28, v1
	v_lshlrev_b64_e32 v[10:11], v10, v[2:3]
	s_delay_alu instid0(VALU_DEP_1)
	v_dual_sub_nc_u32 v1, 29, v1 :: v_dual_bitop2_b32 v2, 7, v10 bitop3:0x40
; %bb.302:                              ;   in Loop: Header=BB339_9 Depth=1
	s_or_b32 exec_lo, exec_lo, s31
	s_delay_alu instid0(VALU_DEP_1) | instskip(NEXT) | instid1(VALU_DEP_2)
	v_dual_lshlrev_b32 v10, 24, v0 :: v_dual_lshlrev_b32 v2, 20, v2
	v_lshl_add_u32 v1, v1, 23, 0x3c000000
	s_delay_alu instid0(VALU_DEP_2) | instskip(NEXT) | instid1(VALU_DEP_1)
	v_and_b32_e32 v10, 0x80000000, v10
	v_or3_b32 v120, v2, v10, v1
.LBB339_303:                            ;   in Loop: Header=BB339_9 Depth=1
	s_or_b32 exec_lo, exec_lo, s30
.LBB339_304:                            ;   in Loop: Header=BB339_9 Depth=1
	s_delay_alu instid0(SALU_CYCLE_1)
	s_or_b32 exec_lo, exec_lo, s29
.LBB339_305:                            ;   in Loop: Header=BB339_9 Depth=1
	s_delay_alu instid0(SALU_CYCLE_1) | instskip(SKIP_2) | instid1(VALU_DEP_1)
	s_or_b32 exec_lo, exec_lo, s28
	v_lshrrev_b16 v1, 8, v0
	s_mov_b32 s28, exec_lo
	v_cmpx_ne_u16_e32 0, v1
	s_cbranch_execz .LBB339_313
; %bb.306:                              ;   in Loop: Header=BB339_9 Depth=1
	v_bfrev_b32_e32 v121, 1
	s_mov_b32 s29, exec_lo
	v_cmpx_ne_u16_e32 0x80, v1
	s_cbranch_execz .LBB339_312
; %bb.307:                              ;   in Loop: Header=BB339_9 Depth=1
	v_and_b32_e32 v1, 0xffff, v1
	v_mov_b32_e32 v121, 0x7f800001
	s_mov_b32 s30, exec_lo
	s_delay_alu instid0(VALU_DEP_2) | instskip(NEXT) | instid1(VALU_DEP_1)
	v_and_b32_e32 v10, 0x7f, v1
	v_cmpx_ne_u32_e32 0x7f, v10
	s_cbranch_execz .LBB339_311
; %bb.308:                              ;   in Loop: Header=BB339_9 Depth=1
	v_dual_lshrrev_b32 v1, 3, v10 :: v_dual_bitop2_b32 v2, 7, v1 bitop3:0x40
	s_mov_b32 s31, exec_lo
	v_cmpx_gt_u32_e32 8, v10
; %bb.309:                              ;   in Loop: Header=BB339_9 Depth=1
	s_delay_alu instid0(VALU_DEP_2) | instskip(NEXT) | instid1(VALU_DEP_1)
	v_clz_i32_u32_e32 v1, v2
	v_min_u32_e32 v1, 32, v1
	s_delay_alu instid0(VALU_DEP_1) | instskip(NEXT) | instid1(VALU_DEP_1)
	v_subrev_nc_u32_e32 v10, 28, v1
	v_lshlrev_b64_e32 v[10:11], v10, v[2:3]
	s_delay_alu instid0(VALU_DEP_1)
	v_dual_sub_nc_u32 v1, 29, v1 :: v_dual_bitop2_b32 v2, 7, v10 bitop3:0x40
; %bb.310:                              ;   in Loop: Header=BB339_9 Depth=1
	s_or_b32 exec_lo, exec_lo, s31
	s_delay_alu instid0(VALU_DEP_1) | instskip(NEXT) | instid1(VALU_DEP_2)
	v_dual_lshlrev_b32 v10, 16, v0 :: v_dual_lshlrev_b32 v2, 20, v2
	v_lshl_add_u32 v1, v1, 23, 0x3c000000
	s_delay_alu instid0(VALU_DEP_2) | instskip(NEXT) | instid1(VALU_DEP_1)
	v_and_b32_e32 v10, 0x80000000, v10
	v_or3_b32 v121, v2, v10, v1
.LBB339_311:                            ;   in Loop: Header=BB339_9 Depth=1
	s_or_b32 exec_lo, exec_lo, s30
.LBB339_312:                            ;   in Loop: Header=BB339_9 Depth=1
	s_delay_alu instid0(SALU_CYCLE_1)
	s_or_b32 exec_lo, exec_lo, s29
.LBB339_313:                            ;   in Loop: Header=BB339_9 Depth=1
	s_delay_alu instid0(SALU_CYCLE_1) | instskip(SKIP_3) | instid1(VALU_DEP_2)
	s_or_b32 exec_lo, exec_lo, s28
	v_dual_mov_b32 v122, 0 :: v_dual_lshrrev_b32 v1, 16, v0
	v_mov_b32_e32 v123, 0
	s_mov_b32 s28, exec_lo
	v_and_b32_e32 v2, 0xff, v1
	s_delay_alu instid0(VALU_DEP_1)
	v_cmpx_ne_u16_e32 0, v2
	s_cbranch_execz .LBB339_321
; %bb.314:                              ;   in Loop: Header=BB339_9 Depth=1
	v_bfrev_b32_e32 v123, 1
	s_mov_b32 s29, exec_lo
	v_cmpx_ne_u16_e32 0x80, v2
	s_cbranch_execz .LBB339_320
; %bb.315:                              ;   in Loop: Header=BB339_9 Depth=1
	v_bfe_u32 v11, v0, 16, 7
	v_mov_b32_e32 v123, 0x7f800001
	s_mov_b32 s30, exec_lo
	s_delay_alu instid0(VALU_DEP_2)
	v_cmpx_ne_u32_e32 0x7f, v11
	s_cbranch_execz .LBB339_319
; %bb.316:                              ;   in Loop: Header=BB339_9 Depth=1
	v_dual_lshrrev_b32 v10, 3, v11 :: v_dual_bitop2_b32 v2, 7, v1 bitop3:0x40
	s_mov_b32 s31, exec_lo
	v_cmpx_gt_u32_e32 8, v11
; %bb.317:                              ;   in Loop: Header=BB339_9 Depth=1
	s_delay_alu instid0(VALU_DEP_2) | instskip(NEXT) | instid1(VALU_DEP_1)
	v_clz_i32_u32_e32 v10, v2
	v_min_u32_e32 v10, 32, v10
	s_delay_alu instid0(VALU_DEP_1) | instskip(NEXT) | instid1(VALU_DEP_1)
	v_subrev_nc_u32_e32 v11, 28, v10
	v_lshlrev_b64_e32 v[12:13], v11, v[2:3]
	s_delay_alu instid0(VALU_DEP_1)
	v_dual_sub_nc_u32 v10, 29, v10 :: v_dual_bitop2_b32 v2, 7, v12 bitop3:0x40
; %bb.318:                              ;   in Loop: Header=BB339_9 Depth=1
	s_or_b32 exec_lo, exec_lo, s31
	s_delay_alu instid0(VALU_DEP_1) | instskip(NEXT) | instid1(VALU_DEP_2)
	v_dual_lshlrev_b32 v1, 24, v1 :: v_dual_lshlrev_b32 v2, 20, v2
	v_lshl_add_u32 v10, v10, 23, 0x3c000000
	s_delay_alu instid0(VALU_DEP_2) | instskip(NEXT) | instid1(VALU_DEP_1)
	v_and_b32_e32 v1, 0x80000000, v1
	v_or3_b32 v123, v2, v1, v10
.LBB339_319:                            ;   in Loop: Header=BB339_9 Depth=1
	s_or_b32 exec_lo, exec_lo, s30
.LBB339_320:                            ;   in Loop: Header=BB339_9 Depth=1
	s_delay_alu instid0(SALU_CYCLE_1)
	s_or_b32 exec_lo, exec_lo, s29
.LBB339_321:                            ;   in Loop: Header=BB339_9 Depth=1
	s_delay_alu instid0(SALU_CYCLE_1) | instskip(NEXT) | instid1(SALU_CYCLE_1)
	s_or_b32 exec_lo, exec_lo, s28
	s_mov_b32 s28, exec_lo
	v_cmpx_lt_u32_e32 0xffffff, v0
	s_cbranch_execz .LBB339_329
; %bb.322:                              ;   in Loop: Header=BB339_9 Depth=1
	v_lshrrev_b32_e32 v1, 24, v0
	v_bfrev_b32_e32 v122, 1
	s_mov_b32 s29, exec_lo
	s_delay_alu instid0(VALU_DEP_2)
	v_cmpx_ne_u32_e32 0x80, v1
	s_cbranch_execz .LBB339_328
; %bb.323:                              ;   in Loop: Header=BB339_9 Depth=1
	v_bfe_u32 v10, v0, 24, 7
	v_mov_b32_e32 v122, 0x7f800001
	s_mov_b32 s30, exec_lo
	s_delay_alu instid0(VALU_DEP_2)
	v_cmpx_ne_u32_e32 0x7f, v10
	s_cbranch_execz .LBB339_327
; %bb.324:                              ;   in Loop: Header=BB339_9 Depth=1
	v_dual_lshrrev_b32 v0, 3, v10 :: v_dual_bitop2_b32 v2, 7, v1 bitop3:0x40
	s_mov_b32 s31, exec_lo
	v_cmpx_gt_u32_e32 8, v10
; %bb.325:                              ;   in Loop: Header=BB339_9 Depth=1
	s_delay_alu instid0(VALU_DEP_2) | instskip(NEXT) | instid1(VALU_DEP_1)
	v_clz_i32_u32_e32 v0, v2
	v_min_u32_e32 v0, 32, v0
	s_delay_alu instid0(VALU_DEP_1) | instskip(NEXT) | instid1(VALU_DEP_1)
	v_subrev_nc_u32_e32 v10, 28, v0
	v_lshlrev_b64_e32 v[10:11], v10, v[2:3]
	s_delay_alu instid0(VALU_DEP_1)
	v_dual_sub_nc_u32 v0, 29, v0 :: v_dual_bitop2_b32 v2, 7, v10 bitop3:0x40
; %bb.326:                              ;   in Loop: Header=BB339_9 Depth=1
	s_or_b32 exec_lo, exec_lo, s31
	s_delay_alu instid0(VALU_DEP_1) | instskip(NEXT) | instid1(VALU_DEP_2)
	v_dual_lshlrev_b32 v1, 24, v1 :: v_dual_lshlrev_b32 v2, 20, v2
	v_lshl_add_u32 v0, v0, 23, 0x3c000000
	s_delay_alu instid0(VALU_DEP_2) | instskip(NEXT) | instid1(VALU_DEP_1)
	v_and_b32_e32 v1, 0x80000000, v1
	v_or3_b32 v122, v2, v1, v0
.LBB339_327:                            ;   in Loop: Header=BB339_9 Depth=1
	s_or_b32 exec_lo, exec_lo, s30
.LBB339_328:                            ;   in Loop: Header=BB339_9 Depth=1
	s_delay_alu instid0(SALU_CYCLE_1)
	s_or_b32 exec_lo, exec_lo, s29
.LBB339_329:                            ;   in Loop: Header=BB339_9 Depth=1
	s_delay_alu instid0(SALU_CYCLE_1)
	s_or_b32 exec_lo, exec_lo, s28
	global_load_b32 v0, v[8:9], off offset:1280
	v_dual_mov_b32 v126, 0 :: v_dual_mov_b32 v125, 0
	s_mov_b32 s28, exec_lo
	s_wait_loadcnt 0x0
	v_and_b32_e32 v1, 0xff, v0
	s_wait_xcnt 0x0
	s_delay_alu instid0(VALU_DEP_1)
	v_cmpx_ne_u16_e32 0, v1
	s_cbranch_execz .LBB339_337
; %bb.330:                              ;   in Loop: Header=BB339_9 Depth=1
	v_bfrev_b32_e32 v125, 1
	s_mov_b32 s29, exec_lo
	v_cmpx_ne_u16_e32 0x80, v1
	s_cbranch_execz .LBB339_336
; %bb.331:                              ;   in Loop: Header=BB339_9 Depth=1
	v_and_b32_e32 v10, 0x7f, v0
	v_mov_b32_e32 v125, 0x7f800001
	s_mov_b32 s30, exec_lo
	s_delay_alu instid0(VALU_DEP_2)
	v_cmpx_ne_u32_e32 0x7f, v10
	s_cbranch_execz .LBB339_335
; %bb.332:                              ;   in Loop: Header=BB339_9 Depth=1
	v_dual_lshrrev_b32 v1, 3, v10 :: v_dual_bitop2_b32 v2, 7, v0 bitop3:0x40
	s_mov_b32 s31, exec_lo
	v_cmpx_gt_u32_e32 8, v10
; %bb.333:                              ;   in Loop: Header=BB339_9 Depth=1
	s_delay_alu instid0(VALU_DEP_2) | instskip(NEXT) | instid1(VALU_DEP_1)
	v_clz_i32_u32_e32 v1, v2
	v_min_u32_e32 v1, 32, v1
	s_delay_alu instid0(VALU_DEP_1) | instskip(NEXT) | instid1(VALU_DEP_1)
	v_subrev_nc_u32_e32 v10, 28, v1
	v_lshlrev_b64_e32 v[10:11], v10, v[2:3]
	s_delay_alu instid0(VALU_DEP_1)
	v_dual_sub_nc_u32 v1, 29, v1 :: v_dual_bitop2_b32 v2, 7, v10 bitop3:0x40
; %bb.334:                              ;   in Loop: Header=BB339_9 Depth=1
	s_or_b32 exec_lo, exec_lo, s31
	s_delay_alu instid0(VALU_DEP_1) | instskip(NEXT) | instid1(VALU_DEP_2)
	v_dual_lshlrev_b32 v10, 24, v0 :: v_dual_lshlrev_b32 v2, 20, v2
	v_lshl_add_u32 v1, v1, 23, 0x3c000000
	s_delay_alu instid0(VALU_DEP_2) | instskip(NEXT) | instid1(VALU_DEP_1)
	v_and_b32_e32 v10, 0x80000000, v10
	v_or3_b32 v125, v2, v10, v1
.LBB339_335:                            ;   in Loop: Header=BB339_9 Depth=1
	s_or_b32 exec_lo, exec_lo, s30
.LBB339_336:                            ;   in Loop: Header=BB339_9 Depth=1
	s_delay_alu instid0(SALU_CYCLE_1)
	s_or_b32 exec_lo, exec_lo, s29
.LBB339_337:                            ;   in Loop: Header=BB339_9 Depth=1
	s_delay_alu instid0(SALU_CYCLE_1) | instskip(SKIP_2) | instid1(VALU_DEP_1)
	s_or_b32 exec_lo, exec_lo, s28
	v_lshrrev_b16 v1, 8, v0
	s_mov_b32 s28, exec_lo
	v_cmpx_ne_u16_e32 0, v1
	s_cbranch_execz .LBB339_345
; %bb.338:                              ;   in Loop: Header=BB339_9 Depth=1
	v_bfrev_b32_e32 v126, 1
	s_mov_b32 s29, exec_lo
	v_cmpx_ne_u16_e32 0x80, v1
	s_cbranch_execz .LBB339_344
; %bb.339:                              ;   in Loop: Header=BB339_9 Depth=1
	v_and_b32_e32 v1, 0xffff, v1
	v_mov_b32_e32 v126, 0x7f800001
	s_mov_b32 s30, exec_lo
	s_delay_alu instid0(VALU_DEP_2) | instskip(NEXT) | instid1(VALU_DEP_1)
	v_and_b32_e32 v10, 0x7f, v1
	v_cmpx_ne_u32_e32 0x7f, v10
	s_cbranch_execz .LBB339_343
; %bb.340:                              ;   in Loop: Header=BB339_9 Depth=1
	v_dual_lshrrev_b32 v1, 3, v10 :: v_dual_bitop2_b32 v2, 7, v1 bitop3:0x40
	s_mov_b32 s31, exec_lo
	v_cmpx_gt_u32_e32 8, v10
; %bb.341:                              ;   in Loop: Header=BB339_9 Depth=1
	s_delay_alu instid0(VALU_DEP_2) | instskip(NEXT) | instid1(VALU_DEP_1)
	v_clz_i32_u32_e32 v1, v2
	v_min_u32_e32 v1, 32, v1
	s_delay_alu instid0(VALU_DEP_1) | instskip(NEXT) | instid1(VALU_DEP_1)
	v_subrev_nc_u32_e32 v10, 28, v1
	v_lshlrev_b64_e32 v[10:11], v10, v[2:3]
	s_delay_alu instid0(VALU_DEP_1)
	v_dual_sub_nc_u32 v1, 29, v1 :: v_dual_bitop2_b32 v2, 7, v10 bitop3:0x40
; %bb.342:                              ;   in Loop: Header=BB339_9 Depth=1
	s_or_b32 exec_lo, exec_lo, s31
	s_delay_alu instid0(VALU_DEP_1) | instskip(NEXT) | instid1(VALU_DEP_2)
	v_dual_lshlrev_b32 v10, 16, v0 :: v_dual_lshlrev_b32 v2, 20, v2
	v_lshl_add_u32 v1, v1, 23, 0x3c000000
	s_delay_alu instid0(VALU_DEP_2) | instskip(NEXT) | instid1(VALU_DEP_1)
	v_and_b32_e32 v10, 0x80000000, v10
	v_or3_b32 v126, v2, v10, v1
.LBB339_343:                            ;   in Loop: Header=BB339_9 Depth=1
	s_or_b32 exec_lo, exec_lo, s30
.LBB339_344:                            ;   in Loop: Header=BB339_9 Depth=1
	s_delay_alu instid0(SALU_CYCLE_1)
	s_or_b32 exec_lo, exec_lo, s29
.LBB339_345:                            ;   in Loop: Header=BB339_9 Depth=1
	s_delay_alu instid0(SALU_CYCLE_1) | instskip(SKIP_3) | instid1(VALU_DEP_2)
	s_or_b32 exec_lo, exec_lo, s28
	v_dual_mov_b32 v124, 0 :: v_dual_lshrrev_b32 v1, 16, v0
	v_mov_b32_e32 v127, 0
	s_mov_b32 s28, exec_lo
	v_and_b32_e32 v2, 0xff, v1
	s_delay_alu instid0(VALU_DEP_1)
	v_cmpx_ne_u16_e32 0, v2
	s_cbranch_execz .LBB339_353
; %bb.346:                              ;   in Loop: Header=BB339_9 Depth=1
	v_bfrev_b32_e32 v127, 1
	s_mov_b32 s29, exec_lo
	v_cmpx_ne_u16_e32 0x80, v2
	s_cbranch_execz .LBB339_352
; %bb.347:                              ;   in Loop: Header=BB339_9 Depth=1
	v_bfe_u32 v11, v0, 16, 7
	v_mov_b32_e32 v127, 0x7f800001
	s_mov_b32 s30, exec_lo
	s_delay_alu instid0(VALU_DEP_2)
	v_cmpx_ne_u32_e32 0x7f, v11
	s_cbranch_execz .LBB339_351
; %bb.348:                              ;   in Loop: Header=BB339_9 Depth=1
	v_dual_lshrrev_b32 v10, 3, v11 :: v_dual_bitop2_b32 v2, 7, v1 bitop3:0x40
	s_mov_b32 s31, exec_lo
	v_cmpx_gt_u32_e32 8, v11
; %bb.349:                              ;   in Loop: Header=BB339_9 Depth=1
	s_delay_alu instid0(VALU_DEP_2) | instskip(NEXT) | instid1(VALU_DEP_1)
	v_clz_i32_u32_e32 v10, v2
	v_min_u32_e32 v10, 32, v10
	s_delay_alu instid0(VALU_DEP_1) | instskip(NEXT) | instid1(VALU_DEP_1)
	v_subrev_nc_u32_e32 v11, 28, v10
	v_lshlrev_b64_e32 v[12:13], v11, v[2:3]
	s_delay_alu instid0(VALU_DEP_1)
	v_dual_sub_nc_u32 v10, 29, v10 :: v_dual_bitop2_b32 v2, 7, v12 bitop3:0x40
; %bb.350:                              ;   in Loop: Header=BB339_9 Depth=1
	s_or_b32 exec_lo, exec_lo, s31
	s_delay_alu instid0(VALU_DEP_1) | instskip(NEXT) | instid1(VALU_DEP_2)
	v_dual_lshlrev_b32 v1, 24, v1 :: v_dual_lshlrev_b32 v2, 20, v2
	v_lshl_add_u32 v10, v10, 23, 0x3c000000
	s_delay_alu instid0(VALU_DEP_2) | instskip(NEXT) | instid1(VALU_DEP_1)
	v_and_b32_e32 v1, 0x80000000, v1
	v_or3_b32 v127, v2, v1, v10
.LBB339_351:                            ;   in Loop: Header=BB339_9 Depth=1
	s_or_b32 exec_lo, exec_lo, s30
.LBB339_352:                            ;   in Loop: Header=BB339_9 Depth=1
	s_delay_alu instid0(SALU_CYCLE_1)
	s_or_b32 exec_lo, exec_lo, s29
.LBB339_353:                            ;   in Loop: Header=BB339_9 Depth=1
	s_delay_alu instid0(SALU_CYCLE_1) | instskip(NEXT) | instid1(SALU_CYCLE_1)
	s_or_b32 exec_lo, exec_lo, s28
	s_mov_b32 s28, exec_lo
	v_cmpx_lt_u32_e32 0xffffff, v0
	s_cbranch_execz .LBB339_361
; %bb.354:                              ;   in Loop: Header=BB339_9 Depth=1
	v_lshrrev_b32_e32 v1, 24, v0
	v_bfrev_b32_e32 v124, 1
	s_mov_b32 s29, exec_lo
	s_delay_alu instid0(VALU_DEP_2)
	v_cmpx_ne_u32_e32 0x80, v1
	s_cbranch_execz .LBB339_360
; %bb.355:                              ;   in Loop: Header=BB339_9 Depth=1
	v_bfe_u32 v10, v0, 24, 7
	v_mov_b32_e32 v124, 0x7f800001
	s_mov_b32 s30, exec_lo
	s_delay_alu instid0(VALU_DEP_2)
	v_cmpx_ne_u32_e32 0x7f, v10
	s_cbranch_execz .LBB339_359
; %bb.356:                              ;   in Loop: Header=BB339_9 Depth=1
	v_dual_lshrrev_b32 v0, 3, v10 :: v_dual_bitop2_b32 v2, 7, v1 bitop3:0x40
	s_mov_b32 s31, exec_lo
	v_cmpx_gt_u32_e32 8, v10
; %bb.357:                              ;   in Loop: Header=BB339_9 Depth=1
	s_delay_alu instid0(VALU_DEP_2) | instskip(NEXT) | instid1(VALU_DEP_1)
	v_clz_i32_u32_e32 v0, v2
	v_min_u32_e32 v0, 32, v0
	s_delay_alu instid0(VALU_DEP_1) | instskip(NEXT) | instid1(VALU_DEP_1)
	v_subrev_nc_u32_e32 v10, 28, v0
	v_lshlrev_b64_e32 v[10:11], v10, v[2:3]
	s_delay_alu instid0(VALU_DEP_1)
	v_dual_sub_nc_u32 v0, 29, v0 :: v_dual_bitop2_b32 v2, 7, v10 bitop3:0x40
; %bb.358:                              ;   in Loop: Header=BB339_9 Depth=1
	s_or_b32 exec_lo, exec_lo, s31
	s_delay_alu instid0(VALU_DEP_1) | instskip(NEXT) | instid1(VALU_DEP_2)
	v_dual_lshlrev_b32 v1, 24, v1 :: v_dual_lshlrev_b32 v2, 20, v2
	v_lshl_add_u32 v0, v0, 23, 0x3c000000
	s_delay_alu instid0(VALU_DEP_2) | instskip(NEXT) | instid1(VALU_DEP_1)
	v_and_b32_e32 v1, 0x80000000, v1
	v_or3_b32 v124, v2, v1, v0
.LBB339_359:                            ;   in Loop: Header=BB339_9 Depth=1
	s_or_b32 exec_lo, exec_lo, s30
.LBB339_360:                            ;   in Loop: Header=BB339_9 Depth=1
	s_delay_alu instid0(SALU_CYCLE_1)
	s_or_b32 exec_lo, exec_lo, s29
.LBB339_361:                            ;   in Loop: Header=BB339_9 Depth=1
	s_delay_alu instid0(SALU_CYCLE_1)
	s_or_b32 exec_lo, exec_lo, s28
	global_load_b32 v0, v[8:9], off offset:1288
	v_dual_mov_b32 v31, 0 :: v_dual_mov_b32 v30, 0
	s_mov_b32 s28, exec_lo
	s_wait_loadcnt 0x0
	v_and_b32_e32 v1, 0xff, v0
	s_wait_xcnt 0x0
	s_delay_alu instid0(VALU_DEP_1)
	v_cmpx_ne_u16_e32 0, v1
	s_cbranch_execz .LBB339_369
; %bb.362:                              ;   in Loop: Header=BB339_9 Depth=1
	v_bfrev_b32_e32 v30, 1
	s_mov_b32 s29, exec_lo
	v_cmpx_ne_u16_e32 0x80, v1
	s_cbranch_execz .LBB339_368
; %bb.363:                              ;   in Loop: Header=BB339_9 Depth=1
	v_and_b32_e32 v10, 0x7f, v0
	v_mov_b32_e32 v30, 0x7f800001
	s_mov_b32 s30, exec_lo
	s_delay_alu instid0(VALU_DEP_2)
	v_cmpx_ne_u32_e32 0x7f, v10
	s_cbranch_execz .LBB339_367
; %bb.364:                              ;   in Loop: Header=BB339_9 Depth=1
	v_dual_lshrrev_b32 v1, 3, v10 :: v_dual_bitop2_b32 v2, 7, v0 bitop3:0x40
	s_mov_b32 s31, exec_lo
	v_cmpx_gt_u32_e32 8, v10
; %bb.365:                              ;   in Loop: Header=BB339_9 Depth=1
	s_delay_alu instid0(VALU_DEP_2) | instskip(NEXT) | instid1(VALU_DEP_1)
	v_clz_i32_u32_e32 v1, v2
	v_min_u32_e32 v1, 32, v1
	s_delay_alu instid0(VALU_DEP_1) | instskip(NEXT) | instid1(VALU_DEP_1)
	v_subrev_nc_u32_e32 v10, 28, v1
	v_lshlrev_b64_e32 v[10:11], v10, v[2:3]
	s_delay_alu instid0(VALU_DEP_1)
	v_dual_sub_nc_u32 v1, 29, v1 :: v_dual_bitop2_b32 v2, 7, v10 bitop3:0x40
; %bb.366:                              ;   in Loop: Header=BB339_9 Depth=1
	s_or_b32 exec_lo, exec_lo, s31
	s_delay_alu instid0(VALU_DEP_1) | instskip(NEXT) | instid1(VALU_DEP_2)
	v_dual_lshlrev_b32 v10, 24, v0 :: v_dual_lshlrev_b32 v2, 20, v2
	v_lshl_add_u32 v1, v1, 23, 0x3c000000
	s_delay_alu instid0(VALU_DEP_2) | instskip(NEXT) | instid1(VALU_DEP_1)
	v_and_b32_e32 v10, 0x80000000, v10
	v_or3_b32 v30, v2, v10, v1
.LBB339_367:                            ;   in Loop: Header=BB339_9 Depth=1
	s_or_b32 exec_lo, exec_lo, s30
.LBB339_368:                            ;   in Loop: Header=BB339_9 Depth=1
	s_delay_alu instid0(SALU_CYCLE_1)
	s_or_b32 exec_lo, exec_lo, s29
.LBB339_369:                            ;   in Loop: Header=BB339_9 Depth=1
	s_delay_alu instid0(SALU_CYCLE_1) | instskip(SKIP_2) | instid1(VALU_DEP_1)
	s_or_b32 exec_lo, exec_lo, s28
	v_lshrrev_b16 v1, 8, v0
	s_mov_b32 s28, exec_lo
	v_cmpx_ne_u16_e32 0, v1
	s_cbranch_execz .LBB339_377
; %bb.370:                              ;   in Loop: Header=BB339_9 Depth=1
	v_bfrev_b32_e32 v31, 1
	s_mov_b32 s29, exec_lo
	v_cmpx_ne_u16_e32 0x80, v1
	s_cbranch_execz .LBB339_376
; %bb.371:                              ;   in Loop: Header=BB339_9 Depth=1
	v_and_b32_e32 v1, 0xffff, v1
	v_mov_b32_e32 v31, 0x7f800001
	s_mov_b32 s30, exec_lo
	s_delay_alu instid0(VALU_DEP_2) | instskip(NEXT) | instid1(VALU_DEP_1)
	v_and_b32_e32 v10, 0x7f, v1
	v_cmpx_ne_u32_e32 0x7f, v10
	s_cbranch_execz .LBB339_375
; %bb.372:                              ;   in Loop: Header=BB339_9 Depth=1
	v_dual_lshrrev_b32 v1, 3, v10 :: v_dual_bitop2_b32 v2, 7, v1 bitop3:0x40
	s_mov_b32 s31, exec_lo
	v_cmpx_gt_u32_e32 8, v10
; %bb.373:                              ;   in Loop: Header=BB339_9 Depth=1
	s_delay_alu instid0(VALU_DEP_2) | instskip(NEXT) | instid1(VALU_DEP_1)
	v_clz_i32_u32_e32 v1, v2
	v_min_u32_e32 v1, 32, v1
	s_delay_alu instid0(VALU_DEP_1) | instskip(NEXT) | instid1(VALU_DEP_1)
	v_subrev_nc_u32_e32 v10, 28, v1
	v_lshlrev_b64_e32 v[10:11], v10, v[2:3]
	s_delay_alu instid0(VALU_DEP_1)
	v_dual_sub_nc_u32 v1, 29, v1 :: v_dual_bitop2_b32 v2, 7, v10 bitop3:0x40
; %bb.374:                              ;   in Loop: Header=BB339_9 Depth=1
	s_or_b32 exec_lo, exec_lo, s31
	s_delay_alu instid0(VALU_DEP_1) | instskip(NEXT) | instid1(VALU_DEP_2)
	v_dual_lshlrev_b32 v10, 16, v0 :: v_dual_lshlrev_b32 v2, 20, v2
	v_lshl_add_u32 v1, v1, 23, 0x3c000000
	s_delay_alu instid0(VALU_DEP_2) | instskip(NEXT) | instid1(VALU_DEP_1)
	v_and_b32_e32 v10, 0x80000000, v10
	v_or3_b32 v31, v2, v10, v1
.LBB339_375:                            ;   in Loop: Header=BB339_9 Depth=1
	s_or_b32 exec_lo, exec_lo, s30
.LBB339_376:                            ;   in Loop: Header=BB339_9 Depth=1
	s_delay_alu instid0(SALU_CYCLE_1)
	s_or_b32 exec_lo, exec_lo, s29
.LBB339_377:                            ;   in Loop: Header=BB339_9 Depth=1
	s_delay_alu instid0(SALU_CYCLE_1) | instskip(SKIP_3) | instid1(VALU_DEP_2)
	s_or_b32 exec_lo, exec_lo, s28
	v_dual_lshrrev_b32 v10, 16, v0 :: v_dual_mov_b32 v22, 0
	v_mov_b32_e32 v1, 0
	s_mov_b32 s28, exec_lo
	v_and_b32_e32 v2, 0xff, v10
	s_delay_alu instid0(VALU_DEP_1)
	v_cmpx_ne_u16_e32 0, v2
	s_cbranch_execz .LBB339_385
; %bb.378:                              ;   in Loop: Header=BB339_9 Depth=1
	v_bfrev_b32_e32 v1, 1
	s_mov_b32 s29, exec_lo
	v_cmpx_ne_u16_e32 0x80, v2
	s_cbranch_execz .LBB339_384
; %bb.379:                              ;   in Loop: Header=BB339_9 Depth=1
	v_bfe_u32 v11, v0, 16, 7
	v_mov_b32_e32 v1, 0x7f800001
	s_mov_b32 s30, exec_lo
	s_delay_alu instid0(VALU_DEP_2)
	v_cmpx_ne_u32_e32 0x7f, v11
	s_cbranch_execz .LBB339_383
; %bb.380:                              ;   in Loop: Header=BB339_9 Depth=1
	v_dual_lshrrev_b32 v1, 3, v11 :: v_dual_bitop2_b32 v2, 7, v10 bitop3:0x40
	s_mov_b32 s31, exec_lo
	v_cmpx_gt_u32_e32 8, v11
; %bb.381:                              ;   in Loop: Header=BB339_9 Depth=1
	s_delay_alu instid0(VALU_DEP_2) | instskip(NEXT) | instid1(VALU_DEP_1)
	v_clz_i32_u32_e32 v1, v2
	v_min_u32_e32 v1, 32, v1
	s_delay_alu instid0(VALU_DEP_1) | instskip(NEXT) | instid1(VALU_DEP_1)
	v_subrev_nc_u32_e32 v11, 28, v1
	v_lshlrev_b64_e32 v[12:13], v11, v[2:3]
	s_delay_alu instid0(VALU_DEP_1)
	v_dual_sub_nc_u32 v1, 29, v1 :: v_dual_bitop2_b32 v2, 7, v12 bitop3:0x40
; %bb.382:                              ;   in Loop: Header=BB339_9 Depth=1
	s_or_b32 exec_lo, exec_lo, s31
	v_lshlrev_b32_e32 v10, 24, v10
	s_delay_alu instid0(VALU_DEP_2) | instskip(NEXT) | instid1(VALU_DEP_3)
	v_lshlrev_b32_e32 v2, 20, v2
	v_lshl_add_u32 v1, v1, 23, 0x3c000000
	s_delay_alu instid0(VALU_DEP_3) | instskip(NEXT) | instid1(VALU_DEP_1)
	v_and_b32_e32 v10, 0x80000000, v10
	v_or3_b32 v1, v2, v10, v1
.LBB339_383:                            ;   in Loop: Header=BB339_9 Depth=1
	s_or_b32 exec_lo, exec_lo, s30
.LBB339_384:                            ;   in Loop: Header=BB339_9 Depth=1
	s_delay_alu instid0(SALU_CYCLE_1)
	s_or_b32 exec_lo, exec_lo, s29
.LBB339_385:                            ;   in Loop: Header=BB339_9 Depth=1
	s_delay_alu instid0(SALU_CYCLE_1) | instskip(NEXT) | instid1(SALU_CYCLE_1)
	s_or_b32 exec_lo, exec_lo, s28
	s_mov_b32 s28, exec_lo
	v_cmpx_lt_u32_e32 0xffffff, v0
	s_cbranch_execz .LBB339_393
; %bb.386:                              ;   in Loop: Header=BB339_9 Depth=1
	v_lshrrev_b32_e32 v10, 24, v0
	v_bfrev_b32_e32 v22, 1
	s_mov_b32 s29, exec_lo
	s_delay_alu instid0(VALU_DEP_2)
	v_cmpx_ne_u32_e32 0x80, v10
	s_cbranch_execz .LBB339_392
; %bb.387:                              ;   in Loop: Header=BB339_9 Depth=1
	v_bfe_u32 v11, v0, 24, 7
	v_mov_b32_e32 v22, 0x7f800001
	s_mov_b32 s30, exec_lo
	s_delay_alu instid0(VALU_DEP_2)
	v_cmpx_ne_u32_e32 0x7f, v11
	s_cbranch_execz .LBB339_391
; %bb.388:                              ;   in Loop: Header=BB339_9 Depth=1
	v_dual_lshrrev_b32 v0, 3, v11 :: v_dual_bitop2_b32 v2, 7, v10 bitop3:0x40
	s_mov_b32 s31, exec_lo
	v_cmpx_gt_u32_e32 8, v11
; %bb.389:                              ;   in Loop: Header=BB339_9 Depth=1
	s_delay_alu instid0(VALU_DEP_2) | instskip(NEXT) | instid1(VALU_DEP_1)
	v_clz_i32_u32_e32 v0, v2
	v_min_u32_e32 v0, 32, v0
	s_delay_alu instid0(VALU_DEP_1) | instskip(SKIP_1) | instid1(VALU_DEP_2)
	v_subrev_nc_u32_e32 v11, 28, v0
	v_sub_nc_u32_e32 v0, 29, v0
	v_lshlrev_b64_e32 v[12:13], v11, v[2:3]
	s_delay_alu instid0(VALU_DEP_1)
	v_and_b32_e32 v2, 7, v12
; %bb.390:                              ;   in Loop: Header=BB339_9 Depth=1
	s_or_b32 exec_lo, exec_lo, s31
	v_lshlrev_b32_e32 v10, 24, v10
	s_delay_alu instid0(VALU_DEP_2) | instskip(SKIP_1) | instid1(VALU_DEP_3)
	v_lshlrev_b32_e32 v2, 20, v2
	v_lshl_add_u32 v0, v0, 23, 0x3c000000
	v_and_b32_e32 v10, 0x80000000, v10
	s_delay_alu instid0(VALU_DEP_1)
	v_or3_b32 v22, v2, v10, v0
.LBB339_391:                            ;   in Loop: Header=BB339_9 Depth=1
	s_or_b32 exec_lo, exec_lo, s30
.LBB339_392:                            ;   in Loop: Header=BB339_9 Depth=1
	s_delay_alu instid0(SALU_CYCLE_1)
	s_or_b32 exec_lo, exec_lo, s29
.LBB339_393:                            ;   in Loop: Header=BB339_9 Depth=1
	s_delay_alu instid0(SALU_CYCLE_1)
	s_or_b32 exec_lo, exec_lo, s28
	global_load_b32 v12, v[8:9], off offset:1536
	v_dual_mov_b32 v0, 0 :: v_dual_mov_b32 v10, 0
	s_mov_b32 s28, exec_lo
	s_wait_loadcnt 0x0
	v_and_b32_e32 v2, 0xff, v12
	s_wait_xcnt 0x0
	s_delay_alu instid0(VALU_DEP_1)
	v_cmpx_ne_u16_e32 0, v2
	s_cbranch_execz .LBB339_401
; %bb.394:                              ;   in Loop: Header=BB339_9 Depth=1
	v_bfrev_b32_e32 v10, 1
	s_mov_b32 s29, exec_lo
	v_cmpx_ne_u16_e32 0x80, v2
	s_cbranch_execz .LBB339_400
; %bb.395:                              ;   in Loop: Header=BB339_9 Depth=1
	v_and_b32_e32 v11, 0x7f, v12
	v_mov_b32_e32 v10, 0x7f800001
	s_mov_b32 s30, exec_lo
	s_delay_alu instid0(VALU_DEP_2)
	v_cmpx_ne_u32_e32 0x7f, v11
	s_cbranch_execz .LBB339_399
; %bb.396:                              ;   in Loop: Header=BB339_9 Depth=1
	v_dual_lshrrev_b32 v10, 3, v11 :: v_dual_bitop2_b32 v2, 7, v12 bitop3:0x40
	s_mov_b32 s31, exec_lo
	v_cmpx_gt_u32_e32 8, v11
; %bb.397:                              ;   in Loop: Header=BB339_9 Depth=1
	s_delay_alu instid0(VALU_DEP_2) | instskip(NEXT) | instid1(VALU_DEP_1)
	v_clz_i32_u32_e32 v10, v2
	v_min_u32_e32 v10, 32, v10
	s_delay_alu instid0(VALU_DEP_1) | instskip(SKIP_1) | instid1(VALU_DEP_2)
	v_subrev_nc_u32_e32 v11, 28, v10
	v_sub_nc_u32_e32 v10, 29, v10
	v_lshlrev_b64_e32 v[14:15], v11, v[2:3]
	s_delay_alu instid0(VALU_DEP_1)
	v_and_b32_e32 v2, 7, v14
; %bb.398:                              ;   in Loop: Header=BB339_9 Depth=1
	s_or_b32 exec_lo, exec_lo, s31
	s_delay_alu instid0(VALU_DEP_1) | instskip(SKIP_1) | instid1(VALU_DEP_2)
	v_dual_lshlrev_b32 v11, 24, v12 :: v_dual_lshlrev_b32 v2, 20, v2
	v_lshl_add_u32 v10, v10, 23, 0x3c000000
	v_and_b32_e32 v11, 0x80000000, v11
	s_delay_alu instid0(VALU_DEP_1)
	v_or3_b32 v10, v2, v11, v10
.LBB339_399:                            ;   in Loop: Header=BB339_9 Depth=1
	s_or_b32 exec_lo, exec_lo, s30
.LBB339_400:                            ;   in Loop: Header=BB339_9 Depth=1
	s_delay_alu instid0(SALU_CYCLE_1)
	s_or_b32 exec_lo, exec_lo, s29
.LBB339_401:                            ;   in Loop: Header=BB339_9 Depth=1
	s_delay_alu instid0(SALU_CYCLE_1) | instskip(SKIP_2) | instid1(VALU_DEP_1)
	s_or_b32 exec_lo, exec_lo, s28
	v_lshrrev_b16 v2, 8, v12
	s_mov_b32 s28, exec_lo
	v_cmpx_ne_u16_e32 0, v2
	s_cbranch_execz .LBB339_409
; %bb.402:                              ;   in Loop: Header=BB339_9 Depth=1
	v_bfrev_b32_e32 v0, 1
	s_mov_b32 s29, exec_lo
	v_cmpx_ne_u16_e32 0x80, v2
	s_cbranch_execz .LBB339_408
; %bb.403:                              ;   in Loop: Header=BB339_9 Depth=1
	v_and_b32_e32 v2, 0xffff, v2
	v_mov_b32_e32 v0, 0x7f800001
	s_mov_b32 s30, exec_lo
	s_delay_alu instid0(VALU_DEP_2) | instskip(NEXT) | instid1(VALU_DEP_1)
	v_and_b32_e32 v11, 0x7f, v2
	v_cmpx_ne_u32_e32 0x7f, v11
	s_cbranch_execz .LBB339_407
; %bb.404:                              ;   in Loop: Header=BB339_9 Depth=1
	v_dual_lshrrev_b32 v0, 3, v11 :: v_dual_bitop2_b32 v2, 7, v2 bitop3:0x40
	s_mov_b32 s31, exec_lo
	v_cmpx_gt_u32_e32 8, v11
; %bb.405:                              ;   in Loop: Header=BB339_9 Depth=1
	s_delay_alu instid0(VALU_DEP_2) | instskip(NEXT) | instid1(VALU_DEP_1)
	v_clz_i32_u32_e32 v0, v2
	v_min_u32_e32 v0, 32, v0
	s_delay_alu instid0(VALU_DEP_1) | instskip(NEXT) | instid1(VALU_DEP_1)
	v_subrev_nc_u32_e32 v11, 28, v0
	v_lshlrev_b64_e32 v[14:15], v11, v[2:3]
	s_delay_alu instid0(VALU_DEP_1)
	v_dual_sub_nc_u32 v0, 29, v0 :: v_dual_bitop2_b32 v2, 7, v14 bitop3:0x40
; %bb.406:                              ;   in Loop: Header=BB339_9 Depth=1
	s_or_b32 exec_lo, exec_lo, s31
	s_delay_alu instid0(VALU_DEP_1) | instskip(NEXT) | instid1(VALU_DEP_2)
	v_dual_lshlrev_b32 v11, 16, v12 :: v_dual_lshlrev_b32 v2, 20, v2
	v_lshl_add_u32 v0, v0, 23, 0x3c000000
	s_delay_alu instid0(VALU_DEP_2) | instskip(NEXT) | instid1(VALU_DEP_1)
	v_and_b32_e32 v11, 0x80000000, v11
	v_or3_b32 v0, v2, v11, v0
.LBB339_407:                            ;   in Loop: Header=BB339_9 Depth=1
	s_or_b32 exec_lo, exec_lo, s30
.LBB339_408:                            ;   in Loop: Header=BB339_9 Depth=1
	s_delay_alu instid0(SALU_CYCLE_1)
	s_or_b32 exec_lo, exec_lo, s29
.LBB339_409:                            ;   in Loop: Header=BB339_9 Depth=1
	s_delay_alu instid0(SALU_CYCLE_1) | instskip(SKIP_3) | instid1(VALU_DEP_2)
	s_or_b32 exec_lo, exec_lo, s28
	v_dual_mov_b32 v38, 0 :: v_dual_lshrrev_b32 v13, 16, v12
	v_mov_b32_e32 v11, 0
	s_mov_b32 s28, exec_lo
	v_and_b32_e32 v2, 0xff, v13
	s_delay_alu instid0(VALU_DEP_1)
	v_cmpx_ne_u16_e32 0, v2
	s_cbranch_execz .LBB339_417
; %bb.410:                              ;   in Loop: Header=BB339_9 Depth=1
	v_bfrev_b32_e32 v11, 1
	s_mov_b32 s29, exec_lo
	v_cmpx_ne_u16_e32 0x80, v2
	s_cbranch_execz .LBB339_416
; %bb.411:                              ;   in Loop: Header=BB339_9 Depth=1
	v_bfe_u32 v14, v12, 16, 7
	v_mov_b32_e32 v11, 0x7f800001
	s_mov_b32 s30, exec_lo
	s_delay_alu instid0(VALU_DEP_2)
	v_cmpx_ne_u32_e32 0x7f, v14
	s_cbranch_execz .LBB339_415
; %bb.412:                              ;   in Loop: Header=BB339_9 Depth=1
	v_dual_lshrrev_b32 v11, 3, v14 :: v_dual_bitop2_b32 v2, 7, v13 bitop3:0x40
	s_mov_b32 s31, exec_lo
	v_cmpx_gt_u32_e32 8, v14
; %bb.413:                              ;   in Loop: Header=BB339_9 Depth=1
	s_delay_alu instid0(VALU_DEP_2) | instskip(NEXT) | instid1(VALU_DEP_1)
	v_clz_i32_u32_e32 v11, v2
	v_min_u32_e32 v11, 32, v11
	s_delay_alu instid0(VALU_DEP_1) | instskip(NEXT) | instid1(VALU_DEP_1)
	v_subrev_nc_u32_e32 v14, 28, v11
	v_lshlrev_b64_e32 v[14:15], v14, v[2:3]
	s_delay_alu instid0(VALU_DEP_1)
	v_dual_sub_nc_u32 v11, 29, v11 :: v_dual_bitop2_b32 v2, 7, v14 bitop3:0x40
; %bb.414:                              ;   in Loop: Header=BB339_9 Depth=1
	s_or_b32 exec_lo, exec_lo, s31
	s_delay_alu instid0(VALU_DEP_1) | instskip(NEXT) | instid1(VALU_DEP_2)
	v_dual_lshlrev_b32 v13, 24, v13 :: v_dual_lshlrev_b32 v2, 20, v2
	v_lshl_add_u32 v11, v11, 23, 0x3c000000
	s_delay_alu instid0(VALU_DEP_2) | instskip(NEXT) | instid1(VALU_DEP_1)
	v_and_b32_e32 v13, 0x80000000, v13
	v_or3_b32 v11, v2, v13, v11
.LBB339_415:                            ;   in Loop: Header=BB339_9 Depth=1
	s_or_b32 exec_lo, exec_lo, s30
.LBB339_416:                            ;   in Loop: Header=BB339_9 Depth=1
	s_delay_alu instid0(SALU_CYCLE_1)
	s_or_b32 exec_lo, exec_lo, s29
.LBB339_417:                            ;   in Loop: Header=BB339_9 Depth=1
	s_delay_alu instid0(SALU_CYCLE_1) | instskip(NEXT) | instid1(SALU_CYCLE_1)
	s_or_b32 exec_lo, exec_lo, s28
	s_mov_b32 s28, exec_lo
	v_cmpx_lt_u32_e32 0xffffff, v12
	s_cbranch_execz .LBB339_425
; %bb.418:                              ;   in Loop: Header=BB339_9 Depth=1
	v_lshrrev_b32_e32 v13, 24, v12
	v_bfrev_b32_e32 v38, 1
	s_mov_b32 s29, exec_lo
	s_delay_alu instid0(VALU_DEP_2)
	v_cmpx_ne_u32_e32 0x80, v13
	s_cbranch_execz .LBB339_424
; %bb.419:                              ;   in Loop: Header=BB339_9 Depth=1
	v_bfe_u32 v14, v12, 24, 7
	v_mov_b32_e32 v38, 0x7f800001
	s_mov_b32 s30, exec_lo
	s_delay_alu instid0(VALU_DEP_2)
	v_cmpx_ne_u32_e32 0x7f, v14
	s_cbranch_execz .LBB339_423
; %bb.420:                              ;   in Loop: Header=BB339_9 Depth=1
	v_dual_lshrrev_b32 v12, 3, v14 :: v_dual_bitop2_b32 v2, 7, v13 bitop3:0x40
	s_mov_b32 s31, exec_lo
	v_cmpx_gt_u32_e32 8, v14
; %bb.421:                              ;   in Loop: Header=BB339_9 Depth=1
	s_delay_alu instid0(VALU_DEP_2) | instskip(NEXT) | instid1(VALU_DEP_1)
	v_clz_i32_u32_e32 v12, v2
	v_min_u32_e32 v12, 32, v12
	s_delay_alu instid0(VALU_DEP_1) | instskip(NEXT) | instid1(VALU_DEP_1)
	v_subrev_nc_u32_e32 v14, 28, v12
	v_lshlrev_b64_e32 v[14:15], v14, v[2:3]
	s_delay_alu instid0(VALU_DEP_1)
	v_dual_sub_nc_u32 v12, 29, v12 :: v_dual_bitop2_b32 v2, 7, v14 bitop3:0x40
; %bb.422:                              ;   in Loop: Header=BB339_9 Depth=1
	s_or_b32 exec_lo, exec_lo, s31
	s_delay_alu instid0(VALU_DEP_1) | instskip(NEXT) | instid1(VALU_DEP_2)
	v_dual_lshlrev_b32 v13, 24, v13 :: v_dual_lshlrev_b32 v2, 20, v2
	v_lshl_add_u32 v12, v12, 23, 0x3c000000
	s_delay_alu instid0(VALU_DEP_2) | instskip(NEXT) | instid1(VALU_DEP_1)
	v_and_b32_e32 v13, 0x80000000, v13
	v_or3_b32 v38, v2, v13, v12
.LBB339_423:                            ;   in Loop: Header=BB339_9 Depth=1
	s_or_b32 exec_lo, exec_lo, s30
.LBB339_424:                            ;   in Loop: Header=BB339_9 Depth=1
	s_delay_alu instid0(SALU_CYCLE_1)
	s_or_b32 exec_lo, exec_lo, s29
.LBB339_425:                            ;   in Loop: Header=BB339_9 Depth=1
	s_delay_alu instid0(SALU_CYCLE_1)
	s_or_b32 exec_lo, exec_lo, s28
	global_load_b32 v16, v[8:9], off offset:1544
	v_dual_mov_b32 v14, 0 :: v_dual_mov_b32 v13, 0
	s_mov_b32 s28, exec_lo
	s_wait_loadcnt 0x0
	v_and_b32_e32 v2, 0xff, v16
	s_wait_xcnt 0x0
	s_delay_alu instid0(VALU_DEP_1)
	v_cmpx_ne_u16_e32 0, v2
	s_cbranch_execz .LBB339_433
; %bb.426:                              ;   in Loop: Header=BB339_9 Depth=1
	v_bfrev_b32_e32 v13, 1
	s_mov_b32 s29, exec_lo
	v_cmpx_ne_u16_e32 0x80, v2
	s_cbranch_execz .LBB339_432
; %bb.427:                              ;   in Loop: Header=BB339_9 Depth=1
	v_and_b32_e32 v15, 0x7f, v16
	v_mov_b32_e32 v13, 0x7f800001
	s_mov_b32 s30, exec_lo
	s_delay_alu instid0(VALU_DEP_2)
	v_cmpx_ne_u32_e32 0x7f, v15
	s_cbranch_execz .LBB339_431
; %bb.428:                              ;   in Loop: Header=BB339_9 Depth=1
	v_dual_lshrrev_b32 v12, 3, v15 :: v_dual_bitop2_b32 v2, 7, v16 bitop3:0x40
	s_mov_b32 s31, exec_lo
	v_cmpx_gt_u32_e32 8, v15
; %bb.429:                              ;   in Loop: Header=BB339_9 Depth=1
	s_delay_alu instid0(VALU_DEP_2) | instskip(NEXT) | instid1(VALU_DEP_1)
	v_clz_i32_u32_e32 v12, v2
	v_min_u32_e32 v12, 32, v12
	s_delay_alu instid0(VALU_DEP_1) | instskip(NEXT) | instid1(VALU_DEP_1)
	v_subrev_nc_u32_e32 v13, 28, v12
	v_lshlrev_b64_e32 v[18:19], v13, v[2:3]
	s_delay_alu instid0(VALU_DEP_1)
	v_dual_sub_nc_u32 v12, 29, v12 :: v_dual_bitop2_b32 v2, 7, v18 bitop3:0x40
; %bb.430:                              ;   in Loop: Header=BB339_9 Depth=1
	s_or_b32 exec_lo, exec_lo, s31
	s_delay_alu instid0(VALU_DEP_1) | instskip(NEXT) | instid1(VALU_DEP_2)
	v_dual_lshlrev_b32 v13, 24, v16 :: v_dual_lshlrev_b32 v2, 20, v2
	v_lshl_add_u32 v12, v12, 23, 0x3c000000
	s_delay_alu instid0(VALU_DEP_2) | instskip(NEXT) | instid1(VALU_DEP_1)
	v_and_b32_e32 v13, 0x80000000, v13
	v_or3_b32 v13, v2, v13, v12
.LBB339_431:                            ;   in Loop: Header=BB339_9 Depth=1
	s_or_b32 exec_lo, exec_lo, s30
.LBB339_432:                            ;   in Loop: Header=BB339_9 Depth=1
	s_delay_alu instid0(SALU_CYCLE_1)
	s_or_b32 exec_lo, exec_lo, s29
.LBB339_433:                            ;   in Loop: Header=BB339_9 Depth=1
	s_delay_alu instid0(SALU_CYCLE_1) | instskip(SKIP_2) | instid1(VALU_DEP_1)
	s_or_b32 exec_lo, exec_lo, s28
	v_lshrrev_b16 v2, 8, v16
	s_mov_b32 s28, exec_lo
	v_cmpx_ne_u16_e32 0, v2
	s_cbranch_execz .LBB339_441
; %bb.434:                              ;   in Loop: Header=BB339_9 Depth=1
	v_bfrev_b32_e32 v14, 1
	s_mov_b32 s29, exec_lo
	v_cmpx_ne_u16_e32 0x80, v2
	s_cbranch_execz .LBB339_440
; %bb.435:                              ;   in Loop: Header=BB339_9 Depth=1
	v_and_b32_e32 v2, 0xffff, v2
	v_mov_b32_e32 v14, 0x7f800001
	s_mov_b32 s30, exec_lo
	s_delay_alu instid0(VALU_DEP_2) | instskip(NEXT) | instid1(VALU_DEP_1)
	v_and_b32_e32 v15, 0x7f, v2
	v_cmpx_ne_u32_e32 0x7f, v15
	s_cbranch_execz .LBB339_439
; %bb.436:                              ;   in Loop: Header=BB339_9 Depth=1
	v_dual_lshrrev_b32 v12, 3, v15 :: v_dual_bitop2_b32 v2, 7, v2 bitop3:0x40
	s_mov_b32 s31, exec_lo
	v_cmpx_gt_u32_e32 8, v15
; %bb.437:                              ;   in Loop: Header=BB339_9 Depth=1
	s_delay_alu instid0(VALU_DEP_2) | instskip(NEXT) | instid1(VALU_DEP_1)
	v_clz_i32_u32_e32 v12, v2
	v_min_u32_e32 v12, 32, v12
	s_delay_alu instid0(VALU_DEP_1) | instskip(NEXT) | instid1(VALU_DEP_1)
	v_subrev_nc_u32_e32 v14, 28, v12
	v_lshlrev_b64_e32 v[14:15], v14, v[2:3]
	s_delay_alu instid0(VALU_DEP_1)
	v_dual_sub_nc_u32 v12, 29, v12 :: v_dual_bitop2_b32 v2, 7, v14 bitop3:0x40
; %bb.438:                              ;   in Loop: Header=BB339_9 Depth=1
	s_or_b32 exec_lo, exec_lo, s31
	s_delay_alu instid0(VALU_DEP_1) | instskip(NEXT) | instid1(VALU_DEP_2)
	v_dual_lshlrev_b32 v14, 16, v16 :: v_dual_lshlrev_b32 v2, 20, v2
	v_lshl_add_u32 v12, v12, 23, 0x3c000000
	s_delay_alu instid0(VALU_DEP_2) | instskip(NEXT) | instid1(VALU_DEP_1)
	v_and_b32_e32 v14, 0x80000000, v14
	v_or3_b32 v14, v2, v14, v12
.LBB339_439:                            ;   in Loop: Header=BB339_9 Depth=1
	s_or_b32 exec_lo, exec_lo, s30
.LBB339_440:                            ;   in Loop: Header=BB339_9 Depth=1
	s_delay_alu instid0(SALU_CYCLE_1)
	s_or_b32 exec_lo, exec_lo, s29
.LBB339_441:                            ;   in Loop: Header=BB339_9 Depth=1
	s_delay_alu instid0(SALU_CYCLE_1) | instskip(SKIP_3) | instid1(VALU_DEP_2)
	s_or_b32 exec_lo, exec_lo, s28
	v_dual_mov_b32 v12, 0 :: v_dual_lshrrev_b32 v17, 16, v16
	v_mov_b32_e32 v15, 0
	s_mov_b32 s28, exec_lo
	v_and_b32_e32 v2, 0xff, v17
	s_delay_alu instid0(VALU_DEP_1)
	v_cmpx_ne_u16_e32 0, v2
	s_cbranch_execz .LBB339_449
; %bb.442:                              ;   in Loop: Header=BB339_9 Depth=1
	v_bfrev_b32_e32 v15, 1
	s_mov_b32 s29, exec_lo
	v_cmpx_ne_u16_e32 0x80, v2
	s_cbranch_execz .LBB339_448
; %bb.443:                              ;   in Loop: Header=BB339_9 Depth=1
	v_bfe_u32 v18, v16, 16, 7
	v_mov_b32_e32 v15, 0x7f800001
	s_mov_b32 s30, exec_lo
	s_delay_alu instid0(VALU_DEP_2)
	v_cmpx_ne_u32_e32 0x7f, v18
	s_cbranch_execz .LBB339_447
; %bb.444:                              ;   in Loop: Header=BB339_9 Depth=1
	v_dual_lshrrev_b32 v15, 3, v18 :: v_dual_bitop2_b32 v2, 7, v17 bitop3:0x40
	s_mov_b32 s31, exec_lo
	v_cmpx_gt_u32_e32 8, v18
; %bb.445:                              ;   in Loop: Header=BB339_9 Depth=1
	s_delay_alu instid0(VALU_DEP_2) | instskip(NEXT) | instid1(VALU_DEP_1)
	v_clz_i32_u32_e32 v15, v2
	v_min_u32_e32 v15, 32, v15
	s_delay_alu instid0(VALU_DEP_1) | instskip(NEXT) | instid1(VALU_DEP_1)
	v_subrev_nc_u32_e32 v18, 28, v15
	v_lshlrev_b64_e32 v[18:19], v18, v[2:3]
	s_delay_alu instid0(VALU_DEP_1)
	v_dual_sub_nc_u32 v15, 29, v15 :: v_dual_bitop2_b32 v2, 7, v18 bitop3:0x40
; %bb.446:                              ;   in Loop: Header=BB339_9 Depth=1
	s_or_b32 exec_lo, exec_lo, s31
	s_delay_alu instid0(VALU_DEP_1) | instskip(NEXT) | instid1(VALU_DEP_2)
	v_dual_lshlrev_b32 v17, 24, v17 :: v_dual_lshlrev_b32 v2, 20, v2
	v_lshl_add_u32 v15, v15, 23, 0x3c000000
	s_delay_alu instid0(VALU_DEP_2) | instskip(NEXT) | instid1(VALU_DEP_1)
	v_and_b32_e32 v17, 0x80000000, v17
	v_or3_b32 v15, v2, v17, v15
.LBB339_447:                            ;   in Loop: Header=BB339_9 Depth=1
	s_or_b32 exec_lo, exec_lo, s30
.LBB339_448:                            ;   in Loop: Header=BB339_9 Depth=1
	s_delay_alu instid0(SALU_CYCLE_1)
	s_or_b32 exec_lo, exec_lo, s29
.LBB339_449:                            ;   in Loop: Header=BB339_9 Depth=1
	s_delay_alu instid0(SALU_CYCLE_1) | instskip(NEXT) | instid1(SALU_CYCLE_1)
	s_or_b32 exec_lo, exec_lo, s28
	s_mov_b32 s28, exec_lo
	v_cmpx_lt_u32_e32 0xffffff, v16
	s_cbranch_execz .LBB339_457
; %bb.450:                              ;   in Loop: Header=BB339_9 Depth=1
	v_lshrrev_b32_e32 v17, 24, v16
	v_bfrev_b32_e32 v12, 1
	s_mov_b32 s29, exec_lo
	s_delay_alu instid0(VALU_DEP_2)
	v_cmpx_ne_u32_e32 0x80, v17
	s_cbranch_execz .LBB339_456
; %bb.451:                              ;   in Loop: Header=BB339_9 Depth=1
	v_bfe_u32 v16, v16, 24, 7
	v_mov_b32_e32 v12, 0x7f800001
	s_mov_b32 s30, exec_lo
	s_delay_alu instid0(VALU_DEP_2)
	v_cmpx_ne_u32_e32 0x7f, v16
	s_cbranch_execz .LBB339_455
; %bb.452:                              ;   in Loop: Header=BB339_9 Depth=1
	v_dual_lshrrev_b32 v12, 3, v16 :: v_dual_bitop2_b32 v2, 7, v17 bitop3:0x40
	s_mov_b32 s31, exec_lo
	v_cmpx_gt_u32_e32 8, v16
; %bb.453:                              ;   in Loop: Header=BB339_9 Depth=1
	s_delay_alu instid0(VALU_DEP_2) | instskip(NEXT) | instid1(VALU_DEP_1)
	v_clz_i32_u32_e32 v12, v2
	v_min_u32_e32 v12, 32, v12
	s_delay_alu instid0(VALU_DEP_1) | instskip(NEXT) | instid1(VALU_DEP_1)
	v_subrev_nc_u32_e32 v16, 28, v12
	v_lshlrev_b64_e32 v[18:19], v16, v[2:3]
	s_delay_alu instid0(VALU_DEP_1)
	v_dual_sub_nc_u32 v12, 29, v12 :: v_dual_bitop2_b32 v2, 7, v18 bitop3:0x40
; %bb.454:                              ;   in Loop: Header=BB339_9 Depth=1
	s_or_b32 exec_lo, exec_lo, s31
	s_delay_alu instid0(VALU_DEP_1) | instskip(NEXT) | instid1(VALU_DEP_2)
	v_dual_lshlrev_b32 v16, 24, v17 :: v_dual_lshlrev_b32 v2, 20, v2
	v_lshl_add_u32 v12, v12, 23, 0x3c000000
	s_delay_alu instid0(VALU_DEP_2) | instskip(NEXT) | instid1(VALU_DEP_1)
	v_and_b32_e32 v16, 0x80000000, v16
	v_or3_b32 v12, v2, v16, v12
.LBB339_455:                            ;   in Loop: Header=BB339_9 Depth=1
	s_or_b32 exec_lo, exec_lo, s30
.LBB339_456:                            ;   in Loop: Header=BB339_9 Depth=1
	s_delay_alu instid0(SALU_CYCLE_1)
	s_or_b32 exec_lo, exec_lo, s29
.LBB339_457:                            ;   in Loop: Header=BB339_9 Depth=1
	s_delay_alu instid0(SALU_CYCLE_1)
	s_or_b32 exec_lo, exec_lo, s28
	global_load_b32 v20, v[8:9], off offset:1792
	v_dual_mov_b32 v17, 0 :: v_dual_mov_b32 v16, 0
	s_mov_b32 s28, exec_lo
	s_wait_loadcnt 0x0
	v_and_b32_e32 v2, 0xff, v20
	s_wait_xcnt 0x0
	s_delay_alu instid0(VALU_DEP_1)
	v_cmpx_ne_u16_e32 0, v2
	s_cbranch_execz .LBB339_465
; %bb.458:                              ;   in Loop: Header=BB339_9 Depth=1
	v_bfrev_b32_e32 v16, 1
	s_mov_b32 s29, exec_lo
	v_cmpx_ne_u16_e32 0x80, v2
	s_cbranch_execz .LBB339_464
; %bb.459:                              ;   in Loop: Header=BB339_9 Depth=1
	v_and_b32_e32 v18, 0x7f, v20
	v_mov_b32_e32 v16, 0x7f800001
	s_mov_b32 s30, exec_lo
	s_delay_alu instid0(VALU_DEP_2)
	v_cmpx_ne_u32_e32 0x7f, v18
	s_cbranch_execz .LBB339_463
; %bb.460:                              ;   in Loop: Header=BB339_9 Depth=1
	v_dual_lshrrev_b32 v16, 3, v18 :: v_dual_bitop2_b32 v2, 7, v20 bitop3:0x40
	s_mov_b32 s31, exec_lo
	v_cmpx_gt_u32_e32 8, v18
; %bb.461:                              ;   in Loop: Header=BB339_9 Depth=1
	s_delay_alu instid0(VALU_DEP_2) | instskip(NEXT) | instid1(VALU_DEP_1)
	v_clz_i32_u32_e32 v16, v2
	v_min_u32_e32 v16, 32, v16
	s_delay_alu instid0(VALU_DEP_1) | instskip(NEXT) | instid1(VALU_DEP_1)
	v_subrev_nc_u32_e32 v18, 28, v16
	v_lshlrev_b64_e32 v[18:19], v18, v[2:3]
	s_delay_alu instid0(VALU_DEP_1)
	v_dual_sub_nc_u32 v16, 29, v16 :: v_dual_bitop2_b32 v2, 7, v18 bitop3:0x40
; %bb.462:                              ;   in Loop: Header=BB339_9 Depth=1
	s_or_b32 exec_lo, exec_lo, s31
	s_delay_alu instid0(VALU_DEP_1) | instskip(NEXT) | instid1(VALU_DEP_2)
	v_dual_lshlrev_b32 v18, 24, v20 :: v_dual_lshlrev_b32 v2, 20, v2
	v_lshl_add_u32 v16, v16, 23, 0x3c000000
	s_delay_alu instid0(VALU_DEP_2) | instskip(NEXT) | instid1(VALU_DEP_1)
	v_and_b32_e32 v18, 0x80000000, v18
	v_or3_b32 v16, v2, v18, v16
.LBB339_463:                            ;   in Loop: Header=BB339_9 Depth=1
	s_or_b32 exec_lo, exec_lo, s30
.LBB339_464:                            ;   in Loop: Header=BB339_9 Depth=1
	s_delay_alu instid0(SALU_CYCLE_1)
	s_or_b32 exec_lo, exec_lo, s29
.LBB339_465:                            ;   in Loop: Header=BB339_9 Depth=1
	s_delay_alu instid0(SALU_CYCLE_1) | instskip(SKIP_2) | instid1(VALU_DEP_1)
	s_or_b32 exec_lo, exec_lo, s28
	v_lshrrev_b16 v2, 8, v20
	s_mov_b32 s28, exec_lo
	v_cmpx_ne_u16_e32 0, v2
	s_cbranch_execz .LBB339_473
; %bb.466:                              ;   in Loop: Header=BB339_9 Depth=1
	v_bfrev_b32_e32 v17, 1
	s_mov_b32 s29, exec_lo
	v_cmpx_ne_u16_e32 0x80, v2
	s_cbranch_execz .LBB339_472
; %bb.467:                              ;   in Loop: Header=BB339_9 Depth=1
	v_and_b32_e32 v2, 0xffff, v2
	v_mov_b32_e32 v17, 0x7f800001
	s_mov_b32 s30, exec_lo
	s_delay_alu instid0(VALU_DEP_2) | instskip(NEXT) | instid1(VALU_DEP_1)
	v_and_b32_e32 v18, 0x7f, v2
	v_cmpx_ne_u32_e32 0x7f, v18
	s_cbranch_execz .LBB339_471
; %bb.468:                              ;   in Loop: Header=BB339_9 Depth=1
	v_and_b32_e32 v2, 7, v2
	v_lshrrev_b32_e32 v17, 3, v18
	s_mov_b32 s31, exec_lo
	v_cmpx_gt_u32_e32 8, v18
; %bb.469:                              ;   in Loop: Header=BB339_9 Depth=1
	s_delay_alu instid0(VALU_DEP_3) | instskip(NEXT) | instid1(VALU_DEP_1)
	v_clz_i32_u32_e32 v17, v2
	v_min_u32_e32 v17, 32, v17
	s_delay_alu instid0(VALU_DEP_1) | instskip(NEXT) | instid1(VALU_DEP_1)
	v_subrev_nc_u32_e32 v18, 28, v17
	v_lshlrev_b64_e32 v[18:19], v18, v[2:3]
	s_delay_alu instid0(VALU_DEP_1)
	v_dual_sub_nc_u32 v17, 29, v17 :: v_dual_bitop2_b32 v2, 7, v18 bitop3:0x40
; %bb.470:                              ;   in Loop: Header=BB339_9 Depth=1
	s_or_b32 exec_lo, exec_lo, s31
	s_delay_alu instid0(VALU_DEP_1) | instskip(NEXT) | instid1(VALU_DEP_2)
	v_dual_lshlrev_b32 v18, 16, v20 :: v_dual_lshlrev_b32 v2, 20, v2
	v_lshl_add_u32 v17, v17, 23, 0x3c000000
	s_delay_alu instid0(VALU_DEP_2) | instskip(NEXT) | instid1(VALU_DEP_1)
	v_and_b32_e32 v18, 0x80000000, v18
	v_or3_b32 v17, v2, v18, v17
.LBB339_471:                            ;   in Loop: Header=BB339_9 Depth=1
	s_or_b32 exec_lo, exec_lo, s30
.LBB339_472:                            ;   in Loop: Header=BB339_9 Depth=1
	s_delay_alu instid0(SALU_CYCLE_1)
	s_or_b32 exec_lo, exec_lo, s29
.LBB339_473:                            ;   in Loop: Header=BB339_9 Depth=1
	s_delay_alu instid0(SALU_CYCLE_1) | instskip(SKIP_3) | instid1(VALU_DEP_2)
	s_or_b32 exec_lo, exec_lo, s28
	v_dual_mov_b32 v18, 0 :: v_dual_lshrrev_b32 v21, 16, v20
	v_mov_b32_e32 v19, 0
	s_mov_b32 s28, exec_lo
	v_and_b32_e32 v2, 0xff, v21
	s_delay_alu instid0(VALU_DEP_1)
	v_cmpx_ne_u16_e32 0, v2
	s_cbranch_execz .LBB339_481
; %bb.474:                              ;   in Loop: Header=BB339_9 Depth=1
	v_bfrev_b32_e32 v19, 1
	s_mov_b32 s29, exec_lo
	v_cmpx_ne_u16_e32 0x80, v2
	s_cbranch_execz .LBB339_480
; %bb.475:                              ;   in Loop: Header=BB339_9 Depth=1
	v_bfe_u32 v23, v20, 16, 7
	v_mov_b32_e32 v19, 0x7f800001
	s_mov_b32 s30, exec_lo
	s_delay_alu instid0(VALU_DEP_2)
	v_cmpx_ne_u32_e32 0x7f, v23
	s_cbranch_execz .LBB339_479
; %bb.476:                              ;   in Loop: Header=BB339_9 Depth=1
	v_dual_lshrrev_b32 v19, 3, v23 :: v_dual_bitop2_b32 v2, 7, v21 bitop3:0x40
	s_mov_b32 s31, exec_lo
	v_cmpx_gt_u32_e32 8, v23
; %bb.477:                              ;   in Loop: Header=BB339_9 Depth=1
	s_delay_alu instid0(VALU_DEP_2) | instskip(NEXT) | instid1(VALU_DEP_1)
	v_clz_i32_u32_e32 v19, v2
	v_min_u32_e32 v19, 32, v19
	s_delay_alu instid0(VALU_DEP_1) | instskip(NEXT) | instid1(VALU_DEP_1)
	v_subrev_nc_u32_e32 v23, 28, v19
	v_lshlrev_b64_e32 v[24:25], v23, v[2:3]
	s_delay_alu instid0(VALU_DEP_1)
	v_dual_sub_nc_u32 v19, 29, v19 :: v_dual_bitop2_b32 v2, 7, v24 bitop3:0x40
; %bb.478:                              ;   in Loop: Header=BB339_9 Depth=1
	s_or_b32 exec_lo, exec_lo, s31
	s_delay_alu instid0(VALU_DEP_1) | instskip(NEXT) | instid1(VALU_DEP_2)
	v_dual_lshlrev_b32 v21, 24, v21 :: v_dual_lshlrev_b32 v2, 20, v2
	v_lshl_add_u32 v19, v19, 23, 0x3c000000
	s_delay_alu instid0(VALU_DEP_2) | instskip(NEXT) | instid1(VALU_DEP_1)
	v_and_b32_e32 v21, 0x80000000, v21
	v_or3_b32 v19, v2, v21, v19
.LBB339_479:                            ;   in Loop: Header=BB339_9 Depth=1
	s_or_b32 exec_lo, exec_lo, s30
.LBB339_480:                            ;   in Loop: Header=BB339_9 Depth=1
	s_delay_alu instid0(SALU_CYCLE_1)
	s_or_b32 exec_lo, exec_lo, s29
.LBB339_481:                            ;   in Loop: Header=BB339_9 Depth=1
	s_delay_alu instid0(SALU_CYCLE_1) | instskip(NEXT) | instid1(SALU_CYCLE_1)
	s_or_b32 exec_lo, exec_lo, s28
	s_mov_b32 s28, exec_lo
	v_cmpx_lt_u32_e32 0xffffff, v20
	s_cbranch_execz .LBB339_489
; %bb.482:                              ;   in Loop: Header=BB339_9 Depth=1
	v_lshrrev_b32_e32 v21, 24, v20
	v_bfrev_b32_e32 v18, 1
	s_mov_b32 s29, exec_lo
	s_delay_alu instid0(VALU_DEP_2)
	v_cmpx_ne_u32_e32 0x80, v21
	s_cbranch_execz .LBB339_488
; %bb.483:                              ;   in Loop: Header=BB339_9 Depth=1
	v_bfe_u32 v20, v20, 24, 7
	v_mov_b32_e32 v18, 0x7f800001
	s_mov_b32 s30, exec_lo
	s_delay_alu instid0(VALU_DEP_2)
	v_cmpx_ne_u32_e32 0x7f, v20
	s_cbranch_execz .LBB339_487
; %bb.484:                              ;   in Loop: Header=BB339_9 Depth=1
	v_dual_lshrrev_b32 v18, 3, v20 :: v_dual_bitop2_b32 v2, 7, v21 bitop3:0x40
	s_mov_b32 s31, exec_lo
	v_cmpx_gt_u32_e32 8, v20
; %bb.485:                              ;   in Loop: Header=BB339_9 Depth=1
	s_delay_alu instid0(VALU_DEP_2) | instskip(NEXT) | instid1(VALU_DEP_1)
	v_clz_i32_u32_e32 v18, v2
	v_min_u32_e32 v18, 32, v18
	s_delay_alu instid0(VALU_DEP_1) | instskip(NEXT) | instid1(VALU_DEP_1)
	v_subrev_nc_u32_e32 v20, 28, v18
	v_lshlrev_b64_e32 v[24:25], v20, v[2:3]
	s_delay_alu instid0(VALU_DEP_1)
	v_dual_sub_nc_u32 v18, 29, v18 :: v_dual_bitop2_b32 v2, 7, v24 bitop3:0x40
; %bb.486:                              ;   in Loop: Header=BB339_9 Depth=1
	s_or_b32 exec_lo, exec_lo, s31
	s_delay_alu instid0(VALU_DEP_1) | instskip(NEXT) | instid1(VALU_DEP_2)
	v_dual_lshlrev_b32 v20, 24, v21 :: v_dual_lshlrev_b32 v2, 20, v2
	v_lshl_add_u32 v18, v18, 23, 0x3c000000
	s_delay_alu instid0(VALU_DEP_2) | instskip(NEXT) | instid1(VALU_DEP_1)
	v_and_b32_e32 v20, 0x80000000, v20
	v_or3_b32 v18, v2, v20, v18
.LBB339_487:                            ;   in Loop: Header=BB339_9 Depth=1
	s_or_b32 exec_lo, exec_lo, s30
.LBB339_488:                            ;   in Loop: Header=BB339_9 Depth=1
	s_delay_alu instid0(SALU_CYCLE_1)
	s_or_b32 exec_lo, exec_lo, s29
.LBB339_489:                            ;   in Loop: Header=BB339_9 Depth=1
	s_delay_alu instid0(SALU_CYCLE_1)
	s_or_b32 exec_lo, exec_lo, s28
	global_load_b32 v23, v[8:9], off offset:1800
	v_dual_mov_b32 v21, 0 :: v_dual_mov_b32 v20, 0
	s_mov_b32 s28, exec_lo
	s_wait_loadcnt 0x0
	v_and_b32_e32 v2, 0xff, v23
	s_wait_xcnt 0x0
	s_delay_alu instid0(VALU_DEP_1)
	v_cmpx_ne_u16_e32 0, v2
	s_cbranch_execz .LBB339_497
; %bb.490:                              ;   in Loop: Header=BB339_9 Depth=1
	v_bfrev_b32_e32 v20, 1
	s_mov_b32 s29, exec_lo
	v_cmpx_ne_u16_e32 0x80, v2
	s_cbranch_execz .LBB339_496
; %bb.491:                              ;   in Loop: Header=BB339_9 Depth=1
	v_and_b32_e32 v9, 0x7f, v23
	v_mov_b32_e32 v20, 0x7f800001
	s_mov_b32 s30, exec_lo
	s_delay_alu instid0(VALU_DEP_2)
	v_cmpx_ne_u32_e32 0x7f, v9
	s_cbranch_execz .LBB339_495
; %bb.492:                              ;   in Loop: Header=BB339_9 Depth=1
	v_dual_lshrrev_b32 v8, 3, v9 :: v_dual_bitop2_b32 v2, 7, v23 bitop3:0x40
	s_mov_b32 s31, exec_lo
	v_cmpx_gt_u32_e32 8, v9
; %bb.493:                              ;   in Loop: Header=BB339_9 Depth=1
	s_delay_alu instid0(VALU_DEP_2) | instskip(NEXT) | instid1(VALU_DEP_1)
	v_clz_i32_u32_e32 v8, v2
	v_min_u32_e32 v8, 32, v8
	s_delay_alu instid0(VALU_DEP_1) | instskip(SKIP_1) | instid1(VALU_DEP_2)
	v_subrev_nc_u32_e32 v9, 28, v8
	v_sub_nc_u32_e32 v8, 29, v8
	v_lshlrev_b64_e32 v[24:25], v9, v[2:3]
	s_delay_alu instid0(VALU_DEP_1)
	v_and_b32_e32 v2, 7, v24
; %bb.494:                              ;   in Loop: Header=BB339_9 Depth=1
	s_or_b32 exec_lo, exec_lo, s31
	s_delay_alu instid0(VALU_DEP_1) | instskip(SKIP_1) | instid1(VALU_DEP_2)
	v_dual_lshlrev_b32 v9, 24, v23 :: v_dual_lshlrev_b32 v2, 20, v2
	v_lshl_add_u32 v8, v8, 23, 0x3c000000
	v_and_b32_e32 v9, 0x80000000, v9
	s_delay_alu instid0(VALU_DEP_1)
	v_or3_b32 v20, v2, v9, v8
.LBB339_495:                            ;   in Loop: Header=BB339_9 Depth=1
	s_or_b32 exec_lo, exec_lo, s30
.LBB339_496:                            ;   in Loop: Header=BB339_9 Depth=1
	s_delay_alu instid0(SALU_CYCLE_1)
	s_or_b32 exec_lo, exec_lo, s29
.LBB339_497:                            ;   in Loop: Header=BB339_9 Depth=1
	s_delay_alu instid0(SALU_CYCLE_1) | instskip(SKIP_2) | instid1(VALU_DEP_1)
	s_or_b32 exec_lo, exec_lo, s28
	v_lshrrev_b16 v2, 8, v23
	s_mov_b32 s28, exec_lo
	v_cmpx_ne_u16_e32 0, v2
	s_cbranch_execz .LBB339_505
; %bb.498:                              ;   in Loop: Header=BB339_9 Depth=1
	v_bfrev_b32_e32 v21, 1
	s_mov_b32 s29, exec_lo
	v_cmpx_ne_u16_e32 0x80, v2
	s_cbranch_execz .LBB339_504
; %bb.499:                              ;   in Loop: Header=BB339_9 Depth=1
	v_and_b32_e32 v2, 0xffff, v2
	v_mov_b32_e32 v21, 0x7f800001
	s_mov_b32 s30, exec_lo
	s_delay_alu instid0(VALU_DEP_2) | instskip(NEXT) | instid1(VALU_DEP_1)
	v_and_b32_e32 v9, 0x7f, v2
	v_cmpx_ne_u32_e32 0x7f, v9
	s_cbranch_execz .LBB339_503
; %bb.500:                              ;   in Loop: Header=BB339_9 Depth=1
	v_dual_lshrrev_b32 v8, 3, v9 :: v_dual_bitop2_b32 v2, 7, v2 bitop3:0x40
	s_mov_b32 s31, exec_lo
	v_cmpx_gt_u32_e32 8, v9
; %bb.501:                              ;   in Loop: Header=BB339_9 Depth=1
	s_delay_alu instid0(VALU_DEP_2) | instskip(NEXT) | instid1(VALU_DEP_1)
	v_clz_i32_u32_e32 v8, v2
	v_min_u32_e32 v8, 32, v8
	s_delay_alu instid0(VALU_DEP_1) | instskip(SKIP_1) | instid1(VALU_DEP_2)
	v_subrev_nc_u32_e32 v9, 28, v8
	v_sub_nc_u32_e32 v8, 29, v8
	v_lshlrev_b64_e32 v[24:25], v9, v[2:3]
	s_delay_alu instid0(VALU_DEP_1)
	v_and_b32_e32 v2, 7, v24
; %bb.502:                              ;   in Loop: Header=BB339_9 Depth=1
	s_or_b32 exec_lo, exec_lo, s31
	s_delay_alu instid0(VALU_DEP_1) | instskip(SKIP_1) | instid1(VALU_DEP_2)
	v_dual_lshlrev_b32 v9, 16, v23 :: v_dual_lshlrev_b32 v2, 20, v2
	v_lshl_add_u32 v8, v8, 23, 0x3c000000
	v_and_b32_e32 v9, 0x80000000, v9
	s_delay_alu instid0(VALU_DEP_1)
	v_or3_b32 v21, v2, v9, v8
.LBB339_503:                            ;   in Loop: Header=BB339_9 Depth=1
	s_or_b32 exec_lo, exec_lo, s30
.LBB339_504:                            ;   in Loop: Header=BB339_9 Depth=1
	s_delay_alu instid0(SALU_CYCLE_1)
	s_or_b32 exec_lo, exec_lo, s29
.LBB339_505:                            ;   in Loop: Header=BB339_9 Depth=1
	s_delay_alu instid0(SALU_CYCLE_1) | instskip(SKIP_3) | instid1(VALU_DEP_2)
	s_or_b32 exec_lo, exec_lo, s28
	v_dual_lshrrev_b32 v24, 16, v23 :: v_dual_mov_b32 v8, 0
	v_mov_b32_e32 v9, 0
	s_mov_b32 s28, exec_lo
	v_and_b32_e32 v2, 0xff, v24
	s_delay_alu instid0(VALU_DEP_1)
	v_cmpx_ne_u16_e32 0, v2
	s_cbranch_execz .LBB339_513
; %bb.506:                              ;   in Loop: Header=BB339_9 Depth=1
	v_bfrev_b32_e32 v9, 1
	s_mov_b32 s29, exec_lo
	v_cmpx_ne_u16_e32 0x80, v2
	s_cbranch_execz .LBB339_512
; %bb.507:                              ;   in Loop: Header=BB339_9 Depth=1
	v_bfe_u32 v25, v23, 16, 7
	v_mov_b32_e32 v9, 0x7f800001
	s_mov_b32 s30, exec_lo
	s_delay_alu instid0(VALU_DEP_2)
	v_cmpx_ne_u32_e32 0x7f, v25
	s_cbranch_execz .LBB339_511
; %bb.508:                              ;   in Loop: Header=BB339_9 Depth=1
	v_dual_lshrrev_b32 v9, 3, v25 :: v_dual_bitop2_b32 v2, 7, v24 bitop3:0x40
	s_mov_b32 s31, exec_lo
	v_cmpx_gt_u32_e32 8, v25
; %bb.509:                              ;   in Loop: Header=BB339_9 Depth=1
	s_delay_alu instid0(VALU_DEP_2) | instskip(NEXT) | instid1(VALU_DEP_1)
	v_clz_i32_u32_e32 v9, v2
	v_min_u32_e32 v9, 32, v9
	s_delay_alu instid0(VALU_DEP_1) | instskip(NEXT) | instid1(VALU_DEP_1)
	v_subrev_nc_u32_e32 v25, 28, v9
	v_lshlrev_b64_e32 v[26:27], v25, v[2:3]
	s_delay_alu instid0(VALU_DEP_1)
	v_dual_sub_nc_u32 v9, 29, v9 :: v_dual_bitop2_b32 v2, 7, v26 bitop3:0x40
; %bb.510:                              ;   in Loop: Header=BB339_9 Depth=1
	s_or_b32 exec_lo, exec_lo, s31
	s_delay_alu instid0(VALU_DEP_1) | instskip(NEXT) | instid1(VALU_DEP_2)
	v_dual_lshlrev_b32 v24, 24, v24 :: v_dual_lshlrev_b32 v2, 20, v2
	v_lshl_add_u32 v9, v9, 23, 0x3c000000
	s_delay_alu instid0(VALU_DEP_2) | instskip(NEXT) | instid1(VALU_DEP_1)
	v_and_b32_e32 v24, 0x80000000, v24
	v_or3_b32 v9, v2, v24, v9
.LBB339_511:                            ;   in Loop: Header=BB339_9 Depth=1
	s_or_b32 exec_lo, exec_lo, s30
.LBB339_512:                            ;   in Loop: Header=BB339_9 Depth=1
	s_delay_alu instid0(SALU_CYCLE_1)
	s_or_b32 exec_lo, exec_lo, s29
.LBB339_513:                            ;   in Loop: Header=BB339_9 Depth=1
	s_delay_alu instid0(SALU_CYCLE_1) | instskip(NEXT) | instid1(SALU_CYCLE_1)
	s_or_b32 exec_lo, exec_lo, s28
	s_mov_b32 s28, exec_lo
	v_cmpx_lt_u32_e32 0xffffff, v23
	s_cbranch_execz .LBB339_521
; %bb.514:                              ;   in Loop: Header=BB339_9 Depth=1
	v_lshrrev_b32_e32 v24, 24, v23
	v_bfrev_b32_e32 v8, 1
	s_mov_b32 s29, exec_lo
	s_delay_alu instid0(VALU_DEP_2)
	v_cmpx_ne_u32_e32 0x80, v24
	s_cbranch_execz .LBB339_520
; %bb.515:                              ;   in Loop: Header=BB339_9 Depth=1
	v_bfe_u32 v23, v23, 24, 7
	v_mov_b32_e32 v8, 0x7f800001
	s_mov_b32 s30, exec_lo
	s_delay_alu instid0(VALU_DEP_2)
	v_cmpx_ne_u32_e32 0x7f, v23
	s_cbranch_execz .LBB339_519
; %bb.516:                              ;   in Loop: Header=BB339_9 Depth=1
	v_dual_lshrrev_b32 v8, 3, v23 :: v_dual_bitop2_b32 v2, 7, v24 bitop3:0x40
	s_mov_b32 s31, exec_lo
	v_cmpx_gt_u32_e32 8, v23
; %bb.517:                              ;   in Loop: Header=BB339_9 Depth=1
	s_delay_alu instid0(VALU_DEP_2) | instskip(NEXT) | instid1(VALU_DEP_1)
	v_clz_i32_u32_e32 v8, v2
	v_min_u32_e32 v8, 32, v8
	s_delay_alu instid0(VALU_DEP_1) | instskip(NEXT) | instid1(VALU_DEP_1)
	v_subrev_nc_u32_e32 v23, 28, v8
	v_lshlrev_b64_e32 v[26:27], v23, v[2:3]
	s_delay_alu instid0(VALU_DEP_1)
	v_dual_sub_nc_u32 v8, 29, v8 :: v_dual_bitop2_b32 v2, 7, v26 bitop3:0x40
; %bb.518:                              ;   in Loop: Header=BB339_9 Depth=1
	s_or_b32 exec_lo, exec_lo, s31
	s_delay_alu instid0(VALU_DEP_1) | instskip(NEXT) | instid1(VALU_DEP_2)
	v_dual_lshlrev_b32 v23, 24, v24 :: v_dual_lshlrev_b32 v2, 20, v2
	v_lshl_add_u32 v8, v8, 23, 0x3c000000
	s_delay_alu instid0(VALU_DEP_2) | instskip(NEXT) | instid1(VALU_DEP_1)
	v_and_b32_e32 v23, 0x80000000, v23
	v_or3_b32 v8, v2, v23, v8
.LBB339_519:                            ;   in Loop: Header=BB339_9 Depth=1
	s_or_b32 exec_lo, exec_lo, s30
.LBB339_520:                            ;   in Loop: Header=BB339_9 Depth=1
	s_delay_alu instid0(SALU_CYCLE_1)
	s_or_b32 exec_lo, exec_lo, s29
.LBB339_521:                            ;   in Loop: Header=BB339_9 Depth=1
	s_delay_alu instid0(SALU_CYCLE_1)
	s_or_b32 exec_lo, exec_lo, s28
	scratch_load_b32 v24, off, off offset:16 ; 4-byte Folded Reload
	s_wait_kmcnt 0x0
	v_fma_mixlo_bf16 v2, s10, v89, 0
	v_fma_mixlo_bf16 v23, s10, v85, 0
	;; [unrolled: 1-line block ×5, first 2 shown]
	v_lshlrev_b32_e32 v2, 16, v2
	v_fma_mixlo_bf16 v97, s10, v97, 0
	v_fma_mixlo_bf16 v94, s10, v94, 0
	;; [unrolled: 1-line block ×33, first 2 shown]
	s_clause 0x1
	scratch_load_b32 v25, off, off offset:20
	scratch_load_b32 v26, off, off offset:24
	v_lshlrev_b32_e32 v90, 16, v90
	s_wait_loadcnt 0x2
	v_mul_f32_e32 v2, v24, v2
	scratch_load_b32 v24, off, off          ; 4-byte Folded Reload
	s_wait_loadcnt 0x0
	v_fma_mix_f32_bf16 v2, v24, v23, v2 op_sel_hi:[0,1,0]
	v_fma_mixlo_bf16 v23, s10, v88, 0
	v_fma_mixlo_bf16 v24, s10, v84, 0
	;; [unrolled: 1-line block ×4, first 2 shown]
	s_delay_alu instid0(VALU_DEP_4) | instskip(NEXT) | instid1(VALU_DEP_1)
	v_lshlrev_b32_e32 v23, 16, v23
	v_mul_f32_e32 v23, v25, v23
	scratch_load_b32 v25, off, off offset:4 ; 4-byte Folded Reload
	s_wait_loadcnt 0x0
	v_fma_mix_f32_bf16 v23, v25, v24, v23 op_sel_hi:[0,1,0]
	v_fma_mixlo_bf16 v24, s10, v91, 0
	v_fma_mixlo_bf16 v25, s10, v87, 0
	;; [unrolled: 1-line block ×4, first 2 shown]
	s_delay_alu instid0(VALU_DEP_4) | instskip(NEXT) | instid1(VALU_DEP_1)
	v_lshlrev_b32_e32 v24, 16, v24
	v_mul_f32_e32 v24, v26, v24
	scratch_load_b32 v26, off, off offset:8 ; 4-byte Folded Reload
	s_wait_loadcnt 0x0
	v_fma_mix_f32_bf16 v24, v26, v25, v24 op_sel_hi:[0,1,0]
	v_fma_mixlo_bf16 v25, s10, v93, 0
	v_fma_mixlo_bf16 v93, s10, v113, 0
	s_clause 0x1
	scratch_load_b32 v113, off, off offset:28
	scratch_load_b32 v26, off, off offset:32
	s_wait_loadcnt 0x1
	v_mul_f32_e32 v90, v113, v90
	scratch_load_b32 v113, off, off offset:12 ; 4-byte Folded Reload
	s_wait_loadcnt 0x1
	v_fma_mix_f32_bf16 v2, v26, v25, v2 op_sel_hi:[0,1,0]
	scratch_load_b32 v26, off, off offset:36 ; 4-byte Folded Reload
	v_fma_mixlo_bf16 v25, s10, v92, 0
	v_fma_mixlo_bf16 v92, s10, v115, 0
	s_wait_loadcnt 0x1
	v_fma_mix_f32_bf16 v86, v113, v86, v90 op_sel_hi:[0,1,0]
	scratch_load_b32 v90, off, off offset:40 ; 4-byte Folded Reload
	s_wait_loadcnt 0x1
	v_fma_mix_f32_bf16 v23, v26, v25, v23 op_sel_hi:[0,1,0]
	v_fma_mixlo_bf16 v25, s10, v31, 0
	v_fma_mixlo_bf16 v26, s10, v30, 0
	;; [unrolled: 1-line block ×4, first 2 shown]
	s_wait_loadcnt 0x0
	v_fma_mix_f32_bf16 v24, v90, v95, v24 op_sel_hi:[0,1,0]
	s_clause 0x1
	scratch_load_b32 v90, off, off offset:48
	scratch_load_b32 v95, off, off offset:44
	s_wait_loadcnt 0x1
	v_fma_mix_f32_bf16 v2, v90, v97, v2 op_sel_hi:[0,1,0]
	scratch_load_b32 v90, off, off offset:52 ; 4-byte Folded Reload
	s_wait_loadcnt 0x1
	v_fma_mix_f32_bf16 v86, v95, v94, v86 op_sel_hi:[0,1,0]
	s_clause 0x1
	scratch_load_b32 v94, off, off offset:56
	scratch_load_b32 v95, off, off offset:60
	v_fma_mix_f32_bf16 v2, v28, v100, v2 op_sel_hi:[0,1,0]
	s_delay_alu instid0(VALU_DEP_1) | instskip(NEXT) | instid1(VALU_DEP_1)
	v_fma_mix_f32_bf16 v2, v34, v104, v2 op_sel_hi:[0,1,0]
	v_fma_mix_f32_bf16 v2, v39, v108, v2 op_sel_hi:[0,1,0]
	s_delay_alu instid0(VALU_DEP_1) | instskip(NEXT) | instid1(VALU_DEP_1)
	v_fma_mix_f32_bf16 v2, v43, v112, v2 op_sel_hi:[0,1,0]
	;; [unrolled: 3-line block ×4, first 2 shown]
	v_fma_mix_f32_bf16 v2, v63, v10, v2 op_sel_hi:[0,1,0]
	v_fma_mixlo_bf16 v10, s10, v38, 0
	s_delay_alu instid0(VALU_DEP_2) | instskip(NEXT) | instid1(VALU_DEP_1)
	v_fma_mix_f32_bf16 v2, v67, v13, v2 op_sel_hi:[0,1,0]
	v_fma_mix_f32_bf16 v2, v71, v16, v2 op_sel_hi:[0,1,0]
	s_delay_alu instid0(VALU_DEP_1)
	v_fma_mix_f32_bf16 v2, v75, v20, v2 op_sel_hi:[0,1,0]
	s_wait_loadcnt 0x2
	v_fma_mix_f32_bf16 v23, v90, v96, v23 op_sel_hi:[0,1,0]
	v_fma_mixlo_bf16 v90, s10, v98, 0
	s_wait_loadcnt 0x1
	v_fma_mix_f32_bf16 v24, v94, v99, v24 op_sel_hi:[0,1,0]
	v_fma_mixlo_bf16 v94, s10, v102, 0
	v_fma_mix_f32_bf16 v23, v29, v101, v23 op_sel_hi:[0,1,0]
	s_wait_loadcnt 0x0
	v_fma_mix_f32_bf16 v86, v95, v90, v86 op_sel_hi:[0,1,0]
	v_fma_mix_f32_bf16 v24, v32, v103, v24 op_sel_hi:[0,1,0]
	v_fma_mixlo_bf16 v90, s10, v106, 0
	v_fma_mix_f32_bf16 v23, v35, v105, v23 op_sel_hi:[0,1,0]
	s_delay_alu instid0(VALU_DEP_4) | instskip(NEXT) | instid1(VALU_DEP_4)
	v_fma_mix_f32_bf16 v86, v33, v94, v86 op_sel_hi:[0,1,0]
	v_fma_mix_f32_bf16 v24, v36, v107, v24 op_sel_hi:[0,1,0]
	v_fma_mixlo_bf16 v94, s10, v110, 0
	s_delay_alu instid0(VALU_DEP_4) | instskip(NEXT) | instid1(VALU_DEP_4)
	v_fma_mix_f32_bf16 v23, v40, v109, v23 op_sel_hi:[0,1,0]
	v_fma_mix_f32_bf16 v86, v37, v90, v86 op_sel_hi:[0,1,0]
	s_delay_alu instid0(VALU_DEP_4) | instskip(SKIP_1) | instid1(VALU_DEP_4)
	v_fma_mix_f32_bf16 v24, v41, v111, v24 op_sel_hi:[0,1,0]
	v_fma_mixlo_bf16 v90, s10, v114, 0
	v_fma_mix_f32_bf16 v23, v44, v93, v23 op_sel_hi:[0,1,0]
	s_delay_alu instid0(VALU_DEP_4) | instskip(NEXT) | instid1(VALU_DEP_4)
	v_fma_mix_f32_bf16 v86, v42, v94, v86 op_sel_hi:[0,1,0]
	v_fma_mix_f32_bf16 v24, v45, v92, v24 op_sel_hi:[0,1,0]
	s_delay_alu instid0(VALU_DEP_3) | instskip(SKIP_1) | instid1(VALU_DEP_4)
	v_fma_mix_f32_bf16 v23, v48, v89, v23 op_sel_hi:[0,1,0]
	v_fma_mixlo_bf16 v89, s10, v118, 0
	v_fma_mix_f32_bf16 v86, v46, v90, v86 op_sel_hi:[0,1,0]
	s_delay_alu instid0(VALU_DEP_4) | instskip(NEXT) | instid1(VALU_DEP_4)
	v_fma_mix_f32_bf16 v24, v49, v88, v24 op_sel_hi:[0,1,0]
	v_fma_mix_f32_bf16 v23, v52, v85, v23 op_sel_hi:[0,1,0]
	v_fma_mixlo_bf16 v85, s10, v122, 0
	s_delay_alu instid0(VALU_DEP_4) | instskip(NEXT) | instid1(VALU_DEP_4)
	v_fma_mix_f32_bf16 v86, v50, v89, v86 op_sel_hi:[0,1,0]
	v_fma_mix_f32_bf16 v24, v53, v84, v24 op_sel_hi:[0,1,0]
	s_delay_alu instid0(VALU_DEP_4) | instskip(SKIP_1) | instid1(VALU_DEP_4)
	v_fma_mix_f32_bf16 v23, v56, v30, v23 op_sel_hi:[0,1,0]
	v_fma_mixlo_bf16 v30, s10, v124, 0
	v_fma_mix_f32_bf16 v31, v54, v85, v86 op_sel_hi:[0,1,0]
	s_delay_alu instid0(VALU_DEP_4) | instskip(NEXT) | instid1(VALU_DEP_4)
	v_fma_mix_f32_bf16 v24, v57, v27, v24 op_sel_hi:[0,1,0]
	v_fma_mix_f32_bf16 v23, v60, v25, v23 op_sel_hi:[0,1,0]
	s_delay_alu instid0(VALU_DEP_3) | instskip(NEXT) | instid1(VALU_DEP_3)
	v_fma_mix_f32_bf16 v25, v58, v30, v31 op_sel_hi:[0,1,0]
	v_fma_mix_f32_bf16 v1, v61, v1, v24 op_sel_hi:[0,1,0]
	s_delay_alu instid0(VALU_DEP_3) | instskip(NEXT) | instid1(VALU_DEP_3)
	v_fma_mix_f32_bf16 v0, v64, v0, v23 op_sel_hi:[0,1,0]
	v_fma_mix_f32_bf16 v22, v62, v22, v25 op_sel_hi:[0,1,0]
	s_delay_alu instid0(VALU_DEP_3) | instskip(SKIP_1) | instid1(VALU_DEP_4)
	v_fma_mix_f32_bf16 v1, v65, v11, v1 op_sel_hi:[0,1,0]
	v_fma_mixlo_bf16 v11, s10, v12, 0
	v_fma_mix_f32_bf16 v0, v68, v14, v0 op_sel_hi:[0,1,0]
	s_delay_alu instid0(VALU_DEP_4) | instskip(NEXT) | instid1(VALU_DEP_4)
	v_fma_mix_f32_bf16 v10, v66, v10, v22 op_sel_hi:[0,1,0]
	v_fma_mix_f32_bf16 v1, v69, v15, v1 op_sel_hi:[0,1,0]
	s_delay_alu instid0(VALU_DEP_3) | instskip(NEXT) | instid1(VALU_DEP_3)
	v_fma_mix_f32_bf16 v0, v72, v17, v0 op_sel_hi:[0,1,0]
	v_fma_mix_f32_bf16 v10, v70, v11, v10 op_sel_hi:[0,1,0]
	s_delay_alu instid0(VALU_DEP_3) | instskip(NEXT) | instid1(VALU_DEP_3)
	;; [unrolled: 3-line block ×4, first 2 shown]
	v_add_f32_e32 v0, v2, v0
	v_fma_mix_f32_bf16 v2, v78, v8, v10 op_sel_hi:[0,1,0]
	s_delay_alu instid0(VALU_DEP_2) | instskip(NEXT) | instid1(VALU_DEP_1)
	v_add_f32_e32 v0, v0, v1
	v_add_f32_e32 v0, v0, v2
	ds_bpermute_b32 v1, v80, v0
	s_wait_xcnt 0x0
	s_and_saveexec_b32 s28, vcc_lo
	s_cbranch_execz .LBB339_8
; %bb.522:                              ;   in Loop: Header=BB339_9 Depth=1
	s_wait_dscnt 0x0
	v_add_f32_e32 v0, v0, v1
	v_add_nc_u32_e32 v2, s27, v81
	v_cmp_gt_i32_e64 s5, s25, v81
	s_delay_alu instid0(VALU_DEP_2) | instskip(NEXT) | instid1(VALU_DEP_1)
	v_cvt_f32_i32_e32 v2, v2
	v_mul_f32_e32 v2, s20, v2
	s_delay_alu instid0(VALU_DEP_1) | instskip(NEXT) | instid1(VALU_DEP_1)
	v_dual_cndmask_b32 v1, 0, v2, s4 :: v_dual_max_num_f32 v2, v79, v79
	v_fmac_f32_e32 v1, s11, v0
	s_delay_alu instid0(VALU_DEP_1) | instskip(NEXT) | instid1(VALU_DEP_1)
	v_dual_max_num_f32 v0, v2, v1 :: v_dual_cndmask_b32 v1, 0, v1, s5
	v_cndmask_b32_e64 v79, v79, v0, s5
	ds_store_b32 v82, v1
	s_branch .LBB339_8
.LBB339_523:
	s_or_b32 exec_lo, exec_lo, s19
	s_clause 0x4
	scratch_load_b32 v22, off, off offset:68
	scratch_load_b32 v23, off, off offset:72
	;; [unrolled: 1-line block ×5, first 2 shown]
	v_mov_b32_e32 v10, 32
.LBB339_524:
	s_wait_xcnt 0x0
	s_or_b32 exec_lo, exec_lo, s21
	s_wait_loadcnt 0x0
	v_dual_max_num_f32 v4, v79, v79 :: v_dual_bitop2_b32 v0, 16, v21 bitop3:0x14
	s_clause 0x1
	s_load_b64 s[10:11], s[0:1], 0x0
	s_load_b64 s[20:21], s[0:1], 0x18
	v_xor_b32_e32 v2, 8, v21
	v_xor_b32_e32 v5, 4, v21
	v_cmp_lt_i32_e32 vcc_lo, v0, v10
	v_dual_cndmask_b32 v0, v21, v0, vcc_lo :: v_dual_bitop2_b32 v32, 31, v22 bitop3:0x40
	s_delay_alu instid0(VALU_DEP_4) | instskip(SKIP_1) | instid1(VALU_DEP_2)
	v_cmp_lt_i32_e32 vcc_lo, v2, v10
	s_wait_dscnt 0x0
	v_dual_cndmask_b32 v2, v21, v2 :: v_dual_lshlrev_b32 v1, 2, v0
	v_cmp_lt_i32_e32 vcc_lo, v5, v10
	ds_bpermute_b32 v0, v1, v79
	s_wait_dscnt 0x0
	v_dual_lshlrev_b32 v2, 2, v2 :: v_dual_max_num_f32 v0, v0, v0
	s_delay_alu instid0(VALU_DEP_1) | instskip(SKIP_3) | instid1(VALU_DEP_1)
	v_max_num_f32_e32 v0, v4, v0
	ds_bpermute_b32 v4, v2, v0
	s_wait_dscnt 0x0
	v_dual_cndmask_b32 v5, v21, v5 :: v_dual_max_num_f32 v6, v4, v4
	v_dual_lshlrev_b32 v4, 2, v5 :: v_dual_max_num_f32 v0, v0, v6
	v_xor_b32_e32 v6, 2, v21
	ds_bpermute_b32 v5, v4, v0
	v_cmp_lt_i32_e32 vcc_lo, v6, v10
	s_wait_dscnt 0x0
	v_max_num_f32_e32 v5, v5, v5
	v_cndmask_b32_e32 v7, v21, v6, vcc_lo
	v_cmp_eq_u32_e32 vcc_lo, 0, v32
	s_delay_alu instid0(VALU_DEP_2)
	v_dual_max_num_f32 v6, v0, v5 :: v_dual_lshlrev_b32 v0, 2, v7
	v_lshlrev_b32_e32 v5, 2, v83
	ds_bpermute_b32 v7, v0, v6
	s_wait_xcnt 0x0
	s_and_saveexec_b32 s0, vcc_lo
	s_cbranch_execz .LBB339_526
; %bb.525:
	s_wait_dscnt 0x0
	v_dual_max_num_f32 v7, v7, v7 :: v_dual_max_num_f32 v6, v6, v6
	s_delay_alu instid0(VALU_DEP_1)
	v_max_num_f32_e32 v6, v6, v7
	ds_store_b32 v5, v6 offset:256
.LBB339_526:
	s_or_b32 exec_lo, exec_lo, s0
	v_cmp_gt_u32_e64 s0, 4, v32
	s_wait_dscnt 0x0
	v_dual_mov_b32 v7, 0xff7fffff :: v_dual_lshlrev_b32 v6, 2, v32
	s_wait_storecnt 0x0
	s_barrier_signal -1
	s_barrier_wait -1
	s_and_saveexec_b32 s1, s0
; %bb.527:
	ds_load_b32 v7, v6 offset:256
; %bb.528:
	s_or_b32 exec_lo, exec_lo, s1
	s_wait_dscnt 0x0
	ds_bpermute_b32 v8, v0, v7
	v_dual_max_num_f32 v7, v7, v7 :: v_dual_bitop2_b32 v9, 1, v21 bitop3:0x14
	v_lshlrev_b32_e32 v3, 2, v3
	s_delay_alu instid0(VALU_DEP_2) | instskip(NEXT) | instid1(VALU_DEP_1)
	v_cmp_lt_i32_e64 s1, v9, v10
	v_cndmask_b32_e64 v9, v21, v9, s1
	s_lshl_b32 s1, s13, 4
	s_wait_kmcnt 0x0
	s_min_i32 s5, s1, s25
	s_delay_alu instid0(SALU_CYCLE_1) | instskip(SKIP_2) | instid1(VALU_DEP_1)
	v_cmp_gt_i32_e64 s1, s5, v22
	s_wait_dscnt 0x0
	v_dual_max_num_f32 v8, v8, v8 :: v_dual_lshlrev_b32 v33, 2, v9
	v_max_num_f32_e32 v7, v7, v8
	ds_bpermute_b32 v8, v33, v7
	s_wait_dscnt 0x0
	v_max_num_f32_e32 v8, v8, v8
	s_delay_alu instid0(VALU_DEP_1)
	v_max_num_f32_e32 v7, v7, v8
	ds_bpermute_b32 v7, v3, v7
	v_mov_b32_e32 v3, 0
	s_and_saveexec_b32 s19, s1
	s_cbranch_execz .LBB339_532
; %bb.529:
	v_lshl_add_u32 v8, v22, 2, 0x120
	v_dual_mov_b32 v3, 0 :: v_dual_mov_b32 v9, v22
	s_mov_b32 s26, 0
.LBB339_530:                            ; =>This Inner Loop Header: Depth=1
	ds_load_b32 v10, v8
	v_add_nc_u32_e32 v9, 0x80, v9
	s_delay_alu instid0(VALU_DEP_1) | instskip(SKIP_3) | instid1(VALU_DEP_1)
	v_cmp_le_i32_e64 s4, s5, v9
	s_or_b32 s26, s4, s26
	s_wait_dscnt 0x0
	v_sub_f32_e32 v10, v10, v7
	v_mul_f32_e32 v10, 0x3fb8aa3b, v10
	s_delay_alu instid0(VALU_DEP_1)
	v_exp_f32_e32 v10, v10
	ds_store_b32 v8, v10
	v_nop
	v_dual_add_f32 v3, v3, v10 :: v_dual_add_nc_u32 v8, 0x200, v8
	s_and_not1_b32 exec_lo, exec_lo, s26
	s_cbranch_execnz .LBB339_530
; %bb.531:
	s_or_b32 exec_lo, exec_lo, s26
.LBB339_532:
	s_delay_alu instid0(SALU_CYCLE_1)
	s_or_b32 exec_lo, exec_lo, s19
	ds_bpermute_b32 v1, v1, v3
	s_wait_dscnt 0x0
	v_add_f32_e32 v1, v3, v1
	ds_bpermute_b32 v2, v2, v1
	s_wait_dscnt 0x0
	v_add_f32_e32 v1, v1, v2
	;; [unrolled: 3-line block ×5, first 2 shown]
	s_and_saveexec_b32 s4, vcc_lo
; %bb.533:
	ds_store_b32 v5, v1 offset:272
; %bb.534:
	s_or_b32 exec_lo, exec_lo, s4
	s_wait_dscnt 0x0
	s_barrier_signal -1
	s_barrier_wait -1
	s_and_saveexec_b32 s4, s0
; %bb.535:
	ds_load_b32 v1, v6 offset:272
; %bb.536:
	s_or_b32 exec_lo, exec_lo, s4
	s_wait_dscnt 0x0
	ds_bpermute_b32 v0, v0, v1
	s_wait_dscnt 0x0
	v_dual_lshlrev_b32 v2, 2, v21 :: v_dual_add_f32 v0, v1, v0
	ds_bpermute_b32 v1, v33, v0
	s_wait_dscnt 0x0
	v_add_f32_e32 v0, v0, v1
	v_and_b32_e32 v1, 0xffffff80, v2
	ds_bpermute_b32 v0, v1, v0
	s_and_saveexec_b32 s0, s1
	s_cbranch_execz .LBB339_549
; %bb.537:
	s_wait_dscnt 0x0
	v_add_f32_e32 v0, 0x358637bd, v0
	s_mov_b32 s4, -1
	s_mov_b32 s1, exec_lo
	s_delay_alu instid0(VALU_DEP_1) | instskip(SKIP_1) | instid1(VALU_DEP_2)
	v_div_scale_f32 v1, null, v0, v0, 1.0
	v_div_scale_f32 v4, vcc_lo, 1.0, v0, 1.0
	v_rcp_f32_e32 v2, v1
	v_nop
	s_delay_alu instid0(TRANS32_DEP_1) | instskip(NEXT) | instid1(VALU_DEP_1)
	v_fma_f32 v3, -v1, v2, 1.0
	v_fmac_f32_e32 v2, v3, v2
	s_delay_alu instid0(VALU_DEP_1) | instskip(NEXT) | instid1(VALU_DEP_1)
	v_mul_f32_e32 v3, v4, v2
	v_fma_f32 v5, -v1, v3, v4
	s_delay_alu instid0(VALU_DEP_1) | instskip(NEXT) | instid1(VALU_DEP_1)
	v_fmac_f32_e32 v3, v5, v2
	v_fma_f32 v4, -v1, v3, v4
	v_xad_u32 v1, v22, -1, s5
	s_delay_alu instid0(VALU_DEP_2) | instskip(NEXT) | instid1(VALU_DEP_1)
	v_div_fmas_f32 v2, v4, v2, v3
	v_div_fixup_f32 v2, v2, v0, 1.0
	v_mov_b32_e32 v0, v22
	s_delay_alu instid0(VALU_DEP_4)
	v_cmpx_lt_u32_e32 0x7f, v1
	s_cbranch_execz .LBB339_546
; %bb.538:
	s_delay_alu instid0(VALU_DEP_3) | instskip(NEXT) | instid1(VALU_DEP_1)
	v_dual_mov_b32 v3, v2 :: v_dual_lshrrev_b32 v0, 7, v1
	v_dual_mov_b32 v6, 0 :: v_dual_add_nc_u32 v1, -1, v0
	s_delay_alu instid0(VALU_DEP_1) | instskip(SKIP_1) | instid1(VALU_DEP_2)
	v_lshrrev_b32_e32 v4, 1, v1
	v_cmp_lt_u32_e32 vcc_lo, 13, v1
	v_add_nc_u32_e32 v1, 1, v4
	s_and_saveexec_b32 s4, vcc_lo
	s_cbranch_execz .LBB339_542
; %bb.539:
	s_delay_alu instid0(VALU_DEP_1)
	v_and_b32_e32 v4, -8, v1
	v_lshl_add_u32 v5, v22, 2, 0x120
	s_mov_b32 s19, 0
	s_mov_b32 s26, 0
.LBB339_540:                            ; =>This Inner Loop Header: Depth=1
	ds_load_2addr_stride64_b32 v[6:7], v5 offset1:2
	ds_load_2addr_stride64_b32 v[8:9], v5 offset0:4 offset1:6
	ds_load_2addr_stride64_b32 v[10:11], v5 offset0:8 offset1:10
	;; [unrolled: 1-line block ×7, first 2 shown]
	s_add_co_i32 s26, s26, 16
	v_add_nc_u32_e32 v4, -8, v4
	s_wait_dscnt 0x7
	v_pk_mul_f32 v[6:7], v[2:3], v[6:7]
	s_wait_dscnt 0x6
	v_pk_mul_f32 v[8:9], v[2:3], v[8:9]
	;; [unrolled: 2-line block ×8, first 2 shown]
	ds_store_2addr_stride64_b32 v5, v6, v7 offset1:2
	ds_store_2addr_stride64_b32 v5, v8, v9 offset0:4 offset1:6
	ds_store_2addr_stride64_b32 v5, v10, v11 offset0:8 offset1:10
	;; [unrolled: 1-line block ×7, first 2 shown]
	v_mov_b32_e32 v6, s26
	v_cmp_eq_u32_e32 vcc_lo, 0, v4
	v_add_nc_u32_e32 v5, 0x2000, v5
	s_or_b32 s19, vcc_lo, s19
	s_delay_alu instid0(SALU_CYCLE_1)
	s_and_not1_b32 exec_lo, exec_lo, s19
	s_cbranch_execnz .LBB339_540
; %bb.541:
	s_or_b32 exec_lo, exec_lo, s19
.LBB339_542:
	s_delay_alu instid0(SALU_CYCLE_1) | instskip(NEXT) | instid1(VALU_DEP_1)
	s_or_b32 exec_lo, exec_lo, s4
	v_and_b32_e32 v1, 7, v1
	s_mov_b32 s19, 0
	s_mov_b32 s4, exec_lo
	s_delay_alu instid0(VALU_DEP_1)
	v_cmpx_ne_u32_e32 0, v1
	s_cbranch_execz .LBB339_545
; %bb.543:
	v_lshlrev_b32_e32 v4, 9, v6
	v_lshlrev_b32_e32 v5, 2, v22
	s_delay_alu instid0(VALU_DEP_1)
	v_add3_u32 v4, v4, v5, 0x120
.LBB339_544:                            ; =>This Inner Loop Header: Depth=1
	ds_load_2addr_stride64_b32 v[6:7], v4 offset1:2
	v_add_nc_u32_e32 v1, -1, v1
	s_delay_alu instid0(VALU_DEP_1)
	v_cmp_eq_u32_e32 vcc_lo, 0, v1
	s_or_b32 s19, vcc_lo, s19
	s_wait_dscnt 0x0
	v_pk_mul_f32 v[6:7], v[2:3], v[6:7]
	ds_store_2addr_stride64_b32 v4, v6, v7 offset1:2
	v_add_nc_u32_e32 v4, 0x400, v4
	s_and_not1_b32 exec_lo, exec_lo, s19
	s_cbranch_execnz .LBB339_544
.LBB339_545:
	s_or_b32 exec_lo, exec_lo, s4
	v_add_nc_u32_e32 v0, 1, v0
	s_delay_alu instid0(VALU_DEP_1) | instskip(NEXT) | instid1(VALU_DEP_1)
	v_and_b32_e32 v1, 0x3fffffe, v0
	v_cmp_ne_u32_e32 vcc_lo, v0, v1
	v_lshl_add_u32 v0, v1, 7, v22
	s_or_not1_b32 s4, vcc_lo, exec_lo
.LBB339_546:
	s_or_b32 exec_lo, exec_lo, s1
	s_delay_alu instid0(SALU_CYCLE_1)
	s_and_b32 exec_lo, exec_lo, s4
	s_cbranch_execz .LBB339_549
; %bb.547:
	v_lshl_add_u32 v1, v0, 2, 0x120
	s_mov_b32 s1, 0
.LBB339_548:                            ; =>This Inner Loop Header: Depth=1
	ds_load_b32 v3, v1
	s_wait_dscnt 0x0
	v_dual_mul_f32 v3, v2, v3 :: v_dual_add_nc_u32 v0, 0x80, v0
	s_delay_alu instid0(VALU_DEP_1) | instskip(SKIP_3) | instid1(SALU_CYCLE_1)
	v_cmp_le_i32_e32 vcc_lo, s5, v0
	ds_store_b32 v1, v3
	v_add_nc_u32_e32 v1, 0x200, v1
	s_or_b32 s1, vcc_lo, s1
	s_and_not1_b32 exec_lo, exec_lo, s1
	s_cbranch_execnz .LBB339_548
.LBB339_549:
	s_or_b32 exec_lo, exec_lo, s0
	v_mov_b32_e32 v11, 0
	s_wait_dscnt 0x0
	s_barrier_signal -1
	s_barrier_wait -1
	s_delay_alu instid0(VALU_DEP_1)
	v_dual_mov_b32 v10, v11 :: v_dual_mov_b32 v13, v11
	v_dual_mov_b32 v12, v11 :: v_dual_mov_b32 v15, v11
	;; [unrolled: 1-line block ×3, first 2 shown]
	v_mov_b32_e32 v16, v11
	s_and_saveexec_b32 s1, s3
	s_cbranch_execz .LBB339_1049
; %bb.550:
	v_dual_mov_b32 v104, v22 :: v_dual_lshlrev_b32 v0, 3, v22
	s_load_b32 s3, s[6:7], 0x0
	v_dual_mov_b32 v19, 0 :: v_dual_mov_b32 v105, v23
	s_ashr_i32 s19, s18, 31
	s_delay_alu instid0(VALU_DEP_2) | instskip(SKIP_3) | instid1(VALU_DEP_3)
	v_and_b32_e32 v18, 0xf8, v0
	v_dual_lshlrev_b32 v1, 5, v23 :: v_dual_bitop2_b32 v0, 8, v0 bitop3:0x40
	s_add_nc_u64 s[4:5], s[20:21], s[18:19]
	v_dual_mov_b32 v11, 0 :: v_dual_lshlrev_b32 v2, 4, v83
	v_add_nc_u64_e32 v[20:21], s[4:5], v[18:19]
	v_and_b32_e32 v18, 0x7c, v24
	s_lshl_b64 s[4:5], s[14:15], 2
	v_lshl_or_b32 v1, v83, 6, v1
	s_add_nc_u64 s[4:5], s[16:17], s[4:5]
	v_or3_b32 v34, v2, v0, 7
	v_add_nc_u64_e32 v[22:23], s[4:5], v[18:19]
	s_delay_alu instid0(VALU_DEP_3)
	v_dual_mov_b32 v10, 0 :: v_dual_add_nc_u32 v35, 0x120, v1
	v_dual_mov_b32 v13, 0 :: v_dual_mov_b32 v12, 0
	v_dual_mov_b32 v15, 0 :: v_dual_mov_b32 v14, 0
	;; [unrolled: 1-line block ×4, first 2 shown]
	s_mov_b64 s[4:5], 0xffffffffffffff
	s_wait_xcnt 0x0
	s_mov_b32 s6, s9
	s_add_co_i32 s9, s13, -1
	s_mov_b32 s7, 0
	s_branch .LBB339_552
.LBB339_551:                            ;   in Loop: Header=BB339_552 Depth=1
	s_or_b32 exec_lo, exec_lo, s0
	s_wait_dscnt 0x1
	v_cvt_pk_bf16_f32 v6, v6, v7
	v_perm_b32 v45, v92, v93, 0x5040100
	v_cvt_pk_bf16_f32 v7, v8, v9
	v_perm_b32 v8, v90, v91, 0x5040100
	s_wait_dscnt 0x0
	v_cvt_pk_bf16_f32 v2, v2, v3
	v_perm_b32 v3, v29, v89, 0x5040100
	v_pk_mul_bf16 v9, v6, v45
	v_cvt_pk_bf16_f32 v4, v4, v5
	v_pk_mul_bf16 v8, v7, v8
	v_perm_b32 v0, v28, v0, 0x5040100
	v_pk_mul_bf16 v3, v2, v3
	v_lshlrev_b32_e32 v29, 16, v9
	v_and_b32_e32 v9, 0xffff0000, v9
	v_lshlrev_b32_e32 v45, 16, v8
	v_and_b32_e32 v8, 0xffff0000, v8
	v_perm_b32 v28, v87, v88, 0x5040100
	v_pk_mul_bf16 v0, v4, v0
	v_dual_add_f32 v5, v29, v9 :: v_dual_lshlrev_b32 v9, 16, v3
	v_and_b32_e32 v3, 0xffff0000, v3
	v_perm_b32 v29, v85, v86, 0x5040100
	v_perm_b32 v1, v30, v1, 0x5040100
	v_add_nc_u64_e32 v[22:23], 16, v[22:23]
	v_add_nc_u32_e32 v35, 0x100, v35
	v_add_f32_e32 v3, v9, v3
	v_pk_mul_bf16 v9, v7, v29
	v_add_f32_e32 v8, v45, v8
	v_perm_b32 v29, v31, v84, 0x5040100
	v_pk_mul_bf16 v1, v4, v1
	s_delay_alu instid0(VALU_DEP_4) | instskip(NEXT) | instid1(VALU_DEP_4)
	v_dual_add_nc_u32 v36, 4, v36 :: v_dual_lshlrev_b32 v45, 16, v9
	v_add_f32_e32 v5, v8, v5
	v_pk_mul_bf16 v8, v6, v28
	v_lshlrev_b32_e32 v28, 16, v0
	v_and_b32_e32 v9, 0xffff0000, v9
	v_pk_mul_bf16 v29, v2, v29
	v_and_b32_e32 v0, 0xffff0000, v0
	v_lshlrev_b32_e32 v31, 16, v8
	v_and_b32_e32 v8, 0xffff0000, v8
	v_add_f32_e32 v9, v45, v9
	s_delay_alu instid0(VALU_DEP_4) | instskip(SKIP_1) | instid1(VALU_DEP_4)
	v_dual_lshlrev_b32 v30, 16, v29 :: v_dual_add_f32 v0, v28, v0
	v_and_b32_e32 v29, 0xffff0000, v29
	v_add_f32_e32 v8, v31, v8
	v_add_f32_e32 v3, v3, v5
	v_perm_b32 v28, v72, v73, 0x5040100
	v_cmp_le_i32_e32 vcc_lo, s13, v36
	s_delay_alu instid0(VALU_DEP_4) | instskip(NEXT) | instid1(VALU_DEP_4)
	v_dual_add_f32 v5, v9, v8 :: v_dual_add_nc_u32 v34, 64, v34
	v_dual_add_f32 v8, v30, v29 :: v_dual_add_f32 v0, v0, v3
	v_perm_b32 v3, v82, v83, 0x5040100
	v_lshlrev_b32_e32 v9, 16, v1
	v_and_b32_e32 v1, 0xffff0000, v1
	s_or_b32 s7, vcc_lo, s7
	v_add_f32_e32 v10, v10, v0
	v_pk_mul_bf16 v3, v6, v3
	v_add_f32_e32 v5, v8, v5
	v_perm_b32 v8, v80, v81, 0x5040100
	s_delay_alu instid0(VALU_DEP_1) | instskip(NEXT) | instid1(VALU_DEP_4)
	v_pk_mul_bf16 v0, v7, v8
	v_dual_add_f32 v1, v9, v1 :: v_dual_lshlrev_b32 v8, 16, v3
	v_and_b32_e32 v3, 0xffff0000, v3
	s_delay_alu instid0(VALU_DEP_2) | instskip(SKIP_2) | instid1(VALU_DEP_4)
	v_dual_lshlrev_b32 v9, 16, v0 :: v_dual_add_f32 v1, v1, v5
	v_perm_b32 v5, v78, v79, 0x5040100
	v_and_b32_e32 v0, 0xffff0000, v0
	v_add_f32_e32 v3, v8, v3
	s_delay_alu instid0(VALU_DEP_3) | instskip(NEXT) | instid1(VALU_DEP_3)
	v_pk_mul_bf16 v5, v2, v5
	v_add_f32_e32 v0, v9, v0
	v_perm_b32 v9, v74, v75, 0x5040100
	s_delay_alu instid0(VALU_DEP_3) | instskip(NEXT) | instid1(VALU_DEP_3)
	v_lshlrev_b32_e32 v8, 16, v5
	v_dual_add_f32 v13, v13, v1 :: v_dual_add_f32 v0, v0, v3
	v_perm_b32 v1, v77, v76, 0x5040100
	v_and_b32_e32 v5, 0xffff0000, v5
	s_delay_alu instid0(VALU_DEP_2) | instskip(NEXT) | instid1(VALU_DEP_2)
	v_pk_mul_bf16 v1, v4, v1
	v_add_f32_e32 v3, v8, v5
	v_pk_mul_bf16 v5, v6, v9
	v_pk_mul_bf16 v9, v7, v28
	v_perm_b32 v28, v70, v71, 0x5040100
	s_delay_alu instid0(VALU_DEP_3)
	v_lshlrev_b32_e32 v29, 16, v5
	v_dual_lshlrev_b32 v8, 16, v1 :: v_dual_add_f32 v0, v3, v0
	v_and_b32_e32 v1, 0xffff0000, v1
	v_and_b32_e32 v5, 0xffff0000, v5
	v_pk_mul_bf16 v28, v2, v28
	v_lshlrev_b32_e32 v30, 16, v9
	v_and_b32_e32 v9, 0xffff0000, v9
	s_delay_alu instid0(VALU_DEP_4) | instskip(NEXT) | instid1(VALU_DEP_4)
	v_add_f32_e32 v3, v29, v5
	v_dual_add_f32 v1, v8, v1 :: v_dual_lshlrev_b32 v8, 16, v28
	s_delay_alu instid0(VALU_DEP_3) | instskip(SKIP_2) | instid1(VALU_DEP_3)
	v_add_f32_e32 v5, v30, v9
	v_and_b32_e32 v9, 0xffff0000, v28
	v_perm_b32 v30, v61, v60, 0x5040100
	v_add_f32_e32 v3, v5, v3
	v_add_f32_e32 v0, v1, v0
	v_perm_b32 v5, v66, v67, 0x5040100
	v_perm_b32 v1, v69, v68, 0x5040100
	s_delay_alu instid0(VALU_DEP_3) | instskip(NEXT) | instid1(VALU_DEP_3)
	v_add_f32_e32 v12, v12, v0
	v_pk_mul_bf16 v0, v6, v5
	v_add_f32_e32 v8, v8, v9
	v_perm_b32 v9, v64, v65, 0x5040100
	v_pk_mul_bf16 v1, v4, v1
	s_delay_alu instid0(VALU_DEP_3) | instskip(NEXT) | instid1(VALU_DEP_3)
	v_dual_add_f32 v3, v8, v3 :: v_dual_lshlrev_b32 v28, 16, v0
	v_pk_mul_bf16 v5, v7, v9
	s_delay_alu instid0(VALU_DEP_3)
	v_lshlrev_b32_e32 v8, 16, v1
	v_perm_b32 v9, v62, v63, 0x5040100
	v_and_b32_e32 v0, 0xffff0000, v0
	v_and_b32_e32 v1, 0xffff0000, v1
	v_lshlrev_b32_e32 v29, 16, v5
	v_and_b32_e32 v5, 0xffff0000, v5
	v_pk_mul_bf16 v9, v2, v9
	v_add_f32_e32 v0, v28, v0
	v_add_f32_e32 v1, v8, v1
	v_pk_mul_bf16 v8, v4, v30
	s_delay_alu instid0(VALU_DEP_1) | instskip(NEXT) | instid1(VALU_DEP_1)
	v_dual_add_f32 v5, v29, v5 :: v_dual_lshlrev_b32 v29, 16, v8
	v_dual_lshlrev_b32 v28, 16, v9 :: v_dual_add_f32 v0, v5, v0
	v_and_b32_e32 v9, 0xffff0000, v9
	v_perm_b32 v5, v58, v59, 0x5040100
	v_and_b32_e32 v8, 0xffff0000, v8
	s_delay_alu instid0(VALU_DEP_3) | instskip(SKIP_1) | instid1(VALU_DEP_4)
	v_add_f32_e32 v9, v28, v9
	v_perm_b32 v28, v56, v57, 0x5040100
	v_pk_mul_bf16 v5, v6, v5
	s_delay_alu instid0(VALU_DEP_4)
	v_add_f32_e32 v8, v29, v8
	v_perm_b32 v29, v55, v54, 0x5040100
	v_add_f32_e32 v9, v9, v0
	v_add_f32_e32 v30, v1, v3
	v_pk_mul_bf16 v1, v7, v28
	v_lshlrev_b32_e32 v0, 16, v5
	v_and_b32_e32 v3, 0xffff0000, v5
	v_perm_b32 v28, v52, v53, 0x5040100
	v_pk_mul_bf16 v29, v4, v29
	v_lshlrev_b32_e32 v5, 16, v1
	v_and_b32_e32 v1, 0xffff0000, v1
	v_add_f32_e32 v0, v0, v3
	v_perm_b32 v3, v43, v44, 0x5040100
	v_pk_mul_bf16 v28, v2, v28
	v_add_f32_e32 v15, v15, v30
	s_delay_alu instid0(VALU_DEP_3) | instskip(SKIP_2) | instid1(VALU_DEP_2)
	v_pk_mul_bf16 v3, v6, v3
	v_add_f32_e32 v1, v5, v1
	v_perm_b32 v5, v41, v42, 0x5040100
	v_add_f32_e32 v31, v1, v0
	s_delay_alu instid0(VALU_DEP_2)
	v_pk_mul_bf16 v0, v7, v5
	v_lshlrev_b32_e32 v1, 16, v28
	v_and_b32_e32 v5, 0xffff0000, v28
	v_lshlrev_b32_e32 v28, 16, v3
	v_and_b32_e32 v3, 0xffff0000, v3
	;; [unrolled: 2-line block ×3, first 2 shown]
	s_delay_alu instid0(VALU_DEP_3) | instskip(NEXT) | instid1(VALU_DEP_2)
	v_dual_add_f32 v3, v28, v3 :: v_dual_lshlrev_b32 v28, 16, v29
	v_add_f32_e32 v0, v41, v0
	v_add_f32_e32 v42, v1, v5
	v_perm_b32 v1, v37, v38, 0x5040100
	v_perm_b32 v5, v40, v39, 0x5040100
	v_and_b32_e32 v29, 0xffff0000, v29
	v_add_f32_e32 v38, v0, v3
	v_perm_b32 v0, v95, v94, 0x5040100
	v_perm_b32 v3, v26, v96, 0x5040100
	v_pk_mul_bf16 v1, v2, v1
	v_pk_mul_bf16 v37, v4, v5
	v_perm_b32 v5, v18, v24, 0x5040100
	v_perm_b32 v18, v27, v25, 0x5040100
	v_pk_mul_bf16 v0, v6, v0
	v_pk_mul_bf16 v6, v7, v3
	v_lshlrev_b32_e32 v39, 16, v1
	v_and_b32_e32 v24, 0xffff0000, v1
	v_pk_mul_bf16 v7, v2, v5
	v_pk_mul_bf16 v18, v4, v18
	v_and_b32_e32 v1, 0xffff0000, v0
	v_lshlrev_b32_e32 v3, 16, v0
	v_and_b32_e32 v0, 0xffff0000, v6
	v_lshlrev_b32_e32 v2, 16, v6
	;; [unrolled: 2-line block ×3, first 2 shown]
	v_and_b32_e32 v4, 0xffff0000, v18
	v_dual_lshlrev_b32 v6, 16, v18 :: v_dual_add_f32 v18, v39, v24
	v_pk_add_f32 v[0:1], v[2:3], v[0:1]
	v_lshlrev_b32_e32 v24, 16, v37
	v_and_b32_e32 v25, 0xffff0000, v37
	s_delay_alu instid0(VALU_DEP_4) | instskip(NEXT) | instid1(VALU_DEP_4)
	v_pk_add_f32 v[2:3], v[6:7], v[4:5]
	v_dual_add_f32 v5, v18, v38 :: v_dual_add_f32 v0, v0, v1
	v_dual_add_f32 v1, v42, v31 :: v_dual_add_f32 v4, v28, v29
	s_delay_alu instid0(VALU_DEP_2) | instskip(SKIP_1) | instid1(VALU_DEP_2)
	v_dual_add_f32 v6, v24, v25 :: v_dual_add_f32 v0, v3, v0
	v_add_f32_e32 v3, v8, v9
	v_dual_add_f32 v1, v4, v1 :: v_dual_add_f32 v0, v2, v0
	s_delay_alu instid0(VALU_DEP_3) | instskip(NEXT) | instid1(VALU_DEP_2)
	v_add_f32_e32 v4, v6, v5
	v_dual_add_f32 v14, v14, v3 :: v_dual_add_f32 v17, v17, v1
	s_delay_alu instid0(VALU_DEP_3) | instskip(NEXT) | instid1(VALU_DEP_3)
	v_add_f32_e32 v11, v11, v0
	v_add_f32_e32 v16, v16, v4
	s_and_not1_b32 exec_lo, exec_lo, s7
	s_cbranch_execz .LBB339_1048
.LBB339_552:                            ; =>This Inner Loop Header: Depth=1
	global_load_b32 v0, v[22:23], off
	s_mov_b32 s0, exec_lo
	s_wait_loadcnt 0x0
	v_mad_nc_i64_i32 v[24:25], v0, s6, v[20:21]
	v_mov_b32_e32 v0, 0
	global_load_b64 v[26:27], v[24:25], off
	ds_load_2addr_b64 v[6:9], v35 offset1:1
	ds_load_2addr_b64 v[2:5], v35 offset0:2 offset1:3
	s_wait_loadcnt 0x0
	v_and_b32_e32 v1, 0xff, v26
	s_delay_alu instid0(VALU_DEP_1)
	v_cmpx_ne_u16_e32 0, v1
	s_cbranch_execz .LBB339_558
; %bb.553:                              ;   in Loop: Header=BB339_552 Depth=1
	v_bfrev_b32_e32 v0, 1
	s_mov_b32 s14, exec_lo
	v_cmpx_ne_u16_e32 0x80, v1
	s_cbranch_execz .LBB339_557
; %bb.554:                              ;   in Loop: Header=BB339_552 Depth=1
	v_and_b32_e32 v1, 0x7f, v26
	v_mov_b32_e32 v0, 0x7f800001
	s_mov_b32 s15, exec_lo
	s_delay_alu instid0(VALU_DEP_2)
	v_cmpx_ne_u32_e32 0x7f, v1
	s_cbranch_execz .LBB339_556
; %bb.555:                              ;   in Loop: Header=BB339_552 Depth=1
	v_dual_lshrrev_b32 v18, 3, v1 :: v_dual_bitop2_b32 v0, 7, v26 bitop3:0x40
	v_cmp_gt_u32_e32 vcc_lo, 8, v1
	s_delay_alu instid0(VALU_DEP_2) | instskip(NEXT) | instid1(VALU_DEP_1)
	v_clz_i32_u32_e32 v0, v0
	v_min_u32_e32 v0, 32, v0
	s_delay_alu instid0(VALU_DEP_1) | instskip(SKIP_1) | instid1(VALU_DEP_1)
	v_subrev_nc_u32_e32 v28, 28, v0
	v_sub_nc_u32_e32 v0, 29, v0
	v_cndmask_b32_e32 v18, v18, v0, vcc_lo
	s_delay_alu instid0(VALU_DEP_3) | instskip(NEXT) | instid1(VALU_DEP_1)
	v_cndmask_b32_e32 v0, 0, v28, vcc_lo
	v_lshlrev_b64_e32 v[0:1], v0, v[26:27]
	v_lshlrev_b32_e32 v1, 24, v26
	s_delay_alu instid0(VALU_DEP_1) | instskip(NEXT) | instid1(VALU_DEP_3)
	v_and_b32_e32 v1, 0x80000000, v1
	v_lshlrev_b32_e32 v0, 20, v0
	v_lshl_add_u32 v18, v18, 23, 0x3c000000
	s_delay_alu instid0(VALU_DEP_2) | instskip(NEXT) | instid1(VALU_DEP_1)
	v_and_b32_e32 v0, 0x700000, v0
	v_or3_b32 v0, v0, v1, v18
.LBB339_556:                            ;   in Loop: Header=BB339_552 Depth=1
	s_or_b32 exec_lo, exec_lo, s15
.LBB339_557:                            ;   in Loop: Header=BB339_552 Depth=1
	s_delay_alu instid0(SALU_CYCLE_1)
	s_or_b32 exec_lo, exec_lo, s14
.LBB339_558:                            ;   in Loop: Header=BB339_552 Depth=1
	s_delay_alu instid0(SALU_CYCLE_1) | instskip(SKIP_3) | instid1(VALU_DEP_2)
	s_or_b32 exec_lo, exec_lo, s0
	v_lshrrev_b16 v18, 8, v26
	v_dual_mov_b32 v1, 0 :: v_dual_mov_b32 v30, 0
	s_mov_b32 s0, exec_lo
	v_cmpx_ne_u16_e32 0, v18
	s_cbranch_execz .LBB339_566
; %bb.559:                              ;   in Loop: Header=BB339_552 Depth=1
	v_bfrev_b32_e32 v30, 1
	s_mov_b32 s14, exec_lo
	v_cmpx_ne_u16_e32 0x80, v18
	s_cbranch_execz .LBB339_565
; %bb.560:                              ;   in Loop: Header=BB339_552 Depth=1
	v_and_b32_e32 v18, 0xffff, v18
	v_mov_b32_e32 v30, 0x7f800001
	s_mov_b32 s15, exec_lo
	s_delay_alu instid0(VALU_DEP_2) | instskip(NEXT) | instid1(VALU_DEP_1)
	v_and_b32_e32 v29, 0x7f, v18
	v_cmpx_ne_u32_e32 0x7f, v29
	s_cbranch_execz .LBB339_564
; %bb.561:                              ;   in Loop: Header=BB339_552 Depth=1
	v_dual_lshrrev_b32 v28, 3, v29 :: v_dual_bitop2_b32 v18, 7, v18 bitop3:0x40
	s_mov_b32 s16, exec_lo
	v_cmpx_gt_u32_e32 8, v29
; %bb.562:                              ;   in Loop: Header=BB339_552 Depth=1
	s_delay_alu instid0(VALU_DEP_2) | instskip(NEXT) | instid1(VALU_DEP_1)
	v_clz_i32_u32_e32 v28, v18
	v_min_u32_e32 v28, 32, v28
	s_delay_alu instid0(VALU_DEP_1) | instskip(NEXT) | instid1(VALU_DEP_1)
	v_subrev_nc_u32_e32 v29, 28, v28
	v_lshlrev_b64_e32 v[30:31], v29, v[18:19]
	s_delay_alu instid0(VALU_DEP_1)
	v_dual_sub_nc_u32 v28, 29, v28 :: v_dual_bitop2_b32 v18, 7, v30 bitop3:0x40
; %bb.563:                              ;   in Loop: Header=BB339_552 Depth=1
	s_or_b32 exec_lo, exec_lo, s16
	v_lshlrev_b32_e32 v29, 16, v26
	s_delay_alu instid0(VALU_DEP_2) | instskip(NEXT) | instid1(VALU_DEP_3)
	v_lshlrev_b32_e32 v18, 20, v18
	v_lshl_add_u32 v28, v28, 23, 0x3c000000
	s_delay_alu instid0(VALU_DEP_3) | instskip(NEXT) | instid1(VALU_DEP_1)
	v_and_b32_e32 v29, 0x80000000, v29
	v_or3_b32 v30, v18, v29, v28
.LBB339_564:                            ;   in Loop: Header=BB339_552 Depth=1
	s_or_b32 exec_lo, exec_lo, s15
.LBB339_565:                            ;   in Loop: Header=BB339_552 Depth=1
	s_delay_alu instid0(SALU_CYCLE_1)
	s_or_b32 exec_lo, exec_lo, s14
.LBB339_566:                            ;   in Loop: Header=BB339_552 Depth=1
	s_delay_alu instid0(SALU_CYCLE_1) | instskip(SKIP_2) | instid1(VALU_DEP_1)
	s_or_b32 exec_lo, exec_lo, s0
	v_lshrrev_b32_e32 v28, 16, v26
	s_mov_b32 s0, exec_lo
	v_and_b32_e32 v18, 0xff, v28
	s_delay_alu instid0(VALU_DEP_1)
	v_cmpx_ne_u16_e32 0, v18
	s_cbranch_execz .LBB339_574
; %bb.567:                              ;   in Loop: Header=BB339_552 Depth=1
	v_bfrev_b32_e32 v1, 1
	s_mov_b32 s14, exec_lo
	v_cmpx_ne_u16_e32 0x80, v18
	s_cbranch_execz .LBB339_573
; %bb.568:                              ;   in Loop: Header=BB339_552 Depth=1
	v_bfe_u32 v29, v26, 16, 7
	v_mov_b32_e32 v1, 0x7f800001
	s_mov_b32 s15, exec_lo
	s_delay_alu instid0(VALU_DEP_2)
	v_cmpx_ne_u32_e32 0x7f, v29
	s_cbranch_execz .LBB339_572
; %bb.569:                              ;   in Loop: Header=BB339_552 Depth=1
	v_dual_lshrrev_b32 v1, 3, v29 :: v_dual_bitop2_b32 v18, 7, v28 bitop3:0x40
	s_mov_b32 s16, exec_lo
	v_cmpx_gt_u32_e32 8, v29
; %bb.570:                              ;   in Loop: Header=BB339_552 Depth=1
	s_delay_alu instid0(VALU_DEP_2) | instskip(NEXT) | instid1(VALU_DEP_1)
	v_clz_i32_u32_e32 v1, v18
	v_min_u32_e32 v1, 32, v1
	s_delay_alu instid0(VALU_DEP_1) | instskip(NEXT) | instid1(VALU_DEP_1)
	v_subrev_nc_u32_e32 v29, 28, v1
	v_lshlrev_b64_e32 v[38:39], v29, v[18:19]
	s_delay_alu instid0(VALU_DEP_1)
	v_dual_sub_nc_u32 v1, 29, v1 :: v_dual_bitop2_b32 v18, 7, v38 bitop3:0x40
; %bb.571:                              ;   in Loop: Header=BB339_552 Depth=1
	s_or_b32 exec_lo, exec_lo, s16
	s_delay_alu instid0(VALU_DEP_1) | instskip(NEXT) | instid1(VALU_DEP_2)
	v_dual_lshlrev_b32 v28, 24, v28 :: v_dual_lshlrev_b32 v18, 20, v18
	v_lshl_add_u32 v1, v1, 23, 0x3c000000
	s_delay_alu instid0(VALU_DEP_2) | instskip(NEXT) | instid1(VALU_DEP_1)
	v_and_b32_e32 v28, 0x80000000, v28
	v_or3_b32 v1, v18, v28, v1
.LBB339_572:                            ;   in Loop: Header=BB339_552 Depth=1
	s_or_b32 exec_lo, exec_lo, s15
.LBB339_573:                            ;   in Loop: Header=BB339_552 Depth=1
	s_delay_alu instid0(SALU_CYCLE_1)
	s_or_b32 exec_lo, exec_lo, s14
.LBB339_574:                            ;   in Loop: Header=BB339_552 Depth=1
	s_delay_alu instid0(SALU_CYCLE_1)
	s_or_b32 exec_lo, exec_lo, s0
	v_dual_mov_b32 v31, 0 :: v_dual_mov_b32 v39, 0
	s_mov_b32 s0, exec_lo
	v_cmpx_lt_u32_e32 0xffffff, v26
	s_cbranch_execz .LBB339_582
; %bb.575:                              ;   in Loop: Header=BB339_552 Depth=1
	v_lshrrev_b32_e32 v28, 24, v26
	v_bfrev_b32_e32 v39, 1
	s_mov_b32 s14, exec_lo
	s_delay_alu instid0(VALU_DEP_2)
	v_cmpx_ne_u32_e32 0x80, v28
	s_cbranch_execz .LBB339_581
; %bb.576:                              ;   in Loop: Header=BB339_552 Depth=1
	v_bfe_u32 v37, v26, 24, 7
	v_mov_b32_e32 v39, 0x7f800001
	s_mov_b32 s15, exec_lo
	s_delay_alu instid0(VALU_DEP_2)
	v_cmpx_ne_u32_e32 0x7f, v37
	s_cbranch_execz .LBB339_580
; %bb.577:                              ;   in Loop: Header=BB339_552 Depth=1
	v_dual_lshrrev_b32 v29, 3, v37 :: v_dual_bitop2_b32 v18, 7, v28 bitop3:0x40
	s_mov_b32 s16, exec_lo
	v_cmpx_gt_u32_e32 8, v37
; %bb.578:                              ;   in Loop: Header=BB339_552 Depth=1
	s_delay_alu instid0(VALU_DEP_2) | instskip(NEXT) | instid1(VALU_DEP_1)
	v_clz_i32_u32_e32 v29, v18
	v_min_u32_e32 v29, 32, v29
	s_delay_alu instid0(VALU_DEP_1) | instskip(NEXT) | instid1(VALU_DEP_1)
	v_subrev_nc_u32_e32 v37, 28, v29
	v_lshlrev_b64_e32 v[38:39], v37, v[18:19]
	s_delay_alu instid0(VALU_DEP_1)
	v_dual_sub_nc_u32 v29, 29, v29 :: v_dual_bitop2_b32 v18, 7, v38 bitop3:0x40
; %bb.579:                              ;   in Loop: Header=BB339_552 Depth=1
	s_or_b32 exec_lo, exec_lo, s16
	s_delay_alu instid0(VALU_DEP_1) | instskip(NEXT) | instid1(VALU_DEP_2)
	v_dual_lshlrev_b32 v28, 24, v28 :: v_dual_lshlrev_b32 v18, 20, v18
	v_lshl_add_u32 v29, v29, 23, 0x3c000000
	s_delay_alu instid0(VALU_DEP_2) | instskip(NEXT) | instid1(VALU_DEP_1)
	v_and_b32_e32 v28, 0x80000000, v28
	v_or3_b32 v39, v18, v28, v29
.LBB339_580:                            ;   in Loop: Header=BB339_552 Depth=1
	s_or_b32 exec_lo, exec_lo, s15
.LBB339_581:                            ;   in Loop: Header=BB339_552 Depth=1
	s_delay_alu instid0(SALU_CYCLE_1)
	s_or_b32 exec_lo, exec_lo, s14
.LBB339_582:                            ;   in Loop: Header=BB339_552 Depth=1
	s_delay_alu instid0(SALU_CYCLE_1) | instskip(SKIP_3) | instid1(VALU_DEP_2)
	s_or_b32 exec_lo, exec_lo, s0
	v_and_b32_e32 v28, 0xff, v27
	v_mov_b32_e32 v18, v27
	s_mov_b32 s0, exec_lo
	v_cmpx_ne_u16_e32 0, v28
	s_cbranch_execz .LBB339_588
; %bb.583:                              ;   in Loop: Header=BB339_552 Depth=1
	v_bfrev_b32_e32 v31, 1
	s_mov_b32 s14, exec_lo
	v_cmpx_ne_u16_e32 0x80, v28
	s_cbranch_execz .LBB339_587
; %bb.584:                              ;   in Loop: Header=BB339_552 Depth=1
	v_and_b32_e32 v28, 0x7f, v27
	v_mov_b32_e32 v31, 0x7f800001
	s_mov_b32 s15, exec_lo
	s_delay_alu instid0(VALU_DEP_2)
	v_cmpx_ne_u32_e32 0x7f, v28
	s_cbranch_execz .LBB339_586
; %bb.585:                              ;   in Loop: Header=BB339_552 Depth=1
	v_dual_lshrrev_b32 v31, 3, v28 :: v_dual_bitop2_b32 v29, 7, v27 bitop3:0x40
	v_cmp_gt_u32_e32 vcc_lo, 8, v28
	s_delay_alu instid0(VALU_DEP_2) | instskip(NEXT) | instid1(VALU_DEP_1)
	v_clz_i32_u32_e32 v29, v29
	v_min_u32_e32 v29, 32, v29
	s_delay_alu instid0(VALU_DEP_1) | instskip(SKIP_1) | instid1(VALU_DEP_2)
	v_subrev_nc_u32_e32 v37, 28, v29
	v_sub_nc_u32_e32 v29, 29, v29
	v_cndmask_b32_e32 v28, 0, v37, vcc_lo
	s_delay_alu instid0(VALU_DEP_2) | instskip(NEXT) | instid1(VALU_DEP_2)
	v_cndmask_b32_e32 v31, v31, v29, vcc_lo
	v_lshlrev_b64_e32 v[28:29], v28, v[18:19]
	v_lshlrev_b32_e32 v29, 24, v18
	s_delay_alu instid0(VALU_DEP_3) | instskip(NEXT) | instid1(VALU_DEP_2)
	v_lshl_add_u32 v31, v31, 23, 0x3c000000
	v_and_b32_e32 v29, 0x80000000, v29
	s_delay_alu instid0(VALU_DEP_4) | instskip(NEXT) | instid1(VALU_DEP_1)
	v_lshlrev_b32_e32 v28, 20, v28
	v_and_b32_e32 v28, 0x700000, v28
	s_delay_alu instid0(VALU_DEP_1)
	v_or3_b32 v31, v28, v29, v31
.LBB339_586:                            ;   in Loop: Header=BB339_552 Depth=1
	s_or_b32 exec_lo, exec_lo, s15
.LBB339_587:                            ;   in Loop: Header=BB339_552 Depth=1
	s_delay_alu instid0(SALU_CYCLE_1)
	s_or_b32 exec_lo, exec_lo, s14
.LBB339_588:                            ;   in Loop: Header=BB339_552 Depth=1
	s_delay_alu instid0(SALU_CYCLE_1) | instskip(SKIP_3) | instid1(VALU_DEP_2)
	s_or_b32 exec_lo, exec_lo, s0
	v_lshrrev_b16 v29, 8, v18
	v_dual_mov_b32 v40, 0 :: v_dual_mov_b32 v28, 0
	s_mov_b32 s0, exec_lo
	v_cmpx_ne_u16_e32 0, v29
	s_cbranch_execz .LBB339_596
; %bb.589:                              ;   in Loop: Header=BB339_552 Depth=1
	v_bfrev_b32_e32 v28, 1
	s_mov_b32 s14, exec_lo
	v_cmpx_ne_u16_e32 0x80, v29
	s_cbranch_execz .LBB339_595
; %bb.590:                              ;   in Loop: Header=BB339_552 Depth=1
	v_and_b32_e32 v29, 0xffff, v29
	v_mov_b32_e32 v28, 0x7f800001
	s_mov_b32 s15, exec_lo
	s_delay_alu instid0(VALU_DEP_2) | instskip(NEXT) | instid1(VALU_DEP_1)
	v_and_b32_e32 v38, 0x7f, v29
	v_cmpx_ne_u32_e32 0x7f, v38
	s_cbranch_execz .LBB339_594
; %bb.591:                              ;   in Loop: Header=BB339_552 Depth=1
	v_dual_mov_b32 v29, v19 :: v_dual_bitop2_b32 v28, 7, v29 bitop3:0x40
	v_lshrrev_b32_e32 v37, 3, v38
	s_mov_b32 s16, exec_lo
	v_cmpx_gt_u32_e32 8, v38
; %bb.592:                              ;   in Loop: Header=BB339_552 Depth=1
	s_delay_alu instid0(VALU_DEP_3) | instskip(NEXT) | instid1(VALU_DEP_1)
	v_clz_i32_u32_e32 v37, v28
	v_min_u32_e32 v37, 32, v37
	s_delay_alu instid0(VALU_DEP_1) | instskip(NEXT) | instid1(VALU_DEP_1)
	v_subrev_nc_u32_e32 v38, 28, v37
	v_lshlrev_b64_e32 v[28:29], v38, v[28:29]
	s_delay_alu instid0(VALU_DEP_1)
	v_dual_sub_nc_u32 v37, 29, v37 :: v_dual_bitop2_b32 v28, 7, v28 bitop3:0x40
; %bb.593:                              ;   in Loop: Header=BB339_552 Depth=1
	s_or_b32 exec_lo, exec_lo, s16
	s_delay_alu instid0(VALU_DEP_1) | instskip(NEXT) | instid1(VALU_DEP_2)
	v_dual_lshlrev_b32 v18, 16, v18 :: v_dual_lshlrev_b32 v28, 20, v28
	v_lshl_add_u32 v29, v37, 23, 0x3c000000
	s_delay_alu instid0(VALU_DEP_2) | instskip(NEXT) | instid1(VALU_DEP_1)
	v_and_b32_e32 v18, 0x80000000, v18
	v_or3_b32 v28, v28, v18, v29
.LBB339_594:                            ;   in Loop: Header=BB339_552 Depth=1
	s_or_b32 exec_lo, exec_lo, s15
.LBB339_595:                            ;   in Loop: Header=BB339_552 Depth=1
	s_delay_alu instid0(SALU_CYCLE_1)
	s_or_b32 exec_lo, exec_lo, s14
.LBB339_596:                            ;   in Loop: Header=BB339_552 Depth=1
	s_delay_alu instid0(SALU_CYCLE_1) | instskip(SKIP_2) | instid1(VALU_DEP_1)
	s_or_b32 exec_lo, exec_lo, s0
	v_lshrrev_b32_e32 v29, 16, v27
	s_mov_b32 s0, exec_lo
	v_and_b32_e32 v18, 0xff, v29
	s_delay_alu instid0(VALU_DEP_1)
	v_cmpx_ne_u16_e32 0, v18
	s_cbranch_execz .LBB339_604
; %bb.597:                              ;   in Loop: Header=BB339_552 Depth=1
	v_bfrev_b32_e32 v40, 1
	s_mov_b32 s14, exec_lo
	v_cmpx_ne_u16_e32 0x80, v18
	s_cbranch_execz .LBB339_603
; %bb.598:                              ;   in Loop: Header=BB339_552 Depth=1
	v_bfe_u32 v38, v27, 16, 7
	v_mov_b32_e32 v40, 0x7f800001
	s_mov_b32 s15, exec_lo
	s_delay_alu instid0(VALU_DEP_2)
	v_cmpx_ne_u32_e32 0x7f, v38
	s_cbranch_execz .LBB339_602
; %bb.599:                              ;   in Loop: Header=BB339_552 Depth=1
	v_dual_lshrrev_b32 v37, 3, v38 :: v_dual_bitop2_b32 v18, 7, v29 bitop3:0x40
	s_mov_b32 s16, exec_lo
	v_cmpx_gt_u32_e32 8, v38
; %bb.600:                              ;   in Loop: Header=BB339_552 Depth=1
	s_delay_alu instid0(VALU_DEP_2) | instskip(NEXT) | instid1(VALU_DEP_1)
	v_clz_i32_u32_e32 v37, v18
	v_min_u32_e32 v37, 32, v37
	s_delay_alu instid0(VALU_DEP_1) | instskip(NEXT) | instid1(VALU_DEP_1)
	v_subrev_nc_u32_e32 v38, 28, v37
	v_lshlrev_b64_e32 v[40:41], v38, v[18:19]
	s_delay_alu instid0(VALU_DEP_1)
	v_dual_sub_nc_u32 v37, 29, v37 :: v_dual_bitop2_b32 v18, 7, v40 bitop3:0x40
; %bb.601:                              ;   in Loop: Header=BB339_552 Depth=1
	s_or_b32 exec_lo, exec_lo, s16
	s_delay_alu instid0(VALU_DEP_1) | instskip(NEXT) | instid1(VALU_DEP_2)
	v_dual_lshlrev_b32 v29, 24, v29 :: v_dual_lshlrev_b32 v18, 20, v18
	v_lshl_add_u32 v37, v37, 23, 0x3c000000
	s_delay_alu instid0(VALU_DEP_2) | instskip(NEXT) | instid1(VALU_DEP_1)
	v_and_b32_e32 v29, 0x80000000, v29
	v_or3_b32 v40, v18, v29, v37
.LBB339_602:                            ;   in Loop: Header=BB339_552 Depth=1
	s_or_b32 exec_lo, exec_lo, s15
.LBB339_603:                            ;   in Loop: Header=BB339_552 Depth=1
	s_delay_alu instid0(SALU_CYCLE_1)
	s_or_b32 exec_lo, exec_lo, s14
.LBB339_604:                            ;   in Loop: Header=BB339_552 Depth=1
	s_delay_alu instid0(SALU_CYCLE_1)
	s_or_b32 exec_lo, exec_lo, s0
	v_mov_b32_e32 v18, 0
	s_mov_b32 s0, exec_lo
	v_cmpx_lt_u64_e64 s[4:5], v[26:27]
	s_cbranch_execz .LBB339_612
; %bb.605:                              ;   in Loop: Header=BB339_552 Depth=1
	v_lshrrev_b32_e32 v26, 24, v27
	v_bfrev_b32_e32 v18, 1
	s_mov_b32 s14, exec_lo
	s_delay_alu instid0(VALU_DEP_2)
	v_cmpx_ne_u32_e32 0x80, v26
	s_cbranch_execz .LBB339_611
; %bb.606:                              ;   in Loop: Header=BB339_552 Depth=1
	v_bfe_u32 v29, v27, 24, 7
	v_mov_b32_e32 v18, 0x7f800001
	s_mov_b32 s15, exec_lo
	s_delay_alu instid0(VALU_DEP_2)
	v_cmpx_ne_u32_e32 0x7f, v29
	s_cbranch_execz .LBB339_610
; %bb.607:                              ;   in Loop: Header=BB339_552 Depth=1
	v_dual_lshrrev_b32 v27, 3, v29 :: v_dual_bitop2_b32 v18, 7, v26 bitop3:0x40
	s_mov_b32 s16, exec_lo
	v_cmpx_gt_u32_e32 8, v29
; %bb.608:                              ;   in Loop: Header=BB339_552 Depth=1
	s_delay_alu instid0(VALU_DEP_2) | instskip(NEXT) | instid1(VALU_DEP_1)
	v_clz_i32_u32_e32 v27, v18
	v_min_u32_e32 v27, 32, v27
	s_delay_alu instid0(VALU_DEP_1) | instskip(NEXT) | instid1(VALU_DEP_1)
	v_subrev_nc_u32_e32 v29, 28, v27
	v_lshlrev_b64_e32 v[42:43], v29, v[18:19]
	s_delay_alu instid0(VALU_DEP_1)
	v_dual_sub_nc_u32 v27, 29, v27 :: v_dual_bitop2_b32 v18, 7, v42 bitop3:0x40
; %bb.609:                              ;   in Loop: Header=BB339_552 Depth=1
	s_or_b32 exec_lo, exec_lo, s16
	v_lshlrev_b32_e32 v26, 24, v26
	s_delay_alu instid0(VALU_DEP_2) | instskip(NEXT) | instid1(VALU_DEP_3)
	v_lshlrev_b32_e32 v18, 20, v18
	v_lshl_add_u32 v27, v27, 23, 0x3c000000
	s_delay_alu instid0(VALU_DEP_3) | instskip(NEXT) | instid1(VALU_DEP_1)
	v_and_b32_e32 v26, 0x80000000, v26
	v_or3_b32 v18, v18, v26, v27
.LBB339_610:                            ;   in Loop: Header=BB339_552 Depth=1
	s_or_b32 exec_lo, exec_lo, s15
.LBB339_611:                            ;   in Loop: Header=BB339_552 Depth=1
	s_delay_alu instid0(SALU_CYCLE_1)
	s_or_b32 exec_lo, exec_lo, s14
.LBB339_612:                            ;   in Loop: Header=BB339_552 Depth=1
	s_delay_alu instid0(SALU_CYCLE_1)
	s_or_b32 exec_lo, exec_lo, s0
	v_dual_add_nc_u32 v45, -7, v34 :: v_dual_add_nc_u32 v51, -6, v34
	v_cmp_eq_u32_e32 vcc_lo, s9, v36
	s_wait_kmcnt 0x0
	v_fma_mixlo_bf16 v37, s3, v28, 0
	v_fma_mixlo_bf16 v38, s3, v31, 0
	;; [unrolled: 1-line block ×8, first 2 shown]
	v_dual_add_nc_u32 v50, -5, v34 :: v_dual_add_nc_u32 v49, -4, v34
	v_dual_add_nc_u32 v48, -3, v34 :: v_dual_add_nc_u32 v47, -2, v34
	v_add_nc_u32_e32 v46, -1, v34
	s_and_saveexec_b32 s14, vcc_lo
	s_cbranch_execz .LBB339_614
; %bb.613:                              ;   in Loop: Header=BB339_552 Depth=1
	v_cmp_gt_i32_e64 s0, s25, v45
	s_delay_alu instid0(VALU_DEP_1) | instskip(SKIP_1) | instid1(VALU_DEP_1)
	v_cndmask_b32_e64 v44, 0, v44, s0
	v_cmp_gt_i32_e64 s0, s25, v51
	v_cndmask_b32_e64 v43, 0, v43, s0
	v_cmp_gt_i32_e64 s0, s25, v50
	s_delay_alu instid0(VALU_DEP_1) | instskip(SKIP_1) | instid1(VALU_DEP_1)
	v_cndmask_b32_e64 v42, 0, v42, s0
	v_cmp_gt_i32_e64 s0, s25, v49
	v_cndmask_b32_e64 v41, 0, v41, s0
	;; [unrolled: 5-line block ×4, first 2 shown]
.LBB339_614:                            ;   in Loop: Header=BB339_552 Depth=1
	s_or_b32 exec_lo, exec_lo, s14
	global_load_b64 v[26:27], v[24:25], off offset:256
	v_dual_mov_b32 v1, 0 :: v_dual_mov_b32 v0, 0
	s_mov_b32 s14, exec_lo
	s_wait_loadcnt 0x0
	v_and_b32_e32 v18, 0xff, v26
	s_delay_alu instid0(VALU_DEP_1)
	v_cmpx_ne_u16_e32 0, v18
	s_cbranch_execz .LBB339_620
; %bb.615:                              ;   in Loop: Header=BB339_552 Depth=1
	v_bfrev_b32_e32 v0, 1
	s_mov_b32 s15, exec_lo
	v_cmpx_ne_u16_e32 0x80, v18
	s_cbranch_execz .LBB339_619
; %bb.616:                              ;   in Loop: Header=BB339_552 Depth=1
	v_and_b32_e32 v18, 0x7f, v26
	v_mov_b32_e32 v0, 0x7f800001
	s_mov_b32 s16, exec_lo
	s_delay_alu instid0(VALU_DEP_2)
	v_cmpx_ne_u32_e32 0x7f, v18
	s_cbranch_execz .LBB339_618
; %bb.617:                              ;   in Loop: Header=BB339_552 Depth=1
	v_cmp_gt_u32_e64 s0, 8, v18
	v_and_b32_e32 v0, 7, v26
	s_delay_alu instid0(VALU_DEP_1) | instskip(NEXT) | instid1(VALU_DEP_1)
	v_clz_i32_u32_e32 v0, v0
	v_min_u32_e32 v0, 32, v0
	v_lshrrev_b32_e32 v28, 3, v18
	s_delay_alu instid0(VALU_DEP_2) | instskip(NEXT) | instid1(VALU_DEP_1)
	v_subrev_nc_u32_e32 v29, 28, v0
	v_dual_sub_nc_u32 v0, 29, v0 :: v_dual_cndmask_b32 v18, 0, v29, s0
	s_delay_alu instid0(VALU_DEP_1) | instskip(NEXT) | instid1(VALU_DEP_2)
	v_cndmask_b32_e64 v0, v28, v0, s0
	v_lshlrev_b64_e32 v[28:29], v18, v[26:27]
	v_lshlrev_b32_e32 v18, 24, v26
	s_delay_alu instid0(VALU_DEP_3) | instskip(NEXT) | instid1(VALU_DEP_2)
	v_lshl_add_u32 v0, v0, 23, 0x3c000000
	v_and_b32_e32 v18, 0x80000000, v18
	s_delay_alu instid0(VALU_DEP_4) | instskip(NEXT) | instid1(VALU_DEP_1)
	v_lshlrev_b32_e32 v28, 20, v28
	v_and_b32_e32 v28, 0x700000, v28
	s_delay_alu instid0(VALU_DEP_1)
	v_or3_b32 v0, v28, v18, v0
.LBB339_618:                            ;   in Loop: Header=BB339_552 Depth=1
	s_or_b32 exec_lo, exec_lo, s16
.LBB339_619:                            ;   in Loop: Header=BB339_552 Depth=1
	s_delay_alu instid0(SALU_CYCLE_1)
	s_or_b32 exec_lo, exec_lo, s15
.LBB339_620:                            ;   in Loop: Header=BB339_552 Depth=1
	s_delay_alu instid0(SALU_CYCLE_1) | instskip(SKIP_2) | instid1(VALU_DEP_1)
	s_or_b32 exec_lo, exec_lo, s14
	v_lshrrev_b16 v18, 8, v26
	s_mov_b32 s14, exec_lo
	v_cmpx_ne_u16_e32 0, v18
	s_cbranch_execz .LBB339_628
; %bb.621:                              ;   in Loop: Header=BB339_552 Depth=1
	v_bfrev_b32_e32 v1, 1
	s_mov_b32 s15, exec_lo
	v_cmpx_ne_u16_e32 0x80, v18
	s_cbranch_execz .LBB339_627
; %bb.622:                              ;   in Loop: Header=BB339_552 Depth=1
	v_and_b32_e32 v18, 0xffff, v18
	v_mov_b32_e32 v1, 0x7f800001
	s_mov_b32 s16, exec_lo
	s_delay_alu instid0(VALU_DEP_2) | instskip(NEXT) | instid1(VALU_DEP_1)
	v_and_b32_e32 v28, 0x7f, v18
	v_cmpx_ne_u32_e32 0x7f, v28
	s_cbranch_execz .LBB339_626
; %bb.623:                              ;   in Loop: Header=BB339_552 Depth=1
	v_dual_lshrrev_b32 v1, 3, v28 :: v_dual_bitop2_b32 v18, 7, v18 bitop3:0x40
	s_mov_b32 s17, exec_lo
	v_cmpx_gt_u32_e32 8, v28
; %bb.624:                              ;   in Loop: Header=BB339_552 Depth=1
	s_delay_alu instid0(VALU_DEP_2) | instskip(NEXT) | instid1(VALU_DEP_1)
	v_clz_i32_u32_e32 v1, v18
	v_min_u32_e32 v1, 32, v1
	s_delay_alu instid0(VALU_DEP_1) | instskip(NEXT) | instid1(VALU_DEP_1)
	v_subrev_nc_u32_e32 v28, 28, v1
	v_lshlrev_b64_e32 v[28:29], v28, v[18:19]
	s_delay_alu instid0(VALU_DEP_1)
	v_dual_sub_nc_u32 v1, 29, v1 :: v_dual_bitop2_b32 v18, 7, v28 bitop3:0x40
; %bb.625:                              ;   in Loop: Header=BB339_552 Depth=1
	s_or_b32 exec_lo, exec_lo, s17
	v_lshlrev_b32_e32 v28, 16, v26
	s_delay_alu instid0(VALU_DEP_2) | instskip(NEXT) | instid1(VALU_DEP_3)
	v_lshlrev_b32_e32 v18, 20, v18
	v_lshl_add_u32 v1, v1, 23, 0x3c000000
	s_delay_alu instid0(VALU_DEP_3) | instskip(NEXT) | instid1(VALU_DEP_1)
	v_and_b32_e32 v28, 0x80000000, v28
	v_or3_b32 v1, v18, v28, v1
.LBB339_626:                            ;   in Loop: Header=BB339_552 Depth=1
	s_or_b32 exec_lo, exec_lo, s16
.LBB339_627:                            ;   in Loop: Header=BB339_552 Depth=1
	s_delay_alu instid0(SALU_CYCLE_1)
	s_or_b32 exec_lo, exec_lo, s15
.LBB339_628:                            ;   in Loop: Header=BB339_552 Depth=1
	s_delay_alu instid0(SALU_CYCLE_1) | instskip(SKIP_3) | instid1(VALU_DEP_2)
	s_or_b32 exec_lo, exec_lo, s14
	v_dual_mov_b32 v31, 0 :: v_dual_lshrrev_b32 v28, 16, v26
	v_mov_b32_e32 v30, 0
	s_mov_b32 s14, exec_lo
	v_and_b32_e32 v18, 0xff, v28
	s_delay_alu instid0(VALU_DEP_1)
	v_cmpx_ne_u16_e32 0, v18
	s_cbranch_execz .LBB339_636
; %bb.629:                              ;   in Loop: Header=BB339_552 Depth=1
	v_bfrev_b32_e32 v30, 1
	s_mov_b32 s15, exec_lo
	v_cmpx_ne_u16_e32 0x80, v18
	s_cbranch_execz .LBB339_635
; %bb.630:                              ;   in Loop: Header=BB339_552 Depth=1
	v_bfe_u32 v52, v26, 16, 7
	v_mov_b32_e32 v30, 0x7f800001
	s_mov_b32 s16, exec_lo
	s_delay_alu instid0(VALU_DEP_2)
	v_cmpx_ne_u32_e32 0x7f, v52
	s_cbranch_execz .LBB339_634
; %bb.631:                              ;   in Loop: Header=BB339_552 Depth=1
	v_and_b32_e32 v18, 7, v28
	v_lshrrev_b32_e32 v29, 3, v52
	s_mov_b32 s17, exec_lo
	v_cmpx_gt_u32_e32 8, v52
; %bb.632:                              ;   in Loop: Header=BB339_552 Depth=1
	s_delay_alu instid0(VALU_DEP_3) | instskip(NEXT) | instid1(VALU_DEP_1)
	v_clz_i32_u32_e32 v29, v18
	v_min_u32_e32 v29, 32, v29
	s_delay_alu instid0(VALU_DEP_1) | instskip(NEXT) | instid1(VALU_DEP_1)
	v_subrev_nc_u32_e32 v30, 28, v29
	v_lshlrev_b64_e32 v[52:53], v30, v[18:19]
	s_delay_alu instid0(VALU_DEP_1)
	v_dual_sub_nc_u32 v29, 29, v29 :: v_dual_bitop2_b32 v18, 7, v52 bitop3:0x40
; %bb.633:                              ;   in Loop: Header=BB339_552 Depth=1
	s_or_b32 exec_lo, exec_lo, s17
	s_delay_alu instid0(VALU_DEP_1) | instskip(NEXT) | instid1(VALU_DEP_2)
	v_dual_lshlrev_b32 v28, 24, v28 :: v_dual_lshlrev_b32 v18, 20, v18
	v_lshl_add_u32 v29, v29, 23, 0x3c000000
	s_delay_alu instid0(VALU_DEP_2) | instskip(NEXT) | instid1(VALU_DEP_1)
	v_and_b32_e32 v28, 0x80000000, v28
	v_or3_b32 v30, v18, v28, v29
.LBB339_634:                            ;   in Loop: Header=BB339_552 Depth=1
	s_or_b32 exec_lo, exec_lo, s16
.LBB339_635:                            ;   in Loop: Header=BB339_552 Depth=1
	s_delay_alu instid0(SALU_CYCLE_1)
	s_or_b32 exec_lo, exec_lo, s15
.LBB339_636:                            ;   in Loop: Header=BB339_552 Depth=1
	s_delay_alu instid0(SALU_CYCLE_1) | instskip(NEXT) | instid1(SALU_CYCLE_1)
	s_or_b32 exec_lo, exec_lo, s14
	s_mov_b32 s14, exec_lo
	v_cmpx_lt_u32_e32 0xffffff, v26
	s_cbranch_execz .LBB339_644
; %bb.637:                              ;   in Loop: Header=BB339_552 Depth=1
	v_lshrrev_b32_e32 v28, 24, v26
	v_bfrev_b32_e32 v31, 1
	s_mov_b32 s15, exec_lo
	s_delay_alu instid0(VALU_DEP_2)
	v_cmpx_ne_u32_e32 0x80, v28
	s_cbranch_execz .LBB339_643
; %bb.638:                              ;   in Loop: Header=BB339_552 Depth=1
	v_bfe_u32 v52, v26, 24, 7
	v_mov_b32_e32 v31, 0x7f800001
	s_mov_b32 s16, exec_lo
	s_delay_alu instid0(VALU_DEP_2)
	v_cmpx_ne_u32_e32 0x7f, v52
	s_cbranch_execz .LBB339_642
; %bb.639:                              ;   in Loop: Header=BB339_552 Depth=1
	v_and_b32_e32 v18, 7, v28
	v_lshrrev_b32_e32 v29, 3, v52
	s_mov_b32 s17, exec_lo
	v_cmpx_gt_u32_e32 8, v52
; %bb.640:                              ;   in Loop: Header=BB339_552 Depth=1
	s_delay_alu instid0(VALU_DEP_3) | instskip(NEXT) | instid1(VALU_DEP_1)
	v_clz_i32_u32_e32 v29, v18
	v_min_u32_e32 v29, 32, v29
	s_delay_alu instid0(VALU_DEP_1) | instskip(NEXT) | instid1(VALU_DEP_1)
	v_subrev_nc_u32_e32 v31, 28, v29
	v_lshlrev_b64_e32 v[52:53], v31, v[18:19]
	s_delay_alu instid0(VALU_DEP_1)
	v_dual_sub_nc_u32 v29, 29, v29 :: v_dual_bitop2_b32 v18, 7, v52 bitop3:0x40
; %bb.641:                              ;   in Loop: Header=BB339_552 Depth=1
	s_or_b32 exec_lo, exec_lo, s17
	s_delay_alu instid0(VALU_DEP_1) | instskip(NEXT) | instid1(VALU_DEP_2)
	v_dual_lshlrev_b32 v28, 24, v28 :: v_dual_lshlrev_b32 v18, 20, v18
	v_lshl_add_u32 v29, v29, 23, 0x3c000000
	s_delay_alu instid0(VALU_DEP_2) | instskip(NEXT) | instid1(VALU_DEP_1)
	v_and_b32_e32 v28, 0x80000000, v28
	v_or3_b32 v31, v18, v28, v29
.LBB339_642:                            ;   in Loop: Header=BB339_552 Depth=1
	s_or_b32 exec_lo, exec_lo, s16
.LBB339_643:                            ;   in Loop: Header=BB339_552 Depth=1
	s_delay_alu instid0(SALU_CYCLE_1)
	s_or_b32 exec_lo, exec_lo, s15
.LBB339_644:                            ;   in Loop: Header=BB339_552 Depth=1
	s_delay_alu instid0(SALU_CYCLE_1) | instskip(SKIP_4) | instid1(VALU_DEP_3)
	s_or_b32 exec_lo, exec_lo, s14
	v_and_b32_e32 v29, 0xff, v27
	v_dual_mov_b32 v18, v27 :: v_dual_mov_b32 v28, 0
	v_mov_b32_e32 v53, 0
	s_mov_b32 s14, exec_lo
	v_cmpx_ne_u16_e32 0, v29
	s_cbranch_execz .LBB339_650
; %bb.645:                              ;   in Loop: Header=BB339_552 Depth=1
	v_bfrev_b32_e32 v53, 1
	s_mov_b32 s15, exec_lo
	v_cmpx_ne_u16_e32 0x80, v29
	s_cbranch_execz .LBB339_649
; %bb.646:                              ;   in Loop: Header=BB339_552 Depth=1
	v_and_b32_e32 v29, 0x7f, v27
	v_mov_b32_e32 v53, 0x7f800001
	s_mov_b32 s16, exec_lo
	s_delay_alu instid0(VALU_DEP_2)
	v_cmpx_ne_u32_e32 0x7f, v29
	s_cbranch_execz .LBB339_648
; %bb.647:                              ;   in Loop: Header=BB339_552 Depth=1
	v_dual_lshrrev_b32 v53, 3, v29 :: v_dual_bitop2_b32 v52, 7, v27 bitop3:0x40
	v_cmp_gt_u32_e64 s0, 8, v29
	s_delay_alu instid0(VALU_DEP_2) | instskip(NEXT) | instid1(VALU_DEP_1)
	v_clz_i32_u32_e32 v52, v52
	v_min_u32_e32 v52, 32, v52
	s_delay_alu instid0(VALU_DEP_1) | instskip(SKIP_1) | instid1(VALU_DEP_1)
	v_subrev_nc_u32_e32 v54, 28, v52
	v_sub_nc_u32_e32 v52, 29, v52
	v_dual_cndmask_b32 v29, v53, v52, s0 :: v_dual_cndmask_b32 v52, 0, v54, s0
	s_delay_alu instid0(VALU_DEP_1) | instskip(NEXT) | instid1(VALU_DEP_2)
	v_lshl_add_u32 v29, v29, 23, 0x3c000000
	v_lshlrev_b64_e32 v[52:53], v52, v[18:19]
	v_lshlrev_b32_e32 v53, 24, v18
	s_delay_alu instid0(VALU_DEP_1) | instskip(NEXT) | instid1(VALU_DEP_3)
	v_and_b32_e32 v53, 0x80000000, v53
	v_lshlrev_b32_e32 v52, 20, v52
	s_delay_alu instid0(VALU_DEP_1) | instskip(NEXT) | instid1(VALU_DEP_1)
	v_and_b32_e32 v52, 0x700000, v52
	v_or3_b32 v53, v52, v53, v29
.LBB339_648:                            ;   in Loop: Header=BB339_552 Depth=1
	s_or_b32 exec_lo, exec_lo, s16
.LBB339_649:                            ;   in Loop: Header=BB339_552 Depth=1
	s_delay_alu instid0(SALU_CYCLE_1)
	s_or_b32 exec_lo, exec_lo, s15
.LBB339_650:                            ;   in Loop: Header=BB339_552 Depth=1
	s_delay_alu instid0(SALU_CYCLE_1) | instskip(SKIP_2) | instid1(VALU_DEP_1)
	s_or_b32 exec_lo, exec_lo, s14
	v_lshrrev_b16 v29, 8, v18
	s_mov_b32 s14, exec_lo
	v_cmpx_ne_u16_e32 0, v29
	s_cbranch_execz .LBB339_658
; %bb.651:                              ;   in Loop: Header=BB339_552 Depth=1
	v_bfrev_b32_e32 v28, 1
	s_mov_b32 s15, exec_lo
	v_cmpx_ne_u16_e32 0x80, v29
	s_cbranch_execz .LBB339_657
; %bb.652:                              ;   in Loop: Header=BB339_552 Depth=1
	v_and_b32_e32 v29, 0xffff, v29
	v_mov_b32_e32 v28, 0x7f800001
	s_mov_b32 s16, exec_lo
	s_delay_alu instid0(VALU_DEP_2) | instskip(NEXT) | instid1(VALU_DEP_1)
	v_and_b32_e32 v54, 0x7f, v29
	v_cmpx_ne_u32_e32 0x7f, v54
	s_cbranch_execz .LBB339_656
; %bb.653:                              ;   in Loop: Header=BB339_552 Depth=1
	v_dual_mov_b32 v29, v19 :: v_dual_bitop2_b32 v28, 7, v29 bitop3:0x40
	v_lshrrev_b32_e32 v52, 3, v54
	s_mov_b32 s17, exec_lo
	v_cmpx_gt_u32_e32 8, v54
; %bb.654:                              ;   in Loop: Header=BB339_552 Depth=1
	s_delay_alu instid0(VALU_DEP_3) | instskip(NEXT) | instid1(VALU_DEP_1)
	v_clz_i32_u32_e32 v52, v28
	v_min_u32_e32 v52, 32, v52
	s_delay_alu instid0(VALU_DEP_1) | instskip(SKIP_1) | instid1(VALU_DEP_2)
	v_subrev_nc_u32_e32 v54, 28, v52
	v_sub_nc_u32_e32 v52, 29, v52
	v_lshlrev_b64_e32 v[28:29], v54, v[28:29]
	s_delay_alu instid0(VALU_DEP_1)
	v_and_b32_e32 v28, 7, v28
; %bb.655:                              ;   in Loop: Header=BB339_552 Depth=1
	s_or_b32 exec_lo, exec_lo, s17
	s_delay_alu instid0(VALU_DEP_1) | instskip(SKIP_1) | instid1(VALU_DEP_2)
	v_dual_lshlrev_b32 v18, 16, v18 :: v_dual_lshlrev_b32 v28, 20, v28
	v_lshl_add_u32 v29, v52, 23, 0x3c000000
	v_and_b32_e32 v18, 0x80000000, v18
	s_delay_alu instid0(VALU_DEP_1)
	v_or3_b32 v28, v28, v18, v29
.LBB339_656:                            ;   in Loop: Header=BB339_552 Depth=1
	s_or_b32 exec_lo, exec_lo, s16
.LBB339_657:                            ;   in Loop: Header=BB339_552 Depth=1
	s_delay_alu instid0(SALU_CYCLE_1)
	s_or_b32 exec_lo, exec_lo, s15
.LBB339_658:                            ;   in Loop: Header=BB339_552 Depth=1
	s_delay_alu instid0(SALU_CYCLE_1) | instskip(SKIP_3) | instid1(VALU_DEP_2)
	s_or_b32 exec_lo, exec_lo, s14
	v_dual_mov_b32 v29, 0 :: v_dual_lshrrev_b32 v52, 16, v27
	v_mov_b32_e32 v54, 0
	s_mov_b32 s14, exec_lo
	v_and_b32_e32 v18, 0xff, v52
	s_delay_alu instid0(VALU_DEP_1)
	v_cmpx_ne_u16_e32 0, v18
	s_cbranch_execz .LBB339_666
; %bb.659:                              ;   in Loop: Header=BB339_552 Depth=1
	v_bfrev_b32_e32 v54, 1
	s_mov_b32 s15, exec_lo
	v_cmpx_ne_u16_e32 0x80, v18
	s_cbranch_execz .LBB339_665
; %bb.660:                              ;   in Loop: Header=BB339_552 Depth=1
	v_bfe_u32 v55, v27, 16, 7
	v_mov_b32_e32 v54, 0x7f800001
	s_mov_b32 s16, exec_lo
	s_delay_alu instid0(VALU_DEP_2)
	v_cmpx_ne_u32_e32 0x7f, v55
	s_cbranch_execz .LBB339_664
; %bb.661:                              ;   in Loop: Header=BB339_552 Depth=1
	v_dual_lshrrev_b32 v54, 3, v55 :: v_dual_bitop2_b32 v18, 7, v52 bitop3:0x40
	s_mov_b32 s17, exec_lo
	v_cmpx_gt_u32_e32 8, v55
; %bb.662:                              ;   in Loop: Header=BB339_552 Depth=1
	s_delay_alu instid0(VALU_DEP_2) | instskip(NEXT) | instid1(VALU_DEP_1)
	v_clz_i32_u32_e32 v54, v18
	v_min_u32_e32 v54, 32, v54
	s_delay_alu instid0(VALU_DEP_1) | instskip(NEXT) | instid1(VALU_DEP_1)
	v_subrev_nc_u32_e32 v55, 28, v54
	v_lshlrev_b64_e32 v[56:57], v55, v[18:19]
	s_delay_alu instid0(VALU_DEP_1)
	v_dual_sub_nc_u32 v54, 29, v54 :: v_dual_bitop2_b32 v18, 7, v56 bitop3:0x40
; %bb.663:                              ;   in Loop: Header=BB339_552 Depth=1
	s_or_b32 exec_lo, exec_lo, s17
	s_delay_alu instid0(VALU_DEP_1) | instskip(NEXT) | instid1(VALU_DEP_2)
	v_dual_lshlrev_b32 v52, 24, v52 :: v_dual_lshlrev_b32 v18, 20, v18
	v_lshl_add_u32 v54, v54, 23, 0x3c000000
	s_delay_alu instid0(VALU_DEP_2) | instskip(NEXT) | instid1(VALU_DEP_1)
	v_and_b32_e32 v52, 0x80000000, v52
	v_or3_b32 v54, v18, v52, v54
.LBB339_664:                            ;   in Loop: Header=BB339_552 Depth=1
	s_or_b32 exec_lo, exec_lo, s16
.LBB339_665:                            ;   in Loop: Header=BB339_552 Depth=1
	s_delay_alu instid0(SALU_CYCLE_1)
	s_or_b32 exec_lo, exec_lo, s15
.LBB339_666:                            ;   in Loop: Header=BB339_552 Depth=1
	s_delay_alu instid0(SALU_CYCLE_1) | instskip(NEXT) | instid1(SALU_CYCLE_1)
	s_or_b32 exec_lo, exec_lo, s14
	s_mov_b32 s14, exec_lo
	v_cmpx_lt_u64_e64 s[4:5], v[26:27]
	s_cbranch_execz .LBB339_674
; %bb.667:                              ;   in Loop: Header=BB339_552 Depth=1
	v_lshrrev_b32_e32 v26, 24, v27
	v_bfrev_b32_e32 v29, 1
	s_mov_b32 s15, exec_lo
	s_delay_alu instid0(VALU_DEP_2)
	v_cmpx_ne_u32_e32 0x80, v26
	s_cbranch_execz .LBB339_673
; %bb.668:                              ;   in Loop: Header=BB339_552 Depth=1
	v_bfe_u32 v52, v27, 24, 7
	v_mov_b32_e32 v29, 0x7f800001
	s_mov_b32 s16, exec_lo
	s_delay_alu instid0(VALU_DEP_2)
	v_cmpx_ne_u32_e32 0x7f, v52
	s_cbranch_execz .LBB339_672
; %bb.669:                              ;   in Loop: Header=BB339_552 Depth=1
	v_dual_lshrrev_b32 v27, 3, v52 :: v_dual_bitop2_b32 v18, 7, v26 bitop3:0x40
	s_mov_b32 s17, exec_lo
	v_cmpx_gt_u32_e32 8, v52
; %bb.670:                              ;   in Loop: Header=BB339_552 Depth=1
	s_delay_alu instid0(VALU_DEP_2) | instskip(NEXT) | instid1(VALU_DEP_1)
	v_clz_i32_u32_e32 v27, v18
	v_min_u32_e32 v27, 32, v27
	s_delay_alu instid0(VALU_DEP_1) | instskip(NEXT) | instid1(VALU_DEP_1)
	v_subrev_nc_u32_e32 v29, 28, v27
	v_lshlrev_b64_e32 v[56:57], v29, v[18:19]
	s_delay_alu instid0(VALU_DEP_1)
	v_dual_sub_nc_u32 v27, 29, v27 :: v_dual_bitop2_b32 v18, 7, v56 bitop3:0x40
; %bb.671:                              ;   in Loop: Header=BB339_552 Depth=1
	s_or_b32 exec_lo, exec_lo, s17
	v_lshlrev_b32_e32 v26, 24, v26
	s_delay_alu instid0(VALU_DEP_2) | instskip(NEXT) | instid1(VALU_DEP_3)
	v_lshlrev_b32_e32 v18, 20, v18
	v_lshl_add_u32 v27, v27, 23, 0x3c000000
	s_delay_alu instid0(VALU_DEP_3) | instskip(NEXT) | instid1(VALU_DEP_1)
	v_and_b32_e32 v26, 0x80000000, v26
	v_or3_b32 v29, v18, v26, v27
.LBB339_672:                            ;   in Loop: Header=BB339_552 Depth=1
	s_or_b32 exec_lo, exec_lo, s16
.LBB339_673:                            ;   in Loop: Header=BB339_552 Depth=1
	s_delay_alu instid0(SALU_CYCLE_1)
	s_or_b32 exec_lo, exec_lo, s15
.LBB339_674:                            ;   in Loop: Header=BB339_552 Depth=1
	s_delay_alu instid0(SALU_CYCLE_1)
	s_or_b32 exec_lo, exec_lo, s14
	v_fma_mixlo_bf16 v52, s3, v28, 0
	v_fma_mixlo_bf16 v53, s3, v53, 0
	;; [unrolled: 1-line block ×8, first 2 shown]
	s_and_saveexec_b32 s14, vcc_lo
	s_cbranch_execz .LBB339_676
; %bb.675:                              ;   in Loop: Header=BB339_552 Depth=1
	v_cmp_gt_i32_e64 s0, s25, v45
	s_delay_alu instid0(VALU_DEP_1) | instskip(SKIP_1) | instid1(VALU_DEP_1)
	v_cndmask_b32_e64 v59, 0, v59, s0
	v_cmp_gt_i32_e64 s0, s25, v51
	v_cndmask_b32_e64 v58, 0, v58, s0
	v_cmp_gt_i32_e64 s0, s25, v50
	s_delay_alu instid0(VALU_DEP_1) | instskip(SKIP_1) | instid1(VALU_DEP_1)
	v_cndmask_b32_e64 v57, 0, v57, s0
	v_cmp_gt_i32_e64 s0, s25, v49
	v_cndmask_b32_e64 v56, 0, v56, s0
	;; [unrolled: 5-line block ×4, first 2 shown]
.LBB339_676:                            ;   in Loop: Header=BB339_552 Depth=1
	s_or_b32 exec_lo, exec_lo, s14
	global_load_b64 v[26:27], v[24:25], off offset:512
	v_dual_mov_b32 v1, 0 :: v_dual_mov_b32 v0, 0
	s_mov_b32 s14, exec_lo
	s_wait_loadcnt 0x0
	v_and_b32_e32 v18, 0xff, v26
	s_delay_alu instid0(VALU_DEP_1)
	v_cmpx_ne_u16_e32 0, v18
	s_cbranch_execz .LBB339_682
; %bb.677:                              ;   in Loop: Header=BB339_552 Depth=1
	v_bfrev_b32_e32 v0, 1
	s_mov_b32 s15, exec_lo
	v_cmpx_ne_u16_e32 0x80, v18
	s_cbranch_execz .LBB339_681
; %bb.678:                              ;   in Loop: Header=BB339_552 Depth=1
	v_and_b32_e32 v18, 0x7f, v26
	v_mov_b32_e32 v0, 0x7f800001
	s_mov_b32 s16, exec_lo
	s_delay_alu instid0(VALU_DEP_2)
	v_cmpx_ne_u32_e32 0x7f, v18
	s_cbranch_execz .LBB339_680
; %bb.679:                              ;   in Loop: Header=BB339_552 Depth=1
	v_cmp_gt_u32_e64 s0, 8, v18
	v_and_b32_e32 v0, 7, v26
	s_delay_alu instid0(VALU_DEP_1) | instskip(NEXT) | instid1(VALU_DEP_1)
	v_clz_i32_u32_e32 v0, v0
	v_min_u32_e32 v0, 32, v0
	v_lshrrev_b32_e32 v28, 3, v18
	s_delay_alu instid0(VALU_DEP_2) | instskip(NEXT) | instid1(VALU_DEP_1)
	v_subrev_nc_u32_e32 v29, 28, v0
	v_dual_sub_nc_u32 v0, 29, v0 :: v_dual_cndmask_b32 v18, 0, v29, s0
	s_delay_alu instid0(VALU_DEP_1) | instskip(NEXT) | instid1(VALU_DEP_2)
	v_cndmask_b32_e64 v0, v28, v0, s0
	v_lshlrev_b64_e32 v[28:29], v18, v[26:27]
	v_lshlrev_b32_e32 v18, 24, v26
	s_delay_alu instid0(VALU_DEP_3) | instskip(NEXT) | instid1(VALU_DEP_2)
	v_lshl_add_u32 v0, v0, 23, 0x3c000000
	v_and_b32_e32 v18, 0x80000000, v18
	s_delay_alu instid0(VALU_DEP_4) | instskip(NEXT) | instid1(VALU_DEP_1)
	v_lshlrev_b32_e32 v28, 20, v28
	v_and_b32_e32 v28, 0x700000, v28
	s_delay_alu instid0(VALU_DEP_1)
	v_or3_b32 v0, v28, v18, v0
.LBB339_680:                            ;   in Loop: Header=BB339_552 Depth=1
	s_or_b32 exec_lo, exec_lo, s16
.LBB339_681:                            ;   in Loop: Header=BB339_552 Depth=1
	s_delay_alu instid0(SALU_CYCLE_1)
	s_or_b32 exec_lo, exec_lo, s15
.LBB339_682:                            ;   in Loop: Header=BB339_552 Depth=1
	s_delay_alu instid0(SALU_CYCLE_1) | instskip(SKIP_2) | instid1(VALU_DEP_1)
	s_or_b32 exec_lo, exec_lo, s14
	v_lshrrev_b16 v18, 8, v26
	s_mov_b32 s14, exec_lo
	v_cmpx_ne_u16_e32 0, v18
	s_cbranch_execz .LBB339_690
; %bb.683:                              ;   in Loop: Header=BB339_552 Depth=1
	v_bfrev_b32_e32 v1, 1
	s_mov_b32 s15, exec_lo
	v_cmpx_ne_u16_e32 0x80, v18
	s_cbranch_execz .LBB339_689
; %bb.684:                              ;   in Loop: Header=BB339_552 Depth=1
	v_and_b32_e32 v18, 0xffff, v18
	v_mov_b32_e32 v1, 0x7f800001
	s_mov_b32 s16, exec_lo
	s_delay_alu instid0(VALU_DEP_2) | instskip(NEXT) | instid1(VALU_DEP_1)
	v_and_b32_e32 v28, 0x7f, v18
	v_cmpx_ne_u32_e32 0x7f, v28
	s_cbranch_execz .LBB339_688
; %bb.685:                              ;   in Loop: Header=BB339_552 Depth=1
	v_dual_lshrrev_b32 v1, 3, v28 :: v_dual_bitop2_b32 v18, 7, v18 bitop3:0x40
	s_mov_b32 s17, exec_lo
	v_cmpx_gt_u32_e32 8, v28
; %bb.686:                              ;   in Loop: Header=BB339_552 Depth=1
	s_delay_alu instid0(VALU_DEP_2) | instskip(NEXT) | instid1(VALU_DEP_1)
	v_clz_i32_u32_e32 v1, v18
	v_min_u32_e32 v1, 32, v1
	s_delay_alu instid0(VALU_DEP_1) | instskip(NEXT) | instid1(VALU_DEP_1)
	v_subrev_nc_u32_e32 v28, 28, v1
	v_lshlrev_b64_e32 v[28:29], v28, v[18:19]
	s_delay_alu instid0(VALU_DEP_1)
	v_dual_sub_nc_u32 v1, 29, v1 :: v_dual_bitop2_b32 v18, 7, v28 bitop3:0x40
; %bb.687:                              ;   in Loop: Header=BB339_552 Depth=1
	s_or_b32 exec_lo, exec_lo, s17
	v_lshlrev_b32_e32 v28, 16, v26
	s_delay_alu instid0(VALU_DEP_2) | instskip(NEXT) | instid1(VALU_DEP_3)
	v_lshlrev_b32_e32 v18, 20, v18
	v_lshl_add_u32 v1, v1, 23, 0x3c000000
	s_delay_alu instid0(VALU_DEP_3) | instskip(NEXT) | instid1(VALU_DEP_1)
	v_and_b32_e32 v28, 0x80000000, v28
	v_or3_b32 v1, v18, v28, v1
.LBB339_688:                            ;   in Loop: Header=BB339_552 Depth=1
	s_or_b32 exec_lo, exec_lo, s16
.LBB339_689:                            ;   in Loop: Header=BB339_552 Depth=1
	s_delay_alu instid0(SALU_CYCLE_1)
	s_or_b32 exec_lo, exec_lo, s15
.LBB339_690:                            ;   in Loop: Header=BB339_552 Depth=1
	s_delay_alu instid0(SALU_CYCLE_1) | instskip(SKIP_3) | instid1(VALU_DEP_2)
	s_or_b32 exec_lo, exec_lo, s14
	v_dual_mov_b32 v31, 0 :: v_dual_lshrrev_b32 v28, 16, v26
	v_mov_b32_e32 v30, 0
	s_mov_b32 s14, exec_lo
	v_and_b32_e32 v18, 0xff, v28
	s_delay_alu instid0(VALU_DEP_1)
	v_cmpx_ne_u16_e32 0, v18
	s_cbranch_execz .LBB339_698
; %bb.691:                              ;   in Loop: Header=BB339_552 Depth=1
	v_bfrev_b32_e32 v30, 1
	s_mov_b32 s15, exec_lo
	v_cmpx_ne_u16_e32 0x80, v18
	s_cbranch_execz .LBB339_697
; %bb.692:                              ;   in Loop: Header=BB339_552 Depth=1
	v_bfe_u32 v60, v26, 16, 7
	v_mov_b32_e32 v30, 0x7f800001
	s_mov_b32 s16, exec_lo
	s_delay_alu instid0(VALU_DEP_2)
	v_cmpx_ne_u32_e32 0x7f, v60
	s_cbranch_execz .LBB339_696
; %bb.693:                              ;   in Loop: Header=BB339_552 Depth=1
	v_and_b32_e32 v18, 7, v28
	v_lshrrev_b32_e32 v29, 3, v60
	s_mov_b32 s17, exec_lo
	v_cmpx_gt_u32_e32 8, v60
; %bb.694:                              ;   in Loop: Header=BB339_552 Depth=1
	s_delay_alu instid0(VALU_DEP_3) | instskip(NEXT) | instid1(VALU_DEP_1)
	v_clz_i32_u32_e32 v29, v18
	v_min_u32_e32 v29, 32, v29
	s_delay_alu instid0(VALU_DEP_1) | instskip(NEXT) | instid1(VALU_DEP_1)
	v_subrev_nc_u32_e32 v30, 28, v29
	v_lshlrev_b64_e32 v[60:61], v30, v[18:19]
	s_delay_alu instid0(VALU_DEP_1)
	v_dual_sub_nc_u32 v29, 29, v29 :: v_dual_bitop2_b32 v18, 7, v60 bitop3:0x40
; %bb.695:                              ;   in Loop: Header=BB339_552 Depth=1
	s_or_b32 exec_lo, exec_lo, s17
	s_delay_alu instid0(VALU_DEP_1) | instskip(NEXT) | instid1(VALU_DEP_2)
	v_dual_lshlrev_b32 v28, 24, v28 :: v_dual_lshlrev_b32 v18, 20, v18
	v_lshl_add_u32 v29, v29, 23, 0x3c000000
	s_delay_alu instid0(VALU_DEP_2) | instskip(NEXT) | instid1(VALU_DEP_1)
	v_and_b32_e32 v28, 0x80000000, v28
	v_or3_b32 v30, v18, v28, v29
.LBB339_696:                            ;   in Loop: Header=BB339_552 Depth=1
	s_or_b32 exec_lo, exec_lo, s16
.LBB339_697:                            ;   in Loop: Header=BB339_552 Depth=1
	s_delay_alu instid0(SALU_CYCLE_1)
	s_or_b32 exec_lo, exec_lo, s15
.LBB339_698:                            ;   in Loop: Header=BB339_552 Depth=1
	s_delay_alu instid0(SALU_CYCLE_1) | instskip(NEXT) | instid1(SALU_CYCLE_1)
	s_or_b32 exec_lo, exec_lo, s14
	s_mov_b32 s14, exec_lo
	v_cmpx_lt_u32_e32 0xffffff, v26
	s_cbranch_execz .LBB339_706
; %bb.699:                              ;   in Loop: Header=BB339_552 Depth=1
	v_lshrrev_b32_e32 v28, 24, v26
	v_bfrev_b32_e32 v31, 1
	s_mov_b32 s15, exec_lo
	s_delay_alu instid0(VALU_DEP_2)
	v_cmpx_ne_u32_e32 0x80, v28
	s_cbranch_execz .LBB339_705
; %bb.700:                              ;   in Loop: Header=BB339_552 Depth=1
	v_bfe_u32 v60, v26, 24, 7
	v_mov_b32_e32 v31, 0x7f800001
	s_mov_b32 s16, exec_lo
	s_delay_alu instid0(VALU_DEP_2)
	v_cmpx_ne_u32_e32 0x7f, v60
	s_cbranch_execz .LBB339_704
; %bb.701:                              ;   in Loop: Header=BB339_552 Depth=1
	v_and_b32_e32 v18, 7, v28
	v_lshrrev_b32_e32 v29, 3, v60
	s_mov_b32 s17, exec_lo
	v_cmpx_gt_u32_e32 8, v60
; %bb.702:                              ;   in Loop: Header=BB339_552 Depth=1
	s_delay_alu instid0(VALU_DEP_3) | instskip(NEXT) | instid1(VALU_DEP_1)
	v_clz_i32_u32_e32 v29, v18
	v_min_u32_e32 v29, 32, v29
	s_delay_alu instid0(VALU_DEP_1) | instskip(NEXT) | instid1(VALU_DEP_1)
	v_subrev_nc_u32_e32 v31, 28, v29
	v_lshlrev_b64_e32 v[60:61], v31, v[18:19]
	s_delay_alu instid0(VALU_DEP_1)
	v_dual_sub_nc_u32 v29, 29, v29 :: v_dual_bitop2_b32 v18, 7, v60 bitop3:0x40
; %bb.703:                              ;   in Loop: Header=BB339_552 Depth=1
	s_or_b32 exec_lo, exec_lo, s17
	s_delay_alu instid0(VALU_DEP_1) | instskip(NEXT) | instid1(VALU_DEP_2)
	v_dual_lshlrev_b32 v28, 24, v28 :: v_dual_lshlrev_b32 v18, 20, v18
	v_lshl_add_u32 v29, v29, 23, 0x3c000000
	s_delay_alu instid0(VALU_DEP_2) | instskip(NEXT) | instid1(VALU_DEP_1)
	v_and_b32_e32 v28, 0x80000000, v28
	v_or3_b32 v31, v18, v28, v29
.LBB339_704:                            ;   in Loop: Header=BB339_552 Depth=1
	s_or_b32 exec_lo, exec_lo, s16
.LBB339_705:                            ;   in Loop: Header=BB339_552 Depth=1
	s_delay_alu instid0(SALU_CYCLE_1)
	s_or_b32 exec_lo, exec_lo, s15
.LBB339_706:                            ;   in Loop: Header=BB339_552 Depth=1
	s_delay_alu instid0(SALU_CYCLE_1) | instskip(SKIP_4) | instid1(VALU_DEP_3)
	s_or_b32 exec_lo, exec_lo, s14
	v_and_b32_e32 v29, 0xff, v27
	v_dual_mov_b32 v18, v27 :: v_dual_mov_b32 v28, 0
	v_mov_b32_e32 v60, 0
	s_mov_b32 s14, exec_lo
	v_cmpx_ne_u16_e32 0, v29
	s_cbranch_execz .LBB339_712
; %bb.707:                              ;   in Loop: Header=BB339_552 Depth=1
	v_bfrev_b32_e32 v60, 1
	s_mov_b32 s15, exec_lo
	v_cmpx_ne_u16_e32 0x80, v29
	s_cbranch_execz .LBB339_711
; %bb.708:                              ;   in Loop: Header=BB339_552 Depth=1
	v_and_b32_e32 v29, 0x7f, v27
	v_mov_b32_e32 v60, 0x7f800001
	s_mov_b32 s16, exec_lo
	s_delay_alu instid0(VALU_DEP_2)
	v_cmpx_ne_u32_e32 0x7f, v29
	s_cbranch_execz .LBB339_710
; %bb.709:                              ;   in Loop: Header=BB339_552 Depth=1
	v_dual_lshrrev_b32 v61, 3, v29 :: v_dual_bitop2_b32 v60, 7, v27 bitop3:0x40
	v_cmp_gt_u32_e64 s0, 8, v29
	s_delay_alu instid0(VALU_DEP_2) | instskip(NEXT) | instid1(VALU_DEP_1)
	v_clz_i32_u32_e32 v60, v60
	v_min_u32_e32 v60, 32, v60
	s_delay_alu instid0(VALU_DEP_1) | instskip(SKIP_1) | instid1(VALU_DEP_1)
	v_subrev_nc_u32_e32 v62, 28, v60
	v_sub_nc_u32_e32 v60, 29, v60
	v_dual_cndmask_b32 v29, v61, v60, s0 :: v_dual_cndmask_b32 v60, 0, v62, s0
	s_delay_alu instid0(VALU_DEP_1) | instskip(NEXT) | instid1(VALU_DEP_2)
	v_lshl_add_u32 v29, v29, 23, 0x3c000000
	v_lshlrev_b64_e32 v[60:61], v60, v[18:19]
	v_lshlrev_b32_e32 v61, 24, v18
	s_delay_alu instid0(VALU_DEP_1) | instskip(NEXT) | instid1(VALU_DEP_3)
	v_and_b32_e32 v61, 0x80000000, v61
	v_lshlrev_b32_e32 v60, 20, v60
	s_delay_alu instid0(VALU_DEP_1) | instskip(NEXT) | instid1(VALU_DEP_1)
	v_and_b32_e32 v60, 0x700000, v60
	v_or3_b32 v60, v60, v61, v29
.LBB339_710:                            ;   in Loop: Header=BB339_552 Depth=1
	s_or_b32 exec_lo, exec_lo, s16
.LBB339_711:                            ;   in Loop: Header=BB339_552 Depth=1
	s_delay_alu instid0(SALU_CYCLE_1)
	s_or_b32 exec_lo, exec_lo, s15
.LBB339_712:                            ;   in Loop: Header=BB339_552 Depth=1
	s_delay_alu instid0(SALU_CYCLE_1) | instskip(SKIP_2) | instid1(VALU_DEP_1)
	s_or_b32 exec_lo, exec_lo, s14
	v_lshrrev_b16 v29, 8, v18
	s_mov_b32 s14, exec_lo
	v_cmpx_ne_u16_e32 0, v29
	s_cbranch_execz .LBB339_720
; %bb.713:                              ;   in Loop: Header=BB339_552 Depth=1
	v_bfrev_b32_e32 v28, 1
	s_mov_b32 s15, exec_lo
	v_cmpx_ne_u16_e32 0x80, v29
	s_cbranch_execz .LBB339_719
; %bb.714:                              ;   in Loop: Header=BB339_552 Depth=1
	v_and_b32_e32 v29, 0xffff, v29
	v_mov_b32_e32 v28, 0x7f800001
	s_mov_b32 s16, exec_lo
	s_delay_alu instid0(VALU_DEP_2) | instskip(NEXT) | instid1(VALU_DEP_1)
	v_and_b32_e32 v62, 0x7f, v29
	v_cmpx_ne_u32_e32 0x7f, v62
	s_cbranch_execz .LBB339_718
; %bb.715:                              ;   in Loop: Header=BB339_552 Depth=1
	v_dual_mov_b32 v29, v19 :: v_dual_bitop2_b32 v28, 7, v29 bitop3:0x40
	v_lshrrev_b32_e32 v61, 3, v62
	s_mov_b32 s17, exec_lo
	v_cmpx_gt_u32_e32 8, v62
; %bb.716:                              ;   in Loop: Header=BB339_552 Depth=1
	s_delay_alu instid0(VALU_DEP_3) | instskip(NEXT) | instid1(VALU_DEP_1)
	v_clz_i32_u32_e32 v61, v28
	v_min_u32_e32 v61, 32, v61
	s_delay_alu instid0(VALU_DEP_1) | instskip(NEXT) | instid1(VALU_DEP_1)
	v_subrev_nc_u32_e32 v62, 28, v61
	v_lshlrev_b64_e32 v[28:29], v62, v[28:29]
	s_delay_alu instid0(VALU_DEP_1)
	v_dual_sub_nc_u32 v61, 29, v61 :: v_dual_bitop2_b32 v28, 7, v28 bitop3:0x40
; %bb.717:                              ;   in Loop: Header=BB339_552 Depth=1
	s_or_b32 exec_lo, exec_lo, s17
	s_delay_alu instid0(VALU_DEP_1) | instskip(NEXT) | instid1(VALU_DEP_2)
	v_dual_lshlrev_b32 v18, 16, v18 :: v_dual_lshlrev_b32 v28, 20, v28
	v_lshl_add_u32 v29, v61, 23, 0x3c000000
	s_delay_alu instid0(VALU_DEP_2) | instskip(NEXT) | instid1(VALU_DEP_1)
	v_and_b32_e32 v18, 0x80000000, v18
	v_or3_b32 v28, v28, v18, v29
.LBB339_718:                            ;   in Loop: Header=BB339_552 Depth=1
	s_or_b32 exec_lo, exec_lo, s16
.LBB339_719:                            ;   in Loop: Header=BB339_552 Depth=1
	s_delay_alu instid0(SALU_CYCLE_1)
	s_or_b32 exec_lo, exec_lo, s15
.LBB339_720:                            ;   in Loop: Header=BB339_552 Depth=1
	s_delay_alu instid0(SALU_CYCLE_1) | instskip(SKIP_3) | instid1(VALU_DEP_2)
	s_or_b32 exec_lo, exec_lo, s14
	v_dual_mov_b32 v29, 0 :: v_dual_lshrrev_b32 v62, 16, v27
	v_mov_b32_e32 v61, 0
	s_mov_b32 s14, exec_lo
	v_and_b32_e32 v18, 0xff, v62
	s_delay_alu instid0(VALU_DEP_1)
	v_cmpx_ne_u16_e32 0, v18
	s_cbranch_execz .LBB339_728
; %bb.721:                              ;   in Loop: Header=BB339_552 Depth=1
	v_bfrev_b32_e32 v61, 1
	s_mov_b32 s15, exec_lo
	v_cmpx_ne_u16_e32 0x80, v18
	s_cbranch_execz .LBB339_727
; %bb.722:                              ;   in Loop: Header=BB339_552 Depth=1
	v_bfe_u32 v63, v27, 16, 7
	v_mov_b32_e32 v61, 0x7f800001
	s_mov_b32 s16, exec_lo
	s_delay_alu instid0(VALU_DEP_2)
	v_cmpx_ne_u32_e32 0x7f, v63
	s_cbranch_execz .LBB339_726
; %bb.723:                              ;   in Loop: Header=BB339_552 Depth=1
	v_dual_lshrrev_b32 v61, 3, v63 :: v_dual_bitop2_b32 v18, 7, v62 bitop3:0x40
	s_mov_b32 s17, exec_lo
	v_cmpx_gt_u32_e32 8, v63
; %bb.724:                              ;   in Loop: Header=BB339_552 Depth=1
	s_delay_alu instid0(VALU_DEP_2) | instskip(NEXT) | instid1(VALU_DEP_1)
	v_clz_i32_u32_e32 v61, v18
	v_min_u32_e32 v61, 32, v61
	s_delay_alu instid0(VALU_DEP_1) | instskip(NEXT) | instid1(VALU_DEP_1)
	v_subrev_nc_u32_e32 v63, 28, v61
	v_lshlrev_b64_e32 v[64:65], v63, v[18:19]
	s_delay_alu instid0(VALU_DEP_1)
	v_dual_sub_nc_u32 v61, 29, v61 :: v_dual_bitop2_b32 v18, 7, v64 bitop3:0x40
; %bb.725:                              ;   in Loop: Header=BB339_552 Depth=1
	s_or_b32 exec_lo, exec_lo, s17
	v_lshlrev_b32_e32 v62, 24, v62
	s_delay_alu instid0(VALU_DEP_2) | instskip(NEXT) | instid1(VALU_DEP_3)
	v_lshlrev_b32_e32 v18, 20, v18
	v_lshl_add_u32 v61, v61, 23, 0x3c000000
	s_delay_alu instid0(VALU_DEP_3) | instskip(NEXT) | instid1(VALU_DEP_1)
	v_and_b32_e32 v62, 0x80000000, v62
	v_or3_b32 v61, v18, v62, v61
.LBB339_726:                            ;   in Loop: Header=BB339_552 Depth=1
	s_or_b32 exec_lo, exec_lo, s16
.LBB339_727:                            ;   in Loop: Header=BB339_552 Depth=1
	s_delay_alu instid0(SALU_CYCLE_1)
	s_or_b32 exec_lo, exec_lo, s15
.LBB339_728:                            ;   in Loop: Header=BB339_552 Depth=1
	s_delay_alu instid0(SALU_CYCLE_1) | instskip(NEXT) | instid1(SALU_CYCLE_1)
	s_or_b32 exec_lo, exec_lo, s14
	s_mov_b32 s14, exec_lo
	v_cmpx_lt_u64_e64 s[4:5], v[26:27]
	s_cbranch_execz .LBB339_736
; %bb.729:                              ;   in Loop: Header=BB339_552 Depth=1
	v_lshrrev_b32_e32 v26, 24, v27
	v_bfrev_b32_e32 v29, 1
	s_mov_b32 s15, exec_lo
	s_delay_alu instid0(VALU_DEP_2)
	v_cmpx_ne_u32_e32 0x80, v26
	s_cbranch_execz .LBB339_735
; %bb.730:                              ;   in Loop: Header=BB339_552 Depth=1
	v_bfe_u32 v62, v27, 24, 7
	v_mov_b32_e32 v29, 0x7f800001
	s_mov_b32 s16, exec_lo
	s_delay_alu instid0(VALU_DEP_2)
	v_cmpx_ne_u32_e32 0x7f, v62
	s_cbranch_execz .LBB339_734
; %bb.731:                              ;   in Loop: Header=BB339_552 Depth=1
	v_and_b32_e32 v18, 7, v26
	v_lshrrev_b32_e32 v27, 3, v62
	s_mov_b32 s17, exec_lo
	v_cmpx_gt_u32_e32 8, v62
; %bb.732:                              ;   in Loop: Header=BB339_552 Depth=1
	s_delay_alu instid0(VALU_DEP_3) | instskip(NEXT) | instid1(VALU_DEP_1)
	v_clz_i32_u32_e32 v27, v18
	v_min_u32_e32 v27, 32, v27
	s_delay_alu instid0(VALU_DEP_1) | instskip(NEXT) | instid1(VALU_DEP_1)
	v_subrev_nc_u32_e32 v29, 28, v27
	v_lshlrev_b64_e32 v[62:63], v29, v[18:19]
	s_delay_alu instid0(VALU_DEP_1)
	v_dual_sub_nc_u32 v27, 29, v27 :: v_dual_bitop2_b32 v18, 7, v62 bitop3:0x40
; %bb.733:                              ;   in Loop: Header=BB339_552 Depth=1
	s_or_b32 exec_lo, exec_lo, s17
	v_lshlrev_b32_e32 v26, 24, v26
	s_delay_alu instid0(VALU_DEP_2) | instskip(NEXT) | instid1(VALU_DEP_3)
	v_lshlrev_b32_e32 v18, 20, v18
	v_lshl_add_u32 v27, v27, 23, 0x3c000000
	s_delay_alu instid0(VALU_DEP_3) | instskip(NEXT) | instid1(VALU_DEP_1)
	v_and_b32_e32 v26, 0x80000000, v26
	v_or3_b32 v29, v18, v26, v27
.LBB339_734:                            ;   in Loop: Header=BB339_552 Depth=1
	s_or_b32 exec_lo, exec_lo, s16
.LBB339_735:                            ;   in Loop: Header=BB339_552 Depth=1
	s_delay_alu instid0(SALU_CYCLE_1)
	s_or_b32 exec_lo, exec_lo, s15
.LBB339_736:                            ;   in Loop: Header=BB339_552 Depth=1
	s_delay_alu instid0(SALU_CYCLE_1)
	s_or_b32 exec_lo, exec_lo, s14
	v_fma_mixlo_bf16 v62, s3, v28, 0
	v_fma_mixlo_bf16 v63, s3, v60, 0
	v_fma_mixlo_bf16 v64, s3, v31, 0
	v_fma_mixlo_bf16 v65, s3, v30, 0
	v_fma_mixlo_bf16 v66, s3, v1, 0
	v_fma_mixlo_bf16 v67, s3, v0, 0
	v_fma_mixlo_bf16 v60, s3, v61, 0
	v_fma_mixlo_bf16 v61, s3, v29, 0
	s_and_saveexec_b32 s14, vcc_lo
	s_cbranch_execz .LBB339_738
; %bb.737:                              ;   in Loop: Header=BB339_552 Depth=1
	v_cmp_gt_i32_e64 s0, s25, v45
	s_delay_alu instid0(VALU_DEP_1) | instskip(SKIP_1) | instid1(VALU_DEP_1)
	v_cndmask_b32_e64 v67, 0, v67, s0
	v_cmp_gt_i32_e64 s0, s25, v51
	v_cndmask_b32_e64 v66, 0, v66, s0
	v_cmp_gt_i32_e64 s0, s25, v50
	s_delay_alu instid0(VALU_DEP_1) | instskip(SKIP_1) | instid1(VALU_DEP_1)
	v_cndmask_b32_e64 v65, 0, v65, s0
	v_cmp_gt_i32_e64 s0, s25, v49
	v_cndmask_b32_e64 v64, 0, v64, s0
	;; [unrolled: 5-line block ×4, first 2 shown]
.LBB339_738:                            ;   in Loop: Header=BB339_552 Depth=1
	s_or_b32 exec_lo, exec_lo, s14
	global_load_b64 v[26:27], v[24:25], off offset:768
	v_dual_mov_b32 v1, 0 :: v_dual_mov_b32 v0, 0
	s_mov_b32 s14, exec_lo
	s_wait_loadcnt 0x0
	v_and_b32_e32 v18, 0xff, v26
	s_delay_alu instid0(VALU_DEP_1)
	v_cmpx_ne_u16_e32 0, v18
	s_cbranch_execz .LBB339_744
; %bb.739:                              ;   in Loop: Header=BB339_552 Depth=1
	v_bfrev_b32_e32 v0, 1
	s_mov_b32 s15, exec_lo
	v_cmpx_ne_u16_e32 0x80, v18
	s_cbranch_execz .LBB339_743
; %bb.740:                              ;   in Loop: Header=BB339_552 Depth=1
	v_and_b32_e32 v18, 0x7f, v26
	v_mov_b32_e32 v0, 0x7f800001
	s_mov_b32 s16, exec_lo
	s_delay_alu instid0(VALU_DEP_2)
	v_cmpx_ne_u32_e32 0x7f, v18
	s_cbranch_execz .LBB339_742
; %bb.741:                              ;   in Loop: Header=BB339_552 Depth=1
	v_cmp_gt_u32_e64 s0, 8, v18
	v_and_b32_e32 v0, 7, v26
	s_delay_alu instid0(VALU_DEP_1) | instskip(NEXT) | instid1(VALU_DEP_1)
	v_clz_i32_u32_e32 v0, v0
	v_min_u32_e32 v0, 32, v0
	v_lshrrev_b32_e32 v28, 3, v18
	s_delay_alu instid0(VALU_DEP_2) | instskip(NEXT) | instid1(VALU_DEP_1)
	v_subrev_nc_u32_e32 v29, 28, v0
	v_dual_sub_nc_u32 v0, 29, v0 :: v_dual_cndmask_b32 v18, 0, v29, s0
	s_delay_alu instid0(VALU_DEP_1) | instskip(NEXT) | instid1(VALU_DEP_2)
	v_cndmask_b32_e64 v0, v28, v0, s0
	v_lshlrev_b64_e32 v[28:29], v18, v[26:27]
	v_lshlrev_b32_e32 v18, 24, v26
	s_delay_alu instid0(VALU_DEP_3) | instskip(NEXT) | instid1(VALU_DEP_2)
	v_lshl_add_u32 v0, v0, 23, 0x3c000000
	v_and_b32_e32 v18, 0x80000000, v18
	s_delay_alu instid0(VALU_DEP_4) | instskip(NEXT) | instid1(VALU_DEP_1)
	v_lshlrev_b32_e32 v28, 20, v28
	v_and_b32_e32 v28, 0x700000, v28
	s_delay_alu instid0(VALU_DEP_1)
	v_or3_b32 v0, v28, v18, v0
.LBB339_742:                            ;   in Loop: Header=BB339_552 Depth=1
	s_or_b32 exec_lo, exec_lo, s16
.LBB339_743:                            ;   in Loop: Header=BB339_552 Depth=1
	s_delay_alu instid0(SALU_CYCLE_1)
	s_or_b32 exec_lo, exec_lo, s15
.LBB339_744:                            ;   in Loop: Header=BB339_552 Depth=1
	s_delay_alu instid0(SALU_CYCLE_1) | instskip(SKIP_2) | instid1(VALU_DEP_1)
	s_or_b32 exec_lo, exec_lo, s14
	v_lshrrev_b16 v18, 8, v26
	s_mov_b32 s14, exec_lo
	v_cmpx_ne_u16_e32 0, v18
	s_cbranch_execz .LBB339_752
; %bb.745:                              ;   in Loop: Header=BB339_552 Depth=1
	v_bfrev_b32_e32 v1, 1
	s_mov_b32 s15, exec_lo
	v_cmpx_ne_u16_e32 0x80, v18
	s_cbranch_execz .LBB339_751
; %bb.746:                              ;   in Loop: Header=BB339_552 Depth=1
	v_and_b32_e32 v18, 0xffff, v18
	v_mov_b32_e32 v1, 0x7f800001
	s_mov_b32 s16, exec_lo
	s_delay_alu instid0(VALU_DEP_2) | instskip(NEXT) | instid1(VALU_DEP_1)
	v_and_b32_e32 v28, 0x7f, v18
	v_cmpx_ne_u32_e32 0x7f, v28
	s_cbranch_execz .LBB339_750
; %bb.747:                              ;   in Loop: Header=BB339_552 Depth=1
	v_dual_lshrrev_b32 v1, 3, v28 :: v_dual_bitop2_b32 v18, 7, v18 bitop3:0x40
	s_mov_b32 s17, exec_lo
	v_cmpx_gt_u32_e32 8, v28
; %bb.748:                              ;   in Loop: Header=BB339_552 Depth=1
	s_delay_alu instid0(VALU_DEP_2) | instskip(NEXT) | instid1(VALU_DEP_1)
	v_clz_i32_u32_e32 v1, v18
	v_min_u32_e32 v1, 32, v1
	s_delay_alu instid0(VALU_DEP_1) | instskip(NEXT) | instid1(VALU_DEP_1)
	v_subrev_nc_u32_e32 v28, 28, v1
	v_lshlrev_b64_e32 v[28:29], v28, v[18:19]
	s_delay_alu instid0(VALU_DEP_1)
	v_dual_sub_nc_u32 v1, 29, v1 :: v_dual_bitop2_b32 v18, 7, v28 bitop3:0x40
; %bb.749:                              ;   in Loop: Header=BB339_552 Depth=1
	s_or_b32 exec_lo, exec_lo, s17
	v_lshlrev_b32_e32 v28, 16, v26
	s_delay_alu instid0(VALU_DEP_2) | instskip(NEXT) | instid1(VALU_DEP_3)
	v_lshlrev_b32_e32 v18, 20, v18
	v_lshl_add_u32 v1, v1, 23, 0x3c000000
	s_delay_alu instid0(VALU_DEP_3) | instskip(NEXT) | instid1(VALU_DEP_1)
	v_and_b32_e32 v28, 0x80000000, v28
	v_or3_b32 v1, v18, v28, v1
.LBB339_750:                            ;   in Loop: Header=BB339_552 Depth=1
	s_or_b32 exec_lo, exec_lo, s16
.LBB339_751:                            ;   in Loop: Header=BB339_552 Depth=1
	s_delay_alu instid0(SALU_CYCLE_1)
	s_or_b32 exec_lo, exec_lo, s15
.LBB339_752:                            ;   in Loop: Header=BB339_552 Depth=1
	s_delay_alu instid0(SALU_CYCLE_1) | instskip(SKIP_3) | instid1(VALU_DEP_2)
	s_or_b32 exec_lo, exec_lo, s14
	v_dual_mov_b32 v31, 0 :: v_dual_lshrrev_b32 v28, 16, v26
	v_mov_b32_e32 v30, 0
	s_mov_b32 s14, exec_lo
	v_and_b32_e32 v18, 0xff, v28
	s_delay_alu instid0(VALU_DEP_1)
	v_cmpx_ne_u16_e32 0, v18
	s_cbranch_execz .LBB339_760
; %bb.753:                              ;   in Loop: Header=BB339_552 Depth=1
	v_bfrev_b32_e32 v30, 1
	s_mov_b32 s15, exec_lo
	v_cmpx_ne_u16_e32 0x80, v18
	s_cbranch_execz .LBB339_759
; %bb.754:                              ;   in Loop: Header=BB339_552 Depth=1
	v_bfe_u32 v68, v26, 16, 7
	v_mov_b32_e32 v30, 0x7f800001
	s_mov_b32 s16, exec_lo
	s_delay_alu instid0(VALU_DEP_2)
	v_cmpx_ne_u32_e32 0x7f, v68
	s_cbranch_execz .LBB339_758
; %bb.755:                              ;   in Loop: Header=BB339_552 Depth=1
	v_and_b32_e32 v18, 7, v28
	v_lshrrev_b32_e32 v29, 3, v68
	s_mov_b32 s17, exec_lo
	v_cmpx_gt_u32_e32 8, v68
; %bb.756:                              ;   in Loop: Header=BB339_552 Depth=1
	s_delay_alu instid0(VALU_DEP_3) | instskip(NEXT) | instid1(VALU_DEP_1)
	v_clz_i32_u32_e32 v29, v18
	v_min_u32_e32 v29, 32, v29
	s_delay_alu instid0(VALU_DEP_1) | instskip(NEXT) | instid1(VALU_DEP_1)
	v_subrev_nc_u32_e32 v30, 28, v29
	v_lshlrev_b64_e32 v[68:69], v30, v[18:19]
	s_delay_alu instid0(VALU_DEP_1)
	v_dual_sub_nc_u32 v29, 29, v29 :: v_dual_bitop2_b32 v18, 7, v68 bitop3:0x40
; %bb.757:                              ;   in Loop: Header=BB339_552 Depth=1
	s_or_b32 exec_lo, exec_lo, s17
	s_delay_alu instid0(VALU_DEP_1) | instskip(NEXT) | instid1(VALU_DEP_2)
	v_dual_lshlrev_b32 v28, 24, v28 :: v_dual_lshlrev_b32 v18, 20, v18
	v_lshl_add_u32 v29, v29, 23, 0x3c000000
	s_delay_alu instid0(VALU_DEP_2) | instskip(NEXT) | instid1(VALU_DEP_1)
	v_and_b32_e32 v28, 0x80000000, v28
	v_or3_b32 v30, v18, v28, v29
.LBB339_758:                            ;   in Loop: Header=BB339_552 Depth=1
	s_or_b32 exec_lo, exec_lo, s16
.LBB339_759:                            ;   in Loop: Header=BB339_552 Depth=1
	s_delay_alu instid0(SALU_CYCLE_1)
	s_or_b32 exec_lo, exec_lo, s15
.LBB339_760:                            ;   in Loop: Header=BB339_552 Depth=1
	s_delay_alu instid0(SALU_CYCLE_1) | instskip(NEXT) | instid1(SALU_CYCLE_1)
	s_or_b32 exec_lo, exec_lo, s14
	s_mov_b32 s14, exec_lo
	v_cmpx_lt_u32_e32 0xffffff, v26
	s_cbranch_execz .LBB339_768
; %bb.761:                              ;   in Loop: Header=BB339_552 Depth=1
	v_lshrrev_b32_e32 v28, 24, v26
	v_bfrev_b32_e32 v31, 1
	s_mov_b32 s15, exec_lo
	s_delay_alu instid0(VALU_DEP_2)
	v_cmpx_ne_u32_e32 0x80, v28
	s_cbranch_execz .LBB339_767
; %bb.762:                              ;   in Loop: Header=BB339_552 Depth=1
	v_bfe_u32 v68, v26, 24, 7
	v_mov_b32_e32 v31, 0x7f800001
	s_mov_b32 s16, exec_lo
	s_delay_alu instid0(VALU_DEP_2)
	v_cmpx_ne_u32_e32 0x7f, v68
	s_cbranch_execz .LBB339_766
; %bb.763:                              ;   in Loop: Header=BB339_552 Depth=1
	v_and_b32_e32 v18, 7, v28
	v_lshrrev_b32_e32 v29, 3, v68
	s_mov_b32 s17, exec_lo
	v_cmpx_gt_u32_e32 8, v68
; %bb.764:                              ;   in Loop: Header=BB339_552 Depth=1
	s_delay_alu instid0(VALU_DEP_3) | instskip(NEXT) | instid1(VALU_DEP_1)
	v_clz_i32_u32_e32 v29, v18
	v_min_u32_e32 v29, 32, v29
	s_delay_alu instid0(VALU_DEP_1) | instskip(NEXT) | instid1(VALU_DEP_1)
	v_subrev_nc_u32_e32 v31, 28, v29
	v_lshlrev_b64_e32 v[68:69], v31, v[18:19]
	s_delay_alu instid0(VALU_DEP_1)
	v_dual_sub_nc_u32 v29, 29, v29 :: v_dual_bitop2_b32 v18, 7, v68 bitop3:0x40
; %bb.765:                              ;   in Loop: Header=BB339_552 Depth=1
	s_or_b32 exec_lo, exec_lo, s17
	s_delay_alu instid0(VALU_DEP_1) | instskip(NEXT) | instid1(VALU_DEP_2)
	v_dual_lshlrev_b32 v28, 24, v28 :: v_dual_lshlrev_b32 v18, 20, v18
	v_lshl_add_u32 v29, v29, 23, 0x3c000000
	s_delay_alu instid0(VALU_DEP_2) | instskip(NEXT) | instid1(VALU_DEP_1)
	v_and_b32_e32 v28, 0x80000000, v28
	v_or3_b32 v31, v18, v28, v29
.LBB339_766:                            ;   in Loop: Header=BB339_552 Depth=1
	s_or_b32 exec_lo, exec_lo, s16
.LBB339_767:                            ;   in Loop: Header=BB339_552 Depth=1
	s_delay_alu instid0(SALU_CYCLE_1)
	s_or_b32 exec_lo, exec_lo, s15
.LBB339_768:                            ;   in Loop: Header=BB339_552 Depth=1
	s_delay_alu instid0(SALU_CYCLE_1) | instskip(SKIP_4) | instid1(VALU_DEP_3)
	s_or_b32 exec_lo, exec_lo, s14
	v_and_b32_e32 v29, 0xff, v27
	v_dual_mov_b32 v18, v27 :: v_dual_mov_b32 v28, 0
	v_mov_b32_e32 v68, 0
	s_mov_b32 s14, exec_lo
	v_cmpx_ne_u16_e32 0, v29
	s_cbranch_execz .LBB339_774
; %bb.769:                              ;   in Loop: Header=BB339_552 Depth=1
	v_bfrev_b32_e32 v68, 1
	s_mov_b32 s15, exec_lo
	v_cmpx_ne_u16_e32 0x80, v29
	s_cbranch_execz .LBB339_773
; %bb.770:                              ;   in Loop: Header=BB339_552 Depth=1
	v_and_b32_e32 v29, 0x7f, v27
	v_mov_b32_e32 v68, 0x7f800001
	s_mov_b32 s16, exec_lo
	s_delay_alu instid0(VALU_DEP_2)
	v_cmpx_ne_u32_e32 0x7f, v29
	s_cbranch_execz .LBB339_772
; %bb.771:                              ;   in Loop: Header=BB339_552 Depth=1
	v_dual_lshrrev_b32 v69, 3, v29 :: v_dual_bitop2_b32 v68, 7, v27 bitop3:0x40
	v_cmp_gt_u32_e64 s0, 8, v29
	s_delay_alu instid0(VALU_DEP_2) | instskip(NEXT) | instid1(VALU_DEP_1)
	v_clz_i32_u32_e32 v68, v68
	v_min_u32_e32 v68, 32, v68
	s_delay_alu instid0(VALU_DEP_1) | instskip(SKIP_1) | instid1(VALU_DEP_1)
	v_subrev_nc_u32_e32 v70, 28, v68
	v_sub_nc_u32_e32 v68, 29, v68
	v_dual_cndmask_b32 v29, v69, v68, s0 :: v_dual_cndmask_b32 v68, 0, v70, s0
	s_delay_alu instid0(VALU_DEP_1) | instskip(NEXT) | instid1(VALU_DEP_2)
	v_lshl_add_u32 v29, v29, 23, 0x3c000000
	v_lshlrev_b64_e32 v[68:69], v68, v[18:19]
	v_lshlrev_b32_e32 v69, 24, v18
	s_delay_alu instid0(VALU_DEP_1) | instskip(NEXT) | instid1(VALU_DEP_3)
	v_and_b32_e32 v69, 0x80000000, v69
	v_lshlrev_b32_e32 v68, 20, v68
	s_delay_alu instid0(VALU_DEP_1) | instskip(NEXT) | instid1(VALU_DEP_1)
	v_and_b32_e32 v68, 0x700000, v68
	v_or3_b32 v68, v68, v69, v29
.LBB339_772:                            ;   in Loop: Header=BB339_552 Depth=1
	s_or_b32 exec_lo, exec_lo, s16
.LBB339_773:                            ;   in Loop: Header=BB339_552 Depth=1
	s_delay_alu instid0(SALU_CYCLE_1)
	s_or_b32 exec_lo, exec_lo, s15
.LBB339_774:                            ;   in Loop: Header=BB339_552 Depth=1
	s_delay_alu instid0(SALU_CYCLE_1) | instskip(SKIP_2) | instid1(VALU_DEP_1)
	s_or_b32 exec_lo, exec_lo, s14
	v_lshrrev_b16 v29, 8, v18
	s_mov_b32 s14, exec_lo
	v_cmpx_ne_u16_e32 0, v29
	s_cbranch_execz .LBB339_782
; %bb.775:                              ;   in Loop: Header=BB339_552 Depth=1
	v_bfrev_b32_e32 v28, 1
	s_mov_b32 s15, exec_lo
	v_cmpx_ne_u16_e32 0x80, v29
	s_cbranch_execz .LBB339_781
; %bb.776:                              ;   in Loop: Header=BB339_552 Depth=1
	v_and_b32_e32 v29, 0xffff, v29
	v_mov_b32_e32 v28, 0x7f800001
	s_mov_b32 s16, exec_lo
	s_delay_alu instid0(VALU_DEP_2) | instskip(NEXT) | instid1(VALU_DEP_1)
	v_and_b32_e32 v70, 0x7f, v29
	v_cmpx_ne_u32_e32 0x7f, v70
	s_cbranch_execz .LBB339_780
; %bb.777:                              ;   in Loop: Header=BB339_552 Depth=1
	v_dual_mov_b32 v29, v19 :: v_dual_bitop2_b32 v28, 7, v29 bitop3:0x40
	v_lshrrev_b32_e32 v69, 3, v70
	s_mov_b32 s17, exec_lo
	v_cmpx_gt_u32_e32 8, v70
; %bb.778:                              ;   in Loop: Header=BB339_552 Depth=1
	s_delay_alu instid0(VALU_DEP_3) | instskip(NEXT) | instid1(VALU_DEP_1)
	v_clz_i32_u32_e32 v69, v28
	v_min_u32_e32 v69, 32, v69
	s_delay_alu instid0(VALU_DEP_1) | instskip(NEXT) | instid1(VALU_DEP_1)
	v_subrev_nc_u32_e32 v70, 28, v69
	v_lshlrev_b64_e32 v[28:29], v70, v[28:29]
	s_delay_alu instid0(VALU_DEP_1)
	v_dual_sub_nc_u32 v69, 29, v69 :: v_dual_bitop2_b32 v28, 7, v28 bitop3:0x40
; %bb.779:                              ;   in Loop: Header=BB339_552 Depth=1
	s_or_b32 exec_lo, exec_lo, s17
	s_delay_alu instid0(VALU_DEP_1) | instskip(NEXT) | instid1(VALU_DEP_2)
	v_dual_lshlrev_b32 v18, 16, v18 :: v_dual_lshlrev_b32 v28, 20, v28
	v_lshl_add_u32 v29, v69, 23, 0x3c000000
	s_delay_alu instid0(VALU_DEP_2) | instskip(NEXT) | instid1(VALU_DEP_1)
	v_and_b32_e32 v18, 0x80000000, v18
	v_or3_b32 v28, v28, v18, v29
.LBB339_780:                            ;   in Loop: Header=BB339_552 Depth=1
	s_or_b32 exec_lo, exec_lo, s16
.LBB339_781:                            ;   in Loop: Header=BB339_552 Depth=1
	s_delay_alu instid0(SALU_CYCLE_1)
	s_or_b32 exec_lo, exec_lo, s15
.LBB339_782:                            ;   in Loop: Header=BB339_552 Depth=1
	s_delay_alu instid0(SALU_CYCLE_1) | instskip(SKIP_3) | instid1(VALU_DEP_2)
	s_or_b32 exec_lo, exec_lo, s14
	v_dual_mov_b32 v29, 0 :: v_dual_lshrrev_b32 v70, 16, v27
	v_mov_b32_e32 v69, 0
	s_mov_b32 s14, exec_lo
	v_and_b32_e32 v18, 0xff, v70
	s_delay_alu instid0(VALU_DEP_1)
	v_cmpx_ne_u16_e32 0, v18
	s_cbranch_execz .LBB339_790
; %bb.783:                              ;   in Loop: Header=BB339_552 Depth=1
	v_bfrev_b32_e32 v69, 1
	s_mov_b32 s15, exec_lo
	v_cmpx_ne_u16_e32 0x80, v18
	s_cbranch_execz .LBB339_789
; %bb.784:                              ;   in Loop: Header=BB339_552 Depth=1
	v_bfe_u32 v71, v27, 16, 7
	v_mov_b32_e32 v69, 0x7f800001
	s_mov_b32 s16, exec_lo
	s_delay_alu instid0(VALU_DEP_2)
	v_cmpx_ne_u32_e32 0x7f, v71
	s_cbranch_execz .LBB339_788
; %bb.785:                              ;   in Loop: Header=BB339_552 Depth=1
	v_dual_lshrrev_b32 v69, 3, v71 :: v_dual_bitop2_b32 v18, 7, v70 bitop3:0x40
	s_mov_b32 s17, exec_lo
	v_cmpx_gt_u32_e32 8, v71
; %bb.786:                              ;   in Loop: Header=BB339_552 Depth=1
	s_delay_alu instid0(VALU_DEP_2) | instskip(NEXT) | instid1(VALU_DEP_1)
	v_clz_i32_u32_e32 v69, v18
	v_min_u32_e32 v69, 32, v69
	s_delay_alu instid0(VALU_DEP_1) | instskip(NEXT) | instid1(VALU_DEP_1)
	v_subrev_nc_u32_e32 v71, 28, v69
	v_lshlrev_b64_e32 v[72:73], v71, v[18:19]
	s_delay_alu instid0(VALU_DEP_1)
	v_dual_sub_nc_u32 v69, 29, v69 :: v_dual_bitop2_b32 v18, 7, v72 bitop3:0x40
; %bb.787:                              ;   in Loop: Header=BB339_552 Depth=1
	s_or_b32 exec_lo, exec_lo, s17
	v_lshlrev_b32_e32 v70, 24, v70
	s_delay_alu instid0(VALU_DEP_2) | instskip(NEXT) | instid1(VALU_DEP_3)
	v_lshlrev_b32_e32 v18, 20, v18
	v_lshl_add_u32 v69, v69, 23, 0x3c000000
	s_delay_alu instid0(VALU_DEP_3) | instskip(NEXT) | instid1(VALU_DEP_1)
	v_and_b32_e32 v70, 0x80000000, v70
	v_or3_b32 v69, v18, v70, v69
.LBB339_788:                            ;   in Loop: Header=BB339_552 Depth=1
	s_or_b32 exec_lo, exec_lo, s16
.LBB339_789:                            ;   in Loop: Header=BB339_552 Depth=1
	s_delay_alu instid0(SALU_CYCLE_1)
	s_or_b32 exec_lo, exec_lo, s15
.LBB339_790:                            ;   in Loop: Header=BB339_552 Depth=1
	s_delay_alu instid0(SALU_CYCLE_1) | instskip(NEXT) | instid1(SALU_CYCLE_1)
	s_or_b32 exec_lo, exec_lo, s14
	s_mov_b32 s14, exec_lo
	v_cmpx_lt_u64_e64 s[4:5], v[26:27]
	s_cbranch_execz .LBB339_798
; %bb.791:                              ;   in Loop: Header=BB339_552 Depth=1
	v_lshrrev_b32_e32 v26, 24, v27
	v_bfrev_b32_e32 v29, 1
	s_mov_b32 s15, exec_lo
	s_delay_alu instid0(VALU_DEP_2)
	v_cmpx_ne_u32_e32 0x80, v26
	s_cbranch_execz .LBB339_797
; %bb.792:                              ;   in Loop: Header=BB339_552 Depth=1
	v_bfe_u32 v70, v27, 24, 7
	v_mov_b32_e32 v29, 0x7f800001
	s_mov_b32 s16, exec_lo
	s_delay_alu instid0(VALU_DEP_2)
	v_cmpx_ne_u32_e32 0x7f, v70
	s_cbranch_execz .LBB339_796
; %bb.793:                              ;   in Loop: Header=BB339_552 Depth=1
	v_and_b32_e32 v18, 7, v26
	v_lshrrev_b32_e32 v27, 3, v70
	s_mov_b32 s17, exec_lo
	v_cmpx_gt_u32_e32 8, v70
; %bb.794:                              ;   in Loop: Header=BB339_552 Depth=1
	s_delay_alu instid0(VALU_DEP_3) | instskip(NEXT) | instid1(VALU_DEP_1)
	v_clz_i32_u32_e32 v27, v18
	v_min_u32_e32 v27, 32, v27
	s_delay_alu instid0(VALU_DEP_1) | instskip(NEXT) | instid1(VALU_DEP_1)
	v_subrev_nc_u32_e32 v29, 28, v27
	v_lshlrev_b64_e32 v[70:71], v29, v[18:19]
	s_delay_alu instid0(VALU_DEP_1)
	v_dual_sub_nc_u32 v27, 29, v27 :: v_dual_bitop2_b32 v18, 7, v70 bitop3:0x40
; %bb.795:                              ;   in Loop: Header=BB339_552 Depth=1
	s_or_b32 exec_lo, exec_lo, s17
	v_lshlrev_b32_e32 v26, 24, v26
	s_delay_alu instid0(VALU_DEP_2) | instskip(NEXT) | instid1(VALU_DEP_3)
	v_lshlrev_b32_e32 v18, 20, v18
	v_lshl_add_u32 v27, v27, 23, 0x3c000000
	s_delay_alu instid0(VALU_DEP_3) | instskip(NEXT) | instid1(VALU_DEP_1)
	v_and_b32_e32 v26, 0x80000000, v26
	v_or3_b32 v29, v18, v26, v27
.LBB339_796:                            ;   in Loop: Header=BB339_552 Depth=1
	s_or_b32 exec_lo, exec_lo, s16
.LBB339_797:                            ;   in Loop: Header=BB339_552 Depth=1
	s_delay_alu instid0(SALU_CYCLE_1)
	s_or_b32 exec_lo, exec_lo, s15
.LBB339_798:                            ;   in Loop: Header=BB339_552 Depth=1
	s_delay_alu instid0(SALU_CYCLE_1)
	s_or_b32 exec_lo, exec_lo, s14
	v_fma_mixlo_bf16 v70, s3, v28, 0
	v_fma_mixlo_bf16 v71, s3, v68, 0
	;; [unrolled: 1-line block ×8, first 2 shown]
	s_and_saveexec_b32 s14, vcc_lo
	s_cbranch_execz .LBB339_800
; %bb.799:                              ;   in Loop: Header=BB339_552 Depth=1
	v_cmp_gt_i32_e64 s0, s25, v45
	s_delay_alu instid0(VALU_DEP_1) | instskip(SKIP_1) | instid1(VALU_DEP_1)
	v_cndmask_b32_e64 v75, 0, v75, s0
	v_cmp_gt_i32_e64 s0, s25, v51
	v_cndmask_b32_e64 v74, 0, v74, s0
	v_cmp_gt_i32_e64 s0, s25, v50
	s_delay_alu instid0(VALU_DEP_1) | instskip(SKIP_1) | instid1(VALU_DEP_1)
	v_cndmask_b32_e64 v73, 0, v73, s0
	v_cmp_gt_i32_e64 s0, s25, v49
	v_cndmask_b32_e64 v72, 0, v72, s0
	;; [unrolled: 5-line block ×4, first 2 shown]
.LBB339_800:                            ;   in Loop: Header=BB339_552 Depth=1
	s_or_b32 exec_lo, exec_lo, s14
	global_load_b64 v[26:27], v[24:25], off offset:1024
	v_dual_mov_b32 v1, 0 :: v_dual_mov_b32 v0, 0
	s_mov_b32 s14, exec_lo
	s_wait_loadcnt 0x0
	v_and_b32_e32 v18, 0xff, v26
	s_delay_alu instid0(VALU_DEP_1)
	v_cmpx_ne_u16_e32 0, v18
	s_cbranch_execz .LBB339_806
; %bb.801:                              ;   in Loop: Header=BB339_552 Depth=1
	v_bfrev_b32_e32 v0, 1
	s_mov_b32 s15, exec_lo
	v_cmpx_ne_u16_e32 0x80, v18
	s_cbranch_execz .LBB339_805
; %bb.802:                              ;   in Loop: Header=BB339_552 Depth=1
	v_and_b32_e32 v18, 0x7f, v26
	v_mov_b32_e32 v0, 0x7f800001
	s_mov_b32 s16, exec_lo
	s_delay_alu instid0(VALU_DEP_2)
	v_cmpx_ne_u32_e32 0x7f, v18
	s_cbranch_execz .LBB339_804
; %bb.803:                              ;   in Loop: Header=BB339_552 Depth=1
	v_cmp_gt_u32_e64 s0, 8, v18
	v_and_b32_e32 v0, 7, v26
	s_delay_alu instid0(VALU_DEP_1) | instskip(NEXT) | instid1(VALU_DEP_1)
	v_clz_i32_u32_e32 v0, v0
	v_min_u32_e32 v0, 32, v0
	v_lshrrev_b32_e32 v28, 3, v18
	s_delay_alu instid0(VALU_DEP_2) | instskip(NEXT) | instid1(VALU_DEP_1)
	v_subrev_nc_u32_e32 v29, 28, v0
	v_dual_sub_nc_u32 v0, 29, v0 :: v_dual_cndmask_b32 v18, 0, v29, s0
	s_delay_alu instid0(VALU_DEP_1) | instskip(NEXT) | instid1(VALU_DEP_2)
	v_cndmask_b32_e64 v0, v28, v0, s0
	v_lshlrev_b64_e32 v[28:29], v18, v[26:27]
	v_lshlrev_b32_e32 v18, 24, v26
	s_delay_alu instid0(VALU_DEP_3) | instskip(NEXT) | instid1(VALU_DEP_2)
	v_lshl_add_u32 v0, v0, 23, 0x3c000000
	v_and_b32_e32 v18, 0x80000000, v18
	s_delay_alu instid0(VALU_DEP_4) | instskip(NEXT) | instid1(VALU_DEP_1)
	v_lshlrev_b32_e32 v28, 20, v28
	v_and_b32_e32 v28, 0x700000, v28
	s_delay_alu instid0(VALU_DEP_1)
	v_or3_b32 v0, v28, v18, v0
.LBB339_804:                            ;   in Loop: Header=BB339_552 Depth=1
	s_or_b32 exec_lo, exec_lo, s16
.LBB339_805:                            ;   in Loop: Header=BB339_552 Depth=1
	s_delay_alu instid0(SALU_CYCLE_1)
	s_or_b32 exec_lo, exec_lo, s15
.LBB339_806:                            ;   in Loop: Header=BB339_552 Depth=1
	s_delay_alu instid0(SALU_CYCLE_1) | instskip(SKIP_2) | instid1(VALU_DEP_1)
	s_or_b32 exec_lo, exec_lo, s14
	v_lshrrev_b16 v18, 8, v26
	s_mov_b32 s14, exec_lo
	v_cmpx_ne_u16_e32 0, v18
	s_cbranch_execz .LBB339_814
; %bb.807:                              ;   in Loop: Header=BB339_552 Depth=1
	v_bfrev_b32_e32 v1, 1
	s_mov_b32 s15, exec_lo
	v_cmpx_ne_u16_e32 0x80, v18
	s_cbranch_execz .LBB339_813
; %bb.808:                              ;   in Loop: Header=BB339_552 Depth=1
	v_and_b32_e32 v18, 0xffff, v18
	v_mov_b32_e32 v1, 0x7f800001
	s_mov_b32 s16, exec_lo
	s_delay_alu instid0(VALU_DEP_2) | instskip(NEXT) | instid1(VALU_DEP_1)
	v_and_b32_e32 v28, 0x7f, v18
	v_cmpx_ne_u32_e32 0x7f, v28
	s_cbranch_execz .LBB339_812
; %bb.809:                              ;   in Loop: Header=BB339_552 Depth=1
	v_dual_lshrrev_b32 v1, 3, v28 :: v_dual_bitop2_b32 v18, 7, v18 bitop3:0x40
	s_mov_b32 s17, exec_lo
	v_cmpx_gt_u32_e32 8, v28
; %bb.810:                              ;   in Loop: Header=BB339_552 Depth=1
	s_delay_alu instid0(VALU_DEP_2) | instskip(NEXT) | instid1(VALU_DEP_1)
	v_clz_i32_u32_e32 v1, v18
	v_min_u32_e32 v1, 32, v1
	s_delay_alu instid0(VALU_DEP_1) | instskip(NEXT) | instid1(VALU_DEP_1)
	v_subrev_nc_u32_e32 v28, 28, v1
	v_lshlrev_b64_e32 v[28:29], v28, v[18:19]
	s_delay_alu instid0(VALU_DEP_1)
	v_dual_sub_nc_u32 v1, 29, v1 :: v_dual_bitop2_b32 v18, 7, v28 bitop3:0x40
; %bb.811:                              ;   in Loop: Header=BB339_552 Depth=1
	s_or_b32 exec_lo, exec_lo, s17
	v_lshlrev_b32_e32 v28, 16, v26
	s_delay_alu instid0(VALU_DEP_2) | instskip(NEXT) | instid1(VALU_DEP_3)
	v_lshlrev_b32_e32 v18, 20, v18
	v_lshl_add_u32 v1, v1, 23, 0x3c000000
	s_delay_alu instid0(VALU_DEP_3) | instskip(NEXT) | instid1(VALU_DEP_1)
	v_and_b32_e32 v28, 0x80000000, v28
	v_or3_b32 v1, v18, v28, v1
.LBB339_812:                            ;   in Loop: Header=BB339_552 Depth=1
	s_or_b32 exec_lo, exec_lo, s16
.LBB339_813:                            ;   in Loop: Header=BB339_552 Depth=1
	s_delay_alu instid0(SALU_CYCLE_1)
	s_or_b32 exec_lo, exec_lo, s15
.LBB339_814:                            ;   in Loop: Header=BB339_552 Depth=1
	s_delay_alu instid0(SALU_CYCLE_1) | instskip(SKIP_3) | instid1(VALU_DEP_2)
	s_or_b32 exec_lo, exec_lo, s14
	v_dual_mov_b32 v31, 0 :: v_dual_lshrrev_b32 v28, 16, v26
	v_mov_b32_e32 v30, 0
	s_mov_b32 s14, exec_lo
	v_and_b32_e32 v18, 0xff, v28
	s_delay_alu instid0(VALU_DEP_1)
	v_cmpx_ne_u16_e32 0, v18
	s_cbranch_execz .LBB339_822
; %bb.815:                              ;   in Loop: Header=BB339_552 Depth=1
	v_bfrev_b32_e32 v30, 1
	s_mov_b32 s15, exec_lo
	v_cmpx_ne_u16_e32 0x80, v18
	s_cbranch_execz .LBB339_821
; %bb.816:                              ;   in Loop: Header=BB339_552 Depth=1
	v_bfe_u32 v76, v26, 16, 7
	v_mov_b32_e32 v30, 0x7f800001
	s_mov_b32 s16, exec_lo
	s_delay_alu instid0(VALU_DEP_2)
	v_cmpx_ne_u32_e32 0x7f, v76
	s_cbranch_execz .LBB339_820
; %bb.817:                              ;   in Loop: Header=BB339_552 Depth=1
	v_and_b32_e32 v18, 7, v28
	v_lshrrev_b32_e32 v29, 3, v76
	s_mov_b32 s17, exec_lo
	v_cmpx_gt_u32_e32 8, v76
; %bb.818:                              ;   in Loop: Header=BB339_552 Depth=1
	s_delay_alu instid0(VALU_DEP_3) | instskip(NEXT) | instid1(VALU_DEP_1)
	v_clz_i32_u32_e32 v29, v18
	v_min_u32_e32 v29, 32, v29
	s_delay_alu instid0(VALU_DEP_1) | instskip(NEXT) | instid1(VALU_DEP_1)
	v_subrev_nc_u32_e32 v30, 28, v29
	v_lshlrev_b64_e32 v[76:77], v30, v[18:19]
	s_delay_alu instid0(VALU_DEP_1)
	v_dual_sub_nc_u32 v29, 29, v29 :: v_dual_bitop2_b32 v18, 7, v76 bitop3:0x40
; %bb.819:                              ;   in Loop: Header=BB339_552 Depth=1
	s_or_b32 exec_lo, exec_lo, s17
	s_delay_alu instid0(VALU_DEP_1) | instskip(NEXT) | instid1(VALU_DEP_2)
	v_dual_lshlrev_b32 v28, 24, v28 :: v_dual_lshlrev_b32 v18, 20, v18
	v_lshl_add_u32 v29, v29, 23, 0x3c000000
	s_delay_alu instid0(VALU_DEP_2) | instskip(NEXT) | instid1(VALU_DEP_1)
	v_and_b32_e32 v28, 0x80000000, v28
	v_or3_b32 v30, v18, v28, v29
.LBB339_820:                            ;   in Loop: Header=BB339_552 Depth=1
	s_or_b32 exec_lo, exec_lo, s16
.LBB339_821:                            ;   in Loop: Header=BB339_552 Depth=1
	s_delay_alu instid0(SALU_CYCLE_1)
	s_or_b32 exec_lo, exec_lo, s15
.LBB339_822:                            ;   in Loop: Header=BB339_552 Depth=1
	s_delay_alu instid0(SALU_CYCLE_1) | instskip(NEXT) | instid1(SALU_CYCLE_1)
	s_or_b32 exec_lo, exec_lo, s14
	s_mov_b32 s14, exec_lo
	v_cmpx_lt_u32_e32 0xffffff, v26
	s_cbranch_execz .LBB339_830
; %bb.823:                              ;   in Loop: Header=BB339_552 Depth=1
	v_lshrrev_b32_e32 v28, 24, v26
	v_bfrev_b32_e32 v31, 1
	s_mov_b32 s15, exec_lo
	s_delay_alu instid0(VALU_DEP_2)
	v_cmpx_ne_u32_e32 0x80, v28
	s_cbranch_execz .LBB339_829
; %bb.824:                              ;   in Loop: Header=BB339_552 Depth=1
	v_bfe_u32 v76, v26, 24, 7
	v_mov_b32_e32 v31, 0x7f800001
	s_mov_b32 s16, exec_lo
	s_delay_alu instid0(VALU_DEP_2)
	v_cmpx_ne_u32_e32 0x7f, v76
	s_cbranch_execz .LBB339_828
; %bb.825:                              ;   in Loop: Header=BB339_552 Depth=1
	v_and_b32_e32 v18, 7, v28
	v_lshrrev_b32_e32 v29, 3, v76
	s_mov_b32 s17, exec_lo
	v_cmpx_gt_u32_e32 8, v76
; %bb.826:                              ;   in Loop: Header=BB339_552 Depth=1
	s_delay_alu instid0(VALU_DEP_3) | instskip(NEXT) | instid1(VALU_DEP_1)
	v_clz_i32_u32_e32 v29, v18
	v_min_u32_e32 v29, 32, v29
	s_delay_alu instid0(VALU_DEP_1) | instskip(NEXT) | instid1(VALU_DEP_1)
	v_subrev_nc_u32_e32 v31, 28, v29
	v_lshlrev_b64_e32 v[76:77], v31, v[18:19]
	s_delay_alu instid0(VALU_DEP_1)
	v_dual_sub_nc_u32 v29, 29, v29 :: v_dual_bitop2_b32 v18, 7, v76 bitop3:0x40
; %bb.827:                              ;   in Loop: Header=BB339_552 Depth=1
	s_or_b32 exec_lo, exec_lo, s17
	s_delay_alu instid0(VALU_DEP_1) | instskip(NEXT) | instid1(VALU_DEP_2)
	v_dual_lshlrev_b32 v28, 24, v28 :: v_dual_lshlrev_b32 v18, 20, v18
	v_lshl_add_u32 v29, v29, 23, 0x3c000000
	s_delay_alu instid0(VALU_DEP_2) | instskip(NEXT) | instid1(VALU_DEP_1)
	v_and_b32_e32 v28, 0x80000000, v28
	v_or3_b32 v31, v18, v28, v29
.LBB339_828:                            ;   in Loop: Header=BB339_552 Depth=1
	s_or_b32 exec_lo, exec_lo, s16
.LBB339_829:                            ;   in Loop: Header=BB339_552 Depth=1
	s_delay_alu instid0(SALU_CYCLE_1)
	s_or_b32 exec_lo, exec_lo, s15
.LBB339_830:                            ;   in Loop: Header=BB339_552 Depth=1
	s_delay_alu instid0(SALU_CYCLE_1) | instskip(SKIP_4) | instid1(VALU_DEP_3)
	s_or_b32 exec_lo, exec_lo, s14
	v_and_b32_e32 v29, 0xff, v27
	v_dual_mov_b32 v18, v27 :: v_dual_mov_b32 v28, 0
	v_mov_b32_e32 v76, 0
	s_mov_b32 s14, exec_lo
	v_cmpx_ne_u16_e32 0, v29
	s_cbranch_execz .LBB339_836
; %bb.831:                              ;   in Loop: Header=BB339_552 Depth=1
	v_bfrev_b32_e32 v76, 1
	s_mov_b32 s15, exec_lo
	v_cmpx_ne_u16_e32 0x80, v29
	s_cbranch_execz .LBB339_835
; %bb.832:                              ;   in Loop: Header=BB339_552 Depth=1
	v_and_b32_e32 v29, 0x7f, v27
	v_mov_b32_e32 v76, 0x7f800001
	s_mov_b32 s16, exec_lo
	s_delay_alu instid0(VALU_DEP_2)
	v_cmpx_ne_u32_e32 0x7f, v29
	s_cbranch_execz .LBB339_834
; %bb.833:                              ;   in Loop: Header=BB339_552 Depth=1
	v_dual_lshrrev_b32 v77, 3, v29 :: v_dual_bitop2_b32 v76, 7, v27 bitop3:0x40
	v_cmp_gt_u32_e64 s0, 8, v29
	s_delay_alu instid0(VALU_DEP_2) | instskip(NEXT) | instid1(VALU_DEP_1)
	v_clz_i32_u32_e32 v76, v76
	v_min_u32_e32 v76, 32, v76
	s_delay_alu instid0(VALU_DEP_1) | instskip(SKIP_1) | instid1(VALU_DEP_1)
	v_subrev_nc_u32_e32 v78, 28, v76
	v_sub_nc_u32_e32 v76, 29, v76
	v_dual_cndmask_b32 v29, v77, v76, s0 :: v_dual_cndmask_b32 v76, 0, v78, s0
	s_delay_alu instid0(VALU_DEP_1) | instskip(NEXT) | instid1(VALU_DEP_2)
	v_lshl_add_u32 v29, v29, 23, 0x3c000000
	v_lshlrev_b64_e32 v[76:77], v76, v[18:19]
	v_lshlrev_b32_e32 v77, 24, v18
	s_delay_alu instid0(VALU_DEP_1) | instskip(NEXT) | instid1(VALU_DEP_3)
	v_and_b32_e32 v77, 0x80000000, v77
	v_lshlrev_b32_e32 v76, 20, v76
	s_delay_alu instid0(VALU_DEP_1) | instskip(NEXT) | instid1(VALU_DEP_1)
	v_and_b32_e32 v76, 0x700000, v76
	v_or3_b32 v76, v76, v77, v29
.LBB339_834:                            ;   in Loop: Header=BB339_552 Depth=1
	s_or_b32 exec_lo, exec_lo, s16
.LBB339_835:                            ;   in Loop: Header=BB339_552 Depth=1
	s_delay_alu instid0(SALU_CYCLE_1)
	s_or_b32 exec_lo, exec_lo, s15
.LBB339_836:                            ;   in Loop: Header=BB339_552 Depth=1
	s_delay_alu instid0(SALU_CYCLE_1) | instskip(SKIP_2) | instid1(VALU_DEP_1)
	s_or_b32 exec_lo, exec_lo, s14
	v_lshrrev_b16 v29, 8, v18
	s_mov_b32 s14, exec_lo
	v_cmpx_ne_u16_e32 0, v29
	s_cbranch_execz .LBB339_844
; %bb.837:                              ;   in Loop: Header=BB339_552 Depth=1
	v_bfrev_b32_e32 v28, 1
	s_mov_b32 s15, exec_lo
	v_cmpx_ne_u16_e32 0x80, v29
	s_cbranch_execz .LBB339_843
; %bb.838:                              ;   in Loop: Header=BB339_552 Depth=1
	v_and_b32_e32 v29, 0xffff, v29
	v_mov_b32_e32 v28, 0x7f800001
	s_mov_b32 s16, exec_lo
	s_delay_alu instid0(VALU_DEP_2) | instskip(NEXT) | instid1(VALU_DEP_1)
	v_and_b32_e32 v78, 0x7f, v29
	v_cmpx_ne_u32_e32 0x7f, v78
	s_cbranch_execz .LBB339_842
; %bb.839:                              ;   in Loop: Header=BB339_552 Depth=1
	v_dual_mov_b32 v29, v19 :: v_dual_bitop2_b32 v28, 7, v29 bitop3:0x40
	v_lshrrev_b32_e32 v77, 3, v78
	s_mov_b32 s17, exec_lo
	v_cmpx_gt_u32_e32 8, v78
; %bb.840:                              ;   in Loop: Header=BB339_552 Depth=1
	s_delay_alu instid0(VALU_DEP_3) | instskip(NEXT) | instid1(VALU_DEP_1)
	v_clz_i32_u32_e32 v77, v28
	v_min_u32_e32 v77, 32, v77
	s_delay_alu instid0(VALU_DEP_1) | instskip(NEXT) | instid1(VALU_DEP_1)
	v_subrev_nc_u32_e32 v78, 28, v77
	v_lshlrev_b64_e32 v[28:29], v78, v[28:29]
	s_delay_alu instid0(VALU_DEP_1)
	v_dual_sub_nc_u32 v77, 29, v77 :: v_dual_bitop2_b32 v28, 7, v28 bitop3:0x40
; %bb.841:                              ;   in Loop: Header=BB339_552 Depth=1
	s_or_b32 exec_lo, exec_lo, s17
	s_delay_alu instid0(VALU_DEP_1) | instskip(NEXT) | instid1(VALU_DEP_2)
	v_dual_lshlrev_b32 v18, 16, v18 :: v_dual_lshlrev_b32 v28, 20, v28
	v_lshl_add_u32 v29, v77, 23, 0x3c000000
	s_delay_alu instid0(VALU_DEP_2) | instskip(NEXT) | instid1(VALU_DEP_1)
	v_and_b32_e32 v18, 0x80000000, v18
	v_or3_b32 v28, v28, v18, v29
.LBB339_842:                            ;   in Loop: Header=BB339_552 Depth=1
	s_or_b32 exec_lo, exec_lo, s16
.LBB339_843:                            ;   in Loop: Header=BB339_552 Depth=1
	s_delay_alu instid0(SALU_CYCLE_1)
	s_or_b32 exec_lo, exec_lo, s15
.LBB339_844:                            ;   in Loop: Header=BB339_552 Depth=1
	s_delay_alu instid0(SALU_CYCLE_1) | instskip(SKIP_3) | instid1(VALU_DEP_2)
	s_or_b32 exec_lo, exec_lo, s14
	v_dual_mov_b32 v29, 0 :: v_dual_lshrrev_b32 v78, 16, v27
	v_mov_b32_e32 v77, 0
	s_mov_b32 s14, exec_lo
	v_and_b32_e32 v18, 0xff, v78
	s_delay_alu instid0(VALU_DEP_1)
	v_cmpx_ne_u16_e32 0, v18
	s_cbranch_execz .LBB339_852
; %bb.845:                              ;   in Loop: Header=BB339_552 Depth=1
	v_bfrev_b32_e32 v77, 1
	s_mov_b32 s15, exec_lo
	v_cmpx_ne_u16_e32 0x80, v18
	s_cbranch_execz .LBB339_851
; %bb.846:                              ;   in Loop: Header=BB339_552 Depth=1
	v_bfe_u32 v79, v27, 16, 7
	v_mov_b32_e32 v77, 0x7f800001
	s_mov_b32 s16, exec_lo
	s_delay_alu instid0(VALU_DEP_2)
	v_cmpx_ne_u32_e32 0x7f, v79
	s_cbranch_execz .LBB339_850
; %bb.847:                              ;   in Loop: Header=BB339_552 Depth=1
	v_dual_lshrrev_b32 v77, 3, v79 :: v_dual_bitop2_b32 v18, 7, v78 bitop3:0x40
	s_mov_b32 s17, exec_lo
	v_cmpx_gt_u32_e32 8, v79
; %bb.848:                              ;   in Loop: Header=BB339_552 Depth=1
	s_delay_alu instid0(VALU_DEP_2) | instskip(NEXT) | instid1(VALU_DEP_1)
	v_clz_i32_u32_e32 v77, v18
	v_min_u32_e32 v77, 32, v77
	s_delay_alu instid0(VALU_DEP_1) | instskip(NEXT) | instid1(VALU_DEP_1)
	v_subrev_nc_u32_e32 v79, 28, v77
	v_lshlrev_b64_e32 v[80:81], v79, v[18:19]
	s_delay_alu instid0(VALU_DEP_1)
	v_dual_sub_nc_u32 v77, 29, v77 :: v_dual_bitop2_b32 v18, 7, v80 bitop3:0x40
; %bb.849:                              ;   in Loop: Header=BB339_552 Depth=1
	s_or_b32 exec_lo, exec_lo, s17
	v_lshlrev_b32_e32 v78, 24, v78
	s_delay_alu instid0(VALU_DEP_2) | instskip(NEXT) | instid1(VALU_DEP_3)
	v_lshlrev_b32_e32 v18, 20, v18
	v_lshl_add_u32 v77, v77, 23, 0x3c000000
	s_delay_alu instid0(VALU_DEP_3) | instskip(NEXT) | instid1(VALU_DEP_1)
	v_and_b32_e32 v78, 0x80000000, v78
	v_or3_b32 v77, v18, v78, v77
.LBB339_850:                            ;   in Loop: Header=BB339_552 Depth=1
	s_or_b32 exec_lo, exec_lo, s16
.LBB339_851:                            ;   in Loop: Header=BB339_552 Depth=1
	s_delay_alu instid0(SALU_CYCLE_1)
	s_or_b32 exec_lo, exec_lo, s15
.LBB339_852:                            ;   in Loop: Header=BB339_552 Depth=1
	s_delay_alu instid0(SALU_CYCLE_1) | instskip(NEXT) | instid1(SALU_CYCLE_1)
	s_or_b32 exec_lo, exec_lo, s14
	s_mov_b32 s14, exec_lo
	v_cmpx_lt_u64_e64 s[4:5], v[26:27]
	s_cbranch_execz .LBB339_860
; %bb.853:                              ;   in Loop: Header=BB339_552 Depth=1
	v_lshrrev_b32_e32 v26, 24, v27
	v_bfrev_b32_e32 v29, 1
	s_mov_b32 s15, exec_lo
	s_delay_alu instid0(VALU_DEP_2)
	v_cmpx_ne_u32_e32 0x80, v26
	s_cbranch_execz .LBB339_859
; %bb.854:                              ;   in Loop: Header=BB339_552 Depth=1
	v_bfe_u32 v78, v27, 24, 7
	v_mov_b32_e32 v29, 0x7f800001
	s_mov_b32 s16, exec_lo
	s_delay_alu instid0(VALU_DEP_2)
	v_cmpx_ne_u32_e32 0x7f, v78
	s_cbranch_execz .LBB339_858
; %bb.855:                              ;   in Loop: Header=BB339_552 Depth=1
	v_and_b32_e32 v18, 7, v26
	v_lshrrev_b32_e32 v27, 3, v78
	s_mov_b32 s17, exec_lo
	v_cmpx_gt_u32_e32 8, v78
; %bb.856:                              ;   in Loop: Header=BB339_552 Depth=1
	s_delay_alu instid0(VALU_DEP_3) | instskip(NEXT) | instid1(VALU_DEP_1)
	v_clz_i32_u32_e32 v27, v18
	v_min_u32_e32 v27, 32, v27
	s_delay_alu instid0(VALU_DEP_1) | instskip(NEXT) | instid1(VALU_DEP_1)
	v_subrev_nc_u32_e32 v29, 28, v27
	v_lshlrev_b64_e32 v[78:79], v29, v[18:19]
	s_delay_alu instid0(VALU_DEP_1)
	v_dual_sub_nc_u32 v27, 29, v27 :: v_dual_bitop2_b32 v18, 7, v78 bitop3:0x40
; %bb.857:                              ;   in Loop: Header=BB339_552 Depth=1
	s_or_b32 exec_lo, exec_lo, s17
	v_lshlrev_b32_e32 v26, 24, v26
	s_delay_alu instid0(VALU_DEP_2) | instskip(NEXT) | instid1(VALU_DEP_3)
	v_lshlrev_b32_e32 v18, 20, v18
	v_lshl_add_u32 v27, v27, 23, 0x3c000000
	s_delay_alu instid0(VALU_DEP_3) | instskip(NEXT) | instid1(VALU_DEP_1)
	v_and_b32_e32 v26, 0x80000000, v26
	v_or3_b32 v29, v18, v26, v27
.LBB339_858:                            ;   in Loop: Header=BB339_552 Depth=1
	s_or_b32 exec_lo, exec_lo, s16
.LBB339_859:                            ;   in Loop: Header=BB339_552 Depth=1
	s_delay_alu instid0(SALU_CYCLE_1)
	s_or_b32 exec_lo, exec_lo, s15
.LBB339_860:                            ;   in Loop: Header=BB339_552 Depth=1
	s_delay_alu instid0(SALU_CYCLE_1)
	s_or_b32 exec_lo, exec_lo, s14
	v_fma_mixlo_bf16 v78, s3, v28, 0
	v_fma_mixlo_bf16 v79, s3, v76, 0
	v_fma_mixlo_bf16 v80, s3, v31, 0
	v_fma_mixlo_bf16 v81, s3, v30, 0
	v_fma_mixlo_bf16 v82, s3, v1, 0
	v_fma_mixlo_bf16 v83, s3, v0, 0
	v_fma_mixlo_bf16 v76, s3, v77, 0
	v_fma_mixlo_bf16 v77, s3, v29, 0
	s_and_saveexec_b32 s14, vcc_lo
	s_cbranch_execz .LBB339_862
; %bb.861:                              ;   in Loop: Header=BB339_552 Depth=1
	v_cmp_gt_i32_e64 s0, s25, v45
	s_delay_alu instid0(VALU_DEP_1) | instskip(SKIP_1) | instid1(VALU_DEP_1)
	v_cndmask_b32_e64 v83, 0, v83, s0
	v_cmp_gt_i32_e64 s0, s25, v51
	v_cndmask_b32_e64 v82, 0, v82, s0
	v_cmp_gt_i32_e64 s0, s25, v50
	s_delay_alu instid0(VALU_DEP_1) | instskip(SKIP_1) | instid1(VALU_DEP_1)
	v_cndmask_b32_e64 v81, 0, v81, s0
	v_cmp_gt_i32_e64 s0, s25, v49
	v_cndmask_b32_e64 v80, 0, v80, s0
	;; [unrolled: 5-line block ×4, first 2 shown]
.LBB339_862:                            ;   in Loop: Header=BB339_552 Depth=1
	s_or_b32 exec_lo, exec_lo, s14
	global_load_b64 v[26:27], v[24:25], off offset:1280
	v_dual_mov_b32 v1, 0 :: v_dual_mov_b32 v0, 0
	s_mov_b32 s14, exec_lo
	s_wait_loadcnt 0x0
	v_and_b32_e32 v18, 0xff, v26
	s_delay_alu instid0(VALU_DEP_1)
	v_cmpx_ne_u16_e32 0, v18
	s_cbranch_execz .LBB339_868
; %bb.863:                              ;   in Loop: Header=BB339_552 Depth=1
	v_bfrev_b32_e32 v0, 1
	s_mov_b32 s15, exec_lo
	v_cmpx_ne_u16_e32 0x80, v18
	s_cbranch_execz .LBB339_867
; %bb.864:                              ;   in Loop: Header=BB339_552 Depth=1
	v_and_b32_e32 v18, 0x7f, v26
	v_mov_b32_e32 v0, 0x7f800001
	s_mov_b32 s16, exec_lo
	s_delay_alu instid0(VALU_DEP_2)
	v_cmpx_ne_u32_e32 0x7f, v18
	s_cbranch_execz .LBB339_866
; %bb.865:                              ;   in Loop: Header=BB339_552 Depth=1
	v_cmp_gt_u32_e64 s0, 8, v18
	v_and_b32_e32 v0, 7, v26
	s_delay_alu instid0(VALU_DEP_1) | instskip(NEXT) | instid1(VALU_DEP_1)
	v_clz_i32_u32_e32 v0, v0
	v_min_u32_e32 v0, 32, v0
	v_lshrrev_b32_e32 v28, 3, v18
	s_delay_alu instid0(VALU_DEP_2) | instskip(NEXT) | instid1(VALU_DEP_1)
	v_subrev_nc_u32_e32 v29, 28, v0
	v_dual_sub_nc_u32 v0, 29, v0 :: v_dual_cndmask_b32 v18, 0, v29, s0
	s_delay_alu instid0(VALU_DEP_1) | instskip(NEXT) | instid1(VALU_DEP_2)
	v_cndmask_b32_e64 v0, v28, v0, s0
	v_lshlrev_b64_e32 v[28:29], v18, v[26:27]
	v_lshlrev_b32_e32 v18, 24, v26
	s_delay_alu instid0(VALU_DEP_3) | instskip(NEXT) | instid1(VALU_DEP_2)
	v_lshl_add_u32 v0, v0, 23, 0x3c000000
	v_and_b32_e32 v18, 0x80000000, v18
	s_delay_alu instid0(VALU_DEP_4) | instskip(NEXT) | instid1(VALU_DEP_1)
	v_lshlrev_b32_e32 v28, 20, v28
	v_and_b32_e32 v28, 0x700000, v28
	s_delay_alu instid0(VALU_DEP_1)
	v_or3_b32 v0, v28, v18, v0
.LBB339_866:                            ;   in Loop: Header=BB339_552 Depth=1
	s_or_b32 exec_lo, exec_lo, s16
.LBB339_867:                            ;   in Loop: Header=BB339_552 Depth=1
	s_delay_alu instid0(SALU_CYCLE_1)
	s_or_b32 exec_lo, exec_lo, s15
.LBB339_868:                            ;   in Loop: Header=BB339_552 Depth=1
	s_delay_alu instid0(SALU_CYCLE_1) | instskip(SKIP_2) | instid1(VALU_DEP_1)
	s_or_b32 exec_lo, exec_lo, s14
	v_lshrrev_b16 v18, 8, v26
	s_mov_b32 s14, exec_lo
	v_cmpx_ne_u16_e32 0, v18
	s_cbranch_execz .LBB339_876
; %bb.869:                              ;   in Loop: Header=BB339_552 Depth=1
	v_bfrev_b32_e32 v1, 1
	s_mov_b32 s15, exec_lo
	v_cmpx_ne_u16_e32 0x80, v18
	s_cbranch_execz .LBB339_875
; %bb.870:                              ;   in Loop: Header=BB339_552 Depth=1
	v_and_b32_e32 v18, 0xffff, v18
	v_mov_b32_e32 v1, 0x7f800001
	s_mov_b32 s16, exec_lo
	s_delay_alu instid0(VALU_DEP_2) | instskip(NEXT) | instid1(VALU_DEP_1)
	v_and_b32_e32 v28, 0x7f, v18
	v_cmpx_ne_u32_e32 0x7f, v28
	s_cbranch_execz .LBB339_874
; %bb.871:                              ;   in Loop: Header=BB339_552 Depth=1
	v_dual_lshrrev_b32 v1, 3, v28 :: v_dual_bitop2_b32 v18, 7, v18 bitop3:0x40
	s_mov_b32 s17, exec_lo
	v_cmpx_gt_u32_e32 8, v28
; %bb.872:                              ;   in Loop: Header=BB339_552 Depth=1
	s_delay_alu instid0(VALU_DEP_2) | instskip(NEXT) | instid1(VALU_DEP_1)
	v_clz_i32_u32_e32 v1, v18
	v_min_u32_e32 v1, 32, v1
	s_delay_alu instid0(VALU_DEP_1) | instskip(NEXT) | instid1(VALU_DEP_1)
	v_subrev_nc_u32_e32 v28, 28, v1
	v_lshlrev_b64_e32 v[28:29], v28, v[18:19]
	s_delay_alu instid0(VALU_DEP_1)
	v_dual_sub_nc_u32 v1, 29, v1 :: v_dual_bitop2_b32 v18, 7, v28 bitop3:0x40
; %bb.873:                              ;   in Loop: Header=BB339_552 Depth=1
	s_or_b32 exec_lo, exec_lo, s17
	v_lshlrev_b32_e32 v28, 16, v26
	s_delay_alu instid0(VALU_DEP_2) | instskip(NEXT) | instid1(VALU_DEP_3)
	v_lshlrev_b32_e32 v18, 20, v18
	v_lshl_add_u32 v1, v1, 23, 0x3c000000
	s_delay_alu instid0(VALU_DEP_3) | instskip(NEXT) | instid1(VALU_DEP_1)
	v_and_b32_e32 v28, 0x80000000, v28
	v_or3_b32 v1, v18, v28, v1
.LBB339_874:                            ;   in Loop: Header=BB339_552 Depth=1
	s_or_b32 exec_lo, exec_lo, s16
.LBB339_875:                            ;   in Loop: Header=BB339_552 Depth=1
	s_delay_alu instid0(SALU_CYCLE_1)
	s_or_b32 exec_lo, exec_lo, s15
.LBB339_876:                            ;   in Loop: Header=BB339_552 Depth=1
	s_delay_alu instid0(SALU_CYCLE_1) | instskip(SKIP_3) | instid1(VALU_DEP_2)
	s_or_b32 exec_lo, exec_lo, s14
	v_dual_mov_b32 v85, 0 :: v_dual_lshrrev_b32 v28, 16, v26
	v_mov_b32_e32 v30, 0
	s_mov_b32 s14, exec_lo
	v_and_b32_e32 v18, 0xff, v28
	s_delay_alu instid0(VALU_DEP_1)
	v_cmpx_ne_u16_e32 0, v18
	s_cbranch_execz .LBB339_884
; %bb.877:                              ;   in Loop: Header=BB339_552 Depth=1
	v_bfrev_b32_e32 v30, 1
	s_mov_b32 s15, exec_lo
	v_cmpx_ne_u16_e32 0x80, v18
	s_cbranch_execz .LBB339_883
; %bb.878:                              ;   in Loop: Header=BB339_552 Depth=1
	v_bfe_u32 v31, v26, 16, 7
	v_mov_b32_e32 v30, 0x7f800001
	s_mov_b32 s16, exec_lo
	s_delay_alu instid0(VALU_DEP_2)
	v_cmpx_ne_u32_e32 0x7f, v31
	s_cbranch_execz .LBB339_882
; %bb.879:                              ;   in Loop: Header=BB339_552 Depth=1
	v_dual_lshrrev_b32 v29, 3, v31 :: v_dual_bitop2_b32 v18, 7, v28 bitop3:0x40
	s_mov_b32 s17, exec_lo
	v_cmpx_gt_u32_e32 8, v31
; %bb.880:                              ;   in Loop: Header=BB339_552 Depth=1
	s_delay_alu instid0(VALU_DEP_2) | instskip(NEXT) | instid1(VALU_DEP_1)
	v_clz_i32_u32_e32 v29, v18
	v_min_u32_e32 v29, 32, v29
	s_delay_alu instid0(VALU_DEP_1) | instskip(NEXT) | instid1(VALU_DEP_1)
	v_subrev_nc_u32_e32 v30, 28, v29
	v_lshlrev_b64_e32 v[30:31], v30, v[18:19]
	s_delay_alu instid0(VALU_DEP_1)
	v_dual_sub_nc_u32 v29, 29, v29 :: v_dual_bitop2_b32 v18, 7, v30 bitop3:0x40
; %bb.881:                              ;   in Loop: Header=BB339_552 Depth=1
	s_or_b32 exec_lo, exec_lo, s17
	s_delay_alu instid0(VALU_DEP_1) | instskip(NEXT) | instid1(VALU_DEP_2)
	v_dual_lshlrev_b32 v28, 24, v28 :: v_dual_lshlrev_b32 v18, 20, v18
	v_lshl_add_u32 v29, v29, 23, 0x3c000000
	s_delay_alu instid0(VALU_DEP_2) | instskip(NEXT) | instid1(VALU_DEP_1)
	v_and_b32_e32 v28, 0x80000000, v28
	v_or3_b32 v30, v18, v28, v29
.LBB339_882:                            ;   in Loop: Header=BB339_552 Depth=1
	s_or_b32 exec_lo, exec_lo, s16
.LBB339_883:                            ;   in Loop: Header=BB339_552 Depth=1
	s_delay_alu instid0(SALU_CYCLE_1)
	s_or_b32 exec_lo, exec_lo, s15
.LBB339_884:                            ;   in Loop: Header=BB339_552 Depth=1
	s_delay_alu instid0(SALU_CYCLE_1) | instskip(NEXT) | instid1(SALU_CYCLE_1)
	s_or_b32 exec_lo, exec_lo, s14
	s_mov_b32 s14, exec_lo
	v_cmpx_lt_u32_e32 0xffffff, v26
	s_cbranch_execz .LBB339_892
; %bb.885:                              ;   in Loop: Header=BB339_552 Depth=1
	v_lshrrev_b32_e32 v28, 24, v26
	v_bfrev_b32_e32 v85, 1
	s_mov_b32 s15, exec_lo
	s_delay_alu instid0(VALU_DEP_2)
	v_cmpx_ne_u32_e32 0x80, v28
	s_cbranch_execz .LBB339_891
; %bb.886:                              ;   in Loop: Header=BB339_552 Depth=1
	v_bfe_u32 v31, v26, 24, 7
	v_mov_b32_e32 v85, 0x7f800001
	s_mov_b32 s16, exec_lo
	s_delay_alu instid0(VALU_DEP_2)
	v_cmpx_ne_u32_e32 0x7f, v31
	s_cbranch_execz .LBB339_890
; %bb.887:                              ;   in Loop: Header=BB339_552 Depth=1
	v_dual_lshrrev_b32 v29, 3, v31 :: v_dual_bitop2_b32 v18, 7, v28 bitop3:0x40
	s_mov_b32 s17, exec_lo
	v_cmpx_gt_u32_e32 8, v31
; %bb.888:                              ;   in Loop: Header=BB339_552 Depth=1
	s_delay_alu instid0(VALU_DEP_2) | instskip(NEXT) | instid1(VALU_DEP_1)
	v_clz_i32_u32_e32 v29, v18
	v_min_u32_e32 v29, 32, v29
	s_delay_alu instid0(VALU_DEP_1) | instskip(NEXT) | instid1(VALU_DEP_1)
	v_subrev_nc_u32_e32 v31, 28, v29
	v_lshlrev_b64_e32 v[84:85], v31, v[18:19]
	s_delay_alu instid0(VALU_DEP_1)
	v_dual_sub_nc_u32 v29, 29, v29 :: v_dual_bitop2_b32 v18, 7, v84 bitop3:0x40
; %bb.889:                              ;   in Loop: Header=BB339_552 Depth=1
	s_or_b32 exec_lo, exec_lo, s17
	s_delay_alu instid0(VALU_DEP_1) | instskip(NEXT) | instid1(VALU_DEP_2)
	v_dual_lshlrev_b32 v28, 24, v28 :: v_dual_lshlrev_b32 v18, 20, v18
	v_lshl_add_u32 v29, v29, 23, 0x3c000000
	s_delay_alu instid0(VALU_DEP_2) | instskip(NEXT) | instid1(VALU_DEP_1)
	v_and_b32_e32 v28, 0x80000000, v28
	v_or3_b32 v85, v18, v28, v29
.LBB339_890:                            ;   in Loop: Header=BB339_552 Depth=1
	s_or_b32 exec_lo, exec_lo, s16
.LBB339_891:                            ;   in Loop: Header=BB339_552 Depth=1
	s_delay_alu instid0(SALU_CYCLE_1)
	s_or_b32 exec_lo, exec_lo, s15
.LBB339_892:                            ;   in Loop: Header=BB339_552 Depth=1
	s_delay_alu instid0(SALU_CYCLE_1) | instskip(SKIP_4) | instid1(VALU_DEP_3)
	s_or_b32 exec_lo, exec_lo, s14
	v_and_b32_e32 v29, 0xff, v27
	v_dual_mov_b32 v18, v27 :: v_dual_mov_b32 v28, 0
	v_mov_b32_e32 v84, 0
	s_mov_b32 s14, exec_lo
	v_cmpx_ne_u16_e32 0, v29
	s_cbranch_execz .LBB339_898
; %bb.893:                              ;   in Loop: Header=BB339_552 Depth=1
	v_bfrev_b32_e32 v84, 1
	s_mov_b32 s15, exec_lo
	v_cmpx_ne_u16_e32 0x80, v29
	s_cbranch_execz .LBB339_897
; %bb.894:                              ;   in Loop: Header=BB339_552 Depth=1
	v_and_b32_e32 v29, 0x7f, v27
	v_mov_b32_e32 v84, 0x7f800001
	s_mov_b32 s16, exec_lo
	s_delay_alu instid0(VALU_DEP_2)
	v_cmpx_ne_u32_e32 0x7f, v29
	s_cbranch_execz .LBB339_896
; %bb.895:                              ;   in Loop: Header=BB339_552 Depth=1
	v_dual_lshrrev_b32 v84, 3, v29 :: v_dual_bitop2_b32 v31, 7, v27 bitop3:0x40
	v_cmp_gt_u32_e64 s0, 8, v29
	s_delay_alu instid0(VALU_DEP_2) | instskip(NEXT) | instid1(VALU_DEP_1)
	v_clz_i32_u32_e32 v31, v31
	v_min_u32_e32 v31, 32, v31
	s_delay_alu instid0(VALU_DEP_1) | instskip(SKIP_1) | instid1(VALU_DEP_1)
	v_subrev_nc_u32_e32 v86, 28, v31
	v_sub_nc_u32_e32 v31, 29, v31
	v_dual_cndmask_b32 v29, v84, v31, s0 :: v_dual_cndmask_b32 v31, 0, v86, s0
	s_delay_alu instid0(VALU_DEP_1) | instskip(NEXT) | instid1(VALU_DEP_2)
	v_lshl_add_u32 v29, v29, 23, 0x3c000000
	v_lshlrev_b64_e32 v[86:87], v31, v[18:19]
	v_lshlrev_b32_e32 v31, 24, v18
	s_delay_alu instid0(VALU_DEP_1) | instskip(NEXT) | instid1(VALU_DEP_3)
	v_and_b32_e32 v31, 0x80000000, v31
	v_lshlrev_b32_e32 v84, 20, v86
	s_delay_alu instid0(VALU_DEP_1) | instskip(NEXT) | instid1(VALU_DEP_1)
	v_and_b32_e32 v84, 0x700000, v84
	v_or3_b32 v84, v84, v31, v29
.LBB339_896:                            ;   in Loop: Header=BB339_552 Depth=1
	s_or_b32 exec_lo, exec_lo, s16
.LBB339_897:                            ;   in Loop: Header=BB339_552 Depth=1
	s_delay_alu instid0(SALU_CYCLE_1)
	s_or_b32 exec_lo, exec_lo, s15
.LBB339_898:                            ;   in Loop: Header=BB339_552 Depth=1
	s_delay_alu instid0(SALU_CYCLE_1) | instskip(SKIP_2) | instid1(VALU_DEP_1)
	s_or_b32 exec_lo, exec_lo, s14
	v_lshrrev_b16 v29, 8, v18
	s_mov_b32 s14, exec_lo
	v_cmpx_ne_u16_e32 0, v29
	s_cbranch_execz .LBB339_906
; %bb.899:                              ;   in Loop: Header=BB339_552 Depth=1
	v_bfrev_b32_e32 v28, 1
	s_mov_b32 s15, exec_lo
	v_cmpx_ne_u16_e32 0x80, v29
	s_cbranch_execz .LBB339_905
; %bb.900:                              ;   in Loop: Header=BB339_552 Depth=1
	v_and_b32_e32 v29, 0xffff, v29
	v_mov_b32_e32 v28, 0x7f800001
	s_mov_b32 s16, exec_lo
	s_delay_alu instid0(VALU_DEP_2) | instskip(NEXT) | instid1(VALU_DEP_1)
	v_and_b32_e32 v86, 0x7f, v29
	v_cmpx_ne_u32_e32 0x7f, v86
	s_cbranch_execz .LBB339_904
; %bb.901:                              ;   in Loop: Header=BB339_552 Depth=1
	v_dual_mov_b32 v29, v19 :: v_dual_bitop2_b32 v28, 7, v29 bitop3:0x40
	v_lshrrev_b32_e32 v31, 3, v86
	s_mov_b32 s17, exec_lo
	v_cmpx_gt_u32_e32 8, v86
; %bb.902:                              ;   in Loop: Header=BB339_552 Depth=1
	s_delay_alu instid0(VALU_DEP_3) | instskip(NEXT) | instid1(VALU_DEP_1)
	v_clz_i32_u32_e32 v31, v28
	v_min_u32_e32 v31, 32, v31
	s_delay_alu instid0(VALU_DEP_1) | instskip(NEXT) | instid1(VALU_DEP_1)
	v_subrev_nc_u32_e32 v86, 28, v31
	v_lshlrev_b64_e32 v[28:29], v86, v[28:29]
	s_delay_alu instid0(VALU_DEP_1)
	v_dual_sub_nc_u32 v31, 29, v31 :: v_dual_bitop2_b32 v28, 7, v28 bitop3:0x40
; %bb.903:                              ;   in Loop: Header=BB339_552 Depth=1
	s_or_b32 exec_lo, exec_lo, s17
	s_delay_alu instid0(VALU_DEP_1) | instskip(NEXT) | instid1(VALU_DEP_2)
	v_dual_lshlrev_b32 v18, 16, v18 :: v_dual_lshlrev_b32 v28, 20, v28
	v_lshl_add_u32 v29, v31, 23, 0x3c000000
	s_delay_alu instid0(VALU_DEP_2) | instskip(NEXT) | instid1(VALU_DEP_1)
	v_and_b32_e32 v18, 0x80000000, v18
	v_or3_b32 v28, v28, v18, v29
.LBB339_904:                            ;   in Loop: Header=BB339_552 Depth=1
	s_or_b32 exec_lo, exec_lo, s16
.LBB339_905:                            ;   in Loop: Header=BB339_552 Depth=1
	s_delay_alu instid0(SALU_CYCLE_1)
	s_or_b32 exec_lo, exec_lo, s15
.LBB339_906:                            ;   in Loop: Header=BB339_552 Depth=1
	s_delay_alu instid0(SALU_CYCLE_1) | instskip(SKIP_3) | instid1(VALU_DEP_2)
	s_or_b32 exec_lo, exec_lo, s14
	v_dual_lshrrev_b32 v31, 16, v27 :: v_dual_mov_b32 v29, 0
	v_mov_b32_e32 v89, 0
	s_mov_b32 s14, exec_lo
	v_and_b32_e32 v18, 0xff, v31
	s_delay_alu instid0(VALU_DEP_1)
	v_cmpx_ne_u16_e32 0, v18
	s_cbranch_execz .LBB339_914
; %bb.907:                              ;   in Loop: Header=BB339_552 Depth=1
	v_bfrev_b32_e32 v89, 1
	s_mov_b32 s15, exec_lo
	v_cmpx_ne_u16_e32 0x80, v18
	s_cbranch_execz .LBB339_913
; %bb.908:                              ;   in Loop: Header=BB339_552 Depth=1
	v_bfe_u32 v87, v27, 16, 7
	v_mov_b32_e32 v89, 0x7f800001
	s_mov_b32 s16, exec_lo
	s_delay_alu instid0(VALU_DEP_2)
	v_cmpx_ne_u32_e32 0x7f, v87
	s_cbranch_execz .LBB339_912
; %bb.909:                              ;   in Loop: Header=BB339_552 Depth=1
	v_and_b32_e32 v18, 7, v31
	v_lshrrev_b32_e32 v86, 3, v87
	s_mov_b32 s17, exec_lo
	v_cmpx_gt_u32_e32 8, v87
; %bb.910:                              ;   in Loop: Header=BB339_552 Depth=1
	s_delay_alu instid0(VALU_DEP_3) | instskip(NEXT) | instid1(VALU_DEP_1)
	v_clz_i32_u32_e32 v86, v18
	v_min_u32_e32 v86, 32, v86
	s_delay_alu instid0(VALU_DEP_1) | instskip(NEXT) | instid1(VALU_DEP_1)
	v_subrev_nc_u32_e32 v87, 28, v86
	v_lshlrev_b64_e32 v[88:89], v87, v[18:19]
	s_delay_alu instid0(VALU_DEP_1)
	v_dual_sub_nc_u32 v86, 29, v86 :: v_dual_bitop2_b32 v18, 7, v88 bitop3:0x40
; %bb.911:                              ;   in Loop: Header=BB339_552 Depth=1
	s_or_b32 exec_lo, exec_lo, s17
	s_delay_alu instid0(VALU_DEP_1) | instskip(NEXT) | instid1(VALU_DEP_2)
	v_dual_lshlrev_b32 v31, 24, v31 :: v_dual_lshlrev_b32 v18, 20, v18
	v_lshl_add_u32 v86, v86, 23, 0x3c000000
	s_delay_alu instid0(VALU_DEP_2) | instskip(NEXT) | instid1(VALU_DEP_1)
	v_and_b32_e32 v31, 0x80000000, v31
	v_or3_b32 v89, v18, v31, v86
.LBB339_912:                            ;   in Loop: Header=BB339_552 Depth=1
	s_or_b32 exec_lo, exec_lo, s16
.LBB339_913:                            ;   in Loop: Header=BB339_552 Depth=1
	s_delay_alu instid0(SALU_CYCLE_1)
	s_or_b32 exec_lo, exec_lo, s15
.LBB339_914:                            ;   in Loop: Header=BB339_552 Depth=1
	s_delay_alu instid0(SALU_CYCLE_1) | instskip(NEXT) | instid1(SALU_CYCLE_1)
	s_or_b32 exec_lo, exec_lo, s14
	s_mov_b32 s14, exec_lo
	v_cmpx_lt_u64_e64 s[4:5], v[26:27]
	s_cbranch_execz .LBB339_922
; %bb.915:                              ;   in Loop: Header=BB339_552 Depth=1
	v_lshrrev_b32_e32 v26, 24, v27
	v_bfrev_b32_e32 v29, 1
	s_mov_b32 s15, exec_lo
	s_delay_alu instid0(VALU_DEP_2)
	v_cmpx_ne_u32_e32 0x80, v26
	s_cbranch_execz .LBB339_921
; %bb.916:                              ;   in Loop: Header=BB339_552 Depth=1
	v_bfe_u32 v31, v27, 24, 7
	v_mov_b32_e32 v29, 0x7f800001
	s_mov_b32 s16, exec_lo
	s_delay_alu instid0(VALU_DEP_2)
	v_cmpx_ne_u32_e32 0x7f, v31
	s_cbranch_execz .LBB339_920
; %bb.917:                              ;   in Loop: Header=BB339_552 Depth=1
	v_dual_lshrrev_b32 v27, 3, v31 :: v_dual_bitop2_b32 v18, 7, v26 bitop3:0x40
	s_mov_b32 s17, exec_lo
	v_cmpx_gt_u32_e32 8, v31
; %bb.918:                              ;   in Loop: Header=BB339_552 Depth=1
	s_delay_alu instid0(VALU_DEP_2) | instskip(NEXT) | instid1(VALU_DEP_1)
	v_clz_i32_u32_e32 v27, v18
	v_min_u32_e32 v27, 32, v27
	s_delay_alu instid0(VALU_DEP_1) | instskip(NEXT) | instid1(VALU_DEP_1)
	v_subrev_nc_u32_e32 v29, 28, v27
	v_lshlrev_b64_e32 v[86:87], v29, v[18:19]
	s_delay_alu instid0(VALU_DEP_1)
	v_dual_sub_nc_u32 v27, 29, v27 :: v_dual_bitop2_b32 v18, 7, v86 bitop3:0x40
; %bb.919:                              ;   in Loop: Header=BB339_552 Depth=1
	s_or_b32 exec_lo, exec_lo, s17
	v_lshlrev_b32_e32 v26, 24, v26
	s_delay_alu instid0(VALU_DEP_2) | instskip(NEXT) | instid1(VALU_DEP_3)
	v_lshlrev_b32_e32 v18, 20, v18
	v_lshl_add_u32 v27, v27, 23, 0x3c000000
	s_delay_alu instid0(VALU_DEP_3) | instskip(NEXT) | instid1(VALU_DEP_1)
	v_and_b32_e32 v26, 0x80000000, v26
	v_or3_b32 v29, v18, v26, v27
.LBB339_920:                            ;   in Loop: Header=BB339_552 Depth=1
	s_or_b32 exec_lo, exec_lo, s16
.LBB339_921:                            ;   in Loop: Header=BB339_552 Depth=1
	s_delay_alu instid0(SALU_CYCLE_1)
	s_or_b32 exec_lo, exec_lo, s15
.LBB339_922:                            ;   in Loop: Header=BB339_552 Depth=1
	s_delay_alu instid0(SALU_CYCLE_1)
	s_or_b32 exec_lo, exec_lo, s14
	v_fma_mixlo_bf16 v31, s3, v28, 0
	v_fma_mixlo_bf16 v84, s3, v84, 0
	;; [unrolled: 1-line block ×8, first 2 shown]
	s_and_saveexec_b32 s14, vcc_lo
	s_cbranch_execz .LBB339_924
; %bb.923:                              ;   in Loop: Header=BB339_552 Depth=1
	v_cmp_gt_i32_e64 s0, s25, v45
	s_delay_alu instid0(VALU_DEP_1) | instskip(SKIP_1) | instid1(VALU_DEP_1)
	v_cndmask_b32_e64 v88, 0, v88, s0
	v_cmp_gt_i32_e64 s0, s25, v51
	v_cndmask_b32_e64 v87, 0, v87, s0
	v_cmp_gt_i32_e64 s0, s25, v50
	s_delay_alu instid0(VALU_DEP_1) | instskip(SKIP_1) | instid1(VALU_DEP_1)
	v_cndmask_b32_e64 v86, 0, v86, s0
	v_cmp_gt_i32_e64 s0, s25, v49
	v_cndmask_b32_e64 v85, 0, v85, s0
	;; [unrolled: 5-line block ×4, first 2 shown]
.LBB339_924:                            ;   in Loop: Header=BB339_552 Depth=1
	s_or_b32 exec_lo, exec_lo, s14
	global_load_b64 v[26:27], v[24:25], off offset:1536
	v_dual_mov_b32 v92, 0 :: v_dual_mov_b32 v0, 0
	s_mov_b32 s14, exec_lo
	s_wait_loadcnt 0x0
	v_and_b32_e32 v18, 0xff, v26
	s_delay_alu instid0(VALU_DEP_1)
	v_cmpx_ne_u16_e32 0, v18
	s_cbranch_execz .LBB339_930
; %bb.925:                              ;   in Loop: Header=BB339_552 Depth=1
	v_bfrev_b32_e32 v0, 1
	s_mov_b32 s15, exec_lo
	v_cmpx_ne_u16_e32 0x80, v18
	s_cbranch_execz .LBB339_929
; %bb.926:                              ;   in Loop: Header=BB339_552 Depth=1
	v_and_b32_e32 v18, 0x7f, v26
	v_mov_b32_e32 v0, 0x7f800001
	s_mov_b32 s16, exec_lo
	s_delay_alu instid0(VALU_DEP_2)
	v_cmpx_ne_u32_e32 0x7f, v18
	s_cbranch_execz .LBB339_928
; %bb.927:                              ;   in Loop: Header=BB339_552 Depth=1
	v_cmp_gt_u32_e64 s0, 8, v18
	v_and_b32_e32 v0, 7, v26
	s_delay_alu instid0(VALU_DEP_1) | instskip(NEXT) | instid1(VALU_DEP_1)
	v_clz_i32_u32_e32 v0, v0
	v_min_u32_e32 v0, 32, v0
	v_lshrrev_b32_e32 v28, 3, v18
	s_delay_alu instid0(VALU_DEP_2) | instskip(NEXT) | instid1(VALU_DEP_1)
	v_subrev_nc_u32_e32 v29, 28, v0
	v_dual_sub_nc_u32 v0, 29, v0 :: v_dual_cndmask_b32 v18, 0, v29, s0
	s_delay_alu instid0(VALU_DEP_1) | instskip(NEXT) | instid1(VALU_DEP_2)
	v_cndmask_b32_e64 v0, v28, v0, s0
	v_lshlrev_b64_e32 v[28:29], v18, v[26:27]
	v_lshlrev_b32_e32 v18, 24, v26
	s_delay_alu instid0(VALU_DEP_3) | instskip(NEXT) | instid1(VALU_DEP_2)
	v_lshl_add_u32 v0, v0, 23, 0x3c000000
	v_and_b32_e32 v18, 0x80000000, v18
	s_delay_alu instid0(VALU_DEP_4) | instskip(NEXT) | instid1(VALU_DEP_1)
	v_lshlrev_b32_e32 v28, 20, v28
	v_and_b32_e32 v28, 0x700000, v28
	s_delay_alu instid0(VALU_DEP_1)
	v_or3_b32 v0, v28, v18, v0
.LBB339_928:                            ;   in Loop: Header=BB339_552 Depth=1
	s_or_b32 exec_lo, exec_lo, s16
.LBB339_929:                            ;   in Loop: Header=BB339_552 Depth=1
	s_delay_alu instid0(SALU_CYCLE_1)
	s_or_b32 exec_lo, exec_lo, s15
.LBB339_930:                            ;   in Loop: Header=BB339_552 Depth=1
	s_delay_alu instid0(SALU_CYCLE_1) | instskip(SKIP_2) | instid1(VALU_DEP_1)
	s_or_b32 exec_lo, exec_lo, s14
	v_lshrrev_b16 v18, 8, v26
	s_mov_b32 s14, exec_lo
	v_cmpx_ne_u16_e32 0, v18
	s_cbranch_execz .LBB339_938
; %bb.931:                              ;   in Loop: Header=BB339_552 Depth=1
	v_bfrev_b32_e32 v92, 1
	s_mov_b32 s15, exec_lo
	v_cmpx_ne_u16_e32 0x80, v18
	s_cbranch_execz .LBB339_937
; %bb.932:                              ;   in Loop: Header=BB339_552 Depth=1
	v_and_b32_e32 v18, 0xffff, v18
	v_mov_b32_e32 v92, 0x7f800001
	s_mov_b32 s16, exec_lo
	s_delay_alu instid0(VALU_DEP_2) | instskip(NEXT) | instid1(VALU_DEP_1)
	v_and_b32_e32 v29, 0x7f, v18
	v_cmpx_ne_u32_e32 0x7f, v29
	s_cbranch_execz .LBB339_936
; %bb.933:                              ;   in Loop: Header=BB339_552 Depth=1
	v_dual_lshrrev_b32 v28, 3, v29 :: v_dual_bitop2_b32 v18, 7, v18 bitop3:0x40
	s_mov_b32 s17, exec_lo
	v_cmpx_gt_u32_e32 8, v29
; %bb.934:                              ;   in Loop: Header=BB339_552 Depth=1
	s_delay_alu instid0(VALU_DEP_2) | instskip(NEXT) | instid1(VALU_DEP_1)
	v_clz_i32_u32_e32 v28, v18
	v_min_u32_e32 v28, 32, v28
	s_delay_alu instid0(VALU_DEP_1) | instskip(NEXT) | instid1(VALU_DEP_1)
	v_subrev_nc_u32_e32 v29, 28, v28
	v_lshlrev_b64_e32 v[90:91], v29, v[18:19]
	s_delay_alu instid0(VALU_DEP_1)
	v_dual_sub_nc_u32 v28, 29, v28 :: v_dual_bitop2_b32 v18, 7, v90 bitop3:0x40
; %bb.935:                              ;   in Loop: Header=BB339_552 Depth=1
	s_or_b32 exec_lo, exec_lo, s17
	v_lshlrev_b32_e32 v29, 16, v26
	s_delay_alu instid0(VALU_DEP_2) | instskip(NEXT) | instid1(VALU_DEP_3)
	v_lshlrev_b32_e32 v18, 20, v18
	v_lshl_add_u32 v28, v28, 23, 0x3c000000
	s_delay_alu instid0(VALU_DEP_3) | instskip(NEXT) | instid1(VALU_DEP_1)
	v_and_b32_e32 v29, 0x80000000, v29
	v_or3_b32 v92, v18, v29, v28
.LBB339_936:                            ;   in Loop: Header=BB339_552 Depth=1
	s_or_b32 exec_lo, exec_lo, s16
.LBB339_937:                            ;   in Loop: Header=BB339_552 Depth=1
	s_delay_alu instid0(SALU_CYCLE_1)
	s_or_b32 exec_lo, exec_lo, s15
.LBB339_938:                            ;   in Loop: Header=BB339_552 Depth=1
	s_delay_alu instid0(SALU_CYCLE_1) | instskip(SKIP_3) | instid1(VALU_DEP_2)
	s_or_b32 exec_lo, exec_lo, s14
	v_dual_lshrrev_b32 v28, 16, v26 :: v_dual_mov_b32 v90, 0
	v_mov_b32_e32 v91, 0
	s_mov_b32 s14, exec_lo
	v_and_b32_e32 v18, 0xff, v28
	s_delay_alu instid0(VALU_DEP_1)
	v_cmpx_ne_u16_e32 0, v18
	s_cbranch_execz .LBB339_946
; %bb.939:                              ;   in Loop: Header=BB339_552 Depth=1
	v_bfrev_b32_e32 v91, 1
	s_mov_b32 s15, exec_lo
	v_cmpx_ne_u16_e32 0x80, v18
	s_cbranch_execz .LBB339_945
; %bb.940:                              ;   in Loop: Header=BB339_552 Depth=1
	v_bfe_u32 v89, v26, 16, 7
	v_mov_b32_e32 v91, 0x7f800001
	s_mov_b32 s16, exec_lo
	s_delay_alu instid0(VALU_DEP_2)
	v_cmpx_ne_u32_e32 0x7f, v89
	s_cbranch_execz .LBB339_944
; %bb.941:                              ;   in Loop: Header=BB339_552 Depth=1
	v_dual_lshrrev_b32 v29, 3, v89 :: v_dual_bitop2_b32 v18, 7, v28 bitop3:0x40
	s_mov_b32 s17, exec_lo
	v_cmpx_gt_u32_e32 8, v89
; %bb.942:                              ;   in Loop: Header=BB339_552 Depth=1
	s_delay_alu instid0(VALU_DEP_2) | instskip(NEXT) | instid1(VALU_DEP_1)
	v_clz_i32_u32_e32 v29, v18
	v_min_u32_e32 v29, 32, v29
	s_delay_alu instid0(VALU_DEP_1) | instskip(NEXT) | instid1(VALU_DEP_1)
	v_subrev_nc_u32_e32 v89, 28, v29
	v_lshlrev_b64_e32 v[94:95], v89, v[18:19]
	s_delay_alu instid0(VALU_DEP_1)
	v_dual_sub_nc_u32 v29, 29, v29 :: v_dual_bitop2_b32 v18, 7, v94 bitop3:0x40
; %bb.943:                              ;   in Loop: Header=BB339_552 Depth=1
	s_or_b32 exec_lo, exec_lo, s17
	s_delay_alu instid0(VALU_DEP_1) | instskip(NEXT) | instid1(VALU_DEP_2)
	v_dual_lshlrev_b32 v28, 24, v28 :: v_dual_lshlrev_b32 v18, 20, v18
	v_lshl_add_u32 v29, v29, 23, 0x3c000000
	s_delay_alu instid0(VALU_DEP_2) | instskip(NEXT) | instid1(VALU_DEP_1)
	v_and_b32_e32 v28, 0x80000000, v28
	v_or3_b32 v91, v18, v28, v29
.LBB339_944:                            ;   in Loop: Header=BB339_552 Depth=1
	s_or_b32 exec_lo, exec_lo, s16
.LBB339_945:                            ;   in Loop: Header=BB339_552 Depth=1
	s_delay_alu instid0(SALU_CYCLE_1)
	s_or_b32 exec_lo, exec_lo, s15
.LBB339_946:                            ;   in Loop: Header=BB339_552 Depth=1
	s_delay_alu instid0(SALU_CYCLE_1) | instskip(NEXT) | instid1(SALU_CYCLE_1)
	s_or_b32 exec_lo, exec_lo, s14
	s_mov_b32 s14, exec_lo
	v_cmpx_lt_u32_e32 0xffffff, v26
	s_cbranch_execz .LBB339_954
; %bb.947:                              ;   in Loop: Header=BB339_552 Depth=1
	v_lshrrev_b32_e32 v28, 24, v26
	v_bfrev_b32_e32 v90, 1
	s_mov_b32 s15, exec_lo
	s_delay_alu instid0(VALU_DEP_2)
	v_cmpx_ne_u32_e32 0x80, v28
	s_cbranch_execz .LBB339_953
; %bb.948:                              ;   in Loop: Header=BB339_552 Depth=1
	v_bfe_u32 v89, v26, 24, 7
	v_mov_b32_e32 v90, 0x7f800001
	s_mov_b32 s16, exec_lo
	s_delay_alu instid0(VALU_DEP_2)
	v_cmpx_ne_u32_e32 0x7f, v89
	s_cbranch_execz .LBB339_952
; %bb.949:                              ;   in Loop: Header=BB339_552 Depth=1
	v_dual_lshrrev_b32 v29, 3, v89 :: v_dual_bitop2_b32 v18, 7, v28 bitop3:0x40
	s_mov_b32 s17, exec_lo
	v_cmpx_gt_u32_e32 8, v89
; %bb.950:                              ;   in Loop: Header=BB339_552 Depth=1
	s_delay_alu instid0(VALU_DEP_2) | instskip(NEXT) | instid1(VALU_DEP_1)
	v_clz_i32_u32_e32 v29, v18
	v_min_u32_e32 v29, 32, v29
	s_delay_alu instid0(VALU_DEP_1) | instskip(NEXT) | instid1(VALU_DEP_1)
	v_subrev_nc_u32_e32 v89, 28, v29
	v_lshlrev_b64_e32 v[94:95], v89, v[18:19]
	s_delay_alu instid0(VALU_DEP_1)
	v_dual_sub_nc_u32 v29, 29, v29 :: v_dual_bitop2_b32 v18, 7, v94 bitop3:0x40
; %bb.951:                              ;   in Loop: Header=BB339_552 Depth=1
	s_or_b32 exec_lo, exec_lo, s17
	s_delay_alu instid0(VALU_DEP_1) | instskip(NEXT) | instid1(VALU_DEP_2)
	v_dual_lshlrev_b32 v28, 24, v28 :: v_dual_lshlrev_b32 v18, 20, v18
	v_lshl_add_u32 v29, v29, 23, 0x3c000000
	s_delay_alu instid0(VALU_DEP_2) | instskip(NEXT) | instid1(VALU_DEP_1)
	v_and_b32_e32 v28, 0x80000000, v28
	v_or3_b32 v90, v18, v28, v29
.LBB339_952:                            ;   in Loop: Header=BB339_552 Depth=1
	s_or_b32 exec_lo, exec_lo, s16
.LBB339_953:                            ;   in Loop: Header=BB339_552 Depth=1
	s_delay_alu instid0(SALU_CYCLE_1)
	s_or_b32 exec_lo, exec_lo, s15
.LBB339_954:                            ;   in Loop: Header=BB339_552 Depth=1
	s_delay_alu instid0(SALU_CYCLE_1) | instskip(SKIP_4) | instid1(VALU_DEP_3)
	s_or_b32 exec_lo, exec_lo, s14
	v_and_b32_e32 v29, 0xff, v27
	v_dual_mov_b32 v18, v27 :: v_dual_mov_b32 v28, 0
	v_mov_b32_e32 v89, 0
	s_mov_b32 s14, exec_lo
	v_cmpx_ne_u16_e32 0, v29
	s_cbranch_execz .LBB339_960
; %bb.955:                              ;   in Loop: Header=BB339_552 Depth=1
	v_bfrev_b32_e32 v89, 1
	s_mov_b32 s15, exec_lo
	v_cmpx_ne_u16_e32 0x80, v29
	s_cbranch_execz .LBB339_959
; %bb.956:                              ;   in Loop: Header=BB339_552 Depth=1
	v_and_b32_e32 v29, 0x7f, v27
	v_mov_b32_e32 v89, 0x7f800001
	s_mov_b32 s16, exec_lo
	s_delay_alu instid0(VALU_DEP_2)
	v_cmpx_ne_u32_e32 0x7f, v29
	s_cbranch_execz .LBB339_958
; %bb.957:                              ;   in Loop: Header=BB339_552 Depth=1
	v_dual_lshrrev_b32 v93, 3, v29 :: v_dual_bitop2_b32 v89, 7, v27 bitop3:0x40
	v_cmp_gt_u32_e64 s0, 8, v29
	s_delay_alu instid0(VALU_DEP_2) | instskip(NEXT) | instid1(VALU_DEP_1)
	v_clz_i32_u32_e32 v89, v89
	v_min_u32_e32 v89, 32, v89
	s_delay_alu instid0(VALU_DEP_1) | instskip(SKIP_1) | instid1(VALU_DEP_1)
	v_subrev_nc_u32_e32 v94, 28, v89
	v_sub_nc_u32_e32 v89, 29, v89
	v_dual_cndmask_b32 v29, v93, v89, s0 :: v_dual_cndmask_b32 v89, 0, v94, s0
	s_delay_alu instid0(VALU_DEP_1) | instskip(NEXT) | instid1(VALU_DEP_2)
	v_lshl_add_u32 v29, v29, 23, 0x3c000000
	v_lshlrev_b64_e32 v[94:95], v89, v[18:19]
	v_lshlrev_b32_e32 v89, 24, v18
	s_delay_alu instid0(VALU_DEP_1) | instskip(NEXT) | instid1(VALU_DEP_3)
	v_and_b32_e32 v89, 0x80000000, v89
	v_lshlrev_b32_e32 v93, 20, v94
	s_delay_alu instid0(VALU_DEP_1) | instskip(NEXT) | instid1(VALU_DEP_1)
	v_and_b32_e32 v93, 0x700000, v93
	v_or3_b32 v89, v93, v89, v29
.LBB339_958:                            ;   in Loop: Header=BB339_552 Depth=1
	s_or_b32 exec_lo, exec_lo, s16
.LBB339_959:                            ;   in Loop: Header=BB339_552 Depth=1
	s_delay_alu instid0(SALU_CYCLE_1)
	s_or_b32 exec_lo, exec_lo, s15
.LBB339_960:                            ;   in Loop: Header=BB339_552 Depth=1
	s_delay_alu instid0(SALU_CYCLE_1) | instskip(SKIP_2) | instid1(VALU_DEP_1)
	s_or_b32 exec_lo, exec_lo, s14
	v_lshrrev_b16 v29, 8, v18
	s_mov_b32 s14, exec_lo
	v_cmpx_ne_u16_e32 0, v29
	s_cbranch_execz .LBB339_968
; %bb.961:                              ;   in Loop: Header=BB339_552 Depth=1
	v_bfrev_b32_e32 v28, 1
	s_mov_b32 s15, exec_lo
	v_cmpx_ne_u16_e32 0x80, v29
	s_cbranch_execz .LBB339_967
; %bb.962:                              ;   in Loop: Header=BB339_552 Depth=1
	v_and_b32_e32 v29, 0xffff, v29
	v_mov_b32_e32 v28, 0x7f800001
	s_mov_b32 s16, exec_lo
	s_delay_alu instid0(VALU_DEP_2) | instskip(NEXT) | instid1(VALU_DEP_1)
	v_and_b32_e32 v94, 0x7f, v29
	v_cmpx_ne_u32_e32 0x7f, v94
	s_cbranch_execz .LBB339_966
; %bb.963:                              ;   in Loop: Header=BB339_552 Depth=1
	v_dual_mov_b32 v29, v19 :: v_dual_bitop2_b32 v28, 7, v29 bitop3:0x40
	v_lshrrev_b32_e32 v93, 3, v94
	s_mov_b32 s17, exec_lo
	v_cmpx_gt_u32_e32 8, v94
; %bb.964:                              ;   in Loop: Header=BB339_552 Depth=1
	s_delay_alu instid0(VALU_DEP_3) | instskip(NEXT) | instid1(VALU_DEP_1)
	v_clz_i32_u32_e32 v93, v28
	v_min_u32_e32 v93, 32, v93
	s_delay_alu instid0(VALU_DEP_1) | instskip(NEXT) | instid1(VALU_DEP_1)
	v_subrev_nc_u32_e32 v94, 28, v93
	v_lshlrev_b64_e32 v[28:29], v94, v[28:29]
	s_delay_alu instid0(VALU_DEP_1)
	v_dual_sub_nc_u32 v93, 29, v93 :: v_dual_bitop2_b32 v28, 7, v28 bitop3:0x40
; %bb.965:                              ;   in Loop: Header=BB339_552 Depth=1
	s_or_b32 exec_lo, exec_lo, s17
	s_delay_alu instid0(VALU_DEP_1) | instskip(NEXT) | instid1(VALU_DEP_2)
	v_dual_lshlrev_b32 v18, 16, v18 :: v_dual_lshlrev_b32 v28, 20, v28
	v_lshl_add_u32 v29, v93, 23, 0x3c000000
	s_delay_alu instid0(VALU_DEP_2) | instskip(NEXT) | instid1(VALU_DEP_1)
	v_and_b32_e32 v18, 0x80000000, v18
	v_or3_b32 v28, v28, v18, v29
.LBB339_966:                            ;   in Loop: Header=BB339_552 Depth=1
	s_or_b32 exec_lo, exec_lo, s16
.LBB339_967:                            ;   in Loop: Header=BB339_552 Depth=1
	s_delay_alu instid0(SALU_CYCLE_1)
	s_or_b32 exec_lo, exec_lo, s15
.LBB339_968:                            ;   in Loop: Header=BB339_552 Depth=1
	s_delay_alu instid0(SALU_CYCLE_1) | instskip(SKIP_3) | instid1(VALU_DEP_2)
	s_or_b32 exec_lo, exec_lo, s14
	v_dual_mov_b32 v94, 0 :: v_dual_lshrrev_b32 v29, 16, v27
	v_mov_b32_e32 v95, 0
	s_mov_b32 s14, exec_lo
	v_and_b32_e32 v18, 0xff, v29
	s_delay_alu instid0(VALU_DEP_1)
	v_cmpx_ne_u16_e32 0, v18
	s_cbranch_execz .LBB339_976
; %bb.969:                              ;   in Loop: Header=BB339_552 Depth=1
	v_bfrev_b32_e32 v95, 1
	s_mov_b32 s15, exec_lo
	v_cmpx_ne_u16_e32 0x80, v18
	s_cbranch_execz .LBB339_975
; %bb.970:                              ;   in Loop: Header=BB339_552 Depth=1
	v_bfe_u32 v96, v27, 16, 7
	v_mov_b32_e32 v95, 0x7f800001
	s_mov_b32 s16, exec_lo
	s_delay_alu instid0(VALU_DEP_2)
	v_cmpx_ne_u32_e32 0x7f, v96
	s_cbranch_execz .LBB339_974
; %bb.971:                              ;   in Loop: Header=BB339_552 Depth=1
	v_dual_lshrrev_b32 v93, 3, v96 :: v_dual_bitop2_b32 v18, 7, v29 bitop3:0x40
	s_mov_b32 s17, exec_lo
	v_cmpx_gt_u32_e32 8, v96
; %bb.972:                              ;   in Loop: Header=BB339_552 Depth=1
	s_delay_alu instid0(VALU_DEP_2) | instskip(NEXT) | instid1(VALU_DEP_1)
	v_clz_i32_u32_e32 v93, v18
	v_min_u32_e32 v93, 32, v93
	s_delay_alu instid0(VALU_DEP_1) | instskip(NEXT) | instid1(VALU_DEP_1)
	v_subrev_nc_u32_e32 v95, 28, v93
	v_lshlrev_b64_e32 v[96:97], v95, v[18:19]
	s_delay_alu instid0(VALU_DEP_1)
	v_dual_sub_nc_u32 v93, 29, v93 :: v_dual_bitop2_b32 v18, 7, v96 bitop3:0x40
; %bb.973:                              ;   in Loop: Header=BB339_552 Depth=1
	s_or_b32 exec_lo, exec_lo, s17
	s_delay_alu instid0(VALU_DEP_1) | instskip(NEXT) | instid1(VALU_DEP_2)
	v_dual_lshlrev_b32 v29, 24, v29 :: v_dual_lshlrev_b32 v18, 20, v18
	v_lshl_add_u32 v93, v93, 23, 0x3c000000
	s_delay_alu instid0(VALU_DEP_2) | instskip(NEXT) | instid1(VALU_DEP_1)
	v_and_b32_e32 v29, 0x80000000, v29
	v_or3_b32 v95, v18, v29, v93
.LBB339_974:                            ;   in Loop: Header=BB339_552 Depth=1
	s_or_b32 exec_lo, exec_lo, s16
.LBB339_975:                            ;   in Loop: Header=BB339_552 Depth=1
	s_delay_alu instid0(SALU_CYCLE_1)
	s_or_b32 exec_lo, exec_lo, s15
.LBB339_976:                            ;   in Loop: Header=BB339_552 Depth=1
	s_delay_alu instid0(SALU_CYCLE_1) | instskip(NEXT) | instid1(SALU_CYCLE_1)
	s_or_b32 exec_lo, exec_lo, s14
	s_mov_b32 s14, exec_lo
	v_cmpx_lt_u64_e64 s[4:5], v[26:27]
	s_cbranch_execz .LBB339_984
; %bb.977:                              ;   in Loop: Header=BB339_552 Depth=1
	v_lshrrev_b32_e32 v26, 24, v27
	v_bfrev_b32_e32 v94, 1
	s_mov_b32 s15, exec_lo
	s_delay_alu instid0(VALU_DEP_2)
	v_cmpx_ne_u32_e32 0x80, v26
	s_cbranch_execz .LBB339_983
; %bb.978:                              ;   in Loop: Header=BB339_552 Depth=1
	v_bfe_u32 v29, v27, 24, 7
	v_mov_b32_e32 v94, 0x7f800001
	s_mov_b32 s16, exec_lo
	s_delay_alu instid0(VALU_DEP_2)
	v_cmpx_ne_u32_e32 0x7f, v29
	s_cbranch_execz .LBB339_982
; %bb.979:                              ;   in Loop: Header=BB339_552 Depth=1
	v_dual_lshrrev_b32 v27, 3, v29 :: v_dual_bitop2_b32 v18, 7, v26 bitop3:0x40
	s_mov_b32 s17, exec_lo
	v_cmpx_gt_u32_e32 8, v29
; %bb.980:                              ;   in Loop: Header=BB339_552 Depth=1
	s_delay_alu instid0(VALU_DEP_2) | instskip(NEXT) | instid1(VALU_DEP_1)
	v_clz_i32_u32_e32 v27, v18
	v_min_u32_e32 v27, 32, v27
	s_delay_alu instid0(VALU_DEP_1) | instskip(NEXT) | instid1(VALU_DEP_1)
	v_subrev_nc_u32_e32 v29, 28, v27
	v_lshlrev_b64_e32 v[96:97], v29, v[18:19]
	s_delay_alu instid0(VALU_DEP_1)
	v_dual_sub_nc_u32 v27, 29, v27 :: v_dual_bitop2_b32 v18, 7, v96 bitop3:0x40
; %bb.981:                              ;   in Loop: Header=BB339_552 Depth=1
	s_or_b32 exec_lo, exec_lo, s17
	v_lshlrev_b32_e32 v26, 24, v26
	s_delay_alu instid0(VALU_DEP_2) | instskip(NEXT) | instid1(VALU_DEP_3)
	v_lshlrev_b32_e32 v18, 20, v18
	v_lshl_add_u32 v27, v27, 23, 0x3c000000
	s_delay_alu instid0(VALU_DEP_3) | instskip(NEXT) | instid1(VALU_DEP_1)
	v_and_b32_e32 v26, 0x80000000, v26
	v_or3_b32 v94, v18, v26, v27
.LBB339_982:                            ;   in Loop: Header=BB339_552 Depth=1
	s_or_b32 exec_lo, exec_lo, s16
.LBB339_983:                            ;   in Loop: Header=BB339_552 Depth=1
	s_delay_alu instid0(SALU_CYCLE_1)
	s_or_b32 exec_lo, exec_lo, s15
.LBB339_984:                            ;   in Loop: Header=BB339_552 Depth=1
	s_delay_alu instid0(SALU_CYCLE_1)
	s_or_b32 exec_lo, exec_lo, s14
	v_fma_mixlo_bf16 v29, s3, v28, 0
	v_fma_mixlo_bf16 v89, s3, v89, 0
	;; [unrolled: 1-line block ×8, first 2 shown]
	s_and_saveexec_b32 s14, vcc_lo
	s_cbranch_execz .LBB339_986
; %bb.985:                              ;   in Loop: Header=BB339_552 Depth=1
	v_cmp_gt_i32_e64 s0, s25, v45
	s_delay_alu instid0(VALU_DEP_1) | instskip(SKIP_1) | instid1(VALU_DEP_1)
	v_cndmask_b32_e64 v93, 0, v93, s0
	v_cmp_gt_i32_e64 s0, s25, v51
	v_cndmask_b32_e64 v92, 0, v92, s0
	v_cmp_gt_i32_e64 s0, s25, v50
	s_delay_alu instid0(VALU_DEP_1) | instskip(SKIP_1) | instid1(VALU_DEP_1)
	v_cndmask_b32_e64 v91, 0, v91, s0
	v_cmp_gt_i32_e64 s0, s25, v49
	v_cndmask_b32_e64 v90, 0, v90, s0
	;; [unrolled: 5-line block ×4, first 2 shown]
.LBB339_986:                            ;   in Loop: Header=BB339_552 Depth=1
	s_or_b32 exec_lo, exec_lo, s14
	global_load_b64 v[24:25], v[24:25], off offset:1792
	v_dual_mov_b32 v95, 0 :: v_dual_mov_b32 v94, 0
	s_mov_b32 s14, exec_lo
	s_wait_loadcnt 0x0
	v_and_b32_e32 v18, 0xff, v24
	s_delay_alu instid0(VALU_DEP_1)
	v_cmpx_ne_u16_e32 0, v18
	s_cbranch_execz .LBB339_992
; %bb.987:                              ;   in Loop: Header=BB339_552 Depth=1
	v_bfrev_b32_e32 v94, 1
	s_mov_b32 s15, exec_lo
	v_cmpx_ne_u16_e32 0x80, v18
	s_cbranch_execz .LBB339_991
; %bb.988:                              ;   in Loop: Header=BB339_552 Depth=1
	v_and_b32_e32 v18, 0x7f, v24
	v_mov_b32_e32 v94, 0x7f800001
	s_mov_b32 s16, exec_lo
	s_delay_alu instid0(VALU_DEP_2)
	v_cmpx_ne_u32_e32 0x7f, v18
	s_cbranch_execz .LBB339_990
; %bb.989:                              ;   in Loop: Header=BB339_552 Depth=1
	v_dual_lshrrev_b32 v27, 3, v18 :: v_dual_bitop2_b32 v26, 7, v24 bitop3:0x40
	v_cmp_gt_u32_e64 s0, 8, v18
	s_delay_alu instid0(VALU_DEP_2) | instskip(NEXT) | instid1(VALU_DEP_1)
	v_clz_i32_u32_e32 v26, v26
	v_min_u32_e32 v26, 32, v26
	s_delay_alu instid0(VALU_DEP_1) | instskip(SKIP_1) | instid1(VALU_DEP_1)
	v_subrev_nc_u32_e32 v94, 28, v26
	v_sub_nc_u32_e32 v26, 29, v26
	v_cndmask_b32_e64 v18, v27, v26, s0
	s_delay_alu instid0(VALU_DEP_3) | instskip(NEXT) | instid1(VALU_DEP_1)
	v_cndmask_b32_e64 v26, 0, v94, s0
	v_lshlrev_b64_e32 v[26:27], v26, v[24:25]
	v_lshlrev_b32_e32 v27, 24, v24
	s_delay_alu instid0(VALU_DEP_1) | instskip(NEXT) | instid1(VALU_DEP_3)
	v_and_b32_e32 v27, 0x80000000, v27
	v_lshlrev_b32_e32 v26, 20, v26
	v_lshl_add_u32 v18, v18, 23, 0x3c000000
	s_delay_alu instid0(VALU_DEP_2) | instskip(NEXT) | instid1(VALU_DEP_1)
	v_and_b32_e32 v26, 0x700000, v26
	v_or3_b32 v94, v26, v27, v18
.LBB339_990:                            ;   in Loop: Header=BB339_552 Depth=1
	s_or_b32 exec_lo, exec_lo, s16
.LBB339_991:                            ;   in Loop: Header=BB339_552 Depth=1
	s_delay_alu instid0(SALU_CYCLE_1)
	s_or_b32 exec_lo, exec_lo, s15
.LBB339_992:                            ;   in Loop: Header=BB339_552 Depth=1
	s_delay_alu instid0(SALU_CYCLE_1) | instskip(SKIP_2) | instid1(VALU_DEP_1)
	s_or_b32 exec_lo, exec_lo, s14
	v_lshrrev_b16 v18, 8, v24
	s_mov_b32 s14, exec_lo
	v_cmpx_ne_u16_e32 0, v18
	s_cbranch_execz .LBB339_1000
; %bb.993:                              ;   in Loop: Header=BB339_552 Depth=1
	v_bfrev_b32_e32 v95, 1
	s_mov_b32 s15, exec_lo
	v_cmpx_ne_u16_e32 0x80, v18
	s_cbranch_execz .LBB339_999
; %bb.994:                              ;   in Loop: Header=BB339_552 Depth=1
	v_and_b32_e32 v18, 0xffff, v18
	v_mov_b32_e32 v95, 0x7f800001
	s_mov_b32 s16, exec_lo
	s_delay_alu instid0(VALU_DEP_2) | instskip(NEXT) | instid1(VALU_DEP_1)
	v_and_b32_e32 v27, 0x7f, v18
	v_cmpx_ne_u32_e32 0x7f, v27
	s_cbranch_execz .LBB339_998
; %bb.995:                              ;   in Loop: Header=BB339_552 Depth=1
	v_dual_lshrrev_b32 v26, 3, v27 :: v_dual_bitop2_b32 v18, 7, v18 bitop3:0x40
	s_mov_b32 s17, exec_lo
	v_cmpx_gt_u32_e32 8, v27
; %bb.996:                              ;   in Loop: Header=BB339_552 Depth=1
	s_delay_alu instid0(VALU_DEP_2) | instskip(NEXT) | instid1(VALU_DEP_1)
	v_clz_i32_u32_e32 v26, v18
	v_min_u32_e32 v26, 32, v26
	s_delay_alu instid0(VALU_DEP_1) | instskip(NEXT) | instid1(VALU_DEP_1)
	v_subrev_nc_u32_e32 v27, 28, v26
	v_lshlrev_b64_e32 v[96:97], v27, v[18:19]
	s_delay_alu instid0(VALU_DEP_1)
	v_dual_sub_nc_u32 v26, 29, v26 :: v_dual_bitop2_b32 v18, 7, v96 bitop3:0x40
; %bb.997:                              ;   in Loop: Header=BB339_552 Depth=1
	s_or_b32 exec_lo, exec_lo, s17
	s_delay_alu instid0(VALU_DEP_1) | instskip(NEXT) | instid1(VALU_DEP_2)
	v_dual_lshlrev_b32 v27, 16, v24 :: v_dual_lshlrev_b32 v18, 20, v18
	v_lshl_add_u32 v26, v26, 23, 0x3c000000
	s_delay_alu instid0(VALU_DEP_2) | instskip(NEXT) | instid1(VALU_DEP_1)
	v_and_b32_e32 v27, 0x80000000, v27
	v_or3_b32 v95, v18, v27, v26
.LBB339_998:                            ;   in Loop: Header=BB339_552 Depth=1
	s_or_b32 exec_lo, exec_lo, s16
.LBB339_999:                            ;   in Loop: Header=BB339_552 Depth=1
	s_delay_alu instid0(SALU_CYCLE_1)
	s_or_b32 exec_lo, exec_lo, s15
.LBB339_1000:                           ;   in Loop: Header=BB339_552 Depth=1
	s_delay_alu instid0(SALU_CYCLE_1) | instskip(SKIP_3) | instid1(VALU_DEP_2)
	s_or_b32 exec_lo, exec_lo, s14
	v_dual_mov_b32 v97, 0 :: v_dual_lshrrev_b32 v26, 16, v24
	v_mov_b32_e32 v96, 0
	s_mov_b32 s14, exec_lo
	v_and_b32_e32 v18, 0xff, v26
	s_delay_alu instid0(VALU_DEP_1)
	v_cmpx_ne_u16_e32 0, v18
	s_cbranch_execz .LBB339_1008
; %bb.1001:                             ;   in Loop: Header=BB339_552 Depth=1
	v_bfrev_b32_e32 v96, 1
	s_mov_b32 s15, exec_lo
	v_cmpx_ne_u16_e32 0x80, v18
	s_cbranch_execz .LBB339_1007
; %bb.1002:                             ;   in Loop: Header=BB339_552 Depth=1
	v_bfe_u32 v98, v24, 16, 7
	v_mov_b32_e32 v96, 0x7f800001
	s_mov_b32 s16, exec_lo
	s_delay_alu instid0(VALU_DEP_2)
	v_cmpx_ne_u32_e32 0x7f, v98
	s_cbranch_execz .LBB339_1006
; %bb.1003:                             ;   in Loop: Header=BB339_552 Depth=1
	v_and_b32_e32 v18, 7, v26
	v_lshrrev_b32_e32 v27, 3, v98
	s_mov_b32 s17, exec_lo
	v_cmpx_gt_u32_e32 8, v98
; %bb.1004:                             ;   in Loop: Header=BB339_552 Depth=1
	s_delay_alu instid0(VALU_DEP_3) | instskip(NEXT) | instid1(VALU_DEP_1)
	v_clz_i32_u32_e32 v27, v18
	v_min_u32_e32 v27, 32, v27
	s_delay_alu instid0(VALU_DEP_1) | instskip(NEXT) | instid1(VALU_DEP_1)
	v_subrev_nc_u32_e32 v96, 28, v27
	v_lshlrev_b64_e32 v[98:99], v96, v[18:19]
	s_delay_alu instid0(VALU_DEP_1)
	v_dual_sub_nc_u32 v27, 29, v27 :: v_dual_bitop2_b32 v18, 7, v98 bitop3:0x40
; %bb.1005:                             ;   in Loop: Header=BB339_552 Depth=1
	s_or_b32 exec_lo, exec_lo, s17
	v_lshlrev_b32_e32 v26, 24, v26
	s_delay_alu instid0(VALU_DEP_2) | instskip(NEXT) | instid1(VALU_DEP_3)
	v_lshlrev_b32_e32 v18, 20, v18
	v_lshl_add_u32 v27, v27, 23, 0x3c000000
	s_delay_alu instid0(VALU_DEP_3) | instskip(NEXT) | instid1(VALU_DEP_1)
	v_and_b32_e32 v26, 0x80000000, v26
	v_or3_b32 v96, v18, v26, v27
.LBB339_1006:                           ;   in Loop: Header=BB339_552 Depth=1
	s_or_b32 exec_lo, exec_lo, s16
.LBB339_1007:                           ;   in Loop: Header=BB339_552 Depth=1
	s_delay_alu instid0(SALU_CYCLE_1)
	s_or_b32 exec_lo, exec_lo, s15
.LBB339_1008:                           ;   in Loop: Header=BB339_552 Depth=1
	s_delay_alu instid0(SALU_CYCLE_1) | instskip(NEXT) | instid1(SALU_CYCLE_1)
	s_or_b32 exec_lo, exec_lo, s14
	s_mov_b32 s14, exec_lo
	v_cmpx_lt_u32_e32 0xffffff, v24
	s_cbranch_execz .LBB339_1016
; %bb.1009:                             ;   in Loop: Header=BB339_552 Depth=1
	v_lshrrev_b32_e32 v26, 24, v24
	v_bfrev_b32_e32 v97, 1
	s_mov_b32 s15, exec_lo
	s_delay_alu instid0(VALU_DEP_2)
	v_cmpx_ne_u32_e32 0x80, v26
	s_cbranch_execz .LBB339_1015
; %bb.1010:                             ;   in Loop: Header=BB339_552 Depth=1
	v_bfe_u32 v98, v24, 24, 7
	v_mov_b32_e32 v97, 0x7f800001
	s_mov_b32 s16, exec_lo
	s_delay_alu instid0(VALU_DEP_2)
	v_cmpx_ne_u32_e32 0x7f, v98
	s_cbranch_execz .LBB339_1014
; %bb.1011:                             ;   in Loop: Header=BB339_552 Depth=1
	v_and_b32_e32 v18, 7, v26
	v_lshrrev_b32_e32 v27, 3, v98
	s_mov_b32 s17, exec_lo
	v_cmpx_gt_u32_e32 8, v98
; %bb.1012:                             ;   in Loop: Header=BB339_552 Depth=1
	s_delay_alu instid0(VALU_DEP_3) | instskip(NEXT) | instid1(VALU_DEP_1)
	v_clz_i32_u32_e32 v27, v18
	v_min_u32_e32 v27, 32, v27
	s_delay_alu instid0(VALU_DEP_1) | instskip(NEXT) | instid1(VALU_DEP_1)
	v_subrev_nc_u32_e32 v97, 28, v27
	v_lshlrev_b64_e32 v[98:99], v97, v[18:19]
	s_delay_alu instid0(VALU_DEP_1)
	v_dual_sub_nc_u32 v27, 29, v27 :: v_dual_bitop2_b32 v18, 7, v98 bitop3:0x40
; %bb.1013:                             ;   in Loop: Header=BB339_552 Depth=1
	s_or_b32 exec_lo, exec_lo, s17
	v_lshlrev_b32_e32 v26, 24, v26
	s_delay_alu instid0(VALU_DEP_2) | instskip(NEXT) | instid1(VALU_DEP_3)
	v_lshlrev_b32_e32 v18, 20, v18
	v_lshl_add_u32 v27, v27, 23, 0x3c000000
	s_delay_alu instid0(VALU_DEP_3) | instskip(NEXT) | instid1(VALU_DEP_1)
	v_and_b32_e32 v26, 0x80000000, v26
	v_or3_b32 v97, v18, v26, v27
.LBB339_1014:                           ;   in Loop: Header=BB339_552 Depth=1
	s_or_b32 exec_lo, exec_lo, s16
.LBB339_1015:                           ;   in Loop: Header=BB339_552 Depth=1
	s_delay_alu instid0(SALU_CYCLE_1)
	s_or_b32 exec_lo, exec_lo, s15
.LBB339_1016:                           ;   in Loop: Header=BB339_552 Depth=1
	s_delay_alu instid0(SALU_CYCLE_1) | instskip(SKIP_4) | instid1(VALU_DEP_3)
	s_or_b32 exec_lo, exec_lo, s14
	v_and_b32_e32 v27, 0xff, v25
	v_dual_mov_b32 v18, v25 :: v_dual_mov_b32 v26, 0
	v_mov_b32_e32 v98, 0
	s_mov_b32 s14, exec_lo
	v_cmpx_ne_u16_e32 0, v27
	s_cbranch_execz .LBB339_1022
; %bb.1017:                             ;   in Loop: Header=BB339_552 Depth=1
	v_bfrev_b32_e32 v98, 1
	s_mov_b32 s15, exec_lo
	v_cmpx_ne_u16_e32 0x80, v27
	s_cbranch_execz .LBB339_1021
; %bb.1018:                             ;   in Loop: Header=BB339_552 Depth=1
	v_and_b32_e32 v27, 0x7f, v25
	v_mov_b32_e32 v98, 0x7f800001
	s_mov_b32 s16, exec_lo
	s_delay_alu instid0(VALU_DEP_2)
	v_cmpx_ne_u32_e32 0x7f, v27
	s_cbranch_execz .LBB339_1020
; %bb.1019:                             ;   in Loop: Header=BB339_552 Depth=1
	v_dual_lshrrev_b32 v99, 3, v27 :: v_dual_bitop2_b32 v98, 7, v25 bitop3:0x40
	v_cmp_gt_u32_e64 s0, 8, v27
	s_delay_alu instid0(VALU_DEP_2) | instskip(NEXT) | instid1(VALU_DEP_1)
	v_clz_i32_u32_e32 v98, v98
	v_min_u32_e32 v98, 32, v98
	s_delay_alu instid0(VALU_DEP_1) | instskip(SKIP_1) | instid1(VALU_DEP_1)
	v_subrev_nc_u32_e32 v100, 28, v98
	v_sub_nc_u32_e32 v98, 29, v98
	v_dual_cndmask_b32 v27, v99, v98, s0 :: v_dual_cndmask_b32 v98, 0, v100, s0
	s_delay_alu instid0(VALU_DEP_1) | instskip(NEXT) | instid1(VALU_DEP_2)
	v_lshl_add_u32 v27, v27, 23, 0x3c000000
	v_lshlrev_b64_e32 v[98:99], v98, v[18:19]
	v_lshlrev_b32_e32 v99, 24, v18
	s_delay_alu instid0(VALU_DEP_1) | instskip(NEXT) | instid1(VALU_DEP_3)
	v_and_b32_e32 v99, 0x80000000, v99
	v_lshlrev_b32_e32 v98, 20, v98
	s_delay_alu instid0(VALU_DEP_1) | instskip(NEXT) | instid1(VALU_DEP_1)
	v_and_b32_e32 v98, 0x700000, v98
	v_or3_b32 v98, v98, v99, v27
.LBB339_1020:                           ;   in Loop: Header=BB339_552 Depth=1
	s_or_b32 exec_lo, exec_lo, s16
.LBB339_1021:                           ;   in Loop: Header=BB339_552 Depth=1
	s_delay_alu instid0(SALU_CYCLE_1)
	s_or_b32 exec_lo, exec_lo, s15
.LBB339_1022:                           ;   in Loop: Header=BB339_552 Depth=1
	s_delay_alu instid0(SALU_CYCLE_1) | instskip(SKIP_2) | instid1(VALU_DEP_1)
	s_or_b32 exec_lo, exec_lo, s14
	v_lshrrev_b16 v27, 8, v18
	s_mov_b32 s14, exec_lo
	v_cmpx_ne_u16_e32 0, v27
	s_cbranch_execz .LBB339_1030
; %bb.1023:                             ;   in Loop: Header=BB339_552 Depth=1
	v_bfrev_b32_e32 v26, 1
	s_mov_b32 s15, exec_lo
	v_cmpx_ne_u16_e32 0x80, v27
	s_cbranch_execz .LBB339_1029
; %bb.1024:                             ;   in Loop: Header=BB339_552 Depth=1
	v_and_b32_e32 v27, 0xffff, v27
	v_mov_b32_e32 v26, 0x7f800001
	s_mov_b32 s16, exec_lo
	s_delay_alu instid0(VALU_DEP_2) | instskip(NEXT) | instid1(VALU_DEP_1)
	v_and_b32_e32 v100, 0x7f, v27
	v_cmpx_ne_u32_e32 0x7f, v100
	s_cbranch_execz .LBB339_1028
; %bb.1025:                             ;   in Loop: Header=BB339_552 Depth=1
	v_dual_mov_b32 v27, v19 :: v_dual_bitop2_b32 v26, 7, v27 bitop3:0x40
	v_lshrrev_b32_e32 v99, 3, v100
	s_mov_b32 s17, exec_lo
	v_cmpx_gt_u32_e32 8, v100
; %bb.1026:                             ;   in Loop: Header=BB339_552 Depth=1
	s_delay_alu instid0(VALU_DEP_3) | instskip(NEXT) | instid1(VALU_DEP_1)
	v_clz_i32_u32_e32 v99, v26
	v_min_u32_e32 v99, 32, v99
	s_delay_alu instid0(VALU_DEP_1) | instskip(NEXT) | instid1(VALU_DEP_1)
	v_subrev_nc_u32_e32 v100, 28, v99
	v_lshlrev_b64_e32 v[26:27], v100, v[26:27]
	s_delay_alu instid0(VALU_DEP_1)
	v_dual_sub_nc_u32 v99, 29, v99 :: v_dual_bitop2_b32 v26, 7, v26 bitop3:0x40
; %bb.1027:                             ;   in Loop: Header=BB339_552 Depth=1
	s_or_b32 exec_lo, exec_lo, s17
	v_lshlrev_b32_e32 v18, 16, v18
	s_delay_alu instid0(VALU_DEP_2) | instskip(NEXT) | instid1(VALU_DEP_3)
	v_lshlrev_b32_e32 v26, 20, v26
	v_lshl_add_u32 v27, v99, 23, 0x3c000000
	s_delay_alu instid0(VALU_DEP_3) | instskip(NEXT) | instid1(VALU_DEP_1)
	v_and_b32_e32 v18, 0x80000000, v18
	v_or3_b32 v26, v26, v18, v27
.LBB339_1028:                           ;   in Loop: Header=BB339_552 Depth=1
	s_or_b32 exec_lo, exec_lo, s16
.LBB339_1029:                           ;   in Loop: Header=BB339_552 Depth=1
	s_delay_alu instid0(SALU_CYCLE_1)
	s_or_b32 exec_lo, exec_lo, s15
.LBB339_1030:                           ;   in Loop: Header=BB339_552 Depth=1
	s_delay_alu instid0(SALU_CYCLE_1) | instskip(SKIP_3) | instid1(VALU_DEP_2)
	s_or_b32 exec_lo, exec_lo, s14
	v_dual_mov_b32 v27, 0 :: v_dual_lshrrev_b32 v100, 16, v25
	v_mov_b32_e32 v99, 0
	s_mov_b32 s14, exec_lo
	v_and_b32_e32 v18, 0xff, v100
	s_delay_alu instid0(VALU_DEP_1)
	v_cmpx_ne_u16_e32 0, v18
	s_cbranch_execz .LBB339_1038
; %bb.1031:                             ;   in Loop: Header=BB339_552 Depth=1
	v_bfrev_b32_e32 v99, 1
	s_mov_b32 s15, exec_lo
	v_cmpx_ne_u16_e32 0x80, v18
	s_cbranch_execz .LBB339_1037
; %bb.1032:                             ;   in Loop: Header=BB339_552 Depth=1
	v_bfe_u32 v101, v25, 16, 7
	v_mov_b32_e32 v99, 0x7f800001
	s_mov_b32 s16, exec_lo
	s_delay_alu instid0(VALU_DEP_2)
	v_cmpx_ne_u32_e32 0x7f, v101
	s_cbranch_execz .LBB339_1036
; %bb.1033:                             ;   in Loop: Header=BB339_552 Depth=1
	v_dual_lshrrev_b32 v99, 3, v101 :: v_dual_bitop2_b32 v18, 7, v100 bitop3:0x40
	s_mov_b32 s17, exec_lo
	v_cmpx_gt_u32_e32 8, v101
; %bb.1034:                             ;   in Loop: Header=BB339_552 Depth=1
	s_delay_alu instid0(VALU_DEP_2) | instskip(NEXT) | instid1(VALU_DEP_1)
	v_clz_i32_u32_e32 v99, v18
	v_min_u32_e32 v99, 32, v99
	s_delay_alu instid0(VALU_DEP_1) | instskip(NEXT) | instid1(VALU_DEP_1)
	v_subrev_nc_u32_e32 v101, 28, v99
	v_lshlrev_b64_e32 v[102:103], v101, v[18:19]
	s_delay_alu instid0(VALU_DEP_1)
	v_dual_sub_nc_u32 v99, 29, v99 :: v_dual_bitop2_b32 v18, 7, v102 bitop3:0x40
; %bb.1035:                             ;   in Loop: Header=BB339_552 Depth=1
	s_or_b32 exec_lo, exec_lo, s17
	s_delay_alu instid0(VALU_DEP_1) | instskip(NEXT) | instid1(VALU_DEP_2)
	v_dual_lshlrev_b32 v100, 24, v100 :: v_dual_lshlrev_b32 v18, 20, v18
	v_lshl_add_u32 v99, v99, 23, 0x3c000000
	s_delay_alu instid0(VALU_DEP_2) | instskip(NEXT) | instid1(VALU_DEP_1)
	v_and_b32_e32 v100, 0x80000000, v100
	v_or3_b32 v99, v18, v100, v99
.LBB339_1036:                           ;   in Loop: Header=BB339_552 Depth=1
	s_or_b32 exec_lo, exec_lo, s16
.LBB339_1037:                           ;   in Loop: Header=BB339_552 Depth=1
	s_delay_alu instid0(SALU_CYCLE_1)
	s_or_b32 exec_lo, exec_lo, s15
.LBB339_1038:                           ;   in Loop: Header=BB339_552 Depth=1
	s_delay_alu instid0(SALU_CYCLE_1) | instskip(NEXT) | instid1(SALU_CYCLE_1)
	s_or_b32 exec_lo, exec_lo, s14
	s_mov_b32 s14, exec_lo
	v_cmpx_lt_u64_e64 s[4:5], v[24:25]
	s_cbranch_execz .LBB339_1046
; %bb.1039:                             ;   in Loop: Header=BB339_552 Depth=1
	v_lshrrev_b32_e32 v24, 24, v25
	v_bfrev_b32_e32 v27, 1
	s_mov_b32 s15, exec_lo
	s_delay_alu instid0(VALU_DEP_2)
	v_cmpx_ne_u32_e32 0x80, v24
	s_cbranch_execz .LBB339_1045
; %bb.1040:                             ;   in Loop: Header=BB339_552 Depth=1
	v_bfe_u32 v100, v25, 24, 7
	v_mov_b32_e32 v27, 0x7f800001
	s_mov_b32 s16, exec_lo
	s_delay_alu instid0(VALU_DEP_2)
	v_cmpx_ne_u32_e32 0x7f, v100
	s_cbranch_execz .LBB339_1044
; %bb.1041:                             ;   in Loop: Header=BB339_552 Depth=1
	v_and_b32_e32 v18, 7, v24
	v_lshrrev_b32_e32 v25, 3, v100
	s_mov_b32 s17, exec_lo
	v_cmpx_gt_u32_e32 8, v100
; %bb.1042:                             ;   in Loop: Header=BB339_552 Depth=1
	s_delay_alu instid0(VALU_DEP_3) | instskip(NEXT) | instid1(VALU_DEP_1)
	v_clz_i32_u32_e32 v25, v18
	v_min_u32_e32 v25, 32, v25
	s_delay_alu instid0(VALU_DEP_1) | instskip(NEXT) | instid1(VALU_DEP_1)
	v_subrev_nc_u32_e32 v27, 28, v25
	v_lshlrev_b64_e32 v[100:101], v27, v[18:19]
	s_delay_alu instid0(VALU_DEP_1)
	v_dual_sub_nc_u32 v25, 29, v25 :: v_dual_bitop2_b32 v18, 7, v100 bitop3:0x40
; %bb.1043:                             ;   in Loop: Header=BB339_552 Depth=1
	s_or_b32 exec_lo, exec_lo, s17
	s_delay_alu instid0(VALU_DEP_1) | instskip(NEXT) | instid1(VALU_DEP_2)
	v_dual_lshlrev_b32 v24, 24, v24 :: v_dual_lshlrev_b32 v18, 20, v18
	v_lshl_add_u32 v25, v25, 23, 0x3c000000
	s_delay_alu instid0(VALU_DEP_2) | instskip(NEXT) | instid1(VALU_DEP_1)
	v_and_b32_e32 v24, 0x80000000, v24
	v_or3_b32 v27, v18, v24, v25
.LBB339_1044:                           ;   in Loop: Header=BB339_552 Depth=1
	s_or_b32 exec_lo, exec_lo, s16
.LBB339_1045:                           ;   in Loop: Header=BB339_552 Depth=1
	s_delay_alu instid0(SALU_CYCLE_1)
	s_or_b32 exec_lo, exec_lo, s15
.LBB339_1046:                           ;   in Loop: Header=BB339_552 Depth=1
	s_delay_alu instid0(SALU_CYCLE_1)
	s_or_b32 exec_lo, exec_lo, s14
	v_fma_mixlo_bf16 v18, s3, v26, 0
	v_fma_mixlo_bf16 v24, s3, v98, 0
	;; [unrolled: 1-line block ×8, first 2 shown]
	s_and_saveexec_b32 s0, vcc_lo
	s_cbranch_execz .LBB339_551
; %bb.1047:                             ;   in Loop: Header=BB339_552 Depth=1
	v_cmp_gt_i32_e32 vcc_lo, s25, v45
	v_cndmask_b32_e32 v94, 0, v94, vcc_lo
	v_cmp_gt_i32_e32 vcc_lo, s25, v51
	v_cndmask_b32_e32 v95, 0, v95, vcc_lo
	;; [unrolled: 2-line block ×8, first 2 shown]
	s_branch .LBB339_551
.LBB339_1048:
	s_or_b32 exec_lo, exec_lo, s7
	v_dual_mov_b32 v22, v104 :: v_dual_mov_b32 v23, v105
	v_mov_b32_e32 v83, v106
.LBB339_1049:
	s_or_b32 exec_lo, exec_lo, s1
	ds_bpermute_b32 v2, v33, v16
	ds_bpermute_b32 v3, v33, v17
	;; [unrolled: 1-line block ×8, first 2 shown]
	v_and_b32_e32 v1, 0x3c1, v22
	v_lshrrev_b32_e32 v0, 1, v32
	s_mov_b32 s0, exec_lo
	s_wait_dscnt 0x0
	s_barrier_signal -1
	s_barrier_wait -1
	v_pk_add_f32 v[6:7], v[16:17], v[2:3]
	v_pk_add_f32 v[4:5], v[14:15], v[4:5]
	;; [unrolled: 1-line block ×3, first 2 shown]
	v_cmpx_ne_u32_e32 64, v1
	s_xor_b32 s0, exec_lo, s0
	s_delay_alu instid0(SALU_CYCLE_1)
	s_or_saveexec_b32 s0, s0
	v_pk_add_f32 v[8:9], v[10:11], v[8:9]
	v_lshl_add_u32 v1, v0, 2, 0x120
	v_lshlrev_b32_e32 v10, 9, v83
	s_xor_b32 exec_lo, exec_lo, s0
	s_cbranch_execz .LBB339_1051
; %bb.1050:
	s_delay_alu instid0(VALU_DEP_1) | instskip(NEXT) | instid1(VALU_DEP_1)
	v_add_nc_u32_e32 v11, v1, v10
	v_add_nc_u32_e32 v12, 0xfffffc00, v11
	;; [unrolled: 1-line block ×9, first 2 shown]
	ds_store_b32 v12, v6
	ds_store_b32 v13, v7
	;; [unrolled: 1-line block ×8, first 2 shown]
.LBB339_1051:
	s_or_b32 exec_lo, exec_lo, s0
	v_lshlrev_b32_e32 v0, 2, v0
	s_mov_b32 s1, exec_lo
	v_cmp_eq_u32_e32 vcc_lo, 0, v23
	s_wait_dscnt 0x0
	s_barrier_signal -1
	v_add3_u32 v0, 0x120, v10, v0
	s_barrier_wait -1
	v_cmpx_gt_u32_e32 64, v22
	s_cbranch_execz .LBB339_1062
; %bb.1052:
	s_and_saveexec_b32 s0, vcc_lo
	s_cbranch_execnz .LBB339_1078
; %bb.1053:
	s_or_b32 exec_lo, exec_lo, s0
	s_and_saveexec_b32 s0, vcc_lo
	s_cbranch_execnz .LBB339_1079
.LBB339_1054:
	s_or_b32 exec_lo, exec_lo, s0
	s_and_saveexec_b32 s0, vcc_lo
	s_cbranch_execnz .LBB339_1080
.LBB339_1055:
	s_or_b32 exec_lo, exec_lo, s0
	s_and_saveexec_b32 s0, vcc_lo
	s_cbranch_execnz .LBB339_1081
.LBB339_1056:
	s_or_b32 exec_lo, exec_lo, s0
	s_and_saveexec_b32 s0, vcc_lo
	s_cbranch_execnz .LBB339_1082
.LBB339_1057:
	s_or_b32 exec_lo, exec_lo, s0
	s_and_saveexec_b32 s0, vcc_lo
	s_cbranch_execnz .LBB339_1083
.LBB339_1058:
	s_or_b32 exec_lo, exec_lo, s0
	s_and_saveexec_b32 s0, vcc_lo
	s_cbranch_execnz .LBB339_1084
.LBB339_1059:
	s_or_b32 exec_lo, exec_lo, s0
	s_and_saveexec_b32 s0, vcc_lo
	s_cbranch_execz .LBB339_1061
.LBB339_1060:
	ds_load_b32 v10, v0 offset:448
	s_wait_dscnt 0x0
	v_add_f32_e32 v9, v9, v10
.LBB339_1061:
	s_or_b32 exec_lo, exec_lo, s0
.LBB339_1062:
	s_delay_alu instid0(SALU_CYCLE_1) | instskip(SKIP_4) | instid1(VALU_DEP_1)
	s_or_b32 exec_lo, exec_lo, s1
	v_and_b32_e32 v10, 0x3e1, v22
	s_mov_b32 s1, exec_lo
	s_barrier_signal -1
	s_barrier_wait -1
	v_cmpx_eq_u32_e32 32, v10
	s_cbranch_execz .LBB339_1064
; %bb.1063:
	ds_store_2addr_b32 v1, v6, v7 offset1:16
	ds_store_2addr_b32 v1, v4, v5 offset0:32 offset1:48
	ds_store_2addr_b32 v1, v2, v3 offset0:64 offset1:80
	;; [unrolled: 1-line block ×3, first 2 shown]
.LBB339_1064:
	s_or_b32 exec_lo, exec_lo, s1
	s_wait_dscnt 0x0
	s_barrier_signal -1
	s_barrier_wait -1
	s_and_saveexec_b32 s0, s2
	s_cbranch_execz .LBB339_1075
; %bb.1065:
	s_and_saveexec_b32 s1, vcc_lo
	s_cbranch_execnz .LBB339_1085
; %bb.1066:
	s_or_b32 exec_lo, exec_lo, s1
	s_and_saveexec_b32 s1, vcc_lo
	s_cbranch_execnz .LBB339_1086
.LBB339_1067:
	s_or_b32 exec_lo, exec_lo, s1
	s_and_saveexec_b32 s1, vcc_lo
	s_cbranch_execnz .LBB339_1087
.LBB339_1068:
	s_or_b32 exec_lo, exec_lo, s1
	s_and_saveexec_b32 s1, vcc_lo
	s_cbranch_execnz .LBB339_1088
.LBB339_1069:
	s_or_b32 exec_lo, exec_lo, s1
	s_and_saveexec_b32 s1, vcc_lo
	s_cbranch_execnz .LBB339_1089
.LBB339_1070:
	s_or_b32 exec_lo, exec_lo, s1
	s_and_saveexec_b32 s1, vcc_lo
	s_cbranch_execnz .LBB339_1090
.LBB339_1071:
	s_or_b32 exec_lo, exec_lo, s1
	s_and_saveexec_b32 s1, vcc_lo
	s_cbranch_execnz .LBB339_1091
.LBB339_1072:
	s_or_b32 exec_lo, exec_lo, s1
	s_and_saveexec_b32 s1, vcc_lo
	s_cbranch_execz .LBB339_1074
.LBB339_1073:
	ds_load_b32 v0, v0 offset:448
	s_wait_dscnt 0x0
	v_add_f32_e32 v9, v9, v0
.LBB339_1074:
	s_or_b32 exec_lo, exec_lo, s1
.LBB339_1075:
	s_delay_alu instid0(SALU_CYCLE_1)
	s_or_b32 exec_lo, exec_lo, s0
	s_mov_b32 s1, 0
	s_barrier_signal -1
	s_barrier_wait -1
	s_mov_b32 s0, exec_lo
	v_cmpx_eq_u32_e32 0, v10
	s_cbranch_execz .LBB339_1077
; %bb.1076:
	s_mul_i32 s0, s24, s8
	s_mul_i32 s2, s8, s12
	;; [unrolled: 1-line block ×3, first 2 shown]
	s_lshr_b32 s6, ttmp7, 16
	s_lshl_b32 s4, s0, 7
	s_bfe_u32 s0, ttmp6, 0x40014
	s_ashr_i32 s5, s4, 31
	s_add_co_i32 s0, s0, 1
	s_ashr_i32 s3, s2, 31
	s_mul_i32 s0, s6, s0
	s_bfe_u32 s7, ttmp6, 0x40008
	s_lshl_b64 s[4:5], s[4:5], 1
	s_lshl_b64 s[2:3], s[2:3], 1
	s_add_co_i32 s7, s7, s0
	s_cmp_eq_u32 s22, 0
	s_add_nc_u64 s[4:5], s[10:11], s[4:5]
	s_cselect_b32 s0, s6, s7
	s_add_nc_u64 s[2:3], s[4:5], s[2:3]
	s_lshl_b32 s0, s0, 8
	s_delay_alu instid0(SALU_CYCLE_1) | instskip(NEXT) | instid1(SALU_CYCLE_1)
	s_add_nc_u64 s[0:1], s[2:3], s[0:1]
	v_cvt_pk_bf16_f32 v0, v6, s0
	v_cvt_pk_bf16_f32 v6, v8, s0
	scratch_load_b32 v8, off, off offset:64 th:TH_LOAD_LU ; 4-byte Folded Reload
	v_cvt_pk_bf16_f32 v1, v7, s0
	v_cvt_pk_bf16_f32 v4, v4, s0
	;; [unrolled: 1-line block ×6, first 2 shown]
	s_wait_loadcnt 0x0
	s_clause 0x7
	global_store_b16 v8, v0, s[0:1] scale_offset
	global_store_b16 v8, v1, s[0:1] offset:32 scale_offset
	global_store_b16 v8, v4, s[0:1] offset:64 scale_offset
	;; [unrolled: 1-line block ×7, first 2 shown]
.LBB339_1077:
	s_sendmsg sendmsg(MSG_DEALLOC_VGPRS)
	s_endpgm
.LBB339_1078:
	ds_load_b32 v10, v0
	s_wait_dscnt 0x0
	v_add_f32_e32 v6, v6, v10
	s_or_b32 exec_lo, exec_lo, s0
	s_and_saveexec_b32 s0, vcc_lo
	s_cbranch_execz .LBB339_1054
.LBB339_1079:
	ds_load_b32 v10, v0 offset:64
	s_wait_dscnt 0x0
	v_add_f32_e32 v7, v7, v10
	s_or_b32 exec_lo, exec_lo, s0
	s_and_saveexec_b32 s0, vcc_lo
	s_cbranch_execz .LBB339_1055
.LBB339_1080:
	ds_load_b32 v10, v0 offset:128
	s_wait_dscnt 0x0
	v_add_f32_e32 v4, v4, v10
	s_or_b32 exec_lo, exec_lo, s0
	s_and_saveexec_b32 s0, vcc_lo
	s_cbranch_execz .LBB339_1056
.LBB339_1081:
	ds_load_b32 v10, v0 offset:192
	s_wait_dscnt 0x0
	v_add_f32_e32 v5, v5, v10
	s_or_b32 exec_lo, exec_lo, s0
	s_and_saveexec_b32 s0, vcc_lo
	s_cbranch_execz .LBB339_1057
.LBB339_1082:
	ds_load_b32 v10, v0 offset:256
	s_wait_dscnt 0x0
	v_add_f32_e32 v2, v2, v10
	s_or_b32 exec_lo, exec_lo, s0
	s_and_saveexec_b32 s0, vcc_lo
	s_cbranch_execz .LBB339_1058
.LBB339_1083:
	ds_load_b32 v10, v0 offset:320
	s_wait_dscnt 0x0
	v_add_f32_e32 v3, v3, v10
	s_or_b32 exec_lo, exec_lo, s0
	s_and_saveexec_b32 s0, vcc_lo
	s_cbranch_execz .LBB339_1059
.LBB339_1084:
	ds_load_b32 v10, v0 offset:384
	s_wait_dscnt 0x0
	v_add_f32_e32 v8, v8, v10
	s_or_b32 exec_lo, exec_lo, s0
	s_and_saveexec_b32 s0, vcc_lo
	s_cbranch_execnz .LBB339_1060
	s_branch .LBB339_1061
.LBB339_1085:
	ds_load_b32 v1, v0
	s_wait_dscnt 0x0
	v_add_f32_e32 v6, v6, v1
	s_or_b32 exec_lo, exec_lo, s1
	s_and_saveexec_b32 s1, vcc_lo
	s_cbranch_execz .LBB339_1067
.LBB339_1086:
	ds_load_b32 v1, v0 offset:64
	s_wait_dscnt 0x0
	v_add_f32_e32 v7, v7, v1
	s_or_b32 exec_lo, exec_lo, s1
	s_and_saveexec_b32 s1, vcc_lo
	s_cbranch_execz .LBB339_1068
.LBB339_1087:
	ds_load_b32 v1, v0 offset:128
	s_wait_dscnt 0x0
	v_add_f32_e32 v4, v4, v1
	s_or_b32 exec_lo, exec_lo, s1
	s_and_saveexec_b32 s1, vcc_lo
	s_cbranch_execz .LBB339_1069
.LBB339_1088:
	ds_load_b32 v1, v0 offset:192
	s_wait_dscnt 0x0
	v_add_f32_e32 v5, v5, v1
	s_or_b32 exec_lo, exec_lo, s1
	s_and_saveexec_b32 s1, vcc_lo
	s_cbranch_execz .LBB339_1070
.LBB339_1089:
	ds_load_b32 v1, v0 offset:256
	s_wait_dscnt 0x0
	v_add_f32_e32 v2, v2, v1
	s_or_b32 exec_lo, exec_lo, s1
	s_and_saveexec_b32 s1, vcc_lo
	s_cbranch_execz .LBB339_1071
.LBB339_1090:
	ds_load_b32 v1, v0 offset:320
	s_wait_dscnt 0x0
	v_add_f32_e32 v3, v3, v1
	s_or_b32 exec_lo, exec_lo, s1
	s_and_saveexec_b32 s1, vcc_lo
	s_cbranch_execz .LBB339_1072
.LBB339_1091:
	ds_load_b32 v1, v0 offset:384
	s_wait_dscnt 0x0
	v_add_f32_e32 v8, v8, v1
	s_or_b32 exec_lo, exec_lo, s1
	s_and_saveexec_b32 s1, vcc_lo
	s_cbranch_execnz .LBB339_1073
	s_branch .LBB339_1074
	.section	.rodata,"a",@progbits
	.p2align	6, 0x0
	.amdhsa_kernel _ZN4vllm25paged_attention_v1_kernelI14__hip_bfloat16hLi128ELi16ELi128ELNS_18Fp8KVCacheDataTypeE1ELb0EEEvPT_PKS3_PKT0_S9_ifPKiSB_iPKfiiiSD_SD_iiiii
		.amdhsa_group_segment_fixed_size 288
		.amdhsa_private_segment_fixed_size 92
		.amdhsa_kernarg_size 384
		.amdhsa_user_sgpr_count 2
		.amdhsa_user_sgpr_dispatch_ptr 0
		.amdhsa_user_sgpr_queue_ptr 0
		.amdhsa_user_sgpr_kernarg_segment_ptr 1
		.amdhsa_user_sgpr_dispatch_id 0
		.amdhsa_user_sgpr_kernarg_preload_length 0
		.amdhsa_user_sgpr_kernarg_preload_offset 0
		.amdhsa_user_sgpr_private_segment_size 0
		.amdhsa_wavefront_size32 1
		.amdhsa_uses_dynamic_stack 0
		.amdhsa_enable_private_segment 1
		.amdhsa_system_sgpr_workgroup_id_x 1
		.amdhsa_system_sgpr_workgroup_id_y 1
		.amdhsa_system_sgpr_workgroup_id_z 1
		.amdhsa_system_sgpr_workgroup_info 0
		.amdhsa_system_vgpr_workitem_id 0
		.amdhsa_next_free_vgpr 128
		.amdhsa_next_free_sgpr 32
		.amdhsa_named_barrier_count 0
		.amdhsa_reserve_vcc 1
		.amdhsa_float_round_mode_32 0
		.amdhsa_float_round_mode_16_64 0
		.amdhsa_float_denorm_mode_32 3
		.amdhsa_float_denorm_mode_16_64 3
		.amdhsa_fp16_overflow 0
		.amdhsa_memory_ordered 1
		.amdhsa_forward_progress 1
		.amdhsa_inst_pref_size 255
		.amdhsa_round_robin_scheduling 0
		.amdhsa_exception_fp_ieee_invalid_op 0
		.amdhsa_exception_fp_denorm_src 0
		.amdhsa_exception_fp_ieee_div_zero 0
		.amdhsa_exception_fp_ieee_overflow 0
		.amdhsa_exception_fp_ieee_underflow 0
		.amdhsa_exception_fp_ieee_inexact 0
		.amdhsa_exception_int_div_zero 0
	.end_amdhsa_kernel
	.section	.text._ZN4vllm25paged_attention_v1_kernelI14__hip_bfloat16hLi128ELi16ELi128ELNS_18Fp8KVCacheDataTypeE1ELb0EEEvPT_PKS3_PKT0_S9_ifPKiSB_iPKfiiiSD_SD_iiiii,"axG",@progbits,_ZN4vllm25paged_attention_v1_kernelI14__hip_bfloat16hLi128ELi16ELi128ELNS_18Fp8KVCacheDataTypeE1ELb0EEEvPT_PKS3_PKT0_S9_ifPKiSB_iPKfiiiSD_SD_iiiii,comdat
.Lfunc_end339:
	.size	_ZN4vllm25paged_attention_v1_kernelI14__hip_bfloat16hLi128ELi16ELi128ELNS_18Fp8KVCacheDataTypeE1ELb0EEEvPT_PKS3_PKT0_S9_ifPKiSB_iPKfiiiSD_SD_iiiii, .Lfunc_end339-_ZN4vllm25paged_attention_v1_kernelI14__hip_bfloat16hLi128ELi16ELi128ELNS_18Fp8KVCacheDataTypeE1ELb0EEEvPT_PKS3_PKT0_S9_ifPKiSB_iPKfiiiSD_SD_iiiii
                                        ; -- End function
	.set _ZN4vllm25paged_attention_v1_kernelI14__hip_bfloat16hLi128ELi16ELi128ELNS_18Fp8KVCacheDataTypeE1ELb0EEEvPT_PKS3_PKT0_S9_ifPKiSB_iPKfiiiSD_SD_iiiii.num_vgpr, 128
	.set _ZN4vllm25paged_attention_v1_kernelI14__hip_bfloat16hLi128ELi16ELi128ELNS_18Fp8KVCacheDataTypeE1ELb0EEEvPT_PKS3_PKT0_S9_ifPKiSB_iPKfiiiSD_SD_iiiii.num_agpr, 0
	.set _ZN4vllm25paged_attention_v1_kernelI14__hip_bfloat16hLi128ELi16ELi128ELNS_18Fp8KVCacheDataTypeE1ELb0EEEvPT_PKS3_PKT0_S9_ifPKiSB_iPKfiiiSD_SD_iiiii.numbered_sgpr, 32
	.set _ZN4vllm25paged_attention_v1_kernelI14__hip_bfloat16hLi128ELi16ELi128ELNS_18Fp8KVCacheDataTypeE1ELb0EEEvPT_PKS3_PKT0_S9_ifPKiSB_iPKfiiiSD_SD_iiiii.num_named_barrier, 0
	.set _ZN4vllm25paged_attention_v1_kernelI14__hip_bfloat16hLi128ELi16ELi128ELNS_18Fp8KVCacheDataTypeE1ELb0EEEvPT_PKS3_PKT0_S9_ifPKiSB_iPKfiiiSD_SD_iiiii.private_seg_size, 92
	.set _ZN4vllm25paged_attention_v1_kernelI14__hip_bfloat16hLi128ELi16ELi128ELNS_18Fp8KVCacheDataTypeE1ELb0EEEvPT_PKS3_PKT0_S9_ifPKiSB_iPKfiiiSD_SD_iiiii.uses_vcc, 1
	.set _ZN4vllm25paged_attention_v1_kernelI14__hip_bfloat16hLi128ELi16ELi128ELNS_18Fp8KVCacheDataTypeE1ELb0EEEvPT_PKS3_PKT0_S9_ifPKiSB_iPKfiiiSD_SD_iiiii.uses_flat_scratch, 1
	.set _ZN4vllm25paged_attention_v1_kernelI14__hip_bfloat16hLi128ELi16ELi128ELNS_18Fp8KVCacheDataTypeE1ELb0EEEvPT_PKS3_PKT0_S9_ifPKiSB_iPKfiiiSD_SD_iiiii.has_dyn_sized_stack, 0
	.set _ZN4vllm25paged_attention_v1_kernelI14__hip_bfloat16hLi128ELi16ELi128ELNS_18Fp8KVCacheDataTypeE1ELb0EEEvPT_PKS3_PKT0_S9_ifPKiSB_iPKfiiiSD_SD_iiiii.has_recursion, 0
	.set _ZN4vllm25paged_attention_v1_kernelI14__hip_bfloat16hLi128ELi16ELi128ELNS_18Fp8KVCacheDataTypeE1ELb0EEEvPT_PKS3_PKT0_S9_ifPKiSB_iPKfiiiSD_SD_iiiii.has_indirect_call, 0
	.section	.AMDGPU.csdata,"",@progbits
; Kernel info:
; codeLenInByte = 38164
; TotalNumSgprs: 34
; NumVgprs: 128
; ScratchSize: 92
; MemoryBound: 0
; FloatMode: 240
; IeeeMode: 1
; LDSByteSize: 288 bytes/workgroup (compile time only)
; SGPRBlocks: 0
; VGPRBlocks: 7
; NumSGPRsForWavesPerEU: 34
; NumVGPRsForWavesPerEU: 128
; NamedBarCnt: 0
; Occupancy: 8
; WaveLimiterHint : 1
; COMPUTE_PGM_RSRC2:SCRATCH_EN: 1
; COMPUTE_PGM_RSRC2:USER_SGPR: 2
; COMPUTE_PGM_RSRC2:TRAP_HANDLER: 0
; COMPUTE_PGM_RSRC2:TGID_X_EN: 1
; COMPUTE_PGM_RSRC2:TGID_Y_EN: 1
; COMPUTE_PGM_RSRC2:TGID_Z_EN: 1
; COMPUTE_PGM_RSRC2:TIDIG_COMP_CNT: 0
	.text
	.p2align	2                               ; -- Begin function _ZN4vllm22paged_attention_kernelI14__hip_bfloat16hLi192ELi16ELi128ELNS_18Fp8KVCacheDataTypeE1ELb0ELi0EEEvPfS3_PT_PKS4_PKT0_SA_ifPKiSC_iPKfiiiSE_SE_iiiii
	.type	_ZN4vllm22paged_attention_kernelI14__hip_bfloat16hLi192ELi16ELi128ELNS_18Fp8KVCacheDataTypeE1ELb0ELi0EEEvPfS3_PT_PKS4_PKT0_SA_ifPKiSC_iPKfiiiSE_SE_iiiii,@function
_ZN4vllm22paged_attention_kernelI14__hip_bfloat16hLi192ELi16ELi128ELNS_18Fp8KVCacheDataTypeE1ELb0ELi0EEEvPfS3_PT_PKS4_PKT0_SA_ifPKiSC_iPKfiiiSE_SE_iiiii: ; @_ZN4vllm22paged_attention_kernelI14__hip_bfloat16hLi192ELi16ELi128ELNS_18Fp8KVCacheDataTypeE1ELb0ELi0EEEvPfS3_PT_PKS4_PKT0_SA_ifPKiSC_iPKfiiiSE_SE_iiiii
; %bb.0:
	s_wait_loadcnt_dscnt 0x0
	s_wait_kmcnt 0x0
	s_clause 0x2f
	scratch_store_b32 off, v40, s32 offset:188
	; meta instruction
	scratch_store_b32 off, v41, s32 offset:184
	; meta instruction
	;; [unrolled: 2-line block ×47, first 2 shown]
	scratch_store_b32 off, v127, s32
	v_dual_mov_b32 v28, v6 :: v_dual_mov_b32 v27, 0
	s_clause 0x1
	scratch_store_b64 off, v[18:19], s32 offset:228
	scratch_store_b64 off, v[10:11], s32 offset:580
	s_bfe_u32 s0, ttmp6, 0x4000c
	s_bfe_u32 s2, ttmp6, 0x40010
	s_add_co_i32 s0, s0, 1
	global_load_u16 v6, v27, s[8:9] offset:22
	s_and_b32 s1, ttmp6, 15
	s_mul_i32 s0, ttmp9, s0
	s_and_b32 s3, ttmp7, 0xffff
	s_add_co_i32 s2, s2, 1
	s_add_co_i32 s0, s1, s0
	s_mul_i32 s1, s3, s2
	s_bfe_u32 s2, ttmp6, 0x40004
	s_getreg_b32 s12, hwreg(HW_REG_IB_STS2, 6, 4)
	s_add_co_i32 s2, s2, s1
	s_cmp_eq_u32 s12, 0
	s_mov_b32 s1, 0
	s_cselect_b32 s13, s3, s2
	s_cselect_b32 s2, ttmp9, s0
	s_lshl_b32 s0, s13, 2
	scratch_store_b64 off, v[0:1], s32 offset:596 ; 8-byte Folded Spill
	s_wait_xcnt 0x0
	v_add_nc_u64_e32 v[0:1], s[0:1], v[12:13]
	v_dual_mov_b32 v121, v9 :: v_dual_mov_b32 v29, v7
	s_clause 0x1
	s_load_u16 s0, s[8:9], 0x12
	s_load_b32 s3, s[8:9], 0x0
	s_mov_b32 s6, s15
	v_dual_mov_b32 v25, v16 :: v_dual_mov_b32 v24, v15
	flat_load_b32 v48, v[0:1]
	s_wait_xcnt 0x0
	v_sub_nc_u32_e32 v0, 0, v8
	s_mov_b32 s4, exec_lo
	s_delay_alu instid0(VALU_DEP_1) | instskip(NEXT) | instid1(VALU_DEP_1)
	v_max_i32_e32 v0, v8, v0
	v_cvt_f32_u32_e32 v1, v0
	v_sub_nc_u32_e32 v7, 0, v0
	s_wait_kmcnt 0x0
	s_cmp_lg_u32 s0, 0
	s_delay_alu instid0(VALU_DEP_2) | instskip(SKIP_1) | instid1(SALU_CYCLE_1)
	v_rcp_iflag_f32_e32 v1, v1
	s_cselect_b32 s0, -1, 0
	s_cmp_lg_u32 s0, 0
	s_add_co_ci_u32 s14, s3, 0
	v_nop
	s_delay_alu instid0(TRANS32_DEP_1) | instskip(SKIP_1) | instid1(VALU_DEP_1)
	v_mul_f32_e32 v1, 0x4f7ffffe, v1
	s_abs_i32 s0, s14
	v_cvt_u32_f32_e32 v1, v1
	s_delay_alu instid0(VALU_DEP_1) | instskip(NEXT) | instid1(VALU_DEP_1)
	v_mul_lo_u32 v7, v7, v1
	v_mul_hi_u32 v7, v1, v7
	s_delay_alu instid0(VALU_DEP_1) | instskip(NEXT) | instid1(VALU_DEP_1)
	v_add_nc_u32_e32 v1, v1, v7
	v_mul_hi_u32 v1, s0, v1
	s_delay_alu instid0(VALU_DEP_1) | instskip(NEXT) | instid1(VALU_DEP_1)
	v_mul_lo_u32 v7, v1, v0
	v_dual_add_nc_u32 v9, 1, v1 :: v_dual_sub_nc_u32 v7, s0, v7
	s_abs_i32 s0, s2
	s_delay_alu instid0(VALU_DEP_1) | instskip(NEXT) | instid1(VALU_DEP_2)
	v_cmp_ge_u32_e32 vcc_lo, v7, v0
	v_dual_cndmask_b32 v1, v1, v9 :: v_dual_sub_nc_u32 v10, v7, v0
	s_delay_alu instid0(VALU_DEP_1) | instskip(NEXT) | instid1(VALU_DEP_2)
	v_dual_add_nc_u32 v9, 1, v1 :: v_dual_bitop2_b32 v8, s14, v8 bitop3:0x14
	v_cndmask_b32_e32 v7, v7, v10, vcc_lo
	s_delay_alu instid0(VALU_DEP_1) | instskip(NEXT) | instid1(VALU_DEP_3)
	v_cmp_ge_u32_e32 vcc_lo, v7, v0
	v_dual_ashrrev_i32 v8, 31, v8 :: v_dual_cndmask_b32 v0, v1, v9, vcc_lo
	s_delay_alu instid0(VALU_DEP_1) | instskip(NEXT) | instid1(VALU_DEP_1)
	v_xor_b32_e32 v0, v0, v8
	v_sub_nc_u32_e32 v1, v0, v8
	s_wait_loadcnt 0x1
	v_readfirstlane_b32 s15, v6
	s_delay_alu instid0(VALU_DEP_2) | instskip(SKIP_2) | instid1(VALU_DEP_1)
	v_dual_mov_b32 v6, v27 :: v_dual_sub_nc_u32 v0, 0, v1
	scratch_store_b32 off, v6, s32 offset:560 ; 4-byte Folded Spill
	v_max_i32_e32 v0, v1, v0
	v_cvt_f32_u32_e32 v7, v0
	v_sub_nc_u32_e32 v8, 0, v0
	s_delay_alu instid0(VALU_DEP_2) | instskip(SKIP_1) | instid1(TRANS32_DEP_1)
	v_rcp_iflag_f32_e32 v7, v7
	v_nop
	v_mul_f32_e32 v7, 0x4f7ffffe, v7
	s_delay_alu instid0(VALU_DEP_1) | instskip(NEXT) | instid1(VALU_DEP_1)
	v_cvt_u32_f32_e32 v7, v7
	v_mul_lo_u32 v8, v8, v7
	s_delay_alu instid0(VALU_DEP_1) | instskip(NEXT) | instid1(VALU_DEP_1)
	v_mul_hi_u32 v8, v7, v8
	v_add_nc_u32_e32 v26, v7, v8
	s_wait_xcnt 0x0
	v_cmpx_ne_u64_e32 0, v[24:25]
	s_cbranch_execz .LBB340_2
; %bb.1:
	s_ashr_i32 s3, s2, 31
	s_delay_alu instid0(SALU_CYCLE_1)
	v_lshl_add_u64 v[6:7], s[2:3], 2, v[24:25]
	flat_load_b32 v6, v[6:7]
	s_wait_loadcnt_dscnt 0x0
	scratch_store_b32 off, v6, s32 offset:560 ; 4-byte Folded Spill
.LBB340_2:
	s_wait_xcnt 0x0
	s_or_b32 exec_lo, exec_lo, s4
	v_mul_u64_e32 v[12:13], s[0:1], v[26:27]
	v_and_b32_e32 v18, 0x3ff, v31
	v_bfe_u32 v6, v31, 1, 9
	v_ashrrev_i32_e32 v1, 31, v1
	s_ashr_i32 s1, s2, 31
	s_mul_i32 s4, s2, 0xc0
	v_lshlrev_b32_e32 v32, 3, v18
	scratch_store_b32 off, v6, s32 offset:576 ; 4-byte Folded Spill
	s_wait_xcnt 0x0
	v_and_b32_e32 v6, 1, v31
	s_mov_b32 s2, exec_lo
	scratch_store_b32 off, v6, s32 offset:572 ; 4-byte Folded Spill
	s_wait_xcnt 0x0
	v_cmpx_gt_u32_e32 48, v18
	s_cbranch_execz .LBB340_4
; %bb.3:
	v_mul_lo_u32 v6, v17, s13
	s_ashr_i32 s5, s4, 31
	s_delay_alu instid0(VALU_DEP_1) | instskip(NEXT) | instid1(VALU_DEP_1)
	v_dual_mov_b32 v33, 0 :: v_dual_ashrrev_i32 v7, 31, v6
	v_lshl_add_u64 v[2:3], v[6:7], 1, v[2:3]
	s_delay_alu instid0(VALU_DEP_1) | instskip(NEXT) | instid1(VALU_DEP_1)
	v_lshl_add_u64 v[2:3], s[4:5], 1, v[2:3]
	v_add_nc_u64_e32 v[2:3], v[2:3], v[32:33]
	flat_load_b64 v[2:3], v[2:3]
	s_clause 0x1
	scratch_load_b32 v6, off, s32 offset:576
	scratch_load_b32 v7, off, s32 offset:572
	s_wait_loadcnt 0x1
	v_lshlrev_b32_e32 v6, 3, v6
	s_wait_loadcnt 0x0
	s_delay_alu instid0(VALU_DEP_1)
	v_mad_u32_u24 v6, 0xc0, v7, v6
	s_wait_dscnt 0x0
	ds_store_b64 v6, v[2:3]
.LBB340_4:
	s_wait_xcnt 0x0
	s_or_b32 exec_lo, exec_lo, s2
	v_mul_lo_u32 v2, v13, v0
	s_wait_loadcnt_dscnt 0x0
	v_add_nc_u32_e32 v3, 15, v48
	v_mul_lo_u32 v10, v14, s13
	v_mbcnt_lo_u32_b32 v37, -1, 0
	s_delay_alu instid0(VALU_DEP_4) | instskip(NEXT) | instid1(VALU_DEP_4)
	v_dual_sub_nc_u32 v2, s0, v2 :: v_dual_bitop2_b32 v1, s1, v1 bitop3:0x14
	v_dual_add_nc_u32 v6, 1, v13 :: v_dual_ashrrev_i32 v7, 31, v3
	s_delay_alu instid0(VALU_DEP_4) | instskip(NEXT) | instid1(VALU_DEP_3)
	v_ashrrev_i32_e32 v11, 31, v10
	v_cmp_ge_u32_e32 vcc_lo, v2, v0
	s_delay_alu instid0(VALU_DEP_3) | instskip(NEXT) | instid1(VALU_DEP_1)
	v_dual_sub_nc_u32 v8, v2, v0 :: v_dual_cndmask_b32 v6, v13, v6, vcc_lo
	v_dual_cndmask_b32 v2, v2, v8 :: v_dual_lshrrev_b32 v7, 28, v7
	s_delay_alu instid0(VALU_DEP_2) | instskip(NEXT) | instid1(VALU_DEP_2)
	v_add_nc_u32_e32 v8, 1, v6
	v_cmp_ge_u32_e32 vcc_lo, v2, v0
	s_delay_alu instid0(VALU_DEP_2) | instskip(NEXT) | instid1(VALU_DEP_1)
	v_dual_cndmask_b32 v0, v6, v8 :: v_dual_add_nc_u32 v3, v3, v7
	v_dual_lshrrev_b32 v2, 5, v18 :: v_dual_ashrrev_i32 v3, 4, v3
	s_clause 0x2
	scratch_store_b64 off, v[10:11], s32 offset:588
	scratch_store_b32 off, v2, s32 offset:568
	scratch_store_b32 off, v3, s32 offset:192
	v_xor_b32_e32 v0, v0, v1
	v_cmp_ge_i32_e64 s0, v2, v3
	s_wait_storecnt 0x0
	s_barrier_signal -1
	s_barrier_wait -1
	v_sub_nc_u32_e32 v1, v0, v1
                                        ; implicit-def: $vgpr0
                                        ; implicit-def: $vgpr10
	s_wait_xcnt 0x0
	s_and_saveexec_b32 s1, s0
	s_delay_alu instid0(SALU_CYCLE_1)
	s_xor_b32 s1, exec_lo, s1
; %bb.5:
	v_dual_mov_b32 v0, 0 :: v_dual_mov_b32 v10, 32
	v_mbcnt_lo_u32_b32 v37, -1, 0
                                        ; implicit-def: $vgpr2
                                        ; kill: killed $vgpr2
                                        ; implicit-def: $vgpr121
                                        ; implicit-def: $vgpr4
                                        ; implicit-def: $vgpr20
; %bb.6:
	s_or_saveexec_b32 s3, s1
	s_load_b32 s5, s[8:9], 0x8
	v_mul_lo_u32 v34, v1, v19
	v_mov_b32_e32 v1, 0xff7fffff
	v_lshrrev_b32_e32 v33, 3, v18
	s_wait_xcnt 0x0
	s_get_pc_i64 s[8:9]
	s_add_nc_u64 s[8:9], s[8:9], llvm.amdgcn.dynlds.offset.table@rel64+4
	scratch_store_b32 off, v18, s32 offset:564 ; 4-byte Folded Spill
	v_ashrrev_i32_e32 v35, 31, v34
	s_wait_xcnt 0x0
	s_xor_b32 exec_lo, exec_lo, s3
	s_cbranch_execz .LBB340_780
; %bb.7:
	s_clause 0x3
	scratch_store_b64 off, v[32:33], s32 offset:620
	scratch_store_b64 off, v[28:29], s32 offset:612
	;; [unrolled: 1-line block ×3, first 2 shown]
	scratch_load_b32 v31, off, s32 offset:572
	v_add_nc_u64_e32 v[4:5], v[4:5], v[34:35]
	s_ashr_i32 s7, s6, 31
	s_delay_alu instid0(SALU_CYCLE_1)
	s_lshl_b64 s[10:11], s[6:7], 2
	s_mov_b32 s7, 0
	s_add_nc_u64 s[10:11], s[8:9], s[10:11]
	s_wait_loadcnt 0x0
	v_mul_u32_u24_e32 v0, 0xc0, v31
	ds_load_b128 v[6:9], v0
	ds_load_b128 v[10:13], v0 offset:16
	ds_load_b128 v[14:17], v0 offset:32
	v_mov_b32_e32 v30, v18
	s_wait_xcnt 0x1
	ds_load_b128 v[22:25], v0 offset:48
	ds_load_b128 v[26:29], v0 offset:64
	s_clause 0x2
	scratch_store_b32 off, v33, s32 offset:628
	scratch_store_b64 off, v[34:35], s32 offset:632
	scratch_store_b32 off, v37, s32 offset:640
	s_wait_dscnt 0x4
	v_lshlrev_b32_e32 v1, 16, v6
	scratch_store_b32 off, v1, s32 offset:196 ; 4-byte Folded Spill
	s_wait_xcnt 0x0
	v_and_b32_e32 v1, 0xffff0000, v6
	scratch_store_b32 off, v1, s32 offset:200 ; 4-byte Folded Spill
	s_wait_xcnt 0x0
	v_lshlrev_b32_e32 v1, 16, v7
	scratch_store_b32 off, v1, s32 offset:204 ; 4-byte Folded Spill
	s_wait_xcnt 0x0
	v_and_b32_e32 v1, 0xffff0000, v7
	scratch_store_b32 off, v1, s32 offset:208 ; 4-byte Folded Spill
	s_wait_xcnt 0x0
	;; [unrolled: 6-line block ×3, first 2 shown]
	v_lshlrev_b32_e32 v1, 16, v9
	scratch_store_b32 off, v1, s32 offset:220 ; 4-byte Folded Spill
	s_wait_xcnt 0x0
	v_and_b32_e32 v1, 0xffff0000, v9
	ds_load_b128 v[6:9], v0 offset:96
	scratch_store_b32 off, v1, s32 offset:224 ; 4-byte Folded Spill
	s_wait_dscnt 0x4
	s_wait_xcnt 0x0
	v_lshlrev_b32_e32 v1, 16, v10
	scratch_store_b32 off, v1, s32 offset:236 ; 4-byte Folded Spill
	s_wait_xcnt 0x0
	v_and_b32_e32 v1, 0xffff0000, v10
	scratch_store_b32 off, v1, s32 offset:252 ; 4-byte Folded Spill
	s_wait_xcnt 0x0
	v_lshlrev_b32_e32 v1, 16, v11
	scratch_store_b32 off, v1, s32 offset:260 ; 4-byte Folded Spill
	s_wait_xcnt 0x0
	v_and_b32_e32 v1, 0xffff0000, v11
	scratch_store_b32 off, v1, s32 offset:264 ; 4-byte Folded Spill
	;; [unrolled: 6-line block ×4, first 2 shown]
	s_wait_dscnt 0x3
	s_wait_xcnt 0x0
	v_lshlrev_b32_e32 v1, 16, v14
	scratch_store_b32 off, v1, s32 offset:284 ; 4-byte Folded Spill
	s_wait_xcnt 0x0
	v_and_b32_e32 v1, 0xffff0000, v14
	scratch_store_b32 off, v1, s32 offset:288 ; 4-byte Folded Spill
	s_wait_xcnt 0x0
	v_lshlrev_b32_e32 v1, 16, v15
	scratch_store_b32 off, v1, s32 offset:292 ; 4-byte Folded Spill
	s_wait_xcnt 0x0
	v_and_b32_e32 v1, 0xffff0000, v15
	ds_load_b128 v[12:15], v0 offset:80
	scratch_store_b32 off, v1, s32 offset:296 ; 4-byte Folded Spill
	s_wait_xcnt 0x0
	v_lshlrev_b32_e32 v1, 16, v16
	scratch_store_b32 off, v1, s32 offset:300 ; 4-byte Folded Spill
	s_wait_xcnt 0x0
	v_and_b32_e32 v1, 0xffff0000, v16
	scratch_store_b32 off, v1, s32 offset:304 ; 4-byte Folded Spill
	s_wait_xcnt 0x0
	v_lshlrev_b32_e32 v1, 16, v17
	scratch_store_b32 off, v1, s32 offset:308 ; 4-byte Folded Spill
	s_wait_xcnt 0x0
	v_and_b32_e32 v1, 0xffff0000, v17
	ds_load_b128 v[16:19], v0 offset:112
	scratch_store_b32 off, v1, s32 offset:312 ; 4-byte Folded Spill
	s_wait_dscnt 0x4
	s_wait_xcnt 0x0
	v_lshlrev_b32_e32 v1, 16, v22
	scratch_store_b32 off, v1, s32 offset:316 ; 4-byte Folded Spill
	s_wait_xcnt 0x0
	v_and_b32_e32 v1, 0xffff0000, v22
	scratch_store_b32 off, v1, s32 offset:320 ; 4-byte Folded Spill
	s_wait_xcnt 0x0
	v_lshlrev_b32_e32 v1, 16, v23
	scratch_store_b32 off, v1, s32 offset:324 ; 4-byte Folded Spill
	s_wait_xcnt 0x0
	v_and_b32_e32 v1, 0xffff0000, v23
	scratch_store_b32 off, v1, s32 offset:328 ; 4-byte Folded Spill
	;; [unrolled: 6-line block ×3, first 2 shown]
	s_wait_xcnt 0x0
	v_lshlrev_b32_e32 v1, 16, v25
	scratch_store_b32 off, v1, s32 offset:340 ; 4-byte Folded Spill
	s_wait_xcnt 0x0
	v_and_b32_e32 v1, 0xffff0000, v25
	ds_load_b128 v[22:25], v0 offset:144
	scratch_store_b32 off, v1, s32 offset:344 ; 4-byte Folded Spill
	s_wait_dscnt 0x4
	s_wait_xcnt 0x0
	v_lshlrev_b32_e32 v1, 16, v26
	scratch_store_b32 off, v1, s32 offset:348 ; 4-byte Folded Spill
	s_wait_xcnt 0x0
	v_and_b32_e32 v1, 0xffff0000, v26
	scratch_store_b32 off, v1, s32 offset:352 ; 4-byte Folded Spill
	s_wait_xcnt 0x0
	v_lshlrev_b32_e32 v1, 16, v27
	scratch_store_b32 off, v1, s32 offset:356 ; 4-byte Folded Spill
	s_wait_xcnt 0x0
	v_and_b32_e32 v1, 0xffff0000, v27
	scratch_store_b32 off, v1, s32 offset:360 ; 4-byte Folded Spill
	;; [unrolled: 6-line block ×4, first 2 shown]
	s_wait_dscnt 0x2
	s_wait_xcnt 0x0
	v_lshlrev_b32_e32 v1, 16, v12
	scratch_store_b32 off, v1, s32 offset:380 ; 4-byte Folded Spill
	s_wait_xcnt 0x0
	v_and_b32_e32 v1, 0xffff0000, v12
	scratch_store_b32 off, v1, s32 offset:384 ; 4-byte Folded Spill
	s_wait_xcnt 0x0
	v_lshlrev_b32_e32 v1, 16, v13
	scratch_store_b32 off, v1, s32 offset:388 ; 4-byte Folded Spill
	s_wait_xcnt 0x0
	v_and_b32_e32 v1, 0xffff0000, v13
	ds_load_b128 v[10:13], v0 offset:128
	scratch_store_b32 off, v1, s32 offset:392 ; 4-byte Folded Spill
	s_wait_xcnt 0x0
	v_lshlrev_b32_e32 v1, 16, v14
	scratch_store_b32 off, v1, s32 offset:396 ; 4-byte Folded Spill
	s_wait_xcnt 0x0
	v_and_b32_e32 v1, 0xffff0000, v14
	scratch_store_b32 off, v1, s32 offset:400 ; 4-byte Folded Spill
	s_wait_xcnt 0x0
	v_lshlrev_b32_e32 v1, 16, v15
	scratch_store_b32 off, v1, s32 offset:404 ; 4-byte Folded Spill
	s_wait_xcnt 0x0
	v_and_b32_e32 v1, 0xffff0000, v15
	;; [unrolled: 6-line block ×6, first 2 shown]
	ds_load_b128 v[6:9], v0 offset:160
	scratch_store_b32 off, v1, s32 offset:440 ; 4-byte Folded Spill
	s_wait_dscnt 0x3
	s_wait_xcnt 0x0
	v_lshlrev_b32_e32 v1, 16, v16
	scratch_store_b32 off, v1, s32 offset:444 ; 4-byte Folded Spill
	s_wait_xcnt 0x0
	v_and_b32_e32 v1, 0xffff0000, v16
	scratch_store_b32 off, v1, s32 offset:448 ; 4-byte Folded Spill
	s_wait_xcnt 0x0
	v_lshlrev_b32_e32 v1, 16, v17
	s_wait_dscnt 0x0
	v_lshlrev_b32_e32 v123, 16, v9
	v_and_b32_e32 v124, 0xffff0000, v9
	scratch_store_b32 off, v1, s32 offset:452 ; 4-byte Folded Spill
	s_wait_xcnt 0x0
	v_and_b32_e32 v1, 0xffff0000, v17
	v_bfe_u32 v9, v30, 1, 4
	v_and_b32_e32 v122, 0xffff0000, v8
	scratch_store_b32 off, v1, s32 offset:456 ; 4-byte Folded Spill
	s_wait_xcnt 0x0
	v_lshlrev_b32_e32 v1, 16, v18
	scratch_store_b32 off, v1, s32 offset:460 ; 4-byte Folded Spill
	s_wait_xcnt 0x0
	v_and_b32_e32 v1, 0xffff0000, v18
	scratch_store_b32 off, v1, s32 offset:464 ; 4-byte Folded Spill
	s_wait_xcnt 0x0
	v_lshlrev_b32_e32 v1, 16, v19
	scratch_store_b32 off, v1, s32 offset:468 ; 4-byte Folded Spill
	s_wait_xcnt 0x0
	;; [unrolled: 6-line block ×3, first 2 shown]
	v_and_b32_e32 v1, 0xffff0000, v10
	v_and_b32_e32 v10, 0xffff0000, v12
	s_clause 0x1
	scratch_store_b32 off, v1, s32 offset:480
	scratch_store_b32 off, v10, s32 offset:496
	s_wait_xcnt 0x0
	v_dual_lshlrev_b32 v1, 16, v11 :: v_dual_lshlrev_b32 v10, 16, v13
	s_clause 0x1
	scratch_store_b32 off, v1, s32 offset:484
	scratch_store_b32 off, v10, s32 offset:500
	s_wait_xcnt 0x1
	v_and_b32_e32 v1, 0xffff0000, v11
	s_wait_xcnt 0x0
	v_and_b32_e32 v10, 0xffff0000, v13
	v_mov_b32_e32 v13, 0
	s_clause 0x1
	scratch_store_b32 off, v1, s32 offset:488
	scratch_store_b32 off, v10, s32 offset:504
	s_wait_xcnt 0x0
	v_dual_lshlrev_b32 v1, 16, v12 :: v_dual_lshlrev_b32 v10, 16, v22
	v_mov_b32_e32 v11, v13
	s_clause 0x1
	scratch_store_b32 off, v1, s32 offset:492
	scratch_store_b32 off, v10, s32 offset:508
	s_wait_xcnt 0x0
	v_and_b32_e32 v10, 0xffff0000, v22
	ds_load_b128 v[0:3], v0 offset:176
	scratch_store_b32 off, v10, s32 offset:512 ; 4-byte Folded Spill
	s_wait_xcnt 0x0
	v_lshlrev_b32_e32 v10, 16, v23
	scratch_store_b32 off, v10, s32 offset:516 ; 4-byte Folded Spill
	s_wait_xcnt 0x0
	v_and_b32_e32 v10, 0xffff0000, v23
	s_clause 0x1
	scratch_load_b32 v23, off, s32 offset:568
	scratch_store_b32 off, v10, s32 offset:520
	s_wait_xcnt 0x0
	v_lshlrev_b32_e32 v10, 16, v24
	s_wait_dscnt 0x0
	v_lshlrev_b32_e32 v125, 16, v0
	v_and_b32_e32 v126, 0xffff0000, v0
	scratch_store_b32 off, v10, s32 offset:524 ; 4-byte Folded Spill
	s_wait_xcnt 0x0
	v_and_b32_e32 v10, 0xffff0000, v24
	v_lshlrev_b32_e32 v39, 16, v2
	v_and_b32_e32 v0, 0xffff0000, v2
	v_dual_lshlrev_b32 v38, 16, v3 :: v_dual_lshlrev_b32 v127, 16, v1
	scratch_store_b32 off, v10, s32 offset:528 ; 4-byte Folded Spill
	s_wait_xcnt 0x0
	v_lshlrev_b32_e32 v10, 16, v25
	v_and_b32_e32 v36, 0xffff0000, v1
	v_xor_b32_e32 v1, 1, v37
	scratch_store_b32 off, v10, s32 offset:532 ; 4-byte Folded Spill
	s_wait_xcnt 0x0
	v_and_b32_e32 v10, 0xffff0000, v25
	v_cmp_gt_i32_e32 vcc_lo, 32, v1
	scratch_store_b32 off, v10, s32 offset:536 ; 4-byte Folded Spill
	s_wait_xcnt 0x0
	v_lshlrev_b32_e32 v10, 16, v6
	v_and_b32_e32 v6, 0xffff0000, v6
	v_cndmask_b32_e32 v1, v37, v1, vcc_lo
	v_cmp_eq_u32_e32 vcc_lo, 0, v31
	s_clause 0x1
	scratch_store_b32 off, v10, s32 offset:540
	scratch_store_b32 off, v6, s32 offset:544
	s_wait_xcnt 0x0
	v_lshlrev_b32_e32 v6, 16, v7
	v_and_b32_e32 v10, 0x7c, v33
	v_lshlrev_b32_e32 v30, 2, v1
	v_lshlrev_b32_e32 v1, 2, v9
	scratch_store_b32 off, v6, s32 offset:548 ; 4-byte Folded Spill
	s_wait_xcnt 0x0
	v_and_b32_e32 v6, 0xffff0000, v7
	v_mov_b32_e32 v7, v13
	scratch_store_b32 off, v6, s32 offset:552 ; 4-byte Folded Spill
	s_wait_xcnt 0x0
	v_lshlrev_b32_e32 v6, 16, v8
	v_and_b32_e32 v8, 0xffff0000, v3
	s_clause 0x1
	scratch_load_b64 v[2:3], off, s32 offset:588
	scratch_store_b32 off, v6, s32 offset:556
	s_wait_xcnt 0x0
	v_lshlrev_b32_e32 v6, 4, v9
	s_delay_alu instid0(VALU_DEP_1) | instskip(SKIP_1) | instid1(VALU_DEP_1)
	v_add_nc_u64_e32 v[4:5], v[4:5], v[6:7]
	v_lshlrev_b32_e32 v6, 2, v31
	v_add_nc_u64_e32 v[4:5], v[4:5], v[6:7]
	scratch_load_b32 v6, off, s32 offset:560 ; 4-byte Folded Reload
	s_wait_loadcnt 0x2
	v_lshl_or_b32 v22, v23, 6, v1
	v_mov_b32_e32 v1, 0xff7fffff
	s_wait_loadcnt 0x1
	v_lshl_add_u64 v[2:3], v[2:3], 2, v[10:11]
	s_wait_loadcnt 0x0
	v_cmp_neq_f32_e64 s1, 0, v6
	scratch_load_b64 v[6:7], off, s32 offset:580 ; 8-byte Folded Reload
	s_wait_loadcnt 0x0
	v_add_nc_u64_e32 v[14:15], v[6:7], v[2:3]
	v_lshl_or_b32 v7, v23, 4, v9
	s_branch .LBB340_9
.LBB340_8:                              ;   in Loop: Header=BB340_9 Depth=1
	s_or_b32 exec_lo, exec_lo, s16
	scratch_load_b32 v2, off, s32 offset:192 ; 4-byte Folded Reload
	v_add_nc_u32_e32 v23, 4, v23
	v_add_nc_u64_e32 v[14:15], 16, v[14:15]
	v_add_nc_u32_e32 v7, 64, v7
	v_add_nc_u32_e32 v22, 0x100, v22
	s_wait_loadcnt 0x0
	v_cmp_ge_i32_e64 s2, v23, v2
	s_or_b32 s7, s2, s7
	s_wait_xcnt 0x0
	s_and_not1_b32 exec_lo, exec_lo, s7
	s_cbranch_execz .LBB340_779
.LBB340_9:                              ; =>This Inner Loop Header: Depth=1
	flat_load_b32 v2, v[14:15]
	scratch_load_b64 v[10:11], off, s32 offset:228 ; 8-byte Folded Reload
	s_mov_b32 s16, exec_lo
	s_wait_dscnt 0x1
	v_mov_b32_e32 v3, 0
	s_wait_loadcnt_dscnt 0x0
	v_mad_nc_i64_i32 v[16:17], v2, v10, v[4:5]
	v_mov_b32_e32 v2, 0
	flat_load_b32 v9, v[16:17]
	flat_load_b32 v6, v[20:21]
	s_wait_loadcnt_dscnt 0x101
	v_and_b32_e32 v10, 0xff, v9
	s_wait_xcnt 0x0
	s_delay_alu instid0(VALU_DEP_1)
	v_cmpx_ne_u16_e32 0, v10
	s_cbranch_execz .LBB340_17
; %bb.10:                               ;   in Loop: Header=BB340_9 Depth=1
	v_bfrev_b32_e32 v3, 1
	s_mov_b32 s17, exec_lo
	v_cmpx_ne_u16_e32 0x80, v10
	s_cbranch_execz .LBB340_16
; %bb.11:                               ;   in Loop: Header=BB340_9 Depth=1
	v_and_b32_e32 v10, 0x7f, v9
	v_mov_b32_e32 v3, 0x7f800001
	s_mov_b32 s18, exec_lo
	s_delay_alu instid0(VALU_DEP_2)
	v_cmpx_ne_u32_e32 0x7f, v10
	s_cbranch_execz .LBB340_15
; %bb.12:                               ;   in Loop: Header=BB340_9 Depth=1
	v_dual_lshrrev_b32 v3, 3, v10 :: v_dual_bitop2_b32 v12, 7, v9 bitop3:0x40
	s_mov_b32 s19, exec_lo
	s_delay_alu instid0(VALU_DEP_1)
	v_mov_b64_e32 v[24:25], v[12:13]
	v_cmpx_gt_u32_e32 8, v10
; %bb.13:                               ;   in Loop: Header=BB340_9 Depth=1
	v_clz_i32_u32_e32 v3, v12
	s_delay_alu instid0(VALU_DEP_1) | instskip(NEXT) | instid1(VALU_DEP_1)
	v_min_u32_e32 v3, 32, v3
	v_subrev_nc_u32_e32 v10, 28, v3
	s_delay_alu instid0(VALU_DEP_1) | instskip(NEXT) | instid1(VALU_DEP_1)
	v_lshlrev_b64_e32 v[10:11], v10, v[12:13]
	v_dual_sub_nc_u32 v3, 29, v3 :: v_dual_bitop2_b32 v24, 7, v10 bitop3:0x40
; %bb.14:                               ;   in Loop: Header=BB340_9 Depth=1
	s_or_b32 exec_lo, exec_lo, s19
	s_delay_alu instid0(VALU_DEP_1) | instskip(NEXT) | instid1(VALU_DEP_2)
	v_dual_lshlrev_b32 v10, 24, v9 :: v_dual_lshlrev_b32 v11, 20, v24
	v_lshl_add_u32 v3, v3, 23, 0x3c000000
	s_delay_alu instid0(VALU_DEP_2) | instskip(NEXT) | instid1(VALU_DEP_1)
	v_and_b32_e32 v10, 0x80000000, v10
	v_or3_b32 v3, v11, v10, v3
.LBB340_15:                             ;   in Loop: Header=BB340_9 Depth=1
	s_or_b32 exec_lo, exec_lo, s18
.LBB340_16:                             ;   in Loop: Header=BB340_9 Depth=1
	s_delay_alu instid0(SALU_CYCLE_1)
	s_or_b32 exec_lo, exec_lo, s17
.LBB340_17:                             ;   in Loop: Header=BB340_9 Depth=1
	s_delay_alu instid0(SALU_CYCLE_1) | instskip(SKIP_2) | instid1(VALU_DEP_1)
	s_or_b32 exec_lo, exec_lo, s16
	v_lshrrev_b16 v10, 8, v9
	s_mov_b32 s16, exec_lo
	v_cmpx_ne_u16_e32 0, v10
	s_cbranch_execz .LBB340_25
; %bb.18:                               ;   in Loop: Header=BB340_9 Depth=1
	v_bfrev_b32_e32 v2, 1
	s_mov_b32 s17, exec_lo
	v_cmpx_ne_u16_e32 0x80, v10
	s_cbranch_execz .LBB340_24
; %bb.19:                               ;   in Loop: Header=BB340_9 Depth=1
	v_and_b32_e32 v11, 0xffff, v10
	v_mov_b32_e32 v2, 0x7f800001
	s_mov_b32 s18, exec_lo
	s_delay_alu instid0(VALU_DEP_2) | instskip(NEXT) | instid1(VALU_DEP_1)
	v_and_b32_e32 v10, 0x7f, v11
	v_cmpx_ne_u32_e32 0x7f, v10
	s_cbranch_execz .LBB340_23
; %bb.20:                               ;   in Loop: Header=BB340_9 Depth=1
	v_dual_lshrrev_b32 v2, 3, v10 :: v_dual_bitop2_b32 v12, 7, v11 bitop3:0x40
	s_mov_b32 s19, exec_lo
	s_delay_alu instid0(VALU_DEP_1)
	v_mov_b64_e32 v[24:25], v[12:13]
	v_cmpx_gt_u32_e32 8, v10
; %bb.21:                               ;   in Loop: Header=BB340_9 Depth=1
	v_clz_i32_u32_e32 v2, v12
	s_delay_alu instid0(VALU_DEP_1) | instskip(NEXT) | instid1(VALU_DEP_1)
	v_min_u32_e32 v2, 32, v2
	v_subrev_nc_u32_e32 v10, 28, v2
	v_sub_nc_u32_e32 v2, 29, v2
	s_delay_alu instid0(VALU_DEP_2) | instskip(NEXT) | instid1(VALU_DEP_1)
	v_lshlrev_b64_e32 v[10:11], v10, v[12:13]
	v_and_b32_e32 v24, 7, v10
; %bb.22:                               ;   in Loop: Header=BB340_9 Depth=1
	s_or_b32 exec_lo, exec_lo, s19
	s_delay_alu instid0(VALU_DEP_1) | instskip(SKIP_1) | instid1(VALU_DEP_2)
	v_dual_lshlrev_b32 v10, 16, v9 :: v_dual_lshlrev_b32 v11, 20, v24
	v_lshl_add_u32 v2, v2, 23, 0x3c000000
	v_and_b32_e32 v10, 0x80000000, v10
	s_delay_alu instid0(VALU_DEP_1)
	v_or3_b32 v2, v11, v10, v2
.LBB340_23:                             ;   in Loop: Header=BB340_9 Depth=1
	s_or_b32 exec_lo, exec_lo, s18
.LBB340_24:                             ;   in Loop: Header=BB340_9 Depth=1
	s_delay_alu instid0(SALU_CYCLE_1)
	s_or_b32 exec_lo, exec_lo, s17
.LBB340_25:                             ;   in Loop: Header=BB340_9 Depth=1
	s_delay_alu instid0(SALU_CYCLE_1) | instskip(SKIP_3) | instid1(VALU_DEP_2)
	s_or_b32 exec_lo, exec_lo, s16
	v_dual_lshrrev_b32 v18, 16, v9 :: v_dual_mov_b32 v10, 0
	v_mov_b32_e32 v11, 0
	s_mov_b32 s16, exec_lo
	v_and_b32_e32 v12, 0xff, v18
	s_delay_alu instid0(VALU_DEP_1)
	v_cmpx_ne_u16_e32 0, v12
	s_cbranch_execz .LBB340_33
; %bb.26:                               ;   in Loop: Header=BB340_9 Depth=1
	v_bfrev_b32_e32 v11, 1
	s_mov_b32 s17, exec_lo
	v_cmpx_ne_u16_e32 0x80, v12
	s_cbranch_execz .LBB340_32
; %bb.27:                               ;   in Loop: Header=BB340_9 Depth=1
	v_bfe_u32 v19, v9, 16, 7
	v_mov_b32_e32 v11, 0x7f800001
	s_mov_b32 s18, exec_lo
	s_delay_alu instid0(VALU_DEP_2)
	v_cmpx_ne_u32_e32 0x7f, v19
	s_cbranch_execz .LBB340_31
; %bb.28:                               ;   in Loop: Header=BB340_9 Depth=1
	v_dual_lshrrev_b32 v11, 3, v19 :: v_dual_bitop2_b32 v12, 7, v18 bitop3:0x40
	s_mov_b32 s19, exec_lo
	s_delay_alu instid0(VALU_DEP_1)
	v_mov_b64_e32 v[24:25], v[12:13]
	v_cmpx_gt_u32_e32 8, v19
; %bb.29:                               ;   in Loop: Header=BB340_9 Depth=1
	v_clz_i32_u32_e32 v11, v12
	s_delay_alu instid0(VALU_DEP_1) | instskip(NEXT) | instid1(VALU_DEP_1)
	v_min_u32_e32 v11, 32, v11
	v_subrev_nc_u32_e32 v19, 28, v11
	s_delay_alu instid0(VALU_DEP_1) | instskip(NEXT) | instid1(VALU_DEP_1)
	v_lshlrev_b64_e32 v[24:25], v19, v[12:13]
	v_dual_sub_nc_u32 v11, 29, v11 :: v_dual_bitop2_b32 v24, 7, v24 bitop3:0x40
; %bb.30:                               ;   in Loop: Header=BB340_9 Depth=1
	s_or_b32 exec_lo, exec_lo, s19
	s_delay_alu instid0(VALU_DEP_1) | instskip(NEXT) | instid1(VALU_DEP_2)
	v_dual_lshlrev_b32 v12, 24, v18 :: v_dual_lshlrev_b32 v18, 20, v24
	v_lshl_add_u32 v11, v11, 23, 0x3c000000
	s_delay_alu instid0(VALU_DEP_2) | instskip(NEXT) | instid1(VALU_DEP_1)
	v_and_b32_e32 v12, 0x80000000, v12
	v_or3_b32 v11, v18, v12, v11
.LBB340_31:                             ;   in Loop: Header=BB340_9 Depth=1
	s_or_b32 exec_lo, exec_lo, s18
.LBB340_32:                             ;   in Loop: Header=BB340_9 Depth=1
	s_delay_alu instid0(SALU_CYCLE_1)
	s_or_b32 exec_lo, exec_lo, s17
.LBB340_33:                             ;   in Loop: Header=BB340_9 Depth=1
	s_delay_alu instid0(SALU_CYCLE_1) | instskip(NEXT) | instid1(SALU_CYCLE_1)
	s_or_b32 exec_lo, exec_lo, s16
	s_mov_b32 s16, exec_lo
	v_cmpx_lt_u32_e32 0xffffff, v9
	s_cbranch_execz .LBB340_41
; %bb.34:                               ;   in Loop: Header=BB340_9 Depth=1
	v_lshrrev_b32_e32 v18, 24, v9
	v_bfrev_b32_e32 v10, 1
	s_mov_b32 s17, exec_lo
	s_delay_alu instid0(VALU_DEP_2)
	v_cmpx_ne_u32_e32 0x80, v18
	s_cbranch_execz .LBB340_40
; %bb.35:                               ;   in Loop: Header=BB340_9 Depth=1
	v_bfe_u32 v19, v9, 24, 7
	v_mov_b32_e32 v10, 0x7f800001
	s_mov_b32 s18, exec_lo
	s_delay_alu instid0(VALU_DEP_2)
	v_cmpx_ne_u32_e32 0x7f, v19
	s_cbranch_execz .LBB340_39
; %bb.36:                               ;   in Loop: Header=BB340_9 Depth=1
	v_dual_lshrrev_b32 v9, 3, v19 :: v_dual_bitop2_b32 v12, 7, v18 bitop3:0x40
	s_mov_b32 s19, exec_lo
	s_delay_alu instid0(VALU_DEP_1)
	v_mov_b64_e32 v[24:25], v[12:13]
	v_cmpx_gt_u32_e32 8, v19
; %bb.37:                               ;   in Loop: Header=BB340_9 Depth=1
	v_clz_i32_u32_e32 v9, v12
	s_delay_alu instid0(VALU_DEP_1) | instskip(NEXT) | instid1(VALU_DEP_1)
	v_min_u32_e32 v9, 32, v9
	v_subrev_nc_u32_e32 v10, 28, v9
	s_delay_alu instid0(VALU_DEP_1) | instskip(NEXT) | instid1(VALU_DEP_1)
	v_lshlrev_b64_e32 v[24:25], v10, v[12:13]
	v_dual_sub_nc_u32 v9, 29, v9 :: v_dual_bitop2_b32 v24, 7, v24 bitop3:0x40
; %bb.38:                               ;   in Loop: Header=BB340_9 Depth=1
	s_or_b32 exec_lo, exec_lo, s19
	s_delay_alu instid0(VALU_DEP_1) | instskip(NEXT) | instid1(VALU_DEP_2)
	v_dual_lshlrev_b32 v10, 24, v18 :: v_dual_lshlrev_b32 v12, 20, v24
	v_lshl_add_u32 v9, v9, 23, 0x3c000000
	s_delay_alu instid0(VALU_DEP_2) | instskip(NEXT) | instid1(VALU_DEP_1)
	v_and_b32_e32 v10, 0x80000000, v10
	v_or3_b32 v10, v12, v10, v9
.LBB340_39:                             ;   in Loop: Header=BB340_9 Depth=1
	s_or_b32 exec_lo, exec_lo, s18
.LBB340_40:                             ;   in Loop: Header=BB340_9 Depth=1
	s_delay_alu instid0(SALU_CYCLE_1)
	s_or_b32 exec_lo, exec_lo, s17
.LBB340_41:                             ;   in Loop: Header=BB340_9 Depth=1
	s_delay_alu instid0(SALU_CYCLE_1)
	s_or_b32 exec_lo, exec_lo, s16
	flat_load_b32 v9, v[16:17] offset:8
	v_dual_mov_b32 v28, 0 :: v_dual_mov_b32 v29, 0
	s_mov_b32 s16, exec_lo
	s_wait_loadcnt_dscnt 0x0
	v_and_b32_e32 v12, 0xff, v9
	s_wait_xcnt 0x0
	s_delay_alu instid0(VALU_DEP_1)
	v_cmpx_ne_u16_e32 0, v12
	s_cbranch_execz .LBB340_49
; %bb.42:                               ;   in Loop: Header=BB340_9 Depth=1
	v_bfrev_b32_e32 v29, 1
	s_mov_b32 s17, exec_lo
	v_cmpx_ne_u16_e32 0x80, v12
	s_cbranch_execz .LBB340_48
; %bb.43:                               ;   in Loop: Header=BB340_9 Depth=1
	v_and_b32_e32 v19, 0x7f, v9
	v_mov_b32_e32 v29, 0x7f800001
	s_mov_b32 s18, exec_lo
	s_delay_alu instid0(VALU_DEP_2)
	v_cmpx_ne_u32_e32 0x7f, v19
	s_cbranch_execz .LBB340_47
; %bb.44:                               ;   in Loop: Header=BB340_9 Depth=1
	v_dual_lshrrev_b32 v18, 3, v19 :: v_dual_bitop2_b32 v12, 7, v9 bitop3:0x40
	s_mov_b32 s19, exec_lo
	s_delay_alu instid0(VALU_DEP_1)
	v_mov_b64_e32 v[24:25], v[12:13]
	v_cmpx_gt_u32_e32 8, v19
; %bb.45:                               ;   in Loop: Header=BB340_9 Depth=1
	v_clz_i32_u32_e32 v18, v12
	s_delay_alu instid0(VALU_DEP_1) | instskip(NEXT) | instid1(VALU_DEP_1)
	v_min_u32_e32 v18, 32, v18
	v_subrev_nc_u32_e32 v19, 28, v18
	s_delay_alu instid0(VALU_DEP_1) | instskip(NEXT) | instid1(VALU_DEP_1)
	v_lshlrev_b64_e32 v[24:25], v19, v[12:13]
	v_dual_sub_nc_u32 v18, 29, v18 :: v_dual_bitop2_b32 v24, 7, v24 bitop3:0x40
; %bb.46:                               ;   in Loop: Header=BB340_9 Depth=1
	s_or_b32 exec_lo, exec_lo, s19
	s_delay_alu instid0(VALU_DEP_1) | instskip(NEXT) | instid1(VALU_DEP_2)
	v_dual_lshlrev_b32 v12, 24, v9 :: v_dual_lshlrev_b32 v19, 20, v24
	v_lshl_add_u32 v18, v18, 23, 0x3c000000
	s_delay_alu instid0(VALU_DEP_2) | instskip(NEXT) | instid1(VALU_DEP_1)
	v_and_b32_e32 v12, 0x80000000, v12
	v_or3_b32 v29, v19, v12, v18
.LBB340_47:                             ;   in Loop: Header=BB340_9 Depth=1
	s_or_b32 exec_lo, exec_lo, s18
.LBB340_48:                             ;   in Loop: Header=BB340_9 Depth=1
	s_delay_alu instid0(SALU_CYCLE_1)
	s_or_b32 exec_lo, exec_lo, s17
.LBB340_49:                             ;   in Loop: Header=BB340_9 Depth=1
	s_delay_alu instid0(SALU_CYCLE_1) | instskip(SKIP_2) | instid1(VALU_DEP_1)
	s_or_b32 exec_lo, exec_lo, s16
	v_lshrrev_b16 v12, 8, v9
	s_mov_b32 s16, exec_lo
	v_cmpx_ne_u16_e32 0, v12
	s_cbranch_execz .LBB340_57
; %bb.50:                               ;   in Loop: Header=BB340_9 Depth=1
	v_bfrev_b32_e32 v28, 1
	s_mov_b32 s17, exec_lo
	v_cmpx_ne_u16_e32 0x80, v12
	s_cbranch_execz .LBB340_56
; %bb.51:                               ;   in Loop: Header=BB340_9 Depth=1
	v_and_b32_e32 v12, 0xffff, v12
	v_mov_b32_e32 v28, 0x7f800001
	s_mov_b32 s18, exec_lo
	s_delay_alu instid0(VALU_DEP_2) | instskip(NEXT) | instid1(VALU_DEP_1)
	v_and_b32_e32 v19, 0x7f, v12
	v_cmpx_ne_u32_e32 0x7f, v19
	s_cbranch_execz .LBB340_55
; %bb.52:                               ;   in Loop: Header=BB340_9 Depth=1
	v_dual_lshrrev_b32 v18, 3, v19 :: v_dual_bitop2_b32 v12, 7, v12 bitop3:0x40
	s_mov_b32 s19, exec_lo
	s_delay_alu instid0(VALU_DEP_1)
	v_mov_b64_e32 v[24:25], v[12:13]
	v_cmpx_gt_u32_e32 8, v19
; %bb.53:                               ;   in Loop: Header=BB340_9 Depth=1
	v_clz_i32_u32_e32 v18, v12
	s_delay_alu instid0(VALU_DEP_1) | instskip(NEXT) | instid1(VALU_DEP_1)
	v_min_u32_e32 v18, 32, v18
	v_subrev_nc_u32_e32 v19, 28, v18
	s_delay_alu instid0(VALU_DEP_1) | instskip(NEXT) | instid1(VALU_DEP_1)
	v_lshlrev_b64_e32 v[24:25], v19, v[12:13]
	v_dual_sub_nc_u32 v18, 29, v18 :: v_dual_bitop2_b32 v24, 7, v24 bitop3:0x40
; %bb.54:                               ;   in Loop: Header=BB340_9 Depth=1
	s_or_b32 exec_lo, exec_lo, s19
	s_delay_alu instid0(VALU_DEP_1) | instskip(NEXT) | instid1(VALU_DEP_2)
	v_dual_lshlrev_b32 v12, 16, v9 :: v_dual_lshlrev_b32 v19, 20, v24
	v_lshl_add_u32 v18, v18, 23, 0x3c000000
	s_delay_alu instid0(VALU_DEP_2) | instskip(NEXT) | instid1(VALU_DEP_1)
	v_and_b32_e32 v12, 0x80000000, v12
	v_or3_b32 v28, v19, v12, v18
.LBB340_55:                             ;   in Loop: Header=BB340_9 Depth=1
	s_or_b32 exec_lo, exec_lo, s18
.LBB340_56:                             ;   in Loop: Header=BB340_9 Depth=1
	s_delay_alu instid0(SALU_CYCLE_1)
	s_or_b32 exec_lo, exec_lo, s17
.LBB340_57:                             ;   in Loop: Header=BB340_9 Depth=1
	s_delay_alu instid0(SALU_CYCLE_1) | instskip(SKIP_3) | instid1(VALU_DEP_2)
	s_or_b32 exec_lo, exec_lo, s16
	v_dual_lshrrev_b32 v18, 16, v9 :: v_dual_mov_b32 v74, 0
	v_mov_b32_e32 v37, 0
	s_mov_b32 s16, exec_lo
	v_and_b32_e32 v12, 0xff, v18
	s_delay_alu instid0(VALU_DEP_1)
	v_cmpx_ne_u16_e32 0, v12
	s_cbranch_execz .LBB340_65
; %bb.58:                               ;   in Loop: Header=BB340_9 Depth=1
	v_bfrev_b32_e32 v37, 1
	s_mov_b32 s17, exec_lo
	v_cmpx_ne_u16_e32 0x80, v12
	s_cbranch_execz .LBB340_64
; %bb.59:                               ;   in Loop: Header=BB340_9 Depth=1
	v_bfe_u32 v24, v9, 16, 7
	v_mov_b32_e32 v37, 0x7f800001
	s_mov_b32 s18, exec_lo
	s_delay_alu instid0(VALU_DEP_2)
	v_cmpx_ne_u32_e32 0x7f, v24
	s_cbranch_execz .LBB340_63
; %bb.60:                               ;   in Loop: Header=BB340_9 Depth=1
	v_dual_lshrrev_b32 v19, 3, v24 :: v_dual_bitop2_b32 v12, 7, v18 bitop3:0x40
	v_cmp_gt_u32_e64 s2, 8, v24
	s_delay_alu instid0(VALU_DEP_2)
	v_mov_b64_e32 v[24:25], v[12:13]
	s_and_saveexec_b32 s19, s2
; %bb.61:                               ;   in Loop: Header=BB340_9 Depth=1
	v_clz_i32_u32_e32 v19, v12
	s_delay_alu instid0(VALU_DEP_1) | instskip(NEXT) | instid1(VALU_DEP_1)
	v_min_u32_e32 v19, 32, v19
	v_subrev_nc_u32_e32 v24, 28, v19
	s_delay_alu instid0(VALU_DEP_1) | instskip(NEXT) | instid1(VALU_DEP_1)
	v_lshlrev_b64_e32 v[24:25], v24, v[12:13]
	v_dual_sub_nc_u32 v19, 29, v19 :: v_dual_bitop2_b32 v24, 7, v24 bitop3:0x40
; %bb.62:                               ;   in Loop: Header=BB340_9 Depth=1
	s_or_b32 exec_lo, exec_lo, s19
	s_delay_alu instid0(VALU_DEP_1) | instskip(NEXT) | instid1(VALU_DEP_2)
	v_dual_lshlrev_b32 v12, 24, v18 :: v_dual_lshlrev_b32 v18, 20, v24
	v_lshl_add_u32 v19, v19, 23, 0x3c000000
	s_delay_alu instid0(VALU_DEP_2) | instskip(NEXT) | instid1(VALU_DEP_1)
	v_and_b32_e32 v12, 0x80000000, v12
	v_or3_b32 v37, v18, v12, v19
.LBB340_63:                             ;   in Loop: Header=BB340_9 Depth=1
	s_or_b32 exec_lo, exec_lo, s18
.LBB340_64:                             ;   in Loop: Header=BB340_9 Depth=1
	s_delay_alu instid0(SALU_CYCLE_1)
	s_or_b32 exec_lo, exec_lo, s17
.LBB340_65:                             ;   in Loop: Header=BB340_9 Depth=1
	s_delay_alu instid0(SALU_CYCLE_1) | instskip(NEXT) | instid1(SALU_CYCLE_1)
	s_or_b32 exec_lo, exec_lo, s16
	s_mov_b32 s16, exec_lo
	v_cmpx_lt_u32_e32 0xffffff, v9
	s_cbranch_execz .LBB340_73
; %bb.66:                               ;   in Loop: Header=BB340_9 Depth=1
	v_lshrrev_b32_e32 v18, 24, v9
	v_bfrev_b32_e32 v74, 1
	s_mov_b32 s17, exec_lo
	s_delay_alu instid0(VALU_DEP_2)
	v_cmpx_ne_u32_e32 0x80, v18
	s_cbranch_execz .LBB340_72
; %bb.67:                               ;   in Loop: Header=BB340_9 Depth=1
	v_bfe_u32 v19, v9, 24, 7
	v_mov_b32_e32 v74, 0x7f800001
	s_mov_b32 s18, exec_lo
	s_delay_alu instid0(VALU_DEP_2)
	v_cmpx_ne_u32_e32 0x7f, v19
	s_cbranch_execz .LBB340_71
; %bb.68:                               ;   in Loop: Header=BB340_9 Depth=1
	v_dual_lshrrev_b32 v9, 3, v19 :: v_dual_bitop2_b32 v12, 7, v18 bitop3:0x40
	s_mov_b32 s19, exec_lo
	s_delay_alu instid0(VALU_DEP_1)
	v_mov_b64_e32 v[24:25], v[12:13]
	v_cmpx_gt_u32_e32 8, v19
; %bb.69:                               ;   in Loop: Header=BB340_9 Depth=1
	v_clz_i32_u32_e32 v9, v12
	s_delay_alu instid0(VALU_DEP_1) | instskip(NEXT) | instid1(VALU_DEP_1)
	v_min_u32_e32 v9, 32, v9
	v_subrev_nc_u32_e32 v19, 28, v9
	s_delay_alu instid0(VALU_DEP_1) | instskip(NEXT) | instid1(VALU_DEP_1)
	v_lshlrev_b64_e32 v[24:25], v19, v[12:13]
	v_dual_sub_nc_u32 v9, 29, v9 :: v_dual_bitop2_b32 v24, 7, v24 bitop3:0x40
; %bb.70:                               ;   in Loop: Header=BB340_9 Depth=1
	s_or_b32 exec_lo, exec_lo, s19
	s_delay_alu instid0(VALU_DEP_1) | instskip(NEXT) | instid1(VALU_DEP_2)
	v_dual_lshlrev_b32 v12, 24, v18 :: v_dual_lshlrev_b32 v18, 20, v24
	v_lshl_add_u32 v9, v9, 23, 0x3c000000
	s_delay_alu instid0(VALU_DEP_2) | instskip(NEXT) | instid1(VALU_DEP_1)
	v_and_b32_e32 v12, 0x80000000, v12
	v_or3_b32 v74, v18, v12, v9
.LBB340_71:                             ;   in Loop: Header=BB340_9 Depth=1
	s_or_b32 exec_lo, exec_lo, s18
.LBB340_72:                             ;   in Loop: Header=BB340_9 Depth=1
	s_delay_alu instid0(SALU_CYCLE_1)
	s_or_b32 exec_lo, exec_lo, s17
.LBB340_73:                             ;   in Loop: Header=BB340_9 Depth=1
	s_delay_alu instid0(SALU_CYCLE_1)
	s_or_b32 exec_lo, exec_lo, s16
	flat_load_b32 v18, v[16:17] offset:256
	v_dual_mov_b32 v32, 0 :: v_dual_mov_b32 v9, 0
	s_mov_b32 s16, exec_lo
	s_wait_loadcnt_dscnt 0x0
	v_and_b32_e32 v12, 0xff, v18
	s_wait_xcnt 0x0
	s_delay_alu instid0(VALU_DEP_1)
	v_cmpx_ne_u16_e32 0, v12
	s_cbranch_execz .LBB340_81
; %bb.74:                               ;   in Loop: Header=BB340_9 Depth=1
	v_bfrev_b32_e32 v9, 1
	s_mov_b32 s17, exec_lo
	v_cmpx_ne_u16_e32 0x80, v12
	s_cbranch_execz .LBB340_80
; %bb.75:                               ;   in Loop: Header=BB340_9 Depth=1
	v_and_b32_e32 v19, 0x7f, v18
	v_mov_b32_e32 v9, 0x7f800001
	s_mov_b32 s18, exec_lo
	s_delay_alu instid0(VALU_DEP_2)
	v_cmpx_ne_u32_e32 0x7f, v19
	s_cbranch_execz .LBB340_79
; %bb.76:                               ;   in Loop: Header=BB340_9 Depth=1
	v_dual_lshrrev_b32 v9, 3, v19 :: v_dual_bitop2_b32 v12, 7, v18 bitop3:0x40
	s_mov_b32 s19, exec_lo
	s_delay_alu instid0(VALU_DEP_1)
	v_mov_b64_e32 v[24:25], v[12:13]
	v_cmpx_gt_u32_e32 8, v19
; %bb.77:                               ;   in Loop: Header=BB340_9 Depth=1
	v_clz_i32_u32_e32 v9, v12
	s_delay_alu instid0(VALU_DEP_1) | instskip(NEXT) | instid1(VALU_DEP_1)
	v_min_u32_e32 v9, 32, v9
	v_subrev_nc_u32_e32 v19, 28, v9
	s_delay_alu instid0(VALU_DEP_1) | instskip(NEXT) | instid1(VALU_DEP_1)
	v_lshlrev_b64_e32 v[24:25], v19, v[12:13]
	v_dual_sub_nc_u32 v9, 29, v9 :: v_dual_bitop2_b32 v24, 7, v24 bitop3:0x40
; %bb.78:                               ;   in Loop: Header=BB340_9 Depth=1
	s_or_b32 exec_lo, exec_lo, s19
	s_delay_alu instid0(VALU_DEP_1) | instskip(NEXT) | instid1(VALU_DEP_2)
	v_dual_lshlrev_b32 v12, 24, v18 :: v_dual_lshlrev_b32 v19, 20, v24
	v_lshl_add_u32 v9, v9, 23, 0x3c000000
	s_delay_alu instid0(VALU_DEP_2) | instskip(NEXT) | instid1(VALU_DEP_1)
	v_and_b32_e32 v12, 0x80000000, v12
	v_or3_b32 v9, v19, v12, v9
.LBB340_79:                             ;   in Loop: Header=BB340_9 Depth=1
	s_or_b32 exec_lo, exec_lo, s18
.LBB340_80:                             ;   in Loop: Header=BB340_9 Depth=1
	s_delay_alu instid0(SALU_CYCLE_1)
	s_or_b32 exec_lo, exec_lo, s17
.LBB340_81:                             ;   in Loop: Header=BB340_9 Depth=1
	s_delay_alu instid0(SALU_CYCLE_1) | instskip(SKIP_2) | instid1(VALU_DEP_1)
	s_or_b32 exec_lo, exec_lo, s16
	v_lshrrev_b16 v12, 8, v18
	s_mov_b32 s16, exec_lo
	v_cmpx_ne_u16_e32 0, v12
	s_cbranch_execz .LBB340_89
; %bb.82:                               ;   in Loop: Header=BB340_9 Depth=1
	v_bfrev_b32_e32 v32, 1
	s_mov_b32 s17, exec_lo
	v_cmpx_ne_u16_e32 0x80, v12
	s_cbranch_execz .LBB340_88
; %bb.83:                               ;   in Loop: Header=BB340_9 Depth=1
	v_and_b32_e32 v12, 0xffff, v12
	v_mov_b32_e32 v32, 0x7f800001
	s_mov_b32 s18, exec_lo
	s_delay_alu instid0(VALU_DEP_2) | instskip(NEXT) | instid1(VALU_DEP_1)
	v_and_b32_e32 v24, 0x7f, v12
	v_cmpx_ne_u32_e32 0x7f, v24
	s_cbranch_execz .LBB340_87
; %bb.84:                               ;   in Loop: Header=BB340_9 Depth=1
	v_and_b32_e32 v12, 7, v12
	v_lshrrev_b32_e32 v19, 3, v24
	v_cmp_gt_u32_e64 s2, 8, v24
	s_delay_alu instid0(VALU_DEP_3)
	v_mov_b64_e32 v[24:25], v[12:13]
	s_and_saveexec_b32 s19, s2
; %bb.85:                               ;   in Loop: Header=BB340_9 Depth=1
	v_clz_i32_u32_e32 v19, v12
	s_delay_alu instid0(VALU_DEP_1) | instskip(NEXT) | instid1(VALU_DEP_1)
	v_min_u32_e32 v19, 32, v19
	v_subrev_nc_u32_e32 v24, 28, v19
	s_delay_alu instid0(VALU_DEP_1) | instskip(NEXT) | instid1(VALU_DEP_1)
	v_lshlrev_b64_e32 v[24:25], v24, v[12:13]
	v_dual_sub_nc_u32 v19, 29, v19 :: v_dual_bitop2_b32 v24, 7, v24 bitop3:0x40
; %bb.86:                               ;   in Loop: Header=BB340_9 Depth=1
	s_or_b32 exec_lo, exec_lo, s19
	s_delay_alu instid0(VALU_DEP_1) | instskip(NEXT) | instid1(VALU_DEP_2)
	v_dual_lshlrev_b32 v12, 16, v18 :: v_dual_lshlrev_b32 v24, 20, v24
	v_lshl_add_u32 v19, v19, 23, 0x3c000000
	s_delay_alu instid0(VALU_DEP_2) | instskip(NEXT) | instid1(VALU_DEP_1)
	v_and_b32_e32 v12, 0x80000000, v12
	v_or3_b32 v32, v24, v12, v19
.LBB340_87:                             ;   in Loop: Header=BB340_9 Depth=1
	s_or_b32 exec_lo, exec_lo, s18
.LBB340_88:                             ;   in Loop: Header=BB340_9 Depth=1
	s_delay_alu instid0(SALU_CYCLE_1)
	s_or_b32 exec_lo, exec_lo, s17
.LBB340_89:                             ;   in Loop: Header=BB340_9 Depth=1
	s_delay_alu instid0(SALU_CYCLE_1) | instskip(SKIP_3) | instid1(VALU_DEP_2)
	s_or_b32 exec_lo, exec_lo, s16
	v_dual_mov_b32 v26, 0 :: v_dual_lshrrev_b32 v27, 16, v18
	v_mov_b32_e32 v19, 0
	s_mov_b32 s16, exec_lo
	v_and_b32_e32 v12, 0xff, v27
	s_delay_alu instid0(VALU_DEP_1)
	v_cmpx_ne_u16_e32 0, v12
	s_cbranch_execz .LBB340_97
; %bb.90:                               ;   in Loop: Header=BB340_9 Depth=1
	v_bfrev_b32_e32 v19, 1
	s_mov_b32 s17, exec_lo
	v_cmpx_ne_u16_e32 0x80, v12
	s_cbranch_execz .LBB340_96
; %bb.91:                               ;   in Loop: Header=BB340_9 Depth=1
	v_bfe_u32 v24, v18, 16, 7
	v_mov_b32_e32 v19, 0x7f800001
	s_mov_b32 s18, exec_lo
	s_delay_alu instid0(VALU_DEP_2)
	v_cmpx_ne_u32_e32 0x7f, v24
	s_cbranch_execz .LBB340_95
; %bb.92:                               ;   in Loop: Header=BB340_9 Depth=1
	v_dual_lshrrev_b32 v19, 3, v24 :: v_dual_bitop2_b32 v12, 7, v27 bitop3:0x40
	v_cmp_gt_u32_e64 s2, 8, v24
	s_delay_alu instid0(VALU_DEP_2)
	v_mov_b64_e32 v[24:25], v[12:13]
	s_and_saveexec_b32 s19, s2
; %bb.93:                               ;   in Loop: Header=BB340_9 Depth=1
	v_clz_i32_u32_e32 v19, v12
	s_delay_alu instid0(VALU_DEP_1) | instskip(NEXT) | instid1(VALU_DEP_1)
	v_min_u32_e32 v19, 32, v19
	v_subrev_nc_u32_e32 v24, 28, v19
	s_delay_alu instid0(VALU_DEP_1) | instskip(NEXT) | instid1(VALU_DEP_1)
	v_lshlrev_b64_e32 v[24:25], v24, v[12:13]
	v_dual_sub_nc_u32 v19, 29, v19 :: v_dual_bitop2_b32 v24, 7, v24 bitop3:0x40
; %bb.94:                               ;   in Loop: Header=BB340_9 Depth=1
	s_or_b32 exec_lo, exec_lo, s19
	s_delay_alu instid0(VALU_DEP_1) | instskip(NEXT) | instid1(VALU_DEP_2)
	v_dual_lshlrev_b32 v12, 24, v27 :: v_dual_lshlrev_b32 v24, 20, v24
	v_lshl_add_u32 v19, v19, 23, 0x3c000000
	s_delay_alu instid0(VALU_DEP_2) | instskip(NEXT) | instid1(VALU_DEP_1)
	v_and_b32_e32 v12, 0x80000000, v12
	v_or3_b32 v19, v24, v12, v19
.LBB340_95:                             ;   in Loop: Header=BB340_9 Depth=1
	s_or_b32 exec_lo, exec_lo, s18
.LBB340_96:                             ;   in Loop: Header=BB340_9 Depth=1
	s_delay_alu instid0(SALU_CYCLE_1)
	s_or_b32 exec_lo, exec_lo, s17
.LBB340_97:                             ;   in Loop: Header=BB340_9 Depth=1
	s_delay_alu instid0(SALU_CYCLE_1) | instskip(NEXT) | instid1(SALU_CYCLE_1)
	s_or_b32 exec_lo, exec_lo, s16
	s_mov_b32 s16, exec_lo
	v_cmpx_lt_u32_e32 0xffffff, v18
	s_cbranch_execz .LBB340_105
; %bb.98:                               ;   in Loop: Header=BB340_9 Depth=1
	v_lshrrev_b32_e32 v27, 24, v18
	v_bfrev_b32_e32 v26, 1
	s_mov_b32 s17, exec_lo
	s_delay_alu instid0(VALU_DEP_2)
	v_cmpx_ne_u32_e32 0x80, v27
	s_cbranch_execz .LBB340_104
; %bb.99:                               ;   in Loop: Header=BB340_9 Depth=1
	v_bfe_u32 v24, v18, 24, 7
	v_mov_b32_e32 v26, 0x7f800001
	s_mov_b32 s18, exec_lo
	s_delay_alu instid0(VALU_DEP_2)
	v_cmpx_ne_u32_e32 0x7f, v24
	s_cbranch_execz .LBB340_103
; %bb.100:                              ;   in Loop: Header=BB340_9 Depth=1
	v_dual_lshrrev_b32 v18, 3, v24 :: v_dual_bitop2_b32 v12, 7, v27 bitop3:0x40
	v_cmp_gt_u32_e64 s2, 8, v24
	s_delay_alu instid0(VALU_DEP_2)
	v_mov_b64_e32 v[24:25], v[12:13]
	s_and_saveexec_b32 s19, s2
; %bb.101:                              ;   in Loop: Header=BB340_9 Depth=1
	v_clz_i32_u32_e32 v18, v12
	s_delay_alu instid0(VALU_DEP_1) | instskip(NEXT) | instid1(VALU_DEP_1)
	v_min_u32_e32 v18, 32, v18
	v_subrev_nc_u32_e32 v24, 28, v18
	s_delay_alu instid0(VALU_DEP_1) | instskip(NEXT) | instid1(VALU_DEP_1)
	v_lshlrev_b64_e32 v[24:25], v24, v[12:13]
	v_dual_sub_nc_u32 v18, 29, v18 :: v_dual_bitop2_b32 v24, 7, v24 bitop3:0x40
; %bb.102:                              ;   in Loop: Header=BB340_9 Depth=1
	s_or_b32 exec_lo, exec_lo, s19
	s_delay_alu instid0(VALU_DEP_1) | instskip(NEXT) | instid1(VALU_DEP_2)
	v_dual_lshlrev_b32 v12, 24, v27 :: v_dual_lshlrev_b32 v24, 20, v24
	v_lshl_add_u32 v18, v18, 23, 0x3c000000
	s_delay_alu instid0(VALU_DEP_2) | instskip(NEXT) | instid1(VALU_DEP_1)
	v_and_b32_e32 v12, 0x80000000, v12
	v_or3_b32 v26, v24, v12, v18
.LBB340_103:                            ;   in Loop: Header=BB340_9 Depth=1
	s_or_b32 exec_lo, exec_lo, s18
.LBB340_104:                            ;   in Loop: Header=BB340_9 Depth=1
	s_delay_alu instid0(SALU_CYCLE_1)
	s_or_b32 exec_lo, exec_lo, s17
.LBB340_105:                            ;   in Loop: Header=BB340_9 Depth=1
	s_delay_alu instid0(SALU_CYCLE_1)
	s_or_b32 exec_lo, exec_lo, s16
	flat_load_b32 v34, v[16:17] offset:264
	v_dual_mov_b32 v18, 0 :: v_dual_mov_b32 v27, 0
	s_mov_b32 s16, exec_lo
	s_wait_loadcnt_dscnt 0x0
	v_and_b32_e32 v12, 0xff, v34
	s_wait_xcnt 0x0
	s_delay_alu instid0(VALU_DEP_1)
	v_cmpx_ne_u16_e32 0, v12
	s_cbranch_execz .LBB340_113
; %bb.106:                              ;   in Loop: Header=BB340_9 Depth=1
	v_bfrev_b32_e32 v27, 1
	s_mov_b32 s17, exec_lo
	v_cmpx_ne_u16_e32 0x80, v12
	s_cbranch_execz .LBB340_112
; %bb.107:                              ;   in Loop: Header=BB340_9 Depth=1
	v_and_b32_e32 v24, 0x7f, v34
	v_mov_b32_e32 v27, 0x7f800001
	s_mov_b32 s18, exec_lo
	s_delay_alu instid0(VALU_DEP_2)
	v_cmpx_ne_u32_e32 0x7f, v24
	s_cbranch_execz .LBB340_111
; %bb.108:                              ;   in Loop: Header=BB340_9 Depth=1
	v_dual_lshrrev_b32 v27, 3, v24 :: v_dual_bitop2_b32 v12, 7, v34 bitop3:0x40
	v_cmp_gt_u32_e64 s2, 8, v24
	s_delay_alu instid0(VALU_DEP_2)
	v_mov_b64_e32 v[24:25], v[12:13]
	s_and_saveexec_b32 s19, s2
; %bb.109:                              ;   in Loop: Header=BB340_9 Depth=1
	v_clz_i32_u32_e32 v24, v12
	s_delay_alu instid0(VALU_DEP_1) | instskip(NEXT) | instid1(VALU_DEP_1)
	v_min_u32_e32 v27, 32, v24
	v_subrev_nc_u32_e32 v24, 28, v27
	s_delay_alu instid0(VALU_DEP_1) | instskip(NEXT) | instid1(VALU_DEP_1)
	v_lshlrev_b64_e32 v[24:25], v24, v[12:13]
	v_dual_sub_nc_u32 v27, 29, v27 :: v_dual_bitop2_b32 v24, 7, v24 bitop3:0x40
; %bb.110:                              ;   in Loop: Header=BB340_9 Depth=1
	s_or_b32 exec_lo, exec_lo, s19
	s_delay_alu instid0(VALU_DEP_1) | instskip(NEXT) | instid1(VALU_DEP_2)
	v_dual_lshlrev_b32 v12, 24, v34 :: v_dual_lshlrev_b32 v24, 20, v24
	v_lshl_add_u32 v25, v27, 23, 0x3c000000
	s_delay_alu instid0(VALU_DEP_2) | instskip(NEXT) | instid1(VALU_DEP_1)
	v_and_b32_e32 v12, 0x80000000, v12
	v_or3_b32 v27, v24, v12, v25
.LBB340_111:                            ;   in Loop: Header=BB340_9 Depth=1
	s_or_b32 exec_lo, exec_lo, s18
.LBB340_112:                            ;   in Loop: Header=BB340_9 Depth=1
	s_delay_alu instid0(SALU_CYCLE_1)
	s_or_b32 exec_lo, exec_lo, s17
.LBB340_113:                            ;   in Loop: Header=BB340_9 Depth=1
	s_delay_alu instid0(SALU_CYCLE_1) | instskip(SKIP_2) | instid1(VALU_DEP_1)
	s_or_b32 exec_lo, exec_lo, s16
	v_lshrrev_b16 v12, 8, v34
	s_mov_b32 s16, exec_lo
	v_cmpx_ne_u16_e32 0, v12
	s_cbranch_execz .LBB340_121
; %bb.114:                              ;   in Loop: Header=BB340_9 Depth=1
	v_bfrev_b32_e32 v18, 1
	s_mov_b32 s17, exec_lo
	v_cmpx_ne_u16_e32 0x80, v12
	s_cbranch_execz .LBB340_120
; %bb.115:                              ;   in Loop: Header=BB340_9 Depth=1
	v_and_b32_e32 v12, 0xffff, v12
	v_mov_b32_e32 v18, 0x7f800001
	s_mov_b32 s18, exec_lo
	s_delay_alu instid0(VALU_DEP_2) | instskip(NEXT) | instid1(VALU_DEP_1)
	v_and_b32_e32 v24, 0x7f, v12
	v_cmpx_ne_u32_e32 0x7f, v24
	s_cbranch_execz .LBB340_119
; %bb.116:                              ;   in Loop: Header=BB340_9 Depth=1
	v_and_b32_e32 v12, 7, v12
	v_lshrrev_b32_e32 v18, 3, v24
	v_cmp_gt_u32_e64 s2, 8, v24
	s_delay_alu instid0(VALU_DEP_3)
	v_mov_b64_e32 v[24:25], v[12:13]
	s_and_saveexec_b32 s19, s2
; %bb.117:                              ;   in Loop: Header=BB340_9 Depth=1
	v_clz_i32_u32_e32 v18, v12
	s_delay_alu instid0(VALU_DEP_1) | instskip(NEXT) | instid1(VALU_DEP_1)
	v_min_u32_e32 v18, 32, v18
	v_subrev_nc_u32_e32 v24, 28, v18
	s_delay_alu instid0(VALU_DEP_1) | instskip(NEXT) | instid1(VALU_DEP_1)
	v_lshlrev_b64_e32 v[24:25], v24, v[12:13]
	v_dual_sub_nc_u32 v18, 29, v18 :: v_dual_bitop2_b32 v24, 7, v24 bitop3:0x40
; %bb.118:                              ;   in Loop: Header=BB340_9 Depth=1
	s_or_b32 exec_lo, exec_lo, s19
	s_delay_alu instid0(VALU_DEP_1) | instskip(NEXT) | instid1(VALU_DEP_2)
	v_dual_lshlrev_b32 v12, 16, v34 :: v_dual_lshlrev_b32 v24, 20, v24
	v_lshl_add_u32 v18, v18, 23, 0x3c000000
	s_delay_alu instid0(VALU_DEP_2) | instskip(NEXT) | instid1(VALU_DEP_1)
	v_and_b32_e32 v12, 0x80000000, v12
	v_or3_b32 v18, v24, v12, v18
.LBB340_119:                            ;   in Loop: Header=BB340_9 Depth=1
	s_or_b32 exec_lo, exec_lo, s18
.LBB340_120:                            ;   in Loop: Header=BB340_9 Depth=1
	s_delay_alu instid0(SALU_CYCLE_1)
	s_or_b32 exec_lo, exec_lo, s17
.LBB340_121:                            ;   in Loop: Header=BB340_9 Depth=1
	s_delay_alu instid0(SALU_CYCLE_1) | instskip(SKIP_3) | instid1(VALU_DEP_2)
	s_or_b32 exec_lo, exec_lo, s16
	v_dual_lshrrev_b32 v35, 16, v34 :: v_dual_mov_b32 v31, 0
	v_mov_b32_e32 v33, 0
	s_mov_b32 s16, exec_lo
	v_and_b32_e32 v12, 0xff, v35
	s_delay_alu instid0(VALU_DEP_1)
	v_cmpx_ne_u16_e32 0, v12
	s_cbranch_execz .LBB340_129
; %bb.122:                              ;   in Loop: Header=BB340_9 Depth=1
	v_bfrev_b32_e32 v33, 1
	s_mov_b32 s17, exec_lo
	v_cmpx_ne_u16_e32 0x80, v12
	s_cbranch_execz .LBB340_128
; %bb.123:                              ;   in Loop: Header=BB340_9 Depth=1
	v_bfe_u32 v24, v34, 16, 7
	v_mov_b32_e32 v33, 0x7f800001
	s_mov_b32 s18, exec_lo
	s_delay_alu instid0(VALU_DEP_2)
	v_cmpx_ne_u32_e32 0x7f, v24
	s_cbranch_execz .LBB340_127
; %bb.124:                              ;   in Loop: Header=BB340_9 Depth=1
	v_dual_lshrrev_b32 v33, 3, v24 :: v_dual_bitop2_b32 v12, 7, v35 bitop3:0x40
	v_cmp_gt_u32_e64 s2, 8, v24
	s_delay_alu instid0(VALU_DEP_2)
	v_mov_b64_e32 v[24:25], v[12:13]
	s_and_saveexec_b32 s19, s2
; %bb.125:                              ;   in Loop: Header=BB340_9 Depth=1
	v_clz_i32_u32_e32 v24, v12
	s_delay_alu instid0(VALU_DEP_1) | instskip(NEXT) | instid1(VALU_DEP_1)
	v_min_u32_e32 v33, 32, v24
	v_subrev_nc_u32_e32 v24, 28, v33
	s_delay_alu instid0(VALU_DEP_1) | instskip(NEXT) | instid1(VALU_DEP_1)
	v_lshlrev_b64_e32 v[24:25], v24, v[12:13]
	v_dual_sub_nc_u32 v33, 29, v33 :: v_dual_bitop2_b32 v24, 7, v24 bitop3:0x40
; %bb.126:                              ;   in Loop: Header=BB340_9 Depth=1
	s_or_b32 exec_lo, exec_lo, s19
	s_delay_alu instid0(VALU_DEP_1) | instskip(NEXT) | instid1(VALU_DEP_2)
	v_dual_lshlrev_b32 v12, 24, v35 :: v_dual_lshlrev_b32 v24, 20, v24
	v_lshl_add_u32 v25, v33, 23, 0x3c000000
	s_delay_alu instid0(VALU_DEP_2) | instskip(NEXT) | instid1(VALU_DEP_1)
	v_and_b32_e32 v12, 0x80000000, v12
	v_or3_b32 v33, v24, v12, v25
.LBB340_127:                            ;   in Loop: Header=BB340_9 Depth=1
	s_or_b32 exec_lo, exec_lo, s18
.LBB340_128:                            ;   in Loop: Header=BB340_9 Depth=1
	s_delay_alu instid0(SALU_CYCLE_1)
	s_or_b32 exec_lo, exec_lo, s17
.LBB340_129:                            ;   in Loop: Header=BB340_9 Depth=1
	s_delay_alu instid0(SALU_CYCLE_1) | instskip(NEXT) | instid1(SALU_CYCLE_1)
	s_or_b32 exec_lo, exec_lo, s16
	s_mov_b32 s16, exec_lo
	v_cmpx_lt_u32_e32 0xffffff, v34
	s_cbranch_execz .LBB340_137
; %bb.130:                              ;   in Loop: Header=BB340_9 Depth=1
	v_lshrrev_b32_e32 v35, 24, v34
	v_bfrev_b32_e32 v31, 1
	s_mov_b32 s17, exec_lo
	s_delay_alu instid0(VALU_DEP_2)
	v_cmpx_ne_u32_e32 0x80, v35
	s_cbranch_execz .LBB340_136
; %bb.131:                              ;   in Loop: Header=BB340_9 Depth=1
	v_bfe_u32 v24, v34, 24, 7
	v_mov_b32_e32 v31, 0x7f800001
	s_mov_b32 s18, exec_lo
	s_delay_alu instid0(VALU_DEP_2)
	v_cmpx_ne_u32_e32 0x7f, v24
	s_cbranch_execz .LBB340_135
; %bb.132:                              ;   in Loop: Header=BB340_9 Depth=1
	v_dual_lshrrev_b32 v31, 3, v24 :: v_dual_bitop2_b32 v12, 7, v35 bitop3:0x40
	v_cmp_gt_u32_e64 s2, 8, v24
	s_delay_alu instid0(VALU_DEP_2)
	v_mov_b64_e32 v[24:25], v[12:13]
	s_and_saveexec_b32 s19, s2
; %bb.133:                              ;   in Loop: Header=BB340_9 Depth=1
	v_clz_i32_u32_e32 v24, v12
	s_delay_alu instid0(VALU_DEP_1) | instskip(NEXT) | instid1(VALU_DEP_1)
	v_min_u32_e32 v31, 32, v24
	v_subrev_nc_u32_e32 v24, 28, v31
	s_delay_alu instid0(VALU_DEP_1) | instskip(NEXT) | instid1(VALU_DEP_1)
	v_lshlrev_b64_e32 v[24:25], v24, v[12:13]
	v_dual_sub_nc_u32 v31, 29, v31 :: v_dual_bitop2_b32 v24, 7, v24 bitop3:0x40
; %bb.134:                              ;   in Loop: Header=BB340_9 Depth=1
	s_or_b32 exec_lo, exec_lo, s19
	s_delay_alu instid0(VALU_DEP_1) | instskip(NEXT) | instid1(VALU_DEP_2)
	v_dual_lshlrev_b32 v12, 24, v35 :: v_dual_lshlrev_b32 v24, 20, v24
	v_lshl_add_u32 v25, v31, 23, 0x3c000000
	s_delay_alu instid0(VALU_DEP_2) | instskip(NEXT) | instid1(VALU_DEP_1)
	v_and_b32_e32 v12, 0x80000000, v12
	v_or3_b32 v31, v24, v12, v25
.LBB340_135:                            ;   in Loop: Header=BB340_9 Depth=1
	s_or_b32 exec_lo, exec_lo, s18
.LBB340_136:                            ;   in Loop: Header=BB340_9 Depth=1
	s_delay_alu instid0(SALU_CYCLE_1)
	s_or_b32 exec_lo, exec_lo, s17
.LBB340_137:                            ;   in Loop: Header=BB340_9 Depth=1
	s_delay_alu instid0(SALU_CYCLE_1)
	s_or_b32 exec_lo, exec_lo, s16
	flat_load_b32 v49, v[16:17] offset:512
	v_dual_mov_b32 v34, 0 :: v_dual_mov_b32 v35, 0
	s_mov_b32 s16, exec_lo
	s_wait_loadcnt_dscnt 0x0
	v_and_b32_e32 v12, 0xff, v49
	s_wait_xcnt 0x0
	s_delay_alu instid0(VALU_DEP_1)
	v_cmpx_ne_u16_e32 0, v12
	s_cbranch_execz .LBB340_145
; %bb.138:                              ;   in Loop: Header=BB340_9 Depth=1
	v_bfrev_b32_e32 v35, 1
	s_mov_b32 s17, exec_lo
	v_cmpx_ne_u16_e32 0x80, v12
	s_cbranch_execz .LBB340_144
; %bb.139:                              ;   in Loop: Header=BB340_9 Depth=1
	v_and_b32_e32 v24, 0x7f, v49
	v_mov_b32_e32 v35, 0x7f800001
	s_mov_b32 s18, exec_lo
	s_delay_alu instid0(VALU_DEP_2)
	v_cmpx_ne_u32_e32 0x7f, v24
	s_cbranch_execz .LBB340_143
; %bb.140:                              ;   in Loop: Header=BB340_9 Depth=1
	v_dual_lshrrev_b32 v35, 3, v24 :: v_dual_bitop2_b32 v12, 7, v49 bitop3:0x40
	v_cmp_gt_u32_e64 s2, 8, v24
	s_delay_alu instid0(VALU_DEP_2)
	v_mov_b64_e32 v[24:25], v[12:13]
	s_and_saveexec_b32 s19, s2
; %bb.141:                              ;   in Loop: Header=BB340_9 Depth=1
	v_clz_i32_u32_e32 v24, v12
	s_delay_alu instid0(VALU_DEP_1) | instskip(NEXT) | instid1(VALU_DEP_1)
	v_min_u32_e32 v35, 32, v24
	v_subrev_nc_u32_e32 v24, 28, v35
	s_delay_alu instid0(VALU_DEP_1) | instskip(NEXT) | instid1(VALU_DEP_1)
	v_lshlrev_b64_e32 v[24:25], v24, v[12:13]
	v_dual_sub_nc_u32 v35, 29, v35 :: v_dual_bitop2_b32 v24, 7, v24 bitop3:0x40
; %bb.142:                              ;   in Loop: Header=BB340_9 Depth=1
	s_or_b32 exec_lo, exec_lo, s19
	s_delay_alu instid0(VALU_DEP_1) | instskip(NEXT) | instid1(VALU_DEP_2)
	v_dual_lshlrev_b32 v12, 24, v49 :: v_dual_lshlrev_b32 v24, 20, v24
	v_lshl_add_u32 v25, v35, 23, 0x3c000000
	s_delay_alu instid0(VALU_DEP_2) | instskip(NEXT) | instid1(VALU_DEP_1)
	v_and_b32_e32 v12, 0x80000000, v12
	v_or3_b32 v35, v24, v12, v25
.LBB340_143:                            ;   in Loop: Header=BB340_9 Depth=1
	s_or_b32 exec_lo, exec_lo, s18
.LBB340_144:                            ;   in Loop: Header=BB340_9 Depth=1
	s_delay_alu instid0(SALU_CYCLE_1)
	s_or_b32 exec_lo, exec_lo, s17
.LBB340_145:                            ;   in Loop: Header=BB340_9 Depth=1
	s_delay_alu instid0(SALU_CYCLE_1) | instskip(SKIP_2) | instid1(VALU_DEP_1)
	s_or_b32 exec_lo, exec_lo, s16
	v_lshrrev_b16 v12, 8, v49
	s_mov_b32 s16, exec_lo
	v_cmpx_ne_u16_e32 0, v12
	s_cbranch_execz .LBB340_153
; %bb.146:                              ;   in Loop: Header=BB340_9 Depth=1
	v_bfrev_b32_e32 v34, 1
	s_mov_b32 s17, exec_lo
	v_cmpx_ne_u16_e32 0x80, v12
	s_cbranch_execz .LBB340_152
; %bb.147:                              ;   in Loop: Header=BB340_9 Depth=1
	v_and_b32_e32 v12, 0xffff, v12
	v_mov_b32_e32 v34, 0x7f800001
	s_mov_b32 s18, exec_lo
	s_delay_alu instid0(VALU_DEP_2) | instskip(NEXT) | instid1(VALU_DEP_1)
	v_and_b32_e32 v24, 0x7f, v12
	v_cmpx_ne_u32_e32 0x7f, v24
	s_cbranch_execz .LBB340_151
; %bb.148:                              ;   in Loop: Header=BB340_9 Depth=1
	v_and_b32_e32 v12, 7, v12
	v_lshrrev_b32_e32 v34, 3, v24
	v_cmp_gt_u32_e64 s2, 8, v24
	s_delay_alu instid0(VALU_DEP_3)
	v_mov_b64_e32 v[24:25], v[12:13]
	s_and_saveexec_b32 s19, s2
; %bb.149:                              ;   in Loop: Header=BB340_9 Depth=1
	v_clz_i32_u32_e32 v24, v12
	s_delay_alu instid0(VALU_DEP_1) | instskip(NEXT) | instid1(VALU_DEP_1)
	v_min_u32_e32 v34, 32, v24
	v_subrev_nc_u32_e32 v24, 28, v34
	s_delay_alu instid0(VALU_DEP_1) | instskip(NEXT) | instid1(VALU_DEP_1)
	v_lshlrev_b64_e32 v[24:25], v24, v[12:13]
	v_dual_sub_nc_u32 v34, 29, v34 :: v_dual_bitop2_b32 v24, 7, v24 bitop3:0x40
; %bb.150:                              ;   in Loop: Header=BB340_9 Depth=1
	s_or_b32 exec_lo, exec_lo, s19
	s_delay_alu instid0(VALU_DEP_1) | instskip(NEXT) | instid1(VALU_DEP_2)
	v_dual_lshlrev_b32 v12, 16, v49 :: v_dual_lshlrev_b32 v24, 20, v24
	v_lshl_add_u32 v25, v34, 23, 0x3c000000
	s_delay_alu instid0(VALU_DEP_2) | instskip(NEXT) | instid1(VALU_DEP_1)
	v_and_b32_e32 v12, 0x80000000, v12
	v_or3_b32 v34, v24, v12, v25
.LBB340_151:                            ;   in Loop: Header=BB340_9 Depth=1
	s_or_b32 exec_lo, exec_lo, s18
.LBB340_152:                            ;   in Loop: Header=BB340_9 Depth=1
	s_delay_alu instid0(SALU_CYCLE_1)
	s_or_b32 exec_lo, exec_lo, s17
.LBB340_153:                            ;   in Loop: Header=BB340_9 Depth=1
	s_delay_alu instid0(SALU_CYCLE_1) | instskip(SKIP_3) | instid1(VALU_DEP_2)
	s_or_b32 exec_lo, exec_lo, s16
	v_dual_lshrrev_b32 v52, 16, v49 :: v_dual_mov_b32 v50, 0
	v_mov_b32_e32 v51, 0
	s_mov_b32 s16, exec_lo
	v_and_b32_e32 v12, 0xff, v52
	s_delay_alu instid0(VALU_DEP_1)
	v_cmpx_ne_u16_e32 0, v12
	s_cbranch_execz .LBB340_161
; %bb.154:                              ;   in Loop: Header=BB340_9 Depth=1
	v_bfrev_b32_e32 v51, 1
	s_mov_b32 s17, exec_lo
	v_cmpx_ne_u16_e32 0x80, v12
	s_cbranch_execz .LBB340_160
; %bb.155:                              ;   in Loop: Header=BB340_9 Depth=1
	v_bfe_u32 v24, v49, 16, 7
	v_mov_b32_e32 v51, 0x7f800001
	s_mov_b32 s18, exec_lo
	s_delay_alu instid0(VALU_DEP_2)
	v_cmpx_ne_u32_e32 0x7f, v24
	s_cbranch_execz .LBB340_159
; %bb.156:                              ;   in Loop: Header=BB340_9 Depth=1
	v_and_b32_e32 v12, 7, v52
	v_lshrrev_b32_e32 v51, 3, v24
	v_cmp_gt_u32_e64 s2, 8, v24
	s_delay_alu instid0(VALU_DEP_3)
	v_mov_b64_e32 v[24:25], v[12:13]
	s_and_saveexec_b32 s19, s2
; %bb.157:                              ;   in Loop: Header=BB340_9 Depth=1
	v_clz_i32_u32_e32 v24, v12
	s_delay_alu instid0(VALU_DEP_1) | instskip(NEXT) | instid1(VALU_DEP_1)
	v_min_u32_e32 v51, 32, v24
	v_subrev_nc_u32_e32 v24, 28, v51
	s_delay_alu instid0(VALU_DEP_1) | instskip(NEXT) | instid1(VALU_DEP_1)
	v_lshlrev_b64_e32 v[24:25], v24, v[12:13]
	v_dual_sub_nc_u32 v51, 29, v51 :: v_dual_bitop2_b32 v24, 7, v24 bitop3:0x40
; %bb.158:                              ;   in Loop: Header=BB340_9 Depth=1
	s_or_b32 exec_lo, exec_lo, s19
	v_lshlrev_b32_e32 v12, 24, v52
	s_delay_alu instid0(VALU_DEP_2) | instskip(NEXT) | instid1(VALU_DEP_3)
	v_lshlrev_b32_e32 v24, 20, v24
	v_lshl_add_u32 v25, v51, 23, 0x3c000000
	s_delay_alu instid0(VALU_DEP_3) | instskip(NEXT) | instid1(VALU_DEP_1)
	v_and_b32_e32 v12, 0x80000000, v12
	v_or3_b32 v51, v24, v12, v25
.LBB340_159:                            ;   in Loop: Header=BB340_9 Depth=1
	s_or_b32 exec_lo, exec_lo, s18
.LBB340_160:                            ;   in Loop: Header=BB340_9 Depth=1
	s_delay_alu instid0(SALU_CYCLE_1)
	s_or_b32 exec_lo, exec_lo, s17
.LBB340_161:                            ;   in Loop: Header=BB340_9 Depth=1
	s_delay_alu instid0(SALU_CYCLE_1) | instskip(NEXT) | instid1(SALU_CYCLE_1)
	s_or_b32 exec_lo, exec_lo, s16
	s_mov_b32 s16, exec_lo
	v_cmpx_lt_u32_e32 0xffffff, v49
	s_cbranch_execz .LBB340_169
; %bb.162:                              ;   in Loop: Header=BB340_9 Depth=1
	v_lshrrev_b32_e32 v52, 24, v49
	v_bfrev_b32_e32 v50, 1
	s_mov_b32 s17, exec_lo
	s_delay_alu instid0(VALU_DEP_2)
	v_cmpx_ne_u32_e32 0x80, v52
	s_cbranch_execz .LBB340_168
; %bb.163:                              ;   in Loop: Header=BB340_9 Depth=1
	v_bfe_u32 v24, v49, 24, 7
	v_mov_b32_e32 v50, 0x7f800001
	s_mov_b32 s18, exec_lo
	s_delay_alu instid0(VALU_DEP_2)
	v_cmpx_ne_u32_e32 0x7f, v24
	s_cbranch_execz .LBB340_167
; %bb.164:                              ;   in Loop: Header=BB340_9 Depth=1
	v_and_b32_e32 v12, 7, v52
	v_lshrrev_b32_e32 v49, 3, v24
	v_cmp_gt_u32_e64 s2, 8, v24
	s_delay_alu instid0(VALU_DEP_3)
	v_mov_b64_e32 v[24:25], v[12:13]
	s_and_saveexec_b32 s19, s2
; %bb.165:                              ;   in Loop: Header=BB340_9 Depth=1
	v_clz_i32_u32_e32 v24, v12
	s_delay_alu instid0(VALU_DEP_1) | instskip(NEXT) | instid1(VALU_DEP_1)
	v_min_u32_e32 v49, 32, v24
	v_subrev_nc_u32_e32 v24, 28, v49
	s_delay_alu instid0(VALU_DEP_1) | instskip(NEXT) | instid1(VALU_DEP_1)
	v_lshlrev_b64_e32 v[24:25], v24, v[12:13]
	v_dual_sub_nc_u32 v49, 29, v49 :: v_dual_bitop2_b32 v24, 7, v24 bitop3:0x40
; %bb.166:                              ;   in Loop: Header=BB340_9 Depth=1
	s_or_b32 exec_lo, exec_lo, s19
	v_lshlrev_b32_e32 v12, 24, v52
	s_delay_alu instid0(VALU_DEP_2) | instskip(NEXT) | instid1(VALU_DEP_3)
	v_lshlrev_b32_e32 v24, 20, v24
	v_lshl_add_u32 v25, v49, 23, 0x3c000000
	s_delay_alu instid0(VALU_DEP_3) | instskip(NEXT) | instid1(VALU_DEP_1)
	v_and_b32_e32 v12, 0x80000000, v12
	v_or3_b32 v50, v24, v12, v25
.LBB340_167:                            ;   in Loop: Header=BB340_9 Depth=1
	s_or_b32 exec_lo, exec_lo, s18
.LBB340_168:                            ;   in Loop: Header=BB340_9 Depth=1
	s_delay_alu instid0(SALU_CYCLE_1)
	s_or_b32 exec_lo, exec_lo, s17
.LBB340_169:                            ;   in Loop: Header=BB340_9 Depth=1
	s_delay_alu instid0(SALU_CYCLE_1)
	s_or_b32 exec_lo, exec_lo, s16
	flat_load_b32 v49, v[16:17] offset:520
	v_dual_mov_b32 v52, 0 :: v_dual_mov_b32 v53, 0
	s_mov_b32 s16, exec_lo
	s_wait_loadcnt_dscnt 0x0
	v_and_b32_e32 v12, 0xff, v49
	s_wait_xcnt 0x0
	s_delay_alu instid0(VALU_DEP_1)
	v_cmpx_ne_u16_e32 0, v12
	s_cbranch_execz .LBB340_177
; %bb.170:                              ;   in Loop: Header=BB340_9 Depth=1
	v_bfrev_b32_e32 v53, 1
	s_mov_b32 s17, exec_lo
	v_cmpx_ne_u16_e32 0x80, v12
	s_cbranch_execz .LBB340_176
; %bb.171:                              ;   in Loop: Header=BB340_9 Depth=1
	v_and_b32_e32 v24, 0x7f, v49
	v_mov_b32_e32 v53, 0x7f800001
	s_mov_b32 s18, exec_lo
	s_delay_alu instid0(VALU_DEP_2)
	v_cmpx_ne_u32_e32 0x7f, v24
	s_cbranch_execz .LBB340_175
; %bb.172:                              ;   in Loop: Header=BB340_9 Depth=1
	v_dual_lshrrev_b32 v53, 3, v24 :: v_dual_bitop2_b32 v12, 7, v49 bitop3:0x40
	v_cmp_gt_u32_e64 s2, 8, v24
	s_delay_alu instid0(VALU_DEP_2)
	v_mov_b64_e32 v[24:25], v[12:13]
	s_and_saveexec_b32 s19, s2
; %bb.173:                              ;   in Loop: Header=BB340_9 Depth=1
	v_clz_i32_u32_e32 v24, v12
	s_delay_alu instid0(VALU_DEP_1) | instskip(NEXT) | instid1(VALU_DEP_1)
	v_min_u32_e32 v53, 32, v24
	v_subrev_nc_u32_e32 v24, 28, v53
	s_delay_alu instid0(VALU_DEP_1) | instskip(NEXT) | instid1(VALU_DEP_1)
	v_lshlrev_b64_e32 v[24:25], v24, v[12:13]
	v_dual_sub_nc_u32 v53, 29, v53 :: v_dual_bitop2_b32 v24, 7, v24 bitop3:0x40
; %bb.174:                              ;   in Loop: Header=BB340_9 Depth=1
	s_or_b32 exec_lo, exec_lo, s19
	s_delay_alu instid0(VALU_DEP_1) | instskip(NEXT) | instid1(VALU_DEP_2)
	v_dual_lshlrev_b32 v12, 24, v49 :: v_dual_lshlrev_b32 v24, 20, v24
	v_lshl_add_u32 v25, v53, 23, 0x3c000000
	s_delay_alu instid0(VALU_DEP_2) | instskip(NEXT) | instid1(VALU_DEP_1)
	v_and_b32_e32 v12, 0x80000000, v12
	v_or3_b32 v53, v24, v12, v25
.LBB340_175:                            ;   in Loop: Header=BB340_9 Depth=1
	s_or_b32 exec_lo, exec_lo, s18
.LBB340_176:                            ;   in Loop: Header=BB340_9 Depth=1
	s_delay_alu instid0(SALU_CYCLE_1)
	s_or_b32 exec_lo, exec_lo, s17
.LBB340_177:                            ;   in Loop: Header=BB340_9 Depth=1
	s_delay_alu instid0(SALU_CYCLE_1) | instskip(SKIP_2) | instid1(VALU_DEP_1)
	s_or_b32 exec_lo, exec_lo, s16
	v_lshrrev_b16 v12, 8, v49
	s_mov_b32 s16, exec_lo
	v_cmpx_ne_u16_e32 0, v12
	s_cbranch_execz .LBB340_185
; %bb.178:                              ;   in Loop: Header=BB340_9 Depth=1
	v_bfrev_b32_e32 v52, 1
	s_mov_b32 s17, exec_lo
	v_cmpx_ne_u16_e32 0x80, v12
	s_cbranch_execz .LBB340_184
; %bb.179:                              ;   in Loop: Header=BB340_9 Depth=1
	v_and_b32_e32 v12, 0xffff, v12
	v_mov_b32_e32 v52, 0x7f800001
	s_mov_b32 s18, exec_lo
	s_delay_alu instid0(VALU_DEP_2) | instskip(NEXT) | instid1(VALU_DEP_1)
	v_and_b32_e32 v24, 0x7f, v12
	v_cmpx_ne_u32_e32 0x7f, v24
	s_cbranch_execz .LBB340_183
; %bb.180:                              ;   in Loop: Header=BB340_9 Depth=1
	v_and_b32_e32 v12, 7, v12
	v_lshrrev_b32_e32 v52, 3, v24
	v_cmp_gt_u32_e64 s2, 8, v24
	s_delay_alu instid0(VALU_DEP_3)
	v_mov_b64_e32 v[24:25], v[12:13]
	s_and_saveexec_b32 s19, s2
; %bb.181:                              ;   in Loop: Header=BB340_9 Depth=1
	v_clz_i32_u32_e32 v24, v12
	s_delay_alu instid0(VALU_DEP_1) | instskip(NEXT) | instid1(VALU_DEP_1)
	v_min_u32_e32 v52, 32, v24
	v_subrev_nc_u32_e32 v24, 28, v52
	v_sub_nc_u32_e32 v52, 29, v52
	s_delay_alu instid0(VALU_DEP_2) | instskip(NEXT) | instid1(VALU_DEP_1)
	v_lshlrev_b64_e32 v[24:25], v24, v[12:13]
	v_and_b32_e32 v24, 7, v24
; %bb.182:                              ;   in Loop: Header=BB340_9 Depth=1
	s_or_b32 exec_lo, exec_lo, s19
	s_delay_alu instid0(VALU_DEP_1) | instskip(SKIP_1) | instid1(VALU_DEP_2)
	v_dual_lshlrev_b32 v12, 16, v49 :: v_dual_lshlrev_b32 v24, 20, v24
	v_lshl_add_u32 v25, v52, 23, 0x3c000000
	v_and_b32_e32 v12, 0x80000000, v12
	s_delay_alu instid0(VALU_DEP_1)
	v_or3_b32 v52, v24, v12, v25
.LBB340_183:                            ;   in Loop: Header=BB340_9 Depth=1
	s_or_b32 exec_lo, exec_lo, s18
.LBB340_184:                            ;   in Loop: Header=BB340_9 Depth=1
	s_delay_alu instid0(SALU_CYCLE_1)
	s_or_b32 exec_lo, exec_lo, s17
.LBB340_185:                            ;   in Loop: Header=BB340_9 Depth=1
	s_delay_alu instid0(SALU_CYCLE_1) | instskip(SKIP_3) | instid1(VALU_DEP_2)
	s_or_b32 exec_lo, exec_lo, s16
	v_dual_lshrrev_b32 v64, 16, v49 :: v_dual_mov_b32 v54, 0
	v_mov_b32_e32 v55, 0
	s_mov_b32 s16, exec_lo
	v_and_b32_e32 v12, 0xff, v64
	s_delay_alu instid0(VALU_DEP_1)
	v_cmpx_ne_u16_e32 0, v12
	s_cbranch_execz .LBB340_193
; %bb.186:                              ;   in Loop: Header=BB340_9 Depth=1
	v_bfrev_b32_e32 v55, 1
	s_mov_b32 s17, exec_lo
	v_cmpx_ne_u16_e32 0x80, v12
	s_cbranch_execz .LBB340_192
; %bb.187:                              ;   in Loop: Header=BB340_9 Depth=1
	v_bfe_u32 v24, v49, 16, 7
	v_mov_b32_e32 v55, 0x7f800001
	s_mov_b32 s18, exec_lo
	s_delay_alu instid0(VALU_DEP_2)
	v_cmpx_ne_u32_e32 0x7f, v24
	s_cbranch_execz .LBB340_191
; %bb.188:                              ;   in Loop: Header=BB340_9 Depth=1
	v_and_b32_e32 v12, 7, v64
	v_lshrrev_b32_e32 v55, 3, v24
	v_cmp_gt_u32_e64 s2, 8, v24
	s_delay_alu instid0(VALU_DEP_3)
	v_mov_b64_e32 v[24:25], v[12:13]
	s_and_saveexec_b32 s19, s2
; %bb.189:                              ;   in Loop: Header=BB340_9 Depth=1
	v_clz_i32_u32_e32 v24, v12
	s_delay_alu instid0(VALU_DEP_1) | instskip(NEXT) | instid1(VALU_DEP_1)
	v_min_u32_e32 v55, 32, v24
	v_subrev_nc_u32_e32 v24, 28, v55
	s_delay_alu instid0(VALU_DEP_1) | instskip(NEXT) | instid1(VALU_DEP_1)
	v_lshlrev_b64_e32 v[24:25], v24, v[12:13]
	v_dual_sub_nc_u32 v55, 29, v55 :: v_dual_bitop2_b32 v24, 7, v24 bitop3:0x40
; %bb.190:                              ;   in Loop: Header=BB340_9 Depth=1
	s_or_b32 exec_lo, exec_lo, s19
	v_lshlrev_b32_e32 v12, 24, v64
	s_delay_alu instid0(VALU_DEP_2) | instskip(NEXT) | instid1(VALU_DEP_3)
	v_lshlrev_b32_e32 v24, 20, v24
	v_lshl_add_u32 v25, v55, 23, 0x3c000000
	s_delay_alu instid0(VALU_DEP_3) | instskip(NEXT) | instid1(VALU_DEP_1)
	v_and_b32_e32 v12, 0x80000000, v12
	v_or3_b32 v55, v24, v12, v25
.LBB340_191:                            ;   in Loop: Header=BB340_9 Depth=1
	s_or_b32 exec_lo, exec_lo, s18
.LBB340_192:                            ;   in Loop: Header=BB340_9 Depth=1
	s_delay_alu instid0(SALU_CYCLE_1)
	s_or_b32 exec_lo, exec_lo, s17
.LBB340_193:                            ;   in Loop: Header=BB340_9 Depth=1
	s_delay_alu instid0(SALU_CYCLE_1) | instskip(NEXT) | instid1(SALU_CYCLE_1)
	s_or_b32 exec_lo, exec_lo, s16
	s_mov_b32 s16, exec_lo
	v_cmpx_lt_u32_e32 0xffffff, v49
	s_cbranch_execz .LBB340_201
; %bb.194:                              ;   in Loop: Header=BB340_9 Depth=1
	v_lshrrev_b32_e32 v64, 24, v49
	v_bfrev_b32_e32 v54, 1
	s_mov_b32 s17, exec_lo
	s_delay_alu instid0(VALU_DEP_2)
	v_cmpx_ne_u32_e32 0x80, v64
	s_cbranch_execz .LBB340_200
; %bb.195:                              ;   in Loop: Header=BB340_9 Depth=1
	v_bfe_u32 v24, v49, 24, 7
	v_mov_b32_e32 v54, 0x7f800001
	s_mov_b32 s18, exec_lo
	s_delay_alu instid0(VALU_DEP_2)
	v_cmpx_ne_u32_e32 0x7f, v24
	s_cbranch_execz .LBB340_199
; %bb.196:                              ;   in Loop: Header=BB340_9 Depth=1
	v_and_b32_e32 v12, 7, v64
	v_lshrrev_b32_e32 v49, 3, v24
	v_cmp_gt_u32_e64 s2, 8, v24
	s_delay_alu instid0(VALU_DEP_3)
	v_mov_b64_e32 v[24:25], v[12:13]
	s_and_saveexec_b32 s19, s2
; %bb.197:                              ;   in Loop: Header=BB340_9 Depth=1
	v_clz_i32_u32_e32 v24, v12
	s_delay_alu instid0(VALU_DEP_1) | instskip(NEXT) | instid1(VALU_DEP_1)
	v_min_u32_e32 v49, 32, v24
	v_subrev_nc_u32_e32 v24, 28, v49
	s_delay_alu instid0(VALU_DEP_1) | instskip(NEXT) | instid1(VALU_DEP_1)
	v_lshlrev_b64_e32 v[24:25], v24, v[12:13]
	v_dual_sub_nc_u32 v49, 29, v49 :: v_dual_bitop2_b32 v24, 7, v24 bitop3:0x40
; %bb.198:                              ;   in Loop: Header=BB340_9 Depth=1
	s_or_b32 exec_lo, exec_lo, s19
	v_lshlrev_b32_e32 v12, 24, v64
	s_delay_alu instid0(VALU_DEP_2) | instskip(NEXT) | instid1(VALU_DEP_3)
	v_lshlrev_b32_e32 v24, 20, v24
	v_lshl_add_u32 v25, v49, 23, 0x3c000000
	s_delay_alu instid0(VALU_DEP_3) | instskip(NEXT) | instid1(VALU_DEP_1)
	v_and_b32_e32 v12, 0x80000000, v12
	v_or3_b32 v54, v24, v12, v25
.LBB340_199:                            ;   in Loop: Header=BB340_9 Depth=1
	s_or_b32 exec_lo, exec_lo, s18
.LBB340_200:                            ;   in Loop: Header=BB340_9 Depth=1
	s_delay_alu instid0(SALU_CYCLE_1)
	s_or_b32 exec_lo, exec_lo, s17
.LBB340_201:                            ;   in Loop: Header=BB340_9 Depth=1
	s_delay_alu instid0(SALU_CYCLE_1)
	s_or_b32 exec_lo, exec_lo, s16
	flat_load_b32 v49, v[16:17] offset:768
	v_dual_mov_b32 v64, 0 :: v_dual_mov_b32 v65, 0
	s_mov_b32 s16, exec_lo
	s_wait_loadcnt_dscnt 0x0
	v_and_b32_e32 v12, 0xff, v49
	s_wait_xcnt 0x0
	s_delay_alu instid0(VALU_DEP_1)
	v_cmpx_ne_u16_e32 0, v12
	s_cbranch_execz .LBB340_209
; %bb.202:                              ;   in Loop: Header=BB340_9 Depth=1
	v_bfrev_b32_e32 v65, 1
	s_mov_b32 s17, exec_lo
	v_cmpx_ne_u16_e32 0x80, v12
	s_cbranch_execz .LBB340_208
; %bb.203:                              ;   in Loop: Header=BB340_9 Depth=1
	v_and_b32_e32 v24, 0x7f, v49
	v_mov_b32_e32 v65, 0x7f800001
	s_mov_b32 s18, exec_lo
	s_delay_alu instid0(VALU_DEP_2)
	v_cmpx_ne_u32_e32 0x7f, v24
	s_cbranch_execz .LBB340_207
; %bb.204:                              ;   in Loop: Header=BB340_9 Depth=1
	v_dual_lshrrev_b32 v65, 3, v24 :: v_dual_bitop2_b32 v12, 7, v49 bitop3:0x40
	v_cmp_gt_u32_e64 s2, 8, v24
	s_delay_alu instid0(VALU_DEP_2)
	v_mov_b64_e32 v[24:25], v[12:13]
	s_and_saveexec_b32 s19, s2
; %bb.205:                              ;   in Loop: Header=BB340_9 Depth=1
	v_clz_i32_u32_e32 v24, v12
	s_delay_alu instid0(VALU_DEP_1) | instskip(NEXT) | instid1(VALU_DEP_1)
	v_min_u32_e32 v65, 32, v24
	v_subrev_nc_u32_e32 v24, 28, v65
	s_delay_alu instid0(VALU_DEP_1) | instskip(NEXT) | instid1(VALU_DEP_1)
	v_lshlrev_b64_e32 v[24:25], v24, v[12:13]
	v_dual_sub_nc_u32 v65, 29, v65 :: v_dual_bitop2_b32 v24, 7, v24 bitop3:0x40
; %bb.206:                              ;   in Loop: Header=BB340_9 Depth=1
	s_or_b32 exec_lo, exec_lo, s19
	s_delay_alu instid0(VALU_DEP_1) | instskip(NEXT) | instid1(VALU_DEP_2)
	v_dual_lshlrev_b32 v12, 24, v49 :: v_dual_lshlrev_b32 v24, 20, v24
	v_lshl_add_u32 v25, v65, 23, 0x3c000000
	s_delay_alu instid0(VALU_DEP_2) | instskip(NEXT) | instid1(VALU_DEP_1)
	v_and_b32_e32 v12, 0x80000000, v12
	v_or3_b32 v65, v24, v12, v25
.LBB340_207:                            ;   in Loop: Header=BB340_9 Depth=1
	s_or_b32 exec_lo, exec_lo, s18
.LBB340_208:                            ;   in Loop: Header=BB340_9 Depth=1
	s_delay_alu instid0(SALU_CYCLE_1)
	s_or_b32 exec_lo, exec_lo, s17
.LBB340_209:                            ;   in Loop: Header=BB340_9 Depth=1
	s_delay_alu instid0(SALU_CYCLE_1) | instskip(SKIP_2) | instid1(VALU_DEP_1)
	s_or_b32 exec_lo, exec_lo, s16
	v_lshrrev_b16 v12, 8, v49
	s_mov_b32 s16, exec_lo
	v_cmpx_ne_u16_e32 0, v12
	s_cbranch_execz .LBB340_217
; %bb.210:                              ;   in Loop: Header=BB340_9 Depth=1
	v_bfrev_b32_e32 v64, 1
	s_mov_b32 s17, exec_lo
	v_cmpx_ne_u16_e32 0x80, v12
	s_cbranch_execz .LBB340_216
; %bb.211:                              ;   in Loop: Header=BB340_9 Depth=1
	v_and_b32_e32 v12, 0xffff, v12
	v_mov_b32_e32 v64, 0x7f800001
	s_mov_b32 s18, exec_lo
	s_delay_alu instid0(VALU_DEP_2) | instskip(NEXT) | instid1(VALU_DEP_1)
	v_and_b32_e32 v24, 0x7f, v12
	v_cmpx_ne_u32_e32 0x7f, v24
	s_cbranch_execz .LBB340_215
; %bb.212:                              ;   in Loop: Header=BB340_9 Depth=1
	v_and_b32_e32 v12, 7, v12
	v_lshrrev_b32_e32 v64, 3, v24
	v_cmp_gt_u32_e64 s2, 8, v24
	s_delay_alu instid0(VALU_DEP_3)
	v_mov_b64_e32 v[24:25], v[12:13]
	s_and_saveexec_b32 s19, s2
; %bb.213:                              ;   in Loop: Header=BB340_9 Depth=1
	v_clz_i32_u32_e32 v24, v12
	s_delay_alu instid0(VALU_DEP_1) | instskip(NEXT) | instid1(VALU_DEP_1)
	v_min_u32_e32 v64, 32, v24
	v_subrev_nc_u32_e32 v24, 28, v64
	v_sub_nc_u32_e32 v64, 29, v64
	s_delay_alu instid0(VALU_DEP_2) | instskip(NEXT) | instid1(VALU_DEP_1)
	v_lshlrev_b64_e32 v[24:25], v24, v[12:13]
	v_and_b32_e32 v24, 7, v24
; %bb.214:                              ;   in Loop: Header=BB340_9 Depth=1
	s_or_b32 exec_lo, exec_lo, s19
	s_delay_alu instid0(VALU_DEP_1) | instskip(SKIP_1) | instid1(VALU_DEP_2)
	v_dual_lshlrev_b32 v12, 16, v49 :: v_dual_lshlrev_b32 v24, 20, v24
	v_lshl_add_u32 v25, v64, 23, 0x3c000000
	v_and_b32_e32 v12, 0x80000000, v12
	s_delay_alu instid0(VALU_DEP_1)
	v_or3_b32 v64, v24, v12, v25
.LBB340_215:                            ;   in Loop: Header=BB340_9 Depth=1
	s_or_b32 exec_lo, exec_lo, s18
.LBB340_216:                            ;   in Loop: Header=BB340_9 Depth=1
	s_delay_alu instid0(SALU_CYCLE_1)
	s_or_b32 exec_lo, exec_lo, s17
.LBB340_217:                            ;   in Loop: Header=BB340_9 Depth=1
	s_delay_alu instid0(SALU_CYCLE_1) | instskip(SKIP_3) | instid1(VALU_DEP_2)
	s_or_b32 exec_lo, exec_lo, s16
	v_dual_lshrrev_b32 v68, 16, v49 :: v_dual_mov_b32 v66, 0
	v_mov_b32_e32 v67, 0
	s_mov_b32 s16, exec_lo
	v_and_b32_e32 v12, 0xff, v68
	s_delay_alu instid0(VALU_DEP_1)
	v_cmpx_ne_u16_e32 0, v12
	s_cbranch_execz .LBB340_225
; %bb.218:                              ;   in Loop: Header=BB340_9 Depth=1
	v_bfrev_b32_e32 v67, 1
	s_mov_b32 s17, exec_lo
	v_cmpx_ne_u16_e32 0x80, v12
	s_cbranch_execz .LBB340_224
; %bb.219:                              ;   in Loop: Header=BB340_9 Depth=1
	v_bfe_u32 v24, v49, 16, 7
	v_mov_b32_e32 v67, 0x7f800001
	s_mov_b32 s18, exec_lo
	s_delay_alu instid0(VALU_DEP_2)
	v_cmpx_ne_u32_e32 0x7f, v24
	s_cbranch_execz .LBB340_223
; %bb.220:                              ;   in Loop: Header=BB340_9 Depth=1
	v_and_b32_e32 v12, 7, v68
	v_lshrrev_b32_e32 v67, 3, v24
	v_cmp_gt_u32_e64 s2, 8, v24
	s_delay_alu instid0(VALU_DEP_3)
	v_mov_b64_e32 v[24:25], v[12:13]
	s_and_saveexec_b32 s19, s2
; %bb.221:                              ;   in Loop: Header=BB340_9 Depth=1
	v_clz_i32_u32_e32 v24, v12
	s_delay_alu instid0(VALU_DEP_1) | instskip(NEXT) | instid1(VALU_DEP_1)
	v_min_u32_e32 v67, 32, v24
	v_subrev_nc_u32_e32 v24, 28, v67
	s_delay_alu instid0(VALU_DEP_1) | instskip(NEXT) | instid1(VALU_DEP_1)
	v_lshlrev_b64_e32 v[24:25], v24, v[12:13]
	v_dual_sub_nc_u32 v67, 29, v67 :: v_dual_bitop2_b32 v24, 7, v24 bitop3:0x40
; %bb.222:                              ;   in Loop: Header=BB340_9 Depth=1
	s_or_b32 exec_lo, exec_lo, s19
	v_lshlrev_b32_e32 v12, 24, v68
	s_delay_alu instid0(VALU_DEP_2) | instskip(NEXT) | instid1(VALU_DEP_3)
	v_lshlrev_b32_e32 v24, 20, v24
	v_lshl_add_u32 v25, v67, 23, 0x3c000000
	s_delay_alu instid0(VALU_DEP_3) | instskip(NEXT) | instid1(VALU_DEP_1)
	v_and_b32_e32 v12, 0x80000000, v12
	v_or3_b32 v67, v24, v12, v25
.LBB340_223:                            ;   in Loop: Header=BB340_9 Depth=1
	s_or_b32 exec_lo, exec_lo, s18
.LBB340_224:                            ;   in Loop: Header=BB340_9 Depth=1
	s_delay_alu instid0(SALU_CYCLE_1)
	s_or_b32 exec_lo, exec_lo, s17
.LBB340_225:                            ;   in Loop: Header=BB340_9 Depth=1
	s_delay_alu instid0(SALU_CYCLE_1) | instskip(NEXT) | instid1(SALU_CYCLE_1)
	s_or_b32 exec_lo, exec_lo, s16
	s_mov_b32 s16, exec_lo
	v_cmpx_lt_u32_e32 0xffffff, v49
	s_cbranch_execz .LBB340_233
; %bb.226:                              ;   in Loop: Header=BB340_9 Depth=1
	v_lshrrev_b32_e32 v68, 24, v49
	v_bfrev_b32_e32 v66, 1
	s_mov_b32 s17, exec_lo
	s_delay_alu instid0(VALU_DEP_2)
	v_cmpx_ne_u32_e32 0x80, v68
	s_cbranch_execz .LBB340_232
; %bb.227:                              ;   in Loop: Header=BB340_9 Depth=1
	v_bfe_u32 v24, v49, 24, 7
	v_mov_b32_e32 v66, 0x7f800001
	s_mov_b32 s18, exec_lo
	s_delay_alu instid0(VALU_DEP_2)
	v_cmpx_ne_u32_e32 0x7f, v24
	s_cbranch_execz .LBB340_231
; %bb.228:                              ;   in Loop: Header=BB340_9 Depth=1
	v_and_b32_e32 v12, 7, v68
	v_lshrrev_b32_e32 v49, 3, v24
	v_cmp_gt_u32_e64 s2, 8, v24
	s_delay_alu instid0(VALU_DEP_3)
	v_mov_b64_e32 v[24:25], v[12:13]
	s_and_saveexec_b32 s19, s2
; %bb.229:                              ;   in Loop: Header=BB340_9 Depth=1
	v_clz_i32_u32_e32 v24, v12
	s_delay_alu instid0(VALU_DEP_1) | instskip(NEXT) | instid1(VALU_DEP_1)
	v_min_u32_e32 v49, 32, v24
	v_subrev_nc_u32_e32 v24, 28, v49
	s_delay_alu instid0(VALU_DEP_1) | instskip(NEXT) | instid1(VALU_DEP_1)
	v_lshlrev_b64_e32 v[24:25], v24, v[12:13]
	v_dual_sub_nc_u32 v49, 29, v49 :: v_dual_bitop2_b32 v24, 7, v24 bitop3:0x40
; %bb.230:                              ;   in Loop: Header=BB340_9 Depth=1
	s_or_b32 exec_lo, exec_lo, s19
	v_lshlrev_b32_e32 v12, 24, v68
	s_delay_alu instid0(VALU_DEP_2) | instskip(NEXT) | instid1(VALU_DEP_3)
	v_lshlrev_b32_e32 v24, 20, v24
	v_lshl_add_u32 v25, v49, 23, 0x3c000000
	s_delay_alu instid0(VALU_DEP_3) | instskip(NEXT) | instid1(VALU_DEP_1)
	v_and_b32_e32 v12, 0x80000000, v12
	v_or3_b32 v66, v24, v12, v25
.LBB340_231:                            ;   in Loop: Header=BB340_9 Depth=1
	s_or_b32 exec_lo, exec_lo, s18
.LBB340_232:                            ;   in Loop: Header=BB340_9 Depth=1
	s_delay_alu instid0(SALU_CYCLE_1)
	s_or_b32 exec_lo, exec_lo, s17
.LBB340_233:                            ;   in Loop: Header=BB340_9 Depth=1
	s_delay_alu instid0(SALU_CYCLE_1)
	s_or_b32 exec_lo, exec_lo, s16
	flat_load_b32 v49, v[16:17] offset:776
	v_dual_mov_b32 v68, 0 :: v_dual_mov_b32 v69, 0
	s_mov_b32 s16, exec_lo
	s_wait_loadcnt_dscnt 0x0
	v_and_b32_e32 v12, 0xff, v49
	s_wait_xcnt 0x0
	s_delay_alu instid0(VALU_DEP_1)
	v_cmpx_ne_u16_e32 0, v12
	s_cbranch_execz .LBB340_241
; %bb.234:                              ;   in Loop: Header=BB340_9 Depth=1
	v_bfrev_b32_e32 v69, 1
	s_mov_b32 s17, exec_lo
	v_cmpx_ne_u16_e32 0x80, v12
	s_cbranch_execz .LBB340_240
; %bb.235:                              ;   in Loop: Header=BB340_9 Depth=1
	v_and_b32_e32 v24, 0x7f, v49
	v_mov_b32_e32 v69, 0x7f800001
	s_mov_b32 s18, exec_lo
	s_delay_alu instid0(VALU_DEP_2)
	v_cmpx_ne_u32_e32 0x7f, v24
	s_cbranch_execz .LBB340_239
; %bb.236:                              ;   in Loop: Header=BB340_9 Depth=1
	v_dual_lshrrev_b32 v69, 3, v24 :: v_dual_bitop2_b32 v12, 7, v49 bitop3:0x40
	v_cmp_gt_u32_e64 s2, 8, v24
	s_delay_alu instid0(VALU_DEP_2)
	v_mov_b64_e32 v[24:25], v[12:13]
	s_and_saveexec_b32 s19, s2
; %bb.237:                              ;   in Loop: Header=BB340_9 Depth=1
	v_clz_i32_u32_e32 v24, v12
	s_delay_alu instid0(VALU_DEP_1) | instskip(NEXT) | instid1(VALU_DEP_1)
	v_min_u32_e32 v69, 32, v24
	v_subrev_nc_u32_e32 v24, 28, v69
	s_delay_alu instid0(VALU_DEP_1) | instskip(NEXT) | instid1(VALU_DEP_1)
	v_lshlrev_b64_e32 v[24:25], v24, v[12:13]
	v_dual_sub_nc_u32 v69, 29, v69 :: v_dual_bitop2_b32 v24, 7, v24 bitop3:0x40
; %bb.238:                              ;   in Loop: Header=BB340_9 Depth=1
	s_or_b32 exec_lo, exec_lo, s19
	s_delay_alu instid0(VALU_DEP_1) | instskip(NEXT) | instid1(VALU_DEP_2)
	v_dual_lshlrev_b32 v12, 24, v49 :: v_dual_lshlrev_b32 v24, 20, v24
	v_lshl_add_u32 v25, v69, 23, 0x3c000000
	s_delay_alu instid0(VALU_DEP_2) | instskip(NEXT) | instid1(VALU_DEP_1)
	v_and_b32_e32 v12, 0x80000000, v12
	v_or3_b32 v69, v24, v12, v25
.LBB340_239:                            ;   in Loop: Header=BB340_9 Depth=1
	s_or_b32 exec_lo, exec_lo, s18
.LBB340_240:                            ;   in Loop: Header=BB340_9 Depth=1
	s_delay_alu instid0(SALU_CYCLE_1)
	s_or_b32 exec_lo, exec_lo, s17
.LBB340_241:                            ;   in Loop: Header=BB340_9 Depth=1
	s_delay_alu instid0(SALU_CYCLE_1) | instskip(SKIP_2) | instid1(VALU_DEP_1)
	s_or_b32 exec_lo, exec_lo, s16
	v_lshrrev_b16 v12, 8, v49
	s_mov_b32 s16, exec_lo
	v_cmpx_ne_u16_e32 0, v12
	s_cbranch_execz .LBB340_249
; %bb.242:                              ;   in Loop: Header=BB340_9 Depth=1
	v_bfrev_b32_e32 v68, 1
	s_mov_b32 s17, exec_lo
	v_cmpx_ne_u16_e32 0x80, v12
	s_cbranch_execz .LBB340_248
; %bb.243:                              ;   in Loop: Header=BB340_9 Depth=1
	v_and_b32_e32 v12, 0xffff, v12
	v_mov_b32_e32 v68, 0x7f800001
	s_mov_b32 s18, exec_lo
	s_delay_alu instid0(VALU_DEP_2) | instskip(NEXT) | instid1(VALU_DEP_1)
	v_and_b32_e32 v24, 0x7f, v12
	v_cmpx_ne_u32_e32 0x7f, v24
	s_cbranch_execz .LBB340_247
; %bb.244:                              ;   in Loop: Header=BB340_9 Depth=1
	v_and_b32_e32 v12, 7, v12
	v_lshrrev_b32_e32 v68, 3, v24
	v_cmp_gt_u32_e64 s2, 8, v24
	s_delay_alu instid0(VALU_DEP_3)
	v_mov_b64_e32 v[24:25], v[12:13]
	s_and_saveexec_b32 s19, s2
; %bb.245:                              ;   in Loop: Header=BB340_9 Depth=1
	v_clz_i32_u32_e32 v24, v12
	s_delay_alu instid0(VALU_DEP_1) | instskip(NEXT) | instid1(VALU_DEP_1)
	v_min_u32_e32 v68, 32, v24
	v_subrev_nc_u32_e32 v24, 28, v68
	v_sub_nc_u32_e32 v68, 29, v68
	s_delay_alu instid0(VALU_DEP_2) | instskip(NEXT) | instid1(VALU_DEP_1)
	v_lshlrev_b64_e32 v[24:25], v24, v[12:13]
	v_and_b32_e32 v24, 7, v24
; %bb.246:                              ;   in Loop: Header=BB340_9 Depth=1
	s_or_b32 exec_lo, exec_lo, s19
	s_delay_alu instid0(VALU_DEP_1) | instskip(SKIP_1) | instid1(VALU_DEP_2)
	v_dual_lshlrev_b32 v12, 16, v49 :: v_dual_lshlrev_b32 v24, 20, v24
	v_lshl_add_u32 v25, v68, 23, 0x3c000000
	v_and_b32_e32 v12, 0x80000000, v12
	s_delay_alu instid0(VALU_DEP_1)
	v_or3_b32 v68, v24, v12, v25
.LBB340_247:                            ;   in Loop: Header=BB340_9 Depth=1
	s_or_b32 exec_lo, exec_lo, s18
.LBB340_248:                            ;   in Loop: Header=BB340_9 Depth=1
	s_delay_alu instid0(SALU_CYCLE_1)
	s_or_b32 exec_lo, exec_lo, s17
.LBB340_249:                            ;   in Loop: Header=BB340_9 Depth=1
	s_delay_alu instid0(SALU_CYCLE_1) | instskip(SKIP_3) | instid1(VALU_DEP_2)
	s_or_b32 exec_lo, exec_lo, s16
	v_dual_lshrrev_b32 v80, 16, v49 :: v_dual_mov_b32 v70, 0
	v_mov_b32_e32 v71, 0
	s_mov_b32 s16, exec_lo
	v_and_b32_e32 v12, 0xff, v80
	s_delay_alu instid0(VALU_DEP_1)
	v_cmpx_ne_u16_e32 0, v12
	s_cbranch_execz .LBB340_257
; %bb.250:                              ;   in Loop: Header=BB340_9 Depth=1
	v_bfrev_b32_e32 v71, 1
	s_mov_b32 s17, exec_lo
	v_cmpx_ne_u16_e32 0x80, v12
	s_cbranch_execz .LBB340_256
; %bb.251:                              ;   in Loop: Header=BB340_9 Depth=1
	v_bfe_u32 v24, v49, 16, 7
	v_mov_b32_e32 v71, 0x7f800001
	s_mov_b32 s18, exec_lo
	s_delay_alu instid0(VALU_DEP_2)
	v_cmpx_ne_u32_e32 0x7f, v24
	s_cbranch_execz .LBB340_255
; %bb.252:                              ;   in Loop: Header=BB340_9 Depth=1
	v_and_b32_e32 v12, 7, v80
	v_lshrrev_b32_e32 v71, 3, v24
	v_cmp_gt_u32_e64 s2, 8, v24
	s_delay_alu instid0(VALU_DEP_3)
	v_mov_b64_e32 v[24:25], v[12:13]
	s_and_saveexec_b32 s19, s2
; %bb.253:                              ;   in Loop: Header=BB340_9 Depth=1
	v_clz_i32_u32_e32 v24, v12
	s_delay_alu instid0(VALU_DEP_1) | instskip(NEXT) | instid1(VALU_DEP_1)
	v_min_u32_e32 v71, 32, v24
	v_subrev_nc_u32_e32 v24, 28, v71
	s_delay_alu instid0(VALU_DEP_1) | instskip(NEXT) | instid1(VALU_DEP_1)
	v_lshlrev_b64_e32 v[24:25], v24, v[12:13]
	v_dual_sub_nc_u32 v71, 29, v71 :: v_dual_bitop2_b32 v24, 7, v24 bitop3:0x40
; %bb.254:                              ;   in Loop: Header=BB340_9 Depth=1
	s_or_b32 exec_lo, exec_lo, s19
	v_lshlrev_b32_e32 v12, 24, v80
	s_delay_alu instid0(VALU_DEP_2) | instskip(NEXT) | instid1(VALU_DEP_3)
	v_lshlrev_b32_e32 v24, 20, v24
	v_lshl_add_u32 v25, v71, 23, 0x3c000000
	s_delay_alu instid0(VALU_DEP_3) | instskip(NEXT) | instid1(VALU_DEP_1)
	v_and_b32_e32 v12, 0x80000000, v12
	v_or3_b32 v71, v24, v12, v25
.LBB340_255:                            ;   in Loop: Header=BB340_9 Depth=1
	s_or_b32 exec_lo, exec_lo, s18
.LBB340_256:                            ;   in Loop: Header=BB340_9 Depth=1
	s_delay_alu instid0(SALU_CYCLE_1)
	s_or_b32 exec_lo, exec_lo, s17
.LBB340_257:                            ;   in Loop: Header=BB340_9 Depth=1
	s_delay_alu instid0(SALU_CYCLE_1) | instskip(NEXT) | instid1(SALU_CYCLE_1)
	s_or_b32 exec_lo, exec_lo, s16
	s_mov_b32 s16, exec_lo
	v_cmpx_lt_u32_e32 0xffffff, v49
	s_cbranch_execz .LBB340_265
; %bb.258:                              ;   in Loop: Header=BB340_9 Depth=1
	v_lshrrev_b32_e32 v80, 24, v49
	v_bfrev_b32_e32 v70, 1
	s_mov_b32 s17, exec_lo
	s_delay_alu instid0(VALU_DEP_2)
	v_cmpx_ne_u32_e32 0x80, v80
	s_cbranch_execz .LBB340_264
; %bb.259:                              ;   in Loop: Header=BB340_9 Depth=1
	v_bfe_u32 v24, v49, 24, 7
	v_mov_b32_e32 v70, 0x7f800001
	s_mov_b32 s18, exec_lo
	s_delay_alu instid0(VALU_DEP_2)
	v_cmpx_ne_u32_e32 0x7f, v24
	s_cbranch_execz .LBB340_263
; %bb.260:                              ;   in Loop: Header=BB340_9 Depth=1
	v_and_b32_e32 v12, 7, v80
	v_lshrrev_b32_e32 v49, 3, v24
	v_cmp_gt_u32_e64 s2, 8, v24
	s_delay_alu instid0(VALU_DEP_3)
	v_mov_b64_e32 v[24:25], v[12:13]
	s_and_saveexec_b32 s19, s2
; %bb.261:                              ;   in Loop: Header=BB340_9 Depth=1
	v_clz_i32_u32_e32 v24, v12
	s_delay_alu instid0(VALU_DEP_1) | instskip(NEXT) | instid1(VALU_DEP_1)
	v_min_u32_e32 v49, 32, v24
	v_subrev_nc_u32_e32 v24, 28, v49
	s_delay_alu instid0(VALU_DEP_1) | instskip(NEXT) | instid1(VALU_DEP_1)
	v_lshlrev_b64_e32 v[24:25], v24, v[12:13]
	v_dual_sub_nc_u32 v49, 29, v49 :: v_dual_bitop2_b32 v24, 7, v24 bitop3:0x40
; %bb.262:                              ;   in Loop: Header=BB340_9 Depth=1
	s_or_b32 exec_lo, exec_lo, s19
	v_lshlrev_b32_e32 v12, 24, v80
	s_delay_alu instid0(VALU_DEP_2) | instskip(NEXT) | instid1(VALU_DEP_3)
	v_lshlrev_b32_e32 v24, 20, v24
	v_lshl_add_u32 v25, v49, 23, 0x3c000000
	s_delay_alu instid0(VALU_DEP_3) | instskip(NEXT) | instid1(VALU_DEP_1)
	v_and_b32_e32 v12, 0x80000000, v12
	v_or3_b32 v70, v24, v12, v25
.LBB340_263:                            ;   in Loop: Header=BB340_9 Depth=1
	s_or_b32 exec_lo, exec_lo, s18
.LBB340_264:                            ;   in Loop: Header=BB340_9 Depth=1
	s_delay_alu instid0(SALU_CYCLE_1)
	s_or_b32 exec_lo, exec_lo, s17
.LBB340_265:                            ;   in Loop: Header=BB340_9 Depth=1
	s_delay_alu instid0(SALU_CYCLE_1)
	s_or_b32 exec_lo, exec_lo, s16
	flat_load_b32 v49, v[16:17] offset:1024
	v_dual_mov_b32 v80, 0 :: v_dual_mov_b32 v81, 0
	s_mov_b32 s16, exec_lo
	s_wait_loadcnt_dscnt 0x0
	v_and_b32_e32 v12, 0xff, v49
	s_wait_xcnt 0x0
	s_delay_alu instid0(VALU_DEP_1)
	v_cmpx_ne_u16_e32 0, v12
	s_cbranch_execz .LBB340_273
; %bb.266:                              ;   in Loop: Header=BB340_9 Depth=1
	v_bfrev_b32_e32 v81, 1
	s_mov_b32 s17, exec_lo
	v_cmpx_ne_u16_e32 0x80, v12
	s_cbranch_execz .LBB340_272
; %bb.267:                              ;   in Loop: Header=BB340_9 Depth=1
	v_and_b32_e32 v24, 0x7f, v49
	v_mov_b32_e32 v81, 0x7f800001
	s_mov_b32 s18, exec_lo
	s_delay_alu instid0(VALU_DEP_2)
	v_cmpx_ne_u32_e32 0x7f, v24
	s_cbranch_execz .LBB340_271
; %bb.268:                              ;   in Loop: Header=BB340_9 Depth=1
	v_dual_lshrrev_b32 v81, 3, v24 :: v_dual_bitop2_b32 v12, 7, v49 bitop3:0x40
	v_cmp_gt_u32_e64 s2, 8, v24
	s_delay_alu instid0(VALU_DEP_2)
	v_mov_b64_e32 v[24:25], v[12:13]
	s_and_saveexec_b32 s19, s2
; %bb.269:                              ;   in Loop: Header=BB340_9 Depth=1
	v_clz_i32_u32_e32 v24, v12
	s_delay_alu instid0(VALU_DEP_1) | instskip(NEXT) | instid1(VALU_DEP_1)
	v_min_u32_e32 v81, 32, v24
	v_subrev_nc_u32_e32 v24, 28, v81
	s_delay_alu instid0(VALU_DEP_1) | instskip(NEXT) | instid1(VALU_DEP_1)
	v_lshlrev_b64_e32 v[24:25], v24, v[12:13]
	v_dual_sub_nc_u32 v81, 29, v81 :: v_dual_bitop2_b32 v24, 7, v24 bitop3:0x40
; %bb.270:                              ;   in Loop: Header=BB340_9 Depth=1
	s_or_b32 exec_lo, exec_lo, s19
	s_delay_alu instid0(VALU_DEP_1) | instskip(NEXT) | instid1(VALU_DEP_2)
	v_dual_lshlrev_b32 v12, 24, v49 :: v_dual_lshlrev_b32 v24, 20, v24
	v_lshl_add_u32 v25, v81, 23, 0x3c000000
	s_delay_alu instid0(VALU_DEP_2) | instskip(NEXT) | instid1(VALU_DEP_1)
	v_and_b32_e32 v12, 0x80000000, v12
	v_or3_b32 v81, v24, v12, v25
.LBB340_271:                            ;   in Loop: Header=BB340_9 Depth=1
	s_or_b32 exec_lo, exec_lo, s18
.LBB340_272:                            ;   in Loop: Header=BB340_9 Depth=1
	s_delay_alu instid0(SALU_CYCLE_1)
	s_or_b32 exec_lo, exec_lo, s17
.LBB340_273:                            ;   in Loop: Header=BB340_9 Depth=1
	s_delay_alu instid0(SALU_CYCLE_1) | instskip(SKIP_2) | instid1(VALU_DEP_1)
	s_or_b32 exec_lo, exec_lo, s16
	v_lshrrev_b16 v12, 8, v49
	s_mov_b32 s16, exec_lo
	v_cmpx_ne_u16_e32 0, v12
	s_cbranch_execz .LBB340_281
; %bb.274:                              ;   in Loop: Header=BB340_9 Depth=1
	v_bfrev_b32_e32 v80, 1
	s_mov_b32 s17, exec_lo
	v_cmpx_ne_u16_e32 0x80, v12
	s_cbranch_execz .LBB340_280
; %bb.275:                              ;   in Loop: Header=BB340_9 Depth=1
	v_and_b32_e32 v12, 0xffff, v12
	v_mov_b32_e32 v80, 0x7f800001
	s_mov_b32 s18, exec_lo
	s_delay_alu instid0(VALU_DEP_2) | instskip(NEXT) | instid1(VALU_DEP_1)
	v_and_b32_e32 v24, 0x7f, v12
	v_cmpx_ne_u32_e32 0x7f, v24
	s_cbranch_execz .LBB340_279
; %bb.276:                              ;   in Loop: Header=BB340_9 Depth=1
	v_and_b32_e32 v12, 7, v12
	v_lshrrev_b32_e32 v80, 3, v24
	v_cmp_gt_u32_e64 s2, 8, v24
	s_delay_alu instid0(VALU_DEP_3)
	v_mov_b64_e32 v[24:25], v[12:13]
	s_and_saveexec_b32 s19, s2
; %bb.277:                              ;   in Loop: Header=BB340_9 Depth=1
	v_clz_i32_u32_e32 v24, v12
	s_delay_alu instid0(VALU_DEP_1) | instskip(NEXT) | instid1(VALU_DEP_1)
	v_min_u32_e32 v80, 32, v24
	v_subrev_nc_u32_e32 v24, 28, v80
	v_sub_nc_u32_e32 v80, 29, v80
	s_delay_alu instid0(VALU_DEP_2) | instskip(NEXT) | instid1(VALU_DEP_1)
	v_lshlrev_b64_e32 v[24:25], v24, v[12:13]
	v_and_b32_e32 v24, 7, v24
; %bb.278:                              ;   in Loop: Header=BB340_9 Depth=1
	s_or_b32 exec_lo, exec_lo, s19
	s_delay_alu instid0(VALU_DEP_1) | instskip(SKIP_1) | instid1(VALU_DEP_2)
	v_dual_lshlrev_b32 v12, 16, v49 :: v_dual_lshlrev_b32 v24, 20, v24
	v_lshl_add_u32 v25, v80, 23, 0x3c000000
	v_and_b32_e32 v12, 0x80000000, v12
	s_delay_alu instid0(VALU_DEP_1)
	v_or3_b32 v80, v24, v12, v25
.LBB340_279:                            ;   in Loop: Header=BB340_9 Depth=1
	s_or_b32 exec_lo, exec_lo, s18
.LBB340_280:                            ;   in Loop: Header=BB340_9 Depth=1
	s_delay_alu instid0(SALU_CYCLE_1)
	s_or_b32 exec_lo, exec_lo, s17
.LBB340_281:                            ;   in Loop: Header=BB340_9 Depth=1
	s_delay_alu instid0(SALU_CYCLE_1) | instskip(SKIP_3) | instid1(VALU_DEP_2)
	s_or_b32 exec_lo, exec_lo, s16
	v_dual_lshrrev_b32 v84, 16, v49 :: v_dual_mov_b32 v82, 0
	v_mov_b32_e32 v83, 0
	s_mov_b32 s16, exec_lo
	v_and_b32_e32 v12, 0xff, v84
	s_delay_alu instid0(VALU_DEP_1)
	v_cmpx_ne_u16_e32 0, v12
	s_cbranch_execz .LBB340_289
; %bb.282:                              ;   in Loop: Header=BB340_9 Depth=1
	v_bfrev_b32_e32 v83, 1
	s_mov_b32 s17, exec_lo
	v_cmpx_ne_u16_e32 0x80, v12
	s_cbranch_execz .LBB340_288
; %bb.283:                              ;   in Loop: Header=BB340_9 Depth=1
	v_bfe_u32 v24, v49, 16, 7
	v_mov_b32_e32 v83, 0x7f800001
	s_mov_b32 s18, exec_lo
	s_delay_alu instid0(VALU_DEP_2)
	v_cmpx_ne_u32_e32 0x7f, v24
	s_cbranch_execz .LBB340_287
; %bb.284:                              ;   in Loop: Header=BB340_9 Depth=1
	v_and_b32_e32 v12, 7, v84
	v_lshrrev_b32_e32 v83, 3, v24
	v_cmp_gt_u32_e64 s2, 8, v24
	s_delay_alu instid0(VALU_DEP_3)
	v_mov_b64_e32 v[24:25], v[12:13]
	s_and_saveexec_b32 s19, s2
; %bb.285:                              ;   in Loop: Header=BB340_9 Depth=1
	v_clz_i32_u32_e32 v24, v12
	s_delay_alu instid0(VALU_DEP_1) | instskip(NEXT) | instid1(VALU_DEP_1)
	v_min_u32_e32 v83, 32, v24
	v_subrev_nc_u32_e32 v24, 28, v83
	s_delay_alu instid0(VALU_DEP_1) | instskip(NEXT) | instid1(VALU_DEP_1)
	v_lshlrev_b64_e32 v[24:25], v24, v[12:13]
	v_dual_sub_nc_u32 v83, 29, v83 :: v_dual_bitop2_b32 v24, 7, v24 bitop3:0x40
; %bb.286:                              ;   in Loop: Header=BB340_9 Depth=1
	s_or_b32 exec_lo, exec_lo, s19
	v_lshlrev_b32_e32 v12, 24, v84
	s_delay_alu instid0(VALU_DEP_2) | instskip(NEXT) | instid1(VALU_DEP_3)
	v_lshlrev_b32_e32 v24, 20, v24
	v_lshl_add_u32 v25, v83, 23, 0x3c000000
	s_delay_alu instid0(VALU_DEP_3) | instskip(NEXT) | instid1(VALU_DEP_1)
	v_and_b32_e32 v12, 0x80000000, v12
	v_or3_b32 v83, v24, v12, v25
.LBB340_287:                            ;   in Loop: Header=BB340_9 Depth=1
	s_or_b32 exec_lo, exec_lo, s18
.LBB340_288:                            ;   in Loop: Header=BB340_9 Depth=1
	s_delay_alu instid0(SALU_CYCLE_1)
	s_or_b32 exec_lo, exec_lo, s17
.LBB340_289:                            ;   in Loop: Header=BB340_9 Depth=1
	s_delay_alu instid0(SALU_CYCLE_1) | instskip(NEXT) | instid1(SALU_CYCLE_1)
	s_or_b32 exec_lo, exec_lo, s16
	s_mov_b32 s16, exec_lo
	v_cmpx_lt_u32_e32 0xffffff, v49
	s_cbranch_execz .LBB340_297
; %bb.290:                              ;   in Loop: Header=BB340_9 Depth=1
	v_lshrrev_b32_e32 v84, 24, v49
	v_bfrev_b32_e32 v82, 1
	s_mov_b32 s17, exec_lo
	s_delay_alu instid0(VALU_DEP_2)
	v_cmpx_ne_u32_e32 0x80, v84
	s_cbranch_execz .LBB340_296
; %bb.291:                              ;   in Loop: Header=BB340_9 Depth=1
	v_bfe_u32 v24, v49, 24, 7
	v_mov_b32_e32 v82, 0x7f800001
	s_mov_b32 s18, exec_lo
	s_delay_alu instid0(VALU_DEP_2)
	v_cmpx_ne_u32_e32 0x7f, v24
	s_cbranch_execz .LBB340_295
; %bb.292:                              ;   in Loop: Header=BB340_9 Depth=1
	v_and_b32_e32 v12, 7, v84
	v_lshrrev_b32_e32 v49, 3, v24
	v_cmp_gt_u32_e64 s2, 8, v24
	s_delay_alu instid0(VALU_DEP_3)
	v_mov_b64_e32 v[24:25], v[12:13]
	s_and_saveexec_b32 s19, s2
; %bb.293:                              ;   in Loop: Header=BB340_9 Depth=1
	v_clz_i32_u32_e32 v24, v12
	s_delay_alu instid0(VALU_DEP_1) | instskip(NEXT) | instid1(VALU_DEP_1)
	v_min_u32_e32 v49, 32, v24
	v_subrev_nc_u32_e32 v24, 28, v49
	s_delay_alu instid0(VALU_DEP_1) | instskip(NEXT) | instid1(VALU_DEP_1)
	v_lshlrev_b64_e32 v[24:25], v24, v[12:13]
	v_dual_sub_nc_u32 v49, 29, v49 :: v_dual_bitop2_b32 v24, 7, v24 bitop3:0x40
; %bb.294:                              ;   in Loop: Header=BB340_9 Depth=1
	s_or_b32 exec_lo, exec_lo, s19
	v_lshlrev_b32_e32 v12, 24, v84
	s_delay_alu instid0(VALU_DEP_2) | instskip(NEXT) | instid1(VALU_DEP_3)
	v_lshlrev_b32_e32 v24, 20, v24
	v_lshl_add_u32 v25, v49, 23, 0x3c000000
	s_delay_alu instid0(VALU_DEP_3) | instskip(NEXT) | instid1(VALU_DEP_1)
	v_and_b32_e32 v12, 0x80000000, v12
	v_or3_b32 v82, v24, v12, v25
.LBB340_295:                            ;   in Loop: Header=BB340_9 Depth=1
	s_or_b32 exec_lo, exec_lo, s18
.LBB340_296:                            ;   in Loop: Header=BB340_9 Depth=1
	s_delay_alu instid0(SALU_CYCLE_1)
	s_or_b32 exec_lo, exec_lo, s17
.LBB340_297:                            ;   in Loop: Header=BB340_9 Depth=1
	s_delay_alu instid0(SALU_CYCLE_1)
	s_or_b32 exec_lo, exec_lo, s16
	flat_load_b32 v49, v[16:17] offset:1032
	v_dual_mov_b32 v84, 0 :: v_dual_mov_b32 v85, 0
	s_mov_b32 s16, exec_lo
	s_wait_loadcnt_dscnt 0x0
	v_and_b32_e32 v12, 0xff, v49
	s_wait_xcnt 0x0
	s_delay_alu instid0(VALU_DEP_1)
	v_cmpx_ne_u16_e32 0, v12
	s_cbranch_execz .LBB340_305
; %bb.298:                              ;   in Loop: Header=BB340_9 Depth=1
	v_bfrev_b32_e32 v85, 1
	s_mov_b32 s17, exec_lo
	v_cmpx_ne_u16_e32 0x80, v12
	s_cbranch_execz .LBB340_304
; %bb.299:                              ;   in Loop: Header=BB340_9 Depth=1
	v_and_b32_e32 v24, 0x7f, v49
	v_mov_b32_e32 v85, 0x7f800001
	s_mov_b32 s18, exec_lo
	s_delay_alu instid0(VALU_DEP_2)
	v_cmpx_ne_u32_e32 0x7f, v24
	s_cbranch_execz .LBB340_303
; %bb.300:                              ;   in Loop: Header=BB340_9 Depth=1
	v_dual_lshrrev_b32 v85, 3, v24 :: v_dual_bitop2_b32 v12, 7, v49 bitop3:0x40
	v_cmp_gt_u32_e64 s2, 8, v24
	s_delay_alu instid0(VALU_DEP_2)
	v_mov_b64_e32 v[24:25], v[12:13]
	s_and_saveexec_b32 s19, s2
; %bb.301:                              ;   in Loop: Header=BB340_9 Depth=1
	v_clz_i32_u32_e32 v24, v12
	s_delay_alu instid0(VALU_DEP_1) | instskip(NEXT) | instid1(VALU_DEP_1)
	v_min_u32_e32 v85, 32, v24
	v_subrev_nc_u32_e32 v24, 28, v85
	s_delay_alu instid0(VALU_DEP_1) | instskip(NEXT) | instid1(VALU_DEP_1)
	v_lshlrev_b64_e32 v[24:25], v24, v[12:13]
	v_dual_sub_nc_u32 v85, 29, v85 :: v_dual_bitop2_b32 v24, 7, v24 bitop3:0x40
; %bb.302:                              ;   in Loop: Header=BB340_9 Depth=1
	s_or_b32 exec_lo, exec_lo, s19
	s_delay_alu instid0(VALU_DEP_1) | instskip(NEXT) | instid1(VALU_DEP_2)
	v_dual_lshlrev_b32 v12, 24, v49 :: v_dual_lshlrev_b32 v24, 20, v24
	v_lshl_add_u32 v25, v85, 23, 0x3c000000
	s_delay_alu instid0(VALU_DEP_2) | instskip(NEXT) | instid1(VALU_DEP_1)
	v_and_b32_e32 v12, 0x80000000, v12
	v_or3_b32 v85, v24, v12, v25
.LBB340_303:                            ;   in Loop: Header=BB340_9 Depth=1
	s_or_b32 exec_lo, exec_lo, s18
.LBB340_304:                            ;   in Loop: Header=BB340_9 Depth=1
	s_delay_alu instid0(SALU_CYCLE_1)
	s_or_b32 exec_lo, exec_lo, s17
.LBB340_305:                            ;   in Loop: Header=BB340_9 Depth=1
	s_delay_alu instid0(SALU_CYCLE_1) | instskip(SKIP_2) | instid1(VALU_DEP_1)
	s_or_b32 exec_lo, exec_lo, s16
	v_lshrrev_b16 v12, 8, v49
	s_mov_b32 s16, exec_lo
	v_cmpx_ne_u16_e32 0, v12
	s_cbranch_execz .LBB340_313
; %bb.306:                              ;   in Loop: Header=BB340_9 Depth=1
	v_bfrev_b32_e32 v84, 1
	s_mov_b32 s17, exec_lo
	v_cmpx_ne_u16_e32 0x80, v12
	s_cbranch_execz .LBB340_312
; %bb.307:                              ;   in Loop: Header=BB340_9 Depth=1
	v_and_b32_e32 v12, 0xffff, v12
	v_mov_b32_e32 v84, 0x7f800001
	s_mov_b32 s18, exec_lo
	s_delay_alu instid0(VALU_DEP_2) | instskip(NEXT) | instid1(VALU_DEP_1)
	v_and_b32_e32 v24, 0x7f, v12
	v_cmpx_ne_u32_e32 0x7f, v24
	s_cbranch_execz .LBB340_311
; %bb.308:                              ;   in Loop: Header=BB340_9 Depth=1
	v_and_b32_e32 v12, 7, v12
	v_lshrrev_b32_e32 v84, 3, v24
	v_cmp_gt_u32_e64 s2, 8, v24
	s_delay_alu instid0(VALU_DEP_3)
	v_mov_b64_e32 v[24:25], v[12:13]
	s_and_saveexec_b32 s19, s2
; %bb.309:                              ;   in Loop: Header=BB340_9 Depth=1
	v_clz_i32_u32_e32 v24, v12
	s_delay_alu instid0(VALU_DEP_1) | instskip(NEXT) | instid1(VALU_DEP_1)
	v_min_u32_e32 v84, 32, v24
	v_subrev_nc_u32_e32 v24, 28, v84
	v_sub_nc_u32_e32 v84, 29, v84
	s_delay_alu instid0(VALU_DEP_2) | instskip(NEXT) | instid1(VALU_DEP_1)
	v_lshlrev_b64_e32 v[24:25], v24, v[12:13]
	v_and_b32_e32 v24, 7, v24
; %bb.310:                              ;   in Loop: Header=BB340_9 Depth=1
	s_or_b32 exec_lo, exec_lo, s19
	s_delay_alu instid0(VALU_DEP_1) | instskip(SKIP_1) | instid1(VALU_DEP_2)
	v_dual_lshlrev_b32 v12, 16, v49 :: v_dual_lshlrev_b32 v24, 20, v24
	v_lshl_add_u32 v25, v84, 23, 0x3c000000
	v_and_b32_e32 v12, 0x80000000, v12
	s_delay_alu instid0(VALU_DEP_1)
	v_or3_b32 v84, v24, v12, v25
.LBB340_311:                            ;   in Loop: Header=BB340_9 Depth=1
	s_or_b32 exec_lo, exec_lo, s18
.LBB340_312:                            ;   in Loop: Header=BB340_9 Depth=1
	s_delay_alu instid0(SALU_CYCLE_1)
	s_or_b32 exec_lo, exec_lo, s17
.LBB340_313:                            ;   in Loop: Header=BB340_9 Depth=1
	s_delay_alu instid0(SALU_CYCLE_1) | instskip(SKIP_3) | instid1(VALU_DEP_2)
	s_or_b32 exec_lo, exec_lo, s16
	v_dual_lshrrev_b32 v96, 16, v49 :: v_dual_mov_b32 v86, 0
	v_mov_b32_e32 v87, 0
	s_mov_b32 s16, exec_lo
	v_and_b32_e32 v12, 0xff, v96
	s_delay_alu instid0(VALU_DEP_1)
	v_cmpx_ne_u16_e32 0, v12
	s_cbranch_execz .LBB340_321
; %bb.314:                              ;   in Loop: Header=BB340_9 Depth=1
	v_bfrev_b32_e32 v87, 1
	s_mov_b32 s17, exec_lo
	v_cmpx_ne_u16_e32 0x80, v12
	s_cbranch_execz .LBB340_320
; %bb.315:                              ;   in Loop: Header=BB340_9 Depth=1
	v_bfe_u32 v24, v49, 16, 7
	v_mov_b32_e32 v87, 0x7f800001
	s_mov_b32 s18, exec_lo
	s_delay_alu instid0(VALU_DEP_2)
	v_cmpx_ne_u32_e32 0x7f, v24
	s_cbranch_execz .LBB340_319
; %bb.316:                              ;   in Loop: Header=BB340_9 Depth=1
	v_and_b32_e32 v12, 7, v96
	v_lshrrev_b32_e32 v87, 3, v24
	v_cmp_gt_u32_e64 s2, 8, v24
	s_delay_alu instid0(VALU_DEP_3)
	v_mov_b64_e32 v[24:25], v[12:13]
	s_and_saveexec_b32 s19, s2
; %bb.317:                              ;   in Loop: Header=BB340_9 Depth=1
	v_clz_i32_u32_e32 v24, v12
	s_delay_alu instid0(VALU_DEP_1) | instskip(NEXT) | instid1(VALU_DEP_1)
	v_min_u32_e32 v87, 32, v24
	v_subrev_nc_u32_e32 v24, 28, v87
	s_delay_alu instid0(VALU_DEP_1) | instskip(NEXT) | instid1(VALU_DEP_1)
	v_lshlrev_b64_e32 v[24:25], v24, v[12:13]
	v_dual_sub_nc_u32 v87, 29, v87 :: v_dual_bitop2_b32 v24, 7, v24 bitop3:0x40
; %bb.318:                              ;   in Loop: Header=BB340_9 Depth=1
	s_or_b32 exec_lo, exec_lo, s19
	v_lshlrev_b32_e32 v12, 24, v96
	s_delay_alu instid0(VALU_DEP_2) | instskip(NEXT) | instid1(VALU_DEP_3)
	v_lshlrev_b32_e32 v24, 20, v24
	v_lshl_add_u32 v25, v87, 23, 0x3c000000
	s_delay_alu instid0(VALU_DEP_3) | instskip(NEXT) | instid1(VALU_DEP_1)
	v_and_b32_e32 v12, 0x80000000, v12
	v_or3_b32 v87, v24, v12, v25
.LBB340_319:                            ;   in Loop: Header=BB340_9 Depth=1
	s_or_b32 exec_lo, exec_lo, s18
.LBB340_320:                            ;   in Loop: Header=BB340_9 Depth=1
	s_delay_alu instid0(SALU_CYCLE_1)
	s_or_b32 exec_lo, exec_lo, s17
.LBB340_321:                            ;   in Loop: Header=BB340_9 Depth=1
	s_delay_alu instid0(SALU_CYCLE_1) | instskip(NEXT) | instid1(SALU_CYCLE_1)
	s_or_b32 exec_lo, exec_lo, s16
	s_mov_b32 s16, exec_lo
	v_cmpx_lt_u32_e32 0xffffff, v49
	s_cbranch_execz .LBB340_329
; %bb.322:                              ;   in Loop: Header=BB340_9 Depth=1
	v_lshrrev_b32_e32 v96, 24, v49
	v_bfrev_b32_e32 v86, 1
	s_mov_b32 s17, exec_lo
	s_delay_alu instid0(VALU_DEP_2)
	v_cmpx_ne_u32_e32 0x80, v96
	s_cbranch_execz .LBB340_328
; %bb.323:                              ;   in Loop: Header=BB340_9 Depth=1
	v_bfe_u32 v24, v49, 24, 7
	v_mov_b32_e32 v86, 0x7f800001
	s_mov_b32 s18, exec_lo
	s_delay_alu instid0(VALU_DEP_2)
	v_cmpx_ne_u32_e32 0x7f, v24
	s_cbranch_execz .LBB340_327
; %bb.324:                              ;   in Loop: Header=BB340_9 Depth=1
	v_and_b32_e32 v12, 7, v96
	v_lshrrev_b32_e32 v49, 3, v24
	v_cmp_gt_u32_e64 s2, 8, v24
	s_delay_alu instid0(VALU_DEP_3)
	v_mov_b64_e32 v[24:25], v[12:13]
	s_and_saveexec_b32 s19, s2
; %bb.325:                              ;   in Loop: Header=BB340_9 Depth=1
	v_clz_i32_u32_e32 v24, v12
	s_delay_alu instid0(VALU_DEP_1) | instskip(NEXT) | instid1(VALU_DEP_1)
	v_min_u32_e32 v49, 32, v24
	v_subrev_nc_u32_e32 v24, 28, v49
	s_delay_alu instid0(VALU_DEP_1) | instskip(NEXT) | instid1(VALU_DEP_1)
	v_lshlrev_b64_e32 v[24:25], v24, v[12:13]
	v_dual_sub_nc_u32 v49, 29, v49 :: v_dual_bitop2_b32 v24, 7, v24 bitop3:0x40
; %bb.326:                              ;   in Loop: Header=BB340_9 Depth=1
	s_or_b32 exec_lo, exec_lo, s19
	v_lshlrev_b32_e32 v12, 24, v96
	s_delay_alu instid0(VALU_DEP_2) | instskip(NEXT) | instid1(VALU_DEP_3)
	v_lshlrev_b32_e32 v24, 20, v24
	v_lshl_add_u32 v25, v49, 23, 0x3c000000
	s_delay_alu instid0(VALU_DEP_3) | instskip(NEXT) | instid1(VALU_DEP_1)
	v_and_b32_e32 v12, 0x80000000, v12
	v_or3_b32 v86, v24, v12, v25
.LBB340_327:                            ;   in Loop: Header=BB340_9 Depth=1
	s_or_b32 exec_lo, exec_lo, s18
.LBB340_328:                            ;   in Loop: Header=BB340_9 Depth=1
	s_delay_alu instid0(SALU_CYCLE_1)
	s_or_b32 exec_lo, exec_lo, s17
.LBB340_329:                            ;   in Loop: Header=BB340_9 Depth=1
	s_delay_alu instid0(SALU_CYCLE_1)
	s_or_b32 exec_lo, exec_lo, s16
	flat_load_b32 v49, v[16:17] offset:1280
	v_dual_mov_b32 v96, 0 :: v_dual_mov_b32 v97, 0
	s_mov_b32 s16, exec_lo
	s_wait_loadcnt_dscnt 0x0
	v_and_b32_e32 v12, 0xff, v49
	s_wait_xcnt 0x0
	s_delay_alu instid0(VALU_DEP_1)
	v_cmpx_ne_u16_e32 0, v12
	s_cbranch_execz .LBB340_337
; %bb.330:                              ;   in Loop: Header=BB340_9 Depth=1
	v_bfrev_b32_e32 v97, 1
	s_mov_b32 s17, exec_lo
	v_cmpx_ne_u16_e32 0x80, v12
	s_cbranch_execz .LBB340_336
; %bb.331:                              ;   in Loop: Header=BB340_9 Depth=1
	v_and_b32_e32 v24, 0x7f, v49
	v_mov_b32_e32 v97, 0x7f800001
	s_mov_b32 s18, exec_lo
	s_delay_alu instid0(VALU_DEP_2)
	v_cmpx_ne_u32_e32 0x7f, v24
	s_cbranch_execz .LBB340_335
; %bb.332:                              ;   in Loop: Header=BB340_9 Depth=1
	v_dual_lshrrev_b32 v97, 3, v24 :: v_dual_bitop2_b32 v12, 7, v49 bitop3:0x40
	v_cmp_gt_u32_e64 s2, 8, v24
	s_delay_alu instid0(VALU_DEP_2)
	v_mov_b64_e32 v[24:25], v[12:13]
	s_and_saveexec_b32 s19, s2
; %bb.333:                              ;   in Loop: Header=BB340_9 Depth=1
	v_clz_i32_u32_e32 v24, v12
	s_delay_alu instid0(VALU_DEP_1) | instskip(NEXT) | instid1(VALU_DEP_1)
	v_min_u32_e32 v97, 32, v24
	v_subrev_nc_u32_e32 v24, 28, v97
	s_delay_alu instid0(VALU_DEP_1) | instskip(NEXT) | instid1(VALU_DEP_1)
	v_lshlrev_b64_e32 v[24:25], v24, v[12:13]
	v_dual_sub_nc_u32 v97, 29, v97 :: v_dual_bitop2_b32 v24, 7, v24 bitop3:0x40
; %bb.334:                              ;   in Loop: Header=BB340_9 Depth=1
	s_or_b32 exec_lo, exec_lo, s19
	s_delay_alu instid0(VALU_DEP_1) | instskip(NEXT) | instid1(VALU_DEP_2)
	v_dual_lshlrev_b32 v12, 24, v49 :: v_dual_lshlrev_b32 v24, 20, v24
	v_lshl_add_u32 v25, v97, 23, 0x3c000000
	s_delay_alu instid0(VALU_DEP_2) | instskip(NEXT) | instid1(VALU_DEP_1)
	v_and_b32_e32 v12, 0x80000000, v12
	v_or3_b32 v97, v24, v12, v25
.LBB340_335:                            ;   in Loop: Header=BB340_9 Depth=1
	s_or_b32 exec_lo, exec_lo, s18
.LBB340_336:                            ;   in Loop: Header=BB340_9 Depth=1
	s_delay_alu instid0(SALU_CYCLE_1)
	s_or_b32 exec_lo, exec_lo, s17
.LBB340_337:                            ;   in Loop: Header=BB340_9 Depth=1
	s_delay_alu instid0(SALU_CYCLE_1) | instskip(SKIP_2) | instid1(VALU_DEP_1)
	s_or_b32 exec_lo, exec_lo, s16
	v_lshrrev_b16 v12, 8, v49
	s_mov_b32 s16, exec_lo
	v_cmpx_ne_u16_e32 0, v12
	s_cbranch_execz .LBB340_345
; %bb.338:                              ;   in Loop: Header=BB340_9 Depth=1
	v_bfrev_b32_e32 v96, 1
	s_mov_b32 s17, exec_lo
	v_cmpx_ne_u16_e32 0x80, v12
	s_cbranch_execz .LBB340_344
; %bb.339:                              ;   in Loop: Header=BB340_9 Depth=1
	v_and_b32_e32 v12, 0xffff, v12
	v_mov_b32_e32 v96, 0x7f800001
	s_mov_b32 s18, exec_lo
	s_delay_alu instid0(VALU_DEP_2) | instskip(NEXT) | instid1(VALU_DEP_1)
	v_and_b32_e32 v24, 0x7f, v12
	v_cmpx_ne_u32_e32 0x7f, v24
	s_cbranch_execz .LBB340_343
; %bb.340:                              ;   in Loop: Header=BB340_9 Depth=1
	v_and_b32_e32 v12, 7, v12
	v_lshrrev_b32_e32 v96, 3, v24
	v_cmp_gt_u32_e64 s2, 8, v24
	s_delay_alu instid0(VALU_DEP_3)
	v_mov_b64_e32 v[24:25], v[12:13]
	s_and_saveexec_b32 s19, s2
; %bb.341:                              ;   in Loop: Header=BB340_9 Depth=1
	v_clz_i32_u32_e32 v24, v12
	s_delay_alu instid0(VALU_DEP_1) | instskip(NEXT) | instid1(VALU_DEP_1)
	v_min_u32_e32 v96, 32, v24
	v_subrev_nc_u32_e32 v24, 28, v96
	v_sub_nc_u32_e32 v96, 29, v96
	s_delay_alu instid0(VALU_DEP_2) | instskip(NEXT) | instid1(VALU_DEP_1)
	v_lshlrev_b64_e32 v[24:25], v24, v[12:13]
	v_and_b32_e32 v24, 7, v24
; %bb.342:                              ;   in Loop: Header=BB340_9 Depth=1
	s_or_b32 exec_lo, exec_lo, s19
	s_delay_alu instid0(VALU_DEP_1) | instskip(SKIP_1) | instid1(VALU_DEP_2)
	v_dual_lshlrev_b32 v12, 16, v49 :: v_dual_lshlrev_b32 v24, 20, v24
	v_lshl_add_u32 v25, v96, 23, 0x3c000000
	v_and_b32_e32 v12, 0x80000000, v12
	s_delay_alu instid0(VALU_DEP_1)
	v_or3_b32 v96, v24, v12, v25
.LBB340_343:                            ;   in Loop: Header=BB340_9 Depth=1
	s_or_b32 exec_lo, exec_lo, s18
.LBB340_344:                            ;   in Loop: Header=BB340_9 Depth=1
	s_delay_alu instid0(SALU_CYCLE_1)
	s_or_b32 exec_lo, exec_lo, s17
.LBB340_345:                            ;   in Loop: Header=BB340_9 Depth=1
	s_delay_alu instid0(SALU_CYCLE_1) | instskip(SKIP_3) | instid1(VALU_DEP_2)
	s_or_b32 exec_lo, exec_lo, s16
	v_dual_lshrrev_b32 v100, 16, v49 :: v_dual_mov_b32 v98, 0
	v_mov_b32_e32 v99, 0
	s_mov_b32 s16, exec_lo
	v_and_b32_e32 v12, 0xff, v100
	s_delay_alu instid0(VALU_DEP_1)
	v_cmpx_ne_u16_e32 0, v12
	s_cbranch_execz .LBB340_353
; %bb.346:                              ;   in Loop: Header=BB340_9 Depth=1
	v_bfrev_b32_e32 v99, 1
	s_mov_b32 s17, exec_lo
	v_cmpx_ne_u16_e32 0x80, v12
	s_cbranch_execz .LBB340_352
; %bb.347:                              ;   in Loop: Header=BB340_9 Depth=1
	v_bfe_u32 v24, v49, 16, 7
	v_mov_b32_e32 v99, 0x7f800001
	s_mov_b32 s18, exec_lo
	s_delay_alu instid0(VALU_DEP_2)
	v_cmpx_ne_u32_e32 0x7f, v24
	s_cbranch_execz .LBB340_351
; %bb.348:                              ;   in Loop: Header=BB340_9 Depth=1
	v_and_b32_e32 v12, 7, v100
	v_lshrrev_b32_e32 v99, 3, v24
	v_cmp_gt_u32_e64 s2, 8, v24
	s_delay_alu instid0(VALU_DEP_3)
	v_mov_b64_e32 v[24:25], v[12:13]
	s_and_saveexec_b32 s19, s2
; %bb.349:                              ;   in Loop: Header=BB340_9 Depth=1
	v_clz_i32_u32_e32 v24, v12
	s_delay_alu instid0(VALU_DEP_1) | instskip(NEXT) | instid1(VALU_DEP_1)
	v_min_u32_e32 v99, 32, v24
	v_subrev_nc_u32_e32 v24, 28, v99
	s_delay_alu instid0(VALU_DEP_1) | instskip(NEXT) | instid1(VALU_DEP_1)
	v_lshlrev_b64_e32 v[24:25], v24, v[12:13]
	v_dual_sub_nc_u32 v99, 29, v99 :: v_dual_bitop2_b32 v24, 7, v24 bitop3:0x40
; %bb.350:                              ;   in Loop: Header=BB340_9 Depth=1
	s_or_b32 exec_lo, exec_lo, s19
	v_lshlrev_b32_e32 v12, 24, v100
	s_delay_alu instid0(VALU_DEP_2) | instskip(NEXT) | instid1(VALU_DEP_3)
	v_lshlrev_b32_e32 v24, 20, v24
	v_lshl_add_u32 v25, v99, 23, 0x3c000000
	s_delay_alu instid0(VALU_DEP_3) | instskip(NEXT) | instid1(VALU_DEP_1)
	v_and_b32_e32 v12, 0x80000000, v12
	v_or3_b32 v99, v24, v12, v25
.LBB340_351:                            ;   in Loop: Header=BB340_9 Depth=1
	s_or_b32 exec_lo, exec_lo, s18
.LBB340_352:                            ;   in Loop: Header=BB340_9 Depth=1
	s_delay_alu instid0(SALU_CYCLE_1)
	s_or_b32 exec_lo, exec_lo, s17
.LBB340_353:                            ;   in Loop: Header=BB340_9 Depth=1
	s_delay_alu instid0(SALU_CYCLE_1) | instskip(NEXT) | instid1(SALU_CYCLE_1)
	s_or_b32 exec_lo, exec_lo, s16
	s_mov_b32 s16, exec_lo
	v_cmpx_lt_u32_e32 0xffffff, v49
	s_cbranch_execz .LBB340_361
; %bb.354:                              ;   in Loop: Header=BB340_9 Depth=1
	v_lshrrev_b32_e32 v100, 24, v49
	v_bfrev_b32_e32 v98, 1
	s_mov_b32 s17, exec_lo
	s_delay_alu instid0(VALU_DEP_2)
	v_cmpx_ne_u32_e32 0x80, v100
	s_cbranch_execz .LBB340_360
; %bb.355:                              ;   in Loop: Header=BB340_9 Depth=1
	v_bfe_u32 v24, v49, 24, 7
	v_mov_b32_e32 v98, 0x7f800001
	s_mov_b32 s18, exec_lo
	s_delay_alu instid0(VALU_DEP_2)
	v_cmpx_ne_u32_e32 0x7f, v24
	s_cbranch_execz .LBB340_359
; %bb.356:                              ;   in Loop: Header=BB340_9 Depth=1
	v_and_b32_e32 v12, 7, v100
	v_lshrrev_b32_e32 v49, 3, v24
	v_cmp_gt_u32_e64 s2, 8, v24
	s_delay_alu instid0(VALU_DEP_3)
	v_mov_b64_e32 v[24:25], v[12:13]
	s_and_saveexec_b32 s19, s2
; %bb.357:                              ;   in Loop: Header=BB340_9 Depth=1
	v_clz_i32_u32_e32 v24, v12
	s_delay_alu instid0(VALU_DEP_1) | instskip(NEXT) | instid1(VALU_DEP_1)
	v_min_u32_e32 v49, 32, v24
	v_subrev_nc_u32_e32 v24, 28, v49
	s_delay_alu instid0(VALU_DEP_1) | instskip(NEXT) | instid1(VALU_DEP_1)
	v_lshlrev_b64_e32 v[24:25], v24, v[12:13]
	v_dual_sub_nc_u32 v49, 29, v49 :: v_dual_bitop2_b32 v24, 7, v24 bitop3:0x40
; %bb.358:                              ;   in Loop: Header=BB340_9 Depth=1
	s_or_b32 exec_lo, exec_lo, s19
	v_lshlrev_b32_e32 v12, 24, v100
	s_delay_alu instid0(VALU_DEP_2) | instskip(NEXT) | instid1(VALU_DEP_3)
	v_lshlrev_b32_e32 v24, 20, v24
	v_lshl_add_u32 v25, v49, 23, 0x3c000000
	s_delay_alu instid0(VALU_DEP_3) | instskip(NEXT) | instid1(VALU_DEP_1)
	v_and_b32_e32 v12, 0x80000000, v12
	v_or3_b32 v98, v24, v12, v25
.LBB340_359:                            ;   in Loop: Header=BB340_9 Depth=1
	s_or_b32 exec_lo, exec_lo, s18
.LBB340_360:                            ;   in Loop: Header=BB340_9 Depth=1
	s_delay_alu instid0(SALU_CYCLE_1)
	s_or_b32 exec_lo, exec_lo, s17
.LBB340_361:                            ;   in Loop: Header=BB340_9 Depth=1
	s_delay_alu instid0(SALU_CYCLE_1)
	s_or_b32 exec_lo, exec_lo, s16
	flat_load_b32 v49, v[16:17] offset:1288
	v_dual_mov_b32 v100, 0 :: v_dual_mov_b32 v101, 0
	s_mov_b32 s16, exec_lo
	s_wait_loadcnt_dscnt 0x0
	v_and_b32_e32 v12, 0xff, v49
	s_wait_xcnt 0x0
	s_delay_alu instid0(VALU_DEP_1)
	v_cmpx_ne_u16_e32 0, v12
	s_cbranch_execz .LBB340_369
; %bb.362:                              ;   in Loop: Header=BB340_9 Depth=1
	v_bfrev_b32_e32 v101, 1
	s_mov_b32 s17, exec_lo
	v_cmpx_ne_u16_e32 0x80, v12
	s_cbranch_execz .LBB340_368
; %bb.363:                              ;   in Loop: Header=BB340_9 Depth=1
	v_and_b32_e32 v24, 0x7f, v49
	v_mov_b32_e32 v101, 0x7f800001
	s_mov_b32 s18, exec_lo
	s_delay_alu instid0(VALU_DEP_2)
	v_cmpx_ne_u32_e32 0x7f, v24
	s_cbranch_execz .LBB340_367
; %bb.364:                              ;   in Loop: Header=BB340_9 Depth=1
	v_dual_lshrrev_b32 v101, 3, v24 :: v_dual_bitop2_b32 v12, 7, v49 bitop3:0x40
	v_cmp_gt_u32_e64 s2, 8, v24
	s_delay_alu instid0(VALU_DEP_2)
	v_mov_b64_e32 v[24:25], v[12:13]
	s_and_saveexec_b32 s19, s2
; %bb.365:                              ;   in Loop: Header=BB340_9 Depth=1
	v_clz_i32_u32_e32 v24, v12
	s_delay_alu instid0(VALU_DEP_1) | instskip(NEXT) | instid1(VALU_DEP_1)
	v_min_u32_e32 v101, 32, v24
	v_subrev_nc_u32_e32 v24, 28, v101
	s_delay_alu instid0(VALU_DEP_1) | instskip(NEXT) | instid1(VALU_DEP_1)
	v_lshlrev_b64_e32 v[24:25], v24, v[12:13]
	v_dual_sub_nc_u32 v101, 29, v101 :: v_dual_bitop2_b32 v24, 7, v24 bitop3:0x40
; %bb.366:                              ;   in Loop: Header=BB340_9 Depth=1
	s_or_b32 exec_lo, exec_lo, s19
	s_delay_alu instid0(VALU_DEP_1) | instskip(NEXT) | instid1(VALU_DEP_2)
	v_dual_lshlrev_b32 v12, 24, v49 :: v_dual_lshlrev_b32 v24, 20, v24
	v_lshl_add_u32 v25, v101, 23, 0x3c000000
	s_delay_alu instid0(VALU_DEP_2) | instskip(NEXT) | instid1(VALU_DEP_1)
	v_and_b32_e32 v12, 0x80000000, v12
	v_or3_b32 v101, v24, v12, v25
.LBB340_367:                            ;   in Loop: Header=BB340_9 Depth=1
	s_or_b32 exec_lo, exec_lo, s18
.LBB340_368:                            ;   in Loop: Header=BB340_9 Depth=1
	s_delay_alu instid0(SALU_CYCLE_1)
	s_or_b32 exec_lo, exec_lo, s17
.LBB340_369:                            ;   in Loop: Header=BB340_9 Depth=1
	s_delay_alu instid0(SALU_CYCLE_1) | instskip(SKIP_2) | instid1(VALU_DEP_1)
	s_or_b32 exec_lo, exec_lo, s16
	v_lshrrev_b16 v12, 8, v49
	s_mov_b32 s16, exec_lo
	v_cmpx_ne_u16_e32 0, v12
	s_cbranch_execz .LBB340_377
; %bb.370:                              ;   in Loop: Header=BB340_9 Depth=1
	v_bfrev_b32_e32 v100, 1
	s_mov_b32 s17, exec_lo
	v_cmpx_ne_u16_e32 0x80, v12
	s_cbranch_execz .LBB340_376
; %bb.371:                              ;   in Loop: Header=BB340_9 Depth=1
	v_and_b32_e32 v12, 0xffff, v12
	v_mov_b32_e32 v100, 0x7f800001
	s_mov_b32 s18, exec_lo
	s_delay_alu instid0(VALU_DEP_2) | instskip(NEXT) | instid1(VALU_DEP_1)
	v_and_b32_e32 v24, 0x7f, v12
	v_cmpx_ne_u32_e32 0x7f, v24
	s_cbranch_execz .LBB340_375
; %bb.372:                              ;   in Loop: Header=BB340_9 Depth=1
	v_and_b32_e32 v12, 7, v12
	v_lshrrev_b32_e32 v100, 3, v24
	v_cmp_gt_u32_e64 s2, 8, v24
	s_delay_alu instid0(VALU_DEP_3)
	v_mov_b64_e32 v[24:25], v[12:13]
	s_and_saveexec_b32 s19, s2
; %bb.373:                              ;   in Loop: Header=BB340_9 Depth=1
	v_clz_i32_u32_e32 v24, v12
	s_delay_alu instid0(VALU_DEP_1) | instskip(NEXT) | instid1(VALU_DEP_1)
	v_min_u32_e32 v100, 32, v24
	v_subrev_nc_u32_e32 v24, 28, v100
	v_sub_nc_u32_e32 v100, 29, v100
	s_delay_alu instid0(VALU_DEP_2) | instskip(NEXT) | instid1(VALU_DEP_1)
	v_lshlrev_b64_e32 v[24:25], v24, v[12:13]
	v_and_b32_e32 v24, 7, v24
; %bb.374:                              ;   in Loop: Header=BB340_9 Depth=1
	s_or_b32 exec_lo, exec_lo, s19
	s_delay_alu instid0(VALU_DEP_1) | instskip(SKIP_1) | instid1(VALU_DEP_2)
	v_dual_lshlrev_b32 v12, 16, v49 :: v_dual_lshlrev_b32 v24, 20, v24
	v_lshl_add_u32 v25, v100, 23, 0x3c000000
	v_and_b32_e32 v12, 0x80000000, v12
	s_delay_alu instid0(VALU_DEP_1)
	v_or3_b32 v100, v24, v12, v25
.LBB340_375:                            ;   in Loop: Header=BB340_9 Depth=1
	s_or_b32 exec_lo, exec_lo, s18
.LBB340_376:                            ;   in Loop: Header=BB340_9 Depth=1
	s_delay_alu instid0(SALU_CYCLE_1)
	s_or_b32 exec_lo, exec_lo, s17
.LBB340_377:                            ;   in Loop: Header=BB340_9 Depth=1
	s_delay_alu instid0(SALU_CYCLE_1) | instskip(SKIP_3) | instid1(VALU_DEP_2)
	s_or_b32 exec_lo, exec_lo, s16
	v_dual_lshrrev_b32 v112, 16, v49 :: v_dual_mov_b32 v102, 0
	v_mov_b32_e32 v103, 0
	s_mov_b32 s16, exec_lo
	v_and_b32_e32 v12, 0xff, v112
	s_delay_alu instid0(VALU_DEP_1)
	v_cmpx_ne_u16_e32 0, v12
	s_cbranch_execz .LBB340_385
; %bb.378:                              ;   in Loop: Header=BB340_9 Depth=1
	v_bfrev_b32_e32 v103, 1
	s_mov_b32 s17, exec_lo
	v_cmpx_ne_u16_e32 0x80, v12
	s_cbranch_execz .LBB340_384
; %bb.379:                              ;   in Loop: Header=BB340_9 Depth=1
	v_bfe_u32 v24, v49, 16, 7
	v_mov_b32_e32 v103, 0x7f800001
	s_mov_b32 s18, exec_lo
	s_delay_alu instid0(VALU_DEP_2)
	v_cmpx_ne_u32_e32 0x7f, v24
	s_cbranch_execz .LBB340_383
; %bb.380:                              ;   in Loop: Header=BB340_9 Depth=1
	v_and_b32_e32 v12, 7, v112
	v_lshrrev_b32_e32 v103, 3, v24
	v_cmp_gt_u32_e64 s2, 8, v24
	s_delay_alu instid0(VALU_DEP_3)
	v_mov_b64_e32 v[24:25], v[12:13]
	s_and_saveexec_b32 s19, s2
; %bb.381:                              ;   in Loop: Header=BB340_9 Depth=1
	v_clz_i32_u32_e32 v24, v12
	s_delay_alu instid0(VALU_DEP_1) | instskip(NEXT) | instid1(VALU_DEP_1)
	v_min_u32_e32 v103, 32, v24
	v_subrev_nc_u32_e32 v24, 28, v103
	s_delay_alu instid0(VALU_DEP_1) | instskip(NEXT) | instid1(VALU_DEP_1)
	v_lshlrev_b64_e32 v[24:25], v24, v[12:13]
	v_dual_sub_nc_u32 v103, 29, v103 :: v_dual_bitop2_b32 v24, 7, v24 bitop3:0x40
; %bb.382:                              ;   in Loop: Header=BB340_9 Depth=1
	s_or_b32 exec_lo, exec_lo, s19
	v_lshlrev_b32_e32 v12, 24, v112
	s_delay_alu instid0(VALU_DEP_2) | instskip(NEXT) | instid1(VALU_DEP_3)
	v_lshlrev_b32_e32 v24, 20, v24
	v_lshl_add_u32 v25, v103, 23, 0x3c000000
	s_delay_alu instid0(VALU_DEP_3) | instskip(NEXT) | instid1(VALU_DEP_1)
	v_and_b32_e32 v12, 0x80000000, v12
	v_or3_b32 v103, v24, v12, v25
.LBB340_383:                            ;   in Loop: Header=BB340_9 Depth=1
	s_or_b32 exec_lo, exec_lo, s18
.LBB340_384:                            ;   in Loop: Header=BB340_9 Depth=1
	s_delay_alu instid0(SALU_CYCLE_1)
	s_or_b32 exec_lo, exec_lo, s17
.LBB340_385:                            ;   in Loop: Header=BB340_9 Depth=1
	s_delay_alu instid0(SALU_CYCLE_1) | instskip(NEXT) | instid1(SALU_CYCLE_1)
	s_or_b32 exec_lo, exec_lo, s16
	s_mov_b32 s16, exec_lo
	v_cmpx_lt_u32_e32 0xffffff, v49
	s_cbranch_execz .LBB340_393
; %bb.386:                              ;   in Loop: Header=BB340_9 Depth=1
	v_lshrrev_b32_e32 v112, 24, v49
	v_bfrev_b32_e32 v102, 1
	s_mov_b32 s17, exec_lo
	s_delay_alu instid0(VALU_DEP_2)
	v_cmpx_ne_u32_e32 0x80, v112
	s_cbranch_execz .LBB340_392
; %bb.387:                              ;   in Loop: Header=BB340_9 Depth=1
	v_bfe_u32 v24, v49, 24, 7
	v_mov_b32_e32 v102, 0x7f800001
	s_mov_b32 s18, exec_lo
	s_delay_alu instid0(VALU_DEP_2)
	v_cmpx_ne_u32_e32 0x7f, v24
	s_cbranch_execz .LBB340_391
; %bb.388:                              ;   in Loop: Header=BB340_9 Depth=1
	v_and_b32_e32 v12, 7, v112
	v_lshrrev_b32_e32 v49, 3, v24
	v_cmp_gt_u32_e64 s2, 8, v24
	s_delay_alu instid0(VALU_DEP_3)
	v_mov_b64_e32 v[24:25], v[12:13]
	s_and_saveexec_b32 s19, s2
; %bb.389:                              ;   in Loop: Header=BB340_9 Depth=1
	v_clz_i32_u32_e32 v24, v12
	s_delay_alu instid0(VALU_DEP_1) | instskip(NEXT) | instid1(VALU_DEP_1)
	v_min_u32_e32 v49, 32, v24
	v_subrev_nc_u32_e32 v24, 28, v49
	s_delay_alu instid0(VALU_DEP_1) | instskip(NEXT) | instid1(VALU_DEP_1)
	v_lshlrev_b64_e32 v[24:25], v24, v[12:13]
	v_dual_sub_nc_u32 v49, 29, v49 :: v_dual_bitop2_b32 v24, 7, v24 bitop3:0x40
; %bb.390:                              ;   in Loop: Header=BB340_9 Depth=1
	s_or_b32 exec_lo, exec_lo, s19
	v_lshlrev_b32_e32 v12, 24, v112
	s_delay_alu instid0(VALU_DEP_2) | instskip(NEXT) | instid1(VALU_DEP_3)
	v_lshlrev_b32_e32 v24, 20, v24
	v_lshl_add_u32 v25, v49, 23, 0x3c000000
	s_delay_alu instid0(VALU_DEP_3) | instskip(NEXT) | instid1(VALU_DEP_1)
	v_and_b32_e32 v12, 0x80000000, v12
	v_or3_b32 v102, v24, v12, v25
.LBB340_391:                            ;   in Loop: Header=BB340_9 Depth=1
	s_or_b32 exec_lo, exec_lo, s18
.LBB340_392:                            ;   in Loop: Header=BB340_9 Depth=1
	s_delay_alu instid0(SALU_CYCLE_1)
	s_or_b32 exec_lo, exec_lo, s17
.LBB340_393:                            ;   in Loop: Header=BB340_9 Depth=1
	s_delay_alu instid0(SALU_CYCLE_1)
	s_or_b32 exec_lo, exec_lo, s16
	flat_load_b32 v49, v[16:17] offset:1536
	v_dual_mov_b32 v112, 0 :: v_dual_mov_b32 v113, 0
	s_mov_b32 s16, exec_lo
	s_wait_loadcnt_dscnt 0x0
	v_and_b32_e32 v12, 0xff, v49
	s_wait_xcnt 0x0
	s_delay_alu instid0(VALU_DEP_1)
	v_cmpx_ne_u16_e32 0, v12
	s_cbranch_execz .LBB340_401
; %bb.394:                              ;   in Loop: Header=BB340_9 Depth=1
	v_bfrev_b32_e32 v113, 1
	s_mov_b32 s17, exec_lo
	v_cmpx_ne_u16_e32 0x80, v12
	s_cbranch_execz .LBB340_400
; %bb.395:                              ;   in Loop: Header=BB340_9 Depth=1
	v_and_b32_e32 v24, 0x7f, v49
	v_mov_b32_e32 v113, 0x7f800001
	s_mov_b32 s18, exec_lo
	s_delay_alu instid0(VALU_DEP_2)
	v_cmpx_ne_u32_e32 0x7f, v24
	s_cbranch_execz .LBB340_399
; %bb.396:                              ;   in Loop: Header=BB340_9 Depth=1
	v_dual_lshrrev_b32 v113, 3, v24 :: v_dual_bitop2_b32 v12, 7, v49 bitop3:0x40
	v_cmp_gt_u32_e64 s2, 8, v24
	s_delay_alu instid0(VALU_DEP_2)
	v_mov_b64_e32 v[24:25], v[12:13]
	s_and_saveexec_b32 s19, s2
; %bb.397:                              ;   in Loop: Header=BB340_9 Depth=1
	v_clz_i32_u32_e32 v24, v12
	s_delay_alu instid0(VALU_DEP_1) | instskip(NEXT) | instid1(VALU_DEP_1)
	v_min_u32_e32 v113, 32, v24
	v_subrev_nc_u32_e32 v24, 28, v113
	s_delay_alu instid0(VALU_DEP_1) | instskip(NEXT) | instid1(VALU_DEP_1)
	v_lshlrev_b64_e32 v[24:25], v24, v[12:13]
	v_dual_sub_nc_u32 v113, 29, v113 :: v_dual_bitop2_b32 v24, 7, v24 bitop3:0x40
; %bb.398:                              ;   in Loop: Header=BB340_9 Depth=1
	s_or_b32 exec_lo, exec_lo, s19
	s_delay_alu instid0(VALU_DEP_1) | instskip(NEXT) | instid1(VALU_DEP_2)
	v_dual_lshlrev_b32 v12, 24, v49 :: v_dual_lshlrev_b32 v24, 20, v24
	v_lshl_add_u32 v25, v113, 23, 0x3c000000
	s_delay_alu instid0(VALU_DEP_2) | instskip(NEXT) | instid1(VALU_DEP_1)
	v_and_b32_e32 v12, 0x80000000, v12
	v_or3_b32 v113, v24, v12, v25
.LBB340_399:                            ;   in Loop: Header=BB340_9 Depth=1
	s_or_b32 exec_lo, exec_lo, s18
.LBB340_400:                            ;   in Loop: Header=BB340_9 Depth=1
	s_delay_alu instid0(SALU_CYCLE_1)
	s_or_b32 exec_lo, exec_lo, s17
.LBB340_401:                            ;   in Loop: Header=BB340_9 Depth=1
	s_delay_alu instid0(SALU_CYCLE_1) | instskip(SKIP_2) | instid1(VALU_DEP_1)
	s_or_b32 exec_lo, exec_lo, s16
	v_lshrrev_b16 v12, 8, v49
	s_mov_b32 s16, exec_lo
	v_cmpx_ne_u16_e32 0, v12
	s_cbranch_execz .LBB340_409
; %bb.402:                              ;   in Loop: Header=BB340_9 Depth=1
	v_bfrev_b32_e32 v112, 1
	s_mov_b32 s17, exec_lo
	v_cmpx_ne_u16_e32 0x80, v12
	s_cbranch_execz .LBB340_408
; %bb.403:                              ;   in Loop: Header=BB340_9 Depth=1
	v_and_b32_e32 v12, 0xffff, v12
	v_mov_b32_e32 v112, 0x7f800001
	s_mov_b32 s18, exec_lo
	s_delay_alu instid0(VALU_DEP_2) | instskip(NEXT) | instid1(VALU_DEP_1)
	v_and_b32_e32 v24, 0x7f, v12
	v_cmpx_ne_u32_e32 0x7f, v24
	s_cbranch_execz .LBB340_407
; %bb.404:                              ;   in Loop: Header=BB340_9 Depth=1
	v_and_b32_e32 v12, 7, v12
	v_lshrrev_b32_e32 v112, 3, v24
	v_cmp_gt_u32_e64 s2, 8, v24
	s_delay_alu instid0(VALU_DEP_3)
	v_mov_b64_e32 v[24:25], v[12:13]
	s_and_saveexec_b32 s19, s2
; %bb.405:                              ;   in Loop: Header=BB340_9 Depth=1
	v_clz_i32_u32_e32 v24, v12
	s_delay_alu instid0(VALU_DEP_1) | instskip(NEXT) | instid1(VALU_DEP_1)
	v_min_u32_e32 v112, 32, v24
	v_subrev_nc_u32_e32 v24, 28, v112
	v_sub_nc_u32_e32 v112, 29, v112
	s_delay_alu instid0(VALU_DEP_2) | instskip(NEXT) | instid1(VALU_DEP_1)
	v_lshlrev_b64_e32 v[24:25], v24, v[12:13]
	v_and_b32_e32 v24, 7, v24
; %bb.406:                              ;   in Loop: Header=BB340_9 Depth=1
	s_or_b32 exec_lo, exec_lo, s19
	s_delay_alu instid0(VALU_DEP_1) | instskip(SKIP_1) | instid1(VALU_DEP_2)
	v_dual_lshlrev_b32 v12, 16, v49 :: v_dual_lshlrev_b32 v24, 20, v24
	v_lshl_add_u32 v25, v112, 23, 0x3c000000
	v_and_b32_e32 v12, 0x80000000, v12
	s_delay_alu instid0(VALU_DEP_1)
	v_or3_b32 v112, v24, v12, v25
.LBB340_407:                            ;   in Loop: Header=BB340_9 Depth=1
	s_or_b32 exec_lo, exec_lo, s18
.LBB340_408:                            ;   in Loop: Header=BB340_9 Depth=1
	s_delay_alu instid0(SALU_CYCLE_1)
	s_or_b32 exec_lo, exec_lo, s17
.LBB340_409:                            ;   in Loop: Header=BB340_9 Depth=1
	s_delay_alu instid0(SALU_CYCLE_1) | instskip(SKIP_3) | instid1(VALU_DEP_2)
	s_or_b32 exec_lo, exec_lo, s16
	v_dual_lshrrev_b32 v116, 16, v49 :: v_dual_mov_b32 v114, 0
	v_mov_b32_e32 v115, 0
	s_mov_b32 s16, exec_lo
	v_and_b32_e32 v12, 0xff, v116
	s_delay_alu instid0(VALU_DEP_1)
	v_cmpx_ne_u16_e32 0, v12
	s_cbranch_execz .LBB340_417
; %bb.410:                              ;   in Loop: Header=BB340_9 Depth=1
	v_bfrev_b32_e32 v115, 1
	s_mov_b32 s17, exec_lo
	v_cmpx_ne_u16_e32 0x80, v12
	s_cbranch_execz .LBB340_416
; %bb.411:                              ;   in Loop: Header=BB340_9 Depth=1
	v_bfe_u32 v24, v49, 16, 7
	v_mov_b32_e32 v115, 0x7f800001
	s_mov_b32 s18, exec_lo
	s_delay_alu instid0(VALU_DEP_2)
	v_cmpx_ne_u32_e32 0x7f, v24
	s_cbranch_execz .LBB340_415
; %bb.412:                              ;   in Loop: Header=BB340_9 Depth=1
	v_and_b32_e32 v12, 7, v116
	v_lshrrev_b32_e32 v115, 3, v24
	v_cmp_gt_u32_e64 s2, 8, v24
	s_delay_alu instid0(VALU_DEP_3)
	v_mov_b64_e32 v[24:25], v[12:13]
	s_and_saveexec_b32 s19, s2
; %bb.413:                              ;   in Loop: Header=BB340_9 Depth=1
	v_clz_i32_u32_e32 v24, v12
	s_delay_alu instid0(VALU_DEP_1) | instskip(NEXT) | instid1(VALU_DEP_1)
	v_min_u32_e32 v115, 32, v24
	v_subrev_nc_u32_e32 v24, 28, v115
	s_delay_alu instid0(VALU_DEP_1) | instskip(NEXT) | instid1(VALU_DEP_1)
	v_lshlrev_b64_e32 v[24:25], v24, v[12:13]
	v_dual_sub_nc_u32 v115, 29, v115 :: v_dual_bitop2_b32 v24, 7, v24 bitop3:0x40
; %bb.414:                              ;   in Loop: Header=BB340_9 Depth=1
	s_or_b32 exec_lo, exec_lo, s19
	v_lshlrev_b32_e32 v12, 24, v116
	s_delay_alu instid0(VALU_DEP_2) | instskip(NEXT) | instid1(VALU_DEP_3)
	v_lshlrev_b32_e32 v24, 20, v24
	v_lshl_add_u32 v25, v115, 23, 0x3c000000
	s_delay_alu instid0(VALU_DEP_3) | instskip(NEXT) | instid1(VALU_DEP_1)
	v_and_b32_e32 v12, 0x80000000, v12
	v_or3_b32 v115, v24, v12, v25
.LBB340_415:                            ;   in Loop: Header=BB340_9 Depth=1
	s_or_b32 exec_lo, exec_lo, s18
.LBB340_416:                            ;   in Loop: Header=BB340_9 Depth=1
	s_delay_alu instid0(SALU_CYCLE_1)
	s_or_b32 exec_lo, exec_lo, s17
.LBB340_417:                            ;   in Loop: Header=BB340_9 Depth=1
	s_delay_alu instid0(SALU_CYCLE_1) | instskip(NEXT) | instid1(SALU_CYCLE_1)
	s_or_b32 exec_lo, exec_lo, s16
	s_mov_b32 s16, exec_lo
	v_cmpx_lt_u32_e32 0xffffff, v49
	s_cbranch_execz .LBB340_425
; %bb.418:                              ;   in Loop: Header=BB340_9 Depth=1
	v_lshrrev_b32_e32 v116, 24, v49
	v_bfrev_b32_e32 v114, 1
	s_mov_b32 s17, exec_lo
	s_delay_alu instid0(VALU_DEP_2)
	v_cmpx_ne_u32_e32 0x80, v116
	s_cbranch_execz .LBB340_424
; %bb.419:                              ;   in Loop: Header=BB340_9 Depth=1
	v_bfe_u32 v24, v49, 24, 7
	v_mov_b32_e32 v114, 0x7f800001
	s_mov_b32 s18, exec_lo
	s_delay_alu instid0(VALU_DEP_2)
	v_cmpx_ne_u32_e32 0x7f, v24
	s_cbranch_execz .LBB340_423
; %bb.420:                              ;   in Loop: Header=BB340_9 Depth=1
	v_and_b32_e32 v12, 7, v116
	v_lshrrev_b32_e32 v49, 3, v24
	v_cmp_gt_u32_e64 s2, 8, v24
	s_delay_alu instid0(VALU_DEP_3)
	v_mov_b64_e32 v[24:25], v[12:13]
	s_and_saveexec_b32 s19, s2
; %bb.421:                              ;   in Loop: Header=BB340_9 Depth=1
	v_clz_i32_u32_e32 v24, v12
	s_delay_alu instid0(VALU_DEP_1) | instskip(NEXT) | instid1(VALU_DEP_1)
	v_min_u32_e32 v49, 32, v24
	v_subrev_nc_u32_e32 v24, 28, v49
	s_delay_alu instid0(VALU_DEP_1) | instskip(NEXT) | instid1(VALU_DEP_1)
	v_lshlrev_b64_e32 v[24:25], v24, v[12:13]
	v_dual_sub_nc_u32 v49, 29, v49 :: v_dual_bitop2_b32 v24, 7, v24 bitop3:0x40
; %bb.422:                              ;   in Loop: Header=BB340_9 Depth=1
	s_or_b32 exec_lo, exec_lo, s19
	v_lshlrev_b32_e32 v12, 24, v116
	s_delay_alu instid0(VALU_DEP_2) | instskip(NEXT) | instid1(VALU_DEP_3)
	v_lshlrev_b32_e32 v24, 20, v24
	v_lshl_add_u32 v25, v49, 23, 0x3c000000
	s_delay_alu instid0(VALU_DEP_3) | instskip(NEXT) | instid1(VALU_DEP_1)
	v_and_b32_e32 v12, 0x80000000, v12
	v_or3_b32 v114, v24, v12, v25
.LBB340_423:                            ;   in Loop: Header=BB340_9 Depth=1
	s_or_b32 exec_lo, exec_lo, s18
.LBB340_424:                            ;   in Loop: Header=BB340_9 Depth=1
	s_delay_alu instid0(SALU_CYCLE_1)
	s_or_b32 exec_lo, exec_lo, s17
.LBB340_425:                            ;   in Loop: Header=BB340_9 Depth=1
	s_delay_alu instid0(SALU_CYCLE_1)
	s_or_b32 exec_lo, exec_lo, s16
	flat_load_b32 v49, v[16:17] offset:1544
	v_dual_mov_b32 v116, 0 :: v_dual_mov_b32 v117, 0
	s_mov_b32 s16, exec_lo
	s_wait_loadcnt_dscnt 0x0
	v_and_b32_e32 v12, 0xff, v49
	s_wait_xcnt 0x0
	s_delay_alu instid0(VALU_DEP_1)
	v_cmpx_ne_u16_e32 0, v12
	s_cbranch_execz .LBB340_433
; %bb.426:                              ;   in Loop: Header=BB340_9 Depth=1
	v_bfrev_b32_e32 v117, 1
	s_mov_b32 s17, exec_lo
	v_cmpx_ne_u16_e32 0x80, v12
	s_cbranch_execz .LBB340_432
; %bb.427:                              ;   in Loop: Header=BB340_9 Depth=1
	v_and_b32_e32 v24, 0x7f, v49
	v_mov_b32_e32 v117, 0x7f800001
	s_mov_b32 s18, exec_lo
	s_delay_alu instid0(VALU_DEP_2)
	v_cmpx_ne_u32_e32 0x7f, v24
	s_cbranch_execz .LBB340_431
; %bb.428:                              ;   in Loop: Header=BB340_9 Depth=1
	v_dual_lshrrev_b32 v117, 3, v24 :: v_dual_bitop2_b32 v12, 7, v49 bitop3:0x40
	v_cmp_gt_u32_e64 s2, 8, v24
	s_delay_alu instid0(VALU_DEP_2)
	v_mov_b64_e32 v[24:25], v[12:13]
	s_and_saveexec_b32 s19, s2
; %bb.429:                              ;   in Loop: Header=BB340_9 Depth=1
	v_clz_i32_u32_e32 v24, v12
	s_delay_alu instid0(VALU_DEP_1) | instskip(NEXT) | instid1(VALU_DEP_1)
	v_min_u32_e32 v117, 32, v24
	v_subrev_nc_u32_e32 v24, 28, v117
	s_delay_alu instid0(VALU_DEP_1) | instskip(NEXT) | instid1(VALU_DEP_1)
	v_lshlrev_b64_e32 v[24:25], v24, v[12:13]
	v_dual_sub_nc_u32 v117, 29, v117 :: v_dual_bitop2_b32 v24, 7, v24 bitop3:0x40
; %bb.430:                              ;   in Loop: Header=BB340_9 Depth=1
	s_or_b32 exec_lo, exec_lo, s19
	s_delay_alu instid0(VALU_DEP_1) | instskip(NEXT) | instid1(VALU_DEP_2)
	v_dual_lshlrev_b32 v12, 24, v49 :: v_dual_lshlrev_b32 v24, 20, v24
	v_lshl_add_u32 v25, v117, 23, 0x3c000000
	s_delay_alu instid0(VALU_DEP_2) | instskip(NEXT) | instid1(VALU_DEP_1)
	v_and_b32_e32 v12, 0x80000000, v12
	v_or3_b32 v117, v24, v12, v25
.LBB340_431:                            ;   in Loop: Header=BB340_9 Depth=1
	s_or_b32 exec_lo, exec_lo, s18
.LBB340_432:                            ;   in Loop: Header=BB340_9 Depth=1
	s_delay_alu instid0(SALU_CYCLE_1)
	s_or_b32 exec_lo, exec_lo, s17
.LBB340_433:                            ;   in Loop: Header=BB340_9 Depth=1
	s_delay_alu instid0(SALU_CYCLE_1) | instskip(SKIP_2) | instid1(VALU_DEP_1)
	s_or_b32 exec_lo, exec_lo, s16
	v_lshrrev_b16 v12, 8, v49
	s_mov_b32 s16, exec_lo
	v_cmpx_ne_u16_e32 0, v12
	s_cbranch_execz .LBB340_441
; %bb.434:                              ;   in Loop: Header=BB340_9 Depth=1
	v_bfrev_b32_e32 v116, 1
	s_mov_b32 s17, exec_lo
	v_cmpx_ne_u16_e32 0x80, v12
	s_cbranch_execz .LBB340_440
; %bb.435:                              ;   in Loop: Header=BB340_9 Depth=1
	v_and_b32_e32 v12, 0xffff, v12
	v_mov_b32_e32 v116, 0x7f800001
	s_mov_b32 s18, exec_lo
	s_delay_alu instid0(VALU_DEP_2) | instskip(NEXT) | instid1(VALU_DEP_1)
	v_and_b32_e32 v24, 0x7f, v12
	v_cmpx_ne_u32_e32 0x7f, v24
	s_cbranch_execz .LBB340_439
; %bb.436:                              ;   in Loop: Header=BB340_9 Depth=1
	v_and_b32_e32 v12, 7, v12
	v_lshrrev_b32_e32 v116, 3, v24
	v_cmp_gt_u32_e64 s2, 8, v24
	s_delay_alu instid0(VALU_DEP_3)
	v_mov_b64_e32 v[24:25], v[12:13]
	s_and_saveexec_b32 s19, s2
; %bb.437:                              ;   in Loop: Header=BB340_9 Depth=1
	v_clz_i32_u32_e32 v24, v12
	s_delay_alu instid0(VALU_DEP_1) | instskip(NEXT) | instid1(VALU_DEP_1)
	v_min_u32_e32 v116, 32, v24
	v_subrev_nc_u32_e32 v24, 28, v116
	v_sub_nc_u32_e32 v116, 29, v116
	s_delay_alu instid0(VALU_DEP_2) | instskip(NEXT) | instid1(VALU_DEP_1)
	v_lshlrev_b64_e32 v[24:25], v24, v[12:13]
	v_and_b32_e32 v24, 7, v24
; %bb.438:                              ;   in Loop: Header=BB340_9 Depth=1
	s_or_b32 exec_lo, exec_lo, s19
	s_delay_alu instid0(VALU_DEP_1) | instskip(SKIP_1) | instid1(VALU_DEP_2)
	v_dual_lshlrev_b32 v12, 16, v49 :: v_dual_lshlrev_b32 v24, 20, v24
	v_lshl_add_u32 v25, v116, 23, 0x3c000000
	v_and_b32_e32 v12, 0x80000000, v12
	s_delay_alu instid0(VALU_DEP_1)
	v_or3_b32 v116, v24, v12, v25
.LBB340_439:                            ;   in Loop: Header=BB340_9 Depth=1
	s_or_b32 exec_lo, exec_lo, s18
.LBB340_440:                            ;   in Loop: Header=BB340_9 Depth=1
	s_delay_alu instid0(SALU_CYCLE_1)
	s_or_b32 exec_lo, exec_lo, s17
.LBB340_441:                            ;   in Loop: Header=BB340_9 Depth=1
	s_delay_alu instid0(SALU_CYCLE_1) | instskip(SKIP_3) | instid1(VALU_DEP_2)
	s_or_b32 exec_lo, exec_lo, s16
	v_dual_lshrrev_b32 v40, 16, v49 :: v_dual_mov_b32 v118, 0
	v_mov_b32_e32 v119, 0
	s_mov_b32 s16, exec_lo
	v_and_b32_e32 v12, 0xff, v40
	s_delay_alu instid0(VALU_DEP_1)
	v_cmpx_ne_u16_e32 0, v12
	s_cbranch_execz .LBB340_449
; %bb.442:                              ;   in Loop: Header=BB340_9 Depth=1
	v_bfrev_b32_e32 v119, 1
	s_mov_b32 s17, exec_lo
	v_cmpx_ne_u16_e32 0x80, v12
	s_cbranch_execz .LBB340_448
; %bb.443:                              ;   in Loop: Header=BB340_9 Depth=1
	v_bfe_u32 v24, v49, 16, 7
	v_mov_b32_e32 v119, 0x7f800001
	s_mov_b32 s18, exec_lo
	s_delay_alu instid0(VALU_DEP_2)
	v_cmpx_ne_u32_e32 0x7f, v24
	s_cbranch_execz .LBB340_447
; %bb.444:                              ;   in Loop: Header=BB340_9 Depth=1
	v_and_b32_e32 v12, 7, v40
	v_lshrrev_b32_e32 v119, 3, v24
	v_cmp_gt_u32_e64 s2, 8, v24
	s_delay_alu instid0(VALU_DEP_3)
	v_mov_b64_e32 v[24:25], v[12:13]
	s_and_saveexec_b32 s19, s2
; %bb.445:                              ;   in Loop: Header=BB340_9 Depth=1
	v_clz_i32_u32_e32 v24, v12
	s_delay_alu instid0(VALU_DEP_1) | instskip(NEXT) | instid1(VALU_DEP_1)
	v_min_u32_e32 v119, 32, v24
	v_subrev_nc_u32_e32 v24, 28, v119
	s_delay_alu instid0(VALU_DEP_1) | instskip(NEXT) | instid1(VALU_DEP_1)
	v_lshlrev_b64_e32 v[24:25], v24, v[12:13]
	v_dual_sub_nc_u32 v119, 29, v119 :: v_dual_bitop2_b32 v24, 7, v24 bitop3:0x40
; %bb.446:                              ;   in Loop: Header=BB340_9 Depth=1
	s_or_b32 exec_lo, exec_lo, s19
	v_lshlrev_b32_e32 v12, 24, v40
	s_delay_alu instid0(VALU_DEP_2) | instskip(NEXT) | instid1(VALU_DEP_3)
	v_lshlrev_b32_e32 v24, 20, v24
	v_lshl_add_u32 v25, v119, 23, 0x3c000000
	s_delay_alu instid0(VALU_DEP_3) | instskip(NEXT) | instid1(VALU_DEP_1)
	v_and_b32_e32 v12, 0x80000000, v12
	v_or3_b32 v119, v24, v12, v25
.LBB340_447:                            ;   in Loop: Header=BB340_9 Depth=1
	s_or_b32 exec_lo, exec_lo, s18
.LBB340_448:                            ;   in Loop: Header=BB340_9 Depth=1
	s_delay_alu instid0(SALU_CYCLE_1)
	s_or_b32 exec_lo, exec_lo, s17
.LBB340_449:                            ;   in Loop: Header=BB340_9 Depth=1
	s_delay_alu instid0(SALU_CYCLE_1) | instskip(NEXT) | instid1(SALU_CYCLE_1)
	s_or_b32 exec_lo, exec_lo, s16
	s_mov_b32 s16, exec_lo
	v_cmpx_lt_u32_e32 0xffffff, v49
	s_cbranch_execz .LBB340_457
; %bb.450:                              ;   in Loop: Header=BB340_9 Depth=1
	v_lshrrev_b32_e32 v40, 24, v49
	v_bfrev_b32_e32 v118, 1
	s_mov_b32 s17, exec_lo
	s_delay_alu instid0(VALU_DEP_2)
	v_cmpx_ne_u32_e32 0x80, v40
	s_cbranch_execz .LBB340_456
; %bb.451:                              ;   in Loop: Header=BB340_9 Depth=1
	v_bfe_u32 v24, v49, 24, 7
	v_mov_b32_e32 v118, 0x7f800001
	s_mov_b32 s18, exec_lo
	s_delay_alu instid0(VALU_DEP_2)
	v_cmpx_ne_u32_e32 0x7f, v24
	s_cbranch_execz .LBB340_455
; %bb.452:                              ;   in Loop: Header=BB340_9 Depth=1
	v_and_b32_e32 v12, 7, v40
	v_lshrrev_b32_e32 v49, 3, v24
	v_cmp_gt_u32_e64 s2, 8, v24
	s_delay_alu instid0(VALU_DEP_3)
	v_mov_b64_e32 v[24:25], v[12:13]
	s_and_saveexec_b32 s19, s2
; %bb.453:                              ;   in Loop: Header=BB340_9 Depth=1
	v_clz_i32_u32_e32 v24, v12
	s_delay_alu instid0(VALU_DEP_1) | instskip(NEXT) | instid1(VALU_DEP_1)
	v_min_u32_e32 v49, 32, v24
	v_subrev_nc_u32_e32 v24, 28, v49
	s_delay_alu instid0(VALU_DEP_1) | instskip(NEXT) | instid1(VALU_DEP_1)
	v_lshlrev_b64_e32 v[24:25], v24, v[12:13]
	v_dual_sub_nc_u32 v49, 29, v49 :: v_dual_bitop2_b32 v24, 7, v24 bitop3:0x40
; %bb.454:                              ;   in Loop: Header=BB340_9 Depth=1
	s_or_b32 exec_lo, exec_lo, s19
	v_lshlrev_b32_e32 v12, 24, v40
	s_delay_alu instid0(VALU_DEP_2) | instskip(NEXT) | instid1(VALU_DEP_3)
	v_lshlrev_b32_e32 v24, 20, v24
	v_lshl_add_u32 v25, v49, 23, 0x3c000000
	s_delay_alu instid0(VALU_DEP_3) | instskip(NEXT) | instid1(VALU_DEP_1)
	v_and_b32_e32 v12, 0x80000000, v12
	v_or3_b32 v118, v24, v12, v25
.LBB340_455:                            ;   in Loop: Header=BB340_9 Depth=1
	s_or_b32 exec_lo, exec_lo, s18
.LBB340_456:                            ;   in Loop: Header=BB340_9 Depth=1
	s_delay_alu instid0(SALU_CYCLE_1)
	s_or_b32 exec_lo, exec_lo, s17
.LBB340_457:                            ;   in Loop: Header=BB340_9 Depth=1
	s_delay_alu instid0(SALU_CYCLE_1)
	s_or_b32 exec_lo, exec_lo, s16
	flat_load_b32 v49, v[16:17] offset:1792
	v_dual_mov_b32 v40, 0 :: v_dual_mov_b32 v41, 0
	s_mov_b32 s16, exec_lo
	s_wait_loadcnt_dscnt 0x0
	v_and_b32_e32 v12, 0xff, v49
	s_wait_xcnt 0x0
	s_delay_alu instid0(VALU_DEP_1)
	v_cmpx_ne_u16_e32 0, v12
	s_cbranch_execz .LBB340_465
; %bb.458:                              ;   in Loop: Header=BB340_9 Depth=1
	v_bfrev_b32_e32 v41, 1
	s_mov_b32 s17, exec_lo
	v_cmpx_ne_u16_e32 0x80, v12
	s_cbranch_execz .LBB340_464
; %bb.459:                              ;   in Loop: Header=BB340_9 Depth=1
	v_and_b32_e32 v24, 0x7f, v49
	v_mov_b32_e32 v41, 0x7f800001
	s_mov_b32 s18, exec_lo
	s_delay_alu instid0(VALU_DEP_2)
	v_cmpx_ne_u32_e32 0x7f, v24
	s_cbranch_execz .LBB340_463
; %bb.460:                              ;   in Loop: Header=BB340_9 Depth=1
	v_dual_lshrrev_b32 v41, 3, v24 :: v_dual_bitop2_b32 v12, 7, v49 bitop3:0x40
	v_cmp_gt_u32_e64 s2, 8, v24
	s_delay_alu instid0(VALU_DEP_2)
	v_mov_b64_e32 v[24:25], v[12:13]
	s_and_saveexec_b32 s19, s2
; %bb.461:                              ;   in Loop: Header=BB340_9 Depth=1
	v_clz_i32_u32_e32 v24, v12
	s_delay_alu instid0(VALU_DEP_1) | instskip(NEXT) | instid1(VALU_DEP_1)
	v_min_u32_e32 v41, 32, v24
	v_subrev_nc_u32_e32 v24, 28, v41
	s_delay_alu instid0(VALU_DEP_1) | instskip(NEXT) | instid1(VALU_DEP_1)
	v_lshlrev_b64_e32 v[24:25], v24, v[12:13]
	v_dual_sub_nc_u32 v41, 29, v41 :: v_dual_bitop2_b32 v24, 7, v24 bitop3:0x40
; %bb.462:                              ;   in Loop: Header=BB340_9 Depth=1
	s_or_b32 exec_lo, exec_lo, s19
	s_delay_alu instid0(VALU_DEP_1) | instskip(NEXT) | instid1(VALU_DEP_2)
	v_dual_lshlrev_b32 v12, 24, v49 :: v_dual_lshlrev_b32 v24, 20, v24
	v_lshl_add_u32 v25, v41, 23, 0x3c000000
	s_delay_alu instid0(VALU_DEP_2) | instskip(NEXT) | instid1(VALU_DEP_1)
	v_and_b32_e32 v12, 0x80000000, v12
	v_or3_b32 v41, v24, v12, v25
.LBB340_463:                            ;   in Loop: Header=BB340_9 Depth=1
	s_or_b32 exec_lo, exec_lo, s18
.LBB340_464:                            ;   in Loop: Header=BB340_9 Depth=1
	s_delay_alu instid0(SALU_CYCLE_1)
	s_or_b32 exec_lo, exec_lo, s17
.LBB340_465:                            ;   in Loop: Header=BB340_9 Depth=1
	s_delay_alu instid0(SALU_CYCLE_1) | instskip(SKIP_2) | instid1(VALU_DEP_1)
	s_or_b32 exec_lo, exec_lo, s16
	v_lshrrev_b16 v12, 8, v49
	s_mov_b32 s16, exec_lo
	v_cmpx_ne_u16_e32 0, v12
	s_cbranch_execz .LBB340_473
; %bb.466:                              ;   in Loop: Header=BB340_9 Depth=1
	v_bfrev_b32_e32 v40, 1
	s_mov_b32 s17, exec_lo
	v_cmpx_ne_u16_e32 0x80, v12
	s_cbranch_execz .LBB340_472
; %bb.467:                              ;   in Loop: Header=BB340_9 Depth=1
	v_and_b32_e32 v12, 0xffff, v12
	v_mov_b32_e32 v40, 0x7f800001
	s_mov_b32 s18, exec_lo
	s_delay_alu instid0(VALU_DEP_2) | instskip(NEXT) | instid1(VALU_DEP_1)
	v_and_b32_e32 v24, 0x7f, v12
	v_cmpx_ne_u32_e32 0x7f, v24
	s_cbranch_execz .LBB340_471
; %bb.468:                              ;   in Loop: Header=BB340_9 Depth=1
	v_and_b32_e32 v12, 7, v12
	v_lshrrev_b32_e32 v40, 3, v24
	v_cmp_gt_u32_e64 s2, 8, v24
	s_delay_alu instid0(VALU_DEP_3)
	v_mov_b64_e32 v[24:25], v[12:13]
	s_and_saveexec_b32 s19, s2
; %bb.469:                              ;   in Loop: Header=BB340_9 Depth=1
	v_clz_i32_u32_e32 v24, v12
	s_delay_alu instid0(VALU_DEP_1) | instskip(NEXT) | instid1(VALU_DEP_1)
	v_min_u32_e32 v40, 32, v24
	v_subrev_nc_u32_e32 v24, 28, v40
	v_sub_nc_u32_e32 v40, 29, v40
	s_delay_alu instid0(VALU_DEP_2) | instskip(NEXT) | instid1(VALU_DEP_1)
	v_lshlrev_b64_e32 v[24:25], v24, v[12:13]
	v_and_b32_e32 v24, 7, v24
; %bb.470:                              ;   in Loop: Header=BB340_9 Depth=1
	s_or_b32 exec_lo, exec_lo, s19
	s_delay_alu instid0(VALU_DEP_1) | instskip(SKIP_1) | instid1(VALU_DEP_2)
	v_dual_lshlrev_b32 v12, 16, v49 :: v_dual_lshlrev_b32 v24, 20, v24
	v_lshl_add_u32 v25, v40, 23, 0x3c000000
	v_and_b32_e32 v12, 0x80000000, v12
	s_delay_alu instid0(VALU_DEP_1)
	v_or3_b32 v40, v24, v12, v25
.LBB340_471:                            ;   in Loop: Header=BB340_9 Depth=1
	s_or_b32 exec_lo, exec_lo, s18
.LBB340_472:                            ;   in Loop: Header=BB340_9 Depth=1
	s_delay_alu instid0(SALU_CYCLE_1)
	s_or_b32 exec_lo, exec_lo, s17
.LBB340_473:                            ;   in Loop: Header=BB340_9 Depth=1
	s_delay_alu instid0(SALU_CYCLE_1) | instskip(SKIP_3) | instid1(VALU_DEP_2)
	s_or_b32 exec_lo, exec_lo, s16
	v_dual_lshrrev_b32 v44, 16, v49 :: v_dual_mov_b32 v42, 0
	v_mov_b32_e32 v43, 0
	s_mov_b32 s16, exec_lo
	v_and_b32_e32 v12, 0xff, v44
	s_delay_alu instid0(VALU_DEP_1)
	v_cmpx_ne_u16_e32 0, v12
	s_cbranch_execz .LBB340_481
; %bb.474:                              ;   in Loop: Header=BB340_9 Depth=1
	v_bfrev_b32_e32 v43, 1
	s_mov_b32 s17, exec_lo
	v_cmpx_ne_u16_e32 0x80, v12
	s_cbranch_execz .LBB340_480
; %bb.475:                              ;   in Loop: Header=BB340_9 Depth=1
	v_bfe_u32 v24, v49, 16, 7
	v_mov_b32_e32 v43, 0x7f800001
	s_mov_b32 s18, exec_lo
	s_delay_alu instid0(VALU_DEP_2)
	v_cmpx_ne_u32_e32 0x7f, v24
	s_cbranch_execz .LBB340_479
; %bb.476:                              ;   in Loop: Header=BB340_9 Depth=1
	v_and_b32_e32 v12, 7, v44
	v_lshrrev_b32_e32 v43, 3, v24
	v_cmp_gt_u32_e64 s2, 8, v24
	s_delay_alu instid0(VALU_DEP_3)
	v_mov_b64_e32 v[24:25], v[12:13]
	s_and_saveexec_b32 s19, s2
; %bb.477:                              ;   in Loop: Header=BB340_9 Depth=1
	v_clz_i32_u32_e32 v24, v12
	s_delay_alu instid0(VALU_DEP_1) | instskip(NEXT) | instid1(VALU_DEP_1)
	v_min_u32_e32 v43, 32, v24
	v_subrev_nc_u32_e32 v24, 28, v43
	s_delay_alu instid0(VALU_DEP_1) | instskip(NEXT) | instid1(VALU_DEP_1)
	v_lshlrev_b64_e32 v[24:25], v24, v[12:13]
	v_dual_sub_nc_u32 v43, 29, v43 :: v_dual_bitop2_b32 v24, 7, v24 bitop3:0x40
; %bb.478:                              ;   in Loop: Header=BB340_9 Depth=1
	s_or_b32 exec_lo, exec_lo, s19
	v_lshlrev_b32_e32 v12, 24, v44
	s_delay_alu instid0(VALU_DEP_2) | instskip(NEXT) | instid1(VALU_DEP_3)
	v_lshlrev_b32_e32 v24, 20, v24
	v_lshl_add_u32 v25, v43, 23, 0x3c000000
	s_delay_alu instid0(VALU_DEP_3) | instskip(NEXT) | instid1(VALU_DEP_1)
	v_and_b32_e32 v12, 0x80000000, v12
	v_or3_b32 v43, v24, v12, v25
.LBB340_479:                            ;   in Loop: Header=BB340_9 Depth=1
	s_or_b32 exec_lo, exec_lo, s18
.LBB340_480:                            ;   in Loop: Header=BB340_9 Depth=1
	s_delay_alu instid0(SALU_CYCLE_1)
	s_or_b32 exec_lo, exec_lo, s17
.LBB340_481:                            ;   in Loop: Header=BB340_9 Depth=1
	s_delay_alu instid0(SALU_CYCLE_1) | instskip(NEXT) | instid1(SALU_CYCLE_1)
	s_or_b32 exec_lo, exec_lo, s16
	s_mov_b32 s16, exec_lo
	v_cmpx_lt_u32_e32 0xffffff, v49
	s_cbranch_execz .LBB340_489
; %bb.482:                              ;   in Loop: Header=BB340_9 Depth=1
	v_lshrrev_b32_e32 v44, 24, v49
	v_bfrev_b32_e32 v42, 1
	s_mov_b32 s17, exec_lo
	s_delay_alu instid0(VALU_DEP_2)
	v_cmpx_ne_u32_e32 0x80, v44
	s_cbranch_execz .LBB340_488
; %bb.483:                              ;   in Loop: Header=BB340_9 Depth=1
	v_bfe_u32 v24, v49, 24, 7
	v_mov_b32_e32 v42, 0x7f800001
	s_mov_b32 s18, exec_lo
	s_delay_alu instid0(VALU_DEP_2)
	v_cmpx_ne_u32_e32 0x7f, v24
	s_cbranch_execz .LBB340_487
; %bb.484:                              ;   in Loop: Header=BB340_9 Depth=1
	v_and_b32_e32 v12, 7, v44
	v_lshrrev_b32_e32 v49, 3, v24
	v_cmp_gt_u32_e64 s2, 8, v24
	s_delay_alu instid0(VALU_DEP_3)
	v_mov_b64_e32 v[24:25], v[12:13]
	s_and_saveexec_b32 s19, s2
; %bb.485:                              ;   in Loop: Header=BB340_9 Depth=1
	v_clz_i32_u32_e32 v24, v12
	s_delay_alu instid0(VALU_DEP_1) | instskip(NEXT) | instid1(VALU_DEP_1)
	v_min_u32_e32 v49, 32, v24
	v_subrev_nc_u32_e32 v24, 28, v49
	s_delay_alu instid0(VALU_DEP_1) | instskip(NEXT) | instid1(VALU_DEP_1)
	v_lshlrev_b64_e32 v[24:25], v24, v[12:13]
	v_dual_sub_nc_u32 v49, 29, v49 :: v_dual_bitop2_b32 v24, 7, v24 bitop3:0x40
; %bb.486:                              ;   in Loop: Header=BB340_9 Depth=1
	s_or_b32 exec_lo, exec_lo, s19
	v_lshlrev_b32_e32 v12, 24, v44
	s_delay_alu instid0(VALU_DEP_2) | instskip(NEXT) | instid1(VALU_DEP_3)
	v_lshlrev_b32_e32 v24, 20, v24
	v_lshl_add_u32 v25, v49, 23, 0x3c000000
	s_delay_alu instid0(VALU_DEP_3) | instskip(NEXT) | instid1(VALU_DEP_1)
	v_and_b32_e32 v12, 0x80000000, v12
	v_or3_b32 v42, v24, v12, v25
.LBB340_487:                            ;   in Loop: Header=BB340_9 Depth=1
	s_or_b32 exec_lo, exec_lo, s18
.LBB340_488:                            ;   in Loop: Header=BB340_9 Depth=1
	s_delay_alu instid0(SALU_CYCLE_1)
	s_or_b32 exec_lo, exec_lo, s17
.LBB340_489:                            ;   in Loop: Header=BB340_9 Depth=1
	s_delay_alu instid0(SALU_CYCLE_1)
	s_or_b32 exec_lo, exec_lo, s16
	flat_load_b32 v49, v[16:17] offset:1800
	v_dual_mov_b32 v44, 0 :: v_dual_mov_b32 v45, 0
	s_mov_b32 s16, exec_lo
	s_wait_loadcnt_dscnt 0x0
	v_and_b32_e32 v12, 0xff, v49
	s_wait_xcnt 0x0
	s_delay_alu instid0(VALU_DEP_1)
	v_cmpx_ne_u16_e32 0, v12
	s_cbranch_execz .LBB340_497
; %bb.490:                              ;   in Loop: Header=BB340_9 Depth=1
	v_bfrev_b32_e32 v45, 1
	s_mov_b32 s17, exec_lo
	v_cmpx_ne_u16_e32 0x80, v12
	s_cbranch_execz .LBB340_496
; %bb.491:                              ;   in Loop: Header=BB340_9 Depth=1
	v_and_b32_e32 v24, 0x7f, v49
	v_mov_b32_e32 v45, 0x7f800001
	s_mov_b32 s18, exec_lo
	s_delay_alu instid0(VALU_DEP_2)
	v_cmpx_ne_u32_e32 0x7f, v24
	s_cbranch_execz .LBB340_495
; %bb.492:                              ;   in Loop: Header=BB340_9 Depth=1
	v_dual_lshrrev_b32 v45, 3, v24 :: v_dual_bitop2_b32 v12, 7, v49 bitop3:0x40
	v_cmp_gt_u32_e64 s2, 8, v24
	s_delay_alu instid0(VALU_DEP_2)
	v_mov_b64_e32 v[24:25], v[12:13]
	s_and_saveexec_b32 s19, s2
; %bb.493:                              ;   in Loop: Header=BB340_9 Depth=1
	v_clz_i32_u32_e32 v24, v12
	s_delay_alu instid0(VALU_DEP_1) | instskip(NEXT) | instid1(VALU_DEP_1)
	v_min_u32_e32 v45, 32, v24
	v_subrev_nc_u32_e32 v24, 28, v45
	s_delay_alu instid0(VALU_DEP_1) | instskip(NEXT) | instid1(VALU_DEP_1)
	v_lshlrev_b64_e32 v[24:25], v24, v[12:13]
	v_dual_sub_nc_u32 v45, 29, v45 :: v_dual_bitop2_b32 v24, 7, v24 bitop3:0x40
; %bb.494:                              ;   in Loop: Header=BB340_9 Depth=1
	s_or_b32 exec_lo, exec_lo, s19
	s_delay_alu instid0(VALU_DEP_1) | instskip(NEXT) | instid1(VALU_DEP_2)
	v_dual_lshlrev_b32 v12, 24, v49 :: v_dual_lshlrev_b32 v24, 20, v24
	v_lshl_add_u32 v25, v45, 23, 0x3c000000
	s_delay_alu instid0(VALU_DEP_2) | instskip(NEXT) | instid1(VALU_DEP_1)
	v_and_b32_e32 v12, 0x80000000, v12
	v_or3_b32 v45, v24, v12, v25
.LBB340_495:                            ;   in Loop: Header=BB340_9 Depth=1
	s_or_b32 exec_lo, exec_lo, s18
.LBB340_496:                            ;   in Loop: Header=BB340_9 Depth=1
	s_delay_alu instid0(SALU_CYCLE_1)
	s_or_b32 exec_lo, exec_lo, s17
.LBB340_497:                            ;   in Loop: Header=BB340_9 Depth=1
	s_delay_alu instid0(SALU_CYCLE_1) | instskip(SKIP_2) | instid1(VALU_DEP_1)
	s_or_b32 exec_lo, exec_lo, s16
	v_lshrrev_b16 v12, 8, v49
	s_mov_b32 s16, exec_lo
	v_cmpx_ne_u16_e32 0, v12
	s_cbranch_execz .LBB340_505
; %bb.498:                              ;   in Loop: Header=BB340_9 Depth=1
	v_bfrev_b32_e32 v44, 1
	s_mov_b32 s17, exec_lo
	v_cmpx_ne_u16_e32 0x80, v12
	s_cbranch_execz .LBB340_504
; %bb.499:                              ;   in Loop: Header=BB340_9 Depth=1
	v_and_b32_e32 v12, 0xffff, v12
	v_mov_b32_e32 v44, 0x7f800001
	s_mov_b32 s18, exec_lo
	s_delay_alu instid0(VALU_DEP_2) | instskip(NEXT) | instid1(VALU_DEP_1)
	v_and_b32_e32 v24, 0x7f, v12
	v_cmpx_ne_u32_e32 0x7f, v24
	s_cbranch_execz .LBB340_503
; %bb.500:                              ;   in Loop: Header=BB340_9 Depth=1
	v_and_b32_e32 v12, 7, v12
	v_lshrrev_b32_e32 v44, 3, v24
	v_cmp_gt_u32_e64 s2, 8, v24
	s_delay_alu instid0(VALU_DEP_3)
	v_mov_b64_e32 v[24:25], v[12:13]
	s_and_saveexec_b32 s19, s2
; %bb.501:                              ;   in Loop: Header=BB340_9 Depth=1
	v_clz_i32_u32_e32 v24, v12
	s_delay_alu instid0(VALU_DEP_1) | instskip(NEXT) | instid1(VALU_DEP_1)
	v_min_u32_e32 v44, 32, v24
	v_subrev_nc_u32_e32 v24, 28, v44
	v_sub_nc_u32_e32 v44, 29, v44
	s_delay_alu instid0(VALU_DEP_2) | instskip(NEXT) | instid1(VALU_DEP_1)
	v_lshlrev_b64_e32 v[24:25], v24, v[12:13]
	v_and_b32_e32 v24, 7, v24
; %bb.502:                              ;   in Loop: Header=BB340_9 Depth=1
	s_or_b32 exec_lo, exec_lo, s19
	s_delay_alu instid0(VALU_DEP_1) | instskip(SKIP_1) | instid1(VALU_DEP_2)
	v_dual_lshlrev_b32 v12, 16, v49 :: v_dual_lshlrev_b32 v24, 20, v24
	v_lshl_add_u32 v25, v44, 23, 0x3c000000
	v_and_b32_e32 v12, 0x80000000, v12
	s_delay_alu instid0(VALU_DEP_1)
	v_or3_b32 v44, v24, v12, v25
.LBB340_503:                            ;   in Loop: Header=BB340_9 Depth=1
	s_or_b32 exec_lo, exec_lo, s18
.LBB340_504:                            ;   in Loop: Header=BB340_9 Depth=1
	s_delay_alu instid0(SALU_CYCLE_1)
	s_or_b32 exec_lo, exec_lo, s17
.LBB340_505:                            ;   in Loop: Header=BB340_9 Depth=1
	s_delay_alu instid0(SALU_CYCLE_1) | instskip(SKIP_3) | instid1(VALU_DEP_2)
	s_or_b32 exec_lo, exec_lo, s16
	v_dual_lshrrev_b32 v56, 16, v49 :: v_dual_mov_b32 v46, 0
	v_mov_b32_e32 v47, 0
	s_mov_b32 s16, exec_lo
	v_and_b32_e32 v12, 0xff, v56
	s_delay_alu instid0(VALU_DEP_1)
	v_cmpx_ne_u16_e32 0, v12
	s_cbranch_execz .LBB340_513
; %bb.506:                              ;   in Loop: Header=BB340_9 Depth=1
	v_bfrev_b32_e32 v47, 1
	s_mov_b32 s17, exec_lo
	v_cmpx_ne_u16_e32 0x80, v12
	s_cbranch_execz .LBB340_512
; %bb.507:                              ;   in Loop: Header=BB340_9 Depth=1
	v_bfe_u32 v24, v49, 16, 7
	v_mov_b32_e32 v47, 0x7f800001
	s_mov_b32 s18, exec_lo
	s_delay_alu instid0(VALU_DEP_2)
	v_cmpx_ne_u32_e32 0x7f, v24
	s_cbranch_execz .LBB340_511
; %bb.508:                              ;   in Loop: Header=BB340_9 Depth=1
	v_and_b32_e32 v12, 7, v56
	v_lshrrev_b32_e32 v47, 3, v24
	v_cmp_gt_u32_e64 s2, 8, v24
	s_delay_alu instid0(VALU_DEP_3)
	v_mov_b64_e32 v[24:25], v[12:13]
	s_and_saveexec_b32 s19, s2
; %bb.509:                              ;   in Loop: Header=BB340_9 Depth=1
	v_clz_i32_u32_e32 v24, v12
	s_delay_alu instid0(VALU_DEP_1) | instskip(NEXT) | instid1(VALU_DEP_1)
	v_min_u32_e32 v47, 32, v24
	v_subrev_nc_u32_e32 v24, 28, v47
	s_delay_alu instid0(VALU_DEP_1) | instskip(NEXT) | instid1(VALU_DEP_1)
	v_lshlrev_b64_e32 v[24:25], v24, v[12:13]
	v_dual_sub_nc_u32 v47, 29, v47 :: v_dual_bitop2_b32 v24, 7, v24 bitop3:0x40
; %bb.510:                              ;   in Loop: Header=BB340_9 Depth=1
	s_or_b32 exec_lo, exec_lo, s19
	v_lshlrev_b32_e32 v12, 24, v56
	s_delay_alu instid0(VALU_DEP_2) | instskip(NEXT) | instid1(VALU_DEP_3)
	v_lshlrev_b32_e32 v24, 20, v24
	v_lshl_add_u32 v25, v47, 23, 0x3c000000
	s_delay_alu instid0(VALU_DEP_3) | instskip(NEXT) | instid1(VALU_DEP_1)
	v_and_b32_e32 v12, 0x80000000, v12
	v_or3_b32 v47, v24, v12, v25
.LBB340_511:                            ;   in Loop: Header=BB340_9 Depth=1
	s_or_b32 exec_lo, exec_lo, s18
.LBB340_512:                            ;   in Loop: Header=BB340_9 Depth=1
	s_delay_alu instid0(SALU_CYCLE_1)
	s_or_b32 exec_lo, exec_lo, s17
.LBB340_513:                            ;   in Loop: Header=BB340_9 Depth=1
	s_delay_alu instid0(SALU_CYCLE_1) | instskip(NEXT) | instid1(SALU_CYCLE_1)
	s_or_b32 exec_lo, exec_lo, s16
	s_mov_b32 s16, exec_lo
	v_cmpx_lt_u32_e32 0xffffff, v49
	s_cbranch_execz .LBB340_521
; %bb.514:                              ;   in Loop: Header=BB340_9 Depth=1
	v_lshrrev_b32_e32 v56, 24, v49
	v_bfrev_b32_e32 v46, 1
	s_mov_b32 s17, exec_lo
	s_delay_alu instid0(VALU_DEP_2)
	v_cmpx_ne_u32_e32 0x80, v56
	s_cbranch_execz .LBB340_520
; %bb.515:                              ;   in Loop: Header=BB340_9 Depth=1
	v_bfe_u32 v24, v49, 24, 7
	v_mov_b32_e32 v46, 0x7f800001
	s_mov_b32 s18, exec_lo
	s_delay_alu instid0(VALU_DEP_2)
	v_cmpx_ne_u32_e32 0x7f, v24
	s_cbranch_execz .LBB340_519
; %bb.516:                              ;   in Loop: Header=BB340_9 Depth=1
	v_and_b32_e32 v12, 7, v56
	v_lshrrev_b32_e32 v49, 3, v24
	v_cmp_gt_u32_e64 s2, 8, v24
	s_delay_alu instid0(VALU_DEP_3)
	v_mov_b64_e32 v[24:25], v[12:13]
	s_and_saveexec_b32 s19, s2
; %bb.517:                              ;   in Loop: Header=BB340_9 Depth=1
	v_clz_i32_u32_e32 v24, v12
	s_delay_alu instid0(VALU_DEP_1) | instskip(NEXT) | instid1(VALU_DEP_1)
	v_min_u32_e32 v49, 32, v24
	v_subrev_nc_u32_e32 v24, 28, v49
	s_delay_alu instid0(VALU_DEP_1) | instskip(NEXT) | instid1(VALU_DEP_1)
	v_lshlrev_b64_e32 v[24:25], v24, v[12:13]
	v_dual_sub_nc_u32 v49, 29, v49 :: v_dual_bitop2_b32 v24, 7, v24 bitop3:0x40
; %bb.518:                              ;   in Loop: Header=BB340_9 Depth=1
	s_or_b32 exec_lo, exec_lo, s19
	v_lshlrev_b32_e32 v12, 24, v56
	s_delay_alu instid0(VALU_DEP_2) | instskip(NEXT) | instid1(VALU_DEP_3)
	v_lshlrev_b32_e32 v24, 20, v24
	v_lshl_add_u32 v25, v49, 23, 0x3c000000
	s_delay_alu instid0(VALU_DEP_3) | instskip(NEXT) | instid1(VALU_DEP_1)
	v_and_b32_e32 v12, 0x80000000, v12
	v_or3_b32 v46, v24, v12, v25
.LBB340_519:                            ;   in Loop: Header=BB340_9 Depth=1
	s_or_b32 exec_lo, exec_lo, s18
.LBB340_520:                            ;   in Loop: Header=BB340_9 Depth=1
	s_delay_alu instid0(SALU_CYCLE_1)
	s_or_b32 exec_lo, exec_lo, s17
.LBB340_521:                            ;   in Loop: Header=BB340_9 Depth=1
	s_delay_alu instid0(SALU_CYCLE_1)
	s_or_b32 exec_lo, exec_lo, s16
	flat_load_b32 v49, v[16:17] offset:2048
	v_dual_mov_b32 v56, 0 :: v_dual_mov_b32 v57, 0
	s_mov_b32 s16, exec_lo
	s_wait_loadcnt_dscnt 0x0
	v_and_b32_e32 v12, 0xff, v49
	s_wait_xcnt 0x0
	s_delay_alu instid0(VALU_DEP_1)
	v_cmpx_ne_u16_e32 0, v12
	s_cbranch_execz .LBB340_529
; %bb.522:                              ;   in Loop: Header=BB340_9 Depth=1
	v_bfrev_b32_e32 v57, 1
	s_mov_b32 s17, exec_lo
	v_cmpx_ne_u16_e32 0x80, v12
	s_cbranch_execz .LBB340_528
; %bb.523:                              ;   in Loop: Header=BB340_9 Depth=1
	v_and_b32_e32 v24, 0x7f, v49
	v_mov_b32_e32 v57, 0x7f800001
	s_mov_b32 s18, exec_lo
	s_delay_alu instid0(VALU_DEP_2)
	v_cmpx_ne_u32_e32 0x7f, v24
	s_cbranch_execz .LBB340_527
; %bb.524:                              ;   in Loop: Header=BB340_9 Depth=1
	v_dual_lshrrev_b32 v57, 3, v24 :: v_dual_bitop2_b32 v12, 7, v49 bitop3:0x40
	v_cmp_gt_u32_e64 s2, 8, v24
	s_delay_alu instid0(VALU_DEP_2)
	v_mov_b64_e32 v[24:25], v[12:13]
	s_and_saveexec_b32 s19, s2
; %bb.525:                              ;   in Loop: Header=BB340_9 Depth=1
	v_clz_i32_u32_e32 v24, v12
	s_delay_alu instid0(VALU_DEP_1) | instskip(NEXT) | instid1(VALU_DEP_1)
	v_min_u32_e32 v57, 32, v24
	v_subrev_nc_u32_e32 v24, 28, v57
	s_delay_alu instid0(VALU_DEP_1) | instskip(NEXT) | instid1(VALU_DEP_1)
	v_lshlrev_b64_e32 v[24:25], v24, v[12:13]
	v_dual_sub_nc_u32 v57, 29, v57 :: v_dual_bitop2_b32 v24, 7, v24 bitop3:0x40
; %bb.526:                              ;   in Loop: Header=BB340_9 Depth=1
	s_or_b32 exec_lo, exec_lo, s19
	s_delay_alu instid0(VALU_DEP_1) | instskip(NEXT) | instid1(VALU_DEP_2)
	v_dual_lshlrev_b32 v12, 24, v49 :: v_dual_lshlrev_b32 v24, 20, v24
	v_lshl_add_u32 v25, v57, 23, 0x3c000000
	s_delay_alu instid0(VALU_DEP_2) | instskip(NEXT) | instid1(VALU_DEP_1)
	v_and_b32_e32 v12, 0x80000000, v12
	v_or3_b32 v57, v24, v12, v25
.LBB340_527:                            ;   in Loop: Header=BB340_9 Depth=1
	s_or_b32 exec_lo, exec_lo, s18
.LBB340_528:                            ;   in Loop: Header=BB340_9 Depth=1
	s_delay_alu instid0(SALU_CYCLE_1)
	s_or_b32 exec_lo, exec_lo, s17
.LBB340_529:                            ;   in Loop: Header=BB340_9 Depth=1
	s_delay_alu instid0(SALU_CYCLE_1) | instskip(SKIP_2) | instid1(VALU_DEP_1)
	s_or_b32 exec_lo, exec_lo, s16
	v_lshrrev_b16 v12, 8, v49
	s_mov_b32 s16, exec_lo
	v_cmpx_ne_u16_e32 0, v12
	s_cbranch_execz .LBB340_537
; %bb.530:                              ;   in Loop: Header=BB340_9 Depth=1
	v_bfrev_b32_e32 v56, 1
	s_mov_b32 s17, exec_lo
	v_cmpx_ne_u16_e32 0x80, v12
	s_cbranch_execz .LBB340_536
; %bb.531:                              ;   in Loop: Header=BB340_9 Depth=1
	v_and_b32_e32 v12, 0xffff, v12
	v_mov_b32_e32 v56, 0x7f800001
	s_mov_b32 s18, exec_lo
	s_delay_alu instid0(VALU_DEP_2) | instskip(NEXT) | instid1(VALU_DEP_1)
	v_and_b32_e32 v24, 0x7f, v12
	v_cmpx_ne_u32_e32 0x7f, v24
	s_cbranch_execz .LBB340_535
; %bb.532:                              ;   in Loop: Header=BB340_9 Depth=1
	v_and_b32_e32 v12, 7, v12
	v_lshrrev_b32_e32 v56, 3, v24
	v_cmp_gt_u32_e64 s2, 8, v24
	s_delay_alu instid0(VALU_DEP_3)
	v_mov_b64_e32 v[24:25], v[12:13]
	s_and_saveexec_b32 s19, s2
; %bb.533:                              ;   in Loop: Header=BB340_9 Depth=1
	v_clz_i32_u32_e32 v24, v12
	s_delay_alu instid0(VALU_DEP_1) | instskip(NEXT) | instid1(VALU_DEP_1)
	v_min_u32_e32 v56, 32, v24
	v_subrev_nc_u32_e32 v24, 28, v56
	v_sub_nc_u32_e32 v56, 29, v56
	s_delay_alu instid0(VALU_DEP_2) | instskip(NEXT) | instid1(VALU_DEP_1)
	v_lshlrev_b64_e32 v[24:25], v24, v[12:13]
	v_and_b32_e32 v24, 7, v24
; %bb.534:                              ;   in Loop: Header=BB340_9 Depth=1
	s_or_b32 exec_lo, exec_lo, s19
	s_delay_alu instid0(VALU_DEP_1) | instskip(SKIP_1) | instid1(VALU_DEP_2)
	v_dual_lshlrev_b32 v12, 16, v49 :: v_dual_lshlrev_b32 v24, 20, v24
	v_lshl_add_u32 v25, v56, 23, 0x3c000000
	v_and_b32_e32 v12, 0x80000000, v12
	s_delay_alu instid0(VALU_DEP_1)
	v_or3_b32 v56, v24, v12, v25
.LBB340_535:                            ;   in Loop: Header=BB340_9 Depth=1
	s_or_b32 exec_lo, exec_lo, s18
.LBB340_536:                            ;   in Loop: Header=BB340_9 Depth=1
	s_delay_alu instid0(SALU_CYCLE_1)
	s_or_b32 exec_lo, exec_lo, s17
.LBB340_537:                            ;   in Loop: Header=BB340_9 Depth=1
	s_delay_alu instid0(SALU_CYCLE_1) | instskip(SKIP_3) | instid1(VALU_DEP_2)
	s_or_b32 exec_lo, exec_lo, s16
	v_dual_lshrrev_b32 v60, 16, v49 :: v_dual_mov_b32 v58, 0
	v_mov_b32_e32 v59, 0
	s_mov_b32 s16, exec_lo
	v_and_b32_e32 v12, 0xff, v60
	s_delay_alu instid0(VALU_DEP_1)
	v_cmpx_ne_u16_e32 0, v12
	s_cbranch_execz .LBB340_545
; %bb.538:                              ;   in Loop: Header=BB340_9 Depth=1
	v_bfrev_b32_e32 v59, 1
	s_mov_b32 s17, exec_lo
	v_cmpx_ne_u16_e32 0x80, v12
	s_cbranch_execz .LBB340_544
; %bb.539:                              ;   in Loop: Header=BB340_9 Depth=1
	v_bfe_u32 v24, v49, 16, 7
	v_mov_b32_e32 v59, 0x7f800001
	s_mov_b32 s18, exec_lo
	s_delay_alu instid0(VALU_DEP_2)
	v_cmpx_ne_u32_e32 0x7f, v24
	s_cbranch_execz .LBB340_543
; %bb.540:                              ;   in Loop: Header=BB340_9 Depth=1
	v_and_b32_e32 v12, 7, v60
	v_lshrrev_b32_e32 v59, 3, v24
	v_cmp_gt_u32_e64 s2, 8, v24
	s_delay_alu instid0(VALU_DEP_3)
	v_mov_b64_e32 v[24:25], v[12:13]
	s_and_saveexec_b32 s19, s2
; %bb.541:                              ;   in Loop: Header=BB340_9 Depth=1
	v_clz_i32_u32_e32 v24, v12
	s_delay_alu instid0(VALU_DEP_1) | instskip(NEXT) | instid1(VALU_DEP_1)
	v_min_u32_e32 v59, 32, v24
	v_subrev_nc_u32_e32 v24, 28, v59
	s_delay_alu instid0(VALU_DEP_1) | instskip(NEXT) | instid1(VALU_DEP_1)
	v_lshlrev_b64_e32 v[24:25], v24, v[12:13]
	v_dual_sub_nc_u32 v59, 29, v59 :: v_dual_bitop2_b32 v24, 7, v24 bitop3:0x40
; %bb.542:                              ;   in Loop: Header=BB340_9 Depth=1
	s_or_b32 exec_lo, exec_lo, s19
	v_lshlrev_b32_e32 v12, 24, v60
	s_delay_alu instid0(VALU_DEP_2) | instskip(NEXT) | instid1(VALU_DEP_3)
	v_lshlrev_b32_e32 v24, 20, v24
	v_lshl_add_u32 v25, v59, 23, 0x3c000000
	s_delay_alu instid0(VALU_DEP_3) | instskip(NEXT) | instid1(VALU_DEP_1)
	v_and_b32_e32 v12, 0x80000000, v12
	v_or3_b32 v59, v24, v12, v25
.LBB340_543:                            ;   in Loop: Header=BB340_9 Depth=1
	s_or_b32 exec_lo, exec_lo, s18
.LBB340_544:                            ;   in Loop: Header=BB340_9 Depth=1
	s_delay_alu instid0(SALU_CYCLE_1)
	s_or_b32 exec_lo, exec_lo, s17
.LBB340_545:                            ;   in Loop: Header=BB340_9 Depth=1
	s_delay_alu instid0(SALU_CYCLE_1) | instskip(NEXT) | instid1(SALU_CYCLE_1)
	s_or_b32 exec_lo, exec_lo, s16
	s_mov_b32 s16, exec_lo
	v_cmpx_lt_u32_e32 0xffffff, v49
	s_cbranch_execz .LBB340_553
; %bb.546:                              ;   in Loop: Header=BB340_9 Depth=1
	v_lshrrev_b32_e32 v60, 24, v49
	v_bfrev_b32_e32 v58, 1
	s_mov_b32 s17, exec_lo
	s_delay_alu instid0(VALU_DEP_2)
	v_cmpx_ne_u32_e32 0x80, v60
	s_cbranch_execz .LBB340_552
; %bb.547:                              ;   in Loop: Header=BB340_9 Depth=1
	v_bfe_u32 v24, v49, 24, 7
	v_mov_b32_e32 v58, 0x7f800001
	s_mov_b32 s18, exec_lo
	s_delay_alu instid0(VALU_DEP_2)
	v_cmpx_ne_u32_e32 0x7f, v24
	s_cbranch_execz .LBB340_551
; %bb.548:                              ;   in Loop: Header=BB340_9 Depth=1
	v_and_b32_e32 v12, 7, v60
	v_lshrrev_b32_e32 v49, 3, v24
	v_cmp_gt_u32_e64 s2, 8, v24
	s_delay_alu instid0(VALU_DEP_3)
	v_mov_b64_e32 v[24:25], v[12:13]
	s_and_saveexec_b32 s19, s2
; %bb.549:                              ;   in Loop: Header=BB340_9 Depth=1
	v_clz_i32_u32_e32 v24, v12
	s_delay_alu instid0(VALU_DEP_1) | instskip(NEXT) | instid1(VALU_DEP_1)
	v_min_u32_e32 v49, 32, v24
	v_subrev_nc_u32_e32 v24, 28, v49
	s_delay_alu instid0(VALU_DEP_1) | instskip(NEXT) | instid1(VALU_DEP_1)
	v_lshlrev_b64_e32 v[24:25], v24, v[12:13]
	v_dual_sub_nc_u32 v49, 29, v49 :: v_dual_bitop2_b32 v24, 7, v24 bitop3:0x40
; %bb.550:                              ;   in Loop: Header=BB340_9 Depth=1
	s_or_b32 exec_lo, exec_lo, s19
	v_lshlrev_b32_e32 v12, 24, v60
	s_delay_alu instid0(VALU_DEP_2) | instskip(NEXT) | instid1(VALU_DEP_3)
	v_lshlrev_b32_e32 v24, 20, v24
	v_lshl_add_u32 v25, v49, 23, 0x3c000000
	s_delay_alu instid0(VALU_DEP_3) | instskip(NEXT) | instid1(VALU_DEP_1)
	v_and_b32_e32 v12, 0x80000000, v12
	v_or3_b32 v58, v24, v12, v25
.LBB340_551:                            ;   in Loop: Header=BB340_9 Depth=1
	s_or_b32 exec_lo, exec_lo, s18
.LBB340_552:                            ;   in Loop: Header=BB340_9 Depth=1
	s_delay_alu instid0(SALU_CYCLE_1)
	s_or_b32 exec_lo, exec_lo, s17
.LBB340_553:                            ;   in Loop: Header=BB340_9 Depth=1
	s_delay_alu instid0(SALU_CYCLE_1)
	s_or_b32 exec_lo, exec_lo, s16
	flat_load_b32 v49, v[16:17] offset:2056
	v_dual_mov_b32 v60, 0 :: v_dual_mov_b32 v61, 0
	s_mov_b32 s16, exec_lo
	s_wait_loadcnt_dscnt 0x0
	v_and_b32_e32 v12, 0xff, v49
	s_wait_xcnt 0x0
	s_delay_alu instid0(VALU_DEP_1)
	v_cmpx_ne_u16_e32 0, v12
	s_cbranch_execz .LBB340_561
; %bb.554:                              ;   in Loop: Header=BB340_9 Depth=1
	v_bfrev_b32_e32 v61, 1
	s_mov_b32 s17, exec_lo
	v_cmpx_ne_u16_e32 0x80, v12
	s_cbranch_execz .LBB340_560
; %bb.555:                              ;   in Loop: Header=BB340_9 Depth=1
	v_and_b32_e32 v24, 0x7f, v49
	v_mov_b32_e32 v61, 0x7f800001
	s_mov_b32 s18, exec_lo
	s_delay_alu instid0(VALU_DEP_2)
	v_cmpx_ne_u32_e32 0x7f, v24
	s_cbranch_execz .LBB340_559
; %bb.556:                              ;   in Loop: Header=BB340_9 Depth=1
	v_dual_lshrrev_b32 v61, 3, v24 :: v_dual_bitop2_b32 v12, 7, v49 bitop3:0x40
	v_cmp_gt_u32_e64 s2, 8, v24
	s_delay_alu instid0(VALU_DEP_2)
	v_mov_b64_e32 v[24:25], v[12:13]
	s_and_saveexec_b32 s19, s2
; %bb.557:                              ;   in Loop: Header=BB340_9 Depth=1
	v_clz_i32_u32_e32 v24, v12
	s_delay_alu instid0(VALU_DEP_1) | instskip(NEXT) | instid1(VALU_DEP_1)
	v_min_u32_e32 v61, 32, v24
	v_subrev_nc_u32_e32 v24, 28, v61
	s_delay_alu instid0(VALU_DEP_1) | instskip(NEXT) | instid1(VALU_DEP_1)
	v_lshlrev_b64_e32 v[24:25], v24, v[12:13]
	v_dual_sub_nc_u32 v61, 29, v61 :: v_dual_bitop2_b32 v24, 7, v24 bitop3:0x40
; %bb.558:                              ;   in Loop: Header=BB340_9 Depth=1
	s_or_b32 exec_lo, exec_lo, s19
	s_delay_alu instid0(VALU_DEP_1) | instskip(NEXT) | instid1(VALU_DEP_2)
	v_dual_lshlrev_b32 v12, 24, v49 :: v_dual_lshlrev_b32 v24, 20, v24
	v_lshl_add_u32 v25, v61, 23, 0x3c000000
	s_delay_alu instid0(VALU_DEP_2) | instskip(NEXT) | instid1(VALU_DEP_1)
	v_and_b32_e32 v12, 0x80000000, v12
	v_or3_b32 v61, v24, v12, v25
.LBB340_559:                            ;   in Loop: Header=BB340_9 Depth=1
	s_or_b32 exec_lo, exec_lo, s18
.LBB340_560:                            ;   in Loop: Header=BB340_9 Depth=1
	s_delay_alu instid0(SALU_CYCLE_1)
	s_or_b32 exec_lo, exec_lo, s17
.LBB340_561:                            ;   in Loop: Header=BB340_9 Depth=1
	s_delay_alu instid0(SALU_CYCLE_1) | instskip(SKIP_2) | instid1(VALU_DEP_1)
	s_or_b32 exec_lo, exec_lo, s16
	v_lshrrev_b16 v12, 8, v49
	s_mov_b32 s16, exec_lo
	v_cmpx_ne_u16_e32 0, v12
	s_cbranch_execz .LBB340_569
; %bb.562:                              ;   in Loop: Header=BB340_9 Depth=1
	v_bfrev_b32_e32 v60, 1
	s_mov_b32 s17, exec_lo
	v_cmpx_ne_u16_e32 0x80, v12
	s_cbranch_execz .LBB340_568
; %bb.563:                              ;   in Loop: Header=BB340_9 Depth=1
	v_and_b32_e32 v12, 0xffff, v12
	v_mov_b32_e32 v60, 0x7f800001
	s_mov_b32 s18, exec_lo
	s_delay_alu instid0(VALU_DEP_2) | instskip(NEXT) | instid1(VALU_DEP_1)
	v_and_b32_e32 v24, 0x7f, v12
	v_cmpx_ne_u32_e32 0x7f, v24
	s_cbranch_execz .LBB340_567
; %bb.564:                              ;   in Loop: Header=BB340_9 Depth=1
	v_and_b32_e32 v12, 7, v12
	v_lshrrev_b32_e32 v60, 3, v24
	v_cmp_gt_u32_e64 s2, 8, v24
	s_delay_alu instid0(VALU_DEP_3)
	v_mov_b64_e32 v[24:25], v[12:13]
	s_and_saveexec_b32 s19, s2
; %bb.565:                              ;   in Loop: Header=BB340_9 Depth=1
	v_clz_i32_u32_e32 v24, v12
	s_delay_alu instid0(VALU_DEP_1) | instskip(NEXT) | instid1(VALU_DEP_1)
	v_min_u32_e32 v60, 32, v24
	v_subrev_nc_u32_e32 v24, 28, v60
	v_sub_nc_u32_e32 v60, 29, v60
	s_delay_alu instid0(VALU_DEP_2) | instskip(NEXT) | instid1(VALU_DEP_1)
	v_lshlrev_b64_e32 v[24:25], v24, v[12:13]
	v_and_b32_e32 v24, 7, v24
; %bb.566:                              ;   in Loop: Header=BB340_9 Depth=1
	s_or_b32 exec_lo, exec_lo, s19
	s_delay_alu instid0(VALU_DEP_1) | instskip(SKIP_1) | instid1(VALU_DEP_2)
	v_dual_lshlrev_b32 v12, 16, v49 :: v_dual_lshlrev_b32 v24, 20, v24
	v_lshl_add_u32 v25, v60, 23, 0x3c000000
	v_and_b32_e32 v12, 0x80000000, v12
	s_delay_alu instid0(VALU_DEP_1)
	v_or3_b32 v60, v24, v12, v25
.LBB340_567:                            ;   in Loop: Header=BB340_9 Depth=1
	s_or_b32 exec_lo, exec_lo, s18
.LBB340_568:                            ;   in Loop: Header=BB340_9 Depth=1
	s_delay_alu instid0(SALU_CYCLE_1)
	s_or_b32 exec_lo, exec_lo, s17
.LBB340_569:                            ;   in Loop: Header=BB340_9 Depth=1
	s_delay_alu instid0(SALU_CYCLE_1) | instskip(SKIP_3) | instid1(VALU_DEP_2)
	s_or_b32 exec_lo, exec_lo, s16
	v_dual_lshrrev_b32 v72, 16, v49 :: v_dual_mov_b32 v62, 0
	v_mov_b32_e32 v63, 0
	s_mov_b32 s16, exec_lo
	v_and_b32_e32 v12, 0xff, v72
	s_delay_alu instid0(VALU_DEP_1)
	v_cmpx_ne_u16_e32 0, v12
	s_cbranch_execz .LBB340_577
; %bb.570:                              ;   in Loop: Header=BB340_9 Depth=1
	v_bfrev_b32_e32 v63, 1
	s_mov_b32 s17, exec_lo
	v_cmpx_ne_u16_e32 0x80, v12
	s_cbranch_execz .LBB340_576
; %bb.571:                              ;   in Loop: Header=BB340_9 Depth=1
	v_bfe_u32 v24, v49, 16, 7
	v_mov_b32_e32 v63, 0x7f800001
	s_mov_b32 s18, exec_lo
	s_delay_alu instid0(VALU_DEP_2)
	v_cmpx_ne_u32_e32 0x7f, v24
	s_cbranch_execz .LBB340_575
; %bb.572:                              ;   in Loop: Header=BB340_9 Depth=1
	v_and_b32_e32 v12, 7, v72
	v_lshrrev_b32_e32 v63, 3, v24
	v_cmp_gt_u32_e64 s2, 8, v24
	s_delay_alu instid0(VALU_DEP_3)
	v_mov_b64_e32 v[24:25], v[12:13]
	s_and_saveexec_b32 s19, s2
; %bb.573:                              ;   in Loop: Header=BB340_9 Depth=1
	v_clz_i32_u32_e32 v24, v12
	s_delay_alu instid0(VALU_DEP_1) | instskip(NEXT) | instid1(VALU_DEP_1)
	v_min_u32_e32 v63, 32, v24
	v_subrev_nc_u32_e32 v24, 28, v63
	s_delay_alu instid0(VALU_DEP_1) | instskip(NEXT) | instid1(VALU_DEP_1)
	v_lshlrev_b64_e32 v[24:25], v24, v[12:13]
	v_dual_sub_nc_u32 v63, 29, v63 :: v_dual_bitop2_b32 v24, 7, v24 bitop3:0x40
; %bb.574:                              ;   in Loop: Header=BB340_9 Depth=1
	s_or_b32 exec_lo, exec_lo, s19
	v_lshlrev_b32_e32 v12, 24, v72
	s_delay_alu instid0(VALU_DEP_2) | instskip(NEXT) | instid1(VALU_DEP_3)
	v_lshlrev_b32_e32 v24, 20, v24
	v_lshl_add_u32 v25, v63, 23, 0x3c000000
	s_delay_alu instid0(VALU_DEP_3) | instskip(NEXT) | instid1(VALU_DEP_1)
	v_and_b32_e32 v12, 0x80000000, v12
	v_or3_b32 v63, v24, v12, v25
.LBB340_575:                            ;   in Loop: Header=BB340_9 Depth=1
	s_or_b32 exec_lo, exec_lo, s18
.LBB340_576:                            ;   in Loop: Header=BB340_9 Depth=1
	s_delay_alu instid0(SALU_CYCLE_1)
	s_or_b32 exec_lo, exec_lo, s17
.LBB340_577:                            ;   in Loop: Header=BB340_9 Depth=1
	s_delay_alu instid0(SALU_CYCLE_1) | instskip(NEXT) | instid1(SALU_CYCLE_1)
	s_or_b32 exec_lo, exec_lo, s16
	s_mov_b32 s16, exec_lo
	v_cmpx_lt_u32_e32 0xffffff, v49
	s_cbranch_execz .LBB340_585
; %bb.578:                              ;   in Loop: Header=BB340_9 Depth=1
	v_lshrrev_b32_e32 v72, 24, v49
	v_bfrev_b32_e32 v62, 1
	s_mov_b32 s17, exec_lo
	s_delay_alu instid0(VALU_DEP_2)
	v_cmpx_ne_u32_e32 0x80, v72
	s_cbranch_execz .LBB340_584
; %bb.579:                              ;   in Loop: Header=BB340_9 Depth=1
	v_bfe_u32 v24, v49, 24, 7
	v_mov_b32_e32 v62, 0x7f800001
	s_mov_b32 s18, exec_lo
	s_delay_alu instid0(VALU_DEP_2)
	v_cmpx_ne_u32_e32 0x7f, v24
	s_cbranch_execz .LBB340_583
; %bb.580:                              ;   in Loop: Header=BB340_9 Depth=1
	v_and_b32_e32 v12, 7, v72
	v_lshrrev_b32_e32 v49, 3, v24
	v_cmp_gt_u32_e64 s2, 8, v24
	s_delay_alu instid0(VALU_DEP_3)
	v_mov_b64_e32 v[24:25], v[12:13]
	s_and_saveexec_b32 s19, s2
; %bb.581:                              ;   in Loop: Header=BB340_9 Depth=1
	v_clz_i32_u32_e32 v24, v12
	s_delay_alu instid0(VALU_DEP_1) | instskip(NEXT) | instid1(VALU_DEP_1)
	v_min_u32_e32 v49, 32, v24
	v_subrev_nc_u32_e32 v24, 28, v49
	s_delay_alu instid0(VALU_DEP_1) | instskip(NEXT) | instid1(VALU_DEP_1)
	v_lshlrev_b64_e32 v[24:25], v24, v[12:13]
	v_dual_sub_nc_u32 v49, 29, v49 :: v_dual_bitop2_b32 v24, 7, v24 bitop3:0x40
; %bb.582:                              ;   in Loop: Header=BB340_9 Depth=1
	s_or_b32 exec_lo, exec_lo, s19
	v_lshlrev_b32_e32 v12, 24, v72
	s_delay_alu instid0(VALU_DEP_2) | instskip(NEXT) | instid1(VALU_DEP_3)
	v_lshlrev_b32_e32 v24, 20, v24
	v_lshl_add_u32 v25, v49, 23, 0x3c000000
	s_delay_alu instid0(VALU_DEP_3) | instskip(NEXT) | instid1(VALU_DEP_1)
	v_and_b32_e32 v12, 0x80000000, v12
	v_or3_b32 v62, v24, v12, v25
.LBB340_583:                            ;   in Loop: Header=BB340_9 Depth=1
	s_or_b32 exec_lo, exec_lo, s18
.LBB340_584:                            ;   in Loop: Header=BB340_9 Depth=1
	s_delay_alu instid0(SALU_CYCLE_1)
	s_or_b32 exec_lo, exec_lo, s17
.LBB340_585:                            ;   in Loop: Header=BB340_9 Depth=1
	s_delay_alu instid0(SALU_CYCLE_1)
	s_or_b32 exec_lo, exec_lo, s16
	flat_load_b32 v49, v[16:17] offset:2304
	v_dual_mov_b32 v72, 0 :: v_dual_mov_b32 v73, 0
	s_mov_b32 s16, exec_lo
	s_wait_loadcnt_dscnt 0x0
	v_and_b32_e32 v12, 0xff, v49
	s_wait_xcnt 0x0
	s_delay_alu instid0(VALU_DEP_1)
	v_cmpx_ne_u16_e32 0, v12
	s_cbranch_execz .LBB340_593
; %bb.586:                              ;   in Loop: Header=BB340_9 Depth=1
	v_bfrev_b32_e32 v73, 1
	s_mov_b32 s17, exec_lo
	v_cmpx_ne_u16_e32 0x80, v12
	s_cbranch_execz .LBB340_592
; %bb.587:                              ;   in Loop: Header=BB340_9 Depth=1
	v_and_b32_e32 v24, 0x7f, v49
	v_mov_b32_e32 v73, 0x7f800001
	s_mov_b32 s18, exec_lo
	s_delay_alu instid0(VALU_DEP_2)
	v_cmpx_ne_u32_e32 0x7f, v24
	s_cbranch_execz .LBB340_591
; %bb.588:                              ;   in Loop: Header=BB340_9 Depth=1
	v_dual_lshrrev_b32 v73, 3, v24 :: v_dual_bitop2_b32 v12, 7, v49 bitop3:0x40
	v_cmp_gt_u32_e64 s2, 8, v24
	s_delay_alu instid0(VALU_DEP_2)
	v_mov_b64_e32 v[24:25], v[12:13]
	s_and_saveexec_b32 s19, s2
; %bb.589:                              ;   in Loop: Header=BB340_9 Depth=1
	v_clz_i32_u32_e32 v24, v12
	s_delay_alu instid0(VALU_DEP_1) | instskip(NEXT) | instid1(VALU_DEP_1)
	v_min_u32_e32 v73, 32, v24
	v_subrev_nc_u32_e32 v24, 28, v73
	s_delay_alu instid0(VALU_DEP_1) | instskip(NEXT) | instid1(VALU_DEP_1)
	v_lshlrev_b64_e32 v[24:25], v24, v[12:13]
	v_dual_sub_nc_u32 v73, 29, v73 :: v_dual_bitop2_b32 v24, 7, v24 bitop3:0x40
; %bb.590:                              ;   in Loop: Header=BB340_9 Depth=1
	s_or_b32 exec_lo, exec_lo, s19
	s_delay_alu instid0(VALU_DEP_1) | instskip(NEXT) | instid1(VALU_DEP_2)
	v_dual_lshlrev_b32 v12, 24, v49 :: v_dual_lshlrev_b32 v24, 20, v24
	v_lshl_add_u32 v25, v73, 23, 0x3c000000
	s_delay_alu instid0(VALU_DEP_2) | instskip(NEXT) | instid1(VALU_DEP_1)
	v_and_b32_e32 v12, 0x80000000, v12
	v_or3_b32 v73, v24, v12, v25
.LBB340_591:                            ;   in Loop: Header=BB340_9 Depth=1
	s_or_b32 exec_lo, exec_lo, s18
.LBB340_592:                            ;   in Loop: Header=BB340_9 Depth=1
	s_delay_alu instid0(SALU_CYCLE_1)
	s_or_b32 exec_lo, exec_lo, s17
.LBB340_593:                            ;   in Loop: Header=BB340_9 Depth=1
	s_delay_alu instid0(SALU_CYCLE_1) | instskip(SKIP_2) | instid1(VALU_DEP_1)
	s_or_b32 exec_lo, exec_lo, s16
	v_lshrrev_b16 v12, 8, v49
	s_mov_b32 s16, exec_lo
	v_cmpx_ne_u16_e32 0, v12
	s_cbranch_execz .LBB340_601
; %bb.594:                              ;   in Loop: Header=BB340_9 Depth=1
	v_bfrev_b32_e32 v72, 1
	s_mov_b32 s17, exec_lo
	v_cmpx_ne_u16_e32 0x80, v12
	s_cbranch_execz .LBB340_600
; %bb.595:                              ;   in Loop: Header=BB340_9 Depth=1
	v_and_b32_e32 v12, 0xffff, v12
	v_mov_b32_e32 v72, 0x7f800001
	s_mov_b32 s18, exec_lo
	s_delay_alu instid0(VALU_DEP_2) | instskip(NEXT) | instid1(VALU_DEP_1)
	v_and_b32_e32 v24, 0x7f, v12
	v_cmpx_ne_u32_e32 0x7f, v24
	s_cbranch_execz .LBB340_599
; %bb.596:                              ;   in Loop: Header=BB340_9 Depth=1
	v_and_b32_e32 v12, 7, v12
	v_lshrrev_b32_e32 v72, 3, v24
	v_cmp_gt_u32_e64 s2, 8, v24
	s_delay_alu instid0(VALU_DEP_3)
	v_mov_b64_e32 v[24:25], v[12:13]
	s_and_saveexec_b32 s19, s2
; %bb.597:                              ;   in Loop: Header=BB340_9 Depth=1
	v_clz_i32_u32_e32 v24, v12
	s_delay_alu instid0(VALU_DEP_1) | instskip(NEXT) | instid1(VALU_DEP_1)
	v_min_u32_e32 v72, 32, v24
	v_subrev_nc_u32_e32 v24, 28, v72
	v_sub_nc_u32_e32 v72, 29, v72
	s_delay_alu instid0(VALU_DEP_2) | instskip(NEXT) | instid1(VALU_DEP_1)
	v_lshlrev_b64_e32 v[24:25], v24, v[12:13]
	v_and_b32_e32 v24, 7, v24
; %bb.598:                              ;   in Loop: Header=BB340_9 Depth=1
	s_or_b32 exec_lo, exec_lo, s19
	s_delay_alu instid0(VALU_DEP_1) | instskip(SKIP_1) | instid1(VALU_DEP_2)
	v_dual_lshlrev_b32 v12, 16, v49 :: v_dual_lshlrev_b32 v24, 20, v24
	v_lshl_add_u32 v25, v72, 23, 0x3c000000
	v_and_b32_e32 v12, 0x80000000, v12
	s_delay_alu instid0(VALU_DEP_1)
	v_or3_b32 v72, v24, v12, v25
.LBB340_599:                            ;   in Loop: Header=BB340_9 Depth=1
	s_or_b32 exec_lo, exec_lo, s18
.LBB340_600:                            ;   in Loop: Header=BB340_9 Depth=1
	s_delay_alu instid0(SALU_CYCLE_1)
	s_or_b32 exec_lo, exec_lo, s17
.LBB340_601:                            ;   in Loop: Header=BB340_9 Depth=1
	s_delay_alu instid0(SALU_CYCLE_1) | instskip(SKIP_3) | instid1(VALU_DEP_2)
	s_or_b32 exec_lo, exec_lo, s16
	v_dual_lshrrev_b32 v77, 16, v49 :: v_dual_mov_b32 v75, 0
	v_mov_b32_e32 v76, 0
	s_mov_b32 s16, exec_lo
	v_and_b32_e32 v12, 0xff, v77
	s_delay_alu instid0(VALU_DEP_1)
	v_cmpx_ne_u16_e32 0, v12
	s_cbranch_execz .LBB340_609
; %bb.602:                              ;   in Loop: Header=BB340_9 Depth=1
	v_bfrev_b32_e32 v76, 1
	s_mov_b32 s17, exec_lo
	v_cmpx_ne_u16_e32 0x80, v12
	s_cbranch_execz .LBB340_608
; %bb.603:                              ;   in Loop: Header=BB340_9 Depth=1
	v_bfe_u32 v24, v49, 16, 7
	v_mov_b32_e32 v76, 0x7f800001
	s_mov_b32 s18, exec_lo
	s_delay_alu instid0(VALU_DEP_2)
	v_cmpx_ne_u32_e32 0x7f, v24
	s_cbranch_execz .LBB340_607
; %bb.604:                              ;   in Loop: Header=BB340_9 Depth=1
	v_dual_lshrrev_b32 v76, 3, v24 :: v_dual_bitop2_b32 v12, 7, v77 bitop3:0x40
	v_cmp_gt_u32_e64 s2, 8, v24
	s_delay_alu instid0(VALU_DEP_2)
	v_mov_b64_e32 v[24:25], v[12:13]
	s_and_saveexec_b32 s19, s2
; %bb.605:                              ;   in Loop: Header=BB340_9 Depth=1
	v_clz_i32_u32_e32 v24, v12
	s_delay_alu instid0(VALU_DEP_1) | instskip(NEXT) | instid1(VALU_DEP_1)
	v_min_u32_e32 v76, 32, v24
	v_subrev_nc_u32_e32 v24, 28, v76
	v_sub_nc_u32_e32 v76, 29, v76
	s_delay_alu instid0(VALU_DEP_2) | instskip(NEXT) | instid1(VALU_DEP_1)
	v_lshlrev_b64_e32 v[24:25], v24, v[12:13]
	v_and_b32_e32 v24, 7, v24
; %bb.606:                              ;   in Loop: Header=BB340_9 Depth=1
	s_or_b32 exec_lo, exec_lo, s19
	s_delay_alu instid0(VALU_DEP_1) | instskip(SKIP_1) | instid1(VALU_DEP_2)
	v_dual_lshlrev_b32 v12, 24, v77 :: v_dual_lshlrev_b32 v24, 20, v24
	v_lshl_add_u32 v25, v76, 23, 0x3c000000
	v_and_b32_e32 v12, 0x80000000, v12
	s_delay_alu instid0(VALU_DEP_1)
	v_or3_b32 v76, v24, v12, v25
.LBB340_607:                            ;   in Loop: Header=BB340_9 Depth=1
	s_or_b32 exec_lo, exec_lo, s18
.LBB340_608:                            ;   in Loop: Header=BB340_9 Depth=1
	s_delay_alu instid0(SALU_CYCLE_1)
	s_or_b32 exec_lo, exec_lo, s17
.LBB340_609:                            ;   in Loop: Header=BB340_9 Depth=1
	s_delay_alu instid0(SALU_CYCLE_1) | instskip(NEXT) | instid1(SALU_CYCLE_1)
	s_or_b32 exec_lo, exec_lo, s16
	s_mov_b32 s16, exec_lo
	v_cmpx_lt_u32_e32 0xffffff, v49
	s_cbranch_execz .LBB340_617
; %bb.610:                              ;   in Loop: Header=BB340_9 Depth=1
	v_lshrrev_b32_e32 v77, 24, v49
	v_bfrev_b32_e32 v75, 1
	s_mov_b32 s17, exec_lo
	s_delay_alu instid0(VALU_DEP_2)
	v_cmpx_ne_u32_e32 0x80, v77
	s_cbranch_execz .LBB340_616
; %bb.611:                              ;   in Loop: Header=BB340_9 Depth=1
	v_bfe_u32 v24, v49, 24, 7
	v_mov_b32_e32 v75, 0x7f800001
	s_mov_b32 s18, exec_lo
	s_delay_alu instid0(VALU_DEP_2)
	v_cmpx_ne_u32_e32 0x7f, v24
	s_cbranch_execz .LBB340_615
; %bb.612:                              ;   in Loop: Header=BB340_9 Depth=1
	v_dual_lshrrev_b32 v49, 3, v24 :: v_dual_bitop2_b32 v12, 7, v77 bitop3:0x40
	v_cmp_gt_u32_e64 s2, 8, v24
	s_delay_alu instid0(VALU_DEP_2)
	v_mov_b64_e32 v[24:25], v[12:13]
	s_and_saveexec_b32 s19, s2
; %bb.613:                              ;   in Loop: Header=BB340_9 Depth=1
	v_clz_i32_u32_e32 v24, v12
	s_delay_alu instid0(VALU_DEP_1) | instskip(NEXT) | instid1(VALU_DEP_1)
	v_min_u32_e32 v49, 32, v24
	v_subrev_nc_u32_e32 v24, 28, v49
	s_delay_alu instid0(VALU_DEP_1) | instskip(NEXT) | instid1(VALU_DEP_1)
	v_lshlrev_b64_e32 v[24:25], v24, v[12:13]
	v_dual_sub_nc_u32 v49, 29, v49 :: v_dual_bitop2_b32 v24, 7, v24 bitop3:0x40
; %bb.614:                              ;   in Loop: Header=BB340_9 Depth=1
	s_or_b32 exec_lo, exec_lo, s19
	s_delay_alu instid0(VALU_DEP_1) | instskip(NEXT) | instid1(VALU_DEP_2)
	v_dual_lshlrev_b32 v12, 24, v77 :: v_dual_lshlrev_b32 v24, 20, v24
	v_lshl_add_u32 v25, v49, 23, 0x3c000000
	s_delay_alu instid0(VALU_DEP_2) | instskip(NEXT) | instid1(VALU_DEP_1)
	v_and_b32_e32 v12, 0x80000000, v12
	v_or3_b32 v75, v24, v12, v25
.LBB340_615:                            ;   in Loop: Header=BB340_9 Depth=1
	s_or_b32 exec_lo, exec_lo, s18
.LBB340_616:                            ;   in Loop: Header=BB340_9 Depth=1
	s_delay_alu instid0(SALU_CYCLE_1)
	s_or_b32 exec_lo, exec_lo, s17
.LBB340_617:                            ;   in Loop: Header=BB340_9 Depth=1
	s_delay_alu instid0(SALU_CYCLE_1)
	s_or_b32 exec_lo, exec_lo, s16
	flat_load_b32 v49, v[16:17] offset:2312
	v_dual_mov_b32 v77, 0 :: v_dual_mov_b32 v78, 0
	s_mov_b32 s16, exec_lo
	s_wait_loadcnt_dscnt 0x0
	v_and_b32_e32 v12, 0xff, v49
	s_wait_xcnt 0x0
	s_delay_alu instid0(VALU_DEP_1)
	v_cmpx_ne_u16_e32 0, v12
	s_cbranch_execz .LBB340_625
; %bb.618:                              ;   in Loop: Header=BB340_9 Depth=1
	v_bfrev_b32_e32 v78, 1
	s_mov_b32 s17, exec_lo
	v_cmpx_ne_u16_e32 0x80, v12
	s_cbranch_execz .LBB340_624
; %bb.619:                              ;   in Loop: Header=BB340_9 Depth=1
	v_and_b32_e32 v24, 0x7f, v49
	v_mov_b32_e32 v78, 0x7f800001
	s_mov_b32 s18, exec_lo
	s_delay_alu instid0(VALU_DEP_2)
	v_cmpx_ne_u32_e32 0x7f, v24
	s_cbranch_execz .LBB340_623
; %bb.620:                              ;   in Loop: Header=BB340_9 Depth=1
	v_dual_lshrrev_b32 v78, 3, v24 :: v_dual_bitop2_b32 v12, 7, v49 bitop3:0x40
	v_cmp_gt_u32_e64 s2, 8, v24
	s_delay_alu instid0(VALU_DEP_2)
	v_mov_b64_e32 v[24:25], v[12:13]
	s_and_saveexec_b32 s19, s2
; %bb.621:                              ;   in Loop: Header=BB340_9 Depth=1
	v_clz_i32_u32_e32 v24, v12
	s_delay_alu instid0(VALU_DEP_1) | instskip(NEXT) | instid1(VALU_DEP_1)
	v_min_u32_e32 v78, 32, v24
	v_subrev_nc_u32_e32 v24, 28, v78
	s_delay_alu instid0(VALU_DEP_1) | instskip(NEXT) | instid1(VALU_DEP_1)
	v_lshlrev_b64_e32 v[24:25], v24, v[12:13]
	v_dual_sub_nc_u32 v78, 29, v78 :: v_dual_bitop2_b32 v24, 7, v24 bitop3:0x40
; %bb.622:                              ;   in Loop: Header=BB340_9 Depth=1
	s_or_b32 exec_lo, exec_lo, s19
	s_delay_alu instid0(VALU_DEP_1) | instskip(NEXT) | instid1(VALU_DEP_2)
	v_dual_lshlrev_b32 v12, 24, v49 :: v_dual_lshlrev_b32 v24, 20, v24
	v_lshl_add_u32 v25, v78, 23, 0x3c000000
	s_delay_alu instid0(VALU_DEP_2) | instskip(NEXT) | instid1(VALU_DEP_1)
	v_and_b32_e32 v12, 0x80000000, v12
	v_or3_b32 v78, v24, v12, v25
.LBB340_623:                            ;   in Loop: Header=BB340_9 Depth=1
	s_or_b32 exec_lo, exec_lo, s18
.LBB340_624:                            ;   in Loop: Header=BB340_9 Depth=1
	s_delay_alu instid0(SALU_CYCLE_1)
	s_or_b32 exec_lo, exec_lo, s17
.LBB340_625:                            ;   in Loop: Header=BB340_9 Depth=1
	s_delay_alu instid0(SALU_CYCLE_1) | instskip(SKIP_2) | instid1(VALU_DEP_1)
	s_or_b32 exec_lo, exec_lo, s16
	v_lshrrev_b16 v12, 8, v49
	s_mov_b32 s16, exec_lo
	v_cmpx_ne_u16_e32 0, v12
	s_cbranch_execz .LBB340_633
; %bb.626:                              ;   in Loop: Header=BB340_9 Depth=1
	v_bfrev_b32_e32 v77, 1
	s_mov_b32 s17, exec_lo
	v_cmpx_ne_u16_e32 0x80, v12
	s_cbranch_execz .LBB340_632
; %bb.627:                              ;   in Loop: Header=BB340_9 Depth=1
	v_and_b32_e32 v12, 0xffff, v12
	v_mov_b32_e32 v77, 0x7f800001
	s_mov_b32 s18, exec_lo
	s_delay_alu instid0(VALU_DEP_2) | instskip(NEXT) | instid1(VALU_DEP_1)
	v_and_b32_e32 v24, 0x7f, v12
	v_cmpx_ne_u32_e32 0x7f, v24
	s_cbranch_execz .LBB340_631
; %bb.628:                              ;   in Loop: Header=BB340_9 Depth=1
	v_and_b32_e32 v12, 7, v12
	v_lshrrev_b32_e32 v77, 3, v24
	v_cmp_gt_u32_e64 s2, 8, v24
	s_delay_alu instid0(VALU_DEP_3)
	v_mov_b64_e32 v[24:25], v[12:13]
	s_and_saveexec_b32 s19, s2
; %bb.629:                              ;   in Loop: Header=BB340_9 Depth=1
	v_clz_i32_u32_e32 v24, v12
	s_delay_alu instid0(VALU_DEP_1) | instskip(NEXT) | instid1(VALU_DEP_1)
	v_min_u32_e32 v77, 32, v24
	v_subrev_nc_u32_e32 v24, 28, v77
	s_delay_alu instid0(VALU_DEP_1) | instskip(NEXT) | instid1(VALU_DEP_1)
	v_lshlrev_b64_e32 v[24:25], v24, v[12:13]
	v_dual_sub_nc_u32 v77, 29, v77 :: v_dual_bitop2_b32 v24, 7, v24 bitop3:0x40
; %bb.630:                              ;   in Loop: Header=BB340_9 Depth=1
	s_or_b32 exec_lo, exec_lo, s19
	s_delay_alu instid0(VALU_DEP_1) | instskip(NEXT) | instid1(VALU_DEP_2)
	v_dual_lshlrev_b32 v12, 16, v49 :: v_dual_lshlrev_b32 v24, 20, v24
	v_lshl_add_u32 v25, v77, 23, 0x3c000000
	s_delay_alu instid0(VALU_DEP_2) | instskip(NEXT) | instid1(VALU_DEP_1)
	v_and_b32_e32 v12, 0x80000000, v12
	v_or3_b32 v77, v24, v12, v25
.LBB340_631:                            ;   in Loop: Header=BB340_9 Depth=1
	s_or_b32 exec_lo, exec_lo, s18
.LBB340_632:                            ;   in Loop: Header=BB340_9 Depth=1
	s_delay_alu instid0(SALU_CYCLE_1)
	s_or_b32 exec_lo, exec_lo, s17
.LBB340_633:                            ;   in Loop: Header=BB340_9 Depth=1
	s_delay_alu instid0(SALU_CYCLE_1) | instskip(SKIP_3) | instid1(VALU_DEP_2)
	s_or_b32 exec_lo, exec_lo, s16
	v_dual_lshrrev_b32 v89, 16, v49 :: v_dual_mov_b32 v79, 0
	v_mov_b32_e32 v88, 0
	s_mov_b32 s16, exec_lo
	v_and_b32_e32 v12, 0xff, v89
	s_delay_alu instid0(VALU_DEP_1)
	v_cmpx_ne_u16_e32 0, v12
	s_cbranch_execz .LBB340_641
; %bb.634:                              ;   in Loop: Header=BB340_9 Depth=1
	v_bfrev_b32_e32 v88, 1
	s_mov_b32 s17, exec_lo
	v_cmpx_ne_u16_e32 0x80, v12
	s_cbranch_execz .LBB340_640
; %bb.635:                              ;   in Loop: Header=BB340_9 Depth=1
	v_bfe_u32 v24, v49, 16, 7
	v_mov_b32_e32 v88, 0x7f800001
	s_mov_b32 s18, exec_lo
	s_delay_alu instid0(VALU_DEP_2)
	v_cmpx_ne_u32_e32 0x7f, v24
	s_cbranch_execz .LBB340_639
; %bb.636:                              ;   in Loop: Header=BB340_9 Depth=1
	v_dual_lshrrev_b32 v88, 3, v24 :: v_dual_bitop2_b32 v12, 7, v89 bitop3:0x40
	v_cmp_gt_u32_e64 s2, 8, v24
	s_delay_alu instid0(VALU_DEP_2)
	v_mov_b64_e32 v[24:25], v[12:13]
	s_and_saveexec_b32 s19, s2
; %bb.637:                              ;   in Loop: Header=BB340_9 Depth=1
	v_clz_i32_u32_e32 v24, v12
	s_delay_alu instid0(VALU_DEP_1) | instskip(NEXT) | instid1(VALU_DEP_1)
	v_min_u32_e32 v88, 32, v24
	v_subrev_nc_u32_e32 v24, 28, v88
	v_sub_nc_u32_e32 v88, 29, v88
	s_delay_alu instid0(VALU_DEP_2) | instskip(NEXT) | instid1(VALU_DEP_1)
	v_lshlrev_b64_e32 v[24:25], v24, v[12:13]
	v_and_b32_e32 v24, 7, v24
; %bb.638:                              ;   in Loop: Header=BB340_9 Depth=1
	s_or_b32 exec_lo, exec_lo, s19
	s_delay_alu instid0(VALU_DEP_1) | instskip(SKIP_1) | instid1(VALU_DEP_2)
	v_dual_lshlrev_b32 v12, 24, v89 :: v_dual_lshlrev_b32 v24, 20, v24
	v_lshl_add_u32 v25, v88, 23, 0x3c000000
	v_and_b32_e32 v12, 0x80000000, v12
	s_delay_alu instid0(VALU_DEP_1)
	v_or3_b32 v88, v24, v12, v25
.LBB340_639:                            ;   in Loop: Header=BB340_9 Depth=1
	s_or_b32 exec_lo, exec_lo, s18
.LBB340_640:                            ;   in Loop: Header=BB340_9 Depth=1
	s_delay_alu instid0(SALU_CYCLE_1)
	s_or_b32 exec_lo, exec_lo, s17
.LBB340_641:                            ;   in Loop: Header=BB340_9 Depth=1
	s_delay_alu instid0(SALU_CYCLE_1) | instskip(NEXT) | instid1(SALU_CYCLE_1)
	s_or_b32 exec_lo, exec_lo, s16
	s_mov_b32 s16, exec_lo
	v_cmpx_lt_u32_e32 0xffffff, v49
	s_cbranch_execz .LBB340_649
; %bb.642:                              ;   in Loop: Header=BB340_9 Depth=1
	v_lshrrev_b32_e32 v89, 24, v49
	v_bfrev_b32_e32 v79, 1
	s_mov_b32 s17, exec_lo
	s_delay_alu instid0(VALU_DEP_2)
	v_cmpx_ne_u32_e32 0x80, v89
	s_cbranch_execz .LBB340_648
; %bb.643:                              ;   in Loop: Header=BB340_9 Depth=1
	v_bfe_u32 v24, v49, 24, 7
	v_mov_b32_e32 v79, 0x7f800001
	s_mov_b32 s18, exec_lo
	s_delay_alu instid0(VALU_DEP_2)
	v_cmpx_ne_u32_e32 0x7f, v24
	s_cbranch_execz .LBB340_647
; %bb.644:                              ;   in Loop: Header=BB340_9 Depth=1
	v_dual_lshrrev_b32 v49, 3, v24 :: v_dual_bitop2_b32 v12, 7, v89 bitop3:0x40
	v_cmp_gt_u32_e64 s2, 8, v24
	s_delay_alu instid0(VALU_DEP_2)
	v_mov_b64_e32 v[24:25], v[12:13]
	s_and_saveexec_b32 s19, s2
; %bb.645:                              ;   in Loop: Header=BB340_9 Depth=1
	v_clz_i32_u32_e32 v24, v12
	s_delay_alu instid0(VALU_DEP_1) | instskip(NEXT) | instid1(VALU_DEP_1)
	v_min_u32_e32 v49, 32, v24
	v_subrev_nc_u32_e32 v24, 28, v49
	s_delay_alu instid0(VALU_DEP_1) | instskip(NEXT) | instid1(VALU_DEP_1)
	v_lshlrev_b64_e32 v[24:25], v24, v[12:13]
	v_dual_sub_nc_u32 v49, 29, v49 :: v_dual_bitop2_b32 v24, 7, v24 bitop3:0x40
; %bb.646:                              ;   in Loop: Header=BB340_9 Depth=1
	s_or_b32 exec_lo, exec_lo, s19
	s_delay_alu instid0(VALU_DEP_1) | instskip(NEXT) | instid1(VALU_DEP_2)
	v_dual_lshlrev_b32 v12, 24, v89 :: v_dual_lshlrev_b32 v24, 20, v24
	v_lshl_add_u32 v25, v49, 23, 0x3c000000
	s_delay_alu instid0(VALU_DEP_2) | instskip(NEXT) | instid1(VALU_DEP_1)
	v_and_b32_e32 v12, 0x80000000, v12
	v_or3_b32 v79, v24, v12, v25
.LBB340_647:                            ;   in Loop: Header=BB340_9 Depth=1
	s_or_b32 exec_lo, exec_lo, s18
.LBB340_648:                            ;   in Loop: Header=BB340_9 Depth=1
	s_delay_alu instid0(SALU_CYCLE_1)
	s_or_b32 exec_lo, exec_lo, s17
.LBB340_649:                            ;   in Loop: Header=BB340_9 Depth=1
	s_delay_alu instid0(SALU_CYCLE_1)
	s_or_b32 exec_lo, exec_lo, s16
	flat_load_b32 v49, v[16:17] offset:2560
	v_dual_mov_b32 v90, 0 :: v_dual_mov_b32 v89, 0
	s_mov_b32 s16, exec_lo
	s_wait_loadcnt_dscnt 0x0
	v_and_b32_e32 v12, 0xff, v49
	s_wait_xcnt 0x0
	s_delay_alu instid0(VALU_DEP_1)
	v_cmpx_ne_u16_e32 0, v12
	s_cbranch_execz .LBB340_657
; %bb.650:                              ;   in Loop: Header=BB340_9 Depth=1
	v_bfrev_b32_e32 v89, 1
	s_mov_b32 s17, exec_lo
	v_cmpx_ne_u16_e32 0x80, v12
	s_cbranch_execz .LBB340_656
; %bb.651:                              ;   in Loop: Header=BB340_9 Depth=1
	v_and_b32_e32 v24, 0x7f, v49
	v_mov_b32_e32 v89, 0x7f800001
	s_mov_b32 s18, exec_lo
	s_delay_alu instid0(VALU_DEP_2)
	v_cmpx_ne_u32_e32 0x7f, v24
	s_cbranch_execz .LBB340_655
; %bb.652:                              ;   in Loop: Header=BB340_9 Depth=1
	v_dual_lshrrev_b32 v89, 3, v24 :: v_dual_bitop2_b32 v12, 7, v49 bitop3:0x40
	v_cmp_gt_u32_e64 s2, 8, v24
	s_delay_alu instid0(VALU_DEP_2)
	v_mov_b64_e32 v[24:25], v[12:13]
	s_and_saveexec_b32 s19, s2
; %bb.653:                              ;   in Loop: Header=BB340_9 Depth=1
	v_clz_i32_u32_e32 v24, v12
	s_delay_alu instid0(VALU_DEP_1) | instskip(NEXT) | instid1(VALU_DEP_1)
	v_min_u32_e32 v89, 32, v24
	v_subrev_nc_u32_e32 v24, 28, v89
	s_delay_alu instid0(VALU_DEP_1) | instskip(NEXT) | instid1(VALU_DEP_1)
	v_lshlrev_b64_e32 v[24:25], v24, v[12:13]
	v_dual_sub_nc_u32 v89, 29, v89 :: v_dual_bitop2_b32 v24, 7, v24 bitop3:0x40
; %bb.654:                              ;   in Loop: Header=BB340_9 Depth=1
	s_or_b32 exec_lo, exec_lo, s19
	s_delay_alu instid0(VALU_DEP_1) | instskip(NEXT) | instid1(VALU_DEP_2)
	v_dual_lshlrev_b32 v12, 24, v49 :: v_dual_lshlrev_b32 v24, 20, v24
	v_lshl_add_u32 v25, v89, 23, 0x3c000000
	s_delay_alu instid0(VALU_DEP_2) | instskip(NEXT) | instid1(VALU_DEP_1)
	v_and_b32_e32 v12, 0x80000000, v12
	v_or3_b32 v89, v24, v12, v25
.LBB340_655:                            ;   in Loop: Header=BB340_9 Depth=1
	s_or_b32 exec_lo, exec_lo, s18
.LBB340_656:                            ;   in Loop: Header=BB340_9 Depth=1
	s_delay_alu instid0(SALU_CYCLE_1)
	s_or_b32 exec_lo, exec_lo, s17
.LBB340_657:                            ;   in Loop: Header=BB340_9 Depth=1
	s_delay_alu instid0(SALU_CYCLE_1) | instskip(SKIP_2) | instid1(VALU_DEP_1)
	s_or_b32 exec_lo, exec_lo, s16
	v_lshrrev_b16 v12, 8, v49
	s_mov_b32 s16, exec_lo
	v_cmpx_ne_u16_e32 0, v12
	s_cbranch_execz .LBB340_665
; %bb.658:                              ;   in Loop: Header=BB340_9 Depth=1
	v_bfrev_b32_e32 v90, 1
	s_mov_b32 s17, exec_lo
	v_cmpx_ne_u16_e32 0x80, v12
	s_cbranch_execz .LBB340_664
; %bb.659:                              ;   in Loop: Header=BB340_9 Depth=1
	v_and_b32_e32 v12, 0xffff, v12
	v_mov_b32_e32 v90, 0x7f800001
	s_mov_b32 s18, exec_lo
	s_delay_alu instid0(VALU_DEP_2) | instskip(NEXT) | instid1(VALU_DEP_1)
	v_and_b32_e32 v24, 0x7f, v12
	v_cmpx_ne_u32_e32 0x7f, v24
	s_cbranch_execz .LBB340_663
; %bb.660:                              ;   in Loop: Header=BB340_9 Depth=1
	v_and_b32_e32 v12, 7, v12
	v_lshrrev_b32_e32 v90, 3, v24
	v_cmp_gt_u32_e64 s2, 8, v24
	s_delay_alu instid0(VALU_DEP_3)
	v_mov_b64_e32 v[24:25], v[12:13]
	s_and_saveexec_b32 s19, s2
; %bb.661:                              ;   in Loop: Header=BB340_9 Depth=1
	v_clz_i32_u32_e32 v24, v12
	s_delay_alu instid0(VALU_DEP_1) | instskip(NEXT) | instid1(VALU_DEP_1)
	v_min_u32_e32 v90, 32, v24
	v_subrev_nc_u32_e32 v24, 28, v90
	s_delay_alu instid0(VALU_DEP_1) | instskip(NEXT) | instid1(VALU_DEP_1)
	v_lshlrev_b64_e32 v[24:25], v24, v[12:13]
	v_dual_sub_nc_u32 v90, 29, v90 :: v_dual_bitop2_b32 v24, 7, v24 bitop3:0x40
; %bb.662:                              ;   in Loop: Header=BB340_9 Depth=1
	s_or_b32 exec_lo, exec_lo, s19
	s_delay_alu instid0(VALU_DEP_1) | instskip(NEXT) | instid1(VALU_DEP_2)
	v_dual_lshlrev_b32 v12, 16, v49 :: v_dual_lshlrev_b32 v24, 20, v24
	v_lshl_add_u32 v25, v90, 23, 0x3c000000
	s_delay_alu instid0(VALU_DEP_2) | instskip(NEXT) | instid1(VALU_DEP_1)
	v_and_b32_e32 v12, 0x80000000, v12
	v_or3_b32 v90, v24, v12, v25
.LBB340_663:                            ;   in Loop: Header=BB340_9 Depth=1
	s_or_b32 exec_lo, exec_lo, s18
.LBB340_664:                            ;   in Loop: Header=BB340_9 Depth=1
	s_delay_alu instid0(SALU_CYCLE_1)
	s_or_b32 exec_lo, exec_lo, s17
.LBB340_665:                            ;   in Loop: Header=BB340_9 Depth=1
	s_delay_alu instid0(SALU_CYCLE_1) | instskip(SKIP_3) | instid1(VALU_DEP_2)
	s_or_b32 exec_lo, exec_lo, s16
	v_dual_lshrrev_b32 v93, 16, v49 :: v_dual_mov_b32 v91, 0
	v_mov_b32_e32 v92, 0
	s_mov_b32 s16, exec_lo
	v_and_b32_e32 v12, 0xff, v93
	s_delay_alu instid0(VALU_DEP_1)
	v_cmpx_ne_u16_e32 0, v12
	s_cbranch_execz .LBB340_673
; %bb.666:                              ;   in Loop: Header=BB340_9 Depth=1
	v_bfrev_b32_e32 v92, 1
	s_mov_b32 s17, exec_lo
	v_cmpx_ne_u16_e32 0x80, v12
	s_cbranch_execz .LBB340_672
; %bb.667:                              ;   in Loop: Header=BB340_9 Depth=1
	v_bfe_u32 v24, v49, 16, 7
	v_mov_b32_e32 v92, 0x7f800001
	s_mov_b32 s18, exec_lo
	s_delay_alu instid0(VALU_DEP_2)
	v_cmpx_ne_u32_e32 0x7f, v24
	s_cbranch_execz .LBB340_671
; %bb.668:                              ;   in Loop: Header=BB340_9 Depth=1
	v_dual_lshrrev_b32 v92, 3, v24 :: v_dual_bitop2_b32 v12, 7, v93 bitop3:0x40
	v_cmp_gt_u32_e64 s2, 8, v24
	s_delay_alu instid0(VALU_DEP_2)
	v_mov_b64_e32 v[24:25], v[12:13]
	s_and_saveexec_b32 s19, s2
; %bb.669:                              ;   in Loop: Header=BB340_9 Depth=1
	v_clz_i32_u32_e32 v24, v12
	s_delay_alu instid0(VALU_DEP_1) | instskip(NEXT) | instid1(VALU_DEP_1)
	v_min_u32_e32 v92, 32, v24
	v_subrev_nc_u32_e32 v24, 28, v92
	v_sub_nc_u32_e32 v92, 29, v92
	s_delay_alu instid0(VALU_DEP_2) | instskip(NEXT) | instid1(VALU_DEP_1)
	v_lshlrev_b64_e32 v[24:25], v24, v[12:13]
	v_and_b32_e32 v24, 7, v24
; %bb.670:                              ;   in Loop: Header=BB340_9 Depth=1
	s_or_b32 exec_lo, exec_lo, s19
	s_delay_alu instid0(VALU_DEP_1) | instskip(SKIP_1) | instid1(VALU_DEP_2)
	v_dual_lshlrev_b32 v12, 24, v93 :: v_dual_lshlrev_b32 v24, 20, v24
	v_lshl_add_u32 v25, v92, 23, 0x3c000000
	v_and_b32_e32 v12, 0x80000000, v12
	s_delay_alu instid0(VALU_DEP_1)
	v_or3_b32 v92, v24, v12, v25
.LBB340_671:                            ;   in Loop: Header=BB340_9 Depth=1
	s_or_b32 exec_lo, exec_lo, s18
.LBB340_672:                            ;   in Loop: Header=BB340_9 Depth=1
	s_delay_alu instid0(SALU_CYCLE_1)
	s_or_b32 exec_lo, exec_lo, s17
.LBB340_673:                            ;   in Loop: Header=BB340_9 Depth=1
	s_delay_alu instid0(SALU_CYCLE_1) | instskip(NEXT) | instid1(SALU_CYCLE_1)
	s_or_b32 exec_lo, exec_lo, s16
	s_mov_b32 s16, exec_lo
	v_cmpx_lt_u32_e32 0xffffff, v49
	s_cbranch_execz .LBB340_681
; %bb.674:                              ;   in Loop: Header=BB340_9 Depth=1
	v_lshrrev_b32_e32 v93, 24, v49
	v_bfrev_b32_e32 v91, 1
	s_mov_b32 s17, exec_lo
	s_delay_alu instid0(VALU_DEP_2)
	v_cmpx_ne_u32_e32 0x80, v93
	s_cbranch_execz .LBB340_680
; %bb.675:                              ;   in Loop: Header=BB340_9 Depth=1
	v_bfe_u32 v24, v49, 24, 7
	v_mov_b32_e32 v91, 0x7f800001
	s_mov_b32 s18, exec_lo
	s_delay_alu instid0(VALU_DEP_2)
	v_cmpx_ne_u32_e32 0x7f, v24
	s_cbranch_execz .LBB340_679
; %bb.676:                              ;   in Loop: Header=BB340_9 Depth=1
	v_dual_lshrrev_b32 v49, 3, v24 :: v_dual_bitop2_b32 v12, 7, v93 bitop3:0x40
	v_cmp_gt_u32_e64 s2, 8, v24
	s_delay_alu instid0(VALU_DEP_2)
	v_mov_b64_e32 v[24:25], v[12:13]
	s_and_saveexec_b32 s19, s2
; %bb.677:                              ;   in Loop: Header=BB340_9 Depth=1
	v_clz_i32_u32_e32 v24, v12
	s_delay_alu instid0(VALU_DEP_1) | instskip(NEXT) | instid1(VALU_DEP_1)
	v_min_u32_e32 v49, 32, v24
	v_subrev_nc_u32_e32 v24, 28, v49
	s_delay_alu instid0(VALU_DEP_1) | instskip(NEXT) | instid1(VALU_DEP_1)
	v_lshlrev_b64_e32 v[24:25], v24, v[12:13]
	v_dual_sub_nc_u32 v49, 29, v49 :: v_dual_bitop2_b32 v24, 7, v24 bitop3:0x40
; %bb.678:                              ;   in Loop: Header=BB340_9 Depth=1
	s_or_b32 exec_lo, exec_lo, s19
	s_delay_alu instid0(VALU_DEP_1) | instskip(NEXT) | instid1(VALU_DEP_2)
	v_dual_lshlrev_b32 v12, 24, v93 :: v_dual_lshlrev_b32 v24, 20, v24
	v_lshl_add_u32 v25, v49, 23, 0x3c000000
	s_delay_alu instid0(VALU_DEP_2) | instskip(NEXT) | instid1(VALU_DEP_1)
	v_and_b32_e32 v12, 0x80000000, v12
	v_or3_b32 v91, v24, v12, v25
.LBB340_679:                            ;   in Loop: Header=BB340_9 Depth=1
	s_or_b32 exec_lo, exec_lo, s18
.LBB340_680:                            ;   in Loop: Header=BB340_9 Depth=1
	s_delay_alu instid0(SALU_CYCLE_1)
	s_or_b32 exec_lo, exec_lo, s17
.LBB340_681:                            ;   in Loop: Header=BB340_9 Depth=1
	s_delay_alu instid0(SALU_CYCLE_1)
	s_or_b32 exec_lo, exec_lo, s16
	flat_load_b32 v49, v[16:17] offset:2568
	v_dual_mov_b32 v94, 0 :: v_dual_mov_b32 v93, 0
	s_mov_b32 s16, exec_lo
	s_wait_loadcnt_dscnt 0x0
	v_and_b32_e32 v12, 0xff, v49
	s_wait_xcnt 0x0
	s_delay_alu instid0(VALU_DEP_1)
	v_cmpx_ne_u16_e32 0, v12
	s_cbranch_execz .LBB340_689
; %bb.682:                              ;   in Loop: Header=BB340_9 Depth=1
	v_bfrev_b32_e32 v93, 1
	s_mov_b32 s17, exec_lo
	v_cmpx_ne_u16_e32 0x80, v12
	s_cbranch_execz .LBB340_688
; %bb.683:                              ;   in Loop: Header=BB340_9 Depth=1
	v_and_b32_e32 v24, 0x7f, v49
	v_mov_b32_e32 v93, 0x7f800001
	s_mov_b32 s18, exec_lo
	s_delay_alu instid0(VALU_DEP_2)
	v_cmpx_ne_u32_e32 0x7f, v24
	s_cbranch_execz .LBB340_687
; %bb.684:                              ;   in Loop: Header=BB340_9 Depth=1
	v_dual_lshrrev_b32 v93, 3, v24 :: v_dual_bitop2_b32 v12, 7, v49 bitop3:0x40
	v_cmp_gt_u32_e64 s2, 8, v24
	s_delay_alu instid0(VALU_DEP_2)
	v_mov_b64_e32 v[24:25], v[12:13]
	s_and_saveexec_b32 s19, s2
; %bb.685:                              ;   in Loop: Header=BB340_9 Depth=1
	v_clz_i32_u32_e32 v24, v12
	s_delay_alu instid0(VALU_DEP_1) | instskip(NEXT) | instid1(VALU_DEP_1)
	v_min_u32_e32 v93, 32, v24
	v_subrev_nc_u32_e32 v24, 28, v93
	s_delay_alu instid0(VALU_DEP_1) | instskip(NEXT) | instid1(VALU_DEP_1)
	v_lshlrev_b64_e32 v[24:25], v24, v[12:13]
	v_dual_sub_nc_u32 v93, 29, v93 :: v_dual_bitop2_b32 v24, 7, v24 bitop3:0x40
; %bb.686:                              ;   in Loop: Header=BB340_9 Depth=1
	s_or_b32 exec_lo, exec_lo, s19
	s_delay_alu instid0(VALU_DEP_1) | instskip(NEXT) | instid1(VALU_DEP_2)
	v_dual_lshlrev_b32 v12, 24, v49 :: v_dual_lshlrev_b32 v24, 20, v24
	v_lshl_add_u32 v25, v93, 23, 0x3c000000
	s_delay_alu instid0(VALU_DEP_2) | instskip(NEXT) | instid1(VALU_DEP_1)
	v_and_b32_e32 v12, 0x80000000, v12
	v_or3_b32 v93, v24, v12, v25
.LBB340_687:                            ;   in Loop: Header=BB340_9 Depth=1
	s_or_b32 exec_lo, exec_lo, s18
.LBB340_688:                            ;   in Loop: Header=BB340_9 Depth=1
	s_delay_alu instid0(SALU_CYCLE_1)
	s_or_b32 exec_lo, exec_lo, s17
.LBB340_689:                            ;   in Loop: Header=BB340_9 Depth=1
	s_delay_alu instid0(SALU_CYCLE_1) | instskip(SKIP_2) | instid1(VALU_DEP_1)
	s_or_b32 exec_lo, exec_lo, s16
	v_lshrrev_b16 v12, 8, v49
	s_mov_b32 s16, exec_lo
	v_cmpx_ne_u16_e32 0, v12
	s_cbranch_execz .LBB340_697
; %bb.690:                              ;   in Loop: Header=BB340_9 Depth=1
	v_bfrev_b32_e32 v94, 1
	s_mov_b32 s17, exec_lo
	v_cmpx_ne_u16_e32 0x80, v12
	s_cbranch_execz .LBB340_696
; %bb.691:                              ;   in Loop: Header=BB340_9 Depth=1
	v_and_b32_e32 v12, 0xffff, v12
	v_mov_b32_e32 v94, 0x7f800001
	s_mov_b32 s18, exec_lo
	s_delay_alu instid0(VALU_DEP_2) | instskip(NEXT) | instid1(VALU_DEP_1)
	v_and_b32_e32 v95, 0x7f, v12
	v_cmpx_ne_u32_e32 0x7f, v95
	s_cbranch_execz .LBB340_695
; %bb.692:                              ;   in Loop: Header=BB340_9 Depth=1
	v_and_b32_e32 v12, 7, v12
	s_mov_b32 s19, exec_lo
	s_delay_alu instid0(VALU_DEP_1)
	v_mov_b64_e32 v[24:25], v[12:13]
	v_lshrrev_b32_e32 v25, 3, v95
	v_cmpx_gt_u32_e32 8, v95
; %bb.693:                              ;   in Loop: Header=BB340_9 Depth=1
	v_clz_i32_u32_e32 v24, v12
	s_delay_alu instid0(VALU_DEP_1) | instskip(NEXT) | instid1(VALU_DEP_1)
	v_min_u32_e32 v94, 32, v24
	v_subrev_nc_u32_e32 v24, 28, v94
	s_delay_alu instid0(VALU_DEP_1) | instskip(NEXT) | instid1(VALU_DEP_1)
	v_lshlrev_b64_e32 v[24:25], v24, v[12:13]
	v_dual_sub_nc_u32 v25, 29, v94 :: v_dual_bitop2_b32 v24, 7, v24 bitop3:0x40
; %bb.694:                              ;   in Loop: Header=BB340_9 Depth=1
	s_or_b32 exec_lo, exec_lo, s19
	s_delay_alu instid0(VALU_DEP_1) | instskip(NEXT) | instid1(VALU_DEP_2)
	v_dual_lshlrev_b32 v12, 16, v49 :: v_dual_lshlrev_b32 v24, 20, v24
	v_lshl_add_u32 v25, v25, 23, 0x3c000000
	s_delay_alu instid0(VALU_DEP_2) | instskip(NEXT) | instid1(VALU_DEP_1)
	v_and_b32_e32 v12, 0x80000000, v12
	v_or3_b32 v94, v24, v12, v25
.LBB340_695:                            ;   in Loop: Header=BB340_9 Depth=1
	s_or_b32 exec_lo, exec_lo, s18
.LBB340_696:                            ;   in Loop: Header=BB340_9 Depth=1
	s_delay_alu instid0(SALU_CYCLE_1)
	s_or_b32 exec_lo, exec_lo, s17
.LBB340_697:                            ;   in Loop: Header=BB340_9 Depth=1
	s_delay_alu instid0(SALU_CYCLE_1) | instskip(SKIP_3) | instid1(VALU_DEP_2)
	s_or_b32 exec_lo, exec_lo, s16
	v_dual_lshrrev_b32 v105, 16, v49 :: v_dual_mov_b32 v95, 0
	v_mov_b32_e32 v104, 0
	s_mov_b32 s16, exec_lo
	v_and_b32_e32 v12, 0xff, v105
	s_delay_alu instid0(VALU_DEP_1)
	v_cmpx_ne_u16_e32 0, v12
	s_cbranch_execz .LBB340_705
; %bb.698:                              ;   in Loop: Header=BB340_9 Depth=1
	v_bfrev_b32_e32 v104, 1
	s_mov_b32 s17, exec_lo
	v_cmpx_ne_u16_e32 0x80, v12
	s_cbranch_execz .LBB340_704
; %bb.699:                              ;   in Loop: Header=BB340_9 Depth=1
	v_bfe_u32 v106, v49, 16, 7
	v_mov_b32_e32 v104, 0x7f800001
	s_mov_b32 s18, exec_lo
	s_delay_alu instid0(VALU_DEP_2)
	v_cmpx_ne_u32_e32 0x7f, v106
	s_cbranch_execz .LBB340_703
; %bb.700:                              ;   in Loop: Header=BB340_9 Depth=1
	v_and_b32_e32 v12, 7, v105
	s_mov_b32 s19, exec_lo
	s_delay_alu instid0(VALU_DEP_1)
	v_mov_b64_e32 v[24:25], v[12:13]
	v_lshrrev_b32_e32 v25, 3, v106
	v_cmpx_gt_u32_e32 8, v106
; %bb.701:                              ;   in Loop: Header=BB340_9 Depth=1
	v_clz_i32_u32_e32 v24, v12
	s_delay_alu instid0(VALU_DEP_1) | instskip(NEXT) | instid1(VALU_DEP_1)
	v_min_u32_e32 v104, 32, v24
	v_subrev_nc_u32_e32 v24, 28, v104
	s_delay_alu instid0(VALU_DEP_1) | instskip(SKIP_1) | instid1(VALU_DEP_2)
	v_lshlrev_b64_e32 v[24:25], v24, v[12:13]
	v_sub_nc_u32_e32 v25, 29, v104
	v_and_b32_e32 v24, 7, v24
; %bb.702:                              ;   in Loop: Header=BB340_9 Depth=1
	s_or_b32 exec_lo, exec_lo, s19
	s_delay_alu instid0(VALU_DEP_1) | instskip(NEXT) | instid1(VALU_DEP_3)
	v_dual_lshlrev_b32 v12, 24, v105 :: v_dual_lshlrev_b32 v24, 20, v24
	v_lshl_add_u32 v25, v25, 23, 0x3c000000
	s_delay_alu instid0(VALU_DEP_2) | instskip(NEXT) | instid1(VALU_DEP_1)
	v_and_b32_e32 v12, 0x80000000, v12
	v_or3_b32 v104, v24, v12, v25
.LBB340_703:                            ;   in Loop: Header=BB340_9 Depth=1
	s_or_b32 exec_lo, exec_lo, s18
.LBB340_704:                            ;   in Loop: Header=BB340_9 Depth=1
	s_delay_alu instid0(SALU_CYCLE_1)
	s_or_b32 exec_lo, exec_lo, s17
.LBB340_705:                            ;   in Loop: Header=BB340_9 Depth=1
	s_delay_alu instid0(SALU_CYCLE_1) | instskip(NEXT) | instid1(SALU_CYCLE_1)
	s_or_b32 exec_lo, exec_lo, s16
	s_mov_b32 s16, exec_lo
	v_cmpx_lt_u32_e32 0xffffff, v49
	s_cbranch_execz .LBB340_713
; %bb.706:                              ;   in Loop: Header=BB340_9 Depth=1
	v_lshrrev_b32_e32 v105, 24, v49
	v_bfrev_b32_e32 v95, 1
	s_mov_b32 s17, exec_lo
	s_delay_alu instid0(VALU_DEP_2)
	v_cmpx_ne_u32_e32 0x80, v105
	s_cbranch_execz .LBB340_712
; %bb.707:                              ;   in Loop: Header=BB340_9 Depth=1
	v_bfe_u32 v49, v49, 24, 7
	v_mov_b32_e32 v95, 0x7f800001
	s_mov_b32 s18, exec_lo
	s_delay_alu instid0(VALU_DEP_2)
	v_cmpx_ne_u32_e32 0x7f, v49
	s_cbranch_execz .LBB340_711
; %bb.708:                              ;   in Loop: Header=BB340_9 Depth=1
	v_and_b32_e32 v12, 7, v105
	s_mov_b32 s19, exec_lo
	s_delay_alu instid0(VALU_DEP_1)
	v_mov_b64_e32 v[24:25], v[12:13]
	v_lshrrev_b32_e32 v25, 3, v49
	v_cmpx_gt_u32_e32 8, v49
; %bb.709:                              ;   in Loop: Header=BB340_9 Depth=1
	v_clz_i32_u32_e32 v24, v12
	s_delay_alu instid0(VALU_DEP_1) | instskip(NEXT) | instid1(VALU_DEP_1)
	v_min_u32_e32 v49, 32, v24
	v_subrev_nc_u32_e32 v24, 28, v49
	s_delay_alu instid0(VALU_DEP_1) | instskip(NEXT) | instid1(VALU_DEP_1)
	v_lshlrev_b64_e32 v[24:25], v24, v[12:13]
	v_dual_sub_nc_u32 v25, 29, v49 :: v_dual_bitop2_b32 v24, 7, v24 bitop3:0x40
; %bb.710:                              ;   in Loop: Header=BB340_9 Depth=1
	s_or_b32 exec_lo, exec_lo, s19
	s_delay_alu instid0(VALU_DEP_1) | instskip(NEXT) | instid1(VALU_DEP_2)
	v_dual_lshlrev_b32 v12, 24, v105 :: v_dual_lshlrev_b32 v24, 20, v24
	v_lshl_add_u32 v25, v25, 23, 0x3c000000
	s_delay_alu instid0(VALU_DEP_2) | instskip(NEXT) | instid1(VALU_DEP_1)
	v_and_b32_e32 v12, 0x80000000, v12
	v_or3_b32 v95, v24, v12, v25
.LBB340_711:                            ;   in Loop: Header=BB340_9 Depth=1
	s_or_b32 exec_lo, exec_lo, s18
.LBB340_712:                            ;   in Loop: Header=BB340_9 Depth=1
	s_delay_alu instid0(SALU_CYCLE_1)
	s_or_b32 exec_lo, exec_lo, s17
.LBB340_713:                            ;   in Loop: Header=BB340_9 Depth=1
	s_delay_alu instid0(SALU_CYCLE_1)
	s_or_b32 exec_lo, exec_lo, s16
	flat_load_b32 v108, v[16:17] offset:2816
	v_dual_mov_b32 v106, 0 :: v_dual_mov_b32 v105, 0
	s_mov_b32 s16, exec_lo
	s_wait_loadcnt_dscnt 0x0
	v_and_b32_e32 v12, 0xff, v108
	s_wait_xcnt 0x0
	s_delay_alu instid0(VALU_DEP_1)
	v_cmpx_ne_u16_e32 0, v12
	s_cbranch_execz .LBB340_721
; %bb.714:                              ;   in Loop: Header=BB340_9 Depth=1
	v_bfrev_b32_e32 v105, 1
	s_mov_b32 s17, exec_lo
	v_cmpx_ne_u16_e32 0x80, v12
	s_cbranch_execz .LBB340_720
; %bb.715:                              ;   in Loop: Header=BB340_9 Depth=1
	v_and_b32_e32 v49, 0x7f, v108
	v_mov_b32_e32 v105, 0x7f800001
	s_mov_b32 s18, exec_lo
	s_delay_alu instid0(VALU_DEP_2)
	v_cmpx_ne_u32_e32 0x7f, v49
	s_cbranch_execz .LBB340_719
; %bb.716:                              ;   in Loop: Header=BB340_9 Depth=1
	v_and_b32_e32 v12, 7, v108
	s_mov_b32 s19, exec_lo
	s_delay_alu instid0(VALU_DEP_1)
	v_mov_b64_e32 v[24:25], v[12:13]
	v_lshrrev_b32_e32 v25, 3, v49
	v_cmpx_gt_u32_e32 8, v49
; %bb.717:                              ;   in Loop: Header=BB340_9 Depth=1
	v_clz_i32_u32_e32 v24, v12
	s_delay_alu instid0(VALU_DEP_1) | instskip(NEXT) | instid1(VALU_DEP_1)
	v_min_u32_e32 v49, 32, v24
	v_subrev_nc_u32_e32 v24, 28, v49
	s_delay_alu instid0(VALU_DEP_1) | instskip(NEXT) | instid1(VALU_DEP_1)
	v_lshlrev_b64_e32 v[24:25], v24, v[12:13]
	v_dual_sub_nc_u32 v25, 29, v49 :: v_dual_bitop2_b32 v24, 7, v24 bitop3:0x40
; %bb.718:                              ;   in Loop: Header=BB340_9 Depth=1
	s_or_b32 exec_lo, exec_lo, s19
	v_lshlrev_b32_e32 v12, 24, v108
	s_delay_alu instid0(VALU_DEP_2) | instskip(NEXT) | instid1(VALU_DEP_3)
	v_lshlrev_b32_e32 v24, 20, v24
	v_lshl_add_u32 v25, v25, 23, 0x3c000000
	s_delay_alu instid0(VALU_DEP_3) | instskip(NEXT) | instid1(VALU_DEP_1)
	v_and_b32_e32 v12, 0x80000000, v12
	v_or3_b32 v105, v24, v12, v25
.LBB340_719:                            ;   in Loop: Header=BB340_9 Depth=1
	s_or_b32 exec_lo, exec_lo, s18
.LBB340_720:                            ;   in Loop: Header=BB340_9 Depth=1
	s_delay_alu instid0(SALU_CYCLE_1)
	s_or_b32 exec_lo, exec_lo, s17
.LBB340_721:                            ;   in Loop: Header=BB340_9 Depth=1
	s_delay_alu instid0(SALU_CYCLE_1) | instskip(SKIP_2) | instid1(VALU_DEP_1)
	s_or_b32 exec_lo, exec_lo, s16
	v_lshrrev_b16 v12, 8, v108
	s_mov_b32 s16, exec_lo
	v_cmpx_ne_u16_e32 0, v12
	s_cbranch_execz .LBB340_729
; %bb.722:                              ;   in Loop: Header=BB340_9 Depth=1
	v_bfrev_b32_e32 v106, 1
	s_mov_b32 s17, exec_lo
	v_cmpx_ne_u16_e32 0x80, v12
	s_cbranch_execz .LBB340_728
; %bb.723:                              ;   in Loop: Header=BB340_9 Depth=1
	v_and_b32_e32 v12, 0xffff, v12
	v_mov_b32_e32 v106, 0x7f800001
	s_mov_b32 s18, exec_lo
	s_delay_alu instid0(VALU_DEP_2) | instskip(NEXT) | instid1(VALU_DEP_1)
	v_and_b32_e32 v49, 0x7f, v12
	v_cmpx_ne_u32_e32 0x7f, v49
	s_cbranch_execz .LBB340_727
; %bb.724:                              ;   in Loop: Header=BB340_9 Depth=1
	v_and_b32_e32 v12, 7, v12
	s_mov_b32 s19, exec_lo
	s_delay_alu instid0(VALU_DEP_1)
	v_mov_b64_e32 v[24:25], v[12:13]
	v_lshrrev_b32_e32 v25, 3, v49
	v_cmpx_gt_u32_e32 8, v49
; %bb.725:                              ;   in Loop: Header=BB340_9 Depth=1
	v_clz_i32_u32_e32 v24, v12
	s_delay_alu instid0(VALU_DEP_1) | instskip(NEXT) | instid1(VALU_DEP_1)
	v_min_u32_e32 v49, 32, v24
	v_subrev_nc_u32_e32 v24, 28, v49
	s_delay_alu instid0(VALU_DEP_1) | instskip(NEXT) | instid1(VALU_DEP_1)
	v_lshlrev_b64_e32 v[24:25], v24, v[12:13]
	v_dual_sub_nc_u32 v25, 29, v49 :: v_dual_bitop2_b32 v24, 7, v24 bitop3:0x40
; %bb.726:                              ;   in Loop: Header=BB340_9 Depth=1
	s_or_b32 exec_lo, exec_lo, s19
	v_lshlrev_b32_e32 v12, 16, v108
	s_delay_alu instid0(VALU_DEP_2) | instskip(NEXT) | instid1(VALU_DEP_3)
	v_lshlrev_b32_e32 v24, 20, v24
	v_lshl_add_u32 v25, v25, 23, 0x3c000000
	s_delay_alu instid0(VALU_DEP_3) | instskip(NEXT) | instid1(VALU_DEP_1)
	v_and_b32_e32 v12, 0x80000000, v12
	v_or3_b32 v106, v24, v12, v25
.LBB340_727:                            ;   in Loop: Header=BB340_9 Depth=1
	s_or_b32 exec_lo, exec_lo, s18
.LBB340_728:                            ;   in Loop: Header=BB340_9 Depth=1
	s_delay_alu instid0(SALU_CYCLE_1)
	s_or_b32 exec_lo, exec_lo, s17
.LBB340_729:                            ;   in Loop: Header=BB340_9 Depth=1
	s_delay_alu instid0(SALU_CYCLE_1) | instskip(SKIP_3) | instid1(VALU_DEP_2)
	s_or_b32 exec_lo, exec_lo, s16
	v_dual_lshrrev_b32 v109, 16, v108 :: v_dual_mov_b32 v49, 0
	v_mov_b32_e32 v107, 0
	s_mov_b32 s16, exec_lo
	v_and_b32_e32 v12, 0xff, v109
	s_delay_alu instid0(VALU_DEP_1)
	v_cmpx_ne_u16_e32 0, v12
	s_cbranch_execz .LBB340_737
; %bb.730:                              ;   in Loop: Header=BB340_9 Depth=1
	v_bfrev_b32_e32 v107, 1
	s_mov_b32 s17, exec_lo
	v_cmpx_ne_u16_e32 0x80, v12
	s_cbranch_execz .LBB340_736
; %bb.731:                              ;   in Loop: Header=BB340_9 Depth=1
	v_bfe_u32 v110, v108, 16, 7
	v_mov_b32_e32 v107, 0x7f800001
	s_mov_b32 s18, exec_lo
	s_delay_alu instid0(VALU_DEP_2)
	v_cmpx_ne_u32_e32 0x7f, v110
	s_cbranch_execz .LBB340_735
; %bb.732:                              ;   in Loop: Header=BB340_9 Depth=1
	v_and_b32_e32 v12, 7, v109
	s_mov_b32 s19, exec_lo
	s_delay_alu instid0(VALU_DEP_1)
	v_mov_b64_e32 v[24:25], v[12:13]
	v_lshrrev_b32_e32 v25, 3, v110
	v_cmpx_gt_u32_e32 8, v110
; %bb.733:                              ;   in Loop: Header=BB340_9 Depth=1
	v_clz_i32_u32_e32 v24, v12
	s_delay_alu instid0(VALU_DEP_1) | instskip(NEXT) | instid1(VALU_DEP_1)
	v_min_u32_e32 v107, 32, v24
	v_subrev_nc_u32_e32 v24, 28, v107
	s_delay_alu instid0(VALU_DEP_1) | instskip(NEXT) | instid1(VALU_DEP_1)
	v_lshlrev_b64_e32 v[24:25], v24, v[12:13]
	v_dual_sub_nc_u32 v25, 29, v107 :: v_dual_bitop2_b32 v24, 7, v24 bitop3:0x40
; %bb.734:                              ;   in Loop: Header=BB340_9 Depth=1
	s_or_b32 exec_lo, exec_lo, s19
	s_delay_alu instid0(VALU_DEP_1) | instskip(NEXT) | instid1(VALU_DEP_2)
	v_dual_lshlrev_b32 v12, 24, v109 :: v_dual_lshlrev_b32 v24, 20, v24
	v_lshl_add_u32 v25, v25, 23, 0x3c000000
	s_delay_alu instid0(VALU_DEP_2) | instskip(NEXT) | instid1(VALU_DEP_1)
	v_and_b32_e32 v12, 0x80000000, v12
	v_or3_b32 v107, v24, v12, v25
.LBB340_735:                            ;   in Loop: Header=BB340_9 Depth=1
	s_or_b32 exec_lo, exec_lo, s18
.LBB340_736:                            ;   in Loop: Header=BB340_9 Depth=1
	s_delay_alu instid0(SALU_CYCLE_1)
	s_or_b32 exec_lo, exec_lo, s17
.LBB340_737:                            ;   in Loop: Header=BB340_9 Depth=1
	s_delay_alu instid0(SALU_CYCLE_1) | instskip(NEXT) | instid1(SALU_CYCLE_1)
	s_or_b32 exec_lo, exec_lo, s16
	s_mov_b32 s16, exec_lo
	v_cmpx_lt_u32_e32 0xffffff, v108
	s_cbranch_execz .LBB340_745
; %bb.738:                              ;   in Loop: Header=BB340_9 Depth=1
	v_lshrrev_b32_e32 v109, 24, v108
	v_bfrev_b32_e32 v49, 1
	s_mov_b32 s17, exec_lo
	s_delay_alu instid0(VALU_DEP_2)
	v_cmpx_ne_u32_e32 0x80, v109
	s_cbranch_execz .LBB340_744
; %bb.739:                              ;   in Loop: Header=BB340_9 Depth=1
	v_bfe_u32 v108, v108, 24, 7
	v_mov_b32_e32 v49, 0x7f800001
	s_mov_b32 s18, exec_lo
	s_delay_alu instid0(VALU_DEP_2)
	v_cmpx_ne_u32_e32 0x7f, v108
	s_cbranch_execz .LBB340_743
; %bb.740:                              ;   in Loop: Header=BB340_9 Depth=1
	v_and_b32_e32 v12, 7, v109
	s_mov_b32 s19, exec_lo
	s_delay_alu instid0(VALU_DEP_1)
	v_mov_b64_e32 v[24:25], v[12:13]
	v_lshrrev_b32_e32 v25, 3, v108
	v_cmpx_gt_u32_e32 8, v108
; %bb.741:                              ;   in Loop: Header=BB340_9 Depth=1
	v_clz_i32_u32_e32 v24, v12
	s_delay_alu instid0(VALU_DEP_1) | instskip(NEXT) | instid1(VALU_DEP_1)
	v_min_u32_e32 v49, 32, v24
	v_subrev_nc_u32_e32 v24, 28, v49
	s_delay_alu instid0(VALU_DEP_1) | instskip(NEXT) | instid1(VALU_DEP_1)
	v_lshlrev_b64_e32 v[24:25], v24, v[12:13]
	v_dual_sub_nc_u32 v25, 29, v49 :: v_dual_bitop2_b32 v24, 7, v24 bitop3:0x40
; %bb.742:                              ;   in Loop: Header=BB340_9 Depth=1
	s_or_b32 exec_lo, exec_lo, s19
	s_delay_alu instid0(VALU_DEP_1) | instskip(NEXT) | instid1(VALU_DEP_2)
	v_dual_lshlrev_b32 v12, 24, v109 :: v_dual_lshlrev_b32 v24, 20, v24
	v_lshl_add_u32 v25, v25, 23, 0x3c000000
	s_delay_alu instid0(VALU_DEP_2) | instskip(NEXT) | instid1(VALU_DEP_1)
	v_and_b32_e32 v12, 0x80000000, v12
	v_or3_b32 v49, v24, v12, v25
.LBB340_743:                            ;   in Loop: Header=BB340_9 Depth=1
	s_or_b32 exec_lo, exec_lo, s18
.LBB340_744:                            ;   in Loop: Header=BB340_9 Depth=1
	s_delay_alu instid0(SALU_CYCLE_1)
	s_or_b32 exec_lo, exec_lo, s17
.LBB340_745:                            ;   in Loop: Header=BB340_9 Depth=1
	s_delay_alu instid0(SALU_CYCLE_1)
	s_or_b32 exec_lo, exec_lo, s16
	flat_load_b32 v110, v[16:17] offset:2824
	v_dual_mov_b32 v25, 0 :: v_dual_mov_b32 v24, 0
	s_mov_b32 s16, exec_lo
	s_wait_loadcnt_dscnt 0x0
	v_and_b32_e32 v12, 0xff, v110
	s_wait_xcnt 0x0
	s_delay_alu instid0(VALU_DEP_1)
	v_cmpx_ne_u16_e32 0, v12
	s_cbranch_execz .LBB340_753
; %bb.746:                              ;   in Loop: Header=BB340_9 Depth=1
	v_bfrev_b32_e32 v24, 1
	s_mov_b32 s17, exec_lo
	v_cmpx_ne_u16_e32 0x80, v12
	s_cbranch_execz .LBB340_752
; %bb.747:                              ;   in Loop: Header=BB340_9 Depth=1
	v_and_b32_e32 v108, 0x7f, v110
	v_mov_b32_e32 v24, 0x7f800001
	s_mov_b32 s18, exec_lo
	s_delay_alu instid0(VALU_DEP_2)
	v_cmpx_ne_u32_e32 0x7f, v108
	s_cbranch_execz .LBB340_751
; %bb.748:                              ;   in Loop: Header=BB340_9 Depth=1
	v_and_b32_e32 v12, 7, v110
	s_mov_b32 s19, exec_lo
	s_delay_alu instid0(VALU_DEP_1)
	v_mov_b64_e32 v[16:17], v[12:13]
	v_lshrrev_b32_e32 v17, 3, v108
	v_cmpx_gt_u32_e32 8, v108
; %bb.749:                              ;   in Loop: Header=BB340_9 Depth=1
	v_clz_i32_u32_e32 v16, v12
	s_delay_alu instid0(VALU_DEP_1) | instskip(NEXT) | instid1(VALU_DEP_1)
	v_min_u32_e32 v24, 32, v16
	v_subrev_nc_u32_e32 v16, 28, v24
	s_delay_alu instid0(VALU_DEP_1) | instskip(SKIP_1) | instid1(VALU_DEP_2)
	v_lshlrev_b64_e32 v[16:17], v16, v[12:13]
	v_sub_nc_u32_e32 v17, 29, v24
	v_and_b32_e32 v16, 7, v16
; %bb.750:                              ;   in Loop: Header=BB340_9 Depth=1
	s_or_b32 exec_lo, exec_lo, s19
	s_delay_alu instid0(VALU_DEP_1) | instskip(NEXT) | instid1(VALU_DEP_3)
	v_dual_lshlrev_b32 v12, 24, v110 :: v_dual_lshlrev_b32 v16, 20, v16
	v_lshl_add_u32 v17, v17, 23, 0x3c000000
	s_delay_alu instid0(VALU_DEP_2) | instskip(NEXT) | instid1(VALU_DEP_1)
	v_and_b32_e32 v12, 0x80000000, v12
	v_or3_b32 v24, v16, v12, v17
.LBB340_751:                            ;   in Loop: Header=BB340_9 Depth=1
	s_or_b32 exec_lo, exec_lo, s18
.LBB340_752:                            ;   in Loop: Header=BB340_9 Depth=1
	s_delay_alu instid0(SALU_CYCLE_1)
	s_or_b32 exec_lo, exec_lo, s17
.LBB340_753:                            ;   in Loop: Header=BB340_9 Depth=1
	s_delay_alu instid0(SALU_CYCLE_1) | instskip(SKIP_2) | instid1(VALU_DEP_1)
	s_or_b32 exec_lo, exec_lo, s16
	v_lshrrev_b16 v12, 8, v110
	s_mov_b32 s16, exec_lo
	v_cmpx_ne_u16_e32 0, v12
	s_cbranch_execz .LBB340_761
; %bb.754:                              ;   in Loop: Header=BB340_9 Depth=1
	v_bfrev_b32_e32 v25, 1
	s_mov_b32 s17, exec_lo
	v_cmpx_ne_u16_e32 0x80, v12
	s_cbranch_execz .LBB340_760
; %bb.755:                              ;   in Loop: Header=BB340_9 Depth=1
	v_and_b32_e32 v12, 0xffff, v12
	v_mov_b32_e32 v25, 0x7f800001
	s_mov_b32 s18, exec_lo
	s_delay_alu instid0(VALU_DEP_2) | instskip(NEXT) | instid1(VALU_DEP_1)
	v_and_b32_e32 v108, 0x7f, v12
	v_cmpx_ne_u32_e32 0x7f, v108
	s_cbranch_execz .LBB340_759
; %bb.756:                              ;   in Loop: Header=BB340_9 Depth=1
	v_and_b32_e32 v12, 7, v12
	s_mov_b32 s19, exec_lo
	s_delay_alu instid0(VALU_DEP_1)
	v_mov_b64_e32 v[16:17], v[12:13]
	v_lshrrev_b32_e32 v17, 3, v108
	v_cmpx_gt_u32_e32 8, v108
; %bb.757:                              ;   in Loop: Header=BB340_9 Depth=1
	v_clz_i32_u32_e32 v16, v12
	s_delay_alu instid0(VALU_DEP_1) | instskip(NEXT) | instid1(VALU_DEP_1)
	v_min_u32_e32 v25, 32, v16
	v_subrev_nc_u32_e32 v16, 28, v25
	s_delay_alu instid0(VALU_DEP_1) | instskip(NEXT) | instid1(VALU_DEP_1)
	v_lshlrev_b64_e32 v[16:17], v16, v[12:13]
	v_dual_sub_nc_u32 v17, 29, v25 :: v_dual_bitop2_b32 v16, 7, v16 bitop3:0x40
; %bb.758:                              ;   in Loop: Header=BB340_9 Depth=1
	s_or_b32 exec_lo, exec_lo, s19
	s_delay_alu instid0(VALU_DEP_1) | instskip(NEXT) | instid1(VALU_DEP_2)
	v_dual_lshlrev_b32 v12, 16, v110 :: v_dual_lshlrev_b32 v16, 20, v16
	v_lshl_add_u32 v17, v17, 23, 0x3c000000
	s_delay_alu instid0(VALU_DEP_2) | instskip(NEXT) | instid1(VALU_DEP_1)
	v_and_b32_e32 v12, 0x80000000, v12
	v_or3_b32 v25, v16, v12, v17
.LBB340_759:                            ;   in Loop: Header=BB340_9 Depth=1
	s_or_b32 exec_lo, exec_lo, s18
.LBB340_760:                            ;   in Loop: Header=BB340_9 Depth=1
	s_delay_alu instid0(SALU_CYCLE_1)
	s_or_b32 exec_lo, exec_lo, s17
.LBB340_761:                            ;   in Loop: Header=BB340_9 Depth=1
	s_delay_alu instid0(SALU_CYCLE_1) | instskip(SKIP_3) | instid1(VALU_DEP_2)
	s_or_b32 exec_lo, exec_lo, s16
	v_dual_mov_b32 v108, 0 :: v_dual_lshrrev_b32 v111, 16, v110
	v_mov_b32_e32 v109, 0
	s_mov_b32 s16, exec_lo
	v_and_b32_e32 v12, 0xff, v111
	s_delay_alu instid0(VALU_DEP_1)
	v_cmpx_ne_u16_e32 0, v12
	s_cbranch_execz .LBB340_769
; %bb.762:                              ;   in Loop: Header=BB340_9 Depth=1
	v_bfrev_b32_e32 v109, 1
	s_mov_b32 s17, exec_lo
	v_cmpx_ne_u16_e32 0x80, v12
	s_cbranch_execz .LBB340_768
; %bb.763:                              ;   in Loop: Header=BB340_9 Depth=1
	v_bfe_u32 v120, v110, 16, 7
	v_mov_b32_e32 v109, 0x7f800001
	s_mov_b32 s18, exec_lo
	s_delay_alu instid0(VALU_DEP_2)
	v_cmpx_ne_u32_e32 0x7f, v120
	s_cbranch_execz .LBB340_767
; %bb.764:                              ;   in Loop: Header=BB340_9 Depth=1
	v_and_b32_e32 v12, 7, v111
	s_mov_b32 s19, exec_lo
	s_delay_alu instid0(VALU_DEP_1)
	v_mov_b64_e32 v[16:17], v[12:13]
	v_lshrrev_b32_e32 v17, 3, v120
	v_cmpx_gt_u32_e32 8, v120
; %bb.765:                              ;   in Loop: Header=BB340_9 Depth=1
	v_clz_i32_u32_e32 v16, v12
	s_delay_alu instid0(VALU_DEP_1) | instskip(NEXT) | instid1(VALU_DEP_1)
	v_min_u32_e32 v109, 32, v16
	v_subrev_nc_u32_e32 v16, 28, v109
	s_delay_alu instid0(VALU_DEP_1) | instskip(NEXT) | instid1(VALU_DEP_1)
	v_lshlrev_b64_e32 v[16:17], v16, v[12:13]
	v_dual_sub_nc_u32 v17, 29, v109 :: v_dual_bitop2_b32 v16, 7, v16 bitop3:0x40
; %bb.766:                              ;   in Loop: Header=BB340_9 Depth=1
	s_or_b32 exec_lo, exec_lo, s19
	s_delay_alu instid0(VALU_DEP_1) | instskip(NEXT) | instid1(VALU_DEP_2)
	v_dual_lshlrev_b32 v12, 24, v111 :: v_dual_lshlrev_b32 v16, 20, v16
	v_lshl_add_u32 v17, v17, 23, 0x3c000000
	s_delay_alu instid0(VALU_DEP_2) | instskip(NEXT) | instid1(VALU_DEP_1)
	v_and_b32_e32 v12, 0x80000000, v12
	v_or3_b32 v109, v16, v12, v17
.LBB340_767:                            ;   in Loop: Header=BB340_9 Depth=1
	s_or_b32 exec_lo, exec_lo, s18
.LBB340_768:                            ;   in Loop: Header=BB340_9 Depth=1
	s_delay_alu instid0(SALU_CYCLE_1)
	s_or_b32 exec_lo, exec_lo, s17
.LBB340_769:                            ;   in Loop: Header=BB340_9 Depth=1
	s_delay_alu instid0(SALU_CYCLE_1) | instskip(NEXT) | instid1(SALU_CYCLE_1)
	s_or_b32 exec_lo, exec_lo, s16
	s_mov_b32 s16, exec_lo
	v_cmpx_lt_u32_e32 0xffffff, v110
	s_cbranch_execz .LBB340_777
; %bb.770:                              ;   in Loop: Header=BB340_9 Depth=1
	v_lshrrev_b32_e32 v111, 24, v110
	v_bfrev_b32_e32 v108, 1
	s_mov_b32 s17, exec_lo
	s_delay_alu instid0(VALU_DEP_2)
	v_cmpx_ne_u32_e32 0x80, v111
	s_cbranch_execz .LBB340_776
; %bb.771:                              ;   in Loop: Header=BB340_9 Depth=1
	v_bfe_u32 v110, v110, 24, 7
	v_mov_b32_e32 v108, 0x7f800001
	s_mov_b32 s18, exec_lo
	s_delay_alu instid0(VALU_DEP_2)
	v_cmpx_ne_u32_e32 0x7f, v110
	s_cbranch_execz .LBB340_775
; %bb.772:                              ;   in Loop: Header=BB340_9 Depth=1
	v_and_b32_e32 v12, 7, v111
	s_mov_b32 s19, exec_lo
	s_delay_alu instid0(VALU_DEP_1)
	v_mov_b64_e32 v[16:17], v[12:13]
	v_lshrrev_b32_e32 v17, 3, v110
	v_cmpx_gt_u32_e32 8, v110
; %bb.773:                              ;   in Loop: Header=BB340_9 Depth=1
	v_clz_i32_u32_e32 v16, v12
	s_delay_alu instid0(VALU_DEP_1) | instskip(NEXT) | instid1(VALU_DEP_1)
	v_min_u32_e32 v108, 32, v16
	v_subrev_nc_u32_e32 v16, 28, v108
	s_delay_alu instid0(VALU_DEP_1) | instskip(SKIP_1) | instid1(VALU_DEP_2)
	v_lshlrev_b64_e32 v[16:17], v16, v[12:13]
	v_sub_nc_u32_e32 v17, 29, v108
	v_and_b32_e32 v16, 7, v16
; %bb.774:                              ;   in Loop: Header=BB340_9 Depth=1
	s_or_b32 exec_lo, exec_lo, s19
	s_delay_alu instid0(VALU_DEP_1) | instskip(NEXT) | instid1(VALU_DEP_3)
	v_dual_lshlrev_b32 v12, 24, v111 :: v_dual_lshlrev_b32 v16, 20, v16
	v_lshl_add_u32 v17, v17, 23, 0x3c000000
	s_delay_alu instid0(VALU_DEP_2) | instskip(NEXT) | instid1(VALU_DEP_1)
	v_and_b32_e32 v12, 0x80000000, v12
	v_or3_b32 v108, v16, v12, v17
.LBB340_775:                            ;   in Loop: Header=BB340_9 Depth=1
	s_or_b32 exec_lo, exec_lo, s18
.LBB340_776:                            ;   in Loop: Header=BB340_9 Depth=1
	s_delay_alu instid0(SALU_CYCLE_1)
	s_or_b32 exec_lo, exec_lo, s17
.LBB340_777:                            ;   in Loop: Header=BB340_9 Depth=1
	s_delay_alu instid0(SALU_CYCLE_1)
	s_or_b32 exec_lo, exec_lo, s16
	scratch_load_b32 v16, off, s32 offset:212 ; 4-byte Folded Reload
	v_fma_mixlo_bf16 v12, v6, v29, 0
	v_fma_mixlo_bf16 v3, v6, v3, 0
	;; [unrolled: 1-line block ×5, first 2 shown]
	v_lshlrev_b32_e32 v12, 16, v12
	v_fma_mixlo_bf16 v9, v6, v9, 0
	v_fma_mixlo_bf16 v29, v6, v89, 0
	;; [unrolled: 1-line block ×3, first 2 shown]
	s_wait_loadcnt 0x0
	v_mul_f32_e32 v12, v16, v12
	scratch_load_b32 v16, off, s32 offset:196 ; 4-byte Folded Reload
	s_wait_loadcnt 0x0
	v_fma_mix_f32_bf16 v3, v16, v3, v12 op_sel_hi:[0,1,0]
	scratch_load_b32 v16, off, s32 offset:216 ; 4-byte Folded Reload
	v_fma_mixlo_bf16 v12, v6, v28, 0
	v_fma_mixlo_bf16 v28, v6, v90, 0
	s_delay_alu instid0(VALU_DEP_2) | instskip(SKIP_1) | instid1(VALU_DEP_1)
	v_lshlrev_b32_e32 v12, 16, v12
	s_wait_loadcnt 0x0
	v_mul_f32_e32 v12, v16, v12
	scratch_load_b32 v16, off, s32 offset:200 ; 4-byte Folded Reload
	s_wait_loadcnt 0x0
	v_fma_mix_f32_bf16 v2, v16, v2, v12 op_sel_hi:[0,1,0]
	scratch_load_b32 v16, off, s32 offset:220 ; 4-byte Folded Reload
	v_fma_mixlo_bf16 v12, v6, v37, 0
	scratch_load_b32 v37, off, s32 offset:516 ; 4-byte Folded Reload
	v_lshlrev_b32_e32 v12, 16, v12
	s_wait_loadcnt 0x1
	s_delay_alu instid0(VALU_DEP_1)
	v_mul_f32_e32 v12, v16, v12
	scratch_load_b32 v16, off, s32 offset:204 ; 4-byte Folded Reload
	s_wait_loadcnt 0x0
	v_fma_mix_f32_bf16 v11, v16, v11, v12 op_sel_hi:[0,1,0]
	scratch_load_b32 v16, off, s32 offset:224 ; 4-byte Folded Reload
	v_fma_mixlo_bf16 v12, v6, v74, 0
	s_delay_alu instid0(VALU_DEP_1) | instskip(SKIP_1) | instid1(VALU_DEP_1)
	v_lshlrev_b32_e32 v12, 16, v12
	s_wait_loadcnt 0x0
	v_mul_f32_e32 v12, v16, v12
	scratch_load_b32 v16, off, s32 offset:208 ; 4-byte Folded Reload
	s_wait_loadcnt 0x0
	v_fma_mix_f32_bf16 v10, v16, v10, v12 op_sel_hi:[0,1,0]
	scratch_load_b32 v12, off, s32 offset:236 ; 4-byte Folded Reload
	v_fma_mixlo_bf16 v16, v6, v107, 0
	s_wait_loadcnt 0x0
	v_fma_mix_f32_bf16 v3, v12, v9, v3 op_sel_hi:[0,1,0]
	scratch_load_b32 v12, off, s32 offset:252 ; 4-byte Folded Reload
	v_fma_mixlo_bf16 v9, v6, v32, 0
	v_fma_mixlo_bf16 v32, v6, v78, 0
	s_wait_loadcnt 0x0
	s_delay_alu instid0(VALU_DEP_2) | instskip(SKIP_4) | instid1(VALU_DEP_2)
	v_fma_mix_f32_bf16 v2, v12, v9, v2 op_sel_hi:[0,1,0]
	scratch_load_b32 v12, off, s32 offset:260 ; 4-byte Folded Reload
	v_fma_mixlo_bf16 v9, v6, v19, 0
	v_fma_mixlo_bf16 v19, v6, v105, 0
	s_wait_loadcnt 0x0
	v_fma_mix_f32_bf16 v9, v12, v9, v11 op_sel_hi:[0,1,0]
	scratch_load_b32 v12, off, s32 offset:264 ; 4-byte Folded Reload
	v_fma_mixlo_bf16 v11, v6, v26, 0
	v_fma_mixlo_bf16 v26, v6, v93, 0
	s_wait_loadcnt 0x0
	s_delay_alu instid0(VALU_DEP_2) | instskip(SKIP_4) | instid1(VALU_DEP_2)
	v_fma_mix_f32_bf16 v10, v12, v11, v10 op_sel_hi:[0,1,0]
	scratch_load_b32 v12, off, s32 offset:268 ; 4-byte Folded Reload
	v_fma_mixlo_bf16 v11, v6, v27, 0
	;; [unrolled: 11-line block ×4, first 2 shown]
	v_fma_mixlo_bf16 v35, v6, v75, 0
	s_wait_loadcnt 0x0
	v_fma_mix_f32_bf16 v3, v12, v11, v3 op_sel_hi:[0,1,0]
	scratch_load_b32 v12, off, s32 offset:288 ; 4-byte Folded Reload
	v_fma_mixlo_bf16 v11, v6, v34, 0
	v_fma_mixlo_bf16 v34, v6, v88, 0
	s_wait_loadcnt 0x0
	s_delay_alu instid0(VALU_DEP_2) | instskip(SKIP_3) | instid1(VALU_DEP_1)
	v_fma_mix_f32_bf16 v2, v12, v11, v2 op_sel_hi:[0,1,0]
	scratch_load_b32 v12, off, s32 offset:292 ; 4-byte Folded Reload
	v_fma_mixlo_bf16 v11, v6, v51, 0
	s_wait_loadcnt 0x0
	v_fma_mix_f32_bf16 v9, v12, v11, v9 op_sel_hi:[0,1,0]
	scratch_load_b32 v12, off, s32 offset:296 ; 4-byte Folded Reload
	v_fma_mixlo_bf16 v11, v6, v50, 0
	s_wait_loadcnt 0x0
	s_delay_alu instid0(VALU_DEP_1) | instskip(SKIP_3) | instid1(VALU_DEP_1)
	v_fma_mix_f32_bf16 v10, v12, v11, v10 op_sel_hi:[0,1,0]
	scratch_load_b32 v12, off, s32 offset:300 ; 4-byte Folded Reload
	v_fma_mixlo_bf16 v11, v6, v53, 0
	s_wait_loadcnt 0x0
	v_fma_mix_f32_bf16 v3, v12, v11, v3 op_sel_hi:[0,1,0]
	scratch_load_b32 v12, off, s32 offset:304 ; 4-byte Folded Reload
	v_fma_mixlo_bf16 v11, v6, v52, 0
	s_wait_loadcnt 0x0
	s_delay_alu instid0(VALU_DEP_1) | instskip(SKIP_3) | instid1(VALU_DEP_1)
	;; [unrolled: 9-line block ×26, first 2 shown]
	v_fma_mix_f32_bf16 v2, v12, v11, v2 op_sel_hi:[0,1,0]
	scratch_load_b32 v12, off, s32 offset:500 ; 4-byte Folded Reload
	v_fma_mixlo_bf16 v11, v6, v63, 0
	s_wait_loadcnt 0x0
	v_fma_mix_f32_bf16 v9, v12, v11, v9 op_sel_hi:[0,1,0]
	scratch_load_b32 v12, off, s32 offset:504 ; 4-byte Folded Reload
	v_fma_mixlo_bf16 v11, v6, v62, 0
	v_fma_mix_f32_bf16 v9, v37, v31, v9 op_sel_hi:[0,1,0]
	scratch_load_b32 v31, off, s32 offset:524 ; 4-byte Folded Reload
	s_wait_loadcnt 0x1
	v_fma_mix_f32_bf16 v10, v12, v11, v10 op_sel_hi:[0,1,0]
	scratch_load_b32 v12, off, s32 offset:508 ; 4-byte Folded Reload
	v_fma_mixlo_bf16 v11, v6, v73, 0
	s_wait_loadcnt 0x0
	s_delay_alu instid0(VALU_DEP_1)
	v_fma_mix_f32_bf16 v3, v12, v11, v3 op_sel_hi:[0,1,0]
	scratch_load_b32 v12, off, s32 offset:512 ; 4-byte Folded Reload
	v_fma_mixlo_bf16 v11, v6, v72, 0
	v_fma_mix_f32_bf16 v3, v31, v32, v3 op_sel_hi:[0,1,0]
	s_clause 0x1
	scratch_load_b32 v31, off, s32 offset:528
	scratch_load_b32 v32, off, s32 offset:520
	s_wait_loadcnt 0x2
	v_fma_mix_f32_bf16 v2, v12, v11, v2 op_sel_hi:[0,1,0]
	v_fma_mixlo_bf16 v11, v6, v25, 0
	v_fma_mixlo_bf16 v25, v6, v94, 0
	;; [unrolled: 1-line block ×4, first 2 shown]
	s_wait_loadcnt 0x1
	v_fma_mix_f32_bf16 v2, v31, v33, v2 op_sel_hi:[0,1,0]
	s_wait_loadcnt 0x0
	v_fma_mix_f32_bf16 v10, v32, v35, v10 op_sel_hi:[0,1,0]
	scratch_load_b32 v32, off, s32 offset:532 ; 4-byte Folded Reload
	v_fma_mixlo_bf16 v31, v6, v79, 0
	s_wait_loadcnt 0x0
	v_fma_mix_f32_bf16 v9, v32, v34, v9 op_sel_hi:[0,1,0]
	scratch_load_b32 v32, off, s32 offset:540 ; 4-byte Folded Reload
	s_wait_loadcnt 0x0
	v_fma_mix_f32_bf16 v3, v32, v29, v3 op_sel_hi:[0,1,0]
	scratch_load_b32 v29, off, s32 offset:544 ; 4-byte Folded Reload
	;; [unrolled: 3-line block ×3, first 2 shown]
	v_fma_mixlo_bf16 v28, v6, v91, 0
	v_fma_mix_f32_bf16 v2, v122, v25, v2 op_sel_hi:[0,1,0]
	v_fma_mixlo_bf16 v25, v6, v95, 0
	s_delay_alu instid0(VALU_DEP_2) | instskip(SKIP_2) | instid1(VALU_DEP_3)
	v_fma_mix_f32_bf16 v2, v126, v18, v2 op_sel_hi:[0,1,0]
	v_fma_mixlo_bf16 v18, v6, v109, 0
	v_fma_mixlo_bf16 v6, v6, v108, 0
	v_fma_mix_f32_bf16 v2, v0, v11, v2 op_sel_hi:[0,1,0]
	s_wait_loadcnt 0x0
	v_fma_mix_f32_bf16 v10, v29, v31, v10 op_sel_hi:[0,1,0]
	scratch_load_b32 v29, off, s32 offset:548 ; 4-byte Folded Reload
	s_wait_loadcnt 0x0
	v_fma_mix_f32_bf16 v9, v29, v27, v9 op_sel_hi:[0,1,0]
	scratch_load_b32 v27, off, s32 offset:556 ; 4-byte Folded Reload
	v_fma_mix_f32_bf16 v9, v123, v24, v9 op_sel_hi:[0,1,0]
	s_delay_alu instid0(VALU_DEP_1) | instskip(NEXT) | instid1(VALU_DEP_1)
	v_fma_mix_f32_bf16 v9, v127, v16, v9 op_sel_hi:[0,1,0]
	v_fma_mix_f32_bf16 v9, v38, v18, v9 op_sel_hi:[0,1,0]
	s_wait_loadcnt 0x0
	v_fma_mix_f32_bf16 v3, v27, v26, v3 op_sel_hi:[0,1,0]
	scratch_load_b32 v26, off, s32 offset:552 ; 4-byte Folded Reload
	v_fma_mix_f32_bf16 v3, v125, v19, v3 op_sel_hi:[0,1,0]
	s_delay_alu instid0(VALU_DEP_1) | instskip(NEXT) | instid1(VALU_DEP_1)
	v_fma_mix_f32_bf16 v3, v39, v12, v3 op_sel_hi:[0,1,0]
	v_add_f32_e32 v2, v3, v2
	s_delay_alu instid0(VALU_DEP_1) | instskip(SKIP_2) | instid1(VALU_DEP_1)
	v_add_f32_e32 v2, v2, v9
	s_wait_loadcnt 0x0
	v_fma_mix_f32_bf16 v10, v26, v28, v10 op_sel_hi:[0,1,0]
	v_fma_mix_f32_bf16 v10, v124, v25, v10 op_sel_hi:[0,1,0]
	s_delay_alu instid0(VALU_DEP_1) | instskip(NEXT) | instid1(VALU_DEP_1)
	v_fma_mix_f32_bf16 v10, v36, v17, v10 op_sel_hi:[0,1,0]
	v_fma_mix_f32_bf16 v3, v8, v6, v10 op_sel_hi:[0,1,0]
	s_delay_alu instid0(VALU_DEP_1)
	v_add_f32_e32 v2, v3, v2
	ds_bpermute_b32 v3, v30, v2
	s_wait_xcnt 0x0
	s_and_saveexec_b32 s16, vcc_lo
	s_cbranch_execz .LBB340_8
; %bb.778:                              ;   in Loop: Header=BB340_9 Depth=1
	scratch_load_b32 v9, off, s32 offset:560 ; 4-byte Folded Reload
	s_wait_dscnt 0x0
	v_dual_sub_nc_u32 v6, 1, v48 :: v_dual_add_f32 v2, v2, v3
	s_load_b32 s17, s[10:11], 0x0
	v_cmp_lt_i32_e64 s2, v7, v48
	s_delay_alu instid0(VALU_DEP_2) | instskip(NEXT) | instid1(VALU_DEP_1)
	v_add_nc_u32_e32 v6, v6, v7
	v_cvt_f32_i32_e32 v6, v6
	s_wait_loadcnt 0x0
	s_delay_alu instid0(VALU_DEP_1) | instskip(NEXT) | instid1(VALU_DEP_1)
	v_mul_f32_e32 v6, v9, v6
	v_cndmask_b32_e64 v3, 0, v6, s1
	s_delay_alu instid0(VALU_DEP_1) | instskip(SKIP_2) | instid1(VALU_DEP_1)
	v_fmac_f32_e32 v3, v121, v2
	s_wait_kmcnt 0x0
	v_dual_max_num_f32 v2, v1, v1 :: v_dual_add_nc_u32 v6, s17, v22
	v_dual_max_num_f32 v2, v2, v3 :: v_dual_cndmask_b32 v3, 0, v3, s2
	s_delay_alu instid0(VALU_DEP_1)
	v_cndmask_b32_e64 v1, v1, v2, s2
	ds_store_b32 v6, v3
	s_branch .LBB340_8
.LBB340_779:
	s_or_b32 exec_lo, exec_lo, s7
	s_clause 0x3
	scratch_load_b32 v18, off, s32 offset:564
	scratch_load_b64 v[22:23], off, s32 offset:604
	scratch_load_b64 v[28:29], off, s32 offset:612
	;; [unrolled: 1-line block ×3, first 2 shown]
	s_wait_loadcnt 0x0
	s_clause 0x2
	scratch_load_b32 v33, off, s32 offset:628
	scratch_load_b64 v[34:35], off, s32 offset:632
	scratch_load_b32 v37, off, s32 offset:640
	v_dual_mov_b32 v0, v13 :: v_dual_mov_b32 v10, 32
.LBB340_780:
	s_wait_xcnt 0x0
	s_or_b32 exec_lo, exec_lo, s3
	s_wait_loadcnt 0x0
	v_xor_b32_e32 v4, 8, v37
	v_xor_b32_e32 v2, 16, v37
	v_and_b32_e32 v30, 31, v18
	s_delay_alu instid0(VALU_DEP_2) | instskip(SKIP_2) | instid1(VALU_DEP_2)
	v_cmp_lt_i32_e32 vcc_lo, v2, v10
	v_cndmask_b32_e32 v2, v37, v2, vcc_lo
	v_cmp_lt_i32_e32 vcc_lo, v4, v10
	v_dual_lshlrev_b32 v2, 2, v2 :: v_dual_cndmask_b32 v4, v37, v4, vcc_lo
	s_wait_dscnt 0x0
	ds_bpermute_b32 v3, v2, v1
	s_wait_dscnt 0x0
	v_dual_max_num_f32 v1, v1, v1 :: v_dual_max_num_f32 v5, v3, v3
	s_delay_alu instid0(VALU_DEP_1) | instskip(SKIP_3) | instid1(VALU_DEP_1)
	v_dual_lshlrev_b32 v3, 2, v4 :: v_dual_max_num_f32 v1, v1, v5
	ds_bpermute_b32 v4, v3, v1
	s_wait_dscnt 0x0
	v_dual_max_num_f32 v6, v4, v4 :: v_dual_bitop2_b32 v5, 4, v37 bitop3:0x14
	v_cmp_lt_i32_e32 vcc_lo, v5, v10
	s_delay_alu instid0(VALU_DEP_2) | instskip(SKIP_1) | instid1(VALU_DEP_2)
	v_dual_max_num_f32 v1, v1, v6 :: v_dual_bitop2_b32 v6, 2, v37 bitop3:0x14
	v_cndmask_b32_e32 v5, v37, v5, vcc_lo
	v_cmp_lt_i32_e32 vcc_lo, v6, v10
	s_delay_alu instid0(VALU_DEP_2) | instskip(SKIP_4) | instid1(VALU_DEP_1)
	v_dual_cndmask_b32 v7, v37, v6 :: v_dual_lshlrev_b32 v4, 2, v5
	v_cmp_eq_u32_e32 vcc_lo, 0, v30
	ds_bpermute_b32 v5, v4, v1
	s_wait_dscnt 0x0
	v_max_num_f32_e32 v5, v5, v5
	v_max_num_f32_e32 v6, v1, v5
	scratch_load_b32 v5, off, s32 offset:568 ; 4-byte Folded Reload
	v_lshlrev_b32_e32 v1, 2, v7
	ds_bpermute_b32 v7, v1, v6
	s_wait_loadcnt 0x0
	v_lshlrev_b32_e32 v5, 2, v5
	s_wait_xcnt 0x0
	s_and_saveexec_b32 s1, vcc_lo
	s_cbranch_execz .LBB340_782
; %bb.781:
	s_wait_dscnt 0x0
	v_dual_max_num_f32 v7, v7, v7 :: v_dual_max_num_f32 v6, v6, v6
	s_delay_alu instid0(VALU_DEP_1)
	v_max_num_f32_e32 v6, v6, v7
	ds_store_b32 v5, v6 offset:384
.LBB340_782:
	s_or_b32 exec_lo, exec_lo, s1
	v_cmp_gt_u32_e64 s1, 4, v30
	s_wait_dscnt 0x0
	v_dual_mov_b32 v7, 0xff7fffff :: v_dual_lshlrev_b32 v6, 2, v30
	s_wait_storecnt 0x0
	s_barrier_signal -1
	s_barrier_wait -1
	s_and_saveexec_b32 s2, s1
; %bb.783:
	ds_load_b32 v7, v6 offset:384
; %bb.784:
	s_or_b32 exec_lo, exec_lo, s2
	s_wait_dscnt 0x0
	ds_bpermute_b32 v8, v1, v7
	v_dual_max_num_f32 v7, v7, v7 :: v_dual_bitop2_b32 v9, 1, v37 bitop3:0x14
	v_lshlrev_b32_e32 v0, 2, v0
	s_delay_alu instid0(VALU_DEP_2) | instskip(SKIP_1) | instid1(VALU_DEP_1)
	v_cmp_lt_i32_e64 s2, v9, v10
	s_wait_dscnt 0x0
	v_dual_cndmask_b32 v9, v37, v9, s2 :: v_dual_max_num_f32 v8, v8, v8
	s_delay_alu instid0(VALU_DEP_1) | instskip(SKIP_3) | instid1(VALU_DEP_1)
	v_dual_lshlrev_b32 v31, 2, v9 :: v_dual_max_num_f32 v7, v7, v8
	ds_bpermute_b32 v8, v31, v7
	s_wait_dscnt 0x0
	v_max_num_f32_e32 v8, v8, v8
	v_dual_max_num_f32 v7, v7, v8 :: v_dual_mov_b32 v8, 0
	ds_bpermute_b32 v7, v0, v7
	scratch_load_b32 v0, off, s32 offset:192 ; 4-byte Folded Reload
	s_wait_loadcnt 0x0
	v_lshlrev_b32_e32 v0, 4, v0
	s_delay_alu instid0(VALU_DEP_1) | instskip(NEXT) | instid1(VALU_DEP_1)
	v_min_i32_e32 v0, v0, v48
	v_cmp_lt_i32_e64 s2, v18, v0
	s_and_saveexec_b32 s10, s2
	s_cbranch_execz .LBB340_788
; %bb.785:
	s_ashr_i32 s7, s6, 31
	v_dual_mov_b32 v8, 0 :: v_dual_mov_b32 v10, v18
	s_lshl_b64 s[16:17], s[6:7], 2
	s_mov_b32 s7, 0
	s_add_nc_u64 s[16:17], s[8:9], s[16:17]
	s_load_b32 s3, s[16:17], 0x0
	s_wait_kmcnt 0x0
	v_lshl_add_u32 v9, v18, 2, s3
.LBB340_786:                            ; =>This Inner Loop Header: Depth=1
	ds_load_b32 v11, v9
	v_add_nc_u32_e32 v10, 0x80, v10
	s_delay_alu instid0(VALU_DEP_1) | instskip(SKIP_3) | instid1(VALU_DEP_1)
	v_cmp_ge_i32_e64 s3, v10, v0
	s_or_b32 s7, s3, s7
	s_wait_dscnt 0x0
	v_sub_f32_e32 v11, v11, v7
	v_mul_f32_e32 v11, 0x3fb8aa3b, v11
	s_delay_alu instid0(VALU_DEP_1)
	v_exp_f32_e32 v11, v11
	ds_store_b32 v9, v11
	v_nop
	v_dual_add_f32 v8, v8, v11 :: v_dual_add_nc_u32 v9, 0x200, v9
	s_and_not1_b32 exec_lo, exec_lo, s7
	s_cbranch_execnz .LBB340_786
; %bb.787:
	s_or_b32 exec_lo, exec_lo, s7
.LBB340_788:
	s_delay_alu instid0(SALU_CYCLE_1)
	s_or_b32 exec_lo, exec_lo, s10
	ds_bpermute_b32 v2, v2, v8
	s_wait_dscnt 0x0
	v_add_f32_e32 v2, v8, v2
	ds_bpermute_b32 v3, v3, v2
	s_wait_dscnt 0x0
	v_add_f32_e32 v2, v2, v3
	;; [unrolled: 3-line block ×5, first 2 shown]
	s_and_saveexec_b32 s3, vcc_lo
; %bb.789:
	ds_store_b32 v5, v2 offset:400
; %bb.790:
	s_or_b32 exec_lo, exec_lo, s3
	s_wait_dscnt 0x0
	s_barrier_signal -1
	s_barrier_wait -1
	s_and_saveexec_b32 s3, s1
; %bb.791:
	ds_load_b32 v2, v6 offset:400
; %bb.792:
	s_or_b32 exec_lo, exec_lo, s3
	s_wait_dscnt 0x0
	ds_bpermute_b32 v1, v1, v2
	s_wait_dscnt 0x0
	v_add_f32_e32 v1, v2, v1
	ds_bpermute_b32 v2, v31, v1
	s_wait_dscnt 0x0
	v_dual_lshlrev_b32 v3, 2, v37 :: v_dual_add_f32 v1, v1, v2
	s_delay_alu instid0(VALU_DEP_1)
	v_and_b32_e32 v2, 0xffffff80, v3
	ds_bpermute_b32 v1, v2, v1
	s_and_saveexec_b32 s1, s2
	s_cbranch_execz .LBB340_805
; %bb.793:
	s_wait_dscnt 0x0
	v_add_f32_e32 v1, 0x358637bd, v1
	s_mov_b32 s3, -1
	s_mov_b32 s2, exec_lo
	s_delay_alu instid0(VALU_DEP_1) | instskip(SKIP_1) | instid1(VALU_DEP_2)
	v_div_scale_f32 v2, null, v1, v1, 1.0
	v_div_scale_f32 v5, vcc_lo, 1.0, v1, 1.0
	v_rcp_f32_e32 v3, v2
	v_nop
	s_delay_alu instid0(TRANS32_DEP_1) | instskip(NEXT) | instid1(VALU_DEP_1)
	v_fma_f32 v4, -v2, v3, 1.0
	v_fmac_f32_e32 v3, v4, v3
	s_delay_alu instid0(VALU_DEP_1) | instskip(NEXT) | instid1(VALU_DEP_1)
	v_mul_f32_e32 v4, v5, v3
	v_fma_f32 v6, -v2, v4, v5
	s_delay_alu instid0(VALU_DEP_1) | instskip(NEXT) | instid1(VALU_DEP_1)
	v_fmac_f32_e32 v4, v6, v3
	v_fma_f32 v5, -v2, v4, v5
	v_xad_u32 v2, v18, -1, v0
	s_delay_alu instid0(VALU_DEP_2) | instskip(NEXT) | instid1(VALU_DEP_1)
	v_div_fmas_f32 v3, v5, v3, v4
	v_div_fixup_f32 v4, v3, v1, 1.0
	v_mov_b32_e32 v1, v18
	s_delay_alu instid0(VALU_DEP_4)
	v_cmpx_lt_u32_e32 0x7f, v2
	s_cbranch_execz .LBB340_802
; %bb.794:
	s_delay_alu instid0(VALU_DEP_3) | instskip(NEXT) | instid1(VALU_DEP_1)
	v_dual_lshrrev_b32 v1, 7, v2 :: v_dual_mov_b32 v5, v4
	v_dual_mov_b32 v7, 0 :: v_dual_add_nc_u32 v2, -1, v1
	s_delay_alu instid0(VALU_DEP_1) | instskip(SKIP_1) | instid1(VALU_DEP_2)
	v_lshrrev_b32_e32 v3, 1, v2
	v_cmp_lt_u32_e32 vcc_lo, 13, v2
	v_add_nc_u32_e32 v2, 1, v3
	s_and_saveexec_b32 s3, vcc_lo
	s_cbranch_execz .LBB340_798
; %bb.795:
	s_ashr_i32 s7, s6, 31
	s_delay_alu instid0(VALU_DEP_1) | instskip(SKIP_1) | instid1(SALU_CYCLE_1)
	v_and_b32_e32 v3, -8, v2
	s_lshl_b64 s[10:11], s[6:7], 2
	s_add_nc_u64 s[10:11], s[8:9], s[10:11]
	s_load_b32 s7, s[10:11], 0x0
	s_wait_xcnt 0x0
	s_mov_b32 s10, 0
	s_wait_kmcnt 0x0
	v_lshl_add_u32 v6, v18, 2, s7
	s_mov_b32 s7, 0
.LBB340_796:                            ; =>This Inner Loop Header: Depth=1
	ds_load_2addr_stride64_b32 v[8:9], v6 offset1:2
	ds_load_2addr_stride64_b32 v[10:11], v6 offset0:4 offset1:6
	ds_load_2addr_stride64_b32 v[12:13], v6 offset0:8 offset1:10
	;; [unrolled: 1-line block ×7, first 2 shown]
	s_add_co_i32 s10, s10, 16
	s_delay_alu instid0(SALU_CYCLE_1) | instskip(NEXT) | instid1(VALU_DEP_1)
	v_dual_add_nc_u32 v3, -8, v3 :: v_dual_mov_b32 v7, s10
	v_cmp_eq_u32_e32 vcc_lo, 0, v3
	s_or_b32 s7, vcc_lo, s7
	s_wait_dscnt 0x7
	v_pk_mul_f32 v[8:9], v[4:5], v[8:9]
	s_wait_dscnt 0x6
	v_pk_mul_f32 v[10:11], v[4:5], v[10:11]
	;; [unrolled: 2-line block ×8, first 2 shown]
	ds_store_2addr_stride64_b32 v6, v8, v9 offset1:2
	ds_store_2addr_stride64_b32 v6, v10, v11 offset0:4 offset1:6
	ds_store_2addr_stride64_b32 v6, v12, v13 offset0:8 offset1:10
	;; [unrolled: 1-line block ×7, first 2 shown]
	v_add_nc_u32_e32 v6, 0x2000, v6
	s_and_not1_b32 exec_lo, exec_lo, s7
	s_cbranch_execnz .LBB340_796
; %bb.797:
	s_or_b32 exec_lo, exec_lo, s7
	scratch_load_b32 v18, off, s32 offset:564 ; 4-byte Folded Reload
.LBB340_798:
	s_wait_xcnt 0x0
	s_or_b32 exec_lo, exec_lo, s3
	v_and_b32_e32 v2, 7, v2
	s_mov_b32 s10, 0
	s_mov_b32 s3, exec_lo
	s_delay_alu instid0(VALU_DEP_1)
	v_cmpx_ne_u32_e32 0, v2
	s_cbranch_execz .LBB340_801
; %bb.799:
	s_ashr_i32 s7, s6, 31
	s_wait_loadcnt 0x0
	v_dual_lshlrev_b32 v3, 9, v7 :: v_dual_lshlrev_b32 v6, 2, v18
	s_lshl_b64 s[16:17], s[6:7], 2
	s_delay_alu instid0(SALU_CYCLE_1)
	s_add_nc_u64 s[16:17], s[8:9], s[16:17]
	s_load_b32 s7, s[16:17], 0x0
	s_wait_kmcnt 0x0
	v_add3_u32 v3, v3, v6, s7
.LBB340_800:                            ; =>This Inner Loop Header: Depth=1
	ds_load_2addr_stride64_b32 v[6:7], v3 offset1:2
	v_add_nc_u32_e32 v2, -1, v2
	s_delay_alu instid0(VALU_DEP_1)
	v_cmp_eq_u32_e32 vcc_lo, 0, v2
	s_or_b32 s10, vcc_lo, s10
	s_wait_dscnt 0x0
	v_pk_mul_f32 v[6:7], v[4:5], v[6:7]
	ds_store_2addr_stride64_b32 v3, v6, v7 offset1:2
	v_add_nc_u32_e32 v3, 0x400, v3
	s_and_not1_b32 exec_lo, exec_lo, s10
	s_cbranch_execnz .LBB340_800
.LBB340_801:
	s_or_b32 exec_lo, exec_lo, s3
	v_add_nc_u32_e32 v1, 1, v1
	s_delay_alu instid0(VALU_DEP_1) | instskip(NEXT) | instid1(VALU_DEP_1)
	v_and_b32_e32 v2, 0x3fffffe, v1
	v_cmp_ne_u32_e32 vcc_lo, v1, v2
	s_wait_loadcnt 0x0
	v_lshl_add_u32 v1, v2, 7, v18
	s_or_not1_b32 s3, vcc_lo, exec_lo
.LBB340_802:
	s_or_b32 exec_lo, exec_lo, s2
	s_delay_alu instid0(SALU_CYCLE_1)
	s_and_b32 exec_lo, exec_lo, s3
	s_cbranch_execz .LBB340_805
; %bb.803:
	s_ashr_i32 s7, s6, 31
	s_delay_alu instid0(SALU_CYCLE_1) | instskip(NEXT) | instid1(SALU_CYCLE_1)
	s_lshl_b64 s[2:3], s[6:7], 2
	s_add_nc_u64 s[2:3], s[8:9], s[2:3]
	s_load_b32 s2, s[2:3], 0x0
	s_wait_kmcnt 0x0
	v_lshl_add_u32 v2, v1, 2, s2
	s_mov_b32 s2, 0
.LBB340_804:                            ; =>This Inner Loop Header: Depth=1
	ds_load_b32 v3, v2
	v_add_nc_u32_e32 v1, 0x80, v1
	s_delay_alu instid0(VALU_DEP_1)
	v_cmp_ge_i32_e32 vcc_lo, v1, v0
	s_or_b32 s2, vcc_lo, s2
	s_wait_dscnt 0x0
	v_mul_f32_e32 v3, v4, v3
	ds_store_b32 v2, v3
	v_add_nc_u32_e32 v2, 0x200, v2
	s_and_not1_b32 exec_lo, exec_lo, s2
	s_cbranch_execnz .LBB340_804
.LBB340_805:
	s_or_b32 exec_lo, exec_lo, s1
	s_wait_dscnt 0x0
	s_barrier_signal -1
	s_barrier_wait -1
	s_and_saveexec_b32 s1, s0
	s_delay_alu instid0(SALU_CYCLE_1)
	s_xor_b32 s0, exec_lo, s1
	s_cbranch_execz .LBB340_807
; %bb.806:
                                        ; implicit-def: $vgpr0
	s_ashr_i32 s7, s6, 31
                                        ; kill: killed $vgpr0
                                        ; implicit-def: $vgpr0
	scratch_store_b64 off, v[0:1], s32 offset:228 ; 8-byte Folded Spill
                                        ; implicit-def: $vgpr0_vgpr1
                                        ; implicit-def: $vgpr48
                                        ; kill: killed $vgpr0_vgpr1
                                        ; implicit-def: $vgpr22_vgpr23
                                        ; implicit-def: $vgpr28_vgpr29
                                        ; implicit-def: $vgpr34
                                        ; implicit-def: $vgpr33
                                        ; implicit-def: $vgpr32
                                        ; implicit-def: $vgpr0_vgpr1
                                        ; kill: killed $vgpr0_vgpr1
.LBB340_807:
	s_wait_xcnt 0x0
	s_or_saveexec_b32 s1, s0
	v_mov_b32_e32 v13, 0
	v_mov_b64_e32 v[4:5], s[6:7]
	s_delay_alu instid0(VALU_DEP_2)
	v_dual_mov_b32 v12, v13 :: v_dual_mov_b32 v15, v13
	v_dual_mov_b32 v14, v13 :: v_dual_mov_b32 v17, v13
	;; [unrolled: 1-line block ×5, first 2 shown]
	v_mov_b32_e32 v26, v13
	s_xor_b32 exec_lo, exec_lo, s1
	s_cbranch_execz .LBB340_1603
; %bb.808:
	v_add_nc_u64_e32 v[0:1], v[28:29], v[34:35]
	s_clause 0x1
	scratch_store_b32 off, v31, s32 offset:264
	scratch_store_b32 off, v30, s32 offset:260
	flat_load_b32 v51, v[22:23]
	s_wait_xcnt 0x0
	v_and_b32_e32 v22, 0xf8, v32
	s_clause 0x2
	scratch_load_b32 v2, off, s32 offset:564
	scratch_load_b32 v54, off, s32 offset:568
	scratch_load_b64 v[6:7], off, s32 offset:580 th:TH_LOAD_LU
	v_mov_b32_e32 v23, 0
	s_ashr_i32 s7, s6, 31
	v_dual_mov_b32 v15, 0 :: v_dual_mov_b32 v14, 0
	s_lshl_b64 s[2:3], s[6:7], 2
	s_delay_alu instid0(VALU_DEP_2)
	v_add_nc_u64_e32 v[0:1], v[0:1], v[22:23]
	s_add_nc_u64 s[2:3], s[8:9], s[2:3]
	v_and_b32_e32 v22, 0x7c, v33
	s_load_b32 s0, s[2:3], 0x0
	v_dual_mov_b32 v17, 0 :: v_dual_mov_b32 v16, 0
	v_dual_mov_b32 v21, 0 :: v_dual_mov_b32 v20, 0
	s_clause 0x1
	scratch_store_b64 off, v[0:1], s32 offset:252
	scratch_load_b64 v[0:1], off, s32 offset:588 th:TH_LOAD_LU
	v_dual_mov_b32 v25, 0 :: v_dual_mov_b32 v24, 0
	v_dual_mov_b32 v27, 0 :: v_dual_mov_b32 v26, 0
	s_mov_b64 s[2:3], 0xffffffffffffff
	s_mov_b32 s10, 0
	v_dual_mov_b32 v13, 0 :: v_dual_bitop2_b32 v3, 8, v32 bitop3:0x40
	s_wait_loadcnt 0x3
	v_dual_mov_b32 v12, 0 :: v_dual_bitop2_b32 v2, 1, v2 bitop3:0x40
	s_wait_loadcnt 0x2
	v_lshlrev_b32_e32 v4, 4, v54
	s_delay_alu instid0(VALU_DEP_2) | instskip(NEXT) | instid1(VALU_DEP_2)
	v_lshlrev_b32_e32 v2, 5, v2
	v_or3_b32 v52, v4, v3, 7
	s_delay_alu instid0(VALU_DEP_2) | instskip(SKIP_1) | instid1(VALU_DEP_1)
	v_lshl_or_b32 v2, v54, 6, v2
	s_wait_kmcnt 0x0
	v_add_nc_u32_e32 v53, s0, v2
	s_wait_loadcnt 0x0
	v_lshl_add_u64 v[0:1], v[0:1], 2, v[22:23]
	s_delay_alu instid0(VALU_DEP_1)
	v_add_nc_u64_e32 v[10:11], v[6:7], v[0:1]
	s_branch .LBB340_810
.LBB340_809:                            ;   in Loop: Header=BB340_810 Depth=1
	s_or_b32 exec_lo, exec_lo, s0
	scratch_load_b128 v[2:5], off, s32 offset:236 th:TH_LOAD_LU ; 16-byte Folded Reload
	v_cvt_pk_bf16_f32 v7, v6, v7
	v_cvt_pk_bf16_f32 v6, v8, v9
	v_perm_b32 v8, v50, v19, 0x5040100
	v_perm_b32 v1, v38, v1, 0x5040100
	;; [unrolled: 1-line block ×3, first 2 shown]
	v_add_nc_u64_e32 v[10:11], 16, v[10:11]
	v_add_nc_u32_e32 v52, 64, v52
	v_add_nc_u32_e32 v53, 0x100, v53
	;; [unrolled: 1-line block ×3, first 2 shown]
	s_wait_loadcnt 0x0
	v_cvt_pk_bf16_f32 v3, v2, v3
	v_cvt_pk_bf16_f32 v2, v4, v5
	v_perm_b32 v4, v64, v65, 0x5040100
	v_perm_b32 v5, v49, v55, 0x5040100
	s_delay_alu instid0(VALU_DEP_4) | instskip(NEXT) | instid1(VALU_DEP_4)
	v_pk_mul_bf16 v8, v3, v8
	v_pk_mul_bf16 v1, v2, v1
	s_delay_alu instid0(VALU_DEP_4) | instskip(NEXT) | instid1(VALU_DEP_4)
	v_pk_mul_bf16 v4, v7, v4
	v_pk_mul_bf16 v5, v6, v5
	;; [unrolled: 1-line block ×3, first 2 shown]
	s_delay_alu instid0(VALU_DEP_3) | instskip(SKIP_1) | instid1(VALU_DEP_1)
	v_lshlrev_b32_e32 v19, 16, v4
	v_and_b32_e32 v4, 0xffff0000, v4
	v_dual_add_f32 v4, v19, v4 :: v_dual_lshlrev_b32 v19, 16, v5
	v_and_b32_e32 v5, 0xffff0000, v5
	s_delay_alu instid0(VALU_DEP_1) | instskip(NEXT) | instid1(VALU_DEP_1)
	v_add_f32_e32 v5, v19, v5
	v_dual_add_f32 v4, v4, v5 :: v_dual_lshlrev_b32 v5, 16, v8
	v_and_b32_e32 v8, 0xffff0000, v8
	s_delay_alu instid0(VALU_DEP_1) | instskip(SKIP_1) | instid1(VALU_DEP_2)
	v_add_f32_e32 v5, v5, v8
	v_and_b32_e32 v8, 0xffff0000, v9
	v_add_f32_e32 v4, v4, v5
	v_lshlrev_b32_e32 v5, 16, v9
	v_perm_b32 v9, v122, v121, 0x5040100
	s_delay_alu instid0(VALU_DEP_2) | instskip(SKIP_1) | instid1(VALU_DEP_3)
	v_add_f32_e32 v5, v5, v8
	v_perm_b32 v8, v111, v120, 0x5040100
	v_pk_mul_bf16 v9, v2, v9
	s_delay_alu instid0(VALU_DEP_3) | instskip(SKIP_1) | instid1(VALU_DEP_4)
	v_add_f32_e32 v4, v4, v5
	v_perm_b32 v5, v123, v124, 0x5040100
	v_pk_mul_bf16 v8, v3, v8
	s_delay_alu instid0(VALU_DEP_3) | instskip(SKIP_1) | instid1(VALU_DEP_4)
	v_add_f32_e32 v12, v12, v4
	v_perm_b32 v4, v125, v126, 0x5040100
	v_pk_mul_bf16 v5, v6, v5
	s_delay_alu instid0(VALU_DEP_2) | instskip(NEXT) | instid1(VALU_DEP_1)
	v_pk_mul_bf16 v4, v7, v4
	v_lshlrev_b32_e32 v19, 16, v4
	v_and_b32_e32 v4, 0xffff0000, v4
	s_delay_alu instid0(VALU_DEP_1) | instskip(SKIP_1) | instid1(VALU_DEP_1)
	v_dual_add_f32 v4, v19, v4 :: v_dual_lshlrev_b32 v19, 16, v5
	v_and_b32_e32 v5, 0xffff0000, v5
	v_add_f32_e32 v5, v19, v5
	s_delay_alu instid0(VALU_DEP_1) | instskip(SKIP_1) | instid1(VALU_DEP_1)
	v_dual_add_f32 v4, v4, v5 :: v_dual_lshlrev_b32 v5, 16, v8
	v_and_b32_e32 v8, 0xffff0000, v8
	v_add_f32_e32 v5, v5, v8
	v_and_b32_e32 v8, 0xffff0000, v9
	s_delay_alu instid0(VALU_DEP_2) | instskip(SKIP_2) | instid1(VALU_DEP_2)
	v_add_f32_e32 v4, v4, v5
	v_lshlrev_b32_e32 v5, 16, v9
	v_perm_b32 v9, v106, v105, 0x5040100
	v_add_f32_e32 v5, v5, v8
	v_perm_b32 v8, v95, v104, 0x5040100
	s_delay_alu instid0(VALU_DEP_3) | instskip(NEXT) | instid1(VALU_DEP_3)
	v_pk_mul_bf16 v9, v2, v9
	v_add_f32_e32 v4, v4, v5
	v_perm_b32 v5, v107, v108, 0x5040100
	s_delay_alu instid0(VALU_DEP_4) | instskip(NEXT) | instid1(VALU_DEP_3)
	v_pk_mul_bf16 v8, v3, v8
	v_add_f32_e32 v15, v15, v4
	v_perm_b32 v4, v109, v110, 0x5040100
	s_delay_alu instid0(VALU_DEP_4) | instskip(NEXT) | instid1(VALU_DEP_2)
	v_pk_mul_bf16 v5, v6, v5
	v_pk_mul_bf16 v4, v7, v4
	s_delay_alu instid0(VALU_DEP_1) | instskip(SKIP_1) | instid1(VALU_DEP_1)
	v_lshlrev_b32_e32 v19, 16, v4
	v_and_b32_e32 v4, 0xffff0000, v4
	v_dual_add_f32 v4, v19, v4 :: v_dual_lshlrev_b32 v19, 16, v5
	v_and_b32_e32 v5, 0xffff0000, v5
	s_delay_alu instid0(VALU_DEP_1) | instskip(NEXT) | instid1(VALU_DEP_1)
	v_add_f32_e32 v5, v19, v5
	v_dual_add_f32 v4, v4, v5 :: v_dual_lshlrev_b32 v5, 16, v8
	v_and_b32_e32 v8, 0xffff0000, v8
	s_delay_alu instid0(VALU_DEP_1) | instskip(SKIP_1) | instid1(VALU_DEP_2)
	v_add_f32_e32 v5, v5, v8
	v_and_b32_e32 v8, 0xffff0000, v9
	v_add_f32_e32 v4, v4, v5
	v_lshlrev_b32_e32 v5, 16, v9
	v_perm_b32 v9, v90, v89, 0x5040100
	s_delay_alu instid0(VALU_DEP_2) | instskip(SKIP_1) | instid1(VALU_DEP_3)
	v_add_f32_e32 v5, v5, v8
	v_perm_b32 v8, v79, v88, 0x5040100
	v_pk_mul_bf16 v9, v2, v9
	s_delay_alu instid0(VALU_DEP_3) | instskip(SKIP_1) | instid1(VALU_DEP_4)
	v_add_f32_e32 v4, v4, v5
	v_perm_b32 v5, v91, v92, 0x5040100
	v_pk_mul_bf16 v8, v3, v8
	s_delay_alu instid0(VALU_DEP_3) | instskip(SKIP_1) | instid1(VALU_DEP_4)
	v_add_f32_e32 v14, v14, v4
	v_perm_b32 v4, v93, v94, 0x5040100
	v_pk_mul_bf16 v5, v6, v5
	s_delay_alu instid0(VALU_DEP_2) | instskip(NEXT) | instid1(VALU_DEP_1)
	v_pk_mul_bf16 v4, v7, v4
	v_lshlrev_b32_e32 v19, 16, v4
	v_and_b32_e32 v4, 0xffff0000, v4
	s_delay_alu instid0(VALU_DEP_1) | instskip(SKIP_1) | instid1(VALU_DEP_1)
	v_dual_add_f32 v4, v19, v4 :: v_dual_lshlrev_b32 v19, 16, v5
	v_and_b32_e32 v5, 0xffff0000, v5
	v_add_f32_e32 v5, v19, v5
	s_delay_alu instid0(VALU_DEP_1) | instskip(SKIP_1) | instid1(VALU_DEP_1)
	v_dual_add_f32 v4, v4, v5 :: v_dual_lshlrev_b32 v5, 16, v8
	v_and_b32_e32 v8, 0xffff0000, v8
	v_add_f32_e32 v5, v5, v8
	v_and_b32_e32 v8, 0xffff0000, v9
	s_delay_alu instid0(VALU_DEP_2) | instskip(SKIP_2) | instid1(VALU_DEP_2)
	v_add_f32_e32 v4, v4, v5
	v_lshlrev_b32_e32 v5, 16, v9
	v_perm_b32 v9, v74, v73, 0x5040100
	v_add_f32_e32 v5, v5, v8
	v_perm_b32 v8, v63, v72, 0x5040100
	s_delay_alu instid0(VALU_DEP_3) | instskip(NEXT) | instid1(VALU_DEP_3)
	v_pk_mul_bf16 v9, v2, v9
	v_add_f32_e32 v4, v4, v5
	v_perm_b32 v5, v75, v76, 0x5040100
	s_delay_alu instid0(VALU_DEP_4) | instskip(NEXT) | instid1(VALU_DEP_3)
	v_pk_mul_bf16 v8, v3, v8
	v_add_f32_e32 v17, v17, v4
	v_perm_b32 v4, v77, v78, 0x5040100
	s_delay_alu instid0(VALU_DEP_4) | instskip(NEXT) | instid1(VALU_DEP_2)
	v_pk_mul_bf16 v5, v6, v5
	v_pk_mul_bf16 v4, v7, v4
	s_delay_alu instid0(VALU_DEP_1) | instskip(SKIP_1) | instid1(VALU_DEP_1)
	;; [unrolled: 57-line block ×4, first 2 shown]
	v_lshlrev_b32_e32 v18, 16, v4
	v_and_b32_e32 v4, 0xffff0000, v4
	v_dual_add_f32 v4, v18, v4 :: v_dual_lshlrev_b32 v18, 16, v5
	v_and_b32_e32 v5, 0xffff0000, v5
	s_delay_alu instid0(VALU_DEP_1) | instskip(NEXT) | instid1(VALU_DEP_1)
	v_add_f32_e32 v5, v18, v5
	v_dual_add_f32 v4, v4, v5 :: v_dual_lshlrev_b32 v5, 16, v8
	v_and_b32_e32 v8, 0xffff0000, v8
	s_delay_alu instid0(VALU_DEP_1) | instskip(SKIP_1) | instid1(VALU_DEP_2)
	v_add_f32_e32 v5, v5, v8
	v_and_b32_e32 v8, 0xffff0000, v9
	v_add_f32_e32 v4, v4, v5
	v_lshlrev_b32_e32 v5, 16, v9
	s_delay_alu instid0(VALU_DEP_1) | instskip(SKIP_3) | instid1(VALU_DEP_2)
	v_add_f32_e32 v5, v5, v8
	scratch_load_b32 v8, off, s32 offset:224 th:TH_LOAD_LU ; 4-byte Folded Reload
	v_add_f32_e32 v4, v4, v5
	v_perm_b32 v5, v39, v71, 0x5040100
	v_add_f32_e32 v24, v24, v4
	v_perm_b32 v4, v80, v81, 0x5040100
	s_delay_alu instid0(VALU_DEP_3) | instskip(NEXT) | instid1(VALU_DEP_2)
	v_pk_mul_bf16 v5, v6, v5
	v_pk_mul_bf16 v4, v7, v4
	s_wait_loadcnt 0x0
	v_perm_b32 v0, v8, v0, 0x5040100
	s_delay_alu instid0(VALU_DEP_2) | instskip(SKIP_1) | instid1(VALU_DEP_3)
	v_lshlrev_b32_e32 v8, 16, v4
	v_and_b32_e32 v4, 0xffff0000, v4
	v_pk_mul_bf16 v0, v3, v0
	s_delay_alu instid0(VALU_DEP_2) | instskip(SKIP_1) | instid1(VALU_DEP_1)
	v_dual_add_f32 v4, v8, v4 :: v_dual_lshlrev_b32 v8, 16, v5
	v_and_b32_e32 v5, 0xffff0000, v5
	v_add_f32_e32 v5, v8, v5
	s_delay_alu instid0(VALU_DEP_1) | instskip(SKIP_1) | instid1(VALU_DEP_1)
	v_dual_add_f32 v4, v4, v5 :: v_dual_lshlrev_b32 v5, 16, v0
	v_and_b32_e32 v0, 0xffff0000, v0
	v_add_f32_e32 v0, v5, v0
	s_delay_alu instid0(VALU_DEP_1) | instskip(SKIP_1) | instid1(VALU_DEP_1)
	v_dual_add_f32 v0, v4, v0 :: v_dual_lshlrev_b32 v4, 16, v1
	v_and_b32_e32 v1, 0xffff0000, v1
	v_add_f32_e32 v1, v4, v1
	s_delay_alu instid0(VALU_DEP_1) | instskip(NEXT) | instid1(VALU_DEP_1)
	v_add_f32_e32 v0, v0, v1
	v_add_f32_e32 v27, v27, v0
	s_clause 0x1
	scratch_load_b32 v0, off, s32 offset:216 th:TH_LOAD_LU
	scratch_load_b32 v1, off, s32 offset:220 th:TH_LOAD_LU
	s_wait_loadcnt 0x0
	v_perm_b32 v0, v0, v1, 0x5040100
	s_clause 0x1
	scratch_load_b32 v1, off, s32 offset:208 th:TH_LOAD_LU
	scratch_load_b32 v4, off, s32 offset:212 th:TH_LOAD_LU
	v_pk_mul_bf16 v0, v7, v0
	s_wait_loadcnt 0x0
	v_perm_b32 v1, v1, v4, 0x5040100
	s_clause 0x2
	scratch_load_b32 v4, off, s32 offset:196 th:TH_LOAD_LU
	scratch_load_b32 v5, off, s32 offset:200 th:TH_LOAD_LU
	;; [unrolled: 1-line block ×3, first 2 shown]
	v_pk_mul_bf16 v1, v6, v1
	s_wait_loadcnt 0x2
	v_perm_b32 v4, v36, v4, 0x5040100
	s_wait_loadcnt 0x0
	v_perm_b32 v5, v8, v5, 0x5040100
	v_lshlrev_b32_e32 v8, 16, v0
	v_and_b32_e32 v0, 0xffff0000, v0
	v_pk_mul_bf16 v4, v3, v4
	s_delay_alu instid0(VALU_DEP_4) | instskip(NEXT) | instid1(VALU_DEP_3)
	v_pk_mul_bf16 v5, v2, v5
	v_dual_add_f32 v0, v8, v0 :: v_dual_lshlrev_b32 v8, 16, v1
	v_and_b32_e32 v1, 0xffff0000, v1
	s_delay_alu instid0(VALU_DEP_1) | instskip(NEXT) | instid1(VALU_DEP_1)
	v_add_f32_e32 v1, v8, v1
	v_dual_add_f32 v0, v0, v1 :: v_dual_lshlrev_b32 v1, 16, v4
	v_and_b32_e32 v4, 0xffff0000, v4
	s_delay_alu instid0(VALU_DEP_1) | instskip(SKIP_1) | instid1(VALU_DEP_2)
	v_add_f32_e32 v1, v1, v4
	v_and_b32_e32 v4, 0xffff0000, v5
	v_add_f32_e32 v0, v0, v1
	v_lshlrev_b32_e32 v1, 16, v5
	s_delay_alu instid0(VALU_DEP_1) | instskip(NEXT) | instid1(VALU_DEP_1)
	v_add_f32_e32 v1, v1, v4
	v_add_f32_e32 v0, v0, v1
	s_delay_alu instid0(VALU_DEP_1) | instskip(SKIP_1) | instid1(VALU_DEP_1)
	v_add_f32_e32 v26, v26, v0
	v_perm_b32 v0, v35, v127, 0x5040100
	v_pk_mul_bf16 v1, v7, v0
	v_perm_b32 v0, v33, v34, 0x5040100
	s_delay_alu instid0(VALU_DEP_1) | instskip(SKIP_1) | instid1(VALU_DEP_1)
	v_pk_mul_bf16 v4, v6, v0
	v_perm_b32 v0, v30, v32, 0x5040100
	v_pk_mul_bf16 v5, v3, v0
	v_perm_b32 v0, v31, v22, 0x5040100
	s_delay_alu instid0(VALU_DEP_4) | instskip(NEXT) | instid1(VALU_DEP_2)
	v_lshlrev_b32_e32 v3, 16, v4
	v_pk_mul_bf16 v6, v2, v0
	v_and_b32_e32 v0, 0xffff0000, v1
	v_lshlrev_b32_e32 v2, 16, v1
	v_and_b32_e32 v1, 0xffff0000, v4
	v_lshlrev_b32_e32 v4, 16, v5
	s_delay_alu instid0(VALU_DEP_2) | instskip(SKIP_2) | instid1(VALU_DEP_3)
	v_pk_add_f32 v[0:1], v[2:3], v[0:1]
	v_and_b32_e32 v2, 0xffff0000, v5
	v_and_b32_e32 v3, 0xffff0000, v6
	v_dual_add_f32 v0, v0, v1 :: v_dual_lshlrev_b32 v5, 16, v6
	s_delay_alu instid0(VALU_DEP_1) | instskip(NEXT) | instid1(VALU_DEP_1)
	v_pk_add_f32 v[2:3], v[4:5], v[2:3]
	v_add_f32_e32 v0, v0, v2
	s_delay_alu instid0(VALU_DEP_1) | instskip(NEXT) | instid1(VALU_DEP_1)
	v_add_f32_e32 v0, v0, v3
	v_add_f32_e32 v13, v13, v0
	scratch_load_b32 v0, off, s32 offset:192 ; 4-byte Folded Reload
	s_wait_loadcnt 0x0
	v_cmp_ge_i32_e32 vcc_lo, v54, v0
	s_or_b32 s10, vcc_lo, s10
	s_wait_xcnt 0x0
	s_and_not1_b32 exec_lo, exec_lo, s10
	s_cbranch_execz .LBB340_1602
.LBB340_810:                            ; =>This Inner Loop Header: Depth=1
	flat_load_b32 v0, v[10:11]
	s_clause 0x1
	scratch_load_b64 v[2:3], off, s32 offset:228
	scratch_load_b64 v[4:5], off, s32 offset:252
	s_mov_b32 s0, exec_lo
	s_wait_loadcnt_dscnt 0x0
	v_mad_nc_i64_i32 v[30:31], v0, v2, v[4:5]
	flat_load_b64 v[32:33], v[30:31]
	ds_load_2addr_b64 v[6:9], v53 offset1:1
	ds_load_2addr_b64 v[0:3], v53 offset0:2 offset1:3
	s_wait_dscnt 0x0
	scratch_store_b128 off, v[0:3], s32 offset:236 ; 16-byte Folded Spill
	s_wait_xcnt 0x0
	v_mov_b32_e32 v0, 0
	s_wait_loadcnt 0x0
	v_and_b32_e32 v1, 0xff, v32
	s_delay_alu instid0(VALU_DEP_1)
	v_cmpx_ne_u16_e32 0, v1
	s_cbranch_execz .LBB340_818
; %bb.811:                              ;   in Loop: Header=BB340_810 Depth=1
	v_bfrev_b32_e32 v0, 1
	s_mov_b32 s11, exec_lo
	v_cmpx_ne_u16_e32 0x80, v1
	s_cbranch_execz .LBB340_817
; %bb.812:                              ;   in Loop: Header=BB340_810 Depth=1
	v_and_b32_e32 v1, 0x7f, v32
	v_mov_b32_e32 v0, 0x7f800001
	s_mov_b32 s16, exec_lo
	s_delay_alu instid0(VALU_DEP_2)
	v_cmpx_ne_u32_e32 0x7f, v1
	s_cbranch_execz .LBB340_816
; %bb.813:                              ;   in Loop: Header=BB340_810 Depth=1
	v_mov_b64_e32 v[34:35], v[32:33]
	v_lshrrev_b32_e32 v0, 3, v1
	s_mov_b32 s17, exec_lo
	v_cmpx_gt_u32_e32 8, v1
; %bb.814:                              ;   in Loop: Header=BB340_810 Depth=1
	v_and_b32_e32 v0, 7, v32
	s_delay_alu instid0(VALU_DEP_1) | instskip(NEXT) | instid1(VALU_DEP_1)
	v_clz_i32_u32_e32 v0, v0
	v_min_u32_e32 v0, 32, v0
	s_delay_alu instid0(VALU_DEP_1) | instskip(SKIP_1) | instid1(VALU_DEP_2)
	v_subrev_nc_u32_e32 v1, 28, v0
	v_sub_nc_u32_e32 v0, 29, v0
	v_lshlrev_b64_e32 v[34:35], v1, v[32:33]
; %bb.815:                              ;   in Loop: Header=BB340_810 Depth=1
	s_or_b32 exec_lo, exec_lo, s17
	s_delay_alu instid0(VALU_DEP_1) | instskip(NEXT) | instid1(VALU_DEP_3)
	v_dual_lshlrev_b32 v1, 20, v34 :: v_dual_lshlrev_b32 v2, 24, v32
	v_lshl_add_u32 v0, v0, 23, 0x3c000000
	s_delay_alu instid0(VALU_DEP_2) | instskip(NEXT) | instid1(VALU_DEP_3)
	v_and_b32_e32 v1, 0x700000, v1
	v_and_b32_e32 v2, 0x80000000, v2
	s_delay_alu instid0(VALU_DEP_1)
	v_or3_b32 v0, v1, v2, v0
.LBB340_816:                            ;   in Loop: Header=BB340_810 Depth=1
	s_or_b32 exec_lo, exec_lo, s16
.LBB340_817:                            ;   in Loop: Header=BB340_810 Depth=1
	s_delay_alu instid0(SALU_CYCLE_1)
	s_or_b32 exec_lo, exec_lo, s11
.LBB340_818:                            ;   in Loop: Header=BB340_810 Depth=1
	s_delay_alu instid0(SALU_CYCLE_1) | instskip(SKIP_3) | instid1(VALU_DEP_2)
	s_or_b32 exec_lo, exec_lo, s0
	v_lshrrev_b16 v19, 8, v32
	v_dual_mov_b32 v1, 0 :: v_dual_mov_b32 v18, 0
	s_mov_b32 s0, exec_lo
	v_cmpx_ne_u16_e32 0, v19
	s_cbranch_execz .LBB340_826
; %bb.819:                              ;   in Loop: Header=BB340_810 Depth=1
	v_bfrev_b32_e32 v18, 1
	s_mov_b32 s11, exec_lo
	v_cmpx_ne_u16_e32 0x80, v19
	s_cbranch_execz .LBB340_825
; %bb.820:                              ;   in Loop: Header=BB340_810 Depth=1
	v_and_b32_e32 v2, 0xffff, v19
	v_mov_b32_e32 v18, 0x7f800001
	s_mov_b32 s16, exec_lo
	s_delay_alu instid0(VALU_DEP_2) | instskip(NEXT) | instid1(VALU_DEP_1)
	v_and_b32_e32 v19, 0x7f, v2
	v_cmpx_ne_u32_e32 0x7f, v19
	s_cbranch_execz .LBB340_824
; %bb.821:                              ;   in Loop: Header=BB340_810 Depth=1
	v_dual_lshrrev_b32 v18, 3, v19 :: v_dual_bitop2_b32 v22, 7, v2 bitop3:0x40
	s_mov_b32 s17, exec_lo
	v_cmpx_gt_u32_e32 8, v19
; %bb.822:                              ;   in Loop: Header=BB340_810 Depth=1
	s_delay_alu instid0(VALU_DEP_2) | instskip(NEXT) | instid1(VALU_DEP_1)
	v_clz_i32_u32_e32 v2, v22
	v_min_u32_e32 v4, 32, v2
	s_delay_alu instid0(VALU_DEP_1) | instskip(NEXT) | instid1(VALU_DEP_1)
	v_subrev_nc_u32_e32 v2, 28, v4
	v_lshlrev_b64_e32 v[2:3], v2, v[22:23]
	s_delay_alu instid0(VALU_DEP_1)
	v_dual_sub_nc_u32 v18, 29, v4 :: v_dual_bitop2_b32 v22, 7, v2 bitop3:0x40
; %bb.823:                              ;   in Loop: Header=BB340_810 Depth=1
	s_or_b32 exec_lo, exec_lo, s17
	s_delay_alu instid0(VALU_DEP_1) | instskip(NEXT) | instid1(VALU_DEP_2)
	v_dual_lshlrev_b32 v2, 16, v32 :: v_dual_lshlrev_b32 v3, 20, v22
	v_lshl_add_u32 v4, v18, 23, 0x3c000000
	s_delay_alu instid0(VALU_DEP_2) | instskip(NEXT) | instid1(VALU_DEP_1)
	v_and_b32_e32 v2, 0x80000000, v2
	v_or3_b32 v18, v3, v2, v4
.LBB340_824:                            ;   in Loop: Header=BB340_810 Depth=1
	s_or_b32 exec_lo, exec_lo, s16
.LBB340_825:                            ;   in Loop: Header=BB340_810 Depth=1
	s_delay_alu instid0(SALU_CYCLE_1)
	s_or_b32 exec_lo, exec_lo, s11
.LBB340_826:                            ;   in Loop: Header=BB340_810 Depth=1
	s_delay_alu instid0(SALU_CYCLE_1) | instskip(SKIP_2) | instid1(VALU_DEP_1)
	s_or_b32 exec_lo, exec_lo, s0
	v_lshrrev_b32_e32 v19, 16, v32
	s_mov_b32 s0, exec_lo
	v_and_b32_e32 v2, 0xff, v19
	s_delay_alu instid0(VALU_DEP_1)
	v_cmpx_ne_u16_e32 0, v2
	s_cbranch_execz .LBB340_834
; %bb.827:                              ;   in Loop: Header=BB340_810 Depth=1
	v_bfrev_b32_e32 v1, 1
	s_mov_b32 s11, exec_lo
	v_cmpx_ne_u16_e32 0x80, v2
	s_cbranch_execz .LBB340_833
; %bb.828:                              ;   in Loop: Header=BB340_810 Depth=1
	v_bfe_u32 v28, v32, 16, 7
	v_mov_b32_e32 v1, 0x7f800001
	s_mov_b32 s16, exec_lo
	s_delay_alu instid0(VALU_DEP_2)
	v_cmpx_ne_u32_e32 0x7f, v28
	s_cbranch_execz .LBB340_832
; %bb.829:                              ;   in Loop: Header=BB340_810 Depth=1
	v_dual_lshrrev_b32 v1, 3, v28 :: v_dual_bitop2_b32 v22, 7, v19 bitop3:0x40
	s_mov_b32 s17, exec_lo
	v_cmpx_gt_u32_e32 8, v28
; %bb.830:                              ;   in Loop: Header=BB340_810 Depth=1
	s_delay_alu instid0(VALU_DEP_2) | instskip(NEXT) | instid1(VALU_DEP_1)
	v_clz_i32_u32_e32 v1, v22
	v_min_u32_e32 v1, 32, v1
	s_delay_alu instid0(VALU_DEP_1) | instskip(NEXT) | instid1(VALU_DEP_1)
	v_subrev_nc_u32_e32 v2, 28, v1
	v_lshlrev_b64_e32 v[2:3], v2, v[22:23]
	s_delay_alu instid0(VALU_DEP_1)
	v_dual_sub_nc_u32 v1, 29, v1 :: v_dual_bitop2_b32 v22, 7, v2 bitop3:0x40
; %bb.831:                              ;   in Loop: Header=BB340_810 Depth=1
	s_or_b32 exec_lo, exec_lo, s17
	s_delay_alu instid0(VALU_DEP_1) | instskip(NEXT) | instid1(VALU_DEP_2)
	v_dual_lshlrev_b32 v2, 24, v19 :: v_dual_lshlrev_b32 v3, 20, v22
	v_lshl_add_u32 v1, v1, 23, 0x3c000000
	s_delay_alu instid0(VALU_DEP_2) | instskip(NEXT) | instid1(VALU_DEP_1)
	v_and_b32_e32 v2, 0x80000000, v2
	v_or3_b32 v1, v3, v2, v1
.LBB340_832:                            ;   in Loop: Header=BB340_810 Depth=1
	s_or_b32 exec_lo, exec_lo, s16
.LBB340_833:                            ;   in Loop: Header=BB340_810 Depth=1
	s_delay_alu instid0(SALU_CYCLE_1)
	s_or_b32 exec_lo, exec_lo, s11
.LBB340_834:                            ;   in Loop: Header=BB340_810 Depth=1
	s_delay_alu instid0(SALU_CYCLE_1)
	s_or_b32 exec_lo, exec_lo, s0
	v_dual_mov_b32 v19, 0 :: v_dual_mov_b32 v28, 0
	s_mov_b32 s0, exec_lo
	v_cmpx_lt_u32_e32 0xffffff, v32
	s_cbranch_execz .LBB340_842
; %bb.835:                              ;   in Loop: Header=BB340_810 Depth=1
	v_lshrrev_b32_e32 v29, 24, v32
	v_bfrev_b32_e32 v28, 1
	s_mov_b32 s11, exec_lo
	s_delay_alu instid0(VALU_DEP_2)
	v_cmpx_ne_u32_e32 0x80, v29
	s_cbranch_execz .LBB340_841
; %bb.836:                              ;   in Loop: Header=BB340_810 Depth=1
	v_bfe_u32 v34, v32, 24, 7
	v_mov_b32_e32 v28, 0x7f800001
	s_mov_b32 s16, exec_lo
	s_delay_alu instid0(VALU_DEP_2)
	v_cmpx_ne_u32_e32 0x7f, v34
	s_cbranch_execz .LBB340_840
; %bb.837:                              ;   in Loop: Header=BB340_810 Depth=1
	v_dual_lshrrev_b32 v28, 3, v34 :: v_dual_bitop2_b32 v22, 7, v29 bitop3:0x40
	s_mov_b32 s17, exec_lo
	v_cmpx_gt_u32_e32 8, v34
; %bb.838:                              ;   in Loop: Header=BB340_810 Depth=1
	s_delay_alu instid0(VALU_DEP_2) | instskip(NEXT) | instid1(VALU_DEP_1)
	v_clz_i32_u32_e32 v2, v22
	v_min_u32_e32 v4, 32, v2
	s_delay_alu instid0(VALU_DEP_1) | instskip(NEXT) | instid1(VALU_DEP_1)
	v_subrev_nc_u32_e32 v2, 28, v4
	v_lshlrev_b64_e32 v[2:3], v2, v[22:23]
	s_delay_alu instid0(VALU_DEP_1)
	v_dual_sub_nc_u32 v28, 29, v4 :: v_dual_bitop2_b32 v22, 7, v2 bitop3:0x40
; %bb.839:                              ;   in Loop: Header=BB340_810 Depth=1
	s_or_b32 exec_lo, exec_lo, s17
	s_delay_alu instid0(VALU_DEP_1) | instskip(NEXT) | instid1(VALU_DEP_2)
	v_dual_lshlrev_b32 v2, 24, v29 :: v_dual_lshlrev_b32 v3, 20, v22
	v_lshl_add_u32 v4, v28, 23, 0x3c000000
	s_delay_alu instid0(VALU_DEP_2) | instskip(NEXT) | instid1(VALU_DEP_1)
	v_and_b32_e32 v2, 0x80000000, v2
	v_or3_b32 v28, v3, v2, v4
.LBB340_840:                            ;   in Loop: Header=BB340_810 Depth=1
	s_or_b32 exec_lo, exec_lo, s16
.LBB340_841:                            ;   in Loop: Header=BB340_810 Depth=1
	s_delay_alu instid0(SALU_CYCLE_1)
	s_or_b32 exec_lo, exec_lo, s11
.LBB340_842:                            ;   in Loop: Header=BB340_810 Depth=1
	s_delay_alu instid0(SALU_CYCLE_1) | instskip(SKIP_3) | instid1(VALU_DEP_2)
	s_or_b32 exec_lo, exec_lo, s0
	v_and_b32_e32 v2, 0xff, v33
	v_mov_b32_e32 v22, v33
	s_mov_b32 s0, exec_lo
	v_cmpx_ne_u16_e32 0, v2
	s_cbranch_execz .LBB340_850
; %bb.843:                              ;   in Loop: Header=BB340_810 Depth=1
	v_bfrev_b32_e32 v19, 1
	s_mov_b32 s11, exec_lo
	v_cmpx_ne_u16_e32 0x80, v2
	s_cbranch_execz .LBB340_849
; %bb.844:                              ;   in Loop: Header=BB340_810 Depth=1
	v_and_b32_e32 v2, 0x7f, v33
	v_mov_b32_e32 v19, 0x7f800001
	s_mov_b32 s16, exec_lo
	s_delay_alu instid0(VALU_DEP_2)
	v_cmpx_ne_u32_e32 0x7f, v2
	s_cbranch_execz .LBB340_848
; %bb.845:                              ;   in Loop: Header=BB340_810 Depth=1
	v_mov_b64_e32 v[34:35], v[22:23]
	v_lshrrev_b32_e32 v19, 3, v2
	s_mov_b32 s17, exec_lo
	v_cmpx_gt_u32_e32 8, v2
; %bb.846:                              ;   in Loop: Header=BB340_810 Depth=1
	v_and_b32_e32 v2, 7, v33
	s_delay_alu instid0(VALU_DEP_1) | instskip(NEXT) | instid1(VALU_DEP_1)
	v_clz_i32_u32_e32 v2, v2
	v_min_u32_e32 v2, 32, v2
	s_delay_alu instid0(VALU_DEP_1) | instskip(SKIP_1) | instid1(VALU_DEP_2)
	v_subrev_nc_u32_e32 v3, 28, v2
	v_sub_nc_u32_e32 v19, 29, v2
	v_lshlrev_b64_e32 v[34:35], v3, v[22:23]
; %bb.847:                              ;   in Loop: Header=BB340_810 Depth=1
	s_or_b32 exec_lo, exec_lo, s17
	s_delay_alu instid0(VALU_DEP_1) | instskip(SKIP_2) | instid1(VALU_DEP_3)
	v_lshlrev_b32_e32 v2, 20, v34
	v_lshlrev_b32_e32 v3, 24, v22
	v_lshl_add_u32 v4, v19, 23, 0x3c000000
	v_and_b32_e32 v2, 0x700000, v2
	s_delay_alu instid0(VALU_DEP_3) | instskip(NEXT) | instid1(VALU_DEP_1)
	v_and_b32_e32 v3, 0x80000000, v3
	v_or3_b32 v19, v2, v3, v4
.LBB340_848:                            ;   in Loop: Header=BB340_810 Depth=1
	s_or_b32 exec_lo, exec_lo, s16
.LBB340_849:                            ;   in Loop: Header=BB340_810 Depth=1
	s_delay_alu instid0(SALU_CYCLE_1)
	s_or_b32 exec_lo, exec_lo, s11
.LBB340_850:                            ;   in Loop: Header=BB340_810 Depth=1
	s_delay_alu instid0(SALU_CYCLE_1) | instskip(SKIP_3) | instid1(VALU_DEP_2)
	s_or_b32 exec_lo, exec_lo, s0
	v_lshrrev_b16 v35, 8, v22
	v_dual_mov_b32 v29, 0 :: v_dual_mov_b32 v34, 0
	s_mov_b32 s0, exec_lo
	v_cmpx_ne_u16_e32 0, v35
	s_cbranch_execz .LBB340_858
; %bb.851:                              ;   in Loop: Header=BB340_810 Depth=1
	v_bfrev_b32_e32 v34, 1
	s_mov_b32 s11, exec_lo
	v_cmpx_ne_u16_e32 0x80, v35
	s_cbranch_execz .LBB340_857
; %bb.852:                              ;   in Loop: Header=BB340_810 Depth=1
	v_and_b32_e32 v2, 0xffff, v35
	v_mov_b32_e32 v34, 0x7f800001
	s_mov_b32 s16, exec_lo
	s_delay_alu instid0(VALU_DEP_2) | instskip(NEXT) | instid1(VALU_DEP_1)
	v_and_b32_e32 v37, 0x7f, v2
	v_cmpx_ne_u32_e32 0x7f, v37
	s_cbranch_execz .LBB340_856
; %bb.853:                              ;   in Loop: Header=BB340_810 Depth=1
	v_dual_mov_b32 v35, v23 :: v_dual_bitop2_b32 v34, 7, v2 bitop3:0x40
	v_lshrrev_b32_e32 v36, 3, v37
	s_mov_b32 s17, exec_lo
	v_cmpx_gt_u32_e32 8, v37
; %bb.854:                              ;   in Loop: Header=BB340_810 Depth=1
	s_delay_alu instid0(VALU_DEP_3) | instskip(NEXT) | instid1(VALU_DEP_1)
	v_clz_i32_u32_e32 v2, v34
	v_min_u32_e32 v4, 32, v2
	s_delay_alu instid0(VALU_DEP_1) | instskip(NEXT) | instid1(VALU_DEP_1)
	v_subrev_nc_u32_e32 v2, 28, v4
	v_lshlrev_b64_e32 v[2:3], v2, v[34:35]
	s_delay_alu instid0(VALU_DEP_1)
	v_dual_sub_nc_u32 v36, 29, v4 :: v_dual_bitop2_b32 v34, 7, v2 bitop3:0x40
; %bb.855:                              ;   in Loop: Header=BB340_810 Depth=1
	s_or_b32 exec_lo, exec_lo, s17
	v_lshlrev_b32_e32 v2, 16, v22
	s_delay_alu instid0(VALU_DEP_2) | instskip(NEXT) | instid1(VALU_DEP_3)
	v_lshlrev_b32_e32 v3, 20, v34
	v_lshl_add_u32 v4, v36, 23, 0x3c000000
	s_delay_alu instid0(VALU_DEP_3) | instskip(NEXT) | instid1(VALU_DEP_1)
	v_and_b32_e32 v2, 0x80000000, v2
	v_or3_b32 v34, v3, v2, v4
.LBB340_856:                            ;   in Loop: Header=BB340_810 Depth=1
	s_or_b32 exec_lo, exec_lo, s16
.LBB340_857:                            ;   in Loop: Header=BB340_810 Depth=1
	s_delay_alu instid0(SALU_CYCLE_1)
	s_or_b32 exec_lo, exec_lo, s11
.LBB340_858:                            ;   in Loop: Header=BB340_810 Depth=1
	s_delay_alu instid0(SALU_CYCLE_1) | instskip(SKIP_2) | instid1(VALU_DEP_1)
	s_or_b32 exec_lo, exec_lo, s0
	v_lshrrev_b32_e32 v35, 16, v33
	s_mov_b32 s0, exec_lo
	v_and_b32_e32 v2, 0xff, v35
	s_delay_alu instid0(VALU_DEP_1)
	v_cmpx_ne_u16_e32 0, v2
	s_cbranch_execz .LBB340_866
; %bb.859:                              ;   in Loop: Header=BB340_810 Depth=1
	v_bfrev_b32_e32 v29, 1
	s_mov_b32 s11, exec_lo
	v_cmpx_ne_u16_e32 0x80, v2
	s_cbranch_execz .LBB340_865
; %bb.860:                              ;   in Loop: Header=BB340_810 Depth=1
	v_bfe_u32 v36, v33, 16, 7
	v_mov_b32_e32 v29, 0x7f800001
	s_mov_b32 s16, exec_lo
	s_delay_alu instid0(VALU_DEP_2)
	v_cmpx_ne_u32_e32 0x7f, v36
	s_cbranch_execz .LBB340_864
; %bb.861:                              ;   in Loop: Header=BB340_810 Depth=1
	v_dual_lshrrev_b32 v29, 3, v36 :: v_dual_bitop2_b32 v22, 7, v35 bitop3:0x40
	s_mov_b32 s17, exec_lo
	v_cmpx_gt_u32_e32 8, v36
; %bb.862:                              ;   in Loop: Header=BB340_810 Depth=1
	s_delay_alu instid0(VALU_DEP_2) | instskip(NEXT) | instid1(VALU_DEP_1)
	v_clz_i32_u32_e32 v2, v22
	v_min_u32_e32 v4, 32, v2
	s_delay_alu instid0(VALU_DEP_1) | instskip(NEXT) | instid1(VALU_DEP_1)
	v_subrev_nc_u32_e32 v2, 28, v4
	v_lshlrev_b64_e32 v[2:3], v2, v[22:23]
	s_delay_alu instid0(VALU_DEP_1)
	v_dual_sub_nc_u32 v29, 29, v4 :: v_dual_bitop2_b32 v22, 7, v2 bitop3:0x40
; %bb.863:                              ;   in Loop: Header=BB340_810 Depth=1
	s_or_b32 exec_lo, exec_lo, s17
	s_delay_alu instid0(VALU_DEP_1) | instskip(NEXT) | instid1(VALU_DEP_2)
	v_dual_lshlrev_b32 v2, 24, v35 :: v_dual_lshlrev_b32 v3, 20, v22
	v_lshl_add_u32 v4, v29, 23, 0x3c000000
	s_delay_alu instid0(VALU_DEP_2) | instskip(NEXT) | instid1(VALU_DEP_1)
	v_and_b32_e32 v2, 0x80000000, v2
	v_or3_b32 v29, v3, v2, v4
.LBB340_864:                            ;   in Loop: Header=BB340_810 Depth=1
	s_or_b32 exec_lo, exec_lo, s16
.LBB340_865:                            ;   in Loop: Header=BB340_810 Depth=1
	s_delay_alu instid0(SALU_CYCLE_1)
	s_or_b32 exec_lo, exec_lo, s11
.LBB340_866:                            ;   in Loop: Header=BB340_810 Depth=1
	s_delay_alu instid0(SALU_CYCLE_1)
	s_or_b32 exec_lo, exec_lo, s0
	v_mov_b32_e32 v22, 0
	s_mov_b32 s0, exec_lo
	v_cmpx_lt_u64_e64 s[2:3], v[32:33]
	s_cbranch_execz .LBB340_874
; %bb.867:                              ;   in Loop: Header=BB340_810 Depth=1
	v_lshrrev_b32_e32 v32, 24, v33
	v_bfrev_b32_e32 v22, 1
	s_mov_b32 s11, exec_lo
	s_delay_alu instid0(VALU_DEP_2)
	v_cmpx_ne_u32_e32 0x80, v32
	s_cbranch_execz .LBB340_873
; %bb.868:                              ;   in Loop: Header=BB340_810 Depth=1
	v_bfe_u32 v35, v33, 24, 7
	v_mov_b32_e32 v22, 0x7f800001
	s_mov_b32 s16, exec_lo
	s_delay_alu instid0(VALU_DEP_2)
	v_cmpx_ne_u32_e32 0x7f, v35
	s_cbranch_execz .LBB340_872
; %bb.869:                              ;   in Loop: Header=BB340_810 Depth=1
	v_dual_lshrrev_b32 v33, 3, v35 :: v_dual_bitop2_b32 v22, 7, v32 bitop3:0x40
	s_mov_b32 s17, exec_lo
	v_cmpx_gt_u32_e32 8, v35
; %bb.870:                              ;   in Loop: Header=BB340_810 Depth=1
	s_delay_alu instid0(VALU_DEP_2) | instskip(NEXT) | instid1(VALU_DEP_1)
	v_clz_i32_u32_e32 v2, v22
	v_min_u32_e32 v4, 32, v2
	s_delay_alu instid0(VALU_DEP_1) | instskip(NEXT) | instid1(VALU_DEP_1)
	v_subrev_nc_u32_e32 v2, 28, v4
	v_lshlrev_b64_e32 v[2:3], v2, v[22:23]
	s_delay_alu instid0(VALU_DEP_1)
	v_dual_sub_nc_u32 v33, 29, v4 :: v_dual_bitop2_b32 v22, 7, v2 bitop3:0x40
; %bb.871:                              ;   in Loop: Header=BB340_810 Depth=1
	s_or_b32 exec_lo, exec_lo, s17
	s_delay_alu instid0(VALU_DEP_1) | instskip(NEXT) | instid1(VALU_DEP_2)
	v_dual_lshlrev_b32 v2, 24, v32 :: v_dual_lshlrev_b32 v3, 20, v22
	v_lshl_add_u32 v4, v33, 23, 0x3c000000
	s_delay_alu instid0(VALU_DEP_2) | instskip(NEXT) | instid1(VALU_DEP_1)
	v_and_b32_e32 v2, 0x80000000, v2
	v_or3_b32 v22, v3, v2, v4
.LBB340_872:                            ;   in Loop: Header=BB340_810 Depth=1
	s_or_b32 exec_lo, exec_lo, s16
.LBB340_873:                            ;   in Loop: Header=BB340_810 Depth=1
	s_delay_alu instid0(SALU_CYCLE_1)
	s_or_b32 exec_lo, exec_lo, s11
.LBB340_874:                            ;   in Loop: Header=BB340_810 Depth=1
	s_delay_alu instid0(SALU_CYCLE_1)
	s_or_b32 exec_lo, exec_lo, s0
	scratch_load_b32 v2, off, s32 offset:192 ; 4-byte Folded Reload
	v_fma_mixlo_bf16 v3, v51, v19, 0
	v_fma_mixlo_bf16 v0, v51, v0, 0
	;; [unrolled: 1-line block ×4, first 2 shown]
	v_dual_add_nc_u32 v96, -6, v52 :: v_dual_add_nc_u32 v87, -5, v52
	scratch_store_b32 off, v0, s32 offset:220 ; 4-byte Folded Spill
	s_wait_xcnt 0x0
	v_fma_mixlo_bf16 v0, v51, v29, 0
	scratch_store_b32 off, v3, s32 offset:196 ; 4-byte Folded Spill
	s_wait_xcnt 0x0
	v_fma_mixlo_bf16 v3, v51, v28, 0
	v_dual_add_nc_u32 v86, -4, v52 :: v_dual_add_nc_u32 v85, -3, v52
	scratch_store_b32 off, v0, s32 offset:200 ; 4-byte Folded Spill
	s_wait_xcnt 0x0
	v_fma_mixlo_bf16 v0, v51, v22, 0
	s_clause 0x1
	scratch_store_b32 off, v3, s32 offset:208
	scratch_store_b32 off, v1, s32 offset:212
	s_wait_xcnt 0x0
	v_fma_mixlo_bf16 v1, v51, v18, 0
	v_dual_add_nc_u32 v83, -2, v52 :: v_dual_add_nc_u32 v82, -1, v52
	scratch_store_b32 off, v0, s32 offset:204 ; 4-byte Folded Spill
	v_add_nc_u32_e32 v84, -7, v52
	scratch_store_b32 off, v1, s32 offset:216 ; 4-byte Folded Spill
	s_wait_loadcnt 0x0
	v_add_nc_u32_e32 v2, -1, v2
	s_delay_alu instid0(VALU_DEP_1)
	v_cmp_eq_u32_e32 vcc_lo, v2, v54
	s_wait_xcnt 0x0
	s_and_saveexec_b32 s11, vcc_lo
	s_cbranch_execz .LBB340_876
; %bb.875:                              ;   in Loop: Header=BB340_810 Depth=1
	scratch_load_b32 v0, off, s32 offset:220 ; 4-byte Folded Reload
	v_cmp_lt_i32_e64 s0, v84, v48
	s_wait_loadcnt 0x0
	s_delay_alu instid0(VALU_DEP_1)
	v_cndmask_b32_e64 v0, 0, v0, s0
	v_cmp_lt_i32_e64 s0, v96, v48
	s_clause 0x1
	scratch_store_b32 off, v0, s32 offset:220
	scratch_load_b32 v0, off, s32 offset:216
	s_wait_loadcnt 0x0
	v_cndmask_b32_e64 v0, 0, v0, s0
	v_cmp_lt_i32_e64 s0, v87, v48
	s_clause 0x1
	scratch_store_b32 off, v0, s32 offset:216
	scratch_load_b32 v0, off, s32 offset:212
	s_wait_loadcnt 0x0
	;; [unrolled: 6-line block ×4, first 2 shown]
	v_cndmask_b32_e64 v0, 0, v0, s0
	v_cmp_lt_i32_e64 s0, v83, v48
	s_clause 0x1
	scratch_store_b32 off, v0, s32 offset:196
	scratch_load_b32 v0, off, s32 offset:200
	v_cndmask_b32_e64 v5, 0, v5, s0
	v_cmp_lt_i32_e64 s0, v82, v48
	s_wait_loadcnt 0x0
	s_delay_alu instid0(VALU_DEP_1)
	v_cndmask_b32_e64 v0, 0, v0, s0
	v_cmp_lt_i32_e64 s0, v52, v48
	s_clause 0x1
	scratch_store_b32 off, v0, s32 offset:200
	scratch_load_b32 v0, off, s32 offset:204
	s_wait_loadcnt 0x0
	v_cndmask_b32_e64 v0, 0, v0, s0
	scratch_store_b32 off, v0, s32 offset:204 ; 4-byte Folded Spill
.LBB340_876:                            ;   in Loop: Header=BB340_810 Depth=1
	s_wait_xcnt 0x0
	s_or_b32 exec_lo, exec_lo, s11
	flat_load_b64 v[32:33], v[30:31] offset:256
	v_dual_mov_b32 v19, 0 :: v_dual_mov_b32 v18, 0
	s_mov_b32 s11, exec_lo
	s_wait_loadcnt_dscnt 0x0
	v_and_b32_e32 v0, 0xff, v32
	s_wait_xcnt 0x0
	s_delay_alu instid0(VALU_DEP_1)
	v_cmpx_ne_u16_e32 0, v0
	s_cbranch_execz .LBB340_884
; %bb.877:                              ;   in Loop: Header=BB340_810 Depth=1
	v_bfrev_b32_e32 v18, 1
	s_mov_b32 s16, exec_lo
	v_cmpx_ne_u16_e32 0x80, v0
	s_cbranch_execz .LBB340_883
; %bb.878:                              ;   in Loop: Header=BB340_810 Depth=1
	v_and_b32_e32 v1, 0x7f, v32
	v_mov_b32_e32 v18, 0x7f800001
	s_mov_b32 s17, exec_lo
	s_delay_alu instid0(VALU_DEP_2)
	v_cmpx_ne_u32_e32 0x7f, v1
	s_cbranch_execz .LBB340_882
; %bb.879:                              ;   in Loop: Header=BB340_810 Depth=1
	v_mov_b64_e32 v[34:35], v[32:33]
	v_lshrrev_b32_e32 v0, 3, v1
	s_mov_b32 s18, exec_lo
	v_cmpx_gt_u32_e32 8, v1
; %bb.880:                              ;   in Loop: Header=BB340_810 Depth=1
	v_and_b32_e32 v0, 7, v32
	s_delay_alu instid0(VALU_DEP_1) | instskip(NEXT) | instid1(VALU_DEP_1)
	v_clz_i32_u32_e32 v0, v0
	v_min_u32_e32 v0, 32, v0
	s_delay_alu instid0(VALU_DEP_1) | instskip(SKIP_1) | instid1(VALU_DEP_2)
	v_subrev_nc_u32_e32 v1, 28, v0
	v_sub_nc_u32_e32 v0, 29, v0
	v_lshlrev_b64_e32 v[34:35], v1, v[32:33]
; %bb.881:                              ;   in Loop: Header=BB340_810 Depth=1
	s_or_b32 exec_lo, exec_lo, s18
	s_delay_alu instid0(VALU_DEP_1) | instskip(NEXT) | instid1(VALU_DEP_3)
	v_dual_lshlrev_b32 v1, 20, v34 :: v_dual_lshlrev_b32 v2, 24, v32
	v_lshl_add_u32 v0, v0, 23, 0x3c000000
	s_delay_alu instid0(VALU_DEP_2) | instskip(NEXT) | instid1(VALU_DEP_3)
	v_and_b32_e32 v1, 0x700000, v1
	v_and_b32_e32 v2, 0x80000000, v2
	s_delay_alu instid0(VALU_DEP_1)
	v_or3_b32 v18, v1, v2, v0
.LBB340_882:                            ;   in Loop: Header=BB340_810 Depth=1
	s_or_b32 exec_lo, exec_lo, s17
.LBB340_883:                            ;   in Loop: Header=BB340_810 Depth=1
	s_delay_alu instid0(SALU_CYCLE_1)
	s_or_b32 exec_lo, exec_lo, s16
.LBB340_884:                            ;   in Loop: Header=BB340_810 Depth=1
	s_delay_alu instid0(SALU_CYCLE_1) | instskip(SKIP_2) | instid1(VALU_DEP_1)
	s_or_b32 exec_lo, exec_lo, s11
	v_lshrrev_b16 v0, 8, v32
	s_mov_b32 s11, exec_lo
	v_cmpx_ne_u16_e32 0, v0
	s_cbranch_execz .LBB340_892
; %bb.885:                              ;   in Loop: Header=BB340_810 Depth=1
	v_bfrev_b32_e32 v19, 1
	s_mov_b32 s16, exec_lo
	v_cmpx_ne_u16_e32 0x80, v0
	s_cbranch_execz .LBB340_891
; %bb.886:                              ;   in Loop: Header=BB340_810 Depth=1
	v_and_b32_e32 v0, 0xffff, v0
	v_mov_b32_e32 v19, 0x7f800001
	s_mov_b32 s17, exec_lo
	s_delay_alu instid0(VALU_DEP_2) | instskip(NEXT) | instid1(VALU_DEP_1)
	v_and_b32_e32 v1, 0x7f, v0
	v_cmpx_ne_u32_e32 0x7f, v1
	s_cbranch_execz .LBB340_890
; %bb.887:                              ;   in Loop: Header=BB340_810 Depth=1
	v_dual_lshrrev_b32 v0, 3, v1 :: v_dual_bitop2_b32 v22, 7, v0 bitop3:0x40
	s_mov_b32 s18, exec_lo
	v_cmpx_gt_u32_e32 8, v1
; %bb.888:                              ;   in Loop: Header=BB340_810 Depth=1
	s_delay_alu instid0(VALU_DEP_2) | instskip(NEXT) | instid1(VALU_DEP_1)
	v_clz_i32_u32_e32 v0, v22
	v_min_u32_e32 v0, 32, v0
	s_delay_alu instid0(VALU_DEP_1) | instskip(NEXT) | instid1(VALU_DEP_1)
	v_subrev_nc_u32_e32 v1, 28, v0
	v_lshlrev_b64_e32 v[2:3], v1, v[22:23]
	s_delay_alu instid0(VALU_DEP_1)
	v_dual_sub_nc_u32 v0, 29, v0 :: v_dual_bitop2_b32 v22, 7, v2 bitop3:0x40
; %bb.889:                              ;   in Loop: Header=BB340_810 Depth=1
	s_or_b32 exec_lo, exec_lo, s18
	s_delay_alu instid0(VALU_DEP_1) | instskip(NEXT) | instid1(VALU_DEP_2)
	v_dual_lshlrev_b32 v1, 16, v32 :: v_dual_lshlrev_b32 v2, 20, v22
	v_lshl_add_u32 v0, v0, 23, 0x3c000000
	s_delay_alu instid0(VALU_DEP_2) | instskip(NEXT) | instid1(VALU_DEP_1)
	v_and_b32_e32 v1, 0x80000000, v1
	v_or3_b32 v19, v2, v1, v0
.LBB340_890:                            ;   in Loop: Header=BB340_810 Depth=1
	s_or_b32 exec_lo, exec_lo, s17
.LBB340_891:                            ;   in Loop: Header=BB340_810 Depth=1
	s_delay_alu instid0(SALU_CYCLE_1)
	s_or_b32 exec_lo, exec_lo, s16
.LBB340_892:                            ;   in Loop: Header=BB340_810 Depth=1
	s_delay_alu instid0(SALU_CYCLE_1) | instskip(SKIP_3) | instid1(VALU_DEP_2)
	s_or_b32 exec_lo, exec_lo, s11
	v_dual_mov_b32 v29, 0 :: v_dual_lshrrev_b32 v0, 16, v32
	v_mov_b32_e32 v28, 0
	s_mov_b32 s11, exec_lo
	v_and_b32_e32 v1, 0xff, v0
	s_delay_alu instid0(VALU_DEP_1)
	v_cmpx_ne_u16_e32 0, v1
	s_cbranch_execz .LBB340_900
; %bb.893:                              ;   in Loop: Header=BB340_810 Depth=1
	v_bfrev_b32_e32 v28, 1
	s_mov_b32 s16, exec_lo
	v_cmpx_ne_u16_e32 0x80, v1
	s_cbranch_execz .LBB340_899
; %bb.894:                              ;   in Loop: Header=BB340_810 Depth=1
	v_bfe_u32 v34, v32, 16, 7
	v_mov_b32_e32 v28, 0x7f800001
	s_mov_b32 s17, exec_lo
	s_delay_alu instid0(VALU_DEP_2)
	v_cmpx_ne_u32_e32 0x7f, v34
	s_cbranch_execz .LBB340_898
; %bb.895:                              ;   in Loop: Header=BB340_810 Depth=1
	v_dual_lshrrev_b32 v1, 3, v34 :: v_dual_bitop2_b32 v22, 7, v0 bitop3:0x40
	s_mov_b32 s18, exec_lo
	v_cmpx_gt_u32_e32 8, v34
; %bb.896:                              ;   in Loop: Header=BB340_810 Depth=1
	s_delay_alu instid0(VALU_DEP_2) | instskip(NEXT) | instid1(VALU_DEP_1)
	v_clz_i32_u32_e32 v1, v22
	v_min_u32_e32 v1, 32, v1
	s_delay_alu instid0(VALU_DEP_1) | instskip(NEXT) | instid1(VALU_DEP_1)
	v_subrev_nc_u32_e32 v2, 28, v1
	v_lshlrev_b64_e32 v[2:3], v2, v[22:23]
	s_delay_alu instid0(VALU_DEP_1)
	v_dual_sub_nc_u32 v1, 29, v1 :: v_dual_bitop2_b32 v22, 7, v2 bitop3:0x40
; %bb.897:                              ;   in Loop: Header=BB340_810 Depth=1
	s_or_b32 exec_lo, exec_lo, s18
	s_delay_alu instid0(VALU_DEP_1) | instskip(NEXT) | instid1(VALU_DEP_2)
	v_dual_lshlrev_b32 v0, 24, v0 :: v_dual_lshlrev_b32 v2, 20, v22
	v_lshl_add_u32 v1, v1, 23, 0x3c000000
	s_delay_alu instid0(VALU_DEP_2) | instskip(NEXT) | instid1(VALU_DEP_1)
	v_and_b32_e32 v0, 0x80000000, v0
	v_or3_b32 v28, v2, v0, v1
.LBB340_898:                            ;   in Loop: Header=BB340_810 Depth=1
	s_or_b32 exec_lo, exec_lo, s17
.LBB340_899:                            ;   in Loop: Header=BB340_810 Depth=1
	s_delay_alu instid0(SALU_CYCLE_1)
	s_or_b32 exec_lo, exec_lo, s16
.LBB340_900:                            ;   in Loop: Header=BB340_810 Depth=1
	s_delay_alu instid0(SALU_CYCLE_1) | instskip(NEXT) | instid1(SALU_CYCLE_1)
	s_or_b32 exec_lo, exec_lo, s11
	s_mov_b32 s11, exec_lo
	v_cmpx_lt_u32_e32 0xffffff, v32
	s_cbranch_execz .LBB340_908
; %bb.901:                              ;   in Loop: Header=BB340_810 Depth=1
	v_lshrrev_b32_e32 v0, 24, v32
	v_bfrev_b32_e32 v29, 1
	s_mov_b32 s16, exec_lo
	s_delay_alu instid0(VALU_DEP_2)
	v_cmpx_ne_u32_e32 0x80, v0
	s_cbranch_execz .LBB340_907
; %bb.902:                              ;   in Loop: Header=BB340_810 Depth=1
	v_bfe_u32 v34, v32, 24, 7
	v_mov_b32_e32 v29, 0x7f800001
	s_mov_b32 s17, exec_lo
	s_delay_alu instid0(VALU_DEP_2)
	v_cmpx_ne_u32_e32 0x7f, v34
	s_cbranch_execz .LBB340_906
; %bb.903:                              ;   in Loop: Header=BB340_810 Depth=1
	v_dual_lshrrev_b32 v1, 3, v34 :: v_dual_bitop2_b32 v22, 7, v0 bitop3:0x40
	s_mov_b32 s18, exec_lo
	v_cmpx_gt_u32_e32 8, v34
; %bb.904:                              ;   in Loop: Header=BB340_810 Depth=1
	s_delay_alu instid0(VALU_DEP_2) | instskip(NEXT) | instid1(VALU_DEP_1)
	v_clz_i32_u32_e32 v1, v22
	v_min_u32_e32 v1, 32, v1
	s_delay_alu instid0(VALU_DEP_1) | instskip(NEXT) | instid1(VALU_DEP_1)
	v_subrev_nc_u32_e32 v2, 28, v1
	v_lshlrev_b64_e32 v[2:3], v2, v[22:23]
	s_delay_alu instid0(VALU_DEP_1)
	v_dual_sub_nc_u32 v1, 29, v1 :: v_dual_bitop2_b32 v22, 7, v2 bitop3:0x40
; %bb.905:                              ;   in Loop: Header=BB340_810 Depth=1
	s_or_b32 exec_lo, exec_lo, s18
	s_delay_alu instid0(VALU_DEP_1) | instskip(NEXT) | instid1(VALU_DEP_2)
	v_dual_lshlrev_b32 v0, 24, v0 :: v_dual_lshlrev_b32 v2, 20, v22
	v_lshl_add_u32 v1, v1, 23, 0x3c000000
	s_delay_alu instid0(VALU_DEP_2) | instskip(NEXT) | instid1(VALU_DEP_1)
	v_and_b32_e32 v0, 0x80000000, v0
	v_or3_b32 v29, v2, v0, v1
.LBB340_906:                            ;   in Loop: Header=BB340_810 Depth=1
	s_or_b32 exec_lo, exec_lo, s17
.LBB340_907:                            ;   in Loop: Header=BB340_810 Depth=1
	s_delay_alu instid0(SALU_CYCLE_1)
	s_or_b32 exec_lo, exec_lo, s16
.LBB340_908:                            ;   in Loop: Header=BB340_810 Depth=1
	s_delay_alu instid0(SALU_CYCLE_1) | instskip(SKIP_4) | instid1(VALU_DEP_3)
	s_or_b32 exec_lo, exec_lo, s11
	v_and_b32_e32 v2, 0xff, v33
	v_dual_mov_b32 v22, v33 :: v_dual_mov_b32 v0, 0
	v_mov_b32_e32 v1, 0
	s_mov_b32 s11, exec_lo
	v_cmpx_ne_u16_e32 0, v2
	s_cbranch_execz .LBB340_916
; %bb.909:                              ;   in Loop: Header=BB340_810 Depth=1
	v_bfrev_b32_e32 v1, 1
	s_mov_b32 s16, exec_lo
	v_cmpx_ne_u16_e32 0x80, v2
	s_cbranch_execz .LBB340_915
; %bb.910:                              ;   in Loop: Header=BB340_810 Depth=1
	v_and_b32_e32 v2, 0x7f, v33
	v_mov_b32_e32 v1, 0x7f800001
	s_mov_b32 s17, exec_lo
	s_delay_alu instid0(VALU_DEP_2)
	v_cmpx_ne_u32_e32 0x7f, v2
	s_cbranch_execz .LBB340_914
; %bb.911:                              ;   in Loop: Header=BB340_810 Depth=1
	v_mov_b64_e32 v[34:35], v[22:23]
	v_lshrrev_b32_e32 v1, 3, v2
	s_mov_b32 s18, exec_lo
	v_cmpx_gt_u32_e32 8, v2
; %bb.912:                              ;   in Loop: Header=BB340_810 Depth=1
	v_and_b32_e32 v1, 7, v33
	s_delay_alu instid0(VALU_DEP_1) | instskip(NEXT) | instid1(VALU_DEP_1)
	v_clz_i32_u32_e32 v1, v1
	v_min_u32_e32 v1, 32, v1
	s_delay_alu instid0(VALU_DEP_1) | instskip(SKIP_1) | instid1(VALU_DEP_2)
	v_subrev_nc_u32_e32 v2, 28, v1
	v_sub_nc_u32_e32 v1, 29, v1
	v_lshlrev_b64_e32 v[34:35], v2, v[22:23]
; %bb.913:                              ;   in Loop: Header=BB340_810 Depth=1
	s_or_b32 exec_lo, exec_lo, s18
	s_delay_alu instid0(VALU_DEP_1) | instskip(SKIP_2) | instid1(VALU_DEP_3)
	v_lshlrev_b32_e32 v2, 20, v34
	v_lshlrev_b32_e32 v3, 24, v22
	v_lshl_add_u32 v1, v1, 23, 0x3c000000
	v_and_b32_e32 v2, 0x700000, v2
	s_delay_alu instid0(VALU_DEP_3) | instskip(NEXT) | instid1(VALU_DEP_1)
	v_and_b32_e32 v3, 0x80000000, v3
	v_or3_b32 v1, v2, v3, v1
.LBB340_914:                            ;   in Loop: Header=BB340_810 Depth=1
	s_or_b32 exec_lo, exec_lo, s17
.LBB340_915:                            ;   in Loop: Header=BB340_810 Depth=1
	s_delay_alu instid0(SALU_CYCLE_1)
	s_or_b32 exec_lo, exec_lo, s16
.LBB340_916:                            ;   in Loop: Header=BB340_810 Depth=1
	s_delay_alu instid0(SALU_CYCLE_1) | instskip(SKIP_2) | instid1(VALU_DEP_1)
	s_or_b32 exec_lo, exec_lo, s11
	v_lshrrev_b16 v34, 8, v22
	s_mov_b32 s11, exec_lo
	v_cmpx_ne_u16_e32 0, v34
	s_cbranch_execz .LBB340_924
; %bb.917:                              ;   in Loop: Header=BB340_810 Depth=1
	v_bfrev_b32_e32 v0, 1
	s_mov_b32 s16, exec_lo
	v_cmpx_ne_u16_e32 0x80, v34
	s_cbranch_execz .LBB340_923
; %bb.918:                              ;   in Loop: Header=BB340_810 Depth=1
	v_and_b32_e32 v2, 0xffff, v34
	v_mov_b32_e32 v0, 0x7f800001
	s_mov_b32 s17, exec_lo
	s_delay_alu instid0(VALU_DEP_2) | instskip(NEXT) | instid1(VALU_DEP_1)
	v_and_b32_e32 v36, 0x7f, v2
	v_cmpx_ne_u32_e32 0x7f, v36
	s_cbranch_execz .LBB340_922
; %bb.919:                              ;   in Loop: Header=BB340_810 Depth=1
	v_dual_mov_b32 v35, v23 :: v_dual_bitop2_b32 v34, 7, v2 bitop3:0x40
	v_lshrrev_b32_e32 v0, 3, v36
	s_mov_b32 s18, exec_lo
	v_cmpx_gt_u32_e32 8, v36
; %bb.920:                              ;   in Loop: Header=BB340_810 Depth=1
	s_delay_alu instid0(VALU_DEP_3) | instskip(NEXT) | instid1(VALU_DEP_1)
	v_clz_i32_u32_e32 v0, v34
	v_min_u32_e32 v0, 32, v0
	s_delay_alu instid0(VALU_DEP_1) | instskip(NEXT) | instid1(VALU_DEP_1)
	v_subrev_nc_u32_e32 v2, 28, v0
	v_lshlrev_b64_e32 v[2:3], v2, v[34:35]
	s_delay_alu instid0(VALU_DEP_1)
	v_dual_sub_nc_u32 v0, 29, v0 :: v_dual_bitop2_b32 v34, 7, v2 bitop3:0x40
; %bb.921:                              ;   in Loop: Header=BB340_810 Depth=1
	s_or_b32 exec_lo, exec_lo, s18
	v_lshlrev_b32_e32 v2, 16, v22
	s_delay_alu instid0(VALU_DEP_2) | instskip(NEXT) | instid1(VALU_DEP_3)
	v_lshlrev_b32_e32 v3, 20, v34
	v_lshl_add_u32 v0, v0, 23, 0x3c000000
	s_delay_alu instid0(VALU_DEP_3) | instskip(NEXT) | instid1(VALU_DEP_1)
	v_and_b32_e32 v2, 0x80000000, v2
	v_or3_b32 v0, v3, v2, v0
.LBB340_922:                            ;   in Loop: Header=BB340_810 Depth=1
	s_or_b32 exec_lo, exec_lo, s17
.LBB340_923:                            ;   in Loop: Header=BB340_810 Depth=1
	s_delay_alu instid0(SALU_CYCLE_1)
	s_or_b32 exec_lo, exec_lo, s16
.LBB340_924:                            ;   in Loop: Header=BB340_810 Depth=1
	s_delay_alu instid0(SALU_CYCLE_1) | instskip(SKIP_3) | instid1(VALU_DEP_2)
	s_or_b32 exec_lo, exec_lo, s11
	v_dual_lshrrev_b32 v36, 16, v33 :: v_dual_mov_b32 v34, 0
	v_mov_b32_e32 v35, 0
	s_mov_b32 s11, exec_lo
	v_and_b32_e32 v2, 0xff, v36
	s_delay_alu instid0(VALU_DEP_1)
	v_cmpx_ne_u16_e32 0, v2
	s_cbranch_execz .LBB340_932
; %bb.925:                              ;   in Loop: Header=BB340_810 Depth=1
	v_bfrev_b32_e32 v35, 1
	s_mov_b32 s16, exec_lo
	v_cmpx_ne_u16_e32 0x80, v2
	s_cbranch_execz .LBB340_931
; %bb.926:                              ;   in Loop: Header=BB340_810 Depth=1
	v_bfe_u32 v37, v33, 16, 7
	v_mov_b32_e32 v35, 0x7f800001
	s_mov_b32 s17, exec_lo
	s_delay_alu instid0(VALU_DEP_2)
	v_cmpx_ne_u32_e32 0x7f, v37
	s_cbranch_execz .LBB340_930
; %bb.927:                              ;   in Loop: Header=BB340_810 Depth=1
	v_dual_lshrrev_b32 v35, 3, v37 :: v_dual_bitop2_b32 v22, 7, v36 bitop3:0x40
	s_mov_b32 s18, exec_lo
	v_cmpx_gt_u32_e32 8, v37
; %bb.928:                              ;   in Loop: Header=BB340_810 Depth=1
	s_delay_alu instid0(VALU_DEP_2) | instskip(NEXT) | instid1(VALU_DEP_1)
	v_clz_i32_u32_e32 v2, v22
	v_min_u32_e32 v4, 32, v2
	s_delay_alu instid0(VALU_DEP_1) | instskip(NEXT) | instid1(VALU_DEP_1)
	v_subrev_nc_u32_e32 v2, 28, v4
	v_lshlrev_b64_e32 v[2:3], v2, v[22:23]
	s_delay_alu instid0(VALU_DEP_1)
	v_dual_sub_nc_u32 v35, 29, v4 :: v_dual_bitop2_b32 v22, 7, v2 bitop3:0x40
; %bb.929:                              ;   in Loop: Header=BB340_810 Depth=1
	s_or_b32 exec_lo, exec_lo, s18
	s_delay_alu instid0(VALU_DEP_1) | instskip(NEXT) | instid1(VALU_DEP_2)
	v_dual_lshlrev_b32 v2, 24, v36 :: v_dual_lshlrev_b32 v3, 20, v22
	v_lshl_add_u32 v4, v35, 23, 0x3c000000
	s_delay_alu instid0(VALU_DEP_2) | instskip(NEXT) | instid1(VALU_DEP_1)
	v_and_b32_e32 v2, 0x80000000, v2
	v_or3_b32 v35, v3, v2, v4
.LBB340_930:                            ;   in Loop: Header=BB340_810 Depth=1
	s_or_b32 exec_lo, exec_lo, s17
.LBB340_931:                            ;   in Loop: Header=BB340_810 Depth=1
	s_delay_alu instid0(SALU_CYCLE_1)
	s_or_b32 exec_lo, exec_lo, s16
.LBB340_932:                            ;   in Loop: Header=BB340_810 Depth=1
	s_delay_alu instid0(SALU_CYCLE_1) | instskip(NEXT) | instid1(SALU_CYCLE_1)
	s_or_b32 exec_lo, exec_lo, s11
	s_mov_b32 s11, exec_lo
	v_cmpx_lt_u64_e64 s[2:3], v[32:33]
	s_cbranch_execz .LBB340_940
; %bb.933:                              ;   in Loop: Header=BB340_810 Depth=1
	v_lshrrev_b32_e32 v32, 24, v33
	v_bfrev_b32_e32 v34, 1
	s_mov_b32 s16, exec_lo
	s_delay_alu instid0(VALU_DEP_2)
	v_cmpx_ne_u32_e32 0x80, v32
	s_cbranch_execz .LBB340_939
; %bb.934:                              ;   in Loop: Header=BB340_810 Depth=1
	v_bfe_u32 v36, v33, 24, 7
	v_mov_b32_e32 v34, 0x7f800001
	s_mov_b32 s17, exec_lo
	s_delay_alu instid0(VALU_DEP_2)
	v_cmpx_ne_u32_e32 0x7f, v36
	s_cbranch_execz .LBB340_938
; %bb.935:                              ;   in Loop: Header=BB340_810 Depth=1
	v_and_b32_e32 v22, 7, v32
	v_lshrrev_b32_e32 v33, 3, v36
	s_mov_b32 s18, exec_lo
	v_cmpx_gt_u32_e32 8, v36
; %bb.936:                              ;   in Loop: Header=BB340_810 Depth=1
	s_delay_alu instid0(VALU_DEP_3) | instskip(NEXT) | instid1(VALU_DEP_1)
	v_clz_i32_u32_e32 v2, v22
	v_min_u32_e32 v4, 32, v2
	s_delay_alu instid0(VALU_DEP_1) | instskip(NEXT) | instid1(VALU_DEP_1)
	v_subrev_nc_u32_e32 v2, 28, v4
	v_lshlrev_b64_e32 v[2:3], v2, v[22:23]
	s_delay_alu instid0(VALU_DEP_1)
	v_dual_sub_nc_u32 v33, 29, v4 :: v_dual_bitop2_b32 v22, 7, v2 bitop3:0x40
; %bb.937:                              ;   in Loop: Header=BB340_810 Depth=1
	s_or_b32 exec_lo, exec_lo, s18
	s_delay_alu instid0(VALU_DEP_1) | instskip(NEXT) | instid1(VALU_DEP_2)
	v_dual_lshlrev_b32 v2, 24, v32 :: v_dual_lshlrev_b32 v3, 20, v22
	v_lshl_add_u32 v4, v33, 23, 0x3c000000
	s_delay_alu instid0(VALU_DEP_2) | instskip(NEXT) | instid1(VALU_DEP_1)
	v_and_b32_e32 v2, 0x80000000, v2
	v_or3_b32 v34, v3, v2, v4
.LBB340_938:                            ;   in Loop: Header=BB340_810 Depth=1
	s_or_b32 exec_lo, exec_lo, s17
.LBB340_939:                            ;   in Loop: Header=BB340_810 Depth=1
	s_delay_alu instid0(SALU_CYCLE_1)
	s_or_b32 exec_lo, exec_lo, s16
.LBB340_940:                            ;   in Loop: Header=BB340_810 Depth=1
	s_delay_alu instid0(SALU_CYCLE_1)
	s_or_b32 exec_lo, exec_lo, s11
	v_fma_mixlo_bf16 v0, v51, v0, 0
	v_fma_mixlo_bf16 v39, v51, v29, 0
	;; [unrolled: 1-line block ×5, first 2 shown]
	scratch_store_b32 off, v0, s32 offset:224 ; 4-byte Folded Spill
	s_wait_xcnt 0x0
	v_fma_mixlo_bf16 v0, v51, v1, 0
	v_fma_mixlo_bf16 v1, v51, v35, 0
	;; [unrolled: 1-line block ×3, first 2 shown]
	s_and_saveexec_b32 s11, vcc_lo
	s_cbranch_execz .LBB340_942
; %bb.941:                              ;   in Loop: Header=BB340_810 Depth=1
	scratch_load_b32 v2, off, s32 offset:224 ; 4-byte Folded Reload
	v_cmp_lt_i32_e64 s0, v84, v48
	s_delay_alu instid0(VALU_DEP_1) | instskip(SKIP_1) | instid1(VALU_DEP_1)
	v_cndmask_b32_e64 v81, 0, v81, s0
	v_cmp_lt_i32_e64 s0, v96, v48
	v_cndmask_b32_e64 v80, 0, v80, s0
	v_cmp_lt_i32_e64 s0, v87, v48
	s_delay_alu instid0(VALU_DEP_1) | instskip(SKIP_1) | instid1(VALU_DEP_1)
	v_cndmask_b32_e64 v71, 0, v71, s0
	v_cmp_lt_i32_e64 s0, v86, v48
	v_cndmask_b32_e64 v39, 0, v39, s0
	v_cmp_lt_i32_e64 s0, v85, v48
	s_delay_alu instid0(VALU_DEP_1) | instskip(SKIP_2) | instid1(VALU_DEP_1)
	v_cndmask_b32_e64 v0, 0, v0, s0
	v_cmp_lt_i32_e64 s0, v83, v48
	s_wait_loadcnt 0x0
	v_cndmask_b32_e64 v2, 0, v2, s0
	v_cmp_lt_i32_e64 s0, v82, v48
	scratch_store_b32 off, v2, s32 offset:224 ; 4-byte Folded Spill
	v_cndmask_b32_e64 v1, 0, v1, s0
	v_cmp_lt_i32_e64 s0, v52, v48
	s_delay_alu instid0(VALU_DEP_1)
	v_cndmask_b32_e64 v38, 0, v38, s0
.LBB340_942:                            ;   in Loop: Header=BB340_810 Depth=1
	s_wait_xcnt 0x0
	s_or_b32 exec_lo, exec_lo, s11
	flat_load_b64 v[32:33], v[30:31] offset:512
	v_dual_mov_b32 v19, 0 :: v_dual_mov_b32 v18, 0
	s_mov_b32 s11, exec_lo
	s_wait_loadcnt_dscnt 0x0
	v_and_b32_e32 v2, 0xff, v32
	s_wait_xcnt 0x0
	s_delay_alu instid0(VALU_DEP_1)
	v_cmpx_ne_u16_e32 0, v2
	s_cbranch_execz .LBB340_950
; %bb.943:                              ;   in Loop: Header=BB340_810 Depth=1
	v_bfrev_b32_e32 v18, 1
	s_mov_b32 s16, exec_lo
	v_cmpx_ne_u16_e32 0x80, v2
	s_cbranch_execz .LBB340_949
; %bb.944:                              ;   in Loop: Header=BB340_810 Depth=1
	v_and_b32_e32 v2, 0x7f, v32
	v_mov_b32_e32 v18, 0x7f800001
	s_mov_b32 s17, exec_lo
	s_delay_alu instid0(VALU_DEP_2)
	v_cmpx_ne_u32_e32 0x7f, v2
	s_cbranch_execz .LBB340_948
; %bb.945:                              ;   in Loop: Header=BB340_810 Depth=1
	v_mov_b64_e32 v[34:35], v[32:33]
	v_lshrrev_b32_e32 v18, 3, v2
	s_mov_b32 s18, exec_lo
	v_cmpx_gt_u32_e32 8, v2
; %bb.946:                              ;   in Loop: Header=BB340_810 Depth=1
	v_and_b32_e32 v2, 7, v32
	s_delay_alu instid0(VALU_DEP_1) | instskip(NEXT) | instid1(VALU_DEP_1)
	v_clz_i32_u32_e32 v2, v2
	v_min_u32_e32 v2, 32, v2
	s_delay_alu instid0(VALU_DEP_1) | instskip(SKIP_1) | instid1(VALU_DEP_2)
	v_subrev_nc_u32_e32 v3, 28, v2
	v_sub_nc_u32_e32 v18, 29, v2
	v_lshlrev_b64_e32 v[34:35], v3, v[32:33]
; %bb.947:                              ;   in Loop: Header=BB340_810 Depth=1
	s_or_b32 exec_lo, exec_lo, s18
	s_delay_alu instid0(VALU_DEP_1) | instskip(NEXT) | instid1(VALU_DEP_3)
	v_dual_lshlrev_b32 v2, 20, v34 :: v_dual_lshlrev_b32 v3, 24, v32
	v_lshl_add_u32 v4, v18, 23, 0x3c000000
	s_delay_alu instid0(VALU_DEP_2) | instskip(NEXT) | instid1(VALU_DEP_3)
	v_and_b32_e32 v2, 0x700000, v2
	v_and_b32_e32 v3, 0x80000000, v3
	s_delay_alu instid0(VALU_DEP_1)
	v_or3_b32 v18, v2, v3, v4
.LBB340_948:                            ;   in Loop: Header=BB340_810 Depth=1
	s_or_b32 exec_lo, exec_lo, s17
.LBB340_949:                            ;   in Loop: Header=BB340_810 Depth=1
	s_delay_alu instid0(SALU_CYCLE_1)
	s_or_b32 exec_lo, exec_lo, s16
.LBB340_950:                            ;   in Loop: Header=BB340_810 Depth=1
	s_delay_alu instid0(SALU_CYCLE_1) | instskip(SKIP_2) | instid1(VALU_DEP_1)
	s_or_b32 exec_lo, exec_lo, s11
	v_lshrrev_b16 v22, 8, v32
	s_mov_b32 s11, exec_lo
	v_cmpx_ne_u16_e32 0, v22
	s_cbranch_execz .LBB340_958
; %bb.951:                              ;   in Loop: Header=BB340_810 Depth=1
	v_bfrev_b32_e32 v19, 1
	s_mov_b32 s16, exec_lo
	v_cmpx_ne_u16_e32 0x80, v22
	s_cbranch_execz .LBB340_957
; %bb.952:                              ;   in Loop: Header=BB340_810 Depth=1
	v_and_b32_e32 v2, 0xffff, v22
	v_mov_b32_e32 v19, 0x7f800001
	s_mov_b32 s17, exec_lo
	s_delay_alu instid0(VALU_DEP_2) | instskip(NEXT) | instid1(VALU_DEP_1)
	v_and_b32_e32 v28, 0x7f, v2
	v_cmpx_ne_u32_e32 0x7f, v28
	s_cbranch_execz .LBB340_956
; %bb.953:                              ;   in Loop: Header=BB340_810 Depth=1
	v_dual_lshrrev_b32 v19, 3, v28 :: v_dual_bitop2_b32 v22, 7, v2 bitop3:0x40
	s_mov_b32 s18, exec_lo
	v_cmpx_gt_u32_e32 8, v28
; %bb.954:                              ;   in Loop: Header=BB340_810 Depth=1
	s_delay_alu instid0(VALU_DEP_2) | instskip(NEXT) | instid1(VALU_DEP_1)
	v_clz_i32_u32_e32 v2, v22
	v_min_u32_e32 v4, 32, v2
	s_delay_alu instid0(VALU_DEP_1) | instskip(NEXT) | instid1(VALU_DEP_1)
	v_subrev_nc_u32_e32 v2, 28, v4
	v_lshlrev_b64_e32 v[2:3], v2, v[22:23]
	s_delay_alu instid0(VALU_DEP_1)
	v_dual_sub_nc_u32 v19, 29, v4 :: v_dual_bitop2_b32 v22, 7, v2 bitop3:0x40
; %bb.955:                              ;   in Loop: Header=BB340_810 Depth=1
	s_or_b32 exec_lo, exec_lo, s18
	s_delay_alu instid0(VALU_DEP_1) | instskip(NEXT) | instid1(VALU_DEP_2)
	v_dual_lshlrev_b32 v2, 16, v32 :: v_dual_lshlrev_b32 v3, 20, v22
	v_lshl_add_u32 v4, v19, 23, 0x3c000000
	s_delay_alu instid0(VALU_DEP_2) | instskip(NEXT) | instid1(VALU_DEP_1)
	v_and_b32_e32 v2, 0x80000000, v2
	v_or3_b32 v19, v3, v2, v4
.LBB340_956:                            ;   in Loop: Header=BB340_810 Depth=1
	s_or_b32 exec_lo, exec_lo, s17
.LBB340_957:                            ;   in Loop: Header=BB340_810 Depth=1
	s_delay_alu instid0(SALU_CYCLE_1)
	s_or_b32 exec_lo, exec_lo, s16
.LBB340_958:                            ;   in Loop: Header=BB340_810 Depth=1
	s_delay_alu instid0(SALU_CYCLE_1) | instskip(SKIP_3) | instid1(VALU_DEP_2)
	s_or_b32 exec_lo, exec_lo, s11
	v_dual_mov_b32 v29, 0 :: v_dual_lshrrev_b32 v34, 16, v32
	v_mov_b32_e32 v28, 0
	s_mov_b32 s11, exec_lo
	v_and_b32_e32 v2, 0xff, v34
	s_delay_alu instid0(VALU_DEP_1)
	v_cmpx_ne_u16_e32 0, v2
	s_cbranch_execz .LBB340_966
; %bb.959:                              ;   in Loop: Header=BB340_810 Depth=1
	v_bfrev_b32_e32 v28, 1
	s_mov_b32 s16, exec_lo
	v_cmpx_ne_u16_e32 0x80, v2
	s_cbranch_execz .LBB340_965
; %bb.960:                              ;   in Loop: Header=BB340_810 Depth=1
	v_bfe_u32 v35, v32, 16, 7
	v_mov_b32_e32 v28, 0x7f800001
	s_mov_b32 s17, exec_lo
	s_delay_alu instid0(VALU_DEP_2)
	v_cmpx_ne_u32_e32 0x7f, v35
	s_cbranch_execz .LBB340_964
; %bb.961:                              ;   in Loop: Header=BB340_810 Depth=1
	v_dual_lshrrev_b32 v28, 3, v35 :: v_dual_bitop2_b32 v22, 7, v34 bitop3:0x40
	s_mov_b32 s18, exec_lo
	v_cmpx_gt_u32_e32 8, v35
; %bb.962:                              ;   in Loop: Header=BB340_810 Depth=1
	s_delay_alu instid0(VALU_DEP_2) | instskip(NEXT) | instid1(VALU_DEP_1)
	v_clz_i32_u32_e32 v2, v22
	v_min_u32_e32 v4, 32, v2
	s_delay_alu instid0(VALU_DEP_1) | instskip(NEXT) | instid1(VALU_DEP_1)
	v_subrev_nc_u32_e32 v2, 28, v4
	v_lshlrev_b64_e32 v[2:3], v2, v[22:23]
	s_delay_alu instid0(VALU_DEP_1)
	v_dual_sub_nc_u32 v28, 29, v4 :: v_dual_bitop2_b32 v22, 7, v2 bitop3:0x40
; %bb.963:                              ;   in Loop: Header=BB340_810 Depth=1
	s_or_b32 exec_lo, exec_lo, s18
	v_lshlrev_b32_e32 v2, 24, v34
	s_delay_alu instid0(VALU_DEP_2) | instskip(NEXT) | instid1(VALU_DEP_3)
	v_lshlrev_b32_e32 v3, 20, v22
	v_lshl_add_u32 v4, v28, 23, 0x3c000000
	s_delay_alu instid0(VALU_DEP_3) | instskip(NEXT) | instid1(VALU_DEP_1)
	v_and_b32_e32 v2, 0x80000000, v2
	v_or3_b32 v28, v3, v2, v4
.LBB340_964:                            ;   in Loop: Header=BB340_810 Depth=1
	s_or_b32 exec_lo, exec_lo, s17
.LBB340_965:                            ;   in Loop: Header=BB340_810 Depth=1
	s_delay_alu instid0(SALU_CYCLE_1)
	s_or_b32 exec_lo, exec_lo, s16
.LBB340_966:                            ;   in Loop: Header=BB340_810 Depth=1
	s_delay_alu instid0(SALU_CYCLE_1) | instskip(NEXT) | instid1(SALU_CYCLE_1)
	s_or_b32 exec_lo, exec_lo, s11
	s_mov_b32 s11, exec_lo
	v_cmpx_lt_u32_e32 0xffffff, v32
	s_cbranch_execz .LBB340_974
; %bb.967:                              ;   in Loop: Header=BB340_810 Depth=1
	v_lshrrev_b32_e32 v34, 24, v32
	v_bfrev_b32_e32 v29, 1
	s_mov_b32 s16, exec_lo
	s_delay_alu instid0(VALU_DEP_2)
	v_cmpx_ne_u32_e32 0x80, v34
	s_cbranch_execz .LBB340_973
; %bb.968:                              ;   in Loop: Header=BB340_810 Depth=1
	v_bfe_u32 v35, v32, 24, 7
	v_mov_b32_e32 v29, 0x7f800001
	s_mov_b32 s17, exec_lo
	s_delay_alu instid0(VALU_DEP_2)
	v_cmpx_ne_u32_e32 0x7f, v35
	s_cbranch_execz .LBB340_972
; %bb.969:                              ;   in Loop: Header=BB340_810 Depth=1
	v_dual_lshrrev_b32 v29, 3, v35 :: v_dual_bitop2_b32 v22, 7, v34 bitop3:0x40
	s_mov_b32 s18, exec_lo
	v_cmpx_gt_u32_e32 8, v35
; %bb.970:                              ;   in Loop: Header=BB340_810 Depth=1
	s_delay_alu instid0(VALU_DEP_2) | instskip(NEXT) | instid1(VALU_DEP_1)
	v_clz_i32_u32_e32 v2, v22
	v_min_u32_e32 v4, 32, v2
	s_delay_alu instid0(VALU_DEP_1) | instskip(NEXT) | instid1(VALU_DEP_1)
	v_subrev_nc_u32_e32 v2, 28, v4
	v_lshlrev_b64_e32 v[2:3], v2, v[22:23]
	s_delay_alu instid0(VALU_DEP_1)
	v_dual_sub_nc_u32 v29, 29, v4 :: v_dual_bitop2_b32 v22, 7, v2 bitop3:0x40
; %bb.971:                              ;   in Loop: Header=BB340_810 Depth=1
	s_or_b32 exec_lo, exec_lo, s18
	v_lshlrev_b32_e32 v2, 24, v34
	s_delay_alu instid0(VALU_DEP_2) | instskip(NEXT) | instid1(VALU_DEP_3)
	v_lshlrev_b32_e32 v3, 20, v22
	v_lshl_add_u32 v4, v29, 23, 0x3c000000
	s_delay_alu instid0(VALU_DEP_3) | instskip(NEXT) | instid1(VALU_DEP_1)
	v_and_b32_e32 v2, 0x80000000, v2
	v_or3_b32 v29, v3, v2, v4
.LBB340_972:                            ;   in Loop: Header=BB340_810 Depth=1
	s_or_b32 exec_lo, exec_lo, s17
.LBB340_973:                            ;   in Loop: Header=BB340_810 Depth=1
	s_delay_alu instid0(SALU_CYCLE_1)
	s_or_b32 exec_lo, exec_lo, s16
.LBB340_974:                            ;   in Loop: Header=BB340_810 Depth=1
	s_delay_alu instid0(SALU_CYCLE_1) | instskip(SKIP_4) | instid1(VALU_DEP_3)
	s_or_b32 exec_lo, exec_lo, s11
	v_and_b32_e32 v2, 0xff, v33
	v_dual_mov_b32 v22, v33 :: v_dual_mov_b32 v37, 0
	v_mov_b32_e32 v49, 0
	s_mov_b32 s11, exec_lo
	v_cmpx_ne_u16_e32 0, v2
	s_cbranch_execz .LBB340_982
; %bb.975:                              ;   in Loop: Header=BB340_810 Depth=1
	v_bfrev_b32_e32 v49, 1
	s_mov_b32 s16, exec_lo
	v_cmpx_ne_u16_e32 0x80, v2
	s_cbranch_execz .LBB340_981
; %bb.976:                              ;   in Loop: Header=BB340_810 Depth=1
	v_and_b32_e32 v2, 0x7f, v33
	v_mov_b32_e32 v49, 0x7f800001
	s_mov_b32 s17, exec_lo
	s_delay_alu instid0(VALU_DEP_2)
	v_cmpx_ne_u32_e32 0x7f, v2
	s_cbranch_execz .LBB340_980
; %bb.977:                              ;   in Loop: Header=BB340_810 Depth=1
	v_mov_b64_e32 v[34:35], v[22:23]
	v_lshrrev_b32_e32 v49, 3, v2
	s_mov_b32 s18, exec_lo
	v_cmpx_gt_u32_e32 8, v2
; %bb.978:                              ;   in Loop: Header=BB340_810 Depth=1
	v_and_b32_e32 v2, 7, v33
	s_delay_alu instid0(VALU_DEP_1) | instskip(NEXT) | instid1(VALU_DEP_1)
	v_clz_i32_u32_e32 v2, v2
	v_min_u32_e32 v2, 32, v2
	s_delay_alu instid0(VALU_DEP_1) | instskip(SKIP_1) | instid1(VALU_DEP_2)
	v_subrev_nc_u32_e32 v3, 28, v2
	v_sub_nc_u32_e32 v49, 29, v2
	v_lshlrev_b64_e32 v[34:35], v3, v[22:23]
; %bb.979:                              ;   in Loop: Header=BB340_810 Depth=1
	s_or_b32 exec_lo, exec_lo, s18
	s_delay_alu instid0(VALU_DEP_1) | instskip(SKIP_2) | instid1(VALU_DEP_3)
	v_lshlrev_b32_e32 v2, 20, v34
	v_lshlrev_b32_e32 v3, 24, v22
	v_lshl_add_u32 v4, v49, 23, 0x3c000000
	v_and_b32_e32 v2, 0x700000, v2
	s_delay_alu instid0(VALU_DEP_3) | instskip(NEXT) | instid1(VALU_DEP_1)
	v_and_b32_e32 v3, 0x80000000, v3
	v_or3_b32 v49, v2, v3, v4
.LBB340_980:                            ;   in Loop: Header=BB340_810 Depth=1
	s_or_b32 exec_lo, exec_lo, s17
.LBB340_981:                            ;   in Loop: Header=BB340_810 Depth=1
	s_delay_alu instid0(SALU_CYCLE_1)
	s_or_b32 exec_lo, exec_lo, s16
.LBB340_982:                            ;   in Loop: Header=BB340_810 Depth=1
	s_delay_alu instid0(SALU_CYCLE_1) | instskip(SKIP_2) | instid1(VALU_DEP_1)
	s_or_b32 exec_lo, exec_lo, s11
	v_lshrrev_b16 v34, 8, v22
	s_mov_b32 s11, exec_lo
	v_cmpx_ne_u16_e32 0, v34
	s_cbranch_execz .LBB340_990
; %bb.983:                              ;   in Loop: Header=BB340_810 Depth=1
	v_bfrev_b32_e32 v37, 1
	s_mov_b32 s16, exec_lo
	v_cmpx_ne_u16_e32 0x80, v34
	s_cbranch_execz .LBB340_989
; %bb.984:                              ;   in Loop: Header=BB340_810 Depth=1
	v_and_b32_e32 v2, 0xffff, v34
	v_mov_b32_e32 v37, 0x7f800001
	s_mov_b32 s17, exec_lo
	s_delay_alu instid0(VALU_DEP_2) | instskip(NEXT) | instid1(VALU_DEP_1)
	v_and_b32_e32 v50, 0x7f, v2
	v_cmpx_ne_u32_e32 0x7f, v50
	s_cbranch_execz .LBB340_988
; %bb.985:                              ;   in Loop: Header=BB340_810 Depth=1
	v_dual_mov_b32 v35, v23 :: v_dual_bitop2_b32 v34, 7, v2 bitop3:0x40
	v_lshrrev_b32_e32 v37, 3, v50
	s_mov_b32 s18, exec_lo
	v_cmpx_gt_u32_e32 8, v50
; %bb.986:                              ;   in Loop: Header=BB340_810 Depth=1
	s_delay_alu instid0(VALU_DEP_3) | instskip(NEXT) | instid1(VALU_DEP_1)
	v_clz_i32_u32_e32 v2, v34
	v_min_u32_e32 v4, 32, v2
	s_delay_alu instid0(VALU_DEP_1) | instskip(NEXT) | instid1(VALU_DEP_1)
	v_subrev_nc_u32_e32 v2, 28, v4
	v_lshlrev_b64_e32 v[2:3], v2, v[34:35]
	s_delay_alu instid0(VALU_DEP_1)
	v_dual_sub_nc_u32 v37, 29, v4 :: v_dual_bitop2_b32 v34, 7, v2 bitop3:0x40
; %bb.987:                              ;   in Loop: Header=BB340_810 Depth=1
	s_or_b32 exec_lo, exec_lo, s18
	v_lshlrev_b32_e32 v2, 16, v22
	s_delay_alu instid0(VALU_DEP_2) | instskip(NEXT) | instid1(VALU_DEP_3)
	v_lshlrev_b32_e32 v3, 20, v34
	v_lshl_add_u32 v4, v37, 23, 0x3c000000
	s_delay_alu instid0(VALU_DEP_3) | instskip(NEXT) | instid1(VALU_DEP_1)
	v_and_b32_e32 v2, 0x80000000, v2
	v_or3_b32 v37, v3, v2, v4
.LBB340_988:                            ;   in Loop: Header=BB340_810 Depth=1
	s_or_b32 exec_lo, exec_lo, s17
.LBB340_989:                            ;   in Loop: Header=BB340_810 Depth=1
	s_delay_alu instid0(SALU_CYCLE_1)
	s_or_b32 exec_lo, exec_lo, s16
.LBB340_990:                            ;   in Loop: Header=BB340_810 Depth=1
	s_delay_alu instid0(SALU_CYCLE_1) | instskip(SKIP_3) | instid1(VALU_DEP_2)
	s_or_b32 exec_lo, exec_lo, s11
	v_dual_lshrrev_b32 v50, 16, v33 :: v_dual_mov_b32 v34, 0
	v_mov_b32_e32 v35, 0
	s_mov_b32 s11, exec_lo
	v_and_b32_e32 v2, 0xff, v50
	s_delay_alu instid0(VALU_DEP_1)
	v_cmpx_ne_u16_e32 0, v2
	s_cbranch_execz .LBB340_998
; %bb.991:                              ;   in Loop: Header=BB340_810 Depth=1
	v_bfrev_b32_e32 v35, 1
	s_mov_b32 s16, exec_lo
	v_cmpx_ne_u16_e32 0x80, v2
	s_cbranch_execz .LBB340_997
; %bb.992:                              ;   in Loop: Header=BB340_810 Depth=1
	v_bfe_u32 v55, v33, 16, 7
	v_mov_b32_e32 v35, 0x7f800001
	s_mov_b32 s17, exec_lo
	s_delay_alu instid0(VALU_DEP_2)
	v_cmpx_ne_u32_e32 0x7f, v55
	s_cbranch_execz .LBB340_996
; %bb.993:                              ;   in Loop: Header=BB340_810 Depth=1
	v_dual_lshrrev_b32 v35, 3, v55 :: v_dual_bitop2_b32 v22, 7, v50 bitop3:0x40
	s_mov_b32 s18, exec_lo
	v_cmpx_gt_u32_e32 8, v55
; %bb.994:                              ;   in Loop: Header=BB340_810 Depth=1
	s_delay_alu instid0(VALU_DEP_2) | instskip(NEXT) | instid1(VALU_DEP_1)
	v_clz_i32_u32_e32 v2, v22
	v_min_u32_e32 v4, 32, v2
	s_delay_alu instid0(VALU_DEP_1) | instskip(NEXT) | instid1(VALU_DEP_1)
	v_subrev_nc_u32_e32 v2, 28, v4
	v_lshlrev_b64_e32 v[2:3], v2, v[22:23]
	s_delay_alu instid0(VALU_DEP_1)
	v_dual_sub_nc_u32 v35, 29, v4 :: v_dual_bitop2_b32 v22, 7, v2 bitop3:0x40
; %bb.995:                              ;   in Loop: Header=BB340_810 Depth=1
	s_or_b32 exec_lo, exec_lo, s18
	v_lshlrev_b32_e32 v2, 24, v50
	s_delay_alu instid0(VALU_DEP_2) | instskip(NEXT) | instid1(VALU_DEP_3)
	v_lshlrev_b32_e32 v3, 20, v22
	v_lshl_add_u32 v4, v35, 23, 0x3c000000
	s_delay_alu instid0(VALU_DEP_3) | instskip(NEXT) | instid1(VALU_DEP_1)
	v_and_b32_e32 v2, 0x80000000, v2
	v_or3_b32 v35, v3, v2, v4
.LBB340_996:                            ;   in Loop: Header=BB340_810 Depth=1
	s_or_b32 exec_lo, exec_lo, s17
.LBB340_997:                            ;   in Loop: Header=BB340_810 Depth=1
	s_delay_alu instid0(SALU_CYCLE_1)
	s_or_b32 exec_lo, exec_lo, s16
.LBB340_998:                            ;   in Loop: Header=BB340_810 Depth=1
	s_delay_alu instid0(SALU_CYCLE_1) | instskip(NEXT) | instid1(SALU_CYCLE_1)
	s_or_b32 exec_lo, exec_lo, s11
	s_mov_b32 s11, exec_lo
	v_cmpx_lt_u64_e64 s[2:3], v[32:33]
	s_cbranch_execz .LBB340_1006
; %bb.999:                              ;   in Loop: Header=BB340_810 Depth=1
	v_lshrrev_b32_e32 v32, 24, v33
	v_bfrev_b32_e32 v34, 1
	s_mov_b32 s16, exec_lo
	s_delay_alu instid0(VALU_DEP_2)
	v_cmpx_ne_u32_e32 0x80, v32
	s_cbranch_execz .LBB340_1005
; %bb.1000:                             ;   in Loop: Header=BB340_810 Depth=1
	v_bfe_u32 v50, v33, 24, 7
	v_mov_b32_e32 v34, 0x7f800001
	s_mov_b32 s17, exec_lo
	s_delay_alu instid0(VALU_DEP_2)
	v_cmpx_ne_u32_e32 0x7f, v50
	s_cbranch_execz .LBB340_1004
; %bb.1001:                             ;   in Loop: Header=BB340_810 Depth=1
	v_dual_lshrrev_b32 v33, 3, v50 :: v_dual_bitop2_b32 v22, 7, v32 bitop3:0x40
	s_mov_b32 s18, exec_lo
	v_cmpx_gt_u32_e32 8, v50
; %bb.1002:                             ;   in Loop: Header=BB340_810 Depth=1
	s_delay_alu instid0(VALU_DEP_2) | instskip(NEXT) | instid1(VALU_DEP_1)
	v_clz_i32_u32_e32 v2, v22
	v_min_u32_e32 v4, 32, v2
	s_delay_alu instid0(VALU_DEP_1) | instskip(NEXT) | instid1(VALU_DEP_1)
	v_subrev_nc_u32_e32 v2, 28, v4
	v_lshlrev_b64_e32 v[2:3], v2, v[22:23]
	s_delay_alu instid0(VALU_DEP_1)
	v_dual_sub_nc_u32 v33, 29, v4 :: v_dual_bitop2_b32 v22, 7, v2 bitop3:0x40
; %bb.1003:                             ;   in Loop: Header=BB340_810 Depth=1
	s_or_b32 exec_lo, exec_lo, s18
	s_delay_alu instid0(VALU_DEP_1) | instskip(NEXT) | instid1(VALU_DEP_2)
	v_dual_lshlrev_b32 v2, 24, v32 :: v_dual_lshlrev_b32 v3, 20, v22
	v_lshl_add_u32 v4, v33, 23, 0x3c000000
	s_delay_alu instid0(VALU_DEP_2) | instskip(NEXT) | instid1(VALU_DEP_1)
	v_and_b32_e32 v2, 0x80000000, v2
	v_or3_b32 v34, v3, v2, v4
.LBB340_1004:                           ;   in Loop: Header=BB340_810 Depth=1
	s_or_b32 exec_lo, exec_lo, s17
.LBB340_1005:                           ;   in Loop: Header=BB340_810 Depth=1
	s_delay_alu instid0(SALU_CYCLE_1)
	s_or_b32 exec_lo, exec_lo, s16
.LBB340_1006:                           ;   in Loop: Header=BB340_810 Depth=1
	s_delay_alu instid0(SALU_CYCLE_1)
	s_or_b32 exec_lo, exec_lo, s11
	v_fma_mixlo_bf16 v37, v51, v37, 0
	v_fma_mixlo_bf16 v97, v51, v49, 0
	;; [unrolled: 1-line block ×8, first 2 shown]
	s_and_saveexec_b32 s11, vcc_lo
	s_cbranch_execz .LBB340_1008
; %bb.1007:                             ;   in Loop: Header=BB340_810 Depth=1
	v_cmp_lt_i32_e64 s0, v84, v48
	s_delay_alu instid0(VALU_DEP_1) | instskip(SKIP_1) | instid1(VALU_DEP_1)
	v_cndmask_b32_e64 v103, 0, v103, s0
	v_cmp_lt_i32_e64 s0, v96, v48
	v_cndmask_b32_e64 v102, 0, v102, s0
	v_cmp_lt_i32_e64 s0, v87, v48
	s_delay_alu instid0(VALU_DEP_1) | instskip(SKIP_1) | instid1(VALU_DEP_1)
	v_cndmask_b32_e64 v101, 0, v101, s0
	v_cmp_lt_i32_e64 s0, v86, v48
	v_cndmask_b32_e64 v100, 0, v100, s0
	;; [unrolled: 5-line block ×4, first 2 shown]
.LBB340_1008:                           ;   in Loop: Header=BB340_810 Depth=1
	s_or_b32 exec_lo, exec_lo, s11
	flat_load_b64 v[32:33], v[30:31] offset:768
	v_dual_mov_b32 v28, 0 :: v_dual_mov_b32 v19, 0
	s_mov_b32 s11, exec_lo
	s_wait_loadcnt_dscnt 0x0
	v_and_b32_e32 v2, 0xff, v32
	s_wait_xcnt 0x0
	s_delay_alu instid0(VALU_DEP_1)
	v_cmpx_ne_u16_e32 0, v2
	s_cbranch_execz .LBB340_1016
; %bb.1009:                             ;   in Loop: Header=BB340_810 Depth=1
	v_bfrev_b32_e32 v19, 1
	s_mov_b32 s16, exec_lo
	v_cmpx_ne_u16_e32 0x80, v2
	s_cbranch_execz .LBB340_1015
; %bb.1010:                             ;   in Loop: Header=BB340_810 Depth=1
	v_and_b32_e32 v2, 0x7f, v32
	v_mov_b32_e32 v19, 0x7f800001
	s_mov_b32 s17, exec_lo
	s_delay_alu instid0(VALU_DEP_2)
	v_cmpx_ne_u32_e32 0x7f, v2
	s_cbranch_execz .LBB340_1014
; %bb.1011:                             ;   in Loop: Header=BB340_810 Depth=1
	v_mov_b64_e32 v[34:35], v[32:33]
	v_lshrrev_b32_e32 v18, 3, v2
	s_mov_b32 s18, exec_lo
	v_cmpx_gt_u32_e32 8, v2
; %bb.1012:                             ;   in Loop: Header=BB340_810 Depth=1
	v_and_b32_e32 v2, 7, v32
	s_delay_alu instid0(VALU_DEP_1) | instskip(NEXT) | instid1(VALU_DEP_1)
	v_clz_i32_u32_e32 v2, v2
	v_min_u32_e32 v2, 32, v2
	s_delay_alu instid0(VALU_DEP_1) | instskip(SKIP_1) | instid1(VALU_DEP_2)
	v_subrev_nc_u32_e32 v3, 28, v2
	v_sub_nc_u32_e32 v18, 29, v2
	v_lshlrev_b64_e32 v[34:35], v3, v[32:33]
; %bb.1013:                             ;   in Loop: Header=BB340_810 Depth=1
	s_or_b32 exec_lo, exec_lo, s18
	s_delay_alu instid0(VALU_DEP_1) | instskip(NEXT) | instid1(VALU_DEP_3)
	v_dual_lshlrev_b32 v2, 20, v34 :: v_dual_lshlrev_b32 v3, 24, v32
	v_lshl_add_u32 v4, v18, 23, 0x3c000000
	s_delay_alu instid0(VALU_DEP_2) | instskip(NEXT) | instid1(VALU_DEP_3)
	v_and_b32_e32 v2, 0x700000, v2
	v_and_b32_e32 v3, 0x80000000, v3
	s_delay_alu instid0(VALU_DEP_1)
	v_or3_b32 v19, v2, v3, v4
.LBB340_1014:                           ;   in Loop: Header=BB340_810 Depth=1
	s_or_b32 exec_lo, exec_lo, s17
.LBB340_1015:                           ;   in Loop: Header=BB340_810 Depth=1
	s_delay_alu instid0(SALU_CYCLE_1)
	s_or_b32 exec_lo, exec_lo, s16
.LBB340_1016:                           ;   in Loop: Header=BB340_810 Depth=1
	s_delay_alu instid0(SALU_CYCLE_1) | instskip(SKIP_2) | instid1(VALU_DEP_1)
	s_or_b32 exec_lo, exec_lo, s11
	v_lshrrev_b16 v18, 8, v32
	s_mov_b32 s11, exec_lo
	v_cmpx_ne_u16_e32 0, v18
	s_cbranch_execz .LBB340_1024
; %bb.1017:                             ;   in Loop: Header=BB340_810 Depth=1
	v_bfrev_b32_e32 v28, 1
	s_mov_b32 s16, exec_lo
	v_cmpx_ne_u16_e32 0x80, v18
	s_cbranch_execz .LBB340_1023
; %bb.1018:                             ;   in Loop: Header=BB340_810 Depth=1
	v_and_b32_e32 v2, 0xffff, v18
	v_mov_b32_e32 v28, 0x7f800001
	s_mov_b32 s17, exec_lo
	s_delay_alu instid0(VALU_DEP_2) | instskip(NEXT) | instid1(VALU_DEP_1)
	v_and_b32_e32 v29, 0x7f, v2
	v_cmpx_ne_u32_e32 0x7f, v29
	s_cbranch_execz .LBB340_1022
; %bb.1019:                             ;   in Loop: Header=BB340_810 Depth=1
	v_dual_lshrrev_b32 v18, 3, v29 :: v_dual_bitop2_b32 v22, 7, v2 bitop3:0x40
	s_mov_b32 s18, exec_lo
	v_cmpx_gt_u32_e32 8, v29
; %bb.1020:                             ;   in Loop: Header=BB340_810 Depth=1
	s_delay_alu instid0(VALU_DEP_2) | instskip(NEXT) | instid1(VALU_DEP_1)
	v_clz_i32_u32_e32 v2, v22
	v_min_u32_e32 v4, 32, v2
	s_delay_alu instid0(VALU_DEP_1) | instskip(NEXT) | instid1(VALU_DEP_1)
	v_subrev_nc_u32_e32 v2, 28, v4
	v_lshlrev_b64_e32 v[2:3], v2, v[22:23]
	s_delay_alu instid0(VALU_DEP_1)
	v_dual_sub_nc_u32 v18, 29, v4 :: v_dual_bitop2_b32 v22, 7, v2 bitop3:0x40
; %bb.1021:                             ;   in Loop: Header=BB340_810 Depth=1
	s_or_b32 exec_lo, exec_lo, s18
	s_delay_alu instid0(VALU_DEP_1) | instskip(NEXT) | instid1(VALU_DEP_2)
	v_dual_lshlrev_b32 v2, 16, v32 :: v_dual_lshlrev_b32 v3, 20, v22
	v_lshl_add_u32 v4, v18, 23, 0x3c000000
	s_delay_alu instid0(VALU_DEP_2) | instskip(NEXT) | instid1(VALU_DEP_1)
	v_and_b32_e32 v2, 0x80000000, v2
	v_or3_b32 v28, v3, v2, v4
.LBB340_1022:                           ;   in Loop: Header=BB340_810 Depth=1
	s_or_b32 exec_lo, exec_lo, s17
.LBB340_1023:                           ;   in Loop: Header=BB340_810 Depth=1
	s_delay_alu instid0(SALU_CYCLE_1)
	s_or_b32 exec_lo, exec_lo, s16
.LBB340_1024:                           ;   in Loop: Header=BB340_810 Depth=1
	s_delay_alu instid0(SALU_CYCLE_1) | instskip(SKIP_3) | instid1(VALU_DEP_2)
	s_or_b32 exec_lo, exec_lo, s11
	v_dual_mov_b32 v49, 0 :: v_dual_lshrrev_b32 v18, 16, v32
	v_mov_b32_e32 v29, 0
	s_mov_b32 s11, exec_lo
	v_and_b32_e32 v2, 0xff, v18
	s_delay_alu instid0(VALU_DEP_1)
	v_cmpx_ne_u16_e32 0, v2
	s_cbranch_execz .LBB340_1032
; %bb.1025:                             ;   in Loop: Header=BB340_810 Depth=1
	v_bfrev_b32_e32 v29, 1
	s_mov_b32 s16, exec_lo
	v_cmpx_ne_u16_e32 0x80, v2
	s_cbranch_execz .LBB340_1031
; %bb.1026:                             ;   in Loop: Header=BB340_810 Depth=1
	v_bfe_u32 v34, v32, 16, 7
	v_mov_b32_e32 v29, 0x7f800001
	s_mov_b32 s17, exec_lo
	s_delay_alu instid0(VALU_DEP_2)
	v_cmpx_ne_u32_e32 0x7f, v34
	s_cbranch_execz .LBB340_1030
; %bb.1027:                             ;   in Loop: Header=BB340_810 Depth=1
	v_and_b32_e32 v22, 7, v18
	v_lshrrev_b32_e32 v29, 3, v34
	s_mov_b32 s18, exec_lo
	v_cmpx_gt_u32_e32 8, v34
; %bb.1028:                             ;   in Loop: Header=BB340_810 Depth=1
	s_delay_alu instid0(VALU_DEP_3) | instskip(NEXT) | instid1(VALU_DEP_1)
	v_clz_i32_u32_e32 v2, v22
	v_min_u32_e32 v4, 32, v2
	s_delay_alu instid0(VALU_DEP_1) | instskip(NEXT) | instid1(VALU_DEP_1)
	v_subrev_nc_u32_e32 v2, 28, v4
	v_lshlrev_b64_e32 v[2:3], v2, v[22:23]
	s_delay_alu instid0(VALU_DEP_1)
	v_dual_sub_nc_u32 v29, 29, v4 :: v_dual_bitop2_b32 v22, 7, v2 bitop3:0x40
; %bb.1029:                             ;   in Loop: Header=BB340_810 Depth=1
	s_or_b32 exec_lo, exec_lo, s18
	v_lshlrev_b32_e32 v2, 24, v18
	s_delay_alu instid0(VALU_DEP_2) | instskip(NEXT) | instid1(VALU_DEP_3)
	v_lshlrev_b32_e32 v3, 20, v22
	v_lshl_add_u32 v4, v29, 23, 0x3c000000
	s_delay_alu instid0(VALU_DEP_3) | instskip(NEXT) | instid1(VALU_DEP_1)
	v_and_b32_e32 v2, 0x80000000, v2
	v_or3_b32 v29, v3, v2, v4
.LBB340_1030:                           ;   in Loop: Header=BB340_810 Depth=1
	s_or_b32 exec_lo, exec_lo, s17
.LBB340_1031:                           ;   in Loop: Header=BB340_810 Depth=1
	s_delay_alu instid0(SALU_CYCLE_1)
	s_or_b32 exec_lo, exec_lo, s16
.LBB340_1032:                           ;   in Loop: Header=BB340_810 Depth=1
	s_delay_alu instid0(SALU_CYCLE_1) | instskip(NEXT) | instid1(SALU_CYCLE_1)
	s_or_b32 exec_lo, exec_lo, s11
	s_mov_b32 s11, exec_lo
	v_cmpx_lt_u32_e32 0xffffff, v32
	s_cbranch_execz .LBB340_1040
; %bb.1033:                             ;   in Loop: Header=BB340_810 Depth=1
	v_lshrrev_b32_e32 v18, 24, v32
	v_bfrev_b32_e32 v49, 1
	s_mov_b32 s16, exec_lo
	s_delay_alu instid0(VALU_DEP_2)
	v_cmpx_ne_u32_e32 0x80, v18
	s_cbranch_execz .LBB340_1039
; %bb.1034:                             ;   in Loop: Header=BB340_810 Depth=1
	v_bfe_u32 v35, v32, 24, 7
	v_mov_b32_e32 v49, 0x7f800001
	s_mov_b32 s17, exec_lo
	s_delay_alu instid0(VALU_DEP_2)
	v_cmpx_ne_u32_e32 0x7f, v35
	s_cbranch_execz .LBB340_1038
; %bb.1035:                             ;   in Loop: Header=BB340_810 Depth=1
	v_dual_lshrrev_b32 v34, 3, v35 :: v_dual_bitop2_b32 v22, 7, v18 bitop3:0x40
	s_mov_b32 s18, exec_lo
	v_cmpx_gt_u32_e32 8, v35
; %bb.1036:                             ;   in Loop: Header=BB340_810 Depth=1
	s_delay_alu instid0(VALU_DEP_2) | instskip(NEXT) | instid1(VALU_DEP_1)
	v_clz_i32_u32_e32 v2, v22
	v_min_u32_e32 v4, 32, v2
	s_delay_alu instid0(VALU_DEP_1) | instskip(NEXT) | instid1(VALU_DEP_1)
	v_subrev_nc_u32_e32 v2, 28, v4
	v_lshlrev_b64_e32 v[2:3], v2, v[22:23]
	s_delay_alu instid0(VALU_DEP_1)
	v_dual_sub_nc_u32 v34, 29, v4 :: v_dual_bitop2_b32 v22, 7, v2 bitop3:0x40
; %bb.1037:                             ;   in Loop: Header=BB340_810 Depth=1
	s_or_b32 exec_lo, exec_lo, s18
	v_lshlrev_b32_e32 v2, 24, v18
	s_delay_alu instid0(VALU_DEP_2) | instskip(NEXT) | instid1(VALU_DEP_3)
	v_lshlrev_b32_e32 v3, 20, v22
	v_lshl_add_u32 v4, v34, 23, 0x3c000000
	s_delay_alu instid0(VALU_DEP_3) | instskip(NEXT) | instid1(VALU_DEP_1)
	v_and_b32_e32 v2, 0x80000000, v2
	v_or3_b32 v49, v3, v2, v4
.LBB340_1038:                           ;   in Loop: Header=BB340_810 Depth=1
	s_or_b32 exec_lo, exec_lo, s17
.LBB340_1039:                           ;   in Loop: Header=BB340_810 Depth=1
	s_delay_alu instid0(SALU_CYCLE_1)
	s_or_b32 exec_lo, exec_lo, s16
.LBB340_1040:                           ;   in Loop: Header=BB340_810 Depth=1
	s_delay_alu instid0(SALU_CYCLE_1) | instskip(SKIP_4) | instid1(VALU_DEP_3)
	s_or_b32 exec_lo, exec_lo, s11
	v_and_b32_e32 v2, 0xff, v33
	v_dual_mov_b32 v22, v33 :: v_dual_mov_b32 v18, 0
	v_mov_b32_e32 v50, 0
	s_mov_b32 s11, exec_lo
	v_cmpx_ne_u16_e32 0, v2
	s_cbranch_execz .LBB340_1048
; %bb.1041:                             ;   in Loop: Header=BB340_810 Depth=1
	v_bfrev_b32_e32 v50, 1
	s_mov_b32 s16, exec_lo
	v_cmpx_ne_u16_e32 0x80, v2
	s_cbranch_execz .LBB340_1047
; %bb.1042:                             ;   in Loop: Header=BB340_810 Depth=1
	v_and_b32_e32 v2, 0x7f, v33
	v_mov_b32_e32 v50, 0x7f800001
	s_mov_b32 s17, exec_lo
	s_delay_alu instid0(VALU_DEP_2)
	v_cmpx_ne_u32_e32 0x7f, v2
	s_cbranch_execz .LBB340_1046
; %bb.1043:                             ;   in Loop: Header=BB340_810 Depth=1
	v_mov_b64_e32 v[34:35], v[22:23]
	v_lshrrev_b32_e32 v50, 3, v2
	s_mov_b32 s18, exec_lo
	v_cmpx_gt_u32_e32 8, v2
; %bb.1044:                             ;   in Loop: Header=BB340_810 Depth=1
	v_and_b32_e32 v2, 7, v33
	s_delay_alu instid0(VALU_DEP_1) | instskip(NEXT) | instid1(VALU_DEP_1)
	v_clz_i32_u32_e32 v2, v2
	v_min_u32_e32 v2, 32, v2
	s_delay_alu instid0(VALU_DEP_1) | instskip(SKIP_1) | instid1(VALU_DEP_2)
	v_subrev_nc_u32_e32 v3, 28, v2
	v_sub_nc_u32_e32 v50, 29, v2
	v_lshlrev_b64_e32 v[34:35], v3, v[22:23]
; %bb.1045:                             ;   in Loop: Header=BB340_810 Depth=1
	s_or_b32 exec_lo, exec_lo, s18
	s_delay_alu instid0(VALU_DEP_1) | instskip(SKIP_2) | instid1(VALU_DEP_3)
	v_lshlrev_b32_e32 v2, 20, v34
	v_lshlrev_b32_e32 v3, 24, v22
	v_lshl_add_u32 v4, v50, 23, 0x3c000000
	v_and_b32_e32 v2, 0x700000, v2
	s_delay_alu instid0(VALU_DEP_3) | instskip(NEXT) | instid1(VALU_DEP_1)
	v_and_b32_e32 v3, 0x80000000, v3
	v_or3_b32 v50, v2, v3, v4
.LBB340_1046:                           ;   in Loop: Header=BB340_810 Depth=1
	s_or_b32 exec_lo, exec_lo, s17
.LBB340_1047:                           ;   in Loop: Header=BB340_810 Depth=1
	s_delay_alu instid0(SALU_CYCLE_1)
	s_or_b32 exec_lo, exec_lo, s16
.LBB340_1048:                           ;   in Loop: Header=BB340_810 Depth=1
	s_delay_alu instid0(SALU_CYCLE_1) | instskip(SKIP_2) | instid1(VALU_DEP_1)
	s_or_b32 exec_lo, exec_lo, s11
	v_lshrrev_b16 v34, 8, v22
	s_mov_b32 s11, exec_lo
	v_cmpx_ne_u16_e32 0, v34
	s_cbranch_execz .LBB340_1056
; %bb.1049:                             ;   in Loop: Header=BB340_810 Depth=1
	v_bfrev_b32_e32 v18, 1
	s_mov_b32 s16, exec_lo
	v_cmpx_ne_u16_e32 0x80, v34
	s_cbranch_execz .LBB340_1055
; %bb.1050:                             ;   in Loop: Header=BB340_810 Depth=1
	v_and_b32_e32 v2, 0xffff, v34
	v_mov_b32_e32 v18, 0x7f800001
	s_mov_b32 s17, exec_lo
	s_delay_alu instid0(VALU_DEP_2) | instskip(NEXT) | instid1(VALU_DEP_1)
	v_and_b32_e32 v55, 0x7f, v2
	v_cmpx_ne_u32_e32 0x7f, v55
	s_cbranch_execz .LBB340_1054
; %bb.1051:                             ;   in Loop: Header=BB340_810 Depth=1
	v_dual_mov_b32 v35, v23 :: v_dual_bitop2_b32 v34, 7, v2 bitop3:0x40
	v_lshrrev_b32_e32 v18, 3, v55
	s_mov_b32 s18, exec_lo
	v_cmpx_gt_u32_e32 8, v55
; %bb.1052:                             ;   in Loop: Header=BB340_810 Depth=1
	s_delay_alu instid0(VALU_DEP_3) | instskip(NEXT) | instid1(VALU_DEP_1)
	v_clz_i32_u32_e32 v2, v34
	v_min_u32_e32 v4, 32, v2
	s_delay_alu instid0(VALU_DEP_1) | instskip(NEXT) | instid1(VALU_DEP_1)
	v_subrev_nc_u32_e32 v2, 28, v4
	v_lshlrev_b64_e32 v[2:3], v2, v[34:35]
	s_delay_alu instid0(VALU_DEP_1)
	v_dual_sub_nc_u32 v18, 29, v4 :: v_dual_bitop2_b32 v34, 7, v2 bitop3:0x40
; %bb.1053:                             ;   in Loop: Header=BB340_810 Depth=1
	s_or_b32 exec_lo, exec_lo, s18
	v_lshlrev_b32_e32 v2, 16, v22
	s_delay_alu instid0(VALU_DEP_2) | instskip(NEXT) | instid1(VALU_DEP_3)
	v_lshlrev_b32_e32 v3, 20, v34
	v_lshl_add_u32 v4, v18, 23, 0x3c000000
	s_delay_alu instid0(VALU_DEP_3) | instskip(NEXT) | instid1(VALU_DEP_1)
	v_and_b32_e32 v2, 0x80000000, v2
	v_or3_b32 v18, v3, v2, v4
.LBB340_1054:                           ;   in Loop: Header=BB340_810 Depth=1
	s_or_b32 exec_lo, exec_lo, s17
.LBB340_1055:                           ;   in Loop: Header=BB340_810 Depth=1
	s_delay_alu instid0(SALU_CYCLE_1)
	s_or_b32 exec_lo, exec_lo, s16
.LBB340_1056:                           ;   in Loop: Header=BB340_810 Depth=1
	s_delay_alu instid0(SALU_CYCLE_1) | instskip(SKIP_3) | instid1(VALU_DEP_2)
	s_or_b32 exec_lo, exec_lo, s11
	v_dual_mov_b32 v34, 0 :: v_dual_lshrrev_b32 v55, 16, v33
	v_mov_b32_e32 v35, 0
	s_mov_b32 s11, exec_lo
	v_and_b32_e32 v2, 0xff, v55
	s_delay_alu instid0(VALU_DEP_1)
	v_cmpx_ne_u16_e32 0, v2
	s_cbranch_execz .LBB340_1064
; %bb.1057:                             ;   in Loop: Header=BB340_810 Depth=1
	v_bfrev_b32_e32 v35, 1
	s_mov_b32 s16, exec_lo
	v_cmpx_ne_u16_e32 0x80, v2
	s_cbranch_execz .LBB340_1063
; %bb.1058:                             ;   in Loop: Header=BB340_810 Depth=1
	v_bfe_u32 v64, v33, 16, 7
	v_mov_b32_e32 v35, 0x7f800001
	s_mov_b32 s17, exec_lo
	s_delay_alu instid0(VALU_DEP_2)
	v_cmpx_ne_u32_e32 0x7f, v64
	s_cbranch_execz .LBB340_1062
; %bb.1059:                             ;   in Loop: Header=BB340_810 Depth=1
	v_dual_lshrrev_b32 v35, 3, v64 :: v_dual_bitop2_b32 v22, 7, v55 bitop3:0x40
	s_mov_b32 s18, exec_lo
	v_cmpx_gt_u32_e32 8, v64
; %bb.1060:                             ;   in Loop: Header=BB340_810 Depth=1
	s_delay_alu instid0(VALU_DEP_2) | instskip(NEXT) | instid1(VALU_DEP_1)
	v_clz_i32_u32_e32 v2, v22
	v_min_u32_e32 v4, 32, v2
	s_delay_alu instid0(VALU_DEP_1) | instskip(NEXT) | instid1(VALU_DEP_1)
	v_subrev_nc_u32_e32 v2, 28, v4
	v_lshlrev_b64_e32 v[2:3], v2, v[22:23]
	s_delay_alu instid0(VALU_DEP_1)
	v_dual_sub_nc_u32 v35, 29, v4 :: v_dual_bitop2_b32 v22, 7, v2 bitop3:0x40
; %bb.1061:                             ;   in Loop: Header=BB340_810 Depth=1
	s_or_b32 exec_lo, exec_lo, s18
	s_delay_alu instid0(VALU_DEP_1) | instskip(NEXT) | instid1(VALU_DEP_2)
	v_dual_lshlrev_b32 v2, 24, v55 :: v_dual_lshlrev_b32 v3, 20, v22
	v_lshl_add_u32 v4, v35, 23, 0x3c000000
	s_delay_alu instid0(VALU_DEP_2) | instskip(NEXT) | instid1(VALU_DEP_1)
	v_and_b32_e32 v2, 0x80000000, v2
	v_or3_b32 v35, v3, v2, v4
.LBB340_1062:                           ;   in Loop: Header=BB340_810 Depth=1
	s_or_b32 exec_lo, exec_lo, s17
.LBB340_1063:                           ;   in Loop: Header=BB340_810 Depth=1
	s_delay_alu instid0(SALU_CYCLE_1)
	s_or_b32 exec_lo, exec_lo, s16
.LBB340_1064:                           ;   in Loop: Header=BB340_810 Depth=1
	s_delay_alu instid0(SALU_CYCLE_1) | instskip(NEXT) | instid1(SALU_CYCLE_1)
	s_or_b32 exec_lo, exec_lo, s11
	s_mov_b32 s11, exec_lo
	v_cmpx_lt_u64_e64 s[2:3], v[32:33]
	s_cbranch_execz .LBB340_1072
; %bb.1065:                             ;   in Loop: Header=BB340_810 Depth=1
	v_lshrrev_b32_e32 v32, 24, v33
	v_bfrev_b32_e32 v34, 1
	s_mov_b32 s16, exec_lo
	s_delay_alu instid0(VALU_DEP_2)
	v_cmpx_ne_u32_e32 0x80, v32
	s_cbranch_execz .LBB340_1071
; %bb.1066:                             ;   in Loop: Header=BB340_810 Depth=1
	v_bfe_u32 v55, v33, 24, 7
	v_mov_b32_e32 v34, 0x7f800001
	s_mov_b32 s17, exec_lo
	s_delay_alu instid0(VALU_DEP_2)
	v_cmpx_ne_u32_e32 0x7f, v55
	s_cbranch_execz .LBB340_1070
; %bb.1067:                             ;   in Loop: Header=BB340_810 Depth=1
	v_dual_lshrrev_b32 v33, 3, v55 :: v_dual_bitop2_b32 v22, 7, v32 bitop3:0x40
	s_mov_b32 s18, exec_lo
	v_cmpx_gt_u32_e32 8, v55
; %bb.1068:                             ;   in Loop: Header=BB340_810 Depth=1
	s_delay_alu instid0(VALU_DEP_2) | instskip(NEXT) | instid1(VALU_DEP_1)
	v_clz_i32_u32_e32 v2, v22
	v_min_u32_e32 v4, 32, v2
	s_delay_alu instid0(VALU_DEP_1) | instskip(NEXT) | instid1(VALU_DEP_1)
	v_subrev_nc_u32_e32 v2, 28, v4
	v_lshlrev_b64_e32 v[2:3], v2, v[22:23]
	s_delay_alu instid0(VALU_DEP_1)
	v_dual_sub_nc_u32 v33, 29, v4 :: v_dual_bitop2_b32 v22, 7, v2 bitop3:0x40
; %bb.1069:                             ;   in Loop: Header=BB340_810 Depth=1
	s_or_b32 exec_lo, exec_lo, s18
	s_delay_alu instid0(VALU_DEP_1) | instskip(NEXT) | instid1(VALU_DEP_2)
	v_dual_lshlrev_b32 v2, 24, v32 :: v_dual_lshlrev_b32 v3, 20, v22
	v_lshl_add_u32 v4, v33, 23, 0x3c000000
	s_delay_alu instid0(VALU_DEP_2) | instskip(NEXT) | instid1(VALU_DEP_1)
	v_and_b32_e32 v2, 0x80000000, v2
	v_or3_b32 v34, v3, v2, v4
.LBB340_1070:                           ;   in Loop: Header=BB340_810 Depth=1
	s_or_b32 exec_lo, exec_lo, s17
.LBB340_1071:                           ;   in Loop: Header=BB340_810 Depth=1
	s_delay_alu instid0(SALU_CYCLE_1)
	s_or_b32 exec_lo, exec_lo, s16
.LBB340_1072:                           ;   in Loop: Header=BB340_810 Depth=1
	s_delay_alu instid0(SALU_CYCLE_1)
	s_or_b32 exec_lo, exec_lo, s11
	v_fma_mixlo_bf16 v18, v51, v18, 0
	v_fma_mixlo_bf16 v112, v51, v50, 0
	;; [unrolled: 1-line block ×8, first 2 shown]
	s_and_saveexec_b32 s11, vcc_lo
	s_cbranch_execz .LBB340_1074
; %bb.1073:                             ;   in Loop: Header=BB340_810 Depth=1
	v_cmp_lt_i32_e64 s0, v84, v48
	s_delay_alu instid0(VALU_DEP_1) | instskip(SKIP_1) | instid1(VALU_DEP_1)
	v_cndmask_b32_e64 v118, 0, v118, s0
	v_cmp_lt_i32_e64 s0, v96, v48
	v_cndmask_b32_e64 v117, 0, v117, s0
	v_cmp_lt_i32_e64 s0, v87, v48
	s_delay_alu instid0(VALU_DEP_1) | instskip(SKIP_1) | instid1(VALU_DEP_1)
	v_cndmask_b32_e64 v116, 0, v116, s0
	v_cmp_lt_i32_e64 s0, v86, v48
	v_cndmask_b32_e64 v115, 0, v115, s0
	;; [unrolled: 5-line block ×4, first 2 shown]
.LBB340_1074:                           ;   in Loop: Header=BB340_810 Depth=1
	s_or_b32 exec_lo, exec_lo, s11
	flat_load_b64 v[32:33], v[30:31] offset:1024
	v_dual_mov_b32 v28, 0 :: v_dual_mov_b32 v19, 0
	s_mov_b32 s11, exec_lo
	s_wait_loadcnt_dscnt 0x0
	v_and_b32_e32 v2, 0xff, v32
	s_wait_xcnt 0x0
	s_delay_alu instid0(VALU_DEP_1)
	v_cmpx_ne_u16_e32 0, v2
	s_cbranch_execz .LBB340_1082
; %bb.1075:                             ;   in Loop: Header=BB340_810 Depth=1
	v_bfrev_b32_e32 v19, 1
	s_mov_b32 s16, exec_lo
	v_cmpx_ne_u16_e32 0x80, v2
	s_cbranch_execz .LBB340_1081
; %bb.1076:                             ;   in Loop: Header=BB340_810 Depth=1
	v_and_b32_e32 v2, 0x7f, v32
	v_mov_b32_e32 v19, 0x7f800001
	s_mov_b32 s17, exec_lo
	s_delay_alu instid0(VALU_DEP_2)
	v_cmpx_ne_u32_e32 0x7f, v2
	s_cbranch_execz .LBB340_1080
; %bb.1077:                             ;   in Loop: Header=BB340_810 Depth=1
	v_mov_b64_e32 v[34:35], v[32:33]
	v_lshrrev_b32_e32 v19, 3, v2
	s_mov_b32 s18, exec_lo
	v_cmpx_gt_u32_e32 8, v2
; %bb.1078:                             ;   in Loop: Header=BB340_810 Depth=1
	v_and_b32_e32 v2, 7, v32
	s_delay_alu instid0(VALU_DEP_1) | instskip(NEXT) | instid1(VALU_DEP_1)
	v_clz_i32_u32_e32 v2, v2
	v_min_u32_e32 v2, 32, v2
	s_delay_alu instid0(VALU_DEP_1) | instskip(SKIP_1) | instid1(VALU_DEP_2)
	v_subrev_nc_u32_e32 v3, 28, v2
	v_sub_nc_u32_e32 v19, 29, v2
	v_lshlrev_b64_e32 v[34:35], v3, v[32:33]
; %bb.1079:                             ;   in Loop: Header=BB340_810 Depth=1
	s_or_b32 exec_lo, exec_lo, s18
	s_delay_alu instid0(VALU_DEP_1) | instskip(NEXT) | instid1(VALU_DEP_3)
	v_dual_lshlrev_b32 v2, 20, v34 :: v_dual_lshlrev_b32 v3, 24, v32
	v_lshl_add_u32 v4, v19, 23, 0x3c000000
	s_delay_alu instid0(VALU_DEP_2) | instskip(NEXT) | instid1(VALU_DEP_3)
	v_and_b32_e32 v2, 0x700000, v2
	v_and_b32_e32 v3, 0x80000000, v3
	s_delay_alu instid0(VALU_DEP_1)
	v_or3_b32 v19, v2, v3, v4
.LBB340_1080:                           ;   in Loop: Header=BB340_810 Depth=1
	s_or_b32 exec_lo, exec_lo, s17
.LBB340_1081:                           ;   in Loop: Header=BB340_810 Depth=1
	s_delay_alu instid0(SALU_CYCLE_1)
	s_or_b32 exec_lo, exec_lo, s16
.LBB340_1082:                           ;   in Loop: Header=BB340_810 Depth=1
	s_delay_alu instid0(SALU_CYCLE_1) | instskip(SKIP_2) | instid1(VALU_DEP_1)
	s_or_b32 exec_lo, exec_lo, s11
	v_lshrrev_b16 v22, 8, v32
	s_mov_b32 s11, exec_lo
	v_cmpx_ne_u16_e32 0, v22
	s_cbranch_execz .LBB340_1090
; %bb.1083:                             ;   in Loop: Header=BB340_810 Depth=1
	v_bfrev_b32_e32 v28, 1
	s_mov_b32 s16, exec_lo
	v_cmpx_ne_u16_e32 0x80, v22
	s_cbranch_execz .LBB340_1089
; %bb.1084:                             ;   in Loop: Header=BB340_810 Depth=1
	v_and_b32_e32 v2, 0xffff, v22
	v_mov_b32_e32 v28, 0x7f800001
	s_mov_b32 s17, exec_lo
	s_delay_alu instid0(VALU_DEP_2) | instskip(NEXT) | instid1(VALU_DEP_1)
	v_and_b32_e32 v29, 0x7f, v2
	v_cmpx_ne_u32_e32 0x7f, v29
	s_cbranch_execz .LBB340_1088
; %bb.1085:                             ;   in Loop: Header=BB340_810 Depth=1
	v_dual_lshrrev_b32 v28, 3, v29 :: v_dual_bitop2_b32 v22, 7, v2 bitop3:0x40
	s_mov_b32 s18, exec_lo
	v_cmpx_gt_u32_e32 8, v29
; %bb.1086:                             ;   in Loop: Header=BB340_810 Depth=1
	s_delay_alu instid0(VALU_DEP_2) | instskip(NEXT) | instid1(VALU_DEP_1)
	v_clz_i32_u32_e32 v2, v22
	v_min_u32_e32 v4, 32, v2
	s_delay_alu instid0(VALU_DEP_1) | instskip(NEXT) | instid1(VALU_DEP_1)
	v_subrev_nc_u32_e32 v2, 28, v4
	v_lshlrev_b64_e32 v[2:3], v2, v[22:23]
	s_delay_alu instid0(VALU_DEP_1)
	v_dual_sub_nc_u32 v28, 29, v4 :: v_dual_bitop2_b32 v22, 7, v2 bitop3:0x40
; %bb.1087:                             ;   in Loop: Header=BB340_810 Depth=1
	s_or_b32 exec_lo, exec_lo, s18
	s_delay_alu instid0(VALU_DEP_1) | instskip(NEXT) | instid1(VALU_DEP_2)
	v_dual_lshlrev_b32 v2, 16, v32 :: v_dual_lshlrev_b32 v3, 20, v22
	v_lshl_add_u32 v4, v28, 23, 0x3c000000
	s_delay_alu instid0(VALU_DEP_2) | instskip(NEXT) | instid1(VALU_DEP_1)
	v_and_b32_e32 v2, 0x80000000, v2
	v_or3_b32 v28, v3, v2, v4
.LBB340_1088:                           ;   in Loop: Header=BB340_810 Depth=1
	s_or_b32 exec_lo, exec_lo, s17
.LBB340_1089:                           ;   in Loop: Header=BB340_810 Depth=1
	s_delay_alu instid0(SALU_CYCLE_1)
	s_or_b32 exec_lo, exec_lo, s16
.LBB340_1090:                           ;   in Loop: Header=BB340_810 Depth=1
	s_delay_alu instid0(SALU_CYCLE_1) | instskip(SKIP_3) | instid1(VALU_DEP_2)
	s_or_b32 exec_lo, exec_lo, s11
	v_dual_mov_b32 v49, 0 :: v_dual_lshrrev_b32 v34, 16, v32
	v_mov_b32_e32 v29, 0
	s_mov_b32 s11, exec_lo
	v_and_b32_e32 v2, 0xff, v34
	s_delay_alu instid0(VALU_DEP_1)
	v_cmpx_ne_u16_e32 0, v2
	s_cbranch_execz .LBB340_1098
; %bb.1091:                             ;   in Loop: Header=BB340_810 Depth=1
	v_bfrev_b32_e32 v29, 1
	s_mov_b32 s16, exec_lo
	v_cmpx_ne_u16_e32 0x80, v2
	s_cbranch_execz .LBB340_1097
; %bb.1092:                             ;   in Loop: Header=BB340_810 Depth=1
	v_bfe_u32 v35, v32, 16, 7
	v_mov_b32_e32 v29, 0x7f800001
	s_mov_b32 s17, exec_lo
	s_delay_alu instid0(VALU_DEP_2)
	v_cmpx_ne_u32_e32 0x7f, v35
	s_cbranch_execz .LBB340_1096
; %bb.1093:                             ;   in Loop: Header=BB340_810 Depth=1
	v_dual_lshrrev_b32 v29, 3, v35 :: v_dual_bitop2_b32 v22, 7, v34 bitop3:0x40
	s_mov_b32 s18, exec_lo
	v_cmpx_gt_u32_e32 8, v35
; %bb.1094:                             ;   in Loop: Header=BB340_810 Depth=1
	s_delay_alu instid0(VALU_DEP_2) | instskip(NEXT) | instid1(VALU_DEP_1)
	v_clz_i32_u32_e32 v2, v22
	v_min_u32_e32 v4, 32, v2
	s_delay_alu instid0(VALU_DEP_1) | instskip(NEXT) | instid1(VALU_DEP_1)
	v_subrev_nc_u32_e32 v2, 28, v4
	v_lshlrev_b64_e32 v[2:3], v2, v[22:23]
	s_delay_alu instid0(VALU_DEP_1)
	v_dual_sub_nc_u32 v29, 29, v4 :: v_dual_bitop2_b32 v22, 7, v2 bitop3:0x40
; %bb.1095:                             ;   in Loop: Header=BB340_810 Depth=1
	s_or_b32 exec_lo, exec_lo, s18
	v_lshlrev_b32_e32 v2, 24, v34
	s_delay_alu instid0(VALU_DEP_2) | instskip(NEXT) | instid1(VALU_DEP_3)
	v_lshlrev_b32_e32 v3, 20, v22
	v_lshl_add_u32 v4, v29, 23, 0x3c000000
	s_delay_alu instid0(VALU_DEP_3) | instskip(NEXT) | instid1(VALU_DEP_1)
	v_and_b32_e32 v2, 0x80000000, v2
	v_or3_b32 v29, v3, v2, v4
.LBB340_1096:                           ;   in Loop: Header=BB340_810 Depth=1
	s_or_b32 exec_lo, exec_lo, s17
.LBB340_1097:                           ;   in Loop: Header=BB340_810 Depth=1
	s_delay_alu instid0(SALU_CYCLE_1)
	s_or_b32 exec_lo, exec_lo, s16
.LBB340_1098:                           ;   in Loop: Header=BB340_810 Depth=1
	s_delay_alu instid0(SALU_CYCLE_1) | instskip(NEXT) | instid1(SALU_CYCLE_1)
	s_or_b32 exec_lo, exec_lo, s11
	s_mov_b32 s11, exec_lo
	v_cmpx_lt_u32_e32 0xffffff, v32
	s_cbranch_execz .LBB340_1106
; %bb.1099:                             ;   in Loop: Header=BB340_810 Depth=1
	v_lshrrev_b32_e32 v34, 24, v32
	v_bfrev_b32_e32 v49, 1
	s_mov_b32 s16, exec_lo
	s_delay_alu instid0(VALU_DEP_2)
	v_cmpx_ne_u32_e32 0x80, v34
	s_cbranch_execz .LBB340_1105
; %bb.1100:                             ;   in Loop: Header=BB340_810 Depth=1
	v_bfe_u32 v50, v32, 24, 7
	v_mov_b32_e32 v49, 0x7f800001
	s_mov_b32 s17, exec_lo
	s_delay_alu instid0(VALU_DEP_2)
	v_cmpx_ne_u32_e32 0x7f, v50
	s_cbranch_execz .LBB340_1104
; %bb.1101:                             ;   in Loop: Header=BB340_810 Depth=1
	v_and_b32_e32 v22, 7, v34
	v_lshrrev_b32_e32 v35, 3, v50
	s_mov_b32 s18, exec_lo
	v_cmpx_gt_u32_e32 8, v50
; %bb.1102:                             ;   in Loop: Header=BB340_810 Depth=1
	s_delay_alu instid0(VALU_DEP_3) | instskip(NEXT) | instid1(VALU_DEP_1)
	v_clz_i32_u32_e32 v2, v22
	v_min_u32_e32 v4, 32, v2
	s_delay_alu instid0(VALU_DEP_1) | instskip(NEXT) | instid1(VALU_DEP_1)
	v_subrev_nc_u32_e32 v2, 28, v4
	v_lshlrev_b64_e32 v[2:3], v2, v[22:23]
	s_delay_alu instid0(VALU_DEP_1)
	v_dual_sub_nc_u32 v35, 29, v4 :: v_dual_bitop2_b32 v22, 7, v2 bitop3:0x40
; %bb.1103:                             ;   in Loop: Header=BB340_810 Depth=1
	s_or_b32 exec_lo, exec_lo, s18
	v_lshlrev_b32_e32 v2, 24, v34
	s_delay_alu instid0(VALU_DEP_2) | instskip(NEXT) | instid1(VALU_DEP_3)
	v_lshlrev_b32_e32 v3, 20, v22
	v_lshl_add_u32 v4, v35, 23, 0x3c000000
	s_delay_alu instid0(VALU_DEP_3) | instskip(NEXT) | instid1(VALU_DEP_1)
	v_and_b32_e32 v2, 0x80000000, v2
	v_or3_b32 v49, v3, v2, v4
.LBB340_1104:                           ;   in Loop: Header=BB340_810 Depth=1
	s_or_b32 exec_lo, exec_lo, s17
.LBB340_1105:                           ;   in Loop: Header=BB340_810 Depth=1
	s_delay_alu instid0(SALU_CYCLE_1)
	s_or_b32 exec_lo, exec_lo, s16
.LBB340_1106:                           ;   in Loop: Header=BB340_810 Depth=1
	s_delay_alu instid0(SALU_CYCLE_1) | instskip(SKIP_4) | instid1(VALU_DEP_3)
	s_or_b32 exec_lo, exec_lo, s11
	v_and_b32_e32 v2, 0xff, v33
	v_dual_mov_b32 v22, v33 :: v_dual_mov_b32 v55, 0
	v_mov_b32_e32 v50, 0
	s_mov_b32 s11, exec_lo
	v_cmpx_ne_u16_e32 0, v2
	s_cbranch_execz .LBB340_1114
; %bb.1107:                             ;   in Loop: Header=BB340_810 Depth=1
	v_bfrev_b32_e32 v50, 1
	s_mov_b32 s16, exec_lo
	v_cmpx_ne_u16_e32 0x80, v2
	s_cbranch_execz .LBB340_1113
; %bb.1108:                             ;   in Loop: Header=BB340_810 Depth=1
	v_and_b32_e32 v2, 0x7f, v33
	v_mov_b32_e32 v50, 0x7f800001
	s_mov_b32 s17, exec_lo
	s_delay_alu instid0(VALU_DEP_2)
	v_cmpx_ne_u32_e32 0x7f, v2
	s_cbranch_execz .LBB340_1112
; %bb.1109:                             ;   in Loop: Header=BB340_810 Depth=1
	v_mov_b64_e32 v[34:35], v[22:23]
	v_lshrrev_b32_e32 v50, 3, v2
	s_mov_b32 s18, exec_lo
	v_cmpx_gt_u32_e32 8, v2
; %bb.1110:                             ;   in Loop: Header=BB340_810 Depth=1
	v_and_b32_e32 v2, 7, v33
	s_delay_alu instid0(VALU_DEP_1) | instskip(NEXT) | instid1(VALU_DEP_1)
	v_clz_i32_u32_e32 v2, v2
	v_min_u32_e32 v2, 32, v2
	s_delay_alu instid0(VALU_DEP_1) | instskip(SKIP_1) | instid1(VALU_DEP_2)
	v_subrev_nc_u32_e32 v3, 28, v2
	v_sub_nc_u32_e32 v50, 29, v2
	v_lshlrev_b64_e32 v[34:35], v3, v[22:23]
; %bb.1111:                             ;   in Loop: Header=BB340_810 Depth=1
	s_or_b32 exec_lo, exec_lo, s18
	s_delay_alu instid0(VALU_DEP_1) | instskip(SKIP_2) | instid1(VALU_DEP_3)
	v_lshlrev_b32_e32 v2, 20, v34
	v_lshlrev_b32_e32 v3, 24, v22
	v_lshl_add_u32 v4, v50, 23, 0x3c000000
	v_and_b32_e32 v2, 0x700000, v2
	s_delay_alu instid0(VALU_DEP_3) | instskip(NEXT) | instid1(VALU_DEP_1)
	v_and_b32_e32 v3, 0x80000000, v3
	v_or3_b32 v50, v2, v3, v4
.LBB340_1112:                           ;   in Loop: Header=BB340_810 Depth=1
	s_or_b32 exec_lo, exec_lo, s17
.LBB340_1113:                           ;   in Loop: Header=BB340_810 Depth=1
	s_delay_alu instid0(SALU_CYCLE_1)
	s_or_b32 exec_lo, exec_lo, s16
.LBB340_1114:                           ;   in Loop: Header=BB340_810 Depth=1
	s_delay_alu instid0(SALU_CYCLE_1) | instskip(SKIP_2) | instid1(VALU_DEP_1)
	s_or_b32 exec_lo, exec_lo, s11
	v_lshrrev_b16 v34, 8, v22
	s_mov_b32 s11, exec_lo
	v_cmpx_ne_u16_e32 0, v34
	s_cbranch_execz .LBB340_1122
; %bb.1115:                             ;   in Loop: Header=BB340_810 Depth=1
	v_bfrev_b32_e32 v55, 1
	s_mov_b32 s16, exec_lo
	v_cmpx_ne_u16_e32 0x80, v34
	s_cbranch_execz .LBB340_1121
; %bb.1116:                             ;   in Loop: Header=BB340_810 Depth=1
	v_and_b32_e32 v2, 0xffff, v34
	v_mov_b32_e32 v55, 0x7f800001
	s_mov_b32 s17, exec_lo
	s_delay_alu instid0(VALU_DEP_2) | instskip(NEXT) | instid1(VALU_DEP_1)
	v_and_b32_e32 v64, 0x7f, v2
	v_cmpx_ne_u32_e32 0x7f, v64
	s_cbranch_execz .LBB340_1120
; %bb.1117:                             ;   in Loop: Header=BB340_810 Depth=1
	v_dual_mov_b32 v35, v23 :: v_dual_bitop2_b32 v34, 7, v2 bitop3:0x40
	v_lshrrev_b32_e32 v55, 3, v64
	s_mov_b32 s18, exec_lo
	v_cmpx_gt_u32_e32 8, v64
; %bb.1118:                             ;   in Loop: Header=BB340_810 Depth=1
	s_delay_alu instid0(VALU_DEP_3) | instskip(NEXT) | instid1(VALU_DEP_1)
	v_clz_i32_u32_e32 v2, v34
	v_min_u32_e32 v4, 32, v2
	s_delay_alu instid0(VALU_DEP_1) | instskip(NEXT) | instid1(VALU_DEP_1)
	v_subrev_nc_u32_e32 v2, 28, v4
	v_lshlrev_b64_e32 v[2:3], v2, v[34:35]
	s_delay_alu instid0(VALU_DEP_1)
	v_dual_sub_nc_u32 v55, 29, v4 :: v_dual_bitop2_b32 v34, 7, v2 bitop3:0x40
; %bb.1119:                             ;   in Loop: Header=BB340_810 Depth=1
	s_or_b32 exec_lo, exec_lo, s18
	v_lshlrev_b32_e32 v2, 16, v22
	s_delay_alu instid0(VALU_DEP_2) | instskip(NEXT) | instid1(VALU_DEP_3)
	v_lshlrev_b32_e32 v3, 20, v34
	v_lshl_add_u32 v4, v55, 23, 0x3c000000
	s_delay_alu instid0(VALU_DEP_3) | instskip(NEXT) | instid1(VALU_DEP_1)
	v_and_b32_e32 v2, 0x80000000, v2
	v_or3_b32 v55, v3, v2, v4
.LBB340_1120:                           ;   in Loop: Header=BB340_810 Depth=1
	s_or_b32 exec_lo, exec_lo, s17
.LBB340_1121:                           ;   in Loop: Header=BB340_810 Depth=1
	s_delay_alu instid0(SALU_CYCLE_1)
	s_or_b32 exec_lo, exec_lo, s16
.LBB340_1122:                           ;   in Loop: Header=BB340_810 Depth=1
	s_delay_alu instid0(SALU_CYCLE_1) | instskip(SKIP_3) | instid1(VALU_DEP_2)
	s_or_b32 exec_lo, exec_lo, s11
	v_dual_lshrrev_b32 v64, 16, v33 :: v_dual_mov_b32 v34, 0
	v_mov_b32_e32 v35, 0
	s_mov_b32 s11, exec_lo
	v_and_b32_e32 v2, 0xff, v64
	s_delay_alu instid0(VALU_DEP_1)
	v_cmpx_ne_u16_e32 0, v2
	s_cbranch_execz .LBB340_1130
; %bb.1123:                             ;   in Loop: Header=BB340_810 Depth=1
	v_bfrev_b32_e32 v35, 1
	s_mov_b32 s16, exec_lo
	v_cmpx_ne_u16_e32 0x80, v2
	s_cbranch_execz .LBB340_1129
; %bb.1124:                             ;   in Loop: Header=BB340_810 Depth=1
	v_bfe_u32 v65, v33, 16, 7
	v_mov_b32_e32 v35, 0x7f800001
	s_mov_b32 s17, exec_lo
	s_delay_alu instid0(VALU_DEP_2)
	v_cmpx_ne_u32_e32 0x7f, v65
	s_cbranch_execz .LBB340_1128
; %bb.1125:                             ;   in Loop: Header=BB340_810 Depth=1
	v_dual_lshrrev_b32 v35, 3, v65 :: v_dual_bitop2_b32 v22, 7, v64 bitop3:0x40
	s_mov_b32 s18, exec_lo
	v_cmpx_gt_u32_e32 8, v65
; %bb.1126:                             ;   in Loop: Header=BB340_810 Depth=1
	s_delay_alu instid0(VALU_DEP_2) | instskip(NEXT) | instid1(VALU_DEP_1)
	v_clz_i32_u32_e32 v2, v22
	v_min_u32_e32 v4, 32, v2
	s_delay_alu instid0(VALU_DEP_1) | instskip(NEXT) | instid1(VALU_DEP_1)
	v_subrev_nc_u32_e32 v2, 28, v4
	v_lshlrev_b64_e32 v[2:3], v2, v[22:23]
	s_delay_alu instid0(VALU_DEP_1)
	v_dual_sub_nc_u32 v35, 29, v4 :: v_dual_bitop2_b32 v22, 7, v2 bitop3:0x40
; %bb.1127:                             ;   in Loop: Header=BB340_810 Depth=1
	s_or_b32 exec_lo, exec_lo, s18
	s_delay_alu instid0(VALU_DEP_1) | instskip(NEXT) | instid1(VALU_DEP_2)
	v_dual_lshlrev_b32 v2, 24, v64 :: v_dual_lshlrev_b32 v3, 20, v22
	v_lshl_add_u32 v4, v35, 23, 0x3c000000
	s_delay_alu instid0(VALU_DEP_2) | instskip(NEXT) | instid1(VALU_DEP_1)
	v_and_b32_e32 v2, 0x80000000, v2
	v_or3_b32 v35, v3, v2, v4
.LBB340_1128:                           ;   in Loop: Header=BB340_810 Depth=1
	s_or_b32 exec_lo, exec_lo, s17
.LBB340_1129:                           ;   in Loop: Header=BB340_810 Depth=1
	s_delay_alu instid0(SALU_CYCLE_1)
	s_or_b32 exec_lo, exec_lo, s16
.LBB340_1130:                           ;   in Loop: Header=BB340_810 Depth=1
	s_delay_alu instid0(SALU_CYCLE_1) | instskip(NEXT) | instid1(SALU_CYCLE_1)
	s_or_b32 exec_lo, exec_lo, s11
	s_mov_b32 s11, exec_lo
	v_cmpx_lt_u64_e64 s[2:3], v[32:33]
	s_cbranch_execz .LBB340_1138
; %bb.1131:                             ;   in Loop: Header=BB340_810 Depth=1
	v_lshrrev_b32_e32 v32, 24, v33
	v_bfrev_b32_e32 v34, 1
	s_mov_b32 s16, exec_lo
	s_delay_alu instid0(VALU_DEP_2)
	v_cmpx_ne_u32_e32 0x80, v32
	s_cbranch_execz .LBB340_1137
; %bb.1132:                             ;   in Loop: Header=BB340_810 Depth=1
	v_bfe_u32 v64, v33, 24, 7
	v_mov_b32_e32 v34, 0x7f800001
	s_mov_b32 s17, exec_lo
	s_delay_alu instid0(VALU_DEP_2)
	v_cmpx_ne_u32_e32 0x7f, v64
	s_cbranch_execz .LBB340_1136
; %bb.1133:                             ;   in Loop: Header=BB340_810 Depth=1
	v_and_b32_e32 v22, 7, v32
	v_lshrrev_b32_e32 v33, 3, v64
	s_mov_b32 s18, exec_lo
	v_cmpx_gt_u32_e32 8, v64
; %bb.1134:                             ;   in Loop: Header=BB340_810 Depth=1
	s_delay_alu instid0(VALU_DEP_3) | instskip(NEXT) | instid1(VALU_DEP_1)
	v_clz_i32_u32_e32 v2, v22
	v_min_u32_e32 v4, 32, v2
	s_delay_alu instid0(VALU_DEP_1) | instskip(NEXT) | instid1(VALU_DEP_1)
	v_subrev_nc_u32_e32 v2, 28, v4
	v_lshlrev_b64_e32 v[2:3], v2, v[22:23]
	s_delay_alu instid0(VALU_DEP_1)
	v_dual_sub_nc_u32 v33, 29, v4 :: v_dual_bitop2_b32 v22, 7, v2 bitop3:0x40
; %bb.1135:                             ;   in Loop: Header=BB340_810 Depth=1
	s_or_b32 exec_lo, exec_lo, s18
	s_delay_alu instid0(VALU_DEP_1) | instskip(NEXT) | instid1(VALU_DEP_2)
	v_dual_lshlrev_b32 v2, 24, v32 :: v_dual_lshlrev_b32 v3, 20, v22
	v_lshl_add_u32 v4, v33, 23, 0x3c000000
	s_delay_alu instid0(VALU_DEP_2) | instskip(NEXT) | instid1(VALU_DEP_1)
	v_and_b32_e32 v2, 0x80000000, v2
	v_or3_b32 v34, v3, v2, v4
.LBB340_1136:                           ;   in Loop: Header=BB340_810 Depth=1
	s_or_b32 exec_lo, exec_lo, s17
.LBB340_1137:                           ;   in Loop: Header=BB340_810 Depth=1
	s_delay_alu instid0(SALU_CYCLE_1)
	s_or_b32 exec_lo, exec_lo, s16
.LBB340_1138:                           ;   in Loop: Header=BB340_810 Depth=1
	s_delay_alu instid0(SALU_CYCLE_1)
	s_or_b32 exec_lo, exec_lo, s11
	v_fma_mixlo_bf16 v119, v51, v55, 0
	v_fma_mixlo_bf16 v40, v51, v50, 0
	;; [unrolled: 1-line block ×8, first 2 shown]
	s_and_saveexec_b32 s11, vcc_lo
	s_cbranch_execz .LBB340_1140
; %bb.1139:                             ;   in Loop: Header=BB340_810 Depth=1
	v_cmp_lt_i32_e64 s0, v84, v48
	s_delay_alu instid0(VALU_DEP_1) | instskip(SKIP_1) | instid1(VALU_DEP_1)
	v_cndmask_b32_e64 v46, 0, v46, s0
	v_cmp_lt_i32_e64 s0, v96, v48
	v_cndmask_b32_e64 v45, 0, v45, s0
	v_cmp_lt_i32_e64 s0, v87, v48
	s_delay_alu instid0(VALU_DEP_1) | instskip(SKIP_1) | instid1(VALU_DEP_1)
	v_cndmask_b32_e64 v44, 0, v44, s0
	v_cmp_lt_i32_e64 s0, v86, v48
	v_cndmask_b32_e64 v43, 0, v43, s0
	;; [unrolled: 5-line block ×4, first 2 shown]
.LBB340_1140:                           ;   in Loop: Header=BB340_810 Depth=1
	s_or_b32 exec_lo, exec_lo, s11
	flat_load_b64 v[32:33], v[30:31] offset:1280
	v_dual_mov_b32 v28, 0 :: v_dual_mov_b32 v19, 0
	s_mov_b32 s11, exec_lo
	s_wait_loadcnt_dscnt 0x0
	v_and_b32_e32 v2, 0xff, v32
	s_wait_xcnt 0x0
	s_delay_alu instid0(VALU_DEP_1)
	v_cmpx_ne_u16_e32 0, v2
	s_cbranch_execz .LBB340_1148
; %bb.1141:                             ;   in Loop: Header=BB340_810 Depth=1
	v_bfrev_b32_e32 v19, 1
	s_mov_b32 s16, exec_lo
	v_cmpx_ne_u16_e32 0x80, v2
	s_cbranch_execz .LBB340_1147
; %bb.1142:                             ;   in Loop: Header=BB340_810 Depth=1
	v_and_b32_e32 v2, 0x7f, v32
	v_mov_b32_e32 v19, 0x7f800001
	s_mov_b32 s17, exec_lo
	s_delay_alu instid0(VALU_DEP_2)
	v_cmpx_ne_u32_e32 0x7f, v2
	s_cbranch_execz .LBB340_1146
; %bb.1143:                             ;   in Loop: Header=BB340_810 Depth=1
	v_mov_b64_e32 v[34:35], v[32:33]
	v_lshrrev_b32_e32 v19, 3, v2
	s_mov_b32 s18, exec_lo
	v_cmpx_gt_u32_e32 8, v2
; %bb.1144:                             ;   in Loop: Header=BB340_810 Depth=1
	v_and_b32_e32 v2, 7, v32
	s_delay_alu instid0(VALU_DEP_1) | instskip(NEXT) | instid1(VALU_DEP_1)
	v_clz_i32_u32_e32 v2, v2
	v_min_u32_e32 v2, 32, v2
	s_delay_alu instid0(VALU_DEP_1) | instskip(SKIP_1) | instid1(VALU_DEP_2)
	v_subrev_nc_u32_e32 v3, 28, v2
	v_sub_nc_u32_e32 v19, 29, v2
	v_lshlrev_b64_e32 v[34:35], v3, v[32:33]
; %bb.1145:                             ;   in Loop: Header=BB340_810 Depth=1
	s_or_b32 exec_lo, exec_lo, s18
	s_delay_alu instid0(VALU_DEP_1) | instskip(NEXT) | instid1(VALU_DEP_3)
	v_dual_lshlrev_b32 v2, 20, v34 :: v_dual_lshlrev_b32 v3, 24, v32
	v_lshl_add_u32 v4, v19, 23, 0x3c000000
	s_delay_alu instid0(VALU_DEP_2) | instskip(NEXT) | instid1(VALU_DEP_3)
	v_and_b32_e32 v2, 0x700000, v2
	v_and_b32_e32 v3, 0x80000000, v3
	s_delay_alu instid0(VALU_DEP_1)
	v_or3_b32 v19, v2, v3, v4
.LBB340_1146:                           ;   in Loop: Header=BB340_810 Depth=1
	s_or_b32 exec_lo, exec_lo, s17
.LBB340_1147:                           ;   in Loop: Header=BB340_810 Depth=1
	s_delay_alu instid0(SALU_CYCLE_1)
	s_or_b32 exec_lo, exec_lo, s16
.LBB340_1148:                           ;   in Loop: Header=BB340_810 Depth=1
	s_delay_alu instid0(SALU_CYCLE_1) | instskip(SKIP_2) | instid1(VALU_DEP_1)
	s_or_b32 exec_lo, exec_lo, s11
	v_lshrrev_b16 v22, 8, v32
	s_mov_b32 s11, exec_lo
	v_cmpx_ne_u16_e32 0, v22
	s_cbranch_execz .LBB340_1156
; %bb.1149:                             ;   in Loop: Header=BB340_810 Depth=1
	v_bfrev_b32_e32 v28, 1
	s_mov_b32 s16, exec_lo
	v_cmpx_ne_u16_e32 0x80, v22
	s_cbranch_execz .LBB340_1155
; %bb.1150:                             ;   in Loop: Header=BB340_810 Depth=1
	v_and_b32_e32 v2, 0xffff, v22
	v_mov_b32_e32 v28, 0x7f800001
	s_mov_b32 s17, exec_lo
	s_delay_alu instid0(VALU_DEP_2) | instskip(NEXT) | instid1(VALU_DEP_1)
	v_and_b32_e32 v29, 0x7f, v2
	v_cmpx_ne_u32_e32 0x7f, v29
	s_cbranch_execz .LBB340_1154
; %bb.1151:                             ;   in Loop: Header=BB340_810 Depth=1
	v_dual_lshrrev_b32 v28, 3, v29 :: v_dual_bitop2_b32 v22, 7, v2 bitop3:0x40
	s_mov_b32 s18, exec_lo
	v_cmpx_gt_u32_e32 8, v29
; %bb.1152:                             ;   in Loop: Header=BB340_810 Depth=1
	s_delay_alu instid0(VALU_DEP_2) | instskip(NEXT) | instid1(VALU_DEP_1)
	v_clz_i32_u32_e32 v2, v22
	v_min_u32_e32 v4, 32, v2
	s_delay_alu instid0(VALU_DEP_1) | instskip(NEXT) | instid1(VALU_DEP_1)
	v_subrev_nc_u32_e32 v2, 28, v4
	v_lshlrev_b64_e32 v[2:3], v2, v[22:23]
	s_delay_alu instid0(VALU_DEP_1)
	v_dual_sub_nc_u32 v28, 29, v4 :: v_dual_bitop2_b32 v22, 7, v2 bitop3:0x40
; %bb.1153:                             ;   in Loop: Header=BB340_810 Depth=1
	s_or_b32 exec_lo, exec_lo, s18
	s_delay_alu instid0(VALU_DEP_1) | instskip(NEXT) | instid1(VALU_DEP_2)
	v_dual_lshlrev_b32 v2, 16, v32 :: v_dual_lshlrev_b32 v3, 20, v22
	v_lshl_add_u32 v4, v28, 23, 0x3c000000
	s_delay_alu instid0(VALU_DEP_2) | instskip(NEXT) | instid1(VALU_DEP_1)
	v_and_b32_e32 v2, 0x80000000, v2
	v_or3_b32 v28, v3, v2, v4
.LBB340_1154:                           ;   in Loop: Header=BB340_810 Depth=1
	s_or_b32 exec_lo, exec_lo, s17
.LBB340_1155:                           ;   in Loop: Header=BB340_810 Depth=1
	s_delay_alu instid0(SALU_CYCLE_1)
	s_or_b32 exec_lo, exec_lo, s16
.LBB340_1156:                           ;   in Loop: Header=BB340_810 Depth=1
	s_delay_alu instid0(SALU_CYCLE_1) | instskip(SKIP_3) | instid1(VALU_DEP_2)
	s_or_b32 exec_lo, exec_lo, s11
	v_dual_mov_b32 v49, 0 :: v_dual_lshrrev_b32 v34, 16, v32
	v_mov_b32_e32 v29, 0
	s_mov_b32 s11, exec_lo
	v_and_b32_e32 v2, 0xff, v34
	s_delay_alu instid0(VALU_DEP_1)
	v_cmpx_ne_u16_e32 0, v2
	s_cbranch_execz .LBB340_1164
; %bb.1157:                             ;   in Loop: Header=BB340_810 Depth=1
	v_bfrev_b32_e32 v29, 1
	s_mov_b32 s16, exec_lo
	v_cmpx_ne_u16_e32 0x80, v2
	s_cbranch_execz .LBB340_1163
; %bb.1158:                             ;   in Loop: Header=BB340_810 Depth=1
	v_bfe_u32 v35, v32, 16, 7
	v_mov_b32_e32 v29, 0x7f800001
	s_mov_b32 s17, exec_lo
	s_delay_alu instid0(VALU_DEP_2)
	v_cmpx_ne_u32_e32 0x7f, v35
	s_cbranch_execz .LBB340_1162
; %bb.1159:                             ;   in Loop: Header=BB340_810 Depth=1
	v_dual_lshrrev_b32 v29, 3, v35 :: v_dual_bitop2_b32 v22, 7, v34 bitop3:0x40
	s_mov_b32 s18, exec_lo
	v_cmpx_gt_u32_e32 8, v35
; %bb.1160:                             ;   in Loop: Header=BB340_810 Depth=1
	s_delay_alu instid0(VALU_DEP_2) | instskip(NEXT) | instid1(VALU_DEP_1)
	v_clz_i32_u32_e32 v2, v22
	v_min_u32_e32 v4, 32, v2
	s_delay_alu instid0(VALU_DEP_1) | instskip(NEXT) | instid1(VALU_DEP_1)
	v_subrev_nc_u32_e32 v2, 28, v4
	v_lshlrev_b64_e32 v[2:3], v2, v[22:23]
	s_delay_alu instid0(VALU_DEP_1)
	v_dual_sub_nc_u32 v29, 29, v4 :: v_dual_bitop2_b32 v22, 7, v2 bitop3:0x40
; %bb.1161:                             ;   in Loop: Header=BB340_810 Depth=1
	s_or_b32 exec_lo, exec_lo, s18
	v_lshlrev_b32_e32 v2, 24, v34
	s_delay_alu instid0(VALU_DEP_2) | instskip(NEXT) | instid1(VALU_DEP_3)
	v_lshlrev_b32_e32 v3, 20, v22
	v_lshl_add_u32 v4, v29, 23, 0x3c000000
	s_delay_alu instid0(VALU_DEP_3) | instskip(NEXT) | instid1(VALU_DEP_1)
	v_and_b32_e32 v2, 0x80000000, v2
	v_or3_b32 v29, v3, v2, v4
.LBB340_1162:                           ;   in Loop: Header=BB340_810 Depth=1
	s_or_b32 exec_lo, exec_lo, s17
.LBB340_1163:                           ;   in Loop: Header=BB340_810 Depth=1
	s_delay_alu instid0(SALU_CYCLE_1)
	s_or_b32 exec_lo, exec_lo, s16
.LBB340_1164:                           ;   in Loop: Header=BB340_810 Depth=1
	s_delay_alu instid0(SALU_CYCLE_1) | instskip(NEXT) | instid1(SALU_CYCLE_1)
	s_or_b32 exec_lo, exec_lo, s11
	s_mov_b32 s11, exec_lo
	v_cmpx_lt_u32_e32 0xffffff, v32
	s_cbranch_execz .LBB340_1172
; %bb.1165:                             ;   in Loop: Header=BB340_810 Depth=1
	v_lshrrev_b32_e32 v34, 24, v32
	v_bfrev_b32_e32 v49, 1
	s_mov_b32 s16, exec_lo
	s_delay_alu instid0(VALU_DEP_2)
	v_cmpx_ne_u32_e32 0x80, v34
	s_cbranch_execz .LBB340_1171
; %bb.1166:                             ;   in Loop: Header=BB340_810 Depth=1
	v_bfe_u32 v50, v32, 24, 7
	v_mov_b32_e32 v49, 0x7f800001
	s_mov_b32 s17, exec_lo
	s_delay_alu instid0(VALU_DEP_2)
	v_cmpx_ne_u32_e32 0x7f, v50
	s_cbranch_execz .LBB340_1170
; %bb.1167:                             ;   in Loop: Header=BB340_810 Depth=1
	v_and_b32_e32 v22, 7, v34
	v_lshrrev_b32_e32 v35, 3, v50
	s_mov_b32 s18, exec_lo
	v_cmpx_gt_u32_e32 8, v50
; %bb.1168:                             ;   in Loop: Header=BB340_810 Depth=1
	s_delay_alu instid0(VALU_DEP_3) | instskip(NEXT) | instid1(VALU_DEP_1)
	v_clz_i32_u32_e32 v2, v22
	v_min_u32_e32 v4, 32, v2
	s_delay_alu instid0(VALU_DEP_1) | instskip(NEXT) | instid1(VALU_DEP_1)
	v_subrev_nc_u32_e32 v2, 28, v4
	v_lshlrev_b64_e32 v[2:3], v2, v[22:23]
	s_delay_alu instid0(VALU_DEP_1)
	v_dual_sub_nc_u32 v35, 29, v4 :: v_dual_bitop2_b32 v22, 7, v2 bitop3:0x40
; %bb.1169:                             ;   in Loop: Header=BB340_810 Depth=1
	s_or_b32 exec_lo, exec_lo, s18
	v_lshlrev_b32_e32 v2, 24, v34
	s_delay_alu instid0(VALU_DEP_2) | instskip(NEXT) | instid1(VALU_DEP_3)
	v_lshlrev_b32_e32 v3, 20, v22
	v_lshl_add_u32 v4, v35, 23, 0x3c000000
	s_delay_alu instid0(VALU_DEP_3) | instskip(NEXT) | instid1(VALU_DEP_1)
	v_and_b32_e32 v2, 0x80000000, v2
	v_or3_b32 v49, v3, v2, v4
.LBB340_1170:                           ;   in Loop: Header=BB340_810 Depth=1
	s_or_b32 exec_lo, exec_lo, s17
.LBB340_1171:                           ;   in Loop: Header=BB340_810 Depth=1
	s_delay_alu instid0(SALU_CYCLE_1)
	s_or_b32 exec_lo, exec_lo, s16
.LBB340_1172:                           ;   in Loop: Header=BB340_810 Depth=1
	s_delay_alu instid0(SALU_CYCLE_1) | instskip(SKIP_4) | instid1(VALU_DEP_3)
	s_or_b32 exec_lo, exec_lo, s11
	v_and_b32_e32 v2, 0xff, v33
	v_dual_mov_b32 v22, v33 :: v_dual_mov_b32 v55, 0
	v_mov_b32_e32 v50, 0
	s_mov_b32 s11, exec_lo
	v_cmpx_ne_u16_e32 0, v2
	s_cbranch_execz .LBB340_1180
; %bb.1173:                             ;   in Loop: Header=BB340_810 Depth=1
	v_bfrev_b32_e32 v50, 1
	s_mov_b32 s16, exec_lo
	v_cmpx_ne_u16_e32 0x80, v2
	s_cbranch_execz .LBB340_1179
; %bb.1174:                             ;   in Loop: Header=BB340_810 Depth=1
	v_and_b32_e32 v2, 0x7f, v33
	v_mov_b32_e32 v50, 0x7f800001
	s_mov_b32 s17, exec_lo
	s_delay_alu instid0(VALU_DEP_2)
	v_cmpx_ne_u32_e32 0x7f, v2
	s_cbranch_execz .LBB340_1178
; %bb.1175:                             ;   in Loop: Header=BB340_810 Depth=1
	v_mov_b64_e32 v[34:35], v[22:23]
	v_lshrrev_b32_e32 v50, 3, v2
	s_mov_b32 s18, exec_lo
	v_cmpx_gt_u32_e32 8, v2
; %bb.1176:                             ;   in Loop: Header=BB340_810 Depth=1
	v_and_b32_e32 v2, 7, v33
	s_delay_alu instid0(VALU_DEP_1) | instskip(NEXT) | instid1(VALU_DEP_1)
	v_clz_i32_u32_e32 v2, v2
	v_min_u32_e32 v2, 32, v2
	s_delay_alu instid0(VALU_DEP_1) | instskip(SKIP_1) | instid1(VALU_DEP_2)
	v_subrev_nc_u32_e32 v3, 28, v2
	v_sub_nc_u32_e32 v50, 29, v2
	v_lshlrev_b64_e32 v[34:35], v3, v[22:23]
; %bb.1177:                             ;   in Loop: Header=BB340_810 Depth=1
	s_or_b32 exec_lo, exec_lo, s18
	s_delay_alu instid0(VALU_DEP_1) | instskip(SKIP_2) | instid1(VALU_DEP_3)
	v_lshlrev_b32_e32 v2, 20, v34
	v_lshlrev_b32_e32 v3, 24, v22
	v_lshl_add_u32 v4, v50, 23, 0x3c000000
	v_and_b32_e32 v2, 0x700000, v2
	s_delay_alu instid0(VALU_DEP_3) | instskip(NEXT) | instid1(VALU_DEP_1)
	v_and_b32_e32 v3, 0x80000000, v3
	v_or3_b32 v50, v2, v3, v4
.LBB340_1178:                           ;   in Loop: Header=BB340_810 Depth=1
	s_or_b32 exec_lo, exec_lo, s17
.LBB340_1179:                           ;   in Loop: Header=BB340_810 Depth=1
	s_delay_alu instid0(SALU_CYCLE_1)
	s_or_b32 exec_lo, exec_lo, s16
.LBB340_1180:                           ;   in Loop: Header=BB340_810 Depth=1
	s_delay_alu instid0(SALU_CYCLE_1) | instskip(SKIP_2) | instid1(VALU_DEP_1)
	s_or_b32 exec_lo, exec_lo, s11
	v_lshrrev_b16 v34, 8, v22
	s_mov_b32 s11, exec_lo
	v_cmpx_ne_u16_e32 0, v34
	s_cbranch_execz .LBB340_1188
; %bb.1181:                             ;   in Loop: Header=BB340_810 Depth=1
	v_bfrev_b32_e32 v55, 1
	s_mov_b32 s16, exec_lo
	v_cmpx_ne_u16_e32 0x80, v34
	s_cbranch_execz .LBB340_1187
; %bb.1182:                             ;   in Loop: Header=BB340_810 Depth=1
	v_and_b32_e32 v2, 0xffff, v34
	v_mov_b32_e32 v55, 0x7f800001
	s_mov_b32 s17, exec_lo
	s_delay_alu instid0(VALU_DEP_2) | instskip(NEXT) | instid1(VALU_DEP_1)
	v_and_b32_e32 v64, 0x7f, v2
	v_cmpx_ne_u32_e32 0x7f, v64
	s_cbranch_execz .LBB340_1186
; %bb.1183:                             ;   in Loop: Header=BB340_810 Depth=1
	v_dual_mov_b32 v35, v23 :: v_dual_bitop2_b32 v34, 7, v2 bitop3:0x40
	v_lshrrev_b32_e32 v55, 3, v64
	s_mov_b32 s18, exec_lo
	v_cmpx_gt_u32_e32 8, v64
; %bb.1184:                             ;   in Loop: Header=BB340_810 Depth=1
	s_delay_alu instid0(VALU_DEP_3) | instskip(NEXT) | instid1(VALU_DEP_1)
	v_clz_i32_u32_e32 v2, v34
	v_min_u32_e32 v4, 32, v2
	s_delay_alu instid0(VALU_DEP_1) | instskip(NEXT) | instid1(VALU_DEP_1)
	v_subrev_nc_u32_e32 v2, 28, v4
	v_lshlrev_b64_e32 v[2:3], v2, v[34:35]
	s_delay_alu instid0(VALU_DEP_1)
	v_dual_sub_nc_u32 v55, 29, v4 :: v_dual_bitop2_b32 v34, 7, v2 bitop3:0x40
; %bb.1185:                             ;   in Loop: Header=BB340_810 Depth=1
	s_or_b32 exec_lo, exec_lo, s18
	v_lshlrev_b32_e32 v2, 16, v22
	s_delay_alu instid0(VALU_DEP_2) | instskip(NEXT) | instid1(VALU_DEP_3)
	v_lshlrev_b32_e32 v3, 20, v34
	v_lshl_add_u32 v4, v55, 23, 0x3c000000
	s_delay_alu instid0(VALU_DEP_3) | instskip(NEXT) | instid1(VALU_DEP_1)
	v_and_b32_e32 v2, 0x80000000, v2
	v_or3_b32 v55, v3, v2, v4
.LBB340_1186:                           ;   in Loop: Header=BB340_810 Depth=1
	s_or_b32 exec_lo, exec_lo, s17
.LBB340_1187:                           ;   in Loop: Header=BB340_810 Depth=1
	s_delay_alu instid0(SALU_CYCLE_1)
	s_or_b32 exec_lo, exec_lo, s16
.LBB340_1188:                           ;   in Loop: Header=BB340_810 Depth=1
	s_delay_alu instid0(SALU_CYCLE_1) | instskip(SKIP_3) | instid1(VALU_DEP_2)
	s_or_b32 exec_lo, exec_lo, s11
	v_dual_lshrrev_b32 v64, 16, v33 :: v_dual_mov_b32 v34, 0
	v_mov_b32_e32 v35, 0
	s_mov_b32 s11, exec_lo
	v_and_b32_e32 v2, 0xff, v64
	s_delay_alu instid0(VALU_DEP_1)
	v_cmpx_ne_u16_e32 0, v2
	s_cbranch_execz .LBB340_1196
; %bb.1189:                             ;   in Loop: Header=BB340_810 Depth=1
	v_bfrev_b32_e32 v35, 1
	s_mov_b32 s16, exec_lo
	v_cmpx_ne_u16_e32 0x80, v2
	s_cbranch_execz .LBB340_1195
; %bb.1190:                             ;   in Loop: Header=BB340_810 Depth=1
	v_bfe_u32 v65, v33, 16, 7
	v_mov_b32_e32 v35, 0x7f800001
	s_mov_b32 s17, exec_lo
	s_delay_alu instid0(VALU_DEP_2)
	v_cmpx_ne_u32_e32 0x7f, v65
	s_cbranch_execz .LBB340_1194
; %bb.1191:                             ;   in Loop: Header=BB340_810 Depth=1
	v_dual_lshrrev_b32 v35, 3, v65 :: v_dual_bitop2_b32 v22, 7, v64 bitop3:0x40
	s_mov_b32 s18, exec_lo
	v_cmpx_gt_u32_e32 8, v65
; %bb.1192:                             ;   in Loop: Header=BB340_810 Depth=1
	s_delay_alu instid0(VALU_DEP_2) | instskip(NEXT) | instid1(VALU_DEP_1)
	v_clz_i32_u32_e32 v2, v22
	v_min_u32_e32 v4, 32, v2
	s_delay_alu instid0(VALU_DEP_1) | instskip(NEXT) | instid1(VALU_DEP_1)
	v_subrev_nc_u32_e32 v2, 28, v4
	v_lshlrev_b64_e32 v[2:3], v2, v[22:23]
	s_delay_alu instid0(VALU_DEP_1)
	v_dual_sub_nc_u32 v35, 29, v4 :: v_dual_bitop2_b32 v22, 7, v2 bitop3:0x40
; %bb.1193:                             ;   in Loop: Header=BB340_810 Depth=1
	s_or_b32 exec_lo, exec_lo, s18
	s_delay_alu instid0(VALU_DEP_1) | instskip(NEXT) | instid1(VALU_DEP_2)
	v_dual_lshlrev_b32 v2, 24, v64 :: v_dual_lshlrev_b32 v3, 20, v22
	v_lshl_add_u32 v4, v35, 23, 0x3c000000
	s_delay_alu instid0(VALU_DEP_2) | instskip(NEXT) | instid1(VALU_DEP_1)
	v_and_b32_e32 v2, 0x80000000, v2
	v_or3_b32 v35, v3, v2, v4
.LBB340_1194:                           ;   in Loop: Header=BB340_810 Depth=1
	s_or_b32 exec_lo, exec_lo, s17
.LBB340_1195:                           ;   in Loop: Header=BB340_810 Depth=1
	s_delay_alu instid0(SALU_CYCLE_1)
	s_or_b32 exec_lo, exec_lo, s16
.LBB340_1196:                           ;   in Loop: Header=BB340_810 Depth=1
	s_delay_alu instid0(SALU_CYCLE_1) | instskip(NEXT) | instid1(SALU_CYCLE_1)
	s_or_b32 exec_lo, exec_lo, s11
	s_mov_b32 s11, exec_lo
	v_cmpx_lt_u64_e64 s[2:3], v[32:33]
	s_cbranch_execz .LBB340_1204
; %bb.1197:                             ;   in Loop: Header=BB340_810 Depth=1
	v_lshrrev_b32_e32 v32, 24, v33
	v_bfrev_b32_e32 v34, 1
	s_mov_b32 s16, exec_lo
	s_delay_alu instid0(VALU_DEP_2)
	v_cmpx_ne_u32_e32 0x80, v32
	s_cbranch_execz .LBB340_1203
; %bb.1198:                             ;   in Loop: Header=BB340_810 Depth=1
	v_bfe_u32 v64, v33, 24, 7
	v_mov_b32_e32 v34, 0x7f800001
	s_mov_b32 s17, exec_lo
	s_delay_alu instid0(VALU_DEP_2)
	v_cmpx_ne_u32_e32 0x7f, v64
	s_cbranch_execz .LBB340_1202
; %bb.1199:                             ;   in Loop: Header=BB340_810 Depth=1
	v_and_b32_e32 v22, 7, v32
	v_lshrrev_b32_e32 v33, 3, v64
	s_mov_b32 s18, exec_lo
	v_cmpx_gt_u32_e32 8, v64
; %bb.1200:                             ;   in Loop: Header=BB340_810 Depth=1
	s_delay_alu instid0(VALU_DEP_3) | instskip(NEXT) | instid1(VALU_DEP_1)
	v_clz_i32_u32_e32 v2, v22
	v_min_u32_e32 v4, 32, v2
	s_delay_alu instid0(VALU_DEP_1) | instskip(NEXT) | instid1(VALU_DEP_1)
	v_subrev_nc_u32_e32 v2, 28, v4
	v_lshlrev_b64_e32 v[2:3], v2, v[22:23]
	s_delay_alu instid0(VALU_DEP_1)
	v_dual_sub_nc_u32 v33, 29, v4 :: v_dual_bitop2_b32 v22, 7, v2 bitop3:0x40
; %bb.1201:                             ;   in Loop: Header=BB340_810 Depth=1
	s_or_b32 exec_lo, exec_lo, s18
	s_delay_alu instid0(VALU_DEP_1) | instskip(NEXT) | instid1(VALU_DEP_2)
	v_dual_lshlrev_b32 v2, 24, v32 :: v_dual_lshlrev_b32 v3, 20, v22
	v_lshl_add_u32 v4, v33, 23, 0x3c000000
	s_delay_alu instid0(VALU_DEP_2) | instskip(NEXT) | instid1(VALU_DEP_1)
	v_and_b32_e32 v2, 0x80000000, v2
	v_or3_b32 v34, v3, v2, v4
.LBB340_1202:                           ;   in Loop: Header=BB340_810 Depth=1
	s_or_b32 exec_lo, exec_lo, s17
.LBB340_1203:                           ;   in Loop: Header=BB340_810 Depth=1
	s_delay_alu instid0(SALU_CYCLE_1)
	s_or_b32 exec_lo, exec_lo, s16
.LBB340_1204:                           ;   in Loop: Header=BB340_810 Depth=1
	s_delay_alu instid0(SALU_CYCLE_1)
	s_or_b32 exec_lo, exec_lo, s11
	v_fma_mixlo_bf16 v47, v51, v55, 0
	v_fma_mixlo_bf16 v56, v51, v50, 0
	;; [unrolled: 1-line block ×8, first 2 shown]
	s_and_saveexec_b32 s11, vcc_lo
	s_cbranch_execz .LBB340_1206
; %bb.1205:                             ;   in Loop: Header=BB340_810 Depth=1
	v_cmp_lt_i32_e64 s0, v84, v48
	s_delay_alu instid0(VALU_DEP_1) | instskip(SKIP_1) | instid1(VALU_DEP_1)
	v_cndmask_b32_e64 v62, 0, v62, s0
	v_cmp_lt_i32_e64 s0, v96, v48
	v_cndmask_b32_e64 v61, 0, v61, s0
	v_cmp_lt_i32_e64 s0, v87, v48
	s_delay_alu instid0(VALU_DEP_1) | instskip(SKIP_1) | instid1(VALU_DEP_1)
	v_cndmask_b32_e64 v60, 0, v60, s0
	v_cmp_lt_i32_e64 s0, v86, v48
	v_cndmask_b32_e64 v59, 0, v59, s0
	;; [unrolled: 5-line block ×4, first 2 shown]
.LBB340_1206:                           ;   in Loop: Header=BB340_810 Depth=1
	s_or_b32 exec_lo, exec_lo, s11
	flat_load_b64 v[32:33], v[30:31] offset:1536
	v_dual_mov_b32 v28, 0 :: v_dual_mov_b32 v19, 0
	s_mov_b32 s11, exec_lo
	s_wait_loadcnt_dscnt 0x0
	v_and_b32_e32 v2, 0xff, v32
	s_wait_xcnt 0x0
	s_delay_alu instid0(VALU_DEP_1)
	v_cmpx_ne_u16_e32 0, v2
	s_cbranch_execz .LBB340_1214
; %bb.1207:                             ;   in Loop: Header=BB340_810 Depth=1
	v_bfrev_b32_e32 v19, 1
	s_mov_b32 s16, exec_lo
	v_cmpx_ne_u16_e32 0x80, v2
	s_cbranch_execz .LBB340_1213
; %bb.1208:                             ;   in Loop: Header=BB340_810 Depth=1
	v_and_b32_e32 v2, 0x7f, v32
	v_mov_b32_e32 v19, 0x7f800001
	s_mov_b32 s17, exec_lo
	s_delay_alu instid0(VALU_DEP_2)
	v_cmpx_ne_u32_e32 0x7f, v2
	s_cbranch_execz .LBB340_1212
; %bb.1209:                             ;   in Loop: Header=BB340_810 Depth=1
	v_mov_b64_e32 v[34:35], v[32:33]
	v_lshrrev_b32_e32 v19, 3, v2
	s_mov_b32 s18, exec_lo
	v_cmpx_gt_u32_e32 8, v2
; %bb.1210:                             ;   in Loop: Header=BB340_810 Depth=1
	v_and_b32_e32 v2, 7, v32
	s_delay_alu instid0(VALU_DEP_1) | instskip(NEXT) | instid1(VALU_DEP_1)
	v_clz_i32_u32_e32 v2, v2
	v_min_u32_e32 v2, 32, v2
	s_delay_alu instid0(VALU_DEP_1) | instskip(SKIP_1) | instid1(VALU_DEP_2)
	v_subrev_nc_u32_e32 v3, 28, v2
	v_sub_nc_u32_e32 v19, 29, v2
	v_lshlrev_b64_e32 v[34:35], v3, v[32:33]
; %bb.1211:                             ;   in Loop: Header=BB340_810 Depth=1
	s_or_b32 exec_lo, exec_lo, s18
	s_delay_alu instid0(VALU_DEP_1) | instskip(NEXT) | instid1(VALU_DEP_3)
	v_dual_lshlrev_b32 v2, 20, v34 :: v_dual_lshlrev_b32 v3, 24, v32
	v_lshl_add_u32 v4, v19, 23, 0x3c000000
	s_delay_alu instid0(VALU_DEP_2) | instskip(NEXT) | instid1(VALU_DEP_3)
	v_and_b32_e32 v2, 0x700000, v2
	v_and_b32_e32 v3, 0x80000000, v3
	s_delay_alu instid0(VALU_DEP_1)
	v_or3_b32 v19, v2, v3, v4
.LBB340_1212:                           ;   in Loop: Header=BB340_810 Depth=1
	s_or_b32 exec_lo, exec_lo, s17
.LBB340_1213:                           ;   in Loop: Header=BB340_810 Depth=1
	s_delay_alu instid0(SALU_CYCLE_1)
	s_or_b32 exec_lo, exec_lo, s16
.LBB340_1214:                           ;   in Loop: Header=BB340_810 Depth=1
	s_delay_alu instid0(SALU_CYCLE_1) | instskip(SKIP_2) | instid1(VALU_DEP_1)
	s_or_b32 exec_lo, exec_lo, s11
	v_lshrrev_b16 v22, 8, v32
	s_mov_b32 s11, exec_lo
	v_cmpx_ne_u16_e32 0, v22
	s_cbranch_execz .LBB340_1222
; %bb.1215:                             ;   in Loop: Header=BB340_810 Depth=1
	v_bfrev_b32_e32 v28, 1
	s_mov_b32 s16, exec_lo
	v_cmpx_ne_u16_e32 0x80, v22
	s_cbranch_execz .LBB340_1221
; %bb.1216:                             ;   in Loop: Header=BB340_810 Depth=1
	v_and_b32_e32 v2, 0xffff, v22
	v_mov_b32_e32 v28, 0x7f800001
	s_mov_b32 s17, exec_lo
	s_delay_alu instid0(VALU_DEP_2) | instskip(NEXT) | instid1(VALU_DEP_1)
	v_and_b32_e32 v29, 0x7f, v2
	v_cmpx_ne_u32_e32 0x7f, v29
	s_cbranch_execz .LBB340_1220
; %bb.1217:                             ;   in Loop: Header=BB340_810 Depth=1
	v_dual_lshrrev_b32 v28, 3, v29 :: v_dual_bitop2_b32 v22, 7, v2 bitop3:0x40
	s_mov_b32 s18, exec_lo
	v_cmpx_gt_u32_e32 8, v29
; %bb.1218:                             ;   in Loop: Header=BB340_810 Depth=1
	s_delay_alu instid0(VALU_DEP_2) | instskip(NEXT) | instid1(VALU_DEP_1)
	v_clz_i32_u32_e32 v2, v22
	v_min_u32_e32 v4, 32, v2
	s_delay_alu instid0(VALU_DEP_1) | instskip(NEXT) | instid1(VALU_DEP_1)
	v_subrev_nc_u32_e32 v2, 28, v4
	v_lshlrev_b64_e32 v[2:3], v2, v[22:23]
	s_delay_alu instid0(VALU_DEP_1)
	v_dual_sub_nc_u32 v28, 29, v4 :: v_dual_bitop2_b32 v22, 7, v2 bitop3:0x40
; %bb.1219:                             ;   in Loop: Header=BB340_810 Depth=1
	s_or_b32 exec_lo, exec_lo, s18
	s_delay_alu instid0(VALU_DEP_1) | instskip(NEXT) | instid1(VALU_DEP_2)
	v_dual_lshlrev_b32 v2, 16, v32 :: v_dual_lshlrev_b32 v3, 20, v22
	v_lshl_add_u32 v4, v28, 23, 0x3c000000
	s_delay_alu instid0(VALU_DEP_2) | instskip(NEXT) | instid1(VALU_DEP_1)
	v_and_b32_e32 v2, 0x80000000, v2
	v_or3_b32 v28, v3, v2, v4
.LBB340_1220:                           ;   in Loop: Header=BB340_810 Depth=1
	s_or_b32 exec_lo, exec_lo, s17
.LBB340_1221:                           ;   in Loop: Header=BB340_810 Depth=1
	s_delay_alu instid0(SALU_CYCLE_1)
	s_or_b32 exec_lo, exec_lo, s16
.LBB340_1222:                           ;   in Loop: Header=BB340_810 Depth=1
	s_delay_alu instid0(SALU_CYCLE_1) | instskip(SKIP_3) | instid1(VALU_DEP_2)
	s_or_b32 exec_lo, exec_lo, s11
	v_dual_mov_b32 v49, 0 :: v_dual_lshrrev_b32 v34, 16, v32
	v_mov_b32_e32 v29, 0
	s_mov_b32 s11, exec_lo
	v_and_b32_e32 v2, 0xff, v34
	s_delay_alu instid0(VALU_DEP_1)
	v_cmpx_ne_u16_e32 0, v2
	s_cbranch_execz .LBB340_1230
; %bb.1223:                             ;   in Loop: Header=BB340_810 Depth=1
	v_bfrev_b32_e32 v29, 1
	s_mov_b32 s16, exec_lo
	v_cmpx_ne_u16_e32 0x80, v2
	s_cbranch_execz .LBB340_1229
; %bb.1224:                             ;   in Loop: Header=BB340_810 Depth=1
	v_bfe_u32 v35, v32, 16, 7
	v_mov_b32_e32 v29, 0x7f800001
	s_mov_b32 s17, exec_lo
	s_delay_alu instid0(VALU_DEP_2)
	v_cmpx_ne_u32_e32 0x7f, v35
	s_cbranch_execz .LBB340_1228
; %bb.1225:                             ;   in Loop: Header=BB340_810 Depth=1
	v_dual_lshrrev_b32 v29, 3, v35 :: v_dual_bitop2_b32 v22, 7, v34 bitop3:0x40
	s_mov_b32 s18, exec_lo
	v_cmpx_gt_u32_e32 8, v35
; %bb.1226:                             ;   in Loop: Header=BB340_810 Depth=1
	s_delay_alu instid0(VALU_DEP_2) | instskip(NEXT) | instid1(VALU_DEP_1)
	v_clz_i32_u32_e32 v2, v22
	v_min_u32_e32 v4, 32, v2
	s_delay_alu instid0(VALU_DEP_1) | instskip(NEXT) | instid1(VALU_DEP_1)
	v_subrev_nc_u32_e32 v2, 28, v4
	v_lshlrev_b64_e32 v[2:3], v2, v[22:23]
	s_delay_alu instid0(VALU_DEP_1)
	v_dual_sub_nc_u32 v29, 29, v4 :: v_dual_bitop2_b32 v22, 7, v2 bitop3:0x40
; %bb.1227:                             ;   in Loop: Header=BB340_810 Depth=1
	s_or_b32 exec_lo, exec_lo, s18
	v_lshlrev_b32_e32 v2, 24, v34
	s_delay_alu instid0(VALU_DEP_2) | instskip(NEXT) | instid1(VALU_DEP_3)
	v_lshlrev_b32_e32 v3, 20, v22
	v_lshl_add_u32 v4, v29, 23, 0x3c000000
	s_delay_alu instid0(VALU_DEP_3) | instskip(NEXT) | instid1(VALU_DEP_1)
	v_and_b32_e32 v2, 0x80000000, v2
	v_or3_b32 v29, v3, v2, v4
.LBB340_1228:                           ;   in Loop: Header=BB340_810 Depth=1
	s_or_b32 exec_lo, exec_lo, s17
.LBB340_1229:                           ;   in Loop: Header=BB340_810 Depth=1
	s_delay_alu instid0(SALU_CYCLE_1)
	s_or_b32 exec_lo, exec_lo, s16
.LBB340_1230:                           ;   in Loop: Header=BB340_810 Depth=1
	s_delay_alu instid0(SALU_CYCLE_1) | instskip(NEXT) | instid1(SALU_CYCLE_1)
	s_or_b32 exec_lo, exec_lo, s11
	s_mov_b32 s11, exec_lo
	v_cmpx_lt_u32_e32 0xffffff, v32
	s_cbranch_execz .LBB340_1238
; %bb.1231:                             ;   in Loop: Header=BB340_810 Depth=1
	v_lshrrev_b32_e32 v34, 24, v32
	v_bfrev_b32_e32 v49, 1
	s_mov_b32 s16, exec_lo
	s_delay_alu instid0(VALU_DEP_2)
	v_cmpx_ne_u32_e32 0x80, v34
	s_cbranch_execz .LBB340_1237
; %bb.1232:                             ;   in Loop: Header=BB340_810 Depth=1
	v_bfe_u32 v50, v32, 24, 7
	v_mov_b32_e32 v49, 0x7f800001
	s_mov_b32 s17, exec_lo
	s_delay_alu instid0(VALU_DEP_2)
	v_cmpx_ne_u32_e32 0x7f, v50
	s_cbranch_execz .LBB340_1236
; %bb.1233:                             ;   in Loop: Header=BB340_810 Depth=1
	v_and_b32_e32 v22, 7, v34
	v_lshrrev_b32_e32 v35, 3, v50
	s_mov_b32 s18, exec_lo
	v_cmpx_gt_u32_e32 8, v50
; %bb.1234:                             ;   in Loop: Header=BB340_810 Depth=1
	s_delay_alu instid0(VALU_DEP_3) | instskip(NEXT) | instid1(VALU_DEP_1)
	v_clz_i32_u32_e32 v2, v22
	v_min_u32_e32 v4, 32, v2
	s_delay_alu instid0(VALU_DEP_1) | instskip(NEXT) | instid1(VALU_DEP_1)
	v_subrev_nc_u32_e32 v2, 28, v4
	v_lshlrev_b64_e32 v[2:3], v2, v[22:23]
	s_delay_alu instid0(VALU_DEP_1)
	v_dual_sub_nc_u32 v35, 29, v4 :: v_dual_bitop2_b32 v22, 7, v2 bitop3:0x40
; %bb.1235:                             ;   in Loop: Header=BB340_810 Depth=1
	s_or_b32 exec_lo, exec_lo, s18
	v_lshlrev_b32_e32 v2, 24, v34
	s_delay_alu instid0(VALU_DEP_2) | instskip(NEXT) | instid1(VALU_DEP_3)
	v_lshlrev_b32_e32 v3, 20, v22
	v_lshl_add_u32 v4, v35, 23, 0x3c000000
	s_delay_alu instid0(VALU_DEP_3) | instskip(NEXT) | instid1(VALU_DEP_1)
	v_and_b32_e32 v2, 0x80000000, v2
	v_or3_b32 v49, v3, v2, v4
.LBB340_1236:                           ;   in Loop: Header=BB340_810 Depth=1
	s_or_b32 exec_lo, exec_lo, s17
.LBB340_1237:                           ;   in Loop: Header=BB340_810 Depth=1
	s_delay_alu instid0(SALU_CYCLE_1)
	s_or_b32 exec_lo, exec_lo, s16
.LBB340_1238:                           ;   in Loop: Header=BB340_810 Depth=1
	s_delay_alu instid0(SALU_CYCLE_1) | instskip(SKIP_4) | instid1(VALU_DEP_3)
	s_or_b32 exec_lo, exec_lo, s11
	v_and_b32_e32 v2, 0xff, v33
	v_dual_mov_b32 v22, v33 :: v_dual_mov_b32 v55, 0
	v_mov_b32_e32 v50, 0
	s_mov_b32 s11, exec_lo
	v_cmpx_ne_u16_e32 0, v2
	s_cbranch_execz .LBB340_1246
; %bb.1239:                             ;   in Loop: Header=BB340_810 Depth=1
	v_bfrev_b32_e32 v50, 1
	s_mov_b32 s16, exec_lo
	v_cmpx_ne_u16_e32 0x80, v2
	s_cbranch_execz .LBB340_1245
; %bb.1240:                             ;   in Loop: Header=BB340_810 Depth=1
	v_and_b32_e32 v2, 0x7f, v33
	v_mov_b32_e32 v50, 0x7f800001
	s_mov_b32 s17, exec_lo
	s_delay_alu instid0(VALU_DEP_2)
	v_cmpx_ne_u32_e32 0x7f, v2
	s_cbranch_execz .LBB340_1244
; %bb.1241:                             ;   in Loop: Header=BB340_810 Depth=1
	v_mov_b64_e32 v[34:35], v[22:23]
	v_lshrrev_b32_e32 v50, 3, v2
	s_mov_b32 s18, exec_lo
	v_cmpx_gt_u32_e32 8, v2
; %bb.1242:                             ;   in Loop: Header=BB340_810 Depth=1
	v_and_b32_e32 v2, 7, v33
	s_delay_alu instid0(VALU_DEP_1) | instskip(NEXT) | instid1(VALU_DEP_1)
	v_clz_i32_u32_e32 v2, v2
	v_min_u32_e32 v2, 32, v2
	s_delay_alu instid0(VALU_DEP_1) | instskip(SKIP_1) | instid1(VALU_DEP_2)
	v_subrev_nc_u32_e32 v3, 28, v2
	v_sub_nc_u32_e32 v50, 29, v2
	v_lshlrev_b64_e32 v[34:35], v3, v[22:23]
; %bb.1243:                             ;   in Loop: Header=BB340_810 Depth=1
	s_or_b32 exec_lo, exec_lo, s18
	s_delay_alu instid0(VALU_DEP_1) | instskip(SKIP_2) | instid1(VALU_DEP_3)
	v_lshlrev_b32_e32 v2, 20, v34
	v_lshlrev_b32_e32 v3, 24, v22
	v_lshl_add_u32 v4, v50, 23, 0x3c000000
	v_and_b32_e32 v2, 0x700000, v2
	s_delay_alu instid0(VALU_DEP_3) | instskip(NEXT) | instid1(VALU_DEP_1)
	v_and_b32_e32 v3, 0x80000000, v3
	v_or3_b32 v50, v2, v3, v4
.LBB340_1244:                           ;   in Loop: Header=BB340_810 Depth=1
	s_or_b32 exec_lo, exec_lo, s17
.LBB340_1245:                           ;   in Loop: Header=BB340_810 Depth=1
	s_delay_alu instid0(SALU_CYCLE_1)
	s_or_b32 exec_lo, exec_lo, s16
.LBB340_1246:                           ;   in Loop: Header=BB340_810 Depth=1
	s_delay_alu instid0(SALU_CYCLE_1) | instskip(SKIP_2) | instid1(VALU_DEP_1)
	s_or_b32 exec_lo, exec_lo, s11
	v_lshrrev_b16 v34, 8, v22
	s_mov_b32 s11, exec_lo
	v_cmpx_ne_u16_e32 0, v34
	s_cbranch_execz .LBB340_1254
; %bb.1247:                             ;   in Loop: Header=BB340_810 Depth=1
	v_bfrev_b32_e32 v55, 1
	s_mov_b32 s16, exec_lo
	v_cmpx_ne_u16_e32 0x80, v34
	s_cbranch_execz .LBB340_1253
; %bb.1248:                             ;   in Loop: Header=BB340_810 Depth=1
	v_and_b32_e32 v2, 0xffff, v34
	v_mov_b32_e32 v55, 0x7f800001
	s_mov_b32 s17, exec_lo
	s_delay_alu instid0(VALU_DEP_2) | instskip(NEXT) | instid1(VALU_DEP_1)
	v_and_b32_e32 v64, 0x7f, v2
	v_cmpx_ne_u32_e32 0x7f, v64
	s_cbranch_execz .LBB340_1252
; %bb.1249:                             ;   in Loop: Header=BB340_810 Depth=1
	v_dual_mov_b32 v35, v23 :: v_dual_bitop2_b32 v34, 7, v2 bitop3:0x40
	v_lshrrev_b32_e32 v55, 3, v64
	s_mov_b32 s18, exec_lo
	v_cmpx_gt_u32_e32 8, v64
; %bb.1250:                             ;   in Loop: Header=BB340_810 Depth=1
	s_delay_alu instid0(VALU_DEP_3) | instskip(NEXT) | instid1(VALU_DEP_1)
	v_clz_i32_u32_e32 v2, v34
	v_min_u32_e32 v4, 32, v2
	s_delay_alu instid0(VALU_DEP_1) | instskip(NEXT) | instid1(VALU_DEP_1)
	v_subrev_nc_u32_e32 v2, 28, v4
	v_lshlrev_b64_e32 v[2:3], v2, v[34:35]
	s_delay_alu instid0(VALU_DEP_1)
	v_dual_sub_nc_u32 v55, 29, v4 :: v_dual_bitop2_b32 v34, 7, v2 bitop3:0x40
; %bb.1251:                             ;   in Loop: Header=BB340_810 Depth=1
	s_or_b32 exec_lo, exec_lo, s18
	v_lshlrev_b32_e32 v2, 16, v22
	s_delay_alu instid0(VALU_DEP_2) | instskip(NEXT) | instid1(VALU_DEP_3)
	v_lshlrev_b32_e32 v3, 20, v34
	v_lshl_add_u32 v4, v55, 23, 0x3c000000
	s_delay_alu instid0(VALU_DEP_3) | instskip(NEXT) | instid1(VALU_DEP_1)
	v_and_b32_e32 v2, 0x80000000, v2
	v_or3_b32 v55, v3, v2, v4
.LBB340_1252:                           ;   in Loop: Header=BB340_810 Depth=1
	s_or_b32 exec_lo, exec_lo, s17
.LBB340_1253:                           ;   in Loop: Header=BB340_810 Depth=1
	s_delay_alu instid0(SALU_CYCLE_1)
	s_or_b32 exec_lo, exec_lo, s16
.LBB340_1254:                           ;   in Loop: Header=BB340_810 Depth=1
	s_delay_alu instid0(SALU_CYCLE_1) | instskip(SKIP_3) | instid1(VALU_DEP_2)
	s_or_b32 exec_lo, exec_lo, s11
	v_dual_lshrrev_b32 v64, 16, v33 :: v_dual_mov_b32 v34, 0
	v_mov_b32_e32 v35, 0
	s_mov_b32 s11, exec_lo
	v_and_b32_e32 v2, 0xff, v64
	s_delay_alu instid0(VALU_DEP_1)
	v_cmpx_ne_u16_e32 0, v2
	s_cbranch_execz .LBB340_1262
; %bb.1255:                             ;   in Loop: Header=BB340_810 Depth=1
	v_bfrev_b32_e32 v35, 1
	s_mov_b32 s16, exec_lo
	v_cmpx_ne_u16_e32 0x80, v2
	s_cbranch_execz .LBB340_1261
; %bb.1256:                             ;   in Loop: Header=BB340_810 Depth=1
	v_bfe_u32 v65, v33, 16, 7
	v_mov_b32_e32 v35, 0x7f800001
	s_mov_b32 s17, exec_lo
	s_delay_alu instid0(VALU_DEP_2)
	v_cmpx_ne_u32_e32 0x7f, v65
	s_cbranch_execz .LBB340_1260
; %bb.1257:                             ;   in Loop: Header=BB340_810 Depth=1
	v_dual_lshrrev_b32 v35, 3, v65 :: v_dual_bitop2_b32 v22, 7, v64 bitop3:0x40
	s_mov_b32 s18, exec_lo
	v_cmpx_gt_u32_e32 8, v65
; %bb.1258:                             ;   in Loop: Header=BB340_810 Depth=1
	s_delay_alu instid0(VALU_DEP_2) | instskip(NEXT) | instid1(VALU_DEP_1)
	v_clz_i32_u32_e32 v2, v22
	v_min_u32_e32 v4, 32, v2
	s_delay_alu instid0(VALU_DEP_1) | instskip(NEXT) | instid1(VALU_DEP_1)
	v_subrev_nc_u32_e32 v2, 28, v4
	v_lshlrev_b64_e32 v[2:3], v2, v[22:23]
	s_delay_alu instid0(VALU_DEP_1)
	v_dual_sub_nc_u32 v35, 29, v4 :: v_dual_bitop2_b32 v22, 7, v2 bitop3:0x40
; %bb.1259:                             ;   in Loop: Header=BB340_810 Depth=1
	s_or_b32 exec_lo, exec_lo, s18
	s_delay_alu instid0(VALU_DEP_1) | instskip(NEXT) | instid1(VALU_DEP_2)
	v_dual_lshlrev_b32 v2, 24, v64 :: v_dual_lshlrev_b32 v3, 20, v22
	v_lshl_add_u32 v4, v35, 23, 0x3c000000
	s_delay_alu instid0(VALU_DEP_2) | instskip(NEXT) | instid1(VALU_DEP_1)
	v_and_b32_e32 v2, 0x80000000, v2
	v_or3_b32 v35, v3, v2, v4
.LBB340_1260:                           ;   in Loop: Header=BB340_810 Depth=1
	s_or_b32 exec_lo, exec_lo, s17
.LBB340_1261:                           ;   in Loop: Header=BB340_810 Depth=1
	s_delay_alu instid0(SALU_CYCLE_1)
	s_or_b32 exec_lo, exec_lo, s16
.LBB340_1262:                           ;   in Loop: Header=BB340_810 Depth=1
	s_delay_alu instid0(SALU_CYCLE_1) | instskip(NEXT) | instid1(SALU_CYCLE_1)
	s_or_b32 exec_lo, exec_lo, s11
	s_mov_b32 s11, exec_lo
	v_cmpx_lt_u64_e64 s[2:3], v[32:33]
	s_cbranch_execz .LBB340_1270
; %bb.1263:                             ;   in Loop: Header=BB340_810 Depth=1
	v_lshrrev_b32_e32 v32, 24, v33
	v_bfrev_b32_e32 v34, 1
	s_mov_b32 s16, exec_lo
	s_delay_alu instid0(VALU_DEP_2)
	v_cmpx_ne_u32_e32 0x80, v32
	s_cbranch_execz .LBB340_1269
; %bb.1264:                             ;   in Loop: Header=BB340_810 Depth=1
	v_bfe_u32 v64, v33, 24, 7
	v_mov_b32_e32 v34, 0x7f800001
	s_mov_b32 s17, exec_lo
	s_delay_alu instid0(VALU_DEP_2)
	v_cmpx_ne_u32_e32 0x7f, v64
	s_cbranch_execz .LBB340_1268
; %bb.1265:                             ;   in Loop: Header=BB340_810 Depth=1
	v_and_b32_e32 v22, 7, v32
	v_lshrrev_b32_e32 v33, 3, v64
	s_mov_b32 s18, exec_lo
	v_cmpx_gt_u32_e32 8, v64
; %bb.1266:                             ;   in Loop: Header=BB340_810 Depth=1
	s_delay_alu instid0(VALU_DEP_3) | instskip(NEXT) | instid1(VALU_DEP_1)
	v_clz_i32_u32_e32 v2, v22
	v_min_u32_e32 v4, 32, v2
	s_delay_alu instid0(VALU_DEP_1) | instskip(NEXT) | instid1(VALU_DEP_1)
	v_subrev_nc_u32_e32 v2, 28, v4
	v_lshlrev_b64_e32 v[2:3], v2, v[22:23]
	s_delay_alu instid0(VALU_DEP_1)
	v_dual_sub_nc_u32 v33, 29, v4 :: v_dual_bitop2_b32 v22, 7, v2 bitop3:0x40
; %bb.1267:                             ;   in Loop: Header=BB340_810 Depth=1
	s_or_b32 exec_lo, exec_lo, s18
	s_delay_alu instid0(VALU_DEP_1) | instskip(NEXT) | instid1(VALU_DEP_2)
	v_dual_lshlrev_b32 v2, 24, v32 :: v_dual_lshlrev_b32 v3, 20, v22
	v_lshl_add_u32 v4, v33, 23, 0x3c000000
	s_delay_alu instid0(VALU_DEP_2) | instskip(NEXT) | instid1(VALU_DEP_1)
	v_and_b32_e32 v2, 0x80000000, v2
	v_or3_b32 v34, v3, v2, v4
.LBB340_1268:                           ;   in Loop: Header=BB340_810 Depth=1
	s_or_b32 exec_lo, exec_lo, s17
.LBB340_1269:                           ;   in Loop: Header=BB340_810 Depth=1
	s_delay_alu instid0(SALU_CYCLE_1)
	s_or_b32 exec_lo, exec_lo, s16
.LBB340_1270:                           ;   in Loop: Header=BB340_810 Depth=1
	s_delay_alu instid0(SALU_CYCLE_1)
	s_or_b32 exec_lo, exec_lo, s11
	v_fma_mixlo_bf16 v63, v51, v55, 0
	v_fma_mixlo_bf16 v72, v51, v50, 0
	;; [unrolled: 1-line block ×8, first 2 shown]
	s_and_saveexec_b32 s11, vcc_lo
	s_cbranch_execz .LBB340_1272
; %bb.1271:                             ;   in Loop: Header=BB340_810 Depth=1
	v_cmp_lt_i32_e64 s0, v84, v48
	s_delay_alu instid0(VALU_DEP_1) | instskip(SKIP_1) | instid1(VALU_DEP_1)
	v_cndmask_b32_e64 v78, 0, v78, s0
	v_cmp_lt_i32_e64 s0, v96, v48
	v_cndmask_b32_e64 v77, 0, v77, s0
	v_cmp_lt_i32_e64 s0, v87, v48
	s_delay_alu instid0(VALU_DEP_1) | instskip(SKIP_1) | instid1(VALU_DEP_1)
	v_cndmask_b32_e64 v76, 0, v76, s0
	v_cmp_lt_i32_e64 s0, v86, v48
	v_cndmask_b32_e64 v75, 0, v75, s0
	;; [unrolled: 5-line block ×4, first 2 shown]
.LBB340_1272:                           ;   in Loop: Header=BB340_810 Depth=1
	s_or_b32 exec_lo, exec_lo, s11
	flat_load_b64 v[32:33], v[30:31] offset:1792
	v_dual_mov_b32 v28, 0 :: v_dual_mov_b32 v19, 0
	s_mov_b32 s11, exec_lo
	s_wait_loadcnt_dscnt 0x0
	v_and_b32_e32 v2, 0xff, v32
	s_wait_xcnt 0x0
	s_delay_alu instid0(VALU_DEP_1)
	v_cmpx_ne_u16_e32 0, v2
	s_cbranch_execz .LBB340_1280
; %bb.1273:                             ;   in Loop: Header=BB340_810 Depth=1
	v_bfrev_b32_e32 v19, 1
	s_mov_b32 s16, exec_lo
	v_cmpx_ne_u16_e32 0x80, v2
	s_cbranch_execz .LBB340_1279
; %bb.1274:                             ;   in Loop: Header=BB340_810 Depth=1
	v_and_b32_e32 v2, 0x7f, v32
	v_mov_b32_e32 v19, 0x7f800001
	s_mov_b32 s17, exec_lo
	s_delay_alu instid0(VALU_DEP_2)
	v_cmpx_ne_u32_e32 0x7f, v2
	s_cbranch_execz .LBB340_1278
; %bb.1275:                             ;   in Loop: Header=BB340_810 Depth=1
	v_mov_b64_e32 v[34:35], v[32:33]
	v_lshrrev_b32_e32 v19, 3, v2
	s_mov_b32 s18, exec_lo
	v_cmpx_gt_u32_e32 8, v2
; %bb.1276:                             ;   in Loop: Header=BB340_810 Depth=1
	v_and_b32_e32 v2, 7, v32
	s_delay_alu instid0(VALU_DEP_1) | instskip(NEXT) | instid1(VALU_DEP_1)
	v_clz_i32_u32_e32 v2, v2
	v_min_u32_e32 v2, 32, v2
	s_delay_alu instid0(VALU_DEP_1) | instskip(SKIP_1) | instid1(VALU_DEP_2)
	v_subrev_nc_u32_e32 v3, 28, v2
	v_sub_nc_u32_e32 v19, 29, v2
	v_lshlrev_b64_e32 v[34:35], v3, v[32:33]
; %bb.1277:                             ;   in Loop: Header=BB340_810 Depth=1
	s_or_b32 exec_lo, exec_lo, s18
	s_delay_alu instid0(VALU_DEP_1) | instskip(NEXT) | instid1(VALU_DEP_3)
	v_dual_lshlrev_b32 v2, 20, v34 :: v_dual_lshlrev_b32 v3, 24, v32
	v_lshl_add_u32 v4, v19, 23, 0x3c000000
	s_delay_alu instid0(VALU_DEP_2) | instskip(NEXT) | instid1(VALU_DEP_3)
	v_and_b32_e32 v2, 0x700000, v2
	v_and_b32_e32 v3, 0x80000000, v3
	s_delay_alu instid0(VALU_DEP_1)
	v_or3_b32 v19, v2, v3, v4
.LBB340_1278:                           ;   in Loop: Header=BB340_810 Depth=1
	s_or_b32 exec_lo, exec_lo, s17
.LBB340_1279:                           ;   in Loop: Header=BB340_810 Depth=1
	s_delay_alu instid0(SALU_CYCLE_1)
	s_or_b32 exec_lo, exec_lo, s16
.LBB340_1280:                           ;   in Loop: Header=BB340_810 Depth=1
	s_delay_alu instid0(SALU_CYCLE_1) | instskip(SKIP_2) | instid1(VALU_DEP_1)
	s_or_b32 exec_lo, exec_lo, s11
	v_lshrrev_b16 v22, 8, v32
	s_mov_b32 s11, exec_lo
	v_cmpx_ne_u16_e32 0, v22
	s_cbranch_execz .LBB340_1288
; %bb.1281:                             ;   in Loop: Header=BB340_810 Depth=1
	v_bfrev_b32_e32 v28, 1
	s_mov_b32 s16, exec_lo
	v_cmpx_ne_u16_e32 0x80, v22
	s_cbranch_execz .LBB340_1287
; %bb.1282:                             ;   in Loop: Header=BB340_810 Depth=1
	v_and_b32_e32 v2, 0xffff, v22
	v_mov_b32_e32 v28, 0x7f800001
	s_mov_b32 s17, exec_lo
	s_delay_alu instid0(VALU_DEP_2) | instskip(NEXT) | instid1(VALU_DEP_1)
	v_and_b32_e32 v29, 0x7f, v2
	v_cmpx_ne_u32_e32 0x7f, v29
	s_cbranch_execz .LBB340_1286
; %bb.1283:                             ;   in Loop: Header=BB340_810 Depth=1
	v_dual_lshrrev_b32 v28, 3, v29 :: v_dual_bitop2_b32 v22, 7, v2 bitop3:0x40
	s_mov_b32 s18, exec_lo
	v_cmpx_gt_u32_e32 8, v29
; %bb.1284:                             ;   in Loop: Header=BB340_810 Depth=1
	s_delay_alu instid0(VALU_DEP_2) | instskip(NEXT) | instid1(VALU_DEP_1)
	v_clz_i32_u32_e32 v2, v22
	v_min_u32_e32 v4, 32, v2
	s_delay_alu instid0(VALU_DEP_1) | instskip(NEXT) | instid1(VALU_DEP_1)
	v_subrev_nc_u32_e32 v2, 28, v4
	v_lshlrev_b64_e32 v[2:3], v2, v[22:23]
	s_delay_alu instid0(VALU_DEP_1)
	v_dual_sub_nc_u32 v28, 29, v4 :: v_dual_bitop2_b32 v22, 7, v2 bitop3:0x40
; %bb.1285:                             ;   in Loop: Header=BB340_810 Depth=1
	s_or_b32 exec_lo, exec_lo, s18
	s_delay_alu instid0(VALU_DEP_1) | instskip(NEXT) | instid1(VALU_DEP_2)
	v_dual_lshlrev_b32 v2, 16, v32 :: v_dual_lshlrev_b32 v3, 20, v22
	v_lshl_add_u32 v4, v28, 23, 0x3c000000
	s_delay_alu instid0(VALU_DEP_2) | instskip(NEXT) | instid1(VALU_DEP_1)
	v_and_b32_e32 v2, 0x80000000, v2
	v_or3_b32 v28, v3, v2, v4
.LBB340_1286:                           ;   in Loop: Header=BB340_810 Depth=1
	s_or_b32 exec_lo, exec_lo, s17
.LBB340_1287:                           ;   in Loop: Header=BB340_810 Depth=1
	s_delay_alu instid0(SALU_CYCLE_1)
	s_or_b32 exec_lo, exec_lo, s16
.LBB340_1288:                           ;   in Loop: Header=BB340_810 Depth=1
	s_delay_alu instid0(SALU_CYCLE_1) | instskip(SKIP_3) | instid1(VALU_DEP_2)
	s_or_b32 exec_lo, exec_lo, s11
	v_dual_mov_b32 v49, 0 :: v_dual_lshrrev_b32 v34, 16, v32
	v_mov_b32_e32 v29, 0
	s_mov_b32 s11, exec_lo
	v_and_b32_e32 v2, 0xff, v34
	s_delay_alu instid0(VALU_DEP_1)
	v_cmpx_ne_u16_e32 0, v2
	s_cbranch_execz .LBB340_1296
; %bb.1289:                             ;   in Loop: Header=BB340_810 Depth=1
	v_bfrev_b32_e32 v29, 1
	s_mov_b32 s16, exec_lo
	v_cmpx_ne_u16_e32 0x80, v2
	s_cbranch_execz .LBB340_1295
; %bb.1290:                             ;   in Loop: Header=BB340_810 Depth=1
	v_bfe_u32 v35, v32, 16, 7
	v_mov_b32_e32 v29, 0x7f800001
	s_mov_b32 s17, exec_lo
	s_delay_alu instid0(VALU_DEP_2)
	v_cmpx_ne_u32_e32 0x7f, v35
	s_cbranch_execz .LBB340_1294
; %bb.1291:                             ;   in Loop: Header=BB340_810 Depth=1
	v_dual_lshrrev_b32 v29, 3, v35 :: v_dual_bitop2_b32 v22, 7, v34 bitop3:0x40
	s_mov_b32 s18, exec_lo
	v_cmpx_gt_u32_e32 8, v35
; %bb.1292:                             ;   in Loop: Header=BB340_810 Depth=1
	s_delay_alu instid0(VALU_DEP_2) | instskip(NEXT) | instid1(VALU_DEP_1)
	v_clz_i32_u32_e32 v2, v22
	v_min_u32_e32 v4, 32, v2
	s_delay_alu instid0(VALU_DEP_1) | instskip(NEXT) | instid1(VALU_DEP_1)
	v_subrev_nc_u32_e32 v2, 28, v4
	v_lshlrev_b64_e32 v[2:3], v2, v[22:23]
	s_delay_alu instid0(VALU_DEP_1)
	v_dual_sub_nc_u32 v29, 29, v4 :: v_dual_bitop2_b32 v22, 7, v2 bitop3:0x40
; %bb.1293:                             ;   in Loop: Header=BB340_810 Depth=1
	s_or_b32 exec_lo, exec_lo, s18
	v_lshlrev_b32_e32 v2, 24, v34
	s_delay_alu instid0(VALU_DEP_2) | instskip(NEXT) | instid1(VALU_DEP_3)
	v_lshlrev_b32_e32 v3, 20, v22
	v_lshl_add_u32 v4, v29, 23, 0x3c000000
	s_delay_alu instid0(VALU_DEP_3) | instskip(NEXT) | instid1(VALU_DEP_1)
	v_and_b32_e32 v2, 0x80000000, v2
	v_or3_b32 v29, v3, v2, v4
.LBB340_1294:                           ;   in Loop: Header=BB340_810 Depth=1
	s_or_b32 exec_lo, exec_lo, s17
.LBB340_1295:                           ;   in Loop: Header=BB340_810 Depth=1
	s_delay_alu instid0(SALU_CYCLE_1)
	s_or_b32 exec_lo, exec_lo, s16
.LBB340_1296:                           ;   in Loop: Header=BB340_810 Depth=1
	s_delay_alu instid0(SALU_CYCLE_1) | instskip(NEXT) | instid1(SALU_CYCLE_1)
	s_or_b32 exec_lo, exec_lo, s11
	s_mov_b32 s11, exec_lo
	v_cmpx_lt_u32_e32 0xffffff, v32
	s_cbranch_execz .LBB340_1304
; %bb.1297:                             ;   in Loop: Header=BB340_810 Depth=1
	v_lshrrev_b32_e32 v34, 24, v32
	v_bfrev_b32_e32 v49, 1
	s_mov_b32 s16, exec_lo
	s_delay_alu instid0(VALU_DEP_2)
	v_cmpx_ne_u32_e32 0x80, v34
	s_cbranch_execz .LBB340_1303
; %bb.1298:                             ;   in Loop: Header=BB340_810 Depth=1
	v_bfe_u32 v50, v32, 24, 7
	v_mov_b32_e32 v49, 0x7f800001
	s_mov_b32 s17, exec_lo
	s_delay_alu instid0(VALU_DEP_2)
	v_cmpx_ne_u32_e32 0x7f, v50
	s_cbranch_execz .LBB340_1302
; %bb.1299:                             ;   in Loop: Header=BB340_810 Depth=1
	v_and_b32_e32 v22, 7, v34
	v_lshrrev_b32_e32 v35, 3, v50
	s_mov_b32 s18, exec_lo
	v_cmpx_gt_u32_e32 8, v50
; %bb.1300:                             ;   in Loop: Header=BB340_810 Depth=1
	s_delay_alu instid0(VALU_DEP_3) | instskip(NEXT) | instid1(VALU_DEP_1)
	v_clz_i32_u32_e32 v2, v22
	v_min_u32_e32 v4, 32, v2
	s_delay_alu instid0(VALU_DEP_1) | instskip(NEXT) | instid1(VALU_DEP_1)
	v_subrev_nc_u32_e32 v2, 28, v4
	v_lshlrev_b64_e32 v[2:3], v2, v[22:23]
	s_delay_alu instid0(VALU_DEP_1)
	v_dual_sub_nc_u32 v35, 29, v4 :: v_dual_bitop2_b32 v22, 7, v2 bitop3:0x40
; %bb.1301:                             ;   in Loop: Header=BB340_810 Depth=1
	s_or_b32 exec_lo, exec_lo, s18
	v_lshlrev_b32_e32 v2, 24, v34
	s_delay_alu instid0(VALU_DEP_2) | instskip(NEXT) | instid1(VALU_DEP_3)
	v_lshlrev_b32_e32 v3, 20, v22
	v_lshl_add_u32 v4, v35, 23, 0x3c000000
	s_delay_alu instid0(VALU_DEP_3) | instskip(NEXT) | instid1(VALU_DEP_1)
	v_and_b32_e32 v2, 0x80000000, v2
	v_or3_b32 v49, v3, v2, v4
.LBB340_1302:                           ;   in Loop: Header=BB340_810 Depth=1
	s_or_b32 exec_lo, exec_lo, s17
.LBB340_1303:                           ;   in Loop: Header=BB340_810 Depth=1
	s_delay_alu instid0(SALU_CYCLE_1)
	s_or_b32 exec_lo, exec_lo, s16
.LBB340_1304:                           ;   in Loop: Header=BB340_810 Depth=1
	s_delay_alu instid0(SALU_CYCLE_1) | instskip(SKIP_4) | instid1(VALU_DEP_3)
	s_or_b32 exec_lo, exec_lo, s11
	v_and_b32_e32 v2, 0xff, v33
	v_dual_mov_b32 v22, v33 :: v_dual_mov_b32 v55, 0
	v_mov_b32_e32 v50, 0
	s_mov_b32 s11, exec_lo
	v_cmpx_ne_u16_e32 0, v2
	s_cbranch_execz .LBB340_1312
; %bb.1305:                             ;   in Loop: Header=BB340_810 Depth=1
	v_bfrev_b32_e32 v50, 1
	s_mov_b32 s16, exec_lo
	v_cmpx_ne_u16_e32 0x80, v2
	s_cbranch_execz .LBB340_1311
; %bb.1306:                             ;   in Loop: Header=BB340_810 Depth=1
	v_and_b32_e32 v2, 0x7f, v33
	v_mov_b32_e32 v50, 0x7f800001
	s_mov_b32 s17, exec_lo
	s_delay_alu instid0(VALU_DEP_2)
	v_cmpx_ne_u32_e32 0x7f, v2
	s_cbranch_execz .LBB340_1310
; %bb.1307:                             ;   in Loop: Header=BB340_810 Depth=1
	v_mov_b64_e32 v[34:35], v[22:23]
	v_lshrrev_b32_e32 v50, 3, v2
	s_mov_b32 s18, exec_lo
	v_cmpx_gt_u32_e32 8, v2
; %bb.1308:                             ;   in Loop: Header=BB340_810 Depth=1
	v_and_b32_e32 v2, 7, v33
	s_delay_alu instid0(VALU_DEP_1) | instskip(NEXT) | instid1(VALU_DEP_1)
	v_clz_i32_u32_e32 v2, v2
	v_min_u32_e32 v2, 32, v2
	s_delay_alu instid0(VALU_DEP_1) | instskip(SKIP_1) | instid1(VALU_DEP_2)
	v_subrev_nc_u32_e32 v3, 28, v2
	v_sub_nc_u32_e32 v50, 29, v2
	v_lshlrev_b64_e32 v[34:35], v3, v[22:23]
; %bb.1309:                             ;   in Loop: Header=BB340_810 Depth=1
	s_or_b32 exec_lo, exec_lo, s18
	s_delay_alu instid0(VALU_DEP_1) | instskip(SKIP_2) | instid1(VALU_DEP_3)
	v_lshlrev_b32_e32 v2, 20, v34
	v_lshlrev_b32_e32 v3, 24, v22
	v_lshl_add_u32 v4, v50, 23, 0x3c000000
	v_and_b32_e32 v2, 0x700000, v2
	s_delay_alu instid0(VALU_DEP_3) | instskip(NEXT) | instid1(VALU_DEP_1)
	v_and_b32_e32 v3, 0x80000000, v3
	v_or3_b32 v50, v2, v3, v4
.LBB340_1310:                           ;   in Loop: Header=BB340_810 Depth=1
	s_or_b32 exec_lo, exec_lo, s17
.LBB340_1311:                           ;   in Loop: Header=BB340_810 Depth=1
	s_delay_alu instid0(SALU_CYCLE_1)
	s_or_b32 exec_lo, exec_lo, s16
.LBB340_1312:                           ;   in Loop: Header=BB340_810 Depth=1
	s_delay_alu instid0(SALU_CYCLE_1) | instskip(SKIP_2) | instid1(VALU_DEP_1)
	s_or_b32 exec_lo, exec_lo, s11
	v_lshrrev_b16 v34, 8, v22
	s_mov_b32 s11, exec_lo
	v_cmpx_ne_u16_e32 0, v34
	s_cbranch_execz .LBB340_1320
; %bb.1313:                             ;   in Loop: Header=BB340_810 Depth=1
	v_bfrev_b32_e32 v55, 1
	s_mov_b32 s16, exec_lo
	v_cmpx_ne_u16_e32 0x80, v34
	s_cbranch_execz .LBB340_1319
; %bb.1314:                             ;   in Loop: Header=BB340_810 Depth=1
	v_and_b32_e32 v2, 0xffff, v34
	v_mov_b32_e32 v55, 0x7f800001
	s_mov_b32 s17, exec_lo
	s_delay_alu instid0(VALU_DEP_2) | instskip(NEXT) | instid1(VALU_DEP_1)
	v_and_b32_e32 v64, 0x7f, v2
	v_cmpx_ne_u32_e32 0x7f, v64
	s_cbranch_execz .LBB340_1318
; %bb.1315:                             ;   in Loop: Header=BB340_810 Depth=1
	v_dual_mov_b32 v35, v23 :: v_dual_bitop2_b32 v34, 7, v2 bitop3:0x40
	v_lshrrev_b32_e32 v55, 3, v64
	s_mov_b32 s18, exec_lo
	v_cmpx_gt_u32_e32 8, v64
; %bb.1316:                             ;   in Loop: Header=BB340_810 Depth=1
	s_delay_alu instid0(VALU_DEP_3) | instskip(NEXT) | instid1(VALU_DEP_1)
	v_clz_i32_u32_e32 v2, v34
	v_min_u32_e32 v4, 32, v2
	s_delay_alu instid0(VALU_DEP_1) | instskip(NEXT) | instid1(VALU_DEP_1)
	v_subrev_nc_u32_e32 v2, 28, v4
	v_lshlrev_b64_e32 v[2:3], v2, v[34:35]
	s_delay_alu instid0(VALU_DEP_1)
	v_dual_sub_nc_u32 v55, 29, v4 :: v_dual_bitop2_b32 v34, 7, v2 bitop3:0x40
; %bb.1317:                             ;   in Loop: Header=BB340_810 Depth=1
	s_or_b32 exec_lo, exec_lo, s18
	v_lshlrev_b32_e32 v2, 16, v22
	s_delay_alu instid0(VALU_DEP_2) | instskip(NEXT) | instid1(VALU_DEP_3)
	v_lshlrev_b32_e32 v3, 20, v34
	v_lshl_add_u32 v4, v55, 23, 0x3c000000
	s_delay_alu instid0(VALU_DEP_3) | instskip(NEXT) | instid1(VALU_DEP_1)
	v_and_b32_e32 v2, 0x80000000, v2
	v_or3_b32 v55, v3, v2, v4
.LBB340_1318:                           ;   in Loop: Header=BB340_810 Depth=1
	s_or_b32 exec_lo, exec_lo, s17
.LBB340_1319:                           ;   in Loop: Header=BB340_810 Depth=1
	s_delay_alu instid0(SALU_CYCLE_1)
	s_or_b32 exec_lo, exec_lo, s16
.LBB340_1320:                           ;   in Loop: Header=BB340_810 Depth=1
	s_delay_alu instid0(SALU_CYCLE_1) | instskip(SKIP_3) | instid1(VALU_DEP_2)
	s_or_b32 exec_lo, exec_lo, s11
	v_dual_lshrrev_b32 v64, 16, v33 :: v_dual_mov_b32 v34, 0
	v_mov_b32_e32 v35, 0
	s_mov_b32 s11, exec_lo
	v_and_b32_e32 v2, 0xff, v64
	s_delay_alu instid0(VALU_DEP_1)
	v_cmpx_ne_u16_e32 0, v2
	s_cbranch_execz .LBB340_1328
; %bb.1321:                             ;   in Loop: Header=BB340_810 Depth=1
	v_bfrev_b32_e32 v35, 1
	s_mov_b32 s16, exec_lo
	v_cmpx_ne_u16_e32 0x80, v2
	s_cbranch_execz .LBB340_1327
; %bb.1322:                             ;   in Loop: Header=BB340_810 Depth=1
	v_bfe_u32 v65, v33, 16, 7
	v_mov_b32_e32 v35, 0x7f800001
	s_mov_b32 s17, exec_lo
	s_delay_alu instid0(VALU_DEP_2)
	v_cmpx_ne_u32_e32 0x7f, v65
	s_cbranch_execz .LBB340_1326
; %bb.1323:                             ;   in Loop: Header=BB340_810 Depth=1
	v_dual_lshrrev_b32 v35, 3, v65 :: v_dual_bitop2_b32 v22, 7, v64 bitop3:0x40
	s_mov_b32 s18, exec_lo
	v_cmpx_gt_u32_e32 8, v65
; %bb.1324:                             ;   in Loop: Header=BB340_810 Depth=1
	s_delay_alu instid0(VALU_DEP_2) | instskip(NEXT) | instid1(VALU_DEP_1)
	v_clz_i32_u32_e32 v2, v22
	v_min_u32_e32 v4, 32, v2
	s_delay_alu instid0(VALU_DEP_1) | instskip(NEXT) | instid1(VALU_DEP_1)
	v_subrev_nc_u32_e32 v2, 28, v4
	v_lshlrev_b64_e32 v[2:3], v2, v[22:23]
	s_delay_alu instid0(VALU_DEP_1)
	v_dual_sub_nc_u32 v35, 29, v4 :: v_dual_bitop2_b32 v22, 7, v2 bitop3:0x40
; %bb.1325:                             ;   in Loop: Header=BB340_810 Depth=1
	s_or_b32 exec_lo, exec_lo, s18
	s_delay_alu instid0(VALU_DEP_1) | instskip(NEXT) | instid1(VALU_DEP_2)
	v_dual_lshlrev_b32 v2, 24, v64 :: v_dual_lshlrev_b32 v3, 20, v22
	v_lshl_add_u32 v4, v35, 23, 0x3c000000
	s_delay_alu instid0(VALU_DEP_2) | instskip(NEXT) | instid1(VALU_DEP_1)
	v_and_b32_e32 v2, 0x80000000, v2
	v_or3_b32 v35, v3, v2, v4
.LBB340_1326:                           ;   in Loop: Header=BB340_810 Depth=1
	s_or_b32 exec_lo, exec_lo, s17
.LBB340_1327:                           ;   in Loop: Header=BB340_810 Depth=1
	s_delay_alu instid0(SALU_CYCLE_1)
	s_or_b32 exec_lo, exec_lo, s16
.LBB340_1328:                           ;   in Loop: Header=BB340_810 Depth=1
	s_delay_alu instid0(SALU_CYCLE_1) | instskip(NEXT) | instid1(SALU_CYCLE_1)
	s_or_b32 exec_lo, exec_lo, s11
	s_mov_b32 s11, exec_lo
	v_cmpx_lt_u64_e64 s[2:3], v[32:33]
	s_cbranch_execz .LBB340_1336
; %bb.1329:                             ;   in Loop: Header=BB340_810 Depth=1
	v_lshrrev_b32_e32 v32, 24, v33
	v_bfrev_b32_e32 v34, 1
	s_mov_b32 s16, exec_lo
	s_delay_alu instid0(VALU_DEP_2)
	v_cmpx_ne_u32_e32 0x80, v32
	s_cbranch_execz .LBB340_1335
; %bb.1330:                             ;   in Loop: Header=BB340_810 Depth=1
	v_bfe_u32 v64, v33, 24, 7
	v_mov_b32_e32 v34, 0x7f800001
	s_mov_b32 s17, exec_lo
	s_delay_alu instid0(VALU_DEP_2)
	v_cmpx_ne_u32_e32 0x7f, v64
	s_cbranch_execz .LBB340_1334
; %bb.1331:                             ;   in Loop: Header=BB340_810 Depth=1
	v_and_b32_e32 v22, 7, v32
	v_lshrrev_b32_e32 v33, 3, v64
	s_mov_b32 s18, exec_lo
	v_cmpx_gt_u32_e32 8, v64
; %bb.1332:                             ;   in Loop: Header=BB340_810 Depth=1
	s_delay_alu instid0(VALU_DEP_3) | instskip(NEXT) | instid1(VALU_DEP_1)
	v_clz_i32_u32_e32 v2, v22
	v_min_u32_e32 v4, 32, v2
	s_delay_alu instid0(VALU_DEP_1) | instskip(NEXT) | instid1(VALU_DEP_1)
	v_subrev_nc_u32_e32 v2, 28, v4
	v_lshlrev_b64_e32 v[2:3], v2, v[22:23]
	s_delay_alu instid0(VALU_DEP_1)
	v_dual_sub_nc_u32 v33, 29, v4 :: v_dual_bitop2_b32 v22, 7, v2 bitop3:0x40
; %bb.1333:                             ;   in Loop: Header=BB340_810 Depth=1
	s_or_b32 exec_lo, exec_lo, s18
	s_delay_alu instid0(VALU_DEP_1) | instskip(NEXT) | instid1(VALU_DEP_2)
	v_dual_lshlrev_b32 v2, 24, v32 :: v_dual_lshlrev_b32 v3, 20, v22
	v_lshl_add_u32 v4, v33, 23, 0x3c000000
	s_delay_alu instid0(VALU_DEP_2) | instskip(NEXT) | instid1(VALU_DEP_1)
	v_and_b32_e32 v2, 0x80000000, v2
	v_or3_b32 v34, v3, v2, v4
.LBB340_1334:                           ;   in Loop: Header=BB340_810 Depth=1
	s_or_b32 exec_lo, exec_lo, s17
.LBB340_1335:                           ;   in Loop: Header=BB340_810 Depth=1
	s_delay_alu instid0(SALU_CYCLE_1)
	s_or_b32 exec_lo, exec_lo, s16
.LBB340_1336:                           ;   in Loop: Header=BB340_810 Depth=1
	s_delay_alu instid0(SALU_CYCLE_1)
	s_or_b32 exec_lo, exec_lo, s11
	v_fma_mixlo_bf16 v79, v51, v55, 0
	v_fma_mixlo_bf16 v88, v51, v50, 0
	;; [unrolled: 1-line block ×8, first 2 shown]
	s_and_saveexec_b32 s11, vcc_lo
	s_cbranch_execz .LBB340_1338
; %bb.1337:                             ;   in Loop: Header=BB340_810 Depth=1
	v_cmp_lt_i32_e64 s0, v84, v48
	s_delay_alu instid0(VALU_DEP_1) | instskip(SKIP_1) | instid1(VALU_DEP_1)
	v_cndmask_b32_e64 v94, 0, v94, s0
	v_cmp_lt_i32_e64 s0, v96, v48
	v_cndmask_b32_e64 v93, 0, v93, s0
	v_cmp_lt_i32_e64 s0, v87, v48
	s_delay_alu instid0(VALU_DEP_1) | instskip(SKIP_1) | instid1(VALU_DEP_1)
	v_cndmask_b32_e64 v92, 0, v92, s0
	v_cmp_lt_i32_e64 s0, v86, v48
	v_cndmask_b32_e64 v91, 0, v91, s0
	;; [unrolled: 5-line block ×4, first 2 shown]
.LBB340_1338:                           ;   in Loop: Header=BB340_810 Depth=1
	s_or_b32 exec_lo, exec_lo, s11
	flat_load_b64 v[32:33], v[30:31] offset:2048
	v_dual_mov_b32 v28, 0 :: v_dual_mov_b32 v19, 0
	s_mov_b32 s11, exec_lo
	s_wait_loadcnt_dscnt 0x0
	v_and_b32_e32 v2, 0xff, v32
	s_wait_xcnt 0x0
	s_delay_alu instid0(VALU_DEP_1)
	v_cmpx_ne_u16_e32 0, v2
	s_cbranch_execz .LBB340_1346
; %bb.1339:                             ;   in Loop: Header=BB340_810 Depth=1
	v_bfrev_b32_e32 v19, 1
	s_mov_b32 s16, exec_lo
	v_cmpx_ne_u16_e32 0x80, v2
	s_cbranch_execz .LBB340_1345
; %bb.1340:                             ;   in Loop: Header=BB340_810 Depth=1
	v_and_b32_e32 v2, 0x7f, v32
	v_mov_b32_e32 v19, 0x7f800001
	s_mov_b32 s17, exec_lo
	s_delay_alu instid0(VALU_DEP_2)
	v_cmpx_ne_u32_e32 0x7f, v2
	s_cbranch_execz .LBB340_1344
; %bb.1341:                             ;   in Loop: Header=BB340_810 Depth=1
	v_mov_b64_e32 v[34:35], v[32:33]
	v_lshrrev_b32_e32 v19, 3, v2
	s_mov_b32 s18, exec_lo
	v_cmpx_gt_u32_e32 8, v2
; %bb.1342:                             ;   in Loop: Header=BB340_810 Depth=1
	v_and_b32_e32 v2, 7, v32
	s_delay_alu instid0(VALU_DEP_1) | instskip(NEXT) | instid1(VALU_DEP_1)
	v_clz_i32_u32_e32 v2, v2
	v_min_u32_e32 v2, 32, v2
	s_delay_alu instid0(VALU_DEP_1) | instskip(SKIP_1) | instid1(VALU_DEP_2)
	v_subrev_nc_u32_e32 v3, 28, v2
	v_sub_nc_u32_e32 v19, 29, v2
	v_lshlrev_b64_e32 v[34:35], v3, v[32:33]
; %bb.1343:                             ;   in Loop: Header=BB340_810 Depth=1
	s_or_b32 exec_lo, exec_lo, s18
	s_delay_alu instid0(VALU_DEP_1) | instskip(NEXT) | instid1(VALU_DEP_3)
	v_dual_lshlrev_b32 v2, 20, v34 :: v_dual_lshlrev_b32 v3, 24, v32
	v_lshl_add_u32 v4, v19, 23, 0x3c000000
	s_delay_alu instid0(VALU_DEP_2) | instskip(NEXT) | instid1(VALU_DEP_3)
	v_and_b32_e32 v2, 0x700000, v2
	v_and_b32_e32 v3, 0x80000000, v3
	s_delay_alu instid0(VALU_DEP_1)
	v_or3_b32 v19, v2, v3, v4
.LBB340_1344:                           ;   in Loop: Header=BB340_810 Depth=1
	s_or_b32 exec_lo, exec_lo, s17
.LBB340_1345:                           ;   in Loop: Header=BB340_810 Depth=1
	s_delay_alu instid0(SALU_CYCLE_1)
	s_or_b32 exec_lo, exec_lo, s16
.LBB340_1346:                           ;   in Loop: Header=BB340_810 Depth=1
	s_delay_alu instid0(SALU_CYCLE_1) | instskip(SKIP_2) | instid1(VALU_DEP_1)
	s_or_b32 exec_lo, exec_lo, s11
	v_lshrrev_b16 v22, 8, v32
	s_mov_b32 s11, exec_lo
	v_cmpx_ne_u16_e32 0, v22
	s_cbranch_execz .LBB340_1354
; %bb.1347:                             ;   in Loop: Header=BB340_810 Depth=1
	v_bfrev_b32_e32 v28, 1
	s_mov_b32 s16, exec_lo
	v_cmpx_ne_u16_e32 0x80, v22
	s_cbranch_execz .LBB340_1353
; %bb.1348:                             ;   in Loop: Header=BB340_810 Depth=1
	v_and_b32_e32 v2, 0xffff, v22
	v_mov_b32_e32 v28, 0x7f800001
	s_mov_b32 s17, exec_lo
	s_delay_alu instid0(VALU_DEP_2) | instskip(NEXT) | instid1(VALU_DEP_1)
	v_and_b32_e32 v29, 0x7f, v2
	v_cmpx_ne_u32_e32 0x7f, v29
	s_cbranch_execz .LBB340_1352
; %bb.1349:                             ;   in Loop: Header=BB340_810 Depth=1
	v_dual_lshrrev_b32 v28, 3, v29 :: v_dual_bitop2_b32 v22, 7, v2 bitop3:0x40
	s_mov_b32 s18, exec_lo
	v_cmpx_gt_u32_e32 8, v29
; %bb.1350:                             ;   in Loop: Header=BB340_810 Depth=1
	s_delay_alu instid0(VALU_DEP_2) | instskip(NEXT) | instid1(VALU_DEP_1)
	v_clz_i32_u32_e32 v2, v22
	v_min_u32_e32 v4, 32, v2
	s_delay_alu instid0(VALU_DEP_1) | instskip(NEXT) | instid1(VALU_DEP_1)
	v_subrev_nc_u32_e32 v2, 28, v4
	v_lshlrev_b64_e32 v[2:3], v2, v[22:23]
	s_delay_alu instid0(VALU_DEP_1)
	v_dual_sub_nc_u32 v28, 29, v4 :: v_dual_bitop2_b32 v22, 7, v2 bitop3:0x40
; %bb.1351:                             ;   in Loop: Header=BB340_810 Depth=1
	s_or_b32 exec_lo, exec_lo, s18
	s_delay_alu instid0(VALU_DEP_1) | instskip(NEXT) | instid1(VALU_DEP_2)
	v_dual_lshlrev_b32 v2, 16, v32 :: v_dual_lshlrev_b32 v3, 20, v22
	v_lshl_add_u32 v4, v28, 23, 0x3c000000
	s_delay_alu instid0(VALU_DEP_2) | instskip(NEXT) | instid1(VALU_DEP_1)
	v_and_b32_e32 v2, 0x80000000, v2
	v_or3_b32 v28, v3, v2, v4
.LBB340_1352:                           ;   in Loop: Header=BB340_810 Depth=1
	s_or_b32 exec_lo, exec_lo, s17
.LBB340_1353:                           ;   in Loop: Header=BB340_810 Depth=1
	s_delay_alu instid0(SALU_CYCLE_1)
	s_or_b32 exec_lo, exec_lo, s16
.LBB340_1354:                           ;   in Loop: Header=BB340_810 Depth=1
	s_delay_alu instid0(SALU_CYCLE_1) | instskip(SKIP_3) | instid1(VALU_DEP_2)
	s_or_b32 exec_lo, exec_lo, s11
	v_dual_mov_b32 v49, 0 :: v_dual_lshrrev_b32 v34, 16, v32
	v_mov_b32_e32 v29, 0
	s_mov_b32 s11, exec_lo
	v_and_b32_e32 v2, 0xff, v34
	s_delay_alu instid0(VALU_DEP_1)
	v_cmpx_ne_u16_e32 0, v2
	s_cbranch_execz .LBB340_1362
; %bb.1355:                             ;   in Loop: Header=BB340_810 Depth=1
	v_bfrev_b32_e32 v29, 1
	s_mov_b32 s16, exec_lo
	v_cmpx_ne_u16_e32 0x80, v2
	s_cbranch_execz .LBB340_1361
; %bb.1356:                             ;   in Loop: Header=BB340_810 Depth=1
	v_bfe_u32 v35, v32, 16, 7
	v_mov_b32_e32 v29, 0x7f800001
	s_mov_b32 s17, exec_lo
	s_delay_alu instid0(VALU_DEP_2)
	v_cmpx_ne_u32_e32 0x7f, v35
	s_cbranch_execz .LBB340_1360
; %bb.1357:                             ;   in Loop: Header=BB340_810 Depth=1
	v_dual_lshrrev_b32 v29, 3, v35 :: v_dual_bitop2_b32 v22, 7, v34 bitop3:0x40
	s_mov_b32 s18, exec_lo
	v_cmpx_gt_u32_e32 8, v35
; %bb.1358:                             ;   in Loop: Header=BB340_810 Depth=1
	s_delay_alu instid0(VALU_DEP_2) | instskip(NEXT) | instid1(VALU_DEP_1)
	v_clz_i32_u32_e32 v2, v22
	v_min_u32_e32 v4, 32, v2
	s_delay_alu instid0(VALU_DEP_1) | instskip(NEXT) | instid1(VALU_DEP_1)
	v_subrev_nc_u32_e32 v2, 28, v4
	v_lshlrev_b64_e32 v[2:3], v2, v[22:23]
	s_delay_alu instid0(VALU_DEP_1)
	v_dual_sub_nc_u32 v29, 29, v4 :: v_dual_bitop2_b32 v22, 7, v2 bitop3:0x40
; %bb.1359:                             ;   in Loop: Header=BB340_810 Depth=1
	s_or_b32 exec_lo, exec_lo, s18
	v_lshlrev_b32_e32 v2, 24, v34
	s_delay_alu instid0(VALU_DEP_2) | instskip(NEXT) | instid1(VALU_DEP_3)
	v_lshlrev_b32_e32 v3, 20, v22
	v_lshl_add_u32 v4, v29, 23, 0x3c000000
	s_delay_alu instid0(VALU_DEP_3) | instskip(NEXT) | instid1(VALU_DEP_1)
	v_and_b32_e32 v2, 0x80000000, v2
	v_or3_b32 v29, v3, v2, v4
.LBB340_1360:                           ;   in Loop: Header=BB340_810 Depth=1
	s_or_b32 exec_lo, exec_lo, s17
.LBB340_1361:                           ;   in Loop: Header=BB340_810 Depth=1
	s_delay_alu instid0(SALU_CYCLE_1)
	s_or_b32 exec_lo, exec_lo, s16
.LBB340_1362:                           ;   in Loop: Header=BB340_810 Depth=1
	s_delay_alu instid0(SALU_CYCLE_1) | instskip(NEXT) | instid1(SALU_CYCLE_1)
	s_or_b32 exec_lo, exec_lo, s11
	s_mov_b32 s11, exec_lo
	v_cmpx_lt_u32_e32 0xffffff, v32
	s_cbranch_execz .LBB340_1370
; %bb.1363:                             ;   in Loop: Header=BB340_810 Depth=1
	v_lshrrev_b32_e32 v34, 24, v32
	v_bfrev_b32_e32 v49, 1
	s_mov_b32 s16, exec_lo
	s_delay_alu instid0(VALU_DEP_2)
	v_cmpx_ne_u32_e32 0x80, v34
	s_cbranch_execz .LBB340_1369
; %bb.1364:                             ;   in Loop: Header=BB340_810 Depth=1
	v_bfe_u32 v50, v32, 24, 7
	v_mov_b32_e32 v49, 0x7f800001
	s_mov_b32 s17, exec_lo
	s_delay_alu instid0(VALU_DEP_2)
	v_cmpx_ne_u32_e32 0x7f, v50
	s_cbranch_execz .LBB340_1368
; %bb.1365:                             ;   in Loop: Header=BB340_810 Depth=1
	v_and_b32_e32 v22, 7, v34
	v_lshrrev_b32_e32 v35, 3, v50
	s_mov_b32 s18, exec_lo
	v_cmpx_gt_u32_e32 8, v50
; %bb.1366:                             ;   in Loop: Header=BB340_810 Depth=1
	s_delay_alu instid0(VALU_DEP_3) | instskip(NEXT) | instid1(VALU_DEP_1)
	v_clz_i32_u32_e32 v2, v22
	v_min_u32_e32 v4, 32, v2
	s_delay_alu instid0(VALU_DEP_1) | instskip(NEXT) | instid1(VALU_DEP_1)
	v_subrev_nc_u32_e32 v2, 28, v4
	v_lshlrev_b64_e32 v[2:3], v2, v[22:23]
	s_delay_alu instid0(VALU_DEP_1)
	v_dual_sub_nc_u32 v35, 29, v4 :: v_dual_bitop2_b32 v22, 7, v2 bitop3:0x40
; %bb.1367:                             ;   in Loop: Header=BB340_810 Depth=1
	s_or_b32 exec_lo, exec_lo, s18
	v_lshlrev_b32_e32 v2, 24, v34
	s_delay_alu instid0(VALU_DEP_2) | instskip(NEXT) | instid1(VALU_DEP_3)
	v_lshlrev_b32_e32 v3, 20, v22
	v_lshl_add_u32 v4, v35, 23, 0x3c000000
	s_delay_alu instid0(VALU_DEP_3) | instskip(NEXT) | instid1(VALU_DEP_1)
	v_and_b32_e32 v2, 0x80000000, v2
	v_or3_b32 v49, v3, v2, v4
.LBB340_1368:                           ;   in Loop: Header=BB340_810 Depth=1
	s_or_b32 exec_lo, exec_lo, s17
.LBB340_1369:                           ;   in Loop: Header=BB340_810 Depth=1
	s_delay_alu instid0(SALU_CYCLE_1)
	s_or_b32 exec_lo, exec_lo, s16
.LBB340_1370:                           ;   in Loop: Header=BB340_810 Depth=1
	s_delay_alu instid0(SALU_CYCLE_1) | instskip(SKIP_4) | instid1(VALU_DEP_3)
	s_or_b32 exec_lo, exec_lo, s11
	v_and_b32_e32 v2, 0xff, v33
	v_dual_mov_b32 v22, v33 :: v_dual_mov_b32 v55, 0
	v_mov_b32_e32 v50, 0
	s_mov_b32 s11, exec_lo
	v_cmpx_ne_u16_e32 0, v2
	s_cbranch_execz .LBB340_1378
; %bb.1371:                             ;   in Loop: Header=BB340_810 Depth=1
	v_bfrev_b32_e32 v50, 1
	s_mov_b32 s16, exec_lo
	v_cmpx_ne_u16_e32 0x80, v2
	s_cbranch_execz .LBB340_1377
; %bb.1372:                             ;   in Loop: Header=BB340_810 Depth=1
	v_and_b32_e32 v2, 0x7f, v33
	v_mov_b32_e32 v50, 0x7f800001
	s_mov_b32 s17, exec_lo
	s_delay_alu instid0(VALU_DEP_2)
	v_cmpx_ne_u32_e32 0x7f, v2
	s_cbranch_execz .LBB340_1376
; %bb.1373:                             ;   in Loop: Header=BB340_810 Depth=1
	v_mov_b64_e32 v[34:35], v[22:23]
	v_lshrrev_b32_e32 v50, 3, v2
	s_mov_b32 s18, exec_lo
	v_cmpx_gt_u32_e32 8, v2
; %bb.1374:                             ;   in Loop: Header=BB340_810 Depth=1
	v_and_b32_e32 v2, 7, v33
	s_delay_alu instid0(VALU_DEP_1) | instskip(NEXT) | instid1(VALU_DEP_1)
	v_clz_i32_u32_e32 v2, v2
	v_min_u32_e32 v2, 32, v2
	s_delay_alu instid0(VALU_DEP_1) | instskip(SKIP_1) | instid1(VALU_DEP_2)
	v_subrev_nc_u32_e32 v3, 28, v2
	v_sub_nc_u32_e32 v50, 29, v2
	v_lshlrev_b64_e32 v[34:35], v3, v[22:23]
; %bb.1375:                             ;   in Loop: Header=BB340_810 Depth=1
	s_or_b32 exec_lo, exec_lo, s18
	s_delay_alu instid0(VALU_DEP_1) | instskip(SKIP_2) | instid1(VALU_DEP_3)
	v_lshlrev_b32_e32 v2, 20, v34
	v_lshlrev_b32_e32 v3, 24, v22
	v_lshl_add_u32 v4, v50, 23, 0x3c000000
	v_and_b32_e32 v2, 0x700000, v2
	s_delay_alu instid0(VALU_DEP_3) | instskip(NEXT) | instid1(VALU_DEP_1)
	v_and_b32_e32 v3, 0x80000000, v3
	v_or3_b32 v50, v2, v3, v4
.LBB340_1376:                           ;   in Loop: Header=BB340_810 Depth=1
	s_or_b32 exec_lo, exec_lo, s17
.LBB340_1377:                           ;   in Loop: Header=BB340_810 Depth=1
	s_delay_alu instid0(SALU_CYCLE_1)
	s_or_b32 exec_lo, exec_lo, s16
.LBB340_1378:                           ;   in Loop: Header=BB340_810 Depth=1
	s_delay_alu instid0(SALU_CYCLE_1) | instskip(SKIP_2) | instid1(VALU_DEP_1)
	s_or_b32 exec_lo, exec_lo, s11
	v_lshrrev_b16 v34, 8, v22
	s_mov_b32 s11, exec_lo
	v_cmpx_ne_u16_e32 0, v34
	s_cbranch_execz .LBB340_1386
; %bb.1379:                             ;   in Loop: Header=BB340_810 Depth=1
	v_bfrev_b32_e32 v55, 1
	s_mov_b32 s16, exec_lo
	v_cmpx_ne_u16_e32 0x80, v34
	s_cbranch_execz .LBB340_1385
; %bb.1380:                             ;   in Loop: Header=BB340_810 Depth=1
	v_and_b32_e32 v2, 0xffff, v34
	v_mov_b32_e32 v55, 0x7f800001
	s_mov_b32 s17, exec_lo
	s_delay_alu instid0(VALU_DEP_2) | instskip(NEXT) | instid1(VALU_DEP_1)
	v_and_b32_e32 v64, 0x7f, v2
	v_cmpx_ne_u32_e32 0x7f, v64
	s_cbranch_execz .LBB340_1384
; %bb.1381:                             ;   in Loop: Header=BB340_810 Depth=1
	v_dual_mov_b32 v35, v23 :: v_dual_bitop2_b32 v34, 7, v2 bitop3:0x40
	v_lshrrev_b32_e32 v55, 3, v64
	s_mov_b32 s18, exec_lo
	v_cmpx_gt_u32_e32 8, v64
; %bb.1382:                             ;   in Loop: Header=BB340_810 Depth=1
	s_delay_alu instid0(VALU_DEP_3) | instskip(NEXT) | instid1(VALU_DEP_1)
	v_clz_i32_u32_e32 v2, v34
	v_min_u32_e32 v4, 32, v2
	s_delay_alu instid0(VALU_DEP_1) | instskip(NEXT) | instid1(VALU_DEP_1)
	v_subrev_nc_u32_e32 v2, 28, v4
	v_lshlrev_b64_e32 v[2:3], v2, v[34:35]
	s_delay_alu instid0(VALU_DEP_1)
	v_dual_sub_nc_u32 v55, 29, v4 :: v_dual_bitop2_b32 v34, 7, v2 bitop3:0x40
; %bb.1383:                             ;   in Loop: Header=BB340_810 Depth=1
	s_or_b32 exec_lo, exec_lo, s18
	v_lshlrev_b32_e32 v2, 16, v22
	s_delay_alu instid0(VALU_DEP_2) | instskip(NEXT) | instid1(VALU_DEP_3)
	v_lshlrev_b32_e32 v3, 20, v34
	v_lshl_add_u32 v4, v55, 23, 0x3c000000
	s_delay_alu instid0(VALU_DEP_3) | instskip(NEXT) | instid1(VALU_DEP_1)
	v_and_b32_e32 v2, 0x80000000, v2
	v_or3_b32 v55, v3, v2, v4
.LBB340_1384:                           ;   in Loop: Header=BB340_810 Depth=1
	s_or_b32 exec_lo, exec_lo, s17
.LBB340_1385:                           ;   in Loop: Header=BB340_810 Depth=1
	s_delay_alu instid0(SALU_CYCLE_1)
	s_or_b32 exec_lo, exec_lo, s16
.LBB340_1386:                           ;   in Loop: Header=BB340_810 Depth=1
	s_delay_alu instid0(SALU_CYCLE_1) | instskip(SKIP_3) | instid1(VALU_DEP_2)
	s_or_b32 exec_lo, exec_lo, s11
	v_dual_lshrrev_b32 v64, 16, v33 :: v_dual_mov_b32 v34, 0
	v_mov_b32_e32 v35, 0
	s_mov_b32 s11, exec_lo
	v_and_b32_e32 v2, 0xff, v64
	s_delay_alu instid0(VALU_DEP_1)
	v_cmpx_ne_u16_e32 0, v2
	s_cbranch_execz .LBB340_1394
; %bb.1387:                             ;   in Loop: Header=BB340_810 Depth=1
	v_bfrev_b32_e32 v35, 1
	s_mov_b32 s16, exec_lo
	v_cmpx_ne_u16_e32 0x80, v2
	s_cbranch_execz .LBB340_1393
; %bb.1388:                             ;   in Loop: Header=BB340_810 Depth=1
	v_bfe_u32 v65, v33, 16, 7
	v_mov_b32_e32 v35, 0x7f800001
	s_mov_b32 s17, exec_lo
	s_delay_alu instid0(VALU_DEP_2)
	v_cmpx_ne_u32_e32 0x7f, v65
	s_cbranch_execz .LBB340_1392
; %bb.1389:                             ;   in Loop: Header=BB340_810 Depth=1
	v_dual_lshrrev_b32 v35, 3, v65 :: v_dual_bitop2_b32 v22, 7, v64 bitop3:0x40
	s_mov_b32 s18, exec_lo
	v_cmpx_gt_u32_e32 8, v65
; %bb.1390:                             ;   in Loop: Header=BB340_810 Depth=1
	s_delay_alu instid0(VALU_DEP_2) | instskip(NEXT) | instid1(VALU_DEP_1)
	v_clz_i32_u32_e32 v2, v22
	v_min_u32_e32 v4, 32, v2
	s_delay_alu instid0(VALU_DEP_1) | instskip(NEXT) | instid1(VALU_DEP_1)
	v_subrev_nc_u32_e32 v2, 28, v4
	v_lshlrev_b64_e32 v[2:3], v2, v[22:23]
	s_delay_alu instid0(VALU_DEP_1)
	v_dual_sub_nc_u32 v35, 29, v4 :: v_dual_bitop2_b32 v22, 7, v2 bitop3:0x40
; %bb.1391:                             ;   in Loop: Header=BB340_810 Depth=1
	s_or_b32 exec_lo, exec_lo, s18
	s_delay_alu instid0(VALU_DEP_1) | instskip(NEXT) | instid1(VALU_DEP_2)
	v_dual_lshlrev_b32 v2, 24, v64 :: v_dual_lshlrev_b32 v3, 20, v22
	v_lshl_add_u32 v4, v35, 23, 0x3c000000
	s_delay_alu instid0(VALU_DEP_2) | instskip(NEXT) | instid1(VALU_DEP_1)
	v_and_b32_e32 v2, 0x80000000, v2
	v_or3_b32 v35, v3, v2, v4
.LBB340_1392:                           ;   in Loop: Header=BB340_810 Depth=1
	s_or_b32 exec_lo, exec_lo, s17
.LBB340_1393:                           ;   in Loop: Header=BB340_810 Depth=1
	s_delay_alu instid0(SALU_CYCLE_1)
	s_or_b32 exec_lo, exec_lo, s16
.LBB340_1394:                           ;   in Loop: Header=BB340_810 Depth=1
	s_delay_alu instid0(SALU_CYCLE_1) | instskip(NEXT) | instid1(SALU_CYCLE_1)
	s_or_b32 exec_lo, exec_lo, s11
	s_mov_b32 s11, exec_lo
	v_cmpx_lt_u64_e64 s[2:3], v[32:33]
	s_cbranch_execz .LBB340_1402
; %bb.1395:                             ;   in Loop: Header=BB340_810 Depth=1
	v_lshrrev_b32_e32 v32, 24, v33
	v_bfrev_b32_e32 v34, 1
	s_mov_b32 s16, exec_lo
	s_delay_alu instid0(VALU_DEP_2)
	v_cmpx_ne_u32_e32 0x80, v32
	s_cbranch_execz .LBB340_1401
; %bb.1396:                             ;   in Loop: Header=BB340_810 Depth=1
	v_bfe_u32 v64, v33, 24, 7
	v_mov_b32_e32 v34, 0x7f800001
	s_mov_b32 s17, exec_lo
	s_delay_alu instid0(VALU_DEP_2)
	v_cmpx_ne_u32_e32 0x7f, v64
	s_cbranch_execz .LBB340_1400
; %bb.1397:                             ;   in Loop: Header=BB340_810 Depth=1
	v_and_b32_e32 v22, 7, v32
	v_lshrrev_b32_e32 v33, 3, v64
	s_mov_b32 s18, exec_lo
	v_cmpx_gt_u32_e32 8, v64
; %bb.1398:                             ;   in Loop: Header=BB340_810 Depth=1
	s_delay_alu instid0(VALU_DEP_3) | instskip(NEXT) | instid1(VALU_DEP_1)
	v_clz_i32_u32_e32 v2, v22
	v_min_u32_e32 v4, 32, v2
	s_delay_alu instid0(VALU_DEP_1) | instskip(NEXT) | instid1(VALU_DEP_1)
	v_subrev_nc_u32_e32 v2, 28, v4
	v_lshlrev_b64_e32 v[2:3], v2, v[22:23]
	s_delay_alu instid0(VALU_DEP_1)
	v_dual_sub_nc_u32 v33, 29, v4 :: v_dual_bitop2_b32 v22, 7, v2 bitop3:0x40
; %bb.1399:                             ;   in Loop: Header=BB340_810 Depth=1
	s_or_b32 exec_lo, exec_lo, s18
	s_delay_alu instid0(VALU_DEP_1) | instskip(NEXT) | instid1(VALU_DEP_2)
	v_dual_lshlrev_b32 v2, 24, v32 :: v_dual_lshlrev_b32 v3, 20, v22
	v_lshl_add_u32 v4, v33, 23, 0x3c000000
	s_delay_alu instid0(VALU_DEP_2) | instskip(NEXT) | instid1(VALU_DEP_1)
	v_and_b32_e32 v2, 0x80000000, v2
	v_or3_b32 v34, v3, v2, v4
.LBB340_1400:                           ;   in Loop: Header=BB340_810 Depth=1
	s_or_b32 exec_lo, exec_lo, s17
.LBB340_1401:                           ;   in Loop: Header=BB340_810 Depth=1
	s_delay_alu instid0(SALU_CYCLE_1)
	s_or_b32 exec_lo, exec_lo, s16
.LBB340_1402:                           ;   in Loop: Header=BB340_810 Depth=1
	s_delay_alu instid0(SALU_CYCLE_1)
	s_or_b32 exec_lo, exec_lo, s11
	v_fma_mixlo_bf16 v95, v51, v55, 0
	v_fma_mixlo_bf16 v104, v51, v50, 0
	;; [unrolled: 1-line block ×8, first 2 shown]
	s_and_saveexec_b32 s11, vcc_lo
	s_cbranch_execz .LBB340_1404
; %bb.1403:                             ;   in Loop: Header=BB340_810 Depth=1
	v_cmp_lt_i32_e64 s0, v84, v48
	s_delay_alu instid0(VALU_DEP_1) | instskip(SKIP_1) | instid1(VALU_DEP_1)
	v_cndmask_b32_e64 v110, 0, v110, s0
	v_cmp_lt_i32_e64 s0, v96, v48
	v_cndmask_b32_e64 v109, 0, v109, s0
	v_cmp_lt_i32_e64 s0, v87, v48
	s_delay_alu instid0(VALU_DEP_1) | instskip(SKIP_1) | instid1(VALU_DEP_1)
	v_cndmask_b32_e64 v108, 0, v108, s0
	v_cmp_lt_i32_e64 s0, v86, v48
	v_cndmask_b32_e64 v107, 0, v107, s0
	;; [unrolled: 5-line block ×4, first 2 shown]
.LBB340_1404:                           ;   in Loop: Header=BB340_810 Depth=1
	s_or_b32 exec_lo, exec_lo, s11
	flat_load_b64 v[32:33], v[30:31] offset:2304
	v_dual_mov_b32 v28, 0 :: v_dual_mov_b32 v19, 0
	s_mov_b32 s11, exec_lo
	s_wait_loadcnt_dscnt 0x0
	v_and_b32_e32 v2, 0xff, v32
	s_wait_xcnt 0x0
	s_delay_alu instid0(VALU_DEP_1)
	v_cmpx_ne_u16_e32 0, v2
	s_cbranch_execz .LBB340_1412
; %bb.1405:                             ;   in Loop: Header=BB340_810 Depth=1
	v_bfrev_b32_e32 v19, 1
	s_mov_b32 s16, exec_lo
	v_cmpx_ne_u16_e32 0x80, v2
	s_cbranch_execz .LBB340_1411
; %bb.1406:                             ;   in Loop: Header=BB340_810 Depth=1
	v_and_b32_e32 v2, 0x7f, v32
	v_mov_b32_e32 v19, 0x7f800001
	s_mov_b32 s17, exec_lo
	s_delay_alu instid0(VALU_DEP_2)
	v_cmpx_ne_u32_e32 0x7f, v2
	s_cbranch_execz .LBB340_1410
; %bb.1407:                             ;   in Loop: Header=BB340_810 Depth=1
	v_mov_b64_e32 v[34:35], v[32:33]
	v_lshrrev_b32_e32 v19, 3, v2
	s_mov_b32 s18, exec_lo
	v_cmpx_gt_u32_e32 8, v2
; %bb.1408:                             ;   in Loop: Header=BB340_810 Depth=1
	v_and_b32_e32 v2, 7, v32
	s_delay_alu instid0(VALU_DEP_1) | instskip(NEXT) | instid1(VALU_DEP_1)
	v_clz_i32_u32_e32 v2, v2
	v_min_u32_e32 v2, 32, v2
	s_delay_alu instid0(VALU_DEP_1) | instskip(SKIP_1) | instid1(VALU_DEP_2)
	v_subrev_nc_u32_e32 v3, 28, v2
	v_sub_nc_u32_e32 v19, 29, v2
	v_lshlrev_b64_e32 v[34:35], v3, v[32:33]
; %bb.1409:                             ;   in Loop: Header=BB340_810 Depth=1
	s_or_b32 exec_lo, exec_lo, s18
	s_delay_alu instid0(VALU_DEP_1) | instskip(NEXT) | instid1(VALU_DEP_3)
	v_dual_lshlrev_b32 v2, 20, v34 :: v_dual_lshlrev_b32 v3, 24, v32
	v_lshl_add_u32 v4, v19, 23, 0x3c000000
	s_delay_alu instid0(VALU_DEP_2) | instskip(NEXT) | instid1(VALU_DEP_3)
	v_and_b32_e32 v2, 0x700000, v2
	v_and_b32_e32 v3, 0x80000000, v3
	s_delay_alu instid0(VALU_DEP_1)
	v_or3_b32 v19, v2, v3, v4
.LBB340_1410:                           ;   in Loop: Header=BB340_810 Depth=1
	s_or_b32 exec_lo, exec_lo, s17
.LBB340_1411:                           ;   in Loop: Header=BB340_810 Depth=1
	s_delay_alu instid0(SALU_CYCLE_1)
	s_or_b32 exec_lo, exec_lo, s16
.LBB340_1412:                           ;   in Loop: Header=BB340_810 Depth=1
	s_delay_alu instid0(SALU_CYCLE_1) | instskip(SKIP_2) | instid1(VALU_DEP_1)
	s_or_b32 exec_lo, exec_lo, s11
	v_lshrrev_b16 v22, 8, v32
	s_mov_b32 s11, exec_lo
	v_cmpx_ne_u16_e32 0, v22
	s_cbranch_execz .LBB340_1420
; %bb.1413:                             ;   in Loop: Header=BB340_810 Depth=1
	v_bfrev_b32_e32 v28, 1
	s_mov_b32 s16, exec_lo
	v_cmpx_ne_u16_e32 0x80, v22
	s_cbranch_execz .LBB340_1419
; %bb.1414:                             ;   in Loop: Header=BB340_810 Depth=1
	v_and_b32_e32 v2, 0xffff, v22
	v_mov_b32_e32 v28, 0x7f800001
	s_mov_b32 s17, exec_lo
	s_delay_alu instid0(VALU_DEP_2) | instskip(NEXT) | instid1(VALU_DEP_1)
	v_and_b32_e32 v29, 0x7f, v2
	v_cmpx_ne_u32_e32 0x7f, v29
	s_cbranch_execz .LBB340_1418
; %bb.1415:                             ;   in Loop: Header=BB340_810 Depth=1
	v_dual_lshrrev_b32 v28, 3, v29 :: v_dual_bitop2_b32 v22, 7, v2 bitop3:0x40
	s_mov_b32 s18, exec_lo
	v_cmpx_gt_u32_e32 8, v29
; %bb.1416:                             ;   in Loop: Header=BB340_810 Depth=1
	s_delay_alu instid0(VALU_DEP_2) | instskip(NEXT) | instid1(VALU_DEP_1)
	v_clz_i32_u32_e32 v2, v22
	v_min_u32_e32 v4, 32, v2
	s_delay_alu instid0(VALU_DEP_1) | instskip(NEXT) | instid1(VALU_DEP_1)
	v_subrev_nc_u32_e32 v2, 28, v4
	v_lshlrev_b64_e32 v[2:3], v2, v[22:23]
	s_delay_alu instid0(VALU_DEP_1)
	v_dual_sub_nc_u32 v28, 29, v4 :: v_dual_bitop2_b32 v22, 7, v2 bitop3:0x40
; %bb.1417:                             ;   in Loop: Header=BB340_810 Depth=1
	s_or_b32 exec_lo, exec_lo, s18
	s_delay_alu instid0(VALU_DEP_1) | instskip(NEXT) | instid1(VALU_DEP_2)
	v_dual_lshlrev_b32 v2, 16, v32 :: v_dual_lshlrev_b32 v3, 20, v22
	v_lshl_add_u32 v4, v28, 23, 0x3c000000
	s_delay_alu instid0(VALU_DEP_2) | instskip(NEXT) | instid1(VALU_DEP_1)
	v_and_b32_e32 v2, 0x80000000, v2
	v_or3_b32 v28, v3, v2, v4
.LBB340_1418:                           ;   in Loop: Header=BB340_810 Depth=1
	s_or_b32 exec_lo, exec_lo, s17
.LBB340_1419:                           ;   in Loop: Header=BB340_810 Depth=1
	s_delay_alu instid0(SALU_CYCLE_1)
	s_or_b32 exec_lo, exec_lo, s16
.LBB340_1420:                           ;   in Loop: Header=BB340_810 Depth=1
	s_delay_alu instid0(SALU_CYCLE_1) | instskip(SKIP_3) | instid1(VALU_DEP_2)
	s_or_b32 exec_lo, exec_lo, s11
	v_dual_mov_b32 v49, 0 :: v_dual_lshrrev_b32 v34, 16, v32
	v_mov_b32_e32 v29, 0
	s_mov_b32 s11, exec_lo
	v_and_b32_e32 v2, 0xff, v34
	s_delay_alu instid0(VALU_DEP_1)
	v_cmpx_ne_u16_e32 0, v2
	s_cbranch_execz .LBB340_1428
; %bb.1421:                             ;   in Loop: Header=BB340_810 Depth=1
	v_bfrev_b32_e32 v29, 1
	s_mov_b32 s16, exec_lo
	v_cmpx_ne_u16_e32 0x80, v2
	s_cbranch_execz .LBB340_1427
; %bb.1422:                             ;   in Loop: Header=BB340_810 Depth=1
	v_bfe_u32 v35, v32, 16, 7
	v_mov_b32_e32 v29, 0x7f800001
	s_mov_b32 s17, exec_lo
	s_delay_alu instid0(VALU_DEP_2)
	v_cmpx_ne_u32_e32 0x7f, v35
	s_cbranch_execz .LBB340_1426
; %bb.1423:                             ;   in Loop: Header=BB340_810 Depth=1
	v_dual_lshrrev_b32 v29, 3, v35 :: v_dual_bitop2_b32 v22, 7, v34 bitop3:0x40
	s_mov_b32 s18, exec_lo
	v_cmpx_gt_u32_e32 8, v35
; %bb.1424:                             ;   in Loop: Header=BB340_810 Depth=1
	s_delay_alu instid0(VALU_DEP_2) | instskip(NEXT) | instid1(VALU_DEP_1)
	v_clz_i32_u32_e32 v2, v22
	v_min_u32_e32 v4, 32, v2
	s_delay_alu instid0(VALU_DEP_1) | instskip(NEXT) | instid1(VALU_DEP_1)
	v_subrev_nc_u32_e32 v2, 28, v4
	v_lshlrev_b64_e32 v[2:3], v2, v[22:23]
	s_delay_alu instid0(VALU_DEP_1)
	v_dual_sub_nc_u32 v29, 29, v4 :: v_dual_bitop2_b32 v22, 7, v2 bitop3:0x40
; %bb.1425:                             ;   in Loop: Header=BB340_810 Depth=1
	s_or_b32 exec_lo, exec_lo, s18
	v_lshlrev_b32_e32 v2, 24, v34
	s_delay_alu instid0(VALU_DEP_2) | instskip(NEXT) | instid1(VALU_DEP_3)
	v_lshlrev_b32_e32 v3, 20, v22
	v_lshl_add_u32 v4, v29, 23, 0x3c000000
	s_delay_alu instid0(VALU_DEP_3) | instskip(NEXT) | instid1(VALU_DEP_1)
	v_and_b32_e32 v2, 0x80000000, v2
	v_or3_b32 v29, v3, v2, v4
.LBB340_1426:                           ;   in Loop: Header=BB340_810 Depth=1
	s_or_b32 exec_lo, exec_lo, s17
.LBB340_1427:                           ;   in Loop: Header=BB340_810 Depth=1
	s_delay_alu instid0(SALU_CYCLE_1)
	s_or_b32 exec_lo, exec_lo, s16
.LBB340_1428:                           ;   in Loop: Header=BB340_810 Depth=1
	s_delay_alu instid0(SALU_CYCLE_1) | instskip(NEXT) | instid1(SALU_CYCLE_1)
	s_or_b32 exec_lo, exec_lo, s11
	s_mov_b32 s11, exec_lo
	v_cmpx_lt_u32_e32 0xffffff, v32
	s_cbranch_execz .LBB340_1436
; %bb.1429:                             ;   in Loop: Header=BB340_810 Depth=1
	v_lshrrev_b32_e32 v34, 24, v32
	v_bfrev_b32_e32 v49, 1
	s_mov_b32 s16, exec_lo
	s_delay_alu instid0(VALU_DEP_2)
	v_cmpx_ne_u32_e32 0x80, v34
	s_cbranch_execz .LBB340_1435
; %bb.1430:                             ;   in Loop: Header=BB340_810 Depth=1
	v_bfe_u32 v50, v32, 24, 7
	v_mov_b32_e32 v49, 0x7f800001
	s_mov_b32 s17, exec_lo
	s_delay_alu instid0(VALU_DEP_2)
	v_cmpx_ne_u32_e32 0x7f, v50
	s_cbranch_execz .LBB340_1434
; %bb.1431:                             ;   in Loop: Header=BB340_810 Depth=1
	v_and_b32_e32 v22, 7, v34
	v_lshrrev_b32_e32 v35, 3, v50
	s_mov_b32 s18, exec_lo
	v_cmpx_gt_u32_e32 8, v50
; %bb.1432:                             ;   in Loop: Header=BB340_810 Depth=1
	s_delay_alu instid0(VALU_DEP_3) | instskip(NEXT) | instid1(VALU_DEP_1)
	v_clz_i32_u32_e32 v2, v22
	v_min_u32_e32 v4, 32, v2
	s_delay_alu instid0(VALU_DEP_1) | instskip(NEXT) | instid1(VALU_DEP_1)
	v_subrev_nc_u32_e32 v2, 28, v4
	v_lshlrev_b64_e32 v[2:3], v2, v[22:23]
	s_delay_alu instid0(VALU_DEP_1)
	v_dual_sub_nc_u32 v35, 29, v4 :: v_dual_bitop2_b32 v22, 7, v2 bitop3:0x40
; %bb.1433:                             ;   in Loop: Header=BB340_810 Depth=1
	s_or_b32 exec_lo, exec_lo, s18
	v_lshlrev_b32_e32 v2, 24, v34
	s_delay_alu instid0(VALU_DEP_2) | instskip(NEXT) | instid1(VALU_DEP_3)
	v_lshlrev_b32_e32 v3, 20, v22
	v_lshl_add_u32 v4, v35, 23, 0x3c000000
	s_delay_alu instid0(VALU_DEP_3) | instskip(NEXT) | instid1(VALU_DEP_1)
	v_and_b32_e32 v2, 0x80000000, v2
	v_or3_b32 v49, v3, v2, v4
.LBB340_1434:                           ;   in Loop: Header=BB340_810 Depth=1
	s_or_b32 exec_lo, exec_lo, s17
.LBB340_1435:                           ;   in Loop: Header=BB340_810 Depth=1
	s_delay_alu instid0(SALU_CYCLE_1)
	s_or_b32 exec_lo, exec_lo, s16
.LBB340_1436:                           ;   in Loop: Header=BB340_810 Depth=1
	s_delay_alu instid0(SALU_CYCLE_1) | instskip(SKIP_4) | instid1(VALU_DEP_3)
	s_or_b32 exec_lo, exec_lo, s11
	v_and_b32_e32 v2, 0xff, v33
	v_dual_mov_b32 v22, v33 :: v_dual_mov_b32 v55, 0
	v_mov_b32_e32 v50, 0
	s_mov_b32 s11, exec_lo
	v_cmpx_ne_u16_e32 0, v2
	s_cbranch_execz .LBB340_1444
; %bb.1437:                             ;   in Loop: Header=BB340_810 Depth=1
	v_bfrev_b32_e32 v50, 1
	s_mov_b32 s16, exec_lo
	v_cmpx_ne_u16_e32 0x80, v2
	s_cbranch_execz .LBB340_1443
; %bb.1438:                             ;   in Loop: Header=BB340_810 Depth=1
	v_and_b32_e32 v2, 0x7f, v33
	v_mov_b32_e32 v50, 0x7f800001
	s_mov_b32 s17, exec_lo
	s_delay_alu instid0(VALU_DEP_2)
	v_cmpx_ne_u32_e32 0x7f, v2
	s_cbranch_execz .LBB340_1442
; %bb.1439:                             ;   in Loop: Header=BB340_810 Depth=1
	v_mov_b64_e32 v[34:35], v[22:23]
	v_lshrrev_b32_e32 v50, 3, v2
	s_mov_b32 s18, exec_lo
	v_cmpx_gt_u32_e32 8, v2
; %bb.1440:                             ;   in Loop: Header=BB340_810 Depth=1
	v_and_b32_e32 v2, 7, v33
	s_delay_alu instid0(VALU_DEP_1) | instskip(NEXT) | instid1(VALU_DEP_1)
	v_clz_i32_u32_e32 v2, v2
	v_min_u32_e32 v2, 32, v2
	s_delay_alu instid0(VALU_DEP_1) | instskip(SKIP_1) | instid1(VALU_DEP_2)
	v_subrev_nc_u32_e32 v3, 28, v2
	v_sub_nc_u32_e32 v50, 29, v2
	v_lshlrev_b64_e32 v[34:35], v3, v[22:23]
; %bb.1441:                             ;   in Loop: Header=BB340_810 Depth=1
	s_or_b32 exec_lo, exec_lo, s18
	s_delay_alu instid0(VALU_DEP_1) | instskip(SKIP_2) | instid1(VALU_DEP_3)
	v_lshlrev_b32_e32 v2, 20, v34
	v_lshlrev_b32_e32 v3, 24, v22
	v_lshl_add_u32 v4, v50, 23, 0x3c000000
	v_and_b32_e32 v2, 0x700000, v2
	s_delay_alu instid0(VALU_DEP_3) | instskip(NEXT) | instid1(VALU_DEP_1)
	v_and_b32_e32 v3, 0x80000000, v3
	v_or3_b32 v50, v2, v3, v4
.LBB340_1442:                           ;   in Loop: Header=BB340_810 Depth=1
	s_or_b32 exec_lo, exec_lo, s17
.LBB340_1443:                           ;   in Loop: Header=BB340_810 Depth=1
	s_delay_alu instid0(SALU_CYCLE_1)
	s_or_b32 exec_lo, exec_lo, s16
.LBB340_1444:                           ;   in Loop: Header=BB340_810 Depth=1
	s_delay_alu instid0(SALU_CYCLE_1) | instskip(SKIP_2) | instid1(VALU_DEP_1)
	s_or_b32 exec_lo, exec_lo, s11
	v_lshrrev_b16 v34, 8, v22
	s_mov_b32 s11, exec_lo
	v_cmpx_ne_u16_e32 0, v34
	s_cbranch_execz .LBB340_1452
; %bb.1445:                             ;   in Loop: Header=BB340_810 Depth=1
	v_bfrev_b32_e32 v55, 1
	s_mov_b32 s16, exec_lo
	v_cmpx_ne_u16_e32 0x80, v34
	s_cbranch_execz .LBB340_1451
; %bb.1446:                             ;   in Loop: Header=BB340_810 Depth=1
	v_and_b32_e32 v2, 0xffff, v34
	v_mov_b32_e32 v55, 0x7f800001
	s_mov_b32 s17, exec_lo
	s_delay_alu instid0(VALU_DEP_2) | instskip(NEXT) | instid1(VALU_DEP_1)
	v_and_b32_e32 v64, 0x7f, v2
	v_cmpx_ne_u32_e32 0x7f, v64
	s_cbranch_execz .LBB340_1450
; %bb.1447:                             ;   in Loop: Header=BB340_810 Depth=1
	v_dual_mov_b32 v35, v23 :: v_dual_bitop2_b32 v34, 7, v2 bitop3:0x40
	v_lshrrev_b32_e32 v55, 3, v64
	s_mov_b32 s18, exec_lo
	v_cmpx_gt_u32_e32 8, v64
; %bb.1448:                             ;   in Loop: Header=BB340_810 Depth=1
	s_delay_alu instid0(VALU_DEP_3) | instskip(NEXT) | instid1(VALU_DEP_1)
	v_clz_i32_u32_e32 v2, v34
	v_min_u32_e32 v4, 32, v2
	s_delay_alu instid0(VALU_DEP_1) | instskip(NEXT) | instid1(VALU_DEP_1)
	v_subrev_nc_u32_e32 v2, 28, v4
	v_lshlrev_b64_e32 v[2:3], v2, v[34:35]
	s_delay_alu instid0(VALU_DEP_1)
	v_dual_sub_nc_u32 v55, 29, v4 :: v_dual_bitop2_b32 v34, 7, v2 bitop3:0x40
; %bb.1449:                             ;   in Loop: Header=BB340_810 Depth=1
	s_or_b32 exec_lo, exec_lo, s18
	v_lshlrev_b32_e32 v2, 16, v22
	s_delay_alu instid0(VALU_DEP_2) | instskip(NEXT) | instid1(VALU_DEP_3)
	v_lshlrev_b32_e32 v3, 20, v34
	v_lshl_add_u32 v4, v55, 23, 0x3c000000
	s_delay_alu instid0(VALU_DEP_3) | instskip(NEXT) | instid1(VALU_DEP_1)
	v_and_b32_e32 v2, 0x80000000, v2
	v_or3_b32 v55, v3, v2, v4
.LBB340_1450:                           ;   in Loop: Header=BB340_810 Depth=1
	s_or_b32 exec_lo, exec_lo, s17
.LBB340_1451:                           ;   in Loop: Header=BB340_810 Depth=1
	s_delay_alu instid0(SALU_CYCLE_1)
	s_or_b32 exec_lo, exec_lo, s16
.LBB340_1452:                           ;   in Loop: Header=BB340_810 Depth=1
	s_delay_alu instid0(SALU_CYCLE_1) | instskip(SKIP_3) | instid1(VALU_DEP_2)
	s_or_b32 exec_lo, exec_lo, s11
	v_dual_lshrrev_b32 v64, 16, v33 :: v_dual_mov_b32 v34, 0
	v_mov_b32_e32 v35, 0
	s_mov_b32 s11, exec_lo
	v_and_b32_e32 v2, 0xff, v64
	s_delay_alu instid0(VALU_DEP_1)
	v_cmpx_ne_u16_e32 0, v2
	s_cbranch_execz .LBB340_1460
; %bb.1453:                             ;   in Loop: Header=BB340_810 Depth=1
	v_bfrev_b32_e32 v35, 1
	s_mov_b32 s16, exec_lo
	v_cmpx_ne_u16_e32 0x80, v2
	s_cbranch_execz .LBB340_1459
; %bb.1454:                             ;   in Loop: Header=BB340_810 Depth=1
	v_bfe_u32 v65, v33, 16, 7
	v_mov_b32_e32 v35, 0x7f800001
	s_mov_b32 s17, exec_lo
	s_delay_alu instid0(VALU_DEP_2)
	v_cmpx_ne_u32_e32 0x7f, v65
	s_cbranch_execz .LBB340_1458
; %bb.1455:                             ;   in Loop: Header=BB340_810 Depth=1
	v_dual_lshrrev_b32 v35, 3, v65 :: v_dual_bitop2_b32 v22, 7, v64 bitop3:0x40
	s_mov_b32 s18, exec_lo
	v_cmpx_gt_u32_e32 8, v65
; %bb.1456:                             ;   in Loop: Header=BB340_810 Depth=1
	s_delay_alu instid0(VALU_DEP_2) | instskip(NEXT) | instid1(VALU_DEP_1)
	v_clz_i32_u32_e32 v2, v22
	v_min_u32_e32 v4, 32, v2
	s_delay_alu instid0(VALU_DEP_1) | instskip(NEXT) | instid1(VALU_DEP_1)
	v_subrev_nc_u32_e32 v2, 28, v4
	v_lshlrev_b64_e32 v[2:3], v2, v[22:23]
	s_delay_alu instid0(VALU_DEP_1)
	v_dual_sub_nc_u32 v35, 29, v4 :: v_dual_bitop2_b32 v22, 7, v2 bitop3:0x40
; %bb.1457:                             ;   in Loop: Header=BB340_810 Depth=1
	s_or_b32 exec_lo, exec_lo, s18
	s_delay_alu instid0(VALU_DEP_1) | instskip(NEXT) | instid1(VALU_DEP_2)
	v_dual_lshlrev_b32 v2, 24, v64 :: v_dual_lshlrev_b32 v3, 20, v22
	v_lshl_add_u32 v4, v35, 23, 0x3c000000
	s_delay_alu instid0(VALU_DEP_2) | instskip(NEXT) | instid1(VALU_DEP_1)
	v_and_b32_e32 v2, 0x80000000, v2
	v_or3_b32 v35, v3, v2, v4
.LBB340_1458:                           ;   in Loop: Header=BB340_810 Depth=1
	s_or_b32 exec_lo, exec_lo, s17
.LBB340_1459:                           ;   in Loop: Header=BB340_810 Depth=1
	s_delay_alu instid0(SALU_CYCLE_1)
	s_or_b32 exec_lo, exec_lo, s16
.LBB340_1460:                           ;   in Loop: Header=BB340_810 Depth=1
	s_delay_alu instid0(SALU_CYCLE_1) | instskip(NEXT) | instid1(SALU_CYCLE_1)
	s_or_b32 exec_lo, exec_lo, s11
	s_mov_b32 s11, exec_lo
	v_cmpx_lt_u64_e64 s[2:3], v[32:33]
	s_cbranch_execz .LBB340_1468
; %bb.1461:                             ;   in Loop: Header=BB340_810 Depth=1
	v_lshrrev_b32_e32 v32, 24, v33
	v_bfrev_b32_e32 v34, 1
	s_mov_b32 s16, exec_lo
	s_delay_alu instid0(VALU_DEP_2)
	v_cmpx_ne_u32_e32 0x80, v32
	s_cbranch_execz .LBB340_1467
; %bb.1462:                             ;   in Loop: Header=BB340_810 Depth=1
	v_bfe_u32 v64, v33, 24, 7
	v_mov_b32_e32 v34, 0x7f800001
	s_mov_b32 s17, exec_lo
	s_delay_alu instid0(VALU_DEP_2)
	v_cmpx_ne_u32_e32 0x7f, v64
	s_cbranch_execz .LBB340_1466
; %bb.1463:                             ;   in Loop: Header=BB340_810 Depth=1
	v_and_b32_e32 v22, 7, v32
	v_lshrrev_b32_e32 v33, 3, v64
	s_mov_b32 s18, exec_lo
	v_cmpx_gt_u32_e32 8, v64
; %bb.1464:                             ;   in Loop: Header=BB340_810 Depth=1
	s_delay_alu instid0(VALU_DEP_3) | instskip(NEXT) | instid1(VALU_DEP_1)
	v_clz_i32_u32_e32 v2, v22
	v_min_u32_e32 v4, 32, v2
	s_delay_alu instid0(VALU_DEP_1) | instskip(NEXT) | instid1(VALU_DEP_1)
	v_subrev_nc_u32_e32 v2, 28, v4
	v_lshlrev_b64_e32 v[2:3], v2, v[22:23]
	s_delay_alu instid0(VALU_DEP_1)
	v_dual_sub_nc_u32 v33, 29, v4 :: v_dual_bitop2_b32 v22, 7, v2 bitop3:0x40
; %bb.1465:                             ;   in Loop: Header=BB340_810 Depth=1
	s_or_b32 exec_lo, exec_lo, s18
	s_delay_alu instid0(VALU_DEP_1) | instskip(NEXT) | instid1(VALU_DEP_2)
	v_dual_lshlrev_b32 v2, 24, v32 :: v_dual_lshlrev_b32 v3, 20, v22
	v_lshl_add_u32 v4, v33, 23, 0x3c000000
	s_delay_alu instid0(VALU_DEP_2) | instskip(NEXT) | instid1(VALU_DEP_1)
	v_and_b32_e32 v2, 0x80000000, v2
	v_or3_b32 v34, v3, v2, v4
.LBB340_1466:                           ;   in Loop: Header=BB340_810 Depth=1
	s_or_b32 exec_lo, exec_lo, s17
.LBB340_1467:                           ;   in Loop: Header=BB340_810 Depth=1
	s_delay_alu instid0(SALU_CYCLE_1)
	s_or_b32 exec_lo, exec_lo, s16
.LBB340_1468:                           ;   in Loop: Header=BB340_810 Depth=1
	s_delay_alu instid0(SALU_CYCLE_1)
	s_or_b32 exec_lo, exec_lo, s11
	v_fma_mixlo_bf16 v111, v51, v55, 0
	v_fma_mixlo_bf16 v120, v51, v50, 0
	;; [unrolled: 1-line block ×8, first 2 shown]
	s_and_saveexec_b32 s11, vcc_lo
	s_cbranch_execz .LBB340_1470
; %bb.1469:                             ;   in Loop: Header=BB340_810 Depth=1
	v_cmp_lt_i32_e64 s0, v84, v48
	s_delay_alu instid0(VALU_DEP_1) | instskip(SKIP_1) | instid1(VALU_DEP_1)
	v_cndmask_b32_e64 v126, 0, v126, s0
	v_cmp_lt_i32_e64 s0, v96, v48
	v_cndmask_b32_e64 v125, 0, v125, s0
	v_cmp_lt_i32_e64 s0, v87, v48
	s_delay_alu instid0(VALU_DEP_1) | instskip(SKIP_1) | instid1(VALU_DEP_1)
	v_cndmask_b32_e64 v124, 0, v124, s0
	v_cmp_lt_i32_e64 s0, v86, v48
	v_cndmask_b32_e64 v123, 0, v123, s0
	v_cmp_lt_i32_e64 s0, v85, v48
	s_delay_alu instid0(VALU_DEP_1) | instskip(SKIP_1) | instid1(VALU_DEP_1)
	v_cndmask_b32_e64 v120, 0, v120, s0
	v_cmp_lt_i32_e64 s0, v83, v48
	v_cndmask_b32_e64 v111, 0, v111, s0
	v_cmp_lt_i32_e64 s0, v82, v48
	s_delay_alu instid0(VALU_DEP_1) | instskip(SKIP_1) | instid1(VALU_DEP_1)
	v_cndmask_b32_e64 v121, 0, v121, s0
	v_cmp_lt_i32_e64 s0, v52, v48
	v_cndmask_b32_e64 v122, 0, v122, s0
.LBB340_1470:                           ;   in Loop: Header=BB340_810 Depth=1
	s_or_b32 exec_lo, exec_lo, s11
	flat_load_b64 v[32:33], v[30:31] offset:2560
	v_dual_mov_b32 v29, 0 :: v_dual_mov_b32 v28, 0
	s_mov_b32 s11, exec_lo
	s_wait_loadcnt_dscnt 0x0
	v_and_b32_e32 v2, 0xff, v32
	s_wait_xcnt 0x0
	s_delay_alu instid0(VALU_DEP_1)
	v_cmpx_ne_u16_e32 0, v2
	s_cbranch_execz .LBB340_1478
; %bb.1471:                             ;   in Loop: Header=BB340_810 Depth=1
	v_bfrev_b32_e32 v28, 1
	s_mov_b32 s16, exec_lo
	v_cmpx_ne_u16_e32 0x80, v2
	s_cbranch_execz .LBB340_1477
; %bb.1472:                             ;   in Loop: Header=BB340_810 Depth=1
	v_and_b32_e32 v2, 0x7f, v32
	v_mov_b32_e32 v28, 0x7f800001
	s_mov_b32 s17, exec_lo
	s_delay_alu instid0(VALU_DEP_2)
	v_cmpx_ne_u32_e32 0x7f, v2
	s_cbranch_execz .LBB340_1476
; %bb.1473:                             ;   in Loop: Header=BB340_810 Depth=1
	v_mov_b64_e32 v[34:35], v[32:33]
	v_lshrrev_b32_e32 v19, 3, v2
	s_mov_b32 s18, exec_lo
	v_cmpx_gt_u32_e32 8, v2
; %bb.1474:                             ;   in Loop: Header=BB340_810 Depth=1
	v_and_b32_e32 v2, 7, v32
	s_delay_alu instid0(VALU_DEP_1) | instskip(NEXT) | instid1(VALU_DEP_1)
	v_clz_i32_u32_e32 v2, v2
	v_min_u32_e32 v2, 32, v2
	s_delay_alu instid0(VALU_DEP_1) | instskip(SKIP_1) | instid1(VALU_DEP_2)
	v_subrev_nc_u32_e32 v3, 28, v2
	v_sub_nc_u32_e32 v19, 29, v2
	v_lshlrev_b64_e32 v[34:35], v3, v[32:33]
; %bb.1475:                             ;   in Loop: Header=BB340_810 Depth=1
	s_or_b32 exec_lo, exec_lo, s18
	s_delay_alu instid0(VALU_DEP_1) | instskip(NEXT) | instid1(VALU_DEP_3)
	v_dual_lshlrev_b32 v2, 20, v34 :: v_dual_lshlrev_b32 v3, 24, v32
	v_lshl_add_u32 v4, v19, 23, 0x3c000000
	s_delay_alu instid0(VALU_DEP_2) | instskip(NEXT) | instid1(VALU_DEP_3)
	v_and_b32_e32 v2, 0x700000, v2
	v_and_b32_e32 v3, 0x80000000, v3
	s_delay_alu instid0(VALU_DEP_1)
	v_or3_b32 v28, v2, v3, v4
.LBB340_1476:                           ;   in Loop: Header=BB340_810 Depth=1
	s_or_b32 exec_lo, exec_lo, s17
.LBB340_1477:                           ;   in Loop: Header=BB340_810 Depth=1
	s_delay_alu instid0(SALU_CYCLE_1)
	s_or_b32 exec_lo, exec_lo, s16
.LBB340_1478:                           ;   in Loop: Header=BB340_810 Depth=1
	s_delay_alu instid0(SALU_CYCLE_1) | instskip(SKIP_2) | instid1(VALU_DEP_1)
	s_or_b32 exec_lo, exec_lo, s11
	v_lshrrev_b16 v19, 8, v32
	s_mov_b32 s11, exec_lo
	v_cmpx_ne_u16_e32 0, v19
	s_cbranch_execz .LBB340_1486
; %bb.1479:                             ;   in Loop: Header=BB340_810 Depth=1
	v_bfrev_b32_e32 v29, 1
	s_mov_b32 s16, exec_lo
	v_cmpx_ne_u16_e32 0x80, v19
	s_cbranch_execz .LBB340_1485
; %bb.1480:                             ;   in Loop: Header=BB340_810 Depth=1
	v_and_b32_e32 v2, 0xffff, v19
	v_mov_b32_e32 v29, 0x7f800001
	s_mov_b32 s17, exec_lo
	s_delay_alu instid0(VALU_DEP_2) | instskip(NEXT) | instid1(VALU_DEP_1)
	v_and_b32_e32 v34, 0x7f, v2
	v_cmpx_ne_u32_e32 0x7f, v34
	s_cbranch_execz .LBB340_1484
; %bb.1481:                             ;   in Loop: Header=BB340_810 Depth=1
	v_and_b32_e32 v22, 7, v2
	v_lshrrev_b32_e32 v19, 3, v34
	s_mov_b32 s18, exec_lo
	v_cmpx_gt_u32_e32 8, v34
; %bb.1482:                             ;   in Loop: Header=BB340_810 Depth=1
	s_delay_alu instid0(VALU_DEP_3) | instskip(NEXT) | instid1(VALU_DEP_1)
	v_clz_i32_u32_e32 v2, v22
	v_min_u32_e32 v4, 32, v2
	s_delay_alu instid0(VALU_DEP_1) | instskip(NEXT) | instid1(VALU_DEP_1)
	v_subrev_nc_u32_e32 v2, 28, v4
	v_lshlrev_b64_e32 v[2:3], v2, v[22:23]
	s_delay_alu instid0(VALU_DEP_1)
	v_dual_sub_nc_u32 v19, 29, v4 :: v_dual_bitop2_b32 v22, 7, v2 bitop3:0x40
; %bb.1483:                             ;   in Loop: Header=BB340_810 Depth=1
	s_or_b32 exec_lo, exec_lo, s18
	s_delay_alu instid0(VALU_DEP_1) | instskip(NEXT) | instid1(VALU_DEP_2)
	v_dual_lshlrev_b32 v2, 16, v32 :: v_dual_lshlrev_b32 v3, 20, v22
	v_lshl_add_u32 v4, v19, 23, 0x3c000000
	s_delay_alu instid0(VALU_DEP_2) | instskip(NEXT) | instid1(VALU_DEP_1)
	v_and_b32_e32 v2, 0x80000000, v2
	v_or3_b32 v29, v3, v2, v4
.LBB340_1484:                           ;   in Loop: Header=BB340_810 Depth=1
	s_or_b32 exec_lo, exec_lo, s17
.LBB340_1485:                           ;   in Loop: Header=BB340_810 Depth=1
	s_delay_alu instid0(SALU_CYCLE_1)
	s_or_b32 exec_lo, exec_lo, s16
.LBB340_1486:                           ;   in Loop: Header=BB340_810 Depth=1
	s_delay_alu instid0(SALU_CYCLE_1) | instskip(SKIP_3) | instid1(VALU_DEP_2)
	s_or_b32 exec_lo, exec_lo, s11
	v_dual_lshrrev_b32 v19, 16, v32 :: v_dual_mov_b32 v49, 0
	v_mov_b32_e32 v55, 0
	s_mov_b32 s11, exec_lo
	v_and_b32_e32 v2, 0xff, v19
	s_delay_alu instid0(VALU_DEP_1)
	v_cmpx_ne_u16_e32 0, v2
	s_cbranch_execz .LBB340_1494
; %bb.1487:                             ;   in Loop: Header=BB340_810 Depth=1
	v_bfrev_b32_e32 v55, 1
	s_mov_b32 s16, exec_lo
	v_cmpx_ne_u16_e32 0x80, v2
	s_cbranch_execz .LBB340_1493
; %bb.1488:                             ;   in Loop: Header=BB340_810 Depth=1
	v_bfe_u32 v35, v32, 16, 7
	v_mov_b32_e32 v55, 0x7f800001
	s_mov_b32 s17, exec_lo
	s_delay_alu instid0(VALU_DEP_2)
	v_cmpx_ne_u32_e32 0x7f, v35
	s_cbranch_execz .LBB340_1492
; %bb.1489:                             ;   in Loop: Header=BB340_810 Depth=1
	v_and_b32_e32 v22, 7, v19
	v_lshrrev_b32_e32 v34, 3, v35
	s_mov_b32 s18, exec_lo
	v_cmpx_gt_u32_e32 8, v35
; %bb.1490:                             ;   in Loop: Header=BB340_810 Depth=1
	s_delay_alu instid0(VALU_DEP_3) | instskip(NEXT) | instid1(VALU_DEP_1)
	v_clz_i32_u32_e32 v2, v22
	v_min_u32_e32 v4, 32, v2
	s_delay_alu instid0(VALU_DEP_1) | instskip(NEXT) | instid1(VALU_DEP_1)
	v_subrev_nc_u32_e32 v2, 28, v4
	v_lshlrev_b64_e32 v[2:3], v2, v[22:23]
	s_delay_alu instid0(VALU_DEP_1)
	v_dual_sub_nc_u32 v34, 29, v4 :: v_dual_bitop2_b32 v22, 7, v2 bitop3:0x40
; %bb.1491:                             ;   in Loop: Header=BB340_810 Depth=1
	s_or_b32 exec_lo, exec_lo, s18
	s_delay_alu instid0(VALU_DEP_1) | instskip(NEXT) | instid1(VALU_DEP_2)
	v_dual_lshlrev_b32 v2, 24, v19 :: v_dual_lshlrev_b32 v3, 20, v22
	v_lshl_add_u32 v4, v34, 23, 0x3c000000
	s_delay_alu instid0(VALU_DEP_2) | instskip(NEXT) | instid1(VALU_DEP_1)
	v_and_b32_e32 v2, 0x80000000, v2
	v_or3_b32 v55, v3, v2, v4
.LBB340_1492:                           ;   in Loop: Header=BB340_810 Depth=1
	s_or_b32 exec_lo, exec_lo, s17
.LBB340_1493:                           ;   in Loop: Header=BB340_810 Depth=1
	s_delay_alu instid0(SALU_CYCLE_1)
	s_or_b32 exec_lo, exec_lo, s16
.LBB340_1494:                           ;   in Loop: Header=BB340_810 Depth=1
	s_delay_alu instid0(SALU_CYCLE_1) | instskip(NEXT) | instid1(SALU_CYCLE_1)
	s_or_b32 exec_lo, exec_lo, s11
	s_mov_b32 s11, exec_lo
	v_cmpx_lt_u32_e32 0xffffff, v32
	s_cbranch_execz .LBB340_1502
; %bb.1495:                             ;   in Loop: Header=BB340_810 Depth=1
	v_lshrrev_b32_e32 v19, 24, v32
	v_bfrev_b32_e32 v49, 1
	s_mov_b32 s16, exec_lo
	s_delay_alu instid0(VALU_DEP_2)
	v_cmpx_ne_u32_e32 0x80, v19
	s_cbranch_execz .LBB340_1501
; %bb.1496:                             ;   in Loop: Header=BB340_810 Depth=1
	v_bfe_u32 v35, v32, 24, 7
	v_mov_b32_e32 v49, 0x7f800001
	s_mov_b32 s17, exec_lo
	s_delay_alu instid0(VALU_DEP_2)
	v_cmpx_ne_u32_e32 0x7f, v35
	s_cbranch_execz .LBB340_1500
; %bb.1497:                             ;   in Loop: Header=BB340_810 Depth=1
	v_and_b32_e32 v22, 7, v19
	v_lshrrev_b32_e32 v34, 3, v35
	s_mov_b32 s18, exec_lo
	v_cmpx_gt_u32_e32 8, v35
; %bb.1498:                             ;   in Loop: Header=BB340_810 Depth=1
	s_delay_alu instid0(VALU_DEP_3) | instskip(NEXT) | instid1(VALU_DEP_1)
	v_clz_i32_u32_e32 v2, v22
	v_min_u32_e32 v4, 32, v2
	s_delay_alu instid0(VALU_DEP_1) | instskip(NEXT) | instid1(VALU_DEP_1)
	v_subrev_nc_u32_e32 v2, 28, v4
	v_lshlrev_b64_e32 v[2:3], v2, v[22:23]
	s_delay_alu instid0(VALU_DEP_1)
	v_dual_sub_nc_u32 v34, 29, v4 :: v_dual_bitop2_b32 v22, 7, v2 bitop3:0x40
; %bb.1499:                             ;   in Loop: Header=BB340_810 Depth=1
	s_or_b32 exec_lo, exec_lo, s18
	s_delay_alu instid0(VALU_DEP_1) | instskip(NEXT) | instid1(VALU_DEP_2)
	v_dual_lshlrev_b32 v2, 24, v19 :: v_dual_lshlrev_b32 v3, 20, v22
	v_lshl_add_u32 v4, v34, 23, 0x3c000000
	s_delay_alu instid0(VALU_DEP_2) | instskip(NEXT) | instid1(VALU_DEP_1)
	v_and_b32_e32 v2, 0x80000000, v2
	v_or3_b32 v49, v3, v2, v4
.LBB340_1500:                           ;   in Loop: Header=BB340_810 Depth=1
	s_or_b32 exec_lo, exec_lo, s17
.LBB340_1501:                           ;   in Loop: Header=BB340_810 Depth=1
	s_delay_alu instid0(SALU_CYCLE_1)
	s_or_b32 exec_lo, exec_lo, s16
.LBB340_1502:                           ;   in Loop: Header=BB340_810 Depth=1
	s_delay_alu instid0(SALU_CYCLE_1) | instskip(SKIP_4) | instid1(VALU_DEP_3)
	s_or_b32 exec_lo, exec_lo, s11
	v_and_b32_e32 v2, 0xff, v33
	v_dual_mov_b32 v22, v33 :: v_dual_mov_b32 v50, 0
	v_mov_b32_e32 v19, 0
	s_mov_b32 s11, exec_lo
	v_cmpx_ne_u16_e32 0, v2
	s_cbranch_execz .LBB340_1510
; %bb.1503:                             ;   in Loop: Header=BB340_810 Depth=1
	v_bfrev_b32_e32 v19, 1
	s_mov_b32 s16, exec_lo
	v_cmpx_ne_u16_e32 0x80, v2
	s_cbranch_execz .LBB340_1509
; %bb.1504:                             ;   in Loop: Header=BB340_810 Depth=1
	v_and_b32_e32 v2, 0x7f, v33
	v_mov_b32_e32 v19, 0x7f800001
	s_mov_b32 s17, exec_lo
	s_delay_alu instid0(VALU_DEP_2)
	v_cmpx_ne_u32_e32 0x7f, v2
	s_cbranch_execz .LBB340_1508
; %bb.1505:                             ;   in Loop: Header=BB340_810 Depth=1
	v_mov_b64_e32 v[34:35], v[22:23]
	v_lshrrev_b32_e32 v19, 3, v2
	s_mov_b32 s18, exec_lo
	v_cmpx_gt_u32_e32 8, v2
; %bb.1506:                             ;   in Loop: Header=BB340_810 Depth=1
	v_and_b32_e32 v2, 7, v33
	s_delay_alu instid0(VALU_DEP_1) | instskip(NEXT) | instid1(VALU_DEP_1)
	v_clz_i32_u32_e32 v2, v2
	v_min_u32_e32 v2, 32, v2
	s_delay_alu instid0(VALU_DEP_1) | instskip(SKIP_1) | instid1(VALU_DEP_2)
	v_subrev_nc_u32_e32 v3, 28, v2
	v_sub_nc_u32_e32 v19, 29, v2
	v_lshlrev_b64_e32 v[34:35], v3, v[22:23]
; %bb.1507:                             ;   in Loop: Header=BB340_810 Depth=1
	s_or_b32 exec_lo, exec_lo, s18
	s_delay_alu instid0(VALU_DEP_1) | instskip(SKIP_2) | instid1(VALU_DEP_3)
	v_lshlrev_b32_e32 v2, 20, v34
	v_lshlrev_b32_e32 v3, 24, v22
	v_lshl_add_u32 v4, v19, 23, 0x3c000000
	v_and_b32_e32 v2, 0x700000, v2
	s_delay_alu instid0(VALU_DEP_3) | instskip(NEXT) | instid1(VALU_DEP_1)
	v_and_b32_e32 v3, 0x80000000, v3
	v_or3_b32 v19, v2, v3, v4
.LBB340_1508:                           ;   in Loop: Header=BB340_810 Depth=1
	s_or_b32 exec_lo, exec_lo, s17
.LBB340_1509:                           ;   in Loop: Header=BB340_810 Depth=1
	s_delay_alu instid0(SALU_CYCLE_1)
	s_or_b32 exec_lo, exec_lo, s16
.LBB340_1510:                           ;   in Loop: Header=BB340_810 Depth=1
	s_delay_alu instid0(SALU_CYCLE_1) | instskip(SKIP_2) | instid1(VALU_DEP_1)
	s_or_b32 exec_lo, exec_lo, s11
	v_lshrrev_b16 v34, 8, v22
	s_mov_b32 s11, exec_lo
	v_cmpx_ne_u16_e32 0, v34
	s_cbranch_execz .LBB340_1518
; %bb.1511:                             ;   in Loop: Header=BB340_810 Depth=1
	v_bfrev_b32_e32 v50, 1
	s_mov_b32 s16, exec_lo
	v_cmpx_ne_u16_e32 0x80, v34
	s_cbranch_execz .LBB340_1517
; %bb.1512:                             ;   in Loop: Header=BB340_810 Depth=1
	v_and_b32_e32 v2, 0xffff, v34
	v_mov_b32_e32 v50, 0x7f800001
	s_mov_b32 s17, exec_lo
	s_delay_alu instid0(VALU_DEP_2) | instskip(NEXT) | instid1(VALU_DEP_1)
	v_and_b32_e32 v64, 0x7f, v2
	v_cmpx_ne_u32_e32 0x7f, v64
	s_cbranch_execz .LBB340_1516
; %bb.1513:                             ;   in Loop: Header=BB340_810 Depth=1
	v_dual_mov_b32 v35, v23 :: v_dual_bitop2_b32 v34, 7, v2 bitop3:0x40
	v_lshrrev_b32_e32 v50, 3, v64
	s_mov_b32 s18, exec_lo
	v_cmpx_gt_u32_e32 8, v64
; %bb.1514:                             ;   in Loop: Header=BB340_810 Depth=1
	s_delay_alu instid0(VALU_DEP_3) | instskip(NEXT) | instid1(VALU_DEP_1)
	v_clz_i32_u32_e32 v2, v34
	v_min_u32_e32 v4, 32, v2
	s_delay_alu instid0(VALU_DEP_1) | instskip(NEXT) | instid1(VALU_DEP_1)
	v_subrev_nc_u32_e32 v2, 28, v4
	v_lshlrev_b64_e32 v[2:3], v2, v[34:35]
	s_delay_alu instid0(VALU_DEP_1)
	v_dual_sub_nc_u32 v50, 29, v4 :: v_dual_bitop2_b32 v34, 7, v2 bitop3:0x40
; %bb.1515:                             ;   in Loop: Header=BB340_810 Depth=1
	s_or_b32 exec_lo, exec_lo, s18
	v_lshlrev_b32_e32 v2, 16, v22
	s_delay_alu instid0(VALU_DEP_2) | instskip(NEXT) | instid1(VALU_DEP_3)
	v_lshlrev_b32_e32 v3, 20, v34
	v_lshl_add_u32 v4, v50, 23, 0x3c000000
	s_delay_alu instid0(VALU_DEP_3) | instskip(NEXT) | instid1(VALU_DEP_1)
	v_and_b32_e32 v2, 0x80000000, v2
	v_or3_b32 v50, v3, v2, v4
.LBB340_1516:                           ;   in Loop: Header=BB340_810 Depth=1
	s_or_b32 exec_lo, exec_lo, s17
.LBB340_1517:                           ;   in Loop: Header=BB340_810 Depth=1
	s_delay_alu instid0(SALU_CYCLE_1)
	s_or_b32 exec_lo, exec_lo, s16
.LBB340_1518:                           ;   in Loop: Header=BB340_810 Depth=1
	s_delay_alu instid0(SALU_CYCLE_1) | instskip(SKIP_3) | instid1(VALU_DEP_2)
	s_or_b32 exec_lo, exec_lo, s11
	v_dual_lshrrev_b32 v64, 16, v33 :: v_dual_mov_b32 v34, 0
	v_mov_b32_e32 v35, 0
	s_mov_b32 s11, exec_lo
	v_and_b32_e32 v2, 0xff, v64
	s_delay_alu instid0(VALU_DEP_1)
	v_cmpx_ne_u16_e32 0, v2
	s_cbranch_execz .LBB340_1526
; %bb.1519:                             ;   in Loop: Header=BB340_810 Depth=1
	v_bfrev_b32_e32 v35, 1
	s_mov_b32 s16, exec_lo
	v_cmpx_ne_u16_e32 0x80, v2
	s_cbranch_execz .LBB340_1525
; %bb.1520:                             ;   in Loop: Header=BB340_810 Depth=1
	v_bfe_u32 v65, v33, 16, 7
	v_mov_b32_e32 v35, 0x7f800001
	s_mov_b32 s17, exec_lo
	s_delay_alu instid0(VALU_DEP_2)
	v_cmpx_ne_u32_e32 0x7f, v65
	s_cbranch_execz .LBB340_1524
; %bb.1521:                             ;   in Loop: Header=BB340_810 Depth=1
	v_dual_lshrrev_b32 v35, 3, v65 :: v_dual_bitop2_b32 v22, 7, v64 bitop3:0x40
	s_mov_b32 s18, exec_lo
	v_cmpx_gt_u32_e32 8, v65
; %bb.1522:                             ;   in Loop: Header=BB340_810 Depth=1
	s_delay_alu instid0(VALU_DEP_2) | instskip(NEXT) | instid1(VALU_DEP_1)
	v_clz_i32_u32_e32 v2, v22
	v_min_u32_e32 v4, 32, v2
	s_delay_alu instid0(VALU_DEP_1) | instskip(NEXT) | instid1(VALU_DEP_1)
	v_subrev_nc_u32_e32 v2, 28, v4
	v_lshlrev_b64_e32 v[2:3], v2, v[22:23]
	s_delay_alu instid0(VALU_DEP_1)
	v_dual_sub_nc_u32 v35, 29, v4 :: v_dual_bitop2_b32 v22, 7, v2 bitop3:0x40
; %bb.1523:                             ;   in Loop: Header=BB340_810 Depth=1
	s_or_b32 exec_lo, exec_lo, s18
	s_delay_alu instid0(VALU_DEP_1) | instskip(NEXT) | instid1(VALU_DEP_2)
	v_dual_lshlrev_b32 v2, 24, v64 :: v_dual_lshlrev_b32 v3, 20, v22
	v_lshl_add_u32 v4, v35, 23, 0x3c000000
	s_delay_alu instid0(VALU_DEP_2) | instskip(NEXT) | instid1(VALU_DEP_1)
	v_and_b32_e32 v2, 0x80000000, v2
	v_or3_b32 v35, v3, v2, v4
.LBB340_1524:                           ;   in Loop: Header=BB340_810 Depth=1
	s_or_b32 exec_lo, exec_lo, s17
.LBB340_1525:                           ;   in Loop: Header=BB340_810 Depth=1
	s_delay_alu instid0(SALU_CYCLE_1)
	s_or_b32 exec_lo, exec_lo, s16
.LBB340_1526:                           ;   in Loop: Header=BB340_810 Depth=1
	s_delay_alu instid0(SALU_CYCLE_1) | instskip(NEXT) | instid1(SALU_CYCLE_1)
	s_or_b32 exec_lo, exec_lo, s11
	s_mov_b32 s11, exec_lo
	v_cmpx_lt_u64_e64 s[2:3], v[32:33]
	s_cbranch_execz .LBB340_1534
; %bb.1527:                             ;   in Loop: Header=BB340_810 Depth=1
	v_lshrrev_b32_e32 v32, 24, v33
	v_bfrev_b32_e32 v34, 1
	s_mov_b32 s16, exec_lo
	s_delay_alu instid0(VALU_DEP_2)
	v_cmpx_ne_u32_e32 0x80, v32
	s_cbranch_execz .LBB340_1533
; %bb.1528:                             ;   in Loop: Header=BB340_810 Depth=1
	v_bfe_u32 v64, v33, 24, 7
	v_mov_b32_e32 v34, 0x7f800001
	s_mov_b32 s17, exec_lo
	s_delay_alu instid0(VALU_DEP_2)
	v_cmpx_ne_u32_e32 0x7f, v64
	s_cbranch_execz .LBB340_1532
; %bb.1529:                             ;   in Loop: Header=BB340_810 Depth=1
	v_and_b32_e32 v22, 7, v32
	v_lshrrev_b32_e32 v33, 3, v64
	s_mov_b32 s18, exec_lo
	v_cmpx_gt_u32_e32 8, v64
; %bb.1530:                             ;   in Loop: Header=BB340_810 Depth=1
	s_delay_alu instid0(VALU_DEP_3) | instskip(NEXT) | instid1(VALU_DEP_1)
	v_clz_i32_u32_e32 v2, v22
	v_min_u32_e32 v4, 32, v2
	s_delay_alu instid0(VALU_DEP_1) | instskip(NEXT) | instid1(VALU_DEP_1)
	v_subrev_nc_u32_e32 v2, 28, v4
	v_lshlrev_b64_e32 v[2:3], v2, v[22:23]
	s_delay_alu instid0(VALU_DEP_1)
	v_dual_sub_nc_u32 v33, 29, v4 :: v_dual_bitop2_b32 v22, 7, v2 bitop3:0x40
; %bb.1531:                             ;   in Loop: Header=BB340_810 Depth=1
	s_or_b32 exec_lo, exec_lo, s18
	s_delay_alu instid0(VALU_DEP_1) | instskip(NEXT) | instid1(VALU_DEP_2)
	v_dual_lshlrev_b32 v2, 24, v32 :: v_dual_lshlrev_b32 v3, 20, v22
	v_lshl_add_u32 v4, v33, 23, 0x3c000000
	s_delay_alu instid0(VALU_DEP_2) | instskip(NEXT) | instid1(VALU_DEP_1)
	v_and_b32_e32 v2, 0x80000000, v2
	v_or3_b32 v34, v3, v2, v4
.LBB340_1532:                           ;   in Loop: Header=BB340_810 Depth=1
	s_or_b32 exec_lo, exec_lo, s17
.LBB340_1533:                           ;   in Loop: Header=BB340_810 Depth=1
	s_delay_alu instid0(SALU_CYCLE_1)
	s_or_b32 exec_lo, exec_lo, s16
.LBB340_1534:                           ;   in Loop: Header=BB340_810 Depth=1
	s_delay_alu instid0(SALU_CYCLE_1)
	s_or_b32 exec_lo, exec_lo, s11
	v_fma_mixlo_bf16 v50, v51, v50, 0
	v_fma_mixlo_bf16 v19, v51, v19, 0
	v_fma_mixlo_bf16 v49, v51, v49, 0
	v_fma_mixlo_bf16 v55, v51, v55, 0
	v_fma_mixlo_bf16 v64, v51, v29, 0
	v_fma_mixlo_bf16 v65, v51, v28, 0
	v_fma_mixlo_bf16 v28, v51, v35, 0
	v_fma_mixlo_bf16 v29, v51, v34, 0
	s_and_saveexec_b32 s11, vcc_lo
	s_cbranch_execz .LBB340_1536
; %bb.1535:                             ;   in Loop: Header=BB340_810 Depth=1
	v_cmp_lt_i32_e64 s0, v84, v48
	s_delay_alu instid0(VALU_DEP_1) | instskip(SKIP_1) | instid1(VALU_DEP_1)
	v_cndmask_b32_e64 v65, 0, v65, s0
	v_cmp_lt_i32_e64 s0, v96, v48
	v_cndmask_b32_e64 v64, 0, v64, s0
	v_cmp_lt_i32_e64 s0, v87, v48
	s_delay_alu instid0(VALU_DEP_1) | instskip(SKIP_1) | instid1(VALU_DEP_1)
	v_cndmask_b32_e64 v55, 0, v55, s0
	v_cmp_lt_i32_e64 s0, v86, v48
	v_cndmask_b32_e64 v49, 0, v49, s0
	;; [unrolled: 5-line block ×4, first 2 shown]
.LBB340_1536:                           ;   in Loop: Header=BB340_810 Depth=1
	s_or_b32 exec_lo, exec_lo, s11
	flat_load_b64 v[30:31], v[30:31] offset:2816
	v_dual_mov_b32 v35, 0 :: v_dual_mov_b32 v127, 0
	s_mov_b32 s11, exec_lo
	s_wait_loadcnt_dscnt 0x0
	v_and_b32_e32 v2, 0xff, v30
	s_wait_xcnt 0x0
	s_delay_alu instid0(VALU_DEP_1)
	v_cmpx_ne_u16_e32 0, v2
	s_cbranch_execz .LBB340_1544
; %bb.1537:                             ;   in Loop: Header=BB340_810 Depth=1
	v_bfrev_b32_e32 v127, 1
	s_mov_b32 s16, exec_lo
	v_cmpx_ne_u16_e32 0x80, v2
	s_cbranch_execz .LBB340_1543
; %bb.1538:                             ;   in Loop: Header=BB340_810 Depth=1
	v_and_b32_e32 v2, 0x7f, v30
	v_mov_b32_e32 v127, 0x7f800001
	s_mov_b32 s17, exec_lo
	s_delay_alu instid0(VALU_DEP_2)
	v_cmpx_ne_u32_e32 0x7f, v2
	s_cbranch_execz .LBB340_1542
; %bb.1539:                             ;   in Loop: Header=BB340_810 Depth=1
	v_mov_b64_e32 v[32:33], v[30:31]
	v_lshrrev_b32_e32 v22, 3, v2
	s_mov_b32 s18, exec_lo
	v_cmpx_gt_u32_e32 8, v2
; %bb.1540:                             ;   in Loop: Header=BB340_810 Depth=1
	v_and_b32_e32 v2, 7, v30
	s_delay_alu instid0(VALU_DEP_1) | instskip(NEXT) | instid1(VALU_DEP_1)
	v_clz_i32_u32_e32 v2, v2
	v_min_u32_e32 v2, 32, v2
	s_delay_alu instid0(VALU_DEP_1) | instskip(SKIP_1) | instid1(VALU_DEP_2)
	v_subrev_nc_u32_e32 v3, 28, v2
	v_sub_nc_u32_e32 v22, 29, v2
	v_lshlrev_b64_e32 v[32:33], v3, v[30:31]
; %bb.1541:                             ;   in Loop: Header=BB340_810 Depth=1
	s_or_b32 exec_lo, exec_lo, s18
	s_delay_alu instid0(VALU_DEP_1) | instskip(NEXT) | instid1(VALU_DEP_3)
	v_dual_lshlrev_b32 v2, 20, v32 :: v_dual_lshlrev_b32 v3, 24, v30
	v_lshl_add_u32 v4, v22, 23, 0x3c000000
	s_delay_alu instid0(VALU_DEP_2) | instskip(NEXT) | instid1(VALU_DEP_3)
	v_and_b32_e32 v2, 0x700000, v2
	v_and_b32_e32 v3, 0x80000000, v3
	s_delay_alu instid0(VALU_DEP_1)
	v_or3_b32 v127, v2, v3, v4
.LBB340_1542:                           ;   in Loop: Header=BB340_810 Depth=1
	s_or_b32 exec_lo, exec_lo, s17
.LBB340_1543:                           ;   in Loop: Header=BB340_810 Depth=1
	s_delay_alu instid0(SALU_CYCLE_1)
	s_or_b32 exec_lo, exec_lo, s16
.LBB340_1544:                           ;   in Loop: Header=BB340_810 Depth=1
	s_delay_alu instid0(SALU_CYCLE_1) | instskip(SKIP_2) | instid1(VALU_DEP_1)
	s_or_b32 exec_lo, exec_lo, s11
	v_lshrrev_b16 v22, 8, v30
	s_mov_b32 s11, exec_lo
	v_cmpx_ne_u16_e32 0, v22
	s_cbranch_execz .LBB340_1552
; %bb.1545:                             ;   in Loop: Header=BB340_810 Depth=1
	v_bfrev_b32_e32 v35, 1
	s_mov_b32 s16, exec_lo
	v_cmpx_ne_u16_e32 0x80, v22
	s_cbranch_execz .LBB340_1551
; %bb.1546:                             ;   in Loop: Header=BB340_810 Depth=1
	v_and_b32_e32 v2, 0xffff, v22
	v_mov_b32_e32 v35, 0x7f800001
	s_mov_b32 s17, exec_lo
	s_delay_alu instid0(VALU_DEP_2) | instskip(NEXT) | instid1(VALU_DEP_1)
	v_and_b32_e32 v33, 0x7f, v2
	v_cmpx_ne_u32_e32 0x7f, v33
	s_cbranch_execz .LBB340_1550
; %bb.1547:                             ;   in Loop: Header=BB340_810 Depth=1
	v_dual_lshrrev_b32 v32, 3, v33 :: v_dual_bitop2_b32 v22, 7, v2 bitop3:0x40
	s_mov_b32 s18, exec_lo
	v_cmpx_gt_u32_e32 8, v33
; %bb.1548:                             ;   in Loop: Header=BB340_810 Depth=1
	s_delay_alu instid0(VALU_DEP_2) | instskip(NEXT) | instid1(VALU_DEP_1)
	v_clz_i32_u32_e32 v2, v22
	v_min_u32_e32 v4, 32, v2
	s_delay_alu instid0(VALU_DEP_1) | instskip(NEXT) | instid1(VALU_DEP_1)
	v_subrev_nc_u32_e32 v2, 28, v4
	v_lshlrev_b64_e32 v[2:3], v2, v[22:23]
	s_delay_alu instid0(VALU_DEP_1)
	v_dual_sub_nc_u32 v32, 29, v4 :: v_dual_bitop2_b32 v22, 7, v2 bitop3:0x40
; %bb.1549:                             ;   in Loop: Header=BB340_810 Depth=1
	s_or_b32 exec_lo, exec_lo, s18
	v_lshlrev_b32_e32 v2, 16, v30
	s_delay_alu instid0(VALU_DEP_2) | instskip(NEXT) | instid1(VALU_DEP_3)
	v_lshlrev_b32_e32 v3, 20, v22
	v_lshl_add_u32 v4, v32, 23, 0x3c000000
	s_delay_alu instid0(VALU_DEP_3) | instskip(NEXT) | instid1(VALU_DEP_1)
	v_and_b32_e32 v2, 0x80000000, v2
	v_or3_b32 v35, v3, v2, v4
.LBB340_1550:                           ;   in Loop: Header=BB340_810 Depth=1
	s_or_b32 exec_lo, exec_lo, s17
.LBB340_1551:                           ;   in Loop: Header=BB340_810 Depth=1
	s_delay_alu instid0(SALU_CYCLE_1)
	s_or_b32 exec_lo, exec_lo, s16
.LBB340_1552:                           ;   in Loop: Header=BB340_810 Depth=1
	s_delay_alu instid0(SALU_CYCLE_1) | instskip(SKIP_3) | instid1(VALU_DEP_2)
	s_or_b32 exec_lo, exec_lo, s11
	v_dual_lshrrev_b32 v32, 16, v30 :: v_dual_mov_b32 v66, 0
	v_mov_b32_e32 v34, 0
	s_mov_b32 s11, exec_lo
	v_and_b32_e32 v2, 0xff, v32
	s_delay_alu instid0(VALU_DEP_1)
	v_cmpx_ne_u16_e32 0, v2
	s_cbranch_execz .LBB340_1560
; %bb.1553:                             ;   in Loop: Header=BB340_810 Depth=1
	v_bfrev_b32_e32 v34, 1
	s_mov_b32 s16, exec_lo
	v_cmpx_ne_u16_e32 0x80, v2
	s_cbranch_execz .LBB340_1559
; %bb.1554:                             ;   in Loop: Header=BB340_810 Depth=1
	v_bfe_u32 v67, v30, 16, 7
	v_mov_b32_e32 v34, 0x7f800001
	s_mov_b32 s17, exec_lo
	s_delay_alu instid0(VALU_DEP_2)
	v_cmpx_ne_u32_e32 0x7f, v67
	s_cbranch_execz .LBB340_1558
; %bb.1555:                             ;   in Loop: Header=BB340_810 Depth=1
	v_dual_lshrrev_b32 v33, 3, v67 :: v_dual_bitop2_b32 v22, 7, v32 bitop3:0x40
	s_mov_b32 s18, exec_lo
	v_cmpx_gt_u32_e32 8, v67
; %bb.1556:                             ;   in Loop: Header=BB340_810 Depth=1
	s_delay_alu instid0(VALU_DEP_2) | instskip(NEXT) | instid1(VALU_DEP_1)
	v_clz_i32_u32_e32 v2, v22
	v_min_u32_e32 v4, 32, v2
	s_delay_alu instid0(VALU_DEP_1) | instskip(NEXT) | instid1(VALU_DEP_1)
	v_subrev_nc_u32_e32 v2, 28, v4
	v_lshlrev_b64_e32 v[2:3], v2, v[22:23]
	s_delay_alu instid0(VALU_DEP_1)
	v_dual_sub_nc_u32 v33, 29, v4 :: v_dual_bitop2_b32 v22, 7, v2 bitop3:0x40
; %bb.1557:                             ;   in Loop: Header=BB340_810 Depth=1
	s_or_b32 exec_lo, exec_lo, s18
	s_delay_alu instid0(VALU_DEP_1) | instskip(NEXT) | instid1(VALU_DEP_2)
	v_dual_lshlrev_b32 v2, 24, v32 :: v_dual_lshlrev_b32 v3, 20, v22
	v_lshl_add_u32 v4, v33, 23, 0x3c000000
	s_delay_alu instid0(VALU_DEP_2) | instskip(NEXT) | instid1(VALU_DEP_1)
	v_and_b32_e32 v2, 0x80000000, v2
	v_or3_b32 v34, v3, v2, v4
.LBB340_1558:                           ;   in Loop: Header=BB340_810 Depth=1
	s_or_b32 exec_lo, exec_lo, s17
.LBB340_1559:                           ;   in Loop: Header=BB340_810 Depth=1
	s_delay_alu instid0(SALU_CYCLE_1)
	s_or_b32 exec_lo, exec_lo, s16
.LBB340_1560:                           ;   in Loop: Header=BB340_810 Depth=1
	s_delay_alu instid0(SALU_CYCLE_1) | instskip(NEXT) | instid1(SALU_CYCLE_1)
	s_or_b32 exec_lo, exec_lo, s11
	s_mov_b32 s11, exec_lo
	v_cmpx_lt_u32_e32 0xffffff, v30
	s_cbranch_execz .LBB340_1568
; %bb.1561:                             ;   in Loop: Header=BB340_810 Depth=1
	v_lshrrev_b32_e32 v32, 24, v30
	v_bfrev_b32_e32 v66, 1
	s_mov_b32 s16, exec_lo
	s_delay_alu instid0(VALU_DEP_2)
	v_cmpx_ne_u32_e32 0x80, v32
	s_cbranch_execz .LBB340_1567
; %bb.1562:                             ;   in Loop: Header=BB340_810 Depth=1
	v_bfe_u32 v67, v30, 24, 7
	v_mov_b32_e32 v66, 0x7f800001
	s_mov_b32 s17, exec_lo
	s_delay_alu instid0(VALU_DEP_2)
	v_cmpx_ne_u32_e32 0x7f, v67
	s_cbranch_execz .LBB340_1566
; %bb.1563:                             ;   in Loop: Header=BB340_810 Depth=1
	v_dual_lshrrev_b32 v33, 3, v67 :: v_dual_bitop2_b32 v22, 7, v32 bitop3:0x40
	s_mov_b32 s18, exec_lo
	v_cmpx_gt_u32_e32 8, v67
; %bb.1564:                             ;   in Loop: Header=BB340_810 Depth=1
	s_delay_alu instid0(VALU_DEP_2) | instskip(NEXT) | instid1(VALU_DEP_1)
	v_clz_i32_u32_e32 v2, v22
	v_min_u32_e32 v4, 32, v2
	s_delay_alu instid0(VALU_DEP_1) | instskip(NEXT) | instid1(VALU_DEP_1)
	v_subrev_nc_u32_e32 v2, 28, v4
	v_lshlrev_b64_e32 v[2:3], v2, v[22:23]
	s_delay_alu instid0(VALU_DEP_1)
	v_dual_sub_nc_u32 v33, 29, v4 :: v_dual_bitop2_b32 v22, 7, v2 bitop3:0x40
; %bb.1565:                             ;   in Loop: Header=BB340_810 Depth=1
	s_or_b32 exec_lo, exec_lo, s18
	s_delay_alu instid0(VALU_DEP_1) | instskip(NEXT) | instid1(VALU_DEP_2)
	v_dual_lshlrev_b32 v2, 24, v32 :: v_dual_lshlrev_b32 v3, 20, v22
	v_lshl_add_u32 v4, v33, 23, 0x3c000000
	s_delay_alu instid0(VALU_DEP_2) | instskip(NEXT) | instid1(VALU_DEP_1)
	v_and_b32_e32 v2, 0x80000000, v2
	v_or3_b32 v66, v3, v2, v4
.LBB340_1566:                           ;   in Loop: Header=BB340_810 Depth=1
	s_or_b32 exec_lo, exec_lo, s17
.LBB340_1567:                           ;   in Loop: Header=BB340_810 Depth=1
	s_delay_alu instid0(SALU_CYCLE_1)
	s_or_b32 exec_lo, exec_lo, s16
.LBB340_1568:                           ;   in Loop: Header=BB340_810 Depth=1
	s_delay_alu instid0(SALU_CYCLE_1) | instskip(SKIP_4) | instid1(VALU_DEP_3)
	s_or_b32 exec_lo, exec_lo, s11
	v_and_b32_e32 v2, 0xff, v31
	v_dual_mov_b32 v22, v31 :: v_dual_mov_b32 v68, 0
	v_mov_b32_e32 v67, 0
	s_mov_b32 s11, exec_lo
	v_cmpx_ne_u16_e32 0, v2
	s_cbranch_execz .LBB340_1576
; %bb.1569:                             ;   in Loop: Header=BB340_810 Depth=1
	v_bfrev_b32_e32 v67, 1
	s_mov_b32 s16, exec_lo
	v_cmpx_ne_u16_e32 0x80, v2
	s_cbranch_execz .LBB340_1575
; %bb.1570:                             ;   in Loop: Header=BB340_810 Depth=1
	v_and_b32_e32 v2, 0x7f, v31
	v_mov_b32_e32 v67, 0x7f800001
	s_mov_b32 s17, exec_lo
	s_delay_alu instid0(VALU_DEP_2)
	v_cmpx_ne_u32_e32 0x7f, v2
	s_cbranch_execz .LBB340_1574
; %bb.1571:                             ;   in Loop: Header=BB340_810 Depth=1
	v_mov_b64_e32 v[32:33], v[22:23]
	v_lshrrev_b32_e32 v67, 3, v2
	s_mov_b32 s18, exec_lo
	v_cmpx_gt_u32_e32 8, v2
; %bb.1572:                             ;   in Loop: Header=BB340_810 Depth=1
	v_and_b32_e32 v2, 7, v31
	s_delay_alu instid0(VALU_DEP_1) | instskip(NEXT) | instid1(VALU_DEP_1)
	v_clz_i32_u32_e32 v2, v2
	v_min_u32_e32 v2, 32, v2
	s_delay_alu instid0(VALU_DEP_1) | instskip(SKIP_1) | instid1(VALU_DEP_2)
	v_subrev_nc_u32_e32 v3, 28, v2
	v_sub_nc_u32_e32 v67, 29, v2
	v_lshlrev_b64_e32 v[32:33], v3, v[22:23]
; %bb.1573:                             ;   in Loop: Header=BB340_810 Depth=1
	s_or_b32 exec_lo, exec_lo, s18
	s_delay_alu instid0(VALU_DEP_1) | instskip(NEXT) | instid1(VALU_DEP_3)
	v_dual_lshlrev_b32 v2, 20, v32 :: v_dual_lshlrev_b32 v3, 24, v22
	v_lshl_add_u32 v4, v67, 23, 0x3c000000
	s_delay_alu instid0(VALU_DEP_2) | instskip(NEXT) | instid1(VALU_DEP_3)
	v_and_b32_e32 v2, 0x700000, v2
	v_and_b32_e32 v3, 0x80000000, v3
	s_delay_alu instid0(VALU_DEP_1)
	v_or3_b32 v67, v2, v3, v4
.LBB340_1574:                           ;   in Loop: Header=BB340_810 Depth=1
	s_or_b32 exec_lo, exec_lo, s17
.LBB340_1575:                           ;   in Loop: Header=BB340_810 Depth=1
	s_delay_alu instid0(SALU_CYCLE_1)
	s_or_b32 exec_lo, exec_lo, s16
.LBB340_1576:                           ;   in Loop: Header=BB340_810 Depth=1
	s_delay_alu instid0(SALU_CYCLE_1) | instskip(SKIP_2) | instid1(VALU_DEP_1)
	s_or_b32 exec_lo, exec_lo, s11
	v_lshrrev_b16 v32, 8, v22
	s_mov_b32 s11, exec_lo
	v_cmpx_ne_u16_e32 0, v32
	s_cbranch_execz .LBB340_1584
; %bb.1577:                             ;   in Loop: Header=BB340_810 Depth=1
	v_bfrev_b32_e32 v68, 1
	s_mov_b32 s16, exec_lo
	v_cmpx_ne_u16_e32 0x80, v32
	s_cbranch_execz .LBB340_1583
; %bb.1578:                             ;   in Loop: Header=BB340_810 Depth=1
	v_and_b32_e32 v2, 0xffff, v32
	v_mov_b32_e32 v68, 0x7f800001
	s_mov_b32 s17, exec_lo
	s_delay_alu instid0(VALU_DEP_2) | instskip(NEXT) | instid1(VALU_DEP_1)
	v_and_b32_e32 v69, 0x7f, v2
	v_cmpx_ne_u32_e32 0x7f, v69
	s_cbranch_execz .LBB340_1582
; %bb.1579:                             ;   in Loop: Header=BB340_810 Depth=1
	v_dual_mov_b32 v33, v23 :: v_dual_bitop2_b32 v32, 7, v2 bitop3:0x40
	v_lshrrev_b32_e32 v68, 3, v69
	s_mov_b32 s18, exec_lo
	v_cmpx_gt_u32_e32 8, v69
; %bb.1580:                             ;   in Loop: Header=BB340_810 Depth=1
	s_delay_alu instid0(VALU_DEP_3) | instskip(NEXT) | instid1(VALU_DEP_1)
	v_clz_i32_u32_e32 v2, v32
	v_min_u32_e32 v4, 32, v2
	s_delay_alu instid0(VALU_DEP_1) | instskip(NEXT) | instid1(VALU_DEP_1)
	v_subrev_nc_u32_e32 v2, 28, v4
	v_lshlrev_b64_e32 v[2:3], v2, v[32:33]
	s_delay_alu instid0(VALU_DEP_1)
	v_dual_sub_nc_u32 v68, 29, v4 :: v_dual_bitop2_b32 v32, 7, v2 bitop3:0x40
; %bb.1581:                             ;   in Loop: Header=BB340_810 Depth=1
	s_or_b32 exec_lo, exec_lo, s18
	s_delay_alu instid0(VALU_DEP_1) | instskip(NEXT) | instid1(VALU_DEP_2)
	v_dual_lshlrev_b32 v2, 16, v22 :: v_dual_lshlrev_b32 v3, 20, v32
	v_lshl_add_u32 v4, v68, 23, 0x3c000000
	s_delay_alu instid0(VALU_DEP_2) | instskip(NEXT) | instid1(VALU_DEP_1)
	v_and_b32_e32 v2, 0x80000000, v2
	v_or3_b32 v68, v3, v2, v4
.LBB340_1582:                           ;   in Loop: Header=BB340_810 Depth=1
	s_or_b32 exec_lo, exec_lo, s17
.LBB340_1583:                           ;   in Loop: Header=BB340_810 Depth=1
	s_delay_alu instid0(SALU_CYCLE_1)
	s_or_b32 exec_lo, exec_lo, s16
.LBB340_1584:                           ;   in Loop: Header=BB340_810 Depth=1
	s_delay_alu instid0(SALU_CYCLE_1) | instskip(SKIP_3) | instid1(VALU_DEP_2)
	s_or_b32 exec_lo, exec_lo, s11
	v_dual_mov_b32 v69, 0 :: v_dual_lshrrev_b32 v32, 16, v31
	v_mov_b32_e32 v70, 0
	s_mov_b32 s11, exec_lo
	v_and_b32_e32 v2, 0xff, v32
	s_delay_alu instid0(VALU_DEP_1)
	v_cmpx_ne_u16_e32 0, v2
	s_cbranch_execz .LBB340_1592
; %bb.1585:                             ;   in Loop: Header=BB340_810 Depth=1
	v_bfrev_b32_e32 v70, 1
	s_mov_b32 s16, exec_lo
	v_cmpx_ne_u16_e32 0x80, v2
	s_cbranch_execz .LBB340_1591
; %bb.1586:                             ;   in Loop: Header=BB340_810 Depth=1
	v_bfe_u32 v2, v31, 16, 7
	v_mov_b32_e32 v70, 0x7f800001
	s_mov_b32 s17, exec_lo
	s_delay_alu instid0(VALU_DEP_2)
	v_cmpx_ne_u32_e32 0x7f, v2
	s_cbranch_execz .LBB340_1590
; %bb.1587:                             ;   in Loop: Header=BB340_810 Depth=1
	v_dual_lshrrev_b32 v33, 3, v2 :: v_dual_bitop2_b32 v22, 7, v32 bitop3:0x40
	s_mov_b32 s18, exec_lo
	v_cmpx_gt_u32_e32 8, v2
; %bb.1588:                             ;   in Loop: Header=BB340_810 Depth=1
	s_delay_alu instid0(VALU_DEP_2) | instskip(NEXT) | instid1(VALU_DEP_1)
	v_clz_i32_u32_e32 v2, v22
	v_min_u32_e32 v4, 32, v2
	s_delay_alu instid0(VALU_DEP_1) | instskip(NEXT) | instid1(VALU_DEP_1)
	v_subrev_nc_u32_e32 v2, 28, v4
	v_lshlrev_b64_e32 v[2:3], v2, v[22:23]
	s_delay_alu instid0(VALU_DEP_1)
	v_dual_sub_nc_u32 v33, 29, v4 :: v_dual_bitop2_b32 v22, 7, v2 bitop3:0x40
; %bb.1589:                             ;   in Loop: Header=BB340_810 Depth=1
	s_or_b32 exec_lo, exec_lo, s18
	s_delay_alu instid0(VALU_DEP_1) | instskip(NEXT) | instid1(VALU_DEP_2)
	v_dual_lshlrev_b32 v2, 24, v32 :: v_dual_lshlrev_b32 v3, 20, v22
	v_lshl_add_u32 v4, v33, 23, 0x3c000000
	s_delay_alu instid0(VALU_DEP_2) | instskip(NEXT) | instid1(VALU_DEP_1)
	v_and_b32_e32 v2, 0x80000000, v2
	v_or3_b32 v70, v3, v2, v4
.LBB340_1590:                           ;   in Loop: Header=BB340_810 Depth=1
	s_or_b32 exec_lo, exec_lo, s17
.LBB340_1591:                           ;   in Loop: Header=BB340_810 Depth=1
	s_delay_alu instid0(SALU_CYCLE_1)
	s_or_b32 exec_lo, exec_lo, s16
.LBB340_1592:                           ;   in Loop: Header=BB340_810 Depth=1
	s_delay_alu instid0(SALU_CYCLE_1) | instskip(NEXT) | instid1(SALU_CYCLE_1)
	s_or_b32 exec_lo, exec_lo, s11
	s_mov_b32 s11, exec_lo
	v_cmpx_lt_u64_e64 s[2:3], v[30:31]
	s_cbranch_execz .LBB340_1600
; %bb.1593:                             ;   in Loop: Header=BB340_810 Depth=1
	v_lshrrev_b32_e32 v30, 24, v31
	v_bfrev_b32_e32 v69, 1
	s_mov_b32 s16, exec_lo
	s_delay_alu instid0(VALU_DEP_2)
	v_cmpx_ne_u32_e32 0x80, v30
	s_cbranch_execz .LBB340_1599
; %bb.1594:                             ;   in Loop: Header=BB340_810 Depth=1
	v_bfe_u32 v2, v31, 24, 7
	v_mov_b32_e32 v69, 0x7f800001
	s_mov_b32 s17, exec_lo
	s_delay_alu instid0(VALU_DEP_2)
	v_cmpx_ne_u32_e32 0x7f, v2
	s_cbranch_execz .LBB340_1598
; %bb.1595:                             ;   in Loop: Header=BB340_810 Depth=1
	v_and_b32_e32 v22, 7, v30
	v_lshrrev_b32_e32 v31, 3, v2
	s_mov_b32 s18, exec_lo
	v_cmpx_gt_u32_e32 8, v2
; %bb.1596:                             ;   in Loop: Header=BB340_810 Depth=1
	s_delay_alu instid0(VALU_DEP_3) | instskip(NEXT) | instid1(VALU_DEP_1)
	v_clz_i32_u32_e32 v2, v22
	v_min_u32_e32 v4, 32, v2
	s_delay_alu instid0(VALU_DEP_1) | instskip(NEXT) | instid1(VALU_DEP_1)
	v_subrev_nc_u32_e32 v2, 28, v4
	v_lshlrev_b64_e32 v[2:3], v2, v[22:23]
	s_delay_alu instid0(VALU_DEP_1)
	v_dual_sub_nc_u32 v31, 29, v4 :: v_dual_bitop2_b32 v22, 7, v2 bitop3:0x40
; %bb.1597:                             ;   in Loop: Header=BB340_810 Depth=1
	s_or_b32 exec_lo, exec_lo, s18
	v_lshlrev_b32_e32 v2, 24, v30
	s_delay_alu instid0(VALU_DEP_2) | instskip(NEXT) | instid1(VALU_DEP_3)
	v_lshlrev_b32_e32 v3, 20, v22
	v_lshl_add_u32 v4, v31, 23, 0x3c000000
	s_delay_alu instid0(VALU_DEP_3) | instskip(NEXT) | instid1(VALU_DEP_1)
	v_and_b32_e32 v2, 0x80000000, v2
	v_or3_b32 v69, v3, v2, v4
.LBB340_1598:                           ;   in Loop: Header=BB340_810 Depth=1
	s_or_b32 exec_lo, exec_lo, s17
.LBB340_1599:                           ;   in Loop: Header=BB340_810 Depth=1
	s_delay_alu instid0(SALU_CYCLE_1)
	s_or_b32 exec_lo, exec_lo, s16
.LBB340_1600:                           ;   in Loop: Header=BB340_810 Depth=1
	s_delay_alu instid0(SALU_CYCLE_1)
	s_or_b32 exec_lo, exec_lo, s11
	v_mov_b32_e32 v36, v5
	v_fma_mixlo_bf16 v30, v51, v68, 0
	v_fma_mixlo_bf16 v32, v51, v67, 0
	;; [unrolled: 1-line block ×8, first 2 shown]
	s_and_saveexec_b32 s0, vcc_lo
	s_cbranch_execz .LBB340_809
; %bb.1601:                             ;   in Loop: Header=BB340_810 Depth=1
	v_cmp_lt_i32_e32 vcc_lo, v84, v48
	v_cndmask_b32_e32 v127, 0, v127, vcc_lo
	v_cmp_lt_i32_e32 vcc_lo, v96, v48
	v_cndmask_b32_e32 v35, 0, v35, vcc_lo
	;; [unrolled: 2-line block ×8, first 2 shown]
	s_branch .LBB340_809
.LBB340_1602:
	s_or_b32 exec_lo, exec_lo, s10
	s_clause 0x1
	scratch_load_b32 v30, off, s32 offset:260
	scratch_load_b32 v31, off, s32 offset:264
	v_mov_b64_e32 v[4:5], s[6:7]
.LBB340_1603:
	s_wait_xcnt 0x0
	s_or_b32 exec_lo, exec_lo, s1
	s_delay_alu instid0(VALU_DEP_1)
	v_lshl_add_u64 v[0:1], v[4:5], 2, s[8:9]
	s_wait_loadcnt 0x0
	s_wait_storecnt 0x0
	s_barrier_signal -1
	s_barrier_wait -1
	global_load_b32 v0, v[0:1], off
	scratch_load_b32 v1, off, s32 offset:564 ; 4-byte Folded Reload
	ds_bpermute_b32 v2, v31, v26
	ds_bpermute_b32 v3, v31, v27
	ds_bpermute_b32 v4, v31, v24
	ds_bpermute_b32 v5, v31, v25
	ds_bpermute_b32 v6, v31, v20
	ds_bpermute_b32 v7, v31, v21
	ds_bpermute_b32 v22, v31, v16
	ds_bpermute_b32 v23, v31, v17
	ds_bpermute_b32 v28, v31, v14
	ds_bpermute_b32 v29, v31, v15
	s_mov_b32 s0, exec_lo
	ds_bpermute_b32 v18, v31, v12
	ds_bpermute_b32 v19, v31, v13
	s_wait_dscnt 0xa
	v_pk_add_f32 v[10:11], v[26:27], v[2:3]
	s_wait_dscnt 0x8
	v_pk_add_f32 v[8:9], v[24:25], v[4:5]
	;; [unrolled: 2-line block ×5, first 2 shown]
	v_lshrrev_b32_e32 v14, 1, v30
	s_wait_loadcnt 0x0
	v_and_b32_e32 v1, 0x3c1, v1
	s_delay_alu instid0(VALU_DEP_1) | instskip(SKIP_1) | instid1(SALU_CYCLE_1)
	v_cmpx_ne_u32_e32 64, v1
	s_xor_b32 s0, exec_lo, s0
	s_or_saveexec_b32 s0, s0
	scratch_load_b32 v15, off, s32 offset:568 th:TH_LOAD_LU ; 4-byte Folded Reload
	s_wait_dscnt 0x0
	v_pk_add_f32 v[12:13], v[12:13], v[18:19]
	v_lshl_add_u32 v1, v14, 2, v0
	s_wait_loadcnt 0x0
	v_mul_u32_u24_e32 v15, 0x300, v15
	s_xor_b32 exec_lo, exec_lo, s0
	s_cbranch_execz .LBB340_1605
; %bb.1604:
	s_delay_alu instid0(VALU_DEP_1) | instskip(NEXT) | instid1(VALU_DEP_1)
	v_add_nc_u32_e32 v16, v1, v15
	v_add_nc_u32_e32 v17, 0xfffffa00, v16
	;; [unrolled: 1-line block ×13, first 2 shown]
	ds_store_b32 v17, v10
	ds_store_b32 v18, v11
	;; [unrolled: 1-line block ×12, first 2 shown]
.LBB340_1605:
	s_or_b32 exec_lo, exec_lo, s0
	v_lshlrev_b32_e32 v14, 2, v14
	scratch_load_b32 v16, off, s32 offset:572 th:TH_LOAD_LU ; 4-byte Folded Reload
	s_mov_b32 s1, exec_lo
	v_add3_u32 v0, v0, v15, v14
	scratch_load_b32 v15, off, s32 offset:564 ; 4-byte Folded Reload
	s_wait_loadcnt_dscnt 0x0
	s_barrier_signal -1
	s_barrier_wait -1
	v_cmp_eq_u32_e32 vcc_lo, 0, v16
	v_cmpx_gt_u32_e32 64, v15
	s_cbranch_execz .LBB340_1620
; %bb.1606:
	s_and_saveexec_b32 s0, vcc_lo
	s_cbranch_execnz .LBB340_1640
; %bb.1607:
	s_or_b32 exec_lo, exec_lo, s0
	s_and_saveexec_b32 s0, vcc_lo
	s_cbranch_execnz .LBB340_1641
.LBB340_1608:
	s_or_b32 exec_lo, exec_lo, s0
	s_and_saveexec_b32 s0, vcc_lo
	s_cbranch_execnz .LBB340_1642
.LBB340_1609:
	s_or_b32 exec_lo, exec_lo, s0
	s_and_saveexec_b32 s0, vcc_lo
	s_cbranch_execnz .LBB340_1643
.LBB340_1610:
	s_or_b32 exec_lo, exec_lo, s0
	s_and_saveexec_b32 s0, vcc_lo
	s_cbranch_execnz .LBB340_1644
.LBB340_1611:
	s_or_b32 exec_lo, exec_lo, s0
	s_and_saveexec_b32 s0, vcc_lo
	s_cbranch_execnz .LBB340_1645
.LBB340_1612:
	s_or_b32 exec_lo, exec_lo, s0
	s_and_saveexec_b32 s0, vcc_lo
	s_cbranch_execnz .LBB340_1646
.LBB340_1613:
	s_or_b32 exec_lo, exec_lo, s0
	s_and_saveexec_b32 s0, vcc_lo
	s_cbranch_execnz .LBB340_1647
.LBB340_1614:
	s_or_b32 exec_lo, exec_lo, s0
	s_and_saveexec_b32 s0, vcc_lo
	s_cbranch_execnz .LBB340_1648
.LBB340_1615:
	s_or_b32 exec_lo, exec_lo, s0
	s_and_saveexec_b32 s0, vcc_lo
	s_cbranch_execnz .LBB340_1649
.LBB340_1616:
	s_or_b32 exec_lo, exec_lo, s0
	s_and_saveexec_b32 s0, vcc_lo
	s_cbranch_execnz .LBB340_1650
.LBB340_1617:
	s_or_b32 exec_lo, exec_lo, s0
	s_and_saveexec_b32 s0, vcc_lo
	s_cbranch_execz .LBB340_1619
.LBB340_1618:
	ds_load_b32 v14, v0 offset:704
	s_wait_dscnt 0x0
	v_add_f32_e32 v13, v14, v13
.LBB340_1619:
	s_or_b32 exec_lo, exec_lo, s0
.LBB340_1620:
	s_delay_alu instid0(SALU_CYCLE_1) | instskip(SKIP_4) | instid1(VALU_DEP_1)
	s_or_b32 exec_lo, exec_lo, s1
	v_and_b32_e32 v14, 0x3e1, v15
	s_mov_b32 s1, exec_lo
	s_barrier_signal -1
	s_barrier_wait -1
	v_cmpx_eq_u32_e32 32, v14
	s_cbranch_execz .LBB340_1622
; %bb.1621:
	ds_store_2addr_b32 v1, v10, v11 offset1:16
	ds_store_2addr_b32 v1, v8, v9 offset0:32 offset1:48
	ds_store_2addr_b32 v1, v6, v7 offset0:64 offset1:80
	;; [unrolled: 1-line block ×5, first 2 shown]
.LBB340_1622:
	s_or_b32 exec_lo, exec_lo, s1
	s_delay_alu instid0(SALU_CYCLE_1)
	s_mov_b32 s1, exec_lo
	s_wait_dscnt 0x0
	s_barrier_signal -1
	s_barrier_wait -1
	v_cmpx_gt_u32_e32 32, v15
	s_cbranch_execz .LBB340_1637
; %bb.1623:
	s_and_saveexec_b32 s0, vcc_lo
	s_cbranch_execnz .LBB340_1651
; %bb.1624:
	s_or_b32 exec_lo, exec_lo, s0
	s_and_saveexec_b32 s0, vcc_lo
	s_cbranch_execnz .LBB340_1652
.LBB340_1625:
	s_or_b32 exec_lo, exec_lo, s0
	s_and_saveexec_b32 s0, vcc_lo
	s_cbranch_execnz .LBB340_1653
.LBB340_1626:
	s_or_b32 exec_lo, exec_lo, s0
	s_and_saveexec_b32 s0, vcc_lo
	s_cbranch_execnz .LBB340_1654
.LBB340_1627:
	s_or_b32 exec_lo, exec_lo, s0
	s_and_saveexec_b32 s0, vcc_lo
	s_cbranch_execnz .LBB340_1655
.LBB340_1628:
	s_or_b32 exec_lo, exec_lo, s0
	s_and_saveexec_b32 s0, vcc_lo
	s_cbranch_execnz .LBB340_1656
.LBB340_1629:
	s_or_b32 exec_lo, exec_lo, s0
	s_and_saveexec_b32 s0, vcc_lo
	s_cbranch_execnz .LBB340_1657
.LBB340_1630:
	s_or_b32 exec_lo, exec_lo, s0
	s_and_saveexec_b32 s0, vcc_lo
	s_cbranch_execnz .LBB340_1658
.LBB340_1631:
	s_or_b32 exec_lo, exec_lo, s0
	s_and_saveexec_b32 s0, vcc_lo
	s_cbranch_execnz .LBB340_1659
.LBB340_1632:
	s_or_b32 exec_lo, exec_lo, s0
	s_and_saveexec_b32 s0, vcc_lo
	s_cbranch_execnz .LBB340_1660
.LBB340_1633:
	s_or_b32 exec_lo, exec_lo, s0
	s_and_saveexec_b32 s0, vcc_lo
	s_cbranch_execnz .LBB340_1661
.LBB340_1634:
	s_or_b32 exec_lo, exec_lo, s0
	s_and_saveexec_b32 s0, vcc_lo
	s_cbranch_execz .LBB340_1636
.LBB340_1635:
	ds_load_b32 v0, v0 offset:704
	s_wait_dscnt 0x0
	v_add_f32_e32 v13, v0, v13
.LBB340_1636:
	s_or_b32 exec_lo, exec_lo, s0
.LBB340_1637:
	s_delay_alu instid0(SALU_CYCLE_1)
	s_or_b32 exec_lo, exec_lo, s1
	s_mov_b32 s1, 0
	s_mov_b32 s2, exec_lo
	s_barrier_signal -1
	s_barrier_wait -1
	v_cmpx_eq_u32_e32 0, v14
	s_cbranch_execz .LBB340_1639
; %bb.1638:
	s_clause 0x1
	scratch_load_b64 v[0:1], off, s32 offset:596 th:TH_LOAD_LU
	scratch_load_b32 v14, off, s32 offset:576 th:TH_LOAD_LU
	s_and_b32 s0, 0xffff, s15
	v_mov_b32_e32 v15, 0
	s_cmp_lg_u32 s0, 0
	s_cselect_b32 s0, -1, 0
	s_delay_alu instid0(SALU_CYCLE_1)
	s_cmp_lg_u32 s0, 0
	s_wait_kmcnt 0x0
	s_add_co_ci_u32 s0, s5, 0
	s_bfe_u32 s8, ttmp6, 0x40014
	s_mul_i32 s5, s0, s13
	s_lshr_b32 s3, ttmp7, 16
	s_mul_i32 s5, s5, s14
	s_add_co_i32 s8, s8, 1
	s_mul_i32 s6, s5, 0xc0
	s_bfe_u32 s9, ttmp6, 0x40008
	s_ashr_i32 s7, s6, 31
	s_mul_i32 s4, s4, s0
	s_mul_i32 s0, s3, s8
	s_ashr_i32 s5, s4, 31
	s_add_co_i32 s9, s9, s0
	s_cmp_eq_u32 s12, 0
	s_cselect_b32 s0, s3, s9
	s_delay_alu instid0(SALU_CYCLE_1) | instskip(NEXT) | instid1(SALU_CYCLE_1)
	s_mulk_i32 s0, 0x180
	v_cvt_pk_bf16_f32 v10, v10, s0
	v_cvt_pk_bf16_f32 v11, v11, s0
	;; [unrolled: 1-line block ×12, first 2 shown]
	s_wait_loadcnt 0x1
	v_lshl_add_u64 v[0:1], s[6:7], 1, v[0:1]
	s_wait_loadcnt 0x0
	v_lshlrev_b32_e32 v14, 1, v14
	s_delay_alu instid0(VALU_DEP_2) | instskip(NEXT) | instid1(VALU_DEP_1)
	v_lshl_add_u64 v[0:1], s[4:5], 1, v[0:1]
	v_add_nc_u64_e32 v[0:1], s[0:1], v[0:1]
	s_delay_alu instid0(VALU_DEP_1)
	v_add_nc_u64_e32 v[0:1], v[0:1], v[14:15]
	s_clause 0xb
	flat_store_b16 v[0:1], v10
	flat_store_b16 v[0:1], v11 offset:32
	flat_store_b16 v[0:1], v8 offset:64
	flat_store_b16 v[0:1], v9 offset:96
	flat_store_b16 v[0:1], v6 offset:128
	flat_store_b16 v[0:1], v7 offset:160
	flat_store_b16 v[0:1], v4 offset:192
	flat_store_b16 v[0:1], v5 offset:224
	flat_store_b16 v[0:1], v2 offset:256
	flat_store_b16 v[0:1], v3 offset:288
	flat_store_b16 v[0:1], v12 offset:320
	flat_store_b16 v[0:1], v13 offset:352
.LBB340_1639:
	s_wait_xcnt 0x0
	s_or_b32 exec_lo, exec_lo, s2
	s_clause 0x2f
	scratch_load_b32 v127, off, s32
	scratch_load_b32 v126, off, s32 offset:4
	scratch_load_b32 v125, off, s32 offset:8
	;; [unrolled: 1-line block ×47, first 2 shown]
	s_wait_loadcnt_dscnt 0x0
	s_wait_kmcnt 0x0
	s_set_pc_i64 s[30:31]
.LBB340_1640:
	ds_load_b32 v14, v0
	s_wait_dscnt 0x0
	v_add_f32_e32 v10, v14, v10
	s_or_b32 exec_lo, exec_lo, s0
	s_and_saveexec_b32 s0, vcc_lo
	s_cbranch_execz .LBB340_1608
.LBB340_1641:
	ds_load_b32 v14, v0 offset:64
	s_wait_dscnt 0x0
	v_add_f32_e32 v11, v14, v11
	s_or_b32 exec_lo, exec_lo, s0
	s_and_saveexec_b32 s0, vcc_lo
	s_cbranch_execz .LBB340_1609
.LBB340_1642:
	ds_load_b32 v14, v0 offset:128
	s_wait_dscnt 0x0
	v_add_f32_e32 v8, v14, v8
	s_or_b32 exec_lo, exec_lo, s0
	s_and_saveexec_b32 s0, vcc_lo
	s_cbranch_execz .LBB340_1610
.LBB340_1643:
	ds_load_b32 v14, v0 offset:192
	s_wait_dscnt 0x0
	v_add_f32_e32 v9, v14, v9
	s_or_b32 exec_lo, exec_lo, s0
	s_and_saveexec_b32 s0, vcc_lo
	s_cbranch_execz .LBB340_1611
.LBB340_1644:
	ds_load_b32 v14, v0 offset:256
	s_wait_dscnt 0x0
	v_add_f32_e32 v6, v14, v6
	s_or_b32 exec_lo, exec_lo, s0
	s_and_saveexec_b32 s0, vcc_lo
	s_cbranch_execz .LBB340_1612
.LBB340_1645:
	ds_load_b32 v14, v0 offset:320
	s_wait_dscnt 0x0
	v_add_f32_e32 v7, v14, v7
	s_or_b32 exec_lo, exec_lo, s0
	s_and_saveexec_b32 s0, vcc_lo
	s_cbranch_execz .LBB340_1613
.LBB340_1646:
	ds_load_b32 v14, v0 offset:384
	s_wait_dscnt 0x0
	v_add_f32_e32 v4, v14, v4
	s_or_b32 exec_lo, exec_lo, s0
	s_and_saveexec_b32 s0, vcc_lo
	s_cbranch_execz .LBB340_1614
.LBB340_1647:
	ds_load_b32 v14, v0 offset:448
	s_wait_dscnt 0x0
	v_add_f32_e32 v5, v14, v5
	s_or_b32 exec_lo, exec_lo, s0
	s_and_saveexec_b32 s0, vcc_lo
	s_cbranch_execz .LBB340_1615
.LBB340_1648:
	ds_load_b32 v14, v0 offset:512
	s_wait_dscnt 0x0
	v_add_f32_e32 v2, v14, v2
	s_or_b32 exec_lo, exec_lo, s0
	s_and_saveexec_b32 s0, vcc_lo
	s_cbranch_execz .LBB340_1616
.LBB340_1649:
	ds_load_b32 v14, v0 offset:576
	s_wait_dscnt 0x0
	v_add_f32_e32 v3, v14, v3
	s_or_b32 exec_lo, exec_lo, s0
	s_and_saveexec_b32 s0, vcc_lo
	s_cbranch_execz .LBB340_1617
.LBB340_1650:
	ds_load_b32 v14, v0 offset:640
	s_wait_dscnt 0x0
	v_add_f32_e32 v12, v14, v12
	s_or_b32 exec_lo, exec_lo, s0
	s_and_saveexec_b32 s0, vcc_lo
	s_cbranch_execnz .LBB340_1618
	s_branch .LBB340_1619
.LBB340_1651:
	ds_load_b32 v1, v0
	s_wait_dscnt 0x0
	v_add_f32_e32 v10, v1, v10
	s_or_b32 exec_lo, exec_lo, s0
	s_and_saveexec_b32 s0, vcc_lo
	s_cbranch_execz .LBB340_1625
.LBB340_1652:
	ds_load_b32 v1, v0 offset:64
	s_wait_dscnt 0x0
	v_add_f32_e32 v11, v1, v11
	s_or_b32 exec_lo, exec_lo, s0
	s_and_saveexec_b32 s0, vcc_lo
	s_cbranch_execz .LBB340_1626
.LBB340_1653:
	ds_load_b32 v1, v0 offset:128
	s_wait_dscnt 0x0
	v_add_f32_e32 v8, v1, v8
	s_or_b32 exec_lo, exec_lo, s0
	s_and_saveexec_b32 s0, vcc_lo
	s_cbranch_execz .LBB340_1627
.LBB340_1654:
	ds_load_b32 v1, v0 offset:192
	s_wait_dscnt 0x0
	v_add_f32_e32 v9, v1, v9
	s_or_b32 exec_lo, exec_lo, s0
	s_and_saveexec_b32 s0, vcc_lo
	s_cbranch_execz .LBB340_1628
.LBB340_1655:
	ds_load_b32 v1, v0 offset:256
	s_wait_dscnt 0x0
	v_add_f32_e32 v6, v1, v6
	s_or_b32 exec_lo, exec_lo, s0
	s_and_saveexec_b32 s0, vcc_lo
	s_cbranch_execz .LBB340_1629
.LBB340_1656:
	ds_load_b32 v1, v0 offset:320
	s_wait_dscnt 0x0
	v_add_f32_e32 v7, v1, v7
	s_or_b32 exec_lo, exec_lo, s0
	s_and_saveexec_b32 s0, vcc_lo
	s_cbranch_execz .LBB340_1630
.LBB340_1657:
	ds_load_b32 v1, v0 offset:384
	s_wait_dscnt 0x0
	v_add_f32_e32 v4, v1, v4
	s_or_b32 exec_lo, exec_lo, s0
	s_and_saveexec_b32 s0, vcc_lo
	s_cbranch_execz .LBB340_1631
.LBB340_1658:
	ds_load_b32 v1, v0 offset:448
	s_wait_dscnt 0x0
	v_add_f32_e32 v5, v1, v5
	s_or_b32 exec_lo, exec_lo, s0
	s_and_saveexec_b32 s0, vcc_lo
	s_cbranch_execz .LBB340_1632
.LBB340_1659:
	ds_load_b32 v1, v0 offset:512
	s_wait_dscnt 0x0
	v_add_f32_e32 v2, v1, v2
	s_or_b32 exec_lo, exec_lo, s0
	s_and_saveexec_b32 s0, vcc_lo
	s_cbranch_execz .LBB340_1633
.LBB340_1660:
	ds_load_b32 v1, v0 offset:576
	s_wait_dscnt 0x0
	v_add_f32_e32 v3, v1, v3
	s_or_b32 exec_lo, exec_lo, s0
	s_and_saveexec_b32 s0, vcc_lo
	s_cbranch_execz .LBB340_1634
.LBB340_1661:
	ds_load_b32 v1, v0 offset:640
	s_wait_dscnt 0x0
	v_add_f32_e32 v12, v1, v12
	s_or_b32 exec_lo, exec_lo, s0
	s_and_saveexec_b32 s0, vcc_lo
	s_cbranch_execnz .LBB340_1635
	s_branch .LBB340_1636
.Lfunc_end340:
	.size	_ZN4vllm22paged_attention_kernelI14__hip_bfloat16hLi192ELi16ELi128ELNS_18Fp8KVCacheDataTypeE1ELb0ELi0EEEvPfS3_PT_PKS4_PKT0_SA_ifPKiSC_iPKfiiiSE_SE_iiiii, .Lfunc_end340-_ZN4vllm22paged_attention_kernelI14__hip_bfloat16hLi192ELi16ELi128ELNS_18Fp8KVCacheDataTypeE1ELb0ELi0EEEvPfS3_PT_PKS4_PKT0_SA_ifPKiSC_iPKfiiiSE_SE_iiiii
                                        ; -- End function
	.set .L_ZN4vllm22paged_attention_kernelI14__hip_bfloat16hLi192ELi16ELi128ELNS_18Fp8KVCacheDataTypeE1ELb0ELi0EEEvPfS3_PT_PKS4_PKT0_SA_ifPKiSC_iPKfiiiSE_SE_iiiii.num_vgpr, 128
	.set .L_ZN4vllm22paged_attention_kernelI14__hip_bfloat16hLi192ELi16ELi128ELNS_18Fp8KVCacheDataTypeE1ELb0ELi0EEEvPfS3_PT_PKS4_PKT0_SA_ifPKiSC_iPKfiiiSE_SE_iiiii.num_agpr, 0
	.set .L_ZN4vllm22paged_attention_kernelI14__hip_bfloat16hLi192ELi16ELi128ELNS_18Fp8KVCacheDataTypeE1ELb0ELi0EEEvPfS3_PT_PKS4_PKT0_SA_ifPKiSC_iPKfiiiSE_SE_iiiii.numbered_sgpr, 33
	.set .L_ZN4vllm22paged_attention_kernelI14__hip_bfloat16hLi192ELi16ELi128ELNS_18Fp8KVCacheDataTypeE1ELb0ELi0EEEvPfS3_PT_PKS4_PKT0_SA_ifPKiSC_iPKfiiiSE_SE_iiiii.num_named_barrier, 0
	.set .L_ZN4vllm22paged_attention_kernelI14__hip_bfloat16hLi192ELi16ELi128ELNS_18Fp8KVCacheDataTypeE1ELb0ELi0EEEvPfS3_PT_PKS4_PKT0_SA_ifPKiSC_iPKfiiiSE_SE_iiiii.private_seg_size, 648
	.set .L_ZN4vllm22paged_attention_kernelI14__hip_bfloat16hLi192ELi16ELi128ELNS_18Fp8KVCacheDataTypeE1ELb0ELi0EEEvPfS3_PT_PKS4_PKT0_SA_ifPKiSC_iPKfiiiSE_SE_iiiii.uses_vcc, 1
	.set .L_ZN4vllm22paged_attention_kernelI14__hip_bfloat16hLi192ELi16ELi128ELNS_18Fp8KVCacheDataTypeE1ELb0ELi0EEEvPfS3_PT_PKS4_PKT0_SA_ifPKiSC_iPKfiiiSE_SE_iiiii.uses_flat_scratch, 1
	.set .L_ZN4vllm22paged_attention_kernelI14__hip_bfloat16hLi192ELi16ELi128ELNS_18Fp8KVCacheDataTypeE1ELb0ELi0EEEvPfS3_PT_PKS4_PKT0_SA_ifPKiSC_iPKfiiiSE_SE_iiiii.has_dyn_sized_stack, 0
	.set .L_ZN4vllm22paged_attention_kernelI14__hip_bfloat16hLi192ELi16ELi128ELNS_18Fp8KVCacheDataTypeE1ELb0ELi0EEEvPfS3_PT_PKS4_PKT0_SA_ifPKiSC_iPKfiiiSE_SE_iiiii.has_recursion, 0
	.set .L_ZN4vllm22paged_attention_kernelI14__hip_bfloat16hLi192ELi16ELi128ELNS_18Fp8KVCacheDataTypeE1ELb0ELi0EEEvPfS3_PT_PKS4_PKT0_SA_ifPKiSC_iPKfiiiSE_SE_iiiii.has_indirect_call, 0
	.section	.AMDGPU.csdata,"",@progbits
; Function info:
; codeLenInByte = 60684
; TotalNumSgprs: 35
; NumVgprs: 128
; ScratchSize: 648
; MemoryBound: 0
	.section	.text._ZN4vllm25paged_attention_v1_kernelI14__hip_bfloat16hLi192ELi16ELi128ELNS_18Fp8KVCacheDataTypeE1ELb0EEEvPT_PKS3_PKT0_S9_ifPKiSB_iPKfiiiSD_SD_iiiii,"axG",@progbits,_ZN4vllm25paged_attention_v1_kernelI14__hip_bfloat16hLi192ELi16ELi128ELNS_18Fp8KVCacheDataTypeE1ELb0EEEvPT_PKS3_PKT0_S9_ifPKiSB_iPKfiiiSD_SD_iiiii,comdat
	.protected	_ZN4vllm25paged_attention_v1_kernelI14__hip_bfloat16hLi192ELi16ELi128ELNS_18Fp8KVCacheDataTypeE1ELb0EEEvPT_PKS3_PKT0_S9_ifPKiSB_iPKfiiiSD_SD_iiiii ; -- Begin function _ZN4vllm25paged_attention_v1_kernelI14__hip_bfloat16hLi192ELi16ELi128ELNS_18Fp8KVCacheDataTypeE1ELb0EEEvPT_PKS3_PKT0_S9_ifPKiSB_iPKfiiiSD_SD_iiiii
	.globl	_ZN4vllm25paged_attention_v1_kernelI14__hip_bfloat16hLi192ELi16ELi128ELNS_18Fp8KVCacheDataTypeE1ELb0EEEvPT_PKS3_PKT0_S9_ifPKiSB_iPKfiiiSD_SD_iiiii
	.p2align	8
	.type	_ZN4vllm25paged_attention_v1_kernelI14__hip_bfloat16hLi192ELi16ELi128ELNS_18Fp8KVCacheDataTypeE1ELb0EEEvPT_PKS3_PKT0_S9_ifPKiSB_iPKfiiiSD_SD_iiiii,@function
_ZN4vllm25paged_attention_v1_kernelI14__hip_bfloat16hLi192ELi16ELi128ELNS_18Fp8KVCacheDataTypeE1ELb0EEEvPT_PKS3_PKT0_S9_ifPKiSB_iPKfiiiSD_SD_iiiii: ; @_ZN4vllm25paged_attention_v1_kernelI14__hip_bfloat16hLi192ELi16ELi128ELNS_18Fp8KVCacheDataTypeE1ELb0EEEvPT_PKS3_PKT0_S9_ifPKiSB_iPKfiiiSD_SD_iiiii
; %bb.0:
	s_clause 0x5
	s_load_b256 s[12:19], s[0:1], 0x0
	s_load_b128 s[4:7], s[0:1], 0x20
	s_load_b96 s[20:22], s[0:1], 0x30
	s_load_b64 s[10:11], s[0:1], 0x40
	s_load_b96 s[28:30], s[0:1], 0x48
	s_load_b128 s[24:27], s[0:1], 0x58
	v_mov_b32_e32 v31, v0
	s_get_pc_i64 s[2:3]
	s_add_nc_u64 s[2:3], s[2:3], _ZN4vllm22paged_attention_kernelI14__hip_bfloat16hLi192ELi16ELi128ELNS_18Fp8KVCacheDataTypeE1ELb0ELi0EEEvPfS3_PT_PKS4_PKT0_SA_ifPKiSC_iPKfiiiSE_SE_iiiii@rel64+4
	s_add_nc_u64 s[8:9], s[0:1], 0x80
	s_mov_b32 s32, 0
	s_wait_kmcnt 0x0
	v_dual_mov_b32 v0, s12 :: v_dual_mov_b32 v1, s13
	v_dual_mov_b32 v2, s14 :: v_dual_mov_b32 v3, s15
	;; [unrolled: 1-line block ×12, first 2 shown]
	s_mov_b32 s15, 6
	s_swap_pc_i64 s[30:31], s[2:3]
	s_endpgm
	.section	.rodata,"a",@progbits
	.p2align	6, 0x0
	.amdhsa_kernel _ZN4vllm25paged_attention_v1_kernelI14__hip_bfloat16hLi192ELi16ELi128ELNS_18Fp8KVCacheDataTypeE1ELb0EEEvPT_PKS3_PKT0_S9_ifPKiSB_iPKfiiiSD_SD_iiiii
		.amdhsa_group_segment_fixed_size 416
		.amdhsa_private_segment_fixed_size 648
		.amdhsa_kernarg_size 384
		.amdhsa_user_sgpr_count 2
		.amdhsa_user_sgpr_dispatch_ptr 0
		.amdhsa_user_sgpr_queue_ptr 0
		.amdhsa_user_sgpr_kernarg_segment_ptr 1
		.amdhsa_user_sgpr_dispatch_id 0
		.amdhsa_user_sgpr_kernarg_preload_length 0
		.amdhsa_user_sgpr_kernarg_preload_offset 0
		.amdhsa_user_sgpr_private_segment_size 0
		.amdhsa_wavefront_size32 1
		.amdhsa_uses_dynamic_stack 0
		.amdhsa_enable_private_segment 1
		.amdhsa_system_sgpr_workgroup_id_x 1
		.amdhsa_system_sgpr_workgroup_id_y 1
		.amdhsa_system_sgpr_workgroup_id_z 1
		.amdhsa_system_sgpr_workgroup_info 0
		.amdhsa_system_vgpr_workitem_id 0
		.amdhsa_next_free_vgpr 128
		.amdhsa_next_free_sgpr 33
		.amdhsa_named_barrier_count 0
		.amdhsa_reserve_vcc 1
		.amdhsa_float_round_mode_32 0
		.amdhsa_float_round_mode_16_64 0
		.amdhsa_float_denorm_mode_32 3
		.amdhsa_float_denorm_mode_16_64 3
		.amdhsa_fp16_overflow 0
		.amdhsa_memory_ordered 1
		.amdhsa_forward_progress 1
		.amdhsa_inst_pref_size 2
		.amdhsa_round_robin_scheduling 0
		.amdhsa_exception_fp_ieee_invalid_op 0
		.amdhsa_exception_fp_denorm_src 0
		.amdhsa_exception_fp_ieee_div_zero 0
		.amdhsa_exception_fp_ieee_overflow 0
		.amdhsa_exception_fp_ieee_underflow 0
		.amdhsa_exception_fp_ieee_inexact 0
		.amdhsa_exception_int_div_zero 0
	.end_amdhsa_kernel
	.section	.text._ZN4vllm25paged_attention_v1_kernelI14__hip_bfloat16hLi192ELi16ELi128ELNS_18Fp8KVCacheDataTypeE1ELb0EEEvPT_PKS3_PKT0_S9_ifPKiSB_iPKfiiiSD_SD_iiiii,"axG",@progbits,_ZN4vllm25paged_attention_v1_kernelI14__hip_bfloat16hLi192ELi16ELi128ELNS_18Fp8KVCacheDataTypeE1ELb0EEEvPT_PKS3_PKT0_S9_ifPKiSB_iPKfiiiSD_SD_iiiii,comdat
.Lfunc_end341:
	.size	_ZN4vllm25paged_attention_v1_kernelI14__hip_bfloat16hLi192ELi16ELi128ELNS_18Fp8KVCacheDataTypeE1ELb0EEEvPT_PKS3_PKT0_S9_ifPKiSB_iPKfiiiSD_SD_iiiii, .Lfunc_end341-_ZN4vllm25paged_attention_v1_kernelI14__hip_bfloat16hLi192ELi16ELi128ELNS_18Fp8KVCacheDataTypeE1ELb0EEEvPT_PKS3_PKT0_S9_ifPKiSB_iPKfiiiSD_SD_iiiii
                                        ; -- End function
	.set _ZN4vllm25paged_attention_v1_kernelI14__hip_bfloat16hLi192ELi16ELi128ELNS_18Fp8KVCacheDataTypeE1ELb0EEEvPT_PKS3_PKT0_S9_ifPKiSB_iPKfiiiSD_SD_iiiii.num_vgpr, max(32, .L_ZN4vllm22paged_attention_kernelI14__hip_bfloat16hLi192ELi16ELi128ELNS_18Fp8KVCacheDataTypeE1ELb0ELi0EEEvPfS3_PT_PKS4_PKT0_SA_ifPKiSC_iPKfiiiSE_SE_iiiii.num_vgpr)
	.set _ZN4vllm25paged_attention_v1_kernelI14__hip_bfloat16hLi192ELi16ELi128ELNS_18Fp8KVCacheDataTypeE1ELb0EEEvPT_PKS3_PKT0_S9_ifPKiSB_iPKfiiiSD_SD_iiiii.num_agpr, max(0, .L_ZN4vllm22paged_attention_kernelI14__hip_bfloat16hLi192ELi16ELi128ELNS_18Fp8KVCacheDataTypeE1ELb0ELi0EEEvPfS3_PT_PKS4_PKT0_SA_ifPKiSC_iPKfiiiSE_SE_iiiii.num_agpr)
	.set _ZN4vllm25paged_attention_v1_kernelI14__hip_bfloat16hLi192ELi16ELi128ELNS_18Fp8KVCacheDataTypeE1ELb0EEEvPT_PKS3_PKT0_S9_ifPKiSB_iPKfiiiSD_SD_iiiii.numbered_sgpr, max(33, .L_ZN4vllm22paged_attention_kernelI14__hip_bfloat16hLi192ELi16ELi128ELNS_18Fp8KVCacheDataTypeE1ELb0ELi0EEEvPfS3_PT_PKS4_PKT0_SA_ifPKiSC_iPKfiiiSE_SE_iiiii.numbered_sgpr)
	.set _ZN4vllm25paged_attention_v1_kernelI14__hip_bfloat16hLi192ELi16ELi128ELNS_18Fp8KVCacheDataTypeE1ELb0EEEvPT_PKS3_PKT0_S9_ifPKiSB_iPKfiiiSD_SD_iiiii.num_named_barrier, max(0, .L_ZN4vllm22paged_attention_kernelI14__hip_bfloat16hLi192ELi16ELi128ELNS_18Fp8KVCacheDataTypeE1ELb0ELi0EEEvPfS3_PT_PKS4_PKT0_SA_ifPKiSC_iPKfiiiSE_SE_iiiii.num_named_barrier)
	.set _ZN4vllm25paged_attention_v1_kernelI14__hip_bfloat16hLi192ELi16ELi128ELNS_18Fp8KVCacheDataTypeE1ELb0EEEvPT_PKS3_PKT0_S9_ifPKiSB_iPKfiiiSD_SD_iiiii.private_seg_size, 0+max(.L_ZN4vllm22paged_attention_kernelI14__hip_bfloat16hLi192ELi16ELi128ELNS_18Fp8KVCacheDataTypeE1ELb0ELi0EEEvPfS3_PT_PKS4_PKT0_SA_ifPKiSC_iPKfiiiSE_SE_iiiii.private_seg_size)
	.set _ZN4vllm25paged_attention_v1_kernelI14__hip_bfloat16hLi192ELi16ELi128ELNS_18Fp8KVCacheDataTypeE1ELb0EEEvPT_PKS3_PKT0_S9_ifPKiSB_iPKfiiiSD_SD_iiiii.uses_vcc, or(1, .L_ZN4vllm22paged_attention_kernelI14__hip_bfloat16hLi192ELi16ELi128ELNS_18Fp8KVCacheDataTypeE1ELb0ELi0EEEvPfS3_PT_PKS4_PKT0_SA_ifPKiSC_iPKfiiiSE_SE_iiiii.uses_vcc)
	.set _ZN4vllm25paged_attention_v1_kernelI14__hip_bfloat16hLi192ELi16ELi128ELNS_18Fp8KVCacheDataTypeE1ELb0EEEvPT_PKS3_PKT0_S9_ifPKiSB_iPKfiiiSD_SD_iiiii.uses_flat_scratch, or(0, .L_ZN4vllm22paged_attention_kernelI14__hip_bfloat16hLi192ELi16ELi128ELNS_18Fp8KVCacheDataTypeE1ELb0ELi0EEEvPfS3_PT_PKS4_PKT0_SA_ifPKiSC_iPKfiiiSE_SE_iiiii.uses_flat_scratch)
	.set _ZN4vllm25paged_attention_v1_kernelI14__hip_bfloat16hLi192ELi16ELi128ELNS_18Fp8KVCacheDataTypeE1ELb0EEEvPT_PKS3_PKT0_S9_ifPKiSB_iPKfiiiSD_SD_iiiii.has_dyn_sized_stack, or(0, .L_ZN4vllm22paged_attention_kernelI14__hip_bfloat16hLi192ELi16ELi128ELNS_18Fp8KVCacheDataTypeE1ELb0ELi0EEEvPfS3_PT_PKS4_PKT0_SA_ifPKiSC_iPKfiiiSE_SE_iiiii.has_dyn_sized_stack)
	.set _ZN4vllm25paged_attention_v1_kernelI14__hip_bfloat16hLi192ELi16ELi128ELNS_18Fp8KVCacheDataTypeE1ELb0EEEvPT_PKS3_PKT0_S9_ifPKiSB_iPKfiiiSD_SD_iiiii.has_recursion, or(0, .L_ZN4vllm22paged_attention_kernelI14__hip_bfloat16hLi192ELi16ELi128ELNS_18Fp8KVCacheDataTypeE1ELb0ELi0EEEvPfS3_PT_PKS4_PKT0_SA_ifPKiSC_iPKfiiiSE_SE_iiiii.has_recursion)
	.set _ZN4vllm25paged_attention_v1_kernelI14__hip_bfloat16hLi192ELi16ELi128ELNS_18Fp8KVCacheDataTypeE1ELb0EEEvPT_PKS3_PKT0_S9_ifPKiSB_iPKfiiiSD_SD_iiiii.has_indirect_call, or(0, .L_ZN4vllm22paged_attention_kernelI14__hip_bfloat16hLi192ELi16ELi128ELNS_18Fp8KVCacheDataTypeE1ELb0ELi0EEEvPfS3_PT_PKS4_PKT0_SA_ifPKiSC_iPKfiiiSE_SE_iiiii.has_indirect_call)
	.section	.AMDGPU.csdata,"",@progbits
; Kernel info:
; codeLenInByte = 196
; TotalNumSgprs: 35
; NumVgprs: 128
; ScratchSize: 648
; MemoryBound: 0
; FloatMode: 240
; IeeeMode: 1
; LDSByteSize: 416 bytes/workgroup (compile time only)
; SGPRBlocks: 0
; VGPRBlocks: 7
; NumSGPRsForWavesPerEU: 35
; NumVGPRsForWavesPerEU: 128
; NamedBarCnt: 0
; Occupancy: 8
; WaveLimiterHint : 1
; COMPUTE_PGM_RSRC2:SCRATCH_EN: 1
; COMPUTE_PGM_RSRC2:USER_SGPR: 2
; COMPUTE_PGM_RSRC2:TRAP_HANDLER: 0
; COMPUTE_PGM_RSRC2:TGID_X_EN: 1
; COMPUTE_PGM_RSRC2:TGID_Y_EN: 1
; COMPUTE_PGM_RSRC2:TGID_Z_EN: 1
; COMPUTE_PGM_RSRC2:TIDIG_COMP_CNT: 0
	.text
	.p2align	2                               ; -- Begin function _ZN4vllm22paged_attention_kernelI14__hip_bfloat16hLi256ELi16ELi128ELNS_18Fp8KVCacheDataTypeE1ELb0ELi0EEEvPfS3_PT_PKS4_PKT0_SA_ifPKiSC_iPKfiiiSE_SE_iiiii
	.type	_ZN4vllm22paged_attention_kernelI14__hip_bfloat16hLi256ELi16ELi128ELNS_18Fp8KVCacheDataTypeE1ELb0ELi0EEEvPfS3_PT_PKS4_PKT0_SA_ifPKiSC_iPKfiiiSE_SE_iiiii,@function
_ZN4vllm22paged_attention_kernelI14__hip_bfloat16hLi256ELi16ELi128ELNS_18Fp8KVCacheDataTypeE1ELb0ELi0EEEvPfS3_PT_PKS4_PKT0_SA_ifPKiSC_iPKfiiiSE_SE_iiiii: ; @_ZN4vllm22paged_attention_kernelI14__hip_bfloat16hLi256ELi16ELi128ELNS_18Fp8KVCacheDataTypeE1ELb0ELi0EEEvPfS3_PT_PKS4_PKT0_SA_ifPKiSC_iPKfiiiSE_SE_iiiii
; %bb.0:
	s_wait_loadcnt_dscnt 0x0
	s_wait_kmcnt 0x0
	s_clause 0x2f
	scratch_store_b32 off, v40, s32 offset:188
	; meta instruction
	scratch_store_b32 off, v41, s32 offset:184
	; meta instruction
	;; [unrolled: 2-line block ×47, first 2 shown]
	scratch_store_b32 off, v127, s32
	v_mov_b32_e32 v27, 0
	s_clause 0x1
	scratch_store_b64 off, v[20:21], s32 offset:252
	scratch_store_b64 off, v[18:19], s32 offset:348
	v_dual_mov_b32 v37, v7 :: v_dual_mov_b32 v36, v6
	s_bfe_u32 s0, ttmp6, 0x4000c
	global_load_u16 v6, v27, s[8:9] offset:22
	s_add_co_i32 s0, s0, 1
	s_bfe_u32 s2, ttmp6, 0x40010
	s_and_b32 s1, ttmp6, 15
	s_mul_i32 s0, ttmp9, s0
	s_and_b32 s4, ttmp7, 0xffff
	s_add_co_i32 s2, s2, 1
	s_add_co_i32 s1, s1, s0
	s_mul_i32 s0, s4, s2
	s_bfe_u32 s2, ttmp6, 0x40004
	s_getreg_b32 s12, hwreg(HW_REG_IB_STS2, 6, 4)
	s_add_co_i32 s2, s2, s0
	s_cmp_eq_u32 s12, 0
	s_mov_b32 s3, 0
	s_cselect_b32 s13, s4, s2
	s_cselect_b32 s4, ttmp9, s1
	s_lshl_b32 s2, s13, 2
	s_mov_b32 s10, s15
	s_clause 0x1
	s_load_u16 s0, s[8:9], 0x12
	s_load_b32 s1, s[8:9], 0x0
	v_dual_mov_b32 v35, v11 :: v_dual_mov_b32 v34, v10
	v_dual_mov_b32 v25, v16 :: v_dual_mov_b32 v24, v15
	scratch_store_b64 off, v[0:1], s32 offset:848 ; 8-byte Folded Spill
	s_wait_xcnt 0x0
	v_add_nc_u64_e32 v[0:1], s[2:3], v[12:13]
	flat_load_b32 v52, v[0:1]
	s_wait_xcnt 0x0
	v_sub_nc_u32_e32 v0, 0, v8
	s_wait_kmcnt 0x0
	s_cmp_lg_u32 s0, 0
	s_delay_alu instid0(VALU_DEP_1) | instskip(SKIP_1) | instid1(SALU_CYCLE_1)
	v_max_i32_e32 v0, v8, v0
	s_cselect_b32 s0, -1, 0
	s_cmp_lg_u32 s0, 0
	s_add_co_ci_u32 s14, s1, 0
	s_abs_i32 s2, s4
	s_abs_i32 s0, s14
	v_cvt_f32_u32_e32 v1, v0
	s_delay_alu instid0(VALU_DEP_1) | instskip(SKIP_1) | instid1(TRANS32_DEP_1)
	v_rcp_iflag_f32_e32 v1, v1
	v_nop
	v_mul_f32_e32 v1, 0x4f7ffffe, v1
	v_sub_nc_u32_e32 v7, 0, v0
	s_delay_alu instid0(VALU_DEP_2) | instskip(NEXT) | instid1(VALU_DEP_1)
	v_cvt_u32_f32_e32 v1, v1
	v_mul_lo_u32 v7, v7, v1
	s_delay_alu instid0(VALU_DEP_1) | instskip(NEXT) | instid1(VALU_DEP_1)
	v_mul_hi_u32 v7, v1, v7
	v_add_nc_u32_e32 v1, v1, v7
	s_delay_alu instid0(VALU_DEP_1) | instskip(NEXT) | instid1(VALU_DEP_1)
	v_mul_hi_u32 v1, s0, v1
	v_mul_lo_u32 v7, v1, v0
	s_delay_alu instid0(VALU_DEP_1) | instskip(SKIP_1) | instid1(VALU_DEP_1)
	v_sub_nc_u32_e32 v7, s0, v7
	s_mov_b32 s0, exec_lo
	v_cmp_ge_u32_e32 vcc_lo, v7, v0
	s_wait_loadcnt 0x1
	v_readfirstlane_b32 s15, v6
	v_mov_b32_e32 v6, v27
	scratch_store_b32 off, v9, s32 offset:832 ; 4-byte Folded Spill
	s_wait_xcnt 0x0
	v_dual_add_nc_u32 v9, 1, v1 :: v_dual_sub_nc_u32 v10, v7, v0
	scratch_store_b32 off, v6, s32 offset:828 ; 4-byte Folded Spill
	v_dual_cndmask_b32 v1, v1, v9, vcc_lo :: v_dual_bitop2_b32 v8, s14, v8 bitop3:0x14
	s_delay_alu instid0(VALU_DEP_1) | instskip(NEXT) | instid1(VALU_DEP_2)
	v_dual_cndmask_b32 v7, v7, v10, vcc_lo :: v_dual_add_nc_u32 v9, 1, v1
	v_ashrrev_i32_e32 v8, 31, v8
	s_delay_alu instid0(VALU_DEP_2) | instskip(NEXT) | instid1(VALU_DEP_3)
	v_cmp_ge_u32_e32 vcc_lo, v7, v0
	v_cndmask_b32_e32 v0, v1, v9, vcc_lo
	s_delay_alu instid0(VALU_DEP_1) | instskip(NEXT) | instid1(VALU_DEP_1)
	v_xor_b32_e32 v0, v0, v8
	v_sub_nc_u32_e32 v1, v0, v8
	s_delay_alu instid0(VALU_DEP_1) | instskip(NEXT) | instid1(VALU_DEP_1)
	v_sub_nc_u32_e32 v0, 0, v1
	v_max_i32_e32 v0, v1, v0
	s_delay_alu instid0(VALU_DEP_1) | instskip(SKIP_1) | instid1(VALU_DEP_2)
	v_cvt_f32_u32_e32 v7, v0
	v_sub_nc_u32_e32 v8, 0, v0
	v_rcp_iflag_f32_e32 v7, v7
	v_nop
	s_delay_alu instid0(TRANS32_DEP_1) | instskip(NEXT) | instid1(VALU_DEP_1)
	v_mul_f32_e32 v7, 0x4f7ffffe, v7
	v_cvt_u32_f32_e32 v7, v7
	s_delay_alu instid0(VALU_DEP_1) | instskip(NEXT) | instid1(VALU_DEP_1)
	v_mul_lo_u32 v8, v8, v7
	v_mul_hi_u32 v8, v7, v8
	s_delay_alu instid0(VALU_DEP_1)
	v_add_nc_u32_e32 v26, v7, v8
	s_wait_xcnt 0x0
	v_cmpx_ne_u64_e32 0, v[24:25]
	s_cbranch_execz .LBB342_2
; %bb.1:
	s_ashr_i32 s5, s4, 31
	s_delay_alu instid0(SALU_CYCLE_1)
	v_lshl_add_u64 v[6:7], s[4:5], 2, v[24:25]
	flat_load_b32 v6, v[6:7]
	s_wait_loadcnt_dscnt 0x0
	scratch_store_b32 off, v6, s32 offset:828 ; 4-byte Folded Spill
.LBB342_2:
	s_wait_xcnt 0x0
	s_or_b32 exec_lo, exec_lo, s0
	v_mul_u64_e32 v[12:13], s[2:3], v[26:27]
	v_and_b32_e32 v7, 0x3ff, v31
	v_bfe_u32 v6, v31, 1, 9
	v_ashrrev_i32_e32 v1, 31, v1
	s_ashr_i32 s1, s4, 31
	s_lshl_b32 s6, s4, 8
	v_cmp_gt_u32_e64 s0, 64, v7
	scratch_store_b32 off, v6, s32 offset:844 ; 4-byte Folded Spill
	s_wait_xcnt 0x0
	v_and_b32_e32 v6, 1, v31
	v_lshlrev_b32_e32 v32, 3, v7
	s_clause 0x1
	scratch_store_b32 off, v7, s32 offset:824
	scratch_store_b32 off, v6, s32 offset:840
	s_wait_xcnt 0x0
	s_and_saveexec_b32 s3, s0
	s_cbranch_execz .LBB342_4
; %bb.3:
	v_mul_lo_u32 v6, v17, s13
	s_ashr_i32 s7, s6, 31
	s_delay_alu instid0(VALU_DEP_1) | instskip(NEXT) | instid1(VALU_DEP_1)
	v_dual_mov_b32 v33, 0 :: v_dual_ashrrev_i32 v7, 31, v6
	v_lshl_add_u64 v[2:3], v[6:7], 1, v[2:3]
	s_delay_alu instid0(VALU_DEP_1) | instskip(NEXT) | instid1(VALU_DEP_1)
	v_lshl_add_u64 v[2:3], s[6:7], 1, v[2:3]
	v_add_nc_u64_e32 v[2:3], v[2:3], v[32:33]
	flat_load_b64 v[2:3], v[2:3]
	s_clause 0x1
	scratch_load_b32 v6, off, s32 offset:844
	scratch_load_b32 v7, off, s32 offset:840
	s_wait_loadcnt 0x1
	v_lshlrev_b32_e32 v6, 3, v6
	s_wait_loadcnt 0x0
	s_delay_alu instid0(VALU_DEP_1)
	v_lshl_add_u32 v6, v7, 8, v6
	s_wait_dscnt 0x0
	ds_store_b64 v6, v[2:3]
.LBB342_4:
	s_wait_xcnt 0x0
	s_or_b32 exec_lo, exec_lo, s3
	v_mul_lo_u32 v2, v13, v0
	s_wait_loadcnt_dscnt 0x0
	v_add_nc_u32_e32 v3, 15, v52
	v_mul_lo_u32 v38, v14, s13
	v_mbcnt_lo_u32_b32 v27, -1, 0
                                        ; implicit-def: $vgpr10
	s_delay_alu instid0(VALU_DEP_4) | instskip(NEXT) | instid1(VALU_DEP_4)
	v_dual_sub_nc_u32 v2, s2, v2 :: v_dual_bitop2_b32 v1, s1, v1 bitop3:0x14
	v_dual_add_nc_u32 v6, 1, v13 :: v_dual_ashrrev_i32 v7, 31, v3
	s_delay_alu instid0(VALU_DEP_4) | instskip(NEXT) | instid1(VALU_DEP_3)
	v_ashrrev_i32_e32 v39, 31, v38
	v_cmp_ge_u32_e32 vcc_lo, v2, v0
	s_delay_alu instid0(VALU_DEP_3) | instskip(NEXT) | instid1(VALU_DEP_1)
	v_dual_sub_nc_u32 v8, v2, v0 :: v_dual_cndmask_b32 v6, v13, v6, vcc_lo
	v_dual_cndmask_b32 v2, v2, v8 :: v_dual_lshrrev_b32 v7, 28, v7
	s_delay_alu instid0(VALU_DEP_2) | instskip(NEXT) | instid1(VALU_DEP_2)
	v_add_nc_u32_e32 v8, 1, v6
	v_cmp_ge_u32_e32 vcc_lo, v2, v0
	scratch_load_b32 v2, off, s32 offset:824 ; 4-byte Folded Reload
	v_dual_cndmask_b32 v0, v6, v8 :: v_dual_add_nc_u32 v3, v3, v7
	s_delay_alu instid0(VALU_DEP_1) | instskip(NEXT) | instid1(VALU_DEP_1)
	v_dual_ashrrev_i32 v101, 4, v3 :: v_dual_bitop2_b32 v0, v0, v1 bitop3:0x14
	v_sub_nc_u32_e32 v1, v0, v1
                                        ; implicit-def: $vgpr0
	s_wait_loadcnt 0x0
	v_lshrrev_b32_e32 v2, 5, v2
	s_delay_alu instid0(VALU_DEP_1)
	v_cmp_ge_i32_e64 s1, v2, v101
	scratch_store_b32 off, v2, s32 offset:836 ; 4-byte Folded Spill
	s_wait_storecnt 0x0
	s_barrier_signal -1
	s_barrier_wait -1
	s_wait_xcnt 0x0
	s_and_saveexec_b32 s2, s1
	s_delay_alu instid0(SALU_CYCLE_1)
	s_xor_b32 s2, exec_lo, s2
	s_cbranch_execz .LBB342_6
; %bb.5:
	v_dual_mov_b32 v0, 0 :: v_dual_mov_b32 v10, 32
	v_mbcnt_lo_u32_b32 v27, -1, 0
                                        ; implicit-def: $vgpr2
                                        ; kill: killed $vgpr2
                                        ; implicit-def: $vgpr2
                                        ; kill: killed $vgpr2
                                        ; implicit-def: $vgpr4
                                        ; implicit-def: $vgpr2
	scratch_store_b64 off, v[2:3], s32 offset:252 ; 8-byte Folded Spill
.LBB342_6:
	s_wait_xcnt 0x0
	s_or_saveexec_b32 s16, s2
	v_mul_lo_u32 v50, v1, v19
	scratch_load_b32 v1, off, s32 offset:824 ; 4-byte Folded Reload
	s_load_b32 s7, s[8:9], 0x8
	v_mov_b32_e32 v6, 0xff7fffff
	s_wait_xcnt 0x0
	s_get_pc_i64 s[8:9]
	s_add_nc_u64 s[8:9], s[8:9], llvm.amdgcn.dynlds.offset.table@rel64+4
	s_wait_loadcnt 0x0
	v_dual_ashrrev_i32 v51, 31, v50 :: v_dual_lshrrev_b32 v49, 3, v1
	s_xor_b32 exec_lo, exec_lo, s16
	s_cbranch_execz .LBB342_1036
; %bb.7:
	s_clause 0x3
	scratch_store_b64 off, v[32:33], s32 offset:880
	scratch_store_b64 off, v[22:23], s32 offset:872
	;; [unrolled: 1-line block ×3, first 2 shown]
	scratch_load_b32 v26, off, s32 offset:840
	s_ashr_i32 s11, s10, 31
	s_mov_b32 s17, 0
	s_lshl_b64 s[4:5], s[10:11], 2
	s_delay_alu instid0(SALU_CYCLE_1)
	s_add_nc_u64 s[4:5], s[8:9], s[4:5]
	s_wait_loadcnt 0x0
	v_lshlrev_b32_e32 v0, 8, v26
	ds_load_b128 v[6:9], v0
	ds_load_b128 v[10:13], v0 offset:16
	ds_load_b128 v[14:17], v0 offset:32
	;; [unrolled: 1-line block ×3, first 2 shown]
	s_wait_xcnt 0x2
	ds_load_b128 v[22:25], v0 offset:64
	s_wait_dscnt 0x4
	v_lshlrev_b32_e32 v1, 16, v6
	scratch_store_b32 off, v1, s32 offset:264 ; 4-byte Folded Spill
	s_wait_xcnt 0x0
	v_and_b32_e32 v1, 0xffff0000, v6
	scratch_store_b32 off, v1, s32 offset:268 ; 4-byte Folded Spill
	s_wait_xcnt 0x0
	v_lshlrev_b32_e32 v1, 16, v7
	scratch_store_b32 off, v1, s32 offset:272 ; 4-byte Folded Spill
	s_wait_xcnt 0x0
	v_and_b32_e32 v1, 0xffff0000, v7
	scratch_store_b32 off, v1, s32 offset:276 ; 4-byte Folded Spill
	s_wait_xcnt 0x0
	;; [unrolled: 6-line block ×3, first 2 shown]
	v_lshlrev_b32_e32 v1, 16, v9
	scratch_store_b32 off, v1, s32 offset:288 ; 4-byte Folded Spill
	s_wait_xcnt 0x0
	v_and_b32_e32 v1, 0xffff0000, v9
	ds_load_b128 v[6:9], v0 offset:96
	scratch_store_b32 off, v1, s32 offset:292 ; 4-byte Folded Spill
	s_wait_dscnt 0x4
	s_wait_xcnt 0x0
	v_lshlrev_b32_e32 v1, 16, v10
	scratch_store_b32 off, v1, s32 offset:296 ; 4-byte Folded Spill
	s_wait_xcnt 0x0
	v_and_b32_e32 v1, 0xffff0000, v10
	scratch_store_b32 off, v1, s32 offset:300 ; 4-byte Folded Spill
	s_wait_xcnt 0x0
	v_lshlrev_b32_e32 v1, 16, v11
	scratch_store_b32 off, v1, s32 offset:304 ; 4-byte Folded Spill
	s_wait_xcnt 0x0
	v_and_b32_e32 v1, 0xffff0000, v11
	scratch_store_b32 off, v1, s32 offset:308 ; 4-byte Folded Spill
	;; [unrolled: 6-line block ×4, first 2 shown]
	s_wait_dscnt 0x3
	s_wait_xcnt 0x0
	v_lshlrev_b32_e32 v1, 16, v14
	scratch_store_b32 off, v1, s32 offset:328 ; 4-byte Folded Spill
	s_wait_xcnt 0x0
	v_and_b32_e32 v1, 0xffff0000, v14
	scratch_store_b32 off, v1, s32 offset:332 ; 4-byte Folded Spill
	s_wait_xcnt 0x0
	v_lshlrev_b32_e32 v1, 16, v15
	scratch_store_b32 off, v1, s32 offset:336 ; 4-byte Folded Spill
	s_wait_xcnt 0x0
	v_and_b32_e32 v1, 0xffff0000, v15
	ds_load_b128 v[12:15], v0 offset:80
	scratch_store_b32 off, v1, s32 offset:340 ; 4-byte Folded Spill
	s_wait_xcnt 0x0
	v_lshlrev_b32_e32 v1, 16, v16
	scratch_store_b32 off, v1, s32 offset:344 ; 4-byte Folded Spill
	s_wait_xcnt 0x0
	v_and_b32_e32 v1, 0xffff0000, v16
	scratch_store_b32 off, v1, s32 offset:356 ; 4-byte Folded Spill
	s_wait_xcnt 0x0
	v_lshlrev_b32_e32 v1, 16, v17
	scratch_store_b32 off, v1, s32 offset:372 ; 4-byte Folded Spill
	s_wait_xcnt 0x0
	v_and_b32_e32 v1, 0xffff0000, v17
	scratch_store_b32 off, v1, s32 offset:388 ; 4-byte Folded Spill
	s_wait_dscnt 0x3
	s_wait_xcnt 0x0
	v_lshlrev_b32_e32 v1, 16, v18
	scratch_store_b32 off, v1, s32 offset:392 ; 4-byte Folded Spill
	s_wait_xcnt 0x0
	v_and_b32_e32 v1, 0xffff0000, v18
	scratch_store_b32 off, v1, s32 offset:400 ; 4-byte Folded Spill
	s_wait_xcnt 0x0
	v_lshlrev_b32_e32 v1, 16, v19
	scratch_store_b32 off, v1, s32 offset:404 ; 4-byte Folded Spill
	s_wait_xcnt 0x0
	v_and_b32_e32 v1, 0xffff0000, v19
	ds_load_b128 v[16:19], v0 offset:112
	scratch_store_b32 off, v1, s32 offset:408 ; 4-byte Folded Spill
	s_wait_xcnt 0x0
	v_lshlrev_b32_e32 v1, 16, v20
	scratch_store_b32 off, v1, s32 offset:412 ; 4-byte Folded Spill
	s_wait_xcnt 0x0
	v_and_b32_e32 v1, 0xffff0000, v20
	scratch_store_b32 off, v1, s32 offset:416 ; 4-byte Folded Spill
	s_wait_xcnt 0x0
	v_lshlrev_b32_e32 v1, 16, v21
	scratch_store_b32 off, v1, s32 offset:420 ; 4-byte Folded Spill
	s_wait_xcnt 0x0
	v_and_b32_e32 v1, 0xffff0000, v21
	scratch_store_b32 off, v1, s32 offset:424 ; 4-byte Folded Spill
	;; [unrolled: 26-line block ×4, first 2 shown]
	s_wait_xcnt 0x0
	v_lshlrev_b32_e32 v1, 16, v6
	scratch_store_b32 off, v1, s32 offset:492 ; 4-byte Folded Spill
	s_wait_xcnt 0x0
	v_and_b32_e32 v1, 0xffff0000, v6
	scratch_store_b32 off, v1, s32 offset:496 ; 4-byte Folded Spill
	s_wait_xcnt 0x0
	v_lshlrev_b32_e32 v1, 16, v7
	scratch_store_b32 off, v1, s32 offset:500 ; 4-byte Folded Spill
	s_wait_xcnt 0x0
	v_and_b32_e32 v1, 0xffff0000, v7
	scratch_store_b32 off, v1, s32 offset:504 ; 4-byte Folded Spill
	;; [unrolled: 6-line block ×3, first 2 shown]
	s_wait_xcnt 0x0
	v_lshlrev_b32_e32 v1, 16, v9
	scratch_store_b32 off, v1, s32 offset:516 ; 4-byte Folded Spill
	s_wait_xcnt 0x0
	v_and_b32_e32 v1, 0xffff0000, v9
	ds_load_b128 v[6:9], v0 offset:160
	scratch_store_b32 off, v1, s32 offset:520 ; 4-byte Folded Spill
	s_wait_dscnt 0x3
	s_wait_xcnt 0x0
	v_lshlrev_b32_e32 v1, 16, v16
	scratch_store_b32 off, v1, s32 offset:524 ; 4-byte Folded Spill
	s_wait_xcnt 0x0
	v_and_b32_e32 v1, 0xffff0000, v16
	scratch_store_b32 off, v1, s32 offset:528 ; 4-byte Folded Spill
	s_wait_xcnt 0x0
	v_lshlrev_b32_e32 v1, 16, v17
	scratch_store_b32 off, v1, s32 offset:532 ; 4-byte Folded Spill
	s_wait_xcnt 0x0
	v_and_b32_e32 v1, 0xffff0000, v17
	ds_load_b128 v[14:17], v0 offset:176
	scratch_store_b32 off, v1, s32 offset:536 ; 4-byte Folded Spill
	s_wait_xcnt 0x0
	v_lshlrev_b32_e32 v1, 16, v18
	scratch_store_b32 off, v1, s32 offset:540 ; 4-byte Folded Spill
	s_wait_xcnt 0x0
	v_and_b32_e32 v1, 0xffff0000, v18
	scratch_store_b32 off, v1, s32 offset:544 ; 4-byte Folded Spill
	s_wait_xcnt 0x0
	v_lshlrev_b32_e32 v1, 16, v19
	scratch_store_b32 off, v1, s32 offset:548 ; 4-byte Folded Spill
	s_wait_xcnt 0x0
	v_and_b32_e32 v1, 0xffff0000, v19
	scratch_store_b32 off, v1, s32 offset:552 ; 4-byte Folded Spill
	s_wait_dscnt 0x2
	s_wait_xcnt 0x0
	v_lshlrev_b32_e32 v1, 16, v10
	scratch_store_b32 off, v1, s32 offset:556 ; 4-byte Folded Spill
	s_wait_xcnt 0x0
	v_and_b32_e32 v1, 0xffff0000, v10
	scratch_store_b32 off, v1, s32 offset:560 ; 4-byte Folded Spill
	s_wait_xcnt 0x0
	v_lshlrev_b32_e32 v1, 16, v11
	scratch_store_b32 off, v1, s32 offset:564 ; 4-byte Folded Spill
	s_wait_xcnt 0x0
	v_and_b32_e32 v1, 0xffff0000, v11
	scratch_store_b32 off, v1, s32 offset:568 ; 4-byte Folded Spill
	;; [unrolled: 6-line block ×3, first 2 shown]
	s_wait_xcnt 0x0
	v_lshlrev_b32_e32 v1, 16, v13
	scratch_store_b32 off, v1, s32 offset:580 ; 4-byte Folded Spill
	s_wait_xcnt 0x0
	v_and_b32_e32 v1, 0xffff0000, v13
	ds_load_b128 v[10:13], v0 offset:192
	scratch_store_b32 off, v1, s32 offset:584 ; 4-byte Folded Spill
	s_wait_xcnt 0x0
	v_lshlrev_b32_e32 v1, 16, v20
	scratch_store_b32 off, v1, s32 offset:588 ; 4-byte Folded Spill
	s_wait_xcnt 0x0
	v_and_b32_e32 v1, 0xffff0000, v20
	scratch_store_b32 off, v1, s32 offset:592 ; 4-byte Folded Spill
	s_wait_xcnt 0x0
	v_lshlrev_b32_e32 v1, 16, v21
	scratch_store_b32 off, v1, s32 offset:596 ; 4-byte Folded Spill
	s_wait_xcnt 0x0
	v_and_b32_e32 v1, 0xffff0000, v21
	ds_load_b128 v[18:21], v0 offset:208
	scratch_store_b32 off, v1, s32 offset:600 ; 4-byte Folded Spill
	s_wait_xcnt 0x0
	v_lshlrev_b32_e32 v1, 16, v22
	scratch_store_b32 off, v1, s32 offset:604 ; 4-byte Folded Spill
	s_wait_xcnt 0x0
	v_and_b32_e32 v1, 0xffff0000, v22
	scratch_store_b32 off, v1, s32 offset:608 ; 4-byte Folded Spill
	s_wait_xcnt 0x0
	v_lshlrev_b32_e32 v1, 16, v23
	scratch_store_b32 off, v1, s32 offset:612 ; 4-byte Folded Spill
	s_wait_xcnt 0x0
	v_and_b32_e32 v1, 0xffff0000, v23
	scratch_store_b32 off, v1, s32 offset:616 ; 4-byte Folded Spill
	s_wait_dscnt 0x3
	s_wait_xcnt 0x0
	v_lshlrev_b32_e32 v1, 16, v6
	scratch_store_b32 off, v1, s32 offset:620 ; 4-byte Folded Spill
	s_wait_xcnt 0x0
	v_and_b32_e32 v1, 0xffff0000, v6
	scratch_store_b32 off, v1, s32 offset:624 ; 4-byte Folded Spill
	s_wait_xcnt 0x0
	v_lshlrev_b32_e32 v1, 16, v7
	scratch_store_b32 off, v1, s32 offset:628 ; 4-byte Folded Spill
	s_wait_xcnt 0x0
	v_and_b32_e32 v1, 0xffff0000, v7
	scratch_store_b32 off, v1, s32 offset:632 ; 4-byte Folded Spill
	s_wait_xcnt 0x0
	v_lshlrev_b32_e32 v1, 16, v8
	scratch_store_b32 off, v1, s32 offset:636 ; 4-byte Folded Spill
	s_wait_xcnt 0x0
	v_and_b32_e32 v1, 0xffff0000, v8
	scratch_store_b32 off, v1, s32 offset:640 ; 4-byte Folded Spill
	s_wait_xcnt 0x0
	v_lshlrev_b32_e32 v1, 16, v9
	scratch_store_b32 off, v1, s32 offset:644 ; 4-byte Folded Spill
	s_wait_xcnt 0x0
	v_and_b32_e32 v1, 0xffff0000, v9
	scratch_store_b32 off, v1, s32 offset:648 ; 4-byte Folded Spill
	s_wait_dscnt 0x2
	s_wait_xcnt 0x0
	v_lshlrev_b32_e32 v1, 16, v14
	scratch_store_b32 off, v1, s32 offset:652 ; 4-byte Folded Spill
	s_wait_xcnt 0x0
	v_and_b32_e32 v1, 0xffff0000, v14
	scratch_store_b32 off, v1, s32 offset:656 ; 4-byte Folded Spill
	s_wait_xcnt 0x0
	v_lshlrev_b32_e32 v1, 16, v15
	scratch_store_b32 off, v1, s32 offset:660 ; 4-byte Folded Spill
	s_wait_xcnt 0x0
	v_and_b32_e32 v1, 0xffff0000, v15
	;; [unrolled: 25-line block ×4, first 2 shown]
	scratch_store_b32 off, v1, s32 offset:728 ; 4-byte Folded Spill
	s_wait_xcnt 0x0
	v_lshlrev_b32_e32 v1, 16, v20
	scratch_store_b32 off, v1, s32 offset:732 ; 4-byte Folded Spill
	s_wait_xcnt 0x0
	v_and_b32_e32 v1, 0xffff0000, v20
	scratch_store_b32 off, v1, s32 offset:736 ; 4-byte Folded Spill
	s_wait_xcnt 0x0
	v_lshlrev_b32_e32 v1, 16, v21
	scratch_store_b32 off, v1, s32 offset:740 ; 4-byte Folded Spill
	s_wait_xcnt 0x0
	v_and_b32_e32 v1, 0xffff0000, v21
	scratch_store_b32 off, v1, s32 offset:744 ; 4-byte Folded Spill
	ds_load_b128 v[6:9], v0 offset:224
	s_wait_xcnt 0x0
	ds_load_b128 v[0:3], v0 offset:240
	s_wait_dscnt 0x1
	v_lshlrev_b32_e32 v10, 16, v6
	v_and_b32_e32 v6, 0xffff0000, v6
	s_clause 0x1
	scratch_store_b32 off, v10, s32 offset:748
	scratch_store_b32 off, v6, s32 offset:752
	s_wait_xcnt 0x0
	v_lshlrev_b32_e32 v6, 16, v7
	scratch_store_b32 off, v6, s32 offset:756 ; 4-byte Folded Spill
	s_wait_xcnt 0x0
	v_and_b32_e32 v6, 0xffff0000, v7
	scratch_store_b32 off, v6, s32 offset:760 ; 4-byte Folded Spill
	s_wait_xcnt 0x0
	v_lshlrev_b32_e32 v6, 16, v8
	scratch_store_b32 off, v6, s32 offset:764 ; 4-byte Folded Spill
	s_wait_xcnt 0x0
	v_and_b32_e32 v6, 0xffff0000, v8
	scratch_store_b32 off, v6, s32 offset:768 ; 4-byte Folded Spill
	;; [unrolled: 6-line block ×3, first 2 shown]
	s_wait_dscnt 0x0
	s_wait_xcnt 0x0
	v_lshlrev_b32_e32 v6, 16, v0
	v_and_b32_e32 v0, 0xffff0000, v0
	s_clause 0x1
	scratch_store_b32 off, v6, s32 offset:780
	scratch_store_b32 off, v0, s32 offset:784
	s_wait_xcnt 0x0
	v_lshlrev_b32_e32 v0, 16, v1
	scratch_store_b32 off, v0, s32 offset:788 ; 4-byte Folded Spill
	s_wait_xcnt 0x0
	v_and_b32_e32 v0, 0xffff0000, v1
	scratch_store_b32 off, v0, s32 offset:792 ; 4-byte Folded Spill
	s_wait_xcnt 0x0
	v_lshlrev_b32_e32 v0, 16, v2
	scratch_store_b32 off, v0, s32 offset:796 ; 4-byte Folded Spill
	s_wait_xcnt 0x0
	v_and_b32_e32 v0, 0xffff0000, v2
	scratch_store_b32 off, v0, s32 offset:800 ; 4-byte Folded Spill
	s_wait_xcnt 0x0
	v_lshlrev_b32_e32 v0, 16, v3
	scratch_store_b32 off, v0, s32 offset:804 ; 4-byte Folded Spill
	s_wait_xcnt 0x0
	v_and_b32_e32 v0, 0xffff0000, v3
	s_clause 0x3
	scratch_store_b32 off, v0, s32 offset:808
	scratch_store_b64 off, v[50:51], s32 offset:896
	scratch_load_b32 v2, off, s32 offset:824
	scratch_load_b32 v70, off, s32 offset:836
	s_wait_xcnt 0x3
	v_add_nc_u64_e32 v[0:1], v[4:5], v[50:51]
	v_mov_b32_e32 v5, 0
	s_clause 0x1
	scratch_store_b64 off, v[34:35], s32 offset:856
	scratch_store_b64 off, v[38:39], s32 offset:888
	v_mov_b32_e32 v3, v5
	s_wait_loadcnt 0x1
	v_bfe_u32 v4, v2, 1, 4
	s_delay_alu instid0(VALU_DEP_1) | instskip(SKIP_2) | instid1(VALU_DEP_2)
	v_lshlrev_b32_e32 v2, 4, v4
	s_wait_loadcnt 0x0
	v_lshl_or_b32 v68, v70, 4, v4
	v_add_nc_u64_e32 v[0:1], v[0:1], v[2:3]
	v_lshlrev_b32_e32 v2, 2, v26
	s_delay_alu instid0(VALU_DEP_1)
	v_add_nc_u64_e32 v[0:1], v[0:1], v[2:3]
	s_clause 0x1
	scratch_store_b64 off, v[0:1], s32 offset:812
	scratch_store_b32 off, v49, s32 offset:904
	s_wait_xcnt 0x1
	v_dual_mov_b32 v1, v5 :: v_dual_bitop2_b32 v0, 1, v27 bitop3:0x14
	s_delay_alu instid0(VALU_DEP_1) | instskip(SKIP_3) | instid1(VALU_DEP_3)
	v_cmp_gt_i32_e32 vcc_lo, 32, v0
	v_cndmask_b32_e32 v2, v27, v0, vcc_lo
	v_and_b32_e32 v0, 0x7c, v49
	v_cmp_eq_u32_e32 vcc_lo, 0, v26
	v_lshlrev_b32_e32 v2, 2, v2
	s_delay_alu instid0(VALU_DEP_3) | instskip(NEXT) | instid1(VALU_DEP_1)
	v_lshl_add_u64 v[0:1], v[38:39], 2, v[0:1]
	v_add_nc_u64_e32 v[14:15], v[34:35], v[0:1]
	v_lshlrev_b32_e32 v0, 2, v4
	s_delay_alu instid0(VALU_DEP_1)
	v_lshl_or_b32 v69, v70, 6, v0
	v_mov_b32_e32 v0, 0xff7fffff
	s_clause 0x3
	scratch_store_b32 off, v2, s32 offset:820
	scratch_store_b32 off, v27, s32 offset:908
	scratch_load_b32 v2, off, s32 offset:828
	scratch_store_b32 off, v0, s32 offset:260
	s_wait_loadcnt 0x0
	v_cmp_neq_f32_e64 s2, 0, v2
	s_branch .LBB342_9
.LBB342_8:                              ;   in Loop: Header=BB342_9 Depth=1
	s_wait_xcnt 0x0
	s_or_b32 exec_lo, exec_lo, s11
	v_dual_add_nc_u32 v70, 4, v70 :: v_dual_add_nc_u32 v68, 64, v68
	v_add_nc_u64_e32 v[14:15], 16, v[14:15]
	v_add_nc_u32_e32 v69, 0x100, v69
	s_delay_alu instid0(VALU_DEP_3) | instskip(SKIP_1) | instid1(SALU_CYCLE_1)
	v_cmp_ge_i32_e64 s3, v70, v101
	s_or_b32 s17, s3, s17
	s_and_not1_b32 exec_lo, exec_lo, s17
	s_cbranch_execz .LBB342_1035
.LBB342_9:                              ; =>This Inner Loop Header: Depth=1
	flat_load_b32 v0, v[14:15]
	s_clause 0x1
	scratch_load_b64 v[2:3], off, s32 offset:348
	scratch_load_b64 v[6:7], off, s32 offset:812
	s_mov_b32 s11, exec_lo
	s_wait_loadcnt_dscnt 0x0
	v_mad_nc_i64_i32 v[16:17], v0, v2, v[6:7]
	flat_load_b32 v0, v[16:17]
	scratch_load_b64 v[2:3], off, s32 offset:252 ; 8-byte Folded Reload
	s_wait_loadcnt_dscnt 0x100
	v_and_b32_e32 v1, 0xff, v0
	s_wait_loadcnt 0x0
	flat_load_b32 v71, v[2:3]
	s_wait_xcnt 0x0
	v_mov_b32_e32 v2, 0
	scratch_store_b32 off, v2, s32 offset:192 ; 4-byte Folded Spill
	s_wait_xcnt 0x0
	v_mov_b32_e32 v2, 0
	scratch_store_b32 off, v2, s32 offset:224 ; 4-byte Folded Spill
	s_wait_xcnt 0x0
	v_cmpx_ne_u16_e32 0, v1
	s_cbranch_execz .LBB342_17
; %bb.10:                               ;   in Loop: Header=BB342_9 Depth=1
	v_cmp_ne_u16_e64 s3, 0x80, v1
	v_bfrev_b32_e32 v1, 1
	s_and_saveexec_b32 s18, s3
	s_cbranch_execz .LBB342_16
; %bb.11:                               ;   in Loop: Header=BB342_9 Depth=1
	v_and_b32_e32 v2, 0x7f, v0
	v_mov_b32_e32 v1, 0x7f800001
	s_mov_b32 s19, exec_lo
	s_delay_alu instid0(VALU_DEP_2)
	v_cmpx_ne_u32_e32 0x7f, v2
	s_cbranch_execz .LBB342_15
; %bb.12:                               ;   in Loop: Header=BB342_9 Depth=1
	v_dual_lshrrev_b32 v1, 3, v2 :: v_dual_bitop2_b32 v4, 7, v0 bitop3:0x40
	s_mov_b32 s20, exec_lo
	s_delay_alu instid0(VALU_DEP_1)
	v_mov_b64_e32 v[24:25], v[4:5]
	v_cmpx_gt_u32_e32 8, v2
; %bb.13:                               ;   in Loop: Header=BB342_9 Depth=1
	v_clz_i32_u32_e32 v1, v4
	s_delay_alu instid0(VALU_DEP_1) | instskip(NEXT) | instid1(VALU_DEP_1)
	v_min_u32_e32 v1, 32, v1
	v_subrev_nc_u32_e32 v2, 28, v1
	s_delay_alu instid0(VALU_DEP_1) | instskip(NEXT) | instid1(VALU_DEP_1)
	v_lshlrev_b64_e32 v[2:3], v2, v[4:5]
	v_dual_sub_nc_u32 v1, 29, v1 :: v_dual_bitop2_b32 v24, 7, v2 bitop3:0x40
; %bb.14:                               ;   in Loop: Header=BB342_9 Depth=1
	s_or_b32 exec_lo, exec_lo, s20
	v_lshlrev_b32_e32 v2, 24, v0
	s_delay_alu instid0(VALU_DEP_2) | instskip(NEXT) | instid1(VALU_DEP_3)
	v_lshlrev_b32_e32 v3, 20, v24
	v_lshl_add_u32 v1, v1, 23, 0x3c000000
	s_delay_alu instid0(VALU_DEP_3) | instskip(NEXT) | instid1(VALU_DEP_1)
	v_and_b32_e32 v2, 0x80000000, v2
	v_or3_b32 v1, v3, v2, v1
.LBB342_15:                             ;   in Loop: Header=BB342_9 Depth=1
	s_or_b32 exec_lo, exec_lo, s19
.LBB342_16:                             ;   in Loop: Header=BB342_9 Depth=1
	s_delay_alu instid0(SALU_CYCLE_1)
	s_or_b32 exec_lo, exec_lo, s18
	scratch_store_b32 off, v1, s32 offset:224 ; 4-byte Folded Spill
.LBB342_17:                             ;   in Loop: Header=BB342_9 Depth=1
	s_wait_xcnt 0x0
	s_or_b32 exec_lo, exec_lo, s11
	v_lshrrev_b16 v1, 8, v0
	s_mov_b32 s11, exec_lo
	s_delay_alu instid0(VALU_DEP_1)
	v_cmpx_ne_u16_e32 0, v1
	s_cbranch_execz .LBB342_25
; %bb.18:                               ;   in Loop: Header=BB342_9 Depth=1
	v_bfrev_b32_e32 v2, 1
	s_mov_b32 s18, exec_lo
	scratch_store_b32 off, v2, s32 offset:192 ; 4-byte Folded Spill
	s_wait_xcnt 0x0
	v_cmpx_ne_u16_e32 0x80, v1
	s_cbranch_execz .LBB342_24
; %bb.19:                               ;   in Loop: Header=BB342_9 Depth=1
	v_and_b32_e32 v1, 0xffff, v1
	v_mov_b32_e32 v3, 0x7f800001
	s_mov_b32 s19, exec_lo
	s_delay_alu instid0(VALU_DEP_2)
	v_and_b32_e32 v2, 0x7f, v1
	scratch_store_b32 off, v3, s32 offset:192 ; 4-byte Folded Spill
	s_wait_xcnt 0x0
	v_cmpx_ne_u32_e32 0x7f, v2
	s_cbranch_execz .LBB342_23
; %bb.20:                               ;   in Loop: Header=BB342_9 Depth=1
	v_dual_lshrrev_b32 v1, 3, v2 :: v_dual_bitop2_b32 v4, 7, v1 bitop3:0x40
	s_mov_b32 s20, exec_lo
	s_delay_alu instid0(VALU_DEP_1)
	v_mov_b64_e32 v[24:25], v[4:5]
	v_cmpx_gt_u32_e32 8, v2
; %bb.21:                               ;   in Loop: Header=BB342_9 Depth=1
	v_clz_i32_u32_e32 v1, v4
	s_delay_alu instid0(VALU_DEP_1) | instskip(NEXT) | instid1(VALU_DEP_1)
	v_min_u32_e32 v1, 32, v1
	v_subrev_nc_u32_e32 v2, 28, v1
	s_delay_alu instid0(VALU_DEP_1) | instskip(NEXT) | instid1(VALU_DEP_1)
	v_lshlrev_b64_e32 v[2:3], v2, v[4:5]
	v_dual_sub_nc_u32 v1, 29, v1 :: v_dual_bitop2_b32 v24, 7, v2 bitop3:0x40
; %bb.22:                               ;   in Loop: Header=BB342_9 Depth=1
	s_or_b32 exec_lo, exec_lo, s20
	v_lshlrev_b32_e32 v2, 16, v0
	s_delay_alu instid0(VALU_DEP_2) | instskip(NEXT) | instid1(VALU_DEP_3)
	v_lshlrev_b32_e32 v3, 20, v24
	v_lshl_add_u32 v1, v1, 23, 0x3c000000
	s_delay_alu instid0(VALU_DEP_3) | instskip(NEXT) | instid1(VALU_DEP_1)
	v_and_b32_e32 v2, 0x80000000, v2
	v_or3_b32 v1, v3, v2, v1
	scratch_store_b32 off, v1, s32 offset:192 ; 4-byte Folded Spill
.LBB342_23:                             ;   in Loop: Header=BB342_9 Depth=1
	s_wait_xcnt 0x0
	s_or_b32 exec_lo, exec_lo, s19
.LBB342_24:                             ;   in Loop: Header=BB342_9 Depth=1
	s_delay_alu instid0(SALU_CYCLE_1)
	s_or_b32 exec_lo, exec_lo, s18
.LBB342_25:                             ;   in Loop: Header=BB342_9 Depth=1
	s_delay_alu instid0(SALU_CYCLE_1) | instskip(SKIP_2) | instid1(VALU_DEP_1)
	s_or_b32 exec_lo, exec_lo, s11
	v_dual_lshrrev_b32 v1, 16, v0 :: v_dual_mov_b32 v3, 0
	s_mov_b32 s11, exec_lo
	v_and_b32_e32 v2, 0xff, v1
	scratch_store_b32 off, v3, s32 offset:208 ; 4-byte Folded Spill
	s_wait_xcnt 0x0
	v_mov_b32_e32 v3, 0
	scratch_store_b32 off, v3, s32 offset:228 ; 4-byte Folded Spill
	s_wait_xcnt 0x0
	v_cmpx_ne_u16_e32 0, v2
	s_cbranch_execz .LBB342_33
; %bb.26:                               ;   in Loop: Header=BB342_9 Depth=1
	v_cmp_ne_u16_e64 s3, 0x80, v2
	v_bfrev_b32_e32 v2, 1
	s_and_saveexec_b32 s18, s3
	s_cbranch_execz .LBB342_32
; %bb.27:                               ;   in Loop: Header=BB342_9 Depth=1
	v_bfe_u32 v3, v0, 16, 7
	v_mov_b32_e32 v2, 0x7f800001
	s_mov_b32 s19, exec_lo
	s_delay_alu instid0(VALU_DEP_2)
	v_cmpx_ne_u32_e32 0x7f, v3
	s_cbranch_execz .LBB342_31
; %bb.28:                               ;   in Loop: Header=BB342_9 Depth=1
	v_dual_lshrrev_b32 v2, 3, v3 :: v_dual_bitop2_b32 v4, 7, v1 bitop3:0x40
	s_mov_b32 s20, exec_lo
	s_delay_alu instid0(VALU_DEP_1)
	v_mov_b64_e32 v[24:25], v[4:5]
	v_cmpx_gt_u32_e32 8, v3
; %bb.29:                               ;   in Loop: Header=BB342_9 Depth=1
	v_clz_i32_u32_e32 v2, v4
	s_delay_alu instid0(VALU_DEP_1) | instskip(NEXT) | instid1(VALU_DEP_1)
	v_min_u32_e32 v2, 32, v2
	v_subrev_nc_u32_e32 v3, 28, v2
	v_sub_nc_u32_e32 v2, 29, v2
	s_delay_alu instid0(VALU_DEP_2) | instskip(NEXT) | instid1(VALU_DEP_1)
	v_lshlrev_b64_e32 v[6:7], v3, v[4:5]
	v_and_b32_e32 v24, 7, v6
; %bb.30:                               ;   in Loop: Header=BB342_9 Depth=1
	s_or_b32 exec_lo, exec_lo, s20
	s_delay_alu instid0(VALU_DEP_1) | instskip(SKIP_1) | instid1(VALU_DEP_2)
	v_dual_lshlrev_b32 v1, 24, v1 :: v_dual_lshlrev_b32 v3, 20, v24
	v_lshl_add_u32 v2, v2, 23, 0x3c000000
	v_and_b32_e32 v1, 0x80000000, v1
	s_delay_alu instid0(VALU_DEP_1)
	v_or3_b32 v2, v3, v1, v2
.LBB342_31:                             ;   in Loop: Header=BB342_9 Depth=1
	s_or_b32 exec_lo, exec_lo, s19
.LBB342_32:                             ;   in Loop: Header=BB342_9 Depth=1
	s_delay_alu instid0(SALU_CYCLE_1)
	s_or_b32 exec_lo, exec_lo, s18
	scratch_store_b32 off, v2, s32 offset:228 ; 4-byte Folded Spill
.LBB342_33:                             ;   in Loop: Header=BB342_9 Depth=1
	s_wait_xcnt 0x0
	s_or_b32 exec_lo, exec_lo, s11
	s_delay_alu instid0(SALU_CYCLE_1)
	s_mov_b32 s11, exec_lo
	v_cmpx_lt_u32_e32 0xffffff, v0
	s_cbranch_execz .LBB342_41
; %bb.34:                               ;   in Loop: Header=BB342_9 Depth=1
	v_lshrrev_b32_e32 v1, 24, v0
	v_bfrev_b32_e32 v2, 1
	s_mov_b32 s18, exec_lo
	scratch_store_b32 off, v2, s32 offset:208 ; 4-byte Folded Spill
	s_wait_xcnt 0x0
	v_cmpx_ne_u32_e32 0x80, v1
	s_cbranch_execz .LBB342_40
; %bb.35:                               ;   in Loop: Header=BB342_9 Depth=1
	v_bfe_u32 v2, v0, 24, 7
	v_mov_b32_e32 v0, 0x7f800001
	s_mov_b32 s19, exec_lo
	s_delay_alu instid0(VALU_DEP_2)
	v_cmpx_ne_u32_e32 0x7f, v2
	s_cbranch_execz .LBB342_39
; %bb.36:                               ;   in Loop: Header=BB342_9 Depth=1
	v_dual_lshrrev_b32 v0, 3, v2 :: v_dual_bitop2_b32 v4, 7, v1 bitop3:0x40
	s_mov_b32 s20, exec_lo
	s_delay_alu instid0(VALU_DEP_1)
	v_mov_b64_e32 v[24:25], v[4:5]
	v_cmpx_gt_u32_e32 8, v2
; %bb.37:                               ;   in Loop: Header=BB342_9 Depth=1
	v_clz_i32_u32_e32 v0, v4
	s_delay_alu instid0(VALU_DEP_1) | instskip(NEXT) | instid1(VALU_DEP_1)
	v_min_u32_e32 v0, 32, v0
	v_subrev_nc_u32_e32 v2, 28, v0
	s_delay_alu instid0(VALU_DEP_1) | instskip(NEXT) | instid1(VALU_DEP_1)
	v_lshlrev_b64_e32 v[2:3], v2, v[4:5]
	v_dual_sub_nc_u32 v0, 29, v0 :: v_dual_bitop2_b32 v24, 7, v2 bitop3:0x40
; %bb.38:                               ;   in Loop: Header=BB342_9 Depth=1
	s_or_b32 exec_lo, exec_lo, s20
	s_delay_alu instid0(VALU_DEP_1) | instskip(NEXT) | instid1(VALU_DEP_2)
	v_dual_lshlrev_b32 v1, 24, v1 :: v_dual_lshlrev_b32 v2, 20, v24
	v_lshl_add_u32 v0, v0, 23, 0x3c000000
	s_delay_alu instid0(VALU_DEP_2) | instskip(NEXT) | instid1(VALU_DEP_1)
	v_and_b32_e32 v1, 0x80000000, v1
	v_or3_b32 v0, v2, v1, v0
.LBB342_39:                             ;   in Loop: Header=BB342_9 Depth=1
	s_or_b32 exec_lo, exec_lo, s19
	scratch_store_b32 off, v0, s32 offset:208 ; 4-byte Folded Spill
.LBB342_40:                             ;   in Loop: Header=BB342_9 Depth=1
	s_wait_xcnt 0x0
	s_or_b32 exec_lo, exec_lo, s18
.LBB342_41:                             ;   in Loop: Header=BB342_9 Depth=1
	s_delay_alu instid0(SALU_CYCLE_1)
	s_or_b32 exec_lo, exec_lo, s11
	flat_load_b32 v0, v[16:17] offset:8
	v_mov_b32_e32 v2, 0
	s_mov_b32 s11, exec_lo
	scratch_store_b32 off, v2, s32 offset:196 ; 4-byte Folded Spill
	s_wait_xcnt 0x0
	v_mov_b32_e32 v2, 0
	scratch_store_b32 off, v2, s32 offset:232 ; 4-byte Folded Spill
	s_wait_loadcnt_dscnt 0x0
	v_and_b32_e32 v1, 0xff, v0
	s_wait_xcnt 0x0
	s_delay_alu instid0(VALU_DEP_1)
	v_cmpx_ne_u16_e32 0, v1
	s_cbranch_execz .LBB342_49
; %bb.42:                               ;   in Loop: Header=BB342_9 Depth=1
	v_cmp_ne_u16_e64 s3, 0x80, v1
	v_bfrev_b32_e32 v1, 1
	s_and_saveexec_b32 s18, s3
	s_cbranch_execz .LBB342_48
; %bb.43:                               ;   in Loop: Header=BB342_9 Depth=1
	v_and_b32_e32 v2, 0x7f, v0
	v_mov_b32_e32 v1, 0x7f800001
	s_mov_b32 s19, exec_lo
	s_delay_alu instid0(VALU_DEP_2)
	v_cmpx_ne_u32_e32 0x7f, v2
	s_cbranch_execz .LBB342_47
; %bb.44:                               ;   in Loop: Header=BB342_9 Depth=1
	v_dual_lshrrev_b32 v1, 3, v2 :: v_dual_bitop2_b32 v4, 7, v0 bitop3:0x40
	s_mov_b32 s20, exec_lo
	s_delay_alu instid0(VALU_DEP_1)
	v_mov_b64_e32 v[24:25], v[4:5]
	v_cmpx_gt_u32_e32 8, v2
; %bb.45:                               ;   in Loop: Header=BB342_9 Depth=1
	v_clz_i32_u32_e32 v1, v4
	s_delay_alu instid0(VALU_DEP_1) | instskip(NEXT) | instid1(VALU_DEP_1)
	v_min_u32_e32 v1, 32, v1
	v_subrev_nc_u32_e32 v2, 28, v1
	s_delay_alu instid0(VALU_DEP_1) | instskip(NEXT) | instid1(VALU_DEP_1)
	v_lshlrev_b64_e32 v[2:3], v2, v[4:5]
	v_dual_sub_nc_u32 v1, 29, v1 :: v_dual_bitop2_b32 v24, 7, v2 bitop3:0x40
; %bb.46:                               ;   in Loop: Header=BB342_9 Depth=1
	s_or_b32 exec_lo, exec_lo, s20
	v_lshlrev_b32_e32 v2, 24, v0
	s_delay_alu instid0(VALU_DEP_2) | instskip(NEXT) | instid1(VALU_DEP_3)
	v_lshlrev_b32_e32 v3, 20, v24
	v_lshl_add_u32 v1, v1, 23, 0x3c000000
	s_delay_alu instid0(VALU_DEP_3) | instskip(NEXT) | instid1(VALU_DEP_1)
	v_and_b32_e32 v2, 0x80000000, v2
	v_or3_b32 v1, v3, v2, v1
.LBB342_47:                             ;   in Loop: Header=BB342_9 Depth=1
	s_or_b32 exec_lo, exec_lo, s19
.LBB342_48:                             ;   in Loop: Header=BB342_9 Depth=1
	s_delay_alu instid0(SALU_CYCLE_1)
	s_or_b32 exec_lo, exec_lo, s18
	scratch_store_b32 off, v1, s32 offset:232 ; 4-byte Folded Spill
.LBB342_49:                             ;   in Loop: Header=BB342_9 Depth=1
	s_wait_xcnt 0x0
	s_or_b32 exec_lo, exec_lo, s11
	v_lshrrev_b16 v1, 8, v0
	s_mov_b32 s11, exec_lo
	s_delay_alu instid0(VALU_DEP_1)
	v_cmpx_ne_u16_e32 0, v1
	s_cbranch_execz .LBB342_57
; %bb.50:                               ;   in Loop: Header=BB342_9 Depth=1
	v_bfrev_b32_e32 v2, 1
	s_mov_b32 s18, exec_lo
	scratch_store_b32 off, v2, s32 offset:196 ; 4-byte Folded Spill
	s_wait_xcnt 0x0
	v_cmpx_ne_u16_e32 0x80, v1
	s_cbranch_execz .LBB342_56
; %bb.51:                               ;   in Loop: Header=BB342_9 Depth=1
	v_and_b32_e32 v1, 0xffff, v1
	v_mov_b32_e32 v3, 0x7f800001
	s_mov_b32 s19, exec_lo
	s_delay_alu instid0(VALU_DEP_2)
	v_and_b32_e32 v2, 0x7f, v1
	scratch_store_b32 off, v3, s32 offset:196 ; 4-byte Folded Spill
	s_wait_xcnt 0x0
	v_cmpx_ne_u32_e32 0x7f, v2
	s_cbranch_execz .LBB342_55
; %bb.52:                               ;   in Loop: Header=BB342_9 Depth=1
	v_dual_lshrrev_b32 v1, 3, v2 :: v_dual_bitop2_b32 v4, 7, v1 bitop3:0x40
	s_mov_b32 s20, exec_lo
	s_delay_alu instid0(VALU_DEP_1)
	v_mov_b64_e32 v[24:25], v[4:5]
	v_cmpx_gt_u32_e32 8, v2
; %bb.53:                               ;   in Loop: Header=BB342_9 Depth=1
	v_clz_i32_u32_e32 v1, v4
	s_delay_alu instid0(VALU_DEP_1) | instskip(NEXT) | instid1(VALU_DEP_1)
	v_min_u32_e32 v1, 32, v1
	v_subrev_nc_u32_e32 v2, 28, v1
	s_delay_alu instid0(VALU_DEP_1) | instskip(NEXT) | instid1(VALU_DEP_1)
	v_lshlrev_b64_e32 v[2:3], v2, v[4:5]
	v_dual_sub_nc_u32 v1, 29, v1 :: v_dual_bitop2_b32 v24, 7, v2 bitop3:0x40
; %bb.54:                               ;   in Loop: Header=BB342_9 Depth=1
	s_or_b32 exec_lo, exec_lo, s20
	v_lshlrev_b32_e32 v2, 16, v0
	s_delay_alu instid0(VALU_DEP_2) | instskip(NEXT) | instid1(VALU_DEP_3)
	v_lshlrev_b32_e32 v3, 20, v24
	v_lshl_add_u32 v1, v1, 23, 0x3c000000
	s_delay_alu instid0(VALU_DEP_3) | instskip(NEXT) | instid1(VALU_DEP_1)
	v_and_b32_e32 v2, 0x80000000, v2
	v_or3_b32 v1, v3, v2, v1
	scratch_store_b32 off, v1, s32 offset:196 ; 4-byte Folded Spill
.LBB342_55:                             ;   in Loop: Header=BB342_9 Depth=1
	s_wait_xcnt 0x0
	s_or_b32 exec_lo, exec_lo, s19
.LBB342_56:                             ;   in Loop: Header=BB342_9 Depth=1
	s_delay_alu instid0(SALU_CYCLE_1)
	s_or_b32 exec_lo, exec_lo, s18
.LBB342_57:                             ;   in Loop: Header=BB342_9 Depth=1
	s_delay_alu instid0(SALU_CYCLE_1) | instskip(SKIP_2) | instid1(VALU_DEP_1)
	s_or_b32 exec_lo, exec_lo, s11
	v_dual_lshrrev_b32 v1, 16, v0 :: v_dual_mov_b32 v3, 0
	s_mov_b32 s11, exec_lo
	v_and_b32_e32 v2, 0xff, v1
	scratch_store_b32 off, v3, s32 offset:212 ; 4-byte Folded Spill
	s_wait_xcnt 0x0
	v_mov_b32_e32 v3, 0
	scratch_store_b32 off, v3, s32 offset:236 ; 4-byte Folded Spill
	s_wait_xcnt 0x0
	v_cmpx_ne_u16_e32 0, v2
	s_cbranch_execz .LBB342_65
; %bb.58:                               ;   in Loop: Header=BB342_9 Depth=1
	v_cmp_ne_u16_e64 s3, 0x80, v2
	v_bfrev_b32_e32 v2, 1
	s_and_saveexec_b32 s18, s3
	s_cbranch_execz .LBB342_64
; %bb.59:                               ;   in Loop: Header=BB342_9 Depth=1
	v_bfe_u32 v3, v0, 16, 7
	v_mov_b32_e32 v2, 0x7f800001
	s_mov_b32 s19, exec_lo
	s_delay_alu instid0(VALU_DEP_2)
	v_cmpx_ne_u32_e32 0x7f, v3
	s_cbranch_execz .LBB342_63
; %bb.60:                               ;   in Loop: Header=BB342_9 Depth=1
	v_dual_lshrrev_b32 v2, 3, v3 :: v_dual_bitop2_b32 v4, 7, v1 bitop3:0x40
	s_mov_b32 s20, exec_lo
	s_delay_alu instid0(VALU_DEP_1)
	v_mov_b64_e32 v[24:25], v[4:5]
	v_cmpx_gt_u32_e32 8, v3
; %bb.61:                               ;   in Loop: Header=BB342_9 Depth=1
	v_clz_i32_u32_e32 v2, v4
	s_delay_alu instid0(VALU_DEP_1) | instskip(NEXT) | instid1(VALU_DEP_1)
	v_min_u32_e32 v2, 32, v2
	v_subrev_nc_u32_e32 v3, 28, v2
	v_sub_nc_u32_e32 v2, 29, v2
	s_delay_alu instid0(VALU_DEP_2) | instskip(NEXT) | instid1(VALU_DEP_1)
	v_lshlrev_b64_e32 v[6:7], v3, v[4:5]
	v_and_b32_e32 v24, 7, v6
; %bb.62:                               ;   in Loop: Header=BB342_9 Depth=1
	s_or_b32 exec_lo, exec_lo, s20
	s_delay_alu instid0(VALU_DEP_1) | instskip(SKIP_1) | instid1(VALU_DEP_2)
	v_dual_lshlrev_b32 v1, 24, v1 :: v_dual_lshlrev_b32 v3, 20, v24
	v_lshl_add_u32 v2, v2, 23, 0x3c000000
	v_and_b32_e32 v1, 0x80000000, v1
	s_delay_alu instid0(VALU_DEP_1)
	v_or3_b32 v2, v3, v1, v2
.LBB342_63:                             ;   in Loop: Header=BB342_9 Depth=1
	s_or_b32 exec_lo, exec_lo, s19
.LBB342_64:                             ;   in Loop: Header=BB342_9 Depth=1
	s_delay_alu instid0(SALU_CYCLE_1)
	s_or_b32 exec_lo, exec_lo, s18
	scratch_store_b32 off, v2, s32 offset:236 ; 4-byte Folded Spill
.LBB342_65:                             ;   in Loop: Header=BB342_9 Depth=1
	s_wait_xcnt 0x0
	s_or_b32 exec_lo, exec_lo, s11
	s_delay_alu instid0(SALU_CYCLE_1)
	s_mov_b32 s11, exec_lo
	v_cmpx_lt_u32_e32 0xffffff, v0
	s_cbranch_execz .LBB342_73
; %bb.66:                               ;   in Loop: Header=BB342_9 Depth=1
	v_lshrrev_b32_e32 v1, 24, v0
	v_bfrev_b32_e32 v2, 1
	s_mov_b32 s18, exec_lo
	scratch_store_b32 off, v2, s32 offset:212 ; 4-byte Folded Spill
	s_wait_xcnt 0x0
	v_cmpx_ne_u32_e32 0x80, v1
	s_cbranch_execz .LBB342_72
; %bb.67:                               ;   in Loop: Header=BB342_9 Depth=1
	v_bfe_u32 v2, v0, 24, 7
	v_mov_b32_e32 v0, 0x7f800001
	s_mov_b32 s19, exec_lo
	s_delay_alu instid0(VALU_DEP_2)
	v_cmpx_ne_u32_e32 0x7f, v2
	s_cbranch_execz .LBB342_71
; %bb.68:                               ;   in Loop: Header=BB342_9 Depth=1
	v_dual_lshrrev_b32 v0, 3, v2 :: v_dual_bitop2_b32 v4, 7, v1 bitop3:0x40
	s_mov_b32 s20, exec_lo
	s_delay_alu instid0(VALU_DEP_1)
	v_mov_b64_e32 v[24:25], v[4:5]
	v_cmpx_gt_u32_e32 8, v2
; %bb.69:                               ;   in Loop: Header=BB342_9 Depth=1
	v_clz_i32_u32_e32 v0, v4
	s_delay_alu instid0(VALU_DEP_1) | instskip(NEXT) | instid1(VALU_DEP_1)
	v_min_u32_e32 v0, 32, v0
	v_subrev_nc_u32_e32 v2, 28, v0
	s_delay_alu instid0(VALU_DEP_1) | instskip(NEXT) | instid1(VALU_DEP_1)
	v_lshlrev_b64_e32 v[2:3], v2, v[4:5]
	v_dual_sub_nc_u32 v0, 29, v0 :: v_dual_bitop2_b32 v24, 7, v2 bitop3:0x40
; %bb.70:                               ;   in Loop: Header=BB342_9 Depth=1
	s_or_b32 exec_lo, exec_lo, s20
	s_delay_alu instid0(VALU_DEP_1) | instskip(NEXT) | instid1(VALU_DEP_2)
	v_dual_lshlrev_b32 v1, 24, v1 :: v_dual_lshlrev_b32 v2, 20, v24
	v_lshl_add_u32 v0, v0, 23, 0x3c000000
	s_delay_alu instid0(VALU_DEP_2) | instskip(NEXT) | instid1(VALU_DEP_1)
	v_and_b32_e32 v1, 0x80000000, v1
	v_or3_b32 v0, v2, v1, v0
.LBB342_71:                             ;   in Loop: Header=BB342_9 Depth=1
	s_or_b32 exec_lo, exec_lo, s19
	scratch_store_b32 off, v0, s32 offset:212 ; 4-byte Folded Spill
.LBB342_72:                             ;   in Loop: Header=BB342_9 Depth=1
	s_wait_xcnt 0x0
	s_or_b32 exec_lo, exec_lo, s18
.LBB342_73:                             ;   in Loop: Header=BB342_9 Depth=1
	s_delay_alu instid0(SALU_CYCLE_1)
	s_or_b32 exec_lo, exec_lo, s11
	flat_load_b32 v0, v[16:17] offset:256
	v_mov_b32_e32 v2, 0
	s_mov_b32 s11, exec_lo
	scratch_store_b32 off, v2, s32 offset:200 ; 4-byte Folded Spill
	s_wait_xcnt 0x0
	v_mov_b32_e32 v2, 0
	scratch_store_b32 off, v2, s32 offset:240 ; 4-byte Folded Spill
	s_wait_loadcnt_dscnt 0x0
	v_and_b32_e32 v1, 0xff, v0
	s_wait_xcnt 0x0
	s_delay_alu instid0(VALU_DEP_1)
	v_cmpx_ne_u16_e32 0, v1
	s_cbranch_execz .LBB342_81
; %bb.74:                               ;   in Loop: Header=BB342_9 Depth=1
	v_cmp_ne_u16_e64 s3, 0x80, v1
	v_bfrev_b32_e32 v1, 1
	s_and_saveexec_b32 s18, s3
	s_cbranch_execz .LBB342_80
; %bb.75:                               ;   in Loop: Header=BB342_9 Depth=1
	v_and_b32_e32 v2, 0x7f, v0
	v_mov_b32_e32 v1, 0x7f800001
	s_mov_b32 s19, exec_lo
	s_delay_alu instid0(VALU_DEP_2)
	v_cmpx_ne_u32_e32 0x7f, v2
	s_cbranch_execz .LBB342_79
; %bb.76:                               ;   in Loop: Header=BB342_9 Depth=1
	v_dual_lshrrev_b32 v1, 3, v2 :: v_dual_bitop2_b32 v4, 7, v0 bitop3:0x40
	s_mov_b32 s20, exec_lo
	s_delay_alu instid0(VALU_DEP_1)
	v_mov_b64_e32 v[24:25], v[4:5]
	v_cmpx_gt_u32_e32 8, v2
; %bb.77:                               ;   in Loop: Header=BB342_9 Depth=1
	v_clz_i32_u32_e32 v1, v4
	s_delay_alu instid0(VALU_DEP_1) | instskip(NEXT) | instid1(VALU_DEP_1)
	v_min_u32_e32 v1, 32, v1
	v_subrev_nc_u32_e32 v2, 28, v1
	s_delay_alu instid0(VALU_DEP_1) | instskip(NEXT) | instid1(VALU_DEP_1)
	v_lshlrev_b64_e32 v[2:3], v2, v[4:5]
	v_dual_sub_nc_u32 v1, 29, v1 :: v_dual_bitop2_b32 v24, 7, v2 bitop3:0x40
; %bb.78:                               ;   in Loop: Header=BB342_9 Depth=1
	s_or_b32 exec_lo, exec_lo, s20
	v_lshlrev_b32_e32 v2, 24, v0
	s_delay_alu instid0(VALU_DEP_2) | instskip(NEXT) | instid1(VALU_DEP_3)
	v_lshlrev_b32_e32 v3, 20, v24
	v_lshl_add_u32 v1, v1, 23, 0x3c000000
	s_delay_alu instid0(VALU_DEP_3) | instskip(NEXT) | instid1(VALU_DEP_1)
	v_and_b32_e32 v2, 0x80000000, v2
	v_or3_b32 v1, v3, v2, v1
.LBB342_79:                             ;   in Loop: Header=BB342_9 Depth=1
	s_or_b32 exec_lo, exec_lo, s19
.LBB342_80:                             ;   in Loop: Header=BB342_9 Depth=1
	s_delay_alu instid0(SALU_CYCLE_1)
	s_or_b32 exec_lo, exec_lo, s18
	scratch_store_b32 off, v1, s32 offset:240 ; 4-byte Folded Spill
.LBB342_81:                             ;   in Loop: Header=BB342_9 Depth=1
	s_wait_xcnt 0x0
	s_or_b32 exec_lo, exec_lo, s11
	v_lshrrev_b16 v1, 8, v0
	s_mov_b32 s11, exec_lo
	s_delay_alu instid0(VALU_DEP_1)
	v_cmpx_ne_u16_e32 0, v1
	s_cbranch_execz .LBB342_89
; %bb.82:                               ;   in Loop: Header=BB342_9 Depth=1
	v_bfrev_b32_e32 v2, 1
	s_mov_b32 s18, exec_lo
	scratch_store_b32 off, v2, s32 offset:200 ; 4-byte Folded Spill
	s_wait_xcnt 0x0
	v_cmpx_ne_u16_e32 0x80, v1
	s_cbranch_execz .LBB342_88
; %bb.83:                               ;   in Loop: Header=BB342_9 Depth=1
	v_and_b32_e32 v1, 0xffff, v1
	v_mov_b32_e32 v3, 0x7f800001
	s_mov_b32 s19, exec_lo
	s_delay_alu instid0(VALU_DEP_2)
	v_and_b32_e32 v2, 0x7f, v1
	scratch_store_b32 off, v3, s32 offset:200 ; 4-byte Folded Spill
	s_wait_xcnt 0x0
	v_cmpx_ne_u32_e32 0x7f, v2
	s_cbranch_execz .LBB342_87
; %bb.84:                               ;   in Loop: Header=BB342_9 Depth=1
	v_dual_lshrrev_b32 v1, 3, v2 :: v_dual_bitop2_b32 v4, 7, v1 bitop3:0x40
	s_mov_b32 s20, exec_lo
	s_delay_alu instid0(VALU_DEP_1)
	v_mov_b64_e32 v[24:25], v[4:5]
	v_cmpx_gt_u32_e32 8, v2
; %bb.85:                               ;   in Loop: Header=BB342_9 Depth=1
	v_clz_i32_u32_e32 v1, v4
	s_delay_alu instid0(VALU_DEP_1) | instskip(NEXT) | instid1(VALU_DEP_1)
	v_min_u32_e32 v1, 32, v1
	v_subrev_nc_u32_e32 v2, 28, v1
	s_delay_alu instid0(VALU_DEP_1) | instskip(NEXT) | instid1(VALU_DEP_1)
	v_lshlrev_b64_e32 v[2:3], v2, v[4:5]
	v_dual_sub_nc_u32 v1, 29, v1 :: v_dual_bitop2_b32 v24, 7, v2 bitop3:0x40
; %bb.86:                               ;   in Loop: Header=BB342_9 Depth=1
	s_or_b32 exec_lo, exec_lo, s20
	v_lshlrev_b32_e32 v2, 16, v0
	s_delay_alu instid0(VALU_DEP_2) | instskip(NEXT) | instid1(VALU_DEP_3)
	v_lshlrev_b32_e32 v3, 20, v24
	v_lshl_add_u32 v1, v1, 23, 0x3c000000
	s_delay_alu instid0(VALU_DEP_3) | instskip(NEXT) | instid1(VALU_DEP_1)
	v_and_b32_e32 v2, 0x80000000, v2
	v_or3_b32 v1, v3, v2, v1
	scratch_store_b32 off, v1, s32 offset:200 ; 4-byte Folded Spill
.LBB342_87:                             ;   in Loop: Header=BB342_9 Depth=1
	s_wait_xcnt 0x0
	s_or_b32 exec_lo, exec_lo, s19
.LBB342_88:                             ;   in Loop: Header=BB342_9 Depth=1
	s_delay_alu instid0(SALU_CYCLE_1)
	s_or_b32 exec_lo, exec_lo, s18
.LBB342_89:                             ;   in Loop: Header=BB342_9 Depth=1
	s_delay_alu instid0(SALU_CYCLE_1) | instskip(SKIP_2) | instid1(VALU_DEP_1)
	s_or_b32 exec_lo, exec_lo, s11
	v_dual_lshrrev_b32 v1, 16, v0 :: v_dual_mov_b32 v3, 0
	s_mov_b32 s11, exec_lo
	v_and_b32_e32 v2, 0xff, v1
	scratch_store_b32 off, v3, s32 offset:216 ; 4-byte Folded Spill
	s_wait_xcnt 0x0
	v_mov_b32_e32 v3, 0
	scratch_store_b32 off, v3, s32 offset:244 ; 4-byte Folded Spill
	s_wait_xcnt 0x0
	v_cmpx_ne_u16_e32 0, v2
	s_cbranch_execz .LBB342_97
; %bb.90:                               ;   in Loop: Header=BB342_9 Depth=1
	v_cmp_ne_u16_e64 s3, 0x80, v2
	v_bfrev_b32_e32 v2, 1
	s_and_saveexec_b32 s18, s3
	s_cbranch_execz .LBB342_96
; %bb.91:                               ;   in Loop: Header=BB342_9 Depth=1
	v_bfe_u32 v3, v0, 16, 7
	v_mov_b32_e32 v2, 0x7f800001
	s_mov_b32 s19, exec_lo
	s_delay_alu instid0(VALU_DEP_2)
	v_cmpx_ne_u32_e32 0x7f, v3
	s_cbranch_execz .LBB342_95
; %bb.92:                               ;   in Loop: Header=BB342_9 Depth=1
	v_dual_lshrrev_b32 v2, 3, v3 :: v_dual_bitop2_b32 v4, 7, v1 bitop3:0x40
	s_mov_b32 s20, exec_lo
	s_delay_alu instid0(VALU_DEP_1)
	v_mov_b64_e32 v[24:25], v[4:5]
	v_cmpx_gt_u32_e32 8, v3
; %bb.93:                               ;   in Loop: Header=BB342_9 Depth=1
	v_clz_i32_u32_e32 v2, v4
	s_delay_alu instid0(VALU_DEP_1) | instskip(NEXT) | instid1(VALU_DEP_1)
	v_min_u32_e32 v2, 32, v2
	v_subrev_nc_u32_e32 v3, 28, v2
	v_sub_nc_u32_e32 v2, 29, v2
	s_delay_alu instid0(VALU_DEP_2) | instskip(NEXT) | instid1(VALU_DEP_1)
	v_lshlrev_b64_e32 v[6:7], v3, v[4:5]
	v_and_b32_e32 v24, 7, v6
; %bb.94:                               ;   in Loop: Header=BB342_9 Depth=1
	s_or_b32 exec_lo, exec_lo, s20
	s_delay_alu instid0(VALU_DEP_1) | instskip(SKIP_1) | instid1(VALU_DEP_2)
	v_dual_lshlrev_b32 v1, 24, v1 :: v_dual_lshlrev_b32 v3, 20, v24
	v_lshl_add_u32 v2, v2, 23, 0x3c000000
	v_and_b32_e32 v1, 0x80000000, v1
	s_delay_alu instid0(VALU_DEP_1)
	v_or3_b32 v2, v3, v1, v2
.LBB342_95:                             ;   in Loop: Header=BB342_9 Depth=1
	s_or_b32 exec_lo, exec_lo, s19
.LBB342_96:                             ;   in Loop: Header=BB342_9 Depth=1
	s_delay_alu instid0(SALU_CYCLE_1)
	s_or_b32 exec_lo, exec_lo, s18
	scratch_store_b32 off, v2, s32 offset:244 ; 4-byte Folded Spill
.LBB342_97:                             ;   in Loop: Header=BB342_9 Depth=1
	s_wait_xcnt 0x0
	s_or_b32 exec_lo, exec_lo, s11
	s_delay_alu instid0(SALU_CYCLE_1)
	s_mov_b32 s11, exec_lo
	v_cmpx_lt_u32_e32 0xffffff, v0
	s_cbranch_execz .LBB342_105
; %bb.98:                               ;   in Loop: Header=BB342_9 Depth=1
	v_lshrrev_b32_e32 v1, 24, v0
	v_bfrev_b32_e32 v2, 1
	s_mov_b32 s18, exec_lo
	scratch_store_b32 off, v2, s32 offset:216 ; 4-byte Folded Spill
	s_wait_xcnt 0x0
	v_cmpx_ne_u32_e32 0x80, v1
	s_cbranch_execz .LBB342_104
; %bb.99:                               ;   in Loop: Header=BB342_9 Depth=1
	v_bfe_u32 v2, v0, 24, 7
	v_mov_b32_e32 v0, 0x7f800001
	s_mov_b32 s19, exec_lo
	s_delay_alu instid0(VALU_DEP_2)
	v_cmpx_ne_u32_e32 0x7f, v2
	s_cbranch_execz .LBB342_103
; %bb.100:                              ;   in Loop: Header=BB342_9 Depth=1
	v_dual_lshrrev_b32 v0, 3, v2 :: v_dual_bitop2_b32 v4, 7, v1 bitop3:0x40
	s_mov_b32 s20, exec_lo
	s_delay_alu instid0(VALU_DEP_1)
	v_mov_b64_e32 v[24:25], v[4:5]
	v_cmpx_gt_u32_e32 8, v2
; %bb.101:                              ;   in Loop: Header=BB342_9 Depth=1
	v_clz_i32_u32_e32 v0, v4
	s_delay_alu instid0(VALU_DEP_1) | instskip(NEXT) | instid1(VALU_DEP_1)
	v_min_u32_e32 v0, 32, v0
	v_subrev_nc_u32_e32 v2, 28, v0
	s_delay_alu instid0(VALU_DEP_1) | instskip(NEXT) | instid1(VALU_DEP_1)
	v_lshlrev_b64_e32 v[2:3], v2, v[4:5]
	v_dual_sub_nc_u32 v0, 29, v0 :: v_dual_bitop2_b32 v24, 7, v2 bitop3:0x40
; %bb.102:                              ;   in Loop: Header=BB342_9 Depth=1
	s_or_b32 exec_lo, exec_lo, s20
	s_delay_alu instid0(VALU_DEP_1) | instskip(NEXT) | instid1(VALU_DEP_2)
	v_dual_lshlrev_b32 v1, 24, v1 :: v_dual_lshlrev_b32 v2, 20, v24
	v_lshl_add_u32 v0, v0, 23, 0x3c000000
	s_delay_alu instid0(VALU_DEP_2) | instskip(NEXT) | instid1(VALU_DEP_1)
	v_and_b32_e32 v1, 0x80000000, v1
	v_or3_b32 v0, v2, v1, v0
.LBB342_103:                            ;   in Loop: Header=BB342_9 Depth=1
	s_or_b32 exec_lo, exec_lo, s19
	scratch_store_b32 off, v0, s32 offset:216 ; 4-byte Folded Spill
.LBB342_104:                            ;   in Loop: Header=BB342_9 Depth=1
	s_wait_xcnt 0x0
	s_or_b32 exec_lo, exec_lo, s18
.LBB342_105:                            ;   in Loop: Header=BB342_9 Depth=1
	s_delay_alu instid0(SALU_CYCLE_1)
	s_or_b32 exec_lo, exec_lo, s11
	flat_load_b32 v0, v[16:17] offset:264
	v_mov_b32_e32 v2, 0
	s_mov_b32 s11, exec_lo
	scratch_store_b32 off, v2, s32 offset:204 ; 4-byte Folded Spill
	s_wait_xcnt 0x0
	v_mov_b32_e32 v2, 0
	scratch_store_b32 off, v2, s32 offset:248 ; 4-byte Folded Spill
	s_wait_loadcnt_dscnt 0x0
	v_and_b32_e32 v1, 0xff, v0
	s_wait_xcnt 0x0
	s_delay_alu instid0(VALU_DEP_1)
	v_cmpx_ne_u16_e32 0, v1
	s_cbranch_execz .LBB342_113
; %bb.106:                              ;   in Loop: Header=BB342_9 Depth=1
	v_cmp_ne_u16_e64 s3, 0x80, v1
	v_bfrev_b32_e32 v1, 1
	s_and_saveexec_b32 s18, s3
	s_cbranch_execz .LBB342_112
; %bb.107:                              ;   in Loop: Header=BB342_9 Depth=1
	v_and_b32_e32 v2, 0x7f, v0
	v_mov_b32_e32 v1, 0x7f800001
	s_mov_b32 s19, exec_lo
	s_delay_alu instid0(VALU_DEP_2)
	v_cmpx_ne_u32_e32 0x7f, v2
	s_cbranch_execz .LBB342_111
; %bb.108:                              ;   in Loop: Header=BB342_9 Depth=1
	v_dual_lshrrev_b32 v1, 3, v2 :: v_dual_bitop2_b32 v4, 7, v0 bitop3:0x40
	s_mov_b32 s20, exec_lo
	s_delay_alu instid0(VALU_DEP_1)
	v_mov_b64_e32 v[24:25], v[4:5]
	v_cmpx_gt_u32_e32 8, v2
; %bb.109:                              ;   in Loop: Header=BB342_9 Depth=1
	v_clz_i32_u32_e32 v1, v4
	s_delay_alu instid0(VALU_DEP_1) | instskip(NEXT) | instid1(VALU_DEP_1)
	v_min_u32_e32 v1, 32, v1
	v_subrev_nc_u32_e32 v2, 28, v1
	s_delay_alu instid0(VALU_DEP_1) | instskip(NEXT) | instid1(VALU_DEP_1)
	v_lshlrev_b64_e32 v[2:3], v2, v[4:5]
	v_dual_sub_nc_u32 v1, 29, v1 :: v_dual_bitop2_b32 v24, 7, v2 bitop3:0x40
; %bb.110:                              ;   in Loop: Header=BB342_9 Depth=1
	s_or_b32 exec_lo, exec_lo, s20
	v_lshlrev_b32_e32 v2, 24, v0
	s_delay_alu instid0(VALU_DEP_2) | instskip(NEXT) | instid1(VALU_DEP_3)
	v_lshlrev_b32_e32 v3, 20, v24
	v_lshl_add_u32 v1, v1, 23, 0x3c000000
	s_delay_alu instid0(VALU_DEP_3) | instskip(NEXT) | instid1(VALU_DEP_1)
	v_and_b32_e32 v2, 0x80000000, v2
	v_or3_b32 v1, v3, v2, v1
.LBB342_111:                            ;   in Loop: Header=BB342_9 Depth=1
	s_or_b32 exec_lo, exec_lo, s19
.LBB342_112:                            ;   in Loop: Header=BB342_9 Depth=1
	s_delay_alu instid0(SALU_CYCLE_1)
	s_or_b32 exec_lo, exec_lo, s18
	scratch_store_b32 off, v1, s32 offset:248 ; 4-byte Folded Spill
.LBB342_113:                            ;   in Loop: Header=BB342_9 Depth=1
	s_wait_xcnt 0x0
	s_or_b32 exec_lo, exec_lo, s11
	v_lshrrev_b16 v1, 8, v0
	s_mov_b32 s11, exec_lo
	s_delay_alu instid0(VALU_DEP_1)
	v_cmpx_ne_u16_e32 0, v1
	s_cbranch_execz .LBB342_121
; %bb.114:                              ;   in Loop: Header=BB342_9 Depth=1
	v_bfrev_b32_e32 v2, 1
	s_mov_b32 s18, exec_lo
	scratch_store_b32 off, v2, s32 offset:204 ; 4-byte Folded Spill
	s_wait_xcnt 0x0
	v_cmpx_ne_u16_e32 0x80, v1
	s_cbranch_execz .LBB342_120
; %bb.115:                              ;   in Loop: Header=BB342_9 Depth=1
	v_and_b32_e32 v1, 0xffff, v1
	v_mov_b32_e32 v3, 0x7f800001
	s_mov_b32 s19, exec_lo
	s_delay_alu instid0(VALU_DEP_2)
	v_and_b32_e32 v2, 0x7f, v1
	scratch_store_b32 off, v3, s32 offset:204 ; 4-byte Folded Spill
	s_wait_xcnt 0x0
	v_cmpx_ne_u32_e32 0x7f, v2
	s_cbranch_execz .LBB342_119
; %bb.116:                              ;   in Loop: Header=BB342_9 Depth=1
	v_dual_lshrrev_b32 v1, 3, v2 :: v_dual_bitop2_b32 v4, 7, v1 bitop3:0x40
	s_mov_b32 s20, exec_lo
	s_delay_alu instid0(VALU_DEP_1)
	v_mov_b64_e32 v[24:25], v[4:5]
	v_cmpx_gt_u32_e32 8, v2
; %bb.117:                              ;   in Loop: Header=BB342_9 Depth=1
	v_clz_i32_u32_e32 v1, v4
	s_delay_alu instid0(VALU_DEP_1) | instskip(NEXT) | instid1(VALU_DEP_1)
	v_min_u32_e32 v1, 32, v1
	v_subrev_nc_u32_e32 v2, 28, v1
	s_delay_alu instid0(VALU_DEP_1) | instskip(NEXT) | instid1(VALU_DEP_1)
	v_lshlrev_b64_e32 v[2:3], v2, v[4:5]
	v_dual_sub_nc_u32 v1, 29, v1 :: v_dual_bitop2_b32 v24, 7, v2 bitop3:0x40
; %bb.118:                              ;   in Loop: Header=BB342_9 Depth=1
	s_or_b32 exec_lo, exec_lo, s20
	v_lshlrev_b32_e32 v2, 16, v0
	s_delay_alu instid0(VALU_DEP_2) | instskip(NEXT) | instid1(VALU_DEP_3)
	v_lshlrev_b32_e32 v3, 20, v24
	v_lshl_add_u32 v1, v1, 23, 0x3c000000
	s_delay_alu instid0(VALU_DEP_3) | instskip(NEXT) | instid1(VALU_DEP_1)
	v_and_b32_e32 v2, 0x80000000, v2
	v_or3_b32 v1, v3, v2, v1
	scratch_store_b32 off, v1, s32 offset:204 ; 4-byte Folded Spill
.LBB342_119:                            ;   in Loop: Header=BB342_9 Depth=1
	s_wait_xcnt 0x0
	s_or_b32 exec_lo, exec_lo, s19
.LBB342_120:                            ;   in Loop: Header=BB342_9 Depth=1
	s_delay_alu instid0(SALU_CYCLE_1)
	s_or_b32 exec_lo, exec_lo, s18
.LBB342_121:                            ;   in Loop: Header=BB342_9 Depth=1
	s_delay_alu instid0(SALU_CYCLE_1) | instskip(SKIP_3) | instid1(VALU_DEP_2)
	s_or_b32 exec_lo, exec_lo, s11
	v_dual_lshrrev_b32 v1, 16, v0 :: v_dual_mov_b32 v3, 0
	v_mov_b32_e32 v103, 0
	s_mov_b32 s11, exec_lo
	v_and_b32_e32 v2, 0xff, v1
	scratch_store_b32 off, v3, s32 offset:220 ; 4-byte Folded Spill
	s_wait_xcnt 0x0
	v_cmpx_ne_u16_e32 0, v2
	s_cbranch_execz .LBB342_129
; %bb.122:                              ;   in Loop: Header=BB342_9 Depth=1
	v_bfrev_b32_e32 v103, 1
	s_mov_b32 s18, exec_lo
	v_cmpx_ne_u16_e32 0x80, v2
	s_cbranch_execz .LBB342_128
; %bb.123:                              ;   in Loop: Header=BB342_9 Depth=1
	v_bfe_u32 v3, v0, 16, 7
	v_mov_b32_e32 v103, 0x7f800001
	s_mov_b32 s19, exec_lo
	s_delay_alu instid0(VALU_DEP_2)
	v_cmpx_ne_u32_e32 0x7f, v3
	s_cbranch_execz .LBB342_127
; %bb.124:                              ;   in Loop: Header=BB342_9 Depth=1
	v_dual_lshrrev_b32 v2, 3, v3 :: v_dual_bitop2_b32 v4, 7, v1 bitop3:0x40
	s_mov_b32 s20, exec_lo
	s_delay_alu instid0(VALU_DEP_1)
	v_mov_b64_e32 v[24:25], v[4:5]
	v_cmpx_gt_u32_e32 8, v3
; %bb.125:                              ;   in Loop: Header=BB342_9 Depth=1
	v_clz_i32_u32_e32 v2, v4
	s_delay_alu instid0(VALU_DEP_1) | instskip(NEXT) | instid1(VALU_DEP_1)
	v_min_u32_e32 v2, 32, v2
	v_subrev_nc_u32_e32 v3, 28, v2
	v_sub_nc_u32_e32 v2, 29, v2
	s_delay_alu instid0(VALU_DEP_2) | instskip(NEXT) | instid1(VALU_DEP_1)
	v_lshlrev_b64_e32 v[6:7], v3, v[4:5]
	v_and_b32_e32 v24, 7, v6
; %bb.126:                              ;   in Loop: Header=BB342_9 Depth=1
	s_or_b32 exec_lo, exec_lo, s20
	s_delay_alu instid0(VALU_DEP_1) | instskip(SKIP_1) | instid1(VALU_DEP_2)
	v_dual_lshlrev_b32 v1, 24, v1 :: v_dual_lshlrev_b32 v3, 20, v24
	v_lshl_add_u32 v2, v2, 23, 0x3c000000
	v_and_b32_e32 v1, 0x80000000, v1
	s_delay_alu instid0(VALU_DEP_1)
	v_or3_b32 v103, v3, v1, v2
.LBB342_127:                            ;   in Loop: Header=BB342_9 Depth=1
	s_or_b32 exec_lo, exec_lo, s19
.LBB342_128:                            ;   in Loop: Header=BB342_9 Depth=1
	s_delay_alu instid0(SALU_CYCLE_1)
	s_or_b32 exec_lo, exec_lo, s18
.LBB342_129:                            ;   in Loop: Header=BB342_9 Depth=1
	s_delay_alu instid0(SALU_CYCLE_1) | instskip(NEXT) | instid1(SALU_CYCLE_1)
	s_or_b32 exec_lo, exec_lo, s11
	s_mov_b32 s11, exec_lo
	v_cmpx_lt_u32_e32 0xffffff, v0
	s_cbranch_execz .LBB342_137
; %bb.130:                              ;   in Loop: Header=BB342_9 Depth=1
	v_lshrrev_b32_e32 v1, 24, v0
	v_bfrev_b32_e32 v2, 1
	s_mov_b32 s18, exec_lo
	scratch_store_b32 off, v2, s32 offset:220 ; 4-byte Folded Spill
	s_wait_xcnt 0x0
	v_cmpx_ne_u32_e32 0x80, v1
	s_cbranch_execz .LBB342_136
; %bb.131:                              ;   in Loop: Header=BB342_9 Depth=1
	v_bfe_u32 v2, v0, 24, 7
	v_mov_b32_e32 v0, 0x7f800001
	s_mov_b32 s19, exec_lo
	s_delay_alu instid0(VALU_DEP_2)
	v_cmpx_ne_u32_e32 0x7f, v2
	s_cbranch_execz .LBB342_135
; %bb.132:                              ;   in Loop: Header=BB342_9 Depth=1
	v_dual_lshrrev_b32 v0, 3, v2 :: v_dual_bitop2_b32 v4, 7, v1 bitop3:0x40
	s_mov_b32 s20, exec_lo
	s_delay_alu instid0(VALU_DEP_1)
	v_mov_b64_e32 v[24:25], v[4:5]
	v_cmpx_gt_u32_e32 8, v2
; %bb.133:                              ;   in Loop: Header=BB342_9 Depth=1
	v_clz_i32_u32_e32 v0, v4
	s_delay_alu instid0(VALU_DEP_1) | instskip(NEXT) | instid1(VALU_DEP_1)
	v_min_u32_e32 v0, 32, v0
	v_subrev_nc_u32_e32 v2, 28, v0
	s_delay_alu instid0(VALU_DEP_1) | instskip(NEXT) | instid1(VALU_DEP_1)
	v_lshlrev_b64_e32 v[2:3], v2, v[4:5]
	v_dual_sub_nc_u32 v0, 29, v0 :: v_dual_bitop2_b32 v24, 7, v2 bitop3:0x40
; %bb.134:                              ;   in Loop: Header=BB342_9 Depth=1
	s_or_b32 exec_lo, exec_lo, s20
	s_delay_alu instid0(VALU_DEP_1) | instskip(NEXT) | instid1(VALU_DEP_2)
	v_dual_lshlrev_b32 v1, 24, v1 :: v_dual_lshlrev_b32 v2, 20, v24
	v_lshl_add_u32 v0, v0, 23, 0x3c000000
	s_delay_alu instid0(VALU_DEP_2) | instskip(NEXT) | instid1(VALU_DEP_1)
	v_and_b32_e32 v1, 0x80000000, v1
	v_or3_b32 v0, v2, v1, v0
.LBB342_135:                            ;   in Loop: Header=BB342_9 Depth=1
	s_or_b32 exec_lo, exec_lo, s19
	scratch_store_b32 off, v0, s32 offset:220 ; 4-byte Folded Spill
.LBB342_136:                            ;   in Loop: Header=BB342_9 Depth=1
	s_wait_xcnt 0x0
	s_or_b32 exec_lo, exec_lo, s18
.LBB342_137:                            ;   in Loop: Header=BB342_9 Depth=1
	s_delay_alu instid0(SALU_CYCLE_1)
	s_or_b32 exec_lo, exec_lo, s11
	flat_load_b32 v0, v[16:17] offset:512
	v_dual_mov_b32 v112, 0 :: v_dual_mov_b32 v113, 0
	s_mov_b32 s11, exec_lo
	s_wait_loadcnt_dscnt 0x0
	v_and_b32_e32 v1, 0xff, v0
	s_wait_xcnt 0x0
	s_delay_alu instid0(VALU_DEP_1)
	v_cmpx_ne_u16_e32 0, v1
	s_cbranch_execz .LBB342_145
; %bb.138:                              ;   in Loop: Header=BB342_9 Depth=1
	v_bfrev_b32_e32 v113, 1
	s_mov_b32 s18, exec_lo
	v_cmpx_ne_u16_e32 0x80, v1
	s_cbranch_execz .LBB342_144
; %bb.139:                              ;   in Loop: Header=BB342_9 Depth=1
	v_and_b32_e32 v2, 0x7f, v0
	v_mov_b32_e32 v113, 0x7f800001
	s_mov_b32 s19, exec_lo
	s_delay_alu instid0(VALU_DEP_2)
	v_cmpx_ne_u32_e32 0x7f, v2
	s_cbranch_execz .LBB342_143
; %bb.140:                              ;   in Loop: Header=BB342_9 Depth=1
	v_dual_lshrrev_b32 v1, 3, v2 :: v_dual_bitop2_b32 v4, 7, v0 bitop3:0x40
	s_mov_b32 s20, exec_lo
	s_delay_alu instid0(VALU_DEP_1)
	v_mov_b64_e32 v[24:25], v[4:5]
	v_cmpx_gt_u32_e32 8, v2
; %bb.141:                              ;   in Loop: Header=BB342_9 Depth=1
	v_clz_i32_u32_e32 v1, v4
	s_delay_alu instid0(VALU_DEP_1) | instskip(NEXT) | instid1(VALU_DEP_1)
	v_min_u32_e32 v1, 32, v1
	v_subrev_nc_u32_e32 v2, 28, v1
	s_delay_alu instid0(VALU_DEP_1) | instskip(NEXT) | instid1(VALU_DEP_1)
	v_lshlrev_b64_e32 v[2:3], v2, v[4:5]
	v_dual_sub_nc_u32 v1, 29, v1 :: v_dual_bitop2_b32 v24, 7, v2 bitop3:0x40
; %bb.142:                              ;   in Loop: Header=BB342_9 Depth=1
	s_or_b32 exec_lo, exec_lo, s20
	v_lshlrev_b32_e32 v2, 24, v0
	s_delay_alu instid0(VALU_DEP_2) | instskip(NEXT) | instid1(VALU_DEP_3)
	v_lshlrev_b32_e32 v3, 20, v24
	v_lshl_add_u32 v1, v1, 23, 0x3c000000
	s_delay_alu instid0(VALU_DEP_3) | instskip(NEXT) | instid1(VALU_DEP_1)
	v_and_b32_e32 v2, 0x80000000, v2
	v_or3_b32 v113, v3, v2, v1
.LBB342_143:                            ;   in Loop: Header=BB342_9 Depth=1
	s_or_b32 exec_lo, exec_lo, s19
.LBB342_144:                            ;   in Loop: Header=BB342_9 Depth=1
	s_delay_alu instid0(SALU_CYCLE_1)
	s_or_b32 exec_lo, exec_lo, s18
.LBB342_145:                            ;   in Loop: Header=BB342_9 Depth=1
	s_delay_alu instid0(SALU_CYCLE_1) | instskip(SKIP_2) | instid1(VALU_DEP_1)
	s_or_b32 exec_lo, exec_lo, s11
	v_lshrrev_b16 v1, 8, v0
	s_mov_b32 s11, exec_lo
	v_cmpx_ne_u16_e32 0, v1
	s_cbranch_execz .LBB342_153
; %bb.146:                              ;   in Loop: Header=BB342_9 Depth=1
	v_bfrev_b32_e32 v112, 1
	s_mov_b32 s18, exec_lo
	v_cmpx_ne_u16_e32 0x80, v1
	s_cbranch_execz .LBB342_152
; %bb.147:                              ;   in Loop: Header=BB342_9 Depth=1
	v_and_b32_e32 v1, 0xffff, v1
	v_mov_b32_e32 v112, 0x7f800001
	s_mov_b32 s19, exec_lo
	s_delay_alu instid0(VALU_DEP_2) | instskip(NEXT) | instid1(VALU_DEP_1)
	v_and_b32_e32 v2, 0x7f, v1
	v_cmpx_ne_u32_e32 0x7f, v2
	s_cbranch_execz .LBB342_151
; %bb.148:                              ;   in Loop: Header=BB342_9 Depth=1
	v_dual_lshrrev_b32 v1, 3, v2 :: v_dual_bitop2_b32 v4, 7, v1 bitop3:0x40
	s_mov_b32 s20, exec_lo
	s_delay_alu instid0(VALU_DEP_1)
	v_mov_b64_e32 v[24:25], v[4:5]
	v_cmpx_gt_u32_e32 8, v2
; %bb.149:                              ;   in Loop: Header=BB342_9 Depth=1
	v_clz_i32_u32_e32 v1, v4
	s_delay_alu instid0(VALU_DEP_1) | instskip(NEXT) | instid1(VALU_DEP_1)
	v_min_u32_e32 v1, 32, v1
	v_subrev_nc_u32_e32 v2, 28, v1
	s_delay_alu instid0(VALU_DEP_1) | instskip(NEXT) | instid1(VALU_DEP_1)
	v_lshlrev_b64_e32 v[2:3], v2, v[4:5]
	v_dual_sub_nc_u32 v1, 29, v1 :: v_dual_bitop2_b32 v24, 7, v2 bitop3:0x40
; %bb.150:                              ;   in Loop: Header=BB342_9 Depth=1
	s_or_b32 exec_lo, exec_lo, s20
	v_lshlrev_b32_e32 v2, 16, v0
	s_delay_alu instid0(VALU_DEP_2) | instskip(NEXT) | instid1(VALU_DEP_3)
	v_lshlrev_b32_e32 v3, 20, v24
	v_lshl_add_u32 v1, v1, 23, 0x3c000000
	s_delay_alu instid0(VALU_DEP_3) | instskip(NEXT) | instid1(VALU_DEP_1)
	v_and_b32_e32 v2, 0x80000000, v2
	v_or3_b32 v112, v3, v2, v1
.LBB342_151:                            ;   in Loop: Header=BB342_9 Depth=1
	s_or_b32 exec_lo, exec_lo, s19
.LBB342_152:                            ;   in Loop: Header=BB342_9 Depth=1
	s_delay_alu instid0(SALU_CYCLE_1)
	s_or_b32 exec_lo, exec_lo, s18
.LBB342_153:                            ;   in Loop: Header=BB342_9 Depth=1
	s_delay_alu instid0(SALU_CYCLE_1) | instskip(SKIP_3) | instid1(VALU_DEP_2)
	s_or_b32 exec_lo, exec_lo, s11
	v_dual_mov_b32 v114, 0 :: v_dual_lshrrev_b32 v1, 16, v0
	v_mov_b32_e32 v115, 0
	s_mov_b32 s11, exec_lo
	v_and_b32_e32 v2, 0xff, v1
	s_delay_alu instid0(VALU_DEP_1)
	v_cmpx_ne_u16_e32 0, v2
	s_cbranch_execz .LBB342_161
; %bb.154:                              ;   in Loop: Header=BB342_9 Depth=1
	v_bfrev_b32_e32 v115, 1
	s_mov_b32 s18, exec_lo
	v_cmpx_ne_u16_e32 0x80, v2
	s_cbranch_execz .LBB342_160
; %bb.155:                              ;   in Loop: Header=BB342_9 Depth=1
	v_bfe_u32 v3, v0, 16, 7
	v_mov_b32_e32 v115, 0x7f800001
	s_mov_b32 s19, exec_lo
	s_delay_alu instid0(VALU_DEP_2)
	v_cmpx_ne_u32_e32 0x7f, v3
	s_cbranch_execz .LBB342_159
; %bb.156:                              ;   in Loop: Header=BB342_9 Depth=1
	v_dual_lshrrev_b32 v2, 3, v3 :: v_dual_bitop2_b32 v4, 7, v1 bitop3:0x40
	s_mov_b32 s20, exec_lo
	s_delay_alu instid0(VALU_DEP_1)
	v_mov_b64_e32 v[24:25], v[4:5]
	v_cmpx_gt_u32_e32 8, v3
; %bb.157:                              ;   in Loop: Header=BB342_9 Depth=1
	v_clz_i32_u32_e32 v2, v4
	s_delay_alu instid0(VALU_DEP_1) | instskip(NEXT) | instid1(VALU_DEP_1)
	v_min_u32_e32 v2, 32, v2
	v_subrev_nc_u32_e32 v3, 28, v2
	v_sub_nc_u32_e32 v2, 29, v2
	s_delay_alu instid0(VALU_DEP_2) | instskip(NEXT) | instid1(VALU_DEP_1)
	v_lshlrev_b64_e32 v[6:7], v3, v[4:5]
	v_and_b32_e32 v24, 7, v6
; %bb.158:                              ;   in Loop: Header=BB342_9 Depth=1
	s_or_b32 exec_lo, exec_lo, s20
	s_delay_alu instid0(VALU_DEP_1) | instskip(SKIP_1) | instid1(VALU_DEP_2)
	v_dual_lshlrev_b32 v1, 24, v1 :: v_dual_lshlrev_b32 v3, 20, v24
	v_lshl_add_u32 v2, v2, 23, 0x3c000000
	v_and_b32_e32 v1, 0x80000000, v1
	s_delay_alu instid0(VALU_DEP_1)
	v_or3_b32 v115, v3, v1, v2
.LBB342_159:                            ;   in Loop: Header=BB342_9 Depth=1
	s_or_b32 exec_lo, exec_lo, s19
.LBB342_160:                            ;   in Loop: Header=BB342_9 Depth=1
	s_delay_alu instid0(SALU_CYCLE_1)
	s_or_b32 exec_lo, exec_lo, s18
.LBB342_161:                            ;   in Loop: Header=BB342_9 Depth=1
	s_delay_alu instid0(SALU_CYCLE_1) | instskip(NEXT) | instid1(SALU_CYCLE_1)
	s_or_b32 exec_lo, exec_lo, s11
	s_mov_b32 s11, exec_lo
	v_cmpx_lt_u32_e32 0xffffff, v0
	s_cbranch_execz .LBB342_169
; %bb.162:                              ;   in Loop: Header=BB342_9 Depth=1
	v_lshrrev_b32_e32 v1, 24, v0
	v_bfrev_b32_e32 v114, 1
	s_mov_b32 s18, exec_lo
	s_delay_alu instid0(VALU_DEP_2)
	v_cmpx_ne_u32_e32 0x80, v1
	s_cbranch_execz .LBB342_168
; %bb.163:                              ;   in Loop: Header=BB342_9 Depth=1
	v_bfe_u32 v2, v0, 24, 7
	v_mov_b32_e32 v114, 0x7f800001
	s_mov_b32 s19, exec_lo
	s_delay_alu instid0(VALU_DEP_2)
	v_cmpx_ne_u32_e32 0x7f, v2
	s_cbranch_execz .LBB342_167
; %bb.164:                              ;   in Loop: Header=BB342_9 Depth=1
	v_dual_lshrrev_b32 v0, 3, v2 :: v_dual_bitop2_b32 v4, 7, v1 bitop3:0x40
	s_mov_b32 s20, exec_lo
	s_delay_alu instid0(VALU_DEP_1)
	v_mov_b64_e32 v[24:25], v[4:5]
	v_cmpx_gt_u32_e32 8, v2
; %bb.165:                              ;   in Loop: Header=BB342_9 Depth=1
	v_clz_i32_u32_e32 v0, v4
	s_delay_alu instid0(VALU_DEP_1) | instskip(NEXT) | instid1(VALU_DEP_1)
	v_min_u32_e32 v0, 32, v0
	v_subrev_nc_u32_e32 v2, 28, v0
	s_delay_alu instid0(VALU_DEP_1) | instskip(NEXT) | instid1(VALU_DEP_1)
	v_lshlrev_b64_e32 v[2:3], v2, v[4:5]
	v_dual_sub_nc_u32 v0, 29, v0 :: v_dual_bitop2_b32 v24, 7, v2 bitop3:0x40
; %bb.166:                              ;   in Loop: Header=BB342_9 Depth=1
	s_or_b32 exec_lo, exec_lo, s20
	s_delay_alu instid0(VALU_DEP_1) | instskip(NEXT) | instid1(VALU_DEP_2)
	v_dual_lshlrev_b32 v1, 24, v1 :: v_dual_lshlrev_b32 v2, 20, v24
	v_lshl_add_u32 v0, v0, 23, 0x3c000000
	s_delay_alu instid0(VALU_DEP_2) | instskip(NEXT) | instid1(VALU_DEP_1)
	v_and_b32_e32 v1, 0x80000000, v1
	v_or3_b32 v114, v2, v1, v0
.LBB342_167:                            ;   in Loop: Header=BB342_9 Depth=1
	s_or_b32 exec_lo, exec_lo, s19
.LBB342_168:                            ;   in Loop: Header=BB342_9 Depth=1
	s_delay_alu instid0(SALU_CYCLE_1)
	s_or_b32 exec_lo, exec_lo, s18
.LBB342_169:                            ;   in Loop: Header=BB342_9 Depth=1
	s_delay_alu instid0(SALU_CYCLE_1)
	s_or_b32 exec_lo, exec_lo, s11
	flat_load_b32 v0, v[16:17] offset:520
	v_dual_mov_b32 v116, 0 :: v_dual_mov_b32 v117, 0
	s_mov_b32 s11, exec_lo
	s_wait_loadcnt_dscnt 0x0
	v_and_b32_e32 v1, 0xff, v0
	s_wait_xcnt 0x0
	s_delay_alu instid0(VALU_DEP_1)
	v_cmpx_ne_u16_e32 0, v1
	s_cbranch_execz .LBB342_177
; %bb.170:                              ;   in Loop: Header=BB342_9 Depth=1
	v_bfrev_b32_e32 v117, 1
	s_mov_b32 s18, exec_lo
	v_cmpx_ne_u16_e32 0x80, v1
	s_cbranch_execz .LBB342_176
; %bb.171:                              ;   in Loop: Header=BB342_9 Depth=1
	v_and_b32_e32 v2, 0x7f, v0
	v_mov_b32_e32 v117, 0x7f800001
	s_mov_b32 s19, exec_lo
	s_delay_alu instid0(VALU_DEP_2)
	v_cmpx_ne_u32_e32 0x7f, v2
	s_cbranch_execz .LBB342_175
; %bb.172:                              ;   in Loop: Header=BB342_9 Depth=1
	v_dual_lshrrev_b32 v1, 3, v2 :: v_dual_bitop2_b32 v4, 7, v0 bitop3:0x40
	s_mov_b32 s20, exec_lo
	s_delay_alu instid0(VALU_DEP_1)
	v_mov_b64_e32 v[24:25], v[4:5]
	v_cmpx_gt_u32_e32 8, v2
; %bb.173:                              ;   in Loop: Header=BB342_9 Depth=1
	v_clz_i32_u32_e32 v1, v4
	s_delay_alu instid0(VALU_DEP_1) | instskip(NEXT) | instid1(VALU_DEP_1)
	v_min_u32_e32 v1, 32, v1
	v_subrev_nc_u32_e32 v2, 28, v1
	s_delay_alu instid0(VALU_DEP_1) | instskip(NEXT) | instid1(VALU_DEP_1)
	v_lshlrev_b64_e32 v[2:3], v2, v[4:5]
	v_dual_sub_nc_u32 v1, 29, v1 :: v_dual_bitop2_b32 v24, 7, v2 bitop3:0x40
; %bb.174:                              ;   in Loop: Header=BB342_9 Depth=1
	s_or_b32 exec_lo, exec_lo, s20
	v_lshlrev_b32_e32 v2, 24, v0
	s_delay_alu instid0(VALU_DEP_2) | instskip(NEXT) | instid1(VALU_DEP_3)
	v_lshlrev_b32_e32 v3, 20, v24
	v_lshl_add_u32 v1, v1, 23, 0x3c000000
	s_delay_alu instid0(VALU_DEP_3) | instskip(NEXT) | instid1(VALU_DEP_1)
	v_and_b32_e32 v2, 0x80000000, v2
	v_or3_b32 v117, v3, v2, v1
.LBB342_175:                            ;   in Loop: Header=BB342_9 Depth=1
	s_or_b32 exec_lo, exec_lo, s19
.LBB342_176:                            ;   in Loop: Header=BB342_9 Depth=1
	s_delay_alu instid0(SALU_CYCLE_1)
	s_or_b32 exec_lo, exec_lo, s18
.LBB342_177:                            ;   in Loop: Header=BB342_9 Depth=1
	s_delay_alu instid0(SALU_CYCLE_1) | instskip(SKIP_2) | instid1(VALU_DEP_1)
	s_or_b32 exec_lo, exec_lo, s11
	v_lshrrev_b16 v1, 8, v0
	s_mov_b32 s11, exec_lo
	v_cmpx_ne_u16_e32 0, v1
	s_cbranch_execz .LBB342_185
; %bb.178:                              ;   in Loop: Header=BB342_9 Depth=1
	v_bfrev_b32_e32 v116, 1
	s_mov_b32 s18, exec_lo
	v_cmpx_ne_u16_e32 0x80, v1
	s_cbranch_execz .LBB342_184
; %bb.179:                              ;   in Loop: Header=BB342_9 Depth=1
	v_and_b32_e32 v1, 0xffff, v1
	v_mov_b32_e32 v116, 0x7f800001
	s_mov_b32 s19, exec_lo
	s_delay_alu instid0(VALU_DEP_2) | instskip(NEXT) | instid1(VALU_DEP_1)
	v_and_b32_e32 v2, 0x7f, v1
	v_cmpx_ne_u32_e32 0x7f, v2
	s_cbranch_execz .LBB342_183
; %bb.180:                              ;   in Loop: Header=BB342_9 Depth=1
	v_dual_lshrrev_b32 v1, 3, v2 :: v_dual_bitop2_b32 v4, 7, v1 bitop3:0x40
	s_mov_b32 s20, exec_lo
	s_delay_alu instid0(VALU_DEP_1)
	v_mov_b64_e32 v[24:25], v[4:5]
	v_cmpx_gt_u32_e32 8, v2
; %bb.181:                              ;   in Loop: Header=BB342_9 Depth=1
	v_clz_i32_u32_e32 v1, v4
	s_delay_alu instid0(VALU_DEP_1) | instskip(NEXT) | instid1(VALU_DEP_1)
	v_min_u32_e32 v1, 32, v1
	v_subrev_nc_u32_e32 v2, 28, v1
	s_delay_alu instid0(VALU_DEP_1) | instskip(NEXT) | instid1(VALU_DEP_1)
	v_lshlrev_b64_e32 v[2:3], v2, v[4:5]
	v_dual_sub_nc_u32 v1, 29, v1 :: v_dual_bitop2_b32 v24, 7, v2 bitop3:0x40
; %bb.182:                              ;   in Loop: Header=BB342_9 Depth=1
	s_or_b32 exec_lo, exec_lo, s20
	v_lshlrev_b32_e32 v2, 16, v0
	s_delay_alu instid0(VALU_DEP_2) | instskip(NEXT) | instid1(VALU_DEP_3)
	v_lshlrev_b32_e32 v3, 20, v24
	v_lshl_add_u32 v1, v1, 23, 0x3c000000
	s_delay_alu instid0(VALU_DEP_3) | instskip(NEXT) | instid1(VALU_DEP_1)
	v_and_b32_e32 v2, 0x80000000, v2
	v_or3_b32 v116, v3, v2, v1
.LBB342_183:                            ;   in Loop: Header=BB342_9 Depth=1
	s_or_b32 exec_lo, exec_lo, s19
.LBB342_184:                            ;   in Loop: Header=BB342_9 Depth=1
	s_delay_alu instid0(SALU_CYCLE_1)
	s_or_b32 exec_lo, exec_lo, s18
.LBB342_185:                            ;   in Loop: Header=BB342_9 Depth=1
	s_delay_alu instid0(SALU_CYCLE_1) | instskip(SKIP_3) | instid1(VALU_DEP_2)
	s_or_b32 exec_lo, exec_lo, s11
	v_dual_mov_b32 v118, 0 :: v_dual_lshrrev_b32 v1, 16, v0
	v_mov_b32_e32 v119, 0
	s_mov_b32 s11, exec_lo
	v_and_b32_e32 v2, 0xff, v1
	s_delay_alu instid0(VALU_DEP_1)
	v_cmpx_ne_u16_e32 0, v2
	s_cbranch_execz .LBB342_193
; %bb.186:                              ;   in Loop: Header=BB342_9 Depth=1
	v_bfrev_b32_e32 v119, 1
	s_mov_b32 s18, exec_lo
	v_cmpx_ne_u16_e32 0x80, v2
	s_cbranch_execz .LBB342_192
; %bb.187:                              ;   in Loop: Header=BB342_9 Depth=1
	v_bfe_u32 v3, v0, 16, 7
	v_mov_b32_e32 v119, 0x7f800001
	s_mov_b32 s19, exec_lo
	s_delay_alu instid0(VALU_DEP_2)
	v_cmpx_ne_u32_e32 0x7f, v3
	s_cbranch_execz .LBB342_191
; %bb.188:                              ;   in Loop: Header=BB342_9 Depth=1
	v_dual_lshrrev_b32 v2, 3, v3 :: v_dual_bitop2_b32 v4, 7, v1 bitop3:0x40
	s_mov_b32 s20, exec_lo
	s_delay_alu instid0(VALU_DEP_1)
	v_mov_b64_e32 v[24:25], v[4:5]
	v_cmpx_gt_u32_e32 8, v3
; %bb.189:                              ;   in Loop: Header=BB342_9 Depth=1
	v_clz_i32_u32_e32 v2, v4
	s_delay_alu instid0(VALU_DEP_1) | instskip(NEXT) | instid1(VALU_DEP_1)
	v_min_u32_e32 v2, 32, v2
	v_subrev_nc_u32_e32 v3, 28, v2
	v_sub_nc_u32_e32 v2, 29, v2
	s_delay_alu instid0(VALU_DEP_2) | instskip(NEXT) | instid1(VALU_DEP_1)
	v_lshlrev_b64_e32 v[6:7], v3, v[4:5]
	v_and_b32_e32 v24, 7, v6
; %bb.190:                              ;   in Loop: Header=BB342_9 Depth=1
	s_or_b32 exec_lo, exec_lo, s20
	s_delay_alu instid0(VALU_DEP_1) | instskip(SKIP_1) | instid1(VALU_DEP_2)
	v_dual_lshlrev_b32 v1, 24, v1 :: v_dual_lshlrev_b32 v3, 20, v24
	v_lshl_add_u32 v2, v2, 23, 0x3c000000
	v_and_b32_e32 v1, 0x80000000, v1
	s_delay_alu instid0(VALU_DEP_1)
	v_or3_b32 v119, v3, v1, v2
.LBB342_191:                            ;   in Loop: Header=BB342_9 Depth=1
	s_or_b32 exec_lo, exec_lo, s19
.LBB342_192:                            ;   in Loop: Header=BB342_9 Depth=1
	s_delay_alu instid0(SALU_CYCLE_1)
	s_or_b32 exec_lo, exec_lo, s18
.LBB342_193:                            ;   in Loop: Header=BB342_9 Depth=1
	s_delay_alu instid0(SALU_CYCLE_1) | instskip(NEXT) | instid1(SALU_CYCLE_1)
	s_or_b32 exec_lo, exec_lo, s11
	s_mov_b32 s11, exec_lo
	v_cmpx_lt_u32_e32 0xffffff, v0
	s_cbranch_execz .LBB342_201
; %bb.194:                              ;   in Loop: Header=BB342_9 Depth=1
	v_lshrrev_b32_e32 v1, 24, v0
	v_bfrev_b32_e32 v118, 1
	s_mov_b32 s18, exec_lo
	s_delay_alu instid0(VALU_DEP_2)
	v_cmpx_ne_u32_e32 0x80, v1
	s_cbranch_execz .LBB342_200
; %bb.195:                              ;   in Loop: Header=BB342_9 Depth=1
	v_bfe_u32 v2, v0, 24, 7
	v_mov_b32_e32 v118, 0x7f800001
	s_mov_b32 s19, exec_lo
	s_delay_alu instid0(VALU_DEP_2)
	v_cmpx_ne_u32_e32 0x7f, v2
	s_cbranch_execz .LBB342_199
; %bb.196:                              ;   in Loop: Header=BB342_9 Depth=1
	v_dual_lshrrev_b32 v0, 3, v2 :: v_dual_bitop2_b32 v4, 7, v1 bitop3:0x40
	s_mov_b32 s20, exec_lo
	s_delay_alu instid0(VALU_DEP_1)
	v_mov_b64_e32 v[24:25], v[4:5]
	v_cmpx_gt_u32_e32 8, v2
; %bb.197:                              ;   in Loop: Header=BB342_9 Depth=1
	v_clz_i32_u32_e32 v0, v4
	s_delay_alu instid0(VALU_DEP_1) | instskip(NEXT) | instid1(VALU_DEP_1)
	v_min_u32_e32 v0, 32, v0
	v_subrev_nc_u32_e32 v2, 28, v0
	s_delay_alu instid0(VALU_DEP_1) | instskip(NEXT) | instid1(VALU_DEP_1)
	v_lshlrev_b64_e32 v[2:3], v2, v[4:5]
	v_dual_sub_nc_u32 v0, 29, v0 :: v_dual_bitop2_b32 v24, 7, v2 bitop3:0x40
; %bb.198:                              ;   in Loop: Header=BB342_9 Depth=1
	s_or_b32 exec_lo, exec_lo, s20
	s_delay_alu instid0(VALU_DEP_1) | instskip(NEXT) | instid1(VALU_DEP_2)
	v_dual_lshlrev_b32 v1, 24, v1 :: v_dual_lshlrev_b32 v2, 20, v24
	v_lshl_add_u32 v0, v0, 23, 0x3c000000
	s_delay_alu instid0(VALU_DEP_2) | instskip(NEXT) | instid1(VALU_DEP_1)
	v_and_b32_e32 v1, 0x80000000, v1
	v_or3_b32 v118, v2, v1, v0
.LBB342_199:                            ;   in Loop: Header=BB342_9 Depth=1
	s_or_b32 exec_lo, exec_lo, s19
.LBB342_200:                            ;   in Loop: Header=BB342_9 Depth=1
	s_delay_alu instid0(SALU_CYCLE_1)
	s_or_b32 exec_lo, exec_lo, s18
.LBB342_201:                            ;   in Loop: Header=BB342_9 Depth=1
	s_delay_alu instid0(SALU_CYCLE_1)
	s_or_b32 exec_lo, exec_lo, s11
	flat_load_b32 v0, v[16:17] offset:768
	v_dual_mov_b32 v40, 0 :: v_dual_mov_b32 v41, 0
	s_mov_b32 s11, exec_lo
	s_wait_loadcnt_dscnt 0x0
	v_and_b32_e32 v1, 0xff, v0
	s_wait_xcnt 0x0
	s_delay_alu instid0(VALU_DEP_1)
	v_cmpx_ne_u16_e32 0, v1
	s_cbranch_execz .LBB342_209
; %bb.202:                              ;   in Loop: Header=BB342_9 Depth=1
	v_bfrev_b32_e32 v41, 1
	s_mov_b32 s18, exec_lo
	v_cmpx_ne_u16_e32 0x80, v1
	s_cbranch_execz .LBB342_208
; %bb.203:                              ;   in Loop: Header=BB342_9 Depth=1
	v_and_b32_e32 v2, 0x7f, v0
	v_mov_b32_e32 v41, 0x7f800001
	s_mov_b32 s19, exec_lo
	s_delay_alu instid0(VALU_DEP_2)
	v_cmpx_ne_u32_e32 0x7f, v2
	s_cbranch_execz .LBB342_207
; %bb.204:                              ;   in Loop: Header=BB342_9 Depth=1
	v_dual_lshrrev_b32 v1, 3, v2 :: v_dual_bitop2_b32 v4, 7, v0 bitop3:0x40
	s_mov_b32 s20, exec_lo
	s_delay_alu instid0(VALU_DEP_1)
	v_mov_b64_e32 v[24:25], v[4:5]
	v_cmpx_gt_u32_e32 8, v2
; %bb.205:                              ;   in Loop: Header=BB342_9 Depth=1
	v_clz_i32_u32_e32 v1, v4
	s_delay_alu instid0(VALU_DEP_1) | instskip(NEXT) | instid1(VALU_DEP_1)
	v_min_u32_e32 v1, 32, v1
	v_subrev_nc_u32_e32 v2, 28, v1
	s_delay_alu instid0(VALU_DEP_1) | instskip(NEXT) | instid1(VALU_DEP_1)
	v_lshlrev_b64_e32 v[2:3], v2, v[4:5]
	v_dual_sub_nc_u32 v1, 29, v1 :: v_dual_bitop2_b32 v24, 7, v2 bitop3:0x40
; %bb.206:                              ;   in Loop: Header=BB342_9 Depth=1
	s_or_b32 exec_lo, exec_lo, s20
	v_lshlrev_b32_e32 v2, 24, v0
	s_delay_alu instid0(VALU_DEP_2) | instskip(NEXT) | instid1(VALU_DEP_3)
	v_lshlrev_b32_e32 v3, 20, v24
	v_lshl_add_u32 v1, v1, 23, 0x3c000000
	s_delay_alu instid0(VALU_DEP_3) | instskip(NEXT) | instid1(VALU_DEP_1)
	v_and_b32_e32 v2, 0x80000000, v2
	v_or3_b32 v41, v3, v2, v1
.LBB342_207:                            ;   in Loop: Header=BB342_9 Depth=1
	s_or_b32 exec_lo, exec_lo, s19
.LBB342_208:                            ;   in Loop: Header=BB342_9 Depth=1
	s_delay_alu instid0(SALU_CYCLE_1)
	s_or_b32 exec_lo, exec_lo, s18
.LBB342_209:                            ;   in Loop: Header=BB342_9 Depth=1
	s_delay_alu instid0(SALU_CYCLE_1) | instskip(SKIP_2) | instid1(VALU_DEP_1)
	s_or_b32 exec_lo, exec_lo, s11
	v_lshrrev_b16 v1, 8, v0
	s_mov_b32 s11, exec_lo
	v_cmpx_ne_u16_e32 0, v1
	s_cbranch_execz .LBB342_217
; %bb.210:                              ;   in Loop: Header=BB342_9 Depth=1
	v_bfrev_b32_e32 v40, 1
	s_mov_b32 s18, exec_lo
	v_cmpx_ne_u16_e32 0x80, v1
	s_cbranch_execz .LBB342_216
; %bb.211:                              ;   in Loop: Header=BB342_9 Depth=1
	v_and_b32_e32 v1, 0xffff, v1
	v_mov_b32_e32 v40, 0x7f800001
	s_mov_b32 s19, exec_lo
	s_delay_alu instid0(VALU_DEP_2) | instskip(NEXT) | instid1(VALU_DEP_1)
	v_and_b32_e32 v2, 0x7f, v1
	v_cmpx_ne_u32_e32 0x7f, v2
	s_cbranch_execz .LBB342_215
; %bb.212:                              ;   in Loop: Header=BB342_9 Depth=1
	v_dual_lshrrev_b32 v1, 3, v2 :: v_dual_bitop2_b32 v4, 7, v1 bitop3:0x40
	s_mov_b32 s20, exec_lo
	s_delay_alu instid0(VALU_DEP_1)
	v_mov_b64_e32 v[24:25], v[4:5]
	v_cmpx_gt_u32_e32 8, v2
; %bb.213:                              ;   in Loop: Header=BB342_9 Depth=1
	v_clz_i32_u32_e32 v1, v4
	s_delay_alu instid0(VALU_DEP_1) | instskip(NEXT) | instid1(VALU_DEP_1)
	v_min_u32_e32 v1, 32, v1
	v_subrev_nc_u32_e32 v2, 28, v1
	s_delay_alu instid0(VALU_DEP_1) | instskip(NEXT) | instid1(VALU_DEP_1)
	v_lshlrev_b64_e32 v[2:3], v2, v[4:5]
	v_dual_sub_nc_u32 v1, 29, v1 :: v_dual_bitop2_b32 v24, 7, v2 bitop3:0x40
; %bb.214:                              ;   in Loop: Header=BB342_9 Depth=1
	s_or_b32 exec_lo, exec_lo, s20
	v_lshlrev_b32_e32 v2, 16, v0
	s_delay_alu instid0(VALU_DEP_2) | instskip(NEXT) | instid1(VALU_DEP_3)
	v_lshlrev_b32_e32 v3, 20, v24
	v_lshl_add_u32 v1, v1, 23, 0x3c000000
	s_delay_alu instid0(VALU_DEP_3) | instskip(NEXT) | instid1(VALU_DEP_1)
	v_and_b32_e32 v2, 0x80000000, v2
	v_or3_b32 v40, v3, v2, v1
.LBB342_215:                            ;   in Loop: Header=BB342_9 Depth=1
	s_or_b32 exec_lo, exec_lo, s19
.LBB342_216:                            ;   in Loop: Header=BB342_9 Depth=1
	s_delay_alu instid0(SALU_CYCLE_1)
	s_or_b32 exec_lo, exec_lo, s18
.LBB342_217:                            ;   in Loop: Header=BB342_9 Depth=1
	s_delay_alu instid0(SALU_CYCLE_1) | instskip(SKIP_3) | instid1(VALU_DEP_2)
	s_or_b32 exec_lo, exec_lo, s11
	v_dual_mov_b32 v42, 0 :: v_dual_lshrrev_b32 v1, 16, v0
	v_mov_b32_e32 v43, 0
	s_mov_b32 s11, exec_lo
	v_and_b32_e32 v2, 0xff, v1
	s_delay_alu instid0(VALU_DEP_1)
	v_cmpx_ne_u16_e32 0, v2
	s_cbranch_execz .LBB342_225
; %bb.218:                              ;   in Loop: Header=BB342_9 Depth=1
	v_bfrev_b32_e32 v43, 1
	s_mov_b32 s18, exec_lo
	v_cmpx_ne_u16_e32 0x80, v2
	s_cbranch_execz .LBB342_224
; %bb.219:                              ;   in Loop: Header=BB342_9 Depth=1
	v_bfe_u32 v3, v0, 16, 7
	v_mov_b32_e32 v43, 0x7f800001
	s_mov_b32 s19, exec_lo
	s_delay_alu instid0(VALU_DEP_2)
	v_cmpx_ne_u32_e32 0x7f, v3
	s_cbranch_execz .LBB342_223
; %bb.220:                              ;   in Loop: Header=BB342_9 Depth=1
	v_dual_lshrrev_b32 v2, 3, v3 :: v_dual_bitop2_b32 v4, 7, v1 bitop3:0x40
	s_mov_b32 s20, exec_lo
	s_delay_alu instid0(VALU_DEP_1)
	v_mov_b64_e32 v[24:25], v[4:5]
	v_cmpx_gt_u32_e32 8, v3
; %bb.221:                              ;   in Loop: Header=BB342_9 Depth=1
	v_clz_i32_u32_e32 v2, v4
	s_delay_alu instid0(VALU_DEP_1) | instskip(NEXT) | instid1(VALU_DEP_1)
	v_min_u32_e32 v2, 32, v2
	v_subrev_nc_u32_e32 v3, 28, v2
	v_sub_nc_u32_e32 v2, 29, v2
	s_delay_alu instid0(VALU_DEP_2) | instskip(NEXT) | instid1(VALU_DEP_1)
	v_lshlrev_b64_e32 v[6:7], v3, v[4:5]
	v_and_b32_e32 v24, 7, v6
; %bb.222:                              ;   in Loop: Header=BB342_9 Depth=1
	s_or_b32 exec_lo, exec_lo, s20
	s_delay_alu instid0(VALU_DEP_1) | instskip(SKIP_1) | instid1(VALU_DEP_2)
	v_dual_lshlrev_b32 v1, 24, v1 :: v_dual_lshlrev_b32 v3, 20, v24
	v_lshl_add_u32 v2, v2, 23, 0x3c000000
	v_and_b32_e32 v1, 0x80000000, v1
	s_delay_alu instid0(VALU_DEP_1)
	v_or3_b32 v43, v3, v1, v2
.LBB342_223:                            ;   in Loop: Header=BB342_9 Depth=1
	s_or_b32 exec_lo, exec_lo, s19
.LBB342_224:                            ;   in Loop: Header=BB342_9 Depth=1
	s_delay_alu instid0(SALU_CYCLE_1)
	s_or_b32 exec_lo, exec_lo, s18
.LBB342_225:                            ;   in Loop: Header=BB342_9 Depth=1
	s_delay_alu instid0(SALU_CYCLE_1) | instskip(NEXT) | instid1(SALU_CYCLE_1)
	s_or_b32 exec_lo, exec_lo, s11
	s_mov_b32 s11, exec_lo
	v_cmpx_lt_u32_e32 0xffffff, v0
	s_cbranch_execz .LBB342_233
; %bb.226:                              ;   in Loop: Header=BB342_9 Depth=1
	v_lshrrev_b32_e32 v1, 24, v0
	v_bfrev_b32_e32 v42, 1
	s_mov_b32 s18, exec_lo
	s_delay_alu instid0(VALU_DEP_2)
	v_cmpx_ne_u32_e32 0x80, v1
	s_cbranch_execz .LBB342_232
; %bb.227:                              ;   in Loop: Header=BB342_9 Depth=1
	v_bfe_u32 v2, v0, 24, 7
	v_mov_b32_e32 v42, 0x7f800001
	s_mov_b32 s19, exec_lo
	s_delay_alu instid0(VALU_DEP_2)
	v_cmpx_ne_u32_e32 0x7f, v2
	s_cbranch_execz .LBB342_231
; %bb.228:                              ;   in Loop: Header=BB342_9 Depth=1
	v_dual_lshrrev_b32 v0, 3, v2 :: v_dual_bitop2_b32 v4, 7, v1 bitop3:0x40
	s_mov_b32 s20, exec_lo
	s_delay_alu instid0(VALU_DEP_1)
	v_mov_b64_e32 v[24:25], v[4:5]
	v_cmpx_gt_u32_e32 8, v2
; %bb.229:                              ;   in Loop: Header=BB342_9 Depth=1
	v_clz_i32_u32_e32 v0, v4
	s_delay_alu instid0(VALU_DEP_1) | instskip(NEXT) | instid1(VALU_DEP_1)
	v_min_u32_e32 v0, 32, v0
	v_subrev_nc_u32_e32 v2, 28, v0
	s_delay_alu instid0(VALU_DEP_1) | instskip(NEXT) | instid1(VALU_DEP_1)
	v_lshlrev_b64_e32 v[2:3], v2, v[4:5]
	v_dual_sub_nc_u32 v0, 29, v0 :: v_dual_bitop2_b32 v24, 7, v2 bitop3:0x40
; %bb.230:                              ;   in Loop: Header=BB342_9 Depth=1
	s_or_b32 exec_lo, exec_lo, s20
	s_delay_alu instid0(VALU_DEP_1) | instskip(NEXT) | instid1(VALU_DEP_2)
	v_dual_lshlrev_b32 v1, 24, v1 :: v_dual_lshlrev_b32 v2, 20, v24
	v_lshl_add_u32 v0, v0, 23, 0x3c000000
	s_delay_alu instid0(VALU_DEP_2) | instskip(NEXT) | instid1(VALU_DEP_1)
	v_and_b32_e32 v1, 0x80000000, v1
	v_or3_b32 v42, v2, v1, v0
.LBB342_231:                            ;   in Loop: Header=BB342_9 Depth=1
	s_or_b32 exec_lo, exec_lo, s19
.LBB342_232:                            ;   in Loop: Header=BB342_9 Depth=1
	s_delay_alu instid0(SALU_CYCLE_1)
	s_or_b32 exec_lo, exec_lo, s18
.LBB342_233:                            ;   in Loop: Header=BB342_9 Depth=1
	s_delay_alu instid0(SALU_CYCLE_1)
	s_or_b32 exec_lo, exec_lo, s11
	flat_load_b32 v0, v[16:17] offset:776
	v_dual_mov_b32 v44, 0 :: v_dual_mov_b32 v45, 0
	s_mov_b32 s11, exec_lo
	s_wait_loadcnt_dscnt 0x0
	v_and_b32_e32 v1, 0xff, v0
	s_wait_xcnt 0x0
	s_delay_alu instid0(VALU_DEP_1)
	v_cmpx_ne_u16_e32 0, v1
	s_cbranch_execz .LBB342_241
; %bb.234:                              ;   in Loop: Header=BB342_9 Depth=1
	v_bfrev_b32_e32 v45, 1
	s_mov_b32 s18, exec_lo
	v_cmpx_ne_u16_e32 0x80, v1
	s_cbranch_execz .LBB342_240
; %bb.235:                              ;   in Loop: Header=BB342_9 Depth=1
	v_and_b32_e32 v2, 0x7f, v0
	v_mov_b32_e32 v45, 0x7f800001
	s_mov_b32 s19, exec_lo
	s_delay_alu instid0(VALU_DEP_2)
	v_cmpx_ne_u32_e32 0x7f, v2
	s_cbranch_execz .LBB342_239
; %bb.236:                              ;   in Loop: Header=BB342_9 Depth=1
	v_dual_lshrrev_b32 v1, 3, v2 :: v_dual_bitop2_b32 v4, 7, v0 bitop3:0x40
	s_mov_b32 s20, exec_lo
	s_delay_alu instid0(VALU_DEP_1)
	v_mov_b64_e32 v[24:25], v[4:5]
	v_cmpx_gt_u32_e32 8, v2
; %bb.237:                              ;   in Loop: Header=BB342_9 Depth=1
	v_clz_i32_u32_e32 v1, v4
	s_delay_alu instid0(VALU_DEP_1) | instskip(NEXT) | instid1(VALU_DEP_1)
	v_min_u32_e32 v1, 32, v1
	v_subrev_nc_u32_e32 v2, 28, v1
	s_delay_alu instid0(VALU_DEP_1) | instskip(NEXT) | instid1(VALU_DEP_1)
	v_lshlrev_b64_e32 v[2:3], v2, v[4:5]
	v_dual_sub_nc_u32 v1, 29, v1 :: v_dual_bitop2_b32 v24, 7, v2 bitop3:0x40
; %bb.238:                              ;   in Loop: Header=BB342_9 Depth=1
	s_or_b32 exec_lo, exec_lo, s20
	v_lshlrev_b32_e32 v2, 24, v0
	s_delay_alu instid0(VALU_DEP_2) | instskip(NEXT) | instid1(VALU_DEP_3)
	v_lshlrev_b32_e32 v3, 20, v24
	v_lshl_add_u32 v1, v1, 23, 0x3c000000
	s_delay_alu instid0(VALU_DEP_3) | instskip(NEXT) | instid1(VALU_DEP_1)
	v_and_b32_e32 v2, 0x80000000, v2
	v_or3_b32 v45, v3, v2, v1
.LBB342_239:                            ;   in Loop: Header=BB342_9 Depth=1
	s_or_b32 exec_lo, exec_lo, s19
.LBB342_240:                            ;   in Loop: Header=BB342_9 Depth=1
	s_delay_alu instid0(SALU_CYCLE_1)
	s_or_b32 exec_lo, exec_lo, s18
.LBB342_241:                            ;   in Loop: Header=BB342_9 Depth=1
	s_delay_alu instid0(SALU_CYCLE_1) | instskip(SKIP_2) | instid1(VALU_DEP_1)
	s_or_b32 exec_lo, exec_lo, s11
	v_lshrrev_b16 v1, 8, v0
	s_mov_b32 s11, exec_lo
	v_cmpx_ne_u16_e32 0, v1
	s_cbranch_execz .LBB342_249
; %bb.242:                              ;   in Loop: Header=BB342_9 Depth=1
	v_bfrev_b32_e32 v44, 1
	s_mov_b32 s18, exec_lo
	v_cmpx_ne_u16_e32 0x80, v1
	s_cbranch_execz .LBB342_248
; %bb.243:                              ;   in Loop: Header=BB342_9 Depth=1
	v_and_b32_e32 v1, 0xffff, v1
	v_mov_b32_e32 v44, 0x7f800001
	s_mov_b32 s19, exec_lo
	s_delay_alu instid0(VALU_DEP_2) | instskip(NEXT) | instid1(VALU_DEP_1)
	v_and_b32_e32 v2, 0x7f, v1
	v_cmpx_ne_u32_e32 0x7f, v2
	s_cbranch_execz .LBB342_247
; %bb.244:                              ;   in Loop: Header=BB342_9 Depth=1
	v_dual_lshrrev_b32 v1, 3, v2 :: v_dual_bitop2_b32 v4, 7, v1 bitop3:0x40
	s_mov_b32 s20, exec_lo
	s_delay_alu instid0(VALU_DEP_1)
	v_mov_b64_e32 v[24:25], v[4:5]
	v_cmpx_gt_u32_e32 8, v2
; %bb.245:                              ;   in Loop: Header=BB342_9 Depth=1
	v_clz_i32_u32_e32 v1, v4
	s_delay_alu instid0(VALU_DEP_1) | instskip(NEXT) | instid1(VALU_DEP_1)
	v_min_u32_e32 v1, 32, v1
	v_subrev_nc_u32_e32 v2, 28, v1
	s_delay_alu instid0(VALU_DEP_1) | instskip(NEXT) | instid1(VALU_DEP_1)
	v_lshlrev_b64_e32 v[2:3], v2, v[4:5]
	v_dual_sub_nc_u32 v1, 29, v1 :: v_dual_bitop2_b32 v24, 7, v2 bitop3:0x40
; %bb.246:                              ;   in Loop: Header=BB342_9 Depth=1
	s_or_b32 exec_lo, exec_lo, s20
	v_lshlrev_b32_e32 v2, 16, v0
	s_delay_alu instid0(VALU_DEP_2) | instskip(NEXT) | instid1(VALU_DEP_3)
	v_lshlrev_b32_e32 v3, 20, v24
	v_lshl_add_u32 v1, v1, 23, 0x3c000000
	s_delay_alu instid0(VALU_DEP_3) | instskip(NEXT) | instid1(VALU_DEP_1)
	v_and_b32_e32 v2, 0x80000000, v2
	v_or3_b32 v44, v3, v2, v1
.LBB342_247:                            ;   in Loop: Header=BB342_9 Depth=1
	s_or_b32 exec_lo, exec_lo, s19
.LBB342_248:                            ;   in Loop: Header=BB342_9 Depth=1
	s_delay_alu instid0(SALU_CYCLE_1)
	s_or_b32 exec_lo, exec_lo, s18
.LBB342_249:                            ;   in Loop: Header=BB342_9 Depth=1
	s_delay_alu instid0(SALU_CYCLE_1) | instskip(SKIP_3) | instid1(VALU_DEP_2)
	s_or_b32 exec_lo, exec_lo, s11
	v_dual_mov_b32 v46, 0 :: v_dual_lshrrev_b32 v1, 16, v0
	v_mov_b32_e32 v47, 0
	s_mov_b32 s11, exec_lo
	v_and_b32_e32 v2, 0xff, v1
	s_delay_alu instid0(VALU_DEP_1)
	v_cmpx_ne_u16_e32 0, v2
	s_cbranch_execz .LBB342_257
; %bb.250:                              ;   in Loop: Header=BB342_9 Depth=1
	v_bfrev_b32_e32 v47, 1
	s_mov_b32 s18, exec_lo
	v_cmpx_ne_u16_e32 0x80, v2
	s_cbranch_execz .LBB342_256
; %bb.251:                              ;   in Loop: Header=BB342_9 Depth=1
	v_bfe_u32 v3, v0, 16, 7
	v_mov_b32_e32 v47, 0x7f800001
	s_mov_b32 s19, exec_lo
	s_delay_alu instid0(VALU_DEP_2)
	v_cmpx_ne_u32_e32 0x7f, v3
	s_cbranch_execz .LBB342_255
; %bb.252:                              ;   in Loop: Header=BB342_9 Depth=1
	v_dual_lshrrev_b32 v2, 3, v3 :: v_dual_bitop2_b32 v4, 7, v1 bitop3:0x40
	s_mov_b32 s20, exec_lo
	s_delay_alu instid0(VALU_DEP_1)
	v_mov_b64_e32 v[24:25], v[4:5]
	v_cmpx_gt_u32_e32 8, v3
; %bb.253:                              ;   in Loop: Header=BB342_9 Depth=1
	v_clz_i32_u32_e32 v2, v4
	s_delay_alu instid0(VALU_DEP_1) | instskip(NEXT) | instid1(VALU_DEP_1)
	v_min_u32_e32 v2, 32, v2
	v_subrev_nc_u32_e32 v3, 28, v2
	v_sub_nc_u32_e32 v2, 29, v2
	s_delay_alu instid0(VALU_DEP_2) | instskip(NEXT) | instid1(VALU_DEP_1)
	v_lshlrev_b64_e32 v[6:7], v3, v[4:5]
	v_and_b32_e32 v24, 7, v6
; %bb.254:                              ;   in Loop: Header=BB342_9 Depth=1
	s_or_b32 exec_lo, exec_lo, s20
	s_delay_alu instid0(VALU_DEP_1) | instskip(SKIP_1) | instid1(VALU_DEP_2)
	v_dual_lshlrev_b32 v1, 24, v1 :: v_dual_lshlrev_b32 v3, 20, v24
	v_lshl_add_u32 v2, v2, 23, 0x3c000000
	v_and_b32_e32 v1, 0x80000000, v1
	s_delay_alu instid0(VALU_DEP_1)
	v_or3_b32 v47, v3, v1, v2
.LBB342_255:                            ;   in Loop: Header=BB342_9 Depth=1
	s_or_b32 exec_lo, exec_lo, s19
.LBB342_256:                            ;   in Loop: Header=BB342_9 Depth=1
	s_delay_alu instid0(SALU_CYCLE_1)
	s_or_b32 exec_lo, exec_lo, s18
.LBB342_257:                            ;   in Loop: Header=BB342_9 Depth=1
	s_delay_alu instid0(SALU_CYCLE_1) | instskip(NEXT) | instid1(SALU_CYCLE_1)
	s_or_b32 exec_lo, exec_lo, s11
	s_mov_b32 s11, exec_lo
	v_cmpx_lt_u32_e32 0xffffff, v0
	s_cbranch_execz .LBB342_265
; %bb.258:                              ;   in Loop: Header=BB342_9 Depth=1
	v_lshrrev_b32_e32 v1, 24, v0
	v_bfrev_b32_e32 v46, 1
	s_mov_b32 s18, exec_lo
	s_delay_alu instid0(VALU_DEP_2)
	v_cmpx_ne_u32_e32 0x80, v1
	s_cbranch_execz .LBB342_264
; %bb.259:                              ;   in Loop: Header=BB342_9 Depth=1
	v_bfe_u32 v2, v0, 24, 7
	v_mov_b32_e32 v46, 0x7f800001
	s_mov_b32 s19, exec_lo
	s_delay_alu instid0(VALU_DEP_2)
	v_cmpx_ne_u32_e32 0x7f, v2
	s_cbranch_execz .LBB342_263
; %bb.260:                              ;   in Loop: Header=BB342_9 Depth=1
	v_dual_lshrrev_b32 v0, 3, v2 :: v_dual_bitop2_b32 v4, 7, v1 bitop3:0x40
	s_mov_b32 s20, exec_lo
	s_delay_alu instid0(VALU_DEP_1)
	v_mov_b64_e32 v[24:25], v[4:5]
	v_cmpx_gt_u32_e32 8, v2
; %bb.261:                              ;   in Loop: Header=BB342_9 Depth=1
	v_clz_i32_u32_e32 v0, v4
	s_delay_alu instid0(VALU_DEP_1) | instskip(NEXT) | instid1(VALU_DEP_1)
	v_min_u32_e32 v0, 32, v0
	v_subrev_nc_u32_e32 v2, 28, v0
	s_delay_alu instid0(VALU_DEP_1) | instskip(NEXT) | instid1(VALU_DEP_1)
	v_lshlrev_b64_e32 v[2:3], v2, v[4:5]
	v_dual_sub_nc_u32 v0, 29, v0 :: v_dual_bitop2_b32 v24, 7, v2 bitop3:0x40
; %bb.262:                              ;   in Loop: Header=BB342_9 Depth=1
	s_or_b32 exec_lo, exec_lo, s20
	s_delay_alu instid0(VALU_DEP_1) | instskip(NEXT) | instid1(VALU_DEP_2)
	v_dual_lshlrev_b32 v1, 24, v1 :: v_dual_lshlrev_b32 v2, 20, v24
	v_lshl_add_u32 v0, v0, 23, 0x3c000000
	s_delay_alu instid0(VALU_DEP_2) | instskip(NEXT) | instid1(VALU_DEP_1)
	v_and_b32_e32 v1, 0x80000000, v1
	v_or3_b32 v46, v2, v1, v0
.LBB342_263:                            ;   in Loop: Header=BB342_9 Depth=1
	s_or_b32 exec_lo, exec_lo, s19
.LBB342_264:                            ;   in Loop: Header=BB342_9 Depth=1
	s_delay_alu instid0(SALU_CYCLE_1)
	s_or_b32 exec_lo, exec_lo, s18
.LBB342_265:                            ;   in Loop: Header=BB342_9 Depth=1
	s_delay_alu instid0(SALU_CYCLE_1)
	s_or_b32 exec_lo, exec_lo, s11
	flat_load_b32 v0, v[16:17] offset:1024
	v_dual_mov_b32 v56, 0 :: v_dual_mov_b32 v57, 0
	s_mov_b32 s11, exec_lo
	s_wait_loadcnt_dscnt 0x0
	v_and_b32_e32 v1, 0xff, v0
	s_wait_xcnt 0x0
	s_delay_alu instid0(VALU_DEP_1)
	v_cmpx_ne_u16_e32 0, v1
	s_cbranch_execz .LBB342_273
; %bb.266:                              ;   in Loop: Header=BB342_9 Depth=1
	v_bfrev_b32_e32 v57, 1
	s_mov_b32 s18, exec_lo
	v_cmpx_ne_u16_e32 0x80, v1
	s_cbranch_execz .LBB342_272
; %bb.267:                              ;   in Loop: Header=BB342_9 Depth=1
	v_and_b32_e32 v2, 0x7f, v0
	v_mov_b32_e32 v57, 0x7f800001
	s_mov_b32 s19, exec_lo
	s_delay_alu instid0(VALU_DEP_2)
	v_cmpx_ne_u32_e32 0x7f, v2
	s_cbranch_execz .LBB342_271
; %bb.268:                              ;   in Loop: Header=BB342_9 Depth=1
	v_dual_lshrrev_b32 v1, 3, v2 :: v_dual_bitop2_b32 v4, 7, v0 bitop3:0x40
	s_mov_b32 s20, exec_lo
	s_delay_alu instid0(VALU_DEP_1)
	v_mov_b64_e32 v[24:25], v[4:5]
	v_cmpx_gt_u32_e32 8, v2
; %bb.269:                              ;   in Loop: Header=BB342_9 Depth=1
	v_clz_i32_u32_e32 v1, v4
	s_delay_alu instid0(VALU_DEP_1) | instskip(NEXT) | instid1(VALU_DEP_1)
	v_min_u32_e32 v1, 32, v1
	v_subrev_nc_u32_e32 v2, 28, v1
	s_delay_alu instid0(VALU_DEP_1) | instskip(NEXT) | instid1(VALU_DEP_1)
	v_lshlrev_b64_e32 v[2:3], v2, v[4:5]
	v_dual_sub_nc_u32 v1, 29, v1 :: v_dual_bitop2_b32 v24, 7, v2 bitop3:0x40
; %bb.270:                              ;   in Loop: Header=BB342_9 Depth=1
	s_or_b32 exec_lo, exec_lo, s20
	v_lshlrev_b32_e32 v2, 24, v0
	s_delay_alu instid0(VALU_DEP_2) | instskip(NEXT) | instid1(VALU_DEP_3)
	v_lshlrev_b32_e32 v3, 20, v24
	v_lshl_add_u32 v1, v1, 23, 0x3c000000
	s_delay_alu instid0(VALU_DEP_3) | instskip(NEXT) | instid1(VALU_DEP_1)
	v_and_b32_e32 v2, 0x80000000, v2
	v_or3_b32 v57, v3, v2, v1
.LBB342_271:                            ;   in Loop: Header=BB342_9 Depth=1
	s_or_b32 exec_lo, exec_lo, s19
.LBB342_272:                            ;   in Loop: Header=BB342_9 Depth=1
	s_delay_alu instid0(SALU_CYCLE_1)
	s_or_b32 exec_lo, exec_lo, s18
.LBB342_273:                            ;   in Loop: Header=BB342_9 Depth=1
	s_delay_alu instid0(SALU_CYCLE_1) | instskip(SKIP_2) | instid1(VALU_DEP_1)
	s_or_b32 exec_lo, exec_lo, s11
	v_lshrrev_b16 v1, 8, v0
	s_mov_b32 s11, exec_lo
	v_cmpx_ne_u16_e32 0, v1
	s_cbranch_execz .LBB342_281
; %bb.274:                              ;   in Loop: Header=BB342_9 Depth=1
	v_bfrev_b32_e32 v56, 1
	s_mov_b32 s18, exec_lo
	v_cmpx_ne_u16_e32 0x80, v1
	s_cbranch_execz .LBB342_280
; %bb.275:                              ;   in Loop: Header=BB342_9 Depth=1
	v_and_b32_e32 v1, 0xffff, v1
	v_mov_b32_e32 v56, 0x7f800001
	s_mov_b32 s19, exec_lo
	s_delay_alu instid0(VALU_DEP_2) | instskip(NEXT) | instid1(VALU_DEP_1)
	v_and_b32_e32 v2, 0x7f, v1
	v_cmpx_ne_u32_e32 0x7f, v2
	s_cbranch_execz .LBB342_279
; %bb.276:                              ;   in Loop: Header=BB342_9 Depth=1
	v_dual_lshrrev_b32 v1, 3, v2 :: v_dual_bitop2_b32 v4, 7, v1 bitop3:0x40
	s_mov_b32 s20, exec_lo
	s_delay_alu instid0(VALU_DEP_1)
	v_mov_b64_e32 v[24:25], v[4:5]
	v_cmpx_gt_u32_e32 8, v2
; %bb.277:                              ;   in Loop: Header=BB342_9 Depth=1
	v_clz_i32_u32_e32 v1, v4
	s_delay_alu instid0(VALU_DEP_1) | instskip(NEXT) | instid1(VALU_DEP_1)
	v_min_u32_e32 v1, 32, v1
	v_subrev_nc_u32_e32 v2, 28, v1
	s_delay_alu instid0(VALU_DEP_1) | instskip(NEXT) | instid1(VALU_DEP_1)
	v_lshlrev_b64_e32 v[2:3], v2, v[4:5]
	v_dual_sub_nc_u32 v1, 29, v1 :: v_dual_bitop2_b32 v24, 7, v2 bitop3:0x40
; %bb.278:                              ;   in Loop: Header=BB342_9 Depth=1
	s_or_b32 exec_lo, exec_lo, s20
	v_lshlrev_b32_e32 v2, 16, v0
	s_delay_alu instid0(VALU_DEP_2) | instskip(NEXT) | instid1(VALU_DEP_3)
	v_lshlrev_b32_e32 v3, 20, v24
	v_lshl_add_u32 v1, v1, 23, 0x3c000000
	s_delay_alu instid0(VALU_DEP_3) | instskip(NEXT) | instid1(VALU_DEP_1)
	v_and_b32_e32 v2, 0x80000000, v2
	v_or3_b32 v56, v3, v2, v1
.LBB342_279:                            ;   in Loop: Header=BB342_9 Depth=1
	s_or_b32 exec_lo, exec_lo, s19
.LBB342_280:                            ;   in Loop: Header=BB342_9 Depth=1
	s_delay_alu instid0(SALU_CYCLE_1)
	s_or_b32 exec_lo, exec_lo, s18
.LBB342_281:                            ;   in Loop: Header=BB342_9 Depth=1
	s_delay_alu instid0(SALU_CYCLE_1) | instskip(SKIP_3) | instid1(VALU_DEP_2)
	s_or_b32 exec_lo, exec_lo, s11
	v_dual_mov_b32 v58, 0 :: v_dual_lshrrev_b32 v1, 16, v0
	v_mov_b32_e32 v59, 0
	s_mov_b32 s11, exec_lo
	v_and_b32_e32 v2, 0xff, v1
	s_delay_alu instid0(VALU_DEP_1)
	v_cmpx_ne_u16_e32 0, v2
	s_cbranch_execz .LBB342_289
; %bb.282:                              ;   in Loop: Header=BB342_9 Depth=1
	v_bfrev_b32_e32 v59, 1
	s_mov_b32 s18, exec_lo
	v_cmpx_ne_u16_e32 0x80, v2
	s_cbranch_execz .LBB342_288
; %bb.283:                              ;   in Loop: Header=BB342_9 Depth=1
	v_bfe_u32 v3, v0, 16, 7
	v_mov_b32_e32 v59, 0x7f800001
	s_mov_b32 s19, exec_lo
	s_delay_alu instid0(VALU_DEP_2)
	v_cmpx_ne_u32_e32 0x7f, v3
	s_cbranch_execz .LBB342_287
; %bb.284:                              ;   in Loop: Header=BB342_9 Depth=1
	v_dual_lshrrev_b32 v2, 3, v3 :: v_dual_bitop2_b32 v4, 7, v1 bitop3:0x40
	s_mov_b32 s20, exec_lo
	s_delay_alu instid0(VALU_DEP_1)
	v_mov_b64_e32 v[24:25], v[4:5]
	v_cmpx_gt_u32_e32 8, v3
; %bb.285:                              ;   in Loop: Header=BB342_9 Depth=1
	v_clz_i32_u32_e32 v2, v4
	s_delay_alu instid0(VALU_DEP_1) | instskip(NEXT) | instid1(VALU_DEP_1)
	v_min_u32_e32 v2, 32, v2
	v_subrev_nc_u32_e32 v3, 28, v2
	v_sub_nc_u32_e32 v2, 29, v2
	s_delay_alu instid0(VALU_DEP_2) | instskip(NEXT) | instid1(VALU_DEP_1)
	v_lshlrev_b64_e32 v[6:7], v3, v[4:5]
	v_and_b32_e32 v24, 7, v6
; %bb.286:                              ;   in Loop: Header=BB342_9 Depth=1
	s_or_b32 exec_lo, exec_lo, s20
	s_delay_alu instid0(VALU_DEP_1) | instskip(SKIP_1) | instid1(VALU_DEP_2)
	v_dual_lshlrev_b32 v1, 24, v1 :: v_dual_lshlrev_b32 v3, 20, v24
	v_lshl_add_u32 v2, v2, 23, 0x3c000000
	v_and_b32_e32 v1, 0x80000000, v1
	s_delay_alu instid0(VALU_DEP_1)
	v_or3_b32 v59, v3, v1, v2
.LBB342_287:                            ;   in Loop: Header=BB342_9 Depth=1
	s_or_b32 exec_lo, exec_lo, s19
.LBB342_288:                            ;   in Loop: Header=BB342_9 Depth=1
	s_delay_alu instid0(SALU_CYCLE_1)
	s_or_b32 exec_lo, exec_lo, s18
.LBB342_289:                            ;   in Loop: Header=BB342_9 Depth=1
	s_delay_alu instid0(SALU_CYCLE_1) | instskip(NEXT) | instid1(SALU_CYCLE_1)
	s_or_b32 exec_lo, exec_lo, s11
	s_mov_b32 s11, exec_lo
	v_cmpx_lt_u32_e32 0xffffff, v0
	s_cbranch_execz .LBB342_297
; %bb.290:                              ;   in Loop: Header=BB342_9 Depth=1
	v_lshrrev_b32_e32 v1, 24, v0
	v_bfrev_b32_e32 v58, 1
	s_mov_b32 s18, exec_lo
	s_delay_alu instid0(VALU_DEP_2)
	v_cmpx_ne_u32_e32 0x80, v1
	s_cbranch_execz .LBB342_296
; %bb.291:                              ;   in Loop: Header=BB342_9 Depth=1
	v_bfe_u32 v2, v0, 24, 7
	v_mov_b32_e32 v58, 0x7f800001
	s_mov_b32 s19, exec_lo
	s_delay_alu instid0(VALU_DEP_2)
	v_cmpx_ne_u32_e32 0x7f, v2
	s_cbranch_execz .LBB342_295
; %bb.292:                              ;   in Loop: Header=BB342_9 Depth=1
	v_dual_lshrrev_b32 v0, 3, v2 :: v_dual_bitop2_b32 v4, 7, v1 bitop3:0x40
	s_mov_b32 s20, exec_lo
	s_delay_alu instid0(VALU_DEP_1)
	v_mov_b64_e32 v[24:25], v[4:5]
	v_cmpx_gt_u32_e32 8, v2
; %bb.293:                              ;   in Loop: Header=BB342_9 Depth=1
	v_clz_i32_u32_e32 v0, v4
	s_delay_alu instid0(VALU_DEP_1) | instskip(NEXT) | instid1(VALU_DEP_1)
	v_min_u32_e32 v0, 32, v0
	v_subrev_nc_u32_e32 v2, 28, v0
	s_delay_alu instid0(VALU_DEP_1) | instskip(NEXT) | instid1(VALU_DEP_1)
	v_lshlrev_b64_e32 v[2:3], v2, v[4:5]
	v_dual_sub_nc_u32 v0, 29, v0 :: v_dual_bitop2_b32 v24, 7, v2 bitop3:0x40
; %bb.294:                              ;   in Loop: Header=BB342_9 Depth=1
	s_or_b32 exec_lo, exec_lo, s20
	s_delay_alu instid0(VALU_DEP_1) | instskip(NEXT) | instid1(VALU_DEP_2)
	v_dual_lshlrev_b32 v1, 24, v1 :: v_dual_lshlrev_b32 v2, 20, v24
	v_lshl_add_u32 v0, v0, 23, 0x3c000000
	s_delay_alu instid0(VALU_DEP_2) | instskip(NEXT) | instid1(VALU_DEP_1)
	v_and_b32_e32 v1, 0x80000000, v1
	v_or3_b32 v58, v2, v1, v0
.LBB342_295:                            ;   in Loop: Header=BB342_9 Depth=1
	s_or_b32 exec_lo, exec_lo, s19
.LBB342_296:                            ;   in Loop: Header=BB342_9 Depth=1
	s_delay_alu instid0(SALU_CYCLE_1)
	s_or_b32 exec_lo, exec_lo, s18
.LBB342_297:                            ;   in Loop: Header=BB342_9 Depth=1
	s_delay_alu instid0(SALU_CYCLE_1)
	s_or_b32 exec_lo, exec_lo, s11
	flat_load_b32 v0, v[16:17] offset:1032
	v_dual_mov_b32 v60, 0 :: v_dual_mov_b32 v61, 0
	s_mov_b32 s11, exec_lo
	s_wait_loadcnt_dscnt 0x0
	v_and_b32_e32 v1, 0xff, v0
	s_wait_xcnt 0x0
	s_delay_alu instid0(VALU_DEP_1)
	v_cmpx_ne_u16_e32 0, v1
	s_cbranch_execz .LBB342_305
; %bb.298:                              ;   in Loop: Header=BB342_9 Depth=1
	v_bfrev_b32_e32 v61, 1
	s_mov_b32 s18, exec_lo
	v_cmpx_ne_u16_e32 0x80, v1
	s_cbranch_execz .LBB342_304
; %bb.299:                              ;   in Loop: Header=BB342_9 Depth=1
	v_and_b32_e32 v2, 0x7f, v0
	v_mov_b32_e32 v61, 0x7f800001
	s_mov_b32 s19, exec_lo
	s_delay_alu instid0(VALU_DEP_2)
	v_cmpx_ne_u32_e32 0x7f, v2
	s_cbranch_execz .LBB342_303
; %bb.300:                              ;   in Loop: Header=BB342_9 Depth=1
	v_dual_lshrrev_b32 v1, 3, v2 :: v_dual_bitop2_b32 v4, 7, v0 bitop3:0x40
	s_mov_b32 s20, exec_lo
	s_delay_alu instid0(VALU_DEP_1)
	v_mov_b64_e32 v[24:25], v[4:5]
	v_cmpx_gt_u32_e32 8, v2
; %bb.301:                              ;   in Loop: Header=BB342_9 Depth=1
	v_clz_i32_u32_e32 v1, v4
	s_delay_alu instid0(VALU_DEP_1) | instskip(NEXT) | instid1(VALU_DEP_1)
	v_min_u32_e32 v1, 32, v1
	v_subrev_nc_u32_e32 v2, 28, v1
	s_delay_alu instid0(VALU_DEP_1) | instskip(NEXT) | instid1(VALU_DEP_1)
	v_lshlrev_b64_e32 v[2:3], v2, v[4:5]
	v_dual_sub_nc_u32 v1, 29, v1 :: v_dual_bitop2_b32 v24, 7, v2 bitop3:0x40
; %bb.302:                              ;   in Loop: Header=BB342_9 Depth=1
	s_or_b32 exec_lo, exec_lo, s20
	v_lshlrev_b32_e32 v2, 24, v0
	s_delay_alu instid0(VALU_DEP_2) | instskip(NEXT) | instid1(VALU_DEP_3)
	v_lshlrev_b32_e32 v3, 20, v24
	v_lshl_add_u32 v1, v1, 23, 0x3c000000
	s_delay_alu instid0(VALU_DEP_3) | instskip(NEXT) | instid1(VALU_DEP_1)
	v_and_b32_e32 v2, 0x80000000, v2
	v_or3_b32 v61, v3, v2, v1
.LBB342_303:                            ;   in Loop: Header=BB342_9 Depth=1
	s_or_b32 exec_lo, exec_lo, s19
.LBB342_304:                            ;   in Loop: Header=BB342_9 Depth=1
	s_delay_alu instid0(SALU_CYCLE_1)
	s_or_b32 exec_lo, exec_lo, s18
.LBB342_305:                            ;   in Loop: Header=BB342_9 Depth=1
	s_delay_alu instid0(SALU_CYCLE_1) | instskip(SKIP_2) | instid1(VALU_DEP_1)
	s_or_b32 exec_lo, exec_lo, s11
	v_lshrrev_b16 v1, 8, v0
	s_mov_b32 s11, exec_lo
	v_cmpx_ne_u16_e32 0, v1
	s_cbranch_execz .LBB342_313
; %bb.306:                              ;   in Loop: Header=BB342_9 Depth=1
	v_bfrev_b32_e32 v60, 1
	s_mov_b32 s18, exec_lo
	v_cmpx_ne_u16_e32 0x80, v1
	s_cbranch_execz .LBB342_312
; %bb.307:                              ;   in Loop: Header=BB342_9 Depth=1
	v_and_b32_e32 v1, 0xffff, v1
	v_mov_b32_e32 v60, 0x7f800001
	s_mov_b32 s19, exec_lo
	s_delay_alu instid0(VALU_DEP_2) | instskip(NEXT) | instid1(VALU_DEP_1)
	v_and_b32_e32 v2, 0x7f, v1
	v_cmpx_ne_u32_e32 0x7f, v2
	s_cbranch_execz .LBB342_311
; %bb.308:                              ;   in Loop: Header=BB342_9 Depth=1
	v_dual_lshrrev_b32 v1, 3, v2 :: v_dual_bitop2_b32 v4, 7, v1 bitop3:0x40
	s_mov_b32 s20, exec_lo
	s_delay_alu instid0(VALU_DEP_1)
	v_mov_b64_e32 v[24:25], v[4:5]
	v_cmpx_gt_u32_e32 8, v2
; %bb.309:                              ;   in Loop: Header=BB342_9 Depth=1
	v_clz_i32_u32_e32 v1, v4
	s_delay_alu instid0(VALU_DEP_1) | instskip(NEXT) | instid1(VALU_DEP_1)
	v_min_u32_e32 v1, 32, v1
	v_subrev_nc_u32_e32 v2, 28, v1
	s_delay_alu instid0(VALU_DEP_1) | instskip(NEXT) | instid1(VALU_DEP_1)
	v_lshlrev_b64_e32 v[2:3], v2, v[4:5]
	v_dual_sub_nc_u32 v1, 29, v1 :: v_dual_bitop2_b32 v24, 7, v2 bitop3:0x40
; %bb.310:                              ;   in Loop: Header=BB342_9 Depth=1
	s_or_b32 exec_lo, exec_lo, s20
	v_lshlrev_b32_e32 v2, 16, v0
	s_delay_alu instid0(VALU_DEP_2) | instskip(NEXT) | instid1(VALU_DEP_3)
	v_lshlrev_b32_e32 v3, 20, v24
	v_lshl_add_u32 v1, v1, 23, 0x3c000000
	s_delay_alu instid0(VALU_DEP_3) | instskip(NEXT) | instid1(VALU_DEP_1)
	v_and_b32_e32 v2, 0x80000000, v2
	v_or3_b32 v60, v3, v2, v1
.LBB342_311:                            ;   in Loop: Header=BB342_9 Depth=1
	s_or_b32 exec_lo, exec_lo, s19
.LBB342_312:                            ;   in Loop: Header=BB342_9 Depth=1
	s_delay_alu instid0(SALU_CYCLE_1)
	s_or_b32 exec_lo, exec_lo, s18
.LBB342_313:                            ;   in Loop: Header=BB342_9 Depth=1
	s_delay_alu instid0(SALU_CYCLE_1) | instskip(SKIP_3) | instid1(VALU_DEP_2)
	s_or_b32 exec_lo, exec_lo, s11
	v_dual_mov_b32 v62, 0 :: v_dual_lshrrev_b32 v1, 16, v0
	v_mov_b32_e32 v63, 0
	s_mov_b32 s11, exec_lo
	v_and_b32_e32 v2, 0xff, v1
	s_delay_alu instid0(VALU_DEP_1)
	v_cmpx_ne_u16_e32 0, v2
	s_cbranch_execz .LBB342_321
; %bb.314:                              ;   in Loop: Header=BB342_9 Depth=1
	v_bfrev_b32_e32 v63, 1
	s_mov_b32 s18, exec_lo
	v_cmpx_ne_u16_e32 0x80, v2
	s_cbranch_execz .LBB342_320
; %bb.315:                              ;   in Loop: Header=BB342_9 Depth=1
	v_bfe_u32 v3, v0, 16, 7
	v_mov_b32_e32 v63, 0x7f800001
	s_mov_b32 s19, exec_lo
	s_delay_alu instid0(VALU_DEP_2)
	v_cmpx_ne_u32_e32 0x7f, v3
	s_cbranch_execz .LBB342_319
; %bb.316:                              ;   in Loop: Header=BB342_9 Depth=1
	v_dual_lshrrev_b32 v2, 3, v3 :: v_dual_bitop2_b32 v4, 7, v1 bitop3:0x40
	s_mov_b32 s20, exec_lo
	s_delay_alu instid0(VALU_DEP_1)
	v_mov_b64_e32 v[24:25], v[4:5]
	v_cmpx_gt_u32_e32 8, v3
; %bb.317:                              ;   in Loop: Header=BB342_9 Depth=1
	v_clz_i32_u32_e32 v2, v4
	s_delay_alu instid0(VALU_DEP_1) | instskip(NEXT) | instid1(VALU_DEP_1)
	v_min_u32_e32 v2, 32, v2
	v_subrev_nc_u32_e32 v3, 28, v2
	v_sub_nc_u32_e32 v2, 29, v2
	s_delay_alu instid0(VALU_DEP_2) | instskip(NEXT) | instid1(VALU_DEP_1)
	v_lshlrev_b64_e32 v[6:7], v3, v[4:5]
	v_and_b32_e32 v24, 7, v6
; %bb.318:                              ;   in Loop: Header=BB342_9 Depth=1
	s_or_b32 exec_lo, exec_lo, s20
	s_delay_alu instid0(VALU_DEP_1) | instskip(SKIP_1) | instid1(VALU_DEP_2)
	v_dual_lshlrev_b32 v1, 24, v1 :: v_dual_lshlrev_b32 v3, 20, v24
	v_lshl_add_u32 v2, v2, 23, 0x3c000000
	v_and_b32_e32 v1, 0x80000000, v1
	s_delay_alu instid0(VALU_DEP_1)
	v_or3_b32 v63, v3, v1, v2
.LBB342_319:                            ;   in Loop: Header=BB342_9 Depth=1
	s_or_b32 exec_lo, exec_lo, s19
.LBB342_320:                            ;   in Loop: Header=BB342_9 Depth=1
	s_delay_alu instid0(SALU_CYCLE_1)
	s_or_b32 exec_lo, exec_lo, s18
.LBB342_321:                            ;   in Loop: Header=BB342_9 Depth=1
	s_delay_alu instid0(SALU_CYCLE_1) | instskip(NEXT) | instid1(SALU_CYCLE_1)
	s_or_b32 exec_lo, exec_lo, s11
	s_mov_b32 s11, exec_lo
	v_cmpx_lt_u32_e32 0xffffff, v0
	s_cbranch_execz .LBB342_329
; %bb.322:                              ;   in Loop: Header=BB342_9 Depth=1
	v_lshrrev_b32_e32 v1, 24, v0
	v_bfrev_b32_e32 v62, 1
	s_mov_b32 s18, exec_lo
	s_delay_alu instid0(VALU_DEP_2)
	v_cmpx_ne_u32_e32 0x80, v1
	s_cbranch_execz .LBB342_328
; %bb.323:                              ;   in Loop: Header=BB342_9 Depth=1
	v_bfe_u32 v2, v0, 24, 7
	v_mov_b32_e32 v62, 0x7f800001
	s_mov_b32 s19, exec_lo
	s_delay_alu instid0(VALU_DEP_2)
	v_cmpx_ne_u32_e32 0x7f, v2
	s_cbranch_execz .LBB342_327
; %bb.324:                              ;   in Loop: Header=BB342_9 Depth=1
	v_dual_lshrrev_b32 v0, 3, v2 :: v_dual_bitop2_b32 v4, 7, v1 bitop3:0x40
	s_mov_b32 s20, exec_lo
	s_delay_alu instid0(VALU_DEP_1)
	v_mov_b64_e32 v[24:25], v[4:5]
	v_cmpx_gt_u32_e32 8, v2
; %bb.325:                              ;   in Loop: Header=BB342_9 Depth=1
	v_clz_i32_u32_e32 v0, v4
	s_delay_alu instid0(VALU_DEP_1) | instskip(NEXT) | instid1(VALU_DEP_1)
	v_min_u32_e32 v0, 32, v0
	v_subrev_nc_u32_e32 v2, 28, v0
	s_delay_alu instid0(VALU_DEP_1) | instskip(NEXT) | instid1(VALU_DEP_1)
	v_lshlrev_b64_e32 v[2:3], v2, v[4:5]
	v_dual_sub_nc_u32 v0, 29, v0 :: v_dual_bitop2_b32 v24, 7, v2 bitop3:0x40
; %bb.326:                              ;   in Loop: Header=BB342_9 Depth=1
	s_or_b32 exec_lo, exec_lo, s20
	s_delay_alu instid0(VALU_DEP_1) | instskip(NEXT) | instid1(VALU_DEP_2)
	v_dual_lshlrev_b32 v1, 24, v1 :: v_dual_lshlrev_b32 v2, 20, v24
	v_lshl_add_u32 v0, v0, 23, 0x3c000000
	s_delay_alu instid0(VALU_DEP_2) | instskip(NEXT) | instid1(VALU_DEP_1)
	v_and_b32_e32 v1, 0x80000000, v1
	v_or3_b32 v62, v2, v1, v0
.LBB342_327:                            ;   in Loop: Header=BB342_9 Depth=1
	s_or_b32 exec_lo, exec_lo, s19
.LBB342_328:                            ;   in Loop: Header=BB342_9 Depth=1
	s_delay_alu instid0(SALU_CYCLE_1)
	s_or_b32 exec_lo, exec_lo, s18
.LBB342_329:                            ;   in Loop: Header=BB342_9 Depth=1
	s_delay_alu instid0(SALU_CYCLE_1)
	s_or_b32 exec_lo, exec_lo, s11
	flat_load_b32 v0, v[16:17] offset:1280
	v_dual_mov_b32 v72, 0 :: v_dual_mov_b32 v73, 0
	s_mov_b32 s11, exec_lo
	s_wait_loadcnt_dscnt 0x0
	v_and_b32_e32 v1, 0xff, v0
	s_wait_xcnt 0x0
	s_delay_alu instid0(VALU_DEP_1)
	v_cmpx_ne_u16_e32 0, v1
	s_cbranch_execz .LBB342_337
; %bb.330:                              ;   in Loop: Header=BB342_9 Depth=1
	v_bfrev_b32_e32 v73, 1
	s_mov_b32 s18, exec_lo
	v_cmpx_ne_u16_e32 0x80, v1
	s_cbranch_execz .LBB342_336
; %bb.331:                              ;   in Loop: Header=BB342_9 Depth=1
	v_and_b32_e32 v2, 0x7f, v0
	v_mov_b32_e32 v73, 0x7f800001
	s_mov_b32 s19, exec_lo
	s_delay_alu instid0(VALU_DEP_2)
	v_cmpx_ne_u32_e32 0x7f, v2
	s_cbranch_execz .LBB342_335
; %bb.332:                              ;   in Loop: Header=BB342_9 Depth=1
	v_dual_lshrrev_b32 v1, 3, v2 :: v_dual_bitop2_b32 v4, 7, v0 bitop3:0x40
	s_mov_b32 s20, exec_lo
	s_delay_alu instid0(VALU_DEP_1)
	v_mov_b64_e32 v[24:25], v[4:5]
	v_cmpx_gt_u32_e32 8, v2
; %bb.333:                              ;   in Loop: Header=BB342_9 Depth=1
	v_clz_i32_u32_e32 v1, v4
	s_delay_alu instid0(VALU_DEP_1) | instskip(NEXT) | instid1(VALU_DEP_1)
	v_min_u32_e32 v1, 32, v1
	v_subrev_nc_u32_e32 v2, 28, v1
	s_delay_alu instid0(VALU_DEP_1) | instskip(NEXT) | instid1(VALU_DEP_1)
	v_lshlrev_b64_e32 v[2:3], v2, v[4:5]
	v_dual_sub_nc_u32 v1, 29, v1 :: v_dual_bitop2_b32 v24, 7, v2 bitop3:0x40
; %bb.334:                              ;   in Loop: Header=BB342_9 Depth=1
	s_or_b32 exec_lo, exec_lo, s20
	v_lshlrev_b32_e32 v2, 24, v0
	s_delay_alu instid0(VALU_DEP_2) | instskip(NEXT) | instid1(VALU_DEP_3)
	v_lshlrev_b32_e32 v3, 20, v24
	v_lshl_add_u32 v1, v1, 23, 0x3c000000
	s_delay_alu instid0(VALU_DEP_3) | instskip(NEXT) | instid1(VALU_DEP_1)
	v_and_b32_e32 v2, 0x80000000, v2
	v_or3_b32 v73, v3, v2, v1
.LBB342_335:                            ;   in Loop: Header=BB342_9 Depth=1
	s_or_b32 exec_lo, exec_lo, s19
.LBB342_336:                            ;   in Loop: Header=BB342_9 Depth=1
	s_delay_alu instid0(SALU_CYCLE_1)
	s_or_b32 exec_lo, exec_lo, s18
.LBB342_337:                            ;   in Loop: Header=BB342_9 Depth=1
	s_delay_alu instid0(SALU_CYCLE_1) | instskip(SKIP_2) | instid1(VALU_DEP_1)
	s_or_b32 exec_lo, exec_lo, s11
	v_lshrrev_b16 v1, 8, v0
	s_mov_b32 s11, exec_lo
	v_cmpx_ne_u16_e32 0, v1
	s_cbranch_execz .LBB342_345
; %bb.338:                              ;   in Loop: Header=BB342_9 Depth=1
	v_bfrev_b32_e32 v72, 1
	s_mov_b32 s18, exec_lo
	v_cmpx_ne_u16_e32 0x80, v1
	s_cbranch_execz .LBB342_344
; %bb.339:                              ;   in Loop: Header=BB342_9 Depth=1
	v_and_b32_e32 v1, 0xffff, v1
	v_mov_b32_e32 v72, 0x7f800001
	s_mov_b32 s19, exec_lo
	s_delay_alu instid0(VALU_DEP_2) | instskip(NEXT) | instid1(VALU_DEP_1)
	v_and_b32_e32 v2, 0x7f, v1
	v_cmpx_ne_u32_e32 0x7f, v2
	s_cbranch_execz .LBB342_343
; %bb.340:                              ;   in Loop: Header=BB342_9 Depth=1
	v_dual_lshrrev_b32 v1, 3, v2 :: v_dual_bitop2_b32 v4, 7, v1 bitop3:0x40
	s_mov_b32 s20, exec_lo
	s_delay_alu instid0(VALU_DEP_1)
	v_mov_b64_e32 v[24:25], v[4:5]
	v_cmpx_gt_u32_e32 8, v2
; %bb.341:                              ;   in Loop: Header=BB342_9 Depth=1
	v_clz_i32_u32_e32 v1, v4
	s_delay_alu instid0(VALU_DEP_1) | instskip(NEXT) | instid1(VALU_DEP_1)
	v_min_u32_e32 v1, 32, v1
	v_subrev_nc_u32_e32 v2, 28, v1
	s_delay_alu instid0(VALU_DEP_1) | instskip(NEXT) | instid1(VALU_DEP_1)
	v_lshlrev_b64_e32 v[2:3], v2, v[4:5]
	v_dual_sub_nc_u32 v1, 29, v1 :: v_dual_bitop2_b32 v24, 7, v2 bitop3:0x40
; %bb.342:                              ;   in Loop: Header=BB342_9 Depth=1
	s_or_b32 exec_lo, exec_lo, s20
	v_lshlrev_b32_e32 v2, 16, v0
	s_delay_alu instid0(VALU_DEP_2) | instskip(NEXT) | instid1(VALU_DEP_3)
	v_lshlrev_b32_e32 v3, 20, v24
	v_lshl_add_u32 v1, v1, 23, 0x3c000000
	s_delay_alu instid0(VALU_DEP_3) | instskip(NEXT) | instid1(VALU_DEP_1)
	v_and_b32_e32 v2, 0x80000000, v2
	v_or3_b32 v72, v3, v2, v1
.LBB342_343:                            ;   in Loop: Header=BB342_9 Depth=1
	s_or_b32 exec_lo, exec_lo, s19
.LBB342_344:                            ;   in Loop: Header=BB342_9 Depth=1
	s_delay_alu instid0(SALU_CYCLE_1)
	s_or_b32 exec_lo, exec_lo, s18
.LBB342_345:                            ;   in Loop: Header=BB342_9 Depth=1
	s_delay_alu instid0(SALU_CYCLE_1) | instskip(SKIP_3) | instid1(VALU_DEP_2)
	s_or_b32 exec_lo, exec_lo, s11
	v_dual_mov_b32 v74, 0 :: v_dual_lshrrev_b32 v1, 16, v0
	v_mov_b32_e32 v75, 0
	s_mov_b32 s11, exec_lo
	v_and_b32_e32 v2, 0xff, v1
	s_delay_alu instid0(VALU_DEP_1)
	v_cmpx_ne_u16_e32 0, v2
	s_cbranch_execz .LBB342_353
; %bb.346:                              ;   in Loop: Header=BB342_9 Depth=1
	v_bfrev_b32_e32 v75, 1
	s_mov_b32 s18, exec_lo
	v_cmpx_ne_u16_e32 0x80, v2
	s_cbranch_execz .LBB342_352
; %bb.347:                              ;   in Loop: Header=BB342_9 Depth=1
	v_bfe_u32 v3, v0, 16, 7
	v_mov_b32_e32 v75, 0x7f800001
	s_mov_b32 s19, exec_lo
	s_delay_alu instid0(VALU_DEP_2)
	v_cmpx_ne_u32_e32 0x7f, v3
	s_cbranch_execz .LBB342_351
; %bb.348:                              ;   in Loop: Header=BB342_9 Depth=1
	v_dual_lshrrev_b32 v2, 3, v3 :: v_dual_bitop2_b32 v4, 7, v1 bitop3:0x40
	s_mov_b32 s20, exec_lo
	s_delay_alu instid0(VALU_DEP_1)
	v_mov_b64_e32 v[24:25], v[4:5]
	v_cmpx_gt_u32_e32 8, v3
; %bb.349:                              ;   in Loop: Header=BB342_9 Depth=1
	v_clz_i32_u32_e32 v2, v4
	s_delay_alu instid0(VALU_DEP_1) | instskip(NEXT) | instid1(VALU_DEP_1)
	v_min_u32_e32 v2, 32, v2
	v_subrev_nc_u32_e32 v3, 28, v2
	v_sub_nc_u32_e32 v2, 29, v2
	s_delay_alu instid0(VALU_DEP_2) | instskip(NEXT) | instid1(VALU_DEP_1)
	v_lshlrev_b64_e32 v[6:7], v3, v[4:5]
	v_and_b32_e32 v24, 7, v6
; %bb.350:                              ;   in Loop: Header=BB342_9 Depth=1
	s_or_b32 exec_lo, exec_lo, s20
	s_delay_alu instid0(VALU_DEP_1) | instskip(SKIP_1) | instid1(VALU_DEP_2)
	v_dual_lshlrev_b32 v1, 24, v1 :: v_dual_lshlrev_b32 v3, 20, v24
	v_lshl_add_u32 v2, v2, 23, 0x3c000000
	v_and_b32_e32 v1, 0x80000000, v1
	s_delay_alu instid0(VALU_DEP_1)
	v_or3_b32 v75, v3, v1, v2
.LBB342_351:                            ;   in Loop: Header=BB342_9 Depth=1
	s_or_b32 exec_lo, exec_lo, s19
.LBB342_352:                            ;   in Loop: Header=BB342_9 Depth=1
	s_delay_alu instid0(SALU_CYCLE_1)
	s_or_b32 exec_lo, exec_lo, s18
.LBB342_353:                            ;   in Loop: Header=BB342_9 Depth=1
	s_delay_alu instid0(SALU_CYCLE_1) | instskip(NEXT) | instid1(SALU_CYCLE_1)
	s_or_b32 exec_lo, exec_lo, s11
	s_mov_b32 s11, exec_lo
	v_cmpx_lt_u32_e32 0xffffff, v0
	s_cbranch_execz .LBB342_361
; %bb.354:                              ;   in Loop: Header=BB342_9 Depth=1
	v_lshrrev_b32_e32 v1, 24, v0
	v_bfrev_b32_e32 v74, 1
	s_mov_b32 s18, exec_lo
	s_delay_alu instid0(VALU_DEP_2)
	v_cmpx_ne_u32_e32 0x80, v1
	s_cbranch_execz .LBB342_360
; %bb.355:                              ;   in Loop: Header=BB342_9 Depth=1
	v_bfe_u32 v2, v0, 24, 7
	v_mov_b32_e32 v74, 0x7f800001
	s_mov_b32 s19, exec_lo
	s_delay_alu instid0(VALU_DEP_2)
	v_cmpx_ne_u32_e32 0x7f, v2
	s_cbranch_execz .LBB342_359
; %bb.356:                              ;   in Loop: Header=BB342_9 Depth=1
	v_dual_lshrrev_b32 v0, 3, v2 :: v_dual_bitop2_b32 v4, 7, v1 bitop3:0x40
	s_mov_b32 s20, exec_lo
	s_delay_alu instid0(VALU_DEP_1)
	v_mov_b64_e32 v[24:25], v[4:5]
	v_cmpx_gt_u32_e32 8, v2
; %bb.357:                              ;   in Loop: Header=BB342_9 Depth=1
	v_clz_i32_u32_e32 v0, v4
	s_delay_alu instid0(VALU_DEP_1) | instskip(NEXT) | instid1(VALU_DEP_1)
	v_min_u32_e32 v0, 32, v0
	v_subrev_nc_u32_e32 v2, 28, v0
	s_delay_alu instid0(VALU_DEP_1) | instskip(NEXT) | instid1(VALU_DEP_1)
	v_lshlrev_b64_e32 v[2:3], v2, v[4:5]
	v_dual_sub_nc_u32 v0, 29, v0 :: v_dual_bitop2_b32 v24, 7, v2 bitop3:0x40
; %bb.358:                              ;   in Loop: Header=BB342_9 Depth=1
	s_or_b32 exec_lo, exec_lo, s20
	s_delay_alu instid0(VALU_DEP_1) | instskip(NEXT) | instid1(VALU_DEP_2)
	v_dual_lshlrev_b32 v1, 24, v1 :: v_dual_lshlrev_b32 v2, 20, v24
	v_lshl_add_u32 v0, v0, 23, 0x3c000000
	s_delay_alu instid0(VALU_DEP_2) | instskip(NEXT) | instid1(VALU_DEP_1)
	v_and_b32_e32 v1, 0x80000000, v1
	v_or3_b32 v74, v2, v1, v0
.LBB342_359:                            ;   in Loop: Header=BB342_9 Depth=1
	s_or_b32 exec_lo, exec_lo, s19
.LBB342_360:                            ;   in Loop: Header=BB342_9 Depth=1
	s_delay_alu instid0(SALU_CYCLE_1)
	s_or_b32 exec_lo, exec_lo, s18
.LBB342_361:                            ;   in Loop: Header=BB342_9 Depth=1
	s_delay_alu instid0(SALU_CYCLE_1)
	s_or_b32 exec_lo, exec_lo, s11
	flat_load_b32 v0, v[16:17] offset:1288
	v_dual_mov_b32 v76, 0 :: v_dual_mov_b32 v77, 0
	s_mov_b32 s11, exec_lo
	s_wait_loadcnt_dscnt 0x0
	v_and_b32_e32 v1, 0xff, v0
	s_wait_xcnt 0x0
	s_delay_alu instid0(VALU_DEP_1)
	v_cmpx_ne_u16_e32 0, v1
	s_cbranch_execz .LBB342_369
; %bb.362:                              ;   in Loop: Header=BB342_9 Depth=1
	v_bfrev_b32_e32 v77, 1
	s_mov_b32 s18, exec_lo
	v_cmpx_ne_u16_e32 0x80, v1
	s_cbranch_execz .LBB342_368
; %bb.363:                              ;   in Loop: Header=BB342_9 Depth=1
	v_and_b32_e32 v2, 0x7f, v0
	v_mov_b32_e32 v77, 0x7f800001
	s_mov_b32 s19, exec_lo
	s_delay_alu instid0(VALU_DEP_2)
	v_cmpx_ne_u32_e32 0x7f, v2
	s_cbranch_execz .LBB342_367
; %bb.364:                              ;   in Loop: Header=BB342_9 Depth=1
	v_dual_lshrrev_b32 v1, 3, v2 :: v_dual_bitop2_b32 v4, 7, v0 bitop3:0x40
	s_mov_b32 s20, exec_lo
	s_delay_alu instid0(VALU_DEP_1)
	v_mov_b64_e32 v[24:25], v[4:5]
	v_cmpx_gt_u32_e32 8, v2
; %bb.365:                              ;   in Loop: Header=BB342_9 Depth=1
	v_clz_i32_u32_e32 v1, v4
	s_delay_alu instid0(VALU_DEP_1) | instskip(NEXT) | instid1(VALU_DEP_1)
	v_min_u32_e32 v1, 32, v1
	v_subrev_nc_u32_e32 v2, 28, v1
	s_delay_alu instid0(VALU_DEP_1) | instskip(NEXT) | instid1(VALU_DEP_1)
	v_lshlrev_b64_e32 v[2:3], v2, v[4:5]
	v_dual_sub_nc_u32 v1, 29, v1 :: v_dual_bitop2_b32 v24, 7, v2 bitop3:0x40
; %bb.366:                              ;   in Loop: Header=BB342_9 Depth=1
	s_or_b32 exec_lo, exec_lo, s20
	v_lshlrev_b32_e32 v2, 24, v0
	s_delay_alu instid0(VALU_DEP_2) | instskip(NEXT) | instid1(VALU_DEP_3)
	v_lshlrev_b32_e32 v3, 20, v24
	v_lshl_add_u32 v1, v1, 23, 0x3c000000
	s_delay_alu instid0(VALU_DEP_3) | instskip(NEXT) | instid1(VALU_DEP_1)
	v_and_b32_e32 v2, 0x80000000, v2
	v_or3_b32 v77, v3, v2, v1
.LBB342_367:                            ;   in Loop: Header=BB342_9 Depth=1
	s_or_b32 exec_lo, exec_lo, s19
.LBB342_368:                            ;   in Loop: Header=BB342_9 Depth=1
	s_delay_alu instid0(SALU_CYCLE_1)
	s_or_b32 exec_lo, exec_lo, s18
.LBB342_369:                            ;   in Loop: Header=BB342_9 Depth=1
	s_delay_alu instid0(SALU_CYCLE_1) | instskip(SKIP_2) | instid1(VALU_DEP_1)
	s_or_b32 exec_lo, exec_lo, s11
	v_lshrrev_b16 v1, 8, v0
	s_mov_b32 s11, exec_lo
	v_cmpx_ne_u16_e32 0, v1
	s_cbranch_execz .LBB342_377
; %bb.370:                              ;   in Loop: Header=BB342_9 Depth=1
	v_bfrev_b32_e32 v76, 1
	s_mov_b32 s18, exec_lo
	v_cmpx_ne_u16_e32 0x80, v1
	s_cbranch_execz .LBB342_376
; %bb.371:                              ;   in Loop: Header=BB342_9 Depth=1
	v_and_b32_e32 v1, 0xffff, v1
	v_mov_b32_e32 v76, 0x7f800001
	s_mov_b32 s19, exec_lo
	s_delay_alu instid0(VALU_DEP_2) | instskip(NEXT) | instid1(VALU_DEP_1)
	v_and_b32_e32 v2, 0x7f, v1
	v_cmpx_ne_u32_e32 0x7f, v2
	s_cbranch_execz .LBB342_375
; %bb.372:                              ;   in Loop: Header=BB342_9 Depth=1
	v_dual_lshrrev_b32 v1, 3, v2 :: v_dual_bitop2_b32 v4, 7, v1 bitop3:0x40
	s_mov_b32 s20, exec_lo
	s_delay_alu instid0(VALU_DEP_1)
	v_mov_b64_e32 v[24:25], v[4:5]
	v_cmpx_gt_u32_e32 8, v2
; %bb.373:                              ;   in Loop: Header=BB342_9 Depth=1
	v_clz_i32_u32_e32 v1, v4
	s_delay_alu instid0(VALU_DEP_1) | instskip(NEXT) | instid1(VALU_DEP_1)
	v_min_u32_e32 v1, 32, v1
	v_subrev_nc_u32_e32 v2, 28, v1
	s_delay_alu instid0(VALU_DEP_1) | instskip(NEXT) | instid1(VALU_DEP_1)
	v_lshlrev_b64_e32 v[2:3], v2, v[4:5]
	v_dual_sub_nc_u32 v1, 29, v1 :: v_dual_bitop2_b32 v24, 7, v2 bitop3:0x40
; %bb.374:                              ;   in Loop: Header=BB342_9 Depth=1
	s_or_b32 exec_lo, exec_lo, s20
	v_lshlrev_b32_e32 v2, 16, v0
	s_delay_alu instid0(VALU_DEP_2) | instskip(NEXT) | instid1(VALU_DEP_3)
	v_lshlrev_b32_e32 v3, 20, v24
	v_lshl_add_u32 v1, v1, 23, 0x3c000000
	s_delay_alu instid0(VALU_DEP_3) | instskip(NEXT) | instid1(VALU_DEP_1)
	v_and_b32_e32 v2, 0x80000000, v2
	v_or3_b32 v76, v3, v2, v1
.LBB342_375:                            ;   in Loop: Header=BB342_9 Depth=1
	s_or_b32 exec_lo, exec_lo, s19
.LBB342_376:                            ;   in Loop: Header=BB342_9 Depth=1
	s_delay_alu instid0(SALU_CYCLE_1)
	s_or_b32 exec_lo, exec_lo, s18
.LBB342_377:                            ;   in Loop: Header=BB342_9 Depth=1
	s_delay_alu instid0(SALU_CYCLE_1) | instskip(SKIP_3) | instid1(VALU_DEP_2)
	s_or_b32 exec_lo, exec_lo, s11
	v_dual_mov_b32 v78, 0 :: v_dual_lshrrev_b32 v1, 16, v0
	v_mov_b32_e32 v79, 0
	s_mov_b32 s11, exec_lo
	v_and_b32_e32 v2, 0xff, v1
	s_delay_alu instid0(VALU_DEP_1)
	v_cmpx_ne_u16_e32 0, v2
	s_cbranch_execz .LBB342_385
; %bb.378:                              ;   in Loop: Header=BB342_9 Depth=1
	v_bfrev_b32_e32 v79, 1
	s_mov_b32 s18, exec_lo
	v_cmpx_ne_u16_e32 0x80, v2
	s_cbranch_execz .LBB342_384
; %bb.379:                              ;   in Loop: Header=BB342_9 Depth=1
	v_bfe_u32 v3, v0, 16, 7
	v_mov_b32_e32 v79, 0x7f800001
	s_mov_b32 s19, exec_lo
	s_delay_alu instid0(VALU_DEP_2)
	v_cmpx_ne_u32_e32 0x7f, v3
	s_cbranch_execz .LBB342_383
; %bb.380:                              ;   in Loop: Header=BB342_9 Depth=1
	v_dual_lshrrev_b32 v2, 3, v3 :: v_dual_bitop2_b32 v4, 7, v1 bitop3:0x40
	s_mov_b32 s20, exec_lo
	s_delay_alu instid0(VALU_DEP_1)
	v_mov_b64_e32 v[24:25], v[4:5]
	v_cmpx_gt_u32_e32 8, v3
; %bb.381:                              ;   in Loop: Header=BB342_9 Depth=1
	v_clz_i32_u32_e32 v2, v4
	s_delay_alu instid0(VALU_DEP_1) | instskip(NEXT) | instid1(VALU_DEP_1)
	v_min_u32_e32 v2, 32, v2
	v_subrev_nc_u32_e32 v3, 28, v2
	v_sub_nc_u32_e32 v2, 29, v2
	s_delay_alu instid0(VALU_DEP_2) | instskip(NEXT) | instid1(VALU_DEP_1)
	v_lshlrev_b64_e32 v[6:7], v3, v[4:5]
	v_and_b32_e32 v24, 7, v6
; %bb.382:                              ;   in Loop: Header=BB342_9 Depth=1
	s_or_b32 exec_lo, exec_lo, s20
	s_delay_alu instid0(VALU_DEP_1) | instskip(SKIP_1) | instid1(VALU_DEP_2)
	v_dual_lshlrev_b32 v1, 24, v1 :: v_dual_lshlrev_b32 v3, 20, v24
	v_lshl_add_u32 v2, v2, 23, 0x3c000000
	v_and_b32_e32 v1, 0x80000000, v1
	s_delay_alu instid0(VALU_DEP_1)
	v_or3_b32 v79, v3, v1, v2
.LBB342_383:                            ;   in Loop: Header=BB342_9 Depth=1
	s_or_b32 exec_lo, exec_lo, s19
.LBB342_384:                            ;   in Loop: Header=BB342_9 Depth=1
	s_delay_alu instid0(SALU_CYCLE_1)
	s_or_b32 exec_lo, exec_lo, s18
.LBB342_385:                            ;   in Loop: Header=BB342_9 Depth=1
	s_delay_alu instid0(SALU_CYCLE_1) | instskip(NEXT) | instid1(SALU_CYCLE_1)
	s_or_b32 exec_lo, exec_lo, s11
	s_mov_b32 s11, exec_lo
	v_cmpx_lt_u32_e32 0xffffff, v0
	s_cbranch_execz .LBB342_393
; %bb.386:                              ;   in Loop: Header=BB342_9 Depth=1
	v_lshrrev_b32_e32 v1, 24, v0
	v_bfrev_b32_e32 v78, 1
	s_mov_b32 s18, exec_lo
	s_delay_alu instid0(VALU_DEP_2)
	v_cmpx_ne_u32_e32 0x80, v1
	s_cbranch_execz .LBB342_392
; %bb.387:                              ;   in Loop: Header=BB342_9 Depth=1
	v_bfe_u32 v2, v0, 24, 7
	v_mov_b32_e32 v78, 0x7f800001
	s_mov_b32 s19, exec_lo
	s_delay_alu instid0(VALU_DEP_2)
	v_cmpx_ne_u32_e32 0x7f, v2
	s_cbranch_execz .LBB342_391
; %bb.388:                              ;   in Loop: Header=BB342_9 Depth=1
	v_dual_lshrrev_b32 v0, 3, v2 :: v_dual_bitop2_b32 v4, 7, v1 bitop3:0x40
	s_mov_b32 s20, exec_lo
	s_delay_alu instid0(VALU_DEP_1)
	v_mov_b64_e32 v[24:25], v[4:5]
	v_cmpx_gt_u32_e32 8, v2
; %bb.389:                              ;   in Loop: Header=BB342_9 Depth=1
	v_clz_i32_u32_e32 v0, v4
	s_delay_alu instid0(VALU_DEP_1) | instskip(NEXT) | instid1(VALU_DEP_1)
	v_min_u32_e32 v0, 32, v0
	v_subrev_nc_u32_e32 v2, 28, v0
	s_delay_alu instid0(VALU_DEP_1) | instskip(NEXT) | instid1(VALU_DEP_1)
	v_lshlrev_b64_e32 v[2:3], v2, v[4:5]
	v_dual_sub_nc_u32 v0, 29, v0 :: v_dual_bitop2_b32 v24, 7, v2 bitop3:0x40
; %bb.390:                              ;   in Loop: Header=BB342_9 Depth=1
	s_or_b32 exec_lo, exec_lo, s20
	s_delay_alu instid0(VALU_DEP_1) | instskip(NEXT) | instid1(VALU_DEP_2)
	v_dual_lshlrev_b32 v1, 24, v1 :: v_dual_lshlrev_b32 v2, 20, v24
	v_lshl_add_u32 v0, v0, 23, 0x3c000000
	s_delay_alu instid0(VALU_DEP_2) | instskip(NEXT) | instid1(VALU_DEP_1)
	v_and_b32_e32 v1, 0x80000000, v1
	v_or3_b32 v78, v2, v1, v0
.LBB342_391:                            ;   in Loop: Header=BB342_9 Depth=1
	s_or_b32 exec_lo, exec_lo, s19
.LBB342_392:                            ;   in Loop: Header=BB342_9 Depth=1
	s_delay_alu instid0(SALU_CYCLE_1)
	s_or_b32 exec_lo, exec_lo, s18
.LBB342_393:                            ;   in Loop: Header=BB342_9 Depth=1
	s_delay_alu instid0(SALU_CYCLE_1)
	s_or_b32 exec_lo, exec_lo, s11
	flat_load_b32 v0, v[16:17] offset:1536
	v_dual_mov_b32 v88, 0 :: v_dual_mov_b32 v89, 0
	s_mov_b32 s11, exec_lo
	s_wait_loadcnt_dscnt 0x0
	v_and_b32_e32 v1, 0xff, v0
	s_wait_xcnt 0x0
	s_delay_alu instid0(VALU_DEP_1)
	v_cmpx_ne_u16_e32 0, v1
	s_cbranch_execz .LBB342_401
; %bb.394:                              ;   in Loop: Header=BB342_9 Depth=1
	v_bfrev_b32_e32 v89, 1
	s_mov_b32 s18, exec_lo
	v_cmpx_ne_u16_e32 0x80, v1
	s_cbranch_execz .LBB342_400
; %bb.395:                              ;   in Loop: Header=BB342_9 Depth=1
	v_and_b32_e32 v2, 0x7f, v0
	v_mov_b32_e32 v89, 0x7f800001
	s_mov_b32 s19, exec_lo
	s_delay_alu instid0(VALU_DEP_2)
	v_cmpx_ne_u32_e32 0x7f, v2
	s_cbranch_execz .LBB342_399
; %bb.396:                              ;   in Loop: Header=BB342_9 Depth=1
	v_dual_lshrrev_b32 v1, 3, v2 :: v_dual_bitop2_b32 v4, 7, v0 bitop3:0x40
	s_mov_b32 s20, exec_lo
	s_delay_alu instid0(VALU_DEP_1)
	v_mov_b64_e32 v[24:25], v[4:5]
	v_cmpx_gt_u32_e32 8, v2
; %bb.397:                              ;   in Loop: Header=BB342_9 Depth=1
	v_clz_i32_u32_e32 v1, v4
	s_delay_alu instid0(VALU_DEP_1) | instskip(NEXT) | instid1(VALU_DEP_1)
	v_min_u32_e32 v1, 32, v1
	v_subrev_nc_u32_e32 v2, 28, v1
	s_delay_alu instid0(VALU_DEP_1) | instskip(NEXT) | instid1(VALU_DEP_1)
	v_lshlrev_b64_e32 v[2:3], v2, v[4:5]
	v_dual_sub_nc_u32 v1, 29, v1 :: v_dual_bitop2_b32 v24, 7, v2 bitop3:0x40
; %bb.398:                              ;   in Loop: Header=BB342_9 Depth=1
	s_or_b32 exec_lo, exec_lo, s20
	v_lshlrev_b32_e32 v2, 24, v0
	s_delay_alu instid0(VALU_DEP_2) | instskip(NEXT) | instid1(VALU_DEP_3)
	v_lshlrev_b32_e32 v3, 20, v24
	v_lshl_add_u32 v1, v1, 23, 0x3c000000
	s_delay_alu instid0(VALU_DEP_3) | instskip(NEXT) | instid1(VALU_DEP_1)
	v_and_b32_e32 v2, 0x80000000, v2
	v_or3_b32 v89, v3, v2, v1
.LBB342_399:                            ;   in Loop: Header=BB342_9 Depth=1
	s_or_b32 exec_lo, exec_lo, s19
.LBB342_400:                            ;   in Loop: Header=BB342_9 Depth=1
	s_delay_alu instid0(SALU_CYCLE_1)
	s_or_b32 exec_lo, exec_lo, s18
.LBB342_401:                            ;   in Loop: Header=BB342_9 Depth=1
	s_delay_alu instid0(SALU_CYCLE_1) | instskip(SKIP_2) | instid1(VALU_DEP_1)
	s_or_b32 exec_lo, exec_lo, s11
	v_lshrrev_b16 v1, 8, v0
	s_mov_b32 s11, exec_lo
	v_cmpx_ne_u16_e32 0, v1
	s_cbranch_execz .LBB342_409
; %bb.402:                              ;   in Loop: Header=BB342_9 Depth=1
	v_bfrev_b32_e32 v88, 1
	s_mov_b32 s18, exec_lo
	v_cmpx_ne_u16_e32 0x80, v1
	s_cbranch_execz .LBB342_408
; %bb.403:                              ;   in Loop: Header=BB342_9 Depth=1
	v_and_b32_e32 v1, 0xffff, v1
	v_mov_b32_e32 v88, 0x7f800001
	s_mov_b32 s19, exec_lo
	s_delay_alu instid0(VALU_DEP_2) | instskip(NEXT) | instid1(VALU_DEP_1)
	v_and_b32_e32 v2, 0x7f, v1
	v_cmpx_ne_u32_e32 0x7f, v2
	s_cbranch_execz .LBB342_407
; %bb.404:                              ;   in Loop: Header=BB342_9 Depth=1
	v_dual_lshrrev_b32 v1, 3, v2 :: v_dual_bitop2_b32 v4, 7, v1 bitop3:0x40
	s_mov_b32 s20, exec_lo
	s_delay_alu instid0(VALU_DEP_1)
	v_mov_b64_e32 v[24:25], v[4:5]
	v_cmpx_gt_u32_e32 8, v2
; %bb.405:                              ;   in Loop: Header=BB342_9 Depth=1
	v_clz_i32_u32_e32 v1, v4
	s_delay_alu instid0(VALU_DEP_1) | instskip(NEXT) | instid1(VALU_DEP_1)
	v_min_u32_e32 v1, 32, v1
	v_subrev_nc_u32_e32 v2, 28, v1
	s_delay_alu instid0(VALU_DEP_1) | instskip(NEXT) | instid1(VALU_DEP_1)
	v_lshlrev_b64_e32 v[2:3], v2, v[4:5]
	v_dual_sub_nc_u32 v1, 29, v1 :: v_dual_bitop2_b32 v24, 7, v2 bitop3:0x40
; %bb.406:                              ;   in Loop: Header=BB342_9 Depth=1
	s_or_b32 exec_lo, exec_lo, s20
	v_lshlrev_b32_e32 v2, 16, v0
	s_delay_alu instid0(VALU_DEP_2) | instskip(NEXT) | instid1(VALU_DEP_3)
	v_lshlrev_b32_e32 v3, 20, v24
	v_lshl_add_u32 v1, v1, 23, 0x3c000000
	s_delay_alu instid0(VALU_DEP_3) | instskip(NEXT) | instid1(VALU_DEP_1)
	v_and_b32_e32 v2, 0x80000000, v2
	v_or3_b32 v88, v3, v2, v1
.LBB342_407:                            ;   in Loop: Header=BB342_9 Depth=1
	s_or_b32 exec_lo, exec_lo, s19
.LBB342_408:                            ;   in Loop: Header=BB342_9 Depth=1
	s_delay_alu instid0(SALU_CYCLE_1)
	s_or_b32 exec_lo, exec_lo, s18
.LBB342_409:                            ;   in Loop: Header=BB342_9 Depth=1
	s_delay_alu instid0(SALU_CYCLE_1) | instskip(SKIP_3) | instid1(VALU_DEP_2)
	s_or_b32 exec_lo, exec_lo, s11
	v_dual_mov_b32 v90, 0 :: v_dual_lshrrev_b32 v1, 16, v0
	v_mov_b32_e32 v92, 0
	s_mov_b32 s11, exec_lo
	v_and_b32_e32 v2, 0xff, v1
	s_delay_alu instid0(VALU_DEP_1)
	v_cmpx_ne_u16_e32 0, v2
	s_cbranch_execz .LBB342_417
; %bb.410:                              ;   in Loop: Header=BB342_9 Depth=1
	v_bfrev_b32_e32 v92, 1
	s_mov_b32 s18, exec_lo
	v_cmpx_ne_u16_e32 0x80, v2
	s_cbranch_execz .LBB342_416
; %bb.411:                              ;   in Loop: Header=BB342_9 Depth=1
	v_bfe_u32 v3, v0, 16, 7
	v_mov_b32_e32 v92, 0x7f800001
	s_mov_b32 s19, exec_lo
	s_delay_alu instid0(VALU_DEP_2)
	v_cmpx_ne_u32_e32 0x7f, v3
	s_cbranch_execz .LBB342_415
; %bb.412:                              ;   in Loop: Header=BB342_9 Depth=1
	v_dual_lshrrev_b32 v2, 3, v3 :: v_dual_bitop2_b32 v4, 7, v1 bitop3:0x40
	s_mov_b32 s20, exec_lo
	s_delay_alu instid0(VALU_DEP_1)
	v_mov_b64_e32 v[24:25], v[4:5]
	v_cmpx_gt_u32_e32 8, v3
; %bb.413:                              ;   in Loop: Header=BB342_9 Depth=1
	v_clz_i32_u32_e32 v2, v4
	s_delay_alu instid0(VALU_DEP_1) | instskip(NEXT) | instid1(VALU_DEP_1)
	v_min_u32_e32 v2, 32, v2
	v_subrev_nc_u32_e32 v3, 28, v2
	v_sub_nc_u32_e32 v2, 29, v2
	s_delay_alu instid0(VALU_DEP_2) | instskip(NEXT) | instid1(VALU_DEP_1)
	v_lshlrev_b64_e32 v[6:7], v3, v[4:5]
	v_and_b32_e32 v24, 7, v6
; %bb.414:                              ;   in Loop: Header=BB342_9 Depth=1
	s_or_b32 exec_lo, exec_lo, s20
	s_delay_alu instid0(VALU_DEP_1) | instskip(SKIP_1) | instid1(VALU_DEP_2)
	v_dual_lshlrev_b32 v1, 24, v1 :: v_dual_lshlrev_b32 v3, 20, v24
	v_lshl_add_u32 v2, v2, 23, 0x3c000000
	v_and_b32_e32 v1, 0x80000000, v1
	s_delay_alu instid0(VALU_DEP_1)
	v_or3_b32 v92, v3, v1, v2
.LBB342_415:                            ;   in Loop: Header=BB342_9 Depth=1
	s_or_b32 exec_lo, exec_lo, s19
.LBB342_416:                            ;   in Loop: Header=BB342_9 Depth=1
	s_delay_alu instid0(SALU_CYCLE_1)
	s_or_b32 exec_lo, exec_lo, s18
.LBB342_417:                            ;   in Loop: Header=BB342_9 Depth=1
	s_delay_alu instid0(SALU_CYCLE_1) | instskip(NEXT) | instid1(SALU_CYCLE_1)
	s_or_b32 exec_lo, exec_lo, s11
	s_mov_b32 s11, exec_lo
	v_cmpx_lt_u32_e32 0xffffff, v0
	s_cbranch_execz .LBB342_425
; %bb.418:                              ;   in Loop: Header=BB342_9 Depth=1
	v_lshrrev_b32_e32 v1, 24, v0
	v_bfrev_b32_e32 v90, 1
	s_mov_b32 s18, exec_lo
	s_delay_alu instid0(VALU_DEP_2)
	v_cmpx_ne_u32_e32 0x80, v1
	s_cbranch_execz .LBB342_424
; %bb.419:                              ;   in Loop: Header=BB342_9 Depth=1
	v_bfe_u32 v2, v0, 24, 7
	v_mov_b32_e32 v90, 0x7f800001
	s_mov_b32 s19, exec_lo
	s_delay_alu instid0(VALU_DEP_2)
	v_cmpx_ne_u32_e32 0x7f, v2
	s_cbranch_execz .LBB342_423
; %bb.420:                              ;   in Loop: Header=BB342_9 Depth=1
	v_dual_lshrrev_b32 v0, 3, v2 :: v_dual_bitop2_b32 v4, 7, v1 bitop3:0x40
	s_mov_b32 s20, exec_lo
	s_delay_alu instid0(VALU_DEP_1)
	v_mov_b64_e32 v[24:25], v[4:5]
	v_cmpx_gt_u32_e32 8, v2
; %bb.421:                              ;   in Loop: Header=BB342_9 Depth=1
	v_clz_i32_u32_e32 v0, v4
	s_delay_alu instid0(VALU_DEP_1) | instskip(NEXT) | instid1(VALU_DEP_1)
	v_min_u32_e32 v0, 32, v0
	v_subrev_nc_u32_e32 v2, 28, v0
	s_delay_alu instid0(VALU_DEP_1) | instskip(NEXT) | instid1(VALU_DEP_1)
	v_lshlrev_b64_e32 v[2:3], v2, v[4:5]
	v_dual_sub_nc_u32 v0, 29, v0 :: v_dual_bitop2_b32 v24, 7, v2 bitop3:0x40
; %bb.422:                              ;   in Loop: Header=BB342_9 Depth=1
	s_or_b32 exec_lo, exec_lo, s20
	s_delay_alu instid0(VALU_DEP_1) | instskip(NEXT) | instid1(VALU_DEP_2)
	v_dual_lshlrev_b32 v1, 24, v1 :: v_dual_lshlrev_b32 v2, 20, v24
	v_lshl_add_u32 v0, v0, 23, 0x3c000000
	s_delay_alu instid0(VALU_DEP_2) | instskip(NEXT) | instid1(VALU_DEP_1)
	v_and_b32_e32 v1, 0x80000000, v1
	v_or3_b32 v90, v2, v1, v0
.LBB342_423:                            ;   in Loop: Header=BB342_9 Depth=1
	s_or_b32 exec_lo, exec_lo, s19
.LBB342_424:                            ;   in Loop: Header=BB342_9 Depth=1
	s_delay_alu instid0(SALU_CYCLE_1)
	s_or_b32 exec_lo, exec_lo, s18
.LBB342_425:                            ;   in Loop: Header=BB342_9 Depth=1
	s_delay_alu instid0(SALU_CYCLE_1)
	s_or_b32 exec_lo, exec_lo, s11
	flat_load_b32 v0, v[16:17] offset:1544
	v_dual_mov_b32 v93, 0 :: v_dual_mov_b32 v94, 0
	s_mov_b32 s11, exec_lo
	s_wait_loadcnt_dscnt 0x0
	v_and_b32_e32 v1, 0xff, v0
	s_wait_xcnt 0x0
	s_delay_alu instid0(VALU_DEP_1)
	v_cmpx_ne_u16_e32 0, v1
	s_cbranch_execz .LBB342_433
; %bb.426:                              ;   in Loop: Header=BB342_9 Depth=1
	v_bfrev_b32_e32 v94, 1
	s_mov_b32 s18, exec_lo
	v_cmpx_ne_u16_e32 0x80, v1
	s_cbranch_execz .LBB342_432
; %bb.427:                              ;   in Loop: Header=BB342_9 Depth=1
	v_and_b32_e32 v2, 0x7f, v0
	v_mov_b32_e32 v94, 0x7f800001
	s_mov_b32 s19, exec_lo
	s_delay_alu instid0(VALU_DEP_2)
	v_cmpx_ne_u32_e32 0x7f, v2
	s_cbranch_execz .LBB342_431
; %bb.428:                              ;   in Loop: Header=BB342_9 Depth=1
	v_dual_lshrrev_b32 v1, 3, v2 :: v_dual_bitop2_b32 v4, 7, v0 bitop3:0x40
	s_mov_b32 s20, exec_lo
	s_delay_alu instid0(VALU_DEP_1)
	v_mov_b64_e32 v[24:25], v[4:5]
	v_cmpx_gt_u32_e32 8, v2
; %bb.429:                              ;   in Loop: Header=BB342_9 Depth=1
	v_clz_i32_u32_e32 v1, v4
	s_delay_alu instid0(VALU_DEP_1) | instskip(NEXT) | instid1(VALU_DEP_1)
	v_min_u32_e32 v1, 32, v1
	v_subrev_nc_u32_e32 v2, 28, v1
	s_delay_alu instid0(VALU_DEP_1) | instskip(NEXT) | instid1(VALU_DEP_1)
	v_lshlrev_b64_e32 v[2:3], v2, v[4:5]
	v_dual_sub_nc_u32 v1, 29, v1 :: v_dual_bitop2_b32 v24, 7, v2 bitop3:0x40
; %bb.430:                              ;   in Loop: Header=BB342_9 Depth=1
	s_or_b32 exec_lo, exec_lo, s20
	v_lshlrev_b32_e32 v2, 24, v0
	s_delay_alu instid0(VALU_DEP_2) | instskip(NEXT) | instid1(VALU_DEP_3)
	v_lshlrev_b32_e32 v3, 20, v24
	v_lshl_add_u32 v1, v1, 23, 0x3c000000
	s_delay_alu instid0(VALU_DEP_3) | instskip(NEXT) | instid1(VALU_DEP_1)
	v_and_b32_e32 v2, 0x80000000, v2
	v_or3_b32 v94, v3, v2, v1
.LBB342_431:                            ;   in Loop: Header=BB342_9 Depth=1
	s_or_b32 exec_lo, exec_lo, s19
.LBB342_432:                            ;   in Loop: Header=BB342_9 Depth=1
	s_delay_alu instid0(SALU_CYCLE_1)
	s_or_b32 exec_lo, exec_lo, s18
.LBB342_433:                            ;   in Loop: Header=BB342_9 Depth=1
	s_delay_alu instid0(SALU_CYCLE_1) | instskip(SKIP_2) | instid1(VALU_DEP_1)
	s_or_b32 exec_lo, exec_lo, s11
	v_lshrrev_b16 v1, 8, v0
	s_mov_b32 s11, exec_lo
	v_cmpx_ne_u16_e32 0, v1
	s_cbranch_execz .LBB342_441
; %bb.434:                              ;   in Loop: Header=BB342_9 Depth=1
	v_bfrev_b32_e32 v93, 1
	s_mov_b32 s18, exec_lo
	v_cmpx_ne_u16_e32 0x80, v1
	s_cbranch_execz .LBB342_440
; %bb.435:                              ;   in Loop: Header=BB342_9 Depth=1
	v_and_b32_e32 v1, 0xffff, v1
	v_mov_b32_e32 v93, 0x7f800001
	s_mov_b32 s19, exec_lo
	s_delay_alu instid0(VALU_DEP_2) | instskip(NEXT) | instid1(VALU_DEP_1)
	v_and_b32_e32 v2, 0x7f, v1
	v_cmpx_ne_u32_e32 0x7f, v2
	s_cbranch_execz .LBB342_439
; %bb.436:                              ;   in Loop: Header=BB342_9 Depth=1
	v_dual_lshrrev_b32 v1, 3, v2 :: v_dual_bitop2_b32 v4, 7, v1 bitop3:0x40
	s_mov_b32 s20, exec_lo
	s_delay_alu instid0(VALU_DEP_1)
	v_mov_b64_e32 v[24:25], v[4:5]
	v_cmpx_gt_u32_e32 8, v2
; %bb.437:                              ;   in Loop: Header=BB342_9 Depth=1
	v_clz_i32_u32_e32 v1, v4
	s_delay_alu instid0(VALU_DEP_1) | instskip(NEXT) | instid1(VALU_DEP_1)
	v_min_u32_e32 v1, 32, v1
	v_subrev_nc_u32_e32 v2, 28, v1
	s_delay_alu instid0(VALU_DEP_1) | instskip(NEXT) | instid1(VALU_DEP_1)
	v_lshlrev_b64_e32 v[2:3], v2, v[4:5]
	v_dual_sub_nc_u32 v1, 29, v1 :: v_dual_bitop2_b32 v24, 7, v2 bitop3:0x40
; %bb.438:                              ;   in Loop: Header=BB342_9 Depth=1
	s_or_b32 exec_lo, exec_lo, s20
	v_lshlrev_b32_e32 v2, 16, v0
	s_delay_alu instid0(VALU_DEP_2) | instskip(NEXT) | instid1(VALU_DEP_3)
	v_lshlrev_b32_e32 v3, 20, v24
	v_lshl_add_u32 v1, v1, 23, 0x3c000000
	s_delay_alu instid0(VALU_DEP_3) | instskip(NEXT) | instid1(VALU_DEP_1)
	v_and_b32_e32 v2, 0x80000000, v2
	v_or3_b32 v93, v3, v2, v1
.LBB342_439:                            ;   in Loop: Header=BB342_9 Depth=1
	s_or_b32 exec_lo, exec_lo, s19
.LBB342_440:                            ;   in Loop: Header=BB342_9 Depth=1
	s_delay_alu instid0(SALU_CYCLE_1)
	s_or_b32 exec_lo, exec_lo, s18
.LBB342_441:                            ;   in Loop: Header=BB342_9 Depth=1
	s_delay_alu instid0(SALU_CYCLE_1) | instskip(SKIP_3) | instid1(VALU_DEP_2)
	s_or_b32 exec_lo, exec_lo, s11
	v_dual_lshrrev_b32 v1, 16, v0 :: v_dual_mov_b32 v95, 0
	v_mov_b32_e32 v104, 0
	s_mov_b32 s11, exec_lo
	v_and_b32_e32 v2, 0xff, v1
	s_delay_alu instid0(VALU_DEP_1)
	v_cmpx_ne_u16_e32 0, v2
	s_cbranch_execz .LBB342_449
; %bb.442:                              ;   in Loop: Header=BB342_9 Depth=1
	v_bfrev_b32_e32 v104, 1
	s_mov_b32 s18, exec_lo
	v_cmpx_ne_u16_e32 0x80, v2
	s_cbranch_execz .LBB342_448
; %bb.443:                              ;   in Loop: Header=BB342_9 Depth=1
	v_bfe_u32 v3, v0, 16, 7
	v_mov_b32_e32 v104, 0x7f800001
	s_mov_b32 s19, exec_lo
	s_delay_alu instid0(VALU_DEP_2)
	v_cmpx_ne_u32_e32 0x7f, v3
	s_cbranch_execz .LBB342_447
; %bb.444:                              ;   in Loop: Header=BB342_9 Depth=1
	v_dual_lshrrev_b32 v2, 3, v3 :: v_dual_bitop2_b32 v4, 7, v1 bitop3:0x40
	s_mov_b32 s20, exec_lo
	s_delay_alu instid0(VALU_DEP_1)
	v_mov_b64_e32 v[24:25], v[4:5]
	v_cmpx_gt_u32_e32 8, v3
; %bb.445:                              ;   in Loop: Header=BB342_9 Depth=1
	v_clz_i32_u32_e32 v2, v4
	s_delay_alu instid0(VALU_DEP_1) | instskip(NEXT) | instid1(VALU_DEP_1)
	v_min_u32_e32 v2, 32, v2
	v_subrev_nc_u32_e32 v3, 28, v2
	v_sub_nc_u32_e32 v2, 29, v2
	s_delay_alu instid0(VALU_DEP_2) | instskip(NEXT) | instid1(VALU_DEP_1)
	v_lshlrev_b64_e32 v[6:7], v3, v[4:5]
	v_and_b32_e32 v24, 7, v6
; %bb.446:                              ;   in Loop: Header=BB342_9 Depth=1
	s_or_b32 exec_lo, exec_lo, s20
	s_delay_alu instid0(VALU_DEP_1) | instskip(SKIP_1) | instid1(VALU_DEP_2)
	v_dual_lshlrev_b32 v1, 24, v1 :: v_dual_lshlrev_b32 v3, 20, v24
	v_lshl_add_u32 v2, v2, 23, 0x3c000000
	v_and_b32_e32 v1, 0x80000000, v1
	s_delay_alu instid0(VALU_DEP_1)
	v_or3_b32 v104, v3, v1, v2
.LBB342_447:                            ;   in Loop: Header=BB342_9 Depth=1
	s_or_b32 exec_lo, exec_lo, s19
.LBB342_448:                            ;   in Loop: Header=BB342_9 Depth=1
	s_delay_alu instid0(SALU_CYCLE_1)
	s_or_b32 exec_lo, exec_lo, s18
.LBB342_449:                            ;   in Loop: Header=BB342_9 Depth=1
	s_delay_alu instid0(SALU_CYCLE_1) | instskip(NEXT) | instid1(SALU_CYCLE_1)
	s_or_b32 exec_lo, exec_lo, s11
	s_mov_b32 s11, exec_lo
	v_cmpx_lt_u32_e32 0xffffff, v0
	s_cbranch_execz .LBB342_457
; %bb.450:                              ;   in Loop: Header=BB342_9 Depth=1
	v_lshrrev_b32_e32 v1, 24, v0
	v_bfrev_b32_e32 v95, 1
	s_mov_b32 s18, exec_lo
	s_delay_alu instid0(VALU_DEP_2)
	v_cmpx_ne_u32_e32 0x80, v1
	s_cbranch_execz .LBB342_456
; %bb.451:                              ;   in Loop: Header=BB342_9 Depth=1
	v_bfe_u32 v2, v0, 24, 7
	v_mov_b32_e32 v95, 0x7f800001
	s_mov_b32 s19, exec_lo
	s_delay_alu instid0(VALU_DEP_2)
	v_cmpx_ne_u32_e32 0x7f, v2
	s_cbranch_execz .LBB342_455
; %bb.452:                              ;   in Loop: Header=BB342_9 Depth=1
	v_dual_lshrrev_b32 v0, 3, v2 :: v_dual_bitop2_b32 v4, 7, v1 bitop3:0x40
	s_mov_b32 s20, exec_lo
	s_delay_alu instid0(VALU_DEP_1)
	v_mov_b64_e32 v[24:25], v[4:5]
	v_cmpx_gt_u32_e32 8, v2
; %bb.453:                              ;   in Loop: Header=BB342_9 Depth=1
	v_clz_i32_u32_e32 v0, v4
	s_delay_alu instid0(VALU_DEP_1) | instskip(NEXT) | instid1(VALU_DEP_1)
	v_min_u32_e32 v0, 32, v0
	v_subrev_nc_u32_e32 v2, 28, v0
	s_delay_alu instid0(VALU_DEP_1) | instskip(NEXT) | instid1(VALU_DEP_1)
	v_lshlrev_b64_e32 v[2:3], v2, v[4:5]
	v_dual_sub_nc_u32 v0, 29, v0 :: v_dual_bitop2_b32 v24, 7, v2 bitop3:0x40
; %bb.454:                              ;   in Loop: Header=BB342_9 Depth=1
	s_or_b32 exec_lo, exec_lo, s20
	s_delay_alu instid0(VALU_DEP_1) | instskip(NEXT) | instid1(VALU_DEP_2)
	v_dual_lshlrev_b32 v1, 24, v1 :: v_dual_lshlrev_b32 v2, 20, v24
	v_lshl_add_u32 v0, v0, 23, 0x3c000000
	s_delay_alu instid0(VALU_DEP_2) | instskip(NEXT) | instid1(VALU_DEP_1)
	v_and_b32_e32 v1, 0x80000000, v1
	v_or3_b32 v95, v2, v1, v0
.LBB342_455:                            ;   in Loop: Header=BB342_9 Depth=1
	s_or_b32 exec_lo, exec_lo, s19
.LBB342_456:                            ;   in Loop: Header=BB342_9 Depth=1
	s_delay_alu instid0(SALU_CYCLE_1)
	s_or_b32 exec_lo, exec_lo, s18
.LBB342_457:                            ;   in Loop: Header=BB342_9 Depth=1
	s_delay_alu instid0(SALU_CYCLE_1)
	s_or_b32 exec_lo, exec_lo, s11
	flat_load_b32 v0, v[16:17] offset:1792
	v_dual_mov_b32 v105, 0 :: v_dual_mov_b32 v106, 0
	s_mov_b32 s11, exec_lo
	s_wait_loadcnt_dscnt 0x0
	v_and_b32_e32 v1, 0xff, v0
	s_wait_xcnt 0x0
	s_delay_alu instid0(VALU_DEP_1)
	v_cmpx_ne_u16_e32 0, v1
	s_cbranch_execz .LBB342_465
; %bb.458:                              ;   in Loop: Header=BB342_9 Depth=1
	v_bfrev_b32_e32 v106, 1
	s_mov_b32 s18, exec_lo
	v_cmpx_ne_u16_e32 0x80, v1
	s_cbranch_execz .LBB342_464
; %bb.459:                              ;   in Loop: Header=BB342_9 Depth=1
	v_and_b32_e32 v2, 0x7f, v0
	v_mov_b32_e32 v106, 0x7f800001
	s_mov_b32 s19, exec_lo
	s_delay_alu instid0(VALU_DEP_2)
	v_cmpx_ne_u32_e32 0x7f, v2
	s_cbranch_execz .LBB342_463
; %bb.460:                              ;   in Loop: Header=BB342_9 Depth=1
	v_dual_lshrrev_b32 v1, 3, v2 :: v_dual_bitop2_b32 v4, 7, v0 bitop3:0x40
	s_mov_b32 s20, exec_lo
	s_delay_alu instid0(VALU_DEP_1)
	v_mov_b64_e32 v[24:25], v[4:5]
	v_cmpx_gt_u32_e32 8, v2
; %bb.461:                              ;   in Loop: Header=BB342_9 Depth=1
	v_clz_i32_u32_e32 v1, v4
	s_delay_alu instid0(VALU_DEP_1) | instskip(NEXT) | instid1(VALU_DEP_1)
	v_min_u32_e32 v1, 32, v1
	v_subrev_nc_u32_e32 v2, 28, v1
	s_delay_alu instid0(VALU_DEP_1) | instskip(NEXT) | instid1(VALU_DEP_1)
	v_lshlrev_b64_e32 v[2:3], v2, v[4:5]
	v_dual_sub_nc_u32 v1, 29, v1 :: v_dual_bitop2_b32 v24, 7, v2 bitop3:0x40
; %bb.462:                              ;   in Loop: Header=BB342_9 Depth=1
	s_or_b32 exec_lo, exec_lo, s20
	v_lshlrev_b32_e32 v2, 24, v0
	s_delay_alu instid0(VALU_DEP_2) | instskip(NEXT) | instid1(VALU_DEP_3)
	v_lshlrev_b32_e32 v3, 20, v24
	v_lshl_add_u32 v1, v1, 23, 0x3c000000
	s_delay_alu instid0(VALU_DEP_3) | instskip(NEXT) | instid1(VALU_DEP_1)
	v_and_b32_e32 v2, 0x80000000, v2
	v_or3_b32 v106, v3, v2, v1
.LBB342_463:                            ;   in Loop: Header=BB342_9 Depth=1
	s_or_b32 exec_lo, exec_lo, s19
.LBB342_464:                            ;   in Loop: Header=BB342_9 Depth=1
	s_delay_alu instid0(SALU_CYCLE_1)
	s_or_b32 exec_lo, exec_lo, s18
.LBB342_465:                            ;   in Loop: Header=BB342_9 Depth=1
	s_delay_alu instid0(SALU_CYCLE_1) | instskip(SKIP_2) | instid1(VALU_DEP_1)
	s_or_b32 exec_lo, exec_lo, s11
	v_lshrrev_b16 v1, 8, v0
	s_mov_b32 s11, exec_lo
	v_cmpx_ne_u16_e32 0, v1
	s_cbranch_execz .LBB342_473
; %bb.466:                              ;   in Loop: Header=BB342_9 Depth=1
	v_bfrev_b32_e32 v105, 1
	s_mov_b32 s18, exec_lo
	v_cmpx_ne_u16_e32 0x80, v1
	s_cbranch_execz .LBB342_472
; %bb.467:                              ;   in Loop: Header=BB342_9 Depth=1
	v_and_b32_e32 v1, 0xffff, v1
	v_mov_b32_e32 v105, 0x7f800001
	s_mov_b32 s19, exec_lo
	s_delay_alu instid0(VALU_DEP_2) | instskip(NEXT) | instid1(VALU_DEP_1)
	v_and_b32_e32 v2, 0x7f, v1
	v_cmpx_ne_u32_e32 0x7f, v2
	s_cbranch_execz .LBB342_471
; %bb.468:                              ;   in Loop: Header=BB342_9 Depth=1
	v_dual_lshrrev_b32 v1, 3, v2 :: v_dual_bitop2_b32 v4, 7, v1 bitop3:0x40
	s_mov_b32 s20, exec_lo
	s_delay_alu instid0(VALU_DEP_1)
	v_mov_b64_e32 v[24:25], v[4:5]
	v_cmpx_gt_u32_e32 8, v2
; %bb.469:                              ;   in Loop: Header=BB342_9 Depth=1
	v_clz_i32_u32_e32 v1, v4
	s_delay_alu instid0(VALU_DEP_1) | instskip(NEXT) | instid1(VALU_DEP_1)
	v_min_u32_e32 v1, 32, v1
	v_subrev_nc_u32_e32 v2, 28, v1
	s_delay_alu instid0(VALU_DEP_1) | instskip(NEXT) | instid1(VALU_DEP_1)
	v_lshlrev_b64_e32 v[2:3], v2, v[4:5]
	v_dual_sub_nc_u32 v1, 29, v1 :: v_dual_bitop2_b32 v24, 7, v2 bitop3:0x40
; %bb.470:                              ;   in Loop: Header=BB342_9 Depth=1
	s_or_b32 exec_lo, exec_lo, s20
	v_lshlrev_b32_e32 v2, 16, v0
	s_delay_alu instid0(VALU_DEP_2) | instskip(NEXT) | instid1(VALU_DEP_3)
	v_lshlrev_b32_e32 v3, 20, v24
	v_lshl_add_u32 v1, v1, 23, 0x3c000000
	s_delay_alu instid0(VALU_DEP_3) | instskip(NEXT) | instid1(VALU_DEP_1)
	v_and_b32_e32 v2, 0x80000000, v2
	v_or3_b32 v105, v3, v2, v1
.LBB342_471:                            ;   in Loop: Header=BB342_9 Depth=1
	s_or_b32 exec_lo, exec_lo, s19
.LBB342_472:                            ;   in Loop: Header=BB342_9 Depth=1
	s_delay_alu instid0(SALU_CYCLE_1)
	s_or_b32 exec_lo, exec_lo, s18
.LBB342_473:                            ;   in Loop: Header=BB342_9 Depth=1
	s_delay_alu instid0(SALU_CYCLE_1) | instskip(SKIP_3) | instid1(VALU_DEP_2)
	s_or_b32 exec_lo, exec_lo, s11
	v_dual_lshrrev_b32 v1, 16, v0 :: v_dual_mov_b32 v107, 0
	v_mov_b32_e32 v108, 0
	s_mov_b32 s11, exec_lo
	v_and_b32_e32 v2, 0xff, v1
	s_delay_alu instid0(VALU_DEP_1)
	v_cmpx_ne_u16_e32 0, v2
	s_cbranch_execz .LBB342_481
; %bb.474:                              ;   in Loop: Header=BB342_9 Depth=1
	v_bfrev_b32_e32 v108, 1
	s_mov_b32 s18, exec_lo
	v_cmpx_ne_u16_e32 0x80, v2
	s_cbranch_execz .LBB342_480
; %bb.475:                              ;   in Loop: Header=BB342_9 Depth=1
	v_bfe_u32 v3, v0, 16, 7
	v_mov_b32_e32 v108, 0x7f800001
	s_mov_b32 s19, exec_lo
	s_delay_alu instid0(VALU_DEP_2)
	v_cmpx_ne_u32_e32 0x7f, v3
	s_cbranch_execz .LBB342_479
; %bb.476:                              ;   in Loop: Header=BB342_9 Depth=1
	v_dual_lshrrev_b32 v2, 3, v3 :: v_dual_bitop2_b32 v4, 7, v1 bitop3:0x40
	s_mov_b32 s20, exec_lo
	s_delay_alu instid0(VALU_DEP_1)
	v_mov_b64_e32 v[24:25], v[4:5]
	v_cmpx_gt_u32_e32 8, v3
; %bb.477:                              ;   in Loop: Header=BB342_9 Depth=1
	v_clz_i32_u32_e32 v2, v4
	s_delay_alu instid0(VALU_DEP_1) | instskip(NEXT) | instid1(VALU_DEP_1)
	v_min_u32_e32 v2, 32, v2
	v_subrev_nc_u32_e32 v3, 28, v2
	v_sub_nc_u32_e32 v2, 29, v2
	s_delay_alu instid0(VALU_DEP_2) | instskip(NEXT) | instid1(VALU_DEP_1)
	v_lshlrev_b64_e32 v[6:7], v3, v[4:5]
	v_and_b32_e32 v24, 7, v6
; %bb.478:                              ;   in Loop: Header=BB342_9 Depth=1
	s_or_b32 exec_lo, exec_lo, s20
	s_delay_alu instid0(VALU_DEP_1) | instskip(SKIP_1) | instid1(VALU_DEP_2)
	v_dual_lshlrev_b32 v1, 24, v1 :: v_dual_lshlrev_b32 v3, 20, v24
	v_lshl_add_u32 v2, v2, 23, 0x3c000000
	v_and_b32_e32 v1, 0x80000000, v1
	s_delay_alu instid0(VALU_DEP_1)
	v_or3_b32 v108, v3, v1, v2
.LBB342_479:                            ;   in Loop: Header=BB342_9 Depth=1
	s_or_b32 exec_lo, exec_lo, s19
.LBB342_480:                            ;   in Loop: Header=BB342_9 Depth=1
	s_delay_alu instid0(SALU_CYCLE_1)
	s_or_b32 exec_lo, exec_lo, s18
.LBB342_481:                            ;   in Loop: Header=BB342_9 Depth=1
	s_delay_alu instid0(SALU_CYCLE_1) | instskip(NEXT) | instid1(SALU_CYCLE_1)
	s_or_b32 exec_lo, exec_lo, s11
	s_mov_b32 s11, exec_lo
	v_cmpx_lt_u32_e32 0xffffff, v0
	s_cbranch_execz .LBB342_489
; %bb.482:                              ;   in Loop: Header=BB342_9 Depth=1
	v_lshrrev_b32_e32 v1, 24, v0
	v_bfrev_b32_e32 v107, 1
	s_mov_b32 s18, exec_lo
	s_delay_alu instid0(VALU_DEP_2)
	v_cmpx_ne_u32_e32 0x80, v1
	s_cbranch_execz .LBB342_488
; %bb.483:                              ;   in Loop: Header=BB342_9 Depth=1
	v_bfe_u32 v2, v0, 24, 7
	v_mov_b32_e32 v107, 0x7f800001
	s_mov_b32 s19, exec_lo
	s_delay_alu instid0(VALU_DEP_2)
	v_cmpx_ne_u32_e32 0x7f, v2
	s_cbranch_execz .LBB342_487
; %bb.484:                              ;   in Loop: Header=BB342_9 Depth=1
	v_dual_lshrrev_b32 v0, 3, v2 :: v_dual_bitop2_b32 v4, 7, v1 bitop3:0x40
	s_mov_b32 s20, exec_lo
	s_delay_alu instid0(VALU_DEP_1)
	v_mov_b64_e32 v[24:25], v[4:5]
	v_cmpx_gt_u32_e32 8, v2
; %bb.485:                              ;   in Loop: Header=BB342_9 Depth=1
	v_clz_i32_u32_e32 v0, v4
	s_delay_alu instid0(VALU_DEP_1) | instskip(NEXT) | instid1(VALU_DEP_1)
	v_min_u32_e32 v0, 32, v0
	v_subrev_nc_u32_e32 v2, 28, v0
	s_delay_alu instid0(VALU_DEP_1) | instskip(NEXT) | instid1(VALU_DEP_1)
	v_lshlrev_b64_e32 v[2:3], v2, v[4:5]
	v_dual_sub_nc_u32 v0, 29, v0 :: v_dual_bitop2_b32 v24, 7, v2 bitop3:0x40
; %bb.486:                              ;   in Loop: Header=BB342_9 Depth=1
	s_or_b32 exec_lo, exec_lo, s20
	s_delay_alu instid0(VALU_DEP_1) | instskip(NEXT) | instid1(VALU_DEP_2)
	v_dual_lshlrev_b32 v1, 24, v1 :: v_dual_lshlrev_b32 v2, 20, v24
	v_lshl_add_u32 v0, v0, 23, 0x3c000000
	s_delay_alu instid0(VALU_DEP_2) | instskip(NEXT) | instid1(VALU_DEP_1)
	v_and_b32_e32 v1, 0x80000000, v1
	v_or3_b32 v107, v2, v1, v0
.LBB342_487:                            ;   in Loop: Header=BB342_9 Depth=1
	s_or_b32 exec_lo, exec_lo, s19
.LBB342_488:                            ;   in Loop: Header=BB342_9 Depth=1
	s_delay_alu instid0(SALU_CYCLE_1)
	s_or_b32 exec_lo, exec_lo, s18
.LBB342_489:                            ;   in Loop: Header=BB342_9 Depth=1
	s_delay_alu instid0(SALU_CYCLE_1)
	s_or_b32 exec_lo, exec_lo, s11
	flat_load_b32 v0, v[16:17] offset:1800
	v_dual_mov_b32 v109, 0 :: v_dual_mov_b32 v110, 0
	s_mov_b32 s11, exec_lo
	s_wait_loadcnt_dscnt 0x0
	v_and_b32_e32 v1, 0xff, v0
	s_wait_xcnt 0x0
	s_delay_alu instid0(VALU_DEP_1)
	v_cmpx_ne_u16_e32 0, v1
	s_cbranch_execz .LBB342_497
; %bb.490:                              ;   in Loop: Header=BB342_9 Depth=1
	v_bfrev_b32_e32 v110, 1
	s_mov_b32 s18, exec_lo
	v_cmpx_ne_u16_e32 0x80, v1
	s_cbranch_execz .LBB342_496
; %bb.491:                              ;   in Loop: Header=BB342_9 Depth=1
	v_and_b32_e32 v2, 0x7f, v0
	v_mov_b32_e32 v110, 0x7f800001
	s_mov_b32 s19, exec_lo
	s_delay_alu instid0(VALU_DEP_2)
	v_cmpx_ne_u32_e32 0x7f, v2
	s_cbranch_execz .LBB342_495
; %bb.492:                              ;   in Loop: Header=BB342_9 Depth=1
	v_dual_lshrrev_b32 v1, 3, v2 :: v_dual_bitop2_b32 v4, 7, v0 bitop3:0x40
	s_mov_b32 s20, exec_lo
	s_delay_alu instid0(VALU_DEP_1)
	v_mov_b64_e32 v[24:25], v[4:5]
	v_cmpx_gt_u32_e32 8, v2
; %bb.493:                              ;   in Loop: Header=BB342_9 Depth=1
	v_clz_i32_u32_e32 v1, v4
	s_delay_alu instid0(VALU_DEP_1) | instskip(NEXT) | instid1(VALU_DEP_1)
	v_min_u32_e32 v1, 32, v1
	v_subrev_nc_u32_e32 v2, 28, v1
	s_delay_alu instid0(VALU_DEP_1) | instskip(NEXT) | instid1(VALU_DEP_1)
	v_lshlrev_b64_e32 v[2:3], v2, v[4:5]
	v_dual_sub_nc_u32 v1, 29, v1 :: v_dual_bitop2_b32 v24, 7, v2 bitop3:0x40
; %bb.494:                              ;   in Loop: Header=BB342_9 Depth=1
	s_or_b32 exec_lo, exec_lo, s20
	v_lshlrev_b32_e32 v2, 24, v0
	s_delay_alu instid0(VALU_DEP_2) | instskip(NEXT) | instid1(VALU_DEP_3)
	v_lshlrev_b32_e32 v3, 20, v24
	v_lshl_add_u32 v1, v1, 23, 0x3c000000
	s_delay_alu instid0(VALU_DEP_3) | instskip(NEXT) | instid1(VALU_DEP_1)
	v_and_b32_e32 v2, 0x80000000, v2
	v_or3_b32 v110, v3, v2, v1
.LBB342_495:                            ;   in Loop: Header=BB342_9 Depth=1
	s_or_b32 exec_lo, exec_lo, s19
.LBB342_496:                            ;   in Loop: Header=BB342_9 Depth=1
	s_delay_alu instid0(SALU_CYCLE_1)
	s_or_b32 exec_lo, exec_lo, s18
.LBB342_497:                            ;   in Loop: Header=BB342_9 Depth=1
	s_delay_alu instid0(SALU_CYCLE_1) | instskip(SKIP_2) | instid1(VALU_DEP_1)
	s_or_b32 exec_lo, exec_lo, s11
	v_lshrrev_b16 v1, 8, v0
	s_mov_b32 s11, exec_lo
	v_cmpx_ne_u16_e32 0, v1
	s_cbranch_execz .LBB342_505
; %bb.498:                              ;   in Loop: Header=BB342_9 Depth=1
	v_bfrev_b32_e32 v109, 1
	s_mov_b32 s18, exec_lo
	v_cmpx_ne_u16_e32 0x80, v1
	s_cbranch_execz .LBB342_504
; %bb.499:                              ;   in Loop: Header=BB342_9 Depth=1
	v_and_b32_e32 v1, 0xffff, v1
	v_mov_b32_e32 v109, 0x7f800001
	s_mov_b32 s19, exec_lo
	s_delay_alu instid0(VALU_DEP_2) | instskip(NEXT) | instid1(VALU_DEP_1)
	v_and_b32_e32 v2, 0x7f, v1
	v_cmpx_ne_u32_e32 0x7f, v2
	s_cbranch_execz .LBB342_503
; %bb.500:                              ;   in Loop: Header=BB342_9 Depth=1
	v_dual_lshrrev_b32 v1, 3, v2 :: v_dual_bitop2_b32 v4, 7, v1 bitop3:0x40
	s_mov_b32 s20, exec_lo
	s_delay_alu instid0(VALU_DEP_1)
	v_mov_b64_e32 v[24:25], v[4:5]
	v_cmpx_gt_u32_e32 8, v2
; %bb.501:                              ;   in Loop: Header=BB342_9 Depth=1
	v_clz_i32_u32_e32 v1, v4
	s_delay_alu instid0(VALU_DEP_1) | instskip(NEXT) | instid1(VALU_DEP_1)
	v_min_u32_e32 v1, 32, v1
	v_subrev_nc_u32_e32 v2, 28, v1
	s_delay_alu instid0(VALU_DEP_1) | instskip(NEXT) | instid1(VALU_DEP_1)
	v_lshlrev_b64_e32 v[2:3], v2, v[4:5]
	v_dual_sub_nc_u32 v1, 29, v1 :: v_dual_bitop2_b32 v24, 7, v2 bitop3:0x40
; %bb.502:                              ;   in Loop: Header=BB342_9 Depth=1
	s_or_b32 exec_lo, exec_lo, s20
	v_lshlrev_b32_e32 v2, 16, v0
	s_delay_alu instid0(VALU_DEP_2) | instskip(NEXT) | instid1(VALU_DEP_3)
	v_lshlrev_b32_e32 v3, 20, v24
	v_lshl_add_u32 v1, v1, 23, 0x3c000000
	s_delay_alu instid0(VALU_DEP_3) | instskip(NEXT) | instid1(VALU_DEP_1)
	v_and_b32_e32 v2, 0x80000000, v2
	v_or3_b32 v109, v3, v2, v1
.LBB342_503:                            ;   in Loop: Header=BB342_9 Depth=1
	s_or_b32 exec_lo, exec_lo, s19
.LBB342_504:                            ;   in Loop: Header=BB342_9 Depth=1
	s_delay_alu instid0(SALU_CYCLE_1)
	s_or_b32 exec_lo, exec_lo, s18
.LBB342_505:                            ;   in Loop: Header=BB342_9 Depth=1
	s_delay_alu instid0(SALU_CYCLE_1) | instskip(SKIP_3) | instid1(VALU_DEP_2)
	s_or_b32 exec_lo, exec_lo, s11
	v_dual_lshrrev_b32 v1, 16, v0 :: v_dual_mov_b32 v111, 0
	v_mov_b32_e32 v120, 0
	s_mov_b32 s11, exec_lo
	v_and_b32_e32 v2, 0xff, v1
	s_delay_alu instid0(VALU_DEP_1)
	v_cmpx_ne_u16_e32 0, v2
	s_cbranch_execz .LBB342_513
; %bb.506:                              ;   in Loop: Header=BB342_9 Depth=1
	v_bfrev_b32_e32 v120, 1
	s_mov_b32 s18, exec_lo
	v_cmpx_ne_u16_e32 0x80, v2
	s_cbranch_execz .LBB342_512
; %bb.507:                              ;   in Loop: Header=BB342_9 Depth=1
	v_bfe_u32 v3, v0, 16, 7
	v_mov_b32_e32 v120, 0x7f800001
	s_mov_b32 s19, exec_lo
	s_delay_alu instid0(VALU_DEP_2)
	v_cmpx_ne_u32_e32 0x7f, v3
	s_cbranch_execz .LBB342_511
; %bb.508:                              ;   in Loop: Header=BB342_9 Depth=1
	v_dual_lshrrev_b32 v2, 3, v3 :: v_dual_bitop2_b32 v4, 7, v1 bitop3:0x40
	s_mov_b32 s20, exec_lo
	s_delay_alu instid0(VALU_DEP_1)
	v_mov_b64_e32 v[24:25], v[4:5]
	v_cmpx_gt_u32_e32 8, v3
; %bb.509:                              ;   in Loop: Header=BB342_9 Depth=1
	v_clz_i32_u32_e32 v2, v4
	s_delay_alu instid0(VALU_DEP_1) | instskip(NEXT) | instid1(VALU_DEP_1)
	v_min_u32_e32 v2, 32, v2
	v_subrev_nc_u32_e32 v3, 28, v2
	v_sub_nc_u32_e32 v2, 29, v2
	s_delay_alu instid0(VALU_DEP_2) | instskip(NEXT) | instid1(VALU_DEP_1)
	v_lshlrev_b64_e32 v[6:7], v3, v[4:5]
	v_and_b32_e32 v24, 7, v6
; %bb.510:                              ;   in Loop: Header=BB342_9 Depth=1
	s_or_b32 exec_lo, exec_lo, s20
	s_delay_alu instid0(VALU_DEP_1) | instskip(SKIP_1) | instid1(VALU_DEP_2)
	v_dual_lshlrev_b32 v1, 24, v1 :: v_dual_lshlrev_b32 v3, 20, v24
	v_lshl_add_u32 v2, v2, 23, 0x3c000000
	v_and_b32_e32 v1, 0x80000000, v1
	s_delay_alu instid0(VALU_DEP_1)
	v_or3_b32 v120, v3, v1, v2
.LBB342_511:                            ;   in Loop: Header=BB342_9 Depth=1
	s_or_b32 exec_lo, exec_lo, s19
.LBB342_512:                            ;   in Loop: Header=BB342_9 Depth=1
	s_delay_alu instid0(SALU_CYCLE_1)
	s_or_b32 exec_lo, exec_lo, s18
.LBB342_513:                            ;   in Loop: Header=BB342_9 Depth=1
	s_delay_alu instid0(SALU_CYCLE_1) | instskip(NEXT) | instid1(SALU_CYCLE_1)
	s_or_b32 exec_lo, exec_lo, s11
	s_mov_b32 s11, exec_lo
	v_cmpx_lt_u32_e32 0xffffff, v0
	s_cbranch_execz .LBB342_521
; %bb.514:                              ;   in Loop: Header=BB342_9 Depth=1
	v_lshrrev_b32_e32 v1, 24, v0
	v_bfrev_b32_e32 v111, 1
	s_mov_b32 s18, exec_lo
	s_delay_alu instid0(VALU_DEP_2)
	v_cmpx_ne_u32_e32 0x80, v1
	s_cbranch_execz .LBB342_520
; %bb.515:                              ;   in Loop: Header=BB342_9 Depth=1
	v_bfe_u32 v2, v0, 24, 7
	v_mov_b32_e32 v111, 0x7f800001
	s_mov_b32 s19, exec_lo
	s_delay_alu instid0(VALU_DEP_2)
	v_cmpx_ne_u32_e32 0x7f, v2
	s_cbranch_execz .LBB342_519
; %bb.516:                              ;   in Loop: Header=BB342_9 Depth=1
	v_dual_lshrrev_b32 v0, 3, v2 :: v_dual_bitop2_b32 v4, 7, v1 bitop3:0x40
	s_mov_b32 s20, exec_lo
	s_delay_alu instid0(VALU_DEP_1)
	v_mov_b64_e32 v[24:25], v[4:5]
	v_cmpx_gt_u32_e32 8, v2
; %bb.517:                              ;   in Loop: Header=BB342_9 Depth=1
	v_clz_i32_u32_e32 v0, v4
	s_delay_alu instid0(VALU_DEP_1) | instskip(NEXT) | instid1(VALU_DEP_1)
	v_min_u32_e32 v0, 32, v0
	v_subrev_nc_u32_e32 v2, 28, v0
	s_delay_alu instid0(VALU_DEP_1) | instskip(NEXT) | instid1(VALU_DEP_1)
	v_lshlrev_b64_e32 v[2:3], v2, v[4:5]
	v_dual_sub_nc_u32 v0, 29, v0 :: v_dual_bitop2_b32 v24, 7, v2 bitop3:0x40
; %bb.518:                              ;   in Loop: Header=BB342_9 Depth=1
	s_or_b32 exec_lo, exec_lo, s20
	s_delay_alu instid0(VALU_DEP_1) | instskip(NEXT) | instid1(VALU_DEP_2)
	v_dual_lshlrev_b32 v1, 24, v1 :: v_dual_lshlrev_b32 v2, 20, v24
	v_lshl_add_u32 v0, v0, 23, 0x3c000000
	s_delay_alu instid0(VALU_DEP_2) | instskip(NEXT) | instid1(VALU_DEP_1)
	v_and_b32_e32 v1, 0x80000000, v1
	v_or3_b32 v111, v2, v1, v0
.LBB342_519:                            ;   in Loop: Header=BB342_9 Depth=1
	s_or_b32 exec_lo, exec_lo, s19
.LBB342_520:                            ;   in Loop: Header=BB342_9 Depth=1
	s_delay_alu instid0(SALU_CYCLE_1)
	s_or_b32 exec_lo, exec_lo, s18
.LBB342_521:                            ;   in Loop: Header=BB342_9 Depth=1
	s_delay_alu instid0(SALU_CYCLE_1)
	s_or_b32 exec_lo, exec_lo, s11
	flat_load_b32 v0, v[16:17] offset:2048
	v_dual_mov_b32 v121, 0 :: v_dual_mov_b32 v122, 0
	s_mov_b32 s11, exec_lo
	s_wait_loadcnt_dscnt 0x0
	v_and_b32_e32 v1, 0xff, v0
	s_wait_xcnt 0x0
	s_delay_alu instid0(VALU_DEP_1)
	v_cmpx_ne_u16_e32 0, v1
	s_cbranch_execz .LBB342_529
; %bb.522:                              ;   in Loop: Header=BB342_9 Depth=1
	v_bfrev_b32_e32 v122, 1
	s_mov_b32 s18, exec_lo
	v_cmpx_ne_u16_e32 0x80, v1
	s_cbranch_execz .LBB342_528
; %bb.523:                              ;   in Loop: Header=BB342_9 Depth=1
	v_and_b32_e32 v2, 0x7f, v0
	v_mov_b32_e32 v122, 0x7f800001
	s_mov_b32 s19, exec_lo
	s_delay_alu instid0(VALU_DEP_2)
	v_cmpx_ne_u32_e32 0x7f, v2
	s_cbranch_execz .LBB342_527
; %bb.524:                              ;   in Loop: Header=BB342_9 Depth=1
	v_dual_lshrrev_b32 v1, 3, v2 :: v_dual_bitop2_b32 v4, 7, v0 bitop3:0x40
	s_mov_b32 s20, exec_lo
	s_delay_alu instid0(VALU_DEP_1)
	v_mov_b64_e32 v[24:25], v[4:5]
	v_cmpx_gt_u32_e32 8, v2
; %bb.525:                              ;   in Loop: Header=BB342_9 Depth=1
	v_clz_i32_u32_e32 v1, v4
	s_delay_alu instid0(VALU_DEP_1) | instskip(NEXT) | instid1(VALU_DEP_1)
	v_min_u32_e32 v1, 32, v1
	v_subrev_nc_u32_e32 v2, 28, v1
	s_delay_alu instid0(VALU_DEP_1) | instskip(NEXT) | instid1(VALU_DEP_1)
	v_lshlrev_b64_e32 v[2:3], v2, v[4:5]
	v_dual_sub_nc_u32 v1, 29, v1 :: v_dual_bitop2_b32 v24, 7, v2 bitop3:0x40
; %bb.526:                              ;   in Loop: Header=BB342_9 Depth=1
	s_or_b32 exec_lo, exec_lo, s20
	v_lshlrev_b32_e32 v2, 24, v0
	s_delay_alu instid0(VALU_DEP_2) | instskip(NEXT) | instid1(VALU_DEP_3)
	v_lshlrev_b32_e32 v3, 20, v24
	v_lshl_add_u32 v1, v1, 23, 0x3c000000
	s_delay_alu instid0(VALU_DEP_3) | instskip(NEXT) | instid1(VALU_DEP_1)
	v_and_b32_e32 v2, 0x80000000, v2
	v_or3_b32 v122, v3, v2, v1
.LBB342_527:                            ;   in Loop: Header=BB342_9 Depth=1
	s_or_b32 exec_lo, exec_lo, s19
.LBB342_528:                            ;   in Loop: Header=BB342_9 Depth=1
	s_delay_alu instid0(SALU_CYCLE_1)
	s_or_b32 exec_lo, exec_lo, s18
.LBB342_529:                            ;   in Loop: Header=BB342_9 Depth=1
	s_delay_alu instid0(SALU_CYCLE_1) | instskip(SKIP_2) | instid1(VALU_DEP_1)
	s_or_b32 exec_lo, exec_lo, s11
	v_lshrrev_b16 v1, 8, v0
	s_mov_b32 s11, exec_lo
	v_cmpx_ne_u16_e32 0, v1
	s_cbranch_execz .LBB342_537
; %bb.530:                              ;   in Loop: Header=BB342_9 Depth=1
	v_bfrev_b32_e32 v121, 1
	s_mov_b32 s18, exec_lo
	v_cmpx_ne_u16_e32 0x80, v1
	s_cbranch_execz .LBB342_536
; %bb.531:                              ;   in Loop: Header=BB342_9 Depth=1
	v_and_b32_e32 v1, 0xffff, v1
	v_mov_b32_e32 v121, 0x7f800001
	s_mov_b32 s19, exec_lo
	s_delay_alu instid0(VALU_DEP_2) | instskip(NEXT) | instid1(VALU_DEP_1)
	v_and_b32_e32 v2, 0x7f, v1
	v_cmpx_ne_u32_e32 0x7f, v2
	s_cbranch_execz .LBB342_535
; %bb.532:                              ;   in Loop: Header=BB342_9 Depth=1
	v_dual_lshrrev_b32 v1, 3, v2 :: v_dual_bitop2_b32 v4, 7, v1 bitop3:0x40
	s_mov_b32 s20, exec_lo
	s_delay_alu instid0(VALU_DEP_1)
	v_mov_b64_e32 v[24:25], v[4:5]
	v_cmpx_gt_u32_e32 8, v2
; %bb.533:                              ;   in Loop: Header=BB342_9 Depth=1
	v_clz_i32_u32_e32 v1, v4
	s_delay_alu instid0(VALU_DEP_1) | instskip(NEXT) | instid1(VALU_DEP_1)
	v_min_u32_e32 v1, 32, v1
	v_subrev_nc_u32_e32 v2, 28, v1
	s_delay_alu instid0(VALU_DEP_1) | instskip(NEXT) | instid1(VALU_DEP_1)
	v_lshlrev_b64_e32 v[2:3], v2, v[4:5]
	v_dual_sub_nc_u32 v1, 29, v1 :: v_dual_bitop2_b32 v24, 7, v2 bitop3:0x40
; %bb.534:                              ;   in Loop: Header=BB342_9 Depth=1
	s_or_b32 exec_lo, exec_lo, s20
	v_lshlrev_b32_e32 v2, 16, v0
	s_delay_alu instid0(VALU_DEP_2) | instskip(NEXT) | instid1(VALU_DEP_3)
	v_lshlrev_b32_e32 v3, 20, v24
	v_lshl_add_u32 v1, v1, 23, 0x3c000000
	s_delay_alu instid0(VALU_DEP_3) | instskip(NEXT) | instid1(VALU_DEP_1)
	v_and_b32_e32 v2, 0x80000000, v2
	v_or3_b32 v121, v3, v2, v1
.LBB342_535:                            ;   in Loop: Header=BB342_9 Depth=1
	s_or_b32 exec_lo, exec_lo, s19
.LBB342_536:                            ;   in Loop: Header=BB342_9 Depth=1
	s_delay_alu instid0(SALU_CYCLE_1)
	s_or_b32 exec_lo, exec_lo, s18
.LBB342_537:                            ;   in Loop: Header=BB342_9 Depth=1
	s_delay_alu instid0(SALU_CYCLE_1) | instskip(SKIP_3) | instid1(VALU_DEP_2)
	s_or_b32 exec_lo, exec_lo, s11
	v_dual_lshrrev_b32 v1, 16, v0 :: v_dual_mov_b32 v123, 0
	v_mov_b32_e32 v124, 0
	s_mov_b32 s11, exec_lo
	v_and_b32_e32 v2, 0xff, v1
	s_delay_alu instid0(VALU_DEP_1)
	v_cmpx_ne_u16_e32 0, v2
	s_cbranch_execz .LBB342_545
; %bb.538:                              ;   in Loop: Header=BB342_9 Depth=1
	v_bfrev_b32_e32 v124, 1
	s_mov_b32 s18, exec_lo
	v_cmpx_ne_u16_e32 0x80, v2
	s_cbranch_execz .LBB342_544
; %bb.539:                              ;   in Loop: Header=BB342_9 Depth=1
	v_bfe_u32 v3, v0, 16, 7
	v_mov_b32_e32 v124, 0x7f800001
	s_mov_b32 s19, exec_lo
	s_delay_alu instid0(VALU_DEP_2)
	v_cmpx_ne_u32_e32 0x7f, v3
	s_cbranch_execz .LBB342_543
; %bb.540:                              ;   in Loop: Header=BB342_9 Depth=1
	v_dual_lshrrev_b32 v2, 3, v3 :: v_dual_bitop2_b32 v4, 7, v1 bitop3:0x40
	s_mov_b32 s20, exec_lo
	s_delay_alu instid0(VALU_DEP_1)
	v_mov_b64_e32 v[24:25], v[4:5]
	v_cmpx_gt_u32_e32 8, v3
; %bb.541:                              ;   in Loop: Header=BB342_9 Depth=1
	v_clz_i32_u32_e32 v2, v4
	s_delay_alu instid0(VALU_DEP_1) | instskip(NEXT) | instid1(VALU_DEP_1)
	v_min_u32_e32 v2, 32, v2
	v_subrev_nc_u32_e32 v3, 28, v2
	v_sub_nc_u32_e32 v2, 29, v2
	s_delay_alu instid0(VALU_DEP_2) | instskip(NEXT) | instid1(VALU_DEP_1)
	v_lshlrev_b64_e32 v[6:7], v3, v[4:5]
	v_and_b32_e32 v24, 7, v6
; %bb.542:                              ;   in Loop: Header=BB342_9 Depth=1
	s_or_b32 exec_lo, exec_lo, s20
	s_delay_alu instid0(VALU_DEP_1) | instskip(SKIP_1) | instid1(VALU_DEP_2)
	v_dual_lshlrev_b32 v1, 24, v1 :: v_dual_lshlrev_b32 v3, 20, v24
	v_lshl_add_u32 v2, v2, 23, 0x3c000000
	v_and_b32_e32 v1, 0x80000000, v1
	s_delay_alu instid0(VALU_DEP_1)
	v_or3_b32 v124, v3, v1, v2
.LBB342_543:                            ;   in Loop: Header=BB342_9 Depth=1
	s_or_b32 exec_lo, exec_lo, s19
.LBB342_544:                            ;   in Loop: Header=BB342_9 Depth=1
	s_delay_alu instid0(SALU_CYCLE_1)
	s_or_b32 exec_lo, exec_lo, s18
.LBB342_545:                            ;   in Loop: Header=BB342_9 Depth=1
	s_delay_alu instid0(SALU_CYCLE_1) | instskip(NEXT) | instid1(SALU_CYCLE_1)
	s_or_b32 exec_lo, exec_lo, s11
	s_mov_b32 s11, exec_lo
	v_cmpx_lt_u32_e32 0xffffff, v0
	s_cbranch_execz .LBB342_553
; %bb.546:                              ;   in Loop: Header=BB342_9 Depth=1
	v_lshrrev_b32_e32 v1, 24, v0
	v_bfrev_b32_e32 v123, 1
	s_mov_b32 s18, exec_lo
	s_delay_alu instid0(VALU_DEP_2)
	v_cmpx_ne_u32_e32 0x80, v1
	s_cbranch_execz .LBB342_552
; %bb.547:                              ;   in Loop: Header=BB342_9 Depth=1
	v_bfe_u32 v2, v0, 24, 7
	v_mov_b32_e32 v123, 0x7f800001
	s_mov_b32 s19, exec_lo
	s_delay_alu instid0(VALU_DEP_2)
	v_cmpx_ne_u32_e32 0x7f, v2
	s_cbranch_execz .LBB342_551
; %bb.548:                              ;   in Loop: Header=BB342_9 Depth=1
	v_dual_lshrrev_b32 v0, 3, v2 :: v_dual_bitop2_b32 v4, 7, v1 bitop3:0x40
	s_mov_b32 s20, exec_lo
	s_delay_alu instid0(VALU_DEP_1)
	v_mov_b64_e32 v[24:25], v[4:5]
	v_cmpx_gt_u32_e32 8, v2
; %bb.549:                              ;   in Loop: Header=BB342_9 Depth=1
	v_clz_i32_u32_e32 v0, v4
	s_delay_alu instid0(VALU_DEP_1) | instskip(NEXT) | instid1(VALU_DEP_1)
	v_min_u32_e32 v0, 32, v0
	v_subrev_nc_u32_e32 v2, 28, v0
	s_delay_alu instid0(VALU_DEP_1) | instskip(NEXT) | instid1(VALU_DEP_1)
	v_lshlrev_b64_e32 v[2:3], v2, v[4:5]
	v_dual_sub_nc_u32 v0, 29, v0 :: v_dual_bitop2_b32 v24, 7, v2 bitop3:0x40
; %bb.550:                              ;   in Loop: Header=BB342_9 Depth=1
	s_or_b32 exec_lo, exec_lo, s20
	s_delay_alu instid0(VALU_DEP_1) | instskip(NEXT) | instid1(VALU_DEP_2)
	v_dual_lshlrev_b32 v1, 24, v1 :: v_dual_lshlrev_b32 v2, 20, v24
	v_lshl_add_u32 v0, v0, 23, 0x3c000000
	s_delay_alu instid0(VALU_DEP_2) | instskip(NEXT) | instid1(VALU_DEP_1)
	v_and_b32_e32 v1, 0x80000000, v1
	v_or3_b32 v123, v2, v1, v0
.LBB342_551:                            ;   in Loop: Header=BB342_9 Depth=1
	s_or_b32 exec_lo, exec_lo, s19
.LBB342_552:                            ;   in Loop: Header=BB342_9 Depth=1
	s_delay_alu instid0(SALU_CYCLE_1)
	s_or_b32 exec_lo, exec_lo, s18
.LBB342_553:                            ;   in Loop: Header=BB342_9 Depth=1
	s_delay_alu instid0(SALU_CYCLE_1)
	s_or_b32 exec_lo, exec_lo, s11
	flat_load_b32 v0, v[16:17] offset:2056
	v_dual_mov_b32 v125, 0 :: v_dual_mov_b32 v126, 0
	s_mov_b32 s11, exec_lo
	s_wait_loadcnt_dscnt 0x0
	v_and_b32_e32 v1, 0xff, v0
	s_wait_xcnt 0x0
	s_delay_alu instid0(VALU_DEP_1)
	v_cmpx_ne_u16_e32 0, v1
	s_cbranch_execz .LBB342_561
; %bb.554:                              ;   in Loop: Header=BB342_9 Depth=1
	v_bfrev_b32_e32 v126, 1
	s_mov_b32 s18, exec_lo
	v_cmpx_ne_u16_e32 0x80, v1
	s_cbranch_execz .LBB342_560
; %bb.555:                              ;   in Loop: Header=BB342_9 Depth=1
	v_and_b32_e32 v2, 0x7f, v0
	v_mov_b32_e32 v126, 0x7f800001
	s_mov_b32 s19, exec_lo
	s_delay_alu instid0(VALU_DEP_2)
	v_cmpx_ne_u32_e32 0x7f, v2
	s_cbranch_execz .LBB342_559
; %bb.556:                              ;   in Loop: Header=BB342_9 Depth=1
	v_dual_lshrrev_b32 v1, 3, v2 :: v_dual_bitop2_b32 v4, 7, v0 bitop3:0x40
	s_mov_b32 s20, exec_lo
	s_delay_alu instid0(VALU_DEP_1)
	v_mov_b64_e32 v[24:25], v[4:5]
	v_cmpx_gt_u32_e32 8, v2
; %bb.557:                              ;   in Loop: Header=BB342_9 Depth=1
	v_clz_i32_u32_e32 v1, v4
	s_delay_alu instid0(VALU_DEP_1) | instskip(NEXT) | instid1(VALU_DEP_1)
	v_min_u32_e32 v1, 32, v1
	v_subrev_nc_u32_e32 v2, 28, v1
	s_delay_alu instid0(VALU_DEP_1) | instskip(NEXT) | instid1(VALU_DEP_1)
	v_lshlrev_b64_e32 v[2:3], v2, v[4:5]
	v_dual_sub_nc_u32 v1, 29, v1 :: v_dual_bitop2_b32 v24, 7, v2 bitop3:0x40
; %bb.558:                              ;   in Loop: Header=BB342_9 Depth=1
	s_or_b32 exec_lo, exec_lo, s20
	v_lshlrev_b32_e32 v2, 24, v0
	s_delay_alu instid0(VALU_DEP_2) | instskip(NEXT) | instid1(VALU_DEP_3)
	v_lshlrev_b32_e32 v3, 20, v24
	v_lshl_add_u32 v1, v1, 23, 0x3c000000
	s_delay_alu instid0(VALU_DEP_3) | instskip(NEXT) | instid1(VALU_DEP_1)
	v_and_b32_e32 v2, 0x80000000, v2
	v_or3_b32 v126, v3, v2, v1
.LBB342_559:                            ;   in Loop: Header=BB342_9 Depth=1
	s_or_b32 exec_lo, exec_lo, s19
.LBB342_560:                            ;   in Loop: Header=BB342_9 Depth=1
	s_delay_alu instid0(SALU_CYCLE_1)
	s_or_b32 exec_lo, exec_lo, s18
.LBB342_561:                            ;   in Loop: Header=BB342_9 Depth=1
	s_delay_alu instid0(SALU_CYCLE_1) | instskip(SKIP_2) | instid1(VALU_DEP_1)
	s_or_b32 exec_lo, exec_lo, s11
	v_lshrrev_b16 v1, 8, v0
	s_mov_b32 s11, exec_lo
	v_cmpx_ne_u16_e32 0, v1
	s_cbranch_execz .LBB342_569
; %bb.562:                              ;   in Loop: Header=BB342_9 Depth=1
	v_bfrev_b32_e32 v125, 1
	s_mov_b32 s18, exec_lo
	v_cmpx_ne_u16_e32 0x80, v1
	s_cbranch_execz .LBB342_568
; %bb.563:                              ;   in Loop: Header=BB342_9 Depth=1
	v_and_b32_e32 v1, 0xffff, v1
	v_mov_b32_e32 v125, 0x7f800001
	s_mov_b32 s19, exec_lo
	s_delay_alu instid0(VALU_DEP_2) | instskip(NEXT) | instid1(VALU_DEP_1)
	v_and_b32_e32 v2, 0x7f, v1
	v_cmpx_ne_u32_e32 0x7f, v2
	s_cbranch_execz .LBB342_567
; %bb.564:                              ;   in Loop: Header=BB342_9 Depth=1
	v_dual_lshrrev_b32 v1, 3, v2 :: v_dual_bitop2_b32 v4, 7, v1 bitop3:0x40
	s_mov_b32 s20, exec_lo
	s_delay_alu instid0(VALU_DEP_1)
	v_mov_b64_e32 v[24:25], v[4:5]
	v_cmpx_gt_u32_e32 8, v2
; %bb.565:                              ;   in Loop: Header=BB342_9 Depth=1
	v_clz_i32_u32_e32 v1, v4
	s_delay_alu instid0(VALU_DEP_1) | instskip(NEXT) | instid1(VALU_DEP_1)
	v_min_u32_e32 v1, 32, v1
	v_subrev_nc_u32_e32 v2, 28, v1
	s_delay_alu instid0(VALU_DEP_1) | instskip(NEXT) | instid1(VALU_DEP_1)
	v_lshlrev_b64_e32 v[2:3], v2, v[4:5]
	v_dual_sub_nc_u32 v1, 29, v1 :: v_dual_bitop2_b32 v24, 7, v2 bitop3:0x40
; %bb.566:                              ;   in Loop: Header=BB342_9 Depth=1
	s_or_b32 exec_lo, exec_lo, s20
	v_lshlrev_b32_e32 v2, 16, v0
	s_delay_alu instid0(VALU_DEP_2) | instskip(NEXT) | instid1(VALU_DEP_3)
	v_lshlrev_b32_e32 v3, 20, v24
	v_lshl_add_u32 v1, v1, 23, 0x3c000000
	s_delay_alu instid0(VALU_DEP_3) | instskip(NEXT) | instid1(VALU_DEP_1)
	v_and_b32_e32 v2, 0x80000000, v2
	v_or3_b32 v125, v3, v2, v1
.LBB342_567:                            ;   in Loop: Header=BB342_9 Depth=1
	s_or_b32 exec_lo, exec_lo, s19
.LBB342_568:                            ;   in Loop: Header=BB342_9 Depth=1
	s_delay_alu instid0(SALU_CYCLE_1)
	s_or_b32 exec_lo, exec_lo, s18
.LBB342_569:                            ;   in Loop: Header=BB342_9 Depth=1
	s_delay_alu instid0(SALU_CYCLE_1) | instskip(SKIP_3) | instid1(VALU_DEP_2)
	s_or_b32 exec_lo, exec_lo, s11
	v_dual_lshrrev_b32 v1, 16, v0 :: v_dual_mov_b32 v127, 0
	v_mov_b32_e32 v48, 0
	s_mov_b32 s11, exec_lo
	v_and_b32_e32 v2, 0xff, v1
	s_delay_alu instid0(VALU_DEP_1)
	v_cmpx_ne_u16_e32 0, v2
	s_cbranch_execz .LBB342_577
; %bb.570:                              ;   in Loop: Header=BB342_9 Depth=1
	v_bfrev_b32_e32 v48, 1
	s_mov_b32 s18, exec_lo
	v_cmpx_ne_u16_e32 0x80, v2
	s_cbranch_execz .LBB342_576
; %bb.571:                              ;   in Loop: Header=BB342_9 Depth=1
	v_bfe_u32 v3, v0, 16, 7
	v_mov_b32_e32 v48, 0x7f800001
	s_mov_b32 s19, exec_lo
	s_delay_alu instid0(VALU_DEP_2)
	v_cmpx_ne_u32_e32 0x7f, v3
	s_cbranch_execz .LBB342_575
; %bb.572:                              ;   in Loop: Header=BB342_9 Depth=1
	v_dual_lshrrev_b32 v2, 3, v3 :: v_dual_bitop2_b32 v4, 7, v1 bitop3:0x40
	s_mov_b32 s20, exec_lo
	s_delay_alu instid0(VALU_DEP_1)
	v_mov_b64_e32 v[24:25], v[4:5]
	v_cmpx_gt_u32_e32 8, v3
; %bb.573:                              ;   in Loop: Header=BB342_9 Depth=1
	v_clz_i32_u32_e32 v2, v4
	s_delay_alu instid0(VALU_DEP_1) | instskip(NEXT) | instid1(VALU_DEP_1)
	v_min_u32_e32 v2, 32, v2
	v_subrev_nc_u32_e32 v3, 28, v2
	v_sub_nc_u32_e32 v2, 29, v2
	s_delay_alu instid0(VALU_DEP_2) | instskip(NEXT) | instid1(VALU_DEP_1)
	v_lshlrev_b64_e32 v[6:7], v3, v[4:5]
	v_and_b32_e32 v24, 7, v6
; %bb.574:                              ;   in Loop: Header=BB342_9 Depth=1
	s_or_b32 exec_lo, exec_lo, s20
	s_delay_alu instid0(VALU_DEP_1) | instskip(SKIP_1) | instid1(VALU_DEP_2)
	v_dual_lshlrev_b32 v1, 24, v1 :: v_dual_lshlrev_b32 v3, 20, v24
	v_lshl_add_u32 v2, v2, 23, 0x3c000000
	v_and_b32_e32 v1, 0x80000000, v1
	s_delay_alu instid0(VALU_DEP_1)
	v_or3_b32 v48, v3, v1, v2
.LBB342_575:                            ;   in Loop: Header=BB342_9 Depth=1
	s_or_b32 exec_lo, exec_lo, s19
.LBB342_576:                            ;   in Loop: Header=BB342_9 Depth=1
	s_delay_alu instid0(SALU_CYCLE_1)
	s_or_b32 exec_lo, exec_lo, s18
.LBB342_577:                            ;   in Loop: Header=BB342_9 Depth=1
	s_delay_alu instid0(SALU_CYCLE_1) | instskip(NEXT) | instid1(SALU_CYCLE_1)
	s_or_b32 exec_lo, exec_lo, s11
	s_mov_b32 s11, exec_lo
	v_cmpx_lt_u32_e32 0xffffff, v0
	s_cbranch_execz .LBB342_585
; %bb.578:                              ;   in Loop: Header=BB342_9 Depth=1
	v_lshrrev_b32_e32 v1, 24, v0
	v_bfrev_b32_e32 v127, 1
	s_mov_b32 s18, exec_lo
	s_delay_alu instid0(VALU_DEP_2)
	v_cmpx_ne_u32_e32 0x80, v1
	s_cbranch_execz .LBB342_584
; %bb.579:                              ;   in Loop: Header=BB342_9 Depth=1
	v_bfe_u32 v2, v0, 24, 7
	v_mov_b32_e32 v127, 0x7f800001
	s_mov_b32 s19, exec_lo
	s_delay_alu instid0(VALU_DEP_2)
	v_cmpx_ne_u32_e32 0x7f, v2
	s_cbranch_execz .LBB342_583
; %bb.580:                              ;   in Loop: Header=BB342_9 Depth=1
	v_dual_lshrrev_b32 v0, 3, v2 :: v_dual_bitop2_b32 v4, 7, v1 bitop3:0x40
	s_mov_b32 s20, exec_lo
	s_delay_alu instid0(VALU_DEP_1)
	v_mov_b64_e32 v[24:25], v[4:5]
	v_cmpx_gt_u32_e32 8, v2
; %bb.581:                              ;   in Loop: Header=BB342_9 Depth=1
	v_clz_i32_u32_e32 v0, v4
	s_delay_alu instid0(VALU_DEP_1) | instskip(NEXT) | instid1(VALU_DEP_1)
	v_min_u32_e32 v0, 32, v0
	v_subrev_nc_u32_e32 v2, 28, v0
	s_delay_alu instid0(VALU_DEP_1) | instskip(NEXT) | instid1(VALU_DEP_1)
	v_lshlrev_b64_e32 v[2:3], v2, v[4:5]
	v_dual_sub_nc_u32 v0, 29, v0 :: v_dual_bitop2_b32 v24, 7, v2 bitop3:0x40
; %bb.582:                              ;   in Loop: Header=BB342_9 Depth=1
	s_or_b32 exec_lo, exec_lo, s20
	s_delay_alu instid0(VALU_DEP_1) | instskip(NEXT) | instid1(VALU_DEP_2)
	v_dual_lshlrev_b32 v1, 24, v1 :: v_dual_lshlrev_b32 v2, 20, v24
	v_lshl_add_u32 v0, v0, 23, 0x3c000000
	s_delay_alu instid0(VALU_DEP_2) | instskip(NEXT) | instid1(VALU_DEP_1)
	v_and_b32_e32 v1, 0x80000000, v1
	v_or3_b32 v127, v2, v1, v0
.LBB342_583:                            ;   in Loop: Header=BB342_9 Depth=1
	s_or_b32 exec_lo, exec_lo, s19
.LBB342_584:                            ;   in Loop: Header=BB342_9 Depth=1
	s_delay_alu instid0(SALU_CYCLE_1)
	s_or_b32 exec_lo, exec_lo, s18
.LBB342_585:                            ;   in Loop: Header=BB342_9 Depth=1
	s_delay_alu instid0(SALU_CYCLE_1)
	s_or_b32 exec_lo, exec_lo, s11
	flat_load_b32 v2, v[16:17] offset:2304
	v_dual_mov_b32 v51, 0 :: v_dual_mov_b32 v1, 0
	s_mov_b32 s11, exec_lo
	s_wait_loadcnt_dscnt 0x0
	v_and_b32_e32 v0, 0xff, v2
	s_wait_xcnt 0x0
	s_delay_alu instid0(VALU_DEP_1)
	v_cmpx_ne_u16_e32 0, v0
	s_cbranch_execz .LBB342_593
; %bb.586:                              ;   in Loop: Header=BB342_9 Depth=1
	v_bfrev_b32_e32 v1, 1
	s_mov_b32 s18, exec_lo
	v_cmpx_ne_u16_e32 0x80, v0
	s_cbranch_execz .LBB342_592
; %bb.587:                              ;   in Loop: Header=BB342_9 Depth=1
	v_and_b32_e32 v3, 0x7f, v2
	v_mov_b32_e32 v1, 0x7f800001
	s_mov_b32 s19, exec_lo
	s_delay_alu instid0(VALU_DEP_2)
	v_cmpx_ne_u32_e32 0x7f, v3
	s_cbranch_execz .LBB342_591
; %bb.588:                              ;   in Loop: Header=BB342_9 Depth=1
	v_dual_lshrrev_b32 v0, 3, v3 :: v_dual_bitop2_b32 v4, 7, v2 bitop3:0x40
	s_mov_b32 s20, exec_lo
	s_delay_alu instid0(VALU_DEP_1)
	v_mov_b64_e32 v[24:25], v[4:5]
	v_cmpx_gt_u32_e32 8, v3
; %bb.589:                              ;   in Loop: Header=BB342_9 Depth=1
	v_clz_i32_u32_e32 v0, v4
	s_delay_alu instid0(VALU_DEP_1) | instskip(NEXT) | instid1(VALU_DEP_1)
	v_min_u32_e32 v0, 32, v0
	v_subrev_nc_u32_e32 v1, 28, v0
	s_delay_alu instid0(VALU_DEP_1) | instskip(NEXT) | instid1(VALU_DEP_1)
	v_lshlrev_b64_e32 v[6:7], v1, v[4:5]
	v_dual_sub_nc_u32 v0, 29, v0 :: v_dual_bitop2_b32 v24, 7, v6 bitop3:0x40
; %bb.590:                              ;   in Loop: Header=BB342_9 Depth=1
	s_or_b32 exec_lo, exec_lo, s20
	s_delay_alu instid0(VALU_DEP_1) | instskip(NEXT) | instid1(VALU_DEP_2)
	v_dual_lshlrev_b32 v1, 24, v2 :: v_dual_lshlrev_b32 v3, 20, v24
	v_lshl_add_u32 v0, v0, 23, 0x3c000000
	s_delay_alu instid0(VALU_DEP_2) | instskip(NEXT) | instid1(VALU_DEP_1)
	v_and_b32_e32 v1, 0x80000000, v1
	v_or3_b32 v1, v3, v1, v0
.LBB342_591:                            ;   in Loop: Header=BB342_9 Depth=1
	s_or_b32 exec_lo, exec_lo, s19
.LBB342_592:                            ;   in Loop: Header=BB342_9 Depth=1
	s_delay_alu instid0(SALU_CYCLE_1)
	s_or_b32 exec_lo, exec_lo, s18
.LBB342_593:                            ;   in Loop: Header=BB342_9 Depth=1
	s_delay_alu instid0(SALU_CYCLE_1) | instskip(SKIP_2) | instid1(VALU_DEP_1)
	s_or_b32 exec_lo, exec_lo, s11
	v_lshrrev_b16 v0, 8, v2
	s_mov_b32 s11, exec_lo
	v_cmpx_ne_u16_e32 0, v0
	s_cbranch_execz .LBB342_601
; %bb.594:                              ;   in Loop: Header=BB342_9 Depth=1
	v_bfrev_b32_e32 v51, 1
	s_mov_b32 s18, exec_lo
	v_cmpx_ne_u16_e32 0x80, v0
	s_cbranch_execz .LBB342_600
; %bb.595:                              ;   in Loop: Header=BB342_9 Depth=1
	v_and_b32_e32 v0, 0xffff, v0
	v_mov_b32_e32 v51, 0x7f800001
	s_mov_b32 s19, exec_lo
	s_delay_alu instid0(VALU_DEP_2) | instskip(NEXT) | instid1(VALU_DEP_1)
	v_and_b32_e32 v3, 0x7f, v0
	v_cmpx_ne_u32_e32 0x7f, v3
	s_cbranch_execz .LBB342_599
; %bb.596:                              ;   in Loop: Header=BB342_9 Depth=1
	v_dual_lshrrev_b32 v0, 3, v3 :: v_dual_bitop2_b32 v4, 7, v0 bitop3:0x40
	s_mov_b32 s20, exec_lo
	s_delay_alu instid0(VALU_DEP_1)
	v_mov_b64_e32 v[24:25], v[4:5]
	v_cmpx_gt_u32_e32 8, v3
; %bb.597:                              ;   in Loop: Header=BB342_9 Depth=1
	v_clz_i32_u32_e32 v0, v4
	s_delay_alu instid0(VALU_DEP_1) | instskip(NEXT) | instid1(VALU_DEP_1)
	v_min_u32_e32 v0, 32, v0
	v_subrev_nc_u32_e32 v3, 28, v0
	s_delay_alu instid0(VALU_DEP_1) | instskip(NEXT) | instid1(VALU_DEP_1)
	v_lshlrev_b64_e32 v[6:7], v3, v[4:5]
	v_dual_sub_nc_u32 v0, 29, v0 :: v_dual_bitop2_b32 v24, 7, v6 bitop3:0x40
; %bb.598:                              ;   in Loop: Header=BB342_9 Depth=1
	s_or_b32 exec_lo, exec_lo, s20
	s_delay_alu instid0(VALU_DEP_1) | instskip(NEXT) | instid1(VALU_DEP_2)
	v_dual_lshlrev_b32 v3, 16, v2 :: v_dual_lshlrev_b32 v4, 20, v24
	v_lshl_add_u32 v0, v0, 23, 0x3c000000
	s_delay_alu instid0(VALU_DEP_2) | instskip(NEXT) | instid1(VALU_DEP_1)
	v_and_b32_e32 v3, 0x80000000, v3
	v_or3_b32 v51, v4, v3, v0
.LBB342_599:                            ;   in Loop: Header=BB342_9 Depth=1
	s_or_b32 exec_lo, exec_lo, s19
.LBB342_600:                            ;   in Loop: Header=BB342_9 Depth=1
	s_delay_alu instid0(SALU_CYCLE_1)
	s_or_b32 exec_lo, exec_lo, s18
.LBB342_601:                            ;   in Loop: Header=BB342_9 Depth=1
	s_delay_alu instid0(SALU_CYCLE_1) | instskip(SKIP_3) | instid1(VALU_DEP_2)
	s_or_b32 exec_lo, exec_lo, s11
	v_dual_mov_b32 v0, 0 :: v_dual_lshrrev_b32 v3, 16, v2
	v_mov_b32_e32 v50, 0
	s_mov_b32 s11, exec_lo
	v_and_b32_e32 v4, 0xff, v3
	s_delay_alu instid0(VALU_DEP_1)
	v_cmpx_ne_u16_e32 0, v4
	s_cbranch_execz .LBB342_609
; %bb.602:                              ;   in Loop: Header=BB342_9 Depth=1
	v_bfrev_b32_e32 v50, 1
	s_mov_b32 s18, exec_lo
	v_cmpx_ne_u16_e32 0x80, v4
	s_cbranch_execz .LBB342_608
; %bb.603:                              ;   in Loop: Header=BB342_9 Depth=1
	v_bfe_u32 v7, v2, 16, 7
	v_mov_b32_e32 v50, 0x7f800001
	s_mov_b32 s19, exec_lo
	s_delay_alu instid0(VALU_DEP_2)
	v_cmpx_ne_u32_e32 0x7f, v7
	s_cbranch_execz .LBB342_607
; %bb.604:                              ;   in Loop: Header=BB342_9 Depth=1
	v_and_b32_e32 v4, 7, v3
	v_lshrrev_b32_e32 v6, 3, v7
	s_mov_b32 s20, exec_lo
	s_delay_alu instid0(VALU_DEP_2)
	v_mov_b64_e32 v[24:25], v[4:5]
	v_cmpx_gt_u32_e32 8, v7
; %bb.605:                              ;   in Loop: Header=BB342_9 Depth=1
	v_clz_i32_u32_e32 v6, v4
	s_delay_alu instid0(VALU_DEP_1) | instskip(NEXT) | instid1(VALU_DEP_1)
	v_min_u32_e32 v6, 32, v6
	v_subrev_nc_u32_e32 v7, 28, v6
	s_delay_alu instid0(VALU_DEP_1) | instskip(NEXT) | instid1(VALU_DEP_1)
	v_lshlrev_b64_e32 v[8:9], v7, v[4:5]
	v_dual_sub_nc_u32 v6, 29, v6 :: v_dual_bitop2_b32 v24, 7, v8 bitop3:0x40
; %bb.606:                              ;   in Loop: Header=BB342_9 Depth=1
	s_or_b32 exec_lo, exec_lo, s20
	s_delay_alu instid0(VALU_DEP_1) | instskip(NEXT) | instid1(VALU_DEP_2)
	v_dual_lshlrev_b32 v3, 24, v3 :: v_dual_lshlrev_b32 v4, 20, v24
	v_lshl_add_u32 v6, v6, 23, 0x3c000000
	s_delay_alu instid0(VALU_DEP_2) | instskip(NEXT) | instid1(VALU_DEP_1)
	v_and_b32_e32 v3, 0x80000000, v3
	v_or3_b32 v50, v4, v3, v6
.LBB342_607:                            ;   in Loop: Header=BB342_9 Depth=1
	s_or_b32 exec_lo, exec_lo, s19
.LBB342_608:                            ;   in Loop: Header=BB342_9 Depth=1
	s_delay_alu instid0(SALU_CYCLE_1)
	s_or_b32 exec_lo, exec_lo, s18
.LBB342_609:                            ;   in Loop: Header=BB342_9 Depth=1
	s_delay_alu instid0(SALU_CYCLE_1) | instskip(NEXT) | instid1(SALU_CYCLE_1)
	s_or_b32 exec_lo, exec_lo, s11
	s_mov_b32 s11, exec_lo
	v_cmpx_lt_u32_e32 0xffffff, v2
	s_cbranch_execz .LBB342_617
; %bb.610:                              ;   in Loop: Header=BB342_9 Depth=1
	v_lshrrev_b32_e32 v3, 24, v2
	v_bfrev_b32_e32 v0, 1
	s_mov_b32 s18, exec_lo
	s_delay_alu instid0(VALU_DEP_2)
	v_cmpx_ne_u32_e32 0x80, v3
	s_cbranch_execz .LBB342_616
; %bb.611:                              ;   in Loop: Header=BB342_9 Depth=1
	v_bfe_u32 v2, v2, 24, 7
	v_mov_b32_e32 v0, 0x7f800001
	s_mov_b32 s19, exec_lo
	s_delay_alu instid0(VALU_DEP_2)
	v_cmpx_ne_u32_e32 0x7f, v2
	s_cbranch_execz .LBB342_615
; %bb.612:                              ;   in Loop: Header=BB342_9 Depth=1
	v_dual_lshrrev_b32 v0, 3, v2 :: v_dual_bitop2_b32 v4, 7, v3 bitop3:0x40
	s_mov_b32 s20, exec_lo
	s_delay_alu instid0(VALU_DEP_1)
	v_mov_b64_e32 v[24:25], v[4:5]
	v_cmpx_gt_u32_e32 8, v2
; %bb.613:                              ;   in Loop: Header=BB342_9 Depth=1
	v_clz_i32_u32_e32 v0, v4
	s_delay_alu instid0(VALU_DEP_1) | instskip(NEXT) | instid1(VALU_DEP_1)
	v_min_u32_e32 v0, 32, v0
	v_subrev_nc_u32_e32 v2, 28, v0
	s_delay_alu instid0(VALU_DEP_1) | instskip(NEXT) | instid1(VALU_DEP_1)
	v_lshlrev_b64_e32 v[6:7], v2, v[4:5]
	v_dual_sub_nc_u32 v0, 29, v0 :: v_dual_bitop2_b32 v24, 7, v6 bitop3:0x40
; %bb.614:                              ;   in Loop: Header=BB342_9 Depth=1
	s_or_b32 exec_lo, exec_lo, s20
	s_delay_alu instid0(VALU_DEP_1) | instskip(NEXT) | instid1(VALU_DEP_2)
	v_dual_lshlrev_b32 v2, 24, v3 :: v_dual_lshlrev_b32 v3, 20, v24
	v_lshl_add_u32 v0, v0, 23, 0x3c000000
	s_delay_alu instid0(VALU_DEP_2) | instskip(NEXT) | instid1(VALU_DEP_1)
	v_and_b32_e32 v2, 0x80000000, v2
	v_or3_b32 v0, v3, v2, v0
.LBB342_615:                            ;   in Loop: Header=BB342_9 Depth=1
	s_or_b32 exec_lo, exec_lo, s19
.LBB342_616:                            ;   in Loop: Header=BB342_9 Depth=1
	s_delay_alu instid0(SALU_CYCLE_1)
	s_or_b32 exec_lo, exec_lo, s18
.LBB342_617:                            ;   in Loop: Header=BB342_9 Depth=1
	s_delay_alu instid0(SALU_CYCLE_1)
	s_or_b32 exec_lo, exec_lo, s11
	flat_load_b32 v2, v[16:17] offset:2312
	v_dual_mov_b32 v8, 0 :: v_dual_mov_b32 v32, 0
	s_mov_b32 s11, exec_lo
	s_wait_loadcnt_dscnt 0x0
	v_and_b32_e32 v3, 0xff, v2
	s_wait_xcnt 0x0
	s_delay_alu instid0(VALU_DEP_1)
	v_cmpx_ne_u16_e32 0, v3
	s_cbranch_execz .LBB342_625
; %bb.618:                              ;   in Loop: Header=BB342_9 Depth=1
	v_bfrev_b32_e32 v32, 1
	s_mov_b32 s18, exec_lo
	v_cmpx_ne_u16_e32 0x80, v3
	s_cbranch_execz .LBB342_624
; %bb.619:                              ;   in Loop: Header=BB342_9 Depth=1
	v_and_b32_e32 v6, 0x7f, v2
	v_mov_b32_e32 v32, 0x7f800001
	s_mov_b32 s19, exec_lo
	s_delay_alu instid0(VALU_DEP_2)
	v_cmpx_ne_u32_e32 0x7f, v6
	s_cbranch_execz .LBB342_623
; %bb.620:                              ;   in Loop: Header=BB342_9 Depth=1
	v_and_b32_e32 v4, 7, v2
	v_lshrrev_b32_e32 v3, 3, v6
	s_mov_b32 s20, exec_lo
	s_delay_alu instid0(VALU_DEP_2)
	v_mov_b64_e32 v[24:25], v[4:5]
	v_cmpx_gt_u32_e32 8, v6
; %bb.621:                              ;   in Loop: Header=BB342_9 Depth=1
	v_clz_i32_u32_e32 v3, v4
	s_delay_alu instid0(VALU_DEP_1) | instskip(NEXT) | instid1(VALU_DEP_1)
	v_min_u32_e32 v3, 32, v3
	v_subrev_nc_u32_e32 v6, 28, v3
	s_delay_alu instid0(VALU_DEP_1) | instskip(NEXT) | instid1(VALU_DEP_1)
	v_lshlrev_b64_e32 v[6:7], v6, v[4:5]
	v_dual_sub_nc_u32 v3, 29, v3 :: v_dual_bitop2_b32 v24, 7, v6 bitop3:0x40
; %bb.622:                              ;   in Loop: Header=BB342_9 Depth=1
	s_or_b32 exec_lo, exec_lo, s20
	s_delay_alu instid0(VALU_DEP_1) | instskip(NEXT) | instid1(VALU_DEP_2)
	v_dual_lshlrev_b32 v4, 24, v2 :: v_dual_lshlrev_b32 v6, 20, v24
	v_lshl_add_u32 v3, v3, 23, 0x3c000000
	s_delay_alu instid0(VALU_DEP_2) | instskip(NEXT) | instid1(VALU_DEP_1)
	v_and_b32_e32 v4, 0x80000000, v4
	v_or3_b32 v32, v6, v4, v3
.LBB342_623:                            ;   in Loop: Header=BB342_9 Depth=1
	s_or_b32 exec_lo, exec_lo, s19
.LBB342_624:                            ;   in Loop: Header=BB342_9 Depth=1
	s_delay_alu instid0(SALU_CYCLE_1)
	s_or_b32 exec_lo, exec_lo, s18
.LBB342_625:                            ;   in Loop: Header=BB342_9 Depth=1
	s_delay_alu instid0(SALU_CYCLE_1) | instskip(SKIP_2) | instid1(VALU_DEP_1)
	s_or_b32 exec_lo, exec_lo, s11
	v_lshrrev_b16 v3, 8, v2
	s_mov_b32 s11, exec_lo
	v_cmpx_ne_u16_e32 0, v3
	s_cbranch_execz .LBB342_633
; %bb.626:                              ;   in Loop: Header=BB342_9 Depth=1
	v_bfrev_b32_e32 v8, 1
	s_mov_b32 s18, exec_lo
	v_cmpx_ne_u16_e32 0x80, v3
	s_cbranch_execz .LBB342_632
; %bb.627:                              ;   in Loop: Header=BB342_9 Depth=1
	v_and_b32_e32 v3, 0xffff, v3
	v_mov_b32_e32 v8, 0x7f800001
	s_mov_b32 s19, exec_lo
	s_delay_alu instid0(VALU_DEP_2) | instskip(NEXT) | instid1(VALU_DEP_1)
	v_and_b32_e32 v6, 0x7f, v3
	v_cmpx_ne_u32_e32 0x7f, v6
	s_cbranch_execz .LBB342_631
; %bb.628:                              ;   in Loop: Header=BB342_9 Depth=1
	v_dual_lshrrev_b32 v3, 3, v6 :: v_dual_bitop2_b32 v4, 7, v3 bitop3:0x40
	s_mov_b32 s20, exec_lo
	s_delay_alu instid0(VALU_DEP_1)
	v_mov_b64_e32 v[24:25], v[4:5]
	v_cmpx_gt_u32_e32 8, v6
; %bb.629:                              ;   in Loop: Header=BB342_9 Depth=1
	v_clz_i32_u32_e32 v3, v4
	s_delay_alu instid0(VALU_DEP_1) | instskip(NEXT) | instid1(VALU_DEP_1)
	v_min_u32_e32 v3, 32, v3
	v_subrev_nc_u32_e32 v6, 28, v3
	s_delay_alu instid0(VALU_DEP_1) | instskip(NEXT) | instid1(VALU_DEP_1)
	v_lshlrev_b64_e32 v[6:7], v6, v[4:5]
	v_dual_sub_nc_u32 v3, 29, v3 :: v_dual_bitop2_b32 v24, 7, v6 bitop3:0x40
; %bb.630:                              ;   in Loop: Header=BB342_9 Depth=1
	s_or_b32 exec_lo, exec_lo, s20
	s_delay_alu instid0(VALU_DEP_1) | instskip(NEXT) | instid1(VALU_DEP_2)
	v_dual_lshlrev_b32 v4, 16, v2 :: v_dual_lshlrev_b32 v6, 20, v24
	v_lshl_add_u32 v3, v3, 23, 0x3c000000
	s_delay_alu instid0(VALU_DEP_2) | instskip(NEXT) | instid1(VALU_DEP_1)
	v_and_b32_e32 v4, 0x80000000, v4
	v_or3_b32 v8, v6, v4, v3
.LBB342_631:                            ;   in Loop: Header=BB342_9 Depth=1
	s_or_b32 exec_lo, exec_lo, s19
.LBB342_632:                            ;   in Loop: Header=BB342_9 Depth=1
	s_delay_alu instid0(SALU_CYCLE_1)
	s_or_b32 exec_lo, exec_lo, s18
.LBB342_633:                            ;   in Loop: Header=BB342_9 Depth=1
	s_delay_alu instid0(SALU_CYCLE_1) | instskip(SKIP_3) | instid1(VALU_DEP_2)
	s_or_b32 exec_lo, exec_lo, s11
	v_dual_lshrrev_b32 v3, 16, v2 :: v_dual_mov_b32 v7, 0
	v_mov_b32_e32 v6, 0
	s_mov_b32 s11, exec_lo
	v_and_b32_e32 v4, 0xff, v3
	s_delay_alu instid0(VALU_DEP_1)
	v_cmpx_ne_u16_e32 0, v4
	s_cbranch_execz .LBB342_641
; %bb.634:                              ;   in Loop: Header=BB342_9 Depth=1
	v_bfrev_b32_e32 v6, 1
	s_mov_b32 s18, exec_lo
	v_cmpx_ne_u16_e32 0x80, v4
	s_cbranch_execz .LBB342_640
; %bb.635:                              ;   in Loop: Header=BB342_9 Depth=1
	v_bfe_u32 v9, v2, 16, 7
	v_mov_b32_e32 v6, 0x7f800001
	s_mov_b32 s19, exec_lo
	s_delay_alu instid0(VALU_DEP_2)
	v_cmpx_ne_u32_e32 0x7f, v9
	s_cbranch_execz .LBB342_639
; %bb.636:                              ;   in Loop: Header=BB342_9 Depth=1
	v_dual_lshrrev_b32 v6, 3, v9 :: v_dual_bitop2_b32 v4, 7, v3 bitop3:0x40
	s_mov_b32 s20, exec_lo
	s_delay_alu instid0(VALU_DEP_1)
	v_mov_b64_e32 v[24:25], v[4:5]
	v_cmpx_gt_u32_e32 8, v9
; %bb.637:                              ;   in Loop: Header=BB342_9 Depth=1
	v_clz_i32_u32_e32 v6, v4
	s_delay_alu instid0(VALU_DEP_1) | instskip(NEXT) | instid1(VALU_DEP_1)
	v_min_u32_e32 v6, 32, v6
	v_subrev_nc_u32_e32 v9, 28, v6
	v_sub_nc_u32_e32 v6, 29, v6
	s_delay_alu instid0(VALU_DEP_2) | instskip(NEXT) | instid1(VALU_DEP_1)
	v_lshlrev_b64_e32 v[10:11], v9, v[4:5]
	v_and_b32_e32 v24, 7, v10
; %bb.638:                              ;   in Loop: Header=BB342_9 Depth=1
	s_or_b32 exec_lo, exec_lo, s20
	s_delay_alu instid0(VALU_DEP_1) | instskip(SKIP_1) | instid1(VALU_DEP_2)
	v_dual_lshlrev_b32 v3, 24, v3 :: v_dual_lshlrev_b32 v4, 20, v24
	v_lshl_add_u32 v6, v6, 23, 0x3c000000
	v_and_b32_e32 v3, 0x80000000, v3
	s_delay_alu instid0(VALU_DEP_1)
	v_or3_b32 v6, v4, v3, v6
.LBB342_639:                            ;   in Loop: Header=BB342_9 Depth=1
	s_or_b32 exec_lo, exec_lo, s19
.LBB342_640:                            ;   in Loop: Header=BB342_9 Depth=1
	s_delay_alu instid0(SALU_CYCLE_1)
	s_or_b32 exec_lo, exec_lo, s18
.LBB342_641:                            ;   in Loop: Header=BB342_9 Depth=1
	s_delay_alu instid0(SALU_CYCLE_1) | instskip(NEXT) | instid1(SALU_CYCLE_1)
	s_or_b32 exec_lo, exec_lo, s11
	s_mov_b32 s11, exec_lo
	v_cmpx_lt_u32_e32 0xffffff, v2
	s_cbranch_execz .LBB342_649
; %bb.642:                              ;   in Loop: Header=BB342_9 Depth=1
	v_lshrrev_b32_e32 v3, 24, v2
	v_bfrev_b32_e32 v7, 1
	s_mov_b32 s18, exec_lo
	s_delay_alu instid0(VALU_DEP_2)
	v_cmpx_ne_u32_e32 0x80, v3
	s_cbranch_execz .LBB342_648
; %bb.643:                              ;   in Loop: Header=BB342_9 Depth=1
	v_bfe_u32 v9, v2, 24, 7
	v_mov_b32_e32 v7, 0x7f800001
	s_mov_b32 s19, exec_lo
	s_delay_alu instid0(VALU_DEP_2)
	v_cmpx_ne_u32_e32 0x7f, v9
	s_cbranch_execz .LBB342_647
; %bb.644:                              ;   in Loop: Header=BB342_9 Depth=1
	v_dual_lshrrev_b32 v2, 3, v9 :: v_dual_bitop2_b32 v4, 7, v3 bitop3:0x40
	s_mov_b32 s20, exec_lo
	s_delay_alu instid0(VALU_DEP_1)
	v_mov_b64_e32 v[24:25], v[4:5]
	v_cmpx_gt_u32_e32 8, v9
; %bb.645:                              ;   in Loop: Header=BB342_9 Depth=1
	v_clz_i32_u32_e32 v2, v4
	s_delay_alu instid0(VALU_DEP_1) | instskip(NEXT) | instid1(VALU_DEP_1)
	v_min_u32_e32 v2, 32, v2
	v_subrev_nc_u32_e32 v7, 28, v2
	v_sub_nc_u32_e32 v2, 29, v2
	s_delay_alu instid0(VALU_DEP_2) | instskip(NEXT) | instid1(VALU_DEP_1)
	v_lshlrev_b64_e32 v[10:11], v7, v[4:5]
	v_and_b32_e32 v24, 7, v10
; %bb.646:                              ;   in Loop: Header=BB342_9 Depth=1
	s_or_b32 exec_lo, exec_lo, s20
	s_delay_alu instid0(VALU_DEP_1) | instskip(SKIP_1) | instid1(VALU_DEP_2)
	v_dual_lshlrev_b32 v3, 24, v3 :: v_dual_lshlrev_b32 v4, 20, v24
	v_lshl_add_u32 v2, v2, 23, 0x3c000000
	v_and_b32_e32 v3, 0x80000000, v3
	s_delay_alu instid0(VALU_DEP_1)
	v_or3_b32 v7, v4, v3, v2
.LBB342_647:                            ;   in Loop: Header=BB342_9 Depth=1
	s_or_b32 exec_lo, exec_lo, s19
.LBB342_648:                            ;   in Loop: Header=BB342_9 Depth=1
	s_delay_alu instid0(SALU_CYCLE_1)
	s_or_b32 exec_lo, exec_lo, s18
.LBB342_649:                            ;   in Loop: Header=BB342_9 Depth=1
	s_delay_alu instid0(SALU_CYCLE_1)
	s_or_b32 exec_lo, exec_lo, s11
	flat_load_b32 v9, v[16:17] offset:2560
	v_dual_mov_b32 v2, 0 :: v_dual_mov_b32 v3, 0
	s_mov_b32 s11, exec_lo
	s_wait_loadcnt_dscnt 0x0
	v_and_b32_e32 v4, 0xff, v9
	s_wait_xcnt 0x0
	s_delay_alu instid0(VALU_DEP_1)
	v_cmpx_ne_u16_e32 0, v4
	s_cbranch_execz .LBB342_657
; %bb.650:                              ;   in Loop: Header=BB342_9 Depth=1
	v_bfrev_b32_e32 v3, 1
	s_mov_b32 s18, exec_lo
	v_cmpx_ne_u16_e32 0x80, v4
	s_cbranch_execz .LBB342_656
; %bb.651:                              ;   in Loop: Header=BB342_9 Depth=1
	v_and_b32_e32 v10, 0x7f, v9
	v_mov_b32_e32 v3, 0x7f800001
	s_mov_b32 s19, exec_lo
	s_delay_alu instid0(VALU_DEP_2)
	v_cmpx_ne_u32_e32 0x7f, v10
	s_cbranch_execz .LBB342_655
; %bb.652:                              ;   in Loop: Header=BB342_9 Depth=1
	v_dual_lshrrev_b32 v3, 3, v10 :: v_dual_bitop2_b32 v4, 7, v9 bitop3:0x40
	s_mov_b32 s20, exec_lo
	s_delay_alu instid0(VALU_DEP_1)
	v_mov_b64_e32 v[24:25], v[4:5]
	v_cmpx_gt_u32_e32 8, v10
; %bb.653:                              ;   in Loop: Header=BB342_9 Depth=1
	v_clz_i32_u32_e32 v3, v4
	s_delay_alu instid0(VALU_DEP_1) | instskip(NEXT) | instid1(VALU_DEP_1)
	v_min_u32_e32 v3, 32, v3
	v_subrev_nc_u32_e32 v10, 28, v3
	s_delay_alu instid0(VALU_DEP_1) | instskip(NEXT) | instid1(VALU_DEP_1)
	v_lshlrev_b64_e32 v[10:11], v10, v[4:5]
	v_dual_sub_nc_u32 v3, 29, v3 :: v_dual_bitop2_b32 v24, 7, v10 bitop3:0x40
; %bb.654:                              ;   in Loop: Header=BB342_9 Depth=1
	s_or_b32 exec_lo, exec_lo, s20
	s_delay_alu instid0(VALU_DEP_1) | instskip(NEXT) | instid1(VALU_DEP_2)
	v_dual_lshlrev_b32 v4, 24, v9 :: v_dual_lshlrev_b32 v10, 20, v24
	v_lshl_add_u32 v3, v3, 23, 0x3c000000
	s_delay_alu instid0(VALU_DEP_2) | instskip(NEXT) | instid1(VALU_DEP_1)
	v_and_b32_e32 v4, 0x80000000, v4
	v_or3_b32 v3, v10, v4, v3
.LBB342_655:                            ;   in Loop: Header=BB342_9 Depth=1
	s_or_b32 exec_lo, exec_lo, s19
.LBB342_656:                            ;   in Loop: Header=BB342_9 Depth=1
	s_delay_alu instid0(SALU_CYCLE_1)
	s_or_b32 exec_lo, exec_lo, s18
.LBB342_657:                            ;   in Loop: Header=BB342_9 Depth=1
	s_delay_alu instid0(SALU_CYCLE_1) | instskip(SKIP_2) | instid1(VALU_DEP_1)
	s_or_b32 exec_lo, exec_lo, s11
	v_lshrrev_b16 v4, 8, v9
	s_mov_b32 s11, exec_lo
	v_cmpx_ne_u16_e32 0, v4
	s_cbranch_execz .LBB342_665
; %bb.658:                              ;   in Loop: Header=BB342_9 Depth=1
	v_bfrev_b32_e32 v2, 1
	s_mov_b32 s18, exec_lo
	v_cmpx_ne_u16_e32 0x80, v4
	s_cbranch_execz .LBB342_664
; %bb.659:                              ;   in Loop: Header=BB342_9 Depth=1
	v_and_b32_e32 v4, 0xffff, v4
	v_mov_b32_e32 v2, 0x7f800001
	s_mov_b32 s19, exec_lo
	s_delay_alu instid0(VALU_DEP_2) | instskip(NEXT) | instid1(VALU_DEP_1)
	v_and_b32_e32 v10, 0x7f, v4
	v_cmpx_ne_u32_e32 0x7f, v10
	s_cbranch_execz .LBB342_663
; %bb.660:                              ;   in Loop: Header=BB342_9 Depth=1
	v_dual_lshrrev_b32 v2, 3, v10 :: v_dual_bitop2_b32 v4, 7, v4 bitop3:0x40
	s_mov_b32 s20, exec_lo
	s_delay_alu instid0(VALU_DEP_1)
	v_mov_b64_e32 v[24:25], v[4:5]
	v_cmpx_gt_u32_e32 8, v10
; %bb.661:                              ;   in Loop: Header=BB342_9 Depth=1
	v_clz_i32_u32_e32 v2, v4
	s_delay_alu instid0(VALU_DEP_1) | instskip(NEXT) | instid1(VALU_DEP_1)
	v_min_u32_e32 v2, 32, v2
	v_subrev_nc_u32_e32 v10, 28, v2
	v_sub_nc_u32_e32 v2, 29, v2
	s_delay_alu instid0(VALU_DEP_2) | instskip(NEXT) | instid1(VALU_DEP_1)
	v_lshlrev_b64_e32 v[10:11], v10, v[4:5]
	v_and_b32_e32 v24, 7, v10
; %bb.662:                              ;   in Loop: Header=BB342_9 Depth=1
	s_or_b32 exec_lo, exec_lo, s20
	s_delay_alu instid0(VALU_DEP_1) | instskip(SKIP_1) | instid1(VALU_DEP_2)
	v_dual_lshlrev_b32 v4, 16, v9 :: v_dual_lshlrev_b32 v10, 20, v24
	v_lshl_add_u32 v2, v2, 23, 0x3c000000
	v_and_b32_e32 v4, 0x80000000, v4
	s_delay_alu instid0(VALU_DEP_1)
	v_or3_b32 v2, v10, v4, v2
.LBB342_663:                            ;   in Loop: Header=BB342_9 Depth=1
	s_or_b32 exec_lo, exec_lo, s19
.LBB342_664:                            ;   in Loop: Header=BB342_9 Depth=1
	s_delay_alu instid0(SALU_CYCLE_1)
	s_or_b32 exec_lo, exec_lo, s18
.LBB342_665:                            ;   in Loop: Header=BB342_9 Depth=1
	s_delay_alu instid0(SALU_CYCLE_1) | instskip(SKIP_3) | instid1(VALU_DEP_2)
	s_or_b32 exec_lo, exec_lo, s11
	v_dual_lshrrev_b32 v12, 16, v9 :: v_dual_mov_b32 v10, 0
	v_mov_b32_e32 v11, 0
	s_mov_b32 s11, exec_lo
	v_and_b32_e32 v4, 0xff, v12
	s_delay_alu instid0(VALU_DEP_1)
	v_cmpx_ne_u16_e32 0, v4
	s_cbranch_execz .LBB342_673
; %bb.666:                              ;   in Loop: Header=BB342_9 Depth=1
	v_bfrev_b32_e32 v11, 1
	s_mov_b32 s18, exec_lo
	v_cmpx_ne_u16_e32 0x80, v4
	s_cbranch_execz .LBB342_672
; %bb.667:                              ;   in Loop: Header=BB342_9 Depth=1
	v_bfe_u32 v13, v9, 16, 7
	v_mov_b32_e32 v11, 0x7f800001
	s_mov_b32 s19, exec_lo
	s_delay_alu instid0(VALU_DEP_2)
	v_cmpx_ne_u32_e32 0x7f, v13
	s_cbranch_execz .LBB342_671
; %bb.668:                              ;   in Loop: Header=BB342_9 Depth=1
	v_dual_lshrrev_b32 v11, 3, v13 :: v_dual_bitop2_b32 v4, 7, v12 bitop3:0x40
	s_mov_b32 s20, exec_lo
	s_delay_alu instid0(VALU_DEP_1)
	v_mov_b64_e32 v[24:25], v[4:5]
	v_cmpx_gt_u32_e32 8, v13
; %bb.669:                              ;   in Loop: Header=BB342_9 Depth=1
	v_clz_i32_u32_e32 v11, v4
	s_delay_alu instid0(VALU_DEP_1) | instskip(NEXT) | instid1(VALU_DEP_1)
	v_min_u32_e32 v11, 32, v11
	v_subrev_nc_u32_e32 v13, 28, v11
	s_delay_alu instid0(VALU_DEP_1) | instskip(NEXT) | instid1(VALU_DEP_1)
	v_lshlrev_b64_e32 v[18:19], v13, v[4:5]
	v_dual_sub_nc_u32 v11, 29, v11 :: v_dual_bitop2_b32 v24, 7, v18 bitop3:0x40
; %bb.670:                              ;   in Loop: Header=BB342_9 Depth=1
	s_or_b32 exec_lo, exec_lo, s20
	v_lshlrev_b32_e32 v4, 24, v12
	s_delay_alu instid0(VALU_DEP_2) | instskip(NEXT) | instid1(VALU_DEP_3)
	v_lshlrev_b32_e32 v12, 20, v24
	v_lshl_add_u32 v11, v11, 23, 0x3c000000
	s_delay_alu instid0(VALU_DEP_3) | instskip(NEXT) | instid1(VALU_DEP_1)
	v_and_b32_e32 v4, 0x80000000, v4
	v_or3_b32 v11, v12, v4, v11
.LBB342_671:                            ;   in Loop: Header=BB342_9 Depth=1
	s_or_b32 exec_lo, exec_lo, s19
.LBB342_672:                            ;   in Loop: Header=BB342_9 Depth=1
	s_delay_alu instid0(SALU_CYCLE_1)
	s_or_b32 exec_lo, exec_lo, s18
.LBB342_673:                            ;   in Loop: Header=BB342_9 Depth=1
	s_delay_alu instid0(SALU_CYCLE_1) | instskip(NEXT) | instid1(SALU_CYCLE_1)
	s_or_b32 exec_lo, exec_lo, s11
	s_mov_b32 s11, exec_lo
	v_cmpx_lt_u32_e32 0xffffff, v9
	s_cbranch_execz .LBB342_681
; %bb.674:                              ;   in Loop: Header=BB342_9 Depth=1
	v_lshrrev_b32_e32 v12, 24, v9
	v_bfrev_b32_e32 v10, 1
	s_mov_b32 s18, exec_lo
	s_delay_alu instid0(VALU_DEP_2)
	v_cmpx_ne_u32_e32 0x80, v12
	s_cbranch_execz .LBB342_680
; %bb.675:                              ;   in Loop: Header=BB342_9 Depth=1
	v_bfe_u32 v13, v9, 24, 7
	v_mov_b32_e32 v10, 0x7f800001
	s_mov_b32 s19, exec_lo
	s_delay_alu instid0(VALU_DEP_2)
	v_cmpx_ne_u32_e32 0x7f, v13
	s_cbranch_execz .LBB342_679
; %bb.676:                              ;   in Loop: Header=BB342_9 Depth=1
	v_dual_lshrrev_b32 v9, 3, v13 :: v_dual_bitop2_b32 v4, 7, v12 bitop3:0x40
	s_mov_b32 s20, exec_lo
	s_delay_alu instid0(VALU_DEP_1)
	v_mov_b64_e32 v[24:25], v[4:5]
	v_cmpx_gt_u32_e32 8, v13
; %bb.677:                              ;   in Loop: Header=BB342_9 Depth=1
	v_clz_i32_u32_e32 v9, v4
	s_delay_alu instid0(VALU_DEP_1) | instskip(NEXT) | instid1(VALU_DEP_1)
	v_min_u32_e32 v9, 32, v9
	v_subrev_nc_u32_e32 v10, 28, v9
	s_delay_alu instid0(VALU_DEP_1) | instskip(NEXT) | instid1(VALU_DEP_1)
	v_lshlrev_b64_e32 v[18:19], v10, v[4:5]
	v_dual_sub_nc_u32 v9, 29, v9 :: v_dual_bitop2_b32 v24, 7, v18 bitop3:0x40
; %bb.678:                              ;   in Loop: Header=BB342_9 Depth=1
	s_or_b32 exec_lo, exec_lo, s20
	v_lshlrev_b32_e32 v4, 24, v12
	s_delay_alu instid0(VALU_DEP_2) | instskip(NEXT) | instid1(VALU_DEP_3)
	v_lshlrev_b32_e32 v10, 20, v24
	v_lshl_add_u32 v9, v9, 23, 0x3c000000
	s_delay_alu instid0(VALU_DEP_3) | instskip(NEXT) | instid1(VALU_DEP_1)
	v_and_b32_e32 v4, 0x80000000, v4
	v_or3_b32 v10, v10, v4, v9
.LBB342_679:                            ;   in Loop: Header=BB342_9 Depth=1
	s_or_b32 exec_lo, exec_lo, s19
.LBB342_680:                            ;   in Loop: Header=BB342_9 Depth=1
	s_delay_alu instid0(SALU_CYCLE_1)
	s_or_b32 exec_lo, exec_lo, s18
.LBB342_681:                            ;   in Loop: Header=BB342_9 Depth=1
	s_delay_alu instid0(SALU_CYCLE_1)
	s_or_b32 exec_lo, exec_lo, s11
	flat_load_b32 v9, v[16:17] offset:2568
	v_dual_mov_b32 v35, 0 :: v_dual_mov_b32 v34, 0
	s_mov_b32 s11, exec_lo
	s_wait_loadcnt_dscnt 0x0
	v_and_b32_e32 v4, 0xff, v9
	s_wait_xcnt 0x0
	s_delay_alu instid0(VALU_DEP_1)
	v_cmpx_ne_u16_e32 0, v4
	s_cbranch_execz .LBB342_689
; %bb.682:                              ;   in Loop: Header=BB342_9 Depth=1
	v_bfrev_b32_e32 v34, 1
	s_mov_b32 s18, exec_lo
	v_cmpx_ne_u16_e32 0x80, v4
	s_cbranch_execz .LBB342_688
; %bb.683:                              ;   in Loop: Header=BB342_9 Depth=1
	v_and_b32_e32 v13, 0x7f, v9
	v_mov_b32_e32 v34, 0x7f800001
	s_mov_b32 s19, exec_lo
	s_delay_alu instid0(VALU_DEP_2)
	v_cmpx_ne_u32_e32 0x7f, v13
	s_cbranch_execz .LBB342_687
; %bb.684:                              ;   in Loop: Header=BB342_9 Depth=1
	v_and_b32_e32 v4, 7, v9
	v_lshrrev_b32_e32 v12, 3, v13
	s_mov_b32 s20, exec_lo
	s_delay_alu instid0(VALU_DEP_2)
	v_mov_b64_e32 v[24:25], v[4:5]
	v_cmpx_gt_u32_e32 8, v13
; %bb.685:                              ;   in Loop: Header=BB342_9 Depth=1
	v_clz_i32_u32_e32 v12, v4
	s_delay_alu instid0(VALU_DEP_1) | instskip(NEXT) | instid1(VALU_DEP_1)
	v_min_u32_e32 v12, 32, v12
	v_subrev_nc_u32_e32 v13, 28, v12
	s_delay_alu instid0(VALU_DEP_1) | instskip(NEXT) | instid1(VALU_DEP_1)
	v_lshlrev_b64_e32 v[18:19], v13, v[4:5]
	v_dual_sub_nc_u32 v12, 29, v12 :: v_dual_bitop2_b32 v24, 7, v18 bitop3:0x40
; %bb.686:                              ;   in Loop: Header=BB342_9 Depth=1
	s_or_b32 exec_lo, exec_lo, s20
	s_delay_alu instid0(VALU_DEP_1) | instskip(NEXT) | instid1(VALU_DEP_2)
	v_dual_lshlrev_b32 v4, 24, v9 :: v_dual_lshlrev_b32 v13, 20, v24
	v_lshl_add_u32 v12, v12, 23, 0x3c000000
	s_delay_alu instid0(VALU_DEP_2) | instskip(NEXT) | instid1(VALU_DEP_1)
	v_and_b32_e32 v4, 0x80000000, v4
	v_or3_b32 v34, v13, v4, v12
.LBB342_687:                            ;   in Loop: Header=BB342_9 Depth=1
	s_or_b32 exec_lo, exec_lo, s19
.LBB342_688:                            ;   in Loop: Header=BB342_9 Depth=1
	s_delay_alu instid0(SALU_CYCLE_1)
	s_or_b32 exec_lo, exec_lo, s18
.LBB342_689:                            ;   in Loop: Header=BB342_9 Depth=1
	s_delay_alu instid0(SALU_CYCLE_1) | instskip(SKIP_2) | instid1(VALU_DEP_1)
	s_or_b32 exec_lo, exec_lo, s11
	v_lshrrev_b16 v4, 8, v9
	s_mov_b32 s11, exec_lo
	v_cmpx_ne_u16_e32 0, v4
	s_cbranch_execz .LBB342_697
; %bb.690:                              ;   in Loop: Header=BB342_9 Depth=1
	v_bfrev_b32_e32 v35, 1
	s_mov_b32 s18, exec_lo
	v_cmpx_ne_u16_e32 0x80, v4
	s_cbranch_execz .LBB342_696
; %bb.691:                              ;   in Loop: Header=BB342_9 Depth=1
	v_and_b32_e32 v4, 0xffff, v4
	v_mov_b32_e32 v35, 0x7f800001
	s_mov_b32 s19, exec_lo
	s_delay_alu instid0(VALU_DEP_2) | instskip(NEXT) | instid1(VALU_DEP_1)
	v_and_b32_e32 v13, 0x7f, v4
	v_cmpx_ne_u32_e32 0x7f, v13
	s_cbranch_execz .LBB342_695
; %bb.692:                              ;   in Loop: Header=BB342_9 Depth=1
	v_dual_lshrrev_b32 v12, 3, v13 :: v_dual_bitop2_b32 v4, 7, v4 bitop3:0x40
	s_mov_b32 s20, exec_lo
	s_delay_alu instid0(VALU_DEP_1)
	v_mov_b64_e32 v[24:25], v[4:5]
	v_cmpx_gt_u32_e32 8, v13
; %bb.693:                              ;   in Loop: Header=BB342_9 Depth=1
	v_clz_i32_u32_e32 v12, v4
	s_delay_alu instid0(VALU_DEP_1) | instskip(NEXT) | instid1(VALU_DEP_1)
	v_min_u32_e32 v12, 32, v12
	v_subrev_nc_u32_e32 v13, 28, v12
	s_delay_alu instid0(VALU_DEP_1) | instskip(NEXT) | instid1(VALU_DEP_1)
	v_lshlrev_b64_e32 v[18:19], v13, v[4:5]
	v_dual_sub_nc_u32 v12, 29, v12 :: v_dual_bitop2_b32 v24, 7, v18 bitop3:0x40
; %bb.694:                              ;   in Loop: Header=BB342_9 Depth=1
	s_or_b32 exec_lo, exec_lo, s20
	s_delay_alu instid0(VALU_DEP_1) | instskip(NEXT) | instid1(VALU_DEP_2)
	v_dual_lshlrev_b32 v4, 16, v9 :: v_dual_lshlrev_b32 v13, 20, v24
	v_lshl_add_u32 v12, v12, 23, 0x3c000000
	s_delay_alu instid0(VALU_DEP_2) | instskip(NEXT) | instid1(VALU_DEP_1)
	v_and_b32_e32 v4, 0x80000000, v4
	v_or3_b32 v35, v13, v4, v12
.LBB342_695:                            ;   in Loop: Header=BB342_9 Depth=1
	s_or_b32 exec_lo, exec_lo, s19
.LBB342_696:                            ;   in Loop: Header=BB342_9 Depth=1
	s_delay_alu instid0(SALU_CYCLE_1)
	s_or_b32 exec_lo, exec_lo, s18
.LBB342_697:                            ;   in Loop: Header=BB342_9 Depth=1
	s_delay_alu instid0(SALU_CYCLE_1) | instskip(SKIP_3) | instid1(VALU_DEP_2)
	s_or_b32 exec_lo, exec_lo, s11
	v_dual_mov_b32 v53, 0 :: v_dual_lshrrev_b32 v12, 16, v9
	v_mov_b32_e32 v49, 0
	s_mov_b32 s11, exec_lo
	v_and_b32_e32 v4, 0xff, v12
	s_delay_alu instid0(VALU_DEP_1)
	v_cmpx_ne_u16_e32 0, v4
	s_cbranch_execz .LBB342_705
; %bb.698:                              ;   in Loop: Header=BB342_9 Depth=1
	v_bfrev_b32_e32 v49, 1
	s_mov_b32 s18, exec_lo
	v_cmpx_ne_u16_e32 0x80, v4
	s_cbranch_execz .LBB342_704
; %bb.699:                              ;   in Loop: Header=BB342_9 Depth=1
	v_bfe_u32 v18, v9, 16, 7
	v_mov_b32_e32 v49, 0x7f800001
	s_mov_b32 s19, exec_lo
	s_delay_alu instid0(VALU_DEP_2)
	v_cmpx_ne_u32_e32 0x7f, v18
	s_cbranch_execz .LBB342_703
; %bb.700:                              ;   in Loop: Header=BB342_9 Depth=1
	v_dual_lshrrev_b32 v13, 3, v18 :: v_dual_bitop2_b32 v4, 7, v12 bitop3:0x40
	s_mov_b32 s20, exec_lo
	s_delay_alu instid0(VALU_DEP_1)
	v_mov_b64_e32 v[24:25], v[4:5]
	v_cmpx_gt_u32_e32 8, v18
; %bb.701:                              ;   in Loop: Header=BB342_9 Depth=1
	v_clz_i32_u32_e32 v13, v4
	s_delay_alu instid0(VALU_DEP_1) | instskip(NEXT) | instid1(VALU_DEP_1)
	v_min_u32_e32 v13, 32, v13
	v_subrev_nc_u32_e32 v18, 28, v13
	s_delay_alu instid0(VALU_DEP_1) | instskip(NEXT) | instid1(VALU_DEP_1)
	v_lshlrev_b64_e32 v[18:19], v18, v[4:5]
	v_dual_sub_nc_u32 v13, 29, v13 :: v_dual_bitop2_b32 v24, 7, v18 bitop3:0x40
; %bb.702:                              ;   in Loop: Header=BB342_9 Depth=1
	s_or_b32 exec_lo, exec_lo, s20
	v_lshlrev_b32_e32 v4, 24, v12
	s_delay_alu instid0(VALU_DEP_2) | instskip(NEXT) | instid1(VALU_DEP_3)
	v_lshlrev_b32_e32 v12, 20, v24
	v_lshl_add_u32 v13, v13, 23, 0x3c000000
	s_delay_alu instid0(VALU_DEP_3) | instskip(NEXT) | instid1(VALU_DEP_1)
	v_and_b32_e32 v4, 0x80000000, v4
	v_or3_b32 v49, v12, v4, v13
.LBB342_703:                            ;   in Loop: Header=BB342_9 Depth=1
	s_or_b32 exec_lo, exec_lo, s19
.LBB342_704:                            ;   in Loop: Header=BB342_9 Depth=1
	s_delay_alu instid0(SALU_CYCLE_1)
	s_or_b32 exec_lo, exec_lo, s18
.LBB342_705:                            ;   in Loop: Header=BB342_9 Depth=1
	s_delay_alu instid0(SALU_CYCLE_1) | instskip(NEXT) | instid1(SALU_CYCLE_1)
	s_or_b32 exec_lo, exec_lo, s11
	s_mov_b32 s11, exec_lo
	v_cmpx_lt_u32_e32 0xffffff, v9
	s_cbranch_execz .LBB342_713
; %bb.706:                              ;   in Loop: Header=BB342_9 Depth=1
	v_lshrrev_b32_e32 v12, 24, v9
	v_bfrev_b32_e32 v53, 1
	s_mov_b32 s18, exec_lo
	s_delay_alu instid0(VALU_DEP_2)
	v_cmpx_ne_u32_e32 0x80, v12
	s_cbranch_execz .LBB342_712
; %bb.707:                              ;   in Loop: Header=BB342_9 Depth=1
	v_bfe_u32 v13, v9, 24, 7
	v_mov_b32_e32 v53, 0x7f800001
	s_mov_b32 s19, exec_lo
	s_delay_alu instid0(VALU_DEP_2)
	v_cmpx_ne_u32_e32 0x7f, v13
	s_cbranch_execz .LBB342_711
; %bb.708:                              ;   in Loop: Header=BB342_9 Depth=1
	v_dual_lshrrev_b32 v9, 3, v13 :: v_dual_bitop2_b32 v4, 7, v12 bitop3:0x40
	s_mov_b32 s20, exec_lo
	s_delay_alu instid0(VALU_DEP_1)
	v_mov_b64_e32 v[24:25], v[4:5]
	v_cmpx_gt_u32_e32 8, v13
; %bb.709:                              ;   in Loop: Header=BB342_9 Depth=1
	v_clz_i32_u32_e32 v9, v4
	s_delay_alu instid0(VALU_DEP_1) | instskip(NEXT) | instid1(VALU_DEP_1)
	v_min_u32_e32 v9, 32, v9
	v_subrev_nc_u32_e32 v13, 28, v9
	s_delay_alu instid0(VALU_DEP_1) | instskip(NEXT) | instid1(VALU_DEP_1)
	v_lshlrev_b64_e32 v[18:19], v13, v[4:5]
	v_dual_sub_nc_u32 v9, 29, v9 :: v_dual_bitop2_b32 v24, 7, v18 bitop3:0x40
; %bb.710:                              ;   in Loop: Header=BB342_9 Depth=1
	s_or_b32 exec_lo, exec_lo, s20
	v_lshlrev_b32_e32 v4, 24, v12
	s_delay_alu instid0(VALU_DEP_2) | instskip(NEXT) | instid1(VALU_DEP_3)
	v_lshlrev_b32_e32 v12, 20, v24
	v_lshl_add_u32 v9, v9, 23, 0x3c000000
	s_delay_alu instid0(VALU_DEP_3) | instskip(NEXT) | instid1(VALU_DEP_1)
	v_and_b32_e32 v4, 0x80000000, v4
	v_or3_b32 v53, v12, v4, v9
.LBB342_711:                            ;   in Loop: Header=BB342_9 Depth=1
	s_or_b32 exec_lo, exec_lo, s19
.LBB342_712:                            ;   in Loop: Header=BB342_9 Depth=1
	s_delay_alu instid0(SALU_CYCLE_1)
	s_or_b32 exec_lo, exec_lo, s18
.LBB342_713:                            ;   in Loop: Header=BB342_9 Depth=1
	s_delay_alu instid0(SALU_CYCLE_1)
	s_or_b32 exec_lo, exec_lo, s11
	flat_load_b32 v9, v[16:17] offset:2816
	v_dual_mov_b32 v91, 0 :: v_dual_mov_b32 v23, 0
	s_mov_b32 s11, exec_lo
	s_wait_loadcnt_dscnt 0x0
	v_and_b32_e32 v4, 0xff, v9
	s_wait_xcnt 0x0
	s_delay_alu instid0(VALU_DEP_1)
	v_cmpx_ne_u16_e32 0, v4
	s_cbranch_execz .LBB342_721
; %bb.714:                              ;   in Loop: Header=BB342_9 Depth=1
	v_bfrev_b32_e32 v23, 1
	s_mov_b32 s18, exec_lo
	v_cmpx_ne_u16_e32 0x80, v4
	s_cbranch_execz .LBB342_720
; %bb.715:                              ;   in Loop: Header=BB342_9 Depth=1
	v_and_b32_e32 v13, 0x7f, v9
	v_mov_b32_e32 v23, 0x7f800001
	s_mov_b32 s19, exec_lo
	s_delay_alu instid0(VALU_DEP_2)
	v_cmpx_ne_u32_e32 0x7f, v13
	s_cbranch_execz .LBB342_719
; %bb.716:                              ;   in Loop: Header=BB342_9 Depth=1
	v_and_b32_e32 v4, 7, v9
	v_lshrrev_b32_e32 v12, 3, v13
	s_mov_b32 s20, exec_lo
	s_delay_alu instid0(VALU_DEP_2)
	v_mov_b64_e32 v[24:25], v[4:5]
	v_cmpx_gt_u32_e32 8, v13
; %bb.717:                              ;   in Loop: Header=BB342_9 Depth=1
	v_clz_i32_u32_e32 v12, v4
	s_delay_alu instid0(VALU_DEP_1) | instskip(NEXT) | instid1(VALU_DEP_1)
	v_min_u32_e32 v12, 32, v12
	v_subrev_nc_u32_e32 v13, 28, v12
	s_delay_alu instid0(VALU_DEP_1) | instskip(NEXT) | instid1(VALU_DEP_1)
	v_lshlrev_b64_e32 v[18:19], v13, v[4:5]
	v_dual_sub_nc_u32 v12, 29, v12 :: v_dual_bitop2_b32 v24, 7, v18 bitop3:0x40
; %bb.718:                              ;   in Loop: Header=BB342_9 Depth=1
	s_or_b32 exec_lo, exec_lo, s20
	s_delay_alu instid0(VALU_DEP_1) | instskip(NEXT) | instid1(VALU_DEP_2)
	v_dual_lshlrev_b32 v4, 24, v9 :: v_dual_lshlrev_b32 v13, 20, v24
	v_lshl_add_u32 v12, v12, 23, 0x3c000000
	s_delay_alu instid0(VALU_DEP_2) | instskip(NEXT) | instid1(VALU_DEP_1)
	v_and_b32_e32 v4, 0x80000000, v4
	v_or3_b32 v23, v13, v4, v12
.LBB342_719:                            ;   in Loop: Header=BB342_9 Depth=1
	s_or_b32 exec_lo, exec_lo, s19
.LBB342_720:                            ;   in Loop: Header=BB342_9 Depth=1
	s_delay_alu instid0(SALU_CYCLE_1)
	s_or_b32 exec_lo, exec_lo, s18
.LBB342_721:                            ;   in Loop: Header=BB342_9 Depth=1
	s_delay_alu instid0(SALU_CYCLE_1) | instskip(SKIP_2) | instid1(VALU_DEP_1)
	s_or_b32 exec_lo, exec_lo, s11
	v_lshrrev_b16 v4, 8, v9
	s_mov_b32 s11, exec_lo
	v_cmpx_ne_u16_e32 0, v4
	s_cbranch_execz .LBB342_729
; %bb.722:                              ;   in Loop: Header=BB342_9 Depth=1
	v_bfrev_b32_e32 v91, 1
	s_mov_b32 s18, exec_lo
	v_cmpx_ne_u16_e32 0x80, v4
	s_cbranch_execz .LBB342_728
; %bb.723:                              ;   in Loop: Header=BB342_9 Depth=1
	v_and_b32_e32 v4, 0xffff, v4
	v_mov_b32_e32 v91, 0x7f800001
	s_mov_b32 s19, exec_lo
	s_delay_alu instid0(VALU_DEP_2) | instskip(NEXT) | instid1(VALU_DEP_1)
	v_and_b32_e32 v13, 0x7f, v4
	v_cmpx_ne_u32_e32 0x7f, v13
	s_cbranch_execz .LBB342_727
; %bb.724:                              ;   in Loop: Header=BB342_9 Depth=1
	v_dual_lshrrev_b32 v12, 3, v13 :: v_dual_bitop2_b32 v4, 7, v4 bitop3:0x40
	s_mov_b32 s20, exec_lo
	s_delay_alu instid0(VALU_DEP_1)
	v_mov_b64_e32 v[24:25], v[4:5]
	v_cmpx_gt_u32_e32 8, v13
; %bb.725:                              ;   in Loop: Header=BB342_9 Depth=1
	v_clz_i32_u32_e32 v12, v4
	s_delay_alu instid0(VALU_DEP_1) | instskip(NEXT) | instid1(VALU_DEP_1)
	v_min_u32_e32 v12, 32, v12
	v_subrev_nc_u32_e32 v13, 28, v12
	s_delay_alu instid0(VALU_DEP_1) | instskip(NEXT) | instid1(VALU_DEP_1)
	v_lshlrev_b64_e32 v[18:19], v13, v[4:5]
	v_dual_sub_nc_u32 v12, 29, v12 :: v_dual_bitop2_b32 v24, 7, v18 bitop3:0x40
; %bb.726:                              ;   in Loop: Header=BB342_9 Depth=1
	s_or_b32 exec_lo, exec_lo, s20
	s_delay_alu instid0(VALU_DEP_1) | instskip(NEXT) | instid1(VALU_DEP_2)
	v_dual_lshlrev_b32 v4, 16, v9 :: v_dual_lshlrev_b32 v13, 20, v24
	v_lshl_add_u32 v12, v12, 23, 0x3c000000
	s_delay_alu instid0(VALU_DEP_2) | instskip(NEXT) | instid1(VALU_DEP_1)
	v_and_b32_e32 v4, 0x80000000, v4
	v_or3_b32 v91, v13, v4, v12
.LBB342_727:                            ;   in Loop: Header=BB342_9 Depth=1
	s_or_b32 exec_lo, exec_lo, s19
.LBB342_728:                            ;   in Loop: Header=BB342_9 Depth=1
	s_delay_alu instid0(SALU_CYCLE_1)
	s_or_b32 exec_lo, exec_lo, s18
.LBB342_729:                            ;   in Loop: Header=BB342_9 Depth=1
	s_delay_alu instid0(SALU_CYCLE_1) | instskip(SKIP_3) | instid1(VALU_DEP_2)
	s_or_b32 exec_lo, exec_lo, s11
	v_dual_lshrrev_b32 v12, 16, v9 :: v_dual_mov_b32 v22, 0
	v_mov_b32_e32 v28, 0
	s_mov_b32 s11, exec_lo
	v_and_b32_e32 v4, 0xff, v12
	s_delay_alu instid0(VALU_DEP_1)
	v_cmpx_ne_u16_e32 0, v4
	s_cbranch_execz .LBB342_737
; %bb.730:                              ;   in Loop: Header=BB342_9 Depth=1
	v_bfrev_b32_e32 v28, 1
	s_mov_b32 s18, exec_lo
	v_cmpx_ne_u16_e32 0x80, v4
	s_cbranch_execz .LBB342_736
; %bb.731:                              ;   in Loop: Header=BB342_9 Depth=1
	v_bfe_u32 v18, v9, 16, 7
	v_mov_b32_e32 v28, 0x7f800001
	s_mov_b32 s19, exec_lo
	s_delay_alu instid0(VALU_DEP_2)
	v_cmpx_ne_u32_e32 0x7f, v18
	s_cbranch_execz .LBB342_735
; %bb.732:                              ;   in Loop: Header=BB342_9 Depth=1
	v_dual_lshrrev_b32 v13, 3, v18 :: v_dual_bitop2_b32 v4, 7, v12 bitop3:0x40
	s_mov_b32 s20, exec_lo
	s_delay_alu instid0(VALU_DEP_1)
	v_mov_b64_e32 v[24:25], v[4:5]
	v_cmpx_gt_u32_e32 8, v18
; %bb.733:                              ;   in Loop: Header=BB342_9 Depth=1
	v_clz_i32_u32_e32 v13, v4
	s_delay_alu instid0(VALU_DEP_1) | instskip(NEXT) | instid1(VALU_DEP_1)
	v_min_u32_e32 v13, 32, v13
	v_subrev_nc_u32_e32 v18, 28, v13
	s_delay_alu instid0(VALU_DEP_1) | instskip(NEXT) | instid1(VALU_DEP_1)
	v_lshlrev_b64_e32 v[18:19], v18, v[4:5]
	v_dual_sub_nc_u32 v13, 29, v13 :: v_dual_bitop2_b32 v24, 7, v18 bitop3:0x40
; %bb.734:                              ;   in Loop: Header=BB342_9 Depth=1
	s_or_b32 exec_lo, exec_lo, s20
	v_lshlrev_b32_e32 v4, 24, v12
	s_delay_alu instid0(VALU_DEP_2) | instskip(NEXT) | instid1(VALU_DEP_3)
	v_lshlrev_b32_e32 v12, 20, v24
	v_lshl_add_u32 v13, v13, 23, 0x3c000000
	s_delay_alu instid0(VALU_DEP_3) | instskip(NEXT) | instid1(VALU_DEP_1)
	v_and_b32_e32 v4, 0x80000000, v4
	v_or3_b32 v28, v12, v4, v13
.LBB342_735:                            ;   in Loop: Header=BB342_9 Depth=1
	s_or_b32 exec_lo, exec_lo, s19
.LBB342_736:                            ;   in Loop: Header=BB342_9 Depth=1
	s_delay_alu instid0(SALU_CYCLE_1)
	s_or_b32 exec_lo, exec_lo, s18
.LBB342_737:                            ;   in Loop: Header=BB342_9 Depth=1
	s_delay_alu instid0(SALU_CYCLE_1) | instskip(NEXT) | instid1(SALU_CYCLE_1)
	s_or_b32 exec_lo, exec_lo, s11
	s_mov_b32 s11, exec_lo
	v_cmpx_lt_u32_e32 0xffffff, v9
	s_cbranch_execz .LBB342_745
; %bb.738:                              ;   in Loop: Header=BB342_9 Depth=1
	v_lshrrev_b32_e32 v12, 24, v9
	v_bfrev_b32_e32 v22, 1
	s_mov_b32 s18, exec_lo
	s_delay_alu instid0(VALU_DEP_2)
	v_cmpx_ne_u32_e32 0x80, v12
	s_cbranch_execz .LBB342_744
; %bb.739:                              ;   in Loop: Header=BB342_9 Depth=1
	v_bfe_u32 v13, v9, 24, 7
	v_mov_b32_e32 v22, 0x7f800001
	s_mov_b32 s19, exec_lo
	s_delay_alu instid0(VALU_DEP_2)
	v_cmpx_ne_u32_e32 0x7f, v13
	s_cbranch_execz .LBB342_743
; %bb.740:                              ;   in Loop: Header=BB342_9 Depth=1
	v_dual_lshrrev_b32 v9, 3, v13 :: v_dual_bitop2_b32 v4, 7, v12 bitop3:0x40
	s_mov_b32 s20, exec_lo
	s_delay_alu instid0(VALU_DEP_1)
	v_mov_b64_e32 v[24:25], v[4:5]
	v_cmpx_gt_u32_e32 8, v13
; %bb.741:                              ;   in Loop: Header=BB342_9 Depth=1
	v_clz_i32_u32_e32 v9, v4
	s_delay_alu instid0(VALU_DEP_1) | instskip(NEXT) | instid1(VALU_DEP_1)
	v_min_u32_e32 v9, 32, v9
	v_subrev_nc_u32_e32 v13, 28, v9
	s_delay_alu instid0(VALU_DEP_1) | instskip(NEXT) | instid1(VALU_DEP_1)
	v_lshlrev_b64_e32 v[18:19], v13, v[4:5]
	v_dual_sub_nc_u32 v9, 29, v9 :: v_dual_bitop2_b32 v24, 7, v18 bitop3:0x40
; %bb.742:                              ;   in Loop: Header=BB342_9 Depth=1
	s_or_b32 exec_lo, exec_lo, s20
	v_lshlrev_b32_e32 v4, 24, v12
	s_delay_alu instid0(VALU_DEP_2) | instskip(NEXT) | instid1(VALU_DEP_3)
	v_lshlrev_b32_e32 v12, 20, v24
	v_lshl_add_u32 v9, v9, 23, 0x3c000000
	s_delay_alu instid0(VALU_DEP_3) | instskip(NEXT) | instid1(VALU_DEP_1)
	v_and_b32_e32 v4, 0x80000000, v4
	v_or3_b32 v22, v12, v4, v9
.LBB342_743:                            ;   in Loop: Header=BB342_9 Depth=1
	s_or_b32 exec_lo, exec_lo, s19
.LBB342_744:                            ;   in Loop: Header=BB342_9 Depth=1
	s_delay_alu instid0(SALU_CYCLE_1)
	s_or_b32 exec_lo, exec_lo, s18
.LBB342_745:                            ;   in Loop: Header=BB342_9 Depth=1
	s_delay_alu instid0(SALU_CYCLE_1)
	s_or_b32 exec_lo, exec_lo, s11
	flat_load_b32 v12, v[16:17] offset:2824
	v_dual_mov_b32 v9, 0 :: v_dual_mov_b32 v26, 0
	s_mov_b32 s11, exec_lo
	s_wait_loadcnt_dscnt 0x0
	v_and_b32_e32 v4, 0xff, v12
	s_wait_xcnt 0x0
	s_delay_alu instid0(VALU_DEP_1)
	v_cmpx_ne_u16_e32 0, v4
	s_cbranch_execz .LBB342_753
; %bb.746:                              ;   in Loop: Header=BB342_9 Depth=1
	v_bfrev_b32_e32 v26, 1
	s_mov_b32 s18, exec_lo
	v_cmpx_ne_u16_e32 0x80, v4
	s_cbranch_execz .LBB342_752
; %bb.747:                              ;   in Loop: Header=BB342_9 Depth=1
	v_and_b32_e32 v18, 0x7f, v12
	v_mov_b32_e32 v26, 0x7f800001
	s_mov_b32 s19, exec_lo
	s_delay_alu instid0(VALU_DEP_2)
	v_cmpx_ne_u32_e32 0x7f, v18
	s_cbranch_execz .LBB342_751
; %bb.748:                              ;   in Loop: Header=BB342_9 Depth=1
	v_dual_lshrrev_b32 v13, 3, v18 :: v_dual_bitop2_b32 v4, 7, v12 bitop3:0x40
	s_mov_b32 s20, exec_lo
	s_delay_alu instid0(VALU_DEP_1)
	v_mov_b64_e32 v[24:25], v[4:5]
	v_cmpx_gt_u32_e32 8, v18
; %bb.749:                              ;   in Loop: Header=BB342_9 Depth=1
	v_clz_i32_u32_e32 v13, v4
	s_delay_alu instid0(VALU_DEP_1) | instskip(NEXT) | instid1(VALU_DEP_1)
	v_min_u32_e32 v13, 32, v13
	v_subrev_nc_u32_e32 v18, 28, v13
	s_delay_alu instid0(VALU_DEP_1) | instskip(NEXT) | instid1(VALU_DEP_1)
	v_lshlrev_b64_e32 v[18:19], v18, v[4:5]
	v_dual_sub_nc_u32 v13, 29, v13 :: v_dual_bitop2_b32 v24, 7, v18 bitop3:0x40
; %bb.750:                              ;   in Loop: Header=BB342_9 Depth=1
	s_or_b32 exec_lo, exec_lo, s20
	v_lshlrev_b32_e32 v4, 24, v12
	s_delay_alu instid0(VALU_DEP_2) | instskip(NEXT) | instid1(VALU_DEP_3)
	v_lshlrev_b32_e32 v18, 20, v24
	v_lshl_add_u32 v13, v13, 23, 0x3c000000
	s_delay_alu instid0(VALU_DEP_3) | instskip(NEXT) | instid1(VALU_DEP_1)
	v_and_b32_e32 v4, 0x80000000, v4
	v_or3_b32 v26, v18, v4, v13
.LBB342_751:                            ;   in Loop: Header=BB342_9 Depth=1
	s_or_b32 exec_lo, exec_lo, s19
.LBB342_752:                            ;   in Loop: Header=BB342_9 Depth=1
	s_delay_alu instid0(SALU_CYCLE_1)
	s_or_b32 exec_lo, exec_lo, s18
.LBB342_753:                            ;   in Loop: Header=BB342_9 Depth=1
	s_delay_alu instid0(SALU_CYCLE_1) | instskip(SKIP_2) | instid1(VALU_DEP_1)
	s_or_b32 exec_lo, exec_lo, s11
	v_lshrrev_b16 v4, 8, v12
	s_mov_b32 s11, exec_lo
	v_cmpx_ne_u16_e32 0, v4
	s_cbranch_execz .LBB342_761
; %bb.754:                              ;   in Loop: Header=BB342_9 Depth=1
	v_bfrev_b32_e32 v9, 1
	s_mov_b32 s18, exec_lo
	v_cmpx_ne_u16_e32 0x80, v4
	s_cbranch_execz .LBB342_760
; %bb.755:                              ;   in Loop: Header=BB342_9 Depth=1
	v_and_b32_e32 v4, 0xffff, v4
	v_mov_b32_e32 v9, 0x7f800001
	s_mov_b32 s19, exec_lo
	s_delay_alu instid0(VALU_DEP_2) | instskip(NEXT) | instid1(VALU_DEP_1)
	v_and_b32_e32 v13, 0x7f, v4
	v_cmpx_ne_u32_e32 0x7f, v13
	s_cbranch_execz .LBB342_759
; %bb.756:                              ;   in Loop: Header=BB342_9 Depth=1
	v_dual_lshrrev_b32 v9, 3, v13 :: v_dual_bitop2_b32 v4, 7, v4 bitop3:0x40
	s_mov_b32 s20, exec_lo
	s_delay_alu instid0(VALU_DEP_1)
	v_mov_b64_e32 v[24:25], v[4:5]
	v_cmpx_gt_u32_e32 8, v13
; %bb.757:                              ;   in Loop: Header=BB342_9 Depth=1
	v_clz_i32_u32_e32 v9, v4
	s_delay_alu instid0(VALU_DEP_1) | instskip(NEXT) | instid1(VALU_DEP_1)
	v_min_u32_e32 v9, 32, v9
	v_subrev_nc_u32_e32 v13, 28, v9
	s_delay_alu instid0(VALU_DEP_1) | instskip(NEXT) | instid1(VALU_DEP_1)
	v_lshlrev_b64_e32 v[18:19], v13, v[4:5]
	v_dual_sub_nc_u32 v9, 29, v9 :: v_dual_bitop2_b32 v24, 7, v18 bitop3:0x40
; %bb.758:                              ;   in Loop: Header=BB342_9 Depth=1
	s_or_b32 exec_lo, exec_lo, s20
	v_lshlrev_b32_e32 v4, 16, v12
	s_delay_alu instid0(VALU_DEP_2) | instskip(NEXT) | instid1(VALU_DEP_3)
	v_lshlrev_b32_e32 v13, 20, v24
	v_lshl_add_u32 v9, v9, 23, 0x3c000000
	s_delay_alu instid0(VALU_DEP_3) | instskip(NEXT) | instid1(VALU_DEP_1)
	v_and_b32_e32 v4, 0x80000000, v4
	v_or3_b32 v9, v13, v4, v9
.LBB342_759:                            ;   in Loop: Header=BB342_9 Depth=1
	s_or_b32 exec_lo, exec_lo, s19
.LBB342_760:                            ;   in Loop: Header=BB342_9 Depth=1
	s_delay_alu instid0(SALU_CYCLE_1)
	s_or_b32 exec_lo, exec_lo, s18
.LBB342_761:                            ;   in Loop: Header=BB342_9 Depth=1
	s_delay_alu instid0(SALU_CYCLE_1) | instskip(SKIP_3) | instid1(VALU_DEP_2)
	s_or_b32 exec_lo, exec_lo, s11
	v_dual_lshrrev_b32 v13, 16, v12 :: v_dual_mov_b32 v19, 0
	v_mov_b32_e32 v18, 0
	s_mov_b32 s11, exec_lo
	v_and_b32_e32 v4, 0xff, v13
	s_delay_alu instid0(VALU_DEP_1)
	v_cmpx_ne_u16_e32 0, v4
	s_cbranch_execz .LBB342_769
; %bb.762:                              ;   in Loop: Header=BB342_9 Depth=1
	v_bfrev_b32_e32 v18, 1
	s_mov_b32 s18, exec_lo
	v_cmpx_ne_u16_e32 0x80, v4
	s_cbranch_execz .LBB342_768
; %bb.763:                              ;   in Loop: Header=BB342_9 Depth=1
	v_bfe_u32 v20, v12, 16, 7
	v_mov_b32_e32 v18, 0x7f800001
	s_mov_b32 s19, exec_lo
	s_delay_alu instid0(VALU_DEP_2)
	v_cmpx_ne_u32_e32 0x7f, v20
	s_cbranch_execz .LBB342_767
; %bb.764:                              ;   in Loop: Header=BB342_9 Depth=1
	v_dual_lshrrev_b32 v18, 3, v20 :: v_dual_bitop2_b32 v4, 7, v13 bitop3:0x40
	s_mov_b32 s20, exec_lo
	s_delay_alu instid0(VALU_DEP_1)
	v_mov_b64_e32 v[24:25], v[4:5]
	v_cmpx_gt_u32_e32 8, v20
; %bb.765:                              ;   in Loop: Header=BB342_9 Depth=1
	v_clz_i32_u32_e32 v18, v4
	s_delay_alu instid0(VALU_DEP_1) | instskip(NEXT) | instid1(VALU_DEP_1)
	v_min_u32_e32 v18, 32, v18
	v_subrev_nc_u32_e32 v20, 28, v18
	s_delay_alu instid0(VALU_DEP_1) | instskip(NEXT) | instid1(VALU_DEP_1)
	v_lshlrev_b64_e32 v[20:21], v20, v[4:5]
	v_dual_sub_nc_u32 v18, 29, v18 :: v_dual_bitop2_b32 v24, 7, v20 bitop3:0x40
; %bb.766:                              ;   in Loop: Header=BB342_9 Depth=1
	s_or_b32 exec_lo, exec_lo, s20
	s_delay_alu instid0(VALU_DEP_1) | instskip(NEXT) | instid1(VALU_DEP_2)
	v_dual_lshlrev_b32 v4, 24, v13 :: v_dual_lshlrev_b32 v13, 20, v24
	v_lshl_add_u32 v18, v18, 23, 0x3c000000
	s_delay_alu instid0(VALU_DEP_2) | instskip(NEXT) | instid1(VALU_DEP_1)
	v_and_b32_e32 v4, 0x80000000, v4
	v_or3_b32 v18, v13, v4, v18
.LBB342_767:                            ;   in Loop: Header=BB342_9 Depth=1
	s_or_b32 exec_lo, exec_lo, s19
.LBB342_768:                            ;   in Loop: Header=BB342_9 Depth=1
	s_delay_alu instid0(SALU_CYCLE_1)
	s_or_b32 exec_lo, exec_lo, s18
.LBB342_769:                            ;   in Loop: Header=BB342_9 Depth=1
	s_delay_alu instid0(SALU_CYCLE_1) | instskip(NEXT) | instid1(SALU_CYCLE_1)
	s_or_b32 exec_lo, exec_lo, s11
	s_mov_b32 s11, exec_lo
	v_cmpx_lt_u32_e32 0xffffff, v12
	s_cbranch_execz .LBB342_777
; %bb.770:                              ;   in Loop: Header=BB342_9 Depth=1
	v_lshrrev_b32_e32 v13, 24, v12
	v_bfrev_b32_e32 v19, 1
	s_mov_b32 s18, exec_lo
	s_delay_alu instid0(VALU_DEP_2)
	v_cmpx_ne_u32_e32 0x80, v13
	s_cbranch_execz .LBB342_776
; %bb.771:                              ;   in Loop: Header=BB342_9 Depth=1
	v_bfe_u32 v20, v12, 24, 7
	v_mov_b32_e32 v19, 0x7f800001
	s_mov_b32 s19, exec_lo
	s_delay_alu instid0(VALU_DEP_2)
	v_cmpx_ne_u32_e32 0x7f, v20
	s_cbranch_execz .LBB342_775
; %bb.772:                              ;   in Loop: Header=BB342_9 Depth=1
	v_dual_lshrrev_b32 v12, 3, v20 :: v_dual_bitop2_b32 v4, 7, v13 bitop3:0x40
	s_mov_b32 s20, exec_lo
	s_delay_alu instid0(VALU_DEP_1)
	v_mov_b64_e32 v[24:25], v[4:5]
	v_cmpx_gt_u32_e32 8, v20
; %bb.773:                              ;   in Loop: Header=BB342_9 Depth=1
	v_clz_i32_u32_e32 v12, v4
	s_delay_alu instid0(VALU_DEP_1) | instskip(NEXT) | instid1(VALU_DEP_1)
	v_min_u32_e32 v12, 32, v12
	v_subrev_nc_u32_e32 v19, 28, v12
	v_sub_nc_u32_e32 v12, 29, v12
	s_delay_alu instid0(VALU_DEP_2) | instskip(NEXT) | instid1(VALU_DEP_1)
	v_lshlrev_b64_e32 v[20:21], v19, v[4:5]
	v_and_b32_e32 v24, 7, v20
; %bb.774:                              ;   in Loop: Header=BB342_9 Depth=1
	s_or_b32 exec_lo, exec_lo, s20
	s_delay_alu instid0(VALU_DEP_1) | instskip(SKIP_1) | instid1(VALU_DEP_2)
	v_dual_lshlrev_b32 v4, 24, v13 :: v_dual_lshlrev_b32 v13, 20, v24
	v_lshl_add_u32 v12, v12, 23, 0x3c000000
	v_and_b32_e32 v4, 0x80000000, v4
	s_delay_alu instid0(VALU_DEP_1)
	v_or3_b32 v19, v13, v4, v12
.LBB342_775:                            ;   in Loop: Header=BB342_9 Depth=1
	s_or_b32 exec_lo, exec_lo, s19
.LBB342_776:                            ;   in Loop: Header=BB342_9 Depth=1
	s_delay_alu instid0(SALU_CYCLE_1)
	s_or_b32 exec_lo, exec_lo, s18
.LBB342_777:                            ;   in Loop: Header=BB342_9 Depth=1
	s_delay_alu instid0(SALU_CYCLE_1)
	s_or_b32 exec_lo, exec_lo, s11
	flat_load_b32 v12, v[16:17] offset:3072
	v_dual_mov_b32 v27, 0 :: v_dual_mov_b32 v29, 0
	s_mov_b32 s11, exec_lo
	s_wait_loadcnt_dscnt 0x0
	v_and_b32_e32 v4, 0xff, v12
	s_wait_xcnt 0x0
	s_delay_alu instid0(VALU_DEP_1)
	v_cmpx_ne_u16_e32 0, v4
	s_cbranch_execz .LBB342_785
; %bb.778:                              ;   in Loop: Header=BB342_9 Depth=1
	v_bfrev_b32_e32 v29, 1
	s_mov_b32 s18, exec_lo
	v_cmpx_ne_u16_e32 0x80, v4
	s_cbranch_execz .LBB342_784
; %bb.779:                              ;   in Loop: Header=BB342_9 Depth=1
	v_and_b32_e32 v20, 0x7f, v12
	v_mov_b32_e32 v29, 0x7f800001
	s_mov_b32 s19, exec_lo
	s_delay_alu instid0(VALU_DEP_2)
	v_cmpx_ne_u32_e32 0x7f, v20
	s_cbranch_execz .LBB342_783
; %bb.780:                              ;   in Loop: Header=BB342_9 Depth=1
	v_and_b32_e32 v4, 7, v12
	v_lshrrev_b32_e32 v13, 3, v20
	s_mov_b32 s20, exec_lo
	s_delay_alu instid0(VALU_DEP_2)
	v_mov_b64_e32 v[24:25], v[4:5]
	v_cmpx_gt_u32_e32 8, v20
; %bb.781:                              ;   in Loop: Header=BB342_9 Depth=1
	v_clz_i32_u32_e32 v13, v4
	s_delay_alu instid0(VALU_DEP_1) | instskip(NEXT) | instid1(VALU_DEP_1)
	v_min_u32_e32 v13, 32, v13
	v_subrev_nc_u32_e32 v20, 28, v13
	s_delay_alu instid0(VALU_DEP_1) | instskip(NEXT) | instid1(VALU_DEP_1)
	v_lshlrev_b64_e32 v[20:21], v20, v[4:5]
	v_dual_sub_nc_u32 v13, 29, v13 :: v_dual_bitop2_b32 v24, 7, v20 bitop3:0x40
; %bb.782:                              ;   in Loop: Header=BB342_9 Depth=1
	s_or_b32 exec_lo, exec_lo, s20
	v_lshlrev_b32_e32 v4, 24, v12
	s_delay_alu instid0(VALU_DEP_2) | instskip(NEXT) | instid1(VALU_DEP_3)
	v_lshlrev_b32_e32 v20, 20, v24
	v_lshl_add_u32 v13, v13, 23, 0x3c000000
	s_delay_alu instid0(VALU_DEP_3) | instskip(NEXT) | instid1(VALU_DEP_1)
	v_and_b32_e32 v4, 0x80000000, v4
	v_or3_b32 v29, v20, v4, v13
.LBB342_783:                            ;   in Loop: Header=BB342_9 Depth=1
	s_or_b32 exec_lo, exec_lo, s19
.LBB342_784:                            ;   in Loop: Header=BB342_9 Depth=1
	s_delay_alu instid0(SALU_CYCLE_1)
	s_or_b32 exec_lo, exec_lo, s18
.LBB342_785:                            ;   in Loop: Header=BB342_9 Depth=1
	s_delay_alu instid0(SALU_CYCLE_1) | instskip(SKIP_2) | instid1(VALU_DEP_1)
	s_or_b32 exec_lo, exec_lo, s11
	v_lshrrev_b16 v4, 8, v12
	s_mov_b32 s11, exec_lo
	v_cmpx_ne_u16_e32 0, v4
	s_cbranch_execz .LBB342_793
; %bb.786:                              ;   in Loop: Header=BB342_9 Depth=1
	v_bfrev_b32_e32 v27, 1
	s_mov_b32 s18, exec_lo
	v_cmpx_ne_u16_e32 0x80, v4
	s_cbranch_execz .LBB342_792
; %bb.787:                              ;   in Loop: Header=BB342_9 Depth=1
	v_and_b32_e32 v4, 0xffff, v4
	v_mov_b32_e32 v27, 0x7f800001
	s_mov_b32 s19, exec_lo
	s_delay_alu instid0(VALU_DEP_2) | instskip(NEXT) | instid1(VALU_DEP_1)
	v_and_b32_e32 v20, 0x7f, v4
	v_cmpx_ne_u32_e32 0x7f, v20
	s_cbranch_execz .LBB342_791
; %bb.788:                              ;   in Loop: Header=BB342_9 Depth=1
	v_and_b32_e32 v4, 7, v4
	v_lshrrev_b32_e32 v13, 3, v20
	s_mov_b32 s20, exec_lo
	s_delay_alu instid0(VALU_DEP_2)
	v_mov_b64_e32 v[24:25], v[4:5]
	v_cmpx_gt_u32_e32 8, v20
; %bb.789:                              ;   in Loop: Header=BB342_9 Depth=1
	v_clz_i32_u32_e32 v13, v4
	s_delay_alu instid0(VALU_DEP_1) | instskip(NEXT) | instid1(VALU_DEP_1)
	v_min_u32_e32 v13, 32, v13
	v_subrev_nc_u32_e32 v20, 28, v13
	s_delay_alu instid0(VALU_DEP_1) | instskip(NEXT) | instid1(VALU_DEP_1)
	v_lshlrev_b64_e32 v[20:21], v20, v[4:5]
	v_dual_sub_nc_u32 v13, 29, v13 :: v_dual_bitop2_b32 v24, 7, v20 bitop3:0x40
; %bb.790:                              ;   in Loop: Header=BB342_9 Depth=1
	s_or_b32 exec_lo, exec_lo, s20
	v_lshlrev_b32_e32 v4, 16, v12
	s_delay_alu instid0(VALU_DEP_2) | instskip(NEXT) | instid1(VALU_DEP_3)
	v_lshlrev_b32_e32 v20, 20, v24
	v_lshl_add_u32 v13, v13, 23, 0x3c000000
	s_delay_alu instid0(VALU_DEP_3) | instskip(NEXT) | instid1(VALU_DEP_1)
	v_and_b32_e32 v4, 0x80000000, v4
	v_or3_b32 v27, v20, v4, v13
.LBB342_791:                            ;   in Loop: Header=BB342_9 Depth=1
	s_or_b32 exec_lo, exec_lo, s19
.LBB342_792:                            ;   in Loop: Header=BB342_9 Depth=1
	s_delay_alu instid0(SALU_CYCLE_1)
	s_or_b32 exec_lo, exec_lo, s18
.LBB342_793:                            ;   in Loop: Header=BB342_9 Depth=1
	s_delay_alu instid0(SALU_CYCLE_1) | instskip(SKIP_3) | instid1(VALU_DEP_2)
	s_or_b32 exec_lo, exec_lo, s11
	v_dual_mov_b32 v30, 0 :: v_dual_lshrrev_b32 v13, 16, v12
	v_mov_b32_e32 v31, 0
	s_mov_b32 s11, exec_lo
	v_and_b32_e32 v4, 0xff, v13
	s_delay_alu instid0(VALU_DEP_1)
	v_cmpx_ne_u16_e32 0, v4
	s_cbranch_execz .LBB342_801
; %bb.794:                              ;   in Loop: Header=BB342_9 Depth=1
	v_bfrev_b32_e32 v31, 1
	s_mov_b32 s18, exec_lo
	v_cmpx_ne_u16_e32 0x80, v4
	s_cbranch_execz .LBB342_800
; %bb.795:                              ;   in Loop: Header=BB342_9 Depth=1
	v_bfe_u32 v21, v12, 16, 7
	v_mov_b32_e32 v31, 0x7f800001
	s_mov_b32 s19, exec_lo
	s_delay_alu instid0(VALU_DEP_2)
	v_cmpx_ne_u32_e32 0x7f, v21
	s_cbranch_execz .LBB342_799
; %bb.796:                              ;   in Loop: Header=BB342_9 Depth=1
	v_and_b32_e32 v4, 7, v13
	v_lshrrev_b32_e32 v20, 3, v21
	s_mov_b32 s20, exec_lo
	s_delay_alu instid0(VALU_DEP_2)
	v_mov_b64_e32 v[24:25], v[4:5]
	v_cmpx_gt_u32_e32 8, v21
; %bb.797:                              ;   in Loop: Header=BB342_9 Depth=1
	v_clz_i32_u32_e32 v20, v4
	s_delay_alu instid0(VALU_DEP_1) | instskip(NEXT) | instid1(VALU_DEP_1)
	v_min_u32_e32 v20, 32, v20
	v_subrev_nc_u32_e32 v21, 28, v20
	v_sub_nc_u32_e32 v20, 29, v20
	s_delay_alu instid0(VALU_DEP_2) | instskip(NEXT) | instid1(VALU_DEP_1)
	v_lshlrev_b64_e32 v[24:25], v21, v[4:5]
	v_and_b32_e32 v24, 7, v24
; %bb.798:                              ;   in Loop: Header=BB342_9 Depth=1
	s_or_b32 exec_lo, exec_lo, s20
	s_delay_alu instid0(VALU_DEP_1) | instskip(SKIP_1) | instid1(VALU_DEP_2)
	v_dual_lshlrev_b32 v4, 24, v13 :: v_dual_lshlrev_b32 v13, 20, v24
	v_lshl_add_u32 v20, v20, 23, 0x3c000000
	v_and_b32_e32 v4, 0x80000000, v4
	s_delay_alu instid0(VALU_DEP_1)
	v_or3_b32 v31, v13, v4, v20
.LBB342_799:                            ;   in Loop: Header=BB342_9 Depth=1
	s_or_b32 exec_lo, exec_lo, s19
.LBB342_800:                            ;   in Loop: Header=BB342_9 Depth=1
	s_delay_alu instid0(SALU_CYCLE_1)
	s_or_b32 exec_lo, exec_lo, s18
.LBB342_801:                            ;   in Loop: Header=BB342_9 Depth=1
	s_delay_alu instid0(SALU_CYCLE_1) | instskip(NEXT) | instid1(SALU_CYCLE_1)
	s_or_b32 exec_lo, exec_lo, s11
	s_mov_b32 s11, exec_lo
	v_cmpx_lt_u32_e32 0xffffff, v12
	s_cbranch_execz .LBB342_809
; %bb.802:                              ;   in Loop: Header=BB342_9 Depth=1
	v_lshrrev_b32_e32 v13, 24, v12
	v_bfrev_b32_e32 v30, 1
	s_mov_b32 s18, exec_lo
	s_delay_alu instid0(VALU_DEP_2)
	v_cmpx_ne_u32_e32 0x80, v13
	s_cbranch_execz .LBB342_808
; %bb.803:                              ;   in Loop: Header=BB342_9 Depth=1
	v_bfe_u32 v20, v12, 24, 7
	v_mov_b32_e32 v30, 0x7f800001
	s_mov_b32 s19, exec_lo
	s_delay_alu instid0(VALU_DEP_2)
	v_cmpx_ne_u32_e32 0x7f, v20
	s_cbranch_execz .LBB342_807
; %bb.804:                              ;   in Loop: Header=BB342_9 Depth=1
	v_dual_lshrrev_b32 v12, 3, v20 :: v_dual_bitop2_b32 v4, 7, v13 bitop3:0x40
	s_mov_b32 s20, exec_lo
	s_delay_alu instid0(VALU_DEP_1)
	v_mov_b64_e32 v[24:25], v[4:5]
	v_cmpx_gt_u32_e32 8, v20
; %bb.805:                              ;   in Loop: Header=BB342_9 Depth=1
	v_clz_i32_u32_e32 v12, v4
	s_delay_alu instid0(VALU_DEP_1) | instskip(NEXT) | instid1(VALU_DEP_1)
	v_min_u32_e32 v12, 32, v12
	v_subrev_nc_u32_e32 v20, 28, v12
	v_sub_nc_u32_e32 v12, 29, v12
	s_delay_alu instid0(VALU_DEP_2) | instskip(NEXT) | instid1(VALU_DEP_1)
	v_lshlrev_b64_e32 v[20:21], v20, v[4:5]
	v_and_b32_e32 v24, 7, v20
; %bb.806:                              ;   in Loop: Header=BB342_9 Depth=1
	s_or_b32 exec_lo, exec_lo, s20
	s_delay_alu instid0(VALU_DEP_1) | instskip(SKIP_1) | instid1(VALU_DEP_2)
	v_dual_lshlrev_b32 v4, 24, v13 :: v_dual_lshlrev_b32 v13, 20, v24
	v_lshl_add_u32 v12, v12, 23, 0x3c000000
	v_and_b32_e32 v4, 0x80000000, v4
	s_delay_alu instid0(VALU_DEP_1)
	v_or3_b32 v30, v13, v4, v12
.LBB342_807:                            ;   in Loop: Header=BB342_9 Depth=1
	s_or_b32 exec_lo, exec_lo, s19
.LBB342_808:                            ;   in Loop: Header=BB342_9 Depth=1
	s_delay_alu instid0(SALU_CYCLE_1)
	s_or_b32 exec_lo, exec_lo, s18
.LBB342_809:                            ;   in Loop: Header=BB342_9 Depth=1
	s_delay_alu instid0(SALU_CYCLE_1)
	s_or_b32 exec_lo, exec_lo, s11
	flat_load_b32 v12, v[16:17] offset:3080
	v_dual_mov_b32 v33, 0 :: v_dual_mov_b32 v36, 0
	s_mov_b32 s11, exec_lo
	s_wait_loadcnt_dscnt 0x0
	v_and_b32_e32 v4, 0xff, v12
	s_wait_xcnt 0x0
	s_delay_alu instid0(VALU_DEP_1)
	v_cmpx_ne_u16_e32 0, v4
	s_cbranch_execz .LBB342_817
; %bb.810:                              ;   in Loop: Header=BB342_9 Depth=1
	v_bfrev_b32_e32 v36, 1
	s_mov_b32 s18, exec_lo
	v_cmpx_ne_u16_e32 0x80, v4
	s_cbranch_execz .LBB342_816
; %bb.811:                              ;   in Loop: Header=BB342_9 Depth=1
	v_and_b32_e32 v20, 0x7f, v12
	v_mov_b32_e32 v36, 0x7f800001
	s_mov_b32 s19, exec_lo
	s_delay_alu instid0(VALU_DEP_2)
	v_cmpx_ne_u32_e32 0x7f, v20
	s_cbranch_execz .LBB342_815
; %bb.812:                              ;   in Loop: Header=BB342_9 Depth=1
	v_and_b32_e32 v4, 7, v12
	v_lshrrev_b32_e32 v13, 3, v20
	s_mov_b32 s20, exec_lo
	s_delay_alu instid0(VALU_DEP_2)
	v_mov_b64_e32 v[24:25], v[4:5]
	v_cmpx_gt_u32_e32 8, v20
; %bb.813:                              ;   in Loop: Header=BB342_9 Depth=1
	v_clz_i32_u32_e32 v13, v4
	s_delay_alu instid0(VALU_DEP_1) | instskip(NEXT) | instid1(VALU_DEP_1)
	v_min_u32_e32 v13, 32, v13
	v_subrev_nc_u32_e32 v20, 28, v13
	s_delay_alu instid0(VALU_DEP_1) | instskip(NEXT) | instid1(VALU_DEP_1)
	v_lshlrev_b64_e32 v[20:21], v20, v[4:5]
	v_dual_sub_nc_u32 v13, 29, v13 :: v_dual_bitop2_b32 v24, 7, v20 bitop3:0x40
; %bb.814:                              ;   in Loop: Header=BB342_9 Depth=1
	s_or_b32 exec_lo, exec_lo, s20
	v_lshlrev_b32_e32 v4, 24, v12
	s_delay_alu instid0(VALU_DEP_2) | instskip(NEXT) | instid1(VALU_DEP_3)
	v_lshlrev_b32_e32 v20, 20, v24
	v_lshl_add_u32 v13, v13, 23, 0x3c000000
	s_delay_alu instid0(VALU_DEP_3) | instskip(NEXT) | instid1(VALU_DEP_1)
	v_and_b32_e32 v4, 0x80000000, v4
	v_or3_b32 v36, v20, v4, v13
.LBB342_815:                            ;   in Loop: Header=BB342_9 Depth=1
	s_or_b32 exec_lo, exec_lo, s19
.LBB342_816:                            ;   in Loop: Header=BB342_9 Depth=1
	s_delay_alu instid0(SALU_CYCLE_1)
	s_or_b32 exec_lo, exec_lo, s18
.LBB342_817:                            ;   in Loop: Header=BB342_9 Depth=1
	s_delay_alu instid0(SALU_CYCLE_1) | instskip(SKIP_2) | instid1(VALU_DEP_1)
	s_or_b32 exec_lo, exec_lo, s11
	v_lshrrev_b16 v4, 8, v12
	s_mov_b32 s11, exec_lo
	v_cmpx_ne_u16_e32 0, v4
	s_cbranch_execz .LBB342_825
; %bb.818:                              ;   in Loop: Header=BB342_9 Depth=1
	v_bfrev_b32_e32 v33, 1
	s_mov_b32 s18, exec_lo
	v_cmpx_ne_u16_e32 0x80, v4
	s_cbranch_execz .LBB342_824
; %bb.819:                              ;   in Loop: Header=BB342_9 Depth=1
	v_and_b32_e32 v4, 0xffff, v4
	v_mov_b32_e32 v33, 0x7f800001
	s_mov_b32 s19, exec_lo
	s_delay_alu instid0(VALU_DEP_2) | instskip(NEXT) | instid1(VALU_DEP_1)
	v_and_b32_e32 v20, 0x7f, v4
	v_cmpx_ne_u32_e32 0x7f, v20
	s_cbranch_execz .LBB342_823
; %bb.820:                              ;   in Loop: Header=BB342_9 Depth=1
	v_and_b32_e32 v4, 7, v4
	v_lshrrev_b32_e32 v13, 3, v20
	s_mov_b32 s20, exec_lo
	s_delay_alu instid0(VALU_DEP_2)
	v_mov_b64_e32 v[24:25], v[4:5]
	v_cmpx_gt_u32_e32 8, v20
; %bb.821:                              ;   in Loop: Header=BB342_9 Depth=1
	v_clz_i32_u32_e32 v13, v4
	s_delay_alu instid0(VALU_DEP_1) | instskip(NEXT) | instid1(VALU_DEP_1)
	v_min_u32_e32 v13, 32, v13
	v_subrev_nc_u32_e32 v20, 28, v13
	s_delay_alu instid0(VALU_DEP_1) | instskip(NEXT) | instid1(VALU_DEP_1)
	v_lshlrev_b64_e32 v[20:21], v20, v[4:5]
	v_dual_sub_nc_u32 v13, 29, v13 :: v_dual_bitop2_b32 v24, 7, v20 bitop3:0x40
; %bb.822:                              ;   in Loop: Header=BB342_9 Depth=1
	s_or_b32 exec_lo, exec_lo, s20
	v_lshlrev_b32_e32 v4, 16, v12
	s_delay_alu instid0(VALU_DEP_2) | instskip(NEXT) | instid1(VALU_DEP_3)
	v_lshlrev_b32_e32 v20, 20, v24
	v_lshl_add_u32 v13, v13, 23, 0x3c000000
	s_delay_alu instid0(VALU_DEP_3) | instskip(NEXT) | instid1(VALU_DEP_1)
	v_and_b32_e32 v4, 0x80000000, v4
	v_or3_b32 v33, v20, v4, v13
.LBB342_823:                            ;   in Loop: Header=BB342_9 Depth=1
	s_or_b32 exec_lo, exec_lo, s19
.LBB342_824:                            ;   in Loop: Header=BB342_9 Depth=1
	s_delay_alu instid0(SALU_CYCLE_1)
	s_or_b32 exec_lo, exec_lo, s18
.LBB342_825:                            ;   in Loop: Header=BB342_9 Depth=1
	s_delay_alu instid0(SALU_CYCLE_1) | instskip(SKIP_3) | instid1(VALU_DEP_2)
	s_or_b32 exec_lo, exec_lo, s11
	v_dual_lshrrev_b32 v13, 16, v12 :: v_dual_mov_b32 v37, 0
	v_mov_b32_e32 v39, 0
	s_mov_b32 s11, exec_lo
	v_and_b32_e32 v4, 0xff, v13
	s_delay_alu instid0(VALU_DEP_1)
	v_cmpx_ne_u16_e32 0, v4
	s_cbranch_execz .LBB342_833
; %bb.826:                              ;   in Loop: Header=BB342_9 Depth=1
	v_bfrev_b32_e32 v39, 1
	s_mov_b32 s18, exec_lo
	v_cmpx_ne_u16_e32 0x80, v4
	s_cbranch_execz .LBB342_832
; %bb.827:                              ;   in Loop: Header=BB342_9 Depth=1
	v_bfe_u32 v21, v12, 16, 7
	v_mov_b32_e32 v39, 0x7f800001
	s_mov_b32 s19, exec_lo
	s_delay_alu instid0(VALU_DEP_2)
	v_cmpx_ne_u32_e32 0x7f, v21
	s_cbranch_execz .LBB342_831
; %bb.828:                              ;   in Loop: Header=BB342_9 Depth=1
	v_and_b32_e32 v4, 7, v13
	v_lshrrev_b32_e32 v20, 3, v21
	s_mov_b32 s20, exec_lo
	s_delay_alu instid0(VALU_DEP_2)
	v_mov_b64_e32 v[24:25], v[4:5]
	v_cmpx_gt_u32_e32 8, v21
; %bb.829:                              ;   in Loop: Header=BB342_9 Depth=1
	v_clz_i32_u32_e32 v20, v4
	s_delay_alu instid0(VALU_DEP_1) | instskip(NEXT) | instid1(VALU_DEP_1)
	v_min_u32_e32 v20, 32, v20
	v_subrev_nc_u32_e32 v21, 28, v20
	v_sub_nc_u32_e32 v20, 29, v20
	s_delay_alu instid0(VALU_DEP_2) | instskip(NEXT) | instid1(VALU_DEP_1)
	v_lshlrev_b64_e32 v[24:25], v21, v[4:5]
	v_and_b32_e32 v24, 7, v24
; %bb.830:                              ;   in Loop: Header=BB342_9 Depth=1
	s_or_b32 exec_lo, exec_lo, s20
	s_delay_alu instid0(VALU_DEP_1) | instskip(SKIP_1) | instid1(VALU_DEP_2)
	v_dual_lshlrev_b32 v4, 24, v13 :: v_dual_lshlrev_b32 v13, 20, v24
	v_lshl_add_u32 v20, v20, 23, 0x3c000000
	v_and_b32_e32 v4, 0x80000000, v4
	s_delay_alu instid0(VALU_DEP_1)
	v_or3_b32 v39, v13, v4, v20
.LBB342_831:                            ;   in Loop: Header=BB342_9 Depth=1
	s_or_b32 exec_lo, exec_lo, s19
.LBB342_832:                            ;   in Loop: Header=BB342_9 Depth=1
	s_delay_alu instid0(SALU_CYCLE_1)
	s_or_b32 exec_lo, exec_lo, s18
.LBB342_833:                            ;   in Loop: Header=BB342_9 Depth=1
	s_delay_alu instid0(SALU_CYCLE_1) | instskip(NEXT) | instid1(SALU_CYCLE_1)
	s_or_b32 exec_lo, exec_lo, s11
	s_mov_b32 s11, exec_lo
	v_cmpx_lt_u32_e32 0xffffff, v12
	s_cbranch_execz .LBB342_841
; %bb.834:                              ;   in Loop: Header=BB342_9 Depth=1
	v_lshrrev_b32_e32 v13, 24, v12
	v_bfrev_b32_e32 v37, 1
	s_mov_b32 s18, exec_lo
	s_delay_alu instid0(VALU_DEP_2)
	v_cmpx_ne_u32_e32 0x80, v13
	s_cbranch_execz .LBB342_840
; %bb.835:                              ;   in Loop: Header=BB342_9 Depth=1
	v_bfe_u32 v20, v12, 24, 7
	v_mov_b32_e32 v37, 0x7f800001
	s_mov_b32 s19, exec_lo
	s_delay_alu instid0(VALU_DEP_2)
	v_cmpx_ne_u32_e32 0x7f, v20
	s_cbranch_execz .LBB342_839
; %bb.836:                              ;   in Loop: Header=BB342_9 Depth=1
	v_dual_lshrrev_b32 v12, 3, v20 :: v_dual_bitop2_b32 v4, 7, v13 bitop3:0x40
	s_mov_b32 s20, exec_lo
	s_delay_alu instid0(VALU_DEP_1)
	v_mov_b64_e32 v[24:25], v[4:5]
	v_cmpx_gt_u32_e32 8, v20
; %bb.837:                              ;   in Loop: Header=BB342_9 Depth=1
	v_clz_i32_u32_e32 v12, v4
	s_delay_alu instid0(VALU_DEP_1) | instskip(NEXT) | instid1(VALU_DEP_1)
	v_min_u32_e32 v12, 32, v12
	v_subrev_nc_u32_e32 v20, 28, v12
	v_sub_nc_u32_e32 v12, 29, v12
	s_delay_alu instid0(VALU_DEP_2) | instskip(NEXT) | instid1(VALU_DEP_1)
	v_lshlrev_b64_e32 v[20:21], v20, v[4:5]
	v_and_b32_e32 v24, 7, v20
; %bb.838:                              ;   in Loop: Header=BB342_9 Depth=1
	s_or_b32 exec_lo, exec_lo, s20
	s_delay_alu instid0(VALU_DEP_1) | instskip(SKIP_1) | instid1(VALU_DEP_2)
	v_dual_lshlrev_b32 v4, 24, v13 :: v_dual_lshlrev_b32 v13, 20, v24
	v_lshl_add_u32 v12, v12, 23, 0x3c000000
	v_and_b32_e32 v4, 0x80000000, v4
	s_delay_alu instid0(VALU_DEP_1)
	v_or3_b32 v37, v13, v4, v12
.LBB342_839:                            ;   in Loop: Header=BB342_9 Depth=1
	s_or_b32 exec_lo, exec_lo, s19
.LBB342_840:                            ;   in Loop: Header=BB342_9 Depth=1
	s_delay_alu instid0(SALU_CYCLE_1)
	s_or_b32 exec_lo, exec_lo, s18
.LBB342_841:                            ;   in Loop: Header=BB342_9 Depth=1
	s_delay_alu instid0(SALU_CYCLE_1)
	s_or_b32 exec_lo, exec_lo, s11
	flat_load_b32 v12, v[16:17] offset:3328
	v_dual_mov_b32 v54, 0 :: v_dual_mov_b32 v55, 0
	s_mov_b32 s11, exec_lo
	s_wait_loadcnt_dscnt 0x0
	v_and_b32_e32 v4, 0xff, v12
	s_wait_xcnt 0x0
	s_delay_alu instid0(VALU_DEP_1)
	v_cmpx_ne_u16_e32 0, v4
	s_cbranch_execz .LBB342_849
; %bb.842:                              ;   in Loop: Header=BB342_9 Depth=1
	v_bfrev_b32_e32 v55, 1
	s_mov_b32 s18, exec_lo
	v_cmpx_ne_u16_e32 0x80, v4
	s_cbranch_execz .LBB342_848
; %bb.843:                              ;   in Loop: Header=BB342_9 Depth=1
	v_and_b32_e32 v20, 0x7f, v12
	v_mov_b32_e32 v55, 0x7f800001
	s_mov_b32 s19, exec_lo
	s_delay_alu instid0(VALU_DEP_2)
	v_cmpx_ne_u32_e32 0x7f, v20
	s_cbranch_execz .LBB342_847
; %bb.844:                              ;   in Loop: Header=BB342_9 Depth=1
	v_and_b32_e32 v4, 7, v12
	v_lshrrev_b32_e32 v13, 3, v20
	s_mov_b32 s20, exec_lo
	s_delay_alu instid0(VALU_DEP_2)
	v_mov_b64_e32 v[24:25], v[4:5]
	v_cmpx_gt_u32_e32 8, v20
; %bb.845:                              ;   in Loop: Header=BB342_9 Depth=1
	v_clz_i32_u32_e32 v13, v4
	s_delay_alu instid0(VALU_DEP_1) | instskip(NEXT) | instid1(VALU_DEP_1)
	v_min_u32_e32 v13, 32, v13
	v_subrev_nc_u32_e32 v20, 28, v13
	s_delay_alu instid0(VALU_DEP_1) | instskip(NEXT) | instid1(VALU_DEP_1)
	v_lshlrev_b64_e32 v[20:21], v20, v[4:5]
	v_dual_sub_nc_u32 v13, 29, v13 :: v_dual_bitop2_b32 v24, 7, v20 bitop3:0x40
; %bb.846:                              ;   in Loop: Header=BB342_9 Depth=1
	s_or_b32 exec_lo, exec_lo, s20
	v_lshlrev_b32_e32 v4, 24, v12
	s_delay_alu instid0(VALU_DEP_2) | instskip(NEXT) | instid1(VALU_DEP_3)
	v_lshlrev_b32_e32 v20, 20, v24
	v_lshl_add_u32 v13, v13, 23, 0x3c000000
	s_delay_alu instid0(VALU_DEP_3) | instskip(NEXT) | instid1(VALU_DEP_1)
	v_and_b32_e32 v4, 0x80000000, v4
	v_or3_b32 v55, v20, v4, v13
.LBB342_847:                            ;   in Loop: Header=BB342_9 Depth=1
	s_or_b32 exec_lo, exec_lo, s19
.LBB342_848:                            ;   in Loop: Header=BB342_9 Depth=1
	s_delay_alu instid0(SALU_CYCLE_1)
	s_or_b32 exec_lo, exec_lo, s18
.LBB342_849:                            ;   in Loop: Header=BB342_9 Depth=1
	s_delay_alu instid0(SALU_CYCLE_1) | instskip(SKIP_2) | instid1(VALU_DEP_1)
	s_or_b32 exec_lo, exec_lo, s11
	v_lshrrev_b16 v4, 8, v12
	s_mov_b32 s11, exec_lo
	v_cmpx_ne_u16_e32 0, v4
	s_cbranch_execz .LBB342_857
; %bb.850:                              ;   in Loop: Header=BB342_9 Depth=1
	v_bfrev_b32_e32 v54, 1
	s_mov_b32 s18, exec_lo
	v_cmpx_ne_u16_e32 0x80, v4
	s_cbranch_execz .LBB342_856
; %bb.851:                              ;   in Loop: Header=BB342_9 Depth=1
	v_and_b32_e32 v4, 0xffff, v4
	v_mov_b32_e32 v54, 0x7f800001
	s_mov_b32 s19, exec_lo
	s_delay_alu instid0(VALU_DEP_2) | instskip(NEXT) | instid1(VALU_DEP_1)
	v_and_b32_e32 v20, 0x7f, v4
	v_cmpx_ne_u32_e32 0x7f, v20
	s_cbranch_execz .LBB342_855
; %bb.852:                              ;   in Loop: Header=BB342_9 Depth=1
	v_and_b32_e32 v4, 7, v4
	v_lshrrev_b32_e32 v13, 3, v20
	s_mov_b32 s20, exec_lo
	s_delay_alu instid0(VALU_DEP_2)
	v_mov_b64_e32 v[24:25], v[4:5]
	v_cmpx_gt_u32_e32 8, v20
; %bb.853:                              ;   in Loop: Header=BB342_9 Depth=1
	v_clz_i32_u32_e32 v13, v4
	s_delay_alu instid0(VALU_DEP_1) | instskip(NEXT) | instid1(VALU_DEP_1)
	v_min_u32_e32 v13, 32, v13
	v_subrev_nc_u32_e32 v20, 28, v13
	s_delay_alu instid0(VALU_DEP_1) | instskip(NEXT) | instid1(VALU_DEP_1)
	v_lshlrev_b64_e32 v[20:21], v20, v[4:5]
	v_dual_sub_nc_u32 v13, 29, v13 :: v_dual_bitop2_b32 v24, 7, v20 bitop3:0x40
; %bb.854:                              ;   in Loop: Header=BB342_9 Depth=1
	s_or_b32 exec_lo, exec_lo, s20
	v_lshlrev_b32_e32 v4, 16, v12
	s_delay_alu instid0(VALU_DEP_2) | instskip(NEXT) | instid1(VALU_DEP_3)
	v_lshlrev_b32_e32 v20, 20, v24
	v_lshl_add_u32 v13, v13, 23, 0x3c000000
	s_delay_alu instid0(VALU_DEP_3) | instskip(NEXT) | instid1(VALU_DEP_1)
	v_and_b32_e32 v4, 0x80000000, v4
	v_or3_b32 v54, v20, v4, v13
.LBB342_855:                            ;   in Loop: Header=BB342_9 Depth=1
	s_or_b32 exec_lo, exec_lo, s19
.LBB342_856:                            ;   in Loop: Header=BB342_9 Depth=1
	s_delay_alu instid0(SALU_CYCLE_1)
	s_or_b32 exec_lo, exec_lo, s18
.LBB342_857:                            ;   in Loop: Header=BB342_9 Depth=1
	s_delay_alu instid0(SALU_CYCLE_1) | instskip(SKIP_3) | instid1(VALU_DEP_2)
	s_or_b32 exec_lo, exec_lo, s11
	v_dual_mov_b32 v64, 0 :: v_dual_lshrrev_b32 v13, 16, v12
	v_mov_b32_e32 v65, 0
	s_mov_b32 s11, exec_lo
	v_and_b32_e32 v4, 0xff, v13
	s_delay_alu instid0(VALU_DEP_1)
	v_cmpx_ne_u16_e32 0, v4
	s_cbranch_execz .LBB342_865
; %bb.858:                              ;   in Loop: Header=BB342_9 Depth=1
	v_bfrev_b32_e32 v65, 1
	s_mov_b32 s18, exec_lo
	v_cmpx_ne_u16_e32 0x80, v4
	s_cbranch_execz .LBB342_864
; %bb.859:                              ;   in Loop: Header=BB342_9 Depth=1
	v_bfe_u32 v21, v12, 16, 7
	v_mov_b32_e32 v65, 0x7f800001
	s_mov_b32 s19, exec_lo
	s_delay_alu instid0(VALU_DEP_2)
	v_cmpx_ne_u32_e32 0x7f, v21
	s_cbranch_execz .LBB342_863
; %bb.860:                              ;   in Loop: Header=BB342_9 Depth=1
	v_and_b32_e32 v4, 7, v13
	v_lshrrev_b32_e32 v20, 3, v21
	s_mov_b32 s20, exec_lo
	s_delay_alu instid0(VALU_DEP_2)
	v_mov_b64_e32 v[24:25], v[4:5]
	v_cmpx_gt_u32_e32 8, v21
; %bb.861:                              ;   in Loop: Header=BB342_9 Depth=1
	v_clz_i32_u32_e32 v20, v4
	s_delay_alu instid0(VALU_DEP_1) | instskip(NEXT) | instid1(VALU_DEP_1)
	v_min_u32_e32 v20, 32, v20
	v_subrev_nc_u32_e32 v21, 28, v20
	v_sub_nc_u32_e32 v20, 29, v20
	s_delay_alu instid0(VALU_DEP_2) | instskip(NEXT) | instid1(VALU_DEP_1)
	v_lshlrev_b64_e32 v[24:25], v21, v[4:5]
	v_and_b32_e32 v24, 7, v24
; %bb.862:                              ;   in Loop: Header=BB342_9 Depth=1
	s_or_b32 exec_lo, exec_lo, s20
	s_delay_alu instid0(VALU_DEP_1) | instskip(SKIP_1) | instid1(VALU_DEP_2)
	v_dual_lshlrev_b32 v4, 24, v13 :: v_dual_lshlrev_b32 v13, 20, v24
	v_lshl_add_u32 v20, v20, 23, 0x3c000000
	v_and_b32_e32 v4, 0x80000000, v4
	s_delay_alu instid0(VALU_DEP_1)
	v_or3_b32 v65, v13, v4, v20
.LBB342_863:                            ;   in Loop: Header=BB342_9 Depth=1
	s_or_b32 exec_lo, exec_lo, s19
.LBB342_864:                            ;   in Loop: Header=BB342_9 Depth=1
	s_delay_alu instid0(SALU_CYCLE_1)
	s_or_b32 exec_lo, exec_lo, s18
.LBB342_865:                            ;   in Loop: Header=BB342_9 Depth=1
	s_delay_alu instid0(SALU_CYCLE_1) | instskip(NEXT) | instid1(SALU_CYCLE_1)
	s_or_b32 exec_lo, exec_lo, s11
	s_mov_b32 s11, exec_lo
	v_cmpx_lt_u32_e32 0xffffff, v12
	s_cbranch_execz .LBB342_873
; %bb.866:                              ;   in Loop: Header=BB342_9 Depth=1
	v_lshrrev_b32_e32 v13, 24, v12
	v_bfrev_b32_e32 v64, 1
	s_mov_b32 s18, exec_lo
	s_delay_alu instid0(VALU_DEP_2)
	v_cmpx_ne_u32_e32 0x80, v13
	s_cbranch_execz .LBB342_872
; %bb.867:                              ;   in Loop: Header=BB342_9 Depth=1
	v_bfe_u32 v20, v12, 24, 7
	v_mov_b32_e32 v64, 0x7f800001
	s_mov_b32 s19, exec_lo
	s_delay_alu instid0(VALU_DEP_2)
	v_cmpx_ne_u32_e32 0x7f, v20
	s_cbranch_execz .LBB342_871
; %bb.868:                              ;   in Loop: Header=BB342_9 Depth=1
	v_dual_lshrrev_b32 v12, 3, v20 :: v_dual_bitop2_b32 v4, 7, v13 bitop3:0x40
	s_mov_b32 s20, exec_lo
	s_delay_alu instid0(VALU_DEP_1)
	v_mov_b64_e32 v[24:25], v[4:5]
	v_cmpx_gt_u32_e32 8, v20
; %bb.869:                              ;   in Loop: Header=BB342_9 Depth=1
	v_clz_i32_u32_e32 v12, v4
	s_delay_alu instid0(VALU_DEP_1) | instskip(NEXT) | instid1(VALU_DEP_1)
	v_min_u32_e32 v12, 32, v12
	v_subrev_nc_u32_e32 v20, 28, v12
	v_sub_nc_u32_e32 v12, 29, v12
	s_delay_alu instid0(VALU_DEP_2) | instskip(NEXT) | instid1(VALU_DEP_1)
	v_lshlrev_b64_e32 v[20:21], v20, v[4:5]
	v_and_b32_e32 v24, 7, v20
; %bb.870:                              ;   in Loop: Header=BB342_9 Depth=1
	s_or_b32 exec_lo, exec_lo, s20
	s_delay_alu instid0(VALU_DEP_1) | instskip(SKIP_1) | instid1(VALU_DEP_2)
	v_dual_lshlrev_b32 v4, 24, v13 :: v_dual_lshlrev_b32 v13, 20, v24
	v_lshl_add_u32 v12, v12, 23, 0x3c000000
	v_and_b32_e32 v4, 0x80000000, v4
	s_delay_alu instid0(VALU_DEP_1)
	v_or3_b32 v64, v13, v4, v12
.LBB342_871:                            ;   in Loop: Header=BB342_9 Depth=1
	s_or_b32 exec_lo, exec_lo, s19
.LBB342_872:                            ;   in Loop: Header=BB342_9 Depth=1
	s_delay_alu instid0(SALU_CYCLE_1)
	s_or_b32 exec_lo, exec_lo, s18
.LBB342_873:                            ;   in Loop: Header=BB342_9 Depth=1
	s_delay_alu instid0(SALU_CYCLE_1)
	s_or_b32 exec_lo, exec_lo, s11
	flat_load_b32 v20, v[16:17] offset:3336
	v_dual_mov_b32 v66, 0 :: v_dual_mov_b32 v12, 0
	s_mov_b32 s11, exec_lo
	s_wait_loadcnt_dscnt 0x0
	v_and_b32_e32 v4, 0xff, v20
	s_wait_xcnt 0x0
	s_delay_alu instid0(VALU_DEP_1)
	v_cmpx_ne_u16_e32 0, v4
	s_cbranch_execz .LBB342_881
; %bb.874:                              ;   in Loop: Header=BB342_9 Depth=1
	v_bfrev_b32_e32 v12, 1
	s_mov_b32 s18, exec_lo
	v_cmpx_ne_u16_e32 0x80, v4
	s_cbranch_execz .LBB342_880
; %bb.875:                              ;   in Loop: Header=BB342_9 Depth=1
	v_and_b32_e32 v13, 0x7f, v20
	v_mov_b32_e32 v12, 0x7f800001
	s_mov_b32 s19, exec_lo
	s_delay_alu instid0(VALU_DEP_2)
	v_cmpx_ne_u32_e32 0x7f, v13
	s_cbranch_execz .LBB342_879
; %bb.876:                              ;   in Loop: Header=BB342_9 Depth=1
	v_dual_lshrrev_b32 v12, 3, v13 :: v_dual_bitop2_b32 v4, 7, v20 bitop3:0x40
	s_mov_b32 s20, exec_lo
	s_delay_alu instid0(VALU_DEP_1)
	v_mov_b64_e32 v[24:25], v[4:5]
	v_cmpx_gt_u32_e32 8, v13
; %bb.877:                              ;   in Loop: Header=BB342_9 Depth=1
	v_clz_i32_u32_e32 v12, v4
	s_delay_alu instid0(VALU_DEP_1) | instskip(NEXT) | instid1(VALU_DEP_1)
	v_min_u32_e32 v12, 32, v12
	v_subrev_nc_u32_e32 v13, 28, v12
	v_sub_nc_u32_e32 v12, 29, v12
	s_delay_alu instid0(VALU_DEP_2) | instskip(NEXT) | instid1(VALU_DEP_1)
	v_lshlrev_b64_e32 v[24:25], v13, v[4:5]
	v_and_b32_e32 v24, 7, v24
; %bb.878:                              ;   in Loop: Header=BB342_9 Depth=1
	s_or_b32 exec_lo, exec_lo, s20
	v_lshlrev_b32_e32 v4, 24, v20
	s_delay_alu instid0(VALU_DEP_2) | instskip(SKIP_1) | instid1(VALU_DEP_3)
	v_lshlrev_b32_e32 v13, 20, v24
	v_lshl_add_u32 v12, v12, 23, 0x3c000000
	v_and_b32_e32 v4, 0x80000000, v4
	s_delay_alu instid0(VALU_DEP_1)
	v_or3_b32 v12, v13, v4, v12
.LBB342_879:                            ;   in Loop: Header=BB342_9 Depth=1
	s_or_b32 exec_lo, exec_lo, s19
.LBB342_880:                            ;   in Loop: Header=BB342_9 Depth=1
	s_delay_alu instid0(SALU_CYCLE_1)
	s_or_b32 exec_lo, exec_lo, s18
.LBB342_881:                            ;   in Loop: Header=BB342_9 Depth=1
	s_delay_alu instid0(SALU_CYCLE_1) | instskip(SKIP_2) | instid1(VALU_DEP_1)
	s_or_b32 exec_lo, exec_lo, s11
	v_lshrrev_b16 v4, 8, v20
	s_mov_b32 s11, exec_lo
	v_cmpx_ne_u16_e32 0, v4
	s_cbranch_execz .LBB342_889
; %bb.882:                              ;   in Loop: Header=BB342_9 Depth=1
	v_bfrev_b32_e32 v66, 1
	s_mov_b32 s18, exec_lo
	v_cmpx_ne_u16_e32 0x80, v4
	s_cbranch_execz .LBB342_888
; %bb.883:                              ;   in Loop: Header=BB342_9 Depth=1
	v_and_b32_e32 v4, 0xffff, v4
	v_mov_b32_e32 v66, 0x7f800001
	s_mov_b32 s19, exec_lo
	s_delay_alu instid0(VALU_DEP_2) | instskip(NEXT) | instid1(VALU_DEP_1)
	v_and_b32_e32 v21, 0x7f, v4
	v_cmpx_ne_u32_e32 0x7f, v21
	s_cbranch_execz .LBB342_887
; %bb.884:                              ;   in Loop: Header=BB342_9 Depth=1
	v_dual_lshrrev_b32 v13, 3, v21 :: v_dual_bitop2_b32 v4, 7, v4 bitop3:0x40
	s_mov_b32 s20, exec_lo
	s_delay_alu instid0(VALU_DEP_1)
	v_mov_b64_e32 v[24:25], v[4:5]
	v_cmpx_gt_u32_e32 8, v21
; %bb.885:                              ;   in Loop: Header=BB342_9 Depth=1
	v_clz_i32_u32_e32 v13, v4
	s_delay_alu instid0(VALU_DEP_1) | instskip(NEXT) | instid1(VALU_DEP_1)
	v_min_u32_e32 v13, 32, v13
	v_subrev_nc_u32_e32 v21, 28, v13
	s_delay_alu instid0(VALU_DEP_1) | instskip(NEXT) | instid1(VALU_DEP_1)
	v_lshlrev_b64_e32 v[24:25], v21, v[4:5]
	v_dual_sub_nc_u32 v13, 29, v13 :: v_dual_bitop2_b32 v24, 7, v24 bitop3:0x40
; %bb.886:                              ;   in Loop: Header=BB342_9 Depth=1
	s_or_b32 exec_lo, exec_lo, s20
	v_lshlrev_b32_e32 v4, 16, v20
	s_delay_alu instid0(VALU_DEP_2) | instskip(NEXT) | instid1(VALU_DEP_3)
	v_lshlrev_b32_e32 v21, 20, v24
	v_lshl_add_u32 v13, v13, 23, 0x3c000000
	s_delay_alu instid0(VALU_DEP_3) | instskip(NEXT) | instid1(VALU_DEP_1)
	v_and_b32_e32 v4, 0x80000000, v4
	v_or3_b32 v66, v21, v4, v13
.LBB342_887:                            ;   in Loop: Header=BB342_9 Depth=1
	s_or_b32 exec_lo, exec_lo, s19
.LBB342_888:                            ;   in Loop: Header=BB342_9 Depth=1
	s_delay_alu instid0(SALU_CYCLE_1)
	s_or_b32 exec_lo, exec_lo, s18
.LBB342_889:                            ;   in Loop: Header=BB342_9 Depth=1
	s_delay_alu instid0(SALU_CYCLE_1) | instskip(SKIP_3) | instid1(VALU_DEP_2)
	s_or_b32 exec_lo, exec_lo, s11
	v_dual_lshrrev_b32 v21, 16, v20 :: v_dual_mov_b32 v13, 0
	v_mov_b32_e32 v67, 0
	s_mov_b32 s11, exec_lo
	v_and_b32_e32 v4, 0xff, v21
	s_delay_alu instid0(VALU_DEP_1)
	v_cmpx_ne_u16_e32 0, v4
	s_cbranch_execz .LBB342_897
; %bb.890:                              ;   in Loop: Header=BB342_9 Depth=1
	v_bfrev_b32_e32 v67, 1
	s_mov_b32 s18, exec_lo
	v_cmpx_ne_u16_e32 0x80, v4
	s_cbranch_execz .LBB342_896
; %bb.891:                              ;   in Loop: Header=BB342_9 Depth=1
	v_bfe_u32 v38, v20, 16, 7
	v_mov_b32_e32 v67, 0x7f800001
	s_mov_b32 s19, exec_lo
	s_delay_alu instid0(VALU_DEP_2)
	v_cmpx_ne_u32_e32 0x7f, v38
	s_cbranch_execz .LBB342_895
; %bb.892:                              ;   in Loop: Header=BB342_9 Depth=1
	v_and_b32_e32 v4, 7, v21
	s_mov_b32 s20, exec_lo
	s_delay_alu instid0(VALU_DEP_1)
	v_mov_b64_e32 v[24:25], v[4:5]
	v_lshrrev_b32_e32 v25, 3, v38
	v_cmpx_gt_u32_e32 8, v38
; %bb.893:                              ;   in Loop: Header=BB342_9 Depth=1
	v_clz_i32_u32_e32 v24, v4
	s_delay_alu instid0(VALU_DEP_1) | instskip(NEXT) | instid1(VALU_DEP_1)
	v_min_u32_e32 v38, 32, v24
	v_subrev_nc_u32_e32 v24, 28, v38
	s_delay_alu instid0(VALU_DEP_1) | instskip(NEXT) | instid1(VALU_DEP_1)
	v_lshlrev_b64_e32 v[24:25], v24, v[4:5]
	v_dual_sub_nc_u32 v25, 29, v38 :: v_dual_bitop2_b32 v24, 7, v24 bitop3:0x40
; %bb.894:                              ;   in Loop: Header=BB342_9 Depth=1
	s_or_b32 exec_lo, exec_lo, s20
	s_delay_alu instid0(VALU_DEP_1) | instskip(NEXT) | instid1(VALU_DEP_2)
	v_dual_lshlrev_b32 v4, 24, v21 :: v_dual_lshlrev_b32 v21, 20, v24
	v_lshl_add_u32 v24, v25, 23, 0x3c000000
	s_delay_alu instid0(VALU_DEP_2) | instskip(NEXT) | instid1(VALU_DEP_1)
	v_and_b32_e32 v4, 0x80000000, v4
	v_or3_b32 v67, v21, v4, v24
.LBB342_895:                            ;   in Loop: Header=BB342_9 Depth=1
	s_or_b32 exec_lo, exec_lo, s19
.LBB342_896:                            ;   in Loop: Header=BB342_9 Depth=1
	s_delay_alu instid0(SALU_CYCLE_1)
	s_or_b32 exec_lo, exec_lo, s18
.LBB342_897:                            ;   in Loop: Header=BB342_9 Depth=1
	s_delay_alu instid0(SALU_CYCLE_1) | instskip(NEXT) | instid1(SALU_CYCLE_1)
	s_or_b32 exec_lo, exec_lo, s11
	s_mov_b32 s11, exec_lo
	v_cmpx_lt_u32_e32 0xffffff, v20
	s_cbranch_execz .LBB342_905
; %bb.898:                              ;   in Loop: Header=BB342_9 Depth=1
	v_lshrrev_b32_e32 v21, 24, v20
	v_bfrev_b32_e32 v13, 1
	s_mov_b32 s18, exec_lo
	s_delay_alu instid0(VALU_DEP_2)
	v_cmpx_ne_u32_e32 0x80, v21
	s_cbranch_execz .LBB342_904
; %bb.899:                              ;   in Loop: Header=BB342_9 Depth=1
	v_bfe_u32 v20, v20, 24, 7
	v_mov_b32_e32 v13, 0x7f800001
	s_mov_b32 s19, exec_lo
	s_delay_alu instid0(VALU_DEP_2)
	v_cmpx_ne_u32_e32 0x7f, v20
	s_cbranch_execz .LBB342_903
; %bb.900:                              ;   in Loop: Header=BB342_9 Depth=1
	v_dual_lshrrev_b32 v13, 3, v20 :: v_dual_bitop2_b32 v4, 7, v21 bitop3:0x40
	s_mov_b32 s20, exec_lo
	s_delay_alu instid0(VALU_DEP_1)
	v_mov_b64_e32 v[24:25], v[4:5]
	v_cmpx_gt_u32_e32 8, v20
; %bb.901:                              ;   in Loop: Header=BB342_9 Depth=1
	v_clz_i32_u32_e32 v13, v4
	s_delay_alu instid0(VALU_DEP_1) | instskip(NEXT) | instid1(VALU_DEP_1)
	v_min_u32_e32 v13, 32, v13
	v_subrev_nc_u32_e32 v20, 28, v13
	s_delay_alu instid0(VALU_DEP_1) | instskip(NEXT) | instid1(VALU_DEP_1)
	v_lshlrev_b64_e32 v[24:25], v20, v[4:5]
	v_dual_sub_nc_u32 v13, 29, v13 :: v_dual_bitop2_b32 v24, 7, v24 bitop3:0x40
; %bb.902:                              ;   in Loop: Header=BB342_9 Depth=1
	s_or_b32 exec_lo, exec_lo, s20
	s_delay_alu instid0(VALU_DEP_1) | instskip(NEXT) | instid1(VALU_DEP_2)
	v_dual_lshlrev_b32 v4, 24, v21 :: v_dual_lshlrev_b32 v20, 20, v24
	v_lshl_add_u32 v13, v13, 23, 0x3c000000
	s_delay_alu instid0(VALU_DEP_2) | instskip(NEXT) | instid1(VALU_DEP_1)
	v_and_b32_e32 v4, 0x80000000, v4
	v_or3_b32 v13, v20, v4, v13
.LBB342_903:                            ;   in Loop: Header=BB342_9 Depth=1
	s_or_b32 exec_lo, exec_lo, s19
.LBB342_904:                            ;   in Loop: Header=BB342_9 Depth=1
	s_delay_alu instid0(SALU_CYCLE_1)
	s_or_b32 exec_lo, exec_lo, s18
.LBB342_905:                            ;   in Loop: Header=BB342_9 Depth=1
	s_delay_alu instid0(SALU_CYCLE_1)
	s_or_b32 exec_lo, exec_lo, s11
	flat_load_b32 v81, v[16:17] offset:3584
	v_dual_mov_b32 v38, 0 :: v_dual_mov_b32 v21, 0
	s_mov_b32 s11, exec_lo
	s_wait_loadcnt_dscnt 0x0
	v_and_b32_e32 v4, 0xff, v81
	s_wait_xcnt 0x0
	s_delay_alu instid0(VALU_DEP_1)
	v_cmpx_ne_u16_e32 0, v4
	s_cbranch_execz .LBB342_913
; %bb.906:                              ;   in Loop: Header=BB342_9 Depth=1
	v_bfrev_b32_e32 v21, 1
	s_mov_b32 s18, exec_lo
	v_cmpx_ne_u16_e32 0x80, v4
	s_cbranch_execz .LBB342_912
; %bb.907:                              ;   in Loop: Header=BB342_9 Depth=1
	v_and_b32_e32 v80, 0x7f, v81
	v_mov_b32_e32 v21, 0x7f800001
	s_mov_b32 s19, exec_lo
	s_delay_alu instid0(VALU_DEP_2)
	v_cmpx_ne_u32_e32 0x7f, v80
	s_cbranch_execz .LBB342_911
; %bb.908:                              ;   in Loop: Header=BB342_9 Depth=1
	v_dual_lshrrev_b32 v20, 3, v80 :: v_dual_bitop2_b32 v4, 7, v81 bitop3:0x40
	s_mov_b32 s20, exec_lo
	s_delay_alu instid0(VALU_DEP_1)
	v_mov_b64_e32 v[24:25], v[4:5]
	v_cmpx_gt_u32_e32 8, v80
; %bb.909:                              ;   in Loop: Header=BB342_9 Depth=1
	v_clz_i32_u32_e32 v20, v4
	s_delay_alu instid0(VALU_DEP_1) | instskip(NEXT) | instid1(VALU_DEP_1)
	v_min_u32_e32 v20, 32, v20
	v_subrev_nc_u32_e32 v21, 28, v20
	v_sub_nc_u32_e32 v20, 29, v20
	s_delay_alu instid0(VALU_DEP_2) | instskip(NEXT) | instid1(VALU_DEP_1)
	v_lshlrev_b64_e32 v[24:25], v21, v[4:5]
	v_and_b32_e32 v24, 7, v24
; %bb.910:                              ;   in Loop: Header=BB342_9 Depth=1
	s_or_b32 exec_lo, exec_lo, s20
	s_delay_alu instid0(VALU_DEP_1) | instskip(SKIP_1) | instid1(VALU_DEP_2)
	v_dual_lshlrev_b32 v4, 24, v81 :: v_dual_lshlrev_b32 v21, 20, v24
	v_lshl_add_u32 v20, v20, 23, 0x3c000000
	v_and_b32_e32 v4, 0x80000000, v4
	s_delay_alu instid0(VALU_DEP_1)
	v_or3_b32 v21, v21, v4, v20
.LBB342_911:                            ;   in Loop: Header=BB342_9 Depth=1
	s_or_b32 exec_lo, exec_lo, s19
.LBB342_912:                            ;   in Loop: Header=BB342_9 Depth=1
	s_delay_alu instid0(SALU_CYCLE_1)
	s_or_b32 exec_lo, exec_lo, s18
.LBB342_913:                            ;   in Loop: Header=BB342_9 Depth=1
	s_delay_alu instid0(SALU_CYCLE_1) | instskip(SKIP_2) | instid1(VALU_DEP_1)
	s_or_b32 exec_lo, exec_lo, s11
	v_lshrrev_b16 v4, 8, v81
	s_mov_b32 s11, exec_lo
	v_cmpx_ne_u16_e32 0, v4
	s_cbranch_execz .LBB342_921
; %bb.914:                              ;   in Loop: Header=BB342_9 Depth=1
	v_bfrev_b32_e32 v38, 1
	s_mov_b32 s18, exec_lo
	v_cmpx_ne_u16_e32 0x80, v4
	s_cbranch_execz .LBB342_920
; %bb.915:                              ;   in Loop: Header=BB342_9 Depth=1
	v_and_b32_e32 v4, 0xffff, v4
	v_mov_b32_e32 v38, 0x7f800001
	s_mov_b32 s19, exec_lo
	s_delay_alu instid0(VALU_DEP_2) | instskip(NEXT) | instid1(VALU_DEP_1)
	v_and_b32_e32 v80, 0x7f, v4
	v_cmpx_ne_u32_e32 0x7f, v80
	s_cbranch_execz .LBB342_919
; %bb.916:                              ;   in Loop: Header=BB342_9 Depth=1
	v_and_b32_e32 v4, 7, v4
	v_lshrrev_b32_e32 v20, 3, v80
	s_mov_b32 s20, exec_lo
	s_delay_alu instid0(VALU_DEP_2)
	v_mov_b64_e32 v[24:25], v[4:5]
	v_cmpx_gt_u32_e32 8, v80
; %bb.917:                              ;   in Loop: Header=BB342_9 Depth=1
	v_clz_i32_u32_e32 v20, v4
	s_delay_alu instid0(VALU_DEP_1) | instskip(NEXT) | instid1(VALU_DEP_1)
	v_min_u32_e32 v20, 32, v20
	v_subrev_nc_u32_e32 v24, 28, v20
	v_sub_nc_u32_e32 v20, 29, v20
	s_delay_alu instid0(VALU_DEP_2) | instskip(NEXT) | instid1(VALU_DEP_1)
	v_lshlrev_b64_e32 v[24:25], v24, v[4:5]
	v_and_b32_e32 v24, 7, v24
; %bb.918:                              ;   in Loop: Header=BB342_9 Depth=1
	s_or_b32 exec_lo, exec_lo, s20
	s_delay_alu instid0(VALU_DEP_1) | instskip(SKIP_1) | instid1(VALU_DEP_2)
	v_dual_lshlrev_b32 v4, 16, v81 :: v_dual_lshlrev_b32 v24, 20, v24
	v_lshl_add_u32 v20, v20, 23, 0x3c000000
	v_and_b32_e32 v4, 0x80000000, v4
	s_delay_alu instid0(VALU_DEP_1)
	v_or3_b32 v38, v24, v4, v20
.LBB342_919:                            ;   in Loop: Header=BB342_9 Depth=1
	s_or_b32 exec_lo, exec_lo, s19
.LBB342_920:                            ;   in Loop: Header=BB342_9 Depth=1
	s_delay_alu instid0(SALU_CYCLE_1)
	s_or_b32 exec_lo, exec_lo, s18
.LBB342_921:                            ;   in Loop: Header=BB342_9 Depth=1
	s_delay_alu instid0(SALU_CYCLE_1) | instskip(SKIP_3) | instid1(VALU_DEP_2)
	s_or_b32 exec_lo, exec_lo, s11
	v_dual_lshrrev_b32 v82, 16, v81 :: v_dual_mov_b32 v20, 0
	v_mov_b32_e32 v80, 0
	s_mov_b32 s11, exec_lo
	v_and_b32_e32 v4, 0xff, v82
	s_delay_alu instid0(VALU_DEP_1)
	v_cmpx_ne_u16_e32 0, v4
	s_cbranch_execz .LBB342_929
; %bb.922:                              ;   in Loop: Header=BB342_9 Depth=1
	v_bfrev_b32_e32 v80, 1
	s_mov_b32 s18, exec_lo
	v_cmpx_ne_u16_e32 0x80, v4
	s_cbranch_execz .LBB342_928
; %bb.923:                              ;   in Loop: Header=BB342_9 Depth=1
	v_bfe_u32 v83, v81, 16, 7
	v_mov_b32_e32 v80, 0x7f800001
	s_mov_b32 s19, exec_lo
	s_delay_alu instid0(VALU_DEP_2)
	v_cmpx_ne_u32_e32 0x7f, v83
	s_cbranch_execz .LBB342_927
; %bb.924:                              ;   in Loop: Header=BB342_9 Depth=1
	v_and_b32_e32 v4, 7, v82
	s_mov_b32 s20, exec_lo
	s_delay_alu instid0(VALU_DEP_1)
	v_mov_b64_e32 v[24:25], v[4:5]
	v_lshrrev_b32_e32 v25, 3, v83
	v_cmpx_gt_u32_e32 8, v83
; %bb.925:                              ;   in Loop: Header=BB342_9 Depth=1
	v_clz_i32_u32_e32 v24, v4
	s_delay_alu instid0(VALU_DEP_1) | instskip(NEXT) | instid1(VALU_DEP_1)
	v_min_u32_e32 v80, 32, v24
	v_subrev_nc_u32_e32 v24, 28, v80
	s_delay_alu instid0(VALU_DEP_1) | instskip(SKIP_1) | instid1(VALU_DEP_2)
	v_lshlrev_b64_e32 v[24:25], v24, v[4:5]
	v_sub_nc_u32_e32 v25, 29, v80
	v_and_b32_e32 v24, 7, v24
; %bb.926:                              ;   in Loop: Header=BB342_9 Depth=1
	s_or_b32 exec_lo, exec_lo, s20
	s_delay_alu instid0(VALU_DEP_1) | instskip(NEXT) | instid1(VALU_DEP_3)
	v_dual_lshlrev_b32 v4, 24, v82 :: v_dual_lshlrev_b32 v24, 20, v24
	v_lshl_add_u32 v25, v25, 23, 0x3c000000
	s_delay_alu instid0(VALU_DEP_2) | instskip(NEXT) | instid1(VALU_DEP_1)
	v_and_b32_e32 v4, 0x80000000, v4
	v_or3_b32 v80, v24, v4, v25
.LBB342_927:                            ;   in Loop: Header=BB342_9 Depth=1
	s_or_b32 exec_lo, exec_lo, s19
.LBB342_928:                            ;   in Loop: Header=BB342_9 Depth=1
	s_delay_alu instid0(SALU_CYCLE_1)
	s_or_b32 exec_lo, exec_lo, s18
.LBB342_929:                            ;   in Loop: Header=BB342_9 Depth=1
	s_delay_alu instid0(SALU_CYCLE_1) | instskip(NEXT) | instid1(SALU_CYCLE_1)
	s_or_b32 exec_lo, exec_lo, s11
	s_mov_b32 s11, exec_lo
	v_cmpx_lt_u32_e32 0xffffff, v81
	s_cbranch_execz .LBB342_937
; %bb.930:                              ;   in Loop: Header=BB342_9 Depth=1
	v_lshrrev_b32_e32 v82, 24, v81
	v_bfrev_b32_e32 v20, 1
	s_mov_b32 s18, exec_lo
	s_delay_alu instid0(VALU_DEP_2)
	v_cmpx_ne_u32_e32 0x80, v82
	s_cbranch_execz .LBB342_936
; %bb.931:                              ;   in Loop: Header=BB342_9 Depth=1
	v_bfe_u32 v81, v81, 24, 7
	v_mov_b32_e32 v20, 0x7f800001
	s_mov_b32 s19, exec_lo
	s_delay_alu instid0(VALU_DEP_2)
	v_cmpx_ne_u32_e32 0x7f, v81
	s_cbranch_execz .LBB342_935
; %bb.932:                              ;   in Loop: Header=BB342_9 Depth=1
	v_dual_lshrrev_b32 v20, 3, v81 :: v_dual_bitop2_b32 v4, 7, v82 bitop3:0x40
	s_mov_b32 s20, exec_lo
	s_delay_alu instid0(VALU_DEP_1)
	v_mov_b64_e32 v[24:25], v[4:5]
	v_cmpx_gt_u32_e32 8, v81
; %bb.933:                              ;   in Loop: Header=BB342_9 Depth=1
	v_clz_i32_u32_e32 v20, v4
	s_delay_alu instid0(VALU_DEP_1) | instskip(NEXT) | instid1(VALU_DEP_1)
	v_min_u32_e32 v20, 32, v20
	v_subrev_nc_u32_e32 v24, 28, v20
	v_sub_nc_u32_e32 v20, 29, v20
	s_delay_alu instid0(VALU_DEP_2) | instskip(NEXT) | instid1(VALU_DEP_1)
	v_lshlrev_b64_e32 v[24:25], v24, v[4:5]
	v_and_b32_e32 v24, 7, v24
; %bb.934:                              ;   in Loop: Header=BB342_9 Depth=1
	s_or_b32 exec_lo, exec_lo, s20
	s_delay_alu instid0(VALU_DEP_1) | instskip(SKIP_1) | instid1(VALU_DEP_2)
	v_dual_lshlrev_b32 v4, 24, v82 :: v_dual_lshlrev_b32 v24, 20, v24
	v_lshl_add_u32 v20, v20, 23, 0x3c000000
	v_and_b32_e32 v4, 0x80000000, v4
	s_delay_alu instid0(VALU_DEP_1)
	v_or3_b32 v20, v24, v4, v20
.LBB342_935:                            ;   in Loop: Header=BB342_9 Depth=1
	s_or_b32 exec_lo, exec_lo, s19
.LBB342_936:                            ;   in Loop: Header=BB342_9 Depth=1
	s_delay_alu instid0(SALU_CYCLE_1)
	s_or_b32 exec_lo, exec_lo, s18
.LBB342_937:                            ;   in Loop: Header=BB342_9 Depth=1
	s_delay_alu instid0(SALU_CYCLE_1)
	s_or_b32 exec_lo, exec_lo, s11
	flat_load_b32 v85, v[16:17] offset:3592
	v_dual_mov_b32 v81, 0 :: v_dual_mov_b32 v82, 0
	s_mov_b32 s11, exec_lo
	s_wait_loadcnt_dscnt 0x0
	v_and_b32_e32 v4, 0xff, v85
	s_wait_xcnt 0x0
	s_delay_alu instid0(VALU_DEP_1)
	v_cmpx_ne_u16_e32 0, v4
	s_cbranch_execz .LBB342_945
; %bb.938:                              ;   in Loop: Header=BB342_9 Depth=1
	v_bfrev_b32_e32 v82, 1
	s_mov_b32 s18, exec_lo
	v_cmpx_ne_u16_e32 0x80, v4
	s_cbranch_execz .LBB342_944
; %bb.939:                              ;   in Loop: Header=BB342_9 Depth=1
	v_and_b32_e32 v83, 0x7f, v85
	v_mov_b32_e32 v82, 0x7f800001
	s_mov_b32 s19, exec_lo
	s_delay_alu instid0(VALU_DEP_2)
	v_cmpx_ne_u32_e32 0x7f, v83
	s_cbranch_execz .LBB342_943
; %bb.940:                              ;   in Loop: Header=BB342_9 Depth=1
	v_and_b32_e32 v4, 7, v85
	s_mov_b32 s20, exec_lo
	s_delay_alu instid0(VALU_DEP_1)
	v_mov_b64_e32 v[24:25], v[4:5]
	v_lshrrev_b32_e32 v25, 3, v83
	v_cmpx_gt_u32_e32 8, v83
; %bb.941:                              ;   in Loop: Header=BB342_9 Depth=1
	v_clz_i32_u32_e32 v24, v4
	s_delay_alu instid0(VALU_DEP_1) | instskip(NEXT) | instid1(VALU_DEP_1)
	v_min_u32_e32 v82, 32, v24
	v_subrev_nc_u32_e32 v24, 28, v82
	s_delay_alu instid0(VALU_DEP_1) | instskip(NEXT) | instid1(VALU_DEP_1)
	v_lshlrev_b64_e32 v[24:25], v24, v[4:5]
	v_dual_sub_nc_u32 v25, 29, v82 :: v_dual_bitop2_b32 v24, 7, v24 bitop3:0x40
; %bb.942:                              ;   in Loop: Header=BB342_9 Depth=1
	s_or_b32 exec_lo, exec_lo, s20
	s_delay_alu instid0(VALU_DEP_1) | instskip(NEXT) | instid1(VALU_DEP_2)
	v_dual_lshlrev_b32 v4, 24, v85 :: v_dual_lshlrev_b32 v24, 20, v24
	v_lshl_add_u32 v25, v25, 23, 0x3c000000
	s_delay_alu instid0(VALU_DEP_2) | instskip(NEXT) | instid1(VALU_DEP_1)
	v_and_b32_e32 v4, 0x80000000, v4
	v_or3_b32 v82, v24, v4, v25
.LBB342_943:                            ;   in Loop: Header=BB342_9 Depth=1
	s_or_b32 exec_lo, exec_lo, s19
.LBB342_944:                            ;   in Loop: Header=BB342_9 Depth=1
	s_delay_alu instid0(SALU_CYCLE_1)
	s_or_b32 exec_lo, exec_lo, s18
.LBB342_945:                            ;   in Loop: Header=BB342_9 Depth=1
	s_delay_alu instid0(SALU_CYCLE_1) | instskip(SKIP_2) | instid1(VALU_DEP_1)
	s_or_b32 exec_lo, exec_lo, s11
	v_lshrrev_b16 v4, 8, v85
	s_mov_b32 s11, exec_lo
	v_cmpx_ne_u16_e32 0, v4
	s_cbranch_execz .LBB342_953
; %bb.946:                              ;   in Loop: Header=BB342_9 Depth=1
	v_bfrev_b32_e32 v81, 1
	s_mov_b32 s18, exec_lo
	v_cmpx_ne_u16_e32 0x80, v4
	s_cbranch_execz .LBB342_952
; %bb.947:                              ;   in Loop: Header=BB342_9 Depth=1
	v_and_b32_e32 v4, 0xffff, v4
	v_mov_b32_e32 v81, 0x7f800001
	s_mov_b32 s19, exec_lo
	s_delay_alu instid0(VALU_DEP_2) | instskip(NEXT) | instid1(VALU_DEP_1)
	v_and_b32_e32 v83, 0x7f, v4
	v_cmpx_ne_u32_e32 0x7f, v83
	s_cbranch_execz .LBB342_951
; %bb.948:                              ;   in Loop: Header=BB342_9 Depth=1
	v_and_b32_e32 v4, 7, v4
	s_mov_b32 s20, exec_lo
	s_delay_alu instid0(VALU_DEP_1)
	v_mov_b64_e32 v[24:25], v[4:5]
	v_lshrrev_b32_e32 v25, 3, v83
	v_cmpx_gt_u32_e32 8, v83
; %bb.949:                              ;   in Loop: Header=BB342_9 Depth=1
	v_clz_i32_u32_e32 v24, v4
	s_delay_alu instid0(VALU_DEP_1) | instskip(NEXT) | instid1(VALU_DEP_1)
	v_min_u32_e32 v81, 32, v24
	v_subrev_nc_u32_e32 v24, 28, v81
	s_delay_alu instid0(VALU_DEP_1) | instskip(NEXT) | instid1(VALU_DEP_1)
	v_lshlrev_b64_e32 v[24:25], v24, v[4:5]
	v_dual_sub_nc_u32 v25, 29, v81 :: v_dual_bitop2_b32 v24, 7, v24 bitop3:0x40
; %bb.950:                              ;   in Loop: Header=BB342_9 Depth=1
	s_or_b32 exec_lo, exec_lo, s20
	s_delay_alu instid0(VALU_DEP_1) | instskip(NEXT) | instid1(VALU_DEP_2)
	v_dual_lshlrev_b32 v4, 16, v85 :: v_dual_lshlrev_b32 v24, 20, v24
	v_lshl_add_u32 v25, v25, 23, 0x3c000000
	s_delay_alu instid0(VALU_DEP_2) | instskip(NEXT) | instid1(VALU_DEP_1)
	v_and_b32_e32 v4, 0x80000000, v4
	v_or3_b32 v81, v24, v4, v25
.LBB342_951:                            ;   in Loop: Header=BB342_9 Depth=1
	s_or_b32 exec_lo, exec_lo, s19
.LBB342_952:                            ;   in Loop: Header=BB342_9 Depth=1
	s_delay_alu instid0(SALU_CYCLE_1)
	s_or_b32 exec_lo, exec_lo, s18
.LBB342_953:                            ;   in Loop: Header=BB342_9 Depth=1
	s_delay_alu instid0(SALU_CYCLE_1) | instskip(SKIP_3) | instid1(VALU_DEP_2)
	s_or_b32 exec_lo, exec_lo, s11
	v_dual_mov_b32 v83, 0 :: v_dual_lshrrev_b32 v86, 16, v85
	v_mov_b32_e32 v84, 0
	s_mov_b32 s11, exec_lo
	v_and_b32_e32 v4, 0xff, v86
	s_delay_alu instid0(VALU_DEP_1)
	v_cmpx_ne_u16_e32 0, v4
	s_cbranch_execz .LBB342_961
; %bb.954:                              ;   in Loop: Header=BB342_9 Depth=1
	v_bfrev_b32_e32 v84, 1
	s_mov_b32 s18, exec_lo
	v_cmpx_ne_u16_e32 0x80, v4
	s_cbranch_execz .LBB342_960
; %bb.955:                              ;   in Loop: Header=BB342_9 Depth=1
	v_bfe_u32 v87, v85, 16, 7
	v_mov_b32_e32 v84, 0x7f800001
	s_mov_b32 s19, exec_lo
	s_delay_alu instid0(VALU_DEP_2)
	v_cmpx_ne_u32_e32 0x7f, v87
	s_cbranch_execz .LBB342_959
; %bb.956:                              ;   in Loop: Header=BB342_9 Depth=1
	v_and_b32_e32 v4, 7, v86
	s_mov_b32 s20, exec_lo
	s_delay_alu instid0(VALU_DEP_1)
	v_mov_b64_e32 v[24:25], v[4:5]
	v_lshrrev_b32_e32 v25, 3, v87
	v_cmpx_gt_u32_e32 8, v87
; %bb.957:                              ;   in Loop: Header=BB342_9 Depth=1
	v_clz_i32_u32_e32 v24, v4
	s_delay_alu instid0(VALU_DEP_1) | instskip(NEXT) | instid1(VALU_DEP_1)
	v_min_u32_e32 v84, 32, v24
	v_subrev_nc_u32_e32 v24, 28, v84
	s_delay_alu instid0(VALU_DEP_1) | instskip(SKIP_1) | instid1(VALU_DEP_2)
	v_lshlrev_b64_e32 v[24:25], v24, v[4:5]
	v_sub_nc_u32_e32 v25, 29, v84
	v_and_b32_e32 v24, 7, v24
; %bb.958:                              ;   in Loop: Header=BB342_9 Depth=1
	s_or_b32 exec_lo, exec_lo, s20
	s_delay_alu instid0(VALU_DEP_1) | instskip(NEXT) | instid1(VALU_DEP_3)
	v_dual_lshlrev_b32 v4, 24, v86 :: v_dual_lshlrev_b32 v24, 20, v24
	v_lshl_add_u32 v25, v25, 23, 0x3c000000
	s_delay_alu instid0(VALU_DEP_2) | instskip(NEXT) | instid1(VALU_DEP_1)
	v_and_b32_e32 v4, 0x80000000, v4
	v_or3_b32 v84, v24, v4, v25
.LBB342_959:                            ;   in Loop: Header=BB342_9 Depth=1
	s_or_b32 exec_lo, exec_lo, s19
.LBB342_960:                            ;   in Loop: Header=BB342_9 Depth=1
	s_delay_alu instid0(SALU_CYCLE_1)
	s_or_b32 exec_lo, exec_lo, s18
.LBB342_961:                            ;   in Loop: Header=BB342_9 Depth=1
	s_delay_alu instid0(SALU_CYCLE_1) | instskip(NEXT) | instid1(SALU_CYCLE_1)
	s_or_b32 exec_lo, exec_lo, s11
	s_mov_b32 s11, exec_lo
	v_cmpx_lt_u32_e32 0xffffff, v85
	s_cbranch_execz .LBB342_969
; %bb.962:                              ;   in Loop: Header=BB342_9 Depth=1
	v_lshrrev_b32_e32 v86, 24, v85
	v_bfrev_b32_e32 v83, 1
	s_mov_b32 s18, exec_lo
	s_delay_alu instid0(VALU_DEP_2)
	v_cmpx_ne_u32_e32 0x80, v86
	s_cbranch_execz .LBB342_968
; %bb.963:                              ;   in Loop: Header=BB342_9 Depth=1
	v_bfe_u32 v85, v85, 24, 7
	v_mov_b32_e32 v83, 0x7f800001
	s_mov_b32 s19, exec_lo
	s_delay_alu instid0(VALU_DEP_2)
	v_cmpx_ne_u32_e32 0x7f, v85
	s_cbranch_execz .LBB342_967
; %bb.964:                              ;   in Loop: Header=BB342_9 Depth=1
	v_and_b32_e32 v4, 7, v86
	s_mov_b32 s20, exec_lo
	s_delay_alu instid0(VALU_DEP_1)
	v_mov_b64_e32 v[24:25], v[4:5]
	v_lshrrev_b32_e32 v25, 3, v85
	v_cmpx_gt_u32_e32 8, v85
; %bb.965:                              ;   in Loop: Header=BB342_9 Depth=1
	v_clz_i32_u32_e32 v24, v4
	s_delay_alu instid0(VALU_DEP_1) | instskip(NEXT) | instid1(VALU_DEP_1)
	v_min_u32_e32 v83, 32, v24
	v_subrev_nc_u32_e32 v24, 28, v83
	s_delay_alu instid0(VALU_DEP_1) | instskip(NEXT) | instid1(VALU_DEP_1)
	v_lshlrev_b64_e32 v[24:25], v24, v[4:5]
	v_dual_sub_nc_u32 v25, 29, v83 :: v_dual_bitop2_b32 v24, 7, v24 bitop3:0x40
; %bb.966:                              ;   in Loop: Header=BB342_9 Depth=1
	s_or_b32 exec_lo, exec_lo, s20
	s_delay_alu instid0(VALU_DEP_1) | instskip(NEXT) | instid1(VALU_DEP_2)
	v_dual_lshlrev_b32 v4, 24, v86 :: v_dual_lshlrev_b32 v24, 20, v24
	v_lshl_add_u32 v25, v25, 23, 0x3c000000
	s_delay_alu instid0(VALU_DEP_2) | instskip(NEXT) | instid1(VALU_DEP_1)
	v_and_b32_e32 v4, 0x80000000, v4
	v_or3_b32 v83, v24, v4, v25
.LBB342_967:                            ;   in Loop: Header=BB342_9 Depth=1
	s_or_b32 exec_lo, exec_lo, s19
.LBB342_968:                            ;   in Loop: Header=BB342_9 Depth=1
	s_delay_alu instid0(SALU_CYCLE_1)
	s_or_b32 exec_lo, exec_lo, s18
.LBB342_969:                            ;   in Loop: Header=BB342_9 Depth=1
	s_delay_alu instid0(SALU_CYCLE_1)
	s_or_b32 exec_lo, exec_lo, s11
	flat_load_b32 v97, v[16:17] offset:3840
	v_dual_mov_b32 v85, 0 :: v_dual_mov_b32 v86, 0
	s_mov_b32 s11, exec_lo
	s_wait_loadcnt_dscnt 0x0
	v_and_b32_e32 v4, 0xff, v97
	s_wait_xcnt 0x0
	s_delay_alu instid0(VALU_DEP_1)
	v_cmpx_ne_u16_e32 0, v4
	s_cbranch_execz .LBB342_977
; %bb.970:                              ;   in Loop: Header=BB342_9 Depth=1
	v_bfrev_b32_e32 v86, 1
	s_mov_b32 s18, exec_lo
	v_cmpx_ne_u16_e32 0x80, v4
	s_cbranch_execz .LBB342_976
; %bb.971:                              ;   in Loop: Header=BB342_9 Depth=1
	v_and_b32_e32 v87, 0x7f, v97
	v_mov_b32_e32 v86, 0x7f800001
	s_mov_b32 s19, exec_lo
	s_delay_alu instid0(VALU_DEP_2)
	v_cmpx_ne_u32_e32 0x7f, v87
	s_cbranch_execz .LBB342_975
; %bb.972:                              ;   in Loop: Header=BB342_9 Depth=1
	v_and_b32_e32 v4, 7, v97
	s_mov_b32 s20, exec_lo
	s_delay_alu instid0(VALU_DEP_1)
	v_mov_b64_e32 v[24:25], v[4:5]
	v_lshrrev_b32_e32 v25, 3, v87
	v_cmpx_gt_u32_e32 8, v87
; %bb.973:                              ;   in Loop: Header=BB342_9 Depth=1
	v_clz_i32_u32_e32 v24, v4
	s_delay_alu instid0(VALU_DEP_1) | instskip(NEXT) | instid1(VALU_DEP_1)
	v_min_u32_e32 v86, 32, v24
	v_subrev_nc_u32_e32 v24, 28, v86
	s_delay_alu instid0(VALU_DEP_1) | instskip(NEXT) | instid1(VALU_DEP_1)
	v_lshlrev_b64_e32 v[24:25], v24, v[4:5]
	v_dual_sub_nc_u32 v25, 29, v86 :: v_dual_bitop2_b32 v24, 7, v24 bitop3:0x40
; %bb.974:                              ;   in Loop: Header=BB342_9 Depth=1
	s_or_b32 exec_lo, exec_lo, s20
	s_delay_alu instid0(VALU_DEP_1) | instskip(NEXT) | instid1(VALU_DEP_2)
	v_dual_lshlrev_b32 v4, 24, v97 :: v_dual_lshlrev_b32 v24, 20, v24
	v_lshl_add_u32 v25, v25, 23, 0x3c000000
	s_delay_alu instid0(VALU_DEP_2) | instskip(NEXT) | instid1(VALU_DEP_1)
	v_and_b32_e32 v4, 0x80000000, v4
	v_or3_b32 v86, v24, v4, v25
.LBB342_975:                            ;   in Loop: Header=BB342_9 Depth=1
	s_or_b32 exec_lo, exec_lo, s19
.LBB342_976:                            ;   in Loop: Header=BB342_9 Depth=1
	s_delay_alu instid0(SALU_CYCLE_1)
	s_or_b32 exec_lo, exec_lo, s18
.LBB342_977:                            ;   in Loop: Header=BB342_9 Depth=1
	s_delay_alu instid0(SALU_CYCLE_1) | instskip(SKIP_2) | instid1(VALU_DEP_1)
	s_or_b32 exec_lo, exec_lo, s11
	v_lshrrev_b16 v4, 8, v97
	s_mov_b32 s11, exec_lo
	v_cmpx_ne_u16_e32 0, v4
	s_cbranch_execz .LBB342_985
; %bb.978:                              ;   in Loop: Header=BB342_9 Depth=1
	v_bfrev_b32_e32 v85, 1
	s_mov_b32 s18, exec_lo
	v_cmpx_ne_u16_e32 0x80, v4
	s_cbranch_execz .LBB342_984
; %bb.979:                              ;   in Loop: Header=BB342_9 Depth=1
	v_and_b32_e32 v4, 0xffff, v4
	v_mov_b32_e32 v85, 0x7f800001
	s_mov_b32 s19, exec_lo
	s_delay_alu instid0(VALU_DEP_2) | instskip(NEXT) | instid1(VALU_DEP_1)
	v_and_b32_e32 v87, 0x7f, v4
	v_cmpx_ne_u32_e32 0x7f, v87
	s_cbranch_execz .LBB342_983
; %bb.980:                              ;   in Loop: Header=BB342_9 Depth=1
	v_and_b32_e32 v4, 7, v4
	s_mov_b32 s20, exec_lo
	s_delay_alu instid0(VALU_DEP_1)
	v_mov_b64_e32 v[24:25], v[4:5]
	v_lshrrev_b32_e32 v25, 3, v87
	v_cmpx_gt_u32_e32 8, v87
; %bb.981:                              ;   in Loop: Header=BB342_9 Depth=1
	v_clz_i32_u32_e32 v24, v4
	s_delay_alu instid0(VALU_DEP_1) | instskip(NEXT) | instid1(VALU_DEP_1)
	v_min_u32_e32 v85, 32, v24
	v_subrev_nc_u32_e32 v24, 28, v85
	s_delay_alu instid0(VALU_DEP_1) | instskip(NEXT) | instid1(VALU_DEP_1)
	v_lshlrev_b64_e32 v[24:25], v24, v[4:5]
	v_dual_sub_nc_u32 v25, 29, v85 :: v_dual_bitop2_b32 v24, 7, v24 bitop3:0x40
; %bb.982:                              ;   in Loop: Header=BB342_9 Depth=1
	s_or_b32 exec_lo, exec_lo, s20
	s_delay_alu instid0(VALU_DEP_1) | instskip(NEXT) | instid1(VALU_DEP_2)
	v_dual_lshlrev_b32 v4, 16, v97 :: v_dual_lshlrev_b32 v24, 20, v24
	v_lshl_add_u32 v25, v25, 23, 0x3c000000
	s_delay_alu instid0(VALU_DEP_2) | instskip(NEXT) | instid1(VALU_DEP_1)
	v_and_b32_e32 v4, 0x80000000, v4
	v_or3_b32 v85, v24, v4, v25
.LBB342_983:                            ;   in Loop: Header=BB342_9 Depth=1
	s_or_b32 exec_lo, exec_lo, s19
.LBB342_984:                            ;   in Loop: Header=BB342_9 Depth=1
	s_delay_alu instid0(SALU_CYCLE_1)
	s_or_b32 exec_lo, exec_lo, s18
.LBB342_985:                            ;   in Loop: Header=BB342_9 Depth=1
	s_delay_alu instid0(SALU_CYCLE_1) | instskip(SKIP_3) | instid1(VALU_DEP_2)
	s_or_b32 exec_lo, exec_lo, s11
	v_dual_mov_b32 v87, 0 :: v_dual_lshrrev_b32 v98, 16, v97
	v_mov_b32_e32 v96, 0
	s_mov_b32 s11, exec_lo
	v_and_b32_e32 v4, 0xff, v98
	s_delay_alu instid0(VALU_DEP_1)
	v_cmpx_ne_u16_e32 0, v4
	s_cbranch_execz .LBB342_993
; %bb.986:                              ;   in Loop: Header=BB342_9 Depth=1
	v_bfrev_b32_e32 v96, 1
	s_mov_b32 s18, exec_lo
	v_cmpx_ne_u16_e32 0x80, v4
	s_cbranch_execz .LBB342_992
; %bb.987:                              ;   in Loop: Header=BB342_9 Depth=1
	v_bfe_u32 v99, v97, 16, 7
	v_mov_b32_e32 v96, 0x7f800001
	s_mov_b32 s19, exec_lo
	s_delay_alu instid0(VALU_DEP_2)
	v_cmpx_ne_u32_e32 0x7f, v99
	s_cbranch_execz .LBB342_991
; %bb.988:                              ;   in Loop: Header=BB342_9 Depth=1
	v_and_b32_e32 v4, 7, v98
	s_mov_b32 s20, exec_lo
	s_delay_alu instid0(VALU_DEP_1)
	v_mov_b64_e32 v[24:25], v[4:5]
	v_lshrrev_b32_e32 v25, 3, v99
	v_cmpx_gt_u32_e32 8, v99
; %bb.989:                              ;   in Loop: Header=BB342_9 Depth=1
	v_clz_i32_u32_e32 v24, v4
	s_delay_alu instid0(VALU_DEP_1) | instskip(NEXT) | instid1(VALU_DEP_1)
	v_min_u32_e32 v96, 32, v24
	v_subrev_nc_u32_e32 v24, 28, v96
	s_delay_alu instid0(VALU_DEP_1) | instskip(SKIP_1) | instid1(VALU_DEP_2)
	v_lshlrev_b64_e32 v[24:25], v24, v[4:5]
	v_sub_nc_u32_e32 v25, 29, v96
	v_and_b32_e32 v24, 7, v24
; %bb.990:                              ;   in Loop: Header=BB342_9 Depth=1
	s_or_b32 exec_lo, exec_lo, s20
	s_delay_alu instid0(VALU_DEP_1) | instskip(NEXT) | instid1(VALU_DEP_3)
	v_dual_lshlrev_b32 v4, 24, v98 :: v_dual_lshlrev_b32 v24, 20, v24
	v_lshl_add_u32 v25, v25, 23, 0x3c000000
	s_delay_alu instid0(VALU_DEP_2) | instskip(NEXT) | instid1(VALU_DEP_1)
	v_and_b32_e32 v4, 0x80000000, v4
	v_or3_b32 v96, v24, v4, v25
.LBB342_991:                            ;   in Loop: Header=BB342_9 Depth=1
	s_or_b32 exec_lo, exec_lo, s19
.LBB342_992:                            ;   in Loop: Header=BB342_9 Depth=1
	s_delay_alu instid0(SALU_CYCLE_1)
	s_or_b32 exec_lo, exec_lo, s18
.LBB342_993:                            ;   in Loop: Header=BB342_9 Depth=1
	s_delay_alu instid0(SALU_CYCLE_1) | instskip(NEXT) | instid1(SALU_CYCLE_1)
	s_or_b32 exec_lo, exec_lo, s11
	s_mov_b32 s11, exec_lo
	v_cmpx_lt_u32_e32 0xffffff, v97
	s_cbranch_execz .LBB342_1001
; %bb.994:                              ;   in Loop: Header=BB342_9 Depth=1
	v_lshrrev_b32_e32 v98, 24, v97
	v_bfrev_b32_e32 v87, 1
	s_mov_b32 s18, exec_lo
	s_delay_alu instid0(VALU_DEP_2)
	v_cmpx_ne_u32_e32 0x80, v98
	s_cbranch_execz .LBB342_1000
; %bb.995:                              ;   in Loop: Header=BB342_9 Depth=1
	v_bfe_u32 v97, v97, 24, 7
	v_mov_b32_e32 v87, 0x7f800001
	s_mov_b32 s19, exec_lo
	s_delay_alu instid0(VALU_DEP_2)
	v_cmpx_ne_u32_e32 0x7f, v97
	s_cbranch_execz .LBB342_999
; %bb.996:                              ;   in Loop: Header=BB342_9 Depth=1
	v_and_b32_e32 v4, 7, v98
	s_mov_b32 s20, exec_lo
	s_delay_alu instid0(VALU_DEP_1)
	v_mov_b64_e32 v[24:25], v[4:5]
	v_lshrrev_b32_e32 v25, 3, v97
	v_cmpx_gt_u32_e32 8, v97
; %bb.997:                              ;   in Loop: Header=BB342_9 Depth=1
	v_clz_i32_u32_e32 v24, v4
	s_delay_alu instid0(VALU_DEP_1) | instskip(NEXT) | instid1(VALU_DEP_1)
	v_min_u32_e32 v87, 32, v24
	v_subrev_nc_u32_e32 v24, 28, v87
	s_delay_alu instid0(VALU_DEP_1) | instskip(NEXT) | instid1(VALU_DEP_1)
	v_lshlrev_b64_e32 v[24:25], v24, v[4:5]
	v_dual_sub_nc_u32 v25, 29, v87 :: v_dual_bitop2_b32 v24, 7, v24 bitop3:0x40
; %bb.998:                              ;   in Loop: Header=BB342_9 Depth=1
	s_or_b32 exec_lo, exec_lo, s20
	s_delay_alu instid0(VALU_DEP_1) | instskip(NEXT) | instid1(VALU_DEP_2)
	v_dual_lshlrev_b32 v4, 24, v98 :: v_dual_lshlrev_b32 v24, 20, v24
	v_lshl_add_u32 v25, v25, 23, 0x3c000000
	s_delay_alu instid0(VALU_DEP_2) | instskip(NEXT) | instid1(VALU_DEP_1)
	v_and_b32_e32 v4, 0x80000000, v4
	v_or3_b32 v87, v24, v4, v25
.LBB342_999:                            ;   in Loop: Header=BB342_9 Depth=1
	s_or_b32 exec_lo, exec_lo, s19
.LBB342_1000:                           ;   in Loop: Header=BB342_9 Depth=1
	s_delay_alu instid0(SALU_CYCLE_1)
	s_or_b32 exec_lo, exec_lo, s18
.LBB342_1001:                           ;   in Loop: Header=BB342_9 Depth=1
	s_delay_alu instid0(SALU_CYCLE_1)
	s_or_b32 exec_lo, exec_lo, s11
	flat_load_b32 v99, v[16:17] offset:3848
	v_dual_mov_b32 v24, 0 :: v_dual_mov_b32 v25, 0
	s_mov_b32 s11, exec_lo
	s_wait_loadcnt_dscnt 0x0
	v_and_b32_e32 v4, 0xff, v99
	s_wait_xcnt 0x0
	s_delay_alu instid0(VALU_DEP_1)
	v_cmpx_ne_u16_e32 0, v4
	s_cbranch_execz .LBB342_1009
; %bb.1002:                             ;   in Loop: Header=BB342_9 Depth=1
	v_bfrev_b32_e32 v25, 1
	s_mov_b32 s18, exec_lo
	v_cmpx_ne_u16_e32 0x80, v4
	s_cbranch_execz .LBB342_1008
; %bb.1003:                             ;   in Loop: Header=BB342_9 Depth=1
	v_and_b32_e32 v97, 0x7f, v99
	v_mov_b32_e32 v25, 0x7f800001
	s_mov_b32 s19, exec_lo
	s_delay_alu instid0(VALU_DEP_2)
	v_cmpx_ne_u32_e32 0x7f, v97
	s_cbranch_execz .LBB342_1007
; %bb.1004:                             ;   in Loop: Header=BB342_9 Depth=1
	v_and_b32_e32 v4, 7, v99
	s_mov_b32 s20, exec_lo
	s_delay_alu instid0(VALU_DEP_1)
	v_mov_b64_e32 v[16:17], v[4:5]
	v_lshrrev_b32_e32 v17, 3, v97
	v_cmpx_gt_u32_e32 8, v97
; %bb.1005:                             ;   in Loop: Header=BB342_9 Depth=1
	v_clz_i32_u32_e32 v16, v4
	s_delay_alu instid0(VALU_DEP_1) | instskip(NEXT) | instid1(VALU_DEP_1)
	v_min_u32_e32 v25, 32, v16
	v_subrev_nc_u32_e32 v16, 28, v25
	s_delay_alu instid0(VALU_DEP_1) | instskip(NEXT) | instid1(VALU_DEP_1)
	v_lshlrev_b64_e32 v[16:17], v16, v[4:5]
	v_dual_sub_nc_u32 v17, 29, v25 :: v_dual_bitop2_b32 v16, 7, v16 bitop3:0x40
; %bb.1006:                             ;   in Loop: Header=BB342_9 Depth=1
	s_or_b32 exec_lo, exec_lo, s20
	s_delay_alu instid0(VALU_DEP_1) | instskip(NEXT) | instid1(VALU_DEP_2)
	v_dual_lshlrev_b32 v4, 24, v99 :: v_dual_lshlrev_b32 v16, 20, v16
	v_lshl_add_u32 v17, v17, 23, 0x3c000000
	s_delay_alu instid0(VALU_DEP_2) | instskip(NEXT) | instid1(VALU_DEP_1)
	v_and_b32_e32 v4, 0x80000000, v4
	v_or3_b32 v25, v16, v4, v17
.LBB342_1007:                           ;   in Loop: Header=BB342_9 Depth=1
	s_or_b32 exec_lo, exec_lo, s19
.LBB342_1008:                           ;   in Loop: Header=BB342_9 Depth=1
	s_delay_alu instid0(SALU_CYCLE_1)
	s_or_b32 exec_lo, exec_lo, s18
.LBB342_1009:                           ;   in Loop: Header=BB342_9 Depth=1
	s_delay_alu instid0(SALU_CYCLE_1) | instskip(SKIP_2) | instid1(VALU_DEP_1)
	s_or_b32 exec_lo, exec_lo, s11
	v_lshrrev_b16 v4, 8, v99
	s_mov_b32 s11, exec_lo
	v_cmpx_ne_u16_e32 0, v4
	s_cbranch_execz .LBB342_1017
; %bb.1010:                             ;   in Loop: Header=BB342_9 Depth=1
	v_bfrev_b32_e32 v24, 1
	s_mov_b32 s18, exec_lo
	v_cmpx_ne_u16_e32 0x80, v4
	s_cbranch_execz .LBB342_1016
; %bb.1011:                             ;   in Loop: Header=BB342_9 Depth=1
	v_and_b32_e32 v4, 0xffff, v4
	v_mov_b32_e32 v24, 0x7f800001
	s_mov_b32 s19, exec_lo
	s_delay_alu instid0(VALU_DEP_2) | instskip(NEXT) | instid1(VALU_DEP_1)
	v_and_b32_e32 v97, 0x7f, v4
	v_cmpx_ne_u32_e32 0x7f, v97
	s_cbranch_execz .LBB342_1015
; %bb.1012:                             ;   in Loop: Header=BB342_9 Depth=1
	v_and_b32_e32 v4, 7, v4
	s_mov_b32 s20, exec_lo
	s_delay_alu instid0(VALU_DEP_1)
	v_mov_b64_e32 v[16:17], v[4:5]
	v_lshrrev_b32_e32 v17, 3, v97
	v_cmpx_gt_u32_e32 8, v97
; %bb.1013:                             ;   in Loop: Header=BB342_9 Depth=1
	v_clz_i32_u32_e32 v16, v4
	s_delay_alu instid0(VALU_DEP_1) | instskip(NEXT) | instid1(VALU_DEP_1)
	v_min_u32_e32 v24, 32, v16
	v_subrev_nc_u32_e32 v16, 28, v24
	s_delay_alu instid0(VALU_DEP_1) | instskip(SKIP_1) | instid1(VALU_DEP_2)
	v_lshlrev_b64_e32 v[16:17], v16, v[4:5]
	v_sub_nc_u32_e32 v17, 29, v24
	v_and_b32_e32 v16, 7, v16
; %bb.1014:                             ;   in Loop: Header=BB342_9 Depth=1
	s_or_b32 exec_lo, exec_lo, s20
	s_delay_alu instid0(VALU_DEP_1) | instskip(NEXT) | instid1(VALU_DEP_3)
	v_dual_lshlrev_b32 v4, 16, v99 :: v_dual_lshlrev_b32 v16, 20, v16
	v_lshl_add_u32 v17, v17, 23, 0x3c000000
	s_delay_alu instid0(VALU_DEP_2) | instskip(NEXT) | instid1(VALU_DEP_1)
	v_and_b32_e32 v4, 0x80000000, v4
	v_or3_b32 v24, v16, v4, v17
.LBB342_1015:                           ;   in Loop: Header=BB342_9 Depth=1
	s_or_b32 exec_lo, exec_lo, s19
.LBB342_1016:                           ;   in Loop: Header=BB342_9 Depth=1
	s_delay_alu instid0(SALU_CYCLE_1)
	s_or_b32 exec_lo, exec_lo, s18
.LBB342_1017:                           ;   in Loop: Header=BB342_9 Depth=1
	s_delay_alu instid0(SALU_CYCLE_1) | instskip(SKIP_3) | instid1(VALU_DEP_2)
	s_or_b32 exec_lo, exec_lo, s11
	v_dual_mov_b32 v97, 0 :: v_dual_lshrrev_b32 v100, 16, v99
	v_mov_b32_e32 v98, 0
	s_mov_b32 s11, exec_lo
	v_and_b32_e32 v4, 0xff, v100
	s_delay_alu instid0(VALU_DEP_1)
	v_cmpx_ne_u16_e32 0, v4
	s_cbranch_execz .LBB342_1025
; %bb.1018:                             ;   in Loop: Header=BB342_9 Depth=1
	v_bfrev_b32_e32 v98, 1
	s_mov_b32 s18, exec_lo
	v_cmpx_ne_u16_e32 0x80, v4
	s_cbranch_execz .LBB342_1024
; %bb.1019:                             ;   in Loop: Header=BB342_9 Depth=1
	v_mov_b32_e32 v102, v101
	v_bfe_u32 v101, v99, 16, 7
	v_mov_b32_e32 v98, 0x7f800001
	s_mov_b32 s19, exec_lo
	s_delay_alu instid0(VALU_DEP_2)
	v_cmpx_ne_u32_e32 0x7f, v101
	s_cbranch_execz .LBB342_1023
; %bb.1020:                             ;   in Loop: Header=BB342_9 Depth=1
	v_and_b32_e32 v4, 7, v100
	s_mov_b32 s20, exec_lo
	s_delay_alu instid0(VALU_DEP_1)
	v_mov_b64_e32 v[16:17], v[4:5]
	v_lshrrev_b32_e32 v17, 3, v101
	v_cmpx_gt_u32_e32 8, v101
; %bb.1021:                             ;   in Loop: Header=BB342_9 Depth=1
	v_clz_i32_u32_e32 v16, v4
	s_delay_alu instid0(VALU_DEP_1) | instskip(NEXT) | instid1(VALU_DEP_1)
	v_min_u32_e32 v98, 32, v16
	v_subrev_nc_u32_e32 v16, 28, v98
	s_delay_alu instid0(VALU_DEP_1) | instskip(NEXT) | instid1(VALU_DEP_1)
	v_lshlrev_b64_e32 v[16:17], v16, v[4:5]
	v_dual_sub_nc_u32 v17, 29, v98 :: v_dual_bitop2_b32 v16, 7, v16 bitop3:0x40
; %bb.1022:                             ;   in Loop: Header=BB342_9 Depth=1
	s_or_b32 exec_lo, exec_lo, s20
	v_lshlrev_b32_e32 v4, 24, v100
	s_delay_alu instid0(VALU_DEP_2) | instskip(NEXT) | instid1(VALU_DEP_3)
	v_lshlrev_b32_e32 v16, 20, v16
	v_lshl_add_u32 v17, v17, 23, 0x3c000000
	s_delay_alu instid0(VALU_DEP_3) | instskip(NEXT) | instid1(VALU_DEP_1)
	v_and_b32_e32 v4, 0x80000000, v4
	v_or3_b32 v98, v16, v4, v17
.LBB342_1023:                           ;   in Loop: Header=BB342_9 Depth=1
	s_or_b32 exec_lo, exec_lo, s19
	v_mov_b32_e32 v101, v102
.LBB342_1024:                           ;   in Loop: Header=BB342_9 Depth=1
	s_or_b32 exec_lo, exec_lo, s18
.LBB342_1025:                           ;   in Loop: Header=BB342_9 Depth=1
	s_delay_alu instid0(SALU_CYCLE_1) | instskip(NEXT) | instid1(SALU_CYCLE_1)
	s_or_b32 exec_lo, exec_lo, s11
	s_mov_b32 s11, exec_lo
	v_cmpx_lt_u32_e32 0xffffff, v99
	s_cbranch_execz .LBB342_1033
; %bb.1026:                             ;   in Loop: Header=BB342_9 Depth=1
	v_lshrrev_b32_e32 v100, 24, v99
	v_bfrev_b32_e32 v97, 1
	s_mov_b32 s18, exec_lo
	s_delay_alu instid0(VALU_DEP_2)
	v_cmpx_ne_u32_e32 0x80, v100
	s_cbranch_execz .LBB342_1032
; %bb.1027:                             ;   in Loop: Header=BB342_9 Depth=1
	v_bfe_u32 v99, v99, 24, 7
	v_mov_b32_e32 v97, 0x7f800001
	s_mov_b32 s19, exec_lo
	s_delay_alu instid0(VALU_DEP_2)
	v_cmpx_ne_u32_e32 0x7f, v99
	s_cbranch_execz .LBB342_1031
; %bb.1028:                             ;   in Loop: Header=BB342_9 Depth=1
	v_and_b32_e32 v4, 7, v100
	s_mov_b32 s20, exec_lo
	s_delay_alu instid0(VALU_DEP_1)
	v_mov_b64_e32 v[16:17], v[4:5]
	v_lshrrev_b32_e32 v17, 3, v99
	v_cmpx_gt_u32_e32 8, v99
; %bb.1029:                             ;   in Loop: Header=BB342_9 Depth=1
	v_clz_i32_u32_e32 v16, v4
	s_delay_alu instid0(VALU_DEP_1) | instskip(NEXT) | instid1(VALU_DEP_1)
	v_min_u32_e32 v97, 32, v16
	v_subrev_nc_u32_e32 v16, 28, v97
	s_delay_alu instid0(VALU_DEP_1) | instskip(NEXT) | instid1(VALU_DEP_1)
	v_lshlrev_b64_e32 v[16:17], v16, v[4:5]
	v_dual_sub_nc_u32 v17, 29, v97 :: v_dual_bitop2_b32 v16, 7, v16 bitop3:0x40
; %bb.1030:                             ;   in Loop: Header=BB342_9 Depth=1
	s_or_b32 exec_lo, exec_lo, s20
	v_lshlrev_b32_e32 v4, 24, v100
	s_delay_alu instid0(VALU_DEP_2) | instskip(NEXT) | instid1(VALU_DEP_3)
	v_lshlrev_b32_e32 v16, 20, v16
	v_lshl_add_u32 v17, v17, 23, 0x3c000000
	s_delay_alu instid0(VALU_DEP_3) | instskip(NEXT) | instid1(VALU_DEP_1)
	v_and_b32_e32 v4, 0x80000000, v4
	v_or3_b32 v97, v16, v4, v17
.LBB342_1031:                           ;   in Loop: Header=BB342_9 Depth=1
	s_or_b32 exec_lo, exec_lo, s19
.LBB342_1032:                           ;   in Loop: Header=BB342_9 Depth=1
	s_delay_alu instid0(SALU_CYCLE_1)
	s_or_b32 exec_lo, exec_lo, s18
.LBB342_1033:                           ;   in Loop: Header=BB342_9 Depth=1
	s_delay_alu instid0(SALU_CYCLE_1)
	s_or_b32 exec_lo, exec_lo, s11
	s_clause 0x2
	scratch_load_b32 v4, off, s32 offset:232 th:TH_LOAD_LU
	scratch_load_b32 v17, off, s32 offset:280
	scratch_load_b32 v16, off, s32 offset:224 th:TH_LOAD_LU
	v_fma_mixlo_bf16 v48, v71, v48, 0
	v_fma_mixlo_bf16 v1, v71, v1, 0
	;; [unrolled: 1-line block ×8, first 2 shown]
	s_clause 0x2
	scratch_load_b32 v99, off, s32 offset:284
	scratch_load_b32 v100, off, s32 offset:288
	;; [unrolled: 1-line block ×3, first 2 shown]
	s_wait_loadcnt 0x5
	v_fma_mixlo_bf16 v4, v71, v4, 0
	s_wait_loadcnt 0x3
	v_fma_mixlo_bf16 v16, v71, v16, 0
	s_delay_alu instid0(VALU_DEP_2) | instskip(NEXT) | instid1(VALU_DEP_1)
	v_lshlrev_b32_e32 v4, 16, v4
	v_mul_f32_e32 v4, v17, v4
	scratch_load_b32 v17, off, s32 offset:264 ; 4-byte Folded Reload
	s_wait_loadcnt 0x0
	v_fma_mix_f32_bf16 v4, v17, v16, v4 op_sel_hi:[0,1,0]
	s_clause 0x1
	scratch_load_b32 v16, off, s32 offset:196 th:TH_LOAD_LU
	scratch_load_b32 v17, off, s32 offset:192 th:TH_LOAD_LU
	s_wait_loadcnt 0x1
	v_fma_mixlo_bf16 v16, v71, v16, 0
	s_wait_loadcnt 0x0
	v_fma_mixlo_bf16 v17, v71, v17, 0
	s_delay_alu instid0(VALU_DEP_2) | instskip(NEXT) | instid1(VALU_DEP_1)
	v_lshlrev_b32_e32 v16, 16, v16
	v_mul_f32_e32 v16, v99, v16
	scratch_load_b32 v99, off, s32 offset:268 ; 4-byte Folded Reload
	s_wait_loadcnt 0x0
	v_fma_mix_f32_bf16 v16, v99, v17, v16 op_sel_hi:[0,1,0]
	s_clause 0x1
	scratch_load_b32 v17, off, s32 offset:236 th:TH_LOAD_LU
	scratch_load_b32 v99, off, s32 offset:228 th:TH_LOAD_LU
	;; [unrolled: 13-line block ×3, first 2 shown]
	s_wait_loadcnt 0x1
	v_fma_mixlo_bf16 v99, v71, v99, 0
	s_wait_loadcnt 0x0
	v_fma_mixlo_bf16 v100, v71, v100, 0
	s_delay_alu instid0(VALU_DEP_2) | instskip(NEXT) | instid1(VALU_DEP_1)
	v_lshlrev_b32_e32 v99, 16, v99
	v_mul_f32_e32 v99, v102, v99
	scratch_load_b32 v102, off, s32 offset:276 ; 4-byte Folded Reload
	s_wait_loadcnt 0x0
	v_fma_mix_f32_bf16 v99, v102, v100, v99 op_sel_hi:[0,1,0]
	s_clause 0x1
	scratch_load_b32 v100, off, s32 offset:240 th:TH_LOAD_LU
	scratch_load_b32 v102, off, s32 offset:296
	s_wait_loadcnt 0x1
	v_fma_mixlo_bf16 v100, v71, v100, 0
	s_wait_loadcnt 0x0
	s_delay_alu instid0(VALU_DEP_1)
	v_fma_mix_f32_bf16 v4, v102, v100, v4 op_sel_hi:[0,1,0]
	s_clause 0x1
	scratch_load_b32 v100, off, s32 offset:200 th:TH_LOAD_LU
	scratch_load_b32 v102, off, s32 offset:300
	s_wait_loadcnt 0x1
	v_fma_mixlo_bf16 v100, v71, v100, 0
	s_wait_loadcnt 0x0
	s_delay_alu instid0(VALU_DEP_1)
	;; [unrolled: 8-line block ×5, first 2 shown]
	v_fma_mix_f32_bf16 v4, v102, v100, v4 op_sel_hi:[0,1,0]
	s_clause 0x1
	scratch_load_b32 v100, off, s32 offset:204 th:TH_LOAD_LU
	scratch_load_b32 v102, off, s32 offset:316
	s_wait_loadcnt 0x1
	v_fma_mixlo_bf16 v100, v71, v100, 0
	s_wait_loadcnt 0x0
	s_delay_alu instid0(VALU_DEP_1) | instskip(SKIP_3) | instid1(VALU_DEP_1)
	v_fma_mix_f32_bf16 v16, v102, v100, v16 op_sel_hi:[0,1,0]
	scratch_load_b32 v102, off, s32 offset:320 ; 4-byte Folded Reload
	v_fma_mixlo_bf16 v100, v71, v103, 0
	s_wait_loadcnt 0x0
	v_fma_mix_f32_bf16 v17, v102, v100, v17 op_sel_hi:[0,1,0]
	s_clause 0x1
	scratch_load_b32 v100, off, s32 offset:220 th:TH_LOAD_LU
	scratch_load_b32 v102, off, s32 offset:324
	s_wait_loadcnt 0x1
	v_fma_mixlo_bf16 v100, v71, v100, 0
	s_wait_loadcnt 0x0
	s_delay_alu instid0(VALU_DEP_1) | instskip(SKIP_3) | instid1(VALU_DEP_1)
	v_fma_mix_f32_bf16 v99, v102, v100, v99 op_sel_hi:[0,1,0]
	scratch_load_b32 v102, off, s32 offset:328 ; 4-byte Folded Reload
	v_fma_mixlo_bf16 v100, v71, v113, 0
	s_wait_loadcnt 0x0
	v_fma_mix_f32_bf16 v4, v102, v100, v4 op_sel_hi:[0,1,0]
	scratch_load_b32 v102, off, s32 offset:332 ; 4-byte Folded Reload
	v_fma_mixlo_bf16 v100, v71, v112, 0
	s_wait_loadcnt 0x0
	s_delay_alu instid0(VALU_DEP_1) | instskip(SKIP_3) | instid1(VALU_DEP_1)
	v_fma_mix_f32_bf16 v16, v102, v100, v16 op_sel_hi:[0,1,0]
	scratch_load_b32 v102, off, s32 offset:336 ; 4-byte Folded Reload
	v_fma_mixlo_bf16 v100, v71, v115, 0
	s_wait_loadcnt 0x0
	v_fma_mix_f32_bf16 v17, v102, v100, v17 op_sel_hi:[0,1,0]
	scratch_load_b32 v102, off, s32 offset:340 ; 4-byte Folded Reload
	;; [unrolled: 9-line block ×27, first 2 shown]
	v_fma_mixlo_bf16 v100, v71, v125, 0
	s_wait_loadcnt 0x0
	s_delay_alu instid0(VALU_DEP_1)
	v_fma_mix_f32_bf16 v16, v102, v100, v16 op_sel_hi:[0,1,0]
	scratch_load_b32 v100, off, s32 offset:580 ; 4-byte Folded Reload
	s_wait_loadcnt 0x0
	v_fma_mix_f32_bf16 v17, v100, v48, v17 op_sel_hi:[0,1,0]
	scratch_load_b32 v100, off, s32 offset:584 ; 4-byte Folded Reload
	v_fma_mixlo_bf16 v48, v71, v127, 0
	s_wait_loadcnt 0x0
	s_delay_alu instid0(VALU_DEP_1)
	v_fma_mix_f32_bf16 v48, v100, v48, v99 op_sel_hi:[0,1,0]
	scratch_load_b32 v99, off, s32 offset:588 ; 4-byte Folded Reload
	s_wait_loadcnt 0x0
	v_fma_mix_f32_bf16 v1, v99, v1, v4 op_sel_hi:[0,1,0]
	v_fma_mixlo_bf16 v4, v71, v51, 0
	scratch_load_b32 v51, off, s32 offset:592 ; 4-byte Folded Reload
	s_wait_loadcnt 0x0
	v_fma_mix_f32_bf16 v4, v51, v4, v16 op_sel_hi:[0,1,0]
	v_fma_mixlo_bf16 v16, v71, v50, 0
	scratch_load_b32 v50, off, s32 offset:596 ; 4-byte Folded Reload
	s_wait_loadcnt 0x0
	v_fma_mix_f32_bf16 v16, v50, v16, v17 op_sel_hi:[0,1,0]
	scratch_load_b32 v17, off, s32 offset:600 ; 4-byte Folded Reload
	s_wait_loadcnt 0x0
	v_fma_mix_f32_bf16 v0, v17, v0, v48 op_sel_hi:[0,1,0]
	v_fma_mixlo_bf16 v17, v71, v32, 0
	scratch_load_b32 v32, off, s32 offset:604 ; 4-byte Folded Reload
	s_wait_loadcnt 0x0
	v_fma_mix_f32_bf16 v1, v32, v17, v1 op_sel_hi:[0,1,0]
	scratch_load_b32 v17, off, s32 offset:608 ; 4-byte Folded Reload
	s_wait_loadcnt 0x0
	v_fma_mix_f32_bf16 v4, v17, v8, v4 op_sel_hi:[0,1,0]
	;; [unrolled: 3-line block ×4, first 2 shown]
	s_clause 0x1
	scratch_load_b32 v7, off, s32 offset:620
	scratch_load_b32 v8, off, s32 offset:792
	s_wait_loadcnt 0x1
	v_fma_mix_f32_bf16 v1, v7, v3, v1 op_sel_hi:[0,1,0]
	scratch_load_b32 v3, off, s32 offset:624 ; 4-byte Folded Reload
	v_fma_mixlo_bf16 v7, v71, v97, 0
	s_wait_loadcnt 0x0
	v_fma_mix_f32_bf16 v2, v3, v2, v4 op_sel_hi:[0,1,0]
	scratch_load_b32 v4, off, s32 offset:628 ; 4-byte Folded Reload
	v_fma_mixlo_bf16 v3, v71, v11, 0
	s_wait_loadcnt 0x0
	s_delay_alu instid0(VALU_DEP_1) | instskip(SKIP_3) | instid1(VALU_DEP_1)
	v_fma_mix_f32_bf16 v3, v4, v3, v6 op_sel_hi:[0,1,0]
	scratch_load_b32 v6, off, s32 offset:632 ; 4-byte Folded Reload
	v_fma_mixlo_bf16 v4, v71, v10, 0
	s_wait_loadcnt 0x0
	v_fma_mix_f32_bf16 v0, v6, v4, v0 op_sel_hi:[0,1,0]
	scratch_load_b32 v6, off, s32 offset:636 ; 4-byte Folded Reload
	v_fma_mixlo_bf16 v4, v71, v34, 0
	s_wait_loadcnt 0x0
	s_delay_alu instid0(VALU_DEP_1) | instskip(SKIP_3) | instid1(VALU_DEP_1)
	;; [unrolled: 9-line block ×21, first 2 shown]
	v_fma_mix_f32_bf16 v3, v6, v4, v3 op_sel_hi:[0,1,0]
	scratch_load_b32 v6, off, s32 offset:796 ; 4-byte Folded Reload
	v_fma_mixlo_bf16 v4, v71, v25, 0
	s_wait_loadcnt 0x0
	v_fma_mix_f32_bf16 v1, v6, v4, v1 op_sel_hi:[0,1,0]
	scratch_load_b32 v6, off, s32 offset:800 ; 4-byte Folded Reload
	v_fma_mixlo_bf16 v4, v71, v24, 0
	s_wait_loadcnt 0x0
	s_delay_alu instid0(VALU_DEP_1) | instskip(SKIP_2) | instid1(VALU_DEP_3)
	v_fma_mix_f32_bf16 v2, v6, v4, v2 op_sel_hi:[0,1,0]
	v_fma_mixlo_bf16 v4, v71, v87, 0
	v_fma_mixlo_bf16 v6, v71, v98, 0
	v_add_f32_e32 v1, v1, v2
	s_delay_alu instid0(VALU_DEP_3)
	v_fma_mix_f32_bf16 v0, v8, v4, v0 op_sel_hi:[0,1,0]
	s_clause 0x1
	scratch_load_b32 v4, off, s32 offset:804
	scratch_load_b32 v2, off, s32 offset:808
	s_wait_loadcnt 0x1
	v_fma_mix_f32_bf16 v3, v4, v6, v3 op_sel_hi:[0,1,0]
	s_wait_loadcnt 0x0
	v_fma_mix_f32_bf16 v0, v2, v7, v0 op_sel_hi:[0,1,0]
	s_delay_alu instid0(VALU_DEP_2) | instskip(NEXT) | instid1(VALU_DEP_1)
	v_add_f32_e32 v1, v1, v3
	v_add_f32_e32 v0, v0, v1
	scratch_load_b32 v1, off, s32 offset:820 ; 4-byte Folded Reload
	s_wait_loadcnt 0x0
	ds_bpermute_b32 v1, v1, v0
	s_wait_xcnt 0x0
	s_and_saveexec_b32 s11, vcc_lo
	s_cbranch_execz .LBB342_8
; %bb.1034:                             ;   in Loop: Header=BB342_9 Depth=1
	scratch_load_b32 v3, off, s32 offset:828 ; 4-byte Folded Reload
	s_wait_dscnt 0x0
	v_dual_sub_nc_u32 v2, 1, v52 :: v_dual_add_f32 v0, v0, v1
	s_load_b32 s18, s[4:5], 0x0
	v_cmp_lt_i32_e64 s3, v68, v52
	s_delay_alu instid0(VALU_DEP_2) | instskip(NEXT) | instid1(VALU_DEP_1)
	v_add_nc_u32_e32 v2, v2, v68
	v_cvt_f32_i32_e32 v2, v2
	s_wait_loadcnt 0x0
	s_delay_alu instid0(VALU_DEP_1)
	v_mul_f32_e32 v2, v3, v2
	scratch_load_b32 v3, off, s32 offset:260 ; 4-byte Folded Reload
	v_cndmask_b32_e64 v1, 0, v2, s2
	scratch_load_b32 v2, off, s32 offset:832 ; 4-byte Folded Reload
	s_wait_loadcnt 0x0
	v_dual_fmac_f32 v1, v2, v0 :: v_dual_max_num_f32 v0, v3, v3
	s_wait_kmcnt 0x0
	v_add_nc_u32_e32 v2, s18, v69
	s_delay_alu instid0(VALU_DEP_2) | instskip(NEXT) | instid1(VALU_DEP_1)
	v_max_num_f32_e32 v0, v0, v1
	v_dual_cndmask_b32 v3, v3, v0, s3 :: v_dual_cndmask_b32 v1, 0, v1, s3
	scratch_store_b32 off, v3, s32 offset:260 ; 4-byte Folded Spill
	ds_store_b32 v2, v1
	s_branch .LBB342_8
.LBB342_1035:
	s_or_b32 exec_lo, exec_lo, s17
	s_clause 0x8
	scratch_load_b64 v[34:35], off, s32 offset:856
	scratch_load_b64 v[36:37], off, s32 offset:864
	;; [unrolled: 1-line block ×6, first 2 shown]
	scratch_load_b32 v49, off, s32 offset:904
	scratch_load_b32 v27, off, s32 offset:908
	;; [unrolled: 1-line block ×3, first 2 shown]
	v_dual_mov_b32 v0, v5 :: v_dual_mov_b32 v10, 32
.LBB342_1036:
	s_wait_xcnt 0x0
	s_or_b32 exec_lo, exec_lo, s16
	s_wait_loadcnt_dscnt 0x0
	v_dual_max_num_f32 v4, v6, v6 :: v_dual_bitop2_b32 v1, 16, v27 bitop3:0x14
	v_xor_b32_e32 v3, 8, v27
	v_xor_b32_e32 v5, 4, v27
	s_delay_alu instid0(VALU_DEP_3) | instskip(SKIP_1) | instid1(VALU_DEP_4)
	v_cmp_lt_i32_e32 vcc_lo, v1, v10
	v_cndmask_b32_e32 v1, v27, v1, vcc_lo
	v_cmp_lt_i32_e32 vcc_lo, v3, v10
	s_delay_alu instid0(VALU_DEP_2) | instskip(SKIP_4) | instid1(VALU_DEP_1)
	v_dual_cndmask_b32 v3, v27, v3 :: v_dual_lshlrev_b32 v2, 2, v1
	v_cmp_lt_i32_e32 vcc_lo, v5, v10
	ds_bpermute_b32 v1, v2, v6
	s_wait_dscnt 0x0
	v_dual_lshlrev_b32 v3, 2, v3 :: v_dual_max_num_f32 v1, v1, v1
	v_max_num_f32_e32 v1, v4, v1
	ds_bpermute_b32 v4, v3, v1
	s_wait_dscnt 0x0
	v_dual_cndmask_b32 v5, v27, v5 :: v_dual_max_num_f32 v6, v4, v4
	s_delay_alu instid0(VALU_DEP_1) | instskip(SKIP_3) | instid1(VALU_DEP_1)
	v_dual_max_num_f32 v1, v1, v6 :: v_dual_lshlrev_b32 v4, 2, v5
	ds_bpermute_b32 v5, v4, v1
	s_wait_dscnt 0x0
	v_dual_max_num_f32 v5, v5, v5 :: v_dual_bitop2_b32 v6, 2, v27 bitop3:0x14
	v_cmp_lt_i32_e32 vcc_lo, v6, v10
	s_delay_alu instid0(VALU_DEP_2)
	v_dual_cndmask_b32 v7, v27, v6 :: v_dual_max_num_f32 v6, v1, v5
	scratch_load_b32 v5, off, s32 offset:824 ; 4-byte Folded Reload
	s_wait_loadcnt 0x0
	v_dual_lshlrev_b32 v1, 2, v7 :: v_dual_bitop2_b32 v48, 31, v5 bitop3:0x40
	scratch_load_b32 v5, off, s32 offset:836 ; 4-byte Folded Reload
	ds_bpermute_b32 v7, v1, v6
	v_cmp_eq_u32_e32 vcc_lo, 0, v48
	s_wait_loadcnt 0x0
	v_lshlrev_b32_e32 v5, 2, v5
	s_wait_xcnt 0x0
	s_and_saveexec_b32 s2, vcc_lo
	s_cbranch_execz .LBB342_1038
; %bb.1037:
	s_wait_dscnt 0x0
	v_dual_max_num_f32 v7, v7, v7 :: v_dual_max_num_f32 v6, v6, v6
	s_delay_alu instid0(VALU_DEP_1)
	v_max_num_f32_e32 v6, v6, v7
	ds_store_b32 v5, v6 offset:512
.LBB342_1038:
	s_or_b32 exec_lo, exec_lo, s2
	v_cmp_gt_u32_e64 s2, 4, v48
	s_wait_dscnt 0x0
	v_dual_mov_b32 v7, 0xff7fffff :: v_dual_lshlrev_b32 v6, 2, v48
	s_wait_storecnt 0x0
	s_barrier_signal -1
	s_barrier_wait -1
	s_and_saveexec_b32 s3, s2
; %bb.1039:
	ds_load_b32 v7, v6 offset:512
; %bb.1040:
	s_or_b32 exec_lo, exec_lo, s3
	s_wait_dscnt 0x0
	ds_bpermute_b32 v8, v1, v7
	v_dual_lshlrev_b32 v0, 2, v0 :: v_dual_bitop2_b32 v9, 1, v27 bitop3:0x14
	s_wait_dscnt 0x0
	v_max_num_f32_e32 v8, v8, v8
	s_delay_alu instid0(VALU_DEP_2) | instskip(NEXT) | instid1(VALU_DEP_1)
	v_cmp_lt_i32_e64 s3, v9, v10
	v_cndmask_b32_e64 v9, v27, v9, s3
	s_delay_alu instid0(VALU_DEP_1) | instskip(NEXT) | instid1(VALU_DEP_1)
	v_dual_max_num_f32 v7, v7, v7 :: v_dual_lshlrev_b32 v33, 2, v9
	v_max_num_f32_e32 v7, v7, v8
	ds_bpermute_b32 v8, v33, v7
	s_wait_dscnt 0x0
	v_max_num_f32_e32 v8, v8, v8
	s_delay_alu instid0(VALU_DEP_1) | instskip(SKIP_3) | instid1(VALU_DEP_1)
	v_max_num_f32_e32 v7, v7, v8
	scratch_load_b32 v8, off, s32 offset:824 ; 4-byte Folded Reload
	ds_bpermute_b32 v7, v0, v7
	v_lshlrev_b32_e32 v0, 4, v101
	v_min_i32_e32 v0, v0, v52
	s_wait_loadcnt 0x0
	s_delay_alu instid0(VALU_DEP_1)
	v_cmp_lt_i32_e64 s3, v8, v0
	v_mov_b32_e32 v8, 0
	s_and_saveexec_b32 s5, s3
	s_cbranch_execz .LBB342_1044
; %bb.1041:
	scratch_load_b32 v10, off, s32 offset:824 ; 4-byte Folded Reload
	s_ashr_i32 s11, s10, 31
	v_mov_b32_e32 v8, 0
	s_lshl_b64 s[16:17], s[10:11], 2
	s_mov_b32 s11, 0
	s_add_nc_u64 s[16:17], s[8:9], s[16:17]
	s_load_b32 s4, s[16:17], 0x0
	s_wait_loadcnt 0x0
	s_wait_kmcnt 0x0
	v_lshl_add_u32 v9, v10, 2, s4
.LBB342_1042:                           ; =>This Inner Loop Header: Depth=1
	ds_load_b32 v11, v9
	v_add_nc_u32_e32 v10, 0x80, v10
	s_delay_alu instid0(VALU_DEP_1) | instskip(SKIP_3) | instid1(VALU_DEP_1)
	v_cmp_ge_i32_e64 s4, v10, v0
	s_or_b32 s11, s4, s11
	s_wait_dscnt 0x0
	v_sub_f32_e32 v11, v11, v7
	v_mul_f32_e32 v11, 0x3fb8aa3b, v11
	s_delay_alu instid0(VALU_DEP_1)
	v_exp_f32_e32 v11, v11
	ds_store_b32 v9, v11
	v_nop
	v_dual_add_f32 v8, v8, v11 :: v_dual_add_nc_u32 v9, 0x200, v9
	s_and_not1_b32 exec_lo, exec_lo, s11
	s_cbranch_execnz .LBB342_1042
; %bb.1043:
	s_or_b32 exec_lo, exec_lo, s11
.LBB342_1044:
	s_delay_alu instid0(SALU_CYCLE_1)
	s_or_b32 exec_lo, exec_lo, s5
	ds_bpermute_b32 v2, v2, v8
	s_wait_dscnt 0x0
	v_add_f32_e32 v2, v8, v2
	ds_bpermute_b32 v3, v3, v2
	s_wait_dscnt 0x0
	v_add_f32_e32 v2, v2, v3
	;; [unrolled: 3-line block ×5, first 2 shown]
	s_and_saveexec_b32 s4, vcc_lo
; %bb.1045:
	ds_store_b32 v5, v2 offset:528
; %bb.1046:
	s_or_b32 exec_lo, exec_lo, s4
	s_wait_dscnt 0x0
	s_barrier_signal -1
	s_barrier_wait -1
	s_and_saveexec_b32 s4, s2
; %bb.1047:
	ds_load_b32 v2, v6 offset:528
; %bb.1048:
	s_or_b32 exec_lo, exec_lo, s4
	s_wait_dscnt 0x0
	ds_bpermute_b32 v1, v1, v2
	s_wait_dscnt 0x0
	v_dual_lshlrev_b32 v3, 2, v27 :: v_dual_add_f32 v1, v2, v1
	ds_bpermute_b32 v2, v33, v1
	s_wait_dscnt 0x0
	v_add_f32_e32 v1, v1, v2
	v_and_b32_e32 v2, 0xffffff80, v3
	ds_bpermute_b32 v1, v2, v1
	s_and_saveexec_b32 s2, s3
	s_cbranch_execz .LBB342_1061
; %bb.1049:
	s_wait_dscnt 0x0
	v_add_f32_e32 v1, 0x358637bd, v1
	s_mov_b32 s4, -1
	s_mov_b32 s3, exec_lo
	s_delay_alu instid0(VALU_DEP_1) | instskip(SKIP_1) | instid1(VALU_DEP_2)
	v_div_scale_f32 v2, null, v1, v1, 1.0
	v_div_scale_f32 v5, vcc_lo, 1.0, v1, 1.0
	v_rcp_f32_e32 v3, v2
	v_nop
	s_delay_alu instid0(TRANS32_DEP_1) | instskip(NEXT) | instid1(VALU_DEP_1)
	v_fma_f32 v4, -v2, v3, 1.0
	v_fmac_f32_e32 v3, v4, v3
	s_delay_alu instid0(VALU_DEP_1) | instskip(NEXT) | instid1(VALU_DEP_1)
	v_mul_f32_e32 v4, v5, v3
	v_fma_f32 v6, -v2, v4, v5
	s_delay_alu instid0(VALU_DEP_1) | instskip(SKIP_2) | instid1(VALU_DEP_1)
	v_fmac_f32_e32 v4, v6, v3
	scratch_load_b32 v6, off, s32 offset:824 ; 4-byte Folded Reload
	v_fma_f32 v5, -v2, v4, v5
	v_div_fmas_f32 v3, v5, v3, v4
	s_delay_alu instid0(VALU_DEP_1) | instskip(SKIP_3) | instid1(VALU_DEP_2)
	v_div_fixup_f32 v4, v3, v1, 1.0
	s_wait_loadcnt 0x0
	v_xad_u32 v2, v6, -1, v0
	v_mov_b32_e32 v1, v6
	v_cmpx_lt_u32_e32 0x7f, v2
	s_cbranch_execz .LBB342_1058
; %bb.1050:
	v_dual_lshrrev_b32 v1, 7, v2 :: v_dual_mov_b32 v5, v4
	s_delay_alu instid0(VALU_DEP_1) | instskip(NEXT) | instid1(VALU_DEP_1)
	v_dual_mov_b32 v7, 0 :: v_dual_add_nc_u32 v2, -1, v1
	v_lshrrev_b32_e32 v3, 1, v2
	v_cmp_lt_u32_e32 vcc_lo, 13, v2
	s_delay_alu instid0(VALU_DEP_2)
	v_add_nc_u32_e32 v2, 1, v3
	s_and_saveexec_b32 s4, vcc_lo
	s_cbranch_execz .LBB342_1054
; %bb.1051:
	scratch_load_b32 v6, off, s32 offset:824 ; 4-byte Folded Reload
	s_ashr_i32 s11, s10, 31
	v_and_b32_e32 v3, -8, v2
	s_lshl_b64 s[16:17], s[10:11], 2
	s_mov_b32 s11, 0
	s_add_nc_u64 s[16:17], s[8:9], s[16:17]
	s_load_b32 s5, s[16:17], 0x0
	s_wait_loadcnt 0x0
	s_wait_kmcnt 0x0
	v_lshl_add_u32 v6, v6, 2, s5
	s_mov_b32 s5, 0
.LBB342_1052:                           ; =>This Inner Loop Header: Depth=1
	ds_load_2addr_stride64_b32 v[8:9], v6 offset1:2
	ds_load_2addr_stride64_b32 v[10:11], v6 offset0:4 offset1:6
	ds_load_2addr_stride64_b32 v[12:13], v6 offset0:8 offset1:10
	;; [unrolled: 1-line block ×7, first 2 shown]
	s_add_co_i32 s11, s11, 16
	s_delay_alu instid0(SALU_CYCLE_1) | instskip(NEXT) | instid1(VALU_DEP_1)
	v_dual_add_nc_u32 v3, -8, v3 :: v_dual_mov_b32 v7, s11
	v_cmp_eq_u32_e32 vcc_lo, 0, v3
	s_or_b32 s5, vcc_lo, s5
	s_wait_dscnt 0x7
	v_pk_mul_f32 v[8:9], v[4:5], v[8:9]
	s_wait_dscnt 0x6
	v_pk_mul_f32 v[10:11], v[4:5], v[10:11]
	;; [unrolled: 2-line block ×8, first 2 shown]
	ds_store_2addr_stride64_b32 v6, v8, v9 offset1:2
	ds_store_2addr_stride64_b32 v6, v10, v11 offset0:4 offset1:6
	ds_store_2addr_stride64_b32 v6, v12, v13 offset0:8 offset1:10
	;; [unrolled: 1-line block ×7, first 2 shown]
	v_add_nc_u32_e32 v6, 0x2000, v6
	s_and_not1_b32 exec_lo, exec_lo, s5
	s_cbranch_execnz .LBB342_1052
; %bb.1053:
	s_or_b32 exec_lo, exec_lo, s5
.LBB342_1054:
	s_delay_alu instid0(SALU_CYCLE_1) | instskip(NEXT) | instid1(VALU_DEP_1)
	s_or_b32 exec_lo, exec_lo, s4
	v_and_b32_e32 v2, 7, v2
	s_mov_b32 s5, 0
	s_mov_b32 s4, exec_lo
	s_delay_alu instid0(VALU_DEP_1)
	v_cmpx_ne_u32_e32 0, v2
	s_cbranch_execz .LBB342_1057
; %bb.1055:
	scratch_load_b32 v6, off, s32 offset:824 ; 4-byte Folded Reload
	s_ashr_i32 s11, s10, 31
	v_lshlrev_b32_e32 v3, 9, v7
	s_lshl_b64 s[16:17], s[10:11], 2
	s_delay_alu instid0(SALU_CYCLE_1) | instskip(SKIP_4) | instid1(VALU_DEP_1)
	s_add_nc_u64 s[16:17], s[8:9], s[16:17]
	s_load_b32 s11, s[16:17], 0x0
	s_wait_loadcnt 0x0
	v_lshlrev_b32_e32 v6, 2, v6
	s_wait_kmcnt 0x0
	v_add3_u32 v3, v3, v6, s11
.LBB342_1056:                           ; =>This Inner Loop Header: Depth=1
	ds_load_2addr_stride64_b32 v[6:7], v3 offset1:2
	v_add_nc_u32_e32 v2, -1, v2
	s_delay_alu instid0(VALU_DEP_1)
	v_cmp_eq_u32_e32 vcc_lo, 0, v2
	s_or_b32 s5, vcc_lo, s5
	s_wait_dscnt 0x0
	v_pk_mul_f32 v[6:7], v[4:5], v[6:7]
	ds_store_2addr_stride64_b32 v3, v6, v7 offset1:2
	v_add_nc_u32_e32 v3, 0x400, v3
	s_and_not1_b32 exec_lo, exec_lo, s5
	s_cbranch_execnz .LBB342_1056
.LBB342_1057:
	s_or_b32 exec_lo, exec_lo, s4
	v_add_nc_u32_e32 v1, 1, v1
	s_delay_alu instid0(VALU_DEP_1) | instskip(NEXT) | instid1(VALU_DEP_1)
	v_and_b32_e32 v2, 0x3fffffe, v1
	v_cmp_ne_u32_e32 vcc_lo, v1, v2
	scratch_load_b32 v1, off, s32 offset:824 ; 4-byte Folded Reload
	s_or_not1_b32 s4, vcc_lo, exec_lo
	s_wait_loadcnt 0x0
	v_lshl_add_u32 v1, v2, 7, v1
.LBB342_1058:
	s_or_b32 exec_lo, exec_lo, s3
	s_delay_alu instid0(SALU_CYCLE_1)
	s_and_b32 exec_lo, exec_lo, s4
	s_cbranch_execz .LBB342_1061
; %bb.1059:
	s_ashr_i32 s11, s10, 31
	s_delay_alu instid0(SALU_CYCLE_1) | instskip(NEXT) | instid1(SALU_CYCLE_1)
	s_lshl_b64 s[4:5], s[10:11], 2
	s_add_nc_u64 s[4:5], s[8:9], s[4:5]
	s_load_b32 s3, s[4:5], 0x0
	s_wait_kmcnt 0x0
	v_lshl_add_u32 v2, v1, 2, s3
	s_mov_b32 s3, 0
.LBB342_1060:                           ; =>This Inner Loop Header: Depth=1
	ds_load_b32 v3, v2
	v_add_nc_u32_e32 v1, 0x80, v1
	s_delay_alu instid0(VALU_DEP_1)
	v_cmp_ge_i32_e32 vcc_lo, v1, v0
	s_or_b32 s3, vcc_lo, s3
	s_wait_dscnt 0x0
	v_mul_f32_e32 v3, v4, v3
	ds_store_b32 v2, v3
	v_add_nc_u32_e32 v2, 0x200, v2
	s_and_not1_b32 exec_lo, exec_lo, s3
	s_cbranch_execnz .LBB342_1060
.LBB342_1061:
	s_or_b32 exec_lo, exec_lo, s2
	s_wait_dscnt 0x0
	s_barrier_signal -1
	s_barrier_wait -1
	s_and_saveexec_b32 s2, s1
	s_delay_alu instid0(SALU_CYCLE_1)
	s_xor_b32 s1, exec_lo, s2
	s_cbranch_execz .LBB342_1063
; %bb.1062:
	s_ashr_i32 s11, s10, 31
                                        ; implicit-def: $vgpr52
                                        ; implicit-def: $vgpr101
                                        ; implicit-def: $vgpr0
	scratch_store_b64 off, v[0:1], s32 offset:348 ; 8-byte Folded Spill
                                        ; implicit-def: $vgpr38_vgpr39
                                        ; implicit-def: $vgpr22_vgpr23
                                        ; implicit-def: $vgpr34_vgpr35
                                        ; implicit-def: $vgpr36_vgpr37
                                        ; implicit-def: $vgpr50
                                        ; implicit-def: $vgpr49
                                        ; implicit-def: $vgpr32
.LBB342_1063:
	s_wait_xcnt 0x0
	s_or_saveexec_b32 s4, s1
	v_mov_b32_e32 v13, 0
	v_mov_b64_e32 v[4:5], s[10:11]
	s_delay_alu instid0(VALU_DEP_2)
	v_dual_mov_b32 v12, v13 :: v_dual_mov_b32 v15, v13
	v_dual_mov_b32 v14, v13 :: v_dual_mov_b32 v17, v13
	;; [unrolled: 1-line block ×7, first 2 shown]
	v_mov_b32_e32 v30, v13
	s_xor_b32 exec_lo, exec_lo, s4
	s_cbranch_execz .LBB342_2123
; %bb.1064:
	s_clause 0x3
	scratch_store_b32 off, v33, s32 offset:404
	scratch_store_b32 off, v48, s32 offset:400
	scratch_load_b32 v0, off, s32 offset:824
	scratch_load_b32 v66, off, s32 offset:836
	flat_load_b32 v55, v[22:23]
	s_ashr_i32 s11, s10, 31
	s_wait_xcnt 0x0
	v_mov_b32_e32 v23, 0
	s_lshl_b64 s[2:3], s[10:11], 2
	v_add_nc_u64_e32 v[2:3], v[36:37], v[50:51]
	s_add_nc_u64 s[2:3], s[8:9], s[2:3]
	v_dual_mov_b32 v13, 0 :: v_dual_mov_b32 v12, 0
	s_load_b32 s1, s[2:3], 0x0
	v_dual_mov_b32 v15, 0 :: v_dual_mov_b32 v14, 0
	v_dual_mov_b32 v17, 0 :: v_dual_mov_b32 v16, 0
	;; [unrolled: 1-line block ×7, first 2 shown]
	s_wait_xcnt 0x0
	s_mov_b64 s[2:3], 0xffffffffffffff
	s_mov_b32 s5, 0
	scratch_store_b32 off, v101, s32 offset:388 ; 4-byte Folded Spill
	s_wait_loadcnt 0x2
	v_and_b32_e32 v4, 1, v0
	v_dual_mov_b32 v1, v23 :: v_dual_bitop2_b32 v6, 8, v32 bitop3:0x40
	v_and_b32_e32 v0, 0x7c, v49
	s_delay_alu instid0(VALU_DEP_3) | instskip(SKIP_1) | instid1(VALU_DEP_3)
	v_dual_mov_b32 v5, v23 :: v_dual_lshlrev_b32 v7, 5, v4
	v_and_b32_e32 v4, 0xf8, v32
	v_lshl_add_u64 v[0:1], v[38:39], 2, v[0:1]
	s_wait_loadcnt 0x1
	s_delay_alu instid0(VALU_DEP_3)
	v_lshl_or_b32 v7, v66, 6, v7
	v_lshlrev_b32_e32 v8, 4, v66
	v_add_nc_u64_e32 v[2:3], v[2:3], v[4:5]
	v_add_nc_u64_e32 v[10:11], v[34:35], v[0:1]
	s_wait_kmcnt 0x0
	v_add_nc_u32_e32 v65, s1, v7
	v_or3_b32 v64, v8, v6, 7
	scratch_store_b64 off, v[2:3], s32 offset:392 ; 8-byte Folded Spill
	s_branch .LBB342_1066
.LBB342_1065:                           ;   in Loop: Header=BB342_1066 Depth=1
	s_or_b32 exec_lo, exec_lo, s1
	scratch_load_b128 v[44:47], off, s32 offset:372 th:TH_LOAD_LU ; 16-byte Folded Reload
	v_perm_b32 v103, v41, v42, 0x5040100
	v_perm_b32 v112, v119, v40, 0x5040100
	;; [unrolled: 1-line block ×9, first 2 shown]
	v_add_nc_u64_e32 v[10:11], 16, v[10:11]
	v_dual_add_nc_u32 v66, 4, v66 :: v_dual_add_nc_u32 v64, 64, v64
	v_add_nc_u32_e32 v65, 0x100, v65
	s_wait_loadcnt 0x0
	v_cvt_pk_bf16_f32 v102, v44, v45
	v_cvt_pk_bf16_f32 v101, v46, v47
	scratch_load_b128 v[44:47], off, s32 offset:356 th:TH_LOAD_LU ; 16-byte Folded Reload
	v_pk_mul_bf16 v103, v102, v103
	v_pk_mul_bf16 v112, v101, v112
	;; [unrolled: 1-line block ×4, first 2 shown]
	s_delay_alu instid0(VALU_DEP_4) | instskip(SKIP_1) | instid1(VALU_DEP_4)
	v_lshlrev_b32_e32 v115, 16, v103
	v_and_b32_e32 v103, 0xffff0000, v103
	v_lshlrev_b32_e32 v18, 16, v51
	v_and_b32_e32 v48, 0xffff0000, v51
	s_delay_alu instid0(VALU_DEP_3) | instskip(SKIP_1) | instid1(VALU_DEP_3)
	v_dual_add_f32 v103, v115, v103 :: v_dual_lshlrev_b32 v115, 16, v112
	v_and_b32_e32 v112, 0xffff0000, v112
	v_dual_add_f32 v18, v18, v48 :: v_dual_lshlrev_b32 v48, 16, v49
	v_and_b32_e32 v49, 0xffff0000, v49
	s_delay_alu instid0(VALU_DEP_1) | instskip(NEXT) | instid1(VALU_DEP_1)
	v_dual_add_f32 v112, v115, v112 :: v_dual_add_f32 v48, v48, v49
	v_add_f32_e32 v103, v103, v112
	s_delay_alu instid0(VALU_DEP_2) | instskip(SKIP_3) | instid1(VALU_DEP_2)
	v_add_f32_e32 v18, v18, v48
	s_wait_loadcnt 0x0
	v_cvt_pk_bf16_f32 v100, v44, v45
	v_cvt_pk_bf16_f32 v39, v46, v47
	v_pk_mul_bf16 v113, v100, v113
	s_delay_alu instid0(VALU_DEP_2)
	v_pk_mul_bf16 v114, v39, v114
	v_pk_mul_bf16 v0, v100, v0
	;; [unrolled: 1-line block ×4, first 2 shown]
	v_lshlrev_b32_e32 v112, 16, v113
	v_and_b32_e32 v113, 0xffff0000, v113
	v_lshlrev_b32_e32 v48, 16, v0
	v_and_b32_e32 v0, 0xffff0000, v0
	s_delay_alu instid0(VALU_DEP_3) | instskip(SKIP_1) | instid1(VALU_DEP_3)
	v_add_f32_e32 v112, v112, v113
	v_and_b32_e32 v113, 0xffff0000, v114
	v_add_f32_e32 v0, v48, v0
	s_delay_alu instid0(VALU_DEP_3) | instskip(NEXT) | instid1(VALU_DEP_2)
	v_dual_add_f32 v103, v103, v112 :: v_dual_lshlrev_b32 v112, 16, v114
	v_dual_add_f32 v0, v18, v0 :: v_dual_lshlrev_b32 v18, 16, v1
	v_and_b32_e32 v1, 0xffff0000, v1
	s_delay_alu instid0(VALU_DEP_3) | instskip(NEXT) | instid1(VALU_DEP_1)
	v_add_f32_e32 v112, v112, v113
	v_dual_add_f32 v1, v18, v1 :: v_dual_add_f32 v103, v103, v112
	s_delay_alu instid0(VALU_DEP_1) | instskip(SKIP_2) | instid1(VALU_DEP_3)
	v_add_f32_e32 v0, v0, v1
	v_perm_b32 v1, v4, v5, 0x5040100
	v_perm_b32 v4, v97, v98, 0x5040100
	v_dual_add_f32 v12, v12, v103 :: v_dual_add_f32 v15, v15, v0
	v_perm_b32 v0, v6, v7, 0x5040100
	s_delay_alu instid0(VALU_DEP_4) | instskip(NEXT) | instid1(VALU_DEP_4)
	v_pk_mul_bf16 v1, v101, v1
	v_pk_mul_bf16 v4, v100, v4
	s_delay_alu instid0(VALU_DEP_3) | instskip(NEXT) | instid1(VALU_DEP_1)
	v_pk_mul_bf16 v0, v102, v0
	v_lshlrev_b32_e32 v3, 16, v0
	v_and_b32_e32 v0, 0xffff0000, v0
	s_delay_alu instid0(VALU_DEP_1) | instskip(SKIP_1) | instid1(VALU_DEP_1)
	v_dual_add_f32 v0, v3, v0 :: v_dual_lshlrev_b32 v3, 16, v1
	v_and_b32_e32 v1, 0xffff0000, v1
	v_add_f32_e32 v1, v3, v1
	v_and_b32_e32 v3, 0xffff0000, v4
	s_delay_alu instid0(VALU_DEP_2) | instskip(NEXT) | instid1(VALU_DEP_1)
	v_dual_add_f32 v0, v0, v1 :: v_dual_lshlrev_b32 v1, 16, v4
	v_add_f32_e32 v1, v1, v3
	v_perm_b32 v3, v85, v83, 0x5040100
	s_delay_alu instid0(VALU_DEP_2) | instskip(SKIP_1) | instid1(VALU_DEP_3)
	v_dual_add_f32 v0, v0, v1 :: v_dual_lshlrev_b32 v1, 16, v2
	v_and_b32_e32 v2, 0xffff0000, v2
	v_pk_mul_bf16 v3, v39, v3
	s_delay_alu instid0(VALU_DEP_2) | instskip(SKIP_1) | instid1(VALU_DEP_2)
	v_add_f32_e32 v1, v1, v2
	v_perm_b32 v2, v81, v82, 0x5040100
	v_add_f32_e32 v0, v0, v1
	v_perm_b32 v1, v84, v86, 0x5040100
	s_delay_alu instid0(VALU_DEP_3) | instskip(NEXT) | instid1(VALU_DEP_3)
	v_pk_mul_bf16 v2, v100, v2
	v_add_f32_e32 v14, v14, v0
	v_perm_b32 v0, v87, v96, 0x5040100
	s_delay_alu instid0(VALU_DEP_4) | instskip(NEXT) | instid1(VALU_DEP_2)
	v_pk_mul_bf16 v1, v101, v1
	v_pk_mul_bf16 v0, v102, v0
	s_delay_alu instid0(VALU_DEP_1) | instskip(SKIP_1) | instid1(VALU_DEP_1)
	v_lshlrev_b32_e32 v4, 16, v0
	v_and_b32_e32 v0, 0xffff0000, v0
	v_dual_add_f32 v0, v4, v0 :: v_dual_lshlrev_b32 v4, 16, v1
	v_and_b32_e32 v1, 0xffff0000, v1
	s_delay_alu instid0(VALU_DEP_1) | instskip(NEXT) | instid1(VALU_DEP_1)
	v_add_f32_e32 v1, v4, v1
	v_dual_add_f32 v0, v0, v1 :: v_dual_lshlrev_b32 v1, 16, v2
	v_and_b32_e32 v2, 0xffff0000, v2
	s_delay_alu instid0(VALU_DEP_1) | instskip(SKIP_1) | instid1(VALU_DEP_2)
	v_add_f32_e32 v1, v1, v2
	v_and_b32_e32 v2, 0xffff0000, v3
	v_dual_add_f32 v0, v0, v1 :: v_dual_lshlrev_b32 v1, 16, v3
	v_perm_b32 v3, v68, v67, 0x5040100
	s_delay_alu instid0(VALU_DEP_2) | instskip(SKIP_1) | instid1(VALU_DEP_3)
	v_add_f32_e32 v1, v1, v2
	v_perm_b32 v2, v19, v53, 0x5040100
	v_pk_mul_bf16 v3, v39, v3
	s_delay_alu instid0(VALU_DEP_3) | instskip(SKIP_1) | instid1(VALU_DEP_4)
	v_add_f32_e32 v0, v0, v1
	v_perm_b32 v1, v69, v70, 0x5040100
	v_pk_mul_bf16 v2, v100, v2
	s_delay_alu instid0(VALU_DEP_3) | instskip(SKIP_1) | instid1(VALU_DEP_4)
	v_add_f32_e32 v17, v17, v0
	v_perm_b32 v0, v71, v80, 0x5040100
	v_pk_mul_bf16 v1, v101, v1
	s_delay_alu instid0(VALU_DEP_2) | instskip(NEXT) | instid1(VALU_DEP_1)
	v_pk_mul_bf16 v0, v102, v0
	v_lshlrev_b32_e32 v4, 16, v0
	v_and_b32_e32 v0, 0xffff0000, v0
	s_delay_alu instid0(VALU_DEP_1) | instskip(SKIP_1) | instid1(VALU_DEP_1)
	v_dual_add_f32 v0, v4, v0 :: v_dual_lshlrev_b32 v4, 16, v1
	v_and_b32_e32 v1, 0xffff0000, v1
	v_add_f32_e32 v1, v4, v1
	s_delay_alu instid0(VALU_DEP_1) | instskip(SKIP_1) | instid1(VALU_DEP_1)
	v_dual_add_f32 v0, v0, v1 :: v_dual_lshlrev_b32 v1, 16, v2
	v_and_b32_e32 v2, 0xffff0000, v2
	v_add_f32_e32 v1, v1, v2
	v_and_b32_e32 v2, 0xffff0000, v3
	s_delay_alu instid0(VALU_DEP_2) | instskip(SKIP_1) | instid1(VALU_DEP_2)
	v_dual_add_f32 v0, v0, v1 :: v_dual_lshlrev_b32 v1, 16, v3
	v_perm_b32 v3, v126, v125, 0x5040100
	v_add_f32_e32 v1, v1, v2
	v_perm_b32 v2, v123, v124, 0x5040100
	s_delay_alu instid0(VALU_DEP_3) | instskip(NEXT) | instid1(VALU_DEP_3)
	v_pk_mul_bf16 v3, v39, v3
	v_add_f32_e32 v0, v0, v1
	v_perm_b32 v1, v127, v54, 0x5040100
	s_delay_alu instid0(VALU_DEP_4) | instskip(NEXT) | instid1(VALU_DEP_3)
	v_pk_mul_bf16 v2, v100, v2
	v_add_f32_e32 v16, v16, v0
	v_perm_b32 v0, v32, v33, 0x5040100
	s_delay_alu instid0(VALU_DEP_4) | instskip(NEXT) | instid1(VALU_DEP_2)
	v_pk_mul_bf16 v1, v101, v1
	v_pk_mul_bf16 v0, v102, v0
	s_delay_alu instid0(VALU_DEP_1) | instskip(SKIP_1) | instid1(VALU_DEP_1)
	v_lshlrev_b32_e32 v4, 16, v0
	v_and_b32_e32 v0, 0xffff0000, v0
	v_dual_add_f32 v0, v4, v0 :: v_dual_lshlrev_b32 v4, 16, v1
	v_and_b32_e32 v1, 0xffff0000, v1
	s_delay_alu instid0(VALU_DEP_1) | instskip(NEXT) | instid1(VALU_DEP_1)
	v_add_f32_e32 v1, v4, v1
	v_dual_add_f32 v0, v0, v1 :: v_dual_lshlrev_b32 v1, 16, v2
	v_and_b32_e32 v2, 0xffff0000, v2
	s_delay_alu instid0(VALU_DEP_1) | instskip(SKIP_1) | instid1(VALU_DEP_2)
	v_add_f32_e32 v1, v1, v2
	v_and_b32_e32 v2, 0xffff0000, v3
	v_dual_add_f32 v0, v0, v1 :: v_dual_lshlrev_b32 v1, 16, v3
	v_perm_b32 v3, v110, v109, 0x5040100
	s_delay_alu instid0(VALU_DEP_2) | instskip(SKIP_1) | instid1(VALU_DEP_3)
	v_add_f32_e32 v1, v1, v2
	v_perm_b32 v2, v107, v108, 0x5040100
	v_pk_mul_bf16 v3, v39, v3
	s_delay_alu instid0(VALU_DEP_3) | instskip(SKIP_1) | instid1(VALU_DEP_4)
	v_add_f32_e32 v0, v0, v1
	v_perm_b32 v1, v111, v120, 0x5040100
	v_pk_mul_bf16 v2, v100, v2
	s_delay_alu instid0(VALU_DEP_3) | instskip(SKIP_1) | instid1(VALU_DEP_4)
	v_add_f32_e32 v21, v21, v0
	v_perm_b32 v0, v121, v122, 0x5040100
	v_pk_mul_bf16 v1, v101, v1
	s_delay_alu instid0(VALU_DEP_2) | instskip(NEXT) | instid1(VALU_DEP_1)
	v_pk_mul_bf16 v0, v102, v0
	v_lshlrev_b32_e32 v4, 16, v0
	v_and_b32_e32 v0, 0xffff0000, v0
	s_delay_alu instid0(VALU_DEP_1) | instskip(SKIP_1) | instid1(VALU_DEP_1)
	v_dual_add_f32 v0, v4, v0 :: v_dual_lshlrev_b32 v4, 16, v1
	v_and_b32_e32 v1, 0xffff0000, v1
	v_add_f32_e32 v1, v4, v1
	s_delay_alu instid0(VALU_DEP_1) | instskip(SKIP_1) | instid1(VALU_DEP_1)
	v_dual_add_f32 v0, v0, v1 :: v_dual_lshlrev_b32 v1, 16, v2
	v_and_b32_e32 v2, 0xffff0000, v2
	v_add_f32_e32 v1, v1, v2
	v_and_b32_e32 v2, 0xffff0000, v3
	s_delay_alu instid0(VALU_DEP_2) | instskip(SKIP_1) | instid1(VALU_DEP_2)
	v_dual_add_f32 v0, v0, v1 :: v_dual_lshlrev_b32 v1, 16, v3
	v_perm_b32 v3, v94, v93, 0x5040100
	v_add_f32_e32 v1, v1, v2
	v_perm_b32 v2, v91, v92, 0x5040100
	s_delay_alu instid0(VALU_DEP_3) | instskip(NEXT) | instid1(VALU_DEP_3)
	v_pk_mul_bf16 v3, v39, v3
	v_add_f32_e32 v0, v0, v1
	v_perm_b32 v1, v95, v104, 0x5040100
	s_delay_alu instid0(VALU_DEP_4) | instskip(NEXT) | instid1(VALU_DEP_3)
	;; [unrolled: 55-line block ×3, first 2 shown]
	v_pk_mul_bf16 v2, v100, v2
	v_add_f32_e32 v24, v24, v0
	v_perm_b32 v0, v73, v74, 0x5040100
	s_delay_alu instid0(VALU_DEP_4) | instskip(NEXT) | instid1(VALU_DEP_2)
	v_pk_mul_bf16 v1, v101, v1
	v_pk_mul_bf16 v0, v102, v0
	s_delay_alu instid0(VALU_DEP_1) | instskip(SKIP_1) | instid1(VALU_DEP_1)
	v_lshlrev_b32_e32 v4, 16, v0
	v_and_b32_e32 v0, 0xffff0000, v0
	v_dual_add_f32 v0, v4, v0 :: v_dual_lshlrev_b32 v4, 16, v1
	v_and_b32_e32 v1, 0xffff0000, v1
	s_delay_alu instid0(VALU_DEP_1) | instskip(NEXT) | instid1(VALU_DEP_1)
	v_add_f32_e32 v1, v4, v1
	v_dual_add_f32 v0, v0, v1 :: v_dual_lshlrev_b32 v1, 16, v2
	v_and_b32_e32 v2, 0xffff0000, v2
	s_delay_alu instid0(VALU_DEP_1) | instskip(SKIP_1) | instid1(VALU_DEP_2)
	v_add_f32_e32 v1, v1, v2
	v_and_b32_e32 v2, 0xffff0000, v3
	v_dual_add_f32 v0, v0, v1 :: v_dual_lshlrev_b32 v1, 16, v3
	s_delay_alu instid0(VALU_DEP_1) | instskip(NEXT) | instid1(VALU_DEP_1)
	v_add_f32_e32 v1, v1, v2
	v_add_f32_e32 v0, v0, v1
	s_delay_alu instid0(VALU_DEP_1)
	v_add_f32_e32 v27, v27, v0
	s_clause 0x2
	scratch_load_b32 v0, off, s32 offset:344 th:TH_LOAD_LU
	scratch_load_b32 v1, off, s32 offset:336 th:TH_LOAD_LU
	;; [unrolled: 1-line block ×3, first 2 shown]
	s_wait_loadcnt 0x2
	v_perm_b32 v0, v0, v58, 0x5040100
	s_wait_loadcnt 0x0
	v_perm_b32 v1, v1, v2, 0x5040100
	s_clause 0x1
	scratch_load_b32 v2, off, s32 offset:320 th:TH_LOAD_LU
	scratch_load_b32 v3, off, s32 offset:324 th:TH_LOAD_LU
	v_pk_mul_bf16 v0, v102, v0
	v_pk_mul_bf16 v1, v101, v1
	s_wait_loadcnt 0x0
	v_perm_b32 v2, v2, v3, 0x5040100
	s_clause 0x1
	scratch_load_b32 v3, off, s32 offset:328 th:TH_LOAD_LU
	scratch_load_b32 v4, off, s32 offset:332 th:TH_LOAD_LU
	v_pk_mul_bf16 v2, v100, v2
	s_wait_loadcnt 0x0
	v_perm_b32 v3, v4, v3, 0x5040100
	v_lshlrev_b32_e32 v4, 16, v0
	v_and_b32_e32 v0, 0xffff0000, v0
	s_delay_alu instid0(VALU_DEP_3) | instskip(NEXT) | instid1(VALU_DEP_2)
	v_pk_mul_bf16 v3, v39, v3
	v_dual_add_f32 v0, v4, v0 :: v_dual_lshlrev_b32 v4, 16, v1
	v_and_b32_e32 v1, 0xffff0000, v1
	s_delay_alu instid0(VALU_DEP_1) | instskip(NEXT) | instid1(VALU_DEP_1)
	v_add_f32_e32 v1, v4, v1
	v_dual_add_f32 v0, v0, v1 :: v_dual_lshlrev_b32 v1, 16, v2
	v_and_b32_e32 v2, 0xffff0000, v2
	s_delay_alu instid0(VALU_DEP_1) | instskip(SKIP_1) | instid1(VALU_DEP_2)
	v_add_f32_e32 v1, v1, v2
	v_and_b32_e32 v2, 0xffff0000, v3
	v_dual_add_f32 v0, v0, v1 :: v_dual_lshlrev_b32 v1, 16, v3
	s_delay_alu instid0(VALU_DEP_1) | instskip(NEXT) | instid1(VALU_DEP_1)
	v_add_f32_e32 v1, v1, v2
	v_add_f32_e32 v0, v0, v1
	s_delay_alu instid0(VALU_DEP_1)
	v_add_f32_e32 v26, v26, v0
	s_clause 0x1
	scratch_load_b32 v0, off, s32 offset:312 th:TH_LOAD_LU
	scratch_load_b32 v1, off, s32 offset:316 th:TH_LOAD_LU
	s_wait_loadcnt 0x0
	v_perm_b32 v0, v0, v1, 0x5040100
	s_clause 0x1
	scratch_load_b32 v1, off, s32 offset:304 th:TH_LOAD_LU
	scratch_load_b32 v2, off, s32 offset:308 th:TH_LOAD_LU
	v_pk_mul_bf16 v0, v102, v0
	s_wait_loadcnt 0x0
	v_perm_b32 v1, v1, v2, 0x5040100
	s_clause 0x1
	scratch_load_b32 v2, off, s32 offset:288 th:TH_LOAD_LU
	scratch_load_b32 v3, off, s32 offset:292 th:TH_LOAD_LU
	v_pk_mul_bf16 v1, v101, v1
	s_wait_loadcnt 0x0
	v_perm_b32 v2, v2, v3, 0x5040100
	s_clause 0x1
	scratch_load_b32 v3, off, s32 offset:296 th:TH_LOAD_LU
	scratch_load_b32 v4, off, s32 offset:300 th:TH_LOAD_LU
	v_pk_mul_bf16 v2, v100, v2
	s_wait_loadcnt 0x0
	v_perm_b32 v3, v4, v3, 0x5040100
	v_lshlrev_b32_e32 v4, 16, v0
	v_and_b32_e32 v0, 0xffff0000, v0
	s_delay_alu instid0(VALU_DEP_3) | instskip(NEXT) | instid1(VALU_DEP_2)
	v_pk_mul_bf16 v3, v39, v3
	v_dual_add_f32 v0, v4, v0 :: v_dual_lshlrev_b32 v4, 16, v1
	v_and_b32_e32 v1, 0xffff0000, v1
	s_delay_alu instid0(VALU_DEP_1) | instskip(NEXT) | instid1(VALU_DEP_1)
	v_add_f32_e32 v1, v4, v1
	v_dual_add_f32 v0, v0, v1 :: v_dual_lshlrev_b32 v1, 16, v2
	v_and_b32_e32 v2, 0xffff0000, v2
	s_delay_alu instid0(VALU_DEP_1) | instskip(SKIP_1) | instid1(VALU_DEP_2)
	v_add_f32_e32 v1, v1, v2
	v_and_b32_e32 v2, 0xffff0000, v3
	v_dual_add_f32 v0, v0, v1 :: v_dual_lshlrev_b32 v1, 16, v3
	s_delay_alu instid0(VALU_DEP_1) | instskip(NEXT) | instid1(VALU_DEP_1)
	v_add_f32_e32 v1, v1, v2
	v_add_f32_e32 v0, v0, v1
	s_delay_alu instid0(VALU_DEP_1)
	v_add_f32_e32 v29, v29, v0
	s_clause 0x1
	scratch_load_b32 v0, off, s32 offset:280 th:TH_LOAD_LU
	scratch_load_b32 v1, off, s32 offset:284 th:TH_LOAD_LU
	s_wait_loadcnt 0x0
	v_perm_b32 v0, v0, v1, 0x5040100
	s_clause 0x1
	scratch_load_b32 v1, off, s32 offset:272 th:TH_LOAD_LU
	scratch_load_b32 v2, off, s32 offset:276 th:TH_LOAD_LU
	v_pk_mul_bf16 v0, v102, v0
	s_wait_loadcnt 0x0
	v_perm_b32 v1, v1, v2, 0x5040100
	s_clause 0x1
	scratch_load_b32 v2, off, s32 offset:252 th:TH_LOAD_LU
	scratch_load_b32 v3, off, s32 offset:260 th:TH_LOAD_LU
	;; [unrolled: 42-line block ×4, first 2 shown]
	scratch_load_b32 v4, off, s32 offset:200 th:TH_LOAD_LU
	v_pk_mul_bf16 v1, v101, v1
	s_wait_loadcnt 0x2
	v_perm_b32 v2, v57, v2, 0x5040100
	s_wait_loadcnt 0x0
	v_perm_b32 v3, v4, v3, 0x5040100
	v_lshlrev_b32_e32 v4, 16, v0
	v_and_b32_e32 v0, 0xffff0000, v0
	v_pk_mul_bf16 v2, v100, v2
	s_delay_alu instid0(VALU_DEP_4) | instskip(NEXT) | instid1(VALU_DEP_3)
	v_pk_mul_bf16 v3, v39, v3
	v_dual_add_f32 v0, v4, v0 :: v_dual_lshlrev_b32 v4, 16, v1
	v_and_b32_e32 v1, 0xffff0000, v1
	s_delay_alu instid0(VALU_DEP_1) | instskip(NEXT) | instid1(VALU_DEP_1)
	v_add_f32_e32 v1, v4, v1
	v_dual_add_f32 v0, v0, v1 :: v_dual_lshlrev_b32 v1, 16, v2
	v_and_b32_e32 v2, 0xffff0000, v2
	s_delay_alu instid0(VALU_DEP_1) | instskip(SKIP_1) | instid1(VALU_DEP_2)
	v_add_f32_e32 v1, v1, v2
	v_and_b32_e32 v2, 0xffff0000, v3
	v_dual_add_f32 v0, v0, v1 :: v_dual_lshlrev_b32 v1, 16, v3
	s_delay_alu instid0(VALU_DEP_1) | instskip(NEXT) | instid1(VALU_DEP_1)
	v_add_f32_e32 v1, v1, v2
	v_add_f32_e32 v0, v0, v1
	s_delay_alu instid0(VALU_DEP_1) | instskip(SKIP_1) | instid1(VALU_DEP_1)
	v_add_f32_e32 v30, v30, v0
	v_perm_b32 v0, v37, v38, 0x5040100
	v_pk_mul_bf16 v1, v102, v0
	v_perm_b32 v0, v35, v36, 0x5040100
	s_delay_alu instid0(VALU_DEP_2) | instskip(NEXT) | instid1(VALU_DEP_2)
	v_lshlrev_b32_e32 v2, 16, v1
	v_pk_mul_bf16 v3, v101, v0
	scratch_load_b32 v101, off, s32 offset:388 ; 4-byte Folded Reload
	v_perm_b32 v0, v9, v34, 0x5040100
	s_delay_alu instid0(VALU_DEP_1) | instskip(SKIP_1) | instid1(VALU_DEP_1)
	v_pk_mul_bf16 v4, v100, v0
	v_perm_b32 v0, v22, v8, 0x5040100
	v_pk_mul_bf16 v5, v39, v0
	v_and_b32_e32 v0, 0xffff0000, v1
	v_and_b32_e32 v1, 0xffff0000, v3
	v_lshlrev_b32_e32 v3, 16, v3
	s_delay_alu instid0(VALU_DEP_1)
	v_pk_add_f32 v[0:1], v[2:3], v[0:1]
	v_and_b32_e32 v2, 0xffff0000, v4
	v_lshlrev_b32_e32 v4, 16, v4
	v_and_b32_e32 v3, 0xffff0000, v5
	v_lshlrev_b32_e32 v5, 16, v5
	v_add_f32_e32 v0, v0, v1
	s_delay_alu instid0(VALU_DEP_2) | instskip(NEXT) | instid1(VALU_DEP_1)
	v_pk_add_f32 v[2:3], v[4:5], v[2:3]
	v_add_f32_e32 v0, v0, v2
	s_delay_alu instid0(VALU_DEP_1) | instskip(NEXT) | instid1(VALU_DEP_1)
	v_add_f32_e32 v0, v0, v3
	v_add_f32_e32 v13, v13, v0
	s_wait_loadcnt 0x0
	v_cmp_ge_i32_e32 vcc_lo, v66, v101
	s_or_b32 s5, vcc_lo, s5
	s_wait_xcnt 0x0
	s_and_not1_b32 exec_lo, exec_lo, s5
	s_cbranch_execz .LBB342_2122
.LBB342_1066:                           ; =>This Inner Loop Header: Depth=1
	flat_load_b32 v0, v[10:11]
	s_clause 0x1
	scratch_load_b64 v[2:3], off, s32 offset:348
	scratch_load_b64 v[4:5], off, s32 offset:392
	s_mov_b32 s1, exec_lo
	s_wait_loadcnt_dscnt 0x0
	v_mad_nc_i64_i32 v[34:35], v0, v2, v[4:5]
	ds_load_2addr_b64 v[0:3], v65 offset1:1
	flat_load_b64 v[36:37], v[34:35]
	s_wait_dscnt 0x1
	scratch_store_b128 off, v[0:3], s32 offset:372 ; 16-byte Folded Spill
	s_wait_xcnt 0x0
	ds_load_2addr_b64 v[0:3], v65 offset0:2 offset1:3
	s_wait_dscnt 0x0
	scratch_store_b128 off, v[0:3], s32 offset:356 ; 16-byte Folded Spill
	s_wait_xcnt 0x0
	v_mov_b32_e32 v0, 0
	s_wait_loadcnt 0x0
	v_and_b32_e32 v1, 0xff, v36
	s_delay_alu instid0(VALU_DEP_1)
	v_cmpx_ne_u16_e32 0, v1
	s_cbranch_execz .LBB342_1074
; %bb.1067:                             ;   in Loop: Header=BB342_1066 Depth=1
	v_bfrev_b32_e32 v0, 1
	s_mov_b32 s16, exec_lo
	v_cmpx_ne_u16_e32 0x80, v1
	s_cbranch_execz .LBB342_1073
; %bb.1068:                             ;   in Loop: Header=BB342_1066 Depth=1
	v_and_b32_e32 v1, 0x7f, v36
	v_mov_b32_e32 v0, 0x7f800001
	s_mov_b32 s17, exec_lo
	s_delay_alu instid0(VALU_DEP_2)
	v_cmpx_ne_u32_e32 0x7f, v1
	s_cbranch_execz .LBB342_1072
; %bb.1069:                             ;   in Loop: Header=BB342_1066 Depth=1
	v_mov_b64_e32 v[38:39], v[36:37]
	v_lshrrev_b32_e32 v0, 3, v1
	s_mov_b32 s18, exec_lo
	v_cmpx_gt_u32_e32 8, v1
; %bb.1070:                             ;   in Loop: Header=BB342_1066 Depth=1
	v_and_b32_e32 v0, 7, v36
	s_delay_alu instid0(VALU_DEP_1) | instskip(NEXT) | instid1(VALU_DEP_1)
	v_clz_i32_u32_e32 v0, v0
	v_min_u32_e32 v0, 32, v0
	s_delay_alu instid0(VALU_DEP_1) | instskip(SKIP_1) | instid1(VALU_DEP_2)
	v_subrev_nc_u32_e32 v1, 28, v0
	v_sub_nc_u32_e32 v0, 29, v0
	v_lshlrev_b64_e32 v[38:39], v1, v[36:37]
; %bb.1071:                             ;   in Loop: Header=BB342_1066 Depth=1
	s_or_b32 exec_lo, exec_lo, s18
	s_delay_alu instid0(VALU_DEP_1) | instskip(NEXT) | instid1(VALU_DEP_3)
	v_dual_lshlrev_b32 v1, 20, v38 :: v_dual_lshlrev_b32 v2, 24, v36
	v_lshl_add_u32 v0, v0, 23, 0x3c000000
	s_delay_alu instid0(VALU_DEP_2) | instskip(NEXT) | instid1(VALU_DEP_3)
	v_and_b32_e32 v1, 0x700000, v1
	v_and_b32_e32 v2, 0x80000000, v2
	s_delay_alu instid0(VALU_DEP_1)
	v_or3_b32 v0, v1, v2, v0
.LBB342_1072:                           ;   in Loop: Header=BB342_1066 Depth=1
	s_or_b32 exec_lo, exec_lo, s17
.LBB342_1073:                           ;   in Loop: Header=BB342_1066 Depth=1
	s_delay_alu instid0(SALU_CYCLE_1)
	s_or_b32 exec_lo, exec_lo, s16
.LBB342_1074:                           ;   in Loop: Header=BB342_1066 Depth=1
	s_delay_alu instid0(SALU_CYCLE_1) | instskip(SKIP_3) | instid1(VALU_DEP_2)
	s_or_b32 exec_lo, exec_lo, s1
	v_lshrrev_b16 v3, 8, v36
	v_dual_mov_b32 v1, 0 :: v_dual_mov_b32 v2, 0
	s_mov_b32 s1, exec_lo
	v_cmpx_ne_u16_e32 0, v3
	s_cbranch_execz .LBB342_1082
; %bb.1075:                             ;   in Loop: Header=BB342_1066 Depth=1
	v_bfrev_b32_e32 v2, 1
	s_mov_b32 s16, exec_lo
	v_cmpx_ne_u16_e32 0x80, v3
	s_cbranch_execz .LBB342_1081
; %bb.1076:                             ;   in Loop: Header=BB342_1066 Depth=1
	v_and_b32_e32 v4, 0xffff, v3
	v_mov_b32_e32 v2, 0x7f800001
	s_mov_b32 s17, exec_lo
	s_delay_alu instid0(VALU_DEP_2) | instskip(NEXT) | instid1(VALU_DEP_1)
	v_and_b32_e32 v3, 0x7f, v4
	v_cmpx_ne_u32_e32 0x7f, v3
	s_cbranch_execz .LBB342_1080
; %bb.1077:                             ;   in Loop: Header=BB342_1066 Depth=1
	v_dual_lshrrev_b32 v2, 3, v3 :: v_dual_bitop2_b32 v22, 7, v4 bitop3:0x40
	s_mov_b32 s18, exec_lo
	s_delay_alu instid0(VALU_DEP_1)
	v_mov_b64_e32 v[38:39], v[22:23]
	v_cmpx_gt_u32_e32 8, v3
; %bb.1078:                             ;   in Loop: Header=BB342_1066 Depth=1
	v_clz_i32_u32_e32 v2, v22
	s_delay_alu instid0(VALU_DEP_1) | instskip(NEXT) | instid1(VALU_DEP_1)
	v_min_u32_e32 v2, 32, v2
	v_subrev_nc_u32_e32 v3, 28, v2
	s_delay_alu instid0(VALU_DEP_1) | instskip(NEXT) | instid1(VALU_DEP_1)
	v_lshlrev_b64_e32 v[4:5], v3, v[22:23]
	v_dual_sub_nc_u32 v2, 29, v2 :: v_dual_bitop2_b32 v38, 7, v4 bitop3:0x40
; %bb.1079:                             ;   in Loop: Header=BB342_1066 Depth=1
	s_or_b32 exec_lo, exec_lo, s18
	s_delay_alu instid0(VALU_DEP_1) | instskip(NEXT) | instid1(VALU_DEP_2)
	v_dual_lshlrev_b32 v3, 16, v36 :: v_dual_lshlrev_b32 v4, 20, v38
	v_lshl_add_u32 v2, v2, 23, 0x3c000000
	s_delay_alu instid0(VALU_DEP_2) | instskip(NEXT) | instid1(VALU_DEP_1)
	v_and_b32_e32 v3, 0x80000000, v3
	v_or3_b32 v2, v4, v3, v2
.LBB342_1080:                           ;   in Loop: Header=BB342_1066 Depth=1
	s_or_b32 exec_lo, exec_lo, s17
.LBB342_1081:                           ;   in Loop: Header=BB342_1066 Depth=1
	s_delay_alu instid0(SALU_CYCLE_1)
	s_or_b32 exec_lo, exec_lo, s16
.LBB342_1082:                           ;   in Loop: Header=BB342_1066 Depth=1
	s_delay_alu instid0(SALU_CYCLE_1) | instskip(SKIP_2) | instid1(VALU_DEP_1)
	s_or_b32 exec_lo, exec_lo, s1
	v_lshrrev_b32_e32 v3, 16, v36
	s_mov_b32 s1, exec_lo
	v_and_b32_e32 v4, 0xff, v3
	s_delay_alu instid0(VALU_DEP_1)
	v_cmpx_ne_u16_e32 0, v4
	s_cbranch_execz .LBB342_1090
; %bb.1083:                             ;   in Loop: Header=BB342_1066 Depth=1
	v_bfrev_b32_e32 v1, 1
	s_mov_b32 s16, exec_lo
	v_cmpx_ne_u16_e32 0x80, v4
	s_cbranch_execz .LBB342_1089
; %bb.1084:                             ;   in Loop: Header=BB342_1066 Depth=1
	v_bfe_u32 v4, v36, 16, 7
	v_mov_b32_e32 v1, 0x7f800001
	s_mov_b32 s17, exec_lo
	s_delay_alu instid0(VALU_DEP_2)
	v_cmpx_ne_u32_e32 0x7f, v4
	s_cbranch_execz .LBB342_1088
; %bb.1085:                             ;   in Loop: Header=BB342_1066 Depth=1
	v_dual_lshrrev_b32 v1, 3, v4 :: v_dual_bitop2_b32 v22, 7, v3 bitop3:0x40
	s_mov_b32 s18, exec_lo
	s_delay_alu instid0(VALU_DEP_1)
	v_mov_b64_e32 v[38:39], v[22:23]
	v_cmpx_gt_u32_e32 8, v4
; %bb.1086:                             ;   in Loop: Header=BB342_1066 Depth=1
	v_clz_i32_u32_e32 v1, v22
	s_delay_alu instid0(VALU_DEP_1) | instskip(NEXT) | instid1(VALU_DEP_1)
	v_min_u32_e32 v1, 32, v1
	v_subrev_nc_u32_e32 v4, 28, v1
	s_delay_alu instid0(VALU_DEP_1) | instskip(NEXT) | instid1(VALU_DEP_1)
	v_lshlrev_b64_e32 v[4:5], v4, v[22:23]
	v_dual_sub_nc_u32 v1, 29, v1 :: v_dual_bitop2_b32 v38, 7, v4 bitop3:0x40
; %bb.1087:                             ;   in Loop: Header=BB342_1066 Depth=1
	s_or_b32 exec_lo, exec_lo, s18
	s_delay_alu instid0(VALU_DEP_1) | instskip(NEXT) | instid1(VALU_DEP_2)
	v_dual_lshlrev_b32 v3, 24, v3 :: v_dual_lshlrev_b32 v4, 20, v38
	v_lshl_add_u32 v1, v1, 23, 0x3c000000
	s_delay_alu instid0(VALU_DEP_2) | instskip(NEXT) | instid1(VALU_DEP_1)
	v_and_b32_e32 v3, 0x80000000, v3
	v_or3_b32 v1, v4, v3, v1
.LBB342_1088:                           ;   in Loop: Header=BB342_1066 Depth=1
	s_or_b32 exec_lo, exec_lo, s17
.LBB342_1089:                           ;   in Loop: Header=BB342_1066 Depth=1
	s_delay_alu instid0(SALU_CYCLE_1)
	s_or_b32 exec_lo, exec_lo, s16
.LBB342_1090:                           ;   in Loop: Header=BB342_1066 Depth=1
	s_delay_alu instid0(SALU_CYCLE_1)
	s_or_b32 exec_lo, exec_lo, s1
	v_dual_mov_b32 v3, 0 :: v_dual_mov_b32 v4, 0
	s_mov_b32 s1, exec_lo
	v_cmpx_lt_u32_e32 0xffffff, v36
	s_cbranch_execz .LBB342_1098
; %bb.1091:                             ;   in Loop: Header=BB342_1066 Depth=1
	v_lshrrev_b32_e32 v5, 24, v36
	v_bfrev_b32_e32 v4, 1
	s_mov_b32 s16, exec_lo
	s_delay_alu instid0(VALU_DEP_2)
	v_cmpx_ne_u32_e32 0x80, v5
	s_cbranch_execz .LBB342_1097
; %bb.1092:                             ;   in Loop: Header=BB342_1066 Depth=1
	v_bfe_u32 v6, v36, 24, 7
	v_mov_b32_e32 v4, 0x7f800001
	s_mov_b32 s17, exec_lo
	s_delay_alu instid0(VALU_DEP_2)
	v_cmpx_ne_u32_e32 0x7f, v6
	s_cbranch_execz .LBB342_1096
; %bb.1093:                             ;   in Loop: Header=BB342_1066 Depth=1
	v_dual_lshrrev_b32 v4, 3, v6 :: v_dual_bitop2_b32 v22, 7, v5 bitop3:0x40
	s_mov_b32 s18, exec_lo
	s_delay_alu instid0(VALU_DEP_1)
	v_mov_b64_e32 v[38:39], v[22:23]
	v_cmpx_gt_u32_e32 8, v6
; %bb.1094:                             ;   in Loop: Header=BB342_1066 Depth=1
	v_clz_i32_u32_e32 v4, v22
	s_delay_alu instid0(VALU_DEP_1) | instskip(NEXT) | instid1(VALU_DEP_1)
	v_min_u32_e32 v4, 32, v4
	v_subrev_nc_u32_e32 v6, 28, v4
	s_delay_alu instid0(VALU_DEP_1) | instskip(NEXT) | instid1(VALU_DEP_1)
	v_lshlrev_b64_e32 v[6:7], v6, v[22:23]
	v_dual_sub_nc_u32 v4, 29, v4 :: v_dual_bitop2_b32 v38, 7, v6 bitop3:0x40
; %bb.1095:                             ;   in Loop: Header=BB342_1066 Depth=1
	s_or_b32 exec_lo, exec_lo, s18
	s_delay_alu instid0(VALU_DEP_1) | instskip(NEXT) | instid1(VALU_DEP_2)
	v_dual_lshlrev_b32 v5, 24, v5 :: v_dual_lshlrev_b32 v6, 20, v38
	v_lshl_add_u32 v4, v4, 23, 0x3c000000
	s_delay_alu instid0(VALU_DEP_2) | instskip(NEXT) | instid1(VALU_DEP_1)
	v_and_b32_e32 v5, 0x80000000, v5
	v_or3_b32 v4, v6, v5, v4
.LBB342_1096:                           ;   in Loop: Header=BB342_1066 Depth=1
	s_or_b32 exec_lo, exec_lo, s17
.LBB342_1097:                           ;   in Loop: Header=BB342_1066 Depth=1
	s_delay_alu instid0(SALU_CYCLE_1)
	s_or_b32 exec_lo, exec_lo, s16
.LBB342_1098:                           ;   in Loop: Header=BB342_1066 Depth=1
	s_delay_alu instid0(SALU_CYCLE_1) | instskip(SKIP_3) | instid1(VALU_DEP_2)
	s_or_b32 exec_lo, exec_lo, s1
	v_and_b32_e32 v5, 0xff, v37
	v_mov_b32_e32 v22, v37
	s_mov_b32 s1, exec_lo
	v_cmpx_ne_u16_e32 0, v5
	s_cbranch_execz .LBB342_1106
; %bb.1099:                             ;   in Loop: Header=BB342_1066 Depth=1
	v_bfrev_b32_e32 v3, 1
	s_mov_b32 s16, exec_lo
	v_cmpx_ne_u16_e32 0x80, v5
	s_cbranch_execz .LBB342_1105
; %bb.1100:                             ;   in Loop: Header=BB342_1066 Depth=1
	v_and_b32_e32 v5, 0x7f, v37
	v_mov_b32_e32 v3, 0x7f800001
	s_mov_b32 s17, exec_lo
	s_delay_alu instid0(VALU_DEP_2)
	v_cmpx_ne_u32_e32 0x7f, v5
	s_cbranch_execz .LBB342_1104
; %bb.1101:                             ;   in Loop: Header=BB342_1066 Depth=1
	v_mov_b64_e32 v[38:39], v[22:23]
	v_lshrrev_b32_e32 v3, 3, v5
	s_mov_b32 s18, exec_lo
	v_cmpx_gt_u32_e32 8, v5
; %bb.1102:                             ;   in Loop: Header=BB342_1066 Depth=1
	v_and_b32_e32 v3, 7, v37
	s_delay_alu instid0(VALU_DEP_1) | instskip(NEXT) | instid1(VALU_DEP_1)
	v_clz_i32_u32_e32 v3, v3
	v_min_u32_e32 v3, 32, v3
	s_delay_alu instid0(VALU_DEP_1) | instskip(SKIP_1) | instid1(VALU_DEP_2)
	v_subrev_nc_u32_e32 v5, 28, v3
	v_sub_nc_u32_e32 v3, 29, v3
	v_lshlrev_b64_e32 v[38:39], v5, v[22:23]
; %bb.1103:                             ;   in Loop: Header=BB342_1066 Depth=1
	s_or_b32 exec_lo, exec_lo, s18
	s_delay_alu instid0(VALU_DEP_1) | instskip(SKIP_2) | instid1(VALU_DEP_3)
	v_lshlrev_b32_e32 v5, 20, v38
	v_lshlrev_b32_e32 v6, 24, v22
	v_lshl_add_u32 v3, v3, 23, 0x3c000000
	v_and_b32_e32 v5, 0x700000, v5
	s_delay_alu instid0(VALU_DEP_3) | instskip(NEXT) | instid1(VALU_DEP_1)
	v_and_b32_e32 v6, 0x80000000, v6
	v_or3_b32 v3, v5, v6, v3
.LBB342_1104:                           ;   in Loop: Header=BB342_1066 Depth=1
	s_or_b32 exec_lo, exec_lo, s17
.LBB342_1105:                           ;   in Loop: Header=BB342_1066 Depth=1
	s_delay_alu instid0(SALU_CYCLE_1)
	s_or_b32 exec_lo, exec_lo, s16
.LBB342_1106:                           ;   in Loop: Header=BB342_1066 Depth=1
	s_delay_alu instid0(SALU_CYCLE_1) | instskip(SKIP_3) | instid1(VALU_DEP_2)
	s_or_b32 exec_lo, exec_lo, s1
	v_lshrrev_b16 v7, 8, v22
	v_dual_mov_b32 v5, 0 :: v_dual_mov_b32 v6, 0
	s_mov_b32 s1, exec_lo
	v_cmpx_ne_u16_e32 0, v7
	s_cbranch_execz .LBB342_1114
; %bb.1107:                             ;   in Loop: Header=BB342_1066 Depth=1
	v_bfrev_b32_e32 v6, 1
	s_mov_b32 s16, exec_lo
	v_cmpx_ne_u16_e32 0x80, v7
	s_cbranch_execz .LBB342_1113
; %bb.1108:                             ;   in Loop: Header=BB342_1066 Depth=1
	v_and_b32_e32 v8, 0xffff, v7
	v_mov_b32_e32 v6, 0x7f800001
	s_mov_b32 s17, exec_lo
	s_delay_alu instid0(VALU_DEP_2) | instskip(NEXT) | instid1(VALU_DEP_1)
	v_and_b32_e32 v7, 0x7f, v8
	v_cmpx_ne_u32_e32 0x7f, v7
	s_cbranch_execz .LBB342_1112
; %bb.1109:                             ;   in Loop: Header=BB342_1066 Depth=1
	v_dual_mov_b32 v39, v23 :: v_dual_bitop2_b32 v38, 7, v8 bitop3:0x40
	v_lshrrev_b32_e32 v6, 3, v7
	s_mov_b32 s18, exec_lo
	v_cmpx_gt_u32_e32 8, v7
; %bb.1110:                             ;   in Loop: Header=BB342_1066 Depth=1
	s_delay_alu instid0(VALU_DEP_3) | instskip(NEXT) | instid1(VALU_DEP_1)
	v_clz_i32_u32_e32 v6, v38
	v_min_u32_e32 v6, 32, v6
	s_delay_alu instid0(VALU_DEP_1) | instskip(NEXT) | instid1(VALU_DEP_1)
	v_subrev_nc_u32_e32 v7, 28, v6
	v_lshlrev_b64_e32 v[8:9], v7, v[38:39]
	s_delay_alu instid0(VALU_DEP_1)
	v_dual_sub_nc_u32 v6, 29, v6 :: v_dual_bitop2_b32 v38, 7, v8 bitop3:0x40
; %bb.1111:                             ;   in Loop: Header=BB342_1066 Depth=1
	s_or_b32 exec_lo, exec_lo, s18
	v_lshlrev_b32_e32 v7, 16, v22
	s_delay_alu instid0(VALU_DEP_2) | instskip(NEXT) | instid1(VALU_DEP_3)
	v_lshlrev_b32_e32 v8, 20, v38
	v_lshl_add_u32 v6, v6, 23, 0x3c000000
	s_delay_alu instid0(VALU_DEP_3) | instskip(NEXT) | instid1(VALU_DEP_1)
	v_and_b32_e32 v7, 0x80000000, v7
	v_or3_b32 v6, v8, v7, v6
.LBB342_1112:                           ;   in Loop: Header=BB342_1066 Depth=1
	s_or_b32 exec_lo, exec_lo, s17
.LBB342_1113:                           ;   in Loop: Header=BB342_1066 Depth=1
	s_delay_alu instid0(SALU_CYCLE_1)
	s_or_b32 exec_lo, exec_lo, s16
.LBB342_1114:                           ;   in Loop: Header=BB342_1066 Depth=1
	s_delay_alu instid0(SALU_CYCLE_1) | instskip(SKIP_2) | instid1(VALU_DEP_1)
	s_or_b32 exec_lo, exec_lo, s1
	v_lshrrev_b32_e32 v7, 16, v37
	s_mov_b32 s1, exec_lo
	v_and_b32_e32 v8, 0xff, v7
	s_delay_alu instid0(VALU_DEP_1)
	v_cmpx_ne_u16_e32 0, v8
	s_cbranch_execz .LBB342_1122
; %bb.1115:                             ;   in Loop: Header=BB342_1066 Depth=1
	v_bfrev_b32_e32 v5, 1
	s_mov_b32 s16, exec_lo
	v_cmpx_ne_u16_e32 0x80, v8
	s_cbranch_execz .LBB342_1121
; %bb.1116:                             ;   in Loop: Header=BB342_1066 Depth=1
	v_bfe_u32 v8, v37, 16, 7
	v_mov_b32_e32 v5, 0x7f800001
	s_mov_b32 s17, exec_lo
	s_delay_alu instid0(VALU_DEP_2)
	v_cmpx_ne_u32_e32 0x7f, v8
	s_cbranch_execz .LBB342_1120
; %bb.1117:                             ;   in Loop: Header=BB342_1066 Depth=1
	v_dual_lshrrev_b32 v5, 3, v8 :: v_dual_bitop2_b32 v22, 7, v7 bitop3:0x40
	s_mov_b32 s18, exec_lo
	s_delay_alu instid0(VALU_DEP_1)
	v_mov_b64_e32 v[38:39], v[22:23]
	v_cmpx_gt_u32_e32 8, v8
; %bb.1118:                             ;   in Loop: Header=BB342_1066 Depth=1
	v_clz_i32_u32_e32 v5, v22
	s_delay_alu instid0(VALU_DEP_1) | instskip(NEXT) | instid1(VALU_DEP_1)
	v_min_u32_e32 v5, 32, v5
	v_subrev_nc_u32_e32 v8, 28, v5
	s_delay_alu instid0(VALU_DEP_1) | instskip(NEXT) | instid1(VALU_DEP_1)
	v_lshlrev_b64_e32 v[8:9], v8, v[22:23]
	v_dual_sub_nc_u32 v5, 29, v5 :: v_dual_bitop2_b32 v38, 7, v8 bitop3:0x40
; %bb.1119:                             ;   in Loop: Header=BB342_1066 Depth=1
	s_or_b32 exec_lo, exec_lo, s18
	s_delay_alu instid0(VALU_DEP_1) | instskip(NEXT) | instid1(VALU_DEP_2)
	v_dual_lshlrev_b32 v7, 24, v7 :: v_dual_lshlrev_b32 v8, 20, v38
	v_lshl_add_u32 v5, v5, 23, 0x3c000000
	s_delay_alu instid0(VALU_DEP_2) | instskip(NEXT) | instid1(VALU_DEP_1)
	v_and_b32_e32 v7, 0x80000000, v7
	v_or3_b32 v5, v8, v7, v5
.LBB342_1120:                           ;   in Loop: Header=BB342_1066 Depth=1
	s_or_b32 exec_lo, exec_lo, s17
.LBB342_1121:                           ;   in Loop: Header=BB342_1066 Depth=1
	s_delay_alu instid0(SALU_CYCLE_1)
	s_or_b32 exec_lo, exec_lo, s16
.LBB342_1122:                           ;   in Loop: Header=BB342_1066 Depth=1
	s_delay_alu instid0(SALU_CYCLE_1)
	s_or_b32 exec_lo, exec_lo, s1
	v_mov_b32_e32 v8, 0
	s_mov_b32 s1, exec_lo
	v_cmpx_lt_u64_e64 s[2:3], v[36:37]
	s_cbranch_execz .LBB342_1130
; %bb.1123:                             ;   in Loop: Header=BB342_1066 Depth=1
	v_lshrrev_b32_e32 v7, 24, v37
	v_bfrev_b32_e32 v8, 1
	s_mov_b32 s16, exec_lo
	s_delay_alu instid0(VALU_DEP_2)
	v_cmpx_ne_u32_e32 0x80, v7
	s_cbranch_execz .LBB342_1129
; %bb.1124:                             ;   in Loop: Header=BB342_1066 Depth=1
	v_bfe_u32 v9, v37, 24, 7
	v_mov_b32_e32 v8, 0x7f800001
	s_mov_b32 s17, exec_lo
	s_delay_alu instid0(VALU_DEP_2)
	v_cmpx_ne_u32_e32 0x7f, v9
	s_cbranch_execz .LBB342_1128
; %bb.1125:                             ;   in Loop: Header=BB342_1066 Depth=1
	v_dual_lshrrev_b32 v8, 3, v9 :: v_dual_bitop2_b32 v22, 7, v7 bitop3:0x40
	s_mov_b32 s18, exec_lo
	s_delay_alu instid0(VALU_DEP_1)
	v_mov_b64_e32 v[36:37], v[22:23]
	v_cmpx_gt_u32_e32 8, v9
; %bb.1126:                             ;   in Loop: Header=BB342_1066 Depth=1
	v_clz_i32_u32_e32 v8, v22
	s_delay_alu instid0(VALU_DEP_1) | instskip(NEXT) | instid1(VALU_DEP_1)
	v_min_u32_e32 v8, 32, v8
	v_subrev_nc_u32_e32 v9, 28, v8
	s_delay_alu instid0(VALU_DEP_1) | instskip(NEXT) | instid1(VALU_DEP_1)
	v_lshlrev_b64_e32 v[18:19], v9, v[22:23]
	v_dual_sub_nc_u32 v8, 29, v8 :: v_dual_bitop2_b32 v36, 7, v18 bitop3:0x40
; %bb.1127:                             ;   in Loop: Header=BB342_1066 Depth=1
	s_or_b32 exec_lo, exec_lo, s18
	s_delay_alu instid0(VALU_DEP_1) | instskip(NEXT) | instid1(VALU_DEP_2)
	v_dual_lshlrev_b32 v7, 24, v7 :: v_dual_lshlrev_b32 v9, 20, v36
	v_lshl_add_u32 v8, v8, 23, 0x3c000000
	s_delay_alu instid0(VALU_DEP_2) | instskip(NEXT) | instid1(VALU_DEP_1)
	v_and_b32_e32 v7, 0x80000000, v7
	v_or3_b32 v8, v9, v7, v8
.LBB342_1128:                           ;   in Loop: Header=BB342_1066 Depth=1
	s_or_b32 exec_lo, exec_lo, s17
.LBB342_1129:                           ;   in Loop: Header=BB342_1066 Depth=1
	s_delay_alu instid0(SALU_CYCLE_1)
	s_or_b32 exec_lo, exec_lo, s16
.LBB342_1130:                           ;   in Loop: Header=BB342_1066 Depth=1
	s_delay_alu instid0(SALU_CYCLE_1)
	s_or_b32 exec_lo, exec_lo, s1
	v_fma_mixlo_bf16 v3, v55, v3, 0
	v_fma_mixlo_bf16 v0, v55, v0, 0
	v_dual_add_nc_u32 v7, -1, v101 :: v_dual_add_nc_u32 v102, -7, v64
	v_fma_mixlo_bf16 v1, v55, v1, 0
	v_fma_mixlo_bf16 v57, v55, v6, 0
	scratch_store_b32 off, v0, s32 offset:216 ; 4-byte Folded Spill
	s_wait_xcnt 0x0
	v_fma_mixlo_bf16 v0, v55, v5, 0
	scratch_store_b32 off, v3, s32 offset:192 ; 4-byte Folded Spill
	s_wait_xcnt 0x0
	v_fma_mixlo_bf16 v3, v55, v4, 0
	v_cmp_eq_u32_e32 vcc_lo, v7, v66
	v_dual_add_nc_u32 v114, -6, v64 :: v_dual_add_nc_u32 v113, -5, v64
	s_clause 0x1
	scratch_store_b32 off, v0, s32 offset:196
	scratch_store_b32 off, v3, s32 offset:204
	s_wait_xcnt 0x1
	v_fma_mixlo_bf16 v0, v55, v8, 0
	scratch_store_b32 off, v1, s32 offset:208 ; 4-byte Folded Spill
	s_wait_xcnt 0x0
	v_fma_mixlo_bf16 v1, v55, v2, 0
	v_dual_add_nc_u32 v112, -4, v64 :: v_dual_add_nc_u32 v103, -3, v64
	v_dual_add_nc_u32 v101, -2, v64 :: v_dual_add_nc_u32 v100, -1, v64
	s_clause 0x1
	scratch_store_b32 off, v1, s32 offset:212
	scratch_store_b32 off, v0, s32 offset:200
	s_wait_xcnt 0x0
	s_and_saveexec_b32 s16, vcc_lo
	s_cbranch_execz .LBB342_1132
; %bb.1131:                             ;   in Loop: Header=BB342_1066 Depth=1
	scratch_load_b32 v0, off, s32 offset:216 ; 4-byte Folded Reload
	v_cmp_lt_i32_e64 s1, v102, v52
	s_wait_loadcnt 0x0
	s_delay_alu instid0(VALU_DEP_1)
	v_cndmask_b32_e64 v0, 0, v0, s1
	v_cmp_lt_i32_e64 s1, v114, v52
	s_clause 0x1
	scratch_store_b32 off, v0, s32 offset:216
	scratch_load_b32 v0, off, s32 offset:212
	s_wait_loadcnt 0x0
	v_cndmask_b32_e64 v0, 0, v0, s1
	v_cmp_lt_i32_e64 s1, v113, v52
	s_clause 0x1
	scratch_store_b32 off, v0, s32 offset:212
	scratch_load_b32 v0, off, s32 offset:208
	s_wait_loadcnt 0x0
	;; [unrolled: 6-line block ×4, first 2 shown]
	v_cndmask_b32_e64 v0, 0, v0, s1
	v_cmp_lt_i32_e64 s1, v101, v52
	s_clause 0x1
	scratch_store_b32 off, v0, s32 offset:192
	scratch_load_b32 v0, off, s32 offset:196
	v_cndmask_b32_e64 v57, 0, v57, s1
	v_cmp_lt_i32_e64 s1, v100, v52
	s_wait_loadcnt 0x0
	s_delay_alu instid0(VALU_DEP_1)
	v_cndmask_b32_e64 v0, 0, v0, s1
	v_cmp_lt_i32_e64 s1, v64, v52
	s_clause 0x1
	scratch_store_b32 off, v0, s32 offset:196
	scratch_load_b32 v0, off, s32 offset:200
	s_wait_loadcnt 0x0
	v_cndmask_b32_e64 v0, 0, v0, s1
	scratch_store_b32 off, v0, s32 offset:200 ; 4-byte Folded Spill
.LBB342_1132:                           ;   in Loop: Header=BB342_1066 Depth=1
	s_wait_xcnt 0x0
	s_or_b32 exec_lo, exec_lo, s16
	flat_load_b64 v[36:37], v[34:35] offset:256
	v_dual_mov_b32 v1, 0 :: v_dual_mov_b32 v0, 0
	s_mov_b32 s16, exec_lo
	s_wait_loadcnt_dscnt 0x0
	v_and_b32_e32 v2, 0xff, v36
	s_wait_xcnt 0x0
	s_delay_alu instid0(VALU_DEP_1)
	v_cmpx_ne_u16_e32 0, v2
	s_cbranch_execz .LBB342_1140
; %bb.1133:                             ;   in Loop: Header=BB342_1066 Depth=1
	v_bfrev_b32_e32 v0, 1
	s_mov_b32 s17, exec_lo
	v_cmpx_ne_u16_e32 0x80, v2
	s_cbranch_execz .LBB342_1139
; %bb.1134:                             ;   in Loop: Header=BB342_1066 Depth=1
	v_and_b32_e32 v2, 0x7f, v36
	v_mov_b32_e32 v0, 0x7f800001
	s_mov_b32 s18, exec_lo
	s_delay_alu instid0(VALU_DEP_2)
	v_cmpx_ne_u32_e32 0x7f, v2
	s_cbranch_execz .LBB342_1138
; %bb.1135:                             ;   in Loop: Header=BB342_1066 Depth=1
	v_mov_b64_e32 v[38:39], v[36:37]
	v_lshrrev_b32_e32 v0, 3, v2
	s_mov_b32 s19, exec_lo
	v_cmpx_gt_u32_e32 8, v2
; %bb.1136:                             ;   in Loop: Header=BB342_1066 Depth=1
	v_and_b32_e32 v0, 7, v36
	s_delay_alu instid0(VALU_DEP_1) | instskip(NEXT) | instid1(VALU_DEP_1)
	v_clz_i32_u32_e32 v0, v0
	v_min_u32_e32 v0, 32, v0
	s_delay_alu instid0(VALU_DEP_1) | instskip(SKIP_1) | instid1(VALU_DEP_2)
	v_subrev_nc_u32_e32 v2, 28, v0
	v_sub_nc_u32_e32 v0, 29, v0
	v_lshlrev_b64_e32 v[38:39], v2, v[36:37]
; %bb.1137:                             ;   in Loop: Header=BB342_1066 Depth=1
	s_or_b32 exec_lo, exec_lo, s19
	s_delay_alu instid0(VALU_DEP_1) | instskip(NEXT) | instid1(VALU_DEP_3)
	v_dual_lshlrev_b32 v2, 20, v38 :: v_dual_lshlrev_b32 v3, 24, v36
	v_lshl_add_u32 v0, v0, 23, 0x3c000000
	s_delay_alu instid0(VALU_DEP_2) | instskip(NEXT) | instid1(VALU_DEP_3)
	v_and_b32_e32 v2, 0x700000, v2
	v_and_b32_e32 v3, 0x80000000, v3
	s_delay_alu instid0(VALU_DEP_1)
	v_or3_b32 v0, v2, v3, v0
.LBB342_1138:                           ;   in Loop: Header=BB342_1066 Depth=1
	s_or_b32 exec_lo, exec_lo, s18
.LBB342_1139:                           ;   in Loop: Header=BB342_1066 Depth=1
	s_delay_alu instid0(SALU_CYCLE_1)
	s_or_b32 exec_lo, exec_lo, s17
.LBB342_1140:                           ;   in Loop: Header=BB342_1066 Depth=1
	s_delay_alu instid0(SALU_CYCLE_1) | instskip(SKIP_2) | instid1(VALU_DEP_1)
	s_or_b32 exec_lo, exec_lo, s16
	v_lshrrev_b16 v2, 8, v36
	s_mov_b32 s16, exec_lo
	v_cmpx_ne_u16_e32 0, v2
	s_cbranch_execz .LBB342_1148
; %bb.1141:                             ;   in Loop: Header=BB342_1066 Depth=1
	v_bfrev_b32_e32 v1, 1
	s_mov_b32 s17, exec_lo
	v_cmpx_ne_u16_e32 0x80, v2
	s_cbranch_execz .LBB342_1147
; %bb.1142:                             ;   in Loop: Header=BB342_1066 Depth=1
	v_and_b32_e32 v3, 0xffff, v2
	v_mov_b32_e32 v1, 0x7f800001
	s_mov_b32 s18, exec_lo
	s_delay_alu instid0(VALU_DEP_2) | instskip(NEXT) | instid1(VALU_DEP_1)
	v_and_b32_e32 v2, 0x7f, v3
	v_cmpx_ne_u32_e32 0x7f, v2
	s_cbranch_execz .LBB342_1146
; %bb.1143:                             ;   in Loop: Header=BB342_1066 Depth=1
	v_dual_lshrrev_b32 v1, 3, v2 :: v_dual_bitop2_b32 v22, 7, v3 bitop3:0x40
	s_mov_b32 s19, exec_lo
	s_delay_alu instid0(VALU_DEP_1)
	v_mov_b64_e32 v[38:39], v[22:23]
	v_cmpx_gt_u32_e32 8, v2
; %bb.1144:                             ;   in Loop: Header=BB342_1066 Depth=1
	v_clz_i32_u32_e32 v1, v22
	s_delay_alu instid0(VALU_DEP_1) | instskip(NEXT) | instid1(VALU_DEP_1)
	v_min_u32_e32 v1, 32, v1
	v_subrev_nc_u32_e32 v2, 28, v1
	s_delay_alu instid0(VALU_DEP_1) | instskip(NEXT) | instid1(VALU_DEP_1)
	v_lshlrev_b64_e32 v[2:3], v2, v[22:23]
	v_dual_sub_nc_u32 v1, 29, v1 :: v_dual_bitop2_b32 v38, 7, v2 bitop3:0x40
; %bb.1145:                             ;   in Loop: Header=BB342_1066 Depth=1
	s_or_b32 exec_lo, exec_lo, s19
	s_delay_alu instid0(VALU_DEP_1) | instskip(NEXT) | instid1(VALU_DEP_2)
	v_dual_lshlrev_b32 v2, 16, v36 :: v_dual_lshlrev_b32 v3, 20, v38
	v_lshl_add_u32 v1, v1, 23, 0x3c000000
	s_delay_alu instid0(VALU_DEP_2) | instskip(NEXT) | instid1(VALU_DEP_1)
	v_and_b32_e32 v2, 0x80000000, v2
	v_or3_b32 v1, v3, v2, v1
.LBB342_1146:                           ;   in Loop: Header=BB342_1066 Depth=1
	s_or_b32 exec_lo, exec_lo, s18
.LBB342_1147:                           ;   in Loop: Header=BB342_1066 Depth=1
	s_delay_alu instid0(SALU_CYCLE_1)
	s_or_b32 exec_lo, exec_lo, s17
.LBB342_1148:                           ;   in Loop: Header=BB342_1066 Depth=1
	s_delay_alu instid0(SALU_CYCLE_1) | instskip(SKIP_3) | instid1(VALU_DEP_2)
	s_or_b32 exec_lo, exec_lo, s16
	v_dual_mov_b32 v3, 0 :: v_dual_lshrrev_b32 v4, 16, v36
	v_mov_b32_e32 v2, 0
	s_mov_b32 s16, exec_lo
	v_and_b32_e32 v5, 0xff, v4
	s_delay_alu instid0(VALU_DEP_1)
	v_cmpx_ne_u16_e32 0, v5
	s_cbranch_execz .LBB342_1156
; %bb.1149:                             ;   in Loop: Header=BB342_1066 Depth=1
	v_bfrev_b32_e32 v2, 1
	s_mov_b32 s17, exec_lo
	v_cmpx_ne_u16_e32 0x80, v5
	s_cbranch_execz .LBB342_1155
; %bb.1150:                             ;   in Loop: Header=BB342_1066 Depth=1
	v_bfe_u32 v5, v36, 16, 7
	v_mov_b32_e32 v2, 0x7f800001
	s_mov_b32 s18, exec_lo
	s_delay_alu instid0(VALU_DEP_2)
	v_cmpx_ne_u32_e32 0x7f, v5
	s_cbranch_execz .LBB342_1154
; %bb.1151:                             ;   in Loop: Header=BB342_1066 Depth=1
	v_dual_lshrrev_b32 v2, 3, v5 :: v_dual_bitop2_b32 v22, 7, v4 bitop3:0x40
	s_mov_b32 s19, exec_lo
	s_delay_alu instid0(VALU_DEP_1)
	v_mov_b64_e32 v[38:39], v[22:23]
	v_cmpx_gt_u32_e32 8, v5
; %bb.1152:                             ;   in Loop: Header=BB342_1066 Depth=1
	v_clz_i32_u32_e32 v2, v22
	s_delay_alu instid0(VALU_DEP_1) | instskip(NEXT) | instid1(VALU_DEP_1)
	v_min_u32_e32 v2, 32, v2
	v_subrev_nc_u32_e32 v5, 28, v2
	v_sub_nc_u32_e32 v2, 29, v2
	s_delay_alu instid0(VALU_DEP_2) | instskip(NEXT) | instid1(VALU_DEP_1)
	v_lshlrev_b64_e32 v[6:7], v5, v[22:23]
	v_and_b32_e32 v38, 7, v6
; %bb.1153:                             ;   in Loop: Header=BB342_1066 Depth=1
	s_or_b32 exec_lo, exec_lo, s19
	s_delay_alu instid0(VALU_DEP_1) | instskip(SKIP_1) | instid1(VALU_DEP_2)
	v_dual_lshlrev_b32 v4, 24, v4 :: v_dual_lshlrev_b32 v5, 20, v38
	v_lshl_add_u32 v2, v2, 23, 0x3c000000
	v_and_b32_e32 v4, 0x80000000, v4
	s_delay_alu instid0(VALU_DEP_1)
	v_or3_b32 v2, v5, v4, v2
.LBB342_1154:                           ;   in Loop: Header=BB342_1066 Depth=1
	s_or_b32 exec_lo, exec_lo, s18
.LBB342_1155:                           ;   in Loop: Header=BB342_1066 Depth=1
	s_delay_alu instid0(SALU_CYCLE_1)
	s_or_b32 exec_lo, exec_lo, s17
.LBB342_1156:                           ;   in Loop: Header=BB342_1066 Depth=1
	s_delay_alu instid0(SALU_CYCLE_1) | instskip(NEXT) | instid1(SALU_CYCLE_1)
	s_or_b32 exec_lo, exec_lo, s16
	s_mov_b32 s16, exec_lo
	v_cmpx_lt_u32_e32 0xffffff, v36
	s_cbranch_execz .LBB342_1164
; %bb.1157:                             ;   in Loop: Header=BB342_1066 Depth=1
	v_lshrrev_b32_e32 v4, 24, v36
	v_bfrev_b32_e32 v3, 1
	s_mov_b32 s17, exec_lo
	s_delay_alu instid0(VALU_DEP_2)
	v_cmpx_ne_u32_e32 0x80, v4
	s_cbranch_execz .LBB342_1163
; %bb.1158:                             ;   in Loop: Header=BB342_1066 Depth=1
	v_bfe_u32 v5, v36, 24, 7
	v_mov_b32_e32 v3, 0x7f800001
	s_mov_b32 s18, exec_lo
	s_delay_alu instid0(VALU_DEP_2)
	v_cmpx_ne_u32_e32 0x7f, v5
	s_cbranch_execz .LBB342_1162
; %bb.1159:                             ;   in Loop: Header=BB342_1066 Depth=1
	v_dual_lshrrev_b32 v3, 3, v5 :: v_dual_bitop2_b32 v22, 7, v4 bitop3:0x40
	s_mov_b32 s19, exec_lo
	s_delay_alu instid0(VALU_DEP_1)
	v_mov_b64_e32 v[38:39], v[22:23]
	v_cmpx_gt_u32_e32 8, v5
; %bb.1160:                             ;   in Loop: Header=BB342_1066 Depth=1
	v_clz_i32_u32_e32 v3, v22
	s_delay_alu instid0(VALU_DEP_1) | instskip(NEXT) | instid1(VALU_DEP_1)
	v_min_u32_e32 v3, 32, v3
	v_subrev_nc_u32_e32 v5, 28, v3
	s_delay_alu instid0(VALU_DEP_1) | instskip(NEXT) | instid1(VALU_DEP_1)
	v_lshlrev_b64_e32 v[6:7], v5, v[22:23]
	v_dual_sub_nc_u32 v3, 29, v3 :: v_dual_bitop2_b32 v38, 7, v6 bitop3:0x40
; %bb.1161:                             ;   in Loop: Header=BB342_1066 Depth=1
	s_or_b32 exec_lo, exec_lo, s19
	s_delay_alu instid0(VALU_DEP_1) | instskip(NEXT) | instid1(VALU_DEP_2)
	v_dual_lshlrev_b32 v4, 24, v4 :: v_dual_lshlrev_b32 v5, 20, v38
	v_lshl_add_u32 v3, v3, 23, 0x3c000000
	s_delay_alu instid0(VALU_DEP_2) | instskip(NEXT) | instid1(VALU_DEP_1)
	v_and_b32_e32 v4, 0x80000000, v4
	v_or3_b32 v3, v5, v4, v3
.LBB342_1162:                           ;   in Loop: Header=BB342_1066 Depth=1
	s_or_b32 exec_lo, exec_lo, s18
.LBB342_1163:                           ;   in Loop: Header=BB342_1066 Depth=1
	s_delay_alu instid0(SALU_CYCLE_1)
	s_or_b32 exec_lo, exec_lo, s17
.LBB342_1164:                           ;   in Loop: Header=BB342_1066 Depth=1
	s_delay_alu instid0(SALU_CYCLE_1) | instskip(SKIP_4) | instid1(VALU_DEP_3)
	s_or_b32 exec_lo, exec_lo, s16
	v_and_b32_e32 v6, 0xff, v37
	v_dual_mov_b32 v22, v37 :: v_dual_mov_b32 v5, 0
	v_mov_b32_e32 v4, 0
	s_mov_b32 s16, exec_lo
	v_cmpx_ne_u16_e32 0, v6
	s_cbranch_execz .LBB342_1172
; %bb.1165:                             ;   in Loop: Header=BB342_1066 Depth=1
	v_bfrev_b32_e32 v4, 1
	s_mov_b32 s17, exec_lo
	v_cmpx_ne_u16_e32 0x80, v6
	s_cbranch_execz .LBB342_1171
; %bb.1166:                             ;   in Loop: Header=BB342_1066 Depth=1
	v_and_b32_e32 v6, 0x7f, v37
	v_mov_b32_e32 v4, 0x7f800001
	s_mov_b32 s18, exec_lo
	s_delay_alu instid0(VALU_DEP_2)
	v_cmpx_ne_u32_e32 0x7f, v6
	s_cbranch_execz .LBB342_1170
; %bb.1167:                             ;   in Loop: Header=BB342_1066 Depth=1
	v_mov_b64_e32 v[38:39], v[22:23]
	v_lshrrev_b32_e32 v4, 3, v6
	s_mov_b32 s19, exec_lo
	v_cmpx_gt_u32_e32 8, v6
; %bb.1168:                             ;   in Loop: Header=BB342_1066 Depth=1
	v_and_b32_e32 v4, 7, v37
	s_delay_alu instid0(VALU_DEP_1) | instskip(NEXT) | instid1(VALU_DEP_1)
	v_clz_i32_u32_e32 v4, v4
	v_min_u32_e32 v4, 32, v4
	s_delay_alu instid0(VALU_DEP_1) | instskip(SKIP_1) | instid1(VALU_DEP_2)
	v_subrev_nc_u32_e32 v6, 28, v4
	v_sub_nc_u32_e32 v4, 29, v4
	v_lshlrev_b64_e32 v[38:39], v6, v[22:23]
; %bb.1169:                             ;   in Loop: Header=BB342_1066 Depth=1
	s_or_b32 exec_lo, exec_lo, s19
	s_delay_alu instid0(VALU_DEP_1) | instskip(SKIP_2) | instid1(VALU_DEP_3)
	v_lshlrev_b32_e32 v6, 20, v38
	v_lshlrev_b32_e32 v7, 24, v22
	v_lshl_add_u32 v4, v4, 23, 0x3c000000
	v_and_b32_e32 v6, 0x700000, v6
	s_delay_alu instid0(VALU_DEP_3) | instskip(NEXT) | instid1(VALU_DEP_1)
	v_and_b32_e32 v7, 0x80000000, v7
	v_or3_b32 v4, v6, v7, v4
.LBB342_1170:                           ;   in Loop: Header=BB342_1066 Depth=1
	s_or_b32 exec_lo, exec_lo, s18
.LBB342_1171:                           ;   in Loop: Header=BB342_1066 Depth=1
	s_delay_alu instid0(SALU_CYCLE_1)
	s_or_b32 exec_lo, exec_lo, s17
.LBB342_1172:                           ;   in Loop: Header=BB342_1066 Depth=1
	s_delay_alu instid0(SALU_CYCLE_1) | instskip(SKIP_2) | instid1(VALU_DEP_1)
	s_or_b32 exec_lo, exec_lo, s16
	v_lshrrev_b16 v6, 8, v22
	s_mov_b32 s16, exec_lo
	v_cmpx_ne_u16_e32 0, v6
	s_cbranch_execz .LBB342_1180
; %bb.1173:                             ;   in Loop: Header=BB342_1066 Depth=1
	v_bfrev_b32_e32 v5, 1
	s_mov_b32 s17, exec_lo
	v_cmpx_ne_u16_e32 0x80, v6
	s_cbranch_execz .LBB342_1179
; %bb.1174:                             ;   in Loop: Header=BB342_1066 Depth=1
	v_and_b32_e32 v7, 0xffff, v6
	v_mov_b32_e32 v5, 0x7f800001
	s_mov_b32 s18, exec_lo
	s_delay_alu instid0(VALU_DEP_2) | instskip(NEXT) | instid1(VALU_DEP_1)
	v_and_b32_e32 v6, 0x7f, v7
	v_cmpx_ne_u32_e32 0x7f, v6
	s_cbranch_execz .LBB342_1178
; %bb.1175:                             ;   in Loop: Header=BB342_1066 Depth=1
	v_dual_mov_b32 v39, v23 :: v_dual_bitop2_b32 v38, 7, v7 bitop3:0x40
	v_lshrrev_b32_e32 v5, 3, v6
	s_mov_b32 s19, exec_lo
	v_cmpx_gt_u32_e32 8, v6
; %bb.1176:                             ;   in Loop: Header=BB342_1066 Depth=1
	s_delay_alu instid0(VALU_DEP_3) | instskip(NEXT) | instid1(VALU_DEP_1)
	v_clz_i32_u32_e32 v5, v38
	v_min_u32_e32 v5, 32, v5
	s_delay_alu instid0(VALU_DEP_1) | instskip(NEXT) | instid1(VALU_DEP_1)
	v_subrev_nc_u32_e32 v6, 28, v5
	v_lshlrev_b64_e32 v[6:7], v6, v[38:39]
	s_delay_alu instid0(VALU_DEP_1)
	v_dual_sub_nc_u32 v5, 29, v5 :: v_dual_bitop2_b32 v38, 7, v6 bitop3:0x40
; %bb.1177:                             ;   in Loop: Header=BB342_1066 Depth=1
	s_or_b32 exec_lo, exec_lo, s19
	v_lshlrev_b32_e32 v6, 16, v22
	s_delay_alu instid0(VALU_DEP_2) | instskip(NEXT) | instid1(VALU_DEP_3)
	v_lshlrev_b32_e32 v7, 20, v38
	v_lshl_add_u32 v5, v5, 23, 0x3c000000
	s_delay_alu instid0(VALU_DEP_3) | instskip(NEXT) | instid1(VALU_DEP_1)
	v_and_b32_e32 v6, 0x80000000, v6
	v_or3_b32 v5, v7, v6, v5
.LBB342_1178:                           ;   in Loop: Header=BB342_1066 Depth=1
	s_or_b32 exec_lo, exec_lo, s18
.LBB342_1179:                           ;   in Loop: Header=BB342_1066 Depth=1
	s_delay_alu instid0(SALU_CYCLE_1)
	s_or_b32 exec_lo, exec_lo, s17
.LBB342_1180:                           ;   in Loop: Header=BB342_1066 Depth=1
	s_delay_alu instid0(SALU_CYCLE_1) | instskip(SKIP_3) | instid1(VALU_DEP_2)
	s_or_b32 exec_lo, exec_lo, s16
	v_dual_lshrrev_b32 v8, 16, v37 :: v_dual_mov_b32 v6, 0
	v_mov_b32_e32 v7, 0
	s_mov_b32 s16, exec_lo
	v_and_b32_e32 v9, 0xff, v8
	s_delay_alu instid0(VALU_DEP_1)
	v_cmpx_ne_u16_e32 0, v9
	s_cbranch_execz .LBB342_1188
; %bb.1181:                             ;   in Loop: Header=BB342_1066 Depth=1
	v_bfrev_b32_e32 v7, 1
	s_mov_b32 s17, exec_lo
	v_cmpx_ne_u16_e32 0x80, v9
	s_cbranch_execz .LBB342_1187
; %bb.1182:                             ;   in Loop: Header=BB342_1066 Depth=1
	v_bfe_u32 v9, v37, 16, 7
	v_mov_b32_e32 v7, 0x7f800001
	s_mov_b32 s18, exec_lo
	s_delay_alu instid0(VALU_DEP_2)
	v_cmpx_ne_u32_e32 0x7f, v9
	s_cbranch_execz .LBB342_1186
; %bb.1183:                             ;   in Loop: Header=BB342_1066 Depth=1
	v_dual_lshrrev_b32 v7, 3, v9 :: v_dual_bitop2_b32 v22, 7, v8 bitop3:0x40
	s_mov_b32 s19, exec_lo
	s_delay_alu instid0(VALU_DEP_1)
	v_mov_b64_e32 v[38:39], v[22:23]
	v_cmpx_gt_u32_e32 8, v9
; %bb.1184:                             ;   in Loop: Header=BB342_1066 Depth=1
	v_clz_i32_u32_e32 v7, v22
	s_delay_alu instid0(VALU_DEP_1) | instskip(NEXT) | instid1(VALU_DEP_1)
	v_min_u32_e32 v7, 32, v7
	v_subrev_nc_u32_e32 v9, 28, v7
	s_delay_alu instid0(VALU_DEP_1) | instskip(NEXT) | instid1(VALU_DEP_1)
	v_lshlrev_b64_e32 v[18:19], v9, v[22:23]
	v_dual_sub_nc_u32 v7, 29, v7 :: v_dual_bitop2_b32 v38, 7, v18 bitop3:0x40
; %bb.1185:                             ;   in Loop: Header=BB342_1066 Depth=1
	s_or_b32 exec_lo, exec_lo, s19
	s_delay_alu instid0(VALU_DEP_1) | instskip(NEXT) | instid1(VALU_DEP_2)
	v_dual_lshlrev_b32 v8, 24, v8 :: v_dual_lshlrev_b32 v9, 20, v38
	v_lshl_add_u32 v7, v7, 23, 0x3c000000
	s_delay_alu instid0(VALU_DEP_2) | instskip(NEXT) | instid1(VALU_DEP_1)
	v_and_b32_e32 v8, 0x80000000, v8
	v_or3_b32 v7, v9, v8, v7
.LBB342_1186:                           ;   in Loop: Header=BB342_1066 Depth=1
	s_or_b32 exec_lo, exec_lo, s18
.LBB342_1187:                           ;   in Loop: Header=BB342_1066 Depth=1
	s_delay_alu instid0(SALU_CYCLE_1)
	s_or_b32 exec_lo, exec_lo, s17
.LBB342_1188:                           ;   in Loop: Header=BB342_1066 Depth=1
	s_delay_alu instid0(SALU_CYCLE_1) | instskip(NEXT) | instid1(SALU_CYCLE_1)
	s_or_b32 exec_lo, exec_lo, s16
	s_mov_b32 s16, exec_lo
	v_cmpx_lt_u64_e64 s[2:3], v[36:37]
	s_cbranch_execz .LBB342_1196
; %bb.1189:                             ;   in Loop: Header=BB342_1066 Depth=1
	v_lshrrev_b32_e32 v8, 24, v37
	v_bfrev_b32_e32 v6, 1
	s_mov_b32 s17, exec_lo
	s_delay_alu instid0(VALU_DEP_2)
	v_cmpx_ne_u32_e32 0x80, v8
	s_cbranch_execz .LBB342_1195
; %bb.1190:                             ;   in Loop: Header=BB342_1066 Depth=1
	v_bfe_u32 v9, v37, 24, 7
	v_mov_b32_e32 v6, 0x7f800001
	s_mov_b32 s18, exec_lo
	s_delay_alu instid0(VALU_DEP_2)
	v_cmpx_ne_u32_e32 0x7f, v9
	s_cbranch_execz .LBB342_1194
; %bb.1191:                             ;   in Loop: Header=BB342_1066 Depth=1
	v_dual_lshrrev_b32 v6, 3, v9 :: v_dual_bitop2_b32 v22, 7, v8 bitop3:0x40
	s_mov_b32 s19, exec_lo
	s_delay_alu instid0(VALU_DEP_1)
	v_mov_b64_e32 v[36:37], v[22:23]
	v_cmpx_gt_u32_e32 8, v9
; %bb.1192:                             ;   in Loop: Header=BB342_1066 Depth=1
	v_clz_i32_u32_e32 v6, v22
	s_delay_alu instid0(VALU_DEP_1) | instskip(NEXT) | instid1(VALU_DEP_1)
	v_min_u32_e32 v6, 32, v6
	v_subrev_nc_u32_e32 v9, 28, v6
	v_sub_nc_u32_e32 v6, 29, v6
	s_delay_alu instid0(VALU_DEP_2) | instskip(NEXT) | instid1(VALU_DEP_1)
	v_lshlrev_b64_e32 v[18:19], v9, v[22:23]
	v_and_b32_e32 v36, 7, v18
; %bb.1193:                             ;   in Loop: Header=BB342_1066 Depth=1
	s_or_b32 exec_lo, exec_lo, s19
	v_lshlrev_b32_e32 v8, 24, v8
	s_delay_alu instid0(VALU_DEP_2) | instskip(SKIP_1) | instid1(VALU_DEP_3)
	v_lshlrev_b32_e32 v9, 20, v36
	v_lshl_add_u32 v6, v6, 23, 0x3c000000
	v_and_b32_e32 v8, 0x80000000, v8
	s_delay_alu instid0(VALU_DEP_1)
	v_or3_b32 v6, v9, v8, v6
.LBB342_1194:                           ;   in Loop: Header=BB342_1066 Depth=1
	s_or_b32 exec_lo, exec_lo, s18
.LBB342_1195:                           ;   in Loop: Header=BB342_1066 Depth=1
	s_delay_alu instid0(SALU_CYCLE_1)
	s_or_b32 exec_lo, exec_lo, s17
.LBB342_1196:                           ;   in Loop: Header=BB342_1066 Depth=1
	s_delay_alu instid0(SALU_CYCLE_1)
	s_or_b32 exec_lo, exec_lo, s16
	v_fma_mixlo_bf16 v0, v55, v0, 0
	v_fma_mixlo_bf16 v5, v55, v5, 0
	;; [unrolled: 1-line block ×5, first 2 shown]
	scratch_store_b32 off, v0, s32 offset:248 ; 4-byte Folded Spill
	s_wait_xcnt 0x0
	v_fma_mixlo_bf16 v0, v55, v7, 0
	s_clause 0x1
	scratch_store_b32 off, v5, s32 offset:220
	scratch_store_b32 off, v4, s32 offset:224
	v_fma_mixlo_bf16 v1, v55, v1, 0
	s_clause 0x1
	scratch_store_b32 off, v3, s32 offset:236
	scratch_store_b32 off, v0, s32 offset:228
	s_wait_xcnt 0x0
	v_fma_mixlo_bf16 v0, v55, v6, 0
	s_clause 0x2
	scratch_store_b32 off, v2, s32 offset:240
	scratch_store_b32 off, v1, s32 offset:244
	;; [unrolled: 1-line block ×3, first 2 shown]
	s_wait_xcnt 0x0
	s_and_saveexec_b32 s16, vcc_lo
	s_cbranch_execz .LBB342_1198
; %bb.1197:                             ;   in Loop: Header=BB342_1066 Depth=1
	scratch_load_b32 v0, off, s32 offset:248 ; 4-byte Folded Reload
	v_cmp_lt_i32_e64 s1, v102, v52
	s_wait_loadcnt 0x0
	s_delay_alu instid0(VALU_DEP_1)
	v_cndmask_b32_e64 v0, 0, v0, s1
	v_cmp_lt_i32_e64 s1, v114, v52
	s_clause 0x1
	scratch_store_b32 off, v0, s32 offset:248
	scratch_load_b32 v0, off, s32 offset:244
	s_wait_loadcnt 0x0
	v_cndmask_b32_e64 v0, 0, v0, s1
	v_cmp_lt_i32_e64 s1, v113, v52
	s_clause 0x1
	scratch_store_b32 off, v0, s32 offset:244
	scratch_load_b32 v0, off, s32 offset:240
	s_wait_loadcnt 0x0
	;; [unrolled: 6-line block ×7, first 2 shown]
	v_cndmask_b32_e64 v0, 0, v0, s1
	scratch_store_b32 off, v0, s32 offset:232 ; 4-byte Folded Spill
.LBB342_1198:                           ;   in Loop: Header=BB342_1066 Depth=1
	s_wait_xcnt 0x0
	s_or_b32 exec_lo, exec_lo, s16
	flat_load_b64 v[36:37], v[34:35] offset:512
	v_dual_mov_b32 v1, 0 :: v_dual_mov_b32 v0, 0
	s_mov_b32 s16, exec_lo
	s_wait_loadcnt_dscnt 0x0
	v_and_b32_e32 v2, 0xff, v36
	s_wait_xcnt 0x0
	s_delay_alu instid0(VALU_DEP_1)
	v_cmpx_ne_u16_e32 0, v2
	s_cbranch_execz .LBB342_1206
; %bb.1199:                             ;   in Loop: Header=BB342_1066 Depth=1
	v_bfrev_b32_e32 v0, 1
	s_mov_b32 s17, exec_lo
	v_cmpx_ne_u16_e32 0x80, v2
	s_cbranch_execz .LBB342_1205
; %bb.1200:                             ;   in Loop: Header=BB342_1066 Depth=1
	v_and_b32_e32 v2, 0x7f, v36
	v_mov_b32_e32 v0, 0x7f800001
	s_mov_b32 s18, exec_lo
	s_delay_alu instid0(VALU_DEP_2)
	v_cmpx_ne_u32_e32 0x7f, v2
	s_cbranch_execz .LBB342_1204
; %bb.1201:                             ;   in Loop: Header=BB342_1066 Depth=1
	v_mov_b64_e32 v[38:39], v[36:37]
	v_lshrrev_b32_e32 v0, 3, v2
	s_mov_b32 s19, exec_lo
	v_cmpx_gt_u32_e32 8, v2
; %bb.1202:                             ;   in Loop: Header=BB342_1066 Depth=1
	v_and_b32_e32 v0, 7, v36
	s_delay_alu instid0(VALU_DEP_1) | instskip(NEXT) | instid1(VALU_DEP_1)
	v_clz_i32_u32_e32 v0, v0
	v_min_u32_e32 v0, 32, v0
	s_delay_alu instid0(VALU_DEP_1) | instskip(SKIP_1) | instid1(VALU_DEP_2)
	v_subrev_nc_u32_e32 v2, 28, v0
	v_sub_nc_u32_e32 v0, 29, v0
	v_lshlrev_b64_e32 v[38:39], v2, v[36:37]
; %bb.1203:                             ;   in Loop: Header=BB342_1066 Depth=1
	s_or_b32 exec_lo, exec_lo, s19
	s_delay_alu instid0(VALU_DEP_1) | instskip(NEXT) | instid1(VALU_DEP_3)
	v_dual_lshlrev_b32 v2, 20, v38 :: v_dual_lshlrev_b32 v3, 24, v36
	v_lshl_add_u32 v0, v0, 23, 0x3c000000
	s_delay_alu instid0(VALU_DEP_2) | instskip(NEXT) | instid1(VALU_DEP_3)
	v_and_b32_e32 v2, 0x700000, v2
	v_and_b32_e32 v3, 0x80000000, v3
	s_delay_alu instid0(VALU_DEP_1)
	v_or3_b32 v0, v2, v3, v0
.LBB342_1204:                           ;   in Loop: Header=BB342_1066 Depth=1
	s_or_b32 exec_lo, exec_lo, s18
.LBB342_1205:                           ;   in Loop: Header=BB342_1066 Depth=1
	s_delay_alu instid0(SALU_CYCLE_1)
	s_or_b32 exec_lo, exec_lo, s17
.LBB342_1206:                           ;   in Loop: Header=BB342_1066 Depth=1
	s_delay_alu instid0(SALU_CYCLE_1) | instskip(SKIP_2) | instid1(VALU_DEP_1)
	s_or_b32 exec_lo, exec_lo, s16
	v_lshrrev_b16 v2, 8, v36
	s_mov_b32 s16, exec_lo
	v_cmpx_ne_u16_e32 0, v2
	s_cbranch_execz .LBB342_1214
; %bb.1207:                             ;   in Loop: Header=BB342_1066 Depth=1
	v_bfrev_b32_e32 v1, 1
	s_mov_b32 s17, exec_lo
	v_cmpx_ne_u16_e32 0x80, v2
	s_cbranch_execz .LBB342_1213
; %bb.1208:                             ;   in Loop: Header=BB342_1066 Depth=1
	v_and_b32_e32 v3, 0xffff, v2
	v_mov_b32_e32 v1, 0x7f800001
	s_mov_b32 s18, exec_lo
	s_delay_alu instid0(VALU_DEP_2) | instskip(NEXT) | instid1(VALU_DEP_1)
	v_and_b32_e32 v2, 0x7f, v3
	v_cmpx_ne_u32_e32 0x7f, v2
	s_cbranch_execz .LBB342_1212
; %bb.1209:                             ;   in Loop: Header=BB342_1066 Depth=1
	v_dual_lshrrev_b32 v1, 3, v2 :: v_dual_bitop2_b32 v22, 7, v3 bitop3:0x40
	s_mov_b32 s19, exec_lo
	s_delay_alu instid0(VALU_DEP_1)
	v_mov_b64_e32 v[38:39], v[22:23]
	v_cmpx_gt_u32_e32 8, v2
; %bb.1210:                             ;   in Loop: Header=BB342_1066 Depth=1
	v_clz_i32_u32_e32 v1, v22
	s_delay_alu instid0(VALU_DEP_1) | instskip(NEXT) | instid1(VALU_DEP_1)
	v_min_u32_e32 v1, 32, v1
	v_subrev_nc_u32_e32 v2, 28, v1
	s_delay_alu instid0(VALU_DEP_1) | instskip(NEXT) | instid1(VALU_DEP_1)
	v_lshlrev_b64_e32 v[2:3], v2, v[22:23]
	v_dual_sub_nc_u32 v1, 29, v1 :: v_dual_bitop2_b32 v38, 7, v2 bitop3:0x40
; %bb.1211:                             ;   in Loop: Header=BB342_1066 Depth=1
	s_or_b32 exec_lo, exec_lo, s19
	s_delay_alu instid0(VALU_DEP_1) | instskip(NEXT) | instid1(VALU_DEP_2)
	v_dual_lshlrev_b32 v2, 16, v36 :: v_dual_lshlrev_b32 v3, 20, v38
	v_lshl_add_u32 v1, v1, 23, 0x3c000000
	s_delay_alu instid0(VALU_DEP_2) | instskip(NEXT) | instid1(VALU_DEP_1)
	v_and_b32_e32 v2, 0x80000000, v2
	v_or3_b32 v1, v3, v2, v1
.LBB342_1212:                           ;   in Loop: Header=BB342_1066 Depth=1
	s_or_b32 exec_lo, exec_lo, s18
.LBB342_1213:                           ;   in Loop: Header=BB342_1066 Depth=1
	s_delay_alu instid0(SALU_CYCLE_1)
	s_or_b32 exec_lo, exec_lo, s17
.LBB342_1214:                           ;   in Loop: Header=BB342_1066 Depth=1
	s_delay_alu instid0(SALU_CYCLE_1) | instskip(SKIP_3) | instid1(VALU_DEP_2)
	s_or_b32 exec_lo, exec_lo, s16
	v_dual_mov_b32 v3, 0 :: v_dual_lshrrev_b32 v4, 16, v36
	v_mov_b32_e32 v2, 0
	s_mov_b32 s16, exec_lo
	v_and_b32_e32 v5, 0xff, v4
	s_delay_alu instid0(VALU_DEP_1)
	v_cmpx_ne_u16_e32 0, v5
	s_cbranch_execz .LBB342_1222
; %bb.1215:                             ;   in Loop: Header=BB342_1066 Depth=1
	v_bfrev_b32_e32 v2, 1
	s_mov_b32 s17, exec_lo
	v_cmpx_ne_u16_e32 0x80, v5
	s_cbranch_execz .LBB342_1221
; %bb.1216:                             ;   in Loop: Header=BB342_1066 Depth=1
	v_bfe_u32 v5, v36, 16, 7
	v_mov_b32_e32 v2, 0x7f800001
	s_mov_b32 s18, exec_lo
	s_delay_alu instid0(VALU_DEP_2)
	v_cmpx_ne_u32_e32 0x7f, v5
	s_cbranch_execz .LBB342_1220
; %bb.1217:                             ;   in Loop: Header=BB342_1066 Depth=1
	v_dual_lshrrev_b32 v2, 3, v5 :: v_dual_bitop2_b32 v22, 7, v4 bitop3:0x40
	s_mov_b32 s19, exec_lo
	s_delay_alu instid0(VALU_DEP_1)
	v_mov_b64_e32 v[38:39], v[22:23]
	v_cmpx_gt_u32_e32 8, v5
; %bb.1218:                             ;   in Loop: Header=BB342_1066 Depth=1
	v_clz_i32_u32_e32 v2, v22
	s_delay_alu instid0(VALU_DEP_1) | instskip(NEXT) | instid1(VALU_DEP_1)
	v_min_u32_e32 v2, 32, v2
	v_subrev_nc_u32_e32 v5, 28, v2
	v_sub_nc_u32_e32 v2, 29, v2
	s_delay_alu instid0(VALU_DEP_2) | instskip(NEXT) | instid1(VALU_DEP_1)
	v_lshlrev_b64_e32 v[6:7], v5, v[22:23]
	v_and_b32_e32 v38, 7, v6
; %bb.1219:                             ;   in Loop: Header=BB342_1066 Depth=1
	s_or_b32 exec_lo, exec_lo, s19
	s_delay_alu instid0(VALU_DEP_1) | instskip(SKIP_1) | instid1(VALU_DEP_2)
	v_dual_lshlrev_b32 v4, 24, v4 :: v_dual_lshlrev_b32 v5, 20, v38
	v_lshl_add_u32 v2, v2, 23, 0x3c000000
	v_and_b32_e32 v4, 0x80000000, v4
	s_delay_alu instid0(VALU_DEP_1)
	v_or3_b32 v2, v5, v4, v2
.LBB342_1220:                           ;   in Loop: Header=BB342_1066 Depth=1
	s_or_b32 exec_lo, exec_lo, s18
.LBB342_1221:                           ;   in Loop: Header=BB342_1066 Depth=1
	s_delay_alu instid0(SALU_CYCLE_1)
	s_or_b32 exec_lo, exec_lo, s17
.LBB342_1222:                           ;   in Loop: Header=BB342_1066 Depth=1
	s_delay_alu instid0(SALU_CYCLE_1) | instskip(NEXT) | instid1(SALU_CYCLE_1)
	s_or_b32 exec_lo, exec_lo, s16
	s_mov_b32 s16, exec_lo
	v_cmpx_lt_u32_e32 0xffffff, v36
	s_cbranch_execz .LBB342_1230
; %bb.1223:                             ;   in Loop: Header=BB342_1066 Depth=1
	v_lshrrev_b32_e32 v4, 24, v36
	v_bfrev_b32_e32 v3, 1
	s_mov_b32 s17, exec_lo
	s_delay_alu instid0(VALU_DEP_2)
	v_cmpx_ne_u32_e32 0x80, v4
	s_cbranch_execz .LBB342_1229
; %bb.1224:                             ;   in Loop: Header=BB342_1066 Depth=1
	v_bfe_u32 v5, v36, 24, 7
	v_mov_b32_e32 v3, 0x7f800001
	s_mov_b32 s18, exec_lo
	s_delay_alu instid0(VALU_DEP_2)
	v_cmpx_ne_u32_e32 0x7f, v5
	s_cbranch_execz .LBB342_1228
; %bb.1225:                             ;   in Loop: Header=BB342_1066 Depth=1
	v_dual_lshrrev_b32 v3, 3, v5 :: v_dual_bitop2_b32 v22, 7, v4 bitop3:0x40
	s_mov_b32 s19, exec_lo
	s_delay_alu instid0(VALU_DEP_1)
	v_mov_b64_e32 v[38:39], v[22:23]
	v_cmpx_gt_u32_e32 8, v5
; %bb.1226:                             ;   in Loop: Header=BB342_1066 Depth=1
	v_clz_i32_u32_e32 v3, v22
	s_delay_alu instid0(VALU_DEP_1) | instskip(NEXT) | instid1(VALU_DEP_1)
	v_min_u32_e32 v3, 32, v3
	v_subrev_nc_u32_e32 v5, 28, v3
	s_delay_alu instid0(VALU_DEP_1) | instskip(NEXT) | instid1(VALU_DEP_1)
	v_lshlrev_b64_e32 v[6:7], v5, v[22:23]
	v_dual_sub_nc_u32 v3, 29, v3 :: v_dual_bitop2_b32 v38, 7, v6 bitop3:0x40
; %bb.1227:                             ;   in Loop: Header=BB342_1066 Depth=1
	s_or_b32 exec_lo, exec_lo, s19
	s_delay_alu instid0(VALU_DEP_1) | instskip(NEXT) | instid1(VALU_DEP_2)
	v_dual_lshlrev_b32 v4, 24, v4 :: v_dual_lshlrev_b32 v5, 20, v38
	v_lshl_add_u32 v3, v3, 23, 0x3c000000
	s_delay_alu instid0(VALU_DEP_2) | instskip(NEXT) | instid1(VALU_DEP_1)
	v_and_b32_e32 v4, 0x80000000, v4
	v_or3_b32 v3, v5, v4, v3
.LBB342_1228:                           ;   in Loop: Header=BB342_1066 Depth=1
	s_or_b32 exec_lo, exec_lo, s18
.LBB342_1229:                           ;   in Loop: Header=BB342_1066 Depth=1
	s_delay_alu instid0(SALU_CYCLE_1)
	s_or_b32 exec_lo, exec_lo, s17
.LBB342_1230:                           ;   in Loop: Header=BB342_1066 Depth=1
	s_delay_alu instid0(SALU_CYCLE_1) | instskip(SKIP_4) | instid1(VALU_DEP_3)
	s_or_b32 exec_lo, exec_lo, s16
	v_and_b32_e32 v6, 0xff, v37
	v_dual_mov_b32 v22, v37 :: v_dual_mov_b32 v5, 0
	v_mov_b32_e32 v4, 0
	s_mov_b32 s16, exec_lo
	v_cmpx_ne_u16_e32 0, v6
	s_cbranch_execz .LBB342_1238
; %bb.1231:                             ;   in Loop: Header=BB342_1066 Depth=1
	v_bfrev_b32_e32 v4, 1
	s_mov_b32 s17, exec_lo
	v_cmpx_ne_u16_e32 0x80, v6
	s_cbranch_execz .LBB342_1237
; %bb.1232:                             ;   in Loop: Header=BB342_1066 Depth=1
	v_and_b32_e32 v6, 0x7f, v37
	v_mov_b32_e32 v4, 0x7f800001
	s_mov_b32 s18, exec_lo
	s_delay_alu instid0(VALU_DEP_2)
	v_cmpx_ne_u32_e32 0x7f, v6
	s_cbranch_execz .LBB342_1236
; %bb.1233:                             ;   in Loop: Header=BB342_1066 Depth=1
	v_mov_b64_e32 v[38:39], v[22:23]
	v_lshrrev_b32_e32 v4, 3, v6
	s_mov_b32 s19, exec_lo
	v_cmpx_gt_u32_e32 8, v6
; %bb.1234:                             ;   in Loop: Header=BB342_1066 Depth=1
	v_and_b32_e32 v4, 7, v37
	s_delay_alu instid0(VALU_DEP_1) | instskip(NEXT) | instid1(VALU_DEP_1)
	v_clz_i32_u32_e32 v4, v4
	v_min_u32_e32 v4, 32, v4
	s_delay_alu instid0(VALU_DEP_1) | instskip(SKIP_1) | instid1(VALU_DEP_2)
	v_subrev_nc_u32_e32 v6, 28, v4
	v_sub_nc_u32_e32 v4, 29, v4
	v_lshlrev_b64_e32 v[38:39], v6, v[22:23]
; %bb.1235:                             ;   in Loop: Header=BB342_1066 Depth=1
	s_or_b32 exec_lo, exec_lo, s19
	s_delay_alu instid0(VALU_DEP_1) | instskip(SKIP_2) | instid1(VALU_DEP_3)
	v_lshlrev_b32_e32 v6, 20, v38
	v_lshlrev_b32_e32 v7, 24, v22
	v_lshl_add_u32 v4, v4, 23, 0x3c000000
	v_and_b32_e32 v6, 0x700000, v6
	s_delay_alu instid0(VALU_DEP_3) | instskip(NEXT) | instid1(VALU_DEP_1)
	v_and_b32_e32 v7, 0x80000000, v7
	v_or3_b32 v4, v6, v7, v4
.LBB342_1236:                           ;   in Loop: Header=BB342_1066 Depth=1
	s_or_b32 exec_lo, exec_lo, s18
.LBB342_1237:                           ;   in Loop: Header=BB342_1066 Depth=1
	s_delay_alu instid0(SALU_CYCLE_1)
	s_or_b32 exec_lo, exec_lo, s17
.LBB342_1238:                           ;   in Loop: Header=BB342_1066 Depth=1
	s_delay_alu instid0(SALU_CYCLE_1) | instskip(SKIP_2) | instid1(VALU_DEP_1)
	s_or_b32 exec_lo, exec_lo, s16
	v_lshrrev_b16 v6, 8, v22
	s_mov_b32 s16, exec_lo
	v_cmpx_ne_u16_e32 0, v6
	s_cbranch_execz .LBB342_1246
; %bb.1239:                             ;   in Loop: Header=BB342_1066 Depth=1
	v_bfrev_b32_e32 v5, 1
	s_mov_b32 s17, exec_lo
	v_cmpx_ne_u16_e32 0x80, v6
	s_cbranch_execz .LBB342_1245
; %bb.1240:                             ;   in Loop: Header=BB342_1066 Depth=1
	v_and_b32_e32 v7, 0xffff, v6
	v_mov_b32_e32 v5, 0x7f800001
	s_mov_b32 s18, exec_lo
	s_delay_alu instid0(VALU_DEP_2) | instskip(NEXT) | instid1(VALU_DEP_1)
	v_and_b32_e32 v6, 0x7f, v7
	v_cmpx_ne_u32_e32 0x7f, v6
	s_cbranch_execz .LBB342_1244
; %bb.1241:                             ;   in Loop: Header=BB342_1066 Depth=1
	v_dual_mov_b32 v39, v23 :: v_dual_bitop2_b32 v38, 7, v7 bitop3:0x40
	v_lshrrev_b32_e32 v5, 3, v6
	s_mov_b32 s19, exec_lo
	v_cmpx_gt_u32_e32 8, v6
; %bb.1242:                             ;   in Loop: Header=BB342_1066 Depth=1
	s_delay_alu instid0(VALU_DEP_3) | instskip(NEXT) | instid1(VALU_DEP_1)
	v_clz_i32_u32_e32 v5, v38
	v_min_u32_e32 v5, 32, v5
	s_delay_alu instid0(VALU_DEP_1) | instskip(NEXT) | instid1(VALU_DEP_1)
	v_subrev_nc_u32_e32 v6, 28, v5
	v_lshlrev_b64_e32 v[6:7], v6, v[38:39]
	s_delay_alu instid0(VALU_DEP_1)
	v_dual_sub_nc_u32 v5, 29, v5 :: v_dual_bitop2_b32 v38, 7, v6 bitop3:0x40
; %bb.1243:                             ;   in Loop: Header=BB342_1066 Depth=1
	s_or_b32 exec_lo, exec_lo, s19
	v_lshlrev_b32_e32 v6, 16, v22
	s_delay_alu instid0(VALU_DEP_2) | instskip(NEXT) | instid1(VALU_DEP_3)
	v_lshlrev_b32_e32 v7, 20, v38
	v_lshl_add_u32 v5, v5, 23, 0x3c000000
	s_delay_alu instid0(VALU_DEP_3) | instskip(NEXT) | instid1(VALU_DEP_1)
	v_and_b32_e32 v6, 0x80000000, v6
	v_or3_b32 v5, v7, v6, v5
.LBB342_1244:                           ;   in Loop: Header=BB342_1066 Depth=1
	s_or_b32 exec_lo, exec_lo, s18
.LBB342_1245:                           ;   in Loop: Header=BB342_1066 Depth=1
	s_delay_alu instid0(SALU_CYCLE_1)
	s_or_b32 exec_lo, exec_lo, s17
.LBB342_1246:                           ;   in Loop: Header=BB342_1066 Depth=1
	s_delay_alu instid0(SALU_CYCLE_1) | instskip(SKIP_3) | instid1(VALU_DEP_2)
	s_or_b32 exec_lo, exec_lo, s16
	v_dual_lshrrev_b32 v8, 16, v37 :: v_dual_mov_b32 v6, 0
	v_mov_b32_e32 v7, 0
	s_mov_b32 s16, exec_lo
	v_and_b32_e32 v9, 0xff, v8
	s_delay_alu instid0(VALU_DEP_1)
	v_cmpx_ne_u16_e32 0, v9
	s_cbranch_execz .LBB342_1254
; %bb.1247:                             ;   in Loop: Header=BB342_1066 Depth=1
	v_bfrev_b32_e32 v7, 1
	s_mov_b32 s17, exec_lo
	v_cmpx_ne_u16_e32 0x80, v9
	s_cbranch_execz .LBB342_1253
; %bb.1248:                             ;   in Loop: Header=BB342_1066 Depth=1
	v_bfe_u32 v9, v37, 16, 7
	v_mov_b32_e32 v7, 0x7f800001
	s_mov_b32 s18, exec_lo
	s_delay_alu instid0(VALU_DEP_2)
	v_cmpx_ne_u32_e32 0x7f, v9
	s_cbranch_execz .LBB342_1252
; %bb.1249:                             ;   in Loop: Header=BB342_1066 Depth=1
	v_dual_lshrrev_b32 v7, 3, v9 :: v_dual_bitop2_b32 v22, 7, v8 bitop3:0x40
	s_mov_b32 s19, exec_lo
	s_delay_alu instid0(VALU_DEP_1)
	v_mov_b64_e32 v[38:39], v[22:23]
	v_cmpx_gt_u32_e32 8, v9
; %bb.1250:                             ;   in Loop: Header=BB342_1066 Depth=1
	v_clz_i32_u32_e32 v7, v22
	s_delay_alu instid0(VALU_DEP_1) | instskip(NEXT) | instid1(VALU_DEP_1)
	v_min_u32_e32 v7, 32, v7
	v_subrev_nc_u32_e32 v9, 28, v7
	s_delay_alu instid0(VALU_DEP_1) | instskip(NEXT) | instid1(VALU_DEP_1)
	v_lshlrev_b64_e32 v[18:19], v9, v[22:23]
	v_dual_sub_nc_u32 v7, 29, v7 :: v_dual_bitop2_b32 v38, 7, v18 bitop3:0x40
; %bb.1251:                             ;   in Loop: Header=BB342_1066 Depth=1
	s_or_b32 exec_lo, exec_lo, s19
	s_delay_alu instid0(VALU_DEP_1) | instskip(NEXT) | instid1(VALU_DEP_2)
	v_dual_lshlrev_b32 v8, 24, v8 :: v_dual_lshlrev_b32 v9, 20, v38
	v_lshl_add_u32 v7, v7, 23, 0x3c000000
	s_delay_alu instid0(VALU_DEP_2) | instskip(NEXT) | instid1(VALU_DEP_1)
	v_and_b32_e32 v8, 0x80000000, v8
	v_or3_b32 v7, v9, v8, v7
.LBB342_1252:                           ;   in Loop: Header=BB342_1066 Depth=1
	s_or_b32 exec_lo, exec_lo, s18
.LBB342_1253:                           ;   in Loop: Header=BB342_1066 Depth=1
	s_delay_alu instid0(SALU_CYCLE_1)
	s_or_b32 exec_lo, exec_lo, s17
.LBB342_1254:                           ;   in Loop: Header=BB342_1066 Depth=1
	s_delay_alu instid0(SALU_CYCLE_1) | instskip(NEXT) | instid1(SALU_CYCLE_1)
	s_or_b32 exec_lo, exec_lo, s16
	s_mov_b32 s16, exec_lo
	v_cmpx_lt_u64_e64 s[2:3], v[36:37]
	s_cbranch_execz .LBB342_1262
; %bb.1255:                             ;   in Loop: Header=BB342_1066 Depth=1
	v_lshrrev_b32_e32 v8, 24, v37
	v_bfrev_b32_e32 v6, 1
	s_mov_b32 s17, exec_lo
	s_delay_alu instid0(VALU_DEP_2)
	v_cmpx_ne_u32_e32 0x80, v8
	s_cbranch_execz .LBB342_1261
; %bb.1256:                             ;   in Loop: Header=BB342_1066 Depth=1
	v_bfe_u32 v9, v37, 24, 7
	v_mov_b32_e32 v6, 0x7f800001
	s_mov_b32 s18, exec_lo
	s_delay_alu instid0(VALU_DEP_2)
	v_cmpx_ne_u32_e32 0x7f, v9
	s_cbranch_execz .LBB342_1260
; %bb.1257:                             ;   in Loop: Header=BB342_1066 Depth=1
	v_dual_lshrrev_b32 v6, 3, v9 :: v_dual_bitop2_b32 v22, 7, v8 bitop3:0x40
	s_mov_b32 s19, exec_lo
	s_delay_alu instid0(VALU_DEP_1)
	v_mov_b64_e32 v[36:37], v[22:23]
	v_cmpx_gt_u32_e32 8, v9
; %bb.1258:                             ;   in Loop: Header=BB342_1066 Depth=1
	v_clz_i32_u32_e32 v6, v22
	s_delay_alu instid0(VALU_DEP_1) | instskip(NEXT) | instid1(VALU_DEP_1)
	v_min_u32_e32 v6, 32, v6
	v_subrev_nc_u32_e32 v9, 28, v6
	v_sub_nc_u32_e32 v6, 29, v6
	s_delay_alu instid0(VALU_DEP_2) | instskip(NEXT) | instid1(VALU_DEP_1)
	v_lshlrev_b64_e32 v[18:19], v9, v[22:23]
	v_and_b32_e32 v36, 7, v18
; %bb.1259:                             ;   in Loop: Header=BB342_1066 Depth=1
	s_or_b32 exec_lo, exec_lo, s19
	v_lshlrev_b32_e32 v8, 24, v8
	s_delay_alu instid0(VALU_DEP_2) | instskip(SKIP_1) | instid1(VALU_DEP_3)
	v_lshlrev_b32_e32 v9, 20, v36
	v_lshl_add_u32 v6, v6, 23, 0x3c000000
	v_and_b32_e32 v8, 0x80000000, v8
	s_delay_alu instid0(VALU_DEP_1)
	v_or3_b32 v6, v9, v8, v6
.LBB342_1260:                           ;   in Loop: Header=BB342_1066 Depth=1
	s_or_b32 exec_lo, exec_lo, s18
.LBB342_1261:                           ;   in Loop: Header=BB342_1066 Depth=1
	s_delay_alu instid0(SALU_CYCLE_1)
	s_or_b32 exec_lo, exec_lo, s17
.LBB342_1262:                           ;   in Loop: Header=BB342_1066 Depth=1
	s_delay_alu instid0(SALU_CYCLE_1)
	s_or_b32 exec_lo, exec_lo, s16
	v_fma_mixlo_bf16 v0, v55, v0, 0
	v_fma_mixlo_bf16 v5, v55, v5, 0
	;; [unrolled: 1-line block ×5, first 2 shown]
	scratch_store_b32 off, v0, s32 offset:284 ; 4-byte Folded Spill
	s_wait_xcnt 0x0
	v_fma_mixlo_bf16 v0, v55, v7, 0
	s_clause 0x1
	scratch_store_b32 off, v5, s32 offset:252
	scratch_store_b32 off, v4, s32 offset:260
	v_fma_mixlo_bf16 v1, v55, v1, 0
	s_clause 0x1
	scratch_store_b32 off, v3, s32 offset:272
	scratch_store_b32 off, v0, s32 offset:264
	s_wait_xcnt 0x0
	v_fma_mixlo_bf16 v0, v55, v6, 0
	s_clause 0x2
	scratch_store_b32 off, v2, s32 offset:276
	scratch_store_b32 off, v1, s32 offset:280
	;; [unrolled: 1-line block ×3, first 2 shown]
	s_wait_xcnt 0x0
	s_and_saveexec_b32 s16, vcc_lo
	s_cbranch_execz .LBB342_1264
; %bb.1263:                             ;   in Loop: Header=BB342_1066 Depth=1
	scratch_load_b32 v0, off, s32 offset:284 ; 4-byte Folded Reload
	v_cmp_lt_i32_e64 s1, v102, v52
	s_wait_loadcnt 0x0
	s_delay_alu instid0(VALU_DEP_1)
	v_cndmask_b32_e64 v0, 0, v0, s1
	v_cmp_lt_i32_e64 s1, v114, v52
	s_clause 0x1
	scratch_store_b32 off, v0, s32 offset:284
	scratch_load_b32 v0, off, s32 offset:280
	s_wait_loadcnt 0x0
	v_cndmask_b32_e64 v0, 0, v0, s1
	v_cmp_lt_i32_e64 s1, v113, v52
	s_clause 0x1
	scratch_store_b32 off, v0, s32 offset:280
	scratch_load_b32 v0, off, s32 offset:276
	s_wait_loadcnt 0x0
	;; [unrolled: 6-line block ×7, first 2 shown]
	v_cndmask_b32_e64 v0, 0, v0, s1
	scratch_store_b32 off, v0, s32 offset:268 ; 4-byte Folded Spill
.LBB342_1264:                           ;   in Loop: Header=BB342_1066 Depth=1
	s_wait_xcnt 0x0
	s_or_b32 exec_lo, exec_lo, s16
	flat_load_b64 v[36:37], v[34:35] offset:768
	v_dual_mov_b32 v1, 0 :: v_dual_mov_b32 v0, 0
	s_mov_b32 s16, exec_lo
	s_wait_loadcnt_dscnt 0x0
	v_and_b32_e32 v2, 0xff, v36
	s_wait_xcnt 0x0
	s_delay_alu instid0(VALU_DEP_1)
	v_cmpx_ne_u16_e32 0, v2
	s_cbranch_execz .LBB342_1272
; %bb.1265:                             ;   in Loop: Header=BB342_1066 Depth=1
	v_bfrev_b32_e32 v0, 1
	s_mov_b32 s17, exec_lo
	v_cmpx_ne_u16_e32 0x80, v2
	s_cbranch_execz .LBB342_1271
; %bb.1266:                             ;   in Loop: Header=BB342_1066 Depth=1
	v_and_b32_e32 v2, 0x7f, v36
	v_mov_b32_e32 v0, 0x7f800001
	s_mov_b32 s18, exec_lo
	s_delay_alu instid0(VALU_DEP_2)
	v_cmpx_ne_u32_e32 0x7f, v2
	s_cbranch_execz .LBB342_1270
; %bb.1267:                             ;   in Loop: Header=BB342_1066 Depth=1
	v_mov_b64_e32 v[38:39], v[36:37]
	v_lshrrev_b32_e32 v0, 3, v2
	s_mov_b32 s19, exec_lo
	v_cmpx_gt_u32_e32 8, v2
; %bb.1268:                             ;   in Loop: Header=BB342_1066 Depth=1
	v_and_b32_e32 v0, 7, v36
	s_delay_alu instid0(VALU_DEP_1) | instskip(NEXT) | instid1(VALU_DEP_1)
	v_clz_i32_u32_e32 v0, v0
	v_min_u32_e32 v0, 32, v0
	s_delay_alu instid0(VALU_DEP_1) | instskip(SKIP_1) | instid1(VALU_DEP_2)
	v_subrev_nc_u32_e32 v2, 28, v0
	v_sub_nc_u32_e32 v0, 29, v0
	v_lshlrev_b64_e32 v[38:39], v2, v[36:37]
; %bb.1269:                             ;   in Loop: Header=BB342_1066 Depth=1
	s_or_b32 exec_lo, exec_lo, s19
	s_delay_alu instid0(VALU_DEP_1) | instskip(NEXT) | instid1(VALU_DEP_3)
	v_dual_lshlrev_b32 v2, 20, v38 :: v_dual_lshlrev_b32 v3, 24, v36
	v_lshl_add_u32 v0, v0, 23, 0x3c000000
	s_delay_alu instid0(VALU_DEP_2) | instskip(NEXT) | instid1(VALU_DEP_3)
	v_and_b32_e32 v2, 0x700000, v2
	v_and_b32_e32 v3, 0x80000000, v3
	s_delay_alu instid0(VALU_DEP_1)
	v_or3_b32 v0, v2, v3, v0
.LBB342_1270:                           ;   in Loop: Header=BB342_1066 Depth=1
	s_or_b32 exec_lo, exec_lo, s18
.LBB342_1271:                           ;   in Loop: Header=BB342_1066 Depth=1
	s_delay_alu instid0(SALU_CYCLE_1)
	s_or_b32 exec_lo, exec_lo, s17
.LBB342_1272:                           ;   in Loop: Header=BB342_1066 Depth=1
	s_delay_alu instid0(SALU_CYCLE_1) | instskip(SKIP_2) | instid1(VALU_DEP_1)
	s_or_b32 exec_lo, exec_lo, s16
	v_lshrrev_b16 v2, 8, v36
	s_mov_b32 s16, exec_lo
	v_cmpx_ne_u16_e32 0, v2
	s_cbranch_execz .LBB342_1280
; %bb.1273:                             ;   in Loop: Header=BB342_1066 Depth=1
	v_bfrev_b32_e32 v1, 1
	s_mov_b32 s17, exec_lo
	v_cmpx_ne_u16_e32 0x80, v2
	s_cbranch_execz .LBB342_1279
; %bb.1274:                             ;   in Loop: Header=BB342_1066 Depth=1
	v_and_b32_e32 v3, 0xffff, v2
	v_mov_b32_e32 v1, 0x7f800001
	s_mov_b32 s18, exec_lo
	s_delay_alu instid0(VALU_DEP_2) | instskip(NEXT) | instid1(VALU_DEP_1)
	v_and_b32_e32 v2, 0x7f, v3
	v_cmpx_ne_u32_e32 0x7f, v2
	s_cbranch_execz .LBB342_1278
; %bb.1275:                             ;   in Loop: Header=BB342_1066 Depth=1
	v_dual_lshrrev_b32 v1, 3, v2 :: v_dual_bitop2_b32 v22, 7, v3 bitop3:0x40
	s_mov_b32 s19, exec_lo
	s_delay_alu instid0(VALU_DEP_1)
	v_mov_b64_e32 v[38:39], v[22:23]
	v_cmpx_gt_u32_e32 8, v2
; %bb.1276:                             ;   in Loop: Header=BB342_1066 Depth=1
	v_clz_i32_u32_e32 v1, v22
	s_delay_alu instid0(VALU_DEP_1) | instskip(NEXT) | instid1(VALU_DEP_1)
	v_min_u32_e32 v1, 32, v1
	v_subrev_nc_u32_e32 v2, 28, v1
	s_delay_alu instid0(VALU_DEP_1) | instskip(NEXT) | instid1(VALU_DEP_1)
	v_lshlrev_b64_e32 v[2:3], v2, v[22:23]
	v_dual_sub_nc_u32 v1, 29, v1 :: v_dual_bitop2_b32 v38, 7, v2 bitop3:0x40
; %bb.1277:                             ;   in Loop: Header=BB342_1066 Depth=1
	s_or_b32 exec_lo, exec_lo, s19
	s_delay_alu instid0(VALU_DEP_1) | instskip(NEXT) | instid1(VALU_DEP_2)
	v_dual_lshlrev_b32 v2, 16, v36 :: v_dual_lshlrev_b32 v3, 20, v38
	v_lshl_add_u32 v1, v1, 23, 0x3c000000
	s_delay_alu instid0(VALU_DEP_2) | instskip(NEXT) | instid1(VALU_DEP_1)
	v_and_b32_e32 v2, 0x80000000, v2
	v_or3_b32 v1, v3, v2, v1
.LBB342_1278:                           ;   in Loop: Header=BB342_1066 Depth=1
	s_or_b32 exec_lo, exec_lo, s18
.LBB342_1279:                           ;   in Loop: Header=BB342_1066 Depth=1
	s_delay_alu instid0(SALU_CYCLE_1)
	s_or_b32 exec_lo, exec_lo, s17
.LBB342_1280:                           ;   in Loop: Header=BB342_1066 Depth=1
	s_delay_alu instid0(SALU_CYCLE_1) | instskip(SKIP_3) | instid1(VALU_DEP_2)
	s_or_b32 exec_lo, exec_lo, s16
	v_dual_mov_b32 v3, 0 :: v_dual_lshrrev_b32 v4, 16, v36
	v_mov_b32_e32 v2, 0
	s_mov_b32 s16, exec_lo
	v_and_b32_e32 v5, 0xff, v4
	s_delay_alu instid0(VALU_DEP_1)
	v_cmpx_ne_u16_e32 0, v5
	s_cbranch_execz .LBB342_1288
; %bb.1281:                             ;   in Loop: Header=BB342_1066 Depth=1
	v_bfrev_b32_e32 v2, 1
	s_mov_b32 s17, exec_lo
	v_cmpx_ne_u16_e32 0x80, v5
	s_cbranch_execz .LBB342_1287
; %bb.1282:                             ;   in Loop: Header=BB342_1066 Depth=1
	v_bfe_u32 v5, v36, 16, 7
	v_mov_b32_e32 v2, 0x7f800001
	s_mov_b32 s18, exec_lo
	s_delay_alu instid0(VALU_DEP_2)
	v_cmpx_ne_u32_e32 0x7f, v5
	s_cbranch_execz .LBB342_1286
; %bb.1283:                             ;   in Loop: Header=BB342_1066 Depth=1
	v_dual_lshrrev_b32 v2, 3, v5 :: v_dual_bitop2_b32 v22, 7, v4 bitop3:0x40
	s_mov_b32 s19, exec_lo
	s_delay_alu instid0(VALU_DEP_1)
	v_mov_b64_e32 v[38:39], v[22:23]
	v_cmpx_gt_u32_e32 8, v5
; %bb.1284:                             ;   in Loop: Header=BB342_1066 Depth=1
	v_clz_i32_u32_e32 v2, v22
	s_delay_alu instid0(VALU_DEP_1) | instskip(NEXT) | instid1(VALU_DEP_1)
	v_min_u32_e32 v2, 32, v2
	v_subrev_nc_u32_e32 v5, 28, v2
	v_sub_nc_u32_e32 v2, 29, v2
	s_delay_alu instid0(VALU_DEP_2) | instskip(NEXT) | instid1(VALU_DEP_1)
	v_lshlrev_b64_e32 v[6:7], v5, v[22:23]
	v_and_b32_e32 v38, 7, v6
; %bb.1285:                             ;   in Loop: Header=BB342_1066 Depth=1
	s_or_b32 exec_lo, exec_lo, s19
	s_delay_alu instid0(VALU_DEP_1) | instskip(SKIP_1) | instid1(VALU_DEP_2)
	v_dual_lshlrev_b32 v4, 24, v4 :: v_dual_lshlrev_b32 v5, 20, v38
	v_lshl_add_u32 v2, v2, 23, 0x3c000000
	v_and_b32_e32 v4, 0x80000000, v4
	s_delay_alu instid0(VALU_DEP_1)
	v_or3_b32 v2, v5, v4, v2
.LBB342_1286:                           ;   in Loop: Header=BB342_1066 Depth=1
	s_or_b32 exec_lo, exec_lo, s18
.LBB342_1287:                           ;   in Loop: Header=BB342_1066 Depth=1
	s_delay_alu instid0(SALU_CYCLE_1)
	s_or_b32 exec_lo, exec_lo, s17
.LBB342_1288:                           ;   in Loop: Header=BB342_1066 Depth=1
	s_delay_alu instid0(SALU_CYCLE_1) | instskip(NEXT) | instid1(SALU_CYCLE_1)
	s_or_b32 exec_lo, exec_lo, s16
	s_mov_b32 s16, exec_lo
	v_cmpx_lt_u32_e32 0xffffff, v36
	s_cbranch_execz .LBB342_1296
; %bb.1289:                             ;   in Loop: Header=BB342_1066 Depth=1
	v_lshrrev_b32_e32 v4, 24, v36
	v_bfrev_b32_e32 v3, 1
	s_mov_b32 s17, exec_lo
	s_delay_alu instid0(VALU_DEP_2)
	v_cmpx_ne_u32_e32 0x80, v4
	s_cbranch_execz .LBB342_1295
; %bb.1290:                             ;   in Loop: Header=BB342_1066 Depth=1
	v_bfe_u32 v5, v36, 24, 7
	v_mov_b32_e32 v3, 0x7f800001
	s_mov_b32 s18, exec_lo
	s_delay_alu instid0(VALU_DEP_2)
	v_cmpx_ne_u32_e32 0x7f, v5
	s_cbranch_execz .LBB342_1294
; %bb.1291:                             ;   in Loop: Header=BB342_1066 Depth=1
	v_dual_lshrrev_b32 v3, 3, v5 :: v_dual_bitop2_b32 v22, 7, v4 bitop3:0x40
	s_mov_b32 s19, exec_lo
	s_delay_alu instid0(VALU_DEP_1)
	v_mov_b64_e32 v[38:39], v[22:23]
	v_cmpx_gt_u32_e32 8, v5
; %bb.1292:                             ;   in Loop: Header=BB342_1066 Depth=1
	v_clz_i32_u32_e32 v3, v22
	s_delay_alu instid0(VALU_DEP_1) | instskip(NEXT) | instid1(VALU_DEP_1)
	v_min_u32_e32 v3, 32, v3
	v_subrev_nc_u32_e32 v5, 28, v3
	s_delay_alu instid0(VALU_DEP_1) | instskip(NEXT) | instid1(VALU_DEP_1)
	v_lshlrev_b64_e32 v[6:7], v5, v[22:23]
	v_dual_sub_nc_u32 v3, 29, v3 :: v_dual_bitop2_b32 v38, 7, v6 bitop3:0x40
; %bb.1293:                             ;   in Loop: Header=BB342_1066 Depth=1
	s_or_b32 exec_lo, exec_lo, s19
	s_delay_alu instid0(VALU_DEP_1) | instskip(NEXT) | instid1(VALU_DEP_2)
	v_dual_lshlrev_b32 v4, 24, v4 :: v_dual_lshlrev_b32 v5, 20, v38
	v_lshl_add_u32 v3, v3, 23, 0x3c000000
	s_delay_alu instid0(VALU_DEP_2) | instskip(NEXT) | instid1(VALU_DEP_1)
	v_and_b32_e32 v4, 0x80000000, v4
	v_or3_b32 v3, v5, v4, v3
.LBB342_1294:                           ;   in Loop: Header=BB342_1066 Depth=1
	s_or_b32 exec_lo, exec_lo, s18
.LBB342_1295:                           ;   in Loop: Header=BB342_1066 Depth=1
	s_delay_alu instid0(SALU_CYCLE_1)
	s_or_b32 exec_lo, exec_lo, s17
.LBB342_1296:                           ;   in Loop: Header=BB342_1066 Depth=1
	s_delay_alu instid0(SALU_CYCLE_1) | instskip(SKIP_4) | instid1(VALU_DEP_3)
	s_or_b32 exec_lo, exec_lo, s16
	v_and_b32_e32 v6, 0xff, v37
	v_dual_mov_b32 v22, v37 :: v_dual_mov_b32 v5, 0
	v_mov_b32_e32 v4, 0
	s_mov_b32 s16, exec_lo
	v_cmpx_ne_u16_e32 0, v6
	s_cbranch_execz .LBB342_1304
; %bb.1297:                             ;   in Loop: Header=BB342_1066 Depth=1
	v_bfrev_b32_e32 v4, 1
	s_mov_b32 s17, exec_lo
	v_cmpx_ne_u16_e32 0x80, v6
	s_cbranch_execz .LBB342_1303
; %bb.1298:                             ;   in Loop: Header=BB342_1066 Depth=1
	v_and_b32_e32 v6, 0x7f, v37
	v_mov_b32_e32 v4, 0x7f800001
	s_mov_b32 s18, exec_lo
	s_delay_alu instid0(VALU_DEP_2)
	v_cmpx_ne_u32_e32 0x7f, v6
	s_cbranch_execz .LBB342_1302
; %bb.1299:                             ;   in Loop: Header=BB342_1066 Depth=1
	v_mov_b64_e32 v[38:39], v[22:23]
	v_lshrrev_b32_e32 v4, 3, v6
	s_mov_b32 s19, exec_lo
	v_cmpx_gt_u32_e32 8, v6
; %bb.1300:                             ;   in Loop: Header=BB342_1066 Depth=1
	v_and_b32_e32 v4, 7, v37
	s_delay_alu instid0(VALU_DEP_1) | instskip(NEXT) | instid1(VALU_DEP_1)
	v_clz_i32_u32_e32 v4, v4
	v_min_u32_e32 v4, 32, v4
	s_delay_alu instid0(VALU_DEP_1) | instskip(SKIP_1) | instid1(VALU_DEP_2)
	v_subrev_nc_u32_e32 v6, 28, v4
	v_sub_nc_u32_e32 v4, 29, v4
	v_lshlrev_b64_e32 v[38:39], v6, v[22:23]
; %bb.1301:                             ;   in Loop: Header=BB342_1066 Depth=1
	s_or_b32 exec_lo, exec_lo, s19
	s_delay_alu instid0(VALU_DEP_1) | instskip(SKIP_2) | instid1(VALU_DEP_3)
	v_lshlrev_b32_e32 v6, 20, v38
	v_lshlrev_b32_e32 v7, 24, v22
	v_lshl_add_u32 v4, v4, 23, 0x3c000000
	v_and_b32_e32 v6, 0x700000, v6
	s_delay_alu instid0(VALU_DEP_3) | instskip(NEXT) | instid1(VALU_DEP_1)
	v_and_b32_e32 v7, 0x80000000, v7
	v_or3_b32 v4, v6, v7, v4
.LBB342_1302:                           ;   in Loop: Header=BB342_1066 Depth=1
	s_or_b32 exec_lo, exec_lo, s18
.LBB342_1303:                           ;   in Loop: Header=BB342_1066 Depth=1
	s_delay_alu instid0(SALU_CYCLE_1)
	s_or_b32 exec_lo, exec_lo, s17
.LBB342_1304:                           ;   in Loop: Header=BB342_1066 Depth=1
	s_delay_alu instid0(SALU_CYCLE_1) | instskip(SKIP_2) | instid1(VALU_DEP_1)
	s_or_b32 exec_lo, exec_lo, s16
	v_lshrrev_b16 v6, 8, v22
	s_mov_b32 s16, exec_lo
	v_cmpx_ne_u16_e32 0, v6
	s_cbranch_execz .LBB342_1312
; %bb.1305:                             ;   in Loop: Header=BB342_1066 Depth=1
	v_bfrev_b32_e32 v5, 1
	s_mov_b32 s17, exec_lo
	v_cmpx_ne_u16_e32 0x80, v6
	s_cbranch_execz .LBB342_1311
; %bb.1306:                             ;   in Loop: Header=BB342_1066 Depth=1
	v_and_b32_e32 v7, 0xffff, v6
	v_mov_b32_e32 v5, 0x7f800001
	s_mov_b32 s18, exec_lo
	s_delay_alu instid0(VALU_DEP_2) | instskip(NEXT) | instid1(VALU_DEP_1)
	v_and_b32_e32 v6, 0x7f, v7
	v_cmpx_ne_u32_e32 0x7f, v6
	s_cbranch_execz .LBB342_1310
; %bb.1307:                             ;   in Loop: Header=BB342_1066 Depth=1
	v_dual_mov_b32 v39, v23 :: v_dual_bitop2_b32 v38, 7, v7 bitop3:0x40
	v_lshrrev_b32_e32 v5, 3, v6
	s_mov_b32 s19, exec_lo
	v_cmpx_gt_u32_e32 8, v6
; %bb.1308:                             ;   in Loop: Header=BB342_1066 Depth=1
	s_delay_alu instid0(VALU_DEP_3) | instskip(NEXT) | instid1(VALU_DEP_1)
	v_clz_i32_u32_e32 v5, v38
	v_min_u32_e32 v5, 32, v5
	s_delay_alu instid0(VALU_DEP_1) | instskip(NEXT) | instid1(VALU_DEP_1)
	v_subrev_nc_u32_e32 v6, 28, v5
	v_lshlrev_b64_e32 v[6:7], v6, v[38:39]
	s_delay_alu instid0(VALU_DEP_1)
	v_dual_sub_nc_u32 v5, 29, v5 :: v_dual_bitop2_b32 v38, 7, v6 bitop3:0x40
; %bb.1309:                             ;   in Loop: Header=BB342_1066 Depth=1
	s_or_b32 exec_lo, exec_lo, s19
	v_lshlrev_b32_e32 v6, 16, v22
	s_delay_alu instid0(VALU_DEP_2) | instskip(NEXT) | instid1(VALU_DEP_3)
	v_lshlrev_b32_e32 v7, 20, v38
	v_lshl_add_u32 v5, v5, 23, 0x3c000000
	s_delay_alu instid0(VALU_DEP_3) | instskip(NEXT) | instid1(VALU_DEP_1)
	v_and_b32_e32 v6, 0x80000000, v6
	v_or3_b32 v5, v7, v6, v5
.LBB342_1310:                           ;   in Loop: Header=BB342_1066 Depth=1
	s_or_b32 exec_lo, exec_lo, s18
.LBB342_1311:                           ;   in Loop: Header=BB342_1066 Depth=1
	s_delay_alu instid0(SALU_CYCLE_1)
	s_or_b32 exec_lo, exec_lo, s17
.LBB342_1312:                           ;   in Loop: Header=BB342_1066 Depth=1
	s_delay_alu instid0(SALU_CYCLE_1) | instskip(SKIP_3) | instid1(VALU_DEP_2)
	s_or_b32 exec_lo, exec_lo, s16
	v_dual_lshrrev_b32 v8, 16, v37 :: v_dual_mov_b32 v6, 0
	v_mov_b32_e32 v7, 0
	s_mov_b32 s16, exec_lo
	v_and_b32_e32 v9, 0xff, v8
	s_delay_alu instid0(VALU_DEP_1)
	v_cmpx_ne_u16_e32 0, v9
	s_cbranch_execz .LBB342_1320
; %bb.1313:                             ;   in Loop: Header=BB342_1066 Depth=1
	v_bfrev_b32_e32 v7, 1
	s_mov_b32 s17, exec_lo
	v_cmpx_ne_u16_e32 0x80, v9
	s_cbranch_execz .LBB342_1319
; %bb.1314:                             ;   in Loop: Header=BB342_1066 Depth=1
	v_bfe_u32 v9, v37, 16, 7
	v_mov_b32_e32 v7, 0x7f800001
	s_mov_b32 s18, exec_lo
	s_delay_alu instid0(VALU_DEP_2)
	v_cmpx_ne_u32_e32 0x7f, v9
	s_cbranch_execz .LBB342_1318
; %bb.1315:                             ;   in Loop: Header=BB342_1066 Depth=1
	v_dual_lshrrev_b32 v7, 3, v9 :: v_dual_bitop2_b32 v22, 7, v8 bitop3:0x40
	s_mov_b32 s19, exec_lo
	s_delay_alu instid0(VALU_DEP_1)
	v_mov_b64_e32 v[38:39], v[22:23]
	v_cmpx_gt_u32_e32 8, v9
; %bb.1316:                             ;   in Loop: Header=BB342_1066 Depth=1
	v_clz_i32_u32_e32 v7, v22
	s_delay_alu instid0(VALU_DEP_1) | instskip(NEXT) | instid1(VALU_DEP_1)
	v_min_u32_e32 v7, 32, v7
	v_subrev_nc_u32_e32 v9, 28, v7
	s_delay_alu instid0(VALU_DEP_1) | instskip(NEXT) | instid1(VALU_DEP_1)
	v_lshlrev_b64_e32 v[18:19], v9, v[22:23]
	v_dual_sub_nc_u32 v7, 29, v7 :: v_dual_bitop2_b32 v38, 7, v18 bitop3:0x40
; %bb.1317:                             ;   in Loop: Header=BB342_1066 Depth=1
	s_or_b32 exec_lo, exec_lo, s19
	s_delay_alu instid0(VALU_DEP_1) | instskip(NEXT) | instid1(VALU_DEP_2)
	v_dual_lshlrev_b32 v8, 24, v8 :: v_dual_lshlrev_b32 v9, 20, v38
	v_lshl_add_u32 v7, v7, 23, 0x3c000000
	s_delay_alu instid0(VALU_DEP_2) | instskip(NEXT) | instid1(VALU_DEP_1)
	v_and_b32_e32 v8, 0x80000000, v8
	v_or3_b32 v7, v9, v8, v7
.LBB342_1318:                           ;   in Loop: Header=BB342_1066 Depth=1
	s_or_b32 exec_lo, exec_lo, s18
.LBB342_1319:                           ;   in Loop: Header=BB342_1066 Depth=1
	s_delay_alu instid0(SALU_CYCLE_1)
	s_or_b32 exec_lo, exec_lo, s17
.LBB342_1320:                           ;   in Loop: Header=BB342_1066 Depth=1
	s_delay_alu instid0(SALU_CYCLE_1) | instskip(NEXT) | instid1(SALU_CYCLE_1)
	s_or_b32 exec_lo, exec_lo, s16
	s_mov_b32 s16, exec_lo
	v_cmpx_lt_u64_e64 s[2:3], v[36:37]
	s_cbranch_execz .LBB342_1328
; %bb.1321:                             ;   in Loop: Header=BB342_1066 Depth=1
	v_lshrrev_b32_e32 v8, 24, v37
	v_bfrev_b32_e32 v6, 1
	s_mov_b32 s17, exec_lo
	s_delay_alu instid0(VALU_DEP_2)
	v_cmpx_ne_u32_e32 0x80, v8
	s_cbranch_execz .LBB342_1327
; %bb.1322:                             ;   in Loop: Header=BB342_1066 Depth=1
	v_bfe_u32 v9, v37, 24, 7
	v_mov_b32_e32 v6, 0x7f800001
	s_mov_b32 s18, exec_lo
	s_delay_alu instid0(VALU_DEP_2)
	v_cmpx_ne_u32_e32 0x7f, v9
	s_cbranch_execz .LBB342_1326
; %bb.1323:                             ;   in Loop: Header=BB342_1066 Depth=1
	v_dual_lshrrev_b32 v6, 3, v9 :: v_dual_bitop2_b32 v22, 7, v8 bitop3:0x40
	s_mov_b32 s19, exec_lo
	s_delay_alu instid0(VALU_DEP_1)
	v_mov_b64_e32 v[36:37], v[22:23]
	v_cmpx_gt_u32_e32 8, v9
; %bb.1324:                             ;   in Loop: Header=BB342_1066 Depth=1
	v_clz_i32_u32_e32 v6, v22
	s_delay_alu instid0(VALU_DEP_1) | instskip(NEXT) | instid1(VALU_DEP_1)
	v_min_u32_e32 v6, 32, v6
	v_subrev_nc_u32_e32 v9, 28, v6
	v_sub_nc_u32_e32 v6, 29, v6
	s_delay_alu instid0(VALU_DEP_2) | instskip(NEXT) | instid1(VALU_DEP_1)
	v_lshlrev_b64_e32 v[18:19], v9, v[22:23]
	v_and_b32_e32 v36, 7, v18
; %bb.1325:                             ;   in Loop: Header=BB342_1066 Depth=1
	s_or_b32 exec_lo, exec_lo, s19
	v_lshlrev_b32_e32 v8, 24, v8
	s_delay_alu instid0(VALU_DEP_2) | instskip(SKIP_1) | instid1(VALU_DEP_3)
	v_lshlrev_b32_e32 v9, 20, v36
	v_lshl_add_u32 v6, v6, 23, 0x3c000000
	v_and_b32_e32 v8, 0x80000000, v8
	s_delay_alu instid0(VALU_DEP_1)
	v_or3_b32 v6, v9, v8, v6
.LBB342_1326:                           ;   in Loop: Header=BB342_1066 Depth=1
	s_or_b32 exec_lo, exec_lo, s18
.LBB342_1327:                           ;   in Loop: Header=BB342_1066 Depth=1
	s_delay_alu instid0(SALU_CYCLE_1)
	s_or_b32 exec_lo, exec_lo, s17
.LBB342_1328:                           ;   in Loop: Header=BB342_1066 Depth=1
	s_delay_alu instid0(SALU_CYCLE_1)
	s_or_b32 exec_lo, exec_lo, s16
	v_fma_mixlo_bf16 v0, v55, v0, 0
	v_fma_mixlo_bf16 v5, v55, v5, 0
	;; [unrolled: 1-line block ×5, first 2 shown]
	scratch_store_b32 off, v0, s32 offset:316 ; 4-byte Folded Spill
	s_wait_xcnt 0x0
	v_fma_mixlo_bf16 v0, v55, v7, 0
	s_clause 0x1
	scratch_store_b32 off, v5, s32 offset:288
	scratch_store_b32 off, v4, s32 offset:292
	v_fma_mixlo_bf16 v1, v55, v1, 0
	s_clause 0x1
	scratch_store_b32 off, v3, s32 offset:304
	scratch_store_b32 off, v0, s32 offset:296
	s_wait_xcnt 0x0
	v_fma_mixlo_bf16 v0, v55, v6, 0
	s_clause 0x2
	scratch_store_b32 off, v2, s32 offset:308
	scratch_store_b32 off, v1, s32 offset:312
	;; [unrolled: 1-line block ×3, first 2 shown]
	s_wait_xcnt 0x0
	s_and_saveexec_b32 s16, vcc_lo
	s_cbranch_execz .LBB342_1330
; %bb.1329:                             ;   in Loop: Header=BB342_1066 Depth=1
	scratch_load_b32 v0, off, s32 offset:316 ; 4-byte Folded Reload
	v_cmp_lt_i32_e64 s1, v102, v52
	s_wait_loadcnt 0x0
	s_delay_alu instid0(VALU_DEP_1)
	v_cndmask_b32_e64 v0, 0, v0, s1
	v_cmp_lt_i32_e64 s1, v114, v52
	s_clause 0x1
	scratch_store_b32 off, v0, s32 offset:316
	scratch_load_b32 v0, off, s32 offset:312
	s_wait_loadcnt 0x0
	v_cndmask_b32_e64 v0, 0, v0, s1
	v_cmp_lt_i32_e64 s1, v113, v52
	s_clause 0x1
	scratch_store_b32 off, v0, s32 offset:312
	scratch_load_b32 v0, off, s32 offset:308
	s_wait_loadcnt 0x0
	;; [unrolled: 6-line block ×7, first 2 shown]
	v_cndmask_b32_e64 v0, 0, v0, s1
	scratch_store_b32 off, v0, s32 offset:300 ; 4-byte Folded Spill
.LBB342_1330:                           ;   in Loop: Header=BB342_1066 Depth=1
	s_wait_xcnt 0x0
	s_or_b32 exec_lo, exec_lo, s16
	flat_load_b64 v[36:37], v[34:35] offset:1024
	v_dual_mov_b32 v1, 0 :: v_dual_mov_b32 v0, 0
	s_mov_b32 s16, exec_lo
	s_wait_loadcnt_dscnt 0x0
	v_and_b32_e32 v2, 0xff, v36
	s_wait_xcnt 0x0
	s_delay_alu instid0(VALU_DEP_1)
	v_cmpx_ne_u16_e32 0, v2
	s_cbranch_execz .LBB342_1338
; %bb.1331:                             ;   in Loop: Header=BB342_1066 Depth=1
	v_bfrev_b32_e32 v0, 1
	s_mov_b32 s17, exec_lo
	v_cmpx_ne_u16_e32 0x80, v2
	s_cbranch_execz .LBB342_1337
; %bb.1332:                             ;   in Loop: Header=BB342_1066 Depth=1
	v_and_b32_e32 v2, 0x7f, v36
	v_mov_b32_e32 v0, 0x7f800001
	s_mov_b32 s18, exec_lo
	s_delay_alu instid0(VALU_DEP_2)
	v_cmpx_ne_u32_e32 0x7f, v2
	s_cbranch_execz .LBB342_1336
; %bb.1333:                             ;   in Loop: Header=BB342_1066 Depth=1
	v_mov_b64_e32 v[38:39], v[36:37]
	v_lshrrev_b32_e32 v0, 3, v2
	s_mov_b32 s19, exec_lo
	v_cmpx_gt_u32_e32 8, v2
; %bb.1334:                             ;   in Loop: Header=BB342_1066 Depth=1
	v_and_b32_e32 v0, 7, v36
	s_delay_alu instid0(VALU_DEP_1) | instskip(NEXT) | instid1(VALU_DEP_1)
	v_clz_i32_u32_e32 v0, v0
	v_min_u32_e32 v0, 32, v0
	s_delay_alu instid0(VALU_DEP_1) | instskip(SKIP_1) | instid1(VALU_DEP_2)
	v_subrev_nc_u32_e32 v2, 28, v0
	v_sub_nc_u32_e32 v0, 29, v0
	v_lshlrev_b64_e32 v[38:39], v2, v[36:37]
; %bb.1335:                             ;   in Loop: Header=BB342_1066 Depth=1
	s_or_b32 exec_lo, exec_lo, s19
	s_delay_alu instid0(VALU_DEP_1) | instskip(NEXT) | instid1(VALU_DEP_3)
	v_dual_lshlrev_b32 v2, 20, v38 :: v_dual_lshlrev_b32 v3, 24, v36
	v_lshl_add_u32 v0, v0, 23, 0x3c000000
	s_delay_alu instid0(VALU_DEP_2) | instskip(NEXT) | instid1(VALU_DEP_3)
	v_and_b32_e32 v2, 0x700000, v2
	v_and_b32_e32 v3, 0x80000000, v3
	s_delay_alu instid0(VALU_DEP_1)
	v_or3_b32 v0, v2, v3, v0
.LBB342_1336:                           ;   in Loop: Header=BB342_1066 Depth=1
	s_or_b32 exec_lo, exec_lo, s18
.LBB342_1337:                           ;   in Loop: Header=BB342_1066 Depth=1
	s_delay_alu instid0(SALU_CYCLE_1)
	s_or_b32 exec_lo, exec_lo, s17
.LBB342_1338:                           ;   in Loop: Header=BB342_1066 Depth=1
	s_delay_alu instid0(SALU_CYCLE_1) | instskip(SKIP_2) | instid1(VALU_DEP_1)
	s_or_b32 exec_lo, exec_lo, s16
	v_lshrrev_b16 v2, 8, v36
	s_mov_b32 s16, exec_lo
	v_cmpx_ne_u16_e32 0, v2
	s_cbranch_execz .LBB342_1346
; %bb.1339:                             ;   in Loop: Header=BB342_1066 Depth=1
	v_bfrev_b32_e32 v1, 1
	s_mov_b32 s17, exec_lo
	v_cmpx_ne_u16_e32 0x80, v2
	s_cbranch_execz .LBB342_1345
; %bb.1340:                             ;   in Loop: Header=BB342_1066 Depth=1
	v_and_b32_e32 v3, 0xffff, v2
	v_mov_b32_e32 v1, 0x7f800001
	s_mov_b32 s18, exec_lo
	s_delay_alu instid0(VALU_DEP_2) | instskip(NEXT) | instid1(VALU_DEP_1)
	v_and_b32_e32 v2, 0x7f, v3
	v_cmpx_ne_u32_e32 0x7f, v2
	s_cbranch_execz .LBB342_1344
; %bb.1341:                             ;   in Loop: Header=BB342_1066 Depth=1
	v_dual_lshrrev_b32 v1, 3, v2 :: v_dual_bitop2_b32 v22, 7, v3 bitop3:0x40
	s_mov_b32 s19, exec_lo
	s_delay_alu instid0(VALU_DEP_1)
	v_mov_b64_e32 v[38:39], v[22:23]
	v_cmpx_gt_u32_e32 8, v2
; %bb.1342:                             ;   in Loop: Header=BB342_1066 Depth=1
	v_clz_i32_u32_e32 v1, v22
	s_delay_alu instid0(VALU_DEP_1) | instskip(NEXT) | instid1(VALU_DEP_1)
	v_min_u32_e32 v1, 32, v1
	v_subrev_nc_u32_e32 v2, 28, v1
	s_delay_alu instid0(VALU_DEP_1) | instskip(NEXT) | instid1(VALU_DEP_1)
	v_lshlrev_b64_e32 v[2:3], v2, v[22:23]
	v_dual_sub_nc_u32 v1, 29, v1 :: v_dual_bitop2_b32 v38, 7, v2 bitop3:0x40
; %bb.1343:                             ;   in Loop: Header=BB342_1066 Depth=1
	s_or_b32 exec_lo, exec_lo, s19
	s_delay_alu instid0(VALU_DEP_1) | instskip(NEXT) | instid1(VALU_DEP_2)
	v_dual_lshlrev_b32 v2, 16, v36 :: v_dual_lshlrev_b32 v3, 20, v38
	v_lshl_add_u32 v1, v1, 23, 0x3c000000
	s_delay_alu instid0(VALU_DEP_2) | instskip(NEXT) | instid1(VALU_DEP_1)
	v_and_b32_e32 v2, 0x80000000, v2
	v_or3_b32 v1, v3, v2, v1
.LBB342_1344:                           ;   in Loop: Header=BB342_1066 Depth=1
	s_or_b32 exec_lo, exec_lo, s18
.LBB342_1345:                           ;   in Loop: Header=BB342_1066 Depth=1
	s_delay_alu instid0(SALU_CYCLE_1)
	s_or_b32 exec_lo, exec_lo, s17
.LBB342_1346:                           ;   in Loop: Header=BB342_1066 Depth=1
	s_delay_alu instid0(SALU_CYCLE_1) | instskip(SKIP_3) | instid1(VALU_DEP_2)
	s_or_b32 exec_lo, exec_lo, s16
	v_dual_mov_b32 v3, 0 :: v_dual_lshrrev_b32 v4, 16, v36
	v_mov_b32_e32 v2, 0
	s_mov_b32 s16, exec_lo
	v_and_b32_e32 v5, 0xff, v4
	s_delay_alu instid0(VALU_DEP_1)
	v_cmpx_ne_u16_e32 0, v5
	s_cbranch_execz .LBB342_1354
; %bb.1347:                             ;   in Loop: Header=BB342_1066 Depth=1
	v_bfrev_b32_e32 v2, 1
	s_mov_b32 s17, exec_lo
	v_cmpx_ne_u16_e32 0x80, v5
	s_cbranch_execz .LBB342_1353
; %bb.1348:                             ;   in Loop: Header=BB342_1066 Depth=1
	v_bfe_u32 v5, v36, 16, 7
	v_mov_b32_e32 v2, 0x7f800001
	s_mov_b32 s18, exec_lo
	s_delay_alu instid0(VALU_DEP_2)
	v_cmpx_ne_u32_e32 0x7f, v5
	s_cbranch_execz .LBB342_1352
; %bb.1349:                             ;   in Loop: Header=BB342_1066 Depth=1
	v_dual_lshrrev_b32 v2, 3, v5 :: v_dual_bitop2_b32 v22, 7, v4 bitop3:0x40
	s_mov_b32 s19, exec_lo
	s_delay_alu instid0(VALU_DEP_1)
	v_mov_b64_e32 v[38:39], v[22:23]
	v_cmpx_gt_u32_e32 8, v5
; %bb.1350:                             ;   in Loop: Header=BB342_1066 Depth=1
	v_clz_i32_u32_e32 v2, v22
	s_delay_alu instid0(VALU_DEP_1) | instskip(NEXT) | instid1(VALU_DEP_1)
	v_min_u32_e32 v2, 32, v2
	v_subrev_nc_u32_e32 v5, 28, v2
	v_sub_nc_u32_e32 v2, 29, v2
	s_delay_alu instid0(VALU_DEP_2) | instskip(NEXT) | instid1(VALU_DEP_1)
	v_lshlrev_b64_e32 v[6:7], v5, v[22:23]
	v_and_b32_e32 v38, 7, v6
; %bb.1351:                             ;   in Loop: Header=BB342_1066 Depth=1
	s_or_b32 exec_lo, exec_lo, s19
	s_delay_alu instid0(VALU_DEP_1) | instskip(SKIP_1) | instid1(VALU_DEP_2)
	v_dual_lshlrev_b32 v4, 24, v4 :: v_dual_lshlrev_b32 v5, 20, v38
	v_lshl_add_u32 v2, v2, 23, 0x3c000000
	v_and_b32_e32 v4, 0x80000000, v4
	s_delay_alu instid0(VALU_DEP_1)
	v_or3_b32 v2, v5, v4, v2
.LBB342_1352:                           ;   in Loop: Header=BB342_1066 Depth=1
	s_or_b32 exec_lo, exec_lo, s18
.LBB342_1353:                           ;   in Loop: Header=BB342_1066 Depth=1
	s_delay_alu instid0(SALU_CYCLE_1)
	s_or_b32 exec_lo, exec_lo, s17
.LBB342_1354:                           ;   in Loop: Header=BB342_1066 Depth=1
	s_delay_alu instid0(SALU_CYCLE_1) | instskip(NEXT) | instid1(SALU_CYCLE_1)
	s_or_b32 exec_lo, exec_lo, s16
	s_mov_b32 s16, exec_lo
	v_cmpx_lt_u32_e32 0xffffff, v36
	s_cbranch_execz .LBB342_1362
; %bb.1355:                             ;   in Loop: Header=BB342_1066 Depth=1
	v_lshrrev_b32_e32 v4, 24, v36
	v_bfrev_b32_e32 v3, 1
	s_mov_b32 s17, exec_lo
	s_delay_alu instid0(VALU_DEP_2)
	v_cmpx_ne_u32_e32 0x80, v4
	s_cbranch_execz .LBB342_1361
; %bb.1356:                             ;   in Loop: Header=BB342_1066 Depth=1
	v_bfe_u32 v5, v36, 24, 7
	v_mov_b32_e32 v3, 0x7f800001
	s_mov_b32 s18, exec_lo
	s_delay_alu instid0(VALU_DEP_2)
	v_cmpx_ne_u32_e32 0x7f, v5
	s_cbranch_execz .LBB342_1360
; %bb.1357:                             ;   in Loop: Header=BB342_1066 Depth=1
	v_dual_lshrrev_b32 v3, 3, v5 :: v_dual_bitop2_b32 v22, 7, v4 bitop3:0x40
	s_mov_b32 s19, exec_lo
	s_delay_alu instid0(VALU_DEP_1)
	v_mov_b64_e32 v[38:39], v[22:23]
	v_cmpx_gt_u32_e32 8, v5
; %bb.1358:                             ;   in Loop: Header=BB342_1066 Depth=1
	v_clz_i32_u32_e32 v3, v22
	s_delay_alu instid0(VALU_DEP_1) | instskip(NEXT) | instid1(VALU_DEP_1)
	v_min_u32_e32 v3, 32, v3
	v_subrev_nc_u32_e32 v5, 28, v3
	s_delay_alu instid0(VALU_DEP_1) | instskip(NEXT) | instid1(VALU_DEP_1)
	v_lshlrev_b64_e32 v[6:7], v5, v[22:23]
	v_dual_sub_nc_u32 v3, 29, v3 :: v_dual_bitop2_b32 v38, 7, v6 bitop3:0x40
; %bb.1359:                             ;   in Loop: Header=BB342_1066 Depth=1
	s_or_b32 exec_lo, exec_lo, s19
	s_delay_alu instid0(VALU_DEP_1) | instskip(NEXT) | instid1(VALU_DEP_2)
	v_dual_lshlrev_b32 v4, 24, v4 :: v_dual_lshlrev_b32 v5, 20, v38
	v_lshl_add_u32 v3, v3, 23, 0x3c000000
	s_delay_alu instid0(VALU_DEP_2) | instskip(NEXT) | instid1(VALU_DEP_1)
	v_and_b32_e32 v4, 0x80000000, v4
	v_or3_b32 v3, v5, v4, v3
.LBB342_1360:                           ;   in Loop: Header=BB342_1066 Depth=1
	s_or_b32 exec_lo, exec_lo, s18
.LBB342_1361:                           ;   in Loop: Header=BB342_1066 Depth=1
	s_delay_alu instid0(SALU_CYCLE_1)
	s_or_b32 exec_lo, exec_lo, s17
.LBB342_1362:                           ;   in Loop: Header=BB342_1066 Depth=1
	s_delay_alu instid0(SALU_CYCLE_1) | instskip(SKIP_4) | instid1(VALU_DEP_3)
	s_or_b32 exec_lo, exec_lo, s16
	v_and_b32_e32 v6, 0xff, v37
	v_dual_mov_b32 v22, v37 :: v_dual_mov_b32 v5, 0
	v_mov_b32_e32 v4, 0
	s_mov_b32 s16, exec_lo
	v_cmpx_ne_u16_e32 0, v6
	s_cbranch_execz .LBB342_1370
; %bb.1363:                             ;   in Loop: Header=BB342_1066 Depth=1
	v_bfrev_b32_e32 v4, 1
	s_mov_b32 s17, exec_lo
	v_cmpx_ne_u16_e32 0x80, v6
	s_cbranch_execz .LBB342_1369
; %bb.1364:                             ;   in Loop: Header=BB342_1066 Depth=1
	v_and_b32_e32 v6, 0x7f, v37
	v_mov_b32_e32 v4, 0x7f800001
	s_mov_b32 s18, exec_lo
	s_delay_alu instid0(VALU_DEP_2)
	v_cmpx_ne_u32_e32 0x7f, v6
	s_cbranch_execz .LBB342_1368
; %bb.1365:                             ;   in Loop: Header=BB342_1066 Depth=1
	v_mov_b64_e32 v[38:39], v[22:23]
	v_lshrrev_b32_e32 v4, 3, v6
	s_mov_b32 s19, exec_lo
	v_cmpx_gt_u32_e32 8, v6
; %bb.1366:                             ;   in Loop: Header=BB342_1066 Depth=1
	v_and_b32_e32 v4, 7, v37
	s_delay_alu instid0(VALU_DEP_1) | instskip(NEXT) | instid1(VALU_DEP_1)
	v_clz_i32_u32_e32 v4, v4
	v_min_u32_e32 v4, 32, v4
	s_delay_alu instid0(VALU_DEP_1) | instskip(SKIP_1) | instid1(VALU_DEP_2)
	v_subrev_nc_u32_e32 v6, 28, v4
	v_sub_nc_u32_e32 v4, 29, v4
	v_lshlrev_b64_e32 v[38:39], v6, v[22:23]
; %bb.1367:                             ;   in Loop: Header=BB342_1066 Depth=1
	s_or_b32 exec_lo, exec_lo, s19
	s_delay_alu instid0(VALU_DEP_1) | instskip(SKIP_2) | instid1(VALU_DEP_3)
	v_lshlrev_b32_e32 v6, 20, v38
	v_lshlrev_b32_e32 v7, 24, v22
	v_lshl_add_u32 v4, v4, 23, 0x3c000000
	v_and_b32_e32 v6, 0x700000, v6
	s_delay_alu instid0(VALU_DEP_3) | instskip(NEXT) | instid1(VALU_DEP_1)
	v_and_b32_e32 v7, 0x80000000, v7
	v_or3_b32 v4, v6, v7, v4
.LBB342_1368:                           ;   in Loop: Header=BB342_1066 Depth=1
	s_or_b32 exec_lo, exec_lo, s18
.LBB342_1369:                           ;   in Loop: Header=BB342_1066 Depth=1
	s_delay_alu instid0(SALU_CYCLE_1)
	s_or_b32 exec_lo, exec_lo, s17
.LBB342_1370:                           ;   in Loop: Header=BB342_1066 Depth=1
	s_delay_alu instid0(SALU_CYCLE_1) | instskip(SKIP_2) | instid1(VALU_DEP_1)
	s_or_b32 exec_lo, exec_lo, s16
	v_lshrrev_b16 v6, 8, v22
	s_mov_b32 s16, exec_lo
	v_cmpx_ne_u16_e32 0, v6
	s_cbranch_execz .LBB342_1378
; %bb.1371:                             ;   in Loop: Header=BB342_1066 Depth=1
	v_bfrev_b32_e32 v5, 1
	s_mov_b32 s17, exec_lo
	v_cmpx_ne_u16_e32 0x80, v6
	s_cbranch_execz .LBB342_1377
; %bb.1372:                             ;   in Loop: Header=BB342_1066 Depth=1
	v_and_b32_e32 v7, 0xffff, v6
	v_mov_b32_e32 v5, 0x7f800001
	s_mov_b32 s18, exec_lo
	s_delay_alu instid0(VALU_DEP_2) | instskip(NEXT) | instid1(VALU_DEP_1)
	v_and_b32_e32 v6, 0x7f, v7
	v_cmpx_ne_u32_e32 0x7f, v6
	s_cbranch_execz .LBB342_1376
; %bb.1373:                             ;   in Loop: Header=BB342_1066 Depth=1
	v_dual_mov_b32 v39, v23 :: v_dual_bitop2_b32 v38, 7, v7 bitop3:0x40
	v_lshrrev_b32_e32 v5, 3, v6
	s_mov_b32 s19, exec_lo
	v_cmpx_gt_u32_e32 8, v6
; %bb.1374:                             ;   in Loop: Header=BB342_1066 Depth=1
	s_delay_alu instid0(VALU_DEP_3) | instskip(NEXT) | instid1(VALU_DEP_1)
	v_clz_i32_u32_e32 v5, v38
	v_min_u32_e32 v5, 32, v5
	s_delay_alu instid0(VALU_DEP_1) | instskip(NEXT) | instid1(VALU_DEP_1)
	v_subrev_nc_u32_e32 v6, 28, v5
	v_lshlrev_b64_e32 v[6:7], v6, v[38:39]
	s_delay_alu instid0(VALU_DEP_1)
	v_dual_sub_nc_u32 v5, 29, v5 :: v_dual_bitop2_b32 v38, 7, v6 bitop3:0x40
; %bb.1375:                             ;   in Loop: Header=BB342_1066 Depth=1
	s_or_b32 exec_lo, exec_lo, s19
	v_lshlrev_b32_e32 v6, 16, v22
	s_delay_alu instid0(VALU_DEP_2) | instskip(NEXT) | instid1(VALU_DEP_3)
	v_lshlrev_b32_e32 v7, 20, v38
	v_lshl_add_u32 v5, v5, 23, 0x3c000000
	s_delay_alu instid0(VALU_DEP_3) | instskip(NEXT) | instid1(VALU_DEP_1)
	v_and_b32_e32 v6, 0x80000000, v6
	v_or3_b32 v5, v7, v6, v5
.LBB342_1376:                           ;   in Loop: Header=BB342_1066 Depth=1
	s_or_b32 exec_lo, exec_lo, s18
.LBB342_1377:                           ;   in Loop: Header=BB342_1066 Depth=1
	s_delay_alu instid0(SALU_CYCLE_1)
	s_or_b32 exec_lo, exec_lo, s17
.LBB342_1378:                           ;   in Loop: Header=BB342_1066 Depth=1
	s_delay_alu instid0(SALU_CYCLE_1) | instskip(SKIP_3) | instid1(VALU_DEP_2)
	s_or_b32 exec_lo, exec_lo, s16
	v_dual_lshrrev_b32 v8, 16, v37 :: v_dual_mov_b32 v6, 0
	v_mov_b32_e32 v7, 0
	s_mov_b32 s16, exec_lo
	v_and_b32_e32 v9, 0xff, v8
	s_delay_alu instid0(VALU_DEP_1)
	v_cmpx_ne_u16_e32 0, v9
	s_cbranch_execz .LBB342_1386
; %bb.1379:                             ;   in Loop: Header=BB342_1066 Depth=1
	v_bfrev_b32_e32 v7, 1
	s_mov_b32 s17, exec_lo
	v_cmpx_ne_u16_e32 0x80, v9
	s_cbranch_execz .LBB342_1385
; %bb.1380:                             ;   in Loop: Header=BB342_1066 Depth=1
	v_bfe_u32 v9, v37, 16, 7
	v_mov_b32_e32 v7, 0x7f800001
	s_mov_b32 s18, exec_lo
	s_delay_alu instid0(VALU_DEP_2)
	v_cmpx_ne_u32_e32 0x7f, v9
	s_cbranch_execz .LBB342_1384
; %bb.1381:                             ;   in Loop: Header=BB342_1066 Depth=1
	v_dual_lshrrev_b32 v7, 3, v9 :: v_dual_bitop2_b32 v22, 7, v8 bitop3:0x40
	s_mov_b32 s19, exec_lo
	s_delay_alu instid0(VALU_DEP_1)
	v_mov_b64_e32 v[38:39], v[22:23]
	v_cmpx_gt_u32_e32 8, v9
; %bb.1382:                             ;   in Loop: Header=BB342_1066 Depth=1
	v_clz_i32_u32_e32 v7, v22
	s_delay_alu instid0(VALU_DEP_1) | instskip(NEXT) | instid1(VALU_DEP_1)
	v_min_u32_e32 v7, 32, v7
	v_subrev_nc_u32_e32 v9, 28, v7
	s_delay_alu instid0(VALU_DEP_1) | instskip(NEXT) | instid1(VALU_DEP_1)
	v_lshlrev_b64_e32 v[18:19], v9, v[22:23]
	v_dual_sub_nc_u32 v7, 29, v7 :: v_dual_bitop2_b32 v38, 7, v18 bitop3:0x40
; %bb.1383:                             ;   in Loop: Header=BB342_1066 Depth=1
	s_or_b32 exec_lo, exec_lo, s19
	s_delay_alu instid0(VALU_DEP_1) | instskip(NEXT) | instid1(VALU_DEP_2)
	v_dual_lshlrev_b32 v8, 24, v8 :: v_dual_lshlrev_b32 v9, 20, v38
	v_lshl_add_u32 v7, v7, 23, 0x3c000000
	s_delay_alu instid0(VALU_DEP_2) | instskip(NEXT) | instid1(VALU_DEP_1)
	v_and_b32_e32 v8, 0x80000000, v8
	v_or3_b32 v7, v9, v8, v7
.LBB342_1384:                           ;   in Loop: Header=BB342_1066 Depth=1
	s_or_b32 exec_lo, exec_lo, s18
.LBB342_1385:                           ;   in Loop: Header=BB342_1066 Depth=1
	s_delay_alu instid0(SALU_CYCLE_1)
	s_or_b32 exec_lo, exec_lo, s17
.LBB342_1386:                           ;   in Loop: Header=BB342_1066 Depth=1
	s_delay_alu instid0(SALU_CYCLE_1) | instskip(NEXT) | instid1(SALU_CYCLE_1)
	s_or_b32 exec_lo, exec_lo, s16
	s_mov_b32 s16, exec_lo
	v_cmpx_lt_u64_e64 s[2:3], v[36:37]
	s_cbranch_execz .LBB342_1394
; %bb.1387:                             ;   in Loop: Header=BB342_1066 Depth=1
	v_lshrrev_b32_e32 v8, 24, v37
	v_bfrev_b32_e32 v6, 1
	s_mov_b32 s17, exec_lo
	s_delay_alu instid0(VALU_DEP_2)
	v_cmpx_ne_u32_e32 0x80, v8
	s_cbranch_execz .LBB342_1393
; %bb.1388:                             ;   in Loop: Header=BB342_1066 Depth=1
	v_bfe_u32 v9, v37, 24, 7
	v_mov_b32_e32 v6, 0x7f800001
	s_mov_b32 s18, exec_lo
	s_delay_alu instid0(VALU_DEP_2)
	v_cmpx_ne_u32_e32 0x7f, v9
	s_cbranch_execz .LBB342_1392
; %bb.1389:                             ;   in Loop: Header=BB342_1066 Depth=1
	v_dual_lshrrev_b32 v6, 3, v9 :: v_dual_bitop2_b32 v22, 7, v8 bitop3:0x40
	s_mov_b32 s19, exec_lo
	s_delay_alu instid0(VALU_DEP_1)
	v_mov_b64_e32 v[36:37], v[22:23]
	v_cmpx_gt_u32_e32 8, v9
; %bb.1390:                             ;   in Loop: Header=BB342_1066 Depth=1
	v_clz_i32_u32_e32 v6, v22
	s_delay_alu instid0(VALU_DEP_1) | instskip(NEXT) | instid1(VALU_DEP_1)
	v_min_u32_e32 v6, 32, v6
	v_subrev_nc_u32_e32 v9, 28, v6
	v_sub_nc_u32_e32 v6, 29, v6
	s_delay_alu instid0(VALU_DEP_2) | instskip(NEXT) | instid1(VALU_DEP_1)
	v_lshlrev_b64_e32 v[18:19], v9, v[22:23]
	v_and_b32_e32 v36, 7, v18
; %bb.1391:                             ;   in Loop: Header=BB342_1066 Depth=1
	s_or_b32 exec_lo, exec_lo, s19
	v_lshlrev_b32_e32 v8, 24, v8
	s_delay_alu instid0(VALU_DEP_2) | instskip(SKIP_1) | instid1(VALU_DEP_3)
	v_lshlrev_b32_e32 v9, 20, v36
	v_lshl_add_u32 v6, v6, 23, 0x3c000000
	v_and_b32_e32 v8, 0x80000000, v8
	s_delay_alu instid0(VALU_DEP_1)
	v_or3_b32 v6, v9, v8, v6
.LBB342_1392:                           ;   in Loop: Header=BB342_1066 Depth=1
	s_or_b32 exec_lo, exec_lo, s18
.LBB342_1393:                           ;   in Loop: Header=BB342_1066 Depth=1
	s_delay_alu instid0(SALU_CYCLE_1)
	s_or_b32 exec_lo, exec_lo, s17
.LBB342_1394:                           ;   in Loop: Header=BB342_1066 Depth=1
	s_delay_alu instid0(SALU_CYCLE_1)
	s_or_b32 exec_lo, exec_lo, s16
	v_fma_mixlo_bf16 v5, v55, v5, 0
	v_fma_mixlo_bf16 v4, v55, v4, 0
	v_fma_mixlo_bf16 v3, v55, v3, 0
	v_fma_mixlo_bf16 v58, v55, v0, 0
	v_fma_mixlo_bf16 v0, v55, v7, 0
	s_clause 0x1
	scratch_store_b32 off, v5, s32 offset:320
	scratch_store_b32 off, v4, s32 offset:324
	v_fma_mixlo_bf16 v2, v55, v2, 0
	v_fma_mixlo_bf16 v1, v55, v1, 0
	s_clause 0x1
	scratch_store_b32 off, v3, s32 offset:336
	scratch_store_b32 off, v0, s32 offset:328
	s_wait_xcnt 0x0
	v_fma_mixlo_bf16 v0, v55, v6, 0
	s_clause 0x2
	scratch_store_b32 off, v2, s32 offset:340
	scratch_store_b32 off, v1, s32 offset:344
	;; [unrolled: 1-line block ×3, first 2 shown]
	s_wait_xcnt 0x0
	s_and_saveexec_b32 s16, vcc_lo
	s_cbranch_execz .LBB342_1396
; %bb.1395:                             ;   in Loop: Header=BB342_1066 Depth=1
	scratch_load_b32 v0, off, s32 offset:344 ; 4-byte Folded Reload
	v_cmp_lt_i32_e64 s1, v102, v52
	s_delay_alu instid0(VALU_DEP_1) | instskip(SKIP_2) | instid1(VALU_DEP_1)
	v_cndmask_b32_e64 v58, 0, v58, s1
	v_cmp_lt_i32_e64 s1, v114, v52
	s_wait_loadcnt 0x0
	v_cndmask_b32_e64 v0, 0, v0, s1
	v_cmp_lt_i32_e64 s1, v113, v52
	s_clause 0x1
	scratch_store_b32 off, v0, s32 offset:344
	scratch_load_b32 v0, off, s32 offset:340
	s_wait_loadcnt 0x0
	v_cndmask_b32_e64 v0, 0, v0, s1
	v_cmp_lt_i32_e64 s1, v112, v52
	s_clause 0x1
	scratch_store_b32 off, v0, s32 offset:340
	scratch_load_b32 v0, off, s32 offset:336
	;; [unrolled: 6-line block ×6, first 2 shown]
	s_wait_loadcnt 0x0
	v_cndmask_b32_e64 v0, 0, v0, s1
	scratch_store_b32 off, v0, s32 offset:332 ; 4-byte Folded Spill
.LBB342_1396:                           ;   in Loop: Header=BB342_1066 Depth=1
	s_wait_xcnt 0x0
	s_or_b32 exec_lo, exec_lo, s16
	flat_load_b64 v[36:37], v[34:35] offset:1280
	v_dual_mov_b32 v1, 0 :: v_dual_mov_b32 v0, 0
	s_mov_b32 s16, exec_lo
	s_wait_loadcnt_dscnt 0x0
	v_and_b32_e32 v2, 0xff, v36
	s_wait_xcnt 0x0
	s_delay_alu instid0(VALU_DEP_1)
	v_cmpx_ne_u16_e32 0, v2
	s_cbranch_execz .LBB342_1404
; %bb.1397:                             ;   in Loop: Header=BB342_1066 Depth=1
	v_bfrev_b32_e32 v0, 1
	s_mov_b32 s17, exec_lo
	v_cmpx_ne_u16_e32 0x80, v2
	s_cbranch_execz .LBB342_1403
; %bb.1398:                             ;   in Loop: Header=BB342_1066 Depth=1
	v_and_b32_e32 v2, 0x7f, v36
	v_mov_b32_e32 v0, 0x7f800001
	s_mov_b32 s18, exec_lo
	s_delay_alu instid0(VALU_DEP_2)
	v_cmpx_ne_u32_e32 0x7f, v2
	s_cbranch_execz .LBB342_1402
; %bb.1399:                             ;   in Loop: Header=BB342_1066 Depth=1
	v_mov_b64_e32 v[38:39], v[36:37]
	v_lshrrev_b32_e32 v0, 3, v2
	s_mov_b32 s19, exec_lo
	v_cmpx_gt_u32_e32 8, v2
; %bb.1400:                             ;   in Loop: Header=BB342_1066 Depth=1
	v_and_b32_e32 v0, 7, v36
	s_delay_alu instid0(VALU_DEP_1) | instskip(NEXT) | instid1(VALU_DEP_1)
	v_clz_i32_u32_e32 v0, v0
	v_min_u32_e32 v0, 32, v0
	s_delay_alu instid0(VALU_DEP_1) | instskip(SKIP_1) | instid1(VALU_DEP_2)
	v_subrev_nc_u32_e32 v2, 28, v0
	v_sub_nc_u32_e32 v0, 29, v0
	v_lshlrev_b64_e32 v[38:39], v2, v[36:37]
; %bb.1401:                             ;   in Loop: Header=BB342_1066 Depth=1
	s_or_b32 exec_lo, exec_lo, s19
	s_delay_alu instid0(VALU_DEP_1) | instskip(NEXT) | instid1(VALU_DEP_3)
	v_dual_lshlrev_b32 v2, 20, v38 :: v_dual_lshlrev_b32 v3, 24, v36
	v_lshl_add_u32 v0, v0, 23, 0x3c000000
	s_delay_alu instid0(VALU_DEP_2) | instskip(NEXT) | instid1(VALU_DEP_3)
	v_and_b32_e32 v2, 0x700000, v2
	v_and_b32_e32 v3, 0x80000000, v3
	s_delay_alu instid0(VALU_DEP_1)
	v_or3_b32 v0, v2, v3, v0
.LBB342_1402:                           ;   in Loop: Header=BB342_1066 Depth=1
	s_or_b32 exec_lo, exec_lo, s18
.LBB342_1403:                           ;   in Loop: Header=BB342_1066 Depth=1
	s_delay_alu instid0(SALU_CYCLE_1)
	s_or_b32 exec_lo, exec_lo, s17
.LBB342_1404:                           ;   in Loop: Header=BB342_1066 Depth=1
	s_delay_alu instid0(SALU_CYCLE_1) | instskip(SKIP_2) | instid1(VALU_DEP_1)
	s_or_b32 exec_lo, exec_lo, s16
	v_lshrrev_b16 v2, 8, v36
	s_mov_b32 s16, exec_lo
	v_cmpx_ne_u16_e32 0, v2
	s_cbranch_execz .LBB342_1412
; %bb.1405:                             ;   in Loop: Header=BB342_1066 Depth=1
	v_bfrev_b32_e32 v1, 1
	s_mov_b32 s17, exec_lo
	v_cmpx_ne_u16_e32 0x80, v2
	s_cbranch_execz .LBB342_1411
; %bb.1406:                             ;   in Loop: Header=BB342_1066 Depth=1
	v_and_b32_e32 v3, 0xffff, v2
	v_mov_b32_e32 v1, 0x7f800001
	s_mov_b32 s18, exec_lo
	s_delay_alu instid0(VALU_DEP_2) | instskip(NEXT) | instid1(VALU_DEP_1)
	v_and_b32_e32 v2, 0x7f, v3
	v_cmpx_ne_u32_e32 0x7f, v2
	s_cbranch_execz .LBB342_1410
; %bb.1407:                             ;   in Loop: Header=BB342_1066 Depth=1
	v_dual_lshrrev_b32 v1, 3, v2 :: v_dual_bitop2_b32 v22, 7, v3 bitop3:0x40
	s_mov_b32 s19, exec_lo
	s_delay_alu instid0(VALU_DEP_1)
	v_mov_b64_e32 v[38:39], v[22:23]
	v_cmpx_gt_u32_e32 8, v2
; %bb.1408:                             ;   in Loop: Header=BB342_1066 Depth=1
	v_clz_i32_u32_e32 v1, v22
	s_delay_alu instid0(VALU_DEP_1) | instskip(NEXT) | instid1(VALU_DEP_1)
	v_min_u32_e32 v1, 32, v1
	v_subrev_nc_u32_e32 v2, 28, v1
	s_delay_alu instid0(VALU_DEP_1) | instskip(NEXT) | instid1(VALU_DEP_1)
	v_lshlrev_b64_e32 v[2:3], v2, v[22:23]
	v_dual_sub_nc_u32 v1, 29, v1 :: v_dual_bitop2_b32 v38, 7, v2 bitop3:0x40
; %bb.1409:                             ;   in Loop: Header=BB342_1066 Depth=1
	s_or_b32 exec_lo, exec_lo, s19
	s_delay_alu instid0(VALU_DEP_1) | instskip(NEXT) | instid1(VALU_DEP_2)
	v_dual_lshlrev_b32 v2, 16, v36 :: v_dual_lshlrev_b32 v3, 20, v38
	v_lshl_add_u32 v1, v1, 23, 0x3c000000
	s_delay_alu instid0(VALU_DEP_2) | instskip(NEXT) | instid1(VALU_DEP_1)
	v_and_b32_e32 v2, 0x80000000, v2
	v_or3_b32 v1, v3, v2, v1
.LBB342_1410:                           ;   in Loop: Header=BB342_1066 Depth=1
	s_or_b32 exec_lo, exec_lo, s18
.LBB342_1411:                           ;   in Loop: Header=BB342_1066 Depth=1
	s_delay_alu instid0(SALU_CYCLE_1)
	s_or_b32 exec_lo, exec_lo, s17
.LBB342_1412:                           ;   in Loop: Header=BB342_1066 Depth=1
	s_delay_alu instid0(SALU_CYCLE_1) | instskip(SKIP_3) | instid1(VALU_DEP_2)
	s_or_b32 exec_lo, exec_lo, s16
	v_dual_mov_b32 v3, 0 :: v_dual_lshrrev_b32 v4, 16, v36
	v_mov_b32_e32 v2, 0
	s_mov_b32 s16, exec_lo
	v_and_b32_e32 v5, 0xff, v4
	s_delay_alu instid0(VALU_DEP_1)
	v_cmpx_ne_u16_e32 0, v5
	s_cbranch_execz .LBB342_1420
; %bb.1413:                             ;   in Loop: Header=BB342_1066 Depth=1
	v_bfrev_b32_e32 v2, 1
	s_mov_b32 s17, exec_lo
	v_cmpx_ne_u16_e32 0x80, v5
	s_cbranch_execz .LBB342_1419
; %bb.1414:                             ;   in Loop: Header=BB342_1066 Depth=1
	v_bfe_u32 v5, v36, 16, 7
	v_mov_b32_e32 v2, 0x7f800001
	s_mov_b32 s18, exec_lo
	s_delay_alu instid0(VALU_DEP_2)
	v_cmpx_ne_u32_e32 0x7f, v5
	s_cbranch_execz .LBB342_1418
; %bb.1415:                             ;   in Loop: Header=BB342_1066 Depth=1
	v_dual_lshrrev_b32 v2, 3, v5 :: v_dual_bitop2_b32 v22, 7, v4 bitop3:0x40
	s_mov_b32 s19, exec_lo
	s_delay_alu instid0(VALU_DEP_1)
	v_mov_b64_e32 v[38:39], v[22:23]
	v_cmpx_gt_u32_e32 8, v5
; %bb.1416:                             ;   in Loop: Header=BB342_1066 Depth=1
	v_clz_i32_u32_e32 v2, v22
	s_delay_alu instid0(VALU_DEP_1) | instskip(NEXT) | instid1(VALU_DEP_1)
	v_min_u32_e32 v2, 32, v2
	v_subrev_nc_u32_e32 v5, 28, v2
	v_sub_nc_u32_e32 v2, 29, v2
	s_delay_alu instid0(VALU_DEP_2) | instskip(NEXT) | instid1(VALU_DEP_1)
	v_lshlrev_b64_e32 v[6:7], v5, v[22:23]
	v_and_b32_e32 v38, 7, v6
; %bb.1417:                             ;   in Loop: Header=BB342_1066 Depth=1
	s_or_b32 exec_lo, exec_lo, s19
	s_delay_alu instid0(VALU_DEP_1) | instskip(SKIP_1) | instid1(VALU_DEP_2)
	v_dual_lshlrev_b32 v4, 24, v4 :: v_dual_lshlrev_b32 v5, 20, v38
	v_lshl_add_u32 v2, v2, 23, 0x3c000000
	v_and_b32_e32 v4, 0x80000000, v4
	s_delay_alu instid0(VALU_DEP_1)
	v_or3_b32 v2, v5, v4, v2
.LBB342_1418:                           ;   in Loop: Header=BB342_1066 Depth=1
	s_or_b32 exec_lo, exec_lo, s18
.LBB342_1419:                           ;   in Loop: Header=BB342_1066 Depth=1
	s_delay_alu instid0(SALU_CYCLE_1)
	s_or_b32 exec_lo, exec_lo, s17
.LBB342_1420:                           ;   in Loop: Header=BB342_1066 Depth=1
	s_delay_alu instid0(SALU_CYCLE_1) | instskip(NEXT) | instid1(SALU_CYCLE_1)
	s_or_b32 exec_lo, exec_lo, s16
	s_mov_b32 s16, exec_lo
	v_cmpx_lt_u32_e32 0xffffff, v36
	s_cbranch_execz .LBB342_1428
; %bb.1421:                             ;   in Loop: Header=BB342_1066 Depth=1
	v_lshrrev_b32_e32 v4, 24, v36
	v_bfrev_b32_e32 v3, 1
	s_mov_b32 s17, exec_lo
	s_delay_alu instid0(VALU_DEP_2)
	v_cmpx_ne_u32_e32 0x80, v4
	s_cbranch_execz .LBB342_1427
; %bb.1422:                             ;   in Loop: Header=BB342_1066 Depth=1
	v_bfe_u32 v5, v36, 24, 7
	v_mov_b32_e32 v3, 0x7f800001
	s_mov_b32 s18, exec_lo
	s_delay_alu instid0(VALU_DEP_2)
	v_cmpx_ne_u32_e32 0x7f, v5
	s_cbranch_execz .LBB342_1426
; %bb.1423:                             ;   in Loop: Header=BB342_1066 Depth=1
	v_dual_lshrrev_b32 v3, 3, v5 :: v_dual_bitop2_b32 v22, 7, v4 bitop3:0x40
	s_mov_b32 s19, exec_lo
	s_delay_alu instid0(VALU_DEP_1)
	v_mov_b64_e32 v[38:39], v[22:23]
	v_cmpx_gt_u32_e32 8, v5
; %bb.1424:                             ;   in Loop: Header=BB342_1066 Depth=1
	v_clz_i32_u32_e32 v3, v22
	s_delay_alu instid0(VALU_DEP_1) | instskip(NEXT) | instid1(VALU_DEP_1)
	v_min_u32_e32 v3, 32, v3
	v_subrev_nc_u32_e32 v5, 28, v3
	s_delay_alu instid0(VALU_DEP_1) | instskip(NEXT) | instid1(VALU_DEP_1)
	v_lshlrev_b64_e32 v[6:7], v5, v[22:23]
	v_dual_sub_nc_u32 v3, 29, v3 :: v_dual_bitop2_b32 v38, 7, v6 bitop3:0x40
; %bb.1425:                             ;   in Loop: Header=BB342_1066 Depth=1
	s_or_b32 exec_lo, exec_lo, s19
	s_delay_alu instid0(VALU_DEP_1) | instskip(NEXT) | instid1(VALU_DEP_2)
	v_dual_lshlrev_b32 v4, 24, v4 :: v_dual_lshlrev_b32 v5, 20, v38
	v_lshl_add_u32 v3, v3, 23, 0x3c000000
	s_delay_alu instid0(VALU_DEP_2) | instskip(NEXT) | instid1(VALU_DEP_1)
	v_and_b32_e32 v4, 0x80000000, v4
	v_or3_b32 v3, v5, v4, v3
.LBB342_1426:                           ;   in Loop: Header=BB342_1066 Depth=1
	s_or_b32 exec_lo, exec_lo, s18
.LBB342_1427:                           ;   in Loop: Header=BB342_1066 Depth=1
	s_delay_alu instid0(SALU_CYCLE_1)
	s_or_b32 exec_lo, exec_lo, s17
.LBB342_1428:                           ;   in Loop: Header=BB342_1066 Depth=1
	s_delay_alu instid0(SALU_CYCLE_1) | instskip(SKIP_4) | instid1(VALU_DEP_3)
	s_or_b32 exec_lo, exec_lo, s16
	v_and_b32_e32 v6, 0xff, v37
	v_dual_mov_b32 v22, v37 :: v_dual_mov_b32 v5, 0
	v_mov_b32_e32 v4, 0
	s_mov_b32 s16, exec_lo
	v_cmpx_ne_u16_e32 0, v6
	s_cbranch_execz .LBB342_1436
; %bb.1429:                             ;   in Loop: Header=BB342_1066 Depth=1
	v_bfrev_b32_e32 v4, 1
	s_mov_b32 s17, exec_lo
	v_cmpx_ne_u16_e32 0x80, v6
	s_cbranch_execz .LBB342_1435
; %bb.1430:                             ;   in Loop: Header=BB342_1066 Depth=1
	v_and_b32_e32 v6, 0x7f, v37
	v_mov_b32_e32 v4, 0x7f800001
	s_mov_b32 s18, exec_lo
	s_delay_alu instid0(VALU_DEP_2)
	v_cmpx_ne_u32_e32 0x7f, v6
	s_cbranch_execz .LBB342_1434
; %bb.1431:                             ;   in Loop: Header=BB342_1066 Depth=1
	v_mov_b64_e32 v[38:39], v[22:23]
	v_lshrrev_b32_e32 v4, 3, v6
	s_mov_b32 s19, exec_lo
	v_cmpx_gt_u32_e32 8, v6
; %bb.1432:                             ;   in Loop: Header=BB342_1066 Depth=1
	v_and_b32_e32 v4, 7, v37
	s_delay_alu instid0(VALU_DEP_1) | instskip(NEXT) | instid1(VALU_DEP_1)
	v_clz_i32_u32_e32 v4, v4
	v_min_u32_e32 v4, 32, v4
	s_delay_alu instid0(VALU_DEP_1) | instskip(SKIP_1) | instid1(VALU_DEP_2)
	v_subrev_nc_u32_e32 v6, 28, v4
	v_sub_nc_u32_e32 v4, 29, v4
	v_lshlrev_b64_e32 v[38:39], v6, v[22:23]
; %bb.1433:                             ;   in Loop: Header=BB342_1066 Depth=1
	s_or_b32 exec_lo, exec_lo, s19
	s_delay_alu instid0(VALU_DEP_1) | instskip(SKIP_2) | instid1(VALU_DEP_3)
	v_lshlrev_b32_e32 v6, 20, v38
	v_lshlrev_b32_e32 v7, 24, v22
	v_lshl_add_u32 v4, v4, 23, 0x3c000000
	v_and_b32_e32 v6, 0x700000, v6
	s_delay_alu instid0(VALU_DEP_3) | instskip(NEXT) | instid1(VALU_DEP_1)
	v_and_b32_e32 v7, 0x80000000, v7
	v_or3_b32 v4, v6, v7, v4
.LBB342_1434:                           ;   in Loop: Header=BB342_1066 Depth=1
	s_or_b32 exec_lo, exec_lo, s18
.LBB342_1435:                           ;   in Loop: Header=BB342_1066 Depth=1
	s_delay_alu instid0(SALU_CYCLE_1)
	s_or_b32 exec_lo, exec_lo, s17
.LBB342_1436:                           ;   in Loop: Header=BB342_1066 Depth=1
	s_delay_alu instid0(SALU_CYCLE_1) | instskip(SKIP_2) | instid1(VALU_DEP_1)
	s_or_b32 exec_lo, exec_lo, s16
	v_lshrrev_b16 v6, 8, v22
	s_mov_b32 s16, exec_lo
	v_cmpx_ne_u16_e32 0, v6
	s_cbranch_execz .LBB342_1444
; %bb.1437:                             ;   in Loop: Header=BB342_1066 Depth=1
	v_bfrev_b32_e32 v5, 1
	s_mov_b32 s17, exec_lo
	v_cmpx_ne_u16_e32 0x80, v6
	s_cbranch_execz .LBB342_1443
; %bb.1438:                             ;   in Loop: Header=BB342_1066 Depth=1
	v_and_b32_e32 v7, 0xffff, v6
	v_mov_b32_e32 v5, 0x7f800001
	s_mov_b32 s18, exec_lo
	s_delay_alu instid0(VALU_DEP_2) | instskip(NEXT) | instid1(VALU_DEP_1)
	v_and_b32_e32 v6, 0x7f, v7
	v_cmpx_ne_u32_e32 0x7f, v6
	s_cbranch_execz .LBB342_1442
; %bb.1439:                             ;   in Loop: Header=BB342_1066 Depth=1
	v_dual_mov_b32 v39, v23 :: v_dual_bitop2_b32 v38, 7, v7 bitop3:0x40
	v_lshrrev_b32_e32 v5, 3, v6
	s_mov_b32 s19, exec_lo
	v_cmpx_gt_u32_e32 8, v6
; %bb.1440:                             ;   in Loop: Header=BB342_1066 Depth=1
	s_delay_alu instid0(VALU_DEP_3) | instskip(NEXT) | instid1(VALU_DEP_1)
	v_clz_i32_u32_e32 v5, v38
	v_min_u32_e32 v5, 32, v5
	s_delay_alu instid0(VALU_DEP_1) | instskip(NEXT) | instid1(VALU_DEP_1)
	v_subrev_nc_u32_e32 v6, 28, v5
	v_lshlrev_b64_e32 v[6:7], v6, v[38:39]
	s_delay_alu instid0(VALU_DEP_1)
	v_dual_sub_nc_u32 v5, 29, v5 :: v_dual_bitop2_b32 v38, 7, v6 bitop3:0x40
; %bb.1441:                             ;   in Loop: Header=BB342_1066 Depth=1
	s_or_b32 exec_lo, exec_lo, s19
	v_lshlrev_b32_e32 v6, 16, v22
	s_delay_alu instid0(VALU_DEP_2) | instskip(NEXT) | instid1(VALU_DEP_3)
	v_lshlrev_b32_e32 v7, 20, v38
	v_lshl_add_u32 v5, v5, 23, 0x3c000000
	s_delay_alu instid0(VALU_DEP_3) | instskip(NEXT) | instid1(VALU_DEP_1)
	v_and_b32_e32 v6, 0x80000000, v6
	v_or3_b32 v5, v7, v6, v5
.LBB342_1442:                           ;   in Loop: Header=BB342_1066 Depth=1
	s_or_b32 exec_lo, exec_lo, s18
.LBB342_1443:                           ;   in Loop: Header=BB342_1066 Depth=1
	s_delay_alu instid0(SALU_CYCLE_1)
	s_or_b32 exec_lo, exec_lo, s17
.LBB342_1444:                           ;   in Loop: Header=BB342_1066 Depth=1
	s_delay_alu instid0(SALU_CYCLE_1) | instskip(SKIP_3) | instid1(VALU_DEP_2)
	s_or_b32 exec_lo, exec_lo, s16
	v_dual_lshrrev_b32 v8, 16, v37 :: v_dual_mov_b32 v6, 0
	v_mov_b32_e32 v7, 0
	s_mov_b32 s16, exec_lo
	v_and_b32_e32 v9, 0xff, v8
	s_delay_alu instid0(VALU_DEP_1)
	v_cmpx_ne_u16_e32 0, v9
	s_cbranch_execz .LBB342_1452
; %bb.1445:                             ;   in Loop: Header=BB342_1066 Depth=1
	v_bfrev_b32_e32 v7, 1
	s_mov_b32 s17, exec_lo
	v_cmpx_ne_u16_e32 0x80, v9
	s_cbranch_execz .LBB342_1451
; %bb.1446:                             ;   in Loop: Header=BB342_1066 Depth=1
	v_bfe_u32 v9, v37, 16, 7
	v_mov_b32_e32 v7, 0x7f800001
	s_mov_b32 s18, exec_lo
	s_delay_alu instid0(VALU_DEP_2)
	v_cmpx_ne_u32_e32 0x7f, v9
	s_cbranch_execz .LBB342_1450
; %bb.1447:                             ;   in Loop: Header=BB342_1066 Depth=1
	v_dual_lshrrev_b32 v7, 3, v9 :: v_dual_bitop2_b32 v22, 7, v8 bitop3:0x40
	s_mov_b32 s19, exec_lo
	s_delay_alu instid0(VALU_DEP_1)
	v_mov_b64_e32 v[38:39], v[22:23]
	v_cmpx_gt_u32_e32 8, v9
; %bb.1448:                             ;   in Loop: Header=BB342_1066 Depth=1
	v_clz_i32_u32_e32 v7, v22
	s_delay_alu instid0(VALU_DEP_1) | instskip(NEXT) | instid1(VALU_DEP_1)
	v_min_u32_e32 v7, 32, v7
	v_subrev_nc_u32_e32 v9, 28, v7
	s_delay_alu instid0(VALU_DEP_1) | instskip(NEXT) | instid1(VALU_DEP_1)
	v_lshlrev_b64_e32 v[18:19], v9, v[22:23]
	v_dual_sub_nc_u32 v7, 29, v7 :: v_dual_bitop2_b32 v38, 7, v18 bitop3:0x40
; %bb.1449:                             ;   in Loop: Header=BB342_1066 Depth=1
	s_or_b32 exec_lo, exec_lo, s19
	s_delay_alu instid0(VALU_DEP_1) | instskip(NEXT) | instid1(VALU_DEP_2)
	v_dual_lshlrev_b32 v8, 24, v8 :: v_dual_lshlrev_b32 v9, 20, v38
	v_lshl_add_u32 v7, v7, 23, 0x3c000000
	s_delay_alu instid0(VALU_DEP_2) | instskip(NEXT) | instid1(VALU_DEP_1)
	v_and_b32_e32 v8, 0x80000000, v8
	v_or3_b32 v7, v9, v8, v7
.LBB342_1450:                           ;   in Loop: Header=BB342_1066 Depth=1
	s_or_b32 exec_lo, exec_lo, s18
.LBB342_1451:                           ;   in Loop: Header=BB342_1066 Depth=1
	s_delay_alu instid0(SALU_CYCLE_1)
	s_or_b32 exec_lo, exec_lo, s17
.LBB342_1452:                           ;   in Loop: Header=BB342_1066 Depth=1
	s_delay_alu instid0(SALU_CYCLE_1) | instskip(NEXT) | instid1(SALU_CYCLE_1)
	s_or_b32 exec_lo, exec_lo, s16
	s_mov_b32 s16, exec_lo
	v_cmpx_lt_u64_e64 s[2:3], v[36:37]
	s_cbranch_execz .LBB342_1460
; %bb.1453:                             ;   in Loop: Header=BB342_1066 Depth=1
	v_lshrrev_b32_e32 v8, 24, v37
	v_bfrev_b32_e32 v6, 1
	s_mov_b32 s17, exec_lo
	s_delay_alu instid0(VALU_DEP_2)
	v_cmpx_ne_u32_e32 0x80, v8
	s_cbranch_execz .LBB342_1459
; %bb.1454:                             ;   in Loop: Header=BB342_1066 Depth=1
	v_bfe_u32 v9, v37, 24, 7
	v_mov_b32_e32 v6, 0x7f800001
	s_mov_b32 s18, exec_lo
	s_delay_alu instid0(VALU_DEP_2)
	v_cmpx_ne_u32_e32 0x7f, v9
	s_cbranch_execz .LBB342_1458
; %bb.1455:                             ;   in Loop: Header=BB342_1066 Depth=1
	v_dual_lshrrev_b32 v6, 3, v9 :: v_dual_bitop2_b32 v22, 7, v8 bitop3:0x40
	s_mov_b32 s19, exec_lo
	s_delay_alu instid0(VALU_DEP_1)
	v_mov_b64_e32 v[36:37], v[22:23]
	v_cmpx_gt_u32_e32 8, v9
; %bb.1456:                             ;   in Loop: Header=BB342_1066 Depth=1
	v_clz_i32_u32_e32 v6, v22
	s_delay_alu instid0(VALU_DEP_1) | instskip(NEXT) | instid1(VALU_DEP_1)
	v_min_u32_e32 v6, 32, v6
	v_subrev_nc_u32_e32 v9, 28, v6
	v_sub_nc_u32_e32 v6, 29, v6
	s_delay_alu instid0(VALU_DEP_2) | instskip(NEXT) | instid1(VALU_DEP_1)
	v_lshlrev_b64_e32 v[18:19], v9, v[22:23]
	v_and_b32_e32 v36, 7, v18
; %bb.1457:                             ;   in Loop: Header=BB342_1066 Depth=1
	s_or_b32 exec_lo, exec_lo, s19
	v_lshlrev_b32_e32 v8, 24, v8
	s_delay_alu instid0(VALU_DEP_2) | instskip(SKIP_1) | instid1(VALU_DEP_3)
	v_lshlrev_b32_e32 v9, 20, v36
	v_lshl_add_u32 v6, v6, 23, 0x3c000000
	v_and_b32_e32 v8, 0x80000000, v8
	s_delay_alu instid0(VALU_DEP_1)
	v_or3_b32 v6, v9, v8, v6
.LBB342_1458:                           ;   in Loop: Header=BB342_1066 Depth=1
	s_or_b32 exec_lo, exec_lo, s18
.LBB342_1459:                           ;   in Loop: Header=BB342_1066 Depth=1
	s_delay_alu instid0(SALU_CYCLE_1)
	s_or_b32 exec_lo, exec_lo, s17
.LBB342_1460:                           ;   in Loop: Header=BB342_1066 Depth=1
	s_delay_alu instid0(SALU_CYCLE_1)
	s_or_b32 exec_lo, exec_lo, s16
	v_fma_mixlo_bf16 v59, v55, v5, 0
	v_fma_mixlo_bf16 v60, v55, v4, 0
	v_fma_mixlo_bf16 v63, v55, v3, 0
	v_fma_mixlo_bf16 v72, v55, v2, 0
	v_fma_mixlo_bf16 v73, v55, v1, 0
	v_fma_mixlo_bf16 v74, v55, v0, 0
	v_fma_mixlo_bf16 v61, v55, v7, 0
	v_fma_mixlo_bf16 v62, v55, v6, 0
	s_and_saveexec_b32 s16, vcc_lo
	s_cbranch_execz .LBB342_1462
; %bb.1461:                             ;   in Loop: Header=BB342_1066 Depth=1
	v_cmp_lt_i32_e64 s1, v102, v52
	s_delay_alu instid0(VALU_DEP_1) | instskip(SKIP_1) | instid1(VALU_DEP_1)
	v_cndmask_b32_e64 v74, 0, v74, s1
	v_cmp_lt_i32_e64 s1, v114, v52
	v_cndmask_b32_e64 v73, 0, v73, s1
	v_cmp_lt_i32_e64 s1, v113, v52
	s_delay_alu instid0(VALU_DEP_1) | instskip(SKIP_1) | instid1(VALU_DEP_1)
	v_cndmask_b32_e64 v72, 0, v72, s1
	v_cmp_lt_i32_e64 s1, v112, v52
	v_cndmask_b32_e64 v63, 0, v63, s1
	;; [unrolled: 5-line block ×4, first 2 shown]
.LBB342_1462:                           ;   in Loop: Header=BB342_1066 Depth=1
	s_or_b32 exec_lo, exec_lo, s16
	flat_load_b64 v[36:37], v[34:35] offset:1536
	v_dual_mov_b32 v1, 0 :: v_dual_mov_b32 v0, 0
	s_mov_b32 s16, exec_lo
	s_wait_loadcnt_dscnt 0x0
	v_and_b32_e32 v2, 0xff, v36
	s_wait_xcnt 0x0
	s_delay_alu instid0(VALU_DEP_1)
	v_cmpx_ne_u16_e32 0, v2
	s_cbranch_execz .LBB342_1470
; %bb.1463:                             ;   in Loop: Header=BB342_1066 Depth=1
	v_bfrev_b32_e32 v0, 1
	s_mov_b32 s17, exec_lo
	v_cmpx_ne_u16_e32 0x80, v2
	s_cbranch_execz .LBB342_1469
; %bb.1464:                             ;   in Loop: Header=BB342_1066 Depth=1
	v_and_b32_e32 v2, 0x7f, v36
	v_mov_b32_e32 v0, 0x7f800001
	s_mov_b32 s18, exec_lo
	s_delay_alu instid0(VALU_DEP_2)
	v_cmpx_ne_u32_e32 0x7f, v2
	s_cbranch_execz .LBB342_1468
; %bb.1465:                             ;   in Loop: Header=BB342_1066 Depth=1
	v_mov_b64_e32 v[38:39], v[36:37]
	v_lshrrev_b32_e32 v0, 3, v2
	s_mov_b32 s19, exec_lo
	v_cmpx_gt_u32_e32 8, v2
; %bb.1466:                             ;   in Loop: Header=BB342_1066 Depth=1
	v_and_b32_e32 v0, 7, v36
	s_delay_alu instid0(VALU_DEP_1) | instskip(NEXT) | instid1(VALU_DEP_1)
	v_clz_i32_u32_e32 v0, v0
	v_min_u32_e32 v0, 32, v0
	s_delay_alu instid0(VALU_DEP_1) | instskip(SKIP_1) | instid1(VALU_DEP_2)
	v_subrev_nc_u32_e32 v2, 28, v0
	v_sub_nc_u32_e32 v0, 29, v0
	v_lshlrev_b64_e32 v[38:39], v2, v[36:37]
; %bb.1467:                             ;   in Loop: Header=BB342_1066 Depth=1
	s_or_b32 exec_lo, exec_lo, s19
	s_delay_alu instid0(VALU_DEP_1) | instskip(NEXT) | instid1(VALU_DEP_3)
	v_dual_lshlrev_b32 v2, 20, v38 :: v_dual_lshlrev_b32 v3, 24, v36
	v_lshl_add_u32 v0, v0, 23, 0x3c000000
	s_delay_alu instid0(VALU_DEP_2) | instskip(NEXT) | instid1(VALU_DEP_3)
	v_and_b32_e32 v2, 0x700000, v2
	v_and_b32_e32 v3, 0x80000000, v3
	s_delay_alu instid0(VALU_DEP_1)
	v_or3_b32 v0, v2, v3, v0
.LBB342_1468:                           ;   in Loop: Header=BB342_1066 Depth=1
	s_or_b32 exec_lo, exec_lo, s18
.LBB342_1469:                           ;   in Loop: Header=BB342_1066 Depth=1
	s_delay_alu instid0(SALU_CYCLE_1)
	s_or_b32 exec_lo, exec_lo, s17
.LBB342_1470:                           ;   in Loop: Header=BB342_1066 Depth=1
	s_delay_alu instid0(SALU_CYCLE_1) | instskip(SKIP_2) | instid1(VALU_DEP_1)
	s_or_b32 exec_lo, exec_lo, s16
	v_lshrrev_b16 v2, 8, v36
	s_mov_b32 s16, exec_lo
	v_cmpx_ne_u16_e32 0, v2
	s_cbranch_execz .LBB342_1478
; %bb.1471:                             ;   in Loop: Header=BB342_1066 Depth=1
	v_bfrev_b32_e32 v1, 1
	s_mov_b32 s17, exec_lo
	v_cmpx_ne_u16_e32 0x80, v2
	s_cbranch_execz .LBB342_1477
; %bb.1472:                             ;   in Loop: Header=BB342_1066 Depth=1
	v_and_b32_e32 v3, 0xffff, v2
	v_mov_b32_e32 v1, 0x7f800001
	s_mov_b32 s18, exec_lo
	s_delay_alu instid0(VALU_DEP_2) | instskip(NEXT) | instid1(VALU_DEP_1)
	v_and_b32_e32 v2, 0x7f, v3
	v_cmpx_ne_u32_e32 0x7f, v2
	s_cbranch_execz .LBB342_1476
; %bb.1473:                             ;   in Loop: Header=BB342_1066 Depth=1
	v_dual_lshrrev_b32 v1, 3, v2 :: v_dual_bitop2_b32 v22, 7, v3 bitop3:0x40
	s_mov_b32 s19, exec_lo
	s_delay_alu instid0(VALU_DEP_1)
	v_mov_b64_e32 v[38:39], v[22:23]
	v_cmpx_gt_u32_e32 8, v2
; %bb.1474:                             ;   in Loop: Header=BB342_1066 Depth=1
	v_clz_i32_u32_e32 v1, v22
	s_delay_alu instid0(VALU_DEP_1) | instskip(NEXT) | instid1(VALU_DEP_1)
	v_min_u32_e32 v1, 32, v1
	v_subrev_nc_u32_e32 v2, 28, v1
	s_delay_alu instid0(VALU_DEP_1) | instskip(NEXT) | instid1(VALU_DEP_1)
	v_lshlrev_b64_e32 v[2:3], v2, v[22:23]
	v_dual_sub_nc_u32 v1, 29, v1 :: v_dual_bitop2_b32 v38, 7, v2 bitop3:0x40
; %bb.1475:                             ;   in Loop: Header=BB342_1066 Depth=1
	s_or_b32 exec_lo, exec_lo, s19
	s_delay_alu instid0(VALU_DEP_1) | instskip(NEXT) | instid1(VALU_DEP_2)
	v_dual_lshlrev_b32 v2, 16, v36 :: v_dual_lshlrev_b32 v3, 20, v38
	v_lshl_add_u32 v1, v1, 23, 0x3c000000
	s_delay_alu instid0(VALU_DEP_2) | instskip(NEXT) | instid1(VALU_DEP_1)
	v_and_b32_e32 v2, 0x80000000, v2
	v_or3_b32 v1, v3, v2, v1
.LBB342_1476:                           ;   in Loop: Header=BB342_1066 Depth=1
	s_or_b32 exec_lo, exec_lo, s18
.LBB342_1477:                           ;   in Loop: Header=BB342_1066 Depth=1
	s_delay_alu instid0(SALU_CYCLE_1)
	s_or_b32 exec_lo, exec_lo, s17
.LBB342_1478:                           ;   in Loop: Header=BB342_1066 Depth=1
	s_delay_alu instid0(SALU_CYCLE_1) | instskip(SKIP_3) | instid1(VALU_DEP_2)
	s_or_b32 exec_lo, exec_lo, s16
	v_dual_mov_b32 v3, 0 :: v_dual_lshrrev_b32 v4, 16, v36
	v_mov_b32_e32 v2, 0
	s_mov_b32 s16, exec_lo
	v_and_b32_e32 v5, 0xff, v4
	s_delay_alu instid0(VALU_DEP_1)
	v_cmpx_ne_u16_e32 0, v5
	s_cbranch_execz .LBB342_1486
; %bb.1479:                             ;   in Loop: Header=BB342_1066 Depth=1
	v_bfrev_b32_e32 v2, 1
	s_mov_b32 s17, exec_lo
	v_cmpx_ne_u16_e32 0x80, v5
	s_cbranch_execz .LBB342_1485
; %bb.1480:                             ;   in Loop: Header=BB342_1066 Depth=1
	v_bfe_u32 v5, v36, 16, 7
	v_mov_b32_e32 v2, 0x7f800001
	s_mov_b32 s18, exec_lo
	s_delay_alu instid0(VALU_DEP_2)
	v_cmpx_ne_u32_e32 0x7f, v5
	s_cbranch_execz .LBB342_1484
; %bb.1481:                             ;   in Loop: Header=BB342_1066 Depth=1
	v_dual_lshrrev_b32 v2, 3, v5 :: v_dual_bitop2_b32 v22, 7, v4 bitop3:0x40
	s_mov_b32 s19, exec_lo
	s_delay_alu instid0(VALU_DEP_1)
	v_mov_b64_e32 v[38:39], v[22:23]
	v_cmpx_gt_u32_e32 8, v5
; %bb.1482:                             ;   in Loop: Header=BB342_1066 Depth=1
	v_clz_i32_u32_e32 v2, v22
	s_delay_alu instid0(VALU_DEP_1) | instskip(NEXT) | instid1(VALU_DEP_1)
	v_min_u32_e32 v2, 32, v2
	v_subrev_nc_u32_e32 v5, 28, v2
	v_sub_nc_u32_e32 v2, 29, v2
	s_delay_alu instid0(VALU_DEP_2) | instskip(NEXT) | instid1(VALU_DEP_1)
	v_lshlrev_b64_e32 v[6:7], v5, v[22:23]
	v_and_b32_e32 v38, 7, v6
; %bb.1483:                             ;   in Loop: Header=BB342_1066 Depth=1
	s_or_b32 exec_lo, exec_lo, s19
	s_delay_alu instid0(VALU_DEP_1) | instskip(SKIP_1) | instid1(VALU_DEP_2)
	v_dual_lshlrev_b32 v4, 24, v4 :: v_dual_lshlrev_b32 v5, 20, v38
	v_lshl_add_u32 v2, v2, 23, 0x3c000000
	v_and_b32_e32 v4, 0x80000000, v4
	s_delay_alu instid0(VALU_DEP_1)
	v_or3_b32 v2, v5, v4, v2
.LBB342_1484:                           ;   in Loop: Header=BB342_1066 Depth=1
	s_or_b32 exec_lo, exec_lo, s18
.LBB342_1485:                           ;   in Loop: Header=BB342_1066 Depth=1
	s_delay_alu instid0(SALU_CYCLE_1)
	s_or_b32 exec_lo, exec_lo, s17
.LBB342_1486:                           ;   in Loop: Header=BB342_1066 Depth=1
	s_delay_alu instid0(SALU_CYCLE_1) | instskip(NEXT) | instid1(SALU_CYCLE_1)
	s_or_b32 exec_lo, exec_lo, s16
	s_mov_b32 s16, exec_lo
	v_cmpx_lt_u32_e32 0xffffff, v36
	s_cbranch_execz .LBB342_1494
; %bb.1487:                             ;   in Loop: Header=BB342_1066 Depth=1
	v_lshrrev_b32_e32 v4, 24, v36
	v_bfrev_b32_e32 v3, 1
	s_mov_b32 s17, exec_lo
	s_delay_alu instid0(VALU_DEP_2)
	v_cmpx_ne_u32_e32 0x80, v4
	s_cbranch_execz .LBB342_1493
; %bb.1488:                             ;   in Loop: Header=BB342_1066 Depth=1
	v_bfe_u32 v5, v36, 24, 7
	v_mov_b32_e32 v3, 0x7f800001
	s_mov_b32 s18, exec_lo
	s_delay_alu instid0(VALU_DEP_2)
	v_cmpx_ne_u32_e32 0x7f, v5
	s_cbranch_execz .LBB342_1492
; %bb.1489:                             ;   in Loop: Header=BB342_1066 Depth=1
	v_dual_lshrrev_b32 v3, 3, v5 :: v_dual_bitop2_b32 v22, 7, v4 bitop3:0x40
	s_mov_b32 s19, exec_lo
	s_delay_alu instid0(VALU_DEP_1)
	v_mov_b64_e32 v[38:39], v[22:23]
	v_cmpx_gt_u32_e32 8, v5
; %bb.1490:                             ;   in Loop: Header=BB342_1066 Depth=1
	v_clz_i32_u32_e32 v3, v22
	s_delay_alu instid0(VALU_DEP_1) | instskip(NEXT) | instid1(VALU_DEP_1)
	v_min_u32_e32 v3, 32, v3
	v_subrev_nc_u32_e32 v5, 28, v3
	s_delay_alu instid0(VALU_DEP_1) | instskip(NEXT) | instid1(VALU_DEP_1)
	v_lshlrev_b64_e32 v[6:7], v5, v[22:23]
	v_dual_sub_nc_u32 v3, 29, v3 :: v_dual_bitop2_b32 v38, 7, v6 bitop3:0x40
; %bb.1491:                             ;   in Loop: Header=BB342_1066 Depth=1
	s_or_b32 exec_lo, exec_lo, s19
	s_delay_alu instid0(VALU_DEP_1) | instskip(NEXT) | instid1(VALU_DEP_2)
	v_dual_lshlrev_b32 v4, 24, v4 :: v_dual_lshlrev_b32 v5, 20, v38
	v_lshl_add_u32 v3, v3, 23, 0x3c000000
	s_delay_alu instid0(VALU_DEP_2) | instskip(NEXT) | instid1(VALU_DEP_1)
	v_and_b32_e32 v4, 0x80000000, v4
	v_or3_b32 v3, v5, v4, v3
.LBB342_1492:                           ;   in Loop: Header=BB342_1066 Depth=1
	s_or_b32 exec_lo, exec_lo, s18
.LBB342_1493:                           ;   in Loop: Header=BB342_1066 Depth=1
	s_delay_alu instid0(SALU_CYCLE_1)
	s_or_b32 exec_lo, exec_lo, s17
.LBB342_1494:                           ;   in Loop: Header=BB342_1066 Depth=1
	s_delay_alu instid0(SALU_CYCLE_1) | instskip(SKIP_4) | instid1(VALU_DEP_3)
	s_or_b32 exec_lo, exec_lo, s16
	v_and_b32_e32 v6, 0xff, v37
	v_dual_mov_b32 v22, v37 :: v_dual_mov_b32 v5, 0
	v_mov_b32_e32 v4, 0
	s_mov_b32 s16, exec_lo
	v_cmpx_ne_u16_e32 0, v6
	s_cbranch_execz .LBB342_1502
; %bb.1495:                             ;   in Loop: Header=BB342_1066 Depth=1
	v_bfrev_b32_e32 v4, 1
	s_mov_b32 s17, exec_lo
	v_cmpx_ne_u16_e32 0x80, v6
	s_cbranch_execz .LBB342_1501
; %bb.1496:                             ;   in Loop: Header=BB342_1066 Depth=1
	v_and_b32_e32 v6, 0x7f, v37
	v_mov_b32_e32 v4, 0x7f800001
	s_mov_b32 s18, exec_lo
	s_delay_alu instid0(VALU_DEP_2)
	v_cmpx_ne_u32_e32 0x7f, v6
	s_cbranch_execz .LBB342_1500
; %bb.1497:                             ;   in Loop: Header=BB342_1066 Depth=1
	v_mov_b64_e32 v[38:39], v[22:23]
	v_lshrrev_b32_e32 v4, 3, v6
	s_mov_b32 s19, exec_lo
	v_cmpx_gt_u32_e32 8, v6
; %bb.1498:                             ;   in Loop: Header=BB342_1066 Depth=1
	v_and_b32_e32 v4, 7, v37
	s_delay_alu instid0(VALU_DEP_1) | instskip(NEXT) | instid1(VALU_DEP_1)
	v_clz_i32_u32_e32 v4, v4
	v_min_u32_e32 v4, 32, v4
	s_delay_alu instid0(VALU_DEP_1) | instskip(SKIP_1) | instid1(VALU_DEP_2)
	v_subrev_nc_u32_e32 v6, 28, v4
	v_sub_nc_u32_e32 v4, 29, v4
	v_lshlrev_b64_e32 v[38:39], v6, v[22:23]
; %bb.1499:                             ;   in Loop: Header=BB342_1066 Depth=1
	s_or_b32 exec_lo, exec_lo, s19
	s_delay_alu instid0(VALU_DEP_1) | instskip(SKIP_2) | instid1(VALU_DEP_3)
	v_lshlrev_b32_e32 v6, 20, v38
	v_lshlrev_b32_e32 v7, 24, v22
	v_lshl_add_u32 v4, v4, 23, 0x3c000000
	v_and_b32_e32 v6, 0x700000, v6
	s_delay_alu instid0(VALU_DEP_3) | instskip(NEXT) | instid1(VALU_DEP_1)
	v_and_b32_e32 v7, 0x80000000, v7
	v_or3_b32 v4, v6, v7, v4
.LBB342_1500:                           ;   in Loop: Header=BB342_1066 Depth=1
	s_or_b32 exec_lo, exec_lo, s18
.LBB342_1501:                           ;   in Loop: Header=BB342_1066 Depth=1
	s_delay_alu instid0(SALU_CYCLE_1)
	s_or_b32 exec_lo, exec_lo, s17
.LBB342_1502:                           ;   in Loop: Header=BB342_1066 Depth=1
	s_delay_alu instid0(SALU_CYCLE_1) | instskip(SKIP_2) | instid1(VALU_DEP_1)
	s_or_b32 exec_lo, exec_lo, s16
	v_lshrrev_b16 v6, 8, v22
	s_mov_b32 s16, exec_lo
	v_cmpx_ne_u16_e32 0, v6
	s_cbranch_execz .LBB342_1510
; %bb.1503:                             ;   in Loop: Header=BB342_1066 Depth=1
	v_bfrev_b32_e32 v5, 1
	s_mov_b32 s17, exec_lo
	v_cmpx_ne_u16_e32 0x80, v6
	s_cbranch_execz .LBB342_1509
; %bb.1504:                             ;   in Loop: Header=BB342_1066 Depth=1
	v_and_b32_e32 v7, 0xffff, v6
	v_mov_b32_e32 v5, 0x7f800001
	s_mov_b32 s18, exec_lo
	s_delay_alu instid0(VALU_DEP_2) | instskip(NEXT) | instid1(VALU_DEP_1)
	v_and_b32_e32 v6, 0x7f, v7
	v_cmpx_ne_u32_e32 0x7f, v6
	s_cbranch_execz .LBB342_1508
; %bb.1505:                             ;   in Loop: Header=BB342_1066 Depth=1
	v_dual_mov_b32 v39, v23 :: v_dual_bitop2_b32 v38, 7, v7 bitop3:0x40
	v_lshrrev_b32_e32 v5, 3, v6
	s_mov_b32 s19, exec_lo
	v_cmpx_gt_u32_e32 8, v6
; %bb.1506:                             ;   in Loop: Header=BB342_1066 Depth=1
	s_delay_alu instid0(VALU_DEP_3) | instskip(NEXT) | instid1(VALU_DEP_1)
	v_clz_i32_u32_e32 v5, v38
	v_min_u32_e32 v5, 32, v5
	s_delay_alu instid0(VALU_DEP_1) | instskip(NEXT) | instid1(VALU_DEP_1)
	v_subrev_nc_u32_e32 v6, 28, v5
	v_lshlrev_b64_e32 v[6:7], v6, v[38:39]
	s_delay_alu instid0(VALU_DEP_1)
	v_dual_sub_nc_u32 v5, 29, v5 :: v_dual_bitop2_b32 v38, 7, v6 bitop3:0x40
; %bb.1507:                             ;   in Loop: Header=BB342_1066 Depth=1
	s_or_b32 exec_lo, exec_lo, s19
	v_lshlrev_b32_e32 v6, 16, v22
	s_delay_alu instid0(VALU_DEP_2) | instskip(NEXT) | instid1(VALU_DEP_3)
	v_lshlrev_b32_e32 v7, 20, v38
	v_lshl_add_u32 v5, v5, 23, 0x3c000000
	s_delay_alu instid0(VALU_DEP_3) | instskip(NEXT) | instid1(VALU_DEP_1)
	v_and_b32_e32 v6, 0x80000000, v6
	v_or3_b32 v5, v7, v6, v5
.LBB342_1508:                           ;   in Loop: Header=BB342_1066 Depth=1
	s_or_b32 exec_lo, exec_lo, s18
.LBB342_1509:                           ;   in Loop: Header=BB342_1066 Depth=1
	s_delay_alu instid0(SALU_CYCLE_1)
	s_or_b32 exec_lo, exec_lo, s17
.LBB342_1510:                           ;   in Loop: Header=BB342_1066 Depth=1
	s_delay_alu instid0(SALU_CYCLE_1) | instskip(SKIP_3) | instid1(VALU_DEP_2)
	s_or_b32 exec_lo, exec_lo, s16
	v_dual_lshrrev_b32 v8, 16, v37 :: v_dual_mov_b32 v6, 0
	v_mov_b32_e32 v7, 0
	s_mov_b32 s16, exec_lo
	v_and_b32_e32 v9, 0xff, v8
	s_delay_alu instid0(VALU_DEP_1)
	v_cmpx_ne_u16_e32 0, v9
	s_cbranch_execz .LBB342_1518
; %bb.1511:                             ;   in Loop: Header=BB342_1066 Depth=1
	v_bfrev_b32_e32 v7, 1
	s_mov_b32 s17, exec_lo
	v_cmpx_ne_u16_e32 0x80, v9
	s_cbranch_execz .LBB342_1517
; %bb.1512:                             ;   in Loop: Header=BB342_1066 Depth=1
	v_bfe_u32 v9, v37, 16, 7
	v_mov_b32_e32 v7, 0x7f800001
	s_mov_b32 s18, exec_lo
	s_delay_alu instid0(VALU_DEP_2)
	v_cmpx_ne_u32_e32 0x7f, v9
	s_cbranch_execz .LBB342_1516
; %bb.1513:                             ;   in Loop: Header=BB342_1066 Depth=1
	v_dual_lshrrev_b32 v7, 3, v9 :: v_dual_bitop2_b32 v22, 7, v8 bitop3:0x40
	s_mov_b32 s19, exec_lo
	s_delay_alu instid0(VALU_DEP_1)
	v_mov_b64_e32 v[38:39], v[22:23]
	v_cmpx_gt_u32_e32 8, v9
; %bb.1514:                             ;   in Loop: Header=BB342_1066 Depth=1
	v_clz_i32_u32_e32 v7, v22
	s_delay_alu instid0(VALU_DEP_1) | instskip(NEXT) | instid1(VALU_DEP_1)
	v_min_u32_e32 v7, 32, v7
	v_subrev_nc_u32_e32 v9, 28, v7
	s_delay_alu instid0(VALU_DEP_1) | instskip(NEXT) | instid1(VALU_DEP_1)
	v_lshlrev_b64_e32 v[18:19], v9, v[22:23]
	v_dual_sub_nc_u32 v7, 29, v7 :: v_dual_bitop2_b32 v38, 7, v18 bitop3:0x40
; %bb.1515:                             ;   in Loop: Header=BB342_1066 Depth=1
	s_or_b32 exec_lo, exec_lo, s19
	s_delay_alu instid0(VALU_DEP_1) | instskip(NEXT) | instid1(VALU_DEP_2)
	v_dual_lshlrev_b32 v8, 24, v8 :: v_dual_lshlrev_b32 v9, 20, v38
	v_lshl_add_u32 v7, v7, 23, 0x3c000000
	s_delay_alu instid0(VALU_DEP_2) | instskip(NEXT) | instid1(VALU_DEP_1)
	v_and_b32_e32 v8, 0x80000000, v8
	v_or3_b32 v7, v9, v8, v7
.LBB342_1516:                           ;   in Loop: Header=BB342_1066 Depth=1
	s_or_b32 exec_lo, exec_lo, s18
.LBB342_1517:                           ;   in Loop: Header=BB342_1066 Depth=1
	s_delay_alu instid0(SALU_CYCLE_1)
	s_or_b32 exec_lo, exec_lo, s17
.LBB342_1518:                           ;   in Loop: Header=BB342_1066 Depth=1
	s_delay_alu instid0(SALU_CYCLE_1) | instskip(NEXT) | instid1(SALU_CYCLE_1)
	s_or_b32 exec_lo, exec_lo, s16
	s_mov_b32 s16, exec_lo
	v_cmpx_lt_u64_e64 s[2:3], v[36:37]
	s_cbranch_execz .LBB342_1526
; %bb.1519:                             ;   in Loop: Header=BB342_1066 Depth=1
	v_lshrrev_b32_e32 v8, 24, v37
	v_bfrev_b32_e32 v6, 1
	s_mov_b32 s17, exec_lo
	s_delay_alu instid0(VALU_DEP_2)
	v_cmpx_ne_u32_e32 0x80, v8
	s_cbranch_execz .LBB342_1525
; %bb.1520:                             ;   in Loop: Header=BB342_1066 Depth=1
	v_bfe_u32 v9, v37, 24, 7
	v_mov_b32_e32 v6, 0x7f800001
	s_mov_b32 s18, exec_lo
	s_delay_alu instid0(VALU_DEP_2)
	v_cmpx_ne_u32_e32 0x7f, v9
	s_cbranch_execz .LBB342_1524
; %bb.1521:                             ;   in Loop: Header=BB342_1066 Depth=1
	v_dual_lshrrev_b32 v6, 3, v9 :: v_dual_bitop2_b32 v22, 7, v8 bitop3:0x40
	s_mov_b32 s19, exec_lo
	s_delay_alu instid0(VALU_DEP_1)
	v_mov_b64_e32 v[36:37], v[22:23]
	v_cmpx_gt_u32_e32 8, v9
; %bb.1522:                             ;   in Loop: Header=BB342_1066 Depth=1
	v_clz_i32_u32_e32 v6, v22
	s_delay_alu instid0(VALU_DEP_1) | instskip(NEXT) | instid1(VALU_DEP_1)
	v_min_u32_e32 v6, 32, v6
	v_subrev_nc_u32_e32 v9, 28, v6
	v_sub_nc_u32_e32 v6, 29, v6
	s_delay_alu instid0(VALU_DEP_2) | instskip(NEXT) | instid1(VALU_DEP_1)
	v_lshlrev_b64_e32 v[18:19], v9, v[22:23]
	v_and_b32_e32 v36, 7, v18
; %bb.1523:                             ;   in Loop: Header=BB342_1066 Depth=1
	s_or_b32 exec_lo, exec_lo, s19
	v_lshlrev_b32_e32 v8, 24, v8
	s_delay_alu instid0(VALU_DEP_2) | instskip(SKIP_1) | instid1(VALU_DEP_3)
	v_lshlrev_b32_e32 v9, 20, v36
	v_lshl_add_u32 v6, v6, 23, 0x3c000000
	v_and_b32_e32 v8, 0x80000000, v8
	s_delay_alu instid0(VALU_DEP_1)
	v_or3_b32 v6, v9, v8, v6
.LBB342_1524:                           ;   in Loop: Header=BB342_1066 Depth=1
	s_or_b32 exec_lo, exec_lo, s18
.LBB342_1525:                           ;   in Loop: Header=BB342_1066 Depth=1
	s_delay_alu instid0(SALU_CYCLE_1)
	s_or_b32 exec_lo, exec_lo, s17
.LBB342_1526:                           ;   in Loop: Header=BB342_1066 Depth=1
	s_delay_alu instid0(SALU_CYCLE_1)
	s_or_b32 exec_lo, exec_lo, s16
	v_fma_mixlo_bf16 v75, v55, v5, 0
	v_fma_mixlo_bf16 v76, v55, v4, 0
	;; [unrolled: 1-line block ×8, first 2 shown]
	s_and_saveexec_b32 s16, vcc_lo
	s_cbranch_execz .LBB342_1528
; %bb.1527:                             ;   in Loop: Header=BB342_1066 Depth=1
	v_cmp_lt_i32_e64 s1, v102, v52
	s_delay_alu instid0(VALU_DEP_1) | instskip(SKIP_1) | instid1(VALU_DEP_1)
	v_cndmask_b32_e64 v90, 0, v90, s1
	v_cmp_lt_i32_e64 s1, v114, v52
	v_cndmask_b32_e64 v89, 0, v89, s1
	v_cmp_lt_i32_e64 s1, v113, v52
	s_delay_alu instid0(VALU_DEP_1) | instskip(SKIP_1) | instid1(VALU_DEP_1)
	v_cndmask_b32_e64 v88, 0, v88, s1
	v_cmp_lt_i32_e64 s1, v112, v52
	v_cndmask_b32_e64 v79, 0, v79, s1
	;; [unrolled: 5-line block ×4, first 2 shown]
.LBB342_1528:                           ;   in Loop: Header=BB342_1066 Depth=1
	s_or_b32 exec_lo, exec_lo, s16
	flat_load_b64 v[36:37], v[34:35] offset:1792
	v_dual_mov_b32 v1, 0 :: v_dual_mov_b32 v0, 0
	s_mov_b32 s16, exec_lo
	s_wait_loadcnt_dscnt 0x0
	v_and_b32_e32 v2, 0xff, v36
	s_wait_xcnt 0x0
	s_delay_alu instid0(VALU_DEP_1)
	v_cmpx_ne_u16_e32 0, v2
	s_cbranch_execz .LBB342_1536
; %bb.1529:                             ;   in Loop: Header=BB342_1066 Depth=1
	v_bfrev_b32_e32 v0, 1
	s_mov_b32 s17, exec_lo
	v_cmpx_ne_u16_e32 0x80, v2
	s_cbranch_execz .LBB342_1535
; %bb.1530:                             ;   in Loop: Header=BB342_1066 Depth=1
	v_and_b32_e32 v2, 0x7f, v36
	v_mov_b32_e32 v0, 0x7f800001
	s_mov_b32 s18, exec_lo
	s_delay_alu instid0(VALU_DEP_2)
	v_cmpx_ne_u32_e32 0x7f, v2
	s_cbranch_execz .LBB342_1534
; %bb.1531:                             ;   in Loop: Header=BB342_1066 Depth=1
	v_mov_b64_e32 v[38:39], v[36:37]
	v_lshrrev_b32_e32 v0, 3, v2
	s_mov_b32 s19, exec_lo
	v_cmpx_gt_u32_e32 8, v2
; %bb.1532:                             ;   in Loop: Header=BB342_1066 Depth=1
	v_and_b32_e32 v0, 7, v36
	s_delay_alu instid0(VALU_DEP_1) | instskip(NEXT) | instid1(VALU_DEP_1)
	v_clz_i32_u32_e32 v0, v0
	v_min_u32_e32 v0, 32, v0
	s_delay_alu instid0(VALU_DEP_1) | instskip(SKIP_1) | instid1(VALU_DEP_2)
	v_subrev_nc_u32_e32 v2, 28, v0
	v_sub_nc_u32_e32 v0, 29, v0
	v_lshlrev_b64_e32 v[38:39], v2, v[36:37]
; %bb.1533:                             ;   in Loop: Header=BB342_1066 Depth=1
	s_or_b32 exec_lo, exec_lo, s19
	s_delay_alu instid0(VALU_DEP_1) | instskip(NEXT) | instid1(VALU_DEP_3)
	v_dual_lshlrev_b32 v2, 20, v38 :: v_dual_lshlrev_b32 v3, 24, v36
	v_lshl_add_u32 v0, v0, 23, 0x3c000000
	s_delay_alu instid0(VALU_DEP_2) | instskip(NEXT) | instid1(VALU_DEP_3)
	v_and_b32_e32 v2, 0x700000, v2
	v_and_b32_e32 v3, 0x80000000, v3
	s_delay_alu instid0(VALU_DEP_1)
	v_or3_b32 v0, v2, v3, v0
.LBB342_1534:                           ;   in Loop: Header=BB342_1066 Depth=1
	s_or_b32 exec_lo, exec_lo, s18
.LBB342_1535:                           ;   in Loop: Header=BB342_1066 Depth=1
	s_delay_alu instid0(SALU_CYCLE_1)
	s_or_b32 exec_lo, exec_lo, s17
.LBB342_1536:                           ;   in Loop: Header=BB342_1066 Depth=1
	s_delay_alu instid0(SALU_CYCLE_1) | instskip(SKIP_2) | instid1(VALU_DEP_1)
	s_or_b32 exec_lo, exec_lo, s16
	v_lshrrev_b16 v2, 8, v36
	s_mov_b32 s16, exec_lo
	v_cmpx_ne_u16_e32 0, v2
	s_cbranch_execz .LBB342_1544
; %bb.1537:                             ;   in Loop: Header=BB342_1066 Depth=1
	v_bfrev_b32_e32 v1, 1
	s_mov_b32 s17, exec_lo
	v_cmpx_ne_u16_e32 0x80, v2
	s_cbranch_execz .LBB342_1543
; %bb.1538:                             ;   in Loop: Header=BB342_1066 Depth=1
	v_and_b32_e32 v3, 0xffff, v2
	v_mov_b32_e32 v1, 0x7f800001
	s_mov_b32 s18, exec_lo
	s_delay_alu instid0(VALU_DEP_2) | instskip(NEXT) | instid1(VALU_DEP_1)
	v_and_b32_e32 v2, 0x7f, v3
	v_cmpx_ne_u32_e32 0x7f, v2
	s_cbranch_execz .LBB342_1542
; %bb.1539:                             ;   in Loop: Header=BB342_1066 Depth=1
	v_dual_lshrrev_b32 v1, 3, v2 :: v_dual_bitop2_b32 v22, 7, v3 bitop3:0x40
	s_mov_b32 s19, exec_lo
	s_delay_alu instid0(VALU_DEP_1)
	v_mov_b64_e32 v[38:39], v[22:23]
	v_cmpx_gt_u32_e32 8, v2
; %bb.1540:                             ;   in Loop: Header=BB342_1066 Depth=1
	v_clz_i32_u32_e32 v1, v22
	s_delay_alu instid0(VALU_DEP_1) | instskip(NEXT) | instid1(VALU_DEP_1)
	v_min_u32_e32 v1, 32, v1
	v_subrev_nc_u32_e32 v2, 28, v1
	s_delay_alu instid0(VALU_DEP_1) | instskip(NEXT) | instid1(VALU_DEP_1)
	v_lshlrev_b64_e32 v[2:3], v2, v[22:23]
	v_dual_sub_nc_u32 v1, 29, v1 :: v_dual_bitop2_b32 v38, 7, v2 bitop3:0x40
; %bb.1541:                             ;   in Loop: Header=BB342_1066 Depth=1
	s_or_b32 exec_lo, exec_lo, s19
	s_delay_alu instid0(VALU_DEP_1) | instskip(NEXT) | instid1(VALU_DEP_2)
	v_dual_lshlrev_b32 v2, 16, v36 :: v_dual_lshlrev_b32 v3, 20, v38
	v_lshl_add_u32 v1, v1, 23, 0x3c000000
	s_delay_alu instid0(VALU_DEP_2) | instskip(NEXT) | instid1(VALU_DEP_1)
	v_and_b32_e32 v2, 0x80000000, v2
	v_or3_b32 v1, v3, v2, v1
.LBB342_1542:                           ;   in Loop: Header=BB342_1066 Depth=1
	s_or_b32 exec_lo, exec_lo, s18
.LBB342_1543:                           ;   in Loop: Header=BB342_1066 Depth=1
	s_delay_alu instid0(SALU_CYCLE_1)
	s_or_b32 exec_lo, exec_lo, s17
.LBB342_1544:                           ;   in Loop: Header=BB342_1066 Depth=1
	s_delay_alu instid0(SALU_CYCLE_1) | instskip(SKIP_3) | instid1(VALU_DEP_2)
	s_or_b32 exec_lo, exec_lo, s16
	v_dual_mov_b32 v3, 0 :: v_dual_lshrrev_b32 v4, 16, v36
	v_mov_b32_e32 v2, 0
	s_mov_b32 s16, exec_lo
	v_and_b32_e32 v5, 0xff, v4
	s_delay_alu instid0(VALU_DEP_1)
	v_cmpx_ne_u16_e32 0, v5
	s_cbranch_execz .LBB342_1552
; %bb.1545:                             ;   in Loop: Header=BB342_1066 Depth=1
	v_bfrev_b32_e32 v2, 1
	s_mov_b32 s17, exec_lo
	v_cmpx_ne_u16_e32 0x80, v5
	s_cbranch_execz .LBB342_1551
; %bb.1546:                             ;   in Loop: Header=BB342_1066 Depth=1
	v_bfe_u32 v5, v36, 16, 7
	v_mov_b32_e32 v2, 0x7f800001
	s_mov_b32 s18, exec_lo
	s_delay_alu instid0(VALU_DEP_2)
	v_cmpx_ne_u32_e32 0x7f, v5
	s_cbranch_execz .LBB342_1550
; %bb.1547:                             ;   in Loop: Header=BB342_1066 Depth=1
	v_dual_lshrrev_b32 v2, 3, v5 :: v_dual_bitop2_b32 v22, 7, v4 bitop3:0x40
	s_mov_b32 s19, exec_lo
	s_delay_alu instid0(VALU_DEP_1)
	v_mov_b64_e32 v[38:39], v[22:23]
	v_cmpx_gt_u32_e32 8, v5
; %bb.1548:                             ;   in Loop: Header=BB342_1066 Depth=1
	v_clz_i32_u32_e32 v2, v22
	s_delay_alu instid0(VALU_DEP_1) | instskip(NEXT) | instid1(VALU_DEP_1)
	v_min_u32_e32 v2, 32, v2
	v_subrev_nc_u32_e32 v5, 28, v2
	v_sub_nc_u32_e32 v2, 29, v2
	s_delay_alu instid0(VALU_DEP_2) | instskip(NEXT) | instid1(VALU_DEP_1)
	v_lshlrev_b64_e32 v[6:7], v5, v[22:23]
	v_and_b32_e32 v38, 7, v6
; %bb.1549:                             ;   in Loop: Header=BB342_1066 Depth=1
	s_or_b32 exec_lo, exec_lo, s19
	s_delay_alu instid0(VALU_DEP_1) | instskip(SKIP_1) | instid1(VALU_DEP_2)
	v_dual_lshlrev_b32 v4, 24, v4 :: v_dual_lshlrev_b32 v5, 20, v38
	v_lshl_add_u32 v2, v2, 23, 0x3c000000
	v_and_b32_e32 v4, 0x80000000, v4
	s_delay_alu instid0(VALU_DEP_1)
	v_or3_b32 v2, v5, v4, v2
.LBB342_1550:                           ;   in Loop: Header=BB342_1066 Depth=1
	s_or_b32 exec_lo, exec_lo, s18
.LBB342_1551:                           ;   in Loop: Header=BB342_1066 Depth=1
	s_delay_alu instid0(SALU_CYCLE_1)
	s_or_b32 exec_lo, exec_lo, s17
.LBB342_1552:                           ;   in Loop: Header=BB342_1066 Depth=1
	s_delay_alu instid0(SALU_CYCLE_1) | instskip(NEXT) | instid1(SALU_CYCLE_1)
	s_or_b32 exec_lo, exec_lo, s16
	s_mov_b32 s16, exec_lo
	v_cmpx_lt_u32_e32 0xffffff, v36
	s_cbranch_execz .LBB342_1560
; %bb.1553:                             ;   in Loop: Header=BB342_1066 Depth=1
	v_lshrrev_b32_e32 v4, 24, v36
	v_bfrev_b32_e32 v3, 1
	s_mov_b32 s17, exec_lo
	s_delay_alu instid0(VALU_DEP_2)
	v_cmpx_ne_u32_e32 0x80, v4
	s_cbranch_execz .LBB342_1559
; %bb.1554:                             ;   in Loop: Header=BB342_1066 Depth=1
	v_bfe_u32 v5, v36, 24, 7
	v_mov_b32_e32 v3, 0x7f800001
	s_mov_b32 s18, exec_lo
	s_delay_alu instid0(VALU_DEP_2)
	v_cmpx_ne_u32_e32 0x7f, v5
	s_cbranch_execz .LBB342_1558
; %bb.1555:                             ;   in Loop: Header=BB342_1066 Depth=1
	v_dual_lshrrev_b32 v3, 3, v5 :: v_dual_bitop2_b32 v22, 7, v4 bitop3:0x40
	s_mov_b32 s19, exec_lo
	s_delay_alu instid0(VALU_DEP_1)
	v_mov_b64_e32 v[38:39], v[22:23]
	v_cmpx_gt_u32_e32 8, v5
; %bb.1556:                             ;   in Loop: Header=BB342_1066 Depth=1
	v_clz_i32_u32_e32 v3, v22
	s_delay_alu instid0(VALU_DEP_1) | instskip(NEXT) | instid1(VALU_DEP_1)
	v_min_u32_e32 v3, 32, v3
	v_subrev_nc_u32_e32 v5, 28, v3
	s_delay_alu instid0(VALU_DEP_1) | instskip(NEXT) | instid1(VALU_DEP_1)
	v_lshlrev_b64_e32 v[6:7], v5, v[22:23]
	v_dual_sub_nc_u32 v3, 29, v3 :: v_dual_bitop2_b32 v38, 7, v6 bitop3:0x40
; %bb.1557:                             ;   in Loop: Header=BB342_1066 Depth=1
	s_or_b32 exec_lo, exec_lo, s19
	s_delay_alu instid0(VALU_DEP_1) | instskip(NEXT) | instid1(VALU_DEP_2)
	v_dual_lshlrev_b32 v4, 24, v4 :: v_dual_lshlrev_b32 v5, 20, v38
	v_lshl_add_u32 v3, v3, 23, 0x3c000000
	s_delay_alu instid0(VALU_DEP_2) | instskip(NEXT) | instid1(VALU_DEP_1)
	v_and_b32_e32 v4, 0x80000000, v4
	v_or3_b32 v3, v5, v4, v3
.LBB342_1558:                           ;   in Loop: Header=BB342_1066 Depth=1
	s_or_b32 exec_lo, exec_lo, s18
.LBB342_1559:                           ;   in Loop: Header=BB342_1066 Depth=1
	s_delay_alu instid0(SALU_CYCLE_1)
	s_or_b32 exec_lo, exec_lo, s17
.LBB342_1560:                           ;   in Loop: Header=BB342_1066 Depth=1
	s_delay_alu instid0(SALU_CYCLE_1) | instskip(SKIP_4) | instid1(VALU_DEP_3)
	s_or_b32 exec_lo, exec_lo, s16
	v_and_b32_e32 v6, 0xff, v37
	v_dual_mov_b32 v22, v37 :: v_dual_mov_b32 v5, 0
	v_mov_b32_e32 v4, 0
	s_mov_b32 s16, exec_lo
	v_cmpx_ne_u16_e32 0, v6
	s_cbranch_execz .LBB342_1568
; %bb.1561:                             ;   in Loop: Header=BB342_1066 Depth=1
	v_bfrev_b32_e32 v4, 1
	s_mov_b32 s17, exec_lo
	v_cmpx_ne_u16_e32 0x80, v6
	s_cbranch_execz .LBB342_1567
; %bb.1562:                             ;   in Loop: Header=BB342_1066 Depth=1
	v_and_b32_e32 v6, 0x7f, v37
	v_mov_b32_e32 v4, 0x7f800001
	s_mov_b32 s18, exec_lo
	s_delay_alu instid0(VALU_DEP_2)
	v_cmpx_ne_u32_e32 0x7f, v6
	s_cbranch_execz .LBB342_1566
; %bb.1563:                             ;   in Loop: Header=BB342_1066 Depth=1
	v_mov_b64_e32 v[38:39], v[22:23]
	v_lshrrev_b32_e32 v4, 3, v6
	s_mov_b32 s19, exec_lo
	v_cmpx_gt_u32_e32 8, v6
; %bb.1564:                             ;   in Loop: Header=BB342_1066 Depth=1
	v_and_b32_e32 v4, 7, v37
	s_delay_alu instid0(VALU_DEP_1) | instskip(NEXT) | instid1(VALU_DEP_1)
	v_clz_i32_u32_e32 v4, v4
	v_min_u32_e32 v4, 32, v4
	s_delay_alu instid0(VALU_DEP_1) | instskip(SKIP_1) | instid1(VALU_DEP_2)
	v_subrev_nc_u32_e32 v6, 28, v4
	v_sub_nc_u32_e32 v4, 29, v4
	v_lshlrev_b64_e32 v[38:39], v6, v[22:23]
; %bb.1565:                             ;   in Loop: Header=BB342_1066 Depth=1
	s_or_b32 exec_lo, exec_lo, s19
	s_delay_alu instid0(VALU_DEP_1) | instskip(SKIP_2) | instid1(VALU_DEP_3)
	v_lshlrev_b32_e32 v6, 20, v38
	v_lshlrev_b32_e32 v7, 24, v22
	v_lshl_add_u32 v4, v4, 23, 0x3c000000
	v_and_b32_e32 v6, 0x700000, v6
	s_delay_alu instid0(VALU_DEP_3) | instskip(NEXT) | instid1(VALU_DEP_1)
	v_and_b32_e32 v7, 0x80000000, v7
	v_or3_b32 v4, v6, v7, v4
.LBB342_1566:                           ;   in Loop: Header=BB342_1066 Depth=1
	s_or_b32 exec_lo, exec_lo, s18
.LBB342_1567:                           ;   in Loop: Header=BB342_1066 Depth=1
	s_delay_alu instid0(SALU_CYCLE_1)
	s_or_b32 exec_lo, exec_lo, s17
.LBB342_1568:                           ;   in Loop: Header=BB342_1066 Depth=1
	s_delay_alu instid0(SALU_CYCLE_1) | instskip(SKIP_2) | instid1(VALU_DEP_1)
	s_or_b32 exec_lo, exec_lo, s16
	v_lshrrev_b16 v6, 8, v22
	s_mov_b32 s16, exec_lo
	v_cmpx_ne_u16_e32 0, v6
	s_cbranch_execz .LBB342_1576
; %bb.1569:                             ;   in Loop: Header=BB342_1066 Depth=1
	v_bfrev_b32_e32 v5, 1
	s_mov_b32 s17, exec_lo
	v_cmpx_ne_u16_e32 0x80, v6
	s_cbranch_execz .LBB342_1575
; %bb.1570:                             ;   in Loop: Header=BB342_1066 Depth=1
	v_and_b32_e32 v7, 0xffff, v6
	v_mov_b32_e32 v5, 0x7f800001
	s_mov_b32 s18, exec_lo
	s_delay_alu instid0(VALU_DEP_2) | instskip(NEXT) | instid1(VALU_DEP_1)
	v_and_b32_e32 v6, 0x7f, v7
	v_cmpx_ne_u32_e32 0x7f, v6
	s_cbranch_execz .LBB342_1574
; %bb.1571:                             ;   in Loop: Header=BB342_1066 Depth=1
	v_dual_mov_b32 v39, v23 :: v_dual_bitop2_b32 v38, 7, v7 bitop3:0x40
	v_lshrrev_b32_e32 v5, 3, v6
	s_mov_b32 s19, exec_lo
	v_cmpx_gt_u32_e32 8, v6
; %bb.1572:                             ;   in Loop: Header=BB342_1066 Depth=1
	s_delay_alu instid0(VALU_DEP_3) | instskip(NEXT) | instid1(VALU_DEP_1)
	v_clz_i32_u32_e32 v5, v38
	v_min_u32_e32 v5, 32, v5
	s_delay_alu instid0(VALU_DEP_1) | instskip(NEXT) | instid1(VALU_DEP_1)
	v_subrev_nc_u32_e32 v6, 28, v5
	v_lshlrev_b64_e32 v[6:7], v6, v[38:39]
	s_delay_alu instid0(VALU_DEP_1)
	v_dual_sub_nc_u32 v5, 29, v5 :: v_dual_bitop2_b32 v38, 7, v6 bitop3:0x40
; %bb.1573:                             ;   in Loop: Header=BB342_1066 Depth=1
	s_or_b32 exec_lo, exec_lo, s19
	v_lshlrev_b32_e32 v6, 16, v22
	s_delay_alu instid0(VALU_DEP_2) | instskip(NEXT) | instid1(VALU_DEP_3)
	v_lshlrev_b32_e32 v7, 20, v38
	v_lshl_add_u32 v5, v5, 23, 0x3c000000
	s_delay_alu instid0(VALU_DEP_3) | instskip(NEXT) | instid1(VALU_DEP_1)
	v_and_b32_e32 v6, 0x80000000, v6
	v_or3_b32 v5, v7, v6, v5
.LBB342_1574:                           ;   in Loop: Header=BB342_1066 Depth=1
	s_or_b32 exec_lo, exec_lo, s18
.LBB342_1575:                           ;   in Loop: Header=BB342_1066 Depth=1
	s_delay_alu instid0(SALU_CYCLE_1)
	s_or_b32 exec_lo, exec_lo, s17
.LBB342_1576:                           ;   in Loop: Header=BB342_1066 Depth=1
	s_delay_alu instid0(SALU_CYCLE_1) | instskip(SKIP_3) | instid1(VALU_DEP_2)
	s_or_b32 exec_lo, exec_lo, s16
	v_dual_lshrrev_b32 v8, 16, v37 :: v_dual_mov_b32 v6, 0
	v_mov_b32_e32 v7, 0
	s_mov_b32 s16, exec_lo
	v_and_b32_e32 v9, 0xff, v8
	s_delay_alu instid0(VALU_DEP_1)
	v_cmpx_ne_u16_e32 0, v9
	s_cbranch_execz .LBB342_1584
; %bb.1577:                             ;   in Loop: Header=BB342_1066 Depth=1
	v_bfrev_b32_e32 v7, 1
	s_mov_b32 s17, exec_lo
	v_cmpx_ne_u16_e32 0x80, v9
	s_cbranch_execz .LBB342_1583
; %bb.1578:                             ;   in Loop: Header=BB342_1066 Depth=1
	v_bfe_u32 v9, v37, 16, 7
	v_mov_b32_e32 v7, 0x7f800001
	s_mov_b32 s18, exec_lo
	s_delay_alu instid0(VALU_DEP_2)
	v_cmpx_ne_u32_e32 0x7f, v9
	s_cbranch_execz .LBB342_1582
; %bb.1579:                             ;   in Loop: Header=BB342_1066 Depth=1
	v_dual_lshrrev_b32 v7, 3, v9 :: v_dual_bitop2_b32 v22, 7, v8 bitop3:0x40
	s_mov_b32 s19, exec_lo
	s_delay_alu instid0(VALU_DEP_1)
	v_mov_b64_e32 v[38:39], v[22:23]
	v_cmpx_gt_u32_e32 8, v9
; %bb.1580:                             ;   in Loop: Header=BB342_1066 Depth=1
	v_clz_i32_u32_e32 v7, v22
	s_delay_alu instid0(VALU_DEP_1) | instskip(NEXT) | instid1(VALU_DEP_1)
	v_min_u32_e32 v7, 32, v7
	v_subrev_nc_u32_e32 v9, 28, v7
	s_delay_alu instid0(VALU_DEP_1) | instskip(NEXT) | instid1(VALU_DEP_1)
	v_lshlrev_b64_e32 v[18:19], v9, v[22:23]
	v_dual_sub_nc_u32 v7, 29, v7 :: v_dual_bitop2_b32 v38, 7, v18 bitop3:0x40
; %bb.1581:                             ;   in Loop: Header=BB342_1066 Depth=1
	s_or_b32 exec_lo, exec_lo, s19
	s_delay_alu instid0(VALU_DEP_1) | instskip(NEXT) | instid1(VALU_DEP_2)
	v_dual_lshlrev_b32 v8, 24, v8 :: v_dual_lshlrev_b32 v9, 20, v38
	v_lshl_add_u32 v7, v7, 23, 0x3c000000
	s_delay_alu instid0(VALU_DEP_2) | instskip(NEXT) | instid1(VALU_DEP_1)
	v_and_b32_e32 v8, 0x80000000, v8
	v_or3_b32 v7, v9, v8, v7
.LBB342_1582:                           ;   in Loop: Header=BB342_1066 Depth=1
	s_or_b32 exec_lo, exec_lo, s18
.LBB342_1583:                           ;   in Loop: Header=BB342_1066 Depth=1
	s_delay_alu instid0(SALU_CYCLE_1)
	s_or_b32 exec_lo, exec_lo, s17
.LBB342_1584:                           ;   in Loop: Header=BB342_1066 Depth=1
	s_delay_alu instid0(SALU_CYCLE_1) | instskip(NEXT) | instid1(SALU_CYCLE_1)
	s_or_b32 exec_lo, exec_lo, s16
	s_mov_b32 s16, exec_lo
	v_cmpx_lt_u64_e64 s[2:3], v[36:37]
	s_cbranch_execz .LBB342_1592
; %bb.1585:                             ;   in Loop: Header=BB342_1066 Depth=1
	v_lshrrev_b32_e32 v8, 24, v37
	v_bfrev_b32_e32 v6, 1
	s_mov_b32 s17, exec_lo
	s_delay_alu instid0(VALU_DEP_2)
	v_cmpx_ne_u32_e32 0x80, v8
	s_cbranch_execz .LBB342_1591
; %bb.1586:                             ;   in Loop: Header=BB342_1066 Depth=1
	v_bfe_u32 v9, v37, 24, 7
	v_mov_b32_e32 v6, 0x7f800001
	s_mov_b32 s18, exec_lo
	s_delay_alu instid0(VALU_DEP_2)
	v_cmpx_ne_u32_e32 0x7f, v9
	s_cbranch_execz .LBB342_1590
; %bb.1587:                             ;   in Loop: Header=BB342_1066 Depth=1
	v_dual_lshrrev_b32 v6, 3, v9 :: v_dual_bitop2_b32 v22, 7, v8 bitop3:0x40
	s_mov_b32 s19, exec_lo
	s_delay_alu instid0(VALU_DEP_1)
	v_mov_b64_e32 v[36:37], v[22:23]
	v_cmpx_gt_u32_e32 8, v9
; %bb.1588:                             ;   in Loop: Header=BB342_1066 Depth=1
	v_clz_i32_u32_e32 v6, v22
	s_delay_alu instid0(VALU_DEP_1) | instskip(NEXT) | instid1(VALU_DEP_1)
	v_min_u32_e32 v6, 32, v6
	v_subrev_nc_u32_e32 v9, 28, v6
	v_sub_nc_u32_e32 v6, 29, v6
	s_delay_alu instid0(VALU_DEP_2) | instskip(NEXT) | instid1(VALU_DEP_1)
	v_lshlrev_b64_e32 v[18:19], v9, v[22:23]
	v_and_b32_e32 v36, 7, v18
; %bb.1589:                             ;   in Loop: Header=BB342_1066 Depth=1
	s_or_b32 exec_lo, exec_lo, s19
	v_lshlrev_b32_e32 v8, 24, v8
	s_delay_alu instid0(VALU_DEP_2) | instskip(SKIP_1) | instid1(VALU_DEP_3)
	v_lshlrev_b32_e32 v9, 20, v36
	v_lshl_add_u32 v6, v6, 23, 0x3c000000
	v_and_b32_e32 v8, 0x80000000, v8
	s_delay_alu instid0(VALU_DEP_1)
	v_or3_b32 v6, v9, v8, v6
.LBB342_1590:                           ;   in Loop: Header=BB342_1066 Depth=1
	s_or_b32 exec_lo, exec_lo, s18
.LBB342_1591:                           ;   in Loop: Header=BB342_1066 Depth=1
	s_delay_alu instid0(SALU_CYCLE_1)
	s_or_b32 exec_lo, exec_lo, s17
.LBB342_1592:                           ;   in Loop: Header=BB342_1066 Depth=1
	s_delay_alu instid0(SALU_CYCLE_1)
	s_or_b32 exec_lo, exec_lo, s16
	v_fma_mixlo_bf16 v91, v55, v5, 0
	v_fma_mixlo_bf16 v92, v55, v4, 0
	;; [unrolled: 1-line block ×8, first 2 shown]
	s_and_saveexec_b32 s16, vcc_lo
	s_cbranch_execz .LBB342_1594
; %bb.1593:                             ;   in Loop: Header=BB342_1066 Depth=1
	v_cmp_lt_i32_e64 s1, v102, v52
	s_delay_alu instid0(VALU_DEP_1) | instskip(SKIP_1) | instid1(VALU_DEP_1)
	v_cndmask_b32_e64 v106, 0, v106, s1
	v_cmp_lt_i32_e64 s1, v114, v52
	v_cndmask_b32_e64 v105, 0, v105, s1
	v_cmp_lt_i32_e64 s1, v113, v52
	s_delay_alu instid0(VALU_DEP_1) | instskip(SKIP_1) | instid1(VALU_DEP_1)
	v_cndmask_b32_e64 v104, 0, v104, s1
	v_cmp_lt_i32_e64 s1, v112, v52
	v_cndmask_b32_e64 v95, 0, v95, s1
	v_cmp_lt_i32_e64 s1, v103, v52
	s_delay_alu instid0(VALU_DEP_1) | instskip(SKIP_1) | instid1(VALU_DEP_1)
	v_cndmask_b32_e64 v92, 0, v92, s1
	v_cmp_lt_i32_e64 s1, v101, v52
	v_cndmask_b32_e64 v91, 0, v91, s1
	v_cmp_lt_i32_e64 s1, v100, v52
	s_delay_alu instid0(VALU_DEP_1) | instskip(SKIP_1) | instid1(VALU_DEP_1)
	v_cndmask_b32_e64 v93, 0, v93, s1
	v_cmp_lt_i32_e64 s1, v64, v52
	v_cndmask_b32_e64 v94, 0, v94, s1
.LBB342_1594:                           ;   in Loop: Header=BB342_1066 Depth=1
	s_or_b32 exec_lo, exec_lo, s16
	flat_load_b64 v[36:37], v[34:35] offset:2048
	v_dual_mov_b32 v1, 0 :: v_dual_mov_b32 v0, 0
	s_mov_b32 s16, exec_lo
	s_wait_loadcnt_dscnt 0x0
	v_and_b32_e32 v2, 0xff, v36
	s_wait_xcnt 0x0
	s_delay_alu instid0(VALU_DEP_1)
	v_cmpx_ne_u16_e32 0, v2
	s_cbranch_execz .LBB342_1602
; %bb.1595:                             ;   in Loop: Header=BB342_1066 Depth=1
	v_bfrev_b32_e32 v0, 1
	s_mov_b32 s17, exec_lo
	v_cmpx_ne_u16_e32 0x80, v2
	s_cbranch_execz .LBB342_1601
; %bb.1596:                             ;   in Loop: Header=BB342_1066 Depth=1
	v_and_b32_e32 v2, 0x7f, v36
	v_mov_b32_e32 v0, 0x7f800001
	s_mov_b32 s18, exec_lo
	s_delay_alu instid0(VALU_DEP_2)
	v_cmpx_ne_u32_e32 0x7f, v2
	s_cbranch_execz .LBB342_1600
; %bb.1597:                             ;   in Loop: Header=BB342_1066 Depth=1
	v_mov_b64_e32 v[38:39], v[36:37]
	v_lshrrev_b32_e32 v0, 3, v2
	s_mov_b32 s19, exec_lo
	v_cmpx_gt_u32_e32 8, v2
; %bb.1598:                             ;   in Loop: Header=BB342_1066 Depth=1
	v_and_b32_e32 v0, 7, v36
	s_delay_alu instid0(VALU_DEP_1) | instskip(NEXT) | instid1(VALU_DEP_1)
	v_clz_i32_u32_e32 v0, v0
	v_min_u32_e32 v0, 32, v0
	s_delay_alu instid0(VALU_DEP_1) | instskip(SKIP_1) | instid1(VALU_DEP_2)
	v_subrev_nc_u32_e32 v2, 28, v0
	v_sub_nc_u32_e32 v0, 29, v0
	v_lshlrev_b64_e32 v[38:39], v2, v[36:37]
; %bb.1599:                             ;   in Loop: Header=BB342_1066 Depth=1
	s_or_b32 exec_lo, exec_lo, s19
	s_delay_alu instid0(VALU_DEP_1) | instskip(NEXT) | instid1(VALU_DEP_3)
	v_dual_lshlrev_b32 v2, 20, v38 :: v_dual_lshlrev_b32 v3, 24, v36
	v_lshl_add_u32 v0, v0, 23, 0x3c000000
	s_delay_alu instid0(VALU_DEP_2) | instskip(NEXT) | instid1(VALU_DEP_3)
	v_and_b32_e32 v2, 0x700000, v2
	v_and_b32_e32 v3, 0x80000000, v3
	s_delay_alu instid0(VALU_DEP_1)
	v_or3_b32 v0, v2, v3, v0
.LBB342_1600:                           ;   in Loop: Header=BB342_1066 Depth=1
	s_or_b32 exec_lo, exec_lo, s18
.LBB342_1601:                           ;   in Loop: Header=BB342_1066 Depth=1
	s_delay_alu instid0(SALU_CYCLE_1)
	s_or_b32 exec_lo, exec_lo, s17
.LBB342_1602:                           ;   in Loop: Header=BB342_1066 Depth=1
	s_delay_alu instid0(SALU_CYCLE_1) | instskip(SKIP_2) | instid1(VALU_DEP_1)
	s_or_b32 exec_lo, exec_lo, s16
	v_lshrrev_b16 v2, 8, v36
	s_mov_b32 s16, exec_lo
	v_cmpx_ne_u16_e32 0, v2
	s_cbranch_execz .LBB342_1610
; %bb.1603:                             ;   in Loop: Header=BB342_1066 Depth=1
	v_bfrev_b32_e32 v1, 1
	s_mov_b32 s17, exec_lo
	v_cmpx_ne_u16_e32 0x80, v2
	s_cbranch_execz .LBB342_1609
; %bb.1604:                             ;   in Loop: Header=BB342_1066 Depth=1
	v_and_b32_e32 v3, 0xffff, v2
	v_mov_b32_e32 v1, 0x7f800001
	s_mov_b32 s18, exec_lo
	s_delay_alu instid0(VALU_DEP_2) | instskip(NEXT) | instid1(VALU_DEP_1)
	v_and_b32_e32 v2, 0x7f, v3
	v_cmpx_ne_u32_e32 0x7f, v2
	s_cbranch_execz .LBB342_1608
; %bb.1605:                             ;   in Loop: Header=BB342_1066 Depth=1
	v_dual_lshrrev_b32 v1, 3, v2 :: v_dual_bitop2_b32 v22, 7, v3 bitop3:0x40
	s_mov_b32 s19, exec_lo
	s_delay_alu instid0(VALU_DEP_1)
	v_mov_b64_e32 v[38:39], v[22:23]
	v_cmpx_gt_u32_e32 8, v2
; %bb.1606:                             ;   in Loop: Header=BB342_1066 Depth=1
	v_clz_i32_u32_e32 v1, v22
	s_delay_alu instid0(VALU_DEP_1) | instskip(NEXT) | instid1(VALU_DEP_1)
	v_min_u32_e32 v1, 32, v1
	v_subrev_nc_u32_e32 v2, 28, v1
	s_delay_alu instid0(VALU_DEP_1) | instskip(NEXT) | instid1(VALU_DEP_1)
	v_lshlrev_b64_e32 v[2:3], v2, v[22:23]
	v_dual_sub_nc_u32 v1, 29, v1 :: v_dual_bitop2_b32 v38, 7, v2 bitop3:0x40
; %bb.1607:                             ;   in Loop: Header=BB342_1066 Depth=1
	s_or_b32 exec_lo, exec_lo, s19
	s_delay_alu instid0(VALU_DEP_1) | instskip(NEXT) | instid1(VALU_DEP_2)
	v_dual_lshlrev_b32 v2, 16, v36 :: v_dual_lshlrev_b32 v3, 20, v38
	v_lshl_add_u32 v1, v1, 23, 0x3c000000
	s_delay_alu instid0(VALU_DEP_2) | instskip(NEXT) | instid1(VALU_DEP_1)
	v_and_b32_e32 v2, 0x80000000, v2
	v_or3_b32 v1, v3, v2, v1
.LBB342_1608:                           ;   in Loop: Header=BB342_1066 Depth=1
	s_or_b32 exec_lo, exec_lo, s18
.LBB342_1609:                           ;   in Loop: Header=BB342_1066 Depth=1
	s_delay_alu instid0(SALU_CYCLE_1)
	s_or_b32 exec_lo, exec_lo, s17
.LBB342_1610:                           ;   in Loop: Header=BB342_1066 Depth=1
	s_delay_alu instid0(SALU_CYCLE_1) | instskip(SKIP_3) | instid1(VALU_DEP_2)
	s_or_b32 exec_lo, exec_lo, s16
	v_dual_mov_b32 v3, 0 :: v_dual_lshrrev_b32 v4, 16, v36
	v_mov_b32_e32 v2, 0
	s_mov_b32 s16, exec_lo
	v_and_b32_e32 v5, 0xff, v4
	s_delay_alu instid0(VALU_DEP_1)
	v_cmpx_ne_u16_e32 0, v5
	s_cbranch_execz .LBB342_1618
; %bb.1611:                             ;   in Loop: Header=BB342_1066 Depth=1
	v_bfrev_b32_e32 v2, 1
	s_mov_b32 s17, exec_lo
	v_cmpx_ne_u16_e32 0x80, v5
	s_cbranch_execz .LBB342_1617
; %bb.1612:                             ;   in Loop: Header=BB342_1066 Depth=1
	v_bfe_u32 v5, v36, 16, 7
	v_mov_b32_e32 v2, 0x7f800001
	s_mov_b32 s18, exec_lo
	s_delay_alu instid0(VALU_DEP_2)
	v_cmpx_ne_u32_e32 0x7f, v5
	s_cbranch_execz .LBB342_1616
; %bb.1613:                             ;   in Loop: Header=BB342_1066 Depth=1
	v_dual_lshrrev_b32 v2, 3, v5 :: v_dual_bitop2_b32 v22, 7, v4 bitop3:0x40
	s_mov_b32 s19, exec_lo
	s_delay_alu instid0(VALU_DEP_1)
	v_mov_b64_e32 v[38:39], v[22:23]
	v_cmpx_gt_u32_e32 8, v5
; %bb.1614:                             ;   in Loop: Header=BB342_1066 Depth=1
	v_clz_i32_u32_e32 v2, v22
	s_delay_alu instid0(VALU_DEP_1) | instskip(NEXT) | instid1(VALU_DEP_1)
	v_min_u32_e32 v2, 32, v2
	v_subrev_nc_u32_e32 v5, 28, v2
	v_sub_nc_u32_e32 v2, 29, v2
	s_delay_alu instid0(VALU_DEP_2) | instskip(NEXT) | instid1(VALU_DEP_1)
	v_lshlrev_b64_e32 v[6:7], v5, v[22:23]
	v_and_b32_e32 v38, 7, v6
; %bb.1615:                             ;   in Loop: Header=BB342_1066 Depth=1
	s_or_b32 exec_lo, exec_lo, s19
	s_delay_alu instid0(VALU_DEP_1) | instskip(SKIP_1) | instid1(VALU_DEP_2)
	v_dual_lshlrev_b32 v4, 24, v4 :: v_dual_lshlrev_b32 v5, 20, v38
	v_lshl_add_u32 v2, v2, 23, 0x3c000000
	v_and_b32_e32 v4, 0x80000000, v4
	s_delay_alu instid0(VALU_DEP_1)
	v_or3_b32 v2, v5, v4, v2
.LBB342_1616:                           ;   in Loop: Header=BB342_1066 Depth=1
	s_or_b32 exec_lo, exec_lo, s18
.LBB342_1617:                           ;   in Loop: Header=BB342_1066 Depth=1
	s_delay_alu instid0(SALU_CYCLE_1)
	s_or_b32 exec_lo, exec_lo, s17
.LBB342_1618:                           ;   in Loop: Header=BB342_1066 Depth=1
	s_delay_alu instid0(SALU_CYCLE_1) | instskip(NEXT) | instid1(SALU_CYCLE_1)
	s_or_b32 exec_lo, exec_lo, s16
	s_mov_b32 s16, exec_lo
	v_cmpx_lt_u32_e32 0xffffff, v36
	s_cbranch_execz .LBB342_1626
; %bb.1619:                             ;   in Loop: Header=BB342_1066 Depth=1
	v_lshrrev_b32_e32 v4, 24, v36
	v_bfrev_b32_e32 v3, 1
	s_mov_b32 s17, exec_lo
	s_delay_alu instid0(VALU_DEP_2)
	v_cmpx_ne_u32_e32 0x80, v4
	s_cbranch_execz .LBB342_1625
; %bb.1620:                             ;   in Loop: Header=BB342_1066 Depth=1
	v_bfe_u32 v5, v36, 24, 7
	v_mov_b32_e32 v3, 0x7f800001
	s_mov_b32 s18, exec_lo
	s_delay_alu instid0(VALU_DEP_2)
	v_cmpx_ne_u32_e32 0x7f, v5
	s_cbranch_execz .LBB342_1624
; %bb.1621:                             ;   in Loop: Header=BB342_1066 Depth=1
	v_dual_lshrrev_b32 v3, 3, v5 :: v_dual_bitop2_b32 v22, 7, v4 bitop3:0x40
	s_mov_b32 s19, exec_lo
	s_delay_alu instid0(VALU_DEP_1)
	v_mov_b64_e32 v[38:39], v[22:23]
	v_cmpx_gt_u32_e32 8, v5
; %bb.1622:                             ;   in Loop: Header=BB342_1066 Depth=1
	v_clz_i32_u32_e32 v3, v22
	s_delay_alu instid0(VALU_DEP_1) | instskip(NEXT) | instid1(VALU_DEP_1)
	v_min_u32_e32 v3, 32, v3
	v_subrev_nc_u32_e32 v5, 28, v3
	s_delay_alu instid0(VALU_DEP_1) | instskip(NEXT) | instid1(VALU_DEP_1)
	v_lshlrev_b64_e32 v[6:7], v5, v[22:23]
	v_dual_sub_nc_u32 v3, 29, v3 :: v_dual_bitop2_b32 v38, 7, v6 bitop3:0x40
; %bb.1623:                             ;   in Loop: Header=BB342_1066 Depth=1
	s_or_b32 exec_lo, exec_lo, s19
	s_delay_alu instid0(VALU_DEP_1) | instskip(NEXT) | instid1(VALU_DEP_2)
	v_dual_lshlrev_b32 v4, 24, v4 :: v_dual_lshlrev_b32 v5, 20, v38
	v_lshl_add_u32 v3, v3, 23, 0x3c000000
	s_delay_alu instid0(VALU_DEP_2) | instskip(NEXT) | instid1(VALU_DEP_1)
	v_and_b32_e32 v4, 0x80000000, v4
	v_or3_b32 v3, v5, v4, v3
.LBB342_1624:                           ;   in Loop: Header=BB342_1066 Depth=1
	s_or_b32 exec_lo, exec_lo, s18
.LBB342_1625:                           ;   in Loop: Header=BB342_1066 Depth=1
	s_delay_alu instid0(SALU_CYCLE_1)
	s_or_b32 exec_lo, exec_lo, s17
.LBB342_1626:                           ;   in Loop: Header=BB342_1066 Depth=1
	s_delay_alu instid0(SALU_CYCLE_1) | instskip(SKIP_4) | instid1(VALU_DEP_3)
	s_or_b32 exec_lo, exec_lo, s16
	v_and_b32_e32 v6, 0xff, v37
	v_dual_mov_b32 v22, v37 :: v_dual_mov_b32 v5, 0
	v_mov_b32_e32 v4, 0
	s_mov_b32 s16, exec_lo
	v_cmpx_ne_u16_e32 0, v6
	s_cbranch_execz .LBB342_1634
; %bb.1627:                             ;   in Loop: Header=BB342_1066 Depth=1
	v_bfrev_b32_e32 v4, 1
	s_mov_b32 s17, exec_lo
	v_cmpx_ne_u16_e32 0x80, v6
	s_cbranch_execz .LBB342_1633
; %bb.1628:                             ;   in Loop: Header=BB342_1066 Depth=1
	v_and_b32_e32 v6, 0x7f, v37
	v_mov_b32_e32 v4, 0x7f800001
	s_mov_b32 s18, exec_lo
	s_delay_alu instid0(VALU_DEP_2)
	v_cmpx_ne_u32_e32 0x7f, v6
	s_cbranch_execz .LBB342_1632
; %bb.1629:                             ;   in Loop: Header=BB342_1066 Depth=1
	v_mov_b64_e32 v[38:39], v[22:23]
	v_lshrrev_b32_e32 v4, 3, v6
	s_mov_b32 s19, exec_lo
	v_cmpx_gt_u32_e32 8, v6
; %bb.1630:                             ;   in Loop: Header=BB342_1066 Depth=1
	v_and_b32_e32 v4, 7, v37
	s_delay_alu instid0(VALU_DEP_1) | instskip(NEXT) | instid1(VALU_DEP_1)
	v_clz_i32_u32_e32 v4, v4
	v_min_u32_e32 v4, 32, v4
	s_delay_alu instid0(VALU_DEP_1) | instskip(SKIP_1) | instid1(VALU_DEP_2)
	v_subrev_nc_u32_e32 v6, 28, v4
	v_sub_nc_u32_e32 v4, 29, v4
	v_lshlrev_b64_e32 v[38:39], v6, v[22:23]
; %bb.1631:                             ;   in Loop: Header=BB342_1066 Depth=1
	s_or_b32 exec_lo, exec_lo, s19
	s_delay_alu instid0(VALU_DEP_1) | instskip(SKIP_2) | instid1(VALU_DEP_3)
	v_lshlrev_b32_e32 v6, 20, v38
	v_lshlrev_b32_e32 v7, 24, v22
	v_lshl_add_u32 v4, v4, 23, 0x3c000000
	v_and_b32_e32 v6, 0x700000, v6
	s_delay_alu instid0(VALU_DEP_3) | instskip(NEXT) | instid1(VALU_DEP_1)
	v_and_b32_e32 v7, 0x80000000, v7
	v_or3_b32 v4, v6, v7, v4
.LBB342_1632:                           ;   in Loop: Header=BB342_1066 Depth=1
	s_or_b32 exec_lo, exec_lo, s18
.LBB342_1633:                           ;   in Loop: Header=BB342_1066 Depth=1
	s_delay_alu instid0(SALU_CYCLE_1)
	s_or_b32 exec_lo, exec_lo, s17
.LBB342_1634:                           ;   in Loop: Header=BB342_1066 Depth=1
	s_delay_alu instid0(SALU_CYCLE_1) | instskip(SKIP_2) | instid1(VALU_DEP_1)
	s_or_b32 exec_lo, exec_lo, s16
	v_lshrrev_b16 v6, 8, v22
	s_mov_b32 s16, exec_lo
	v_cmpx_ne_u16_e32 0, v6
	s_cbranch_execz .LBB342_1642
; %bb.1635:                             ;   in Loop: Header=BB342_1066 Depth=1
	v_bfrev_b32_e32 v5, 1
	s_mov_b32 s17, exec_lo
	v_cmpx_ne_u16_e32 0x80, v6
	s_cbranch_execz .LBB342_1641
; %bb.1636:                             ;   in Loop: Header=BB342_1066 Depth=1
	v_and_b32_e32 v7, 0xffff, v6
	v_mov_b32_e32 v5, 0x7f800001
	s_mov_b32 s18, exec_lo
	s_delay_alu instid0(VALU_DEP_2) | instskip(NEXT) | instid1(VALU_DEP_1)
	v_and_b32_e32 v6, 0x7f, v7
	v_cmpx_ne_u32_e32 0x7f, v6
	s_cbranch_execz .LBB342_1640
; %bb.1637:                             ;   in Loop: Header=BB342_1066 Depth=1
	v_dual_mov_b32 v39, v23 :: v_dual_bitop2_b32 v38, 7, v7 bitop3:0x40
	v_lshrrev_b32_e32 v5, 3, v6
	s_mov_b32 s19, exec_lo
	v_cmpx_gt_u32_e32 8, v6
; %bb.1638:                             ;   in Loop: Header=BB342_1066 Depth=1
	s_delay_alu instid0(VALU_DEP_3) | instskip(NEXT) | instid1(VALU_DEP_1)
	v_clz_i32_u32_e32 v5, v38
	v_min_u32_e32 v5, 32, v5
	s_delay_alu instid0(VALU_DEP_1) | instskip(NEXT) | instid1(VALU_DEP_1)
	v_subrev_nc_u32_e32 v6, 28, v5
	v_lshlrev_b64_e32 v[6:7], v6, v[38:39]
	s_delay_alu instid0(VALU_DEP_1)
	v_dual_sub_nc_u32 v5, 29, v5 :: v_dual_bitop2_b32 v38, 7, v6 bitop3:0x40
; %bb.1639:                             ;   in Loop: Header=BB342_1066 Depth=1
	s_or_b32 exec_lo, exec_lo, s19
	v_lshlrev_b32_e32 v6, 16, v22
	s_delay_alu instid0(VALU_DEP_2) | instskip(NEXT) | instid1(VALU_DEP_3)
	v_lshlrev_b32_e32 v7, 20, v38
	v_lshl_add_u32 v5, v5, 23, 0x3c000000
	s_delay_alu instid0(VALU_DEP_3) | instskip(NEXT) | instid1(VALU_DEP_1)
	v_and_b32_e32 v6, 0x80000000, v6
	v_or3_b32 v5, v7, v6, v5
.LBB342_1640:                           ;   in Loop: Header=BB342_1066 Depth=1
	s_or_b32 exec_lo, exec_lo, s18
.LBB342_1641:                           ;   in Loop: Header=BB342_1066 Depth=1
	s_delay_alu instid0(SALU_CYCLE_1)
	s_or_b32 exec_lo, exec_lo, s17
.LBB342_1642:                           ;   in Loop: Header=BB342_1066 Depth=1
	s_delay_alu instid0(SALU_CYCLE_1) | instskip(SKIP_3) | instid1(VALU_DEP_2)
	s_or_b32 exec_lo, exec_lo, s16
	v_dual_lshrrev_b32 v8, 16, v37 :: v_dual_mov_b32 v6, 0
	v_mov_b32_e32 v7, 0
	s_mov_b32 s16, exec_lo
	v_and_b32_e32 v9, 0xff, v8
	s_delay_alu instid0(VALU_DEP_1)
	v_cmpx_ne_u16_e32 0, v9
	s_cbranch_execz .LBB342_1650
; %bb.1643:                             ;   in Loop: Header=BB342_1066 Depth=1
	v_bfrev_b32_e32 v7, 1
	s_mov_b32 s17, exec_lo
	v_cmpx_ne_u16_e32 0x80, v9
	s_cbranch_execz .LBB342_1649
; %bb.1644:                             ;   in Loop: Header=BB342_1066 Depth=1
	v_bfe_u32 v9, v37, 16, 7
	v_mov_b32_e32 v7, 0x7f800001
	s_mov_b32 s18, exec_lo
	s_delay_alu instid0(VALU_DEP_2)
	v_cmpx_ne_u32_e32 0x7f, v9
	s_cbranch_execz .LBB342_1648
; %bb.1645:                             ;   in Loop: Header=BB342_1066 Depth=1
	v_dual_lshrrev_b32 v7, 3, v9 :: v_dual_bitop2_b32 v22, 7, v8 bitop3:0x40
	s_mov_b32 s19, exec_lo
	s_delay_alu instid0(VALU_DEP_1)
	v_mov_b64_e32 v[38:39], v[22:23]
	v_cmpx_gt_u32_e32 8, v9
; %bb.1646:                             ;   in Loop: Header=BB342_1066 Depth=1
	v_clz_i32_u32_e32 v7, v22
	s_delay_alu instid0(VALU_DEP_1) | instskip(NEXT) | instid1(VALU_DEP_1)
	v_min_u32_e32 v7, 32, v7
	v_subrev_nc_u32_e32 v9, 28, v7
	s_delay_alu instid0(VALU_DEP_1) | instskip(NEXT) | instid1(VALU_DEP_1)
	v_lshlrev_b64_e32 v[18:19], v9, v[22:23]
	v_dual_sub_nc_u32 v7, 29, v7 :: v_dual_bitop2_b32 v38, 7, v18 bitop3:0x40
; %bb.1647:                             ;   in Loop: Header=BB342_1066 Depth=1
	s_or_b32 exec_lo, exec_lo, s19
	s_delay_alu instid0(VALU_DEP_1) | instskip(NEXT) | instid1(VALU_DEP_2)
	v_dual_lshlrev_b32 v8, 24, v8 :: v_dual_lshlrev_b32 v9, 20, v38
	v_lshl_add_u32 v7, v7, 23, 0x3c000000
	s_delay_alu instid0(VALU_DEP_2) | instskip(NEXT) | instid1(VALU_DEP_1)
	v_and_b32_e32 v8, 0x80000000, v8
	v_or3_b32 v7, v9, v8, v7
.LBB342_1648:                           ;   in Loop: Header=BB342_1066 Depth=1
	s_or_b32 exec_lo, exec_lo, s18
.LBB342_1649:                           ;   in Loop: Header=BB342_1066 Depth=1
	s_delay_alu instid0(SALU_CYCLE_1)
	s_or_b32 exec_lo, exec_lo, s17
.LBB342_1650:                           ;   in Loop: Header=BB342_1066 Depth=1
	s_delay_alu instid0(SALU_CYCLE_1) | instskip(NEXT) | instid1(SALU_CYCLE_1)
	s_or_b32 exec_lo, exec_lo, s16
	s_mov_b32 s16, exec_lo
	v_cmpx_lt_u64_e64 s[2:3], v[36:37]
	s_cbranch_execz .LBB342_1658
; %bb.1651:                             ;   in Loop: Header=BB342_1066 Depth=1
	v_lshrrev_b32_e32 v8, 24, v37
	v_bfrev_b32_e32 v6, 1
	s_mov_b32 s17, exec_lo
	s_delay_alu instid0(VALU_DEP_2)
	v_cmpx_ne_u32_e32 0x80, v8
	s_cbranch_execz .LBB342_1657
; %bb.1652:                             ;   in Loop: Header=BB342_1066 Depth=1
	v_bfe_u32 v9, v37, 24, 7
	v_mov_b32_e32 v6, 0x7f800001
	s_mov_b32 s18, exec_lo
	s_delay_alu instid0(VALU_DEP_2)
	v_cmpx_ne_u32_e32 0x7f, v9
	s_cbranch_execz .LBB342_1656
; %bb.1653:                             ;   in Loop: Header=BB342_1066 Depth=1
	v_dual_lshrrev_b32 v6, 3, v9 :: v_dual_bitop2_b32 v22, 7, v8 bitop3:0x40
	s_mov_b32 s19, exec_lo
	s_delay_alu instid0(VALU_DEP_1)
	v_mov_b64_e32 v[36:37], v[22:23]
	v_cmpx_gt_u32_e32 8, v9
; %bb.1654:                             ;   in Loop: Header=BB342_1066 Depth=1
	v_clz_i32_u32_e32 v6, v22
	s_delay_alu instid0(VALU_DEP_1) | instskip(NEXT) | instid1(VALU_DEP_1)
	v_min_u32_e32 v6, 32, v6
	v_subrev_nc_u32_e32 v9, 28, v6
	v_sub_nc_u32_e32 v6, 29, v6
	s_delay_alu instid0(VALU_DEP_2) | instskip(NEXT) | instid1(VALU_DEP_1)
	v_lshlrev_b64_e32 v[18:19], v9, v[22:23]
	v_and_b32_e32 v36, 7, v18
; %bb.1655:                             ;   in Loop: Header=BB342_1066 Depth=1
	s_or_b32 exec_lo, exec_lo, s19
	v_lshlrev_b32_e32 v8, 24, v8
	s_delay_alu instid0(VALU_DEP_2) | instskip(SKIP_1) | instid1(VALU_DEP_3)
	v_lshlrev_b32_e32 v9, 20, v36
	v_lshl_add_u32 v6, v6, 23, 0x3c000000
	v_and_b32_e32 v8, 0x80000000, v8
	s_delay_alu instid0(VALU_DEP_1)
	v_or3_b32 v6, v9, v8, v6
.LBB342_1656:                           ;   in Loop: Header=BB342_1066 Depth=1
	s_or_b32 exec_lo, exec_lo, s18
.LBB342_1657:                           ;   in Loop: Header=BB342_1066 Depth=1
	s_delay_alu instid0(SALU_CYCLE_1)
	s_or_b32 exec_lo, exec_lo, s17
.LBB342_1658:                           ;   in Loop: Header=BB342_1066 Depth=1
	s_delay_alu instid0(SALU_CYCLE_1)
	s_or_b32 exec_lo, exec_lo, s16
	v_fma_mixlo_bf16 v107, v55, v5, 0
	v_fma_mixlo_bf16 v108, v55, v4, 0
	;; [unrolled: 1-line block ×8, first 2 shown]
	s_and_saveexec_b32 s16, vcc_lo
	s_cbranch_execz .LBB342_1660
; %bb.1659:                             ;   in Loop: Header=BB342_1066 Depth=1
	v_cmp_lt_i32_e64 s1, v102, v52
	s_delay_alu instid0(VALU_DEP_1) | instskip(SKIP_1) | instid1(VALU_DEP_1)
	v_cndmask_b32_e64 v122, 0, v122, s1
	v_cmp_lt_i32_e64 s1, v114, v52
	v_cndmask_b32_e64 v121, 0, v121, s1
	v_cmp_lt_i32_e64 s1, v113, v52
	s_delay_alu instid0(VALU_DEP_1) | instskip(SKIP_1) | instid1(VALU_DEP_1)
	v_cndmask_b32_e64 v120, 0, v120, s1
	v_cmp_lt_i32_e64 s1, v112, v52
	v_cndmask_b32_e64 v111, 0, v111, s1
	;; [unrolled: 5-line block ×4, first 2 shown]
.LBB342_1660:                           ;   in Loop: Header=BB342_1066 Depth=1
	s_or_b32 exec_lo, exec_lo, s16
	flat_load_b64 v[36:37], v[34:35] offset:2304
	v_dual_mov_b32 v1, 0 :: v_dual_mov_b32 v0, 0
	s_mov_b32 s16, exec_lo
	s_wait_loadcnt_dscnt 0x0
	v_and_b32_e32 v2, 0xff, v36
	s_wait_xcnt 0x0
	s_delay_alu instid0(VALU_DEP_1)
	v_cmpx_ne_u16_e32 0, v2
	s_cbranch_execz .LBB342_1668
; %bb.1661:                             ;   in Loop: Header=BB342_1066 Depth=1
	v_bfrev_b32_e32 v0, 1
	s_mov_b32 s17, exec_lo
	v_cmpx_ne_u16_e32 0x80, v2
	s_cbranch_execz .LBB342_1667
; %bb.1662:                             ;   in Loop: Header=BB342_1066 Depth=1
	v_and_b32_e32 v2, 0x7f, v36
	v_mov_b32_e32 v0, 0x7f800001
	s_mov_b32 s18, exec_lo
	s_delay_alu instid0(VALU_DEP_2)
	v_cmpx_ne_u32_e32 0x7f, v2
	s_cbranch_execz .LBB342_1666
; %bb.1663:                             ;   in Loop: Header=BB342_1066 Depth=1
	v_mov_b64_e32 v[38:39], v[36:37]
	v_lshrrev_b32_e32 v0, 3, v2
	s_mov_b32 s19, exec_lo
	v_cmpx_gt_u32_e32 8, v2
; %bb.1664:                             ;   in Loop: Header=BB342_1066 Depth=1
	v_and_b32_e32 v0, 7, v36
	s_delay_alu instid0(VALU_DEP_1) | instskip(NEXT) | instid1(VALU_DEP_1)
	v_clz_i32_u32_e32 v0, v0
	v_min_u32_e32 v0, 32, v0
	s_delay_alu instid0(VALU_DEP_1) | instskip(SKIP_1) | instid1(VALU_DEP_2)
	v_subrev_nc_u32_e32 v2, 28, v0
	v_sub_nc_u32_e32 v0, 29, v0
	v_lshlrev_b64_e32 v[38:39], v2, v[36:37]
; %bb.1665:                             ;   in Loop: Header=BB342_1066 Depth=1
	s_or_b32 exec_lo, exec_lo, s19
	s_delay_alu instid0(VALU_DEP_1) | instskip(NEXT) | instid1(VALU_DEP_3)
	v_dual_lshlrev_b32 v2, 20, v38 :: v_dual_lshlrev_b32 v3, 24, v36
	v_lshl_add_u32 v0, v0, 23, 0x3c000000
	s_delay_alu instid0(VALU_DEP_2) | instskip(NEXT) | instid1(VALU_DEP_3)
	v_and_b32_e32 v2, 0x700000, v2
	v_and_b32_e32 v3, 0x80000000, v3
	s_delay_alu instid0(VALU_DEP_1)
	v_or3_b32 v0, v2, v3, v0
.LBB342_1666:                           ;   in Loop: Header=BB342_1066 Depth=1
	s_or_b32 exec_lo, exec_lo, s18
.LBB342_1667:                           ;   in Loop: Header=BB342_1066 Depth=1
	s_delay_alu instid0(SALU_CYCLE_1)
	s_or_b32 exec_lo, exec_lo, s17
.LBB342_1668:                           ;   in Loop: Header=BB342_1066 Depth=1
	s_delay_alu instid0(SALU_CYCLE_1) | instskip(SKIP_2) | instid1(VALU_DEP_1)
	s_or_b32 exec_lo, exec_lo, s16
	v_lshrrev_b16 v2, 8, v36
	s_mov_b32 s16, exec_lo
	v_cmpx_ne_u16_e32 0, v2
	s_cbranch_execz .LBB342_1676
; %bb.1669:                             ;   in Loop: Header=BB342_1066 Depth=1
	v_bfrev_b32_e32 v1, 1
	s_mov_b32 s17, exec_lo
	v_cmpx_ne_u16_e32 0x80, v2
	s_cbranch_execz .LBB342_1675
; %bb.1670:                             ;   in Loop: Header=BB342_1066 Depth=1
	v_and_b32_e32 v3, 0xffff, v2
	v_mov_b32_e32 v1, 0x7f800001
	s_mov_b32 s18, exec_lo
	s_delay_alu instid0(VALU_DEP_2) | instskip(NEXT) | instid1(VALU_DEP_1)
	v_and_b32_e32 v2, 0x7f, v3
	v_cmpx_ne_u32_e32 0x7f, v2
	s_cbranch_execz .LBB342_1674
; %bb.1671:                             ;   in Loop: Header=BB342_1066 Depth=1
	v_dual_lshrrev_b32 v1, 3, v2 :: v_dual_bitop2_b32 v22, 7, v3 bitop3:0x40
	s_mov_b32 s19, exec_lo
	s_delay_alu instid0(VALU_DEP_1)
	v_mov_b64_e32 v[38:39], v[22:23]
	v_cmpx_gt_u32_e32 8, v2
; %bb.1672:                             ;   in Loop: Header=BB342_1066 Depth=1
	v_clz_i32_u32_e32 v1, v22
	s_delay_alu instid0(VALU_DEP_1) | instskip(NEXT) | instid1(VALU_DEP_1)
	v_min_u32_e32 v1, 32, v1
	v_subrev_nc_u32_e32 v2, 28, v1
	s_delay_alu instid0(VALU_DEP_1) | instskip(NEXT) | instid1(VALU_DEP_1)
	v_lshlrev_b64_e32 v[2:3], v2, v[22:23]
	v_dual_sub_nc_u32 v1, 29, v1 :: v_dual_bitop2_b32 v38, 7, v2 bitop3:0x40
; %bb.1673:                             ;   in Loop: Header=BB342_1066 Depth=1
	s_or_b32 exec_lo, exec_lo, s19
	s_delay_alu instid0(VALU_DEP_1) | instskip(NEXT) | instid1(VALU_DEP_2)
	v_dual_lshlrev_b32 v2, 16, v36 :: v_dual_lshlrev_b32 v3, 20, v38
	v_lshl_add_u32 v1, v1, 23, 0x3c000000
	s_delay_alu instid0(VALU_DEP_2) | instskip(NEXT) | instid1(VALU_DEP_1)
	v_and_b32_e32 v2, 0x80000000, v2
	v_or3_b32 v1, v3, v2, v1
.LBB342_1674:                           ;   in Loop: Header=BB342_1066 Depth=1
	s_or_b32 exec_lo, exec_lo, s18
.LBB342_1675:                           ;   in Loop: Header=BB342_1066 Depth=1
	s_delay_alu instid0(SALU_CYCLE_1)
	s_or_b32 exec_lo, exec_lo, s17
.LBB342_1676:                           ;   in Loop: Header=BB342_1066 Depth=1
	s_delay_alu instid0(SALU_CYCLE_1) | instskip(SKIP_3) | instid1(VALU_DEP_2)
	s_or_b32 exec_lo, exec_lo, s16
	v_dual_mov_b32 v3, 0 :: v_dual_lshrrev_b32 v4, 16, v36
	v_mov_b32_e32 v2, 0
	s_mov_b32 s16, exec_lo
	v_and_b32_e32 v5, 0xff, v4
	s_delay_alu instid0(VALU_DEP_1)
	v_cmpx_ne_u16_e32 0, v5
	s_cbranch_execz .LBB342_1684
; %bb.1677:                             ;   in Loop: Header=BB342_1066 Depth=1
	v_bfrev_b32_e32 v2, 1
	s_mov_b32 s17, exec_lo
	v_cmpx_ne_u16_e32 0x80, v5
	s_cbranch_execz .LBB342_1683
; %bb.1678:                             ;   in Loop: Header=BB342_1066 Depth=1
	v_bfe_u32 v5, v36, 16, 7
	v_mov_b32_e32 v2, 0x7f800001
	s_mov_b32 s18, exec_lo
	s_delay_alu instid0(VALU_DEP_2)
	v_cmpx_ne_u32_e32 0x7f, v5
	s_cbranch_execz .LBB342_1682
; %bb.1679:                             ;   in Loop: Header=BB342_1066 Depth=1
	v_dual_lshrrev_b32 v2, 3, v5 :: v_dual_bitop2_b32 v22, 7, v4 bitop3:0x40
	s_mov_b32 s19, exec_lo
	s_delay_alu instid0(VALU_DEP_1)
	v_mov_b64_e32 v[38:39], v[22:23]
	v_cmpx_gt_u32_e32 8, v5
; %bb.1680:                             ;   in Loop: Header=BB342_1066 Depth=1
	v_clz_i32_u32_e32 v2, v22
	s_delay_alu instid0(VALU_DEP_1) | instskip(NEXT) | instid1(VALU_DEP_1)
	v_min_u32_e32 v2, 32, v2
	v_subrev_nc_u32_e32 v5, 28, v2
	v_sub_nc_u32_e32 v2, 29, v2
	s_delay_alu instid0(VALU_DEP_2) | instskip(NEXT) | instid1(VALU_DEP_1)
	v_lshlrev_b64_e32 v[6:7], v5, v[22:23]
	v_and_b32_e32 v38, 7, v6
; %bb.1681:                             ;   in Loop: Header=BB342_1066 Depth=1
	s_or_b32 exec_lo, exec_lo, s19
	s_delay_alu instid0(VALU_DEP_1) | instskip(SKIP_1) | instid1(VALU_DEP_2)
	v_dual_lshlrev_b32 v4, 24, v4 :: v_dual_lshlrev_b32 v5, 20, v38
	v_lshl_add_u32 v2, v2, 23, 0x3c000000
	v_and_b32_e32 v4, 0x80000000, v4
	s_delay_alu instid0(VALU_DEP_1)
	v_or3_b32 v2, v5, v4, v2
.LBB342_1682:                           ;   in Loop: Header=BB342_1066 Depth=1
	s_or_b32 exec_lo, exec_lo, s18
.LBB342_1683:                           ;   in Loop: Header=BB342_1066 Depth=1
	s_delay_alu instid0(SALU_CYCLE_1)
	s_or_b32 exec_lo, exec_lo, s17
.LBB342_1684:                           ;   in Loop: Header=BB342_1066 Depth=1
	s_delay_alu instid0(SALU_CYCLE_1) | instskip(NEXT) | instid1(SALU_CYCLE_1)
	s_or_b32 exec_lo, exec_lo, s16
	s_mov_b32 s16, exec_lo
	v_cmpx_lt_u32_e32 0xffffff, v36
	s_cbranch_execz .LBB342_1692
; %bb.1685:                             ;   in Loop: Header=BB342_1066 Depth=1
	v_lshrrev_b32_e32 v4, 24, v36
	v_bfrev_b32_e32 v3, 1
	s_mov_b32 s17, exec_lo
	s_delay_alu instid0(VALU_DEP_2)
	v_cmpx_ne_u32_e32 0x80, v4
	s_cbranch_execz .LBB342_1691
; %bb.1686:                             ;   in Loop: Header=BB342_1066 Depth=1
	v_bfe_u32 v5, v36, 24, 7
	v_mov_b32_e32 v3, 0x7f800001
	s_mov_b32 s18, exec_lo
	s_delay_alu instid0(VALU_DEP_2)
	v_cmpx_ne_u32_e32 0x7f, v5
	s_cbranch_execz .LBB342_1690
; %bb.1687:                             ;   in Loop: Header=BB342_1066 Depth=1
	v_dual_lshrrev_b32 v3, 3, v5 :: v_dual_bitop2_b32 v22, 7, v4 bitop3:0x40
	s_mov_b32 s19, exec_lo
	s_delay_alu instid0(VALU_DEP_1)
	v_mov_b64_e32 v[38:39], v[22:23]
	v_cmpx_gt_u32_e32 8, v5
; %bb.1688:                             ;   in Loop: Header=BB342_1066 Depth=1
	v_clz_i32_u32_e32 v3, v22
	s_delay_alu instid0(VALU_DEP_1) | instskip(NEXT) | instid1(VALU_DEP_1)
	v_min_u32_e32 v3, 32, v3
	v_subrev_nc_u32_e32 v5, 28, v3
	s_delay_alu instid0(VALU_DEP_1) | instskip(NEXT) | instid1(VALU_DEP_1)
	v_lshlrev_b64_e32 v[6:7], v5, v[22:23]
	v_dual_sub_nc_u32 v3, 29, v3 :: v_dual_bitop2_b32 v38, 7, v6 bitop3:0x40
; %bb.1689:                             ;   in Loop: Header=BB342_1066 Depth=1
	s_or_b32 exec_lo, exec_lo, s19
	s_delay_alu instid0(VALU_DEP_1) | instskip(NEXT) | instid1(VALU_DEP_2)
	v_dual_lshlrev_b32 v4, 24, v4 :: v_dual_lshlrev_b32 v5, 20, v38
	v_lshl_add_u32 v3, v3, 23, 0x3c000000
	s_delay_alu instid0(VALU_DEP_2) | instskip(NEXT) | instid1(VALU_DEP_1)
	v_and_b32_e32 v4, 0x80000000, v4
	v_or3_b32 v3, v5, v4, v3
.LBB342_1690:                           ;   in Loop: Header=BB342_1066 Depth=1
	s_or_b32 exec_lo, exec_lo, s18
.LBB342_1691:                           ;   in Loop: Header=BB342_1066 Depth=1
	s_delay_alu instid0(SALU_CYCLE_1)
	s_or_b32 exec_lo, exec_lo, s17
.LBB342_1692:                           ;   in Loop: Header=BB342_1066 Depth=1
	s_delay_alu instid0(SALU_CYCLE_1) | instskip(SKIP_4) | instid1(VALU_DEP_3)
	s_or_b32 exec_lo, exec_lo, s16
	v_and_b32_e32 v6, 0xff, v37
	v_dual_mov_b32 v22, v37 :: v_dual_mov_b32 v5, 0
	v_mov_b32_e32 v4, 0
	s_mov_b32 s16, exec_lo
	v_cmpx_ne_u16_e32 0, v6
	s_cbranch_execz .LBB342_1700
; %bb.1693:                             ;   in Loop: Header=BB342_1066 Depth=1
	v_bfrev_b32_e32 v4, 1
	s_mov_b32 s17, exec_lo
	v_cmpx_ne_u16_e32 0x80, v6
	s_cbranch_execz .LBB342_1699
; %bb.1694:                             ;   in Loop: Header=BB342_1066 Depth=1
	v_and_b32_e32 v6, 0x7f, v37
	v_mov_b32_e32 v4, 0x7f800001
	s_mov_b32 s18, exec_lo
	s_delay_alu instid0(VALU_DEP_2)
	v_cmpx_ne_u32_e32 0x7f, v6
	s_cbranch_execz .LBB342_1698
; %bb.1695:                             ;   in Loop: Header=BB342_1066 Depth=1
	v_mov_b64_e32 v[38:39], v[22:23]
	v_lshrrev_b32_e32 v4, 3, v6
	s_mov_b32 s19, exec_lo
	v_cmpx_gt_u32_e32 8, v6
; %bb.1696:                             ;   in Loop: Header=BB342_1066 Depth=1
	v_and_b32_e32 v4, 7, v37
	s_delay_alu instid0(VALU_DEP_1) | instskip(NEXT) | instid1(VALU_DEP_1)
	v_clz_i32_u32_e32 v4, v4
	v_min_u32_e32 v4, 32, v4
	s_delay_alu instid0(VALU_DEP_1) | instskip(SKIP_1) | instid1(VALU_DEP_2)
	v_subrev_nc_u32_e32 v6, 28, v4
	v_sub_nc_u32_e32 v4, 29, v4
	v_lshlrev_b64_e32 v[38:39], v6, v[22:23]
; %bb.1697:                             ;   in Loop: Header=BB342_1066 Depth=1
	s_or_b32 exec_lo, exec_lo, s19
	s_delay_alu instid0(VALU_DEP_1) | instskip(SKIP_2) | instid1(VALU_DEP_3)
	v_lshlrev_b32_e32 v6, 20, v38
	v_lshlrev_b32_e32 v7, 24, v22
	v_lshl_add_u32 v4, v4, 23, 0x3c000000
	v_and_b32_e32 v6, 0x700000, v6
	s_delay_alu instid0(VALU_DEP_3) | instskip(NEXT) | instid1(VALU_DEP_1)
	v_and_b32_e32 v7, 0x80000000, v7
	v_or3_b32 v4, v6, v7, v4
.LBB342_1698:                           ;   in Loop: Header=BB342_1066 Depth=1
	s_or_b32 exec_lo, exec_lo, s18
.LBB342_1699:                           ;   in Loop: Header=BB342_1066 Depth=1
	s_delay_alu instid0(SALU_CYCLE_1)
	s_or_b32 exec_lo, exec_lo, s17
.LBB342_1700:                           ;   in Loop: Header=BB342_1066 Depth=1
	s_delay_alu instid0(SALU_CYCLE_1) | instskip(SKIP_2) | instid1(VALU_DEP_1)
	s_or_b32 exec_lo, exec_lo, s16
	v_lshrrev_b16 v6, 8, v22
	s_mov_b32 s16, exec_lo
	v_cmpx_ne_u16_e32 0, v6
	s_cbranch_execz .LBB342_1708
; %bb.1701:                             ;   in Loop: Header=BB342_1066 Depth=1
	v_bfrev_b32_e32 v5, 1
	s_mov_b32 s17, exec_lo
	v_cmpx_ne_u16_e32 0x80, v6
	s_cbranch_execz .LBB342_1707
; %bb.1702:                             ;   in Loop: Header=BB342_1066 Depth=1
	v_and_b32_e32 v7, 0xffff, v6
	v_mov_b32_e32 v5, 0x7f800001
	s_mov_b32 s18, exec_lo
	s_delay_alu instid0(VALU_DEP_2) | instskip(NEXT) | instid1(VALU_DEP_1)
	v_and_b32_e32 v6, 0x7f, v7
	v_cmpx_ne_u32_e32 0x7f, v6
	s_cbranch_execz .LBB342_1706
; %bb.1703:                             ;   in Loop: Header=BB342_1066 Depth=1
	v_dual_mov_b32 v39, v23 :: v_dual_bitop2_b32 v38, 7, v7 bitop3:0x40
	v_lshrrev_b32_e32 v5, 3, v6
	s_mov_b32 s19, exec_lo
	v_cmpx_gt_u32_e32 8, v6
; %bb.1704:                             ;   in Loop: Header=BB342_1066 Depth=1
	s_delay_alu instid0(VALU_DEP_3) | instskip(NEXT) | instid1(VALU_DEP_1)
	v_clz_i32_u32_e32 v5, v38
	v_min_u32_e32 v5, 32, v5
	s_delay_alu instid0(VALU_DEP_1) | instskip(NEXT) | instid1(VALU_DEP_1)
	v_subrev_nc_u32_e32 v6, 28, v5
	v_lshlrev_b64_e32 v[6:7], v6, v[38:39]
	s_delay_alu instid0(VALU_DEP_1)
	v_dual_sub_nc_u32 v5, 29, v5 :: v_dual_bitop2_b32 v38, 7, v6 bitop3:0x40
; %bb.1705:                             ;   in Loop: Header=BB342_1066 Depth=1
	s_or_b32 exec_lo, exec_lo, s19
	v_lshlrev_b32_e32 v6, 16, v22
	s_delay_alu instid0(VALU_DEP_2) | instskip(NEXT) | instid1(VALU_DEP_3)
	v_lshlrev_b32_e32 v7, 20, v38
	v_lshl_add_u32 v5, v5, 23, 0x3c000000
	s_delay_alu instid0(VALU_DEP_3) | instskip(NEXT) | instid1(VALU_DEP_1)
	v_and_b32_e32 v6, 0x80000000, v6
	v_or3_b32 v5, v7, v6, v5
.LBB342_1706:                           ;   in Loop: Header=BB342_1066 Depth=1
	s_or_b32 exec_lo, exec_lo, s18
.LBB342_1707:                           ;   in Loop: Header=BB342_1066 Depth=1
	s_delay_alu instid0(SALU_CYCLE_1)
	s_or_b32 exec_lo, exec_lo, s17
.LBB342_1708:                           ;   in Loop: Header=BB342_1066 Depth=1
	s_delay_alu instid0(SALU_CYCLE_1) | instskip(SKIP_3) | instid1(VALU_DEP_2)
	s_or_b32 exec_lo, exec_lo, s16
	v_dual_lshrrev_b32 v8, 16, v37 :: v_dual_mov_b32 v6, 0
	v_mov_b32_e32 v7, 0
	s_mov_b32 s16, exec_lo
	v_and_b32_e32 v9, 0xff, v8
	s_delay_alu instid0(VALU_DEP_1)
	v_cmpx_ne_u16_e32 0, v9
	s_cbranch_execz .LBB342_1716
; %bb.1709:                             ;   in Loop: Header=BB342_1066 Depth=1
	v_bfrev_b32_e32 v7, 1
	s_mov_b32 s17, exec_lo
	v_cmpx_ne_u16_e32 0x80, v9
	s_cbranch_execz .LBB342_1715
; %bb.1710:                             ;   in Loop: Header=BB342_1066 Depth=1
	v_bfe_u32 v9, v37, 16, 7
	v_mov_b32_e32 v7, 0x7f800001
	s_mov_b32 s18, exec_lo
	s_delay_alu instid0(VALU_DEP_2)
	v_cmpx_ne_u32_e32 0x7f, v9
	s_cbranch_execz .LBB342_1714
; %bb.1711:                             ;   in Loop: Header=BB342_1066 Depth=1
	v_dual_lshrrev_b32 v7, 3, v9 :: v_dual_bitop2_b32 v22, 7, v8 bitop3:0x40
	s_mov_b32 s19, exec_lo
	s_delay_alu instid0(VALU_DEP_1)
	v_mov_b64_e32 v[38:39], v[22:23]
	v_cmpx_gt_u32_e32 8, v9
; %bb.1712:                             ;   in Loop: Header=BB342_1066 Depth=1
	v_clz_i32_u32_e32 v7, v22
	s_delay_alu instid0(VALU_DEP_1) | instskip(NEXT) | instid1(VALU_DEP_1)
	v_min_u32_e32 v7, 32, v7
	v_subrev_nc_u32_e32 v9, 28, v7
	s_delay_alu instid0(VALU_DEP_1) | instskip(NEXT) | instid1(VALU_DEP_1)
	v_lshlrev_b64_e32 v[18:19], v9, v[22:23]
	v_dual_sub_nc_u32 v7, 29, v7 :: v_dual_bitop2_b32 v38, 7, v18 bitop3:0x40
; %bb.1713:                             ;   in Loop: Header=BB342_1066 Depth=1
	s_or_b32 exec_lo, exec_lo, s19
	s_delay_alu instid0(VALU_DEP_1) | instskip(NEXT) | instid1(VALU_DEP_2)
	v_dual_lshlrev_b32 v8, 24, v8 :: v_dual_lshlrev_b32 v9, 20, v38
	v_lshl_add_u32 v7, v7, 23, 0x3c000000
	s_delay_alu instid0(VALU_DEP_2) | instskip(NEXT) | instid1(VALU_DEP_1)
	v_and_b32_e32 v8, 0x80000000, v8
	v_or3_b32 v7, v9, v8, v7
.LBB342_1714:                           ;   in Loop: Header=BB342_1066 Depth=1
	s_or_b32 exec_lo, exec_lo, s18
.LBB342_1715:                           ;   in Loop: Header=BB342_1066 Depth=1
	s_delay_alu instid0(SALU_CYCLE_1)
	s_or_b32 exec_lo, exec_lo, s17
.LBB342_1716:                           ;   in Loop: Header=BB342_1066 Depth=1
	s_delay_alu instid0(SALU_CYCLE_1) | instskip(NEXT) | instid1(SALU_CYCLE_1)
	s_or_b32 exec_lo, exec_lo, s16
	s_mov_b32 s16, exec_lo
	v_cmpx_lt_u64_e64 s[2:3], v[36:37]
	s_cbranch_execz .LBB342_1724
; %bb.1717:                             ;   in Loop: Header=BB342_1066 Depth=1
	v_lshrrev_b32_e32 v8, 24, v37
	v_bfrev_b32_e32 v6, 1
	s_mov_b32 s17, exec_lo
	s_delay_alu instid0(VALU_DEP_2)
	v_cmpx_ne_u32_e32 0x80, v8
	s_cbranch_execz .LBB342_1723
; %bb.1718:                             ;   in Loop: Header=BB342_1066 Depth=1
	v_bfe_u32 v9, v37, 24, 7
	v_mov_b32_e32 v6, 0x7f800001
	s_mov_b32 s18, exec_lo
	s_delay_alu instid0(VALU_DEP_2)
	v_cmpx_ne_u32_e32 0x7f, v9
	s_cbranch_execz .LBB342_1722
; %bb.1719:                             ;   in Loop: Header=BB342_1066 Depth=1
	v_dual_lshrrev_b32 v6, 3, v9 :: v_dual_bitop2_b32 v22, 7, v8 bitop3:0x40
	s_mov_b32 s19, exec_lo
	s_delay_alu instid0(VALU_DEP_1)
	v_mov_b64_e32 v[36:37], v[22:23]
	v_cmpx_gt_u32_e32 8, v9
; %bb.1720:                             ;   in Loop: Header=BB342_1066 Depth=1
	v_clz_i32_u32_e32 v6, v22
	s_delay_alu instid0(VALU_DEP_1) | instskip(NEXT) | instid1(VALU_DEP_1)
	v_min_u32_e32 v6, 32, v6
	v_subrev_nc_u32_e32 v9, 28, v6
	v_sub_nc_u32_e32 v6, 29, v6
	s_delay_alu instid0(VALU_DEP_2) | instskip(NEXT) | instid1(VALU_DEP_1)
	v_lshlrev_b64_e32 v[18:19], v9, v[22:23]
	v_and_b32_e32 v36, 7, v18
; %bb.1721:                             ;   in Loop: Header=BB342_1066 Depth=1
	s_or_b32 exec_lo, exec_lo, s19
	v_lshlrev_b32_e32 v8, 24, v8
	s_delay_alu instid0(VALU_DEP_2) | instskip(SKIP_1) | instid1(VALU_DEP_3)
	v_lshlrev_b32_e32 v9, 20, v36
	v_lshl_add_u32 v6, v6, 23, 0x3c000000
	v_and_b32_e32 v8, 0x80000000, v8
	s_delay_alu instid0(VALU_DEP_1)
	v_or3_b32 v6, v9, v8, v6
.LBB342_1722:                           ;   in Loop: Header=BB342_1066 Depth=1
	s_or_b32 exec_lo, exec_lo, s18
.LBB342_1723:                           ;   in Loop: Header=BB342_1066 Depth=1
	s_delay_alu instid0(SALU_CYCLE_1)
	s_or_b32 exec_lo, exec_lo, s17
.LBB342_1724:                           ;   in Loop: Header=BB342_1066 Depth=1
	s_delay_alu instid0(SALU_CYCLE_1)
	s_or_b32 exec_lo, exec_lo, s16
	v_fma_mixlo_bf16 v123, v55, v5, 0
	v_fma_mixlo_bf16 v124, v55, v4, 0
	;; [unrolled: 1-line block ×8, first 2 shown]
	s_and_saveexec_b32 s16, vcc_lo
	s_cbranch_execz .LBB342_1726
; %bb.1725:                             ;   in Loop: Header=BB342_1066 Depth=1
	v_cmp_lt_i32_e64 s1, v102, v52
	s_delay_alu instid0(VALU_DEP_1) | instskip(SKIP_1) | instid1(VALU_DEP_1)
	v_cndmask_b32_e64 v33, 0, v33, s1
	v_cmp_lt_i32_e64 s1, v114, v52
	v_cndmask_b32_e64 v32, 0, v32, s1
	v_cmp_lt_i32_e64 s1, v113, v52
	s_delay_alu instid0(VALU_DEP_1) | instskip(SKIP_1) | instid1(VALU_DEP_1)
	v_cndmask_b32_e64 v54, 0, v54, s1
	v_cmp_lt_i32_e64 s1, v112, v52
	v_cndmask_b32_e64 v127, 0, v127, s1
	;; [unrolled: 5-line block ×4, first 2 shown]
.LBB342_1726:                           ;   in Loop: Header=BB342_1066 Depth=1
	s_or_b32 exec_lo, exec_lo, s16
	flat_load_b64 v[36:37], v[34:35] offset:2560
	v_dual_mov_b32 v1, 0 :: v_dual_mov_b32 v0, 0
	s_mov_b32 s16, exec_lo
	s_wait_loadcnt_dscnt 0x0
	v_and_b32_e32 v2, 0xff, v36
	s_wait_xcnt 0x0
	s_delay_alu instid0(VALU_DEP_1)
	v_cmpx_ne_u16_e32 0, v2
	s_cbranch_execz .LBB342_1734
; %bb.1727:                             ;   in Loop: Header=BB342_1066 Depth=1
	v_bfrev_b32_e32 v0, 1
	s_mov_b32 s17, exec_lo
	v_cmpx_ne_u16_e32 0x80, v2
	s_cbranch_execz .LBB342_1733
; %bb.1728:                             ;   in Loop: Header=BB342_1066 Depth=1
	v_and_b32_e32 v2, 0x7f, v36
	v_mov_b32_e32 v0, 0x7f800001
	s_mov_b32 s18, exec_lo
	s_delay_alu instid0(VALU_DEP_2)
	v_cmpx_ne_u32_e32 0x7f, v2
	s_cbranch_execz .LBB342_1732
; %bb.1729:                             ;   in Loop: Header=BB342_1066 Depth=1
	v_mov_b64_e32 v[38:39], v[36:37]
	v_lshrrev_b32_e32 v0, 3, v2
	s_mov_b32 s19, exec_lo
	v_cmpx_gt_u32_e32 8, v2
; %bb.1730:                             ;   in Loop: Header=BB342_1066 Depth=1
	v_and_b32_e32 v0, 7, v36
	s_delay_alu instid0(VALU_DEP_1) | instskip(NEXT) | instid1(VALU_DEP_1)
	v_clz_i32_u32_e32 v0, v0
	v_min_u32_e32 v0, 32, v0
	s_delay_alu instid0(VALU_DEP_1) | instskip(SKIP_1) | instid1(VALU_DEP_2)
	v_subrev_nc_u32_e32 v2, 28, v0
	v_sub_nc_u32_e32 v0, 29, v0
	v_lshlrev_b64_e32 v[38:39], v2, v[36:37]
; %bb.1731:                             ;   in Loop: Header=BB342_1066 Depth=1
	s_or_b32 exec_lo, exec_lo, s19
	s_delay_alu instid0(VALU_DEP_1) | instskip(NEXT) | instid1(VALU_DEP_3)
	v_dual_lshlrev_b32 v2, 20, v38 :: v_dual_lshlrev_b32 v3, 24, v36
	v_lshl_add_u32 v0, v0, 23, 0x3c000000
	s_delay_alu instid0(VALU_DEP_2) | instskip(NEXT) | instid1(VALU_DEP_3)
	v_and_b32_e32 v2, 0x700000, v2
	v_and_b32_e32 v3, 0x80000000, v3
	s_delay_alu instid0(VALU_DEP_1)
	v_or3_b32 v0, v2, v3, v0
.LBB342_1732:                           ;   in Loop: Header=BB342_1066 Depth=1
	s_or_b32 exec_lo, exec_lo, s18
.LBB342_1733:                           ;   in Loop: Header=BB342_1066 Depth=1
	s_delay_alu instid0(SALU_CYCLE_1)
	s_or_b32 exec_lo, exec_lo, s17
.LBB342_1734:                           ;   in Loop: Header=BB342_1066 Depth=1
	s_delay_alu instid0(SALU_CYCLE_1) | instskip(SKIP_2) | instid1(VALU_DEP_1)
	s_or_b32 exec_lo, exec_lo, s16
	v_lshrrev_b16 v2, 8, v36
	s_mov_b32 s16, exec_lo
	v_cmpx_ne_u16_e32 0, v2
	s_cbranch_execz .LBB342_1742
; %bb.1735:                             ;   in Loop: Header=BB342_1066 Depth=1
	v_bfrev_b32_e32 v1, 1
	s_mov_b32 s17, exec_lo
	v_cmpx_ne_u16_e32 0x80, v2
	s_cbranch_execz .LBB342_1741
; %bb.1736:                             ;   in Loop: Header=BB342_1066 Depth=1
	v_and_b32_e32 v3, 0xffff, v2
	v_mov_b32_e32 v1, 0x7f800001
	s_mov_b32 s18, exec_lo
	s_delay_alu instid0(VALU_DEP_2) | instskip(NEXT) | instid1(VALU_DEP_1)
	v_and_b32_e32 v2, 0x7f, v3
	v_cmpx_ne_u32_e32 0x7f, v2
	s_cbranch_execz .LBB342_1740
; %bb.1737:                             ;   in Loop: Header=BB342_1066 Depth=1
	v_dual_lshrrev_b32 v1, 3, v2 :: v_dual_bitop2_b32 v22, 7, v3 bitop3:0x40
	s_mov_b32 s19, exec_lo
	s_delay_alu instid0(VALU_DEP_1)
	v_mov_b64_e32 v[38:39], v[22:23]
	v_cmpx_gt_u32_e32 8, v2
; %bb.1738:                             ;   in Loop: Header=BB342_1066 Depth=1
	v_clz_i32_u32_e32 v1, v22
	s_delay_alu instid0(VALU_DEP_1) | instskip(NEXT) | instid1(VALU_DEP_1)
	v_min_u32_e32 v1, 32, v1
	v_subrev_nc_u32_e32 v2, 28, v1
	s_delay_alu instid0(VALU_DEP_1) | instskip(NEXT) | instid1(VALU_DEP_1)
	v_lshlrev_b64_e32 v[2:3], v2, v[22:23]
	v_dual_sub_nc_u32 v1, 29, v1 :: v_dual_bitop2_b32 v38, 7, v2 bitop3:0x40
; %bb.1739:                             ;   in Loop: Header=BB342_1066 Depth=1
	s_or_b32 exec_lo, exec_lo, s19
	s_delay_alu instid0(VALU_DEP_1) | instskip(NEXT) | instid1(VALU_DEP_2)
	v_dual_lshlrev_b32 v2, 16, v36 :: v_dual_lshlrev_b32 v3, 20, v38
	v_lshl_add_u32 v1, v1, 23, 0x3c000000
	s_delay_alu instid0(VALU_DEP_2) | instskip(NEXT) | instid1(VALU_DEP_1)
	v_and_b32_e32 v2, 0x80000000, v2
	v_or3_b32 v1, v3, v2, v1
.LBB342_1740:                           ;   in Loop: Header=BB342_1066 Depth=1
	s_or_b32 exec_lo, exec_lo, s18
.LBB342_1741:                           ;   in Loop: Header=BB342_1066 Depth=1
	s_delay_alu instid0(SALU_CYCLE_1)
	s_or_b32 exec_lo, exec_lo, s17
.LBB342_1742:                           ;   in Loop: Header=BB342_1066 Depth=1
	s_delay_alu instid0(SALU_CYCLE_1) | instskip(SKIP_3) | instid1(VALU_DEP_2)
	s_or_b32 exec_lo, exec_lo, s16
	v_dual_mov_b32 v3, 0 :: v_dual_lshrrev_b32 v4, 16, v36
	v_mov_b32_e32 v2, 0
	s_mov_b32 s16, exec_lo
	v_and_b32_e32 v5, 0xff, v4
	s_delay_alu instid0(VALU_DEP_1)
	v_cmpx_ne_u16_e32 0, v5
	s_cbranch_execz .LBB342_1750
; %bb.1743:                             ;   in Loop: Header=BB342_1066 Depth=1
	v_bfrev_b32_e32 v2, 1
	s_mov_b32 s17, exec_lo
	v_cmpx_ne_u16_e32 0x80, v5
	s_cbranch_execz .LBB342_1749
; %bb.1744:                             ;   in Loop: Header=BB342_1066 Depth=1
	v_bfe_u32 v5, v36, 16, 7
	v_mov_b32_e32 v2, 0x7f800001
	s_mov_b32 s18, exec_lo
	s_delay_alu instid0(VALU_DEP_2)
	v_cmpx_ne_u32_e32 0x7f, v5
	s_cbranch_execz .LBB342_1748
; %bb.1745:                             ;   in Loop: Header=BB342_1066 Depth=1
	v_dual_lshrrev_b32 v2, 3, v5 :: v_dual_bitop2_b32 v22, 7, v4 bitop3:0x40
	s_mov_b32 s19, exec_lo
	s_delay_alu instid0(VALU_DEP_1)
	v_mov_b64_e32 v[38:39], v[22:23]
	v_cmpx_gt_u32_e32 8, v5
; %bb.1746:                             ;   in Loop: Header=BB342_1066 Depth=1
	v_clz_i32_u32_e32 v2, v22
	s_delay_alu instid0(VALU_DEP_1) | instskip(NEXT) | instid1(VALU_DEP_1)
	v_min_u32_e32 v2, 32, v2
	v_subrev_nc_u32_e32 v5, 28, v2
	v_sub_nc_u32_e32 v2, 29, v2
	s_delay_alu instid0(VALU_DEP_2) | instskip(NEXT) | instid1(VALU_DEP_1)
	v_lshlrev_b64_e32 v[6:7], v5, v[22:23]
	v_and_b32_e32 v38, 7, v6
; %bb.1747:                             ;   in Loop: Header=BB342_1066 Depth=1
	s_or_b32 exec_lo, exec_lo, s19
	s_delay_alu instid0(VALU_DEP_1) | instskip(SKIP_1) | instid1(VALU_DEP_2)
	v_dual_lshlrev_b32 v4, 24, v4 :: v_dual_lshlrev_b32 v5, 20, v38
	v_lshl_add_u32 v2, v2, 23, 0x3c000000
	v_and_b32_e32 v4, 0x80000000, v4
	s_delay_alu instid0(VALU_DEP_1)
	v_or3_b32 v2, v5, v4, v2
.LBB342_1748:                           ;   in Loop: Header=BB342_1066 Depth=1
	s_or_b32 exec_lo, exec_lo, s18
.LBB342_1749:                           ;   in Loop: Header=BB342_1066 Depth=1
	s_delay_alu instid0(SALU_CYCLE_1)
	s_or_b32 exec_lo, exec_lo, s17
.LBB342_1750:                           ;   in Loop: Header=BB342_1066 Depth=1
	s_delay_alu instid0(SALU_CYCLE_1) | instskip(NEXT) | instid1(SALU_CYCLE_1)
	s_or_b32 exec_lo, exec_lo, s16
	s_mov_b32 s16, exec_lo
	v_cmpx_lt_u32_e32 0xffffff, v36
	s_cbranch_execz .LBB342_1758
; %bb.1751:                             ;   in Loop: Header=BB342_1066 Depth=1
	v_lshrrev_b32_e32 v4, 24, v36
	v_bfrev_b32_e32 v3, 1
	s_mov_b32 s17, exec_lo
	s_delay_alu instid0(VALU_DEP_2)
	v_cmpx_ne_u32_e32 0x80, v4
	s_cbranch_execz .LBB342_1757
; %bb.1752:                             ;   in Loop: Header=BB342_1066 Depth=1
	v_bfe_u32 v5, v36, 24, 7
	v_mov_b32_e32 v3, 0x7f800001
	s_mov_b32 s18, exec_lo
	s_delay_alu instid0(VALU_DEP_2)
	v_cmpx_ne_u32_e32 0x7f, v5
	s_cbranch_execz .LBB342_1756
; %bb.1753:                             ;   in Loop: Header=BB342_1066 Depth=1
	v_dual_lshrrev_b32 v3, 3, v5 :: v_dual_bitop2_b32 v22, 7, v4 bitop3:0x40
	s_mov_b32 s19, exec_lo
	s_delay_alu instid0(VALU_DEP_1)
	v_mov_b64_e32 v[38:39], v[22:23]
	v_cmpx_gt_u32_e32 8, v5
; %bb.1754:                             ;   in Loop: Header=BB342_1066 Depth=1
	v_clz_i32_u32_e32 v3, v22
	s_delay_alu instid0(VALU_DEP_1) | instskip(NEXT) | instid1(VALU_DEP_1)
	v_min_u32_e32 v3, 32, v3
	v_subrev_nc_u32_e32 v5, 28, v3
	s_delay_alu instid0(VALU_DEP_1) | instskip(NEXT) | instid1(VALU_DEP_1)
	v_lshlrev_b64_e32 v[6:7], v5, v[22:23]
	v_dual_sub_nc_u32 v3, 29, v3 :: v_dual_bitop2_b32 v38, 7, v6 bitop3:0x40
; %bb.1755:                             ;   in Loop: Header=BB342_1066 Depth=1
	s_or_b32 exec_lo, exec_lo, s19
	s_delay_alu instid0(VALU_DEP_1) | instskip(NEXT) | instid1(VALU_DEP_2)
	v_dual_lshlrev_b32 v4, 24, v4 :: v_dual_lshlrev_b32 v5, 20, v38
	v_lshl_add_u32 v3, v3, 23, 0x3c000000
	s_delay_alu instid0(VALU_DEP_2) | instskip(NEXT) | instid1(VALU_DEP_1)
	v_and_b32_e32 v4, 0x80000000, v4
	v_or3_b32 v3, v5, v4, v3
.LBB342_1756:                           ;   in Loop: Header=BB342_1066 Depth=1
	s_or_b32 exec_lo, exec_lo, s18
.LBB342_1757:                           ;   in Loop: Header=BB342_1066 Depth=1
	s_delay_alu instid0(SALU_CYCLE_1)
	s_or_b32 exec_lo, exec_lo, s17
.LBB342_1758:                           ;   in Loop: Header=BB342_1066 Depth=1
	s_delay_alu instid0(SALU_CYCLE_1) | instskip(SKIP_4) | instid1(VALU_DEP_3)
	s_or_b32 exec_lo, exec_lo, s16
	v_and_b32_e32 v6, 0xff, v37
	v_dual_mov_b32 v22, v37 :: v_dual_mov_b32 v5, 0
	v_mov_b32_e32 v4, 0
	s_mov_b32 s16, exec_lo
	v_cmpx_ne_u16_e32 0, v6
	s_cbranch_execz .LBB342_1766
; %bb.1759:                             ;   in Loop: Header=BB342_1066 Depth=1
	v_bfrev_b32_e32 v4, 1
	s_mov_b32 s17, exec_lo
	v_cmpx_ne_u16_e32 0x80, v6
	s_cbranch_execz .LBB342_1765
; %bb.1760:                             ;   in Loop: Header=BB342_1066 Depth=1
	v_and_b32_e32 v6, 0x7f, v37
	v_mov_b32_e32 v4, 0x7f800001
	s_mov_b32 s18, exec_lo
	s_delay_alu instid0(VALU_DEP_2)
	v_cmpx_ne_u32_e32 0x7f, v6
	s_cbranch_execz .LBB342_1764
; %bb.1761:                             ;   in Loop: Header=BB342_1066 Depth=1
	v_mov_b64_e32 v[38:39], v[22:23]
	v_lshrrev_b32_e32 v4, 3, v6
	s_mov_b32 s19, exec_lo
	v_cmpx_gt_u32_e32 8, v6
; %bb.1762:                             ;   in Loop: Header=BB342_1066 Depth=1
	v_and_b32_e32 v4, 7, v37
	s_delay_alu instid0(VALU_DEP_1) | instskip(NEXT) | instid1(VALU_DEP_1)
	v_clz_i32_u32_e32 v4, v4
	v_min_u32_e32 v4, 32, v4
	s_delay_alu instid0(VALU_DEP_1) | instskip(SKIP_1) | instid1(VALU_DEP_2)
	v_subrev_nc_u32_e32 v6, 28, v4
	v_sub_nc_u32_e32 v4, 29, v4
	v_lshlrev_b64_e32 v[38:39], v6, v[22:23]
; %bb.1763:                             ;   in Loop: Header=BB342_1066 Depth=1
	s_or_b32 exec_lo, exec_lo, s19
	s_delay_alu instid0(VALU_DEP_1) | instskip(SKIP_2) | instid1(VALU_DEP_3)
	v_lshlrev_b32_e32 v6, 20, v38
	v_lshlrev_b32_e32 v7, 24, v22
	v_lshl_add_u32 v4, v4, 23, 0x3c000000
	v_and_b32_e32 v6, 0x700000, v6
	s_delay_alu instid0(VALU_DEP_3) | instskip(NEXT) | instid1(VALU_DEP_1)
	v_and_b32_e32 v7, 0x80000000, v7
	v_or3_b32 v4, v6, v7, v4
.LBB342_1764:                           ;   in Loop: Header=BB342_1066 Depth=1
	s_or_b32 exec_lo, exec_lo, s18
.LBB342_1765:                           ;   in Loop: Header=BB342_1066 Depth=1
	s_delay_alu instid0(SALU_CYCLE_1)
	s_or_b32 exec_lo, exec_lo, s17
.LBB342_1766:                           ;   in Loop: Header=BB342_1066 Depth=1
	s_delay_alu instid0(SALU_CYCLE_1) | instskip(SKIP_2) | instid1(VALU_DEP_1)
	s_or_b32 exec_lo, exec_lo, s16
	v_lshrrev_b16 v6, 8, v22
	s_mov_b32 s16, exec_lo
	v_cmpx_ne_u16_e32 0, v6
	s_cbranch_execz .LBB342_1774
; %bb.1767:                             ;   in Loop: Header=BB342_1066 Depth=1
	v_bfrev_b32_e32 v5, 1
	s_mov_b32 s17, exec_lo
	v_cmpx_ne_u16_e32 0x80, v6
	s_cbranch_execz .LBB342_1773
; %bb.1768:                             ;   in Loop: Header=BB342_1066 Depth=1
	v_and_b32_e32 v7, 0xffff, v6
	v_mov_b32_e32 v5, 0x7f800001
	s_mov_b32 s18, exec_lo
	s_delay_alu instid0(VALU_DEP_2) | instskip(NEXT) | instid1(VALU_DEP_1)
	v_and_b32_e32 v6, 0x7f, v7
	v_cmpx_ne_u32_e32 0x7f, v6
	s_cbranch_execz .LBB342_1772
; %bb.1769:                             ;   in Loop: Header=BB342_1066 Depth=1
	v_dual_mov_b32 v39, v23 :: v_dual_bitop2_b32 v38, 7, v7 bitop3:0x40
	v_lshrrev_b32_e32 v5, 3, v6
	s_mov_b32 s19, exec_lo
	v_cmpx_gt_u32_e32 8, v6
; %bb.1770:                             ;   in Loop: Header=BB342_1066 Depth=1
	s_delay_alu instid0(VALU_DEP_3) | instskip(NEXT) | instid1(VALU_DEP_1)
	v_clz_i32_u32_e32 v5, v38
	v_min_u32_e32 v5, 32, v5
	s_delay_alu instid0(VALU_DEP_1) | instskip(NEXT) | instid1(VALU_DEP_1)
	v_subrev_nc_u32_e32 v6, 28, v5
	v_lshlrev_b64_e32 v[6:7], v6, v[38:39]
	s_delay_alu instid0(VALU_DEP_1)
	v_dual_sub_nc_u32 v5, 29, v5 :: v_dual_bitop2_b32 v38, 7, v6 bitop3:0x40
; %bb.1771:                             ;   in Loop: Header=BB342_1066 Depth=1
	s_or_b32 exec_lo, exec_lo, s19
	v_lshlrev_b32_e32 v6, 16, v22
	s_delay_alu instid0(VALU_DEP_2) | instskip(NEXT) | instid1(VALU_DEP_3)
	v_lshlrev_b32_e32 v7, 20, v38
	v_lshl_add_u32 v5, v5, 23, 0x3c000000
	s_delay_alu instid0(VALU_DEP_3) | instskip(NEXT) | instid1(VALU_DEP_1)
	v_and_b32_e32 v6, 0x80000000, v6
	v_or3_b32 v5, v7, v6, v5
.LBB342_1772:                           ;   in Loop: Header=BB342_1066 Depth=1
	s_or_b32 exec_lo, exec_lo, s18
.LBB342_1773:                           ;   in Loop: Header=BB342_1066 Depth=1
	s_delay_alu instid0(SALU_CYCLE_1)
	s_or_b32 exec_lo, exec_lo, s17
.LBB342_1774:                           ;   in Loop: Header=BB342_1066 Depth=1
	s_delay_alu instid0(SALU_CYCLE_1) | instskip(SKIP_3) | instid1(VALU_DEP_2)
	s_or_b32 exec_lo, exec_lo, s16
	v_dual_lshrrev_b32 v8, 16, v37 :: v_dual_mov_b32 v6, 0
	v_mov_b32_e32 v7, 0
	s_mov_b32 s16, exec_lo
	v_and_b32_e32 v9, 0xff, v8
	s_delay_alu instid0(VALU_DEP_1)
	v_cmpx_ne_u16_e32 0, v9
	s_cbranch_execz .LBB342_1782
; %bb.1775:                             ;   in Loop: Header=BB342_1066 Depth=1
	v_bfrev_b32_e32 v7, 1
	s_mov_b32 s17, exec_lo
	v_cmpx_ne_u16_e32 0x80, v9
	s_cbranch_execz .LBB342_1781
; %bb.1776:                             ;   in Loop: Header=BB342_1066 Depth=1
	v_bfe_u32 v9, v37, 16, 7
	v_mov_b32_e32 v7, 0x7f800001
	s_mov_b32 s18, exec_lo
	s_delay_alu instid0(VALU_DEP_2)
	v_cmpx_ne_u32_e32 0x7f, v9
	s_cbranch_execz .LBB342_1780
; %bb.1777:                             ;   in Loop: Header=BB342_1066 Depth=1
	v_dual_lshrrev_b32 v7, 3, v9 :: v_dual_bitop2_b32 v22, 7, v8 bitop3:0x40
	s_mov_b32 s19, exec_lo
	s_delay_alu instid0(VALU_DEP_1)
	v_mov_b64_e32 v[38:39], v[22:23]
	v_cmpx_gt_u32_e32 8, v9
; %bb.1778:                             ;   in Loop: Header=BB342_1066 Depth=1
	v_clz_i32_u32_e32 v7, v22
	s_delay_alu instid0(VALU_DEP_1) | instskip(NEXT) | instid1(VALU_DEP_1)
	v_min_u32_e32 v7, 32, v7
	v_subrev_nc_u32_e32 v9, 28, v7
	s_delay_alu instid0(VALU_DEP_1) | instskip(NEXT) | instid1(VALU_DEP_1)
	v_lshlrev_b64_e32 v[18:19], v9, v[22:23]
	v_dual_sub_nc_u32 v7, 29, v7 :: v_dual_bitop2_b32 v38, 7, v18 bitop3:0x40
; %bb.1779:                             ;   in Loop: Header=BB342_1066 Depth=1
	s_or_b32 exec_lo, exec_lo, s19
	s_delay_alu instid0(VALU_DEP_1) | instskip(NEXT) | instid1(VALU_DEP_2)
	v_dual_lshlrev_b32 v8, 24, v8 :: v_dual_lshlrev_b32 v9, 20, v38
	v_lshl_add_u32 v7, v7, 23, 0x3c000000
	s_delay_alu instid0(VALU_DEP_2) | instskip(NEXT) | instid1(VALU_DEP_1)
	v_and_b32_e32 v8, 0x80000000, v8
	v_or3_b32 v7, v9, v8, v7
.LBB342_1780:                           ;   in Loop: Header=BB342_1066 Depth=1
	s_or_b32 exec_lo, exec_lo, s18
.LBB342_1781:                           ;   in Loop: Header=BB342_1066 Depth=1
	s_delay_alu instid0(SALU_CYCLE_1)
	s_or_b32 exec_lo, exec_lo, s17
.LBB342_1782:                           ;   in Loop: Header=BB342_1066 Depth=1
	s_delay_alu instid0(SALU_CYCLE_1) | instskip(NEXT) | instid1(SALU_CYCLE_1)
	s_or_b32 exec_lo, exec_lo, s16
	s_mov_b32 s16, exec_lo
	v_cmpx_lt_u64_e64 s[2:3], v[36:37]
	s_cbranch_execz .LBB342_1790
; %bb.1783:                             ;   in Loop: Header=BB342_1066 Depth=1
	v_lshrrev_b32_e32 v8, 24, v37
	v_bfrev_b32_e32 v6, 1
	s_mov_b32 s17, exec_lo
	s_delay_alu instid0(VALU_DEP_2)
	v_cmpx_ne_u32_e32 0x80, v8
	s_cbranch_execz .LBB342_1789
; %bb.1784:                             ;   in Loop: Header=BB342_1066 Depth=1
	v_bfe_u32 v9, v37, 24, 7
	v_mov_b32_e32 v6, 0x7f800001
	s_mov_b32 s18, exec_lo
	s_delay_alu instid0(VALU_DEP_2)
	v_cmpx_ne_u32_e32 0x7f, v9
	s_cbranch_execz .LBB342_1788
; %bb.1785:                             ;   in Loop: Header=BB342_1066 Depth=1
	v_dual_lshrrev_b32 v6, 3, v9 :: v_dual_bitop2_b32 v22, 7, v8 bitop3:0x40
	s_mov_b32 s19, exec_lo
	s_delay_alu instid0(VALU_DEP_1)
	v_mov_b64_e32 v[36:37], v[22:23]
	v_cmpx_gt_u32_e32 8, v9
; %bb.1786:                             ;   in Loop: Header=BB342_1066 Depth=1
	v_clz_i32_u32_e32 v6, v22
	s_delay_alu instid0(VALU_DEP_1) | instskip(NEXT) | instid1(VALU_DEP_1)
	v_min_u32_e32 v6, 32, v6
	v_subrev_nc_u32_e32 v9, 28, v6
	v_sub_nc_u32_e32 v6, 29, v6
	s_delay_alu instid0(VALU_DEP_2) | instskip(NEXT) | instid1(VALU_DEP_1)
	v_lshlrev_b64_e32 v[18:19], v9, v[22:23]
	v_and_b32_e32 v36, 7, v18
; %bb.1787:                             ;   in Loop: Header=BB342_1066 Depth=1
	s_or_b32 exec_lo, exec_lo, s19
	v_lshlrev_b32_e32 v8, 24, v8
	s_delay_alu instid0(VALU_DEP_2) | instskip(SKIP_1) | instid1(VALU_DEP_3)
	v_lshlrev_b32_e32 v9, 20, v36
	v_lshl_add_u32 v6, v6, 23, 0x3c000000
	v_and_b32_e32 v8, 0x80000000, v8
	s_delay_alu instid0(VALU_DEP_1)
	v_or3_b32 v6, v9, v8, v6
.LBB342_1788:                           ;   in Loop: Header=BB342_1066 Depth=1
	s_or_b32 exec_lo, exec_lo, s18
.LBB342_1789:                           ;   in Loop: Header=BB342_1066 Depth=1
	s_delay_alu instid0(SALU_CYCLE_1)
	s_or_b32 exec_lo, exec_lo, s17
.LBB342_1790:                           ;   in Loop: Header=BB342_1066 Depth=1
	s_delay_alu instid0(SALU_CYCLE_1)
	s_or_b32 exec_lo, exec_lo, s16
	v_fma_mixlo_bf16 v19, v55, v5, 0
	v_fma_mixlo_bf16 v53, v55, v4, 0
	;; [unrolled: 1-line block ×8, first 2 shown]
	s_and_saveexec_b32 s16, vcc_lo
	s_cbranch_execz .LBB342_1792
; %bb.1791:                             ;   in Loop: Header=BB342_1066 Depth=1
	v_cmp_lt_i32_e64 s1, v102, v52
	s_delay_alu instid0(VALU_DEP_1) | instskip(SKIP_1) | instid1(VALU_DEP_1)
	v_cndmask_b32_e64 v80, 0, v80, s1
	v_cmp_lt_i32_e64 s1, v114, v52
	v_cndmask_b32_e64 v71, 0, v71, s1
	v_cmp_lt_i32_e64 s1, v113, v52
	s_delay_alu instid0(VALU_DEP_1) | instskip(SKIP_1) | instid1(VALU_DEP_1)
	v_cndmask_b32_e64 v70, 0, v70, s1
	v_cmp_lt_i32_e64 s1, v112, v52
	v_cndmask_b32_e64 v69, 0, v69, s1
	;; [unrolled: 5-line block ×4, first 2 shown]
.LBB342_1792:                           ;   in Loop: Header=BB342_1066 Depth=1
	s_or_b32 exec_lo, exec_lo, s16
	flat_load_b64 v[36:37], v[34:35] offset:2816
	v_dual_mov_b32 v1, 0 :: v_dual_mov_b32 v0, 0
	s_mov_b32 s16, exec_lo
	s_wait_loadcnt_dscnt 0x0
	v_and_b32_e32 v2, 0xff, v36
	s_wait_xcnt 0x0
	s_delay_alu instid0(VALU_DEP_1)
	v_cmpx_ne_u16_e32 0, v2
	s_cbranch_execz .LBB342_1800
; %bb.1793:                             ;   in Loop: Header=BB342_1066 Depth=1
	v_bfrev_b32_e32 v0, 1
	s_mov_b32 s17, exec_lo
	v_cmpx_ne_u16_e32 0x80, v2
	s_cbranch_execz .LBB342_1799
; %bb.1794:                             ;   in Loop: Header=BB342_1066 Depth=1
	v_and_b32_e32 v2, 0x7f, v36
	v_mov_b32_e32 v0, 0x7f800001
	s_mov_b32 s18, exec_lo
	s_delay_alu instid0(VALU_DEP_2)
	v_cmpx_ne_u32_e32 0x7f, v2
	s_cbranch_execz .LBB342_1798
; %bb.1795:                             ;   in Loop: Header=BB342_1066 Depth=1
	v_mov_b64_e32 v[38:39], v[36:37]
	v_lshrrev_b32_e32 v0, 3, v2
	s_mov_b32 s19, exec_lo
	v_cmpx_gt_u32_e32 8, v2
; %bb.1796:                             ;   in Loop: Header=BB342_1066 Depth=1
	v_and_b32_e32 v0, 7, v36
	s_delay_alu instid0(VALU_DEP_1) | instskip(NEXT) | instid1(VALU_DEP_1)
	v_clz_i32_u32_e32 v0, v0
	v_min_u32_e32 v0, 32, v0
	s_delay_alu instid0(VALU_DEP_1) | instskip(SKIP_1) | instid1(VALU_DEP_2)
	v_subrev_nc_u32_e32 v2, 28, v0
	v_sub_nc_u32_e32 v0, 29, v0
	v_lshlrev_b64_e32 v[38:39], v2, v[36:37]
; %bb.1797:                             ;   in Loop: Header=BB342_1066 Depth=1
	s_or_b32 exec_lo, exec_lo, s19
	s_delay_alu instid0(VALU_DEP_1) | instskip(NEXT) | instid1(VALU_DEP_3)
	v_dual_lshlrev_b32 v2, 20, v38 :: v_dual_lshlrev_b32 v3, 24, v36
	v_lshl_add_u32 v0, v0, 23, 0x3c000000
	s_delay_alu instid0(VALU_DEP_2) | instskip(NEXT) | instid1(VALU_DEP_3)
	v_and_b32_e32 v2, 0x700000, v2
	v_and_b32_e32 v3, 0x80000000, v3
	s_delay_alu instid0(VALU_DEP_1)
	v_or3_b32 v0, v2, v3, v0
.LBB342_1798:                           ;   in Loop: Header=BB342_1066 Depth=1
	s_or_b32 exec_lo, exec_lo, s18
.LBB342_1799:                           ;   in Loop: Header=BB342_1066 Depth=1
	s_delay_alu instid0(SALU_CYCLE_1)
	s_or_b32 exec_lo, exec_lo, s17
.LBB342_1800:                           ;   in Loop: Header=BB342_1066 Depth=1
	s_delay_alu instid0(SALU_CYCLE_1) | instskip(SKIP_2) | instid1(VALU_DEP_1)
	s_or_b32 exec_lo, exec_lo, s16
	v_lshrrev_b16 v2, 8, v36
	s_mov_b32 s16, exec_lo
	v_cmpx_ne_u16_e32 0, v2
	s_cbranch_execz .LBB342_1808
; %bb.1801:                             ;   in Loop: Header=BB342_1066 Depth=1
	v_bfrev_b32_e32 v1, 1
	s_mov_b32 s17, exec_lo
	v_cmpx_ne_u16_e32 0x80, v2
	s_cbranch_execz .LBB342_1807
; %bb.1802:                             ;   in Loop: Header=BB342_1066 Depth=1
	v_and_b32_e32 v3, 0xffff, v2
	v_mov_b32_e32 v1, 0x7f800001
	s_mov_b32 s18, exec_lo
	s_delay_alu instid0(VALU_DEP_2) | instskip(NEXT) | instid1(VALU_DEP_1)
	v_and_b32_e32 v2, 0x7f, v3
	v_cmpx_ne_u32_e32 0x7f, v2
	s_cbranch_execz .LBB342_1806
; %bb.1803:                             ;   in Loop: Header=BB342_1066 Depth=1
	v_dual_lshrrev_b32 v1, 3, v2 :: v_dual_bitop2_b32 v22, 7, v3 bitop3:0x40
	s_mov_b32 s19, exec_lo
	s_delay_alu instid0(VALU_DEP_1)
	v_mov_b64_e32 v[38:39], v[22:23]
	v_cmpx_gt_u32_e32 8, v2
; %bb.1804:                             ;   in Loop: Header=BB342_1066 Depth=1
	v_clz_i32_u32_e32 v1, v22
	s_delay_alu instid0(VALU_DEP_1) | instskip(NEXT) | instid1(VALU_DEP_1)
	v_min_u32_e32 v1, 32, v1
	v_subrev_nc_u32_e32 v2, 28, v1
	s_delay_alu instid0(VALU_DEP_1) | instskip(NEXT) | instid1(VALU_DEP_1)
	v_lshlrev_b64_e32 v[2:3], v2, v[22:23]
	v_dual_sub_nc_u32 v1, 29, v1 :: v_dual_bitop2_b32 v38, 7, v2 bitop3:0x40
; %bb.1805:                             ;   in Loop: Header=BB342_1066 Depth=1
	s_or_b32 exec_lo, exec_lo, s19
	s_delay_alu instid0(VALU_DEP_1) | instskip(NEXT) | instid1(VALU_DEP_2)
	v_dual_lshlrev_b32 v2, 16, v36 :: v_dual_lshlrev_b32 v3, 20, v38
	v_lshl_add_u32 v1, v1, 23, 0x3c000000
	s_delay_alu instid0(VALU_DEP_2) | instskip(NEXT) | instid1(VALU_DEP_1)
	v_and_b32_e32 v2, 0x80000000, v2
	v_or3_b32 v1, v3, v2, v1
.LBB342_1806:                           ;   in Loop: Header=BB342_1066 Depth=1
	s_or_b32 exec_lo, exec_lo, s18
.LBB342_1807:                           ;   in Loop: Header=BB342_1066 Depth=1
	s_delay_alu instid0(SALU_CYCLE_1)
	s_or_b32 exec_lo, exec_lo, s17
.LBB342_1808:                           ;   in Loop: Header=BB342_1066 Depth=1
	s_delay_alu instid0(SALU_CYCLE_1) | instskip(SKIP_3) | instid1(VALU_DEP_2)
	s_or_b32 exec_lo, exec_lo, s16
	v_dual_mov_b32 v3, 0 :: v_dual_lshrrev_b32 v4, 16, v36
	v_mov_b32_e32 v2, 0
	s_mov_b32 s16, exec_lo
	v_and_b32_e32 v5, 0xff, v4
	s_delay_alu instid0(VALU_DEP_1)
	v_cmpx_ne_u16_e32 0, v5
	s_cbranch_execz .LBB342_1816
; %bb.1809:                             ;   in Loop: Header=BB342_1066 Depth=1
	v_bfrev_b32_e32 v2, 1
	s_mov_b32 s17, exec_lo
	v_cmpx_ne_u16_e32 0x80, v5
	s_cbranch_execz .LBB342_1815
; %bb.1810:                             ;   in Loop: Header=BB342_1066 Depth=1
	v_bfe_u32 v5, v36, 16, 7
	v_mov_b32_e32 v2, 0x7f800001
	s_mov_b32 s18, exec_lo
	s_delay_alu instid0(VALU_DEP_2)
	v_cmpx_ne_u32_e32 0x7f, v5
	s_cbranch_execz .LBB342_1814
; %bb.1811:                             ;   in Loop: Header=BB342_1066 Depth=1
	v_dual_lshrrev_b32 v2, 3, v5 :: v_dual_bitop2_b32 v22, 7, v4 bitop3:0x40
	s_mov_b32 s19, exec_lo
	s_delay_alu instid0(VALU_DEP_1)
	v_mov_b64_e32 v[38:39], v[22:23]
	v_cmpx_gt_u32_e32 8, v5
; %bb.1812:                             ;   in Loop: Header=BB342_1066 Depth=1
	v_clz_i32_u32_e32 v2, v22
	s_delay_alu instid0(VALU_DEP_1) | instskip(NEXT) | instid1(VALU_DEP_1)
	v_min_u32_e32 v2, 32, v2
	v_subrev_nc_u32_e32 v5, 28, v2
	v_sub_nc_u32_e32 v2, 29, v2
	s_delay_alu instid0(VALU_DEP_2) | instskip(NEXT) | instid1(VALU_DEP_1)
	v_lshlrev_b64_e32 v[6:7], v5, v[22:23]
	v_and_b32_e32 v38, 7, v6
; %bb.1813:                             ;   in Loop: Header=BB342_1066 Depth=1
	s_or_b32 exec_lo, exec_lo, s19
	s_delay_alu instid0(VALU_DEP_1) | instskip(SKIP_1) | instid1(VALU_DEP_2)
	v_dual_lshlrev_b32 v4, 24, v4 :: v_dual_lshlrev_b32 v5, 20, v38
	v_lshl_add_u32 v2, v2, 23, 0x3c000000
	v_and_b32_e32 v4, 0x80000000, v4
	s_delay_alu instid0(VALU_DEP_1)
	v_or3_b32 v2, v5, v4, v2
.LBB342_1814:                           ;   in Loop: Header=BB342_1066 Depth=1
	s_or_b32 exec_lo, exec_lo, s18
.LBB342_1815:                           ;   in Loop: Header=BB342_1066 Depth=1
	s_delay_alu instid0(SALU_CYCLE_1)
	s_or_b32 exec_lo, exec_lo, s17
.LBB342_1816:                           ;   in Loop: Header=BB342_1066 Depth=1
	s_delay_alu instid0(SALU_CYCLE_1) | instskip(NEXT) | instid1(SALU_CYCLE_1)
	s_or_b32 exec_lo, exec_lo, s16
	s_mov_b32 s16, exec_lo
	v_cmpx_lt_u32_e32 0xffffff, v36
	s_cbranch_execz .LBB342_1824
; %bb.1817:                             ;   in Loop: Header=BB342_1066 Depth=1
	v_lshrrev_b32_e32 v4, 24, v36
	v_bfrev_b32_e32 v3, 1
	s_mov_b32 s17, exec_lo
	s_delay_alu instid0(VALU_DEP_2)
	v_cmpx_ne_u32_e32 0x80, v4
	s_cbranch_execz .LBB342_1823
; %bb.1818:                             ;   in Loop: Header=BB342_1066 Depth=1
	v_bfe_u32 v5, v36, 24, 7
	v_mov_b32_e32 v3, 0x7f800001
	s_mov_b32 s18, exec_lo
	s_delay_alu instid0(VALU_DEP_2)
	v_cmpx_ne_u32_e32 0x7f, v5
	s_cbranch_execz .LBB342_1822
; %bb.1819:                             ;   in Loop: Header=BB342_1066 Depth=1
	v_dual_lshrrev_b32 v3, 3, v5 :: v_dual_bitop2_b32 v22, 7, v4 bitop3:0x40
	s_mov_b32 s19, exec_lo
	s_delay_alu instid0(VALU_DEP_1)
	v_mov_b64_e32 v[38:39], v[22:23]
	v_cmpx_gt_u32_e32 8, v5
; %bb.1820:                             ;   in Loop: Header=BB342_1066 Depth=1
	v_clz_i32_u32_e32 v3, v22
	s_delay_alu instid0(VALU_DEP_1) | instskip(NEXT) | instid1(VALU_DEP_1)
	v_min_u32_e32 v3, 32, v3
	v_subrev_nc_u32_e32 v5, 28, v3
	s_delay_alu instid0(VALU_DEP_1) | instskip(NEXT) | instid1(VALU_DEP_1)
	v_lshlrev_b64_e32 v[6:7], v5, v[22:23]
	v_dual_sub_nc_u32 v3, 29, v3 :: v_dual_bitop2_b32 v38, 7, v6 bitop3:0x40
; %bb.1821:                             ;   in Loop: Header=BB342_1066 Depth=1
	s_or_b32 exec_lo, exec_lo, s19
	s_delay_alu instid0(VALU_DEP_1) | instskip(NEXT) | instid1(VALU_DEP_2)
	v_dual_lshlrev_b32 v4, 24, v4 :: v_dual_lshlrev_b32 v5, 20, v38
	v_lshl_add_u32 v3, v3, 23, 0x3c000000
	s_delay_alu instid0(VALU_DEP_2) | instskip(NEXT) | instid1(VALU_DEP_1)
	v_and_b32_e32 v4, 0x80000000, v4
	v_or3_b32 v3, v5, v4, v3
.LBB342_1822:                           ;   in Loop: Header=BB342_1066 Depth=1
	s_or_b32 exec_lo, exec_lo, s18
.LBB342_1823:                           ;   in Loop: Header=BB342_1066 Depth=1
	s_delay_alu instid0(SALU_CYCLE_1)
	s_or_b32 exec_lo, exec_lo, s17
.LBB342_1824:                           ;   in Loop: Header=BB342_1066 Depth=1
	s_delay_alu instid0(SALU_CYCLE_1) | instskip(SKIP_4) | instid1(VALU_DEP_3)
	s_or_b32 exec_lo, exec_lo, s16
	v_and_b32_e32 v6, 0xff, v37
	v_dual_mov_b32 v22, v37 :: v_dual_mov_b32 v5, 0
	v_mov_b32_e32 v4, 0
	s_mov_b32 s16, exec_lo
	v_cmpx_ne_u16_e32 0, v6
	s_cbranch_execz .LBB342_1832
; %bb.1825:                             ;   in Loop: Header=BB342_1066 Depth=1
	v_bfrev_b32_e32 v4, 1
	s_mov_b32 s17, exec_lo
	v_cmpx_ne_u16_e32 0x80, v6
	s_cbranch_execz .LBB342_1831
; %bb.1826:                             ;   in Loop: Header=BB342_1066 Depth=1
	v_and_b32_e32 v6, 0x7f, v37
	v_mov_b32_e32 v4, 0x7f800001
	s_mov_b32 s18, exec_lo
	s_delay_alu instid0(VALU_DEP_2)
	v_cmpx_ne_u32_e32 0x7f, v6
	s_cbranch_execz .LBB342_1830
; %bb.1827:                             ;   in Loop: Header=BB342_1066 Depth=1
	v_mov_b64_e32 v[38:39], v[22:23]
	v_lshrrev_b32_e32 v4, 3, v6
	s_mov_b32 s19, exec_lo
	v_cmpx_gt_u32_e32 8, v6
; %bb.1828:                             ;   in Loop: Header=BB342_1066 Depth=1
	v_and_b32_e32 v4, 7, v37
	s_delay_alu instid0(VALU_DEP_1) | instskip(NEXT) | instid1(VALU_DEP_1)
	v_clz_i32_u32_e32 v4, v4
	v_min_u32_e32 v4, 32, v4
	s_delay_alu instid0(VALU_DEP_1) | instskip(SKIP_1) | instid1(VALU_DEP_2)
	v_subrev_nc_u32_e32 v6, 28, v4
	v_sub_nc_u32_e32 v4, 29, v4
	v_lshlrev_b64_e32 v[38:39], v6, v[22:23]
; %bb.1829:                             ;   in Loop: Header=BB342_1066 Depth=1
	s_or_b32 exec_lo, exec_lo, s19
	s_delay_alu instid0(VALU_DEP_1) | instskip(SKIP_2) | instid1(VALU_DEP_3)
	v_lshlrev_b32_e32 v6, 20, v38
	v_lshlrev_b32_e32 v7, 24, v22
	v_lshl_add_u32 v4, v4, 23, 0x3c000000
	v_and_b32_e32 v6, 0x700000, v6
	s_delay_alu instid0(VALU_DEP_3) | instskip(NEXT) | instid1(VALU_DEP_1)
	v_and_b32_e32 v7, 0x80000000, v7
	v_or3_b32 v4, v6, v7, v4
.LBB342_1830:                           ;   in Loop: Header=BB342_1066 Depth=1
	s_or_b32 exec_lo, exec_lo, s18
.LBB342_1831:                           ;   in Loop: Header=BB342_1066 Depth=1
	s_delay_alu instid0(SALU_CYCLE_1)
	s_or_b32 exec_lo, exec_lo, s17
.LBB342_1832:                           ;   in Loop: Header=BB342_1066 Depth=1
	s_delay_alu instid0(SALU_CYCLE_1) | instskip(SKIP_2) | instid1(VALU_DEP_1)
	s_or_b32 exec_lo, exec_lo, s16
	v_lshrrev_b16 v6, 8, v22
	s_mov_b32 s16, exec_lo
	v_cmpx_ne_u16_e32 0, v6
	s_cbranch_execz .LBB342_1840
; %bb.1833:                             ;   in Loop: Header=BB342_1066 Depth=1
	v_bfrev_b32_e32 v5, 1
	s_mov_b32 s17, exec_lo
	v_cmpx_ne_u16_e32 0x80, v6
	s_cbranch_execz .LBB342_1839
; %bb.1834:                             ;   in Loop: Header=BB342_1066 Depth=1
	v_and_b32_e32 v7, 0xffff, v6
	v_mov_b32_e32 v5, 0x7f800001
	s_mov_b32 s18, exec_lo
	s_delay_alu instid0(VALU_DEP_2) | instskip(NEXT) | instid1(VALU_DEP_1)
	v_and_b32_e32 v6, 0x7f, v7
	v_cmpx_ne_u32_e32 0x7f, v6
	s_cbranch_execz .LBB342_1838
; %bb.1835:                             ;   in Loop: Header=BB342_1066 Depth=1
	v_dual_mov_b32 v39, v23 :: v_dual_bitop2_b32 v38, 7, v7 bitop3:0x40
	v_lshrrev_b32_e32 v5, 3, v6
	s_mov_b32 s19, exec_lo
	v_cmpx_gt_u32_e32 8, v6
; %bb.1836:                             ;   in Loop: Header=BB342_1066 Depth=1
	s_delay_alu instid0(VALU_DEP_3) | instskip(NEXT) | instid1(VALU_DEP_1)
	v_clz_i32_u32_e32 v5, v38
	v_min_u32_e32 v5, 32, v5
	s_delay_alu instid0(VALU_DEP_1) | instskip(NEXT) | instid1(VALU_DEP_1)
	v_subrev_nc_u32_e32 v6, 28, v5
	v_lshlrev_b64_e32 v[6:7], v6, v[38:39]
	s_delay_alu instid0(VALU_DEP_1)
	v_dual_sub_nc_u32 v5, 29, v5 :: v_dual_bitop2_b32 v38, 7, v6 bitop3:0x40
; %bb.1837:                             ;   in Loop: Header=BB342_1066 Depth=1
	s_or_b32 exec_lo, exec_lo, s19
	v_lshlrev_b32_e32 v6, 16, v22
	s_delay_alu instid0(VALU_DEP_2) | instskip(NEXT) | instid1(VALU_DEP_3)
	v_lshlrev_b32_e32 v7, 20, v38
	v_lshl_add_u32 v5, v5, 23, 0x3c000000
	s_delay_alu instid0(VALU_DEP_3) | instskip(NEXT) | instid1(VALU_DEP_1)
	v_and_b32_e32 v6, 0x80000000, v6
	v_or3_b32 v5, v7, v6, v5
.LBB342_1838:                           ;   in Loop: Header=BB342_1066 Depth=1
	s_or_b32 exec_lo, exec_lo, s18
.LBB342_1839:                           ;   in Loop: Header=BB342_1066 Depth=1
	s_delay_alu instid0(SALU_CYCLE_1)
	s_or_b32 exec_lo, exec_lo, s17
.LBB342_1840:                           ;   in Loop: Header=BB342_1066 Depth=1
	s_delay_alu instid0(SALU_CYCLE_1) | instskip(SKIP_3) | instid1(VALU_DEP_2)
	s_or_b32 exec_lo, exec_lo, s16
	v_dual_lshrrev_b32 v8, 16, v37 :: v_dual_mov_b32 v6, 0
	v_mov_b32_e32 v7, 0
	s_mov_b32 s16, exec_lo
	v_and_b32_e32 v9, 0xff, v8
	s_delay_alu instid0(VALU_DEP_1)
	v_cmpx_ne_u16_e32 0, v9
	s_cbranch_execz .LBB342_1848
; %bb.1841:                             ;   in Loop: Header=BB342_1066 Depth=1
	v_bfrev_b32_e32 v7, 1
	s_mov_b32 s17, exec_lo
	v_cmpx_ne_u16_e32 0x80, v9
	s_cbranch_execz .LBB342_1847
; %bb.1842:                             ;   in Loop: Header=BB342_1066 Depth=1
	v_bfe_u32 v9, v37, 16, 7
	v_mov_b32_e32 v7, 0x7f800001
	s_mov_b32 s18, exec_lo
	s_delay_alu instid0(VALU_DEP_2)
	v_cmpx_ne_u32_e32 0x7f, v9
	s_cbranch_execz .LBB342_1846
; %bb.1843:                             ;   in Loop: Header=BB342_1066 Depth=1
	v_dual_lshrrev_b32 v7, 3, v9 :: v_dual_bitop2_b32 v22, 7, v8 bitop3:0x40
	s_mov_b32 s19, exec_lo
	s_delay_alu instid0(VALU_DEP_1)
	v_mov_b64_e32 v[38:39], v[22:23]
	v_cmpx_gt_u32_e32 8, v9
; %bb.1844:                             ;   in Loop: Header=BB342_1066 Depth=1
	v_clz_i32_u32_e32 v7, v22
	s_delay_alu instid0(VALU_DEP_1) | instskip(NEXT) | instid1(VALU_DEP_1)
	v_min_u32_e32 v7, 32, v7
	v_subrev_nc_u32_e32 v9, 28, v7
	s_delay_alu instid0(VALU_DEP_1) | instskip(NEXT) | instid1(VALU_DEP_1)
	v_lshlrev_b64_e32 v[38:39], v9, v[22:23]
	v_dual_sub_nc_u32 v7, 29, v7 :: v_dual_bitop2_b32 v38, 7, v38 bitop3:0x40
; %bb.1845:                             ;   in Loop: Header=BB342_1066 Depth=1
	s_or_b32 exec_lo, exec_lo, s19
	s_delay_alu instid0(VALU_DEP_1) | instskip(NEXT) | instid1(VALU_DEP_2)
	v_dual_lshlrev_b32 v8, 24, v8 :: v_dual_lshlrev_b32 v9, 20, v38
	v_lshl_add_u32 v7, v7, 23, 0x3c000000
	s_delay_alu instid0(VALU_DEP_2) | instskip(NEXT) | instid1(VALU_DEP_1)
	v_and_b32_e32 v8, 0x80000000, v8
	v_or3_b32 v7, v9, v8, v7
.LBB342_1846:                           ;   in Loop: Header=BB342_1066 Depth=1
	s_or_b32 exec_lo, exec_lo, s18
.LBB342_1847:                           ;   in Loop: Header=BB342_1066 Depth=1
	s_delay_alu instid0(SALU_CYCLE_1)
	s_or_b32 exec_lo, exec_lo, s17
.LBB342_1848:                           ;   in Loop: Header=BB342_1066 Depth=1
	s_delay_alu instid0(SALU_CYCLE_1) | instskip(NEXT) | instid1(SALU_CYCLE_1)
	s_or_b32 exec_lo, exec_lo, s16
	s_mov_b32 s16, exec_lo
	v_cmpx_lt_u64_e64 s[2:3], v[36:37]
	s_cbranch_execz .LBB342_1856
; %bb.1849:                             ;   in Loop: Header=BB342_1066 Depth=1
	v_lshrrev_b32_e32 v8, 24, v37
	v_bfrev_b32_e32 v6, 1
	s_mov_b32 s17, exec_lo
	s_delay_alu instid0(VALU_DEP_2)
	v_cmpx_ne_u32_e32 0x80, v8
	s_cbranch_execz .LBB342_1855
; %bb.1850:                             ;   in Loop: Header=BB342_1066 Depth=1
	v_bfe_u32 v9, v37, 24, 7
	v_mov_b32_e32 v6, 0x7f800001
	s_mov_b32 s18, exec_lo
	s_delay_alu instid0(VALU_DEP_2)
	v_cmpx_ne_u32_e32 0x7f, v9
	s_cbranch_execz .LBB342_1854
; %bb.1851:                             ;   in Loop: Header=BB342_1066 Depth=1
	v_dual_lshrrev_b32 v6, 3, v9 :: v_dual_bitop2_b32 v22, 7, v8 bitop3:0x40
	s_mov_b32 s19, exec_lo
	s_delay_alu instid0(VALU_DEP_1)
	v_mov_b64_e32 v[36:37], v[22:23]
	v_cmpx_gt_u32_e32 8, v9
; %bb.1852:                             ;   in Loop: Header=BB342_1066 Depth=1
	v_clz_i32_u32_e32 v6, v22
	s_delay_alu instid0(VALU_DEP_1) | instskip(NEXT) | instid1(VALU_DEP_1)
	v_min_u32_e32 v6, 32, v6
	v_subrev_nc_u32_e32 v9, 28, v6
	s_delay_alu instid0(VALU_DEP_1) | instskip(NEXT) | instid1(VALU_DEP_1)
	v_lshlrev_b64_e32 v[36:37], v9, v[22:23]
	v_dual_sub_nc_u32 v6, 29, v6 :: v_dual_bitop2_b32 v36, 7, v36 bitop3:0x40
; %bb.1853:                             ;   in Loop: Header=BB342_1066 Depth=1
	s_or_b32 exec_lo, exec_lo, s19
	v_lshlrev_b32_e32 v8, 24, v8
	s_delay_alu instid0(VALU_DEP_2) | instskip(NEXT) | instid1(VALU_DEP_3)
	v_lshlrev_b32_e32 v9, 20, v36
	v_lshl_add_u32 v6, v6, 23, 0x3c000000
	s_delay_alu instid0(VALU_DEP_3) | instskip(NEXT) | instid1(VALU_DEP_1)
	v_and_b32_e32 v8, 0x80000000, v8
	v_or3_b32 v6, v9, v8, v6
.LBB342_1854:                           ;   in Loop: Header=BB342_1066 Depth=1
	s_or_b32 exec_lo, exec_lo, s18
.LBB342_1855:                           ;   in Loop: Header=BB342_1066 Depth=1
	s_delay_alu instid0(SALU_CYCLE_1)
	s_or_b32 exec_lo, exec_lo, s17
.LBB342_1856:                           ;   in Loop: Header=BB342_1066 Depth=1
	s_delay_alu instid0(SALU_CYCLE_1)
	s_or_b32 exec_lo, exec_lo, s16
	v_fma_mixlo_bf16 v81, v55, v5, 0
	v_fma_mixlo_bf16 v82, v55, v4, 0
	;; [unrolled: 1-line block ×8, first 2 shown]
	s_and_saveexec_b32 s16, vcc_lo
	s_cbranch_execz .LBB342_1858
; %bb.1857:                             ;   in Loop: Header=BB342_1066 Depth=1
	v_cmp_lt_i32_e64 s1, v102, v52
	s_delay_alu instid0(VALU_DEP_1) | instskip(SKIP_1) | instid1(VALU_DEP_1)
	v_cndmask_b32_e64 v96, 0, v96, s1
	v_cmp_lt_i32_e64 s1, v114, v52
	v_cndmask_b32_e64 v87, 0, v87, s1
	v_cmp_lt_i32_e64 s1, v113, v52
	s_delay_alu instid0(VALU_DEP_1) | instskip(SKIP_1) | instid1(VALU_DEP_1)
	v_cndmask_b32_e64 v86, 0, v86, s1
	v_cmp_lt_i32_e64 s1, v112, v52
	v_cndmask_b32_e64 v84, 0, v84, s1
	;; [unrolled: 5-line block ×4, first 2 shown]
.LBB342_1858:                           ;   in Loop: Header=BB342_1066 Depth=1
	s_or_b32 exec_lo, exec_lo, s16
	flat_load_b64 v[36:37], v[34:35] offset:3072
	v_dual_mov_b32 v1, 0 :: v_dual_mov_b32 v0, 0
	s_mov_b32 s16, exec_lo
	s_wait_loadcnt_dscnt 0x0
	v_and_b32_e32 v2, 0xff, v36
	s_wait_xcnt 0x0
	s_delay_alu instid0(VALU_DEP_1)
	v_cmpx_ne_u16_e32 0, v2
	s_cbranch_execz .LBB342_1866
; %bb.1859:                             ;   in Loop: Header=BB342_1066 Depth=1
	v_bfrev_b32_e32 v0, 1
	s_mov_b32 s17, exec_lo
	v_cmpx_ne_u16_e32 0x80, v2
	s_cbranch_execz .LBB342_1865
; %bb.1860:                             ;   in Loop: Header=BB342_1066 Depth=1
	v_and_b32_e32 v2, 0x7f, v36
	v_mov_b32_e32 v0, 0x7f800001
	s_mov_b32 s18, exec_lo
	s_delay_alu instid0(VALU_DEP_2)
	v_cmpx_ne_u32_e32 0x7f, v2
	s_cbranch_execz .LBB342_1864
; %bb.1861:                             ;   in Loop: Header=BB342_1066 Depth=1
	v_mov_b64_e32 v[38:39], v[36:37]
	v_lshrrev_b32_e32 v0, 3, v2
	s_mov_b32 s19, exec_lo
	v_cmpx_gt_u32_e32 8, v2
; %bb.1862:                             ;   in Loop: Header=BB342_1066 Depth=1
	v_and_b32_e32 v0, 7, v36
	s_delay_alu instid0(VALU_DEP_1) | instskip(NEXT) | instid1(VALU_DEP_1)
	v_clz_i32_u32_e32 v0, v0
	v_min_u32_e32 v0, 32, v0
	s_delay_alu instid0(VALU_DEP_1) | instskip(SKIP_1) | instid1(VALU_DEP_2)
	v_subrev_nc_u32_e32 v2, 28, v0
	v_sub_nc_u32_e32 v0, 29, v0
	v_lshlrev_b64_e32 v[38:39], v2, v[36:37]
; %bb.1863:                             ;   in Loop: Header=BB342_1066 Depth=1
	s_or_b32 exec_lo, exec_lo, s19
	s_delay_alu instid0(VALU_DEP_1) | instskip(NEXT) | instid1(VALU_DEP_3)
	v_dual_lshlrev_b32 v2, 20, v38 :: v_dual_lshlrev_b32 v3, 24, v36
	v_lshl_add_u32 v0, v0, 23, 0x3c000000
	s_delay_alu instid0(VALU_DEP_2) | instskip(NEXT) | instid1(VALU_DEP_3)
	v_and_b32_e32 v2, 0x700000, v2
	v_and_b32_e32 v3, 0x80000000, v3
	s_delay_alu instid0(VALU_DEP_1)
	v_or3_b32 v0, v2, v3, v0
.LBB342_1864:                           ;   in Loop: Header=BB342_1066 Depth=1
	s_or_b32 exec_lo, exec_lo, s18
.LBB342_1865:                           ;   in Loop: Header=BB342_1066 Depth=1
	s_delay_alu instid0(SALU_CYCLE_1)
	s_or_b32 exec_lo, exec_lo, s17
.LBB342_1866:                           ;   in Loop: Header=BB342_1066 Depth=1
	s_delay_alu instid0(SALU_CYCLE_1) | instskip(SKIP_2) | instid1(VALU_DEP_1)
	s_or_b32 exec_lo, exec_lo, s16
	v_lshrrev_b16 v2, 8, v36
	s_mov_b32 s16, exec_lo
	v_cmpx_ne_u16_e32 0, v2
	s_cbranch_execz .LBB342_1874
; %bb.1867:                             ;   in Loop: Header=BB342_1066 Depth=1
	v_bfrev_b32_e32 v1, 1
	s_mov_b32 s17, exec_lo
	v_cmpx_ne_u16_e32 0x80, v2
	s_cbranch_execz .LBB342_1873
; %bb.1868:                             ;   in Loop: Header=BB342_1066 Depth=1
	v_and_b32_e32 v3, 0xffff, v2
	v_mov_b32_e32 v1, 0x7f800001
	s_mov_b32 s18, exec_lo
	s_delay_alu instid0(VALU_DEP_2) | instskip(NEXT) | instid1(VALU_DEP_1)
	v_and_b32_e32 v2, 0x7f, v3
	v_cmpx_ne_u32_e32 0x7f, v2
	s_cbranch_execz .LBB342_1872
; %bb.1869:                             ;   in Loop: Header=BB342_1066 Depth=1
	v_dual_lshrrev_b32 v1, 3, v2 :: v_dual_bitop2_b32 v22, 7, v3 bitop3:0x40
	s_mov_b32 s19, exec_lo
	s_delay_alu instid0(VALU_DEP_1)
	v_mov_b64_e32 v[38:39], v[22:23]
	v_cmpx_gt_u32_e32 8, v2
; %bb.1870:                             ;   in Loop: Header=BB342_1066 Depth=1
	v_clz_i32_u32_e32 v1, v22
	s_delay_alu instid0(VALU_DEP_1) | instskip(NEXT) | instid1(VALU_DEP_1)
	v_min_u32_e32 v1, 32, v1
	v_subrev_nc_u32_e32 v2, 28, v1
	s_delay_alu instid0(VALU_DEP_1) | instskip(NEXT) | instid1(VALU_DEP_1)
	v_lshlrev_b64_e32 v[2:3], v2, v[22:23]
	v_dual_sub_nc_u32 v1, 29, v1 :: v_dual_bitop2_b32 v38, 7, v2 bitop3:0x40
; %bb.1871:                             ;   in Loop: Header=BB342_1066 Depth=1
	s_or_b32 exec_lo, exec_lo, s19
	s_delay_alu instid0(VALU_DEP_1) | instskip(NEXT) | instid1(VALU_DEP_2)
	v_dual_lshlrev_b32 v2, 16, v36 :: v_dual_lshlrev_b32 v3, 20, v38
	v_lshl_add_u32 v1, v1, 23, 0x3c000000
	s_delay_alu instid0(VALU_DEP_2) | instskip(NEXT) | instid1(VALU_DEP_1)
	v_and_b32_e32 v2, 0x80000000, v2
	v_or3_b32 v1, v3, v2, v1
.LBB342_1872:                           ;   in Loop: Header=BB342_1066 Depth=1
	s_or_b32 exec_lo, exec_lo, s18
.LBB342_1873:                           ;   in Loop: Header=BB342_1066 Depth=1
	s_delay_alu instid0(SALU_CYCLE_1)
	s_or_b32 exec_lo, exec_lo, s17
.LBB342_1874:                           ;   in Loop: Header=BB342_1066 Depth=1
	s_delay_alu instid0(SALU_CYCLE_1) | instskip(SKIP_3) | instid1(VALU_DEP_2)
	s_or_b32 exec_lo, exec_lo, s16
	v_dual_mov_b32 v3, 0 :: v_dual_lshrrev_b32 v4, 16, v36
	v_mov_b32_e32 v2, 0
	s_mov_b32 s16, exec_lo
	v_and_b32_e32 v5, 0xff, v4
	s_delay_alu instid0(VALU_DEP_1)
	v_cmpx_ne_u16_e32 0, v5
	s_cbranch_execz .LBB342_1882
; %bb.1875:                             ;   in Loop: Header=BB342_1066 Depth=1
	v_bfrev_b32_e32 v2, 1
	s_mov_b32 s17, exec_lo
	v_cmpx_ne_u16_e32 0x80, v5
	s_cbranch_execz .LBB342_1881
; %bb.1876:                             ;   in Loop: Header=BB342_1066 Depth=1
	v_bfe_u32 v5, v36, 16, 7
	v_mov_b32_e32 v2, 0x7f800001
	s_mov_b32 s18, exec_lo
	s_delay_alu instid0(VALU_DEP_2)
	v_cmpx_ne_u32_e32 0x7f, v5
	s_cbranch_execz .LBB342_1880
; %bb.1877:                             ;   in Loop: Header=BB342_1066 Depth=1
	v_dual_lshrrev_b32 v2, 3, v5 :: v_dual_bitop2_b32 v22, 7, v4 bitop3:0x40
	s_mov_b32 s19, exec_lo
	s_delay_alu instid0(VALU_DEP_1)
	v_mov_b64_e32 v[38:39], v[22:23]
	v_cmpx_gt_u32_e32 8, v5
; %bb.1878:                             ;   in Loop: Header=BB342_1066 Depth=1
	v_clz_i32_u32_e32 v2, v22
	s_delay_alu instid0(VALU_DEP_1) | instskip(NEXT) | instid1(VALU_DEP_1)
	v_min_u32_e32 v2, 32, v2
	v_subrev_nc_u32_e32 v5, 28, v2
	v_sub_nc_u32_e32 v2, 29, v2
	s_delay_alu instid0(VALU_DEP_2) | instskip(NEXT) | instid1(VALU_DEP_1)
	v_lshlrev_b64_e32 v[6:7], v5, v[22:23]
	v_and_b32_e32 v38, 7, v6
; %bb.1879:                             ;   in Loop: Header=BB342_1066 Depth=1
	s_or_b32 exec_lo, exec_lo, s19
	s_delay_alu instid0(VALU_DEP_1) | instskip(SKIP_1) | instid1(VALU_DEP_2)
	v_dual_lshlrev_b32 v4, 24, v4 :: v_dual_lshlrev_b32 v5, 20, v38
	v_lshl_add_u32 v2, v2, 23, 0x3c000000
	v_and_b32_e32 v4, 0x80000000, v4
	s_delay_alu instid0(VALU_DEP_1)
	v_or3_b32 v2, v5, v4, v2
.LBB342_1880:                           ;   in Loop: Header=BB342_1066 Depth=1
	s_or_b32 exec_lo, exec_lo, s18
.LBB342_1881:                           ;   in Loop: Header=BB342_1066 Depth=1
	s_delay_alu instid0(SALU_CYCLE_1)
	s_or_b32 exec_lo, exec_lo, s17
.LBB342_1882:                           ;   in Loop: Header=BB342_1066 Depth=1
	s_delay_alu instid0(SALU_CYCLE_1) | instskip(NEXT) | instid1(SALU_CYCLE_1)
	s_or_b32 exec_lo, exec_lo, s16
	s_mov_b32 s16, exec_lo
	v_cmpx_lt_u32_e32 0xffffff, v36
	s_cbranch_execz .LBB342_1890
; %bb.1883:                             ;   in Loop: Header=BB342_1066 Depth=1
	v_lshrrev_b32_e32 v4, 24, v36
	v_bfrev_b32_e32 v3, 1
	s_mov_b32 s17, exec_lo
	s_delay_alu instid0(VALU_DEP_2)
	v_cmpx_ne_u32_e32 0x80, v4
	s_cbranch_execz .LBB342_1889
; %bb.1884:                             ;   in Loop: Header=BB342_1066 Depth=1
	v_bfe_u32 v5, v36, 24, 7
	v_mov_b32_e32 v3, 0x7f800001
	s_mov_b32 s18, exec_lo
	s_delay_alu instid0(VALU_DEP_2)
	v_cmpx_ne_u32_e32 0x7f, v5
	s_cbranch_execz .LBB342_1888
; %bb.1885:                             ;   in Loop: Header=BB342_1066 Depth=1
	v_dual_lshrrev_b32 v3, 3, v5 :: v_dual_bitop2_b32 v22, 7, v4 bitop3:0x40
	s_mov_b32 s19, exec_lo
	s_delay_alu instid0(VALU_DEP_1)
	v_mov_b64_e32 v[38:39], v[22:23]
	v_cmpx_gt_u32_e32 8, v5
; %bb.1886:                             ;   in Loop: Header=BB342_1066 Depth=1
	v_clz_i32_u32_e32 v3, v22
	s_delay_alu instid0(VALU_DEP_1) | instskip(NEXT) | instid1(VALU_DEP_1)
	v_min_u32_e32 v3, 32, v3
	v_subrev_nc_u32_e32 v5, 28, v3
	s_delay_alu instid0(VALU_DEP_1) | instskip(NEXT) | instid1(VALU_DEP_1)
	v_lshlrev_b64_e32 v[6:7], v5, v[22:23]
	v_dual_sub_nc_u32 v3, 29, v3 :: v_dual_bitop2_b32 v38, 7, v6 bitop3:0x40
; %bb.1887:                             ;   in Loop: Header=BB342_1066 Depth=1
	s_or_b32 exec_lo, exec_lo, s19
	s_delay_alu instid0(VALU_DEP_1) | instskip(NEXT) | instid1(VALU_DEP_2)
	v_dual_lshlrev_b32 v4, 24, v4 :: v_dual_lshlrev_b32 v5, 20, v38
	v_lshl_add_u32 v3, v3, 23, 0x3c000000
	s_delay_alu instid0(VALU_DEP_2) | instskip(NEXT) | instid1(VALU_DEP_1)
	v_and_b32_e32 v4, 0x80000000, v4
	v_or3_b32 v3, v5, v4, v3
.LBB342_1888:                           ;   in Loop: Header=BB342_1066 Depth=1
	s_or_b32 exec_lo, exec_lo, s18
.LBB342_1889:                           ;   in Loop: Header=BB342_1066 Depth=1
	s_delay_alu instid0(SALU_CYCLE_1)
	s_or_b32 exec_lo, exec_lo, s17
.LBB342_1890:                           ;   in Loop: Header=BB342_1066 Depth=1
	s_delay_alu instid0(SALU_CYCLE_1) | instskip(SKIP_4) | instid1(VALU_DEP_3)
	s_or_b32 exec_lo, exec_lo, s16
	v_and_b32_e32 v6, 0xff, v37
	v_dual_mov_b32 v22, v37 :: v_dual_mov_b32 v5, 0
	v_mov_b32_e32 v4, 0
	s_mov_b32 s16, exec_lo
	v_cmpx_ne_u16_e32 0, v6
	s_cbranch_execz .LBB342_1898
; %bb.1891:                             ;   in Loop: Header=BB342_1066 Depth=1
	v_bfrev_b32_e32 v4, 1
	s_mov_b32 s17, exec_lo
	v_cmpx_ne_u16_e32 0x80, v6
	s_cbranch_execz .LBB342_1897
; %bb.1892:                             ;   in Loop: Header=BB342_1066 Depth=1
	v_and_b32_e32 v6, 0x7f, v37
	v_mov_b32_e32 v4, 0x7f800001
	s_mov_b32 s18, exec_lo
	s_delay_alu instid0(VALU_DEP_2)
	v_cmpx_ne_u32_e32 0x7f, v6
	s_cbranch_execz .LBB342_1896
; %bb.1893:                             ;   in Loop: Header=BB342_1066 Depth=1
	v_mov_b64_e32 v[38:39], v[22:23]
	v_lshrrev_b32_e32 v4, 3, v6
	s_mov_b32 s19, exec_lo
	v_cmpx_gt_u32_e32 8, v6
; %bb.1894:                             ;   in Loop: Header=BB342_1066 Depth=1
	v_and_b32_e32 v4, 7, v37
	s_delay_alu instid0(VALU_DEP_1) | instskip(NEXT) | instid1(VALU_DEP_1)
	v_clz_i32_u32_e32 v4, v4
	v_min_u32_e32 v4, 32, v4
	s_delay_alu instid0(VALU_DEP_1) | instskip(SKIP_1) | instid1(VALU_DEP_2)
	v_subrev_nc_u32_e32 v6, 28, v4
	v_sub_nc_u32_e32 v4, 29, v4
	v_lshlrev_b64_e32 v[38:39], v6, v[22:23]
; %bb.1895:                             ;   in Loop: Header=BB342_1066 Depth=1
	s_or_b32 exec_lo, exec_lo, s19
	s_delay_alu instid0(VALU_DEP_1) | instskip(SKIP_2) | instid1(VALU_DEP_3)
	v_lshlrev_b32_e32 v6, 20, v38
	v_lshlrev_b32_e32 v7, 24, v22
	v_lshl_add_u32 v4, v4, 23, 0x3c000000
	v_and_b32_e32 v6, 0x700000, v6
	s_delay_alu instid0(VALU_DEP_3) | instskip(NEXT) | instid1(VALU_DEP_1)
	v_and_b32_e32 v7, 0x80000000, v7
	v_or3_b32 v4, v6, v7, v4
.LBB342_1896:                           ;   in Loop: Header=BB342_1066 Depth=1
	s_or_b32 exec_lo, exec_lo, s18
.LBB342_1897:                           ;   in Loop: Header=BB342_1066 Depth=1
	s_delay_alu instid0(SALU_CYCLE_1)
	s_or_b32 exec_lo, exec_lo, s17
.LBB342_1898:                           ;   in Loop: Header=BB342_1066 Depth=1
	s_delay_alu instid0(SALU_CYCLE_1) | instskip(SKIP_2) | instid1(VALU_DEP_1)
	s_or_b32 exec_lo, exec_lo, s16
	v_lshrrev_b16 v6, 8, v22
	s_mov_b32 s16, exec_lo
	v_cmpx_ne_u16_e32 0, v6
	s_cbranch_execz .LBB342_1906
; %bb.1899:                             ;   in Loop: Header=BB342_1066 Depth=1
	v_bfrev_b32_e32 v5, 1
	s_mov_b32 s17, exec_lo
	v_cmpx_ne_u16_e32 0x80, v6
	s_cbranch_execz .LBB342_1905
; %bb.1900:                             ;   in Loop: Header=BB342_1066 Depth=1
	v_and_b32_e32 v7, 0xffff, v6
	v_mov_b32_e32 v5, 0x7f800001
	s_mov_b32 s18, exec_lo
	s_delay_alu instid0(VALU_DEP_2) | instskip(NEXT) | instid1(VALU_DEP_1)
	v_and_b32_e32 v6, 0x7f, v7
	v_cmpx_ne_u32_e32 0x7f, v6
	s_cbranch_execz .LBB342_1904
; %bb.1901:                             ;   in Loop: Header=BB342_1066 Depth=1
	v_dual_mov_b32 v39, v23 :: v_dual_bitop2_b32 v38, 7, v7 bitop3:0x40
	v_lshrrev_b32_e32 v5, 3, v6
	s_mov_b32 s19, exec_lo
	v_cmpx_gt_u32_e32 8, v6
; %bb.1902:                             ;   in Loop: Header=BB342_1066 Depth=1
	s_delay_alu instid0(VALU_DEP_3) | instskip(NEXT) | instid1(VALU_DEP_1)
	v_clz_i32_u32_e32 v5, v38
	v_min_u32_e32 v5, 32, v5
	s_delay_alu instid0(VALU_DEP_1) | instskip(NEXT) | instid1(VALU_DEP_1)
	v_subrev_nc_u32_e32 v6, 28, v5
	v_lshlrev_b64_e32 v[6:7], v6, v[38:39]
	s_delay_alu instid0(VALU_DEP_1)
	v_dual_sub_nc_u32 v5, 29, v5 :: v_dual_bitop2_b32 v38, 7, v6 bitop3:0x40
; %bb.1903:                             ;   in Loop: Header=BB342_1066 Depth=1
	s_or_b32 exec_lo, exec_lo, s19
	v_lshlrev_b32_e32 v6, 16, v22
	s_delay_alu instid0(VALU_DEP_2) | instskip(NEXT) | instid1(VALU_DEP_3)
	v_lshlrev_b32_e32 v7, 20, v38
	v_lshl_add_u32 v5, v5, 23, 0x3c000000
	s_delay_alu instid0(VALU_DEP_3) | instskip(NEXT) | instid1(VALU_DEP_1)
	v_and_b32_e32 v6, 0x80000000, v6
	v_or3_b32 v5, v7, v6, v5
.LBB342_1904:                           ;   in Loop: Header=BB342_1066 Depth=1
	s_or_b32 exec_lo, exec_lo, s18
.LBB342_1905:                           ;   in Loop: Header=BB342_1066 Depth=1
	s_delay_alu instid0(SALU_CYCLE_1)
	s_or_b32 exec_lo, exec_lo, s17
.LBB342_1906:                           ;   in Loop: Header=BB342_1066 Depth=1
	s_delay_alu instid0(SALU_CYCLE_1) | instskip(SKIP_3) | instid1(VALU_DEP_2)
	s_or_b32 exec_lo, exec_lo, s16
	v_dual_lshrrev_b32 v6, 16, v37 :: v_dual_mov_b32 v8, 0
	v_mov_b32_e32 v9, 0
	s_mov_b32 s16, exec_lo
	v_and_b32_e32 v7, 0xff, v6
	s_delay_alu instid0(VALU_DEP_1)
	v_cmpx_ne_u16_e32 0, v7
	s_cbranch_execz .LBB342_1914
; %bb.1907:                             ;   in Loop: Header=BB342_1066 Depth=1
	v_bfrev_b32_e32 v9, 1
	s_mov_b32 s17, exec_lo
	v_cmpx_ne_u16_e32 0x80, v7
	s_cbranch_execz .LBB342_1913
; %bb.1908:                             ;   in Loop: Header=BB342_1066 Depth=1
	v_bfe_u32 v18, v37, 16, 7
	v_mov_b32_e32 v9, 0x7f800001
	s_mov_b32 s18, exec_lo
	s_delay_alu instid0(VALU_DEP_2)
	v_cmpx_ne_u32_e32 0x7f, v18
	s_cbranch_execz .LBB342_1912
; %bb.1909:                             ;   in Loop: Header=BB342_1066 Depth=1
	v_and_b32_e32 v22, 7, v6
	v_lshrrev_b32_e32 v7, 3, v18
	s_mov_b32 s19, exec_lo
	s_delay_alu instid0(VALU_DEP_2)
	v_mov_b64_e32 v[38:39], v[22:23]
	v_cmpx_gt_u32_e32 8, v18
; %bb.1910:                             ;   in Loop: Header=BB342_1066 Depth=1
	v_clz_i32_u32_e32 v7, v22
	s_delay_alu instid0(VALU_DEP_1) | instskip(NEXT) | instid1(VALU_DEP_1)
	v_min_u32_e32 v7, 32, v7
	v_subrev_nc_u32_e32 v9, 28, v7
	s_delay_alu instid0(VALU_DEP_1) | instskip(NEXT) | instid1(VALU_DEP_1)
	v_lshlrev_b64_e32 v[38:39], v9, v[22:23]
	v_dual_sub_nc_u32 v7, 29, v7 :: v_dual_bitop2_b32 v38, 7, v38 bitop3:0x40
; %bb.1911:                             ;   in Loop: Header=BB342_1066 Depth=1
	s_or_b32 exec_lo, exec_lo, s19
	v_lshlrev_b32_e32 v6, 24, v6
	s_delay_alu instid0(VALU_DEP_2) | instskip(NEXT) | instid1(VALU_DEP_3)
	v_lshlrev_b32_e32 v9, 20, v38
	v_lshl_add_u32 v7, v7, 23, 0x3c000000
	s_delay_alu instid0(VALU_DEP_3) | instskip(NEXT) | instid1(VALU_DEP_1)
	v_and_b32_e32 v6, 0x80000000, v6
	v_or3_b32 v9, v9, v6, v7
.LBB342_1912:                           ;   in Loop: Header=BB342_1066 Depth=1
	s_or_b32 exec_lo, exec_lo, s18
.LBB342_1913:                           ;   in Loop: Header=BB342_1066 Depth=1
	s_delay_alu instid0(SALU_CYCLE_1)
	s_or_b32 exec_lo, exec_lo, s17
.LBB342_1914:                           ;   in Loop: Header=BB342_1066 Depth=1
	s_delay_alu instid0(SALU_CYCLE_1) | instskip(NEXT) | instid1(SALU_CYCLE_1)
	s_or_b32 exec_lo, exec_lo, s16
	s_mov_b32 s16, exec_lo
	v_cmpx_lt_u64_e64 s[2:3], v[36:37]
	s_cbranch_execz .LBB342_1922
; %bb.1915:                             ;   in Loop: Header=BB342_1066 Depth=1
	v_lshrrev_b32_e32 v6, 24, v37
	v_bfrev_b32_e32 v8, 1
	s_mov_b32 s17, exec_lo
	s_delay_alu instid0(VALU_DEP_2)
	v_cmpx_ne_u32_e32 0x80, v6
	s_cbranch_execz .LBB342_1921
; %bb.1916:                             ;   in Loop: Header=BB342_1066 Depth=1
	v_bfe_u32 v18, v37, 24, 7
	v_mov_b32_e32 v8, 0x7f800001
	s_mov_b32 s18, exec_lo
	s_delay_alu instid0(VALU_DEP_2)
	v_cmpx_ne_u32_e32 0x7f, v18
	s_cbranch_execz .LBB342_1920
; %bb.1917:                             ;   in Loop: Header=BB342_1066 Depth=1
	v_and_b32_e32 v22, 7, v6
	v_lshrrev_b32_e32 v7, 3, v18
	s_mov_b32 s19, exec_lo
	s_delay_alu instid0(VALU_DEP_2)
	v_mov_b64_e32 v[36:37], v[22:23]
	v_cmpx_gt_u32_e32 8, v18
; %bb.1918:                             ;   in Loop: Header=BB342_1066 Depth=1
	v_clz_i32_u32_e32 v7, v22
	s_delay_alu instid0(VALU_DEP_1) | instskip(NEXT) | instid1(VALU_DEP_1)
	v_min_u32_e32 v7, 32, v7
	v_subrev_nc_u32_e32 v8, 28, v7
	s_delay_alu instid0(VALU_DEP_1) | instskip(NEXT) | instid1(VALU_DEP_1)
	v_lshlrev_b64_e32 v[36:37], v8, v[22:23]
	v_dual_sub_nc_u32 v7, 29, v7 :: v_dual_bitop2_b32 v36, 7, v36 bitop3:0x40
; %bb.1919:                             ;   in Loop: Header=BB342_1066 Depth=1
	s_or_b32 exec_lo, exec_lo, s19
	s_delay_alu instid0(VALU_DEP_1) | instskip(NEXT) | instid1(VALU_DEP_2)
	v_dual_lshlrev_b32 v6, 24, v6 :: v_dual_lshlrev_b32 v8, 20, v36
	v_lshl_add_u32 v7, v7, 23, 0x3c000000
	s_delay_alu instid0(VALU_DEP_2) | instskip(NEXT) | instid1(VALU_DEP_1)
	v_and_b32_e32 v6, 0x80000000, v6
	v_or3_b32 v8, v8, v6, v7
.LBB342_1920:                           ;   in Loop: Header=BB342_1066 Depth=1
	s_or_b32 exec_lo, exec_lo, s18
.LBB342_1921:                           ;   in Loop: Header=BB342_1066 Depth=1
	s_delay_alu instid0(SALU_CYCLE_1)
	s_or_b32 exec_lo, exec_lo, s17
.LBB342_1922:                           ;   in Loop: Header=BB342_1066 Depth=1
	s_delay_alu instid0(SALU_CYCLE_1)
	s_or_b32 exec_lo, exec_lo, s16
	v_fma_mixlo_bf16 v97, v55, v5, 0
	v_fma_mixlo_bf16 v98, v55, v4, 0
	v_fma_mixlo_bf16 v4, v55, v3, 0
	v_fma_mixlo_bf16 v5, v55, v2, 0
	v_fma_mixlo_bf16 v6, v55, v1, 0
	v_fma_mixlo_bf16 v7, v55, v0, 0
	v_fma_mixlo_bf16 v2, v55, v9, 0
	v_fma_mixlo_bf16 v3, v55, v8, 0
	s_and_saveexec_b32 s16, vcc_lo
	s_cbranch_execz .LBB342_1924
; %bb.1923:                             ;   in Loop: Header=BB342_1066 Depth=1
	v_cmp_lt_i32_e64 s1, v102, v52
	s_delay_alu instid0(VALU_DEP_1) | instskip(SKIP_1) | instid1(VALU_DEP_1)
	v_cndmask_b32_e64 v7, 0, v7, s1
	v_cmp_lt_i32_e64 s1, v114, v52
	v_cndmask_b32_e64 v6, 0, v6, s1
	v_cmp_lt_i32_e64 s1, v113, v52
	s_delay_alu instid0(VALU_DEP_1) | instskip(SKIP_1) | instid1(VALU_DEP_1)
	v_cndmask_b32_e64 v5, 0, v5, s1
	v_cmp_lt_i32_e64 s1, v112, v52
	v_cndmask_b32_e64 v4, 0, v4, s1
	v_cmp_lt_i32_e64 s1, v103, v52
	s_delay_alu instid0(VALU_DEP_1) | instskip(SKIP_1) | instid1(VALU_DEP_1)
	v_cndmask_b32_e64 v98, 0, v98, s1
	v_cmp_lt_i32_e64 s1, v101, v52
	v_cndmask_b32_e64 v97, 0, v97, s1
	v_cmp_lt_i32_e64 s1, v100, v52
	s_delay_alu instid0(VALU_DEP_1) | instskip(SKIP_1) | instid1(VALU_DEP_1)
	v_cndmask_b32_e64 v2, 0, v2, s1
	v_cmp_lt_i32_e64 s1, v64, v52
	v_cndmask_b32_e64 v3, 0, v3, s1
.LBB342_1924:                           ;   in Loop: Header=BB342_1066 Depth=1
	s_or_b32 exec_lo, exec_lo, s16
	flat_load_b64 v[36:37], v[34:35] offset:3328
	v_dual_mov_b32 v9, 0 :: v_dual_mov_b32 v8, 0
	s_mov_b32 s16, exec_lo
	s_wait_loadcnt_dscnt 0x0
	v_and_b32_e32 v0, 0xff, v36
	s_wait_xcnt 0x0
	s_delay_alu instid0(VALU_DEP_1)
	v_cmpx_ne_u16_e32 0, v0
	s_cbranch_execz .LBB342_1932
; %bb.1925:                             ;   in Loop: Header=BB342_1066 Depth=1
	v_bfrev_b32_e32 v8, 1
	s_mov_b32 s17, exec_lo
	v_cmpx_ne_u16_e32 0x80, v0
	s_cbranch_execz .LBB342_1931
; %bb.1926:                             ;   in Loop: Header=BB342_1066 Depth=1
	v_and_b32_e32 v1, 0x7f, v36
	v_mov_b32_e32 v8, 0x7f800001
	s_mov_b32 s18, exec_lo
	s_delay_alu instid0(VALU_DEP_2)
	v_cmpx_ne_u32_e32 0x7f, v1
	s_cbranch_execz .LBB342_1930
; %bb.1927:                             ;   in Loop: Header=BB342_1066 Depth=1
	v_mov_b64_e32 v[38:39], v[36:37]
	v_lshrrev_b32_e32 v0, 3, v1
	s_mov_b32 s19, exec_lo
	v_cmpx_gt_u32_e32 8, v1
; %bb.1928:                             ;   in Loop: Header=BB342_1066 Depth=1
	v_and_b32_e32 v0, 7, v36
	s_delay_alu instid0(VALU_DEP_1) | instskip(NEXT) | instid1(VALU_DEP_1)
	v_clz_i32_u32_e32 v0, v0
	v_min_u32_e32 v0, 32, v0
	s_delay_alu instid0(VALU_DEP_1) | instskip(SKIP_1) | instid1(VALU_DEP_2)
	v_subrev_nc_u32_e32 v1, 28, v0
	v_sub_nc_u32_e32 v0, 29, v0
	v_lshlrev_b64_e32 v[38:39], v1, v[36:37]
; %bb.1929:                             ;   in Loop: Header=BB342_1066 Depth=1
	s_or_b32 exec_lo, exec_lo, s19
	s_delay_alu instid0(VALU_DEP_1) | instskip(NEXT) | instid1(VALU_DEP_3)
	v_dual_lshlrev_b32 v1, 20, v38 :: v_dual_lshlrev_b32 v8, 24, v36
	v_lshl_add_u32 v0, v0, 23, 0x3c000000
	s_delay_alu instid0(VALU_DEP_2) | instskip(NEXT) | instid1(VALU_DEP_3)
	v_and_b32_e32 v1, 0x700000, v1
	v_and_b32_e32 v8, 0x80000000, v8
	s_delay_alu instid0(VALU_DEP_1)
	v_or3_b32 v8, v1, v8, v0
.LBB342_1930:                           ;   in Loop: Header=BB342_1066 Depth=1
	s_or_b32 exec_lo, exec_lo, s18
.LBB342_1931:                           ;   in Loop: Header=BB342_1066 Depth=1
	s_delay_alu instid0(SALU_CYCLE_1)
	s_or_b32 exec_lo, exec_lo, s17
.LBB342_1932:                           ;   in Loop: Header=BB342_1066 Depth=1
	s_delay_alu instid0(SALU_CYCLE_1) | instskip(SKIP_2) | instid1(VALU_DEP_1)
	s_or_b32 exec_lo, exec_lo, s16
	v_lshrrev_b16 v0, 8, v36
	s_mov_b32 s16, exec_lo
	v_cmpx_ne_u16_e32 0, v0
	s_cbranch_execz .LBB342_1940
; %bb.1933:                             ;   in Loop: Header=BB342_1066 Depth=1
	v_bfrev_b32_e32 v9, 1
	s_mov_b32 s17, exec_lo
	v_cmpx_ne_u16_e32 0x80, v0
	s_cbranch_execz .LBB342_1939
; %bb.1934:                             ;   in Loop: Header=BB342_1066 Depth=1
	v_and_b32_e32 v0, 0xffff, v0
	v_mov_b32_e32 v9, 0x7f800001
	s_mov_b32 s18, exec_lo
	s_delay_alu instid0(VALU_DEP_2) | instskip(NEXT) | instid1(VALU_DEP_1)
	v_and_b32_e32 v1, 0x7f, v0
	v_cmpx_ne_u32_e32 0x7f, v1
	s_cbranch_execz .LBB342_1938
; %bb.1935:                             ;   in Loop: Header=BB342_1066 Depth=1
	v_dual_lshrrev_b32 v0, 3, v1 :: v_dual_bitop2_b32 v22, 7, v0 bitop3:0x40
	s_mov_b32 s19, exec_lo
	s_delay_alu instid0(VALU_DEP_1)
	v_mov_b64_e32 v[38:39], v[22:23]
	v_cmpx_gt_u32_e32 8, v1
; %bb.1936:                             ;   in Loop: Header=BB342_1066 Depth=1
	v_clz_i32_u32_e32 v0, v22
	s_delay_alu instid0(VALU_DEP_1) | instskip(NEXT) | instid1(VALU_DEP_1)
	v_min_u32_e32 v0, 32, v0
	v_subrev_nc_u32_e32 v1, 28, v0
	s_delay_alu instid0(VALU_DEP_1) | instskip(NEXT) | instid1(VALU_DEP_1)
	v_lshlrev_b64_e32 v[38:39], v1, v[22:23]
	v_dual_sub_nc_u32 v0, 29, v0 :: v_dual_bitop2_b32 v38, 7, v38 bitop3:0x40
; %bb.1937:                             ;   in Loop: Header=BB342_1066 Depth=1
	s_or_b32 exec_lo, exec_lo, s19
	s_delay_alu instid0(VALU_DEP_1) | instskip(NEXT) | instid1(VALU_DEP_2)
	v_dual_lshlrev_b32 v1, 16, v36 :: v_dual_lshlrev_b32 v9, 20, v38
	v_lshl_add_u32 v0, v0, 23, 0x3c000000
	s_delay_alu instid0(VALU_DEP_2) | instskip(NEXT) | instid1(VALU_DEP_1)
	v_and_b32_e32 v1, 0x80000000, v1
	v_or3_b32 v9, v9, v1, v0
.LBB342_1938:                           ;   in Loop: Header=BB342_1066 Depth=1
	s_or_b32 exec_lo, exec_lo, s18
.LBB342_1939:                           ;   in Loop: Header=BB342_1066 Depth=1
	s_delay_alu instid0(SALU_CYCLE_1)
	s_or_b32 exec_lo, exec_lo, s17
.LBB342_1940:                           ;   in Loop: Header=BB342_1066 Depth=1
	s_delay_alu instid0(SALU_CYCLE_1) | instskip(SKIP_3) | instid1(VALU_DEP_2)
	s_or_b32 exec_lo, exec_lo, s16
	v_dual_lshrrev_b32 v0, 16, v36 :: v_dual_mov_b32 v48, 0
	v_mov_b32_e32 v18, 0
	s_mov_b32 s16, exec_lo
	v_and_b32_e32 v1, 0xff, v0
	s_delay_alu instid0(VALU_DEP_1)
	v_cmpx_ne_u16_e32 0, v1
	s_cbranch_execz .LBB342_1948
; %bb.1941:                             ;   in Loop: Header=BB342_1066 Depth=1
	v_bfrev_b32_e32 v18, 1
	s_mov_b32 s17, exec_lo
	v_cmpx_ne_u16_e32 0x80, v1
	s_cbranch_execz .LBB342_1947
; %bb.1942:                             ;   in Loop: Header=BB342_1066 Depth=1
	v_bfe_u32 v38, v36, 16, 7
	v_mov_b32_e32 v18, 0x7f800001
	s_mov_b32 s18, exec_lo
	s_delay_alu instid0(VALU_DEP_2)
	v_cmpx_ne_u32_e32 0x7f, v38
	s_cbranch_execz .LBB342_1946
; %bb.1943:                             ;   in Loop: Header=BB342_1066 Depth=1
	v_dual_lshrrev_b32 v1, 3, v38 :: v_dual_bitop2_b32 v22, 7, v0 bitop3:0x40
	v_cmp_gt_u32_e64 s1, 8, v38
	s_delay_alu instid0(VALU_DEP_2)
	v_mov_b64_e32 v[38:39], v[22:23]
	s_and_saveexec_b32 s19, s1
; %bb.1944:                             ;   in Loop: Header=BB342_1066 Depth=1
	v_clz_i32_u32_e32 v1, v22
	s_delay_alu instid0(VALU_DEP_1) | instskip(NEXT) | instid1(VALU_DEP_1)
	v_min_u32_e32 v1, 32, v1
	v_subrev_nc_u32_e32 v18, 28, v1
	s_delay_alu instid0(VALU_DEP_1) | instskip(NEXT) | instid1(VALU_DEP_1)
	v_lshlrev_b64_e32 v[38:39], v18, v[22:23]
	v_dual_sub_nc_u32 v1, 29, v1 :: v_dual_bitop2_b32 v38, 7, v38 bitop3:0x40
; %bb.1945:                             ;   in Loop: Header=BB342_1066 Depth=1
	s_or_b32 exec_lo, exec_lo, s19
	s_delay_alu instid0(VALU_DEP_1) | instskip(NEXT) | instid1(VALU_DEP_2)
	v_dual_lshlrev_b32 v0, 24, v0 :: v_dual_lshlrev_b32 v18, 20, v38
	v_lshl_add_u32 v1, v1, 23, 0x3c000000
	s_delay_alu instid0(VALU_DEP_2) | instskip(NEXT) | instid1(VALU_DEP_1)
	v_and_b32_e32 v0, 0x80000000, v0
	v_or3_b32 v18, v18, v0, v1
.LBB342_1946:                           ;   in Loop: Header=BB342_1066 Depth=1
	s_or_b32 exec_lo, exec_lo, s18
.LBB342_1947:                           ;   in Loop: Header=BB342_1066 Depth=1
	s_delay_alu instid0(SALU_CYCLE_1)
	s_or_b32 exec_lo, exec_lo, s17
.LBB342_1948:                           ;   in Loop: Header=BB342_1066 Depth=1
	s_delay_alu instid0(SALU_CYCLE_1) | instskip(NEXT) | instid1(SALU_CYCLE_1)
	s_or_b32 exec_lo, exec_lo, s16
	s_mov_b32 s16, exec_lo
	v_cmpx_lt_u32_e32 0xffffff, v36
	s_cbranch_execz .LBB342_1956
; %bb.1949:                             ;   in Loop: Header=BB342_1066 Depth=1
	v_lshrrev_b32_e32 v0, 24, v36
	v_bfrev_b32_e32 v48, 1
	s_mov_b32 s17, exec_lo
	s_delay_alu instid0(VALU_DEP_2)
	v_cmpx_ne_u32_e32 0x80, v0
	s_cbranch_execz .LBB342_1955
; %bb.1950:                             ;   in Loop: Header=BB342_1066 Depth=1
	v_bfe_u32 v38, v36, 24, 7
	v_mov_b32_e32 v48, 0x7f800001
	s_mov_b32 s18, exec_lo
	s_delay_alu instid0(VALU_DEP_2)
	v_cmpx_ne_u32_e32 0x7f, v38
	s_cbranch_execz .LBB342_1954
; %bb.1951:                             ;   in Loop: Header=BB342_1066 Depth=1
	v_dual_lshrrev_b32 v1, 3, v38 :: v_dual_bitop2_b32 v22, 7, v0 bitop3:0x40
	v_cmp_gt_u32_e64 s1, 8, v38
	s_delay_alu instid0(VALU_DEP_2)
	v_mov_b64_e32 v[38:39], v[22:23]
	s_and_saveexec_b32 s19, s1
; %bb.1952:                             ;   in Loop: Header=BB342_1066 Depth=1
	v_clz_i32_u32_e32 v1, v22
	s_delay_alu instid0(VALU_DEP_1) | instskip(NEXT) | instid1(VALU_DEP_1)
	v_min_u32_e32 v1, 32, v1
	v_subrev_nc_u32_e32 v38, 28, v1
	s_delay_alu instid0(VALU_DEP_1) | instskip(NEXT) | instid1(VALU_DEP_1)
	v_lshlrev_b64_e32 v[38:39], v38, v[22:23]
	v_dual_sub_nc_u32 v1, 29, v1 :: v_dual_bitop2_b32 v38, 7, v38 bitop3:0x40
; %bb.1953:                             ;   in Loop: Header=BB342_1066 Depth=1
	s_or_b32 exec_lo, exec_lo, s19
	s_delay_alu instid0(VALU_DEP_1) | instskip(NEXT) | instid1(VALU_DEP_2)
	v_dual_lshlrev_b32 v0, 24, v0 :: v_dual_lshlrev_b32 v22, 20, v38
	v_lshl_add_u32 v1, v1, 23, 0x3c000000
	s_delay_alu instid0(VALU_DEP_2) | instskip(NEXT) | instid1(VALU_DEP_1)
	v_and_b32_e32 v0, 0x80000000, v0
	v_or3_b32 v48, v22, v0, v1
.LBB342_1954:                           ;   in Loop: Header=BB342_1066 Depth=1
	s_or_b32 exec_lo, exec_lo, s18
.LBB342_1955:                           ;   in Loop: Header=BB342_1066 Depth=1
	s_delay_alu instid0(SALU_CYCLE_1)
	s_or_b32 exec_lo, exec_lo, s17
.LBB342_1956:                           ;   in Loop: Header=BB342_1066 Depth=1
	s_delay_alu instid0(SALU_CYCLE_1) | instskip(SKIP_4) | instid1(VALU_DEP_3)
	s_or_b32 exec_lo, exec_lo, s16
	v_and_b32_e32 v38, 0xff, v37
	v_dual_mov_b32 v22, v37 :: v_dual_mov_b32 v0, 0
	v_mov_b32_e32 v1, 0
	s_mov_b32 s16, exec_lo
	v_cmpx_ne_u16_e32 0, v38
	s_cbranch_execz .LBB342_1964
; %bb.1957:                             ;   in Loop: Header=BB342_1066 Depth=1
	v_bfrev_b32_e32 v1, 1
	s_mov_b32 s17, exec_lo
	v_cmpx_ne_u16_e32 0x80, v38
	s_cbranch_execz .LBB342_1963
; %bb.1958:                             ;   in Loop: Header=BB342_1066 Depth=1
	v_and_b32_e32 v38, 0x7f, v37
	v_mov_b32_e32 v1, 0x7f800001
	s_mov_b32 s18, exec_lo
	s_delay_alu instid0(VALU_DEP_2)
	v_cmpx_ne_u32_e32 0x7f, v38
	s_cbranch_execz .LBB342_1962
; %bb.1959:                             ;   in Loop: Header=BB342_1066 Depth=1
	v_lshrrev_b32_e32 v1, 3, v38
	v_cmp_gt_u32_e64 s1, 8, v38
	v_mov_b64_e32 v[38:39], v[22:23]
	s_and_saveexec_b32 s19, s1
; %bb.1960:                             ;   in Loop: Header=BB342_1066 Depth=1
	v_and_b32_e32 v1, 7, v37
	s_delay_alu instid0(VALU_DEP_1) | instskip(NEXT) | instid1(VALU_DEP_1)
	v_clz_i32_u32_e32 v1, v1
	v_min_u32_e32 v1, 32, v1
	s_delay_alu instid0(VALU_DEP_1) | instskip(SKIP_1) | instid1(VALU_DEP_2)
	v_subrev_nc_u32_e32 v38, 28, v1
	v_sub_nc_u32_e32 v1, 29, v1
	v_lshlrev_b64_e32 v[38:39], v38, v[22:23]
; %bb.1961:                             ;   in Loop: Header=BB342_1066 Depth=1
	s_or_b32 exec_lo, exec_lo, s19
	s_delay_alu instid0(VALU_DEP_1) | instskip(SKIP_2) | instid1(VALU_DEP_3)
	v_lshlrev_b32_e32 v38, 20, v38
	v_lshlrev_b32_e32 v39, 24, v22
	v_lshl_add_u32 v1, v1, 23, 0x3c000000
	v_and_b32_e32 v38, 0x700000, v38
	s_delay_alu instid0(VALU_DEP_3) | instskip(NEXT) | instid1(VALU_DEP_1)
	v_and_b32_e32 v39, 0x80000000, v39
	v_or3_b32 v1, v38, v39, v1
.LBB342_1962:                           ;   in Loop: Header=BB342_1066 Depth=1
	s_or_b32 exec_lo, exec_lo, s18
.LBB342_1963:                           ;   in Loop: Header=BB342_1066 Depth=1
	s_delay_alu instid0(SALU_CYCLE_1)
	s_or_b32 exec_lo, exec_lo, s17
.LBB342_1964:                           ;   in Loop: Header=BB342_1066 Depth=1
	s_delay_alu instid0(SALU_CYCLE_1) | instskip(SKIP_2) | instid1(VALU_DEP_1)
	s_or_b32 exec_lo, exec_lo, s16
	v_lshrrev_b16 v38, 8, v22
	s_mov_b32 s16, exec_lo
	v_cmpx_ne_u16_e32 0, v38
	s_cbranch_execz .LBB342_1972
; %bb.1965:                             ;   in Loop: Header=BB342_1066 Depth=1
	v_bfrev_b32_e32 v0, 1
	s_mov_b32 s17, exec_lo
	v_cmpx_ne_u16_e32 0x80, v38
	s_cbranch_execz .LBB342_1971
; %bb.1966:                             ;   in Loop: Header=BB342_1066 Depth=1
	v_and_b32_e32 v38, 0xffff, v38
	v_mov_b32_e32 v0, 0x7f800001
	s_mov_b32 s18, exec_lo
	s_delay_alu instid0(VALU_DEP_2) | instskip(NEXT) | instid1(VALU_DEP_1)
	v_and_b32_e32 v49, 0x7f, v38
	v_cmpx_ne_u32_e32 0x7f, v49
	s_cbranch_execz .LBB342_1970
; %bb.1967:                             ;   in Loop: Header=BB342_1066 Depth=1
	v_dual_mov_b32 v39, v23 :: v_dual_bitop2_b32 v38, 7, v38 bitop3:0x40
	v_lshrrev_b32_e32 v0, 3, v49
	s_mov_b32 s19, exec_lo
	v_cmpx_gt_u32_e32 8, v49
; %bb.1968:                             ;   in Loop: Header=BB342_1066 Depth=1
	s_delay_alu instid0(VALU_DEP_3) | instskip(NEXT) | instid1(VALU_DEP_1)
	v_clz_i32_u32_e32 v0, v38
	v_min_u32_e32 v0, 32, v0
	s_delay_alu instid0(VALU_DEP_1) | instskip(NEXT) | instid1(VALU_DEP_1)
	v_subrev_nc_u32_e32 v49, 28, v0
	v_lshlrev_b64_e32 v[38:39], v49, v[38:39]
	s_delay_alu instid0(VALU_DEP_1)
	v_dual_sub_nc_u32 v0, 29, v0 :: v_dual_bitop2_b32 v38, 7, v38 bitop3:0x40
; %bb.1969:                             ;   in Loop: Header=BB342_1066 Depth=1
	s_or_b32 exec_lo, exec_lo, s19
	v_lshlrev_b32_e32 v22, 16, v22
	s_delay_alu instid0(VALU_DEP_2) | instskip(NEXT) | instid1(VALU_DEP_3)
	v_lshlrev_b32_e32 v38, 20, v38
	v_lshl_add_u32 v0, v0, 23, 0x3c000000
	s_delay_alu instid0(VALU_DEP_3) | instskip(NEXT) | instid1(VALU_DEP_1)
	v_and_b32_e32 v22, 0x80000000, v22
	v_or3_b32 v0, v38, v22, v0
.LBB342_1970:                           ;   in Loop: Header=BB342_1066 Depth=1
	s_or_b32 exec_lo, exec_lo, s18
.LBB342_1971:                           ;   in Loop: Header=BB342_1066 Depth=1
	s_delay_alu instid0(SALU_CYCLE_1)
	s_or_b32 exec_lo, exec_lo, s17
.LBB342_1972:                           ;   in Loop: Header=BB342_1066 Depth=1
	s_delay_alu instid0(SALU_CYCLE_1) | instskip(SKIP_3) | instid1(VALU_DEP_2)
	s_or_b32 exec_lo, exec_lo, s16
	v_dual_lshrrev_b32 v49, 16, v37 :: v_dual_mov_b32 v115, 0
	v_mov_b32_e32 v38, 0
	s_mov_b32 s16, exec_lo
	v_and_b32_e32 v22, 0xff, v49
	s_delay_alu instid0(VALU_DEP_1)
	v_cmpx_ne_u16_e32 0, v22
	s_cbranch_execz .LBB342_1980
; %bb.1973:                             ;   in Loop: Header=BB342_1066 Depth=1
	v_bfrev_b32_e32 v38, 1
	s_mov_b32 s17, exec_lo
	v_cmpx_ne_u16_e32 0x80, v22
	s_cbranch_execz .LBB342_1979
; %bb.1974:                             ;   in Loop: Header=BB342_1066 Depth=1
	v_bfe_u32 v39, v37, 16, 7
	v_mov_b32_e32 v38, 0x7f800001
	s_mov_b32 s18, exec_lo
	s_delay_alu instid0(VALU_DEP_2)
	v_cmpx_ne_u32_e32 0x7f, v39
	s_cbranch_execz .LBB342_1978
; %bb.1975:                             ;   in Loop: Header=BB342_1066 Depth=1
	v_dual_lshrrev_b32 v50, 3, v39 :: v_dual_bitop2_b32 v22, 7, v49 bitop3:0x40
	v_cmp_gt_u32_e64 s1, 8, v39
	s_delay_alu instid0(VALU_DEP_2)
	v_mov_b64_e32 v[38:39], v[22:23]
	s_and_saveexec_b32 s19, s1
; %bb.1976:                             ;   in Loop: Header=BB342_1066 Depth=1
	v_clz_i32_u32_e32 v38, v22
	s_delay_alu instid0(VALU_DEP_1) | instskip(NEXT) | instid1(VALU_DEP_1)
	v_min_u32_e32 v50, 32, v38
	v_subrev_nc_u32_e32 v38, 28, v50
	v_sub_nc_u32_e32 v50, 29, v50
	s_delay_alu instid0(VALU_DEP_2) | instskip(NEXT) | instid1(VALU_DEP_1)
	v_lshlrev_b64_e32 v[38:39], v38, v[22:23]
	v_and_b32_e32 v38, 7, v38
; %bb.1977:                             ;   in Loop: Header=BB342_1066 Depth=1
	s_or_b32 exec_lo, exec_lo, s19
	s_delay_alu instid0(VALU_DEP_1) | instskip(SKIP_1) | instid1(VALU_DEP_2)
	v_dual_lshlrev_b32 v22, 24, v49 :: v_dual_lshlrev_b32 v38, 20, v38
	v_lshl_add_u32 v39, v50, 23, 0x3c000000
	v_and_b32_e32 v22, 0x80000000, v22
	s_delay_alu instid0(VALU_DEP_1)
	v_or3_b32 v38, v38, v22, v39
.LBB342_1978:                           ;   in Loop: Header=BB342_1066 Depth=1
	s_or_b32 exec_lo, exec_lo, s18
.LBB342_1979:                           ;   in Loop: Header=BB342_1066 Depth=1
	s_delay_alu instid0(SALU_CYCLE_1)
	s_or_b32 exec_lo, exec_lo, s17
.LBB342_1980:                           ;   in Loop: Header=BB342_1066 Depth=1
	s_delay_alu instid0(SALU_CYCLE_1) | instskip(NEXT) | instid1(SALU_CYCLE_1)
	s_or_b32 exec_lo, exec_lo, s16
	s_mov_b32 s16, exec_lo
	v_cmpx_lt_u64_e64 s[2:3], v[36:37]
	s_cbranch_execz .LBB342_1988
; %bb.1981:                             ;   in Loop: Header=BB342_1066 Depth=1
	v_lshrrev_b32_e32 v39, 24, v37
	v_bfrev_b32_e32 v115, 1
	s_mov_b32 s17, exec_lo
	s_delay_alu instid0(VALU_DEP_2)
	v_cmpx_ne_u32_e32 0x80, v39
	s_cbranch_execz .LBB342_1987
; %bb.1982:                             ;   in Loop: Header=BB342_1066 Depth=1
	v_bfe_u32 v36, v37, 24, 7
	v_mov_b32_e32 v115, 0x7f800001
	s_mov_b32 s18, exec_lo
	s_delay_alu instid0(VALU_DEP_2)
	v_cmpx_ne_u32_e32 0x7f, v36
	s_cbranch_execz .LBB342_1986
; %bb.1983:                             ;   in Loop: Header=BB342_1066 Depth=1
	v_dual_lshrrev_b32 v49, 3, v36 :: v_dual_bitop2_b32 v22, 7, v39 bitop3:0x40
	v_cmp_gt_u32_e64 s1, 8, v36
	s_delay_alu instid0(VALU_DEP_2)
	v_mov_b64_e32 v[36:37], v[22:23]
	s_and_saveexec_b32 s19, s1
; %bb.1984:                             ;   in Loop: Header=BB342_1066 Depth=1
	v_clz_i32_u32_e32 v36, v22
	s_delay_alu instid0(VALU_DEP_1) | instskip(NEXT) | instid1(VALU_DEP_1)
	v_min_u32_e32 v49, 32, v36
	v_subrev_nc_u32_e32 v36, 28, v49
	s_delay_alu instid0(VALU_DEP_1) | instskip(NEXT) | instid1(VALU_DEP_1)
	v_lshlrev_b64_e32 v[36:37], v36, v[22:23]
	v_dual_sub_nc_u32 v49, 29, v49 :: v_dual_bitop2_b32 v36, 7, v36 bitop3:0x40
; %bb.1985:                             ;   in Loop: Header=BB342_1066 Depth=1
	s_or_b32 exec_lo, exec_lo, s19
	s_delay_alu instid0(VALU_DEP_1) | instskip(NEXT) | instid1(VALU_DEP_2)
	v_dual_lshlrev_b32 v22, 24, v39 :: v_dual_lshlrev_b32 v36, 20, v36
	v_lshl_add_u32 v37, v49, 23, 0x3c000000
	s_delay_alu instid0(VALU_DEP_2) | instskip(NEXT) | instid1(VALU_DEP_1)
	v_and_b32_e32 v22, 0x80000000, v22
	v_or3_b32 v115, v36, v22, v37
.LBB342_1986:                           ;   in Loop: Header=BB342_1066 Depth=1
	s_or_b32 exec_lo, exec_lo, s18
.LBB342_1987:                           ;   in Loop: Header=BB342_1066 Depth=1
	s_delay_alu instid0(SALU_CYCLE_1)
	s_or_b32 exec_lo, exec_lo, s17
.LBB342_1988:                           ;   in Loop: Header=BB342_1066 Depth=1
	s_delay_alu instid0(SALU_CYCLE_1)
	s_or_b32 exec_lo, exec_lo, s16
	v_fma_mixlo_bf16 v0, v55, v0, 0
	v_fma_mixlo_bf16 v1, v55, v1, 0
	;; [unrolled: 1-line block ×8, first 2 shown]
	s_and_saveexec_b32 s16, vcc_lo
	s_cbranch_execz .LBB342_1990
; %bb.1989:                             ;   in Loop: Header=BB342_1066 Depth=1
	v_cmp_lt_i32_e64 s1, v102, v52
	s_delay_alu instid0(VALU_DEP_1) | instskip(SKIP_1) | instid1(VALU_DEP_1)
	v_cndmask_b32_e64 v99, 0, v99, s1
	v_cmp_lt_i32_e64 s1, v114, v52
	v_cndmask_b32_e64 v51, 0, v51, s1
	v_cmp_lt_i32_e64 s1, v113, v52
	s_delay_alu instid0(VALU_DEP_1) | instskip(SKIP_1) | instid1(VALU_DEP_1)
	v_cndmask_b32_e64 v50, 0, v50, s1
	v_cmp_lt_i32_e64 s1, v112, v52
	v_cndmask_b32_e64 v49, 0, v49, s1
	;; [unrolled: 5-line block ×4, first 2 shown]
.LBB342_1990:                           ;   in Loop: Header=BB342_1066 Depth=1
	s_or_b32 exec_lo, exec_lo, s16
	flat_load_b64 v[36:37], v[34:35] offset:3584
	v_dual_mov_b32 v9, 0 :: v_dual_mov_b32 v8, 0
	s_mov_b32 s16, exec_lo
	s_wait_loadcnt_dscnt 0x0
	v_and_b32_e32 v22, 0xff, v36
	s_wait_xcnt 0x0
	s_delay_alu instid0(VALU_DEP_1)
	v_cmpx_ne_u16_e32 0, v22
	s_cbranch_execz .LBB342_1998
; %bb.1991:                             ;   in Loop: Header=BB342_1066 Depth=1
	v_bfrev_b32_e32 v8, 1
	s_mov_b32 s17, exec_lo
	v_cmpx_ne_u16_e32 0x80, v22
	s_cbranch_execz .LBB342_1997
; %bb.1992:                             ;   in Loop: Header=BB342_1066 Depth=1
	v_and_b32_e32 v22, 0x7f, v36
	v_mov_b32_e32 v8, 0x7f800001
	s_mov_b32 s18, exec_lo
	s_delay_alu instid0(VALU_DEP_2)
	v_cmpx_ne_u32_e32 0x7f, v22
	s_cbranch_execz .LBB342_1996
; %bb.1993:                             ;   in Loop: Header=BB342_1066 Depth=1
	v_mov_b64_e32 v[38:39], v[36:37]
	v_lshrrev_b32_e32 v8, 3, v22
	s_mov_b32 s19, exec_lo
	v_cmpx_gt_u32_e32 8, v22
; %bb.1994:                             ;   in Loop: Header=BB342_1066 Depth=1
	v_and_b32_e32 v8, 7, v36
	s_delay_alu instid0(VALU_DEP_1) | instskip(NEXT) | instid1(VALU_DEP_1)
	v_clz_i32_u32_e32 v8, v8
	v_min_u32_e32 v8, 32, v8
	s_delay_alu instid0(VALU_DEP_1) | instskip(SKIP_1) | instid1(VALU_DEP_2)
	v_subrev_nc_u32_e32 v22, 28, v8
	v_sub_nc_u32_e32 v8, 29, v8
	v_lshlrev_b64_e32 v[38:39], v22, v[36:37]
; %bb.1995:                             ;   in Loop: Header=BB342_1066 Depth=1
	s_or_b32 exec_lo, exec_lo, s19
	s_delay_alu instid0(VALU_DEP_1) | instskip(NEXT) | instid1(VALU_DEP_3)
	v_dual_lshlrev_b32 v22, 20, v38 :: v_dual_lshlrev_b32 v38, 24, v36
	v_lshl_add_u32 v8, v8, 23, 0x3c000000
	s_delay_alu instid0(VALU_DEP_2) | instskip(NEXT) | instid1(VALU_DEP_3)
	v_and_b32_e32 v22, 0x700000, v22
	v_and_b32_e32 v38, 0x80000000, v38
	s_delay_alu instid0(VALU_DEP_1)
	v_or3_b32 v8, v22, v38, v8
.LBB342_1996:                           ;   in Loop: Header=BB342_1066 Depth=1
	s_or_b32 exec_lo, exec_lo, s18
.LBB342_1997:                           ;   in Loop: Header=BB342_1066 Depth=1
	s_delay_alu instid0(SALU_CYCLE_1)
	s_or_b32 exec_lo, exec_lo, s17
.LBB342_1998:                           ;   in Loop: Header=BB342_1066 Depth=1
	s_delay_alu instid0(SALU_CYCLE_1) | instskip(SKIP_2) | instid1(VALU_DEP_1)
	s_or_b32 exec_lo, exec_lo, s16
	v_lshrrev_b16 v22, 8, v36
	s_mov_b32 s16, exec_lo
	v_cmpx_ne_u16_e32 0, v22
	s_cbranch_execz .LBB342_2006
; %bb.1999:                             ;   in Loop: Header=BB342_1066 Depth=1
	v_bfrev_b32_e32 v9, 1
	s_mov_b32 s17, exec_lo
	v_cmpx_ne_u16_e32 0x80, v22
	s_cbranch_execz .LBB342_2005
; %bb.2000:                             ;   in Loop: Header=BB342_1066 Depth=1
	v_and_b32_e32 v22, 0xffff, v22
	v_mov_b32_e32 v9, 0x7f800001
	s_mov_b32 s18, exec_lo
	s_delay_alu instid0(VALU_DEP_2) | instskip(NEXT) | instid1(VALU_DEP_1)
	v_and_b32_e32 v38, 0x7f, v22
	v_cmpx_ne_u32_e32 0x7f, v38
	s_cbranch_execz .LBB342_2004
; %bb.2001:                             ;   in Loop: Header=BB342_1066 Depth=1
	v_and_b32_e32 v22, 7, v22
	v_lshrrev_b32_e32 v9, 3, v38
	v_cmp_gt_u32_e64 s1, 8, v38
	s_delay_alu instid0(VALU_DEP_3)
	v_mov_b64_e32 v[38:39], v[22:23]
	s_and_saveexec_b32 s19, s1
; %bb.2002:                             ;   in Loop: Header=BB342_1066 Depth=1
	v_clz_i32_u32_e32 v9, v22
	s_delay_alu instid0(VALU_DEP_1) | instskip(NEXT) | instid1(VALU_DEP_1)
	v_min_u32_e32 v9, 32, v9
	v_subrev_nc_u32_e32 v38, 28, v9
	s_delay_alu instid0(VALU_DEP_1) | instskip(NEXT) | instid1(VALU_DEP_1)
	v_lshlrev_b64_e32 v[38:39], v38, v[22:23]
	v_dual_sub_nc_u32 v9, 29, v9 :: v_dual_bitop2_b32 v38, 7, v38 bitop3:0x40
; %bb.2003:                             ;   in Loop: Header=BB342_1066 Depth=1
	s_or_b32 exec_lo, exec_lo, s19
	s_delay_alu instid0(VALU_DEP_1) | instskip(NEXT) | instid1(VALU_DEP_2)
	v_dual_lshlrev_b32 v22, 16, v36 :: v_dual_lshlrev_b32 v38, 20, v38
	v_lshl_add_u32 v9, v9, 23, 0x3c000000
	s_delay_alu instid0(VALU_DEP_2) | instskip(NEXT) | instid1(VALU_DEP_1)
	v_and_b32_e32 v22, 0x80000000, v22
	v_or3_b32 v9, v38, v22, v9
.LBB342_2004:                           ;   in Loop: Header=BB342_1066 Depth=1
	s_or_b32 exec_lo, exec_lo, s18
.LBB342_2005:                           ;   in Loop: Header=BB342_1066 Depth=1
	s_delay_alu instid0(SALU_CYCLE_1)
	s_or_b32 exec_lo, exec_lo, s17
.LBB342_2006:                           ;   in Loop: Header=BB342_1066 Depth=1
	s_delay_alu instid0(SALU_CYCLE_1) | instskip(SKIP_3) | instid1(VALU_DEP_2)
	s_or_b32 exec_lo, exec_lo, s16
	v_dual_mov_b32 v118, 0 :: v_dual_lshrrev_b32 v115, 16, v36
	v_mov_b32_e32 v117, 0
	s_mov_b32 s16, exec_lo
	v_and_b32_e32 v22, 0xff, v115
	s_delay_alu instid0(VALU_DEP_1)
	v_cmpx_ne_u16_e32 0, v22
	s_cbranch_execz .LBB342_2014
; %bb.2007:                             ;   in Loop: Header=BB342_1066 Depth=1
	v_bfrev_b32_e32 v117, 1
	s_mov_b32 s17, exec_lo
	v_cmpx_ne_u16_e32 0x80, v22
	s_cbranch_execz .LBB342_2013
; %bb.2008:                             ;   in Loop: Header=BB342_1066 Depth=1
	v_bfe_u32 v38, v36, 16, 7
	v_mov_b32_e32 v117, 0x7f800001
	s_mov_b32 s18, exec_lo
	s_delay_alu instid0(VALU_DEP_2)
	v_cmpx_ne_u32_e32 0x7f, v38
	s_cbranch_execz .LBB342_2012
; %bb.2009:                             ;   in Loop: Header=BB342_1066 Depth=1
	v_dual_lshrrev_b32 v116, 3, v38 :: v_dual_bitop2_b32 v22, 7, v115 bitop3:0x40
	v_cmp_gt_u32_e64 s1, 8, v38
	s_delay_alu instid0(VALU_DEP_2)
	v_mov_b64_e32 v[38:39], v[22:23]
	s_and_saveexec_b32 s19, s1
; %bb.2010:                             ;   in Loop: Header=BB342_1066 Depth=1
	v_clz_i32_u32_e32 v38, v22
	s_delay_alu instid0(VALU_DEP_1) | instskip(NEXT) | instid1(VALU_DEP_1)
	v_min_u32_e32 v116, 32, v38
	v_subrev_nc_u32_e32 v38, 28, v116
	s_delay_alu instid0(VALU_DEP_1) | instskip(NEXT) | instid1(VALU_DEP_1)
	v_lshlrev_b64_e32 v[38:39], v38, v[22:23]
	v_dual_sub_nc_u32 v116, 29, v116 :: v_dual_bitop2_b32 v38, 7, v38 bitop3:0x40
; %bb.2011:                             ;   in Loop: Header=BB342_1066 Depth=1
	s_or_b32 exec_lo, exec_lo, s19
	s_delay_alu instid0(VALU_DEP_1) | instskip(NEXT) | instid1(VALU_DEP_2)
	v_dual_lshlrev_b32 v22, 24, v115 :: v_dual_lshlrev_b32 v38, 20, v38
	v_lshl_add_u32 v39, v116, 23, 0x3c000000
	s_delay_alu instid0(VALU_DEP_2) | instskip(NEXT) | instid1(VALU_DEP_1)
	v_and_b32_e32 v22, 0x80000000, v22
	v_or3_b32 v117, v38, v22, v39
.LBB342_2012:                           ;   in Loop: Header=BB342_1066 Depth=1
	s_or_b32 exec_lo, exec_lo, s18
.LBB342_2013:                           ;   in Loop: Header=BB342_1066 Depth=1
	s_delay_alu instid0(SALU_CYCLE_1)
	s_or_b32 exec_lo, exec_lo, s17
.LBB342_2014:                           ;   in Loop: Header=BB342_1066 Depth=1
	s_delay_alu instid0(SALU_CYCLE_1) | instskip(NEXT) | instid1(SALU_CYCLE_1)
	s_or_b32 exec_lo, exec_lo, s16
	s_mov_b32 s16, exec_lo
	v_cmpx_lt_u32_e32 0xffffff, v36
	s_cbranch_execz .LBB342_2022
; %bb.2015:                             ;   in Loop: Header=BB342_1066 Depth=1
	v_lshrrev_b32_e32 v115, 24, v36
	v_bfrev_b32_e32 v118, 1
	s_mov_b32 s17, exec_lo
	s_delay_alu instid0(VALU_DEP_2)
	v_cmpx_ne_u32_e32 0x80, v115
	s_cbranch_execz .LBB342_2021
; %bb.2016:                             ;   in Loop: Header=BB342_1066 Depth=1
	v_bfe_u32 v38, v36, 24, 7
	v_mov_b32_e32 v118, 0x7f800001
	s_mov_b32 s18, exec_lo
	s_delay_alu instid0(VALU_DEP_2)
	v_cmpx_ne_u32_e32 0x7f, v38
	s_cbranch_execz .LBB342_2020
; %bb.2017:                             ;   in Loop: Header=BB342_1066 Depth=1
	v_dual_lshrrev_b32 v116, 3, v38 :: v_dual_bitop2_b32 v22, 7, v115 bitop3:0x40
	v_cmp_gt_u32_e64 s1, 8, v38
	s_delay_alu instid0(VALU_DEP_2)
	v_mov_b64_e32 v[38:39], v[22:23]
	s_and_saveexec_b32 s19, s1
; %bb.2018:                             ;   in Loop: Header=BB342_1066 Depth=1
	v_clz_i32_u32_e32 v38, v22
	s_delay_alu instid0(VALU_DEP_1) | instskip(NEXT) | instid1(VALU_DEP_1)
	v_min_u32_e32 v116, 32, v38
	v_subrev_nc_u32_e32 v38, 28, v116
	s_delay_alu instid0(VALU_DEP_1) | instskip(NEXT) | instid1(VALU_DEP_1)
	v_lshlrev_b64_e32 v[38:39], v38, v[22:23]
	v_dual_sub_nc_u32 v116, 29, v116 :: v_dual_bitop2_b32 v38, 7, v38 bitop3:0x40
; %bb.2019:                             ;   in Loop: Header=BB342_1066 Depth=1
	s_or_b32 exec_lo, exec_lo, s19
	s_delay_alu instid0(VALU_DEP_1) | instskip(NEXT) | instid1(VALU_DEP_2)
	v_dual_lshlrev_b32 v22, 24, v115 :: v_dual_lshlrev_b32 v38, 20, v38
	v_lshl_add_u32 v39, v116, 23, 0x3c000000
	s_delay_alu instid0(VALU_DEP_2) | instskip(NEXT) | instid1(VALU_DEP_1)
	v_and_b32_e32 v22, 0x80000000, v22
	v_or3_b32 v118, v38, v22, v39
.LBB342_2020:                           ;   in Loop: Header=BB342_1066 Depth=1
	s_or_b32 exec_lo, exec_lo, s18
.LBB342_2021:                           ;   in Loop: Header=BB342_1066 Depth=1
	s_delay_alu instid0(SALU_CYCLE_1)
	s_or_b32 exec_lo, exec_lo, s17
.LBB342_2022:                           ;   in Loop: Header=BB342_1066 Depth=1
	s_delay_alu instid0(SALU_CYCLE_1) | instskip(SKIP_4) | instid1(VALU_DEP_3)
	s_or_b32 exec_lo, exec_lo, s16
	v_and_b32_e32 v38, 0xff, v37
	v_dual_mov_b32 v22, v37 :: v_dual_mov_b32 v115, 0
	v_mov_b32_e32 v116, 0
	s_mov_b32 s16, exec_lo
	v_cmpx_ne_u16_e32 0, v38
	s_cbranch_execz .LBB342_2030
; %bb.2023:                             ;   in Loop: Header=BB342_1066 Depth=1
	v_bfrev_b32_e32 v116, 1
	s_mov_b32 s17, exec_lo
	v_cmpx_ne_u16_e32 0x80, v38
	s_cbranch_execz .LBB342_2029
; %bb.2024:                             ;   in Loop: Header=BB342_1066 Depth=1
	v_and_b32_e32 v38, 0x7f, v37
	v_mov_b32_e32 v116, 0x7f800001
	s_mov_b32 s18, exec_lo
	s_delay_alu instid0(VALU_DEP_2)
	v_cmpx_ne_u32_e32 0x7f, v38
	s_cbranch_execz .LBB342_2028
; %bb.2025:                             ;   in Loop: Header=BB342_1066 Depth=1
	v_lshrrev_b32_e32 v116, 3, v38
	v_cmp_gt_u32_e64 s1, 8, v38
	v_mov_b64_e32 v[38:39], v[22:23]
	s_and_saveexec_b32 s19, s1
; %bb.2026:                             ;   in Loop: Header=BB342_1066 Depth=1
	v_and_b32_e32 v38, 7, v37
	s_delay_alu instid0(VALU_DEP_1) | instskip(NEXT) | instid1(VALU_DEP_1)
	v_clz_i32_u32_e32 v38, v38
	v_min_u32_e32 v116, 32, v38
	s_delay_alu instid0(VALU_DEP_1) | instskip(SKIP_1) | instid1(VALU_DEP_2)
	v_subrev_nc_u32_e32 v38, 28, v116
	v_sub_nc_u32_e32 v116, 29, v116
	v_lshlrev_b64_e32 v[38:39], v38, v[22:23]
; %bb.2027:                             ;   in Loop: Header=BB342_1066 Depth=1
	s_or_b32 exec_lo, exec_lo, s19
	s_delay_alu instid0(VALU_DEP_1) | instskip(SKIP_2) | instid1(VALU_DEP_3)
	v_lshlrev_b32_e32 v38, 20, v38
	v_lshlrev_b32_e32 v39, 24, v22
	v_lshl_add_u32 v116, v116, 23, 0x3c000000
	v_and_b32_e32 v38, 0x700000, v38
	s_delay_alu instid0(VALU_DEP_3) | instskip(NEXT) | instid1(VALU_DEP_1)
	v_and_b32_e32 v39, 0x80000000, v39
	v_or3_b32 v116, v38, v39, v116
.LBB342_2028:                           ;   in Loop: Header=BB342_1066 Depth=1
	s_or_b32 exec_lo, exec_lo, s18
.LBB342_2029:                           ;   in Loop: Header=BB342_1066 Depth=1
	s_delay_alu instid0(SALU_CYCLE_1)
	s_or_b32 exec_lo, exec_lo, s17
.LBB342_2030:                           ;   in Loop: Header=BB342_1066 Depth=1
	s_delay_alu instid0(SALU_CYCLE_1) | instskip(SKIP_2) | instid1(VALU_DEP_1)
	s_or_b32 exec_lo, exec_lo, s16
	v_lshrrev_b16 v38, 8, v22
	s_mov_b32 s16, exec_lo
	v_cmpx_ne_u16_e32 0, v38
	s_cbranch_execz .LBB342_2038
; %bb.2031:                             ;   in Loop: Header=BB342_1066 Depth=1
	v_bfrev_b32_e32 v115, 1
	s_mov_b32 s17, exec_lo
	v_cmpx_ne_u16_e32 0x80, v38
	s_cbranch_execz .LBB342_2037
; %bb.2032:                             ;   in Loop: Header=BB342_1066 Depth=1
	v_and_b32_e32 v38, 0xffff, v38
	v_mov_b32_e32 v115, 0x7f800001
	s_mov_b32 s18, exec_lo
	s_delay_alu instid0(VALU_DEP_2) | instskip(NEXT) | instid1(VALU_DEP_1)
	v_and_b32_e32 v119, 0x7f, v38
	v_cmpx_ne_u32_e32 0x7f, v119
	s_cbranch_execz .LBB342_2036
; %bb.2033:                             ;   in Loop: Header=BB342_1066 Depth=1
	v_dual_mov_b32 v39, v23 :: v_dual_bitop2_b32 v38, 7, v38 bitop3:0x40
	v_lshrrev_b32_e32 v115, 3, v119
	s_mov_b32 s19, exec_lo
	v_cmpx_gt_u32_e32 8, v119
; %bb.2034:                             ;   in Loop: Header=BB342_1066 Depth=1
	s_delay_alu instid0(VALU_DEP_3) | instskip(NEXT) | instid1(VALU_DEP_1)
	v_clz_i32_u32_e32 v115, v38
	v_min_u32_e32 v115, 32, v115
	s_delay_alu instid0(VALU_DEP_1) | instskip(NEXT) | instid1(VALU_DEP_1)
	v_subrev_nc_u32_e32 v119, 28, v115
	v_lshlrev_b64_e32 v[38:39], v119, v[38:39]
	s_delay_alu instid0(VALU_DEP_1)
	v_dual_sub_nc_u32 v115, 29, v115 :: v_dual_bitop2_b32 v38, 7, v38 bitop3:0x40
; %bb.2035:                             ;   in Loop: Header=BB342_1066 Depth=1
	s_or_b32 exec_lo, exec_lo, s19
	v_lshlrev_b32_e32 v22, 16, v22
	s_delay_alu instid0(VALU_DEP_2) | instskip(NEXT) | instid1(VALU_DEP_3)
	v_lshlrev_b32_e32 v38, 20, v38
	v_lshl_add_u32 v39, v115, 23, 0x3c000000
	s_delay_alu instid0(VALU_DEP_3) | instskip(NEXT) | instid1(VALU_DEP_1)
	v_and_b32_e32 v22, 0x80000000, v22
	v_or3_b32 v115, v38, v22, v39
.LBB342_2036:                           ;   in Loop: Header=BB342_1066 Depth=1
	s_or_b32 exec_lo, exec_lo, s18
.LBB342_2037:                           ;   in Loop: Header=BB342_1066 Depth=1
	s_delay_alu instid0(SALU_CYCLE_1)
	s_or_b32 exec_lo, exec_lo, s17
.LBB342_2038:                           ;   in Loop: Header=BB342_1066 Depth=1
	s_delay_alu instid0(SALU_CYCLE_1) | instskip(SKIP_3) | instid1(VALU_DEP_2)
	s_or_b32 exec_lo, exec_lo, s16
	v_dual_lshrrev_b32 v119, 16, v37 :: v_dual_mov_b32 v43, 0
	v_mov_b32_e32 v38, 0
	s_mov_b32 s16, exec_lo
	v_and_b32_e32 v22, 0xff, v119
	s_delay_alu instid0(VALU_DEP_1)
	v_cmpx_ne_u16_e32 0, v22
	s_cbranch_execz .LBB342_2046
; %bb.2039:                             ;   in Loop: Header=BB342_1066 Depth=1
	v_bfrev_b32_e32 v38, 1
	s_mov_b32 s17, exec_lo
	v_cmpx_ne_u16_e32 0x80, v22
	s_cbranch_execz .LBB342_2045
; %bb.2040:                             ;   in Loop: Header=BB342_1066 Depth=1
	v_bfe_u32 v39, v37, 16, 7
	v_mov_b32_e32 v38, 0x7f800001
	s_mov_b32 s18, exec_lo
	s_delay_alu instid0(VALU_DEP_2)
	v_cmpx_ne_u32_e32 0x7f, v39
	s_cbranch_execz .LBB342_2044
; %bb.2041:                             ;   in Loop: Header=BB342_1066 Depth=1
	v_and_b32_e32 v22, 7, v119
	v_lshrrev_b32_e32 v40, 3, v39
	v_cmp_gt_u32_e64 s1, 8, v39
	s_delay_alu instid0(VALU_DEP_3)
	v_mov_b64_e32 v[38:39], v[22:23]
	s_and_saveexec_b32 s19, s1
; %bb.2042:                             ;   in Loop: Header=BB342_1066 Depth=1
	v_clz_i32_u32_e32 v38, v22
	s_delay_alu instid0(VALU_DEP_1) | instskip(NEXT) | instid1(VALU_DEP_1)
	v_min_u32_e32 v40, 32, v38
	v_subrev_nc_u32_e32 v38, 28, v40
	s_delay_alu instid0(VALU_DEP_1) | instskip(NEXT) | instid1(VALU_DEP_1)
	v_lshlrev_b64_e32 v[38:39], v38, v[22:23]
	v_dual_sub_nc_u32 v40, 29, v40 :: v_dual_bitop2_b32 v38, 7, v38 bitop3:0x40
; %bb.2043:                             ;   in Loop: Header=BB342_1066 Depth=1
	s_or_b32 exec_lo, exec_lo, s19
	s_delay_alu instid0(VALU_DEP_1) | instskip(NEXT) | instid1(VALU_DEP_2)
	v_dual_lshlrev_b32 v22, 24, v119 :: v_dual_lshlrev_b32 v38, 20, v38
	v_lshl_add_u32 v39, v40, 23, 0x3c000000
	s_delay_alu instid0(VALU_DEP_2) | instskip(NEXT) | instid1(VALU_DEP_1)
	v_and_b32_e32 v22, 0x80000000, v22
	v_or3_b32 v38, v38, v22, v39
.LBB342_2044:                           ;   in Loop: Header=BB342_1066 Depth=1
	s_or_b32 exec_lo, exec_lo, s18
.LBB342_2045:                           ;   in Loop: Header=BB342_1066 Depth=1
	s_delay_alu instid0(SALU_CYCLE_1)
	s_or_b32 exec_lo, exec_lo, s17
.LBB342_2046:                           ;   in Loop: Header=BB342_1066 Depth=1
	s_delay_alu instid0(SALU_CYCLE_1) | instskip(NEXT) | instid1(SALU_CYCLE_1)
	s_or_b32 exec_lo, exec_lo, s16
	s_mov_b32 s16, exec_lo
	v_cmpx_lt_u64_e64 s[2:3], v[36:37]
	s_cbranch_execz .LBB342_2054
; %bb.2047:                             ;   in Loop: Header=BB342_1066 Depth=1
	v_lshrrev_b32_e32 v39, 24, v37
	v_bfrev_b32_e32 v43, 1
	s_mov_b32 s17, exec_lo
	s_delay_alu instid0(VALU_DEP_2)
	v_cmpx_ne_u32_e32 0x80, v39
	s_cbranch_execz .LBB342_2053
; %bb.2048:                             ;   in Loop: Header=BB342_1066 Depth=1
	v_bfe_u32 v36, v37, 24, 7
	v_mov_b32_e32 v43, 0x7f800001
	s_mov_b32 s18, exec_lo
	s_delay_alu instid0(VALU_DEP_2)
	v_cmpx_ne_u32_e32 0x7f, v36
	s_cbranch_execz .LBB342_2052
; %bb.2049:                             ;   in Loop: Header=BB342_1066 Depth=1
	v_dual_lshrrev_b32 v119, 3, v36 :: v_dual_bitop2_b32 v22, 7, v39 bitop3:0x40
	v_cmp_gt_u32_e64 s1, 8, v36
	s_delay_alu instid0(VALU_DEP_2)
	v_mov_b64_e32 v[36:37], v[22:23]
	s_and_saveexec_b32 s19, s1
; %bb.2050:                             ;   in Loop: Header=BB342_1066 Depth=1
	v_clz_i32_u32_e32 v36, v22
	s_delay_alu instid0(VALU_DEP_1) | instskip(NEXT) | instid1(VALU_DEP_1)
	v_min_u32_e32 v119, 32, v36
	v_subrev_nc_u32_e32 v36, 28, v119
	s_delay_alu instid0(VALU_DEP_1) | instskip(NEXT) | instid1(VALU_DEP_1)
	v_lshlrev_b64_e32 v[36:37], v36, v[22:23]
	v_dual_sub_nc_u32 v119, 29, v119 :: v_dual_bitop2_b32 v36, 7, v36 bitop3:0x40
; %bb.2051:                             ;   in Loop: Header=BB342_1066 Depth=1
	s_or_b32 exec_lo, exec_lo, s19
	s_delay_alu instid0(VALU_DEP_1) | instskip(NEXT) | instid1(VALU_DEP_2)
	v_dual_lshlrev_b32 v22, 24, v39 :: v_dual_lshlrev_b32 v36, 20, v36
	v_lshl_add_u32 v37, v119, 23, 0x3c000000
	s_delay_alu instid0(VALU_DEP_2) | instskip(NEXT) | instid1(VALU_DEP_1)
	v_and_b32_e32 v22, 0x80000000, v22
	v_or3_b32 v43, v36, v22, v37
.LBB342_2052:                           ;   in Loop: Header=BB342_1066 Depth=1
	s_or_b32 exec_lo, exec_lo, s18
.LBB342_2053:                           ;   in Loop: Header=BB342_1066 Depth=1
	s_delay_alu instid0(SALU_CYCLE_1)
	s_or_b32 exec_lo, exec_lo, s17
.LBB342_2054:                           ;   in Loop: Header=BB342_1066 Depth=1
	s_delay_alu instid0(SALU_CYCLE_1)
	s_or_b32 exec_lo, exec_lo, s16
	v_fma_mixlo_bf16 v115, v55, v115, 0
	v_fma_mixlo_bf16 v116, v55, v116, 0
	;; [unrolled: 1-line block ×8, first 2 shown]
	s_and_saveexec_b32 s16, vcc_lo
	s_cbranch_execz .LBB342_2056
; %bb.2055:                             ;   in Loop: Header=BB342_1066 Depth=1
	v_cmp_lt_i32_e64 s1, v102, v52
	s_delay_alu instid0(VALU_DEP_1) | instskip(SKIP_1) | instid1(VALU_DEP_1)
	v_cndmask_b32_e64 v42, 0, v42, s1
	v_cmp_lt_i32_e64 s1, v114, v52
	v_cndmask_b32_e64 v41, 0, v41, s1
	v_cmp_lt_i32_e64 s1, v113, v52
	s_delay_alu instid0(VALU_DEP_1) | instskip(SKIP_1) | instid1(VALU_DEP_1)
	v_cndmask_b32_e64 v40, 0, v40, s1
	v_cmp_lt_i32_e64 s1, v112, v52
	v_cndmask_b32_e64 v119, 0, v119, s1
	;; [unrolled: 5-line block ×4, first 2 shown]
.LBB342_2056:                           ;   in Loop: Header=BB342_1066 Depth=1
	s_or_b32 exec_lo, exec_lo, s16
	flat_load_b64 v[34:35], v[34:35] offset:3840
	v_dual_mov_b32 v38, 0 :: v_dual_mov_b32 v8, 0
	s_mov_b32 s16, exec_lo
	s_wait_loadcnt_dscnt 0x0
	v_and_b32_e32 v9, 0xff, v34
	s_wait_xcnt 0x0
	s_delay_alu instid0(VALU_DEP_1)
	v_cmpx_ne_u16_e32 0, v9
	s_cbranch_execz .LBB342_2064
; %bb.2057:                             ;   in Loop: Header=BB342_1066 Depth=1
	v_bfrev_b32_e32 v8, 1
	s_mov_b32 s17, exec_lo
	v_cmpx_ne_u16_e32 0x80, v9
	s_cbranch_execz .LBB342_2063
; %bb.2058:                             ;   in Loop: Header=BB342_1066 Depth=1
	v_and_b32_e32 v9, 0x7f, v34
	v_mov_b32_e32 v8, 0x7f800001
	s_mov_b32 s18, exec_lo
	s_delay_alu instid0(VALU_DEP_2)
	v_cmpx_ne_u32_e32 0x7f, v9
	s_cbranch_execz .LBB342_2062
; %bb.2059:                             ;   in Loop: Header=BB342_1066 Depth=1
	v_mov_b64_e32 v[36:37], v[34:35]
	v_lshrrev_b32_e32 v8, 3, v9
	s_mov_b32 s19, exec_lo
	v_cmpx_gt_u32_e32 8, v9
; %bb.2060:                             ;   in Loop: Header=BB342_1066 Depth=1
	v_and_b32_e32 v8, 7, v34
	s_delay_alu instid0(VALU_DEP_1) | instskip(NEXT) | instid1(VALU_DEP_1)
	v_clz_i32_u32_e32 v8, v8
	v_min_u32_e32 v8, 32, v8
	s_delay_alu instid0(VALU_DEP_1) | instskip(SKIP_1) | instid1(VALU_DEP_2)
	v_subrev_nc_u32_e32 v9, 28, v8
	v_sub_nc_u32_e32 v8, 29, v8
	v_lshlrev_b64_e32 v[36:37], v9, v[34:35]
; %bb.2061:                             ;   in Loop: Header=BB342_1066 Depth=1
	s_or_b32 exec_lo, exec_lo, s19
	s_delay_alu instid0(VALU_DEP_1) | instskip(NEXT) | instid1(VALU_DEP_3)
	v_dual_lshlrev_b32 v9, 20, v36 :: v_dual_lshlrev_b32 v22, 24, v34
	v_lshl_add_u32 v8, v8, 23, 0x3c000000
	s_delay_alu instid0(VALU_DEP_2) | instskip(NEXT) | instid1(VALU_DEP_3)
	v_and_b32_e32 v9, 0x700000, v9
	v_and_b32_e32 v22, 0x80000000, v22
	s_delay_alu instid0(VALU_DEP_1)
	v_or3_b32 v8, v9, v22, v8
.LBB342_2062:                           ;   in Loop: Header=BB342_1066 Depth=1
	s_or_b32 exec_lo, exec_lo, s18
.LBB342_2063:                           ;   in Loop: Header=BB342_1066 Depth=1
	s_delay_alu instid0(SALU_CYCLE_1)
	s_or_b32 exec_lo, exec_lo, s17
.LBB342_2064:                           ;   in Loop: Header=BB342_1066 Depth=1
	s_delay_alu instid0(SALU_CYCLE_1) | instskip(SKIP_2) | instid1(VALU_DEP_1)
	s_or_b32 exec_lo, exec_lo, s16
	v_lshrrev_b16 v9, 8, v34
	s_mov_b32 s16, exec_lo
	v_cmpx_ne_u16_e32 0, v9
	s_cbranch_execz .LBB342_2072
; %bb.2065:                             ;   in Loop: Header=BB342_1066 Depth=1
	v_bfrev_b32_e32 v38, 1
	s_mov_b32 s17, exec_lo
	v_cmpx_ne_u16_e32 0x80, v9
	s_cbranch_execz .LBB342_2071
; %bb.2066:                             ;   in Loop: Header=BB342_1066 Depth=1
	v_and_b32_e32 v9, 0xffff, v9
	v_mov_b32_e32 v38, 0x7f800001
	s_mov_b32 s18, exec_lo
	s_delay_alu instid0(VALU_DEP_2) | instskip(NEXT) | instid1(VALU_DEP_1)
	v_and_b32_e32 v39, 0x7f, v9
	v_cmpx_ne_u32_e32 0x7f, v39
	s_cbranch_execz .LBB342_2070
; %bb.2067:                             ;   in Loop: Header=BB342_1066 Depth=1
	v_dual_lshrrev_b32 v9, 3, v39 :: v_dual_bitop2_b32 v22, 7, v9 bitop3:0x40
	s_mov_b32 s19, exec_lo
	s_delay_alu instid0(VALU_DEP_1)
	v_mov_b64_e32 v[36:37], v[22:23]
	v_cmpx_gt_u32_e32 8, v39
; %bb.2068:                             ;   in Loop: Header=BB342_1066 Depth=1
	v_clz_i32_u32_e32 v9, v22
	s_delay_alu instid0(VALU_DEP_1) | instskip(NEXT) | instid1(VALU_DEP_1)
	v_min_u32_e32 v9, 32, v9
	v_subrev_nc_u32_e32 v36, 28, v9
	s_delay_alu instid0(VALU_DEP_1) | instskip(NEXT) | instid1(VALU_DEP_1)
	v_lshlrev_b64_e32 v[36:37], v36, v[22:23]
	v_dual_sub_nc_u32 v9, 29, v9 :: v_dual_bitop2_b32 v36, 7, v36 bitop3:0x40
; %bb.2069:                             ;   in Loop: Header=BB342_1066 Depth=1
	s_or_b32 exec_lo, exec_lo, s19
	s_delay_alu instid0(VALU_DEP_1) | instskip(NEXT) | instid1(VALU_DEP_2)
	v_dual_lshlrev_b32 v22, 16, v34 :: v_dual_lshlrev_b32 v36, 20, v36
	v_lshl_add_u32 v9, v9, 23, 0x3c000000
	s_delay_alu instid0(VALU_DEP_2) | instskip(NEXT) | instid1(VALU_DEP_1)
	v_and_b32_e32 v22, 0x80000000, v22
	v_or3_b32 v38, v36, v22, v9
.LBB342_2070:                           ;   in Loop: Header=BB342_1066 Depth=1
	s_or_b32 exec_lo, exec_lo, s18
.LBB342_2071:                           ;   in Loop: Header=BB342_1066 Depth=1
	s_delay_alu instid0(SALU_CYCLE_1)
	s_or_b32 exec_lo, exec_lo, s17
.LBB342_2072:                           ;   in Loop: Header=BB342_1066 Depth=1
	s_delay_alu instid0(SALU_CYCLE_1) | instskip(SKIP_3) | instid1(VALU_DEP_2)
	s_or_b32 exec_lo, exec_lo, s16
	v_dual_lshrrev_b32 v9, 16, v34 :: v_dual_mov_b32 v43, 0
	v_mov_b32_e32 v39, 0
	s_mov_b32 s16, exec_lo
	v_and_b32_e32 v22, 0xff, v9
	s_delay_alu instid0(VALU_DEP_1)
	v_cmpx_ne_u16_e32 0, v22
	s_cbranch_execz .LBB342_2080
; %bb.2073:                             ;   in Loop: Header=BB342_1066 Depth=1
	v_bfrev_b32_e32 v39, 1
	s_mov_b32 s17, exec_lo
	v_cmpx_ne_u16_e32 0x80, v22
	s_cbranch_execz .LBB342_2079
; %bb.2074:                             ;   in Loop: Header=BB342_1066 Depth=1
	v_bfe_u32 v44, v34, 16, 7
	v_mov_b32_e32 v39, 0x7f800001
	s_mov_b32 s18, exec_lo
	s_delay_alu instid0(VALU_DEP_2)
	v_cmpx_ne_u32_e32 0x7f, v44
	s_cbranch_execz .LBB342_2078
; %bb.2075:                             ;   in Loop: Header=BB342_1066 Depth=1
	v_and_b32_e32 v22, 7, v9
	s_mov_b32 s19, exec_lo
	s_delay_alu instid0(VALU_DEP_1)
	v_mov_b64_e32 v[36:37], v[22:23]
	v_lshrrev_b32_e32 v37, 3, v44
	v_cmpx_gt_u32_e32 8, v44
; %bb.2076:                             ;   in Loop: Header=BB342_1066 Depth=1
	v_clz_i32_u32_e32 v36, v22
	s_delay_alu instid0(VALU_DEP_1) | instskip(NEXT) | instid1(VALU_DEP_1)
	v_min_u32_e32 v39, 32, v36
	v_subrev_nc_u32_e32 v36, 28, v39
	s_delay_alu instid0(VALU_DEP_1) | instskip(NEXT) | instid1(VALU_DEP_1)
	v_lshlrev_b64_e32 v[36:37], v36, v[22:23]
	v_dual_sub_nc_u32 v37, 29, v39 :: v_dual_bitop2_b32 v36, 7, v36 bitop3:0x40
; %bb.2077:                             ;   in Loop: Header=BB342_1066 Depth=1
	s_or_b32 exec_lo, exec_lo, s19
	s_delay_alu instid0(VALU_DEP_1) | instskip(NEXT) | instid1(VALU_DEP_2)
	v_dual_lshlrev_b32 v9, 24, v9 :: v_dual_lshlrev_b32 v22, 20, v36
	v_lshl_add_u32 v36, v37, 23, 0x3c000000
	s_delay_alu instid0(VALU_DEP_2) | instskip(NEXT) | instid1(VALU_DEP_1)
	v_and_b32_e32 v9, 0x80000000, v9
	v_or3_b32 v39, v22, v9, v36
.LBB342_2078:                           ;   in Loop: Header=BB342_1066 Depth=1
	s_or_b32 exec_lo, exec_lo, s18
.LBB342_2079:                           ;   in Loop: Header=BB342_1066 Depth=1
	s_delay_alu instid0(SALU_CYCLE_1)
	s_or_b32 exec_lo, exec_lo, s17
.LBB342_2080:                           ;   in Loop: Header=BB342_1066 Depth=1
	s_delay_alu instid0(SALU_CYCLE_1) | instskip(NEXT) | instid1(SALU_CYCLE_1)
	s_or_b32 exec_lo, exec_lo, s16
	s_mov_b32 s16, exec_lo
	v_cmpx_lt_u32_e32 0xffffff, v34
	s_cbranch_execz .LBB342_2088
; %bb.2081:                             ;   in Loop: Header=BB342_1066 Depth=1
	v_lshrrev_b32_e32 v9, 24, v34
	v_bfrev_b32_e32 v43, 1
	s_mov_b32 s17, exec_lo
	s_delay_alu instid0(VALU_DEP_2)
	v_cmpx_ne_u32_e32 0x80, v9
	s_cbranch_execz .LBB342_2087
; %bb.2082:                             ;   in Loop: Header=BB342_1066 Depth=1
	v_bfe_u32 v44, v34, 24, 7
	v_mov_b32_e32 v43, 0x7f800001
	s_mov_b32 s18, exec_lo
	s_delay_alu instid0(VALU_DEP_2)
	v_cmpx_ne_u32_e32 0x7f, v44
	s_cbranch_execz .LBB342_2086
; %bb.2083:                             ;   in Loop: Header=BB342_1066 Depth=1
	v_and_b32_e32 v22, 7, v9
	s_mov_b32 s19, exec_lo
	s_delay_alu instid0(VALU_DEP_1)
	v_mov_b64_e32 v[36:37], v[22:23]
	v_lshrrev_b32_e32 v37, 3, v44
	v_cmpx_gt_u32_e32 8, v44
; %bb.2084:                             ;   in Loop: Header=BB342_1066 Depth=1
	v_clz_i32_u32_e32 v36, v22
	s_delay_alu instid0(VALU_DEP_1) | instskip(NEXT) | instid1(VALU_DEP_1)
	v_min_u32_e32 v43, 32, v36
	v_subrev_nc_u32_e32 v36, 28, v43
	s_delay_alu instid0(VALU_DEP_1) | instskip(NEXT) | instid1(VALU_DEP_1)
	v_lshlrev_b64_e32 v[36:37], v36, v[22:23]
	v_dual_sub_nc_u32 v37, 29, v43 :: v_dual_bitop2_b32 v36, 7, v36 bitop3:0x40
; %bb.2085:                             ;   in Loop: Header=BB342_1066 Depth=1
	s_or_b32 exec_lo, exec_lo, s19
	s_delay_alu instid0(VALU_DEP_1) | instskip(NEXT) | instid1(VALU_DEP_2)
	v_dual_lshlrev_b32 v9, 24, v9 :: v_dual_lshlrev_b32 v22, 20, v36
	v_lshl_add_u32 v36, v37, 23, 0x3c000000
	s_delay_alu instid0(VALU_DEP_2) | instskip(NEXT) | instid1(VALU_DEP_1)
	v_and_b32_e32 v9, 0x80000000, v9
	v_or3_b32 v43, v22, v9, v36
.LBB342_2086:                           ;   in Loop: Header=BB342_1066 Depth=1
	s_or_b32 exec_lo, exec_lo, s18
.LBB342_2087:                           ;   in Loop: Header=BB342_1066 Depth=1
	s_delay_alu instid0(SALU_CYCLE_1)
	s_or_b32 exec_lo, exec_lo, s17
.LBB342_2088:                           ;   in Loop: Header=BB342_1066 Depth=1
	s_delay_alu instid0(SALU_CYCLE_1) | instskip(SKIP_4) | instid1(VALU_DEP_3)
	s_or_b32 exec_lo, exec_lo, s16
	v_and_b32_e32 v36, 0xff, v35
	v_dual_mov_b32 v22, v35 :: v_dual_mov_b32 v9, 0
	v_mov_b32_e32 v44, 0
	s_mov_b32 s16, exec_lo
	v_cmpx_ne_u16_e32 0, v36
	s_cbranch_execz .LBB342_2096
; %bb.2089:                             ;   in Loop: Header=BB342_1066 Depth=1
	v_bfrev_b32_e32 v44, 1
	s_mov_b32 s17, exec_lo
	v_cmpx_ne_u16_e32 0x80, v36
	s_cbranch_execz .LBB342_2095
; %bb.2090:                             ;   in Loop: Header=BB342_1066 Depth=1
	v_and_b32_e32 v45, 0x7f, v35
	v_mov_b32_e32 v44, 0x7f800001
	s_mov_b32 s18, exec_lo
	s_delay_alu instid0(VALU_DEP_2)
	v_cmpx_ne_u32_e32 0x7f, v45
	s_cbranch_execz .LBB342_2094
; %bb.2091:                             ;   in Loop: Header=BB342_1066 Depth=1
	v_mov_b64_e32 v[36:37], v[22:23]
	v_lshrrev_b32_e32 v37, 3, v45
	s_mov_b32 s19, exec_lo
	v_cmpx_gt_u32_e32 8, v45
; %bb.2092:                             ;   in Loop: Header=BB342_1066 Depth=1
	v_and_b32_e32 v36, 7, v35
	s_delay_alu instid0(VALU_DEP_1) | instskip(NEXT) | instid1(VALU_DEP_1)
	v_clz_i32_u32_e32 v36, v36
	v_min_u32_e32 v44, 32, v36
	s_delay_alu instid0(VALU_DEP_1) | instskip(NEXT) | instid1(VALU_DEP_1)
	v_subrev_nc_u32_e32 v36, 28, v44
	v_lshlrev_b64_e32 v[36:37], v36, v[22:23]
	v_sub_nc_u32_e32 v37, 29, v44
; %bb.2093:                             ;   in Loop: Header=BB342_1066 Depth=1
	s_or_b32 exec_lo, exec_lo, s19
	s_delay_alu instid0(VALU_DEP_2) | instskip(NEXT) | instid1(VALU_DEP_2)
	v_dual_lshlrev_b32 v36, 20, v36 :: v_dual_lshlrev_b32 v44, 24, v22
	v_lshl_add_u32 v37, v37, 23, 0x3c000000
	s_delay_alu instid0(VALU_DEP_2) | instskip(NEXT) | instid1(VALU_DEP_3)
	v_and_b32_e32 v36, 0x700000, v36
	v_and_b32_e32 v44, 0x80000000, v44
	s_delay_alu instid0(VALU_DEP_1)
	v_or3_b32 v44, v36, v44, v37
.LBB342_2094:                           ;   in Loop: Header=BB342_1066 Depth=1
	s_or_b32 exec_lo, exec_lo, s18
.LBB342_2095:                           ;   in Loop: Header=BB342_1066 Depth=1
	s_delay_alu instid0(SALU_CYCLE_1)
	s_or_b32 exec_lo, exec_lo, s17
.LBB342_2096:                           ;   in Loop: Header=BB342_1066 Depth=1
	s_delay_alu instid0(SALU_CYCLE_1) | instskip(SKIP_2) | instid1(VALU_DEP_1)
	s_or_b32 exec_lo, exec_lo, s16
	v_lshrrev_b16 v36, 8, v22
	s_mov_b32 s16, exec_lo
	v_cmpx_ne_u16_e32 0, v36
	s_cbranch_execz .LBB342_2104
; %bb.2097:                             ;   in Loop: Header=BB342_1066 Depth=1
	v_bfrev_b32_e32 v9, 1
	s_mov_b32 s17, exec_lo
	v_cmpx_ne_u16_e32 0x80, v36
	s_cbranch_execz .LBB342_2103
; %bb.2098:                             ;   in Loop: Header=BB342_1066 Depth=1
	v_and_b32_e32 v36, 0xffff, v36
	v_mov_b32_e32 v9, 0x7f800001
	s_mov_b32 s18, exec_lo
	s_delay_alu instid0(VALU_DEP_2) | instskip(NEXT) | instid1(VALU_DEP_1)
	v_and_b32_e32 v45, 0x7f, v36
	v_cmpx_ne_u32_e32 0x7f, v45
	s_cbranch_execz .LBB342_2102
; %bb.2099:                             ;   in Loop: Header=BB342_1066 Depth=1
	v_dual_mov_b32 v37, v23 :: v_dual_bitop2_b32 v36, 7, v36 bitop3:0x40
	v_lshrrev_b32_e32 v9, 3, v45
	s_mov_b32 s19, exec_lo
	v_cmpx_gt_u32_e32 8, v45
; %bb.2100:                             ;   in Loop: Header=BB342_1066 Depth=1
	s_delay_alu instid0(VALU_DEP_3) | instskip(NEXT) | instid1(VALU_DEP_1)
	v_clz_i32_u32_e32 v9, v36
	v_min_u32_e32 v9, 32, v9
	s_delay_alu instid0(VALU_DEP_1) | instskip(NEXT) | instid1(VALU_DEP_1)
	v_subrev_nc_u32_e32 v45, 28, v9
	v_lshlrev_b64_e32 v[36:37], v45, v[36:37]
	s_delay_alu instid0(VALU_DEP_1)
	v_dual_sub_nc_u32 v9, 29, v9 :: v_dual_bitop2_b32 v36, 7, v36 bitop3:0x40
; %bb.2101:                             ;   in Loop: Header=BB342_1066 Depth=1
	s_or_b32 exec_lo, exec_lo, s19
	s_delay_alu instid0(VALU_DEP_1) | instskip(NEXT) | instid1(VALU_DEP_2)
	v_dual_lshlrev_b32 v22, 16, v22 :: v_dual_lshlrev_b32 v36, 20, v36
	v_lshl_add_u32 v9, v9, 23, 0x3c000000
	s_delay_alu instid0(VALU_DEP_2) | instskip(NEXT) | instid1(VALU_DEP_1)
	v_and_b32_e32 v22, 0x80000000, v22
	v_or3_b32 v9, v36, v22, v9
.LBB342_2102:                           ;   in Loop: Header=BB342_1066 Depth=1
	s_or_b32 exec_lo, exec_lo, s18
.LBB342_2103:                           ;   in Loop: Header=BB342_1066 Depth=1
	s_delay_alu instid0(SALU_CYCLE_1)
	s_or_b32 exec_lo, exec_lo, s17
.LBB342_2104:                           ;   in Loop: Header=BB342_1066 Depth=1
	s_delay_alu instid0(SALU_CYCLE_1) | instskip(SKIP_3) | instid1(VALU_DEP_2)
	s_or_b32 exec_lo, exec_lo, s16
	v_dual_lshrrev_b32 v47, 16, v35 :: v_dual_mov_b32 v45, 0
	v_mov_b32_e32 v46, 0
	s_mov_b32 s16, exec_lo
	v_and_b32_e32 v22, 0xff, v47
	s_delay_alu instid0(VALU_DEP_1)
	v_cmpx_ne_u16_e32 0, v22
	s_cbranch_execz .LBB342_2112
; %bb.2105:                             ;   in Loop: Header=BB342_1066 Depth=1
	v_bfrev_b32_e32 v46, 1
	s_mov_b32 s17, exec_lo
	v_cmpx_ne_u16_e32 0x80, v22
	s_cbranch_execz .LBB342_2111
; %bb.2106:                             ;   in Loop: Header=BB342_1066 Depth=1
	v_bfe_u32 v56, v35, 16, 7
	v_mov_b32_e32 v46, 0x7f800001
	s_mov_b32 s18, exec_lo
	s_delay_alu instid0(VALU_DEP_2)
	v_cmpx_ne_u32_e32 0x7f, v56
	s_cbranch_execz .LBB342_2110
; %bb.2107:                             ;   in Loop: Header=BB342_1066 Depth=1
	v_and_b32_e32 v22, 7, v47
	s_mov_b32 s19, exec_lo
	s_delay_alu instid0(VALU_DEP_1)
	v_mov_b64_e32 v[36:37], v[22:23]
	v_lshrrev_b32_e32 v37, 3, v56
	v_cmpx_gt_u32_e32 8, v56
; %bb.2108:                             ;   in Loop: Header=BB342_1066 Depth=1
	v_clz_i32_u32_e32 v36, v22
	s_delay_alu instid0(VALU_DEP_1) | instskip(NEXT) | instid1(VALU_DEP_1)
	v_min_u32_e32 v46, 32, v36
	v_subrev_nc_u32_e32 v36, 28, v46
	s_delay_alu instid0(VALU_DEP_1) | instskip(NEXT) | instid1(VALU_DEP_1)
	v_lshlrev_b64_e32 v[36:37], v36, v[22:23]
	v_dual_sub_nc_u32 v37, 29, v46 :: v_dual_bitop2_b32 v36, 7, v36 bitop3:0x40
; %bb.2109:                             ;   in Loop: Header=BB342_1066 Depth=1
	s_or_b32 exec_lo, exec_lo, s19
	s_delay_alu instid0(VALU_DEP_1) | instskip(NEXT) | instid1(VALU_DEP_2)
	v_dual_lshlrev_b32 v22, 24, v47 :: v_dual_lshlrev_b32 v36, 20, v36
	v_lshl_add_u32 v37, v37, 23, 0x3c000000
	s_delay_alu instid0(VALU_DEP_2) | instskip(NEXT) | instid1(VALU_DEP_1)
	v_and_b32_e32 v22, 0x80000000, v22
	v_or3_b32 v46, v36, v22, v37
.LBB342_2110:                           ;   in Loop: Header=BB342_1066 Depth=1
	s_or_b32 exec_lo, exec_lo, s18
.LBB342_2111:                           ;   in Loop: Header=BB342_1066 Depth=1
	s_delay_alu instid0(SALU_CYCLE_1)
	s_or_b32 exec_lo, exec_lo, s17
.LBB342_2112:                           ;   in Loop: Header=BB342_1066 Depth=1
	s_delay_alu instid0(SALU_CYCLE_1) | instskip(NEXT) | instid1(SALU_CYCLE_1)
	s_or_b32 exec_lo, exec_lo, s16
	s_mov_b32 s16, exec_lo
	v_cmpx_lt_u64_e64 s[2:3], v[34:35]
	s_cbranch_execz .LBB342_2120
; %bb.2113:                             ;   in Loop: Header=BB342_1066 Depth=1
	v_lshrrev_b32_e32 v36, 24, v35
	v_bfrev_b32_e32 v45, 1
	s_mov_b32 s17, exec_lo
	s_delay_alu instid0(VALU_DEP_2)
	v_cmpx_ne_u32_e32 0x80, v36
	s_cbranch_execz .LBB342_2119
; %bb.2114:                             ;   in Loop: Header=BB342_1066 Depth=1
	v_bfe_u32 v37, v35, 24, 7
	v_mov_b32_e32 v45, 0x7f800001
	s_mov_b32 s18, exec_lo
	s_delay_alu instid0(VALU_DEP_2)
	v_cmpx_ne_u32_e32 0x7f, v37
	s_cbranch_execz .LBB342_2118
; %bb.2115:                             ;   in Loop: Header=BB342_1066 Depth=1
	v_and_b32_e32 v22, 7, v36
	s_mov_b32 s19, exec_lo
	s_delay_alu instid0(VALU_DEP_1)
	v_mov_b64_e32 v[34:35], v[22:23]
	v_lshrrev_b32_e32 v35, 3, v37
	v_cmpx_gt_u32_e32 8, v37
; %bb.2116:                             ;   in Loop: Header=BB342_1066 Depth=1
	v_clz_i32_u32_e32 v34, v22
	s_delay_alu instid0(VALU_DEP_1) | instskip(NEXT) | instid1(VALU_DEP_1)
	v_min_u32_e32 v37, 32, v34
	v_subrev_nc_u32_e32 v34, 28, v37
	s_delay_alu instid0(VALU_DEP_1) | instskip(NEXT) | instid1(VALU_DEP_1)
	v_lshlrev_b64_e32 v[34:35], v34, v[22:23]
	v_dual_sub_nc_u32 v35, 29, v37 :: v_dual_bitop2_b32 v34, 7, v34 bitop3:0x40
; %bb.2117:                             ;   in Loop: Header=BB342_1066 Depth=1
	s_or_b32 exec_lo, exec_lo, s19
	s_delay_alu instid0(VALU_DEP_1) | instskip(NEXT) | instid1(VALU_DEP_2)
	v_dual_lshlrev_b32 v22, 24, v36 :: v_dual_lshlrev_b32 v34, 20, v34
	v_lshl_add_u32 v35, v35, 23, 0x3c000000
	s_delay_alu instid0(VALU_DEP_2) | instskip(NEXT) | instid1(VALU_DEP_1)
	v_and_b32_e32 v22, 0x80000000, v22
	v_or3_b32 v45, v34, v22, v35
.LBB342_2118:                           ;   in Loop: Header=BB342_1066 Depth=1
	s_or_b32 exec_lo, exec_lo, s18
.LBB342_2119:                           ;   in Loop: Header=BB342_1066 Depth=1
	s_delay_alu instid0(SALU_CYCLE_1)
	s_or_b32 exec_lo, exec_lo, s17
.LBB342_2120:                           ;   in Loop: Header=BB342_1066 Depth=1
	s_delay_alu instid0(SALU_CYCLE_1)
	s_or_b32 exec_lo, exec_lo, s16
	v_fma_mixlo_bf16 v9, v55, v9, 0
	v_fma_mixlo_bf16 v34, v55, v44, 0
	;; [unrolled: 1-line block ×8, first 2 shown]
	s_and_saveexec_b32 s1, vcc_lo
	s_cbranch_execz .LBB342_1065
; %bb.2121:                             ;   in Loop: Header=BB342_1066 Depth=1
	v_cmp_lt_i32_e32 vcc_lo, v102, v52
	v_cndmask_b32_e32 v38, 0, v38, vcc_lo
	v_cmp_lt_i32_e32 vcc_lo, v114, v52
	v_cndmask_b32_e32 v37, 0, v37, vcc_lo
	;; [unrolled: 2-line block ×8, first 2 shown]
	s_branch .LBB342_1065
.LBB342_2122:
	s_or_b32 exec_lo, exec_lo, s5
	s_clause 0x1
	scratch_load_b32 v48, off, s32 offset:400
	scratch_load_b32 v33, off, s32 offset:404
	v_mov_b64_e32 v[4:5], s[10:11]
.LBB342_2123:
	s_wait_xcnt 0x0
	s_or_b32 exec_lo, exec_lo, s4
	s_delay_alu instid0(VALU_DEP_1)
	v_lshl_add_u64 v[0:1], v[4:5], 2, s[8:9]
	s_wait_loadcnt 0x0
	s_wait_storecnt 0x0
	s_barrier_signal -1
	s_barrier_wait -1
	global_load_b32 v0, v[0:1], off
	scratch_load_b32 v1, off, s32 offset:824 ; 4-byte Folded Reload
	ds_bpermute_b32 v2, v33, v30
	ds_bpermute_b32 v3, v33, v31
	;; [unrolled: 1-line block ×14, first 2 shown]
	s_mov_b32 s1, exec_lo
	ds_bpermute_b32 v32, v33, v12
	ds_bpermute_b32 v33, v33, v13
	s_wait_dscnt 0xe
	v_pk_add_f32 v[22:23], v[30:31], v[2:3]
	s_wait_dscnt 0xc
	v_pk_add_f32 v[18:19], v[28:29], v[4:5]
	;; [unrolled: 2-line block ×7, first 2 shown]
	v_lshrrev_b32_e32 v14, 1, v48
	s_wait_loadcnt 0x0
	v_and_b32_e32 v1, 0x3c1, v1
	s_delay_alu instid0(VALU_DEP_1) | instskip(SKIP_1) | instid1(SALU_CYCLE_1)
	v_cmpx_ne_u32_e32 64, v1
	s_xor_b32 s1, exec_lo, s1
	s_or_saveexec_b32 s1, s1
	scratch_load_b32 v15, off, s32 offset:836 th:TH_LOAD_LU ; 4-byte Folded Reload
	s_wait_dscnt 0x0
	v_pk_add_f32 v[12:13], v[12:13], v[32:33]
	v_lshl_add_u32 v1, v14, 2, v0
	s_wait_loadcnt 0x0
	v_lshlrev_b32_e32 v15, 10, v15
	s_xor_b32 exec_lo, exec_lo, s1
	s_cbranch_execz .LBB342_2125
; %bb.2124:
	s_delay_alu instid0(VALU_DEP_1) | instskip(NEXT) | instid1(VALU_DEP_1)
	v_add_nc_u32_e32 v16, v1, v15
	v_add_nc_u32_e32 v17, 0xfffff800, v16
	;; [unrolled: 1-line block ×9, first 2 shown]
	ds_store_b32 v17, v22
	ds_store_b32 v20, v23
	;; [unrolled: 1-line block ×8, first 2 shown]
	v_add_nc_u32_e32 v17, 0xfffffa00, v16
	v_add_nc_u32_e32 v20, 0xfffffa40, v16
	v_add_nc_u32_e32 v21, 0xfffffa80, v16
	v_add_nc_u32_e32 v24, 0xfffffac0, v16
	v_add_nc_u32_e32 v25, 0xfffffb00, v16
	v_add_nc_u32_e32 v26, 0xfffffb40, v16
	v_add_nc_u32_e32 v27, 0xfffffb80, v16
	v_add_nc_u32_e32 v16, 0xfffffbc0, v16
	ds_store_b32 v17, v6
	ds_store_b32 v20, v7
	;; [unrolled: 1-line block ×8, first 2 shown]
.LBB342_2125:
	s_or_b32 exec_lo, exec_lo, s1
	scratch_load_b32 v16, off, s32 offset:840 th:TH_LOAD_LU ; 4-byte Folded Reload
	v_lshlrev_b32_e32 v14, 2, v14
	s_wait_loadcnt_dscnt 0x0
	s_barrier_signal -1
	s_barrier_wait -1
	s_delay_alu instid0(VALU_DEP_1)
	v_add3_u32 v0, v0, v15, v14
	v_cmp_eq_u32_e32 vcc_lo, 0, v16
	s_and_saveexec_b32 s1, s0
	s_cbranch_execz .LBB342_2144
; %bb.2126:
	s_and_saveexec_b32 s0, vcc_lo
	s_cbranch_execnz .LBB342_2168
; %bb.2127:
	s_or_b32 exec_lo, exec_lo, s0
	s_and_saveexec_b32 s0, vcc_lo
	s_cbranch_execnz .LBB342_2169
.LBB342_2128:
	s_or_b32 exec_lo, exec_lo, s0
	s_and_saveexec_b32 s0, vcc_lo
	s_cbranch_execnz .LBB342_2170
.LBB342_2129:
	s_or_b32 exec_lo, exec_lo, s0
	s_and_saveexec_b32 s0, vcc_lo
	s_cbranch_execnz .LBB342_2171
.LBB342_2130:
	s_or_b32 exec_lo, exec_lo, s0
	s_and_saveexec_b32 s0, vcc_lo
	s_cbranch_execnz .LBB342_2172
.LBB342_2131:
	s_or_b32 exec_lo, exec_lo, s0
	s_and_saveexec_b32 s0, vcc_lo
	s_cbranch_execnz .LBB342_2173
.LBB342_2132:
	s_or_b32 exec_lo, exec_lo, s0
	s_and_saveexec_b32 s0, vcc_lo
	s_cbranch_execnz .LBB342_2174
.LBB342_2133:
	s_or_b32 exec_lo, exec_lo, s0
	s_and_saveexec_b32 s0, vcc_lo
	s_cbranch_execnz .LBB342_2175
.LBB342_2134:
	s_or_b32 exec_lo, exec_lo, s0
	s_and_saveexec_b32 s0, vcc_lo
	s_cbranch_execnz .LBB342_2176
.LBB342_2135:
	s_or_b32 exec_lo, exec_lo, s0
	s_and_saveexec_b32 s0, vcc_lo
	s_cbranch_execnz .LBB342_2177
.LBB342_2136:
	s_or_b32 exec_lo, exec_lo, s0
	s_and_saveexec_b32 s0, vcc_lo
	s_cbranch_execnz .LBB342_2178
.LBB342_2137:
	s_or_b32 exec_lo, exec_lo, s0
	s_and_saveexec_b32 s0, vcc_lo
	s_cbranch_execnz .LBB342_2179
.LBB342_2138:
	s_or_b32 exec_lo, exec_lo, s0
	s_and_saveexec_b32 s0, vcc_lo
	s_cbranch_execnz .LBB342_2180
.LBB342_2139:
	s_or_b32 exec_lo, exec_lo, s0
	s_and_saveexec_b32 s0, vcc_lo
	s_cbranch_execnz .LBB342_2181
.LBB342_2140:
	s_or_b32 exec_lo, exec_lo, s0
	s_and_saveexec_b32 s0, vcc_lo
	s_cbranch_execnz .LBB342_2182
.LBB342_2141:
	s_or_b32 exec_lo, exec_lo, s0
	s_and_saveexec_b32 s0, vcc_lo
	s_cbranch_execz .LBB342_2143
.LBB342_2142:
	ds_load_b32 v14, v0 offset:960
	s_wait_dscnt 0x0
	v_add_f32_e32 v13, v14, v13
.LBB342_2143:
	s_or_b32 exec_lo, exec_lo, s0
.LBB342_2144:
	s_delay_alu instid0(SALU_CYCLE_1)
	s_or_b32 exec_lo, exec_lo, s1
	scratch_load_b32 v14, off, s32 offset:824 ; 4-byte Folded Reload
	s_mov_b32 s1, exec_lo
	s_wait_loadcnt 0x0
	s_barrier_signal -1
	s_barrier_wait -1
	v_and_b32_e32 v14, 0x3e1, v14
	s_wait_xcnt 0x0
	s_delay_alu instid0(VALU_DEP_1)
	v_cmpx_eq_u32_e32 32, v14
	s_cbranch_execz .LBB342_2146
; %bb.2145:
	ds_store_2addr_b32 v1, v22, v23 offset1:16
	ds_store_2addr_b32 v1, v18, v19 offset0:32 offset1:48
	ds_store_2addr_b32 v1, v10, v11 offset0:64 offset1:80
	;; [unrolled: 1-line block ×7, first 2 shown]
.LBB342_2146:
	s_or_b32 exec_lo, exec_lo, s1
	scratch_load_b32 v1, off, s32 offset:824 th:TH_LOAD_LU ; 4-byte Folded Reload
	s_mov_b32 s1, exec_lo
	s_wait_loadcnt_dscnt 0x0
	s_barrier_signal -1
	s_barrier_wait -1
	v_cmpx_gt_u32_e32 32, v1
	s_cbranch_execz .LBB342_2165
; %bb.2147:
	s_and_saveexec_b32 s0, vcc_lo
	s_cbranch_execnz .LBB342_2183
; %bb.2148:
	s_or_b32 exec_lo, exec_lo, s0
	s_and_saveexec_b32 s0, vcc_lo
	s_cbranch_execnz .LBB342_2184
.LBB342_2149:
	s_or_b32 exec_lo, exec_lo, s0
	s_and_saveexec_b32 s0, vcc_lo
	s_cbranch_execnz .LBB342_2185
.LBB342_2150:
	s_or_b32 exec_lo, exec_lo, s0
	s_and_saveexec_b32 s0, vcc_lo
	s_cbranch_execnz .LBB342_2186
.LBB342_2151:
	s_or_b32 exec_lo, exec_lo, s0
	s_and_saveexec_b32 s0, vcc_lo
	s_cbranch_execnz .LBB342_2187
.LBB342_2152:
	s_or_b32 exec_lo, exec_lo, s0
	s_and_saveexec_b32 s0, vcc_lo
	s_cbranch_execnz .LBB342_2188
.LBB342_2153:
	s_or_b32 exec_lo, exec_lo, s0
	s_and_saveexec_b32 s0, vcc_lo
	s_cbranch_execnz .LBB342_2189
.LBB342_2154:
	s_or_b32 exec_lo, exec_lo, s0
	s_and_saveexec_b32 s0, vcc_lo
	s_cbranch_execnz .LBB342_2190
.LBB342_2155:
	s_or_b32 exec_lo, exec_lo, s0
	s_and_saveexec_b32 s0, vcc_lo
	s_cbranch_execnz .LBB342_2191
.LBB342_2156:
	s_or_b32 exec_lo, exec_lo, s0
	s_and_saveexec_b32 s0, vcc_lo
	s_cbranch_execnz .LBB342_2192
.LBB342_2157:
	s_or_b32 exec_lo, exec_lo, s0
	s_and_saveexec_b32 s0, vcc_lo
	s_cbranch_execnz .LBB342_2193
.LBB342_2158:
	s_or_b32 exec_lo, exec_lo, s0
	s_and_saveexec_b32 s0, vcc_lo
	s_cbranch_execnz .LBB342_2194
.LBB342_2159:
	s_or_b32 exec_lo, exec_lo, s0
	s_and_saveexec_b32 s0, vcc_lo
	s_cbranch_execnz .LBB342_2195
.LBB342_2160:
	s_or_b32 exec_lo, exec_lo, s0
	s_and_saveexec_b32 s0, vcc_lo
	s_cbranch_execnz .LBB342_2196
.LBB342_2161:
	s_or_b32 exec_lo, exec_lo, s0
	s_and_saveexec_b32 s0, vcc_lo
	s_cbranch_execnz .LBB342_2197
.LBB342_2162:
	s_or_b32 exec_lo, exec_lo, s0
	s_and_saveexec_b32 s0, vcc_lo
	s_cbranch_execz .LBB342_2164
.LBB342_2163:
	ds_load_b32 v0, v0 offset:960
	s_wait_dscnt 0x0
	v_add_f32_e32 v13, v0, v13
.LBB342_2164:
	s_or_b32 exec_lo, exec_lo, s0
.LBB342_2165:
	s_delay_alu instid0(SALU_CYCLE_1)
	s_or_b32 exec_lo, exec_lo, s1
	s_mov_b32 s1, 0
	s_mov_b32 s2, exec_lo
	s_barrier_signal -1
	s_barrier_wait -1
	v_cmpx_eq_u32_e32 0, v14
	s_cbranch_execz .LBB342_2167
; %bb.2166:
	s_clause 0x1
	scratch_load_b64 v[0:1], off, s32 offset:848 th:TH_LOAD_LU
	scratch_load_b32 v14, off, s32 offset:844 th:TH_LOAD_LU
	s_and_b32 s0, 0xffff, s15
	v_mov_b32_e32 v15, 0
	s_cmp_lg_u32 s0, 0
	s_cselect_b32 s0, -1, 0
	s_delay_alu instid0(SALU_CYCLE_1)
	s_cmp_lg_u32 s0, 0
	s_wait_kmcnt 0x0
	s_add_co_ci_u32 s0, s7, 0
	s_bfe_u32 s7, ttmp6, 0x40014
	s_mul_i32 s4, s13, s0
	s_lshr_b32 s3, ttmp7, 16
	s_mul_i32 s4, s4, s14
	s_add_co_i32 s7, s7, 1
	s_lshl_b32 s4, s4, 8
	s_bfe_u32 s8, ttmp6, 0x40008
	s_ashr_i32 s5, s4, 31
	s_mul_i32 s6, s6, s0
	s_mul_i32 s0, s3, s7
	s_ashr_i32 s7, s6, 31
	s_add_co_i32 s8, s8, s0
	s_cmp_eq_u32 s12, 0
	s_cselect_b32 s0, s3, s8
	s_delay_alu instid0(SALU_CYCLE_1) | instskip(NEXT) | instid1(SALU_CYCLE_1)
	s_lshl_b32 s0, s0, 9
	v_cvt_pk_bf16_f32 v16, v22, s0
	v_cvt_pk_bf16_f32 v6, v6, s0
	;; [unrolled: 1-line block ×13, first 2 shown]
	s_wait_loadcnt 0x1
	v_lshl_add_u64 v[0:1], s[4:5], 1, v[0:1]
	s_wait_loadcnt 0x0
	v_lshlrev_b32_e32 v14, 1, v14
	s_delay_alu instid0(VALU_DEP_2) | instskip(NEXT) | instid1(VALU_DEP_1)
	v_lshl_add_u64 v[0:1], s[6:7], 1, v[0:1]
	v_add_nc_u64_e32 v[0:1], s[0:1], v[0:1]
	s_delay_alu instid0(VALU_DEP_1)
	v_add_nc_u64_e32 v[0:1], v[0:1], v[14:15]
	v_cvt_pk_bf16_f32 v14, v19, s0
	s_clause 0x7
	flat_store_b16 v[0:1], v16
	flat_store_b16 v[0:1], v17 offset:32
	flat_store_b16 v[0:1], v18 offset:64
	;; [unrolled: 1-line block ×7, first 2 shown]
	s_wait_xcnt 0x1
	v_cvt_pk_bf16_f32 v8, v12, s0
	s_wait_xcnt 0x0
	v_cvt_pk_bf16_f32 v9, v13, s0
	s_clause 0x7
	flat_store_b16 v[0:1], v6 offset:256
	flat_store_b16 v[0:1], v7 offset:288
	;; [unrolled: 1-line block ×8, first 2 shown]
.LBB342_2167:
	s_wait_xcnt 0x0
	s_or_b32 exec_lo, exec_lo, s2
	s_clause 0x2f
	scratch_load_b32 v127, off, s32
	scratch_load_b32 v126, off, s32 offset:4
	scratch_load_b32 v125, off, s32 offset:8
	;; [unrolled: 1-line block ×47, first 2 shown]
	s_wait_loadcnt_dscnt 0x0
	s_wait_kmcnt 0x0
	s_set_pc_i64 s[30:31]
.LBB342_2168:
	ds_load_b32 v14, v0
	s_wait_dscnt 0x0
	v_add_f32_e32 v22, v14, v22
	s_or_b32 exec_lo, exec_lo, s0
	s_and_saveexec_b32 s0, vcc_lo
	s_cbranch_execz .LBB342_2128
.LBB342_2169:
	ds_load_b32 v14, v0 offset:64
	s_wait_dscnt 0x0
	v_add_f32_e32 v23, v14, v23
	s_or_b32 exec_lo, exec_lo, s0
	s_and_saveexec_b32 s0, vcc_lo
	s_cbranch_execz .LBB342_2129
.LBB342_2170:
	ds_load_b32 v14, v0 offset:128
	s_wait_dscnt 0x0
	v_add_f32_e32 v18, v14, v18
	s_or_b32 exec_lo, exec_lo, s0
	s_and_saveexec_b32 s0, vcc_lo
	s_cbranch_execz .LBB342_2130
.LBB342_2171:
	ds_load_b32 v14, v0 offset:192
	s_wait_dscnt 0x0
	v_add_f32_e32 v19, v14, v19
	s_or_b32 exec_lo, exec_lo, s0
	s_and_saveexec_b32 s0, vcc_lo
	s_cbranch_execz .LBB342_2131
.LBB342_2172:
	ds_load_b32 v14, v0 offset:256
	s_wait_dscnt 0x0
	v_add_f32_e32 v10, v14, v10
	s_or_b32 exec_lo, exec_lo, s0
	s_and_saveexec_b32 s0, vcc_lo
	s_cbranch_execz .LBB342_2132
.LBB342_2173:
	ds_load_b32 v14, v0 offset:320
	s_wait_dscnt 0x0
	v_add_f32_e32 v11, v14, v11
	s_or_b32 exec_lo, exec_lo, s0
	s_and_saveexec_b32 s0, vcc_lo
	s_cbranch_execz .LBB342_2133
.LBB342_2174:
	ds_load_b32 v14, v0 offset:384
	s_wait_dscnt 0x0
	v_add_f32_e32 v8, v14, v8
	s_or_b32 exec_lo, exec_lo, s0
	s_and_saveexec_b32 s0, vcc_lo
	s_cbranch_execz .LBB342_2134
.LBB342_2175:
	ds_load_b32 v14, v0 offset:448
	s_wait_dscnt 0x0
	v_add_f32_e32 v9, v14, v9
	s_or_b32 exec_lo, exec_lo, s0
	s_and_saveexec_b32 s0, vcc_lo
	s_cbranch_execz .LBB342_2135
.LBB342_2176:
	ds_load_b32 v14, v0 offset:512
	s_wait_dscnt 0x0
	v_add_f32_e32 v6, v14, v6
	s_or_b32 exec_lo, exec_lo, s0
	s_and_saveexec_b32 s0, vcc_lo
	s_cbranch_execz .LBB342_2136
.LBB342_2177:
	ds_load_b32 v14, v0 offset:576
	s_wait_dscnt 0x0
	v_add_f32_e32 v7, v14, v7
	s_or_b32 exec_lo, exec_lo, s0
	s_and_saveexec_b32 s0, vcc_lo
	s_cbranch_execz .LBB342_2137
.LBB342_2178:
	ds_load_b32 v14, v0 offset:640
	s_wait_dscnt 0x0
	v_add_f32_e32 v4, v14, v4
	s_or_b32 exec_lo, exec_lo, s0
	s_and_saveexec_b32 s0, vcc_lo
	s_cbranch_execz .LBB342_2138
.LBB342_2179:
	ds_load_b32 v14, v0 offset:704
	s_wait_dscnt 0x0
	v_add_f32_e32 v5, v14, v5
	s_or_b32 exec_lo, exec_lo, s0
	s_and_saveexec_b32 s0, vcc_lo
	s_cbranch_execz .LBB342_2139
.LBB342_2180:
	ds_load_b32 v14, v0 offset:768
	s_wait_dscnt 0x0
	v_add_f32_e32 v2, v14, v2
	s_or_b32 exec_lo, exec_lo, s0
	s_and_saveexec_b32 s0, vcc_lo
	s_cbranch_execz .LBB342_2140
.LBB342_2181:
	ds_load_b32 v14, v0 offset:832
	s_wait_dscnt 0x0
	v_add_f32_e32 v3, v14, v3
	s_or_b32 exec_lo, exec_lo, s0
	s_and_saveexec_b32 s0, vcc_lo
	s_cbranch_execz .LBB342_2141
.LBB342_2182:
	ds_load_b32 v14, v0 offset:896
	s_wait_dscnt 0x0
	v_add_f32_e32 v12, v14, v12
	s_or_b32 exec_lo, exec_lo, s0
	s_and_saveexec_b32 s0, vcc_lo
	s_cbranch_execnz .LBB342_2142
	s_branch .LBB342_2143
.LBB342_2183:
	ds_load_b32 v1, v0
	s_wait_dscnt 0x0
	v_add_f32_e32 v22, v1, v22
	s_or_b32 exec_lo, exec_lo, s0
	s_and_saveexec_b32 s0, vcc_lo
	s_cbranch_execz .LBB342_2149
.LBB342_2184:
	ds_load_b32 v1, v0 offset:64
	s_wait_dscnt 0x0
	v_add_f32_e32 v23, v1, v23
	s_or_b32 exec_lo, exec_lo, s0
	s_and_saveexec_b32 s0, vcc_lo
	s_cbranch_execz .LBB342_2150
.LBB342_2185:
	ds_load_b32 v1, v0 offset:128
	s_wait_dscnt 0x0
	v_add_f32_e32 v18, v1, v18
	s_or_b32 exec_lo, exec_lo, s0
	s_and_saveexec_b32 s0, vcc_lo
	s_cbranch_execz .LBB342_2151
.LBB342_2186:
	ds_load_b32 v1, v0 offset:192
	s_wait_dscnt 0x0
	v_add_f32_e32 v19, v1, v19
	s_or_b32 exec_lo, exec_lo, s0
	s_and_saveexec_b32 s0, vcc_lo
	s_cbranch_execz .LBB342_2152
.LBB342_2187:
	ds_load_b32 v1, v0 offset:256
	s_wait_dscnt 0x0
	v_add_f32_e32 v10, v1, v10
	s_or_b32 exec_lo, exec_lo, s0
	s_and_saveexec_b32 s0, vcc_lo
	s_cbranch_execz .LBB342_2153
.LBB342_2188:
	ds_load_b32 v1, v0 offset:320
	s_wait_dscnt 0x0
	v_add_f32_e32 v11, v1, v11
	s_or_b32 exec_lo, exec_lo, s0
	s_and_saveexec_b32 s0, vcc_lo
	s_cbranch_execz .LBB342_2154
.LBB342_2189:
	ds_load_b32 v1, v0 offset:384
	s_wait_dscnt 0x0
	v_add_f32_e32 v8, v1, v8
	s_or_b32 exec_lo, exec_lo, s0
	s_and_saveexec_b32 s0, vcc_lo
	s_cbranch_execz .LBB342_2155
.LBB342_2190:
	ds_load_b32 v1, v0 offset:448
	s_wait_dscnt 0x0
	v_add_f32_e32 v9, v1, v9
	s_or_b32 exec_lo, exec_lo, s0
	s_and_saveexec_b32 s0, vcc_lo
	s_cbranch_execz .LBB342_2156
.LBB342_2191:
	ds_load_b32 v1, v0 offset:512
	s_wait_dscnt 0x0
	v_add_f32_e32 v6, v1, v6
	s_or_b32 exec_lo, exec_lo, s0
	s_and_saveexec_b32 s0, vcc_lo
	s_cbranch_execz .LBB342_2157
.LBB342_2192:
	ds_load_b32 v1, v0 offset:576
	s_wait_dscnt 0x0
	v_add_f32_e32 v7, v1, v7
	s_or_b32 exec_lo, exec_lo, s0
	s_and_saveexec_b32 s0, vcc_lo
	s_cbranch_execz .LBB342_2158
.LBB342_2193:
	ds_load_b32 v1, v0 offset:640
	s_wait_dscnt 0x0
	v_add_f32_e32 v4, v1, v4
	s_or_b32 exec_lo, exec_lo, s0
	s_and_saveexec_b32 s0, vcc_lo
	s_cbranch_execz .LBB342_2159
.LBB342_2194:
	ds_load_b32 v1, v0 offset:704
	s_wait_dscnt 0x0
	v_add_f32_e32 v5, v1, v5
	s_or_b32 exec_lo, exec_lo, s0
	s_and_saveexec_b32 s0, vcc_lo
	s_cbranch_execz .LBB342_2160
.LBB342_2195:
	ds_load_b32 v1, v0 offset:768
	s_wait_dscnt 0x0
	v_add_f32_e32 v2, v1, v2
	s_or_b32 exec_lo, exec_lo, s0
	s_and_saveexec_b32 s0, vcc_lo
	s_cbranch_execz .LBB342_2161
.LBB342_2196:
	ds_load_b32 v1, v0 offset:832
	s_wait_dscnt 0x0
	v_add_f32_e32 v3, v1, v3
	s_or_b32 exec_lo, exec_lo, s0
	s_and_saveexec_b32 s0, vcc_lo
	s_cbranch_execz .LBB342_2162
.LBB342_2197:
	ds_load_b32 v1, v0 offset:896
	s_wait_dscnt 0x0
	v_add_f32_e32 v12, v1, v12
	s_or_b32 exec_lo, exec_lo, s0
	s_and_saveexec_b32 s0, vcc_lo
	s_cbranch_execnz .LBB342_2163
	s_branch .LBB342_2164
.Lfunc_end342:
	.size	_ZN4vllm22paged_attention_kernelI14__hip_bfloat16hLi256ELi16ELi128ELNS_18Fp8KVCacheDataTypeE1ELb0ELi0EEEvPfS3_PT_PKS4_PKT0_SA_ifPKiSC_iPKfiiiSE_SE_iiiii, .Lfunc_end342-_ZN4vllm22paged_attention_kernelI14__hip_bfloat16hLi256ELi16ELi128ELNS_18Fp8KVCacheDataTypeE1ELb0ELi0EEEvPfS3_PT_PKS4_PKT0_SA_ifPKiSC_iPKfiiiSE_SE_iiiii
                                        ; -- End function
	.set .L_ZN4vllm22paged_attention_kernelI14__hip_bfloat16hLi256ELi16ELi128ELNS_18Fp8KVCacheDataTypeE1ELb0ELi0EEEvPfS3_PT_PKS4_PKT0_SA_ifPKiSC_iPKfiiiSE_SE_iiiii.num_vgpr, 128
	.set .L_ZN4vllm22paged_attention_kernelI14__hip_bfloat16hLi256ELi16ELi128ELNS_18Fp8KVCacheDataTypeE1ELb0ELi0EEEvPfS3_PT_PKS4_PKT0_SA_ifPKiSC_iPKfiiiSE_SE_iiiii.num_agpr, 0
	.set .L_ZN4vllm22paged_attention_kernelI14__hip_bfloat16hLi256ELi16ELi128ELNS_18Fp8KVCacheDataTypeE1ELb0ELi0EEEvPfS3_PT_PKS4_PKT0_SA_ifPKiSC_iPKfiiiSE_SE_iiiii.numbered_sgpr, 33
	.set .L_ZN4vllm22paged_attention_kernelI14__hip_bfloat16hLi256ELi16ELi128ELNS_18Fp8KVCacheDataTypeE1ELb0ELi0EEEvPfS3_PT_PKS4_PKT0_SA_ifPKiSC_iPKfiiiSE_SE_iiiii.num_named_barrier, 0
	.set .L_ZN4vllm22paged_attention_kernelI14__hip_bfloat16hLi256ELi16ELi128ELNS_18Fp8KVCacheDataTypeE1ELb0ELi0EEEvPfS3_PT_PKS4_PKT0_SA_ifPKiSC_iPKfiiiSE_SE_iiiii.private_seg_size, 916
	.set .L_ZN4vllm22paged_attention_kernelI14__hip_bfloat16hLi256ELi16ELi128ELNS_18Fp8KVCacheDataTypeE1ELb0ELi0EEEvPfS3_PT_PKS4_PKT0_SA_ifPKiSC_iPKfiiiSE_SE_iiiii.uses_vcc, 1
	.set .L_ZN4vllm22paged_attention_kernelI14__hip_bfloat16hLi256ELi16ELi128ELNS_18Fp8KVCacheDataTypeE1ELb0ELi0EEEvPfS3_PT_PKS4_PKT0_SA_ifPKiSC_iPKfiiiSE_SE_iiiii.uses_flat_scratch, 1
	.set .L_ZN4vllm22paged_attention_kernelI14__hip_bfloat16hLi256ELi16ELi128ELNS_18Fp8KVCacheDataTypeE1ELb0ELi0EEEvPfS3_PT_PKS4_PKT0_SA_ifPKiSC_iPKfiiiSE_SE_iiiii.has_dyn_sized_stack, 0
	.set .L_ZN4vllm22paged_attention_kernelI14__hip_bfloat16hLi256ELi16ELi128ELNS_18Fp8KVCacheDataTypeE1ELb0ELi0EEEvPfS3_PT_PKS4_PKT0_SA_ifPKiSC_iPKfiiiSE_SE_iiiii.has_recursion, 0
	.set .L_ZN4vllm22paged_attention_kernelI14__hip_bfloat16hLi256ELi16ELi128ELNS_18Fp8KVCacheDataTypeE1ELb0ELi0EEEvPfS3_PT_PKS4_PKT0_SA_ifPKiSC_iPKfiiiSE_SE_iiiii.has_indirect_call, 0
	.section	.AMDGPU.csdata,"",@progbits
; Function info:
; codeLenInByte = 82404
; TotalNumSgprs: 35
; NumVgprs: 128
; ScratchSize: 916
; MemoryBound: 0
	.section	.text._ZN4vllm25paged_attention_v1_kernelI14__hip_bfloat16hLi256ELi16ELi128ELNS_18Fp8KVCacheDataTypeE1ELb0EEEvPT_PKS3_PKT0_S9_ifPKiSB_iPKfiiiSD_SD_iiiii,"axG",@progbits,_ZN4vllm25paged_attention_v1_kernelI14__hip_bfloat16hLi256ELi16ELi128ELNS_18Fp8KVCacheDataTypeE1ELb0EEEvPT_PKS3_PKT0_S9_ifPKiSB_iPKfiiiSD_SD_iiiii,comdat
	.protected	_ZN4vllm25paged_attention_v1_kernelI14__hip_bfloat16hLi256ELi16ELi128ELNS_18Fp8KVCacheDataTypeE1ELb0EEEvPT_PKS3_PKT0_S9_ifPKiSB_iPKfiiiSD_SD_iiiii ; -- Begin function _ZN4vllm25paged_attention_v1_kernelI14__hip_bfloat16hLi256ELi16ELi128ELNS_18Fp8KVCacheDataTypeE1ELb0EEEvPT_PKS3_PKT0_S9_ifPKiSB_iPKfiiiSD_SD_iiiii
	.globl	_ZN4vllm25paged_attention_v1_kernelI14__hip_bfloat16hLi256ELi16ELi128ELNS_18Fp8KVCacheDataTypeE1ELb0EEEvPT_PKS3_PKT0_S9_ifPKiSB_iPKfiiiSD_SD_iiiii
	.p2align	8
	.type	_ZN4vllm25paged_attention_v1_kernelI14__hip_bfloat16hLi256ELi16ELi128ELNS_18Fp8KVCacheDataTypeE1ELb0EEEvPT_PKS3_PKT0_S9_ifPKiSB_iPKfiiiSD_SD_iiiii,@function
_ZN4vllm25paged_attention_v1_kernelI14__hip_bfloat16hLi256ELi16ELi128ELNS_18Fp8KVCacheDataTypeE1ELb0EEEvPT_PKS3_PKT0_S9_ifPKiSB_iPKfiiiSD_SD_iiiii: ; @_ZN4vllm25paged_attention_v1_kernelI14__hip_bfloat16hLi256ELi16ELi128ELNS_18Fp8KVCacheDataTypeE1ELb0EEEvPT_PKS3_PKT0_S9_ifPKiSB_iPKfiiiSD_SD_iiiii
; %bb.0:
	s_clause 0x5
	s_load_b256 s[12:19], s[0:1], 0x0
	s_load_b128 s[4:7], s[0:1], 0x20
	s_load_b96 s[20:22], s[0:1], 0x30
	s_load_b64 s[10:11], s[0:1], 0x40
	s_load_b96 s[28:30], s[0:1], 0x48
	s_load_b128 s[24:27], s[0:1], 0x58
	v_mov_b32_e32 v31, v0
	s_get_pc_i64 s[2:3]
	s_add_nc_u64 s[2:3], s[2:3], _ZN4vllm22paged_attention_kernelI14__hip_bfloat16hLi256ELi16ELi128ELNS_18Fp8KVCacheDataTypeE1ELb0ELi0EEEvPfS3_PT_PKS4_PKT0_SA_ifPKiSC_iPKfiiiSE_SE_iiiii@rel64+4
	s_add_nc_u64 s[8:9], s[0:1], 0x80
	s_mov_b32 s32, 0
	s_wait_kmcnt 0x0
	v_dual_mov_b32 v0, s12 :: v_dual_mov_b32 v1, s13
	v_dual_mov_b32 v2, s14 :: v_dual_mov_b32 v3, s15
	;; [unrolled: 1-line block ×12, first 2 shown]
	s_mov_b32 s15, 10
	s_swap_pc_i64 s[30:31], s[2:3]
	s_endpgm
	.section	.rodata,"a",@progbits
	.p2align	6, 0x0
	.amdhsa_kernel _ZN4vllm25paged_attention_v1_kernelI14__hip_bfloat16hLi256ELi16ELi128ELNS_18Fp8KVCacheDataTypeE1ELb0EEEvPT_PKS3_PKT0_S9_ifPKiSB_iPKfiiiSD_SD_iiiii
		.amdhsa_group_segment_fixed_size 544
		.amdhsa_private_segment_fixed_size 916
		.amdhsa_kernarg_size 384
		.amdhsa_user_sgpr_count 2
		.amdhsa_user_sgpr_dispatch_ptr 0
		.amdhsa_user_sgpr_queue_ptr 0
		.amdhsa_user_sgpr_kernarg_segment_ptr 1
		.amdhsa_user_sgpr_dispatch_id 0
		.amdhsa_user_sgpr_kernarg_preload_length 0
		.amdhsa_user_sgpr_kernarg_preload_offset 0
		.amdhsa_user_sgpr_private_segment_size 0
		.amdhsa_wavefront_size32 1
		.amdhsa_uses_dynamic_stack 0
		.amdhsa_enable_private_segment 1
		.amdhsa_system_sgpr_workgroup_id_x 1
		.amdhsa_system_sgpr_workgroup_id_y 1
		.amdhsa_system_sgpr_workgroup_id_z 1
		.amdhsa_system_sgpr_workgroup_info 0
		.amdhsa_system_vgpr_workitem_id 0
		.amdhsa_next_free_vgpr 128
		.amdhsa_next_free_sgpr 33
		.amdhsa_named_barrier_count 0
		.amdhsa_reserve_vcc 1
		.amdhsa_float_round_mode_32 0
		.amdhsa_float_round_mode_16_64 0
		.amdhsa_float_denorm_mode_32 3
		.amdhsa_float_denorm_mode_16_64 3
		.amdhsa_fp16_overflow 0
		.amdhsa_memory_ordered 1
		.amdhsa_forward_progress 1
		.amdhsa_inst_pref_size 2
		.amdhsa_round_robin_scheduling 0
		.amdhsa_exception_fp_ieee_invalid_op 0
		.amdhsa_exception_fp_denorm_src 0
		.amdhsa_exception_fp_ieee_div_zero 0
		.amdhsa_exception_fp_ieee_overflow 0
		.amdhsa_exception_fp_ieee_underflow 0
		.amdhsa_exception_fp_ieee_inexact 0
		.amdhsa_exception_int_div_zero 0
	.end_amdhsa_kernel
	.section	.text._ZN4vllm25paged_attention_v1_kernelI14__hip_bfloat16hLi256ELi16ELi128ELNS_18Fp8KVCacheDataTypeE1ELb0EEEvPT_PKS3_PKT0_S9_ifPKiSB_iPKfiiiSD_SD_iiiii,"axG",@progbits,_ZN4vllm25paged_attention_v1_kernelI14__hip_bfloat16hLi256ELi16ELi128ELNS_18Fp8KVCacheDataTypeE1ELb0EEEvPT_PKS3_PKT0_S9_ifPKiSB_iPKfiiiSD_SD_iiiii,comdat
.Lfunc_end343:
	.size	_ZN4vllm25paged_attention_v1_kernelI14__hip_bfloat16hLi256ELi16ELi128ELNS_18Fp8KVCacheDataTypeE1ELb0EEEvPT_PKS3_PKT0_S9_ifPKiSB_iPKfiiiSD_SD_iiiii, .Lfunc_end343-_ZN4vllm25paged_attention_v1_kernelI14__hip_bfloat16hLi256ELi16ELi128ELNS_18Fp8KVCacheDataTypeE1ELb0EEEvPT_PKS3_PKT0_S9_ifPKiSB_iPKfiiiSD_SD_iiiii
                                        ; -- End function
	.set _ZN4vllm25paged_attention_v1_kernelI14__hip_bfloat16hLi256ELi16ELi128ELNS_18Fp8KVCacheDataTypeE1ELb0EEEvPT_PKS3_PKT0_S9_ifPKiSB_iPKfiiiSD_SD_iiiii.num_vgpr, max(32, .L_ZN4vllm22paged_attention_kernelI14__hip_bfloat16hLi256ELi16ELi128ELNS_18Fp8KVCacheDataTypeE1ELb0ELi0EEEvPfS3_PT_PKS4_PKT0_SA_ifPKiSC_iPKfiiiSE_SE_iiiii.num_vgpr)
	.set _ZN4vllm25paged_attention_v1_kernelI14__hip_bfloat16hLi256ELi16ELi128ELNS_18Fp8KVCacheDataTypeE1ELb0EEEvPT_PKS3_PKT0_S9_ifPKiSB_iPKfiiiSD_SD_iiiii.num_agpr, max(0, .L_ZN4vllm22paged_attention_kernelI14__hip_bfloat16hLi256ELi16ELi128ELNS_18Fp8KVCacheDataTypeE1ELb0ELi0EEEvPfS3_PT_PKS4_PKT0_SA_ifPKiSC_iPKfiiiSE_SE_iiiii.num_agpr)
	.set _ZN4vllm25paged_attention_v1_kernelI14__hip_bfloat16hLi256ELi16ELi128ELNS_18Fp8KVCacheDataTypeE1ELb0EEEvPT_PKS3_PKT0_S9_ifPKiSB_iPKfiiiSD_SD_iiiii.numbered_sgpr, max(33, .L_ZN4vllm22paged_attention_kernelI14__hip_bfloat16hLi256ELi16ELi128ELNS_18Fp8KVCacheDataTypeE1ELb0ELi0EEEvPfS3_PT_PKS4_PKT0_SA_ifPKiSC_iPKfiiiSE_SE_iiiii.numbered_sgpr)
	.set _ZN4vllm25paged_attention_v1_kernelI14__hip_bfloat16hLi256ELi16ELi128ELNS_18Fp8KVCacheDataTypeE1ELb0EEEvPT_PKS3_PKT0_S9_ifPKiSB_iPKfiiiSD_SD_iiiii.num_named_barrier, max(0, .L_ZN4vllm22paged_attention_kernelI14__hip_bfloat16hLi256ELi16ELi128ELNS_18Fp8KVCacheDataTypeE1ELb0ELi0EEEvPfS3_PT_PKS4_PKT0_SA_ifPKiSC_iPKfiiiSE_SE_iiiii.num_named_barrier)
	.set _ZN4vllm25paged_attention_v1_kernelI14__hip_bfloat16hLi256ELi16ELi128ELNS_18Fp8KVCacheDataTypeE1ELb0EEEvPT_PKS3_PKT0_S9_ifPKiSB_iPKfiiiSD_SD_iiiii.private_seg_size, 0+max(.L_ZN4vllm22paged_attention_kernelI14__hip_bfloat16hLi256ELi16ELi128ELNS_18Fp8KVCacheDataTypeE1ELb0ELi0EEEvPfS3_PT_PKS4_PKT0_SA_ifPKiSC_iPKfiiiSE_SE_iiiii.private_seg_size)
	.set _ZN4vllm25paged_attention_v1_kernelI14__hip_bfloat16hLi256ELi16ELi128ELNS_18Fp8KVCacheDataTypeE1ELb0EEEvPT_PKS3_PKT0_S9_ifPKiSB_iPKfiiiSD_SD_iiiii.uses_vcc, or(1, .L_ZN4vllm22paged_attention_kernelI14__hip_bfloat16hLi256ELi16ELi128ELNS_18Fp8KVCacheDataTypeE1ELb0ELi0EEEvPfS3_PT_PKS4_PKT0_SA_ifPKiSC_iPKfiiiSE_SE_iiiii.uses_vcc)
	.set _ZN4vllm25paged_attention_v1_kernelI14__hip_bfloat16hLi256ELi16ELi128ELNS_18Fp8KVCacheDataTypeE1ELb0EEEvPT_PKS3_PKT0_S9_ifPKiSB_iPKfiiiSD_SD_iiiii.uses_flat_scratch, or(0, .L_ZN4vllm22paged_attention_kernelI14__hip_bfloat16hLi256ELi16ELi128ELNS_18Fp8KVCacheDataTypeE1ELb0ELi0EEEvPfS3_PT_PKS4_PKT0_SA_ifPKiSC_iPKfiiiSE_SE_iiiii.uses_flat_scratch)
	.set _ZN4vllm25paged_attention_v1_kernelI14__hip_bfloat16hLi256ELi16ELi128ELNS_18Fp8KVCacheDataTypeE1ELb0EEEvPT_PKS3_PKT0_S9_ifPKiSB_iPKfiiiSD_SD_iiiii.has_dyn_sized_stack, or(0, .L_ZN4vllm22paged_attention_kernelI14__hip_bfloat16hLi256ELi16ELi128ELNS_18Fp8KVCacheDataTypeE1ELb0ELi0EEEvPfS3_PT_PKS4_PKT0_SA_ifPKiSC_iPKfiiiSE_SE_iiiii.has_dyn_sized_stack)
	.set _ZN4vllm25paged_attention_v1_kernelI14__hip_bfloat16hLi256ELi16ELi128ELNS_18Fp8KVCacheDataTypeE1ELb0EEEvPT_PKS3_PKT0_S9_ifPKiSB_iPKfiiiSD_SD_iiiii.has_recursion, or(0, .L_ZN4vllm22paged_attention_kernelI14__hip_bfloat16hLi256ELi16ELi128ELNS_18Fp8KVCacheDataTypeE1ELb0ELi0EEEvPfS3_PT_PKS4_PKT0_SA_ifPKiSC_iPKfiiiSE_SE_iiiii.has_recursion)
	.set _ZN4vllm25paged_attention_v1_kernelI14__hip_bfloat16hLi256ELi16ELi128ELNS_18Fp8KVCacheDataTypeE1ELb0EEEvPT_PKS3_PKT0_S9_ifPKiSB_iPKfiiiSD_SD_iiiii.has_indirect_call, or(0, .L_ZN4vllm22paged_attention_kernelI14__hip_bfloat16hLi256ELi16ELi128ELNS_18Fp8KVCacheDataTypeE1ELb0ELi0EEEvPfS3_PT_PKS4_PKT0_SA_ifPKiSC_iPKfiiiSE_SE_iiiii.has_indirect_call)
	.section	.AMDGPU.csdata,"",@progbits
; Kernel info:
; codeLenInByte = 196
; TotalNumSgprs: 35
; NumVgprs: 128
; ScratchSize: 916
; MemoryBound: 0
; FloatMode: 240
; IeeeMode: 1
; LDSByteSize: 544 bytes/workgroup (compile time only)
; SGPRBlocks: 0
; VGPRBlocks: 7
; NumSGPRsForWavesPerEU: 35
; NumVGPRsForWavesPerEU: 128
; NamedBarCnt: 0
; Occupancy: 8
; WaveLimiterHint : 1
; COMPUTE_PGM_RSRC2:SCRATCH_EN: 1
; COMPUTE_PGM_RSRC2:USER_SGPR: 2
; COMPUTE_PGM_RSRC2:TRAP_HANDLER: 0
; COMPUTE_PGM_RSRC2:TGID_X_EN: 1
; COMPUTE_PGM_RSRC2:TGID_Y_EN: 1
; COMPUTE_PGM_RSRC2:TGID_Z_EN: 1
; COMPUTE_PGM_RSRC2:TIDIG_COMP_CNT: 0
	.section	.text._ZN4vllm25paged_attention_v1_kernelI14__hip_bfloat16hLi32ELi32ELi128ELNS_18Fp8KVCacheDataTypeE1ELb1EEEvPT_PKS3_PKT0_S9_ifPKiSB_iPKfiiiSD_SD_iiiii,"axG",@progbits,_ZN4vllm25paged_attention_v1_kernelI14__hip_bfloat16hLi32ELi32ELi128ELNS_18Fp8KVCacheDataTypeE1ELb1EEEvPT_PKS3_PKT0_S9_ifPKiSB_iPKfiiiSD_SD_iiiii,comdat
	.protected	_ZN4vllm25paged_attention_v1_kernelI14__hip_bfloat16hLi32ELi32ELi128ELNS_18Fp8KVCacheDataTypeE1ELb1EEEvPT_PKS3_PKT0_S9_ifPKiSB_iPKfiiiSD_SD_iiiii ; -- Begin function _ZN4vllm25paged_attention_v1_kernelI14__hip_bfloat16hLi32ELi32ELi128ELNS_18Fp8KVCacheDataTypeE1ELb1EEEvPT_PKS3_PKT0_S9_ifPKiSB_iPKfiiiSD_SD_iiiii
	.globl	_ZN4vllm25paged_attention_v1_kernelI14__hip_bfloat16hLi32ELi32ELi128ELNS_18Fp8KVCacheDataTypeE1ELb1EEEvPT_PKS3_PKT0_S9_ifPKiSB_iPKfiiiSD_SD_iiiii
	.p2align	8
	.type	_ZN4vllm25paged_attention_v1_kernelI14__hip_bfloat16hLi32ELi32ELi128ELNS_18Fp8KVCacheDataTypeE1ELb1EEEvPT_PKS3_PKT0_S9_ifPKiSB_iPKfiiiSD_SD_iiiii,@function
_ZN4vllm25paged_attention_v1_kernelI14__hip_bfloat16hLi32ELi32ELi128ELNS_18Fp8KVCacheDataTypeE1ELb1EEEvPT_PKS3_PKT0_S9_ifPKiSB_iPKfiiiSD_SD_iiiii: ; @_ZN4vllm25paged_attention_v1_kernelI14__hip_bfloat16hLi32ELi32ELi128ELNS_18Fp8KVCacheDataTypeE1ELb1EEEvPT_PKS3_PKT0_S9_ifPKiSB_iPKfiiiSD_SD_iiiii
; %bb.0:
	s_load_b64 s[24:25], s[0:1], 0x20
	s_bfe_u32 s3, ttmp6, 0x4000c
	s_bfe_u32 s4, ttmp6, 0x40010
	s_and_b32 s6, ttmp7, 0xffff
	s_add_co_i32 s3, s3, 1
	s_add_co_i32 s4, s4, 1
	s_and_b32 s2, ttmp6, 15
	s_bfe_u32 s5, ttmp6, 0x40004
	s_mul_i32 s3, ttmp9, s3
	s_mul_i32 s4, s6, s4
	s_getreg_b32 s30, hwreg(HW_REG_IB_STS2, 6, 4)
	s_add_co_i32 s2, s2, s3
	s_add_co_i32 s3, s5, s4
	s_cmp_eq_u32 s30, 0
	s_clause 0x1
	s_load_b32 s31, s[0:1], 0x80
	s_load_b64 s[4:5], s[0:1], 0x30
	s_cselect_b32 s33, s6, s3
	s_cselect_b32 s2, ttmp9, s2
	s_wait_kmcnt 0x0
	s_abs_i32 s3, s24
	s_delay_alu instid0(SALU_CYCLE_1) | instskip(SKIP_1) | instid1(SALU_CYCLE_2)
	s_cvt_f32_u32 s6, s3
	s_sub_co_i32 s7, 0, s3
	v_rcp_iflag_f32_e32 v1, s6
	s_abs_i32 s8, s31
	v_nop
	s_delay_alu instid0(TRANS32_DEP_1) | instskip(SKIP_1) | instid1(SALU_CYCLE_3)
	v_readfirstlane_b32 s6, v1
	s_mul_f32 s6, s6, 0x4f7ffffe
	s_cvt_u32_f32 s6, s6
	s_delay_alu instid0(SALU_CYCLE_3) | instskip(NEXT) | instid1(SALU_CYCLE_1)
	s_mul_i32 s7, s7, s6
	s_mul_hi_u32 s7, s6, s7
	s_delay_alu instid0(SALU_CYCLE_1) | instskip(SKIP_4) | instid1(SALU_CYCLE_1)
	s_add_co_i32 s6, s6, s7
	s_xor_b32 s7, s31, s24
	s_mul_hi_u32 s6, s8, s6
	s_ashr_i32 s7, s7, 31
	s_mul_i32 s9, s6, s3
	s_sub_co_i32 s8, s8, s9
	s_add_co_i32 s9, s6, 1
	s_sub_co_i32 s10, s8, s3
	s_cmp_ge_u32 s8, s3
	s_cselect_b32 s6, s9, s6
	s_cselect_b32 s8, s10, s8
	s_add_co_i32 s9, s6, 1
	s_cmp_ge_u32 s8, s3
	s_load_b64 s[10:11], s[0:1], 0x40
	s_cselect_b32 s3, s9, s6
	s_mov_b32 s9, 0
	s_xor_b32 s3, s3, s7
	s_abs_i32 s8, s2
	s_sub_co_i32 s16, s3, s7
	s_mov_b32 s7, s9
	s_abs_i32 s15, s16
	s_mov_b32 s38, s9
	s_cvt_f32_u32 s3, s15
	s_sub_co_i32 s6, 0, s15
	s_delay_alu instid0(SALU_CYCLE_2) | instskip(SKIP_1) | instid1(TRANS32_DEP_1)
	v_rcp_iflag_f32_e32 v1, s3
	v_nop
	v_readfirstlane_b32 s3, v1
	s_mul_f32 s3, s3, 0x4f7ffffe
	s_delay_alu instid0(SALU_CYCLE_3) | instskip(NEXT) | instid1(SALU_CYCLE_3)
	s_cvt_u32_f32 s3, s3
	s_mul_i32 s6, s6, s3
	s_delay_alu instid0(SALU_CYCLE_1) | instskip(NEXT) | instid1(SALU_CYCLE_1)
	s_mul_hi_u32 s6, s3, s6
	s_add_co_i32 s6, s3, s6
	s_wait_kmcnt 0x0
	s_cmp_eq_u64 s[10:11], 0
	s_cbranch_scc1 .LBB344_2
; %bb.1:
	s_ashr_i32 s3, s2, 31
	s_delay_alu instid0(SALU_CYCLE_1) | instskip(NEXT) | instid1(SALU_CYCLE_1)
	s_lshl_b64 s[12:13], s[2:3], 2
	s_add_nc_u64 s[10:11], s[10:11], s[12:13]
	s_load_b32 s38, s[10:11], 0x0
.LBB344_2:
	s_load_b32 s34, s[4:5], s33 offset:0x0 scale_offset
	s_load_b96 s[12:14], s[0:1], 0x48
	s_ashr_i32 s3, s2, 31
	s_ashr_i32 s18, s16, 31
	s_wait_xcnt 0x0
	s_mul_u64 s[10:11], s[8:9], s[6:7]
	s_lshl_b32 s16, s2, 5
	s_mov_b32 s4, exec_lo
	v_cmpx_gt_u32_e32 4, v0
	s_cbranch_execz .LBB344_4
; %bb.3:
	s_load_b64 s[6:7], s[0:1], 0x8
	s_wait_kmcnt 0x0
	s_mul_i32 s20, s12, s33
	s_ashr_i32 s17, s16, 31
	s_ashr_i32 s21, s20, 31
	v_lshlrev_b32_e32 v1, 4, v0
	s_lshl_b64 s[20:21], s[20:21], 1
	s_delay_alu instid0(SALU_CYCLE_1) | instskip(SKIP_1) | instid1(SALU_CYCLE_1)
	s_add_nc_u64 s[6:7], s[6:7], s[20:21]
	s_lshl_b64 s[20:21], s[16:17], 1
	s_add_nc_u64 s[6:7], s[6:7], s[20:21]
	global_load_b128 v[2:5], v0, s[6:7] scale_offset
	s_wait_loadcnt 0x0
	ds_store_b128 v1, v[2:5]
.LBB344_4:
	s_or_b32 exec_lo, exec_lo, s4
	s_load_b128 s[4:7], s[0:1], 0x68
	s_mul_i32 s9, s11, s15
	s_xor_b32 s3, s3, s18
	s_sub_co_i32 s8, s8, s9
	s_add_co_i32 s9, s11, 1
	s_sub_co_i32 s10, s8, s15
	s_cmp_ge_u32 s8, s15
	s_wait_dscnt 0x0
	s_cselect_b32 s9, s9, s11
	s_cselect_b32 s8, s10, s8
	s_add_co_i32 s11, s9, 1
	s_cmp_ge_u32 s8, s15
	s_load_b32 s10, s[0:1], 0x78
	s_cselect_b32 s8, s11, s9
	s_wait_kmcnt 0x0
	s_add_co_i32 s11, s34, -1
	s_xor_b32 s8, s8, s3
	s_mov_b32 s15, -1
	s_sub_co_i32 s3, s8, s3
	s_barrier_signal -1
	s_barrier_wait -1
	s_abs_i32 s12, s7
	s_delay_alu instid0(SALU_CYCLE_1) | instskip(NEXT) | instid1(SALU_CYCLE_3)
	s_cvt_f32_u32 s9, s12
	v_rcp_iflag_f32_e32 v1, s9
	v_nop
	s_delay_alu instid0(TRANS32_DEP_1) | instskip(SKIP_1) | instid1(SALU_CYCLE_3)
	v_readfirstlane_b32 s9, v1
	s_mul_f32 s8, s9, 0x4f7ffffe
	s_cvt_u32_f32 s17, s8
	s_sub_co_i32 s8, 0, s12
	s_delay_alu instid0(SALU_CYCLE_2)
	s_mul_i32 s9, s8, s17
	s_abs_i32 s8, s11
	s_mul_hi_u32 s18, s17, s9
	s_mov_b32 s9, 0
	s_add_co_i32 s18, s17, s18
	s_cmp_lt_i32 s10, 0
	s_mov_b32 s19, s9
                                        ; implicit-def: $sgpr17
	s_cbranch_scc0 .LBB344_6
; %bb.5:
	s_mul_i32 s15, s4, s24
	s_delay_alu instid0(SALU_CYCLE_1) | instskip(NEXT) | instid1(SALU_CYCLE_1)
	s_add_co_i32 s15, s3, s15
	s_mul_i32 s15, s15, s10
	s_delay_alu instid0(SALU_CYCLE_1)
	s_sub_co_i32 s17, 1, s15
	s_mov_b32 s15, s9
.LBB344_6:
	s_ashr_i32 s11, s11, 31
	s_ashr_i32 s35, s7, 31
	s_and_not1_b32 vcc_lo, exec_lo, s15
	s_mul_u64 s[26:27], s[8:9], s[18:19]
	s_cbranch_vccnz .LBB344_8
; %bb.7:
	s_mul_i32 s4, s31, s4
	s_delay_alu instid0(SALU_CYCLE_1) | instskip(NEXT) | instid1(SALU_CYCLE_1)
	s_add_co_i32 s2, s4, s2
	s_mul_i32 s2, s2, s10
	s_delay_alu instid0(SALU_CYCLE_1)
	s_add_co_i32 s17, s2, 1
.LBB344_8:
	s_clause 0x1
	s_load_b32 s2, s[0:1], 0x38
	s_load_b64 s[20:21], s[0:1], 0x28
	s_mul_i32 s7, s27, s12
	s_xor_b32 s4, s11, s35
	s_sub_co_i32 s24, s8, s7
	s_add_co_i32 s15, s27, 1
	s_clause 0x1
	s_load_b32 s7, s[0:1], 0x88
	s_load_b128 s[8:11], s[0:1], 0x58
	v_dual_lshrrev_b32 v1, 5, v0 :: v_dual_bitop2_b32 v78, 31, v0 bitop3:0x40
	v_dual_mov_b32 v80, 0xff7fffff :: v_dual_lshrrev_b32 v11, 3, v0
	s_mul_i32 s14, s3, s14
	s_delay_alu instid0(VALU_DEP_2)
	v_dual_lshlrev_b32 v10, 5, v1 :: v_dual_lshlrev_b32 v79, 2, v78
	s_wait_kmcnt 0x0
	s_mul_i32 s22, s2, s33
	s_sub_co_i32 s2, s24, s12
	s_ashr_i32 s23, s22, 31
	s_cmp_ge_u32 s24, s12
	s_cselect_b32 s15, s15, s27
	s_cselect_b32 s2, s2, s24
	s_add_co_i32 s24, s15, 1
	s_cmp_ge_u32 s2, s12
	s_cselect_b32 s2, s24, s15
	s_add_co_i32 s15, s34, 31
	s_delay_alu instid0(SALU_CYCLE_1) | instskip(NEXT) | instid1(SALU_CYCLE_1)
	s_ashr_i32 s24, s15, 31
	s_lshr_b32 s24, s24, 27
	s_delay_alu instid0(SALU_CYCLE_1) | instskip(NEXT) | instid1(SALU_CYCLE_1)
	s_add_co_i32 s15, s15, s24
	s_ashr_i32 s36, s15, 5
	s_xor_b32 s15, s2, s4
	v_cmp_gt_i32_e64 s2, s36, v1
	s_sub_co_i32 s37, s15, s4
	s_and_saveexec_b32 s24, s2
	s_cbranch_execz .LBB344_256
; %bb.9:
	s_load_b64 s[26:27], s[0:1], 0x10
	s_sub_co_i32 s39, s37, s5
	s_ashr_i32 s15, s14, 31
	s_cmp_neq_f32 s38, 0
	v_dual_mov_b32 v3, 0 :: v_dual_lshlrev_b32 v2, 4, v78
	ds_load_b128 v[26:29], v3
	ds_load_b128 v[30:33], v3 offset:16
	ds_load_b128 v[34:37], v3 offset:32
	s_cselect_b32 vcc_lo, -1, 0
	ds_load_b128 v[38:41], v3 offset:48
	v_subrev_nc_u32_e32 v43, s34, v78
	v_lshl_or_b32 v44, v1, 7, v79
	v_dual_mov_b32 v83, 0xff7fffff :: v_dual_lshlrev_b32 v42, 5, v1
	s_delay_alu instid0(VALU_DEP_3) | instskip(NEXT) | instid1(VALU_DEP_3)
	v_dual_mov_b32 v80, 0xff7fffff :: v_dual_add_nc_u32 v81, 1, v43
	v_add_nc_u32_e32 v82, 0x60, v44
	v_mov_b32_e32 v84, v1
	s_wait_kmcnt 0x0
	s_add_nc_u64 s[26:27], s[26:27], s[14:15]
	s_abs_i32 s15, s6
	v_add_nc_u64_e32 v[4:5], s[26:27], v[2:3]
	s_cvt_f32_u32 s3, s15
	s_lshl_b64 s[26:27], s[22:23], 2
	s_sub_co_i32 s4, 0, s15
	s_add_nc_u64 s[26:27], s[20:21], s[26:27]
	v_rcp_iflag_f32_e32 v2, s3
	s_wait_dscnt 0x3
	v_and_b32_e32 v7, 0xffff0000, v26
	v_dual_lshlrev_b32 v6, 16, v26 :: v_dual_lshlrev_b32 v14, 16, v27
	s_wait_dscnt 0x2
	v_and_b32_e32 v9, 0xffff0000, v30
	v_dual_lshlrev_b32 v8, 16, v30 :: v_dual_lshlrev_b32 v16, 16, v31
	v_readfirstlane_b32 s3, v2
	v_and_b32_e32 v2, 0x7c, v11
	s_wait_dscnt 0x1
	v_and_b32_e32 v13, 0xffff0000, v34
	v_dual_lshlrev_b32 v12, 16, v34 :: v_dual_lshlrev_b32 v18, 16, v35
	s_mul_f32 s3, s3, 0x4f7ffffe
	v_and_b32_e32 v15, 0xffff0000, v27
	v_and_b32_e32 v17, 0xffff0000, v31
	;; [unrolled: 1-line block ×3, first 2 shown]
	s_cvt_u32_f32 s3, s3
	v_and_b32_e32 v21, 0xffff0000, v28
	v_dual_lshlrev_b32 v20, 16, v28 :: v_dual_lshlrev_b32 v26, 16, v29
	v_and_b32_e32 v23, 0xffff0000, v32
	v_dual_lshlrev_b32 v22, 16, v32 :: v_dual_lshlrev_b32 v28, 16, v33
	;; [unrolled: 2-line block ×3, first 2 shown]
	v_and_b32_e32 v27, 0xffff0000, v29
	v_and_b32_e32 v29, 0xffff0000, v33
	;; [unrolled: 1-line block ×3, first 2 shown]
	s_wait_dscnt 0x0
	v_and_b32_e32 v33, 0xffff0000, v38
	v_dual_lshlrev_b32 v32, 16, v38 :: v_dual_lshlrev_b32 v34, 16, v39
	v_and_b32_e32 v35, 0xffff0000, v39
	v_and_b32_e32 v37, 0xffff0000, v40
	v_dual_lshlrev_b32 v36, 16, v40 :: v_dual_lshlrev_b32 v38, 16, v41
	v_and_b32_e32 v39, 0xffff0000, v41
	v_add_nc_u64_e32 v[40:41], s[26:27], v[2:3]
	s_mul_i32 s4, s4, s3
	s_mov_b32 s29, 0
	s_mul_hi_u32 s4, s3, s4
	s_mov_b32 s40, s13
	s_mov_b64 s[26:27], 0xffffffffffffff
	s_add_co_i32 s28, s3, s4
	s_mov_b32 s41, s29
	s_branch .LBB344_15
.LBB344_10:                             ;   in Loop: Header=BB344_15 Depth=1
	s_or_b32 exec_lo, exec_lo, s46
	s_delay_alu instid0(VALU_DEP_1) | instskip(SKIP_1) | instid1(VALU_DEP_2)
	v_dual_lshlrev_b32 v43, 24, v43 :: v_dual_lshlrev_b32 v2, 20, v2
	v_lshl_add_u32 v70, v70, 23, 0x3c000000
	v_and_b32_e32 v43, 0x80000000, v43
	s_delay_alu instid0(VALU_DEP_1)
	v_or3_b32 v77, v2, v43, v70
.LBB344_11:                             ;   in Loop: Header=BB344_15 Depth=1
	s_or_b32 exec_lo, exec_lo, s45
.LBB344_12:                             ;   in Loop: Header=BB344_15 Depth=1
	s_delay_alu instid0(SALU_CYCLE_1)
	s_or_b32 exec_lo, exec_lo, s44
.LBB344_13:                             ;   in Loop: Header=BB344_15 Depth=1
	s_delay_alu instid0(SALU_CYCLE_1)
	s_or_b32 exec_lo, exec_lo, s43
	s_wait_kmcnt 0x0
	v_pk_mul_f32 v[62:63], s[4:5], v[62:63] op_sel_hi:[0,1]
	v_pk_mul_f32 v[52:53], s[4:5], v[52:53] op_sel_hi:[0,1]
	;; [unrolled: 1-line block ×5, first 2 shown]
	v_cvt_pk_bf16_f32 v70, v62, v63
	v_cvt_pk_bf16_f32 v63, v52, v53
	v_pk_mul_f32 v[52:53], s[4:5], v[60:61] op_sel_hi:[0,1]
	v_pk_mul_f32 v[64:65], s[4:5], v[64:65] op_sel_hi:[0,1]
	v_cvt_pk_bf16_f32 v2, v66, v67
	v_cvt_pk_bf16_f32 v62, v56, v57
	v_pk_mul_f32 v[48:49], s[4:5], v[48:49] op_sel_hi:[0,1]
	v_pk_mul_f32 v[46:47], s[4:5], v[46:47] op_sel_hi:[0,1]
	v_cvt_pk_bf16_f32 v66, v52, v53
	v_cvt_pk_bf16_f32 v52, v44, v45
	v_and_b32_e32 v61, 0xffff0000, v63
	v_lshlrev_b32_e32 v60, 16, v63
	v_pk_mul_f32 v[68:69], s[4:5], v[68:69] op_sel_hi:[0,1]
	v_cvt_pk_bf16_f32 v43, v64, v65
	v_pk_mul_f32 v[58:59], s[4:5], v[58:59] op_sel_hi:[0,1]
	v_cvt_pk_bf16_f32 v56, v48, v49
	v_cvt_pk_bf16_f32 v57, v46, v47
	v_pk_mul_f32 v[48:49], s[4:5], v[54:55] op_sel_hi:[0,1]
	v_and_b32_e32 v53, 0xffff0000, v52
	v_lshlrev_b32_e32 v52, 16, v52
	v_and_b32_e32 v63, 0xffff0000, v62
	v_lshlrev_b32_e32 v62, 16, v62
	v_pk_mul_f32 v[60:61], v[8:9], v[60:61]
	v_cvt_pk_bf16_f32 v85, v68, v69
	v_cvt_pk_bf16_f32 v64, v58, v59
	v_pk_mul_f32 v[46:47], s[4:5], v[72:73] op_sel_hi:[0,1]
	v_and_b32_e32 v55, 0xffff0000, v57
	v_lshlrev_b32_e32 v54, 16, v57
	v_and_b32_e32 v69, 0xffff0000, v70
	v_dual_lshlrev_b32 v68, 16, v70 :: v_dual_lshlrev_b32 v70, 16, v43
	v_and_b32_e32 v71, 0xffff0000, v43
	v_pk_fma_f32 v[52:53], v[6:7], v[52:53], v[60:61]
	v_pk_mul_f32 v[60:61], v[16:17], v[62:63]
	v_cvt_pk_bf16_f32 v43, v48, v49
	v_pk_mul_f32 v[50:51], s[4:5], v[50:51] op_sel_hi:[0,1]
	v_and_b32_e32 v65, 0xffff0000, v64
	v_lshlrev_b32_e32 v64, 16, v64
	v_and_b32_e32 v63, 0xffff0000, v2
	v_lshlrev_b32_e32 v62, 16, v2
	v_pk_fma_f32 v[48:49], v[12:13], v[68:69], v[52:53]
	v_pk_fma_f32 v[52:53], v[14:15], v[54:55], v[60:61]
	v_cvt_pk_bf16_f32 v2, v46, v47
	v_and_b32_e32 v47, 0xffff0000, v43
	v_lshlrev_b32_e32 v46, 16, v43
	v_cvt_pk_bf16_f32 v58, v50, v51
	v_pk_mul_f32 v[44:45], s[4:5], v[74:75] op_sel_hi:[0,1]
	v_and_b32_e32 v57, 0xffff0000, v56
	v_lshlrev_b32_e32 v56, 16, v56
	v_and_b32_e32 v67, 0xffff0000, v66
	v_lshlrev_b32_e32 v66, 16, v66
	v_pk_mul_f32 v[54:55], v[22:23], v[64:65]
	v_pk_fma_f32 v[52:53], v[18:19], v[70:71], v[52:53]
	v_and_b32_e32 v61, 0xffff0000, v2
	v_pk_fma_f32 v[46:47], v[32:33], v[46:47], v[48:49]
	v_lshlrev_b32_e32 v60, 16, v2
	v_and_b32_e32 v59, 0xffff0000, v58
	v_lshlrev_b32_e32 v58, 16, v58
	v_pk_fma_f32 v[48:49], v[20:21], v[56:57], v[54:55]
	v_cvt_pk_bf16_f32 v2, v44, v45
	v_add_f32_e32 v43, v46, v47
	v_pk_fma_f32 v[44:45], v[34:35], v[60:61], v[52:53]
	v_pk_mul_f32 v[50:51], s[4:5], v[76:77] op_sel_hi:[0,1]
	v_pk_fma_f32 v[46:47], v[24:25], v[62:63], v[48:49]
	v_pk_mul_f32 v[48:49], v[28:29], v[66:67]
	v_and_b32_e32 v53, 0xffff0000, v2
	v_dual_lshlrev_b32 v52, 16, v2 :: v_dual_add_f32 v2, v43, v44
	v_and_b32_e32 v55, 0xffff0000, v85
	v_lshlrev_b32_e32 v54, 16, v85
	v_pk_fma_f32 v[48:49], v[26:27], v[58:59], v[48:49]
	v_cvt_pk_bf16_f32 v43, v50, v51
	v_pk_fma_f32 v[46:47], v[36:37], v[52:53], v[46:47]
	v_dual_add_f32 v2, v2, v45 :: v_dual_add_nc_u32 v50, v81, v42
	s_delay_alu instid0(VALU_DEP_4) | instskip(NEXT) | instid1(VALU_DEP_4)
	v_pk_fma_f32 v[44:45], v[30:31], v[54:55], v[48:49]
	v_and_b32_e32 v49, 0xffff0000, v43
	v_lshlrev_b32_e32 v48, 16, v43
	s_delay_alu instid0(VALU_DEP_4) | instskip(SKIP_1) | instid1(VALU_DEP_3)
	v_cvt_f32_i32_e32 v43, v50
	v_add_f32_e32 v2, v2, v46
	v_pk_fma_f32 v[44:45], v[38:39], v[48:49], v[44:45]
	s_delay_alu instid0(VALU_DEP_3) | instskip(NEXT) | instid1(VALU_DEP_3)
	v_mul_f32_e32 v43, s38, v43
	v_add_f32_e32 v2, v2, v47
	s_delay_alu instid0(VALU_DEP_1) | instskip(SKIP_1) | instid1(VALU_DEP_1)
	v_dual_cndmask_b32 v43, 0, v43 :: v_dual_add_f32 v2, v2, v44
	v_add_nc_u32_e32 v44, v78, v42
	v_cmp_gt_i32_e64 s3, s34, v44
	s_delay_alu instid0(VALU_DEP_3) | instskip(NEXT) | instid1(VALU_DEP_1)
	v_add_f32_e32 v2, v2, v45
	v_dual_fmac_f32 v43, s25, v2 :: v_dual_max_num_f32 v2, v80, v80
	s_delay_alu instid0(VALU_DEP_1) | instskip(NEXT) | instid1(VALU_DEP_1)
	v_dual_max_num_f32 v2, v2, v43 :: v_dual_cndmask_b32 v43, 0, v43, s3
	v_cndmask_b32_e64 v80, v80, v2, s3
	ds_store_b32 v82, v43
.LBB344_14:                             ;   in Loop: Header=BB344_15 Depth=1
	s_or_b32 exec_lo, exec_lo, s42
	v_add_nc_u32_e32 v84, 4, v84
	v_add_nc_u64_e32 v[40:41], 16, v[40:41]
	v_add_nc_u32_e32 v42, 0x80, v42
	v_add_nc_u32_e32 v82, 0x200, v82
	s_delay_alu instid0(VALU_DEP_4) | instskip(SKIP_1) | instid1(SALU_CYCLE_1)
	v_cmp_le_i32_e64 s3, s36, v84
	s_or_b32 s41, s3, s41
	s_and_not1_b32 exec_lo, exec_lo, s41
	s_cbranch_execz .LBB344_255
.LBB344_15:                             ; =>This Inner Loop Header: Depth=1
	v_mov_b32_e32 v43, v3
	s_delay_alu instid0(VALU_DEP_1) | instskip(NEXT) | instid1(VALU_DEP_1)
	v_mul_u64_e32 v[44:45], s[18:19], v[42:43]
	v_mul_lo_u32 v2, v45, s12
	s_delay_alu instid0(VALU_DEP_1) | instskip(NEXT) | instid1(VALU_DEP_1)
	v_sub_nc_u32_e32 v2, v42, v2
	v_subrev_nc_u32_e32 v44, s12, v2
	v_cmp_le_u32_e64 s3, s12, v2
	s_delay_alu instid0(VALU_DEP_1) | instskip(NEXT) | instid1(VALU_DEP_1)
	v_dual_add_nc_u32 v43, 1, v45 :: v_dual_cndmask_b32 v2, v2, v44, s3
	v_cndmask_b32_e64 v43, v45, v43, s3
	s_delay_alu instid0(VALU_DEP_2) | instskip(NEXT) | instid1(VALU_DEP_2)
	v_cmp_le_u32_e64 s3, s12, v2
	v_add_nc_u32_e32 v44, 1, v43
	s_delay_alu instid0(VALU_DEP_1) | instskip(NEXT) | instid1(VALU_DEP_1)
	v_cndmask_b32_e64 v2, v43, v44, s3
	v_xor_b32_e32 v2, s35, v2
	s_delay_alu instid0(VALU_DEP_1) | instskip(NEXT) | instid1(VALU_DEP_1)
	v_subrev_nc_u32_e32 v43, s35, v2
	v_add_nc_u32_e32 v46, s17, v43
	v_cmp_ge_i32_e64 s4, s39, v43
	s_delay_alu instid0(VALU_DEP_2) | instskip(NEXT) | instid1(VALU_DEP_1)
	v_sub_nc_u32_e32 v2, 0, v46
	v_max_i32_e32 v2, v46, v2
	s_delay_alu instid0(VALU_DEP_1) | instskip(NEXT) | instid1(VALU_DEP_1)
	v_mul_u64_e32 v[44:45], s[28:29], v[2:3]
	v_mul_lo_u32 v44, v45, s15
	s_delay_alu instid0(VALU_DEP_1) | instskip(NEXT) | instid1(VALU_DEP_1)
	v_dual_ashrrev_i32 v45, 31, v46 :: v_dual_sub_nc_u32 v2, v2, v44
	v_subrev_nc_u32_e32 v44, s15, v2
	v_cmp_le_u32_e64 s3, s15, v2
	s_delay_alu instid0(VALU_DEP_1) | instskip(NEXT) | instid1(VALU_DEP_1)
	v_cndmask_b32_e64 v2, v2, v44, s3
	v_subrev_nc_u32_e32 v44, s15, v2
	v_cmp_le_u32_e64 s3, s15, v2
	s_delay_alu instid0(VALU_DEP_1) | instskip(NEXT) | instid1(VALU_DEP_1)
	v_cndmask_b32_e64 v2, v2, v44, s3
	v_xor_b32_e32 v2, v2, v45
	s_delay_alu instid0(VALU_DEP_1) | instskip(NEXT) | instid1(VALU_DEP_1)
	v_sub_nc_u32_e32 v2, v2, v45
	v_cmp_ne_u32_e64 s3, 0, v2
	s_and_b32 s3, s3, s4
	s_delay_alu instid0(SALU_CYCLE_1) | instskip(NEXT) | instid1(SALU_CYCLE_1)
	s_and_saveexec_b32 s4, s3
	s_xor_b32 s3, exec_lo, s4
; %bb.16:                               ;   in Loop: Header=BB344_15 Depth=1
	ds_store_b32 v82, v83
; %bb.17:                               ;   in Loop: Header=BB344_15 Depth=1
	s_and_not1_saveexec_b32 s42, s3
	s_cbranch_execz .LBB344_14
; %bb.18:                               ;   in Loop: Header=BB344_15 Depth=1
	global_load_b32 v2, v[40:41], off
	s_load_b32 s4, s[8:9], 0x0
	v_dual_mov_b32 v45, 0 :: v_dual_mov_b32 v44, 0
	s_mov_b32 s43, exec_lo
	s_wait_loadcnt 0x0
	v_mad_nc_i64_i32 v[54:55], v2, s40, v[4:5]
	global_load_b64 v[52:53], v[54:55], off
	s_wait_loadcnt 0x0
	v_and_b32_e32 v2, 0xff, v52
	s_delay_alu instid0(VALU_DEP_1)
	v_cmpx_ne_u16_e32 0, v2
	s_cbranch_execz .LBB344_24
; %bb.19:                               ;   in Loop: Header=BB344_15 Depth=1
	v_bfrev_b32_e32 v44, 1
	s_mov_b32 s44, exec_lo
	v_cmpx_ne_u16_e32 0x80, v2
	s_cbranch_execz .LBB344_23
; %bb.20:                               ;   in Loop: Header=BB344_15 Depth=1
	v_and_b32_e32 v2, 0x7f, v52
	v_mov_b32_e32 v44, 0x7f800001
	s_mov_b32 s45, exec_lo
	s_delay_alu instid0(VALU_DEP_2)
	v_cmpx_ne_u32_e32 0x7f, v2
	s_cbranch_execz .LBB344_22
; %bb.21:                               ;   in Loop: Header=BB344_15 Depth=1
	v_dual_lshrrev_b32 v44, 3, v2 :: v_dual_bitop2_b32 v43, 7, v52 bitop3:0x40
	v_cmp_gt_u32_e64 s3, 8, v2
	s_delay_alu instid0(VALU_DEP_2) | instskip(NEXT) | instid1(VALU_DEP_1)
	v_clz_i32_u32_e32 v43, v43
	v_min_u32_e32 v43, 32, v43
	s_delay_alu instid0(VALU_DEP_1) | instskip(SKIP_1) | instid1(VALU_DEP_1)
	v_subrev_nc_u32_e32 v46, 28, v43
	v_sub_nc_u32_e32 v43, 29, v43
	v_dual_cndmask_b32 v2, v44, v43, s3 :: v_dual_cndmask_b32 v43, 0, v46, s3
	s_delay_alu instid0(VALU_DEP_1) | instskip(NEXT) | instid1(VALU_DEP_2)
	v_lshl_add_u32 v2, v2, 23, 0x3c000000
	v_lshlrev_b64_e32 v[46:47], v43, v[52:53]
	v_lshlrev_b32_e32 v43, 24, v52
	s_delay_alu instid0(VALU_DEP_1) | instskip(NEXT) | instid1(VALU_DEP_3)
	v_and_b32_e32 v43, 0x80000000, v43
	v_lshlrev_b32_e32 v44, 20, v46
	s_delay_alu instid0(VALU_DEP_1) | instskip(NEXT) | instid1(VALU_DEP_1)
	v_and_b32_e32 v44, 0x700000, v44
	v_or3_b32 v44, v44, v43, v2
.LBB344_22:                             ;   in Loop: Header=BB344_15 Depth=1
	s_or_b32 exec_lo, exec_lo, s45
.LBB344_23:                             ;   in Loop: Header=BB344_15 Depth=1
	s_delay_alu instid0(SALU_CYCLE_1)
	s_or_b32 exec_lo, exec_lo, s44
.LBB344_24:                             ;   in Loop: Header=BB344_15 Depth=1
	s_delay_alu instid0(SALU_CYCLE_1) | instskip(SKIP_2) | instid1(VALU_DEP_1)
	s_or_b32 exec_lo, exec_lo, s43
	v_lshrrev_b16 v2, 8, v52
	s_mov_b32 s43, exec_lo
	v_cmpx_ne_u16_e32 0, v2
	s_cbranch_execz .LBB344_32
; %bb.25:                               ;   in Loop: Header=BB344_15 Depth=1
	v_bfrev_b32_e32 v45, 1
	s_mov_b32 s44, exec_lo
	v_cmpx_ne_u16_e32 0x80, v2
	s_cbranch_execz .LBB344_31
; %bb.26:                               ;   in Loop: Header=BB344_15 Depth=1
	v_and_b32_e32 v2, 0xffff, v2
	v_mov_b32_e32 v45, 0x7f800001
	s_mov_b32 s45, exec_lo
	s_delay_alu instid0(VALU_DEP_2) | instskip(NEXT) | instid1(VALU_DEP_1)
	v_and_b32_e32 v46, 0x7f, v2
	v_cmpx_ne_u32_e32 0x7f, v46
	s_cbranch_execz .LBB344_30
; %bb.27:                               ;   in Loop: Header=BB344_15 Depth=1
	v_and_b32_e32 v2, 7, v2
	v_lshrrev_b32_e32 v43, 3, v46
	s_mov_b32 s46, exec_lo
	v_cmpx_gt_u32_e32 8, v46
; %bb.28:                               ;   in Loop: Header=BB344_15 Depth=1
	s_delay_alu instid0(VALU_DEP_3) | instskip(NEXT) | instid1(VALU_DEP_1)
	v_clz_i32_u32_e32 v43, v2
	v_min_u32_e32 v43, 32, v43
	s_delay_alu instid0(VALU_DEP_1) | instskip(NEXT) | instid1(VALU_DEP_1)
	v_subrev_nc_u32_e32 v45, 28, v43
	v_lshlrev_b64_e32 v[46:47], v45, v[2:3]
	s_delay_alu instid0(VALU_DEP_1)
	v_dual_sub_nc_u32 v43, 29, v43 :: v_dual_bitop2_b32 v2, 7, v46 bitop3:0x40
; %bb.29:                               ;   in Loop: Header=BB344_15 Depth=1
	s_or_b32 exec_lo, exec_lo, s46
	s_delay_alu instid0(VALU_DEP_1) | instskip(NEXT) | instid1(VALU_DEP_2)
	v_dual_lshlrev_b32 v45, 16, v52 :: v_dual_lshlrev_b32 v2, 20, v2
	v_lshl_add_u32 v43, v43, 23, 0x3c000000
	s_delay_alu instid0(VALU_DEP_2) | instskip(NEXT) | instid1(VALU_DEP_1)
	v_and_b32_e32 v45, 0x80000000, v45
	v_or3_b32 v45, v2, v45, v43
.LBB344_30:                             ;   in Loop: Header=BB344_15 Depth=1
	s_or_b32 exec_lo, exec_lo, s45
.LBB344_31:                             ;   in Loop: Header=BB344_15 Depth=1
	s_delay_alu instid0(SALU_CYCLE_1)
	s_or_b32 exec_lo, exec_lo, s44
.LBB344_32:                             ;   in Loop: Header=BB344_15 Depth=1
	s_delay_alu instid0(SALU_CYCLE_1) | instskip(SKIP_3) | instid1(VALU_DEP_2)
	s_or_b32 exec_lo, exec_lo, s43
	v_dual_lshrrev_b32 v43, 16, v52 :: v_dual_mov_b32 v47, 0
	v_mov_b32_e32 v46, 0
	s_mov_b32 s43, exec_lo
	v_and_b32_e32 v2, 0xff, v43
	s_delay_alu instid0(VALU_DEP_1)
	v_cmpx_ne_u16_e32 0, v2
	s_cbranch_execz .LBB344_40
; %bb.33:                               ;   in Loop: Header=BB344_15 Depth=1
	v_bfrev_b32_e32 v46, 1
	s_mov_b32 s44, exec_lo
	v_cmpx_ne_u16_e32 0x80, v2
	s_cbranch_execz .LBB344_39
; %bb.34:                               ;   in Loop: Header=BB344_15 Depth=1
	v_bfe_u32 v48, v52, 16, 7
	v_mov_b32_e32 v46, 0x7f800001
	s_mov_b32 s45, exec_lo
	s_delay_alu instid0(VALU_DEP_2)
	v_cmpx_ne_u32_e32 0x7f, v48
	s_cbranch_execz .LBB344_38
; %bb.35:                               ;   in Loop: Header=BB344_15 Depth=1
	v_dual_lshrrev_b32 v46, 3, v48 :: v_dual_bitop2_b32 v2, 7, v43 bitop3:0x40
	s_mov_b32 s46, exec_lo
	v_cmpx_gt_u32_e32 8, v48
; %bb.36:                               ;   in Loop: Header=BB344_15 Depth=1
	s_delay_alu instid0(VALU_DEP_2) | instskip(NEXT) | instid1(VALU_DEP_1)
	v_clz_i32_u32_e32 v46, v2
	v_min_u32_e32 v46, 32, v46
	s_delay_alu instid0(VALU_DEP_1) | instskip(NEXT) | instid1(VALU_DEP_1)
	v_subrev_nc_u32_e32 v48, 28, v46
	v_lshlrev_b64_e32 v[48:49], v48, v[2:3]
	s_delay_alu instid0(VALU_DEP_1)
	v_dual_sub_nc_u32 v46, 29, v46 :: v_dual_bitop2_b32 v2, 7, v48 bitop3:0x40
; %bb.37:                               ;   in Loop: Header=BB344_15 Depth=1
	s_or_b32 exec_lo, exec_lo, s46
	s_delay_alu instid0(VALU_DEP_1) | instskip(NEXT) | instid1(VALU_DEP_2)
	v_dual_lshlrev_b32 v43, 24, v43 :: v_dual_lshlrev_b32 v2, 20, v2
	v_lshl_add_u32 v46, v46, 23, 0x3c000000
	s_delay_alu instid0(VALU_DEP_2) | instskip(NEXT) | instid1(VALU_DEP_1)
	v_and_b32_e32 v43, 0x80000000, v43
	v_or3_b32 v46, v2, v43, v46
.LBB344_38:                             ;   in Loop: Header=BB344_15 Depth=1
	s_or_b32 exec_lo, exec_lo, s45
.LBB344_39:                             ;   in Loop: Header=BB344_15 Depth=1
	s_delay_alu instid0(SALU_CYCLE_1)
	s_or_b32 exec_lo, exec_lo, s44
.LBB344_40:                             ;   in Loop: Header=BB344_15 Depth=1
	s_delay_alu instid0(SALU_CYCLE_1) | instskip(NEXT) | instid1(SALU_CYCLE_1)
	s_or_b32 exec_lo, exec_lo, s43
	s_mov_b32 s43, exec_lo
	v_cmpx_lt_u32_e32 0xffffff, v52
	s_cbranch_execz .LBB344_48
; %bb.41:                               ;   in Loop: Header=BB344_15 Depth=1
	v_lshrrev_b32_e32 v43, 24, v52
	v_bfrev_b32_e32 v47, 1
	s_mov_b32 s44, exec_lo
	s_delay_alu instid0(VALU_DEP_2)
	v_cmpx_ne_u32_e32 0x80, v43
	s_cbranch_execz .LBB344_47
; %bb.42:                               ;   in Loop: Header=BB344_15 Depth=1
	v_bfe_u32 v48, v52, 24, 7
	v_mov_b32_e32 v47, 0x7f800001
	s_mov_b32 s45, exec_lo
	s_delay_alu instid0(VALU_DEP_2)
	v_cmpx_ne_u32_e32 0x7f, v48
	s_cbranch_execz .LBB344_46
; %bb.43:                               ;   in Loop: Header=BB344_15 Depth=1
	v_dual_lshrrev_b32 v47, 3, v48 :: v_dual_bitop2_b32 v2, 7, v43 bitop3:0x40
	s_mov_b32 s46, exec_lo
	v_cmpx_gt_u32_e32 8, v48
; %bb.44:                               ;   in Loop: Header=BB344_15 Depth=1
	s_delay_alu instid0(VALU_DEP_2) | instskip(NEXT) | instid1(VALU_DEP_1)
	v_clz_i32_u32_e32 v47, v2
	v_min_u32_e32 v47, 32, v47
	s_delay_alu instid0(VALU_DEP_1) | instskip(NEXT) | instid1(VALU_DEP_1)
	v_subrev_nc_u32_e32 v48, 28, v47
	v_lshlrev_b64_e32 v[48:49], v48, v[2:3]
	s_delay_alu instid0(VALU_DEP_1)
	v_dual_sub_nc_u32 v47, 29, v47 :: v_dual_bitop2_b32 v2, 7, v48 bitop3:0x40
; %bb.45:                               ;   in Loop: Header=BB344_15 Depth=1
	s_or_b32 exec_lo, exec_lo, s46
	s_delay_alu instid0(VALU_DEP_1) | instskip(NEXT) | instid1(VALU_DEP_2)
	v_dual_lshlrev_b32 v43, 24, v43 :: v_dual_lshlrev_b32 v2, 20, v2
	v_lshl_add_u32 v47, v47, 23, 0x3c000000
	s_delay_alu instid0(VALU_DEP_2) | instskip(NEXT) | instid1(VALU_DEP_1)
	v_and_b32_e32 v43, 0x80000000, v43
	v_or3_b32 v47, v2, v43, v47
.LBB344_46:                             ;   in Loop: Header=BB344_15 Depth=1
	s_or_b32 exec_lo, exec_lo, s45
.LBB344_47:                             ;   in Loop: Header=BB344_15 Depth=1
	s_delay_alu instid0(SALU_CYCLE_1)
	s_or_b32 exec_lo, exec_lo, s44
.LBB344_48:                             ;   in Loop: Header=BB344_15 Depth=1
	s_delay_alu instid0(SALU_CYCLE_1) | instskip(SKIP_4) | instid1(VALU_DEP_3)
	s_or_b32 exec_lo, exec_lo, s43
	v_and_b32_e32 v43, 0xff, v53
	v_dual_mov_b32 v2, v53 :: v_dual_mov_b32 v49, 0
	v_mov_b32_e32 v48, 0
	s_mov_b32 s43, exec_lo
	v_cmpx_ne_u16_e32 0, v43
	s_cbranch_execz .LBB344_54
; %bb.49:                               ;   in Loop: Header=BB344_15 Depth=1
	v_bfrev_b32_e32 v48, 1
	s_mov_b32 s44, exec_lo
	v_cmpx_ne_u16_e32 0x80, v43
	s_cbranch_execz .LBB344_53
; %bb.50:                               ;   in Loop: Header=BB344_15 Depth=1
	v_and_b32_e32 v43, 0x7f, v53
	v_mov_b32_e32 v48, 0x7f800001
	s_mov_b32 s45, exec_lo
	s_delay_alu instid0(VALU_DEP_2)
	v_cmpx_ne_u32_e32 0x7f, v43
	s_cbranch_execz .LBB344_52
; %bb.51:                               ;   in Loop: Header=BB344_15 Depth=1
	v_dual_lshrrev_b32 v50, 3, v43 :: v_dual_bitop2_b32 v48, 7, v53 bitop3:0x40
	v_cmp_gt_u32_e64 s3, 8, v43
	s_delay_alu instid0(VALU_DEP_2) | instskip(NEXT) | instid1(VALU_DEP_1)
	v_clz_i32_u32_e32 v48, v48
	v_min_u32_e32 v48, 32, v48
	s_delay_alu instid0(VALU_DEP_1) | instskip(SKIP_1) | instid1(VALU_DEP_1)
	v_subrev_nc_u32_e32 v51, 28, v48
	v_sub_nc_u32_e32 v48, 29, v48
	v_dual_cndmask_b32 v43, v50, v48, s3 :: v_dual_cndmask_b32 v48, 0, v51, s3
	s_delay_alu instid0(VALU_DEP_1) | instskip(NEXT) | instid1(VALU_DEP_2)
	v_lshl_add_u32 v43, v43, 23, 0x3c000000
	v_lshlrev_b64_e32 v[50:51], v48, v[2:3]
	v_lshlrev_b32_e32 v48, 24, v2
	s_delay_alu instid0(VALU_DEP_1) | instskip(NEXT) | instid1(VALU_DEP_3)
	v_and_b32_e32 v48, 0x80000000, v48
	v_lshlrev_b32_e32 v50, 20, v50
	s_delay_alu instid0(VALU_DEP_1) | instskip(NEXT) | instid1(VALU_DEP_1)
	v_and_b32_e32 v50, 0x700000, v50
	v_or3_b32 v48, v50, v48, v43
.LBB344_52:                             ;   in Loop: Header=BB344_15 Depth=1
	s_or_b32 exec_lo, exec_lo, s45
.LBB344_53:                             ;   in Loop: Header=BB344_15 Depth=1
	s_delay_alu instid0(SALU_CYCLE_1)
	s_or_b32 exec_lo, exec_lo, s44
.LBB344_54:                             ;   in Loop: Header=BB344_15 Depth=1
	s_delay_alu instid0(SALU_CYCLE_1) | instskip(SKIP_2) | instid1(VALU_DEP_1)
	s_or_b32 exec_lo, exec_lo, s43
	v_lshrrev_b16 v43, 8, v2
	s_mov_b32 s43, exec_lo
	v_cmpx_ne_u16_e32 0, v43
	s_cbranch_execz .LBB344_62
; %bb.55:                               ;   in Loop: Header=BB344_15 Depth=1
	v_bfrev_b32_e32 v49, 1
	s_mov_b32 s44, exec_lo
	v_cmpx_ne_u16_e32 0x80, v43
	s_cbranch_execz .LBB344_61
; %bb.56:                               ;   in Loop: Header=BB344_15 Depth=1
	v_and_b32_e32 v43, 0xffff, v43
	v_mov_b32_e32 v49, 0x7f800001
	s_mov_b32 s45, exec_lo
	s_delay_alu instid0(VALU_DEP_2) | instskip(NEXT) | instid1(VALU_DEP_1)
	v_and_b32_e32 v56, 0x7f, v43
	v_cmpx_ne_u32_e32 0x7f, v56
	s_cbranch_execz .LBB344_60
; %bb.57:                               ;   in Loop: Header=BB344_15 Depth=1
	v_dual_mov_b32 v51, v3 :: v_dual_bitop2_b32 v50, 7, v43 bitop3:0x40
	v_lshrrev_b32_e32 v43, 3, v56
	s_mov_b32 s46, exec_lo
	v_cmpx_gt_u32_e32 8, v56
; %bb.58:                               ;   in Loop: Header=BB344_15 Depth=1
	s_delay_alu instid0(VALU_DEP_3) | instskip(NEXT) | instid1(VALU_DEP_1)
	v_clz_i32_u32_e32 v43, v50
	v_min_u32_e32 v43, 32, v43
	s_delay_alu instid0(VALU_DEP_1) | instskip(NEXT) | instid1(VALU_DEP_1)
	v_subrev_nc_u32_e32 v49, 28, v43
	v_lshlrev_b64_e32 v[50:51], v49, v[50:51]
	s_delay_alu instid0(VALU_DEP_1)
	v_dual_sub_nc_u32 v43, 29, v43 :: v_dual_bitop2_b32 v50, 7, v50 bitop3:0x40
; %bb.59:                               ;   in Loop: Header=BB344_15 Depth=1
	s_or_b32 exec_lo, exec_lo, s46
	v_lshlrev_b32_e32 v2, 16, v2
	s_delay_alu instid0(VALU_DEP_2) | instskip(NEXT) | instid1(VALU_DEP_3)
	v_lshlrev_b32_e32 v49, 20, v50
	v_lshl_add_u32 v43, v43, 23, 0x3c000000
	s_delay_alu instid0(VALU_DEP_3) | instskip(NEXT) | instid1(VALU_DEP_1)
	v_and_b32_e32 v2, 0x80000000, v2
	v_or3_b32 v49, v49, v2, v43
.LBB344_60:                             ;   in Loop: Header=BB344_15 Depth=1
	s_or_b32 exec_lo, exec_lo, s45
.LBB344_61:                             ;   in Loop: Header=BB344_15 Depth=1
	s_delay_alu instid0(SALU_CYCLE_1)
	s_or_b32 exec_lo, exec_lo, s44
.LBB344_62:                             ;   in Loop: Header=BB344_15 Depth=1
	s_delay_alu instid0(SALU_CYCLE_1) | instskip(SKIP_3) | instid1(VALU_DEP_2)
	s_or_b32 exec_lo, exec_lo, s43
	v_dual_lshrrev_b32 v43, 16, v53 :: v_dual_mov_b32 v51, 0
	v_mov_b32_e32 v50, 0
	s_mov_b32 s43, exec_lo
	v_and_b32_e32 v2, 0xff, v43
	s_delay_alu instid0(VALU_DEP_1)
	v_cmpx_ne_u16_e32 0, v2
	s_cbranch_execz .LBB344_70
; %bb.63:                               ;   in Loop: Header=BB344_15 Depth=1
	v_bfrev_b32_e32 v50, 1
	s_mov_b32 s44, exec_lo
	v_cmpx_ne_u16_e32 0x80, v2
	s_cbranch_execz .LBB344_69
; %bb.64:                               ;   in Loop: Header=BB344_15 Depth=1
	v_bfe_u32 v56, v53, 16, 7
	v_mov_b32_e32 v50, 0x7f800001
	s_mov_b32 s45, exec_lo
	s_delay_alu instid0(VALU_DEP_2)
	v_cmpx_ne_u32_e32 0x7f, v56
	s_cbranch_execz .LBB344_68
; %bb.65:                               ;   in Loop: Header=BB344_15 Depth=1
	v_dual_lshrrev_b32 v50, 3, v56 :: v_dual_bitop2_b32 v2, 7, v43 bitop3:0x40
	s_mov_b32 s46, exec_lo
	v_cmpx_gt_u32_e32 8, v56
; %bb.66:                               ;   in Loop: Header=BB344_15 Depth=1
	s_delay_alu instid0(VALU_DEP_2) | instskip(NEXT) | instid1(VALU_DEP_1)
	v_clz_i32_u32_e32 v50, v2
	v_min_u32_e32 v50, 32, v50
	s_delay_alu instid0(VALU_DEP_1) | instskip(NEXT) | instid1(VALU_DEP_1)
	v_subrev_nc_u32_e32 v56, 28, v50
	v_lshlrev_b64_e32 v[56:57], v56, v[2:3]
	s_delay_alu instid0(VALU_DEP_1)
	v_dual_sub_nc_u32 v50, 29, v50 :: v_dual_bitop2_b32 v2, 7, v56 bitop3:0x40
; %bb.67:                               ;   in Loop: Header=BB344_15 Depth=1
	s_or_b32 exec_lo, exec_lo, s46
	s_delay_alu instid0(VALU_DEP_1) | instskip(NEXT) | instid1(VALU_DEP_2)
	v_dual_lshlrev_b32 v43, 24, v43 :: v_dual_lshlrev_b32 v2, 20, v2
	v_lshl_add_u32 v50, v50, 23, 0x3c000000
	s_delay_alu instid0(VALU_DEP_2) | instskip(NEXT) | instid1(VALU_DEP_1)
	v_and_b32_e32 v43, 0x80000000, v43
	v_or3_b32 v50, v2, v43, v50
.LBB344_68:                             ;   in Loop: Header=BB344_15 Depth=1
	s_or_b32 exec_lo, exec_lo, s45
.LBB344_69:                             ;   in Loop: Header=BB344_15 Depth=1
	s_delay_alu instid0(SALU_CYCLE_1)
	s_or_b32 exec_lo, exec_lo, s44
.LBB344_70:                             ;   in Loop: Header=BB344_15 Depth=1
	s_delay_alu instid0(SALU_CYCLE_1) | instskip(NEXT) | instid1(SALU_CYCLE_1)
	s_or_b32 exec_lo, exec_lo, s43
	s_mov_b32 s43, exec_lo
	v_cmpx_lt_u64_e64 s[26:27], v[52:53]
	s_cbranch_execz .LBB344_78
; %bb.71:                               ;   in Loop: Header=BB344_15 Depth=1
	v_lshrrev_b32_e32 v43, 24, v53
	v_bfrev_b32_e32 v51, 1
	s_mov_b32 s44, exec_lo
	s_delay_alu instid0(VALU_DEP_2)
	v_cmpx_ne_u32_e32 0x80, v43
	s_cbranch_execz .LBB344_77
; %bb.72:                               ;   in Loop: Header=BB344_15 Depth=1
	v_bfe_u32 v52, v53, 24, 7
	v_mov_b32_e32 v51, 0x7f800001
	s_mov_b32 s45, exec_lo
	s_delay_alu instid0(VALU_DEP_2)
	v_cmpx_ne_u32_e32 0x7f, v52
	s_cbranch_execz .LBB344_76
; %bb.73:                               ;   in Loop: Header=BB344_15 Depth=1
	v_dual_lshrrev_b32 v51, 3, v52 :: v_dual_bitop2_b32 v2, 7, v43 bitop3:0x40
	s_mov_b32 s46, exec_lo
	v_cmpx_gt_u32_e32 8, v52
; %bb.74:                               ;   in Loop: Header=BB344_15 Depth=1
	s_delay_alu instid0(VALU_DEP_2) | instskip(NEXT) | instid1(VALU_DEP_1)
	v_clz_i32_u32_e32 v51, v2
	v_min_u32_e32 v51, 32, v51
	s_delay_alu instid0(VALU_DEP_1) | instskip(NEXT) | instid1(VALU_DEP_1)
	v_subrev_nc_u32_e32 v52, 28, v51
	v_lshlrev_b64_e32 v[52:53], v52, v[2:3]
	s_delay_alu instid0(VALU_DEP_1)
	v_dual_sub_nc_u32 v51, 29, v51 :: v_dual_bitop2_b32 v2, 7, v52 bitop3:0x40
; %bb.75:                               ;   in Loop: Header=BB344_15 Depth=1
	s_or_b32 exec_lo, exec_lo, s46
	s_delay_alu instid0(VALU_DEP_1) | instskip(NEXT) | instid1(VALU_DEP_2)
	v_dual_lshlrev_b32 v43, 24, v43 :: v_dual_lshlrev_b32 v2, 20, v2
	v_lshl_add_u32 v51, v51, 23, 0x3c000000
	s_delay_alu instid0(VALU_DEP_2) | instskip(NEXT) | instid1(VALU_DEP_1)
	v_and_b32_e32 v43, 0x80000000, v43
	v_or3_b32 v51, v2, v43, v51
.LBB344_76:                             ;   in Loop: Header=BB344_15 Depth=1
	s_or_b32 exec_lo, exec_lo, s45
.LBB344_77:                             ;   in Loop: Header=BB344_15 Depth=1
	s_delay_alu instid0(SALU_CYCLE_1)
	s_or_b32 exec_lo, exec_lo, s44
.LBB344_78:                             ;   in Loop: Header=BB344_15 Depth=1
	s_delay_alu instid0(SALU_CYCLE_1)
	s_or_b32 exec_lo, exec_lo, s43
	global_load_b64 v[62:63], v[54:55], off offset:8
	v_dual_mov_b32 v53, 0 :: v_dual_mov_b32 v52, 0
	s_mov_b32 s43, exec_lo
	s_wait_loadcnt 0x0
	v_and_b32_e32 v2, 0xff, v62
	s_delay_alu instid0(VALU_DEP_1)
	v_cmpx_ne_u16_e32 0, v2
	s_cbranch_execz .LBB344_84
; %bb.79:                               ;   in Loop: Header=BB344_15 Depth=1
	v_bfrev_b32_e32 v52, 1
	s_mov_b32 s44, exec_lo
	v_cmpx_ne_u16_e32 0x80, v2
	s_cbranch_execz .LBB344_83
; %bb.80:                               ;   in Loop: Header=BB344_15 Depth=1
	v_and_b32_e32 v2, 0x7f, v62
	v_mov_b32_e32 v52, 0x7f800001
	s_mov_b32 s45, exec_lo
	s_delay_alu instid0(VALU_DEP_2)
	v_cmpx_ne_u32_e32 0x7f, v2
	s_cbranch_execz .LBB344_82
; %bb.81:                               ;   in Loop: Header=BB344_15 Depth=1
	v_and_b32_e32 v43, 7, v62
	v_cmp_gt_u32_e64 s3, 8, v2
	s_delay_alu instid0(VALU_DEP_2) | instskip(NEXT) | instid1(VALU_DEP_1)
	v_clz_i32_u32_e32 v43, v43
	v_min_u32_e32 v43, 32, v43
	v_lshrrev_b32_e32 v52, 3, v2
	s_delay_alu instid0(VALU_DEP_2) | instskip(SKIP_1) | instid1(VALU_DEP_1)
	v_subrev_nc_u32_e32 v56, 28, v43
	v_sub_nc_u32_e32 v43, 29, v43
	v_dual_cndmask_b32 v2, v52, v43, s3 :: v_dual_cndmask_b32 v43, 0, v56, s3
	s_delay_alu instid0(VALU_DEP_1) | instskip(NEXT) | instid1(VALU_DEP_2)
	v_lshl_add_u32 v2, v2, 23, 0x3c000000
	v_lshlrev_b64_e32 v[56:57], v43, v[62:63]
	v_lshlrev_b32_e32 v43, 24, v62
	s_delay_alu instid0(VALU_DEP_1) | instskip(NEXT) | instid1(VALU_DEP_3)
	v_and_b32_e32 v43, 0x80000000, v43
	v_lshlrev_b32_e32 v52, 20, v56
	s_delay_alu instid0(VALU_DEP_1) | instskip(NEXT) | instid1(VALU_DEP_1)
	v_and_b32_e32 v52, 0x700000, v52
	v_or3_b32 v52, v52, v43, v2
.LBB344_82:                             ;   in Loop: Header=BB344_15 Depth=1
	s_or_b32 exec_lo, exec_lo, s45
.LBB344_83:                             ;   in Loop: Header=BB344_15 Depth=1
	s_delay_alu instid0(SALU_CYCLE_1)
	s_or_b32 exec_lo, exec_lo, s44
.LBB344_84:                             ;   in Loop: Header=BB344_15 Depth=1
	s_delay_alu instid0(SALU_CYCLE_1) | instskip(SKIP_2) | instid1(VALU_DEP_1)
	s_or_b32 exec_lo, exec_lo, s43
	v_lshrrev_b16 v2, 8, v62
	s_mov_b32 s43, exec_lo
	v_cmpx_ne_u16_e32 0, v2
	s_cbranch_execz .LBB344_92
; %bb.85:                               ;   in Loop: Header=BB344_15 Depth=1
	v_bfrev_b32_e32 v53, 1
	s_mov_b32 s44, exec_lo
	v_cmpx_ne_u16_e32 0x80, v2
	s_cbranch_execz .LBB344_91
; %bb.86:                               ;   in Loop: Header=BB344_15 Depth=1
	v_and_b32_e32 v2, 0xffff, v2
	v_mov_b32_e32 v53, 0x7f800001
	s_mov_b32 s45, exec_lo
	s_delay_alu instid0(VALU_DEP_2) | instskip(NEXT) | instid1(VALU_DEP_1)
	v_and_b32_e32 v56, 0x7f, v2
	v_cmpx_ne_u32_e32 0x7f, v56
	s_cbranch_execz .LBB344_90
; %bb.87:                               ;   in Loop: Header=BB344_15 Depth=1
	v_dual_lshrrev_b32 v43, 3, v56 :: v_dual_bitop2_b32 v2, 7, v2 bitop3:0x40
	s_mov_b32 s46, exec_lo
	v_cmpx_gt_u32_e32 8, v56
; %bb.88:                               ;   in Loop: Header=BB344_15 Depth=1
	s_delay_alu instid0(VALU_DEP_2) | instskip(NEXT) | instid1(VALU_DEP_1)
	v_clz_i32_u32_e32 v43, v2
	v_min_u32_e32 v43, 32, v43
	s_delay_alu instid0(VALU_DEP_1) | instskip(NEXT) | instid1(VALU_DEP_1)
	v_subrev_nc_u32_e32 v53, 28, v43
	v_lshlrev_b64_e32 v[56:57], v53, v[2:3]
	s_delay_alu instid0(VALU_DEP_1)
	v_dual_sub_nc_u32 v43, 29, v43 :: v_dual_bitop2_b32 v2, 7, v56 bitop3:0x40
; %bb.89:                               ;   in Loop: Header=BB344_15 Depth=1
	s_or_b32 exec_lo, exec_lo, s46
	v_lshlrev_b32_e32 v53, 16, v62
	s_delay_alu instid0(VALU_DEP_2) | instskip(NEXT) | instid1(VALU_DEP_3)
	v_lshlrev_b32_e32 v2, 20, v2
	v_lshl_add_u32 v43, v43, 23, 0x3c000000
	s_delay_alu instid0(VALU_DEP_3) | instskip(NEXT) | instid1(VALU_DEP_1)
	v_and_b32_e32 v53, 0x80000000, v53
	v_or3_b32 v53, v2, v53, v43
.LBB344_90:                             ;   in Loop: Header=BB344_15 Depth=1
	s_or_b32 exec_lo, exec_lo, s45
.LBB344_91:                             ;   in Loop: Header=BB344_15 Depth=1
	s_delay_alu instid0(SALU_CYCLE_1)
	s_or_b32 exec_lo, exec_lo, s44
.LBB344_92:                             ;   in Loop: Header=BB344_15 Depth=1
	s_delay_alu instid0(SALU_CYCLE_1) | instskip(SKIP_3) | instid1(VALU_DEP_2)
	s_or_b32 exec_lo, exec_lo, s43
	v_dual_lshrrev_b32 v43, 16, v62 :: v_dual_mov_b32 v57, 0
	v_mov_b32_e32 v56, 0
	s_mov_b32 s43, exec_lo
	v_and_b32_e32 v2, 0xff, v43
	s_delay_alu instid0(VALU_DEP_1)
	v_cmpx_ne_u16_e32 0, v2
	s_cbranch_execz .LBB344_100
; %bb.93:                               ;   in Loop: Header=BB344_15 Depth=1
	v_bfrev_b32_e32 v56, 1
	s_mov_b32 s44, exec_lo
	v_cmpx_ne_u16_e32 0x80, v2
	s_cbranch_execz .LBB344_99
; %bb.94:                               ;   in Loop: Header=BB344_15 Depth=1
	v_bfe_u32 v58, v62, 16, 7
	v_mov_b32_e32 v56, 0x7f800001
	s_mov_b32 s45, exec_lo
	s_delay_alu instid0(VALU_DEP_2)
	v_cmpx_ne_u32_e32 0x7f, v58
	s_cbranch_execz .LBB344_98
; %bb.95:                               ;   in Loop: Header=BB344_15 Depth=1
	v_dual_lshrrev_b32 v56, 3, v58 :: v_dual_bitop2_b32 v2, 7, v43 bitop3:0x40
	s_mov_b32 s46, exec_lo
	v_cmpx_gt_u32_e32 8, v58
; %bb.96:                               ;   in Loop: Header=BB344_15 Depth=1
	s_delay_alu instid0(VALU_DEP_2) | instskip(NEXT) | instid1(VALU_DEP_1)
	v_clz_i32_u32_e32 v56, v2
	v_min_u32_e32 v56, 32, v56
	s_delay_alu instid0(VALU_DEP_1) | instskip(NEXT) | instid1(VALU_DEP_1)
	v_subrev_nc_u32_e32 v58, 28, v56
	v_lshlrev_b64_e32 v[58:59], v58, v[2:3]
	s_delay_alu instid0(VALU_DEP_1)
	v_dual_sub_nc_u32 v56, 29, v56 :: v_dual_bitop2_b32 v2, 7, v58 bitop3:0x40
; %bb.97:                               ;   in Loop: Header=BB344_15 Depth=1
	s_or_b32 exec_lo, exec_lo, s46
	s_delay_alu instid0(VALU_DEP_1) | instskip(NEXT) | instid1(VALU_DEP_2)
	v_dual_lshlrev_b32 v43, 24, v43 :: v_dual_lshlrev_b32 v2, 20, v2
	v_lshl_add_u32 v56, v56, 23, 0x3c000000
	s_delay_alu instid0(VALU_DEP_2) | instskip(NEXT) | instid1(VALU_DEP_1)
	v_and_b32_e32 v43, 0x80000000, v43
	v_or3_b32 v56, v2, v43, v56
.LBB344_98:                             ;   in Loop: Header=BB344_15 Depth=1
	s_or_b32 exec_lo, exec_lo, s45
.LBB344_99:                             ;   in Loop: Header=BB344_15 Depth=1
	s_delay_alu instid0(SALU_CYCLE_1)
	s_or_b32 exec_lo, exec_lo, s44
.LBB344_100:                            ;   in Loop: Header=BB344_15 Depth=1
	s_delay_alu instid0(SALU_CYCLE_1) | instskip(NEXT) | instid1(SALU_CYCLE_1)
	s_or_b32 exec_lo, exec_lo, s43
	s_mov_b32 s43, exec_lo
	v_cmpx_lt_u32_e32 0xffffff, v62
	s_cbranch_execz .LBB344_108
; %bb.101:                              ;   in Loop: Header=BB344_15 Depth=1
	v_lshrrev_b32_e32 v43, 24, v62
	v_bfrev_b32_e32 v57, 1
	s_mov_b32 s44, exec_lo
	s_delay_alu instid0(VALU_DEP_2)
	v_cmpx_ne_u32_e32 0x80, v43
	s_cbranch_execz .LBB344_107
; %bb.102:                              ;   in Loop: Header=BB344_15 Depth=1
	v_bfe_u32 v58, v62, 24, 7
	v_mov_b32_e32 v57, 0x7f800001
	s_mov_b32 s45, exec_lo
	s_delay_alu instid0(VALU_DEP_2)
	v_cmpx_ne_u32_e32 0x7f, v58
	s_cbranch_execz .LBB344_106
; %bb.103:                              ;   in Loop: Header=BB344_15 Depth=1
	v_dual_lshrrev_b32 v57, 3, v58 :: v_dual_bitop2_b32 v2, 7, v43 bitop3:0x40
	s_mov_b32 s46, exec_lo
	v_cmpx_gt_u32_e32 8, v58
; %bb.104:                              ;   in Loop: Header=BB344_15 Depth=1
	s_delay_alu instid0(VALU_DEP_2) | instskip(NEXT) | instid1(VALU_DEP_1)
	v_clz_i32_u32_e32 v57, v2
	v_min_u32_e32 v57, 32, v57
	s_delay_alu instid0(VALU_DEP_1) | instskip(NEXT) | instid1(VALU_DEP_1)
	v_subrev_nc_u32_e32 v58, 28, v57
	v_lshlrev_b64_e32 v[58:59], v58, v[2:3]
	s_delay_alu instid0(VALU_DEP_1)
	v_dual_sub_nc_u32 v57, 29, v57 :: v_dual_bitop2_b32 v2, 7, v58 bitop3:0x40
; %bb.105:                              ;   in Loop: Header=BB344_15 Depth=1
	s_or_b32 exec_lo, exec_lo, s46
	s_delay_alu instid0(VALU_DEP_1) | instskip(NEXT) | instid1(VALU_DEP_2)
	v_dual_lshlrev_b32 v43, 24, v43 :: v_dual_lshlrev_b32 v2, 20, v2
	v_lshl_add_u32 v57, v57, 23, 0x3c000000
	s_delay_alu instid0(VALU_DEP_2) | instskip(NEXT) | instid1(VALU_DEP_1)
	v_and_b32_e32 v43, 0x80000000, v43
	v_or3_b32 v57, v2, v43, v57
.LBB344_106:                            ;   in Loop: Header=BB344_15 Depth=1
	s_or_b32 exec_lo, exec_lo, s45
.LBB344_107:                            ;   in Loop: Header=BB344_15 Depth=1
	s_delay_alu instid0(SALU_CYCLE_1)
	s_or_b32 exec_lo, exec_lo, s44
.LBB344_108:                            ;   in Loop: Header=BB344_15 Depth=1
	s_delay_alu instid0(SALU_CYCLE_1) | instskip(SKIP_4) | instid1(VALU_DEP_3)
	s_or_b32 exec_lo, exec_lo, s43
	v_and_b32_e32 v43, 0xff, v63
	v_dual_mov_b32 v2, v63 :: v_dual_mov_b32 v59, 0
	v_mov_b32_e32 v58, 0
	s_mov_b32 s43, exec_lo
	v_cmpx_ne_u16_e32 0, v43
	s_cbranch_execz .LBB344_114
; %bb.109:                              ;   in Loop: Header=BB344_15 Depth=1
	v_bfrev_b32_e32 v58, 1
	s_mov_b32 s44, exec_lo
	v_cmpx_ne_u16_e32 0x80, v43
	s_cbranch_execz .LBB344_113
; %bb.110:                              ;   in Loop: Header=BB344_15 Depth=1
	v_and_b32_e32 v43, 0x7f, v63
	v_mov_b32_e32 v58, 0x7f800001
	s_mov_b32 s45, exec_lo
	s_delay_alu instid0(VALU_DEP_2)
	v_cmpx_ne_u32_e32 0x7f, v43
	s_cbranch_execz .LBB344_112
; %bb.111:                              ;   in Loop: Header=BB344_15 Depth=1
	v_and_b32_e32 v58, 7, v63
	v_cmp_gt_u32_e64 s3, 8, v43
	s_delay_alu instid0(VALU_DEP_2) | instskip(NEXT) | instid1(VALU_DEP_1)
	v_clz_i32_u32_e32 v58, v58
	v_min_u32_e32 v58, 32, v58
	v_lshrrev_b32_e32 v60, 3, v43
	s_delay_alu instid0(VALU_DEP_2) | instskip(SKIP_1) | instid1(VALU_DEP_1)
	v_subrev_nc_u32_e32 v61, 28, v58
	v_sub_nc_u32_e32 v58, 29, v58
	v_dual_cndmask_b32 v43, v60, v58, s3 :: v_dual_cndmask_b32 v58, 0, v61, s3
	s_delay_alu instid0(VALU_DEP_1) | instskip(NEXT) | instid1(VALU_DEP_2)
	v_lshl_add_u32 v43, v43, 23, 0x3c000000
	v_lshlrev_b64_e32 v[60:61], v58, v[2:3]
	v_lshlrev_b32_e32 v58, 24, v2
	s_delay_alu instid0(VALU_DEP_1) | instskip(NEXT) | instid1(VALU_DEP_3)
	v_and_b32_e32 v58, 0x80000000, v58
	v_lshlrev_b32_e32 v60, 20, v60
	s_delay_alu instid0(VALU_DEP_1) | instskip(NEXT) | instid1(VALU_DEP_1)
	v_and_b32_e32 v60, 0x700000, v60
	v_or3_b32 v58, v60, v58, v43
.LBB344_112:                            ;   in Loop: Header=BB344_15 Depth=1
	s_or_b32 exec_lo, exec_lo, s45
.LBB344_113:                            ;   in Loop: Header=BB344_15 Depth=1
	s_delay_alu instid0(SALU_CYCLE_1)
	s_or_b32 exec_lo, exec_lo, s44
.LBB344_114:                            ;   in Loop: Header=BB344_15 Depth=1
	s_delay_alu instid0(SALU_CYCLE_1) | instskip(SKIP_2) | instid1(VALU_DEP_1)
	s_or_b32 exec_lo, exec_lo, s43
	v_lshrrev_b16 v43, 8, v2
	s_mov_b32 s43, exec_lo
	v_cmpx_ne_u16_e32 0, v43
	s_cbranch_execz .LBB344_122
; %bb.115:                              ;   in Loop: Header=BB344_15 Depth=1
	v_bfrev_b32_e32 v59, 1
	s_mov_b32 s44, exec_lo
	v_cmpx_ne_u16_e32 0x80, v43
	s_cbranch_execz .LBB344_121
; %bb.116:                              ;   in Loop: Header=BB344_15 Depth=1
	v_and_b32_e32 v43, 0xffff, v43
	v_mov_b32_e32 v59, 0x7f800001
	s_mov_b32 s45, exec_lo
	s_delay_alu instid0(VALU_DEP_2) | instskip(NEXT) | instid1(VALU_DEP_1)
	v_and_b32_e32 v64, 0x7f, v43
	v_cmpx_ne_u32_e32 0x7f, v64
	s_cbranch_execz .LBB344_120
; %bb.117:                              ;   in Loop: Header=BB344_15 Depth=1
	v_dual_mov_b32 v61, v3 :: v_dual_bitop2_b32 v60, 7, v43 bitop3:0x40
	v_lshrrev_b32_e32 v43, 3, v64
	s_mov_b32 s46, exec_lo
	v_cmpx_gt_u32_e32 8, v64
; %bb.118:                              ;   in Loop: Header=BB344_15 Depth=1
	s_delay_alu instid0(VALU_DEP_3) | instskip(NEXT) | instid1(VALU_DEP_1)
	v_clz_i32_u32_e32 v43, v60
	v_min_u32_e32 v43, 32, v43
	s_delay_alu instid0(VALU_DEP_1) | instskip(NEXT) | instid1(VALU_DEP_1)
	v_subrev_nc_u32_e32 v59, 28, v43
	v_lshlrev_b64_e32 v[60:61], v59, v[60:61]
	s_delay_alu instid0(VALU_DEP_1)
	v_dual_sub_nc_u32 v43, 29, v43 :: v_dual_bitop2_b32 v60, 7, v60 bitop3:0x40
; %bb.119:                              ;   in Loop: Header=BB344_15 Depth=1
	s_or_b32 exec_lo, exec_lo, s46
	s_delay_alu instid0(VALU_DEP_1) | instskip(NEXT) | instid1(VALU_DEP_2)
	v_dual_lshlrev_b32 v2, 16, v2 :: v_dual_lshlrev_b32 v59, 20, v60
	v_lshl_add_u32 v43, v43, 23, 0x3c000000
	s_delay_alu instid0(VALU_DEP_2) | instskip(NEXT) | instid1(VALU_DEP_1)
	v_and_b32_e32 v2, 0x80000000, v2
	v_or3_b32 v59, v59, v2, v43
.LBB344_120:                            ;   in Loop: Header=BB344_15 Depth=1
	s_or_b32 exec_lo, exec_lo, s45
.LBB344_121:                            ;   in Loop: Header=BB344_15 Depth=1
	s_delay_alu instid0(SALU_CYCLE_1)
	s_or_b32 exec_lo, exec_lo, s44
.LBB344_122:                            ;   in Loop: Header=BB344_15 Depth=1
	s_delay_alu instid0(SALU_CYCLE_1) | instskip(SKIP_3) | instid1(VALU_DEP_2)
	s_or_b32 exec_lo, exec_lo, s43
	v_dual_lshrrev_b32 v43, 16, v63 :: v_dual_mov_b32 v61, 0
	v_mov_b32_e32 v60, 0
	s_mov_b32 s43, exec_lo
	v_and_b32_e32 v2, 0xff, v43
	s_delay_alu instid0(VALU_DEP_1)
	v_cmpx_ne_u16_e32 0, v2
	s_cbranch_execz .LBB344_130
; %bb.123:                              ;   in Loop: Header=BB344_15 Depth=1
	v_bfrev_b32_e32 v60, 1
	s_mov_b32 s44, exec_lo
	v_cmpx_ne_u16_e32 0x80, v2
	s_cbranch_execz .LBB344_129
; %bb.124:                              ;   in Loop: Header=BB344_15 Depth=1
	v_bfe_u32 v64, v63, 16, 7
	v_mov_b32_e32 v60, 0x7f800001
	s_mov_b32 s45, exec_lo
	s_delay_alu instid0(VALU_DEP_2)
	v_cmpx_ne_u32_e32 0x7f, v64
	s_cbranch_execz .LBB344_128
; %bb.125:                              ;   in Loop: Header=BB344_15 Depth=1
	v_dual_lshrrev_b32 v60, 3, v64 :: v_dual_bitop2_b32 v2, 7, v43 bitop3:0x40
	s_mov_b32 s46, exec_lo
	v_cmpx_gt_u32_e32 8, v64
; %bb.126:                              ;   in Loop: Header=BB344_15 Depth=1
	s_delay_alu instid0(VALU_DEP_2) | instskip(NEXT) | instid1(VALU_DEP_1)
	v_clz_i32_u32_e32 v60, v2
	v_min_u32_e32 v60, 32, v60
	s_delay_alu instid0(VALU_DEP_1) | instskip(SKIP_1) | instid1(VALU_DEP_2)
	v_subrev_nc_u32_e32 v64, 28, v60
	v_sub_nc_u32_e32 v60, 29, v60
	v_lshlrev_b64_e32 v[64:65], v64, v[2:3]
	s_delay_alu instid0(VALU_DEP_1)
	v_and_b32_e32 v2, 7, v64
; %bb.127:                              ;   in Loop: Header=BB344_15 Depth=1
	s_or_b32 exec_lo, exec_lo, s46
	s_delay_alu instid0(VALU_DEP_1) | instskip(SKIP_1) | instid1(VALU_DEP_2)
	v_dual_lshlrev_b32 v43, 24, v43 :: v_dual_lshlrev_b32 v2, 20, v2
	v_lshl_add_u32 v60, v60, 23, 0x3c000000
	v_and_b32_e32 v43, 0x80000000, v43
	s_delay_alu instid0(VALU_DEP_1)
	v_or3_b32 v60, v2, v43, v60
.LBB344_128:                            ;   in Loop: Header=BB344_15 Depth=1
	s_or_b32 exec_lo, exec_lo, s45
.LBB344_129:                            ;   in Loop: Header=BB344_15 Depth=1
	s_delay_alu instid0(SALU_CYCLE_1)
	s_or_b32 exec_lo, exec_lo, s44
.LBB344_130:                            ;   in Loop: Header=BB344_15 Depth=1
	s_delay_alu instid0(SALU_CYCLE_1) | instskip(NEXT) | instid1(SALU_CYCLE_1)
	s_or_b32 exec_lo, exec_lo, s43
	s_mov_b32 s43, exec_lo
	v_cmpx_lt_u64_e64 s[26:27], v[62:63]
	s_cbranch_execz .LBB344_138
; %bb.131:                              ;   in Loop: Header=BB344_15 Depth=1
	v_lshrrev_b32_e32 v43, 24, v63
	v_bfrev_b32_e32 v61, 1
	s_mov_b32 s44, exec_lo
	s_delay_alu instid0(VALU_DEP_2)
	v_cmpx_ne_u32_e32 0x80, v43
	s_cbranch_execz .LBB344_137
; %bb.132:                              ;   in Loop: Header=BB344_15 Depth=1
	v_bfe_u32 v62, v63, 24, 7
	v_mov_b32_e32 v61, 0x7f800001
	s_mov_b32 s45, exec_lo
	s_delay_alu instid0(VALU_DEP_2)
	v_cmpx_ne_u32_e32 0x7f, v62
	s_cbranch_execz .LBB344_136
; %bb.133:                              ;   in Loop: Header=BB344_15 Depth=1
	v_dual_lshrrev_b32 v61, 3, v62 :: v_dual_bitop2_b32 v2, 7, v43 bitop3:0x40
	s_mov_b32 s46, exec_lo
	v_cmpx_gt_u32_e32 8, v62
; %bb.134:                              ;   in Loop: Header=BB344_15 Depth=1
	s_delay_alu instid0(VALU_DEP_2) | instskip(NEXT) | instid1(VALU_DEP_1)
	v_clz_i32_u32_e32 v61, v2
	v_min_u32_e32 v61, 32, v61
	s_delay_alu instid0(VALU_DEP_1) | instskip(NEXT) | instid1(VALU_DEP_1)
	v_subrev_nc_u32_e32 v62, 28, v61
	v_lshlrev_b64_e32 v[62:63], v62, v[2:3]
	s_delay_alu instid0(VALU_DEP_1)
	v_dual_sub_nc_u32 v61, 29, v61 :: v_dual_bitop2_b32 v2, 7, v62 bitop3:0x40
; %bb.135:                              ;   in Loop: Header=BB344_15 Depth=1
	s_or_b32 exec_lo, exec_lo, s46
	s_delay_alu instid0(VALU_DEP_1) | instskip(NEXT) | instid1(VALU_DEP_2)
	v_dual_lshlrev_b32 v43, 24, v43 :: v_dual_lshlrev_b32 v2, 20, v2
	v_lshl_add_u32 v61, v61, 23, 0x3c000000
	s_delay_alu instid0(VALU_DEP_2) | instskip(NEXT) | instid1(VALU_DEP_1)
	v_and_b32_e32 v43, 0x80000000, v43
	v_or3_b32 v61, v2, v43, v61
.LBB344_136:                            ;   in Loop: Header=BB344_15 Depth=1
	s_or_b32 exec_lo, exec_lo, s45
.LBB344_137:                            ;   in Loop: Header=BB344_15 Depth=1
	s_delay_alu instid0(SALU_CYCLE_1)
	s_or_b32 exec_lo, exec_lo, s44
.LBB344_138:                            ;   in Loop: Header=BB344_15 Depth=1
	s_delay_alu instid0(SALU_CYCLE_1)
	s_or_b32 exec_lo, exec_lo, s43
	global_load_b64 v[70:71], v[54:55], off offset:512
	v_dual_mov_b32 v63, 0 :: v_dual_mov_b32 v62, 0
	s_mov_b32 s43, exec_lo
	s_wait_loadcnt 0x0
	v_and_b32_e32 v2, 0xff, v70
	s_delay_alu instid0(VALU_DEP_1)
	v_cmpx_ne_u16_e32 0, v2
	s_cbranch_execz .LBB344_144
; %bb.139:                              ;   in Loop: Header=BB344_15 Depth=1
	v_bfrev_b32_e32 v62, 1
	s_mov_b32 s44, exec_lo
	v_cmpx_ne_u16_e32 0x80, v2
	s_cbranch_execz .LBB344_143
; %bb.140:                              ;   in Loop: Header=BB344_15 Depth=1
	v_and_b32_e32 v2, 0x7f, v70
	v_mov_b32_e32 v62, 0x7f800001
	s_mov_b32 s45, exec_lo
	s_delay_alu instid0(VALU_DEP_2)
	v_cmpx_ne_u32_e32 0x7f, v2
	s_cbranch_execz .LBB344_142
; %bb.141:                              ;   in Loop: Header=BB344_15 Depth=1
	v_and_b32_e32 v43, 7, v70
	v_cmp_gt_u32_e64 s3, 8, v2
	s_delay_alu instid0(VALU_DEP_2) | instskip(NEXT) | instid1(VALU_DEP_1)
	v_clz_i32_u32_e32 v43, v43
	v_min_u32_e32 v43, 32, v43
	v_lshrrev_b32_e32 v62, 3, v2
	s_delay_alu instid0(VALU_DEP_2) | instskip(SKIP_1) | instid1(VALU_DEP_1)
	v_subrev_nc_u32_e32 v64, 28, v43
	v_sub_nc_u32_e32 v43, 29, v43
	v_dual_cndmask_b32 v2, v62, v43, s3 :: v_dual_cndmask_b32 v43, 0, v64, s3
	s_delay_alu instid0(VALU_DEP_1) | instskip(NEXT) | instid1(VALU_DEP_2)
	v_lshl_add_u32 v2, v2, 23, 0x3c000000
	v_lshlrev_b64_e32 v[64:65], v43, v[70:71]
	v_lshlrev_b32_e32 v43, 24, v70
	s_delay_alu instid0(VALU_DEP_1) | instskip(NEXT) | instid1(VALU_DEP_3)
	v_and_b32_e32 v43, 0x80000000, v43
	v_lshlrev_b32_e32 v62, 20, v64
	s_delay_alu instid0(VALU_DEP_1) | instskip(NEXT) | instid1(VALU_DEP_1)
	v_and_b32_e32 v62, 0x700000, v62
	v_or3_b32 v62, v62, v43, v2
.LBB344_142:                            ;   in Loop: Header=BB344_15 Depth=1
	s_or_b32 exec_lo, exec_lo, s45
.LBB344_143:                            ;   in Loop: Header=BB344_15 Depth=1
	s_delay_alu instid0(SALU_CYCLE_1)
	s_or_b32 exec_lo, exec_lo, s44
.LBB344_144:                            ;   in Loop: Header=BB344_15 Depth=1
	s_delay_alu instid0(SALU_CYCLE_1) | instskip(SKIP_2) | instid1(VALU_DEP_1)
	s_or_b32 exec_lo, exec_lo, s43
	v_lshrrev_b16 v2, 8, v70
	s_mov_b32 s43, exec_lo
	v_cmpx_ne_u16_e32 0, v2
	s_cbranch_execz .LBB344_152
; %bb.145:                              ;   in Loop: Header=BB344_15 Depth=1
	v_bfrev_b32_e32 v63, 1
	s_mov_b32 s44, exec_lo
	v_cmpx_ne_u16_e32 0x80, v2
	s_cbranch_execz .LBB344_151
; %bb.146:                              ;   in Loop: Header=BB344_15 Depth=1
	v_and_b32_e32 v2, 0xffff, v2
	v_mov_b32_e32 v63, 0x7f800001
	s_mov_b32 s45, exec_lo
	s_delay_alu instid0(VALU_DEP_2) | instskip(NEXT) | instid1(VALU_DEP_1)
	v_and_b32_e32 v64, 0x7f, v2
	v_cmpx_ne_u32_e32 0x7f, v64
	s_cbranch_execz .LBB344_150
; %bb.147:                              ;   in Loop: Header=BB344_15 Depth=1
	v_dual_lshrrev_b32 v43, 3, v64 :: v_dual_bitop2_b32 v2, 7, v2 bitop3:0x40
	s_mov_b32 s46, exec_lo
	v_cmpx_gt_u32_e32 8, v64
; %bb.148:                              ;   in Loop: Header=BB344_15 Depth=1
	s_delay_alu instid0(VALU_DEP_2) | instskip(NEXT) | instid1(VALU_DEP_1)
	v_clz_i32_u32_e32 v43, v2
	v_min_u32_e32 v43, 32, v43
	s_delay_alu instid0(VALU_DEP_1) | instskip(NEXT) | instid1(VALU_DEP_1)
	v_subrev_nc_u32_e32 v63, 28, v43
	v_lshlrev_b64_e32 v[64:65], v63, v[2:3]
	s_delay_alu instid0(VALU_DEP_1)
	v_dual_sub_nc_u32 v43, 29, v43 :: v_dual_bitop2_b32 v2, 7, v64 bitop3:0x40
; %bb.149:                              ;   in Loop: Header=BB344_15 Depth=1
	s_or_b32 exec_lo, exec_lo, s46
	v_lshlrev_b32_e32 v63, 16, v70
	s_delay_alu instid0(VALU_DEP_2) | instskip(NEXT) | instid1(VALU_DEP_3)
	v_lshlrev_b32_e32 v2, 20, v2
	v_lshl_add_u32 v43, v43, 23, 0x3c000000
	s_delay_alu instid0(VALU_DEP_3) | instskip(NEXT) | instid1(VALU_DEP_1)
	v_and_b32_e32 v63, 0x80000000, v63
	v_or3_b32 v63, v2, v63, v43
.LBB344_150:                            ;   in Loop: Header=BB344_15 Depth=1
	s_or_b32 exec_lo, exec_lo, s45
.LBB344_151:                            ;   in Loop: Header=BB344_15 Depth=1
	s_delay_alu instid0(SALU_CYCLE_1)
	s_or_b32 exec_lo, exec_lo, s44
.LBB344_152:                            ;   in Loop: Header=BB344_15 Depth=1
	s_delay_alu instid0(SALU_CYCLE_1) | instskip(SKIP_3) | instid1(VALU_DEP_2)
	s_or_b32 exec_lo, exec_lo, s43
	v_dual_lshrrev_b32 v43, 16, v70 :: v_dual_mov_b32 v65, 0
	v_mov_b32_e32 v64, 0
	s_mov_b32 s43, exec_lo
	v_and_b32_e32 v2, 0xff, v43
	s_delay_alu instid0(VALU_DEP_1)
	v_cmpx_ne_u16_e32 0, v2
	s_cbranch_execz .LBB344_160
; %bb.153:                              ;   in Loop: Header=BB344_15 Depth=1
	v_bfrev_b32_e32 v64, 1
	s_mov_b32 s44, exec_lo
	v_cmpx_ne_u16_e32 0x80, v2
	s_cbranch_execz .LBB344_159
; %bb.154:                              ;   in Loop: Header=BB344_15 Depth=1
	v_bfe_u32 v66, v70, 16, 7
	v_mov_b32_e32 v64, 0x7f800001
	s_mov_b32 s45, exec_lo
	s_delay_alu instid0(VALU_DEP_2)
	v_cmpx_ne_u32_e32 0x7f, v66
	s_cbranch_execz .LBB344_158
; %bb.155:                              ;   in Loop: Header=BB344_15 Depth=1
	v_dual_lshrrev_b32 v64, 3, v66 :: v_dual_bitop2_b32 v2, 7, v43 bitop3:0x40
	s_mov_b32 s46, exec_lo
	v_cmpx_gt_u32_e32 8, v66
; %bb.156:                              ;   in Loop: Header=BB344_15 Depth=1
	s_delay_alu instid0(VALU_DEP_2) | instskip(NEXT) | instid1(VALU_DEP_1)
	v_clz_i32_u32_e32 v64, v2
	v_min_u32_e32 v64, 32, v64
	s_delay_alu instid0(VALU_DEP_1) | instskip(NEXT) | instid1(VALU_DEP_1)
	v_subrev_nc_u32_e32 v66, 28, v64
	v_lshlrev_b64_e32 v[66:67], v66, v[2:3]
	s_delay_alu instid0(VALU_DEP_1)
	v_dual_sub_nc_u32 v64, 29, v64 :: v_dual_bitop2_b32 v2, 7, v66 bitop3:0x40
; %bb.157:                              ;   in Loop: Header=BB344_15 Depth=1
	s_or_b32 exec_lo, exec_lo, s46
	s_delay_alu instid0(VALU_DEP_1) | instskip(NEXT) | instid1(VALU_DEP_2)
	v_dual_lshlrev_b32 v43, 24, v43 :: v_dual_lshlrev_b32 v2, 20, v2
	v_lshl_add_u32 v64, v64, 23, 0x3c000000
	s_delay_alu instid0(VALU_DEP_2) | instskip(NEXT) | instid1(VALU_DEP_1)
	v_and_b32_e32 v43, 0x80000000, v43
	v_or3_b32 v64, v2, v43, v64
.LBB344_158:                            ;   in Loop: Header=BB344_15 Depth=1
	s_or_b32 exec_lo, exec_lo, s45
.LBB344_159:                            ;   in Loop: Header=BB344_15 Depth=1
	s_delay_alu instid0(SALU_CYCLE_1)
	s_or_b32 exec_lo, exec_lo, s44
.LBB344_160:                            ;   in Loop: Header=BB344_15 Depth=1
	s_delay_alu instid0(SALU_CYCLE_1) | instskip(NEXT) | instid1(SALU_CYCLE_1)
	s_or_b32 exec_lo, exec_lo, s43
	s_mov_b32 s43, exec_lo
	v_cmpx_lt_u32_e32 0xffffff, v70
	s_cbranch_execz .LBB344_168
; %bb.161:                              ;   in Loop: Header=BB344_15 Depth=1
	v_lshrrev_b32_e32 v43, 24, v70
	v_bfrev_b32_e32 v65, 1
	s_mov_b32 s44, exec_lo
	s_delay_alu instid0(VALU_DEP_2)
	v_cmpx_ne_u32_e32 0x80, v43
	s_cbranch_execz .LBB344_167
; %bb.162:                              ;   in Loop: Header=BB344_15 Depth=1
	v_bfe_u32 v66, v70, 24, 7
	v_mov_b32_e32 v65, 0x7f800001
	s_mov_b32 s45, exec_lo
	s_delay_alu instid0(VALU_DEP_2)
	v_cmpx_ne_u32_e32 0x7f, v66
	s_cbranch_execz .LBB344_166
; %bb.163:                              ;   in Loop: Header=BB344_15 Depth=1
	v_dual_lshrrev_b32 v65, 3, v66 :: v_dual_bitop2_b32 v2, 7, v43 bitop3:0x40
	s_mov_b32 s46, exec_lo
	v_cmpx_gt_u32_e32 8, v66
; %bb.164:                              ;   in Loop: Header=BB344_15 Depth=1
	s_delay_alu instid0(VALU_DEP_2) | instskip(NEXT) | instid1(VALU_DEP_1)
	v_clz_i32_u32_e32 v65, v2
	v_min_u32_e32 v65, 32, v65
	s_delay_alu instid0(VALU_DEP_1) | instskip(NEXT) | instid1(VALU_DEP_1)
	v_subrev_nc_u32_e32 v66, 28, v65
	v_lshlrev_b64_e32 v[66:67], v66, v[2:3]
	s_delay_alu instid0(VALU_DEP_1)
	v_dual_sub_nc_u32 v65, 29, v65 :: v_dual_bitop2_b32 v2, 7, v66 bitop3:0x40
; %bb.165:                              ;   in Loop: Header=BB344_15 Depth=1
	s_or_b32 exec_lo, exec_lo, s46
	s_delay_alu instid0(VALU_DEP_1) | instskip(NEXT) | instid1(VALU_DEP_2)
	v_dual_lshlrev_b32 v43, 24, v43 :: v_dual_lshlrev_b32 v2, 20, v2
	v_lshl_add_u32 v65, v65, 23, 0x3c000000
	s_delay_alu instid0(VALU_DEP_2) | instskip(NEXT) | instid1(VALU_DEP_1)
	v_and_b32_e32 v43, 0x80000000, v43
	v_or3_b32 v65, v2, v43, v65
.LBB344_166:                            ;   in Loop: Header=BB344_15 Depth=1
	s_or_b32 exec_lo, exec_lo, s45
.LBB344_167:                            ;   in Loop: Header=BB344_15 Depth=1
	s_delay_alu instid0(SALU_CYCLE_1)
	s_or_b32 exec_lo, exec_lo, s44
.LBB344_168:                            ;   in Loop: Header=BB344_15 Depth=1
	s_delay_alu instid0(SALU_CYCLE_1) | instskip(SKIP_4) | instid1(VALU_DEP_3)
	s_or_b32 exec_lo, exec_lo, s43
	v_and_b32_e32 v43, 0xff, v71
	v_dual_mov_b32 v2, v71 :: v_dual_mov_b32 v67, 0
	v_mov_b32_e32 v66, 0
	s_mov_b32 s43, exec_lo
	v_cmpx_ne_u16_e32 0, v43
	s_cbranch_execz .LBB344_174
; %bb.169:                              ;   in Loop: Header=BB344_15 Depth=1
	v_bfrev_b32_e32 v66, 1
	s_mov_b32 s44, exec_lo
	v_cmpx_ne_u16_e32 0x80, v43
	s_cbranch_execz .LBB344_173
; %bb.170:                              ;   in Loop: Header=BB344_15 Depth=1
	v_and_b32_e32 v43, 0x7f, v71
	v_mov_b32_e32 v66, 0x7f800001
	s_mov_b32 s45, exec_lo
	s_delay_alu instid0(VALU_DEP_2)
	v_cmpx_ne_u32_e32 0x7f, v43
	s_cbranch_execz .LBB344_172
; %bb.171:                              ;   in Loop: Header=BB344_15 Depth=1
	v_and_b32_e32 v66, 7, v71
	v_cmp_gt_u32_e64 s3, 8, v43
	s_delay_alu instid0(VALU_DEP_2) | instskip(NEXT) | instid1(VALU_DEP_1)
	v_clz_i32_u32_e32 v66, v66
	v_min_u32_e32 v66, 32, v66
	v_lshrrev_b32_e32 v68, 3, v43
	s_delay_alu instid0(VALU_DEP_2) | instskip(SKIP_1) | instid1(VALU_DEP_1)
	v_subrev_nc_u32_e32 v69, 28, v66
	v_sub_nc_u32_e32 v66, 29, v66
	v_dual_cndmask_b32 v43, v68, v66, s3 :: v_dual_cndmask_b32 v66, 0, v69, s3
	s_delay_alu instid0(VALU_DEP_1) | instskip(NEXT) | instid1(VALU_DEP_2)
	v_lshl_add_u32 v43, v43, 23, 0x3c000000
	v_lshlrev_b64_e32 v[68:69], v66, v[2:3]
	v_lshlrev_b32_e32 v66, 24, v2
	s_delay_alu instid0(VALU_DEP_1) | instskip(NEXT) | instid1(VALU_DEP_3)
	v_and_b32_e32 v66, 0x80000000, v66
	v_lshlrev_b32_e32 v68, 20, v68
	s_delay_alu instid0(VALU_DEP_1) | instskip(NEXT) | instid1(VALU_DEP_1)
	v_and_b32_e32 v68, 0x700000, v68
	v_or3_b32 v66, v68, v66, v43
.LBB344_172:                            ;   in Loop: Header=BB344_15 Depth=1
	s_or_b32 exec_lo, exec_lo, s45
.LBB344_173:                            ;   in Loop: Header=BB344_15 Depth=1
	s_delay_alu instid0(SALU_CYCLE_1)
	s_or_b32 exec_lo, exec_lo, s44
.LBB344_174:                            ;   in Loop: Header=BB344_15 Depth=1
	s_delay_alu instid0(SALU_CYCLE_1) | instskip(SKIP_2) | instid1(VALU_DEP_1)
	s_or_b32 exec_lo, exec_lo, s43
	v_lshrrev_b16 v43, 8, v2
	s_mov_b32 s43, exec_lo
	v_cmpx_ne_u16_e32 0, v43
	s_cbranch_execz .LBB344_182
; %bb.175:                              ;   in Loop: Header=BB344_15 Depth=1
	v_bfrev_b32_e32 v67, 1
	s_mov_b32 s44, exec_lo
	v_cmpx_ne_u16_e32 0x80, v43
	s_cbranch_execz .LBB344_181
; %bb.176:                              ;   in Loop: Header=BB344_15 Depth=1
	v_and_b32_e32 v43, 0xffff, v43
	v_mov_b32_e32 v67, 0x7f800001
	s_mov_b32 s45, exec_lo
	s_delay_alu instid0(VALU_DEP_2) | instskip(NEXT) | instid1(VALU_DEP_1)
	v_and_b32_e32 v72, 0x7f, v43
	v_cmpx_ne_u32_e32 0x7f, v72
	s_cbranch_execz .LBB344_180
; %bb.177:                              ;   in Loop: Header=BB344_15 Depth=1
	v_dual_mov_b32 v69, v3 :: v_dual_bitop2_b32 v68, 7, v43 bitop3:0x40
	v_lshrrev_b32_e32 v43, 3, v72
	s_mov_b32 s46, exec_lo
	v_cmpx_gt_u32_e32 8, v72
; %bb.178:                              ;   in Loop: Header=BB344_15 Depth=1
	s_delay_alu instid0(VALU_DEP_3) | instskip(NEXT) | instid1(VALU_DEP_1)
	v_clz_i32_u32_e32 v43, v68
	v_min_u32_e32 v43, 32, v43
	s_delay_alu instid0(VALU_DEP_1) | instskip(NEXT) | instid1(VALU_DEP_1)
	v_subrev_nc_u32_e32 v67, 28, v43
	v_lshlrev_b64_e32 v[68:69], v67, v[68:69]
	s_delay_alu instid0(VALU_DEP_1)
	v_dual_sub_nc_u32 v43, 29, v43 :: v_dual_bitop2_b32 v68, 7, v68 bitop3:0x40
; %bb.179:                              ;   in Loop: Header=BB344_15 Depth=1
	s_or_b32 exec_lo, exec_lo, s46
	s_delay_alu instid0(VALU_DEP_1) | instskip(NEXT) | instid1(VALU_DEP_2)
	v_dual_lshlrev_b32 v2, 16, v2 :: v_dual_lshlrev_b32 v67, 20, v68
	v_lshl_add_u32 v43, v43, 23, 0x3c000000
	s_delay_alu instid0(VALU_DEP_2) | instskip(NEXT) | instid1(VALU_DEP_1)
	v_and_b32_e32 v2, 0x80000000, v2
	v_or3_b32 v67, v67, v2, v43
.LBB344_180:                            ;   in Loop: Header=BB344_15 Depth=1
	s_or_b32 exec_lo, exec_lo, s45
.LBB344_181:                            ;   in Loop: Header=BB344_15 Depth=1
	s_delay_alu instid0(SALU_CYCLE_1)
	s_or_b32 exec_lo, exec_lo, s44
.LBB344_182:                            ;   in Loop: Header=BB344_15 Depth=1
	s_delay_alu instid0(SALU_CYCLE_1) | instskip(SKIP_3) | instid1(VALU_DEP_2)
	s_or_b32 exec_lo, exec_lo, s43
	v_dual_lshrrev_b32 v43, 16, v71 :: v_dual_mov_b32 v69, 0
	v_mov_b32_e32 v68, 0
	s_mov_b32 s43, exec_lo
	v_and_b32_e32 v2, 0xff, v43
	s_delay_alu instid0(VALU_DEP_1)
	v_cmpx_ne_u16_e32 0, v2
	s_cbranch_execz .LBB344_190
; %bb.183:                              ;   in Loop: Header=BB344_15 Depth=1
	v_bfrev_b32_e32 v68, 1
	s_mov_b32 s44, exec_lo
	v_cmpx_ne_u16_e32 0x80, v2
	s_cbranch_execz .LBB344_189
; %bb.184:                              ;   in Loop: Header=BB344_15 Depth=1
	v_bfe_u32 v72, v71, 16, 7
	v_mov_b32_e32 v68, 0x7f800001
	s_mov_b32 s45, exec_lo
	s_delay_alu instid0(VALU_DEP_2)
	v_cmpx_ne_u32_e32 0x7f, v72
	s_cbranch_execz .LBB344_188
; %bb.185:                              ;   in Loop: Header=BB344_15 Depth=1
	v_dual_lshrrev_b32 v68, 3, v72 :: v_dual_bitop2_b32 v2, 7, v43 bitop3:0x40
	s_mov_b32 s46, exec_lo
	v_cmpx_gt_u32_e32 8, v72
; %bb.186:                              ;   in Loop: Header=BB344_15 Depth=1
	s_delay_alu instid0(VALU_DEP_2) | instskip(NEXT) | instid1(VALU_DEP_1)
	v_clz_i32_u32_e32 v68, v2
	v_min_u32_e32 v68, 32, v68
	s_delay_alu instid0(VALU_DEP_1) | instskip(SKIP_1) | instid1(VALU_DEP_2)
	v_subrev_nc_u32_e32 v72, 28, v68
	v_sub_nc_u32_e32 v68, 29, v68
	v_lshlrev_b64_e32 v[72:73], v72, v[2:3]
	s_delay_alu instid0(VALU_DEP_1)
	v_and_b32_e32 v2, 7, v72
; %bb.187:                              ;   in Loop: Header=BB344_15 Depth=1
	s_or_b32 exec_lo, exec_lo, s46
	s_delay_alu instid0(VALU_DEP_1) | instskip(SKIP_1) | instid1(VALU_DEP_2)
	v_dual_lshlrev_b32 v43, 24, v43 :: v_dual_lshlrev_b32 v2, 20, v2
	v_lshl_add_u32 v68, v68, 23, 0x3c000000
	v_and_b32_e32 v43, 0x80000000, v43
	s_delay_alu instid0(VALU_DEP_1)
	v_or3_b32 v68, v2, v43, v68
.LBB344_188:                            ;   in Loop: Header=BB344_15 Depth=1
	s_or_b32 exec_lo, exec_lo, s45
.LBB344_189:                            ;   in Loop: Header=BB344_15 Depth=1
	s_delay_alu instid0(SALU_CYCLE_1)
	s_or_b32 exec_lo, exec_lo, s44
.LBB344_190:                            ;   in Loop: Header=BB344_15 Depth=1
	s_delay_alu instid0(SALU_CYCLE_1) | instskip(NEXT) | instid1(SALU_CYCLE_1)
	s_or_b32 exec_lo, exec_lo, s43
	s_mov_b32 s43, exec_lo
	v_cmpx_lt_u64_e64 s[26:27], v[70:71]
	s_cbranch_execz .LBB344_198
; %bb.191:                              ;   in Loop: Header=BB344_15 Depth=1
	v_lshrrev_b32_e32 v43, 24, v71
	v_bfrev_b32_e32 v69, 1
	s_mov_b32 s44, exec_lo
	s_delay_alu instid0(VALU_DEP_2)
	v_cmpx_ne_u32_e32 0x80, v43
	s_cbranch_execz .LBB344_197
; %bb.192:                              ;   in Loop: Header=BB344_15 Depth=1
	v_bfe_u32 v70, v71, 24, 7
	v_mov_b32_e32 v69, 0x7f800001
	s_mov_b32 s45, exec_lo
	s_delay_alu instid0(VALU_DEP_2)
	v_cmpx_ne_u32_e32 0x7f, v70
	s_cbranch_execz .LBB344_196
; %bb.193:                              ;   in Loop: Header=BB344_15 Depth=1
	v_dual_lshrrev_b32 v69, 3, v70 :: v_dual_bitop2_b32 v2, 7, v43 bitop3:0x40
	s_mov_b32 s46, exec_lo
	v_cmpx_gt_u32_e32 8, v70
; %bb.194:                              ;   in Loop: Header=BB344_15 Depth=1
	s_delay_alu instid0(VALU_DEP_2) | instskip(NEXT) | instid1(VALU_DEP_1)
	v_clz_i32_u32_e32 v69, v2
	v_min_u32_e32 v69, 32, v69
	s_delay_alu instid0(VALU_DEP_1) | instskip(NEXT) | instid1(VALU_DEP_1)
	v_subrev_nc_u32_e32 v70, 28, v69
	v_lshlrev_b64_e32 v[70:71], v70, v[2:3]
	s_delay_alu instid0(VALU_DEP_1)
	v_dual_sub_nc_u32 v69, 29, v69 :: v_dual_bitop2_b32 v2, 7, v70 bitop3:0x40
; %bb.195:                              ;   in Loop: Header=BB344_15 Depth=1
	s_or_b32 exec_lo, exec_lo, s46
	s_delay_alu instid0(VALU_DEP_1) | instskip(NEXT) | instid1(VALU_DEP_2)
	v_dual_lshlrev_b32 v43, 24, v43 :: v_dual_lshlrev_b32 v2, 20, v2
	v_lshl_add_u32 v69, v69, 23, 0x3c000000
	s_delay_alu instid0(VALU_DEP_2) | instskip(NEXT) | instid1(VALU_DEP_1)
	v_and_b32_e32 v43, 0x80000000, v43
	v_or3_b32 v69, v2, v43, v69
.LBB344_196:                            ;   in Loop: Header=BB344_15 Depth=1
	s_or_b32 exec_lo, exec_lo, s45
.LBB344_197:                            ;   in Loop: Header=BB344_15 Depth=1
	s_delay_alu instid0(SALU_CYCLE_1)
	s_or_b32 exec_lo, exec_lo, s44
.LBB344_198:                            ;   in Loop: Header=BB344_15 Depth=1
	s_delay_alu instid0(SALU_CYCLE_1)
	s_or_b32 exec_lo, exec_lo, s43
	global_load_b64 v[70:71], v[54:55], off offset:520
	s_wait_xcnt 0x0
	v_dual_mov_b32 v55, 0 :: v_dual_mov_b32 v54, 0
	s_mov_b32 s43, exec_lo
	s_wait_loadcnt 0x0
	v_and_b32_e32 v2, 0xff, v70
	s_delay_alu instid0(VALU_DEP_1)
	v_cmpx_ne_u16_e32 0, v2
	s_cbranch_execz .LBB344_204
; %bb.199:                              ;   in Loop: Header=BB344_15 Depth=1
	v_bfrev_b32_e32 v54, 1
	s_mov_b32 s44, exec_lo
	v_cmpx_ne_u16_e32 0x80, v2
	s_cbranch_execz .LBB344_203
; %bb.200:                              ;   in Loop: Header=BB344_15 Depth=1
	v_and_b32_e32 v2, 0x7f, v70
	v_mov_b32_e32 v54, 0x7f800001
	s_mov_b32 s45, exec_lo
	s_delay_alu instid0(VALU_DEP_2)
	v_cmpx_ne_u32_e32 0x7f, v2
	s_cbranch_execz .LBB344_202
; %bb.201:                              ;   in Loop: Header=BB344_15 Depth=1
	v_and_b32_e32 v43, 7, v70
	v_cmp_gt_u32_e64 s3, 8, v2
	s_delay_alu instid0(VALU_DEP_2) | instskip(NEXT) | instid1(VALU_DEP_1)
	v_clz_i32_u32_e32 v43, v43
	v_min_u32_e32 v43, 32, v43
	v_lshrrev_b32_e32 v54, 3, v2
	s_delay_alu instid0(VALU_DEP_2) | instskip(SKIP_1) | instid1(VALU_DEP_1)
	v_subrev_nc_u32_e32 v72, 28, v43
	v_sub_nc_u32_e32 v43, 29, v43
	v_dual_cndmask_b32 v2, v54, v43, s3 :: v_dual_cndmask_b32 v43, 0, v72, s3
	s_delay_alu instid0(VALU_DEP_1) | instskip(NEXT) | instid1(VALU_DEP_2)
	v_lshl_add_u32 v2, v2, 23, 0x3c000000
	v_lshlrev_b64_e32 v[72:73], v43, v[70:71]
	v_lshlrev_b32_e32 v43, 24, v70
	s_delay_alu instid0(VALU_DEP_1) | instskip(NEXT) | instid1(VALU_DEP_3)
	v_and_b32_e32 v43, 0x80000000, v43
	v_lshlrev_b32_e32 v54, 20, v72
	s_delay_alu instid0(VALU_DEP_1) | instskip(NEXT) | instid1(VALU_DEP_1)
	v_and_b32_e32 v54, 0x700000, v54
	v_or3_b32 v54, v54, v43, v2
.LBB344_202:                            ;   in Loop: Header=BB344_15 Depth=1
	s_or_b32 exec_lo, exec_lo, s45
.LBB344_203:                            ;   in Loop: Header=BB344_15 Depth=1
	s_delay_alu instid0(SALU_CYCLE_1)
	s_or_b32 exec_lo, exec_lo, s44
.LBB344_204:                            ;   in Loop: Header=BB344_15 Depth=1
	s_delay_alu instid0(SALU_CYCLE_1) | instskip(SKIP_2) | instid1(VALU_DEP_1)
	s_or_b32 exec_lo, exec_lo, s43
	v_lshrrev_b16 v2, 8, v70
	s_mov_b32 s43, exec_lo
	v_cmpx_ne_u16_e32 0, v2
	s_cbranch_execz .LBB344_212
; %bb.205:                              ;   in Loop: Header=BB344_15 Depth=1
	v_bfrev_b32_e32 v55, 1
	s_mov_b32 s44, exec_lo
	v_cmpx_ne_u16_e32 0x80, v2
	s_cbranch_execz .LBB344_211
; %bb.206:                              ;   in Loop: Header=BB344_15 Depth=1
	v_and_b32_e32 v2, 0xffff, v2
	v_mov_b32_e32 v55, 0x7f800001
	s_mov_b32 s45, exec_lo
	s_delay_alu instid0(VALU_DEP_2) | instskip(NEXT) | instid1(VALU_DEP_1)
	v_and_b32_e32 v72, 0x7f, v2
	v_cmpx_ne_u32_e32 0x7f, v72
	s_cbranch_execz .LBB344_210
; %bb.207:                              ;   in Loop: Header=BB344_15 Depth=1
	v_dual_lshrrev_b32 v43, 3, v72 :: v_dual_bitop2_b32 v2, 7, v2 bitop3:0x40
	s_mov_b32 s46, exec_lo
	v_cmpx_gt_u32_e32 8, v72
; %bb.208:                              ;   in Loop: Header=BB344_15 Depth=1
	s_delay_alu instid0(VALU_DEP_2) | instskip(NEXT) | instid1(VALU_DEP_1)
	v_clz_i32_u32_e32 v43, v2
	v_min_u32_e32 v43, 32, v43
	s_delay_alu instid0(VALU_DEP_1) | instskip(NEXT) | instid1(VALU_DEP_1)
	v_subrev_nc_u32_e32 v55, 28, v43
	v_lshlrev_b64_e32 v[72:73], v55, v[2:3]
	s_delay_alu instid0(VALU_DEP_1)
	v_dual_sub_nc_u32 v43, 29, v43 :: v_dual_bitop2_b32 v2, 7, v72 bitop3:0x40
; %bb.209:                              ;   in Loop: Header=BB344_15 Depth=1
	s_or_b32 exec_lo, exec_lo, s46
	v_lshlrev_b32_e32 v55, 16, v70
	s_delay_alu instid0(VALU_DEP_2) | instskip(NEXT) | instid1(VALU_DEP_3)
	v_lshlrev_b32_e32 v2, 20, v2
	v_lshl_add_u32 v43, v43, 23, 0x3c000000
	s_delay_alu instid0(VALU_DEP_3) | instskip(NEXT) | instid1(VALU_DEP_1)
	v_and_b32_e32 v55, 0x80000000, v55
	v_or3_b32 v55, v2, v55, v43
.LBB344_210:                            ;   in Loop: Header=BB344_15 Depth=1
	s_or_b32 exec_lo, exec_lo, s45
.LBB344_211:                            ;   in Loop: Header=BB344_15 Depth=1
	s_delay_alu instid0(SALU_CYCLE_1)
	s_or_b32 exec_lo, exec_lo, s44
.LBB344_212:                            ;   in Loop: Header=BB344_15 Depth=1
	s_delay_alu instid0(SALU_CYCLE_1) | instskip(SKIP_3) | instid1(VALU_DEP_2)
	s_or_b32 exec_lo, exec_lo, s43
	v_dual_lshrrev_b32 v43, 16, v70 :: v_dual_mov_b32 v73, 0
	v_mov_b32_e32 v72, 0
	s_mov_b32 s43, exec_lo
	v_and_b32_e32 v2, 0xff, v43
	s_delay_alu instid0(VALU_DEP_1)
	v_cmpx_ne_u16_e32 0, v2
	s_cbranch_execz .LBB344_220
; %bb.213:                              ;   in Loop: Header=BB344_15 Depth=1
	v_bfrev_b32_e32 v72, 1
	s_mov_b32 s44, exec_lo
	v_cmpx_ne_u16_e32 0x80, v2
	s_cbranch_execz .LBB344_219
; %bb.214:                              ;   in Loop: Header=BB344_15 Depth=1
	v_bfe_u32 v74, v70, 16, 7
	v_mov_b32_e32 v72, 0x7f800001
	s_mov_b32 s45, exec_lo
	s_delay_alu instid0(VALU_DEP_2)
	v_cmpx_ne_u32_e32 0x7f, v74
	s_cbranch_execz .LBB344_218
; %bb.215:                              ;   in Loop: Header=BB344_15 Depth=1
	v_dual_lshrrev_b32 v72, 3, v74 :: v_dual_bitop2_b32 v2, 7, v43 bitop3:0x40
	s_mov_b32 s46, exec_lo
	v_cmpx_gt_u32_e32 8, v74
; %bb.216:                              ;   in Loop: Header=BB344_15 Depth=1
	s_delay_alu instid0(VALU_DEP_2) | instskip(NEXT) | instid1(VALU_DEP_1)
	v_clz_i32_u32_e32 v72, v2
	v_min_u32_e32 v72, 32, v72
	s_delay_alu instid0(VALU_DEP_1) | instskip(NEXT) | instid1(VALU_DEP_1)
	v_subrev_nc_u32_e32 v74, 28, v72
	v_lshlrev_b64_e32 v[74:75], v74, v[2:3]
	s_delay_alu instid0(VALU_DEP_1)
	v_dual_sub_nc_u32 v72, 29, v72 :: v_dual_bitop2_b32 v2, 7, v74 bitop3:0x40
; %bb.217:                              ;   in Loop: Header=BB344_15 Depth=1
	s_or_b32 exec_lo, exec_lo, s46
	s_delay_alu instid0(VALU_DEP_1) | instskip(NEXT) | instid1(VALU_DEP_2)
	v_dual_lshlrev_b32 v43, 24, v43 :: v_dual_lshlrev_b32 v2, 20, v2
	v_lshl_add_u32 v72, v72, 23, 0x3c000000
	s_delay_alu instid0(VALU_DEP_2) | instskip(NEXT) | instid1(VALU_DEP_1)
	v_and_b32_e32 v43, 0x80000000, v43
	v_or3_b32 v72, v2, v43, v72
.LBB344_218:                            ;   in Loop: Header=BB344_15 Depth=1
	s_or_b32 exec_lo, exec_lo, s45
.LBB344_219:                            ;   in Loop: Header=BB344_15 Depth=1
	s_delay_alu instid0(SALU_CYCLE_1)
	s_or_b32 exec_lo, exec_lo, s44
.LBB344_220:                            ;   in Loop: Header=BB344_15 Depth=1
	s_delay_alu instid0(SALU_CYCLE_1) | instskip(NEXT) | instid1(SALU_CYCLE_1)
	s_or_b32 exec_lo, exec_lo, s43
	s_mov_b32 s43, exec_lo
	v_cmpx_lt_u32_e32 0xffffff, v70
	s_cbranch_execz .LBB344_228
; %bb.221:                              ;   in Loop: Header=BB344_15 Depth=1
	v_lshrrev_b32_e32 v43, 24, v70
	v_bfrev_b32_e32 v73, 1
	s_mov_b32 s44, exec_lo
	s_delay_alu instid0(VALU_DEP_2)
	v_cmpx_ne_u32_e32 0x80, v43
	s_cbranch_execz .LBB344_227
; %bb.222:                              ;   in Loop: Header=BB344_15 Depth=1
	v_bfe_u32 v74, v70, 24, 7
	v_mov_b32_e32 v73, 0x7f800001
	s_mov_b32 s45, exec_lo
	s_delay_alu instid0(VALU_DEP_2)
	v_cmpx_ne_u32_e32 0x7f, v74
	s_cbranch_execz .LBB344_226
; %bb.223:                              ;   in Loop: Header=BB344_15 Depth=1
	v_dual_lshrrev_b32 v73, 3, v74 :: v_dual_bitop2_b32 v2, 7, v43 bitop3:0x40
	s_mov_b32 s46, exec_lo
	v_cmpx_gt_u32_e32 8, v74
; %bb.224:                              ;   in Loop: Header=BB344_15 Depth=1
	s_delay_alu instid0(VALU_DEP_2) | instskip(NEXT) | instid1(VALU_DEP_1)
	v_clz_i32_u32_e32 v73, v2
	v_min_u32_e32 v73, 32, v73
	s_delay_alu instid0(VALU_DEP_1) | instskip(NEXT) | instid1(VALU_DEP_1)
	v_subrev_nc_u32_e32 v74, 28, v73
	v_lshlrev_b64_e32 v[74:75], v74, v[2:3]
	s_delay_alu instid0(VALU_DEP_1)
	v_dual_sub_nc_u32 v73, 29, v73 :: v_dual_bitop2_b32 v2, 7, v74 bitop3:0x40
; %bb.225:                              ;   in Loop: Header=BB344_15 Depth=1
	s_or_b32 exec_lo, exec_lo, s46
	s_delay_alu instid0(VALU_DEP_1) | instskip(NEXT) | instid1(VALU_DEP_2)
	v_dual_lshlrev_b32 v43, 24, v43 :: v_dual_lshlrev_b32 v2, 20, v2
	v_lshl_add_u32 v73, v73, 23, 0x3c000000
	s_delay_alu instid0(VALU_DEP_2) | instskip(NEXT) | instid1(VALU_DEP_1)
	v_and_b32_e32 v43, 0x80000000, v43
	v_or3_b32 v73, v2, v43, v73
.LBB344_226:                            ;   in Loop: Header=BB344_15 Depth=1
	s_or_b32 exec_lo, exec_lo, s45
.LBB344_227:                            ;   in Loop: Header=BB344_15 Depth=1
	s_delay_alu instid0(SALU_CYCLE_1)
	s_or_b32 exec_lo, exec_lo, s44
.LBB344_228:                            ;   in Loop: Header=BB344_15 Depth=1
	s_delay_alu instid0(SALU_CYCLE_1) | instskip(SKIP_4) | instid1(VALU_DEP_3)
	s_or_b32 exec_lo, exec_lo, s43
	v_and_b32_e32 v43, 0xff, v71
	v_dual_mov_b32 v2, v71 :: v_dual_mov_b32 v75, 0
	v_mov_b32_e32 v74, 0
	s_mov_b32 s43, exec_lo
	v_cmpx_ne_u16_e32 0, v43
	s_cbranch_execz .LBB344_234
; %bb.229:                              ;   in Loop: Header=BB344_15 Depth=1
	v_bfrev_b32_e32 v74, 1
	s_mov_b32 s44, exec_lo
	v_cmpx_ne_u16_e32 0x80, v43
	s_cbranch_execz .LBB344_233
; %bb.230:                              ;   in Loop: Header=BB344_15 Depth=1
	v_and_b32_e32 v43, 0x7f, v71
	v_mov_b32_e32 v74, 0x7f800001
	s_mov_b32 s45, exec_lo
	s_delay_alu instid0(VALU_DEP_2)
	v_cmpx_ne_u32_e32 0x7f, v43
	s_cbranch_execz .LBB344_232
; %bb.231:                              ;   in Loop: Header=BB344_15 Depth=1
	v_and_b32_e32 v74, 7, v71
	v_cmp_gt_u32_e64 s3, 8, v43
	s_delay_alu instid0(VALU_DEP_2) | instskip(NEXT) | instid1(VALU_DEP_1)
	v_clz_i32_u32_e32 v74, v74
	v_min_u32_e32 v74, 32, v74
	v_lshrrev_b32_e32 v76, 3, v43
	s_delay_alu instid0(VALU_DEP_2) | instskip(SKIP_1) | instid1(VALU_DEP_1)
	v_subrev_nc_u32_e32 v77, 28, v74
	v_sub_nc_u32_e32 v74, 29, v74
	v_dual_cndmask_b32 v43, v76, v74, s3 :: v_dual_cndmask_b32 v74, 0, v77, s3
	s_delay_alu instid0(VALU_DEP_1) | instskip(NEXT) | instid1(VALU_DEP_2)
	v_lshl_add_u32 v43, v43, 23, 0x3c000000
	v_lshlrev_b64_e32 v[76:77], v74, v[2:3]
	v_lshlrev_b32_e32 v74, 24, v2
	s_delay_alu instid0(VALU_DEP_1) | instskip(NEXT) | instid1(VALU_DEP_3)
	v_and_b32_e32 v74, 0x80000000, v74
	v_lshlrev_b32_e32 v76, 20, v76
	s_delay_alu instid0(VALU_DEP_1) | instskip(NEXT) | instid1(VALU_DEP_1)
	v_and_b32_e32 v76, 0x700000, v76
	v_or3_b32 v74, v76, v74, v43
.LBB344_232:                            ;   in Loop: Header=BB344_15 Depth=1
	s_or_b32 exec_lo, exec_lo, s45
.LBB344_233:                            ;   in Loop: Header=BB344_15 Depth=1
	s_delay_alu instid0(SALU_CYCLE_1)
	s_or_b32 exec_lo, exec_lo, s44
.LBB344_234:                            ;   in Loop: Header=BB344_15 Depth=1
	s_delay_alu instid0(SALU_CYCLE_1) | instskip(SKIP_2) | instid1(VALU_DEP_1)
	s_or_b32 exec_lo, exec_lo, s43
	v_lshrrev_b16 v43, 8, v2
	s_mov_b32 s43, exec_lo
	v_cmpx_ne_u16_e32 0, v43
	s_cbranch_execz .LBB344_242
; %bb.235:                              ;   in Loop: Header=BB344_15 Depth=1
	v_bfrev_b32_e32 v75, 1
	s_mov_b32 s44, exec_lo
	v_cmpx_ne_u16_e32 0x80, v43
	s_cbranch_execz .LBB344_241
; %bb.236:                              ;   in Loop: Header=BB344_15 Depth=1
	v_and_b32_e32 v43, 0xffff, v43
	v_mov_b32_e32 v75, 0x7f800001
	s_mov_b32 s45, exec_lo
	s_delay_alu instid0(VALU_DEP_2) | instskip(NEXT) | instid1(VALU_DEP_1)
	v_and_b32_e32 v85, 0x7f, v43
	v_cmpx_ne_u32_e32 0x7f, v85
	s_cbranch_execz .LBB344_240
; %bb.237:                              ;   in Loop: Header=BB344_15 Depth=1
	v_dual_mov_b32 v77, v3 :: v_dual_bitop2_b32 v76, 7, v43 bitop3:0x40
	v_lshrrev_b32_e32 v43, 3, v85
	s_mov_b32 s46, exec_lo
	v_cmpx_gt_u32_e32 8, v85
; %bb.238:                              ;   in Loop: Header=BB344_15 Depth=1
	s_delay_alu instid0(VALU_DEP_3) | instskip(NEXT) | instid1(VALU_DEP_1)
	v_clz_i32_u32_e32 v43, v76
	v_min_u32_e32 v43, 32, v43
	s_delay_alu instid0(VALU_DEP_1) | instskip(NEXT) | instid1(VALU_DEP_1)
	v_subrev_nc_u32_e32 v75, 28, v43
	v_lshlrev_b64_e32 v[76:77], v75, v[76:77]
	s_delay_alu instid0(VALU_DEP_1)
	v_dual_sub_nc_u32 v43, 29, v43 :: v_dual_bitop2_b32 v76, 7, v76 bitop3:0x40
; %bb.239:                              ;   in Loop: Header=BB344_15 Depth=1
	s_or_b32 exec_lo, exec_lo, s46
	s_delay_alu instid0(VALU_DEP_1) | instskip(NEXT) | instid1(VALU_DEP_2)
	v_dual_lshlrev_b32 v2, 16, v2 :: v_dual_lshlrev_b32 v75, 20, v76
	v_lshl_add_u32 v43, v43, 23, 0x3c000000
	s_delay_alu instid0(VALU_DEP_2) | instskip(NEXT) | instid1(VALU_DEP_1)
	v_and_b32_e32 v2, 0x80000000, v2
	v_or3_b32 v75, v75, v2, v43
.LBB344_240:                            ;   in Loop: Header=BB344_15 Depth=1
	s_or_b32 exec_lo, exec_lo, s45
.LBB344_241:                            ;   in Loop: Header=BB344_15 Depth=1
	s_delay_alu instid0(SALU_CYCLE_1)
	s_or_b32 exec_lo, exec_lo, s44
.LBB344_242:                            ;   in Loop: Header=BB344_15 Depth=1
	s_delay_alu instid0(SALU_CYCLE_1) | instskip(SKIP_3) | instid1(VALU_DEP_2)
	s_or_b32 exec_lo, exec_lo, s43
	v_dual_lshrrev_b32 v43, 16, v71 :: v_dual_mov_b32 v77, 0
	v_mov_b32_e32 v76, 0
	s_mov_b32 s43, exec_lo
	v_and_b32_e32 v2, 0xff, v43
	s_delay_alu instid0(VALU_DEP_1)
	v_cmpx_ne_u16_e32 0, v2
	s_cbranch_execz .LBB344_250
; %bb.243:                              ;   in Loop: Header=BB344_15 Depth=1
	v_bfrev_b32_e32 v76, 1
	s_mov_b32 s44, exec_lo
	v_cmpx_ne_u16_e32 0x80, v2
	s_cbranch_execz .LBB344_249
; %bb.244:                              ;   in Loop: Header=BB344_15 Depth=1
	v_bfe_u32 v85, v71, 16, 7
	v_mov_b32_e32 v76, 0x7f800001
	s_mov_b32 s45, exec_lo
	s_delay_alu instid0(VALU_DEP_2)
	v_cmpx_ne_u32_e32 0x7f, v85
	s_cbranch_execz .LBB344_248
; %bb.245:                              ;   in Loop: Header=BB344_15 Depth=1
	v_dual_lshrrev_b32 v76, 3, v85 :: v_dual_bitop2_b32 v2, 7, v43 bitop3:0x40
	s_mov_b32 s46, exec_lo
	v_cmpx_gt_u32_e32 8, v85
; %bb.246:                              ;   in Loop: Header=BB344_15 Depth=1
	s_delay_alu instid0(VALU_DEP_2) | instskip(NEXT) | instid1(VALU_DEP_1)
	v_clz_i32_u32_e32 v76, v2
	v_min_u32_e32 v76, 32, v76
	s_delay_alu instid0(VALU_DEP_1) | instskip(NEXT) | instid1(VALU_DEP_1)
	v_subrev_nc_u32_e32 v85, 28, v76
	v_lshlrev_b64_e32 v[86:87], v85, v[2:3]
	s_delay_alu instid0(VALU_DEP_1)
	v_dual_sub_nc_u32 v76, 29, v76 :: v_dual_bitop2_b32 v2, 7, v86 bitop3:0x40
; %bb.247:                              ;   in Loop: Header=BB344_15 Depth=1
	s_or_b32 exec_lo, exec_lo, s46
	s_delay_alu instid0(VALU_DEP_1) | instskip(NEXT) | instid1(VALU_DEP_2)
	v_dual_lshlrev_b32 v43, 24, v43 :: v_dual_lshlrev_b32 v2, 20, v2
	v_lshl_add_u32 v76, v76, 23, 0x3c000000
	s_delay_alu instid0(VALU_DEP_2) | instskip(NEXT) | instid1(VALU_DEP_1)
	v_and_b32_e32 v43, 0x80000000, v43
	v_or3_b32 v76, v2, v43, v76
.LBB344_248:                            ;   in Loop: Header=BB344_15 Depth=1
	s_or_b32 exec_lo, exec_lo, s45
.LBB344_249:                            ;   in Loop: Header=BB344_15 Depth=1
	s_delay_alu instid0(SALU_CYCLE_1)
	s_or_b32 exec_lo, exec_lo, s44
.LBB344_250:                            ;   in Loop: Header=BB344_15 Depth=1
	s_delay_alu instid0(SALU_CYCLE_1) | instskip(NEXT) | instid1(SALU_CYCLE_1)
	s_or_b32 exec_lo, exec_lo, s43
	s_mov_b32 s43, exec_lo
	v_cmpx_lt_u64_e64 s[26:27], v[70:71]
	s_cbranch_execz .LBB344_13
; %bb.251:                              ;   in Loop: Header=BB344_15 Depth=1
	v_lshrrev_b32_e32 v43, 24, v71
	v_bfrev_b32_e32 v77, 1
	s_mov_b32 s44, exec_lo
	s_delay_alu instid0(VALU_DEP_2)
	v_cmpx_ne_u32_e32 0x80, v43
	s_cbranch_execz .LBB344_12
; %bb.252:                              ;   in Loop: Header=BB344_15 Depth=1
	v_bfe_u32 v71, v71, 24, 7
	v_mov_b32_e32 v77, 0x7f800001
	s_mov_b32 s45, exec_lo
	s_delay_alu instid0(VALU_DEP_2)
	v_cmpx_ne_u32_e32 0x7f, v71
	s_cbranch_execz .LBB344_11
; %bb.253:                              ;   in Loop: Header=BB344_15 Depth=1
	v_and_b32_e32 v2, 7, v43
	v_lshrrev_b32_e32 v70, 3, v71
	s_mov_b32 s46, exec_lo
	v_cmpx_gt_u32_e32 8, v71
	s_cbranch_execz .LBB344_10
; %bb.254:                              ;   in Loop: Header=BB344_15 Depth=1
	v_clz_i32_u32_e32 v70, v2
	s_delay_alu instid0(VALU_DEP_1) | instskip(NEXT) | instid1(VALU_DEP_1)
	v_min_u32_e32 v70, 32, v70
	v_subrev_nc_u32_e32 v71, 28, v70
	v_sub_nc_u32_e32 v70, 29, v70
	s_delay_alu instid0(VALU_DEP_2) | instskip(NEXT) | instid1(VALU_DEP_1)
	v_lshlrev_b64_e32 v[86:87], v71, v[2:3]
	v_and_b32_e32 v2, 7, v86
	s_branch .LBB344_10
.LBB344_255:
	s_or_b32 exec_lo, exec_lo, s41
.LBB344_256:
	s_delay_alu instid0(SALU_CYCLE_1) | instskip(SKIP_4) | instid1(VALU_DEP_1)
	s_or_b32 exec_lo, exec_lo, s24
	v_mbcnt_lo_u32_b32 v5, -1, 0
	s_clause 0x1
	s_load_b64 s[8:9], s[0:1], 0x0
	s_load_b64 s[24:25], s[0:1], 0x18
	v_dual_max_num_f32 v6, v80, v80 :: v_dual_bitop2_b32 v2, 16, v5 bitop3:0x14
	v_xor_b32_e32 v4, 8, v5
	s_delay_alu instid0(VALU_DEP_2) | instskip(SKIP_1) | instid1(VALU_DEP_3)
	v_cmp_gt_i32_e32 vcc_lo, 32, v2
	v_cndmask_b32_e32 v2, v5, v2, vcc_lo
	v_cmp_gt_i32_e32 vcc_lo, 32, v4
	s_delay_alu instid0(VALU_DEP_2) | instskip(SKIP_3) | instid1(VALU_DEP_1)
	v_dual_lshlrev_b32 v2, 2, v2 :: v_dual_cndmask_b32 v4, v5, v4, vcc_lo
	ds_bpermute_b32 v3, v2, v80
	s_wait_dscnt 0x0
	v_dual_max_num_f32 v7, v3, v3 :: v_dual_lshlrev_b32 v3, 2, v4
	v_dual_max_num_f32 v6, v6, v7 :: v_dual_bitop2_b32 v7, 4, v5 bitop3:0x14
	ds_bpermute_b32 v4, v3, v6
	v_cmp_gt_i32_e32 vcc_lo, 32, v7
	s_wait_dscnt 0x0
	v_dual_cndmask_b32 v7, v5, v7 :: v_dual_max_num_f32 v8, v4, v4
	s_delay_alu instid0(VALU_DEP_1) | instskip(SKIP_3) | instid1(VALU_DEP_1)
	v_dual_lshlrev_b32 v4, 2, v7 :: v_dual_max_num_f32 v6, v6, v8
	ds_bpermute_b32 v7, v4, v6
	s_wait_dscnt 0x0
	v_dual_max_num_f32 v7, v7, v7 :: v_dual_bitop2_b32 v8, 2, v5 bitop3:0x14
	v_cmp_gt_i32_e32 vcc_lo, 32, v8
	s_delay_alu instid0(VALU_DEP_2) | instskip(NEXT) | instid1(VALU_DEP_1)
	v_dual_max_num_f32 v6, v6, v7 :: v_dual_cndmask_b32 v8, v5, v8, vcc_lo
	v_dual_lshlrev_b32 v28, 2, v8 :: v_dual_bitop2_b32 v8, 1, v5 bitop3:0x14
	ds_bpermute_b32 v7, v28, v6
	v_cmp_gt_i32_e32 vcc_lo, 32, v8
	v_cndmask_b32_e32 v5, v5, v8, vcc_lo
	v_cmp_eq_u32_e32 vcc_lo, 0, v78
	s_delay_alu instid0(VALU_DEP_2) | instskip(SKIP_2) | instid1(VALU_DEP_1)
	v_lshlrev_b32_e32 v29, 2, v5
	s_wait_dscnt 0x0
	v_dual_lshlrev_b32 v5, 2, v1 :: v_dual_max_num_f32 v7, v7, v7
	v_max_num_f32_e32 v6, v6, v7
	ds_bpermute_b32 v7, v29, v6
	s_wait_xcnt 0x0
	s_and_saveexec_b32 s0, vcc_lo
	s_cbranch_execz .LBB344_258
; %bb.257:
	s_wait_dscnt 0x0
	v_dual_max_num_f32 v7, v7, v7 :: v_dual_max_num_f32 v6, v6, v6
	s_delay_alu instid0(VALU_DEP_1)
	v_max_num_f32_e32 v6, v6, v7
	ds_store_b32 v5, v6 offset:64
.LBB344_258:
	s_or_b32 exec_lo, exec_lo, s0
	v_cmp_gt_u32_e64 s0, 4, v78
	v_mov_b32_e32 v6, 0xff7fffff
	s_wait_dscnt 0x0
	s_barrier_signal -1
	s_barrier_wait -1
	s_and_saveexec_b32 s1, s0
; %bb.259:
	ds_load_b32 v6, v79 offset:64
; %bb.260:
	s_or_b32 exec_lo, exec_lo, s1
	s_wait_dscnt 0x0
	ds_bpermute_b32 v7, v28, v6
	v_max_num_f32_e32 v6, v6, v6
	s_lshl_b32 s1, s36, 5
	s_delay_alu instid0(SALU_CYCLE_1) | instskip(NEXT) | instid1(SALU_CYCLE_1)
	s_min_i32 s4, s1, s34
	v_cmp_gt_i32_e64 s1, s4, v0
	s_wait_dscnt 0x0
	v_max_num_f32_e32 v7, v7, v7
	s_delay_alu instid0(VALU_DEP_1) | instskip(SKIP_3) | instid1(VALU_DEP_1)
	v_max_num_f32_e32 v6, v6, v7
	ds_bpermute_b32 v7, v29, v6
	s_wait_dscnt 0x0
	v_max_num_f32_e32 v7, v7, v7
	v_dual_max_num_f32 v7, v6, v7 :: v_dual_mov_b32 v6, 0
	ds_bpermute_b32 v7, v6, v7
	s_and_saveexec_b32 s15, s1
	s_cbranch_execz .LBB344_264
; %bb.261:
	v_lshl_add_u32 v8, v0, 2, 0x60
	v_dual_mov_b32 v6, 0 :: v_dual_mov_b32 v9, v0
	s_mov_b32 s26, 0
.LBB344_262:                            ; =>This Inner Loop Header: Depth=1
	ds_load_b32 v12, v8
	v_add_nc_u32_e32 v9, 0x80, v9
	s_delay_alu instid0(VALU_DEP_1) | instskip(SKIP_3) | instid1(VALU_DEP_1)
	v_cmp_le_i32_e64 s3, s4, v9
	s_or_b32 s26, s3, s26
	s_wait_dscnt 0x0
	v_sub_f32_e32 v12, v12, v7
	v_mul_f32_e32 v12, 0x3fb8aa3b, v12
	s_delay_alu instid0(VALU_DEP_1)
	v_exp_f32_e32 v12, v12
	ds_store_b32 v8, v12
	v_nop
	v_add_f32_e32 v6, v6, v12
	v_add_nc_u32_e32 v8, 0x200, v8
	s_and_not1_b32 exec_lo, exec_lo, s26
	s_cbranch_execnz .LBB344_262
; %bb.263:
	s_or_b32 exec_lo, exec_lo, s26
.LBB344_264:
	s_delay_alu instid0(SALU_CYCLE_1)
	s_or_b32 exec_lo, exec_lo, s15
	ds_bpermute_b32 v2, v2, v6
	s_wait_dscnt 0x0
	v_add_f32_e32 v2, v6, v2
	ds_bpermute_b32 v3, v3, v2
	s_wait_dscnt 0x0
	v_add_f32_e32 v2, v2, v3
	;; [unrolled: 3-line block ×5, first 2 shown]
	s_and_saveexec_b32 s3, vcc_lo
; %bb.265:
	ds_store_b32 v5, v2 offset:80
; %bb.266:
	s_or_b32 exec_lo, exec_lo, s3
	s_wait_dscnt 0x0
	s_barrier_signal -1
	s_barrier_wait -1
	s_and_saveexec_b32 s3, s0
; %bb.267:
	ds_load_b32 v2, v79 offset:80
; %bb.268:
	s_or_b32 exec_lo, exec_lo, s3
	s_wait_dscnt 0x0
	ds_bpermute_b32 v3, v28, v2
	s_wait_dscnt 0x0
	v_dual_mov_b32 v13, 0 :: v_dual_add_f32 v2, v2, v3
	ds_bpermute_b32 v3, v29, v2
	s_wait_dscnt 0x0
	v_add_f32_e32 v2, v2, v3
	ds_bpermute_b32 v2, v13, v2
	s_and_saveexec_b32 s0, s1
	s_cbranch_execz .LBB344_281
; %bb.269:
	s_wait_dscnt 0x0
	v_add_f32_e32 v2, 0x358637bd, v2
	s_mov_b32 s3, -1
	s_mov_b32 s1, exec_lo
	s_delay_alu instid0(VALU_DEP_1) | instskip(NEXT) | instid1(VALU_DEP_1)
	v_div_scale_f32 v3, null, v2, v2, 1.0
	v_rcp_f32_e32 v5, v3
	v_nop
	s_delay_alu instid0(TRANS32_DEP_1) | instskip(NEXT) | instid1(VALU_DEP_1)
	v_fma_f32 v4, -v3, v5, 1.0
	v_fmac_f32_e32 v5, v4, v5
	v_div_scale_f32 v6, vcc_lo, 1.0, v2, 1.0
	s_delay_alu instid0(VALU_DEP_1) | instskip(NEXT) | instid1(VALU_DEP_1)
	v_mul_f32_e32 v7, v6, v5
	v_fma_f32 v4, -v3, v7, v6
	s_delay_alu instid0(VALU_DEP_1) | instskip(SKIP_1) | instid1(VALU_DEP_2)
	v_fmac_f32_e32 v7, v4, v5
	v_xad_u32 v4, v0, -1, s4
	v_fma_f32 v3, -v3, v7, v6
	s_delay_alu instid0(VALU_DEP_1) | instskip(NEXT) | instid1(VALU_DEP_1)
	v_div_fmas_f32 v3, v3, v5, v7
	v_div_fixup_f32 v2, v3, v2, 1.0
	v_mov_b32_e32 v3, v0
	v_cmpx_lt_u32_e32 0x7f, v4
	s_cbranch_execz .LBB344_278
; %bb.270:
	s_delay_alu instid0(VALU_DEP_3) | instskip(NEXT) | instid1(VALU_DEP_1)
	v_dual_mov_b32 v3, v2 :: v_dual_lshrrev_b32 v4, 7, v4
	v_dual_mov_b32 v8, 0 :: v_dual_add_nc_u32 v5, -1, v4
	s_delay_alu instid0(VALU_DEP_1) | instskip(SKIP_1) | instid1(VALU_DEP_2)
	v_lshrrev_b32_e32 v6, 1, v5
	v_cmp_lt_u32_e32 vcc_lo, 13, v5
	v_add_nc_u32_e32 v5, 1, v6
	s_and_saveexec_b32 s3, vcc_lo
	s_cbranch_execz .LBB344_274
; %bb.271:
	s_delay_alu instid0(VALU_DEP_1)
	v_and_b32_e32 v6, -8, v5
	v_lshl_add_u32 v7, v0, 2, 0x60
	s_mov_b32 s15, 0
	s_mov_b32 s26, 0
.LBB344_272:                            ; =>This Inner Loop Header: Depth=1
	ds_load_2addr_stride64_b32 v[8:9], v7 offset1:2
	ds_load_2addr_stride64_b32 v[14:15], v7 offset0:4 offset1:6
	ds_load_2addr_stride64_b32 v[16:17], v7 offset0:8 offset1:10
	;; [unrolled: 1-line block ×7, first 2 shown]
	s_add_co_i32 s26, s26, 16
	v_add_nc_u32_e32 v6, -8, v6
	s_wait_dscnt 0x7
	v_pk_mul_f32 v[8:9], v[2:3], v[8:9]
	s_wait_dscnt 0x6
	v_pk_mul_f32 v[14:15], v[2:3], v[14:15]
	s_wait_dscnt 0x5
	v_pk_mul_f32 v[16:17], v[2:3], v[16:17]
	s_wait_dscnt 0x4
	v_pk_mul_f32 v[18:19], v[2:3], v[18:19]
	s_wait_dscnt 0x3
	v_pk_mul_f32 v[20:21], v[2:3], v[20:21]
	s_wait_dscnt 0x2
	v_pk_mul_f32 v[22:23], v[2:3], v[22:23]
	s_wait_dscnt 0x1
	v_pk_mul_f32 v[24:25], v[2:3], v[24:25]
	s_wait_dscnt 0x0
	v_pk_mul_f32 v[26:27], v[2:3], v[26:27]
	ds_store_2addr_stride64_b32 v7, v8, v9 offset1:2
	ds_store_2addr_stride64_b32 v7, v14, v15 offset0:4 offset1:6
	ds_store_2addr_stride64_b32 v7, v16, v17 offset0:8 offset1:10
	;; [unrolled: 1-line block ×7, first 2 shown]
	v_mov_b32_e32 v8, s26
	v_cmp_eq_u32_e32 vcc_lo, 0, v6
	v_add_nc_u32_e32 v7, 0x2000, v7
	s_or_b32 s15, vcc_lo, s15
	s_delay_alu instid0(SALU_CYCLE_1)
	s_and_not1_b32 exec_lo, exec_lo, s15
	s_cbranch_execnz .LBB344_272
; %bb.273:
	s_or_b32 exec_lo, exec_lo, s15
.LBB344_274:
	s_delay_alu instid0(SALU_CYCLE_1) | instskip(NEXT) | instid1(VALU_DEP_1)
	s_or_b32 exec_lo, exec_lo, s3
	v_and_b32_e32 v5, 7, v5
	s_mov_b32 s15, 0
	s_mov_b32 s3, exec_lo
	s_delay_alu instid0(VALU_DEP_1)
	v_cmpx_ne_u32_e32 0, v5
	s_cbranch_execz .LBB344_277
; %bb.275:
	v_lshlrev_b32_e32 v6, 9, v8
	v_lshlrev_b32_e32 v7, 2, v0
	s_delay_alu instid0(VALU_DEP_1)
	v_add3_u32 v6, v6, v7, 0x60
.LBB344_276:                            ; =>This Inner Loop Header: Depth=1
	ds_load_2addr_stride64_b32 v[8:9], v6 offset1:2
	v_add_nc_u32_e32 v5, -1, v5
	s_delay_alu instid0(VALU_DEP_1)
	v_cmp_eq_u32_e32 vcc_lo, 0, v5
	s_or_b32 s15, vcc_lo, s15
	s_wait_dscnt 0x0
	v_pk_mul_f32 v[8:9], v[2:3], v[8:9]
	ds_store_2addr_stride64_b32 v6, v8, v9 offset1:2
	v_add_nc_u32_e32 v6, 0x400, v6
	s_and_not1_b32 exec_lo, exec_lo, s15
	s_cbranch_execnz .LBB344_276
.LBB344_277:
	s_or_b32 exec_lo, exec_lo, s3
	v_add_nc_u32_e32 v3, 1, v4
	s_delay_alu instid0(VALU_DEP_1) | instskip(NEXT) | instid1(VALU_DEP_1)
	v_and_b32_e32 v4, 0x3fffffe, v3
	v_cmp_ne_u32_e32 vcc_lo, v3, v4
	v_lshl_add_u32 v3, v4, 7, v0
	s_or_not1_b32 s3, vcc_lo, exec_lo
.LBB344_278:
	s_or_b32 exec_lo, exec_lo, s1
	s_delay_alu instid0(SALU_CYCLE_1)
	s_and_b32 exec_lo, exec_lo, s3
	s_cbranch_execz .LBB344_281
; %bb.279:
	v_lshl_add_u32 v4, v3, 2, 0x60
	s_mov_b32 s1, 0
.LBB344_280:                            ; =>This Inner Loop Header: Depth=1
	ds_load_b32 v5, v4
	v_add_nc_u32_e32 v3, 0x80, v3
	s_delay_alu instid0(VALU_DEP_1)
	v_cmp_le_i32_e32 vcc_lo, s4, v3
	s_or_b32 s1, vcc_lo, s1
	s_wait_dscnt 0x0
	v_mul_f32_e32 v5, v2, v5
	ds_store_b32 v4, v5
	v_add_nc_u32_e32 v4, 0x200, v4
	s_and_not1_b32 exec_lo, exec_lo, s1
	s_cbranch_execnz .LBB344_280
.LBB344_281:
	s_or_b32 exec_lo, exec_lo, s0
	v_dual_mov_b32 v12, 0 :: v_dual_bitop2_b32 v30, 3, v0 bitop3:0x40
	v_dual_mov_b32 v15, 0 :: v_dual_mov_b32 v14, 0
	s_wait_dscnt 0x0
	s_barrier_signal -1
	s_barrier_wait -1
	s_and_saveexec_b32 s1, s2
	s_cbranch_execz .LBB344_535
; %bb.282:
	s_abs_i32 s6, s6
	v_dual_mov_b32 v17, 0 :: v_dual_lshlrev_b32 v2, 3, v0
	s_cvt_f32_u32 s0, s6
	s_ashr_i32 s15, s14, 31
	v_dual_mov_b32 v31, v1 :: v_dual_lshlrev_b32 v4, 5, v30
	s_delay_alu instid0(SALU_CYCLE_1)
	v_rcp_iflag_f32_e32 v3, s0
	v_and_b32_e32 v16, 0xf8, v2
	s_wait_kmcnt 0x0
	s_add_nc_u64 s[14:15], s[24:25], s[14:15]
	s_sub_co_i32 s26, s37, s5
	s_lshl_b64 s[4:5], s[22:23], 2
	s_sub_co_i32 s22, 0, s6
	v_add_nc_u64_e32 v[18:19], s[14:15], v[16:17]
	v_readfirstlane_b32 s0, v3
	v_and_b32_e32 v16, 0x7c, v11
	v_lshl_or_b32 v3, v1, 7, v4
	s_add_nc_u64 s[4:5], s[20:21], s[4:5]
	v_dual_mov_b32 v14, 0 :: v_dual_bitop2_b32 v32, 24, v2 bitop3:0x40
	s_mul_f32 s0, s0, 0x4f7ffffe
	v_add_nc_u64_e32 v[20:21], s[4:5], v[16:17]
	v_dual_mov_b32 v12, 0 :: v_dual_add_nc_u32 v33, 0x60, v3
	s_delay_alu instid0(SALU_CYCLE_1) | instskip(SKIP_2) | instid1(SALU_CYCLE_1)
	s_cvt_u32_f32 s0, s0
	v_dual_mov_b32 v15, 0 :: v_dual_mov_b32 v13, 0
	s_mov_b32 s5, 0
	s_mul_i32 s22, s22, s0
	s_add_co_i32 s27, s36, -1
	s_mul_hi_u32 s4, s0, s22
	s_mov_b64 s[2:3], 0xffffffffffffff
	s_add_co_i32 s4, s0, s4
	s_mov_b32 s14, s5
	s_branch .LBB344_285
.LBB344_283:                            ;   in Loop: Header=BB344_285 Depth=1
	s_or_b32 exec_lo, exec_lo, s0
	s_wait_dscnt 0x1
	v_cvt_pk_bf16_f32 v6, v6, v7
	v_perm_b32 v7, v61, v62, 0x5040100
	v_cvt_pk_bf16_f32 v8, v8, v9
	v_perm_b32 v9, v59, v60, 0x5040100
	s_wait_dscnt 0x0
	v_cvt_pk_bf16_f32 v2, v2, v3
	v_perm_b32 v3, v57, v58, 0x5040100
	v_pk_mul_bf16 v7, v6, v7
	v_cvt_pk_bf16_f32 v4, v4, v5
	v_pk_mul_bf16 v9, v8, v9
	v_perm_b32 v5, v27, v26, 0x5040100
	v_pk_mul_bf16 v3, v2, v3
	v_lshlrev_b32_e32 v41, 16, v7
	v_and_b32_e32 v7, 0xffff0000, v7
	v_lshlrev_b32_e32 v42, 16, v9
	v_and_b32_e32 v9, 0xffff0000, v9
	v_pk_mul_bf16 v5, v4, v5
	v_lshlrev_b32_e32 v26, 16, v3
	v_add_f32_e32 v7, v41, v7
	v_and_b32_e32 v3, 0xffff0000, v3
	v_add_f32_e32 v9, v42, v9
	v_lshlrev_b32_e32 v27, 16, v5
	v_and_b32_e32 v5, 0xffff0000, v5
	v_perm_b32 v42, v52, v51, 0x5040100
	v_add_f32_e32 v3, v26, v3
	v_add_f32_e32 v7, v9, v7
	v_perm_b32 v9, v55, v56, 0x5040100
	v_perm_b32 v26, v53, v54, 0x5040100
	v_add_f32_e32 v27, v27, v5
	s_delay_alu instid0(VALU_DEP_3) | instskip(NEXT) | instid1(VALU_DEP_3)
	v_pk_mul_bf16 v9, v6, v9
	v_pk_mul_bf16 v26, v8, v26
	s_delay_alu instid0(VALU_DEP_2) | instskip(SKIP_1) | instid1(VALU_DEP_3)
	v_dual_add_f32 v41, v3, v7 :: v_dual_lshlrev_b32 v3, 16, v9
	v_and_b32_e32 v5, 0xffff0000, v9
	v_lshlrev_b32_e32 v7, 16, v26
	v_and_b32_e32 v9, 0xffff0000, v26
	v_perm_b32 v26, v49, v50, 0x5040100
	s_delay_alu instid0(VALU_DEP_2) | instskip(SKIP_1) | instid1(VALU_DEP_3)
	v_add_f32_e32 v7, v7, v9
	v_perm_b32 v9, v37, v38, 0x5040100
	v_pk_mul_bf16 v26, v2, v26
	v_add_f32_e32 v3, v3, v5
	v_perm_b32 v5, v39, v40, 0x5040100
	v_pk_mul_bf16 v37, v4, v42
	s_delay_alu instid0(VALU_DEP_2) | instskip(NEXT) | instid1(VALU_DEP_4)
	v_pk_mul_bf16 v5, v6, v5
	v_add_f32_e32 v38, v7, v3
	v_pk_mul_bf16 v3, v8, v9
	v_lshlrev_b32_e32 v7, 16, v26
	v_and_b32_e32 v9, 0xffff0000, v26
	v_lshlrev_b32_e32 v26, 16, v5
	v_and_b32_e32 v5, 0xffff0000, v5
	;; [unrolled: 2-line block ×3, first 2 shown]
	v_add_f32_e32 v40, v7, v9
	v_perm_b32 v7, v11, v34, 0x5040100
	v_add_f32_e32 v5, v26, v5
	v_perm_b32 v9, v36, v35, 0x5040100
	v_add_f32_e32 v3, v39, v3
	v_and_b32_e32 v26, 0xffff0000, v37
	v_pk_mul_bf16 v7, v2, v7
	s_delay_alu instid0(VALU_DEP_4) | instskip(NEXT) | instid1(VALU_DEP_4)
	v_pk_mul_bf16 v34, v4, v9
	v_add_f32_e32 v35, v3, v5
	v_perm_b32 v3, v64, v63, 0x5040100
	v_perm_b32 v5, v24, v65, 0x5040100
	v_lshlrev_b32_e32 v36, 16, v7
	v_perm_b32 v9, v16, v22, 0x5040100
	v_perm_b32 v16, v25, v23, 0x5040100
	v_pk_mul_bf16 v6, v6, v3
	v_and_b32_e32 v22, 0xffff0000, v7
	v_pk_mul_bf16 v7, v8, v5
	v_lshlrev_b32_e32 v11, 16, v37
	v_pk_mul_bf16 v8, v2, v9
	v_pk_mul_bf16 v16, v4, v16
	v_and_b32_e32 v3, 0xffff0000, v6
	v_lshlrev_b32_e32 v5, 16, v6
	v_and_b32_e32 v2, 0xffff0000, v7
	v_lshlrev_b32_e32 v4, 16, v7
	;; [unrolled: 2-line block ×4, first 2 shown]
	v_pk_add_f32 v[2:3], v[4:5], v[2:3]
	v_add_f32_e32 v16, v36, v22
	v_lshlrev_b32_e32 v22, 16, v34
	v_and_b32_e32 v23, 0xffff0000, v34
	v_pk_add_f32 v[4:5], v[8:9], v[6:7]
	v_dual_add_f32 v2, v2, v3 :: v_dual_add_f32 v3, v40, v38
	v_dual_add_f32 v6, v11, v26 :: v_dual_add_f32 v7, v16, v35
	s_delay_alu instid0(VALU_DEP_2) | instskip(NEXT) | instid1(VALU_DEP_2)
	v_dual_add_f32 v8, v22, v23 :: v_dual_add_f32 v2, v5, v2
	v_dual_add_f32 v5, v27, v41 :: v_dual_add_f32 v3, v6, v3
	s_delay_alu instid0(VALU_DEP_1) | instskip(NEXT) | instid1(VALU_DEP_1)
	v_dual_add_f32 v2, v4, v2 :: v_dual_add_f32 v15, v15, v3
	v_dual_add_f32 v6, v8, v7 :: v_dual_add_f32 v13, v13, v2
	s_delay_alu instid0(VALU_DEP_1)
	v_dual_add_f32 v12, v12, v5 :: v_dual_add_f32 v14, v14, v6
.LBB344_284:                            ;   in Loop: Header=BB344_285 Depth=1
	s_or_b32 exec_lo, exec_lo, s15
	v_add_nc_u32_e32 v31, 4, v31
	v_add_nc_u64_e32 v[20:21], 16, v[20:21]
	v_add_nc_u32_e32 v10, 0x80, v10
	v_add_nc_u32_e32 v33, 0x200, v33
	s_delay_alu instid0(VALU_DEP_4) | instskip(SKIP_1) | instid1(SALU_CYCLE_1)
	v_cmp_le_i32_e32 vcc_lo, s36, v31
	s_or_b32 s14, vcc_lo, s14
	s_and_not1_b32 exec_lo, exec_lo, s14
	s_cbranch_execz .LBB344_534
.LBB344_285:                            ; =>This Inner Loop Header: Depth=1
	v_mov_b32_e32 v11, v17
	s_delay_alu instid0(VALU_DEP_1) | instskip(NEXT) | instid1(VALU_DEP_1)
	v_mul_u64_e32 v[2:3], s[18:19], v[10:11]
	v_mul_lo_u32 v2, v3, s12
	s_delay_alu instid0(VALU_DEP_1) | instskip(NEXT) | instid1(VALU_DEP_1)
	v_sub_nc_u32_e32 v2, v10, v2
	v_subrev_nc_u32_e32 v5, s12, v2
	v_cmp_le_u32_e32 vcc_lo, s12, v2
	s_delay_alu instid0(VALU_DEP_2) | instskip(NEXT) | instid1(VALU_DEP_1)
	v_dual_add_nc_u32 v4, 1, v3 :: v_dual_cndmask_b32 v2, v2, v5, vcc_lo
	v_cndmask_b32_e32 v3, v3, v4, vcc_lo
	s_delay_alu instid0(VALU_DEP_2) | instskip(NEXT) | instid1(VALU_DEP_2)
	v_cmp_le_u32_e32 vcc_lo, s12, v2
	v_add_nc_u32_e32 v4, 1, v3
	s_delay_alu instid0(VALU_DEP_1) | instskip(NEXT) | instid1(VALU_DEP_1)
	v_cndmask_b32_e32 v2, v3, v4, vcc_lo
	v_xor_b32_e32 v2, s35, v2
	s_delay_alu instid0(VALU_DEP_1) | instskip(NEXT) | instid1(VALU_DEP_1)
	v_subrev_nc_u32_e32 v4, s35, v2
	v_add_nc_u32_e32 v5, s17, v4
	v_cmp_lt_i32_e64 s0, s26, v4
	s_delay_alu instid0(VALU_DEP_2) | instskip(NEXT) | instid1(VALU_DEP_1)
	v_sub_nc_u32_e32 v2, 0, v5
	v_dual_ashrrev_i32 v5, 31, v5 :: v_dual_max_i32 v16, v5, v2
	s_delay_alu instid0(VALU_DEP_1) | instskip(NEXT) | instid1(VALU_DEP_1)
	v_mul_u64_e32 v[2:3], s[4:5], v[16:17]
	v_mul_lo_u32 v2, v3, s6
	s_delay_alu instid0(VALU_DEP_1) | instskip(NEXT) | instid1(VALU_DEP_1)
	v_sub_nc_u32_e32 v2, v16, v2
	v_subrev_nc_u32_e32 v3, s6, v2
	v_cmp_le_u32_e32 vcc_lo, s6, v2
	s_delay_alu instid0(VALU_DEP_2) | instskip(NEXT) | instid1(VALU_DEP_1)
	v_cndmask_b32_e32 v2, v2, v3, vcc_lo
	v_subrev_nc_u32_e32 v3, s6, v2
	v_cmp_le_u32_e32 vcc_lo, s6, v2
	s_delay_alu instid0(VALU_DEP_2) | instskip(NEXT) | instid1(VALU_DEP_1)
	v_cndmask_b32_e32 v2, v2, v3, vcc_lo
	v_xor_b32_e32 v2, v2, v5
	s_delay_alu instid0(VALU_DEP_1) | instskip(NEXT) | instid1(VALU_DEP_1)
	v_sub_nc_u32_e32 v2, v2, v5
	v_cmp_eq_u32_e32 vcc_lo, 0, v2
	s_or_b32 s0, vcc_lo, s0
	s_delay_alu instid0(SALU_CYCLE_1)
	s_and_saveexec_b32 s15, s0
	s_cbranch_execz .LBB344_284
; %bb.286:                              ;   in Loop: Header=BB344_285 Depth=1
	global_load_b32 v2, v[20:21], off
	v_dual_mov_b32 v36, 0 :: v_dual_mov_b32 v35, 0
	s_mov_b32 s0, exec_lo
	s_wait_loadcnt 0x0
	v_mad_nc_i64_i32 v[22:23], v2, s13, v[18:19]
	global_load_b64 v[24:25], v[22:23], off
	ds_load_2addr_b64 v[6:9], v33 offset1:1
	ds_load_2addr_b64 v[2:5], v33 offset0:2 offset1:3
	s_load_b32 s20, s[10:11], 0x0
	s_wait_loadcnt 0x0
	v_and_b32_e32 v11, 0xff, v24
	s_delay_alu instid0(VALU_DEP_1)
	v_cmpx_ne_u16_e32 0, v11
	s_cbranch_execz .LBB344_292
; %bb.287:                              ;   in Loop: Header=BB344_285 Depth=1
	v_bfrev_b32_e32 v35, 1
	s_mov_b32 s21, exec_lo
	v_cmpx_ne_u16_e32 0x80, v11
	s_cbranch_execz .LBB344_291
; %bb.288:                              ;   in Loop: Header=BB344_285 Depth=1
	v_and_b32_e32 v11, 0x7f, v24
	v_mov_b32_e32 v35, 0x7f800001
	s_mov_b32 s22, exec_lo
	s_delay_alu instid0(VALU_DEP_2)
	v_cmpx_ne_u32_e32 0x7f, v11
	s_cbranch_execz .LBB344_290
; %bb.289:                              ;   in Loop: Header=BB344_285 Depth=1
	v_dual_lshrrev_b32 v26, 3, v11 :: v_dual_bitop2_b32 v16, 7, v24 bitop3:0x40
	v_cmp_gt_u32_e32 vcc_lo, 8, v11
	s_delay_alu instid0(VALU_DEP_2) | instskip(NEXT) | instid1(VALU_DEP_1)
	v_clz_i32_u32_e32 v16, v16
	v_min_u32_e32 v16, 32, v16
	s_delay_alu instid0(VALU_DEP_1) | instskip(SKIP_1) | instid1(VALU_DEP_1)
	v_subrev_nc_u32_e32 v27, 28, v16
	v_sub_nc_u32_e32 v16, 29, v16
	v_dual_cndmask_b32 v11, v26, v16 :: v_dual_cndmask_b32 v16, 0, v27
	s_delay_alu instid0(VALU_DEP_1) | instskip(NEXT) | instid1(VALU_DEP_2)
	v_lshl_add_u32 v11, v11, 23, 0x3c000000
	v_lshlrev_b64_e32 v[26:27], v16, v[24:25]
	v_lshlrev_b32_e32 v16, 24, v24
	s_delay_alu instid0(VALU_DEP_1) | instskip(NEXT) | instid1(VALU_DEP_3)
	v_and_b32_e32 v16, 0x80000000, v16
	v_lshlrev_b32_e32 v26, 20, v26
	s_delay_alu instid0(VALU_DEP_1) | instskip(NEXT) | instid1(VALU_DEP_1)
	v_and_b32_e32 v26, 0x700000, v26
	v_or3_b32 v35, v26, v16, v11
.LBB344_290:                            ;   in Loop: Header=BB344_285 Depth=1
	s_or_b32 exec_lo, exec_lo, s22
.LBB344_291:                            ;   in Loop: Header=BB344_285 Depth=1
	s_delay_alu instid0(SALU_CYCLE_1)
	s_or_b32 exec_lo, exec_lo, s21
.LBB344_292:                            ;   in Loop: Header=BB344_285 Depth=1
	s_delay_alu instid0(SALU_CYCLE_1) | instskip(SKIP_2) | instid1(VALU_DEP_1)
	s_or_b32 exec_lo, exec_lo, s0
	v_lshrrev_b16 v11, 8, v24
	s_mov_b32 s0, exec_lo
	v_cmpx_ne_u16_e32 0, v11
	s_cbranch_execz .LBB344_300
; %bb.293:                              ;   in Loop: Header=BB344_285 Depth=1
	v_bfrev_b32_e32 v36, 1
	s_mov_b32 s21, exec_lo
	v_cmpx_ne_u16_e32 0x80, v11
	s_cbranch_execz .LBB344_299
; %bb.294:                              ;   in Loop: Header=BB344_285 Depth=1
	v_and_b32_e32 v11, 0xffff, v11
	v_mov_b32_e32 v36, 0x7f800001
	s_mov_b32 s22, exec_lo
	s_delay_alu instid0(VALU_DEP_2) | instskip(NEXT) | instid1(VALU_DEP_1)
	v_and_b32_e32 v26, 0x7f, v11
	v_cmpx_ne_u32_e32 0x7f, v26
	s_cbranch_execz .LBB344_298
; %bb.295:                              ;   in Loop: Header=BB344_285 Depth=1
	v_dual_lshrrev_b32 v11, 3, v26 :: v_dual_bitop2_b32 v16, 7, v11 bitop3:0x40
	s_mov_b32 s23, exec_lo
	v_cmpx_gt_u32_e32 8, v26
; %bb.296:                              ;   in Loop: Header=BB344_285 Depth=1
	s_delay_alu instid0(VALU_DEP_2) | instskip(NEXT) | instid1(VALU_DEP_1)
	v_clz_i32_u32_e32 v11, v16
	v_min_u32_e32 v11, 32, v11
	s_delay_alu instid0(VALU_DEP_1) | instskip(NEXT) | instid1(VALU_DEP_1)
	v_subrev_nc_u32_e32 v26, 28, v11
	v_lshlrev_b64_e32 v[26:27], v26, v[16:17]
	s_delay_alu instid0(VALU_DEP_1)
	v_dual_sub_nc_u32 v11, 29, v11 :: v_dual_bitop2_b32 v16, 7, v26 bitop3:0x40
; %bb.297:                              ;   in Loop: Header=BB344_285 Depth=1
	s_or_b32 exec_lo, exec_lo, s23
	v_lshlrev_b32_e32 v26, 16, v24
	s_delay_alu instid0(VALU_DEP_2) | instskip(NEXT) | instid1(VALU_DEP_3)
	v_lshlrev_b32_e32 v16, 20, v16
	v_lshl_add_u32 v11, v11, 23, 0x3c000000
	s_delay_alu instid0(VALU_DEP_3) | instskip(NEXT) | instid1(VALU_DEP_1)
	v_and_b32_e32 v26, 0x80000000, v26
	v_or3_b32 v36, v16, v26, v11
.LBB344_298:                            ;   in Loop: Header=BB344_285 Depth=1
	s_or_b32 exec_lo, exec_lo, s22
.LBB344_299:                            ;   in Loop: Header=BB344_285 Depth=1
	s_delay_alu instid0(SALU_CYCLE_1)
	s_or_b32 exec_lo, exec_lo, s21
.LBB344_300:                            ;   in Loop: Header=BB344_285 Depth=1
	s_delay_alu instid0(SALU_CYCLE_1) | instskip(SKIP_3) | instid1(VALU_DEP_2)
	s_or_b32 exec_lo, exec_lo, s0
	v_dual_lshrrev_b32 v11, 16, v24 :: v_dual_mov_b32 v37, 0
	v_mov_b32_e32 v38, 0
	s_mov_b32 s0, exec_lo
	v_and_b32_e32 v16, 0xff, v11
	s_delay_alu instid0(VALU_DEP_1)
	v_cmpx_ne_u16_e32 0, v16
	s_cbranch_execz .LBB344_308
; %bb.301:                              ;   in Loop: Header=BB344_285 Depth=1
	v_bfrev_b32_e32 v38, 1
	s_mov_b32 s21, exec_lo
	v_cmpx_ne_u16_e32 0x80, v16
	s_cbranch_execz .LBB344_307
; %bb.302:                              ;   in Loop: Header=BB344_285 Depth=1
	v_bfe_u32 v27, v24, 16, 7
	v_mov_b32_e32 v38, 0x7f800001
	s_mov_b32 s22, exec_lo
	s_delay_alu instid0(VALU_DEP_2)
	v_cmpx_ne_u32_e32 0x7f, v27
	s_cbranch_execz .LBB344_306
; %bb.303:                              ;   in Loop: Header=BB344_285 Depth=1
	v_and_b32_e32 v16, 7, v11
	v_lshrrev_b32_e32 v26, 3, v27
	s_mov_b32 s23, exec_lo
	v_cmpx_gt_u32_e32 8, v27
; %bb.304:                              ;   in Loop: Header=BB344_285 Depth=1
	s_delay_alu instid0(VALU_DEP_3) | instskip(NEXT) | instid1(VALU_DEP_1)
	v_clz_i32_u32_e32 v26, v16
	v_min_u32_e32 v26, 32, v26
	s_delay_alu instid0(VALU_DEP_1) | instskip(SKIP_1) | instid1(VALU_DEP_2)
	v_subrev_nc_u32_e32 v27, 28, v26
	v_sub_nc_u32_e32 v26, 29, v26
	v_lshlrev_b64_e32 v[38:39], v27, v[16:17]
	s_delay_alu instid0(VALU_DEP_1)
	v_and_b32_e32 v16, 7, v38
; %bb.305:                              ;   in Loop: Header=BB344_285 Depth=1
	s_or_b32 exec_lo, exec_lo, s23
	s_delay_alu instid0(VALU_DEP_1) | instskip(SKIP_1) | instid1(VALU_DEP_2)
	v_dual_lshlrev_b32 v11, 24, v11 :: v_dual_lshlrev_b32 v16, 20, v16
	v_lshl_add_u32 v26, v26, 23, 0x3c000000
	v_and_b32_e32 v11, 0x80000000, v11
	s_delay_alu instid0(VALU_DEP_1)
	v_or3_b32 v38, v16, v11, v26
.LBB344_306:                            ;   in Loop: Header=BB344_285 Depth=1
	s_or_b32 exec_lo, exec_lo, s22
.LBB344_307:                            ;   in Loop: Header=BB344_285 Depth=1
	s_delay_alu instid0(SALU_CYCLE_1)
	s_or_b32 exec_lo, exec_lo, s21
.LBB344_308:                            ;   in Loop: Header=BB344_285 Depth=1
	s_delay_alu instid0(SALU_CYCLE_1) | instskip(NEXT) | instid1(SALU_CYCLE_1)
	s_or_b32 exec_lo, exec_lo, s0
	s_mov_b32 s0, exec_lo
	v_cmpx_lt_u32_e32 0xffffff, v24
	s_cbranch_execz .LBB344_316
; %bb.309:                              ;   in Loop: Header=BB344_285 Depth=1
	v_lshrrev_b32_e32 v11, 24, v24
	v_bfrev_b32_e32 v37, 1
	s_mov_b32 s21, exec_lo
	s_delay_alu instid0(VALU_DEP_2)
	v_cmpx_ne_u32_e32 0x80, v11
	s_cbranch_execz .LBB344_315
; %bb.310:                              ;   in Loop: Header=BB344_285 Depth=1
	v_bfe_u32 v27, v24, 24, 7
	v_mov_b32_e32 v37, 0x7f800001
	s_mov_b32 s22, exec_lo
	s_delay_alu instid0(VALU_DEP_2)
	v_cmpx_ne_u32_e32 0x7f, v27
	s_cbranch_execz .LBB344_314
; %bb.311:                              ;   in Loop: Header=BB344_285 Depth=1
	v_and_b32_e32 v16, 7, v11
	v_lshrrev_b32_e32 v26, 3, v27
	s_mov_b32 s23, exec_lo
	v_cmpx_gt_u32_e32 8, v27
; %bb.312:                              ;   in Loop: Header=BB344_285 Depth=1
	s_delay_alu instid0(VALU_DEP_3) | instskip(NEXT) | instid1(VALU_DEP_1)
	v_clz_i32_u32_e32 v26, v16
	v_min_u32_e32 v26, 32, v26
	s_delay_alu instid0(VALU_DEP_1) | instskip(NEXT) | instid1(VALU_DEP_1)
	v_subrev_nc_u32_e32 v27, 28, v26
	v_lshlrev_b64_e32 v[40:41], v27, v[16:17]
	s_delay_alu instid0(VALU_DEP_1)
	v_dual_sub_nc_u32 v26, 29, v26 :: v_dual_bitop2_b32 v16, 7, v40 bitop3:0x40
; %bb.313:                              ;   in Loop: Header=BB344_285 Depth=1
	s_or_b32 exec_lo, exec_lo, s23
	s_delay_alu instid0(VALU_DEP_1) | instskip(NEXT) | instid1(VALU_DEP_2)
	v_dual_lshlrev_b32 v11, 24, v11 :: v_dual_lshlrev_b32 v16, 20, v16
	v_lshl_add_u32 v26, v26, 23, 0x3c000000
	s_delay_alu instid0(VALU_DEP_2) | instskip(NEXT) | instid1(VALU_DEP_1)
	v_and_b32_e32 v11, 0x80000000, v11
	v_or3_b32 v37, v16, v11, v26
.LBB344_314:                            ;   in Loop: Header=BB344_285 Depth=1
	s_or_b32 exec_lo, exec_lo, s22
.LBB344_315:                            ;   in Loop: Header=BB344_285 Depth=1
	s_delay_alu instid0(SALU_CYCLE_1)
	s_or_b32 exec_lo, exec_lo, s21
.LBB344_316:                            ;   in Loop: Header=BB344_285 Depth=1
	s_delay_alu instid0(SALU_CYCLE_1) | instskip(SKIP_4) | instid1(VALU_DEP_3)
	s_or_b32 exec_lo, exec_lo, s0
	v_and_b32_e32 v26, 0xff, v25
	v_dual_mov_b32 v16, v25 :: v_dual_mov_b32 v11, 0
	v_mov_b32_e32 v34, 0
	s_mov_b32 s0, exec_lo
	v_cmpx_ne_u16_e32 0, v26
	s_cbranch_execz .LBB344_322
; %bb.317:                              ;   in Loop: Header=BB344_285 Depth=1
	v_bfrev_b32_e32 v34, 1
	s_mov_b32 s21, exec_lo
	v_cmpx_ne_u16_e32 0x80, v26
	s_cbranch_execz .LBB344_321
; %bb.318:                              ;   in Loop: Header=BB344_285 Depth=1
	v_and_b32_e32 v26, 0x7f, v25
	v_mov_b32_e32 v34, 0x7f800001
	s_mov_b32 s22, exec_lo
	s_delay_alu instid0(VALU_DEP_2)
	v_cmpx_ne_u32_e32 0x7f, v26
	s_cbranch_execz .LBB344_320
; %bb.319:                              ;   in Loop: Header=BB344_285 Depth=1
	v_dual_lshrrev_b32 v34, 3, v26 :: v_dual_bitop2_b32 v27, 7, v25 bitop3:0x40
	v_cmp_gt_u32_e32 vcc_lo, 8, v26
	s_delay_alu instid0(VALU_DEP_2) | instskip(NEXT) | instid1(VALU_DEP_1)
	v_clz_i32_u32_e32 v27, v27
	v_min_u32_e32 v27, 32, v27
	s_delay_alu instid0(VALU_DEP_1) | instskip(SKIP_1) | instid1(VALU_DEP_2)
	v_subrev_nc_u32_e32 v39, 28, v27
	v_sub_nc_u32_e32 v27, 29, v27
	v_cndmask_b32_e32 v26, 0, v39, vcc_lo
	s_delay_alu instid0(VALU_DEP_2) | instskip(NEXT) | instid1(VALU_DEP_2)
	v_cndmask_b32_e32 v34, v34, v27, vcc_lo
	v_lshlrev_b64_e32 v[26:27], v26, v[16:17]
	v_lshlrev_b32_e32 v27, 24, v16
	s_delay_alu instid0(VALU_DEP_3) | instskip(NEXT) | instid1(VALU_DEP_2)
	v_lshl_add_u32 v34, v34, 23, 0x3c000000
	v_and_b32_e32 v27, 0x80000000, v27
	s_delay_alu instid0(VALU_DEP_4) | instskip(NEXT) | instid1(VALU_DEP_1)
	v_lshlrev_b32_e32 v26, 20, v26
	v_and_b32_e32 v26, 0x700000, v26
	s_delay_alu instid0(VALU_DEP_1)
	v_or3_b32 v34, v26, v27, v34
.LBB344_320:                            ;   in Loop: Header=BB344_285 Depth=1
	s_or_b32 exec_lo, exec_lo, s22
.LBB344_321:                            ;   in Loop: Header=BB344_285 Depth=1
	s_delay_alu instid0(SALU_CYCLE_1)
	s_or_b32 exec_lo, exec_lo, s21
.LBB344_322:                            ;   in Loop: Header=BB344_285 Depth=1
	s_delay_alu instid0(SALU_CYCLE_1) | instskip(SKIP_2) | instid1(VALU_DEP_1)
	s_or_b32 exec_lo, exec_lo, s0
	v_lshrrev_b16 v26, 8, v16
	s_mov_b32 s0, exec_lo
	v_cmpx_ne_u16_e32 0, v26
	s_cbranch_execz .LBB344_330
; %bb.323:                              ;   in Loop: Header=BB344_285 Depth=1
	v_bfrev_b32_e32 v11, 1
	s_mov_b32 s21, exec_lo
	v_cmpx_ne_u16_e32 0x80, v26
	s_cbranch_execz .LBB344_329
; %bb.324:                              ;   in Loop: Header=BB344_285 Depth=1
	v_and_b32_e32 v26, 0xffff, v26
	v_mov_b32_e32 v11, 0x7f800001
	s_mov_b32 s22, exec_lo
	s_delay_alu instid0(VALU_DEP_2) | instskip(NEXT) | instid1(VALU_DEP_1)
	v_and_b32_e32 v39, 0x7f, v26
	v_cmpx_ne_u32_e32 0x7f, v39
	s_cbranch_execz .LBB344_328
; %bb.325:                              ;   in Loop: Header=BB344_285 Depth=1
	v_dual_mov_b32 v27, v17 :: v_dual_bitop2_b32 v26, 7, v26 bitop3:0x40
	v_lshrrev_b32_e32 v11, 3, v39
	s_mov_b32 s23, exec_lo
	v_cmpx_gt_u32_e32 8, v39
; %bb.326:                              ;   in Loop: Header=BB344_285 Depth=1
	s_delay_alu instid0(VALU_DEP_3) | instskip(NEXT) | instid1(VALU_DEP_1)
	v_clz_i32_u32_e32 v11, v26
	v_min_u32_e32 v11, 32, v11
	s_delay_alu instid0(VALU_DEP_1) | instskip(NEXT) | instid1(VALU_DEP_1)
	v_subrev_nc_u32_e32 v39, 28, v11
	v_lshlrev_b64_e32 v[26:27], v39, v[26:27]
	s_delay_alu instid0(VALU_DEP_1)
	v_dual_sub_nc_u32 v11, 29, v11 :: v_dual_bitop2_b32 v26, 7, v26 bitop3:0x40
; %bb.327:                              ;   in Loop: Header=BB344_285 Depth=1
	s_or_b32 exec_lo, exec_lo, s23
	s_delay_alu instid0(VALU_DEP_1) | instskip(NEXT) | instid1(VALU_DEP_2)
	v_dual_lshlrev_b32 v16, 16, v16 :: v_dual_lshlrev_b32 v26, 20, v26
	v_lshl_add_u32 v11, v11, 23, 0x3c000000
	s_delay_alu instid0(VALU_DEP_2) | instskip(NEXT) | instid1(VALU_DEP_1)
	v_and_b32_e32 v16, 0x80000000, v16
	v_or3_b32 v11, v26, v16, v11
.LBB344_328:                            ;   in Loop: Header=BB344_285 Depth=1
	s_or_b32 exec_lo, exec_lo, s22
.LBB344_329:                            ;   in Loop: Header=BB344_285 Depth=1
	s_delay_alu instid0(SALU_CYCLE_1)
	s_or_b32 exec_lo, exec_lo, s21
.LBB344_330:                            ;   in Loop: Header=BB344_285 Depth=1
	s_delay_alu instid0(SALU_CYCLE_1) | instskip(SKIP_3) | instid1(VALU_DEP_2)
	s_or_b32 exec_lo, exec_lo, s0
	v_dual_mov_b32 v26, 0 :: v_dual_lshrrev_b32 v39, 16, v25
	v_mov_b32_e32 v27, 0
	s_mov_b32 s0, exec_lo
	v_and_b32_e32 v16, 0xff, v39
	s_delay_alu instid0(VALU_DEP_1)
	v_cmpx_ne_u16_e32 0, v16
	s_cbranch_execz .LBB344_338
; %bb.331:                              ;   in Loop: Header=BB344_285 Depth=1
	v_bfrev_b32_e32 v27, 1
	s_mov_b32 s21, exec_lo
	v_cmpx_ne_u16_e32 0x80, v16
	s_cbranch_execz .LBB344_337
; %bb.332:                              ;   in Loop: Header=BB344_285 Depth=1
	v_bfe_u32 v40, v25, 16, 7
	v_mov_b32_e32 v27, 0x7f800001
	s_mov_b32 s22, exec_lo
	s_delay_alu instid0(VALU_DEP_2)
	v_cmpx_ne_u32_e32 0x7f, v40
	s_cbranch_execz .LBB344_336
; %bb.333:                              ;   in Loop: Header=BB344_285 Depth=1
	v_dual_lshrrev_b32 v27, 3, v40 :: v_dual_bitop2_b32 v16, 7, v39 bitop3:0x40
	s_mov_b32 s23, exec_lo
	v_cmpx_gt_u32_e32 8, v40
; %bb.334:                              ;   in Loop: Header=BB344_285 Depth=1
	s_delay_alu instid0(VALU_DEP_2) | instskip(NEXT) | instid1(VALU_DEP_1)
	v_clz_i32_u32_e32 v27, v16
	v_min_u32_e32 v27, 32, v27
	s_delay_alu instid0(VALU_DEP_1) | instskip(NEXT) | instid1(VALU_DEP_1)
	v_subrev_nc_u32_e32 v40, 28, v27
	v_lshlrev_b64_e32 v[40:41], v40, v[16:17]
	s_delay_alu instid0(VALU_DEP_1)
	v_dual_sub_nc_u32 v27, 29, v27 :: v_dual_bitop2_b32 v16, 7, v40 bitop3:0x40
; %bb.335:                              ;   in Loop: Header=BB344_285 Depth=1
	s_or_b32 exec_lo, exec_lo, s23
	s_delay_alu instid0(VALU_DEP_1) | instskip(NEXT) | instid1(VALU_DEP_2)
	v_dual_lshlrev_b32 v39, 24, v39 :: v_dual_lshlrev_b32 v16, 20, v16
	v_lshl_add_u32 v27, v27, 23, 0x3c000000
	s_delay_alu instid0(VALU_DEP_2) | instskip(NEXT) | instid1(VALU_DEP_1)
	v_and_b32_e32 v39, 0x80000000, v39
	v_or3_b32 v27, v16, v39, v27
.LBB344_336:                            ;   in Loop: Header=BB344_285 Depth=1
	s_or_b32 exec_lo, exec_lo, s22
.LBB344_337:                            ;   in Loop: Header=BB344_285 Depth=1
	s_delay_alu instid0(SALU_CYCLE_1)
	s_or_b32 exec_lo, exec_lo, s21
.LBB344_338:                            ;   in Loop: Header=BB344_285 Depth=1
	s_delay_alu instid0(SALU_CYCLE_1) | instskip(NEXT) | instid1(SALU_CYCLE_1)
	s_or_b32 exec_lo, exec_lo, s0
	s_mov_b32 s0, exec_lo
	v_cmpx_lt_u64_e64 s[2:3], v[24:25]
	s_cbranch_execz .LBB344_346
; %bb.339:                              ;   in Loop: Header=BB344_285 Depth=1
	v_lshrrev_b32_e32 v24, 24, v25
	v_bfrev_b32_e32 v26, 1
	s_mov_b32 s21, exec_lo
	s_delay_alu instid0(VALU_DEP_2)
	v_cmpx_ne_u32_e32 0x80, v24
	s_cbranch_execz .LBB344_345
; %bb.340:                              ;   in Loop: Header=BB344_285 Depth=1
	v_bfe_u32 v39, v25, 24, 7
	v_mov_b32_e32 v26, 0x7f800001
	s_mov_b32 s22, exec_lo
	s_delay_alu instid0(VALU_DEP_2)
	v_cmpx_ne_u32_e32 0x7f, v39
	s_cbranch_execz .LBB344_344
; %bb.341:                              ;   in Loop: Header=BB344_285 Depth=1
	v_dual_lshrrev_b32 v25, 3, v39 :: v_dual_bitop2_b32 v16, 7, v24 bitop3:0x40
	s_mov_b32 s23, exec_lo
	v_cmpx_gt_u32_e32 8, v39
; %bb.342:                              ;   in Loop: Header=BB344_285 Depth=1
	s_delay_alu instid0(VALU_DEP_2) | instskip(NEXT) | instid1(VALU_DEP_1)
	v_clz_i32_u32_e32 v25, v16
	v_min_u32_e32 v25, 32, v25
	s_delay_alu instid0(VALU_DEP_1) | instskip(NEXT) | instid1(VALU_DEP_1)
	v_subrev_nc_u32_e32 v26, 28, v25
	v_lshlrev_b64_e32 v[40:41], v26, v[16:17]
	s_delay_alu instid0(VALU_DEP_1)
	v_dual_sub_nc_u32 v25, 29, v25 :: v_dual_bitop2_b32 v16, 7, v40 bitop3:0x40
; %bb.343:                              ;   in Loop: Header=BB344_285 Depth=1
	s_or_b32 exec_lo, exec_lo, s23
	v_lshlrev_b32_e32 v24, 24, v24
	s_delay_alu instid0(VALU_DEP_2) | instskip(NEXT) | instid1(VALU_DEP_3)
	v_lshlrev_b32_e32 v16, 20, v16
	v_lshl_add_u32 v25, v25, 23, 0x3c000000
	s_delay_alu instid0(VALU_DEP_3) | instskip(NEXT) | instid1(VALU_DEP_1)
	v_and_b32_e32 v24, 0x80000000, v24
	v_or3_b32 v26, v16, v24, v25
.LBB344_344:                            ;   in Loop: Header=BB344_285 Depth=1
	s_or_b32 exec_lo, exec_lo, s22
.LBB344_345:                            ;   in Loop: Header=BB344_285 Depth=1
	s_delay_alu instid0(SALU_CYCLE_1)
	s_or_b32 exec_lo, exec_lo, s21
.LBB344_346:                            ;   in Loop: Header=BB344_285 Depth=1
	s_delay_alu instid0(SALU_CYCLE_1)
	s_or_b32 exec_lo, exec_lo, s0
	v_add_nc_u32_e32 v41, v32, v10
	v_cmp_eq_u32_e32 vcc_lo, s27, v31
	s_wait_kmcnt 0x0
	v_fma_mixlo_bf16 v11, s20, v11, 0
	v_fma_mixlo_bf16 v34, s20, v34, 0
	;; [unrolled: 1-line block ×8, first 2 shown]
	v_dual_add_nc_u32 v48, 1, v41 :: v_dual_add_nc_u32 v47, 2, v41
	v_dual_add_nc_u32 v46, 3, v41 :: v_dual_add_nc_u32 v45, 4, v41
	;; [unrolled: 1-line block ×3, first 2 shown]
	v_add_nc_u32_e32 v42, 7, v41
	s_and_saveexec_b32 s21, vcc_lo
	s_cbranch_execz .LBB344_348
; %bb.347:                              ;   in Loop: Header=BB344_285 Depth=1
	v_cmp_gt_i32_e64 s0, s34, v41
	s_delay_alu instid0(VALU_DEP_1) | instskip(SKIP_1) | instid1(VALU_DEP_1)
	v_cndmask_b32_e64 v40, 0, v40, s0
	v_cmp_gt_i32_e64 s0, s34, v48
	v_cndmask_b32_e64 v39, 0, v39, s0
	v_cmp_gt_i32_e64 s0, s34, v47
	s_delay_alu instid0(VALU_DEP_1) | instskip(SKIP_1) | instid1(VALU_DEP_1)
	v_cndmask_b32_e64 v38, 0, v38, s0
	v_cmp_gt_i32_e64 s0, s34, v46
	v_cndmask_b32_e64 v37, 0, v37, s0
	;; [unrolled: 5-line block ×4, first 2 shown]
.LBB344_348:                            ;   in Loop: Header=BB344_285 Depth=1
	s_or_b32 exec_lo, exec_lo, s21
	global_load_b64 v[24:25], v[22:23], off offset:256
	v_dual_mov_b32 v52, 0 :: v_dual_mov_b32 v51, 0
	s_mov_b32 s21, exec_lo
	s_wait_loadcnt 0x0
	v_and_b32_e32 v16, 0xff, v24
	s_delay_alu instid0(VALU_DEP_1)
	v_cmpx_ne_u16_e32 0, v16
	s_cbranch_execz .LBB344_354
; %bb.349:                              ;   in Loop: Header=BB344_285 Depth=1
	v_bfrev_b32_e32 v51, 1
	s_mov_b32 s22, exec_lo
	v_cmpx_ne_u16_e32 0x80, v16
	s_cbranch_execz .LBB344_353
; %bb.350:                              ;   in Loop: Header=BB344_285 Depth=1
	v_and_b32_e32 v16, 0x7f, v24
	v_mov_b32_e32 v51, 0x7f800001
	s_mov_b32 s23, exec_lo
	s_delay_alu instid0(VALU_DEP_2)
	v_cmpx_ne_u32_e32 0x7f, v16
	s_cbranch_execz .LBB344_352
; %bb.351:                              ;   in Loop: Header=BB344_285 Depth=1
	v_and_b32_e32 v26, 7, v24
	v_cmp_gt_u32_e64 s0, 8, v16
	s_delay_alu instid0(VALU_DEP_2) | instskip(NEXT) | instid1(VALU_DEP_1)
	v_clz_i32_u32_e32 v26, v26
	v_min_u32_e32 v26, 32, v26
	v_lshrrev_b32_e32 v27, 3, v16
	s_delay_alu instid0(VALU_DEP_2) | instskip(SKIP_1) | instid1(VALU_DEP_1)
	v_subrev_nc_u32_e32 v49, 28, v26
	v_sub_nc_u32_e32 v26, 29, v26
	v_dual_cndmask_b32 v16, v27, v26, s0 :: v_dual_cndmask_b32 v26, 0, v49, s0
	s_delay_alu instid0(VALU_DEP_1) | instskip(NEXT) | instid1(VALU_DEP_2)
	v_lshl_add_u32 v16, v16, 23, 0x3c000000
	v_lshlrev_b64_e32 v[26:27], v26, v[24:25]
	v_lshlrev_b32_e32 v27, 24, v24
	s_delay_alu instid0(VALU_DEP_1) | instskip(NEXT) | instid1(VALU_DEP_3)
	v_and_b32_e32 v27, 0x80000000, v27
	v_lshlrev_b32_e32 v26, 20, v26
	s_delay_alu instid0(VALU_DEP_1) | instskip(NEXT) | instid1(VALU_DEP_1)
	v_and_b32_e32 v26, 0x700000, v26
	v_or3_b32 v51, v26, v27, v16
.LBB344_352:                            ;   in Loop: Header=BB344_285 Depth=1
	s_or_b32 exec_lo, exec_lo, s23
.LBB344_353:                            ;   in Loop: Header=BB344_285 Depth=1
	s_delay_alu instid0(SALU_CYCLE_1)
	s_or_b32 exec_lo, exec_lo, s22
.LBB344_354:                            ;   in Loop: Header=BB344_285 Depth=1
	s_delay_alu instid0(SALU_CYCLE_1) | instskip(SKIP_2) | instid1(VALU_DEP_1)
	s_or_b32 exec_lo, exec_lo, s21
	v_lshrrev_b16 v16, 8, v24
	s_mov_b32 s21, exec_lo
	v_cmpx_ne_u16_e32 0, v16
	s_cbranch_execz .LBB344_362
; %bb.355:                              ;   in Loop: Header=BB344_285 Depth=1
	v_bfrev_b32_e32 v52, 1
	s_mov_b32 s22, exec_lo
	v_cmpx_ne_u16_e32 0x80, v16
	s_cbranch_execz .LBB344_361
; %bb.356:                              ;   in Loop: Header=BB344_285 Depth=1
	v_and_b32_e32 v16, 0xffff, v16
	v_mov_b32_e32 v52, 0x7f800001
	s_mov_b32 s23, exec_lo
	s_delay_alu instid0(VALU_DEP_2) | instskip(NEXT) | instid1(VALU_DEP_1)
	v_and_b32_e32 v27, 0x7f, v16
	v_cmpx_ne_u32_e32 0x7f, v27
	s_cbranch_execz .LBB344_360
; %bb.357:                              ;   in Loop: Header=BB344_285 Depth=1
	v_dual_lshrrev_b32 v26, 3, v27 :: v_dual_bitop2_b32 v16, 7, v16 bitop3:0x40
	s_mov_b32 s24, exec_lo
	v_cmpx_gt_u32_e32 8, v27
; %bb.358:                              ;   in Loop: Header=BB344_285 Depth=1
	s_delay_alu instid0(VALU_DEP_2) | instskip(NEXT) | instid1(VALU_DEP_1)
	v_clz_i32_u32_e32 v26, v16
	v_min_u32_e32 v26, 32, v26
	s_delay_alu instid0(VALU_DEP_1) | instskip(NEXT) | instid1(VALU_DEP_1)
	v_subrev_nc_u32_e32 v27, 28, v26
	v_lshlrev_b64_e32 v[52:53], v27, v[16:17]
	s_delay_alu instid0(VALU_DEP_1)
	v_dual_sub_nc_u32 v26, 29, v26 :: v_dual_bitop2_b32 v16, 7, v52 bitop3:0x40
; %bb.359:                              ;   in Loop: Header=BB344_285 Depth=1
	s_or_b32 exec_lo, exec_lo, s24
	v_lshlrev_b32_e32 v27, 16, v24
	s_delay_alu instid0(VALU_DEP_2) | instskip(NEXT) | instid1(VALU_DEP_3)
	v_lshlrev_b32_e32 v16, 20, v16
	v_lshl_add_u32 v26, v26, 23, 0x3c000000
	s_delay_alu instid0(VALU_DEP_3) | instskip(NEXT) | instid1(VALU_DEP_1)
	v_and_b32_e32 v27, 0x80000000, v27
	v_or3_b32 v52, v16, v27, v26
.LBB344_360:                            ;   in Loop: Header=BB344_285 Depth=1
	s_or_b32 exec_lo, exec_lo, s23
.LBB344_361:                            ;   in Loop: Header=BB344_285 Depth=1
	s_delay_alu instid0(SALU_CYCLE_1)
	s_or_b32 exec_lo, exec_lo, s22
.LBB344_362:                            ;   in Loop: Header=BB344_285 Depth=1
	s_delay_alu instid0(SALU_CYCLE_1) | instskip(SKIP_3) | instid1(VALU_DEP_2)
	s_or_b32 exec_lo, exec_lo, s21
	v_dual_mov_b32 v53, 0 :: v_dual_lshrrev_b32 v26, 16, v24
	v_mov_b32_e32 v54, 0
	s_mov_b32 s21, exec_lo
	v_and_b32_e32 v16, 0xff, v26
	s_delay_alu instid0(VALU_DEP_1)
	v_cmpx_ne_u16_e32 0, v16
	s_cbranch_execz .LBB344_370
; %bb.363:                              ;   in Loop: Header=BB344_285 Depth=1
	v_bfrev_b32_e32 v54, 1
	s_mov_b32 s22, exec_lo
	v_cmpx_ne_u16_e32 0x80, v16
	s_cbranch_execz .LBB344_369
; %bb.364:                              ;   in Loop: Header=BB344_285 Depth=1
	v_bfe_u32 v49, v24, 16, 7
	v_mov_b32_e32 v54, 0x7f800001
	s_mov_b32 s23, exec_lo
	s_delay_alu instid0(VALU_DEP_2)
	v_cmpx_ne_u32_e32 0x7f, v49
	s_cbranch_execz .LBB344_368
; %bb.365:                              ;   in Loop: Header=BB344_285 Depth=1
	v_dual_lshrrev_b32 v27, 3, v49 :: v_dual_bitop2_b32 v16, 7, v26 bitop3:0x40
	s_mov_b32 s24, exec_lo
	v_cmpx_gt_u32_e32 8, v49
; %bb.366:                              ;   in Loop: Header=BB344_285 Depth=1
	s_delay_alu instid0(VALU_DEP_2) | instskip(NEXT) | instid1(VALU_DEP_1)
	v_clz_i32_u32_e32 v27, v16
	v_min_u32_e32 v27, 32, v27
	s_delay_alu instid0(VALU_DEP_1) | instskip(NEXT) | instid1(VALU_DEP_1)
	v_subrev_nc_u32_e32 v49, 28, v27
	v_lshlrev_b64_e32 v[54:55], v49, v[16:17]
	s_delay_alu instid0(VALU_DEP_1)
	v_dual_sub_nc_u32 v27, 29, v27 :: v_dual_bitop2_b32 v16, 7, v54 bitop3:0x40
; %bb.367:                              ;   in Loop: Header=BB344_285 Depth=1
	s_or_b32 exec_lo, exec_lo, s24
	s_delay_alu instid0(VALU_DEP_1) | instskip(NEXT) | instid1(VALU_DEP_2)
	v_dual_lshlrev_b32 v26, 24, v26 :: v_dual_lshlrev_b32 v16, 20, v16
	v_lshl_add_u32 v27, v27, 23, 0x3c000000
	s_delay_alu instid0(VALU_DEP_2) | instskip(NEXT) | instid1(VALU_DEP_1)
	v_and_b32_e32 v26, 0x80000000, v26
	v_or3_b32 v54, v16, v26, v27
.LBB344_368:                            ;   in Loop: Header=BB344_285 Depth=1
	s_or_b32 exec_lo, exec_lo, s23
.LBB344_369:                            ;   in Loop: Header=BB344_285 Depth=1
	s_delay_alu instid0(SALU_CYCLE_1)
	s_or_b32 exec_lo, exec_lo, s22
.LBB344_370:                            ;   in Loop: Header=BB344_285 Depth=1
	s_delay_alu instid0(SALU_CYCLE_1) | instskip(NEXT) | instid1(SALU_CYCLE_1)
	s_or_b32 exec_lo, exec_lo, s21
	s_mov_b32 s21, exec_lo
	v_cmpx_lt_u32_e32 0xffffff, v24
	s_cbranch_execz .LBB344_378
; %bb.371:                              ;   in Loop: Header=BB344_285 Depth=1
	v_lshrrev_b32_e32 v26, 24, v24
	v_bfrev_b32_e32 v53, 1
	s_mov_b32 s22, exec_lo
	s_delay_alu instid0(VALU_DEP_2)
	v_cmpx_ne_u32_e32 0x80, v26
	s_cbranch_execz .LBB344_377
; %bb.372:                              ;   in Loop: Header=BB344_285 Depth=1
	v_bfe_u32 v49, v24, 24, 7
	v_mov_b32_e32 v53, 0x7f800001
	s_mov_b32 s23, exec_lo
	s_delay_alu instid0(VALU_DEP_2)
	v_cmpx_ne_u32_e32 0x7f, v49
	s_cbranch_execz .LBB344_376
; %bb.373:                              ;   in Loop: Header=BB344_285 Depth=1
	v_dual_lshrrev_b32 v27, 3, v49 :: v_dual_bitop2_b32 v16, 7, v26 bitop3:0x40
	s_mov_b32 s24, exec_lo
	v_cmpx_gt_u32_e32 8, v49
; %bb.374:                              ;   in Loop: Header=BB344_285 Depth=1
	s_delay_alu instid0(VALU_DEP_2) | instskip(NEXT) | instid1(VALU_DEP_1)
	v_clz_i32_u32_e32 v27, v16
	v_min_u32_e32 v27, 32, v27
	s_delay_alu instid0(VALU_DEP_1) | instskip(NEXT) | instid1(VALU_DEP_1)
	v_subrev_nc_u32_e32 v49, 28, v27
	v_lshlrev_b64_e32 v[56:57], v49, v[16:17]
	s_delay_alu instid0(VALU_DEP_1)
	v_dual_sub_nc_u32 v27, 29, v27 :: v_dual_bitop2_b32 v16, 7, v56 bitop3:0x40
; %bb.375:                              ;   in Loop: Header=BB344_285 Depth=1
	s_or_b32 exec_lo, exec_lo, s24
	s_delay_alu instid0(VALU_DEP_1) | instskip(NEXT) | instid1(VALU_DEP_2)
	v_dual_lshlrev_b32 v26, 24, v26 :: v_dual_lshlrev_b32 v16, 20, v16
	v_lshl_add_u32 v27, v27, 23, 0x3c000000
	s_delay_alu instid0(VALU_DEP_2) | instskip(NEXT) | instid1(VALU_DEP_1)
	v_and_b32_e32 v26, 0x80000000, v26
	v_or3_b32 v53, v16, v26, v27
.LBB344_376:                            ;   in Loop: Header=BB344_285 Depth=1
	s_or_b32 exec_lo, exec_lo, s23
.LBB344_377:                            ;   in Loop: Header=BB344_285 Depth=1
	s_delay_alu instid0(SALU_CYCLE_1)
	s_or_b32 exec_lo, exec_lo, s22
.LBB344_378:                            ;   in Loop: Header=BB344_285 Depth=1
	s_delay_alu instid0(SALU_CYCLE_1) | instskip(SKIP_4) | instid1(VALU_DEP_3)
	s_or_b32 exec_lo, exec_lo, s21
	v_and_b32_e32 v27, 0xff, v25
	v_dual_mov_b32 v16, v25 :: v_dual_mov_b32 v26, 0
	v_mov_b32_e32 v50, 0
	s_mov_b32 s21, exec_lo
	v_cmpx_ne_u16_e32 0, v27
	s_cbranch_execz .LBB344_384
; %bb.379:                              ;   in Loop: Header=BB344_285 Depth=1
	v_bfrev_b32_e32 v50, 1
	s_mov_b32 s22, exec_lo
	v_cmpx_ne_u16_e32 0x80, v27
	s_cbranch_execz .LBB344_383
; %bb.380:                              ;   in Loop: Header=BB344_285 Depth=1
	v_and_b32_e32 v27, 0x7f, v25
	v_mov_b32_e32 v50, 0x7f800001
	s_mov_b32 s23, exec_lo
	s_delay_alu instid0(VALU_DEP_2)
	v_cmpx_ne_u32_e32 0x7f, v27
	s_cbranch_execz .LBB344_382
; %bb.381:                              ;   in Loop: Header=BB344_285 Depth=1
	v_dual_lshrrev_b32 v50, 3, v27 :: v_dual_bitop2_b32 v49, 7, v25 bitop3:0x40
	v_cmp_gt_u32_e64 s0, 8, v27
	s_delay_alu instid0(VALU_DEP_2) | instskip(NEXT) | instid1(VALU_DEP_1)
	v_clz_i32_u32_e32 v49, v49
	v_min_u32_e32 v49, 32, v49
	s_delay_alu instid0(VALU_DEP_1) | instskip(SKIP_1) | instid1(VALU_DEP_1)
	v_subrev_nc_u32_e32 v55, 28, v49
	v_sub_nc_u32_e32 v49, 29, v49
	v_dual_cndmask_b32 v27, v50, v49, s0 :: v_dual_cndmask_b32 v49, 0, v55, s0
	s_delay_alu instid0(VALU_DEP_1) | instskip(NEXT) | instid1(VALU_DEP_2)
	v_lshl_add_u32 v27, v27, 23, 0x3c000000
	v_lshlrev_b64_e32 v[56:57], v49, v[16:17]
	v_lshlrev_b32_e32 v49, 24, v16
	s_delay_alu instid0(VALU_DEP_1) | instskip(NEXT) | instid1(VALU_DEP_3)
	v_and_b32_e32 v49, 0x80000000, v49
	v_lshlrev_b32_e32 v50, 20, v56
	s_delay_alu instid0(VALU_DEP_1) | instskip(NEXT) | instid1(VALU_DEP_1)
	v_and_b32_e32 v50, 0x700000, v50
	v_or3_b32 v50, v50, v49, v27
.LBB344_382:                            ;   in Loop: Header=BB344_285 Depth=1
	s_or_b32 exec_lo, exec_lo, s23
.LBB344_383:                            ;   in Loop: Header=BB344_285 Depth=1
	s_delay_alu instid0(SALU_CYCLE_1)
	s_or_b32 exec_lo, exec_lo, s22
.LBB344_384:                            ;   in Loop: Header=BB344_285 Depth=1
	s_delay_alu instid0(SALU_CYCLE_1) | instskip(SKIP_2) | instid1(VALU_DEP_1)
	s_or_b32 exec_lo, exec_lo, s21
	v_lshrrev_b16 v27, 8, v16
	s_mov_b32 s21, exec_lo
	v_cmpx_ne_u16_e32 0, v27
	s_cbranch_execz .LBB344_392
; %bb.385:                              ;   in Loop: Header=BB344_285 Depth=1
	v_bfrev_b32_e32 v26, 1
	s_mov_b32 s22, exec_lo
	v_cmpx_ne_u16_e32 0x80, v27
	s_cbranch_execz .LBB344_391
; %bb.386:                              ;   in Loop: Header=BB344_285 Depth=1
	v_and_b32_e32 v27, 0xffff, v27
	v_mov_b32_e32 v26, 0x7f800001
	s_mov_b32 s23, exec_lo
	s_delay_alu instid0(VALU_DEP_2) | instskip(NEXT) | instid1(VALU_DEP_1)
	v_and_b32_e32 v55, 0x7f, v27
	v_cmpx_ne_u32_e32 0x7f, v55
	s_cbranch_execz .LBB344_390
; %bb.387:                              ;   in Loop: Header=BB344_285 Depth=1
	v_dual_mov_b32 v27, v17 :: v_dual_bitop2_b32 v26, 7, v27 bitop3:0x40
	v_lshrrev_b32_e32 v49, 3, v55
	s_mov_b32 s24, exec_lo
	v_cmpx_gt_u32_e32 8, v55
; %bb.388:                              ;   in Loop: Header=BB344_285 Depth=1
	s_delay_alu instid0(VALU_DEP_3) | instskip(NEXT) | instid1(VALU_DEP_1)
	v_clz_i32_u32_e32 v49, v26
	v_min_u32_e32 v49, 32, v49
	s_delay_alu instid0(VALU_DEP_1) | instskip(NEXT) | instid1(VALU_DEP_1)
	v_subrev_nc_u32_e32 v55, 28, v49
	v_lshlrev_b64_e32 v[26:27], v55, v[26:27]
	s_delay_alu instid0(VALU_DEP_1)
	v_dual_sub_nc_u32 v49, 29, v49 :: v_dual_bitop2_b32 v26, 7, v26 bitop3:0x40
; %bb.389:                              ;   in Loop: Header=BB344_285 Depth=1
	s_or_b32 exec_lo, exec_lo, s24
	s_delay_alu instid0(VALU_DEP_1) | instskip(NEXT) | instid1(VALU_DEP_2)
	v_dual_lshlrev_b32 v16, 16, v16 :: v_dual_lshlrev_b32 v26, 20, v26
	v_lshl_add_u32 v27, v49, 23, 0x3c000000
	s_delay_alu instid0(VALU_DEP_2) | instskip(NEXT) | instid1(VALU_DEP_1)
	v_and_b32_e32 v16, 0x80000000, v16
	v_or3_b32 v26, v26, v16, v27
.LBB344_390:                            ;   in Loop: Header=BB344_285 Depth=1
	s_or_b32 exec_lo, exec_lo, s23
.LBB344_391:                            ;   in Loop: Header=BB344_285 Depth=1
	s_delay_alu instid0(SALU_CYCLE_1)
	s_or_b32 exec_lo, exec_lo, s22
.LBB344_392:                            ;   in Loop: Header=BB344_285 Depth=1
	s_delay_alu instid0(SALU_CYCLE_1) | instskip(SKIP_3) | instid1(VALU_DEP_2)
	s_or_b32 exec_lo, exec_lo, s21
	v_dual_lshrrev_b32 v49, 16, v25 :: v_dual_mov_b32 v27, 0
	v_mov_b32_e32 v57, 0
	s_mov_b32 s21, exec_lo
	v_and_b32_e32 v16, 0xff, v49
	s_delay_alu instid0(VALU_DEP_1)
	v_cmpx_ne_u16_e32 0, v16
	s_cbranch_execz .LBB344_400
; %bb.393:                              ;   in Loop: Header=BB344_285 Depth=1
	v_bfrev_b32_e32 v57, 1
	s_mov_b32 s22, exec_lo
	v_cmpx_ne_u16_e32 0x80, v16
	s_cbranch_execz .LBB344_399
; %bb.394:                              ;   in Loop: Header=BB344_285 Depth=1
	v_bfe_u32 v56, v25, 16, 7
	v_mov_b32_e32 v57, 0x7f800001
	s_mov_b32 s23, exec_lo
	s_delay_alu instid0(VALU_DEP_2)
	v_cmpx_ne_u32_e32 0x7f, v56
	s_cbranch_execz .LBB344_398
; %bb.395:                              ;   in Loop: Header=BB344_285 Depth=1
	v_dual_lshrrev_b32 v55, 3, v56 :: v_dual_bitop2_b32 v16, 7, v49 bitop3:0x40
	s_mov_b32 s24, exec_lo
	v_cmpx_gt_u32_e32 8, v56
; %bb.396:                              ;   in Loop: Header=BB344_285 Depth=1
	s_delay_alu instid0(VALU_DEP_2) | instskip(NEXT) | instid1(VALU_DEP_1)
	v_clz_i32_u32_e32 v55, v16
	v_min_u32_e32 v55, 32, v55
	s_delay_alu instid0(VALU_DEP_1) | instskip(NEXT) | instid1(VALU_DEP_1)
	v_subrev_nc_u32_e32 v56, 28, v55
	v_lshlrev_b64_e32 v[56:57], v56, v[16:17]
	s_delay_alu instid0(VALU_DEP_1)
	v_dual_sub_nc_u32 v55, 29, v55 :: v_dual_bitop2_b32 v16, 7, v56 bitop3:0x40
; %bb.397:                              ;   in Loop: Header=BB344_285 Depth=1
	s_or_b32 exec_lo, exec_lo, s24
	s_delay_alu instid0(VALU_DEP_1) | instskip(NEXT) | instid1(VALU_DEP_2)
	v_dual_lshlrev_b32 v49, 24, v49 :: v_dual_lshlrev_b32 v16, 20, v16
	v_lshl_add_u32 v55, v55, 23, 0x3c000000
	s_delay_alu instid0(VALU_DEP_2) | instskip(NEXT) | instid1(VALU_DEP_1)
	v_and_b32_e32 v49, 0x80000000, v49
	v_or3_b32 v57, v16, v49, v55
.LBB344_398:                            ;   in Loop: Header=BB344_285 Depth=1
	s_or_b32 exec_lo, exec_lo, s23
.LBB344_399:                            ;   in Loop: Header=BB344_285 Depth=1
	s_delay_alu instid0(SALU_CYCLE_1)
	s_or_b32 exec_lo, exec_lo, s22
.LBB344_400:                            ;   in Loop: Header=BB344_285 Depth=1
	s_delay_alu instid0(SALU_CYCLE_1) | instskip(NEXT) | instid1(SALU_CYCLE_1)
	s_or_b32 exec_lo, exec_lo, s21
	s_mov_b32 s21, exec_lo
	v_cmpx_lt_u64_e64 s[2:3], v[24:25]
	s_cbranch_execz .LBB344_408
; %bb.401:                              ;   in Loop: Header=BB344_285 Depth=1
	v_lshrrev_b32_e32 v24, 24, v25
	v_bfrev_b32_e32 v27, 1
	s_mov_b32 s22, exec_lo
	s_delay_alu instid0(VALU_DEP_2)
	v_cmpx_ne_u32_e32 0x80, v24
	s_cbranch_execz .LBB344_407
; %bb.402:                              ;   in Loop: Header=BB344_285 Depth=1
	v_bfe_u32 v49, v25, 24, 7
	v_mov_b32_e32 v27, 0x7f800001
	s_mov_b32 s23, exec_lo
	s_delay_alu instid0(VALU_DEP_2)
	v_cmpx_ne_u32_e32 0x7f, v49
	s_cbranch_execz .LBB344_406
; %bb.403:                              ;   in Loop: Header=BB344_285 Depth=1
	v_dual_lshrrev_b32 v25, 3, v49 :: v_dual_bitop2_b32 v16, 7, v24 bitop3:0x40
	s_mov_b32 s24, exec_lo
	v_cmpx_gt_u32_e32 8, v49
; %bb.404:                              ;   in Loop: Header=BB344_285 Depth=1
	s_delay_alu instid0(VALU_DEP_2) | instskip(NEXT) | instid1(VALU_DEP_1)
	v_clz_i32_u32_e32 v25, v16
	v_min_u32_e32 v25, 32, v25
	s_delay_alu instid0(VALU_DEP_1) | instskip(NEXT) | instid1(VALU_DEP_1)
	v_subrev_nc_u32_e32 v27, 28, v25
	v_lshlrev_b64_e32 v[58:59], v27, v[16:17]
	s_delay_alu instid0(VALU_DEP_1)
	v_dual_sub_nc_u32 v25, 29, v25 :: v_dual_bitop2_b32 v16, 7, v58 bitop3:0x40
; %bb.405:                              ;   in Loop: Header=BB344_285 Depth=1
	s_or_b32 exec_lo, exec_lo, s24
	v_lshlrev_b32_e32 v24, 24, v24
	s_delay_alu instid0(VALU_DEP_2) | instskip(NEXT) | instid1(VALU_DEP_3)
	v_lshlrev_b32_e32 v16, 20, v16
	v_lshl_add_u32 v25, v25, 23, 0x3c000000
	s_delay_alu instid0(VALU_DEP_3) | instskip(NEXT) | instid1(VALU_DEP_1)
	v_and_b32_e32 v24, 0x80000000, v24
	v_or3_b32 v27, v16, v24, v25
.LBB344_406:                            ;   in Loop: Header=BB344_285 Depth=1
	s_or_b32 exec_lo, exec_lo, s23
.LBB344_407:                            ;   in Loop: Header=BB344_285 Depth=1
	s_delay_alu instid0(SALU_CYCLE_1)
	s_or_b32 exec_lo, exec_lo, s22
.LBB344_408:                            ;   in Loop: Header=BB344_285 Depth=1
	s_delay_alu instid0(SALU_CYCLE_1)
	s_or_b32 exec_lo, exec_lo, s21
	v_fma_mixlo_bf16 v49, s20, v26, 0
	v_fma_mixlo_bf16 v50, s20, v50, 0
	;; [unrolled: 1-line block ×8, first 2 shown]
	s_and_saveexec_b32 s21, vcc_lo
	s_cbranch_execz .LBB344_410
; %bb.409:                              ;   in Loop: Header=BB344_285 Depth=1
	v_cmp_gt_i32_e64 s0, s34, v41
	s_delay_alu instid0(VALU_DEP_1) | instskip(SKIP_1) | instid1(VALU_DEP_1)
	v_cndmask_b32_e64 v56, 0, v56, s0
	v_cmp_gt_i32_e64 s0, s34, v48
	v_cndmask_b32_e64 v55, 0, v55, s0
	v_cmp_gt_i32_e64 s0, s34, v47
	s_delay_alu instid0(VALU_DEP_1) | instskip(SKIP_1) | instid1(VALU_DEP_1)
	v_cndmask_b32_e64 v54, 0, v54, s0
	v_cmp_gt_i32_e64 s0, s34, v46
	v_cndmask_b32_e64 v53, 0, v53, s0
	;; [unrolled: 5-line block ×4, first 2 shown]
.LBB344_410:                            ;   in Loop: Header=BB344_285 Depth=1
	s_or_b32 exec_lo, exec_lo, s21
	global_load_b64 v[24:25], v[22:23], off offset:512
	v_dual_mov_b32 v61, 0 :: v_dual_mov_b32 v62, 0
	s_mov_b32 s21, exec_lo
	s_wait_loadcnt 0x0
	v_and_b32_e32 v16, 0xff, v24
	s_delay_alu instid0(VALU_DEP_1)
	v_cmpx_ne_u16_e32 0, v16
	s_cbranch_execz .LBB344_416
; %bb.411:                              ;   in Loop: Header=BB344_285 Depth=1
	v_bfrev_b32_e32 v62, 1
	s_mov_b32 s22, exec_lo
	v_cmpx_ne_u16_e32 0x80, v16
	s_cbranch_execz .LBB344_415
; %bb.412:                              ;   in Loop: Header=BB344_285 Depth=1
	v_and_b32_e32 v16, 0x7f, v24
	v_mov_b32_e32 v62, 0x7f800001
	s_mov_b32 s23, exec_lo
	s_delay_alu instid0(VALU_DEP_2)
	v_cmpx_ne_u32_e32 0x7f, v16
	s_cbranch_execz .LBB344_414
; %bb.413:                              ;   in Loop: Header=BB344_285 Depth=1
	v_and_b32_e32 v26, 7, v24
	v_cmp_gt_u32_e64 s0, 8, v16
	s_delay_alu instid0(VALU_DEP_2) | instskip(NEXT) | instid1(VALU_DEP_1)
	v_clz_i32_u32_e32 v26, v26
	v_min_u32_e32 v26, 32, v26
	v_lshrrev_b32_e32 v27, 3, v16
	s_delay_alu instid0(VALU_DEP_2) | instskip(SKIP_1) | instid1(VALU_DEP_1)
	v_subrev_nc_u32_e32 v57, 28, v26
	v_sub_nc_u32_e32 v26, 29, v26
	v_dual_cndmask_b32 v16, v27, v26, s0 :: v_dual_cndmask_b32 v26, 0, v57, s0
	s_delay_alu instid0(VALU_DEP_1) | instskip(NEXT) | instid1(VALU_DEP_2)
	v_lshl_add_u32 v16, v16, 23, 0x3c000000
	v_lshlrev_b64_e32 v[26:27], v26, v[24:25]
	v_lshlrev_b32_e32 v27, 24, v24
	s_delay_alu instid0(VALU_DEP_1) | instskip(NEXT) | instid1(VALU_DEP_3)
	v_and_b32_e32 v27, 0x80000000, v27
	v_lshlrev_b32_e32 v26, 20, v26
	s_delay_alu instid0(VALU_DEP_1) | instskip(NEXT) | instid1(VALU_DEP_1)
	v_and_b32_e32 v26, 0x700000, v26
	v_or3_b32 v62, v26, v27, v16
.LBB344_414:                            ;   in Loop: Header=BB344_285 Depth=1
	s_or_b32 exec_lo, exec_lo, s23
.LBB344_415:                            ;   in Loop: Header=BB344_285 Depth=1
	s_delay_alu instid0(SALU_CYCLE_1)
	s_or_b32 exec_lo, exec_lo, s22
.LBB344_416:                            ;   in Loop: Header=BB344_285 Depth=1
	s_delay_alu instid0(SALU_CYCLE_1) | instskip(SKIP_2) | instid1(VALU_DEP_1)
	s_or_b32 exec_lo, exec_lo, s21
	v_lshrrev_b16 v16, 8, v24
	s_mov_b32 s21, exec_lo
	v_cmpx_ne_u16_e32 0, v16
	s_cbranch_execz .LBB344_424
; %bb.417:                              ;   in Loop: Header=BB344_285 Depth=1
	v_bfrev_b32_e32 v61, 1
	s_mov_b32 s22, exec_lo
	v_cmpx_ne_u16_e32 0x80, v16
	s_cbranch_execz .LBB344_423
; %bb.418:                              ;   in Loop: Header=BB344_285 Depth=1
	v_and_b32_e32 v16, 0xffff, v16
	v_mov_b32_e32 v61, 0x7f800001
	s_mov_b32 s23, exec_lo
	s_delay_alu instid0(VALU_DEP_2) | instskip(NEXT) | instid1(VALU_DEP_1)
	v_and_b32_e32 v27, 0x7f, v16
	v_cmpx_ne_u32_e32 0x7f, v27
	s_cbranch_execz .LBB344_422
; %bb.419:                              ;   in Loop: Header=BB344_285 Depth=1
	v_dual_lshrrev_b32 v26, 3, v27 :: v_dual_bitop2_b32 v16, 7, v16 bitop3:0x40
	s_mov_b32 s24, exec_lo
	v_cmpx_gt_u32_e32 8, v27
; %bb.420:                              ;   in Loop: Header=BB344_285 Depth=1
	s_delay_alu instid0(VALU_DEP_2) | instskip(NEXT) | instid1(VALU_DEP_1)
	v_clz_i32_u32_e32 v26, v16
	v_min_u32_e32 v26, 32, v26
	s_delay_alu instid0(VALU_DEP_1) | instskip(SKIP_1) | instid1(VALU_DEP_2)
	v_subrev_nc_u32_e32 v27, 28, v26
	v_sub_nc_u32_e32 v26, 29, v26
	v_lshlrev_b64_e32 v[58:59], v27, v[16:17]
	s_delay_alu instid0(VALU_DEP_1)
	v_and_b32_e32 v16, 7, v58
; %bb.421:                              ;   in Loop: Header=BB344_285 Depth=1
	s_or_b32 exec_lo, exec_lo, s24
	v_lshlrev_b32_e32 v27, 16, v24
	s_delay_alu instid0(VALU_DEP_2) | instskip(SKIP_1) | instid1(VALU_DEP_3)
	v_lshlrev_b32_e32 v16, 20, v16
	v_lshl_add_u32 v26, v26, 23, 0x3c000000
	v_and_b32_e32 v27, 0x80000000, v27
	s_delay_alu instid0(VALU_DEP_1)
	v_or3_b32 v61, v16, v27, v26
.LBB344_422:                            ;   in Loop: Header=BB344_285 Depth=1
	s_or_b32 exec_lo, exec_lo, s23
.LBB344_423:                            ;   in Loop: Header=BB344_285 Depth=1
	s_delay_alu instid0(SALU_CYCLE_1)
	s_or_b32 exec_lo, exec_lo, s22
.LBB344_424:                            ;   in Loop: Header=BB344_285 Depth=1
	s_delay_alu instid0(SALU_CYCLE_1) | instskip(SKIP_3) | instid1(VALU_DEP_2)
	s_or_b32 exec_lo, exec_lo, s21
	v_dual_mov_b32 v59, 0 :: v_dual_lshrrev_b32 v26, 16, v24
	v_mov_b32_e32 v60, 0
	s_mov_b32 s21, exec_lo
	v_and_b32_e32 v16, 0xff, v26
	s_delay_alu instid0(VALU_DEP_1)
	v_cmpx_ne_u16_e32 0, v16
	s_cbranch_execz .LBB344_432
; %bb.425:                              ;   in Loop: Header=BB344_285 Depth=1
	v_bfrev_b32_e32 v60, 1
	s_mov_b32 s22, exec_lo
	v_cmpx_ne_u16_e32 0x80, v16
	s_cbranch_execz .LBB344_431
; %bb.426:                              ;   in Loop: Header=BB344_285 Depth=1
	v_bfe_u32 v57, v24, 16, 7
	v_mov_b32_e32 v60, 0x7f800001
	s_mov_b32 s23, exec_lo
	s_delay_alu instid0(VALU_DEP_2)
	v_cmpx_ne_u32_e32 0x7f, v57
	s_cbranch_execz .LBB344_430
; %bb.427:                              ;   in Loop: Header=BB344_285 Depth=1
	v_dual_lshrrev_b32 v27, 3, v57 :: v_dual_bitop2_b32 v16, 7, v26 bitop3:0x40
	s_mov_b32 s24, exec_lo
	v_cmpx_gt_u32_e32 8, v57
; %bb.428:                              ;   in Loop: Header=BB344_285 Depth=1
	s_delay_alu instid0(VALU_DEP_2) | instskip(NEXT) | instid1(VALU_DEP_1)
	v_clz_i32_u32_e32 v27, v16
	v_min_u32_e32 v27, 32, v27
	s_delay_alu instid0(VALU_DEP_1) | instskip(NEXT) | instid1(VALU_DEP_1)
	v_subrev_nc_u32_e32 v57, 28, v27
	v_lshlrev_b64_e32 v[64:65], v57, v[16:17]
	s_delay_alu instid0(VALU_DEP_1)
	v_dual_sub_nc_u32 v27, 29, v27 :: v_dual_bitop2_b32 v16, 7, v64 bitop3:0x40
; %bb.429:                              ;   in Loop: Header=BB344_285 Depth=1
	s_or_b32 exec_lo, exec_lo, s24
	s_delay_alu instid0(VALU_DEP_1) | instskip(NEXT) | instid1(VALU_DEP_2)
	v_dual_lshlrev_b32 v26, 24, v26 :: v_dual_lshlrev_b32 v16, 20, v16
	v_lshl_add_u32 v27, v27, 23, 0x3c000000
	s_delay_alu instid0(VALU_DEP_2) | instskip(NEXT) | instid1(VALU_DEP_1)
	v_and_b32_e32 v26, 0x80000000, v26
	v_or3_b32 v60, v16, v26, v27
.LBB344_430:                            ;   in Loop: Header=BB344_285 Depth=1
	s_or_b32 exec_lo, exec_lo, s23
.LBB344_431:                            ;   in Loop: Header=BB344_285 Depth=1
	s_delay_alu instid0(SALU_CYCLE_1)
	s_or_b32 exec_lo, exec_lo, s22
.LBB344_432:                            ;   in Loop: Header=BB344_285 Depth=1
	s_delay_alu instid0(SALU_CYCLE_1) | instskip(NEXT) | instid1(SALU_CYCLE_1)
	s_or_b32 exec_lo, exec_lo, s21
	s_mov_b32 s21, exec_lo
	v_cmpx_lt_u32_e32 0xffffff, v24
	s_cbranch_execz .LBB344_440
; %bb.433:                              ;   in Loop: Header=BB344_285 Depth=1
	v_lshrrev_b32_e32 v26, 24, v24
	v_bfrev_b32_e32 v59, 1
	s_mov_b32 s22, exec_lo
	s_delay_alu instid0(VALU_DEP_2)
	v_cmpx_ne_u32_e32 0x80, v26
	s_cbranch_execz .LBB344_439
; %bb.434:                              ;   in Loop: Header=BB344_285 Depth=1
	v_bfe_u32 v57, v24, 24, 7
	v_mov_b32_e32 v59, 0x7f800001
	s_mov_b32 s23, exec_lo
	s_delay_alu instid0(VALU_DEP_2)
	v_cmpx_ne_u32_e32 0x7f, v57
	s_cbranch_execz .LBB344_438
; %bb.435:                              ;   in Loop: Header=BB344_285 Depth=1
	v_dual_lshrrev_b32 v27, 3, v57 :: v_dual_bitop2_b32 v16, 7, v26 bitop3:0x40
	s_mov_b32 s24, exec_lo
	v_cmpx_gt_u32_e32 8, v57
; %bb.436:                              ;   in Loop: Header=BB344_285 Depth=1
	s_delay_alu instid0(VALU_DEP_2) | instskip(NEXT) | instid1(VALU_DEP_1)
	v_clz_i32_u32_e32 v27, v16
	v_min_u32_e32 v27, 32, v27
	s_delay_alu instid0(VALU_DEP_1) | instskip(NEXT) | instid1(VALU_DEP_1)
	v_subrev_nc_u32_e32 v57, 28, v27
	v_lshlrev_b64_e32 v[58:59], v57, v[16:17]
	s_delay_alu instid0(VALU_DEP_1)
	v_dual_sub_nc_u32 v27, 29, v27 :: v_dual_bitop2_b32 v16, 7, v58 bitop3:0x40
; %bb.437:                              ;   in Loop: Header=BB344_285 Depth=1
	s_or_b32 exec_lo, exec_lo, s24
	s_delay_alu instid0(VALU_DEP_1) | instskip(NEXT) | instid1(VALU_DEP_2)
	v_dual_lshlrev_b32 v26, 24, v26 :: v_dual_lshlrev_b32 v16, 20, v16
	v_lshl_add_u32 v27, v27, 23, 0x3c000000
	s_delay_alu instid0(VALU_DEP_2) | instskip(NEXT) | instid1(VALU_DEP_1)
	v_and_b32_e32 v26, 0x80000000, v26
	v_or3_b32 v59, v16, v26, v27
.LBB344_438:                            ;   in Loop: Header=BB344_285 Depth=1
	s_or_b32 exec_lo, exec_lo, s23
.LBB344_439:                            ;   in Loop: Header=BB344_285 Depth=1
	s_delay_alu instid0(SALU_CYCLE_1)
	s_or_b32 exec_lo, exec_lo, s22
.LBB344_440:                            ;   in Loop: Header=BB344_285 Depth=1
	s_delay_alu instid0(SALU_CYCLE_1) | instskip(SKIP_4) | instid1(VALU_DEP_3)
	s_or_b32 exec_lo, exec_lo, s21
	v_and_b32_e32 v27, 0xff, v25
	v_dual_mov_b32 v16, v25 :: v_dual_mov_b32 v26, 0
	v_mov_b32_e32 v58, 0
	s_mov_b32 s21, exec_lo
	v_cmpx_ne_u16_e32 0, v27
	s_cbranch_execz .LBB344_446
; %bb.441:                              ;   in Loop: Header=BB344_285 Depth=1
	v_bfrev_b32_e32 v58, 1
	s_mov_b32 s22, exec_lo
	v_cmpx_ne_u16_e32 0x80, v27
	s_cbranch_execz .LBB344_445
; %bb.442:                              ;   in Loop: Header=BB344_285 Depth=1
	v_and_b32_e32 v27, 0x7f, v25
	v_mov_b32_e32 v58, 0x7f800001
	s_mov_b32 s23, exec_lo
	s_delay_alu instid0(VALU_DEP_2)
	v_cmpx_ne_u32_e32 0x7f, v27
	s_cbranch_execz .LBB344_444
; %bb.443:                              ;   in Loop: Header=BB344_285 Depth=1
	v_dual_lshrrev_b32 v58, 3, v27 :: v_dual_bitop2_b32 v57, 7, v25 bitop3:0x40
	v_cmp_gt_u32_e64 s0, 8, v27
	s_delay_alu instid0(VALU_DEP_2) | instskip(NEXT) | instid1(VALU_DEP_1)
	v_clz_i32_u32_e32 v57, v57
	v_min_u32_e32 v57, 32, v57
	s_delay_alu instid0(VALU_DEP_1) | instskip(SKIP_1) | instid1(VALU_DEP_1)
	v_subrev_nc_u32_e32 v63, 28, v57
	v_sub_nc_u32_e32 v57, 29, v57
	v_dual_cndmask_b32 v27, v58, v57, s0 :: v_dual_cndmask_b32 v57, 0, v63, s0
	s_delay_alu instid0(VALU_DEP_1) | instskip(NEXT) | instid1(VALU_DEP_2)
	v_lshl_add_u32 v27, v27, 23, 0x3c000000
	v_lshlrev_b64_e32 v[64:65], v57, v[16:17]
	v_lshlrev_b32_e32 v57, 24, v16
	s_delay_alu instid0(VALU_DEP_1) | instskip(NEXT) | instid1(VALU_DEP_3)
	v_and_b32_e32 v57, 0x80000000, v57
	v_lshlrev_b32_e32 v58, 20, v64
	s_delay_alu instid0(VALU_DEP_1) | instskip(NEXT) | instid1(VALU_DEP_1)
	v_and_b32_e32 v58, 0x700000, v58
	v_or3_b32 v58, v58, v57, v27
.LBB344_444:                            ;   in Loop: Header=BB344_285 Depth=1
	s_or_b32 exec_lo, exec_lo, s23
.LBB344_445:                            ;   in Loop: Header=BB344_285 Depth=1
	s_delay_alu instid0(SALU_CYCLE_1)
	s_or_b32 exec_lo, exec_lo, s22
.LBB344_446:                            ;   in Loop: Header=BB344_285 Depth=1
	s_delay_alu instid0(SALU_CYCLE_1) | instskip(SKIP_2) | instid1(VALU_DEP_1)
	s_or_b32 exec_lo, exec_lo, s21
	v_lshrrev_b16 v27, 8, v16
	s_mov_b32 s21, exec_lo
	v_cmpx_ne_u16_e32 0, v27
	s_cbranch_execz .LBB344_454
; %bb.447:                              ;   in Loop: Header=BB344_285 Depth=1
	v_bfrev_b32_e32 v26, 1
	s_mov_b32 s22, exec_lo
	v_cmpx_ne_u16_e32 0x80, v27
	s_cbranch_execz .LBB344_453
; %bb.448:                              ;   in Loop: Header=BB344_285 Depth=1
	v_and_b32_e32 v27, 0xffff, v27
	v_mov_b32_e32 v26, 0x7f800001
	s_mov_b32 s23, exec_lo
	s_delay_alu instid0(VALU_DEP_2) | instskip(NEXT) | instid1(VALU_DEP_1)
	v_and_b32_e32 v63, 0x7f, v27
	v_cmpx_ne_u32_e32 0x7f, v63
	s_cbranch_execz .LBB344_452
; %bb.449:                              ;   in Loop: Header=BB344_285 Depth=1
	v_dual_mov_b32 v27, v17 :: v_dual_bitop2_b32 v26, 7, v27 bitop3:0x40
	v_lshrrev_b32_e32 v57, 3, v63
	s_mov_b32 s24, exec_lo
	v_cmpx_gt_u32_e32 8, v63
; %bb.450:                              ;   in Loop: Header=BB344_285 Depth=1
	s_delay_alu instid0(VALU_DEP_3) | instskip(NEXT) | instid1(VALU_DEP_1)
	v_clz_i32_u32_e32 v57, v26
	v_min_u32_e32 v57, 32, v57
	s_delay_alu instid0(VALU_DEP_1) | instskip(NEXT) | instid1(VALU_DEP_1)
	v_subrev_nc_u32_e32 v63, 28, v57
	v_lshlrev_b64_e32 v[26:27], v63, v[26:27]
	s_delay_alu instid0(VALU_DEP_1)
	v_dual_sub_nc_u32 v57, 29, v57 :: v_dual_bitop2_b32 v26, 7, v26 bitop3:0x40
; %bb.451:                              ;   in Loop: Header=BB344_285 Depth=1
	s_or_b32 exec_lo, exec_lo, s24
	s_delay_alu instid0(VALU_DEP_1) | instskip(NEXT) | instid1(VALU_DEP_2)
	v_dual_lshlrev_b32 v16, 16, v16 :: v_dual_lshlrev_b32 v26, 20, v26
	v_lshl_add_u32 v27, v57, 23, 0x3c000000
	s_delay_alu instid0(VALU_DEP_2) | instskip(NEXT) | instid1(VALU_DEP_1)
	v_and_b32_e32 v16, 0x80000000, v16
	v_or3_b32 v26, v26, v16, v27
.LBB344_452:                            ;   in Loop: Header=BB344_285 Depth=1
	s_or_b32 exec_lo, exec_lo, s23
.LBB344_453:                            ;   in Loop: Header=BB344_285 Depth=1
	s_delay_alu instid0(SALU_CYCLE_1)
	s_or_b32 exec_lo, exec_lo, s22
.LBB344_454:                            ;   in Loop: Header=BB344_285 Depth=1
	s_delay_alu instid0(SALU_CYCLE_1) | instskip(SKIP_3) | instid1(VALU_DEP_2)
	s_or_b32 exec_lo, exec_lo, s21
	v_dual_lshrrev_b32 v57, 16, v25 :: v_dual_mov_b32 v27, 0
	v_mov_b32_e32 v63, 0
	s_mov_b32 s21, exec_lo
	v_and_b32_e32 v16, 0xff, v57
	s_delay_alu instid0(VALU_DEP_1)
	v_cmpx_ne_u16_e32 0, v16
	s_cbranch_execz .LBB344_462
; %bb.455:                              ;   in Loop: Header=BB344_285 Depth=1
	v_bfrev_b32_e32 v63, 1
	s_mov_b32 s22, exec_lo
	v_cmpx_ne_u16_e32 0x80, v16
	s_cbranch_execz .LBB344_461
; %bb.456:                              ;   in Loop: Header=BB344_285 Depth=1
	v_bfe_u32 v64, v25, 16, 7
	v_mov_b32_e32 v63, 0x7f800001
	s_mov_b32 s23, exec_lo
	s_delay_alu instid0(VALU_DEP_2)
	v_cmpx_ne_u32_e32 0x7f, v64
	s_cbranch_execz .LBB344_460
; %bb.457:                              ;   in Loop: Header=BB344_285 Depth=1
	v_dual_lshrrev_b32 v63, 3, v64 :: v_dual_bitop2_b32 v16, 7, v57 bitop3:0x40
	s_mov_b32 s24, exec_lo
	v_cmpx_gt_u32_e32 8, v64
; %bb.458:                              ;   in Loop: Header=BB344_285 Depth=1
	s_delay_alu instid0(VALU_DEP_2) | instskip(NEXT) | instid1(VALU_DEP_1)
	v_clz_i32_u32_e32 v63, v16
	v_min_u32_e32 v63, 32, v63
	s_delay_alu instid0(VALU_DEP_1) | instskip(NEXT) | instid1(VALU_DEP_1)
	v_subrev_nc_u32_e32 v64, 28, v63
	v_lshlrev_b64_e32 v[64:65], v64, v[16:17]
	s_delay_alu instid0(VALU_DEP_1)
	v_dual_sub_nc_u32 v63, 29, v63 :: v_dual_bitop2_b32 v16, 7, v64 bitop3:0x40
; %bb.459:                              ;   in Loop: Header=BB344_285 Depth=1
	s_or_b32 exec_lo, exec_lo, s24
	s_delay_alu instid0(VALU_DEP_1) | instskip(NEXT) | instid1(VALU_DEP_2)
	v_dual_lshlrev_b32 v57, 24, v57 :: v_dual_lshlrev_b32 v16, 20, v16
	v_lshl_add_u32 v63, v63, 23, 0x3c000000
	s_delay_alu instid0(VALU_DEP_2) | instskip(NEXT) | instid1(VALU_DEP_1)
	v_and_b32_e32 v57, 0x80000000, v57
	v_or3_b32 v63, v16, v57, v63
.LBB344_460:                            ;   in Loop: Header=BB344_285 Depth=1
	s_or_b32 exec_lo, exec_lo, s23
.LBB344_461:                            ;   in Loop: Header=BB344_285 Depth=1
	s_delay_alu instid0(SALU_CYCLE_1)
	s_or_b32 exec_lo, exec_lo, s22
.LBB344_462:                            ;   in Loop: Header=BB344_285 Depth=1
	s_delay_alu instid0(SALU_CYCLE_1) | instskip(NEXT) | instid1(SALU_CYCLE_1)
	s_or_b32 exec_lo, exec_lo, s21
	s_mov_b32 s21, exec_lo
	v_cmpx_lt_u64_e64 s[2:3], v[24:25]
	s_cbranch_execz .LBB344_470
; %bb.463:                              ;   in Loop: Header=BB344_285 Depth=1
	v_lshrrev_b32_e32 v24, 24, v25
	v_bfrev_b32_e32 v27, 1
	s_mov_b32 s22, exec_lo
	s_delay_alu instid0(VALU_DEP_2)
	v_cmpx_ne_u32_e32 0x80, v24
	s_cbranch_execz .LBB344_469
; %bb.464:                              ;   in Loop: Header=BB344_285 Depth=1
	v_bfe_u32 v57, v25, 24, 7
	v_mov_b32_e32 v27, 0x7f800001
	s_mov_b32 s23, exec_lo
	s_delay_alu instid0(VALU_DEP_2)
	v_cmpx_ne_u32_e32 0x7f, v57
	s_cbranch_execz .LBB344_468
; %bb.465:                              ;   in Loop: Header=BB344_285 Depth=1
	v_dual_lshrrev_b32 v25, 3, v57 :: v_dual_bitop2_b32 v16, 7, v24 bitop3:0x40
	s_mov_b32 s24, exec_lo
	v_cmpx_gt_u32_e32 8, v57
; %bb.466:                              ;   in Loop: Header=BB344_285 Depth=1
	s_delay_alu instid0(VALU_DEP_2) | instskip(NEXT) | instid1(VALU_DEP_1)
	v_clz_i32_u32_e32 v25, v16
	v_min_u32_e32 v25, 32, v25
	s_delay_alu instid0(VALU_DEP_1) | instskip(NEXT) | instid1(VALU_DEP_1)
	v_subrev_nc_u32_e32 v27, 28, v25
	v_lshlrev_b64_e32 v[64:65], v27, v[16:17]
	s_delay_alu instid0(VALU_DEP_1)
	v_dual_sub_nc_u32 v25, 29, v25 :: v_dual_bitop2_b32 v16, 7, v64 bitop3:0x40
; %bb.467:                              ;   in Loop: Header=BB344_285 Depth=1
	s_or_b32 exec_lo, exec_lo, s24
	v_lshlrev_b32_e32 v24, 24, v24
	s_delay_alu instid0(VALU_DEP_2) | instskip(NEXT) | instid1(VALU_DEP_3)
	v_lshlrev_b32_e32 v16, 20, v16
	v_lshl_add_u32 v25, v25, 23, 0x3c000000
	s_delay_alu instid0(VALU_DEP_3) | instskip(NEXT) | instid1(VALU_DEP_1)
	v_and_b32_e32 v24, 0x80000000, v24
	v_or3_b32 v27, v16, v24, v25
.LBB344_468:                            ;   in Loop: Header=BB344_285 Depth=1
	s_or_b32 exec_lo, exec_lo, s23
.LBB344_469:                            ;   in Loop: Header=BB344_285 Depth=1
	s_delay_alu instid0(SALU_CYCLE_1)
	s_or_b32 exec_lo, exec_lo, s22
.LBB344_470:                            ;   in Loop: Header=BB344_285 Depth=1
	s_delay_alu instid0(SALU_CYCLE_1)
	s_or_b32 exec_lo, exec_lo, s21
	v_fma_mixlo_bf16 v57, s20, v26, 0
	v_fma_mixlo_bf16 v58, s20, v58, 0
	v_fma_mixlo_bf16 v59, s20, v59, 0
	v_fma_mixlo_bf16 v60, s20, v60, 0
	v_fma_mixlo_bf16 v61, s20, v61, 0
	v_fma_mixlo_bf16 v62, s20, v62, 0
	v_fma_mixlo_bf16 v26, s20, v63, 0
	v_fma_mixlo_bf16 v27, s20, v27, 0
	s_and_saveexec_b32 s21, vcc_lo
	s_cbranch_execz .LBB344_472
; %bb.471:                              ;   in Loop: Header=BB344_285 Depth=1
	v_cmp_gt_i32_e64 s0, s34, v41
	s_delay_alu instid0(VALU_DEP_1) | instskip(SKIP_1) | instid1(VALU_DEP_1)
	v_cndmask_b32_e64 v62, 0, v62, s0
	v_cmp_gt_i32_e64 s0, s34, v48
	v_cndmask_b32_e64 v61, 0, v61, s0
	v_cmp_gt_i32_e64 s0, s34, v47
	s_delay_alu instid0(VALU_DEP_1) | instskip(SKIP_1) | instid1(VALU_DEP_1)
	v_cndmask_b32_e64 v60, 0, v60, s0
	v_cmp_gt_i32_e64 s0, s34, v46
	v_cndmask_b32_e64 v59, 0, v59, s0
	;; [unrolled: 5-line block ×4, first 2 shown]
.LBB344_472:                            ;   in Loop: Header=BB344_285 Depth=1
	s_or_b32 exec_lo, exec_lo, s21
	global_load_b64 v[22:23], v[22:23], off offset:768
	v_dual_mov_b32 v64, 0 :: v_dual_mov_b32 v63, 0
	s_mov_b32 s21, exec_lo
	s_wait_loadcnt 0x0
	v_and_b32_e32 v16, 0xff, v22
	s_delay_alu instid0(VALU_DEP_1)
	v_cmpx_ne_u16_e32 0, v16
	s_cbranch_execz .LBB344_478
; %bb.473:                              ;   in Loop: Header=BB344_285 Depth=1
	v_bfrev_b32_e32 v63, 1
	s_mov_b32 s22, exec_lo
	v_cmpx_ne_u16_e32 0x80, v16
	s_cbranch_execz .LBB344_477
; %bb.474:                              ;   in Loop: Header=BB344_285 Depth=1
	v_and_b32_e32 v16, 0x7f, v22
	v_mov_b32_e32 v63, 0x7f800001
	s_mov_b32 s23, exec_lo
	s_delay_alu instid0(VALU_DEP_2)
	v_cmpx_ne_u32_e32 0x7f, v16
	s_cbranch_execz .LBB344_476
; %bb.475:                              ;   in Loop: Header=BB344_285 Depth=1
	v_dual_lshrrev_b32 v25, 3, v16 :: v_dual_bitop2_b32 v24, 7, v22 bitop3:0x40
	v_cmp_gt_u32_e64 s0, 8, v16
	s_delay_alu instid0(VALU_DEP_2) | instskip(NEXT) | instid1(VALU_DEP_1)
	v_clz_i32_u32_e32 v24, v24
	v_min_u32_e32 v24, 32, v24
	s_delay_alu instid0(VALU_DEP_1) | instskip(SKIP_1) | instid1(VALU_DEP_1)
	v_subrev_nc_u32_e32 v63, 28, v24
	v_sub_nc_u32_e32 v24, 29, v24
	v_dual_cndmask_b32 v16, v25, v24, s0 :: v_dual_cndmask_b32 v24, 0, v63, s0
	s_delay_alu instid0(VALU_DEP_1) | instskip(NEXT) | instid1(VALU_DEP_2)
	v_lshl_add_u32 v16, v16, 23, 0x3c000000
	v_lshlrev_b64_e32 v[24:25], v24, v[22:23]
	v_lshlrev_b32_e32 v25, 24, v22
	s_delay_alu instid0(VALU_DEP_1) | instskip(NEXT) | instid1(VALU_DEP_3)
	v_and_b32_e32 v25, 0x80000000, v25
	v_lshlrev_b32_e32 v24, 20, v24
	s_delay_alu instid0(VALU_DEP_1) | instskip(NEXT) | instid1(VALU_DEP_1)
	v_and_b32_e32 v24, 0x700000, v24
	v_or3_b32 v63, v24, v25, v16
.LBB344_476:                            ;   in Loop: Header=BB344_285 Depth=1
	s_or_b32 exec_lo, exec_lo, s23
.LBB344_477:                            ;   in Loop: Header=BB344_285 Depth=1
	s_delay_alu instid0(SALU_CYCLE_1)
	s_or_b32 exec_lo, exec_lo, s22
.LBB344_478:                            ;   in Loop: Header=BB344_285 Depth=1
	s_delay_alu instid0(SALU_CYCLE_1) | instskip(SKIP_2) | instid1(VALU_DEP_1)
	s_or_b32 exec_lo, exec_lo, s21
	v_lshrrev_b16 v16, 8, v22
	s_mov_b32 s21, exec_lo
	v_cmpx_ne_u16_e32 0, v16
	s_cbranch_execz .LBB344_486
; %bb.479:                              ;   in Loop: Header=BB344_285 Depth=1
	v_bfrev_b32_e32 v64, 1
	s_mov_b32 s22, exec_lo
	v_cmpx_ne_u16_e32 0x80, v16
	s_cbranch_execz .LBB344_485
; %bb.480:                              ;   in Loop: Header=BB344_285 Depth=1
	v_and_b32_e32 v16, 0xffff, v16
	v_mov_b32_e32 v64, 0x7f800001
	s_mov_b32 s23, exec_lo
	s_delay_alu instid0(VALU_DEP_2) | instskip(NEXT) | instid1(VALU_DEP_1)
	v_and_b32_e32 v25, 0x7f, v16
	v_cmpx_ne_u32_e32 0x7f, v25
	s_cbranch_execz .LBB344_484
; %bb.481:                              ;   in Loop: Header=BB344_285 Depth=1
	v_dual_lshrrev_b32 v24, 3, v25 :: v_dual_bitop2_b32 v16, 7, v16 bitop3:0x40
	s_mov_b32 s24, exec_lo
	v_cmpx_gt_u32_e32 8, v25
; %bb.482:                              ;   in Loop: Header=BB344_285 Depth=1
	s_delay_alu instid0(VALU_DEP_2) | instskip(NEXT) | instid1(VALU_DEP_1)
	v_clz_i32_u32_e32 v24, v16
	v_min_u32_e32 v24, 32, v24
	s_delay_alu instid0(VALU_DEP_1) | instskip(SKIP_1) | instid1(VALU_DEP_2)
	v_subrev_nc_u32_e32 v25, 28, v24
	v_sub_nc_u32_e32 v24, 29, v24
	v_lshlrev_b64_e32 v[64:65], v25, v[16:17]
	s_delay_alu instid0(VALU_DEP_1)
	v_and_b32_e32 v16, 7, v64
; %bb.483:                              ;   in Loop: Header=BB344_285 Depth=1
	s_or_b32 exec_lo, exec_lo, s24
	s_delay_alu instid0(VALU_DEP_1) | instskip(SKIP_1) | instid1(VALU_DEP_2)
	v_dual_lshlrev_b32 v25, 16, v22 :: v_dual_lshlrev_b32 v16, 20, v16
	v_lshl_add_u32 v24, v24, 23, 0x3c000000
	v_and_b32_e32 v25, 0x80000000, v25
	s_delay_alu instid0(VALU_DEP_1)
	v_or3_b32 v64, v16, v25, v24
.LBB344_484:                            ;   in Loop: Header=BB344_285 Depth=1
	s_or_b32 exec_lo, exec_lo, s23
.LBB344_485:                            ;   in Loop: Header=BB344_285 Depth=1
	s_delay_alu instid0(SALU_CYCLE_1)
	s_or_b32 exec_lo, exec_lo, s22
.LBB344_486:                            ;   in Loop: Header=BB344_285 Depth=1
	s_delay_alu instid0(SALU_CYCLE_1) | instskip(SKIP_3) | instid1(VALU_DEP_2)
	s_or_b32 exec_lo, exec_lo, s21
	v_dual_lshrrev_b32 v24, 16, v22 :: v_dual_mov_b32 v66, 0
	v_mov_b32_e32 v65, 0
	s_mov_b32 s21, exec_lo
	v_and_b32_e32 v16, 0xff, v24
	s_delay_alu instid0(VALU_DEP_1)
	v_cmpx_ne_u16_e32 0, v16
	s_cbranch_execz .LBB344_494
; %bb.487:                              ;   in Loop: Header=BB344_285 Depth=1
	v_bfrev_b32_e32 v65, 1
	s_mov_b32 s22, exec_lo
	v_cmpx_ne_u16_e32 0x80, v16
	s_cbranch_execz .LBB344_493
; %bb.488:                              ;   in Loop: Header=BB344_285 Depth=1
	v_bfe_u32 v67, v22, 16, 7
	v_mov_b32_e32 v65, 0x7f800001
	s_mov_b32 s23, exec_lo
	s_delay_alu instid0(VALU_DEP_2)
	v_cmpx_ne_u32_e32 0x7f, v67
	s_cbranch_execz .LBB344_492
; %bb.489:                              ;   in Loop: Header=BB344_285 Depth=1
	v_dual_lshrrev_b32 v25, 3, v67 :: v_dual_bitop2_b32 v16, 7, v24 bitop3:0x40
	s_mov_b32 s24, exec_lo
	v_cmpx_gt_u32_e32 8, v67
; %bb.490:                              ;   in Loop: Header=BB344_285 Depth=1
	s_delay_alu instid0(VALU_DEP_2) | instskip(NEXT) | instid1(VALU_DEP_1)
	v_clz_i32_u32_e32 v25, v16
	v_min_u32_e32 v25, 32, v25
	s_delay_alu instid0(VALU_DEP_1) | instskip(NEXT) | instid1(VALU_DEP_1)
	v_subrev_nc_u32_e32 v65, 28, v25
	v_lshlrev_b64_e32 v[68:69], v65, v[16:17]
	s_delay_alu instid0(VALU_DEP_1)
	v_dual_sub_nc_u32 v25, 29, v25 :: v_dual_bitop2_b32 v16, 7, v68 bitop3:0x40
; %bb.491:                              ;   in Loop: Header=BB344_285 Depth=1
	s_or_b32 exec_lo, exec_lo, s24
	v_lshlrev_b32_e32 v24, 24, v24
	s_delay_alu instid0(VALU_DEP_2) | instskip(NEXT) | instid1(VALU_DEP_3)
	v_lshlrev_b32_e32 v16, 20, v16
	v_lshl_add_u32 v25, v25, 23, 0x3c000000
	s_delay_alu instid0(VALU_DEP_3) | instskip(NEXT) | instid1(VALU_DEP_1)
	v_and_b32_e32 v24, 0x80000000, v24
	v_or3_b32 v65, v16, v24, v25
.LBB344_492:                            ;   in Loop: Header=BB344_285 Depth=1
	s_or_b32 exec_lo, exec_lo, s23
.LBB344_493:                            ;   in Loop: Header=BB344_285 Depth=1
	s_delay_alu instid0(SALU_CYCLE_1)
	s_or_b32 exec_lo, exec_lo, s22
.LBB344_494:                            ;   in Loop: Header=BB344_285 Depth=1
	s_delay_alu instid0(SALU_CYCLE_1) | instskip(NEXT) | instid1(SALU_CYCLE_1)
	s_or_b32 exec_lo, exec_lo, s21
	s_mov_b32 s21, exec_lo
	v_cmpx_lt_u32_e32 0xffffff, v22
	s_cbranch_execz .LBB344_502
; %bb.495:                              ;   in Loop: Header=BB344_285 Depth=1
	v_lshrrev_b32_e32 v24, 24, v22
	v_bfrev_b32_e32 v66, 1
	s_mov_b32 s22, exec_lo
	s_delay_alu instid0(VALU_DEP_2)
	v_cmpx_ne_u32_e32 0x80, v24
	s_cbranch_execz .LBB344_501
; %bb.496:                              ;   in Loop: Header=BB344_285 Depth=1
	v_bfe_u32 v67, v22, 24, 7
	v_mov_b32_e32 v66, 0x7f800001
	s_mov_b32 s23, exec_lo
	s_delay_alu instid0(VALU_DEP_2)
	v_cmpx_ne_u32_e32 0x7f, v67
	s_cbranch_execz .LBB344_500
; %bb.497:                              ;   in Loop: Header=BB344_285 Depth=1
	v_dual_lshrrev_b32 v25, 3, v67 :: v_dual_bitop2_b32 v16, 7, v24 bitop3:0x40
	s_mov_b32 s24, exec_lo
	v_cmpx_gt_u32_e32 8, v67
; %bb.498:                              ;   in Loop: Header=BB344_285 Depth=1
	s_delay_alu instid0(VALU_DEP_2) | instskip(NEXT) | instid1(VALU_DEP_1)
	v_clz_i32_u32_e32 v25, v16
	v_min_u32_e32 v25, 32, v25
	s_delay_alu instid0(VALU_DEP_1) | instskip(NEXT) | instid1(VALU_DEP_1)
	v_subrev_nc_u32_e32 v66, 28, v25
	v_lshlrev_b64_e32 v[66:67], v66, v[16:17]
	s_delay_alu instid0(VALU_DEP_1)
	v_dual_sub_nc_u32 v25, 29, v25 :: v_dual_bitop2_b32 v16, 7, v66 bitop3:0x40
; %bb.499:                              ;   in Loop: Header=BB344_285 Depth=1
	s_or_b32 exec_lo, exec_lo, s24
	v_lshlrev_b32_e32 v24, 24, v24
	s_delay_alu instid0(VALU_DEP_2) | instskip(NEXT) | instid1(VALU_DEP_3)
	v_lshlrev_b32_e32 v16, 20, v16
	v_lshl_add_u32 v25, v25, 23, 0x3c000000
	s_delay_alu instid0(VALU_DEP_3) | instskip(NEXT) | instid1(VALU_DEP_1)
	v_and_b32_e32 v24, 0x80000000, v24
	v_or3_b32 v66, v16, v24, v25
.LBB344_500:                            ;   in Loop: Header=BB344_285 Depth=1
	s_or_b32 exec_lo, exec_lo, s23
.LBB344_501:                            ;   in Loop: Header=BB344_285 Depth=1
	s_delay_alu instid0(SALU_CYCLE_1)
	s_or_b32 exec_lo, exec_lo, s22
.LBB344_502:                            ;   in Loop: Header=BB344_285 Depth=1
	s_delay_alu instid0(SALU_CYCLE_1) | instskip(SKIP_4) | instid1(VALU_DEP_3)
	s_or_b32 exec_lo, exec_lo, s21
	v_and_b32_e32 v25, 0xff, v23
	v_dual_mov_b32 v16, v23 :: v_dual_mov_b32 v24, 0
	v_mov_b32_e32 v67, 0
	s_mov_b32 s21, exec_lo
	v_cmpx_ne_u16_e32 0, v25
	s_cbranch_execz .LBB344_508
; %bb.503:                              ;   in Loop: Header=BB344_285 Depth=1
	v_bfrev_b32_e32 v67, 1
	s_mov_b32 s22, exec_lo
	v_cmpx_ne_u16_e32 0x80, v25
	s_cbranch_execz .LBB344_507
; %bb.504:                              ;   in Loop: Header=BB344_285 Depth=1
	v_and_b32_e32 v25, 0x7f, v23
	v_mov_b32_e32 v67, 0x7f800001
	s_mov_b32 s23, exec_lo
	s_delay_alu instid0(VALU_DEP_2)
	v_cmpx_ne_u32_e32 0x7f, v25
	s_cbranch_execz .LBB344_506
; %bb.505:                              ;   in Loop: Header=BB344_285 Depth=1
	v_dual_lshrrev_b32 v68, 3, v25 :: v_dual_bitop2_b32 v67, 7, v23 bitop3:0x40
	v_cmp_gt_u32_e64 s0, 8, v25
	s_delay_alu instid0(VALU_DEP_2) | instskip(NEXT) | instid1(VALU_DEP_1)
	v_clz_i32_u32_e32 v67, v67
	v_min_u32_e32 v67, 32, v67
	s_delay_alu instid0(VALU_DEP_1) | instskip(SKIP_1) | instid1(VALU_DEP_1)
	v_subrev_nc_u32_e32 v69, 28, v67
	v_sub_nc_u32_e32 v67, 29, v67
	v_dual_cndmask_b32 v25, v68, v67, s0 :: v_dual_cndmask_b32 v67, 0, v69, s0
	s_delay_alu instid0(VALU_DEP_1) | instskip(NEXT) | instid1(VALU_DEP_2)
	v_lshl_add_u32 v25, v25, 23, 0x3c000000
	v_lshlrev_b64_e32 v[68:69], v67, v[16:17]
	v_lshlrev_b32_e32 v67, 24, v16
	s_delay_alu instid0(VALU_DEP_1) | instskip(NEXT) | instid1(VALU_DEP_3)
	v_and_b32_e32 v67, 0x80000000, v67
	v_lshlrev_b32_e32 v68, 20, v68
	s_delay_alu instid0(VALU_DEP_1) | instskip(NEXT) | instid1(VALU_DEP_1)
	v_and_b32_e32 v68, 0x700000, v68
	v_or3_b32 v67, v68, v67, v25
.LBB344_506:                            ;   in Loop: Header=BB344_285 Depth=1
	s_or_b32 exec_lo, exec_lo, s23
.LBB344_507:                            ;   in Loop: Header=BB344_285 Depth=1
	s_delay_alu instid0(SALU_CYCLE_1)
	s_or_b32 exec_lo, exec_lo, s22
.LBB344_508:                            ;   in Loop: Header=BB344_285 Depth=1
	s_delay_alu instid0(SALU_CYCLE_1) | instskip(SKIP_2) | instid1(VALU_DEP_1)
	s_or_b32 exec_lo, exec_lo, s21
	v_lshrrev_b16 v25, 8, v16
	s_mov_b32 s21, exec_lo
	v_cmpx_ne_u16_e32 0, v25
	s_cbranch_execz .LBB344_516
; %bb.509:                              ;   in Loop: Header=BB344_285 Depth=1
	v_bfrev_b32_e32 v24, 1
	s_mov_b32 s22, exec_lo
	v_cmpx_ne_u16_e32 0x80, v25
	s_cbranch_execz .LBB344_515
; %bb.510:                              ;   in Loop: Header=BB344_285 Depth=1
	v_and_b32_e32 v25, 0xffff, v25
	v_mov_b32_e32 v24, 0x7f800001
	s_mov_b32 s23, exec_lo
	s_delay_alu instid0(VALU_DEP_2) | instskip(NEXT) | instid1(VALU_DEP_1)
	v_and_b32_e32 v69, 0x7f, v25
	v_cmpx_ne_u32_e32 0x7f, v69
	s_cbranch_execz .LBB344_514
; %bb.511:                              ;   in Loop: Header=BB344_285 Depth=1
	v_dual_mov_b32 v25, v17 :: v_dual_bitop2_b32 v24, 7, v25 bitop3:0x40
	v_lshrrev_b32_e32 v68, 3, v69
	s_mov_b32 s24, exec_lo
	v_cmpx_gt_u32_e32 8, v69
; %bb.512:                              ;   in Loop: Header=BB344_285 Depth=1
	s_delay_alu instid0(VALU_DEP_3) | instskip(NEXT) | instid1(VALU_DEP_1)
	v_clz_i32_u32_e32 v68, v24
	v_min_u32_e32 v68, 32, v68
	s_delay_alu instid0(VALU_DEP_1) | instskip(SKIP_1) | instid1(VALU_DEP_2)
	v_subrev_nc_u32_e32 v69, 28, v68
	v_sub_nc_u32_e32 v68, 29, v68
	v_lshlrev_b64_e32 v[24:25], v69, v[24:25]
	s_delay_alu instid0(VALU_DEP_1)
	v_and_b32_e32 v24, 7, v24
; %bb.513:                              ;   in Loop: Header=BB344_285 Depth=1
	s_or_b32 exec_lo, exec_lo, s24
	v_lshlrev_b32_e32 v16, 16, v16
	s_delay_alu instid0(VALU_DEP_2) | instskip(SKIP_1) | instid1(VALU_DEP_3)
	v_lshlrev_b32_e32 v24, 20, v24
	v_lshl_add_u32 v25, v68, 23, 0x3c000000
	v_and_b32_e32 v16, 0x80000000, v16
	s_delay_alu instid0(VALU_DEP_1)
	v_or3_b32 v24, v24, v16, v25
.LBB344_514:                            ;   in Loop: Header=BB344_285 Depth=1
	s_or_b32 exec_lo, exec_lo, s23
.LBB344_515:                            ;   in Loop: Header=BB344_285 Depth=1
	s_delay_alu instid0(SALU_CYCLE_1)
	s_or_b32 exec_lo, exec_lo, s22
.LBB344_516:                            ;   in Loop: Header=BB344_285 Depth=1
	s_delay_alu instid0(SALU_CYCLE_1) | instskip(SKIP_3) | instid1(VALU_DEP_2)
	s_or_b32 exec_lo, exec_lo, s21
	v_dual_lshrrev_b32 v69, 16, v23 :: v_dual_mov_b32 v25, 0
	v_mov_b32_e32 v68, 0
	s_mov_b32 s21, exec_lo
	v_and_b32_e32 v16, 0xff, v69
	s_delay_alu instid0(VALU_DEP_1)
	v_cmpx_ne_u16_e32 0, v16
	s_cbranch_execz .LBB344_524
; %bb.517:                              ;   in Loop: Header=BB344_285 Depth=1
	v_bfrev_b32_e32 v68, 1
	s_mov_b32 s22, exec_lo
	v_cmpx_ne_u16_e32 0x80, v16
	s_cbranch_execz .LBB344_523
; %bb.518:                              ;   in Loop: Header=BB344_285 Depth=1
	v_bfe_u32 v70, v23, 16, 7
	v_mov_b32_e32 v68, 0x7f800001
	s_mov_b32 s23, exec_lo
	s_delay_alu instid0(VALU_DEP_2)
	v_cmpx_ne_u32_e32 0x7f, v70
	s_cbranch_execz .LBB344_522
; %bb.519:                              ;   in Loop: Header=BB344_285 Depth=1
	v_dual_lshrrev_b32 v68, 3, v70 :: v_dual_bitop2_b32 v16, 7, v69 bitop3:0x40
	s_mov_b32 s24, exec_lo
	v_cmpx_gt_u32_e32 8, v70
; %bb.520:                              ;   in Loop: Header=BB344_285 Depth=1
	s_delay_alu instid0(VALU_DEP_2) | instskip(NEXT) | instid1(VALU_DEP_1)
	v_clz_i32_u32_e32 v68, v16
	v_min_u32_e32 v68, 32, v68
	s_delay_alu instid0(VALU_DEP_1) | instskip(NEXT) | instid1(VALU_DEP_1)
	v_subrev_nc_u32_e32 v70, 28, v68
	v_lshlrev_b64_e32 v[70:71], v70, v[16:17]
	s_delay_alu instid0(VALU_DEP_1)
	v_dual_sub_nc_u32 v68, 29, v68 :: v_dual_bitop2_b32 v16, 7, v70 bitop3:0x40
; %bb.521:                              ;   in Loop: Header=BB344_285 Depth=1
	s_or_b32 exec_lo, exec_lo, s24
	s_delay_alu instid0(VALU_DEP_1) | instskip(NEXT) | instid1(VALU_DEP_2)
	v_dual_lshlrev_b32 v69, 24, v69 :: v_dual_lshlrev_b32 v16, 20, v16
	v_lshl_add_u32 v68, v68, 23, 0x3c000000
	s_delay_alu instid0(VALU_DEP_2) | instskip(NEXT) | instid1(VALU_DEP_1)
	v_and_b32_e32 v69, 0x80000000, v69
	v_or3_b32 v68, v16, v69, v68
.LBB344_522:                            ;   in Loop: Header=BB344_285 Depth=1
	s_or_b32 exec_lo, exec_lo, s23
.LBB344_523:                            ;   in Loop: Header=BB344_285 Depth=1
	s_delay_alu instid0(SALU_CYCLE_1)
	s_or_b32 exec_lo, exec_lo, s22
.LBB344_524:                            ;   in Loop: Header=BB344_285 Depth=1
	s_delay_alu instid0(SALU_CYCLE_1) | instskip(NEXT) | instid1(SALU_CYCLE_1)
	s_or_b32 exec_lo, exec_lo, s21
	s_mov_b32 s21, exec_lo
	v_cmpx_lt_u64_e64 s[2:3], v[22:23]
	s_cbranch_execz .LBB344_532
; %bb.525:                              ;   in Loop: Header=BB344_285 Depth=1
	v_lshrrev_b32_e32 v22, 24, v23
	v_bfrev_b32_e32 v25, 1
	s_mov_b32 s22, exec_lo
	s_delay_alu instid0(VALU_DEP_2)
	v_cmpx_ne_u32_e32 0x80, v22
	s_cbranch_execz .LBB344_531
; %bb.526:                              ;   in Loop: Header=BB344_285 Depth=1
	v_bfe_u32 v69, v23, 24, 7
	v_mov_b32_e32 v25, 0x7f800001
	s_mov_b32 s23, exec_lo
	s_delay_alu instid0(VALU_DEP_2)
	v_cmpx_ne_u32_e32 0x7f, v69
	s_cbranch_execz .LBB344_530
; %bb.527:                              ;   in Loop: Header=BB344_285 Depth=1
	v_dual_lshrrev_b32 v23, 3, v69 :: v_dual_bitop2_b32 v16, 7, v22 bitop3:0x40
	s_mov_b32 s24, exec_lo
	v_cmpx_gt_u32_e32 8, v69
; %bb.528:                              ;   in Loop: Header=BB344_285 Depth=1
	s_delay_alu instid0(VALU_DEP_2) | instskip(NEXT) | instid1(VALU_DEP_1)
	v_clz_i32_u32_e32 v23, v16
	v_min_u32_e32 v23, 32, v23
	s_delay_alu instid0(VALU_DEP_1) | instskip(NEXT) | instid1(VALU_DEP_1)
	v_subrev_nc_u32_e32 v25, 28, v23
	v_lshlrev_b64_e32 v[70:71], v25, v[16:17]
	s_delay_alu instid0(VALU_DEP_1)
	v_dual_sub_nc_u32 v23, 29, v23 :: v_dual_bitop2_b32 v16, 7, v70 bitop3:0x40
; %bb.529:                              ;   in Loop: Header=BB344_285 Depth=1
	s_or_b32 exec_lo, exec_lo, s24
	s_delay_alu instid0(VALU_DEP_1) | instskip(NEXT) | instid1(VALU_DEP_2)
	v_dual_lshlrev_b32 v22, 24, v22 :: v_dual_lshlrev_b32 v16, 20, v16
	v_lshl_add_u32 v23, v23, 23, 0x3c000000
	s_delay_alu instid0(VALU_DEP_2) | instskip(NEXT) | instid1(VALU_DEP_1)
	v_and_b32_e32 v22, 0x80000000, v22
	v_or3_b32 v25, v16, v22, v23
.LBB344_530:                            ;   in Loop: Header=BB344_285 Depth=1
	s_or_b32 exec_lo, exec_lo, s23
.LBB344_531:                            ;   in Loop: Header=BB344_285 Depth=1
	s_delay_alu instid0(SALU_CYCLE_1)
	s_or_b32 exec_lo, exec_lo, s22
.LBB344_532:                            ;   in Loop: Header=BB344_285 Depth=1
	s_delay_alu instid0(SALU_CYCLE_1)
	s_or_b32 exec_lo, exec_lo, s21
	v_fma_mixlo_bf16 v16, s20, v24, 0
	v_fma_mixlo_bf16 v22, s20, v67, 0
	;; [unrolled: 1-line block ×8, first 2 shown]
	s_and_saveexec_b32 s0, vcc_lo
	s_cbranch_execz .LBB344_283
; %bb.533:                              ;   in Loop: Header=BB344_285 Depth=1
	v_cmp_gt_i32_e32 vcc_lo, s34, v41
	v_cndmask_b32_e32 v63, 0, v63, vcc_lo
	v_cmp_gt_i32_e32 vcc_lo, s34, v48
	v_cndmask_b32_e32 v64, 0, v64, vcc_lo
	;; [unrolled: 2-line block ×8, first 2 shown]
	s_branch .LBB344_283
.LBB344_534:
	s_or_b32 exec_lo, exec_lo, s14
.LBB344_535:
	s_delay_alu instid0(SALU_CYCLE_1)
	s_or_b32 exec_lo, exec_lo, s1
	ds_bpermute_b32 v2, v28, v14
	ds_bpermute_b32 v3, v28, v15
	ds_bpermute_b32 v4, v28, v12
	ds_bpermute_b32 v5, v28, v13
	v_and_b32_e32 v9, 0x3c3, v0
	v_and_b32_e32 v8, 28, v78
	s_mov_b32 s0, exec_lo
	s_wait_dscnt 0x0
	s_barrier_signal -1
	s_barrier_wait -1
	v_pk_add_f32 v[2:3], v[14:15], v[2:3]
	v_pk_add_f32 v[4:5], v[12:13], v[4:5]
	ds_bpermute_b32 v10, v29, v2
	ds_bpermute_b32 v11, v29, v3
	ds_bpermute_b32 v6, v29, v4
	ds_bpermute_b32 v7, v29, v5
	s_wait_dscnt 0x2
	v_pk_add_f32 v[2:3], v[2:3], v[10:11]
	v_cmpx_ne_u32_e32 64, v9
	s_xor_b32 s0, exec_lo, s0
; %bb.536:
                                        ; implicit-def: $vgpr1
; %bb.537:
	s_delay_alu instid0(SALU_CYCLE_1)
	s_or_saveexec_b32 s0, s0
	s_wait_dscnt 0x0
	v_pk_add_f32 v[4:5], v[4:5], v[6:7]
	v_lshrrev_b32_e32 v7, 2, v78
	v_add_nc_u32_e32 v6, 0x60, v8
	s_xor_b32 exec_lo, exec_lo, s0
	s_cbranch_execz .LBB344_539
; %bb.538:
	s_delay_alu instid0(VALU_DEP_1) | instskip(NEXT) | instid1(VALU_DEP_1)
	v_lshl_add_u32 v1, v1, 7, v6
	v_add_nc_u32_e32 v8, 0xffffff00, v1
	v_add_nc_u32_e32 v9, 0xffffff20, v1
	;; [unrolled: 1-line block ×4, first 2 shown]
	ds_store_b32 v8, v2
	ds_store_b32 v9, v3
	;; [unrolled: 1-line block ×4, first 2 shown]
.LBB344_539:
	s_or_b32 exec_lo, exec_lo, s0
	v_and_b32_e32 v1, 0x3e0, v0
	v_lshlrev_b32_e32 v7, 2, v7
	s_mov_b32 s1, exec_lo
	v_cmp_eq_u32_e32 vcc_lo, 0, v30
	s_wait_dscnt 0x0
	v_lshlrev_b32_e32 v1, 2, v1
	s_barrier_signal -1
	s_barrier_wait -1
	s_delay_alu instid0(VALU_DEP_1)
	v_add3_u32 v1, 0x60, v1, v7
	v_cmpx_gt_u32_e32 64, v0
	s_cbranch_execz .LBB344_546
; %bb.540:
	s_and_saveexec_b32 s0, vcc_lo
	s_cbranch_execnz .LBB344_558
; %bb.541:
	s_or_b32 exec_lo, exec_lo, s0
	s_and_saveexec_b32 s0, vcc_lo
	s_cbranch_execnz .LBB344_559
.LBB344_542:
	s_or_b32 exec_lo, exec_lo, s0
	s_and_saveexec_b32 s0, vcc_lo
	s_cbranch_execnz .LBB344_560
.LBB344_543:
	s_or_b32 exec_lo, exec_lo, s0
	s_and_saveexec_b32 s0, vcc_lo
	s_cbranch_execz .LBB344_545
.LBB344_544:
	ds_load_b32 v7, v1 offset:96
	s_wait_dscnt 0x0
	v_add_f32_e32 v5, v5, v7
.LBB344_545:
	s_or_b32 exec_lo, exec_lo, s0
.LBB344_546:
	s_delay_alu instid0(SALU_CYCLE_1) | instskip(SKIP_4) | instid1(VALU_DEP_1)
	s_or_b32 exec_lo, exec_lo, s1
	v_and_b32_e32 v7, 0x3e3, v0
	s_mov_b32 s1, exec_lo
	s_barrier_signal -1
	s_barrier_wait -1
	v_cmpx_eq_u32_e32 32, v7
	s_cbranch_execz .LBB344_548
; %bb.547:
	ds_store_2addr_b32 v6, v2, v3 offset1:8
	ds_store_2addr_b32 v6, v4, v5 offset0:16 offset1:24
.LBB344_548:
	s_or_b32 exec_lo, exec_lo, s1
	s_delay_alu instid0(SALU_CYCLE_1)
	s_mov_b32 s1, exec_lo
	s_wait_dscnt 0x0
	s_barrier_signal -1
	s_barrier_wait -1
	v_cmpx_gt_u32_e32 32, v0
	s_cbranch_execz .LBB344_555
; %bb.549:
	s_and_saveexec_b32 s0, vcc_lo
	s_cbranch_execnz .LBB344_561
; %bb.550:
	s_or_b32 exec_lo, exec_lo, s0
	s_and_saveexec_b32 s0, vcc_lo
	s_cbranch_execnz .LBB344_562
.LBB344_551:
	s_or_b32 exec_lo, exec_lo, s0
	s_and_saveexec_b32 s0, vcc_lo
	s_cbranch_execnz .LBB344_563
.LBB344_552:
	s_or_b32 exec_lo, exec_lo, s0
	s_and_saveexec_b32 s0, vcc_lo
	s_cbranch_execz .LBB344_554
.LBB344_553:
	ds_load_b32 v1, v1 offset:96
	s_wait_dscnt 0x0
	v_add_f32_e32 v5, v5, v1
.LBB344_554:
	s_or_b32 exec_lo, exec_lo, s0
.LBB344_555:
	s_delay_alu instid0(SALU_CYCLE_1)
	s_or_b32 exec_lo, exec_lo, s1
	s_mov_b32 s1, 0
	s_barrier_signal -1
	s_barrier_wait -1
	s_mov_b32 s0, exec_lo
	v_cmpx_eq_u32_e32 0, v7
	s_cbranch_execz .LBB344_557
; %bb.556:
	s_mul_i32 s0, s33, s7
	s_mul_i32 s2, s7, s16
	;; [unrolled: 1-line block ×3, first 2 shown]
	s_lshr_b32 s6, ttmp7, 16
	s_lshl_b32 s4, s0, 5
	s_bfe_u32 s0, ttmp6, 0x40014
	s_ashr_i32 s5, s4, 31
	s_add_co_i32 s0, s0, 1
	s_ashr_i32 s3, s2, 31
	s_mul_i32 s0, s6, s0
	s_bfe_u32 s7, ttmp6, 0x40008
	s_lshl_b64 s[4:5], s[4:5], 1
	s_lshl_b64 s[2:3], s[2:3], 1
	s_add_co_i32 s7, s7, s0
	s_cmp_eq_u32 s30, 0
	s_wait_kmcnt 0x0
	s_add_nc_u64 s[4:5], s[8:9], s[4:5]
	s_cselect_b32 s0, s6, s7
	s_add_nc_u64 s[2:3], s[4:5], s[2:3]
	s_lshl_b32 s0, s0, 6
	v_lshrrev_b32_e32 v0, 1, v0
	s_add_nc_u64 s[0:1], s[2:3], s[0:1]
	s_delay_alu instid0(SALU_CYCLE_1)
	v_cvt_pk_bf16_f32 v1, v2, s0
	v_cvt_pk_bf16_f32 v2, v3, s0
	;; [unrolled: 1-line block ×4, first 2 shown]
	s_clause 0x3
	global_store_b16 v0, v1, s[0:1]
	global_store_b16 v0, v2, s[0:1] offset:16
	global_store_b16 v0, v3, s[0:1] offset:32
	;; [unrolled: 1-line block ×3, first 2 shown]
.LBB344_557:
	s_sendmsg sendmsg(MSG_DEALLOC_VGPRS)
	s_endpgm
.LBB344_558:
	ds_load_b32 v7, v1
	s_wait_dscnt 0x0
	v_add_f32_e32 v2, v2, v7
	s_or_b32 exec_lo, exec_lo, s0
	s_and_saveexec_b32 s0, vcc_lo
	s_cbranch_execz .LBB344_542
.LBB344_559:
	ds_load_b32 v7, v1 offset:32
	s_wait_dscnt 0x0
	v_add_f32_e32 v3, v3, v7
	s_or_b32 exec_lo, exec_lo, s0
	s_and_saveexec_b32 s0, vcc_lo
	s_cbranch_execz .LBB344_543
.LBB344_560:
	ds_load_b32 v7, v1 offset:64
	s_wait_dscnt 0x0
	v_add_f32_e32 v4, v4, v7
	s_or_b32 exec_lo, exec_lo, s0
	s_and_saveexec_b32 s0, vcc_lo
	s_cbranch_execnz .LBB344_544
	s_branch .LBB344_545
.LBB344_561:
	ds_load_b32 v6, v1
	s_wait_dscnt 0x0
	v_add_f32_e32 v2, v2, v6
	s_or_b32 exec_lo, exec_lo, s0
	s_and_saveexec_b32 s0, vcc_lo
	s_cbranch_execz .LBB344_551
.LBB344_562:
	ds_load_b32 v6, v1 offset:32
	s_wait_dscnt 0x0
	v_add_f32_e32 v3, v3, v6
	s_or_b32 exec_lo, exec_lo, s0
	s_and_saveexec_b32 s0, vcc_lo
	s_cbranch_execz .LBB344_552
.LBB344_563:
	ds_load_b32 v6, v1 offset:64
	s_wait_dscnt 0x0
	v_add_f32_e32 v4, v4, v6
	s_or_b32 exec_lo, exec_lo, s0
	s_and_saveexec_b32 s0, vcc_lo
	s_cbranch_execnz .LBB344_553
	s_branch .LBB344_554
	.section	.rodata,"a",@progbits
	.p2align	6, 0x0
	.amdhsa_kernel _ZN4vllm25paged_attention_v1_kernelI14__hip_bfloat16hLi32ELi32ELi128ELNS_18Fp8KVCacheDataTypeE1ELb1EEEvPT_PKS3_PKT0_S9_ifPKiSB_iPKfiiiSD_SD_iiiii
		.amdhsa_group_segment_fixed_size 96
		.amdhsa_private_segment_fixed_size 0
		.amdhsa_kernarg_size 384
		.amdhsa_user_sgpr_count 2
		.amdhsa_user_sgpr_dispatch_ptr 0
		.amdhsa_user_sgpr_queue_ptr 0
		.amdhsa_user_sgpr_kernarg_segment_ptr 1
		.amdhsa_user_sgpr_dispatch_id 0
		.amdhsa_user_sgpr_kernarg_preload_length 0
		.amdhsa_user_sgpr_kernarg_preload_offset 0
		.amdhsa_user_sgpr_private_segment_size 0
		.amdhsa_wavefront_size32 1
		.amdhsa_uses_dynamic_stack 0
		.amdhsa_enable_private_segment 0
		.amdhsa_system_sgpr_workgroup_id_x 1
		.amdhsa_system_sgpr_workgroup_id_y 1
		.amdhsa_system_sgpr_workgroup_id_z 1
		.amdhsa_system_sgpr_workgroup_info 0
		.amdhsa_system_vgpr_workitem_id 0
		.amdhsa_next_free_vgpr 88
		.amdhsa_next_free_sgpr 47
		.amdhsa_named_barrier_count 0
		.amdhsa_reserve_vcc 1
		.amdhsa_float_round_mode_32 0
		.amdhsa_float_round_mode_16_64 0
		.amdhsa_float_denorm_mode_32 3
		.amdhsa_float_denorm_mode_16_64 3
		.amdhsa_fp16_overflow 0
		.amdhsa_memory_ordered 1
		.amdhsa_forward_progress 1
		.amdhsa_inst_pref_size 165
		.amdhsa_round_robin_scheduling 0
		.amdhsa_exception_fp_ieee_invalid_op 0
		.amdhsa_exception_fp_denorm_src 0
		.amdhsa_exception_fp_ieee_div_zero 0
		.amdhsa_exception_fp_ieee_overflow 0
		.amdhsa_exception_fp_ieee_underflow 0
		.amdhsa_exception_fp_ieee_inexact 0
		.amdhsa_exception_int_div_zero 0
	.end_amdhsa_kernel
	.section	.text._ZN4vllm25paged_attention_v1_kernelI14__hip_bfloat16hLi32ELi32ELi128ELNS_18Fp8KVCacheDataTypeE1ELb1EEEvPT_PKS3_PKT0_S9_ifPKiSB_iPKfiiiSD_SD_iiiii,"axG",@progbits,_ZN4vllm25paged_attention_v1_kernelI14__hip_bfloat16hLi32ELi32ELi128ELNS_18Fp8KVCacheDataTypeE1ELb1EEEvPT_PKS3_PKT0_S9_ifPKiSB_iPKfiiiSD_SD_iiiii,comdat
.Lfunc_end344:
	.size	_ZN4vllm25paged_attention_v1_kernelI14__hip_bfloat16hLi32ELi32ELi128ELNS_18Fp8KVCacheDataTypeE1ELb1EEEvPT_PKS3_PKT0_S9_ifPKiSB_iPKfiiiSD_SD_iiiii, .Lfunc_end344-_ZN4vllm25paged_attention_v1_kernelI14__hip_bfloat16hLi32ELi32ELi128ELNS_18Fp8KVCacheDataTypeE1ELb1EEEvPT_PKS3_PKT0_S9_ifPKiSB_iPKfiiiSD_SD_iiiii
                                        ; -- End function
	.set _ZN4vllm25paged_attention_v1_kernelI14__hip_bfloat16hLi32ELi32ELi128ELNS_18Fp8KVCacheDataTypeE1ELb1EEEvPT_PKS3_PKT0_S9_ifPKiSB_iPKfiiiSD_SD_iiiii.num_vgpr, 88
	.set _ZN4vllm25paged_attention_v1_kernelI14__hip_bfloat16hLi32ELi32ELi128ELNS_18Fp8KVCacheDataTypeE1ELb1EEEvPT_PKS3_PKT0_S9_ifPKiSB_iPKfiiiSD_SD_iiiii.num_agpr, 0
	.set _ZN4vllm25paged_attention_v1_kernelI14__hip_bfloat16hLi32ELi32ELi128ELNS_18Fp8KVCacheDataTypeE1ELb1EEEvPT_PKS3_PKT0_S9_ifPKiSB_iPKfiiiSD_SD_iiiii.numbered_sgpr, 47
	.set _ZN4vllm25paged_attention_v1_kernelI14__hip_bfloat16hLi32ELi32ELi128ELNS_18Fp8KVCacheDataTypeE1ELb1EEEvPT_PKS3_PKT0_S9_ifPKiSB_iPKfiiiSD_SD_iiiii.num_named_barrier, 0
	.set _ZN4vllm25paged_attention_v1_kernelI14__hip_bfloat16hLi32ELi32ELi128ELNS_18Fp8KVCacheDataTypeE1ELb1EEEvPT_PKS3_PKT0_S9_ifPKiSB_iPKfiiiSD_SD_iiiii.private_seg_size, 0
	.set _ZN4vllm25paged_attention_v1_kernelI14__hip_bfloat16hLi32ELi32ELi128ELNS_18Fp8KVCacheDataTypeE1ELb1EEEvPT_PKS3_PKT0_S9_ifPKiSB_iPKfiiiSD_SD_iiiii.uses_vcc, 1
	.set _ZN4vllm25paged_attention_v1_kernelI14__hip_bfloat16hLi32ELi32ELi128ELNS_18Fp8KVCacheDataTypeE1ELb1EEEvPT_PKS3_PKT0_S9_ifPKiSB_iPKfiiiSD_SD_iiiii.uses_flat_scratch, 0
	.set _ZN4vllm25paged_attention_v1_kernelI14__hip_bfloat16hLi32ELi32ELi128ELNS_18Fp8KVCacheDataTypeE1ELb1EEEvPT_PKS3_PKT0_S9_ifPKiSB_iPKfiiiSD_SD_iiiii.has_dyn_sized_stack, 0
	.set _ZN4vllm25paged_attention_v1_kernelI14__hip_bfloat16hLi32ELi32ELi128ELNS_18Fp8KVCacheDataTypeE1ELb1EEEvPT_PKS3_PKT0_S9_ifPKiSB_iPKfiiiSD_SD_iiiii.has_recursion, 0
	.set _ZN4vllm25paged_attention_v1_kernelI14__hip_bfloat16hLi32ELi32ELi128ELNS_18Fp8KVCacheDataTypeE1ELb1EEEvPT_PKS3_PKT0_S9_ifPKiSB_iPKfiiiSD_SD_iiiii.has_indirect_call, 0
	.section	.AMDGPU.csdata,"",@progbits
; Kernel info:
; codeLenInByte = 21072
; TotalNumSgprs: 49
; NumVgprs: 88
; ScratchSize: 0
; MemoryBound: 0
; FloatMode: 240
; IeeeMode: 1
; LDSByteSize: 96 bytes/workgroup (compile time only)
; SGPRBlocks: 0
; VGPRBlocks: 5
; NumSGPRsForWavesPerEU: 49
; NumVGPRsForWavesPerEU: 88
; NamedBarCnt: 0
; Occupancy: 10
; WaveLimiterHint : 1
; COMPUTE_PGM_RSRC2:SCRATCH_EN: 0
; COMPUTE_PGM_RSRC2:USER_SGPR: 2
; COMPUTE_PGM_RSRC2:TRAP_HANDLER: 0
; COMPUTE_PGM_RSRC2:TGID_X_EN: 1
; COMPUTE_PGM_RSRC2:TGID_Y_EN: 1
; COMPUTE_PGM_RSRC2:TGID_Z_EN: 1
; COMPUTE_PGM_RSRC2:TIDIG_COMP_CNT: 0
	.section	.text._ZN4vllm25paged_attention_v1_kernelI14__hip_bfloat16hLi64ELi32ELi128ELNS_18Fp8KVCacheDataTypeE1ELb1EEEvPT_PKS3_PKT0_S9_ifPKiSB_iPKfiiiSD_SD_iiiii,"axG",@progbits,_ZN4vllm25paged_attention_v1_kernelI14__hip_bfloat16hLi64ELi32ELi128ELNS_18Fp8KVCacheDataTypeE1ELb1EEEvPT_PKS3_PKT0_S9_ifPKiSB_iPKfiiiSD_SD_iiiii,comdat
	.protected	_ZN4vllm25paged_attention_v1_kernelI14__hip_bfloat16hLi64ELi32ELi128ELNS_18Fp8KVCacheDataTypeE1ELb1EEEvPT_PKS3_PKT0_S9_ifPKiSB_iPKfiiiSD_SD_iiiii ; -- Begin function _ZN4vllm25paged_attention_v1_kernelI14__hip_bfloat16hLi64ELi32ELi128ELNS_18Fp8KVCacheDataTypeE1ELb1EEEvPT_PKS3_PKT0_S9_ifPKiSB_iPKfiiiSD_SD_iiiii
	.globl	_ZN4vllm25paged_attention_v1_kernelI14__hip_bfloat16hLi64ELi32ELi128ELNS_18Fp8KVCacheDataTypeE1ELb1EEEvPT_PKS3_PKT0_S9_ifPKiSB_iPKfiiiSD_SD_iiiii
	.p2align	8
	.type	_ZN4vllm25paged_attention_v1_kernelI14__hip_bfloat16hLi64ELi32ELi128ELNS_18Fp8KVCacheDataTypeE1ELb1EEEvPT_PKS3_PKT0_S9_ifPKiSB_iPKfiiiSD_SD_iiiii,@function
_ZN4vllm25paged_attention_v1_kernelI14__hip_bfloat16hLi64ELi32ELi128ELNS_18Fp8KVCacheDataTypeE1ELb1EEEvPT_PKS3_PKT0_S9_ifPKiSB_iPKfiiiSD_SD_iiiii: ; @_ZN4vllm25paged_attention_v1_kernelI14__hip_bfloat16hLi64ELi32ELi128ELNS_18Fp8KVCacheDataTypeE1ELb1EEEvPT_PKS3_PKT0_S9_ifPKiSB_iPKfiiiSD_SD_iiiii
; %bb.0:
	s_load_b64 s[24:25], s[0:1], 0x20
	s_bfe_u32 s3, ttmp6, 0x4000c
	s_bfe_u32 s4, ttmp6, 0x40010
	s_and_b32 s6, ttmp7, 0xffff
	s_add_co_i32 s3, s3, 1
	s_add_co_i32 s4, s4, 1
	s_and_b32 s2, ttmp6, 15
	s_bfe_u32 s5, ttmp6, 0x40004
	s_mul_i32 s3, ttmp9, s3
	s_mul_i32 s4, s6, s4
	s_getreg_b32 s30, hwreg(HW_REG_IB_STS2, 6, 4)
	s_add_co_i32 s2, s2, s3
	s_add_co_i32 s3, s5, s4
	s_cmp_eq_u32 s30, 0
	v_mov_b32_e32 v26, v0
	s_cselect_b32 s33, s6, s3
	s_cselect_b32 s2, ttmp9, s2
	s_clause 0x1
	s_load_b32 s31, s[0:1], 0x80
	s_load_b64 s[4:5], s[0:1], 0x30
	s_wait_kmcnt 0x0
	s_abs_i32 s3, s24
	s_delay_alu instid0(SALU_CYCLE_1) | instskip(SKIP_1) | instid1(SALU_CYCLE_2)
	s_cvt_f32_u32 s6, s3
	s_sub_co_i32 s7, 0, s3
	v_rcp_iflag_f32_e32 v0, s6
	v_nop
	s_delay_alu instid0(TRANS32_DEP_1) | instskip(SKIP_2) | instid1(SALU_CYCLE_3)
	v_readfirstlane_b32 s6, v0
	s_abs_i32 s8, s31
	s_mul_f32 s6, s6, 0x4f7ffffe
	s_cvt_u32_f32 s6, s6
	s_delay_alu instid0(SALU_CYCLE_3) | instskip(NEXT) | instid1(SALU_CYCLE_1)
	s_mul_i32 s7, s7, s6
	s_mul_hi_u32 s7, s6, s7
	s_delay_alu instid0(SALU_CYCLE_1) | instskip(SKIP_4) | instid1(SALU_CYCLE_1)
	s_add_co_i32 s6, s6, s7
	s_xor_b32 s7, s31, s24
	s_mul_hi_u32 s6, s8, s6
	s_ashr_i32 s7, s7, 31
	s_mul_i32 s9, s6, s3
	s_sub_co_i32 s8, s8, s9
	s_add_co_i32 s9, s6, 1
	s_sub_co_i32 s10, s8, s3
	s_cmp_ge_u32 s8, s3
	s_cselect_b32 s6, s9, s6
	s_cselect_b32 s8, s10, s8
	s_add_co_i32 s9, s6, 1
	s_cmp_ge_u32 s8, s3
	s_load_b64 s[10:11], s[0:1], 0x40
	s_cselect_b32 s3, s9, s6
	s_mov_b32 s9, 0
	s_xor_b32 s3, s3, s7
	s_abs_i32 s8, s2
	s_sub_co_i32 s16, s3, s7
	s_mov_b32 s7, s9
	s_abs_i32 s15, s16
	s_mov_b32 s38, s9
	s_cvt_f32_u32 s3, s15
	s_sub_co_i32 s6, 0, s15
	s_delay_alu instid0(SALU_CYCLE_2) | instskip(SKIP_1) | instid1(TRANS32_DEP_1)
	v_rcp_iflag_f32_e32 v0, s3
	v_nop
	v_readfirstlane_b32 s3, v0
	s_mul_f32 s3, s3, 0x4f7ffffe
	s_delay_alu instid0(SALU_CYCLE_3) | instskip(NEXT) | instid1(SALU_CYCLE_3)
	s_cvt_u32_f32 s3, s3
	s_mul_i32 s6, s6, s3
	s_delay_alu instid0(SALU_CYCLE_1) | instskip(NEXT) | instid1(SALU_CYCLE_1)
	s_mul_hi_u32 s6, s3, s6
	s_add_co_i32 s6, s3, s6
	s_wait_kmcnt 0x0
	s_cmp_eq_u64 s[10:11], 0
	s_cbranch_scc1 .LBB345_2
; %bb.1:
	s_ashr_i32 s3, s2, 31
	s_delay_alu instid0(SALU_CYCLE_1) | instskip(NEXT) | instid1(SALU_CYCLE_1)
	s_lshl_b64 s[12:13], s[2:3], 2
	s_add_nc_u64 s[10:11], s[10:11], s[12:13]
	s_load_b32 s38, s[10:11], 0x0
.LBB345_2:
	s_load_b32 s34, s[4:5], s33 offset:0x0 scale_offset
	s_load_b96 s[12:14], s[0:1], 0x48
	s_ashr_i32 s3, s2, 31
	s_ashr_i32 s18, s16, 31
	s_wait_xcnt 0x0
	s_mul_u64 s[10:11], s[8:9], s[6:7]
	s_lshl_b32 s16, s2, 6
	s_mov_b32 s4, exec_lo
	v_cmpx_gt_u32_e32 8, v26
	s_cbranch_execz .LBB345_4
; %bb.3:
	s_load_b64 s[6:7], s[0:1], 0x8
	s_wait_kmcnt 0x0
	s_mul_i32 s20, s12, s33
	s_ashr_i32 s17, s16, 31
	s_ashr_i32 s21, s20, 31
	v_lshlrev_b32_e32 v4, 4, v26
	s_lshl_b64 s[20:21], s[20:21], 1
	s_delay_alu instid0(SALU_CYCLE_1) | instskip(SKIP_1) | instid1(SALU_CYCLE_1)
	s_add_nc_u64 s[6:7], s[6:7], s[20:21]
	s_lshl_b64 s[20:21], s[16:17], 1
	s_add_nc_u64 s[6:7], s[6:7], s[20:21]
	global_load_b128 v[0:3], v26, s[6:7] scale_offset
	s_wait_loadcnt 0x0
	ds_store_b128 v4, v[0:3]
.LBB345_4:
	s_or_b32 exec_lo, exec_lo, s4
	s_load_b128 s[4:7], s[0:1], 0x68
	s_mul_i32 s9, s11, s15
	s_xor_b32 s3, s3, s18
	s_sub_co_i32 s8, s8, s9
	s_add_co_i32 s9, s11, 1
	s_sub_co_i32 s10, s8, s15
	s_cmp_ge_u32 s8, s15
	s_wait_dscnt 0x0
	s_cselect_b32 s9, s9, s11
	s_cselect_b32 s8, s10, s8
	s_add_co_i32 s11, s9, 1
	s_cmp_ge_u32 s8, s15
	s_load_b32 s10, s[0:1], 0x78
	s_cselect_b32 s8, s11, s9
	s_wait_kmcnt 0x0
	s_add_co_i32 s11, s34, -1
	s_xor_b32 s8, s8, s3
	s_mov_b32 s15, -1
	s_sub_co_i32 s3, s8, s3
	s_barrier_signal -1
	s_barrier_wait -1
	s_abs_i32 s12, s7
	s_delay_alu instid0(SALU_CYCLE_1) | instskip(NEXT) | instid1(SALU_CYCLE_3)
	s_cvt_f32_u32 s9, s12
	v_rcp_iflag_f32_e32 v0, s9
	v_nop
	s_delay_alu instid0(TRANS32_DEP_1) | instskip(SKIP_1) | instid1(SALU_CYCLE_3)
	v_readfirstlane_b32 s9, v0
	s_mul_f32 s8, s9, 0x4f7ffffe
	s_cvt_u32_f32 s17, s8
	s_sub_co_i32 s8, 0, s12
	s_delay_alu instid0(SALU_CYCLE_2)
	s_mul_i32 s9, s8, s17
	s_abs_i32 s8, s11
	s_mul_hi_u32 s18, s17, s9
	s_mov_b32 s9, 0
	s_add_co_i32 s18, s17, s18
	s_cmp_lt_i32 s10, 0
	s_mov_b32 s19, s9
                                        ; implicit-def: $sgpr17
	s_cbranch_scc0 .LBB345_6
; %bb.5:
	s_mul_i32 s15, s4, s24
	s_delay_alu instid0(SALU_CYCLE_1) | instskip(NEXT) | instid1(SALU_CYCLE_1)
	s_add_co_i32 s15, s3, s15
	s_mul_i32 s15, s15, s10
	s_delay_alu instid0(SALU_CYCLE_1)
	s_sub_co_i32 s17, 1, s15
	s_mov_b32 s15, s9
.LBB345_6:
	s_ashr_i32 s11, s11, 31
	s_ashr_i32 s35, s7, 31
	s_and_not1_b32 vcc_lo, exec_lo, s15
	s_mul_u64 s[26:27], s[8:9], s[18:19]
	s_cbranch_vccnz .LBB345_8
; %bb.7:
	s_mul_i32 s4, s31, s4
	s_delay_alu instid0(SALU_CYCLE_1) | instskip(NEXT) | instid1(SALU_CYCLE_1)
	s_add_co_i32 s2, s4, s2
	s_mul_i32 s2, s2, s10
	s_delay_alu instid0(SALU_CYCLE_1)
	s_add_co_i32 s17, s2, 1
.LBB345_8:
	s_clause 0x1
	s_load_b32 s2, s[0:1], 0x38
	s_load_b64 s[20:21], s[0:1], 0x28
	s_mul_i32 s7, s27, s12
	s_xor_b32 s4, s11, s35
	s_sub_co_i32 s24, s8, s7
	s_add_co_i32 s15, s27, 1
	s_clause 0x1
	s_load_b32 s7, s[0:1], 0x88
	s_load_b128 s[8:11], s[0:1], 0x58
	v_dual_lshrrev_b32 v107, 5, v26 :: v_dual_bitop2_b32 v0, 31, v26 bitop3:0x40
	v_dual_mov_b32 v19, 0xff7fffff :: v_dual_lshrrev_b32 v34, 3, v26
	s_mul_i32 s14, s3, s14
	s_delay_alu instid0(VALU_DEP_2)
	v_dual_lshlrev_b32 v18, 5, v107 :: v_dual_lshlrev_b32 v32, 2, v0
	scratch_store_b32 off, v0, off          ; 4-byte Folded Spill
	s_wait_kmcnt 0x0
	s_mul_i32 s22, s2, s33
	s_sub_co_i32 s2, s24, s12
	s_ashr_i32 s23, s22, 31
	s_cmp_ge_u32 s24, s12
	s_cselect_b32 s15, s15, s27
	s_cselect_b32 s2, s2, s24
	s_add_co_i32 s24, s15, 1
	s_cmp_ge_u32 s2, s12
	s_cselect_b32 s2, s24, s15
	s_add_co_i32 s15, s34, 31
	s_delay_alu instid0(SALU_CYCLE_1) | instskip(NEXT) | instid1(SALU_CYCLE_1)
	s_ashr_i32 s24, s15, 31
	s_lshr_b32 s24, s24, 27
	s_delay_alu instid0(SALU_CYCLE_1) | instskip(NEXT) | instid1(SALU_CYCLE_1)
	s_add_co_i32 s15, s15, s24
	s_ashr_i32 s36, s15, 5
	s_xor_b32 s15, s2, s4
	v_cmp_gt_i32_e64 s2, s36, v107
	s_sub_co_i32 s37, s15, s4
	s_wait_xcnt 0x0
	s_and_saveexec_b32 s24, s2
	s_cbranch_execz .LBB345_496
; %bb.9:
	v_mov_b32_e32 v21, 0
	scratch_store_b32 off, v26, off offset:80 ; 4-byte Folded Spill
	s_sub_co_i32 s39, s37, s5
	s_ashr_i32 s15, s14, 31
	s_cmp_neq_f32 s38, 0
	ds_load_b128 v[22:25], v21
	s_wait_xcnt 0x0
	ds_load_b128 v[26:29], v21 offset:16
	ds_load_b128 v[14:17], v21 offset:32
	;; [unrolled: 1-line block ×5, first 2 shown]
	s_load_b64 s[26:27], s[0:1], 0x10
	s_mov_b32 s41, s13
	s_cselect_b32 vcc_lo, -1, 0
	s_abs_i32 s40, s6
	s_lshl_b64 s[28:29], s[22:23], 2
	s_cvt_f32_u32 s3, s40
	s_add_nc_u64 s[28:29], s[20:21], s[28:29]
	s_sub_co_i32 s4, 0, s40
	scratch_store_b32 off, v32, off offset:92 ; 4-byte Folded Spill
	v_mov_b32_e32 v33, v107
	v_mov_b32_e32 v19, 0xff7fffff
	s_wait_dscnt 0x5
	v_and_b32_e32 v1, 0xffff0000, v22
	s_wait_dscnt 0x3
	v_dual_lshlrev_b32 v0, 16, v22 :: v_dual_lshlrev_b32 v38, 16, v15
	v_dual_lshlrev_b32 v40, 16, v28 :: v_dual_lshlrev_b32 v42, 16, v25
	v_and_b32_e32 v39, 0xffff0000, v15
	scratch_store_b64 off, v[0:1], off offset:4 ; 8-byte Folded Spill
	s_wait_xcnt 0x0
	v_and_b32_e32 v1, 0xffff0000, v26
	v_lshlrev_b32_e32 v0, 16, v26
	s_wait_dscnt 0x2
	v_and_b32_e32 v15, 0xffff0000, v11
	v_and_b32_e32 v41, 0xffff0000, v28
	;; [unrolled: 1-line block ×3, first 2 shown]
	v_dual_lshlrev_b32 v44, 16, v16 :: v_dual_lshlrev_b32 v46, 16, v29
	scratch_store_b64 off, v[0:1], off offset:12 ; 8-byte Folded Spill
	s_wait_xcnt 0x0
	v_and_b32_e32 v1, 0xffff0000, v14
	v_dual_lshlrev_b32 v0, 16, v14 :: v_dual_lshlrev_b32 v14, 16, v11
	s_wait_dscnt 0x1
	v_and_b32_e32 v11, 0xffff0000, v3
	v_and_b32_e32 v47, 0xffff0000, v29
	s_wait_kmcnt 0x0
	s_add_nc_u64 s[26:27], s[26:27], s[14:15]
	scratch_store_b64 off, v[0:1], off offset:20 ; 8-byte Folded Spill
	s_wait_xcnt 0x0
	v_and_b32_e32 v1, 0xffff0000, v10
	v_dual_lshlrev_b32 v0, 16, v10 :: v_dual_lshlrev_b32 v10, 16, v3
	s_wait_dscnt 0x0
	v_and_b32_e32 v3, 0xffff0000, v7
	v_and_b32_e32 v45, 0xffff0000, v16
	;; [unrolled: 1-line block ×3, first 2 shown]
	scratch_store_b64 off, v[0:1], off offset:28 ; 8-byte Folded Spill
	s_wait_xcnt 0x0
	v_and_b32_e32 v1, 0xffff0000, v2
	v_dual_lshlrev_b32 v0, 16, v2 :: v_dual_lshlrev_b32 v2, 16, v7
	v_and_b32_e32 v7, 0xffff0000, v24
	v_dual_lshlrev_b32 v48, 16, v12 :: v_dual_lshlrev_b32 v50, 16, v17
	scratch_store_b64 off, v[0:1], off offset:36 ; 8-byte Folded Spill
	s_wait_xcnt 0x0
	v_and_b32_e32 v1, 0xffff0000, v6
	v_dual_lshlrev_b32 v0, 16, v6 :: v_dual_lshlrev_b32 v6, 16, v24
	v_and_b32_e32 v51, 0xffff0000, v17
	v_and_b32_e32 v17, 0xffff0000, v4
	v_dual_lshlrev_b32 v16, 16, v4 :: v_dual_lshlrev_b32 v52, 16, v13
	scratch_store_b64 off, v[0:1], off offset:44 ; 8-byte Folded Spill
	s_wait_xcnt 0x0
	v_and_b32_e32 v1, 0xffff0000, v23
	v_lshlrev_b32_e32 v0, 16, v23
	ds_load_b128 v[22:25], v21 offset:96
	v_and_b32_e32 v53, 0xffff0000, v13
	v_and_b32_e32 v13, 0xffff0000, v8
	v_dual_lshlrev_b32 v12, 16, v8 :: v_dual_lshlrev_b32 v54, 16, v5
	scratch_store_b64 off, v[0:1], off offset:52 ; 8-byte Folded Spill
	s_wait_xcnt 0x0
	v_and_b32_e32 v1, 0xffff0000, v27
	v_lshlrev_b32_e32 v0, 16, v27
	ds_load_b128 v[26:29], v21 offset:112
	v_and_b32_e32 v55, 0xffff0000, v5
	v_and_b32_e32 v5, 0xffff0000, v9
	v_lshlrev_b32_e32 v4, 16, v9
	scratch_store_b64 off, v[0:1], off offset:60 ; 8-byte Folded Spill
	s_wait_xcnt 0x0
	v_rcp_iflag_f32_e32 v0, s3
	v_lshl_or_b32 v1, v107, 7, v32
	s_delay_alu instid0(VALU_DEP_1) | instskip(NEXT) | instid1(TRANS32_DEP_1)
	v_add_nc_u32_e32 v32, 0xa0, v1
	v_readfirstlane_b32 s3, v0
	scratch_load_b32 v0, off, off           ; 4-byte Folded Reload
	s_wait_dscnt 0x1
	v_and_b32_e32 v9, 0xffff0000, v22
	v_lshlrev_b32_e32 v8, 16, v22
	v_and_b32_e32 v57, 0xffff0000, v23
	v_dual_lshlrev_b32 v56, 16, v23 :: v_dual_lshlrev_b32 v58, 16, v24
	s_mul_f32 s3, s3, 0x4f7ffffe
	s_wait_dscnt 0x0
	v_lshlrev_b32_e32 v68, 16, v29
	v_and_b32_e32 v59, 0xffff0000, v24
	v_and_b32_e32 v61, 0xffff0000, v25
	s_cvt_u32_f32 s3, s3
	v_dual_lshlrev_b32 v60, 16, v25 :: v_dual_lshlrev_b32 v62, 16, v26
	v_and_b32_e32 v63, 0xffff0000, v26
	s_delay_alu instid0(SALU_CYCLE_1)
	s_mul_i32 s4, s4, s3
	v_and_b32_e32 v65, 0xffff0000, v27
	v_dual_lshlrev_b32 v64, 16, v27 :: v_dual_lshlrev_b32 v66, 16, v28
	v_and_b32_e32 v67, 0xffff0000, v28
	v_and_b32_e32 v69, 0xffff0000, v29
	s_mul_hi_u32 s4, s3, s4
	s_wait_loadcnt 0x0
	v_lshlrev_b32_e32 v20, 4, v0
	v_subrev_nc_u32_e32 v0, s34, v0
	s_delay_alu instid0(VALU_DEP_2) | instskip(NEXT) | instid1(VALU_DEP_2)
	v_add_nc_u64_e32 v[22:23], s[26:27], v[20:21]
	v_add_nc_u32_e32 v0, 1, v0
	v_and_b32_e32 v20, 0x7c, v34
	s_clause 0x2
	scratch_store_b64 off, v[22:23], off offset:68
	scratch_store_b32 off, v34, off offset:88
	scratch_store_b32 off, v0, off offset:76
	s_wait_xcnt 0x0
	v_mov_b32_e32 v0, v107
	v_add_nc_u64_e32 v[72:73], s[28:29], v[20:21]
	s_mov_b32 s29, 0
	s_mov_b64 s[26:27], 0xffffffffffffff
	s_add_co_i32 s28, s3, s4
	v_lshlrev_b32_e32 v74, 5, v0
	s_mov_b32 s15, s29
	scratch_store_b32 off, v0, off offset:84 ; 4-byte Folded Spill
	s_branch .LBB345_15
.LBB345_10:                             ;   in Loop: Header=BB345_15 Depth=1
	s_or_b32 exec_lo, exec_lo, s46
	s_delay_alu instid0(VALU_DEP_1) | instskip(NEXT) | instid1(VALU_DEP_2)
	v_dual_lshlrev_b32 v26, 24, v26 :: v_dual_lshlrev_b32 v20, 20, v20
	v_lshl_add_u32 v27, v27, 23, 0x3c000000
	s_delay_alu instid0(VALU_DEP_2) | instskip(NEXT) | instid1(VALU_DEP_1)
	v_and_b32_e32 v26, 0x80000000, v26
	v_or3_b32 v31, v20, v26, v27
.LBB345_11:                             ;   in Loop: Header=BB345_15 Depth=1
	s_or_b32 exec_lo, exec_lo, s45
.LBB345_12:                             ;   in Loop: Header=BB345_15 Depth=1
	s_delay_alu instid0(SALU_CYCLE_1)
	s_or_b32 exec_lo, exec_lo, s44
.LBB345_13:                             ;   in Loop: Header=BB345_15 Depth=1
	s_delay_alu instid0(SALU_CYCLE_1) | instskip(SKIP_3) | instid1(VALU_DEP_2)
	s_or_b32 exec_lo, exec_lo, s43
	s_wait_kmcnt 0x0
	v_pk_mul_f32 v[0:1], s[4:5], v[0:1] op_sel_hi:[0,1]
	v_pk_mul_f32 v[36:37], s[4:5], v[88:89] op_sel_hi:[0,1]
	v_cvt_pk_bf16_f32 v75, v0, v1
	v_pk_mul_f32 v[0:1], s[4:5], v[70:71] op_sel_hi:[0,1]
	s_delay_alu instid0(VALU_DEP_3) | instskip(NEXT) | instid1(VALU_DEP_2)
	v_cvt_pk_bf16_f32 v36, v36, v37
	v_cvt_pk_bf16_f32 v34, v0, v1
	v_pk_mul_f32 v[0:1], s[4:5], v[126:127] op_sel_hi:[0,1]
	s_delay_alu instid0(VALU_DEP_3) | instskip(SKIP_1) | instid1(VALU_DEP_3)
	v_and_b32_e32 v37, 0xffff0000, v36
	v_lshlrev_b32_e32 v36, 16, v36
	v_cvt_pk_bf16_f32 v126, v0, v1
	v_pk_mul_f32 v[0:1], s[4:5], v[22:23] op_sel_hi:[0,1]
	s_delay_alu instid0(VALU_DEP_1) | instskip(SKIP_1) | instid1(VALU_DEP_4)
	v_cvt_pk_bf16_f32 v35, v0, v1
	v_pk_mul_f32 v[0:1], s[4:5], v[122:123] op_sel_hi:[0,1]
	v_and_b32_e32 v123, 0xffff0000, v126
	s_delay_alu instid0(VALU_DEP_2) | instskip(SKIP_1) | instid1(VALU_DEP_2)
	v_cvt_pk_bf16_f32 v70, v0, v1
	v_pk_mul_f32 v[0:1], s[4:5], v[120:121] op_sel_hi:[0,1]
	v_and_b32_e32 v89, 0xffff0000, v70
	s_delay_alu instid0(VALU_DEP_2) | instskip(SKIP_2) | instid1(VALU_DEP_2)
	v_cvt_pk_bf16_f32 v71, v0, v1
	v_pk_mul_f32 v[0:1], s[4:5], v[118:119] op_sel_hi:[0,1]
	v_lshlrev_b32_e32 v88, 16, v70
	v_cvt_pk_bf16_f32 v120, v0, v1
	v_pk_mul_f32 v[0:1], s[4:5], v[124:125] op_sel_hi:[0,1]
	s_delay_alu instid0(VALU_DEP_2) | instskip(NEXT) | instid1(VALU_DEP_2)
	v_and_b32_e32 v121, 0xffff0000, v120
	v_cvt_pk_bf16_f32 v122, v0, v1
	v_pk_mul_f32 v[0:1], s[4:5], v[114:115] op_sel_hi:[0,1]
	s_delay_alu instid0(VALU_DEP_2) | instskip(NEXT) | instid1(VALU_DEP_2)
	v_dual_lshlrev_b32 v120, 16, v120 :: v_dual_lshlrev_b32 v70, 16, v122
	v_cvt_pk_bf16_f32 v26, v0, v1
	v_pk_mul_f32 v[0:1], s[4:5], v[112:113] op_sel_hi:[0,1]
	s_delay_alu instid0(VALU_DEP_1) | instskip(SKIP_1) | instid1(VALU_DEP_1)
	v_cvt_pk_bf16_f32 v27, v0, v1
	v_pk_mul_f32 v[0:1], s[4:5], v[110:111] op_sel_hi:[0,1]
	v_cvt_pk_bf16_f32 v110, v0, v1
	v_pk_mul_f32 v[0:1], s[4:5], v[116:117] op_sel_hi:[0,1]
	s_delay_alu instid0(VALU_DEP_2) | instskip(NEXT) | instid1(VALU_DEP_2)
	v_and_b32_e32 v117, 0xffff0000, v110
	v_cvt_pk_bf16_f32 v111, v0, v1
	v_pk_mul_f32 v[0:1], s[4:5], v[106:107] op_sel_hi:[0,1]
	v_lshlrev_b32_e32 v116, 16, v110
	v_lshlrev_b32_e32 v110, 16, v34
	s_delay_alu instid0(VALU_DEP_3) | instskip(SKIP_1) | instid1(VALU_DEP_1)
	v_cvt_pk_bf16_f32 v106, v0, v1
	v_pk_mul_f32 v[0:1], s[4:5], v[104:105] op_sel_hi:[0,1]
	v_cvt_pk_bf16_f32 v107, v0, v1
	v_pk_mul_f32 v[0:1], s[4:5], v[102:103] op_sel_hi:[0,1]
	s_delay_alu instid0(VALU_DEP_1) | instskip(SKIP_1) | instid1(VALU_DEP_1)
	v_cvt_pk_bf16_f32 v102, v0, v1
	v_pk_mul_f32 v[0:1], s[4:5], v[108:109] op_sel_hi:[0,1]
	v_cvt_pk_bf16_f32 v108, v0, v1
	v_pk_mul_f32 v[0:1], s[4:5], v[98:99] op_sel_hi:[0,1]
	s_delay_alu instid0(VALU_DEP_1) | instskip(SKIP_1) | instid1(VALU_DEP_1)
	v_cvt_pk_bf16_f32 v103, v0, v1
	v_pk_mul_f32 v[0:1], s[4:5], v[96:97] op_sel_hi:[0,1]
	v_cvt_pk_bf16_f32 v109, v0, v1
	v_pk_mul_f32 v[0:1], s[4:5], v[94:95] op_sel_hi:[0,1]
	v_pk_mul_f32 v[94:95], s[4:5], v[24:25] op_sel_hi:[0,1]
	v_and_b32_e32 v25, 0xffff0000, v108
	v_dual_lshlrev_b32 v24, 16, v108 :: v_dual_lshlrev_b32 v108, 16, v71
	s_delay_alu instid0(VALU_DEP_4)
	v_cvt_pk_bf16_f32 v112, v0, v1
	v_pk_mul_f32 v[0:1], s[4:5], v[100:101] op_sel_hi:[0,1]
	v_lshlrev_b32_e32 v100, 16, v109
	v_and_b32_e32 v101, 0xffff0000, v109
	v_and_b32_e32 v109, 0xffff0000, v71
	;; [unrolled: 1-line block ×3, first 2 shown]
	v_cvt_pk_bf16_f32 v113, v0, v1
	v_pk_mul_f32 v[0:1], s[4:5], v[90:91] op_sel_hi:[0,1]
	v_dual_lshlrev_b32 v114, 16, v112 :: v_dual_lshlrev_b32 v112, 16, v102
	v_and_b32_e32 v71, 0xffff0000, v122
	v_lshlrev_b32_e32 v122, 16, v126
	s_delay_alu instid0(VALU_DEP_4) | instskip(SKIP_2) | instid1(VALU_DEP_3)
	v_cvt_pk_bf16_f32 v90, v0, v1
	v_pk_mul_f32 v[0:1], s[4:5], v[86:87] op_sel_hi:[0,1]
	v_and_b32_e32 v87, 0xffff0000, v26
	v_and_b32_e32 v91, 0xffff0000, v90
	s_delay_alu instid0(VALU_DEP_3) | instskip(SKIP_1) | instid1(VALU_DEP_2)
	v_cvt_pk_bf16_f32 v86, v0, v1
	v_pk_mul_f32 v[0:1], s[4:5], v[84:85] op_sel_hi:[0,1]
	v_and_b32_e32 v105, 0xffff0000, v86
	s_delay_alu instid0(VALU_DEP_2) | instskip(SKIP_3) | instid1(VALU_DEP_4)
	v_cvt_pk_bf16_f32 v84, v0, v1
	v_pk_mul_f32 v[0:1], s[4:5], v[92:93] op_sel_hi:[0,1]
	v_lshlrev_b32_e32 v104, 16, v86
	v_dual_lshlrev_b32 v86, 16, v26 :: v_dual_lshlrev_b32 v26, 16, v111
	v_and_b32_e32 v119, 0xffff0000, v84
	s_delay_alu instid0(VALU_DEP_4) | instskip(SKIP_4) | instid1(VALU_DEP_4)
	v_cvt_pk_bf16_f32 v85, v0, v1
	v_pk_mul_f32 v[0:1], s[4:5], v[80:81] op_sel_hi:[0,1]
	v_pk_mul_f32 v[80:81], s[4:5], v[28:29] op_sel_hi:[0,1]
	v_dual_lshlrev_b32 v118, 16, v84 :: v_dual_lshlrev_b32 v90, 16, v90
	v_and_b32_e32 v29, 0xffff0000, v113
	v_cvt_pk_bf16_f32 v22, v0, v1
	v_pk_mul_f32 v[0:1], s[4:5], v[78:79] op_sel_hi:[0,1]
	v_and_b32_e32 v79, 0xffff0000, v85
	v_lshlrev_b32_e32 v78, 16, v85
	v_lshlrev_b32_e32 v28, 16, v113
	v_and_b32_e32 v113, 0xffff0000, v102
	v_cvt_pk_bf16_f32 v23, v0, v1
	v_pk_mul_f32 v[0:1], s[4:5], v[76:77] op_sel_hi:[0,1]
	v_lshlrev_b32_e32 v102, 16, v107
	v_and_b32_e32 v85, 0xffff0000, v106
	v_lshlrev_b32_e32 v84, 16, v106
	v_and_b32_e32 v99, 0xffff0000, v23
	v_cvt_pk_bf16_f32 v76, v0, v1
	v_pk_mul_f32 v[0:1], s[4:5], v[82:83] op_sel_hi:[0,1]
	v_and_b32_e32 v83, 0xffff0000, v103
	v_lshlrev_b32_e32 v82, 16, v103
	v_and_b32_e32 v103, 0xffff0000, v107
	v_and_b32_e32 v97, 0xffff0000, v76
	v_cvt_pk_bf16_f32 v77, v0, v1
	s_clause 0x1
	scratch_load_b32 v0, off, off
	scratch_load_b32 v1, off, off offset:76
	v_and_b32_e32 v107, 0xffff0000, v27
	v_lshlrev_b32_e32 v106, 16, v27
	v_and_b32_e32 v27, 0xffff0000, v111
	v_and_b32_e32 v111, 0xffff0000, v34
	;; [unrolled: 1-line block ×3, first 2 shown]
	v_dual_lshlrev_b32 v92, 16, v75 :: v_dual_lshlrev_b32 v96, 16, v76
	v_lshlrev_b32_e32 v76, 16, v35
	v_lshlrev_b32_e32 v98, 16, v23
	v_and_b32_e32 v23, 0xffff0000, v77
	s_wait_loadcnt 0x0
	v_dual_add_nc_u32 v0, v0, v74 :: v_dual_add_nc_u32 v1, v1, v74
	s_delay_alu instid0(VALU_DEP_1) | instskip(NEXT) | instid1(VALU_DEP_2)
	v_cmp_gt_i32_e64 s3, s34, v0
	v_cvt_f32_i32_e32 v1, v1
	s_delay_alu instid0(VALU_DEP_1) | instskip(SKIP_3) | instid1(VALU_DEP_4)
	v_mul_f32_e32 v20, s38, v1
	v_pk_mul_f32 v[0:1], s[4:5], v[30:31] op_sel_hi:[0,1]
	v_and_b32_e32 v31, 0xffff0000, v22
	v_dual_lshlrev_b32 v30, 16, v22 :: v_dual_lshlrev_b32 v22, 16, v77
	v_cndmask_b32_e32 v20, 0, v20, vcc_lo
	v_and_b32_e32 v77, 0xffff0000, v35
	scratch_load_b64 v[34:35], off, off offset:12 ; 8-byte Folded Reload
	s_wait_loadcnt 0x0
	v_pk_mul_f32 v[34:35], v[34:35], v[118:119]
	scratch_load_b64 v[118:119], off, off offset:4 ; 8-byte Folded Reload
	s_wait_loadcnt 0x0
	v_pk_fma_f32 v[34:35], v[118:119], v[96:97], v[34:35]
	scratch_load_b64 v[96:97], off, off offset:20 ; 8-byte Folded Reload
	s_wait_loadcnt 0x0
	v_pk_fma_f32 v[34:35], v[96:97], v[114:115], v[34:35]
	;; [unrolled: 3-line block ×5, first 2 shown]
	s_delay_alu instid0(VALU_DEP_1) | instskip(NEXT) | instid1(VALU_DEP_1)
	v_pk_fma_f32 v[34:35], v[8:9], v[122:123], v[34:35]
	v_pk_fma_f32 v[96:97], v[62:63], v[36:37], v[34:35]
	scratch_load_b64 v[34:35], off, off offset:60 ; 8-byte Folded Reload
	v_cvt_pk_bf16_f32 v36, v94, v95
	scratch_load_b64 v[94:95], off, off offset:52 ; 8-byte Folded Reload
	v_and_b32_e32 v37, 0xffff0000, v36
	v_lshlrev_b32_e32 v36, 16, v36
	s_wait_loadcnt 0x1
	v_pk_mul_f32 v[34:35], v[34:35], v[104:105]
	s_wait_loadcnt 0x0
	s_delay_alu instid0(VALU_DEP_1) | instskip(NEXT) | instid1(VALU_DEP_1)
	v_pk_fma_f32 v[34:35], v[94:95], v[98:99], v[34:35]
	v_pk_fma_f32 v[34:35], v[38:39], v[100:101], v[34:35]
	s_delay_alu instid0(VALU_DEP_1) | instskip(NEXT) | instid1(VALU_DEP_1)
	v_pk_fma_f32 v[34:35], v[14:15], v[102:103], v[34:35]
	v_pk_fma_f32 v[34:35], v[10:11], v[106:107], v[34:35]
	;; [unrolled: 3-line block ×3, first 2 shown]
	s_delay_alu instid0(VALU_DEP_1) | instskip(SKIP_2) | instid1(VALU_DEP_2)
	v_pk_fma_f32 v[94:95], v[64:65], v[36:37], v[34:35]
	v_pk_mul_f32 v[34:35], v[40:41], v[90:91]
	v_cvt_pk_bf16_f32 v36, v80, v81
	v_pk_fma_f32 v[30:31], v[6:7], v[30:31], v[34:35]
	s_delay_alu instid0(VALU_DEP_2) | instskip(SKIP_1) | instid1(VALU_DEP_3)
	v_and_b32_e32 v35, 0xffff0000, v36
	v_lshlrev_b32_e32 v34, 16, v36
	v_pk_fma_f32 v[30:31], v[44:45], v[82:83], v[30:31]
	s_delay_alu instid0(VALU_DEP_1) | instskip(NEXT) | instid1(VALU_DEP_1)
	v_pk_fma_f32 v[30:31], v[48:49], v[84:85], v[30:31]
	v_pk_fma_f32 v[30:31], v[16:17], v[86:87], v[30:31]
	s_delay_alu instid0(VALU_DEP_1) | instskip(NEXT) | instid1(VALU_DEP_1)
	v_pk_fma_f32 v[30:31], v[12:13], v[88:89], v[30:31]
	v_pk_fma_f32 v[30:31], v[58:59], v[92:93], v[30:31]
	s_delay_alu instid0(VALU_DEP_1) | instskip(SKIP_2) | instid1(VALU_DEP_1)
	v_pk_fma_f32 v[30:31], v[66:67], v[34:35], v[30:31]
	v_cvt_pk_bf16_f32 v34, v0, v1
	v_pk_mul_f32 v[0:1], v[46:47], v[78:79]
	v_pk_fma_f32 v[0:1], v[42:43], v[22:23], v[0:1]
	s_delay_alu instid0(VALU_DEP_3) | instskip(SKIP_1) | instid1(VALU_DEP_3)
	v_and_b32_e32 v23, 0xffff0000, v34
	v_lshlrev_b32_e32 v22, 16, v34
	v_pk_fma_f32 v[0:1], v[50:51], v[28:29], v[0:1]
	s_delay_alu instid0(VALU_DEP_1) | instskip(NEXT) | instid1(VALU_DEP_1)
	v_pk_fma_f32 v[0:1], v[52:53], v[24:25], v[0:1]
	v_pk_fma_f32 v[0:1], v[54:55], v[26:27], v[0:1]
	s_delay_alu instid0(VALU_DEP_1) | instskip(NEXT) | instid1(VALU_DEP_1)
	v_pk_fma_f32 v[0:1], v[4:5], v[70:71], v[0:1]
	v_pk_fma_f32 v[0:1], v[60:61], v[76:77], v[0:1]
	s_delay_alu instid0(VALU_DEP_1) | instskip(SKIP_1) | instid1(VALU_DEP_1)
	v_pk_fma_f32 v[0:1], v[68:69], v[22:23], v[0:1]
	v_add_f32_e32 v22, v96, v97
	v_add_f32_e32 v22, v22, v94
	s_delay_alu instid0(VALU_DEP_1) | instskip(NEXT) | instid1(VALU_DEP_1)
	v_add_f32_e32 v22, v22, v95
	v_add_f32_e32 v22, v22, v30
	s_delay_alu instid0(VALU_DEP_1) | instskip(NEXT) | instid1(VALU_DEP_1)
	v_add_f32_e32 v22, v22, v31
	v_add_f32_e32 v0, v22, v0
	s_delay_alu instid0(VALU_DEP_1) | instskip(NEXT) | instid1(VALU_DEP_1)
	v_add_f32_e32 v0, v0, v1
	v_fmac_f32_e32 v20, s25, v0
	s_delay_alu instid0(VALU_DEP_1) | instskip(SKIP_2) | instid1(VALU_DEP_1)
	v_cndmask_b32_e64 v0, 0, v20, s3
	ds_store_b32 v32, v0
	v_max_num_f32_e32 v0, v19, v19
	v_max_num_f32_e32 v0, v0, v20
	s_delay_alu instid0(VALU_DEP_1)
	v_cndmask_b32_e64 v19, v19, v0, s3
.LBB345_14:                             ;   in Loop: Header=BB345_15 Depth=1
	s_wait_xcnt 0x0
	s_or_b32 exec_lo, exec_lo, s42
	v_add_nc_u32_e32 v33, 4, v33
	v_add_nc_u64_e32 v[72:73], 16, v[72:73]
	v_add_nc_u32_e32 v74, 0x80, v74
	v_add_nc_u32_e32 v32, 0x200, v32
	s_delay_alu instid0(VALU_DEP_4) | instskip(SKIP_1) | instid1(SALU_CYCLE_1)
	v_cmp_le_i32_e64 s3, s36, v33
	s_or_b32 s15, s3, s15
	s_and_not1_b32 exec_lo, exec_lo, s15
	s_cbranch_execz .LBB345_495
.LBB345_15:                             ; =>This Inner Loop Header: Depth=1
	v_mov_b32_e32 v75, v21
	s_wait_xcnt 0x0
	s_delay_alu instid0(VALU_DEP_1) | instskip(NEXT) | instid1(VALU_DEP_1)
	v_mul_u64_e32 v[0:1], s[18:19], v[74:75]
	v_mul_lo_u32 v0, v1, s12
	s_delay_alu instid0(VALU_DEP_1) | instskip(NEXT) | instid1(VALU_DEP_1)
	v_sub_nc_u32_e32 v0, v74, v0
	v_subrev_nc_u32_e32 v22, s12, v0
	v_cmp_le_u32_e64 s3, s12, v0
	s_delay_alu instid0(VALU_DEP_1) | instskip(NEXT) | instid1(VALU_DEP_1)
	v_dual_add_nc_u32 v20, 1, v1 :: v_dual_cndmask_b32 v0, v0, v22, s3
	v_cndmask_b32_e64 v1, v1, v20, s3
	s_delay_alu instid0(VALU_DEP_2) | instskip(NEXT) | instid1(VALU_DEP_2)
	v_cmp_le_u32_e64 s3, s12, v0
	v_add_nc_u32_e32 v20, 1, v1
	s_delay_alu instid0(VALU_DEP_1) | instskip(NEXT) | instid1(VALU_DEP_1)
	v_cndmask_b32_e64 v0, v1, v20, s3
	v_xor_b32_e32 v0, s35, v0
	s_delay_alu instid0(VALU_DEP_1) | instskip(NEXT) | instid1(VALU_DEP_1)
	v_subrev_nc_u32_e32 v22, s35, v0
	v_add_nc_u32_e32 v23, s17, v22
	v_cmp_ge_i32_e64 s4, s39, v22
	s_delay_alu instid0(VALU_DEP_2) | instskip(NEXT) | instid1(VALU_DEP_1)
	v_sub_nc_u32_e32 v0, 0, v23
	v_max_i32_e32 v20, v23, v0
	s_delay_alu instid0(VALU_DEP_1) | instskip(NEXT) | instid1(VALU_DEP_1)
	v_mul_u64_e32 v[0:1], s[28:29], v[20:21]
	v_mul_lo_u32 v0, v1, s40
	s_delay_alu instid0(VALU_DEP_1) | instskip(NEXT) | instid1(VALU_DEP_1)
	v_dual_sub_nc_u32 v0, v20, v0 :: v_dual_ashrrev_i32 v20, 31, v23
	v_subrev_nc_u32_e32 v1, s40, v0
	v_cmp_le_u32_e64 s3, s40, v0
	s_delay_alu instid0(VALU_DEP_1) | instskip(NEXT) | instid1(VALU_DEP_1)
	v_cndmask_b32_e64 v0, v0, v1, s3
	v_subrev_nc_u32_e32 v1, s40, v0
	v_cmp_le_u32_e64 s3, s40, v0
	s_delay_alu instid0(VALU_DEP_1) | instskip(NEXT) | instid1(VALU_DEP_1)
	v_cndmask_b32_e64 v0, v0, v1, s3
	v_xor_b32_e32 v0, v0, v20
	s_delay_alu instid0(VALU_DEP_1) | instskip(NEXT) | instid1(VALU_DEP_1)
	v_sub_nc_u32_e32 v0, v0, v20
	v_cmp_ne_u32_e64 s3, 0, v0
	s_and_b32 s3, s3, s4
	s_delay_alu instid0(SALU_CYCLE_1) | instskip(NEXT) | instid1(SALU_CYCLE_1)
	s_and_saveexec_b32 s4, s3
	s_xor_b32 s3, exec_lo, s4
; %bb.16:                               ;   in Loop: Header=BB345_15 Depth=1
	v_mov_b32_e32 v0, 0xff7fffff
	ds_store_b32 v32, v0
; %bb.17:                               ;   in Loop: Header=BB345_15 Depth=1
	s_and_not1_saveexec_b32 s42, s3
	s_cbranch_execz .LBB345_14
; %bb.18:                               ;   in Loop: Header=BB345_15 Depth=1
	global_load_b32 v0, v[72:73], off
	scratch_load_b64 v[22:23], off, off offset:68 ; 8-byte Folded Reload
	s_load_b32 s4, s[8:9], 0x0
	v_dual_mov_b32 v77, 0 :: v_dual_mov_b32 v76, 0
	s_mov_b32 s43, exec_lo
	s_wait_loadcnt 0x0
	v_mad_nc_i64_i32 v[88:89], v0, s41, v[22:23]
	global_load_b64 v[0:1], v[88:89], off
	s_wait_loadcnt 0x0
	v_and_b32_e32 v20, 0xff, v0
	s_wait_xcnt 0x0
	s_delay_alu instid0(VALU_DEP_1)
	v_cmpx_ne_u16_e32 0, v20
	s_cbranch_execz .LBB345_24
; %bb.19:                               ;   in Loop: Header=BB345_15 Depth=1
	v_bfrev_b32_e32 v76, 1
	s_mov_b32 s44, exec_lo
	v_cmpx_ne_u16_e32 0x80, v20
	s_cbranch_execz .LBB345_23
; %bb.20:                               ;   in Loop: Header=BB345_15 Depth=1
	v_and_b32_e32 v20, 0x7f, v0
	v_mov_b32_e32 v76, 0x7f800001
	s_mov_b32 s45, exec_lo
	s_delay_alu instid0(VALU_DEP_2)
	v_cmpx_ne_u32_e32 0x7f, v20
	s_cbranch_execz .LBB345_22
; %bb.21:                               ;   in Loop: Header=BB345_15 Depth=1
	v_and_b32_e32 v22, 7, v0
	v_cmp_gt_u32_e64 s3, 8, v20
	s_delay_alu instid0(VALU_DEP_2) | instskip(NEXT) | instid1(VALU_DEP_1)
	v_clz_i32_u32_e32 v22, v22
	v_min_u32_e32 v22, 32, v22
	v_lshrrev_b32_e32 v23, 3, v20
	s_delay_alu instid0(VALU_DEP_2) | instskip(SKIP_1) | instid1(VALU_DEP_1)
	v_subrev_nc_u32_e32 v24, 28, v22
	v_sub_nc_u32_e32 v22, 29, v22
	v_dual_cndmask_b32 v20, v23, v22, s3 :: v_dual_cndmask_b32 v22, 0, v24, s3
	s_delay_alu instid0(VALU_DEP_1) | instskip(NEXT) | instid1(VALU_DEP_2)
	v_lshl_add_u32 v20, v20, 23, 0x3c000000
	v_lshlrev_b64_e32 v[22:23], v22, v[0:1]
	v_lshlrev_b32_e32 v23, 24, v0
	s_delay_alu instid0(VALU_DEP_1) | instskip(NEXT) | instid1(VALU_DEP_3)
	v_and_b32_e32 v23, 0x80000000, v23
	v_lshlrev_b32_e32 v22, 20, v22
	s_delay_alu instid0(VALU_DEP_1) | instskip(NEXT) | instid1(VALU_DEP_1)
	v_and_b32_e32 v22, 0x700000, v22
	v_or3_b32 v76, v22, v23, v20
.LBB345_22:                             ;   in Loop: Header=BB345_15 Depth=1
	s_or_b32 exec_lo, exec_lo, s45
.LBB345_23:                             ;   in Loop: Header=BB345_15 Depth=1
	s_delay_alu instid0(SALU_CYCLE_1)
	s_or_b32 exec_lo, exec_lo, s44
.LBB345_24:                             ;   in Loop: Header=BB345_15 Depth=1
	s_delay_alu instid0(SALU_CYCLE_1) | instskip(SKIP_2) | instid1(VALU_DEP_1)
	s_or_b32 exec_lo, exec_lo, s43
	v_lshrrev_b16 v20, 8, v0
	s_mov_b32 s43, exec_lo
	v_cmpx_ne_u16_e32 0, v20
	s_cbranch_execz .LBB345_32
; %bb.25:                               ;   in Loop: Header=BB345_15 Depth=1
	v_bfrev_b32_e32 v77, 1
	s_mov_b32 s44, exec_lo
	v_cmpx_ne_u16_e32 0x80, v20
	s_cbranch_execz .LBB345_31
; %bb.26:                               ;   in Loop: Header=BB345_15 Depth=1
	v_and_b32_e32 v20, 0xffff, v20
	v_mov_b32_e32 v77, 0x7f800001
	s_mov_b32 s45, exec_lo
	s_delay_alu instid0(VALU_DEP_2) | instskip(NEXT) | instid1(VALU_DEP_1)
	v_and_b32_e32 v23, 0x7f, v20
	v_cmpx_ne_u32_e32 0x7f, v23
	s_cbranch_execz .LBB345_30
; %bb.27:                               ;   in Loop: Header=BB345_15 Depth=1
	v_dual_lshrrev_b32 v22, 3, v23 :: v_dual_bitop2_b32 v20, 7, v20 bitop3:0x40
	s_mov_b32 s46, exec_lo
	v_cmpx_gt_u32_e32 8, v23
; %bb.28:                               ;   in Loop: Header=BB345_15 Depth=1
	s_delay_alu instid0(VALU_DEP_2) | instskip(NEXT) | instid1(VALU_DEP_1)
	v_clz_i32_u32_e32 v22, v20
	v_min_u32_e32 v22, 32, v22
	s_delay_alu instid0(VALU_DEP_1) | instskip(NEXT) | instid1(VALU_DEP_1)
	v_subrev_nc_u32_e32 v23, 28, v22
	v_lshlrev_b64_e32 v[24:25], v23, v[20:21]
	s_delay_alu instid0(VALU_DEP_1)
	v_dual_sub_nc_u32 v22, 29, v22 :: v_dual_bitop2_b32 v20, 7, v24 bitop3:0x40
; %bb.29:                               ;   in Loop: Header=BB345_15 Depth=1
	s_or_b32 exec_lo, exec_lo, s46
	v_lshlrev_b32_e32 v23, 16, v0
	s_delay_alu instid0(VALU_DEP_2) | instskip(NEXT) | instid1(VALU_DEP_3)
	v_lshlrev_b32_e32 v20, 20, v20
	v_lshl_add_u32 v22, v22, 23, 0x3c000000
	s_delay_alu instid0(VALU_DEP_3) | instskip(NEXT) | instid1(VALU_DEP_1)
	v_and_b32_e32 v23, 0x80000000, v23
	v_or3_b32 v77, v20, v23, v22
.LBB345_30:                             ;   in Loop: Header=BB345_15 Depth=1
	s_or_b32 exec_lo, exec_lo, s45
.LBB345_31:                             ;   in Loop: Header=BB345_15 Depth=1
	s_delay_alu instid0(SALU_CYCLE_1)
	s_or_b32 exec_lo, exec_lo, s44
.LBB345_32:                             ;   in Loop: Header=BB345_15 Depth=1
	s_delay_alu instid0(SALU_CYCLE_1) | instskip(SKIP_3) | instid1(VALU_DEP_2)
	s_or_b32 exec_lo, exec_lo, s43
	v_dual_mov_b32 v79, 0 :: v_dual_lshrrev_b32 v22, 16, v0
	v_mov_b32_e32 v78, 0
	s_mov_b32 s43, exec_lo
	v_and_b32_e32 v20, 0xff, v22
	s_delay_alu instid0(VALU_DEP_1)
	v_cmpx_ne_u16_e32 0, v20
	s_cbranch_execz .LBB345_40
; %bb.33:                               ;   in Loop: Header=BB345_15 Depth=1
	v_bfrev_b32_e32 v78, 1
	s_mov_b32 s44, exec_lo
	v_cmpx_ne_u16_e32 0x80, v20
	s_cbranch_execz .LBB345_39
; %bb.34:                               ;   in Loop: Header=BB345_15 Depth=1
	v_bfe_u32 v24, v0, 16, 7
	v_mov_b32_e32 v78, 0x7f800001
	s_mov_b32 s45, exec_lo
	s_delay_alu instid0(VALU_DEP_2)
	v_cmpx_ne_u32_e32 0x7f, v24
	s_cbranch_execz .LBB345_38
; %bb.35:                               ;   in Loop: Header=BB345_15 Depth=1
	v_dual_lshrrev_b32 v23, 3, v24 :: v_dual_bitop2_b32 v20, 7, v22 bitop3:0x40
	s_mov_b32 s46, exec_lo
	v_cmpx_gt_u32_e32 8, v24
; %bb.36:                               ;   in Loop: Header=BB345_15 Depth=1
	s_delay_alu instid0(VALU_DEP_2) | instskip(NEXT) | instid1(VALU_DEP_1)
	v_clz_i32_u32_e32 v23, v20
	v_min_u32_e32 v23, 32, v23
	s_delay_alu instid0(VALU_DEP_1) | instskip(NEXT) | instid1(VALU_DEP_1)
	v_subrev_nc_u32_e32 v24, 28, v23
	v_lshlrev_b64_e32 v[24:25], v24, v[20:21]
	s_delay_alu instid0(VALU_DEP_1)
	v_dual_sub_nc_u32 v23, 29, v23 :: v_dual_bitop2_b32 v20, 7, v24 bitop3:0x40
; %bb.37:                               ;   in Loop: Header=BB345_15 Depth=1
	s_or_b32 exec_lo, exec_lo, s46
	s_delay_alu instid0(VALU_DEP_1) | instskip(NEXT) | instid1(VALU_DEP_2)
	v_dual_lshlrev_b32 v22, 24, v22 :: v_dual_lshlrev_b32 v20, 20, v20
	v_lshl_add_u32 v23, v23, 23, 0x3c000000
	s_delay_alu instid0(VALU_DEP_2) | instskip(NEXT) | instid1(VALU_DEP_1)
	v_and_b32_e32 v22, 0x80000000, v22
	v_or3_b32 v78, v20, v22, v23
.LBB345_38:                             ;   in Loop: Header=BB345_15 Depth=1
	s_or_b32 exec_lo, exec_lo, s45
.LBB345_39:                             ;   in Loop: Header=BB345_15 Depth=1
	s_delay_alu instid0(SALU_CYCLE_1)
	s_or_b32 exec_lo, exec_lo, s44
.LBB345_40:                             ;   in Loop: Header=BB345_15 Depth=1
	s_delay_alu instid0(SALU_CYCLE_1) | instskip(NEXT) | instid1(SALU_CYCLE_1)
	s_or_b32 exec_lo, exec_lo, s43
	s_mov_b32 s43, exec_lo
	v_cmpx_lt_u32_e32 0xffffff, v0
	s_cbranch_execz .LBB345_48
; %bb.41:                               ;   in Loop: Header=BB345_15 Depth=1
	v_lshrrev_b32_e32 v22, 24, v0
	v_bfrev_b32_e32 v79, 1
	s_mov_b32 s44, exec_lo
	s_delay_alu instid0(VALU_DEP_2)
	v_cmpx_ne_u32_e32 0x80, v22
	s_cbranch_execz .LBB345_47
; %bb.42:                               ;   in Loop: Header=BB345_15 Depth=1
	v_bfe_u32 v24, v0, 24, 7
	v_mov_b32_e32 v79, 0x7f800001
	s_mov_b32 s45, exec_lo
	s_delay_alu instid0(VALU_DEP_2)
	v_cmpx_ne_u32_e32 0x7f, v24
	s_cbranch_execz .LBB345_46
; %bb.43:                               ;   in Loop: Header=BB345_15 Depth=1
	v_dual_lshrrev_b32 v23, 3, v24 :: v_dual_bitop2_b32 v20, 7, v22 bitop3:0x40
	s_mov_b32 s46, exec_lo
	v_cmpx_gt_u32_e32 8, v24
; %bb.44:                               ;   in Loop: Header=BB345_15 Depth=1
	s_delay_alu instid0(VALU_DEP_2) | instskip(NEXT) | instid1(VALU_DEP_1)
	v_clz_i32_u32_e32 v23, v20
	v_min_u32_e32 v23, 32, v23
	s_delay_alu instid0(VALU_DEP_1) | instskip(NEXT) | instid1(VALU_DEP_1)
	v_subrev_nc_u32_e32 v24, 28, v23
	v_lshlrev_b64_e32 v[24:25], v24, v[20:21]
	s_delay_alu instid0(VALU_DEP_1)
	v_dual_sub_nc_u32 v23, 29, v23 :: v_dual_bitop2_b32 v20, 7, v24 bitop3:0x40
; %bb.45:                               ;   in Loop: Header=BB345_15 Depth=1
	s_or_b32 exec_lo, exec_lo, s46
	s_delay_alu instid0(VALU_DEP_1) | instskip(NEXT) | instid1(VALU_DEP_2)
	v_dual_lshlrev_b32 v22, 24, v22 :: v_dual_lshlrev_b32 v20, 20, v20
	v_lshl_add_u32 v23, v23, 23, 0x3c000000
	s_delay_alu instid0(VALU_DEP_2) | instskip(NEXT) | instid1(VALU_DEP_1)
	v_and_b32_e32 v22, 0x80000000, v22
	v_or3_b32 v79, v20, v22, v23
.LBB345_46:                             ;   in Loop: Header=BB345_15 Depth=1
	s_or_b32 exec_lo, exec_lo, s45
.LBB345_47:                             ;   in Loop: Header=BB345_15 Depth=1
	s_delay_alu instid0(SALU_CYCLE_1)
	s_or_b32 exec_lo, exec_lo, s44
.LBB345_48:                             ;   in Loop: Header=BB345_15 Depth=1
	s_delay_alu instid0(SALU_CYCLE_1) | instskip(SKIP_4) | instid1(VALU_DEP_3)
	s_or_b32 exec_lo, exec_lo, s43
	v_and_b32_e32 v22, 0xff, v1
	v_dual_mov_b32 v20, v1 :: v_dual_mov_b32 v81, 0
	v_mov_b32_e32 v80, 0
	s_mov_b32 s43, exec_lo
	v_cmpx_ne_u16_e32 0, v22
	s_cbranch_execz .LBB345_54
; %bb.49:                               ;   in Loop: Header=BB345_15 Depth=1
	v_bfrev_b32_e32 v80, 1
	s_mov_b32 s44, exec_lo
	v_cmpx_ne_u16_e32 0x80, v22
	s_cbranch_execz .LBB345_53
; %bb.50:                               ;   in Loop: Header=BB345_15 Depth=1
	v_and_b32_e32 v22, 0x7f, v1
	v_mov_b32_e32 v80, 0x7f800001
	s_mov_b32 s45, exec_lo
	s_delay_alu instid0(VALU_DEP_2)
	v_cmpx_ne_u32_e32 0x7f, v22
	s_cbranch_execz .LBB345_52
; %bb.51:                               ;   in Loop: Header=BB345_15 Depth=1
	v_dual_lshrrev_b32 v24, 3, v22 :: v_dual_bitop2_b32 v23, 7, v1 bitop3:0x40
	v_cmp_gt_u32_e64 s3, 8, v22
	s_delay_alu instid0(VALU_DEP_2) | instskip(NEXT) | instid1(VALU_DEP_1)
	v_clz_i32_u32_e32 v23, v23
	v_min_u32_e32 v23, 32, v23
	s_delay_alu instid0(VALU_DEP_1) | instskip(NEXT) | instid1(VALU_DEP_1)
	v_subrev_nc_u32_e32 v25, 28, v23
	v_dual_sub_nc_u32 v23, 29, v23 :: v_dual_cndmask_b32 v22, 0, v25, s3
	s_delay_alu instid0(VALU_DEP_1) | instskip(NEXT) | instid1(VALU_DEP_2)
	v_cndmask_b32_e64 v24, v24, v23, s3
	v_lshlrev_b64_e32 v[22:23], v22, v[20:21]
	v_lshlrev_b32_e32 v23, 24, v20
	s_delay_alu instid0(VALU_DEP_3) | instskip(NEXT) | instid1(VALU_DEP_2)
	v_lshl_add_u32 v24, v24, 23, 0x3c000000
	v_and_b32_e32 v23, 0x80000000, v23
	s_delay_alu instid0(VALU_DEP_4) | instskip(NEXT) | instid1(VALU_DEP_1)
	v_lshlrev_b32_e32 v22, 20, v22
	v_and_b32_e32 v22, 0x700000, v22
	s_delay_alu instid0(VALU_DEP_1)
	v_or3_b32 v80, v22, v23, v24
.LBB345_52:                             ;   in Loop: Header=BB345_15 Depth=1
	s_or_b32 exec_lo, exec_lo, s45
.LBB345_53:                             ;   in Loop: Header=BB345_15 Depth=1
	s_delay_alu instid0(SALU_CYCLE_1)
	s_or_b32 exec_lo, exec_lo, s44
.LBB345_54:                             ;   in Loop: Header=BB345_15 Depth=1
	s_delay_alu instid0(SALU_CYCLE_1) | instskip(SKIP_2) | instid1(VALU_DEP_1)
	s_or_b32 exec_lo, exec_lo, s43
	v_lshrrev_b16 v22, 8, v20
	s_mov_b32 s43, exec_lo
	v_cmpx_ne_u16_e32 0, v22
	s_cbranch_execz .LBB345_62
; %bb.55:                               ;   in Loop: Header=BB345_15 Depth=1
	v_bfrev_b32_e32 v81, 1
	s_mov_b32 s44, exec_lo
	v_cmpx_ne_u16_e32 0x80, v22
	s_cbranch_execz .LBB345_61
; %bb.56:                               ;   in Loop: Header=BB345_15 Depth=1
	v_and_b32_e32 v22, 0xffff, v22
	v_mov_b32_e32 v81, 0x7f800001
	s_mov_b32 s45, exec_lo
	s_delay_alu instid0(VALU_DEP_2) | instskip(NEXT) | instid1(VALU_DEP_1)
	v_and_b32_e32 v25, 0x7f, v22
	v_cmpx_ne_u32_e32 0x7f, v25
	s_cbranch_execz .LBB345_60
; %bb.57:                               ;   in Loop: Header=BB345_15 Depth=1
	v_dual_mov_b32 v23, v21 :: v_dual_bitop2_b32 v22, 7, v22 bitop3:0x40
	v_lshrrev_b32_e32 v24, 3, v25
	s_mov_b32 s46, exec_lo
	v_cmpx_gt_u32_e32 8, v25
; %bb.58:                               ;   in Loop: Header=BB345_15 Depth=1
	s_delay_alu instid0(VALU_DEP_3) | instskip(NEXT) | instid1(VALU_DEP_1)
	v_clz_i32_u32_e32 v24, v22
	v_min_u32_e32 v24, 32, v24
	s_delay_alu instid0(VALU_DEP_1) | instskip(NEXT) | instid1(VALU_DEP_1)
	v_subrev_nc_u32_e32 v25, 28, v24
	v_lshlrev_b64_e32 v[22:23], v25, v[22:23]
	s_delay_alu instid0(VALU_DEP_1)
	v_dual_sub_nc_u32 v24, 29, v24 :: v_dual_bitop2_b32 v22, 7, v22 bitop3:0x40
; %bb.59:                               ;   in Loop: Header=BB345_15 Depth=1
	s_or_b32 exec_lo, exec_lo, s46
	s_delay_alu instid0(VALU_DEP_1) | instskip(NEXT) | instid1(VALU_DEP_2)
	v_dual_lshlrev_b32 v20, 16, v20 :: v_dual_lshlrev_b32 v22, 20, v22
	v_lshl_add_u32 v23, v24, 23, 0x3c000000
	s_delay_alu instid0(VALU_DEP_2) | instskip(NEXT) | instid1(VALU_DEP_1)
	v_and_b32_e32 v20, 0x80000000, v20
	v_or3_b32 v81, v22, v20, v23
.LBB345_60:                             ;   in Loop: Header=BB345_15 Depth=1
	s_or_b32 exec_lo, exec_lo, s45
.LBB345_61:                             ;   in Loop: Header=BB345_15 Depth=1
	s_delay_alu instid0(SALU_CYCLE_1)
	s_or_b32 exec_lo, exec_lo, s44
.LBB345_62:                             ;   in Loop: Header=BB345_15 Depth=1
	s_delay_alu instid0(SALU_CYCLE_1) | instskip(SKIP_3) | instid1(VALU_DEP_2)
	s_or_b32 exec_lo, exec_lo, s43
	v_dual_mov_b32 v83, 0 :: v_dual_lshrrev_b32 v22, 16, v1
	v_mov_b32_e32 v82, 0
	s_mov_b32 s43, exec_lo
	v_and_b32_e32 v20, 0xff, v22
	s_delay_alu instid0(VALU_DEP_1)
	v_cmpx_ne_u16_e32 0, v20
	s_cbranch_execz .LBB345_70
; %bb.63:                               ;   in Loop: Header=BB345_15 Depth=1
	v_bfrev_b32_e32 v82, 1
	s_mov_b32 s44, exec_lo
	v_cmpx_ne_u16_e32 0x80, v20
	s_cbranch_execz .LBB345_69
; %bb.64:                               ;   in Loop: Header=BB345_15 Depth=1
	v_bfe_u32 v24, v1, 16, 7
	v_mov_b32_e32 v82, 0x7f800001
	s_mov_b32 s45, exec_lo
	s_delay_alu instid0(VALU_DEP_2)
	v_cmpx_ne_u32_e32 0x7f, v24
	s_cbranch_execz .LBB345_68
; %bb.65:                               ;   in Loop: Header=BB345_15 Depth=1
	v_dual_lshrrev_b32 v23, 3, v24 :: v_dual_bitop2_b32 v20, 7, v22 bitop3:0x40
	s_mov_b32 s46, exec_lo
	v_cmpx_gt_u32_e32 8, v24
; %bb.66:                               ;   in Loop: Header=BB345_15 Depth=1
	s_delay_alu instid0(VALU_DEP_2) | instskip(NEXT) | instid1(VALU_DEP_1)
	v_clz_i32_u32_e32 v23, v20
	v_min_u32_e32 v23, 32, v23
	s_delay_alu instid0(VALU_DEP_1) | instskip(NEXT) | instid1(VALU_DEP_1)
	v_subrev_nc_u32_e32 v24, 28, v23
	v_lshlrev_b64_e32 v[24:25], v24, v[20:21]
	s_delay_alu instid0(VALU_DEP_1)
	v_dual_sub_nc_u32 v23, 29, v23 :: v_dual_bitop2_b32 v20, 7, v24 bitop3:0x40
; %bb.67:                               ;   in Loop: Header=BB345_15 Depth=1
	s_or_b32 exec_lo, exec_lo, s46
	s_delay_alu instid0(VALU_DEP_1) | instskip(NEXT) | instid1(VALU_DEP_2)
	v_dual_lshlrev_b32 v22, 24, v22 :: v_dual_lshlrev_b32 v20, 20, v20
	v_lshl_add_u32 v23, v23, 23, 0x3c000000
	s_delay_alu instid0(VALU_DEP_2) | instskip(NEXT) | instid1(VALU_DEP_1)
	v_and_b32_e32 v22, 0x80000000, v22
	v_or3_b32 v82, v20, v22, v23
.LBB345_68:                             ;   in Loop: Header=BB345_15 Depth=1
	s_or_b32 exec_lo, exec_lo, s45
.LBB345_69:                             ;   in Loop: Header=BB345_15 Depth=1
	s_delay_alu instid0(SALU_CYCLE_1)
	s_or_b32 exec_lo, exec_lo, s44
.LBB345_70:                             ;   in Loop: Header=BB345_15 Depth=1
	s_delay_alu instid0(SALU_CYCLE_1) | instskip(NEXT) | instid1(SALU_CYCLE_1)
	s_or_b32 exec_lo, exec_lo, s43
	s_mov_b32 s43, exec_lo
	v_cmpx_lt_u64_e64 s[26:27], v[0:1]
	s_cbranch_execz .LBB345_78
; %bb.71:                               ;   in Loop: Header=BB345_15 Depth=1
	v_lshrrev_b32_e32 v0, 24, v1
	v_bfrev_b32_e32 v83, 1
	s_mov_b32 s44, exec_lo
	s_delay_alu instid0(VALU_DEP_2)
	v_cmpx_ne_u32_e32 0x80, v0
	s_cbranch_execz .LBB345_77
; %bb.72:                               ;   in Loop: Header=BB345_15 Depth=1
	v_bfe_u32 v22, v1, 24, 7
	v_mov_b32_e32 v83, 0x7f800001
	s_mov_b32 s45, exec_lo
	s_delay_alu instid0(VALU_DEP_2)
	v_cmpx_ne_u32_e32 0x7f, v22
	s_cbranch_execz .LBB345_76
; %bb.73:                               ;   in Loop: Header=BB345_15 Depth=1
	v_dual_lshrrev_b32 v1, 3, v22 :: v_dual_bitop2_b32 v20, 7, v0 bitop3:0x40
	s_mov_b32 s46, exec_lo
	v_cmpx_gt_u32_e32 8, v22
; %bb.74:                               ;   in Loop: Header=BB345_15 Depth=1
	s_delay_alu instid0(VALU_DEP_2) | instskip(NEXT) | instid1(VALU_DEP_1)
	v_clz_i32_u32_e32 v1, v20
	v_min_u32_e32 v1, 32, v1
	s_delay_alu instid0(VALU_DEP_1) | instskip(NEXT) | instid1(VALU_DEP_1)
	v_subrev_nc_u32_e32 v22, 28, v1
	v_lshlrev_b64_e32 v[22:23], v22, v[20:21]
	s_delay_alu instid0(VALU_DEP_1)
	v_dual_sub_nc_u32 v1, 29, v1 :: v_dual_bitop2_b32 v20, 7, v22 bitop3:0x40
; %bb.75:                               ;   in Loop: Header=BB345_15 Depth=1
	s_or_b32 exec_lo, exec_lo, s46
	v_lshlrev_b32_e32 v0, 24, v0
	s_delay_alu instid0(VALU_DEP_2) | instskip(NEXT) | instid1(VALU_DEP_3)
	v_lshlrev_b32_e32 v20, 20, v20
	v_lshl_add_u32 v1, v1, 23, 0x3c000000
	s_delay_alu instid0(VALU_DEP_3) | instskip(NEXT) | instid1(VALU_DEP_1)
	v_and_b32_e32 v0, 0x80000000, v0
	v_or3_b32 v83, v20, v0, v1
.LBB345_76:                             ;   in Loop: Header=BB345_15 Depth=1
	s_or_b32 exec_lo, exec_lo, s45
.LBB345_77:                             ;   in Loop: Header=BB345_15 Depth=1
	s_delay_alu instid0(SALU_CYCLE_1)
	s_or_b32 exec_lo, exec_lo, s44
.LBB345_78:                             ;   in Loop: Header=BB345_15 Depth=1
	s_delay_alu instid0(SALU_CYCLE_1)
	s_or_b32 exec_lo, exec_lo, s43
	global_load_b64 v[0:1], v[88:89], off offset:8
	v_dual_mov_b32 v85, 0 :: v_dual_mov_b32 v84, 0
	s_mov_b32 s43, exec_lo
	s_wait_loadcnt 0x0
	v_and_b32_e32 v20, 0xff, v0
	s_wait_xcnt 0x0
	s_delay_alu instid0(VALU_DEP_1)
	v_cmpx_ne_u16_e32 0, v20
	s_cbranch_execz .LBB345_84
; %bb.79:                               ;   in Loop: Header=BB345_15 Depth=1
	v_bfrev_b32_e32 v84, 1
	s_mov_b32 s44, exec_lo
	v_cmpx_ne_u16_e32 0x80, v20
	s_cbranch_execz .LBB345_83
; %bb.80:                               ;   in Loop: Header=BB345_15 Depth=1
	v_and_b32_e32 v20, 0x7f, v0
	v_mov_b32_e32 v84, 0x7f800001
	s_mov_b32 s45, exec_lo
	s_delay_alu instid0(VALU_DEP_2)
	v_cmpx_ne_u32_e32 0x7f, v20
	s_cbranch_execz .LBB345_82
; %bb.81:                               ;   in Loop: Header=BB345_15 Depth=1
	v_and_b32_e32 v22, 7, v0
	v_cmp_gt_u32_e64 s3, 8, v20
	s_delay_alu instid0(VALU_DEP_2) | instskip(NEXT) | instid1(VALU_DEP_1)
	v_clz_i32_u32_e32 v22, v22
	v_min_u32_e32 v22, 32, v22
	v_lshrrev_b32_e32 v23, 3, v20
	s_delay_alu instid0(VALU_DEP_2) | instskip(SKIP_1) | instid1(VALU_DEP_1)
	v_subrev_nc_u32_e32 v24, 28, v22
	v_sub_nc_u32_e32 v22, 29, v22
	v_dual_cndmask_b32 v20, v23, v22, s3 :: v_dual_cndmask_b32 v22, 0, v24, s3
	s_delay_alu instid0(VALU_DEP_1) | instskip(NEXT) | instid1(VALU_DEP_2)
	v_lshl_add_u32 v20, v20, 23, 0x3c000000
	v_lshlrev_b64_e32 v[22:23], v22, v[0:1]
	v_lshlrev_b32_e32 v23, 24, v0
	s_delay_alu instid0(VALU_DEP_1) | instskip(NEXT) | instid1(VALU_DEP_3)
	v_and_b32_e32 v23, 0x80000000, v23
	v_lshlrev_b32_e32 v22, 20, v22
	s_delay_alu instid0(VALU_DEP_1) | instskip(NEXT) | instid1(VALU_DEP_1)
	v_and_b32_e32 v22, 0x700000, v22
	v_or3_b32 v84, v22, v23, v20
.LBB345_82:                             ;   in Loop: Header=BB345_15 Depth=1
	s_or_b32 exec_lo, exec_lo, s45
.LBB345_83:                             ;   in Loop: Header=BB345_15 Depth=1
	s_delay_alu instid0(SALU_CYCLE_1)
	s_or_b32 exec_lo, exec_lo, s44
.LBB345_84:                             ;   in Loop: Header=BB345_15 Depth=1
	s_delay_alu instid0(SALU_CYCLE_1) | instskip(SKIP_2) | instid1(VALU_DEP_1)
	s_or_b32 exec_lo, exec_lo, s43
	v_lshrrev_b16 v20, 8, v0
	s_mov_b32 s43, exec_lo
	v_cmpx_ne_u16_e32 0, v20
	s_cbranch_execz .LBB345_92
; %bb.85:                               ;   in Loop: Header=BB345_15 Depth=1
	v_bfrev_b32_e32 v85, 1
	s_mov_b32 s44, exec_lo
	v_cmpx_ne_u16_e32 0x80, v20
	s_cbranch_execz .LBB345_91
; %bb.86:                               ;   in Loop: Header=BB345_15 Depth=1
	v_and_b32_e32 v20, 0xffff, v20
	v_mov_b32_e32 v85, 0x7f800001
	s_mov_b32 s45, exec_lo
	s_delay_alu instid0(VALU_DEP_2) | instskip(NEXT) | instid1(VALU_DEP_1)
	v_and_b32_e32 v23, 0x7f, v20
	v_cmpx_ne_u32_e32 0x7f, v23
	s_cbranch_execz .LBB345_90
; %bb.87:                               ;   in Loop: Header=BB345_15 Depth=1
	v_dual_lshrrev_b32 v22, 3, v23 :: v_dual_bitop2_b32 v20, 7, v20 bitop3:0x40
	s_mov_b32 s46, exec_lo
	v_cmpx_gt_u32_e32 8, v23
; %bb.88:                               ;   in Loop: Header=BB345_15 Depth=1
	s_delay_alu instid0(VALU_DEP_2) | instskip(NEXT) | instid1(VALU_DEP_1)
	v_clz_i32_u32_e32 v22, v20
	v_min_u32_e32 v22, 32, v22
	s_delay_alu instid0(VALU_DEP_1) | instskip(NEXT) | instid1(VALU_DEP_1)
	v_subrev_nc_u32_e32 v23, 28, v22
	v_lshlrev_b64_e32 v[24:25], v23, v[20:21]
	s_delay_alu instid0(VALU_DEP_1)
	v_dual_sub_nc_u32 v22, 29, v22 :: v_dual_bitop2_b32 v20, 7, v24 bitop3:0x40
; %bb.89:                               ;   in Loop: Header=BB345_15 Depth=1
	s_or_b32 exec_lo, exec_lo, s46
	v_lshlrev_b32_e32 v23, 16, v0
	s_delay_alu instid0(VALU_DEP_2) | instskip(NEXT) | instid1(VALU_DEP_3)
	v_lshlrev_b32_e32 v20, 20, v20
	v_lshl_add_u32 v22, v22, 23, 0x3c000000
	s_delay_alu instid0(VALU_DEP_3) | instskip(NEXT) | instid1(VALU_DEP_1)
	v_and_b32_e32 v23, 0x80000000, v23
	v_or3_b32 v85, v20, v23, v22
.LBB345_90:                             ;   in Loop: Header=BB345_15 Depth=1
	s_or_b32 exec_lo, exec_lo, s45
.LBB345_91:                             ;   in Loop: Header=BB345_15 Depth=1
	s_delay_alu instid0(SALU_CYCLE_1)
	s_or_b32 exec_lo, exec_lo, s44
.LBB345_92:                             ;   in Loop: Header=BB345_15 Depth=1
	s_delay_alu instid0(SALU_CYCLE_1) | instskip(SKIP_3) | instid1(VALU_DEP_2)
	s_or_b32 exec_lo, exec_lo, s43
	v_dual_mov_b32 v87, 0 :: v_dual_lshrrev_b32 v22, 16, v0
	v_mov_b32_e32 v86, 0
	s_mov_b32 s43, exec_lo
	v_and_b32_e32 v20, 0xff, v22
	s_delay_alu instid0(VALU_DEP_1)
	v_cmpx_ne_u16_e32 0, v20
	s_cbranch_execz .LBB345_100
; %bb.93:                               ;   in Loop: Header=BB345_15 Depth=1
	v_bfrev_b32_e32 v86, 1
	s_mov_b32 s44, exec_lo
	v_cmpx_ne_u16_e32 0x80, v20
	s_cbranch_execz .LBB345_99
; %bb.94:                               ;   in Loop: Header=BB345_15 Depth=1
	v_bfe_u32 v24, v0, 16, 7
	v_mov_b32_e32 v86, 0x7f800001
	s_mov_b32 s45, exec_lo
	s_delay_alu instid0(VALU_DEP_2)
	v_cmpx_ne_u32_e32 0x7f, v24
	s_cbranch_execz .LBB345_98
; %bb.95:                               ;   in Loop: Header=BB345_15 Depth=1
	v_dual_lshrrev_b32 v23, 3, v24 :: v_dual_bitop2_b32 v20, 7, v22 bitop3:0x40
	s_mov_b32 s46, exec_lo
	v_cmpx_gt_u32_e32 8, v24
; %bb.96:                               ;   in Loop: Header=BB345_15 Depth=1
	s_delay_alu instid0(VALU_DEP_2) | instskip(NEXT) | instid1(VALU_DEP_1)
	v_clz_i32_u32_e32 v23, v20
	v_min_u32_e32 v23, 32, v23
	s_delay_alu instid0(VALU_DEP_1) | instskip(NEXT) | instid1(VALU_DEP_1)
	v_subrev_nc_u32_e32 v24, 28, v23
	v_lshlrev_b64_e32 v[24:25], v24, v[20:21]
	s_delay_alu instid0(VALU_DEP_1)
	v_dual_sub_nc_u32 v23, 29, v23 :: v_dual_bitop2_b32 v20, 7, v24 bitop3:0x40
; %bb.97:                               ;   in Loop: Header=BB345_15 Depth=1
	s_or_b32 exec_lo, exec_lo, s46
	s_delay_alu instid0(VALU_DEP_1) | instskip(NEXT) | instid1(VALU_DEP_2)
	v_dual_lshlrev_b32 v22, 24, v22 :: v_dual_lshlrev_b32 v20, 20, v20
	v_lshl_add_u32 v23, v23, 23, 0x3c000000
	s_delay_alu instid0(VALU_DEP_2) | instskip(NEXT) | instid1(VALU_DEP_1)
	v_and_b32_e32 v22, 0x80000000, v22
	v_or3_b32 v86, v20, v22, v23
.LBB345_98:                             ;   in Loop: Header=BB345_15 Depth=1
	s_or_b32 exec_lo, exec_lo, s45
.LBB345_99:                             ;   in Loop: Header=BB345_15 Depth=1
	s_delay_alu instid0(SALU_CYCLE_1)
	s_or_b32 exec_lo, exec_lo, s44
.LBB345_100:                            ;   in Loop: Header=BB345_15 Depth=1
	s_delay_alu instid0(SALU_CYCLE_1) | instskip(NEXT) | instid1(SALU_CYCLE_1)
	s_or_b32 exec_lo, exec_lo, s43
	s_mov_b32 s43, exec_lo
	v_cmpx_lt_u32_e32 0xffffff, v0
	s_cbranch_execz .LBB345_108
; %bb.101:                              ;   in Loop: Header=BB345_15 Depth=1
	v_lshrrev_b32_e32 v22, 24, v0
	v_bfrev_b32_e32 v87, 1
	s_mov_b32 s44, exec_lo
	s_delay_alu instid0(VALU_DEP_2)
	v_cmpx_ne_u32_e32 0x80, v22
	s_cbranch_execz .LBB345_107
; %bb.102:                              ;   in Loop: Header=BB345_15 Depth=1
	v_bfe_u32 v24, v0, 24, 7
	v_mov_b32_e32 v87, 0x7f800001
	s_mov_b32 s45, exec_lo
	s_delay_alu instid0(VALU_DEP_2)
	v_cmpx_ne_u32_e32 0x7f, v24
	s_cbranch_execz .LBB345_106
; %bb.103:                              ;   in Loop: Header=BB345_15 Depth=1
	v_dual_lshrrev_b32 v23, 3, v24 :: v_dual_bitop2_b32 v20, 7, v22 bitop3:0x40
	s_mov_b32 s46, exec_lo
	v_cmpx_gt_u32_e32 8, v24
; %bb.104:                              ;   in Loop: Header=BB345_15 Depth=1
	s_delay_alu instid0(VALU_DEP_2) | instskip(NEXT) | instid1(VALU_DEP_1)
	v_clz_i32_u32_e32 v23, v20
	v_min_u32_e32 v23, 32, v23
	s_delay_alu instid0(VALU_DEP_1) | instskip(NEXT) | instid1(VALU_DEP_1)
	v_subrev_nc_u32_e32 v24, 28, v23
	v_lshlrev_b64_e32 v[24:25], v24, v[20:21]
	s_delay_alu instid0(VALU_DEP_1)
	v_dual_sub_nc_u32 v23, 29, v23 :: v_dual_bitop2_b32 v20, 7, v24 bitop3:0x40
; %bb.105:                              ;   in Loop: Header=BB345_15 Depth=1
	s_or_b32 exec_lo, exec_lo, s46
	s_delay_alu instid0(VALU_DEP_1) | instskip(NEXT) | instid1(VALU_DEP_2)
	v_dual_lshlrev_b32 v22, 24, v22 :: v_dual_lshlrev_b32 v20, 20, v20
	v_lshl_add_u32 v23, v23, 23, 0x3c000000
	s_delay_alu instid0(VALU_DEP_2) | instskip(NEXT) | instid1(VALU_DEP_1)
	v_and_b32_e32 v22, 0x80000000, v22
	v_or3_b32 v87, v20, v22, v23
.LBB345_106:                            ;   in Loop: Header=BB345_15 Depth=1
	s_or_b32 exec_lo, exec_lo, s45
.LBB345_107:                            ;   in Loop: Header=BB345_15 Depth=1
	s_delay_alu instid0(SALU_CYCLE_1)
	s_or_b32 exec_lo, exec_lo, s44
.LBB345_108:                            ;   in Loop: Header=BB345_15 Depth=1
	s_delay_alu instid0(SALU_CYCLE_1) | instskip(SKIP_4) | instid1(VALU_DEP_3)
	s_or_b32 exec_lo, exec_lo, s43
	v_and_b32_e32 v22, 0xff, v1
	v_dual_mov_b32 v20, v1 :: v_dual_mov_b32 v91, 0
	v_mov_b32_e32 v90, 0
	s_mov_b32 s43, exec_lo
	v_cmpx_ne_u16_e32 0, v22
	s_cbranch_execz .LBB345_114
; %bb.109:                              ;   in Loop: Header=BB345_15 Depth=1
	v_bfrev_b32_e32 v90, 1
	s_mov_b32 s44, exec_lo
	v_cmpx_ne_u16_e32 0x80, v22
	s_cbranch_execz .LBB345_113
; %bb.110:                              ;   in Loop: Header=BB345_15 Depth=1
	v_and_b32_e32 v22, 0x7f, v1
	v_mov_b32_e32 v90, 0x7f800001
	s_mov_b32 s45, exec_lo
	s_delay_alu instid0(VALU_DEP_2)
	v_cmpx_ne_u32_e32 0x7f, v22
	s_cbranch_execz .LBB345_112
; %bb.111:                              ;   in Loop: Header=BB345_15 Depth=1
	v_dual_lshrrev_b32 v24, 3, v22 :: v_dual_bitop2_b32 v23, 7, v1 bitop3:0x40
	v_cmp_gt_u32_e64 s3, 8, v22
	s_delay_alu instid0(VALU_DEP_2) | instskip(NEXT) | instid1(VALU_DEP_1)
	v_clz_i32_u32_e32 v23, v23
	v_min_u32_e32 v23, 32, v23
	s_delay_alu instid0(VALU_DEP_1) | instskip(NEXT) | instid1(VALU_DEP_1)
	v_subrev_nc_u32_e32 v25, 28, v23
	v_dual_sub_nc_u32 v23, 29, v23 :: v_dual_cndmask_b32 v22, 0, v25, s3
	s_delay_alu instid0(VALU_DEP_1) | instskip(NEXT) | instid1(VALU_DEP_2)
	v_cndmask_b32_e64 v24, v24, v23, s3
	v_lshlrev_b64_e32 v[22:23], v22, v[20:21]
	v_lshlrev_b32_e32 v23, 24, v20
	s_delay_alu instid0(VALU_DEP_3) | instskip(NEXT) | instid1(VALU_DEP_2)
	v_lshl_add_u32 v24, v24, 23, 0x3c000000
	v_and_b32_e32 v23, 0x80000000, v23
	s_delay_alu instid0(VALU_DEP_4) | instskip(NEXT) | instid1(VALU_DEP_1)
	v_lshlrev_b32_e32 v22, 20, v22
	v_and_b32_e32 v22, 0x700000, v22
	s_delay_alu instid0(VALU_DEP_1)
	v_or3_b32 v90, v22, v23, v24
.LBB345_112:                            ;   in Loop: Header=BB345_15 Depth=1
	s_or_b32 exec_lo, exec_lo, s45
.LBB345_113:                            ;   in Loop: Header=BB345_15 Depth=1
	s_delay_alu instid0(SALU_CYCLE_1)
	s_or_b32 exec_lo, exec_lo, s44
.LBB345_114:                            ;   in Loop: Header=BB345_15 Depth=1
	s_delay_alu instid0(SALU_CYCLE_1) | instskip(SKIP_2) | instid1(VALU_DEP_1)
	s_or_b32 exec_lo, exec_lo, s43
	v_lshrrev_b16 v22, 8, v20
	s_mov_b32 s43, exec_lo
	v_cmpx_ne_u16_e32 0, v22
	s_cbranch_execz .LBB345_122
; %bb.115:                              ;   in Loop: Header=BB345_15 Depth=1
	v_bfrev_b32_e32 v91, 1
	s_mov_b32 s44, exec_lo
	v_cmpx_ne_u16_e32 0x80, v22
	s_cbranch_execz .LBB345_121
; %bb.116:                              ;   in Loop: Header=BB345_15 Depth=1
	v_and_b32_e32 v22, 0xffff, v22
	v_mov_b32_e32 v91, 0x7f800001
	s_mov_b32 s45, exec_lo
	s_delay_alu instid0(VALU_DEP_2) | instskip(NEXT) | instid1(VALU_DEP_1)
	v_and_b32_e32 v25, 0x7f, v22
	v_cmpx_ne_u32_e32 0x7f, v25
	s_cbranch_execz .LBB345_120
; %bb.117:                              ;   in Loop: Header=BB345_15 Depth=1
	v_dual_mov_b32 v23, v21 :: v_dual_bitop2_b32 v22, 7, v22 bitop3:0x40
	v_lshrrev_b32_e32 v24, 3, v25
	s_mov_b32 s46, exec_lo
	v_cmpx_gt_u32_e32 8, v25
; %bb.118:                              ;   in Loop: Header=BB345_15 Depth=1
	s_delay_alu instid0(VALU_DEP_3) | instskip(NEXT) | instid1(VALU_DEP_1)
	v_clz_i32_u32_e32 v24, v22
	v_min_u32_e32 v24, 32, v24
	s_delay_alu instid0(VALU_DEP_1) | instskip(NEXT) | instid1(VALU_DEP_1)
	v_subrev_nc_u32_e32 v25, 28, v24
	v_lshlrev_b64_e32 v[22:23], v25, v[22:23]
	s_delay_alu instid0(VALU_DEP_1)
	v_dual_sub_nc_u32 v24, 29, v24 :: v_dual_bitop2_b32 v22, 7, v22 bitop3:0x40
; %bb.119:                              ;   in Loop: Header=BB345_15 Depth=1
	s_or_b32 exec_lo, exec_lo, s46
	s_delay_alu instid0(VALU_DEP_1) | instskip(NEXT) | instid1(VALU_DEP_2)
	v_dual_lshlrev_b32 v20, 16, v20 :: v_dual_lshlrev_b32 v22, 20, v22
	v_lshl_add_u32 v23, v24, 23, 0x3c000000
	s_delay_alu instid0(VALU_DEP_2) | instskip(NEXT) | instid1(VALU_DEP_1)
	v_and_b32_e32 v20, 0x80000000, v20
	v_or3_b32 v91, v22, v20, v23
.LBB345_120:                            ;   in Loop: Header=BB345_15 Depth=1
	s_or_b32 exec_lo, exec_lo, s45
.LBB345_121:                            ;   in Loop: Header=BB345_15 Depth=1
	s_delay_alu instid0(SALU_CYCLE_1)
	s_or_b32 exec_lo, exec_lo, s44
.LBB345_122:                            ;   in Loop: Header=BB345_15 Depth=1
	s_delay_alu instid0(SALU_CYCLE_1) | instskip(SKIP_3) | instid1(VALU_DEP_2)
	s_or_b32 exec_lo, exec_lo, s43
	v_dual_mov_b32 v93, 0 :: v_dual_lshrrev_b32 v22, 16, v1
	v_mov_b32_e32 v92, 0
	s_mov_b32 s43, exec_lo
	v_and_b32_e32 v20, 0xff, v22
	s_delay_alu instid0(VALU_DEP_1)
	v_cmpx_ne_u16_e32 0, v20
	s_cbranch_execz .LBB345_130
; %bb.123:                              ;   in Loop: Header=BB345_15 Depth=1
	v_bfrev_b32_e32 v92, 1
	s_mov_b32 s44, exec_lo
	v_cmpx_ne_u16_e32 0x80, v20
	s_cbranch_execz .LBB345_129
; %bb.124:                              ;   in Loop: Header=BB345_15 Depth=1
	v_bfe_u32 v24, v1, 16, 7
	v_mov_b32_e32 v92, 0x7f800001
	s_mov_b32 s45, exec_lo
	s_delay_alu instid0(VALU_DEP_2)
	v_cmpx_ne_u32_e32 0x7f, v24
	s_cbranch_execz .LBB345_128
; %bb.125:                              ;   in Loop: Header=BB345_15 Depth=1
	v_dual_lshrrev_b32 v23, 3, v24 :: v_dual_bitop2_b32 v20, 7, v22 bitop3:0x40
	s_mov_b32 s46, exec_lo
	v_cmpx_gt_u32_e32 8, v24
; %bb.126:                              ;   in Loop: Header=BB345_15 Depth=1
	s_delay_alu instid0(VALU_DEP_2) | instskip(NEXT) | instid1(VALU_DEP_1)
	v_clz_i32_u32_e32 v23, v20
	v_min_u32_e32 v23, 32, v23
	s_delay_alu instid0(VALU_DEP_1) | instskip(NEXT) | instid1(VALU_DEP_1)
	v_subrev_nc_u32_e32 v24, 28, v23
	v_lshlrev_b64_e32 v[24:25], v24, v[20:21]
	s_delay_alu instid0(VALU_DEP_1)
	v_dual_sub_nc_u32 v23, 29, v23 :: v_dual_bitop2_b32 v20, 7, v24 bitop3:0x40
; %bb.127:                              ;   in Loop: Header=BB345_15 Depth=1
	s_or_b32 exec_lo, exec_lo, s46
	s_delay_alu instid0(VALU_DEP_1) | instskip(NEXT) | instid1(VALU_DEP_2)
	v_dual_lshlrev_b32 v22, 24, v22 :: v_dual_lshlrev_b32 v20, 20, v20
	v_lshl_add_u32 v23, v23, 23, 0x3c000000
	s_delay_alu instid0(VALU_DEP_2) | instskip(NEXT) | instid1(VALU_DEP_1)
	v_and_b32_e32 v22, 0x80000000, v22
	v_or3_b32 v92, v20, v22, v23
.LBB345_128:                            ;   in Loop: Header=BB345_15 Depth=1
	s_or_b32 exec_lo, exec_lo, s45
.LBB345_129:                            ;   in Loop: Header=BB345_15 Depth=1
	s_delay_alu instid0(SALU_CYCLE_1)
	s_or_b32 exec_lo, exec_lo, s44
.LBB345_130:                            ;   in Loop: Header=BB345_15 Depth=1
	s_delay_alu instid0(SALU_CYCLE_1) | instskip(NEXT) | instid1(SALU_CYCLE_1)
	s_or_b32 exec_lo, exec_lo, s43
	s_mov_b32 s43, exec_lo
	v_cmpx_lt_u64_e64 s[26:27], v[0:1]
	s_cbranch_execz .LBB345_138
; %bb.131:                              ;   in Loop: Header=BB345_15 Depth=1
	v_lshrrev_b32_e32 v0, 24, v1
	v_bfrev_b32_e32 v93, 1
	s_mov_b32 s44, exec_lo
	s_delay_alu instid0(VALU_DEP_2)
	v_cmpx_ne_u32_e32 0x80, v0
	s_cbranch_execz .LBB345_137
; %bb.132:                              ;   in Loop: Header=BB345_15 Depth=1
	v_bfe_u32 v22, v1, 24, 7
	v_mov_b32_e32 v93, 0x7f800001
	s_mov_b32 s45, exec_lo
	s_delay_alu instid0(VALU_DEP_2)
	v_cmpx_ne_u32_e32 0x7f, v22
	s_cbranch_execz .LBB345_136
; %bb.133:                              ;   in Loop: Header=BB345_15 Depth=1
	v_dual_lshrrev_b32 v1, 3, v22 :: v_dual_bitop2_b32 v20, 7, v0 bitop3:0x40
	s_mov_b32 s46, exec_lo
	v_cmpx_gt_u32_e32 8, v22
; %bb.134:                              ;   in Loop: Header=BB345_15 Depth=1
	s_delay_alu instid0(VALU_DEP_2) | instskip(NEXT) | instid1(VALU_DEP_1)
	v_clz_i32_u32_e32 v1, v20
	v_min_u32_e32 v1, 32, v1
	s_delay_alu instid0(VALU_DEP_1) | instskip(NEXT) | instid1(VALU_DEP_1)
	v_subrev_nc_u32_e32 v22, 28, v1
	v_lshlrev_b64_e32 v[22:23], v22, v[20:21]
	s_delay_alu instid0(VALU_DEP_1)
	v_dual_sub_nc_u32 v1, 29, v1 :: v_dual_bitop2_b32 v20, 7, v22 bitop3:0x40
; %bb.135:                              ;   in Loop: Header=BB345_15 Depth=1
	s_or_b32 exec_lo, exec_lo, s46
	v_lshlrev_b32_e32 v0, 24, v0
	s_delay_alu instid0(VALU_DEP_2) | instskip(NEXT) | instid1(VALU_DEP_3)
	v_lshlrev_b32_e32 v20, 20, v20
	v_lshl_add_u32 v1, v1, 23, 0x3c000000
	s_delay_alu instid0(VALU_DEP_3) | instskip(NEXT) | instid1(VALU_DEP_1)
	v_and_b32_e32 v0, 0x80000000, v0
	v_or3_b32 v93, v20, v0, v1
.LBB345_136:                            ;   in Loop: Header=BB345_15 Depth=1
	s_or_b32 exec_lo, exec_lo, s45
.LBB345_137:                            ;   in Loop: Header=BB345_15 Depth=1
	s_delay_alu instid0(SALU_CYCLE_1)
	s_or_b32 exec_lo, exec_lo, s44
.LBB345_138:                            ;   in Loop: Header=BB345_15 Depth=1
	s_delay_alu instid0(SALU_CYCLE_1)
	s_or_b32 exec_lo, exec_lo, s43
	global_load_b64 v[0:1], v[88:89], off offset:512
	v_dual_mov_b32 v95, 0 :: v_dual_mov_b32 v94, 0
	s_mov_b32 s43, exec_lo
	s_wait_loadcnt 0x0
	v_and_b32_e32 v20, 0xff, v0
	s_wait_xcnt 0x0
	s_delay_alu instid0(VALU_DEP_1)
	v_cmpx_ne_u16_e32 0, v20
	s_cbranch_execz .LBB345_144
; %bb.139:                              ;   in Loop: Header=BB345_15 Depth=1
	v_bfrev_b32_e32 v94, 1
	s_mov_b32 s44, exec_lo
	v_cmpx_ne_u16_e32 0x80, v20
	s_cbranch_execz .LBB345_143
; %bb.140:                              ;   in Loop: Header=BB345_15 Depth=1
	v_and_b32_e32 v20, 0x7f, v0
	v_mov_b32_e32 v94, 0x7f800001
	s_mov_b32 s45, exec_lo
	s_delay_alu instid0(VALU_DEP_2)
	v_cmpx_ne_u32_e32 0x7f, v20
	s_cbranch_execz .LBB345_142
; %bb.141:                              ;   in Loop: Header=BB345_15 Depth=1
	v_and_b32_e32 v22, 7, v0
	v_cmp_gt_u32_e64 s3, 8, v20
	s_delay_alu instid0(VALU_DEP_2) | instskip(NEXT) | instid1(VALU_DEP_1)
	v_clz_i32_u32_e32 v22, v22
	v_min_u32_e32 v22, 32, v22
	v_lshrrev_b32_e32 v23, 3, v20
	s_delay_alu instid0(VALU_DEP_2) | instskip(SKIP_1) | instid1(VALU_DEP_1)
	v_subrev_nc_u32_e32 v24, 28, v22
	v_sub_nc_u32_e32 v22, 29, v22
	v_dual_cndmask_b32 v20, v23, v22, s3 :: v_dual_cndmask_b32 v22, 0, v24, s3
	s_delay_alu instid0(VALU_DEP_1) | instskip(NEXT) | instid1(VALU_DEP_2)
	v_lshl_add_u32 v20, v20, 23, 0x3c000000
	v_lshlrev_b64_e32 v[22:23], v22, v[0:1]
	v_lshlrev_b32_e32 v23, 24, v0
	s_delay_alu instid0(VALU_DEP_1) | instskip(NEXT) | instid1(VALU_DEP_3)
	v_and_b32_e32 v23, 0x80000000, v23
	v_lshlrev_b32_e32 v22, 20, v22
	s_delay_alu instid0(VALU_DEP_1) | instskip(NEXT) | instid1(VALU_DEP_1)
	v_and_b32_e32 v22, 0x700000, v22
	v_or3_b32 v94, v22, v23, v20
.LBB345_142:                            ;   in Loop: Header=BB345_15 Depth=1
	s_or_b32 exec_lo, exec_lo, s45
.LBB345_143:                            ;   in Loop: Header=BB345_15 Depth=1
	s_delay_alu instid0(SALU_CYCLE_1)
	s_or_b32 exec_lo, exec_lo, s44
.LBB345_144:                            ;   in Loop: Header=BB345_15 Depth=1
	s_delay_alu instid0(SALU_CYCLE_1) | instskip(SKIP_2) | instid1(VALU_DEP_1)
	s_or_b32 exec_lo, exec_lo, s43
	v_lshrrev_b16 v20, 8, v0
	s_mov_b32 s43, exec_lo
	v_cmpx_ne_u16_e32 0, v20
	s_cbranch_execz .LBB345_152
; %bb.145:                              ;   in Loop: Header=BB345_15 Depth=1
	v_bfrev_b32_e32 v95, 1
	s_mov_b32 s44, exec_lo
	v_cmpx_ne_u16_e32 0x80, v20
	s_cbranch_execz .LBB345_151
; %bb.146:                              ;   in Loop: Header=BB345_15 Depth=1
	v_and_b32_e32 v20, 0xffff, v20
	v_mov_b32_e32 v95, 0x7f800001
	s_mov_b32 s45, exec_lo
	s_delay_alu instid0(VALU_DEP_2) | instskip(NEXT) | instid1(VALU_DEP_1)
	v_and_b32_e32 v23, 0x7f, v20
	v_cmpx_ne_u32_e32 0x7f, v23
	s_cbranch_execz .LBB345_150
; %bb.147:                              ;   in Loop: Header=BB345_15 Depth=1
	v_dual_lshrrev_b32 v22, 3, v23 :: v_dual_bitop2_b32 v20, 7, v20 bitop3:0x40
	s_mov_b32 s46, exec_lo
	v_cmpx_gt_u32_e32 8, v23
; %bb.148:                              ;   in Loop: Header=BB345_15 Depth=1
	s_delay_alu instid0(VALU_DEP_2) | instskip(NEXT) | instid1(VALU_DEP_1)
	v_clz_i32_u32_e32 v22, v20
	v_min_u32_e32 v22, 32, v22
	s_delay_alu instid0(VALU_DEP_1) | instskip(NEXT) | instid1(VALU_DEP_1)
	v_subrev_nc_u32_e32 v23, 28, v22
	v_lshlrev_b64_e32 v[24:25], v23, v[20:21]
	s_delay_alu instid0(VALU_DEP_1)
	v_dual_sub_nc_u32 v22, 29, v22 :: v_dual_bitop2_b32 v20, 7, v24 bitop3:0x40
; %bb.149:                              ;   in Loop: Header=BB345_15 Depth=1
	s_or_b32 exec_lo, exec_lo, s46
	v_lshlrev_b32_e32 v23, 16, v0
	s_delay_alu instid0(VALU_DEP_2) | instskip(NEXT) | instid1(VALU_DEP_3)
	v_lshlrev_b32_e32 v20, 20, v20
	v_lshl_add_u32 v22, v22, 23, 0x3c000000
	s_delay_alu instid0(VALU_DEP_3) | instskip(NEXT) | instid1(VALU_DEP_1)
	v_and_b32_e32 v23, 0x80000000, v23
	v_or3_b32 v95, v20, v23, v22
.LBB345_150:                            ;   in Loop: Header=BB345_15 Depth=1
	s_or_b32 exec_lo, exec_lo, s45
.LBB345_151:                            ;   in Loop: Header=BB345_15 Depth=1
	s_delay_alu instid0(SALU_CYCLE_1)
	s_or_b32 exec_lo, exec_lo, s44
.LBB345_152:                            ;   in Loop: Header=BB345_15 Depth=1
	s_delay_alu instid0(SALU_CYCLE_1) | instskip(SKIP_3) | instid1(VALU_DEP_2)
	s_or_b32 exec_lo, exec_lo, s43
	v_dual_mov_b32 v97, 0 :: v_dual_lshrrev_b32 v22, 16, v0
	v_mov_b32_e32 v96, 0
	s_mov_b32 s43, exec_lo
	v_and_b32_e32 v20, 0xff, v22
	s_delay_alu instid0(VALU_DEP_1)
	v_cmpx_ne_u16_e32 0, v20
	s_cbranch_execz .LBB345_160
; %bb.153:                              ;   in Loop: Header=BB345_15 Depth=1
	v_bfrev_b32_e32 v96, 1
	s_mov_b32 s44, exec_lo
	v_cmpx_ne_u16_e32 0x80, v20
	s_cbranch_execz .LBB345_159
; %bb.154:                              ;   in Loop: Header=BB345_15 Depth=1
	v_bfe_u32 v24, v0, 16, 7
	v_mov_b32_e32 v96, 0x7f800001
	s_mov_b32 s45, exec_lo
	s_delay_alu instid0(VALU_DEP_2)
	v_cmpx_ne_u32_e32 0x7f, v24
	s_cbranch_execz .LBB345_158
; %bb.155:                              ;   in Loop: Header=BB345_15 Depth=1
	v_dual_lshrrev_b32 v23, 3, v24 :: v_dual_bitop2_b32 v20, 7, v22 bitop3:0x40
	s_mov_b32 s46, exec_lo
	v_cmpx_gt_u32_e32 8, v24
; %bb.156:                              ;   in Loop: Header=BB345_15 Depth=1
	s_delay_alu instid0(VALU_DEP_2) | instskip(NEXT) | instid1(VALU_DEP_1)
	v_clz_i32_u32_e32 v23, v20
	v_min_u32_e32 v23, 32, v23
	s_delay_alu instid0(VALU_DEP_1) | instskip(NEXT) | instid1(VALU_DEP_1)
	v_subrev_nc_u32_e32 v24, 28, v23
	v_lshlrev_b64_e32 v[24:25], v24, v[20:21]
	s_delay_alu instid0(VALU_DEP_1)
	v_dual_sub_nc_u32 v23, 29, v23 :: v_dual_bitop2_b32 v20, 7, v24 bitop3:0x40
; %bb.157:                              ;   in Loop: Header=BB345_15 Depth=1
	s_or_b32 exec_lo, exec_lo, s46
	s_delay_alu instid0(VALU_DEP_1) | instskip(NEXT) | instid1(VALU_DEP_2)
	v_dual_lshlrev_b32 v22, 24, v22 :: v_dual_lshlrev_b32 v20, 20, v20
	v_lshl_add_u32 v23, v23, 23, 0x3c000000
	s_delay_alu instid0(VALU_DEP_2) | instskip(NEXT) | instid1(VALU_DEP_1)
	v_and_b32_e32 v22, 0x80000000, v22
	v_or3_b32 v96, v20, v22, v23
.LBB345_158:                            ;   in Loop: Header=BB345_15 Depth=1
	s_or_b32 exec_lo, exec_lo, s45
.LBB345_159:                            ;   in Loop: Header=BB345_15 Depth=1
	s_delay_alu instid0(SALU_CYCLE_1)
	s_or_b32 exec_lo, exec_lo, s44
.LBB345_160:                            ;   in Loop: Header=BB345_15 Depth=1
	s_delay_alu instid0(SALU_CYCLE_1) | instskip(NEXT) | instid1(SALU_CYCLE_1)
	s_or_b32 exec_lo, exec_lo, s43
	s_mov_b32 s43, exec_lo
	v_cmpx_lt_u32_e32 0xffffff, v0
	s_cbranch_execz .LBB345_168
; %bb.161:                              ;   in Loop: Header=BB345_15 Depth=1
	v_lshrrev_b32_e32 v22, 24, v0
	v_bfrev_b32_e32 v97, 1
	s_mov_b32 s44, exec_lo
	s_delay_alu instid0(VALU_DEP_2)
	v_cmpx_ne_u32_e32 0x80, v22
	s_cbranch_execz .LBB345_167
; %bb.162:                              ;   in Loop: Header=BB345_15 Depth=1
	v_bfe_u32 v24, v0, 24, 7
	v_mov_b32_e32 v97, 0x7f800001
	s_mov_b32 s45, exec_lo
	s_delay_alu instid0(VALU_DEP_2)
	v_cmpx_ne_u32_e32 0x7f, v24
	s_cbranch_execz .LBB345_166
; %bb.163:                              ;   in Loop: Header=BB345_15 Depth=1
	v_dual_lshrrev_b32 v23, 3, v24 :: v_dual_bitop2_b32 v20, 7, v22 bitop3:0x40
	s_mov_b32 s46, exec_lo
	v_cmpx_gt_u32_e32 8, v24
; %bb.164:                              ;   in Loop: Header=BB345_15 Depth=1
	s_delay_alu instid0(VALU_DEP_2) | instskip(NEXT) | instid1(VALU_DEP_1)
	v_clz_i32_u32_e32 v23, v20
	v_min_u32_e32 v23, 32, v23
	s_delay_alu instid0(VALU_DEP_1) | instskip(NEXT) | instid1(VALU_DEP_1)
	v_subrev_nc_u32_e32 v24, 28, v23
	v_lshlrev_b64_e32 v[24:25], v24, v[20:21]
	s_delay_alu instid0(VALU_DEP_1)
	v_dual_sub_nc_u32 v23, 29, v23 :: v_dual_bitop2_b32 v20, 7, v24 bitop3:0x40
; %bb.165:                              ;   in Loop: Header=BB345_15 Depth=1
	s_or_b32 exec_lo, exec_lo, s46
	s_delay_alu instid0(VALU_DEP_1) | instskip(NEXT) | instid1(VALU_DEP_2)
	v_dual_lshlrev_b32 v22, 24, v22 :: v_dual_lshlrev_b32 v20, 20, v20
	v_lshl_add_u32 v23, v23, 23, 0x3c000000
	s_delay_alu instid0(VALU_DEP_2) | instskip(NEXT) | instid1(VALU_DEP_1)
	v_and_b32_e32 v22, 0x80000000, v22
	v_or3_b32 v97, v20, v22, v23
.LBB345_166:                            ;   in Loop: Header=BB345_15 Depth=1
	s_or_b32 exec_lo, exec_lo, s45
.LBB345_167:                            ;   in Loop: Header=BB345_15 Depth=1
	s_delay_alu instid0(SALU_CYCLE_1)
	s_or_b32 exec_lo, exec_lo, s44
.LBB345_168:                            ;   in Loop: Header=BB345_15 Depth=1
	s_delay_alu instid0(SALU_CYCLE_1) | instskip(SKIP_4) | instid1(VALU_DEP_3)
	s_or_b32 exec_lo, exec_lo, s43
	v_and_b32_e32 v22, 0xff, v1
	v_dual_mov_b32 v20, v1 :: v_dual_mov_b32 v99, 0
	v_mov_b32_e32 v98, 0
	s_mov_b32 s43, exec_lo
	v_cmpx_ne_u16_e32 0, v22
	s_cbranch_execz .LBB345_174
; %bb.169:                              ;   in Loop: Header=BB345_15 Depth=1
	v_bfrev_b32_e32 v98, 1
	s_mov_b32 s44, exec_lo
	v_cmpx_ne_u16_e32 0x80, v22
	s_cbranch_execz .LBB345_173
; %bb.170:                              ;   in Loop: Header=BB345_15 Depth=1
	v_and_b32_e32 v22, 0x7f, v1
	v_mov_b32_e32 v98, 0x7f800001
	s_mov_b32 s45, exec_lo
	s_delay_alu instid0(VALU_DEP_2)
	v_cmpx_ne_u32_e32 0x7f, v22
	s_cbranch_execz .LBB345_172
; %bb.171:                              ;   in Loop: Header=BB345_15 Depth=1
	v_dual_lshrrev_b32 v24, 3, v22 :: v_dual_bitop2_b32 v23, 7, v1 bitop3:0x40
	v_cmp_gt_u32_e64 s3, 8, v22
	s_delay_alu instid0(VALU_DEP_2) | instskip(NEXT) | instid1(VALU_DEP_1)
	v_clz_i32_u32_e32 v23, v23
	v_min_u32_e32 v23, 32, v23
	s_delay_alu instid0(VALU_DEP_1) | instskip(NEXT) | instid1(VALU_DEP_1)
	v_subrev_nc_u32_e32 v25, 28, v23
	v_dual_sub_nc_u32 v23, 29, v23 :: v_dual_cndmask_b32 v22, 0, v25, s3
	s_delay_alu instid0(VALU_DEP_1) | instskip(NEXT) | instid1(VALU_DEP_2)
	v_cndmask_b32_e64 v24, v24, v23, s3
	v_lshlrev_b64_e32 v[22:23], v22, v[20:21]
	v_lshlrev_b32_e32 v23, 24, v20
	s_delay_alu instid0(VALU_DEP_3) | instskip(NEXT) | instid1(VALU_DEP_2)
	v_lshl_add_u32 v24, v24, 23, 0x3c000000
	v_and_b32_e32 v23, 0x80000000, v23
	s_delay_alu instid0(VALU_DEP_4) | instskip(NEXT) | instid1(VALU_DEP_1)
	v_lshlrev_b32_e32 v22, 20, v22
	v_and_b32_e32 v22, 0x700000, v22
	s_delay_alu instid0(VALU_DEP_1)
	v_or3_b32 v98, v22, v23, v24
.LBB345_172:                            ;   in Loop: Header=BB345_15 Depth=1
	s_or_b32 exec_lo, exec_lo, s45
.LBB345_173:                            ;   in Loop: Header=BB345_15 Depth=1
	s_delay_alu instid0(SALU_CYCLE_1)
	s_or_b32 exec_lo, exec_lo, s44
.LBB345_174:                            ;   in Loop: Header=BB345_15 Depth=1
	s_delay_alu instid0(SALU_CYCLE_1) | instskip(SKIP_2) | instid1(VALU_DEP_1)
	s_or_b32 exec_lo, exec_lo, s43
	v_lshrrev_b16 v22, 8, v20
	s_mov_b32 s43, exec_lo
	v_cmpx_ne_u16_e32 0, v22
	s_cbranch_execz .LBB345_182
; %bb.175:                              ;   in Loop: Header=BB345_15 Depth=1
	v_bfrev_b32_e32 v99, 1
	s_mov_b32 s44, exec_lo
	v_cmpx_ne_u16_e32 0x80, v22
	s_cbranch_execz .LBB345_181
; %bb.176:                              ;   in Loop: Header=BB345_15 Depth=1
	v_and_b32_e32 v22, 0xffff, v22
	v_mov_b32_e32 v99, 0x7f800001
	s_mov_b32 s45, exec_lo
	s_delay_alu instid0(VALU_DEP_2) | instskip(NEXT) | instid1(VALU_DEP_1)
	v_and_b32_e32 v25, 0x7f, v22
	v_cmpx_ne_u32_e32 0x7f, v25
	s_cbranch_execz .LBB345_180
; %bb.177:                              ;   in Loop: Header=BB345_15 Depth=1
	v_dual_mov_b32 v23, v21 :: v_dual_bitop2_b32 v22, 7, v22 bitop3:0x40
	v_lshrrev_b32_e32 v24, 3, v25
	s_mov_b32 s46, exec_lo
	v_cmpx_gt_u32_e32 8, v25
; %bb.178:                              ;   in Loop: Header=BB345_15 Depth=1
	s_delay_alu instid0(VALU_DEP_3) | instskip(NEXT) | instid1(VALU_DEP_1)
	v_clz_i32_u32_e32 v24, v22
	v_min_u32_e32 v24, 32, v24
	s_delay_alu instid0(VALU_DEP_1) | instskip(NEXT) | instid1(VALU_DEP_1)
	v_subrev_nc_u32_e32 v25, 28, v24
	v_lshlrev_b64_e32 v[22:23], v25, v[22:23]
	s_delay_alu instid0(VALU_DEP_1)
	v_dual_sub_nc_u32 v24, 29, v24 :: v_dual_bitop2_b32 v22, 7, v22 bitop3:0x40
; %bb.179:                              ;   in Loop: Header=BB345_15 Depth=1
	s_or_b32 exec_lo, exec_lo, s46
	s_delay_alu instid0(VALU_DEP_1) | instskip(NEXT) | instid1(VALU_DEP_2)
	v_dual_lshlrev_b32 v20, 16, v20 :: v_dual_lshlrev_b32 v22, 20, v22
	v_lshl_add_u32 v23, v24, 23, 0x3c000000
	s_delay_alu instid0(VALU_DEP_2) | instskip(NEXT) | instid1(VALU_DEP_1)
	v_and_b32_e32 v20, 0x80000000, v20
	v_or3_b32 v99, v22, v20, v23
.LBB345_180:                            ;   in Loop: Header=BB345_15 Depth=1
	s_or_b32 exec_lo, exec_lo, s45
.LBB345_181:                            ;   in Loop: Header=BB345_15 Depth=1
	s_delay_alu instid0(SALU_CYCLE_1)
	s_or_b32 exec_lo, exec_lo, s44
.LBB345_182:                            ;   in Loop: Header=BB345_15 Depth=1
	s_delay_alu instid0(SALU_CYCLE_1) | instskip(SKIP_3) | instid1(VALU_DEP_2)
	s_or_b32 exec_lo, exec_lo, s43
	v_dual_mov_b32 v101, 0 :: v_dual_lshrrev_b32 v22, 16, v1
	v_mov_b32_e32 v100, 0
	s_mov_b32 s43, exec_lo
	v_and_b32_e32 v20, 0xff, v22
	s_delay_alu instid0(VALU_DEP_1)
	v_cmpx_ne_u16_e32 0, v20
	s_cbranch_execz .LBB345_190
; %bb.183:                              ;   in Loop: Header=BB345_15 Depth=1
	v_bfrev_b32_e32 v100, 1
	s_mov_b32 s44, exec_lo
	v_cmpx_ne_u16_e32 0x80, v20
	s_cbranch_execz .LBB345_189
; %bb.184:                              ;   in Loop: Header=BB345_15 Depth=1
	v_bfe_u32 v24, v1, 16, 7
	v_mov_b32_e32 v100, 0x7f800001
	s_mov_b32 s45, exec_lo
	s_delay_alu instid0(VALU_DEP_2)
	v_cmpx_ne_u32_e32 0x7f, v24
	s_cbranch_execz .LBB345_188
; %bb.185:                              ;   in Loop: Header=BB345_15 Depth=1
	v_dual_lshrrev_b32 v23, 3, v24 :: v_dual_bitop2_b32 v20, 7, v22 bitop3:0x40
	s_mov_b32 s46, exec_lo
	v_cmpx_gt_u32_e32 8, v24
; %bb.186:                              ;   in Loop: Header=BB345_15 Depth=1
	s_delay_alu instid0(VALU_DEP_2) | instskip(NEXT) | instid1(VALU_DEP_1)
	v_clz_i32_u32_e32 v23, v20
	v_min_u32_e32 v23, 32, v23
	s_delay_alu instid0(VALU_DEP_1) | instskip(NEXT) | instid1(VALU_DEP_1)
	v_subrev_nc_u32_e32 v24, 28, v23
	v_lshlrev_b64_e32 v[24:25], v24, v[20:21]
	s_delay_alu instid0(VALU_DEP_1)
	v_dual_sub_nc_u32 v23, 29, v23 :: v_dual_bitop2_b32 v20, 7, v24 bitop3:0x40
; %bb.187:                              ;   in Loop: Header=BB345_15 Depth=1
	s_or_b32 exec_lo, exec_lo, s46
	s_delay_alu instid0(VALU_DEP_1) | instskip(NEXT) | instid1(VALU_DEP_2)
	v_dual_lshlrev_b32 v22, 24, v22 :: v_dual_lshlrev_b32 v20, 20, v20
	v_lshl_add_u32 v23, v23, 23, 0x3c000000
	s_delay_alu instid0(VALU_DEP_2) | instskip(NEXT) | instid1(VALU_DEP_1)
	v_and_b32_e32 v22, 0x80000000, v22
	v_or3_b32 v100, v20, v22, v23
.LBB345_188:                            ;   in Loop: Header=BB345_15 Depth=1
	s_or_b32 exec_lo, exec_lo, s45
.LBB345_189:                            ;   in Loop: Header=BB345_15 Depth=1
	s_delay_alu instid0(SALU_CYCLE_1)
	s_or_b32 exec_lo, exec_lo, s44
.LBB345_190:                            ;   in Loop: Header=BB345_15 Depth=1
	s_delay_alu instid0(SALU_CYCLE_1) | instskip(NEXT) | instid1(SALU_CYCLE_1)
	s_or_b32 exec_lo, exec_lo, s43
	s_mov_b32 s43, exec_lo
	v_cmpx_lt_u64_e64 s[26:27], v[0:1]
	s_cbranch_execz .LBB345_198
; %bb.191:                              ;   in Loop: Header=BB345_15 Depth=1
	v_lshrrev_b32_e32 v0, 24, v1
	v_bfrev_b32_e32 v101, 1
	s_mov_b32 s44, exec_lo
	s_delay_alu instid0(VALU_DEP_2)
	v_cmpx_ne_u32_e32 0x80, v0
	s_cbranch_execz .LBB345_197
; %bb.192:                              ;   in Loop: Header=BB345_15 Depth=1
	v_bfe_u32 v22, v1, 24, 7
	v_mov_b32_e32 v101, 0x7f800001
	s_mov_b32 s45, exec_lo
	s_delay_alu instid0(VALU_DEP_2)
	v_cmpx_ne_u32_e32 0x7f, v22
	s_cbranch_execz .LBB345_196
; %bb.193:                              ;   in Loop: Header=BB345_15 Depth=1
	v_dual_lshrrev_b32 v1, 3, v22 :: v_dual_bitop2_b32 v20, 7, v0 bitop3:0x40
	s_mov_b32 s46, exec_lo
	v_cmpx_gt_u32_e32 8, v22
; %bb.194:                              ;   in Loop: Header=BB345_15 Depth=1
	s_delay_alu instid0(VALU_DEP_2) | instskip(NEXT) | instid1(VALU_DEP_1)
	v_clz_i32_u32_e32 v1, v20
	v_min_u32_e32 v1, 32, v1
	s_delay_alu instid0(VALU_DEP_1) | instskip(NEXT) | instid1(VALU_DEP_1)
	v_subrev_nc_u32_e32 v22, 28, v1
	v_lshlrev_b64_e32 v[22:23], v22, v[20:21]
	s_delay_alu instid0(VALU_DEP_1)
	v_dual_sub_nc_u32 v1, 29, v1 :: v_dual_bitop2_b32 v20, 7, v22 bitop3:0x40
; %bb.195:                              ;   in Loop: Header=BB345_15 Depth=1
	s_or_b32 exec_lo, exec_lo, s46
	v_lshlrev_b32_e32 v0, 24, v0
	s_delay_alu instid0(VALU_DEP_2) | instskip(NEXT) | instid1(VALU_DEP_3)
	v_lshlrev_b32_e32 v20, 20, v20
	v_lshl_add_u32 v1, v1, 23, 0x3c000000
	s_delay_alu instid0(VALU_DEP_3) | instskip(NEXT) | instid1(VALU_DEP_1)
	v_and_b32_e32 v0, 0x80000000, v0
	v_or3_b32 v101, v20, v0, v1
.LBB345_196:                            ;   in Loop: Header=BB345_15 Depth=1
	s_or_b32 exec_lo, exec_lo, s45
.LBB345_197:                            ;   in Loop: Header=BB345_15 Depth=1
	s_delay_alu instid0(SALU_CYCLE_1)
	s_or_b32 exec_lo, exec_lo, s44
.LBB345_198:                            ;   in Loop: Header=BB345_15 Depth=1
	s_delay_alu instid0(SALU_CYCLE_1)
	s_or_b32 exec_lo, exec_lo, s43
	global_load_b64 v[0:1], v[88:89], off offset:520
	v_dual_mov_b32 v103, 0 :: v_dual_mov_b32 v102, 0
	s_mov_b32 s43, exec_lo
	s_wait_loadcnt 0x0
	v_and_b32_e32 v20, 0xff, v0
	s_wait_xcnt 0x0
	s_delay_alu instid0(VALU_DEP_1)
	v_cmpx_ne_u16_e32 0, v20
	s_cbranch_execz .LBB345_204
; %bb.199:                              ;   in Loop: Header=BB345_15 Depth=1
	v_bfrev_b32_e32 v102, 1
	s_mov_b32 s44, exec_lo
	v_cmpx_ne_u16_e32 0x80, v20
	s_cbranch_execz .LBB345_203
; %bb.200:                              ;   in Loop: Header=BB345_15 Depth=1
	v_and_b32_e32 v20, 0x7f, v0
	v_mov_b32_e32 v102, 0x7f800001
	s_mov_b32 s45, exec_lo
	s_delay_alu instid0(VALU_DEP_2)
	v_cmpx_ne_u32_e32 0x7f, v20
	s_cbranch_execz .LBB345_202
; %bb.201:                              ;   in Loop: Header=BB345_15 Depth=1
	v_and_b32_e32 v22, 7, v0
	v_cmp_gt_u32_e64 s3, 8, v20
	s_delay_alu instid0(VALU_DEP_2) | instskip(NEXT) | instid1(VALU_DEP_1)
	v_clz_i32_u32_e32 v22, v22
	v_min_u32_e32 v22, 32, v22
	v_lshrrev_b32_e32 v23, 3, v20
	s_delay_alu instid0(VALU_DEP_2) | instskip(SKIP_1) | instid1(VALU_DEP_1)
	v_subrev_nc_u32_e32 v24, 28, v22
	v_sub_nc_u32_e32 v22, 29, v22
	v_dual_cndmask_b32 v20, v23, v22, s3 :: v_dual_cndmask_b32 v22, 0, v24, s3
	s_delay_alu instid0(VALU_DEP_1) | instskip(NEXT) | instid1(VALU_DEP_2)
	v_lshl_add_u32 v20, v20, 23, 0x3c000000
	v_lshlrev_b64_e32 v[22:23], v22, v[0:1]
	v_lshlrev_b32_e32 v23, 24, v0
	s_delay_alu instid0(VALU_DEP_1) | instskip(NEXT) | instid1(VALU_DEP_3)
	v_and_b32_e32 v23, 0x80000000, v23
	v_lshlrev_b32_e32 v22, 20, v22
	s_delay_alu instid0(VALU_DEP_1) | instskip(NEXT) | instid1(VALU_DEP_1)
	v_and_b32_e32 v22, 0x700000, v22
	v_or3_b32 v102, v22, v23, v20
.LBB345_202:                            ;   in Loop: Header=BB345_15 Depth=1
	s_or_b32 exec_lo, exec_lo, s45
.LBB345_203:                            ;   in Loop: Header=BB345_15 Depth=1
	s_delay_alu instid0(SALU_CYCLE_1)
	s_or_b32 exec_lo, exec_lo, s44
.LBB345_204:                            ;   in Loop: Header=BB345_15 Depth=1
	s_delay_alu instid0(SALU_CYCLE_1) | instskip(SKIP_2) | instid1(VALU_DEP_1)
	s_or_b32 exec_lo, exec_lo, s43
	v_lshrrev_b16 v20, 8, v0
	s_mov_b32 s43, exec_lo
	v_cmpx_ne_u16_e32 0, v20
	s_cbranch_execz .LBB345_212
; %bb.205:                              ;   in Loop: Header=BB345_15 Depth=1
	v_bfrev_b32_e32 v103, 1
	s_mov_b32 s44, exec_lo
	v_cmpx_ne_u16_e32 0x80, v20
	s_cbranch_execz .LBB345_211
; %bb.206:                              ;   in Loop: Header=BB345_15 Depth=1
	v_and_b32_e32 v20, 0xffff, v20
	v_mov_b32_e32 v103, 0x7f800001
	s_mov_b32 s45, exec_lo
	s_delay_alu instid0(VALU_DEP_2) | instskip(NEXT) | instid1(VALU_DEP_1)
	v_and_b32_e32 v23, 0x7f, v20
	v_cmpx_ne_u32_e32 0x7f, v23
	s_cbranch_execz .LBB345_210
; %bb.207:                              ;   in Loop: Header=BB345_15 Depth=1
	v_dual_lshrrev_b32 v22, 3, v23 :: v_dual_bitop2_b32 v20, 7, v20 bitop3:0x40
	s_mov_b32 s46, exec_lo
	v_cmpx_gt_u32_e32 8, v23
; %bb.208:                              ;   in Loop: Header=BB345_15 Depth=1
	s_delay_alu instid0(VALU_DEP_2) | instskip(NEXT) | instid1(VALU_DEP_1)
	v_clz_i32_u32_e32 v22, v20
	v_min_u32_e32 v22, 32, v22
	s_delay_alu instid0(VALU_DEP_1) | instskip(NEXT) | instid1(VALU_DEP_1)
	v_subrev_nc_u32_e32 v23, 28, v22
	v_lshlrev_b64_e32 v[24:25], v23, v[20:21]
	s_delay_alu instid0(VALU_DEP_1)
	v_dual_sub_nc_u32 v22, 29, v22 :: v_dual_bitop2_b32 v20, 7, v24 bitop3:0x40
; %bb.209:                              ;   in Loop: Header=BB345_15 Depth=1
	s_or_b32 exec_lo, exec_lo, s46
	v_lshlrev_b32_e32 v23, 16, v0
	s_delay_alu instid0(VALU_DEP_2) | instskip(NEXT) | instid1(VALU_DEP_3)
	v_lshlrev_b32_e32 v20, 20, v20
	v_lshl_add_u32 v22, v22, 23, 0x3c000000
	s_delay_alu instid0(VALU_DEP_3) | instskip(NEXT) | instid1(VALU_DEP_1)
	v_and_b32_e32 v23, 0x80000000, v23
	v_or3_b32 v103, v20, v23, v22
.LBB345_210:                            ;   in Loop: Header=BB345_15 Depth=1
	s_or_b32 exec_lo, exec_lo, s45
.LBB345_211:                            ;   in Loop: Header=BB345_15 Depth=1
	s_delay_alu instid0(SALU_CYCLE_1)
	s_or_b32 exec_lo, exec_lo, s44
.LBB345_212:                            ;   in Loop: Header=BB345_15 Depth=1
	s_delay_alu instid0(SALU_CYCLE_1) | instskip(SKIP_3) | instid1(VALU_DEP_2)
	s_or_b32 exec_lo, exec_lo, s43
	v_dual_mov_b32 v105, 0 :: v_dual_lshrrev_b32 v22, 16, v0
	v_mov_b32_e32 v104, 0
	s_mov_b32 s43, exec_lo
	v_and_b32_e32 v20, 0xff, v22
	s_delay_alu instid0(VALU_DEP_1)
	v_cmpx_ne_u16_e32 0, v20
	s_cbranch_execz .LBB345_220
; %bb.213:                              ;   in Loop: Header=BB345_15 Depth=1
	v_bfrev_b32_e32 v104, 1
	s_mov_b32 s44, exec_lo
	v_cmpx_ne_u16_e32 0x80, v20
	s_cbranch_execz .LBB345_219
; %bb.214:                              ;   in Loop: Header=BB345_15 Depth=1
	v_bfe_u32 v24, v0, 16, 7
	v_mov_b32_e32 v104, 0x7f800001
	s_mov_b32 s45, exec_lo
	s_delay_alu instid0(VALU_DEP_2)
	v_cmpx_ne_u32_e32 0x7f, v24
	s_cbranch_execz .LBB345_218
; %bb.215:                              ;   in Loop: Header=BB345_15 Depth=1
	v_dual_lshrrev_b32 v23, 3, v24 :: v_dual_bitop2_b32 v20, 7, v22 bitop3:0x40
	s_mov_b32 s46, exec_lo
	v_cmpx_gt_u32_e32 8, v24
; %bb.216:                              ;   in Loop: Header=BB345_15 Depth=1
	s_delay_alu instid0(VALU_DEP_2) | instskip(NEXT) | instid1(VALU_DEP_1)
	v_clz_i32_u32_e32 v23, v20
	v_min_u32_e32 v23, 32, v23
	s_delay_alu instid0(VALU_DEP_1) | instskip(NEXT) | instid1(VALU_DEP_1)
	v_subrev_nc_u32_e32 v24, 28, v23
	v_lshlrev_b64_e32 v[24:25], v24, v[20:21]
	s_delay_alu instid0(VALU_DEP_1)
	v_dual_sub_nc_u32 v23, 29, v23 :: v_dual_bitop2_b32 v20, 7, v24 bitop3:0x40
; %bb.217:                              ;   in Loop: Header=BB345_15 Depth=1
	s_or_b32 exec_lo, exec_lo, s46
	s_delay_alu instid0(VALU_DEP_1) | instskip(NEXT) | instid1(VALU_DEP_2)
	v_dual_lshlrev_b32 v22, 24, v22 :: v_dual_lshlrev_b32 v20, 20, v20
	v_lshl_add_u32 v23, v23, 23, 0x3c000000
	s_delay_alu instid0(VALU_DEP_2) | instskip(NEXT) | instid1(VALU_DEP_1)
	v_and_b32_e32 v22, 0x80000000, v22
	v_or3_b32 v104, v20, v22, v23
.LBB345_218:                            ;   in Loop: Header=BB345_15 Depth=1
	s_or_b32 exec_lo, exec_lo, s45
.LBB345_219:                            ;   in Loop: Header=BB345_15 Depth=1
	s_delay_alu instid0(SALU_CYCLE_1)
	s_or_b32 exec_lo, exec_lo, s44
.LBB345_220:                            ;   in Loop: Header=BB345_15 Depth=1
	s_delay_alu instid0(SALU_CYCLE_1) | instskip(NEXT) | instid1(SALU_CYCLE_1)
	s_or_b32 exec_lo, exec_lo, s43
	s_mov_b32 s43, exec_lo
	v_cmpx_lt_u32_e32 0xffffff, v0
	s_cbranch_execz .LBB345_228
; %bb.221:                              ;   in Loop: Header=BB345_15 Depth=1
	v_lshrrev_b32_e32 v22, 24, v0
	v_bfrev_b32_e32 v105, 1
	s_mov_b32 s44, exec_lo
	s_delay_alu instid0(VALU_DEP_2)
	v_cmpx_ne_u32_e32 0x80, v22
	s_cbranch_execz .LBB345_227
; %bb.222:                              ;   in Loop: Header=BB345_15 Depth=1
	v_bfe_u32 v24, v0, 24, 7
	v_mov_b32_e32 v105, 0x7f800001
	s_mov_b32 s45, exec_lo
	s_delay_alu instid0(VALU_DEP_2)
	v_cmpx_ne_u32_e32 0x7f, v24
	s_cbranch_execz .LBB345_226
; %bb.223:                              ;   in Loop: Header=BB345_15 Depth=1
	v_dual_lshrrev_b32 v23, 3, v24 :: v_dual_bitop2_b32 v20, 7, v22 bitop3:0x40
	s_mov_b32 s46, exec_lo
	v_cmpx_gt_u32_e32 8, v24
; %bb.224:                              ;   in Loop: Header=BB345_15 Depth=1
	s_delay_alu instid0(VALU_DEP_2) | instskip(NEXT) | instid1(VALU_DEP_1)
	v_clz_i32_u32_e32 v23, v20
	v_min_u32_e32 v23, 32, v23
	s_delay_alu instid0(VALU_DEP_1) | instskip(NEXT) | instid1(VALU_DEP_1)
	v_subrev_nc_u32_e32 v24, 28, v23
	v_lshlrev_b64_e32 v[24:25], v24, v[20:21]
	s_delay_alu instid0(VALU_DEP_1)
	v_dual_sub_nc_u32 v23, 29, v23 :: v_dual_bitop2_b32 v20, 7, v24 bitop3:0x40
; %bb.225:                              ;   in Loop: Header=BB345_15 Depth=1
	s_or_b32 exec_lo, exec_lo, s46
	s_delay_alu instid0(VALU_DEP_1) | instskip(NEXT) | instid1(VALU_DEP_2)
	v_dual_lshlrev_b32 v22, 24, v22 :: v_dual_lshlrev_b32 v20, 20, v20
	v_lshl_add_u32 v23, v23, 23, 0x3c000000
	s_delay_alu instid0(VALU_DEP_2) | instskip(NEXT) | instid1(VALU_DEP_1)
	v_and_b32_e32 v22, 0x80000000, v22
	v_or3_b32 v105, v20, v22, v23
.LBB345_226:                            ;   in Loop: Header=BB345_15 Depth=1
	s_or_b32 exec_lo, exec_lo, s45
.LBB345_227:                            ;   in Loop: Header=BB345_15 Depth=1
	s_delay_alu instid0(SALU_CYCLE_1)
	s_or_b32 exec_lo, exec_lo, s44
.LBB345_228:                            ;   in Loop: Header=BB345_15 Depth=1
	s_delay_alu instid0(SALU_CYCLE_1) | instskip(SKIP_4) | instid1(VALU_DEP_3)
	s_or_b32 exec_lo, exec_lo, s43
	v_and_b32_e32 v22, 0xff, v1
	v_dual_mov_b32 v20, v1 :: v_dual_mov_b32 v107, 0
	v_mov_b32_e32 v106, 0
	s_mov_b32 s43, exec_lo
	v_cmpx_ne_u16_e32 0, v22
	s_cbranch_execz .LBB345_234
; %bb.229:                              ;   in Loop: Header=BB345_15 Depth=1
	v_bfrev_b32_e32 v106, 1
	s_mov_b32 s44, exec_lo
	v_cmpx_ne_u16_e32 0x80, v22
	s_cbranch_execz .LBB345_233
; %bb.230:                              ;   in Loop: Header=BB345_15 Depth=1
	v_and_b32_e32 v22, 0x7f, v1
	v_mov_b32_e32 v106, 0x7f800001
	s_mov_b32 s45, exec_lo
	s_delay_alu instid0(VALU_DEP_2)
	v_cmpx_ne_u32_e32 0x7f, v22
	s_cbranch_execz .LBB345_232
; %bb.231:                              ;   in Loop: Header=BB345_15 Depth=1
	v_dual_lshrrev_b32 v24, 3, v22 :: v_dual_bitop2_b32 v23, 7, v1 bitop3:0x40
	v_cmp_gt_u32_e64 s3, 8, v22
	s_delay_alu instid0(VALU_DEP_2) | instskip(NEXT) | instid1(VALU_DEP_1)
	v_clz_i32_u32_e32 v23, v23
	v_min_u32_e32 v23, 32, v23
	s_delay_alu instid0(VALU_DEP_1) | instskip(NEXT) | instid1(VALU_DEP_1)
	v_subrev_nc_u32_e32 v25, 28, v23
	v_dual_sub_nc_u32 v23, 29, v23 :: v_dual_cndmask_b32 v22, 0, v25, s3
	s_delay_alu instid0(VALU_DEP_1) | instskip(NEXT) | instid1(VALU_DEP_2)
	v_cndmask_b32_e64 v24, v24, v23, s3
	v_lshlrev_b64_e32 v[22:23], v22, v[20:21]
	v_lshlrev_b32_e32 v23, 24, v20
	s_delay_alu instid0(VALU_DEP_3) | instskip(NEXT) | instid1(VALU_DEP_2)
	v_lshl_add_u32 v24, v24, 23, 0x3c000000
	v_and_b32_e32 v23, 0x80000000, v23
	s_delay_alu instid0(VALU_DEP_4) | instskip(NEXT) | instid1(VALU_DEP_1)
	v_lshlrev_b32_e32 v22, 20, v22
	v_and_b32_e32 v22, 0x700000, v22
	s_delay_alu instid0(VALU_DEP_1)
	v_or3_b32 v106, v22, v23, v24
.LBB345_232:                            ;   in Loop: Header=BB345_15 Depth=1
	s_or_b32 exec_lo, exec_lo, s45
.LBB345_233:                            ;   in Loop: Header=BB345_15 Depth=1
	s_delay_alu instid0(SALU_CYCLE_1)
	s_or_b32 exec_lo, exec_lo, s44
.LBB345_234:                            ;   in Loop: Header=BB345_15 Depth=1
	s_delay_alu instid0(SALU_CYCLE_1) | instskip(SKIP_2) | instid1(VALU_DEP_1)
	s_or_b32 exec_lo, exec_lo, s43
	v_lshrrev_b16 v22, 8, v20
	s_mov_b32 s43, exec_lo
	v_cmpx_ne_u16_e32 0, v22
	s_cbranch_execz .LBB345_242
; %bb.235:                              ;   in Loop: Header=BB345_15 Depth=1
	v_bfrev_b32_e32 v107, 1
	s_mov_b32 s44, exec_lo
	v_cmpx_ne_u16_e32 0x80, v22
	s_cbranch_execz .LBB345_241
; %bb.236:                              ;   in Loop: Header=BB345_15 Depth=1
	v_and_b32_e32 v22, 0xffff, v22
	v_mov_b32_e32 v107, 0x7f800001
	s_mov_b32 s45, exec_lo
	s_delay_alu instid0(VALU_DEP_2) | instskip(NEXT) | instid1(VALU_DEP_1)
	v_and_b32_e32 v25, 0x7f, v22
	v_cmpx_ne_u32_e32 0x7f, v25
	s_cbranch_execz .LBB345_240
; %bb.237:                              ;   in Loop: Header=BB345_15 Depth=1
	v_dual_mov_b32 v23, v21 :: v_dual_bitop2_b32 v22, 7, v22 bitop3:0x40
	v_lshrrev_b32_e32 v24, 3, v25
	s_mov_b32 s46, exec_lo
	v_cmpx_gt_u32_e32 8, v25
; %bb.238:                              ;   in Loop: Header=BB345_15 Depth=1
	s_delay_alu instid0(VALU_DEP_3) | instskip(NEXT) | instid1(VALU_DEP_1)
	v_clz_i32_u32_e32 v24, v22
	v_min_u32_e32 v24, 32, v24
	s_delay_alu instid0(VALU_DEP_1) | instskip(NEXT) | instid1(VALU_DEP_1)
	v_subrev_nc_u32_e32 v25, 28, v24
	v_lshlrev_b64_e32 v[22:23], v25, v[22:23]
	s_delay_alu instid0(VALU_DEP_1)
	v_dual_sub_nc_u32 v24, 29, v24 :: v_dual_bitop2_b32 v22, 7, v22 bitop3:0x40
; %bb.239:                              ;   in Loop: Header=BB345_15 Depth=1
	s_or_b32 exec_lo, exec_lo, s46
	s_delay_alu instid0(VALU_DEP_1) | instskip(NEXT) | instid1(VALU_DEP_2)
	v_dual_lshlrev_b32 v20, 16, v20 :: v_dual_lshlrev_b32 v22, 20, v22
	v_lshl_add_u32 v23, v24, 23, 0x3c000000
	s_delay_alu instid0(VALU_DEP_2) | instskip(NEXT) | instid1(VALU_DEP_1)
	v_and_b32_e32 v20, 0x80000000, v20
	v_or3_b32 v107, v22, v20, v23
.LBB345_240:                            ;   in Loop: Header=BB345_15 Depth=1
	s_or_b32 exec_lo, exec_lo, s45
.LBB345_241:                            ;   in Loop: Header=BB345_15 Depth=1
	s_delay_alu instid0(SALU_CYCLE_1)
	s_or_b32 exec_lo, exec_lo, s44
.LBB345_242:                            ;   in Loop: Header=BB345_15 Depth=1
	s_delay_alu instid0(SALU_CYCLE_1) | instskip(SKIP_3) | instid1(VALU_DEP_2)
	s_or_b32 exec_lo, exec_lo, s43
	v_dual_mov_b32 v109, 0 :: v_dual_lshrrev_b32 v22, 16, v1
	v_mov_b32_e32 v108, 0
	s_mov_b32 s43, exec_lo
	v_and_b32_e32 v20, 0xff, v22
	s_delay_alu instid0(VALU_DEP_1)
	v_cmpx_ne_u16_e32 0, v20
	s_cbranch_execz .LBB345_250
; %bb.243:                              ;   in Loop: Header=BB345_15 Depth=1
	v_bfrev_b32_e32 v108, 1
	s_mov_b32 s44, exec_lo
	v_cmpx_ne_u16_e32 0x80, v20
	s_cbranch_execz .LBB345_249
; %bb.244:                              ;   in Loop: Header=BB345_15 Depth=1
	v_bfe_u32 v24, v1, 16, 7
	v_mov_b32_e32 v108, 0x7f800001
	s_mov_b32 s45, exec_lo
	s_delay_alu instid0(VALU_DEP_2)
	v_cmpx_ne_u32_e32 0x7f, v24
	s_cbranch_execz .LBB345_248
; %bb.245:                              ;   in Loop: Header=BB345_15 Depth=1
	v_dual_lshrrev_b32 v23, 3, v24 :: v_dual_bitop2_b32 v20, 7, v22 bitop3:0x40
	s_mov_b32 s46, exec_lo
	v_cmpx_gt_u32_e32 8, v24
; %bb.246:                              ;   in Loop: Header=BB345_15 Depth=1
	s_delay_alu instid0(VALU_DEP_2) | instskip(NEXT) | instid1(VALU_DEP_1)
	v_clz_i32_u32_e32 v23, v20
	v_min_u32_e32 v23, 32, v23
	s_delay_alu instid0(VALU_DEP_1) | instskip(NEXT) | instid1(VALU_DEP_1)
	v_subrev_nc_u32_e32 v24, 28, v23
	v_lshlrev_b64_e32 v[24:25], v24, v[20:21]
	s_delay_alu instid0(VALU_DEP_1)
	v_dual_sub_nc_u32 v23, 29, v23 :: v_dual_bitop2_b32 v20, 7, v24 bitop3:0x40
; %bb.247:                              ;   in Loop: Header=BB345_15 Depth=1
	s_or_b32 exec_lo, exec_lo, s46
	s_delay_alu instid0(VALU_DEP_1) | instskip(NEXT) | instid1(VALU_DEP_2)
	v_dual_lshlrev_b32 v22, 24, v22 :: v_dual_lshlrev_b32 v20, 20, v20
	v_lshl_add_u32 v23, v23, 23, 0x3c000000
	s_delay_alu instid0(VALU_DEP_2) | instskip(NEXT) | instid1(VALU_DEP_1)
	v_and_b32_e32 v22, 0x80000000, v22
	v_or3_b32 v108, v20, v22, v23
.LBB345_248:                            ;   in Loop: Header=BB345_15 Depth=1
	s_or_b32 exec_lo, exec_lo, s45
.LBB345_249:                            ;   in Loop: Header=BB345_15 Depth=1
	s_delay_alu instid0(SALU_CYCLE_1)
	s_or_b32 exec_lo, exec_lo, s44
.LBB345_250:                            ;   in Loop: Header=BB345_15 Depth=1
	s_delay_alu instid0(SALU_CYCLE_1) | instskip(NEXT) | instid1(SALU_CYCLE_1)
	s_or_b32 exec_lo, exec_lo, s43
	s_mov_b32 s43, exec_lo
	v_cmpx_lt_u64_e64 s[26:27], v[0:1]
	s_cbranch_execz .LBB345_258
; %bb.251:                              ;   in Loop: Header=BB345_15 Depth=1
	v_lshrrev_b32_e32 v0, 24, v1
	v_bfrev_b32_e32 v109, 1
	s_mov_b32 s44, exec_lo
	s_delay_alu instid0(VALU_DEP_2)
	v_cmpx_ne_u32_e32 0x80, v0
	s_cbranch_execz .LBB345_257
; %bb.252:                              ;   in Loop: Header=BB345_15 Depth=1
	v_bfe_u32 v22, v1, 24, 7
	v_mov_b32_e32 v109, 0x7f800001
	s_mov_b32 s45, exec_lo
	s_delay_alu instid0(VALU_DEP_2)
	v_cmpx_ne_u32_e32 0x7f, v22
	s_cbranch_execz .LBB345_256
; %bb.253:                              ;   in Loop: Header=BB345_15 Depth=1
	v_dual_lshrrev_b32 v1, 3, v22 :: v_dual_bitop2_b32 v20, 7, v0 bitop3:0x40
	s_mov_b32 s46, exec_lo
	v_cmpx_gt_u32_e32 8, v22
; %bb.254:                              ;   in Loop: Header=BB345_15 Depth=1
	s_delay_alu instid0(VALU_DEP_2) | instskip(NEXT) | instid1(VALU_DEP_1)
	v_clz_i32_u32_e32 v1, v20
	v_min_u32_e32 v1, 32, v1
	s_delay_alu instid0(VALU_DEP_1) | instskip(NEXT) | instid1(VALU_DEP_1)
	v_subrev_nc_u32_e32 v22, 28, v1
	v_lshlrev_b64_e32 v[22:23], v22, v[20:21]
	s_delay_alu instid0(VALU_DEP_1)
	v_dual_sub_nc_u32 v1, 29, v1 :: v_dual_bitop2_b32 v20, 7, v22 bitop3:0x40
; %bb.255:                              ;   in Loop: Header=BB345_15 Depth=1
	s_or_b32 exec_lo, exec_lo, s46
	v_lshlrev_b32_e32 v0, 24, v0
	s_delay_alu instid0(VALU_DEP_2) | instskip(NEXT) | instid1(VALU_DEP_3)
	v_lshlrev_b32_e32 v20, 20, v20
	v_lshl_add_u32 v1, v1, 23, 0x3c000000
	s_delay_alu instid0(VALU_DEP_3) | instskip(NEXT) | instid1(VALU_DEP_1)
	v_and_b32_e32 v0, 0x80000000, v0
	v_or3_b32 v109, v20, v0, v1
.LBB345_256:                            ;   in Loop: Header=BB345_15 Depth=1
	s_or_b32 exec_lo, exec_lo, s45
.LBB345_257:                            ;   in Loop: Header=BB345_15 Depth=1
	s_delay_alu instid0(SALU_CYCLE_1)
	s_or_b32 exec_lo, exec_lo, s44
.LBB345_258:                            ;   in Loop: Header=BB345_15 Depth=1
	s_delay_alu instid0(SALU_CYCLE_1)
	s_or_b32 exec_lo, exec_lo, s43
	global_load_b64 v[0:1], v[88:89], off offset:1024
	v_dual_mov_b32 v111, 0 :: v_dual_mov_b32 v110, 0
	s_mov_b32 s43, exec_lo
	s_wait_loadcnt 0x0
	v_and_b32_e32 v20, 0xff, v0
	s_wait_xcnt 0x0
	s_delay_alu instid0(VALU_DEP_1)
	v_cmpx_ne_u16_e32 0, v20
	s_cbranch_execz .LBB345_264
; %bb.259:                              ;   in Loop: Header=BB345_15 Depth=1
	v_bfrev_b32_e32 v110, 1
	s_mov_b32 s44, exec_lo
	v_cmpx_ne_u16_e32 0x80, v20
	s_cbranch_execz .LBB345_263
; %bb.260:                              ;   in Loop: Header=BB345_15 Depth=1
	v_and_b32_e32 v20, 0x7f, v0
	v_mov_b32_e32 v110, 0x7f800001
	s_mov_b32 s45, exec_lo
	s_delay_alu instid0(VALU_DEP_2)
	v_cmpx_ne_u32_e32 0x7f, v20
	s_cbranch_execz .LBB345_262
; %bb.261:                              ;   in Loop: Header=BB345_15 Depth=1
	v_and_b32_e32 v22, 7, v0
	v_cmp_gt_u32_e64 s3, 8, v20
	s_delay_alu instid0(VALU_DEP_2) | instskip(NEXT) | instid1(VALU_DEP_1)
	v_clz_i32_u32_e32 v22, v22
	v_min_u32_e32 v22, 32, v22
	v_lshrrev_b32_e32 v23, 3, v20
	s_delay_alu instid0(VALU_DEP_2) | instskip(SKIP_1) | instid1(VALU_DEP_1)
	v_subrev_nc_u32_e32 v24, 28, v22
	v_sub_nc_u32_e32 v22, 29, v22
	v_dual_cndmask_b32 v20, v23, v22, s3 :: v_dual_cndmask_b32 v22, 0, v24, s3
	s_delay_alu instid0(VALU_DEP_1) | instskip(NEXT) | instid1(VALU_DEP_2)
	v_lshl_add_u32 v20, v20, 23, 0x3c000000
	v_lshlrev_b64_e32 v[22:23], v22, v[0:1]
	v_lshlrev_b32_e32 v23, 24, v0
	s_delay_alu instid0(VALU_DEP_1) | instskip(NEXT) | instid1(VALU_DEP_3)
	v_and_b32_e32 v23, 0x80000000, v23
	v_lshlrev_b32_e32 v22, 20, v22
	s_delay_alu instid0(VALU_DEP_1) | instskip(NEXT) | instid1(VALU_DEP_1)
	v_and_b32_e32 v22, 0x700000, v22
	v_or3_b32 v110, v22, v23, v20
.LBB345_262:                            ;   in Loop: Header=BB345_15 Depth=1
	s_or_b32 exec_lo, exec_lo, s45
.LBB345_263:                            ;   in Loop: Header=BB345_15 Depth=1
	s_delay_alu instid0(SALU_CYCLE_1)
	s_or_b32 exec_lo, exec_lo, s44
.LBB345_264:                            ;   in Loop: Header=BB345_15 Depth=1
	s_delay_alu instid0(SALU_CYCLE_1) | instskip(SKIP_2) | instid1(VALU_DEP_1)
	s_or_b32 exec_lo, exec_lo, s43
	v_lshrrev_b16 v20, 8, v0
	s_mov_b32 s43, exec_lo
	v_cmpx_ne_u16_e32 0, v20
	s_cbranch_execz .LBB345_272
; %bb.265:                              ;   in Loop: Header=BB345_15 Depth=1
	v_bfrev_b32_e32 v111, 1
	s_mov_b32 s44, exec_lo
	v_cmpx_ne_u16_e32 0x80, v20
	s_cbranch_execz .LBB345_271
; %bb.266:                              ;   in Loop: Header=BB345_15 Depth=1
	v_and_b32_e32 v20, 0xffff, v20
	v_mov_b32_e32 v111, 0x7f800001
	s_mov_b32 s45, exec_lo
	s_delay_alu instid0(VALU_DEP_2) | instskip(NEXT) | instid1(VALU_DEP_1)
	v_and_b32_e32 v23, 0x7f, v20
	v_cmpx_ne_u32_e32 0x7f, v23
	s_cbranch_execz .LBB345_270
; %bb.267:                              ;   in Loop: Header=BB345_15 Depth=1
	v_dual_lshrrev_b32 v22, 3, v23 :: v_dual_bitop2_b32 v20, 7, v20 bitop3:0x40
	s_mov_b32 s46, exec_lo
	v_cmpx_gt_u32_e32 8, v23
; %bb.268:                              ;   in Loop: Header=BB345_15 Depth=1
	s_delay_alu instid0(VALU_DEP_2) | instskip(NEXT) | instid1(VALU_DEP_1)
	v_clz_i32_u32_e32 v22, v20
	v_min_u32_e32 v22, 32, v22
	s_delay_alu instid0(VALU_DEP_1) | instskip(NEXT) | instid1(VALU_DEP_1)
	v_subrev_nc_u32_e32 v23, 28, v22
	v_lshlrev_b64_e32 v[24:25], v23, v[20:21]
	s_delay_alu instid0(VALU_DEP_1)
	v_dual_sub_nc_u32 v22, 29, v22 :: v_dual_bitop2_b32 v20, 7, v24 bitop3:0x40
; %bb.269:                              ;   in Loop: Header=BB345_15 Depth=1
	s_or_b32 exec_lo, exec_lo, s46
	v_lshlrev_b32_e32 v23, 16, v0
	s_delay_alu instid0(VALU_DEP_2) | instskip(NEXT) | instid1(VALU_DEP_3)
	v_lshlrev_b32_e32 v20, 20, v20
	v_lshl_add_u32 v22, v22, 23, 0x3c000000
	s_delay_alu instid0(VALU_DEP_3) | instskip(NEXT) | instid1(VALU_DEP_1)
	v_and_b32_e32 v23, 0x80000000, v23
	v_or3_b32 v111, v20, v23, v22
.LBB345_270:                            ;   in Loop: Header=BB345_15 Depth=1
	s_or_b32 exec_lo, exec_lo, s45
.LBB345_271:                            ;   in Loop: Header=BB345_15 Depth=1
	s_delay_alu instid0(SALU_CYCLE_1)
	s_or_b32 exec_lo, exec_lo, s44
.LBB345_272:                            ;   in Loop: Header=BB345_15 Depth=1
	s_delay_alu instid0(SALU_CYCLE_1) | instskip(SKIP_3) | instid1(VALU_DEP_2)
	s_or_b32 exec_lo, exec_lo, s43
	v_dual_mov_b32 v113, 0 :: v_dual_lshrrev_b32 v22, 16, v0
	v_mov_b32_e32 v112, 0
	s_mov_b32 s43, exec_lo
	v_and_b32_e32 v20, 0xff, v22
	s_delay_alu instid0(VALU_DEP_1)
	v_cmpx_ne_u16_e32 0, v20
	s_cbranch_execz .LBB345_280
; %bb.273:                              ;   in Loop: Header=BB345_15 Depth=1
	v_bfrev_b32_e32 v112, 1
	s_mov_b32 s44, exec_lo
	v_cmpx_ne_u16_e32 0x80, v20
	s_cbranch_execz .LBB345_279
; %bb.274:                              ;   in Loop: Header=BB345_15 Depth=1
	v_bfe_u32 v24, v0, 16, 7
	v_mov_b32_e32 v112, 0x7f800001
	s_mov_b32 s45, exec_lo
	s_delay_alu instid0(VALU_DEP_2)
	v_cmpx_ne_u32_e32 0x7f, v24
	s_cbranch_execz .LBB345_278
; %bb.275:                              ;   in Loop: Header=BB345_15 Depth=1
	v_dual_lshrrev_b32 v23, 3, v24 :: v_dual_bitop2_b32 v20, 7, v22 bitop3:0x40
	s_mov_b32 s46, exec_lo
	v_cmpx_gt_u32_e32 8, v24
; %bb.276:                              ;   in Loop: Header=BB345_15 Depth=1
	s_delay_alu instid0(VALU_DEP_2) | instskip(NEXT) | instid1(VALU_DEP_1)
	v_clz_i32_u32_e32 v23, v20
	v_min_u32_e32 v23, 32, v23
	s_delay_alu instid0(VALU_DEP_1) | instskip(NEXT) | instid1(VALU_DEP_1)
	v_subrev_nc_u32_e32 v24, 28, v23
	v_lshlrev_b64_e32 v[24:25], v24, v[20:21]
	s_delay_alu instid0(VALU_DEP_1)
	v_dual_sub_nc_u32 v23, 29, v23 :: v_dual_bitop2_b32 v20, 7, v24 bitop3:0x40
; %bb.277:                              ;   in Loop: Header=BB345_15 Depth=1
	s_or_b32 exec_lo, exec_lo, s46
	s_delay_alu instid0(VALU_DEP_1) | instskip(NEXT) | instid1(VALU_DEP_2)
	v_dual_lshlrev_b32 v22, 24, v22 :: v_dual_lshlrev_b32 v20, 20, v20
	v_lshl_add_u32 v23, v23, 23, 0x3c000000
	s_delay_alu instid0(VALU_DEP_2) | instskip(NEXT) | instid1(VALU_DEP_1)
	v_and_b32_e32 v22, 0x80000000, v22
	v_or3_b32 v112, v20, v22, v23
.LBB345_278:                            ;   in Loop: Header=BB345_15 Depth=1
	s_or_b32 exec_lo, exec_lo, s45
.LBB345_279:                            ;   in Loop: Header=BB345_15 Depth=1
	s_delay_alu instid0(SALU_CYCLE_1)
	s_or_b32 exec_lo, exec_lo, s44
.LBB345_280:                            ;   in Loop: Header=BB345_15 Depth=1
	s_delay_alu instid0(SALU_CYCLE_1) | instskip(NEXT) | instid1(SALU_CYCLE_1)
	s_or_b32 exec_lo, exec_lo, s43
	s_mov_b32 s43, exec_lo
	v_cmpx_lt_u32_e32 0xffffff, v0
	s_cbranch_execz .LBB345_288
; %bb.281:                              ;   in Loop: Header=BB345_15 Depth=1
	v_lshrrev_b32_e32 v22, 24, v0
	v_bfrev_b32_e32 v113, 1
	s_mov_b32 s44, exec_lo
	s_delay_alu instid0(VALU_DEP_2)
	v_cmpx_ne_u32_e32 0x80, v22
	s_cbranch_execz .LBB345_287
; %bb.282:                              ;   in Loop: Header=BB345_15 Depth=1
	v_bfe_u32 v24, v0, 24, 7
	v_mov_b32_e32 v113, 0x7f800001
	s_mov_b32 s45, exec_lo
	s_delay_alu instid0(VALU_DEP_2)
	v_cmpx_ne_u32_e32 0x7f, v24
	s_cbranch_execz .LBB345_286
; %bb.283:                              ;   in Loop: Header=BB345_15 Depth=1
	v_dual_lshrrev_b32 v23, 3, v24 :: v_dual_bitop2_b32 v20, 7, v22 bitop3:0x40
	s_mov_b32 s46, exec_lo
	v_cmpx_gt_u32_e32 8, v24
; %bb.284:                              ;   in Loop: Header=BB345_15 Depth=1
	s_delay_alu instid0(VALU_DEP_2) | instskip(NEXT) | instid1(VALU_DEP_1)
	v_clz_i32_u32_e32 v23, v20
	v_min_u32_e32 v23, 32, v23
	s_delay_alu instid0(VALU_DEP_1) | instskip(NEXT) | instid1(VALU_DEP_1)
	v_subrev_nc_u32_e32 v24, 28, v23
	v_lshlrev_b64_e32 v[24:25], v24, v[20:21]
	s_delay_alu instid0(VALU_DEP_1)
	v_dual_sub_nc_u32 v23, 29, v23 :: v_dual_bitop2_b32 v20, 7, v24 bitop3:0x40
; %bb.285:                              ;   in Loop: Header=BB345_15 Depth=1
	s_or_b32 exec_lo, exec_lo, s46
	s_delay_alu instid0(VALU_DEP_1) | instskip(NEXT) | instid1(VALU_DEP_2)
	v_dual_lshlrev_b32 v22, 24, v22 :: v_dual_lshlrev_b32 v20, 20, v20
	v_lshl_add_u32 v23, v23, 23, 0x3c000000
	s_delay_alu instid0(VALU_DEP_2) | instskip(NEXT) | instid1(VALU_DEP_1)
	v_and_b32_e32 v22, 0x80000000, v22
	v_or3_b32 v113, v20, v22, v23
.LBB345_286:                            ;   in Loop: Header=BB345_15 Depth=1
	s_or_b32 exec_lo, exec_lo, s45
.LBB345_287:                            ;   in Loop: Header=BB345_15 Depth=1
	s_delay_alu instid0(SALU_CYCLE_1)
	s_or_b32 exec_lo, exec_lo, s44
.LBB345_288:                            ;   in Loop: Header=BB345_15 Depth=1
	s_delay_alu instid0(SALU_CYCLE_1) | instskip(SKIP_4) | instid1(VALU_DEP_3)
	s_or_b32 exec_lo, exec_lo, s43
	v_and_b32_e32 v22, 0xff, v1
	v_dual_mov_b32 v20, v1 :: v_dual_mov_b32 v115, 0
	v_mov_b32_e32 v114, 0
	s_mov_b32 s43, exec_lo
	v_cmpx_ne_u16_e32 0, v22
	s_cbranch_execz .LBB345_294
; %bb.289:                              ;   in Loop: Header=BB345_15 Depth=1
	v_bfrev_b32_e32 v114, 1
	s_mov_b32 s44, exec_lo
	v_cmpx_ne_u16_e32 0x80, v22
	s_cbranch_execz .LBB345_293
; %bb.290:                              ;   in Loop: Header=BB345_15 Depth=1
	v_and_b32_e32 v22, 0x7f, v1
	v_mov_b32_e32 v114, 0x7f800001
	s_mov_b32 s45, exec_lo
	s_delay_alu instid0(VALU_DEP_2)
	v_cmpx_ne_u32_e32 0x7f, v22
	s_cbranch_execz .LBB345_292
; %bb.291:                              ;   in Loop: Header=BB345_15 Depth=1
	v_dual_lshrrev_b32 v24, 3, v22 :: v_dual_bitop2_b32 v23, 7, v1 bitop3:0x40
	v_cmp_gt_u32_e64 s3, 8, v22
	s_delay_alu instid0(VALU_DEP_2) | instskip(NEXT) | instid1(VALU_DEP_1)
	v_clz_i32_u32_e32 v23, v23
	v_min_u32_e32 v23, 32, v23
	s_delay_alu instid0(VALU_DEP_1) | instskip(NEXT) | instid1(VALU_DEP_1)
	v_subrev_nc_u32_e32 v25, 28, v23
	v_dual_sub_nc_u32 v23, 29, v23 :: v_dual_cndmask_b32 v22, 0, v25, s3
	s_delay_alu instid0(VALU_DEP_1) | instskip(NEXT) | instid1(VALU_DEP_2)
	v_cndmask_b32_e64 v24, v24, v23, s3
	v_lshlrev_b64_e32 v[22:23], v22, v[20:21]
	v_lshlrev_b32_e32 v23, 24, v20
	s_delay_alu instid0(VALU_DEP_3) | instskip(NEXT) | instid1(VALU_DEP_2)
	v_lshl_add_u32 v24, v24, 23, 0x3c000000
	v_and_b32_e32 v23, 0x80000000, v23
	s_delay_alu instid0(VALU_DEP_4) | instskip(NEXT) | instid1(VALU_DEP_1)
	v_lshlrev_b32_e32 v22, 20, v22
	v_and_b32_e32 v22, 0x700000, v22
	s_delay_alu instid0(VALU_DEP_1)
	v_or3_b32 v114, v22, v23, v24
.LBB345_292:                            ;   in Loop: Header=BB345_15 Depth=1
	s_or_b32 exec_lo, exec_lo, s45
.LBB345_293:                            ;   in Loop: Header=BB345_15 Depth=1
	s_delay_alu instid0(SALU_CYCLE_1)
	s_or_b32 exec_lo, exec_lo, s44
.LBB345_294:                            ;   in Loop: Header=BB345_15 Depth=1
	s_delay_alu instid0(SALU_CYCLE_1) | instskip(SKIP_2) | instid1(VALU_DEP_1)
	s_or_b32 exec_lo, exec_lo, s43
	v_lshrrev_b16 v22, 8, v20
	s_mov_b32 s43, exec_lo
	v_cmpx_ne_u16_e32 0, v22
	s_cbranch_execz .LBB345_302
; %bb.295:                              ;   in Loop: Header=BB345_15 Depth=1
	v_bfrev_b32_e32 v115, 1
	s_mov_b32 s44, exec_lo
	v_cmpx_ne_u16_e32 0x80, v22
	s_cbranch_execz .LBB345_301
; %bb.296:                              ;   in Loop: Header=BB345_15 Depth=1
	v_and_b32_e32 v22, 0xffff, v22
	v_mov_b32_e32 v115, 0x7f800001
	s_mov_b32 s45, exec_lo
	s_delay_alu instid0(VALU_DEP_2) | instskip(NEXT) | instid1(VALU_DEP_1)
	v_and_b32_e32 v25, 0x7f, v22
	v_cmpx_ne_u32_e32 0x7f, v25
	s_cbranch_execz .LBB345_300
; %bb.297:                              ;   in Loop: Header=BB345_15 Depth=1
	v_dual_mov_b32 v23, v21 :: v_dual_bitop2_b32 v22, 7, v22 bitop3:0x40
	v_lshrrev_b32_e32 v24, 3, v25
	s_mov_b32 s46, exec_lo
	v_cmpx_gt_u32_e32 8, v25
; %bb.298:                              ;   in Loop: Header=BB345_15 Depth=1
	s_delay_alu instid0(VALU_DEP_3) | instskip(NEXT) | instid1(VALU_DEP_1)
	v_clz_i32_u32_e32 v24, v22
	v_min_u32_e32 v24, 32, v24
	s_delay_alu instid0(VALU_DEP_1) | instskip(NEXT) | instid1(VALU_DEP_1)
	v_subrev_nc_u32_e32 v25, 28, v24
	v_lshlrev_b64_e32 v[22:23], v25, v[22:23]
	s_delay_alu instid0(VALU_DEP_1)
	v_dual_sub_nc_u32 v24, 29, v24 :: v_dual_bitop2_b32 v22, 7, v22 bitop3:0x40
; %bb.299:                              ;   in Loop: Header=BB345_15 Depth=1
	s_or_b32 exec_lo, exec_lo, s46
	s_delay_alu instid0(VALU_DEP_1) | instskip(NEXT) | instid1(VALU_DEP_2)
	v_dual_lshlrev_b32 v20, 16, v20 :: v_dual_lshlrev_b32 v22, 20, v22
	v_lshl_add_u32 v23, v24, 23, 0x3c000000
	s_delay_alu instid0(VALU_DEP_2) | instskip(NEXT) | instid1(VALU_DEP_1)
	v_and_b32_e32 v20, 0x80000000, v20
	v_or3_b32 v115, v22, v20, v23
.LBB345_300:                            ;   in Loop: Header=BB345_15 Depth=1
	s_or_b32 exec_lo, exec_lo, s45
.LBB345_301:                            ;   in Loop: Header=BB345_15 Depth=1
	s_delay_alu instid0(SALU_CYCLE_1)
	s_or_b32 exec_lo, exec_lo, s44
.LBB345_302:                            ;   in Loop: Header=BB345_15 Depth=1
	s_delay_alu instid0(SALU_CYCLE_1) | instskip(SKIP_3) | instid1(VALU_DEP_2)
	s_or_b32 exec_lo, exec_lo, s43
	v_dual_mov_b32 v117, 0 :: v_dual_lshrrev_b32 v22, 16, v1
	v_mov_b32_e32 v116, 0
	s_mov_b32 s43, exec_lo
	v_and_b32_e32 v20, 0xff, v22
	s_delay_alu instid0(VALU_DEP_1)
	v_cmpx_ne_u16_e32 0, v20
	s_cbranch_execz .LBB345_310
; %bb.303:                              ;   in Loop: Header=BB345_15 Depth=1
	v_bfrev_b32_e32 v116, 1
	s_mov_b32 s44, exec_lo
	v_cmpx_ne_u16_e32 0x80, v20
	s_cbranch_execz .LBB345_309
; %bb.304:                              ;   in Loop: Header=BB345_15 Depth=1
	v_bfe_u32 v24, v1, 16, 7
	v_mov_b32_e32 v116, 0x7f800001
	s_mov_b32 s45, exec_lo
	s_delay_alu instid0(VALU_DEP_2)
	v_cmpx_ne_u32_e32 0x7f, v24
	s_cbranch_execz .LBB345_308
; %bb.305:                              ;   in Loop: Header=BB345_15 Depth=1
	v_dual_lshrrev_b32 v23, 3, v24 :: v_dual_bitop2_b32 v20, 7, v22 bitop3:0x40
	s_mov_b32 s46, exec_lo
	v_cmpx_gt_u32_e32 8, v24
; %bb.306:                              ;   in Loop: Header=BB345_15 Depth=1
	s_delay_alu instid0(VALU_DEP_2) | instskip(NEXT) | instid1(VALU_DEP_1)
	v_clz_i32_u32_e32 v23, v20
	v_min_u32_e32 v23, 32, v23
	s_delay_alu instid0(VALU_DEP_1) | instskip(NEXT) | instid1(VALU_DEP_1)
	v_subrev_nc_u32_e32 v24, 28, v23
	v_lshlrev_b64_e32 v[24:25], v24, v[20:21]
	s_delay_alu instid0(VALU_DEP_1)
	v_dual_sub_nc_u32 v23, 29, v23 :: v_dual_bitop2_b32 v20, 7, v24 bitop3:0x40
; %bb.307:                              ;   in Loop: Header=BB345_15 Depth=1
	s_or_b32 exec_lo, exec_lo, s46
	s_delay_alu instid0(VALU_DEP_1) | instskip(NEXT) | instid1(VALU_DEP_2)
	v_dual_lshlrev_b32 v22, 24, v22 :: v_dual_lshlrev_b32 v20, 20, v20
	v_lshl_add_u32 v23, v23, 23, 0x3c000000
	s_delay_alu instid0(VALU_DEP_2) | instskip(NEXT) | instid1(VALU_DEP_1)
	v_and_b32_e32 v22, 0x80000000, v22
	v_or3_b32 v116, v20, v22, v23
.LBB345_308:                            ;   in Loop: Header=BB345_15 Depth=1
	s_or_b32 exec_lo, exec_lo, s45
.LBB345_309:                            ;   in Loop: Header=BB345_15 Depth=1
	s_delay_alu instid0(SALU_CYCLE_1)
	s_or_b32 exec_lo, exec_lo, s44
.LBB345_310:                            ;   in Loop: Header=BB345_15 Depth=1
	s_delay_alu instid0(SALU_CYCLE_1) | instskip(NEXT) | instid1(SALU_CYCLE_1)
	s_or_b32 exec_lo, exec_lo, s43
	s_mov_b32 s43, exec_lo
	v_cmpx_lt_u64_e64 s[26:27], v[0:1]
	s_cbranch_execz .LBB345_318
; %bb.311:                              ;   in Loop: Header=BB345_15 Depth=1
	v_lshrrev_b32_e32 v0, 24, v1
	v_bfrev_b32_e32 v117, 1
	s_mov_b32 s44, exec_lo
	s_delay_alu instid0(VALU_DEP_2)
	v_cmpx_ne_u32_e32 0x80, v0
	s_cbranch_execz .LBB345_317
; %bb.312:                              ;   in Loop: Header=BB345_15 Depth=1
	v_bfe_u32 v22, v1, 24, 7
	v_mov_b32_e32 v117, 0x7f800001
	s_mov_b32 s45, exec_lo
	s_delay_alu instid0(VALU_DEP_2)
	v_cmpx_ne_u32_e32 0x7f, v22
	s_cbranch_execz .LBB345_316
; %bb.313:                              ;   in Loop: Header=BB345_15 Depth=1
	v_dual_lshrrev_b32 v1, 3, v22 :: v_dual_bitop2_b32 v20, 7, v0 bitop3:0x40
	s_mov_b32 s46, exec_lo
	v_cmpx_gt_u32_e32 8, v22
; %bb.314:                              ;   in Loop: Header=BB345_15 Depth=1
	s_delay_alu instid0(VALU_DEP_2) | instskip(NEXT) | instid1(VALU_DEP_1)
	v_clz_i32_u32_e32 v1, v20
	v_min_u32_e32 v1, 32, v1
	s_delay_alu instid0(VALU_DEP_1) | instskip(NEXT) | instid1(VALU_DEP_1)
	v_subrev_nc_u32_e32 v22, 28, v1
	v_lshlrev_b64_e32 v[22:23], v22, v[20:21]
	s_delay_alu instid0(VALU_DEP_1)
	v_dual_sub_nc_u32 v1, 29, v1 :: v_dual_bitop2_b32 v20, 7, v22 bitop3:0x40
; %bb.315:                              ;   in Loop: Header=BB345_15 Depth=1
	s_or_b32 exec_lo, exec_lo, s46
	v_lshlrev_b32_e32 v0, 24, v0
	s_delay_alu instid0(VALU_DEP_2) | instskip(NEXT) | instid1(VALU_DEP_3)
	v_lshlrev_b32_e32 v20, 20, v20
	v_lshl_add_u32 v1, v1, 23, 0x3c000000
	s_delay_alu instid0(VALU_DEP_3) | instskip(NEXT) | instid1(VALU_DEP_1)
	v_and_b32_e32 v0, 0x80000000, v0
	v_or3_b32 v117, v20, v0, v1
.LBB345_316:                            ;   in Loop: Header=BB345_15 Depth=1
	s_or_b32 exec_lo, exec_lo, s45
.LBB345_317:                            ;   in Loop: Header=BB345_15 Depth=1
	s_delay_alu instid0(SALU_CYCLE_1)
	s_or_b32 exec_lo, exec_lo, s44
.LBB345_318:                            ;   in Loop: Header=BB345_15 Depth=1
	s_delay_alu instid0(SALU_CYCLE_1)
	s_or_b32 exec_lo, exec_lo, s43
	global_load_b64 v[0:1], v[88:89], off offset:1032
	v_dual_mov_b32 v119, 0 :: v_dual_mov_b32 v118, 0
	s_mov_b32 s43, exec_lo
	s_wait_loadcnt 0x0
	v_and_b32_e32 v20, 0xff, v0
	s_wait_xcnt 0x0
	s_delay_alu instid0(VALU_DEP_1)
	v_cmpx_ne_u16_e32 0, v20
	s_cbranch_execz .LBB345_324
; %bb.319:                              ;   in Loop: Header=BB345_15 Depth=1
	v_bfrev_b32_e32 v118, 1
	s_mov_b32 s44, exec_lo
	v_cmpx_ne_u16_e32 0x80, v20
	s_cbranch_execz .LBB345_323
; %bb.320:                              ;   in Loop: Header=BB345_15 Depth=1
	v_and_b32_e32 v20, 0x7f, v0
	v_mov_b32_e32 v118, 0x7f800001
	s_mov_b32 s45, exec_lo
	s_delay_alu instid0(VALU_DEP_2)
	v_cmpx_ne_u32_e32 0x7f, v20
	s_cbranch_execz .LBB345_322
; %bb.321:                              ;   in Loop: Header=BB345_15 Depth=1
	v_and_b32_e32 v22, 7, v0
	v_lshrrev_b32_e32 v23, 3, v20
	v_cmp_gt_u32_e64 s3, 8, v20
	s_delay_alu instid0(VALU_DEP_3) | instskip(NEXT) | instid1(VALU_DEP_1)
	v_clz_i32_u32_e32 v20, v22
	v_min_u32_e32 v20, 32, v20
	s_delay_alu instid0(VALU_DEP_1) | instskip(NEXT) | instid1(VALU_DEP_1)
	v_subrev_nc_u32_e32 v22, 28, v20
	v_dual_sub_nc_u32 v20, 29, v20 :: v_dual_cndmask_b32 v22, 0, v22, s3
	s_delay_alu instid0(VALU_DEP_1) | instskip(NEXT) | instid1(VALU_DEP_2)
	v_cndmask_b32_e64 v20, v23, v20, s3
	v_lshlrev_b64_e32 v[22:23], v22, v[0:1]
	v_lshlrev_b32_e32 v23, 24, v0
	s_delay_alu instid0(VALU_DEP_3) | instskip(NEXT) | instid1(VALU_DEP_2)
	v_lshl_add_u32 v20, v20, 23, 0x3c000000
	v_and_b32_e32 v23, 0x80000000, v23
	s_delay_alu instid0(VALU_DEP_4) | instskip(NEXT) | instid1(VALU_DEP_1)
	v_lshlrev_b32_e32 v22, 20, v22
	v_and_b32_e32 v22, 0x700000, v22
	s_delay_alu instid0(VALU_DEP_1)
	v_or3_b32 v118, v22, v23, v20
.LBB345_322:                            ;   in Loop: Header=BB345_15 Depth=1
	s_or_b32 exec_lo, exec_lo, s45
.LBB345_323:                            ;   in Loop: Header=BB345_15 Depth=1
	s_delay_alu instid0(SALU_CYCLE_1)
	s_or_b32 exec_lo, exec_lo, s44
.LBB345_324:                            ;   in Loop: Header=BB345_15 Depth=1
	s_delay_alu instid0(SALU_CYCLE_1) | instskip(SKIP_2) | instid1(VALU_DEP_1)
	s_or_b32 exec_lo, exec_lo, s43
	v_lshrrev_b16 v20, 8, v0
	s_mov_b32 s43, exec_lo
	v_cmpx_ne_u16_e32 0, v20
	s_cbranch_execz .LBB345_332
; %bb.325:                              ;   in Loop: Header=BB345_15 Depth=1
	v_bfrev_b32_e32 v119, 1
	s_mov_b32 s44, exec_lo
	v_cmpx_ne_u16_e32 0x80, v20
	s_cbranch_execz .LBB345_331
; %bb.326:                              ;   in Loop: Header=BB345_15 Depth=1
	v_and_b32_e32 v20, 0xffff, v20
	v_mov_b32_e32 v119, 0x7f800001
	s_mov_b32 s45, exec_lo
	s_delay_alu instid0(VALU_DEP_2) | instskip(NEXT) | instid1(VALU_DEP_1)
	v_and_b32_e32 v23, 0x7f, v20
	v_cmpx_ne_u32_e32 0x7f, v23
	s_cbranch_execz .LBB345_330
; %bb.327:                              ;   in Loop: Header=BB345_15 Depth=1
	v_dual_lshrrev_b32 v22, 3, v23 :: v_dual_bitop2_b32 v20, 7, v20 bitop3:0x40
	s_mov_b32 s46, exec_lo
	v_cmpx_gt_u32_e32 8, v23
; %bb.328:                              ;   in Loop: Header=BB345_15 Depth=1
	s_delay_alu instid0(VALU_DEP_2) | instskip(NEXT) | instid1(VALU_DEP_1)
	v_clz_i32_u32_e32 v22, v20
	v_min_u32_e32 v22, 32, v22
	s_delay_alu instid0(VALU_DEP_1) | instskip(NEXT) | instid1(VALU_DEP_1)
	v_subrev_nc_u32_e32 v23, 28, v22
	v_lshlrev_b64_e32 v[24:25], v23, v[20:21]
	s_delay_alu instid0(VALU_DEP_1)
	v_dual_sub_nc_u32 v22, 29, v22 :: v_dual_bitop2_b32 v20, 7, v24 bitop3:0x40
; %bb.329:                              ;   in Loop: Header=BB345_15 Depth=1
	s_or_b32 exec_lo, exec_lo, s46
	v_lshlrev_b32_e32 v23, 16, v0
	s_delay_alu instid0(VALU_DEP_2) | instskip(NEXT) | instid1(VALU_DEP_3)
	v_lshlrev_b32_e32 v20, 20, v20
	v_lshl_add_u32 v22, v22, 23, 0x3c000000
	s_delay_alu instid0(VALU_DEP_3) | instskip(NEXT) | instid1(VALU_DEP_1)
	v_and_b32_e32 v23, 0x80000000, v23
	v_or3_b32 v119, v20, v23, v22
.LBB345_330:                            ;   in Loop: Header=BB345_15 Depth=1
	s_or_b32 exec_lo, exec_lo, s45
.LBB345_331:                            ;   in Loop: Header=BB345_15 Depth=1
	s_delay_alu instid0(SALU_CYCLE_1)
	s_or_b32 exec_lo, exec_lo, s44
.LBB345_332:                            ;   in Loop: Header=BB345_15 Depth=1
	s_delay_alu instid0(SALU_CYCLE_1) | instskip(SKIP_3) | instid1(VALU_DEP_2)
	s_or_b32 exec_lo, exec_lo, s43
	v_dual_mov_b32 v121, 0 :: v_dual_lshrrev_b32 v22, 16, v0
	v_mov_b32_e32 v120, 0
	s_mov_b32 s43, exec_lo
	v_and_b32_e32 v20, 0xff, v22
	s_delay_alu instid0(VALU_DEP_1)
	v_cmpx_ne_u16_e32 0, v20
	s_cbranch_execz .LBB345_340
; %bb.333:                              ;   in Loop: Header=BB345_15 Depth=1
	v_bfrev_b32_e32 v120, 1
	s_mov_b32 s44, exec_lo
	v_cmpx_ne_u16_e32 0x80, v20
	s_cbranch_execz .LBB345_339
; %bb.334:                              ;   in Loop: Header=BB345_15 Depth=1
	v_bfe_u32 v24, v0, 16, 7
	v_mov_b32_e32 v120, 0x7f800001
	s_mov_b32 s45, exec_lo
	s_delay_alu instid0(VALU_DEP_2)
	v_cmpx_ne_u32_e32 0x7f, v24
	s_cbranch_execz .LBB345_338
; %bb.335:                              ;   in Loop: Header=BB345_15 Depth=1
	v_dual_lshrrev_b32 v23, 3, v24 :: v_dual_bitop2_b32 v20, 7, v22 bitop3:0x40
	s_mov_b32 s46, exec_lo
	v_cmpx_gt_u32_e32 8, v24
; %bb.336:                              ;   in Loop: Header=BB345_15 Depth=1
	s_delay_alu instid0(VALU_DEP_2) | instskip(NEXT) | instid1(VALU_DEP_1)
	v_clz_i32_u32_e32 v23, v20
	v_min_u32_e32 v23, 32, v23
	s_delay_alu instid0(VALU_DEP_1) | instskip(NEXT) | instid1(VALU_DEP_1)
	v_subrev_nc_u32_e32 v24, 28, v23
	v_lshlrev_b64_e32 v[24:25], v24, v[20:21]
	s_delay_alu instid0(VALU_DEP_1)
	v_dual_sub_nc_u32 v23, 29, v23 :: v_dual_bitop2_b32 v20, 7, v24 bitop3:0x40
; %bb.337:                              ;   in Loop: Header=BB345_15 Depth=1
	s_or_b32 exec_lo, exec_lo, s46
	s_delay_alu instid0(VALU_DEP_1) | instskip(NEXT) | instid1(VALU_DEP_2)
	v_dual_lshlrev_b32 v22, 24, v22 :: v_dual_lshlrev_b32 v20, 20, v20
	v_lshl_add_u32 v23, v23, 23, 0x3c000000
	s_delay_alu instid0(VALU_DEP_2) | instskip(NEXT) | instid1(VALU_DEP_1)
	v_and_b32_e32 v22, 0x80000000, v22
	v_or3_b32 v120, v20, v22, v23
.LBB345_338:                            ;   in Loop: Header=BB345_15 Depth=1
	s_or_b32 exec_lo, exec_lo, s45
.LBB345_339:                            ;   in Loop: Header=BB345_15 Depth=1
	s_delay_alu instid0(SALU_CYCLE_1)
	s_or_b32 exec_lo, exec_lo, s44
.LBB345_340:                            ;   in Loop: Header=BB345_15 Depth=1
	s_delay_alu instid0(SALU_CYCLE_1) | instskip(NEXT) | instid1(SALU_CYCLE_1)
	s_or_b32 exec_lo, exec_lo, s43
	s_mov_b32 s43, exec_lo
	v_cmpx_lt_u32_e32 0xffffff, v0
	s_cbranch_execz .LBB345_348
; %bb.341:                              ;   in Loop: Header=BB345_15 Depth=1
	v_lshrrev_b32_e32 v22, 24, v0
	v_bfrev_b32_e32 v121, 1
	s_mov_b32 s44, exec_lo
	s_delay_alu instid0(VALU_DEP_2)
	v_cmpx_ne_u32_e32 0x80, v22
	s_cbranch_execz .LBB345_347
; %bb.342:                              ;   in Loop: Header=BB345_15 Depth=1
	v_bfe_u32 v24, v0, 24, 7
	v_mov_b32_e32 v121, 0x7f800001
	s_mov_b32 s45, exec_lo
	s_delay_alu instid0(VALU_DEP_2)
	v_cmpx_ne_u32_e32 0x7f, v24
	s_cbranch_execz .LBB345_346
; %bb.343:                              ;   in Loop: Header=BB345_15 Depth=1
	v_dual_lshrrev_b32 v23, 3, v24 :: v_dual_bitop2_b32 v20, 7, v22 bitop3:0x40
	s_mov_b32 s46, exec_lo
	v_cmpx_gt_u32_e32 8, v24
; %bb.344:                              ;   in Loop: Header=BB345_15 Depth=1
	s_delay_alu instid0(VALU_DEP_2) | instskip(NEXT) | instid1(VALU_DEP_1)
	v_clz_i32_u32_e32 v23, v20
	v_min_u32_e32 v23, 32, v23
	s_delay_alu instid0(VALU_DEP_1) | instskip(NEXT) | instid1(VALU_DEP_1)
	v_subrev_nc_u32_e32 v24, 28, v23
	v_lshlrev_b64_e32 v[24:25], v24, v[20:21]
	s_delay_alu instid0(VALU_DEP_1)
	v_dual_sub_nc_u32 v23, 29, v23 :: v_dual_bitop2_b32 v20, 7, v24 bitop3:0x40
; %bb.345:                              ;   in Loop: Header=BB345_15 Depth=1
	s_or_b32 exec_lo, exec_lo, s46
	s_delay_alu instid0(VALU_DEP_1) | instskip(NEXT) | instid1(VALU_DEP_2)
	v_dual_lshlrev_b32 v22, 24, v22 :: v_dual_lshlrev_b32 v20, 20, v20
	v_lshl_add_u32 v23, v23, 23, 0x3c000000
	s_delay_alu instid0(VALU_DEP_2) | instskip(NEXT) | instid1(VALU_DEP_1)
	v_and_b32_e32 v22, 0x80000000, v22
	v_or3_b32 v121, v20, v22, v23
.LBB345_346:                            ;   in Loop: Header=BB345_15 Depth=1
	s_or_b32 exec_lo, exec_lo, s45
.LBB345_347:                            ;   in Loop: Header=BB345_15 Depth=1
	s_delay_alu instid0(SALU_CYCLE_1)
	s_or_b32 exec_lo, exec_lo, s44
.LBB345_348:                            ;   in Loop: Header=BB345_15 Depth=1
	s_delay_alu instid0(SALU_CYCLE_1) | instskip(SKIP_4) | instid1(VALU_DEP_3)
	s_or_b32 exec_lo, exec_lo, s43
	v_and_b32_e32 v22, 0xff, v1
	v_dual_mov_b32 v20, v1 :: v_dual_mov_b32 v123, 0
	v_mov_b32_e32 v122, 0
	s_mov_b32 s43, exec_lo
	v_cmpx_ne_u16_e32 0, v22
	s_cbranch_execz .LBB345_354
; %bb.349:                              ;   in Loop: Header=BB345_15 Depth=1
	v_bfrev_b32_e32 v122, 1
	s_mov_b32 s44, exec_lo
	v_cmpx_ne_u16_e32 0x80, v22
	s_cbranch_execz .LBB345_353
; %bb.350:                              ;   in Loop: Header=BB345_15 Depth=1
	v_and_b32_e32 v22, 0x7f, v1
	v_mov_b32_e32 v122, 0x7f800001
	s_mov_b32 s45, exec_lo
	s_delay_alu instid0(VALU_DEP_2)
	v_cmpx_ne_u32_e32 0x7f, v22
	s_cbranch_execz .LBB345_352
; %bb.351:                              ;   in Loop: Header=BB345_15 Depth=1
	v_dual_lshrrev_b32 v24, 3, v22 :: v_dual_bitop2_b32 v23, 7, v1 bitop3:0x40
	v_cmp_gt_u32_e64 s3, 8, v22
	s_delay_alu instid0(VALU_DEP_2) | instskip(NEXT) | instid1(VALU_DEP_1)
	v_clz_i32_u32_e32 v22, v23
	v_min_u32_e32 v22, 32, v22
	s_delay_alu instid0(VALU_DEP_1) | instskip(SKIP_1) | instid1(VALU_DEP_1)
	v_subrev_nc_u32_e32 v23, 28, v22
	v_sub_nc_u32_e32 v22, 29, v22
	v_dual_cndmask_b32 v24, v24, v22, s3 :: v_dual_cndmask_b32 v22, 0, v23, s3
	s_delay_alu instid0(VALU_DEP_1) | instskip(NEXT) | instid1(VALU_DEP_2)
	v_lshl_add_u32 v24, v24, 23, 0x3c000000
	v_lshlrev_b64_e32 v[22:23], v22, v[20:21]
	v_lshlrev_b32_e32 v23, 24, v20
	s_delay_alu instid0(VALU_DEP_1) | instskip(NEXT) | instid1(VALU_DEP_3)
	v_and_b32_e32 v23, 0x80000000, v23
	v_lshlrev_b32_e32 v22, 20, v22
	s_delay_alu instid0(VALU_DEP_1) | instskip(NEXT) | instid1(VALU_DEP_1)
	v_and_b32_e32 v22, 0x700000, v22
	v_or3_b32 v122, v22, v23, v24
.LBB345_352:                            ;   in Loop: Header=BB345_15 Depth=1
	s_or_b32 exec_lo, exec_lo, s45
.LBB345_353:                            ;   in Loop: Header=BB345_15 Depth=1
	s_delay_alu instid0(SALU_CYCLE_1)
	s_or_b32 exec_lo, exec_lo, s44
.LBB345_354:                            ;   in Loop: Header=BB345_15 Depth=1
	s_delay_alu instid0(SALU_CYCLE_1) | instskip(SKIP_2) | instid1(VALU_DEP_1)
	s_or_b32 exec_lo, exec_lo, s43
	v_lshrrev_b16 v22, 8, v20
	s_mov_b32 s43, exec_lo
	v_cmpx_ne_u16_e32 0, v22
	s_cbranch_execz .LBB345_362
; %bb.355:                              ;   in Loop: Header=BB345_15 Depth=1
	v_bfrev_b32_e32 v123, 1
	s_mov_b32 s44, exec_lo
	v_cmpx_ne_u16_e32 0x80, v22
	s_cbranch_execz .LBB345_361
; %bb.356:                              ;   in Loop: Header=BB345_15 Depth=1
	v_and_b32_e32 v22, 0xffff, v22
	v_mov_b32_e32 v123, 0x7f800001
	s_mov_b32 s45, exec_lo
	s_delay_alu instid0(VALU_DEP_2) | instskip(NEXT) | instid1(VALU_DEP_1)
	v_and_b32_e32 v25, 0x7f, v22
	v_cmpx_ne_u32_e32 0x7f, v25
	s_cbranch_execz .LBB345_360
; %bb.357:                              ;   in Loop: Header=BB345_15 Depth=1
	v_dual_mov_b32 v23, v21 :: v_dual_bitop2_b32 v22, 7, v22 bitop3:0x40
	v_lshrrev_b32_e32 v24, 3, v25
	s_mov_b32 s46, exec_lo
	v_cmpx_gt_u32_e32 8, v25
; %bb.358:                              ;   in Loop: Header=BB345_15 Depth=1
	s_delay_alu instid0(VALU_DEP_3) | instskip(NEXT) | instid1(VALU_DEP_1)
	v_clz_i32_u32_e32 v24, v22
	v_min_u32_e32 v24, 32, v24
	s_delay_alu instid0(VALU_DEP_1) | instskip(NEXT) | instid1(VALU_DEP_1)
	v_subrev_nc_u32_e32 v25, 28, v24
	v_lshlrev_b64_e32 v[22:23], v25, v[22:23]
	s_delay_alu instid0(VALU_DEP_1)
	v_dual_sub_nc_u32 v24, 29, v24 :: v_dual_bitop2_b32 v22, 7, v22 bitop3:0x40
; %bb.359:                              ;   in Loop: Header=BB345_15 Depth=1
	s_or_b32 exec_lo, exec_lo, s46
	s_delay_alu instid0(VALU_DEP_1) | instskip(NEXT) | instid1(VALU_DEP_2)
	v_dual_lshlrev_b32 v20, 16, v20 :: v_dual_lshlrev_b32 v22, 20, v22
	v_lshl_add_u32 v23, v24, 23, 0x3c000000
	s_delay_alu instid0(VALU_DEP_2) | instskip(NEXT) | instid1(VALU_DEP_1)
	v_and_b32_e32 v20, 0x80000000, v20
	v_or3_b32 v123, v22, v20, v23
.LBB345_360:                            ;   in Loop: Header=BB345_15 Depth=1
	s_or_b32 exec_lo, exec_lo, s45
.LBB345_361:                            ;   in Loop: Header=BB345_15 Depth=1
	s_delay_alu instid0(SALU_CYCLE_1)
	s_or_b32 exec_lo, exec_lo, s44
.LBB345_362:                            ;   in Loop: Header=BB345_15 Depth=1
	s_delay_alu instid0(SALU_CYCLE_1) | instskip(SKIP_3) | instid1(VALU_DEP_2)
	s_or_b32 exec_lo, exec_lo, s43
	v_dual_mov_b32 v125, 0 :: v_dual_lshrrev_b32 v22, 16, v1
	v_mov_b32_e32 v124, 0
	s_mov_b32 s43, exec_lo
	v_and_b32_e32 v20, 0xff, v22
	s_delay_alu instid0(VALU_DEP_1)
	v_cmpx_ne_u16_e32 0, v20
	s_cbranch_execz .LBB345_370
; %bb.363:                              ;   in Loop: Header=BB345_15 Depth=1
	v_bfrev_b32_e32 v124, 1
	s_mov_b32 s44, exec_lo
	v_cmpx_ne_u16_e32 0x80, v20
	s_cbranch_execz .LBB345_369
; %bb.364:                              ;   in Loop: Header=BB345_15 Depth=1
	v_bfe_u32 v24, v1, 16, 7
	v_mov_b32_e32 v124, 0x7f800001
	s_mov_b32 s45, exec_lo
	s_delay_alu instid0(VALU_DEP_2)
	v_cmpx_ne_u32_e32 0x7f, v24
	s_cbranch_execz .LBB345_368
; %bb.365:                              ;   in Loop: Header=BB345_15 Depth=1
	v_dual_lshrrev_b32 v23, 3, v24 :: v_dual_bitop2_b32 v20, 7, v22 bitop3:0x40
	s_mov_b32 s46, exec_lo
	v_cmpx_gt_u32_e32 8, v24
; %bb.366:                              ;   in Loop: Header=BB345_15 Depth=1
	s_delay_alu instid0(VALU_DEP_2) | instskip(NEXT) | instid1(VALU_DEP_1)
	v_clz_i32_u32_e32 v23, v20
	v_min_u32_e32 v23, 32, v23
	s_delay_alu instid0(VALU_DEP_1) | instskip(NEXT) | instid1(VALU_DEP_1)
	v_subrev_nc_u32_e32 v24, 28, v23
	v_lshlrev_b64_e32 v[24:25], v24, v[20:21]
	s_delay_alu instid0(VALU_DEP_1)
	v_dual_sub_nc_u32 v23, 29, v23 :: v_dual_bitop2_b32 v20, 7, v24 bitop3:0x40
; %bb.367:                              ;   in Loop: Header=BB345_15 Depth=1
	s_or_b32 exec_lo, exec_lo, s46
	s_delay_alu instid0(VALU_DEP_1) | instskip(NEXT) | instid1(VALU_DEP_2)
	v_dual_lshlrev_b32 v22, 24, v22 :: v_dual_lshlrev_b32 v20, 20, v20
	v_lshl_add_u32 v23, v23, 23, 0x3c000000
	s_delay_alu instid0(VALU_DEP_2) | instskip(NEXT) | instid1(VALU_DEP_1)
	v_and_b32_e32 v22, 0x80000000, v22
	v_or3_b32 v124, v20, v22, v23
.LBB345_368:                            ;   in Loop: Header=BB345_15 Depth=1
	s_or_b32 exec_lo, exec_lo, s45
.LBB345_369:                            ;   in Loop: Header=BB345_15 Depth=1
	s_delay_alu instid0(SALU_CYCLE_1)
	s_or_b32 exec_lo, exec_lo, s44
.LBB345_370:                            ;   in Loop: Header=BB345_15 Depth=1
	s_delay_alu instid0(SALU_CYCLE_1) | instskip(NEXT) | instid1(SALU_CYCLE_1)
	s_or_b32 exec_lo, exec_lo, s43
	s_mov_b32 s43, exec_lo
	v_cmpx_lt_u64_e64 s[26:27], v[0:1]
	s_cbranch_execz .LBB345_378
; %bb.371:                              ;   in Loop: Header=BB345_15 Depth=1
	v_lshrrev_b32_e32 v0, 24, v1
	v_bfrev_b32_e32 v125, 1
	s_mov_b32 s44, exec_lo
	s_delay_alu instid0(VALU_DEP_2)
	v_cmpx_ne_u32_e32 0x80, v0
	s_cbranch_execz .LBB345_377
; %bb.372:                              ;   in Loop: Header=BB345_15 Depth=1
	v_bfe_u32 v22, v1, 24, 7
	v_mov_b32_e32 v125, 0x7f800001
	s_mov_b32 s45, exec_lo
	s_delay_alu instid0(VALU_DEP_2)
	v_cmpx_ne_u32_e32 0x7f, v22
	s_cbranch_execz .LBB345_376
; %bb.373:                              ;   in Loop: Header=BB345_15 Depth=1
	v_dual_lshrrev_b32 v1, 3, v22 :: v_dual_bitop2_b32 v20, 7, v0 bitop3:0x40
	s_mov_b32 s46, exec_lo
	v_cmpx_gt_u32_e32 8, v22
; %bb.374:                              ;   in Loop: Header=BB345_15 Depth=1
	s_delay_alu instid0(VALU_DEP_2) | instskip(NEXT) | instid1(VALU_DEP_1)
	v_clz_i32_u32_e32 v1, v20
	v_min_u32_e32 v1, 32, v1
	s_delay_alu instid0(VALU_DEP_1) | instskip(NEXT) | instid1(VALU_DEP_1)
	v_subrev_nc_u32_e32 v22, 28, v1
	v_lshlrev_b64_e32 v[22:23], v22, v[20:21]
	s_delay_alu instid0(VALU_DEP_1)
	v_dual_sub_nc_u32 v1, 29, v1 :: v_dual_bitop2_b32 v20, 7, v22 bitop3:0x40
; %bb.375:                              ;   in Loop: Header=BB345_15 Depth=1
	s_or_b32 exec_lo, exec_lo, s46
	v_lshlrev_b32_e32 v0, 24, v0
	s_delay_alu instid0(VALU_DEP_2) | instskip(NEXT) | instid1(VALU_DEP_3)
	v_lshlrev_b32_e32 v20, 20, v20
	v_lshl_add_u32 v1, v1, 23, 0x3c000000
	s_delay_alu instid0(VALU_DEP_3) | instskip(NEXT) | instid1(VALU_DEP_1)
	v_and_b32_e32 v0, 0x80000000, v0
	v_or3_b32 v125, v20, v0, v1
.LBB345_376:                            ;   in Loop: Header=BB345_15 Depth=1
	s_or_b32 exec_lo, exec_lo, s45
.LBB345_377:                            ;   in Loop: Header=BB345_15 Depth=1
	s_delay_alu instid0(SALU_CYCLE_1)
	s_or_b32 exec_lo, exec_lo, s44
.LBB345_378:                            ;   in Loop: Header=BB345_15 Depth=1
	s_delay_alu instid0(SALU_CYCLE_1)
	s_or_b32 exec_lo, exec_lo, s43
	global_load_b64 v[24:25], v[88:89], off offset:1536
	v_dual_mov_b32 v127, 0 :: v_dual_mov_b32 v126, 0
	s_mov_b32 s43, exec_lo
	s_wait_loadcnt 0x0
	v_and_b32_e32 v0, 0xff, v24
	s_wait_xcnt 0x0
	s_delay_alu instid0(VALU_DEP_1)
	v_cmpx_ne_u16_e32 0, v0
	s_cbranch_execz .LBB345_384
; %bb.379:                              ;   in Loop: Header=BB345_15 Depth=1
	v_bfrev_b32_e32 v126, 1
	s_mov_b32 s44, exec_lo
	v_cmpx_ne_u16_e32 0x80, v0
	s_cbranch_execz .LBB345_383
; %bb.380:                              ;   in Loop: Header=BB345_15 Depth=1
	v_and_b32_e32 v0, 0x7f, v24
	v_mov_b32_e32 v126, 0x7f800001
	s_mov_b32 s45, exec_lo
	s_delay_alu instid0(VALU_DEP_2)
	v_cmpx_ne_u32_e32 0x7f, v0
	s_cbranch_execz .LBB345_382
; %bb.381:                              ;   in Loop: Header=BB345_15 Depth=1
	v_and_b32_e32 v1, 7, v24
	v_lshrrev_b32_e32 v20, 3, v0
	v_cmp_gt_u32_e64 s3, 8, v0
	s_delay_alu instid0(VALU_DEP_3) | instskip(NEXT) | instid1(VALU_DEP_1)
	v_clz_i32_u32_e32 v0, v1
	v_min_u32_e32 v0, 32, v0
	s_delay_alu instid0(VALU_DEP_1) | instskip(SKIP_1) | instid1(VALU_DEP_1)
	v_subrev_nc_u32_e32 v1, 28, v0
	v_sub_nc_u32_e32 v0, 29, v0
	v_dual_cndmask_b32 v20, v20, v0, s3 :: v_dual_cndmask_b32 v0, 0, v1, s3
	s_delay_alu instid0(VALU_DEP_1) | instskip(NEXT) | instid1(VALU_DEP_2)
	v_lshl_add_u32 v20, v20, 23, 0x3c000000
	v_lshlrev_b64_e32 v[0:1], v0, v[24:25]
	v_lshlrev_b32_e32 v1, 24, v24
	s_delay_alu instid0(VALU_DEP_1) | instskip(NEXT) | instid1(VALU_DEP_3)
	v_and_b32_e32 v1, 0x80000000, v1
	v_lshlrev_b32_e32 v0, 20, v0
	s_delay_alu instid0(VALU_DEP_1) | instskip(NEXT) | instid1(VALU_DEP_1)
	v_and_b32_e32 v0, 0x700000, v0
	v_or3_b32 v126, v0, v1, v20
.LBB345_382:                            ;   in Loop: Header=BB345_15 Depth=1
	s_or_b32 exec_lo, exec_lo, s45
.LBB345_383:                            ;   in Loop: Header=BB345_15 Depth=1
	s_delay_alu instid0(SALU_CYCLE_1)
	s_or_b32 exec_lo, exec_lo, s44
.LBB345_384:                            ;   in Loop: Header=BB345_15 Depth=1
	s_delay_alu instid0(SALU_CYCLE_1) | instskip(SKIP_2) | instid1(VALU_DEP_1)
	s_or_b32 exec_lo, exec_lo, s43
	v_lshrrev_b16 v0, 8, v24
	s_mov_b32 s43, exec_lo
	v_cmpx_ne_u16_e32 0, v0
	s_cbranch_execz .LBB345_392
; %bb.385:                              ;   in Loop: Header=BB345_15 Depth=1
	v_bfrev_b32_e32 v127, 1
	s_mov_b32 s44, exec_lo
	v_cmpx_ne_u16_e32 0x80, v0
	s_cbranch_execz .LBB345_391
; %bb.386:                              ;   in Loop: Header=BB345_15 Depth=1
	v_and_b32_e32 v0, 0xffff, v0
	v_mov_b32_e32 v127, 0x7f800001
	s_mov_b32 s45, exec_lo
	s_delay_alu instid0(VALU_DEP_2) | instskip(NEXT) | instid1(VALU_DEP_1)
	v_and_b32_e32 v1, 0x7f, v0
	v_cmpx_ne_u32_e32 0x7f, v1
	s_cbranch_execz .LBB345_390
; %bb.387:                              ;   in Loop: Header=BB345_15 Depth=1
	v_dual_lshrrev_b32 v0, 3, v1 :: v_dual_bitop2_b32 v20, 7, v0 bitop3:0x40
	s_mov_b32 s46, exec_lo
	v_cmpx_gt_u32_e32 8, v1
; %bb.388:                              ;   in Loop: Header=BB345_15 Depth=1
	s_delay_alu instid0(VALU_DEP_2) | instskip(NEXT) | instid1(VALU_DEP_1)
	v_clz_i32_u32_e32 v0, v20
	v_min_u32_e32 v0, 32, v0
	s_delay_alu instid0(VALU_DEP_1) | instskip(NEXT) | instid1(VALU_DEP_1)
	v_subrev_nc_u32_e32 v1, 28, v0
	v_lshlrev_b64_e32 v[22:23], v1, v[20:21]
	s_delay_alu instid0(VALU_DEP_1)
	v_dual_sub_nc_u32 v0, 29, v0 :: v_dual_bitop2_b32 v20, 7, v22 bitop3:0x40
; %bb.389:                              ;   in Loop: Header=BB345_15 Depth=1
	s_or_b32 exec_lo, exec_lo, s46
	v_lshlrev_b32_e32 v1, 16, v24
	s_delay_alu instid0(VALU_DEP_2) | instskip(NEXT) | instid1(VALU_DEP_3)
	v_lshlrev_b32_e32 v20, 20, v20
	v_lshl_add_u32 v0, v0, 23, 0x3c000000
	s_delay_alu instid0(VALU_DEP_3) | instskip(NEXT) | instid1(VALU_DEP_1)
	v_and_b32_e32 v1, 0x80000000, v1
	v_or3_b32 v127, v20, v1, v0
.LBB345_390:                            ;   in Loop: Header=BB345_15 Depth=1
	s_or_b32 exec_lo, exec_lo, s45
.LBB345_391:                            ;   in Loop: Header=BB345_15 Depth=1
	s_delay_alu instid0(SALU_CYCLE_1)
	s_or_b32 exec_lo, exec_lo, s44
.LBB345_392:                            ;   in Loop: Header=BB345_15 Depth=1
	s_delay_alu instid0(SALU_CYCLE_1) | instskip(SKIP_3) | instid1(VALU_DEP_2)
	s_or_b32 exec_lo, exec_lo, s43
	v_dual_mov_b32 v71, 0 :: v_dual_lshrrev_b32 v0, 16, v24
	v_mov_b32_e32 v70, 0
	s_mov_b32 s43, exec_lo
	v_and_b32_e32 v1, 0xff, v0
	s_delay_alu instid0(VALU_DEP_1)
	v_cmpx_ne_u16_e32 0, v1
	s_cbranch_execz .LBB345_400
; %bb.393:                              ;   in Loop: Header=BB345_15 Depth=1
	v_bfrev_b32_e32 v70, 1
	s_mov_b32 s44, exec_lo
	v_cmpx_ne_u16_e32 0x80, v1
	s_cbranch_execz .LBB345_399
; %bb.394:                              ;   in Loop: Header=BB345_15 Depth=1
	v_bfe_u32 v22, v24, 16, 7
	v_mov_b32_e32 v70, 0x7f800001
	s_mov_b32 s45, exec_lo
	s_delay_alu instid0(VALU_DEP_2)
	v_cmpx_ne_u32_e32 0x7f, v22
	s_cbranch_execz .LBB345_398
; %bb.395:                              ;   in Loop: Header=BB345_15 Depth=1
	v_dual_lshrrev_b32 v1, 3, v22 :: v_dual_bitop2_b32 v20, 7, v0 bitop3:0x40
	s_mov_b32 s46, exec_lo
	v_cmpx_gt_u32_e32 8, v22
; %bb.396:                              ;   in Loop: Header=BB345_15 Depth=1
	s_delay_alu instid0(VALU_DEP_2) | instskip(NEXT) | instid1(VALU_DEP_1)
	v_clz_i32_u32_e32 v1, v20
	v_min_u32_e32 v1, 32, v1
	s_delay_alu instid0(VALU_DEP_1) | instskip(NEXT) | instid1(VALU_DEP_1)
	v_subrev_nc_u32_e32 v22, 28, v1
	v_lshlrev_b64_e32 v[22:23], v22, v[20:21]
	s_delay_alu instid0(VALU_DEP_1)
	v_dual_sub_nc_u32 v1, 29, v1 :: v_dual_bitop2_b32 v20, 7, v22 bitop3:0x40
; %bb.397:                              ;   in Loop: Header=BB345_15 Depth=1
	s_or_b32 exec_lo, exec_lo, s46
	v_lshlrev_b32_e32 v0, 24, v0
	s_delay_alu instid0(VALU_DEP_2) | instskip(NEXT) | instid1(VALU_DEP_3)
	v_lshlrev_b32_e32 v20, 20, v20
	v_lshl_add_u32 v1, v1, 23, 0x3c000000
	s_delay_alu instid0(VALU_DEP_3) | instskip(NEXT) | instid1(VALU_DEP_1)
	v_and_b32_e32 v0, 0x80000000, v0
	v_or3_b32 v70, v20, v0, v1
.LBB345_398:                            ;   in Loop: Header=BB345_15 Depth=1
	s_or_b32 exec_lo, exec_lo, s45
.LBB345_399:                            ;   in Loop: Header=BB345_15 Depth=1
	s_delay_alu instid0(SALU_CYCLE_1)
	s_or_b32 exec_lo, exec_lo, s44
.LBB345_400:                            ;   in Loop: Header=BB345_15 Depth=1
	s_delay_alu instid0(SALU_CYCLE_1) | instskip(NEXT) | instid1(SALU_CYCLE_1)
	s_or_b32 exec_lo, exec_lo, s43
	s_mov_b32 s43, exec_lo
	v_cmpx_lt_u32_e32 0xffffff, v24
	s_cbranch_execz .LBB345_408
; %bb.401:                              ;   in Loop: Header=BB345_15 Depth=1
	v_lshrrev_b32_e32 v0, 24, v24
	v_bfrev_b32_e32 v71, 1
	s_mov_b32 s44, exec_lo
	s_delay_alu instid0(VALU_DEP_2)
	v_cmpx_ne_u32_e32 0x80, v0
	s_cbranch_execz .LBB345_407
; %bb.402:                              ;   in Loop: Header=BB345_15 Depth=1
	v_bfe_u32 v22, v24, 24, 7
	v_mov_b32_e32 v71, 0x7f800001
	s_mov_b32 s45, exec_lo
	s_delay_alu instid0(VALU_DEP_2)
	v_cmpx_ne_u32_e32 0x7f, v22
	s_cbranch_execz .LBB345_406
; %bb.403:                              ;   in Loop: Header=BB345_15 Depth=1
	v_dual_lshrrev_b32 v1, 3, v22 :: v_dual_bitop2_b32 v20, 7, v0 bitop3:0x40
	s_mov_b32 s46, exec_lo
	v_cmpx_gt_u32_e32 8, v22
; %bb.404:                              ;   in Loop: Header=BB345_15 Depth=1
	s_delay_alu instid0(VALU_DEP_2) | instskip(NEXT) | instid1(VALU_DEP_1)
	v_clz_i32_u32_e32 v1, v20
	v_min_u32_e32 v1, 32, v1
	s_delay_alu instid0(VALU_DEP_1) | instskip(NEXT) | instid1(VALU_DEP_1)
	v_subrev_nc_u32_e32 v22, 28, v1
	v_lshlrev_b64_e32 v[22:23], v22, v[20:21]
	s_delay_alu instid0(VALU_DEP_1)
	v_dual_sub_nc_u32 v1, 29, v1 :: v_dual_bitop2_b32 v20, 7, v22 bitop3:0x40
; %bb.405:                              ;   in Loop: Header=BB345_15 Depth=1
	s_or_b32 exec_lo, exec_lo, s46
	v_lshlrev_b32_e32 v0, 24, v0
	s_delay_alu instid0(VALU_DEP_2) | instskip(NEXT) | instid1(VALU_DEP_3)
	v_lshlrev_b32_e32 v20, 20, v20
	v_lshl_add_u32 v1, v1, 23, 0x3c000000
	s_delay_alu instid0(VALU_DEP_3) | instskip(NEXT) | instid1(VALU_DEP_1)
	v_and_b32_e32 v0, 0x80000000, v0
	v_or3_b32 v71, v20, v0, v1
.LBB345_406:                            ;   in Loop: Header=BB345_15 Depth=1
	s_or_b32 exec_lo, exec_lo, s45
.LBB345_407:                            ;   in Loop: Header=BB345_15 Depth=1
	s_delay_alu instid0(SALU_CYCLE_1)
	s_or_b32 exec_lo, exec_lo, s44
.LBB345_408:                            ;   in Loop: Header=BB345_15 Depth=1
	s_delay_alu instid0(SALU_CYCLE_1) | instskip(SKIP_4) | instid1(VALU_DEP_3)
	s_or_b32 exec_lo, exec_lo, s43
	v_and_b32_e32 v22, 0xff, v25
	v_dual_mov_b32 v20, v25 :: v_dual_mov_b32 v1, 0
	v_mov_b32_e32 v0, 0
	s_mov_b32 s43, exec_lo
	v_cmpx_ne_u16_e32 0, v22
	s_cbranch_execz .LBB345_414
; %bb.409:                              ;   in Loop: Header=BB345_15 Depth=1
	v_bfrev_b32_e32 v0, 1
	s_mov_b32 s44, exec_lo
	v_cmpx_ne_u16_e32 0x80, v22
	s_cbranch_execz .LBB345_413
; %bb.410:                              ;   in Loop: Header=BB345_15 Depth=1
	v_and_b32_e32 v22, 0x7f, v25
	v_mov_b32_e32 v0, 0x7f800001
	s_mov_b32 s45, exec_lo
	s_delay_alu instid0(VALU_DEP_2)
	v_cmpx_ne_u32_e32 0x7f, v22
	s_cbranch_execz .LBB345_412
; %bb.411:                              ;   in Loop: Header=BB345_15 Depth=1
	v_dual_lshrrev_b32 v23, 3, v22 :: v_dual_bitop2_b32 v0, 7, v25 bitop3:0x40
	v_cmp_gt_u32_e64 s3, 8, v22
	s_delay_alu instid0(VALU_DEP_2) | instskip(NEXT) | instid1(VALU_DEP_1)
	v_clz_i32_u32_e32 v0, v0
	v_min_u32_e32 v0, 32, v0
	s_delay_alu instid0(VALU_DEP_1) | instskip(NEXT) | instid1(VALU_DEP_1)
	v_subrev_nc_u32_e32 v22, 28, v0
	v_dual_sub_nc_u32 v0, 29, v0 :: v_dual_cndmask_b32 v22, 0, v22, s3
	s_delay_alu instid0(VALU_DEP_1) | instskip(NEXT) | instid1(VALU_DEP_2)
	v_cndmask_b32_e64 v0, v23, v0, s3
	v_lshlrev_b64_e32 v[22:23], v22, v[20:21]
	v_lshlrev_b32_e32 v23, 24, v20
	s_delay_alu instid0(VALU_DEP_1) | instskip(NEXT) | instid1(VALU_DEP_3)
	v_and_b32_e32 v23, 0x80000000, v23
	v_lshlrev_b32_e32 v22, 20, v22
	v_lshl_add_u32 v0, v0, 23, 0x3c000000
	s_delay_alu instid0(VALU_DEP_2) | instskip(NEXT) | instid1(VALU_DEP_1)
	v_and_b32_e32 v22, 0x700000, v22
	v_or3_b32 v0, v22, v23, v0
.LBB345_412:                            ;   in Loop: Header=BB345_15 Depth=1
	s_or_b32 exec_lo, exec_lo, s45
.LBB345_413:                            ;   in Loop: Header=BB345_15 Depth=1
	s_delay_alu instid0(SALU_CYCLE_1)
	s_or_b32 exec_lo, exec_lo, s44
.LBB345_414:                            ;   in Loop: Header=BB345_15 Depth=1
	s_delay_alu instid0(SALU_CYCLE_1) | instskip(SKIP_2) | instid1(VALU_DEP_1)
	s_or_b32 exec_lo, exec_lo, s43
	v_lshrrev_b16 v22, 8, v20
	s_mov_b32 s43, exec_lo
	v_cmpx_ne_u16_e32 0, v22
	s_cbranch_execz .LBB345_422
; %bb.415:                              ;   in Loop: Header=BB345_15 Depth=1
	v_bfrev_b32_e32 v1, 1
	s_mov_b32 s44, exec_lo
	v_cmpx_ne_u16_e32 0x80, v22
	s_cbranch_execz .LBB345_421
; %bb.416:                              ;   in Loop: Header=BB345_15 Depth=1
	v_and_b32_e32 v22, 0xffff, v22
	v_mov_b32_e32 v1, 0x7f800001
	s_mov_b32 s45, exec_lo
	s_delay_alu instid0(VALU_DEP_2) | instskip(NEXT) | instid1(VALU_DEP_1)
	v_and_b32_e32 v26, 0x7f, v22
	v_cmpx_ne_u32_e32 0x7f, v26
	s_cbranch_execz .LBB345_420
; %bb.417:                              ;   in Loop: Header=BB345_15 Depth=1
	v_dual_mov_b32 v23, v21 :: v_dual_bitop2_b32 v22, 7, v22 bitop3:0x40
	v_lshrrev_b32_e32 v1, 3, v26
	s_mov_b32 s46, exec_lo
	v_cmpx_gt_u32_e32 8, v26
; %bb.418:                              ;   in Loop: Header=BB345_15 Depth=1
	s_delay_alu instid0(VALU_DEP_3) | instskip(NEXT) | instid1(VALU_DEP_1)
	v_clz_i32_u32_e32 v1, v22
	v_min_u32_e32 v1, 32, v1
	s_delay_alu instid0(VALU_DEP_1) | instskip(NEXT) | instid1(VALU_DEP_1)
	v_subrev_nc_u32_e32 v26, 28, v1
	v_lshlrev_b64_e32 v[22:23], v26, v[22:23]
	s_delay_alu instid0(VALU_DEP_1)
	v_dual_sub_nc_u32 v1, 29, v1 :: v_dual_bitop2_b32 v22, 7, v22 bitop3:0x40
; %bb.419:                              ;   in Loop: Header=BB345_15 Depth=1
	s_or_b32 exec_lo, exec_lo, s46
	s_delay_alu instid0(VALU_DEP_1) | instskip(NEXT) | instid1(VALU_DEP_2)
	v_dual_lshlrev_b32 v20, 16, v20 :: v_dual_lshlrev_b32 v22, 20, v22
	v_lshl_add_u32 v1, v1, 23, 0x3c000000
	s_delay_alu instid0(VALU_DEP_2) | instskip(NEXT) | instid1(VALU_DEP_1)
	v_and_b32_e32 v20, 0x80000000, v20
	v_or3_b32 v1, v22, v20, v1
.LBB345_420:                            ;   in Loop: Header=BB345_15 Depth=1
	s_or_b32 exec_lo, exec_lo, s45
.LBB345_421:                            ;   in Loop: Header=BB345_15 Depth=1
	s_delay_alu instid0(SALU_CYCLE_1)
	s_or_b32 exec_lo, exec_lo, s44
.LBB345_422:                            ;   in Loop: Header=BB345_15 Depth=1
	s_delay_alu instid0(SALU_CYCLE_1) | instskip(SKIP_3) | instid1(VALU_DEP_2)
	s_or_b32 exec_lo, exec_lo, s43
	v_dual_mov_b32 v23, 0 :: v_dual_lshrrev_b32 v26, 16, v25
	v_mov_b32_e32 v22, 0
	s_mov_b32 s43, exec_lo
	v_and_b32_e32 v20, 0xff, v26
	s_delay_alu instid0(VALU_DEP_1)
	v_cmpx_ne_u16_e32 0, v20
	s_cbranch_execz .LBB345_430
; %bb.423:                              ;   in Loop: Header=BB345_15 Depth=1
	v_bfrev_b32_e32 v22, 1
	s_mov_b32 s44, exec_lo
	v_cmpx_ne_u16_e32 0x80, v20
	s_cbranch_execz .LBB345_429
; %bb.424:                              ;   in Loop: Header=BB345_15 Depth=1
	v_bfe_u32 v27, v25, 16, 7
	v_mov_b32_e32 v22, 0x7f800001
	s_mov_b32 s45, exec_lo
	s_delay_alu instid0(VALU_DEP_2)
	v_cmpx_ne_u32_e32 0x7f, v27
	s_cbranch_execz .LBB345_428
; %bb.425:                              ;   in Loop: Header=BB345_15 Depth=1
	v_dual_lshrrev_b32 v22, 3, v27 :: v_dual_bitop2_b32 v20, 7, v26 bitop3:0x40
	s_mov_b32 s46, exec_lo
	v_cmpx_gt_u32_e32 8, v27
; %bb.426:                              ;   in Loop: Header=BB345_15 Depth=1
	s_delay_alu instid0(VALU_DEP_2) | instskip(NEXT) | instid1(VALU_DEP_1)
	v_clz_i32_u32_e32 v22, v20
	v_min_u32_e32 v22, 32, v22
	s_delay_alu instid0(VALU_DEP_1) | instskip(NEXT) | instid1(VALU_DEP_1)
	v_subrev_nc_u32_e32 v27, 28, v22
	v_lshlrev_b64_e32 v[28:29], v27, v[20:21]
	s_delay_alu instid0(VALU_DEP_1)
	v_dual_sub_nc_u32 v22, 29, v22 :: v_dual_bitop2_b32 v20, 7, v28 bitop3:0x40
; %bb.427:                              ;   in Loop: Header=BB345_15 Depth=1
	s_or_b32 exec_lo, exec_lo, s46
	s_delay_alu instid0(VALU_DEP_1) | instskip(NEXT) | instid1(VALU_DEP_2)
	v_dual_lshlrev_b32 v26, 24, v26 :: v_dual_lshlrev_b32 v20, 20, v20
	v_lshl_add_u32 v22, v22, 23, 0x3c000000
	s_delay_alu instid0(VALU_DEP_2) | instskip(NEXT) | instid1(VALU_DEP_1)
	v_and_b32_e32 v26, 0x80000000, v26
	v_or3_b32 v22, v20, v26, v22
.LBB345_428:                            ;   in Loop: Header=BB345_15 Depth=1
	s_or_b32 exec_lo, exec_lo, s45
.LBB345_429:                            ;   in Loop: Header=BB345_15 Depth=1
	s_delay_alu instid0(SALU_CYCLE_1)
	s_or_b32 exec_lo, exec_lo, s44
.LBB345_430:                            ;   in Loop: Header=BB345_15 Depth=1
	s_delay_alu instid0(SALU_CYCLE_1) | instskip(NEXT) | instid1(SALU_CYCLE_1)
	s_or_b32 exec_lo, exec_lo, s43
	s_mov_b32 s43, exec_lo
	v_cmpx_lt_u64_e64 s[26:27], v[24:25]
	s_cbranch_execz .LBB345_438
; %bb.431:                              ;   in Loop: Header=BB345_15 Depth=1
	v_lshrrev_b32_e32 v24, 24, v25
	v_bfrev_b32_e32 v23, 1
	s_mov_b32 s44, exec_lo
	s_delay_alu instid0(VALU_DEP_2)
	v_cmpx_ne_u32_e32 0x80, v24
	s_cbranch_execz .LBB345_437
; %bb.432:                              ;   in Loop: Header=BB345_15 Depth=1
	v_bfe_u32 v25, v25, 24, 7
	v_mov_b32_e32 v23, 0x7f800001
	s_mov_b32 s45, exec_lo
	s_delay_alu instid0(VALU_DEP_2)
	v_cmpx_ne_u32_e32 0x7f, v25
	s_cbranch_execz .LBB345_436
; %bb.433:                              ;   in Loop: Header=BB345_15 Depth=1
	v_dual_lshrrev_b32 v23, 3, v25 :: v_dual_bitop2_b32 v20, 7, v24 bitop3:0x40
	s_mov_b32 s46, exec_lo
	v_cmpx_gt_u32_e32 8, v25
; %bb.434:                              ;   in Loop: Header=BB345_15 Depth=1
	s_delay_alu instid0(VALU_DEP_2) | instskip(NEXT) | instid1(VALU_DEP_1)
	v_clz_i32_u32_e32 v23, v20
	v_min_u32_e32 v23, 32, v23
	s_delay_alu instid0(VALU_DEP_1) | instskip(NEXT) | instid1(VALU_DEP_1)
	v_subrev_nc_u32_e32 v25, 28, v23
	v_lshlrev_b64_e32 v[26:27], v25, v[20:21]
	s_delay_alu instid0(VALU_DEP_1)
	v_dual_sub_nc_u32 v23, 29, v23 :: v_dual_bitop2_b32 v20, 7, v26 bitop3:0x40
; %bb.435:                              ;   in Loop: Header=BB345_15 Depth=1
	s_or_b32 exec_lo, exec_lo, s46
	v_lshlrev_b32_e32 v24, 24, v24
	s_delay_alu instid0(VALU_DEP_2) | instskip(NEXT) | instid1(VALU_DEP_3)
	v_lshlrev_b32_e32 v20, 20, v20
	v_lshl_add_u32 v23, v23, 23, 0x3c000000
	s_delay_alu instid0(VALU_DEP_3) | instskip(NEXT) | instid1(VALU_DEP_1)
	v_and_b32_e32 v24, 0x80000000, v24
	v_or3_b32 v23, v20, v24, v23
.LBB345_436:                            ;   in Loop: Header=BB345_15 Depth=1
	s_or_b32 exec_lo, exec_lo, s45
.LBB345_437:                            ;   in Loop: Header=BB345_15 Depth=1
	s_delay_alu instid0(SALU_CYCLE_1)
	s_or_b32 exec_lo, exec_lo, s44
.LBB345_438:                            ;   in Loop: Header=BB345_15 Depth=1
	s_delay_alu instid0(SALU_CYCLE_1)
	s_or_b32 exec_lo, exec_lo, s43
	global_load_b64 v[26:27], v[88:89], off offset:1544
	s_wait_xcnt 0x0
	v_dual_mov_b32 v89, 0 :: v_dual_mov_b32 v88, 0
	s_mov_b32 s43, exec_lo
	s_wait_loadcnt 0x0
	v_and_b32_e32 v20, 0xff, v26
	s_delay_alu instid0(VALU_DEP_1)
	v_cmpx_ne_u16_e32 0, v20
	s_cbranch_execz .LBB345_444
; %bb.439:                              ;   in Loop: Header=BB345_15 Depth=1
	v_bfrev_b32_e32 v88, 1
	s_mov_b32 s44, exec_lo
	v_cmpx_ne_u16_e32 0x80, v20
	s_cbranch_execz .LBB345_443
; %bb.440:                              ;   in Loop: Header=BB345_15 Depth=1
	v_and_b32_e32 v20, 0x7f, v26
	v_mov_b32_e32 v88, 0x7f800001
	s_mov_b32 s45, exec_lo
	s_delay_alu instid0(VALU_DEP_2)
	v_cmpx_ne_u32_e32 0x7f, v20
	s_cbranch_execz .LBB345_442
; %bb.441:                              ;   in Loop: Header=BB345_15 Depth=1
	v_dual_lshrrev_b32 v25, 3, v20 :: v_dual_bitop2_b32 v24, 7, v26 bitop3:0x40
	v_cmp_gt_u32_e64 s3, 8, v20
	s_delay_alu instid0(VALU_DEP_2) | instskip(NEXT) | instid1(VALU_DEP_1)
	v_clz_i32_u32_e32 v20, v24
	v_min_u32_e32 v20, 32, v20
	s_delay_alu instid0(VALU_DEP_1) | instskip(SKIP_1) | instid1(VALU_DEP_2)
	v_subrev_nc_u32_e32 v24, 28, v20
	v_sub_nc_u32_e32 v20, 29, v20
	v_cndmask_b32_e64 v24, 0, v24, s3
	s_delay_alu instid0(VALU_DEP_2) | instskip(NEXT) | instid1(VALU_DEP_2)
	v_cndmask_b32_e64 v20, v25, v20, s3
	v_lshlrev_b64_e32 v[24:25], v24, v[26:27]
	v_lshlrev_b32_e32 v25, 24, v26
	s_delay_alu instid0(VALU_DEP_3) | instskip(NEXT) | instid1(VALU_DEP_2)
	v_lshl_add_u32 v20, v20, 23, 0x3c000000
	v_and_b32_e32 v25, 0x80000000, v25
	s_delay_alu instid0(VALU_DEP_4) | instskip(NEXT) | instid1(VALU_DEP_1)
	v_lshlrev_b32_e32 v24, 20, v24
	v_and_b32_e32 v24, 0x700000, v24
	s_delay_alu instid0(VALU_DEP_1)
	v_or3_b32 v88, v24, v25, v20
.LBB345_442:                            ;   in Loop: Header=BB345_15 Depth=1
	s_or_b32 exec_lo, exec_lo, s45
.LBB345_443:                            ;   in Loop: Header=BB345_15 Depth=1
	s_delay_alu instid0(SALU_CYCLE_1)
	s_or_b32 exec_lo, exec_lo, s44
.LBB345_444:                            ;   in Loop: Header=BB345_15 Depth=1
	s_delay_alu instid0(SALU_CYCLE_1) | instskip(SKIP_2) | instid1(VALU_DEP_1)
	s_or_b32 exec_lo, exec_lo, s43
	v_lshrrev_b16 v20, 8, v26
	s_mov_b32 s43, exec_lo
	v_cmpx_ne_u16_e32 0, v20
	s_cbranch_execz .LBB345_452
; %bb.445:                              ;   in Loop: Header=BB345_15 Depth=1
	v_bfrev_b32_e32 v89, 1
	s_mov_b32 s44, exec_lo
	v_cmpx_ne_u16_e32 0x80, v20
	s_cbranch_execz .LBB345_451
; %bb.446:                              ;   in Loop: Header=BB345_15 Depth=1
	v_and_b32_e32 v20, 0xffff, v20
	v_mov_b32_e32 v89, 0x7f800001
	s_mov_b32 s45, exec_lo
	s_delay_alu instid0(VALU_DEP_2) | instskip(NEXT) | instid1(VALU_DEP_1)
	v_and_b32_e32 v25, 0x7f, v20
	v_cmpx_ne_u32_e32 0x7f, v25
	s_cbranch_execz .LBB345_450
; %bb.447:                              ;   in Loop: Header=BB345_15 Depth=1
	v_dual_lshrrev_b32 v24, 3, v25 :: v_dual_bitop2_b32 v20, 7, v20 bitop3:0x40
	s_mov_b32 s46, exec_lo
	v_cmpx_gt_u32_e32 8, v25
; %bb.448:                              ;   in Loop: Header=BB345_15 Depth=1
	s_delay_alu instid0(VALU_DEP_2) | instskip(NEXT) | instid1(VALU_DEP_1)
	v_clz_i32_u32_e32 v24, v20
	v_min_u32_e32 v24, 32, v24
	s_delay_alu instid0(VALU_DEP_1) | instskip(SKIP_1) | instid1(VALU_DEP_2)
	v_subrev_nc_u32_e32 v25, 28, v24
	v_sub_nc_u32_e32 v24, 29, v24
	v_lshlrev_b64_e32 v[28:29], v25, v[20:21]
	s_delay_alu instid0(VALU_DEP_1)
	v_and_b32_e32 v20, 7, v28
; %bb.449:                              ;   in Loop: Header=BB345_15 Depth=1
	s_or_b32 exec_lo, exec_lo, s46
	s_delay_alu instid0(VALU_DEP_1) | instskip(SKIP_1) | instid1(VALU_DEP_2)
	v_dual_lshlrev_b32 v25, 16, v26 :: v_dual_lshlrev_b32 v20, 20, v20
	v_lshl_add_u32 v24, v24, 23, 0x3c000000
	v_and_b32_e32 v25, 0x80000000, v25
	s_delay_alu instid0(VALU_DEP_1)
	v_or3_b32 v89, v20, v25, v24
.LBB345_450:                            ;   in Loop: Header=BB345_15 Depth=1
	s_or_b32 exec_lo, exec_lo, s45
.LBB345_451:                            ;   in Loop: Header=BB345_15 Depth=1
	s_delay_alu instid0(SALU_CYCLE_1)
	s_or_b32 exec_lo, exec_lo, s44
.LBB345_452:                            ;   in Loop: Header=BB345_15 Depth=1
	s_delay_alu instid0(SALU_CYCLE_1) | instskip(SKIP_3) | instid1(VALU_DEP_2)
	s_or_b32 exec_lo, exec_lo, s43
	v_dual_mov_b32 v25, 0 :: v_dual_lshrrev_b32 v28, 16, v26
	v_mov_b32_e32 v24, 0
	s_mov_b32 s43, exec_lo
	v_and_b32_e32 v20, 0xff, v28
	s_delay_alu instid0(VALU_DEP_1)
	v_cmpx_ne_u16_e32 0, v20
	s_cbranch_execz .LBB345_460
; %bb.453:                              ;   in Loop: Header=BB345_15 Depth=1
	v_bfrev_b32_e32 v24, 1
	s_mov_b32 s44, exec_lo
	v_cmpx_ne_u16_e32 0x80, v20
	s_cbranch_execz .LBB345_459
; %bb.454:                              ;   in Loop: Header=BB345_15 Depth=1
	v_bfe_u32 v29, v26, 16, 7
	v_mov_b32_e32 v24, 0x7f800001
	s_mov_b32 s45, exec_lo
	s_delay_alu instid0(VALU_DEP_2)
	v_cmpx_ne_u32_e32 0x7f, v29
	s_cbranch_execz .LBB345_458
; %bb.455:                              ;   in Loop: Header=BB345_15 Depth=1
	v_dual_lshrrev_b32 v24, 3, v29 :: v_dual_bitop2_b32 v20, 7, v28 bitop3:0x40
	s_mov_b32 s46, exec_lo
	v_cmpx_gt_u32_e32 8, v29
; %bb.456:                              ;   in Loop: Header=BB345_15 Depth=1
	s_delay_alu instid0(VALU_DEP_2) | instskip(NEXT) | instid1(VALU_DEP_1)
	v_clz_i32_u32_e32 v24, v20
	v_min_u32_e32 v24, 32, v24
	s_delay_alu instid0(VALU_DEP_1) | instskip(NEXT) | instid1(VALU_DEP_1)
	v_subrev_nc_u32_e32 v29, 28, v24
	v_lshlrev_b64_e32 v[30:31], v29, v[20:21]
	s_delay_alu instid0(VALU_DEP_1)
	v_dual_sub_nc_u32 v24, 29, v24 :: v_dual_bitop2_b32 v20, 7, v30 bitop3:0x40
; %bb.457:                              ;   in Loop: Header=BB345_15 Depth=1
	s_or_b32 exec_lo, exec_lo, s46
	v_lshlrev_b32_e32 v28, 24, v28
	s_delay_alu instid0(VALU_DEP_2) | instskip(NEXT) | instid1(VALU_DEP_3)
	v_lshlrev_b32_e32 v20, 20, v20
	v_lshl_add_u32 v24, v24, 23, 0x3c000000
	s_delay_alu instid0(VALU_DEP_3) | instskip(NEXT) | instid1(VALU_DEP_1)
	v_and_b32_e32 v28, 0x80000000, v28
	v_or3_b32 v24, v20, v28, v24
.LBB345_458:                            ;   in Loop: Header=BB345_15 Depth=1
	s_or_b32 exec_lo, exec_lo, s45
.LBB345_459:                            ;   in Loop: Header=BB345_15 Depth=1
	s_delay_alu instid0(SALU_CYCLE_1)
	s_or_b32 exec_lo, exec_lo, s44
.LBB345_460:                            ;   in Loop: Header=BB345_15 Depth=1
	s_delay_alu instid0(SALU_CYCLE_1) | instskip(NEXT) | instid1(SALU_CYCLE_1)
	s_or_b32 exec_lo, exec_lo, s43
	s_mov_b32 s43, exec_lo
	v_cmpx_lt_u32_e32 0xffffff, v26
	s_cbranch_execz .LBB345_468
; %bb.461:                              ;   in Loop: Header=BB345_15 Depth=1
	v_lshrrev_b32_e32 v28, 24, v26
	v_bfrev_b32_e32 v25, 1
	s_mov_b32 s44, exec_lo
	s_delay_alu instid0(VALU_DEP_2)
	v_cmpx_ne_u32_e32 0x80, v28
	s_cbranch_execz .LBB345_467
; %bb.462:                              ;   in Loop: Header=BB345_15 Depth=1
	v_bfe_u32 v29, v26, 24, 7
	v_mov_b32_e32 v25, 0x7f800001
	s_mov_b32 s45, exec_lo
	s_delay_alu instid0(VALU_DEP_2)
	v_cmpx_ne_u32_e32 0x7f, v29
	s_cbranch_execz .LBB345_466
; %bb.463:                              ;   in Loop: Header=BB345_15 Depth=1
	v_dual_lshrrev_b32 v25, 3, v29 :: v_dual_bitop2_b32 v20, 7, v28 bitop3:0x40
	s_mov_b32 s46, exec_lo
	v_cmpx_gt_u32_e32 8, v29
; %bb.464:                              ;   in Loop: Header=BB345_15 Depth=1
	s_delay_alu instid0(VALU_DEP_2) | instskip(NEXT) | instid1(VALU_DEP_1)
	v_clz_i32_u32_e32 v25, v20
	v_min_u32_e32 v25, 32, v25
	s_delay_alu instid0(VALU_DEP_1) | instskip(NEXT) | instid1(VALU_DEP_1)
	v_subrev_nc_u32_e32 v29, 28, v25
	v_lshlrev_b64_e32 v[30:31], v29, v[20:21]
	s_delay_alu instid0(VALU_DEP_1)
	v_dual_sub_nc_u32 v25, 29, v25 :: v_dual_bitop2_b32 v20, 7, v30 bitop3:0x40
; %bb.465:                              ;   in Loop: Header=BB345_15 Depth=1
	s_or_b32 exec_lo, exec_lo, s46
	v_lshlrev_b32_e32 v28, 24, v28
	s_delay_alu instid0(VALU_DEP_2) | instskip(NEXT) | instid1(VALU_DEP_3)
	v_lshlrev_b32_e32 v20, 20, v20
	v_lshl_add_u32 v25, v25, 23, 0x3c000000
	s_delay_alu instid0(VALU_DEP_3) | instskip(NEXT) | instid1(VALU_DEP_1)
	v_and_b32_e32 v28, 0x80000000, v28
	v_or3_b32 v25, v20, v28, v25
.LBB345_466:                            ;   in Loop: Header=BB345_15 Depth=1
	s_or_b32 exec_lo, exec_lo, s45
.LBB345_467:                            ;   in Loop: Header=BB345_15 Depth=1
	s_delay_alu instid0(SALU_CYCLE_1)
	s_or_b32 exec_lo, exec_lo, s44
.LBB345_468:                            ;   in Loop: Header=BB345_15 Depth=1
	s_delay_alu instid0(SALU_CYCLE_1) | instskip(SKIP_4) | instid1(VALU_DEP_3)
	s_or_b32 exec_lo, exec_lo, s43
	v_and_b32_e32 v30, 0xff, v27
	v_dual_mov_b32 v20, v27 :: v_dual_mov_b32 v29, 0
	v_mov_b32_e32 v28, 0
	s_mov_b32 s43, exec_lo
	v_cmpx_ne_u16_e32 0, v30
	s_cbranch_execz .LBB345_474
; %bb.469:                              ;   in Loop: Header=BB345_15 Depth=1
	v_bfrev_b32_e32 v28, 1
	s_mov_b32 s44, exec_lo
	v_cmpx_ne_u16_e32 0x80, v30
	s_cbranch_execz .LBB345_473
; %bb.470:                              ;   in Loop: Header=BB345_15 Depth=1
	v_and_b32_e32 v30, 0x7f, v27
	v_mov_b32_e32 v28, 0x7f800001
	s_mov_b32 s45, exec_lo
	s_delay_alu instid0(VALU_DEP_2)
	v_cmpx_ne_u32_e32 0x7f, v30
	s_cbranch_execz .LBB345_472
; %bb.471:                              ;   in Loop: Header=BB345_15 Depth=1
	v_dual_lshrrev_b32 v31, 3, v30 :: v_dual_bitop2_b32 v28, 7, v27 bitop3:0x40
	v_cmp_gt_u32_e64 s3, 8, v30
	s_delay_alu instid0(VALU_DEP_2) | instskip(NEXT) | instid1(VALU_DEP_1)
	v_clz_i32_u32_e32 v28, v28
	v_min_u32_e32 v28, 32, v28
	s_delay_alu instid0(VALU_DEP_1) | instskip(NEXT) | instid1(VALU_DEP_1)
	v_subrev_nc_u32_e32 v30, 28, v28
	v_dual_sub_nc_u32 v28, 29, v28 :: v_dual_cndmask_b32 v30, 0, v30, s3
	s_delay_alu instid0(VALU_DEP_1) | instskip(NEXT) | instid1(VALU_DEP_2)
	v_cndmask_b32_e64 v28, v31, v28, s3
	v_lshlrev_b64_e32 v[30:31], v30, v[20:21]
	v_lshlrev_b32_e32 v31, 24, v20
	s_delay_alu instid0(VALU_DEP_1) | instskip(NEXT) | instid1(VALU_DEP_3)
	v_and_b32_e32 v31, 0x80000000, v31
	v_lshlrev_b32_e32 v30, 20, v30
	v_lshl_add_u32 v28, v28, 23, 0x3c000000
	s_delay_alu instid0(VALU_DEP_2) | instskip(NEXT) | instid1(VALU_DEP_1)
	v_and_b32_e32 v30, 0x700000, v30
	v_or3_b32 v28, v30, v31, v28
.LBB345_472:                            ;   in Loop: Header=BB345_15 Depth=1
	s_or_b32 exec_lo, exec_lo, s45
.LBB345_473:                            ;   in Loop: Header=BB345_15 Depth=1
	s_delay_alu instid0(SALU_CYCLE_1)
	s_or_b32 exec_lo, exec_lo, s44
.LBB345_474:                            ;   in Loop: Header=BB345_15 Depth=1
	s_delay_alu instid0(SALU_CYCLE_1) | instskip(SKIP_2) | instid1(VALU_DEP_1)
	s_or_b32 exec_lo, exec_lo, s43
	v_lshrrev_b16 v30, 8, v20
	s_mov_b32 s43, exec_lo
	v_cmpx_ne_u16_e32 0, v30
	s_cbranch_execz .LBB345_482
; %bb.475:                              ;   in Loop: Header=BB345_15 Depth=1
	v_bfrev_b32_e32 v29, 1
	s_mov_b32 s44, exec_lo
	v_cmpx_ne_u16_e32 0x80, v30
	s_cbranch_execz .LBB345_481
; %bb.476:                              ;   in Loop: Header=BB345_15 Depth=1
	v_and_b32_e32 v30, 0xffff, v30
	v_mov_b32_e32 v29, 0x7f800001
	s_mov_b32 s45, exec_lo
	s_delay_alu instid0(VALU_DEP_2) | instskip(NEXT) | instid1(VALU_DEP_1)
	v_and_b32_e32 v34, 0x7f, v30
	v_cmpx_ne_u32_e32 0x7f, v34
	s_cbranch_execz .LBB345_480
; %bb.477:                              ;   in Loop: Header=BB345_15 Depth=1
	v_dual_mov_b32 v31, v21 :: v_dual_bitop2_b32 v30, 7, v30 bitop3:0x40
	v_lshrrev_b32_e32 v29, 3, v34
	s_mov_b32 s46, exec_lo
	v_cmpx_gt_u32_e32 8, v34
; %bb.478:                              ;   in Loop: Header=BB345_15 Depth=1
	s_delay_alu instid0(VALU_DEP_3) | instskip(NEXT) | instid1(VALU_DEP_1)
	v_clz_i32_u32_e32 v29, v30
	v_min_u32_e32 v29, 32, v29
	s_delay_alu instid0(VALU_DEP_1) | instskip(NEXT) | instid1(VALU_DEP_1)
	v_subrev_nc_u32_e32 v34, 28, v29
	v_lshlrev_b64_e32 v[30:31], v34, v[30:31]
	s_delay_alu instid0(VALU_DEP_1)
	v_dual_sub_nc_u32 v29, 29, v29 :: v_dual_bitop2_b32 v30, 7, v30 bitop3:0x40
; %bb.479:                              ;   in Loop: Header=BB345_15 Depth=1
	s_or_b32 exec_lo, exec_lo, s46
	s_delay_alu instid0(VALU_DEP_1) | instskip(NEXT) | instid1(VALU_DEP_2)
	v_dual_lshlrev_b32 v20, 16, v20 :: v_dual_lshlrev_b32 v30, 20, v30
	v_lshl_add_u32 v29, v29, 23, 0x3c000000
	s_delay_alu instid0(VALU_DEP_2) | instskip(NEXT) | instid1(VALU_DEP_1)
	v_and_b32_e32 v20, 0x80000000, v20
	v_or3_b32 v29, v30, v20, v29
.LBB345_480:                            ;   in Loop: Header=BB345_15 Depth=1
	s_or_b32 exec_lo, exec_lo, s45
.LBB345_481:                            ;   in Loop: Header=BB345_15 Depth=1
	s_delay_alu instid0(SALU_CYCLE_1)
	s_or_b32 exec_lo, exec_lo, s44
.LBB345_482:                            ;   in Loop: Header=BB345_15 Depth=1
	s_delay_alu instid0(SALU_CYCLE_1) | instskip(SKIP_3) | instid1(VALU_DEP_2)
	s_or_b32 exec_lo, exec_lo, s43
	v_dual_mov_b32 v31, 0 :: v_dual_lshrrev_b32 v34, 16, v27
	v_mov_b32_e32 v30, 0
	s_mov_b32 s43, exec_lo
	v_and_b32_e32 v20, 0xff, v34
	s_delay_alu instid0(VALU_DEP_1)
	v_cmpx_ne_u16_e32 0, v20
	s_cbranch_execz .LBB345_490
; %bb.483:                              ;   in Loop: Header=BB345_15 Depth=1
	v_bfrev_b32_e32 v30, 1
	s_mov_b32 s44, exec_lo
	v_cmpx_ne_u16_e32 0x80, v20
	s_cbranch_execz .LBB345_489
; %bb.484:                              ;   in Loop: Header=BB345_15 Depth=1
	v_bfe_u32 v35, v27, 16, 7
	v_mov_b32_e32 v30, 0x7f800001
	s_mov_b32 s45, exec_lo
	s_delay_alu instid0(VALU_DEP_2)
	v_cmpx_ne_u32_e32 0x7f, v35
	s_cbranch_execz .LBB345_488
; %bb.485:                              ;   in Loop: Header=BB345_15 Depth=1
	v_dual_lshrrev_b32 v30, 3, v35 :: v_dual_bitop2_b32 v20, 7, v34 bitop3:0x40
	s_mov_b32 s46, exec_lo
	v_cmpx_gt_u32_e32 8, v35
; %bb.486:                              ;   in Loop: Header=BB345_15 Depth=1
	s_delay_alu instid0(VALU_DEP_2) | instskip(NEXT) | instid1(VALU_DEP_1)
	v_clz_i32_u32_e32 v30, v20
	v_min_u32_e32 v30, 32, v30
	s_delay_alu instid0(VALU_DEP_1) | instskip(NEXT) | instid1(VALU_DEP_1)
	v_subrev_nc_u32_e32 v35, 28, v30
	v_lshlrev_b64_e32 v[36:37], v35, v[20:21]
	s_delay_alu instid0(VALU_DEP_1)
	v_dual_sub_nc_u32 v30, 29, v30 :: v_dual_bitop2_b32 v20, 7, v36 bitop3:0x40
; %bb.487:                              ;   in Loop: Header=BB345_15 Depth=1
	s_or_b32 exec_lo, exec_lo, s46
	s_delay_alu instid0(VALU_DEP_1) | instskip(NEXT) | instid1(VALU_DEP_2)
	v_dual_lshlrev_b32 v34, 24, v34 :: v_dual_lshlrev_b32 v20, 20, v20
	v_lshl_add_u32 v30, v30, 23, 0x3c000000
	s_delay_alu instid0(VALU_DEP_2) | instskip(NEXT) | instid1(VALU_DEP_1)
	v_and_b32_e32 v34, 0x80000000, v34
	v_or3_b32 v30, v20, v34, v30
.LBB345_488:                            ;   in Loop: Header=BB345_15 Depth=1
	s_or_b32 exec_lo, exec_lo, s45
.LBB345_489:                            ;   in Loop: Header=BB345_15 Depth=1
	s_delay_alu instid0(SALU_CYCLE_1)
	s_or_b32 exec_lo, exec_lo, s44
.LBB345_490:                            ;   in Loop: Header=BB345_15 Depth=1
	s_delay_alu instid0(SALU_CYCLE_1) | instskip(NEXT) | instid1(SALU_CYCLE_1)
	s_or_b32 exec_lo, exec_lo, s43
	s_mov_b32 s43, exec_lo
	v_cmpx_lt_u64_e64 s[26:27], v[26:27]
	s_cbranch_execz .LBB345_13
; %bb.491:                              ;   in Loop: Header=BB345_15 Depth=1
	v_lshrrev_b32_e32 v26, 24, v27
	v_bfrev_b32_e32 v31, 1
	s_mov_b32 s44, exec_lo
	s_delay_alu instid0(VALU_DEP_2)
	v_cmpx_ne_u32_e32 0x80, v26
	s_cbranch_execz .LBB345_12
; %bb.492:                              ;   in Loop: Header=BB345_15 Depth=1
	v_bfe_u32 v34, v27, 24, 7
	v_mov_b32_e32 v31, 0x7f800001
	s_mov_b32 s45, exec_lo
	s_delay_alu instid0(VALU_DEP_2)
	v_cmpx_ne_u32_e32 0x7f, v34
	s_cbranch_execz .LBB345_11
; %bb.493:                              ;   in Loop: Header=BB345_15 Depth=1
	v_and_b32_e32 v20, 7, v26
	v_lshrrev_b32_e32 v27, 3, v34
	s_mov_b32 s46, exec_lo
	v_cmpx_gt_u32_e32 8, v34
	s_cbranch_execz .LBB345_10
; %bb.494:                              ;   in Loop: Header=BB345_15 Depth=1
	v_clz_i32_u32_e32 v27, v20
	s_delay_alu instid0(VALU_DEP_1) | instskip(NEXT) | instid1(VALU_DEP_1)
	v_min_u32_e32 v27, 32, v27
	v_subrev_nc_u32_e32 v31, 28, v27
	s_delay_alu instid0(VALU_DEP_1) | instskip(NEXT) | instid1(VALU_DEP_1)
	v_lshlrev_b64_e32 v[34:35], v31, v[20:21]
	v_dual_sub_nc_u32 v27, 29, v27 :: v_dual_bitop2_b32 v20, 7, v34 bitop3:0x40
	s_branch .LBB345_10
.LBB345_495:
	s_or_b32 exec_lo, exec_lo, s15
	s_clause 0x3
	scratch_load_b32 v26, off, off offset:80
	scratch_load_b32 v107, off, off offset:84
	;; [unrolled: 1-line block ×4, first 2 shown]
.LBB345_496:
	s_wait_xcnt 0x0
	s_or_b32 exec_lo, exec_lo, s24
	v_mbcnt_lo_u32_b32 v3, -1, 0
	s_clause 0x1
	s_load_b64 s[8:9], s[0:1], 0x0
	s_load_b64 s[24:25], s[0:1], 0x18
	v_max_num_f32_e32 v4, v19, v19
	v_xor_b32_e32 v2, 8, v3
	v_xor_b32_e32 v0, 16, v3
	s_delay_alu instid0(VALU_DEP_1) | instskip(SKIP_1) | instid1(VALU_DEP_1)
	v_cmp_gt_i32_e32 vcc_lo, 32, v0
	v_cndmask_b32_e32 v0, v3, v0, vcc_lo
	v_lshlrev_b32_e32 v0, 2, v0
	ds_bpermute_b32 v1, v0, v19
	s_wait_dscnt 0x0
	v_max_num_f32_e32 v5, v1, v1
	s_delay_alu instid0(VALU_DEP_1) | instskip(SKIP_2) | instid1(VALU_DEP_1)
	v_max_num_f32_e32 v4, v4, v5
	v_cmp_gt_i32_e32 vcc_lo, 32, v2
	v_dual_cndmask_b32 v2, v3, v2, vcc_lo :: v_dual_bitop2_b32 v5, 4, v3 bitop3:0x14
	v_cmp_gt_i32_e32 vcc_lo, 32, v5
	s_delay_alu instid0(VALU_DEP_2) | instskip(SKIP_3) | instid1(VALU_DEP_1)
	v_lshlrev_b32_e32 v1, 2, v2
	ds_bpermute_b32 v2, v1, v4
	s_wait_dscnt 0x0
	v_dual_cndmask_b32 v5, v3, v5 :: v_dual_max_num_f32 v6, v2, v2
	v_dual_lshlrev_b32 v2, 2, v5 :: v_dual_max_num_f32 v4, v4, v6
	ds_bpermute_b32 v5, v2, v4
	s_wait_dscnt 0x0
	v_dual_max_num_f32 v5, v5, v5 :: v_dual_bitop2_b32 v6, 2, v3 bitop3:0x14
	s_delay_alu instid0(VALU_DEP_1) | instskip(NEXT) | instid1(VALU_DEP_2)
	v_cmp_gt_i32_e32 vcc_lo, 32, v6
	v_dual_max_num_f32 v4, v4, v5 :: v_dual_cndmask_b32 v6, v3, v6, vcc_lo
	s_delay_alu instid0(VALU_DEP_1) | instskip(SKIP_3) | instid1(VALU_DEP_1)
	v_dual_lshlrev_b32 v31, 2, v6 :: v_dual_bitop2_b32 v6, 1, v3 bitop3:0x14
	ds_bpermute_b32 v5, v31, v4
	v_cmp_gt_i32_e32 vcc_lo, 32, v6
	v_cndmask_b32_e32 v3, v3, v6, vcc_lo
	v_lshlrev_b32_e32 v30, 2, v3
	scratch_load_b32 v3, off, off           ; 4-byte Folded Reload
	s_wait_dscnt 0x0
	v_max_num_f32_e32 v5, v5, v5
	s_delay_alu instid0(VALU_DEP_1)
	v_max_num_f32_e32 v4, v4, v5
	ds_bpermute_b32 v5, v30, v4
	s_wait_loadcnt 0x0
	v_cmp_eq_u32_e32 vcc_lo, 0, v3
	v_lshlrev_b32_e32 v3, 2, v107
	s_wait_xcnt 0x0
	s_and_saveexec_b32 s0, vcc_lo
	s_cbranch_execz .LBB345_498
; %bb.497:
	s_wait_dscnt 0x0
	v_dual_max_num_f32 v5, v5, v5 :: v_dual_max_num_f32 v4, v4, v4
	s_delay_alu instid0(VALU_DEP_1)
	v_max_num_f32_e32 v4, v4, v5
	ds_store_b32 v3, v4 offset:128
.LBB345_498:
	s_or_b32 exec_lo, exec_lo, s0
	scratch_load_b32 v4, off, off           ; 4-byte Folded Reload
	s_wait_storecnt 0x0
	s_wait_loadcnt_dscnt 0x0
	s_barrier_signal -1
	s_barrier_wait -1
	v_cmp_gt_u32_e64 s0, 4, v4
	v_mov_b32_e32 v4, 0xff7fffff
	s_and_saveexec_b32 s1, s0
; %bb.499:
	ds_load_b32 v4, v32 offset:128
; %bb.500:
	s_or_b32 exec_lo, exec_lo, s1
	s_wait_dscnt 0x0
	ds_bpermute_b32 v5, v31, v4
	v_max_num_f32_e32 v4, v4, v4
	s_lshl_b32 s1, s36, 5
	s_delay_alu instid0(SALU_CYCLE_1) | instskip(NEXT) | instid1(SALU_CYCLE_1)
	s_min_i32 s4, s1, s34
	v_cmp_gt_i32_e64 s1, s4, v26
	s_wait_dscnt 0x0
	v_max_num_f32_e32 v5, v5, v5
	s_delay_alu instid0(VALU_DEP_1) | instskip(SKIP_3) | instid1(VALU_DEP_1)
	v_max_num_f32_e32 v4, v4, v5
	ds_bpermute_b32 v5, v30, v4
	s_wait_dscnt 0x0
	v_max_num_f32_e32 v5, v5, v5
	v_dual_max_num_f32 v5, v4, v5 :: v_dual_mov_b32 v4, 0
	ds_bpermute_b32 v5, v4, v5
	s_and_saveexec_b32 s15, s1
	s_cbranch_execz .LBB345_504
; %bb.501:
	v_lshl_add_u32 v6, v26, 2, 0xa0
	v_dual_mov_b32 v4, 0 :: v_dual_mov_b32 v7, v26
	s_mov_b32 s26, 0
.LBB345_502:                            ; =>This Inner Loop Header: Depth=1
	ds_load_b32 v8, v6
	v_add_nc_u32_e32 v7, 0x80, v7
	s_delay_alu instid0(VALU_DEP_1) | instskip(SKIP_3) | instid1(VALU_DEP_1)
	v_cmp_le_i32_e64 s3, s4, v7
	s_or_b32 s26, s3, s26
	s_wait_dscnt 0x0
	v_sub_f32_e32 v8, v8, v5
	v_mul_f32_e32 v8, 0x3fb8aa3b, v8
	s_delay_alu instid0(VALU_DEP_1)
	v_exp_f32_e32 v8, v8
	ds_store_b32 v6, v8
	v_nop
	v_add_f32_e32 v4, v4, v8
	v_add_nc_u32_e32 v6, 0x200, v6
	s_and_not1_b32 exec_lo, exec_lo, s26
	s_cbranch_execnz .LBB345_502
; %bb.503:
	s_or_b32 exec_lo, exec_lo, s26
.LBB345_504:
	s_delay_alu instid0(SALU_CYCLE_1)
	s_or_b32 exec_lo, exec_lo, s15
	ds_bpermute_b32 v0, v0, v4
	s_wait_dscnt 0x0
	v_add_f32_e32 v0, v4, v0
	ds_bpermute_b32 v1, v1, v0
	s_wait_dscnt 0x0
	v_add_f32_e32 v0, v0, v1
	;; [unrolled: 3-line block ×5, first 2 shown]
	s_and_saveexec_b32 s3, vcc_lo
; %bb.505:
	ds_store_b32 v3, v0 offset:144
; %bb.506:
	s_or_b32 exec_lo, exec_lo, s3
	s_wait_dscnt 0x0
	s_barrier_signal -1
	s_barrier_wait -1
	s_and_saveexec_b32 s3, s0
; %bb.507:
	ds_load_b32 v0, v32 offset:144
; %bb.508:
	s_or_b32 exec_lo, exec_lo, s3
	s_wait_dscnt 0x0
	ds_bpermute_b32 v1, v31, v0
	s_wait_dscnt 0x0
	v_dual_mov_b32 v11, 0 :: v_dual_add_f32 v0, v0, v1
	ds_bpermute_b32 v1, v30, v0
	s_wait_dscnt 0x0
	v_add_f32_e32 v0, v0, v1
	ds_bpermute_b32 v0, v11, v0
	s_and_saveexec_b32 s0, s1
	s_cbranch_execz .LBB345_521
; %bb.509:
	s_wait_dscnt 0x0
	v_add_f32_e32 v0, 0x358637bd, v0
	s_mov_b32 s3, -1
	s_mov_b32 s1, exec_lo
	s_delay_alu instid0(VALU_DEP_1) | instskip(NEXT) | instid1(VALU_DEP_1)
	v_div_scale_f32 v1, null, v0, v0, 1.0
	v_rcp_f32_e32 v3, v1
	v_nop
	s_delay_alu instid0(TRANS32_DEP_1) | instskip(NEXT) | instid1(VALU_DEP_1)
	v_fma_f32 v2, -v1, v3, 1.0
	v_fmac_f32_e32 v3, v2, v3
	v_div_scale_f32 v4, vcc_lo, 1.0, v0, 1.0
	s_delay_alu instid0(VALU_DEP_1) | instskip(NEXT) | instid1(VALU_DEP_1)
	v_mul_f32_e32 v5, v4, v3
	v_fma_f32 v2, -v1, v5, v4
	s_delay_alu instid0(VALU_DEP_1) | instskip(SKIP_1) | instid1(VALU_DEP_2)
	v_fmac_f32_e32 v5, v2, v3
	v_xad_u32 v2, v26, -1, s4
	v_fma_f32 v1, -v1, v5, v4
	s_delay_alu instid0(VALU_DEP_1) | instskip(NEXT) | instid1(VALU_DEP_1)
	v_div_fmas_f32 v1, v1, v3, v5
	v_div_fixup_f32 v0, v1, v0, 1.0
	v_mov_b32_e32 v1, v26
	v_cmpx_lt_u32_e32 0x7f, v2
	s_cbranch_execz .LBB345_518
; %bb.510:
	s_delay_alu instid0(VALU_DEP_3) | instskip(NEXT) | instid1(VALU_DEP_1)
	v_dual_mov_b32 v1, v0 :: v_dual_lshrrev_b32 v2, 7, v2
	v_dual_mov_b32 v6, 0 :: v_dual_add_nc_u32 v3, -1, v2
	s_delay_alu instid0(VALU_DEP_1) | instskip(SKIP_1) | instid1(VALU_DEP_2)
	v_lshrrev_b32_e32 v4, 1, v3
	v_cmp_lt_u32_e32 vcc_lo, 13, v3
	v_add_nc_u32_e32 v3, 1, v4
	s_and_saveexec_b32 s3, vcc_lo
	s_cbranch_execz .LBB345_514
; %bb.511:
	s_delay_alu instid0(VALU_DEP_1)
	v_and_b32_e32 v4, -8, v3
	v_lshl_add_u32 v5, v26, 2, 0xa0
	s_mov_b32 s15, 0
	s_mov_b32 s26, 0
.LBB345_512:                            ; =>This Inner Loop Header: Depth=1
	ds_load_2addr_stride64_b32 v[6:7], v5 offset1:2
	ds_load_2addr_stride64_b32 v[8:9], v5 offset0:4 offset1:6
	ds_load_2addr_stride64_b32 v[12:13], v5 offset0:8 offset1:10
	ds_load_2addr_stride64_b32 v[14:15], v5 offset0:12 offset1:14
	ds_load_2addr_stride64_b32 v[16:17], v5 offset0:16 offset1:18
	ds_load_2addr_stride64_b32 v[20:21], v5 offset0:20 offset1:22
	ds_load_2addr_stride64_b32 v[22:23], v5 offset0:24 offset1:26
	ds_load_2addr_stride64_b32 v[24:25], v5 offset0:28 offset1:30
	s_add_co_i32 s26, s26, 16
	v_add_nc_u32_e32 v4, -8, v4
	s_wait_dscnt 0x7
	v_pk_mul_f32 v[6:7], v[0:1], v[6:7]
	s_wait_dscnt 0x6
	v_pk_mul_f32 v[8:9], v[0:1], v[8:9]
	s_wait_dscnt 0x5
	v_pk_mul_f32 v[12:13], v[0:1], v[12:13]
	s_wait_dscnt 0x4
	v_pk_mul_f32 v[14:15], v[0:1], v[14:15]
	s_wait_dscnt 0x3
	v_pk_mul_f32 v[16:17], v[0:1], v[16:17]
	s_wait_dscnt 0x2
	v_pk_mul_f32 v[20:21], v[0:1], v[20:21]
	s_wait_dscnt 0x1
	v_pk_mul_f32 v[22:23], v[0:1], v[22:23]
	s_wait_dscnt 0x0
	v_pk_mul_f32 v[24:25], v[0:1], v[24:25]
	ds_store_2addr_stride64_b32 v5, v6, v7 offset1:2
	ds_store_2addr_stride64_b32 v5, v8, v9 offset0:4 offset1:6
	ds_store_2addr_stride64_b32 v5, v12, v13 offset0:8 offset1:10
	;; [unrolled: 1-line block ×7, first 2 shown]
	v_mov_b32_e32 v6, s26
	v_cmp_eq_u32_e32 vcc_lo, 0, v4
	v_add_nc_u32_e32 v5, 0x2000, v5
	s_or_b32 s15, vcc_lo, s15
	s_delay_alu instid0(SALU_CYCLE_1)
	s_and_not1_b32 exec_lo, exec_lo, s15
	s_cbranch_execnz .LBB345_512
; %bb.513:
	s_or_b32 exec_lo, exec_lo, s15
.LBB345_514:
	s_delay_alu instid0(SALU_CYCLE_1) | instskip(NEXT) | instid1(VALU_DEP_1)
	s_or_b32 exec_lo, exec_lo, s3
	v_and_b32_e32 v3, 7, v3
	s_mov_b32 s15, 0
	s_mov_b32 s3, exec_lo
	s_delay_alu instid0(VALU_DEP_1)
	v_cmpx_ne_u32_e32 0, v3
	s_cbranch_execz .LBB345_517
; %bb.515:
	v_lshlrev_b32_e32 v4, 9, v6
	v_lshlrev_b32_e32 v5, 2, v26
	s_delay_alu instid0(VALU_DEP_1)
	v_add3_u32 v4, v4, v5, 0xa0
.LBB345_516:                            ; =>This Inner Loop Header: Depth=1
	ds_load_2addr_stride64_b32 v[6:7], v4 offset1:2
	v_add_nc_u32_e32 v3, -1, v3
	s_delay_alu instid0(VALU_DEP_1)
	v_cmp_eq_u32_e32 vcc_lo, 0, v3
	s_or_b32 s15, vcc_lo, s15
	s_wait_dscnt 0x0
	v_pk_mul_f32 v[6:7], v[0:1], v[6:7]
	ds_store_2addr_stride64_b32 v4, v6, v7 offset1:2
	v_add_nc_u32_e32 v4, 0x400, v4
	s_and_not1_b32 exec_lo, exec_lo, s15
	s_cbranch_execnz .LBB345_516
.LBB345_517:
	s_or_b32 exec_lo, exec_lo, s3
	v_add_nc_u32_e32 v1, 1, v2
	s_delay_alu instid0(VALU_DEP_1) | instskip(NEXT) | instid1(VALU_DEP_1)
	v_and_b32_e32 v2, 0x3fffffe, v1
	v_cmp_ne_u32_e32 vcc_lo, v1, v2
	v_lshl_add_u32 v1, v2, 7, v26
	s_or_not1_b32 s3, vcc_lo, exec_lo
.LBB345_518:
	s_or_b32 exec_lo, exec_lo, s1
	s_delay_alu instid0(SALU_CYCLE_1)
	s_and_b32 exec_lo, exec_lo, s3
	s_cbranch_execz .LBB345_521
; %bb.519:
	v_lshl_add_u32 v2, v1, 2, 0xa0
	s_mov_b32 s1, 0
.LBB345_520:                            ; =>This Inner Loop Header: Depth=1
	ds_load_b32 v3, v2
	v_add_nc_u32_e32 v1, 0x80, v1
	s_delay_alu instid0(VALU_DEP_1)
	v_cmp_le_i32_e32 vcc_lo, s4, v1
	s_or_b32 s1, vcc_lo, s1
	s_wait_dscnt 0x0
	v_mul_f32_e32 v3, v0, v3
	ds_store_b32 v2, v3
	v_add_nc_u32_e32 v2, 0x200, v2
	s_and_not1_b32 exec_lo, exec_lo, s1
	s_cbranch_execnz .LBB345_520
.LBB345_521:
	s_or_b32 exec_lo, exec_lo, s0
	v_dual_mov_b32 v10, 0 :: v_dual_bitop2_b32 v32, 3, v26 bitop3:0x40
	v_dual_mov_b32 v13, 0 :: v_dual_mov_b32 v12, 0
	v_dual_mov_b32 v15, 0 :: v_dual_mov_b32 v14, 0
	v_dual_mov_b32 v17, 0 :: v_dual_mov_b32 v16, 0
	s_wait_dscnt 0x0
	s_barrier_signal -1
	s_barrier_wait -1
	s_and_saveexec_b32 s1, s2
	s_cbranch_execz .LBB345_1023
; %bb.522:
	s_abs_i32 s6, s6
	v_dual_mov_b32 v106, v26 :: v_dual_lshlrev_b32 v0, 3, v26
	s_cvt_f32_u32 s0, s6
	v_dual_mov_b32 v21, 0 :: v_dual_lshlrev_b32 v2, 5, v32
	s_ashr_i32 s15, s14, 31
	s_delay_alu instid0(SALU_CYCLE_1)
	v_rcp_iflag_f32_e32 v1, s0
	v_and_b32_e32 v20, 0xf8, v0
	s_wait_kmcnt 0x0
	s_add_nc_u64 s[14:15], s[24:25], s[14:15]
	s_sub_co_i32 s26, s37, s5
	s_lshl_b64 s[4:5], s[22:23], 2
	s_sub_co_i32 s22, 0, s6
	v_add_nc_u64_e32 v[22:23], s[14:15], v[20:21]
	v_readfirstlane_b32 s0, v1
	v_dual_mov_b32 v1, v107 :: v_dual_mov_b32 v33, v107
	v_and_b32_e32 v20, 0x7c, v34
	s_add_nc_u64 s[4:5], s[20:21], s[4:5]
	s_mul_f32 s0, s0, 0x4f7ffffe
	s_delay_alu instid0(VALU_DEP_2) | instskip(SKIP_1) | instid1(SALU_CYCLE_1)
	v_lshl_or_b32 v1, v1, 7, v2
	v_dual_mov_b32 v16, 0 :: v_dual_bitop2_b32 v34, 24, v0 bitop3:0x40
	s_cvt_u32_f32 s0, s0
	v_add_nc_u64_e32 v[24:25], s[4:5], v[20:21]
	s_delay_alu instid0(VALU_DEP_3) | instskip(NEXT) | instid1(SALU_CYCLE_1)
	v_dual_mov_b32 v14, 0 :: v_dual_add_nc_u32 v35, 0xa0, v1
	s_mul_i32 s22, s22, s0
	v_dual_mov_b32 v17, 0 :: v_dual_mov_b32 v15, 0
	v_dual_mov_b32 v12, 0 :: v_dual_mov_b32 v13, 0
	;; [unrolled: 1-line block ×3, first 2 shown]
	s_mul_hi_u32 s4, s0, s22
	s_mov_b32 s5, 0
	s_add_co_i32 s27, s36, -1
	s_mov_b64 s[2:3], 0xffffffffffffff
	s_add_co_i32 s4, s0, s4
	s_mov_b32 s14, s5
	s_branch .LBB345_525
.LBB345_523:                            ;   in Loop: Header=BB345_525 Depth=1
	s_or_b32 exec_lo, exec_lo, s0
	s_wait_dscnt 0x1
	v_cvt_pk_bf16_f32 v6, v6, v7
	v_perm_b32 v43, v95, v96, 0x5040100
	v_cvt_pk_bf16_f32 v7, v8, v9
	v_perm_b32 v8, v93, v94, 0x5040100
	s_wait_dscnt 0x0
	v_cvt_pk_bf16_f32 v2, v2, v3
	v_perm_b32 v3, v91, v92, 0x5040100
	v_pk_mul_bf16 v9, v6, v43
	v_cvt_pk_bf16_f32 v4, v4, v5
	v_pk_mul_bf16 v8, v7, v8
	v_perm_b32 v5, v29, v28, 0x5040100
	v_pk_mul_bf16 v3, v2, v3
	v_lshlrev_b32_e32 v43, 16, v9
	v_and_b32_e32 v9, 0xffff0000, v9
	v_lshlrev_b32_e32 v44, 16, v8
	v_and_b32_e32 v8, 0xffff0000, v8
	v_pk_mul_bf16 v5, v4, v5
	v_perm_b32 v46, v76, v75, 0x5040100
	v_add_f32_e32 v9, v43, v9
	v_perm_b32 v43, v79, v80, 0x5040100
	v_dual_add_f32 v8, v44, v8 :: v_dual_lshlrev_b32 v28, 16, v3
	v_and_b32_e32 v3, 0xffff0000, v3
	v_perm_b32 v19, v19, v36, 0x5040100
	v_perm_b32 v0, v0, v1, 0x5040100
	s_delay_alu instid0(VALU_DEP_4) | instskip(NEXT) | instid1(VALU_DEP_4)
	v_add_f32_e32 v8, v8, v9
	v_dual_lshlrev_b32 v9, 16, v5 :: v_dual_add_f32 v3, v28, v3
	v_and_b32_e32 v5, 0xffff0000, v5
	v_perm_b32 v28, v89, v90, 0x5040100
	v_pk_mul_bf16 v19, v2, v19
	v_perm_b32 v1, v27, v20, 0x5040100
	s_delay_alu instid0(VALU_DEP_4)
	v_dual_add_f32 v3, v3, v8 :: v_dual_add_f32 v5, v9, v5
	v_perm_b32 v8, v87, v88, 0x5040100
	v_pk_mul_bf16 v9, v6, v28
	v_perm_b32 v36, v38, v37, 0x5040100
	v_pk_mul_bf16 v20, v4, v1
	v_add_f32_e32 v3, v5, v3
	v_pk_mul_bf16 v8, v7, v8
	v_perm_b32 v5, v85, v86, 0x5040100
	v_lshlrev_b32_e32 v28, 16, v9
	v_and_b32_e32 v9, 0xffff0000, v9
	s_delay_alu instid0(VALU_DEP_4)
	v_dual_add_f32 v10, v10, v3 :: v_dual_lshlrev_b32 v29, 16, v8
	v_and_b32_e32 v8, 0xffff0000, v8
	v_pk_mul_bf16 v5, v2, v5
	v_perm_b32 v3, v84, v83, 0x5040100
	v_add_f32_e32 v9, v28, v9
	v_pk_mul_bf16 v36, v4, v36
	v_add_f32_e32 v8, v29, v8
	v_perm_b32 v29, v81, v82, 0x5040100
	v_pk_mul_bf16 v3, v4, v3
	v_lshlrev_b32_e32 v28, 16, v5
	v_and_b32_e32 v5, 0xffff0000, v5
	v_add_f32_e32 v8, v8, v9
	v_pk_mul_bf16 v9, v6, v29
	v_lshlrev_b32_e32 v29, 16, v3
	v_and_b32_e32 v3, 0xffff0000, v3
	v_add_f32_e32 v5, v28, v5
	v_pk_mul_bf16 v28, v7, v43
	v_perm_b32 v43, v77, v78, 0x5040100
	v_lshlrev_b32_e32 v44, 16, v9
	v_and_b32_e32 v9, 0xffff0000, v9
	s_delay_alu instid0(VALU_DEP_4) | instskip(SKIP_2) | instid1(VALU_DEP_4)
	v_lshlrev_b32_e32 v45, 16, v28
	v_and_b32_e32 v28, 0xffff0000, v28
	v_pk_mul_bf16 v43, v2, v43
	v_dual_add_f32 v9, v44, v9 :: v_dual_add_f32 v5, v5, v8
	v_pk_mul_bf16 v8, v4, v46
	s_delay_alu instid0(VALU_DEP_3) | instskip(SKIP_3) | instid1(VALU_DEP_4)
	v_dual_add_f32 v28, v45, v28 :: v_dual_lshlrev_b32 v44, 16, v43
	v_and_b32_e32 v43, 0xffff0000, v43
	v_add_f32_e32 v3, v29, v3
	v_perm_b32 v29, v73, v74, 0x5040100
	v_add_f32_e32 v9, v28, v9
	v_perm_b32 v45, v60, v59, 0x5040100
	v_dual_add_f32 v28, v44, v43 :: v_dual_lshlrev_b32 v43, 16, v8
	v_perm_b32 v44, v71, v72, 0x5040100
	v_and_b32_e32 v8, 0xffff0000, v8
	v_add_f32_e32 v3, v3, v5
	v_pk_mul_bf16 v5, v6, v29
	v_add_f32_e32 v9, v28, v9
	v_pk_mul_bf16 v28, v7, v44
	v_perm_b32 v29, v69, v70, 0x5040100
	s_delay_alu instid0(VALU_DEP_4) | instskip(SKIP_1) | instid1(VALU_DEP_4)
	v_dual_add_f32 v8, v43, v8 :: v_dual_lshlrev_b32 v43, 16, v5
	v_and_b32_e32 v5, 0xffff0000, v5
	v_dual_add_f32 v13, v13, v3 :: v_dual_lshlrev_b32 v44, 16, v28
	v_and_b32_e32 v28, 0xffff0000, v28
	v_pk_mul_bf16 v29, v2, v29
	v_add_f32_e32 v3, v8, v9
	v_add_f32_e32 v5, v43, v5
	v_perm_b32 v43, v65, v66, 0x5040100
	s_delay_alu instid0(VALU_DEP_4) | instskip(SKIP_3) | instid1(VALU_DEP_3)
	v_dual_add_f32 v8, v44, v28 :: v_dual_lshlrev_b32 v9, 16, v29
	v_and_b32_e32 v28, 0xffff0000, v29
	v_perm_b32 v29, v68, v67, 0x5040100
	v_perm_b32 v46, v54, v53, 0x5040100
	v_dual_add_f32 v9, v9, v28 :: v_dual_add_f32 v12, v12, v3
	v_pk_mul_bf16 v3, v6, v43
	v_add_f32_e32 v5, v8, v5
	v_perm_b32 v8, v63, v64, 0x5040100
	v_pk_mul_bf16 v28, v4, v29
	s_delay_alu instid0(VALU_DEP_4) | instskip(SKIP_1) | instid1(VALU_DEP_4)
	v_lshlrev_b32_e32 v29, 16, v3
	v_and_b32_e32 v3, 0xffff0000, v3
	v_pk_mul_bf16 v8, v7, v8
	v_add_f32_e32 v9, v9, v5
	v_perm_b32 v5, v61, v62, 0x5040100
	s_delay_alu instid0(VALU_DEP_4) | instskip(NEXT) | instid1(VALU_DEP_4)
	v_dual_add_f32 v3, v29, v3 :: v_dual_lshlrev_b32 v44, 16, v28
	v_lshlrev_b32_e32 v43, 16, v8
	v_and_b32_e32 v8, 0xffff0000, v8
	s_delay_alu instid0(VALU_DEP_4) | instskip(SKIP_1) | instid1(VALU_DEP_2)
	v_pk_mul_bf16 v5, v2, v5
	v_and_b32_e32 v28, 0xffff0000, v28
	v_dual_add_f32 v8, v43, v8 :: v_dual_lshlrev_b32 v29, 16, v5
	v_and_b32_e32 v5, 0xffff0000, v5
	v_pk_mul_bf16 v43, v4, v45
	s_delay_alu instid0(VALU_DEP_4) | instskip(NEXT) | instid1(VALU_DEP_4)
	v_add_f32_e32 v28, v44, v28
	v_add_f32_e32 v3, v8, v3
	v_perm_b32 v8, v57, v58, 0x5040100
	v_add_f32_e32 v5, v29, v5
	v_perm_b32 v29, v55, v56, 0x5040100
	v_lshlrev_b32_e32 v45, 16, v43
	v_and_b32_e32 v43, 0xffff0000, v43
	v_pk_mul_bf16 v8, v6, v8
	v_add_f32_e32 v44, v5, v3
	v_pk_mul_bf16 v29, v7, v29
	s_delay_alu instid0(VALU_DEP_3) | instskip(SKIP_1) | instid1(VALU_DEP_3)
	v_dual_add_f32 v43, v45, v43 :: v_dual_lshlrev_b32 v3, 16, v8
	v_and_b32_e32 v5, 0xffff0000, v8
	v_lshlrev_b32_e32 v8, 16, v29
	v_and_b32_e32 v29, 0xffff0000, v29
	v_perm_b32 v45, v51, v52, 0x5040100
	s_delay_alu instid0(VALU_DEP_2) | instskip(SKIP_1) | instid1(VALU_DEP_3)
	v_add_f32_e32 v8, v8, v29
	v_perm_b32 v29, v39, v40, 0x5040100
	v_pk_mul_bf16 v39, v2, v45
	v_add_f32_e32 v3, v3, v5
	v_perm_b32 v5, v41, v42, 0x5040100
	v_pk_mul_bf16 v40, v4, v46
	v_and_b32_e32 v4, 0xffff0000, v20
	s_delay_alu instid0(VALU_DEP_3)
	v_pk_mul_bf16 v5, v6, v5
	v_add_f32_e32 v8, v8, v3
	v_pk_mul_bf16 v3, v7, v29
	v_lshlrev_b32_e32 v29, 16, v39
	v_and_b32_e32 v39, 0xffff0000, v39
	v_lshlrev_b32_e32 v41, 16, v5
	v_and_b32_e32 v5, 0xffff0000, v5
	;; [unrolled: 2-line block ×3, first 2 shown]
	v_dual_add_f32 v29, v29, v39 :: v_dual_lshlrev_b32 v37, 16, v40
	s_delay_alu instid0(VALU_DEP_4) | instskip(SKIP_1) | instid1(VALU_DEP_4)
	v_add_f32_e32 v5, v41, v5
	v_and_b32_e32 v38, 0xffff0000, v40
	v_add_f32_e32 v3, v42, v3
	v_lshlrev_b32_e32 v40, 16, v19
	v_and_b32_e32 v19, 0xffff0000, v19
	s_delay_alu instid0(VALU_DEP_3) | instskip(SKIP_2) | instid1(VALU_DEP_4)
	v_add_f32_e32 v39, v3, v5
	v_perm_b32 v3, v98, v97, 0x5040100
	v_perm_b32 v5, v26, v99, 0x5040100
	v_add_f32_e32 v19, v40, v19
	v_and_b32_e32 v26, 0xffff0000, v36
	s_delay_alu instid0(VALU_DEP_4) | instskip(NEXT) | instid1(VALU_DEP_4)
	v_pk_mul_bf16 v3, v6, v3
	v_pk_mul_bf16 v5, v7, v5
	;; [unrolled: 1-line block ×3, first 2 shown]
	s_delay_alu instid0(VALU_DEP_3) | instskip(NEXT) | instid1(VALU_DEP_3)
	v_and_b32_e32 v1, 0xffff0000, v3
	v_dual_lshlrev_b32 v3, 16, v3 :: v_dual_lshlrev_b32 v2, 16, v5
	v_and_b32_e32 v0, 0xffff0000, v5
	s_delay_alu instid0(VALU_DEP_4) | instskip(SKIP_2) | instid1(VALU_DEP_4)
	v_and_b32_e32 v5, 0xffff0000, v6
	v_dual_lshlrev_b32 v7, 16, v6 :: v_dual_lshlrev_b32 v6, 16, v20
	v_lshlrev_b32_e32 v20, 16, v36
	v_pk_add_f32 v[0:1], v[2:3], v[0:1]
	s_delay_alu instid0(VALU_DEP_3) | instskip(SKIP_1) | instid1(VALU_DEP_3)
	v_pk_add_f32 v[2:3], v[6:7], v[4:5]
	v_dual_add_f32 v4, v37, v38 :: v_dual_add_f32 v5, v19, v39
	v_dual_add_f32 v0, v0, v1 :: v_dual_add_f32 v1, v29, v8
	;; [unrolled: 1-line block ×3, first 2 shown]
	s_delay_alu instid0(VALU_DEP_2) | instskip(NEXT) | instid1(VALU_DEP_3)
	v_dual_add_f32 v0, v3, v0 :: v_dual_add_f32 v3, v28, v9
	v_add_f32_e32 v1, v4, v1
	s_delay_alu instid0(VALU_DEP_3) | instskip(NEXT) | instid1(VALU_DEP_3)
	v_add_f32_e32 v4, v6, v5
	v_dual_add_f32 v0, v2, v0 :: v_dual_add_f32 v15, v15, v3
	s_delay_alu instid0(VALU_DEP_3) | instskip(NEXT) | instid1(VALU_DEP_3)
	v_dual_add_f32 v14, v14, v7 :: v_dual_add_f32 v17, v17, v1
	v_add_f32_e32 v16, v16, v4
	s_delay_alu instid0(VALU_DEP_3)
	v_add_f32_e32 v11, v11, v0
.LBB345_524:                            ;   in Loop: Header=BB345_525 Depth=1
	s_or_b32 exec_lo, exec_lo, s15
	v_add_nc_u32_e32 v33, 4, v33
	v_add_nc_u64_e32 v[24:25], 16, v[24:25]
	v_add_nc_u32_e32 v18, 0x80, v18
	v_add_nc_u32_e32 v35, 0x200, v35
	s_delay_alu instid0(VALU_DEP_4) | instskip(SKIP_1) | instid1(SALU_CYCLE_1)
	v_cmp_le_i32_e32 vcc_lo, s36, v33
	s_or_b32 s14, vcc_lo, s14
	s_and_not1_b32 exec_lo, exec_lo, s14
	s_cbranch_execz .LBB345_1022
.LBB345_525:                            ; =>This Inner Loop Header: Depth=1
	v_mov_b32_e32 v19, v21
	s_delay_alu instid0(VALU_DEP_1) | instskip(NEXT) | instid1(VALU_DEP_1)
	v_mul_u64_e32 v[0:1], s[18:19], v[18:19]
	v_mul_lo_u32 v0, v1, s12
	s_delay_alu instid0(VALU_DEP_1) | instskip(NEXT) | instid1(VALU_DEP_1)
	v_sub_nc_u32_e32 v0, v18, v0
	v_subrev_nc_u32_e32 v3, s12, v0
	v_cmp_le_u32_e32 vcc_lo, s12, v0
	s_delay_alu instid0(VALU_DEP_2) | instskip(NEXT) | instid1(VALU_DEP_1)
	v_dual_add_nc_u32 v2, 1, v1 :: v_dual_cndmask_b32 v0, v0, v3, vcc_lo
	v_cndmask_b32_e32 v1, v1, v2, vcc_lo
	s_delay_alu instid0(VALU_DEP_2) | instskip(NEXT) | instid1(VALU_DEP_2)
	v_cmp_le_u32_e32 vcc_lo, s12, v0
	v_add_nc_u32_e32 v2, 1, v1
	s_delay_alu instid0(VALU_DEP_1) | instskip(NEXT) | instid1(VALU_DEP_1)
	v_cndmask_b32_e32 v0, v1, v2, vcc_lo
	v_xor_b32_e32 v0, s35, v0
	s_delay_alu instid0(VALU_DEP_1) | instskip(NEXT) | instid1(VALU_DEP_1)
	v_subrev_nc_u32_e32 v2, s35, v0
	v_add_nc_u32_e32 v3, s17, v2
	v_cmp_lt_i32_e64 s0, s26, v2
	s_delay_alu instid0(VALU_DEP_2) | instskip(NEXT) | instid1(VALU_DEP_1)
	v_sub_nc_u32_e32 v0, 0, v3
	v_dual_ashrrev_i32 v3, 31, v3 :: v_dual_max_i32 v20, v3, v0
	s_delay_alu instid0(VALU_DEP_1) | instskip(NEXT) | instid1(VALU_DEP_1)
	v_mul_u64_e32 v[0:1], s[4:5], v[20:21]
	v_mul_lo_u32 v0, v1, s6
	s_delay_alu instid0(VALU_DEP_1) | instskip(NEXT) | instid1(VALU_DEP_1)
	v_sub_nc_u32_e32 v0, v20, v0
	v_subrev_nc_u32_e32 v1, s6, v0
	v_cmp_le_u32_e32 vcc_lo, s6, v0
	s_delay_alu instid0(VALU_DEP_2) | instskip(NEXT) | instid1(VALU_DEP_1)
	v_cndmask_b32_e32 v0, v0, v1, vcc_lo
	v_subrev_nc_u32_e32 v1, s6, v0
	v_cmp_le_u32_e32 vcc_lo, s6, v0
	s_delay_alu instid0(VALU_DEP_2) | instskip(NEXT) | instid1(VALU_DEP_1)
	v_cndmask_b32_e32 v0, v0, v1, vcc_lo
	v_xor_b32_e32 v0, v0, v3
	s_delay_alu instid0(VALU_DEP_1) | instskip(NEXT) | instid1(VALU_DEP_1)
	v_sub_nc_u32_e32 v0, v0, v3
	v_cmp_eq_u32_e32 vcc_lo, 0, v0
	s_or_b32 s0, vcc_lo, s0
	s_delay_alu instid0(SALU_CYCLE_1)
	s_and_saveexec_b32 s15, s0
	s_cbranch_execz .LBB345_524
; %bb.526:                              ;   in Loop: Header=BB345_525 Depth=1
	global_load_b32 v0, v[24:25], off
	v_dual_mov_b32 v38, 0 :: v_dual_mov_b32 v37, 0
	s_mov_b32 s0, exec_lo
	s_wait_loadcnt 0x0
	v_mad_nc_i64_i32 v[26:27], v0, s13, v[22:23]
	global_load_b64 v[0:1], v[26:27], off
	ds_load_2addr_b64 v[6:9], v35 offset1:1
	ds_load_2addr_b64 v[2:5], v35 offset0:2 offset1:3
	s_load_b32 s20, s[10:11], 0x0
	s_wait_loadcnt 0x0
	v_and_b32_e32 v19, 0xff, v0
	s_delay_alu instid0(VALU_DEP_1)
	v_cmpx_ne_u16_e32 0, v19
	s_cbranch_execz .LBB345_532
; %bb.527:                              ;   in Loop: Header=BB345_525 Depth=1
	v_bfrev_b32_e32 v37, 1
	s_mov_b32 s21, exec_lo
	v_cmpx_ne_u16_e32 0x80, v19
	s_cbranch_execz .LBB345_531
; %bb.528:                              ;   in Loop: Header=BB345_525 Depth=1
	v_and_b32_e32 v19, 0x7f, v0
	v_mov_b32_e32 v37, 0x7f800001
	s_mov_b32 s22, exec_lo
	s_delay_alu instid0(VALU_DEP_2)
	v_cmpx_ne_u32_e32 0x7f, v19
	s_cbranch_execz .LBB345_530
; %bb.529:                              ;   in Loop: Header=BB345_525 Depth=1
	v_dual_lshrrev_b32 v28, 3, v19 :: v_dual_bitop2_b32 v20, 7, v0 bitop3:0x40
	v_cmp_gt_u32_e32 vcc_lo, 8, v19
	s_delay_alu instid0(VALU_DEP_2) | instskip(NEXT) | instid1(VALU_DEP_1)
	v_clz_i32_u32_e32 v20, v20
	v_min_u32_e32 v20, 32, v20
	s_delay_alu instid0(VALU_DEP_1) | instskip(SKIP_1) | instid1(VALU_DEP_1)
	v_subrev_nc_u32_e32 v29, 28, v20
	v_sub_nc_u32_e32 v20, 29, v20
	v_dual_cndmask_b32 v19, v28, v20 :: v_dual_cndmask_b32 v20, 0, v29
	s_delay_alu instid0(VALU_DEP_1) | instskip(NEXT) | instid1(VALU_DEP_2)
	v_lshl_add_u32 v19, v19, 23, 0x3c000000
	v_lshlrev_b64_e32 v[28:29], v20, v[0:1]
	v_lshlrev_b32_e32 v20, 24, v0
	s_delay_alu instid0(VALU_DEP_1) | instskip(NEXT) | instid1(VALU_DEP_3)
	v_and_b32_e32 v20, 0x80000000, v20
	v_lshlrev_b32_e32 v28, 20, v28
	s_delay_alu instid0(VALU_DEP_1) | instskip(NEXT) | instid1(VALU_DEP_1)
	v_and_b32_e32 v28, 0x700000, v28
	v_or3_b32 v37, v28, v20, v19
.LBB345_530:                            ;   in Loop: Header=BB345_525 Depth=1
	s_or_b32 exec_lo, exec_lo, s22
.LBB345_531:                            ;   in Loop: Header=BB345_525 Depth=1
	s_delay_alu instid0(SALU_CYCLE_1)
	s_or_b32 exec_lo, exec_lo, s21
.LBB345_532:                            ;   in Loop: Header=BB345_525 Depth=1
	s_delay_alu instid0(SALU_CYCLE_1) | instskip(SKIP_2) | instid1(VALU_DEP_1)
	s_or_b32 exec_lo, exec_lo, s0
	v_lshrrev_b16 v19, 8, v0
	s_mov_b32 s0, exec_lo
	v_cmpx_ne_u16_e32 0, v19
	s_cbranch_execz .LBB345_540
; %bb.533:                              ;   in Loop: Header=BB345_525 Depth=1
	v_bfrev_b32_e32 v38, 1
	s_mov_b32 s21, exec_lo
	v_cmpx_ne_u16_e32 0x80, v19
	s_cbranch_execz .LBB345_539
; %bb.534:                              ;   in Loop: Header=BB345_525 Depth=1
	v_and_b32_e32 v19, 0xffff, v19
	v_mov_b32_e32 v38, 0x7f800001
	s_mov_b32 s22, exec_lo
	s_delay_alu instid0(VALU_DEP_2) | instskip(NEXT) | instid1(VALU_DEP_1)
	v_and_b32_e32 v28, 0x7f, v19
	v_cmpx_ne_u32_e32 0x7f, v28
	s_cbranch_execz .LBB345_538
; %bb.535:                              ;   in Loop: Header=BB345_525 Depth=1
	v_dual_lshrrev_b32 v19, 3, v28 :: v_dual_bitop2_b32 v20, 7, v19 bitop3:0x40
	s_mov_b32 s23, exec_lo
	v_cmpx_gt_u32_e32 8, v28
; %bb.536:                              ;   in Loop: Header=BB345_525 Depth=1
	s_delay_alu instid0(VALU_DEP_2) | instskip(NEXT) | instid1(VALU_DEP_1)
	v_clz_i32_u32_e32 v19, v20
	v_min_u32_e32 v19, 32, v19
	s_delay_alu instid0(VALU_DEP_1) | instskip(NEXT) | instid1(VALU_DEP_1)
	v_subrev_nc_u32_e32 v28, 28, v19
	v_lshlrev_b64_e32 v[28:29], v28, v[20:21]
	s_delay_alu instid0(VALU_DEP_1)
	v_dual_sub_nc_u32 v19, 29, v19 :: v_dual_bitop2_b32 v20, 7, v28 bitop3:0x40
; %bb.537:                              ;   in Loop: Header=BB345_525 Depth=1
	s_or_b32 exec_lo, exec_lo, s23
	v_lshlrev_b32_e32 v28, 16, v0
	s_delay_alu instid0(VALU_DEP_2) | instskip(NEXT) | instid1(VALU_DEP_3)
	v_lshlrev_b32_e32 v20, 20, v20
	v_lshl_add_u32 v19, v19, 23, 0x3c000000
	s_delay_alu instid0(VALU_DEP_3) | instskip(NEXT) | instid1(VALU_DEP_1)
	v_and_b32_e32 v28, 0x80000000, v28
	v_or3_b32 v38, v20, v28, v19
.LBB345_538:                            ;   in Loop: Header=BB345_525 Depth=1
	s_or_b32 exec_lo, exec_lo, s22
.LBB345_539:                            ;   in Loop: Header=BB345_525 Depth=1
	s_delay_alu instid0(SALU_CYCLE_1)
	s_or_b32 exec_lo, exec_lo, s21
.LBB345_540:                            ;   in Loop: Header=BB345_525 Depth=1
	s_delay_alu instid0(SALU_CYCLE_1) | instskip(SKIP_3) | instid1(VALU_DEP_2)
	s_or_b32 exec_lo, exec_lo, s0
	v_dual_lshrrev_b32 v19, 16, v0 :: v_dual_mov_b32 v39, 0
	v_mov_b32_e32 v40, 0
	s_mov_b32 s0, exec_lo
	v_and_b32_e32 v20, 0xff, v19
	s_delay_alu instid0(VALU_DEP_1)
	v_cmpx_ne_u16_e32 0, v20
	s_cbranch_execz .LBB345_548
; %bb.541:                              ;   in Loop: Header=BB345_525 Depth=1
	v_bfrev_b32_e32 v40, 1
	s_mov_b32 s21, exec_lo
	v_cmpx_ne_u16_e32 0x80, v20
	s_cbranch_execz .LBB345_547
; %bb.542:                              ;   in Loop: Header=BB345_525 Depth=1
	v_bfe_u32 v29, v0, 16, 7
	v_mov_b32_e32 v40, 0x7f800001
	s_mov_b32 s22, exec_lo
	s_delay_alu instid0(VALU_DEP_2)
	v_cmpx_ne_u32_e32 0x7f, v29
	s_cbranch_execz .LBB345_546
; %bb.543:                              ;   in Loop: Header=BB345_525 Depth=1
	v_dual_lshrrev_b32 v28, 3, v29 :: v_dual_bitop2_b32 v20, 7, v19 bitop3:0x40
	s_mov_b32 s23, exec_lo
	v_cmpx_gt_u32_e32 8, v29
; %bb.544:                              ;   in Loop: Header=BB345_525 Depth=1
	s_delay_alu instid0(VALU_DEP_2) | instskip(NEXT) | instid1(VALU_DEP_1)
	v_clz_i32_u32_e32 v28, v20
	v_min_u32_e32 v28, 32, v28
	s_delay_alu instid0(VALU_DEP_1) | instskip(SKIP_1) | instid1(VALU_DEP_2)
	v_subrev_nc_u32_e32 v29, 28, v28
	v_sub_nc_u32_e32 v28, 29, v28
	v_lshlrev_b64_e32 v[40:41], v29, v[20:21]
	s_delay_alu instid0(VALU_DEP_1)
	v_and_b32_e32 v20, 7, v40
; %bb.545:                              ;   in Loop: Header=BB345_525 Depth=1
	s_or_b32 exec_lo, exec_lo, s23
	s_delay_alu instid0(VALU_DEP_1) | instskip(SKIP_1) | instid1(VALU_DEP_2)
	v_dual_lshlrev_b32 v19, 24, v19 :: v_dual_lshlrev_b32 v20, 20, v20
	v_lshl_add_u32 v28, v28, 23, 0x3c000000
	v_and_b32_e32 v19, 0x80000000, v19
	s_delay_alu instid0(VALU_DEP_1)
	v_or3_b32 v40, v20, v19, v28
.LBB345_546:                            ;   in Loop: Header=BB345_525 Depth=1
	s_or_b32 exec_lo, exec_lo, s22
.LBB345_547:                            ;   in Loop: Header=BB345_525 Depth=1
	s_delay_alu instid0(SALU_CYCLE_1)
	s_or_b32 exec_lo, exec_lo, s21
.LBB345_548:                            ;   in Loop: Header=BB345_525 Depth=1
	s_delay_alu instid0(SALU_CYCLE_1) | instskip(NEXT) | instid1(SALU_CYCLE_1)
	s_or_b32 exec_lo, exec_lo, s0
	s_mov_b32 s0, exec_lo
	v_cmpx_lt_u32_e32 0xffffff, v0
	s_cbranch_execz .LBB345_556
; %bb.549:                              ;   in Loop: Header=BB345_525 Depth=1
	v_lshrrev_b32_e32 v19, 24, v0
	v_bfrev_b32_e32 v39, 1
	s_mov_b32 s21, exec_lo
	s_delay_alu instid0(VALU_DEP_2)
	v_cmpx_ne_u32_e32 0x80, v19
	s_cbranch_execz .LBB345_555
; %bb.550:                              ;   in Loop: Header=BB345_525 Depth=1
	v_bfe_u32 v29, v0, 24, 7
	v_mov_b32_e32 v39, 0x7f800001
	s_mov_b32 s22, exec_lo
	s_delay_alu instid0(VALU_DEP_2)
	v_cmpx_ne_u32_e32 0x7f, v29
	s_cbranch_execz .LBB345_554
; %bb.551:                              ;   in Loop: Header=BB345_525 Depth=1
	v_dual_lshrrev_b32 v28, 3, v29 :: v_dual_bitop2_b32 v20, 7, v19 bitop3:0x40
	s_mov_b32 s23, exec_lo
	v_cmpx_gt_u32_e32 8, v29
; %bb.552:                              ;   in Loop: Header=BB345_525 Depth=1
	s_delay_alu instid0(VALU_DEP_2) | instskip(NEXT) | instid1(VALU_DEP_1)
	v_clz_i32_u32_e32 v28, v20
	v_min_u32_e32 v28, 32, v28
	s_delay_alu instid0(VALU_DEP_1) | instskip(NEXT) | instid1(VALU_DEP_1)
	v_subrev_nc_u32_e32 v29, 28, v28
	v_lshlrev_b64_e32 v[42:43], v29, v[20:21]
	s_delay_alu instid0(VALU_DEP_1)
	v_dual_sub_nc_u32 v28, 29, v28 :: v_dual_bitop2_b32 v20, 7, v42 bitop3:0x40
; %bb.553:                              ;   in Loop: Header=BB345_525 Depth=1
	s_or_b32 exec_lo, exec_lo, s23
	s_delay_alu instid0(VALU_DEP_1) | instskip(NEXT) | instid1(VALU_DEP_2)
	v_dual_lshlrev_b32 v19, 24, v19 :: v_dual_lshlrev_b32 v20, 20, v20
	v_lshl_add_u32 v28, v28, 23, 0x3c000000
	s_delay_alu instid0(VALU_DEP_2) | instskip(NEXT) | instid1(VALU_DEP_1)
	v_and_b32_e32 v19, 0x80000000, v19
	v_or3_b32 v39, v20, v19, v28
.LBB345_554:                            ;   in Loop: Header=BB345_525 Depth=1
	s_or_b32 exec_lo, exec_lo, s22
.LBB345_555:                            ;   in Loop: Header=BB345_525 Depth=1
	s_delay_alu instid0(SALU_CYCLE_1)
	s_or_b32 exec_lo, exec_lo, s21
.LBB345_556:                            ;   in Loop: Header=BB345_525 Depth=1
	s_delay_alu instid0(SALU_CYCLE_1) | instskip(SKIP_4) | instid1(VALU_DEP_3)
	s_or_b32 exec_lo, exec_lo, s0
	v_and_b32_e32 v28, 0xff, v1
	v_dual_mov_b32 v20, v1 :: v_dual_mov_b32 v19, 0
	v_mov_b32_e32 v36, 0
	s_mov_b32 s0, exec_lo
	v_cmpx_ne_u16_e32 0, v28
	s_cbranch_execz .LBB345_562
; %bb.557:                              ;   in Loop: Header=BB345_525 Depth=1
	v_bfrev_b32_e32 v36, 1
	s_mov_b32 s21, exec_lo
	v_cmpx_ne_u16_e32 0x80, v28
	s_cbranch_execz .LBB345_561
; %bb.558:                              ;   in Loop: Header=BB345_525 Depth=1
	v_and_b32_e32 v28, 0x7f, v1
	v_mov_b32_e32 v36, 0x7f800001
	s_mov_b32 s22, exec_lo
	s_delay_alu instid0(VALU_DEP_2)
	v_cmpx_ne_u32_e32 0x7f, v28
	s_cbranch_execz .LBB345_560
; %bb.559:                              ;   in Loop: Header=BB345_525 Depth=1
	v_dual_lshrrev_b32 v36, 3, v28 :: v_dual_bitop2_b32 v29, 7, v1 bitop3:0x40
	v_cmp_gt_u32_e32 vcc_lo, 8, v28
	s_delay_alu instid0(VALU_DEP_2) | instskip(NEXT) | instid1(VALU_DEP_1)
	v_clz_i32_u32_e32 v29, v29
	v_min_u32_e32 v29, 32, v29
	s_delay_alu instid0(VALU_DEP_1) | instskip(SKIP_1) | instid1(VALU_DEP_2)
	v_subrev_nc_u32_e32 v41, 28, v29
	v_sub_nc_u32_e32 v29, 29, v29
	v_cndmask_b32_e32 v28, 0, v41, vcc_lo
	s_delay_alu instid0(VALU_DEP_2) | instskip(NEXT) | instid1(VALU_DEP_2)
	v_cndmask_b32_e32 v36, v36, v29, vcc_lo
	v_lshlrev_b64_e32 v[28:29], v28, v[20:21]
	v_lshlrev_b32_e32 v29, 24, v20
	s_delay_alu instid0(VALU_DEP_3) | instskip(NEXT) | instid1(VALU_DEP_2)
	v_lshl_add_u32 v36, v36, 23, 0x3c000000
	v_and_b32_e32 v29, 0x80000000, v29
	s_delay_alu instid0(VALU_DEP_4) | instskip(NEXT) | instid1(VALU_DEP_1)
	v_lshlrev_b32_e32 v28, 20, v28
	v_and_b32_e32 v28, 0x700000, v28
	s_delay_alu instid0(VALU_DEP_1)
	v_or3_b32 v36, v28, v29, v36
.LBB345_560:                            ;   in Loop: Header=BB345_525 Depth=1
	s_or_b32 exec_lo, exec_lo, s22
.LBB345_561:                            ;   in Loop: Header=BB345_525 Depth=1
	s_delay_alu instid0(SALU_CYCLE_1)
	s_or_b32 exec_lo, exec_lo, s21
.LBB345_562:                            ;   in Loop: Header=BB345_525 Depth=1
	s_delay_alu instid0(SALU_CYCLE_1) | instskip(SKIP_2) | instid1(VALU_DEP_1)
	s_or_b32 exec_lo, exec_lo, s0
	v_lshrrev_b16 v28, 8, v20
	s_mov_b32 s0, exec_lo
	v_cmpx_ne_u16_e32 0, v28
	s_cbranch_execz .LBB345_570
; %bb.563:                              ;   in Loop: Header=BB345_525 Depth=1
	v_bfrev_b32_e32 v19, 1
	s_mov_b32 s21, exec_lo
	v_cmpx_ne_u16_e32 0x80, v28
	s_cbranch_execz .LBB345_569
; %bb.564:                              ;   in Loop: Header=BB345_525 Depth=1
	v_and_b32_e32 v28, 0xffff, v28
	v_mov_b32_e32 v19, 0x7f800001
	s_mov_b32 s22, exec_lo
	s_delay_alu instid0(VALU_DEP_2) | instskip(NEXT) | instid1(VALU_DEP_1)
	v_and_b32_e32 v41, 0x7f, v28
	v_cmpx_ne_u32_e32 0x7f, v41
	s_cbranch_execz .LBB345_568
; %bb.565:                              ;   in Loop: Header=BB345_525 Depth=1
	v_dual_mov_b32 v29, v21 :: v_dual_bitop2_b32 v28, 7, v28 bitop3:0x40
	v_lshrrev_b32_e32 v19, 3, v41
	s_mov_b32 s23, exec_lo
	v_cmpx_gt_u32_e32 8, v41
; %bb.566:                              ;   in Loop: Header=BB345_525 Depth=1
	s_delay_alu instid0(VALU_DEP_3) | instskip(NEXT) | instid1(VALU_DEP_1)
	v_clz_i32_u32_e32 v19, v28
	v_min_u32_e32 v19, 32, v19
	s_delay_alu instid0(VALU_DEP_1) | instskip(NEXT) | instid1(VALU_DEP_1)
	v_subrev_nc_u32_e32 v41, 28, v19
	v_lshlrev_b64_e32 v[28:29], v41, v[28:29]
	s_delay_alu instid0(VALU_DEP_1)
	v_dual_sub_nc_u32 v19, 29, v19 :: v_dual_bitop2_b32 v28, 7, v28 bitop3:0x40
; %bb.567:                              ;   in Loop: Header=BB345_525 Depth=1
	s_or_b32 exec_lo, exec_lo, s23
	v_lshlrev_b32_e32 v20, 16, v20
	s_delay_alu instid0(VALU_DEP_2) | instskip(NEXT) | instid1(VALU_DEP_3)
	v_lshlrev_b32_e32 v28, 20, v28
	v_lshl_add_u32 v19, v19, 23, 0x3c000000
	s_delay_alu instid0(VALU_DEP_3) | instskip(NEXT) | instid1(VALU_DEP_1)
	v_and_b32_e32 v20, 0x80000000, v20
	v_or3_b32 v19, v28, v20, v19
.LBB345_568:                            ;   in Loop: Header=BB345_525 Depth=1
	s_or_b32 exec_lo, exec_lo, s22
.LBB345_569:                            ;   in Loop: Header=BB345_525 Depth=1
	s_delay_alu instid0(SALU_CYCLE_1)
	s_or_b32 exec_lo, exec_lo, s21
.LBB345_570:                            ;   in Loop: Header=BB345_525 Depth=1
	s_delay_alu instid0(SALU_CYCLE_1) | instskip(SKIP_3) | instid1(VALU_DEP_2)
	s_or_b32 exec_lo, exec_lo, s0
	v_dual_mov_b32 v28, 0 :: v_dual_lshrrev_b32 v41, 16, v1
	v_mov_b32_e32 v29, 0
	s_mov_b32 s0, exec_lo
	v_and_b32_e32 v20, 0xff, v41
	s_delay_alu instid0(VALU_DEP_1)
	v_cmpx_ne_u16_e32 0, v20
	s_cbranch_execz .LBB345_578
; %bb.571:                              ;   in Loop: Header=BB345_525 Depth=1
	v_bfrev_b32_e32 v29, 1
	s_mov_b32 s21, exec_lo
	v_cmpx_ne_u16_e32 0x80, v20
	s_cbranch_execz .LBB345_577
; %bb.572:                              ;   in Loop: Header=BB345_525 Depth=1
	v_bfe_u32 v42, v1, 16, 7
	v_mov_b32_e32 v29, 0x7f800001
	s_mov_b32 s22, exec_lo
	s_delay_alu instid0(VALU_DEP_2)
	v_cmpx_ne_u32_e32 0x7f, v42
	s_cbranch_execz .LBB345_576
; %bb.573:                              ;   in Loop: Header=BB345_525 Depth=1
	v_dual_lshrrev_b32 v29, 3, v42 :: v_dual_bitop2_b32 v20, 7, v41 bitop3:0x40
	s_mov_b32 s23, exec_lo
	v_cmpx_gt_u32_e32 8, v42
; %bb.574:                              ;   in Loop: Header=BB345_525 Depth=1
	s_delay_alu instid0(VALU_DEP_2) | instskip(NEXT) | instid1(VALU_DEP_1)
	v_clz_i32_u32_e32 v29, v20
	v_min_u32_e32 v29, 32, v29
	s_delay_alu instid0(VALU_DEP_1) | instskip(NEXT) | instid1(VALU_DEP_1)
	v_subrev_nc_u32_e32 v42, 28, v29
	v_lshlrev_b64_e32 v[42:43], v42, v[20:21]
	s_delay_alu instid0(VALU_DEP_1)
	v_dual_sub_nc_u32 v29, 29, v29 :: v_dual_bitop2_b32 v20, 7, v42 bitop3:0x40
; %bb.575:                              ;   in Loop: Header=BB345_525 Depth=1
	s_or_b32 exec_lo, exec_lo, s23
	s_delay_alu instid0(VALU_DEP_1) | instskip(NEXT) | instid1(VALU_DEP_2)
	v_dual_lshlrev_b32 v41, 24, v41 :: v_dual_lshlrev_b32 v20, 20, v20
	v_lshl_add_u32 v29, v29, 23, 0x3c000000
	s_delay_alu instid0(VALU_DEP_2) | instskip(NEXT) | instid1(VALU_DEP_1)
	v_and_b32_e32 v41, 0x80000000, v41
	v_or3_b32 v29, v20, v41, v29
.LBB345_576:                            ;   in Loop: Header=BB345_525 Depth=1
	s_or_b32 exec_lo, exec_lo, s22
.LBB345_577:                            ;   in Loop: Header=BB345_525 Depth=1
	s_delay_alu instid0(SALU_CYCLE_1)
	s_or_b32 exec_lo, exec_lo, s21
.LBB345_578:                            ;   in Loop: Header=BB345_525 Depth=1
	s_delay_alu instid0(SALU_CYCLE_1) | instskip(NEXT) | instid1(SALU_CYCLE_1)
	s_or_b32 exec_lo, exec_lo, s0
	s_mov_b32 s0, exec_lo
	v_cmpx_lt_u64_e64 s[2:3], v[0:1]
	s_cbranch_execz .LBB345_586
; %bb.579:                              ;   in Loop: Header=BB345_525 Depth=1
	v_lshrrev_b32_e32 v0, 24, v1
	v_bfrev_b32_e32 v28, 1
	s_mov_b32 s21, exec_lo
	s_delay_alu instid0(VALU_DEP_2)
	v_cmpx_ne_u32_e32 0x80, v0
	s_cbranch_execz .LBB345_585
; %bb.580:                              ;   in Loop: Header=BB345_525 Depth=1
	v_bfe_u32 v41, v1, 24, 7
	v_mov_b32_e32 v28, 0x7f800001
	s_mov_b32 s22, exec_lo
	s_delay_alu instid0(VALU_DEP_2)
	v_cmpx_ne_u32_e32 0x7f, v41
	s_cbranch_execz .LBB345_584
; %bb.581:                              ;   in Loop: Header=BB345_525 Depth=1
	v_dual_lshrrev_b32 v1, 3, v41 :: v_dual_bitop2_b32 v20, 7, v0 bitop3:0x40
	s_mov_b32 s23, exec_lo
	v_cmpx_gt_u32_e32 8, v41
; %bb.582:                              ;   in Loop: Header=BB345_525 Depth=1
	s_delay_alu instid0(VALU_DEP_2) | instskip(NEXT) | instid1(VALU_DEP_1)
	v_clz_i32_u32_e32 v1, v20
	v_min_u32_e32 v1, 32, v1
	s_delay_alu instid0(VALU_DEP_1) | instskip(NEXT) | instid1(VALU_DEP_1)
	v_subrev_nc_u32_e32 v28, 28, v1
	v_lshlrev_b64_e32 v[42:43], v28, v[20:21]
	s_delay_alu instid0(VALU_DEP_1)
	v_dual_sub_nc_u32 v1, 29, v1 :: v_dual_bitop2_b32 v20, 7, v42 bitop3:0x40
; %bb.583:                              ;   in Loop: Header=BB345_525 Depth=1
	s_or_b32 exec_lo, exec_lo, s23
	v_lshlrev_b32_e32 v0, 24, v0
	s_delay_alu instid0(VALU_DEP_2) | instskip(NEXT) | instid1(VALU_DEP_3)
	v_lshlrev_b32_e32 v20, 20, v20
	v_lshl_add_u32 v1, v1, 23, 0x3c000000
	s_delay_alu instid0(VALU_DEP_3) | instskip(NEXT) | instid1(VALU_DEP_1)
	v_and_b32_e32 v0, 0x80000000, v0
	v_or3_b32 v28, v20, v0, v1
.LBB345_584:                            ;   in Loop: Header=BB345_525 Depth=1
	s_or_b32 exec_lo, exec_lo, s22
.LBB345_585:                            ;   in Loop: Header=BB345_525 Depth=1
	s_delay_alu instid0(SALU_CYCLE_1)
	s_or_b32 exec_lo, exec_lo, s21
.LBB345_586:                            ;   in Loop: Header=BB345_525 Depth=1
	s_delay_alu instid0(SALU_CYCLE_1)
	s_or_b32 exec_lo, exec_lo, s0
	v_add_nc_u32_e32 v43, v34, v18
	v_cmp_eq_u32_e32 vcc_lo, s27, v33
	s_wait_kmcnt 0x0
	v_fma_mixlo_bf16 v19, s20, v19, 0
	v_fma_mixlo_bf16 v36, s20, v36, 0
	;; [unrolled: 1-line block ×8, first 2 shown]
	v_dual_add_nc_u32 v50, 1, v43 :: v_dual_add_nc_u32 v49, 2, v43
	v_dual_add_nc_u32 v48, 3, v43 :: v_dual_add_nc_u32 v47, 4, v43
	;; [unrolled: 1-line block ×3, first 2 shown]
	v_add_nc_u32_e32 v44, 7, v43
	s_and_saveexec_b32 s21, vcc_lo
	s_cbranch_execz .LBB345_588
; %bb.587:                              ;   in Loop: Header=BB345_525 Depth=1
	v_cmp_gt_i32_e64 s0, s34, v43
	s_delay_alu instid0(VALU_DEP_1) | instskip(SKIP_1) | instid1(VALU_DEP_1)
	v_cndmask_b32_e64 v42, 0, v42, s0
	v_cmp_gt_i32_e64 s0, s34, v50
	v_cndmask_b32_e64 v41, 0, v41, s0
	v_cmp_gt_i32_e64 s0, s34, v49
	s_delay_alu instid0(VALU_DEP_1) | instskip(SKIP_1) | instid1(VALU_DEP_1)
	v_cndmask_b32_e64 v40, 0, v40, s0
	v_cmp_gt_i32_e64 s0, s34, v48
	v_cndmask_b32_e64 v39, 0, v39, s0
	;; [unrolled: 5-line block ×4, first 2 shown]
.LBB345_588:                            ;   in Loop: Header=BB345_525 Depth=1
	s_or_b32 exec_lo, exec_lo, s21
	global_load_b64 v[0:1], v[26:27], off offset:256
	v_dual_mov_b32 v54, 0 :: v_dual_mov_b32 v53, 0
	s_mov_b32 s21, exec_lo
	s_wait_loadcnt 0x0
	v_and_b32_e32 v20, 0xff, v0
	s_delay_alu instid0(VALU_DEP_1)
	v_cmpx_ne_u16_e32 0, v20
	s_cbranch_execz .LBB345_594
; %bb.589:                              ;   in Loop: Header=BB345_525 Depth=1
	v_bfrev_b32_e32 v53, 1
	s_mov_b32 s22, exec_lo
	v_cmpx_ne_u16_e32 0x80, v20
	s_cbranch_execz .LBB345_593
; %bb.590:                              ;   in Loop: Header=BB345_525 Depth=1
	v_and_b32_e32 v20, 0x7f, v0
	v_mov_b32_e32 v53, 0x7f800001
	s_mov_b32 s23, exec_lo
	s_delay_alu instid0(VALU_DEP_2)
	v_cmpx_ne_u32_e32 0x7f, v20
	s_cbranch_execz .LBB345_592
; %bb.591:                              ;   in Loop: Header=BB345_525 Depth=1
	v_and_b32_e32 v28, 7, v0
	v_cmp_gt_u32_e64 s0, 8, v20
	s_delay_alu instid0(VALU_DEP_2) | instskip(NEXT) | instid1(VALU_DEP_1)
	v_clz_i32_u32_e32 v28, v28
	v_min_u32_e32 v28, 32, v28
	s_delay_alu instid0(VALU_DEP_1) | instskip(SKIP_2) | instid1(VALU_DEP_1)
	v_subrev_nc_u32_e32 v51, 28, v28
	v_lshrrev_b32_e32 v29, 3, v20
	v_sub_nc_u32_e32 v28, 29, v28
	v_dual_cndmask_b32 v20, v29, v28, s0 :: v_dual_cndmask_b32 v28, 0, v51, s0
	s_delay_alu instid0(VALU_DEP_1) | instskip(SKIP_1) | instid1(VALU_DEP_1)
	v_lshlrev_b64_e32 v[28:29], v28, v[0:1]
	v_lshlrev_b32_e32 v29, 24, v0
	v_and_b32_e32 v29, 0x80000000, v29
	s_delay_alu instid0(VALU_DEP_3) | instskip(SKIP_1) | instid1(VALU_DEP_2)
	v_lshlrev_b32_e32 v28, 20, v28
	v_lshl_add_u32 v20, v20, 23, 0x3c000000
	v_and_b32_e32 v28, 0x700000, v28
	s_delay_alu instid0(VALU_DEP_1)
	v_or3_b32 v53, v28, v29, v20
.LBB345_592:                            ;   in Loop: Header=BB345_525 Depth=1
	s_or_b32 exec_lo, exec_lo, s23
.LBB345_593:                            ;   in Loop: Header=BB345_525 Depth=1
	s_delay_alu instid0(SALU_CYCLE_1)
	s_or_b32 exec_lo, exec_lo, s22
.LBB345_594:                            ;   in Loop: Header=BB345_525 Depth=1
	s_delay_alu instid0(SALU_CYCLE_1) | instskip(SKIP_2) | instid1(VALU_DEP_1)
	s_or_b32 exec_lo, exec_lo, s21
	v_lshrrev_b16 v20, 8, v0
	s_mov_b32 s21, exec_lo
	v_cmpx_ne_u16_e32 0, v20
	s_cbranch_execz .LBB345_602
; %bb.595:                              ;   in Loop: Header=BB345_525 Depth=1
	v_bfrev_b32_e32 v54, 1
	s_mov_b32 s22, exec_lo
	v_cmpx_ne_u16_e32 0x80, v20
	s_cbranch_execz .LBB345_601
; %bb.596:                              ;   in Loop: Header=BB345_525 Depth=1
	v_and_b32_e32 v20, 0xffff, v20
	v_mov_b32_e32 v54, 0x7f800001
	s_mov_b32 s23, exec_lo
	s_delay_alu instid0(VALU_DEP_2) | instskip(NEXT) | instid1(VALU_DEP_1)
	v_and_b32_e32 v29, 0x7f, v20
	v_cmpx_ne_u32_e32 0x7f, v29
	s_cbranch_execz .LBB345_600
; %bb.597:                              ;   in Loop: Header=BB345_525 Depth=1
	v_dual_lshrrev_b32 v28, 3, v29 :: v_dual_bitop2_b32 v20, 7, v20 bitop3:0x40
	s_mov_b32 s24, exec_lo
	v_cmpx_gt_u32_e32 8, v29
; %bb.598:                              ;   in Loop: Header=BB345_525 Depth=1
	s_delay_alu instid0(VALU_DEP_2) | instskip(NEXT) | instid1(VALU_DEP_1)
	v_clz_i32_u32_e32 v28, v20
	v_min_u32_e32 v28, 32, v28
	s_delay_alu instid0(VALU_DEP_1) | instskip(NEXT) | instid1(VALU_DEP_1)
	v_subrev_nc_u32_e32 v29, 28, v28
	v_lshlrev_b64_e32 v[54:55], v29, v[20:21]
	s_delay_alu instid0(VALU_DEP_1)
	v_dual_sub_nc_u32 v28, 29, v28 :: v_dual_bitop2_b32 v20, 7, v54 bitop3:0x40
; %bb.599:                              ;   in Loop: Header=BB345_525 Depth=1
	s_or_b32 exec_lo, exec_lo, s24
	v_lshlrev_b32_e32 v29, 16, v0
	s_delay_alu instid0(VALU_DEP_2) | instskip(NEXT) | instid1(VALU_DEP_3)
	v_lshlrev_b32_e32 v20, 20, v20
	v_lshl_add_u32 v28, v28, 23, 0x3c000000
	s_delay_alu instid0(VALU_DEP_3) | instskip(NEXT) | instid1(VALU_DEP_1)
	v_and_b32_e32 v29, 0x80000000, v29
	v_or3_b32 v54, v20, v29, v28
.LBB345_600:                            ;   in Loop: Header=BB345_525 Depth=1
	s_or_b32 exec_lo, exec_lo, s23
.LBB345_601:                            ;   in Loop: Header=BB345_525 Depth=1
	s_delay_alu instid0(SALU_CYCLE_1)
	s_or_b32 exec_lo, exec_lo, s22
.LBB345_602:                            ;   in Loop: Header=BB345_525 Depth=1
	s_delay_alu instid0(SALU_CYCLE_1) | instskip(SKIP_3) | instid1(VALU_DEP_2)
	s_or_b32 exec_lo, exec_lo, s21
	v_dual_mov_b32 v55, 0 :: v_dual_lshrrev_b32 v28, 16, v0
	v_mov_b32_e32 v56, 0
	s_mov_b32 s21, exec_lo
	v_and_b32_e32 v20, 0xff, v28
	s_delay_alu instid0(VALU_DEP_1)
	v_cmpx_ne_u16_e32 0, v20
	s_cbranch_execz .LBB345_610
; %bb.603:                              ;   in Loop: Header=BB345_525 Depth=1
	v_bfrev_b32_e32 v56, 1
	s_mov_b32 s22, exec_lo
	v_cmpx_ne_u16_e32 0x80, v20
	s_cbranch_execz .LBB345_609
; %bb.604:                              ;   in Loop: Header=BB345_525 Depth=1
	v_bfe_u32 v51, v0, 16, 7
	v_mov_b32_e32 v56, 0x7f800001
	s_mov_b32 s23, exec_lo
	s_delay_alu instid0(VALU_DEP_2)
	v_cmpx_ne_u32_e32 0x7f, v51
	s_cbranch_execz .LBB345_608
; %bb.605:                              ;   in Loop: Header=BB345_525 Depth=1
	v_dual_lshrrev_b32 v29, 3, v51 :: v_dual_bitop2_b32 v20, 7, v28 bitop3:0x40
	s_mov_b32 s24, exec_lo
	v_cmpx_gt_u32_e32 8, v51
; %bb.606:                              ;   in Loop: Header=BB345_525 Depth=1
	s_delay_alu instid0(VALU_DEP_2) | instskip(NEXT) | instid1(VALU_DEP_1)
	v_clz_i32_u32_e32 v29, v20
	v_min_u32_e32 v29, 32, v29
	s_delay_alu instid0(VALU_DEP_1) | instskip(NEXT) | instid1(VALU_DEP_1)
	v_subrev_nc_u32_e32 v51, 28, v29
	v_lshlrev_b64_e32 v[56:57], v51, v[20:21]
	s_delay_alu instid0(VALU_DEP_1)
	v_dual_sub_nc_u32 v29, 29, v29 :: v_dual_bitop2_b32 v20, 7, v56 bitop3:0x40
; %bb.607:                              ;   in Loop: Header=BB345_525 Depth=1
	s_or_b32 exec_lo, exec_lo, s24
	v_lshlrev_b32_e32 v28, 24, v28
	s_delay_alu instid0(VALU_DEP_2) | instskip(NEXT) | instid1(VALU_DEP_3)
	v_lshlrev_b32_e32 v20, 20, v20
	v_lshl_add_u32 v29, v29, 23, 0x3c000000
	s_delay_alu instid0(VALU_DEP_3) | instskip(NEXT) | instid1(VALU_DEP_1)
	v_and_b32_e32 v28, 0x80000000, v28
	v_or3_b32 v56, v20, v28, v29
.LBB345_608:                            ;   in Loop: Header=BB345_525 Depth=1
	s_or_b32 exec_lo, exec_lo, s23
.LBB345_609:                            ;   in Loop: Header=BB345_525 Depth=1
	s_delay_alu instid0(SALU_CYCLE_1)
	s_or_b32 exec_lo, exec_lo, s22
.LBB345_610:                            ;   in Loop: Header=BB345_525 Depth=1
	s_delay_alu instid0(SALU_CYCLE_1) | instskip(NEXT) | instid1(SALU_CYCLE_1)
	s_or_b32 exec_lo, exec_lo, s21
	s_mov_b32 s21, exec_lo
	v_cmpx_lt_u32_e32 0xffffff, v0
	s_cbranch_execz .LBB345_618
; %bb.611:                              ;   in Loop: Header=BB345_525 Depth=1
	v_lshrrev_b32_e32 v28, 24, v0
	v_bfrev_b32_e32 v55, 1
	s_mov_b32 s22, exec_lo
	s_delay_alu instid0(VALU_DEP_2)
	v_cmpx_ne_u32_e32 0x80, v28
	s_cbranch_execz .LBB345_617
; %bb.612:                              ;   in Loop: Header=BB345_525 Depth=1
	v_bfe_u32 v51, v0, 24, 7
	v_mov_b32_e32 v55, 0x7f800001
	s_mov_b32 s23, exec_lo
	s_delay_alu instid0(VALU_DEP_2)
	v_cmpx_ne_u32_e32 0x7f, v51
	s_cbranch_execz .LBB345_616
; %bb.613:                              ;   in Loop: Header=BB345_525 Depth=1
	v_dual_lshrrev_b32 v29, 3, v51 :: v_dual_bitop2_b32 v20, 7, v28 bitop3:0x40
	s_mov_b32 s24, exec_lo
	v_cmpx_gt_u32_e32 8, v51
; %bb.614:                              ;   in Loop: Header=BB345_525 Depth=1
	s_delay_alu instid0(VALU_DEP_2) | instskip(NEXT) | instid1(VALU_DEP_1)
	v_clz_i32_u32_e32 v29, v20
	v_min_u32_e32 v29, 32, v29
	s_delay_alu instid0(VALU_DEP_1) | instskip(NEXT) | instid1(VALU_DEP_1)
	v_subrev_nc_u32_e32 v51, 28, v29
	v_lshlrev_b64_e32 v[58:59], v51, v[20:21]
	s_delay_alu instid0(VALU_DEP_1)
	v_dual_sub_nc_u32 v29, 29, v29 :: v_dual_bitop2_b32 v20, 7, v58 bitop3:0x40
; %bb.615:                              ;   in Loop: Header=BB345_525 Depth=1
	s_or_b32 exec_lo, exec_lo, s24
	v_lshlrev_b32_e32 v28, 24, v28
	s_delay_alu instid0(VALU_DEP_2) | instskip(NEXT) | instid1(VALU_DEP_3)
	v_lshlrev_b32_e32 v20, 20, v20
	v_lshl_add_u32 v29, v29, 23, 0x3c000000
	s_delay_alu instid0(VALU_DEP_3) | instskip(NEXT) | instid1(VALU_DEP_1)
	v_and_b32_e32 v28, 0x80000000, v28
	v_or3_b32 v55, v20, v28, v29
.LBB345_616:                            ;   in Loop: Header=BB345_525 Depth=1
	s_or_b32 exec_lo, exec_lo, s23
.LBB345_617:                            ;   in Loop: Header=BB345_525 Depth=1
	s_delay_alu instid0(SALU_CYCLE_1)
	s_or_b32 exec_lo, exec_lo, s22
.LBB345_618:                            ;   in Loop: Header=BB345_525 Depth=1
	s_delay_alu instid0(SALU_CYCLE_1) | instskip(SKIP_4) | instid1(VALU_DEP_3)
	s_or_b32 exec_lo, exec_lo, s21
	v_and_b32_e32 v29, 0xff, v1
	v_dual_mov_b32 v20, v1 :: v_dual_mov_b32 v28, 0
	v_mov_b32_e32 v52, 0
	s_mov_b32 s21, exec_lo
	v_cmpx_ne_u16_e32 0, v29
	s_cbranch_execz .LBB345_624
; %bb.619:                              ;   in Loop: Header=BB345_525 Depth=1
	v_bfrev_b32_e32 v52, 1
	s_mov_b32 s22, exec_lo
	v_cmpx_ne_u16_e32 0x80, v29
	s_cbranch_execz .LBB345_623
; %bb.620:                              ;   in Loop: Header=BB345_525 Depth=1
	v_and_b32_e32 v29, 0x7f, v1
	v_mov_b32_e32 v52, 0x7f800001
	s_mov_b32 s23, exec_lo
	s_delay_alu instid0(VALU_DEP_2)
	v_cmpx_ne_u32_e32 0x7f, v29
	s_cbranch_execz .LBB345_622
; %bb.621:                              ;   in Loop: Header=BB345_525 Depth=1
	v_and_b32_e32 v51, 7, v1
	v_cmp_gt_u32_e64 s0, 8, v29
	s_delay_alu instid0(VALU_DEP_2) | instskip(NEXT) | instid1(VALU_DEP_1)
	v_clz_i32_u32_e32 v51, v51
	v_min_u32_e32 v51, 32, v51
	v_lshrrev_b32_e32 v52, 3, v29
	s_delay_alu instid0(VALU_DEP_2) | instskip(SKIP_1) | instid1(VALU_DEP_1)
	v_subrev_nc_u32_e32 v57, 28, v51
	v_sub_nc_u32_e32 v51, 29, v51
	v_dual_cndmask_b32 v29, v52, v51, s0 :: v_dual_cndmask_b32 v51, 0, v57, s0
	s_delay_alu instid0(VALU_DEP_1) | instskip(NEXT) | instid1(VALU_DEP_2)
	v_lshl_add_u32 v29, v29, 23, 0x3c000000
	v_lshlrev_b64_e32 v[58:59], v51, v[20:21]
	v_lshlrev_b32_e32 v51, 24, v20
	s_delay_alu instid0(VALU_DEP_1) | instskip(NEXT) | instid1(VALU_DEP_3)
	v_and_b32_e32 v51, 0x80000000, v51
	v_lshlrev_b32_e32 v52, 20, v58
	s_delay_alu instid0(VALU_DEP_1) | instskip(NEXT) | instid1(VALU_DEP_1)
	v_and_b32_e32 v52, 0x700000, v52
	v_or3_b32 v52, v52, v51, v29
.LBB345_622:                            ;   in Loop: Header=BB345_525 Depth=1
	s_or_b32 exec_lo, exec_lo, s23
.LBB345_623:                            ;   in Loop: Header=BB345_525 Depth=1
	s_delay_alu instid0(SALU_CYCLE_1)
	s_or_b32 exec_lo, exec_lo, s22
.LBB345_624:                            ;   in Loop: Header=BB345_525 Depth=1
	s_delay_alu instid0(SALU_CYCLE_1) | instskip(SKIP_2) | instid1(VALU_DEP_1)
	s_or_b32 exec_lo, exec_lo, s21
	v_lshrrev_b16 v29, 8, v20
	s_mov_b32 s21, exec_lo
	v_cmpx_ne_u16_e32 0, v29
	s_cbranch_execz .LBB345_632
; %bb.625:                              ;   in Loop: Header=BB345_525 Depth=1
	v_bfrev_b32_e32 v28, 1
	s_mov_b32 s22, exec_lo
	v_cmpx_ne_u16_e32 0x80, v29
	s_cbranch_execz .LBB345_631
; %bb.626:                              ;   in Loop: Header=BB345_525 Depth=1
	v_and_b32_e32 v29, 0xffff, v29
	v_mov_b32_e32 v28, 0x7f800001
	s_mov_b32 s23, exec_lo
	s_delay_alu instid0(VALU_DEP_2) | instskip(NEXT) | instid1(VALU_DEP_1)
	v_and_b32_e32 v57, 0x7f, v29
	v_cmpx_ne_u32_e32 0x7f, v57
	s_cbranch_execz .LBB345_630
; %bb.627:                              ;   in Loop: Header=BB345_525 Depth=1
	v_dual_mov_b32 v29, v21 :: v_dual_bitop2_b32 v28, 7, v29 bitop3:0x40
	v_lshrrev_b32_e32 v51, 3, v57
	s_mov_b32 s24, exec_lo
	v_cmpx_gt_u32_e32 8, v57
; %bb.628:                              ;   in Loop: Header=BB345_525 Depth=1
	s_delay_alu instid0(VALU_DEP_3) | instskip(NEXT) | instid1(VALU_DEP_1)
	v_clz_i32_u32_e32 v51, v28
	v_min_u32_e32 v51, 32, v51
	s_delay_alu instid0(VALU_DEP_1) | instskip(NEXT) | instid1(VALU_DEP_1)
	v_subrev_nc_u32_e32 v57, 28, v51
	v_lshlrev_b64_e32 v[28:29], v57, v[28:29]
	s_delay_alu instid0(VALU_DEP_1)
	v_dual_sub_nc_u32 v51, 29, v51 :: v_dual_bitop2_b32 v28, 7, v28 bitop3:0x40
; %bb.629:                              ;   in Loop: Header=BB345_525 Depth=1
	s_or_b32 exec_lo, exec_lo, s24
	v_lshlrev_b32_e32 v20, 16, v20
	s_delay_alu instid0(VALU_DEP_2) | instskip(NEXT) | instid1(VALU_DEP_3)
	v_lshlrev_b32_e32 v28, 20, v28
	v_lshl_add_u32 v29, v51, 23, 0x3c000000
	s_delay_alu instid0(VALU_DEP_3) | instskip(NEXT) | instid1(VALU_DEP_1)
	v_and_b32_e32 v20, 0x80000000, v20
	v_or3_b32 v28, v28, v20, v29
.LBB345_630:                            ;   in Loop: Header=BB345_525 Depth=1
	s_or_b32 exec_lo, exec_lo, s23
.LBB345_631:                            ;   in Loop: Header=BB345_525 Depth=1
	s_delay_alu instid0(SALU_CYCLE_1)
	s_or_b32 exec_lo, exec_lo, s22
.LBB345_632:                            ;   in Loop: Header=BB345_525 Depth=1
	s_delay_alu instid0(SALU_CYCLE_1) | instskip(SKIP_3) | instid1(VALU_DEP_2)
	s_or_b32 exec_lo, exec_lo, s21
	v_dual_lshrrev_b32 v51, 16, v1 :: v_dual_mov_b32 v29, 0
	v_mov_b32_e32 v59, 0
	s_mov_b32 s21, exec_lo
	v_and_b32_e32 v20, 0xff, v51
	s_delay_alu instid0(VALU_DEP_1)
	v_cmpx_ne_u16_e32 0, v20
	s_cbranch_execz .LBB345_640
; %bb.633:                              ;   in Loop: Header=BB345_525 Depth=1
	v_bfrev_b32_e32 v59, 1
	s_mov_b32 s22, exec_lo
	v_cmpx_ne_u16_e32 0x80, v20
	s_cbranch_execz .LBB345_639
; %bb.634:                              ;   in Loop: Header=BB345_525 Depth=1
	v_bfe_u32 v58, v1, 16, 7
	v_mov_b32_e32 v59, 0x7f800001
	s_mov_b32 s23, exec_lo
	s_delay_alu instid0(VALU_DEP_2)
	v_cmpx_ne_u32_e32 0x7f, v58
	s_cbranch_execz .LBB345_638
; %bb.635:                              ;   in Loop: Header=BB345_525 Depth=1
	v_dual_lshrrev_b32 v57, 3, v58 :: v_dual_bitop2_b32 v20, 7, v51 bitop3:0x40
	s_mov_b32 s24, exec_lo
	v_cmpx_gt_u32_e32 8, v58
; %bb.636:                              ;   in Loop: Header=BB345_525 Depth=1
	s_delay_alu instid0(VALU_DEP_2) | instskip(NEXT) | instid1(VALU_DEP_1)
	v_clz_i32_u32_e32 v57, v20
	v_min_u32_e32 v57, 32, v57
	s_delay_alu instid0(VALU_DEP_1) | instskip(NEXT) | instid1(VALU_DEP_1)
	v_subrev_nc_u32_e32 v58, 28, v57
	v_lshlrev_b64_e32 v[58:59], v58, v[20:21]
	s_delay_alu instid0(VALU_DEP_1)
	v_dual_sub_nc_u32 v57, 29, v57 :: v_dual_bitop2_b32 v20, 7, v58 bitop3:0x40
; %bb.637:                              ;   in Loop: Header=BB345_525 Depth=1
	s_or_b32 exec_lo, exec_lo, s24
	s_delay_alu instid0(VALU_DEP_1) | instskip(NEXT) | instid1(VALU_DEP_2)
	v_dual_lshlrev_b32 v51, 24, v51 :: v_dual_lshlrev_b32 v20, 20, v20
	v_lshl_add_u32 v57, v57, 23, 0x3c000000
	s_delay_alu instid0(VALU_DEP_2) | instskip(NEXT) | instid1(VALU_DEP_1)
	v_and_b32_e32 v51, 0x80000000, v51
	v_or3_b32 v59, v20, v51, v57
.LBB345_638:                            ;   in Loop: Header=BB345_525 Depth=1
	s_or_b32 exec_lo, exec_lo, s23
.LBB345_639:                            ;   in Loop: Header=BB345_525 Depth=1
	s_delay_alu instid0(SALU_CYCLE_1)
	s_or_b32 exec_lo, exec_lo, s22
.LBB345_640:                            ;   in Loop: Header=BB345_525 Depth=1
	s_delay_alu instid0(SALU_CYCLE_1) | instskip(NEXT) | instid1(SALU_CYCLE_1)
	s_or_b32 exec_lo, exec_lo, s21
	s_mov_b32 s21, exec_lo
	v_cmpx_lt_u64_e64 s[2:3], v[0:1]
	s_cbranch_execz .LBB345_648
; %bb.641:                              ;   in Loop: Header=BB345_525 Depth=1
	v_lshrrev_b32_e32 v0, 24, v1
	v_bfrev_b32_e32 v29, 1
	s_mov_b32 s22, exec_lo
	s_delay_alu instid0(VALU_DEP_2)
	v_cmpx_ne_u32_e32 0x80, v0
	s_cbranch_execz .LBB345_647
; %bb.642:                              ;   in Loop: Header=BB345_525 Depth=1
	v_bfe_u32 v51, v1, 24, 7
	v_mov_b32_e32 v29, 0x7f800001
	s_mov_b32 s23, exec_lo
	s_delay_alu instid0(VALU_DEP_2)
	v_cmpx_ne_u32_e32 0x7f, v51
	s_cbranch_execz .LBB345_646
; %bb.643:                              ;   in Loop: Header=BB345_525 Depth=1
	v_dual_lshrrev_b32 v1, 3, v51 :: v_dual_bitop2_b32 v20, 7, v0 bitop3:0x40
	s_mov_b32 s24, exec_lo
	v_cmpx_gt_u32_e32 8, v51
; %bb.644:                              ;   in Loop: Header=BB345_525 Depth=1
	s_delay_alu instid0(VALU_DEP_2) | instskip(NEXT) | instid1(VALU_DEP_1)
	v_clz_i32_u32_e32 v1, v20
	v_min_u32_e32 v1, 32, v1
	s_delay_alu instid0(VALU_DEP_1) | instskip(NEXT) | instid1(VALU_DEP_1)
	v_subrev_nc_u32_e32 v29, 28, v1
	v_lshlrev_b64_e32 v[60:61], v29, v[20:21]
	s_delay_alu instid0(VALU_DEP_1)
	v_dual_sub_nc_u32 v1, 29, v1 :: v_dual_bitop2_b32 v20, 7, v60 bitop3:0x40
; %bb.645:                              ;   in Loop: Header=BB345_525 Depth=1
	s_or_b32 exec_lo, exec_lo, s24
	v_lshlrev_b32_e32 v0, 24, v0
	s_delay_alu instid0(VALU_DEP_2) | instskip(NEXT) | instid1(VALU_DEP_3)
	v_lshlrev_b32_e32 v20, 20, v20
	v_lshl_add_u32 v1, v1, 23, 0x3c000000
	s_delay_alu instid0(VALU_DEP_3) | instskip(NEXT) | instid1(VALU_DEP_1)
	v_and_b32_e32 v0, 0x80000000, v0
	v_or3_b32 v29, v20, v0, v1
.LBB345_646:                            ;   in Loop: Header=BB345_525 Depth=1
	s_or_b32 exec_lo, exec_lo, s23
.LBB345_647:                            ;   in Loop: Header=BB345_525 Depth=1
	s_delay_alu instid0(SALU_CYCLE_1)
	s_or_b32 exec_lo, exec_lo, s22
.LBB345_648:                            ;   in Loop: Header=BB345_525 Depth=1
	s_delay_alu instid0(SALU_CYCLE_1)
	s_or_b32 exec_lo, exec_lo, s21
	v_fma_mixlo_bf16 v51, s20, v28, 0
	v_fma_mixlo_bf16 v52, s20, v52, 0
	;; [unrolled: 1-line block ×8, first 2 shown]
	s_and_saveexec_b32 s21, vcc_lo
	s_cbranch_execz .LBB345_650
; %bb.649:                              ;   in Loop: Header=BB345_525 Depth=1
	v_cmp_gt_i32_e64 s0, s34, v43
	s_delay_alu instid0(VALU_DEP_1) | instskip(SKIP_1) | instid1(VALU_DEP_1)
	v_cndmask_b32_e64 v58, 0, v58, s0
	v_cmp_gt_i32_e64 s0, s34, v50
	v_cndmask_b32_e64 v57, 0, v57, s0
	v_cmp_gt_i32_e64 s0, s34, v49
	s_delay_alu instid0(VALU_DEP_1) | instskip(SKIP_1) | instid1(VALU_DEP_1)
	v_cndmask_b32_e64 v56, 0, v56, s0
	v_cmp_gt_i32_e64 s0, s34, v48
	v_cndmask_b32_e64 v55, 0, v55, s0
	;; [unrolled: 5-line block ×4, first 2 shown]
.LBB345_650:                            ;   in Loop: Header=BB345_525 Depth=1
	s_or_b32 exec_lo, exec_lo, s21
	global_load_b64 v[0:1], v[26:27], off offset:512
	v_dual_mov_b32 v60, 0 :: v_dual_mov_b32 v59, 0
	s_mov_b32 s21, exec_lo
	s_wait_loadcnt 0x0
	v_and_b32_e32 v20, 0xff, v0
	s_delay_alu instid0(VALU_DEP_1)
	v_cmpx_ne_u16_e32 0, v20
	s_cbranch_execz .LBB345_656
; %bb.651:                              ;   in Loop: Header=BB345_525 Depth=1
	v_bfrev_b32_e32 v59, 1
	s_mov_b32 s22, exec_lo
	v_cmpx_ne_u16_e32 0x80, v20
	s_cbranch_execz .LBB345_655
; %bb.652:                              ;   in Loop: Header=BB345_525 Depth=1
	v_and_b32_e32 v20, 0x7f, v0
	v_mov_b32_e32 v59, 0x7f800001
	s_mov_b32 s23, exec_lo
	s_delay_alu instid0(VALU_DEP_2)
	v_cmpx_ne_u32_e32 0x7f, v20
	s_cbranch_execz .LBB345_654
; %bb.653:                              ;   in Loop: Header=BB345_525 Depth=1
	v_and_b32_e32 v28, 7, v0
	v_cmp_gt_u32_e64 s0, 8, v20
	s_delay_alu instid0(VALU_DEP_2) | instskip(NEXT) | instid1(VALU_DEP_1)
	v_clz_i32_u32_e32 v28, v28
	v_min_u32_e32 v28, 32, v28
	s_delay_alu instid0(VALU_DEP_1) | instskip(SKIP_2) | instid1(VALU_DEP_1)
	v_subrev_nc_u32_e32 v59, 28, v28
	v_lshrrev_b32_e32 v29, 3, v20
	v_sub_nc_u32_e32 v28, 29, v28
	v_dual_cndmask_b32 v20, v29, v28, s0 :: v_dual_cndmask_b32 v28, 0, v59, s0
	s_delay_alu instid0(VALU_DEP_1) | instskip(SKIP_1) | instid1(VALU_DEP_1)
	v_lshlrev_b64_e32 v[28:29], v28, v[0:1]
	v_lshlrev_b32_e32 v29, 24, v0
	v_and_b32_e32 v29, 0x80000000, v29
	s_delay_alu instid0(VALU_DEP_3) | instskip(SKIP_1) | instid1(VALU_DEP_2)
	v_lshlrev_b32_e32 v28, 20, v28
	v_lshl_add_u32 v20, v20, 23, 0x3c000000
	v_and_b32_e32 v28, 0x700000, v28
	s_delay_alu instid0(VALU_DEP_1)
	v_or3_b32 v59, v28, v29, v20
.LBB345_654:                            ;   in Loop: Header=BB345_525 Depth=1
	s_or_b32 exec_lo, exec_lo, s23
.LBB345_655:                            ;   in Loop: Header=BB345_525 Depth=1
	s_delay_alu instid0(SALU_CYCLE_1)
	s_or_b32 exec_lo, exec_lo, s22
.LBB345_656:                            ;   in Loop: Header=BB345_525 Depth=1
	s_delay_alu instid0(SALU_CYCLE_1) | instskip(SKIP_2) | instid1(VALU_DEP_1)
	s_or_b32 exec_lo, exec_lo, s21
	v_lshrrev_b16 v20, 8, v0
	s_mov_b32 s21, exec_lo
	v_cmpx_ne_u16_e32 0, v20
	s_cbranch_execz .LBB345_664
; %bb.657:                              ;   in Loop: Header=BB345_525 Depth=1
	v_bfrev_b32_e32 v60, 1
	s_mov_b32 s22, exec_lo
	v_cmpx_ne_u16_e32 0x80, v20
	s_cbranch_execz .LBB345_663
; %bb.658:                              ;   in Loop: Header=BB345_525 Depth=1
	v_and_b32_e32 v20, 0xffff, v20
	v_mov_b32_e32 v60, 0x7f800001
	s_mov_b32 s23, exec_lo
	s_delay_alu instid0(VALU_DEP_2) | instskip(NEXT) | instid1(VALU_DEP_1)
	v_and_b32_e32 v29, 0x7f, v20
	v_cmpx_ne_u32_e32 0x7f, v29
	s_cbranch_execz .LBB345_662
; %bb.659:                              ;   in Loop: Header=BB345_525 Depth=1
	v_dual_lshrrev_b32 v28, 3, v29 :: v_dual_bitop2_b32 v20, 7, v20 bitop3:0x40
	s_mov_b32 s24, exec_lo
	v_cmpx_gt_u32_e32 8, v29
; %bb.660:                              ;   in Loop: Header=BB345_525 Depth=1
	s_delay_alu instid0(VALU_DEP_2) | instskip(NEXT) | instid1(VALU_DEP_1)
	v_clz_i32_u32_e32 v28, v20
	v_min_u32_e32 v28, 32, v28
	s_delay_alu instid0(VALU_DEP_1) | instskip(SKIP_1) | instid1(VALU_DEP_2)
	v_subrev_nc_u32_e32 v29, 28, v28
	v_sub_nc_u32_e32 v28, 29, v28
	v_lshlrev_b64_e32 v[60:61], v29, v[20:21]
	s_delay_alu instid0(VALU_DEP_1)
	v_and_b32_e32 v20, 7, v60
; %bb.661:                              ;   in Loop: Header=BB345_525 Depth=1
	s_or_b32 exec_lo, exec_lo, s24
	v_lshlrev_b32_e32 v29, 16, v0
	s_delay_alu instid0(VALU_DEP_2) | instskip(SKIP_1) | instid1(VALU_DEP_3)
	v_lshlrev_b32_e32 v20, 20, v20
	v_lshl_add_u32 v28, v28, 23, 0x3c000000
	v_and_b32_e32 v29, 0x80000000, v29
	s_delay_alu instid0(VALU_DEP_1)
	v_or3_b32 v60, v20, v29, v28
.LBB345_662:                            ;   in Loop: Header=BB345_525 Depth=1
	s_or_b32 exec_lo, exec_lo, s23
.LBB345_663:                            ;   in Loop: Header=BB345_525 Depth=1
	s_delay_alu instid0(SALU_CYCLE_1)
	s_or_b32 exec_lo, exec_lo, s22
.LBB345_664:                            ;   in Loop: Header=BB345_525 Depth=1
	s_delay_alu instid0(SALU_CYCLE_1) | instskip(SKIP_3) | instid1(VALU_DEP_2)
	s_or_b32 exec_lo, exec_lo, s21
	v_dual_mov_b32 v63, 0 :: v_dual_lshrrev_b32 v28, 16, v0
	v_mov_b32_e32 v64, 0
	s_mov_b32 s21, exec_lo
	v_and_b32_e32 v20, 0xff, v28
	s_delay_alu instid0(VALU_DEP_1)
	v_cmpx_ne_u16_e32 0, v20
	s_cbranch_execz .LBB345_672
; %bb.665:                              ;   in Loop: Header=BB345_525 Depth=1
	v_bfrev_b32_e32 v64, 1
	s_mov_b32 s22, exec_lo
	v_cmpx_ne_u16_e32 0x80, v20
	s_cbranch_execz .LBB345_671
; %bb.666:                              ;   in Loop: Header=BB345_525 Depth=1
	v_bfe_u32 v61, v0, 16, 7
	v_mov_b32_e32 v64, 0x7f800001
	s_mov_b32 s23, exec_lo
	s_delay_alu instid0(VALU_DEP_2)
	v_cmpx_ne_u32_e32 0x7f, v61
	s_cbranch_execz .LBB345_670
; %bb.667:                              ;   in Loop: Header=BB345_525 Depth=1
	v_dual_lshrrev_b32 v29, 3, v61 :: v_dual_bitop2_b32 v20, 7, v28 bitop3:0x40
	s_mov_b32 s24, exec_lo
	v_cmpx_gt_u32_e32 8, v61
; %bb.668:                              ;   in Loop: Header=BB345_525 Depth=1
	s_delay_alu instid0(VALU_DEP_2) | instskip(NEXT) | instid1(VALU_DEP_1)
	v_clz_i32_u32_e32 v29, v20
	v_min_u32_e32 v29, 32, v29
	s_delay_alu instid0(VALU_DEP_1) | instskip(NEXT) | instid1(VALU_DEP_1)
	v_subrev_nc_u32_e32 v61, 28, v29
	v_lshlrev_b64_e32 v[64:65], v61, v[20:21]
	s_delay_alu instid0(VALU_DEP_1)
	v_dual_sub_nc_u32 v29, 29, v29 :: v_dual_bitop2_b32 v20, 7, v64 bitop3:0x40
; %bb.669:                              ;   in Loop: Header=BB345_525 Depth=1
	s_or_b32 exec_lo, exec_lo, s24
	v_lshlrev_b32_e32 v28, 24, v28
	s_delay_alu instid0(VALU_DEP_2) | instskip(NEXT) | instid1(VALU_DEP_3)
	v_lshlrev_b32_e32 v20, 20, v20
	v_lshl_add_u32 v29, v29, 23, 0x3c000000
	s_delay_alu instid0(VALU_DEP_3) | instskip(NEXT) | instid1(VALU_DEP_1)
	v_and_b32_e32 v28, 0x80000000, v28
	v_or3_b32 v64, v20, v28, v29
.LBB345_670:                            ;   in Loop: Header=BB345_525 Depth=1
	s_or_b32 exec_lo, exec_lo, s23
.LBB345_671:                            ;   in Loop: Header=BB345_525 Depth=1
	s_delay_alu instid0(SALU_CYCLE_1)
	s_or_b32 exec_lo, exec_lo, s22
.LBB345_672:                            ;   in Loop: Header=BB345_525 Depth=1
	s_delay_alu instid0(SALU_CYCLE_1) | instskip(NEXT) | instid1(SALU_CYCLE_1)
	s_or_b32 exec_lo, exec_lo, s21
	s_mov_b32 s21, exec_lo
	v_cmpx_lt_u32_e32 0xffffff, v0
	s_cbranch_execz .LBB345_680
; %bb.673:                              ;   in Loop: Header=BB345_525 Depth=1
	v_lshrrev_b32_e32 v28, 24, v0
	v_bfrev_b32_e32 v63, 1
	s_mov_b32 s22, exec_lo
	s_delay_alu instid0(VALU_DEP_2)
	v_cmpx_ne_u32_e32 0x80, v28
	s_cbranch_execz .LBB345_679
; %bb.674:                              ;   in Loop: Header=BB345_525 Depth=1
	v_bfe_u32 v61, v0, 24, 7
	v_mov_b32_e32 v63, 0x7f800001
	s_mov_b32 s23, exec_lo
	s_delay_alu instid0(VALU_DEP_2)
	v_cmpx_ne_u32_e32 0x7f, v61
	s_cbranch_execz .LBB345_678
; %bb.675:                              ;   in Loop: Header=BB345_525 Depth=1
	v_dual_lshrrev_b32 v29, 3, v61 :: v_dual_bitop2_b32 v20, 7, v28 bitop3:0x40
	s_mov_b32 s24, exec_lo
	v_cmpx_gt_u32_e32 8, v61
; %bb.676:                              ;   in Loop: Header=BB345_525 Depth=1
	s_delay_alu instid0(VALU_DEP_2) | instskip(NEXT) | instid1(VALU_DEP_1)
	v_clz_i32_u32_e32 v29, v20
	v_min_u32_e32 v29, 32, v29
	s_delay_alu instid0(VALU_DEP_1) | instskip(NEXT) | instid1(VALU_DEP_1)
	v_subrev_nc_u32_e32 v61, 28, v29
	v_lshlrev_b64_e32 v[62:63], v61, v[20:21]
	s_delay_alu instid0(VALU_DEP_1)
	v_dual_sub_nc_u32 v29, 29, v29 :: v_dual_bitop2_b32 v20, 7, v62 bitop3:0x40
; %bb.677:                              ;   in Loop: Header=BB345_525 Depth=1
	s_or_b32 exec_lo, exec_lo, s24
	v_lshlrev_b32_e32 v28, 24, v28
	s_delay_alu instid0(VALU_DEP_2) | instskip(NEXT) | instid1(VALU_DEP_3)
	v_lshlrev_b32_e32 v20, 20, v20
	v_lshl_add_u32 v29, v29, 23, 0x3c000000
	s_delay_alu instid0(VALU_DEP_3) | instskip(NEXT) | instid1(VALU_DEP_1)
	v_and_b32_e32 v28, 0x80000000, v28
	v_or3_b32 v63, v20, v28, v29
.LBB345_678:                            ;   in Loop: Header=BB345_525 Depth=1
	s_or_b32 exec_lo, exec_lo, s23
.LBB345_679:                            ;   in Loop: Header=BB345_525 Depth=1
	s_delay_alu instid0(SALU_CYCLE_1)
	s_or_b32 exec_lo, exec_lo, s22
.LBB345_680:                            ;   in Loop: Header=BB345_525 Depth=1
	s_delay_alu instid0(SALU_CYCLE_1) | instskip(SKIP_4) | instid1(VALU_DEP_3)
	s_or_b32 exec_lo, exec_lo, s21
	v_and_b32_e32 v29, 0xff, v1
	v_dual_mov_b32 v20, v1 :: v_dual_mov_b32 v28, 0
	v_mov_b32_e32 v62, 0
	s_mov_b32 s21, exec_lo
	v_cmpx_ne_u16_e32 0, v29
	s_cbranch_execz .LBB345_686
; %bb.681:                              ;   in Loop: Header=BB345_525 Depth=1
	v_bfrev_b32_e32 v62, 1
	s_mov_b32 s22, exec_lo
	v_cmpx_ne_u16_e32 0x80, v29
	s_cbranch_execz .LBB345_685
; %bb.682:                              ;   in Loop: Header=BB345_525 Depth=1
	v_and_b32_e32 v29, 0x7f, v1
	v_mov_b32_e32 v62, 0x7f800001
	s_mov_b32 s23, exec_lo
	s_delay_alu instid0(VALU_DEP_2)
	v_cmpx_ne_u32_e32 0x7f, v29
	s_cbranch_execz .LBB345_684
; %bb.683:                              ;   in Loop: Header=BB345_525 Depth=1
	v_and_b32_e32 v61, 7, v1
	v_lshrrev_b32_e32 v62, 3, v29
	v_cmp_gt_u32_e64 s0, 8, v29
	s_delay_alu instid0(VALU_DEP_3) | instskip(NEXT) | instid1(VALU_DEP_1)
	v_clz_i32_u32_e32 v61, v61
	v_min_u32_e32 v61, 32, v61
	s_delay_alu instid0(VALU_DEP_1) | instskip(SKIP_1) | instid1(VALU_DEP_1)
	v_subrev_nc_u32_e32 v65, 28, v61
	v_sub_nc_u32_e32 v61, 29, v61
	v_cndmask_b32_e64 v29, v62, v61, s0
	s_delay_alu instid0(VALU_DEP_3) | instskip(NEXT) | instid1(VALU_DEP_2)
	v_cndmask_b32_e64 v61, 0, v65, s0
	v_lshl_add_u32 v29, v29, 23, 0x3c000000
	s_delay_alu instid0(VALU_DEP_2) | instskip(SKIP_1) | instid1(VALU_DEP_1)
	v_lshlrev_b64_e32 v[66:67], v61, v[20:21]
	v_lshlrev_b32_e32 v61, 24, v20
	v_and_b32_e32 v61, 0x80000000, v61
	s_delay_alu instid0(VALU_DEP_3) | instskip(NEXT) | instid1(VALU_DEP_1)
	v_lshlrev_b32_e32 v62, 20, v66
	v_and_b32_e32 v62, 0x700000, v62
	s_delay_alu instid0(VALU_DEP_1)
	v_or3_b32 v62, v62, v61, v29
.LBB345_684:                            ;   in Loop: Header=BB345_525 Depth=1
	s_or_b32 exec_lo, exec_lo, s23
.LBB345_685:                            ;   in Loop: Header=BB345_525 Depth=1
	s_delay_alu instid0(SALU_CYCLE_1)
	s_or_b32 exec_lo, exec_lo, s22
.LBB345_686:                            ;   in Loop: Header=BB345_525 Depth=1
	s_delay_alu instid0(SALU_CYCLE_1) | instskip(SKIP_2) | instid1(VALU_DEP_1)
	s_or_b32 exec_lo, exec_lo, s21
	v_lshrrev_b16 v29, 8, v20
	s_mov_b32 s21, exec_lo
	v_cmpx_ne_u16_e32 0, v29
	s_cbranch_execz .LBB345_694
; %bb.687:                              ;   in Loop: Header=BB345_525 Depth=1
	v_bfrev_b32_e32 v28, 1
	s_mov_b32 s22, exec_lo
	v_cmpx_ne_u16_e32 0x80, v29
	s_cbranch_execz .LBB345_693
; %bb.688:                              ;   in Loop: Header=BB345_525 Depth=1
	v_and_b32_e32 v29, 0xffff, v29
	v_mov_b32_e32 v28, 0x7f800001
	s_mov_b32 s23, exec_lo
	s_delay_alu instid0(VALU_DEP_2) | instskip(NEXT) | instid1(VALU_DEP_1)
	v_and_b32_e32 v65, 0x7f, v29
	v_cmpx_ne_u32_e32 0x7f, v65
	s_cbranch_execz .LBB345_692
; %bb.689:                              ;   in Loop: Header=BB345_525 Depth=1
	v_dual_mov_b32 v29, v21 :: v_dual_bitop2_b32 v28, 7, v29 bitop3:0x40
	v_lshrrev_b32_e32 v61, 3, v65
	s_mov_b32 s24, exec_lo
	v_cmpx_gt_u32_e32 8, v65
; %bb.690:                              ;   in Loop: Header=BB345_525 Depth=1
	s_delay_alu instid0(VALU_DEP_3) | instskip(NEXT) | instid1(VALU_DEP_1)
	v_clz_i32_u32_e32 v61, v28
	v_min_u32_e32 v61, 32, v61
	s_delay_alu instid0(VALU_DEP_1) | instskip(NEXT) | instid1(VALU_DEP_1)
	v_subrev_nc_u32_e32 v65, 28, v61
	v_lshlrev_b64_e32 v[28:29], v65, v[28:29]
	s_delay_alu instid0(VALU_DEP_1)
	v_dual_sub_nc_u32 v61, 29, v61 :: v_dual_bitop2_b32 v28, 7, v28 bitop3:0x40
; %bb.691:                              ;   in Loop: Header=BB345_525 Depth=1
	s_or_b32 exec_lo, exec_lo, s24
	v_lshlrev_b32_e32 v20, 16, v20
	s_delay_alu instid0(VALU_DEP_2) | instskip(NEXT) | instid1(VALU_DEP_3)
	v_lshlrev_b32_e32 v28, 20, v28
	v_lshl_add_u32 v29, v61, 23, 0x3c000000
	s_delay_alu instid0(VALU_DEP_3) | instskip(NEXT) | instid1(VALU_DEP_1)
	v_and_b32_e32 v20, 0x80000000, v20
	v_or3_b32 v28, v28, v20, v29
.LBB345_692:                            ;   in Loop: Header=BB345_525 Depth=1
	s_or_b32 exec_lo, exec_lo, s23
.LBB345_693:                            ;   in Loop: Header=BB345_525 Depth=1
	s_delay_alu instid0(SALU_CYCLE_1)
	s_or_b32 exec_lo, exec_lo, s22
.LBB345_694:                            ;   in Loop: Header=BB345_525 Depth=1
	s_delay_alu instid0(SALU_CYCLE_1) | instskip(SKIP_3) | instid1(VALU_DEP_2)
	s_or_b32 exec_lo, exec_lo, s21
	v_dual_lshrrev_b32 v61, 16, v1 :: v_dual_mov_b32 v29, 0
	v_mov_b32_e32 v67, 0
	s_mov_b32 s21, exec_lo
	v_and_b32_e32 v20, 0xff, v61
	s_delay_alu instid0(VALU_DEP_1)
	v_cmpx_ne_u16_e32 0, v20
	s_cbranch_execz .LBB345_702
; %bb.695:                              ;   in Loop: Header=BB345_525 Depth=1
	v_bfrev_b32_e32 v67, 1
	s_mov_b32 s22, exec_lo
	v_cmpx_ne_u16_e32 0x80, v20
	s_cbranch_execz .LBB345_701
; %bb.696:                              ;   in Loop: Header=BB345_525 Depth=1
	v_bfe_u32 v66, v1, 16, 7
	v_mov_b32_e32 v67, 0x7f800001
	s_mov_b32 s23, exec_lo
	s_delay_alu instid0(VALU_DEP_2)
	v_cmpx_ne_u32_e32 0x7f, v66
	s_cbranch_execz .LBB345_700
; %bb.697:                              ;   in Loop: Header=BB345_525 Depth=1
	v_dual_lshrrev_b32 v65, 3, v66 :: v_dual_bitop2_b32 v20, 7, v61 bitop3:0x40
	s_mov_b32 s24, exec_lo
	v_cmpx_gt_u32_e32 8, v66
; %bb.698:                              ;   in Loop: Header=BB345_525 Depth=1
	s_delay_alu instid0(VALU_DEP_2) | instskip(NEXT) | instid1(VALU_DEP_1)
	v_clz_i32_u32_e32 v65, v20
	v_min_u32_e32 v65, 32, v65
	s_delay_alu instid0(VALU_DEP_1) | instskip(NEXT) | instid1(VALU_DEP_1)
	v_subrev_nc_u32_e32 v66, 28, v65
	v_lshlrev_b64_e32 v[66:67], v66, v[20:21]
	s_delay_alu instid0(VALU_DEP_1)
	v_dual_sub_nc_u32 v65, 29, v65 :: v_dual_bitop2_b32 v20, 7, v66 bitop3:0x40
; %bb.699:                              ;   in Loop: Header=BB345_525 Depth=1
	s_or_b32 exec_lo, exec_lo, s24
	s_delay_alu instid0(VALU_DEP_1) | instskip(NEXT) | instid1(VALU_DEP_2)
	v_dual_lshlrev_b32 v61, 24, v61 :: v_dual_lshlrev_b32 v20, 20, v20
	v_lshl_add_u32 v65, v65, 23, 0x3c000000
	s_delay_alu instid0(VALU_DEP_2) | instskip(NEXT) | instid1(VALU_DEP_1)
	v_and_b32_e32 v61, 0x80000000, v61
	v_or3_b32 v67, v20, v61, v65
.LBB345_700:                            ;   in Loop: Header=BB345_525 Depth=1
	s_or_b32 exec_lo, exec_lo, s23
.LBB345_701:                            ;   in Loop: Header=BB345_525 Depth=1
	s_delay_alu instid0(SALU_CYCLE_1)
	s_or_b32 exec_lo, exec_lo, s22
.LBB345_702:                            ;   in Loop: Header=BB345_525 Depth=1
	s_delay_alu instid0(SALU_CYCLE_1) | instskip(NEXT) | instid1(SALU_CYCLE_1)
	s_or_b32 exec_lo, exec_lo, s21
	s_mov_b32 s21, exec_lo
	v_cmpx_lt_u64_e64 s[2:3], v[0:1]
	s_cbranch_execz .LBB345_710
; %bb.703:                              ;   in Loop: Header=BB345_525 Depth=1
	v_lshrrev_b32_e32 v0, 24, v1
	v_bfrev_b32_e32 v29, 1
	s_mov_b32 s22, exec_lo
	s_delay_alu instid0(VALU_DEP_2)
	v_cmpx_ne_u32_e32 0x80, v0
	s_cbranch_execz .LBB345_709
; %bb.704:                              ;   in Loop: Header=BB345_525 Depth=1
	v_bfe_u32 v61, v1, 24, 7
	v_mov_b32_e32 v29, 0x7f800001
	s_mov_b32 s23, exec_lo
	s_delay_alu instid0(VALU_DEP_2)
	v_cmpx_ne_u32_e32 0x7f, v61
	s_cbranch_execz .LBB345_708
; %bb.705:                              ;   in Loop: Header=BB345_525 Depth=1
	v_dual_lshrrev_b32 v1, 3, v61 :: v_dual_bitop2_b32 v20, 7, v0 bitop3:0x40
	s_mov_b32 s24, exec_lo
	v_cmpx_gt_u32_e32 8, v61
; %bb.706:                              ;   in Loop: Header=BB345_525 Depth=1
	s_delay_alu instid0(VALU_DEP_2) | instskip(NEXT) | instid1(VALU_DEP_1)
	v_clz_i32_u32_e32 v1, v20
	v_min_u32_e32 v1, 32, v1
	s_delay_alu instid0(VALU_DEP_1) | instskip(NEXT) | instid1(VALU_DEP_1)
	v_subrev_nc_u32_e32 v29, 28, v1
	v_lshlrev_b64_e32 v[68:69], v29, v[20:21]
	s_delay_alu instid0(VALU_DEP_1)
	v_dual_sub_nc_u32 v1, 29, v1 :: v_dual_bitop2_b32 v20, 7, v68 bitop3:0x40
; %bb.707:                              ;   in Loop: Header=BB345_525 Depth=1
	s_or_b32 exec_lo, exec_lo, s24
	v_lshlrev_b32_e32 v0, 24, v0
	s_delay_alu instid0(VALU_DEP_2) | instskip(NEXT) | instid1(VALU_DEP_3)
	v_lshlrev_b32_e32 v20, 20, v20
	v_lshl_add_u32 v1, v1, 23, 0x3c000000
	s_delay_alu instid0(VALU_DEP_3) | instskip(NEXT) | instid1(VALU_DEP_1)
	v_and_b32_e32 v0, 0x80000000, v0
	v_or3_b32 v29, v20, v0, v1
.LBB345_708:                            ;   in Loop: Header=BB345_525 Depth=1
	s_or_b32 exec_lo, exec_lo, s23
.LBB345_709:                            ;   in Loop: Header=BB345_525 Depth=1
	s_delay_alu instid0(SALU_CYCLE_1)
	s_or_b32 exec_lo, exec_lo, s22
.LBB345_710:                            ;   in Loop: Header=BB345_525 Depth=1
	s_delay_alu instid0(SALU_CYCLE_1)
	s_or_b32 exec_lo, exec_lo, s21
	v_fma_mixlo_bf16 v61, s20, v28, 0
	v_fma_mixlo_bf16 v62, s20, v62, 0
	;; [unrolled: 1-line block ×8, first 2 shown]
	s_and_saveexec_b32 s21, vcc_lo
	s_cbranch_execz .LBB345_712
; %bb.711:                              ;   in Loop: Header=BB345_525 Depth=1
	v_cmp_gt_i32_e64 s0, s34, v43
	s_delay_alu instid0(VALU_DEP_1) | instskip(SKIP_1) | instid1(VALU_DEP_1)
	v_cndmask_b32_e64 v66, 0, v66, s0
	v_cmp_gt_i32_e64 s0, s34, v50
	v_cndmask_b32_e64 v65, 0, v65, s0
	v_cmp_gt_i32_e64 s0, s34, v49
	s_delay_alu instid0(VALU_DEP_1) | instskip(SKIP_1) | instid1(VALU_DEP_1)
	v_cndmask_b32_e64 v64, 0, v64, s0
	v_cmp_gt_i32_e64 s0, s34, v48
	v_cndmask_b32_e64 v63, 0, v63, s0
	;; [unrolled: 5-line block ×4, first 2 shown]
.LBB345_712:                            ;   in Loop: Header=BB345_525 Depth=1
	s_or_b32 exec_lo, exec_lo, s21
	global_load_b64 v[0:1], v[26:27], off offset:768
	v_dual_mov_b32 v68, 0 :: v_dual_mov_b32 v67, 0
	s_mov_b32 s21, exec_lo
	s_wait_loadcnt 0x0
	v_and_b32_e32 v20, 0xff, v0
	s_delay_alu instid0(VALU_DEP_1)
	v_cmpx_ne_u16_e32 0, v20
	s_cbranch_execz .LBB345_718
; %bb.713:                              ;   in Loop: Header=BB345_525 Depth=1
	v_bfrev_b32_e32 v67, 1
	s_mov_b32 s22, exec_lo
	v_cmpx_ne_u16_e32 0x80, v20
	s_cbranch_execz .LBB345_717
; %bb.714:                              ;   in Loop: Header=BB345_525 Depth=1
	v_and_b32_e32 v20, 0x7f, v0
	v_mov_b32_e32 v67, 0x7f800001
	s_mov_b32 s23, exec_lo
	s_delay_alu instid0(VALU_DEP_2)
	v_cmpx_ne_u32_e32 0x7f, v20
	s_cbranch_execz .LBB345_716
; %bb.715:                              ;   in Loop: Header=BB345_525 Depth=1
	v_and_b32_e32 v28, 7, v0
	v_cmp_gt_u32_e64 s0, 8, v20
	s_delay_alu instid0(VALU_DEP_2) | instskip(NEXT) | instid1(VALU_DEP_1)
	v_clz_i32_u32_e32 v28, v28
	v_min_u32_e32 v28, 32, v28
	s_delay_alu instid0(VALU_DEP_1) | instskip(SKIP_2) | instid1(VALU_DEP_1)
	v_subrev_nc_u32_e32 v67, 28, v28
	v_lshrrev_b32_e32 v29, 3, v20
	v_sub_nc_u32_e32 v28, 29, v28
	v_dual_cndmask_b32 v20, v29, v28, s0 :: v_dual_cndmask_b32 v28, 0, v67, s0
	s_delay_alu instid0(VALU_DEP_1) | instskip(SKIP_1) | instid1(VALU_DEP_1)
	v_lshlrev_b64_e32 v[28:29], v28, v[0:1]
	v_lshlrev_b32_e32 v29, 24, v0
	v_and_b32_e32 v29, 0x80000000, v29
	s_delay_alu instid0(VALU_DEP_3) | instskip(SKIP_1) | instid1(VALU_DEP_2)
	v_lshlrev_b32_e32 v28, 20, v28
	v_lshl_add_u32 v20, v20, 23, 0x3c000000
	v_and_b32_e32 v28, 0x700000, v28
	s_delay_alu instid0(VALU_DEP_1)
	v_or3_b32 v67, v28, v29, v20
.LBB345_716:                            ;   in Loop: Header=BB345_525 Depth=1
	s_or_b32 exec_lo, exec_lo, s23
.LBB345_717:                            ;   in Loop: Header=BB345_525 Depth=1
	s_delay_alu instid0(SALU_CYCLE_1)
	s_or_b32 exec_lo, exec_lo, s22
.LBB345_718:                            ;   in Loop: Header=BB345_525 Depth=1
	s_delay_alu instid0(SALU_CYCLE_1) | instskip(SKIP_2) | instid1(VALU_DEP_1)
	s_or_b32 exec_lo, exec_lo, s21
	v_lshrrev_b16 v20, 8, v0
	s_mov_b32 s21, exec_lo
	v_cmpx_ne_u16_e32 0, v20
	s_cbranch_execz .LBB345_726
; %bb.719:                              ;   in Loop: Header=BB345_525 Depth=1
	v_bfrev_b32_e32 v68, 1
	s_mov_b32 s22, exec_lo
	v_cmpx_ne_u16_e32 0x80, v20
	s_cbranch_execz .LBB345_725
; %bb.720:                              ;   in Loop: Header=BB345_525 Depth=1
	v_and_b32_e32 v20, 0xffff, v20
	v_mov_b32_e32 v68, 0x7f800001
	s_mov_b32 s23, exec_lo
	s_delay_alu instid0(VALU_DEP_2) | instskip(NEXT) | instid1(VALU_DEP_1)
	v_and_b32_e32 v29, 0x7f, v20
	v_cmpx_ne_u32_e32 0x7f, v29
	s_cbranch_execz .LBB345_724
; %bb.721:                              ;   in Loop: Header=BB345_525 Depth=1
	v_dual_lshrrev_b32 v28, 3, v29 :: v_dual_bitop2_b32 v20, 7, v20 bitop3:0x40
	s_mov_b32 s24, exec_lo
	v_cmpx_gt_u32_e32 8, v29
; %bb.722:                              ;   in Loop: Header=BB345_525 Depth=1
	s_delay_alu instid0(VALU_DEP_2) | instskip(NEXT) | instid1(VALU_DEP_1)
	v_clz_i32_u32_e32 v28, v20
	v_min_u32_e32 v28, 32, v28
	s_delay_alu instid0(VALU_DEP_1) | instskip(SKIP_1) | instid1(VALU_DEP_2)
	v_subrev_nc_u32_e32 v29, 28, v28
	v_sub_nc_u32_e32 v28, 29, v28
	v_lshlrev_b64_e32 v[68:69], v29, v[20:21]
	s_delay_alu instid0(VALU_DEP_1)
	v_and_b32_e32 v20, 7, v68
; %bb.723:                              ;   in Loop: Header=BB345_525 Depth=1
	s_or_b32 exec_lo, exec_lo, s24
	v_lshlrev_b32_e32 v29, 16, v0
	s_delay_alu instid0(VALU_DEP_2) | instskip(SKIP_1) | instid1(VALU_DEP_3)
	v_lshlrev_b32_e32 v20, 20, v20
	v_lshl_add_u32 v28, v28, 23, 0x3c000000
	v_and_b32_e32 v29, 0x80000000, v29
	s_delay_alu instid0(VALU_DEP_1)
	v_or3_b32 v68, v20, v29, v28
.LBB345_724:                            ;   in Loop: Header=BB345_525 Depth=1
	s_or_b32 exec_lo, exec_lo, s23
.LBB345_725:                            ;   in Loop: Header=BB345_525 Depth=1
	s_delay_alu instid0(SALU_CYCLE_1)
	s_or_b32 exec_lo, exec_lo, s22
.LBB345_726:                            ;   in Loop: Header=BB345_525 Depth=1
	s_delay_alu instid0(SALU_CYCLE_1) | instskip(SKIP_3) | instid1(VALU_DEP_2)
	s_or_b32 exec_lo, exec_lo, s21
	v_dual_mov_b32 v71, 0 :: v_dual_lshrrev_b32 v28, 16, v0
	v_mov_b32_e32 v72, 0
	s_mov_b32 s21, exec_lo
	v_and_b32_e32 v20, 0xff, v28
	s_delay_alu instid0(VALU_DEP_1)
	v_cmpx_ne_u16_e32 0, v20
	s_cbranch_execz .LBB345_734
; %bb.727:                              ;   in Loop: Header=BB345_525 Depth=1
	v_bfrev_b32_e32 v72, 1
	s_mov_b32 s22, exec_lo
	v_cmpx_ne_u16_e32 0x80, v20
	s_cbranch_execz .LBB345_733
; %bb.728:                              ;   in Loop: Header=BB345_525 Depth=1
	v_bfe_u32 v69, v0, 16, 7
	v_mov_b32_e32 v72, 0x7f800001
	s_mov_b32 s23, exec_lo
	s_delay_alu instid0(VALU_DEP_2)
	v_cmpx_ne_u32_e32 0x7f, v69
	s_cbranch_execz .LBB345_732
; %bb.729:                              ;   in Loop: Header=BB345_525 Depth=1
	v_dual_lshrrev_b32 v29, 3, v69 :: v_dual_bitop2_b32 v20, 7, v28 bitop3:0x40
	s_mov_b32 s24, exec_lo
	v_cmpx_gt_u32_e32 8, v69
; %bb.730:                              ;   in Loop: Header=BB345_525 Depth=1
	s_delay_alu instid0(VALU_DEP_2) | instskip(NEXT) | instid1(VALU_DEP_1)
	v_clz_i32_u32_e32 v29, v20
	v_min_u32_e32 v29, 32, v29
	s_delay_alu instid0(VALU_DEP_1) | instskip(NEXT) | instid1(VALU_DEP_1)
	v_subrev_nc_u32_e32 v69, 28, v29
	v_lshlrev_b64_e32 v[72:73], v69, v[20:21]
	s_delay_alu instid0(VALU_DEP_1)
	v_dual_sub_nc_u32 v29, 29, v29 :: v_dual_bitop2_b32 v20, 7, v72 bitop3:0x40
; %bb.731:                              ;   in Loop: Header=BB345_525 Depth=1
	s_or_b32 exec_lo, exec_lo, s24
	v_lshlrev_b32_e32 v28, 24, v28
	s_delay_alu instid0(VALU_DEP_2) | instskip(NEXT) | instid1(VALU_DEP_3)
	v_lshlrev_b32_e32 v20, 20, v20
	v_lshl_add_u32 v29, v29, 23, 0x3c000000
	s_delay_alu instid0(VALU_DEP_3) | instskip(NEXT) | instid1(VALU_DEP_1)
	v_and_b32_e32 v28, 0x80000000, v28
	v_or3_b32 v72, v20, v28, v29
.LBB345_732:                            ;   in Loop: Header=BB345_525 Depth=1
	s_or_b32 exec_lo, exec_lo, s23
.LBB345_733:                            ;   in Loop: Header=BB345_525 Depth=1
	s_delay_alu instid0(SALU_CYCLE_1)
	s_or_b32 exec_lo, exec_lo, s22
.LBB345_734:                            ;   in Loop: Header=BB345_525 Depth=1
	s_delay_alu instid0(SALU_CYCLE_1) | instskip(NEXT) | instid1(SALU_CYCLE_1)
	s_or_b32 exec_lo, exec_lo, s21
	s_mov_b32 s21, exec_lo
	v_cmpx_lt_u32_e32 0xffffff, v0
	s_cbranch_execz .LBB345_742
; %bb.735:                              ;   in Loop: Header=BB345_525 Depth=1
	v_lshrrev_b32_e32 v28, 24, v0
	v_bfrev_b32_e32 v71, 1
	s_mov_b32 s22, exec_lo
	s_delay_alu instid0(VALU_DEP_2)
	v_cmpx_ne_u32_e32 0x80, v28
	s_cbranch_execz .LBB345_741
; %bb.736:                              ;   in Loop: Header=BB345_525 Depth=1
	v_bfe_u32 v69, v0, 24, 7
	v_mov_b32_e32 v71, 0x7f800001
	s_mov_b32 s23, exec_lo
	s_delay_alu instid0(VALU_DEP_2)
	v_cmpx_ne_u32_e32 0x7f, v69
	s_cbranch_execz .LBB345_740
; %bb.737:                              ;   in Loop: Header=BB345_525 Depth=1
	v_dual_lshrrev_b32 v29, 3, v69 :: v_dual_bitop2_b32 v20, 7, v28 bitop3:0x40
	s_mov_b32 s24, exec_lo
	v_cmpx_gt_u32_e32 8, v69
; %bb.738:                              ;   in Loop: Header=BB345_525 Depth=1
	s_delay_alu instid0(VALU_DEP_2) | instskip(NEXT) | instid1(VALU_DEP_1)
	v_clz_i32_u32_e32 v29, v20
	v_min_u32_e32 v29, 32, v29
	s_delay_alu instid0(VALU_DEP_1) | instskip(NEXT) | instid1(VALU_DEP_1)
	v_subrev_nc_u32_e32 v69, 28, v29
	v_lshlrev_b64_e32 v[70:71], v69, v[20:21]
	s_delay_alu instid0(VALU_DEP_1)
	v_dual_sub_nc_u32 v29, 29, v29 :: v_dual_bitop2_b32 v20, 7, v70 bitop3:0x40
; %bb.739:                              ;   in Loop: Header=BB345_525 Depth=1
	s_or_b32 exec_lo, exec_lo, s24
	v_lshlrev_b32_e32 v28, 24, v28
	s_delay_alu instid0(VALU_DEP_2) | instskip(NEXT) | instid1(VALU_DEP_3)
	v_lshlrev_b32_e32 v20, 20, v20
	v_lshl_add_u32 v29, v29, 23, 0x3c000000
	s_delay_alu instid0(VALU_DEP_3) | instskip(NEXT) | instid1(VALU_DEP_1)
	v_and_b32_e32 v28, 0x80000000, v28
	v_or3_b32 v71, v20, v28, v29
.LBB345_740:                            ;   in Loop: Header=BB345_525 Depth=1
	s_or_b32 exec_lo, exec_lo, s23
.LBB345_741:                            ;   in Loop: Header=BB345_525 Depth=1
	s_delay_alu instid0(SALU_CYCLE_1)
	s_or_b32 exec_lo, exec_lo, s22
.LBB345_742:                            ;   in Loop: Header=BB345_525 Depth=1
	s_delay_alu instid0(SALU_CYCLE_1) | instskip(SKIP_4) | instid1(VALU_DEP_3)
	s_or_b32 exec_lo, exec_lo, s21
	v_and_b32_e32 v29, 0xff, v1
	v_dual_mov_b32 v20, v1 :: v_dual_mov_b32 v28, 0
	v_mov_b32_e32 v70, 0
	s_mov_b32 s21, exec_lo
	v_cmpx_ne_u16_e32 0, v29
	s_cbranch_execz .LBB345_748
; %bb.743:                              ;   in Loop: Header=BB345_525 Depth=1
	v_bfrev_b32_e32 v70, 1
	s_mov_b32 s22, exec_lo
	v_cmpx_ne_u16_e32 0x80, v29
	s_cbranch_execz .LBB345_747
; %bb.744:                              ;   in Loop: Header=BB345_525 Depth=1
	v_and_b32_e32 v29, 0x7f, v1
	v_mov_b32_e32 v70, 0x7f800001
	s_mov_b32 s23, exec_lo
	s_delay_alu instid0(VALU_DEP_2)
	v_cmpx_ne_u32_e32 0x7f, v29
	s_cbranch_execz .LBB345_746
; %bb.745:                              ;   in Loop: Header=BB345_525 Depth=1
	v_and_b32_e32 v69, 7, v1
	v_lshrrev_b32_e32 v70, 3, v29
	v_cmp_gt_u32_e64 s0, 8, v29
	s_delay_alu instid0(VALU_DEP_3) | instskip(NEXT) | instid1(VALU_DEP_1)
	v_clz_i32_u32_e32 v69, v69
	v_min_u32_e32 v69, 32, v69
	s_delay_alu instid0(VALU_DEP_1) | instskip(SKIP_1) | instid1(VALU_DEP_1)
	v_subrev_nc_u32_e32 v73, 28, v69
	v_sub_nc_u32_e32 v69, 29, v69
	v_cndmask_b32_e64 v29, v70, v69, s0
	s_delay_alu instid0(VALU_DEP_3) | instskip(NEXT) | instid1(VALU_DEP_2)
	v_cndmask_b32_e64 v69, 0, v73, s0
	v_lshl_add_u32 v29, v29, 23, 0x3c000000
	s_delay_alu instid0(VALU_DEP_2) | instskip(SKIP_1) | instid1(VALU_DEP_1)
	v_lshlrev_b64_e32 v[74:75], v69, v[20:21]
	v_lshlrev_b32_e32 v69, 24, v20
	v_and_b32_e32 v69, 0x80000000, v69
	s_delay_alu instid0(VALU_DEP_3) | instskip(NEXT) | instid1(VALU_DEP_1)
	v_lshlrev_b32_e32 v70, 20, v74
	v_and_b32_e32 v70, 0x700000, v70
	s_delay_alu instid0(VALU_DEP_1)
	v_or3_b32 v70, v70, v69, v29
.LBB345_746:                            ;   in Loop: Header=BB345_525 Depth=1
	s_or_b32 exec_lo, exec_lo, s23
.LBB345_747:                            ;   in Loop: Header=BB345_525 Depth=1
	s_delay_alu instid0(SALU_CYCLE_1)
	s_or_b32 exec_lo, exec_lo, s22
.LBB345_748:                            ;   in Loop: Header=BB345_525 Depth=1
	s_delay_alu instid0(SALU_CYCLE_1) | instskip(SKIP_2) | instid1(VALU_DEP_1)
	s_or_b32 exec_lo, exec_lo, s21
	v_lshrrev_b16 v29, 8, v20
	s_mov_b32 s21, exec_lo
	v_cmpx_ne_u16_e32 0, v29
	s_cbranch_execz .LBB345_756
; %bb.749:                              ;   in Loop: Header=BB345_525 Depth=1
	v_bfrev_b32_e32 v28, 1
	s_mov_b32 s22, exec_lo
	v_cmpx_ne_u16_e32 0x80, v29
	s_cbranch_execz .LBB345_755
; %bb.750:                              ;   in Loop: Header=BB345_525 Depth=1
	v_and_b32_e32 v29, 0xffff, v29
	v_mov_b32_e32 v28, 0x7f800001
	s_mov_b32 s23, exec_lo
	s_delay_alu instid0(VALU_DEP_2) | instskip(NEXT) | instid1(VALU_DEP_1)
	v_and_b32_e32 v73, 0x7f, v29
	v_cmpx_ne_u32_e32 0x7f, v73
	s_cbranch_execz .LBB345_754
; %bb.751:                              ;   in Loop: Header=BB345_525 Depth=1
	v_dual_mov_b32 v29, v21 :: v_dual_bitop2_b32 v28, 7, v29 bitop3:0x40
	v_lshrrev_b32_e32 v69, 3, v73
	s_mov_b32 s24, exec_lo
	v_cmpx_gt_u32_e32 8, v73
; %bb.752:                              ;   in Loop: Header=BB345_525 Depth=1
	s_delay_alu instid0(VALU_DEP_3) | instskip(NEXT) | instid1(VALU_DEP_1)
	v_clz_i32_u32_e32 v69, v28
	v_min_u32_e32 v69, 32, v69
	s_delay_alu instid0(VALU_DEP_1) | instskip(NEXT) | instid1(VALU_DEP_1)
	v_subrev_nc_u32_e32 v73, 28, v69
	v_lshlrev_b64_e32 v[28:29], v73, v[28:29]
	s_delay_alu instid0(VALU_DEP_1)
	v_dual_sub_nc_u32 v69, 29, v69 :: v_dual_bitop2_b32 v28, 7, v28 bitop3:0x40
; %bb.753:                              ;   in Loop: Header=BB345_525 Depth=1
	s_or_b32 exec_lo, exec_lo, s24
	v_lshlrev_b32_e32 v20, 16, v20
	s_delay_alu instid0(VALU_DEP_2) | instskip(NEXT) | instid1(VALU_DEP_3)
	v_lshlrev_b32_e32 v28, 20, v28
	v_lshl_add_u32 v29, v69, 23, 0x3c000000
	s_delay_alu instid0(VALU_DEP_3) | instskip(NEXT) | instid1(VALU_DEP_1)
	v_and_b32_e32 v20, 0x80000000, v20
	v_or3_b32 v28, v28, v20, v29
.LBB345_754:                            ;   in Loop: Header=BB345_525 Depth=1
	s_or_b32 exec_lo, exec_lo, s23
.LBB345_755:                            ;   in Loop: Header=BB345_525 Depth=1
	s_delay_alu instid0(SALU_CYCLE_1)
	s_or_b32 exec_lo, exec_lo, s22
.LBB345_756:                            ;   in Loop: Header=BB345_525 Depth=1
	s_delay_alu instid0(SALU_CYCLE_1) | instskip(SKIP_3) | instid1(VALU_DEP_2)
	s_or_b32 exec_lo, exec_lo, s21
	v_dual_lshrrev_b32 v69, 16, v1 :: v_dual_mov_b32 v29, 0
	v_mov_b32_e32 v75, 0
	s_mov_b32 s21, exec_lo
	v_and_b32_e32 v20, 0xff, v69
	s_delay_alu instid0(VALU_DEP_1)
	v_cmpx_ne_u16_e32 0, v20
	s_cbranch_execz .LBB345_764
; %bb.757:                              ;   in Loop: Header=BB345_525 Depth=1
	v_bfrev_b32_e32 v75, 1
	s_mov_b32 s22, exec_lo
	v_cmpx_ne_u16_e32 0x80, v20
	s_cbranch_execz .LBB345_763
; %bb.758:                              ;   in Loop: Header=BB345_525 Depth=1
	v_bfe_u32 v74, v1, 16, 7
	v_mov_b32_e32 v75, 0x7f800001
	s_mov_b32 s23, exec_lo
	s_delay_alu instid0(VALU_DEP_2)
	v_cmpx_ne_u32_e32 0x7f, v74
	s_cbranch_execz .LBB345_762
; %bb.759:                              ;   in Loop: Header=BB345_525 Depth=1
	v_dual_lshrrev_b32 v73, 3, v74 :: v_dual_bitop2_b32 v20, 7, v69 bitop3:0x40
	s_mov_b32 s24, exec_lo
	v_cmpx_gt_u32_e32 8, v74
; %bb.760:                              ;   in Loop: Header=BB345_525 Depth=1
	s_delay_alu instid0(VALU_DEP_2) | instskip(NEXT) | instid1(VALU_DEP_1)
	v_clz_i32_u32_e32 v73, v20
	v_min_u32_e32 v73, 32, v73
	s_delay_alu instid0(VALU_DEP_1) | instskip(NEXT) | instid1(VALU_DEP_1)
	v_subrev_nc_u32_e32 v74, 28, v73
	v_lshlrev_b64_e32 v[74:75], v74, v[20:21]
	s_delay_alu instid0(VALU_DEP_1)
	v_dual_sub_nc_u32 v73, 29, v73 :: v_dual_bitop2_b32 v20, 7, v74 bitop3:0x40
; %bb.761:                              ;   in Loop: Header=BB345_525 Depth=1
	s_or_b32 exec_lo, exec_lo, s24
	s_delay_alu instid0(VALU_DEP_1) | instskip(NEXT) | instid1(VALU_DEP_2)
	v_dual_lshlrev_b32 v69, 24, v69 :: v_dual_lshlrev_b32 v20, 20, v20
	v_lshl_add_u32 v73, v73, 23, 0x3c000000
	s_delay_alu instid0(VALU_DEP_2) | instskip(NEXT) | instid1(VALU_DEP_1)
	v_and_b32_e32 v69, 0x80000000, v69
	v_or3_b32 v75, v20, v69, v73
.LBB345_762:                            ;   in Loop: Header=BB345_525 Depth=1
	s_or_b32 exec_lo, exec_lo, s23
.LBB345_763:                            ;   in Loop: Header=BB345_525 Depth=1
	s_delay_alu instid0(SALU_CYCLE_1)
	s_or_b32 exec_lo, exec_lo, s22
.LBB345_764:                            ;   in Loop: Header=BB345_525 Depth=1
	s_delay_alu instid0(SALU_CYCLE_1) | instskip(NEXT) | instid1(SALU_CYCLE_1)
	s_or_b32 exec_lo, exec_lo, s21
	s_mov_b32 s21, exec_lo
	v_cmpx_lt_u64_e64 s[2:3], v[0:1]
	s_cbranch_execz .LBB345_772
; %bb.765:                              ;   in Loop: Header=BB345_525 Depth=1
	v_lshrrev_b32_e32 v0, 24, v1
	v_bfrev_b32_e32 v29, 1
	s_mov_b32 s22, exec_lo
	s_delay_alu instid0(VALU_DEP_2)
	v_cmpx_ne_u32_e32 0x80, v0
	s_cbranch_execz .LBB345_771
; %bb.766:                              ;   in Loop: Header=BB345_525 Depth=1
	v_bfe_u32 v69, v1, 24, 7
	v_mov_b32_e32 v29, 0x7f800001
	s_mov_b32 s23, exec_lo
	s_delay_alu instid0(VALU_DEP_2)
	v_cmpx_ne_u32_e32 0x7f, v69
	s_cbranch_execz .LBB345_770
; %bb.767:                              ;   in Loop: Header=BB345_525 Depth=1
	v_dual_lshrrev_b32 v1, 3, v69 :: v_dual_bitop2_b32 v20, 7, v0 bitop3:0x40
	s_mov_b32 s24, exec_lo
	v_cmpx_gt_u32_e32 8, v69
; %bb.768:                              ;   in Loop: Header=BB345_525 Depth=1
	s_delay_alu instid0(VALU_DEP_2) | instskip(NEXT) | instid1(VALU_DEP_1)
	v_clz_i32_u32_e32 v1, v20
	v_min_u32_e32 v1, 32, v1
	s_delay_alu instid0(VALU_DEP_1) | instskip(NEXT) | instid1(VALU_DEP_1)
	v_subrev_nc_u32_e32 v29, 28, v1
	v_lshlrev_b64_e32 v[76:77], v29, v[20:21]
	s_delay_alu instid0(VALU_DEP_1)
	v_dual_sub_nc_u32 v1, 29, v1 :: v_dual_bitop2_b32 v20, 7, v76 bitop3:0x40
; %bb.769:                              ;   in Loop: Header=BB345_525 Depth=1
	s_or_b32 exec_lo, exec_lo, s24
	v_lshlrev_b32_e32 v0, 24, v0
	s_delay_alu instid0(VALU_DEP_2) | instskip(NEXT) | instid1(VALU_DEP_3)
	v_lshlrev_b32_e32 v20, 20, v20
	v_lshl_add_u32 v1, v1, 23, 0x3c000000
	s_delay_alu instid0(VALU_DEP_3) | instskip(NEXT) | instid1(VALU_DEP_1)
	v_and_b32_e32 v0, 0x80000000, v0
	v_or3_b32 v29, v20, v0, v1
.LBB345_770:                            ;   in Loop: Header=BB345_525 Depth=1
	s_or_b32 exec_lo, exec_lo, s23
.LBB345_771:                            ;   in Loop: Header=BB345_525 Depth=1
	s_delay_alu instid0(SALU_CYCLE_1)
	s_or_b32 exec_lo, exec_lo, s22
.LBB345_772:                            ;   in Loop: Header=BB345_525 Depth=1
	s_delay_alu instid0(SALU_CYCLE_1)
	s_or_b32 exec_lo, exec_lo, s21
	v_fma_mixlo_bf16 v69, s20, v28, 0
	v_fma_mixlo_bf16 v70, s20, v70, 0
	;; [unrolled: 1-line block ×8, first 2 shown]
	s_and_saveexec_b32 s21, vcc_lo
	s_cbranch_execz .LBB345_774
; %bb.773:                              ;   in Loop: Header=BB345_525 Depth=1
	v_cmp_gt_i32_e64 s0, s34, v43
	s_delay_alu instid0(VALU_DEP_1) | instskip(SKIP_1) | instid1(VALU_DEP_1)
	v_cndmask_b32_e64 v74, 0, v74, s0
	v_cmp_gt_i32_e64 s0, s34, v50
	v_cndmask_b32_e64 v73, 0, v73, s0
	v_cmp_gt_i32_e64 s0, s34, v49
	s_delay_alu instid0(VALU_DEP_1) | instskip(SKIP_1) | instid1(VALU_DEP_1)
	v_cndmask_b32_e64 v72, 0, v72, s0
	v_cmp_gt_i32_e64 s0, s34, v48
	v_cndmask_b32_e64 v71, 0, v71, s0
	;; [unrolled: 5-line block ×4, first 2 shown]
.LBB345_774:                            ;   in Loop: Header=BB345_525 Depth=1
	s_or_b32 exec_lo, exec_lo, s21
	global_load_b64 v[0:1], v[26:27], off offset:1024
	v_dual_mov_b32 v76, 0 :: v_dual_mov_b32 v75, 0
	s_mov_b32 s21, exec_lo
	s_wait_loadcnt 0x0
	v_and_b32_e32 v20, 0xff, v0
	s_delay_alu instid0(VALU_DEP_1)
	v_cmpx_ne_u16_e32 0, v20
	s_cbranch_execz .LBB345_780
; %bb.775:                              ;   in Loop: Header=BB345_525 Depth=1
	v_bfrev_b32_e32 v75, 1
	s_mov_b32 s22, exec_lo
	v_cmpx_ne_u16_e32 0x80, v20
	s_cbranch_execz .LBB345_779
; %bb.776:                              ;   in Loop: Header=BB345_525 Depth=1
	v_and_b32_e32 v20, 0x7f, v0
	v_mov_b32_e32 v75, 0x7f800001
	s_mov_b32 s23, exec_lo
	s_delay_alu instid0(VALU_DEP_2)
	v_cmpx_ne_u32_e32 0x7f, v20
	s_cbranch_execz .LBB345_778
; %bb.777:                              ;   in Loop: Header=BB345_525 Depth=1
	v_and_b32_e32 v28, 7, v0
	v_cmp_gt_u32_e64 s0, 8, v20
	s_delay_alu instid0(VALU_DEP_2) | instskip(NEXT) | instid1(VALU_DEP_1)
	v_clz_i32_u32_e32 v28, v28
	v_min_u32_e32 v28, 32, v28
	s_delay_alu instid0(VALU_DEP_1) | instskip(SKIP_2) | instid1(VALU_DEP_1)
	v_subrev_nc_u32_e32 v75, 28, v28
	v_lshrrev_b32_e32 v29, 3, v20
	v_sub_nc_u32_e32 v28, 29, v28
	v_dual_cndmask_b32 v20, v29, v28, s0 :: v_dual_cndmask_b32 v28, 0, v75, s0
	s_delay_alu instid0(VALU_DEP_1) | instskip(SKIP_1) | instid1(VALU_DEP_1)
	v_lshlrev_b64_e32 v[28:29], v28, v[0:1]
	v_lshlrev_b32_e32 v29, 24, v0
	v_and_b32_e32 v29, 0x80000000, v29
	s_delay_alu instid0(VALU_DEP_3) | instskip(SKIP_1) | instid1(VALU_DEP_2)
	v_lshlrev_b32_e32 v28, 20, v28
	v_lshl_add_u32 v20, v20, 23, 0x3c000000
	v_and_b32_e32 v28, 0x700000, v28
	s_delay_alu instid0(VALU_DEP_1)
	v_or3_b32 v75, v28, v29, v20
.LBB345_778:                            ;   in Loop: Header=BB345_525 Depth=1
	s_or_b32 exec_lo, exec_lo, s23
.LBB345_779:                            ;   in Loop: Header=BB345_525 Depth=1
	s_delay_alu instid0(SALU_CYCLE_1)
	s_or_b32 exec_lo, exec_lo, s22
.LBB345_780:                            ;   in Loop: Header=BB345_525 Depth=1
	s_delay_alu instid0(SALU_CYCLE_1) | instskip(SKIP_2) | instid1(VALU_DEP_1)
	s_or_b32 exec_lo, exec_lo, s21
	v_lshrrev_b16 v20, 8, v0
	s_mov_b32 s21, exec_lo
	v_cmpx_ne_u16_e32 0, v20
	s_cbranch_execz .LBB345_788
; %bb.781:                              ;   in Loop: Header=BB345_525 Depth=1
	v_bfrev_b32_e32 v76, 1
	s_mov_b32 s22, exec_lo
	v_cmpx_ne_u16_e32 0x80, v20
	s_cbranch_execz .LBB345_787
; %bb.782:                              ;   in Loop: Header=BB345_525 Depth=1
	v_and_b32_e32 v20, 0xffff, v20
	v_mov_b32_e32 v76, 0x7f800001
	s_mov_b32 s23, exec_lo
	s_delay_alu instid0(VALU_DEP_2) | instskip(NEXT) | instid1(VALU_DEP_1)
	v_and_b32_e32 v29, 0x7f, v20
	v_cmpx_ne_u32_e32 0x7f, v29
	s_cbranch_execz .LBB345_786
; %bb.783:                              ;   in Loop: Header=BB345_525 Depth=1
	v_dual_lshrrev_b32 v28, 3, v29 :: v_dual_bitop2_b32 v20, 7, v20 bitop3:0x40
	s_mov_b32 s24, exec_lo
	v_cmpx_gt_u32_e32 8, v29
; %bb.784:                              ;   in Loop: Header=BB345_525 Depth=1
	s_delay_alu instid0(VALU_DEP_2) | instskip(NEXT) | instid1(VALU_DEP_1)
	v_clz_i32_u32_e32 v28, v20
	v_min_u32_e32 v28, 32, v28
	s_delay_alu instid0(VALU_DEP_1) | instskip(SKIP_1) | instid1(VALU_DEP_2)
	v_subrev_nc_u32_e32 v29, 28, v28
	v_sub_nc_u32_e32 v28, 29, v28
	v_lshlrev_b64_e32 v[76:77], v29, v[20:21]
	s_delay_alu instid0(VALU_DEP_1)
	v_and_b32_e32 v20, 7, v76
; %bb.785:                              ;   in Loop: Header=BB345_525 Depth=1
	s_or_b32 exec_lo, exec_lo, s24
	v_lshlrev_b32_e32 v29, 16, v0
	s_delay_alu instid0(VALU_DEP_2) | instskip(SKIP_1) | instid1(VALU_DEP_3)
	v_lshlrev_b32_e32 v20, 20, v20
	v_lshl_add_u32 v28, v28, 23, 0x3c000000
	v_and_b32_e32 v29, 0x80000000, v29
	s_delay_alu instid0(VALU_DEP_1)
	v_or3_b32 v76, v20, v29, v28
.LBB345_786:                            ;   in Loop: Header=BB345_525 Depth=1
	s_or_b32 exec_lo, exec_lo, s23
.LBB345_787:                            ;   in Loop: Header=BB345_525 Depth=1
	s_delay_alu instid0(SALU_CYCLE_1)
	s_or_b32 exec_lo, exec_lo, s22
.LBB345_788:                            ;   in Loop: Header=BB345_525 Depth=1
	s_delay_alu instid0(SALU_CYCLE_1) | instskip(SKIP_3) | instid1(VALU_DEP_2)
	s_or_b32 exec_lo, exec_lo, s21
	v_dual_mov_b32 v79, 0 :: v_dual_lshrrev_b32 v28, 16, v0
	v_mov_b32_e32 v80, 0
	s_mov_b32 s21, exec_lo
	v_and_b32_e32 v20, 0xff, v28
	s_delay_alu instid0(VALU_DEP_1)
	v_cmpx_ne_u16_e32 0, v20
	s_cbranch_execz .LBB345_796
; %bb.789:                              ;   in Loop: Header=BB345_525 Depth=1
	v_bfrev_b32_e32 v80, 1
	s_mov_b32 s22, exec_lo
	v_cmpx_ne_u16_e32 0x80, v20
	s_cbranch_execz .LBB345_795
; %bb.790:                              ;   in Loop: Header=BB345_525 Depth=1
	v_bfe_u32 v77, v0, 16, 7
	v_mov_b32_e32 v80, 0x7f800001
	s_mov_b32 s23, exec_lo
	s_delay_alu instid0(VALU_DEP_2)
	v_cmpx_ne_u32_e32 0x7f, v77
	s_cbranch_execz .LBB345_794
; %bb.791:                              ;   in Loop: Header=BB345_525 Depth=1
	v_dual_lshrrev_b32 v29, 3, v77 :: v_dual_bitop2_b32 v20, 7, v28 bitop3:0x40
	s_mov_b32 s24, exec_lo
	v_cmpx_gt_u32_e32 8, v77
; %bb.792:                              ;   in Loop: Header=BB345_525 Depth=1
	s_delay_alu instid0(VALU_DEP_2) | instskip(NEXT) | instid1(VALU_DEP_1)
	v_clz_i32_u32_e32 v29, v20
	v_min_u32_e32 v29, 32, v29
	s_delay_alu instid0(VALU_DEP_1) | instskip(NEXT) | instid1(VALU_DEP_1)
	v_subrev_nc_u32_e32 v77, 28, v29
	v_lshlrev_b64_e32 v[80:81], v77, v[20:21]
	s_delay_alu instid0(VALU_DEP_1)
	v_dual_sub_nc_u32 v29, 29, v29 :: v_dual_bitop2_b32 v20, 7, v80 bitop3:0x40
; %bb.793:                              ;   in Loop: Header=BB345_525 Depth=1
	s_or_b32 exec_lo, exec_lo, s24
	v_lshlrev_b32_e32 v28, 24, v28
	s_delay_alu instid0(VALU_DEP_2) | instskip(NEXT) | instid1(VALU_DEP_3)
	v_lshlrev_b32_e32 v20, 20, v20
	v_lshl_add_u32 v29, v29, 23, 0x3c000000
	s_delay_alu instid0(VALU_DEP_3) | instskip(NEXT) | instid1(VALU_DEP_1)
	v_and_b32_e32 v28, 0x80000000, v28
	v_or3_b32 v80, v20, v28, v29
.LBB345_794:                            ;   in Loop: Header=BB345_525 Depth=1
	s_or_b32 exec_lo, exec_lo, s23
.LBB345_795:                            ;   in Loop: Header=BB345_525 Depth=1
	s_delay_alu instid0(SALU_CYCLE_1)
	s_or_b32 exec_lo, exec_lo, s22
.LBB345_796:                            ;   in Loop: Header=BB345_525 Depth=1
	s_delay_alu instid0(SALU_CYCLE_1) | instskip(NEXT) | instid1(SALU_CYCLE_1)
	s_or_b32 exec_lo, exec_lo, s21
	s_mov_b32 s21, exec_lo
	v_cmpx_lt_u32_e32 0xffffff, v0
	s_cbranch_execz .LBB345_804
; %bb.797:                              ;   in Loop: Header=BB345_525 Depth=1
	v_lshrrev_b32_e32 v28, 24, v0
	v_bfrev_b32_e32 v79, 1
	s_mov_b32 s22, exec_lo
	s_delay_alu instid0(VALU_DEP_2)
	v_cmpx_ne_u32_e32 0x80, v28
	s_cbranch_execz .LBB345_803
; %bb.798:                              ;   in Loop: Header=BB345_525 Depth=1
	v_bfe_u32 v77, v0, 24, 7
	v_mov_b32_e32 v79, 0x7f800001
	s_mov_b32 s23, exec_lo
	s_delay_alu instid0(VALU_DEP_2)
	v_cmpx_ne_u32_e32 0x7f, v77
	s_cbranch_execz .LBB345_802
; %bb.799:                              ;   in Loop: Header=BB345_525 Depth=1
	v_dual_lshrrev_b32 v29, 3, v77 :: v_dual_bitop2_b32 v20, 7, v28 bitop3:0x40
	s_mov_b32 s24, exec_lo
	v_cmpx_gt_u32_e32 8, v77
; %bb.800:                              ;   in Loop: Header=BB345_525 Depth=1
	s_delay_alu instid0(VALU_DEP_2) | instskip(NEXT) | instid1(VALU_DEP_1)
	v_clz_i32_u32_e32 v29, v20
	v_min_u32_e32 v29, 32, v29
	s_delay_alu instid0(VALU_DEP_1) | instskip(NEXT) | instid1(VALU_DEP_1)
	v_subrev_nc_u32_e32 v77, 28, v29
	v_lshlrev_b64_e32 v[78:79], v77, v[20:21]
	s_delay_alu instid0(VALU_DEP_1)
	v_dual_sub_nc_u32 v29, 29, v29 :: v_dual_bitop2_b32 v20, 7, v78 bitop3:0x40
; %bb.801:                              ;   in Loop: Header=BB345_525 Depth=1
	s_or_b32 exec_lo, exec_lo, s24
	v_lshlrev_b32_e32 v28, 24, v28
	s_delay_alu instid0(VALU_DEP_2) | instskip(NEXT) | instid1(VALU_DEP_3)
	v_lshlrev_b32_e32 v20, 20, v20
	v_lshl_add_u32 v29, v29, 23, 0x3c000000
	s_delay_alu instid0(VALU_DEP_3) | instskip(NEXT) | instid1(VALU_DEP_1)
	v_and_b32_e32 v28, 0x80000000, v28
	v_or3_b32 v79, v20, v28, v29
.LBB345_802:                            ;   in Loop: Header=BB345_525 Depth=1
	s_or_b32 exec_lo, exec_lo, s23
.LBB345_803:                            ;   in Loop: Header=BB345_525 Depth=1
	s_delay_alu instid0(SALU_CYCLE_1)
	s_or_b32 exec_lo, exec_lo, s22
.LBB345_804:                            ;   in Loop: Header=BB345_525 Depth=1
	s_delay_alu instid0(SALU_CYCLE_1) | instskip(SKIP_4) | instid1(VALU_DEP_3)
	s_or_b32 exec_lo, exec_lo, s21
	v_and_b32_e32 v29, 0xff, v1
	v_dual_mov_b32 v20, v1 :: v_dual_mov_b32 v28, 0
	v_mov_b32_e32 v78, 0
	s_mov_b32 s21, exec_lo
	v_cmpx_ne_u16_e32 0, v29
	s_cbranch_execz .LBB345_810
; %bb.805:                              ;   in Loop: Header=BB345_525 Depth=1
	v_bfrev_b32_e32 v78, 1
	s_mov_b32 s22, exec_lo
	v_cmpx_ne_u16_e32 0x80, v29
	s_cbranch_execz .LBB345_809
; %bb.806:                              ;   in Loop: Header=BB345_525 Depth=1
	v_and_b32_e32 v29, 0x7f, v1
	v_mov_b32_e32 v78, 0x7f800001
	s_mov_b32 s23, exec_lo
	s_delay_alu instid0(VALU_DEP_2)
	v_cmpx_ne_u32_e32 0x7f, v29
	s_cbranch_execz .LBB345_808
; %bb.807:                              ;   in Loop: Header=BB345_525 Depth=1
	v_and_b32_e32 v77, 7, v1
	v_lshrrev_b32_e32 v78, 3, v29
	v_cmp_gt_u32_e64 s0, 8, v29
	s_delay_alu instid0(VALU_DEP_3) | instskip(NEXT) | instid1(VALU_DEP_1)
	v_clz_i32_u32_e32 v77, v77
	v_min_u32_e32 v77, 32, v77
	s_delay_alu instid0(VALU_DEP_1) | instskip(SKIP_1) | instid1(VALU_DEP_1)
	v_subrev_nc_u32_e32 v81, 28, v77
	v_sub_nc_u32_e32 v77, 29, v77
	v_cndmask_b32_e64 v29, v78, v77, s0
	s_delay_alu instid0(VALU_DEP_3) | instskip(NEXT) | instid1(VALU_DEP_2)
	v_cndmask_b32_e64 v77, 0, v81, s0
	v_lshl_add_u32 v29, v29, 23, 0x3c000000
	s_delay_alu instid0(VALU_DEP_2) | instskip(SKIP_1) | instid1(VALU_DEP_1)
	v_lshlrev_b64_e32 v[82:83], v77, v[20:21]
	v_lshlrev_b32_e32 v77, 24, v20
	v_and_b32_e32 v77, 0x80000000, v77
	s_delay_alu instid0(VALU_DEP_3) | instskip(NEXT) | instid1(VALU_DEP_1)
	v_lshlrev_b32_e32 v78, 20, v82
	v_and_b32_e32 v78, 0x700000, v78
	s_delay_alu instid0(VALU_DEP_1)
	v_or3_b32 v78, v78, v77, v29
.LBB345_808:                            ;   in Loop: Header=BB345_525 Depth=1
	s_or_b32 exec_lo, exec_lo, s23
.LBB345_809:                            ;   in Loop: Header=BB345_525 Depth=1
	s_delay_alu instid0(SALU_CYCLE_1)
	s_or_b32 exec_lo, exec_lo, s22
.LBB345_810:                            ;   in Loop: Header=BB345_525 Depth=1
	s_delay_alu instid0(SALU_CYCLE_1) | instskip(SKIP_2) | instid1(VALU_DEP_1)
	s_or_b32 exec_lo, exec_lo, s21
	v_lshrrev_b16 v29, 8, v20
	s_mov_b32 s21, exec_lo
	v_cmpx_ne_u16_e32 0, v29
	s_cbranch_execz .LBB345_818
; %bb.811:                              ;   in Loop: Header=BB345_525 Depth=1
	v_bfrev_b32_e32 v28, 1
	s_mov_b32 s22, exec_lo
	v_cmpx_ne_u16_e32 0x80, v29
	s_cbranch_execz .LBB345_817
; %bb.812:                              ;   in Loop: Header=BB345_525 Depth=1
	v_and_b32_e32 v29, 0xffff, v29
	v_mov_b32_e32 v28, 0x7f800001
	s_mov_b32 s23, exec_lo
	s_delay_alu instid0(VALU_DEP_2) | instskip(NEXT) | instid1(VALU_DEP_1)
	v_and_b32_e32 v81, 0x7f, v29
	v_cmpx_ne_u32_e32 0x7f, v81
	s_cbranch_execz .LBB345_816
; %bb.813:                              ;   in Loop: Header=BB345_525 Depth=1
	v_dual_mov_b32 v29, v21 :: v_dual_bitop2_b32 v28, 7, v29 bitop3:0x40
	v_lshrrev_b32_e32 v77, 3, v81
	s_mov_b32 s24, exec_lo
	v_cmpx_gt_u32_e32 8, v81
; %bb.814:                              ;   in Loop: Header=BB345_525 Depth=1
	s_delay_alu instid0(VALU_DEP_3) | instskip(NEXT) | instid1(VALU_DEP_1)
	v_clz_i32_u32_e32 v77, v28
	v_min_u32_e32 v77, 32, v77
	s_delay_alu instid0(VALU_DEP_1) | instskip(NEXT) | instid1(VALU_DEP_1)
	v_subrev_nc_u32_e32 v81, 28, v77
	v_lshlrev_b64_e32 v[28:29], v81, v[28:29]
	s_delay_alu instid0(VALU_DEP_1)
	v_dual_sub_nc_u32 v77, 29, v77 :: v_dual_bitop2_b32 v28, 7, v28 bitop3:0x40
; %bb.815:                              ;   in Loop: Header=BB345_525 Depth=1
	s_or_b32 exec_lo, exec_lo, s24
	v_lshlrev_b32_e32 v20, 16, v20
	s_delay_alu instid0(VALU_DEP_2) | instskip(NEXT) | instid1(VALU_DEP_3)
	v_lshlrev_b32_e32 v28, 20, v28
	v_lshl_add_u32 v29, v77, 23, 0x3c000000
	s_delay_alu instid0(VALU_DEP_3) | instskip(NEXT) | instid1(VALU_DEP_1)
	v_and_b32_e32 v20, 0x80000000, v20
	v_or3_b32 v28, v28, v20, v29
.LBB345_816:                            ;   in Loop: Header=BB345_525 Depth=1
	s_or_b32 exec_lo, exec_lo, s23
.LBB345_817:                            ;   in Loop: Header=BB345_525 Depth=1
	s_delay_alu instid0(SALU_CYCLE_1)
	s_or_b32 exec_lo, exec_lo, s22
.LBB345_818:                            ;   in Loop: Header=BB345_525 Depth=1
	s_delay_alu instid0(SALU_CYCLE_1) | instskip(SKIP_3) | instid1(VALU_DEP_2)
	s_or_b32 exec_lo, exec_lo, s21
	v_dual_lshrrev_b32 v77, 16, v1 :: v_dual_mov_b32 v29, 0
	v_mov_b32_e32 v83, 0
	s_mov_b32 s21, exec_lo
	v_and_b32_e32 v20, 0xff, v77
	s_delay_alu instid0(VALU_DEP_1)
	v_cmpx_ne_u16_e32 0, v20
	s_cbranch_execz .LBB345_826
; %bb.819:                              ;   in Loop: Header=BB345_525 Depth=1
	v_bfrev_b32_e32 v83, 1
	s_mov_b32 s22, exec_lo
	v_cmpx_ne_u16_e32 0x80, v20
	s_cbranch_execz .LBB345_825
; %bb.820:                              ;   in Loop: Header=BB345_525 Depth=1
	v_bfe_u32 v82, v1, 16, 7
	v_mov_b32_e32 v83, 0x7f800001
	s_mov_b32 s23, exec_lo
	s_delay_alu instid0(VALU_DEP_2)
	v_cmpx_ne_u32_e32 0x7f, v82
	s_cbranch_execz .LBB345_824
; %bb.821:                              ;   in Loop: Header=BB345_525 Depth=1
	v_dual_lshrrev_b32 v81, 3, v82 :: v_dual_bitop2_b32 v20, 7, v77 bitop3:0x40
	s_mov_b32 s24, exec_lo
	v_cmpx_gt_u32_e32 8, v82
; %bb.822:                              ;   in Loop: Header=BB345_525 Depth=1
	s_delay_alu instid0(VALU_DEP_2) | instskip(NEXT) | instid1(VALU_DEP_1)
	v_clz_i32_u32_e32 v81, v20
	v_min_u32_e32 v81, 32, v81
	s_delay_alu instid0(VALU_DEP_1) | instskip(NEXT) | instid1(VALU_DEP_1)
	v_subrev_nc_u32_e32 v82, 28, v81
	v_lshlrev_b64_e32 v[82:83], v82, v[20:21]
	s_delay_alu instid0(VALU_DEP_1)
	v_dual_sub_nc_u32 v81, 29, v81 :: v_dual_bitop2_b32 v20, 7, v82 bitop3:0x40
; %bb.823:                              ;   in Loop: Header=BB345_525 Depth=1
	s_or_b32 exec_lo, exec_lo, s24
	s_delay_alu instid0(VALU_DEP_1) | instskip(NEXT) | instid1(VALU_DEP_2)
	v_dual_lshlrev_b32 v77, 24, v77 :: v_dual_lshlrev_b32 v20, 20, v20
	v_lshl_add_u32 v81, v81, 23, 0x3c000000
	s_delay_alu instid0(VALU_DEP_2) | instskip(NEXT) | instid1(VALU_DEP_1)
	v_and_b32_e32 v77, 0x80000000, v77
	v_or3_b32 v83, v20, v77, v81
.LBB345_824:                            ;   in Loop: Header=BB345_525 Depth=1
	s_or_b32 exec_lo, exec_lo, s23
.LBB345_825:                            ;   in Loop: Header=BB345_525 Depth=1
	s_delay_alu instid0(SALU_CYCLE_1)
	s_or_b32 exec_lo, exec_lo, s22
.LBB345_826:                            ;   in Loop: Header=BB345_525 Depth=1
	s_delay_alu instid0(SALU_CYCLE_1) | instskip(NEXT) | instid1(SALU_CYCLE_1)
	s_or_b32 exec_lo, exec_lo, s21
	s_mov_b32 s21, exec_lo
	v_cmpx_lt_u64_e64 s[2:3], v[0:1]
	s_cbranch_execz .LBB345_834
; %bb.827:                              ;   in Loop: Header=BB345_525 Depth=1
	v_lshrrev_b32_e32 v0, 24, v1
	v_bfrev_b32_e32 v29, 1
	s_mov_b32 s22, exec_lo
	s_delay_alu instid0(VALU_DEP_2)
	v_cmpx_ne_u32_e32 0x80, v0
	s_cbranch_execz .LBB345_833
; %bb.828:                              ;   in Loop: Header=BB345_525 Depth=1
	v_bfe_u32 v77, v1, 24, 7
	v_mov_b32_e32 v29, 0x7f800001
	s_mov_b32 s23, exec_lo
	s_delay_alu instid0(VALU_DEP_2)
	v_cmpx_ne_u32_e32 0x7f, v77
	s_cbranch_execz .LBB345_832
; %bb.829:                              ;   in Loop: Header=BB345_525 Depth=1
	v_dual_lshrrev_b32 v1, 3, v77 :: v_dual_bitop2_b32 v20, 7, v0 bitop3:0x40
	s_mov_b32 s24, exec_lo
	v_cmpx_gt_u32_e32 8, v77
; %bb.830:                              ;   in Loop: Header=BB345_525 Depth=1
	s_delay_alu instid0(VALU_DEP_2) | instskip(NEXT) | instid1(VALU_DEP_1)
	v_clz_i32_u32_e32 v1, v20
	v_min_u32_e32 v1, 32, v1
	s_delay_alu instid0(VALU_DEP_1) | instskip(NEXT) | instid1(VALU_DEP_1)
	v_subrev_nc_u32_e32 v29, 28, v1
	v_lshlrev_b64_e32 v[84:85], v29, v[20:21]
	s_delay_alu instid0(VALU_DEP_1)
	v_dual_sub_nc_u32 v1, 29, v1 :: v_dual_bitop2_b32 v20, 7, v84 bitop3:0x40
; %bb.831:                              ;   in Loop: Header=BB345_525 Depth=1
	s_or_b32 exec_lo, exec_lo, s24
	v_lshlrev_b32_e32 v0, 24, v0
	s_delay_alu instid0(VALU_DEP_2) | instskip(NEXT) | instid1(VALU_DEP_3)
	v_lshlrev_b32_e32 v20, 20, v20
	v_lshl_add_u32 v1, v1, 23, 0x3c000000
	s_delay_alu instid0(VALU_DEP_3) | instskip(NEXT) | instid1(VALU_DEP_1)
	v_and_b32_e32 v0, 0x80000000, v0
	v_or3_b32 v29, v20, v0, v1
.LBB345_832:                            ;   in Loop: Header=BB345_525 Depth=1
	s_or_b32 exec_lo, exec_lo, s23
.LBB345_833:                            ;   in Loop: Header=BB345_525 Depth=1
	s_delay_alu instid0(SALU_CYCLE_1)
	s_or_b32 exec_lo, exec_lo, s22
.LBB345_834:                            ;   in Loop: Header=BB345_525 Depth=1
	s_delay_alu instid0(SALU_CYCLE_1)
	s_or_b32 exec_lo, exec_lo, s21
	v_fma_mixlo_bf16 v77, s20, v28, 0
	v_fma_mixlo_bf16 v78, s20, v78, 0
	;; [unrolled: 1-line block ×8, first 2 shown]
	s_and_saveexec_b32 s21, vcc_lo
	s_cbranch_execz .LBB345_836
; %bb.835:                              ;   in Loop: Header=BB345_525 Depth=1
	v_cmp_gt_i32_e64 s0, s34, v43
	s_delay_alu instid0(VALU_DEP_1) | instskip(SKIP_1) | instid1(VALU_DEP_1)
	v_cndmask_b32_e64 v82, 0, v82, s0
	v_cmp_gt_i32_e64 s0, s34, v50
	v_cndmask_b32_e64 v81, 0, v81, s0
	v_cmp_gt_i32_e64 s0, s34, v49
	s_delay_alu instid0(VALU_DEP_1) | instskip(SKIP_1) | instid1(VALU_DEP_1)
	v_cndmask_b32_e64 v80, 0, v80, s0
	v_cmp_gt_i32_e64 s0, s34, v48
	v_cndmask_b32_e64 v79, 0, v79, s0
	;; [unrolled: 5-line block ×4, first 2 shown]
.LBB345_836:                            ;   in Loop: Header=BB345_525 Depth=1
	s_or_b32 exec_lo, exec_lo, s21
	global_load_b64 v[0:1], v[26:27], off offset:1280
	v_dual_mov_b32 v84, 0 :: v_dual_mov_b32 v83, 0
	s_mov_b32 s21, exec_lo
	s_wait_loadcnt 0x0
	v_and_b32_e32 v20, 0xff, v0
	s_delay_alu instid0(VALU_DEP_1)
	v_cmpx_ne_u16_e32 0, v20
	s_cbranch_execz .LBB345_842
; %bb.837:                              ;   in Loop: Header=BB345_525 Depth=1
	v_bfrev_b32_e32 v83, 1
	s_mov_b32 s22, exec_lo
	v_cmpx_ne_u16_e32 0x80, v20
	s_cbranch_execz .LBB345_841
; %bb.838:                              ;   in Loop: Header=BB345_525 Depth=1
	v_and_b32_e32 v20, 0x7f, v0
	v_mov_b32_e32 v83, 0x7f800001
	s_mov_b32 s23, exec_lo
	s_delay_alu instid0(VALU_DEP_2)
	v_cmpx_ne_u32_e32 0x7f, v20
	s_cbranch_execz .LBB345_840
; %bb.839:                              ;   in Loop: Header=BB345_525 Depth=1
	v_and_b32_e32 v28, 7, v0
	v_cmp_gt_u32_e64 s0, 8, v20
	s_delay_alu instid0(VALU_DEP_2) | instskip(NEXT) | instid1(VALU_DEP_1)
	v_clz_i32_u32_e32 v28, v28
	v_min_u32_e32 v28, 32, v28
	s_delay_alu instid0(VALU_DEP_1) | instskip(SKIP_2) | instid1(VALU_DEP_1)
	v_subrev_nc_u32_e32 v83, 28, v28
	v_lshrrev_b32_e32 v29, 3, v20
	v_sub_nc_u32_e32 v28, 29, v28
	v_dual_cndmask_b32 v20, v29, v28, s0 :: v_dual_cndmask_b32 v28, 0, v83, s0
	s_delay_alu instid0(VALU_DEP_1) | instskip(SKIP_1) | instid1(VALU_DEP_1)
	v_lshlrev_b64_e32 v[28:29], v28, v[0:1]
	v_lshlrev_b32_e32 v29, 24, v0
	v_and_b32_e32 v29, 0x80000000, v29
	s_delay_alu instid0(VALU_DEP_3) | instskip(SKIP_1) | instid1(VALU_DEP_2)
	v_lshlrev_b32_e32 v28, 20, v28
	v_lshl_add_u32 v20, v20, 23, 0x3c000000
	v_and_b32_e32 v28, 0x700000, v28
	s_delay_alu instid0(VALU_DEP_1)
	v_or3_b32 v83, v28, v29, v20
.LBB345_840:                            ;   in Loop: Header=BB345_525 Depth=1
	s_or_b32 exec_lo, exec_lo, s23
.LBB345_841:                            ;   in Loop: Header=BB345_525 Depth=1
	s_delay_alu instid0(SALU_CYCLE_1)
	s_or_b32 exec_lo, exec_lo, s22
.LBB345_842:                            ;   in Loop: Header=BB345_525 Depth=1
	s_delay_alu instid0(SALU_CYCLE_1) | instskip(SKIP_2) | instid1(VALU_DEP_1)
	s_or_b32 exec_lo, exec_lo, s21
	v_lshrrev_b16 v20, 8, v0
	s_mov_b32 s21, exec_lo
	v_cmpx_ne_u16_e32 0, v20
	s_cbranch_execz .LBB345_850
; %bb.843:                              ;   in Loop: Header=BB345_525 Depth=1
	v_bfrev_b32_e32 v84, 1
	s_mov_b32 s22, exec_lo
	v_cmpx_ne_u16_e32 0x80, v20
	s_cbranch_execz .LBB345_849
; %bb.844:                              ;   in Loop: Header=BB345_525 Depth=1
	v_and_b32_e32 v20, 0xffff, v20
	v_mov_b32_e32 v84, 0x7f800001
	s_mov_b32 s23, exec_lo
	s_delay_alu instid0(VALU_DEP_2) | instskip(NEXT) | instid1(VALU_DEP_1)
	v_and_b32_e32 v29, 0x7f, v20
	v_cmpx_ne_u32_e32 0x7f, v29
	s_cbranch_execz .LBB345_848
; %bb.845:                              ;   in Loop: Header=BB345_525 Depth=1
	v_dual_lshrrev_b32 v28, 3, v29 :: v_dual_bitop2_b32 v20, 7, v20 bitop3:0x40
	s_mov_b32 s24, exec_lo
	v_cmpx_gt_u32_e32 8, v29
; %bb.846:                              ;   in Loop: Header=BB345_525 Depth=1
	s_delay_alu instid0(VALU_DEP_2) | instskip(NEXT) | instid1(VALU_DEP_1)
	v_clz_i32_u32_e32 v28, v20
	v_min_u32_e32 v28, 32, v28
	s_delay_alu instid0(VALU_DEP_1) | instskip(SKIP_1) | instid1(VALU_DEP_2)
	v_subrev_nc_u32_e32 v29, 28, v28
	v_sub_nc_u32_e32 v28, 29, v28
	v_lshlrev_b64_e32 v[84:85], v29, v[20:21]
	s_delay_alu instid0(VALU_DEP_1)
	v_and_b32_e32 v20, 7, v84
; %bb.847:                              ;   in Loop: Header=BB345_525 Depth=1
	s_or_b32 exec_lo, exec_lo, s24
	v_lshlrev_b32_e32 v29, 16, v0
	s_delay_alu instid0(VALU_DEP_2) | instskip(SKIP_1) | instid1(VALU_DEP_3)
	v_lshlrev_b32_e32 v20, 20, v20
	v_lshl_add_u32 v28, v28, 23, 0x3c000000
	v_and_b32_e32 v29, 0x80000000, v29
	s_delay_alu instid0(VALU_DEP_1)
	v_or3_b32 v84, v20, v29, v28
.LBB345_848:                            ;   in Loop: Header=BB345_525 Depth=1
	s_or_b32 exec_lo, exec_lo, s23
.LBB345_849:                            ;   in Loop: Header=BB345_525 Depth=1
	s_delay_alu instid0(SALU_CYCLE_1)
	s_or_b32 exec_lo, exec_lo, s22
.LBB345_850:                            ;   in Loop: Header=BB345_525 Depth=1
	s_delay_alu instid0(SALU_CYCLE_1) | instskip(SKIP_3) | instid1(VALU_DEP_2)
	s_or_b32 exec_lo, exec_lo, s21
	v_dual_mov_b32 v87, 0 :: v_dual_lshrrev_b32 v28, 16, v0
	v_mov_b32_e32 v88, 0
	s_mov_b32 s21, exec_lo
	v_and_b32_e32 v20, 0xff, v28
	s_delay_alu instid0(VALU_DEP_1)
	v_cmpx_ne_u16_e32 0, v20
	s_cbranch_execz .LBB345_858
; %bb.851:                              ;   in Loop: Header=BB345_525 Depth=1
	v_bfrev_b32_e32 v88, 1
	s_mov_b32 s22, exec_lo
	v_cmpx_ne_u16_e32 0x80, v20
	s_cbranch_execz .LBB345_857
; %bb.852:                              ;   in Loop: Header=BB345_525 Depth=1
	v_bfe_u32 v85, v0, 16, 7
	v_mov_b32_e32 v88, 0x7f800001
	s_mov_b32 s23, exec_lo
	s_delay_alu instid0(VALU_DEP_2)
	v_cmpx_ne_u32_e32 0x7f, v85
	s_cbranch_execz .LBB345_856
; %bb.853:                              ;   in Loop: Header=BB345_525 Depth=1
	v_dual_lshrrev_b32 v29, 3, v85 :: v_dual_bitop2_b32 v20, 7, v28 bitop3:0x40
	s_mov_b32 s24, exec_lo
	v_cmpx_gt_u32_e32 8, v85
; %bb.854:                              ;   in Loop: Header=BB345_525 Depth=1
	s_delay_alu instid0(VALU_DEP_2) | instskip(NEXT) | instid1(VALU_DEP_1)
	v_clz_i32_u32_e32 v29, v20
	v_min_u32_e32 v29, 32, v29
	s_delay_alu instid0(VALU_DEP_1) | instskip(NEXT) | instid1(VALU_DEP_1)
	v_subrev_nc_u32_e32 v85, 28, v29
	v_lshlrev_b64_e32 v[88:89], v85, v[20:21]
	s_delay_alu instid0(VALU_DEP_1)
	v_dual_sub_nc_u32 v29, 29, v29 :: v_dual_bitop2_b32 v20, 7, v88 bitop3:0x40
; %bb.855:                              ;   in Loop: Header=BB345_525 Depth=1
	s_or_b32 exec_lo, exec_lo, s24
	v_lshlrev_b32_e32 v28, 24, v28
	s_delay_alu instid0(VALU_DEP_2) | instskip(NEXT) | instid1(VALU_DEP_3)
	v_lshlrev_b32_e32 v20, 20, v20
	v_lshl_add_u32 v29, v29, 23, 0x3c000000
	s_delay_alu instid0(VALU_DEP_3) | instskip(NEXT) | instid1(VALU_DEP_1)
	v_and_b32_e32 v28, 0x80000000, v28
	v_or3_b32 v88, v20, v28, v29
.LBB345_856:                            ;   in Loop: Header=BB345_525 Depth=1
	s_or_b32 exec_lo, exec_lo, s23
.LBB345_857:                            ;   in Loop: Header=BB345_525 Depth=1
	s_delay_alu instid0(SALU_CYCLE_1)
	s_or_b32 exec_lo, exec_lo, s22
.LBB345_858:                            ;   in Loop: Header=BB345_525 Depth=1
	s_delay_alu instid0(SALU_CYCLE_1) | instskip(NEXT) | instid1(SALU_CYCLE_1)
	s_or_b32 exec_lo, exec_lo, s21
	s_mov_b32 s21, exec_lo
	v_cmpx_lt_u32_e32 0xffffff, v0
	s_cbranch_execz .LBB345_866
; %bb.859:                              ;   in Loop: Header=BB345_525 Depth=1
	v_lshrrev_b32_e32 v28, 24, v0
	v_bfrev_b32_e32 v87, 1
	s_mov_b32 s22, exec_lo
	s_delay_alu instid0(VALU_DEP_2)
	v_cmpx_ne_u32_e32 0x80, v28
	s_cbranch_execz .LBB345_865
; %bb.860:                              ;   in Loop: Header=BB345_525 Depth=1
	v_bfe_u32 v85, v0, 24, 7
	v_mov_b32_e32 v87, 0x7f800001
	s_mov_b32 s23, exec_lo
	s_delay_alu instid0(VALU_DEP_2)
	v_cmpx_ne_u32_e32 0x7f, v85
	s_cbranch_execz .LBB345_864
; %bb.861:                              ;   in Loop: Header=BB345_525 Depth=1
	v_dual_lshrrev_b32 v29, 3, v85 :: v_dual_bitop2_b32 v20, 7, v28 bitop3:0x40
	s_mov_b32 s24, exec_lo
	v_cmpx_gt_u32_e32 8, v85
; %bb.862:                              ;   in Loop: Header=BB345_525 Depth=1
	s_delay_alu instid0(VALU_DEP_2) | instskip(NEXT) | instid1(VALU_DEP_1)
	v_clz_i32_u32_e32 v29, v20
	v_min_u32_e32 v29, 32, v29
	s_delay_alu instid0(VALU_DEP_1) | instskip(NEXT) | instid1(VALU_DEP_1)
	v_subrev_nc_u32_e32 v85, 28, v29
	v_lshlrev_b64_e32 v[86:87], v85, v[20:21]
	s_delay_alu instid0(VALU_DEP_1)
	v_dual_sub_nc_u32 v29, 29, v29 :: v_dual_bitop2_b32 v20, 7, v86 bitop3:0x40
; %bb.863:                              ;   in Loop: Header=BB345_525 Depth=1
	s_or_b32 exec_lo, exec_lo, s24
	v_lshlrev_b32_e32 v28, 24, v28
	s_delay_alu instid0(VALU_DEP_2) | instskip(NEXT) | instid1(VALU_DEP_3)
	v_lshlrev_b32_e32 v20, 20, v20
	v_lshl_add_u32 v29, v29, 23, 0x3c000000
	s_delay_alu instid0(VALU_DEP_3) | instskip(NEXT) | instid1(VALU_DEP_1)
	v_and_b32_e32 v28, 0x80000000, v28
	v_or3_b32 v87, v20, v28, v29
.LBB345_864:                            ;   in Loop: Header=BB345_525 Depth=1
	s_or_b32 exec_lo, exec_lo, s23
.LBB345_865:                            ;   in Loop: Header=BB345_525 Depth=1
	s_delay_alu instid0(SALU_CYCLE_1)
	s_or_b32 exec_lo, exec_lo, s22
.LBB345_866:                            ;   in Loop: Header=BB345_525 Depth=1
	s_delay_alu instid0(SALU_CYCLE_1) | instskip(SKIP_4) | instid1(VALU_DEP_3)
	s_or_b32 exec_lo, exec_lo, s21
	v_and_b32_e32 v29, 0xff, v1
	v_dual_mov_b32 v20, v1 :: v_dual_mov_b32 v28, 0
	v_mov_b32_e32 v86, 0
	s_mov_b32 s21, exec_lo
	v_cmpx_ne_u16_e32 0, v29
	s_cbranch_execz .LBB345_872
; %bb.867:                              ;   in Loop: Header=BB345_525 Depth=1
	v_bfrev_b32_e32 v86, 1
	s_mov_b32 s22, exec_lo
	v_cmpx_ne_u16_e32 0x80, v29
	s_cbranch_execz .LBB345_871
; %bb.868:                              ;   in Loop: Header=BB345_525 Depth=1
	v_and_b32_e32 v29, 0x7f, v1
	v_mov_b32_e32 v86, 0x7f800001
	s_mov_b32 s23, exec_lo
	s_delay_alu instid0(VALU_DEP_2)
	v_cmpx_ne_u32_e32 0x7f, v29
	s_cbranch_execz .LBB345_870
; %bb.869:                              ;   in Loop: Header=BB345_525 Depth=1
	v_and_b32_e32 v85, 7, v1
	v_lshrrev_b32_e32 v86, 3, v29
	v_cmp_gt_u32_e64 s0, 8, v29
	s_delay_alu instid0(VALU_DEP_3) | instskip(NEXT) | instid1(VALU_DEP_1)
	v_clz_i32_u32_e32 v85, v85
	v_min_u32_e32 v85, 32, v85
	s_delay_alu instid0(VALU_DEP_1) | instskip(SKIP_1) | instid1(VALU_DEP_1)
	v_subrev_nc_u32_e32 v89, 28, v85
	v_sub_nc_u32_e32 v85, 29, v85
	v_cndmask_b32_e64 v29, v86, v85, s0
	s_delay_alu instid0(VALU_DEP_3) | instskip(NEXT) | instid1(VALU_DEP_2)
	v_cndmask_b32_e64 v85, 0, v89, s0
	v_lshl_add_u32 v29, v29, 23, 0x3c000000
	s_delay_alu instid0(VALU_DEP_2) | instskip(SKIP_1) | instid1(VALU_DEP_1)
	v_lshlrev_b64_e32 v[90:91], v85, v[20:21]
	v_lshlrev_b32_e32 v85, 24, v20
	v_and_b32_e32 v85, 0x80000000, v85
	s_delay_alu instid0(VALU_DEP_3) | instskip(NEXT) | instid1(VALU_DEP_1)
	v_lshlrev_b32_e32 v86, 20, v90
	v_and_b32_e32 v86, 0x700000, v86
	s_delay_alu instid0(VALU_DEP_1)
	v_or3_b32 v86, v86, v85, v29
.LBB345_870:                            ;   in Loop: Header=BB345_525 Depth=1
	s_or_b32 exec_lo, exec_lo, s23
.LBB345_871:                            ;   in Loop: Header=BB345_525 Depth=1
	s_delay_alu instid0(SALU_CYCLE_1)
	s_or_b32 exec_lo, exec_lo, s22
.LBB345_872:                            ;   in Loop: Header=BB345_525 Depth=1
	s_delay_alu instid0(SALU_CYCLE_1) | instskip(SKIP_2) | instid1(VALU_DEP_1)
	s_or_b32 exec_lo, exec_lo, s21
	v_lshrrev_b16 v29, 8, v20
	s_mov_b32 s21, exec_lo
	v_cmpx_ne_u16_e32 0, v29
	s_cbranch_execz .LBB345_880
; %bb.873:                              ;   in Loop: Header=BB345_525 Depth=1
	v_bfrev_b32_e32 v28, 1
	s_mov_b32 s22, exec_lo
	v_cmpx_ne_u16_e32 0x80, v29
	s_cbranch_execz .LBB345_879
; %bb.874:                              ;   in Loop: Header=BB345_525 Depth=1
	v_and_b32_e32 v29, 0xffff, v29
	v_mov_b32_e32 v28, 0x7f800001
	s_mov_b32 s23, exec_lo
	s_delay_alu instid0(VALU_DEP_2) | instskip(NEXT) | instid1(VALU_DEP_1)
	v_and_b32_e32 v89, 0x7f, v29
	v_cmpx_ne_u32_e32 0x7f, v89
	s_cbranch_execz .LBB345_878
; %bb.875:                              ;   in Loop: Header=BB345_525 Depth=1
	v_dual_mov_b32 v29, v21 :: v_dual_bitop2_b32 v28, 7, v29 bitop3:0x40
	v_lshrrev_b32_e32 v85, 3, v89
	s_mov_b32 s24, exec_lo
	v_cmpx_gt_u32_e32 8, v89
; %bb.876:                              ;   in Loop: Header=BB345_525 Depth=1
	s_delay_alu instid0(VALU_DEP_3) | instskip(NEXT) | instid1(VALU_DEP_1)
	v_clz_i32_u32_e32 v85, v28
	v_min_u32_e32 v85, 32, v85
	s_delay_alu instid0(VALU_DEP_1) | instskip(NEXT) | instid1(VALU_DEP_1)
	v_subrev_nc_u32_e32 v89, 28, v85
	v_lshlrev_b64_e32 v[28:29], v89, v[28:29]
	s_delay_alu instid0(VALU_DEP_1)
	v_dual_sub_nc_u32 v85, 29, v85 :: v_dual_bitop2_b32 v28, 7, v28 bitop3:0x40
; %bb.877:                              ;   in Loop: Header=BB345_525 Depth=1
	s_or_b32 exec_lo, exec_lo, s24
	v_lshlrev_b32_e32 v20, 16, v20
	s_delay_alu instid0(VALU_DEP_2) | instskip(NEXT) | instid1(VALU_DEP_3)
	v_lshlrev_b32_e32 v28, 20, v28
	v_lshl_add_u32 v29, v85, 23, 0x3c000000
	s_delay_alu instid0(VALU_DEP_3) | instskip(NEXT) | instid1(VALU_DEP_1)
	v_and_b32_e32 v20, 0x80000000, v20
	v_or3_b32 v28, v28, v20, v29
.LBB345_878:                            ;   in Loop: Header=BB345_525 Depth=1
	s_or_b32 exec_lo, exec_lo, s23
.LBB345_879:                            ;   in Loop: Header=BB345_525 Depth=1
	s_delay_alu instid0(SALU_CYCLE_1)
	s_or_b32 exec_lo, exec_lo, s22
.LBB345_880:                            ;   in Loop: Header=BB345_525 Depth=1
	s_delay_alu instid0(SALU_CYCLE_1) | instskip(SKIP_3) | instid1(VALU_DEP_2)
	s_or_b32 exec_lo, exec_lo, s21
	v_dual_lshrrev_b32 v85, 16, v1 :: v_dual_mov_b32 v29, 0
	v_mov_b32_e32 v91, 0
	s_mov_b32 s21, exec_lo
	v_and_b32_e32 v20, 0xff, v85
	s_delay_alu instid0(VALU_DEP_1)
	v_cmpx_ne_u16_e32 0, v20
	s_cbranch_execz .LBB345_888
; %bb.881:                              ;   in Loop: Header=BB345_525 Depth=1
	v_bfrev_b32_e32 v91, 1
	s_mov_b32 s22, exec_lo
	v_cmpx_ne_u16_e32 0x80, v20
	s_cbranch_execz .LBB345_887
; %bb.882:                              ;   in Loop: Header=BB345_525 Depth=1
	v_bfe_u32 v90, v1, 16, 7
	v_mov_b32_e32 v91, 0x7f800001
	s_mov_b32 s23, exec_lo
	s_delay_alu instid0(VALU_DEP_2)
	v_cmpx_ne_u32_e32 0x7f, v90
	s_cbranch_execz .LBB345_886
; %bb.883:                              ;   in Loop: Header=BB345_525 Depth=1
	v_dual_lshrrev_b32 v89, 3, v90 :: v_dual_bitop2_b32 v20, 7, v85 bitop3:0x40
	s_mov_b32 s24, exec_lo
	v_cmpx_gt_u32_e32 8, v90
; %bb.884:                              ;   in Loop: Header=BB345_525 Depth=1
	s_delay_alu instid0(VALU_DEP_2) | instskip(NEXT) | instid1(VALU_DEP_1)
	v_clz_i32_u32_e32 v89, v20
	v_min_u32_e32 v89, 32, v89
	s_delay_alu instid0(VALU_DEP_1) | instskip(NEXT) | instid1(VALU_DEP_1)
	v_subrev_nc_u32_e32 v90, 28, v89
	v_lshlrev_b64_e32 v[90:91], v90, v[20:21]
	s_delay_alu instid0(VALU_DEP_1)
	v_dual_sub_nc_u32 v89, 29, v89 :: v_dual_bitop2_b32 v20, 7, v90 bitop3:0x40
; %bb.885:                              ;   in Loop: Header=BB345_525 Depth=1
	s_or_b32 exec_lo, exec_lo, s24
	s_delay_alu instid0(VALU_DEP_1) | instskip(NEXT) | instid1(VALU_DEP_2)
	v_dual_lshlrev_b32 v85, 24, v85 :: v_dual_lshlrev_b32 v20, 20, v20
	v_lshl_add_u32 v89, v89, 23, 0x3c000000
	s_delay_alu instid0(VALU_DEP_2) | instskip(NEXT) | instid1(VALU_DEP_1)
	v_and_b32_e32 v85, 0x80000000, v85
	v_or3_b32 v91, v20, v85, v89
.LBB345_886:                            ;   in Loop: Header=BB345_525 Depth=1
	s_or_b32 exec_lo, exec_lo, s23
.LBB345_887:                            ;   in Loop: Header=BB345_525 Depth=1
	s_delay_alu instid0(SALU_CYCLE_1)
	s_or_b32 exec_lo, exec_lo, s22
.LBB345_888:                            ;   in Loop: Header=BB345_525 Depth=1
	s_delay_alu instid0(SALU_CYCLE_1) | instskip(NEXT) | instid1(SALU_CYCLE_1)
	s_or_b32 exec_lo, exec_lo, s21
	s_mov_b32 s21, exec_lo
	v_cmpx_lt_u64_e64 s[2:3], v[0:1]
	s_cbranch_execz .LBB345_896
; %bb.889:                              ;   in Loop: Header=BB345_525 Depth=1
	v_lshrrev_b32_e32 v0, 24, v1
	v_bfrev_b32_e32 v29, 1
	s_mov_b32 s22, exec_lo
	s_delay_alu instid0(VALU_DEP_2)
	v_cmpx_ne_u32_e32 0x80, v0
	s_cbranch_execz .LBB345_895
; %bb.890:                              ;   in Loop: Header=BB345_525 Depth=1
	v_bfe_u32 v85, v1, 24, 7
	v_mov_b32_e32 v29, 0x7f800001
	s_mov_b32 s23, exec_lo
	s_delay_alu instid0(VALU_DEP_2)
	v_cmpx_ne_u32_e32 0x7f, v85
	s_cbranch_execz .LBB345_894
; %bb.891:                              ;   in Loop: Header=BB345_525 Depth=1
	v_dual_lshrrev_b32 v1, 3, v85 :: v_dual_bitop2_b32 v20, 7, v0 bitop3:0x40
	s_mov_b32 s24, exec_lo
	v_cmpx_gt_u32_e32 8, v85
; %bb.892:                              ;   in Loop: Header=BB345_525 Depth=1
	s_delay_alu instid0(VALU_DEP_2) | instskip(NEXT) | instid1(VALU_DEP_1)
	v_clz_i32_u32_e32 v1, v20
	v_min_u32_e32 v1, 32, v1
	s_delay_alu instid0(VALU_DEP_1) | instskip(NEXT) | instid1(VALU_DEP_1)
	v_subrev_nc_u32_e32 v29, 28, v1
	v_lshlrev_b64_e32 v[92:93], v29, v[20:21]
	s_delay_alu instid0(VALU_DEP_1)
	v_dual_sub_nc_u32 v1, 29, v1 :: v_dual_bitop2_b32 v20, 7, v92 bitop3:0x40
; %bb.893:                              ;   in Loop: Header=BB345_525 Depth=1
	s_or_b32 exec_lo, exec_lo, s24
	v_lshlrev_b32_e32 v0, 24, v0
	s_delay_alu instid0(VALU_DEP_2) | instskip(NEXT) | instid1(VALU_DEP_3)
	v_lshlrev_b32_e32 v20, 20, v20
	v_lshl_add_u32 v1, v1, 23, 0x3c000000
	s_delay_alu instid0(VALU_DEP_3) | instskip(NEXT) | instid1(VALU_DEP_1)
	v_and_b32_e32 v0, 0x80000000, v0
	v_or3_b32 v29, v20, v0, v1
.LBB345_894:                            ;   in Loop: Header=BB345_525 Depth=1
	s_or_b32 exec_lo, exec_lo, s23
.LBB345_895:                            ;   in Loop: Header=BB345_525 Depth=1
	s_delay_alu instid0(SALU_CYCLE_1)
	s_or_b32 exec_lo, exec_lo, s22
.LBB345_896:                            ;   in Loop: Header=BB345_525 Depth=1
	s_delay_alu instid0(SALU_CYCLE_1)
	s_or_b32 exec_lo, exec_lo, s21
	v_fma_mixlo_bf16 v85, s20, v28, 0
	v_fma_mixlo_bf16 v86, s20, v86, 0
	;; [unrolled: 1-line block ×8, first 2 shown]
	s_and_saveexec_b32 s21, vcc_lo
	s_cbranch_execz .LBB345_898
; %bb.897:                              ;   in Loop: Header=BB345_525 Depth=1
	v_cmp_gt_i32_e64 s0, s34, v43
	s_delay_alu instid0(VALU_DEP_1) | instskip(SKIP_1) | instid1(VALU_DEP_1)
	v_cndmask_b32_e64 v90, 0, v90, s0
	v_cmp_gt_i32_e64 s0, s34, v50
	v_cndmask_b32_e64 v89, 0, v89, s0
	v_cmp_gt_i32_e64 s0, s34, v49
	s_delay_alu instid0(VALU_DEP_1) | instskip(SKIP_1) | instid1(VALU_DEP_1)
	v_cndmask_b32_e64 v88, 0, v88, s0
	v_cmp_gt_i32_e64 s0, s34, v48
	v_cndmask_b32_e64 v87, 0, v87, s0
	;; [unrolled: 5-line block ×4, first 2 shown]
.LBB345_898:                            ;   in Loop: Header=BB345_525 Depth=1
	s_or_b32 exec_lo, exec_lo, s21
	global_load_b64 v[0:1], v[26:27], off offset:1536
	v_dual_mov_b32 v95, 0 :: v_dual_mov_b32 v96, 0
	s_mov_b32 s21, exec_lo
	s_wait_loadcnt 0x0
	v_and_b32_e32 v20, 0xff, v0
	s_delay_alu instid0(VALU_DEP_1)
	v_cmpx_ne_u16_e32 0, v20
	s_cbranch_execz .LBB345_904
; %bb.899:                              ;   in Loop: Header=BB345_525 Depth=1
	v_bfrev_b32_e32 v96, 1
	s_mov_b32 s22, exec_lo
	v_cmpx_ne_u16_e32 0x80, v20
	s_cbranch_execz .LBB345_903
; %bb.900:                              ;   in Loop: Header=BB345_525 Depth=1
	v_and_b32_e32 v20, 0x7f, v0
	v_mov_b32_e32 v96, 0x7f800001
	s_mov_b32 s23, exec_lo
	s_delay_alu instid0(VALU_DEP_2)
	v_cmpx_ne_u32_e32 0x7f, v20
	s_cbranch_execz .LBB345_902
; %bb.901:                              ;   in Loop: Header=BB345_525 Depth=1
	v_and_b32_e32 v28, 7, v0
	v_cmp_gt_u32_e64 s0, 8, v20
	s_delay_alu instid0(VALU_DEP_2) | instskip(NEXT) | instid1(VALU_DEP_1)
	v_clz_i32_u32_e32 v28, v28
	v_min_u32_e32 v28, 32, v28
	s_delay_alu instid0(VALU_DEP_1) | instskip(SKIP_2) | instid1(VALU_DEP_1)
	v_subrev_nc_u32_e32 v91, 28, v28
	v_lshrrev_b32_e32 v29, 3, v20
	v_sub_nc_u32_e32 v28, 29, v28
	v_dual_cndmask_b32 v20, v29, v28, s0 :: v_dual_cndmask_b32 v28, 0, v91, s0
	s_delay_alu instid0(VALU_DEP_1) | instskip(SKIP_1) | instid1(VALU_DEP_1)
	v_lshlrev_b64_e32 v[28:29], v28, v[0:1]
	v_lshlrev_b32_e32 v29, 24, v0
	v_and_b32_e32 v29, 0x80000000, v29
	s_delay_alu instid0(VALU_DEP_3) | instskip(SKIP_1) | instid1(VALU_DEP_2)
	v_lshlrev_b32_e32 v28, 20, v28
	v_lshl_add_u32 v20, v20, 23, 0x3c000000
	v_and_b32_e32 v28, 0x700000, v28
	s_delay_alu instid0(VALU_DEP_1)
	v_or3_b32 v96, v28, v29, v20
.LBB345_902:                            ;   in Loop: Header=BB345_525 Depth=1
	s_or_b32 exec_lo, exec_lo, s23
.LBB345_903:                            ;   in Loop: Header=BB345_525 Depth=1
	s_delay_alu instid0(SALU_CYCLE_1)
	s_or_b32 exec_lo, exec_lo, s22
.LBB345_904:                            ;   in Loop: Header=BB345_525 Depth=1
	s_delay_alu instid0(SALU_CYCLE_1) | instskip(SKIP_2) | instid1(VALU_DEP_1)
	s_or_b32 exec_lo, exec_lo, s21
	v_lshrrev_b16 v20, 8, v0
	s_mov_b32 s21, exec_lo
	v_cmpx_ne_u16_e32 0, v20
	s_cbranch_execz .LBB345_912
; %bb.905:                              ;   in Loop: Header=BB345_525 Depth=1
	v_bfrev_b32_e32 v95, 1
	s_mov_b32 s22, exec_lo
	v_cmpx_ne_u16_e32 0x80, v20
	s_cbranch_execz .LBB345_911
; %bb.906:                              ;   in Loop: Header=BB345_525 Depth=1
	v_and_b32_e32 v20, 0xffff, v20
	v_mov_b32_e32 v95, 0x7f800001
	s_mov_b32 s23, exec_lo
	s_delay_alu instid0(VALU_DEP_2) | instskip(NEXT) | instid1(VALU_DEP_1)
	v_and_b32_e32 v29, 0x7f, v20
	v_cmpx_ne_u32_e32 0x7f, v29
	s_cbranch_execz .LBB345_910
; %bb.907:                              ;   in Loop: Header=BB345_525 Depth=1
	v_dual_lshrrev_b32 v28, 3, v29 :: v_dual_bitop2_b32 v20, 7, v20 bitop3:0x40
	s_mov_b32 s24, exec_lo
	v_cmpx_gt_u32_e32 8, v29
; %bb.908:                              ;   in Loop: Header=BB345_525 Depth=1
	s_delay_alu instid0(VALU_DEP_2) | instskip(NEXT) | instid1(VALU_DEP_1)
	v_clz_i32_u32_e32 v28, v20
	v_min_u32_e32 v28, 32, v28
	s_delay_alu instid0(VALU_DEP_1) | instskip(SKIP_1) | instid1(VALU_DEP_2)
	v_subrev_nc_u32_e32 v29, 28, v28
	v_sub_nc_u32_e32 v28, 29, v28
	v_lshlrev_b64_e32 v[92:93], v29, v[20:21]
	s_delay_alu instid0(VALU_DEP_1)
	v_and_b32_e32 v20, 7, v92
; %bb.909:                              ;   in Loop: Header=BB345_525 Depth=1
	s_or_b32 exec_lo, exec_lo, s24
	v_lshlrev_b32_e32 v29, 16, v0
	s_delay_alu instid0(VALU_DEP_2) | instskip(SKIP_1) | instid1(VALU_DEP_3)
	v_lshlrev_b32_e32 v20, 20, v20
	v_lshl_add_u32 v28, v28, 23, 0x3c000000
	v_and_b32_e32 v29, 0x80000000, v29
	s_delay_alu instid0(VALU_DEP_1)
	v_or3_b32 v95, v20, v29, v28
.LBB345_910:                            ;   in Loop: Header=BB345_525 Depth=1
	s_or_b32 exec_lo, exec_lo, s23
.LBB345_911:                            ;   in Loop: Header=BB345_525 Depth=1
	s_delay_alu instid0(SALU_CYCLE_1)
	s_or_b32 exec_lo, exec_lo, s22
.LBB345_912:                            ;   in Loop: Header=BB345_525 Depth=1
	s_delay_alu instid0(SALU_CYCLE_1) | instskip(SKIP_3) | instid1(VALU_DEP_2)
	s_or_b32 exec_lo, exec_lo, s21
	v_dual_mov_b32 v93, 0 :: v_dual_lshrrev_b32 v28, 16, v0
	v_mov_b32_e32 v94, 0
	s_mov_b32 s21, exec_lo
	v_and_b32_e32 v20, 0xff, v28
	s_delay_alu instid0(VALU_DEP_1)
	v_cmpx_ne_u16_e32 0, v20
	s_cbranch_execz .LBB345_920
; %bb.913:                              ;   in Loop: Header=BB345_525 Depth=1
	v_bfrev_b32_e32 v94, 1
	s_mov_b32 s22, exec_lo
	v_cmpx_ne_u16_e32 0x80, v20
	s_cbranch_execz .LBB345_919
; %bb.914:                              ;   in Loop: Header=BB345_525 Depth=1
	v_bfe_u32 v91, v0, 16, 7
	v_mov_b32_e32 v94, 0x7f800001
	s_mov_b32 s23, exec_lo
	s_delay_alu instid0(VALU_DEP_2)
	v_cmpx_ne_u32_e32 0x7f, v91
	s_cbranch_execz .LBB345_918
; %bb.915:                              ;   in Loop: Header=BB345_525 Depth=1
	v_dual_lshrrev_b32 v29, 3, v91 :: v_dual_bitop2_b32 v20, 7, v28 bitop3:0x40
	s_mov_b32 s24, exec_lo
	v_cmpx_gt_u32_e32 8, v91
; %bb.916:                              ;   in Loop: Header=BB345_525 Depth=1
	s_delay_alu instid0(VALU_DEP_2) | instskip(NEXT) | instid1(VALU_DEP_1)
	v_clz_i32_u32_e32 v29, v20
	v_min_u32_e32 v29, 32, v29
	s_delay_alu instid0(VALU_DEP_1) | instskip(NEXT) | instid1(VALU_DEP_1)
	v_subrev_nc_u32_e32 v91, 28, v29
	v_lshlrev_b64_e32 v[98:99], v91, v[20:21]
	s_delay_alu instid0(VALU_DEP_1)
	v_dual_sub_nc_u32 v29, 29, v29 :: v_dual_bitop2_b32 v20, 7, v98 bitop3:0x40
; %bb.917:                              ;   in Loop: Header=BB345_525 Depth=1
	s_or_b32 exec_lo, exec_lo, s24
	v_lshlrev_b32_e32 v28, 24, v28
	s_delay_alu instid0(VALU_DEP_2) | instskip(NEXT) | instid1(VALU_DEP_3)
	v_lshlrev_b32_e32 v20, 20, v20
	v_lshl_add_u32 v29, v29, 23, 0x3c000000
	s_delay_alu instid0(VALU_DEP_3) | instskip(NEXT) | instid1(VALU_DEP_1)
	v_and_b32_e32 v28, 0x80000000, v28
	v_or3_b32 v94, v20, v28, v29
.LBB345_918:                            ;   in Loop: Header=BB345_525 Depth=1
	s_or_b32 exec_lo, exec_lo, s23
.LBB345_919:                            ;   in Loop: Header=BB345_525 Depth=1
	s_delay_alu instid0(SALU_CYCLE_1)
	s_or_b32 exec_lo, exec_lo, s22
.LBB345_920:                            ;   in Loop: Header=BB345_525 Depth=1
	s_delay_alu instid0(SALU_CYCLE_1) | instskip(NEXT) | instid1(SALU_CYCLE_1)
	s_or_b32 exec_lo, exec_lo, s21
	s_mov_b32 s21, exec_lo
	v_cmpx_lt_u32_e32 0xffffff, v0
	s_cbranch_execz .LBB345_928
; %bb.921:                              ;   in Loop: Header=BB345_525 Depth=1
	v_lshrrev_b32_e32 v28, 24, v0
	v_bfrev_b32_e32 v93, 1
	s_mov_b32 s22, exec_lo
	s_delay_alu instid0(VALU_DEP_2)
	v_cmpx_ne_u32_e32 0x80, v28
	s_cbranch_execz .LBB345_927
; %bb.922:                              ;   in Loop: Header=BB345_525 Depth=1
	v_bfe_u32 v91, v0, 24, 7
	v_mov_b32_e32 v93, 0x7f800001
	s_mov_b32 s23, exec_lo
	s_delay_alu instid0(VALU_DEP_2)
	v_cmpx_ne_u32_e32 0x7f, v91
	s_cbranch_execz .LBB345_926
; %bb.923:                              ;   in Loop: Header=BB345_525 Depth=1
	v_dual_lshrrev_b32 v29, 3, v91 :: v_dual_bitop2_b32 v20, 7, v28 bitop3:0x40
	s_mov_b32 s24, exec_lo
	v_cmpx_gt_u32_e32 8, v91
; %bb.924:                              ;   in Loop: Header=BB345_525 Depth=1
	s_delay_alu instid0(VALU_DEP_2) | instskip(NEXT) | instid1(VALU_DEP_1)
	v_clz_i32_u32_e32 v29, v20
	v_min_u32_e32 v29, 32, v29
	s_delay_alu instid0(VALU_DEP_1) | instskip(NEXT) | instid1(VALU_DEP_1)
	v_subrev_nc_u32_e32 v91, 28, v29
	v_lshlrev_b64_e32 v[92:93], v91, v[20:21]
	s_delay_alu instid0(VALU_DEP_1)
	v_dual_sub_nc_u32 v29, 29, v29 :: v_dual_bitop2_b32 v20, 7, v92 bitop3:0x40
; %bb.925:                              ;   in Loop: Header=BB345_525 Depth=1
	s_or_b32 exec_lo, exec_lo, s24
	v_lshlrev_b32_e32 v28, 24, v28
	s_delay_alu instid0(VALU_DEP_2) | instskip(NEXT) | instid1(VALU_DEP_3)
	v_lshlrev_b32_e32 v20, 20, v20
	v_lshl_add_u32 v29, v29, 23, 0x3c000000
	s_delay_alu instid0(VALU_DEP_3) | instskip(NEXT) | instid1(VALU_DEP_1)
	v_and_b32_e32 v28, 0x80000000, v28
	v_or3_b32 v93, v20, v28, v29
.LBB345_926:                            ;   in Loop: Header=BB345_525 Depth=1
	s_or_b32 exec_lo, exec_lo, s23
.LBB345_927:                            ;   in Loop: Header=BB345_525 Depth=1
	s_delay_alu instid0(SALU_CYCLE_1)
	s_or_b32 exec_lo, exec_lo, s22
.LBB345_928:                            ;   in Loop: Header=BB345_525 Depth=1
	s_delay_alu instid0(SALU_CYCLE_1) | instskip(SKIP_4) | instid1(VALU_DEP_3)
	s_or_b32 exec_lo, exec_lo, s21
	v_and_b32_e32 v29, 0xff, v1
	v_dual_mov_b32 v20, v1 :: v_dual_mov_b32 v28, 0
	v_mov_b32_e32 v92, 0
	s_mov_b32 s21, exec_lo
	v_cmpx_ne_u16_e32 0, v29
	s_cbranch_execz .LBB345_934
; %bb.929:                              ;   in Loop: Header=BB345_525 Depth=1
	v_bfrev_b32_e32 v92, 1
	s_mov_b32 s22, exec_lo
	v_cmpx_ne_u16_e32 0x80, v29
	s_cbranch_execz .LBB345_933
; %bb.930:                              ;   in Loop: Header=BB345_525 Depth=1
	v_and_b32_e32 v29, 0x7f, v1
	v_mov_b32_e32 v92, 0x7f800001
	s_mov_b32 s23, exec_lo
	s_delay_alu instid0(VALU_DEP_2)
	v_cmpx_ne_u32_e32 0x7f, v29
	s_cbranch_execz .LBB345_932
; %bb.931:                              ;   in Loop: Header=BB345_525 Depth=1
	v_and_b32_e32 v91, 7, v1
	v_cmp_gt_u32_e64 s0, 8, v29
	s_delay_alu instid0(VALU_DEP_2) | instskip(NEXT) | instid1(VALU_DEP_1)
	v_clz_i32_u32_e32 v91, v91
	v_min_u32_e32 v91, 32, v91
	v_lshrrev_b32_e32 v92, 3, v29
	s_delay_alu instid0(VALU_DEP_2) | instskip(SKIP_1) | instid1(VALU_DEP_1)
	v_subrev_nc_u32_e32 v97, 28, v91
	v_sub_nc_u32_e32 v91, 29, v91
	v_dual_cndmask_b32 v29, v92, v91, s0 :: v_dual_cndmask_b32 v91, 0, v97, s0
	s_delay_alu instid0(VALU_DEP_1) | instskip(NEXT) | instid1(VALU_DEP_2)
	v_lshl_add_u32 v29, v29, 23, 0x3c000000
	v_lshlrev_b64_e32 v[98:99], v91, v[20:21]
	v_lshlrev_b32_e32 v91, 24, v20
	s_delay_alu instid0(VALU_DEP_1) | instskip(NEXT) | instid1(VALU_DEP_3)
	v_and_b32_e32 v91, 0x80000000, v91
	v_lshlrev_b32_e32 v92, 20, v98
	s_delay_alu instid0(VALU_DEP_1) | instskip(NEXT) | instid1(VALU_DEP_1)
	v_and_b32_e32 v92, 0x700000, v92
	v_or3_b32 v92, v92, v91, v29
.LBB345_932:                            ;   in Loop: Header=BB345_525 Depth=1
	s_or_b32 exec_lo, exec_lo, s23
.LBB345_933:                            ;   in Loop: Header=BB345_525 Depth=1
	s_delay_alu instid0(SALU_CYCLE_1)
	s_or_b32 exec_lo, exec_lo, s22
.LBB345_934:                            ;   in Loop: Header=BB345_525 Depth=1
	s_delay_alu instid0(SALU_CYCLE_1) | instskip(SKIP_2) | instid1(VALU_DEP_1)
	s_or_b32 exec_lo, exec_lo, s21
	v_lshrrev_b16 v29, 8, v20
	s_mov_b32 s21, exec_lo
	v_cmpx_ne_u16_e32 0, v29
	s_cbranch_execz .LBB345_942
; %bb.935:                              ;   in Loop: Header=BB345_525 Depth=1
	v_bfrev_b32_e32 v28, 1
	s_mov_b32 s22, exec_lo
	v_cmpx_ne_u16_e32 0x80, v29
	s_cbranch_execz .LBB345_941
; %bb.936:                              ;   in Loop: Header=BB345_525 Depth=1
	v_and_b32_e32 v29, 0xffff, v29
	v_mov_b32_e32 v28, 0x7f800001
	s_mov_b32 s23, exec_lo
	s_delay_alu instid0(VALU_DEP_2) | instskip(NEXT) | instid1(VALU_DEP_1)
	v_and_b32_e32 v97, 0x7f, v29
	v_cmpx_ne_u32_e32 0x7f, v97
	s_cbranch_execz .LBB345_940
; %bb.937:                              ;   in Loop: Header=BB345_525 Depth=1
	v_dual_mov_b32 v29, v21 :: v_dual_bitop2_b32 v28, 7, v29 bitop3:0x40
	v_lshrrev_b32_e32 v91, 3, v97
	s_mov_b32 s24, exec_lo
	v_cmpx_gt_u32_e32 8, v97
; %bb.938:                              ;   in Loop: Header=BB345_525 Depth=1
	s_delay_alu instid0(VALU_DEP_3) | instskip(NEXT) | instid1(VALU_DEP_1)
	v_clz_i32_u32_e32 v91, v28
	v_min_u32_e32 v91, 32, v91
	s_delay_alu instid0(VALU_DEP_1) | instskip(NEXT) | instid1(VALU_DEP_1)
	v_subrev_nc_u32_e32 v97, 28, v91
	v_lshlrev_b64_e32 v[28:29], v97, v[28:29]
	s_delay_alu instid0(VALU_DEP_1)
	v_dual_sub_nc_u32 v91, 29, v91 :: v_dual_bitop2_b32 v28, 7, v28 bitop3:0x40
; %bb.939:                              ;   in Loop: Header=BB345_525 Depth=1
	s_or_b32 exec_lo, exec_lo, s24
	v_lshlrev_b32_e32 v20, 16, v20
	s_delay_alu instid0(VALU_DEP_2) | instskip(NEXT) | instid1(VALU_DEP_3)
	v_lshlrev_b32_e32 v28, 20, v28
	v_lshl_add_u32 v29, v91, 23, 0x3c000000
	s_delay_alu instid0(VALU_DEP_3) | instskip(NEXT) | instid1(VALU_DEP_1)
	v_and_b32_e32 v20, 0x80000000, v20
	v_or3_b32 v28, v28, v20, v29
.LBB345_940:                            ;   in Loop: Header=BB345_525 Depth=1
	s_or_b32 exec_lo, exec_lo, s23
.LBB345_941:                            ;   in Loop: Header=BB345_525 Depth=1
	s_delay_alu instid0(SALU_CYCLE_1)
	s_or_b32 exec_lo, exec_lo, s22
.LBB345_942:                            ;   in Loop: Header=BB345_525 Depth=1
	s_delay_alu instid0(SALU_CYCLE_1) | instskip(SKIP_3) | instid1(VALU_DEP_2)
	s_or_b32 exec_lo, exec_lo, s21
	v_dual_lshrrev_b32 v91, 16, v1 :: v_dual_mov_b32 v29, 0
	v_mov_b32_e32 v97, 0
	s_mov_b32 s21, exec_lo
	v_and_b32_e32 v20, 0xff, v91
	s_delay_alu instid0(VALU_DEP_1)
	v_cmpx_ne_u16_e32 0, v20
	s_cbranch_execz .LBB345_950
; %bb.943:                              ;   in Loop: Header=BB345_525 Depth=1
	v_bfrev_b32_e32 v97, 1
	s_mov_b32 s22, exec_lo
	v_cmpx_ne_u16_e32 0x80, v20
	s_cbranch_execz .LBB345_949
; %bb.944:                              ;   in Loop: Header=BB345_525 Depth=1
	v_bfe_u32 v98, v1, 16, 7
	v_mov_b32_e32 v97, 0x7f800001
	s_mov_b32 s23, exec_lo
	s_delay_alu instid0(VALU_DEP_2)
	v_cmpx_ne_u32_e32 0x7f, v98
	s_cbranch_execz .LBB345_948
; %bb.945:                              ;   in Loop: Header=BB345_525 Depth=1
	v_dual_lshrrev_b32 v97, 3, v98 :: v_dual_bitop2_b32 v20, 7, v91 bitop3:0x40
	s_mov_b32 s24, exec_lo
	v_cmpx_gt_u32_e32 8, v98
; %bb.946:                              ;   in Loop: Header=BB345_525 Depth=1
	s_delay_alu instid0(VALU_DEP_2) | instskip(NEXT) | instid1(VALU_DEP_1)
	v_clz_i32_u32_e32 v97, v20
	v_min_u32_e32 v97, 32, v97
	s_delay_alu instid0(VALU_DEP_1) | instskip(NEXT) | instid1(VALU_DEP_1)
	v_subrev_nc_u32_e32 v98, 28, v97
	v_lshlrev_b64_e32 v[98:99], v98, v[20:21]
	s_delay_alu instid0(VALU_DEP_1)
	v_dual_sub_nc_u32 v97, 29, v97 :: v_dual_bitop2_b32 v20, 7, v98 bitop3:0x40
; %bb.947:                              ;   in Loop: Header=BB345_525 Depth=1
	s_or_b32 exec_lo, exec_lo, s24
	s_delay_alu instid0(VALU_DEP_1) | instskip(NEXT) | instid1(VALU_DEP_2)
	v_dual_lshlrev_b32 v91, 24, v91 :: v_dual_lshlrev_b32 v20, 20, v20
	v_lshl_add_u32 v97, v97, 23, 0x3c000000
	s_delay_alu instid0(VALU_DEP_2) | instskip(NEXT) | instid1(VALU_DEP_1)
	v_and_b32_e32 v91, 0x80000000, v91
	v_or3_b32 v97, v20, v91, v97
.LBB345_948:                            ;   in Loop: Header=BB345_525 Depth=1
	s_or_b32 exec_lo, exec_lo, s23
.LBB345_949:                            ;   in Loop: Header=BB345_525 Depth=1
	s_delay_alu instid0(SALU_CYCLE_1)
	s_or_b32 exec_lo, exec_lo, s22
.LBB345_950:                            ;   in Loop: Header=BB345_525 Depth=1
	s_delay_alu instid0(SALU_CYCLE_1) | instskip(NEXT) | instid1(SALU_CYCLE_1)
	s_or_b32 exec_lo, exec_lo, s21
	s_mov_b32 s21, exec_lo
	v_cmpx_lt_u64_e64 s[2:3], v[0:1]
	s_cbranch_execz .LBB345_958
; %bb.951:                              ;   in Loop: Header=BB345_525 Depth=1
	v_lshrrev_b32_e32 v0, 24, v1
	v_bfrev_b32_e32 v29, 1
	s_mov_b32 s22, exec_lo
	s_delay_alu instid0(VALU_DEP_2)
	v_cmpx_ne_u32_e32 0x80, v0
	s_cbranch_execz .LBB345_957
; %bb.952:                              ;   in Loop: Header=BB345_525 Depth=1
	v_bfe_u32 v91, v1, 24, 7
	v_mov_b32_e32 v29, 0x7f800001
	s_mov_b32 s23, exec_lo
	s_delay_alu instid0(VALU_DEP_2)
	v_cmpx_ne_u32_e32 0x7f, v91
	s_cbranch_execz .LBB345_956
; %bb.953:                              ;   in Loop: Header=BB345_525 Depth=1
	v_dual_lshrrev_b32 v1, 3, v91 :: v_dual_bitop2_b32 v20, 7, v0 bitop3:0x40
	s_mov_b32 s24, exec_lo
	v_cmpx_gt_u32_e32 8, v91
; %bb.954:                              ;   in Loop: Header=BB345_525 Depth=1
	s_delay_alu instid0(VALU_DEP_2) | instskip(NEXT) | instid1(VALU_DEP_1)
	v_clz_i32_u32_e32 v1, v20
	v_min_u32_e32 v1, 32, v1
	s_delay_alu instid0(VALU_DEP_1) | instskip(NEXT) | instid1(VALU_DEP_1)
	v_subrev_nc_u32_e32 v29, 28, v1
	v_lshlrev_b64_e32 v[98:99], v29, v[20:21]
	s_delay_alu instid0(VALU_DEP_1)
	v_dual_sub_nc_u32 v1, 29, v1 :: v_dual_bitop2_b32 v20, 7, v98 bitop3:0x40
; %bb.955:                              ;   in Loop: Header=BB345_525 Depth=1
	s_or_b32 exec_lo, exec_lo, s24
	v_lshlrev_b32_e32 v0, 24, v0
	s_delay_alu instid0(VALU_DEP_2) | instskip(NEXT) | instid1(VALU_DEP_3)
	v_lshlrev_b32_e32 v20, 20, v20
	v_lshl_add_u32 v1, v1, 23, 0x3c000000
	s_delay_alu instid0(VALU_DEP_3) | instskip(NEXT) | instid1(VALU_DEP_1)
	v_and_b32_e32 v0, 0x80000000, v0
	v_or3_b32 v29, v20, v0, v1
.LBB345_956:                            ;   in Loop: Header=BB345_525 Depth=1
	s_or_b32 exec_lo, exec_lo, s23
.LBB345_957:                            ;   in Loop: Header=BB345_525 Depth=1
	s_delay_alu instid0(SALU_CYCLE_1)
	s_or_b32 exec_lo, exec_lo, s22
.LBB345_958:                            ;   in Loop: Header=BB345_525 Depth=1
	s_delay_alu instid0(SALU_CYCLE_1)
	s_or_b32 exec_lo, exec_lo, s21
	v_fma_mixlo_bf16 v91, s20, v28, 0
	v_fma_mixlo_bf16 v92, s20, v92, 0
	;; [unrolled: 1-line block ×8, first 2 shown]
	s_and_saveexec_b32 s21, vcc_lo
	s_cbranch_execz .LBB345_960
; %bb.959:                              ;   in Loop: Header=BB345_525 Depth=1
	v_cmp_gt_i32_e64 s0, s34, v43
	s_delay_alu instid0(VALU_DEP_1) | instskip(SKIP_1) | instid1(VALU_DEP_1)
	v_cndmask_b32_e64 v96, 0, v96, s0
	v_cmp_gt_i32_e64 s0, s34, v50
	v_cndmask_b32_e64 v95, 0, v95, s0
	v_cmp_gt_i32_e64 s0, s34, v49
	s_delay_alu instid0(VALU_DEP_1) | instskip(SKIP_1) | instid1(VALU_DEP_1)
	v_cndmask_b32_e64 v94, 0, v94, s0
	v_cmp_gt_i32_e64 s0, s34, v48
	v_cndmask_b32_e64 v93, 0, v93, s0
	;; [unrolled: 5-line block ×4, first 2 shown]
.LBB345_960:                            ;   in Loop: Header=BB345_525 Depth=1
	s_or_b32 exec_lo, exec_lo, s21
	global_load_b64 v[0:1], v[26:27], off offset:1792
	v_dual_mov_b32 v98, 0 :: v_dual_mov_b32 v97, 0
	s_mov_b32 s21, exec_lo
	s_wait_loadcnt 0x0
	v_and_b32_e32 v20, 0xff, v0
	s_delay_alu instid0(VALU_DEP_1)
	v_cmpx_ne_u16_e32 0, v20
	s_cbranch_execz .LBB345_966
; %bb.961:                              ;   in Loop: Header=BB345_525 Depth=1
	v_bfrev_b32_e32 v97, 1
	s_mov_b32 s22, exec_lo
	v_cmpx_ne_u16_e32 0x80, v20
	s_cbranch_execz .LBB345_965
; %bb.962:                              ;   in Loop: Header=BB345_525 Depth=1
	v_and_b32_e32 v20, 0x7f, v0
	v_mov_b32_e32 v97, 0x7f800001
	s_mov_b32 s23, exec_lo
	s_delay_alu instid0(VALU_DEP_2)
	v_cmpx_ne_u32_e32 0x7f, v20
	s_cbranch_execz .LBB345_964
; %bb.963:                              ;   in Loop: Header=BB345_525 Depth=1
	v_and_b32_e32 v26, 7, v0
	v_cmp_gt_u32_e64 s0, 8, v20
	s_delay_alu instid0(VALU_DEP_2) | instskip(NEXT) | instid1(VALU_DEP_1)
	v_clz_i32_u32_e32 v26, v26
	v_min_u32_e32 v26, 32, v26
	v_lshrrev_b32_e32 v27, 3, v20
	s_delay_alu instid0(VALU_DEP_2) | instskip(SKIP_1) | instid1(VALU_DEP_1)
	v_subrev_nc_u32_e32 v97, 28, v26
	v_sub_nc_u32_e32 v26, 29, v26
	v_dual_cndmask_b32 v20, v27, v26, s0 :: v_dual_cndmask_b32 v26, 0, v97, s0
	s_delay_alu instid0(VALU_DEP_1) | instskip(NEXT) | instid1(VALU_DEP_2)
	v_lshl_add_u32 v20, v20, 23, 0x3c000000
	v_lshlrev_b64_e32 v[26:27], v26, v[0:1]
	v_lshlrev_b32_e32 v27, 24, v0
	s_delay_alu instid0(VALU_DEP_1) | instskip(NEXT) | instid1(VALU_DEP_3)
	v_and_b32_e32 v27, 0x80000000, v27
	v_lshlrev_b32_e32 v26, 20, v26
	s_delay_alu instid0(VALU_DEP_1) | instskip(NEXT) | instid1(VALU_DEP_1)
	v_and_b32_e32 v26, 0x700000, v26
	v_or3_b32 v97, v26, v27, v20
.LBB345_964:                            ;   in Loop: Header=BB345_525 Depth=1
	s_or_b32 exec_lo, exec_lo, s23
.LBB345_965:                            ;   in Loop: Header=BB345_525 Depth=1
	s_delay_alu instid0(SALU_CYCLE_1)
	s_or_b32 exec_lo, exec_lo, s22
.LBB345_966:                            ;   in Loop: Header=BB345_525 Depth=1
	s_delay_alu instid0(SALU_CYCLE_1) | instskip(SKIP_2) | instid1(VALU_DEP_1)
	s_or_b32 exec_lo, exec_lo, s21
	v_lshrrev_b16 v20, 8, v0
	s_mov_b32 s21, exec_lo
	v_cmpx_ne_u16_e32 0, v20
	s_cbranch_execz .LBB345_974
; %bb.967:                              ;   in Loop: Header=BB345_525 Depth=1
	v_bfrev_b32_e32 v98, 1
	s_mov_b32 s22, exec_lo
	v_cmpx_ne_u16_e32 0x80, v20
	s_cbranch_execz .LBB345_973
; %bb.968:                              ;   in Loop: Header=BB345_525 Depth=1
	v_and_b32_e32 v20, 0xffff, v20
	v_mov_b32_e32 v98, 0x7f800001
	s_mov_b32 s23, exec_lo
	s_delay_alu instid0(VALU_DEP_2) | instskip(NEXT) | instid1(VALU_DEP_1)
	v_and_b32_e32 v27, 0x7f, v20
	v_cmpx_ne_u32_e32 0x7f, v27
	s_cbranch_execz .LBB345_972
; %bb.969:                              ;   in Loop: Header=BB345_525 Depth=1
	v_dual_lshrrev_b32 v26, 3, v27 :: v_dual_bitop2_b32 v20, 7, v20 bitop3:0x40
	s_mov_b32 s24, exec_lo
	v_cmpx_gt_u32_e32 8, v27
; %bb.970:                              ;   in Loop: Header=BB345_525 Depth=1
	s_delay_alu instid0(VALU_DEP_2) | instskip(NEXT) | instid1(VALU_DEP_1)
	v_clz_i32_u32_e32 v26, v20
	v_min_u32_e32 v26, 32, v26
	s_delay_alu instid0(VALU_DEP_1) | instskip(SKIP_1) | instid1(VALU_DEP_2)
	v_subrev_nc_u32_e32 v27, 28, v26
	v_sub_nc_u32_e32 v26, 29, v26
	v_lshlrev_b64_e32 v[98:99], v27, v[20:21]
	s_delay_alu instid0(VALU_DEP_1)
	v_and_b32_e32 v20, 7, v98
; %bb.971:                              ;   in Loop: Header=BB345_525 Depth=1
	s_or_b32 exec_lo, exec_lo, s24
	v_lshlrev_b32_e32 v27, 16, v0
	s_delay_alu instid0(VALU_DEP_2) | instskip(SKIP_1) | instid1(VALU_DEP_3)
	v_lshlrev_b32_e32 v20, 20, v20
	v_lshl_add_u32 v26, v26, 23, 0x3c000000
	v_and_b32_e32 v27, 0x80000000, v27
	s_delay_alu instid0(VALU_DEP_1)
	v_or3_b32 v98, v20, v27, v26
.LBB345_972:                            ;   in Loop: Header=BB345_525 Depth=1
	s_or_b32 exec_lo, exec_lo, s23
.LBB345_973:                            ;   in Loop: Header=BB345_525 Depth=1
	s_delay_alu instid0(SALU_CYCLE_1)
	s_or_b32 exec_lo, exec_lo, s22
.LBB345_974:                            ;   in Loop: Header=BB345_525 Depth=1
	s_delay_alu instid0(SALU_CYCLE_1) | instskip(SKIP_3) | instid1(VALU_DEP_2)
	s_or_b32 exec_lo, exec_lo, s21
	v_dual_lshrrev_b32 v26, 16, v0 :: v_dual_mov_b32 v100, 0
	v_mov_b32_e32 v99, 0
	s_mov_b32 s21, exec_lo
	v_and_b32_e32 v20, 0xff, v26
	s_delay_alu instid0(VALU_DEP_1)
	v_cmpx_ne_u16_e32 0, v20
	s_cbranch_execz .LBB345_982
; %bb.975:                              ;   in Loop: Header=BB345_525 Depth=1
	v_bfrev_b32_e32 v99, 1
	s_mov_b32 s22, exec_lo
	v_cmpx_ne_u16_e32 0x80, v20
	s_cbranch_execz .LBB345_981
; %bb.976:                              ;   in Loop: Header=BB345_525 Depth=1
	v_bfe_u32 v101, v0, 16, 7
	v_mov_b32_e32 v99, 0x7f800001
	s_mov_b32 s23, exec_lo
	s_delay_alu instid0(VALU_DEP_2)
	v_cmpx_ne_u32_e32 0x7f, v101
	s_cbranch_execz .LBB345_980
; %bb.977:                              ;   in Loop: Header=BB345_525 Depth=1
	v_dual_lshrrev_b32 v27, 3, v101 :: v_dual_bitop2_b32 v20, 7, v26 bitop3:0x40
	s_mov_b32 s24, exec_lo
	v_cmpx_gt_u32_e32 8, v101
; %bb.978:                              ;   in Loop: Header=BB345_525 Depth=1
	s_delay_alu instid0(VALU_DEP_2) | instskip(NEXT) | instid1(VALU_DEP_1)
	v_clz_i32_u32_e32 v27, v20
	v_min_u32_e32 v27, 32, v27
	s_delay_alu instid0(VALU_DEP_1) | instskip(NEXT) | instid1(VALU_DEP_1)
	v_subrev_nc_u32_e32 v99, 28, v27
	v_lshlrev_b64_e32 v[102:103], v99, v[20:21]
	s_delay_alu instid0(VALU_DEP_1)
	v_dual_sub_nc_u32 v27, 29, v27 :: v_dual_bitop2_b32 v20, 7, v102 bitop3:0x40
; %bb.979:                              ;   in Loop: Header=BB345_525 Depth=1
	s_or_b32 exec_lo, exec_lo, s24
	s_delay_alu instid0(VALU_DEP_1) | instskip(NEXT) | instid1(VALU_DEP_2)
	v_dual_lshlrev_b32 v26, 24, v26 :: v_dual_lshlrev_b32 v20, 20, v20
	v_lshl_add_u32 v27, v27, 23, 0x3c000000
	s_delay_alu instid0(VALU_DEP_2) | instskip(NEXT) | instid1(VALU_DEP_1)
	v_and_b32_e32 v26, 0x80000000, v26
	v_or3_b32 v99, v20, v26, v27
.LBB345_980:                            ;   in Loop: Header=BB345_525 Depth=1
	s_or_b32 exec_lo, exec_lo, s23
.LBB345_981:                            ;   in Loop: Header=BB345_525 Depth=1
	s_delay_alu instid0(SALU_CYCLE_1)
	s_or_b32 exec_lo, exec_lo, s22
.LBB345_982:                            ;   in Loop: Header=BB345_525 Depth=1
	s_delay_alu instid0(SALU_CYCLE_1) | instskip(NEXT) | instid1(SALU_CYCLE_1)
	s_or_b32 exec_lo, exec_lo, s21
	s_mov_b32 s21, exec_lo
	v_cmpx_lt_u32_e32 0xffffff, v0
	s_cbranch_execz .LBB345_990
; %bb.983:                              ;   in Loop: Header=BB345_525 Depth=1
	v_lshrrev_b32_e32 v26, 24, v0
	v_bfrev_b32_e32 v100, 1
	s_mov_b32 s22, exec_lo
	s_delay_alu instid0(VALU_DEP_2)
	v_cmpx_ne_u32_e32 0x80, v26
	s_cbranch_execz .LBB345_989
; %bb.984:                              ;   in Loop: Header=BB345_525 Depth=1
	v_bfe_u32 v101, v0, 24, 7
	v_mov_b32_e32 v100, 0x7f800001
	s_mov_b32 s23, exec_lo
	s_delay_alu instid0(VALU_DEP_2)
	v_cmpx_ne_u32_e32 0x7f, v101
	s_cbranch_execz .LBB345_988
; %bb.985:                              ;   in Loop: Header=BB345_525 Depth=1
	v_dual_lshrrev_b32 v27, 3, v101 :: v_dual_bitop2_b32 v20, 7, v26 bitop3:0x40
	s_mov_b32 s24, exec_lo
	v_cmpx_gt_u32_e32 8, v101
; %bb.986:                              ;   in Loop: Header=BB345_525 Depth=1
	s_delay_alu instid0(VALU_DEP_2) | instskip(NEXT) | instid1(VALU_DEP_1)
	v_clz_i32_u32_e32 v27, v20
	v_min_u32_e32 v27, 32, v27
	s_delay_alu instid0(VALU_DEP_1) | instskip(NEXT) | instid1(VALU_DEP_1)
	v_subrev_nc_u32_e32 v100, 28, v27
	v_lshlrev_b64_e32 v[100:101], v100, v[20:21]
	s_delay_alu instid0(VALU_DEP_1)
	v_dual_sub_nc_u32 v27, 29, v27 :: v_dual_bitop2_b32 v20, 7, v100 bitop3:0x40
; %bb.987:                              ;   in Loop: Header=BB345_525 Depth=1
	s_or_b32 exec_lo, exec_lo, s24
	s_delay_alu instid0(VALU_DEP_1) | instskip(NEXT) | instid1(VALU_DEP_2)
	v_dual_lshlrev_b32 v26, 24, v26 :: v_dual_lshlrev_b32 v20, 20, v20
	v_lshl_add_u32 v27, v27, 23, 0x3c000000
	s_delay_alu instid0(VALU_DEP_2) | instskip(NEXT) | instid1(VALU_DEP_1)
	v_and_b32_e32 v26, 0x80000000, v26
	v_or3_b32 v100, v20, v26, v27
.LBB345_988:                            ;   in Loop: Header=BB345_525 Depth=1
	s_or_b32 exec_lo, exec_lo, s23
.LBB345_989:                            ;   in Loop: Header=BB345_525 Depth=1
	s_delay_alu instid0(SALU_CYCLE_1)
	s_or_b32 exec_lo, exec_lo, s22
.LBB345_990:                            ;   in Loop: Header=BB345_525 Depth=1
	s_delay_alu instid0(SALU_CYCLE_1) | instskip(SKIP_4) | instid1(VALU_DEP_3)
	s_or_b32 exec_lo, exec_lo, s21
	v_and_b32_e32 v27, 0xff, v1
	v_dual_mov_b32 v20, v1 :: v_dual_mov_b32 v26, 0
	v_mov_b32_e32 v101, 0
	s_mov_b32 s21, exec_lo
	v_cmpx_ne_u16_e32 0, v27
	s_cbranch_execz .LBB345_996
; %bb.991:                              ;   in Loop: Header=BB345_525 Depth=1
	v_bfrev_b32_e32 v101, 1
	s_mov_b32 s22, exec_lo
	v_cmpx_ne_u16_e32 0x80, v27
	s_cbranch_execz .LBB345_995
; %bb.992:                              ;   in Loop: Header=BB345_525 Depth=1
	v_and_b32_e32 v27, 0x7f, v1
	v_mov_b32_e32 v101, 0x7f800001
	s_mov_b32 s23, exec_lo
	s_delay_alu instid0(VALU_DEP_2)
	v_cmpx_ne_u32_e32 0x7f, v27
	s_cbranch_execz .LBB345_994
; %bb.993:                              ;   in Loop: Header=BB345_525 Depth=1
	v_dual_lshrrev_b32 v102, 3, v27 :: v_dual_bitop2_b32 v101, 7, v1 bitop3:0x40
	v_cmp_gt_u32_e64 s0, 8, v27
	s_delay_alu instid0(VALU_DEP_2) | instskip(NEXT) | instid1(VALU_DEP_1)
	v_clz_i32_u32_e32 v101, v101
	v_min_u32_e32 v101, 32, v101
	s_delay_alu instid0(VALU_DEP_1) | instskip(SKIP_1) | instid1(VALU_DEP_1)
	v_subrev_nc_u32_e32 v103, 28, v101
	v_sub_nc_u32_e32 v101, 29, v101
	v_dual_cndmask_b32 v27, v102, v101, s0 :: v_dual_cndmask_b32 v101, 0, v103, s0
	s_delay_alu instid0(VALU_DEP_1) | instskip(NEXT) | instid1(VALU_DEP_2)
	v_lshl_add_u32 v27, v27, 23, 0x3c000000
	v_lshlrev_b64_e32 v[102:103], v101, v[20:21]
	v_lshlrev_b32_e32 v101, 24, v20
	s_delay_alu instid0(VALU_DEP_1) | instskip(NEXT) | instid1(VALU_DEP_3)
	v_and_b32_e32 v101, 0x80000000, v101
	v_lshlrev_b32_e32 v102, 20, v102
	s_delay_alu instid0(VALU_DEP_1) | instskip(NEXT) | instid1(VALU_DEP_1)
	v_and_b32_e32 v102, 0x700000, v102
	v_or3_b32 v101, v102, v101, v27
.LBB345_994:                            ;   in Loop: Header=BB345_525 Depth=1
	s_or_b32 exec_lo, exec_lo, s23
.LBB345_995:                            ;   in Loop: Header=BB345_525 Depth=1
	s_delay_alu instid0(SALU_CYCLE_1)
	s_or_b32 exec_lo, exec_lo, s22
.LBB345_996:                            ;   in Loop: Header=BB345_525 Depth=1
	s_delay_alu instid0(SALU_CYCLE_1) | instskip(SKIP_2) | instid1(VALU_DEP_1)
	s_or_b32 exec_lo, exec_lo, s21
	v_lshrrev_b16 v27, 8, v20
	s_mov_b32 s21, exec_lo
	v_cmpx_ne_u16_e32 0, v27
	s_cbranch_execz .LBB345_1004
; %bb.997:                              ;   in Loop: Header=BB345_525 Depth=1
	v_bfrev_b32_e32 v26, 1
	s_mov_b32 s22, exec_lo
	v_cmpx_ne_u16_e32 0x80, v27
	s_cbranch_execz .LBB345_1003
; %bb.998:                              ;   in Loop: Header=BB345_525 Depth=1
	v_and_b32_e32 v27, 0xffff, v27
	v_mov_b32_e32 v26, 0x7f800001
	s_mov_b32 s23, exec_lo
	s_delay_alu instid0(VALU_DEP_2) | instskip(NEXT) | instid1(VALU_DEP_1)
	v_and_b32_e32 v103, 0x7f, v27
	v_cmpx_ne_u32_e32 0x7f, v103
	s_cbranch_execz .LBB345_1002
; %bb.999:                              ;   in Loop: Header=BB345_525 Depth=1
	v_dual_mov_b32 v27, v21 :: v_dual_bitop2_b32 v26, 7, v27 bitop3:0x40
	v_lshrrev_b32_e32 v102, 3, v103
	s_mov_b32 s24, exec_lo
	v_cmpx_gt_u32_e32 8, v103
; %bb.1000:                             ;   in Loop: Header=BB345_525 Depth=1
	s_delay_alu instid0(VALU_DEP_3) | instskip(NEXT) | instid1(VALU_DEP_1)
	v_clz_i32_u32_e32 v102, v26
	v_min_u32_e32 v102, 32, v102
	s_delay_alu instid0(VALU_DEP_1) | instskip(SKIP_1) | instid1(VALU_DEP_2)
	v_subrev_nc_u32_e32 v103, 28, v102
	v_sub_nc_u32_e32 v102, 29, v102
	v_lshlrev_b64_e32 v[26:27], v103, v[26:27]
	s_delay_alu instid0(VALU_DEP_1)
	v_and_b32_e32 v26, 7, v26
; %bb.1001:                             ;   in Loop: Header=BB345_525 Depth=1
	s_or_b32 exec_lo, exec_lo, s24
	s_delay_alu instid0(VALU_DEP_1) | instskip(SKIP_1) | instid1(VALU_DEP_2)
	v_dual_lshlrev_b32 v20, 16, v20 :: v_dual_lshlrev_b32 v26, 20, v26
	v_lshl_add_u32 v27, v102, 23, 0x3c000000
	v_and_b32_e32 v20, 0x80000000, v20
	s_delay_alu instid0(VALU_DEP_1)
	v_or3_b32 v26, v26, v20, v27
.LBB345_1002:                           ;   in Loop: Header=BB345_525 Depth=1
	s_or_b32 exec_lo, exec_lo, s23
.LBB345_1003:                           ;   in Loop: Header=BB345_525 Depth=1
	s_delay_alu instid0(SALU_CYCLE_1)
	s_or_b32 exec_lo, exec_lo, s22
.LBB345_1004:                           ;   in Loop: Header=BB345_525 Depth=1
	s_delay_alu instid0(SALU_CYCLE_1) | instskip(SKIP_3) | instid1(VALU_DEP_2)
	s_or_b32 exec_lo, exec_lo, s21
	v_dual_lshrrev_b32 v103, 16, v1 :: v_dual_mov_b32 v27, 0
	v_mov_b32_e32 v102, 0
	s_mov_b32 s21, exec_lo
	v_and_b32_e32 v20, 0xff, v103
	s_delay_alu instid0(VALU_DEP_1)
	v_cmpx_ne_u16_e32 0, v20
	s_cbranch_execz .LBB345_1012
; %bb.1005:                             ;   in Loop: Header=BB345_525 Depth=1
	v_bfrev_b32_e32 v102, 1
	s_mov_b32 s22, exec_lo
	v_cmpx_ne_u16_e32 0x80, v20
	s_cbranch_execz .LBB345_1011
; %bb.1006:                             ;   in Loop: Header=BB345_525 Depth=1
	v_bfe_u32 v104, v1, 16, 7
	v_mov_b32_e32 v102, 0x7f800001
	s_mov_b32 s23, exec_lo
	s_delay_alu instid0(VALU_DEP_2)
	v_cmpx_ne_u32_e32 0x7f, v104
	s_cbranch_execz .LBB345_1010
; %bb.1007:                             ;   in Loop: Header=BB345_525 Depth=1
	v_dual_lshrrev_b32 v102, 3, v104 :: v_dual_bitop2_b32 v20, 7, v103 bitop3:0x40
	s_mov_b32 s24, exec_lo
	v_cmpx_gt_u32_e32 8, v104
; %bb.1008:                             ;   in Loop: Header=BB345_525 Depth=1
	s_delay_alu instid0(VALU_DEP_2) | instskip(NEXT) | instid1(VALU_DEP_1)
	v_clz_i32_u32_e32 v102, v20
	v_min_u32_e32 v102, 32, v102
	s_delay_alu instid0(VALU_DEP_1) | instskip(NEXT) | instid1(VALU_DEP_1)
	v_subrev_nc_u32_e32 v104, 28, v102
	v_lshlrev_b64_e32 v[104:105], v104, v[20:21]
	s_delay_alu instid0(VALU_DEP_1)
	v_dual_sub_nc_u32 v102, 29, v102 :: v_dual_bitop2_b32 v20, 7, v104 bitop3:0x40
; %bb.1009:                             ;   in Loop: Header=BB345_525 Depth=1
	s_or_b32 exec_lo, exec_lo, s24
	s_delay_alu instid0(VALU_DEP_1) | instskip(NEXT) | instid1(VALU_DEP_2)
	v_dual_lshlrev_b32 v103, 24, v103 :: v_dual_lshlrev_b32 v20, 20, v20
	v_lshl_add_u32 v102, v102, 23, 0x3c000000
	s_delay_alu instid0(VALU_DEP_2) | instskip(NEXT) | instid1(VALU_DEP_1)
	v_and_b32_e32 v103, 0x80000000, v103
	v_or3_b32 v102, v20, v103, v102
.LBB345_1010:                           ;   in Loop: Header=BB345_525 Depth=1
	s_or_b32 exec_lo, exec_lo, s23
.LBB345_1011:                           ;   in Loop: Header=BB345_525 Depth=1
	s_delay_alu instid0(SALU_CYCLE_1)
	s_or_b32 exec_lo, exec_lo, s22
.LBB345_1012:                           ;   in Loop: Header=BB345_525 Depth=1
	s_delay_alu instid0(SALU_CYCLE_1) | instskip(NEXT) | instid1(SALU_CYCLE_1)
	s_or_b32 exec_lo, exec_lo, s21
	s_mov_b32 s21, exec_lo
	v_cmpx_lt_u64_e64 s[2:3], v[0:1]
	s_cbranch_execz .LBB345_1020
; %bb.1013:                             ;   in Loop: Header=BB345_525 Depth=1
	v_lshrrev_b32_e32 v0, 24, v1
	v_bfrev_b32_e32 v27, 1
	s_mov_b32 s22, exec_lo
	s_delay_alu instid0(VALU_DEP_2)
	v_cmpx_ne_u32_e32 0x80, v0
	s_cbranch_execz .LBB345_1019
; %bb.1014:                             ;   in Loop: Header=BB345_525 Depth=1
	v_bfe_u32 v103, v1, 24, 7
	v_mov_b32_e32 v27, 0x7f800001
	s_mov_b32 s23, exec_lo
	s_delay_alu instid0(VALU_DEP_2)
	v_cmpx_ne_u32_e32 0x7f, v103
	s_cbranch_execz .LBB345_1018
; %bb.1015:                             ;   in Loop: Header=BB345_525 Depth=1
	v_dual_lshrrev_b32 v1, 3, v103 :: v_dual_bitop2_b32 v20, 7, v0 bitop3:0x40
	s_mov_b32 s24, exec_lo
	v_cmpx_gt_u32_e32 8, v103
; %bb.1016:                             ;   in Loop: Header=BB345_525 Depth=1
	s_delay_alu instid0(VALU_DEP_2) | instskip(NEXT) | instid1(VALU_DEP_1)
	v_clz_i32_u32_e32 v1, v20
	v_min_u32_e32 v1, 32, v1
	s_delay_alu instid0(VALU_DEP_1) | instskip(NEXT) | instid1(VALU_DEP_1)
	v_subrev_nc_u32_e32 v27, 28, v1
	v_lshlrev_b64_e32 v[104:105], v27, v[20:21]
	s_delay_alu instid0(VALU_DEP_1)
	v_dual_sub_nc_u32 v1, 29, v1 :: v_dual_bitop2_b32 v20, 7, v104 bitop3:0x40
; %bb.1017:                             ;   in Loop: Header=BB345_525 Depth=1
	s_or_b32 exec_lo, exec_lo, s24
	v_lshlrev_b32_e32 v0, 24, v0
	s_delay_alu instid0(VALU_DEP_2) | instskip(NEXT) | instid1(VALU_DEP_3)
	v_lshlrev_b32_e32 v20, 20, v20
	v_lshl_add_u32 v1, v1, 23, 0x3c000000
	s_delay_alu instid0(VALU_DEP_3) | instskip(NEXT) | instid1(VALU_DEP_1)
	v_and_b32_e32 v0, 0x80000000, v0
	v_or3_b32 v27, v20, v0, v1
.LBB345_1018:                           ;   in Loop: Header=BB345_525 Depth=1
	s_or_b32 exec_lo, exec_lo, s23
.LBB345_1019:                           ;   in Loop: Header=BB345_525 Depth=1
	s_delay_alu instid0(SALU_CYCLE_1)
	s_or_b32 exec_lo, exec_lo, s22
.LBB345_1020:                           ;   in Loop: Header=BB345_525 Depth=1
	s_delay_alu instid0(SALU_CYCLE_1)
	s_or_b32 exec_lo, exec_lo, s21
	v_fma_mixlo_bf16 v0, s20, v26, 0
	v_fma_mixlo_bf16 v1, s20, v101, 0
	;; [unrolled: 1-line block ×8, first 2 shown]
	s_and_saveexec_b32 s0, vcc_lo
	s_cbranch_execz .LBB345_523
; %bb.1021:                             ;   in Loop: Header=BB345_525 Depth=1
	v_cmp_gt_i32_e32 vcc_lo, s34, v43
	v_cndmask_b32_e32 v97, 0, v97, vcc_lo
	v_cmp_gt_i32_e32 vcc_lo, s34, v50
	v_cndmask_b32_e32 v98, 0, v98, vcc_lo
	;; [unrolled: 2-line block ×8, first 2 shown]
	s_branch .LBB345_523
.LBB345_1022:
	s_or_b32 exec_lo, exec_lo, s14
	v_mov_b32_e32 v26, v106
.LBB345_1023:
	s_or_b32 exec_lo, exec_lo, s1
	ds_bpermute_b32 v6, v31, v10
	ds_bpermute_b32 v7, v31, v11
	;; [unrolled: 1-line block ×8, first 2 shown]
	s_mov_b32 s0, exec_lo
	s_wait_dscnt 0x6
	v_pk_add_f32 v[6:7], v[10:11], v[6:7]
	scratch_load_b32 v10, off, off          ; 4-byte Folded Reload
	s_wait_dscnt 0x4
	v_pk_add_f32 v[0:1], v[16:17], v[0:1]
	v_and_b32_e32 v11, 0x3c3, v26
	s_wait_dscnt 0x2
	v_pk_add_f32 v[2:3], v[14:15], v[2:3]
	ds_bpermute_b32 v8, v30, v6
	s_wait_dscnt 0x1
	v_pk_add_f32 v[12:13], v[12:13], v[4:5]
	ds_bpermute_b32 v4, v30, v0
	ds_bpermute_b32 v5, v30, v1
	;; [unrolled: 1-line block ×7, first 2 shown]
	s_wait_loadcnt_dscnt 0x0
	s_barrier_signal -1
	s_barrier_wait -1
	v_pk_add_f32 v[4:5], v[0:1], v[4:5]
	v_pk_add_f32 v[2:3], v[2:3], v[14:15]
	;; [unrolled: 1-line block ×3, first 2 shown]
	v_and_b32_e32 v10, 28, v10
	v_cmpx_ne_u32_e32 64, v11
	s_xor_b32 s0, exec_lo, s0
	s_delay_alu instid0(SALU_CYCLE_1)
	s_or_saveexec_b32 s0, s0
	v_pk_add_f32 v[6:7], v[6:7], v[8:9]
	scratch_load_b32 v8, off, off th:TH_LOAD_LU ; 4-byte Folded Reload
	v_add_nc_u32_e32 v9, 0xa0, v10
	s_wait_loadcnt 0x0
	v_dual_lshlrev_b32 v10, 8, v107 :: v_dual_lshrrev_b32 v8, 2, v8
	s_xor_b32 exec_lo, exec_lo, s0
	s_cbranch_execz .LBB345_1025
; %bb.1024:
	s_delay_alu instid0(VALU_DEP_1) | instskip(NEXT) | instid1(VALU_DEP_1)
	v_add_nc_u32_e32 v11, v9, v10
	v_add_nc_u32_e32 v12, 0xfffffe00, v11
	;; [unrolled: 1-line block ×9, first 2 shown]
	ds_store_b32 v12, v4
	ds_store_b32 v13, v5
	;; [unrolled: 1-line block ×8, first 2 shown]
.LBB345_1025:
	s_or_b32 exec_lo, exec_lo, s0
	s_delay_alu instid0(VALU_DEP_1)
	v_lshlrev_b32_e32 v8, 2, v8
	s_mov_b32 s1, exec_lo
	v_cmp_eq_u32_e32 vcc_lo, 0, v32
	s_wait_dscnt 0x0
	s_barrier_signal -1
	v_add3_u32 v8, 0xa0, v10, v8
	s_barrier_wait -1
	v_cmpx_gt_u32_e32 64, v26
	s_cbranch_execz .LBB345_1036
; %bb.1026:
	s_and_saveexec_b32 s0, vcc_lo
	s_cbranch_execnz .LBB345_1052
; %bb.1027:
	s_or_b32 exec_lo, exec_lo, s0
	s_and_saveexec_b32 s0, vcc_lo
	s_cbranch_execnz .LBB345_1053
.LBB345_1028:
	s_or_b32 exec_lo, exec_lo, s0
	s_and_saveexec_b32 s0, vcc_lo
	s_cbranch_execnz .LBB345_1054
.LBB345_1029:
	s_or_b32 exec_lo, exec_lo, s0
	s_and_saveexec_b32 s0, vcc_lo
	s_cbranch_execnz .LBB345_1055
.LBB345_1030:
	s_or_b32 exec_lo, exec_lo, s0
	s_and_saveexec_b32 s0, vcc_lo
	s_cbranch_execnz .LBB345_1056
.LBB345_1031:
	s_or_b32 exec_lo, exec_lo, s0
	s_and_saveexec_b32 s0, vcc_lo
	s_cbranch_execnz .LBB345_1057
.LBB345_1032:
	s_or_b32 exec_lo, exec_lo, s0
	s_and_saveexec_b32 s0, vcc_lo
	s_cbranch_execnz .LBB345_1058
.LBB345_1033:
	s_or_b32 exec_lo, exec_lo, s0
	s_and_saveexec_b32 s0, vcc_lo
	s_cbranch_execz .LBB345_1035
.LBB345_1034:
	ds_load_b32 v10, v8 offset:224
	s_wait_dscnt 0x0
	v_add_f32_e32 v7, v7, v10
.LBB345_1035:
	s_or_b32 exec_lo, exec_lo, s0
.LBB345_1036:
	s_delay_alu instid0(SALU_CYCLE_1) | instskip(SKIP_4) | instid1(VALU_DEP_1)
	s_or_b32 exec_lo, exec_lo, s1
	v_and_b32_e32 v10, 0x3e3, v26
	s_mov_b32 s1, exec_lo
	s_barrier_signal -1
	s_barrier_wait -1
	v_cmpx_eq_u32_e32 32, v10
	s_cbranch_execz .LBB345_1038
; %bb.1037:
	ds_store_2addr_b32 v9, v4, v5 offset1:8
	ds_store_2addr_b32 v9, v2, v3 offset0:16 offset1:24
	ds_store_2addr_b32 v9, v0, v1 offset0:32 offset1:40
	;; [unrolled: 1-line block ×3, first 2 shown]
.LBB345_1038:
	s_or_b32 exec_lo, exec_lo, s1
	s_delay_alu instid0(SALU_CYCLE_1)
	s_mov_b32 s1, exec_lo
	s_wait_dscnt 0x0
	s_barrier_signal -1
	s_barrier_wait -1
	v_cmpx_gt_u32_e32 32, v26
	s_cbranch_execz .LBB345_1049
; %bb.1039:
	s_and_saveexec_b32 s0, vcc_lo
	s_cbranch_execnz .LBB345_1059
; %bb.1040:
	s_or_b32 exec_lo, exec_lo, s0
	s_and_saveexec_b32 s0, vcc_lo
	s_cbranch_execnz .LBB345_1060
.LBB345_1041:
	s_or_b32 exec_lo, exec_lo, s0
	s_and_saveexec_b32 s0, vcc_lo
	s_cbranch_execnz .LBB345_1061
.LBB345_1042:
	s_or_b32 exec_lo, exec_lo, s0
	s_and_saveexec_b32 s0, vcc_lo
	s_cbranch_execnz .LBB345_1062
.LBB345_1043:
	s_or_b32 exec_lo, exec_lo, s0
	s_and_saveexec_b32 s0, vcc_lo
	s_cbranch_execnz .LBB345_1063
.LBB345_1044:
	s_or_b32 exec_lo, exec_lo, s0
	s_and_saveexec_b32 s0, vcc_lo
	s_cbranch_execnz .LBB345_1064
.LBB345_1045:
	s_or_b32 exec_lo, exec_lo, s0
	s_and_saveexec_b32 s0, vcc_lo
	s_cbranch_execnz .LBB345_1065
.LBB345_1046:
	s_or_b32 exec_lo, exec_lo, s0
	s_and_saveexec_b32 s0, vcc_lo
	s_cbranch_execz .LBB345_1048
.LBB345_1047:
	ds_load_b32 v8, v8 offset:224
	s_wait_dscnt 0x0
	v_add_f32_e32 v7, v7, v8
.LBB345_1048:
	s_or_b32 exec_lo, exec_lo, s0
.LBB345_1049:
	s_delay_alu instid0(SALU_CYCLE_1)
	s_or_b32 exec_lo, exec_lo, s1
	s_mov_b32 s1, 0
	s_barrier_signal -1
	s_barrier_wait -1
	s_mov_b32 s0, exec_lo
	v_cmpx_eq_u32_e32 0, v10
	s_cbranch_execz .LBB345_1051
; %bb.1050:
	s_mul_i32 s0, s33, s7
	s_mul_i32 s2, s7, s16
	;; [unrolled: 1-line block ×3, first 2 shown]
	s_lshr_b32 s6, ttmp7, 16
	s_lshl_b32 s4, s0, 6
	s_bfe_u32 s0, ttmp6, 0x40014
	s_ashr_i32 s5, s4, 31
	s_add_co_i32 s0, s0, 1
	s_ashr_i32 s3, s2, 31
	s_mul_i32 s0, s6, s0
	s_bfe_u32 s7, ttmp6, 0x40008
	s_lshl_b64 s[4:5], s[4:5], 1
	s_lshl_b64 s[2:3], s[2:3], 1
	s_add_co_i32 s7, s7, s0
	s_cmp_eq_u32 s30, 0
	s_wait_kmcnt 0x0
	s_add_nc_u64 s[4:5], s[8:9], s[4:5]
	s_cselect_b32 s0, s6, s7
	s_add_nc_u64 s[2:3], s[4:5], s[2:3]
	s_lshl_b32 s0, s0, 7
	v_lshrrev_b32_e32 v8, 1, v26
	s_add_nc_u64 s[0:1], s[2:3], s[0:1]
	s_delay_alu instid0(SALU_CYCLE_1)
	v_cvt_pk_bf16_f32 v4, v4, s0
	v_cvt_pk_bf16_f32 v5, v5, s0
	;; [unrolled: 1-line block ×8, first 2 shown]
	s_clause 0x7
	global_store_b16 v8, v4, s[0:1]
	global_store_b16 v8, v5, s[0:1] offset:16
	global_store_b16 v8, v2, s[0:1] offset:32
	;; [unrolled: 1-line block ×7, first 2 shown]
.LBB345_1051:
	s_sendmsg sendmsg(MSG_DEALLOC_VGPRS)
	s_endpgm
.LBB345_1052:
	ds_load_b32 v10, v8
	s_wait_dscnt 0x0
	v_add_f32_e32 v4, v4, v10
	s_or_b32 exec_lo, exec_lo, s0
	s_and_saveexec_b32 s0, vcc_lo
	s_cbranch_execz .LBB345_1028
.LBB345_1053:
	ds_load_b32 v10, v8 offset:32
	s_wait_dscnt 0x0
	v_add_f32_e32 v5, v5, v10
	s_or_b32 exec_lo, exec_lo, s0
	s_and_saveexec_b32 s0, vcc_lo
	s_cbranch_execz .LBB345_1029
.LBB345_1054:
	ds_load_b32 v10, v8 offset:64
	s_wait_dscnt 0x0
	v_add_f32_e32 v2, v2, v10
	s_or_b32 exec_lo, exec_lo, s0
	s_and_saveexec_b32 s0, vcc_lo
	s_cbranch_execz .LBB345_1030
.LBB345_1055:
	ds_load_b32 v10, v8 offset:96
	s_wait_dscnt 0x0
	v_add_f32_e32 v3, v3, v10
	s_or_b32 exec_lo, exec_lo, s0
	s_and_saveexec_b32 s0, vcc_lo
	s_cbranch_execz .LBB345_1031
.LBB345_1056:
	ds_load_b32 v10, v8 offset:128
	s_wait_dscnt 0x0
	v_add_f32_e32 v0, v0, v10
	s_or_b32 exec_lo, exec_lo, s0
	s_and_saveexec_b32 s0, vcc_lo
	s_cbranch_execz .LBB345_1032
.LBB345_1057:
	ds_load_b32 v10, v8 offset:160
	s_wait_dscnt 0x0
	v_add_f32_e32 v1, v1, v10
	s_or_b32 exec_lo, exec_lo, s0
	s_and_saveexec_b32 s0, vcc_lo
	s_cbranch_execz .LBB345_1033
.LBB345_1058:
	ds_load_b32 v10, v8 offset:192
	s_wait_dscnt 0x0
	v_add_f32_e32 v6, v6, v10
	s_or_b32 exec_lo, exec_lo, s0
	s_and_saveexec_b32 s0, vcc_lo
	s_cbranch_execnz .LBB345_1034
	s_branch .LBB345_1035
.LBB345_1059:
	ds_load_b32 v9, v8
	s_wait_dscnt 0x0
	v_add_f32_e32 v4, v4, v9
	s_or_b32 exec_lo, exec_lo, s0
	s_and_saveexec_b32 s0, vcc_lo
	s_cbranch_execz .LBB345_1041
.LBB345_1060:
	ds_load_b32 v9, v8 offset:32
	s_wait_dscnt 0x0
	v_add_f32_e32 v5, v5, v9
	s_or_b32 exec_lo, exec_lo, s0
	s_and_saveexec_b32 s0, vcc_lo
	s_cbranch_execz .LBB345_1042
.LBB345_1061:
	ds_load_b32 v9, v8 offset:64
	s_wait_dscnt 0x0
	v_add_f32_e32 v2, v2, v9
	s_or_b32 exec_lo, exec_lo, s0
	s_and_saveexec_b32 s0, vcc_lo
	s_cbranch_execz .LBB345_1043
.LBB345_1062:
	ds_load_b32 v9, v8 offset:96
	s_wait_dscnt 0x0
	v_add_f32_e32 v3, v3, v9
	s_or_b32 exec_lo, exec_lo, s0
	s_and_saveexec_b32 s0, vcc_lo
	s_cbranch_execz .LBB345_1044
.LBB345_1063:
	ds_load_b32 v9, v8 offset:128
	s_wait_dscnt 0x0
	v_add_f32_e32 v0, v0, v9
	s_or_b32 exec_lo, exec_lo, s0
	s_and_saveexec_b32 s0, vcc_lo
	s_cbranch_execz .LBB345_1045
.LBB345_1064:
	ds_load_b32 v9, v8 offset:160
	s_wait_dscnt 0x0
	v_add_f32_e32 v1, v1, v9
	s_or_b32 exec_lo, exec_lo, s0
	s_and_saveexec_b32 s0, vcc_lo
	s_cbranch_execz .LBB345_1046
.LBB345_1065:
	ds_load_b32 v9, v8 offset:192
	s_wait_dscnt 0x0
	v_add_f32_e32 v6, v6, v9
	s_or_b32 exec_lo, exec_lo, s0
	s_and_saveexec_b32 s0, vcc_lo
	s_cbranch_execnz .LBB345_1047
	s_branch .LBB345_1048
	.section	.rodata,"a",@progbits
	.p2align	6, 0x0
	.amdhsa_kernel _ZN4vllm25paged_attention_v1_kernelI14__hip_bfloat16hLi64ELi32ELi128ELNS_18Fp8KVCacheDataTypeE1ELb1EEEvPT_PKS3_PKT0_S9_ifPKiSB_iPKfiiiSD_SD_iiiii
		.amdhsa_group_segment_fixed_size 160
		.amdhsa_private_segment_fixed_size 100
		.amdhsa_kernarg_size 384
		.amdhsa_user_sgpr_count 2
		.amdhsa_user_sgpr_dispatch_ptr 0
		.amdhsa_user_sgpr_queue_ptr 0
		.amdhsa_user_sgpr_kernarg_segment_ptr 1
		.amdhsa_user_sgpr_dispatch_id 0
		.amdhsa_user_sgpr_kernarg_preload_length 0
		.amdhsa_user_sgpr_kernarg_preload_offset 0
		.amdhsa_user_sgpr_private_segment_size 0
		.amdhsa_wavefront_size32 1
		.amdhsa_uses_dynamic_stack 0
		.amdhsa_enable_private_segment 1
		.amdhsa_system_sgpr_workgroup_id_x 1
		.amdhsa_system_sgpr_workgroup_id_y 1
		.amdhsa_system_sgpr_workgroup_id_z 1
		.amdhsa_system_sgpr_workgroup_info 0
		.amdhsa_system_vgpr_workitem_id 0
		.amdhsa_next_free_vgpr 128
		.amdhsa_next_free_sgpr 47
		.amdhsa_named_barrier_count 0
		.amdhsa_reserve_vcc 1
		.amdhsa_float_round_mode_32 0
		.amdhsa_float_round_mode_16_64 0
		.amdhsa_float_denorm_mode_32 3
		.amdhsa_float_denorm_mode_16_64 3
		.amdhsa_fp16_overflow 0
		.amdhsa_memory_ordered 1
		.amdhsa_forward_progress 1
		.amdhsa_inst_pref_size 255
		.amdhsa_round_robin_scheduling 0
		.amdhsa_exception_fp_ieee_invalid_op 0
		.amdhsa_exception_fp_denorm_src 0
		.amdhsa_exception_fp_ieee_div_zero 0
		.amdhsa_exception_fp_ieee_overflow 0
		.amdhsa_exception_fp_ieee_underflow 0
		.amdhsa_exception_fp_ieee_inexact 0
		.amdhsa_exception_int_div_zero 0
	.end_amdhsa_kernel
	.section	.text._ZN4vllm25paged_attention_v1_kernelI14__hip_bfloat16hLi64ELi32ELi128ELNS_18Fp8KVCacheDataTypeE1ELb1EEEvPT_PKS3_PKT0_S9_ifPKiSB_iPKfiiiSD_SD_iiiii,"axG",@progbits,_ZN4vllm25paged_attention_v1_kernelI14__hip_bfloat16hLi64ELi32ELi128ELNS_18Fp8KVCacheDataTypeE1ELb1EEEvPT_PKS3_PKT0_S9_ifPKiSB_iPKfiiiSD_SD_iiiii,comdat
.Lfunc_end345:
	.size	_ZN4vllm25paged_attention_v1_kernelI14__hip_bfloat16hLi64ELi32ELi128ELNS_18Fp8KVCacheDataTypeE1ELb1EEEvPT_PKS3_PKT0_S9_ifPKiSB_iPKfiiiSD_SD_iiiii, .Lfunc_end345-_ZN4vllm25paged_attention_v1_kernelI14__hip_bfloat16hLi64ELi32ELi128ELNS_18Fp8KVCacheDataTypeE1ELb1EEEvPT_PKS3_PKT0_S9_ifPKiSB_iPKfiiiSD_SD_iiiii
                                        ; -- End function
	.set _ZN4vllm25paged_attention_v1_kernelI14__hip_bfloat16hLi64ELi32ELi128ELNS_18Fp8KVCacheDataTypeE1ELb1EEEvPT_PKS3_PKT0_S9_ifPKiSB_iPKfiiiSD_SD_iiiii.num_vgpr, 128
	.set _ZN4vllm25paged_attention_v1_kernelI14__hip_bfloat16hLi64ELi32ELi128ELNS_18Fp8KVCacheDataTypeE1ELb1EEEvPT_PKS3_PKT0_S9_ifPKiSB_iPKfiiiSD_SD_iiiii.num_agpr, 0
	.set _ZN4vllm25paged_attention_v1_kernelI14__hip_bfloat16hLi64ELi32ELi128ELNS_18Fp8KVCacheDataTypeE1ELb1EEEvPT_PKS3_PKT0_S9_ifPKiSB_iPKfiiiSD_SD_iiiii.numbered_sgpr, 47
	.set _ZN4vllm25paged_attention_v1_kernelI14__hip_bfloat16hLi64ELi32ELi128ELNS_18Fp8KVCacheDataTypeE1ELb1EEEvPT_PKS3_PKT0_S9_ifPKiSB_iPKfiiiSD_SD_iiiii.num_named_barrier, 0
	.set _ZN4vllm25paged_attention_v1_kernelI14__hip_bfloat16hLi64ELi32ELi128ELNS_18Fp8KVCacheDataTypeE1ELb1EEEvPT_PKS3_PKT0_S9_ifPKiSB_iPKfiiiSD_SD_iiiii.private_seg_size, 100
	.set _ZN4vllm25paged_attention_v1_kernelI14__hip_bfloat16hLi64ELi32ELi128ELNS_18Fp8KVCacheDataTypeE1ELb1EEEvPT_PKS3_PKT0_S9_ifPKiSB_iPKfiiiSD_SD_iiiii.uses_vcc, 1
	.set _ZN4vllm25paged_attention_v1_kernelI14__hip_bfloat16hLi64ELi32ELi128ELNS_18Fp8KVCacheDataTypeE1ELb1EEEvPT_PKS3_PKT0_S9_ifPKiSB_iPKfiiiSD_SD_iiiii.uses_flat_scratch, 1
	.set _ZN4vllm25paged_attention_v1_kernelI14__hip_bfloat16hLi64ELi32ELi128ELNS_18Fp8KVCacheDataTypeE1ELb1EEEvPT_PKS3_PKT0_S9_ifPKiSB_iPKfiiiSD_SD_iiiii.has_dyn_sized_stack, 0
	.set _ZN4vllm25paged_attention_v1_kernelI14__hip_bfloat16hLi64ELi32ELi128ELNS_18Fp8KVCacheDataTypeE1ELb1EEEvPT_PKS3_PKT0_S9_ifPKiSB_iPKfiiiSD_SD_iiiii.has_recursion, 0
	.set _ZN4vllm25paged_attention_v1_kernelI14__hip_bfloat16hLi64ELi32ELi128ELNS_18Fp8KVCacheDataTypeE1ELb1EEEvPT_PKS3_PKT0_S9_ifPKiSB_iPKfiiiSD_SD_iiiii.has_indirect_call, 0
	.section	.AMDGPU.csdata,"",@progbits
; Kernel info:
; codeLenInByte = 38916
; TotalNumSgprs: 49
; NumVgprs: 128
; ScratchSize: 100
; MemoryBound: 0
; FloatMode: 240
; IeeeMode: 1
; LDSByteSize: 160 bytes/workgroup (compile time only)
; SGPRBlocks: 0
; VGPRBlocks: 7
; NumSGPRsForWavesPerEU: 49
; NumVGPRsForWavesPerEU: 128
; NamedBarCnt: 0
; Occupancy: 8
; WaveLimiterHint : 1
; COMPUTE_PGM_RSRC2:SCRATCH_EN: 1
; COMPUTE_PGM_RSRC2:USER_SGPR: 2
; COMPUTE_PGM_RSRC2:TRAP_HANDLER: 0
; COMPUTE_PGM_RSRC2:TGID_X_EN: 1
; COMPUTE_PGM_RSRC2:TGID_Y_EN: 1
; COMPUTE_PGM_RSRC2:TGID_Z_EN: 1
; COMPUTE_PGM_RSRC2:TIDIG_COMP_CNT: 0
	.section	.text._ZN4vllm25paged_attention_v1_kernelI14__hip_bfloat16hLi80ELi32ELi128ELNS_18Fp8KVCacheDataTypeE1ELb1EEEvPT_PKS3_PKT0_S9_ifPKiSB_iPKfiiiSD_SD_iiiii,"axG",@progbits,_ZN4vllm25paged_attention_v1_kernelI14__hip_bfloat16hLi80ELi32ELi128ELNS_18Fp8KVCacheDataTypeE1ELb1EEEvPT_PKS3_PKT0_S9_ifPKiSB_iPKfiiiSD_SD_iiiii,comdat
	.protected	_ZN4vllm25paged_attention_v1_kernelI14__hip_bfloat16hLi80ELi32ELi128ELNS_18Fp8KVCacheDataTypeE1ELb1EEEvPT_PKS3_PKT0_S9_ifPKiSB_iPKfiiiSD_SD_iiiii ; -- Begin function _ZN4vllm25paged_attention_v1_kernelI14__hip_bfloat16hLi80ELi32ELi128ELNS_18Fp8KVCacheDataTypeE1ELb1EEEvPT_PKS3_PKT0_S9_ifPKiSB_iPKfiiiSD_SD_iiiii
	.globl	_ZN4vllm25paged_attention_v1_kernelI14__hip_bfloat16hLi80ELi32ELi128ELNS_18Fp8KVCacheDataTypeE1ELb1EEEvPT_PKS3_PKT0_S9_ifPKiSB_iPKfiiiSD_SD_iiiii
	.p2align	8
	.type	_ZN4vllm25paged_attention_v1_kernelI14__hip_bfloat16hLi80ELi32ELi128ELNS_18Fp8KVCacheDataTypeE1ELb1EEEvPT_PKS3_PKT0_S9_ifPKiSB_iPKfiiiSD_SD_iiiii,@function
_ZN4vllm25paged_attention_v1_kernelI14__hip_bfloat16hLi80ELi32ELi128ELNS_18Fp8KVCacheDataTypeE1ELb1EEEvPT_PKS3_PKT0_S9_ifPKiSB_iPKfiiiSD_SD_iiiii: ; @_ZN4vllm25paged_attention_v1_kernelI14__hip_bfloat16hLi80ELi32ELi128ELNS_18Fp8KVCacheDataTypeE1ELb1EEEvPT_PKS3_PKT0_S9_ifPKiSB_iPKfiiiSD_SD_iiiii
; %bb.0:
	s_load_b64 s[24:25], s[0:1], 0x20
	s_bfe_u32 s3, ttmp6, 0x4000c
	s_bfe_u32 s4, ttmp6, 0x40010
	s_and_b32 s6, ttmp7, 0xffff
	s_add_co_i32 s3, s3, 1
	s_add_co_i32 s4, s4, 1
	s_and_b32 s2, ttmp6, 15
	s_bfe_u32 s5, ttmp6, 0x40004
	s_mul_i32 s3, ttmp9, s3
	s_mul_i32 s4, s6, s4
	s_getreg_b32 s30, hwreg(HW_REG_IB_STS2, 6, 4)
	s_add_co_i32 s2, s2, s3
	s_add_co_i32 s3, s5, s4
	s_cmp_eq_u32 s30, 0
	v_mov_b32_e32 v24, v0
	s_cselect_b32 s33, s6, s3
	s_cselect_b32 s2, ttmp9, s2
	s_clause 0x1
	s_load_b32 s31, s[0:1], 0x80
	s_load_b64 s[4:5], s[0:1], 0x30
	s_wait_kmcnt 0x0
	s_abs_i32 s3, s24
	s_delay_alu instid0(SALU_CYCLE_1) | instskip(SKIP_1) | instid1(SALU_CYCLE_2)
	s_cvt_f32_u32 s6, s3
	s_sub_co_i32 s7, 0, s3
	v_rcp_iflag_f32_e32 v0, s6
	v_nop
	s_delay_alu instid0(TRANS32_DEP_1) | instskip(SKIP_2) | instid1(SALU_CYCLE_3)
	v_readfirstlane_b32 s6, v0
	s_abs_i32 s8, s31
	s_mul_f32 s6, s6, 0x4f7ffffe
	s_cvt_u32_f32 s6, s6
	s_delay_alu instid0(SALU_CYCLE_3) | instskip(NEXT) | instid1(SALU_CYCLE_1)
	s_mul_i32 s7, s7, s6
	s_mul_hi_u32 s7, s6, s7
	s_delay_alu instid0(SALU_CYCLE_1) | instskip(SKIP_4) | instid1(SALU_CYCLE_1)
	s_add_co_i32 s6, s6, s7
	s_xor_b32 s7, s31, s24
	s_mul_hi_u32 s6, s8, s6
	s_ashr_i32 s7, s7, 31
	s_mul_i32 s9, s6, s3
	s_sub_co_i32 s8, s8, s9
	s_add_co_i32 s9, s6, 1
	s_sub_co_i32 s10, s8, s3
	s_cmp_ge_u32 s8, s3
	s_cselect_b32 s6, s9, s6
	s_cselect_b32 s8, s10, s8
	s_add_co_i32 s9, s6, 1
	s_cmp_ge_u32 s8, s3
	s_load_b64 s[10:11], s[0:1], 0x40
	s_cselect_b32 s3, s9, s6
	s_mov_b32 s9, 0
	s_xor_b32 s3, s3, s7
	s_abs_i32 s8, s2
	s_sub_co_i32 s16, s3, s7
	s_mov_b32 s7, s9
	s_abs_i32 s15, s16
	s_mov_b32 s38, s9
	s_cvt_f32_u32 s3, s15
	s_sub_co_i32 s6, 0, s15
	s_delay_alu instid0(SALU_CYCLE_2) | instskip(SKIP_1) | instid1(TRANS32_DEP_1)
	v_rcp_iflag_f32_e32 v0, s3
	v_nop
	v_readfirstlane_b32 s3, v0
	s_mul_f32 s3, s3, 0x4f7ffffe
	s_delay_alu instid0(SALU_CYCLE_3) | instskip(NEXT) | instid1(SALU_CYCLE_3)
	s_cvt_u32_f32 s3, s3
	s_mul_i32 s6, s6, s3
	s_delay_alu instid0(SALU_CYCLE_1) | instskip(NEXT) | instid1(SALU_CYCLE_1)
	s_mul_hi_u32 s6, s3, s6
	s_add_co_i32 s6, s3, s6
	s_wait_kmcnt 0x0
	s_cmp_eq_u64 s[10:11], 0
	s_cbranch_scc1 .LBB346_2
; %bb.1:
	s_ashr_i32 s3, s2, 31
	s_delay_alu instid0(SALU_CYCLE_1) | instskip(NEXT) | instid1(SALU_CYCLE_1)
	s_lshl_b64 s[12:13], s[2:3], 2
	s_add_nc_u64 s[10:11], s[10:11], s[12:13]
	s_load_b32 s38, s[10:11], 0x0
.LBB346_2:
	s_load_b32 s34, s[4:5], s33 offset:0x0 scale_offset
	s_load_b96 s[12:14], s[0:1], 0x48
	s_ashr_i32 s3, s2, 31
	s_ashr_i32 s18, s16, 31
	s_wait_xcnt 0x0
	s_mul_u64 s[10:11], s[8:9], s[6:7]
	s_mul_i32 s16, s2, 0x50
	s_mov_b32 s4, exec_lo
	v_cmpx_gt_u32_e32 10, v24
	s_cbranch_execz .LBB346_4
; %bb.3:
	s_load_b64 s[6:7], s[0:1], 0x8
	s_wait_kmcnt 0x0
	s_mul_i32 s20, s12, s33
	s_ashr_i32 s17, s16, 31
	s_ashr_i32 s21, s20, 31
	v_lshlrev_b32_e32 v4, 4, v24
	s_lshl_b64 s[20:21], s[20:21], 1
	s_delay_alu instid0(SALU_CYCLE_1) | instskip(SKIP_1) | instid1(SALU_CYCLE_1)
	s_add_nc_u64 s[6:7], s[6:7], s[20:21]
	s_lshl_b64 s[20:21], s[16:17], 1
	s_add_nc_u64 s[6:7], s[6:7], s[20:21]
	global_load_b128 v[0:3], v24, s[6:7] scale_offset
	s_wait_loadcnt 0x0
	ds_store_b128 v4, v[0:3]
.LBB346_4:
	s_or_b32 exec_lo, exec_lo, s4
	s_load_b128 s[4:7], s[0:1], 0x68
	s_mul_i32 s9, s11, s15
	s_xor_b32 s3, s3, s18
	s_sub_co_i32 s8, s8, s9
	s_add_co_i32 s9, s11, 1
	s_sub_co_i32 s10, s8, s15
	s_cmp_ge_u32 s8, s15
	s_wait_dscnt 0x0
	s_cselect_b32 s9, s9, s11
	s_cselect_b32 s8, s10, s8
	s_add_co_i32 s11, s9, 1
	s_cmp_ge_u32 s8, s15
	s_load_b32 s10, s[0:1], 0x78
	s_cselect_b32 s8, s11, s9
	s_wait_kmcnt 0x0
	s_add_co_i32 s11, s34, -1
	s_xor_b32 s8, s8, s3
	s_mov_b32 s15, -1
	s_sub_co_i32 s3, s8, s3
	s_barrier_signal -1
	s_barrier_wait -1
	s_abs_i32 s12, s7
	s_delay_alu instid0(SALU_CYCLE_1) | instskip(NEXT) | instid1(SALU_CYCLE_3)
	s_cvt_f32_u32 s9, s12
	v_rcp_iflag_f32_e32 v0, s9
	v_nop
	s_delay_alu instid0(TRANS32_DEP_1) | instskip(SKIP_1) | instid1(SALU_CYCLE_3)
	v_readfirstlane_b32 s9, v0
	s_mul_f32 s8, s9, 0x4f7ffffe
	s_cvt_u32_f32 s17, s8
	s_sub_co_i32 s8, 0, s12
	s_delay_alu instid0(SALU_CYCLE_2)
	s_mul_i32 s9, s8, s17
	s_abs_i32 s8, s11
	s_mul_hi_u32 s18, s17, s9
	s_mov_b32 s9, 0
	s_add_co_i32 s18, s17, s18
	s_cmp_lt_i32 s10, 0
	s_mov_b32 s19, s9
                                        ; implicit-def: $sgpr17
	s_cbranch_scc0 .LBB346_6
; %bb.5:
	s_mul_i32 s15, s4, s24
	s_delay_alu instid0(SALU_CYCLE_1) | instskip(NEXT) | instid1(SALU_CYCLE_1)
	s_add_co_i32 s15, s3, s15
	s_mul_i32 s15, s15, s10
	s_delay_alu instid0(SALU_CYCLE_1)
	s_sub_co_i32 s17, 1, s15
	s_mov_b32 s15, s9
.LBB346_6:
	s_ashr_i32 s11, s11, 31
	s_ashr_i32 s35, s7, 31
	s_and_not1_b32 vcc_lo, exec_lo, s15
	s_mul_u64 s[26:27], s[8:9], s[18:19]
	s_cbranch_vccnz .LBB346_8
; %bb.7:
	s_mul_i32 s4, s31, s4
	s_delay_alu instid0(SALU_CYCLE_1) | instskip(NEXT) | instid1(SALU_CYCLE_1)
	s_add_co_i32 s2, s4, s2
	s_mul_i32 s2, s2, s10
	s_delay_alu instid0(SALU_CYCLE_1)
	s_add_co_i32 s17, s2, 1
.LBB346_8:
	s_clause 0x1
	s_load_b32 s2, s[0:1], 0x38
	s_load_b64 s[20:21], s[0:1], 0x28
	s_mul_i32 s7, s27, s12
	s_xor_b32 s4, s11, s35
	s_sub_co_i32 s24, s8, s7
	s_add_co_i32 s15, s27, 1
	s_clause 0x1
	s_load_b32 s7, s[0:1], 0x88
	s_load_b128 s[8:11], s[0:1], 0x58
	v_dual_lshrrev_b32 v0, 5, v24 :: v_dual_bitop2_b32 v1, 31, v24 bitop3:0x40
	v_dual_mov_b32 v27, 0xff7fffff :: v_dual_lshrrev_b32 v30, 3, v24
	s_mul_i32 s14, s3, s14
	s_delay_alu instid0(VALU_DEP_2)
	v_dual_lshlrev_b32 v26, 5, v0 :: v_dual_lshlrev_b32 v31, 2, v1
	s_clause 0x1
	scratch_store_b32 off, v0, off offset:208
	scratch_store_b32 off, v1, off
	s_wait_kmcnt 0x0
	s_mul_i32 s22, s2, s33
	s_sub_co_i32 s2, s24, s12
	s_ashr_i32 s23, s22, 31
	s_cmp_ge_u32 s24, s12
	s_cselect_b32 s15, s15, s27
	s_cselect_b32 s2, s2, s24
	s_add_co_i32 s24, s15, 1
	s_cmp_ge_u32 s2, s12
	s_cselect_b32 s2, s24, s15
	s_add_co_i32 s15, s34, 31
	s_delay_alu instid0(SALU_CYCLE_1) | instskip(NEXT) | instid1(SALU_CYCLE_1)
	s_ashr_i32 s24, s15, 31
	s_lshr_b32 s24, s24, 27
	s_delay_alu instid0(SALU_CYCLE_1) | instskip(NEXT) | instid1(SALU_CYCLE_1)
	s_add_co_i32 s15, s15, s24
	s_ashr_i32 s36, s15, 5
	s_xor_b32 s15, s2, s4
	v_cmp_gt_i32_e64 s2, s36, v0
	s_sub_co_i32 s37, s15, s4
	s_wait_xcnt 0x0
	s_and_saveexec_b32 s24, s2
	s_cbranch_execz .LBB346_616
; %bb.9:
	v_mov_b32_e32 v29, 0
	scratch_store_b32 off, v24, off offset:212 ; 4-byte Folded Spill
	s_sub_co_i32 s39, s37, s5
	s_ashr_i32 s15, s14, 31
	s_cmp_neq_f32 s38, 0
	s_wait_xcnt 0x0
	ds_load_b128 v[22:25], v29
	ds_load_b128 v[10:13], v29 offset:16
	ds_load_b128 v[6:9], v29 offset:32
	;; [unrolled: 1-line block ×5, first 2 shown]
	s_load_b64 s[26:27], s[0:1], 0x10
	s_mov_b32 s41, s13
	s_cselect_b32 vcc_lo, -1, 0
	s_abs_i32 s40, s6
	s_lshl_b64 s[28:29], s[22:23], 2
	s_cvt_f32_u32 s3, s40
	s_add_nc_u64 s[28:29], s[20:21], s[28:29]
	s_sub_co_i32 s4, 0, s40
	scratch_store_b32 off, v31, off offset:220 ; 4-byte Folded Spill
	v_mov_b32_e32 v27, 0xff7fffff
	s_wait_dscnt 0x5
	v_and_b32_e32 v1, 0xffff0000, v22
	v_lshlrev_b32_e32 v0, 16, v22
	scratch_store_b64 off, v[0:1], off offset:4 ; 8-byte Folded Spill
	s_wait_dscnt 0x4
	s_wait_xcnt 0x0
	v_and_b32_e32 v1, 0xffff0000, v10
	s_wait_dscnt 0x1
	v_dual_lshlrev_b32 v0, 16, v10 :: v_dual_lshlrev_b32 v10, 16, v16
	s_wait_kmcnt 0x0
	s_add_nc_u64 s[26:27], s[26:27], s[14:15]
	scratch_store_b64 off, v[0:1], off offset:12 ; 8-byte Folded Spill
	s_wait_xcnt 0x0
	v_and_b32_e32 v1, 0xffff0000, v6
	v_dual_lshlrev_b32 v0, 16, v6 :: v_dual_lshlrev_b32 v6, 16, v8
	scratch_store_b64 off, v[0:1], off offset:20 ; 8-byte Folded Spill
	s_wait_xcnt 0x0
	v_and_b32_e32 v1, 0xffff0000, v2
	v_lshlrev_b32_e32 v0, 16, v2
	scratch_store_b64 off, v[0:1], off offset:28 ; 8-byte Folded Spill
	s_wait_xcnt 0x0
	v_and_b32_e32 v1, 0xffff0000, v14
	v_lshlrev_b32_e32 v0, 16, v14
	scratch_store_b64 off, v[0:1], off offset:36 ; 8-byte Folded Spill
	s_wait_dscnt 0x0
	s_wait_xcnt 0x0
	v_and_b32_e32 v1, 0xffff0000, v18
	v_lshlrev_b32_e32 v0, 16, v18
	scratch_store_b64 off, v[0:1], off offset:44 ; 8-byte Folded Spill
	s_wait_xcnt 0x0
	v_and_b32_e32 v1, 0xffff0000, v23
	v_lshlrev_b32_e32 v0, 16, v23
	scratch_store_b64 off, v[0:1], off offset:52 ; 8-byte Folded Spill
	s_wait_xcnt 0x0
	v_and_b32_e32 v1, 0xffff0000, v11
	v_lshlrev_b32_e32 v0, 16, v11
	v_and_b32_e32 v11, 0xffff0000, v16
	s_clause 0x1
	scratch_store_b64 off, v[0:1], off offset:60
	scratch_store_b64 off, v[10:11], off offset:156
	s_wait_xcnt 0x1
	v_and_b32_e32 v1, 0xffff0000, v7
	v_lshlrev_b32_e32 v0, 16, v7
	v_and_b32_e32 v7, 0xffff0000, v8
	s_wait_xcnt 0x0
	v_and_b32_e32 v11, 0xffff0000, v5
	v_lshlrev_b32_e32 v10, 16, v5
	v_and_b32_e32 v5, 0xffff0000, v20
	s_clause 0x1
	scratch_store_b64 off, v[0:1], off offset:68
	scratch_store_b64 off, v[6:7], off offset:124
	s_wait_xcnt 0x1
	v_and_b32_e32 v1, 0xffff0000, v3
	v_lshlrev_b32_e32 v0, 16, v3
	s_wait_xcnt 0x0
	v_and_b32_e32 v7, 0xffff0000, v13
	v_lshlrev_b32_e32 v6, 16, v13
	s_clause 0x1
	scratch_store_b64 off, v[10:11], off offset:164
	scratch_store_b64 off, v[0:1], off offset:76
	s_wait_xcnt 0x0
	v_and_b32_e32 v1, 0xffff0000, v15
	v_lshlrev_b32_e32 v0, 16, v15
	scratch_store_b64 off, v[6:7], off offset:132 ; 8-byte Folded Spill
	s_wait_xcnt 0x0
	v_and_b32_e32 v7, 0xffff0000, v4
	v_lshlrev_b32_e32 v6, 16, v4
	v_lshlrev_b32_e32 v4, 16, v20
	scratch_store_b64 off, v[0:1], off offset:84 ; 8-byte Folded Spill
	s_wait_xcnt 0x0
	v_and_b32_e32 v1, 0xffff0000, v19
	v_lshlrev_b32_e32 v0, 16, v19
	scratch_store_b64 off, v[6:7], off offset:140 ; 8-byte Folded Spill
	s_wait_xcnt 0x0
	v_and_b32_e32 v7, 0xffff0000, v9
	v_lshlrev_b32_e32 v6, 16, v9
	s_clause 0x1
	scratch_store_b64 off, v[4:5], off offset:172
	scratch_store_b64 off, v[0:1], off offset:92
	s_wait_xcnt 0x0
	v_and_b32_e32 v1, 0xffff0000, v24
	v_lshlrev_b32_e32 v0, 16, v24
	v_and_b32_e32 v5, 0xffff0000, v17
	v_lshlrev_b32_e32 v4, 16, v17
	scratch_store_b64 off, v[0:1], off offset:100 ; 8-byte Folded Spill
	s_wait_xcnt 0x0
	v_and_b32_e32 v1, 0xffff0000, v12
	v_lshlrev_b32_e32 v0, 16, v12
	scratch_store_b64 off, v[4:5], off offset:180 ; 8-byte Folded Spill
	s_wait_xcnt 0x0
	v_and_b32_e32 v5, 0xffff0000, v21
	v_lshlrev_b32_e32 v4, 16, v21
	s_clause 0x1
	scratch_store_b64 off, v[6:7], off offset:148
	scratch_store_b64 off, v[0:1], off offset:108
	s_wait_xcnt 0x0
	v_and_b32_e32 v1, 0xffff0000, v25
	v_lshlrev_b32_e32 v0, 16, v25
	ds_load_b128 v[6:9], v29 offset:112
	ds_load_b128 v[10:13], v29 offset:128
	scratch_store_b64 off, v[4:5], off offset:188 ; 8-byte Folded Spill
	s_wait_xcnt 0x0
	v_rcp_iflag_f32_e32 v4, s3
	scratch_store_b64 off, v[0:1], off offset:116 ; 8-byte Folded Spill
	s_wait_xcnt 0x0
	ds_load_b128 v[0:3], v29 offset:96
	v_nop
	v_readfirstlane_b32 s3, v4
	s_mul_f32 s3, s3, 0x4f7ffffe
	s_delay_alu instid0(SALU_CYCLE_3)
	s_cvt_u32_f32 s3, s3
	s_wait_dscnt 0x2
	v_and_b32_e32 v63, 0xffff0000, v6
	v_lshlrev_b32_e32 v62, 16, v6
	v_and_b32_e32 v65, 0xffff0000, v7
	s_mul_i32 s4, s4, s3
	v_lshlrev_b32_e32 v64, 16, v7
	s_wait_dscnt 0x0
	v_and_b32_e32 v21, 0xffff0000, v0
	v_dual_lshlrev_b32 v20, 16, v0 :: v_dual_lshlrev_b32 v68, 16, v9
	v_and_b32_e32 v57, 0xffff0000, v1
	v_lshlrev_b32_e32 v56, 16, v1
	v_and_b32_e32 v59, 0xffff0000, v2
	v_lshlrev_b32_e32 v58, 16, v2
	;; [unrolled: 2-line block ×3, first 2 shown]
	ds_load_b128 v[0:3], v29 offset:144
	v_lshlrev_b32_e32 v76, 16, v13
	v_and_b32_e32 v67, 0xffff0000, v8
	v_dual_lshlrev_b32 v66, 16, v8 :: v_dual_lshlrev_b32 v70, 16, v10
	v_and_b32_e32 v69, 0xffff0000, v9
	v_and_b32_e32 v71, 0xffff0000, v10
	;; [unrolled: 1-line block ×3, first 2 shown]
	v_dual_lshlrev_b32 v72, 16, v11 :: v_dual_lshlrev_b32 v74, 16, v12
	v_and_b32_e32 v75, 0xffff0000, v12
	v_and_b32_e32 v77, 0xffff0000, v13
	s_mul_hi_u32 s4, s3, s4
	s_wait_dscnt 0x0
	v_and_b32_e32 v79, 0xffff0000, v0
	v_lshlrev_b32_e32 v78, 16, v0
	scratch_load_b32 v0, off, off           ; 4-byte Folded Reload
	v_dual_lshlrev_b32 v80, 16, v1 :: v_dual_lshlrev_b32 v82, 16, v2
	v_and_b32_e32 v83, 0xffff0000, v2
	scratch_load_b32 v2, off, off offset:208 ; 4-byte Folded Reload
	v_lshlrev_b32_e32 v84, 16, v3
	v_and_b32_e32 v81, 0xffff0000, v1
	v_and_b32_e32 v85, 0xffff0000, v3
	s_wait_loadcnt 0x1
	v_lshlrev_b32_e32 v28, 4, v0
	v_subrev_nc_u32_e32 v0, s34, v0
	s_wait_loadcnt 0x0
	v_lshl_or_b32 v1, v2, 7, v31
	s_delay_alu instid0(VALU_DEP_3)
	v_add_nc_u64_e32 v[4:5], s[26:27], v[28:29]
	v_and_b32_e32 v28, 0x7c, v30
	s_clause 0x1
	scratch_store_b64 off, v[4:5], off offset:196
	scratch_store_b32 off, v30, off offset:216
	v_add_nc_u64_e32 v[88:89], s[28:29], v[28:29]
	v_add_nc_u32_e32 v0, 1, v0
	s_wait_xcnt 0x1
	v_dual_mov_b32 v5, v2 :: v_dual_add_nc_u32 v4, 0xc0, v1
	v_lshlrev_b32_e32 v90, 5, v2
	s_mov_b32 s29, 0
	s_mov_b64 s[26:27], 0xffffffffffffff
	s_add_co_i32 s28, s3, s4
	s_mov_b32 s15, s29
	scratch_store_b32 off, v0, off offset:204 ; 4-byte Folded Spill
	s_branch .LBB346_15
.LBB346_10:                             ;   in Loop: Header=BB346_15 Depth=1
	s_or_b32 exec_lo, exec_lo, s46
	v_lshlrev_b32_e32 v8, 24, v8
	s_delay_alu instid0(VALU_DEP_2) | instskip(SKIP_1) | instid1(VALU_DEP_3)
	v_lshlrev_b32_e32 v16, 20, v28
	v_lshl_add_u32 v9, v9, 23, 0x3c000000
	v_and_b32_e32 v8, 0x80000000, v8
	s_delay_alu instid0(VALU_DEP_1)
	v_or3_b32 v53, v16, v8, v9
.LBB346_11:                             ;   in Loop: Header=BB346_15 Depth=1
	s_or_b32 exec_lo, exec_lo, s45
.LBB346_12:                             ;   in Loop: Header=BB346_15 Depth=1
	s_delay_alu instid0(SALU_CYCLE_1)
	s_or_b32 exec_lo, exec_lo, s44
.LBB346_13:                             ;   in Loop: Header=BB346_15 Depth=1
	s_delay_alu instid0(SALU_CYCLE_1)
	s_or_b32 exec_lo, exec_lo, s43
	s_wait_kmcnt 0x0
	v_pk_mul_f32 v[8:9], s[4:5], v[24:25] op_sel_hi:[0,1]
	v_pk_mul_f32 v[2:3], s[4:5], v[2:3] op_sel_hi:[0,1]
	;; [unrolled: 1-line block ×4, first 2 shown]
	s_delay_alu instid0(VALU_DEP_4) | instskip(SKIP_1) | instid1(VALU_DEP_1)
	v_cvt_pk_bf16_f32 v91, v8, v9
	v_pk_mul_f32 v[8:9], s[4:5], v[46:47] op_sel_hi:[0,1]
	v_cvt_pk_bf16_f32 v54, v8, v9
	v_pk_mul_f32 v[8:9], s[4:5], v[44:45] op_sel_hi:[0,1]
	s_delay_alu instid0(VALU_DEP_1) | instskip(SKIP_1) | instid1(VALU_DEP_1)
	v_cvt_pk_bf16_f32 v16, v8, v9
	v_pk_mul_f32 v[8:9], s[4:5], v[12:13] op_sel_hi:[0,1]
	v_cvt_pk_bf16_f32 v55, v8, v9
	v_pk_mul_f32 v[8:9], s[4:5], v[14:15] op_sel_hi:[0,1]
	;; [unrolled: 2-line block ×3, first 2 shown]
	s_delay_alu instid0(VALU_DEP_3) | instskip(SKIP_1) | instid1(VALU_DEP_3)
	v_cvt_pk_bf16_f32 v14, v8, v9
	v_pk_mul_f32 v[8:9], s[4:5], v[34:35] op_sel_hi:[0,1]
	v_cvt_pk_bf16_f32 v46, v2, v3
	v_pk_mul_f32 v[2:3], s[4:5], v[18:19] op_sel_hi:[0,1]
	s_delay_alu instid0(VALU_DEP_1) | instskip(SKIP_4) | instid1(VALU_DEP_2)
	v_cvt_pk_bf16_f32 v17, v2, v3
	v_pk_mul_f32 v[2:3], s[4:5], v[22:23] op_sel_hi:[0,1]
	scratch_load_b32 v22, off, off offset:204 ; 4-byte Folded Reload
	v_cvt_pk_bf16_f32 v6, v2, v3
	v_pk_mul_f32 v[2:3], s[4:5], v[42:43] op_sel_hi:[0,1]
	v_and_b32_e32 v45, 0xffff0000, v6
	s_delay_alu instid0(VALU_DEP_2) | instskip(SKIP_1) | instid1(VALU_DEP_1)
	v_cvt_pk_bf16_f32 v7, v2, v3
	v_pk_mul_f32 v[2:3], s[4:5], v[40:41] op_sel_hi:[0,1]
	v_cvt_pk_bf16_f32 v12, v2, v3
	v_pk_mul_f32 v[2:3], s[4:5], v[10:11] op_sel_hi:[0,1]
	;; [unrolled: 2-line block ×3, first 2 shown]
	v_and_b32_e32 v87, 0xffff0000, v91
	s_delay_alu instid0(VALU_DEP_4) | instskip(SKIP_1) | instid1(VALU_DEP_4)
	v_cvt_pk_bf16_f32 v47, v2, v3
	v_pk_mul_f32 v[2:3], s[4:5], v[36:37] op_sel_hi:[0,1]
	v_cvt_pk_bf16_f32 v11, v0, v1
	v_pk_mul_f32 v[0:1], s[4:5], v[126:127] op_sel_hi:[0,1]
	s_delay_alu instid0(VALU_DEP_3) | instskip(SKIP_2) | instid1(VALU_DEP_1)
	v_cvt_pk_bf16_f32 v2, v2, v3
	v_cvt_pk_bf16_f32 v3, v8, v9
	v_pk_mul_f32 v[8:9], s[4:5], v[32:33] op_sel_hi:[0,1]
	v_cvt_pk_bf16_f32 v40, v8, v9
	v_pk_mul_f32 v[8:9], s[4:5], v[38:39] op_sel_hi:[0,1]
	;; [unrolled: 2-line block ×3, first 2 shown]
	s_delay_alu instid0(VALU_DEP_3) | instskip(NEXT) | instid1(VALU_DEP_2)
	v_cvt_pk_bf16_f32 v13, v8, v9
	v_cvt_pk_bf16_f32 v30, v0, v1
	v_pk_mul_f32 v[0:1], s[4:5], v[122:123] op_sel_hi:[0,1]
	v_lshlrev_b32_e32 v122, 16, v16
	v_and_b32_e32 v123, 0xffff0000, v16
	s_delay_alu instid0(VALU_DEP_3) | instskip(SKIP_4) | instid1(VALU_DEP_4)
	v_cvt_pk_bf16_f32 v18, v0, v1
	v_pk_mul_f32 v[0:1], s[4:5], v[120:121] op_sel_hi:[0,1]
	v_and_b32_e32 v121, 0xffff0000, v46
	v_lshlrev_b32_e32 v120, 16, v46
	v_lshlrev_b32_e32 v46, 16, v14
	v_cvt_pk_bf16_f32 v19, v0, v1
	v_pk_mul_f32 v[0:1], s[4:5], v[118:119] op_sel_hi:[0,1]
	v_and_b32_e32 v119, 0xffff0000, v12
	v_dual_lshlrev_b32 v118, 16, v12 :: v_dual_lshlrev_b32 v12, 16, v7
	s_delay_alu instid0(VALU_DEP_3)
	v_cvt_pk_bf16_f32 v39, v0, v1
	v_pk_mul_f32 v[0:1], s[4:5], v[124:125] op_sel_hi:[0,1]
	v_pk_mul_f32 v[124:125], s[4:5], v[102:103] op_sel_hi:[0,1]
	v_and_b32_e32 v103, 0xffff0000, v11
	v_lshlrev_b32_e32 v102, 16, v11
	v_and_b32_e32 v11, 0xffff0000, v30
	v_cvt_pk_bf16_f32 v31, v0, v1
	v_pk_mul_f32 v[0:1], s[4:5], v[114:115] op_sel_hi:[0,1]
	v_and_b32_e32 v115, 0xffff0000, v38
	v_cvt_pk_bf16_f32 v16, v124, v125
	v_dual_lshlrev_b32 v86, 16, v91 :: v_dual_lshlrev_b32 v114, 16, v38
	s_delay_alu instid0(VALU_DEP_4)
	v_cvt_pk_bf16_f32 v32, v0, v1
	v_pk_mul_f32 v[0:1], s[4:5], v[112:113] op_sel_hi:[0,1]
	v_and_b32_e32 v113, 0xffff0000, v39
	v_lshlrev_b32_e32 v112, 16, v39
	v_and_b32_e32 v39, 0xffff0000, v10
	v_lshlrev_b32_e32 v38, 16, v10
	v_cvt_pk_bf16_f32 v33, v0, v1
	v_pk_mul_f32 v[0:1], s[4:5], v[110:111] op_sel_hi:[0,1]
	v_dual_lshlrev_b32 v10, 16, v30 :: v_dual_lshlrev_b32 v30, 16, v55
	s_delay_alu instid0(VALU_DEP_3) | instskip(NEXT) | instid1(VALU_DEP_3)
	v_and_b32_e32 v51, 0xffff0000, v33
	v_cvt_pk_bf16_f32 v42, v0, v1
	v_pk_mul_f32 v[0:1], s[4:5], v[116:117] op_sel_hi:[0,1]
	v_and_b32_e32 v117, 0xffff0000, v40
	v_dual_lshlrev_b32 v116, 16, v40 :: v_dual_lshlrev_b32 v40, 16, v2
	s_delay_alu instid0(VALU_DEP_4) | instskip(NEXT) | instid1(VALU_DEP_4)
	v_and_b32_e32 v111, 0xffff0000, v42
	v_cvt_pk_bf16_f32 v41, v0, v1
	v_pk_mul_f32 v[0:1], s[4:5], v[108:109] op_sel_hi:[0,1]
	v_lshlrev_b32_e32 v110, 16, v42
	v_dual_lshlrev_b32 v42, 16, v18 :: v_dual_lshlrev_b32 v50, 16, v33
	s_delay_alu instid0(VALU_DEP_4) | instskip(NEXT) | instid1(VALU_DEP_4)
	v_and_b32_e32 v33, 0xffff0000, v41
	v_cvt_pk_bf16_f32 v34, v0, v1
	v_pk_mul_f32 v[0:1], s[4:5], v[106:107] op_sel_hi:[0,1]
	v_pk_mul_f32 v[106:107], s[4:5], v[48:49] op_sel_hi:[0,1]
	s_delay_alu instid0(VALU_DEP_2) | instskip(SKIP_3) | instid1(VALU_DEP_3)
	v_cvt_pk_bf16_f32 v35, v0, v1
	v_pk_mul_f32 v[0:1], s[4:5], v[100:101] op_sel_hi:[0,1]
	v_and_b32_e32 v101, 0xffff0000, v54
	v_lshlrev_b32_e32 v100, 16, v54
	v_cvt_pk_bf16_f32 v43, v0, v1
	v_pk_mul_f32 v[0:1], s[4:5], v[104:105] op_sel_hi:[0,1]
	v_and_b32_e32 v105, 0xffff0000, v19
	v_lshlrev_b32_e32 v104, 16, v19
	v_and_b32_e32 v19, 0xffff0000, v31
	v_and_b32_e32 v109, 0xffff0000, v43
	v_cvt_pk_bf16_f32 v44, v0, v1
	v_pk_mul_f32 v[0:1], s[4:5], v[96:97] op_sel_hi:[0,1]
	v_lshlrev_b32_e32 v108, 16, v43
	v_and_b32_e32 v43, 0xffff0000, v18
	v_lshlrev_b32_e32 v18, 16, v31
	v_and_b32_e32 v31, 0xffff0000, v55
	v_cvt_pk_bf16_f32 v36, v0, v1
	scratch_load_b64 v[54:55], off, off offset:12 ; 8-byte Folded Reload
	v_pk_mul_f32 v[0:1], s[4:5], v[94:95] op_sel_hi:[0,1]
	v_and_b32_e32 v95, 0xffff0000, v34
	v_lshlrev_b32_e32 v96, 16, v15
	v_and_b32_e32 v37, 0xffff0000, v36
	v_lshlrev_b32_e32 v36, 16, v36
	v_cvt_pk_bf16_f32 v8, v0, v1
	v_pk_mul_f32 v[0:1], s[4:5], v[92:93] op_sel_hi:[0,1]
	v_lshlrev_b32_e32 v92, 16, v32
	v_and_b32_e32 v93, 0xffff0000, v32
	v_and_b32_e32 v97, 0xffff0000, v15
	;; [unrolled: 1-line block ×3, first 2 shown]
	v_cvt_pk_bf16_f32 v9, v0, v1
	v_pk_mul_f32 v[0:1], s[4:5], v[98:99] op_sel_hi:[0,1]
	v_lshlrev_b32_e32 v98, 16, v3
	v_and_b32_e32 v99, 0xffff0000, v3
	v_and_b32_e32 v3, 0xffff0000, v13
	;; [unrolled: 1-line block ×3, first 2 shown]
	v_cvt_pk_bf16_f32 v0, v0, v1
	scratch_load_b32 v1, off, off           ; 4-byte Folded Reload
	v_lshlrev_b32_e32 v48, 16, v9
	v_and_b32_e32 v9, 0xffff0000, v8
	v_dual_lshlrev_b32 v8, 16, v8 :: v_dual_lshlrev_b32 v94, 16, v34
	v_dual_lshlrev_b32 v34, 16, v44 :: v_dual_lshlrev_b32 v32, 16, v41
	v_and_b32_e32 v41, 0xffff0000, v2
	v_lshlrev_b32_e32 v2, 16, v13
	v_and_b32_e32 v13, 0xffff0000, v7
	v_and_b32_e32 v7, 0xffff0000, v47
	s_wait_loadcnt 0x1
	v_pk_mul_f32 v[54:55], v[54:55], v[108:109]
	scratch_load_b64 v[108:109], off, off offset:4 ; 8-byte Folded Reload
	v_add_nc_u32_e32 v22, v22, v90
	s_delay_alu instid0(VALU_DEP_1) | instskip(NEXT) | instid1(VALU_DEP_1)
	v_cvt_f32_i32_e32 v22, v22
	v_mul_f32_e32 v28, s38, v22
	v_pk_mul_f32 v[22:23], s[4:5], v[52:53] op_sel_hi:[0,1]
	v_and_b32_e32 v53, 0xffff0000, v35
	v_lshlrev_b32_e32 v52, 16, v35
	v_and_b32_e32 v35, 0xffff0000, v44
	v_dual_cndmask_b32 v28, 0, v28, vcc_lo :: v_dual_lshlrev_b32 v44, 16, v6
	s_wait_loadcnt 0x1
	v_dual_lshlrev_b32 v6, 16, v47 :: v_dual_add_nc_u32 v1, v1, v90
	v_and_b32_e32 v47, 0xffff0000, v14
	v_lshlrev_b32_e32 v14, 16, v17
	v_and_b32_e32 v17, 0xffff0000, v16
	v_lshlrev_b32_e32 v16, 16, v16
	v_cmp_gt_i32_e64 s3, s34, v1
	v_and_b32_e32 v1, 0xffff0000, v0
	v_lshlrev_b32_e32 v0, 16, v0
	v_cvt_pk_bf16_f32 v22, v22, v23
	s_wait_loadcnt 0x0
	v_pk_fma_f32 v[48:49], v[108:109], v[48:49], v[54:55]
	scratch_load_b64 v[54:55], off, off offset:20 ; 8-byte Folded Reload
	s_wait_loadcnt 0x0
	v_pk_fma_f32 v[48:49], v[54:55], v[110:111], v[48:49]
	scratch_load_b64 v[54:55], off, off offset:28 ; 8-byte Folded Reload
	;; [unrolled: 3-line block ×5, first 2 shown]
	v_pk_fma_f32 v[48:49], v[20:21], v[118:119], v[48:49]
	s_delay_alu instid0(VALU_DEP_1) | instskip(NEXT) | instid1(VALU_DEP_1)
	v_pk_fma_f32 v[48:49], v[62:63], v[120:121], v[48:49]
	v_pk_fma_f32 v[48:49], v[70:71], v[122:123], v[48:49]
	s_delay_alu instid0(VALU_DEP_1)
	v_pk_fma_f32 v[48:49], v[78:79], v[16:17], v[48:49]
	v_cvt_pk_bf16_f32 v16, v106, v107
	s_wait_loadcnt 0x0
	v_pk_mul_f32 v[52:53], v[54:55], v[52:53]
	scratch_load_b64 v[54:55], off, off offset:52 ; 8-byte Folded Reload
	s_wait_loadcnt 0x0
	v_pk_fma_f32 v[8:9], v[54:55], v[8:9], v[52:53]
	scratch_load_b64 v[52:53], off, off offset:68 ; 8-byte Folded Reload
	s_wait_loadcnt 0x0
	v_pk_fma_f32 v[8:9], v[52:53], v[50:51], v[8:9]
	;; [unrolled: 3-line block ×5, first 2 shown]
	s_delay_alu instid0(VALU_DEP_1)
	v_pk_fma_f32 v[8:9], v[56:57], v[12:13], v[8:9]
	v_and_b32_e32 v13, 0xffff0000, v16
	v_lshlrev_b32_e32 v12, 16, v16
	v_cvt_pk_bf16_f32 v16, v24, v25
	scratch_load_b64 v[24:25], off, off offset:100 ; 8-byte Folded Reload
	v_pk_fma_f32 v[8:9], v[64:65], v[96:97], v[8:9]
	v_and_b32_e32 v17, 0xffff0000, v16
	v_lshlrev_b32_e32 v16, 16, v16
	s_delay_alu instid0(VALU_DEP_3) | instskip(NEXT) | instid1(VALU_DEP_1)
	v_pk_fma_f32 v[8:9], v[72:73], v[100:101], v[8:9]
	v_pk_fma_f32 v[8:9], v[80:81], v[12:13], v[8:9]
	scratch_load_b64 v[12:13], off, off offset:108 ; 8-byte Folded Reload
	s_wait_loadcnt 0x0
	v_pk_mul_f32 v[12:13], v[12:13], v[94:95]
	s_delay_alu instid0(VALU_DEP_1)
	v_pk_fma_f32 v[12:13], v[24:25], v[36:37], v[12:13]
	scratch_load_b64 v[24:25], off, off offset:124 ; 8-byte Folded Reload
	s_wait_loadcnt 0x0
	v_pk_fma_f32 v[12:13], v[24:25], v[92:93], v[12:13]
	scratch_load_b64 v[24:25], off, off offset:140 ; 8-byte Folded Reload
	s_wait_loadcnt 0x0
	;; [unrolled: 3-line block ×4, first 2 shown]
	v_pk_fma_f32 v[12:13], v[24:25], v[40:41], v[12:13]
	scratch_load_b64 v[24:25], off, off offset:116 ; 8-byte Folded Reload
	v_pk_fma_f32 v[12:13], v[58:59], v[44:45], v[12:13]
	s_delay_alu instid0(VALU_DEP_1) | instskip(NEXT) | instid1(VALU_DEP_1)
	v_pk_fma_f32 v[12:13], v[66:67], v[46:47], v[12:13]
	v_pk_fma_f32 v[12:13], v[74:75], v[86:87], v[12:13]
	s_delay_alu instid0(VALU_DEP_1) | instskip(SKIP_3) | instid1(VALU_DEP_1)
	v_pk_fma_f32 v[12:13], v[82:83], v[16:17], v[12:13]
	scratch_load_b64 v[16:17], off, off offset:132 ; 8-byte Folded Reload
	s_wait_loadcnt 0x0
	v_pk_mul_f32 v[16:17], v[16:17], v[34:35]
	v_pk_fma_f32 v[0:1], v[24:25], v[0:1], v[16:17]
	scratch_load_b64 v[16:17], off, off offset:148 ; 8-byte Folded Reload
	s_wait_loadcnt 0x0
	v_pk_fma_f32 v[0:1], v[16:17], v[32:33], v[0:1]
	scratch_load_b64 v[16:17], off, off offset:164 ; 8-byte Folded Reload
	s_wait_loadcnt 0x0
	;; [unrolled: 3-line block ×4, first 2 shown]
	v_pk_fma_f32 v[0:1], v[10:11], v[2:3], v[0:1]
	v_and_b32_e32 v3, 0xffff0000, v22
	v_lshlrev_b32_e32 v2, 16, v22
	s_delay_alu instid0(VALU_DEP_3) | instskip(NEXT) | instid1(VALU_DEP_1)
	v_pk_fma_f32 v[0:1], v[60:61], v[6:7], v[0:1]
	v_pk_fma_f32 v[0:1], v[68:69], v[14:15], v[0:1]
	s_delay_alu instid0(VALU_DEP_1) | instskip(NEXT) | instid1(VALU_DEP_1)
	v_pk_fma_f32 v[0:1], v[76:77], v[30:31], v[0:1]
	v_pk_fma_f32 v[0:1], v[84:85], v[2:3], v[0:1]
	v_add_f32_e32 v2, v48, v49
	s_delay_alu instid0(VALU_DEP_1) | instskip(NEXT) | instid1(VALU_DEP_1)
	v_add_f32_e32 v2, v2, v8
	v_add_f32_e32 v2, v2, v9
	s_delay_alu instid0(VALU_DEP_1) | instskip(NEXT) | instid1(VALU_DEP_1)
	v_add_f32_e32 v2, v2, v12
	;; [unrolled: 3-line block ×3, first 2 shown]
	v_add_f32_e32 v0, v0, v1
	s_delay_alu instid0(VALU_DEP_1) | instskip(NEXT) | instid1(VALU_DEP_1)
	v_fmac_f32_e32 v28, s25, v0
	v_cndmask_b32_e64 v0, 0, v28, s3
	ds_store_b32 v4, v0
	v_max_num_f32_e32 v0, v27, v27
	s_delay_alu instid0(VALU_DEP_1) | instskip(NEXT) | instid1(VALU_DEP_1)
	v_max_num_f32_e32 v0, v0, v28
	v_cndmask_b32_e64 v27, v27, v0, s3
.LBB346_14:                             ;   in Loop: Header=BB346_15 Depth=1
	s_wait_xcnt 0x0
	s_or_b32 exec_lo, exec_lo, s42
	v_add_nc_u32_e32 v5, 4, v5
	v_add_nc_u64_e32 v[88:89], 16, v[88:89]
	v_add_nc_u32_e32 v90, 0x80, v90
	v_add_nc_u32_e32 v4, 0x200, v4
	s_delay_alu instid0(VALU_DEP_4) | instskip(SKIP_1) | instid1(SALU_CYCLE_1)
	v_cmp_le_i32_e64 s3, s36, v5
	s_or_b32 s15, s3, s15
	s_and_not1_b32 exec_lo, exec_lo, s15
	s_cbranch_execz .LBB346_615
.LBB346_15:                             ; =>This Inner Loop Header: Depth=1
	v_mov_b32_e32 v91, v29
	s_wait_xcnt 0x0
	s_delay_alu instid0(VALU_DEP_1) | instskip(NEXT) | instid1(VALU_DEP_1)
	v_mul_u64_e32 v[0:1], s[18:19], v[90:91]
	v_mul_lo_u32 v0, v1, s12
	s_delay_alu instid0(VALU_DEP_1) | instskip(NEXT) | instid1(VALU_DEP_1)
	v_sub_nc_u32_e32 v0, v90, v0
	v_subrev_nc_u32_e32 v3, s12, v0
	v_cmp_le_u32_e64 s3, s12, v0
	s_delay_alu instid0(VALU_DEP_1) | instskip(NEXT) | instid1(VALU_DEP_1)
	v_dual_add_nc_u32 v2, 1, v1 :: v_dual_cndmask_b32 v0, v0, v3, s3
	v_cndmask_b32_e64 v1, v1, v2, s3
	s_delay_alu instid0(VALU_DEP_2) | instskip(NEXT) | instid1(VALU_DEP_2)
	v_cmp_le_u32_e64 s3, s12, v0
	v_add_nc_u32_e32 v2, 1, v1
	s_delay_alu instid0(VALU_DEP_1) | instskip(NEXT) | instid1(VALU_DEP_1)
	v_cndmask_b32_e64 v0, v1, v2, s3
	v_xor_b32_e32 v0, s35, v0
	s_delay_alu instid0(VALU_DEP_1) | instskip(NEXT) | instid1(VALU_DEP_1)
	v_subrev_nc_u32_e32 v2, s35, v0
	v_add_nc_u32_e32 v3, s17, v2
	v_cmp_ge_i32_e64 s4, s39, v2
	s_delay_alu instid0(VALU_DEP_2) | instskip(NEXT) | instid1(VALU_DEP_1)
	v_sub_nc_u32_e32 v0, 0, v3
	v_dual_ashrrev_i32 v3, 31, v3 :: v_dual_max_i32 v28, v3, v0
	s_delay_alu instid0(VALU_DEP_1) | instskip(NEXT) | instid1(VALU_DEP_1)
	v_mul_u64_e32 v[0:1], s[28:29], v[28:29]
	v_mul_lo_u32 v0, v1, s40
	s_delay_alu instid0(VALU_DEP_1) | instskip(NEXT) | instid1(VALU_DEP_1)
	v_sub_nc_u32_e32 v0, v28, v0
	v_subrev_nc_u32_e32 v1, s40, v0
	v_cmp_le_u32_e64 s3, s40, v0
	s_delay_alu instid0(VALU_DEP_1) | instskip(NEXT) | instid1(VALU_DEP_1)
	v_cndmask_b32_e64 v0, v0, v1, s3
	v_subrev_nc_u32_e32 v1, s40, v0
	v_cmp_le_u32_e64 s3, s40, v0
	s_delay_alu instid0(VALU_DEP_1) | instskip(NEXT) | instid1(VALU_DEP_1)
	v_cndmask_b32_e64 v0, v0, v1, s3
	v_xor_b32_e32 v0, v0, v3
	s_delay_alu instid0(VALU_DEP_1) | instskip(NEXT) | instid1(VALU_DEP_1)
	v_sub_nc_u32_e32 v0, v0, v3
	v_cmp_ne_u32_e64 s3, 0, v0
	s_and_b32 s3, s3, s4
	s_delay_alu instid0(SALU_CYCLE_1) | instskip(NEXT) | instid1(SALU_CYCLE_1)
	s_and_saveexec_b32 s4, s3
	s_xor_b32 s3, exec_lo, s4
; %bb.16:                               ;   in Loop: Header=BB346_15 Depth=1
	v_mov_b32_e32 v0, 0xff7fffff
	ds_store_b32 v4, v0
; %bb.17:                               ;   in Loop: Header=BB346_15 Depth=1
	s_and_not1_saveexec_b32 s42, s3
	s_cbranch_execz .LBB346_14
; %bb.18:                               ;   in Loop: Header=BB346_15 Depth=1
	global_load_b32 v0, v[88:89], off
	scratch_load_b64 v[2:3], off, off offset:196 ; 8-byte Folded Reload
	s_load_b32 s4, s[8:9], 0x0
	v_dual_mov_b32 v93, 0 :: v_dual_mov_b32 v92, 0
	s_mov_b32 s43, exec_lo
	s_wait_loadcnt 0x0
	v_mad_nc_i64_i32 v[102:103], v0, s41, v[2:3]
	global_load_b64 v[0:1], v[102:103], off
	s_wait_loadcnt 0x0
	v_and_b32_e32 v2, 0xff, v0
	s_wait_xcnt 0x0
	s_delay_alu instid0(VALU_DEP_1)
	v_cmpx_ne_u16_e32 0, v2
	s_cbranch_execz .LBB346_24
; %bb.19:                               ;   in Loop: Header=BB346_15 Depth=1
	v_bfrev_b32_e32 v92, 1
	s_mov_b32 s44, exec_lo
	v_cmpx_ne_u16_e32 0x80, v2
	s_cbranch_execz .LBB346_23
; %bb.20:                               ;   in Loop: Header=BB346_15 Depth=1
	v_and_b32_e32 v2, 0x7f, v0
	v_mov_b32_e32 v92, 0x7f800001
	s_mov_b32 s45, exec_lo
	s_delay_alu instid0(VALU_DEP_2)
	v_cmpx_ne_u32_e32 0x7f, v2
	s_cbranch_execz .LBB346_22
; %bb.21:                               ;   in Loop: Header=BB346_15 Depth=1
	v_dual_lshrrev_b32 v6, 3, v2 :: v_dual_bitop2_b32 v3, 7, v0 bitop3:0x40
	v_cmp_gt_u32_e64 s3, 8, v2
	s_delay_alu instid0(VALU_DEP_2) | instskip(NEXT) | instid1(VALU_DEP_1)
	v_clz_i32_u32_e32 v3, v3
	v_min_u32_e32 v3, 32, v3
	s_delay_alu instid0(VALU_DEP_1) | instskip(SKIP_1) | instid1(VALU_DEP_2)
	v_subrev_nc_u32_e32 v7, 28, v3
	v_sub_nc_u32_e32 v3, 29, v3
	v_cndmask_b32_e64 v2, 0, v7, s3
	s_delay_alu instid0(VALU_DEP_2) | instskip(NEXT) | instid1(VALU_DEP_2)
	v_cndmask_b32_e64 v6, v6, v3, s3
	v_lshlrev_b64_e32 v[2:3], v2, v[0:1]
	v_lshlrev_b32_e32 v3, 24, v0
	s_delay_alu instid0(VALU_DEP_3) | instskip(NEXT) | instid1(VALU_DEP_2)
	v_lshl_add_u32 v6, v6, 23, 0x3c000000
	v_and_b32_e32 v3, 0x80000000, v3
	s_delay_alu instid0(VALU_DEP_4) | instskip(NEXT) | instid1(VALU_DEP_1)
	v_lshlrev_b32_e32 v2, 20, v2
	v_and_b32_e32 v2, 0x700000, v2
	s_delay_alu instid0(VALU_DEP_1)
	v_or3_b32 v92, v2, v3, v6
.LBB346_22:                             ;   in Loop: Header=BB346_15 Depth=1
	s_or_b32 exec_lo, exec_lo, s45
.LBB346_23:                             ;   in Loop: Header=BB346_15 Depth=1
	s_delay_alu instid0(SALU_CYCLE_1)
	s_or_b32 exec_lo, exec_lo, s44
.LBB346_24:                             ;   in Loop: Header=BB346_15 Depth=1
	s_delay_alu instid0(SALU_CYCLE_1) | instskip(SKIP_2) | instid1(VALU_DEP_1)
	s_or_b32 exec_lo, exec_lo, s43
	v_lshrrev_b16 v2, 8, v0
	s_mov_b32 s43, exec_lo
	v_cmpx_ne_u16_e32 0, v2
	s_cbranch_execz .LBB346_32
; %bb.25:                               ;   in Loop: Header=BB346_15 Depth=1
	v_bfrev_b32_e32 v93, 1
	s_mov_b32 s44, exec_lo
	v_cmpx_ne_u16_e32 0x80, v2
	s_cbranch_execz .LBB346_31
; %bb.26:                               ;   in Loop: Header=BB346_15 Depth=1
	v_and_b32_e32 v2, 0xffff, v2
	v_mov_b32_e32 v93, 0x7f800001
	s_mov_b32 s45, exec_lo
	s_delay_alu instid0(VALU_DEP_2) | instskip(NEXT) | instid1(VALU_DEP_1)
	v_and_b32_e32 v3, 0x7f, v2
	v_cmpx_ne_u32_e32 0x7f, v3
	s_cbranch_execz .LBB346_30
; %bb.27:                               ;   in Loop: Header=BB346_15 Depth=1
	v_dual_lshrrev_b32 v2, 3, v3 :: v_dual_bitop2_b32 v28, 7, v2 bitop3:0x40
	s_mov_b32 s46, exec_lo
	v_cmpx_gt_u32_e32 8, v3
; %bb.28:                               ;   in Loop: Header=BB346_15 Depth=1
	s_delay_alu instid0(VALU_DEP_2) | instskip(NEXT) | instid1(VALU_DEP_1)
	v_clz_i32_u32_e32 v2, v28
	v_min_u32_e32 v2, 32, v2
	s_delay_alu instid0(VALU_DEP_1) | instskip(SKIP_1) | instid1(VALU_DEP_2)
	v_subrev_nc_u32_e32 v3, 28, v2
	v_sub_nc_u32_e32 v2, 29, v2
	v_lshlrev_b64_e32 v[6:7], v3, v[28:29]
	s_delay_alu instid0(VALU_DEP_1)
	v_and_b32_e32 v28, 7, v6
; %bb.29:                               ;   in Loop: Header=BB346_15 Depth=1
	s_or_b32 exec_lo, exec_lo, s46
	v_lshlrev_b32_e32 v3, 16, v0
	s_delay_alu instid0(VALU_DEP_2) | instskip(SKIP_1) | instid1(VALU_DEP_3)
	v_lshlrev_b32_e32 v6, 20, v28
	v_lshl_add_u32 v2, v2, 23, 0x3c000000
	v_and_b32_e32 v3, 0x80000000, v3
	s_delay_alu instid0(VALU_DEP_1)
	v_or3_b32 v93, v6, v3, v2
.LBB346_30:                             ;   in Loop: Header=BB346_15 Depth=1
	s_or_b32 exec_lo, exec_lo, s45
.LBB346_31:                             ;   in Loop: Header=BB346_15 Depth=1
	s_delay_alu instid0(SALU_CYCLE_1)
	s_or_b32 exec_lo, exec_lo, s44
.LBB346_32:                             ;   in Loop: Header=BB346_15 Depth=1
	s_delay_alu instid0(SALU_CYCLE_1) | instskip(SKIP_3) | instid1(VALU_DEP_2)
	s_or_b32 exec_lo, exec_lo, s43
	v_dual_mov_b32 v95, 0 :: v_dual_lshrrev_b32 v2, 16, v0
	v_mov_b32_e32 v94, 0
	s_mov_b32 s43, exec_lo
	v_and_b32_e32 v3, 0xff, v2
	s_delay_alu instid0(VALU_DEP_1)
	v_cmpx_ne_u16_e32 0, v3
	s_cbranch_execz .LBB346_40
; %bb.33:                               ;   in Loop: Header=BB346_15 Depth=1
	v_bfrev_b32_e32 v94, 1
	s_mov_b32 s44, exec_lo
	v_cmpx_ne_u16_e32 0x80, v3
	s_cbranch_execz .LBB346_39
; %bb.34:                               ;   in Loop: Header=BB346_15 Depth=1
	v_bfe_u32 v6, v0, 16, 7
	v_mov_b32_e32 v94, 0x7f800001
	s_mov_b32 s45, exec_lo
	s_delay_alu instid0(VALU_DEP_2)
	v_cmpx_ne_u32_e32 0x7f, v6
	s_cbranch_execz .LBB346_38
; %bb.35:                               ;   in Loop: Header=BB346_15 Depth=1
	v_and_b32_e32 v28, 7, v2
	v_lshrrev_b32_e32 v3, 3, v6
	s_mov_b32 s46, exec_lo
	v_cmpx_gt_u32_e32 8, v6
; %bb.36:                               ;   in Loop: Header=BB346_15 Depth=1
	s_delay_alu instid0(VALU_DEP_3) | instskip(NEXT) | instid1(VALU_DEP_1)
	v_clz_i32_u32_e32 v3, v28
	v_min_u32_e32 v3, 32, v3
	s_delay_alu instid0(VALU_DEP_1) | instskip(NEXT) | instid1(VALU_DEP_1)
	v_subrev_nc_u32_e32 v6, 28, v3
	v_lshlrev_b64_e32 v[6:7], v6, v[28:29]
	s_delay_alu instid0(VALU_DEP_1)
	v_dual_sub_nc_u32 v3, 29, v3 :: v_dual_bitop2_b32 v28, 7, v6 bitop3:0x40
; %bb.37:                               ;   in Loop: Header=BB346_15 Depth=1
	s_or_b32 exec_lo, exec_lo, s46
	s_delay_alu instid0(VALU_DEP_1) | instskip(NEXT) | instid1(VALU_DEP_2)
	v_dual_lshlrev_b32 v2, 24, v2 :: v_dual_lshlrev_b32 v6, 20, v28
	v_lshl_add_u32 v3, v3, 23, 0x3c000000
	s_delay_alu instid0(VALU_DEP_2) | instskip(NEXT) | instid1(VALU_DEP_1)
	v_and_b32_e32 v2, 0x80000000, v2
	v_or3_b32 v94, v6, v2, v3
.LBB346_38:                             ;   in Loop: Header=BB346_15 Depth=1
	s_or_b32 exec_lo, exec_lo, s45
.LBB346_39:                             ;   in Loop: Header=BB346_15 Depth=1
	s_delay_alu instid0(SALU_CYCLE_1)
	s_or_b32 exec_lo, exec_lo, s44
.LBB346_40:                             ;   in Loop: Header=BB346_15 Depth=1
	s_delay_alu instid0(SALU_CYCLE_1) | instskip(NEXT) | instid1(SALU_CYCLE_1)
	s_or_b32 exec_lo, exec_lo, s43
	s_mov_b32 s43, exec_lo
	v_cmpx_lt_u32_e32 0xffffff, v0
	s_cbranch_execz .LBB346_48
; %bb.41:                               ;   in Loop: Header=BB346_15 Depth=1
	v_lshrrev_b32_e32 v2, 24, v0
	v_bfrev_b32_e32 v95, 1
	s_mov_b32 s44, exec_lo
	s_delay_alu instid0(VALU_DEP_2)
	v_cmpx_ne_u32_e32 0x80, v2
	s_cbranch_execz .LBB346_47
; %bb.42:                               ;   in Loop: Header=BB346_15 Depth=1
	v_bfe_u32 v6, v0, 24, 7
	v_mov_b32_e32 v95, 0x7f800001
	s_mov_b32 s45, exec_lo
	s_delay_alu instid0(VALU_DEP_2)
	v_cmpx_ne_u32_e32 0x7f, v6
	s_cbranch_execz .LBB346_46
; %bb.43:                               ;   in Loop: Header=BB346_15 Depth=1
	v_and_b32_e32 v28, 7, v2
	v_lshrrev_b32_e32 v3, 3, v6
	s_mov_b32 s46, exec_lo
	v_cmpx_gt_u32_e32 8, v6
; %bb.44:                               ;   in Loop: Header=BB346_15 Depth=1
	s_delay_alu instid0(VALU_DEP_3) | instskip(NEXT) | instid1(VALU_DEP_1)
	v_clz_i32_u32_e32 v3, v28
	v_min_u32_e32 v3, 32, v3
	s_delay_alu instid0(VALU_DEP_1) | instskip(NEXT) | instid1(VALU_DEP_1)
	v_subrev_nc_u32_e32 v6, 28, v3
	v_lshlrev_b64_e32 v[6:7], v6, v[28:29]
	s_delay_alu instid0(VALU_DEP_1)
	v_dual_sub_nc_u32 v3, 29, v3 :: v_dual_bitop2_b32 v28, 7, v6 bitop3:0x40
; %bb.45:                               ;   in Loop: Header=BB346_15 Depth=1
	s_or_b32 exec_lo, exec_lo, s46
	s_delay_alu instid0(VALU_DEP_1) | instskip(NEXT) | instid1(VALU_DEP_2)
	v_dual_lshlrev_b32 v2, 24, v2 :: v_dual_lshlrev_b32 v6, 20, v28
	v_lshl_add_u32 v3, v3, 23, 0x3c000000
	s_delay_alu instid0(VALU_DEP_2) | instskip(NEXT) | instid1(VALU_DEP_1)
	v_and_b32_e32 v2, 0x80000000, v2
	v_or3_b32 v95, v6, v2, v3
.LBB346_46:                             ;   in Loop: Header=BB346_15 Depth=1
	s_or_b32 exec_lo, exec_lo, s45
.LBB346_47:                             ;   in Loop: Header=BB346_15 Depth=1
	s_delay_alu instid0(SALU_CYCLE_1)
	s_or_b32 exec_lo, exec_lo, s44
.LBB346_48:                             ;   in Loop: Header=BB346_15 Depth=1
	s_delay_alu instid0(SALU_CYCLE_1) | instskip(SKIP_4) | instid1(VALU_DEP_3)
	s_or_b32 exec_lo, exec_lo, s43
	v_and_b32_e32 v2, 0xff, v1
	v_dual_mov_b32 v28, v1 :: v_dual_mov_b32 v97, 0
	v_mov_b32_e32 v96, 0
	s_mov_b32 s43, exec_lo
	v_cmpx_ne_u16_e32 0, v2
	s_cbranch_execz .LBB346_54
; %bb.49:                               ;   in Loop: Header=BB346_15 Depth=1
	v_bfrev_b32_e32 v96, 1
	s_mov_b32 s44, exec_lo
	v_cmpx_ne_u16_e32 0x80, v2
	s_cbranch_execz .LBB346_53
; %bb.50:                               ;   in Loop: Header=BB346_15 Depth=1
	v_and_b32_e32 v2, 0x7f, v1
	v_mov_b32_e32 v96, 0x7f800001
	s_mov_b32 s45, exec_lo
	s_delay_alu instid0(VALU_DEP_2)
	v_cmpx_ne_u32_e32 0x7f, v2
	s_cbranch_execz .LBB346_52
; %bb.51:                               ;   in Loop: Header=BB346_15 Depth=1
	v_dual_lshrrev_b32 v6, 3, v2 :: v_dual_bitop2_b32 v3, 7, v1 bitop3:0x40
	v_cmp_gt_u32_e64 s3, 8, v2
	s_delay_alu instid0(VALU_DEP_2) | instskip(NEXT) | instid1(VALU_DEP_1)
	v_clz_i32_u32_e32 v3, v3
	v_min_u32_e32 v3, 32, v3
	s_delay_alu instid0(VALU_DEP_1) | instskip(SKIP_1) | instid1(VALU_DEP_2)
	v_subrev_nc_u32_e32 v7, 28, v3
	v_sub_nc_u32_e32 v3, 29, v3
	v_cndmask_b32_e64 v2, 0, v7, s3
	s_delay_alu instid0(VALU_DEP_2) | instskip(NEXT) | instid1(VALU_DEP_2)
	v_cndmask_b32_e64 v6, v6, v3, s3
	v_lshlrev_b64_e32 v[2:3], v2, v[28:29]
	v_lshlrev_b32_e32 v3, 24, v28
	s_delay_alu instid0(VALU_DEP_3) | instskip(NEXT) | instid1(VALU_DEP_2)
	v_lshl_add_u32 v6, v6, 23, 0x3c000000
	v_and_b32_e32 v3, 0x80000000, v3
	s_delay_alu instid0(VALU_DEP_4) | instskip(NEXT) | instid1(VALU_DEP_1)
	v_lshlrev_b32_e32 v2, 20, v2
	v_and_b32_e32 v2, 0x700000, v2
	s_delay_alu instid0(VALU_DEP_1)
	v_or3_b32 v96, v2, v3, v6
.LBB346_52:                             ;   in Loop: Header=BB346_15 Depth=1
	s_or_b32 exec_lo, exec_lo, s45
.LBB346_53:                             ;   in Loop: Header=BB346_15 Depth=1
	s_delay_alu instid0(SALU_CYCLE_1)
	s_or_b32 exec_lo, exec_lo, s44
.LBB346_54:                             ;   in Loop: Header=BB346_15 Depth=1
	s_delay_alu instid0(SALU_CYCLE_1) | instskip(SKIP_2) | instid1(VALU_DEP_1)
	s_or_b32 exec_lo, exec_lo, s43
	v_lshrrev_b16 v2, 8, v28
	s_mov_b32 s43, exec_lo
	v_cmpx_ne_u16_e32 0, v2
	s_cbranch_execz .LBB346_62
; %bb.55:                               ;   in Loop: Header=BB346_15 Depth=1
	v_bfrev_b32_e32 v97, 1
	s_mov_b32 s44, exec_lo
	v_cmpx_ne_u16_e32 0x80, v2
	s_cbranch_execz .LBB346_61
; %bb.56:                               ;   in Loop: Header=BB346_15 Depth=1
	v_and_b32_e32 v2, 0xffff, v2
	v_mov_b32_e32 v97, 0x7f800001
	s_mov_b32 s45, exec_lo
	s_delay_alu instid0(VALU_DEP_2) | instskip(NEXT) | instid1(VALU_DEP_1)
	v_and_b32_e32 v7, 0x7f, v2
	v_cmpx_ne_u32_e32 0x7f, v7
	s_cbranch_execz .LBB346_60
; %bb.57:                               ;   in Loop: Header=BB346_15 Depth=1
	v_dual_mov_b32 v3, v29 :: v_dual_bitop2_b32 v2, 7, v2 bitop3:0x40
	v_lshrrev_b32_e32 v6, 3, v7
	s_mov_b32 s46, exec_lo
	v_cmpx_gt_u32_e32 8, v7
; %bb.58:                               ;   in Loop: Header=BB346_15 Depth=1
	s_delay_alu instid0(VALU_DEP_3) | instskip(NEXT) | instid1(VALU_DEP_1)
	v_clz_i32_u32_e32 v6, v2
	v_min_u32_e32 v6, 32, v6
	s_delay_alu instid0(VALU_DEP_1) | instskip(SKIP_1) | instid1(VALU_DEP_2)
	v_subrev_nc_u32_e32 v7, 28, v6
	v_sub_nc_u32_e32 v6, 29, v6
	v_lshlrev_b64_e32 v[2:3], v7, v[2:3]
	s_delay_alu instid0(VALU_DEP_1)
	v_and_b32_e32 v2, 7, v2
; %bb.59:                               ;   in Loop: Header=BB346_15 Depth=1
	s_or_b32 exec_lo, exec_lo, s46
	s_delay_alu instid0(VALU_DEP_1) | instskip(SKIP_1) | instid1(VALU_DEP_2)
	v_dual_lshlrev_b32 v3, 16, v28 :: v_dual_lshlrev_b32 v2, 20, v2
	v_lshl_add_u32 v6, v6, 23, 0x3c000000
	v_and_b32_e32 v3, 0x80000000, v3
	s_delay_alu instid0(VALU_DEP_1)
	v_or3_b32 v97, v2, v3, v6
.LBB346_60:                             ;   in Loop: Header=BB346_15 Depth=1
	s_or_b32 exec_lo, exec_lo, s45
.LBB346_61:                             ;   in Loop: Header=BB346_15 Depth=1
	s_delay_alu instid0(SALU_CYCLE_1)
	s_or_b32 exec_lo, exec_lo, s44
.LBB346_62:                             ;   in Loop: Header=BB346_15 Depth=1
	s_delay_alu instid0(SALU_CYCLE_1) | instskip(SKIP_3) | instid1(VALU_DEP_2)
	s_or_b32 exec_lo, exec_lo, s43
	v_dual_mov_b32 v99, 0 :: v_dual_lshrrev_b32 v2, 16, v1
	v_mov_b32_e32 v98, 0
	s_mov_b32 s43, exec_lo
	v_and_b32_e32 v3, 0xff, v2
	s_delay_alu instid0(VALU_DEP_1)
	v_cmpx_ne_u16_e32 0, v3
	s_cbranch_execz .LBB346_70
; %bb.63:                               ;   in Loop: Header=BB346_15 Depth=1
	v_bfrev_b32_e32 v98, 1
	s_mov_b32 s44, exec_lo
	v_cmpx_ne_u16_e32 0x80, v3
	s_cbranch_execz .LBB346_69
; %bb.64:                               ;   in Loop: Header=BB346_15 Depth=1
	v_bfe_u32 v6, v1, 16, 7
	v_mov_b32_e32 v98, 0x7f800001
	s_mov_b32 s45, exec_lo
	s_delay_alu instid0(VALU_DEP_2)
	v_cmpx_ne_u32_e32 0x7f, v6
	s_cbranch_execz .LBB346_68
; %bb.65:                               ;   in Loop: Header=BB346_15 Depth=1
	v_and_b32_e32 v28, 7, v2
	v_lshrrev_b32_e32 v3, 3, v6
	s_mov_b32 s46, exec_lo
	v_cmpx_gt_u32_e32 8, v6
; %bb.66:                               ;   in Loop: Header=BB346_15 Depth=1
	s_delay_alu instid0(VALU_DEP_3) | instskip(NEXT) | instid1(VALU_DEP_1)
	v_clz_i32_u32_e32 v3, v28
	v_min_u32_e32 v3, 32, v3
	s_delay_alu instid0(VALU_DEP_1) | instskip(NEXT) | instid1(VALU_DEP_1)
	v_subrev_nc_u32_e32 v6, 28, v3
	v_lshlrev_b64_e32 v[6:7], v6, v[28:29]
	s_delay_alu instid0(VALU_DEP_1)
	v_dual_sub_nc_u32 v3, 29, v3 :: v_dual_bitop2_b32 v28, 7, v6 bitop3:0x40
; %bb.67:                               ;   in Loop: Header=BB346_15 Depth=1
	s_or_b32 exec_lo, exec_lo, s46
	s_delay_alu instid0(VALU_DEP_1) | instskip(NEXT) | instid1(VALU_DEP_2)
	v_dual_lshlrev_b32 v2, 24, v2 :: v_dual_lshlrev_b32 v6, 20, v28
	v_lshl_add_u32 v3, v3, 23, 0x3c000000
	s_delay_alu instid0(VALU_DEP_2) | instskip(NEXT) | instid1(VALU_DEP_1)
	v_and_b32_e32 v2, 0x80000000, v2
	v_or3_b32 v98, v6, v2, v3
.LBB346_68:                             ;   in Loop: Header=BB346_15 Depth=1
	s_or_b32 exec_lo, exec_lo, s45
.LBB346_69:                             ;   in Loop: Header=BB346_15 Depth=1
	s_delay_alu instid0(SALU_CYCLE_1)
	s_or_b32 exec_lo, exec_lo, s44
.LBB346_70:                             ;   in Loop: Header=BB346_15 Depth=1
	s_delay_alu instid0(SALU_CYCLE_1) | instskip(NEXT) | instid1(SALU_CYCLE_1)
	s_or_b32 exec_lo, exec_lo, s43
	s_mov_b32 s43, exec_lo
	v_cmpx_lt_u64_e64 s[26:27], v[0:1]
	s_cbranch_execz .LBB346_78
; %bb.71:                               ;   in Loop: Header=BB346_15 Depth=1
	v_lshrrev_b32_e32 v0, 24, v1
	v_bfrev_b32_e32 v99, 1
	s_mov_b32 s44, exec_lo
	s_delay_alu instid0(VALU_DEP_2)
	v_cmpx_ne_u32_e32 0x80, v0
	s_cbranch_execz .LBB346_77
; %bb.72:                               ;   in Loop: Header=BB346_15 Depth=1
	v_bfe_u32 v2, v1, 24, 7
	v_mov_b32_e32 v99, 0x7f800001
	s_mov_b32 s45, exec_lo
	s_delay_alu instid0(VALU_DEP_2)
	v_cmpx_ne_u32_e32 0x7f, v2
	s_cbranch_execz .LBB346_76
; %bb.73:                               ;   in Loop: Header=BB346_15 Depth=1
	v_dual_lshrrev_b32 v1, 3, v2 :: v_dual_bitop2_b32 v28, 7, v0 bitop3:0x40
	s_mov_b32 s46, exec_lo
	v_cmpx_gt_u32_e32 8, v2
; %bb.74:                               ;   in Loop: Header=BB346_15 Depth=1
	s_delay_alu instid0(VALU_DEP_2) | instskip(NEXT) | instid1(VALU_DEP_1)
	v_clz_i32_u32_e32 v1, v28
	v_min_u32_e32 v1, 32, v1
	s_delay_alu instid0(VALU_DEP_1) | instskip(NEXT) | instid1(VALU_DEP_1)
	v_subrev_nc_u32_e32 v2, 28, v1
	v_lshlrev_b64_e32 v[2:3], v2, v[28:29]
	s_delay_alu instid0(VALU_DEP_1)
	v_dual_sub_nc_u32 v1, 29, v1 :: v_dual_bitop2_b32 v28, 7, v2 bitop3:0x40
; %bb.75:                               ;   in Loop: Header=BB346_15 Depth=1
	s_or_b32 exec_lo, exec_lo, s46
	v_lshlrev_b32_e32 v0, 24, v0
	s_delay_alu instid0(VALU_DEP_2) | instskip(NEXT) | instid1(VALU_DEP_3)
	v_lshlrev_b32_e32 v2, 20, v28
	v_lshl_add_u32 v1, v1, 23, 0x3c000000
	s_delay_alu instid0(VALU_DEP_3) | instskip(NEXT) | instid1(VALU_DEP_1)
	v_and_b32_e32 v0, 0x80000000, v0
	v_or3_b32 v99, v2, v0, v1
.LBB346_76:                             ;   in Loop: Header=BB346_15 Depth=1
	s_or_b32 exec_lo, exec_lo, s45
.LBB346_77:                             ;   in Loop: Header=BB346_15 Depth=1
	s_delay_alu instid0(SALU_CYCLE_1)
	s_or_b32 exec_lo, exec_lo, s44
.LBB346_78:                             ;   in Loop: Header=BB346_15 Depth=1
	s_delay_alu instid0(SALU_CYCLE_1)
	s_or_b32 exec_lo, exec_lo, s43
	global_load_b64 v[0:1], v[102:103], off offset:8
	v_dual_mov_b32 v101, 0 :: v_dual_mov_b32 v100, 0
	s_mov_b32 s43, exec_lo
	s_wait_loadcnt 0x0
	v_and_b32_e32 v2, 0xff, v0
	s_wait_xcnt 0x0
	s_delay_alu instid0(VALU_DEP_1)
	v_cmpx_ne_u16_e32 0, v2
	s_cbranch_execz .LBB346_84
; %bb.79:                               ;   in Loop: Header=BB346_15 Depth=1
	v_bfrev_b32_e32 v100, 1
	s_mov_b32 s44, exec_lo
	v_cmpx_ne_u16_e32 0x80, v2
	s_cbranch_execz .LBB346_83
; %bb.80:                               ;   in Loop: Header=BB346_15 Depth=1
	v_and_b32_e32 v2, 0x7f, v0
	v_mov_b32_e32 v100, 0x7f800001
	s_mov_b32 s45, exec_lo
	s_delay_alu instid0(VALU_DEP_2)
	v_cmpx_ne_u32_e32 0x7f, v2
	s_cbranch_execz .LBB346_82
; %bb.81:                               ;   in Loop: Header=BB346_15 Depth=1
	v_dual_lshrrev_b32 v6, 3, v2 :: v_dual_bitop2_b32 v3, 7, v0 bitop3:0x40
	v_cmp_gt_u32_e64 s3, 8, v2
	s_delay_alu instid0(VALU_DEP_2) | instskip(NEXT) | instid1(VALU_DEP_1)
	v_clz_i32_u32_e32 v3, v3
	v_min_u32_e32 v3, 32, v3
	s_delay_alu instid0(VALU_DEP_1) | instskip(SKIP_1) | instid1(VALU_DEP_2)
	v_subrev_nc_u32_e32 v7, 28, v3
	v_sub_nc_u32_e32 v3, 29, v3
	v_cndmask_b32_e64 v2, 0, v7, s3
	s_delay_alu instid0(VALU_DEP_2) | instskip(NEXT) | instid1(VALU_DEP_2)
	v_cndmask_b32_e64 v6, v6, v3, s3
	v_lshlrev_b64_e32 v[2:3], v2, v[0:1]
	v_lshlrev_b32_e32 v3, 24, v0
	s_delay_alu instid0(VALU_DEP_3) | instskip(NEXT) | instid1(VALU_DEP_2)
	v_lshl_add_u32 v6, v6, 23, 0x3c000000
	v_and_b32_e32 v3, 0x80000000, v3
	s_delay_alu instid0(VALU_DEP_4) | instskip(NEXT) | instid1(VALU_DEP_1)
	v_lshlrev_b32_e32 v2, 20, v2
	v_and_b32_e32 v2, 0x700000, v2
	s_delay_alu instid0(VALU_DEP_1)
	v_or3_b32 v100, v2, v3, v6
.LBB346_82:                             ;   in Loop: Header=BB346_15 Depth=1
	s_or_b32 exec_lo, exec_lo, s45
.LBB346_83:                             ;   in Loop: Header=BB346_15 Depth=1
	s_delay_alu instid0(SALU_CYCLE_1)
	s_or_b32 exec_lo, exec_lo, s44
.LBB346_84:                             ;   in Loop: Header=BB346_15 Depth=1
	s_delay_alu instid0(SALU_CYCLE_1) | instskip(SKIP_2) | instid1(VALU_DEP_1)
	s_or_b32 exec_lo, exec_lo, s43
	v_lshrrev_b16 v2, 8, v0
	s_mov_b32 s43, exec_lo
	v_cmpx_ne_u16_e32 0, v2
	s_cbranch_execz .LBB346_92
; %bb.85:                               ;   in Loop: Header=BB346_15 Depth=1
	v_bfrev_b32_e32 v101, 1
	s_mov_b32 s44, exec_lo
	v_cmpx_ne_u16_e32 0x80, v2
	s_cbranch_execz .LBB346_91
; %bb.86:                               ;   in Loop: Header=BB346_15 Depth=1
	v_and_b32_e32 v2, 0xffff, v2
	v_mov_b32_e32 v101, 0x7f800001
	s_mov_b32 s45, exec_lo
	s_delay_alu instid0(VALU_DEP_2) | instskip(NEXT) | instid1(VALU_DEP_1)
	v_and_b32_e32 v3, 0x7f, v2
	v_cmpx_ne_u32_e32 0x7f, v3
	s_cbranch_execz .LBB346_90
; %bb.87:                               ;   in Loop: Header=BB346_15 Depth=1
	v_dual_lshrrev_b32 v2, 3, v3 :: v_dual_bitop2_b32 v28, 7, v2 bitop3:0x40
	s_mov_b32 s46, exec_lo
	v_cmpx_gt_u32_e32 8, v3
; %bb.88:                               ;   in Loop: Header=BB346_15 Depth=1
	s_delay_alu instid0(VALU_DEP_2) | instskip(NEXT) | instid1(VALU_DEP_1)
	v_clz_i32_u32_e32 v2, v28
	v_min_u32_e32 v2, 32, v2
	s_delay_alu instid0(VALU_DEP_1) | instskip(SKIP_1) | instid1(VALU_DEP_2)
	v_subrev_nc_u32_e32 v3, 28, v2
	v_sub_nc_u32_e32 v2, 29, v2
	v_lshlrev_b64_e32 v[6:7], v3, v[28:29]
	s_delay_alu instid0(VALU_DEP_1)
	v_and_b32_e32 v28, 7, v6
; %bb.89:                               ;   in Loop: Header=BB346_15 Depth=1
	s_or_b32 exec_lo, exec_lo, s46
	v_lshlrev_b32_e32 v3, 16, v0
	s_delay_alu instid0(VALU_DEP_2) | instskip(SKIP_1) | instid1(VALU_DEP_3)
	v_lshlrev_b32_e32 v6, 20, v28
	v_lshl_add_u32 v2, v2, 23, 0x3c000000
	v_and_b32_e32 v3, 0x80000000, v3
	s_delay_alu instid0(VALU_DEP_1)
	v_or3_b32 v101, v6, v3, v2
.LBB346_90:                             ;   in Loop: Header=BB346_15 Depth=1
	s_or_b32 exec_lo, exec_lo, s45
.LBB346_91:                             ;   in Loop: Header=BB346_15 Depth=1
	s_delay_alu instid0(SALU_CYCLE_1)
	s_or_b32 exec_lo, exec_lo, s44
.LBB346_92:                             ;   in Loop: Header=BB346_15 Depth=1
	s_delay_alu instid0(SALU_CYCLE_1) | instskip(SKIP_3) | instid1(VALU_DEP_2)
	s_or_b32 exec_lo, exec_lo, s43
	v_dual_mov_b32 v107, 0 :: v_dual_lshrrev_b32 v2, 16, v0
	v_mov_b32_e32 v106, 0
	s_mov_b32 s43, exec_lo
	v_and_b32_e32 v3, 0xff, v2
	s_delay_alu instid0(VALU_DEP_1)
	v_cmpx_ne_u16_e32 0, v3
	s_cbranch_execz .LBB346_100
; %bb.93:                               ;   in Loop: Header=BB346_15 Depth=1
	v_bfrev_b32_e32 v106, 1
	s_mov_b32 s44, exec_lo
	v_cmpx_ne_u16_e32 0x80, v3
	s_cbranch_execz .LBB346_99
; %bb.94:                               ;   in Loop: Header=BB346_15 Depth=1
	v_bfe_u32 v6, v0, 16, 7
	v_mov_b32_e32 v106, 0x7f800001
	s_mov_b32 s45, exec_lo
	s_delay_alu instid0(VALU_DEP_2)
	v_cmpx_ne_u32_e32 0x7f, v6
	s_cbranch_execz .LBB346_98
; %bb.95:                               ;   in Loop: Header=BB346_15 Depth=1
	v_and_b32_e32 v28, 7, v2
	v_lshrrev_b32_e32 v3, 3, v6
	s_mov_b32 s46, exec_lo
	v_cmpx_gt_u32_e32 8, v6
; %bb.96:                               ;   in Loop: Header=BB346_15 Depth=1
	s_delay_alu instid0(VALU_DEP_3) | instskip(NEXT) | instid1(VALU_DEP_1)
	v_clz_i32_u32_e32 v3, v28
	v_min_u32_e32 v3, 32, v3
	s_delay_alu instid0(VALU_DEP_1) | instskip(NEXT) | instid1(VALU_DEP_1)
	v_subrev_nc_u32_e32 v6, 28, v3
	v_lshlrev_b64_e32 v[6:7], v6, v[28:29]
	s_delay_alu instid0(VALU_DEP_1)
	v_dual_sub_nc_u32 v3, 29, v3 :: v_dual_bitop2_b32 v28, 7, v6 bitop3:0x40
; %bb.97:                               ;   in Loop: Header=BB346_15 Depth=1
	s_or_b32 exec_lo, exec_lo, s46
	s_delay_alu instid0(VALU_DEP_1) | instskip(NEXT) | instid1(VALU_DEP_2)
	v_dual_lshlrev_b32 v2, 24, v2 :: v_dual_lshlrev_b32 v6, 20, v28
	v_lshl_add_u32 v3, v3, 23, 0x3c000000
	s_delay_alu instid0(VALU_DEP_2) | instskip(NEXT) | instid1(VALU_DEP_1)
	v_and_b32_e32 v2, 0x80000000, v2
	v_or3_b32 v106, v6, v2, v3
.LBB346_98:                             ;   in Loop: Header=BB346_15 Depth=1
	s_or_b32 exec_lo, exec_lo, s45
.LBB346_99:                             ;   in Loop: Header=BB346_15 Depth=1
	s_delay_alu instid0(SALU_CYCLE_1)
	s_or_b32 exec_lo, exec_lo, s44
.LBB346_100:                            ;   in Loop: Header=BB346_15 Depth=1
	s_delay_alu instid0(SALU_CYCLE_1) | instskip(NEXT) | instid1(SALU_CYCLE_1)
	s_or_b32 exec_lo, exec_lo, s43
	s_mov_b32 s43, exec_lo
	v_cmpx_lt_u32_e32 0xffffff, v0
	s_cbranch_execz .LBB346_108
; %bb.101:                              ;   in Loop: Header=BB346_15 Depth=1
	v_lshrrev_b32_e32 v2, 24, v0
	v_bfrev_b32_e32 v107, 1
	s_mov_b32 s44, exec_lo
	s_delay_alu instid0(VALU_DEP_2)
	v_cmpx_ne_u32_e32 0x80, v2
	s_cbranch_execz .LBB346_107
; %bb.102:                              ;   in Loop: Header=BB346_15 Depth=1
	v_bfe_u32 v6, v0, 24, 7
	v_mov_b32_e32 v107, 0x7f800001
	s_mov_b32 s45, exec_lo
	s_delay_alu instid0(VALU_DEP_2)
	v_cmpx_ne_u32_e32 0x7f, v6
	s_cbranch_execz .LBB346_106
; %bb.103:                              ;   in Loop: Header=BB346_15 Depth=1
	v_and_b32_e32 v28, 7, v2
	v_lshrrev_b32_e32 v3, 3, v6
	s_mov_b32 s46, exec_lo
	v_cmpx_gt_u32_e32 8, v6
; %bb.104:                              ;   in Loop: Header=BB346_15 Depth=1
	s_delay_alu instid0(VALU_DEP_3) | instskip(NEXT) | instid1(VALU_DEP_1)
	v_clz_i32_u32_e32 v3, v28
	v_min_u32_e32 v3, 32, v3
	s_delay_alu instid0(VALU_DEP_1) | instskip(NEXT) | instid1(VALU_DEP_1)
	v_subrev_nc_u32_e32 v6, 28, v3
	v_lshlrev_b64_e32 v[6:7], v6, v[28:29]
	s_delay_alu instid0(VALU_DEP_1)
	v_dual_sub_nc_u32 v3, 29, v3 :: v_dual_bitop2_b32 v28, 7, v6 bitop3:0x40
; %bb.105:                              ;   in Loop: Header=BB346_15 Depth=1
	s_or_b32 exec_lo, exec_lo, s46
	s_delay_alu instid0(VALU_DEP_1) | instskip(NEXT) | instid1(VALU_DEP_2)
	v_dual_lshlrev_b32 v2, 24, v2 :: v_dual_lshlrev_b32 v6, 20, v28
	v_lshl_add_u32 v3, v3, 23, 0x3c000000
	s_delay_alu instid0(VALU_DEP_2) | instskip(NEXT) | instid1(VALU_DEP_1)
	v_and_b32_e32 v2, 0x80000000, v2
	v_or3_b32 v107, v6, v2, v3
.LBB346_106:                            ;   in Loop: Header=BB346_15 Depth=1
	s_or_b32 exec_lo, exec_lo, s45
.LBB346_107:                            ;   in Loop: Header=BB346_15 Depth=1
	s_delay_alu instid0(SALU_CYCLE_1)
	s_or_b32 exec_lo, exec_lo, s44
.LBB346_108:                            ;   in Loop: Header=BB346_15 Depth=1
	s_delay_alu instid0(SALU_CYCLE_1) | instskip(SKIP_4) | instid1(VALU_DEP_3)
	s_or_b32 exec_lo, exec_lo, s43
	v_and_b32_e32 v2, 0xff, v1
	v_dual_mov_b32 v28, v1 :: v_dual_mov_b32 v109, 0
	v_mov_b32_e32 v108, 0
	s_mov_b32 s43, exec_lo
	v_cmpx_ne_u16_e32 0, v2
	s_cbranch_execz .LBB346_114
; %bb.109:                              ;   in Loop: Header=BB346_15 Depth=1
	v_bfrev_b32_e32 v108, 1
	s_mov_b32 s44, exec_lo
	v_cmpx_ne_u16_e32 0x80, v2
	s_cbranch_execz .LBB346_113
; %bb.110:                              ;   in Loop: Header=BB346_15 Depth=1
	v_and_b32_e32 v2, 0x7f, v1
	v_mov_b32_e32 v108, 0x7f800001
	s_mov_b32 s45, exec_lo
	s_delay_alu instid0(VALU_DEP_2)
	v_cmpx_ne_u32_e32 0x7f, v2
	s_cbranch_execz .LBB346_112
; %bb.111:                              ;   in Loop: Header=BB346_15 Depth=1
	v_dual_lshrrev_b32 v6, 3, v2 :: v_dual_bitop2_b32 v3, 7, v1 bitop3:0x40
	v_cmp_gt_u32_e64 s3, 8, v2
	s_delay_alu instid0(VALU_DEP_2) | instskip(NEXT) | instid1(VALU_DEP_1)
	v_clz_i32_u32_e32 v3, v3
	v_min_u32_e32 v3, 32, v3
	s_delay_alu instid0(VALU_DEP_1) | instskip(SKIP_1) | instid1(VALU_DEP_2)
	v_subrev_nc_u32_e32 v7, 28, v3
	v_sub_nc_u32_e32 v3, 29, v3
	v_cndmask_b32_e64 v2, 0, v7, s3
	s_delay_alu instid0(VALU_DEP_2) | instskip(NEXT) | instid1(VALU_DEP_2)
	v_cndmask_b32_e64 v6, v6, v3, s3
	v_lshlrev_b64_e32 v[2:3], v2, v[28:29]
	v_lshlrev_b32_e32 v3, 24, v28
	s_delay_alu instid0(VALU_DEP_3) | instskip(NEXT) | instid1(VALU_DEP_2)
	v_lshl_add_u32 v6, v6, 23, 0x3c000000
	v_and_b32_e32 v3, 0x80000000, v3
	s_delay_alu instid0(VALU_DEP_4) | instskip(NEXT) | instid1(VALU_DEP_1)
	v_lshlrev_b32_e32 v2, 20, v2
	v_and_b32_e32 v2, 0x700000, v2
	s_delay_alu instid0(VALU_DEP_1)
	v_or3_b32 v108, v2, v3, v6
.LBB346_112:                            ;   in Loop: Header=BB346_15 Depth=1
	s_or_b32 exec_lo, exec_lo, s45
.LBB346_113:                            ;   in Loop: Header=BB346_15 Depth=1
	s_delay_alu instid0(SALU_CYCLE_1)
	s_or_b32 exec_lo, exec_lo, s44
.LBB346_114:                            ;   in Loop: Header=BB346_15 Depth=1
	s_delay_alu instid0(SALU_CYCLE_1) | instskip(SKIP_2) | instid1(VALU_DEP_1)
	s_or_b32 exec_lo, exec_lo, s43
	v_lshrrev_b16 v2, 8, v28
	s_mov_b32 s43, exec_lo
	v_cmpx_ne_u16_e32 0, v2
	s_cbranch_execz .LBB346_122
; %bb.115:                              ;   in Loop: Header=BB346_15 Depth=1
	v_bfrev_b32_e32 v109, 1
	s_mov_b32 s44, exec_lo
	v_cmpx_ne_u16_e32 0x80, v2
	s_cbranch_execz .LBB346_121
; %bb.116:                              ;   in Loop: Header=BB346_15 Depth=1
	v_and_b32_e32 v2, 0xffff, v2
	v_mov_b32_e32 v109, 0x7f800001
	s_mov_b32 s45, exec_lo
	s_delay_alu instid0(VALU_DEP_2) | instskip(NEXT) | instid1(VALU_DEP_1)
	v_and_b32_e32 v7, 0x7f, v2
	v_cmpx_ne_u32_e32 0x7f, v7
	s_cbranch_execz .LBB346_120
; %bb.117:                              ;   in Loop: Header=BB346_15 Depth=1
	v_dual_mov_b32 v3, v29 :: v_dual_bitop2_b32 v2, 7, v2 bitop3:0x40
	v_lshrrev_b32_e32 v6, 3, v7
	s_mov_b32 s46, exec_lo
	v_cmpx_gt_u32_e32 8, v7
; %bb.118:                              ;   in Loop: Header=BB346_15 Depth=1
	s_delay_alu instid0(VALU_DEP_3) | instskip(NEXT) | instid1(VALU_DEP_1)
	v_clz_i32_u32_e32 v6, v2
	v_min_u32_e32 v6, 32, v6
	s_delay_alu instid0(VALU_DEP_1) | instskip(SKIP_1) | instid1(VALU_DEP_2)
	v_subrev_nc_u32_e32 v7, 28, v6
	v_sub_nc_u32_e32 v6, 29, v6
	v_lshlrev_b64_e32 v[2:3], v7, v[2:3]
	s_delay_alu instid0(VALU_DEP_1)
	v_and_b32_e32 v2, 7, v2
; %bb.119:                              ;   in Loop: Header=BB346_15 Depth=1
	s_or_b32 exec_lo, exec_lo, s46
	s_delay_alu instid0(VALU_DEP_1) | instskip(SKIP_1) | instid1(VALU_DEP_2)
	v_dual_lshlrev_b32 v3, 16, v28 :: v_dual_lshlrev_b32 v2, 20, v2
	v_lshl_add_u32 v6, v6, 23, 0x3c000000
	v_and_b32_e32 v3, 0x80000000, v3
	s_delay_alu instid0(VALU_DEP_1)
	v_or3_b32 v109, v2, v3, v6
.LBB346_120:                            ;   in Loop: Header=BB346_15 Depth=1
	s_or_b32 exec_lo, exec_lo, s45
.LBB346_121:                            ;   in Loop: Header=BB346_15 Depth=1
	s_delay_alu instid0(SALU_CYCLE_1)
	s_or_b32 exec_lo, exec_lo, s44
.LBB346_122:                            ;   in Loop: Header=BB346_15 Depth=1
	s_delay_alu instid0(SALU_CYCLE_1) | instskip(SKIP_3) | instid1(VALU_DEP_2)
	s_or_b32 exec_lo, exec_lo, s43
	v_dual_mov_b32 v105, 0 :: v_dual_lshrrev_b32 v2, 16, v1
	v_mov_b32_e32 v104, 0
	s_mov_b32 s43, exec_lo
	v_and_b32_e32 v3, 0xff, v2
	s_delay_alu instid0(VALU_DEP_1)
	v_cmpx_ne_u16_e32 0, v3
	s_cbranch_execz .LBB346_130
; %bb.123:                              ;   in Loop: Header=BB346_15 Depth=1
	v_bfrev_b32_e32 v104, 1
	s_mov_b32 s44, exec_lo
	v_cmpx_ne_u16_e32 0x80, v3
	s_cbranch_execz .LBB346_129
; %bb.124:                              ;   in Loop: Header=BB346_15 Depth=1
	v_bfe_u32 v6, v1, 16, 7
	v_mov_b32_e32 v104, 0x7f800001
	s_mov_b32 s45, exec_lo
	s_delay_alu instid0(VALU_DEP_2)
	v_cmpx_ne_u32_e32 0x7f, v6
	s_cbranch_execz .LBB346_128
; %bb.125:                              ;   in Loop: Header=BB346_15 Depth=1
	v_and_b32_e32 v28, 7, v2
	v_lshrrev_b32_e32 v3, 3, v6
	s_mov_b32 s46, exec_lo
	v_cmpx_gt_u32_e32 8, v6
; %bb.126:                              ;   in Loop: Header=BB346_15 Depth=1
	s_delay_alu instid0(VALU_DEP_3) | instskip(NEXT) | instid1(VALU_DEP_1)
	v_clz_i32_u32_e32 v3, v28
	v_min_u32_e32 v3, 32, v3
	s_delay_alu instid0(VALU_DEP_1) | instskip(NEXT) | instid1(VALU_DEP_1)
	v_subrev_nc_u32_e32 v6, 28, v3
	v_lshlrev_b64_e32 v[6:7], v6, v[28:29]
	s_delay_alu instid0(VALU_DEP_1)
	v_dual_sub_nc_u32 v3, 29, v3 :: v_dual_bitop2_b32 v28, 7, v6 bitop3:0x40
; %bb.127:                              ;   in Loop: Header=BB346_15 Depth=1
	s_or_b32 exec_lo, exec_lo, s46
	s_delay_alu instid0(VALU_DEP_1) | instskip(NEXT) | instid1(VALU_DEP_2)
	v_dual_lshlrev_b32 v2, 24, v2 :: v_dual_lshlrev_b32 v6, 20, v28
	v_lshl_add_u32 v3, v3, 23, 0x3c000000
	s_delay_alu instid0(VALU_DEP_2) | instskip(NEXT) | instid1(VALU_DEP_1)
	v_and_b32_e32 v2, 0x80000000, v2
	v_or3_b32 v104, v6, v2, v3
.LBB346_128:                            ;   in Loop: Header=BB346_15 Depth=1
	s_or_b32 exec_lo, exec_lo, s45
.LBB346_129:                            ;   in Loop: Header=BB346_15 Depth=1
	s_delay_alu instid0(SALU_CYCLE_1)
	s_or_b32 exec_lo, exec_lo, s44
.LBB346_130:                            ;   in Loop: Header=BB346_15 Depth=1
	s_delay_alu instid0(SALU_CYCLE_1) | instskip(NEXT) | instid1(SALU_CYCLE_1)
	s_or_b32 exec_lo, exec_lo, s43
	s_mov_b32 s43, exec_lo
	v_cmpx_lt_u64_e64 s[26:27], v[0:1]
	s_cbranch_execz .LBB346_138
; %bb.131:                              ;   in Loop: Header=BB346_15 Depth=1
	v_lshrrev_b32_e32 v0, 24, v1
	v_bfrev_b32_e32 v105, 1
	s_mov_b32 s44, exec_lo
	s_delay_alu instid0(VALU_DEP_2)
	v_cmpx_ne_u32_e32 0x80, v0
	s_cbranch_execz .LBB346_137
; %bb.132:                              ;   in Loop: Header=BB346_15 Depth=1
	v_bfe_u32 v2, v1, 24, 7
	v_mov_b32_e32 v105, 0x7f800001
	s_mov_b32 s45, exec_lo
	s_delay_alu instid0(VALU_DEP_2)
	v_cmpx_ne_u32_e32 0x7f, v2
	s_cbranch_execz .LBB346_136
; %bb.133:                              ;   in Loop: Header=BB346_15 Depth=1
	v_dual_lshrrev_b32 v1, 3, v2 :: v_dual_bitop2_b32 v28, 7, v0 bitop3:0x40
	s_mov_b32 s46, exec_lo
	v_cmpx_gt_u32_e32 8, v2
; %bb.134:                              ;   in Loop: Header=BB346_15 Depth=1
	s_delay_alu instid0(VALU_DEP_2) | instskip(NEXT) | instid1(VALU_DEP_1)
	v_clz_i32_u32_e32 v1, v28
	v_min_u32_e32 v1, 32, v1
	s_delay_alu instid0(VALU_DEP_1) | instskip(NEXT) | instid1(VALU_DEP_1)
	v_subrev_nc_u32_e32 v2, 28, v1
	v_lshlrev_b64_e32 v[2:3], v2, v[28:29]
	s_delay_alu instid0(VALU_DEP_1)
	v_dual_sub_nc_u32 v1, 29, v1 :: v_dual_bitop2_b32 v28, 7, v2 bitop3:0x40
; %bb.135:                              ;   in Loop: Header=BB346_15 Depth=1
	s_or_b32 exec_lo, exec_lo, s46
	v_lshlrev_b32_e32 v0, 24, v0
	s_delay_alu instid0(VALU_DEP_2) | instskip(NEXT) | instid1(VALU_DEP_3)
	v_lshlrev_b32_e32 v2, 20, v28
	v_lshl_add_u32 v1, v1, 23, 0x3c000000
	s_delay_alu instid0(VALU_DEP_3) | instskip(NEXT) | instid1(VALU_DEP_1)
	v_and_b32_e32 v0, 0x80000000, v0
	v_or3_b32 v105, v2, v0, v1
.LBB346_136:                            ;   in Loop: Header=BB346_15 Depth=1
	s_or_b32 exec_lo, exec_lo, s45
.LBB346_137:                            ;   in Loop: Header=BB346_15 Depth=1
	s_delay_alu instid0(SALU_CYCLE_1)
	s_or_b32 exec_lo, exec_lo, s44
.LBB346_138:                            ;   in Loop: Header=BB346_15 Depth=1
	s_delay_alu instid0(SALU_CYCLE_1)
	s_or_b32 exec_lo, exec_lo, s43
	global_load_b64 v[0:1], v[102:103], off offset:512
	v_dual_mov_b32 v111, 0 :: v_dual_mov_b32 v110, 0
	s_mov_b32 s43, exec_lo
	s_wait_loadcnt 0x0
	v_and_b32_e32 v2, 0xff, v0
	s_wait_xcnt 0x0
	s_delay_alu instid0(VALU_DEP_1)
	v_cmpx_ne_u16_e32 0, v2
	s_cbranch_execz .LBB346_144
; %bb.139:                              ;   in Loop: Header=BB346_15 Depth=1
	v_bfrev_b32_e32 v110, 1
	s_mov_b32 s44, exec_lo
	v_cmpx_ne_u16_e32 0x80, v2
	s_cbranch_execz .LBB346_143
; %bb.140:                              ;   in Loop: Header=BB346_15 Depth=1
	v_and_b32_e32 v2, 0x7f, v0
	v_mov_b32_e32 v110, 0x7f800001
	s_mov_b32 s45, exec_lo
	s_delay_alu instid0(VALU_DEP_2)
	v_cmpx_ne_u32_e32 0x7f, v2
	s_cbranch_execz .LBB346_142
; %bb.141:                              ;   in Loop: Header=BB346_15 Depth=1
	v_dual_lshrrev_b32 v6, 3, v2 :: v_dual_bitop2_b32 v3, 7, v0 bitop3:0x40
	v_cmp_gt_u32_e64 s3, 8, v2
	s_delay_alu instid0(VALU_DEP_2) | instskip(NEXT) | instid1(VALU_DEP_1)
	v_clz_i32_u32_e32 v3, v3
	v_min_u32_e32 v3, 32, v3
	s_delay_alu instid0(VALU_DEP_1) | instskip(SKIP_1) | instid1(VALU_DEP_2)
	v_subrev_nc_u32_e32 v7, 28, v3
	v_sub_nc_u32_e32 v3, 29, v3
	v_cndmask_b32_e64 v2, 0, v7, s3
	s_delay_alu instid0(VALU_DEP_2) | instskip(NEXT) | instid1(VALU_DEP_2)
	v_cndmask_b32_e64 v6, v6, v3, s3
	v_lshlrev_b64_e32 v[2:3], v2, v[0:1]
	v_lshlrev_b32_e32 v3, 24, v0
	s_delay_alu instid0(VALU_DEP_3) | instskip(NEXT) | instid1(VALU_DEP_2)
	v_lshl_add_u32 v6, v6, 23, 0x3c000000
	v_and_b32_e32 v3, 0x80000000, v3
	s_delay_alu instid0(VALU_DEP_4) | instskip(NEXT) | instid1(VALU_DEP_1)
	v_lshlrev_b32_e32 v2, 20, v2
	v_and_b32_e32 v2, 0x700000, v2
	s_delay_alu instid0(VALU_DEP_1)
	v_or3_b32 v110, v2, v3, v6
.LBB346_142:                            ;   in Loop: Header=BB346_15 Depth=1
	s_or_b32 exec_lo, exec_lo, s45
.LBB346_143:                            ;   in Loop: Header=BB346_15 Depth=1
	s_delay_alu instid0(SALU_CYCLE_1)
	s_or_b32 exec_lo, exec_lo, s44
.LBB346_144:                            ;   in Loop: Header=BB346_15 Depth=1
	s_delay_alu instid0(SALU_CYCLE_1) | instskip(SKIP_2) | instid1(VALU_DEP_1)
	s_or_b32 exec_lo, exec_lo, s43
	v_lshrrev_b16 v2, 8, v0
	s_mov_b32 s43, exec_lo
	v_cmpx_ne_u16_e32 0, v2
	s_cbranch_execz .LBB346_152
; %bb.145:                              ;   in Loop: Header=BB346_15 Depth=1
	v_bfrev_b32_e32 v111, 1
	s_mov_b32 s44, exec_lo
	v_cmpx_ne_u16_e32 0x80, v2
	s_cbranch_execz .LBB346_151
; %bb.146:                              ;   in Loop: Header=BB346_15 Depth=1
	v_and_b32_e32 v2, 0xffff, v2
	v_mov_b32_e32 v111, 0x7f800001
	s_mov_b32 s45, exec_lo
	s_delay_alu instid0(VALU_DEP_2) | instskip(NEXT) | instid1(VALU_DEP_1)
	v_and_b32_e32 v3, 0x7f, v2
	v_cmpx_ne_u32_e32 0x7f, v3
	s_cbranch_execz .LBB346_150
; %bb.147:                              ;   in Loop: Header=BB346_15 Depth=1
	v_dual_lshrrev_b32 v2, 3, v3 :: v_dual_bitop2_b32 v28, 7, v2 bitop3:0x40
	s_mov_b32 s46, exec_lo
	v_cmpx_gt_u32_e32 8, v3
; %bb.148:                              ;   in Loop: Header=BB346_15 Depth=1
	s_delay_alu instid0(VALU_DEP_2) | instskip(NEXT) | instid1(VALU_DEP_1)
	v_clz_i32_u32_e32 v2, v28
	v_min_u32_e32 v2, 32, v2
	s_delay_alu instid0(VALU_DEP_1) | instskip(SKIP_1) | instid1(VALU_DEP_2)
	v_subrev_nc_u32_e32 v3, 28, v2
	v_sub_nc_u32_e32 v2, 29, v2
	v_lshlrev_b64_e32 v[6:7], v3, v[28:29]
	s_delay_alu instid0(VALU_DEP_1)
	v_and_b32_e32 v28, 7, v6
; %bb.149:                              ;   in Loop: Header=BB346_15 Depth=1
	s_or_b32 exec_lo, exec_lo, s46
	v_lshlrev_b32_e32 v3, 16, v0
	s_delay_alu instid0(VALU_DEP_2) | instskip(SKIP_1) | instid1(VALU_DEP_3)
	v_lshlrev_b32_e32 v6, 20, v28
	v_lshl_add_u32 v2, v2, 23, 0x3c000000
	v_and_b32_e32 v3, 0x80000000, v3
	s_delay_alu instid0(VALU_DEP_1)
	v_or3_b32 v111, v6, v3, v2
.LBB346_150:                            ;   in Loop: Header=BB346_15 Depth=1
	s_or_b32 exec_lo, exec_lo, s45
.LBB346_151:                            ;   in Loop: Header=BB346_15 Depth=1
	s_delay_alu instid0(SALU_CYCLE_1)
	s_or_b32 exec_lo, exec_lo, s44
.LBB346_152:                            ;   in Loop: Header=BB346_15 Depth=1
	s_delay_alu instid0(SALU_CYCLE_1) | instskip(SKIP_3) | instid1(VALU_DEP_2)
	s_or_b32 exec_lo, exec_lo, s43
	v_dual_mov_b32 v113, 0 :: v_dual_lshrrev_b32 v2, 16, v0
	v_mov_b32_e32 v112, 0
	s_mov_b32 s43, exec_lo
	v_and_b32_e32 v3, 0xff, v2
	s_delay_alu instid0(VALU_DEP_1)
	v_cmpx_ne_u16_e32 0, v3
	s_cbranch_execz .LBB346_160
; %bb.153:                              ;   in Loop: Header=BB346_15 Depth=1
	v_bfrev_b32_e32 v112, 1
	s_mov_b32 s44, exec_lo
	v_cmpx_ne_u16_e32 0x80, v3
	s_cbranch_execz .LBB346_159
; %bb.154:                              ;   in Loop: Header=BB346_15 Depth=1
	v_bfe_u32 v6, v0, 16, 7
	v_mov_b32_e32 v112, 0x7f800001
	s_mov_b32 s45, exec_lo
	s_delay_alu instid0(VALU_DEP_2)
	v_cmpx_ne_u32_e32 0x7f, v6
	s_cbranch_execz .LBB346_158
; %bb.155:                              ;   in Loop: Header=BB346_15 Depth=1
	v_and_b32_e32 v28, 7, v2
	v_lshrrev_b32_e32 v3, 3, v6
	s_mov_b32 s46, exec_lo
	v_cmpx_gt_u32_e32 8, v6
; %bb.156:                              ;   in Loop: Header=BB346_15 Depth=1
	s_delay_alu instid0(VALU_DEP_3) | instskip(NEXT) | instid1(VALU_DEP_1)
	v_clz_i32_u32_e32 v3, v28
	v_min_u32_e32 v3, 32, v3
	s_delay_alu instid0(VALU_DEP_1) | instskip(NEXT) | instid1(VALU_DEP_1)
	v_subrev_nc_u32_e32 v6, 28, v3
	v_lshlrev_b64_e32 v[6:7], v6, v[28:29]
	s_delay_alu instid0(VALU_DEP_1)
	v_dual_sub_nc_u32 v3, 29, v3 :: v_dual_bitop2_b32 v28, 7, v6 bitop3:0x40
; %bb.157:                              ;   in Loop: Header=BB346_15 Depth=1
	s_or_b32 exec_lo, exec_lo, s46
	s_delay_alu instid0(VALU_DEP_1) | instskip(NEXT) | instid1(VALU_DEP_2)
	v_dual_lshlrev_b32 v2, 24, v2 :: v_dual_lshlrev_b32 v6, 20, v28
	v_lshl_add_u32 v3, v3, 23, 0x3c000000
	s_delay_alu instid0(VALU_DEP_2) | instskip(NEXT) | instid1(VALU_DEP_1)
	v_and_b32_e32 v2, 0x80000000, v2
	v_or3_b32 v112, v6, v2, v3
.LBB346_158:                            ;   in Loop: Header=BB346_15 Depth=1
	s_or_b32 exec_lo, exec_lo, s45
.LBB346_159:                            ;   in Loop: Header=BB346_15 Depth=1
	s_delay_alu instid0(SALU_CYCLE_1)
	s_or_b32 exec_lo, exec_lo, s44
.LBB346_160:                            ;   in Loop: Header=BB346_15 Depth=1
	s_delay_alu instid0(SALU_CYCLE_1) | instskip(NEXT) | instid1(SALU_CYCLE_1)
	s_or_b32 exec_lo, exec_lo, s43
	s_mov_b32 s43, exec_lo
	v_cmpx_lt_u32_e32 0xffffff, v0
	s_cbranch_execz .LBB346_168
; %bb.161:                              ;   in Loop: Header=BB346_15 Depth=1
	v_lshrrev_b32_e32 v2, 24, v0
	v_bfrev_b32_e32 v113, 1
	s_mov_b32 s44, exec_lo
	s_delay_alu instid0(VALU_DEP_2)
	v_cmpx_ne_u32_e32 0x80, v2
	s_cbranch_execz .LBB346_167
; %bb.162:                              ;   in Loop: Header=BB346_15 Depth=1
	v_bfe_u32 v6, v0, 24, 7
	v_mov_b32_e32 v113, 0x7f800001
	s_mov_b32 s45, exec_lo
	s_delay_alu instid0(VALU_DEP_2)
	v_cmpx_ne_u32_e32 0x7f, v6
	s_cbranch_execz .LBB346_166
; %bb.163:                              ;   in Loop: Header=BB346_15 Depth=1
	v_and_b32_e32 v28, 7, v2
	v_lshrrev_b32_e32 v3, 3, v6
	s_mov_b32 s46, exec_lo
	v_cmpx_gt_u32_e32 8, v6
; %bb.164:                              ;   in Loop: Header=BB346_15 Depth=1
	s_delay_alu instid0(VALU_DEP_3) | instskip(NEXT) | instid1(VALU_DEP_1)
	v_clz_i32_u32_e32 v3, v28
	v_min_u32_e32 v3, 32, v3
	s_delay_alu instid0(VALU_DEP_1) | instskip(NEXT) | instid1(VALU_DEP_1)
	v_subrev_nc_u32_e32 v6, 28, v3
	v_lshlrev_b64_e32 v[6:7], v6, v[28:29]
	s_delay_alu instid0(VALU_DEP_1)
	v_dual_sub_nc_u32 v3, 29, v3 :: v_dual_bitop2_b32 v28, 7, v6 bitop3:0x40
; %bb.165:                              ;   in Loop: Header=BB346_15 Depth=1
	s_or_b32 exec_lo, exec_lo, s46
	s_delay_alu instid0(VALU_DEP_1) | instskip(NEXT) | instid1(VALU_DEP_2)
	v_dual_lshlrev_b32 v2, 24, v2 :: v_dual_lshlrev_b32 v6, 20, v28
	v_lshl_add_u32 v3, v3, 23, 0x3c000000
	s_delay_alu instid0(VALU_DEP_2) | instskip(NEXT) | instid1(VALU_DEP_1)
	v_and_b32_e32 v2, 0x80000000, v2
	v_or3_b32 v113, v6, v2, v3
.LBB346_166:                            ;   in Loop: Header=BB346_15 Depth=1
	s_or_b32 exec_lo, exec_lo, s45
.LBB346_167:                            ;   in Loop: Header=BB346_15 Depth=1
	s_delay_alu instid0(SALU_CYCLE_1)
	s_or_b32 exec_lo, exec_lo, s44
.LBB346_168:                            ;   in Loop: Header=BB346_15 Depth=1
	s_delay_alu instid0(SALU_CYCLE_1) | instskip(SKIP_4) | instid1(VALU_DEP_3)
	s_or_b32 exec_lo, exec_lo, s43
	v_and_b32_e32 v2, 0xff, v1
	v_dual_mov_b32 v28, v1 :: v_dual_mov_b32 v115, 0
	v_mov_b32_e32 v114, 0
	s_mov_b32 s43, exec_lo
	v_cmpx_ne_u16_e32 0, v2
	s_cbranch_execz .LBB346_174
; %bb.169:                              ;   in Loop: Header=BB346_15 Depth=1
	v_bfrev_b32_e32 v114, 1
	s_mov_b32 s44, exec_lo
	v_cmpx_ne_u16_e32 0x80, v2
	s_cbranch_execz .LBB346_173
; %bb.170:                              ;   in Loop: Header=BB346_15 Depth=1
	v_and_b32_e32 v2, 0x7f, v1
	v_mov_b32_e32 v114, 0x7f800001
	s_mov_b32 s45, exec_lo
	s_delay_alu instid0(VALU_DEP_2)
	v_cmpx_ne_u32_e32 0x7f, v2
	s_cbranch_execz .LBB346_172
; %bb.171:                              ;   in Loop: Header=BB346_15 Depth=1
	v_dual_lshrrev_b32 v6, 3, v2 :: v_dual_bitop2_b32 v3, 7, v1 bitop3:0x40
	v_cmp_gt_u32_e64 s3, 8, v2
	s_delay_alu instid0(VALU_DEP_2) | instskip(NEXT) | instid1(VALU_DEP_1)
	v_clz_i32_u32_e32 v3, v3
	v_min_u32_e32 v3, 32, v3
	s_delay_alu instid0(VALU_DEP_1) | instskip(SKIP_1) | instid1(VALU_DEP_2)
	v_subrev_nc_u32_e32 v7, 28, v3
	v_sub_nc_u32_e32 v3, 29, v3
	v_cndmask_b32_e64 v2, 0, v7, s3
	s_delay_alu instid0(VALU_DEP_2) | instskip(NEXT) | instid1(VALU_DEP_2)
	v_cndmask_b32_e64 v6, v6, v3, s3
	v_lshlrev_b64_e32 v[2:3], v2, v[28:29]
	v_lshlrev_b32_e32 v3, 24, v28
	s_delay_alu instid0(VALU_DEP_3) | instskip(NEXT) | instid1(VALU_DEP_2)
	v_lshl_add_u32 v6, v6, 23, 0x3c000000
	v_and_b32_e32 v3, 0x80000000, v3
	s_delay_alu instid0(VALU_DEP_4) | instskip(NEXT) | instid1(VALU_DEP_1)
	v_lshlrev_b32_e32 v2, 20, v2
	v_and_b32_e32 v2, 0x700000, v2
	s_delay_alu instid0(VALU_DEP_1)
	v_or3_b32 v114, v2, v3, v6
.LBB346_172:                            ;   in Loop: Header=BB346_15 Depth=1
	s_or_b32 exec_lo, exec_lo, s45
.LBB346_173:                            ;   in Loop: Header=BB346_15 Depth=1
	s_delay_alu instid0(SALU_CYCLE_1)
	s_or_b32 exec_lo, exec_lo, s44
.LBB346_174:                            ;   in Loop: Header=BB346_15 Depth=1
	s_delay_alu instid0(SALU_CYCLE_1) | instskip(SKIP_2) | instid1(VALU_DEP_1)
	s_or_b32 exec_lo, exec_lo, s43
	v_lshrrev_b16 v2, 8, v28
	s_mov_b32 s43, exec_lo
	v_cmpx_ne_u16_e32 0, v2
	s_cbranch_execz .LBB346_182
; %bb.175:                              ;   in Loop: Header=BB346_15 Depth=1
	v_bfrev_b32_e32 v115, 1
	s_mov_b32 s44, exec_lo
	v_cmpx_ne_u16_e32 0x80, v2
	s_cbranch_execz .LBB346_181
; %bb.176:                              ;   in Loop: Header=BB346_15 Depth=1
	v_and_b32_e32 v2, 0xffff, v2
	v_mov_b32_e32 v115, 0x7f800001
	s_mov_b32 s45, exec_lo
	s_delay_alu instid0(VALU_DEP_2) | instskip(NEXT) | instid1(VALU_DEP_1)
	v_and_b32_e32 v7, 0x7f, v2
	v_cmpx_ne_u32_e32 0x7f, v7
	s_cbranch_execz .LBB346_180
; %bb.177:                              ;   in Loop: Header=BB346_15 Depth=1
	v_dual_mov_b32 v3, v29 :: v_dual_bitop2_b32 v2, 7, v2 bitop3:0x40
	v_lshrrev_b32_e32 v6, 3, v7
	s_mov_b32 s46, exec_lo
	v_cmpx_gt_u32_e32 8, v7
; %bb.178:                              ;   in Loop: Header=BB346_15 Depth=1
	s_delay_alu instid0(VALU_DEP_3) | instskip(NEXT) | instid1(VALU_DEP_1)
	v_clz_i32_u32_e32 v6, v2
	v_min_u32_e32 v6, 32, v6
	s_delay_alu instid0(VALU_DEP_1) | instskip(SKIP_1) | instid1(VALU_DEP_2)
	v_subrev_nc_u32_e32 v7, 28, v6
	v_sub_nc_u32_e32 v6, 29, v6
	v_lshlrev_b64_e32 v[2:3], v7, v[2:3]
	s_delay_alu instid0(VALU_DEP_1)
	v_and_b32_e32 v2, 7, v2
; %bb.179:                              ;   in Loop: Header=BB346_15 Depth=1
	s_or_b32 exec_lo, exec_lo, s46
	s_delay_alu instid0(VALU_DEP_1) | instskip(SKIP_1) | instid1(VALU_DEP_2)
	v_dual_lshlrev_b32 v3, 16, v28 :: v_dual_lshlrev_b32 v2, 20, v2
	v_lshl_add_u32 v6, v6, 23, 0x3c000000
	v_and_b32_e32 v3, 0x80000000, v3
	s_delay_alu instid0(VALU_DEP_1)
	v_or3_b32 v115, v2, v3, v6
.LBB346_180:                            ;   in Loop: Header=BB346_15 Depth=1
	s_or_b32 exec_lo, exec_lo, s45
.LBB346_181:                            ;   in Loop: Header=BB346_15 Depth=1
	s_delay_alu instid0(SALU_CYCLE_1)
	s_or_b32 exec_lo, exec_lo, s44
.LBB346_182:                            ;   in Loop: Header=BB346_15 Depth=1
	s_delay_alu instid0(SALU_CYCLE_1) | instskip(SKIP_3) | instid1(VALU_DEP_2)
	s_or_b32 exec_lo, exec_lo, s43
	v_dual_mov_b32 v117, 0 :: v_dual_lshrrev_b32 v2, 16, v1
	v_mov_b32_e32 v116, 0
	s_mov_b32 s43, exec_lo
	v_and_b32_e32 v3, 0xff, v2
	s_delay_alu instid0(VALU_DEP_1)
	v_cmpx_ne_u16_e32 0, v3
	s_cbranch_execz .LBB346_190
; %bb.183:                              ;   in Loop: Header=BB346_15 Depth=1
	v_bfrev_b32_e32 v116, 1
	s_mov_b32 s44, exec_lo
	v_cmpx_ne_u16_e32 0x80, v3
	s_cbranch_execz .LBB346_189
; %bb.184:                              ;   in Loop: Header=BB346_15 Depth=1
	v_bfe_u32 v6, v1, 16, 7
	v_mov_b32_e32 v116, 0x7f800001
	s_mov_b32 s45, exec_lo
	s_delay_alu instid0(VALU_DEP_2)
	v_cmpx_ne_u32_e32 0x7f, v6
	s_cbranch_execz .LBB346_188
; %bb.185:                              ;   in Loop: Header=BB346_15 Depth=1
	v_and_b32_e32 v28, 7, v2
	v_lshrrev_b32_e32 v3, 3, v6
	s_mov_b32 s46, exec_lo
	v_cmpx_gt_u32_e32 8, v6
; %bb.186:                              ;   in Loop: Header=BB346_15 Depth=1
	s_delay_alu instid0(VALU_DEP_3) | instskip(NEXT) | instid1(VALU_DEP_1)
	v_clz_i32_u32_e32 v3, v28
	v_min_u32_e32 v3, 32, v3
	s_delay_alu instid0(VALU_DEP_1) | instskip(NEXT) | instid1(VALU_DEP_1)
	v_subrev_nc_u32_e32 v6, 28, v3
	v_lshlrev_b64_e32 v[6:7], v6, v[28:29]
	s_delay_alu instid0(VALU_DEP_1)
	v_dual_sub_nc_u32 v3, 29, v3 :: v_dual_bitop2_b32 v28, 7, v6 bitop3:0x40
; %bb.187:                              ;   in Loop: Header=BB346_15 Depth=1
	s_or_b32 exec_lo, exec_lo, s46
	s_delay_alu instid0(VALU_DEP_1) | instskip(NEXT) | instid1(VALU_DEP_2)
	v_dual_lshlrev_b32 v2, 24, v2 :: v_dual_lshlrev_b32 v6, 20, v28
	v_lshl_add_u32 v3, v3, 23, 0x3c000000
	s_delay_alu instid0(VALU_DEP_2) | instskip(NEXT) | instid1(VALU_DEP_1)
	v_and_b32_e32 v2, 0x80000000, v2
	v_or3_b32 v116, v6, v2, v3
.LBB346_188:                            ;   in Loop: Header=BB346_15 Depth=1
	s_or_b32 exec_lo, exec_lo, s45
.LBB346_189:                            ;   in Loop: Header=BB346_15 Depth=1
	s_delay_alu instid0(SALU_CYCLE_1)
	s_or_b32 exec_lo, exec_lo, s44
.LBB346_190:                            ;   in Loop: Header=BB346_15 Depth=1
	s_delay_alu instid0(SALU_CYCLE_1) | instskip(NEXT) | instid1(SALU_CYCLE_1)
	s_or_b32 exec_lo, exec_lo, s43
	s_mov_b32 s43, exec_lo
	v_cmpx_lt_u64_e64 s[26:27], v[0:1]
	s_cbranch_execz .LBB346_198
; %bb.191:                              ;   in Loop: Header=BB346_15 Depth=1
	v_lshrrev_b32_e32 v0, 24, v1
	v_bfrev_b32_e32 v117, 1
	s_mov_b32 s44, exec_lo
	s_delay_alu instid0(VALU_DEP_2)
	v_cmpx_ne_u32_e32 0x80, v0
	s_cbranch_execz .LBB346_197
; %bb.192:                              ;   in Loop: Header=BB346_15 Depth=1
	v_bfe_u32 v2, v1, 24, 7
	v_mov_b32_e32 v117, 0x7f800001
	s_mov_b32 s45, exec_lo
	s_delay_alu instid0(VALU_DEP_2)
	v_cmpx_ne_u32_e32 0x7f, v2
	s_cbranch_execz .LBB346_196
; %bb.193:                              ;   in Loop: Header=BB346_15 Depth=1
	v_dual_lshrrev_b32 v1, 3, v2 :: v_dual_bitop2_b32 v28, 7, v0 bitop3:0x40
	s_mov_b32 s46, exec_lo
	v_cmpx_gt_u32_e32 8, v2
; %bb.194:                              ;   in Loop: Header=BB346_15 Depth=1
	s_delay_alu instid0(VALU_DEP_2) | instskip(NEXT) | instid1(VALU_DEP_1)
	v_clz_i32_u32_e32 v1, v28
	v_min_u32_e32 v1, 32, v1
	s_delay_alu instid0(VALU_DEP_1) | instskip(NEXT) | instid1(VALU_DEP_1)
	v_subrev_nc_u32_e32 v2, 28, v1
	v_lshlrev_b64_e32 v[2:3], v2, v[28:29]
	s_delay_alu instid0(VALU_DEP_1)
	v_dual_sub_nc_u32 v1, 29, v1 :: v_dual_bitop2_b32 v28, 7, v2 bitop3:0x40
; %bb.195:                              ;   in Loop: Header=BB346_15 Depth=1
	s_or_b32 exec_lo, exec_lo, s46
	v_lshlrev_b32_e32 v0, 24, v0
	s_delay_alu instid0(VALU_DEP_2) | instskip(NEXT) | instid1(VALU_DEP_3)
	v_lshlrev_b32_e32 v2, 20, v28
	v_lshl_add_u32 v1, v1, 23, 0x3c000000
	s_delay_alu instid0(VALU_DEP_3) | instskip(NEXT) | instid1(VALU_DEP_1)
	v_and_b32_e32 v0, 0x80000000, v0
	v_or3_b32 v117, v2, v0, v1
.LBB346_196:                            ;   in Loop: Header=BB346_15 Depth=1
	s_or_b32 exec_lo, exec_lo, s45
.LBB346_197:                            ;   in Loop: Header=BB346_15 Depth=1
	s_delay_alu instid0(SALU_CYCLE_1)
	s_or_b32 exec_lo, exec_lo, s44
.LBB346_198:                            ;   in Loop: Header=BB346_15 Depth=1
	s_delay_alu instid0(SALU_CYCLE_1)
	s_or_b32 exec_lo, exec_lo, s43
	global_load_b64 v[0:1], v[102:103], off offset:520
	v_dual_mov_b32 v119, 0 :: v_dual_mov_b32 v118, 0
	s_mov_b32 s43, exec_lo
	s_wait_loadcnt 0x0
	v_and_b32_e32 v2, 0xff, v0
	s_wait_xcnt 0x0
	s_delay_alu instid0(VALU_DEP_1)
	v_cmpx_ne_u16_e32 0, v2
	s_cbranch_execz .LBB346_204
; %bb.199:                              ;   in Loop: Header=BB346_15 Depth=1
	v_bfrev_b32_e32 v118, 1
	s_mov_b32 s44, exec_lo
	v_cmpx_ne_u16_e32 0x80, v2
	s_cbranch_execz .LBB346_203
; %bb.200:                              ;   in Loop: Header=BB346_15 Depth=1
	v_and_b32_e32 v2, 0x7f, v0
	v_mov_b32_e32 v118, 0x7f800001
	s_mov_b32 s45, exec_lo
	s_delay_alu instid0(VALU_DEP_2)
	v_cmpx_ne_u32_e32 0x7f, v2
	s_cbranch_execz .LBB346_202
; %bb.201:                              ;   in Loop: Header=BB346_15 Depth=1
	v_dual_lshrrev_b32 v6, 3, v2 :: v_dual_bitop2_b32 v3, 7, v0 bitop3:0x40
	v_cmp_gt_u32_e64 s3, 8, v2
	s_delay_alu instid0(VALU_DEP_2) | instskip(NEXT) | instid1(VALU_DEP_1)
	v_clz_i32_u32_e32 v2, v3
	v_min_u32_e32 v2, 32, v2
	s_delay_alu instid0(VALU_DEP_1) | instskip(SKIP_1) | instid1(VALU_DEP_1)
	v_subrev_nc_u32_e32 v3, 28, v2
	v_sub_nc_u32_e32 v2, 29, v2
	v_dual_cndmask_b32 v6, v6, v2, s3 :: v_dual_cndmask_b32 v2, 0, v3, s3
	s_delay_alu instid0(VALU_DEP_1) | instskip(NEXT) | instid1(VALU_DEP_2)
	v_lshl_add_u32 v6, v6, 23, 0x3c000000
	v_lshlrev_b64_e32 v[2:3], v2, v[0:1]
	v_lshlrev_b32_e32 v3, 24, v0
	s_delay_alu instid0(VALU_DEP_1) | instskip(NEXT) | instid1(VALU_DEP_3)
	v_and_b32_e32 v3, 0x80000000, v3
	v_lshlrev_b32_e32 v2, 20, v2
	s_delay_alu instid0(VALU_DEP_1) | instskip(NEXT) | instid1(VALU_DEP_1)
	v_and_b32_e32 v2, 0x700000, v2
	v_or3_b32 v118, v2, v3, v6
.LBB346_202:                            ;   in Loop: Header=BB346_15 Depth=1
	s_or_b32 exec_lo, exec_lo, s45
.LBB346_203:                            ;   in Loop: Header=BB346_15 Depth=1
	s_delay_alu instid0(SALU_CYCLE_1)
	s_or_b32 exec_lo, exec_lo, s44
.LBB346_204:                            ;   in Loop: Header=BB346_15 Depth=1
	s_delay_alu instid0(SALU_CYCLE_1) | instskip(SKIP_2) | instid1(VALU_DEP_1)
	s_or_b32 exec_lo, exec_lo, s43
	v_lshrrev_b16 v2, 8, v0
	s_mov_b32 s43, exec_lo
	v_cmpx_ne_u16_e32 0, v2
	s_cbranch_execz .LBB346_212
; %bb.205:                              ;   in Loop: Header=BB346_15 Depth=1
	v_bfrev_b32_e32 v119, 1
	s_mov_b32 s44, exec_lo
	v_cmpx_ne_u16_e32 0x80, v2
	s_cbranch_execz .LBB346_211
; %bb.206:                              ;   in Loop: Header=BB346_15 Depth=1
	v_and_b32_e32 v2, 0xffff, v2
	v_mov_b32_e32 v119, 0x7f800001
	s_mov_b32 s45, exec_lo
	s_delay_alu instid0(VALU_DEP_2) | instskip(NEXT) | instid1(VALU_DEP_1)
	v_and_b32_e32 v3, 0x7f, v2
	v_cmpx_ne_u32_e32 0x7f, v3
	s_cbranch_execz .LBB346_210
; %bb.207:                              ;   in Loop: Header=BB346_15 Depth=1
	v_dual_lshrrev_b32 v2, 3, v3 :: v_dual_bitop2_b32 v28, 7, v2 bitop3:0x40
	s_mov_b32 s46, exec_lo
	v_cmpx_gt_u32_e32 8, v3
; %bb.208:                              ;   in Loop: Header=BB346_15 Depth=1
	s_delay_alu instid0(VALU_DEP_2) | instskip(NEXT) | instid1(VALU_DEP_1)
	v_clz_i32_u32_e32 v2, v28
	v_min_u32_e32 v2, 32, v2
	s_delay_alu instid0(VALU_DEP_1) | instskip(SKIP_1) | instid1(VALU_DEP_2)
	v_subrev_nc_u32_e32 v3, 28, v2
	v_sub_nc_u32_e32 v2, 29, v2
	v_lshlrev_b64_e32 v[6:7], v3, v[28:29]
	s_delay_alu instid0(VALU_DEP_1)
	v_and_b32_e32 v28, 7, v6
; %bb.209:                              ;   in Loop: Header=BB346_15 Depth=1
	s_or_b32 exec_lo, exec_lo, s46
	v_lshlrev_b32_e32 v3, 16, v0
	s_delay_alu instid0(VALU_DEP_2) | instskip(SKIP_1) | instid1(VALU_DEP_3)
	v_lshlrev_b32_e32 v6, 20, v28
	v_lshl_add_u32 v2, v2, 23, 0x3c000000
	v_and_b32_e32 v3, 0x80000000, v3
	s_delay_alu instid0(VALU_DEP_1)
	v_or3_b32 v119, v6, v3, v2
.LBB346_210:                            ;   in Loop: Header=BB346_15 Depth=1
	s_or_b32 exec_lo, exec_lo, s45
.LBB346_211:                            ;   in Loop: Header=BB346_15 Depth=1
	s_delay_alu instid0(SALU_CYCLE_1)
	s_or_b32 exec_lo, exec_lo, s44
.LBB346_212:                            ;   in Loop: Header=BB346_15 Depth=1
	s_delay_alu instid0(SALU_CYCLE_1) | instskip(SKIP_3) | instid1(VALU_DEP_2)
	s_or_b32 exec_lo, exec_lo, s43
	v_dual_mov_b32 v121, 0 :: v_dual_lshrrev_b32 v2, 16, v0
	v_mov_b32_e32 v120, 0
	s_mov_b32 s43, exec_lo
	v_and_b32_e32 v3, 0xff, v2
	s_delay_alu instid0(VALU_DEP_1)
	v_cmpx_ne_u16_e32 0, v3
	s_cbranch_execz .LBB346_220
; %bb.213:                              ;   in Loop: Header=BB346_15 Depth=1
	v_bfrev_b32_e32 v120, 1
	s_mov_b32 s44, exec_lo
	v_cmpx_ne_u16_e32 0x80, v3
	s_cbranch_execz .LBB346_219
; %bb.214:                              ;   in Loop: Header=BB346_15 Depth=1
	v_bfe_u32 v6, v0, 16, 7
	v_mov_b32_e32 v120, 0x7f800001
	s_mov_b32 s45, exec_lo
	s_delay_alu instid0(VALU_DEP_2)
	v_cmpx_ne_u32_e32 0x7f, v6
	s_cbranch_execz .LBB346_218
; %bb.215:                              ;   in Loop: Header=BB346_15 Depth=1
	v_and_b32_e32 v28, 7, v2
	v_lshrrev_b32_e32 v3, 3, v6
	s_mov_b32 s46, exec_lo
	v_cmpx_gt_u32_e32 8, v6
; %bb.216:                              ;   in Loop: Header=BB346_15 Depth=1
	s_delay_alu instid0(VALU_DEP_3) | instskip(NEXT) | instid1(VALU_DEP_1)
	v_clz_i32_u32_e32 v3, v28
	v_min_u32_e32 v3, 32, v3
	s_delay_alu instid0(VALU_DEP_1) | instskip(NEXT) | instid1(VALU_DEP_1)
	v_subrev_nc_u32_e32 v6, 28, v3
	v_lshlrev_b64_e32 v[6:7], v6, v[28:29]
	s_delay_alu instid0(VALU_DEP_1)
	v_dual_sub_nc_u32 v3, 29, v3 :: v_dual_bitop2_b32 v28, 7, v6 bitop3:0x40
; %bb.217:                              ;   in Loop: Header=BB346_15 Depth=1
	s_or_b32 exec_lo, exec_lo, s46
	s_delay_alu instid0(VALU_DEP_1) | instskip(NEXT) | instid1(VALU_DEP_2)
	v_dual_lshlrev_b32 v2, 24, v2 :: v_dual_lshlrev_b32 v6, 20, v28
	v_lshl_add_u32 v3, v3, 23, 0x3c000000
	s_delay_alu instid0(VALU_DEP_2) | instskip(NEXT) | instid1(VALU_DEP_1)
	v_and_b32_e32 v2, 0x80000000, v2
	v_or3_b32 v120, v6, v2, v3
.LBB346_218:                            ;   in Loop: Header=BB346_15 Depth=1
	s_or_b32 exec_lo, exec_lo, s45
.LBB346_219:                            ;   in Loop: Header=BB346_15 Depth=1
	s_delay_alu instid0(SALU_CYCLE_1)
	s_or_b32 exec_lo, exec_lo, s44
.LBB346_220:                            ;   in Loop: Header=BB346_15 Depth=1
	s_delay_alu instid0(SALU_CYCLE_1) | instskip(NEXT) | instid1(SALU_CYCLE_1)
	s_or_b32 exec_lo, exec_lo, s43
	s_mov_b32 s43, exec_lo
	v_cmpx_lt_u32_e32 0xffffff, v0
	s_cbranch_execz .LBB346_228
; %bb.221:                              ;   in Loop: Header=BB346_15 Depth=1
	v_lshrrev_b32_e32 v2, 24, v0
	v_bfrev_b32_e32 v121, 1
	s_mov_b32 s44, exec_lo
	s_delay_alu instid0(VALU_DEP_2)
	v_cmpx_ne_u32_e32 0x80, v2
	s_cbranch_execz .LBB346_227
; %bb.222:                              ;   in Loop: Header=BB346_15 Depth=1
	v_bfe_u32 v6, v0, 24, 7
	v_mov_b32_e32 v121, 0x7f800001
	s_mov_b32 s45, exec_lo
	s_delay_alu instid0(VALU_DEP_2)
	v_cmpx_ne_u32_e32 0x7f, v6
	s_cbranch_execz .LBB346_226
; %bb.223:                              ;   in Loop: Header=BB346_15 Depth=1
	v_and_b32_e32 v28, 7, v2
	v_lshrrev_b32_e32 v3, 3, v6
	s_mov_b32 s46, exec_lo
	v_cmpx_gt_u32_e32 8, v6
; %bb.224:                              ;   in Loop: Header=BB346_15 Depth=1
	s_delay_alu instid0(VALU_DEP_3) | instskip(NEXT) | instid1(VALU_DEP_1)
	v_clz_i32_u32_e32 v3, v28
	v_min_u32_e32 v3, 32, v3
	s_delay_alu instid0(VALU_DEP_1) | instskip(NEXT) | instid1(VALU_DEP_1)
	v_subrev_nc_u32_e32 v6, 28, v3
	v_lshlrev_b64_e32 v[6:7], v6, v[28:29]
	s_delay_alu instid0(VALU_DEP_1)
	v_dual_sub_nc_u32 v3, 29, v3 :: v_dual_bitop2_b32 v28, 7, v6 bitop3:0x40
; %bb.225:                              ;   in Loop: Header=BB346_15 Depth=1
	s_or_b32 exec_lo, exec_lo, s46
	s_delay_alu instid0(VALU_DEP_1) | instskip(NEXT) | instid1(VALU_DEP_2)
	v_dual_lshlrev_b32 v2, 24, v2 :: v_dual_lshlrev_b32 v6, 20, v28
	v_lshl_add_u32 v3, v3, 23, 0x3c000000
	s_delay_alu instid0(VALU_DEP_2) | instskip(NEXT) | instid1(VALU_DEP_1)
	v_and_b32_e32 v2, 0x80000000, v2
	v_or3_b32 v121, v6, v2, v3
.LBB346_226:                            ;   in Loop: Header=BB346_15 Depth=1
	s_or_b32 exec_lo, exec_lo, s45
.LBB346_227:                            ;   in Loop: Header=BB346_15 Depth=1
	s_delay_alu instid0(SALU_CYCLE_1)
	s_or_b32 exec_lo, exec_lo, s44
.LBB346_228:                            ;   in Loop: Header=BB346_15 Depth=1
	s_delay_alu instid0(SALU_CYCLE_1) | instskip(SKIP_4) | instid1(VALU_DEP_3)
	s_or_b32 exec_lo, exec_lo, s43
	v_and_b32_e32 v2, 0xff, v1
	v_dual_mov_b32 v28, v1 :: v_dual_mov_b32 v123, 0
	v_mov_b32_e32 v122, 0
	s_mov_b32 s43, exec_lo
	v_cmpx_ne_u16_e32 0, v2
	s_cbranch_execz .LBB346_234
; %bb.229:                              ;   in Loop: Header=BB346_15 Depth=1
	v_bfrev_b32_e32 v122, 1
	s_mov_b32 s44, exec_lo
	v_cmpx_ne_u16_e32 0x80, v2
	s_cbranch_execz .LBB346_233
; %bb.230:                              ;   in Loop: Header=BB346_15 Depth=1
	v_and_b32_e32 v2, 0x7f, v1
	v_mov_b32_e32 v122, 0x7f800001
	s_mov_b32 s45, exec_lo
	s_delay_alu instid0(VALU_DEP_2)
	v_cmpx_ne_u32_e32 0x7f, v2
	s_cbranch_execz .LBB346_232
; %bb.231:                              ;   in Loop: Header=BB346_15 Depth=1
	v_dual_lshrrev_b32 v6, 3, v2 :: v_dual_bitop2_b32 v3, 7, v1 bitop3:0x40
	v_cmp_gt_u32_e64 s3, 8, v2
	s_delay_alu instid0(VALU_DEP_2) | instskip(NEXT) | instid1(VALU_DEP_1)
	v_clz_i32_u32_e32 v2, v3
	v_min_u32_e32 v2, 32, v2
	s_delay_alu instid0(VALU_DEP_1) | instskip(SKIP_1) | instid1(VALU_DEP_1)
	v_subrev_nc_u32_e32 v3, 28, v2
	v_sub_nc_u32_e32 v2, 29, v2
	v_dual_cndmask_b32 v6, v6, v2, s3 :: v_dual_cndmask_b32 v2, 0, v3, s3
	s_delay_alu instid0(VALU_DEP_1) | instskip(NEXT) | instid1(VALU_DEP_2)
	v_lshl_add_u32 v6, v6, 23, 0x3c000000
	v_lshlrev_b64_e32 v[2:3], v2, v[28:29]
	v_lshlrev_b32_e32 v3, 24, v28
	s_delay_alu instid0(VALU_DEP_1) | instskip(NEXT) | instid1(VALU_DEP_3)
	v_and_b32_e32 v3, 0x80000000, v3
	v_lshlrev_b32_e32 v2, 20, v2
	s_delay_alu instid0(VALU_DEP_1) | instskip(NEXT) | instid1(VALU_DEP_1)
	v_and_b32_e32 v2, 0x700000, v2
	v_or3_b32 v122, v2, v3, v6
.LBB346_232:                            ;   in Loop: Header=BB346_15 Depth=1
	s_or_b32 exec_lo, exec_lo, s45
.LBB346_233:                            ;   in Loop: Header=BB346_15 Depth=1
	s_delay_alu instid0(SALU_CYCLE_1)
	s_or_b32 exec_lo, exec_lo, s44
.LBB346_234:                            ;   in Loop: Header=BB346_15 Depth=1
	s_delay_alu instid0(SALU_CYCLE_1) | instskip(SKIP_2) | instid1(VALU_DEP_1)
	s_or_b32 exec_lo, exec_lo, s43
	v_lshrrev_b16 v2, 8, v28
	s_mov_b32 s43, exec_lo
	v_cmpx_ne_u16_e32 0, v2
	s_cbranch_execz .LBB346_242
; %bb.235:                              ;   in Loop: Header=BB346_15 Depth=1
	v_bfrev_b32_e32 v123, 1
	s_mov_b32 s44, exec_lo
	v_cmpx_ne_u16_e32 0x80, v2
	s_cbranch_execz .LBB346_241
; %bb.236:                              ;   in Loop: Header=BB346_15 Depth=1
	v_and_b32_e32 v2, 0xffff, v2
	v_mov_b32_e32 v123, 0x7f800001
	s_mov_b32 s45, exec_lo
	s_delay_alu instid0(VALU_DEP_2) | instskip(NEXT) | instid1(VALU_DEP_1)
	v_and_b32_e32 v7, 0x7f, v2
	v_cmpx_ne_u32_e32 0x7f, v7
	s_cbranch_execz .LBB346_240
; %bb.237:                              ;   in Loop: Header=BB346_15 Depth=1
	v_dual_mov_b32 v3, v29 :: v_dual_bitop2_b32 v2, 7, v2 bitop3:0x40
	v_lshrrev_b32_e32 v6, 3, v7
	s_mov_b32 s46, exec_lo
	v_cmpx_gt_u32_e32 8, v7
; %bb.238:                              ;   in Loop: Header=BB346_15 Depth=1
	s_delay_alu instid0(VALU_DEP_3) | instskip(NEXT) | instid1(VALU_DEP_1)
	v_clz_i32_u32_e32 v6, v2
	v_min_u32_e32 v6, 32, v6
	s_delay_alu instid0(VALU_DEP_1) | instskip(SKIP_1) | instid1(VALU_DEP_2)
	v_subrev_nc_u32_e32 v7, 28, v6
	v_sub_nc_u32_e32 v6, 29, v6
	v_lshlrev_b64_e32 v[2:3], v7, v[2:3]
	s_delay_alu instid0(VALU_DEP_1)
	v_and_b32_e32 v2, 7, v2
; %bb.239:                              ;   in Loop: Header=BB346_15 Depth=1
	s_or_b32 exec_lo, exec_lo, s46
	s_delay_alu instid0(VALU_DEP_1) | instskip(SKIP_1) | instid1(VALU_DEP_2)
	v_dual_lshlrev_b32 v3, 16, v28 :: v_dual_lshlrev_b32 v2, 20, v2
	v_lshl_add_u32 v6, v6, 23, 0x3c000000
	v_and_b32_e32 v3, 0x80000000, v3
	s_delay_alu instid0(VALU_DEP_1)
	v_or3_b32 v123, v2, v3, v6
.LBB346_240:                            ;   in Loop: Header=BB346_15 Depth=1
	s_or_b32 exec_lo, exec_lo, s45
.LBB346_241:                            ;   in Loop: Header=BB346_15 Depth=1
	s_delay_alu instid0(SALU_CYCLE_1)
	s_or_b32 exec_lo, exec_lo, s44
.LBB346_242:                            ;   in Loop: Header=BB346_15 Depth=1
	s_delay_alu instid0(SALU_CYCLE_1) | instskip(SKIP_3) | instid1(VALU_DEP_2)
	s_or_b32 exec_lo, exec_lo, s43
	v_dual_mov_b32 v125, 0 :: v_dual_lshrrev_b32 v2, 16, v1
	v_mov_b32_e32 v124, 0
	s_mov_b32 s43, exec_lo
	v_and_b32_e32 v3, 0xff, v2
	s_delay_alu instid0(VALU_DEP_1)
	v_cmpx_ne_u16_e32 0, v3
	s_cbranch_execz .LBB346_250
; %bb.243:                              ;   in Loop: Header=BB346_15 Depth=1
	v_bfrev_b32_e32 v124, 1
	s_mov_b32 s44, exec_lo
	v_cmpx_ne_u16_e32 0x80, v3
	s_cbranch_execz .LBB346_249
; %bb.244:                              ;   in Loop: Header=BB346_15 Depth=1
	v_bfe_u32 v6, v1, 16, 7
	v_mov_b32_e32 v124, 0x7f800001
	s_mov_b32 s45, exec_lo
	s_delay_alu instid0(VALU_DEP_2)
	v_cmpx_ne_u32_e32 0x7f, v6
	s_cbranch_execz .LBB346_248
; %bb.245:                              ;   in Loop: Header=BB346_15 Depth=1
	v_and_b32_e32 v28, 7, v2
	v_lshrrev_b32_e32 v3, 3, v6
	s_mov_b32 s46, exec_lo
	v_cmpx_gt_u32_e32 8, v6
; %bb.246:                              ;   in Loop: Header=BB346_15 Depth=1
	s_delay_alu instid0(VALU_DEP_3) | instskip(NEXT) | instid1(VALU_DEP_1)
	v_clz_i32_u32_e32 v3, v28
	v_min_u32_e32 v3, 32, v3
	s_delay_alu instid0(VALU_DEP_1) | instskip(NEXT) | instid1(VALU_DEP_1)
	v_subrev_nc_u32_e32 v6, 28, v3
	v_lshlrev_b64_e32 v[6:7], v6, v[28:29]
	s_delay_alu instid0(VALU_DEP_1)
	v_dual_sub_nc_u32 v3, 29, v3 :: v_dual_bitop2_b32 v28, 7, v6 bitop3:0x40
; %bb.247:                              ;   in Loop: Header=BB346_15 Depth=1
	s_or_b32 exec_lo, exec_lo, s46
	s_delay_alu instid0(VALU_DEP_1) | instskip(NEXT) | instid1(VALU_DEP_2)
	v_dual_lshlrev_b32 v2, 24, v2 :: v_dual_lshlrev_b32 v6, 20, v28
	v_lshl_add_u32 v3, v3, 23, 0x3c000000
	s_delay_alu instid0(VALU_DEP_2) | instskip(NEXT) | instid1(VALU_DEP_1)
	v_and_b32_e32 v2, 0x80000000, v2
	v_or3_b32 v124, v6, v2, v3
.LBB346_248:                            ;   in Loop: Header=BB346_15 Depth=1
	s_or_b32 exec_lo, exec_lo, s45
.LBB346_249:                            ;   in Loop: Header=BB346_15 Depth=1
	s_delay_alu instid0(SALU_CYCLE_1)
	s_or_b32 exec_lo, exec_lo, s44
.LBB346_250:                            ;   in Loop: Header=BB346_15 Depth=1
	s_delay_alu instid0(SALU_CYCLE_1) | instskip(NEXT) | instid1(SALU_CYCLE_1)
	s_or_b32 exec_lo, exec_lo, s43
	s_mov_b32 s43, exec_lo
	v_cmpx_lt_u64_e64 s[26:27], v[0:1]
	s_cbranch_execz .LBB346_258
; %bb.251:                              ;   in Loop: Header=BB346_15 Depth=1
	v_lshrrev_b32_e32 v0, 24, v1
	v_bfrev_b32_e32 v125, 1
	s_mov_b32 s44, exec_lo
	s_delay_alu instid0(VALU_DEP_2)
	v_cmpx_ne_u32_e32 0x80, v0
	s_cbranch_execz .LBB346_257
; %bb.252:                              ;   in Loop: Header=BB346_15 Depth=1
	v_bfe_u32 v2, v1, 24, 7
	v_mov_b32_e32 v125, 0x7f800001
	s_mov_b32 s45, exec_lo
	s_delay_alu instid0(VALU_DEP_2)
	v_cmpx_ne_u32_e32 0x7f, v2
	s_cbranch_execz .LBB346_256
; %bb.253:                              ;   in Loop: Header=BB346_15 Depth=1
	v_dual_lshrrev_b32 v1, 3, v2 :: v_dual_bitop2_b32 v28, 7, v0 bitop3:0x40
	s_mov_b32 s46, exec_lo
	v_cmpx_gt_u32_e32 8, v2
; %bb.254:                              ;   in Loop: Header=BB346_15 Depth=1
	s_delay_alu instid0(VALU_DEP_2) | instskip(NEXT) | instid1(VALU_DEP_1)
	v_clz_i32_u32_e32 v1, v28
	v_min_u32_e32 v1, 32, v1
	s_delay_alu instid0(VALU_DEP_1) | instskip(NEXT) | instid1(VALU_DEP_1)
	v_subrev_nc_u32_e32 v2, 28, v1
	v_lshlrev_b64_e32 v[2:3], v2, v[28:29]
	s_delay_alu instid0(VALU_DEP_1)
	v_dual_sub_nc_u32 v1, 29, v1 :: v_dual_bitop2_b32 v28, 7, v2 bitop3:0x40
; %bb.255:                              ;   in Loop: Header=BB346_15 Depth=1
	s_or_b32 exec_lo, exec_lo, s46
	v_lshlrev_b32_e32 v0, 24, v0
	s_delay_alu instid0(VALU_DEP_2) | instskip(NEXT) | instid1(VALU_DEP_3)
	v_lshlrev_b32_e32 v2, 20, v28
	v_lshl_add_u32 v1, v1, 23, 0x3c000000
	s_delay_alu instid0(VALU_DEP_3) | instskip(NEXT) | instid1(VALU_DEP_1)
	v_and_b32_e32 v0, 0x80000000, v0
	v_or3_b32 v125, v2, v0, v1
.LBB346_256:                            ;   in Loop: Header=BB346_15 Depth=1
	s_or_b32 exec_lo, exec_lo, s45
.LBB346_257:                            ;   in Loop: Header=BB346_15 Depth=1
	s_delay_alu instid0(SALU_CYCLE_1)
	s_or_b32 exec_lo, exec_lo, s44
.LBB346_258:                            ;   in Loop: Header=BB346_15 Depth=1
	s_delay_alu instid0(SALU_CYCLE_1)
	s_or_b32 exec_lo, exec_lo, s43
	global_load_b64 v[2:3], v[102:103], off offset:1024
	v_dual_mov_b32 v127, 0 :: v_dual_mov_b32 v126, 0
	s_mov_b32 s43, exec_lo
	s_wait_loadcnt 0x0
	v_and_b32_e32 v0, 0xff, v2
	s_wait_xcnt 0x0
	s_delay_alu instid0(VALU_DEP_1)
	v_cmpx_ne_u16_e32 0, v0
	s_cbranch_execz .LBB346_264
; %bb.259:                              ;   in Loop: Header=BB346_15 Depth=1
	v_bfrev_b32_e32 v126, 1
	s_mov_b32 s44, exec_lo
	v_cmpx_ne_u16_e32 0x80, v0
	s_cbranch_execz .LBB346_263
; %bb.260:                              ;   in Loop: Header=BB346_15 Depth=1
	v_and_b32_e32 v0, 0x7f, v2
	v_mov_b32_e32 v126, 0x7f800001
	s_mov_b32 s45, exec_lo
	s_delay_alu instid0(VALU_DEP_2)
	v_cmpx_ne_u32_e32 0x7f, v0
	s_cbranch_execz .LBB346_262
; %bb.261:                              ;   in Loop: Header=BB346_15 Depth=1
	v_dual_lshrrev_b32 v6, 3, v0 :: v_dual_bitop2_b32 v1, 7, v2 bitop3:0x40
	v_cmp_gt_u32_e64 s3, 8, v0
	s_delay_alu instid0(VALU_DEP_2) | instskip(NEXT) | instid1(VALU_DEP_1)
	v_clz_i32_u32_e32 v0, v1
	v_min_u32_e32 v0, 32, v0
	s_delay_alu instid0(VALU_DEP_1) | instskip(SKIP_1) | instid1(VALU_DEP_1)
	v_subrev_nc_u32_e32 v1, 28, v0
	v_sub_nc_u32_e32 v0, 29, v0
	v_dual_cndmask_b32 v6, v6, v0, s3 :: v_dual_cndmask_b32 v0, 0, v1, s3
	s_delay_alu instid0(VALU_DEP_1) | instskip(NEXT) | instid1(VALU_DEP_2)
	v_lshl_add_u32 v6, v6, 23, 0x3c000000
	v_lshlrev_b64_e32 v[0:1], v0, v[2:3]
	v_lshlrev_b32_e32 v1, 24, v2
	s_delay_alu instid0(VALU_DEP_1) | instskip(NEXT) | instid1(VALU_DEP_3)
	v_and_b32_e32 v1, 0x80000000, v1
	v_lshlrev_b32_e32 v0, 20, v0
	s_delay_alu instid0(VALU_DEP_1) | instskip(NEXT) | instid1(VALU_DEP_1)
	v_and_b32_e32 v0, 0x700000, v0
	v_or3_b32 v126, v0, v1, v6
.LBB346_262:                            ;   in Loop: Header=BB346_15 Depth=1
	s_or_b32 exec_lo, exec_lo, s45
.LBB346_263:                            ;   in Loop: Header=BB346_15 Depth=1
	s_delay_alu instid0(SALU_CYCLE_1)
	s_or_b32 exec_lo, exec_lo, s44
.LBB346_264:                            ;   in Loop: Header=BB346_15 Depth=1
	s_delay_alu instid0(SALU_CYCLE_1) | instskip(SKIP_2) | instid1(VALU_DEP_1)
	s_or_b32 exec_lo, exec_lo, s43
	v_lshrrev_b16 v0, 8, v2
	s_mov_b32 s43, exec_lo
	v_cmpx_ne_u16_e32 0, v0
	s_cbranch_execz .LBB346_272
; %bb.265:                              ;   in Loop: Header=BB346_15 Depth=1
	v_bfrev_b32_e32 v127, 1
	s_mov_b32 s44, exec_lo
	v_cmpx_ne_u16_e32 0x80, v0
	s_cbranch_execz .LBB346_271
; %bb.266:                              ;   in Loop: Header=BB346_15 Depth=1
	v_and_b32_e32 v0, 0xffff, v0
	v_mov_b32_e32 v127, 0x7f800001
	s_mov_b32 s45, exec_lo
	s_delay_alu instid0(VALU_DEP_2) | instskip(NEXT) | instid1(VALU_DEP_1)
	v_and_b32_e32 v1, 0x7f, v0
	v_cmpx_ne_u32_e32 0x7f, v1
	s_cbranch_execz .LBB346_270
; %bb.267:                              ;   in Loop: Header=BB346_15 Depth=1
	v_dual_lshrrev_b32 v0, 3, v1 :: v_dual_bitop2_b32 v28, 7, v0 bitop3:0x40
	s_mov_b32 s46, exec_lo
	v_cmpx_gt_u32_e32 8, v1
; %bb.268:                              ;   in Loop: Header=BB346_15 Depth=1
	s_delay_alu instid0(VALU_DEP_2) | instskip(NEXT) | instid1(VALU_DEP_1)
	v_clz_i32_u32_e32 v0, v28
	v_min_u32_e32 v0, 32, v0
	s_delay_alu instid0(VALU_DEP_1) | instskip(NEXT) | instid1(VALU_DEP_1)
	v_subrev_nc_u32_e32 v1, 28, v0
	v_lshlrev_b64_e32 v[6:7], v1, v[28:29]
	s_delay_alu instid0(VALU_DEP_1)
	v_dual_sub_nc_u32 v0, 29, v0 :: v_dual_bitop2_b32 v28, 7, v6 bitop3:0x40
; %bb.269:                              ;   in Loop: Header=BB346_15 Depth=1
	s_or_b32 exec_lo, exec_lo, s46
	s_delay_alu instid0(VALU_DEP_1) | instskip(NEXT) | instid1(VALU_DEP_2)
	v_dual_lshlrev_b32 v1, 16, v2 :: v_dual_lshlrev_b32 v6, 20, v28
	v_lshl_add_u32 v0, v0, 23, 0x3c000000
	s_delay_alu instid0(VALU_DEP_2) | instskip(NEXT) | instid1(VALU_DEP_1)
	v_and_b32_e32 v1, 0x80000000, v1
	v_or3_b32 v127, v6, v1, v0
.LBB346_270:                            ;   in Loop: Header=BB346_15 Depth=1
	s_or_b32 exec_lo, exec_lo, s45
.LBB346_271:                            ;   in Loop: Header=BB346_15 Depth=1
	s_delay_alu instid0(SALU_CYCLE_1)
	s_or_b32 exec_lo, exec_lo, s44
.LBB346_272:                            ;   in Loop: Header=BB346_15 Depth=1
	s_delay_alu instid0(SALU_CYCLE_1) | instskip(SKIP_3) | instid1(VALU_DEP_2)
	s_or_b32 exec_lo, exec_lo, s43
	v_dual_mov_b32 v87, 0 :: v_dual_lshrrev_b32 v0, 16, v2
	v_mov_b32_e32 v86, 0
	s_mov_b32 s43, exec_lo
	v_and_b32_e32 v1, 0xff, v0
	s_delay_alu instid0(VALU_DEP_1)
	v_cmpx_ne_u16_e32 0, v1
	s_cbranch_execz .LBB346_280
; %bb.273:                              ;   in Loop: Header=BB346_15 Depth=1
	v_bfrev_b32_e32 v86, 1
	s_mov_b32 s44, exec_lo
	v_cmpx_ne_u16_e32 0x80, v1
	s_cbranch_execz .LBB346_279
; %bb.274:                              ;   in Loop: Header=BB346_15 Depth=1
	v_bfe_u32 v6, v2, 16, 7
	v_mov_b32_e32 v86, 0x7f800001
	s_mov_b32 s45, exec_lo
	s_delay_alu instid0(VALU_DEP_2)
	v_cmpx_ne_u32_e32 0x7f, v6
	s_cbranch_execz .LBB346_278
; %bb.275:                              ;   in Loop: Header=BB346_15 Depth=1
	v_dual_lshrrev_b32 v1, 3, v6 :: v_dual_bitop2_b32 v28, 7, v0 bitop3:0x40
	s_mov_b32 s46, exec_lo
	v_cmpx_gt_u32_e32 8, v6
; %bb.276:                              ;   in Loop: Header=BB346_15 Depth=1
	s_delay_alu instid0(VALU_DEP_2) | instskip(NEXT) | instid1(VALU_DEP_1)
	v_clz_i32_u32_e32 v1, v28
	v_min_u32_e32 v1, 32, v1
	s_delay_alu instid0(VALU_DEP_1) | instskip(NEXT) | instid1(VALU_DEP_1)
	v_subrev_nc_u32_e32 v6, 28, v1
	v_lshlrev_b64_e32 v[6:7], v6, v[28:29]
	s_delay_alu instid0(VALU_DEP_1)
	v_dual_sub_nc_u32 v1, 29, v1 :: v_dual_bitop2_b32 v28, 7, v6 bitop3:0x40
; %bb.277:                              ;   in Loop: Header=BB346_15 Depth=1
	s_or_b32 exec_lo, exec_lo, s46
	v_lshlrev_b32_e32 v0, 24, v0
	s_delay_alu instid0(VALU_DEP_2) | instskip(NEXT) | instid1(VALU_DEP_3)
	v_lshlrev_b32_e32 v6, 20, v28
	v_lshl_add_u32 v1, v1, 23, 0x3c000000
	s_delay_alu instid0(VALU_DEP_3) | instskip(NEXT) | instid1(VALU_DEP_1)
	v_and_b32_e32 v0, 0x80000000, v0
	v_or3_b32 v86, v6, v0, v1
.LBB346_278:                            ;   in Loop: Header=BB346_15 Depth=1
	s_or_b32 exec_lo, exec_lo, s45
.LBB346_279:                            ;   in Loop: Header=BB346_15 Depth=1
	s_delay_alu instid0(SALU_CYCLE_1)
	s_or_b32 exec_lo, exec_lo, s44
.LBB346_280:                            ;   in Loop: Header=BB346_15 Depth=1
	s_delay_alu instid0(SALU_CYCLE_1) | instskip(NEXT) | instid1(SALU_CYCLE_1)
	s_or_b32 exec_lo, exec_lo, s43
	s_mov_b32 s43, exec_lo
	v_cmpx_lt_u32_e32 0xffffff, v2
	s_cbranch_execz .LBB346_288
; %bb.281:                              ;   in Loop: Header=BB346_15 Depth=1
	v_lshrrev_b32_e32 v0, 24, v2
	v_bfrev_b32_e32 v87, 1
	s_mov_b32 s44, exec_lo
	s_delay_alu instid0(VALU_DEP_2)
	v_cmpx_ne_u32_e32 0x80, v0
	s_cbranch_execz .LBB346_287
; %bb.282:                              ;   in Loop: Header=BB346_15 Depth=1
	v_bfe_u32 v6, v2, 24, 7
	v_mov_b32_e32 v87, 0x7f800001
	s_mov_b32 s45, exec_lo
	s_delay_alu instid0(VALU_DEP_2)
	v_cmpx_ne_u32_e32 0x7f, v6
	s_cbranch_execz .LBB346_286
; %bb.283:                              ;   in Loop: Header=BB346_15 Depth=1
	v_dual_lshrrev_b32 v1, 3, v6 :: v_dual_bitop2_b32 v28, 7, v0 bitop3:0x40
	s_mov_b32 s46, exec_lo
	v_cmpx_gt_u32_e32 8, v6
; %bb.284:                              ;   in Loop: Header=BB346_15 Depth=1
	s_delay_alu instid0(VALU_DEP_2) | instskip(NEXT) | instid1(VALU_DEP_1)
	v_clz_i32_u32_e32 v1, v28
	v_min_u32_e32 v1, 32, v1
	s_delay_alu instid0(VALU_DEP_1) | instskip(NEXT) | instid1(VALU_DEP_1)
	v_subrev_nc_u32_e32 v6, 28, v1
	v_lshlrev_b64_e32 v[6:7], v6, v[28:29]
	s_delay_alu instid0(VALU_DEP_1)
	v_dual_sub_nc_u32 v1, 29, v1 :: v_dual_bitop2_b32 v28, 7, v6 bitop3:0x40
; %bb.285:                              ;   in Loop: Header=BB346_15 Depth=1
	s_or_b32 exec_lo, exec_lo, s46
	v_lshlrev_b32_e32 v0, 24, v0
	s_delay_alu instid0(VALU_DEP_2) | instskip(NEXT) | instid1(VALU_DEP_3)
	v_lshlrev_b32_e32 v6, 20, v28
	v_lshl_add_u32 v1, v1, 23, 0x3c000000
	s_delay_alu instid0(VALU_DEP_3) | instskip(NEXT) | instid1(VALU_DEP_1)
	v_and_b32_e32 v0, 0x80000000, v0
	v_or3_b32 v87, v6, v0, v1
.LBB346_286:                            ;   in Loop: Header=BB346_15 Depth=1
	s_or_b32 exec_lo, exec_lo, s45
.LBB346_287:                            ;   in Loop: Header=BB346_15 Depth=1
	s_delay_alu instid0(SALU_CYCLE_1)
	s_or_b32 exec_lo, exec_lo, s44
.LBB346_288:                            ;   in Loop: Header=BB346_15 Depth=1
	s_delay_alu instid0(SALU_CYCLE_1) | instskip(SKIP_4) | instid1(VALU_DEP_3)
	s_or_b32 exec_lo, exec_lo, s43
	v_and_b32_e32 v6, 0xff, v3
	v_dual_mov_b32 v28, v3 :: v_dual_mov_b32 v1, 0
	v_mov_b32_e32 v0, 0
	s_mov_b32 s43, exec_lo
	v_cmpx_ne_u16_e32 0, v6
	s_cbranch_execz .LBB346_294
; %bb.289:                              ;   in Loop: Header=BB346_15 Depth=1
	v_bfrev_b32_e32 v0, 1
	s_mov_b32 s44, exec_lo
	v_cmpx_ne_u16_e32 0x80, v6
	s_cbranch_execz .LBB346_293
; %bb.290:                              ;   in Loop: Header=BB346_15 Depth=1
	v_and_b32_e32 v6, 0x7f, v3
	v_mov_b32_e32 v0, 0x7f800001
	s_mov_b32 s45, exec_lo
	s_delay_alu instid0(VALU_DEP_2)
	v_cmpx_ne_u32_e32 0x7f, v6
	s_cbranch_execz .LBB346_292
; %bb.291:                              ;   in Loop: Header=BB346_15 Depth=1
	v_dual_lshrrev_b32 v7, 3, v6 :: v_dual_bitop2_b32 v0, 7, v3 bitop3:0x40
	v_cmp_gt_u32_e64 s3, 8, v6
	s_delay_alu instid0(VALU_DEP_2) | instskip(NEXT) | instid1(VALU_DEP_1)
	v_clz_i32_u32_e32 v0, v0
	v_min_u32_e32 v0, 32, v0
	s_delay_alu instid0(VALU_DEP_1) | instskip(NEXT) | instid1(VALU_DEP_1)
	v_subrev_nc_u32_e32 v6, 28, v0
	v_dual_sub_nc_u32 v0, 29, v0 :: v_dual_cndmask_b32 v6, 0, v6, s3
	s_delay_alu instid0(VALU_DEP_1) | instskip(NEXT) | instid1(VALU_DEP_2)
	v_cndmask_b32_e64 v0, v7, v0, s3
	v_lshlrev_b64_e32 v[6:7], v6, v[28:29]
	v_lshlrev_b32_e32 v7, 24, v28
	s_delay_alu instid0(VALU_DEP_1) | instskip(NEXT) | instid1(VALU_DEP_3)
	v_and_b32_e32 v7, 0x80000000, v7
	v_lshlrev_b32_e32 v6, 20, v6
	v_lshl_add_u32 v0, v0, 23, 0x3c000000
	s_delay_alu instid0(VALU_DEP_2) | instskip(NEXT) | instid1(VALU_DEP_1)
	v_and_b32_e32 v6, 0x700000, v6
	v_or3_b32 v0, v6, v7, v0
.LBB346_292:                            ;   in Loop: Header=BB346_15 Depth=1
	s_or_b32 exec_lo, exec_lo, s45
.LBB346_293:                            ;   in Loop: Header=BB346_15 Depth=1
	s_delay_alu instid0(SALU_CYCLE_1)
	s_or_b32 exec_lo, exec_lo, s44
.LBB346_294:                            ;   in Loop: Header=BB346_15 Depth=1
	s_delay_alu instid0(SALU_CYCLE_1) | instskip(SKIP_2) | instid1(VALU_DEP_1)
	s_or_b32 exec_lo, exec_lo, s43
	v_lshrrev_b16 v6, 8, v28
	s_mov_b32 s43, exec_lo
	v_cmpx_ne_u16_e32 0, v6
	s_cbranch_execz .LBB346_302
; %bb.295:                              ;   in Loop: Header=BB346_15 Depth=1
	v_bfrev_b32_e32 v1, 1
	s_mov_b32 s44, exec_lo
	v_cmpx_ne_u16_e32 0x80, v6
	s_cbranch_execz .LBB346_301
; %bb.296:                              ;   in Loop: Header=BB346_15 Depth=1
	v_and_b32_e32 v6, 0xffff, v6
	v_mov_b32_e32 v1, 0x7f800001
	s_mov_b32 s45, exec_lo
	s_delay_alu instid0(VALU_DEP_2) | instskip(NEXT) | instid1(VALU_DEP_1)
	v_and_b32_e32 v8, 0x7f, v6
	v_cmpx_ne_u32_e32 0x7f, v8
	s_cbranch_execz .LBB346_300
; %bb.297:                              ;   in Loop: Header=BB346_15 Depth=1
	v_dual_mov_b32 v7, v29 :: v_dual_bitop2_b32 v6, 7, v6 bitop3:0x40
	v_lshrrev_b32_e32 v1, 3, v8
	s_mov_b32 s46, exec_lo
	v_cmpx_gt_u32_e32 8, v8
; %bb.298:                              ;   in Loop: Header=BB346_15 Depth=1
	s_delay_alu instid0(VALU_DEP_3) | instskip(NEXT) | instid1(VALU_DEP_1)
	v_clz_i32_u32_e32 v1, v6
	v_min_u32_e32 v1, 32, v1
	s_delay_alu instid0(VALU_DEP_1) | instskip(NEXT) | instid1(VALU_DEP_1)
	v_subrev_nc_u32_e32 v8, 28, v1
	v_lshlrev_b64_e32 v[6:7], v8, v[6:7]
	s_delay_alu instid0(VALU_DEP_1)
	v_dual_sub_nc_u32 v1, 29, v1 :: v_dual_bitop2_b32 v6, 7, v6 bitop3:0x40
; %bb.299:                              ;   in Loop: Header=BB346_15 Depth=1
	s_or_b32 exec_lo, exec_lo, s46
	s_delay_alu instid0(VALU_DEP_1) | instskip(NEXT) | instid1(VALU_DEP_2)
	v_dual_lshlrev_b32 v7, 16, v28 :: v_dual_lshlrev_b32 v6, 20, v6
	v_lshl_add_u32 v1, v1, 23, 0x3c000000
	s_delay_alu instid0(VALU_DEP_2) | instskip(NEXT) | instid1(VALU_DEP_1)
	v_and_b32_e32 v7, 0x80000000, v7
	v_or3_b32 v1, v6, v7, v1
.LBB346_300:                            ;   in Loop: Header=BB346_15 Depth=1
	s_or_b32 exec_lo, exec_lo, s45
.LBB346_301:                            ;   in Loop: Header=BB346_15 Depth=1
	s_delay_alu instid0(SALU_CYCLE_1)
	s_or_b32 exec_lo, exec_lo, s44
.LBB346_302:                            ;   in Loop: Header=BB346_15 Depth=1
	s_delay_alu instid0(SALU_CYCLE_1) | instskip(SKIP_3) | instid1(VALU_DEP_2)
	s_or_b32 exec_lo, exec_lo, s43
	v_dual_mov_b32 v31, 0 :: v_dual_lshrrev_b32 v6, 16, v3
	v_mov_b32_e32 v30, 0
	s_mov_b32 s43, exec_lo
	v_and_b32_e32 v7, 0xff, v6
	s_delay_alu instid0(VALU_DEP_1)
	v_cmpx_ne_u16_e32 0, v7
	s_cbranch_execz .LBB346_310
; %bb.303:                              ;   in Loop: Header=BB346_15 Depth=1
	v_bfrev_b32_e32 v30, 1
	s_mov_b32 s44, exec_lo
	v_cmpx_ne_u16_e32 0x80, v7
	s_cbranch_execz .LBB346_309
; %bb.304:                              ;   in Loop: Header=BB346_15 Depth=1
	v_bfe_u32 v8, v3, 16, 7
	v_mov_b32_e32 v30, 0x7f800001
	s_mov_b32 s45, exec_lo
	s_delay_alu instid0(VALU_DEP_2)
	v_cmpx_ne_u32_e32 0x7f, v8
	s_cbranch_execz .LBB346_308
; %bb.305:                              ;   in Loop: Header=BB346_15 Depth=1
	v_dual_lshrrev_b32 v7, 3, v8 :: v_dual_bitop2_b32 v28, 7, v6 bitop3:0x40
	s_mov_b32 s46, exec_lo
	v_cmpx_gt_u32_e32 8, v8
; %bb.306:                              ;   in Loop: Header=BB346_15 Depth=1
	s_delay_alu instid0(VALU_DEP_2) | instskip(NEXT) | instid1(VALU_DEP_1)
	v_clz_i32_u32_e32 v7, v28
	v_min_u32_e32 v7, 32, v7
	s_delay_alu instid0(VALU_DEP_1) | instskip(NEXT) | instid1(VALU_DEP_1)
	v_subrev_nc_u32_e32 v8, 28, v7
	v_lshlrev_b64_e32 v[8:9], v8, v[28:29]
	s_delay_alu instid0(VALU_DEP_1)
	v_dual_sub_nc_u32 v7, 29, v7 :: v_dual_bitop2_b32 v28, 7, v8 bitop3:0x40
; %bb.307:                              ;   in Loop: Header=BB346_15 Depth=1
	s_or_b32 exec_lo, exec_lo, s46
	s_delay_alu instid0(VALU_DEP_1) | instskip(NEXT) | instid1(VALU_DEP_2)
	v_dual_lshlrev_b32 v6, 24, v6 :: v_dual_lshlrev_b32 v8, 20, v28
	v_lshl_add_u32 v7, v7, 23, 0x3c000000
	s_delay_alu instid0(VALU_DEP_2) | instskip(NEXT) | instid1(VALU_DEP_1)
	v_and_b32_e32 v6, 0x80000000, v6
	v_or3_b32 v30, v8, v6, v7
.LBB346_308:                            ;   in Loop: Header=BB346_15 Depth=1
	s_or_b32 exec_lo, exec_lo, s45
.LBB346_309:                            ;   in Loop: Header=BB346_15 Depth=1
	s_delay_alu instid0(SALU_CYCLE_1)
	s_or_b32 exec_lo, exec_lo, s44
.LBB346_310:                            ;   in Loop: Header=BB346_15 Depth=1
	s_delay_alu instid0(SALU_CYCLE_1) | instskip(NEXT) | instid1(SALU_CYCLE_1)
	s_or_b32 exec_lo, exec_lo, s43
	s_mov_b32 s43, exec_lo
	v_cmpx_lt_u64_e64 s[26:27], v[2:3]
	s_cbranch_execz .LBB346_318
; %bb.311:                              ;   in Loop: Header=BB346_15 Depth=1
	v_lshrrev_b32_e32 v2, 24, v3
	v_bfrev_b32_e32 v31, 1
	s_mov_b32 s44, exec_lo
	s_delay_alu instid0(VALU_DEP_2)
	v_cmpx_ne_u32_e32 0x80, v2
	s_cbranch_execz .LBB346_317
; %bb.312:                              ;   in Loop: Header=BB346_15 Depth=1
	v_bfe_u32 v6, v3, 24, 7
	v_mov_b32_e32 v31, 0x7f800001
	s_mov_b32 s45, exec_lo
	s_delay_alu instid0(VALU_DEP_2)
	v_cmpx_ne_u32_e32 0x7f, v6
	s_cbranch_execz .LBB346_316
; %bb.313:                              ;   in Loop: Header=BB346_15 Depth=1
	v_and_b32_e32 v28, 7, v2
	v_lshrrev_b32_e32 v3, 3, v6
	s_mov_b32 s46, exec_lo
	v_cmpx_gt_u32_e32 8, v6
; %bb.314:                              ;   in Loop: Header=BB346_15 Depth=1
	s_delay_alu instid0(VALU_DEP_3) | instskip(NEXT) | instid1(VALU_DEP_1)
	v_clz_i32_u32_e32 v3, v28
	v_min_u32_e32 v3, 32, v3
	s_delay_alu instid0(VALU_DEP_1) | instskip(NEXT) | instid1(VALU_DEP_1)
	v_subrev_nc_u32_e32 v6, 28, v3
	v_lshlrev_b64_e32 v[6:7], v6, v[28:29]
	s_delay_alu instid0(VALU_DEP_1)
	v_dual_sub_nc_u32 v3, 29, v3 :: v_dual_bitop2_b32 v28, 7, v6 bitop3:0x40
; %bb.315:                              ;   in Loop: Header=BB346_15 Depth=1
	s_or_b32 exec_lo, exec_lo, s46
	s_delay_alu instid0(VALU_DEP_1) | instskip(NEXT) | instid1(VALU_DEP_2)
	v_dual_lshlrev_b32 v2, 24, v2 :: v_dual_lshlrev_b32 v6, 20, v28
	v_lshl_add_u32 v3, v3, 23, 0x3c000000
	s_delay_alu instid0(VALU_DEP_2) | instskip(NEXT) | instid1(VALU_DEP_1)
	v_and_b32_e32 v2, 0x80000000, v2
	v_or3_b32 v31, v6, v2, v3
.LBB346_316:                            ;   in Loop: Header=BB346_15 Depth=1
	s_or_b32 exec_lo, exec_lo, s45
.LBB346_317:                            ;   in Loop: Header=BB346_15 Depth=1
	s_delay_alu instid0(SALU_CYCLE_1)
	s_or_b32 exec_lo, exec_lo, s44
.LBB346_318:                            ;   in Loop: Header=BB346_15 Depth=1
	s_delay_alu instid0(SALU_CYCLE_1)
	s_or_b32 exec_lo, exec_lo, s43
	global_load_b64 v[2:3], v[102:103], off offset:1032
	v_dual_mov_b32 v33, 0 :: v_dual_mov_b32 v32, 0
	s_mov_b32 s43, exec_lo
	s_wait_loadcnt 0x0
	v_and_b32_e32 v6, 0xff, v2
	s_wait_xcnt 0x0
	s_delay_alu instid0(VALU_DEP_1)
	v_cmpx_ne_u16_e32 0, v6
	s_cbranch_execz .LBB346_324
; %bb.319:                              ;   in Loop: Header=BB346_15 Depth=1
	v_bfrev_b32_e32 v32, 1
	s_mov_b32 s44, exec_lo
	v_cmpx_ne_u16_e32 0x80, v6
	s_cbranch_execz .LBB346_323
; %bb.320:                              ;   in Loop: Header=BB346_15 Depth=1
	v_and_b32_e32 v6, 0x7f, v2
	v_mov_b32_e32 v32, 0x7f800001
	s_mov_b32 s45, exec_lo
	s_delay_alu instid0(VALU_DEP_2)
	v_cmpx_ne_u32_e32 0x7f, v6
	s_cbranch_execz .LBB346_322
; %bb.321:                              ;   in Loop: Header=BB346_15 Depth=1
	v_and_b32_e32 v7, 7, v2
	v_lshrrev_b32_e32 v8, 3, v6
	v_cmp_gt_u32_e64 s3, 8, v6
	s_delay_alu instid0(VALU_DEP_3) | instskip(NEXT) | instid1(VALU_DEP_1)
	v_clz_i32_u32_e32 v6, v7
	v_min_u32_e32 v6, 32, v6
	s_delay_alu instid0(VALU_DEP_1) | instskip(SKIP_1) | instid1(VALU_DEP_1)
	v_subrev_nc_u32_e32 v7, 28, v6
	v_sub_nc_u32_e32 v6, 29, v6
	v_dual_cndmask_b32 v8, v8, v6, s3 :: v_dual_cndmask_b32 v6, 0, v7, s3
	s_delay_alu instid0(VALU_DEP_1) | instskip(NEXT) | instid1(VALU_DEP_2)
	v_lshl_add_u32 v8, v8, 23, 0x3c000000
	v_lshlrev_b64_e32 v[6:7], v6, v[2:3]
	v_lshlrev_b32_e32 v7, 24, v2
	s_delay_alu instid0(VALU_DEP_1) | instskip(NEXT) | instid1(VALU_DEP_3)
	v_and_b32_e32 v7, 0x80000000, v7
	v_lshlrev_b32_e32 v6, 20, v6
	s_delay_alu instid0(VALU_DEP_1) | instskip(NEXT) | instid1(VALU_DEP_1)
	v_and_b32_e32 v6, 0x700000, v6
	v_or3_b32 v32, v6, v7, v8
.LBB346_322:                            ;   in Loop: Header=BB346_15 Depth=1
	s_or_b32 exec_lo, exec_lo, s45
.LBB346_323:                            ;   in Loop: Header=BB346_15 Depth=1
	s_delay_alu instid0(SALU_CYCLE_1)
	s_or_b32 exec_lo, exec_lo, s44
.LBB346_324:                            ;   in Loop: Header=BB346_15 Depth=1
	s_delay_alu instid0(SALU_CYCLE_1) | instskip(SKIP_2) | instid1(VALU_DEP_1)
	s_or_b32 exec_lo, exec_lo, s43
	v_lshrrev_b16 v6, 8, v2
	s_mov_b32 s43, exec_lo
	v_cmpx_ne_u16_e32 0, v6
	s_cbranch_execz .LBB346_332
; %bb.325:                              ;   in Loop: Header=BB346_15 Depth=1
	v_bfrev_b32_e32 v33, 1
	s_mov_b32 s44, exec_lo
	v_cmpx_ne_u16_e32 0x80, v6
	s_cbranch_execz .LBB346_331
; %bb.326:                              ;   in Loop: Header=BB346_15 Depth=1
	v_and_b32_e32 v6, 0xffff, v6
	v_mov_b32_e32 v33, 0x7f800001
	s_mov_b32 s45, exec_lo
	s_delay_alu instid0(VALU_DEP_2) | instskip(NEXT) | instid1(VALU_DEP_1)
	v_and_b32_e32 v7, 0x7f, v6
	v_cmpx_ne_u32_e32 0x7f, v7
	s_cbranch_execz .LBB346_330
; %bb.327:                              ;   in Loop: Header=BB346_15 Depth=1
	v_dual_lshrrev_b32 v6, 3, v7 :: v_dual_bitop2_b32 v28, 7, v6 bitop3:0x40
	s_mov_b32 s46, exec_lo
	v_cmpx_gt_u32_e32 8, v7
; %bb.328:                              ;   in Loop: Header=BB346_15 Depth=1
	s_delay_alu instid0(VALU_DEP_2) | instskip(NEXT) | instid1(VALU_DEP_1)
	v_clz_i32_u32_e32 v6, v28
	v_min_u32_e32 v6, 32, v6
	s_delay_alu instid0(VALU_DEP_1) | instskip(NEXT) | instid1(VALU_DEP_1)
	v_subrev_nc_u32_e32 v7, 28, v6
	v_lshlrev_b64_e32 v[8:9], v7, v[28:29]
	s_delay_alu instid0(VALU_DEP_1)
	v_dual_sub_nc_u32 v6, 29, v6 :: v_dual_bitop2_b32 v28, 7, v8 bitop3:0x40
; %bb.329:                              ;   in Loop: Header=BB346_15 Depth=1
	s_or_b32 exec_lo, exec_lo, s46
	s_delay_alu instid0(VALU_DEP_1) | instskip(NEXT) | instid1(VALU_DEP_2)
	v_dual_lshlrev_b32 v7, 16, v2 :: v_dual_lshlrev_b32 v8, 20, v28
	v_lshl_add_u32 v6, v6, 23, 0x3c000000
	s_delay_alu instid0(VALU_DEP_2) | instskip(NEXT) | instid1(VALU_DEP_1)
	v_and_b32_e32 v7, 0x80000000, v7
	v_or3_b32 v33, v8, v7, v6
.LBB346_330:                            ;   in Loop: Header=BB346_15 Depth=1
	s_or_b32 exec_lo, exec_lo, s45
.LBB346_331:                            ;   in Loop: Header=BB346_15 Depth=1
	s_delay_alu instid0(SALU_CYCLE_1)
	s_or_b32 exec_lo, exec_lo, s44
.LBB346_332:                            ;   in Loop: Header=BB346_15 Depth=1
	s_delay_alu instid0(SALU_CYCLE_1) | instskip(SKIP_3) | instid1(VALU_DEP_2)
	s_or_b32 exec_lo, exec_lo, s43
	v_dual_mov_b32 v35, 0 :: v_dual_lshrrev_b32 v6, 16, v2
	v_mov_b32_e32 v34, 0
	s_mov_b32 s43, exec_lo
	v_and_b32_e32 v7, 0xff, v6
	s_delay_alu instid0(VALU_DEP_1)
	v_cmpx_ne_u16_e32 0, v7
	s_cbranch_execz .LBB346_340
; %bb.333:                              ;   in Loop: Header=BB346_15 Depth=1
	v_bfrev_b32_e32 v34, 1
	s_mov_b32 s44, exec_lo
	v_cmpx_ne_u16_e32 0x80, v7
	s_cbranch_execz .LBB346_339
; %bb.334:                              ;   in Loop: Header=BB346_15 Depth=1
	v_bfe_u32 v8, v2, 16, 7
	v_mov_b32_e32 v34, 0x7f800001
	s_mov_b32 s45, exec_lo
	s_delay_alu instid0(VALU_DEP_2)
	v_cmpx_ne_u32_e32 0x7f, v8
	s_cbranch_execz .LBB346_338
; %bb.335:                              ;   in Loop: Header=BB346_15 Depth=1
	v_dual_lshrrev_b32 v7, 3, v8 :: v_dual_bitop2_b32 v28, 7, v6 bitop3:0x40
	s_mov_b32 s46, exec_lo
	v_cmpx_gt_u32_e32 8, v8
; %bb.336:                              ;   in Loop: Header=BB346_15 Depth=1
	s_delay_alu instid0(VALU_DEP_2) | instskip(NEXT) | instid1(VALU_DEP_1)
	v_clz_i32_u32_e32 v7, v28
	v_min_u32_e32 v7, 32, v7
	s_delay_alu instid0(VALU_DEP_1) | instskip(NEXT) | instid1(VALU_DEP_1)
	v_subrev_nc_u32_e32 v8, 28, v7
	v_lshlrev_b64_e32 v[8:9], v8, v[28:29]
	s_delay_alu instid0(VALU_DEP_1)
	v_dual_sub_nc_u32 v7, 29, v7 :: v_dual_bitop2_b32 v28, 7, v8 bitop3:0x40
; %bb.337:                              ;   in Loop: Header=BB346_15 Depth=1
	s_or_b32 exec_lo, exec_lo, s46
	s_delay_alu instid0(VALU_DEP_1) | instskip(NEXT) | instid1(VALU_DEP_2)
	v_dual_lshlrev_b32 v6, 24, v6 :: v_dual_lshlrev_b32 v8, 20, v28
	v_lshl_add_u32 v7, v7, 23, 0x3c000000
	s_delay_alu instid0(VALU_DEP_2) | instskip(NEXT) | instid1(VALU_DEP_1)
	v_and_b32_e32 v6, 0x80000000, v6
	v_or3_b32 v34, v8, v6, v7
.LBB346_338:                            ;   in Loop: Header=BB346_15 Depth=1
	s_or_b32 exec_lo, exec_lo, s45
.LBB346_339:                            ;   in Loop: Header=BB346_15 Depth=1
	s_delay_alu instid0(SALU_CYCLE_1)
	s_or_b32 exec_lo, exec_lo, s44
.LBB346_340:                            ;   in Loop: Header=BB346_15 Depth=1
	s_delay_alu instid0(SALU_CYCLE_1) | instskip(NEXT) | instid1(SALU_CYCLE_1)
	s_or_b32 exec_lo, exec_lo, s43
	s_mov_b32 s43, exec_lo
	v_cmpx_lt_u32_e32 0xffffff, v2
	s_cbranch_execz .LBB346_348
; %bb.341:                              ;   in Loop: Header=BB346_15 Depth=1
	v_lshrrev_b32_e32 v6, 24, v2
	v_bfrev_b32_e32 v35, 1
	s_mov_b32 s44, exec_lo
	s_delay_alu instid0(VALU_DEP_2)
	v_cmpx_ne_u32_e32 0x80, v6
	s_cbranch_execz .LBB346_347
; %bb.342:                              ;   in Loop: Header=BB346_15 Depth=1
	v_bfe_u32 v8, v2, 24, 7
	v_mov_b32_e32 v35, 0x7f800001
	s_mov_b32 s45, exec_lo
	s_delay_alu instid0(VALU_DEP_2)
	v_cmpx_ne_u32_e32 0x7f, v8
	s_cbranch_execz .LBB346_346
; %bb.343:                              ;   in Loop: Header=BB346_15 Depth=1
	v_dual_lshrrev_b32 v7, 3, v8 :: v_dual_bitop2_b32 v28, 7, v6 bitop3:0x40
	s_mov_b32 s46, exec_lo
	v_cmpx_gt_u32_e32 8, v8
; %bb.344:                              ;   in Loop: Header=BB346_15 Depth=1
	s_delay_alu instid0(VALU_DEP_2) | instskip(NEXT) | instid1(VALU_DEP_1)
	v_clz_i32_u32_e32 v7, v28
	v_min_u32_e32 v7, 32, v7
	s_delay_alu instid0(VALU_DEP_1) | instskip(NEXT) | instid1(VALU_DEP_1)
	v_subrev_nc_u32_e32 v8, 28, v7
	v_lshlrev_b64_e32 v[8:9], v8, v[28:29]
	s_delay_alu instid0(VALU_DEP_1)
	v_dual_sub_nc_u32 v7, 29, v7 :: v_dual_bitop2_b32 v28, 7, v8 bitop3:0x40
; %bb.345:                              ;   in Loop: Header=BB346_15 Depth=1
	s_or_b32 exec_lo, exec_lo, s46
	s_delay_alu instid0(VALU_DEP_1) | instskip(NEXT) | instid1(VALU_DEP_2)
	v_dual_lshlrev_b32 v6, 24, v6 :: v_dual_lshlrev_b32 v8, 20, v28
	v_lshl_add_u32 v7, v7, 23, 0x3c000000
	s_delay_alu instid0(VALU_DEP_2) | instskip(NEXT) | instid1(VALU_DEP_1)
	v_and_b32_e32 v6, 0x80000000, v6
	v_or3_b32 v35, v8, v6, v7
.LBB346_346:                            ;   in Loop: Header=BB346_15 Depth=1
	s_or_b32 exec_lo, exec_lo, s45
.LBB346_347:                            ;   in Loop: Header=BB346_15 Depth=1
	s_delay_alu instid0(SALU_CYCLE_1)
	s_or_b32 exec_lo, exec_lo, s44
.LBB346_348:                            ;   in Loop: Header=BB346_15 Depth=1
	s_delay_alu instid0(SALU_CYCLE_1) | instskip(SKIP_4) | instid1(VALU_DEP_3)
	s_or_b32 exec_lo, exec_lo, s43
	v_and_b32_e32 v6, 0xff, v3
	v_dual_mov_b32 v28, v3 :: v_dual_mov_b32 v37, 0
	v_mov_b32_e32 v36, 0
	s_mov_b32 s43, exec_lo
	v_cmpx_ne_u16_e32 0, v6
	s_cbranch_execz .LBB346_354
; %bb.349:                              ;   in Loop: Header=BB346_15 Depth=1
	v_bfrev_b32_e32 v36, 1
	s_mov_b32 s44, exec_lo
	v_cmpx_ne_u16_e32 0x80, v6
	s_cbranch_execz .LBB346_353
; %bb.350:                              ;   in Loop: Header=BB346_15 Depth=1
	v_and_b32_e32 v6, 0x7f, v3
	v_mov_b32_e32 v36, 0x7f800001
	s_mov_b32 s45, exec_lo
	s_delay_alu instid0(VALU_DEP_2)
	v_cmpx_ne_u32_e32 0x7f, v6
	s_cbranch_execz .LBB346_352
; %bb.351:                              ;   in Loop: Header=BB346_15 Depth=1
	v_dual_lshrrev_b32 v8, 3, v6 :: v_dual_bitop2_b32 v7, 7, v3 bitop3:0x40
	v_cmp_gt_u32_e64 s3, 8, v6
	s_delay_alu instid0(VALU_DEP_2) | instskip(NEXT) | instid1(VALU_DEP_1)
	v_clz_i32_u32_e32 v6, v7
	v_min_u32_e32 v6, 32, v6
	s_delay_alu instid0(VALU_DEP_1) | instskip(SKIP_1) | instid1(VALU_DEP_1)
	v_subrev_nc_u32_e32 v7, 28, v6
	v_sub_nc_u32_e32 v6, 29, v6
	v_dual_cndmask_b32 v8, v8, v6, s3 :: v_dual_cndmask_b32 v6, 0, v7, s3
	s_delay_alu instid0(VALU_DEP_1) | instskip(NEXT) | instid1(VALU_DEP_2)
	v_lshl_add_u32 v8, v8, 23, 0x3c000000
	v_lshlrev_b64_e32 v[6:7], v6, v[28:29]
	v_lshlrev_b32_e32 v7, 24, v28
	s_delay_alu instid0(VALU_DEP_1) | instskip(NEXT) | instid1(VALU_DEP_3)
	v_and_b32_e32 v7, 0x80000000, v7
	v_lshlrev_b32_e32 v6, 20, v6
	s_delay_alu instid0(VALU_DEP_1) | instskip(NEXT) | instid1(VALU_DEP_1)
	v_and_b32_e32 v6, 0x700000, v6
	v_or3_b32 v36, v6, v7, v8
.LBB346_352:                            ;   in Loop: Header=BB346_15 Depth=1
	s_or_b32 exec_lo, exec_lo, s45
.LBB346_353:                            ;   in Loop: Header=BB346_15 Depth=1
	s_delay_alu instid0(SALU_CYCLE_1)
	s_or_b32 exec_lo, exec_lo, s44
.LBB346_354:                            ;   in Loop: Header=BB346_15 Depth=1
	s_delay_alu instid0(SALU_CYCLE_1) | instskip(SKIP_2) | instid1(VALU_DEP_1)
	s_or_b32 exec_lo, exec_lo, s43
	v_lshrrev_b16 v6, 8, v28
	s_mov_b32 s43, exec_lo
	v_cmpx_ne_u16_e32 0, v6
	s_cbranch_execz .LBB346_362
; %bb.355:                              ;   in Loop: Header=BB346_15 Depth=1
	v_bfrev_b32_e32 v37, 1
	s_mov_b32 s44, exec_lo
	v_cmpx_ne_u16_e32 0x80, v6
	s_cbranch_execz .LBB346_361
; %bb.356:                              ;   in Loop: Header=BB346_15 Depth=1
	v_and_b32_e32 v6, 0xffff, v6
	v_mov_b32_e32 v37, 0x7f800001
	s_mov_b32 s45, exec_lo
	s_delay_alu instid0(VALU_DEP_2) | instskip(NEXT) | instid1(VALU_DEP_1)
	v_and_b32_e32 v9, 0x7f, v6
	v_cmpx_ne_u32_e32 0x7f, v9
	s_cbranch_execz .LBB346_360
; %bb.357:                              ;   in Loop: Header=BB346_15 Depth=1
	v_dual_mov_b32 v7, v29 :: v_dual_bitop2_b32 v6, 7, v6 bitop3:0x40
	v_lshrrev_b32_e32 v8, 3, v9
	s_mov_b32 s46, exec_lo
	v_cmpx_gt_u32_e32 8, v9
; %bb.358:                              ;   in Loop: Header=BB346_15 Depth=1
	s_delay_alu instid0(VALU_DEP_3) | instskip(NEXT) | instid1(VALU_DEP_1)
	v_clz_i32_u32_e32 v8, v6
	v_min_u32_e32 v8, 32, v8
	s_delay_alu instid0(VALU_DEP_1) | instskip(NEXT) | instid1(VALU_DEP_1)
	v_subrev_nc_u32_e32 v9, 28, v8
	v_lshlrev_b64_e32 v[6:7], v9, v[6:7]
	s_delay_alu instid0(VALU_DEP_1)
	v_dual_sub_nc_u32 v8, 29, v8 :: v_dual_bitop2_b32 v6, 7, v6 bitop3:0x40
; %bb.359:                              ;   in Loop: Header=BB346_15 Depth=1
	s_or_b32 exec_lo, exec_lo, s46
	s_delay_alu instid0(VALU_DEP_1) | instskip(NEXT) | instid1(VALU_DEP_2)
	v_dual_lshlrev_b32 v7, 16, v28 :: v_dual_lshlrev_b32 v6, 20, v6
	v_lshl_add_u32 v8, v8, 23, 0x3c000000
	s_delay_alu instid0(VALU_DEP_2) | instskip(NEXT) | instid1(VALU_DEP_1)
	v_and_b32_e32 v7, 0x80000000, v7
	v_or3_b32 v37, v6, v7, v8
.LBB346_360:                            ;   in Loop: Header=BB346_15 Depth=1
	s_or_b32 exec_lo, exec_lo, s45
.LBB346_361:                            ;   in Loop: Header=BB346_15 Depth=1
	s_delay_alu instid0(SALU_CYCLE_1)
	s_or_b32 exec_lo, exec_lo, s44
.LBB346_362:                            ;   in Loop: Header=BB346_15 Depth=1
	s_delay_alu instid0(SALU_CYCLE_1) | instskip(SKIP_3) | instid1(VALU_DEP_2)
	s_or_b32 exec_lo, exec_lo, s43
	v_dual_mov_b32 v39, 0 :: v_dual_lshrrev_b32 v6, 16, v3
	v_mov_b32_e32 v38, 0
	s_mov_b32 s43, exec_lo
	v_and_b32_e32 v7, 0xff, v6
	s_delay_alu instid0(VALU_DEP_1)
	v_cmpx_ne_u16_e32 0, v7
	s_cbranch_execz .LBB346_370
; %bb.363:                              ;   in Loop: Header=BB346_15 Depth=1
	v_bfrev_b32_e32 v38, 1
	s_mov_b32 s44, exec_lo
	v_cmpx_ne_u16_e32 0x80, v7
	s_cbranch_execz .LBB346_369
; %bb.364:                              ;   in Loop: Header=BB346_15 Depth=1
	v_bfe_u32 v8, v3, 16, 7
	v_mov_b32_e32 v38, 0x7f800001
	s_mov_b32 s45, exec_lo
	s_delay_alu instid0(VALU_DEP_2)
	v_cmpx_ne_u32_e32 0x7f, v8
	s_cbranch_execz .LBB346_368
; %bb.365:                              ;   in Loop: Header=BB346_15 Depth=1
	v_dual_lshrrev_b32 v7, 3, v8 :: v_dual_bitop2_b32 v28, 7, v6 bitop3:0x40
	s_mov_b32 s46, exec_lo
	v_cmpx_gt_u32_e32 8, v8
; %bb.366:                              ;   in Loop: Header=BB346_15 Depth=1
	s_delay_alu instid0(VALU_DEP_2) | instskip(NEXT) | instid1(VALU_DEP_1)
	v_clz_i32_u32_e32 v7, v28
	v_min_u32_e32 v7, 32, v7
	s_delay_alu instid0(VALU_DEP_1) | instskip(NEXT) | instid1(VALU_DEP_1)
	v_subrev_nc_u32_e32 v8, 28, v7
	v_lshlrev_b64_e32 v[8:9], v8, v[28:29]
	s_delay_alu instid0(VALU_DEP_1)
	v_dual_sub_nc_u32 v7, 29, v7 :: v_dual_bitop2_b32 v28, 7, v8 bitop3:0x40
; %bb.367:                              ;   in Loop: Header=BB346_15 Depth=1
	s_or_b32 exec_lo, exec_lo, s46
	s_delay_alu instid0(VALU_DEP_1) | instskip(NEXT) | instid1(VALU_DEP_2)
	v_dual_lshlrev_b32 v6, 24, v6 :: v_dual_lshlrev_b32 v8, 20, v28
	v_lshl_add_u32 v7, v7, 23, 0x3c000000
	s_delay_alu instid0(VALU_DEP_2) | instskip(NEXT) | instid1(VALU_DEP_1)
	v_and_b32_e32 v6, 0x80000000, v6
	v_or3_b32 v38, v8, v6, v7
.LBB346_368:                            ;   in Loop: Header=BB346_15 Depth=1
	s_or_b32 exec_lo, exec_lo, s45
.LBB346_369:                            ;   in Loop: Header=BB346_15 Depth=1
	s_delay_alu instid0(SALU_CYCLE_1)
	s_or_b32 exec_lo, exec_lo, s44
.LBB346_370:                            ;   in Loop: Header=BB346_15 Depth=1
	s_delay_alu instid0(SALU_CYCLE_1) | instskip(NEXT) | instid1(SALU_CYCLE_1)
	s_or_b32 exec_lo, exec_lo, s43
	s_mov_b32 s43, exec_lo
	v_cmpx_lt_u64_e64 s[26:27], v[2:3]
	s_cbranch_execz .LBB346_378
; %bb.371:                              ;   in Loop: Header=BB346_15 Depth=1
	v_lshrrev_b32_e32 v2, 24, v3
	v_bfrev_b32_e32 v39, 1
	s_mov_b32 s44, exec_lo
	s_delay_alu instid0(VALU_DEP_2)
	v_cmpx_ne_u32_e32 0x80, v2
	s_cbranch_execz .LBB346_377
; %bb.372:                              ;   in Loop: Header=BB346_15 Depth=1
	v_bfe_u32 v6, v3, 24, 7
	v_mov_b32_e32 v39, 0x7f800001
	s_mov_b32 s45, exec_lo
	s_delay_alu instid0(VALU_DEP_2)
	v_cmpx_ne_u32_e32 0x7f, v6
	s_cbranch_execz .LBB346_376
; %bb.373:                              ;   in Loop: Header=BB346_15 Depth=1
	v_and_b32_e32 v28, 7, v2
	v_lshrrev_b32_e32 v3, 3, v6
	s_mov_b32 s46, exec_lo
	v_cmpx_gt_u32_e32 8, v6
; %bb.374:                              ;   in Loop: Header=BB346_15 Depth=1
	s_delay_alu instid0(VALU_DEP_3) | instskip(NEXT) | instid1(VALU_DEP_1)
	v_clz_i32_u32_e32 v3, v28
	v_min_u32_e32 v3, 32, v3
	s_delay_alu instid0(VALU_DEP_1) | instskip(NEXT) | instid1(VALU_DEP_1)
	v_subrev_nc_u32_e32 v6, 28, v3
	v_lshlrev_b64_e32 v[6:7], v6, v[28:29]
	s_delay_alu instid0(VALU_DEP_1)
	v_dual_sub_nc_u32 v3, 29, v3 :: v_dual_bitop2_b32 v28, 7, v6 bitop3:0x40
; %bb.375:                              ;   in Loop: Header=BB346_15 Depth=1
	s_or_b32 exec_lo, exec_lo, s46
	s_delay_alu instid0(VALU_DEP_1) | instskip(NEXT) | instid1(VALU_DEP_2)
	v_dual_lshlrev_b32 v2, 24, v2 :: v_dual_lshlrev_b32 v6, 20, v28
	v_lshl_add_u32 v3, v3, 23, 0x3c000000
	s_delay_alu instid0(VALU_DEP_2) | instskip(NEXT) | instid1(VALU_DEP_1)
	v_and_b32_e32 v2, 0x80000000, v2
	v_or3_b32 v39, v6, v2, v3
.LBB346_376:                            ;   in Loop: Header=BB346_15 Depth=1
	s_or_b32 exec_lo, exec_lo, s45
.LBB346_377:                            ;   in Loop: Header=BB346_15 Depth=1
	s_delay_alu instid0(SALU_CYCLE_1)
	s_or_b32 exec_lo, exec_lo, s44
.LBB346_378:                            ;   in Loop: Header=BB346_15 Depth=1
	s_delay_alu instid0(SALU_CYCLE_1)
	s_or_b32 exec_lo, exec_lo, s43
	global_load_b64 v[2:3], v[102:103], off offset:1536
	v_dual_mov_b32 v41, 0 :: v_dual_mov_b32 v40, 0
	s_mov_b32 s43, exec_lo
	s_wait_loadcnt 0x0
	v_and_b32_e32 v6, 0xff, v2
	s_wait_xcnt 0x0
	s_delay_alu instid0(VALU_DEP_1)
	v_cmpx_ne_u16_e32 0, v6
	s_cbranch_execz .LBB346_384
; %bb.379:                              ;   in Loop: Header=BB346_15 Depth=1
	v_bfrev_b32_e32 v40, 1
	s_mov_b32 s44, exec_lo
	v_cmpx_ne_u16_e32 0x80, v6
	s_cbranch_execz .LBB346_383
; %bb.380:                              ;   in Loop: Header=BB346_15 Depth=1
	v_and_b32_e32 v6, 0x7f, v2
	v_mov_b32_e32 v40, 0x7f800001
	s_mov_b32 s45, exec_lo
	s_delay_alu instid0(VALU_DEP_2)
	v_cmpx_ne_u32_e32 0x7f, v6
	s_cbranch_execz .LBB346_382
; %bb.381:                              ;   in Loop: Header=BB346_15 Depth=1
	v_and_b32_e32 v7, 7, v2
	v_lshrrev_b32_e32 v8, 3, v6
	v_cmp_gt_u32_e64 s3, 8, v6
	s_delay_alu instid0(VALU_DEP_3) | instskip(NEXT) | instid1(VALU_DEP_1)
	v_clz_i32_u32_e32 v6, v7
	v_min_u32_e32 v6, 32, v6
	s_delay_alu instid0(VALU_DEP_1) | instskip(SKIP_1) | instid1(VALU_DEP_1)
	v_subrev_nc_u32_e32 v7, 28, v6
	v_sub_nc_u32_e32 v6, 29, v6
	v_dual_cndmask_b32 v8, v8, v6, s3 :: v_dual_cndmask_b32 v6, 0, v7, s3
	s_delay_alu instid0(VALU_DEP_1) | instskip(NEXT) | instid1(VALU_DEP_2)
	v_lshl_add_u32 v8, v8, 23, 0x3c000000
	v_lshlrev_b64_e32 v[6:7], v6, v[2:3]
	v_lshlrev_b32_e32 v7, 24, v2
	s_delay_alu instid0(VALU_DEP_1) | instskip(NEXT) | instid1(VALU_DEP_3)
	v_and_b32_e32 v7, 0x80000000, v7
	v_lshlrev_b32_e32 v6, 20, v6
	s_delay_alu instid0(VALU_DEP_1) | instskip(NEXT) | instid1(VALU_DEP_1)
	v_and_b32_e32 v6, 0x700000, v6
	v_or3_b32 v40, v6, v7, v8
.LBB346_382:                            ;   in Loop: Header=BB346_15 Depth=1
	s_or_b32 exec_lo, exec_lo, s45
.LBB346_383:                            ;   in Loop: Header=BB346_15 Depth=1
	s_delay_alu instid0(SALU_CYCLE_1)
	s_or_b32 exec_lo, exec_lo, s44
.LBB346_384:                            ;   in Loop: Header=BB346_15 Depth=1
	s_delay_alu instid0(SALU_CYCLE_1) | instskip(SKIP_2) | instid1(VALU_DEP_1)
	s_or_b32 exec_lo, exec_lo, s43
	v_lshrrev_b16 v6, 8, v2
	s_mov_b32 s43, exec_lo
	v_cmpx_ne_u16_e32 0, v6
	s_cbranch_execz .LBB346_392
; %bb.385:                              ;   in Loop: Header=BB346_15 Depth=1
	v_bfrev_b32_e32 v41, 1
	s_mov_b32 s44, exec_lo
	v_cmpx_ne_u16_e32 0x80, v6
	s_cbranch_execz .LBB346_391
; %bb.386:                              ;   in Loop: Header=BB346_15 Depth=1
	v_and_b32_e32 v6, 0xffff, v6
	v_mov_b32_e32 v41, 0x7f800001
	s_mov_b32 s45, exec_lo
	s_delay_alu instid0(VALU_DEP_2) | instskip(NEXT) | instid1(VALU_DEP_1)
	v_and_b32_e32 v7, 0x7f, v6
	v_cmpx_ne_u32_e32 0x7f, v7
	s_cbranch_execz .LBB346_390
; %bb.387:                              ;   in Loop: Header=BB346_15 Depth=1
	v_dual_lshrrev_b32 v6, 3, v7 :: v_dual_bitop2_b32 v28, 7, v6 bitop3:0x40
	s_mov_b32 s46, exec_lo
	v_cmpx_gt_u32_e32 8, v7
; %bb.388:                              ;   in Loop: Header=BB346_15 Depth=1
	s_delay_alu instid0(VALU_DEP_2) | instskip(NEXT) | instid1(VALU_DEP_1)
	v_clz_i32_u32_e32 v6, v28
	v_min_u32_e32 v6, 32, v6
	s_delay_alu instid0(VALU_DEP_1) | instskip(NEXT) | instid1(VALU_DEP_1)
	v_subrev_nc_u32_e32 v7, 28, v6
	v_lshlrev_b64_e32 v[8:9], v7, v[28:29]
	s_delay_alu instid0(VALU_DEP_1)
	v_dual_sub_nc_u32 v6, 29, v6 :: v_dual_bitop2_b32 v28, 7, v8 bitop3:0x40
; %bb.389:                              ;   in Loop: Header=BB346_15 Depth=1
	s_or_b32 exec_lo, exec_lo, s46
	s_delay_alu instid0(VALU_DEP_1) | instskip(NEXT) | instid1(VALU_DEP_2)
	v_dual_lshlrev_b32 v7, 16, v2 :: v_dual_lshlrev_b32 v8, 20, v28
	v_lshl_add_u32 v6, v6, 23, 0x3c000000
	s_delay_alu instid0(VALU_DEP_2) | instskip(NEXT) | instid1(VALU_DEP_1)
	v_and_b32_e32 v7, 0x80000000, v7
	v_or3_b32 v41, v8, v7, v6
.LBB346_390:                            ;   in Loop: Header=BB346_15 Depth=1
	s_or_b32 exec_lo, exec_lo, s45
.LBB346_391:                            ;   in Loop: Header=BB346_15 Depth=1
	s_delay_alu instid0(SALU_CYCLE_1)
	s_or_b32 exec_lo, exec_lo, s44
.LBB346_392:                            ;   in Loop: Header=BB346_15 Depth=1
	s_delay_alu instid0(SALU_CYCLE_1) | instskip(SKIP_3) | instid1(VALU_DEP_2)
	s_or_b32 exec_lo, exec_lo, s43
	v_dual_mov_b32 v43, 0 :: v_dual_lshrrev_b32 v6, 16, v2
	v_mov_b32_e32 v42, 0
	s_mov_b32 s43, exec_lo
	v_and_b32_e32 v7, 0xff, v6
	s_delay_alu instid0(VALU_DEP_1)
	v_cmpx_ne_u16_e32 0, v7
	s_cbranch_execz .LBB346_400
; %bb.393:                              ;   in Loop: Header=BB346_15 Depth=1
	v_bfrev_b32_e32 v42, 1
	s_mov_b32 s44, exec_lo
	v_cmpx_ne_u16_e32 0x80, v7
	s_cbranch_execz .LBB346_399
; %bb.394:                              ;   in Loop: Header=BB346_15 Depth=1
	v_bfe_u32 v8, v2, 16, 7
	v_mov_b32_e32 v42, 0x7f800001
	s_mov_b32 s45, exec_lo
	s_delay_alu instid0(VALU_DEP_2)
	v_cmpx_ne_u32_e32 0x7f, v8
	s_cbranch_execz .LBB346_398
; %bb.395:                              ;   in Loop: Header=BB346_15 Depth=1
	v_dual_lshrrev_b32 v7, 3, v8 :: v_dual_bitop2_b32 v28, 7, v6 bitop3:0x40
	s_mov_b32 s46, exec_lo
	v_cmpx_gt_u32_e32 8, v8
; %bb.396:                              ;   in Loop: Header=BB346_15 Depth=1
	s_delay_alu instid0(VALU_DEP_2) | instskip(NEXT) | instid1(VALU_DEP_1)
	v_clz_i32_u32_e32 v7, v28
	v_min_u32_e32 v7, 32, v7
	s_delay_alu instid0(VALU_DEP_1) | instskip(NEXT) | instid1(VALU_DEP_1)
	v_subrev_nc_u32_e32 v8, 28, v7
	v_lshlrev_b64_e32 v[8:9], v8, v[28:29]
	s_delay_alu instid0(VALU_DEP_1)
	v_dual_sub_nc_u32 v7, 29, v7 :: v_dual_bitop2_b32 v28, 7, v8 bitop3:0x40
; %bb.397:                              ;   in Loop: Header=BB346_15 Depth=1
	s_or_b32 exec_lo, exec_lo, s46
	s_delay_alu instid0(VALU_DEP_1) | instskip(NEXT) | instid1(VALU_DEP_2)
	v_dual_lshlrev_b32 v6, 24, v6 :: v_dual_lshlrev_b32 v8, 20, v28
	v_lshl_add_u32 v7, v7, 23, 0x3c000000
	s_delay_alu instid0(VALU_DEP_2) | instskip(NEXT) | instid1(VALU_DEP_1)
	v_and_b32_e32 v6, 0x80000000, v6
	v_or3_b32 v42, v8, v6, v7
.LBB346_398:                            ;   in Loop: Header=BB346_15 Depth=1
	s_or_b32 exec_lo, exec_lo, s45
.LBB346_399:                            ;   in Loop: Header=BB346_15 Depth=1
	s_delay_alu instid0(SALU_CYCLE_1)
	s_or_b32 exec_lo, exec_lo, s44
.LBB346_400:                            ;   in Loop: Header=BB346_15 Depth=1
	s_delay_alu instid0(SALU_CYCLE_1) | instskip(NEXT) | instid1(SALU_CYCLE_1)
	s_or_b32 exec_lo, exec_lo, s43
	s_mov_b32 s43, exec_lo
	v_cmpx_lt_u32_e32 0xffffff, v2
	s_cbranch_execz .LBB346_408
; %bb.401:                              ;   in Loop: Header=BB346_15 Depth=1
	v_lshrrev_b32_e32 v6, 24, v2
	v_bfrev_b32_e32 v43, 1
	s_mov_b32 s44, exec_lo
	s_delay_alu instid0(VALU_DEP_2)
	v_cmpx_ne_u32_e32 0x80, v6
	s_cbranch_execz .LBB346_407
; %bb.402:                              ;   in Loop: Header=BB346_15 Depth=1
	v_bfe_u32 v8, v2, 24, 7
	v_mov_b32_e32 v43, 0x7f800001
	s_mov_b32 s45, exec_lo
	s_delay_alu instid0(VALU_DEP_2)
	v_cmpx_ne_u32_e32 0x7f, v8
	s_cbranch_execz .LBB346_406
; %bb.403:                              ;   in Loop: Header=BB346_15 Depth=1
	v_dual_lshrrev_b32 v7, 3, v8 :: v_dual_bitop2_b32 v28, 7, v6 bitop3:0x40
	s_mov_b32 s46, exec_lo
	v_cmpx_gt_u32_e32 8, v8
; %bb.404:                              ;   in Loop: Header=BB346_15 Depth=1
	s_delay_alu instid0(VALU_DEP_2) | instskip(NEXT) | instid1(VALU_DEP_1)
	v_clz_i32_u32_e32 v7, v28
	v_min_u32_e32 v7, 32, v7
	s_delay_alu instid0(VALU_DEP_1) | instskip(NEXT) | instid1(VALU_DEP_1)
	v_subrev_nc_u32_e32 v8, 28, v7
	v_lshlrev_b64_e32 v[8:9], v8, v[28:29]
	s_delay_alu instid0(VALU_DEP_1)
	v_dual_sub_nc_u32 v7, 29, v7 :: v_dual_bitop2_b32 v28, 7, v8 bitop3:0x40
; %bb.405:                              ;   in Loop: Header=BB346_15 Depth=1
	s_or_b32 exec_lo, exec_lo, s46
	s_delay_alu instid0(VALU_DEP_1) | instskip(NEXT) | instid1(VALU_DEP_2)
	v_dual_lshlrev_b32 v6, 24, v6 :: v_dual_lshlrev_b32 v8, 20, v28
	v_lshl_add_u32 v7, v7, 23, 0x3c000000
	s_delay_alu instid0(VALU_DEP_2) | instskip(NEXT) | instid1(VALU_DEP_1)
	v_and_b32_e32 v6, 0x80000000, v6
	v_or3_b32 v43, v8, v6, v7
.LBB346_406:                            ;   in Loop: Header=BB346_15 Depth=1
	s_or_b32 exec_lo, exec_lo, s45
.LBB346_407:                            ;   in Loop: Header=BB346_15 Depth=1
	s_delay_alu instid0(SALU_CYCLE_1)
	s_or_b32 exec_lo, exec_lo, s44
.LBB346_408:                            ;   in Loop: Header=BB346_15 Depth=1
	s_delay_alu instid0(SALU_CYCLE_1) | instskip(SKIP_4) | instid1(VALU_DEP_3)
	s_or_b32 exec_lo, exec_lo, s43
	v_and_b32_e32 v6, 0xff, v3
	v_dual_mov_b32 v28, v3 :: v_dual_mov_b32 v23, 0
	v_mov_b32_e32 v22, 0
	s_mov_b32 s43, exec_lo
	v_cmpx_ne_u16_e32 0, v6
	s_cbranch_execz .LBB346_414
; %bb.409:                              ;   in Loop: Header=BB346_15 Depth=1
	v_bfrev_b32_e32 v22, 1
	s_mov_b32 s44, exec_lo
	v_cmpx_ne_u16_e32 0x80, v6
	s_cbranch_execz .LBB346_413
; %bb.410:                              ;   in Loop: Header=BB346_15 Depth=1
	v_and_b32_e32 v6, 0x7f, v3
	v_mov_b32_e32 v22, 0x7f800001
	s_mov_b32 s45, exec_lo
	s_delay_alu instid0(VALU_DEP_2)
	v_cmpx_ne_u32_e32 0x7f, v6
	s_cbranch_execz .LBB346_412
; %bb.411:                              ;   in Loop: Header=BB346_15 Depth=1
	v_dual_lshrrev_b32 v8, 3, v6 :: v_dual_bitop2_b32 v7, 7, v3 bitop3:0x40
	v_cmp_gt_u32_e64 s3, 8, v6
	s_delay_alu instid0(VALU_DEP_2) | instskip(NEXT) | instid1(VALU_DEP_1)
	v_clz_i32_u32_e32 v6, v7
	v_min_u32_e32 v6, 32, v6
	s_delay_alu instid0(VALU_DEP_1) | instskip(SKIP_1) | instid1(VALU_DEP_1)
	v_subrev_nc_u32_e32 v7, 28, v6
	v_sub_nc_u32_e32 v6, 29, v6
	v_dual_cndmask_b32 v8, v8, v6, s3 :: v_dual_cndmask_b32 v6, 0, v7, s3
	s_delay_alu instid0(VALU_DEP_1) | instskip(NEXT) | instid1(VALU_DEP_2)
	v_lshl_add_u32 v8, v8, 23, 0x3c000000
	v_lshlrev_b64_e32 v[6:7], v6, v[28:29]
	v_lshlrev_b32_e32 v7, 24, v28
	s_delay_alu instid0(VALU_DEP_1) | instskip(NEXT) | instid1(VALU_DEP_3)
	v_and_b32_e32 v7, 0x80000000, v7
	v_lshlrev_b32_e32 v6, 20, v6
	s_delay_alu instid0(VALU_DEP_1) | instskip(NEXT) | instid1(VALU_DEP_1)
	v_and_b32_e32 v6, 0x700000, v6
	v_or3_b32 v22, v6, v7, v8
.LBB346_412:                            ;   in Loop: Header=BB346_15 Depth=1
	s_or_b32 exec_lo, exec_lo, s45
.LBB346_413:                            ;   in Loop: Header=BB346_15 Depth=1
	s_delay_alu instid0(SALU_CYCLE_1)
	s_or_b32 exec_lo, exec_lo, s44
.LBB346_414:                            ;   in Loop: Header=BB346_15 Depth=1
	s_delay_alu instid0(SALU_CYCLE_1) | instskip(SKIP_2) | instid1(VALU_DEP_1)
	s_or_b32 exec_lo, exec_lo, s43
	v_lshrrev_b16 v6, 8, v28
	s_mov_b32 s43, exec_lo
	v_cmpx_ne_u16_e32 0, v6
	s_cbranch_execz .LBB346_422
; %bb.415:                              ;   in Loop: Header=BB346_15 Depth=1
	v_bfrev_b32_e32 v23, 1
	s_mov_b32 s44, exec_lo
	v_cmpx_ne_u16_e32 0x80, v6
	s_cbranch_execz .LBB346_421
; %bb.416:                              ;   in Loop: Header=BB346_15 Depth=1
	v_and_b32_e32 v6, 0xffff, v6
	v_mov_b32_e32 v23, 0x7f800001
	s_mov_b32 s45, exec_lo
	s_delay_alu instid0(VALU_DEP_2) | instskip(NEXT) | instid1(VALU_DEP_1)
	v_and_b32_e32 v9, 0x7f, v6
	v_cmpx_ne_u32_e32 0x7f, v9
	s_cbranch_execz .LBB346_420
; %bb.417:                              ;   in Loop: Header=BB346_15 Depth=1
	v_dual_mov_b32 v7, v29 :: v_dual_bitop2_b32 v6, 7, v6 bitop3:0x40
	v_lshrrev_b32_e32 v8, 3, v9
	s_mov_b32 s46, exec_lo
	v_cmpx_gt_u32_e32 8, v9
; %bb.418:                              ;   in Loop: Header=BB346_15 Depth=1
	s_delay_alu instid0(VALU_DEP_3) | instskip(NEXT) | instid1(VALU_DEP_1)
	v_clz_i32_u32_e32 v8, v6
	v_min_u32_e32 v8, 32, v8
	s_delay_alu instid0(VALU_DEP_1) | instskip(NEXT) | instid1(VALU_DEP_1)
	v_subrev_nc_u32_e32 v9, 28, v8
	v_lshlrev_b64_e32 v[6:7], v9, v[6:7]
	s_delay_alu instid0(VALU_DEP_1)
	v_dual_sub_nc_u32 v8, 29, v8 :: v_dual_bitop2_b32 v6, 7, v6 bitop3:0x40
; %bb.419:                              ;   in Loop: Header=BB346_15 Depth=1
	s_or_b32 exec_lo, exec_lo, s46
	s_delay_alu instid0(VALU_DEP_1) | instskip(NEXT) | instid1(VALU_DEP_2)
	v_dual_lshlrev_b32 v7, 16, v28 :: v_dual_lshlrev_b32 v6, 20, v6
	v_lshl_add_u32 v8, v8, 23, 0x3c000000
	s_delay_alu instid0(VALU_DEP_2) | instskip(NEXT) | instid1(VALU_DEP_1)
	v_and_b32_e32 v7, 0x80000000, v7
	v_or3_b32 v23, v6, v7, v8
.LBB346_420:                            ;   in Loop: Header=BB346_15 Depth=1
	s_or_b32 exec_lo, exec_lo, s45
.LBB346_421:                            ;   in Loop: Header=BB346_15 Depth=1
	s_delay_alu instid0(SALU_CYCLE_1)
	s_or_b32 exec_lo, exec_lo, s44
.LBB346_422:                            ;   in Loop: Header=BB346_15 Depth=1
	s_delay_alu instid0(SALU_CYCLE_1) | instskip(SKIP_3) | instid1(VALU_DEP_2)
	s_or_b32 exec_lo, exec_lo, s43
	v_dual_mov_b32 v11, 0 :: v_dual_lshrrev_b32 v6, 16, v3
	v_mov_b32_e32 v10, 0
	s_mov_b32 s43, exec_lo
	v_and_b32_e32 v7, 0xff, v6
	s_delay_alu instid0(VALU_DEP_1)
	v_cmpx_ne_u16_e32 0, v7
	s_cbranch_execz .LBB346_430
; %bb.423:                              ;   in Loop: Header=BB346_15 Depth=1
	v_bfrev_b32_e32 v10, 1
	s_mov_b32 s44, exec_lo
	v_cmpx_ne_u16_e32 0x80, v7
	s_cbranch_execz .LBB346_429
; %bb.424:                              ;   in Loop: Header=BB346_15 Depth=1
	v_bfe_u32 v8, v3, 16, 7
	v_mov_b32_e32 v10, 0x7f800001
	s_mov_b32 s45, exec_lo
	s_delay_alu instid0(VALU_DEP_2)
	v_cmpx_ne_u32_e32 0x7f, v8
	s_cbranch_execz .LBB346_428
; %bb.425:                              ;   in Loop: Header=BB346_15 Depth=1
	v_dual_lshrrev_b32 v7, 3, v8 :: v_dual_bitop2_b32 v28, 7, v6 bitop3:0x40
	s_mov_b32 s46, exec_lo
	v_cmpx_gt_u32_e32 8, v8
; %bb.426:                              ;   in Loop: Header=BB346_15 Depth=1
	s_delay_alu instid0(VALU_DEP_2) | instskip(NEXT) | instid1(VALU_DEP_1)
	v_clz_i32_u32_e32 v7, v28
	v_min_u32_e32 v7, 32, v7
	s_delay_alu instid0(VALU_DEP_1) | instskip(NEXT) | instid1(VALU_DEP_1)
	v_subrev_nc_u32_e32 v8, 28, v7
	v_lshlrev_b64_e32 v[8:9], v8, v[28:29]
	s_delay_alu instid0(VALU_DEP_1)
	v_dual_sub_nc_u32 v7, 29, v7 :: v_dual_bitop2_b32 v28, 7, v8 bitop3:0x40
; %bb.427:                              ;   in Loop: Header=BB346_15 Depth=1
	s_or_b32 exec_lo, exec_lo, s46
	s_delay_alu instid0(VALU_DEP_1) | instskip(NEXT) | instid1(VALU_DEP_2)
	v_dual_lshlrev_b32 v6, 24, v6 :: v_dual_lshlrev_b32 v8, 20, v28
	v_lshl_add_u32 v7, v7, 23, 0x3c000000
	s_delay_alu instid0(VALU_DEP_2) | instskip(NEXT) | instid1(VALU_DEP_1)
	v_and_b32_e32 v6, 0x80000000, v6
	v_or3_b32 v10, v8, v6, v7
.LBB346_428:                            ;   in Loop: Header=BB346_15 Depth=1
	s_or_b32 exec_lo, exec_lo, s45
.LBB346_429:                            ;   in Loop: Header=BB346_15 Depth=1
	s_delay_alu instid0(SALU_CYCLE_1)
	s_or_b32 exec_lo, exec_lo, s44
.LBB346_430:                            ;   in Loop: Header=BB346_15 Depth=1
	s_delay_alu instid0(SALU_CYCLE_1) | instskip(NEXT) | instid1(SALU_CYCLE_1)
	s_or_b32 exec_lo, exec_lo, s43
	s_mov_b32 s43, exec_lo
	v_cmpx_lt_u64_e64 s[26:27], v[2:3]
	s_cbranch_execz .LBB346_438
; %bb.431:                              ;   in Loop: Header=BB346_15 Depth=1
	v_lshrrev_b32_e32 v2, 24, v3
	v_bfrev_b32_e32 v11, 1
	s_mov_b32 s44, exec_lo
	s_delay_alu instid0(VALU_DEP_2)
	v_cmpx_ne_u32_e32 0x80, v2
	s_cbranch_execz .LBB346_437
; %bb.432:                              ;   in Loop: Header=BB346_15 Depth=1
	v_bfe_u32 v6, v3, 24, 7
	v_mov_b32_e32 v11, 0x7f800001
	s_mov_b32 s45, exec_lo
	s_delay_alu instid0(VALU_DEP_2)
	v_cmpx_ne_u32_e32 0x7f, v6
	s_cbranch_execz .LBB346_436
; %bb.433:                              ;   in Loop: Header=BB346_15 Depth=1
	v_and_b32_e32 v28, 7, v2
	v_lshrrev_b32_e32 v3, 3, v6
	s_mov_b32 s46, exec_lo
	v_cmpx_gt_u32_e32 8, v6
; %bb.434:                              ;   in Loop: Header=BB346_15 Depth=1
	s_delay_alu instid0(VALU_DEP_3) | instskip(NEXT) | instid1(VALU_DEP_1)
	v_clz_i32_u32_e32 v3, v28
	v_min_u32_e32 v3, 32, v3
	s_delay_alu instid0(VALU_DEP_1) | instskip(NEXT) | instid1(VALU_DEP_1)
	v_subrev_nc_u32_e32 v6, 28, v3
	v_lshlrev_b64_e32 v[6:7], v6, v[28:29]
	s_delay_alu instid0(VALU_DEP_1)
	v_dual_sub_nc_u32 v3, 29, v3 :: v_dual_bitop2_b32 v28, 7, v6 bitop3:0x40
; %bb.435:                              ;   in Loop: Header=BB346_15 Depth=1
	s_or_b32 exec_lo, exec_lo, s46
	s_delay_alu instid0(VALU_DEP_1) | instskip(NEXT) | instid1(VALU_DEP_2)
	v_dual_lshlrev_b32 v2, 24, v2 :: v_dual_lshlrev_b32 v6, 20, v28
	v_lshl_add_u32 v3, v3, 23, 0x3c000000
	s_delay_alu instid0(VALU_DEP_2) | instskip(NEXT) | instid1(VALU_DEP_1)
	v_and_b32_e32 v2, 0x80000000, v2
	v_or3_b32 v11, v6, v2, v3
.LBB346_436:                            ;   in Loop: Header=BB346_15 Depth=1
	s_or_b32 exec_lo, exec_lo, s45
.LBB346_437:                            ;   in Loop: Header=BB346_15 Depth=1
	s_delay_alu instid0(SALU_CYCLE_1)
	s_or_b32 exec_lo, exec_lo, s44
.LBB346_438:                            ;   in Loop: Header=BB346_15 Depth=1
	s_delay_alu instid0(SALU_CYCLE_1)
	s_or_b32 exec_lo, exec_lo, s43
	global_load_b64 v[12:13], v[102:103], off offset:1544
	v_dual_mov_b32 v7, 0 :: v_dual_mov_b32 v6, 0
	s_mov_b32 s43, exec_lo
	s_wait_loadcnt 0x0
	v_and_b32_e32 v2, 0xff, v12
	s_wait_xcnt 0x0
	s_delay_alu instid0(VALU_DEP_1)
	v_cmpx_ne_u16_e32 0, v2
	s_cbranch_execz .LBB346_444
; %bb.439:                              ;   in Loop: Header=BB346_15 Depth=1
	v_bfrev_b32_e32 v6, 1
	s_mov_b32 s44, exec_lo
	v_cmpx_ne_u16_e32 0x80, v2
	s_cbranch_execz .LBB346_443
; %bb.440:                              ;   in Loop: Header=BB346_15 Depth=1
	v_and_b32_e32 v2, 0x7f, v12
	v_mov_b32_e32 v6, 0x7f800001
	s_mov_b32 s45, exec_lo
	s_delay_alu instid0(VALU_DEP_2)
	v_cmpx_ne_u32_e32 0x7f, v2
	s_cbranch_execz .LBB346_442
; %bb.441:                              ;   in Loop: Header=BB346_15 Depth=1
	v_dual_lshrrev_b32 v6, 3, v2 :: v_dual_bitop2_b32 v3, 7, v12 bitop3:0x40
	v_cmp_gt_u32_e64 s3, 8, v2
	s_delay_alu instid0(VALU_DEP_2) | instskip(NEXT) | instid1(VALU_DEP_1)
	v_clz_i32_u32_e32 v2, v3
	v_min_u32_e32 v2, 32, v2
	s_delay_alu instid0(VALU_DEP_1) | instskip(SKIP_1) | instid1(VALU_DEP_1)
	v_subrev_nc_u32_e32 v3, 28, v2
	v_sub_nc_u32_e32 v2, 29, v2
	v_dual_cndmask_b32 v6, v6, v2, s3 :: v_dual_cndmask_b32 v2, 0, v3, s3
	s_delay_alu instid0(VALU_DEP_1) | instskip(NEXT) | instid1(VALU_DEP_2)
	v_lshl_add_u32 v6, v6, 23, 0x3c000000
	v_lshlrev_b64_e32 v[2:3], v2, v[12:13]
	v_lshlrev_b32_e32 v3, 24, v12
	s_delay_alu instid0(VALU_DEP_1) | instskip(NEXT) | instid1(VALU_DEP_3)
	v_and_b32_e32 v3, 0x80000000, v3
	v_lshlrev_b32_e32 v2, 20, v2
	s_delay_alu instid0(VALU_DEP_1) | instskip(NEXT) | instid1(VALU_DEP_1)
	v_and_b32_e32 v2, 0x700000, v2
	v_or3_b32 v6, v2, v3, v6
.LBB346_442:                            ;   in Loop: Header=BB346_15 Depth=1
	s_or_b32 exec_lo, exec_lo, s45
.LBB346_443:                            ;   in Loop: Header=BB346_15 Depth=1
	s_delay_alu instid0(SALU_CYCLE_1)
	s_or_b32 exec_lo, exec_lo, s44
.LBB346_444:                            ;   in Loop: Header=BB346_15 Depth=1
	s_delay_alu instid0(SALU_CYCLE_1) | instskip(SKIP_2) | instid1(VALU_DEP_1)
	s_or_b32 exec_lo, exec_lo, s43
	v_lshrrev_b16 v2, 8, v12
	s_mov_b32 s43, exec_lo
	v_cmpx_ne_u16_e32 0, v2
	s_cbranch_execz .LBB346_452
; %bb.445:                              ;   in Loop: Header=BB346_15 Depth=1
	v_bfrev_b32_e32 v7, 1
	s_mov_b32 s44, exec_lo
	v_cmpx_ne_u16_e32 0x80, v2
	s_cbranch_execz .LBB346_451
; %bb.446:                              ;   in Loop: Header=BB346_15 Depth=1
	v_and_b32_e32 v2, 0xffff, v2
	v_mov_b32_e32 v7, 0x7f800001
	s_mov_b32 s45, exec_lo
	s_delay_alu instid0(VALU_DEP_2) | instskip(NEXT) | instid1(VALU_DEP_1)
	v_and_b32_e32 v3, 0x7f, v2
	v_cmpx_ne_u32_e32 0x7f, v3
	s_cbranch_execz .LBB346_450
; %bb.447:                              ;   in Loop: Header=BB346_15 Depth=1
	v_dual_lshrrev_b32 v2, 3, v3 :: v_dual_bitop2_b32 v28, 7, v2 bitop3:0x40
	s_mov_b32 s46, exec_lo
	v_cmpx_gt_u32_e32 8, v3
; %bb.448:                              ;   in Loop: Header=BB346_15 Depth=1
	s_delay_alu instid0(VALU_DEP_2) | instskip(NEXT) | instid1(VALU_DEP_1)
	v_clz_i32_u32_e32 v2, v28
	v_min_u32_e32 v2, 32, v2
	s_delay_alu instid0(VALU_DEP_1) | instskip(NEXT) | instid1(VALU_DEP_1)
	v_subrev_nc_u32_e32 v3, 28, v2
	v_lshlrev_b64_e32 v[8:9], v3, v[28:29]
	s_delay_alu instid0(VALU_DEP_1)
	v_dual_sub_nc_u32 v2, 29, v2 :: v_dual_bitop2_b32 v28, 7, v8 bitop3:0x40
; %bb.449:                              ;   in Loop: Header=BB346_15 Depth=1
	s_or_b32 exec_lo, exec_lo, s46
	v_lshlrev_b32_e32 v3, 16, v12
	s_delay_alu instid0(VALU_DEP_2) | instskip(NEXT) | instid1(VALU_DEP_3)
	v_lshlrev_b32_e32 v7, 20, v28
	v_lshl_add_u32 v2, v2, 23, 0x3c000000
	s_delay_alu instid0(VALU_DEP_3) | instskip(NEXT) | instid1(VALU_DEP_1)
	v_and_b32_e32 v3, 0x80000000, v3
	v_or3_b32 v7, v7, v3, v2
.LBB346_450:                            ;   in Loop: Header=BB346_15 Depth=1
	s_or_b32 exec_lo, exec_lo, s45
.LBB346_451:                            ;   in Loop: Header=BB346_15 Depth=1
	s_delay_alu instid0(SALU_CYCLE_1)
	s_or_b32 exec_lo, exec_lo, s44
.LBB346_452:                            ;   in Loop: Header=BB346_15 Depth=1
	s_delay_alu instid0(SALU_CYCLE_1) | instskip(SKIP_3) | instid1(VALU_DEP_2)
	s_or_b32 exec_lo, exec_lo, s43
	v_dual_mov_b32 v3, 0 :: v_dual_lshrrev_b32 v8, 16, v12
	v_mov_b32_e32 v2, 0
	s_mov_b32 s43, exec_lo
	v_and_b32_e32 v9, 0xff, v8
	s_delay_alu instid0(VALU_DEP_1)
	v_cmpx_ne_u16_e32 0, v9
	s_cbranch_execz .LBB346_460
; %bb.453:                              ;   in Loop: Header=BB346_15 Depth=1
	v_bfrev_b32_e32 v2, 1
	s_mov_b32 s44, exec_lo
	v_cmpx_ne_u16_e32 0x80, v9
	s_cbranch_execz .LBB346_459
; %bb.454:                              ;   in Loop: Header=BB346_15 Depth=1
	v_bfe_u32 v9, v12, 16, 7
	v_mov_b32_e32 v2, 0x7f800001
	s_mov_b32 s45, exec_lo
	s_delay_alu instid0(VALU_DEP_2)
	v_cmpx_ne_u32_e32 0x7f, v9
	s_cbranch_execz .LBB346_458
; %bb.455:                              ;   in Loop: Header=BB346_15 Depth=1
	v_dual_lshrrev_b32 v2, 3, v9 :: v_dual_bitop2_b32 v28, 7, v8 bitop3:0x40
	s_mov_b32 s46, exec_lo
	v_cmpx_gt_u32_e32 8, v9
; %bb.456:                              ;   in Loop: Header=BB346_15 Depth=1
	s_delay_alu instid0(VALU_DEP_2) | instskip(NEXT) | instid1(VALU_DEP_1)
	v_clz_i32_u32_e32 v2, v28
	v_min_u32_e32 v2, 32, v2
	s_delay_alu instid0(VALU_DEP_1) | instskip(SKIP_1) | instid1(VALU_DEP_2)
	v_subrev_nc_u32_e32 v9, 28, v2
	v_sub_nc_u32_e32 v2, 29, v2
	v_lshlrev_b64_e32 v[14:15], v9, v[28:29]
	s_delay_alu instid0(VALU_DEP_1)
	v_and_b32_e32 v28, 7, v14
; %bb.457:                              ;   in Loop: Header=BB346_15 Depth=1
	s_or_b32 exec_lo, exec_lo, s46
	v_lshlrev_b32_e32 v8, 24, v8
	s_delay_alu instid0(VALU_DEP_2) | instskip(SKIP_1) | instid1(VALU_DEP_3)
	v_lshlrev_b32_e32 v9, 20, v28
	v_lshl_add_u32 v2, v2, 23, 0x3c000000
	v_and_b32_e32 v8, 0x80000000, v8
	s_delay_alu instid0(VALU_DEP_1)
	v_or3_b32 v2, v9, v8, v2
.LBB346_458:                            ;   in Loop: Header=BB346_15 Depth=1
	s_or_b32 exec_lo, exec_lo, s45
.LBB346_459:                            ;   in Loop: Header=BB346_15 Depth=1
	s_delay_alu instid0(SALU_CYCLE_1)
	s_or_b32 exec_lo, exec_lo, s44
.LBB346_460:                            ;   in Loop: Header=BB346_15 Depth=1
	s_delay_alu instid0(SALU_CYCLE_1) | instskip(NEXT) | instid1(SALU_CYCLE_1)
	s_or_b32 exec_lo, exec_lo, s43
	s_mov_b32 s43, exec_lo
	v_cmpx_lt_u32_e32 0xffffff, v12
	s_cbranch_execz .LBB346_468
; %bb.461:                              ;   in Loop: Header=BB346_15 Depth=1
	v_lshrrev_b32_e32 v8, 24, v12
	v_bfrev_b32_e32 v3, 1
	s_mov_b32 s44, exec_lo
	s_delay_alu instid0(VALU_DEP_2)
	v_cmpx_ne_u32_e32 0x80, v8
	s_cbranch_execz .LBB346_467
; %bb.462:                              ;   in Loop: Header=BB346_15 Depth=1
	v_bfe_u32 v9, v12, 24, 7
	v_mov_b32_e32 v3, 0x7f800001
	s_mov_b32 s45, exec_lo
	s_delay_alu instid0(VALU_DEP_2)
	v_cmpx_ne_u32_e32 0x7f, v9
	s_cbranch_execz .LBB346_466
; %bb.463:                              ;   in Loop: Header=BB346_15 Depth=1
	v_dual_lshrrev_b32 v3, 3, v9 :: v_dual_bitop2_b32 v28, 7, v8 bitop3:0x40
	s_mov_b32 s46, exec_lo
	v_cmpx_gt_u32_e32 8, v9
; %bb.464:                              ;   in Loop: Header=BB346_15 Depth=1
	s_delay_alu instid0(VALU_DEP_2) | instskip(NEXT) | instid1(VALU_DEP_1)
	v_clz_i32_u32_e32 v3, v28
	v_min_u32_e32 v3, 32, v3
	s_delay_alu instid0(VALU_DEP_1) | instskip(NEXT) | instid1(VALU_DEP_1)
	v_subrev_nc_u32_e32 v9, 28, v3
	v_lshlrev_b64_e32 v[14:15], v9, v[28:29]
	s_delay_alu instid0(VALU_DEP_1)
	v_dual_sub_nc_u32 v3, 29, v3 :: v_dual_bitop2_b32 v28, 7, v14 bitop3:0x40
; %bb.465:                              ;   in Loop: Header=BB346_15 Depth=1
	s_or_b32 exec_lo, exec_lo, s46
	v_lshlrev_b32_e32 v8, 24, v8
	s_delay_alu instid0(VALU_DEP_2) | instskip(NEXT) | instid1(VALU_DEP_3)
	v_lshlrev_b32_e32 v9, 20, v28
	v_lshl_add_u32 v3, v3, 23, 0x3c000000
	s_delay_alu instid0(VALU_DEP_3) | instskip(NEXT) | instid1(VALU_DEP_1)
	v_and_b32_e32 v8, 0x80000000, v8
	v_or3_b32 v3, v9, v8, v3
.LBB346_466:                            ;   in Loop: Header=BB346_15 Depth=1
	s_or_b32 exec_lo, exec_lo, s45
.LBB346_467:                            ;   in Loop: Header=BB346_15 Depth=1
	s_delay_alu instid0(SALU_CYCLE_1)
	s_or_b32 exec_lo, exec_lo, s44
.LBB346_468:                            ;   in Loop: Header=BB346_15 Depth=1
	s_delay_alu instid0(SALU_CYCLE_1) | instskip(SKIP_4) | instid1(VALU_DEP_3)
	s_or_b32 exec_lo, exec_lo, s43
	v_and_b32_e32 v8, 0xff, v13
	v_dual_mov_b32 v28, v13 :: v_dual_mov_b32 v15, 0
	v_mov_b32_e32 v14, 0
	s_mov_b32 s43, exec_lo
	v_cmpx_ne_u16_e32 0, v8
	s_cbranch_execz .LBB346_474
; %bb.469:                              ;   in Loop: Header=BB346_15 Depth=1
	v_bfrev_b32_e32 v14, 1
	s_mov_b32 s44, exec_lo
	v_cmpx_ne_u16_e32 0x80, v8
	s_cbranch_execz .LBB346_473
; %bb.470:                              ;   in Loop: Header=BB346_15 Depth=1
	v_and_b32_e32 v8, 0x7f, v13
	v_mov_b32_e32 v14, 0x7f800001
	s_mov_b32 s45, exec_lo
	s_delay_alu instid0(VALU_DEP_2)
	v_cmpx_ne_u32_e32 0x7f, v8
	s_cbranch_execz .LBB346_472
; %bb.471:                              ;   in Loop: Header=BB346_15 Depth=1
	v_dual_lshrrev_b32 v14, 3, v8 :: v_dual_bitop2_b32 v9, 7, v13 bitop3:0x40
	v_cmp_gt_u32_e64 s3, 8, v8
	s_delay_alu instid0(VALU_DEP_2) | instskip(NEXT) | instid1(VALU_DEP_1)
	v_clz_i32_u32_e32 v8, v9
	v_min_u32_e32 v8, 32, v8
	s_delay_alu instid0(VALU_DEP_1) | instskip(SKIP_1) | instid1(VALU_DEP_1)
	v_subrev_nc_u32_e32 v9, 28, v8
	v_sub_nc_u32_e32 v8, 29, v8
	v_dual_cndmask_b32 v14, v14, v8, s3 :: v_dual_cndmask_b32 v8, 0, v9, s3
	s_delay_alu instid0(VALU_DEP_1) | instskip(NEXT) | instid1(VALU_DEP_2)
	v_lshl_add_u32 v14, v14, 23, 0x3c000000
	v_lshlrev_b64_e32 v[8:9], v8, v[28:29]
	v_lshlrev_b32_e32 v9, 24, v28
	s_delay_alu instid0(VALU_DEP_1) | instskip(NEXT) | instid1(VALU_DEP_3)
	v_and_b32_e32 v9, 0x80000000, v9
	v_lshlrev_b32_e32 v8, 20, v8
	s_delay_alu instid0(VALU_DEP_1) | instskip(NEXT) | instid1(VALU_DEP_1)
	v_and_b32_e32 v8, 0x700000, v8
	v_or3_b32 v14, v8, v9, v14
.LBB346_472:                            ;   in Loop: Header=BB346_15 Depth=1
	s_or_b32 exec_lo, exec_lo, s45
.LBB346_473:                            ;   in Loop: Header=BB346_15 Depth=1
	s_delay_alu instid0(SALU_CYCLE_1)
	s_or_b32 exec_lo, exec_lo, s44
.LBB346_474:                            ;   in Loop: Header=BB346_15 Depth=1
	s_delay_alu instid0(SALU_CYCLE_1) | instskip(SKIP_2) | instid1(VALU_DEP_1)
	s_or_b32 exec_lo, exec_lo, s43
	v_lshrrev_b16 v8, 8, v28
	s_mov_b32 s43, exec_lo
	v_cmpx_ne_u16_e32 0, v8
	s_cbranch_execz .LBB346_482
; %bb.475:                              ;   in Loop: Header=BB346_15 Depth=1
	v_bfrev_b32_e32 v15, 1
	s_mov_b32 s44, exec_lo
	v_cmpx_ne_u16_e32 0x80, v8
	s_cbranch_execz .LBB346_481
; %bb.476:                              ;   in Loop: Header=BB346_15 Depth=1
	v_and_b32_e32 v8, 0xffff, v8
	v_mov_b32_e32 v15, 0x7f800001
	s_mov_b32 s45, exec_lo
	s_delay_alu instid0(VALU_DEP_2) | instskip(NEXT) | instid1(VALU_DEP_1)
	v_and_b32_e32 v16, 0x7f, v8
	v_cmpx_ne_u32_e32 0x7f, v16
	s_cbranch_execz .LBB346_480
; %bb.477:                              ;   in Loop: Header=BB346_15 Depth=1
	v_dual_mov_b32 v9, v29 :: v_dual_bitop2_b32 v8, 7, v8 bitop3:0x40
	v_lshrrev_b32_e32 v15, 3, v16
	s_mov_b32 s46, exec_lo
	v_cmpx_gt_u32_e32 8, v16
; %bb.478:                              ;   in Loop: Header=BB346_15 Depth=1
	s_delay_alu instid0(VALU_DEP_3) | instskip(NEXT) | instid1(VALU_DEP_1)
	v_clz_i32_u32_e32 v15, v8
	v_min_u32_e32 v15, 32, v15
	s_delay_alu instid0(VALU_DEP_1) | instskip(NEXT) | instid1(VALU_DEP_1)
	v_subrev_nc_u32_e32 v16, 28, v15
	v_lshlrev_b64_e32 v[8:9], v16, v[8:9]
	s_delay_alu instid0(VALU_DEP_1)
	v_dual_sub_nc_u32 v15, 29, v15 :: v_dual_bitop2_b32 v8, 7, v8 bitop3:0x40
; %bb.479:                              ;   in Loop: Header=BB346_15 Depth=1
	s_or_b32 exec_lo, exec_lo, s46
	v_lshlrev_b32_e32 v9, 16, v28
	s_delay_alu instid0(VALU_DEP_2) | instskip(NEXT) | instid1(VALU_DEP_3)
	v_lshlrev_b32_e32 v8, 20, v8
	v_lshl_add_u32 v15, v15, 23, 0x3c000000
	s_delay_alu instid0(VALU_DEP_3) | instskip(NEXT) | instid1(VALU_DEP_1)
	v_and_b32_e32 v9, 0x80000000, v9
	v_or3_b32 v15, v8, v9, v15
.LBB346_480:                            ;   in Loop: Header=BB346_15 Depth=1
	s_or_b32 exec_lo, exec_lo, s45
.LBB346_481:                            ;   in Loop: Header=BB346_15 Depth=1
	s_delay_alu instid0(SALU_CYCLE_1)
	s_or_b32 exec_lo, exec_lo, s44
.LBB346_482:                            ;   in Loop: Header=BB346_15 Depth=1
	s_delay_alu instid0(SALU_CYCLE_1) | instskip(SKIP_3) | instid1(VALU_DEP_2)
	s_or_b32 exec_lo, exec_lo, s43
	v_dual_mov_b32 v19, 0 :: v_dual_lshrrev_b32 v8, 16, v13
	v_mov_b32_e32 v18, 0
	s_mov_b32 s43, exec_lo
	v_and_b32_e32 v9, 0xff, v8
	s_delay_alu instid0(VALU_DEP_1)
	v_cmpx_ne_u16_e32 0, v9
	s_cbranch_execz .LBB346_490
; %bb.483:                              ;   in Loop: Header=BB346_15 Depth=1
	v_bfrev_b32_e32 v18, 1
	s_mov_b32 s44, exec_lo
	v_cmpx_ne_u16_e32 0x80, v9
	s_cbranch_execz .LBB346_489
; %bb.484:                              ;   in Loop: Header=BB346_15 Depth=1
	v_bfe_u32 v16, v13, 16, 7
	v_mov_b32_e32 v18, 0x7f800001
	s_mov_b32 s45, exec_lo
	s_delay_alu instid0(VALU_DEP_2)
	v_cmpx_ne_u32_e32 0x7f, v16
	s_cbranch_execz .LBB346_488
; %bb.485:                              ;   in Loop: Header=BB346_15 Depth=1
	v_and_b32_e32 v28, 7, v8
	v_lshrrev_b32_e32 v9, 3, v16
	s_mov_b32 s46, exec_lo
	v_cmpx_gt_u32_e32 8, v16
; %bb.486:                              ;   in Loop: Header=BB346_15 Depth=1
	s_delay_alu instid0(VALU_DEP_3) | instskip(NEXT) | instid1(VALU_DEP_1)
	v_clz_i32_u32_e32 v9, v28
	v_min_u32_e32 v9, 32, v9
	s_delay_alu instid0(VALU_DEP_1) | instskip(NEXT) | instid1(VALU_DEP_1)
	v_subrev_nc_u32_e32 v16, 28, v9
	v_lshlrev_b64_e32 v[16:17], v16, v[28:29]
	s_delay_alu instid0(VALU_DEP_1)
	v_dual_sub_nc_u32 v9, 29, v9 :: v_dual_bitop2_b32 v28, 7, v16 bitop3:0x40
; %bb.487:                              ;   in Loop: Header=BB346_15 Depth=1
	s_or_b32 exec_lo, exec_lo, s46
	v_lshlrev_b32_e32 v8, 24, v8
	s_delay_alu instid0(VALU_DEP_2) | instskip(NEXT) | instid1(VALU_DEP_3)
	v_lshlrev_b32_e32 v16, 20, v28
	v_lshl_add_u32 v9, v9, 23, 0x3c000000
	s_delay_alu instid0(VALU_DEP_3) | instskip(NEXT) | instid1(VALU_DEP_1)
	v_and_b32_e32 v8, 0x80000000, v8
	v_or3_b32 v18, v16, v8, v9
.LBB346_488:                            ;   in Loop: Header=BB346_15 Depth=1
	s_or_b32 exec_lo, exec_lo, s45
.LBB346_489:                            ;   in Loop: Header=BB346_15 Depth=1
	s_delay_alu instid0(SALU_CYCLE_1)
	s_or_b32 exec_lo, exec_lo, s44
.LBB346_490:                            ;   in Loop: Header=BB346_15 Depth=1
	s_delay_alu instid0(SALU_CYCLE_1) | instskip(NEXT) | instid1(SALU_CYCLE_1)
	s_or_b32 exec_lo, exec_lo, s43
	s_mov_b32 s43, exec_lo
	v_cmpx_lt_u64_e64 s[26:27], v[12:13]
	s_cbranch_execz .LBB346_498
; %bb.491:                              ;   in Loop: Header=BB346_15 Depth=1
	v_lshrrev_b32_e32 v8, 24, v13
	v_bfrev_b32_e32 v19, 1
	s_mov_b32 s44, exec_lo
	s_delay_alu instid0(VALU_DEP_2)
	v_cmpx_ne_u32_e32 0x80, v8
	s_cbranch_execz .LBB346_497
; %bb.492:                              ;   in Loop: Header=BB346_15 Depth=1
	v_bfe_u32 v12, v13, 24, 7
	v_mov_b32_e32 v19, 0x7f800001
	s_mov_b32 s45, exec_lo
	s_delay_alu instid0(VALU_DEP_2)
	v_cmpx_ne_u32_e32 0x7f, v12
	s_cbranch_execz .LBB346_496
; %bb.493:                              ;   in Loop: Header=BB346_15 Depth=1
	v_and_b32_e32 v28, 7, v8
	v_lshrrev_b32_e32 v9, 3, v12
	s_mov_b32 s46, exec_lo
	v_cmpx_gt_u32_e32 8, v12
; %bb.494:                              ;   in Loop: Header=BB346_15 Depth=1
	s_delay_alu instid0(VALU_DEP_3) | instskip(NEXT) | instid1(VALU_DEP_1)
	v_clz_i32_u32_e32 v9, v28
	v_min_u32_e32 v9, 32, v9
	s_delay_alu instid0(VALU_DEP_1) | instskip(NEXT) | instid1(VALU_DEP_1)
	v_subrev_nc_u32_e32 v12, 28, v9
	v_lshlrev_b64_e32 v[12:13], v12, v[28:29]
	s_delay_alu instid0(VALU_DEP_1)
	v_dual_sub_nc_u32 v9, 29, v9 :: v_dual_bitop2_b32 v28, 7, v12 bitop3:0x40
; %bb.495:                              ;   in Loop: Header=BB346_15 Depth=1
	s_or_b32 exec_lo, exec_lo, s46
	v_lshlrev_b32_e32 v8, 24, v8
	s_delay_alu instid0(VALU_DEP_2) | instskip(NEXT) | instid1(VALU_DEP_3)
	v_lshlrev_b32_e32 v12, 20, v28
	v_lshl_add_u32 v9, v9, 23, 0x3c000000
	s_delay_alu instid0(VALU_DEP_3) | instskip(NEXT) | instid1(VALU_DEP_1)
	v_and_b32_e32 v8, 0x80000000, v8
	v_or3_b32 v19, v12, v8, v9
.LBB346_496:                            ;   in Loop: Header=BB346_15 Depth=1
	s_or_b32 exec_lo, exec_lo, s45
.LBB346_497:                            ;   in Loop: Header=BB346_15 Depth=1
	s_delay_alu instid0(SALU_CYCLE_1)
	s_or_b32 exec_lo, exec_lo, s44
.LBB346_498:                            ;   in Loop: Header=BB346_15 Depth=1
	s_delay_alu instid0(SALU_CYCLE_1)
	s_or_b32 exec_lo, exec_lo, s43
	global_load_b64 v[48:49], v[102:103], off offset:2048
	v_dual_mov_b32 v45, 0 :: v_dual_mov_b32 v44, 0
	s_mov_b32 s43, exec_lo
	s_wait_loadcnt 0x0
	v_and_b32_e32 v8, 0xff, v48
	s_wait_xcnt 0x0
	s_delay_alu instid0(VALU_DEP_1)
	v_cmpx_ne_u16_e32 0, v8
	s_cbranch_execz .LBB346_504
; %bb.499:                              ;   in Loop: Header=BB346_15 Depth=1
	v_bfrev_b32_e32 v44, 1
	s_mov_b32 s44, exec_lo
	v_cmpx_ne_u16_e32 0x80, v8
	s_cbranch_execz .LBB346_503
; %bb.500:                              ;   in Loop: Header=BB346_15 Depth=1
	v_and_b32_e32 v8, 0x7f, v48
	v_mov_b32_e32 v44, 0x7f800001
	s_mov_b32 s45, exec_lo
	s_delay_alu instid0(VALU_DEP_2)
	v_cmpx_ne_u32_e32 0x7f, v8
	s_cbranch_execz .LBB346_502
; %bb.501:                              ;   in Loop: Header=BB346_15 Depth=1
	v_and_b32_e32 v9, 7, v48
	v_lshrrev_b32_e32 v12, 3, v8
	v_cmp_gt_u32_e64 s3, 8, v8
	s_delay_alu instid0(VALU_DEP_3) | instskip(NEXT) | instid1(VALU_DEP_1)
	v_clz_i32_u32_e32 v8, v9
	v_min_u32_e32 v8, 32, v8
	s_delay_alu instid0(VALU_DEP_1) | instskip(SKIP_1) | instid1(VALU_DEP_1)
	v_subrev_nc_u32_e32 v9, 28, v8
	v_sub_nc_u32_e32 v8, 29, v8
	v_dual_cndmask_b32 v12, v12, v8, s3 :: v_dual_cndmask_b32 v8, 0, v9, s3
	s_delay_alu instid0(VALU_DEP_1) | instskip(NEXT) | instid1(VALU_DEP_2)
	v_lshl_add_u32 v12, v12, 23, 0x3c000000
	v_lshlrev_b64_e32 v[8:9], v8, v[48:49]
	v_lshlrev_b32_e32 v9, 24, v48
	s_delay_alu instid0(VALU_DEP_1) | instskip(NEXT) | instid1(VALU_DEP_3)
	v_and_b32_e32 v9, 0x80000000, v9
	v_lshlrev_b32_e32 v8, 20, v8
	s_delay_alu instid0(VALU_DEP_1) | instskip(NEXT) | instid1(VALU_DEP_1)
	v_and_b32_e32 v8, 0x700000, v8
	v_or3_b32 v44, v8, v9, v12
.LBB346_502:                            ;   in Loop: Header=BB346_15 Depth=1
	s_or_b32 exec_lo, exec_lo, s45
.LBB346_503:                            ;   in Loop: Header=BB346_15 Depth=1
	s_delay_alu instid0(SALU_CYCLE_1)
	s_or_b32 exec_lo, exec_lo, s44
.LBB346_504:                            ;   in Loop: Header=BB346_15 Depth=1
	s_delay_alu instid0(SALU_CYCLE_1) | instskip(SKIP_2) | instid1(VALU_DEP_1)
	s_or_b32 exec_lo, exec_lo, s43
	v_lshrrev_b16 v8, 8, v48
	s_mov_b32 s43, exec_lo
	v_cmpx_ne_u16_e32 0, v8
	s_cbranch_execz .LBB346_512
; %bb.505:                              ;   in Loop: Header=BB346_15 Depth=1
	v_bfrev_b32_e32 v45, 1
	s_mov_b32 s44, exec_lo
	v_cmpx_ne_u16_e32 0x80, v8
	s_cbranch_execz .LBB346_511
; %bb.506:                              ;   in Loop: Header=BB346_15 Depth=1
	v_and_b32_e32 v8, 0xffff, v8
	v_mov_b32_e32 v45, 0x7f800001
	s_mov_b32 s45, exec_lo
	s_delay_alu instid0(VALU_DEP_2) | instskip(NEXT) | instid1(VALU_DEP_1)
	v_and_b32_e32 v9, 0x7f, v8
	v_cmpx_ne_u32_e32 0x7f, v9
	s_cbranch_execz .LBB346_510
; %bb.507:                              ;   in Loop: Header=BB346_15 Depth=1
	v_dual_lshrrev_b32 v8, 3, v9 :: v_dual_bitop2_b32 v28, 7, v8 bitop3:0x40
	s_mov_b32 s46, exec_lo
	v_cmpx_gt_u32_e32 8, v9
; %bb.508:                              ;   in Loop: Header=BB346_15 Depth=1
	s_delay_alu instid0(VALU_DEP_2) | instskip(NEXT) | instid1(VALU_DEP_1)
	v_clz_i32_u32_e32 v8, v28
	v_min_u32_e32 v8, 32, v8
	s_delay_alu instid0(VALU_DEP_1) | instskip(SKIP_1) | instid1(VALU_DEP_2)
	v_subrev_nc_u32_e32 v9, 28, v8
	v_sub_nc_u32_e32 v8, 29, v8
	v_lshlrev_b64_e32 v[12:13], v9, v[28:29]
	s_delay_alu instid0(VALU_DEP_1)
	v_and_b32_e32 v28, 7, v12
; %bb.509:                              ;   in Loop: Header=BB346_15 Depth=1
	s_or_b32 exec_lo, exec_lo, s46
	v_lshlrev_b32_e32 v9, 16, v48
	s_delay_alu instid0(VALU_DEP_2) | instskip(SKIP_1) | instid1(VALU_DEP_3)
	v_lshlrev_b32_e32 v12, 20, v28
	v_lshl_add_u32 v8, v8, 23, 0x3c000000
	v_and_b32_e32 v9, 0x80000000, v9
	s_delay_alu instid0(VALU_DEP_1)
	v_or3_b32 v45, v12, v9, v8
.LBB346_510:                            ;   in Loop: Header=BB346_15 Depth=1
	s_or_b32 exec_lo, exec_lo, s45
.LBB346_511:                            ;   in Loop: Header=BB346_15 Depth=1
	s_delay_alu instid0(SALU_CYCLE_1)
	s_or_b32 exec_lo, exec_lo, s44
.LBB346_512:                            ;   in Loop: Header=BB346_15 Depth=1
	s_delay_alu instid0(SALU_CYCLE_1) | instskip(SKIP_3) | instid1(VALU_DEP_2)
	s_or_b32 exec_lo, exec_lo, s43
	v_dual_mov_b32 v47, 0 :: v_dual_lshrrev_b32 v8, 16, v48
	v_mov_b32_e32 v46, 0
	s_mov_b32 s43, exec_lo
	v_and_b32_e32 v9, 0xff, v8
	s_delay_alu instid0(VALU_DEP_1)
	v_cmpx_ne_u16_e32 0, v9
	s_cbranch_execz .LBB346_520
; %bb.513:                              ;   in Loop: Header=BB346_15 Depth=1
	v_bfrev_b32_e32 v46, 1
	s_mov_b32 s44, exec_lo
	v_cmpx_ne_u16_e32 0x80, v9
	s_cbranch_execz .LBB346_519
; %bb.514:                              ;   in Loop: Header=BB346_15 Depth=1
	v_bfe_u32 v12, v48, 16, 7
	v_mov_b32_e32 v46, 0x7f800001
	s_mov_b32 s45, exec_lo
	s_delay_alu instid0(VALU_DEP_2)
	v_cmpx_ne_u32_e32 0x7f, v12
	s_cbranch_execz .LBB346_518
; %bb.515:                              ;   in Loop: Header=BB346_15 Depth=1
	v_and_b32_e32 v28, 7, v8
	v_lshrrev_b32_e32 v9, 3, v12
	s_mov_b32 s46, exec_lo
	v_cmpx_gt_u32_e32 8, v12
; %bb.516:                              ;   in Loop: Header=BB346_15 Depth=1
	s_delay_alu instid0(VALU_DEP_3) | instskip(NEXT) | instid1(VALU_DEP_1)
	v_clz_i32_u32_e32 v9, v28
	v_min_u32_e32 v9, 32, v9
	s_delay_alu instid0(VALU_DEP_1) | instskip(NEXT) | instid1(VALU_DEP_1)
	v_subrev_nc_u32_e32 v12, 28, v9
	v_lshlrev_b64_e32 v[12:13], v12, v[28:29]
	s_delay_alu instid0(VALU_DEP_1)
	v_dual_sub_nc_u32 v9, 29, v9 :: v_dual_bitop2_b32 v28, 7, v12 bitop3:0x40
; %bb.517:                              ;   in Loop: Header=BB346_15 Depth=1
	s_or_b32 exec_lo, exec_lo, s46
	v_lshlrev_b32_e32 v8, 24, v8
	s_delay_alu instid0(VALU_DEP_2) | instskip(NEXT) | instid1(VALU_DEP_3)
	v_lshlrev_b32_e32 v12, 20, v28
	v_lshl_add_u32 v9, v9, 23, 0x3c000000
	s_delay_alu instid0(VALU_DEP_3) | instskip(NEXT) | instid1(VALU_DEP_1)
	v_and_b32_e32 v8, 0x80000000, v8
	v_or3_b32 v46, v12, v8, v9
.LBB346_518:                            ;   in Loop: Header=BB346_15 Depth=1
	s_or_b32 exec_lo, exec_lo, s45
.LBB346_519:                            ;   in Loop: Header=BB346_15 Depth=1
	s_delay_alu instid0(SALU_CYCLE_1)
	s_or_b32 exec_lo, exec_lo, s44
.LBB346_520:                            ;   in Loop: Header=BB346_15 Depth=1
	s_delay_alu instid0(SALU_CYCLE_1) | instskip(NEXT) | instid1(SALU_CYCLE_1)
	s_or_b32 exec_lo, exec_lo, s43
	s_mov_b32 s43, exec_lo
	v_cmpx_lt_u32_e32 0xffffff, v48
	s_cbranch_execz .LBB346_528
; %bb.521:                              ;   in Loop: Header=BB346_15 Depth=1
	v_lshrrev_b32_e32 v8, 24, v48
	v_bfrev_b32_e32 v47, 1
	s_mov_b32 s44, exec_lo
	s_delay_alu instid0(VALU_DEP_2)
	v_cmpx_ne_u32_e32 0x80, v8
	s_cbranch_execz .LBB346_527
; %bb.522:                              ;   in Loop: Header=BB346_15 Depth=1
	v_bfe_u32 v12, v48, 24, 7
	v_mov_b32_e32 v47, 0x7f800001
	s_mov_b32 s45, exec_lo
	s_delay_alu instid0(VALU_DEP_2)
	v_cmpx_ne_u32_e32 0x7f, v12
	s_cbranch_execz .LBB346_526
; %bb.523:                              ;   in Loop: Header=BB346_15 Depth=1
	v_and_b32_e32 v28, 7, v8
	v_lshrrev_b32_e32 v9, 3, v12
	s_mov_b32 s46, exec_lo
	v_cmpx_gt_u32_e32 8, v12
; %bb.524:                              ;   in Loop: Header=BB346_15 Depth=1
	s_delay_alu instid0(VALU_DEP_3) | instskip(NEXT) | instid1(VALU_DEP_1)
	v_clz_i32_u32_e32 v9, v28
	v_min_u32_e32 v9, 32, v9
	s_delay_alu instid0(VALU_DEP_1) | instskip(NEXT) | instid1(VALU_DEP_1)
	v_subrev_nc_u32_e32 v12, 28, v9
	v_lshlrev_b64_e32 v[12:13], v12, v[28:29]
	s_delay_alu instid0(VALU_DEP_1)
	v_dual_sub_nc_u32 v9, 29, v9 :: v_dual_bitop2_b32 v28, 7, v12 bitop3:0x40
; %bb.525:                              ;   in Loop: Header=BB346_15 Depth=1
	s_or_b32 exec_lo, exec_lo, s46
	v_lshlrev_b32_e32 v8, 24, v8
	s_delay_alu instid0(VALU_DEP_2) | instskip(NEXT) | instid1(VALU_DEP_3)
	v_lshlrev_b32_e32 v12, 20, v28
	v_lshl_add_u32 v9, v9, 23, 0x3c000000
	s_delay_alu instid0(VALU_DEP_3) | instskip(NEXT) | instid1(VALU_DEP_1)
	v_and_b32_e32 v8, 0x80000000, v8
	v_or3_b32 v47, v12, v8, v9
.LBB346_526:                            ;   in Loop: Header=BB346_15 Depth=1
	s_or_b32 exec_lo, exec_lo, s45
.LBB346_527:                            ;   in Loop: Header=BB346_15 Depth=1
	s_delay_alu instid0(SALU_CYCLE_1)
	s_or_b32 exec_lo, exec_lo, s44
.LBB346_528:                            ;   in Loop: Header=BB346_15 Depth=1
	s_delay_alu instid0(SALU_CYCLE_1) | instskip(SKIP_4) | instid1(VALU_DEP_3)
	s_or_b32 exec_lo, exec_lo, s43
	v_and_b32_e32 v8, 0xff, v49
	v_dual_mov_b32 v28, v49 :: v_dual_mov_b32 v25, 0
	v_mov_b32_e32 v24, 0
	s_mov_b32 s43, exec_lo
	v_cmpx_ne_u16_e32 0, v8
	s_cbranch_execz .LBB346_534
; %bb.529:                              ;   in Loop: Header=BB346_15 Depth=1
	v_bfrev_b32_e32 v24, 1
	s_mov_b32 s44, exec_lo
	v_cmpx_ne_u16_e32 0x80, v8
	s_cbranch_execz .LBB346_533
; %bb.530:                              ;   in Loop: Header=BB346_15 Depth=1
	v_and_b32_e32 v8, 0x7f, v49
	v_mov_b32_e32 v24, 0x7f800001
	s_mov_b32 s45, exec_lo
	s_delay_alu instid0(VALU_DEP_2)
	v_cmpx_ne_u32_e32 0x7f, v8
	s_cbranch_execz .LBB346_532
; %bb.531:                              ;   in Loop: Header=BB346_15 Depth=1
	v_dual_lshrrev_b32 v12, 3, v8 :: v_dual_bitop2_b32 v9, 7, v49 bitop3:0x40
	v_cmp_gt_u32_e64 s3, 8, v8
	s_delay_alu instid0(VALU_DEP_2) | instskip(NEXT) | instid1(VALU_DEP_1)
	v_clz_i32_u32_e32 v8, v9
	v_min_u32_e32 v8, 32, v8
	s_delay_alu instid0(VALU_DEP_1) | instskip(SKIP_1) | instid1(VALU_DEP_1)
	v_subrev_nc_u32_e32 v9, 28, v8
	v_sub_nc_u32_e32 v8, 29, v8
	v_dual_cndmask_b32 v12, v12, v8, s3 :: v_dual_cndmask_b32 v8, 0, v9, s3
	s_delay_alu instid0(VALU_DEP_1) | instskip(NEXT) | instid1(VALU_DEP_2)
	v_lshl_add_u32 v12, v12, 23, 0x3c000000
	v_lshlrev_b64_e32 v[8:9], v8, v[28:29]
	v_lshlrev_b32_e32 v9, 24, v28
	s_delay_alu instid0(VALU_DEP_1) | instskip(NEXT) | instid1(VALU_DEP_3)
	v_and_b32_e32 v9, 0x80000000, v9
	v_lshlrev_b32_e32 v8, 20, v8
	s_delay_alu instid0(VALU_DEP_1) | instskip(NEXT) | instid1(VALU_DEP_1)
	v_and_b32_e32 v8, 0x700000, v8
	v_or3_b32 v24, v8, v9, v12
.LBB346_532:                            ;   in Loop: Header=BB346_15 Depth=1
	s_or_b32 exec_lo, exec_lo, s45
.LBB346_533:                            ;   in Loop: Header=BB346_15 Depth=1
	s_delay_alu instid0(SALU_CYCLE_1)
	s_or_b32 exec_lo, exec_lo, s44
.LBB346_534:                            ;   in Loop: Header=BB346_15 Depth=1
	s_delay_alu instid0(SALU_CYCLE_1) | instskip(SKIP_2) | instid1(VALU_DEP_1)
	s_or_b32 exec_lo, exec_lo, s43
	v_lshrrev_b16 v8, 8, v28
	s_mov_b32 s43, exec_lo
	v_cmpx_ne_u16_e32 0, v8
	s_cbranch_execz .LBB346_542
; %bb.535:                              ;   in Loop: Header=BB346_15 Depth=1
	v_bfrev_b32_e32 v25, 1
	s_mov_b32 s44, exec_lo
	v_cmpx_ne_u16_e32 0x80, v8
	s_cbranch_execz .LBB346_541
; %bb.536:                              ;   in Loop: Header=BB346_15 Depth=1
	v_and_b32_e32 v8, 0xffff, v8
	v_mov_b32_e32 v25, 0x7f800001
	s_mov_b32 s45, exec_lo
	s_delay_alu instid0(VALU_DEP_2) | instskip(NEXT) | instid1(VALU_DEP_1)
	v_and_b32_e32 v13, 0x7f, v8
	v_cmpx_ne_u32_e32 0x7f, v13
	s_cbranch_execz .LBB346_540
; %bb.537:                              ;   in Loop: Header=BB346_15 Depth=1
	v_dual_mov_b32 v9, v29 :: v_dual_bitop2_b32 v8, 7, v8 bitop3:0x40
	v_lshrrev_b32_e32 v12, 3, v13
	s_mov_b32 s46, exec_lo
	v_cmpx_gt_u32_e32 8, v13
; %bb.538:                              ;   in Loop: Header=BB346_15 Depth=1
	s_delay_alu instid0(VALU_DEP_3) | instskip(NEXT) | instid1(VALU_DEP_1)
	v_clz_i32_u32_e32 v12, v8
	v_min_u32_e32 v12, 32, v12
	s_delay_alu instid0(VALU_DEP_1) | instskip(SKIP_1) | instid1(VALU_DEP_2)
	v_subrev_nc_u32_e32 v13, 28, v12
	v_sub_nc_u32_e32 v12, 29, v12
	v_lshlrev_b64_e32 v[8:9], v13, v[8:9]
	s_delay_alu instid0(VALU_DEP_1)
	v_and_b32_e32 v8, 7, v8
; %bb.539:                              ;   in Loop: Header=BB346_15 Depth=1
	s_or_b32 exec_lo, exec_lo, s46
	v_lshlrev_b32_e32 v9, 16, v28
	s_delay_alu instid0(VALU_DEP_2) | instskip(SKIP_1) | instid1(VALU_DEP_3)
	v_lshlrev_b32_e32 v8, 20, v8
	v_lshl_add_u32 v12, v12, 23, 0x3c000000
	v_and_b32_e32 v9, 0x80000000, v9
	s_delay_alu instid0(VALU_DEP_1)
	v_or3_b32 v25, v8, v9, v12
.LBB346_540:                            ;   in Loop: Header=BB346_15 Depth=1
	s_or_b32 exec_lo, exec_lo, s45
.LBB346_541:                            ;   in Loop: Header=BB346_15 Depth=1
	s_delay_alu instid0(SALU_CYCLE_1)
	s_or_b32 exec_lo, exec_lo, s44
.LBB346_542:                            ;   in Loop: Header=BB346_15 Depth=1
	s_delay_alu instid0(SALU_CYCLE_1) | instskip(SKIP_3) | instid1(VALU_DEP_2)
	s_or_b32 exec_lo, exec_lo, s43
	v_dual_mov_b32 v13, 0 :: v_dual_lshrrev_b32 v8, 16, v49
	v_mov_b32_e32 v12, 0
	s_mov_b32 s43, exec_lo
	v_and_b32_e32 v9, 0xff, v8
	s_delay_alu instid0(VALU_DEP_1)
	v_cmpx_ne_u16_e32 0, v9
	s_cbranch_execz .LBB346_550
; %bb.543:                              ;   in Loop: Header=BB346_15 Depth=1
	v_bfrev_b32_e32 v12, 1
	s_mov_b32 s44, exec_lo
	v_cmpx_ne_u16_e32 0x80, v9
	s_cbranch_execz .LBB346_549
; %bb.544:                              ;   in Loop: Header=BB346_15 Depth=1
	v_bfe_u32 v16, v49, 16, 7
	v_mov_b32_e32 v12, 0x7f800001
	s_mov_b32 s45, exec_lo
	s_delay_alu instid0(VALU_DEP_2)
	v_cmpx_ne_u32_e32 0x7f, v16
	s_cbranch_execz .LBB346_548
; %bb.545:                              ;   in Loop: Header=BB346_15 Depth=1
	v_and_b32_e32 v28, 7, v8
	v_lshrrev_b32_e32 v9, 3, v16
	s_mov_b32 s46, exec_lo
	v_cmpx_gt_u32_e32 8, v16
; %bb.546:                              ;   in Loop: Header=BB346_15 Depth=1
	s_delay_alu instid0(VALU_DEP_3) | instskip(NEXT) | instid1(VALU_DEP_1)
	v_clz_i32_u32_e32 v9, v28
	v_min_u32_e32 v9, 32, v9
	s_delay_alu instid0(VALU_DEP_1) | instskip(NEXT) | instid1(VALU_DEP_1)
	v_subrev_nc_u32_e32 v12, 28, v9
	v_lshlrev_b64_e32 v[16:17], v12, v[28:29]
	s_delay_alu instid0(VALU_DEP_1)
	v_dual_sub_nc_u32 v9, 29, v9 :: v_dual_bitop2_b32 v28, 7, v16 bitop3:0x40
; %bb.547:                              ;   in Loop: Header=BB346_15 Depth=1
	s_or_b32 exec_lo, exec_lo, s46
	v_lshlrev_b32_e32 v8, 24, v8
	s_delay_alu instid0(VALU_DEP_2) | instskip(NEXT) | instid1(VALU_DEP_3)
	v_lshlrev_b32_e32 v12, 20, v28
	v_lshl_add_u32 v9, v9, 23, 0x3c000000
	s_delay_alu instid0(VALU_DEP_3) | instskip(NEXT) | instid1(VALU_DEP_1)
	v_and_b32_e32 v8, 0x80000000, v8
	v_or3_b32 v12, v12, v8, v9
.LBB346_548:                            ;   in Loop: Header=BB346_15 Depth=1
	s_or_b32 exec_lo, exec_lo, s45
.LBB346_549:                            ;   in Loop: Header=BB346_15 Depth=1
	s_delay_alu instid0(SALU_CYCLE_1)
	s_or_b32 exec_lo, exec_lo, s44
.LBB346_550:                            ;   in Loop: Header=BB346_15 Depth=1
	s_delay_alu instid0(SALU_CYCLE_1) | instskip(NEXT) | instid1(SALU_CYCLE_1)
	s_or_b32 exec_lo, exec_lo, s43
	s_mov_b32 s43, exec_lo
	v_cmpx_lt_u64_e64 s[26:27], v[48:49]
	s_cbranch_execz .LBB346_558
; %bb.551:                              ;   in Loop: Header=BB346_15 Depth=1
	v_lshrrev_b32_e32 v8, 24, v49
	v_bfrev_b32_e32 v13, 1
	s_mov_b32 s44, exec_lo
	s_delay_alu instid0(VALU_DEP_2)
	v_cmpx_ne_u32_e32 0x80, v8
	s_cbranch_execz .LBB346_557
; %bb.552:                              ;   in Loop: Header=BB346_15 Depth=1
	v_bfe_u32 v16, v49, 24, 7
	v_mov_b32_e32 v13, 0x7f800001
	s_mov_b32 s45, exec_lo
	s_delay_alu instid0(VALU_DEP_2)
	v_cmpx_ne_u32_e32 0x7f, v16
	s_cbranch_execz .LBB346_556
; %bb.553:                              ;   in Loop: Header=BB346_15 Depth=1
	v_and_b32_e32 v28, 7, v8
	v_lshrrev_b32_e32 v9, 3, v16
	s_mov_b32 s46, exec_lo
	v_cmpx_gt_u32_e32 8, v16
; %bb.554:                              ;   in Loop: Header=BB346_15 Depth=1
	s_delay_alu instid0(VALU_DEP_3) | instskip(NEXT) | instid1(VALU_DEP_1)
	v_clz_i32_u32_e32 v9, v28
	v_min_u32_e32 v9, 32, v9
	s_delay_alu instid0(VALU_DEP_1) | instskip(NEXT) | instid1(VALU_DEP_1)
	v_subrev_nc_u32_e32 v13, 28, v9
	v_lshlrev_b64_e32 v[16:17], v13, v[28:29]
	s_delay_alu instid0(VALU_DEP_1)
	v_dual_sub_nc_u32 v9, 29, v9 :: v_dual_bitop2_b32 v28, 7, v16 bitop3:0x40
; %bb.555:                              ;   in Loop: Header=BB346_15 Depth=1
	s_or_b32 exec_lo, exec_lo, s46
	v_lshlrev_b32_e32 v8, 24, v8
	s_delay_alu instid0(VALU_DEP_2) | instskip(NEXT) | instid1(VALU_DEP_3)
	v_lshlrev_b32_e32 v13, 20, v28
	v_lshl_add_u32 v9, v9, 23, 0x3c000000
	s_delay_alu instid0(VALU_DEP_3) | instskip(NEXT) | instid1(VALU_DEP_1)
	v_and_b32_e32 v8, 0x80000000, v8
	v_or3_b32 v13, v13, v8, v9
.LBB346_556:                            ;   in Loop: Header=BB346_15 Depth=1
	s_or_b32 exec_lo, exec_lo, s45
.LBB346_557:                            ;   in Loop: Header=BB346_15 Depth=1
	s_delay_alu instid0(SALU_CYCLE_1)
	s_or_b32 exec_lo, exec_lo, s44
.LBB346_558:                            ;   in Loop: Header=BB346_15 Depth=1
	s_delay_alu instid0(SALU_CYCLE_1)
	s_or_b32 exec_lo, exec_lo, s43
	global_load_b64 v[8:9], v[102:103], off offset:2056
	s_wait_xcnt 0x0
	v_dual_mov_b32 v103, 0 :: v_dual_mov_b32 v102, 0
	s_mov_b32 s43, exec_lo
	s_wait_loadcnt 0x0
	v_and_b32_e32 v16, 0xff, v8
	s_delay_alu instid0(VALU_DEP_1)
	v_cmpx_ne_u16_e32 0, v16
	s_cbranch_execz .LBB346_564
; %bb.559:                              ;   in Loop: Header=BB346_15 Depth=1
	v_bfrev_b32_e32 v102, 1
	s_mov_b32 s44, exec_lo
	v_cmpx_ne_u16_e32 0x80, v16
	s_cbranch_execz .LBB346_563
; %bb.560:                              ;   in Loop: Header=BB346_15 Depth=1
	v_and_b32_e32 v16, 0x7f, v8
	v_mov_b32_e32 v102, 0x7f800001
	s_mov_b32 s45, exec_lo
	s_delay_alu instid0(VALU_DEP_2)
	v_cmpx_ne_u32_e32 0x7f, v16
	s_cbranch_execz .LBB346_562
; %bb.561:                              ;   in Loop: Header=BB346_15 Depth=1
	v_and_b32_e32 v17, 7, v8
	v_lshrrev_b32_e32 v28, 3, v16
	v_cmp_gt_u32_e64 s3, 8, v16
	s_delay_alu instid0(VALU_DEP_3) | instskip(NEXT) | instid1(VALU_DEP_1)
	v_clz_i32_u32_e32 v16, v17
	v_min_u32_e32 v16, 32, v16
	s_delay_alu instid0(VALU_DEP_1) | instskip(SKIP_1) | instid1(VALU_DEP_1)
	v_subrev_nc_u32_e32 v17, 28, v16
	v_sub_nc_u32_e32 v16, 29, v16
	v_dual_cndmask_b32 v28, v28, v16, s3 :: v_dual_cndmask_b32 v16, 0, v17, s3
	s_delay_alu instid0(VALU_DEP_1) | instskip(NEXT) | instid1(VALU_DEP_2)
	v_lshl_add_u32 v28, v28, 23, 0x3c000000
	v_lshlrev_b64_e32 v[16:17], v16, v[8:9]
	v_lshlrev_b32_e32 v17, 24, v8
	s_delay_alu instid0(VALU_DEP_1) | instskip(NEXT) | instid1(VALU_DEP_3)
	v_and_b32_e32 v17, 0x80000000, v17
	v_lshlrev_b32_e32 v16, 20, v16
	s_delay_alu instid0(VALU_DEP_1) | instskip(NEXT) | instid1(VALU_DEP_1)
	v_and_b32_e32 v16, 0x700000, v16
	v_or3_b32 v102, v16, v17, v28
.LBB346_562:                            ;   in Loop: Header=BB346_15 Depth=1
	s_or_b32 exec_lo, exec_lo, s45
.LBB346_563:                            ;   in Loop: Header=BB346_15 Depth=1
	s_delay_alu instid0(SALU_CYCLE_1)
	s_or_b32 exec_lo, exec_lo, s44
.LBB346_564:                            ;   in Loop: Header=BB346_15 Depth=1
	s_delay_alu instid0(SALU_CYCLE_1) | instskip(SKIP_2) | instid1(VALU_DEP_1)
	s_or_b32 exec_lo, exec_lo, s43
	v_lshrrev_b16 v16, 8, v8
	s_mov_b32 s43, exec_lo
	v_cmpx_ne_u16_e32 0, v16
	s_cbranch_execz .LBB346_572
; %bb.565:                              ;   in Loop: Header=BB346_15 Depth=1
	v_bfrev_b32_e32 v103, 1
	s_mov_b32 s44, exec_lo
	v_cmpx_ne_u16_e32 0x80, v16
	s_cbranch_execz .LBB346_571
; %bb.566:                              ;   in Loop: Header=BB346_15 Depth=1
	v_and_b32_e32 v16, 0xffff, v16
	v_mov_b32_e32 v103, 0x7f800001
	s_mov_b32 s45, exec_lo
	s_delay_alu instid0(VALU_DEP_2) | instskip(NEXT) | instid1(VALU_DEP_1)
	v_and_b32_e32 v17, 0x7f, v16
	v_cmpx_ne_u32_e32 0x7f, v17
	s_cbranch_execz .LBB346_570
; %bb.567:                              ;   in Loop: Header=BB346_15 Depth=1
	v_dual_lshrrev_b32 v16, 3, v17 :: v_dual_bitop2_b32 v28, 7, v16 bitop3:0x40
	s_mov_b32 s46, exec_lo
	v_cmpx_gt_u32_e32 8, v17
; %bb.568:                              ;   in Loop: Header=BB346_15 Depth=1
	s_delay_alu instid0(VALU_DEP_2) | instskip(NEXT) | instid1(VALU_DEP_1)
	v_clz_i32_u32_e32 v16, v28
	v_min_u32_e32 v16, 32, v16
	s_delay_alu instid0(VALU_DEP_1) | instskip(SKIP_1) | instid1(VALU_DEP_2)
	v_subrev_nc_u32_e32 v17, 28, v16
	v_sub_nc_u32_e32 v16, 29, v16
	v_lshlrev_b64_e32 v[48:49], v17, v[28:29]
	s_delay_alu instid0(VALU_DEP_1)
	v_and_b32_e32 v28, 7, v48
; %bb.569:                              ;   in Loop: Header=BB346_15 Depth=1
	s_or_b32 exec_lo, exec_lo, s46
	v_lshlrev_b32_e32 v17, 16, v8
	s_delay_alu instid0(VALU_DEP_2) | instskip(SKIP_1) | instid1(VALU_DEP_3)
	v_lshlrev_b32_e32 v28, 20, v28
	v_lshl_add_u32 v16, v16, 23, 0x3c000000
	v_and_b32_e32 v17, 0x80000000, v17
	s_delay_alu instid0(VALU_DEP_1)
	v_or3_b32 v103, v28, v17, v16
.LBB346_570:                            ;   in Loop: Header=BB346_15 Depth=1
	s_or_b32 exec_lo, exec_lo, s45
.LBB346_571:                            ;   in Loop: Header=BB346_15 Depth=1
	s_delay_alu instid0(SALU_CYCLE_1)
	s_or_b32 exec_lo, exec_lo, s44
.LBB346_572:                            ;   in Loop: Header=BB346_15 Depth=1
	s_delay_alu instid0(SALU_CYCLE_1) | instskip(SKIP_3) | instid1(VALU_DEP_2)
	s_or_b32 exec_lo, exec_lo, s43
	v_dual_mov_b32 v49, 0 :: v_dual_lshrrev_b32 v16, 16, v8
	v_mov_b32_e32 v48, 0
	s_mov_b32 s43, exec_lo
	v_and_b32_e32 v17, 0xff, v16
	s_delay_alu instid0(VALU_DEP_1)
	v_cmpx_ne_u16_e32 0, v17
	s_cbranch_execz .LBB346_580
; %bb.573:                              ;   in Loop: Header=BB346_15 Depth=1
	v_bfrev_b32_e32 v48, 1
	s_mov_b32 s44, exec_lo
	v_cmpx_ne_u16_e32 0x80, v17
	s_cbranch_execz .LBB346_579
; %bb.574:                              ;   in Loop: Header=BB346_15 Depth=1
	v_bfe_u32 v50, v8, 16, 7
	v_mov_b32_e32 v48, 0x7f800001
	s_mov_b32 s45, exec_lo
	s_delay_alu instid0(VALU_DEP_2)
	v_cmpx_ne_u32_e32 0x7f, v50
	s_cbranch_execz .LBB346_578
; %bb.575:                              ;   in Loop: Header=BB346_15 Depth=1
	v_dual_lshrrev_b32 v17, 3, v50 :: v_dual_bitop2_b32 v28, 7, v16 bitop3:0x40
	s_mov_b32 s46, exec_lo
	v_cmpx_gt_u32_e32 8, v50
; %bb.576:                              ;   in Loop: Header=BB346_15 Depth=1
	s_delay_alu instid0(VALU_DEP_2) | instskip(NEXT) | instid1(VALU_DEP_1)
	v_clz_i32_u32_e32 v17, v28
	v_min_u32_e32 v17, 32, v17
	s_delay_alu instid0(VALU_DEP_1) | instskip(NEXT) | instid1(VALU_DEP_1)
	v_subrev_nc_u32_e32 v48, 28, v17
	v_lshlrev_b64_e32 v[50:51], v48, v[28:29]
	s_delay_alu instid0(VALU_DEP_1)
	v_dual_sub_nc_u32 v17, 29, v17 :: v_dual_bitop2_b32 v28, 7, v50 bitop3:0x40
; %bb.577:                              ;   in Loop: Header=BB346_15 Depth=1
	s_or_b32 exec_lo, exec_lo, s46
	v_lshlrev_b32_e32 v16, 24, v16
	s_delay_alu instid0(VALU_DEP_2) | instskip(NEXT) | instid1(VALU_DEP_3)
	v_lshlrev_b32_e32 v28, 20, v28
	v_lshl_add_u32 v17, v17, 23, 0x3c000000
	s_delay_alu instid0(VALU_DEP_3) | instskip(NEXT) | instid1(VALU_DEP_1)
	v_and_b32_e32 v16, 0x80000000, v16
	v_or3_b32 v48, v28, v16, v17
.LBB346_578:                            ;   in Loop: Header=BB346_15 Depth=1
	s_or_b32 exec_lo, exec_lo, s45
.LBB346_579:                            ;   in Loop: Header=BB346_15 Depth=1
	s_delay_alu instid0(SALU_CYCLE_1)
	s_or_b32 exec_lo, exec_lo, s44
.LBB346_580:                            ;   in Loop: Header=BB346_15 Depth=1
	s_delay_alu instid0(SALU_CYCLE_1) | instskip(NEXT) | instid1(SALU_CYCLE_1)
	s_or_b32 exec_lo, exec_lo, s43
	s_mov_b32 s43, exec_lo
	v_cmpx_lt_u32_e32 0xffffff, v8
	s_cbranch_execz .LBB346_588
; %bb.581:                              ;   in Loop: Header=BB346_15 Depth=1
	v_lshrrev_b32_e32 v16, 24, v8
	v_bfrev_b32_e32 v49, 1
	s_mov_b32 s44, exec_lo
	s_delay_alu instid0(VALU_DEP_2)
	v_cmpx_ne_u32_e32 0x80, v16
	s_cbranch_execz .LBB346_587
; %bb.582:                              ;   in Loop: Header=BB346_15 Depth=1
	v_bfe_u32 v50, v8, 24, 7
	v_mov_b32_e32 v49, 0x7f800001
	s_mov_b32 s45, exec_lo
	s_delay_alu instid0(VALU_DEP_2)
	v_cmpx_ne_u32_e32 0x7f, v50
	s_cbranch_execz .LBB346_586
; %bb.583:                              ;   in Loop: Header=BB346_15 Depth=1
	v_dual_lshrrev_b32 v17, 3, v50 :: v_dual_bitop2_b32 v28, 7, v16 bitop3:0x40
	s_mov_b32 s46, exec_lo
	v_cmpx_gt_u32_e32 8, v50
; %bb.584:                              ;   in Loop: Header=BB346_15 Depth=1
	s_delay_alu instid0(VALU_DEP_2) | instskip(NEXT) | instid1(VALU_DEP_1)
	v_clz_i32_u32_e32 v17, v28
	v_min_u32_e32 v17, 32, v17
	s_delay_alu instid0(VALU_DEP_1) | instskip(NEXT) | instid1(VALU_DEP_1)
	v_subrev_nc_u32_e32 v49, 28, v17
	v_lshlrev_b64_e32 v[50:51], v49, v[28:29]
	s_delay_alu instid0(VALU_DEP_1)
	v_dual_sub_nc_u32 v17, 29, v17 :: v_dual_bitop2_b32 v28, 7, v50 bitop3:0x40
; %bb.585:                              ;   in Loop: Header=BB346_15 Depth=1
	s_or_b32 exec_lo, exec_lo, s46
	v_lshlrev_b32_e32 v16, 24, v16
	s_delay_alu instid0(VALU_DEP_2) | instskip(NEXT) | instid1(VALU_DEP_3)
	v_lshlrev_b32_e32 v28, 20, v28
	v_lshl_add_u32 v17, v17, 23, 0x3c000000
	s_delay_alu instid0(VALU_DEP_3) | instskip(NEXT) | instid1(VALU_DEP_1)
	v_and_b32_e32 v16, 0x80000000, v16
	v_or3_b32 v49, v28, v16, v17
.LBB346_586:                            ;   in Loop: Header=BB346_15 Depth=1
	s_or_b32 exec_lo, exec_lo, s45
.LBB346_587:                            ;   in Loop: Header=BB346_15 Depth=1
	s_delay_alu instid0(SALU_CYCLE_1)
	s_or_b32 exec_lo, exec_lo, s44
.LBB346_588:                            ;   in Loop: Header=BB346_15 Depth=1
	s_delay_alu instid0(SALU_CYCLE_1) | instskip(SKIP_4) | instid1(VALU_DEP_3)
	s_or_b32 exec_lo, exec_lo, s43
	v_and_b32_e32 v16, 0xff, v9
	v_dual_mov_b32 v28, v9 :: v_dual_mov_b32 v51, 0
	v_mov_b32_e32 v50, 0
	s_mov_b32 s43, exec_lo
	v_cmpx_ne_u16_e32 0, v16
	s_cbranch_execz .LBB346_594
; %bb.589:                              ;   in Loop: Header=BB346_15 Depth=1
	v_bfrev_b32_e32 v50, 1
	s_mov_b32 s44, exec_lo
	v_cmpx_ne_u16_e32 0x80, v16
	s_cbranch_execz .LBB346_593
; %bb.590:                              ;   in Loop: Header=BB346_15 Depth=1
	v_and_b32_e32 v16, 0x7f, v9
	v_mov_b32_e32 v50, 0x7f800001
	s_mov_b32 s45, exec_lo
	s_delay_alu instid0(VALU_DEP_2)
	v_cmpx_ne_u32_e32 0x7f, v16
	s_cbranch_execz .LBB346_592
; %bb.591:                              ;   in Loop: Header=BB346_15 Depth=1
	v_dual_lshrrev_b32 v50, 3, v16 :: v_dual_bitop2_b32 v17, 7, v9 bitop3:0x40
	v_cmp_gt_u32_e64 s3, 8, v16
	s_delay_alu instid0(VALU_DEP_2) | instskip(NEXT) | instid1(VALU_DEP_1)
	v_clz_i32_u32_e32 v16, v17
	v_min_u32_e32 v16, 32, v16
	s_delay_alu instid0(VALU_DEP_1) | instskip(SKIP_1) | instid1(VALU_DEP_1)
	v_subrev_nc_u32_e32 v17, 28, v16
	v_sub_nc_u32_e32 v16, 29, v16
	v_dual_cndmask_b32 v50, v50, v16, s3 :: v_dual_cndmask_b32 v16, 0, v17, s3
	s_delay_alu instid0(VALU_DEP_1) | instskip(NEXT) | instid1(VALU_DEP_2)
	v_lshl_add_u32 v50, v50, 23, 0x3c000000
	v_lshlrev_b64_e32 v[16:17], v16, v[28:29]
	v_lshlrev_b32_e32 v17, 24, v28
	s_delay_alu instid0(VALU_DEP_1) | instskip(NEXT) | instid1(VALU_DEP_3)
	v_and_b32_e32 v17, 0x80000000, v17
	v_lshlrev_b32_e32 v16, 20, v16
	s_delay_alu instid0(VALU_DEP_1) | instskip(NEXT) | instid1(VALU_DEP_1)
	v_and_b32_e32 v16, 0x700000, v16
	v_or3_b32 v50, v16, v17, v50
.LBB346_592:                            ;   in Loop: Header=BB346_15 Depth=1
	s_or_b32 exec_lo, exec_lo, s45
.LBB346_593:                            ;   in Loop: Header=BB346_15 Depth=1
	s_delay_alu instid0(SALU_CYCLE_1)
	s_or_b32 exec_lo, exec_lo, s44
.LBB346_594:                            ;   in Loop: Header=BB346_15 Depth=1
	s_delay_alu instid0(SALU_CYCLE_1) | instskip(SKIP_2) | instid1(VALU_DEP_1)
	s_or_b32 exec_lo, exec_lo, s43
	v_lshrrev_b16 v16, 8, v28
	s_mov_b32 s43, exec_lo
	v_cmpx_ne_u16_e32 0, v16
	s_cbranch_execz .LBB346_602
; %bb.595:                              ;   in Loop: Header=BB346_15 Depth=1
	v_bfrev_b32_e32 v51, 1
	s_mov_b32 s44, exec_lo
	v_cmpx_ne_u16_e32 0x80, v16
	s_cbranch_execz .LBB346_601
; %bb.596:                              ;   in Loop: Header=BB346_15 Depth=1
	v_and_b32_e32 v16, 0xffff, v16
	v_mov_b32_e32 v51, 0x7f800001
	s_mov_b32 s45, exec_lo
	s_delay_alu instid0(VALU_DEP_2) | instskip(NEXT) | instid1(VALU_DEP_1)
	v_and_b32_e32 v17, 0x7f, v16
	v_cmpx_ne_u32_e32 0x7f, v17
	s_cbranch_execz .LBB346_600
; %bb.597:                              ;   in Loop: Header=BB346_15 Depth=1
	v_dual_mov_b32 v53, v29 :: v_dual_bitop2_b32 v52, 7, v16 bitop3:0x40
	v_lshrrev_b32_e32 v16, 3, v17
	s_mov_b32 s46, exec_lo
	v_cmpx_gt_u32_e32 8, v17
; %bb.598:                              ;   in Loop: Header=BB346_15 Depth=1
	s_delay_alu instid0(VALU_DEP_3) | instskip(NEXT) | instid1(VALU_DEP_1)
	v_clz_i32_u32_e32 v16, v52
	v_min_u32_e32 v16, 32, v16
	s_delay_alu instid0(VALU_DEP_1) | instskip(SKIP_1) | instid1(VALU_DEP_2)
	v_subrev_nc_u32_e32 v17, 28, v16
	v_sub_nc_u32_e32 v16, 29, v16
	v_lshlrev_b64_e32 v[52:53], v17, v[52:53]
	s_delay_alu instid0(VALU_DEP_1)
	v_and_b32_e32 v52, 7, v52
; %bb.599:                              ;   in Loop: Header=BB346_15 Depth=1
	s_or_b32 exec_lo, exec_lo, s46
	v_lshlrev_b32_e32 v17, 16, v28
	s_delay_alu instid0(VALU_DEP_2) | instskip(SKIP_1) | instid1(VALU_DEP_3)
	v_lshlrev_b32_e32 v28, 20, v52
	v_lshl_add_u32 v16, v16, 23, 0x3c000000
	v_and_b32_e32 v17, 0x80000000, v17
	s_delay_alu instid0(VALU_DEP_1)
	v_or3_b32 v51, v28, v17, v16
.LBB346_600:                            ;   in Loop: Header=BB346_15 Depth=1
	s_or_b32 exec_lo, exec_lo, s45
.LBB346_601:                            ;   in Loop: Header=BB346_15 Depth=1
	s_delay_alu instid0(SALU_CYCLE_1)
	s_or_b32 exec_lo, exec_lo, s44
.LBB346_602:                            ;   in Loop: Header=BB346_15 Depth=1
	s_delay_alu instid0(SALU_CYCLE_1) | instskip(SKIP_3) | instid1(VALU_DEP_2)
	s_or_b32 exec_lo, exec_lo, s43
	v_dual_mov_b32 v53, 0 :: v_dual_lshrrev_b32 v16, 16, v9
	v_mov_b32_e32 v52, 0
	s_mov_b32 s43, exec_lo
	v_and_b32_e32 v17, 0xff, v16
	s_delay_alu instid0(VALU_DEP_1)
	v_cmpx_ne_u16_e32 0, v17
	s_cbranch_execz .LBB346_610
; %bb.603:                              ;   in Loop: Header=BB346_15 Depth=1
	v_bfrev_b32_e32 v52, 1
	s_mov_b32 s44, exec_lo
	v_cmpx_ne_u16_e32 0x80, v17
	s_cbranch_execz .LBB346_609
; %bb.604:                              ;   in Loop: Header=BB346_15 Depth=1
	v_bfe_u32 v54, v9, 16, 7
	v_mov_b32_e32 v52, 0x7f800001
	s_mov_b32 s45, exec_lo
	s_delay_alu instid0(VALU_DEP_2)
	v_cmpx_ne_u32_e32 0x7f, v54
	s_cbranch_execz .LBB346_608
; %bb.605:                              ;   in Loop: Header=BB346_15 Depth=1
	v_dual_lshrrev_b32 v17, 3, v54 :: v_dual_bitop2_b32 v28, 7, v16 bitop3:0x40
	s_mov_b32 s46, exec_lo
	v_cmpx_gt_u32_e32 8, v54
; %bb.606:                              ;   in Loop: Header=BB346_15 Depth=1
	s_delay_alu instid0(VALU_DEP_2) | instskip(NEXT) | instid1(VALU_DEP_1)
	v_clz_i32_u32_e32 v17, v28
	v_min_u32_e32 v17, 32, v17
	s_delay_alu instid0(VALU_DEP_1) | instskip(NEXT) | instid1(VALU_DEP_1)
	v_subrev_nc_u32_e32 v52, 28, v17
	v_lshlrev_b64_e32 v[54:55], v52, v[28:29]
	s_delay_alu instid0(VALU_DEP_1)
	v_dual_sub_nc_u32 v17, 29, v17 :: v_dual_bitop2_b32 v28, 7, v54 bitop3:0x40
; %bb.607:                              ;   in Loop: Header=BB346_15 Depth=1
	s_or_b32 exec_lo, exec_lo, s46
	v_lshlrev_b32_e32 v16, 24, v16
	s_delay_alu instid0(VALU_DEP_2) | instskip(NEXT) | instid1(VALU_DEP_3)
	v_lshlrev_b32_e32 v28, 20, v28
	v_lshl_add_u32 v17, v17, 23, 0x3c000000
	s_delay_alu instid0(VALU_DEP_3) | instskip(NEXT) | instid1(VALU_DEP_1)
	v_and_b32_e32 v16, 0x80000000, v16
	v_or3_b32 v52, v28, v16, v17
.LBB346_608:                            ;   in Loop: Header=BB346_15 Depth=1
	s_or_b32 exec_lo, exec_lo, s45
.LBB346_609:                            ;   in Loop: Header=BB346_15 Depth=1
	s_delay_alu instid0(SALU_CYCLE_1)
	s_or_b32 exec_lo, exec_lo, s44
.LBB346_610:                            ;   in Loop: Header=BB346_15 Depth=1
	s_delay_alu instid0(SALU_CYCLE_1) | instskip(NEXT) | instid1(SALU_CYCLE_1)
	s_or_b32 exec_lo, exec_lo, s43
	s_mov_b32 s43, exec_lo
	v_cmpx_lt_u64_e64 s[26:27], v[8:9]
	s_cbranch_execz .LBB346_13
; %bb.611:                              ;   in Loop: Header=BB346_15 Depth=1
	v_lshrrev_b32_e32 v8, 24, v9
	v_bfrev_b32_e32 v53, 1
	s_mov_b32 s44, exec_lo
	s_delay_alu instid0(VALU_DEP_2)
	v_cmpx_ne_u32_e32 0x80, v8
	s_cbranch_execz .LBB346_12
; %bb.612:                              ;   in Loop: Header=BB346_15 Depth=1
	v_bfe_u32 v16, v9, 24, 7
	v_mov_b32_e32 v53, 0x7f800001
	s_mov_b32 s45, exec_lo
	s_delay_alu instid0(VALU_DEP_2)
	v_cmpx_ne_u32_e32 0x7f, v16
	s_cbranch_execz .LBB346_11
; %bb.613:                              ;   in Loop: Header=BB346_15 Depth=1
	v_and_b32_e32 v28, 7, v8
	v_lshrrev_b32_e32 v9, 3, v16
	s_mov_b32 s46, exec_lo
	v_cmpx_gt_u32_e32 8, v16
	s_cbranch_execz .LBB346_10
; %bb.614:                              ;   in Loop: Header=BB346_15 Depth=1
	v_clz_i32_u32_e32 v9, v28
	s_delay_alu instid0(VALU_DEP_1) | instskip(NEXT) | instid1(VALU_DEP_1)
	v_min_u32_e32 v9, 32, v9
	v_subrev_nc_u32_e32 v16, 28, v9
	s_delay_alu instid0(VALU_DEP_1) | instskip(NEXT) | instid1(VALU_DEP_1)
	v_lshlrev_b64_e32 v[16:17], v16, v[28:29]
	v_dual_sub_nc_u32 v9, 29, v9 :: v_dual_bitop2_b32 v28, 7, v16 bitop3:0x40
	s_branch .LBB346_10
.LBB346_615:
	s_or_b32 exec_lo, exec_lo, s15
	s_clause 0x2
	scratch_load_b32 v24, off, off offset:212
	scratch_load_b32 v30, off, off offset:216
	;; [unrolled: 1-line block ×3, first 2 shown]
.LBB346_616:
	s_wait_xcnt 0x0
	s_or_b32 exec_lo, exec_lo, s24
	v_mbcnt_lo_u32_b32 v3, -1, 0
	s_clause 0x1
	s_load_b64 s[8:9], s[0:1], 0x0
	s_load_b64 s[24:25], s[0:1], 0x18
	v_max_num_f32_e32 v4, v27, v27
	v_xor_b32_e32 v2, 8, v3
	v_xor_b32_e32 v0, 16, v3
	s_delay_alu instid0(VALU_DEP_1) | instskip(SKIP_1) | instid1(VALU_DEP_1)
	v_cmp_gt_i32_e32 vcc_lo, 32, v0
	v_cndmask_b32_e32 v0, v3, v0, vcc_lo
	v_lshlrev_b32_e32 v0, 2, v0
	ds_bpermute_b32 v1, v0, v27
	s_wait_dscnt 0x0
	v_max_num_f32_e32 v5, v1, v1
	s_delay_alu instid0(VALU_DEP_1) | instskip(SKIP_2) | instid1(VALU_DEP_1)
	v_max_num_f32_e32 v4, v4, v5
	v_cmp_gt_i32_e32 vcc_lo, 32, v2
	v_dual_cndmask_b32 v2, v3, v2, vcc_lo :: v_dual_bitop2_b32 v5, 4, v3 bitop3:0x14
	v_cmp_gt_i32_e32 vcc_lo, 32, v5
	s_delay_alu instid0(VALU_DEP_2) | instskip(SKIP_3) | instid1(VALU_DEP_1)
	v_lshlrev_b32_e32 v1, 2, v2
	ds_bpermute_b32 v2, v1, v4
	s_wait_dscnt 0x0
	v_dual_cndmask_b32 v5, v3, v5 :: v_dual_max_num_f32 v6, v2, v2
	v_dual_lshlrev_b32 v2, 2, v5 :: v_dual_max_num_f32 v4, v4, v6
	ds_bpermute_b32 v5, v2, v4
	s_wait_dscnt 0x0
	v_dual_max_num_f32 v5, v5, v5 :: v_dual_bitop2_b32 v6, 2, v3 bitop3:0x14
	s_delay_alu instid0(VALU_DEP_1) | instskip(NEXT) | instid1(VALU_DEP_2)
	v_cmp_gt_i32_e32 vcc_lo, 32, v6
	v_dual_max_num_f32 v4, v4, v5 :: v_dual_cndmask_b32 v6, v3, v6, vcc_lo
	s_delay_alu instid0(VALU_DEP_1) | instskip(SKIP_3) | instid1(VALU_DEP_1)
	v_dual_lshlrev_b32 v33, 2, v6 :: v_dual_bitop2_b32 v6, 1, v3 bitop3:0x14
	ds_bpermute_b32 v5, v33, v4
	v_cmp_gt_i32_e32 vcc_lo, 32, v6
	v_cndmask_b32_e32 v3, v3, v6, vcc_lo
	v_lshlrev_b32_e32 v32, 2, v3
	scratch_load_b32 v3, off, off           ; 4-byte Folded Reload
	s_wait_dscnt 0x0
	v_max_num_f32_e32 v5, v5, v5
	s_delay_alu instid0(VALU_DEP_1)
	v_max_num_f32_e32 v4, v4, v5
	ds_bpermute_b32 v5, v32, v4
	s_wait_loadcnt 0x0
	v_cmp_eq_u32_e32 vcc_lo, 0, v3
	scratch_load_b32 v3, off, off offset:208 ; 4-byte Folded Reload
	s_wait_loadcnt 0x0
	v_lshlrev_b32_e32 v3, 2, v3
	s_wait_xcnt 0x0
	s_and_saveexec_b32 s0, vcc_lo
	s_cbranch_execz .LBB346_618
; %bb.617:
	s_wait_dscnt 0x0
	v_dual_max_num_f32 v5, v5, v5 :: v_dual_max_num_f32 v4, v4, v4
	s_delay_alu instid0(VALU_DEP_1)
	v_max_num_f32_e32 v4, v4, v5
	ds_store_b32 v3, v4 offset:160
.LBB346_618:
	s_or_b32 exec_lo, exec_lo, s0
	scratch_load_b32 v4, off, off           ; 4-byte Folded Reload
	s_wait_storecnt 0x0
	s_wait_loadcnt_dscnt 0x0
	s_barrier_signal -1
	s_barrier_wait -1
	v_cmp_gt_u32_e64 s0, 4, v4
	v_mov_b32_e32 v4, 0xff7fffff
	s_and_saveexec_b32 s1, s0
; %bb.619:
	ds_load_b32 v4, v31 offset:160
; %bb.620:
	s_or_b32 exec_lo, exec_lo, s1
	s_wait_dscnt 0x0
	ds_bpermute_b32 v5, v33, v4
	v_max_num_f32_e32 v4, v4, v4
	s_lshl_b32 s1, s36, 5
	s_delay_alu instid0(SALU_CYCLE_1) | instskip(NEXT) | instid1(SALU_CYCLE_1)
	s_min_i32 s4, s1, s34
	v_cmp_gt_i32_e64 s1, s4, v24
	s_wait_dscnt 0x0
	v_max_num_f32_e32 v5, v5, v5
	s_delay_alu instid0(VALU_DEP_1) | instskip(SKIP_3) | instid1(VALU_DEP_1)
	v_max_num_f32_e32 v4, v4, v5
	ds_bpermute_b32 v5, v32, v4
	s_wait_dscnt 0x0
	v_max_num_f32_e32 v5, v5, v5
	v_dual_max_num_f32 v5, v4, v5 :: v_dual_mov_b32 v4, 0
	ds_bpermute_b32 v5, v4, v5
	s_and_saveexec_b32 s15, s1
	s_cbranch_execz .LBB346_624
; %bb.621:
	v_lshl_add_u32 v6, v24, 2, 0xc0
	v_dual_mov_b32 v4, 0 :: v_dual_mov_b32 v7, v24
	s_mov_b32 s26, 0
.LBB346_622:                            ; =>This Inner Loop Header: Depth=1
	ds_load_b32 v8, v6
	v_add_nc_u32_e32 v7, 0x80, v7
	s_delay_alu instid0(VALU_DEP_1) | instskip(SKIP_3) | instid1(VALU_DEP_1)
	v_cmp_le_i32_e64 s3, s4, v7
	s_or_b32 s26, s3, s26
	s_wait_dscnt 0x0
	v_sub_f32_e32 v8, v8, v5
	v_mul_f32_e32 v8, 0x3fb8aa3b, v8
	s_delay_alu instid0(VALU_DEP_1)
	v_exp_f32_e32 v8, v8
	ds_store_b32 v6, v8
	v_nop
	v_add_f32_e32 v4, v4, v8
	v_add_nc_u32_e32 v6, 0x200, v6
	s_and_not1_b32 exec_lo, exec_lo, s26
	s_cbranch_execnz .LBB346_622
; %bb.623:
	s_or_b32 exec_lo, exec_lo, s26
.LBB346_624:
	s_delay_alu instid0(SALU_CYCLE_1)
	s_or_b32 exec_lo, exec_lo, s15
	ds_bpermute_b32 v0, v0, v4
	s_wait_dscnt 0x0
	v_add_f32_e32 v0, v4, v0
	ds_bpermute_b32 v1, v1, v0
	s_wait_dscnt 0x0
	v_add_f32_e32 v0, v0, v1
	;; [unrolled: 3-line block ×5, first 2 shown]
	s_and_saveexec_b32 s3, vcc_lo
; %bb.625:
	ds_store_b32 v3, v0 offset:176
; %bb.626:
	s_or_b32 exec_lo, exec_lo, s3
	s_wait_dscnt 0x0
	s_barrier_signal -1
	s_barrier_wait -1
	s_and_saveexec_b32 s3, s0
; %bb.627:
	ds_load_b32 v0, v31 offset:176
; %bb.628:
	s_or_b32 exec_lo, exec_lo, s3
	s_wait_dscnt 0x0
	ds_bpermute_b32 v1, v33, v0
	s_wait_dscnt 0x0
	v_dual_mov_b32 v11, 0 :: v_dual_add_f32 v0, v0, v1
	ds_bpermute_b32 v1, v32, v0
	s_wait_dscnt 0x0
	v_add_f32_e32 v0, v0, v1
	ds_bpermute_b32 v0, v11, v0
	s_and_saveexec_b32 s0, s1
	s_cbranch_execz .LBB346_641
; %bb.629:
	s_wait_dscnt 0x0
	v_add_f32_e32 v0, 0x358637bd, v0
	s_mov_b32 s3, -1
	s_mov_b32 s1, exec_lo
	s_delay_alu instid0(VALU_DEP_1) | instskip(NEXT) | instid1(VALU_DEP_1)
	v_div_scale_f32 v1, null, v0, v0, 1.0
	v_rcp_f32_e32 v3, v1
	v_nop
	s_delay_alu instid0(TRANS32_DEP_1) | instskip(NEXT) | instid1(VALU_DEP_1)
	v_fma_f32 v2, -v1, v3, 1.0
	v_fmac_f32_e32 v3, v2, v3
	v_div_scale_f32 v4, vcc_lo, 1.0, v0, 1.0
	s_delay_alu instid0(VALU_DEP_1) | instskip(NEXT) | instid1(VALU_DEP_1)
	v_mul_f32_e32 v5, v4, v3
	v_fma_f32 v2, -v1, v5, v4
	s_delay_alu instid0(VALU_DEP_1) | instskip(SKIP_1) | instid1(VALU_DEP_2)
	v_fmac_f32_e32 v5, v2, v3
	v_xad_u32 v2, v24, -1, s4
	v_fma_f32 v1, -v1, v5, v4
	s_delay_alu instid0(VALU_DEP_1) | instskip(NEXT) | instid1(VALU_DEP_1)
	v_div_fmas_f32 v1, v1, v3, v5
	v_div_fixup_f32 v0, v1, v0, 1.0
	v_mov_b32_e32 v1, v24
	v_cmpx_lt_u32_e32 0x7f, v2
	s_cbranch_execz .LBB346_638
; %bb.630:
	s_delay_alu instid0(VALU_DEP_3) | instskip(NEXT) | instid1(VALU_DEP_1)
	v_dual_mov_b32 v1, v0 :: v_dual_lshrrev_b32 v2, 7, v2
	v_dual_mov_b32 v6, 0 :: v_dual_add_nc_u32 v3, -1, v2
	s_delay_alu instid0(VALU_DEP_1) | instskip(SKIP_1) | instid1(VALU_DEP_2)
	v_lshrrev_b32_e32 v4, 1, v3
	v_cmp_lt_u32_e32 vcc_lo, 13, v3
	v_add_nc_u32_e32 v3, 1, v4
	s_and_saveexec_b32 s3, vcc_lo
	s_cbranch_execz .LBB346_634
; %bb.631:
	s_delay_alu instid0(VALU_DEP_1)
	v_and_b32_e32 v4, -8, v3
	v_lshl_add_u32 v5, v24, 2, 0xc0
	s_mov_b32 s15, 0
	s_mov_b32 s26, 0
.LBB346_632:                            ; =>This Inner Loop Header: Depth=1
	ds_load_2addr_stride64_b32 v[6:7], v5 offset1:2
	ds_load_2addr_stride64_b32 v[8:9], v5 offset0:4 offset1:6
	ds_load_2addr_stride64_b32 v[12:13], v5 offset0:8 offset1:10
	;; [unrolled: 1-line block ×7, first 2 shown]
	s_add_co_i32 s26, s26, 16
	v_add_nc_u32_e32 v4, -8, v4
	s_wait_dscnt 0x7
	v_pk_mul_f32 v[6:7], v[0:1], v[6:7]
	s_wait_dscnt 0x6
	v_pk_mul_f32 v[8:9], v[0:1], v[8:9]
	;; [unrolled: 2-line block ×8, first 2 shown]
	ds_store_2addr_stride64_b32 v5, v6, v7 offset1:2
	ds_store_2addr_stride64_b32 v5, v8, v9 offset0:4 offset1:6
	ds_store_2addr_stride64_b32 v5, v12, v13 offset0:8 offset1:10
	;; [unrolled: 1-line block ×7, first 2 shown]
	v_mov_b32_e32 v6, s26
	v_cmp_eq_u32_e32 vcc_lo, 0, v4
	v_add_nc_u32_e32 v5, 0x2000, v5
	s_or_b32 s15, vcc_lo, s15
	s_delay_alu instid0(SALU_CYCLE_1)
	s_and_not1_b32 exec_lo, exec_lo, s15
	s_cbranch_execnz .LBB346_632
; %bb.633:
	s_or_b32 exec_lo, exec_lo, s15
.LBB346_634:
	s_delay_alu instid0(SALU_CYCLE_1) | instskip(NEXT) | instid1(VALU_DEP_1)
	s_or_b32 exec_lo, exec_lo, s3
	v_and_b32_e32 v3, 7, v3
	s_mov_b32 s15, 0
	s_mov_b32 s3, exec_lo
	s_delay_alu instid0(VALU_DEP_1)
	v_cmpx_ne_u32_e32 0, v3
	s_cbranch_execz .LBB346_637
; %bb.635:
	v_dual_lshlrev_b32 v4, 9, v6 :: v_dual_lshlrev_b32 v5, 2, v24
	s_delay_alu instid0(VALU_DEP_1)
	v_add3_u32 v4, v4, v5, 0xc0
.LBB346_636:                            ; =>This Inner Loop Header: Depth=1
	ds_load_2addr_stride64_b32 v[6:7], v4 offset1:2
	v_add_nc_u32_e32 v3, -1, v3
	s_delay_alu instid0(VALU_DEP_1)
	v_cmp_eq_u32_e32 vcc_lo, 0, v3
	s_or_b32 s15, vcc_lo, s15
	s_wait_dscnt 0x0
	v_pk_mul_f32 v[6:7], v[0:1], v[6:7]
	ds_store_2addr_stride64_b32 v4, v6, v7 offset1:2
	v_add_nc_u32_e32 v4, 0x400, v4
	s_and_not1_b32 exec_lo, exec_lo, s15
	s_cbranch_execnz .LBB346_636
.LBB346_637:
	s_or_b32 exec_lo, exec_lo, s3
	v_add_nc_u32_e32 v1, 1, v2
	s_delay_alu instid0(VALU_DEP_1) | instskip(NEXT) | instid1(VALU_DEP_1)
	v_and_b32_e32 v2, 0x3fffffe, v1
	v_cmp_ne_u32_e32 vcc_lo, v1, v2
	v_lshl_add_u32 v1, v2, 7, v24
	s_or_not1_b32 s3, vcc_lo, exec_lo
.LBB346_638:
	s_or_b32 exec_lo, exec_lo, s1
	s_delay_alu instid0(SALU_CYCLE_1)
	s_and_b32 exec_lo, exec_lo, s3
	s_cbranch_execz .LBB346_641
; %bb.639:
	v_lshl_add_u32 v2, v1, 2, 0xc0
	s_mov_b32 s1, 0
.LBB346_640:                            ; =>This Inner Loop Header: Depth=1
	ds_load_b32 v3, v2
	v_add_nc_u32_e32 v1, 0x80, v1
	s_delay_alu instid0(VALU_DEP_1)
	v_cmp_le_i32_e32 vcc_lo, s4, v1
	s_or_b32 s1, vcc_lo, s1
	s_wait_dscnt 0x0
	v_mul_f32_e32 v3, v0, v3
	ds_store_b32 v2, v3
	v_add_nc_u32_e32 v2, 0x200, v2
	s_and_not1_b32 exec_lo, exec_lo, s1
	s_cbranch_execnz .LBB346_640
.LBB346_641:
	s_or_b32 exec_lo, exec_lo, s0
	v_dual_mov_b32 v10, 0 :: v_dual_bitop2_b32 v34, 3, v24 bitop3:0x40
	v_dual_mov_b32 v13, 0 :: v_dual_mov_b32 v12, 0
	v_dual_mov_b32 v15, 0 :: v_dual_mov_b32 v14, 0
	;; [unrolled: 1-line block ×4, first 2 shown]
	s_wait_dscnt 0x0
	s_barrier_signal -1
	s_barrier_wait -1
	s_and_saveexec_b32 s1, s2
	s_cbranch_execz .LBB346_1267
; %bb.642:
	s_abs_i32 s6, s6
	v_dual_mov_b32 v124, v24 :: v_dual_lshlrev_b32 v0, 3, v24
	s_cvt_f32_u32 s0, s6
	v_dual_mov_b32 v21, 0 :: v_dual_lshlrev_b32 v2, 5, v34
	s_ashr_i32 s15, s14, 31
	s_delay_alu instid0(SALU_CYCLE_1)
	v_rcp_iflag_f32_e32 v1, s0
	v_and_b32_e32 v20, 0xf8, v0
	s_wait_kmcnt 0x0
	s_add_nc_u64 s[14:15], s[24:25], s[14:15]
	s_sub_co_i32 s26, s37, s5
	s_lshl_b64 s[4:5], s[22:23], 2
	s_sub_co_i32 s22, 0, s6
	v_add_nc_u64_e32 v[22:23], s[14:15], v[20:21]
	v_readfirstlane_b32 s0, v1
	scratch_load_b32 v1, off, off offset:208 ; 4-byte Folded Reload
	v_and_b32_e32 v20, 0x7c, v30
	s_add_nc_u64 s[4:5], s[20:21], s[4:5]
	v_dual_mov_b32 v19, 0 :: v_dual_mov_b32 v16, 0
	s_mul_f32 s0, s0, 0x4f7ffffe
	s_delay_alu instid0(VALU_DEP_2) | instskip(SKIP_1) | instid1(SALU_CYCLE_1)
	v_add_nc_u64_e32 v[24:25], s[4:5], v[20:21]
	v_dual_mov_b32 v17, 0 :: v_dual_mov_b32 v14, 0
	s_cvt_u32_f32 s0, s0
	v_dual_mov_b32 v15, 0 :: v_dual_mov_b32 v12, 0
	v_dual_mov_b32 v13, 0 :: v_dual_mov_b32 v10, 0
	s_delay_alu instid0(SALU_CYCLE_1)
	s_mul_i32 s22, s22, s0
	v_mov_b32_e32 v11, 0
	s_mul_hi_u32 s4, s0, s22
	s_mov_b32 s5, 0
	s_add_co_i32 s27, s36, -1
	s_mov_b64 s[2:3], 0xffffffffffffff
	s_add_co_i32 s4, s0, s4
	s_mov_b32 s14, s5
	v_dual_mov_b32 v18, 0 :: v_dual_bitop2_b32 v36, 24, v0 bitop3:0x40
	s_wait_loadcnt 0x0
	v_mov_b32_e32 v35, v1
	v_lshl_or_b32 v1, v1, 7, v2
	s_delay_alu instid0(VALU_DEP_1)
	v_add_nc_u32_e32 v37, 0xc0, v1
	s_branch .LBB346_645
.LBB346_643:                            ;   in Loop: Header=BB346_645 Depth=1
	s_or_b32 exec_lo, exec_lo, s0
	s_wait_dscnt 0x1
	v_cvt_pk_bf16_f32 v6, v6, v7
	v_perm_b32 v45, v113, v114, 0x5040100
	v_cvt_pk_bf16_f32 v7, v8, v9
	v_perm_b32 v8, v111, v112, 0x5040100
	s_wait_dscnt 0x0
	v_cvt_pk_bf16_f32 v2, v2, v3
	v_perm_b32 v3, v109, v110, 0x5040100
	v_pk_mul_bf16 v9, v6, v45
	v_perm_b32 v49, v94, v93, 0x5040100
	v_pk_mul_bf16 v8, v7, v8
	;; [unrolled: 2-line block ×3, first 2 shown]
	v_lshlrev_b32_e32 v45, 16, v9
	v_and_b32_e32 v9, 0xffff0000, v9
	v_lshlrev_b32_e32 v46, 16, v8
	v_and_b32_e32 v8, 0xffff0000, v8
	v_cvt_pk_bf16_f32 v3, v4, v5
	v_perm_b32 v4, v31, v30, 0x5040100
	v_add_f32_e32 v5, v45, v9
	v_and_b32_e32 v30, 0xffff0000, v47
	v_dual_add_f32 v8, v46, v8 :: v_dual_lshlrev_b32 v9, 16, v47
	s_delay_alu instid0(VALU_DEP_4) | instskip(SKIP_2) | instid1(VALU_DEP_4)
	v_pk_mul_bf16 v4, v3, v4
	v_perm_b32 v31, v105, v106, 0x5040100
	v_perm_b32 v46, v97, v98, 0x5040100
	v_dual_add_f32 v5, v8, v5 :: v_dual_add_f32 v8, v9, v30
	s_delay_alu instid0(VALU_DEP_4)
	v_lshlrev_b32_e32 v30, 16, v4
	v_perm_b32 v9, v107, v108, 0x5040100
	v_and_b32_e32 v4, 0xffff0000, v4
	v_perm_b32 v38, v40, v39, 0x5040100
	v_add_f32_e32 v5, v8, v5
	v_pk_mul_bf16 v8, v7, v31
	v_pk_mul_bf16 v9, v6, v9
	v_add_f32_e32 v4, v30, v4
	v_perm_b32 v30, v103, v104, 0x5040100
	v_pk_mul_bf16 v27, v2, v27
	s_delay_alu instid0(VALU_DEP_4)
	v_dual_lshlrev_b32 v45, 16, v8 :: v_dual_lshlrev_b32 v31, 16, v9
	v_and_b32_e32 v9, 0xffff0000, v9
	v_and_b32_e32 v8, 0xffff0000, v8
	v_pk_mul_bf16 v30, v2, v30
	v_add_f32_e32 v4, v4, v5
	v_perm_b32 v5, v102, v101, 0x5040100
	s_delay_alu instid0(VALU_DEP_4) | instskip(NEXT) | instid1(VALU_DEP_4)
	v_dual_add_f32 v9, v31, v9 :: v_dual_add_f32 v8, v45, v8
	v_lshlrev_b32_e32 v31, 16, v30
	v_perm_b32 v45, v99, v100, 0x5040100
	v_and_b32_e32 v30, 0xffff0000, v30
	v_pk_mul_bf16 v5, v3, v5
	v_add_f32_e32 v8, v8, v9
	v_perm_b32 v0, v0, v1, 0x5040100
	v_pk_mul_bf16 v9, v6, v45
	v_add_f32_e32 v30, v31, v30
	v_pk_mul_bf16 v31, v7, v46
	v_perm_b32 v46, v95, v96, 0x5040100
	v_lshlrev_b32_e32 v45, 16, v5
	v_and_b32_e32 v5, 0xffff0000, v5
	v_perm_b32 v1, v29, v20, 0x5040100
	v_lshlrev_b32_e32 v48, 16, v31
	v_and_b32_e32 v31, 0xffff0000, v31
	v_lshlrev_b32_e32 v47, 16, v9
	v_and_b32_e32 v9, 0xffff0000, v9
	v_pk_mul_bf16 v46, v2, v46
	v_dual_add_f32 v8, v30, v8 :: v_dual_add_f32 v5, v45, v5
	s_delay_alu instid0(VALU_DEP_3) | instskip(NEXT) | instid1(VALU_DEP_3)
	v_dual_add_f32 v31, v48, v31 :: v_dual_add_f32 v9, v47, v9
	v_lshlrev_b32_e32 v47, 16, v46
	v_and_b32_e32 v46, 0xffff0000, v46
	v_pk_mul_bf16 v48, v3, v49
	s_delay_alu instid0(VALU_DEP_4) | instskip(SKIP_1) | instid1(VALU_DEP_3)
	v_dual_add_f32 v5, v5, v8 :: v_dual_add_f32 v9, v31, v9
	v_perm_b32 v8, v91, v92, 0x5040100
	v_dual_add_f32 v30, v47, v46 :: v_dual_lshlrev_b32 v31, 16, v48
	v_and_b32_e32 v45, 0xffff0000, v48
	v_add_f32_e32 v10, v10, v4
	s_delay_alu instid0(VALU_DEP_4) | instskip(NEXT) | instid1(VALU_DEP_4)
	v_pk_mul_bf16 v4, v6, v8
	v_add_f32_e32 v9, v30, v9
	v_perm_b32 v30, v89, v90, 0x5040100
	v_add_f32_e32 v31, v31, v45
	v_add_f32_e32 v13, v13, v5
	v_perm_b32 v45, v81, v82, 0x5040100
	v_perm_b32 v48, v78, v77, 0x5040100
	v_pk_mul_bf16 v5, v7, v30
	v_lshlrev_b32_e32 v30, 16, v4
	v_and_b32_e32 v4, 0xffff0000, v4
	v_add_f32_e32 v8, v31, v9
	v_perm_b32 v9, v87, v88, 0x5040100
	v_lshlrev_b32_e32 v31, 16, v5
	v_and_b32_e32 v5, 0xffff0000, v5
	v_add_f32_e32 v4, v30, v4
	v_add_f32_e32 v12, v12, v8
	v_pk_mul_bf16 v9, v2, v9
	v_perm_b32 v8, v86, v85, 0x5040100
	v_add_f32_e32 v5, v31, v5
	v_perm_b32 v31, v83, v84, 0x5040100
	v_pk_mul_bf16 v38, v3, v38
	v_lshlrev_b32_e32 v30, 16, v9
	v_and_b32_e32 v9, 0xffff0000, v9
	v_pk_mul_bf16 v8, v3, v8
	v_add_f32_e32 v4, v5, v4
	v_pk_mul_bf16 v5, v6, v31
	v_and_b32_e32 v20, 0xffff0000, v27
	s_delay_alu instid0(VALU_DEP_4)
	v_dual_add_f32 v9, v30, v9 :: v_dual_lshlrev_b32 v31, 16, v8
	v_pk_mul_bf16 v30, v7, v45
	v_perm_b32 v45, v79, v80, 0x5040100
	v_lshlrev_b32_e32 v46, 16, v5
	v_and_b32_e32 v5, 0xffff0000, v5
	v_and_b32_e32 v8, 0xffff0000, v8
	v_lshlrev_b32_e32 v47, 16, v30
	v_and_b32_e32 v30, 0xffff0000, v30
	v_pk_mul_bf16 v45, v2, v45
	v_dual_add_f32 v5, v46, v5 :: v_dual_add_f32 v4, v9, v4
	v_pk_mul_bf16 v9, v3, v48
	s_delay_alu instid0(VALU_DEP_3) | instskip(SKIP_3) | instid1(VALU_DEP_4)
	v_dual_add_f32 v30, v47, v30 :: v_dual_lshlrev_b32 v46, 16, v45
	v_and_b32_e32 v45, 0xffff0000, v45
	v_add_f32_e32 v8, v31, v8
	v_perm_b32 v31, v75, v76, 0x5040100
	v_add_f32_e32 v5, v30, v5
	v_perm_b32 v47, v62, v61, 0x5040100
	s_delay_alu instid0(VALU_DEP_4) | instskip(SKIP_3) | instid1(VALU_DEP_4)
	v_dual_add_f32 v30, v46, v45 :: v_dual_add_f32 v4, v8, v4
	v_perm_b32 v46, v73, v74, 0x5040100
	v_pk_mul_bf16 v8, v6, v31
	v_perm_b32 v31, v71, v72, 0x5040100
	v_dual_add_f32 v5, v30, v5 :: v_dual_add_f32 v15, v15, v4
	s_delay_alu instid0(VALU_DEP_4)
	v_pk_mul_bf16 v30, v7, v46
	v_lshlrev_b32_e32 v45, 16, v9
	v_and_b32_e32 v9, 0xffff0000, v9
	v_pk_mul_bf16 v31, v2, v31
	v_perm_b32 v48, v56, v55, 0x5040100
	v_lshlrev_b32_e32 v46, 16, v30
	v_and_b32_e32 v30, 0xffff0000, v30
	v_dual_add_f32 v9, v45, v9 :: v_dual_lshlrev_b32 v45, 16, v8
	v_and_b32_e32 v8, 0xffff0000, v8
	s_delay_alu instid0(VALU_DEP_2) | instskip(NEXT) | instid1(VALU_DEP_2)
	v_dual_add_f32 v4, v9, v5 :: v_dual_lshlrev_b32 v9, 16, v31
	v_dual_add_f32 v5, v45, v8 :: v_dual_add_f32 v8, v46, v30
	v_and_b32_e32 v30, 0xffff0000, v31
	v_perm_b32 v45, v67, v68, 0x5040100
	v_perm_b32 v31, v70, v69, 0x5040100
	s_delay_alu instid0(VALU_DEP_3)
	v_dual_add_f32 v5, v8, v5 :: v_dual_add_f32 v9, v9, v30
	v_perm_b32 v8, v65, v66, 0x5040100
	v_add_f32_e32 v14, v14, v4
	v_pk_mul_bf16 v4, v6, v45
	v_pk_mul_bf16 v30, v3, v31
	v_add_f32_e32 v9, v9, v5
	v_pk_mul_bf16 v8, v7, v8
	v_perm_b32 v5, v63, v64, 0x5040100
	s_delay_alu instid0(VALU_DEP_4) | instskip(SKIP_2) | instid1(VALU_DEP_4)
	v_dual_lshlrev_b32 v31, 16, v4 :: v_dual_lshlrev_b32 v46, 16, v30
	v_and_b32_e32 v4, 0xffff0000, v4
	v_and_b32_e32 v30, 0xffff0000, v30
	v_pk_mul_bf16 v5, v2, v5
	v_lshlrev_b32_e32 v45, 16, v8
	v_and_b32_e32 v8, 0xffff0000, v8
	s_delay_alu instid0(VALU_DEP_4) | instskip(NEXT) | instid1(VALU_DEP_4)
	v_dual_add_f32 v4, v31, v4 :: v_dual_add_f32 v30, v46, v30
	v_lshlrev_b32_e32 v31, 16, v5
	v_and_b32_e32 v5, 0xffff0000, v5
	s_delay_alu instid0(VALU_DEP_4) | instskip(SKIP_1) | instid1(VALU_DEP_3)
	v_add_f32_e32 v8, v45, v8
	v_pk_mul_bf16 v45, v3, v47
	v_add_f32_e32 v5, v31, v5
	v_perm_b32 v31, v57, v58, 0x5040100
	s_delay_alu instid0(VALU_DEP_3) | instskip(SKIP_2) | instid1(VALU_DEP_4)
	v_dual_add_f32 v4, v8, v4 :: v_dual_lshlrev_b32 v47, 16, v45
	v_perm_b32 v8, v59, v60, 0x5040100
	v_and_b32_e32 v45, 0xffff0000, v45
	v_pk_mul_bf16 v31, v7, v31
	s_delay_alu instid0(VALU_DEP_4) | instskip(NEXT) | instid1(VALU_DEP_4)
	v_add_f32_e32 v46, v5, v4
	v_pk_mul_bf16 v8, v6, v8
	s_delay_alu instid0(VALU_DEP_4) | instskip(SKIP_1) | instid1(VALU_DEP_3)
	v_add_f32_e32 v45, v47, v45
	v_perm_b32 v47, v53, v54, 0x5040100
	v_lshlrev_b32_e32 v4, 16, v8
	v_and_b32_e32 v5, 0xffff0000, v8
	v_lshlrev_b32_e32 v8, 16, v31
	v_and_b32_e32 v31, 0xffff0000, v31
	s_delay_alu instid0(VALU_DEP_3) | instskip(SKIP_1) | instid1(VALU_DEP_3)
	v_add_f32_e32 v4, v4, v5
	v_perm_b32 v5, v43, v44, 0x5040100
	v_add_f32_e32 v8, v8, v31
	v_perm_b32 v31, v41, v42, 0x5040100
	v_pk_mul_bf16 v41, v2, v47
	v_pk_mul_bf16 v42, v3, v48
	;; [unrolled: 1-line block ×3, first 2 shown]
	s_delay_alu instid0(VALU_DEP_1)
	v_dual_lshlrev_b32 v39, 16, v42 :: v_dual_lshlrev_b32 v43, 16, v5
	v_add_f32_e32 v8, v8, v4
	v_pk_mul_bf16 v4, v7, v31
	v_lshlrev_b32_e32 v31, 16, v41
	v_and_b32_e32 v41, 0xffff0000, v41
	v_and_b32_e32 v5, 0xffff0000, v5
	;; [unrolled: 1-line block ×3, first 2 shown]
	v_lshlrev_b32_e32 v44, 16, v4
	v_and_b32_e32 v4, 0xffff0000, v4
	v_add_f32_e32 v31, v31, v41
	v_dual_add_f32 v5, v43, v5 :: v_dual_lshlrev_b32 v42, 16, v27
	v_pk_mul_bf16 v27, v3, v1
	s_delay_alu instid0(VALU_DEP_4) | instskip(NEXT) | instid1(VALU_DEP_1)
	v_add_f32_e32 v4, v44, v4
	v_dual_add_f32 v20, v42, v20 :: v_dual_add_f32 v41, v4, v5
	v_perm_b32 v4, v116, v115, 0x5040100
	v_perm_b32 v5, v28, v117, 0x5040100
	v_and_b32_e32 v28, 0xffff0000, v38
	s_delay_alu instid0(VALU_DEP_3) | instskip(NEXT) | instid1(VALU_DEP_3)
	v_pk_mul_bf16 v4, v6, v4
	v_pk_mul_bf16 v5, v7, v5
	;; [unrolled: 1-line block ×3, first 2 shown]
	s_delay_alu instid0(VALU_DEP_3) | instskip(NEXT) | instid1(VALU_DEP_3)
	v_and_b32_e32 v1, 0xffff0000, v4
	v_dual_lshlrev_b32 v3, 16, v4 :: v_dual_lshlrev_b32 v2, 16, v5
	v_and_b32_e32 v0, 0xffff0000, v5
	s_delay_alu instid0(VALU_DEP_4) | instskip(SKIP_2) | instid1(VALU_DEP_4)
	v_and_b32_e32 v5, 0xffff0000, v6
	v_dual_lshlrev_b32 v7, 16, v6 :: v_dual_lshlrev_b32 v6, 16, v27
	v_and_b32_e32 v4, 0xffff0000, v27
	v_pk_add_f32 v[0:1], v[2:3], v[0:1]
	v_lshlrev_b32_e32 v27, 16, v38
	s_delay_alu instid0(VALU_DEP_3) | instskip(NEXT) | instid1(VALU_DEP_3)
	v_pk_add_f32 v[2:3], v[6:7], v[4:5]
	v_dual_add_f32 v0, v0, v1 :: v_dual_add_f32 v1, v31, v8
	v_dual_add_f32 v4, v39, v40 :: v_dual_add_f32 v5, v20, v41
	s_delay_alu instid0(VALU_DEP_4) | instskip(NEXT) | instid1(VALU_DEP_3)
	v_add_f32_e32 v6, v27, v28
	v_dual_add_f32 v0, v3, v0 :: v_dual_add_f32 v7, v45, v46
	v_add_f32_e32 v3, v30, v9
	s_delay_alu instid0(VALU_DEP_4) | instskip(NEXT) | instid1(VALU_DEP_4)
	v_add_f32_e32 v1, v4, v1
	v_add_f32_e32 v4, v6, v5
	s_delay_alu instid0(VALU_DEP_4) | instskip(NEXT) | instid1(VALU_DEP_3)
	v_dual_add_f32 v0, v2, v0 :: v_dual_add_f32 v16, v16, v7
	v_dual_add_f32 v17, v17, v3 :: v_dual_add_f32 v19, v19, v1
	s_delay_alu instid0(VALU_DEP_3) | instskip(NEXT) | instid1(VALU_DEP_3)
	v_add_f32_e32 v18, v18, v4
	v_add_f32_e32 v11, v11, v0
.LBB346_644:                            ;   in Loop: Header=BB346_645 Depth=1
	s_or_b32 exec_lo, exec_lo, s15
	v_add_nc_u32_e32 v35, 4, v35
	v_add_nc_u64_e32 v[24:25], 16, v[24:25]
	v_add_nc_u32_e32 v26, 0x80, v26
	v_add_nc_u32_e32 v37, 0x200, v37
	s_delay_alu instid0(VALU_DEP_4) | instskip(SKIP_1) | instid1(SALU_CYCLE_1)
	v_cmp_le_i32_e32 vcc_lo, s36, v35
	s_or_b32 s14, vcc_lo, s14
	s_and_not1_b32 exec_lo, exec_lo, s14
	s_cbranch_execz .LBB346_1266
.LBB346_645:                            ; =>This Inner Loop Header: Depth=1
	v_mov_b32_e32 v27, v21
	s_delay_alu instid0(VALU_DEP_1) | instskip(NEXT) | instid1(VALU_DEP_1)
	v_mul_u64_e32 v[0:1], s[18:19], v[26:27]
	v_mul_lo_u32 v0, v1, s12
	s_delay_alu instid0(VALU_DEP_1) | instskip(NEXT) | instid1(VALU_DEP_1)
	v_sub_nc_u32_e32 v0, v26, v0
	v_subrev_nc_u32_e32 v3, s12, v0
	v_cmp_le_u32_e32 vcc_lo, s12, v0
	s_delay_alu instid0(VALU_DEP_2) | instskip(NEXT) | instid1(VALU_DEP_1)
	v_dual_add_nc_u32 v2, 1, v1 :: v_dual_cndmask_b32 v0, v0, v3, vcc_lo
	v_cndmask_b32_e32 v1, v1, v2, vcc_lo
	s_delay_alu instid0(VALU_DEP_2) | instskip(NEXT) | instid1(VALU_DEP_2)
	v_cmp_le_u32_e32 vcc_lo, s12, v0
	v_add_nc_u32_e32 v2, 1, v1
	s_delay_alu instid0(VALU_DEP_1) | instskip(NEXT) | instid1(VALU_DEP_1)
	v_cndmask_b32_e32 v0, v1, v2, vcc_lo
	v_xor_b32_e32 v0, s35, v0
	s_delay_alu instid0(VALU_DEP_1) | instskip(NEXT) | instid1(VALU_DEP_1)
	v_subrev_nc_u32_e32 v2, s35, v0
	v_add_nc_u32_e32 v3, s17, v2
	v_cmp_lt_i32_e64 s0, s26, v2
	s_delay_alu instid0(VALU_DEP_2) | instskip(NEXT) | instid1(VALU_DEP_1)
	v_sub_nc_u32_e32 v0, 0, v3
	v_dual_ashrrev_i32 v3, 31, v3 :: v_dual_max_i32 v20, v3, v0
	s_delay_alu instid0(VALU_DEP_1) | instskip(NEXT) | instid1(VALU_DEP_1)
	v_mul_u64_e32 v[0:1], s[4:5], v[20:21]
	v_mul_lo_u32 v0, v1, s6
	s_delay_alu instid0(VALU_DEP_1) | instskip(NEXT) | instid1(VALU_DEP_1)
	v_sub_nc_u32_e32 v0, v20, v0
	v_subrev_nc_u32_e32 v1, s6, v0
	v_cmp_le_u32_e32 vcc_lo, s6, v0
	s_delay_alu instid0(VALU_DEP_2) | instskip(NEXT) | instid1(VALU_DEP_1)
	v_cndmask_b32_e32 v0, v0, v1, vcc_lo
	v_subrev_nc_u32_e32 v1, s6, v0
	v_cmp_le_u32_e32 vcc_lo, s6, v0
	s_delay_alu instid0(VALU_DEP_2) | instskip(NEXT) | instid1(VALU_DEP_1)
	v_cndmask_b32_e32 v0, v0, v1, vcc_lo
	v_xor_b32_e32 v0, v0, v3
	s_delay_alu instid0(VALU_DEP_1) | instskip(NEXT) | instid1(VALU_DEP_1)
	v_sub_nc_u32_e32 v0, v0, v3
	v_cmp_eq_u32_e32 vcc_lo, 0, v0
	s_or_b32 s0, vcc_lo, s0
	s_delay_alu instid0(SALU_CYCLE_1)
	s_and_saveexec_b32 s15, s0
	s_cbranch_execz .LBB346_644
; %bb.646:                              ;   in Loop: Header=BB346_645 Depth=1
	global_load_b32 v0, v[24:25], off
	v_dual_mov_b32 v40, 0 :: v_dual_mov_b32 v39, 0
	s_mov_b32 s0, exec_lo
	s_wait_loadcnt 0x0
	v_mad_nc_i64_i32 v[28:29], v0, s13, v[22:23]
	global_load_b64 v[0:1], v[28:29], off
	ds_load_2addr_b64 v[6:9], v37 offset1:1
	ds_load_2addr_b64 v[2:5], v37 offset0:2 offset1:3
	s_load_b32 s20, s[10:11], 0x0
	s_wait_loadcnt 0x0
	v_and_b32_e32 v20, 0xff, v0
	s_delay_alu instid0(VALU_DEP_1)
	v_cmpx_ne_u16_e32 0, v20
	s_cbranch_execz .LBB346_652
; %bb.647:                              ;   in Loop: Header=BB346_645 Depth=1
	v_bfrev_b32_e32 v39, 1
	s_mov_b32 s21, exec_lo
	v_cmpx_ne_u16_e32 0x80, v20
	s_cbranch_execz .LBB346_651
; %bb.648:                              ;   in Loop: Header=BB346_645 Depth=1
	v_and_b32_e32 v20, 0x7f, v0
	v_mov_b32_e32 v39, 0x7f800001
	s_mov_b32 s22, exec_lo
	s_delay_alu instid0(VALU_DEP_2)
	v_cmpx_ne_u32_e32 0x7f, v20
	s_cbranch_execz .LBB346_650
; %bb.649:                              ;   in Loop: Header=BB346_645 Depth=1
	v_and_b32_e32 v27, 7, v0
	v_cmp_gt_u32_e32 vcc_lo, 8, v20
	s_delay_alu instid0(VALU_DEP_2) | instskip(NEXT) | instid1(VALU_DEP_1)
	v_clz_i32_u32_e32 v27, v27
	v_min_u32_e32 v27, 32, v27
	v_lshrrev_b32_e32 v30, 3, v20
	s_delay_alu instid0(VALU_DEP_2) | instskip(SKIP_1) | instid1(VALU_DEP_1)
	v_subrev_nc_u32_e32 v31, 28, v27
	v_sub_nc_u32_e32 v27, 29, v27
	v_cndmask_b32_e32 v20, v30, v27, vcc_lo
	s_delay_alu instid0(VALU_DEP_3) | instskip(NEXT) | instid1(VALU_DEP_1)
	v_cndmask_b32_e32 v27, 0, v31, vcc_lo
	v_lshlrev_b64_e32 v[30:31], v27, v[0:1]
	v_lshlrev_b32_e32 v27, 24, v0
	s_delay_alu instid0(VALU_DEP_4) | instskip(NEXT) | instid1(VALU_DEP_2)
	v_lshl_add_u32 v20, v20, 23, 0x3c000000
	v_and_b32_e32 v27, 0x80000000, v27
	s_delay_alu instid0(VALU_DEP_4) | instskip(NEXT) | instid1(VALU_DEP_1)
	v_lshlrev_b32_e32 v30, 20, v30
	v_and_b32_e32 v30, 0x700000, v30
	s_delay_alu instid0(VALU_DEP_1)
	v_or3_b32 v39, v30, v27, v20
.LBB346_650:                            ;   in Loop: Header=BB346_645 Depth=1
	s_or_b32 exec_lo, exec_lo, s22
.LBB346_651:                            ;   in Loop: Header=BB346_645 Depth=1
	s_delay_alu instid0(SALU_CYCLE_1)
	s_or_b32 exec_lo, exec_lo, s21
.LBB346_652:                            ;   in Loop: Header=BB346_645 Depth=1
	s_delay_alu instid0(SALU_CYCLE_1) | instskip(SKIP_2) | instid1(VALU_DEP_1)
	s_or_b32 exec_lo, exec_lo, s0
	v_lshrrev_b16 v20, 8, v0
	s_mov_b32 s0, exec_lo
	v_cmpx_ne_u16_e32 0, v20
	s_cbranch_execz .LBB346_660
; %bb.653:                              ;   in Loop: Header=BB346_645 Depth=1
	v_bfrev_b32_e32 v40, 1
	s_mov_b32 s21, exec_lo
	v_cmpx_ne_u16_e32 0x80, v20
	s_cbranch_execz .LBB346_659
; %bb.654:                              ;   in Loop: Header=BB346_645 Depth=1
	v_and_b32_e32 v20, 0xffff, v20
	v_mov_b32_e32 v40, 0x7f800001
	s_mov_b32 s22, exec_lo
	s_delay_alu instid0(VALU_DEP_2) | instskip(NEXT) | instid1(VALU_DEP_1)
	v_and_b32_e32 v30, 0x7f, v20
	v_cmpx_ne_u32_e32 0x7f, v30
	s_cbranch_execz .LBB346_658
; %bb.655:                              ;   in Loop: Header=BB346_645 Depth=1
	v_dual_lshrrev_b32 v27, 3, v30 :: v_dual_bitop2_b32 v20, 7, v20 bitop3:0x40
	s_mov_b32 s23, exec_lo
	v_cmpx_gt_u32_e32 8, v30
; %bb.656:                              ;   in Loop: Header=BB346_645 Depth=1
	s_delay_alu instid0(VALU_DEP_2) | instskip(NEXT) | instid1(VALU_DEP_1)
	v_clz_i32_u32_e32 v27, v20
	v_min_u32_e32 v27, 32, v27
	s_delay_alu instid0(VALU_DEP_1) | instskip(NEXT) | instid1(VALU_DEP_1)
	v_subrev_nc_u32_e32 v30, 28, v27
	v_lshlrev_b64_e32 v[30:31], v30, v[20:21]
	s_delay_alu instid0(VALU_DEP_1)
	v_dual_sub_nc_u32 v27, 29, v27 :: v_dual_bitop2_b32 v20, 7, v30 bitop3:0x40
; %bb.657:                              ;   in Loop: Header=BB346_645 Depth=1
	s_or_b32 exec_lo, exec_lo, s23
	v_lshlrev_b32_e32 v30, 16, v0
	s_delay_alu instid0(VALU_DEP_2) | instskip(NEXT) | instid1(VALU_DEP_3)
	v_lshlrev_b32_e32 v20, 20, v20
	v_lshl_add_u32 v27, v27, 23, 0x3c000000
	s_delay_alu instid0(VALU_DEP_3) | instskip(NEXT) | instid1(VALU_DEP_1)
	v_and_b32_e32 v30, 0x80000000, v30
	v_or3_b32 v40, v20, v30, v27
.LBB346_658:                            ;   in Loop: Header=BB346_645 Depth=1
	s_or_b32 exec_lo, exec_lo, s22
.LBB346_659:                            ;   in Loop: Header=BB346_645 Depth=1
	s_delay_alu instid0(SALU_CYCLE_1)
	s_or_b32 exec_lo, exec_lo, s21
.LBB346_660:                            ;   in Loop: Header=BB346_645 Depth=1
	s_delay_alu instid0(SALU_CYCLE_1) | instskip(SKIP_3) | instid1(VALU_DEP_2)
	s_or_b32 exec_lo, exec_lo, s0
	v_dual_lshrrev_b32 v27, 16, v0 :: v_dual_mov_b32 v41, 0
	v_mov_b32_e32 v42, 0
	s_mov_b32 s0, exec_lo
	v_and_b32_e32 v20, 0xff, v27
	s_delay_alu instid0(VALU_DEP_1)
	v_cmpx_ne_u16_e32 0, v20
	s_cbranch_execz .LBB346_668
; %bb.661:                              ;   in Loop: Header=BB346_645 Depth=1
	v_bfrev_b32_e32 v42, 1
	s_mov_b32 s21, exec_lo
	v_cmpx_ne_u16_e32 0x80, v20
	s_cbranch_execz .LBB346_667
; %bb.662:                              ;   in Loop: Header=BB346_645 Depth=1
	v_bfe_u32 v31, v0, 16, 7
	v_mov_b32_e32 v42, 0x7f800001
	s_mov_b32 s22, exec_lo
	s_delay_alu instid0(VALU_DEP_2)
	v_cmpx_ne_u32_e32 0x7f, v31
	s_cbranch_execz .LBB346_666
; %bb.663:                              ;   in Loop: Header=BB346_645 Depth=1
	v_and_b32_e32 v20, 7, v27
	v_lshrrev_b32_e32 v30, 3, v31
	s_mov_b32 s23, exec_lo
	v_cmpx_gt_u32_e32 8, v31
; %bb.664:                              ;   in Loop: Header=BB346_645 Depth=1
	s_delay_alu instid0(VALU_DEP_3) | instskip(NEXT) | instid1(VALU_DEP_1)
	v_clz_i32_u32_e32 v30, v20
	v_min_u32_e32 v30, 32, v30
	s_delay_alu instid0(VALU_DEP_1) | instskip(SKIP_1) | instid1(VALU_DEP_2)
	v_subrev_nc_u32_e32 v31, 28, v30
	v_sub_nc_u32_e32 v30, 29, v30
	v_lshlrev_b64_e32 v[42:43], v31, v[20:21]
	s_delay_alu instid0(VALU_DEP_1)
	v_and_b32_e32 v20, 7, v42
; %bb.665:                              ;   in Loop: Header=BB346_645 Depth=1
	s_or_b32 exec_lo, exec_lo, s23
	s_delay_alu instid0(VALU_DEP_1) | instskip(SKIP_1) | instid1(VALU_DEP_2)
	v_dual_lshlrev_b32 v27, 24, v27 :: v_dual_lshlrev_b32 v20, 20, v20
	v_lshl_add_u32 v30, v30, 23, 0x3c000000
	v_and_b32_e32 v27, 0x80000000, v27
	s_delay_alu instid0(VALU_DEP_1)
	v_or3_b32 v42, v20, v27, v30
.LBB346_666:                            ;   in Loop: Header=BB346_645 Depth=1
	s_or_b32 exec_lo, exec_lo, s22
.LBB346_667:                            ;   in Loop: Header=BB346_645 Depth=1
	s_delay_alu instid0(SALU_CYCLE_1)
	s_or_b32 exec_lo, exec_lo, s21
.LBB346_668:                            ;   in Loop: Header=BB346_645 Depth=1
	s_delay_alu instid0(SALU_CYCLE_1) | instskip(NEXT) | instid1(SALU_CYCLE_1)
	s_or_b32 exec_lo, exec_lo, s0
	s_mov_b32 s0, exec_lo
	v_cmpx_lt_u32_e32 0xffffff, v0
	s_cbranch_execz .LBB346_676
; %bb.669:                              ;   in Loop: Header=BB346_645 Depth=1
	v_lshrrev_b32_e32 v27, 24, v0
	v_bfrev_b32_e32 v41, 1
	s_mov_b32 s21, exec_lo
	s_delay_alu instid0(VALU_DEP_2)
	v_cmpx_ne_u32_e32 0x80, v27
	s_cbranch_execz .LBB346_675
; %bb.670:                              ;   in Loop: Header=BB346_645 Depth=1
	v_bfe_u32 v31, v0, 24, 7
	v_mov_b32_e32 v41, 0x7f800001
	s_mov_b32 s22, exec_lo
	s_delay_alu instid0(VALU_DEP_2)
	v_cmpx_ne_u32_e32 0x7f, v31
	s_cbranch_execz .LBB346_674
; %bb.671:                              ;   in Loop: Header=BB346_645 Depth=1
	v_and_b32_e32 v20, 7, v27
	v_lshrrev_b32_e32 v30, 3, v31
	s_mov_b32 s23, exec_lo
	v_cmpx_gt_u32_e32 8, v31
; %bb.672:                              ;   in Loop: Header=BB346_645 Depth=1
	s_delay_alu instid0(VALU_DEP_3) | instskip(NEXT) | instid1(VALU_DEP_1)
	v_clz_i32_u32_e32 v30, v20
	v_min_u32_e32 v30, 32, v30
	s_delay_alu instid0(VALU_DEP_1) | instskip(NEXT) | instid1(VALU_DEP_1)
	v_subrev_nc_u32_e32 v31, 28, v30
	v_lshlrev_b64_e32 v[44:45], v31, v[20:21]
	s_delay_alu instid0(VALU_DEP_1)
	v_dual_sub_nc_u32 v30, 29, v30 :: v_dual_bitop2_b32 v20, 7, v44 bitop3:0x40
; %bb.673:                              ;   in Loop: Header=BB346_645 Depth=1
	s_or_b32 exec_lo, exec_lo, s23
	s_delay_alu instid0(VALU_DEP_1) | instskip(NEXT) | instid1(VALU_DEP_2)
	v_dual_lshlrev_b32 v27, 24, v27 :: v_dual_lshlrev_b32 v20, 20, v20
	v_lshl_add_u32 v30, v30, 23, 0x3c000000
	s_delay_alu instid0(VALU_DEP_2) | instskip(NEXT) | instid1(VALU_DEP_1)
	v_and_b32_e32 v27, 0x80000000, v27
	v_or3_b32 v41, v20, v27, v30
.LBB346_674:                            ;   in Loop: Header=BB346_645 Depth=1
	s_or_b32 exec_lo, exec_lo, s22
.LBB346_675:                            ;   in Loop: Header=BB346_645 Depth=1
	s_delay_alu instid0(SALU_CYCLE_1)
	s_or_b32 exec_lo, exec_lo, s21
.LBB346_676:                            ;   in Loop: Header=BB346_645 Depth=1
	s_delay_alu instid0(SALU_CYCLE_1) | instskip(SKIP_4) | instid1(VALU_DEP_3)
	s_or_b32 exec_lo, exec_lo, s0
	v_and_b32_e32 v30, 0xff, v1
	v_dual_mov_b32 v20, v1 :: v_dual_mov_b32 v27, 0
	v_mov_b32_e32 v38, 0
	s_mov_b32 s0, exec_lo
	v_cmpx_ne_u16_e32 0, v30
	s_cbranch_execz .LBB346_682
; %bb.677:                              ;   in Loop: Header=BB346_645 Depth=1
	v_bfrev_b32_e32 v38, 1
	s_mov_b32 s21, exec_lo
	v_cmpx_ne_u16_e32 0x80, v30
	s_cbranch_execz .LBB346_681
; %bb.678:                              ;   in Loop: Header=BB346_645 Depth=1
	v_and_b32_e32 v30, 0x7f, v1
	v_mov_b32_e32 v38, 0x7f800001
	s_mov_b32 s22, exec_lo
	s_delay_alu instid0(VALU_DEP_2)
	v_cmpx_ne_u32_e32 0x7f, v30
	s_cbranch_execz .LBB346_680
; %bb.679:                              ;   in Loop: Header=BB346_645 Depth=1
	v_dual_lshrrev_b32 v38, 3, v30 :: v_dual_bitop2_b32 v31, 7, v1 bitop3:0x40
	v_cmp_gt_u32_e32 vcc_lo, 8, v30
	s_delay_alu instid0(VALU_DEP_2) | instskip(NEXT) | instid1(VALU_DEP_1)
	v_clz_i32_u32_e32 v31, v31
	v_min_u32_e32 v31, 32, v31
	s_delay_alu instid0(VALU_DEP_1) | instskip(SKIP_1) | instid1(VALU_DEP_2)
	v_subrev_nc_u32_e32 v43, 28, v31
	v_sub_nc_u32_e32 v31, 29, v31
	v_cndmask_b32_e32 v30, 0, v43, vcc_lo
	s_delay_alu instid0(VALU_DEP_2) | instskip(NEXT) | instid1(VALU_DEP_2)
	v_cndmask_b32_e32 v38, v38, v31, vcc_lo
	v_lshlrev_b64_e32 v[30:31], v30, v[20:21]
	v_lshlrev_b32_e32 v31, 24, v20
	s_delay_alu instid0(VALU_DEP_3) | instskip(NEXT) | instid1(VALU_DEP_2)
	v_lshl_add_u32 v38, v38, 23, 0x3c000000
	v_and_b32_e32 v31, 0x80000000, v31
	s_delay_alu instid0(VALU_DEP_4) | instskip(NEXT) | instid1(VALU_DEP_1)
	v_lshlrev_b32_e32 v30, 20, v30
	v_and_b32_e32 v30, 0x700000, v30
	s_delay_alu instid0(VALU_DEP_1)
	v_or3_b32 v38, v30, v31, v38
.LBB346_680:                            ;   in Loop: Header=BB346_645 Depth=1
	s_or_b32 exec_lo, exec_lo, s22
.LBB346_681:                            ;   in Loop: Header=BB346_645 Depth=1
	s_delay_alu instid0(SALU_CYCLE_1)
	s_or_b32 exec_lo, exec_lo, s21
.LBB346_682:                            ;   in Loop: Header=BB346_645 Depth=1
	s_delay_alu instid0(SALU_CYCLE_1) | instskip(SKIP_2) | instid1(VALU_DEP_1)
	s_or_b32 exec_lo, exec_lo, s0
	v_lshrrev_b16 v30, 8, v20
	s_mov_b32 s0, exec_lo
	v_cmpx_ne_u16_e32 0, v30
	s_cbranch_execz .LBB346_690
; %bb.683:                              ;   in Loop: Header=BB346_645 Depth=1
	v_bfrev_b32_e32 v27, 1
	s_mov_b32 s21, exec_lo
	v_cmpx_ne_u16_e32 0x80, v30
	s_cbranch_execz .LBB346_689
; %bb.684:                              ;   in Loop: Header=BB346_645 Depth=1
	v_and_b32_e32 v30, 0xffff, v30
	v_mov_b32_e32 v27, 0x7f800001
	s_mov_b32 s22, exec_lo
	s_delay_alu instid0(VALU_DEP_2) | instskip(NEXT) | instid1(VALU_DEP_1)
	v_and_b32_e32 v43, 0x7f, v30
	v_cmpx_ne_u32_e32 0x7f, v43
	s_cbranch_execz .LBB346_688
; %bb.685:                              ;   in Loop: Header=BB346_645 Depth=1
	v_dual_mov_b32 v31, v21 :: v_dual_bitop2_b32 v30, 7, v30 bitop3:0x40
	v_lshrrev_b32_e32 v27, 3, v43
	s_mov_b32 s23, exec_lo
	v_cmpx_gt_u32_e32 8, v43
; %bb.686:                              ;   in Loop: Header=BB346_645 Depth=1
	s_delay_alu instid0(VALU_DEP_3) | instskip(NEXT) | instid1(VALU_DEP_1)
	v_clz_i32_u32_e32 v27, v30
	v_min_u32_e32 v27, 32, v27
	s_delay_alu instid0(VALU_DEP_1) | instskip(NEXT) | instid1(VALU_DEP_1)
	v_subrev_nc_u32_e32 v43, 28, v27
	v_lshlrev_b64_e32 v[30:31], v43, v[30:31]
	s_delay_alu instid0(VALU_DEP_1)
	v_dual_sub_nc_u32 v27, 29, v27 :: v_dual_bitop2_b32 v30, 7, v30 bitop3:0x40
; %bb.687:                              ;   in Loop: Header=BB346_645 Depth=1
	s_or_b32 exec_lo, exec_lo, s23
	s_delay_alu instid0(VALU_DEP_1) | instskip(NEXT) | instid1(VALU_DEP_2)
	v_dual_lshlrev_b32 v20, 16, v20 :: v_dual_lshlrev_b32 v30, 20, v30
	v_lshl_add_u32 v27, v27, 23, 0x3c000000
	s_delay_alu instid0(VALU_DEP_2) | instskip(NEXT) | instid1(VALU_DEP_1)
	v_and_b32_e32 v20, 0x80000000, v20
	v_or3_b32 v27, v30, v20, v27
.LBB346_688:                            ;   in Loop: Header=BB346_645 Depth=1
	s_or_b32 exec_lo, exec_lo, s22
.LBB346_689:                            ;   in Loop: Header=BB346_645 Depth=1
	s_delay_alu instid0(SALU_CYCLE_1)
	s_or_b32 exec_lo, exec_lo, s21
.LBB346_690:                            ;   in Loop: Header=BB346_645 Depth=1
	s_delay_alu instid0(SALU_CYCLE_1) | instskip(SKIP_3) | instid1(VALU_DEP_2)
	s_or_b32 exec_lo, exec_lo, s0
	v_dual_mov_b32 v30, 0 :: v_dual_lshrrev_b32 v43, 16, v1
	v_mov_b32_e32 v31, 0
	s_mov_b32 s0, exec_lo
	v_and_b32_e32 v20, 0xff, v43
	s_delay_alu instid0(VALU_DEP_1)
	v_cmpx_ne_u16_e32 0, v20
	s_cbranch_execz .LBB346_698
; %bb.691:                              ;   in Loop: Header=BB346_645 Depth=1
	v_bfrev_b32_e32 v31, 1
	s_mov_b32 s21, exec_lo
	v_cmpx_ne_u16_e32 0x80, v20
	s_cbranch_execz .LBB346_697
; %bb.692:                              ;   in Loop: Header=BB346_645 Depth=1
	v_bfe_u32 v44, v1, 16, 7
	v_mov_b32_e32 v31, 0x7f800001
	s_mov_b32 s22, exec_lo
	s_delay_alu instid0(VALU_DEP_2)
	v_cmpx_ne_u32_e32 0x7f, v44
	s_cbranch_execz .LBB346_696
; %bb.693:                              ;   in Loop: Header=BB346_645 Depth=1
	v_dual_lshrrev_b32 v31, 3, v44 :: v_dual_bitop2_b32 v20, 7, v43 bitop3:0x40
	s_mov_b32 s23, exec_lo
	v_cmpx_gt_u32_e32 8, v44
; %bb.694:                              ;   in Loop: Header=BB346_645 Depth=1
	s_delay_alu instid0(VALU_DEP_2) | instskip(NEXT) | instid1(VALU_DEP_1)
	v_clz_i32_u32_e32 v31, v20
	v_min_u32_e32 v31, 32, v31
	s_delay_alu instid0(VALU_DEP_1) | instskip(NEXT) | instid1(VALU_DEP_1)
	v_subrev_nc_u32_e32 v44, 28, v31
	v_lshlrev_b64_e32 v[44:45], v44, v[20:21]
	s_delay_alu instid0(VALU_DEP_1)
	v_dual_sub_nc_u32 v31, 29, v31 :: v_dual_bitop2_b32 v20, 7, v44 bitop3:0x40
; %bb.695:                              ;   in Loop: Header=BB346_645 Depth=1
	s_or_b32 exec_lo, exec_lo, s23
	s_delay_alu instid0(VALU_DEP_1) | instskip(NEXT) | instid1(VALU_DEP_2)
	v_dual_lshlrev_b32 v43, 24, v43 :: v_dual_lshlrev_b32 v20, 20, v20
	v_lshl_add_u32 v31, v31, 23, 0x3c000000
	s_delay_alu instid0(VALU_DEP_2) | instskip(NEXT) | instid1(VALU_DEP_1)
	v_and_b32_e32 v43, 0x80000000, v43
	v_or3_b32 v31, v20, v43, v31
.LBB346_696:                            ;   in Loop: Header=BB346_645 Depth=1
	s_or_b32 exec_lo, exec_lo, s22
.LBB346_697:                            ;   in Loop: Header=BB346_645 Depth=1
	s_delay_alu instid0(SALU_CYCLE_1)
	s_or_b32 exec_lo, exec_lo, s21
.LBB346_698:                            ;   in Loop: Header=BB346_645 Depth=1
	s_delay_alu instid0(SALU_CYCLE_1) | instskip(NEXT) | instid1(SALU_CYCLE_1)
	s_or_b32 exec_lo, exec_lo, s0
	s_mov_b32 s0, exec_lo
	v_cmpx_lt_u64_e64 s[2:3], v[0:1]
	s_cbranch_execz .LBB346_706
; %bb.699:                              ;   in Loop: Header=BB346_645 Depth=1
	v_lshrrev_b32_e32 v0, 24, v1
	v_bfrev_b32_e32 v30, 1
	s_mov_b32 s21, exec_lo
	s_delay_alu instid0(VALU_DEP_2)
	v_cmpx_ne_u32_e32 0x80, v0
	s_cbranch_execz .LBB346_705
; %bb.700:                              ;   in Loop: Header=BB346_645 Depth=1
	v_bfe_u32 v43, v1, 24, 7
	v_mov_b32_e32 v30, 0x7f800001
	s_mov_b32 s22, exec_lo
	s_delay_alu instid0(VALU_DEP_2)
	v_cmpx_ne_u32_e32 0x7f, v43
	s_cbranch_execz .LBB346_704
; %bb.701:                              ;   in Loop: Header=BB346_645 Depth=1
	v_dual_lshrrev_b32 v1, 3, v43 :: v_dual_bitop2_b32 v20, 7, v0 bitop3:0x40
	s_mov_b32 s23, exec_lo
	v_cmpx_gt_u32_e32 8, v43
; %bb.702:                              ;   in Loop: Header=BB346_645 Depth=1
	s_delay_alu instid0(VALU_DEP_2) | instskip(NEXT) | instid1(VALU_DEP_1)
	v_clz_i32_u32_e32 v1, v20
	v_min_u32_e32 v1, 32, v1
	s_delay_alu instid0(VALU_DEP_1) | instskip(NEXT) | instid1(VALU_DEP_1)
	v_subrev_nc_u32_e32 v30, 28, v1
	v_lshlrev_b64_e32 v[44:45], v30, v[20:21]
	s_delay_alu instid0(VALU_DEP_1)
	v_dual_sub_nc_u32 v1, 29, v1 :: v_dual_bitop2_b32 v20, 7, v44 bitop3:0x40
; %bb.703:                              ;   in Loop: Header=BB346_645 Depth=1
	s_or_b32 exec_lo, exec_lo, s23
	v_lshlrev_b32_e32 v0, 24, v0
	s_delay_alu instid0(VALU_DEP_2) | instskip(NEXT) | instid1(VALU_DEP_3)
	v_lshlrev_b32_e32 v20, 20, v20
	v_lshl_add_u32 v1, v1, 23, 0x3c000000
	s_delay_alu instid0(VALU_DEP_3) | instskip(NEXT) | instid1(VALU_DEP_1)
	v_and_b32_e32 v0, 0x80000000, v0
	v_or3_b32 v30, v20, v0, v1
.LBB346_704:                            ;   in Loop: Header=BB346_645 Depth=1
	s_or_b32 exec_lo, exec_lo, s22
.LBB346_705:                            ;   in Loop: Header=BB346_645 Depth=1
	s_delay_alu instid0(SALU_CYCLE_1)
	s_or_b32 exec_lo, exec_lo, s21
.LBB346_706:                            ;   in Loop: Header=BB346_645 Depth=1
	s_delay_alu instid0(SALU_CYCLE_1)
	s_or_b32 exec_lo, exec_lo, s0
	v_add_nc_u32_e32 v45, v36, v26
	v_cmp_eq_u32_e32 vcc_lo, s27, v35
	s_wait_kmcnt 0x0
	v_fma_mixlo_bf16 v27, s20, v27, 0
	v_fma_mixlo_bf16 v38, s20, v38, 0
	;; [unrolled: 1-line block ×8, first 2 shown]
	v_dual_add_nc_u32 v52, 1, v45 :: v_dual_add_nc_u32 v51, 2, v45
	v_dual_add_nc_u32 v50, 3, v45 :: v_dual_add_nc_u32 v49, 4, v45
	;; [unrolled: 1-line block ×3, first 2 shown]
	v_add_nc_u32_e32 v46, 7, v45
	s_and_saveexec_b32 s21, vcc_lo
	s_cbranch_execz .LBB346_708
; %bb.707:                              ;   in Loop: Header=BB346_645 Depth=1
	v_cmp_gt_i32_e64 s0, s34, v45
	s_delay_alu instid0(VALU_DEP_1) | instskip(SKIP_1) | instid1(VALU_DEP_1)
	v_cndmask_b32_e64 v44, 0, v44, s0
	v_cmp_gt_i32_e64 s0, s34, v52
	v_cndmask_b32_e64 v43, 0, v43, s0
	v_cmp_gt_i32_e64 s0, s34, v51
	s_delay_alu instid0(VALU_DEP_1) | instskip(SKIP_1) | instid1(VALU_DEP_1)
	v_cndmask_b32_e64 v42, 0, v42, s0
	v_cmp_gt_i32_e64 s0, s34, v50
	v_cndmask_b32_e64 v41, 0, v41, s0
	;; [unrolled: 5-line block ×4, first 2 shown]
.LBB346_708:                            ;   in Loop: Header=BB346_645 Depth=1
	s_or_b32 exec_lo, exec_lo, s21
	global_load_b64 v[0:1], v[28:29], off offset:256
	v_dual_mov_b32 v56, 0 :: v_dual_mov_b32 v55, 0
	s_mov_b32 s21, exec_lo
	s_wait_loadcnt 0x0
	v_and_b32_e32 v20, 0xff, v0
	s_delay_alu instid0(VALU_DEP_1)
	v_cmpx_ne_u16_e32 0, v20
	s_cbranch_execz .LBB346_714
; %bb.709:                              ;   in Loop: Header=BB346_645 Depth=1
	v_bfrev_b32_e32 v55, 1
	s_mov_b32 s22, exec_lo
	v_cmpx_ne_u16_e32 0x80, v20
	s_cbranch_execz .LBB346_713
; %bb.710:                              ;   in Loop: Header=BB346_645 Depth=1
	v_and_b32_e32 v20, 0x7f, v0
	v_mov_b32_e32 v55, 0x7f800001
	s_mov_b32 s23, exec_lo
	s_delay_alu instid0(VALU_DEP_2)
	v_cmpx_ne_u32_e32 0x7f, v20
	s_cbranch_execz .LBB346_712
; %bb.711:                              ;   in Loop: Header=BB346_645 Depth=1
	v_and_b32_e32 v30, 7, v0
	v_cmp_gt_u32_e64 s0, 8, v20
	s_delay_alu instid0(VALU_DEP_2) | instskip(NEXT) | instid1(VALU_DEP_1)
	v_clz_i32_u32_e32 v30, v30
	v_min_u32_e32 v30, 32, v30
	v_lshrrev_b32_e32 v31, 3, v20
	s_delay_alu instid0(VALU_DEP_2) | instskip(SKIP_1) | instid1(VALU_DEP_1)
	v_subrev_nc_u32_e32 v53, 28, v30
	v_sub_nc_u32_e32 v30, 29, v30
	v_dual_cndmask_b32 v20, v31, v30, s0 :: v_dual_cndmask_b32 v30, 0, v53, s0
	s_delay_alu instid0(VALU_DEP_1) | instskip(NEXT) | instid1(VALU_DEP_2)
	v_lshl_add_u32 v20, v20, 23, 0x3c000000
	v_lshlrev_b64_e32 v[30:31], v30, v[0:1]
	v_lshlrev_b32_e32 v31, 24, v0
	s_delay_alu instid0(VALU_DEP_1) | instskip(NEXT) | instid1(VALU_DEP_3)
	v_and_b32_e32 v31, 0x80000000, v31
	v_lshlrev_b32_e32 v30, 20, v30
	s_delay_alu instid0(VALU_DEP_1) | instskip(NEXT) | instid1(VALU_DEP_1)
	v_and_b32_e32 v30, 0x700000, v30
	v_or3_b32 v55, v30, v31, v20
.LBB346_712:                            ;   in Loop: Header=BB346_645 Depth=1
	s_or_b32 exec_lo, exec_lo, s23
.LBB346_713:                            ;   in Loop: Header=BB346_645 Depth=1
	s_delay_alu instid0(SALU_CYCLE_1)
	s_or_b32 exec_lo, exec_lo, s22
.LBB346_714:                            ;   in Loop: Header=BB346_645 Depth=1
	s_delay_alu instid0(SALU_CYCLE_1) | instskip(SKIP_2) | instid1(VALU_DEP_1)
	s_or_b32 exec_lo, exec_lo, s21
	v_lshrrev_b16 v20, 8, v0
	s_mov_b32 s21, exec_lo
	v_cmpx_ne_u16_e32 0, v20
	s_cbranch_execz .LBB346_722
; %bb.715:                              ;   in Loop: Header=BB346_645 Depth=1
	v_bfrev_b32_e32 v56, 1
	s_mov_b32 s22, exec_lo
	v_cmpx_ne_u16_e32 0x80, v20
	s_cbranch_execz .LBB346_721
; %bb.716:                              ;   in Loop: Header=BB346_645 Depth=1
	v_and_b32_e32 v20, 0xffff, v20
	v_mov_b32_e32 v56, 0x7f800001
	s_mov_b32 s23, exec_lo
	s_delay_alu instid0(VALU_DEP_2) | instskip(NEXT) | instid1(VALU_DEP_1)
	v_and_b32_e32 v31, 0x7f, v20
	v_cmpx_ne_u32_e32 0x7f, v31
	s_cbranch_execz .LBB346_720
; %bb.717:                              ;   in Loop: Header=BB346_645 Depth=1
	v_dual_lshrrev_b32 v30, 3, v31 :: v_dual_bitop2_b32 v20, 7, v20 bitop3:0x40
	s_mov_b32 s24, exec_lo
	v_cmpx_gt_u32_e32 8, v31
; %bb.718:                              ;   in Loop: Header=BB346_645 Depth=1
	s_delay_alu instid0(VALU_DEP_2) | instskip(NEXT) | instid1(VALU_DEP_1)
	v_clz_i32_u32_e32 v30, v20
	v_min_u32_e32 v30, 32, v30
	s_delay_alu instid0(VALU_DEP_1) | instskip(NEXT) | instid1(VALU_DEP_1)
	v_subrev_nc_u32_e32 v31, 28, v30
	v_lshlrev_b64_e32 v[56:57], v31, v[20:21]
	s_delay_alu instid0(VALU_DEP_1)
	v_dual_sub_nc_u32 v30, 29, v30 :: v_dual_bitop2_b32 v20, 7, v56 bitop3:0x40
; %bb.719:                              ;   in Loop: Header=BB346_645 Depth=1
	s_or_b32 exec_lo, exec_lo, s24
	v_lshlrev_b32_e32 v31, 16, v0
	s_delay_alu instid0(VALU_DEP_2) | instskip(NEXT) | instid1(VALU_DEP_3)
	v_lshlrev_b32_e32 v20, 20, v20
	v_lshl_add_u32 v30, v30, 23, 0x3c000000
	s_delay_alu instid0(VALU_DEP_3) | instskip(NEXT) | instid1(VALU_DEP_1)
	v_and_b32_e32 v31, 0x80000000, v31
	v_or3_b32 v56, v20, v31, v30
.LBB346_720:                            ;   in Loop: Header=BB346_645 Depth=1
	s_or_b32 exec_lo, exec_lo, s23
.LBB346_721:                            ;   in Loop: Header=BB346_645 Depth=1
	s_delay_alu instid0(SALU_CYCLE_1)
	s_or_b32 exec_lo, exec_lo, s22
.LBB346_722:                            ;   in Loop: Header=BB346_645 Depth=1
	s_delay_alu instid0(SALU_CYCLE_1) | instskip(SKIP_3) | instid1(VALU_DEP_2)
	s_or_b32 exec_lo, exec_lo, s21
	v_dual_mov_b32 v57, 0 :: v_dual_lshrrev_b32 v30, 16, v0
	v_mov_b32_e32 v58, 0
	s_mov_b32 s21, exec_lo
	v_and_b32_e32 v20, 0xff, v30
	s_delay_alu instid0(VALU_DEP_1)
	v_cmpx_ne_u16_e32 0, v20
	s_cbranch_execz .LBB346_730
; %bb.723:                              ;   in Loop: Header=BB346_645 Depth=1
	v_bfrev_b32_e32 v58, 1
	s_mov_b32 s22, exec_lo
	v_cmpx_ne_u16_e32 0x80, v20
	s_cbranch_execz .LBB346_729
; %bb.724:                              ;   in Loop: Header=BB346_645 Depth=1
	v_bfe_u32 v53, v0, 16, 7
	v_mov_b32_e32 v58, 0x7f800001
	s_mov_b32 s23, exec_lo
	s_delay_alu instid0(VALU_DEP_2)
	v_cmpx_ne_u32_e32 0x7f, v53
	s_cbranch_execz .LBB346_728
; %bb.725:                              ;   in Loop: Header=BB346_645 Depth=1
	v_dual_lshrrev_b32 v31, 3, v53 :: v_dual_bitop2_b32 v20, 7, v30 bitop3:0x40
	s_mov_b32 s24, exec_lo
	v_cmpx_gt_u32_e32 8, v53
; %bb.726:                              ;   in Loop: Header=BB346_645 Depth=1
	s_delay_alu instid0(VALU_DEP_2) | instskip(NEXT) | instid1(VALU_DEP_1)
	v_clz_i32_u32_e32 v31, v20
	v_min_u32_e32 v31, 32, v31
	s_delay_alu instid0(VALU_DEP_1) | instskip(NEXT) | instid1(VALU_DEP_1)
	v_subrev_nc_u32_e32 v53, 28, v31
	v_lshlrev_b64_e32 v[58:59], v53, v[20:21]
	s_delay_alu instid0(VALU_DEP_1)
	v_dual_sub_nc_u32 v31, 29, v31 :: v_dual_bitop2_b32 v20, 7, v58 bitop3:0x40
; %bb.727:                              ;   in Loop: Header=BB346_645 Depth=1
	s_or_b32 exec_lo, exec_lo, s24
	s_delay_alu instid0(VALU_DEP_1) | instskip(NEXT) | instid1(VALU_DEP_2)
	v_dual_lshlrev_b32 v30, 24, v30 :: v_dual_lshlrev_b32 v20, 20, v20
	v_lshl_add_u32 v31, v31, 23, 0x3c000000
	s_delay_alu instid0(VALU_DEP_2) | instskip(NEXT) | instid1(VALU_DEP_1)
	v_and_b32_e32 v30, 0x80000000, v30
	v_or3_b32 v58, v20, v30, v31
.LBB346_728:                            ;   in Loop: Header=BB346_645 Depth=1
	s_or_b32 exec_lo, exec_lo, s23
.LBB346_729:                            ;   in Loop: Header=BB346_645 Depth=1
	s_delay_alu instid0(SALU_CYCLE_1)
	s_or_b32 exec_lo, exec_lo, s22
.LBB346_730:                            ;   in Loop: Header=BB346_645 Depth=1
	s_delay_alu instid0(SALU_CYCLE_1) | instskip(NEXT) | instid1(SALU_CYCLE_1)
	s_or_b32 exec_lo, exec_lo, s21
	s_mov_b32 s21, exec_lo
	v_cmpx_lt_u32_e32 0xffffff, v0
	s_cbranch_execz .LBB346_738
; %bb.731:                              ;   in Loop: Header=BB346_645 Depth=1
	v_lshrrev_b32_e32 v30, 24, v0
	v_bfrev_b32_e32 v57, 1
	s_mov_b32 s22, exec_lo
	s_delay_alu instid0(VALU_DEP_2)
	v_cmpx_ne_u32_e32 0x80, v30
	s_cbranch_execz .LBB346_737
; %bb.732:                              ;   in Loop: Header=BB346_645 Depth=1
	v_bfe_u32 v53, v0, 24, 7
	v_mov_b32_e32 v57, 0x7f800001
	s_mov_b32 s23, exec_lo
	s_delay_alu instid0(VALU_DEP_2)
	v_cmpx_ne_u32_e32 0x7f, v53
	s_cbranch_execz .LBB346_736
; %bb.733:                              ;   in Loop: Header=BB346_645 Depth=1
	v_dual_lshrrev_b32 v31, 3, v53 :: v_dual_bitop2_b32 v20, 7, v30 bitop3:0x40
	s_mov_b32 s24, exec_lo
	v_cmpx_gt_u32_e32 8, v53
; %bb.734:                              ;   in Loop: Header=BB346_645 Depth=1
	s_delay_alu instid0(VALU_DEP_2) | instskip(NEXT) | instid1(VALU_DEP_1)
	v_clz_i32_u32_e32 v31, v20
	v_min_u32_e32 v31, 32, v31
	s_delay_alu instid0(VALU_DEP_1) | instskip(NEXT) | instid1(VALU_DEP_1)
	v_subrev_nc_u32_e32 v53, 28, v31
	v_lshlrev_b64_e32 v[60:61], v53, v[20:21]
	s_delay_alu instid0(VALU_DEP_1)
	v_dual_sub_nc_u32 v31, 29, v31 :: v_dual_bitop2_b32 v20, 7, v60 bitop3:0x40
; %bb.735:                              ;   in Loop: Header=BB346_645 Depth=1
	s_or_b32 exec_lo, exec_lo, s24
	s_delay_alu instid0(VALU_DEP_1) | instskip(NEXT) | instid1(VALU_DEP_2)
	v_dual_lshlrev_b32 v30, 24, v30 :: v_dual_lshlrev_b32 v20, 20, v20
	v_lshl_add_u32 v31, v31, 23, 0x3c000000
	s_delay_alu instid0(VALU_DEP_2) | instskip(NEXT) | instid1(VALU_DEP_1)
	v_and_b32_e32 v30, 0x80000000, v30
	v_or3_b32 v57, v20, v30, v31
.LBB346_736:                            ;   in Loop: Header=BB346_645 Depth=1
	s_or_b32 exec_lo, exec_lo, s23
.LBB346_737:                            ;   in Loop: Header=BB346_645 Depth=1
	s_delay_alu instid0(SALU_CYCLE_1)
	s_or_b32 exec_lo, exec_lo, s22
.LBB346_738:                            ;   in Loop: Header=BB346_645 Depth=1
	s_delay_alu instid0(SALU_CYCLE_1) | instskip(SKIP_4) | instid1(VALU_DEP_3)
	s_or_b32 exec_lo, exec_lo, s21
	v_and_b32_e32 v31, 0xff, v1
	v_dual_mov_b32 v20, v1 :: v_dual_mov_b32 v30, 0
	v_mov_b32_e32 v54, 0
	s_mov_b32 s21, exec_lo
	v_cmpx_ne_u16_e32 0, v31
	s_cbranch_execz .LBB346_744
; %bb.739:                              ;   in Loop: Header=BB346_645 Depth=1
	v_bfrev_b32_e32 v54, 1
	s_mov_b32 s22, exec_lo
	v_cmpx_ne_u16_e32 0x80, v31
	s_cbranch_execz .LBB346_743
; %bb.740:                              ;   in Loop: Header=BB346_645 Depth=1
	v_and_b32_e32 v31, 0x7f, v1
	v_mov_b32_e32 v54, 0x7f800001
	s_mov_b32 s23, exec_lo
	s_delay_alu instid0(VALU_DEP_2)
	v_cmpx_ne_u32_e32 0x7f, v31
	s_cbranch_execz .LBB346_742
; %bb.741:                              ;   in Loop: Header=BB346_645 Depth=1
	v_dual_lshrrev_b32 v54, 3, v31 :: v_dual_bitop2_b32 v53, 7, v1 bitop3:0x40
	v_cmp_gt_u32_e64 s0, 8, v31
	s_delay_alu instid0(VALU_DEP_2) | instskip(NEXT) | instid1(VALU_DEP_1)
	v_clz_i32_u32_e32 v53, v53
	v_min_u32_e32 v53, 32, v53
	s_delay_alu instid0(VALU_DEP_1) | instskip(SKIP_1) | instid1(VALU_DEP_1)
	v_subrev_nc_u32_e32 v59, 28, v53
	v_sub_nc_u32_e32 v53, 29, v53
	v_dual_cndmask_b32 v31, v54, v53, s0 :: v_dual_cndmask_b32 v53, 0, v59, s0
	s_delay_alu instid0(VALU_DEP_1) | instskip(NEXT) | instid1(VALU_DEP_2)
	v_lshl_add_u32 v31, v31, 23, 0x3c000000
	v_lshlrev_b64_e32 v[60:61], v53, v[20:21]
	v_lshlrev_b32_e32 v53, 24, v20
	s_delay_alu instid0(VALU_DEP_1) | instskip(NEXT) | instid1(VALU_DEP_3)
	v_and_b32_e32 v53, 0x80000000, v53
	v_lshlrev_b32_e32 v54, 20, v60
	s_delay_alu instid0(VALU_DEP_1) | instskip(NEXT) | instid1(VALU_DEP_1)
	v_and_b32_e32 v54, 0x700000, v54
	v_or3_b32 v54, v54, v53, v31
.LBB346_742:                            ;   in Loop: Header=BB346_645 Depth=1
	s_or_b32 exec_lo, exec_lo, s23
.LBB346_743:                            ;   in Loop: Header=BB346_645 Depth=1
	s_delay_alu instid0(SALU_CYCLE_1)
	s_or_b32 exec_lo, exec_lo, s22
.LBB346_744:                            ;   in Loop: Header=BB346_645 Depth=1
	s_delay_alu instid0(SALU_CYCLE_1) | instskip(SKIP_2) | instid1(VALU_DEP_1)
	s_or_b32 exec_lo, exec_lo, s21
	v_lshrrev_b16 v31, 8, v20
	s_mov_b32 s21, exec_lo
	v_cmpx_ne_u16_e32 0, v31
	s_cbranch_execz .LBB346_752
; %bb.745:                              ;   in Loop: Header=BB346_645 Depth=1
	v_bfrev_b32_e32 v30, 1
	s_mov_b32 s22, exec_lo
	v_cmpx_ne_u16_e32 0x80, v31
	s_cbranch_execz .LBB346_751
; %bb.746:                              ;   in Loop: Header=BB346_645 Depth=1
	v_and_b32_e32 v31, 0xffff, v31
	v_mov_b32_e32 v30, 0x7f800001
	s_mov_b32 s23, exec_lo
	s_delay_alu instid0(VALU_DEP_2) | instskip(NEXT) | instid1(VALU_DEP_1)
	v_and_b32_e32 v59, 0x7f, v31
	v_cmpx_ne_u32_e32 0x7f, v59
	s_cbranch_execz .LBB346_750
; %bb.747:                              ;   in Loop: Header=BB346_645 Depth=1
	v_dual_mov_b32 v31, v21 :: v_dual_bitop2_b32 v30, 7, v31 bitop3:0x40
	v_lshrrev_b32_e32 v53, 3, v59
	s_mov_b32 s24, exec_lo
	v_cmpx_gt_u32_e32 8, v59
; %bb.748:                              ;   in Loop: Header=BB346_645 Depth=1
	s_delay_alu instid0(VALU_DEP_3) | instskip(NEXT) | instid1(VALU_DEP_1)
	v_clz_i32_u32_e32 v53, v30
	v_min_u32_e32 v53, 32, v53
	s_delay_alu instid0(VALU_DEP_1) | instskip(NEXT) | instid1(VALU_DEP_1)
	v_subrev_nc_u32_e32 v59, 28, v53
	v_lshlrev_b64_e32 v[30:31], v59, v[30:31]
	s_delay_alu instid0(VALU_DEP_1)
	v_dual_sub_nc_u32 v53, 29, v53 :: v_dual_bitop2_b32 v30, 7, v30 bitop3:0x40
; %bb.749:                              ;   in Loop: Header=BB346_645 Depth=1
	s_or_b32 exec_lo, exec_lo, s24
	s_delay_alu instid0(VALU_DEP_1) | instskip(NEXT) | instid1(VALU_DEP_2)
	v_dual_lshlrev_b32 v20, 16, v20 :: v_dual_lshlrev_b32 v30, 20, v30
	v_lshl_add_u32 v31, v53, 23, 0x3c000000
	s_delay_alu instid0(VALU_DEP_2) | instskip(NEXT) | instid1(VALU_DEP_1)
	v_and_b32_e32 v20, 0x80000000, v20
	v_or3_b32 v30, v30, v20, v31
.LBB346_750:                            ;   in Loop: Header=BB346_645 Depth=1
	s_or_b32 exec_lo, exec_lo, s23
.LBB346_751:                            ;   in Loop: Header=BB346_645 Depth=1
	s_delay_alu instid0(SALU_CYCLE_1)
	s_or_b32 exec_lo, exec_lo, s22
.LBB346_752:                            ;   in Loop: Header=BB346_645 Depth=1
	s_delay_alu instid0(SALU_CYCLE_1) | instskip(SKIP_3) | instid1(VALU_DEP_2)
	s_or_b32 exec_lo, exec_lo, s21
	v_dual_lshrrev_b32 v53, 16, v1 :: v_dual_mov_b32 v31, 0
	v_mov_b32_e32 v61, 0
	s_mov_b32 s21, exec_lo
	v_and_b32_e32 v20, 0xff, v53
	s_delay_alu instid0(VALU_DEP_1)
	v_cmpx_ne_u16_e32 0, v20
	s_cbranch_execz .LBB346_760
; %bb.753:                              ;   in Loop: Header=BB346_645 Depth=1
	v_bfrev_b32_e32 v61, 1
	s_mov_b32 s22, exec_lo
	v_cmpx_ne_u16_e32 0x80, v20
	s_cbranch_execz .LBB346_759
; %bb.754:                              ;   in Loop: Header=BB346_645 Depth=1
	v_bfe_u32 v60, v1, 16, 7
	v_mov_b32_e32 v61, 0x7f800001
	s_mov_b32 s23, exec_lo
	s_delay_alu instid0(VALU_DEP_2)
	v_cmpx_ne_u32_e32 0x7f, v60
	s_cbranch_execz .LBB346_758
; %bb.755:                              ;   in Loop: Header=BB346_645 Depth=1
	v_dual_lshrrev_b32 v59, 3, v60 :: v_dual_bitop2_b32 v20, 7, v53 bitop3:0x40
	s_mov_b32 s24, exec_lo
	v_cmpx_gt_u32_e32 8, v60
; %bb.756:                              ;   in Loop: Header=BB346_645 Depth=1
	s_delay_alu instid0(VALU_DEP_2) | instskip(NEXT) | instid1(VALU_DEP_1)
	v_clz_i32_u32_e32 v59, v20
	v_min_u32_e32 v59, 32, v59
	s_delay_alu instid0(VALU_DEP_1) | instskip(NEXT) | instid1(VALU_DEP_1)
	v_subrev_nc_u32_e32 v60, 28, v59
	v_lshlrev_b64_e32 v[60:61], v60, v[20:21]
	s_delay_alu instid0(VALU_DEP_1)
	v_dual_sub_nc_u32 v59, 29, v59 :: v_dual_bitop2_b32 v20, 7, v60 bitop3:0x40
; %bb.757:                              ;   in Loop: Header=BB346_645 Depth=1
	s_or_b32 exec_lo, exec_lo, s24
	s_delay_alu instid0(VALU_DEP_1) | instskip(NEXT) | instid1(VALU_DEP_2)
	v_dual_lshlrev_b32 v53, 24, v53 :: v_dual_lshlrev_b32 v20, 20, v20
	v_lshl_add_u32 v59, v59, 23, 0x3c000000
	s_delay_alu instid0(VALU_DEP_2) | instskip(NEXT) | instid1(VALU_DEP_1)
	v_and_b32_e32 v53, 0x80000000, v53
	v_or3_b32 v61, v20, v53, v59
.LBB346_758:                            ;   in Loop: Header=BB346_645 Depth=1
	s_or_b32 exec_lo, exec_lo, s23
.LBB346_759:                            ;   in Loop: Header=BB346_645 Depth=1
	s_delay_alu instid0(SALU_CYCLE_1)
	s_or_b32 exec_lo, exec_lo, s22
.LBB346_760:                            ;   in Loop: Header=BB346_645 Depth=1
	s_delay_alu instid0(SALU_CYCLE_1) | instskip(NEXT) | instid1(SALU_CYCLE_1)
	s_or_b32 exec_lo, exec_lo, s21
	s_mov_b32 s21, exec_lo
	v_cmpx_lt_u64_e64 s[2:3], v[0:1]
	s_cbranch_execz .LBB346_768
; %bb.761:                              ;   in Loop: Header=BB346_645 Depth=1
	v_lshrrev_b32_e32 v0, 24, v1
	v_bfrev_b32_e32 v31, 1
	s_mov_b32 s22, exec_lo
	s_delay_alu instid0(VALU_DEP_2)
	v_cmpx_ne_u32_e32 0x80, v0
	s_cbranch_execz .LBB346_767
; %bb.762:                              ;   in Loop: Header=BB346_645 Depth=1
	v_bfe_u32 v53, v1, 24, 7
	v_mov_b32_e32 v31, 0x7f800001
	s_mov_b32 s23, exec_lo
	s_delay_alu instid0(VALU_DEP_2)
	v_cmpx_ne_u32_e32 0x7f, v53
	s_cbranch_execz .LBB346_766
; %bb.763:                              ;   in Loop: Header=BB346_645 Depth=1
	v_dual_lshrrev_b32 v1, 3, v53 :: v_dual_bitop2_b32 v20, 7, v0 bitop3:0x40
	s_mov_b32 s24, exec_lo
	v_cmpx_gt_u32_e32 8, v53
; %bb.764:                              ;   in Loop: Header=BB346_645 Depth=1
	s_delay_alu instid0(VALU_DEP_2) | instskip(NEXT) | instid1(VALU_DEP_1)
	v_clz_i32_u32_e32 v1, v20
	v_min_u32_e32 v1, 32, v1
	s_delay_alu instid0(VALU_DEP_1) | instskip(NEXT) | instid1(VALU_DEP_1)
	v_subrev_nc_u32_e32 v31, 28, v1
	v_lshlrev_b64_e32 v[62:63], v31, v[20:21]
	s_delay_alu instid0(VALU_DEP_1)
	v_dual_sub_nc_u32 v1, 29, v1 :: v_dual_bitop2_b32 v20, 7, v62 bitop3:0x40
; %bb.765:                              ;   in Loop: Header=BB346_645 Depth=1
	s_or_b32 exec_lo, exec_lo, s24
	v_lshlrev_b32_e32 v0, 24, v0
	s_delay_alu instid0(VALU_DEP_2) | instskip(NEXT) | instid1(VALU_DEP_3)
	v_lshlrev_b32_e32 v20, 20, v20
	v_lshl_add_u32 v1, v1, 23, 0x3c000000
	s_delay_alu instid0(VALU_DEP_3) | instskip(NEXT) | instid1(VALU_DEP_1)
	v_and_b32_e32 v0, 0x80000000, v0
	v_or3_b32 v31, v20, v0, v1
.LBB346_766:                            ;   in Loop: Header=BB346_645 Depth=1
	s_or_b32 exec_lo, exec_lo, s23
.LBB346_767:                            ;   in Loop: Header=BB346_645 Depth=1
	s_delay_alu instid0(SALU_CYCLE_1)
	s_or_b32 exec_lo, exec_lo, s22
.LBB346_768:                            ;   in Loop: Header=BB346_645 Depth=1
	s_delay_alu instid0(SALU_CYCLE_1)
	s_or_b32 exec_lo, exec_lo, s21
	v_fma_mixlo_bf16 v53, s20, v30, 0
	v_fma_mixlo_bf16 v54, s20, v54, 0
	v_fma_mixlo_bf16 v57, s20, v57, 0
	v_fma_mixlo_bf16 v58, s20, v58, 0
	v_fma_mixlo_bf16 v59, s20, v56, 0
	v_fma_mixlo_bf16 v60, s20, v55, 0
	v_fma_mixlo_bf16 v55, s20, v61, 0
	v_fma_mixlo_bf16 v56, s20, v31, 0
	s_and_saveexec_b32 s21, vcc_lo
	s_cbranch_execz .LBB346_770
; %bb.769:                              ;   in Loop: Header=BB346_645 Depth=1
	v_cmp_gt_i32_e64 s0, s34, v45
	s_delay_alu instid0(VALU_DEP_1) | instskip(SKIP_1) | instid1(VALU_DEP_1)
	v_cndmask_b32_e64 v60, 0, v60, s0
	v_cmp_gt_i32_e64 s0, s34, v52
	v_cndmask_b32_e64 v59, 0, v59, s0
	v_cmp_gt_i32_e64 s0, s34, v51
	s_delay_alu instid0(VALU_DEP_1) | instskip(SKIP_1) | instid1(VALU_DEP_1)
	v_cndmask_b32_e64 v58, 0, v58, s0
	v_cmp_gt_i32_e64 s0, s34, v50
	v_cndmask_b32_e64 v57, 0, v57, s0
	;; [unrolled: 5-line block ×4, first 2 shown]
.LBB346_770:                            ;   in Loop: Header=BB346_645 Depth=1
	s_or_b32 exec_lo, exec_lo, s21
	global_load_b64 v[0:1], v[28:29], off offset:512
	v_dual_mov_b32 v62, 0 :: v_dual_mov_b32 v61, 0
	s_mov_b32 s21, exec_lo
	s_wait_loadcnt 0x0
	v_and_b32_e32 v20, 0xff, v0
	s_delay_alu instid0(VALU_DEP_1)
	v_cmpx_ne_u16_e32 0, v20
	s_cbranch_execz .LBB346_776
; %bb.771:                              ;   in Loop: Header=BB346_645 Depth=1
	v_bfrev_b32_e32 v61, 1
	s_mov_b32 s22, exec_lo
	v_cmpx_ne_u16_e32 0x80, v20
	s_cbranch_execz .LBB346_775
; %bb.772:                              ;   in Loop: Header=BB346_645 Depth=1
	v_and_b32_e32 v20, 0x7f, v0
	v_mov_b32_e32 v61, 0x7f800001
	s_mov_b32 s23, exec_lo
	s_delay_alu instid0(VALU_DEP_2)
	v_cmpx_ne_u32_e32 0x7f, v20
	s_cbranch_execz .LBB346_774
; %bb.773:                              ;   in Loop: Header=BB346_645 Depth=1
	v_and_b32_e32 v30, 7, v0
	v_cmp_gt_u32_e64 s0, 8, v20
	s_delay_alu instid0(VALU_DEP_2) | instskip(NEXT) | instid1(VALU_DEP_1)
	v_clz_i32_u32_e32 v30, v30
	v_min_u32_e32 v30, 32, v30
	v_lshrrev_b32_e32 v31, 3, v20
	s_delay_alu instid0(VALU_DEP_2) | instskip(SKIP_1) | instid1(VALU_DEP_1)
	v_subrev_nc_u32_e32 v61, 28, v30
	v_sub_nc_u32_e32 v30, 29, v30
	v_dual_cndmask_b32 v20, v31, v30, s0 :: v_dual_cndmask_b32 v30, 0, v61, s0
	s_delay_alu instid0(VALU_DEP_1) | instskip(NEXT) | instid1(VALU_DEP_2)
	v_lshl_add_u32 v20, v20, 23, 0x3c000000
	v_lshlrev_b64_e32 v[30:31], v30, v[0:1]
	v_lshlrev_b32_e32 v31, 24, v0
	s_delay_alu instid0(VALU_DEP_1) | instskip(NEXT) | instid1(VALU_DEP_3)
	v_and_b32_e32 v31, 0x80000000, v31
	v_lshlrev_b32_e32 v30, 20, v30
	s_delay_alu instid0(VALU_DEP_1) | instskip(NEXT) | instid1(VALU_DEP_1)
	v_and_b32_e32 v30, 0x700000, v30
	v_or3_b32 v61, v30, v31, v20
.LBB346_774:                            ;   in Loop: Header=BB346_645 Depth=1
	s_or_b32 exec_lo, exec_lo, s23
.LBB346_775:                            ;   in Loop: Header=BB346_645 Depth=1
	s_delay_alu instid0(SALU_CYCLE_1)
	s_or_b32 exec_lo, exec_lo, s22
.LBB346_776:                            ;   in Loop: Header=BB346_645 Depth=1
	s_delay_alu instid0(SALU_CYCLE_1) | instskip(SKIP_2) | instid1(VALU_DEP_1)
	s_or_b32 exec_lo, exec_lo, s21
	v_lshrrev_b16 v20, 8, v0
	s_mov_b32 s21, exec_lo
	v_cmpx_ne_u16_e32 0, v20
	s_cbranch_execz .LBB346_784
; %bb.777:                              ;   in Loop: Header=BB346_645 Depth=1
	v_bfrev_b32_e32 v62, 1
	s_mov_b32 s22, exec_lo
	v_cmpx_ne_u16_e32 0x80, v20
	s_cbranch_execz .LBB346_783
; %bb.778:                              ;   in Loop: Header=BB346_645 Depth=1
	v_and_b32_e32 v20, 0xffff, v20
	v_mov_b32_e32 v62, 0x7f800001
	s_mov_b32 s23, exec_lo
	s_delay_alu instid0(VALU_DEP_2) | instskip(NEXT) | instid1(VALU_DEP_1)
	v_and_b32_e32 v31, 0x7f, v20
	v_cmpx_ne_u32_e32 0x7f, v31
	s_cbranch_execz .LBB346_782
; %bb.779:                              ;   in Loop: Header=BB346_645 Depth=1
	v_dual_lshrrev_b32 v30, 3, v31 :: v_dual_bitop2_b32 v20, 7, v20 bitop3:0x40
	s_mov_b32 s24, exec_lo
	v_cmpx_gt_u32_e32 8, v31
; %bb.780:                              ;   in Loop: Header=BB346_645 Depth=1
	s_delay_alu instid0(VALU_DEP_2) | instskip(NEXT) | instid1(VALU_DEP_1)
	v_clz_i32_u32_e32 v30, v20
	v_min_u32_e32 v30, 32, v30
	s_delay_alu instid0(VALU_DEP_1) | instskip(SKIP_1) | instid1(VALU_DEP_2)
	v_subrev_nc_u32_e32 v31, 28, v30
	v_sub_nc_u32_e32 v30, 29, v30
	v_lshlrev_b64_e32 v[62:63], v31, v[20:21]
	s_delay_alu instid0(VALU_DEP_1)
	v_and_b32_e32 v20, 7, v62
; %bb.781:                              ;   in Loop: Header=BB346_645 Depth=1
	s_or_b32 exec_lo, exec_lo, s24
	v_lshlrev_b32_e32 v31, 16, v0
	s_delay_alu instid0(VALU_DEP_2) | instskip(SKIP_1) | instid1(VALU_DEP_3)
	v_lshlrev_b32_e32 v20, 20, v20
	v_lshl_add_u32 v30, v30, 23, 0x3c000000
	v_and_b32_e32 v31, 0x80000000, v31
	s_delay_alu instid0(VALU_DEP_1)
	v_or3_b32 v62, v20, v31, v30
.LBB346_782:                            ;   in Loop: Header=BB346_645 Depth=1
	s_or_b32 exec_lo, exec_lo, s23
.LBB346_783:                            ;   in Loop: Header=BB346_645 Depth=1
	s_delay_alu instid0(SALU_CYCLE_1)
	s_or_b32 exec_lo, exec_lo, s22
.LBB346_784:                            ;   in Loop: Header=BB346_645 Depth=1
	s_delay_alu instid0(SALU_CYCLE_1) | instskip(SKIP_3) | instid1(VALU_DEP_2)
	s_or_b32 exec_lo, exec_lo, s21
	v_dual_mov_b32 v65, 0 :: v_dual_lshrrev_b32 v30, 16, v0
	v_mov_b32_e32 v66, 0
	s_mov_b32 s21, exec_lo
	v_and_b32_e32 v20, 0xff, v30
	s_delay_alu instid0(VALU_DEP_1)
	v_cmpx_ne_u16_e32 0, v20
	s_cbranch_execz .LBB346_792
; %bb.785:                              ;   in Loop: Header=BB346_645 Depth=1
	v_bfrev_b32_e32 v66, 1
	s_mov_b32 s22, exec_lo
	v_cmpx_ne_u16_e32 0x80, v20
	s_cbranch_execz .LBB346_791
; %bb.786:                              ;   in Loop: Header=BB346_645 Depth=1
	v_bfe_u32 v63, v0, 16, 7
	v_mov_b32_e32 v66, 0x7f800001
	s_mov_b32 s23, exec_lo
	s_delay_alu instid0(VALU_DEP_2)
	v_cmpx_ne_u32_e32 0x7f, v63
	s_cbranch_execz .LBB346_790
; %bb.787:                              ;   in Loop: Header=BB346_645 Depth=1
	v_dual_lshrrev_b32 v31, 3, v63 :: v_dual_bitop2_b32 v20, 7, v30 bitop3:0x40
	s_mov_b32 s24, exec_lo
	v_cmpx_gt_u32_e32 8, v63
; %bb.788:                              ;   in Loop: Header=BB346_645 Depth=1
	s_delay_alu instid0(VALU_DEP_2) | instskip(NEXT) | instid1(VALU_DEP_1)
	v_clz_i32_u32_e32 v31, v20
	v_min_u32_e32 v31, 32, v31
	s_delay_alu instid0(VALU_DEP_1) | instskip(NEXT) | instid1(VALU_DEP_1)
	v_subrev_nc_u32_e32 v63, 28, v31
	v_lshlrev_b64_e32 v[66:67], v63, v[20:21]
	s_delay_alu instid0(VALU_DEP_1)
	v_dual_sub_nc_u32 v31, 29, v31 :: v_dual_bitop2_b32 v20, 7, v66 bitop3:0x40
; %bb.789:                              ;   in Loop: Header=BB346_645 Depth=1
	s_or_b32 exec_lo, exec_lo, s24
	s_delay_alu instid0(VALU_DEP_1) | instskip(NEXT) | instid1(VALU_DEP_2)
	v_dual_lshlrev_b32 v30, 24, v30 :: v_dual_lshlrev_b32 v20, 20, v20
	v_lshl_add_u32 v31, v31, 23, 0x3c000000
	s_delay_alu instid0(VALU_DEP_2) | instskip(NEXT) | instid1(VALU_DEP_1)
	v_and_b32_e32 v30, 0x80000000, v30
	v_or3_b32 v66, v20, v30, v31
.LBB346_790:                            ;   in Loop: Header=BB346_645 Depth=1
	s_or_b32 exec_lo, exec_lo, s23
.LBB346_791:                            ;   in Loop: Header=BB346_645 Depth=1
	s_delay_alu instid0(SALU_CYCLE_1)
	s_or_b32 exec_lo, exec_lo, s22
.LBB346_792:                            ;   in Loop: Header=BB346_645 Depth=1
	s_delay_alu instid0(SALU_CYCLE_1) | instskip(NEXT) | instid1(SALU_CYCLE_1)
	s_or_b32 exec_lo, exec_lo, s21
	s_mov_b32 s21, exec_lo
	v_cmpx_lt_u32_e32 0xffffff, v0
	s_cbranch_execz .LBB346_800
; %bb.793:                              ;   in Loop: Header=BB346_645 Depth=1
	v_lshrrev_b32_e32 v30, 24, v0
	v_bfrev_b32_e32 v65, 1
	s_mov_b32 s22, exec_lo
	s_delay_alu instid0(VALU_DEP_2)
	v_cmpx_ne_u32_e32 0x80, v30
	s_cbranch_execz .LBB346_799
; %bb.794:                              ;   in Loop: Header=BB346_645 Depth=1
	v_bfe_u32 v63, v0, 24, 7
	v_mov_b32_e32 v65, 0x7f800001
	s_mov_b32 s23, exec_lo
	s_delay_alu instid0(VALU_DEP_2)
	v_cmpx_ne_u32_e32 0x7f, v63
	s_cbranch_execz .LBB346_798
; %bb.795:                              ;   in Loop: Header=BB346_645 Depth=1
	v_dual_lshrrev_b32 v31, 3, v63 :: v_dual_bitop2_b32 v20, 7, v30 bitop3:0x40
	s_mov_b32 s24, exec_lo
	v_cmpx_gt_u32_e32 8, v63
; %bb.796:                              ;   in Loop: Header=BB346_645 Depth=1
	s_delay_alu instid0(VALU_DEP_2) | instskip(NEXT) | instid1(VALU_DEP_1)
	v_clz_i32_u32_e32 v31, v20
	v_min_u32_e32 v31, 32, v31
	s_delay_alu instid0(VALU_DEP_1) | instskip(NEXT) | instid1(VALU_DEP_1)
	v_subrev_nc_u32_e32 v63, 28, v31
	v_lshlrev_b64_e32 v[64:65], v63, v[20:21]
	s_delay_alu instid0(VALU_DEP_1)
	v_dual_sub_nc_u32 v31, 29, v31 :: v_dual_bitop2_b32 v20, 7, v64 bitop3:0x40
; %bb.797:                              ;   in Loop: Header=BB346_645 Depth=1
	s_or_b32 exec_lo, exec_lo, s24
	s_delay_alu instid0(VALU_DEP_1) | instskip(NEXT) | instid1(VALU_DEP_2)
	v_dual_lshlrev_b32 v30, 24, v30 :: v_dual_lshlrev_b32 v20, 20, v20
	v_lshl_add_u32 v31, v31, 23, 0x3c000000
	s_delay_alu instid0(VALU_DEP_2) | instskip(NEXT) | instid1(VALU_DEP_1)
	v_and_b32_e32 v30, 0x80000000, v30
	v_or3_b32 v65, v20, v30, v31
.LBB346_798:                            ;   in Loop: Header=BB346_645 Depth=1
	s_or_b32 exec_lo, exec_lo, s23
.LBB346_799:                            ;   in Loop: Header=BB346_645 Depth=1
	s_delay_alu instid0(SALU_CYCLE_1)
	s_or_b32 exec_lo, exec_lo, s22
.LBB346_800:                            ;   in Loop: Header=BB346_645 Depth=1
	s_delay_alu instid0(SALU_CYCLE_1) | instskip(SKIP_4) | instid1(VALU_DEP_3)
	s_or_b32 exec_lo, exec_lo, s21
	v_and_b32_e32 v31, 0xff, v1
	v_dual_mov_b32 v20, v1 :: v_dual_mov_b32 v30, 0
	v_mov_b32_e32 v64, 0
	s_mov_b32 s21, exec_lo
	v_cmpx_ne_u16_e32 0, v31
	s_cbranch_execz .LBB346_806
; %bb.801:                              ;   in Loop: Header=BB346_645 Depth=1
	v_bfrev_b32_e32 v64, 1
	s_mov_b32 s22, exec_lo
	v_cmpx_ne_u16_e32 0x80, v31
	s_cbranch_execz .LBB346_805
; %bb.802:                              ;   in Loop: Header=BB346_645 Depth=1
	v_and_b32_e32 v31, 0x7f, v1
	v_mov_b32_e32 v64, 0x7f800001
	s_mov_b32 s23, exec_lo
	s_delay_alu instid0(VALU_DEP_2)
	v_cmpx_ne_u32_e32 0x7f, v31
	s_cbranch_execz .LBB346_804
; %bb.803:                              ;   in Loop: Header=BB346_645 Depth=1
	v_dual_lshrrev_b32 v64, 3, v31 :: v_dual_bitop2_b32 v63, 7, v1 bitop3:0x40
	v_cmp_gt_u32_e64 s0, 8, v31
	s_delay_alu instid0(VALU_DEP_2) | instskip(NEXT) | instid1(VALU_DEP_1)
	v_clz_i32_u32_e32 v63, v63
	v_min_u32_e32 v63, 32, v63
	s_delay_alu instid0(VALU_DEP_1) | instskip(SKIP_1) | instid1(VALU_DEP_1)
	v_subrev_nc_u32_e32 v67, 28, v63
	v_sub_nc_u32_e32 v63, 29, v63
	v_cndmask_b32_e64 v31, v64, v63, s0
	s_delay_alu instid0(VALU_DEP_3) | instskip(NEXT) | instid1(VALU_DEP_1)
	v_cndmask_b32_e64 v63, 0, v67, s0
	v_lshlrev_b64_e32 v[68:69], v63, v[20:21]
	v_lshlrev_b32_e32 v63, 24, v20
	s_delay_alu instid0(VALU_DEP_4) | instskip(NEXT) | instid1(VALU_DEP_2)
	v_lshl_add_u32 v31, v31, 23, 0x3c000000
	v_and_b32_e32 v63, 0x80000000, v63
	s_delay_alu instid0(VALU_DEP_4) | instskip(NEXT) | instid1(VALU_DEP_1)
	v_lshlrev_b32_e32 v64, 20, v68
	v_and_b32_e32 v64, 0x700000, v64
	s_delay_alu instid0(VALU_DEP_1)
	v_or3_b32 v64, v64, v63, v31
.LBB346_804:                            ;   in Loop: Header=BB346_645 Depth=1
	s_or_b32 exec_lo, exec_lo, s23
.LBB346_805:                            ;   in Loop: Header=BB346_645 Depth=1
	s_delay_alu instid0(SALU_CYCLE_1)
	s_or_b32 exec_lo, exec_lo, s22
.LBB346_806:                            ;   in Loop: Header=BB346_645 Depth=1
	s_delay_alu instid0(SALU_CYCLE_1) | instskip(SKIP_2) | instid1(VALU_DEP_1)
	s_or_b32 exec_lo, exec_lo, s21
	v_lshrrev_b16 v31, 8, v20
	s_mov_b32 s21, exec_lo
	v_cmpx_ne_u16_e32 0, v31
	s_cbranch_execz .LBB346_814
; %bb.807:                              ;   in Loop: Header=BB346_645 Depth=1
	v_bfrev_b32_e32 v30, 1
	s_mov_b32 s22, exec_lo
	v_cmpx_ne_u16_e32 0x80, v31
	s_cbranch_execz .LBB346_813
; %bb.808:                              ;   in Loop: Header=BB346_645 Depth=1
	v_and_b32_e32 v31, 0xffff, v31
	v_mov_b32_e32 v30, 0x7f800001
	s_mov_b32 s23, exec_lo
	s_delay_alu instid0(VALU_DEP_2) | instskip(NEXT) | instid1(VALU_DEP_1)
	v_and_b32_e32 v67, 0x7f, v31
	v_cmpx_ne_u32_e32 0x7f, v67
	s_cbranch_execz .LBB346_812
; %bb.809:                              ;   in Loop: Header=BB346_645 Depth=1
	v_dual_mov_b32 v31, v21 :: v_dual_bitop2_b32 v30, 7, v31 bitop3:0x40
	v_lshrrev_b32_e32 v63, 3, v67
	s_mov_b32 s24, exec_lo
	v_cmpx_gt_u32_e32 8, v67
; %bb.810:                              ;   in Loop: Header=BB346_645 Depth=1
	s_delay_alu instid0(VALU_DEP_3) | instskip(NEXT) | instid1(VALU_DEP_1)
	v_clz_i32_u32_e32 v63, v30
	v_min_u32_e32 v63, 32, v63
	s_delay_alu instid0(VALU_DEP_1) | instskip(NEXT) | instid1(VALU_DEP_1)
	v_subrev_nc_u32_e32 v67, 28, v63
	v_lshlrev_b64_e32 v[30:31], v67, v[30:31]
	s_delay_alu instid0(VALU_DEP_1)
	v_dual_sub_nc_u32 v63, 29, v63 :: v_dual_bitop2_b32 v30, 7, v30 bitop3:0x40
; %bb.811:                              ;   in Loop: Header=BB346_645 Depth=1
	s_or_b32 exec_lo, exec_lo, s24
	s_delay_alu instid0(VALU_DEP_1) | instskip(NEXT) | instid1(VALU_DEP_2)
	v_dual_lshlrev_b32 v20, 16, v20 :: v_dual_lshlrev_b32 v30, 20, v30
	v_lshl_add_u32 v31, v63, 23, 0x3c000000
	s_delay_alu instid0(VALU_DEP_2) | instskip(NEXT) | instid1(VALU_DEP_1)
	v_and_b32_e32 v20, 0x80000000, v20
	v_or3_b32 v30, v30, v20, v31
.LBB346_812:                            ;   in Loop: Header=BB346_645 Depth=1
	s_or_b32 exec_lo, exec_lo, s23
.LBB346_813:                            ;   in Loop: Header=BB346_645 Depth=1
	s_delay_alu instid0(SALU_CYCLE_1)
	s_or_b32 exec_lo, exec_lo, s22
.LBB346_814:                            ;   in Loop: Header=BB346_645 Depth=1
	s_delay_alu instid0(SALU_CYCLE_1) | instskip(SKIP_3) | instid1(VALU_DEP_2)
	s_or_b32 exec_lo, exec_lo, s21
	v_dual_lshrrev_b32 v63, 16, v1 :: v_dual_mov_b32 v31, 0
	v_mov_b32_e32 v69, 0
	s_mov_b32 s21, exec_lo
	v_and_b32_e32 v20, 0xff, v63
	s_delay_alu instid0(VALU_DEP_1)
	v_cmpx_ne_u16_e32 0, v20
	s_cbranch_execz .LBB346_822
; %bb.815:                              ;   in Loop: Header=BB346_645 Depth=1
	v_bfrev_b32_e32 v69, 1
	s_mov_b32 s22, exec_lo
	v_cmpx_ne_u16_e32 0x80, v20
	s_cbranch_execz .LBB346_821
; %bb.816:                              ;   in Loop: Header=BB346_645 Depth=1
	v_bfe_u32 v68, v1, 16, 7
	v_mov_b32_e32 v69, 0x7f800001
	s_mov_b32 s23, exec_lo
	s_delay_alu instid0(VALU_DEP_2)
	v_cmpx_ne_u32_e32 0x7f, v68
	s_cbranch_execz .LBB346_820
; %bb.817:                              ;   in Loop: Header=BB346_645 Depth=1
	v_dual_lshrrev_b32 v67, 3, v68 :: v_dual_bitop2_b32 v20, 7, v63 bitop3:0x40
	s_mov_b32 s24, exec_lo
	v_cmpx_gt_u32_e32 8, v68
; %bb.818:                              ;   in Loop: Header=BB346_645 Depth=1
	s_delay_alu instid0(VALU_DEP_2) | instskip(NEXT) | instid1(VALU_DEP_1)
	v_clz_i32_u32_e32 v67, v20
	v_min_u32_e32 v67, 32, v67
	s_delay_alu instid0(VALU_DEP_1) | instskip(NEXT) | instid1(VALU_DEP_1)
	v_subrev_nc_u32_e32 v68, 28, v67
	v_lshlrev_b64_e32 v[68:69], v68, v[20:21]
	s_delay_alu instid0(VALU_DEP_1)
	v_dual_sub_nc_u32 v67, 29, v67 :: v_dual_bitop2_b32 v20, 7, v68 bitop3:0x40
; %bb.819:                              ;   in Loop: Header=BB346_645 Depth=1
	s_or_b32 exec_lo, exec_lo, s24
	s_delay_alu instid0(VALU_DEP_1) | instskip(NEXT) | instid1(VALU_DEP_2)
	v_dual_lshlrev_b32 v63, 24, v63 :: v_dual_lshlrev_b32 v20, 20, v20
	v_lshl_add_u32 v67, v67, 23, 0x3c000000
	s_delay_alu instid0(VALU_DEP_2) | instskip(NEXT) | instid1(VALU_DEP_1)
	v_and_b32_e32 v63, 0x80000000, v63
	v_or3_b32 v69, v20, v63, v67
.LBB346_820:                            ;   in Loop: Header=BB346_645 Depth=1
	s_or_b32 exec_lo, exec_lo, s23
.LBB346_821:                            ;   in Loop: Header=BB346_645 Depth=1
	s_delay_alu instid0(SALU_CYCLE_1)
	s_or_b32 exec_lo, exec_lo, s22
.LBB346_822:                            ;   in Loop: Header=BB346_645 Depth=1
	s_delay_alu instid0(SALU_CYCLE_1) | instskip(NEXT) | instid1(SALU_CYCLE_1)
	s_or_b32 exec_lo, exec_lo, s21
	s_mov_b32 s21, exec_lo
	v_cmpx_lt_u64_e64 s[2:3], v[0:1]
	s_cbranch_execz .LBB346_830
; %bb.823:                              ;   in Loop: Header=BB346_645 Depth=1
	v_lshrrev_b32_e32 v0, 24, v1
	v_bfrev_b32_e32 v31, 1
	s_mov_b32 s22, exec_lo
	s_delay_alu instid0(VALU_DEP_2)
	v_cmpx_ne_u32_e32 0x80, v0
	s_cbranch_execz .LBB346_829
; %bb.824:                              ;   in Loop: Header=BB346_645 Depth=1
	v_bfe_u32 v63, v1, 24, 7
	v_mov_b32_e32 v31, 0x7f800001
	s_mov_b32 s23, exec_lo
	s_delay_alu instid0(VALU_DEP_2)
	v_cmpx_ne_u32_e32 0x7f, v63
	s_cbranch_execz .LBB346_828
; %bb.825:                              ;   in Loop: Header=BB346_645 Depth=1
	v_dual_lshrrev_b32 v1, 3, v63 :: v_dual_bitop2_b32 v20, 7, v0 bitop3:0x40
	s_mov_b32 s24, exec_lo
	v_cmpx_gt_u32_e32 8, v63
; %bb.826:                              ;   in Loop: Header=BB346_645 Depth=1
	s_delay_alu instid0(VALU_DEP_2) | instskip(NEXT) | instid1(VALU_DEP_1)
	v_clz_i32_u32_e32 v1, v20
	v_min_u32_e32 v1, 32, v1
	s_delay_alu instid0(VALU_DEP_1) | instskip(NEXT) | instid1(VALU_DEP_1)
	v_subrev_nc_u32_e32 v31, 28, v1
	v_lshlrev_b64_e32 v[70:71], v31, v[20:21]
	s_delay_alu instid0(VALU_DEP_1)
	v_dual_sub_nc_u32 v1, 29, v1 :: v_dual_bitop2_b32 v20, 7, v70 bitop3:0x40
; %bb.827:                              ;   in Loop: Header=BB346_645 Depth=1
	s_or_b32 exec_lo, exec_lo, s24
	v_lshlrev_b32_e32 v0, 24, v0
	s_delay_alu instid0(VALU_DEP_2) | instskip(NEXT) | instid1(VALU_DEP_3)
	v_lshlrev_b32_e32 v20, 20, v20
	v_lshl_add_u32 v1, v1, 23, 0x3c000000
	s_delay_alu instid0(VALU_DEP_3) | instskip(NEXT) | instid1(VALU_DEP_1)
	v_and_b32_e32 v0, 0x80000000, v0
	v_or3_b32 v31, v20, v0, v1
.LBB346_828:                            ;   in Loop: Header=BB346_645 Depth=1
	s_or_b32 exec_lo, exec_lo, s23
.LBB346_829:                            ;   in Loop: Header=BB346_645 Depth=1
	s_delay_alu instid0(SALU_CYCLE_1)
	s_or_b32 exec_lo, exec_lo, s22
.LBB346_830:                            ;   in Loop: Header=BB346_645 Depth=1
	s_delay_alu instid0(SALU_CYCLE_1)
	s_or_b32 exec_lo, exec_lo, s21
	v_fma_mixlo_bf16 v63, s20, v30, 0
	v_fma_mixlo_bf16 v64, s20, v64, 0
	;; [unrolled: 1-line block ×8, first 2 shown]
	s_and_saveexec_b32 s21, vcc_lo
	s_cbranch_execz .LBB346_832
; %bb.831:                              ;   in Loop: Header=BB346_645 Depth=1
	v_cmp_gt_i32_e64 s0, s34, v45
	s_delay_alu instid0(VALU_DEP_1) | instskip(SKIP_1) | instid1(VALU_DEP_1)
	v_cndmask_b32_e64 v68, 0, v68, s0
	v_cmp_gt_i32_e64 s0, s34, v52
	v_cndmask_b32_e64 v67, 0, v67, s0
	v_cmp_gt_i32_e64 s0, s34, v51
	s_delay_alu instid0(VALU_DEP_1) | instskip(SKIP_1) | instid1(VALU_DEP_1)
	v_cndmask_b32_e64 v66, 0, v66, s0
	v_cmp_gt_i32_e64 s0, s34, v50
	v_cndmask_b32_e64 v65, 0, v65, s0
	v_cmp_gt_i32_e64 s0, s34, v49
	s_delay_alu instid0(VALU_DEP_1) | instskip(SKIP_1) | instid1(VALU_DEP_1)
	v_cndmask_b32_e64 v64, 0, v64, s0
	v_cmp_gt_i32_e64 s0, s34, v48
	v_cndmask_b32_e64 v63, 0, v63, s0
	v_cmp_gt_i32_e64 s0, s34, v47
	s_delay_alu instid0(VALU_DEP_1) | instskip(SKIP_1) | instid1(VALU_DEP_1)
	v_cndmask_b32_e64 v61, 0, v61, s0
	v_cmp_gt_i32_e64 s0, s34, v46
	v_cndmask_b32_e64 v62, 0, v62, s0
.LBB346_832:                            ;   in Loop: Header=BB346_645 Depth=1
	s_or_b32 exec_lo, exec_lo, s21
	global_load_b64 v[0:1], v[28:29], off offset:768
	v_dual_mov_b32 v70, 0 :: v_dual_mov_b32 v69, 0
	s_mov_b32 s21, exec_lo
	s_wait_loadcnt 0x0
	v_and_b32_e32 v20, 0xff, v0
	s_delay_alu instid0(VALU_DEP_1)
	v_cmpx_ne_u16_e32 0, v20
	s_cbranch_execz .LBB346_838
; %bb.833:                              ;   in Loop: Header=BB346_645 Depth=1
	v_bfrev_b32_e32 v69, 1
	s_mov_b32 s22, exec_lo
	v_cmpx_ne_u16_e32 0x80, v20
	s_cbranch_execz .LBB346_837
; %bb.834:                              ;   in Loop: Header=BB346_645 Depth=1
	v_and_b32_e32 v20, 0x7f, v0
	v_mov_b32_e32 v69, 0x7f800001
	s_mov_b32 s23, exec_lo
	s_delay_alu instid0(VALU_DEP_2)
	v_cmpx_ne_u32_e32 0x7f, v20
	s_cbranch_execz .LBB346_836
; %bb.835:                              ;   in Loop: Header=BB346_645 Depth=1
	v_and_b32_e32 v30, 7, v0
	v_cmp_gt_u32_e64 s0, 8, v20
	s_delay_alu instid0(VALU_DEP_2) | instskip(NEXT) | instid1(VALU_DEP_1)
	v_clz_i32_u32_e32 v30, v30
	v_min_u32_e32 v30, 32, v30
	v_lshrrev_b32_e32 v31, 3, v20
	s_delay_alu instid0(VALU_DEP_2) | instskip(SKIP_1) | instid1(VALU_DEP_1)
	v_subrev_nc_u32_e32 v69, 28, v30
	v_sub_nc_u32_e32 v30, 29, v30
	v_dual_cndmask_b32 v20, v31, v30, s0 :: v_dual_cndmask_b32 v30, 0, v69, s0
	s_delay_alu instid0(VALU_DEP_1) | instskip(NEXT) | instid1(VALU_DEP_2)
	v_lshl_add_u32 v20, v20, 23, 0x3c000000
	v_lshlrev_b64_e32 v[30:31], v30, v[0:1]
	v_lshlrev_b32_e32 v31, 24, v0
	s_delay_alu instid0(VALU_DEP_1) | instskip(NEXT) | instid1(VALU_DEP_3)
	v_and_b32_e32 v31, 0x80000000, v31
	v_lshlrev_b32_e32 v30, 20, v30
	s_delay_alu instid0(VALU_DEP_1) | instskip(NEXT) | instid1(VALU_DEP_1)
	v_and_b32_e32 v30, 0x700000, v30
	v_or3_b32 v69, v30, v31, v20
.LBB346_836:                            ;   in Loop: Header=BB346_645 Depth=1
	s_or_b32 exec_lo, exec_lo, s23
.LBB346_837:                            ;   in Loop: Header=BB346_645 Depth=1
	s_delay_alu instid0(SALU_CYCLE_1)
	s_or_b32 exec_lo, exec_lo, s22
.LBB346_838:                            ;   in Loop: Header=BB346_645 Depth=1
	s_delay_alu instid0(SALU_CYCLE_1) | instskip(SKIP_2) | instid1(VALU_DEP_1)
	s_or_b32 exec_lo, exec_lo, s21
	v_lshrrev_b16 v20, 8, v0
	s_mov_b32 s21, exec_lo
	v_cmpx_ne_u16_e32 0, v20
	s_cbranch_execz .LBB346_846
; %bb.839:                              ;   in Loop: Header=BB346_645 Depth=1
	v_bfrev_b32_e32 v70, 1
	s_mov_b32 s22, exec_lo
	v_cmpx_ne_u16_e32 0x80, v20
	s_cbranch_execz .LBB346_845
; %bb.840:                              ;   in Loop: Header=BB346_645 Depth=1
	v_and_b32_e32 v20, 0xffff, v20
	v_mov_b32_e32 v70, 0x7f800001
	s_mov_b32 s23, exec_lo
	s_delay_alu instid0(VALU_DEP_2) | instskip(NEXT) | instid1(VALU_DEP_1)
	v_and_b32_e32 v31, 0x7f, v20
	v_cmpx_ne_u32_e32 0x7f, v31
	s_cbranch_execz .LBB346_844
; %bb.841:                              ;   in Loop: Header=BB346_645 Depth=1
	v_dual_lshrrev_b32 v30, 3, v31 :: v_dual_bitop2_b32 v20, 7, v20 bitop3:0x40
	s_mov_b32 s24, exec_lo
	v_cmpx_gt_u32_e32 8, v31
; %bb.842:                              ;   in Loop: Header=BB346_645 Depth=1
	s_delay_alu instid0(VALU_DEP_2) | instskip(NEXT) | instid1(VALU_DEP_1)
	v_clz_i32_u32_e32 v30, v20
	v_min_u32_e32 v30, 32, v30
	s_delay_alu instid0(VALU_DEP_1) | instskip(SKIP_1) | instid1(VALU_DEP_2)
	v_subrev_nc_u32_e32 v31, 28, v30
	v_sub_nc_u32_e32 v30, 29, v30
	v_lshlrev_b64_e32 v[70:71], v31, v[20:21]
	s_delay_alu instid0(VALU_DEP_1)
	v_and_b32_e32 v20, 7, v70
; %bb.843:                              ;   in Loop: Header=BB346_645 Depth=1
	s_or_b32 exec_lo, exec_lo, s24
	v_lshlrev_b32_e32 v31, 16, v0
	s_delay_alu instid0(VALU_DEP_2) | instskip(SKIP_1) | instid1(VALU_DEP_3)
	v_lshlrev_b32_e32 v20, 20, v20
	v_lshl_add_u32 v30, v30, 23, 0x3c000000
	v_and_b32_e32 v31, 0x80000000, v31
	s_delay_alu instid0(VALU_DEP_1)
	v_or3_b32 v70, v20, v31, v30
.LBB346_844:                            ;   in Loop: Header=BB346_645 Depth=1
	s_or_b32 exec_lo, exec_lo, s23
.LBB346_845:                            ;   in Loop: Header=BB346_645 Depth=1
	s_delay_alu instid0(SALU_CYCLE_1)
	s_or_b32 exec_lo, exec_lo, s22
.LBB346_846:                            ;   in Loop: Header=BB346_645 Depth=1
	s_delay_alu instid0(SALU_CYCLE_1) | instskip(SKIP_3) | instid1(VALU_DEP_2)
	s_or_b32 exec_lo, exec_lo, s21
	v_dual_mov_b32 v73, 0 :: v_dual_lshrrev_b32 v30, 16, v0
	v_mov_b32_e32 v74, 0
	s_mov_b32 s21, exec_lo
	v_and_b32_e32 v20, 0xff, v30
	s_delay_alu instid0(VALU_DEP_1)
	v_cmpx_ne_u16_e32 0, v20
	s_cbranch_execz .LBB346_854
; %bb.847:                              ;   in Loop: Header=BB346_645 Depth=1
	v_bfrev_b32_e32 v74, 1
	s_mov_b32 s22, exec_lo
	v_cmpx_ne_u16_e32 0x80, v20
	s_cbranch_execz .LBB346_853
; %bb.848:                              ;   in Loop: Header=BB346_645 Depth=1
	v_bfe_u32 v71, v0, 16, 7
	v_mov_b32_e32 v74, 0x7f800001
	s_mov_b32 s23, exec_lo
	s_delay_alu instid0(VALU_DEP_2)
	v_cmpx_ne_u32_e32 0x7f, v71
	s_cbranch_execz .LBB346_852
; %bb.849:                              ;   in Loop: Header=BB346_645 Depth=1
	v_dual_lshrrev_b32 v31, 3, v71 :: v_dual_bitop2_b32 v20, 7, v30 bitop3:0x40
	s_mov_b32 s24, exec_lo
	v_cmpx_gt_u32_e32 8, v71
; %bb.850:                              ;   in Loop: Header=BB346_645 Depth=1
	s_delay_alu instid0(VALU_DEP_2) | instskip(NEXT) | instid1(VALU_DEP_1)
	v_clz_i32_u32_e32 v31, v20
	v_min_u32_e32 v31, 32, v31
	s_delay_alu instid0(VALU_DEP_1) | instskip(NEXT) | instid1(VALU_DEP_1)
	v_subrev_nc_u32_e32 v71, 28, v31
	v_lshlrev_b64_e32 v[74:75], v71, v[20:21]
	s_delay_alu instid0(VALU_DEP_1)
	v_dual_sub_nc_u32 v31, 29, v31 :: v_dual_bitop2_b32 v20, 7, v74 bitop3:0x40
; %bb.851:                              ;   in Loop: Header=BB346_645 Depth=1
	s_or_b32 exec_lo, exec_lo, s24
	s_delay_alu instid0(VALU_DEP_1) | instskip(NEXT) | instid1(VALU_DEP_2)
	v_dual_lshlrev_b32 v30, 24, v30 :: v_dual_lshlrev_b32 v20, 20, v20
	v_lshl_add_u32 v31, v31, 23, 0x3c000000
	s_delay_alu instid0(VALU_DEP_2) | instskip(NEXT) | instid1(VALU_DEP_1)
	v_and_b32_e32 v30, 0x80000000, v30
	v_or3_b32 v74, v20, v30, v31
.LBB346_852:                            ;   in Loop: Header=BB346_645 Depth=1
	s_or_b32 exec_lo, exec_lo, s23
.LBB346_853:                            ;   in Loop: Header=BB346_645 Depth=1
	s_delay_alu instid0(SALU_CYCLE_1)
	s_or_b32 exec_lo, exec_lo, s22
.LBB346_854:                            ;   in Loop: Header=BB346_645 Depth=1
	s_delay_alu instid0(SALU_CYCLE_1) | instskip(NEXT) | instid1(SALU_CYCLE_1)
	s_or_b32 exec_lo, exec_lo, s21
	s_mov_b32 s21, exec_lo
	v_cmpx_lt_u32_e32 0xffffff, v0
	s_cbranch_execz .LBB346_862
; %bb.855:                              ;   in Loop: Header=BB346_645 Depth=1
	v_lshrrev_b32_e32 v30, 24, v0
	v_bfrev_b32_e32 v73, 1
	s_mov_b32 s22, exec_lo
	s_delay_alu instid0(VALU_DEP_2)
	v_cmpx_ne_u32_e32 0x80, v30
	s_cbranch_execz .LBB346_861
; %bb.856:                              ;   in Loop: Header=BB346_645 Depth=1
	v_bfe_u32 v71, v0, 24, 7
	v_mov_b32_e32 v73, 0x7f800001
	s_mov_b32 s23, exec_lo
	s_delay_alu instid0(VALU_DEP_2)
	v_cmpx_ne_u32_e32 0x7f, v71
	s_cbranch_execz .LBB346_860
; %bb.857:                              ;   in Loop: Header=BB346_645 Depth=1
	v_dual_lshrrev_b32 v31, 3, v71 :: v_dual_bitop2_b32 v20, 7, v30 bitop3:0x40
	s_mov_b32 s24, exec_lo
	v_cmpx_gt_u32_e32 8, v71
; %bb.858:                              ;   in Loop: Header=BB346_645 Depth=1
	s_delay_alu instid0(VALU_DEP_2) | instskip(NEXT) | instid1(VALU_DEP_1)
	v_clz_i32_u32_e32 v31, v20
	v_min_u32_e32 v31, 32, v31
	s_delay_alu instid0(VALU_DEP_1) | instskip(NEXT) | instid1(VALU_DEP_1)
	v_subrev_nc_u32_e32 v71, 28, v31
	v_lshlrev_b64_e32 v[72:73], v71, v[20:21]
	s_delay_alu instid0(VALU_DEP_1)
	v_dual_sub_nc_u32 v31, 29, v31 :: v_dual_bitop2_b32 v20, 7, v72 bitop3:0x40
; %bb.859:                              ;   in Loop: Header=BB346_645 Depth=1
	s_or_b32 exec_lo, exec_lo, s24
	s_delay_alu instid0(VALU_DEP_1) | instskip(NEXT) | instid1(VALU_DEP_2)
	v_dual_lshlrev_b32 v30, 24, v30 :: v_dual_lshlrev_b32 v20, 20, v20
	v_lshl_add_u32 v31, v31, 23, 0x3c000000
	s_delay_alu instid0(VALU_DEP_2) | instskip(NEXT) | instid1(VALU_DEP_1)
	v_and_b32_e32 v30, 0x80000000, v30
	v_or3_b32 v73, v20, v30, v31
.LBB346_860:                            ;   in Loop: Header=BB346_645 Depth=1
	s_or_b32 exec_lo, exec_lo, s23
.LBB346_861:                            ;   in Loop: Header=BB346_645 Depth=1
	s_delay_alu instid0(SALU_CYCLE_1)
	s_or_b32 exec_lo, exec_lo, s22
.LBB346_862:                            ;   in Loop: Header=BB346_645 Depth=1
	s_delay_alu instid0(SALU_CYCLE_1) | instskip(SKIP_4) | instid1(VALU_DEP_3)
	s_or_b32 exec_lo, exec_lo, s21
	v_and_b32_e32 v31, 0xff, v1
	v_dual_mov_b32 v20, v1 :: v_dual_mov_b32 v30, 0
	v_mov_b32_e32 v72, 0
	s_mov_b32 s21, exec_lo
	v_cmpx_ne_u16_e32 0, v31
	s_cbranch_execz .LBB346_868
; %bb.863:                              ;   in Loop: Header=BB346_645 Depth=1
	v_bfrev_b32_e32 v72, 1
	s_mov_b32 s22, exec_lo
	v_cmpx_ne_u16_e32 0x80, v31
	s_cbranch_execz .LBB346_867
; %bb.864:                              ;   in Loop: Header=BB346_645 Depth=1
	v_and_b32_e32 v31, 0x7f, v1
	v_mov_b32_e32 v72, 0x7f800001
	s_mov_b32 s23, exec_lo
	s_delay_alu instid0(VALU_DEP_2)
	v_cmpx_ne_u32_e32 0x7f, v31
	s_cbranch_execz .LBB346_866
; %bb.865:                              ;   in Loop: Header=BB346_645 Depth=1
	v_dual_lshrrev_b32 v72, 3, v31 :: v_dual_bitop2_b32 v71, 7, v1 bitop3:0x40
	v_cmp_gt_u32_e64 s0, 8, v31
	s_delay_alu instid0(VALU_DEP_2) | instskip(NEXT) | instid1(VALU_DEP_1)
	v_clz_i32_u32_e32 v71, v71
	v_min_u32_e32 v71, 32, v71
	s_delay_alu instid0(VALU_DEP_1) | instskip(SKIP_1) | instid1(VALU_DEP_1)
	v_subrev_nc_u32_e32 v75, 28, v71
	v_sub_nc_u32_e32 v71, 29, v71
	v_cndmask_b32_e64 v31, v72, v71, s0
	s_delay_alu instid0(VALU_DEP_3) | instskip(NEXT) | instid1(VALU_DEP_1)
	v_cndmask_b32_e64 v71, 0, v75, s0
	v_lshlrev_b64_e32 v[76:77], v71, v[20:21]
	v_lshlrev_b32_e32 v71, 24, v20
	s_delay_alu instid0(VALU_DEP_4) | instskip(NEXT) | instid1(VALU_DEP_2)
	v_lshl_add_u32 v31, v31, 23, 0x3c000000
	v_and_b32_e32 v71, 0x80000000, v71
	s_delay_alu instid0(VALU_DEP_4) | instskip(NEXT) | instid1(VALU_DEP_1)
	v_lshlrev_b32_e32 v72, 20, v76
	v_and_b32_e32 v72, 0x700000, v72
	s_delay_alu instid0(VALU_DEP_1)
	v_or3_b32 v72, v72, v71, v31
.LBB346_866:                            ;   in Loop: Header=BB346_645 Depth=1
	s_or_b32 exec_lo, exec_lo, s23
.LBB346_867:                            ;   in Loop: Header=BB346_645 Depth=1
	s_delay_alu instid0(SALU_CYCLE_1)
	s_or_b32 exec_lo, exec_lo, s22
.LBB346_868:                            ;   in Loop: Header=BB346_645 Depth=1
	s_delay_alu instid0(SALU_CYCLE_1) | instskip(SKIP_2) | instid1(VALU_DEP_1)
	s_or_b32 exec_lo, exec_lo, s21
	v_lshrrev_b16 v31, 8, v20
	s_mov_b32 s21, exec_lo
	v_cmpx_ne_u16_e32 0, v31
	s_cbranch_execz .LBB346_876
; %bb.869:                              ;   in Loop: Header=BB346_645 Depth=1
	v_bfrev_b32_e32 v30, 1
	s_mov_b32 s22, exec_lo
	v_cmpx_ne_u16_e32 0x80, v31
	s_cbranch_execz .LBB346_875
; %bb.870:                              ;   in Loop: Header=BB346_645 Depth=1
	v_and_b32_e32 v31, 0xffff, v31
	v_mov_b32_e32 v30, 0x7f800001
	s_mov_b32 s23, exec_lo
	s_delay_alu instid0(VALU_DEP_2) | instskip(NEXT) | instid1(VALU_DEP_1)
	v_and_b32_e32 v75, 0x7f, v31
	v_cmpx_ne_u32_e32 0x7f, v75
	s_cbranch_execz .LBB346_874
; %bb.871:                              ;   in Loop: Header=BB346_645 Depth=1
	v_dual_mov_b32 v31, v21 :: v_dual_bitop2_b32 v30, 7, v31 bitop3:0x40
	v_lshrrev_b32_e32 v71, 3, v75
	s_mov_b32 s24, exec_lo
	v_cmpx_gt_u32_e32 8, v75
; %bb.872:                              ;   in Loop: Header=BB346_645 Depth=1
	s_delay_alu instid0(VALU_DEP_3) | instskip(NEXT) | instid1(VALU_DEP_1)
	v_clz_i32_u32_e32 v71, v30
	v_min_u32_e32 v71, 32, v71
	s_delay_alu instid0(VALU_DEP_1) | instskip(NEXT) | instid1(VALU_DEP_1)
	v_subrev_nc_u32_e32 v75, 28, v71
	v_lshlrev_b64_e32 v[30:31], v75, v[30:31]
	s_delay_alu instid0(VALU_DEP_1)
	v_dual_sub_nc_u32 v71, 29, v71 :: v_dual_bitop2_b32 v30, 7, v30 bitop3:0x40
; %bb.873:                              ;   in Loop: Header=BB346_645 Depth=1
	s_or_b32 exec_lo, exec_lo, s24
	s_delay_alu instid0(VALU_DEP_1) | instskip(NEXT) | instid1(VALU_DEP_2)
	v_dual_lshlrev_b32 v20, 16, v20 :: v_dual_lshlrev_b32 v30, 20, v30
	v_lshl_add_u32 v31, v71, 23, 0x3c000000
	s_delay_alu instid0(VALU_DEP_2) | instskip(NEXT) | instid1(VALU_DEP_1)
	v_and_b32_e32 v20, 0x80000000, v20
	v_or3_b32 v30, v30, v20, v31
.LBB346_874:                            ;   in Loop: Header=BB346_645 Depth=1
	s_or_b32 exec_lo, exec_lo, s23
.LBB346_875:                            ;   in Loop: Header=BB346_645 Depth=1
	s_delay_alu instid0(SALU_CYCLE_1)
	s_or_b32 exec_lo, exec_lo, s22
.LBB346_876:                            ;   in Loop: Header=BB346_645 Depth=1
	s_delay_alu instid0(SALU_CYCLE_1) | instskip(SKIP_3) | instid1(VALU_DEP_2)
	s_or_b32 exec_lo, exec_lo, s21
	v_dual_lshrrev_b32 v71, 16, v1 :: v_dual_mov_b32 v31, 0
	v_mov_b32_e32 v77, 0
	s_mov_b32 s21, exec_lo
	v_and_b32_e32 v20, 0xff, v71
	s_delay_alu instid0(VALU_DEP_1)
	v_cmpx_ne_u16_e32 0, v20
	s_cbranch_execz .LBB346_884
; %bb.877:                              ;   in Loop: Header=BB346_645 Depth=1
	v_bfrev_b32_e32 v77, 1
	s_mov_b32 s22, exec_lo
	v_cmpx_ne_u16_e32 0x80, v20
	s_cbranch_execz .LBB346_883
; %bb.878:                              ;   in Loop: Header=BB346_645 Depth=1
	v_bfe_u32 v76, v1, 16, 7
	v_mov_b32_e32 v77, 0x7f800001
	s_mov_b32 s23, exec_lo
	s_delay_alu instid0(VALU_DEP_2)
	v_cmpx_ne_u32_e32 0x7f, v76
	s_cbranch_execz .LBB346_882
; %bb.879:                              ;   in Loop: Header=BB346_645 Depth=1
	v_dual_lshrrev_b32 v75, 3, v76 :: v_dual_bitop2_b32 v20, 7, v71 bitop3:0x40
	s_mov_b32 s24, exec_lo
	v_cmpx_gt_u32_e32 8, v76
; %bb.880:                              ;   in Loop: Header=BB346_645 Depth=1
	s_delay_alu instid0(VALU_DEP_2) | instskip(NEXT) | instid1(VALU_DEP_1)
	v_clz_i32_u32_e32 v75, v20
	v_min_u32_e32 v75, 32, v75
	s_delay_alu instid0(VALU_DEP_1) | instskip(NEXT) | instid1(VALU_DEP_1)
	v_subrev_nc_u32_e32 v76, 28, v75
	v_lshlrev_b64_e32 v[76:77], v76, v[20:21]
	s_delay_alu instid0(VALU_DEP_1)
	v_dual_sub_nc_u32 v75, 29, v75 :: v_dual_bitop2_b32 v20, 7, v76 bitop3:0x40
; %bb.881:                              ;   in Loop: Header=BB346_645 Depth=1
	s_or_b32 exec_lo, exec_lo, s24
	s_delay_alu instid0(VALU_DEP_1) | instskip(NEXT) | instid1(VALU_DEP_2)
	v_dual_lshlrev_b32 v71, 24, v71 :: v_dual_lshlrev_b32 v20, 20, v20
	v_lshl_add_u32 v75, v75, 23, 0x3c000000
	s_delay_alu instid0(VALU_DEP_2) | instskip(NEXT) | instid1(VALU_DEP_1)
	v_and_b32_e32 v71, 0x80000000, v71
	v_or3_b32 v77, v20, v71, v75
.LBB346_882:                            ;   in Loop: Header=BB346_645 Depth=1
	s_or_b32 exec_lo, exec_lo, s23
.LBB346_883:                            ;   in Loop: Header=BB346_645 Depth=1
	s_delay_alu instid0(SALU_CYCLE_1)
	s_or_b32 exec_lo, exec_lo, s22
.LBB346_884:                            ;   in Loop: Header=BB346_645 Depth=1
	s_delay_alu instid0(SALU_CYCLE_1) | instskip(NEXT) | instid1(SALU_CYCLE_1)
	s_or_b32 exec_lo, exec_lo, s21
	s_mov_b32 s21, exec_lo
	v_cmpx_lt_u64_e64 s[2:3], v[0:1]
	s_cbranch_execz .LBB346_892
; %bb.885:                              ;   in Loop: Header=BB346_645 Depth=1
	v_lshrrev_b32_e32 v0, 24, v1
	v_bfrev_b32_e32 v31, 1
	s_mov_b32 s22, exec_lo
	s_delay_alu instid0(VALU_DEP_2)
	v_cmpx_ne_u32_e32 0x80, v0
	s_cbranch_execz .LBB346_891
; %bb.886:                              ;   in Loop: Header=BB346_645 Depth=1
	v_bfe_u32 v71, v1, 24, 7
	v_mov_b32_e32 v31, 0x7f800001
	s_mov_b32 s23, exec_lo
	s_delay_alu instid0(VALU_DEP_2)
	v_cmpx_ne_u32_e32 0x7f, v71
	s_cbranch_execz .LBB346_890
; %bb.887:                              ;   in Loop: Header=BB346_645 Depth=1
	v_dual_lshrrev_b32 v1, 3, v71 :: v_dual_bitop2_b32 v20, 7, v0 bitop3:0x40
	s_mov_b32 s24, exec_lo
	v_cmpx_gt_u32_e32 8, v71
; %bb.888:                              ;   in Loop: Header=BB346_645 Depth=1
	s_delay_alu instid0(VALU_DEP_2) | instskip(NEXT) | instid1(VALU_DEP_1)
	v_clz_i32_u32_e32 v1, v20
	v_min_u32_e32 v1, 32, v1
	s_delay_alu instid0(VALU_DEP_1) | instskip(NEXT) | instid1(VALU_DEP_1)
	v_subrev_nc_u32_e32 v31, 28, v1
	v_lshlrev_b64_e32 v[78:79], v31, v[20:21]
	s_delay_alu instid0(VALU_DEP_1)
	v_dual_sub_nc_u32 v1, 29, v1 :: v_dual_bitop2_b32 v20, 7, v78 bitop3:0x40
; %bb.889:                              ;   in Loop: Header=BB346_645 Depth=1
	s_or_b32 exec_lo, exec_lo, s24
	v_lshlrev_b32_e32 v0, 24, v0
	s_delay_alu instid0(VALU_DEP_2) | instskip(NEXT) | instid1(VALU_DEP_3)
	v_lshlrev_b32_e32 v20, 20, v20
	v_lshl_add_u32 v1, v1, 23, 0x3c000000
	s_delay_alu instid0(VALU_DEP_3) | instskip(NEXT) | instid1(VALU_DEP_1)
	v_and_b32_e32 v0, 0x80000000, v0
	v_or3_b32 v31, v20, v0, v1
.LBB346_890:                            ;   in Loop: Header=BB346_645 Depth=1
	s_or_b32 exec_lo, exec_lo, s23
.LBB346_891:                            ;   in Loop: Header=BB346_645 Depth=1
	s_delay_alu instid0(SALU_CYCLE_1)
	s_or_b32 exec_lo, exec_lo, s22
.LBB346_892:                            ;   in Loop: Header=BB346_645 Depth=1
	s_delay_alu instid0(SALU_CYCLE_1)
	s_or_b32 exec_lo, exec_lo, s21
	v_fma_mixlo_bf16 v71, s20, v30, 0
	v_fma_mixlo_bf16 v72, s20, v72, 0
	;; [unrolled: 1-line block ×8, first 2 shown]
	s_and_saveexec_b32 s21, vcc_lo
	s_cbranch_execz .LBB346_894
; %bb.893:                              ;   in Loop: Header=BB346_645 Depth=1
	v_cmp_gt_i32_e64 s0, s34, v45
	s_delay_alu instid0(VALU_DEP_1) | instskip(SKIP_1) | instid1(VALU_DEP_1)
	v_cndmask_b32_e64 v76, 0, v76, s0
	v_cmp_gt_i32_e64 s0, s34, v52
	v_cndmask_b32_e64 v75, 0, v75, s0
	v_cmp_gt_i32_e64 s0, s34, v51
	s_delay_alu instid0(VALU_DEP_1) | instskip(SKIP_1) | instid1(VALU_DEP_1)
	v_cndmask_b32_e64 v74, 0, v74, s0
	v_cmp_gt_i32_e64 s0, s34, v50
	v_cndmask_b32_e64 v73, 0, v73, s0
	v_cmp_gt_i32_e64 s0, s34, v49
	s_delay_alu instid0(VALU_DEP_1) | instskip(SKIP_1) | instid1(VALU_DEP_1)
	v_cndmask_b32_e64 v72, 0, v72, s0
	v_cmp_gt_i32_e64 s0, s34, v48
	v_cndmask_b32_e64 v71, 0, v71, s0
	v_cmp_gt_i32_e64 s0, s34, v47
	s_delay_alu instid0(VALU_DEP_1) | instskip(SKIP_1) | instid1(VALU_DEP_1)
	v_cndmask_b32_e64 v69, 0, v69, s0
	v_cmp_gt_i32_e64 s0, s34, v46
	v_cndmask_b32_e64 v70, 0, v70, s0
.LBB346_894:                            ;   in Loop: Header=BB346_645 Depth=1
	s_or_b32 exec_lo, exec_lo, s21
	global_load_b64 v[0:1], v[28:29], off offset:1024
	v_dual_mov_b32 v78, 0 :: v_dual_mov_b32 v77, 0
	s_mov_b32 s21, exec_lo
	s_wait_loadcnt 0x0
	v_and_b32_e32 v20, 0xff, v0
	s_delay_alu instid0(VALU_DEP_1)
	v_cmpx_ne_u16_e32 0, v20
	s_cbranch_execz .LBB346_900
; %bb.895:                              ;   in Loop: Header=BB346_645 Depth=1
	v_bfrev_b32_e32 v77, 1
	s_mov_b32 s22, exec_lo
	v_cmpx_ne_u16_e32 0x80, v20
	s_cbranch_execz .LBB346_899
; %bb.896:                              ;   in Loop: Header=BB346_645 Depth=1
	v_and_b32_e32 v20, 0x7f, v0
	v_mov_b32_e32 v77, 0x7f800001
	s_mov_b32 s23, exec_lo
	s_delay_alu instid0(VALU_DEP_2)
	v_cmpx_ne_u32_e32 0x7f, v20
	s_cbranch_execz .LBB346_898
; %bb.897:                              ;   in Loop: Header=BB346_645 Depth=1
	v_and_b32_e32 v30, 7, v0
	v_cmp_gt_u32_e64 s0, 8, v20
	s_delay_alu instid0(VALU_DEP_2) | instskip(NEXT) | instid1(VALU_DEP_1)
	v_clz_i32_u32_e32 v30, v30
	v_min_u32_e32 v30, 32, v30
	v_lshrrev_b32_e32 v31, 3, v20
	s_delay_alu instid0(VALU_DEP_2) | instskip(SKIP_1) | instid1(VALU_DEP_1)
	v_subrev_nc_u32_e32 v77, 28, v30
	v_sub_nc_u32_e32 v30, 29, v30
	v_dual_cndmask_b32 v20, v31, v30, s0 :: v_dual_cndmask_b32 v30, 0, v77, s0
	s_delay_alu instid0(VALU_DEP_1) | instskip(NEXT) | instid1(VALU_DEP_2)
	v_lshl_add_u32 v20, v20, 23, 0x3c000000
	v_lshlrev_b64_e32 v[30:31], v30, v[0:1]
	v_lshlrev_b32_e32 v31, 24, v0
	s_delay_alu instid0(VALU_DEP_1) | instskip(NEXT) | instid1(VALU_DEP_3)
	v_and_b32_e32 v31, 0x80000000, v31
	v_lshlrev_b32_e32 v30, 20, v30
	s_delay_alu instid0(VALU_DEP_1) | instskip(NEXT) | instid1(VALU_DEP_1)
	v_and_b32_e32 v30, 0x700000, v30
	v_or3_b32 v77, v30, v31, v20
.LBB346_898:                            ;   in Loop: Header=BB346_645 Depth=1
	s_or_b32 exec_lo, exec_lo, s23
.LBB346_899:                            ;   in Loop: Header=BB346_645 Depth=1
	s_delay_alu instid0(SALU_CYCLE_1)
	s_or_b32 exec_lo, exec_lo, s22
.LBB346_900:                            ;   in Loop: Header=BB346_645 Depth=1
	s_delay_alu instid0(SALU_CYCLE_1) | instskip(SKIP_2) | instid1(VALU_DEP_1)
	s_or_b32 exec_lo, exec_lo, s21
	v_lshrrev_b16 v20, 8, v0
	s_mov_b32 s21, exec_lo
	v_cmpx_ne_u16_e32 0, v20
	s_cbranch_execz .LBB346_908
; %bb.901:                              ;   in Loop: Header=BB346_645 Depth=1
	v_bfrev_b32_e32 v78, 1
	s_mov_b32 s22, exec_lo
	v_cmpx_ne_u16_e32 0x80, v20
	s_cbranch_execz .LBB346_907
; %bb.902:                              ;   in Loop: Header=BB346_645 Depth=1
	v_and_b32_e32 v20, 0xffff, v20
	v_mov_b32_e32 v78, 0x7f800001
	s_mov_b32 s23, exec_lo
	s_delay_alu instid0(VALU_DEP_2) | instskip(NEXT) | instid1(VALU_DEP_1)
	v_and_b32_e32 v31, 0x7f, v20
	v_cmpx_ne_u32_e32 0x7f, v31
	s_cbranch_execz .LBB346_906
; %bb.903:                              ;   in Loop: Header=BB346_645 Depth=1
	v_dual_lshrrev_b32 v30, 3, v31 :: v_dual_bitop2_b32 v20, 7, v20 bitop3:0x40
	s_mov_b32 s24, exec_lo
	v_cmpx_gt_u32_e32 8, v31
; %bb.904:                              ;   in Loop: Header=BB346_645 Depth=1
	s_delay_alu instid0(VALU_DEP_2) | instskip(NEXT) | instid1(VALU_DEP_1)
	v_clz_i32_u32_e32 v30, v20
	v_min_u32_e32 v30, 32, v30
	s_delay_alu instid0(VALU_DEP_1) | instskip(SKIP_1) | instid1(VALU_DEP_2)
	v_subrev_nc_u32_e32 v31, 28, v30
	v_sub_nc_u32_e32 v30, 29, v30
	v_lshlrev_b64_e32 v[78:79], v31, v[20:21]
	s_delay_alu instid0(VALU_DEP_1)
	v_and_b32_e32 v20, 7, v78
; %bb.905:                              ;   in Loop: Header=BB346_645 Depth=1
	s_or_b32 exec_lo, exec_lo, s24
	v_lshlrev_b32_e32 v31, 16, v0
	s_delay_alu instid0(VALU_DEP_2) | instskip(SKIP_1) | instid1(VALU_DEP_3)
	v_lshlrev_b32_e32 v20, 20, v20
	v_lshl_add_u32 v30, v30, 23, 0x3c000000
	v_and_b32_e32 v31, 0x80000000, v31
	s_delay_alu instid0(VALU_DEP_1)
	v_or3_b32 v78, v20, v31, v30
.LBB346_906:                            ;   in Loop: Header=BB346_645 Depth=1
	s_or_b32 exec_lo, exec_lo, s23
.LBB346_907:                            ;   in Loop: Header=BB346_645 Depth=1
	s_delay_alu instid0(SALU_CYCLE_1)
	s_or_b32 exec_lo, exec_lo, s22
.LBB346_908:                            ;   in Loop: Header=BB346_645 Depth=1
	s_delay_alu instid0(SALU_CYCLE_1) | instskip(SKIP_3) | instid1(VALU_DEP_2)
	s_or_b32 exec_lo, exec_lo, s21
	v_dual_mov_b32 v81, 0 :: v_dual_lshrrev_b32 v30, 16, v0
	v_mov_b32_e32 v82, 0
	s_mov_b32 s21, exec_lo
	v_and_b32_e32 v20, 0xff, v30
	s_delay_alu instid0(VALU_DEP_1)
	v_cmpx_ne_u16_e32 0, v20
	s_cbranch_execz .LBB346_916
; %bb.909:                              ;   in Loop: Header=BB346_645 Depth=1
	v_bfrev_b32_e32 v82, 1
	s_mov_b32 s22, exec_lo
	v_cmpx_ne_u16_e32 0x80, v20
	s_cbranch_execz .LBB346_915
; %bb.910:                              ;   in Loop: Header=BB346_645 Depth=1
	v_bfe_u32 v79, v0, 16, 7
	v_mov_b32_e32 v82, 0x7f800001
	s_mov_b32 s23, exec_lo
	s_delay_alu instid0(VALU_DEP_2)
	v_cmpx_ne_u32_e32 0x7f, v79
	s_cbranch_execz .LBB346_914
; %bb.911:                              ;   in Loop: Header=BB346_645 Depth=1
	v_dual_lshrrev_b32 v31, 3, v79 :: v_dual_bitop2_b32 v20, 7, v30 bitop3:0x40
	s_mov_b32 s24, exec_lo
	v_cmpx_gt_u32_e32 8, v79
; %bb.912:                              ;   in Loop: Header=BB346_645 Depth=1
	s_delay_alu instid0(VALU_DEP_2) | instskip(NEXT) | instid1(VALU_DEP_1)
	v_clz_i32_u32_e32 v31, v20
	v_min_u32_e32 v31, 32, v31
	s_delay_alu instid0(VALU_DEP_1) | instskip(NEXT) | instid1(VALU_DEP_1)
	v_subrev_nc_u32_e32 v79, 28, v31
	v_lshlrev_b64_e32 v[82:83], v79, v[20:21]
	s_delay_alu instid0(VALU_DEP_1)
	v_dual_sub_nc_u32 v31, 29, v31 :: v_dual_bitop2_b32 v20, 7, v82 bitop3:0x40
; %bb.913:                              ;   in Loop: Header=BB346_645 Depth=1
	s_or_b32 exec_lo, exec_lo, s24
	s_delay_alu instid0(VALU_DEP_1) | instskip(NEXT) | instid1(VALU_DEP_2)
	v_dual_lshlrev_b32 v30, 24, v30 :: v_dual_lshlrev_b32 v20, 20, v20
	v_lshl_add_u32 v31, v31, 23, 0x3c000000
	s_delay_alu instid0(VALU_DEP_2) | instskip(NEXT) | instid1(VALU_DEP_1)
	v_and_b32_e32 v30, 0x80000000, v30
	v_or3_b32 v82, v20, v30, v31
.LBB346_914:                            ;   in Loop: Header=BB346_645 Depth=1
	s_or_b32 exec_lo, exec_lo, s23
.LBB346_915:                            ;   in Loop: Header=BB346_645 Depth=1
	s_delay_alu instid0(SALU_CYCLE_1)
	s_or_b32 exec_lo, exec_lo, s22
.LBB346_916:                            ;   in Loop: Header=BB346_645 Depth=1
	s_delay_alu instid0(SALU_CYCLE_1) | instskip(NEXT) | instid1(SALU_CYCLE_1)
	s_or_b32 exec_lo, exec_lo, s21
	s_mov_b32 s21, exec_lo
	v_cmpx_lt_u32_e32 0xffffff, v0
	s_cbranch_execz .LBB346_924
; %bb.917:                              ;   in Loop: Header=BB346_645 Depth=1
	v_lshrrev_b32_e32 v30, 24, v0
	v_bfrev_b32_e32 v81, 1
	s_mov_b32 s22, exec_lo
	s_delay_alu instid0(VALU_DEP_2)
	v_cmpx_ne_u32_e32 0x80, v30
	s_cbranch_execz .LBB346_923
; %bb.918:                              ;   in Loop: Header=BB346_645 Depth=1
	v_bfe_u32 v79, v0, 24, 7
	v_mov_b32_e32 v81, 0x7f800001
	s_mov_b32 s23, exec_lo
	s_delay_alu instid0(VALU_DEP_2)
	v_cmpx_ne_u32_e32 0x7f, v79
	s_cbranch_execz .LBB346_922
; %bb.919:                              ;   in Loop: Header=BB346_645 Depth=1
	v_dual_lshrrev_b32 v31, 3, v79 :: v_dual_bitop2_b32 v20, 7, v30 bitop3:0x40
	s_mov_b32 s24, exec_lo
	v_cmpx_gt_u32_e32 8, v79
; %bb.920:                              ;   in Loop: Header=BB346_645 Depth=1
	s_delay_alu instid0(VALU_DEP_2) | instskip(NEXT) | instid1(VALU_DEP_1)
	v_clz_i32_u32_e32 v31, v20
	v_min_u32_e32 v31, 32, v31
	s_delay_alu instid0(VALU_DEP_1) | instskip(NEXT) | instid1(VALU_DEP_1)
	v_subrev_nc_u32_e32 v79, 28, v31
	v_lshlrev_b64_e32 v[80:81], v79, v[20:21]
	s_delay_alu instid0(VALU_DEP_1)
	v_dual_sub_nc_u32 v31, 29, v31 :: v_dual_bitop2_b32 v20, 7, v80 bitop3:0x40
; %bb.921:                              ;   in Loop: Header=BB346_645 Depth=1
	s_or_b32 exec_lo, exec_lo, s24
	s_delay_alu instid0(VALU_DEP_1) | instskip(NEXT) | instid1(VALU_DEP_2)
	v_dual_lshlrev_b32 v30, 24, v30 :: v_dual_lshlrev_b32 v20, 20, v20
	v_lshl_add_u32 v31, v31, 23, 0x3c000000
	s_delay_alu instid0(VALU_DEP_2) | instskip(NEXT) | instid1(VALU_DEP_1)
	v_and_b32_e32 v30, 0x80000000, v30
	v_or3_b32 v81, v20, v30, v31
.LBB346_922:                            ;   in Loop: Header=BB346_645 Depth=1
	s_or_b32 exec_lo, exec_lo, s23
.LBB346_923:                            ;   in Loop: Header=BB346_645 Depth=1
	s_delay_alu instid0(SALU_CYCLE_1)
	s_or_b32 exec_lo, exec_lo, s22
.LBB346_924:                            ;   in Loop: Header=BB346_645 Depth=1
	s_delay_alu instid0(SALU_CYCLE_1) | instskip(SKIP_4) | instid1(VALU_DEP_3)
	s_or_b32 exec_lo, exec_lo, s21
	v_and_b32_e32 v31, 0xff, v1
	v_dual_mov_b32 v20, v1 :: v_dual_mov_b32 v30, 0
	v_mov_b32_e32 v80, 0
	s_mov_b32 s21, exec_lo
	v_cmpx_ne_u16_e32 0, v31
	s_cbranch_execz .LBB346_930
; %bb.925:                              ;   in Loop: Header=BB346_645 Depth=1
	v_bfrev_b32_e32 v80, 1
	s_mov_b32 s22, exec_lo
	v_cmpx_ne_u16_e32 0x80, v31
	s_cbranch_execz .LBB346_929
; %bb.926:                              ;   in Loop: Header=BB346_645 Depth=1
	v_and_b32_e32 v31, 0x7f, v1
	v_mov_b32_e32 v80, 0x7f800001
	s_mov_b32 s23, exec_lo
	s_delay_alu instid0(VALU_DEP_2)
	v_cmpx_ne_u32_e32 0x7f, v31
	s_cbranch_execz .LBB346_928
; %bb.927:                              ;   in Loop: Header=BB346_645 Depth=1
	v_dual_lshrrev_b32 v80, 3, v31 :: v_dual_bitop2_b32 v79, 7, v1 bitop3:0x40
	v_cmp_gt_u32_e64 s0, 8, v31
	s_delay_alu instid0(VALU_DEP_2) | instskip(NEXT) | instid1(VALU_DEP_1)
	v_clz_i32_u32_e32 v79, v79
	v_min_u32_e32 v79, 32, v79
	s_delay_alu instid0(VALU_DEP_1) | instskip(SKIP_1) | instid1(VALU_DEP_1)
	v_subrev_nc_u32_e32 v83, 28, v79
	v_sub_nc_u32_e32 v79, 29, v79
	v_cndmask_b32_e64 v31, v80, v79, s0
	s_delay_alu instid0(VALU_DEP_3) | instskip(NEXT) | instid1(VALU_DEP_1)
	v_cndmask_b32_e64 v79, 0, v83, s0
	v_lshlrev_b64_e32 v[84:85], v79, v[20:21]
	v_lshlrev_b32_e32 v79, 24, v20
	s_delay_alu instid0(VALU_DEP_4) | instskip(NEXT) | instid1(VALU_DEP_2)
	v_lshl_add_u32 v31, v31, 23, 0x3c000000
	v_and_b32_e32 v79, 0x80000000, v79
	s_delay_alu instid0(VALU_DEP_4) | instskip(NEXT) | instid1(VALU_DEP_1)
	v_lshlrev_b32_e32 v80, 20, v84
	v_and_b32_e32 v80, 0x700000, v80
	s_delay_alu instid0(VALU_DEP_1)
	v_or3_b32 v80, v80, v79, v31
.LBB346_928:                            ;   in Loop: Header=BB346_645 Depth=1
	s_or_b32 exec_lo, exec_lo, s23
.LBB346_929:                            ;   in Loop: Header=BB346_645 Depth=1
	s_delay_alu instid0(SALU_CYCLE_1)
	s_or_b32 exec_lo, exec_lo, s22
.LBB346_930:                            ;   in Loop: Header=BB346_645 Depth=1
	s_delay_alu instid0(SALU_CYCLE_1) | instskip(SKIP_2) | instid1(VALU_DEP_1)
	s_or_b32 exec_lo, exec_lo, s21
	v_lshrrev_b16 v31, 8, v20
	s_mov_b32 s21, exec_lo
	v_cmpx_ne_u16_e32 0, v31
	s_cbranch_execz .LBB346_938
; %bb.931:                              ;   in Loop: Header=BB346_645 Depth=1
	v_bfrev_b32_e32 v30, 1
	s_mov_b32 s22, exec_lo
	v_cmpx_ne_u16_e32 0x80, v31
	s_cbranch_execz .LBB346_937
; %bb.932:                              ;   in Loop: Header=BB346_645 Depth=1
	v_and_b32_e32 v31, 0xffff, v31
	v_mov_b32_e32 v30, 0x7f800001
	s_mov_b32 s23, exec_lo
	s_delay_alu instid0(VALU_DEP_2) | instskip(NEXT) | instid1(VALU_DEP_1)
	v_and_b32_e32 v83, 0x7f, v31
	v_cmpx_ne_u32_e32 0x7f, v83
	s_cbranch_execz .LBB346_936
; %bb.933:                              ;   in Loop: Header=BB346_645 Depth=1
	v_dual_mov_b32 v31, v21 :: v_dual_bitop2_b32 v30, 7, v31 bitop3:0x40
	v_lshrrev_b32_e32 v79, 3, v83
	s_mov_b32 s24, exec_lo
	v_cmpx_gt_u32_e32 8, v83
; %bb.934:                              ;   in Loop: Header=BB346_645 Depth=1
	s_delay_alu instid0(VALU_DEP_3) | instskip(NEXT) | instid1(VALU_DEP_1)
	v_clz_i32_u32_e32 v79, v30
	v_min_u32_e32 v79, 32, v79
	s_delay_alu instid0(VALU_DEP_1) | instskip(NEXT) | instid1(VALU_DEP_1)
	v_subrev_nc_u32_e32 v83, 28, v79
	v_lshlrev_b64_e32 v[30:31], v83, v[30:31]
	s_delay_alu instid0(VALU_DEP_1)
	v_dual_sub_nc_u32 v79, 29, v79 :: v_dual_bitop2_b32 v30, 7, v30 bitop3:0x40
; %bb.935:                              ;   in Loop: Header=BB346_645 Depth=1
	s_or_b32 exec_lo, exec_lo, s24
	s_delay_alu instid0(VALU_DEP_1) | instskip(NEXT) | instid1(VALU_DEP_2)
	v_dual_lshlrev_b32 v20, 16, v20 :: v_dual_lshlrev_b32 v30, 20, v30
	v_lshl_add_u32 v31, v79, 23, 0x3c000000
	s_delay_alu instid0(VALU_DEP_2) | instskip(NEXT) | instid1(VALU_DEP_1)
	v_and_b32_e32 v20, 0x80000000, v20
	v_or3_b32 v30, v30, v20, v31
.LBB346_936:                            ;   in Loop: Header=BB346_645 Depth=1
	s_or_b32 exec_lo, exec_lo, s23
.LBB346_937:                            ;   in Loop: Header=BB346_645 Depth=1
	s_delay_alu instid0(SALU_CYCLE_1)
	s_or_b32 exec_lo, exec_lo, s22
.LBB346_938:                            ;   in Loop: Header=BB346_645 Depth=1
	s_delay_alu instid0(SALU_CYCLE_1) | instskip(SKIP_3) | instid1(VALU_DEP_2)
	s_or_b32 exec_lo, exec_lo, s21
	v_dual_lshrrev_b32 v79, 16, v1 :: v_dual_mov_b32 v31, 0
	v_mov_b32_e32 v85, 0
	s_mov_b32 s21, exec_lo
	v_and_b32_e32 v20, 0xff, v79
	s_delay_alu instid0(VALU_DEP_1)
	v_cmpx_ne_u16_e32 0, v20
	s_cbranch_execz .LBB346_946
; %bb.939:                              ;   in Loop: Header=BB346_645 Depth=1
	v_bfrev_b32_e32 v85, 1
	s_mov_b32 s22, exec_lo
	v_cmpx_ne_u16_e32 0x80, v20
	s_cbranch_execz .LBB346_945
; %bb.940:                              ;   in Loop: Header=BB346_645 Depth=1
	v_bfe_u32 v84, v1, 16, 7
	v_mov_b32_e32 v85, 0x7f800001
	s_mov_b32 s23, exec_lo
	s_delay_alu instid0(VALU_DEP_2)
	v_cmpx_ne_u32_e32 0x7f, v84
	s_cbranch_execz .LBB346_944
; %bb.941:                              ;   in Loop: Header=BB346_645 Depth=1
	v_dual_lshrrev_b32 v83, 3, v84 :: v_dual_bitop2_b32 v20, 7, v79 bitop3:0x40
	s_mov_b32 s24, exec_lo
	v_cmpx_gt_u32_e32 8, v84
; %bb.942:                              ;   in Loop: Header=BB346_645 Depth=1
	s_delay_alu instid0(VALU_DEP_2) | instskip(NEXT) | instid1(VALU_DEP_1)
	v_clz_i32_u32_e32 v83, v20
	v_min_u32_e32 v83, 32, v83
	s_delay_alu instid0(VALU_DEP_1) | instskip(NEXT) | instid1(VALU_DEP_1)
	v_subrev_nc_u32_e32 v84, 28, v83
	v_lshlrev_b64_e32 v[84:85], v84, v[20:21]
	s_delay_alu instid0(VALU_DEP_1)
	v_dual_sub_nc_u32 v83, 29, v83 :: v_dual_bitop2_b32 v20, 7, v84 bitop3:0x40
; %bb.943:                              ;   in Loop: Header=BB346_645 Depth=1
	s_or_b32 exec_lo, exec_lo, s24
	s_delay_alu instid0(VALU_DEP_1) | instskip(NEXT) | instid1(VALU_DEP_2)
	v_dual_lshlrev_b32 v79, 24, v79 :: v_dual_lshlrev_b32 v20, 20, v20
	v_lshl_add_u32 v83, v83, 23, 0x3c000000
	s_delay_alu instid0(VALU_DEP_2) | instskip(NEXT) | instid1(VALU_DEP_1)
	v_and_b32_e32 v79, 0x80000000, v79
	v_or3_b32 v85, v20, v79, v83
.LBB346_944:                            ;   in Loop: Header=BB346_645 Depth=1
	s_or_b32 exec_lo, exec_lo, s23
.LBB346_945:                            ;   in Loop: Header=BB346_645 Depth=1
	s_delay_alu instid0(SALU_CYCLE_1)
	s_or_b32 exec_lo, exec_lo, s22
.LBB346_946:                            ;   in Loop: Header=BB346_645 Depth=1
	s_delay_alu instid0(SALU_CYCLE_1) | instskip(NEXT) | instid1(SALU_CYCLE_1)
	s_or_b32 exec_lo, exec_lo, s21
	s_mov_b32 s21, exec_lo
	v_cmpx_lt_u64_e64 s[2:3], v[0:1]
	s_cbranch_execz .LBB346_954
; %bb.947:                              ;   in Loop: Header=BB346_645 Depth=1
	v_lshrrev_b32_e32 v0, 24, v1
	v_bfrev_b32_e32 v31, 1
	s_mov_b32 s22, exec_lo
	s_delay_alu instid0(VALU_DEP_2)
	v_cmpx_ne_u32_e32 0x80, v0
	s_cbranch_execz .LBB346_953
; %bb.948:                              ;   in Loop: Header=BB346_645 Depth=1
	v_bfe_u32 v79, v1, 24, 7
	v_mov_b32_e32 v31, 0x7f800001
	s_mov_b32 s23, exec_lo
	s_delay_alu instid0(VALU_DEP_2)
	v_cmpx_ne_u32_e32 0x7f, v79
	s_cbranch_execz .LBB346_952
; %bb.949:                              ;   in Loop: Header=BB346_645 Depth=1
	v_dual_lshrrev_b32 v1, 3, v79 :: v_dual_bitop2_b32 v20, 7, v0 bitop3:0x40
	s_mov_b32 s24, exec_lo
	v_cmpx_gt_u32_e32 8, v79
; %bb.950:                              ;   in Loop: Header=BB346_645 Depth=1
	s_delay_alu instid0(VALU_DEP_2) | instskip(NEXT) | instid1(VALU_DEP_1)
	v_clz_i32_u32_e32 v1, v20
	v_min_u32_e32 v1, 32, v1
	s_delay_alu instid0(VALU_DEP_1) | instskip(NEXT) | instid1(VALU_DEP_1)
	v_subrev_nc_u32_e32 v31, 28, v1
	v_lshlrev_b64_e32 v[86:87], v31, v[20:21]
	s_delay_alu instid0(VALU_DEP_1)
	v_dual_sub_nc_u32 v1, 29, v1 :: v_dual_bitop2_b32 v20, 7, v86 bitop3:0x40
; %bb.951:                              ;   in Loop: Header=BB346_645 Depth=1
	s_or_b32 exec_lo, exec_lo, s24
	v_lshlrev_b32_e32 v0, 24, v0
	s_delay_alu instid0(VALU_DEP_2) | instskip(NEXT) | instid1(VALU_DEP_3)
	v_lshlrev_b32_e32 v20, 20, v20
	v_lshl_add_u32 v1, v1, 23, 0x3c000000
	s_delay_alu instid0(VALU_DEP_3) | instskip(NEXT) | instid1(VALU_DEP_1)
	v_and_b32_e32 v0, 0x80000000, v0
	v_or3_b32 v31, v20, v0, v1
.LBB346_952:                            ;   in Loop: Header=BB346_645 Depth=1
	s_or_b32 exec_lo, exec_lo, s23
.LBB346_953:                            ;   in Loop: Header=BB346_645 Depth=1
	s_delay_alu instid0(SALU_CYCLE_1)
	s_or_b32 exec_lo, exec_lo, s22
.LBB346_954:                            ;   in Loop: Header=BB346_645 Depth=1
	s_delay_alu instid0(SALU_CYCLE_1)
	s_or_b32 exec_lo, exec_lo, s21
	v_fma_mixlo_bf16 v79, s20, v30, 0
	v_fma_mixlo_bf16 v80, s20, v80, 0
	;; [unrolled: 1-line block ×8, first 2 shown]
	s_and_saveexec_b32 s21, vcc_lo
	s_cbranch_execz .LBB346_956
; %bb.955:                              ;   in Loop: Header=BB346_645 Depth=1
	v_cmp_gt_i32_e64 s0, s34, v45
	s_delay_alu instid0(VALU_DEP_1) | instskip(SKIP_1) | instid1(VALU_DEP_1)
	v_cndmask_b32_e64 v84, 0, v84, s0
	v_cmp_gt_i32_e64 s0, s34, v52
	v_cndmask_b32_e64 v83, 0, v83, s0
	v_cmp_gt_i32_e64 s0, s34, v51
	s_delay_alu instid0(VALU_DEP_1) | instskip(SKIP_1) | instid1(VALU_DEP_1)
	v_cndmask_b32_e64 v82, 0, v82, s0
	v_cmp_gt_i32_e64 s0, s34, v50
	v_cndmask_b32_e64 v81, 0, v81, s0
	;; [unrolled: 5-line block ×4, first 2 shown]
.LBB346_956:                            ;   in Loop: Header=BB346_645 Depth=1
	s_or_b32 exec_lo, exec_lo, s21
	global_load_b64 v[0:1], v[28:29], off offset:1280
	v_dual_mov_b32 v86, 0 :: v_dual_mov_b32 v85, 0
	s_mov_b32 s21, exec_lo
	s_wait_loadcnt 0x0
	v_and_b32_e32 v20, 0xff, v0
	s_delay_alu instid0(VALU_DEP_1)
	v_cmpx_ne_u16_e32 0, v20
	s_cbranch_execz .LBB346_962
; %bb.957:                              ;   in Loop: Header=BB346_645 Depth=1
	v_bfrev_b32_e32 v85, 1
	s_mov_b32 s22, exec_lo
	v_cmpx_ne_u16_e32 0x80, v20
	s_cbranch_execz .LBB346_961
; %bb.958:                              ;   in Loop: Header=BB346_645 Depth=1
	v_and_b32_e32 v20, 0x7f, v0
	v_mov_b32_e32 v85, 0x7f800001
	s_mov_b32 s23, exec_lo
	s_delay_alu instid0(VALU_DEP_2)
	v_cmpx_ne_u32_e32 0x7f, v20
	s_cbranch_execz .LBB346_960
; %bb.959:                              ;   in Loop: Header=BB346_645 Depth=1
	v_and_b32_e32 v30, 7, v0
	v_cmp_gt_u32_e64 s0, 8, v20
	s_delay_alu instid0(VALU_DEP_2) | instskip(NEXT) | instid1(VALU_DEP_1)
	v_clz_i32_u32_e32 v30, v30
	v_min_u32_e32 v30, 32, v30
	v_lshrrev_b32_e32 v31, 3, v20
	s_delay_alu instid0(VALU_DEP_2) | instskip(SKIP_1) | instid1(VALU_DEP_1)
	v_subrev_nc_u32_e32 v85, 28, v30
	v_sub_nc_u32_e32 v30, 29, v30
	v_dual_cndmask_b32 v20, v31, v30, s0 :: v_dual_cndmask_b32 v30, 0, v85, s0
	s_delay_alu instid0(VALU_DEP_1) | instskip(NEXT) | instid1(VALU_DEP_2)
	v_lshl_add_u32 v20, v20, 23, 0x3c000000
	v_lshlrev_b64_e32 v[30:31], v30, v[0:1]
	v_lshlrev_b32_e32 v31, 24, v0
	s_delay_alu instid0(VALU_DEP_1) | instskip(NEXT) | instid1(VALU_DEP_3)
	v_and_b32_e32 v31, 0x80000000, v31
	v_lshlrev_b32_e32 v30, 20, v30
	s_delay_alu instid0(VALU_DEP_1) | instskip(NEXT) | instid1(VALU_DEP_1)
	v_and_b32_e32 v30, 0x700000, v30
	v_or3_b32 v85, v30, v31, v20
.LBB346_960:                            ;   in Loop: Header=BB346_645 Depth=1
	s_or_b32 exec_lo, exec_lo, s23
.LBB346_961:                            ;   in Loop: Header=BB346_645 Depth=1
	s_delay_alu instid0(SALU_CYCLE_1)
	s_or_b32 exec_lo, exec_lo, s22
.LBB346_962:                            ;   in Loop: Header=BB346_645 Depth=1
	s_delay_alu instid0(SALU_CYCLE_1) | instskip(SKIP_2) | instid1(VALU_DEP_1)
	s_or_b32 exec_lo, exec_lo, s21
	v_lshrrev_b16 v20, 8, v0
	s_mov_b32 s21, exec_lo
	v_cmpx_ne_u16_e32 0, v20
	s_cbranch_execz .LBB346_970
; %bb.963:                              ;   in Loop: Header=BB346_645 Depth=1
	v_bfrev_b32_e32 v86, 1
	s_mov_b32 s22, exec_lo
	v_cmpx_ne_u16_e32 0x80, v20
	s_cbranch_execz .LBB346_969
; %bb.964:                              ;   in Loop: Header=BB346_645 Depth=1
	v_and_b32_e32 v20, 0xffff, v20
	v_mov_b32_e32 v86, 0x7f800001
	s_mov_b32 s23, exec_lo
	s_delay_alu instid0(VALU_DEP_2) | instskip(NEXT) | instid1(VALU_DEP_1)
	v_and_b32_e32 v31, 0x7f, v20
	v_cmpx_ne_u32_e32 0x7f, v31
	s_cbranch_execz .LBB346_968
; %bb.965:                              ;   in Loop: Header=BB346_645 Depth=1
	v_dual_lshrrev_b32 v30, 3, v31 :: v_dual_bitop2_b32 v20, 7, v20 bitop3:0x40
	s_mov_b32 s24, exec_lo
	v_cmpx_gt_u32_e32 8, v31
; %bb.966:                              ;   in Loop: Header=BB346_645 Depth=1
	s_delay_alu instid0(VALU_DEP_2) | instskip(NEXT) | instid1(VALU_DEP_1)
	v_clz_i32_u32_e32 v30, v20
	v_min_u32_e32 v30, 32, v30
	s_delay_alu instid0(VALU_DEP_1) | instskip(SKIP_1) | instid1(VALU_DEP_2)
	v_subrev_nc_u32_e32 v31, 28, v30
	v_sub_nc_u32_e32 v30, 29, v30
	v_lshlrev_b64_e32 v[86:87], v31, v[20:21]
	s_delay_alu instid0(VALU_DEP_1)
	v_and_b32_e32 v20, 7, v86
; %bb.967:                              ;   in Loop: Header=BB346_645 Depth=1
	s_or_b32 exec_lo, exec_lo, s24
	v_lshlrev_b32_e32 v31, 16, v0
	s_delay_alu instid0(VALU_DEP_2) | instskip(SKIP_1) | instid1(VALU_DEP_3)
	v_lshlrev_b32_e32 v20, 20, v20
	v_lshl_add_u32 v30, v30, 23, 0x3c000000
	v_and_b32_e32 v31, 0x80000000, v31
	s_delay_alu instid0(VALU_DEP_1)
	v_or3_b32 v86, v20, v31, v30
.LBB346_968:                            ;   in Loop: Header=BB346_645 Depth=1
	s_or_b32 exec_lo, exec_lo, s23
.LBB346_969:                            ;   in Loop: Header=BB346_645 Depth=1
	s_delay_alu instid0(SALU_CYCLE_1)
	s_or_b32 exec_lo, exec_lo, s22
.LBB346_970:                            ;   in Loop: Header=BB346_645 Depth=1
	s_delay_alu instid0(SALU_CYCLE_1) | instskip(SKIP_3) | instid1(VALU_DEP_2)
	s_or_b32 exec_lo, exec_lo, s21
	v_dual_mov_b32 v89, 0 :: v_dual_lshrrev_b32 v30, 16, v0
	v_mov_b32_e32 v90, 0
	s_mov_b32 s21, exec_lo
	v_and_b32_e32 v20, 0xff, v30
	s_delay_alu instid0(VALU_DEP_1)
	v_cmpx_ne_u16_e32 0, v20
	s_cbranch_execz .LBB346_978
; %bb.971:                              ;   in Loop: Header=BB346_645 Depth=1
	v_bfrev_b32_e32 v90, 1
	s_mov_b32 s22, exec_lo
	v_cmpx_ne_u16_e32 0x80, v20
	s_cbranch_execz .LBB346_977
; %bb.972:                              ;   in Loop: Header=BB346_645 Depth=1
	v_bfe_u32 v87, v0, 16, 7
	v_mov_b32_e32 v90, 0x7f800001
	s_mov_b32 s23, exec_lo
	s_delay_alu instid0(VALU_DEP_2)
	v_cmpx_ne_u32_e32 0x7f, v87
	s_cbranch_execz .LBB346_976
; %bb.973:                              ;   in Loop: Header=BB346_645 Depth=1
	v_dual_lshrrev_b32 v31, 3, v87 :: v_dual_bitop2_b32 v20, 7, v30 bitop3:0x40
	s_mov_b32 s24, exec_lo
	v_cmpx_gt_u32_e32 8, v87
; %bb.974:                              ;   in Loop: Header=BB346_645 Depth=1
	s_delay_alu instid0(VALU_DEP_2) | instskip(NEXT) | instid1(VALU_DEP_1)
	v_clz_i32_u32_e32 v31, v20
	v_min_u32_e32 v31, 32, v31
	s_delay_alu instid0(VALU_DEP_1) | instskip(NEXT) | instid1(VALU_DEP_1)
	v_subrev_nc_u32_e32 v87, 28, v31
	v_lshlrev_b64_e32 v[90:91], v87, v[20:21]
	s_delay_alu instid0(VALU_DEP_1)
	v_dual_sub_nc_u32 v31, 29, v31 :: v_dual_bitop2_b32 v20, 7, v90 bitop3:0x40
; %bb.975:                              ;   in Loop: Header=BB346_645 Depth=1
	s_or_b32 exec_lo, exec_lo, s24
	s_delay_alu instid0(VALU_DEP_1) | instskip(NEXT) | instid1(VALU_DEP_2)
	v_dual_lshlrev_b32 v30, 24, v30 :: v_dual_lshlrev_b32 v20, 20, v20
	v_lshl_add_u32 v31, v31, 23, 0x3c000000
	s_delay_alu instid0(VALU_DEP_2) | instskip(NEXT) | instid1(VALU_DEP_1)
	v_and_b32_e32 v30, 0x80000000, v30
	v_or3_b32 v90, v20, v30, v31
.LBB346_976:                            ;   in Loop: Header=BB346_645 Depth=1
	s_or_b32 exec_lo, exec_lo, s23
.LBB346_977:                            ;   in Loop: Header=BB346_645 Depth=1
	s_delay_alu instid0(SALU_CYCLE_1)
	s_or_b32 exec_lo, exec_lo, s22
.LBB346_978:                            ;   in Loop: Header=BB346_645 Depth=1
	s_delay_alu instid0(SALU_CYCLE_1) | instskip(NEXT) | instid1(SALU_CYCLE_1)
	s_or_b32 exec_lo, exec_lo, s21
	s_mov_b32 s21, exec_lo
	v_cmpx_lt_u32_e32 0xffffff, v0
	s_cbranch_execz .LBB346_986
; %bb.979:                              ;   in Loop: Header=BB346_645 Depth=1
	v_lshrrev_b32_e32 v30, 24, v0
	v_bfrev_b32_e32 v89, 1
	s_mov_b32 s22, exec_lo
	s_delay_alu instid0(VALU_DEP_2)
	v_cmpx_ne_u32_e32 0x80, v30
	s_cbranch_execz .LBB346_985
; %bb.980:                              ;   in Loop: Header=BB346_645 Depth=1
	v_bfe_u32 v87, v0, 24, 7
	v_mov_b32_e32 v89, 0x7f800001
	s_mov_b32 s23, exec_lo
	s_delay_alu instid0(VALU_DEP_2)
	v_cmpx_ne_u32_e32 0x7f, v87
	s_cbranch_execz .LBB346_984
; %bb.981:                              ;   in Loop: Header=BB346_645 Depth=1
	v_dual_lshrrev_b32 v31, 3, v87 :: v_dual_bitop2_b32 v20, 7, v30 bitop3:0x40
	s_mov_b32 s24, exec_lo
	v_cmpx_gt_u32_e32 8, v87
; %bb.982:                              ;   in Loop: Header=BB346_645 Depth=1
	s_delay_alu instid0(VALU_DEP_2) | instskip(NEXT) | instid1(VALU_DEP_1)
	v_clz_i32_u32_e32 v31, v20
	v_min_u32_e32 v31, 32, v31
	s_delay_alu instid0(VALU_DEP_1) | instskip(NEXT) | instid1(VALU_DEP_1)
	v_subrev_nc_u32_e32 v87, 28, v31
	v_lshlrev_b64_e32 v[88:89], v87, v[20:21]
	s_delay_alu instid0(VALU_DEP_1)
	v_dual_sub_nc_u32 v31, 29, v31 :: v_dual_bitop2_b32 v20, 7, v88 bitop3:0x40
; %bb.983:                              ;   in Loop: Header=BB346_645 Depth=1
	s_or_b32 exec_lo, exec_lo, s24
	s_delay_alu instid0(VALU_DEP_1) | instskip(NEXT) | instid1(VALU_DEP_2)
	v_dual_lshlrev_b32 v30, 24, v30 :: v_dual_lshlrev_b32 v20, 20, v20
	v_lshl_add_u32 v31, v31, 23, 0x3c000000
	s_delay_alu instid0(VALU_DEP_2) | instskip(NEXT) | instid1(VALU_DEP_1)
	v_and_b32_e32 v30, 0x80000000, v30
	v_or3_b32 v89, v20, v30, v31
.LBB346_984:                            ;   in Loop: Header=BB346_645 Depth=1
	s_or_b32 exec_lo, exec_lo, s23
.LBB346_985:                            ;   in Loop: Header=BB346_645 Depth=1
	s_delay_alu instid0(SALU_CYCLE_1)
	s_or_b32 exec_lo, exec_lo, s22
.LBB346_986:                            ;   in Loop: Header=BB346_645 Depth=1
	s_delay_alu instid0(SALU_CYCLE_1) | instskip(SKIP_4) | instid1(VALU_DEP_3)
	s_or_b32 exec_lo, exec_lo, s21
	v_and_b32_e32 v31, 0xff, v1
	v_dual_mov_b32 v20, v1 :: v_dual_mov_b32 v30, 0
	v_mov_b32_e32 v88, 0
	s_mov_b32 s21, exec_lo
	v_cmpx_ne_u16_e32 0, v31
	s_cbranch_execz .LBB346_992
; %bb.987:                              ;   in Loop: Header=BB346_645 Depth=1
	v_bfrev_b32_e32 v88, 1
	s_mov_b32 s22, exec_lo
	v_cmpx_ne_u16_e32 0x80, v31
	s_cbranch_execz .LBB346_991
; %bb.988:                              ;   in Loop: Header=BB346_645 Depth=1
	v_and_b32_e32 v31, 0x7f, v1
	v_mov_b32_e32 v88, 0x7f800001
	s_mov_b32 s23, exec_lo
	s_delay_alu instid0(VALU_DEP_2)
	v_cmpx_ne_u32_e32 0x7f, v31
	s_cbranch_execz .LBB346_990
; %bb.989:                              ;   in Loop: Header=BB346_645 Depth=1
	v_dual_lshrrev_b32 v88, 3, v31 :: v_dual_bitop2_b32 v87, 7, v1 bitop3:0x40
	v_cmp_gt_u32_e64 s0, 8, v31
	s_delay_alu instid0(VALU_DEP_2) | instskip(NEXT) | instid1(VALU_DEP_1)
	v_clz_i32_u32_e32 v87, v87
	v_min_u32_e32 v87, 32, v87
	s_delay_alu instid0(VALU_DEP_1) | instskip(SKIP_1) | instid1(VALU_DEP_1)
	v_subrev_nc_u32_e32 v91, 28, v87
	v_sub_nc_u32_e32 v87, 29, v87
	v_cndmask_b32_e64 v31, v88, v87, s0
	s_delay_alu instid0(VALU_DEP_3) | instskip(NEXT) | instid1(VALU_DEP_1)
	v_cndmask_b32_e64 v87, 0, v91, s0
	v_lshlrev_b64_e32 v[92:93], v87, v[20:21]
	v_lshlrev_b32_e32 v87, 24, v20
	s_delay_alu instid0(VALU_DEP_4) | instskip(NEXT) | instid1(VALU_DEP_2)
	v_lshl_add_u32 v31, v31, 23, 0x3c000000
	v_and_b32_e32 v87, 0x80000000, v87
	s_delay_alu instid0(VALU_DEP_4) | instskip(NEXT) | instid1(VALU_DEP_1)
	v_lshlrev_b32_e32 v88, 20, v92
	v_and_b32_e32 v88, 0x700000, v88
	s_delay_alu instid0(VALU_DEP_1)
	v_or3_b32 v88, v88, v87, v31
.LBB346_990:                            ;   in Loop: Header=BB346_645 Depth=1
	s_or_b32 exec_lo, exec_lo, s23
.LBB346_991:                            ;   in Loop: Header=BB346_645 Depth=1
	s_delay_alu instid0(SALU_CYCLE_1)
	s_or_b32 exec_lo, exec_lo, s22
.LBB346_992:                            ;   in Loop: Header=BB346_645 Depth=1
	s_delay_alu instid0(SALU_CYCLE_1) | instskip(SKIP_2) | instid1(VALU_DEP_1)
	s_or_b32 exec_lo, exec_lo, s21
	v_lshrrev_b16 v31, 8, v20
	s_mov_b32 s21, exec_lo
	v_cmpx_ne_u16_e32 0, v31
	s_cbranch_execz .LBB346_1000
; %bb.993:                              ;   in Loop: Header=BB346_645 Depth=1
	v_bfrev_b32_e32 v30, 1
	s_mov_b32 s22, exec_lo
	v_cmpx_ne_u16_e32 0x80, v31
	s_cbranch_execz .LBB346_999
; %bb.994:                              ;   in Loop: Header=BB346_645 Depth=1
	v_and_b32_e32 v31, 0xffff, v31
	v_mov_b32_e32 v30, 0x7f800001
	s_mov_b32 s23, exec_lo
	s_delay_alu instid0(VALU_DEP_2) | instskip(NEXT) | instid1(VALU_DEP_1)
	v_and_b32_e32 v91, 0x7f, v31
	v_cmpx_ne_u32_e32 0x7f, v91
	s_cbranch_execz .LBB346_998
; %bb.995:                              ;   in Loop: Header=BB346_645 Depth=1
	v_dual_mov_b32 v31, v21 :: v_dual_bitop2_b32 v30, 7, v31 bitop3:0x40
	v_lshrrev_b32_e32 v87, 3, v91
	s_mov_b32 s24, exec_lo
	v_cmpx_gt_u32_e32 8, v91
; %bb.996:                              ;   in Loop: Header=BB346_645 Depth=1
	s_delay_alu instid0(VALU_DEP_3) | instskip(NEXT) | instid1(VALU_DEP_1)
	v_clz_i32_u32_e32 v87, v30
	v_min_u32_e32 v87, 32, v87
	s_delay_alu instid0(VALU_DEP_1) | instskip(NEXT) | instid1(VALU_DEP_1)
	v_subrev_nc_u32_e32 v91, 28, v87
	v_lshlrev_b64_e32 v[30:31], v91, v[30:31]
	s_delay_alu instid0(VALU_DEP_1)
	v_dual_sub_nc_u32 v87, 29, v87 :: v_dual_bitop2_b32 v30, 7, v30 bitop3:0x40
; %bb.997:                              ;   in Loop: Header=BB346_645 Depth=1
	s_or_b32 exec_lo, exec_lo, s24
	s_delay_alu instid0(VALU_DEP_1) | instskip(NEXT) | instid1(VALU_DEP_2)
	v_dual_lshlrev_b32 v20, 16, v20 :: v_dual_lshlrev_b32 v30, 20, v30
	v_lshl_add_u32 v31, v87, 23, 0x3c000000
	s_delay_alu instid0(VALU_DEP_2) | instskip(NEXT) | instid1(VALU_DEP_1)
	v_and_b32_e32 v20, 0x80000000, v20
	v_or3_b32 v30, v30, v20, v31
.LBB346_998:                            ;   in Loop: Header=BB346_645 Depth=1
	s_or_b32 exec_lo, exec_lo, s23
.LBB346_999:                            ;   in Loop: Header=BB346_645 Depth=1
	s_delay_alu instid0(SALU_CYCLE_1)
	s_or_b32 exec_lo, exec_lo, s22
.LBB346_1000:                           ;   in Loop: Header=BB346_645 Depth=1
	s_delay_alu instid0(SALU_CYCLE_1) | instskip(SKIP_3) | instid1(VALU_DEP_2)
	s_or_b32 exec_lo, exec_lo, s21
	v_dual_lshrrev_b32 v87, 16, v1 :: v_dual_mov_b32 v31, 0
	v_mov_b32_e32 v93, 0
	s_mov_b32 s21, exec_lo
	v_and_b32_e32 v20, 0xff, v87
	s_delay_alu instid0(VALU_DEP_1)
	v_cmpx_ne_u16_e32 0, v20
	s_cbranch_execz .LBB346_1008
; %bb.1001:                             ;   in Loop: Header=BB346_645 Depth=1
	v_bfrev_b32_e32 v93, 1
	s_mov_b32 s22, exec_lo
	v_cmpx_ne_u16_e32 0x80, v20
	s_cbranch_execz .LBB346_1007
; %bb.1002:                             ;   in Loop: Header=BB346_645 Depth=1
	v_bfe_u32 v92, v1, 16, 7
	v_mov_b32_e32 v93, 0x7f800001
	s_mov_b32 s23, exec_lo
	s_delay_alu instid0(VALU_DEP_2)
	v_cmpx_ne_u32_e32 0x7f, v92
	s_cbranch_execz .LBB346_1006
; %bb.1003:                             ;   in Loop: Header=BB346_645 Depth=1
	v_dual_lshrrev_b32 v91, 3, v92 :: v_dual_bitop2_b32 v20, 7, v87 bitop3:0x40
	s_mov_b32 s24, exec_lo
	v_cmpx_gt_u32_e32 8, v92
; %bb.1004:                             ;   in Loop: Header=BB346_645 Depth=1
	s_delay_alu instid0(VALU_DEP_2) | instskip(NEXT) | instid1(VALU_DEP_1)
	v_clz_i32_u32_e32 v91, v20
	v_min_u32_e32 v91, 32, v91
	s_delay_alu instid0(VALU_DEP_1) | instskip(NEXT) | instid1(VALU_DEP_1)
	v_subrev_nc_u32_e32 v92, 28, v91
	v_lshlrev_b64_e32 v[92:93], v92, v[20:21]
	s_delay_alu instid0(VALU_DEP_1)
	v_dual_sub_nc_u32 v91, 29, v91 :: v_dual_bitop2_b32 v20, 7, v92 bitop3:0x40
; %bb.1005:                             ;   in Loop: Header=BB346_645 Depth=1
	s_or_b32 exec_lo, exec_lo, s24
	s_delay_alu instid0(VALU_DEP_1) | instskip(NEXT) | instid1(VALU_DEP_2)
	v_dual_lshlrev_b32 v87, 24, v87 :: v_dual_lshlrev_b32 v20, 20, v20
	v_lshl_add_u32 v91, v91, 23, 0x3c000000
	s_delay_alu instid0(VALU_DEP_2) | instskip(NEXT) | instid1(VALU_DEP_1)
	v_and_b32_e32 v87, 0x80000000, v87
	v_or3_b32 v93, v20, v87, v91
.LBB346_1006:                           ;   in Loop: Header=BB346_645 Depth=1
	s_or_b32 exec_lo, exec_lo, s23
.LBB346_1007:                           ;   in Loop: Header=BB346_645 Depth=1
	s_delay_alu instid0(SALU_CYCLE_1)
	s_or_b32 exec_lo, exec_lo, s22
.LBB346_1008:                           ;   in Loop: Header=BB346_645 Depth=1
	s_delay_alu instid0(SALU_CYCLE_1) | instskip(NEXT) | instid1(SALU_CYCLE_1)
	s_or_b32 exec_lo, exec_lo, s21
	s_mov_b32 s21, exec_lo
	v_cmpx_lt_u64_e64 s[2:3], v[0:1]
	s_cbranch_execz .LBB346_1016
; %bb.1009:                             ;   in Loop: Header=BB346_645 Depth=1
	v_lshrrev_b32_e32 v0, 24, v1
	v_bfrev_b32_e32 v31, 1
	s_mov_b32 s22, exec_lo
	s_delay_alu instid0(VALU_DEP_2)
	v_cmpx_ne_u32_e32 0x80, v0
	s_cbranch_execz .LBB346_1015
; %bb.1010:                             ;   in Loop: Header=BB346_645 Depth=1
	v_bfe_u32 v87, v1, 24, 7
	v_mov_b32_e32 v31, 0x7f800001
	s_mov_b32 s23, exec_lo
	s_delay_alu instid0(VALU_DEP_2)
	v_cmpx_ne_u32_e32 0x7f, v87
	s_cbranch_execz .LBB346_1014
; %bb.1011:                             ;   in Loop: Header=BB346_645 Depth=1
	v_dual_lshrrev_b32 v1, 3, v87 :: v_dual_bitop2_b32 v20, 7, v0 bitop3:0x40
	s_mov_b32 s24, exec_lo
	v_cmpx_gt_u32_e32 8, v87
; %bb.1012:                             ;   in Loop: Header=BB346_645 Depth=1
	s_delay_alu instid0(VALU_DEP_2) | instskip(NEXT) | instid1(VALU_DEP_1)
	v_clz_i32_u32_e32 v1, v20
	v_min_u32_e32 v1, 32, v1
	s_delay_alu instid0(VALU_DEP_1) | instskip(NEXT) | instid1(VALU_DEP_1)
	v_subrev_nc_u32_e32 v31, 28, v1
	v_lshlrev_b64_e32 v[94:95], v31, v[20:21]
	s_delay_alu instid0(VALU_DEP_1)
	v_dual_sub_nc_u32 v1, 29, v1 :: v_dual_bitop2_b32 v20, 7, v94 bitop3:0x40
; %bb.1013:                             ;   in Loop: Header=BB346_645 Depth=1
	s_or_b32 exec_lo, exec_lo, s24
	v_lshlrev_b32_e32 v0, 24, v0
	s_delay_alu instid0(VALU_DEP_2) | instskip(NEXT) | instid1(VALU_DEP_3)
	v_lshlrev_b32_e32 v20, 20, v20
	v_lshl_add_u32 v1, v1, 23, 0x3c000000
	s_delay_alu instid0(VALU_DEP_3) | instskip(NEXT) | instid1(VALU_DEP_1)
	v_and_b32_e32 v0, 0x80000000, v0
	v_or3_b32 v31, v20, v0, v1
.LBB346_1014:                           ;   in Loop: Header=BB346_645 Depth=1
	s_or_b32 exec_lo, exec_lo, s23
.LBB346_1015:                           ;   in Loop: Header=BB346_645 Depth=1
	s_delay_alu instid0(SALU_CYCLE_1)
	s_or_b32 exec_lo, exec_lo, s22
.LBB346_1016:                           ;   in Loop: Header=BB346_645 Depth=1
	s_delay_alu instid0(SALU_CYCLE_1)
	s_or_b32 exec_lo, exec_lo, s21
	v_fma_mixlo_bf16 v87, s20, v30, 0
	v_fma_mixlo_bf16 v88, s20, v88, 0
	v_fma_mixlo_bf16 v89, s20, v89, 0
	v_fma_mixlo_bf16 v90, s20, v90, 0
	v_fma_mixlo_bf16 v91, s20, v86, 0
	v_fma_mixlo_bf16 v92, s20, v85, 0
	v_fma_mixlo_bf16 v85, s20, v93, 0
	v_fma_mixlo_bf16 v86, s20, v31, 0
	s_and_saveexec_b32 s21, vcc_lo
	s_cbranch_execz .LBB346_1018
; %bb.1017:                             ;   in Loop: Header=BB346_645 Depth=1
	v_cmp_gt_i32_e64 s0, s34, v45
	s_delay_alu instid0(VALU_DEP_1) | instskip(SKIP_1) | instid1(VALU_DEP_1)
	v_cndmask_b32_e64 v92, 0, v92, s0
	v_cmp_gt_i32_e64 s0, s34, v52
	v_cndmask_b32_e64 v91, 0, v91, s0
	v_cmp_gt_i32_e64 s0, s34, v51
	s_delay_alu instid0(VALU_DEP_1) | instskip(SKIP_1) | instid1(VALU_DEP_1)
	v_cndmask_b32_e64 v90, 0, v90, s0
	v_cmp_gt_i32_e64 s0, s34, v50
	v_cndmask_b32_e64 v89, 0, v89, s0
	;; [unrolled: 5-line block ×4, first 2 shown]
.LBB346_1018:                           ;   in Loop: Header=BB346_645 Depth=1
	s_or_b32 exec_lo, exec_lo, s21
	global_load_b64 v[0:1], v[28:29], off offset:1536
	v_dual_mov_b32 v94, 0 :: v_dual_mov_b32 v93, 0
	s_mov_b32 s21, exec_lo
	s_wait_loadcnt 0x0
	v_and_b32_e32 v20, 0xff, v0
	s_delay_alu instid0(VALU_DEP_1)
	v_cmpx_ne_u16_e32 0, v20
	s_cbranch_execz .LBB346_1024
; %bb.1019:                             ;   in Loop: Header=BB346_645 Depth=1
	v_bfrev_b32_e32 v93, 1
	s_mov_b32 s22, exec_lo
	v_cmpx_ne_u16_e32 0x80, v20
	s_cbranch_execz .LBB346_1023
; %bb.1020:                             ;   in Loop: Header=BB346_645 Depth=1
	v_and_b32_e32 v20, 0x7f, v0
	v_mov_b32_e32 v93, 0x7f800001
	s_mov_b32 s23, exec_lo
	s_delay_alu instid0(VALU_DEP_2)
	v_cmpx_ne_u32_e32 0x7f, v20
	s_cbranch_execz .LBB346_1022
; %bb.1021:                             ;   in Loop: Header=BB346_645 Depth=1
	v_and_b32_e32 v30, 7, v0
	v_cmp_gt_u32_e64 s0, 8, v20
	s_delay_alu instid0(VALU_DEP_2) | instskip(NEXT) | instid1(VALU_DEP_1)
	v_clz_i32_u32_e32 v30, v30
	v_min_u32_e32 v30, 32, v30
	v_lshrrev_b32_e32 v31, 3, v20
	s_delay_alu instid0(VALU_DEP_2) | instskip(SKIP_1) | instid1(VALU_DEP_1)
	v_subrev_nc_u32_e32 v93, 28, v30
	v_sub_nc_u32_e32 v30, 29, v30
	v_dual_cndmask_b32 v20, v31, v30, s0 :: v_dual_cndmask_b32 v30, 0, v93, s0
	s_delay_alu instid0(VALU_DEP_1) | instskip(NEXT) | instid1(VALU_DEP_2)
	v_lshl_add_u32 v20, v20, 23, 0x3c000000
	v_lshlrev_b64_e32 v[30:31], v30, v[0:1]
	v_lshlrev_b32_e32 v31, 24, v0
	s_delay_alu instid0(VALU_DEP_1) | instskip(NEXT) | instid1(VALU_DEP_3)
	v_and_b32_e32 v31, 0x80000000, v31
	v_lshlrev_b32_e32 v30, 20, v30
	s_delay_alu instid0(VALU_DEP_1) | instskip(NEXT) | instid1(VALU_DEP_1)
	v_and_b32_e32 v30, 0x700000, v30
	v_or3_b32 v93, v30, v31, v20
.LBB346_1022:                           ;   in Loop: Header=BB346_645 Depth=1
	s_or_b32 exec_lo, exec_lo, s23
.LBB346_1023:                           ;   in Loop: Header=BB346_645 Depth=1
	s_delay_alu instid0(SALU_CYCLE_1)
	s_or_b32 exec_lo, exec_lo, s22
.LBB346_1024:                           ;   in Loop: Header=BB346_645 Depth=1
	s_delay_alu instid0(SALU_CYCLE_1) | instskip(SKIP_2) | instid1(VALU_DEP_1)
	s_or_b32 exec_lo, exec_lo, s21
	v_lshrrev_b16 v20, 8, v0
	s_mov_b32 s21, exec_lo
	v_cmpx_ne_u16_e32 0, v20
	s_cbranch_execz .LBB346_1032
; %bb.1025:                             ;   in Loop: Header=BB346_645 Depth=1
	v_bfrev_b32_e32 v94, 1
	s_mov_b32 s22, exec_lo
	v_cmpx_ne_u16_e32 0x80, v20
	s_cbranch_execz .LBB346_1031
; %bb.1026:                             ;   in Loop: Header=BB346_645 Depth=1
	v_and_b32_e32 v20, 0xffff, v20
	v_mov_b32_e32 v94, 0x7f800001
	s_mov_b32 s23, exec_lo
	s_delay_alu instid0(VALU_DEP_2) | instskip(NEXT) | instid1(VALU_DEP_1)
	v_and_b32_e32 v31, 0x7f, v20
	v_cmpx_ne_u32_e32 0x7f, v31
	s_cbranch_execz .LBB346_1030
; %bb.1027:                             ;   in Loop: Header=BB346_645 Depth=1
	v_dual_lshrrev_b32 v30, 3, v31 :: v_dual_bitop2_b32 v20, 7, v20 bitop3:0x40
	s_mov_b32 s24, exec_lo
	v_cmpx_gt_u32_e32 8, v31
; %bb.1028:                             ;   in Loop: Header=BB346_645 Depth=1
	s_delay_alu instid0(VALU_DEP_2) | instskip(NEXT) | instid1(VALU_DEP_1)
	v_clz_i32_u32_e32 v30, v20
	v_min_u32_e32 v30, 32, v30
	s_delay_alu instid0(VALU_DEP_1) | instskip(SKIP_1) | instid1(VALU_DEP_2)
	v_subrev_nc_u32_e32 v31, 28, v30
	v_sub_nc_u32_e32 v30, 29, v30
	v_lshlrev_b64_e32 v[94:95], v31, v[20:21]
	s_delay_alu instid0(VALU_DEP_1)
	v_and_b32_e32 v20, 7, v94
; %bb.1029:                             ;   in Loop: Header=BB346_645 Depth=1
	s_or_b32 exec_lo, exec_lo, s24
	v_lshlrev_b32_e32 v31, 16, v0
	s_delay_alu instid0(VALU_DEP_2) | instskip(SKIP_1) | instid1(VALU_DEP_3)
	v_lshlrev_b32_e32 v20, 20, v20
	v_lshl_add_u32 v30, v30, 23, 0x3c000000
	v_and_b32_e32 v31, 0x80000000, v31
	s_delay_alu instid0(VALU_DEP_1)
	v_or3_b32 v94, v20, v31, v30
.LBB346_1030:                           ;   in Loop: Header=BB346_645 Depth=1
	s_or_b32 exec_lo, exec_lo, s23
.LBB346_1031:                           ;   in Loop: Header=BB346_645 Depth=1
	s_delay_alu instid0(SALU_CYCLE_1)
	s_or_b32 exec_lo, exec_lo, s22
.LBB346_1032:                           ;   in Loop: Header=BB346_645 Depth=1
	s_delay_alu instid0(SALU_CYCLE_1) | instskip(SKIP_3) | instid1(VALU_DEP_2)
	s_or_b32 exec_lo, exec_lo, s21
	v_dual_mov_b32 v97, 0 :: v_dual_lshrrev_b32 v30, 16, v0
	v_mov_b32_e32 v98, 0
	s_mov_b32 s21, exec_lo
	v_and_b32_e32 v20, 0xff, v30
	s_delay_alu instid0(VALU_DEP_1)
	v_cmpx_ne_u16_e32 0, v20
	s_cbranch_execz .LBB346_1040
; %bb.1033:                             ;   in Loop: Header=BB346_645 Depth=1
	v_bfrev_b32_e32 v98, 1
	s_mov_b32 s22, exec_lo
	v_cmpx_ne_u16_e32 0x80, v20
	s_cbranch_execz .LBB346_1039
; %bb.1034:                             ;   in Loop: Header=BB346_645 Depth=1
	v_bfe_u32 v95, v0, 16, 7
	v_mov_b32_e32 v98, 0x7f800001
	s_mov_b32 s23, exec_lo
	s_delay_alu instid0(VALU_DEP_2)
	v_cmpx_ne_u32_e32 0x7f, v95
	s_cbranch_execz .LBB346_1038
; %bb.1035:                             ;   in Loop: Header=BB346_645 Depth=1
	v_dual_lshrrev_b32 v31, 3, v95 :: v_dual_bitop2_b32 v20, 7, v30 bitop3:0x40
	s_mov_b32 s24, exec_lo
	v_cmpx_gt_u32_e32 8, v95
; %bb.1036:                             ;   in Loop: Header=BB346_645 Depth=1
	s_delay_alu instid0(VALU_DEP_2) | instskip(NEXT) | instid1(VALU_DEP_1)
	v_clz_i32_u32_e32 v31, v20
	v_min_u32_e32 v31, 32, v31
	s_delay_alu instid0(VALU_DEP_1) | instskip(NEXT) | instid1(VALU_DEP_1)
	v_subrev_nc_u32_e32 v95, 28, v31
	v_lshlrev_b64_e32 v[98:99], v95, v[20:21]
	s_delay_alu instid0(VALU_DEP_1)
	v_dual_sub_nc_u32 v31, 29, v31 :: v_dual_bitop2_b32 v20, 7, v98 bitop3:0x40
; %bb.1037:                             ;   in Loop: Header=BB346_645 Depth=1
	s_or_b32 exec_lo, exec_lo, s24
	s_delay_alu instid0(VALU_DEP_1) | instskip(NEXT) | instid1(VALU_DEP_2)
	v_dual_lshlrev_b32 v30, 24, v30 :: v_dual_lshlrev_b32 v20, 20, v20
	v_lshl_add_u32 v31, v31, 23, 0x3c000000
	s_delay_alu instid0(VALU_DEP_2) | instskip(NEXT) | instid1(VALU_DEP_1)
	v_and_b32_e32 v30, 0x80000000, v30
	v_or3_b32 v98, v20, v30, v31
.LBB346_1038:                           ;   in Loop: Header=BB346_645 Depth=1
	s_or_b32 exec_lo, exec_lo, s23
.LBB346_1039:                           ;   in Loop: Header=BB346_645 Depth=1
	s_delay_alu instid0(SALU_CYCLE_1)
	s_or_b32 exec_lo, exec_lo, s22
.LBB346_1040:                           ;   in Loop: Header=BB346_645 Depth=1
	s_delay_alu instid0(SALU_CYCLE_1) | instskip(NEXT) | instid1(SALU_CYCLE_1)
	s_or_b32 exec_lo, exec_lo, s21
	s_mov_b32 s21, exec_lo
	v_cmpx_lt_u32_e32 0xffffff, v0
	s_cbranch_execz .LBB346_1048
; %bb.1041:                             ;   in Loop: Header=BB346_645 Depth=1
	v_lshrrev_b32_e32 v30, 24, v0
	v_bfrev_b32_e32 v97, 1
	s_mov_b32 s22, exec_lo
	s_delay_alu instid0(VALU_DEP_2)
	v_cmpx_ne_u32_e32 0x80, v30
	s_cbranch_execz .LBB346_1047
; %bb.1042:                             ;   in Loop: Header=BB346_645 Depth=1
	v_bfe_u32 v95, v0, 24, 7
	v_mov_b32_e32 v97, 0x7f800001
	s_mov_b32 s23, exec_lo
	s_delay_alu instid0(VALU_DEP_2)
	v_cmpx_ne_u32_e32 0x7f, v95
	s_cbranch_execz .LBB346_1046
; %bb.1043:                             ;   in Loop: Header=BB346_645 Depth=1
	v_dual_lshrrev_b32 v31, 3, v95 :: v_dual_bitop2_b32 v20, 7, v30 bitop3:0x40
	s_mov_b32 s24, exec_lo
	v_cmpx_gt_u32_e32 8, v95
; %bb.1044:                             ;   in Loop: Header=BB346_645 Depth=1
	s_delay_alu instid0(VALU_DEP_2) | instskip(NEXT) | instid1(VALU_DEP_1)
	v_clz_i32_u32_e32 v31, v20
	v_min_u32_e32 v31, 32, v31
	s_delay_alu instid0(VALU_DEP_1) | instskip(NEXT) | instid1(VALU_DEP_1)
	v_subrev_nc_u32_e32 v95, 28, v31
	v_lshlrev_b64_e32 v[96:97], v95, v[20:21]
	s_delay_alu instid0(VALU_DEP_1)
	v_dual_sub_nc_u32 v31, 29, v31 :: v_dual_bitop2_b32 v20, 7, v96 bitop3:0x40
; %bb.1045:                             ;   in Loop: Header=BB346_645 Depth=1
	s_or_b32 exec_lo, exec_lo, s24
	s_delay_alu instid0(VALU_DEP_1) | instskip(NEXT) | instid1(VALU_DEP_2)
	v_dual_lshlrev_b32 v30, 24, v30 :: v_dual_lshlrev_b32 v20, 20, v20
	v_lshl_add_u32 v31, v31, 23, 0x3c000000
	s_delay_alu instid0(VALU_DEP_2) | instskip(NEXT) | instid1(VALU_DEP_1)
	v_and_b32_e32 v30, 0x80000000, v30
	v_or3_b32 v97, v20, v30, v31
.LBB346_1046:                           ;   in Loop: Header=BB346_645 Depth=1
	s_or_b32 exec_lo, exec_lo, s23
.LBB346_1047:                           ;   in Loop: Header=BB346_645 Depth=1
	s_delay_alu instid0(SALU_CYCLE_1)
	s_or_b32 exec_lo, exec_lo, s22
.LBB346_1048:                           ;   in Loop: Header=BB346_645 Depth=1
	s_delay_alu instid0(SALU_CYCLE_1) | instskip(SKIP_4) | instid1(VALU_DEP_3)
	s_or_b32 exec_lo, exec_lo, s21
	v_and_b32_e32 v31, 0xff, v1
	v_dual_mov_b32 v20, v1 :: v_dual_mov_b32 v30, 0
	v_mov_b32_e32 v96, 0
	s_mov_b32 s21, exec_lo
	v_cmpx_ne_u16_e32 0, v31
	s_cbranch_execz .LBB346_1054
; %bb.1049:                             ;   in Loop: Header=BB346_645 Depth=1
	v_bfrev_b32_e32 v96, 1
	s_mov_b32 s22, exec_lo
	v_cmpx_ne_u16_e32 0x80, v31
	s_cbranch_execz .LBB346_1053
; %bb.1050:                             ;   in Loop: Header=BB346_645 Depth=1
	v_and_b32_e32 v31, 0x7f, v1
	v_mov_b32_e32 v96, 0x7f800001
	s_mov_b32 s23, exec_lo
	s_delay_alu instid0(VALU_DEP_2)
	v_cmpx_ne_u32_e32 0x7f, v31
	s_cbranch_execz .LBB346_1052
; %bb.1051:                             ;   in Loop: Header=BB346_645 Depth=1
	v_dual_lshrrev_b32 v96, 3, v31 :: v_dual_bitop2_b32 v95, 7, v1 bitop3:0x40
	v_cmp_gt_u32_e64 s0, 8, v31
	s_delay_alu instid0(VALU_DEP_2) | instskip(NEXT) | instid1(VALU_DEP_1)
	v_clz_i32_u32_e32 v95, v95
	v_min_u32_e32 v95, 32, v95
	s_delay_alu instid0(VALU_DEP_1) | instskip(SKIP_1) | instid1(VALU_DEP_1)
	v_subrev_nc_u32_e32 v99, 28, v95
	v_sub_nc_u32_e32 v95, 29, v95
	v_cndmask_b32_e64 v31, v96, v95, s0
	s_delay_alu instid0(VALU_DEP_3) | instskip(NEXT) | instid1(VALU_DEP_1)
	v_cndmask_b32_e64 v95, 0, v99, s0
	v_lshlrev_b64_e32 v[100:101], v95, v[20:21]
	v_lshlrev_b32_e32 v95, 24, v20
	s_delay_alu instid0(VALU_DEP_4) | instskip(NEXT) | instid1(VALU_DEP_2)
	v_lshl_add_u32 v31, v31, 23, 0x3c000000
	v_and_b32_e32 v95, 0x80000000, v95
	s_delay_alu instid0(VALU_DEP_4) | instskip(NEXT) | instid1(VALU_DEP_1)
	v_lshlrev_b32_e32 v96, 20, v100
	v_and_b32_e32 v96, 0x700000, v96
	s_delay_alu instid0(VALU_DEP_1)
	v_or3_b32 v96, v96, v95, v31
.LBB346_1052:                           ;   in Loop: Header=BB346_645 Depth=1
	s_or_b32 exec_lo, exec_lo, s23
.LBB346_1053:                           ;   in Loop: Header=BB346_645 Depth=1
	s_delay_alu instid0(SALU_CYCLE_1)
	s_or_b32 exec_lo, exec_lo, s22
.LBB346_1054:                           ;   in Loop: Header=BB346_645 Depth=1
	s_delay_alu instid0(SALU_CYCLE_1) | instskip(SKIP_2) | instid1(VALU_DEP_1)
	s_or_b32 exec_lo, exec_lo, s21
	v_lshrrev_b16 v31, 8, v20
	s_mov_b32 s21, exec_lo
	v_cmpx_ne_u16_e32 0, v31
	s_cbranch_execz .LBB346_1062
; %bb.1055:                             ;   in Loop: Header=BB346_645 Depth=1
	v_bfrev_b32_e32 v30, 1
	s_mov_b32 s22, exec_lo
	v_cmpx_ne_u16_e32 0x80, v31
	s_cbranch_execz .LBB346_1061
; %bb.1056:                             ;   in Loop: Header=BB346_645 Depth=1
	v_and_b32_e32 v31, 0xffff, v31
	v_mov_b32_e32 v30, 0x7f800001
	s_mov_b32 s23, exec_lo
	s_delay_alu instid0(VALU_DEP_2) | instskip(NEXT) | instid1(VALU_DEP_1)
	v_and_b32_e32 v99, 0x7f, v31
	v_cmpx_ne_u32_e32 0x7f, v99
	s_cbranch_execz .LBB346_1060
; %bb.1057:                             ;   in Loop: Header=BB346_645 Depth=1
	v_dual_mov_b32 v31, v21 :: v_dual_bitop2_b32 v30, 7, v31 bitop3:0x40
	v_lshrrev_b32_e32 v95, 3, v99
	s_mov_b32 s24, exec_lo
	v_cmpx_gt_u32_e32 8, v99
; %bb.1058:                             ;   in Loop: Header=BB346_645 Depth=1
	s_delay_alu instid0(VALU_DEP_3) | instskip(NEXT) | instid1(VALU_DEP_1)
	v_clz_i32_u32_e32 v95, v30
	v_min_u32_e32 v95, 32, v95
	s_delay_alu instid0(VALU_DEP_1) | instskip(NEXT) | instid1(VALU_DEP_1)
	v_subrev_nc_u32_e32 v99, 28, v95
	v_lshlrev_b64_e32 v[30:31], v99, v[30:31]
	s_delay_alu instid0(VALU_DEP_1)
	v_dual_sub_nc_u32 v95, 29, v95 :: v_dual_bitop2_b32 v30, 7, v30 bitop3:0x40
; %bb.1059:                             ;   in Loop: Header=BB346_645 Depth=1
	s_or_b32 exec_lo, exec_lo, s24
	s_delay_alu instid0(VALU_DEP_1) | instskip(NEXT) | instid1(VALU_DEP_2)
	v_dual_lshlrev_b32 v20, 16, v20 :: v_dual_lshlrev_b32 v30, 20, v30
	v_lshl_add_u32 v31, v95, 23, 0x3c000000
	s_delay_alu instid0(VALU_DEP_2) | instskip(NEXT) | instid1(VALU_DEP_1)
	v_and_b32_e32 v20, 0x80000000, v20
	v_or3_b32 v30, v30, v20, v31
.LBB346_1060:                           ;   in Loop: Header=BB346_645 Depth=1
	s_or_b32 exec_lo, exec_lo, s23
.LBB346_1061:                           ;   in Loop: Header=BB346_645 Depth=1
	s_delay_alu instid0(SALU_CYCLE_1)
	s_or_b32 exec_lo, exec_lo, s22
.LBB346_1062:                           ;   in Loop: Header=BB346_645 Depth=1
	s_delay_alu instid0(SALU_CYCLE_1) | instskip(SKIP_3) | instid1(VALU_DEP_2)
	s_or_b32 exec_lo, exec_lo, s21
	v_dual_lshrrev_b32 v95, 16, v1 :: v_dual_mov_b32 v31, 0
	v_mov_b32_e32 v101, 0
	s_mov_b32 s21, exec_lo
	v_and_b32_e32 v20, 0xff, v95
	s_delay_alu instid0(VALU_DEP_1)
	v_cmpx_ne_u16_e32 0, v20
	s_cbranch_execz .LBB346_1070
; %bb.1063:                             ;   in Loop: Header=BB346_645 Depth=1
	v_bfrev_b32_e32 v101, 1
	s_mov_b32 s22, exec_lo
	v_cmpx_ne_u16_e32 0x80, v20
	s_cbranch_execz .LBB346_1069
; %bb.1064:                             ;   in Loop: Header=BB346_645 Depth=1
	v_bfe_u32 v100, v1, 16, 7
	v_mov_b32_e32 v101, 0x7f800001
	s_mov_b32 s23, exec_lo
	s_delay_alu instid0(VALU_DEP_2)
	v_cmpx_ne_u32_e32 0x7f, v100
	s_cbranch_execz .LBB346_1068
; %bb.1065:                             ;   in Loop: Header=BB346_645 Depth=1
	v_dual_lshrrev_b32 v99, 3, v100 :: v_dual_bitop2_b32 v20, 7, v95 bitop3:0x40
	s_mov_b32 s24, exec_lo
	v_cmpx_gt_u32_e32 8, v100
; %bb.1066:                             ;   in Loop: Header=BB346_645 Depth=1
	s_delay_alu instid0(VALU_DEP_2) | instskip(NEXT) | instid1(VALU_DEP_1)
	v_clz_i32_u32_e32 v99, v20
	v_min_u32_e32 v99, 32, v99
	s_delay_alu instid0(VALU_DEP_1) | instskip(NEXT) | instid1(VALU_DEP_1)
	v_subrev_nc_u32_e32 v100, 28, v99
	v_lshlrev_b64_e32 v[100:101], v100, v[20:21]
	s_delay_alu instid0(VALU_DEP_1)
	v_dual_sub_nc_u32 v99, 29, v99 :: v_dual_bitop2_b32 v20, 7, v100 bitop3:0x40
; %bb.1067:                             ;   in Loop: Header=BB346_645 Depth=1
	s_or_b32 exec_lo, exec_lo, s24
	s_delay_alu instid0(VALU_DEP_1) | instskip(NEXT) | instid1(VALU_DEP_2)
	v_dual_lshlrev_b32 v95, 24, v95 :: v_dual_lshlrev_b32 v20, 20, v20
	v_lshl_add_u32 v99, v99, 23, 0x3c000000
	s_delay_alu instid0(VALU_DEP_2) | instskip(NEXT) | instid1(VALU_DEP_1)
	v_and_b32_e32 v95, 0x80000000, v95
	v_or3_b32 v101, v20, v95, v99
.LBB346_1068:                           ;   in Loop: Header=BB346_645 Depth=1
	s_or_b32 exec_lo, exec_lo, s23
.LBB346_1069:                           ;   in Loop: Header=BB346_645 Depth=1
	s_delay_alu instid0(SALU_CYCLE_1)
	s_or_b32 exec_lo, exec_lo, s22
.LBB346_1070:                           ;   in Loop: Header=BB346_645 Depth=1
	s_delay_alu instid0(SALU_CYCLE_1) | instskip(NEXT) | instid1(SALU_CYCLE_1)
	s_or_b32 exec_lo, exec_lo, s21
	s_mov_b32 s21, exec_lo
	v_cmpx_lt_u64_e64 s[2:3], v[0:1]
	s_cbranch_execz .LBB346_1078
; %bb.1071:                             ;   in Loop: Header=BB346_645 Depth=1
	v_lshrrev_b32_e32 v0, 24, v1
	v_bfrev_b32_e32 v31, 1
	s_mov_b32 s22, exec_lo
	s_delay_alu instid0(VALU_DEP_2)
	v_cmpx_ne_u32_e32 0x80, v0
	s_cbranch_execz .LBB346_1077
; %bb.1072:                             ;   in Loop: Header=BB346_645 Depth=1
	v_bfe_u32 v95, v1, 24, 7
	v_mov_b32_e32 v31, 0x7f800001
	s_mov_b32 s23, exec_lo
	s_delay_alu instid0(VALU_DEP_2)
	v_cmpx_ne_u32_e32 0x7f, v95
	s_cbranch_execz .LBB346_1076
; %bb.1073:                             ;   in Loop: Header=BB346_645 Depth=1
	v_dual_lshrrev_b32 v1, 3, v95 :: v_dual_bitop2_b32 v20, 7, v0 bitop3:0x40
	s_mov_b32 s24, exec_lo
	v_cmpx_gt_u32_e32 8, v95
; %bb.1074:                             ;   in Loop: Header=BB346_645 Depth=1
	s_delay_alu instid0(VALU_DEP_2) | instskip(NEXT) | instid1(VALU_DEP_1)
	v_clz_i32_u32_e32 v1, v20
	v_min_u32_e32 v1, 32, v1
	s_delay_alu instid0(VALU_DEP_1) | instskip(NEXT) | instid1(VALU_DEP_1)
	v_subrev_nc_u32_e32 v31, 28, v1
	v_lshlrev_b64_e32 v[102:103], v31, v[20:21]
	s_delay_alu instid0(VALU_DEP_1)
	v_dual_sub_nc_u32 v1, 29, v1 :: v_dual_bitop2_b32 v20, 7, v102 bitop3:0x40
; %bb.1075:                             ;   in Loop: Header=BB346_645 Depth=1
	s_or_b32 exec_lo, exec_lo, s24
	v_lshlrev_b32_e32 v0, 24, v0
	s_delay_alu instid0(VALU_DEP_2) | instskip(NEXT) | instid1(VALU_DEP_3)
	v_lshlrev_b32_e32 v20, 20, v20
	v_lshl_add_u32 v1, v1, 23, 0x3c000000
	s_delay_alu instid0(VALU_DEP_3) | instskip(NEXT) | instid1(VALU_DEP_1)
	v_and_b32_e32 v0, 0x80000000, v0
	v_or3_b32 v31, v20, v0, v1
.LBB346_1076:                           ;   in Loop: Header=BB346_645 Depth=1
	s_or_b32 exec_lo, exec_lo, s23
.LBB346_1077:                           ;   in Loop: Header=BB346_645 Depth=1
	s_delay_alu instid0(SALU_CYCLE_1)
	s_or_b32 exec_lo, exec_lo, s22
.LBB346_1078:                           ;   in Loop: Header=BB346_645 Depth=1
	s_delay_alu instid0(SALU_CYCLE_1)
	s_or_b32 exec_lo, exec_lo, s21
	v_fma_mixlo_bf16 v95, s20, v30, 0
	v_fma_mixlo_bf16 v96, s20, v96, 0
	;; [unrolled: 1-line block ×8, first 2 shown]
	s_and_saveexec_b32 s21, vcc_lo
	s_cbranch_execz .LBB346_1080
; %bb.1079:                             ;   in Loop: Header=BB346_645 Depth=1
	v_cmp_gt_i32_e64 s0, s34, v45
	s_delay_alu instid0(VALU_DEP_1) | instskip(SKIP_1) | instid1(VALU_DEP_1)
	v_cndmask_b32_e64 v100, 0, v100, s0
	v_cmp_gt_i32_e64 s0, s34, v52
	v_cndmask_b32_e64 v99, 0, v99, s0
	v_cmp_gt_i32_e64 s0, s34, v51
	s_delay_alu instid0(VALU_DEP_1) | instskip(SKIP_1) | instid1(VALU_DEP_1)
	v_cndmask_b32_e64 v98, 0, v98, s0
	v_cmp_gt_i32_e64 s0, s34, v50
	v_cndmask_b32_e64 v97, 0, v97, s0
	;; [unrolled: 5-line block ×4, first 2 shown]
.LBB346_1080:                           ;   in Loop: Header=BB346_645 Depth=1
	s_or_b32 exec_lo, exec_lo, s21
	global_load_b64 v[0:1], v[28:29], off offset:1792
	v_dual_mov_b32 v102, 0 :: v_dual_mov_b32 v101, 0
	s_mov_b32 s21, exec_lo
	s_wait_loadcnt 0x0
	v_and_b32_e32 v20, 0xff, v0
	s_delay_alu instid0(VALU_DEP_1)
	v_cmpx_ne_u16_e32 0, v20
	s_cbranch_execz .LBB346_1086
; %bb.1081:                             ;   in Loop: Header=BB346_645 Depth=1
	v_bfrev_b32_e32 v101, 1
	s_mov_b32 s22, exec_lo
	v_cmpx_ne_u16_e32 0x80, v20
	s_cbranch_execz .LBB346_1085
; %bb.1082:                             ;   in Loop: Header=BB346_645 Depth=1
	v_and_b32_e32 v20, 0x7f, v0
	v_mov_b32_e32 v101, 0x7f800001
	s_mov_b32 s23, exec_lo
	s_delay_alu instid0(VALU_DEP_2)
	v_cmpx_ne_u32_e32 0x7f, v20
	s_cbranch_execz .LBB346_1084
; %bb.1083:                             ;   in Loop: Header=BB346_645 Depth=1
	v_and_b32_e32 v30, 7, v0
	v_cmp_gt_u32_e64 s0, 8, v20
	s_delay_alu instid0(VALU_DEP_2) | instskip(NEXT) | instid1(VALU_DEP_1)
	v_clz_i32_u32_e32 v30, v30
	v_min_u32_e32 v30, 32, v30
	v_lshrrev_b32_e32 v31, 3, v20
	s_delay_alu instid0(VALU_DEP_2) | instskip(SKIP_1) | instid1(VALU_DEP_1)
	v_subrev_nc_u32_e32 v101, 28, v30
	v_sub_nc_u32_e32 v30, 29, v30
	v_dual_cndmask_b32 v20, v31, v30, s0 :: v_dual_cndmask_b32 v30, 0, v101, s0
	s_delay_alu instid0(VALU_DEP_1) | instskip(NEXT) | instid1(VALU_DEP_2)
	v_lshl_add_u32 v20, v20, 23, 0x3c000000
	v_lshlrev_b64_e32 v[30:31], v30, v[0:1]
	v_lshlrev_b32_e32 v31, 24, v0
	s_delay_alu instid0(VALU_DEP_1) | instskip(NEXT) | instid1(VALU_DEP_3)
	v_and_b32_e32 v31, 0x80000000, v31
	v_lshlrev_b32_e32 v30, 20, v30
	s_delay_alu instid0(VALU_DEP_1) | instskip(NEXT) | instid1(VALU_DEP_1)
	v_and_b32_e32 v30, 0x700000, v30
	v_or3_b32 v101, v30, v31, v20
.LBB346_1084:                           ;   in Loop: Header=BB346_645 Depth=1
	s_or_b32 exec_lo, exec_lo, s23
.LBB346_1085:                           ;   in Loop: Header=BB346_645 Depth=1
	s_delay_alu instid0(SALU_CYCLE_1)
	s_or_b32 exec_lo, exec_lo, s22
.LBB346_1086:                           ;   in Loop: Header=BB346_645 Depth=1
	s_delay_alu instid0(SALU_CYCLE_1) | instskip(SKIP_2) | instid1(VALU_DEP_1)
	s_or_b32 exec_lo, exec_lo, s21
	v_lshrrev_b16 v20, 8, v0
	s_mov_b32 s21, exec_lo
	v_cmpx_ne_u16_e32 0, v20
	s_cbranch_execz .LBB346_1094
; %bb.1087:                             ;   in Loop: Header=BB346_645 Depth=1
	v_bfrev_b32_e32 v102, 1
	s_mov_b32 s22, exec_lo
	v_cmpx_ne_u16_e32 0x80, v20
	s_cbranch_execz .LBB346_1093
; %bb.1088:                             ;   in Loop: Header=BB346_645 Depth=1
	v_and_b32_e32 v20, 0xffff, v20
	v_mov_b32_e32 v102, 0x7f800001
	s_mov_b32 s23, exec_lo
	s_delay_alu instid0(VALU_DEP_2) | instskip(NEXT) | instid1(VALU_DEP_1)
	v_and_b32_e32 v31, 0x7f, v20
	v_cmpx_ne_u32_e32 0x7f, v31
	s_cbranch_execz .LBB346_1092
; %bb.1089:                             ;   in Loop: Header=BB346_645 Depth=1
	v_dual_lshrrev_b32 v30, 3, v31 :: v_dual_bitop2_b32 v20, 7, v20 bitop3:0x40
	s_mov_b32 s24, exec_lo
	v_cmpx_gt_u32_e32 8, v31
; %bb.1090:                             ;   in Loop: Header=BB346_645 Depth=1
	s_delay_alu instid0(VALU_DEP_2) | instskip(NEXT) | instid1(VALU_DEP_1)
	v_clz_i32_u32_e32 v30, v20
	v_min_u32_e32 v30, 32, v30
	s_delay_alu instid0(VALU_DEP_1) | instskip(SKIP_1) | instid1(VALU_DEP_2)
	v_subrev_nc_u32_e32 v31, 28, v30
	v_sub_nc_u32_e32 v30, 29, v30
	v_lshlrev_b64_e32 v[102:103], v31, v[20:21]
	s_delay_alu instid0(VALU_DEP_1)
	v_and_b32_e32 v20, 7, v102
; %bb.1091:                             ;   in Loop: Header=BB346_645 Depth=1
	s_or_b32 exec_lo, exec_lo, s24
	v_lshlrev_b32_e32 v31, 16, v0
	s_delay_alu instid0(VALU_DEP_2) | instskip(SKIP_1) | instid1(VALU_DEP_3)
	v_lshlrev_b32_e32 v20, 20, v20
	v_lshl_add_u32 v30, v30, 23, 0x3c000000
	v_and_b32_e32 v31, 0x80000000, v31
	s_delay_alu instid0(VALU_DEP_1)
	v_or3_b32 v102, v20, v31, v30
.LBB346_1092:                           ;   in Loop: Header=BB346_645 Depth=1
	s_or_b32 exec_lo, exec_lo, s23
.LBB346_1093:                           ;   in Loop: Header=BB346_645 Depth=1
	s_delay_alu instid0(SALU_CYCLE_1)
	s_or_b32 exec_lo, exec_lo, s22
.LBB346_1094:                           ;   in Loop: Header=BB346_645 Depth=1
	s_delay_alu instid0(SALU_CYCLE_1) | instskip(SKIP_3) | instid1(VALU_DEP_2)
	s_or_b32 exec_lo, exec_lo, s21
	v_dual_mov_b32 v105, 0 :: v_dual_lshrrev_b32 v30, 16, v0
	v_mov_b32_e32 v106, 0
	s_mov_b32 s21, exec_lo
	v_and_b32_e32 v20, 0xff, v30
	s_delay_alu instid0(VALU_DEP_1)
	v_cmpx_ne_u16_e32 0, v20
	s_cbranch_execz .LBB346_1102
; %bb.1095:                             ;   in Loop: Header=BB346_645 Depth=1
	v_bfrev_b32_e32 v106, 1
	s_mov_b32 s22, exec_lo
	v_cmpx_ne_u16_e32 0x80, v20
	s_cbranch_execz .LBB346_1101
; %bb.1096:                             ;   in Loop: Header=BB346_645 Depth=1
	v_bfe_u32 v103, v0, 16, 7
	v_mov_b32_e32 v106, 0x7f800001
	s_mov_b32 s23, exec_lo
	s_delay_alu instid0(VALU_DEP_2)
	v_cmpx_ne_u32_e32 0x7f, v103
	s_cbranch_execz .LBB346_1100
; %bb.1097:                             ;   in Loop: Header=BB346_645 Depth=1
	v_dual_lshrrev_b32 v31, 3, v103 :: v_dual_bitop2_b32 v20, 7, v30 bitop3:0x40
	s_mov_b32 s24, exec_lo
	v_cmpx_gt_u32_e32 8, v103
; %bb.1098:                             ;   in Loop: Header=BB346_645 Depth=1
	s_delay_alu instid0(VALU_DEP_2) | instskip(NEXT) | instid1(VALU_DEP_1)
	v_clz_i32_u32_e32 v31, v20
	v_min_u32_e32 v31, 32, v31
	s_delay_alu instid0(VALU_DEP_1) | instskip(NEXT) | instid1(VALU_DEP_1)
	v_subrev_nc_u32_e32 v103, 28, v31
	v_lshlrev_b64_e32 v[106:107], v103, v[20:21]
	s_delay_alu instid0(VALU_DEP_1)
	v_dual_sub_nc_u32 v31, 29, v31 :: v_dual_bitop2_b32 v20, 7, v106 bitop3:0x40
; %bb.1099:                             ;   in Loop: Header=BB346_645 Depth=1
	s_or_b32 exec_lo, exec_lo, s24
	s_delay_alu instid0(VALU_DEP_1) | instskip(NEXT) | instid1(VALU_DEP_2)
	v_dual_lshlrev_b32 v30, 24, v30 :: v_dual_lshlrev_b32 v20, 20, v20
	v_lshl_add_u32 v31, v31, 23, 0x3c000000
	s_delay_alu instid0(VALU_DEP_2) | instskip(NEXT) | instid1(VALU_DEP_1)
	v_and_b32_e32 v30, 0x80000000, v30
	v_or3_b32 v106, v20, v30, v31
.LBB346_1100:                           ;   in Loop: Header=BB346_645 Depth=1
	s_or_b32 exec_lo, exec_lo, s23
.LBB346_1101:                           ;   in Loop: Header=BB346_645 Depth=1
	s_delay_alu instid0(SALU_CYCLE_1)
	s_or_b32 exec_lo, exec_lo, s22
.LBB346_1102:                           ;   in Loop: Header=BB346_645 Depth=1
	s_delay_alu instid0(SALU_CYCLE_1) | instskip(NEXT) | instid1(SALU_CYCLE_1)
	s_or_b32 exec_lo, exec_lo, s21
	s_mov_b32 s21, exec_lo
	v_cmpx_lt_u32_e32 0xffffff, v0
	s_cbranch_execz .LBB346_1110
; %bb.1103:                             ;   in Loop: Header=BB346_645 Depth=1
	v_lshrrev_b32_e32 v30, 24, v0
	v_bfrev_b32_e32 v105, 1
	s_mov_b32 s22, exec_lo
	s_delay_alu instid0(VALU_DEP_2)
	v_cmpx_ne_u32_e32 0x80, v30
	s_cbranch_execz .LBB346_1109
; %bb.1104:                             ;   in Loop: Header=BB346_645 Depth=1
	v_bfe_u32 v103, v0, 24, 7
	v_mov_b32_e32 v105, 0x7f800001
	s_mov_b32 s23, exec_lo
	s_delay_alu instid0(VALU_DEP_2)
	v_cmpx_ne_u32_e32 0x7f, v103
	s_cbranch_execz .LBB346_1108
; %bb.1105:                             ;   in Loop: Header=BB346_645 Depth=1
	v_dual_lshrrev_b32 v31, 3, v103 :: v_dual_bitop2_b32 v20, 7, v30 bitop3:0x40
	s_mov_b32 s24, exec_lo
	v_cmpx_gt_u32_e32 8, v103
; %bb.1106:                             ;   in Loop: Header=BB346_645 Depth=1
	s_delay_alu instid0(VALU_DEP_2) | instskip(NEXT) | instid1(VALU_DEP_1)
	v_clz_i32_u32_e32 v31, v20
	v_min_u32_e32 v31, 32, v31
	s_delay_alu instid0(VALU_DEP_1) | instskip(NEXT) | instid1(VALU_DEP_1)
	v_subrev_nc_u32_e32 v103, 28, v31
	v_lshlrev_b64_e32 v[104:105], v103, v[20:21]
	s_delay_alu instid0(VALU_DEP_1)
	v_dual_sub_nc_u32 v31, 29, v31 :: v_dual_bitop2_b32 v20, 7, v104 bitop3:0x40
; %bb.1107:                             ;   in Loop: Header=BB346_645 Depth=1
	s_or_b32 exec_lo, exec_lo, s24
	s_delay_alu instid0(VALU_DEP_1) | instskip(NEXT) | instid1(VALU_DEP_2)
	v_dual_lshlrev_b32 v30, 24, v30 :: v_dual_lshlrev_b32 v20, 20, v20
	v_lshl_add_u32 v31, v31, 23, 0x3c000000
	s_delay_alu instid0(VALU_DEP_2) | instskip(NEXT) | instid1(VALU_DEP_1)
	v_and_b32_e32 v30, 0x80000000, v30
	v_or3_b32 v105, v20, v30, v31
.LBB346_1108:                           ;   in Loop: Header=BB346_645 Depth=1
	s_or_b32 exec_lo, exec_lo, s23
.LBB346_1109:                           ;   in Loop: Header=BB346_645 Depth=1
	s_delay_alu instid0(SALU_CYCLE_1)
	s_or_b32 exec_lo, exec_lo, s22
.LBB346_1110:                           ;   in Loop: Header=BB346_645 Depth=1
	s_delay_alu instid0(SALU_CYCLE_1) | instskip(SKIP_4) | instid1(VALU_DEP_3)
	s_or_b32 exec_lo, exec_lo, s21
	v_and_b32_e32 v31, 0xff, v1
	v_dual_mov_b32 v20, v1 :: v_dual_mov_b32 v30, 0
	v_mov_b32_e32 v104, 0
	s_mov_b32 s21, exec_lo
	v_cmpx_ne_u16_e32 0, v31
	s_cbranch_execz .LBB346_1116
; %bb.1111:                             ;   in Loop: Header=BB346_645 Depth=1
	v_bfrev_b32_e32 v104, 1
	s_mov_b32 s22, exec_lo
	v_cmpx_ne_u16_e32 0x80, v31
	s_cbranch_execz .LBB346_1115
; %bb.1112:                             ;   in Loop: Header=BB346_645 Depth=1
	v_and_b32_e32 v31, 0x7f, v1
	v_mov_b32_e32 v104, 0x7f800001
	s_mov_b32 s23, exec_lo
	s_delay_alu instid0(VALU_DEP_2)
	v_cmpx_ne_u32_e32 0x7f, v31
	s_cbranch_execz .LBB346_1114
; %bb.1113:                             ;   in Loop: Header=BB346_645 Depth=1
	v_dual_lshrrev_b32 v104, 3, v31 :: v_dual_bitop2_b32 v103, 7, v1 bitop3:0x40
	v_cmp_gt_u32_e64 s0, 8, v31
	s_delay_alu instid0(VALU_DEP_2) | instskip(NEXT) | instid1(VALU_DEP_1)
	v_clz_i32_u32_e32 v103, v103
	v_min_u32_e32 v103, 32, v103
	s_delay_alu instid0(VALU_DEP_1) | instskip(SKIP_1) | instid1(VALU_DEP_1)
	v_subrev_nc_u32_e32 v107, 28, v103
	v_sub_nc_u32_e32 v103, 29, v103
	v_cndmask_b32_e64 v31, v104, v103, s0
	s_delay_alu instid0(VALU_DEP_3) | instskip(NEXT) | instid1(VALU_DEP_1)
	v_cndmask_b32_e64 v103, 0, v107, s0
	v_lshlrev_b64_e32 v[108:109], v103, v[20:21]
	v_lshlrev_b32_e32 v103, 24, v20
	s_delay_alu instid0(VALU_DEP_4) | instskip(NEXT) | instid1(VALU_DEP_2)
	v_lshl_add_u32 v31, v31, 23, 0x3c000000
	v_and_b32_e32 v103, 0x80000000, v103
	s_delay_alu instid0(VALU_DEP_4) | instskip(NEXT) | instid1(VALU_DEP_1)
	v_lshlrev_b32_e32 v104, 20, v108
	v_and_b32_e32 v104, 0x700000, v104
	s_delay_alu instid0(VALU_DEP_1)
	v_or3_b32 v104, v104, v103, v31
.LBB346_1114:                           ;   in Loop: Header=BB346_645 Depth=1
	s_or_b32 exec_lo, exec_lo, s23
.LBB346_1115:                           ;   in Loop: Header=BB346_645 Depth=1
	s_delay_alu instid0(SALU_CYCLE_1)
	s_or_b32 exec_lo, exec_lo, s22
.LBB346_1116:                           ;   in Loop: Header=BB346_645 Depth=1
	s_delay_alu instid0(SALU_CYCLE_1) | instskip(SKIP_2) | instid1(VALU_DEP_1)
	s_or_b32 exec_lo, exec_lo, s21
	v_lshrrev_b16 v31, 8, v20
	s_mov_b32 s21, exec_lo
	v_cmpx_ne_u16_e32 0, v31
	s_cbranch_execz .LBB346_1124
; %bb.1117:                             ;   in Loop: Header=BB346_645 Depth=1
	v_bfrev_b32_e32 v30, 1
	s_mov_b32 s22, exec_lo
	v_cmpx_ne_u16_e32 0x80, v31
	s_cbranch_execz .LBB346_1123
; %bb.1118:                             ;   in Loop: Header=BB346_645 Depth=1
	v_and_b32_e32 v31, 0xffff, v31
	v_mov_b32_e32 v30, 0x7f800001
	s_mov_b32 s23, exec_lo
	s_delay_alu instid0(VALU_DEP_2) | instskip(NEXT) | instid1(VALU_DEP_1)
	v_and_b32_e32 v107, 0x7f, v31
	v_cmpx_ne_u32_e32 0x7f, v107
	s_cbranch_execz .LBB346_1122
; %bb.1119:                             ;   in Loop: Header=BB346_645 Depth=1
	v_dual_mov_b32 v31, v21 :: v_dual_bitop2_b32 v30, 7, v31 bitop3:0x40
	v_lshrrev_b32_e32 v103, 3, v107
	s_mov_b32 s24, exec_lo
	v_cmpx_gt_u32_e32 8, v107
; %bb.1120:                             ;   in Loop: Header=BB346_645 Depth=1
	s_delay_alu instid0(VALU_DEP_3) | instskip(NEXT) | instid1(VALU_DEP_1)
	v_clz_i32_u32_e32 v103, v30
	v_min_u32_e32 v103, 32, v103
	s_delay_alu instid0(VALU_DEP_1) | instskip(NEXT) | instid1(VALU_DEP_1)
	v_subrev_nc_u32_e32 v107, 28, v103
	v_lshlrev_b64_e32 v[30:31], v107, v[30:31]
	s_delay_alu instid0(VALU_DEP_1)
	v_dual_sub_nc_u32 v103, 29, v103 :: v_dual_bitop2_b32 v30, 7, v30 bitop3:0x40
; %bb.1121:                             ;   in Loop: Header=BB346_645 Depth=1
	s_or_b32 exec_lo, exec_lo, s24
	s_delay_alu instid0(VALU_DEP_1) | instskip(NEXT) | instid1(VALU_DEP_2)
	v_dual_lshlrev_b32 v20, 16, v20 :: v_dual_lshlrev_b32 v30, 20, v30
	v_lshl_add_u32 v31, v103, 23, 0x3c000000
	s_delay_alu instid0(VALU_DEP_2) | instskip(NEXT) | instid1(VALU_DEP_1)
	v_and_b32_e32 v20, 0x80000000, v20
	v_or3_b32 v30, v30, v20, v31
.LBB346_1122:                           ;   in Loop: Header=BB346_645 Depth=1
	s_or_b32 exec_lo, exec_lo, s23
.LBB346_1123:                           ;   in Loop: Header=BB346_645 Depth=1
	s_delay_alu instid0(SALU_CYCLE_1)
	s_or_b32 exec_lo, exec_lo, s22
.LBB346_1124:                           ;   in Loop: Header=BB346_645 Depth=1
	s_delay_alu instid0(SALU_CYCLE_1) | instskip(SKIP_3) | instid1(VALU_DEP_2)
	s_or_b32 exec_lo, exec_lo, s21
	v_dual_lshrrev_b32 v103, 16, v1 :: v_dual_mov_b32 v31, 0
	v_mov_b32_e32 v109, 0
	s_mov_b32 s21, exec_lo
	v_and_b32_e32 v20, 0xff, v103
	s_delay_alu instid0(VALU_DEP_1)
	v_cmpx_ne_u16_e32 0, v20
	s_cbranch_execz .LBB346_1132
; %bb.1125:                             ;   in Loop: Header=BB346_645 Depth=1
	v_bfrev_b32_e32 v109, 1
	s_mov_b32 s22, exec_lo
	v_cmpx_ne_u16_e32 0x80, v20
	s_cbranch_execz .LBB346_1131
; %bb.1126:                             ;   in Loop: Header=BB346_645 Depth=1
	v_bfe_u32 v108, v1, 16, 7
	v_mov_b32_e32 v109, 0x7f800001
	s_mov_b32 s23, exec_lo
	s_delay_alu instid0(VALU_DEP_2)
	v_cmpx_ne_u32_e32 0x7f, v108
	s_cbranch_execz .LBB346_1130
; %bb.1127:                             ;   in Loop: Header=BB346_645 Depth=1
	v_dual_lshrrev_b32 v107, 3, v108 :: v_dual_bitop2_b32 v20, 7, v103 bitop3:0x40
	s_mov_b32 s24, exec_lo
	v_cmpx_gt_u32_e32 8, v108
; %bb.1128:                             ;   in Loop: Header=BB346_645 Depth=1
	s_delay_alu instid0(VALU_DEP_2) | instskip(NEXT) | instid1(VALU_DEP_1)
	v_clz_i32_u32_e32 v107, v20
	v_min_u32_e32 v107, 32, v107
	s_delay_alu instid0(VALU_DEP_1) | instskip(NEXT) | instid1(VALU_DEP_1)
	v_subrev_nc_u32_e32 v108, 28, v107
	v_lshlrev_b64_e32 v[108:109], v108, v[20:21]
	s_delay_alu instid0(VALU_DEP_1)
	v_dual_sub_nc_u32 v107, 29, v107 :: v_dual_bitop2_b32 v20, 7, v108 bitop3:0x40
; %bb.1129:                             ;   in Loop: Header=BB346_645 Depth=1
	s_or_b32 exec_lo, exec_lo, s24
	s_delay_alu instid0(VALU_DEP_1) | instskip(NEXT) | instid1(VALU_DEP_2)
	v_dual_lshlrev_b32 v103, 24, v103 :: v_dual_lshlrev_b32 v20, 20, v20
	v_lshl_add_u32 v107, v107, 23, 0x3c000000
	s_delay_alu instid0(VALU_DEP_2) | instskip(NEXT) | instid1(VALU_DEP_1)
	v_and_b32_e32 v103, 0x80000000, v103
	v_or3_b32 v109, v20, v103, v107
.LBB346_1130:                           ;   in Loop: Header=BB346_645 Depth=1
	s_or_b32 exec_lo, exec_lo, s23
.LBB346_1131:                           ;   in Loop: Header=BB346_645 Depth=1
	s_delay_alu instid0(SALU_CYCLE_1)
	s_or_b32 exec_lo, exec_lo, s22
.LBB346_1132:                           ;   in Loop: Header=BB346_645 Depth=1
	s_delay_alu instid0(SALU_CYCLE_1) | instskip(NEXT) | instid1(SALU_CYCLE_1)
	s_or_b32 exec_lo, exec_lo, s21
	s_mov_b32 s21, exec_lo
	v_cmpx_lt_u64_e64 s[2:3], v[0:1]
	s_cbranch_execz .LBB346_1140
; %bb.1133:                             ;   in Loop: Header=BB346_645 Depth=1
	v_lshrrev_b32_e32 v0, 24, v1
	v_bfrev_b32_e32 v31, 1
	s_mov_b32 s22, exec_lo
	s_delay_alu instid0(VALU_DEP_2)
	v_cmpx_ne_u32_e32 0x80, v0
	s_cbranch_execz .LBB346_1139
; %bb.1134:                             ;   in Loop: Header=BB346_645 Depth=1
	v_bfe_u32 v103, v1, 24, 7
	v_mov_b32_e32 v31, 0x7f800001
	s_mov_b32 s23, exec_lo
	s_delay_alu instid0(VALU_DEP_2)
	v_cmpx_ne_u32_e32 0x7f, v103
	s_cbranch_execz .LBB346_1138
; %bb.1135:                             ;   in Loop: Header=BB346_645 Depth=1
	v_dual_lshrrev_b32 v1, 3, v103 :: v_dual_bitop2_b32 v20, 7, v0 bitop3:0x40
	s_mov_b32 s24, exec_lo
	v_cmpx_gt_u32_e32 8, v103
; %bb.1136:                             ;   in Loop: Header=BB346_645 Depth=1
	s_delay_alu instid0(VALU_DEP_2) | instskip(NEXT) | instid1(VALU_DEP_1)
	v_clz_i32_u32_e32 v1, v20
	v_min_u32_e32 v1, 32, v1
	s_delay_alu instid0(VALU_DEP_1) | instskip(NEXT) | instid1(VALU_DEP_1)
	v_subrev_nc_u32_e32 v31, 28, v1
	v_lshlrev_b64_e32 v[110:111], v31, v[20:21]
	s_delay_alu instid0(VALU_DEP_1)
	v_dual_sub_nc_u32 v1, 29, v1 :: v_dual_bitop2_b32 v20, 7, v110 bitop3:0x40
; %bb.1137:                             ;   in Loop: Header=BB346_645 Depth=1
	s_or_b32 exec_lo, exec_lo, s24
	v_lshlrev_b32_e32 v0, 24, v0
	s_delay_alu instid0(VALU_DEP_2) | instskip(NEXT) | instid1(VALU_DEP_3)
	v_lshlrev_b32_e32 v20, 20, v20
	v_lshl_add_u32 v1, v1, 23, 0x3c000000
	s_delay_alu instid0(VALU_DEP_3) | instskip(NEXT) | instid1(VALU_DEP_1)
	v_and_b32_e32 v0, 0x80000000, v0
	v_or3_b32 v31, v20, v0, v1
.LBB346_1138:                           ;   in Loop: Header=BB346_645 Depth=1
	s_or_b32 exec_lo, exec_lo, s23
.LBB346_1139:                           ;   in Loop: Header=BB346_645 Depth=1
	s_delay_alu instid0(SALU_CYCLE_1)
	s_or_b32 exec_lo, exec_lo, s22
.LBB346_1140:                           ;   in Loop: Header=BB346_645 Depth=1
	s_delay_alu instid0(SALU_CYCLE_1)
	s_or_b32 exec_lo, exec_lo, s21
	v_fma_mixlo_bf16 v103, s20, v30, 0
	v_fma_mixlo_bf16 v104, s20, v104, 0
	;; [unrolled: 1-line block ×8, first 2 shown]
	s_and_saveexec_b32 s21, vcc_lo
	s_cbranch_execz .LBB346_1142
; %bb.1141:                             ;   in Loop: Header=BB346_645 Depth=1
	v_cmp_gt_i32_e64 s0, s34, v45
	s_delay_alu instid0(VALU_DEP_1) | instskip(SKIP_1) | instid1(VALU_DEP_1)
	v_cndmask_b32_e64 v108, 0, v108, s0
	v_cmp_gt_i32_e64 s0, s34, v52
	v_cndmask_b32_e64 v107, 0, v107, s0
	v_cmp_gt_i32_e64 s0, s34, v51
	s_delay_alu instid0(VALU_DEP_1) | instskip(SKIP_1) | instid1(VALU_DEP_1)
	v_cndmask_b32_e64 v106, 0, v106, s0
	v_cmp_gt_i32_e64 s0, s34, v50
	v_cndmask_b32_e64 v105, 0, v105, s0
	;; [unrolled: 5-line block ×4, first 2 shown]
.LBB346_1142:                           ;   in Loop: Header=BB346_645 Depth=1
	s_or_b32 exec_lo, exec_lo, s21
	global_load_b64 v[0:1], v[28:29], off offset:2048
	v_dual_mov_b32 v113, 0 :: v_dual_mov_b32 v114, 0
	s_mov_b32 s21, exec_lo
	s_wait_loadcnt 0x0
	v_and_b32_e32 v20, 0xff, v0
	s_delay_alu instid0(VALU_DEP_1)
	v_cmpx_ne_u16_e32 0, v20
	s_cbranch_execz .LBB346_1148
; %bb.1143:                             ;   in Loop: Header=BB346_645 Depth=1
	v_bfrev_b32_e32 v114, 1
	s_mov_b32 s22, exec_lo
	v_cmpx_ne_u16_e32 0x80, v20
	s_cbranch_execz .LBB346_1147
; %bb.1144:                             ;   in Loop: Header=BB346_645 Depth=1
	v_and_b32_e32 v20, 0x7f, v0
	v_mov_b32_e32 v114, 0x7f800001
	s_mov_b32 s23, exec_lo
	s_delay_alu instid0(VALU_DEP_2)
	v_cmpx_ne_u32_e32 0x7f, v20
	s_cbranch_execz .LBB346_1146
; %bb.1145:                             ;   in Loop: Header=BB346_645 Depth=1
	v_and_b32_e32 v30, 7, v0
	v_cmp_gt_u32_e64 s0, 8, v20
	s_delay_alu instid0(VALU_DEP_2) | instskip(NEXT) | instid1(VALU_DEP_1)
	v_clz_i32_u32_e32 v30, v30
	v_min_u32_e32 v30, 32, v30
	v_lshrrev_b32_e32 v31, 3, v20
	s_delay_alu instid0(VALU_DEP_2) | instskip(SKIP_1) | instid1(VALU_DEP_1)
	v_subrev_nc_u32_e32 v109, 28, v30
	v_sub_nc_u32_e32 v30, 29, v30
	v_dual_cndmask_b32 v20, v31, v30, s0 :: v_dual_cndmask_b32 v30, 0, v109, s0
	s_delay_alu instid0(VALU_DEP_1) | instskip(NEXT) | instid1(VALU_DEP_2)
	v_lshl_add_u32 v20, v20, 23, 0x3c000000
	v_lshlrev_b64_e32 v[30:31], v30, v[0:1]
	v_lshlrev_b32_e32 v31, 24, v0
	s_delay_alu instid0(VALU_DEP_1) | instskip(NEXT) | instid1(VALU_DEP_3)
	v_and_b32_e32 v31, 0x80000000, v31
	v_lshlrev_b32_e32 v30, 20, v30
	s_delay_alu instid0(VALU_DEP_1) | instskip(NEXT) | instid1(VALU_DEP_1)
	v_and_b32_e32 v30, 0x700000, v30
	v_or3_b32 v114, v30, v31, v20
.LBB346_1146:                           ;   in Loop: Header=BB346_645 Depth=1
	s_or_b32 exec_lo, exec_lo, s23
.LBB346_1147:                           ;   in Loop: Header=BB346_645 Depth=1
	s_delay_alu instid0(SALU_CYCLE_1)
	s_or_b32 exec_lo, exec_lo, s22
.LBB346_1148:                           ;   in Loop: Header=BB346_645 Depth=1
	s_delay_alu instid0(SALU_CYCLE_1) | instskip(SKIP_2) | instid1(VALU_DEP_1)
	s_or_b32 exec_lo, exec_lo, s21
	v_lshrrev_b16 v20, 8, v0
	s_mov_b32 s21, exec_lo
	v_cmpx_ne_u16_e32 0, v20
	s_cbranch_execz .LBB346_1156
; %bb.1149:                             ;   in Loop: Header=BB346_645 Depth=1
	v_bfrev_b32_e32 v113, 1
	s_mov_b32 s22, exec_lo
	v_cmpx_ne_u16_e32 0x80, v20
	s_cbranch_execz .LBB346_1155
; %bb.1150:                             ;   in Loop: Header=BB346_645 Depth=1
	v_and_b32_e32 v20, 0xffff, v20
	v_mov_b32_e32 v113, 0x7f800001
	s_mov_b32 s23, exec_lo
	s_delay_alu instid0(VALU_DEP_2) | instskip(NEXT) | instid1(VALU_DEP_1)
	v_and_b32_e32 v31, 0x7f, v20
	v_cmpx_ne_u32_e32 0x7f, v31
	s_cbranch_execz .LBB346_1154
; %bb.1151:                             ;   in Loop: Header=BB346_645 Depth=1
	v_dual_lshrrev_b32 v30, 3, v31 :: v_dual_bitop2_b32 v20, 7, v20 bitop3:0x40
	s_mov_b32 s24, exec_lo
	v_cmpx_gt_u32_e32 8, v31
; %bb.1152:                             ;   in Loop: Header=BB346_645 Depth=1
	s_delay_alu instid0(VALU_DEP_2) | instskip(NEXT) | instid1(VALU_DEP_1)
	v_clz_i32_u32_e32 v30, v20
	v_min_u32_e32 v30, 32, v30
	s_delay_alu instid0(VALU_DEP_1) | instskip(SKIP_1) | instid1(VALU_DEP_2)
	v_subrev_nc_u32_e32 v31, 28, v30
	v_sub_nc_u32_e32 v30, 29, v30
	v_lshlrev_b64_e32 v[110:111], v31, v[20:21]
	s_delay_alu instid0(VALU_DEP_1)
	v_and_b32_e32 v20, 7, v110
; %bb.1153:                             ;   in Loop: Header=BB346_645 Depth=1
	s_or_b32 exec_lo, exec_lo, s24
	v_lshlrev_b32_e32 v31, 16, v0
	s_delay_alu instid0(VALU_DEP_2) | instskip(SKIP_1) | instid1(VALU_DEP_3)
	v_lshlrev_b32_e32 v20, 20, v20
	v_lshl_add_u32 v30, v30, 23, 0x3c000000
	v_and_b32_e32 v31, 0x80000000, v31
	s_delay_alu instid0(VALU_DEP_1)
	v_or3_b32 v113, v20, v31, v30
.LBB346_1154:                           ;   in Loop: Header=BB346_645 Depth=1
	s_or_b32 exec_lo, exec_lo, s23
.LBB346_1155:                           ;   in Loop: Header=BB346_645 Depth=1
	s_delay_alu instid0(SALU_CYCLE_1)
	s_or_b32 exec_lo, exec_lo, s22
.LBB346_1156:                           ;   in Loop: Header=BB346_645 Depth=1
	s_delay_alu instid0(SALU_CYCLE_1) | instskip(SKIP_3) | instid1(VALU_DEP_2)
	s_or_b32 exec_lo, exec_lo, s21
	v_dual_mov_b32 v111, 0 :: v_dual_lshrrev_b32 v30, 16, v0
	v_mov_b32_e32 v112, 0
	s_mov_b32 s21, exec_lo
	v_and_b32_e32 v20, 0xff, v30
	s_delay_alu instid0(VALU_DEP_1)
	v_cmpx_ne_u16_e32 0, v20
	s_cbranch_execz .LBB346_1164
; %bb.1157:                             ;   in Loop: Header=BB346_645 Depth=1
	v_bfrev_b32_e32 v112, 1
	s_mov_b32 s22, exec_lo
	v_cmpx_ne_u16_e32 0x80, v20
	s_cbranch_execz .LBB346_1163
; %bb.1158:                             ;   in Loop: Header=BB346_645 Depth=1
	v_bfe_u32 v109, v0, 16, 7
	v_mov_b32_e32 v112, 0x7f800001
	s_mov_b32 s23, exec_lo
	s_delay_alu instid0(VALU_DEP_2)
	v_cmpx_ne_u32_e32 0x7f, v109
	s_cbranch_execz .LBB346_1162
; %bb.1159:                             ;   in Loop: Header=BB346_645 Depth=1
	v_dual_lshrrev_b32 v31, 3, v109 :: v_dual_bitop2_b32 v20, 7, v30 bitop3:0x40
	s_mov_b32 s24, exec_lo
	v_cmpx_gt_u32_e32 8, v109
; %bb.1160:                             ;   in Loop: Header=BB346_645 Depth=1
	s_delay_alu instid0(VALU_DEP_2) | instskip(NEXT) | instid1(VALU_DEP_1)
	v_clz_i32_u32_e32 v31, v20
	v_min_u32_e32 v31, 32, v31
	s_delay_alu instid0(VALU_DEP_1) | instskip(NEXT) | instid1(VALU_DEP_1)
	v_subrev_nc_u32_e32 v109, 28, v31
	v_lshlrev_b64_e32 v[116:117], v109, v[20:21]
	s_delay_alu instid0(VALU_DEP_1)
	v_dual_sub_nc_u32 v31, 29, v31 :: v_dual_bitop2_b32 v20, 7, v116 bitop3:0x40
; %bb.1161:                             ;   in Loop: Header=BB346_645 Depth=1
	s_or_b32 exec_lo, exec_lo, s24
	s_delay_alu instid0(VALU_DEP_1) | instskip(NEXT) | instid1(VALU_DEP_2)
	v_dual_lshlrev_b32 v30, 24, v30 :: v_dual_lshlrev_b32 v20, 20, v20
	v_lshl_add_u32 v31, v31, 23, 0x3c000000
	s_delay_alu instid0(VALU_DEP_2) | instskip(NEXT) | instid1(VALU_DEP_1)
	v_and_b32_e32 v30, 0x80000000, v30
	v_or3_b32 v112, v20, v30, v31
.LBB346_1162:                           ;   in Loop: Header=BB346_645 Depth=1
	s_or_b32 exec_lo, exec_lo, s23
.LBB346_1163:                           ;   in Loop: Header=BB346_645 Depth=1
	s_delay_alu instid0(SALU_CYCLE_1)
	s_or_b32 exec_lo, exec_lo, s22
.LBB346_1164:                           ;   in Loop: Header=BB346_645 Depth=1
	s_delay_alu instid0(SALU_CYCLE_1) | instskip(NEXT) | instid1(SALU_CYCLE_1)
	s_or_b32 exec_lo, exec_lo, s21
	s_mov_b32 s21, exec_lo
	v_cmpx_lt_u32_e32 0xffffff, v0
	s_cbranch_execz .LBB346_1172
; %bb.1165:                             ;   in Loop: Header=BB346_645 Depth=1
	v_lshrrev_b32_e32 v30, 24, v0
	v_bfrev_b32_e32 v111, 1
	s_mov_b32 s22, exec_lo
	s_delay_alu instid0(VALU_DEP_2)
	v_cmpx_ne_u32_e32 0x80, v30
	s_cbranch_execz .LBB346_1171
; %bb.1166:                             ;   in Loop: Header=BB346_645 Depth=1
	v_bfe_u32 v109, v0, 24, 7
	v_mov_b32_e32 v111, 0x7f800001
	s_mov_b32 s23, exec_lo
	s_delay_alu instid0(VALU_DEP_2)
	v_cmpx_ne_u32_e32 0x7f, v109
	s_cbranch_execz .LBB346_1170
; %bb.1167:                             ;   in Loop: Header=BB346_645 Depth=1
	v_dual_lshrrev_b32 v31, 3, v109 :: v_dual_bitop2_b32 v20, 7, v30 bitop3:0x40
	s_mov_b32 s24, exec_lo
	v_cmpx_gt_u32_e32 8, v109
; %bb.1168:                             ;   in Loop: Header=BB346_645 Depth=1
	s_delay_alu instid0(VALU_DEP_2) | instskip(NEXT) | instid1(VALU_DEP_1)
	v_clz_i32_u32_e32 v31, v20
	v_min_u32_e32 v31, 32, v31
	s_delay_alu instid0(VALU_DEP_1) | instskip(NEXT) | instid1(VALU_DEP_1)
	v_subrev_nc_u32_e32 v109, 28, v31
	v_lshlrev_b64_e32 v[110:111], v109, v[20:21]
	s_delay_alu instid0(VALU_DEP_1)
	v_dual_sub_nc_u32 v31, 29, v31 :: v_dual_bitop2_b32 v20, 7, v110 bitop3:0x40
; %bb.1169:                             ;   in Loop: Header=BB346_645 Depth=1
	s_or_b32 exec_lo, exec_lo, s24
	s_delay_alu instid0(VALU_DEP_1) | instskip(NEXT) | instid1(VALU_DEP_2)
	v_dual_lshlrev_b32 v30, 24, v30 :: v_dual_lshlrev_b32 v20, 20, v20
	v_lshl_add_u32 v31, v31, 23, 0x3c000000
	s_delay_alu instid0(VALU_DEP_2) | instskip(NEXT) | instid1(VALU_DEP_1)
	v_and_b32_e32 v30, 0x80000000, v30
	v_or3_b32 v111, v20, v30, v31
.LBB346_1170:                           ;   in Loop: Header=BB346_645 Depth=1
	s_or_b32 exec_lo, exec_lo, s23
.LBB346_1171:                           ;   in Loop: Header=BB346_645 Depth=1
	s_delay_alu instid0(SALU_CYCLE_1)
	s_or_b32 exec_lo, exec_lo, s22
.LBB346_1172:                           ;   in Loop: Header=BB346_645 Depth=1
	s_delay_alu instid0(SALU_CYCLE_1) | instskip(SKIP_4) | instid1(VALU_DEP_3)
	s_or_b32 exec_lo, exec_lo, s21
	v_and_b32_e32 v31, 0xff, v1
	v_dual_mov_b32 v20, v1 :: v_dual_mov_b32 v30, 0
	v_mov_b32_e32 v110, 0
	s_mov_b32 s21, exec_lo
	v_cmpx_ne_u16_e32 0, v31
	s_cbranch_execz .LBB346_1178
; %bb.1173:                             ;   in Loop: Header=BB346_645 Depth=1
	v_bfrev_b32_e32 v110, 1
	s_mov_b32 s22, exec_lo
	v_cmpx_ne_u16_e32 0x80, v31
	s_cbranch_execz .LBB346_1177
; %bb.1174:                             ;   in Loop: Header=BB346_645 Depth=1
	v_and_b32_e32 v31, 0x7f, v1
	v_mov_b32_e32 v110, 0x7f800001
	s_mov_b32 s23, exec_lo
	s_delay_alu instid0(VALU_DEP_2)
	v_cmpx_ne_u32_e32 0x7f, v31
	s_cbranch_execz .LBB346_1176
; %bb.1175:                             ;   in Loop: Header=BB346_645 Depth=1
	v_dual_lshrrev_b32 v110, 3, v31 :: v_dual_bitop2_b32 v109, 7, v1 bitop3:0x40
	v_cmp_gt_u32_e64 s0, 8, v31
	s_delay_alu instid0(VALU_DEP_2) | instskip(NEXT) | instid1(VALU_DEP_1)
	v_clz_i32_u32_e32 v109, v109
	v_min_u32_e32 v109, 32, v109
	s_delay_alu instid0(VALU_DEP_1) | instskip(SKIP_1) | instid1(VALU_DEP_1)
	v_subrev_nc_u32_e32 v115, 28, v109
	v_sub_nc_u32_e32 v109, 29, v109
	v_dual_cndmask_b32 v31, v110, v109, s0 :: v_dual_cndmask_b32 v109, 0, v115, s0
	s_delay_alu instid0(VALU_DEP_1) | instskip(NEXT) | instid1(VALU_DEP_2)
	v_lshl_add_u32 v31, v31, 23, 0x3c000000
	v_lshlrev_b64_e32 v[116:117], v109, v[20:21]
	v_lshlrev_b32_e32 v109, 24, v20
	s_delay_alu instid0(VALU_DEP_1) | instskip(NEXT) | instid1(VALU_DEP_3)
	v_and_b32_e32 v109, 0x80000000, v109
	v_lshlrev_b32_e32 v110, 20, v116
	s_delay_alu instid0(VALU_DEP_1) | instskip(NEXT) | instid1(VALU_DEP_1)
	v_and_b32_e32 v110, 0x700000, v110
	v_or3_b32 v110, v110, v109, v31
.LBB346_1176:                           ;   in Loop: Header=BB346_645 Depth=1
	s_or_b32 exec_lo, exec_lo, s23
.LBB346_1177:                           ;   in Loop: Header=BB346_645 Depth=1
	s_delay_alu instid0(SALU_CYCLE_1)
	s_or_b32 exec_lo, exec_lo, s22
.LBB346_1178:                           ;   in Loop: Header=BB346_645 Depth=1
	s_delay_alu instid0(SALU_CYCLE_1) | instskip(SKIP_2) | instid1(VALU_DEP_1)
	s_or_b32 exec_lo, exec_lo, s21
	v_lshrrev_b16 v31, 8, v20
	s_mov_b32 s21, exec_lo
	v_cmpx_ne_u16_e32 0, v31
	s_cbranch_execz .LBB346_1186
; %bb.1179:                             ;   in Loop: Header=BB346_645 Depth=1
	v_bfrev_b32_e32 v30, 1
	s_mov_b32 s22, exec_lo
	v_cmpx_ne_u16_e32 0x80, v31
	s_cbranch_execz .LBB346_1185
; %bb.1180:                             ;   in Loop: Header=BB346_645 Depth=1
	v_and_b32_e32 v31, 0xffff, v31
	v_mov_b32_e32 v30, 0x7f800001
	s_mov_b32 s23, exec_lo
	s_delay_alu instid0(VALU_DEP_2) | instskip(NEXT) | instid1(VALU_DEP_1)
	v_and_b32_e32 v115, 0x7f, v31
	v_cmpx_ne_u32_e32 0x7f, v115
	s_cbranch_execz .LBB346_1184
; %bb.1181:                             ;   in Loop: Header=BB346_645 Depth=1
	v_dual_mov_b32 v31, v21 :: v_dual_bitop2_b32 v30, 7, v31 bitop3:0x40
	v_lshrrev_b32_e32 v109, 3, v115
	s_mov_b32 s24, exec_lo
	v_cmpx_gt_u32_e32 8, v115
; %bb.1182:                             ;   in Loop: Header=BB346_645 Depth=1
	s_delay_alu instid0(VALU_DEP_3) | instskip(NEXT) | instid1(VALU_DEP_1)
	v_clz_i32_u32_e32 v109, v30
	v_min_u32_e32 v109, 32, v109
	s_delay_alu instid0(VALU_DEP_1) | instskip(NEXT) | instid1(VALU_DEP_1)
	v_subrev_nc_u32_e32 v115, 28, v109
	v_lshlrev_b64_e32 v[30:31], v115, v[30:31]
	s_delay_alu instid0(VALU_DEP_1)
	v_dual_sub_nc_u32 v109, 29, v109 :: v_dual_bitop2_b32 v30, 7, v30 bitop3:0x40
; %bb.1183:                             ;   in Loop: Header=BB346_645 Depth=1
	s_or_b32 exec_lo, exec_lo, s24
	s_delay_alu instid0(VALU_DEP_1) | instskip(NEXT) | instid1(VALU_DEP_2)
	v_dual_lshlrev_b32 v20, 16, v20 :: v_dual_lshlrev_b32 v30, 20, v30
	v_lshl_add_u32 v31, v109, 23, 0x3c000000
	s_delay_alu instid0(VALU_DEP_2) | instskip(NEXT) | instid1(VALU_DEP_1)
	v_and_b32_e32 v20, 0x80000000, v20
	v_or3_b32 v30, v30, v20, v31
.LBB346_1184:                           ;   in Loop: Header=BB346_645 Depth=1
	s_or_b32 exec_lo, exec_lo, s23
.LBB346_1185:                           ;   in Loop: Header=BB346_645 Depth=1
	s_delay_alu instid0(SALU_CYCLE_1)
	s_or_b32 exec_lo, exec_lo, s22
.LBB346_1186:                           ;   in Loop: Header=BB346_645 Depth=1
	s_delay_alu instid0(SALU_CYCLE_1) | instskip(SKIP_3) | instid1(VALU_DEP_2)
	s_or_b32 exec_lo, exec_lo, s21
	v_dual_lshrrev_b32 v109, 16, v1 :: v_dual_mov_b32 v31, 0
	v_mov_b32_e32 v115, 0
	s_mov_b32 s21, exec_lo
	v_and_b32_e32 v20, 0xff, v109
	s_delay_alu instid0(VALU_DEP_1)
	v_cmpx_ne_u16_e32 0, v20
	s_cbranch_execz .LBB346_1194
; %bb.1187:                             ;   in Loop: Header=BB346_645 Depth=1
	v_bfrev_b32_e32 v115, 1
	s_mov_b32 s22, exec_lo
	v_cmpx_ne_u16_e32 0x80, v20
	s_cbranch_execz .LBB346_1193
; %bb.1188:                             ;   in Loop: Header=BB346_645 Depth=1
	v_bfe_u32 v116, v1, 16, 7
	v_mov_b32_e32 v115, 0x7f800001
	s_mov_b32 s23, exec_lo
	s_delay_alu instid0(VALU_DEP_2)
	v_cmpx_ne_u32_e32 0x7f, v116
	s_cbranch_execz .LBB346_1192
; %bb.1189:                             ;   in Loop: Header=BB346_645 Depth=1
	v_dual_lshrrev_b32 v115, 3, v116 :: v_dual_bitop2_b32 v20, 7, v109 bitop3:0x40
	s_mov_b32 s24, exec_lo
	v_cmpx_gt_u32_e32 8, v116
; %bb.1190:                             ;   in Loop: Header=BB346_645 Depth=1
	s_delay_alu instid0(VALU_DEP_2) | instskip(NEXT) | instid1(VALU_DEP_1)
	v_clz_i32_u32_e32 v115, v20
	v_min_u32_e32 v115, 32, v115
	s_delay_alu instid0(VALU_DEP_1) | instskip(NEXT) | instid1(VALU_DEP_1)
	v_subrev_nc_u32_e32 v116, 28, v115
	v_lshlrev_b64_e32 v[116:117], v116, v[20:21]
	s_delay_alu instid0(VALU_DEP_1)
	v_dual_sub_nc_u32 v115, 29, v115 :: v_dual_bitop2_b32 v20, 7, v116 bitop3:0x40
; %bb.1191:                             ;   in Loop: Header=BB346_645 Depth=1
	s_or_b32 exec_lo, exec_lo, s24
	s_delay_alu instid0(VALU_DEP_1) | instskip(NEXT) | instid1(VALU_DEP_2)
	v_dual_lshlrev_b32 v109, 24, v109 :: v_dual_lshlrev_b32 v20, 20, v20
	v_lshl_add_u32 v115, v115, 23, 0x3c000000
	s_delay_alu instid0(VALU_DEP_2) | instskip(NEXT) | instid1(VALU_DEP_1)
	v_and_b32_e32 v109, 0x80000000, v109
	v_or3_b32 v115, v20, v109, v115
.LBB346_1192:                           ;   in Loop: Header=BB346_645 Depth=1
	s_or_b32 exec_lo, exec_lo, s23
.LBB346_1193:                           ;   in Loop: Header=BB346_645 Depth=1
	s_delay_alu instid0(SALU_CYCLE_1)
	s_or_b32 exec_lo, exec_lo, s22
.LBB346_1194:                           ;   in Loop: Header=BB346_645 Depth=1
	s_delay_alu instid0(SALU_CYCLE_1) | instskip(NEXT) | instid1(SALU_CYCLE_1)
	s_or_b32 exec_lo, exec_lo, s21
	s_mov_b32 s21, exec_lo
	v_cmpx_lt_u64_e64 s[2:3], v[0:1]
	s_cbranch_execz .LBB346_1202
; %bb.1195:                             ;   in Loop: Header=BB346_645 Depth=1
	v_lshrrev_b32_e32 v0, 24, v1
	v_bfrev_b32_e32 v31, 1
	s_mov_b32 s22, exec_lo
	s_delay_alu instid0(VALU_DEP_2)
	v_cmpx_ne_u32_e32 0x80, v0
	s_cbranch_execz .LBB346_1201
; %bb.1196:                             ;   in Loop: Header=BB346_645 Depth=1
	v_bfe_u32 v109, v1, 24, 7
	v_mov_b32_e32 v31, 0x7f800001
	s_mov_b32 s23, exec_lo
	s_delay_alu instid0(VALU_DEP_2)
	v_cmpx_ne_u32_e32 0x7f, v109
	s_cbranch_execz .LBB346_1200
; %bb.1197:                             ;   in Loop: Header=BB346_645 Depth=1
	v_dual_lshrrev_b32 v1, 3, v109 :: v_dual_bitop2_b32 v20, 7, v0 bitop3:0x40
	s_mov_b32 s24, exec_lo
	v_cmpx_gt_u32_e32 8, v109
; %bb.1198:                             ;   in Loop: Header=BB346_645 Depth=1
	s_delay_alu instid0(VALU_DEP_2) | instskip(NEXT) | instid1(VALU_DEP_1)
	v_clz_i32_u32_e32 v1, v20
	v_min_u32_e32 v1, 32, v1
	s_delay_alu instid0(VALU_DEP_1) | instskip(NEXT) | instid1(VALU_DEP_1)
	v_subrev_nc_u32_e32 v31, 28, v1
	v_lshlrev_b64_e32 v[116:117], v31, v[20:21]
	s_delay_alu instid0(VALU_DEP_1)
	v_dual_sub_nc_u32 v1, 29, v1 :: v_dual_bitop2_b32 v20, 7, v116 bitop3:0x40
; %bb.1199:                             ;   in Loop: Header=BB346_645 Depth=1
	s_or_b32 exec_lo, exec_lo, s24
	v_lshlrev_b32_e32 v0, 24, v0
	s_delay_alu instid0(VALU_DEP_2) | instskip(NEXT) | instid1(VALU_DEP_3)
	v_lshlrev_b32_e32 v20, 20, v20
	v_lshl_add_u32 v1, v1, 23, 0x3c000000
	s_delay_alu instid0(VALU_DEP_3) | instskip(NEXT) | instid1(VALU_DEP_1)
	v_and_b32_e32 v0, 0x80000000, v0
	v_or3_b32 v31, v20, v0, v1
.LBB346_1200:                           ;   in Loop: Header=BB346_645 Depth=1
	s_or_b32 exec_lo, exec_lo, s23
.LBB346_1201:                           ;   in Loop: Header=BB346_645 Depth=1
	s_delay_alu instid0(SALU_CYCLE_1)
	s_or_b32 exec_lo, exec_lo, s22
.LBB346_1202:                           ;   in Loop: Header=BB346_645 Depth=1
	s_delay_alu instid0(SALU_CYCLE_1)
	s_or_b32 exec_lo, exec_lo, s21
	v_fma_mixlo_bf16 v109, s20, v30, 0
	v_fma_mixlo_bf16 v110, s20, v110, 0
	;; [unrolled: 1-line block ×8, first 2 shown]
	s_and_saveexec_b32 s21, vcc_lo
	s_cbranch_execz .LBB346_1204
; %bb.1203:                             ;   in Loop: Header=BB346_645 Depth=1
	v_cmp_gt_i32_e64 s0, s34, v45
	s_delay_alu instid0(VALU_DEP_1) | instskip(SKIP_1) | instid1(VALU_DEP_1)
	v_cndmask_b32_e64 v114, 0, v114, s0
	v_cmp_gt_i32_e64 s0, s34, v52
	v_cndmask_b32_e64 v113, 0, v113, s0
	v_cmp_gt_i32_e64 s0, s34, v51
	s_delay_alu instid0(VALU_DEP_1) | instskip(SKIP_1) | instid1(VALU_DEP_1)
	v_cndmask_b32_e64 v112, 0, v112, s0
	v_cmp_gt_i32_e64 s0, s34, v50
	v_cndmask_b32_e64 v111, 0, v111, s0
	;; [unrolled: 5-line block ×4, first 2 shown]
.LBB346_1204:                           ;   in Loop: Header=BB346_645 Depth=1
	s_or_b32 exec_lo, exec_lo, s21
	global_load_b64 v[0:1], v[28:29], off offset:2304
	v_dual_mov_b32 v116, 0 :: v_dual_mov_b32 v115, 0
	s_mov_b32 s21, exec_lo
	s_wait_loadcnt 0x0
	v_and_b32_e32 v20, 0xff, v0
	s_delay_alu instid0(VALU_DEP_1)
	v_cmpx_ne_u16_e32 0, v20
	s_cbranch_execz .LBB346_1210
; %bb.1205:                             ;   in Loop: Header=BB346_645 Depth=1
	v_bfrev_b32_e32 v115, 1
	s_mov_b32 s22, exec_lo
	v_cmpx_ne_u16_e32 0x80, v20
	s_cbranch_execz .LBB346_1209
; %bb.1206:                             ;   in Loop: Header=BB346_645 Depth=1
	v_and_b32_e32 v20, 0x7f, v0
	v_mov_b32_e32 v115, 0x7f800001
	s_mov_b32 s23, exec_lo
	s_delay_alu instid0(VALU_DEP_2)
	v_cmpx_ne_u32_e32 0x7f, v20
	s_cbranch_execz .LBB346_1208
; %bb.1207:                             ;   in Loop: Header=BB346_645 Depth=1
	v_and_b32_e32 v28, 7, v0
	v_cmp_gt_u32_e64 s0, 8, v20
	s_delay_alu instid0(VALU_DEP_2) | instskip(NEXT) | instid1(VALU_DEP_1)
	v_clz_i32_u32_e32 v28, v28
	v_min_u32_e32 v28, 32, v28
	s_delay_alu instid0(VALU_DEP_1) | instskip(SKIP_2) | instid1(VALU_DEP_1)
	v_subrev_nc_u32_e32 v115, 28, v28
	v_lshrrev_b32_e32 v29, 3, v20
	v_sub_nc_u32_e32 v28, 29, v28
	v_dual_cndmask_b32 v20, v29, v28, s0 :: v_dual_cndmask_b32 v28, 0, v115, s0
	s_delay_alu instid0(VALU_DEP_1) | instskip(SKIP_1) | instid1(VALU_DEP_1)
	v_lshlrev_b64_e32 v[28:29], v28, v[0:1]
	v_lshlrev_b32_e32 v29, 24, v0
	v_and_b32_e32 v29, 0x80000000, v29
	s_delay_alu instid0(VALU_DEP_3) | instskip(SKIP_1) | instid1(VALU_DEP_2)
	v_lshlrev_b32_e32 v28, 20, v28
	v_lshl_add_u32 v20, v20, 23, 0x3c000000
	v_and_b32_e32 v28, 0x700000, v28
	s_delay_alu instid0(VALU_DEP_1)
	v_or3_b32 v115, v28, v29, v20
.LBB346_1208:                           ;   in Loop: Header=BB346_645 Depth=1
	s_or_b32 exec_lo, exec_lo, s23
.LBB346_1209:                           ;   in Loop: Header=BB346_645 Depth=1
	s_delay_alu instid0(SALU_CYCLE_1)
	s_or_b32 exec_lo, exec_lo, s22
.LBB346_1210:                           ;   in Loop: Header=BB346_645 Depth=1
	s_delay_alu instid0(SALU_CYCLE_1) | instskip(SKIP_2) | instid1(VALU_DEP_1)
	s_or_b32 exec_lo, exec_lo, s21
	v_lshrrev_b16 v20, 8, v0
	s_mov_b32 s21, exec_lo
	v_cmpx_ne_u16_e32 0, v20
	s_cbranch_execz .LBB346_1218
; %bb.1211:                             ;   in Loop: Header=BB346_645 Depth=1
	v_bfrev_b32_e32 v116, 1
	s_mov_b32 s22, exec_lo
	v_cmpx_ne_u16_e32 0x80, v20
	s_cbranch_execz .LBB346_1217
; %bb.1212:                             ;   in Loop: Header=BB346_645 Depth=1
	v_and_b32_e32 v20, 0xffff, v20
	v_mov_b32_e32 v116, 0x7f800001
	s_mov_b32 s23, exec_lo
	s_delay_alu instid0(VALU_DEP_2) | instskip(NEXT) | instid1(VALU_DEP_1)
	v_and_b32_e32 v29, 0x7f, v20
	v_cmpx_ne_u32_e32 0x7f, v29
	s_cbranch_execz .LBB346_1216
; %bb.1213:                             ;   in Loop: Header=BB346_645 Depth=1
	v_dual_lshrrev_b32 v28, 3, v29 :: v_dual_bitop2_b32 v20, 7, v20 bitop3:0x40
	s_mov_b32 s24, exec_lo
	v_cmpx_gt_u32_e32 8, v29
; %bb.1214:                             ;   in Loop: Header=BB346_645 Depth=1
	s_delay_alu instid0(VALU_DEP_2) | instskip(NEXT) | instid1(VALU_DEP_1)
	v_clz_i32_u32_e32 v28, v20
	v_min_u32_e32 v28, 32, v28
	s_delay_alu instid0(VALU_DEP_1) | instskip(SKIP_1) | instid1(VALU_DEP_2)
	v_subrev_nc_u32_e32 v29, 28, v28
	v_sub_nc_u32_e32 v28, 29, v28
	v_lshlrev_b64_e32 v[116:117], v29, v[20:21]
	s_delay_alu instid0(VALU_DEP_1)
	v_and_b32_e32 v20, 7, v116
; %bb.1215:                             ;   in Loop: Header=BB346_645 Depth=1
	s_or_b32 exec_lo, exec_lo, s24
	v_lshlrev_b32_e32 v29, 16, v0
	s_delay_alu instid0(VALU_DEP_2) | instskip(SKIP_1) | instid1(VALU_DEP_3)
	v_lshlrev_b32_e32 v20, 20, v20
	v_lshl_add_u32 v28, v28, 23, 0x3c000000
	v_and_b32_e32 v29, 0x80000000, v29
	s_delay_alu instid0(VALU_DEP_1)
	v_or3_b32 v116, v20, v29, v28
.LBB346_1216:                           ;   in Loop: Header=BB346_645 Depth=1
	s_or_b32 exec_lo, exec_lo, s23
.LBB346_1217:                           ;   in Loop: Header=BB346_645 Depth=1
	s_delay_alu instid0(SALU_CYCLE_1)
	s_or_b32 exec_lo, exec_lo, s22
.LBB346_1218:                           ;   in Loop: Header=BB346_645 Depth=1
	s_delay_alu instid0(SALU_CYCLE_1) | instskip(SKIP_3) | instid1(VALU_DEP_2)
	s_or_b32 exec_lo, exec_lo, s21
	v_dual_lshrrev_b32 v28, 16, v0 :: v_dual_mov_b32 v118, 0
	v_mov_b32_e32 v117, 0
	s_mov_b32 s21, exec_lo
	v_and_b32_e32 v20, 0xff, v28
	s_delay_alu instid0(VALU_DEP_1)
	v_cmpx_ne_u16_e32 0, v20
	s_cbranch_execz .LBB346_1226
; %bb.1219:                             ;   in Loop: Header=BB346_645 Depth=1
	v_bfrev_b32_e32 v117, 1
	s_mov_b32 s22, exec_lo
	v_cmpx_ne_u16_e32 0x80, v20
	s_cbranch_execz .LBB346_1225
; %bb.1220:                             ;   in Loop: Header=BB346_645 Depth=1
	v_bfe_u32 v119, v0, 16, 7
	v_mov_b32_e32 v117, 0x7f800001
	s_mov_b32 s23, exec_lo
	s_delay_alu instid0(VALU_DEP_2)
	v_cmpx_ne_u32_e32 0x7f, v119
	s_cbranch_execz .LBB346_1224
; %bb.1221:                             ;   in Loop: Header=BB346_645 Depth=1
	v_dual_lshrrev_b32 v29, 3, v119 :: v_dual_bitop2_b32 v20, 7, v28 bitop3:0x40
	s_mov_b32 s24, exec_lo
	v_cmpx_gt_u32_e32 8, v119
; %bb.1222:                             ;   in Loop: Header=BB346_645 Depth=1
	s_delay_alu instid0(VALU_DEP_2) | instskip(NEXT) | instid1(VALU_DEP_1)
	v_clz_i32_u32_e32 v29, v20
	v_min_u32_e32 v29, 32, v29
	s_delay_alu instid0(VALU_DEP_1) | instskip(NEXT) | instid1(VALU_DEP_1)
	v_subrev_nc_u32_e32 v117, 28, v29
	v_lshlrev_b64_e32 v[120:121], v117, v[20:21]
	s_delay_alu instid0(VALU_DEP_1)
	v_dual_sub_nc_u32 v29, 29, v29 :: v_dual_bitop2_b32 v20, 7, v120 bitop3:0x40
; %bb.1223:                             ;   in Loop: Header=BB346_645 Depth=1
	s_or_b32 exec_lo, exec_lo, s24
	v_lshlrev_b32_e32 v28, 24, v28
	s_delay_alu instid0(VALU_DEP_2) | instskip(NEXT) | instid1(VALU_DEP_3)
	v_lshlrev_b32_e32 v20, 20, v20
	v_lshl_add_u32 v29, v29, 23, 0x3c000000
	s_delay_alu instid0(VALU_DEP_3) | instskip(NEXT) | instid1(VALU_DEP_1)
	v_and_b32_e32 v28, 0x80000000, v28
	v_or3_b32 v117, v20, v28, v29
.LBB346_1224:                           ;   in Loop: Header=BB346_645 Depth=1
	s_or_b32 exec_lo, exec_lo, s23
.LBB346_1225:                           ;   in Loop: Header=BB346_645 Depth=1
	s_delay_alu instid0(SALU_CYCLE_1)
	s_or_b32 exec_lo, exec_lo, s22
.LBB346_1226:                           ;   in Loop: Header=BB346_645 Depth=1
	s_delay_alu instid0(SALU_CYCLE_1) | instskip(NEXT) | instid1(SALU_CYCLE_1)
	s_or_b32 exec_lo, exec_lo, s21
	s_mov_b32 s21, exec_lo
	v_cmpx_lt_u32_e32 0xffffff, v0
	s_cbranch_execz .LBB346_1234
; %bb.1227:                             ;   in Loop: Header=BB346_645 Depth=1
	v_lshrrev_b32_e32 v28, 24, v0
	v_bfrev_b32_e32 v118, 1
	s_mov_b32 s22, exec_lo
	s_delay_alu instid0(VALU_DEP_2)
	v_cmpx_ne_u32_e32 0x80, v28
	s_cbranch_execz .LBB346_1233
; %bb.1228:                             ;   in Loop: Header=BB346_645 Depth=1
	v_bfe_u32 v119, v0, 24, 7
	v_mov_b32_e32 v118, 0x7f800001
	s_mov_b32 s23, exec_lo
	s_delay_alu instid0(VALU_DEP_2)
	v_cmpx_ne_u32_e32 0x7f, v119
	s_cbranch_execz .LBB346_1232
; %bb.1229:                             ;   in Loop: Header=BB346_645 Depth=1
	v_dual_lshrrev_b32 v29, 3, v119 :: v_dual_bitop2_b32 v20, 7, v28 bitop3:0x40
	s_mov_b32 s24, exec_lo
	v_cmpx_gt_u32_e32 8, v119
; %bb.1230:                             ;   in Loop: Header=BB346_645 Depth=1
	s_delay_alu instid0(VALU_DEP_2) | instskip(NEXT) | instid1(VALU_DEP_1)
	v_clz_i32_u32_e32 v29, v20
	v_min_u32_e32 v29, 32, v29
	s_delay_alu instid0(VALU_DEP_1) | instskip(NEXT) | instid1(VALU_DEP_1)
	v_subrev_nc_u32_e32 v118, 28, v29
	v_lshlrev_b64_e32 v[118:119], v118, v[20:21]
	s_delay_alu instid0(VALU_DEP_1)
	v_dual_sub_nc_u32 v29, 29, v29 :: v_dual_bitop2_b32 v20, 7, v118 bitop3:0x40
; %bb.1231:                             ;   in Loop: Header=BB346_645 Depth=1
	s_or_b32 exec_lo, exec_lo, s24
	v_lshlrev_b32_e32 v28, 24, v28
	s_delay_alu instid0(VALU_DEP_2) | instskip(NEXT) | instid1(VALU_DEP_3)
	v_lshlrev_b32_e32 v20, 20, v20
	v_lshl_add_u32 v29, v29, 23, 0x3c000000
	s_delay_alu instid0(VALU_DEP_3) | instskip(NEXT) | instid1(VALU_DEP_1)
	v_and_b32_e32 v28, 0x80000000, v28
	v_or3_b32 v118, v20, v28, v29
.LBB346_1232:                           ;   in Loop: Header=BB346_645 Depth=1
	s_or_b32 exec_lo, exec_lo, s23
.LBB346_1233:                           ;   in Loop: Header=BB346_645 Depth=1
	s_delay_alu instid0(SALU_CYCLE_1)
	s_or_b32 exec_lo, exec_lo, s22
.LBB346_1234:                           ;   in Loop: Header=BB346_645 Depth=1
	s_delay_alu instid0(SALU_CYCLE_1) | instskip(SKIP_4) | instid1(VALU_DEP_3)
	s_or_b32 exec_lo, exec_lo, s21
	v_and_b32_e32 v29, 0xff, v1
	v_dual_mov_b32 v20, v1 :: v_dual_mov_b32 v28, 0
	v_mov_b32_e32 v119, 0
	s_mov_b32 s21, exec_lo
	v_cmpx_ne_u16_e32 0, v29
	s_cbranch_execz .LBB346_1240
; %bb.1235:                             ;   in Loop: Header=BB346_645 Depth=1
	v_bfrev_b32_e32 v119, 1
	s_mov_b32 s22, exec_lo
	v_cmpx_ne_u16_e32 0x80, v29
	s_cbranch_execz .LBB346_1239
; %bb.1236:                             ;   in Loop: Header=BB346_645 Depth=1
	v_and_b32_e32 v29, 0x7f, v1
	v_mov_b32_e32 v119, 0x7f800001
	s_mov_b32 s23, exec_lo
	s_delay_alu instid0(VALU_DEP_2)
	v_cmpx_ne_u32_e32 0x7f, v29
	s_cbranch_execz .LBB346_1238
; %bb.1237:                             ;   in Loop: Header=BB346_645 Depth=1
	v_and_b32_e32 v119, 7, v1
	v_cmp_gt_u32_e64 s0, 8, v29
	s_delay_alu instid0(VALU_DEP_2) | instskip(NEXT) | instid1(VALU_DEP_1)
	v_clz_i32_u32_e32 v119, v119
	v_min_u32_e32 v119, 32, v119
	v_lshrrev_b32_e32 v120, 3, v29
	s_delay_alu instid0(VALU_DEP_2) | instskip(SKIP_1) | instid1(VALU_DEP_1)
	v_subrev_nc_u32_e32 v121, 28, v119
	v_sub_nc_u32_e32 v119, 29, v119
	v_dual_cndmask_b32 v29, v120, v119, s0 :: v_dual_cndmask_b32 v119, 0, v121, s0
	s_delay_alu instid0(VALU_DEP_1) | instskip(NEXT) | instid1(VALU_DEP_2)
	v_lshl_add_u32 v29, v29, 23, 0x3c000000
	v_lshlrev_b64_e32 v[120:121], v119, v[20:21]
	v_lshlrev_b32_e32 v119, 24, v20
	s_delay_alu instid0(VALU_DEP_1) | instskip(NEXT) | instid1(VALU_DEP_3)
	v_and_b32_e32 v119, 0x80000000, v119
	v_lshlrev_b32_e32 v120, 20, v120
	s_delay_alu instid0(VALU_DEP_1) | instskip(NEXT) | instid1(VALU_DEP_1)
	v_and_b32_e32 v120, 0x700000, v120
	v_or3_b32 v119, v120, v119, v29
.LBB346_1238:                           ;   in Loop: Header=BB346_645 Depth=1
	s_or_b32 exec_lo, exec_lo, s23
.LBB346_1239:                           ;   in Loop: Header=BB346_645 Depth=1
	s_delay_alu instid0(SALU_CYCLE_1)
	s_or_b32 exec_lo, exec_lo, s22
.LBB346_1240:                           ;   in Loop: Header=BB346_645 Depth=1
	s_delay_alu instid0(SALU_CYCLE_1) | instskip(SKIP_2) | instid1(VALU_DEP_1)
	s_or_b32 exec_lo, exec_lo, s21
	v_lshrrev_b16 v29, 8, v20
	s_mov_b32 s21, exec_lo
	v_cmpx_ne_u16_e32 0, v29
	s_cbranch_execz .LBB346_1248
; %bb.1241:                             ;   in Loop: Header=BB346_645 Depth=1
	v_bfrev_b32_e32 v28, 1
	s_mov_b32 s22, exec_lo
	v_cmpx_ne_u16_e32 0x80, v29
	s_cbranch_execz .LBB346_1247
; %bb.1242:                             ;   in Loop: Header=BB346_645 Depth=1
	v_and_b32_e32 v29, 0xffff, v29
	v_mov_b32_e32 v28, 0x7f800001
	s_mov_b32 s23, exec_lo
	s_delay_alu instid0(VALU_DEP_2) | instskip(NEXT) | instid1(VALU_DEP_1)
	v_and_b32_e32 v121, 0x7f, v29
	v_cmpx_ne_u32_e32 0x7f, v121
	s_cbranch_execz .LBB346_1246
; %bb.1243:                             ;   in Loop: Header=BB346_645 Depth=1
	v_dual_mov_b32 v29, v21 :: v_dual_bitop2_b32 v28, 7, v29 bitop3:0x40
	v_lshrrev_b32_e32 v120, 3, v121
	s_mov_b32 s24, exec_lo
	v_cmpx_gt_u32_e32 8, v121
; %bb.1244:                             ;   in Loop: Header=BB346_645 Depth=1
	s_delay_alu instid0(VALU_DEP_3) | instskip(NEXT) | instid1(VALU_DEP_1)
	v_clz_i32_u32_e32 v120, v28
	v_min_u32_e32 v120, 32, v120
	s_delay_alu instid0(VALU_DEP_1) | instskip(SKIP_1) | instid1(VALU_DEP_2)
	v_subrev_nc_u32_e32 v121, 28, v120
	v_sub_nc_u32_e32 v120, 29, v120
	v_lshlrev_b64_e32 v[28:29], v121, v[28:29]
	s_delay_alu instid0(VALU_DEP_1)
	v_and_b32_e32 v28, 7, v28
; %bb.1245:                             ;   in Loop: Header=BB346_645 Depth=1
	s_or_b32 exec_lo, exec_lo, s24
	v_lshlrev_b32_e32 v20, 16, v20
	s_delay_alu instid0(VALU_DEP_2) | instskip(SKIP_1) | instid1(VALU_DEP_3)
	v_lshlrev_b32_e32 v28, 20, v28
	v_lshl_add_u32 v29, v120, 23, 0x3c000000
	v_and_b32_e32 v20, 0x80000000, v20
	s_delay_alu instid0(VALU_DEP_1)
	v_or3_b32 v28, v28, v20, v29
.LBB346_1246:                           ;   in Loop: Header=BB346_645 Depth=1
	s_or_b32 exec_lo, exec_lo, s23
.LBB346_1247:                           ;   in Loop: Header=BB346_645 Depth=1
	s_delay_alu instid0(SALU_CYCLE_1)
	s_or_b32 exec_lo, exec_lo, s22
.LBB346_1248:                           ;   in Loop: Header=BB346_645 Depth=1
	s_delay_alu instid0(SALU_CYCLE_1) | instskip(SKIP_3) | instid1(VALU_DEP_2)
	s_or_b32 exec_lo, exec_lo, s21
	v_dual_lshrrev_b32 v121, 16, v1 :: v_dual_mov_b32 v29, 0
	v_mov_b32_e32 v120, 0
	s_mov_b32 s21, exec_lo
	v_and_b32_e32 v20, 0xff, v121
	s_delay_alu instid0(VALU_DEP_1)
	v_cmpx_ne_u16_e32 0, v20
	s_cbranch_execz .LBB346_1256
; %bb.1249:                             ;   in Loop: Header=BB346_645 Depth=1
	v_bfrev_b32_e32 v120, 1
	s_mov_b32 s22, exec_lo
	v_cmpx_ne_u16_e32 0x80, v20
	s_cbranch_execz .LBB346_1255
; %bb.1250:                             ;   in Loop: Header=BB346_645 Depth=1
	v_bfe_u32 v122, v1, 16, 7
	v_mov_b32_e32 v120, 0x7f800001
	s_mov_b32 s23, exec_lo
	s_delay_alu instid0(VALU_DEP_2)
	v_cmpx_ne_u32_e32 0x7f, v122
	s_cbranch_execz .LBB346_1254
; %bb.1251:                             ;   in Loop: Header=BB346_645 Depth=1
	v_dual_lshrrev_b32 v120, 3, v122 :: v_dual_bitop2_b32 v20, 7, v121 bitop3:0x40
	s_mov_b32 s24, exec_lo
	v_cmpx_gt_u32_e32 8, v122
; %bb.1252:                             ;   in Loop: Header=BB346_645 Depth=1
	s_delay_alu instid0(VALU_DEP_2) | instskip(NEXT) | instid1(VALU_DEP_1)
	v_clz_i32_u32_e32 v120, v20
	v_min_u32_e32 v120, 32, v120
	s_delay_alu instid0(VALU_DEP_1) | instskip(NEXT) | instid1(VALU_DEP_1)
	v_subrev_nc_u32_e32 v122, 28, v120
	v_lshlrev_b64_e32 v[122:123], v122, v[20:21]
	s_delay_alu instid0(VALU_DEP_1)
	v_dual_sub_nc_u32 v120, 29, v120 :: v_dual_bitop2_b32 v20, 7, v122 bitop3:0x40
; %bb.1253:                             ;   in Loop: Header=BB346_645 Depth=1
	s_or_b32 exec_lo, exec_lo, s24
	s_delay_alu instid0(VALU_DEP_1) | instskip(NEXT) | instid1(VALU_DEP_2)
	v_dual_lshlrev_b32 v121, 24, v121 :: v_dual_lshlrev_b32 v20, 20, v20
	v_lshl_add_u32 v120, v120, 23, 0x3c000000
	s_delay_alu instid0(VALU_DEP_2) | instskip(NEXT) | instid1(VALU_DEP_1)
	v_and_b32_e32 v121, 0x80000000, v121
	v_or3_b32 v120, v20, v121, v120
.LBB346_1254:                           ;   in Loop: Header=BB346_645 Depth=1
	s_or_b32 exec_lo, exec_lo, s23
.LBB346_1255:                           ;   in Loop: Header=BB346_645 Depth=1
	s_delay_alu instid0(SALU_CYCLE_1)
	s_or_b32 exec_lo, exec_lo, s22
.LBB346_1256:                           ;   in Loop: Header=BB346_645 Depth=1
	s_delay_alu instid0(SALU_CYCLE_1) | instskip(NEXT) | instid1(SALU_CYCLE_1)
	s_or_b32 exec_lo, exec_lo, s21
	s_mov_b32 s21, exec_lo
	v_cmpx_lt_u64_e64 s[2:3], v[0:1]
	s_cbranch_execz .LBB346_1264
; %bb.1257:                             ;   in Loop: Header=BB346_645 Depth=1
	v_lshrrev_b32_e32 v0, 24, v1
	v_bfrev_b32_e32 v29, 1
	s_mov_b32 s22, exec_lo
	s_delay_alu instid0(VALU_DEP_2)
	v_cmpx_ne_u32_e32 0x80, v0
	s_cbranch_execz .LBB346_1263
; %bb.1258:                             ;   in Loop: Header=BB346_645 Depth=1
	v_bfe_u32 v121, v1, 24, 7
	v_mov_b32_e32 v29, 0x7f800001
	s_mov_b32 s23, exec_lo
	s_delay_alu instid0(VALU_DEP_2)
	v_cmpx_ne_u32_e32 0x7f, v121
	s_cbranch_execz .LBB346_1262
; %bb.1259:                             ;   in Loop: Header=BB346_645 Depth=1
	v_dual_lshrrev_b32 v1, 3, v121 :: v_dual_bitop2_b32 v20, 7, v0 bitop3:0x40
	s_mov_b32 s24, exec_lo
	v_cmpx_gt_u32_e32 8, v121
; %bb.1260:                             ;   in Loop: Header=BB346_645 Depth=1
	s_delay_alu instid0(VALU_DEP_2) | instskip(NEXT) | instid1(VALU_DEP_1)
	v_clz_i32_u32_e32 v1, v20
	v_min_u32_e32 v1, 32, v1
	s_delay_alu instid0(VALU_DEP_1) | instskip(NEXT) | instid1(VALU_DEP_1)
	v_subrev_nc_u32_e32 v29, 28, v1
	v_lshlrev_b64_e32 v[122:123], v29, v[20:21]
	s_delay_alu instid0(VALU_DEP_1)
	v_dual_sub_nc_u32 v1, 29, v1 :: v_dual_bitop2_b32 v20, 7, v122 bitop3:0x40
; %bb.1261:                             ;   in Loop: Header=BB346_645 Depth=1
	s_or_b32 exec_lo, exec_lo, s24
	v_lshlrev_b32_e32 v0, 24, v0
	s_delay_alu instid0(VALU_DEP_2) | instskip(NEXT) | instid1(VALU_DEP_3)
	v_lshlrev_b32_e32 v20, 20, v20
	v_lshl_add_u32 v1, v1, 23, 0x3c000000
	s_delay_alu instid0(VALU_DEP_3) | instskip(NEXT) | instid1(VALU_DEP_1)
	v_and_b32_e32 v0, 0x80000000, v0
	v_or3_b32 v29, v20, v0, v1
.LBB346_1262:                           ;   in Loop: Header=BB346_645 Depth=1
	s_or_b32 exec_lo, exec_lo, s23
.LBB346_1263:                           ;   in Loop: Header=BB346_645 Depth=1
	s_delay_alu instid0(SALU_CYCLE_1)
	s_or_b32 exec_lo, exec_lo, s22
.LBB346_1264:                           ;   in Loop: Header=BB346_645 Depth=1
	s_delay_alu instid0(SALU_CYCLE_1)
	s_or_b32 exec_lo, exec_lo, s21
	v_fma_mixlo_bf16 v0, s20, v28, 0
	v_fma_mixlo_bf16 v1, s20, v119, 0
	;; [unrolled: 1-line block ×8, first 2 shown]
	s_and_saveexec_b32 s0, vcc_lo
	s_cbranch_execz .LBB346_643
; %bb.1265:                             ;   in Loop: Header=BB346_645 Depth=1
	v_cmp_gt_i32_e32 vcc_lo, s34, v45
	v_cndmask_b32_e32 v115, 0, v115, vcc_lo
	v_cmp_gt_i32_e32 vcc_lo, s34, v52
	v_cndmask_b32_e32 v116, 0, v116, vcc_lo
	;; [unrolled: 2-line block ×8, first 2 shown]
	s_branch .LBB346_643
.LBB346_1266:
	s_or_b32 exec_lo, exec_lo, s14
	v_mov_b32_e32 v24, v124
.LBB346_1267:
	s_or_b32 exec_lo, exec_lo, s1
	ds_bpermute_b32 v2, v33, v16
	ds_bpermute_b32 v3, v33, v17
	;; [unrolled: 1-line block ×10, first 2 shown]
	s_mov_b32 s0, exec_lo
	s_wait_dscnt 0x8
	v_pk_add_f32 v[2:3], v[16:17], v[2:3]
	s_wait_dscnt 0x6
	v_pk_add_f32 v[16:17], v[12:13], v[6:7]
	scratch_load_b32 v6, off, off           ; 4-byte Folded Reload
	s_wait_dscnt 0x4
	v_pk_add_f32 v[0:1], v[18:19], v[0:1]
	ds_bpermute_b32 v18, v32, v2
	s_wait_dscnt 0x3
	v_pk_add_f32 v[14:15], v[14:15], v[4:5]
	ds_bpermute_b32 v19, v32, v3
	;; [unrolled: 3-line block ×3, first 2 shown]
	ds_bpermute_b32 v5, v32, v1
	ds_bpermute_b32 v20, v32, v14
	;; [unrolled: 1-line block ×7, first 2 shown]
	v_and_b32_e32 v13, 0x3c3, v24
	s_wait_loadcnt_dscnt 0x0
	s_barrier_signal -1
	s_barrier_wait -1
	v_and_b32_e32 v12, 28, v6
	v_pk_add_f32 v[6:7], v[0:1], v[4:5]
	v_pk_add_f32 v[4:5], v[2:3], v[18:19]
	;; [unrolled: 1-line block ×4, first 2 shown]
	v_cmpx_ne_u32_e32 64, v13
	s_xor_b32 s0, exec_lo, s0
	s_delay_alu instid0(SALU_CYCLE_1)
	s_or_saveexec_b32 s0, s0
	v_pk_add_f32 v[8:9], v[8:9], v[10:11]
	scratch_load_b32 v10, off, off th:TH_LOAD_LU ; 4-byte Folded Reload
	v_add_nc_u32_e32 v11, 0xc0, v12
	scratch_load_b32 v12, off, off offset:208 th:TH_LOAD_LU ; 4-byte Folded Reload
	s_wait_loadcnt 0x1
	v_lshrrev_b32_e32 v10, 2, v10
	s_wait_loadcnt 0x0
	v_mul_u32_u24_e32 v12, 0x140, v12
	s_xor_b32 exec_lo, exec_lo, s0
	s_cbranch_execz .LBB346_1269
; %bb.1268:
	s_delay_alu instid0(VALU_DEP_1) | instskip(NEXT) | instid1(VALU_DEP_1)
	v_add_nc_u32_e32 v13, v11, v12
	v_add_nc_u32_e32 v14, 0xfffffd80, v13
	v_add_nc_u32_e32 v15, 0xfffffda0, v13
	v_add_nc_u32_e32 v16, 0xfffffdc0, v13
	v_add_nc_u32_e32 v17, 0xfffffde0, v13
	v_add_nc_u32_e32 v18, 0xfffffe00, v13
	v_add_nc_u32_e32 v19, 0xfffffe20, v13
	v_add_nc_u32_e32 v20, 0xfffffe40, v13
	v_add_nc_u32_e32 v21, 0xfffffe60, v13
	v_add_nc_u32_e32 v22, 0xfffffe80, v13
	v_add_nc_u32_e32 v13, 0xfffffea0, v13
	ds_store_b32 v14, v6
	ds_store_b32 v15, v7
	;; [unrolled: 1-line block ×10, first 2 shown]
.LBB346_1269:
	s_or_b32 exec_lo, exec_lo, s0
	v_lshlrev_b32_e32 v10, 2, v10
	s_mov_b32 s1, exec_lo
	v_cmp_eq_u32_e32 vcc_lo, 0, v34
	s_wait_dscnt 0x0
	s_barrier_signal -1
	v_add3_u32 v10, 0xc0, v12, v10
	s_barrier_wait -1
	v_cmpx_gt_u32_e32 64, v24
	s_cbranch_execz .LBB346_1282
; %bb.1270:
	s_and_saveexec_b32 s0, vcc_lo
	s_cbranch_execnz .LBB346_1300
; %bb.1271:
	s_or_b32 exec_lo, exec_lo, s0
	s_and_saveexec_b32 s0, vcc_lo
	s_cbranch_execnz .LBB346_1301
.LBB346_1272:
	s_or_b32 exec_lo, exec_lo, s0
	s_and_saveexec_b32 s0, vcc_lo
	s_cbranch_execnz .LBB346_1302
.LBB346_1273:
	s_or_b32 exec_lo, exec_lo, s0
	s_and_saveexec_b32 s0, vcc_lo
	s_cbranch_execnz .LBB346_1303
.LBB346_1274:
	s_or_b32 exec_lo, exec_lo, s0
	s_and_saveexec_b32 s0, vcc_lo
	s_cbranch_execnz .LBB346_1304
.LBB346_1275:
	s_or_b32 exec_lo, exec_lo, s0
	s_and_saveexec_b32 s0, vcc_lo
	s_cbranch_execnz .LBB346_1305
.LBB346_1276:
	s_or_b32 exec_lo, exec_lo, s0
	s_and_saveexec_b32 s0, vcc_lo
	s_cbranch_execnz .LBB346_1306
.LBB346_1277:
	s_or_b32 exec_lo, exec_lo, s0
	s_and_saveexec_b32 s0, vcc_lo
	s_cbranch_execnz .LBB346_1307
.LBB346_1278:
	s_or_b32 exec_lo, exec_lo, s0
	s_and_saveexec_b32 s0, vcc_lo
	s_cbranch_execnz .LBB346_1308
.LBB346_1279:
	s_or_b32 exec_lo, exec_lo, s0
	s_and_saveexec_b32 s0, vcc_lo
	s_cbranch_execz .LBB346_1281
.LBB346_1280:
	ds_load_b32 v12, v10 offset:288
	s_wait_dscnt 0x0
	v_add_f32_e32 v9, v9, v12
.LBB346_1281:
	s_or_b32 exec_lo, exec_lo, s0
.LBB346_1282:
	s_delay_alu instid0(SALU_CYCLE_1) | instskip(SKIP_4) | instid1(VALU_DEP_1)
	s_or_b32 exec_lo, exec_lo, s1
	v_and_b32_e32 v12, 0x3e3, v24
	s_mov_b32 s1, exec_lo
	s_barrier_signal -1
	s_barrier_wait -1
	v_cmpx_eq_u32_e32 32, v12
	s_cbranch_execz .LBB346_1284
; %bb.1283:
	ds_store_2addr_b32 v11, v6, v7 offset1:8
	ds_store_2addr_b32 v11, v4, v5 offset0:16 offset1:24
	ds_store_2addr_b32 v11, v2, v3 offset0:32 offset1:40
	;; [unrolled: 1-line block ×4, first 2 shown]
.LBB346_1284:
	s_or_b32 exec_lo, exec_lo, s1
	s_delay_alu instid0(SALU_CYCLE_1)
	s_mov_b32 s1, exec_lo
	s_wait_dscnt 0x0
	s_barrier_signal -1
	s_barrier_wait -1
	v_cmpx_gt_u32_e32 32, v24
	s_cbranch_execz .LBB346_1297
; %bb.1285:
	s_and_saveexec_b32 s0, vcc_lo
	s_cbranch_execnz .LBB346_1309
; %bb.1286:
	s_or_b32 exec_lo, exec_lo, s0
	s_and_saveexec_b32 s0, vcc_lo
	s_cbranch_execnz .LBB346_1310
.LBB346_1287:
	s_or_b32 exec_lo, exec_lo, s0
	s_and_saveexec_b32 s0, vcc_lo
	s_cbranch_execnz .LBB346_1311
.LBB346_1288:
	s_or_b32 exec_lo, exec_lo, s0
	s_and_saveexec_b32 s0, vcc_lo
	s_cbranch_execnz .LBB346_1312
.LBB346_1289:
	s_or_b32 exec_lo, exec_lo, s0
	s_and_saveexec_b32 s0, vcc_lo
	s_cbranch_execnz .LBB346_1313
.LBB346_1290:
	s_or_b32 exec_lo, exec_lo, s0
	s_and_saveexec_b32 s0, vcc_lo
	s_cbranch_execnz .LBB346_1314
.LBB346_1291:
	s_or_b32 exec_lo, exec_lo, s0
	s_and_saveexec_b32 s0, vcc_lo
	s_cbranch_execnz .LBB346_1315
.LBB346_1292:
	s_or_b32 exec_lo, exec_lo, s0
	s_and_saveexec_b32 s0, vcc_lo
	s_cbranch_execnz .LBB346_1316
.LBB346_1293:
	s_or_b32 exec_lo, exec_lo, s0
	s_and_saveexec_b32 s0, vcc_lo
	s_cbranch_execnz .LBB346_1317
.LBB346_1294:
	s_or_b32 exec_lo, exec_lo, s0
	s_and_saveexec_b32 s0, vcc_lo
	s_cbranch_execz .LBB346_1296
.LBB346_1295:
	ds_load_b32 v10, v10 offset:288
	s_wait_dscnt 0x0
	v_add_f32_e32 v9, v9, v10
.LBB346_1296:
	s_or_b32 exec_lo, exec_lo, s0
.LBB346_1297:
	s_delay_alu instid0(SALU_CYCLE_1)
	s_or_b32 exec_lo, exec_lo, s1
	s_mov_b32 s1, 0
	s_barrier_signal -1
	s_barrier_wait -1
	s_mov_b32 s0, exec_lo
	v_cmpx_eq_u32_e32 0, v12
	s_cbranch_execz .LBB346_1299
; %bb.1298:
	s_mul_i32 s0, s33, s7
	s_mul_i32 s2, s7, s16
	;; [unrolled: 1-line block ×3, first 2 shown]
	s_lshr_b32 s6, ttmp7, 16
	s_mul_i32 s4, s0, 0x50
	s_bfe_u32 s0, ttmp6, 0x40014
	s_ashr_i32 s5, s4, 31
	s_add_co_i32 s0, s0, 1
	s_ashr_i32 s3, s2, 31
	s_mul_i32 s0, s6, s0
	s_bfe_u32 s7, ttmp6, 0x40008
	s_lshl_b64 s[4:5], s[4:5], 1
	s_lshl_b64 s[2:3], s[2:3], 1
	s_add_co_i32 s7, s7, s0
	s_cmp_eq_u32 s30, 0
	s_wait_kmcnt 0x0
	s_add_nc_u64 s[4:5], s[8:9], s[4:5]
	s_cselect_b32 s0, s6, s7
	s_add_nc_u64 s[2:3], s[4:5], s[2:3]
	s_mulk_i32 s0, 0xa0
	v_lshrrev_b32_e32 v10, 1, v24
	s_add_nc_u64 s[0:1], s[2:3], s[0:1]
	s_delay_alu instid0(SALU_CYCLE_1)
	v_cvt_pk_bf16_f32 v6, v6, s0
	v_cvt_pk_bf16_f32 v7, v7, s0
	;; [unrolled: 1-line block ×10, first 2 shown]
	s_clause 0x9
	global_store_b16 v10, v6, s[0:1]
	global_store_b16 v10, v7, s[0:1] offset:16
	global_store_b16 v10, v4, s[0:1] offset:32
	;; [unrolled: 1-line block ×9, first 2 shown]
.LBB346_1299:
	s_sendmsg sendmsg(MSG_DEALLOC_VGPRS)
	s_endpgm
.LBB346_1300:
	ds_load_b32 v12, v10
	s_wait_dscnt 0x0
	v_add_f32_e32 v6, v6, v12
	s_or_b32 exec_lo, exec_lo, s0
	s_and_saveexec_b32 s0, vcc_lo
	s_cbranch_execz .LBB346_1272
.LBB346_1301:
	ds_load_b32 v12, v10 offset:32
	s_wait_dscnt 0x0
	v_add_f32_e32 v7, v7, v12
	s_or_b32 exec_lo, exec_lo, s0
	s_and_saveexec_b32 s0, vcc_lo
	s_cbranch_execz .LBB346_1273
.LBB346_1302:
	ds_load_b32 v12, v10 offset:64
	s_wait_dscnt 0x0
	v_add_f32_e32 v4, v4, v12
	s_or_b32 exec_lo, exec_lo, s0
	s_and_saveexec_b32 s0, vcc_lo
	s_cbranch_execz .LBB346_1274
.LBB346_1303:
	ds_load_b32 v12, v10 offset:96
	s_wait_dscnt 0x0
	v_add_f32_e32 v5, v5, v12
	s_or_b32 exec_lo, exec_lo, s0
	s_and_saveexec_b32 s0, vcc_lo
	s_cbranch_execz .LBB346_1275
.LBB346_1304:
	ds_load_b32 v12, v10 offset:128
	s_wait_dscnt 0x0
	v_add_f32_e32 v2, v2, v12
	s_or_b32 exec_lo, exec_lo, s0
	s_and_saveexec_b32 s0, vcc_lo
	s_cbranch_execz .LBB346_1276
.LBB346_1305:
	ds_load_b32 v12, v10 offset:160
	s_wait_dscnt 0x0
	v_add_f32_e32 v3, v3, v12
	s_or_b32 exec_lo, exec_lo, s0
	s_and_saveexec_b32 s0, vcc_lo
	s_cbranch_execz .LBB346_1277
.LBB346_1306:
	ds_load_b32 v12, v10 offset:192
	s_wait_dscnt 0x0
	v_add_f32_e32 v0, v0, v12
	s_or_b32 exec_lo, exec_lo, s0
	s_and_saveexec_b32 s0, vcc_lo
	s_cbranch_execz .LBB346_1278
.LBB346_1307:
	ds_load_b32 v12, v10 offset:224
	s_wait_dscnt 0x0
	v_add_f32_e32 v1, v1, v12
	s_or_b32 exec_lo, exec_lo, s0
	s_and_saveexec_b32 s0, vcc_lo
	s_cbranch_execz .LBB346_1279
.LBB346_1308:
	ds_load_b32 v12, v10 offset:256
	s_wait_dscnt 0x0
	v_add_f32_e32 v8, v8, v12
	s_or_b32 exec_lo, exec_lo, s0
	s_and_saveexec_b32 s0, vcc_lo
	s_cbranch_execnz .LBB346_1280
	s_branch .LBB346_1281
.LBB346_1309:
	ds_load_b32 v11, v10
	s_wait_dscnt 0x0
	v_add_f32_e32 v6, v6, v11
	s_or_b32 exec_lo, exec_lo, s0
	s_and_saveexec_b32 s0, vcc_lo
	s_cbranch_execz .LBB346_1287
.LBB346_1310:
	ds_load_b32 v11, v10 offset:32
	s_wait_dscnt 0x0
	v_add_f32_e32 v7, v7, v11
	s_or_b32 exec_lo, exec_lo, s0
	s_and_saveexec_b32 s0, vcc_lo
	s_cbranch_execz .LBB346_1288
.LBB346_1311:
	ds_load_b32 v11, v10 offset:64
	s_wait_dscnt 0x0
	v_add_f32_e32 v4, v4, v11
	s_or_b32 exec_lo, exec_lo, s0
	s_and_saveexec_b32 s0, vcc_lo
	s_cbranch_execz .LBB346_1289
.LBB346_1312:
	ds_load_b32 v11, v10 offset:96
	s_wait_dscnt 0x0
	v_add_f32_e32 v5, v5, v11
	s_or_b32 exec_lo, exec_lo, s0
	s_and_saveexec_b32 s0, vcc_lo
	s_cbranch_execz .LBB346_1290
.LBB346_1313:
	ds_load_b32 v11, v10 offset:128
	s_wait_dscnt 0x0
	v_add_f32_e32 v2, v2, v11
	s_or_b32 exec_lo, exec_lo, s0
	s_and_saveexec_b32 s0, vcc_lo
	s_cbranch_execz .LBB346_1291
.LBB346_1314:
	ds_load_b32 v11, v10 offset:160
	s_wait_dscnt 0x0
	v_add_f32_e32 v3, v3, v11
	s_or_b32 exec_lo, exec_lo, s0
	s_and_saveexec_b32 s0, vcc_lo
	s_cbranch_execz .LBB346_1292
.LBB346_1315:
	ds_load_b32 v11, v10 offset:192
	s_wait_dscnt 0x0
	v_add_f32_e32 v0, v0, v11
	s_or_b32 exec_lo, exec_lo, s0
	s_and_saveexec_b32 s0, vcc_lo
	s_cbranch_execz .LBB346_1293
.LBB346_1316:
	ds_load_b32 v11, v10 offset:224
	s_wait_dscnt 0x0
	v_add_f32_e32 v1, v1, v11
	s_or_b32 exec_lo, exec_lo, s0
	s_and_saveexec_b32 s0, vcc_lo
	s_cbranch_execz .LBB346_1294
.LBB346_1317:
	ds_load_b32 v11, v10 offset:256
	s_wait_dscnt 0x0
	v_add_f32_e32 v8, v8, v11
	s_or_b32 exec_lo, exec_lo, s0
	s_and_saveexec_b32 s0, vcc_lo
	s_cbranch_execnz .LBB346_1295
	s_branch .LBB346_1296
	.section	.rodata,"a",@progbits
	.p2align	6, 0x0
	.amdhsa_kernel _ZN4vllm25paged_attention_v1_kernelI14__hip_bfloat16hLi80ELi32ELi128ELNS_18Fp8KVCacheDataTypeE1ELb1EEEvPT_PKS3_PKT0_S9_ifPKiSB_iPKfiiiSD_SD_iiiii
		.amdhsa_group_segment_fixed_size 192
		.amdhsa_private_segment_fixed_size 228
		.amdhsa_kernarg_size 384
		.amdhsa_user_sgpr_count 2
		.amdhsa_user_sgpr_dispatch_ptr 0
		.amdhsa_user_sgpr_queue_ptr 0
		.amdhsa_user_sgpr_kernarg_segment_ptr 1
		.amdhsa_user_sgpr_dispatch_id 0
		.amdhsa_user_sgpr_kernarg_preload_length 0
		.amdhsa_user_sgpr_kernarg_preload_offset 0
		.amdhsa_user_sgpr_private_segment_size 0
		.amdhsa_wavefront_size32 1
		.amdhsa_uses_dynamic_stack 0
		.amdhsa_enable_private_segment 1
		.amdhsa_system_sgpr_workgroup_id_x 1
		.amdhsa_system_sgpr_workgroup_id_y 1
		.amdhsa_system_sgpr_workgroup_id_z 1
		.amdhsa_system_sgpr_workgroup_info 0
		.amdhsa_system_vgpr_workitem_id 0
		.amdhsa_next_free_vgpr 128
		.amdhsa_next_free_sgpr 47
		.amdhsa_named_barrier_count 0
		.amdhsa_reserve_vcc 1
		.amdhsa_float_round_mode_32 0
		.amdhsa_float_round_mode_16_64 0
		.amdhsa_float_denorm_mode_32 3
		.amdhsa_float_denorm_mode_16_64 3
		.amdhsa_fp16_overflow 0
		.amdhsa_memory_ordered 1
		.amdhsa_forward_progress 1
		.amdhsa_inst_pref_size 255
		.amdhsa_round_robin_scheduling 0
		.amdhsa_exception_fp_ieee_invalid_op 0
		.amdhsa_exception_fp_denorm_src 0
		.amdhsa_exception_fp_ieee_div_zero 0
		.amdhsa_exception_fp_ieee_overflow 0
		.amdhsa_exception_fp_ieee_underflow 0
		.amdhsa_exception_fp_ieee_inexact 0
		.amdhsa_exception_int_div_zero 0
	.end_amdhsa_kernel
	.section	.text._ZN4vllm25paged_attention_v1_kernelI14__hip_bfloat16hLi80ELi32ELi128ELNS_18Fp8KVCacheDataTypeE1ELb1EEEvPT_PKS3_PKT0_S9_ifPKiSB_iPKfiiiSD_SD_iiiii,"axG",@progbits,_ZN4vllm25paged_attention_v1_kernelI14__hip_bfloat16hLi80ELi32ELi128ELNS_18Fp8KVCacheDataTypeE1ELb1EEEvPT_PKS3_PKT0_S9_ifPKiSB_iPKfiiiSD_SD_iiiii,comdat
.Lfunc_end346:
	.size	_ZN4vllm25paged_attention_v1_kernelI14__hip_bfloat16hLi80ELi32ELi128ELNS_18Fp8KVCacheDataTypeE1ELb1EEEvPT_PKS3_PKT0_S9_ifPKiSB_iPKfiiiSD_SD_iiiii, .Lfunc_end346-_ZN4vllm25paged_attention_v1_kernelI14__hip_bfloat16hLi80ELi32ELi128ELNS_18Fp8KVCacheDataTypeE1ELb1EEEvPT_PKS3_PKT0_S9_ifPKiSB_iPKfiiiSD_SD_iiiii
                                        ; -- End function
	.set _ZN4vllm25paged_attention_v1_kernelI14__hip_bfloat16hLi80ELi32ELi128ELNS_18Fp8KVCacheDataTypeE1ELb1EEEvPT_PKS3_PKT0_S9_ifPKiSB_iPKfiiiSD_SD_iiiii.num_vgpr, 128
	.set _ZN4vllm25paged_attention_v1_kernelI14__hip_bfloat16hLi80ELi32ELi128ELNS_18Fp8KVCacheDataTypeE1ELb1EEEvPT_PKS3_PKT0_S9_ifPKiSB_iPKfiiiSD_SD_iiiii.num_agpr, 0
	.set _ZN4vllm25paged_attention_v1_kernelI14__hip_bfloat16hLi80ELi32ELi128ELNS_18Fp8KVCacheDataTypeE1ELb1EEEvPT_PKS3_PKT0_S9_ifPKiSB_iPKfiiiSD_SD_iiiii.numbered_sgpr, 47
	.set _ZN4vllm25paged_attention_v1_kernelI14__hip_bfloat16hLi80ELi32ELi128ELNS_18Fp8KVCacheDataTypeE1ELb1EEEvPT_PKS3_PKT0_S9_ifPKiSB_iPKfiiiSD_SD_iiiii.num_named_barrier, 0
	.set _ZN4vllm25paged_attention_v1_kernelI14__hip_bfloat16hLi80ELi32ELi128ELNS_18Fp8KVCacheDataTypeE1ELb1EEEvPT_PKS3_PKT0_S9_ifPKiSB_iPKfiiiSD_SD_iiiii.private_seg_size, 228
	.set _ZN4vllm25paged_attention_v1_kernelI14__hip_bfloat16hLi80ELi32ELi128ELNS_18Fp8KVCacheDataTypeE1ELb1EEEvPT_PKS3_PKT0_S9_ifPKiSB_iPKfiiiSD_SD_iiiii.uses_vcc, 1
	.set _ZN4vllm25paged_attention_v1_kernelI14__hip_bfloat16hLi80ELi32ELi128ELNS_18Fp8KVCacheDataTypeE1ELb1EEEvPT_PKS3_PKT0_S9_ifPKiSB_iPKfiiiSD_SD_iiiii.uses_flat_scratch, 1
	.set _ZN4vllm25paged_attention_v1_kernelI14__hip_bfloat16hLi80ELi32ELi128ELNS_18Fp8KVCacheDataTypeE1ELb1EEEvPT_PKS3_PKT0_S9_ifPKiSB_iPKfiiiSD_SD_iiiii.has_dyn_sized_stack, 0
	.set _ZN4vllm25paged_attention_v1_kernelI14__hip_bfloat16hLi80ELi32ELi128ELNS_18Fp8KVCacheDataTypeE1ELb1EEEvPT_PKS3_PKT0_S9_ifPKiSB_iPKfiiiSD_SD_iiiii.has_recursion, 0
	.set _ZN4vllm25paged_attention_v1_kernelI14__hip_bfloat16hLi80ELi32ELi128ELNS_18Fp8KVCacheDataTypeE1ELb1EEEvPT_PKS3_PKT0_S9_ifPKiSB_iPKfiiiSD_SD_iiiii.has_indirect_call, 0
	.section	.AMDGPU.csdata,"",@progbits
; Kernel info:
; codeLenInByte = 47944
; TotalNumSgprs: 49
; NumVgprs: 128
; ScratchSize: 228
; MemoryBound: 0
; FloatMode: 240
; IeeeMode: 1
; LDSByteSize: 192 bytes/workgroup (compile time only)
; SGPRBlocks: 0
; VGPRBlocks: 7
; NumSGPRsForWavesPerEU: 49
; NumVGPRsForWavesPerEU: 128
; NamedBarCnt: 0
; Occupancy: 8
; WaveLimiterHint : 1
; COMPUTE_PGM_RSRC2:SCRATCH_EN: 1
; COMPUTE_PGM_RSRC2:USER_SGPR: 2
; COMPUTE_PGM_RSRC2:TRAP_HANDLER: 0
; COMPUTE_PGM_RSRC2:TGID_X_EN: 1
; COMPUTE_PGM_RSRC2:TGID_Y_EN: 1
; COMPUTE_PGM_RSRC2:TGID_Z_EN: 1
; COMPUTE_PGM_RSRC2:TIDIG_COMP_CNT: 0
	.text
	.p2align	2                               ; -- Begin function _ZN4vllm22paged_attention_kernelI14__hip_bfloat16hLi96ELi32ELi128ELNS_18Fp8KVCacheDataTypeE1ELb1ELi0EEEvPfS3_PT_PKS4_PKT0_SA_ifPKiSC_iPKfiiiSE_SE_iiiii
	.type	_ZN4vllm22paged_attention_kernelI14__hip_bfloat16hLi96ELi32ELi128ELNS_18Fp8KVCacheDataTypeE1ELb1ELi0EEEvPfS3_PT_PKS4_PKT0_SA_ifPKiSC_iPKfiiiSE_SE_iiiii,@function
_ZN4vllm22paged_attention_kernelI14__hip_bfloat16hLi96ELi32ELi128ELNS_18Fp8KVCacheDataTypeE1ELb1ELi0EEEvPfS3_PT_PKS4_PKT0_SA_ifPKiSC_iPKfiiiSE_SE_iiiii: ; @_ZN4vllm22paged_attention_kernelI14__hip_bfloat16hLi96ELi32ELi128ELNS_18Fp8KVCacheDataTypeE1ELb1ELi0EEEvPfS3_PT_PKS4_PKT0_SA_ifPKiSC_iPKfiiiSE_SE_iiiii
; %bb.0:
	s_wait_loadcnt_dscnt 0x0
	s_wait_kmcnt 0x0
	s_clause 0x2f
	scratch_store_b32 off, v40, s32 offset:188
	; meta instruction
	scratch_store_b32 off, v41, s32 offset:184
	; meta instruction
	scratch_store_b32 off, v42, s32 offset:180
	; meta instruction
	scratch_store_b32 off, v43, s32 offset:176
	; meta instruction
	scratch_store_b32 off, v44, s32 offset:172
	; meta instruction
	scratch_store_b32 off, v45, s32 offset:168
	; meta instruction
	scratch_store_b32 off, v46, s32 offset:164
	; meta instruction
	scratch_store_b32 off, v47, s32 offset:160
	; meta instruction
	scratch_store_b32 off, v56, s32 offset:156
	; meta instruction
	scratch_store_b32 off, v57, s32 offset:152
	; meta instruction
	scratch_store_b32 off, v58, s32 offset:148
	; meta instruction
	scratch_store_b32 off, v59, s32 offset:144
	; meta instruction
	scratch_store_b32 off, v60, s32 offset:140
	; meta instruction
	scratch_store_b32 off, v61, s32 offset:136
	; meta instruction
	scratch_store_b32 off, v62, s32 offset:132
	; meta instruction
	scratch_store_b32 off, v63, s32 offset:128
	; meta instruction
	scratch_store_b32 off, v72, s32 offset:124
	; meta instruction
	scratch_store_b32 off, v73, s32 offset:120
	; meta instruction
	scratch_store_b32 off, v74, s32 offset:116
	; meta instruction
	scratch_store_b32 off, v75, s32 offset:112
	; meta instruction
	scratch_store_b32 off, v76, s32 offset:108
	; meta instruction
	scratch_store_b32 off, v77, s32 offset:104
	; meta instruction
	scratch_store_b32 off, v78, s32 offset:100
	; meta instruction
	scratch_store_b32 off, v79, s32 offset:96
	; meta instruction
	scratch_store_b32 off, v88, s32 offset:92
	; meta instruction
	scratch_store_b32 off, v89, s32 offset:88
	; meta instruction
	scratch_store_b32 off, v90, s32 offset:84
	; meta instruction
	scratch_store_b32 off, v91, s32 offset:80
	; meta instruction
	scratch_store_b32 off, v92, s32 offset:76
	; meta instruction
	scratch_store_b32 off, v93, s32 offset:72
	; meta instruction
	scratch_store_b32 off, v94, s32 offset:68
	; meta instruction
	scratch_store_b32 off, v95, s32 offset:64
	; meta instruction
	scratch_store_b32 off, v104, s32 offset:60
	; meta instruction
	scratch_store_b32 off, v105, s32 offset:56
	; meta instruction
	scratch_store_b32 off, v106, s32 offset:52
	; meta instruction
	scratch_store_b32 off, v107, s32 offset:48
	; meta instruction
	scratch_store_b32 off, v108, s32 offset:44
	; meta instruction
	scratch_store_b32 off, v109, s32 offset:40
	; meta instruction
	scratch_store_b32 off, v110, s32 offset:36
	; meta instruction
	scratch_store_b32 off, v111, s32 offset:32
	; meta instruction
	scratch_store_b32 off, v120, s32 offset:28
	; meta instruction
	scratch_store_b32 off, v121, s32 offset:24
	; meta instruction
	scratch_store_b32 off, v122, s32 offset:20
	; meta instruction
	scratch_store_b32 off, v123, s32 offset:16
	; meta instruction
	scratch_store_b32 off, v124, s32 offset:12
	; meta instruction
	scratch_store_b32 off, v125, s32 offset:8
	; meta instruction
	scratch_store_b32 off, v126, s32 offset:4
	; meta instruction
	scratch_store_b32 off, v127, s32
	s_bfe_u32 s0, ttmp6, 0x4000c
	s_bfe_u32 s3, ttmp6, 0x40010
	s_add_co_i32 s0, s0, 1
	s_and_b32 s1, ttmp6, 15
	s_mul_i32 s0, ttmp9, s0
	s_and_b32 s4, ttmp7, 0xffff
	s_add_co_i32 s3, s3, 1
	s_add_co_i32 s1, s1, s0
	s_mul_i32 s0, s4, s3
	s_bfe_u32 s3, ttmp6, 0x40004
	s_getreg_b32 s10, hwreg(HW_REG_IB_STS2, 6, 4)
	s_add_co_i32 s3, s3, s0
	s_cmp_eq_u32 s10, 0
	s_mov_b32 s7, 0
	s_cselect_b32 s11, s4, s3
	s_cselect_b32 s0, ttmp9, s1
	s_lshl_b32 s6, s11, 2
	v_dual_mov_b32 v39, v7 :: v_dual_mov_b32 v38, v6
	v_add_nc_u64_e32 v[6:7], s[6:7], v[12:13]
	s_clause 0x3
	scratch_store_b64 off, v[22:23], s32 offset:320
	scratch_store_b64 off, v[18:19], s32 offset:268
	scratch_store_b32 off, v9, s32 offset:216
	scratch_store_b64 off, v[0:1], s32 offset:640
	s_wait_xcnt 0x0
	v_mov_b32_e32 v1, 0
	s_clause 0x1
	s_load_u16 s1, s[8:9], 0x12
	s_load_b32 s3, s[8:9], 0x0
	flat_load_b32 v60, v[6:7]
	s_wait_xcnt 0x0
	v_sub_nc_u32_e32 v6, 0, v8
	global_load_u16 v0, v1, s[8:9] offset:22
	v_dual_mov_b32 v37, v11 :: v_dual_mov_b32 v36, v10
	v_dual_mov_b32 v33, v16 :: v_dual_mov_b32 v32, v15
	v_max_i32_e32 v6, v8, v6
	s_mov_b32 s2, s15
	s_delay_alu instid0(VALU_DEP_1) | instskip(NEXT) | instid1(VALU_DEP_1)
	v_cvt_f32_u32_e32 v7, v6
	v_rcp_iflag_f32_e32 v7, v7
	s_wait_kmcnt 0x0
	s_cmp_lg_u32 s1, 0
	s_cselect_b32 s1, -1, 0
	s_delay_alu instid0(SALU_CYCLE_1) | instskip(SKIP_1) | instid1(TRANS32_DEP_1)
	s_cmp_lg_u32 s1, 0
	v_nop
	v_mul_f32_e32 v7, 0x4f7ffffe, v7
	v_sub_nc_u32_e32 v9, 0, v6
	s_add_co_ci_u32 s12, s3, 0
	s_abs_i32 s6, s0
	s_abs_i32 s1, s12
	v_cvt_u32_f32_e32 v7, v7
	s_mov_b32 s3, exec_lo
	s_delay_alu instid0(VALU_DEP_1) | instskip(NEXT) | instid1(VALU_DEP_1)
	v_mul_lo_u32 v9, v9, v7
	v_mul_hi_u32 v9, v7, v9
	s_delay_alu instid0(VALU_DEP_1) | instskip(NEXT) | instid1(VALU_DEP_1)
	v_add_nc_u32_e32 v7, v7, v9
	v_mul_hi_u32 v7, s1, v7
	s_delay_alu instid0(VALU_DEP_1) | instskip(NEXT) | instid1(VALU_DEP_1)
	v_mul_lo_u32 v9, v7, v6
	v_dual_add_nc_u32 v10, 1, v7 :: v_dual_sub_nc_u32 v9, s1, v9
	s_delay_alu instid0(VALU_DEP_1) | instskip(SKIP_1) | instid1(VALU_DEP_3)
	v_sub_nc_u32_e32 v11, v9, v6
	v_cmp_ge_u32_e32 vcc_lo, v9, v6
	v_dual_cndmask_b32 v7, v7, v10, vcc_lo :: v_dual_bitop2_b32 v10, s12, v8 bitop3:0x14
	s_delay_alu instid0(VALU_DEP_3) | instskip(NEXT) | instid1(VALU_DEP_2)
	v_cndmask_b32_e32 v9, v9, v11, vcc_lo
	v_dual_add_nc_u32 v11, 1, v7 :: v_dual_ashrrev_i32 v10, 31, v10
	s_delay_alu instid0(VALU_DEP_2) | instskip(NEXT) | instid1(VALU_DEP_2)
	v_cmp_ge_u32_e32 vcc_lo, v9, v6
	v_cndmask_b32_e32 v6, v7, v11, vcc_lo
	s_delay_alu instid0(VALU_DEP_1) | instskip(NEXT) | instid1(VALU_DEP_1)
	v_xor_b32_e32 v6, v6, v10
	v_sub_nc_u32_e32 v7, v6, v10
	s_delay_alu instid0(VALU_DEP_1) | instskip(NEXT) | instid1(VALU_DEP_1)
	v_sub_nc_u32_e32 v6, 0, v7
	v_max_i32_e32 v6, v7, v6
	s_delay_alu instid0(VALU_DEP_1) | instskip(SKIP_1) | instid1(VALU_DEP_2)
	v_cvt_f32_u32_e32 v9, v6
	v_sub_nc_u32_e32 v10, 0, v6
	v_rcp_iflag_f32_e32 v9, v9
	v_nop
	s_delay_alu instid0(TRANS32_DEP_1) | instskip(NEXT) | instid1(VALU_DEP_1)
	v_mul_f32_e32 v9, 0x4f7ffffe, v9
	v_cvt_u32_f32_e32 v9, v9
	s_delay_alu instid0(VALU_DEP_1) | instskip(NEXT) | instid1(VALU_DEP_1)
	v_mul_lo_u32 v10, v10, v9
	v_mul_hi_u32 v10, v9, v10
	s_wait_loadcnt 0x0
	v_readfirstlane_b32 s13, v0
	s_delay_alu instid0(VALU_DEP_2)
	v_add_nc_u32_e32 v0, v9, v10
	v_mov_b32_e32 v9, v1
	scratch_store_b32 off, v9, s32 offset:212 ; 4-byte Folded Spill
	s_wait_xcnt 0x0
	v_cmpx_ne_u64_e32 0, v[32:33]
	s_cbranch_execz .LBB347_2
; %bb.1:
	s_ashr_i32 s1, s0, 31
	s_delay_alu instid0(SALU_CYCLE_1)
	v_lshl_add_u64 v[10:11], s[0:1], 2, v[32:33]
	flat_load_b32 v9, v[10:11]
	s_wait_loadcnt_dscnt 0x0
	scratch_store_b32 off, v9, s32 offset:212 ; 4-byte Folded Spill
.LBB347_2:
	s_wait_xcnt 0x0
	s_or_b32 exec_lo, exec_lo, s3
	v_mul_u64_e32 v[0:1], s[6:7], v[0:1]
	v_and_b32_e32 v111, 0x3ff, v31
	v_ashrrev_i32_e32 v0, 31, v7
	s_ashr_i32 s1, s0, 31
	s_mul_i32 s4, s0, 0x60
	s_mov_b32 s3, exec_lo
	v_cmpx_gt_u32_e32 12, v111
	s_cbranch_execz .LBB347_4
; %bb.3:
	v_mul_lo_u32 v10, v17, s11
	s_ashr_i32 s5, s4, 31
	v_dual_mov_b32 v17, 0 :: v_dual_lshlrev_b32 v16, 4, v111
	s_delay_alu instid0(VALU_DEP_2) | instskip(NEXT) | instid1(VALU_DEP_1)
	v_ashrrev_i32_e32 v11, 31, v10
	v_lshl_add_u64 v[2:3], v[10:11], 1, v[2:3]
	s_delay_alu instid0(VALU_DEP_1) | instskip(NEXT) | instid1(VALU_DEP_1)
	v_lshl_add_u64 v[2:3], s[4:5], 1, v[2:3]
	v_add_nc_u64_e32 v[2:3], v[2:3], v[16:17]
	flat_load_b128 v[10:13], v[2:3]
	s_wait_loadcnt_dscnt 0x0
	ds_store_b128 v16, v[10:13]
.LBB347_4:
	s_wait_xcnt 0x0
	s_or_b32 exec_lo, exec_lo, s3
	v_sub_nc_u32_e32 v2, 0, v27
	v_mul_lo_u32 v3, v1, v6
	s_delay_alu instid0(VALU_DEP_2) | instskip(NEXT) | instid1(VALU_DEP_1)
	v_dual_add_nc_u32 v9, 1, v1 :: v_dual_max_i32 v61, v27, v2
	v_cvt_f32_u32_e32 v2, v61
	s_delay_alu instid0(VALU_DEP_3) | instskip(NEXT) | instid1(VALU_DEP_2)
	v_sub_nc_u32_e32 v3, s6, v3
	v_rcp_iflag_f32_e32 v2, v2
	s_delay_alu instid0(VALU_DEP_1) | instskip(NEXT) | instid1(TRANS32_DEP_1)
	v_cmp_ge_u32_e32 vcc_lo, v3, v6
	v_dual_mul_f32 v2, 0x4f7ffffe, v2 :: v_dual_sub_nc_u32 v7, 0, v61
	v_cndmask_b32_e32 v1, v1, v9, vcc_lo
	s_delay_alu instid0(VALU_DEP_2) | instskip(NEXT) | instid1(VALU_DEP_2)
	v_cvt_u32_f32_e32 v2, v2
	v_add_nc_u32_e32 v9, 1, v1
	s_delay_alu instid0(VALU_DEP_2) | instskip(SKIP_2) | instid1(VALU_DEP_1)
	v_mul_lo_u32 v10, v7, v2
	v_sub_nc_u32_e32 v7, v3, v6
	s_wait_dscnt 0x0
	v_dual_cndmask_b32 v3, v3, v7, vcc_lo :: v_dual_add_nc_u32 v7, -1, v60
	s_delay_alu instid0(VALU_DEP_1) | instskip(NEXT) | instid1(VALU_DEP_4)
	v_cmp_ge_u32_e32 vcc_lo, v3, v6
	v_mul_hi_u32 v10, v2, v10
	v_xor_b32_e32 v11, s1, v0
	s_mov_b32 s1, exec_lo
	v_dual_cndmask_b32 v0, v1, v9 :: v_dual_mov_b32 v1, 0
	v_sub_nc_u32_e32 v3, 0, v7
	s_delay_alu instid0(VALU_DEP_2) | instskip(NEXT) | instid1(VALU_DEP_2)
	v_dual_mov_b32 v13, v1 :: v_dual_bitop2_b32 v6, v0, v11 bitop3:0x14
	v_dual_add_nc_u32 v12, v2, v10 :: v_dual_max_i32 v0, v7, v3
                                        ; implicit-def: $vgpr2
                                        ; kill: killed $vgpr2
	s_delay_alu instid0(VALU_DEP_2)
	v_sub_nc_u32_e32 v6, v6, v11
	scratch_store_b64 off, v[12:13], s32 offset:196 ; 8-byte Folded Spill
	s_wait_storecnt 0x0
	s_barrier_signal -1
	s_barrier_wait -1
	s_wait_xcnt 0x0
	v_cmpx_gt_i32_e32 0, v28
	s_xor_b32 s1, exec_lo, s1
	s_cbranch_execz .LBB347_6
; %bb.5:
	v_mad_u32 v2, v24, v8, v6
                                        ; implicit-def: $vgpr24
	s_delay_alu instid0(VALU_DEP_1) | instskip(NEXT) | instid1(VALU_DEP_1)
	v_mul_lo_u32 v2, v2, v28
                                        ; implicit-def: $vgpr28
	v_sub_nc_u32_e32 v2, 1, v2
	scratch_store_b32 off, v2, s32 offset:204 ; 4-byte Folded Spill
.LBB347_6:
	s_wait_xcnt 0x0
	s_or_saveexec_b32 s1, s1
	scratch_load_b64 v[2:3], off, s32 offset:196 ; 8-byte Folded Reload
	v_ashrrev_i32_e32 v63, 31, v27
	s_wait_loadcnt 0x0
	v_mul_u64_e32 v[2:3], v[0:1], v[2:3]
	v_ashrrev_i32_e32 v1, 31, v7
	s_wait_xcnt 0x0
	s_xor_b32 exec_lo, exec_lo, s1
	s_cbranch_execz .LBB347_8
; %bb.7:
	v_mad_u32 v2, s12, v24, s0
	s_delay_alu instid0(VALU_DEP_1)
	v_mad_u32 v2, v2, v28, 1
	scratch_store_b32 off, v2, s32 offset:204 ; 4-byte Folded Spill
.LBB347_8:
	s_wait_xcnt 0x0
	s_or_b32 exec_lo, exec_lo, s1
	s_delay_alu instid0(VALU_DEP_2)
	v_mul_lo_u32 v2, v3, v61
	s_load_b32 s5, s[8:9], 0x8
	v_mul_lo_u32 v52, v14, s11
	v_mul_lo_u32 v50, v6, v19
	s_ashr_i32 s3, s2, 31
	v_lshrrev_b32_e32 v48, 3, v111
	s_get_pc_i64 s[6:7]
	s_add_nc_u64 s[6:7], s[6:7], llvm.amdgcn.dynlds.offset.table@rel64+4
	s_lshl_b64 s[2:3], s[2:3], 2
	v_xor_b32_e32 v1, v1, v63
	s_add_nc_u64 s[6:7], s[6:7], s[2:3]
	v_dual_lshrrev_b32 v10, 5, v111 :: v_dual_sub_nc_u32 v0, v0, v2
	v_dual_add_nc_u32 v2, 1, v3 :: v_dual_add_nc_u32 v7, 31, v60
	v_mov_b32_e32 v9, 0xff7fffff
	s_delay_alu instid0(VALU_DEP_3) | instskip(SKIP_1) | instid1(VALU_DEP_4)
	v_dual_ashrrev_i32 v53, 31, v52 :: v_dual_sub_nc_u32 v8, v0, v61
	v_cmp_ge_u32_e32 vcc_lo, v0, v61
	v_dual_cndmask_b32 v2, v3, v2 :: v_dual_ashrrev_i32 v3, 31, v7
	s_delay_alu instid0(VALU_DEP_1) | instskip(NEXT) | instid1(VALU_DEP_1)
	v_dual_cndmask_b32 v0, v0, v8, vcc_lo :: v_dual_add_nc_u32 v8, 1, v2
	v_cmp_ge_u32_e32 vcc_lo, v0, v61
	s_delay_alu instid0(VALU_DEP_2) | instskip(NEXT) | instid1(VALU_DEP_4)
	v_dual_cndmask_b32 v0, v2, v8, vcc_lo :: v_dual_bitop2_b32 v11, 31, v111 bitop3:0x40
	v_dual_lshrrev_b32 v3, 27, v3 :: v_dual_lshlrev_b32 v24, 5, v10
	s_delay_alu instid0(VALU_DEP_2) | instskip(SKIP_2) | instid1(VALU_DEP_1)
	v_lshlrev_b32_e32 v22, 2, v11
	scratch_store_b32 off, v11, s32 offset:316 ; 4-byte Folded Spill
	v_dual_add_nc_u32 v2, v7, v3 :: v_dual_bitop2_b32 v0, v0, v1 bitop3:0x14
	v_dual_sub_nc_u32 v27, 0, v26 :: v_dual_sub_nc_u32 v0, v0, v1
	s_delay_alu instid0(VALU_DEP_2)
	v_ashrrev_i32_e32 v2, 5, v2
	v_ashrrev_i32_e32 v51, 31, v50
	s_clause 0x1
	scratch_store_b32 off, v10, s32 offset:636
	scratch_store_b32 off, v2, s32 offset:192
	v_cmp_lt_i32_e64 s0, v10, v2
	v_sub_nc_u32_e32 v0, v0, v25
	scratch_store_b32 off, v0, s32 offset:208 ; 4-byte Folded Spill
	s_wait_xcnt 0x0
	s_and_saveexec_b32 s3, s0
	s_cbranch_execz .LBB347_784
; %bb.9:
	scratch_store_b64 off, v[38:39], s32 offset:660 ; 8-byte Folded Spill
	s_wait_xcnt 0x0
	v_mov_b32_e32 v39, 0
	s_mov_b32 s15, 0
	s_mov_b64 s[8:9], 0xffffffffffffff
	ds_load_b128 v[0:3], v39
	ds_load_b128 v[6:9], v39 offset:16
	ds_load_b128 v[32:35], v39 offset:32
	;; [unrolled: 1-line block ×4, first 2 shown]
	s_wait_dscnt 0x4
	v_and_b32_e32 v11, 0xffff0000, v0
	v_lshlrev_b32_e32 v10, 16, v0
	ds_load_b128 v[16:19], v39 offset:112
	v_dual_mov_b32 v125, v39 :: v_dual_lshlrev_b32 v0, 16, v2
	scratch_store_b64 off, v[10:11], s32 offset:220 ; 8-byte Folded Spill
	s_wait_xcnt 0x0
	v_and_b32_e32 v11, 0xffff0000, v1
	v_lshlrev_b32_e32 v10, 16, v1
	v_and_b32_e32 v1, 0xffff0000, v2
	scratch_store_b64 off, v[10:11], s32 offset:228 ; 8-byte Folded Spill
	s_wait_dscnt 0x2
	s_wait_xcnt 0x0
	v_and_b32_e32 v11, 0xffff0000, v15
	v_lshlrev_b32_e32 v10, 16, v15
	scratch_store_b64 off, v[0:1], s32 offset:236 ; 8-byte Folded Spill
	s_wait_xcnt 0x0
	v_and_b32_e32 v1, 0xffff0000, v3
	v_lshlrev_b32_e32 v0, 16, v3
	scratch_store_b64 off, v[10:11], s32 offset:376 ; 8-byte Folded Spill
	s_wait_dscnt 0x1
	s_wait_xcnt 0x0
	v_and_b32_e32 v11, 0xffff0000, v28
	v_lshlrev_b32_e32 v10, 16, v28
	scratch_store_b64 off, v[0:1], s32 offset:244 ; 8-byte Folded Spill
	s_wait_xcnt 0x0
	v_and_b32_e32 v1, 0xffff0000, v6
	v_dual_lshlrev_b32 v0, 16, v6 :: v_dual_lshlrev_b32 v6, 16, v13
	scratch_store_b64 off, v[10:11], s32 offset:384 ; 8-byte Folded Spill
	s_wait_xcnt 0x0
	v_and_b32_e32 v11, 0xffff0000, v29
	v_lshlrev_b32_e32 v10, 16, v29
	scratch_store_b64 off, v[0:1], s32 offset:252 ; 8-byte Folded Spill
	s_wait_xcnt 0x0
	v_and_b32_e32 v1, 0xffff0000, v7
	v_lshlrev_b32_e32 v0, 16, v7
	v_and_b32_e32 v7, 0xffff0000, v13
	scratch_store_b64 off, v[10:11], s32 offset:392 ; 8-byte Folded Spill
	s_wait_xcnt 0x0
	v_lshlrev_b32_e32 v10, 16, v30
	v_and_b32_e32 v11, 0xffff0000, v30
	s_clause 0x1
	scratch_store_b64 off, v[0:1], s32 offset:260
	scratch_store_b64 off, v[6:7], s32 offset:344
	s_wait_xcnt 0x1
	v_and_b32_e32 v1, 0xffff0000, v8
	v_lshlrev_b32_e32 v0, 16, v8
	s_wait_xcnt 0x0
	v_and_b32_e32 v7, 0xffff0000, v34
	v_lshlrev_b32_e32 v6, 16, v34
	scratch_store_b64 off, v[10:11], s32 offset:400 ; 8-byte Folded Spill
	s_wait_xcnt 0x0
	v_and_b32_e32 v11, 0xffff0000, v31
	scratch_store_b64 off, v[0:1], s32 offset:276 ; 8-byte Folded Spill
	s_wait_xcnt 0x0
	v_and_b32_e32 v1, 0xffff0000, v9
	v_lshlrev_b32_e32 v0, 16, v9
	scratch_store_b64 off, v[6:7], s32 offset:352 ; 8-byte Folded Spill
	s_wait_xcnt 0x0
	v_and_b32_e32 v7, 0xffff0000, v14
	v_dual_lshlrev_b32 v6, 16, v14 :: v_dual_lshlrev_b32 v10, 16, v31
	scratch_store_b64 off, v[0:1], s32 offset:284 ; 8-byte Folded Spill
	s_wait_xcnt 0x0
	v_and_b32_e32 v1, 0xffff0000, v32
	v_lshlrev_b32_e32 v0, 16, v32
	scratch_store_b64 off, v[6:7], s32 offset:360 ; 8-byte Folded Spill
	s_wait_xcnt 0x0
	v_and_b32_e32 v7, 0xffff0000, v35
	v_lshlrev_b32_e32 v6, 16, v35
	s_clause 0x1
	scratch_store_b64 off, v[10:11], s32 offset:408
	scratch_store_b64 off, v[0:1], s32 offset:300
	s_wait_xcnt 0x0
	v_and_b32_e32 v1, 0xffff0000, v12
	v_lshlrev_b32_e32 v0, 16, v12
	ds_load_b128 v[12:15], v39 offset:128
	scratch_store_b64 off, v[6:7], s32 offset:368 ; 8-byte Folded Spill
	s_wait_xcnt 0x0
	ds_load_b128 v[6:9], v39 offset:96
	v_max_i32_e32 v25, v26, v27
	scratch_store_b64 off, v[0:1], s32 offset:328 ; 8-byte Folded Spill
	s_wait_xcnt 0x0
	v_and_b32_e32 v1, 0xffff0000, v33
	v_lshlrev_b32_e32 v0, 16, v33
	scratch_store_b64 off, v[0:1], s32 offset:336 ; 8-byte Folded Spill
	s_wait_xcnt 0x0
	ds_load_b128 v[0:3], v39 offset:80
	s_wait_dscnt 0x0
	v_and_b32_e32 v11, 0xffff0000, v0
	v_dual_lshlrev_b32 v10, 16, v0 :: v_dual_lshlrev_b32 v0, 16, v2
	scratch_store_b64 off, v[10:11], s32 offset:416 ; 8-byte Folded Spill
	s_wait_xcnt 0x0
	v_and_b32_e32 v11, 0xffff0000, v1
	v_lshlrev_b32_e32 v10, 16, v1
	v_and_b32_e32 v1, 0xffff0000, v2
	s_clause 0x1
	scratch_store_b64 off, v[10:11], s32 offset:424
	scratch_store_b64 off, v[0:1], s32 offset:432
	s_wait_xcnt 0x0
	v_and_b32_e32 v1, 0xffff0000, v3
	v_lshlrev_b32_e32 v0, 16, v3
	v_and_b32_e32 v11, 0xffff0000, v12
	v_lshlrev_b32_e32 v10, 16, v12
	scratch_store_b64 off, v[0:1], s32 offset:440 ; 8-byte Folded Spill
	s_wait_xcnt 0x0
	v_and_b32_e32 v1, 0xffff0000, v6
	v_dual_lshlrev_b32 v0, 16, v6 :: v_dual_lshlrev_b32 v6, 16, v16
	scratch_store_b64 off, v[0:1], s32 offset:448 ; 8-byte Folded Spill
	s_wait_xcnt 0x0
	v_and_b32_e32 v1, 0xffff0000, v7
	v_lshlrev_b32_e32 v0, 16, v7
	v_and_b32_e32 v7, 0xffff0000, v16
	s_clause 0x1
	scratch_store_b64 off, v[0:1], s32 offset:456
	scratch_store_b64 off, v[6:7], s32 offset:480
	s_wait_xcnt 0x1
	v_and_b32_e32 v1, 0xffff0000, v8
	s_wait_xcnt 0x0
	v_dual_lshlrev_b32 v0, 16, v8 :: v_dual_lshlrev_b32 v6, 16, v17
	v_and_b32_e32 v7, 0xffff0000, v17
	scratch_store_b64 off, v[0:1], s32 offset:464 ; 8-byte Folded Spill
	s_wait_xcnt 0x0
	v_and_b32_e32 v1, 0xffff0000, v9
	v_lshlrev_b32_e32 v0, 16, v9
	scratch_store_b64 off, v[6:7], s32 offset:488 ; 8-byte Folded Spill
	s_wait_xcnt 0x0
	v_and_b32_e32 v7, 0xffff0000, v18
	v_lshlrev_b32_e32 v6, 16, v18
	scratch_store_b64 off, v[0:1], s32 offset:472 ; 8-byte Folded Spill
	s_wait_xcnt 0x0
	ds_load_b128 v[0:3], v39 offset:144
	v_lshlrev_b32_e32 v12, 16, v14
	scratch_store_b64 off, v[6:7], s32 offset:496 ; 8-byte Folded Spill
	s_wait_xcnt 0x0
	v_and_b32_e32 v7, 0xffff0000, v19
	v_lshlrev_b32_e32 v6, 16, v19
	s_clause 0x2
	scratch_store_b64 off, v[6:7], s32 offset:504
	scratch_store_b32 off, v26, s32 offset:656
	scratch_store_b32 off, v27, s32 offset:688
	s_wait_xcnt 0x2
	ds_load_b128 v[6:9], v39 offset:160
	scratch_store_b64 off, v[50:51], s32 offset:680 ; 8-byte Folded Spill
	s_wait_dscnt 0x1
	v_and_b32_e32 v17, 0xffff0000, v0
	v_lshlrev_b32_e32 v16, 16, v0
	scratch_store_b64 off, v[10:11], s32 offset:512 ; 8-byte Folded Spill
	s_wait_xcnt 0x0
	v_and_b32_e32 v11, 0xffff0000, v13
	v_lshlrev_b32_e32 v10, 16, v13
	v_and_b32_e32 v13, 0xffff0000, v14
	scratch_store_b64 off, v[16:17], s32 offset:544 ; 8-byte Folded Spill
	s_wait_xcnt 0x0
	v_and_b32_e32 v17, 0xffff0000, v1
	v_lshlrev_b32_e32 v16, 16, v1
	s_clause 0x1
	scratch_store_b64 off, v[10:11], s32 offset:520
	scratch_store_b64 off, v[12:13], s32 offset:528
	s_wait_xcnt 0x1
	v_cvt_f32_u32_e32 v10, v25
	s_wait_xcnt 0x0
	v_and_b32_e32 v13, 0xffff0000, v15
	v_lshlrev_b32_e32 v12, 16, v15
	v_and_b32_e32 v15, 0xffff0000, v2
	v_rcp_iflag_f32_e32 v14, v10
	v_nop
	s_delay_alu instid0(TRANS32_DEP_1)
	v_mul_f32_e32 v0, 0x4f7ffffe, v14
	v_lshlrev_b32_e32 v14, 16, v2
	scratch_store_b64 off, v[12:13], s32 offset:536 ; 8-byte Folded Spill
	s_wait_xcnt 0x0
	ds_load_b128 v[10:13], v39 offset:176
	s_wait_dscnt 0x1
	v_and_b32_e32 v1, 0xffff0000, v8
	v_cvt_u32_f32_e32 v2, v0
	scratch_store_b64 off, v[14:15], s32 offset:560 ; 8-byte Folded Spill
	s_wait_xcnt 0x0
	v_and_b32_e32 v15, 0xffff0000, v3
	v_lshlrev_b32_e32 v14, 16, v3
	scratch_store_b64 off, v[16:17], s32 offset:552 ; 8-byte Folded Spill
	v_sub_nc_u32_e32 v0, 0, v25
	scratch_store_b64 off, v[14:15], s32 offset:568 ; 8-byte Folded Spill
	s_wait_xcnt 0x0
	v_and_b32_e32 v15, 0xffff0000, v6
	v_lshlrev_b32_e32 v14, 16, v6
	v_mul_lo_u32 v3, v0, v2
	s_wait_dscnt 0x0
	v_dual_lshlrev_b32 v0, 16, v8 :: v_dual_lshlrev_b32 v6, 16, v11
	scratch_store_b64 off, v[14:15], s32 offset:576 ; 8-byte Folded Spill
	s_wait_xcnt 0x0
	v_and_b32_e32 v15, 0xffff0000, v7
	v_lshlrev_b32_e32 v14, 16, v7
	v_and_b32_e32 v7, 0xffff0000, v11
	scratch_store_b64 off, v[0:1], s32 offset:592 ; 8-byte Folded Spill
	s_wait_xcnt 0x0
	v_and_b32_e32 v1, 0xffff0000, v9
	v_lshlrev_b32_e32 v0, 16, v9
	s_clause 0x2
	scratch_store_b64 off, v[14:15], s32 offset:584
	scratch_store_b64 off, v[6:7], s32 offset:616
	scratch_load_b32 v6, off, s32 offset:316
	v_mul_hi_u32 v3, v2, v3
	scratch_store_b64 off, v[0:1], s32 offset:600 ; 8-byte Folded Spill
	s_wait_xcnt 0x0
	v_and_b32_e32 v1, 0xffff0000, v10
	v_lshlrev_b32_e32 v0, 16, v10
	v_and_b32_e32 v121, 0xffff0000, v13
	v_dual_mov_b32 v9, 0xff7fffff :: v_dual_lshlrev_b32 v120, 16, v13
	scratch_store_b64 off, v[0:1], s32 offset:608 ; 8-byte Folded Spill
	s_wait_xcnt 0x0
	v_add_nc_u64_e32 v[0:1], v[4:5], v[50:51]
	v_and_b32_e32 v5, 0xffff0000, v12
	s_wait_loadcnt 0x0
	v_dual_lshlrev_b32 v4, 16, v12 :: v_dual_lshlrev_b32 v38, 4, v6
	v_sub_nc_u32_e32 v6, v6, v60
	v_add_nc_u32_e32 v124, v2, v3
	s_delay_alu instid0(VALU_DEP_3) | instskip(SKIP_1) | instid1(VALU_DEP_4)
	v_add_nc_u64_e32 v[0:1], v[0:1], v[38:39]
	v_and_b32_e32 v38, 0x7c, v48
	v_add_nc_u32_e32 v2, 1, v6
	s_clause 0x1
	scratch_store_b64 off, v[0:1], s32 offset:624
	scratch_store_b32 off, v48, s32 offset:676
	s_wait_xcnt 0x1
	v_lshl_add_u64 v[0:1], v[52:53], 2, v[38:39]
	s_load_b32 s14, s[6:7], 0x0
	s_clause 0x3
	scratch_store_b64 off, v[52:53], s32 offset:668
	scratch_load_b32 v7, off, s32 offset:212
	scratch_store_b32 off, v2, s32 offset:632
	scratch_store_b64 off, v[36:37], s32 offset:648
	v_add_nc_u64_e32 v[126:127], v[36:37], v[0:1]
	s_clause 0x1
	scratch_load_b32 v0, off, s32 offset:636
	scratch_store_b32 off, v22, s32 offset:692
	s_wait_loadcnt 0x1
	v_cmp_neq_f32_e32 vcc_lo, 0, v7
	s_wait_loadcnt 0x0
	v_lshl_or_b32 v74, v0, 7, v22
	s_wait_xcnt 0x3
	v_dual_mov_b32 v75, v0 :: v_dual_lshlrev_b32 v2, 5, v0
	s_branch .LBB347_15
.LBB347_10:                             ;   in Loop: Header=BB347_15 Depth=1
	s_or_b32 exec_lo, exec_lo, s19
	s_delay_alu instid0(VALU_DEP_1) | instskip(NEXT) | instid1(VALU_DEP_2)
	v_dual_lshlrev_b32 v16, 24, v16 :: v_dual_lshlrev_b32 v38, 20, v38
	v_lshl_add_u32 v17, v17, 23, 0x3c000000
	s_delay_alu instid0(VALU_DEP_2) | instskip(NEXT) | instid1(VALU_DEP_1)
	v_and_b32_e32 v16, 0x80000000, v16
	v_or3_b32 v57, v38, v16, v17
.LBB347_11:                             ;   in Loop: Header=BB347_15 Depth=1
	s_or_b32 exec_lo, exec_lo, s18
.LBB347_12:                             ;   in Loop: Header=BB347_15 Depth=1
	s_delay_alu instid0(SALU_CYCLE_1)
	s_or_b32 exec_lo, exec_lo, s17
.LBB347_13:                             ;   in Loop: Header=BB347_15 Depth=1
	s_delay_alu instid0(SALU_CYCLE_1)
	s_or_b32 exec_lo, exec_lo, s16
	v_fma_mixlo_bf16 v79, v8, v79, 0
	v_pk_mul_f32 v[58:59], v[8:9], v[96:97] op_sel_hi:[0,1]
	v_pk_mul_f32 v[96:97], v[8:9], v[32:33] op_sel_hi:[0,1]
	v_pk_mul_f32 v[32:33], v[8:9], v[86:87] op_sel_hi:[0,1]
	v_pk_mul_f32 v[86:87], v[8:9], v[66:67] op_sel_hi:[0,1]
	v_pk_mul_f32 v[66:67], v[8:9], v[80:81] op_sel_hi:[0,1]
	v_pk_mul_f32 v[80:81], v[8:9], v[52:53] op_sel_hi:[0,1]
	v_pk_mul_f32 v[52:53], v[8:9], v[18:19] op_sel_hi:[0,1]
	v_pk_mul_f32 v[18:19], v[8:9], v[48:49] op_sel_hi:[0,1]
	v_pk_mul_f32 v[48:49], v[8:9], v[6:7] op_sel_hi:[0,1]
	v_fma_mixlo_bf16 v88, v8, v88, 0
	v_fma_mixlo_bf16 v38, v8, v94, 0
	;; [unrolled: 1-line block ×4, first 2 shown]
	v_pk_mul_f32 v[6:7], v[8:9], v[46:47] op_sel_hi:[0,1]
	v_dual_lshlrev_b32 v46, 16, v79 :: v_dual_lshlrev_b32 v47, 16, v88
	scratch_load_b64 v[78:79], off, s32 offset:252 ; 8-byte Folded Reload
	v_fma_mixlo_bf16 v62, v8, v93, 0
	v_fma_mixlo_bf16 v93, v8, v12, 0
	v_pk_mul_f32 v[44:45], v[8:9], v[114:115] op_sel_hi:[0,1]
	v_pk_mul_f32 v[114:115], v[8:9], v[40:41] op_sel_hi:[0,1]
	;; [unrolled: 1-line block ×14, first 2 shown]
	v_dual_lshlrev_b32 v56, 16, v94 :: v_dual_lshlrev_b32 v57, 16, v93
	v_fma_mixlo_bf16 v104, v8, v104, 0
	v_fma_mixlo_bf16 v95, v8, v95, 0
	v_pk_mul_f32 v[118:119], v[8:9], v[118:119] op_sel_hi:[0,1]
	v_pk_mul_f32 v[116:117], v[8:9], v[116:117] op_sel_hi:[0,1]
	;; [unrolled: 1-line block ×12, first 2 shown]
	v_fma_mixlo_bf16 v72, v8, v108, 0
	v_fma_mixlo_bf16 v73, v8, v107, 0
	;; [unrolled: 1-line block ×15, first 2 shown]
	v_cvt_pk_bf16_f32 v8, v48, v49
	v_lshlrev_b32_e32 v16, 16, v16
	v_cvt_pk_bf16_f32 v6, v6, v7
	s_load_b32 s16, s[6:7], 0x0
	v_lshlrev_b32_e32 v17, 16, v17
	v_and_b32_e32 v49, 0xffff0000, v8
	v_lshlrev_b32_e32 v48, 16, v8
	v_cvt_pk_bf16_f32 v8, v122, v123
	s_wait_loadcnt 0x0
	v_pk_mul_f32 v[46:47], v[46:47], v[78:79]
	scratch_load_b64 v[78:79], off, s32 offset:220 ; 8-byte Folded Reload
	s_wait_loadcnt 0x0
	v_pk_fma_f32 v[46:47], v[56:57], v[78:79], v[46:47]
	scratch_load_b64 v[78:79], off, s32 offset:300 ; 8-byte Folded Reload
	v_dual_lshlrev_b32 v57, 16, v104 :: v_dual_lshlrev_b32 v56, 16, v95
	s_wait_loadcnt 0x0
	s_delay_alu instid0(VALU_DEP_1)
	v_pk_fma_f32 v[46:47], v[78:79], v[56:57], v[46:47]
	scratch_load_b64 v[56:57], off, s32 offset:328 ; 8-byte Folded Reload
	s_wait_loadcnt 0x0
	v_pk_fma_f32 v[48:49], v[56:57], v[48:49], v[46:47]
	scratch_load_b64 v[56:57], off, s32 offset:384 ; 8-byte Folded Reload
	v_and_b32_e32 v47, 0xffff0000, v8
	v_lshlrev_b32_e32 v46, 16, v8
	v_cvt_pk_bf16_f32 v8, v100, v101
	s_delay_alu instid0(VALU_DEP_1) | instskip(SKIP_2) | instid1(VALU_DEP_1)
	v_and_b32_e32 v101, 0xffff0000, v8
	v_lshlrev_b32_e32 v100, 16, v8
	v_cvt_pk_bf16_f32 v8, v86, v87
	v_lshlrev_b32_e32 v86, 16, v8
	v_and_b32_e32 v87, 0xffff0000, v8
	v_cvt_pk_bf16_f32 v8, v82, v83
	s_delay_alu instid0(VALU_DEP_1)
	v_and_b32_e32 v83, 0xffff0000, v8
	v_lshlrev_b32_e32 v82, 16, v8
	v_cvt_pk_bf16_f32 v8, v58, v59
	s_wait_loadcnt 0x0
	v_pk_fma_f32 v[48:49], v[56:57], v[46:47], v[48:49]
	scratch_load_b64 v[46:47], off, s32 offset:416 ; 8-byte Folded Reload
	s_wait_loadcnt 0x0
	v_pk_fma_f32 v[48:49], v[46:47], v[100:101], v[48:49]
	scratch_load_b64 v[100:101], off, s32 offset:448 ; 8-byte Folded Reload
	s_wait_loadcnt 0x0
	v_pk_fma_f32 v[48:49], v[100:101], v[86:87], v[48:49]
	s_clause 0x1
	scratch_load_b64 v[86:87], off, s32 offset:480
	scratch_load_b64 v[100:101], off, s32 offset:260
	s_wait_loadcnt 0x1
	v_pk_fma_f32 v[48:49], v[86:87], v[82:83], v[48:49]
	scratch_load_b64 v[86:87], off, s32 offset:512 ; 8-byte Folded Reload
	v_and_b32_e32 v83, 0xffff0000, v8
	v_lshlrev_b32_e32 v82, 16, v8
	v_cvt_pk_bf16_f32 v8, v102, v103
	s_wait_loadcnt 0x0
	s_delay_alu instid0(VALU_DEP_2)
	v_pk_fma_f32 v[48:49], v[86:87], v[82:83], v[48:49]
	scratch_load_b64 v[86:87], off, s32 offset:544 ; 8-byte Folded Reload
	v_and_b32_e32 v83, 0xffff0000, v8
	v_lshlrev_b32_e32 v82, 16, v8
	v_cvt_pk_bf16_f32 v8, v44, v45
	s_wait_loadcnt 0x0
	s_delay_alu instid0(VALU_DEP_2)
	v_pk_fma_f32 v[48:49], v[86:87], v[82:83], v[48:49]
	scratch_load_b64 v[86:87], off, s32 offset:576 ; 8-byte Folded Reload
	v_and_b32_e32 v83, 0xffff0000, v8
	v_lshlrev_b32_e32 v82, 16, v8
	v_cvt_pk_bf16_f32 v8, v42, v43
	s_wait_loadcnt 0x0
	s_delay_alu instid0(VALU_DEP_2) | instskip(SKIP_4) | instid1(VALU_DEP_1)
	v_pk_fma_f32 v[48:49], v[86:87], v[82:83], v[48:49]
	scratch_load_b64 v[86:87], off, s32 offset:608 ; 8-byte Folded Reload
	v_and_b32_e32 v83, 0xffff0000, v8
	v_lshlrev_b32_e32 v82, 16, v8
	v_cvt_pk_bf16_f32 v8, v36, v37
	v_lshlrev_b32_e32 v36, 16, v8
	v_and_b32_e32 v37, 0xffff0000, v8
	v_cvt_pk_bf16_f32 v8, v64, v65
	s_delay_alu instid0(VALU_DEP_1)
	v_and_b32_e32 v65, 0xffff0000, v8
	v_lshlrev_b32_e32 v64, 16, v8
	v_cvt_pk_bf16_f32 v8, v80, v81
	scratch_load_b64 v[80:81], off, s32 offset:424 ; 8-byte Folded Reload
	s_wait_loadcnt 0x1
	v_pk_fma_f32 v[48:49], v[86:87], v[82:83], v[48:49]
	v_dual_lshlrev_b32 v82, 16, v89 :: v_dual_lshlrev_b32 v87, 16, v76
	v_dual_lshlrev_b32 v83, 16, v90 :: v_dual_lshlrev_b32 v86, 16, v13
	s_delay_alu instid0(VALU_DEP_1)
	v_pk_mul_f32 v[82:83], v[82:83], v[100:101]
	scratch_load_b64 v[100:101], off, s32 offset:228 ; 8-byte Folded Reload
	s_wait_loadcnt 0x0
	v_pk_fma_f32 v[82:83], v[86:87], v[100:101], v[82:83]
	scratch_load_b64 v[100:101], off, s32 offset:336 ; 8-byte Folded Reload
	v_dual_lshlrev_b32 v87, 16, v106 :: v_dual_lshlrev_b32 v86, 16, v105
	s_wait_loadcnt 0x0
	s_delay_alu instid0(VALU_DEP_1)
	v_pk_fma_f32 v[82:83], v[100:101], v[86:87], v[82:83]
	scratch_load_b64 v[86:87], off, s32 offset:344 ; 8-byte Folded Reload
	s_wait_loadcnt 0x0
	v_pk_fma_f32 v[36:37], v[86:87], v[36:37], v[82:83]
	scratch_load_b64 v[82:83], off, s32 offset:392 ; 8-byte Folded Reload
	s_wait_loadcnt 0x0
	v_pk_fma_f32 v[36:37], v[82:83], v[64:65], v[36:37]
	v_and_b32_e32 v65, 0xffff0000, v8
	v_lshlrev_b32_e32 v64, 16, v8
	v_cvt_pk_bf16_f32 v8, v68, v69
	scratch_load_b64 v[68:69], off, s32 offset:456 ; 8-byte Folded Reload
	v_pk_fma_f32 v[36:37], v[80:81], v[64:65], v[36:37]
	v_and_b32_e32 v65, 0xffff0000, v8
	v_lshlrev_b32_e32 v64, 16, v8
	v_cvt_pk_bf16_f32 v8, v84, v85
	s_wait_loadcnt 0x0
	s_delay_alu instid0(VALU_DEP_2)
	v_pk_fma_f32 v[36:37], v[68:69], v[64:65], v[36:37]
	scratch_load_b64 v[68:69], off, s32 offset:488 ; 8-byte Folded Reload
	v_and_b32_e32 v65, 0xffff0000, v8
	v_lshlrev_b32_e32 v64, 16, v8
	v_cvt_pk_bf16_f32 v8, v98, v99
	s_wait_loadcnt 0x0
	s_delay_alu instid0(VALU_DEP_2)
	v_pk_fma_f32 v[36:37], v[68:69], v[64:65], v[36:37]
	scratch_load_b64 v[68:69], off, s32 offset:520 ; 8-byte Folded Reload
	;; [unrolled: 7-line block ×3, first 2 shown]
	v_and_b32_e32 v65, 0xffff0000, v8
	v_lshlrev_b32_e32 v64, 16, v8
	v_cvt_pk_bf16_f32 v8, v116, v117
	s_wait_loadcnt 0x0
	s_delay_alu instid0(VALU_DEP_2) | instskip(SKIP_4) | instid1(VALU_DEP_1)
	v_pk_fma_f32 v[36:37], v[68:69], v[64:65], v[36:37]
	scratch_load_b64 v[68:69], off, s32 offset:584 ; 8-byte Folded Reload
	v_and_b32_e32 v65, 0xffff0000, v8
	v_lshlrev_b32_e32 v64, 16, v8
	v_cvt_pk_bf16_f32 v8, v26, v27
	v_and_b32_e32 v27, 0xffff0000, v8
	v_lshlrev_b32_e32 v26, 16, v8
	v_cvt_pk_bf16_f32 v8, v22, v23
	s_delay_alu instid0(VALU_DEP_1)
	v_and_b32_e32 v23, 0xffff0000, v8
	v_lshlrev_b32_e32 v22, 16, v8
	v_cvt_pk_bf16_f32 v8, v52, v53
	s_wait_loadcnt 0x0
	v_pk_fma_f32 v[36:37], v[68:69], v[64:65], v[36:37]
	scratch_load_b64 v[64:65], off, s32 offset:616 ; 8-byte Folded Reload
	s_wait_loadcnt 0x0
	v_pk_fma_f32 v[26:27], v[64:65], v[26:27], v[36:37]
	v_lshlrev_b32_e32 v65, 16, v14
	scratch_load_b64 v[14:15], off, s32 offset:276 ; 8-byte Folded Reload
	v_dual_lshlrev_b32 v36, 16, v91 :: v_dual_lshlrev_b32 v37, 16, v92
	v_lshlrev_b32_e32 v64, 16, v77
	s_wait_loadcnt 0x0
	s_delay_alu instid0(VALU_DEP_2)
	v_pk_mul_f32 v[14:15], v[36:37], v[14:15]
	scratch_load_b64 v[36:37], off, s32 offset:236 ; 8-byte Folded Reload
	s_wait_loadcnt 0x0
	v_pk_fma_f32 v[14:15], v[64:65], v[36:37], v[14:15]
	scratch_load_b64 v[64:65], off, s32 offset:352 ; 8-byte Folded Reload
	v_dual_lshlrev_b32 v37, 16, v72 :: v_dual_lshlrev_b32 v36, 16, v73
	s_wait_loadcnt 0x0
	s_delay_alu instid0(VALU_DEP_1)
	v_pk_fma_f32 v[14:15], v[64:65], v[36:37], v[14:15]
	scratch_load_b64 v[36:37], off, s32 offset:360 ; 8-byte Folded Reload
	s_wait_loadcnt 0x0
	v_pk_fma_f32 v[14:15], v[36:37], v[22:23], v[14:15]
	scratch_load_b64 v[36:37], off, s32 offset:400 ; 8-byte Folded Reload
	v_and_b32_e32 v23, 0xffff0000, v8
	v_lshlrev_b32_e32 v22, 16, v8
	v_cvt_pk_bf16_f32 v8, v54, v55
	s_wait_loadcnt 0x0
	s_delay_alu instid0(VALU_DEP_2)
	v_pk_fma_f32 v[14:15], v[36:37], v[22:23], v[14:15]
	scratch_load_b64 v[36:37], off, s32 offset:432 ; 8-byte Folded Reload
	v_and_b32_e32 v23, 0xffff0000, v8
	v_lshlrev_b32_e32 v22, 16, v8
	v_cvt_pk_bf16_f32 v8, v70, v71
	s_wait_loadcnt 0x0
	s_delay_alu instid0(VALU_DEP_2)
	;; [unrolled: 7-line block ×3, first 2 shown]
	v_pk_fma_f32 v[14:15], v[36:37], v[22:23], v[14:15]
	scratch_load_b64 v[36:37], off, s32 offset:496 ; 8-byte Folded Reload
	v_and_b32_e32 v23, 0xffff0000, v8
	v_lshlrev_b32_e32 v22, 16, v8
	v_cvt_pk_bf16_f32 v8, v34, v35
	scratch_load_b64 v[34:35], off, s32 offset:528 ; 8-byte Folded Reload
	s_wait_loadcnt 0x1
	v_pk_fma_f32 v[14:15], v[36:37], v[22:23], v[14:15]
	v_and_b32_e32 v23, 0xffff0000, v8
	v_lshlrev_b32_e32 v22, 16, v8
	v_cvt_pk_bf16_f32 v8, v112, v113
	s_wait_loadcnt 0x0
	s_delay_alu instid0(VALU_DEP_2)
	v_pk_fma_f32 v[14:15], v[34:35], v[22:23], v[14:15]
	scratch_load_b64 v[34:35], off, s32 offset:560 ; 8-byte Folded Reload
	v_and_b32_e32 v23, 0xffff0000, v8
	v_lshlrev_b32_e32 v22, 16, v8
	v_cvt_pk_bf16_f32 v8, v118, v119
	s_wait_loadcnt 0x0
	s_delay_alu instid0(VALU_DEP_2) | instskip(SKIP_4) | instid1(VALU_DEP_3)
	v_pk_fma_f32 v[14:15], v[34:35], v[22:23], v[14:15]
	v_lshlrev_b32_e32 v34, 16, v3
	v_cvt_pk_bf16_f32 v3, v10, v11
	v_lshlrev_b32_e32 v22, 16, v38
	v_lshlrev_b32_e32 v23, 16, v62
	v_and_b32_e32 v11, 0xffff0000, v3
	v_lshlrev_b32_e32 v10, 16, v3
	v_cvt_pk_bf16_f32 v3, v18, v19
	v_lshlrev_b32_e32 v35, 16, v12
	scratch_load_b64 v[12:13], off, s32 offset:284 ; 8-byte Folded Reload
	v_cvt_pk_bf16_f32 v18, v28, v29
	s_delay_alu instid0(VALU_DEP_1)
	v_and_b32_e32 v19, 0xffff0000, v18
	v_lshlrev_b32_e32 v18, 16, v18
	s_wait_loadcnt 0x0
	v_pk_mul_f32 v[12:13], v[22:23], v[12:13]
	scratch_load_b64 v[22:23], off, s32 offset:244 ; 8-byte Folded Reload
	s_wait_loadcnt 0x0
	v_pk_fma_f32 v[12:13], v[34:35], v[22:23], v[12:13]
	scratch_load_b64 v[22:23], off, s32 offset:368 ; 8-byte Folded Reload
	s_wait_loadcnt 0x0
	v_pk_fma_f32 v[12:13], v[22:23], v[16:17], v[12:13]
	s_clause 0x1
	scratch_load_b64 v[16:17], off, s32 offset:376
	scratch_load_b64 v[22:23], off, s32 offset:504
	s_wait_loadcnt 0x1
	v_pk_fma_f32 v[10:11], v[16:17], v[10:11], v[12:13]
	scratch_load_b64 v[16:17], off, s32 offset:408 ; 8-byte Folded Reload
	v_and_b32_e32 v13, 0xffff0000, v3
	v_lshlrev_b32_e32 v12, 16, v3
	v_cvt_pk_bf16_f32 v3, v50, v51
	s_wait_loadcnt 0x0
	s_delay_alu instid0(VALU_DEP_2)
	v_pk_fma_f32 v[10:11], v[16:17], v[12:13], v[10:11]
	scratch_load_b64 v[16:17], off, s32 offset:440 ; 8-byte Folded Reload
	v_and_b32_e32 v13, 0xffff0000, v3
	v_lshlrev_b32_e32 v12, 16, v3
	v_cvt_pk_bf16_f32 v3, v66, v67
	s_wait_loadcnt 0x0
	s_delay_alu instid0(VALU_DEP_2)
	v_pk_fma_f32 v[10:11], v[16:17], v[12:13], v[10:11]
	scratch_load_b64 v[16:17], off, s32 offset:472 ; 8-byte Folded Reload
	v_and_b32_e32 v13, 0xffff0000, v3
	v_lshlrev_b32_e32 v12, 16, v3
	v_cvt_pk_bf16_f32 v3, v32, v33
	s_wait_loadcnt 0x0
	s_delay_alu instid0(VALU_DEP_2) | instskip(NEXT) | instid1(VALU_DEP_2)
	v_pk_fma_f32 v[10:11], v[16:17], v[12:13], v[10:11]
	v_and_b32_e32 v13, 0xffff0000, v3
	v_lshlrev_b32_e32 v12, 16, v3
	v_cvt_pk_bf16_f32 v16, v30, v31
	v_cvt_pk_bf16_f32 v3, v114, v115
	s_delay_alu instid0(VALU_DEP_3)
	v_pk_fma_f32 v[10:11], v[22:23], v[12:13], v[10:11]
	scratch_load_b64 v[22:23], off, s32 offset:592 ; 8-byte Folded Reload
	v_and_b32_e32 v13, 0xffff0000, v8
	v_dual_lshlrev_b32 v12, 16, v8 :: v_dual_add_f32 v8, v48, v49
	v_and_b32_e32 v17, 0xffff0000, v16
	v_lshlrev_b32_e32 v16, 16, v16
	v_and_b32_e32 v7, 0xffff0000, v3
	s_wait_loadcnt 0x0
	v_pk_fma_f32 v[12:13], v[22:23], v[12:13], v[14:15]
	scratch_load_b64 v[14:15], off, s32 offset:536 ; 8-byte Folded Reload
	s_wait_loadcnt 0x0
	v_pk_fma_f32 v[10:11], v[14:15], v[16:17], v[10:11]
	v_and_b32_e32 v15, 0xffff0000, v6
	v_dual_lshlrev_b32 v14, 16, v6 :: v_dual_lshlrev_b32 v6, 16, v3
	scratch_load_b64 v[16:17], off, s32 offset:568 ; 8-byte Folded Reload
	v_cvt_pk_bf16_f32 v3, v0, v1
	v_add_f32_e32 v8, v8, v26
	v_pk_fma_f32 v[0:1], v[4:5], v[14:15], v[12:13]
	s_clause 0x1
	scratch_load_b64 v[14:15], off, s32 offset:600
	scratch_load_b32 v12, off, s32 offset:632
	s_wait_loadcnt 0x2
	v_pk_fma_f32 v[10:11], v[16:17], v[18:19], v[10:11]
	s_wait_loadcnt 0x1
	s_delay_alu instid0(VALU_DEP_1) | instskip(SKIP_2) | instid1(VALU_DEP_2)
	v_pk_fma_f32 v[6:7], v[14:15], v[6:7], v[10:11]
	v_dual_lshlrev_b32 v10, 16, v3 :: v_dual_add_f32 v8, v27, v8
	v_and_b32_e32 v11, 0xffff0000, v3
	v_add_f32_e32 v0, v0, v8
	s_delay_alu instid0(VALU_DEP_2) | instskip(NEXT) | instid1(VALU_DEP_2)
	v_pk_fma_f32 v[6:7], v[120:121], v[10:11], v[6:7]
	v_add_f32_e32 v0, v1, v0
	scratch_load_b32 v1, off, s32 offset:212 ; 4-byte Folded Reload
	v_add_f32_e32 v0, v6, v0
	scratch_load_b32 v6, off, s32 offset:216 ; 4-byte Folded Reload
	s_wait_loadcnt 0x2
	v_add_nc_u32_e32 v12, v12, v2
	s_delay_alu instid0(VALU_DEP_1) | instskip(SKIP_1) | instid1(VALU_DEP_1)
	v_cvt_f32_i32_e32 v3, v12
	s_wait_loadcnt 0x1
	v_mul_f32_e32 v1, v1, v3
	scratch_load_b32 v3, off, s32 offset:316 ; 4-byte Folded Reload
	s_wait_loadcnt 0x0
	v_dual_cndmask_b32 v1, 0, v1, vcc_lo :: v_dual_add_nc_u32 v3, v3, v2
	v_add_f32_e32 v0, v7, v0
	s_delay_alu instid0(VALU_DEP_2) | instskip(SKIP_1) | instid1(VALU_DEP_2)
	v_cmp_lt_i32_e64 s1, v3, v60
	s_wait_kmcnt 0x0
	v_dual_add_nc_u32 v3, s16, v74 :: v_dual_fmac_f32 v1, v6, v0
	v_max_num_f32_e32 v0, v9, v9
	s_delay_alu instid0(VALU_DEP_1) | instskip(NEXT) | instid1(VALU_DEP_1)
	v_dual_max_num_f32 v0, v0, v1 :: v_dual_cndmask_b32 v1, 0, v1, s1
	v_cndmask_b32_e64 v9, v9, v0, s1
	ds_store_b32 v3, v1
.LBB347_14:                             ;   in Loop: Header=BB347_15 Depth=1
	s_wait_xcnt 0x0
	s_or_b32 exec_lo, exec_lo, s2
	scratch_load_b32 v0, off, s32 offset:192 ; 4-byte Folded Reload
	v_add_nc_u32_e32 v75, 4, v75
	v_add_nc_u64_e32 v[126:127], 16, v[126:127]
	v_add_nc_u32_e32 v2, 0x80, v2
	v_add_nc_u32_e32 v74, 0x200, v74
	s_wait_loadcnt 0x0
	v_cmp_ge_i32_e64 s1, v75, v0
	s_or_b32 s15, s1, s15
	s_wait_xcnt 0x0
	s_and_not1_b32 exec_lo, exec_lo, s15
	s_cbranch_execz .LBB347_783
.LBB347_15:                             ; =>This Inner Loop Header: Depth=1
	scratch_load_b64 v[0:1], off, s32 offset:196 ; 8-byte Folded Reload
	v_mov_b32_e32 v3, v39
	s_wait_loadcnt 0x0
	s_delay_alu instid0(VALU_DEP_1) | instskip(NEXT) | instid1(VALU_DEP_1)
	v_mul_u64_e32 v[0:1], v[2:3], v[0:1]
	v_mul_lo_u32 v0, v1, v61
	s_delay_alu instid0(VALU_DEP_1) | instskip(NEXT) | instid1(VALU_DEP_1)
	v_sub_nc_u32_e32 v0, v2, v0
	v_cmp_ge_u32_e64 s1, v0, v61
	v_sub_nc_u32_e32 v6, v0, v61
	s_delay_alu instid0(VALU_DEP_1) | instskip(NEXT) | instid1(VALU_DEP_1)
	v_dual_add_nc_u32 v3, 1, v1 :: v_dual_cndmask_b32 v0, v0, v6, s1
	v_cndmask_b32_e64 v1, v1, v3, s1
	s_delay_alu instid0(VALU_DEP_2) | instskip(NEXT) | instid1(VALU_DEP_2)
	v_cmp_ge_u32_e64 s1, v0, v61
	v_add_nc_u32_e32 v3, 1, v1
	s_delay_alu instid0(VALU_DEP_1) | instskip(NEXT) | instid1(VALU_DEP_1)
	v_cndmask_b32_e64 v0, v1, v3, s1
	v_xor_b32_e32 v0, v0, v63
	s_delay_alu instid0(VALU_DEP_1) | instskip(SKIP_3) | instid1(VALU_DEP_1)
	v_sub_nc_u32_e32 v3, v0, v63
	scratch_load_b32 v0, off, s32 offset:204 ; 4-byte Folded Reload
	s_wait_loadcnt 0x0
	v_add_nc_u32_e32 v6, v3, v0
	v_sub_nc_u32_e32 v0, 0, v6
	s_delay_alu instid0(VALU_DEP_1) | instskip(NEXT) | instid1(VALU_DEP_1)
	v_max_i32_e32 v38, v6, v0
	v_mul_u64_e32 v[0:1], v[38:39], v[124:125]
	s_delay_alu instid0(VALU_DEP_1) | instskip(NEXT) | instid1(VALU_DEP_1)
	v_mul_lo_u32 v0, v1, v25
	v_dual_sub_nc_u32 v0, v38, v0 :: v_dual_ashrrev_i32 v6, 31, v6
	s_delay_alu instid0(VALU_DEP_1) | instskip(SKIP_1) | instid1(VALU_DEP_1)
	v_sub_nc_u32_e32 v1, v0, v25
	v_cmp_ge_u32_e64 s1, v0, v25
	v_cndmask_b32_e64 v0, v0, v1, s1
	s_delay_alu instid0(VALU_DEP_1) | instskip(SKIP_1) | instid1(VALU_DEP_1)
	v_sub_nc_u32_e32 v1, v0, v25
	v_cmp_ge_u32_e64 s1, v0, v25
	v_cndmask_b32_e64 v0, v0, v1, s1
	s_delay_alu instid0(VALU_DEP_1) | instskip(NEXT) | instid1(VALU_DEP_1)
	v_xor_b32_e32 v0, v0, v6
	v_sub_nc_u32_e32 v0, v0, v6
	s_delay_alu instid0(VALU_DEP_1)
	v_cmp_ne_u32_e64 s1, 0, v0
	scratch_load_b32 v0, off, s32 offset:208 ; 4-byte Folded Reload
	s_wait_loadcnt 0x0
	v_cmp_le_i32_e64 s2, v3, v0
	s_and_b32 s1, s1, s2
	s_wait_xcnt 0x0
	s_and_saveexec_b32 s2, s1
	s_delay_alu instid0(SALU_CYCLE_1)
	s_xor_b32 s1, exec_lo, s2
	s_cbranch_execz .LBB347_17
; %bb.16:                               ;   in Loop: Header=BB347_15 Depth=1
	s_wait_kmcnt 0x0
	v_dual_mov_b32 v1, 0xff7fffff :: v_dual_add_nc_u32 v0, s14, v74
	ds_store_b32 v0, v1
.LBB347_17:                             ;   in Loop: Header=BB347_15 Depth=1
	s_and_not1_saveexec_b32 s2, s1
	s_cbranch_execz .LBB347_14
; %bb.18:                               ;   in Loop: Header=BB347_15 Depth=1
	flat_load_b32 v0, v[126:127]
	s_clause 0x1
	scratch_load_b64 v[6:7], off, s32 offset:268
	scratch_load_b64 v[10:11], off, s32 offset:624
	v_dual_mov_b32 v12, 0 :: v_dual_mov_b32 v3, 0
	s_mov_b32 s16, exec_lo
	s_wait_loadcnt_dscnt 0x0
	v_mad_nc_i64_i32 v[0:1], v0, v6, v[10:11]
	flat_load_b64 v[6:7], v[0:1]
	flat_load_b32 v8, v[20:21]
	s_wait_loadcnt_dscnt 0x101
	v_and_b32_e32 v10, 0xff, v6
	s_wait_xcnt 0x0
	s_delay_alu instid0(VALU_DEP_1)
	v_cmpx_ne_u16_e32 0, v10
	s_cbranch_execz .LBB347_26
; %bb.19:                               ;   in Loop: Header=BB347_15 Depth=1
	v_bfrev_b32_e32 v3, 1
	s_mov_b32 s17, exec_lo
	v_cmpx_ne_u16_e32 0x80, v10
	s_cbranch_execz .LBB347_25
; %bb.20:                               ;   in Loop: Header=BB347_15 Depth=1
	v_and_b32_e32 v10, 0x7f, v6
	v_mov_b32_e32 v3, 0x7f800001
	s_mov_b32 s18, exec_lo
	s_delay_alu instid0(VALU_DEP_2)
	v_cmpx_ne_u32_e32 0x7f, v10
	s_cbranch_execz .LBB347_24
; %bb.21:                               ;   in Loop: Header=BB347_15 Depth=1
	v_lshrrev_b32_e32 v3, 3, v10
	v_cmp_gt_u32_e64 s1, 8, v10
	v_mov_b64_e32 v[10:11], v[6:7]
	s_and_saveexec_b32 s19, s1
; %bb.22:                               ;   in Loop: Header=BB347_15 Depth=1
	v_and_b32_e32 v3, 7, v6
	s_delay_alu instid0(VALU_DEP_1) | instskip(NEXT) | instid1(VALU_DEP_1)
	v_clz_i32_u32_e32 v3, v3
	v_min_u32_e32 v3, 32, v3
	s_delay_alu instid0(VALU_DEP_1) | instskip(SKIP_1) | instid1(VALU_DEP_2)
	v_subrev_nc_u32_e32 v10, 28, v3
	v_sub_nc_u32_e32 v3, 29, v3
	v_lshlrev_b64_e32 v[10:11], v10, v[6:7]
; %bb.23:                               ;   in Loop: Header=BB347_15 Depth=1
	s_or_b32 exec_lo, exec_lo, s19
	s_delay_alu instid0(VALU_DEP_1) | instskip(SKIP_2) | instid1(VALU_DEP_3)
	v_lshlrev_b32_e32 v10, 20, v10
	v_lshlrev_b32_e32 v11, 24, v6
	v_lshl_add_u32 v3, v3, 23, 0x3c000000
	v_and_b32_e32 v10, 0x700000, v10
	s_delay_alu instid0(VALU_DEP_3) | instskip(NEXT) | instid1(VALU_DEP_1)
	v_and_b32_e32 v11, 0x80000000, v11
	v_or3_b32 v3, v10, v11, v3
.LBB347_24:                             ;   in Loop: Header=BB347_15 Depth=1
	s_or_b32 exec_lo, exec_lo, s18
.LBB347_25:                             ;   in Loop: Header=BB347_15 Depth=1
	s_delay_alu instid0(SALU_CYCLE_1)
	s_or_b32 exec_lo, exec_lo, s17
.LBB347_26:                             ;   in Loop: Header=BB347_15 Depth=1
	s_delay_alu instid0(SALU_CYCLE_1) | instskip(SKIP_2) | instid1(VALU_DEP_1)
	s_or_b32 exec_lo, exec_lo, s16
	v_lshrrev_b16 v10, 8, v6
	s_mov_b32 s16, exec_lo
	v_cmpx_ne_u16_e32 0, v10
	s_cbranch_execz .LBB347_34
; %bb.27:                               ;   in Loop: Header=BB347_15 Depth=1
	v_bfrev_b32_e32 v12, 1
	s_mov_b32 s17, exec_lo
	v_cmpx_ne_u16_e32 0x80, v10
	s_cbranch_execz .LBB347_33
; %bb.28:                               ;   in Loop: Header=BB347_15 Depth=1
	v_and_b32_e32 v10, 0xffff, v10
	v_mov_b32_e32 v12, 0x7f800001
	s_mov_b32 s18, exec_lo
	s_delay_alu instid0(VALU_DEP_2) | instskip(NEXT) | instid1(VALU_DEP_1)
	v_and_b32_e32 v11, 0x7f, v10
	v_cmpx_ne_u32_e32 0x7f, v11
	s_cbranch_execz .LBB347_32
; %bb.29:                               ;   in Loop: Header=BB347_15 Depth=1
	v_dual_lshrrev_b32 v10, 3, v11 :: v_dual_bitop2_b32 v38, 7, v10 bitop3:0x40
	s_mov_b32 s19, exec_lo
	v_cmpx_gt_u32_e32 8, v11
; %bb.30:                               ;   in Loop: Header=BB347_15 Depth=1
	s_delay_alu instid0(VALU_DEP_2) | instskip(NEXT) | instid1(VALU_DEP_1)
	v_clz_i32_u32_e32 v10, v38
	v_min_u32_e32 v10, 32, v10
	s_delay_alu instid0(VALU_DEP_1) | instskip(NEXT) | instid1(VALU_DEP_1)
	v_subrev_nc_u32_e32 v11, 28, v10
	v_lshlrev_b64_e32 v[12:13], v11, v[38:39]
	s_delay_alu instid0(VALU_DEP_1)
	v_dual_sub_nc_u32 v10, 29, v10 :: v_dual_bitop2_b32 v38, 7, v12 bitop3:0x40
; %bb.31:                               ;   in Loop: Header=BB347_15 Depth=1
	s_or_b32 exec_lo, exec_lo, s19
	v_lshlrev_b32_e32 v11, 16, v6
	s_delay_alu instid0(VALU_DEP_2) | instskip(NEXT) | instid1(VALU_DEP_3)
	v_lshlrev_b32_e32 v12, 20, v38
	v_lshl_add_u32 v10, v10, 23, 0x3c000000
	s_delay_alu instid0(VALU_DEP_3) | instskip(NEXT) | instid1(VALU_DEP_1)
	v_and_b32_e32 v11, 0x80000000, v11
	v_or3_b32 v12, v12, v11, v10
.LBB347_32:                             ;   in Loop: Header=BB347_15 Depth=1
	s_or_b32 exec_lo, exec_lo, s18
.LBB347_33:                             ;   in Loop: Header=BB347_15 Depth=1
	s_delay_alu instid0(SALU_CYCLE_1)
	s_or_b32 exec_lo, exec_lo, s17
.LBB347_34:                             ;   in Loop: Header=BB347_15 Depth=1
	s_delay_alu instid0(SALU_CYCLE_1) | instskip(SKIP_3) | instid1(VALU_DEP_2)
	s_or_b32 exec_lo, exec_lo, s16
	v_dual_lshrrev_b32 v10, 16, v6 :: v_dual_mov_b32 v76, 0
	v_mov_b32_e32 v13, 0
	s_mov_b32 s16, exec_lo
	v_and_b32_e32 v11, 0xff, v10
	s_delay_alu instid0(VALU_DEP_1)
	v_cmpx_ne_u16_e32 0, v11
	s_cbranch_execz .LBB347_42
; %bb.35:                               ;   in Loop: Header=BB347_15 Depth=1
	v_bfrev_b32_e32 v13, 1
	s_mov_b32 s17, exec_lo
	v_cmpx_ne_u16_e32 0x80, v11
	s_cbranch_execz .LBB347_41
; %bb.36:                               ;   in Loop: Header=BB347_15 Depth=1
	v_bfe_u32 v14, v6, 16, 7
	v_mov_b32_e32 v13, 0x7f800001
	s_mov_b32 s18, exec_lo
	s_delay_alu instid0(VALU_DEP_2)
	v_cmpx_ne_u32_e32 0x7f, v14
	s_cbranch_execz .LBB347_40
; %bb.37:                               ;   in Loop: Header=BB347_15 Depth=1
	v_and_b32_e32 v38, 7, v10
	v_lshrrev_b32_e32 v11, 3, v14
	s_mov_b32 s19, exec_lo
	v_cmpx_gt_u32_e32 8, v14
; %bb.38:                               ;   in Loop: Header=BB347_15 Depth=1
	s_delay_alu instid0(VALU_DEP_3) | instskip(NEXT) | instid1(VALU_DEP_1)
	v_clz_i32_u32_e32 v11, v38
	v_min_u32_e32 v11, 32, v11
	s_delay_alu instid0(VALU_DEP_1) | instskip(NEXT) | instid1(VALU_DEP_1)
	v_subrev_nc_u32_e32 v13, 28, v11
	v_lshlrev_b64_e32 v[14:15], v13, v[38:39]
	s_delay_alu instid0(VALU_DEP_1)
	v_dual_sub_nc_u32 v11, 29, v11 :: v_dual_bitop2_b32 v38, 7, v14 bitop3:0x40
; %bb.39:                               ;   in Loop: Header=BB347_15 Depth=1
	s_or_b32 exec_lo, exec_lo, s19
	v_lshlrev_b32_e32 v10, 24, v10
	s_delay_alu instid0(VALU_DEP_2) | instskip(NEXT) | instid1(VALU_DEP_3)
	v_lshlrev_b32_e32 v13, 20, v38
	v_lshl_add_u32 v11, v11, 23, 0x3c000000
	s_delay_alu instid0(VALU_DEP_3) | instskip(NEXT) | instid1(VALU_DEP_1)
	v_and_b32_e32 v10, 0x80000000, v10
	v_or3_b32 v13, v13, v10, v11
.LBB347_40:                             ;   in Loop: Header=BB347_15 Depth=1
	s_or_b32 exec_lo, exec_lo, s18
.LBB347_41:                             ;   in Loop: Header=BB347_15 Depth=1
	s_delay_alu instid0(SALU_CYCLE_1)
	s_or_b32 exec_lo, exec_lo, s17
.LBB347_42:                             ;   in Loop: Header=BB347_15 Depth=1
	s_delay_alu instid0(SALU_CYCLE_1) | instskip(NEXT) | instid1(SALU_CYCLE_1)
	s_or_b32 exec_lo, exec_lo, s16
	s_mov_b32 s16, exec_lo
	v_cmpx_lt_u32_e32 0xffffff, v6
	s_cbranch_execz .LBB347_50
; %bb.43:                               ;   in Loop: Header=BB347_15 Depth=1
	v_lshrrev_b32_e32 v10, 24, v6
	v_bfrev_b32_e32 v76, 1
	s_mov_b32 s17, exec_lo
	s_delay_alu instid0(VALU_DEP_2)
	v_cmpx_ne_u32_e32 0x80, v10
	s_cbranch_execz .LBB347_49
; %bb.44:                               ;   in Loop: Header=BB347_15 Depth=1
	v_bfe_u32 v14, v6, 24, 7
	v_mov_b32_e32 v76, 0x7f800001
	s_mov_b32 s18, exec_lo
	s_delay_alu instid0(VALU_DEP_2)
	v_cmpx_ne_u32_e32 0x7f, v14
	s_cbranch_execz .LBB347_48
; %bb.45:                               ;   in Loop: Header=BB347_15 Depth=1
	v_and_b32_e32 v38, 7, v10
	v_lshrrev_b32_e32 v11, 3, v14
	s_mov_b32 s19, exec_lo
	v_cmpx_gt_u32_e32 8, v14
; %bb.46:                               ;   in Loop: Header=BB347_15 Depth=1
	s_delay_alu instid0(VALU_DEP_3) | instskip(NEXT) | instid1(VALU_DEP_1)
	v_clz_i32_u32_e32 v11, v38
	v_min_u32_e32 v11, 32, v11
	s_delay_alu instid0(VALU_DEP_1) | instskip(NEXT) | instid1(VALU_DEP_1)
	v_subrev_nc_u32_e32 v14, 28, v11
	v_lshlrev_b64_e32 v[14:15], v14, v[38:39]
	s_delay_alu instid0(VALU_DEP_1)
	v_dual_sub_nc_u32 v11, 29, v11 :: v_dual_bitop2_b32 v38, 7, v14 bitop3:0x40
; %bb.47:                               ;   in Loop: Header=BB347_15 Depth=1
	s_or_b32 exec_lo, exec_lo, s19
	v_lshlrev_b32_e32 v10, 24, v10
	s_delay_alu instid0(VALU_DEP_2) | instskip(NEXT) | instid1(VALU_DEP_3)
	v_lshlrev_b32_e32 v14, 20, v38
	v_lshl_add_u32 v11, v11, 23, 0x3c000000
	s_delay_alu instid0(VALU_DEP_3) | instskip(NEXT) | instid1(VALU_DEP_1)
	v_and_b32_e32 v10, 0x80000000, v10
	v_or3_b32 v76, v14, v10, v11
.LBB347_48:                             ;   in Loop: Header=BB347_15 Depth=1
	s_or_b32 exec_lo, exec_lo, s18
.LBB347_49:                             ;   in Loop: Header=BB347_15 Depth=1
	s_delay_alu instid0(SALU_CYCLE_1)
	s_or_b32 exec_lo, exec_lo, s17
.LBB347_50:                             ;   in Loop: Header=BB347_15 Depth=1
	s_delay_alu instid0(SALU_CYCLE_1) | instskip(SKIP_4) | instid1(VALU_DEP_3)
	s_or_b32 exec_lo, exec_lo, s16
	v_and_b32_e32 v10, 0xff, v7
	v_dual_mov_b32 v38, v7 :: v_dual_mov_b32 v14, 0
	v_mov_b32_e32 v77, 0
	s_mov_b32 s16, exec_lo
	v_cmpx_ne_u16_e32 0, v10
	s_cbranch_execz .LBB347_58
; %bb.51:                               ;   in Loop: Header=BB347_15 Depth=1
	v_bfrev_b32_e32 v77, 1
	s_mov_b32 s17, exec_lo
	v_cmpx_ne_u16_e32 0x80, v10
	s_cbranch_execz .LBB347_57
; %bb.52:                               ;   in Loop: Header=BB347_15 Depth=1
	v_and_b32_e32 v10, 0x7f, v7
	v_mov_b32_e32 v77, 0x7f800001
	s_mov_b32 s18, exec_lo
	s_delay_alu instid0(VALU_DEP_2)
	v_cmpx_ne_u32_e32 0x7f, v10
	s_cbranch_execz .LBB347_56
; %bb.53:                               ;   in Loop: Header=BB347_15 Depth=1
	v_lshrrev_b32_e32 v15, 3, v10
	v_cmp_gt_u32_e64 s1, 8, v10
	v_mov_b64_e32 v[10:11], v[38:39]
	s_and_saveexec_b32 s19, s1
; %bb.54:                               ;   in Loop: Header=BB347_15 Depth=1
	v_and_b32_e32 v10, 7, v7
	s_delay_alu instid0(VALU_DEP_1) | instskip(NEXT) | instid1(VALU_DEP_1)
	v_clz_i32_u32_e32 v10, v10
	v_min_u32_e32 v15, 32, v10
	s_delay_alu instid0(VALU_DEP_1) | instskip(SKIP_1) | instid1(VALU_DEP_2)
	v_subrev_nc_u32_e32 v10, 28, v15
	v_sub_nc_u32_e32 v15, 29, v15
	v_lshlrev_b64_e32 v[10:11], v10, v[38:39]
; %bb.55:                               ;   in Loop: Header=BB347_15 Depth=1
	s_or_b32 exec_lo, exec_lo, s19
	s_delay_alu instid0(VALU_DEP_1) | instskip(SKIP_2) | instid1(VALU_DEP_3)
	v_lshlrev_b32_e32 v10, 20, v10
	v_lshlrev_b32_e32 v11, 24, v38
	v_lshl_add_u32 v15, v15, 23, 0x3c000000
	v_and_b32_e32 v10, 0x700000, v10
	s_delay_alu instid0(VALU_DEP_3) | instskip(NEXT) | instid1(VALU_DEP_1)
	v_and_b32_e32 v11, 0x80000000, v11
	v_or3_b32 v77, v10, v11, v15
.LBB347_56:                             ;   in Loop: Header=BB347_15 Depth=1
	s_or_b32 exec_lo, exec_lo, s18
.LBB347_57:                             ;   in Loop: Header=BB347_15 Depth=1
	s_delay_alu instid0(SALU_CYCLE_1)
	s_or_b32 exec_lo, exec_lo, s17
.LBB347_58:                             ;   in Loop: Header=BB347_15 Depth=1
	s_delay_alu instid0(SALU_CYCLE_1) | instskip(SKIP_2) | instid1(VALU_DEP_1)
	s_or_b32 exec_lo, exec_lo, s16
	v_lshrrev_b16 v10, 8, v38
	s_mov_b32 s16, exec_lo
	v_cmpx_ne_u16_e32 0, v10
	s_cbranch_execz .LBB347_66
; %bb.59:                               ;   in Loop: Header=BB347_15 Depth=1
	v_bfrev_b32_e32 v14, 1
	s_mov_b32 s17, exec_lo
	v_cmpx_ne_u16_e32 0x80, v10
	s_cbranch_execz .LBB347_65
; %bb.60:                               ;   in Loop: Header=BB347_15 Depth=1
	v_and_b32_e32 v10, 0xffff, v10
	v_mov_b32_e32 v14, 0x7f800001
	s_mov_b32 s18, exec_lo
	s_delay_alu instid0(VALU_DEP_2) | instskip(NEXT) | instid1(VALU_DEP_1)
	v_and_b32_e32 v15, 0x7f, v10
	v_cmpx_ne_u32_e32 0x7f, v15
	s_cbranch_execz .LBB347_64
; %bb.61:                               ;   in Loop: Header=BB347_15 Depth=1
	v_dual_mov_b32 v11, v39 :: v_dual_bitop2_b32 v10, 7, v10 bitop3:0x40
	v_lshrrev_b32_e32 v14, 3, v15
	s_mov_b32 s19, exec_lo
	v_cmpx_gt_u32_e32 8, v15
; %bb.62:                               ;   in Loop: Header=BB347_15 Depth=1
	s_delay_alu instid0(VALU_DEP_3) | instskip(NEXT) | instid1(VALU_DEP_1)
	v_clz_i32_u32_e32 v14, v10
	v_min_u32_e32 v14, 32, v14
	s_delay_alu instid0(VALU_DEP_1) | instskip(SKIP_1) | instid1(VALU_DEP_2)
	v_subrev_nc_u32_e32 v15, 28, v14
	v_sub_nc_u32_e32 v14, 29, v14
	v_lshlrev_b64_e32 v[10:11], v15, v[10:11]
	s_delay_alu instid0(VALU_DEP_1)
	v_and_b32_e32 v10, 7, v10
; %bb.63:                               ;   in Loop: Header=BB347_15 Depth=1
	s_or_b32 exec_lo, exec_lo, s19
	v_lshlrev_b32_e32 v11, 16, v38
	s_delay_alu instid0(VALU_DEP_2) | instskip(SKIP_1) | instid1(VALU_DEP_3)
	v_lshlrev_b32_e32 v10, 20, v10
	v_lshl_add_u32 v14, v14, 23, 0x3c000000
	v_and_b32_e32 v11, 0x80000000, v11
	s_delay_alu instid0(VALU_DEP_1)
	v_or3_b32 v14, v10, v11, v14
.LBB347_64:                             ;   in Loop: Header=BB347_15 Depth=1
	s_or_b32 exec_lo, exec_lo, s18
.LBB347_65:                             ;   in Loop: Header=BB347_15 Depth=1
	s_delay_alu instid0(SALU_CYCLE_1)
	s_or_b32 exec_lo, exec_lo, s17
.LBB347_66:                             ;   in Loop: Header=BB347_15 Depth=1
	s_delay_alu instid0(SALU_CYCLE_1) | instskip(SKIP_3) | instid1(VALU_DEP_2)
	s_or_b32 exec_lo, exec_lo, s16
	v_dual_mov_b32 v15, 0 :: v_dual_lshrrev_b32 v10, 16, v7
	v_mov_b32_e32 v78, 0
	s_mov_b32 s16, exec_lo
	v_and_b32_e32 v11, 0xff, v10
	s_delay_alu instid0(VALU_DEP_1)
	v_cmpx_ne_u16_e32 0, v11
	s_cbranch_execz .LBB347_74
; %bb.67:                               ;   in Loop: Header=BB347_15 Depth=1
	v_bfrev_b32_e32 v78, 1
	s_mov_b32 s17, exec_lo
	v_cmpx_ne_u16_e32 0x80, v11
	s_cbranch_execz .LBB347_73
; %bb.68:                               ;   in Loop: Header=BB347_15 Depth=1
	v_bfe_u32 v16, v7, 16, 7
	v_mov_b32_e32 v78, 0x7f800001
	s_mov_b32 s18, exec_lo
	s_delay_alu instid0(VALU_DEP_2)
	v_cmpx_ne_u32_e32 0x7f, v16
	s_cbranch_execz .LBB347_72
; %bb.69:                               ;   in Loop: Header=BB347_15 Depth=1
	v_dual_lshrrev_b32 v11, 3, v16 :: v_dual_bitop2_b32 v38, 7, v10 bitop3:0x40
	s_mov_b32 s19, exec_lo
	v_cmpx_gt_u32_e32 8, v16
; %bb.70:                               ;   in Loop: Header=BB347_15 Depth=1
	s_delay_alu instid0(VALU_DEP_2) | instskip(NEXT) | instid1(VALU_DEP_1)
	v_clz_i32_u32_e32 v11, v38
	v_min_u32_e32 v11, 32, v11
	s_delay_alu instid0(VALU_DEP_1) | instskip(NEXT) | instid1(VALU_DEP_1)
	v_subrev_nc_u32_e32 v16, 28, v11
	v_lshlrev_b64_e32 v[16:17], v16, v[38:39]
	s_delay_alu instid0(VALU_DEP_1)
	v_dual_sub_nc_u32 v11, 29, v11 :: v_dual_bitop2_b32 v38, 7, v16 bitop3:0x40
; %bb.71:                               ;   in Loop: Header=BB347_15 Depth=1
	s_or_b32 exec_lo, exec_lo, s19
	v_lshlrev_b32_e32 v10, 24, v10
	s_delay_alu instid0(VALU_DEP_2) | instskip(NEXT) | instid1(VALU_DEP_3)
	v_lshlrev_b32_e32 v16, 20, v38
	v_lshl_add_u32 v11, v11, 23, 0x3c000000
	s_delay_alu instid0(VALU_DEP_3) | instskip(NEXT) | instid1(VALU_DEP_1)
	v_and_b32_e32 v10, 0x80000000, v10
	v_or3_b32 v78, v16, v10, v11
.LBB347_72:                             ;   in Loop: Header=BB347_15 Depth=1
	s_or_b32 exec_lo, exec_lo, s18
.LBB347_73:                             ;   in Loop: Header=BB347_15 Depth=1
	s_delay_alu instid0(SALU_CYCLE_1)
	s_or_b32 exec_lo, exec_lo, s17
.LBB347_74:                             ;   in Loop: Header=BB347_15 Depth=1
	s_delay_alu instid0(SALU_CYCLE_1) | instskip(NEXT) | instid1(SALU_CYCLE_1)
	s_or_b32 exec_lo, exec_lo, s16
	s_mov_b32 s16, exec_lo
	v_cmpx_lt_u64_e64 s[8:9], v[6:7]
	s_cbranch_execz .LBB347_82
; %bb.75:                               ;   in Loop: Header=BB347_15 Depth=1
	v_lshrrev_b32_e32 v6, 24, v7
	v_bfrev_b32_e32 v15, 1
	s_mov_b32 s17, exec_lo
	s_delay_alu instid0(VALU_DEP_2)
	v_cmpx_ne_u32_e32 0x80, v6
	s_cbranch_execz .LBB347_81
; %bb.76:                               ;   in Loop: Header=BB347_15 Depth=1
	v_bfe_u32 v10, v7, 24, 7
	v_mov_b32_e32 v15, 0x7f800001
	s_mov_b32 s18, exec_lo
	s_delay_alu instid0(VALU_DEP_2)
	v_cmpx_ne_u32_e32 0x7f, v10
	s_cbranch_execz .LBB347_80
; %bb.77:                               ;   in Loop: Header=BB347_15 Depth=1
	v_and_b32_e32 v38, 7, v6
	v_lshrrev_b32_e32 v7, 3, v10
	s_mov_b32 s19, exec_lo
	v_cmpx_gt_u32_e32 8, v10
; %bb.78:                               ;   in Loop: Header=BB347_15 Depth=1
	s_delay_alu instid0(VALU_DEP_3) | instskip(NEXT) | instid1(VALU_DEP_1)
	v_clz_i32_u32_e32 v7, v38
	v_min_u32_e32 v7, 32, v7
	s_delay_alu instid0(VALU_DEP_1) | instskip(NEXT) | instid1(VALU_DEP_1)
	v_subrev_nc_u32_e32 v10, 28, v7
	v_lshlrev_b64_e32 v[10:11], v10, v[38:39]
	s_delay_alu instid0(VALU_DEP_1)
	v_dual_sub_nc_u32 v7, 29, v7 :: v_dual_bitop2_b32 v38, 7, v10 bitop3:0x40
; %bb.79:                               ;   in Loop: Header=BB347_15 Depth=1
	s_or_b32 exec_lo, exec_lo, s19
	v_lshlrev_b32_e32 v6, 24, v6
	s_delay_alu instid0(VALU_DEP_2) | instskip(NEXT) | instid1(VALU_DEP_3)
	v_lshlrev_b32_e32 v10, 20, v38
	v_lshl_add_u32 v7, v7, 23, 0x3c000000
	s_delay_alu instid0(VALU_DEP_3) | instskip(NEXT) | instid1(VALU_DEP_1)
	v_and_b32_e32 v6, 0x80000000, v6
	v_or3_b32 v15, v10, v6, v7
.LBB347_80:                             ;   in Loop: Header=BB347_15 Depth=1
	s_or_b32 exec_lo, exec_lo, s18
.LBB347_81:                             ;   in Loop: Header=BB347_15 Depth=1
	s_delay_alu instid0(SALU_CYCLE_1)
	s_or_b32 exec_lo, exec_lo, s17
.LBB347_82:                             ;   in Loop: Header=BB347_15 Depth=1
	s_delay_alu instid0(SALU_CYCLE_1)
	s_or_b32 exec_lo, exec_lo, s16
	flat_load_b64 v[6:7], v[0:1] offset:8
	v_dual_mov_b32 v88, 0 :: v_dual_mov_b32 v79, 0
	s_mov_b32 s16, exec_lo
	s_wait_loadcnt_dscnt 0x0
	v_and_b32_e32 v10, 0xff, v6
	s_wait_xcnt 0x0
	s_delay_alu instid0(VALU_DEP_1)
	v_cmpx_ne_u16_e32 0, v10
	s_cbranch_execz .LBB347_90
; %bb.83:                               ;   in Loop: Header=BB347_15 Depth=1
	v_bfrev_b32_e32 v79, 1
	s_mov_b32 s17, exec_lo
	v_cmpx_ne_u16_e32 0x80, v10
	s_cbranch_execz .LBB347_89
; %bb.84:                               ;   in Loop: Header=BB347_15 Depth=1
	v_and_b32_e32 v10, 0x7f, v6
	v_mov_b32_e32 v79, 0x7f800001
	s_mov_b32 s18, exec_lo
	s_delay_alu instid0(VALU_DEP_2)
	v_cmpx_ne_u32_e32 0x7f, v10
	s_cbranch_execz .LBB347_88
; %bb.85:                               ;   in Loop: Header=BB347_15 Depth=1
	v_lshrrev_b32_e32 v16, 3, v10
	v_cmp_gt_u32_e64 s1, 8, v10
	v_mov_b64_e32 v[10:11], v[6:7]
	s_and_saveexec_b32 s19, s1
; %bb.86:                               ;   in Loop: Header=BB347_15 Depth=1
	v_and_b32_e32 v10, 7, v6
	s_delay_alu instid0(VALU_DEP_1) | instskip(NEXT) | instid1(VALU_DEP_1)
	v_clz_i32_u32_e32 v10, v10
	v_min_u32_e32 v16, 32, v10
	s_delay_alu instid0(VALU_DEP_1) | instskip(SKIP_1) | instid1(VALU_DEP_2)
	v_subrev_nc_u32_e32 v10, 28, v16
	v_sub_nc_u32_e32 v16, 29, v16
	v_lshlrev_b64_e32 v[10:11], v10, v[6:7]
; %bb.87:                               ;   in Loop: Header=BB347_15 Depth=1
	s_or_b32 exec_lo, exec_lo, s19
	s_delay_alu instid0(VALU_DEP_1) | instskip(SKIP_2) | instid1(VALU_DEP_3)
	v_lshlrev_b32_e32 v10, 20, v10
	v_lshlrev_b32_e32 v11, 24, v6
	v_lshl_add_u32 v16, v16, 23, 0x3c000000
	v_and_b32_e32 v10, 0x700000, v10
	s_delay_alu instid0(VALU_DEP_3) | instskip(NEXT) | instid1(VALU_DEP_1)
	v_and_b32_e32 v11, 0x80000000, v11
	v_or3_b32 v79, v10, v11, v16
.LBB347_88:                             ;   in Loop: Header=BB347_15 Depth=1
	s_or_b32 exec_lo, exec_lo, s18
.LBB347_89:                             ;   in Loop: Header=BB347_15 Depth=1
	s_delay_alu instid0(SALU_CYCLE_1)
	s_or_b32 exec_lo, exec_lo, s17
.LBB347_90:                             ;   in Loop: Header=BB347_15 Depth=1
	s_delay_alu instid0(SALU_CYCLE_1) | instskip(SKIP_2) | instid1(VALU_DEP_1)
	s_or_b32 exec_lo, exec_lo, s16
	v_lshrrev_b16 v10, 8, v6
	s_mov_b32 s16, exec_lo
	v_cmpx_ne_u16_e32 0, v10
	s_cbranch_execz .LBB347_98
; %bb.91:                               ;   in Loop: Header=BB347_15 Depth=1
	v_bfrev_b32_e32 v88, 1
	s_mov_b32 s17, exec_lo
	v_cmpx_ne_u16_e32 0x80, v10
	s_cbranch_execz .LBB347_97
; %bb.92:                               ;   in Loop: Header=BB347_15 Depth=1
	v_and_b32_e32 v10, 0xffff, v10
	v_mov_b32_e32 v88, 0x7f800001
	s_mov_b32 s18, exec_lo
	s_delay_alu instid0(VALU_DEP_2) | instskip(NEXT) | instid1(VALU_DEP_1)
	v_and_b32_e32 v11, 0x7f, v10
	v_cmpx_ne_u32_e32 0x7f, v11
	s_cbranch_execz .LBB347_96
; %bb.93:                               ;   in Loop: Header=BB347_15 Depth=1
	v_dual_lshrrev_b32 v10, 3, v11 :: v_dual_bitop2_b32 v38, 7, v10 bitop3:0x40
	s_mov_b32 s19, exec_lo
	v_cmpx_gt_u32_e32 8, v11
; %bb.94:                               ;   in Loop: Header=BB347_15 Depth=1
	s_delay_alu instid0(VALU_DEP_2) | instskip(NEXT) | instid1(VALU_DEP_1)
	v_clz_i32_u32_e32 v10, v38
	v_min_u32_e32 v10, 32, v10
	s_delay_alu instid0(VALU_DEP_1) | instskip(NEXT) | instid1(VALU_DEP_1)
	v_subrev_nc_u32_e32 v11, 28, v10
	v_lshlrev_b64_e32 v[16:17], v11, v[38:39]
	s_delay_alu instid0(VALU_DEP_1)
	v_dual_sub_nc_u32 v10, 29, v10 :: v_dual_bitop2_b32 v38, 7, v16 bitop3:0x40
; %bb.95:                               ;   in Loop: Header=BB347_15 Depth=1
	s_or_b32 exec_lo, exec_lo, s19
	v_lshlrev_b32_e32 v11, 16, v6
	s_delay_alu instid0(VALU_DEP_2) | instskip(NEXT) | instid1(VALU_DEP_3)
	v_lshlrev_b32_e32 v16, 20, v38
	v_lshl_add_u32 v10, v10, 23, 0x3c000000
	s_delay_alu instid0(VALU_DEP_3) | instskip(NEXT) | instid1(VALU_DEP_1)
	v_and_b32_e32 v11, 0x80000000, v11
	v_or3_b32 v88, v16, v11, v10
.LBB347_96:                             ;   in Loop: Header=BB347_15 Depth=1
	s_or_b32 exec_lo, exec_lo, s18
.LBB347_97:                             ;   in Loop: Header=BB347_15 Depth=1
	s_delay_alu instid0(SALU_CYCLE_1)
	s_or_b32 exec_lo, exec_lo, s17
.LBB347_98:                             ;   in Loop: Header=BB347_15 Depth=1
	s_delay_alu instid0(SALU_CYCLE_1) | instskip(SKIP_3) | instid1(VALU_DEP_2)
	s_or_b32 exec_lo, exec_lo, s16
	v_dual_lshrrev_b32 v10, 16, v6 :: v_dual_mov_b32 v90, 0
	v_mov_b32_e32 v89, 0
	s_mov_b32 s16, exec_lo
	v_and_b32_e32 v11, 0xff, v10
	s_delay_alu instid0(VALU_DEP_1)
	v_cmpx_ne_u16_e32 0, v11
	s_cbranch_execz .LBB347_106
; %bb.99:                               ;   in Loop: Header=BB347_15 Depth=1
	v_bfrev_b32_e32 v89, 1
	s_mov_b32 s17, exec_lo
	v_cmpx_ne_u16_e32 0x80, v11
	s_cbranch_execz .LBB347_105
; %bb.100:                              ;   in Loop: Header=BB347_15 Depth=1
	v_bfe_u32 v16, v6, 16, 7
	v_mov_b32_e32 v89, 0x7f800001
	s_mov_b32 s18, exec_lo
	s_delay_alu instid0(VALU_DEP_2)
	v_cmpx_ne_u32_e32 0x7f, v16
	s_cbranch_execz .LBB347_104
; %bb.101:                              ;   in Loop: Header=BB347_15 Depth=1
	v_dual_lshrrev_b32 v11, 3, v16 :: v_dual_bitop2_b32 v38, 7, v10 bitop3:0x40
	s_mov_b32 s19, exec_lo
	v_cmpx_gt_u32_e32 8, v16
; %bb.102:                              ;   in Loop: Header=BB347_15 Depth=1
	s_delay_alu instid0(VALU_DEP_2) | instskip(NEXT) | instid1(VALU_DEP_1)
	v_clz_i32_u32_e32 v11, v38
	v_min_u32_e32 v11, 32, v11
	s_delay_alu instid0(VALU_DEP_1) | instskip(NEXT) | instid1(VALU_DEP_1)
	v_subrev_nc_u32_e32 v16, 28, v11
	v_lshlrev_b64_e32 v[16:17], v16, v[38:39]
	s_delay_alu instid0(VALU_DEP_1)
	v_dual_sub_nc_u32 v11, 29, v11 :: v_dual_bitop2_b32 v38, 7, v16 bitop3:0x40
; %bb.103:                              ;   in Loop: Header=BB347_15 Depth=1
	s_or_b32 exec_lo, exec_lo, s19
	v_lshlrev_b32_e32 v10, 24, v10
	s_delay_alu instid0(VALU_DEP_2) | instskip(NEXT) | instid1(VALU_DEP_3)
	v_lshlrev_b32_e32 v16, 20, v38
	v_lshl_add_u32 v11, v11, 23, 0x3c000000
	s_delay_alu instid0(VALU_DEP_3) | instskip(NEXT) | instid1(VALU_DEP_1)
	v_and_b32_e32 v10, 0x80000000, v10
	v_or3_b32 v89, v16, v10, v11
.LBB347_104:                            ;   in Loop: Header=BB347_15 Depth=1
	s_or_b32 exec_lo, exec_lo, s18
.LBB347_105:                            ;   in Loop: Header=BB347_15 Depth=1
	s_delay_alu instid0(SALU_CYCLE_1)
	s_or_b32 exec_lo, exec_lo, s17
.LBB347_106:                            ;   in Loop: Header=BB347_15 Depth=1
	s_delay_alu instid0(SALU_CYCLE_1) | instskip(NEXT) | instid1(SALU_CYCLE_1)
	s_or_b32 exec_lo, exec_lo, s16
	s_mov_b32 s16, exec_lo
	v_cmpx_lt_u32_e32 0xffffff, v6
	s_cbranch_execz .LBB347_114
; %bb.107:                              ;   in Loop: Header=BB347_15 Depth=1
	v_lshrrev_b32_e32 v10, 24, v6
	v_bfrev_b32_e32 v90, 1
	s_mov_b32 s17, exec_lo
	s_delay_alu instid0(VALU_DEP_2)
	v_cmpx_ne_u32_e32 0x80, v10
	s_cbranch_execz .LBB347_113
; %bb.108:                              ;   in Loop: Header=BB347_15 Depth=1
	v_bfe_u32 v16, v6, 24, 7
	v_mov_b32_e32 v90, 0x7f800001
	s_mov_b32 s18, exec_lo
	s_delay_alu instid0(VALU_DEP_2)
	v_cmpx_ne_u32_e32 0x7f, v16
	s_cbranch_execz .LBB347_112
; %bb.109:                              ;   in Loop: Header=BB347_15 Depth=1
	v_dual_lshrrev_b32 v11, 3, v16 :: v_dual_bitop2_b32 v38, 7, v10 bitop3:0x40
	s_mov_b32 s19, exec_lo
	v_cmpx_gt_u32_e32 8, v16
; %bb.110:                              ;   in Loop: Header=BB347_15 Depth=1
	s_delay_alu instid0(VALU_DEP_2) | instskip(NEXT) | instid1(VALU_DEP_1)
	v_clz_i32_u32_e32 v11, v38
	v_min_u32_e32 v11, 32, v11
	s_delay_alu instid0(VALU_DEP_1) | instskip(NEXT) | instid1(VALU_DEP_1)
	v_subrev_nc_u32_e32 v16, 28, v11
	v_lshlrev_b64_e32 v[16:17], v16, v[38:39]
	s_delay_alu instid0(VALU_DEP_1)
	v_dual_sub_nc_u32 v11, 29, v11 :: v_dual_bitop2_b32 v38, 7, v16 bitop3:0x40
; %bb.111:                              ;   in Loop: Header=BB347_15 Depth=1
	s_or_b32 exec_lo, exec_lo, s19
	v_lshlrev_b32_e32 v10, 24, v10
	s_delay_alu instid0(VALU_DEP_2) | instskip(NEXT) | instid1(VALU_DEP_3)
	v_lshlrev_b32_e32 v16, 20, v38
	v_lshl_add_u32 v11, v11, 23, 0x3c000000
	s_delay_alu instid0(VALU_DEP_3) | instskip(NEXT) | instid1(VALU_DEP_1)
	v_and_b32_e32 v10, 0x80000000, v10
	v_or3_b32 v90, v16, v10, v11
.LBB347_112:                            ;   in Loop: Header=BB347_15 Depth=1
	s_or_b32 exec_lo, exec_lo, s18
.LBB347_113:                            ;   in Loop: Header=BB347_15 Depth=1
	s_delay_alu instid0(SALU_CYCLE_1)
	s_or_b32 exec_lo, exec_lo, s17
.LBB347_114:                            ;   in Loop: Header=BB347_15 Depth=1
	s_delay_alu instid0(SALU_CYCLE_1) | instskip(SKIP_4) | instid1(VALU_DEP_3)
	s_or_b32 exec_lo, exec_lo, s16
	v_and_b32_e32 v10, 0xff, v7
	v_dual_mov_b32 v38, v7 :: v_dual_mov_b32 v92, 0
	v_mov_b32_e32 v91, 0
	s_mov_b32 s16, exec_lo
	v_cmpx_ne_u16_e32 0, v10
	s_cbranch_execz .LBB347_122
; %bb.115:                              ;   in Loop: Header=BB347_15 Depth=1
	v_bfrev_b32_e32 v91, 1
	s_mov_b32 s17, exec_lo
	v_cmpx_ne_u16_e32 0x80, v10
	s_cbranch_execz .LBB347_121
; %bb.116:                              ;   in Loop: Header=BB347_15 Depth=1
	v_and_b32_e32 v10, 0x7f, v7
	v_mov_b32_e32 v91, 0x7f800001
	s_mov_b32 s18, exec_lo
	s_delay_alu instid0(VALU_DEP_2)
	v_cmpx_ne_u32_e32 0x7f, v10
	s_cbranch_execz .LBB347_120
; %bb.117:                              ;   in Loop: Header=BB347_15 Depth=1
	v_lshrrev_b32_e32 v16, 3, v10
	v_cmp_gt_u32_e64 s1, 8, v10
	v_mov_b64_e32 v[10:11], v[38:39]
	s_and_saveexec_b32 s19, s1
; %bb.118:                              ;   in Loop: Header=BB347_15 Depth=1
	v_and_b32_e32 v10, 7, v7
	s_delay_alu instid0(VALU_DEP_1) | instskip(NEXT) | instid1(VALU_DEP_1)
	v_clz_i32_u32_e32 v10, v10
	v_min_u32_e32 v16, 32, v10
	s_delay_alu instid0(VALU_DEP_1) | instskip(SKIP_1) | instid1(VALU_DEP_2)
	v_subrev_nc_u32_e32 v10, 28, v16
	v_sub_nc_u32_e32 v16, 29, v16
	v_lshlrev_b64_e32 v[10:11], v10, v[38:39]
; %bb.119:                              ;   in Loop: Header=BB347_15 Depth=1
	s_or_b32 exec_lo, exec_lo, s19
	s_delay_alu instid0(VALU_DEP_1) | instskip(SKIP_2) | instid1(VALU_DEP_3)
	v_lshlrev_b32_e32 v10, 20, v10
	v_lshlrev_b32_e32 v11, 24, v38
	v_lshl_add_u32 v16, v16, 23, 0x3c000000
	v_and_b32_e32 v10, 0x700000, v10
	s_delay_alu instid0(VALU_DEP_3) | instskip(NEXT) | instid1(VALU_DEP_1)
	v_and_b32_e32 v11, 0x80000000, v11
	v_or3_b32 v91, v10, v11, v16
.LBB347_120:                            ;   in Loop: Header=BB347_15 Depth=1
	s_or_b32 exec_lo, exec_lo, s18
.LBB347_121:                            ;   in Loop: Header=BB347_15 Depth=1
	s_delay_alu instid0(SALU_CYCLE_1)
	s_or_b32 exec_lo, exec_lo, s17
.LBB347_122:                            ;   in Loop: Header=BB347_15 Depth=1
	s_delay_alu instid0(SALU_CYCLE_1) | instskip(SKIP_2) | instid1(VALU_DEP_1)
	s_or_b32 exec_lo, exec_lo, s16
	v_lshrrev_b16 v10, 8, v38
	s_mov_b32 s16, exec_lo
	v_cmpx_ne_u16_e32 0, v10
	s_cbranch_execz .LBB347_130
; %bb.123:                              ;   in Loop: Header=BB347_15 Depth=1
	v_bfrev_b32_e32 v92, 1
	s_mov_b32 s17, exec_lo
	v_cmpx_ne_u16_e32 0x80, v10
	s_cbranch_execz .LBB347_129
; %bb.124:                              ;   in Loop: Header=BB347_15 Depth=1
	v_and_b32_e32 v10, 0xffff, v10
	v_mov_b32_e32 v92, 0x7f800001
	s_mov_b32 s18, exec_lo
	s_delay_alu instid0(VALU_DEP_2) | instskip(NEXT) | instid1(VALU_DEP_1)
	v_and_b32_e32 v17, 0x7f, v10
	v_cmpx_ne_u32_e32 0x7f, v17
	s_cbranch_execz .LBB347_128
; %bb.125:                              ;   in Loop: Header=BB347_15 Depth=1
	v_dual_mov_b32 v11, v39 :: v_dual_bitop2_b32 v10, 7, v10 bitop3:0x40
	v_lshrrev_b32_e32 v16, 3, v17
	s_mov_b32 s19, exec_lo
	v_cmpx_gt_u32_e32 8, v17
; %bb.126:                              ;   in Loop: Header=BB347_15 Depth=1
	s_delay_alu instid0(VALU_DEP_3) | instskip(NEXT) | instid1(VALU_DEP_1)
	v_clz_i32_u32_e32 v16, v10
	v_min_u32_e32 v16, 32, v16
	s_delay_alu instid0(VALU_DEP_1) | instskip(NEXT) | instid1(VALU_DEP_1)
	v_subrev_nc_u32_e32 v17, 28, v16
	v_lshlrev_b64_e32 v[10:11], v17, v[10:11]
	s_delay_alu instid0(VALU_DEP_1)
	v_dual_sub_nc_u32 v16, 29, v16 :: v_dual_bitop2_b32 v10, 7, v10 bitop3:0x40
; %bb.127:                              ;   in Loop: Header=BB347_15 Depth=1
	s_or_b32 exec_lo, exec_lo, s19
	v_lshlrev_b32_e32 v11, 16, v38
	s_delay_alu instid0(VALU_DEP_2) | instskip(NEXT) | instid1(VALU_DEP_3)
	v_lshlrev_b32_e32 v10, 20, v10
	v_lshl_add_u32 v16, v16, 23, 0x3c000000
	s_delay_alu instid0(VALU_DEP_3) | instskip(NEXT) | instid1(VALU_DEP_1)
	v_and_b32_e32 v11, 0x80000000, v11
	v_or3_b32 v92, v10, v11, v16
.LBB347_128:                            ;   in Loop: Header=BB347_15 Depth=1
	s_or_b32 exec_lo, exec_lo, s18
.LBB347_129:                            ;   in Loop: Header=BB347_15 Depth=1
	s_delay_alu instid0(SALU_CYCLE_1)
	s_or_b32 exec_lo, exec_lo, s17
.LBB347_130:                            ;   in Loop: Header=BB347_15 Depth=1
	s_delay_alu instid0(SALU_CYCLE_1) | instskip(SKIP_3) | instid1(VALU_DEP_2)
	s_or_b32 exec_lo, exec_lo, s16
	v_dual_mov_b32 v93, 0 :: v_dual_lshrrev_b32 v10, 16, v7
	v_mov_b32_e32 v94, 0
	s_mov_b32 s16, exec_lo
	v_and_b32_e32 v11, 0xff, v10
	s_delay_alu instid0(VALU_DEP_1)
	v_cmpx_ne_u16_e32 0, v11
	s_cbranch_execz .LBB347_138
; %bb.131:                              ;   in Loop: Header=BB347_15 Depth=1
	v_bfrev_b32_e32 v94, 1
	s_mov_b32 s17, exec_lo
	v_cmpx_ne_u16_e32 0x80, v11
	s_cbranch_execz .LBB347_137
; %bb.132:                              ;   in Loop: Header=BB347_15 Depth=1
	v_bfe_u32 v16, v7, 16, 7
	v_mov_b32_e32 v94, 0x7f800001
	s_mov_b32 s18, exec_lo
	s_delay_alu instid0(VALU_DEP_2)
	v_cmpx_ne_u32_e32 0x7f, v16
	s_cbranch_execz .LBB347_136
; %bb.133:                              ;   in Loop: Header=BB347_15 Depth=1
	v_dual_lshrrev_b32 v11, 3, v16 :: v_dual_bitop2_b32 v38, 7, v10 bitop3:0x40
	s_mov_b32 s19, exec_lo
	v_cmpx_gt_u32_e32 8, v16
; %bb.134:                              ;   in Loop: Header=BB347_15 Depth=1
	s_delay_alu instid0(VALU_DEP_2) | instskip(NEXT) | instid1(VALU_DEP_1)
	v_clz_i32_u32_e32 v11, v38
	v_min_u32_e32 v11, 32, v11
	s_delay_alu instid0(VALU_DEP_1) | instskip(NEXT) | instid1(VALU_DEP_1)
	v_subrev_nc_u32_e32 v16, 28, v11
	v_lshlrev_b64_e32 v[16:17], v16, v[38:39]
	s_delay_alu instid0(VALU_DEP_1)
	v_dual_sub_nc_u32 v11, 29, v11 :: v_dual_bitop2_b32 v38, 7, v16 bitop3:0x40
; %bb.135:                              ;   in Loop: Header=BB347_15 Depth=1
	s_or_b32 exec_lo, exec_lo, s19
	v_lshlrev_b32_e32 v10, 24, v10
	s_delay_alu instid0(VALU_DEP_2) | instskip(NEXT) | instid1(VALU_DEP_3)
	v_lshlrev_b32_e32 v16, 20, v38
	v_lshl_add_u32 v11, v11, 23, 0x3c000000
	s_delay_alu instid0(VALU_DEP_3) | instskip(NEXT) | instid1(VALU_DEP_1)
	v_and_b32_e32 v10, 0x80000000, v10
	v_or3_b32 v94, v16, v10, v11
.LBB347_136:                            ;   in Loop: Header=BB347_15 Depth=1
	s_or_b32 exec_lo, exec_lo, s18
.LBB347_137:                            ;   in Loop: Header=BB347_15 Depth=1
	s_delay_alu instid0(SALU_CYCLE_1)
	s_or_b32 exec_lo, exec_lo, s17
.LBB347_138:                            ;   in Loop: Header=BB347_15 Depth=1
	s_delay_alu instid0(SALU_CYCLE_1) | instskip(NEXT) | instid1(SALU_CYCLE_1)
	s_or_b32 exec_lo, exec_lo, s16
	s_mov_b32 s16, exec_lo
	v_cmpx_lt_u64_e64 s[8:9], v[6:7]
	s_cbranch_execz .LBB347_146
; %bb.139:                              ;   in Loop: Header=BB347_15 Depth=1
	v_lshrrev_b32_e32 v6, 24, v7
	v_bfrev_b32_e32 v93, 1
	s_mov_b32 s17, exec_lo
	s_delay_alu instid0(VALU_DEP_2)
	v_cmpx_ne_u32_e32 0x80, v6
	s_cbranch_execz .LBB347_145
; %bb.140:                              ;   in Loop: Header=BB347_15 Depth=1
	v_bfe_u32 v10, v7, 24, 7
	v_mov_b32_e32 v93, 0x7f800001
	s_mov_b32 s18, exec_lo
	s_delay_alu instid0(VALU_DEP_2)
	v_cmpx_ne_u32_e32 0x7f, v10
	s_cbranch_execz .LBB347_144
; %bb.141:                              ;   in Loop: Header=BB347_15 Depth=1
	v_and_b32_e32 v38, 7, v6
	v_lshrrev_b32_e32 v7, 3, v10
	s_mov_b32 s19, exec_lo
	v_cmpx_gt_u32_e32 8, v10
; %bb.142:                              ;   in Loop: Header=BB347_15 Depth=1
	s_delay_alu instid0(VALU_DEP_3) | instskip(NEXT) | instid1(VALU_DEP_1)
	v_clz_i32_u32_e32 v7, v38
	v_min_u32_e32 v7, 32, v7
	s_delay_alu instid0(VALU_DEP_1) | instskip(NEXT) | instid1(VALU_DEP_1)
	v_subrev_nc_u32_e32 v10, 28, v7
	v_lshlrev_b64_e32 v[10:11], v10, v[38:39]
	s_delay_alu instid0(VALU_DEP_1)
	v_dual_sub_nc_u32 v7, 29, v7 :: v_dual_bitop2_b32 v38, 7, v10 bitop3:0x40
; %bb.143:                              ;   in Loop: Header=BB347_15 Depth=1
	s_or_b32 exec_lo, exec_lo, s19
	v_lshlrev_b32_e32 v6, 24, v6
	s_delay_alu instid0(VALU_DEP_2) | instskip(NEXT) | instid1(VALU_DEP_3)
	v_lshlrev_b32_e32 v10, 20, v38
	v_lshl_add_u32 v7, v7, 23, 0x3c000000
	s_delay_alu instid0(VALU_DEP_3) | instskip(NEXT) | instid1(VALU_DEP_1)
	v_and_b32_e32 v6, 0x80000000, v6
	v_or3_b32 v93, v10, v6, v7
.LBB347_144:                            ;   in Loop: Header=BB347_15 Depth=1
	s_or_b32 exec_lo, exec_lo, s18
.LBB347_145:                            ;   in Loop: Header=BB347_15 Depth=1
	s_delay_alu instid0(SALU_CYCLE_1)
	s_or_b32 exec_lo, exec_lo, s17
.LBB347_146:                            ;   in Loop: Header=BB347_15 Depth=1
	s_delay_alu instid0(SALU_CYCLE_1)
	s_or_b32 exec_lo, exec_lo, s16
	flat_load_b64 v[6:7], v[0:1] offset:512
	v_dual_mov_b32 v104, 0 :: v_dual_mov_b32 v95, 0
	s_mov_b32 s16, exec_lo
	s_wait_loadcnt_dscnt 0x0
	v_and_b32_e32 v10, 0xff, v6
	s_wait_xcnt 0x0
	s_delay_alu instid0(VALU_DEP_1)
	v_cmpx_ne_u16_e32 0, v10
	s_cbranch_execz .LBB347_154
; %bb.147:                              ;   in Loop: Header=BB347_15 Depth=1
	v_bfrev_b32_e32 v95, 1
	s_mov_b32 s17, exec_lo
	v_cmpx_ne_u16_e32 0x80, v10
	s_cbranch_execz .LBB347_153
; %bb.148:                              ;   in Loop: Header=BB347_15 Depth=1
	v_and_b32_e32 v10, 0x7f, v6
	v_mov_b32_e32 v95, 0x7f800001
	s_mov_b32 s18, exec_lo
	s_delay_alu instid0(VALU_DEP_2)
	v_cmpx_ne_u32_e32 0x7f, v10
	s_cbranch_execz .LBB347_152
; %bb.149:                              ;   in Loop: Header=BB347_15 Depth=1
	v_lshrrev_b32_e32 v16, 3, v10
	v_cmp_gt_u32_e64 s1, 8, v10
	v_mov_b64_e32 v[10:11], v[6:7]
	s_and_saveexec_b32 s19, s1
; %bb.150:                              ;   in Loop: Header=BB347_15 Depth=1
	v_and_b32_e32 v10, 7, v6
	s_delay_alu instid0(VALU_DEP_1) | instskip(NEXT) | instid1(VALU_DEP_1)
	v_clz_i32_u32_e32 v10, v10
	v_min_u32_e32 v16, 32, v10
	s_delay_alu instid0(VALU_DEP_1) | instskip(SKIP_1) | instid1(VALU_DEP_2)
	v_subrev_nc_u32_e32 v10, 28, v16
	v_sub_nc_u32_e32 v16, 29, v16
	v_lshlrev_b64_e32 v[10:11], v10, v[6:7]
; %bb.151:                              ;   in Loop: Header=BB347_15 Depth=1
	s_or_b32 exec_lo, exec_lo, s19
	s_delay_alu instid0(VALU_DEP_1) | instskip(SKIP_2) | instid1(VALU_DEP_3)
	v_lshlrev_b32_e32 v10, 20, v10
	v_lshlrev_b32_e32 v11, 24, v6
	v_lshl_add_u32 v16, v16, 23, 0x3c000000
	v_and_b32_e32 v10, 0x700000, v10
	s_delay_alu instid0(VALU_DEP_3) | instskip(NEXT) | instid1(VALU_DEP_1)
	v_and_b32_e32 v11, 0x80000000, v11
	v_or3_b32 v95, v10, v11, v16
.LBB347_152:                            ;   in Loop: Header=BB347_15 Depth=1
	s_or_b32 exec_lo, exec_lo, s18
.LBB347_153:                            ;   in Loop: Header=BB347_15 Depth=1
	s_delay_alu instid0(SALU_CYCLE_1)
	s_or_b32 exec_lo, exec_lo, s17
.LBB347_154:                            ;   in Loop: Header=BB347_15 Depth=1
	s_delay_alu instid0(SALU_CYCLE_1) | instskip(SKIP_2) | instid1(VALU_DEP_1)
	s_or_b32 exec_lo, exec_lo, s16
	v_lshrrev_b16 v10, 8, v6
	s_mov_b32 s16, exec_lo
	v_cmpx_ne_u16_e32 0, v10
	s_cbranch_execz .LBB347_162
; %bb.155:                              ;   in Loop: Header=BB347_15 Depth=1
	v_bfrev_b32_e32 v104, 1
	s_mov_b32 s17, exec_lo
	v_cmpx_ne_u16_e32 0x80, v10
	s_cbranch_execz .LBB347_161
; %bb.156:                              ;   in Loop: Header=BB347_15 Depth=1
	v_and_b32_e32 v10, 0xffff, v10
	v_mov_b32_e32 v104, 0x7f800001
	s_mov_b32 s18, exec_lo
	s_delay_alu instid0(VALU_DEP_2) | instskip(NEXT) | instid1(VALU_DEP_1)
	v_and_b32_e32 v11, 0x7f, v10
	v_cmpx_ne_u32_e32 0x7f, v11
	s_cbranch_execz .LBB347_160
; %bb.157:                              ;   in Loop: Header=BB347_15 Depth=1
	v_dual_lshrrev_b32 v10, 3, v11 :: v_dual_bitop2_b32 v38, 7, v10 bitop3:0x40
	s_mov_b32 s19, exec_lo
	v_cmpx_gt_u32_e32 8, v11
; %bb.158:                              ;   in Loop: Header=BB347_15 Depth=1
	s_delay_alu instid0(VALU_DEP_2) | instskip(NEXT) | instid1(VALU_DEP_1)
	v_clz_i32_u32_e32 v10, v38
	v_min_u32_e32 v10, 32, v10
	s_delay_alu instid0(VALU_DEP_1) | instskip(NEXT) | instid1(VALU_DEP_1)
	v_subrev_nc_u32_e32 v11, 28, v10
	v_lshlrev_b64_e32 v[16:17], v11, v[38:39]
	s_delay_alu instid0(VALU_DEP_1)
	v_dual_sub_nc_u32 v10, 29, v10 :: v_dual_bitop2_b32 v38, 7, v16 bitop3:0x40
; %bb.159:                              ;   in Loop: Header=BB347_15 Depth=1
	s_or_b32 exec_lo, exec_lo, s19
	v_lshlrev_b32_e32 v11, 16, v6
	s_delay_alu instid0(VALU_DEP_2) | instskip(NEXT) | instid1(VALU_DEP_3)
	v_lshlrev_b32_e32 v16, 20, v38
	v_lshl_add_u32 v10, v10, 23, 0x3c000000
	s_delay_alu instid0(VALU_DEP_3) | instskip(NEXT) | instid1(VALU_DEP_1)
	v_and_b32_e32 v11, 0x80000000, v11
	v_or3_b32 v104, v16, v11, v10
.LBB347_160:                            ;   in Loop: Header=BB347_15 Depth=1
	s_or_b32 exec_lo, exec_lo, s18
.LBB347_161:                            ;   in Loop: Header=BB347_15 Depth=1
	s_delay_alu instid0(SALU_CYCLE_1)
	s_or_b32 exec_lo, exec_lo, s17
.LBB347_162:                            ;   in Loop: Header=BB347_15 Depth=1
	s_delay_alu instid0(SALU_CYCLE_1) | instskip(SKIP_3) | instid1(VALU_DEP_2)
	s_or_b32 exec_lo, exec_lo, s16
	v_dual_lshrrev_b32 v10, 16, v6 :: v_dual_mov_b32 v106, 0
	v_mov_b32_e32 v105, 0
	s_mov_b32 s16, exec_lo
	v_and_b32_e32 v11, 0xff, v10
	s_delay_alu instid0(VALU_DEP_1)
	v_cmpx_ne_u16_e32 0, v11
	s_cbranch_execz .LBB347_170
; %bb.163:                              ;   in Loop: Header=BB347_15 Depth=1
	v_bfrev_b32_e32 v105, 1
	s_mov_b32 s17, exec_lo
	v_cmpx_ne_u16_e32 0x80, v11
	s_cbranch_execz .LBB347_169
; %bb.164:                              ;   in Loop: Header=BB347_15 Depth=1
	v_bfe_u32 v16, v6, 16, 7
	v_mov_b32_e32 v105, 0x7f800001
	s_mov_b32 s18, exec_lo
	s_delay_alu instid0(VALU_DEP_2)
	v_cmpx_ne_u32_e32 0x7f, v16
	s_cbranch_execz .LBB347_168
; %bb.165:                              ;   in Loop: Header=BB347_15 Depth=1
	v_dual_lshrrev_b32 v11, 3, v16 :: v_dual_bitop2_b32 v38, 7, v10 bitop3:0x40
	s_mov_b32 s19, exec_lo
	v_cmpx_gt_u32_e32 8, v16
; %bb.166:                              ;   in Loop: Header=BB347_15 Depth=1
	s_delay_alu instid0(VALU_DEP_2) | instskip(NEXT) | instid1(VALU_DEP_1)
	v_clz_i32_u32_e32 v11, v38
	v_min_u32_e32 v11, 32, v11
	s_delay_alu instid0(VALU_DEP_1) | instskip(NEXT) | instid1(VALU_DEP_1)
	v_subrev_nc_u32_e32 v16, 28, v11
	v_lshlrev_b64_e32 v[16:17], v16, v[38:39]
	s_delay_alu instid0(VALU_DEP_1)
	v_dual_sub_nc_u32 v11, 29, v11 :: v_dual_bitop2_b32 v38, 7, v16 bitop3:0x40
; %bb.167:                              ;   in Loop: Header=BB347_15 Depth=1
	s_or_b32 exec_lo, exec_lo, s19
	v_lshlrev_b32_e32 v10, 24, v10
	s_delay_alu instid0(VALU_DEP_2) | instskip(NEXT) | instid1(VALU_DEP_3)
	v_lshlrev_b32_e32 v16, 20, v38
	v_lshl_add_u32 v11, v11, 23, 0x3c000000
	s_delay_alu instid0(VALU_DEP_3) | instskip(NEXT) | instid1(VALU_DEP_1)
	v_and_b32_e32 v10, 0x80000000, v10
	v_or3_b32 v105, v16, v10, v11
.LBB347_168:                            ;   in Loop: Header=BB347_15 Depth=1
	s_or_b32 exec_lo, exec_lo, s18
.LBB347_169:                            ;   in Loop: Header=BB347_15 Depth=1
	s_delay_alu instid0(SALU_CYCLE_1)
	s_or_b32 exec_lo, exec_lo, s17
.LBB347_170:                            ;   in Loop: Header=BB347_15 Depth=1
	s_delay_alu instid0(SALU_CYCLE_1) | instskip(NEXT) | instid1(SALU_CYCLE_1)
	s_or_b32 exec_lo, exec_lo, s16
	s_mov_b32 s16, exec_lo
	v_cmpx_lt_u32_e32 0xffffff, v6
	s_cbranch_execz .LBB347_178
; %bb.171:                              ;   in Loop: Header=BB347_15 Depth=1
	v_lshrrev_b32_e32 v10, 24, v6
	v_bfrev_b32_e32 v106, 1
	s_mov_b32 s17, exec_lo
	s_delay_alu instid0(VALU_DEP_2)
	v_cmpx_ne_u32_e32 0x80, v10
	s_cbranch_execz .LBB347_177
; %bb.172:                              ;   in Loop: Header=BB347_15 Depth=1
	v_bfe_u32 v16, v6, 24, 7
	v_mov_b32_e32 v106, 0x7f800001
	s_mov_b32 s18, exec_lo
	s_delay_alu instid0(VALU_DEP_2)
	v_cmpx_ne_u32_e32 0x7f, v16
	s_cbranch_execz .LBB347_176
; %bb.173:                              ;   in Loop: Header=BB347_15 Depth=1
	v_dual_lshrrev_b32 v11, 3, v16 :: v_dual_bitop2_b32 v38, 7, v10 bitop3:0x40
	s_mov_b32 s19, exec_lo
	v_cmpx_gt_u32_e32 8, v16
; %bb.174:                              ;   in Loop: Header=BB347_15 Depth=1
	s_delay_alu instid0(VALU_DEP_2) | instskip(NEXT) | instid1(VALU_DEP_1)
	v_clz_i32_u32_e32 v11, v38
	v_min_u32_e32 v11, 32, v11
	s_delay_alu instid0(VALU_DEP_1) | instskip(NEXT) | instid1(VALU_DEP_1)
	v_subrev_nc_u32_e32 v16, 28, v11
	v_lshlrev_b64_e32 v[16:17], v16, v[38:39]
	s_delay_alu instid0(VALU_DEP_1)
	v_dual_sub_nc_u32 v11, 29, v11 :: v_dual_bitop2_b32 v38, 7, v16 bitop3:0x40
; %bb.175:                              ;   in Loop: Header=BB347_15 Depth=1
	s_or_b32 exec_lo, exec_lo, s19
	v_lshlrev_b32_e32 v10, 24, v10
	s_delay_alu instid0(VALU_DEP_2) | instskip(NEXT) | instid1(VALU_DEP_3)
	v_lshlrev_b32_e32 v16, 20, v38
	v_lshl_add_u32 v11, v11, 23, 0x3c000000
	s_delay_alu instid0(VALU_DEP_3) | instskip(NEXT) | instid1(VALU_DEP_1)
	v_and_b32_e32 v10, 0x80000000, v10
	v_or3_b32 v106, v16, v10, v11
.LBB347_176:                            ;   in Loop: Header=BB347_15 Depth=1
	s_or_b32 exec_lo, exec_lo, s18
.LBB347_177:                            ;   in Loop: Header=BB347_15 Depth=1
	s_delay_alu instid0(SALU_CYCLE_1)
	s_or_b32 exec_lo, exec_lo, s17
.LBB347_178:                            ;   in Loop: Header=BB347_15 Depth=1
	s_delay_alu instid0(SALU_CYCLE_1) | instskip(SKIP_4) | instid1(VALU_DEP_3)
	s_or_b32 exec_lo, exec_lo, s16
	v_and_b32_e32 v10, 0xff, v7
	v_dual_mov_b32 v38, v7 :: v_dual_mov_b32 v108, 0
	v_mov_b32_e32 v107, 0
	s_mov_b32 s16, exec_lo
	v_cmpx_ne_u16_e32 0, v10
	s_cbranch_execz .LBB347_186
; %bb.179:                              ;   in Loop: Header=BB347_15 Depth=1
	v_bfrev_b32_e32 v107, 1
	s_mov_b32 s17, exec_lo
	v_cmpx_ne_u16_e32 0x80, v10
	s_cbranch_execz .LBB347_185
; %bb.180:                              ;   in Loop: Header=BB347_15 Depth=1
	v_and_b32_e32 v10, 0x7f, v7
	v_mov_b32_e32 v107, 0x7f800001
	s_mov_b32 s18, exec_lo
	s_delay_alu instid0(VALU_DEP_2)
	v_cmpx_ne_u32_e32 0x7f, v10
	s_cbranch_execz .LBB347_184
; %bb.181:                              ;   in Loop: Header=BB347_15 Depth=1
	v_lshrrev_b32_e32 v16, 3, v10
	v_cmp_gt_u32_e64 s1, 8, v10
	v_mov_b64_e32 v[10:11], v[38:39]
	s_and_saveexec_b32 s19, s1
; %bb.182:                              ;   in Loop: Header=BB347_15 Depth=1
	v_and_b32_e32 v10, 7, v7
	s_delay_alu instid0(VALU_DEP_1) | instskip(NEXT) | instid1(VALU_DEP_1)
	v_clz_i32_u32_e32 v10, v10
	v_min_u32_e32 v16, 32, v10
	s_delay_alu instid0(VALU_DEP_1) | instskip(SKIP_1) | instid1(VALU_DEP_2)
	v_subrev_nc_u32_e32 v10, 28, v16
	v_sub_nc_u32_e32 v16, 29, v16
	v_lshlrev_b64_e32 v[10:11], v10, v[38:39]
; %bb.183:                              ;   in Loop: Header=BB347_15 Depth=1
	s_or_b32 exec_lo, exec_lo, s19
	s_delay_alu instid0(VALU_DEP_1) | instskip(SKIP_2) | instid1(VALU_DEP_3)
	v_lshlrev_b32_e32 v10, 20, v10
	v_lshlrev_b32_e32 v11, 24, v38
	v_lshl_add_u32 v16, v16, 23, 0x3c000000
	v_and_b32_e32 v10, 0x700000, v10
	s_delay_alu instid0(VALU_DEP_3) | instskip(NEXT) | instid1(VALU_DEP_1)
	v_and_b32_e32 v11, 0x80000000, v11
	v_or3_b32 v107, v10, v11, v16
.LBB347_184:                            ;   in Loop: Header=BB347_15 Depth=1
	s_or_b32 exec_lo, exec_lo, s18
.LBB347_185:                            ;   in Loop: Header=BB347_15 Depth=1
	s_delay_alu instid0(SALU_CYCLE_1)
	s_or_b32 exec_lo, exec_lo, s17
.LBB347_186:                            ;   in Loop: Header=BB347_15 Depth=1
	s_delay_alu instid0(SALU_CYCLE_1) | instskip(SKIP_2) | instid1(VALU_DEP_1)
	s_or_b32 exec_lo, exec_lo, s16
	v_lshrrev_b16 v10, 8, v38
	s_mov_b32 s16, exec_lo
	v_cmpx_ne_u16_e32 0, v10
	s_cbranch_execz .LBB347_194
; %bb.187:                              ;   in Loop: Header=BB347_15 Depth=1
	v_bfrev_b32_e32 v108, 1
	s_mov_b32 s17, exec_lo
	v_cmpx_ne_u16_e32 0x80, v10
	s_cbranch_execz .LBB347_193
; %bb.188:                              ;   in Loop: Header=BB347_15 Depth=1
	v_and_b32_e32 v10, 0xffff, v10
	v_mov_b32_e32 v108, 0x7f800001
	s_mov_b32 s18, exec_lo
	s_delay_alu instid0(VALU_DEP_2) | instskip(NEXT) | instid1(VALU_DEP_1)
	v_and_b32_e32 v17, 0x7f, v10
	v_cmpx_ne_u32_e32 0x7f, v17
	s_cbranch_execz .LBB347_192
; %bb.189:                              ;   in Loop: Header=BB347_15 Depth=1
	v_dual_mov_b32 v11, v39 :: v_dual_bitop2_b32 v10, 7, v10 bitop3:0x40
	v_lshrrev_b32_e32 v16, 3, v17
	s_mov_b32 s19, exec_lo
	v_cmpx_gt_u32_e32 8, v17
; %bb.190:                              ;   in Loop: Header=BB347_15 Depth=1
	s_delay_alu instid0(VALU_DEP_3) | instskip(NEXT) | instid1(VALU_DEP_1)
	v_clz_i32_u32_e32 v16, v10
	v_min_u32_e32 v16, 32, v16
	s_delay_alu instid0(VALU_DEP_1) | instskip(NEXT) | instid1(VALU_DEP_1)
	v_subrev_nc_u32_e32 v17, 28, v16
	v_lshlrev_b64_e32 v[10:11], v17, v[10:11]
	s_delay_alu instid0(VALU_DEP_1)
	v_dual_sub_nc_u32 v16, 29, v16 :: v_dual_bitop2_b32 v10, 7, v10 bitop3:0x40
; %bb.191:                              ;   in Loop: Header=BB347_15 Depth=1
	s_or_b32 exec_lo, exec_lo, s19
	v_lshlrev_b32_e32 v11, 16, v38
	s_delay_alu instid0(VALU_DEP_2) | instskip(NEXT) | instid1(VALU_DEP_3)
	v_lshlrev_b32_e32 v10, 20, v10
	v_lshl_add_u32 v16, v16, 23, 0x3c000000
	s_delay_alu instid0(VALU_DEP_3) | instskip(NEXT) | instid1(VALU_DEP_1)
	v_and_b32_e32 v11, 0x80000000, v11
	v_or3_b32 v108, v10, v11, v16
.LBB347_192:                            ;   in Loop: Header=BB347_15 Depth=1
	s_or_b32 exec_lo, exec_lo, s18
.LBB347_193:                            ;   in Loop: Header=BB347_15 Depth=1
	s_delay_alu instid0(SALU_CYCLE_1)
	s_or_b32 exec_lo, exec_lo, s17
.LBB347_194:                            ;   in Loop: Header=BB347_15 Depth=1
	s_delay_alu instid0(SALU_CYCLE_1) | instskip(SKIP_3) | instid1(VALU_DEP_2)
	s_or_b32 exec_lo, exec_lo, s16
	v_dual_mov_b32 v109, 0 :: v_dual_lshrrev_b32 v10, 16, v7
	v_mov_b32_e32 v110, 0
	s_mov_b32 s16, exec_lo
	v_and_b32_e32 v11, 0xff, v10
	s_delay_alu instid0(VALU_DEP_1)
	v_cmpx_ne_u16_e32 0, v11
	s_cbranch_execz .LBB347_202
; %bb.195:                              ;   in Loop: Header=BB347_15 Depth=1
	v_bfrev_b32_e32 v110, 1
	s_mov_b32 s17, exec_lo
	v_cmpx_ne_u16_e32 0x80, v11
	s_cbranch_execz .LBB347_201
; %bb.196:                              ;   in Loop: Header=BB347_15 Depth=1
	v_bfe_u32 v16, v7, 16, 7
	v_mov_b32_e32 v110, 0x7f800001
	s_mov_b32 s18, exec_lo
	s_delay_alu instid0(VALU_DEP_2)
	v_cmpx_ne_u32_e32 0x7f, v16
	s_cbranch_execz .LBB347_200
; %bb.197:                              ;   in Loop: Header=BB347_15 Depth=1
	v_dual_lshrrev_b32 v11, 3, v16 :: v_dual_bitop2_b32 v38, 7, v10 bitop3:0x40
	s_mov_b32 s19, exec_lo
	v_cmpx_gt_u32_e32 8, v16
; %bb.198:                              ;   in Loop: Header=BB347_15 Depth=1
	s_delay_alu instid0(VALU_DEP_2) | instskip(NEXT) | instid1(VALU_DEP_1)
	v_clz_i32_u32_e32 v11, v38
	v_min_u32_e32 v11, 32, v11
	s_delay_alu instid0(VALU_DEP_1) | instskip(NEXT) | instid1(VALU_DEP_1)
	v_subrev_nc_u32_e32 v16, 28, v11
	v_lshlrev_b64_e32 v[16:17], v16, v[38:39]
	s_delay_alu instid0(VALU_DEP_1)
	v_dual_sub_nc_u32 v11, 29, v11 :: v_dual_bitop2_b32 v38, 7, v16 bitop3:0x40
; %bb.199:                              ;   in Loop: Header=BB347_15 Depth=1
	s_or_b32 exec_lo, exec_lo, s19
	v_lshlrev_b32_e32 v10, 24, v10
	s_delay_alu instid0(VALU_DEP_2) | instskip(NEXT) | instid1(VALU_DEP_3)
	v_lshlrev_b32_e32 v16, 20, v38
	v_lshl_add_u32 v11, v11, 23, 0x3c000000
	s_delay_alu instid0(VALU_DEP_3) | instskip(NEXT) | instid1(VALU_DEP_1)
	v_and_b32_e32 v10, 0x80000000, v10
	v_or3_b32 v110, v16, v10, v11
.LBB347_200:                            ;   in Loop: Header=BB347_15 Depth=1
	s_or_b32 exec_lo, exec_lo, s18
.LBB347_201:                            ;   in Loop: Header=BB347_15 Depth=1
	s_delay_alu instid0(SALU_CYCLE_1)
	s_or_b32 exec_lo, exec_lo, s17
.LBB347_202:                            ;   in Loop: Header=BB347_15 Depth=1
	s_delay_alu instid0(SALU_CYCLE_1) | instskip(NEXT) | instid1(SALU_CYCLE_1)
	s_or_b32 exec_lo, exec_lo, s16
	s_mov_b32 s16, exec_lo
	v_cmpx_lt_u64_e64 s[8:9], v[6:7]
	s_cbranch_execz .LBB347_210
; %bb.203:                              ;   in Loop: Header=BB347_15 Depth=1
	v_lshrrev_b32_e32 v6, 24, v7
	v_bfrev_b32_e32 v109, 1
	s_mov_b32 s17, exec_lo
	s_delay_alu instid0(VALU_DEP_2)
	v_cmpx_ne_u32_e32 0x80, v6
	s_cbranch_execz .LBB347_209
; %bb.204:                              ;   in Loop: Header=BB347_15 Depth=1
	v_bfe_u32 v10, v7, 24, 7
	v_mov_b32_e32 v109, 0x7f800001
	s_mov_b32 s18, exec_lo
	s_delay_alu instid0(VALU_DEP_2)
	v_cmpx_ne_u32_e32 0x7f, v10
	s_cbranch_execz .LBB347_208
; %bb.205:                              ;   in Loop: Header=BB347_15 Depth=1
	v_and_b32_e32 v38, 7, v6
	v_lshrrev_b32_e32 v7, 3, v10
	s_mov_b32 s19, exec_lo
	v_cmpx_gt_u32_e32 8, v10
; %bb.206:                              ;   in Loop: Header=BB347_15 Depth=1
	s_delay_alu instid0(VALU_DEP_3) | instskip(NEXT) | instid1(VALU_DEP_1)
	v_clz_i32_u32_e32 v7, v38
	v_min_u32_e32 v7, 32, v7
	s_delay_alu instid0(VALU_DEP_1) | instskip(NEXT) | instid1(VALU_DEP_1)
	v_subrev_nc_u32_e32 v10, 28, v7
	v_lshlrev_b64_e32 v[10:11], v10, v[38:39]
	s_delay_alu instid0(VALU_DEP_1)
	v_dual_sub_nc_u32 v7, 29, v7 :: v_dual_bitop2_b32 v38, 7, v10 bitop3:0x40
; %bb.207:                              ;   in Loop: Header=BB347_15 Depth=1
	s_or_b32 exec_lo, exec_lo, s19
	v_lshlrev_b32_e32 v6, 24, v6
	s_delay_alu instid0(VALU_DEP_2) | instskip(NEXT) | instid1(VALU_DEP_3)
	v_lshlrev_b32_e32 v10, 20, v38
	v_lshl_add_u32 v7, v7, 23, 0x3c000000
	s_delay_alu instid0(VALU_DEP_3) | instskip(NEXT) | instid1(VALU_DEP_1)
	v_and_b32_e32 v6, 0x80000000, v6
	v_or3_b32 v109, v10, v6, v7
.LBB347_208:                            ;   in Loop: Header=BB347_15 Depth=1
	s_or_b32 exec_lo, exec_lo, s18
.LBB347_209:                            ;   in Loop: Header=BB347_15 Depth=1
	s_delay_alu instid0(SALU_CYCLE_1)
	s_or_b32 exec_lo, exec_lo, s17
.LBB347_210:                            ;   in Loop: Header=BB347_15 Depth=1
	s_delay_alu instid0(SALU_CYCLE_1)
	s_or_b32 exec_lo, exec_lo, s16
	flat_load_b64 v[18:19], v[0:1] offset:520
	v_dual_mov_b32 v7, 0 :: v_dual_mov_b32 v6, 0
	s_mov_b32 s16, exec_lo
	s_wait_loadcnt_dscnt 0x0
	v_and_b32_e32 v10, 0xff, v18
	s_wait_xcnt 0x0
	s_delay_alu instid0(VALU_DEP_1)
	v_cmpx_ne_u16_e32 0, v10
	s_cbranch_execz .LBB347_218
; %bb.211:                              ;   in Loop: Header=BB347_15 Depth=1
	v_bfrev_b32_e32 v6, 1
	s_mov_b32 s17, exec_lo
	v_cmpx_ne_u16_e32 0x80, v10
	s_cbranch_execz .LBB347_217
; %bb.212:                              ;   in Loop: Header=BB347_15 Depth=1
	v_and_b32_e32 v10, 0x7f, v18
	v_mov_b32_e32 v6, 0x7f800001
	s_mov_b32 s18, exec_lo
	s_delay_alu instid0(VALU_DEP_2)
	v_cmpx_ne_u32_e32 0x7f, v10
	s_cbranch_execz .LBB347_216
; %bb.213:                              ;   in Loop: Header=BB347_15 Depth=1
	v_lshrrev_b32_e32 v6, 3, v10
	v_cmp_gt_u32_e64 s1, 8, v10
	v_mov_b64_e32 v[10:11], v[18:19]
	s_and_saveexec_b32 s19, s1
; %bb.214:                              ;   in Loop: Header=BB347_15 Depth=1
	v_and_b32_e32 v6, 7, v18
	s_delay_alu instid0(VALU_DEP_1) | instskip(NEXT) | instid1(VALU_DEP_1)
	v_clz_i32_u32_e32 v6, v6
	v_min_u32_e32 v6, 32, v6
	s_delay_alu instid0(VALU_DEP_1) | instskip(SKIP_1) | instid1(VALU_DEP_2)
	v_subrev_nc_u32_e32 v10, 28, v6
	v_sub_nc_u32_e32 v6, 29, v6
	v_lshlrev_b64_e32 v[10:11], v10, v[18:19]
; %bb.215:                              ;   in Loop: Header=BB347_15 Depth=1
	s_or_b32 exec_lo, exec_lo, s19
	s_delay_alu instid0(VALU_DEP_1) | instskip(SKIP_2) | instid1(VALU_DEP_3)
	v_lshlrev_b32_e32 v10, 20, v10
	v_lshlrev_b32_e32 v11, 24, v18
	v_lshl_add_u32 v6, v6, 23, 0x3c000000
	v_and_b32_e32 v10, 0x700000, v10
	s_delay_alu instid0(VALU_DEP_3) | instskip(NEXT) | instid1(VALU_DEP_1)
	v_and_b32_e32 v11, 0x80000000, v11
	v_or3_b32 v6, v10, v11, v6
.LBB347_216:                            ;   in Loop: Header=BB347_15 Depth=1
	s_or_b32 exec_lo, exec_lo, s18
.LBB347_217:                            ;   in Loop: Header=BB347_15 Depth=1
	s_delay_alu instid0(SALU_CYCLE_1)
	s_or_b32 exec_lo, exec_lo, s17
.LBB347_218:                            ;   in Loop: Header=BB347_15 Depth=1
	s_delay_alu instid0(SALU_CYCLE_1) | instskip(SKIP_2) | instid1(VALU_DEP_1)
	s_or_b32 exec_lo, exec_lo, s16
	v_lshrrev_b16 v10, 8, v18
	s_mov_b32 s16, exec_lo
	v_cmpx_ne_u16_e32 0, v10
	s_cbranch_execz .LBB347_226
; %bb.219:                              ;   in Loop: Header=BB347_15 Depth=1
	v_bfrev_b32_e32 v7, 1
	s_mov_b32 s17, exec_lo
	v_cmpx_ne_u16_e32 0x80, v10
	s_cbranch_execz .LBB347_225
; %bb.220:                              ;   in Loop: Header=BB347_15 Depth=1
	v_and_b32_e32 v11, 0xffff, v10
	v_mov_b32_e32 v7, 0x7f800001
	s_mov_b32 s18, exec_lo
	s_delay_alu instid0(VALU_DEP_2) | instskip(NEXT) | instid1(VALU_DEP_1)
	v_and_b32_e32 v10, 0x7f, v11
	v_cmpx_ne_u32_e32 0x7f, v10
	s_cbranch_execz .LBB347_224
; %bb.221:                              ;   in Loop: Header=BB347_15 Depth=1
	v_dual_lshrrev_b32 v7, 3, v10 :: v_dual_bitop2_b32 v38, 7, v11 bitop3:0x40
	s_mov_b32 s19, exec_lo
	v_cmpx_gt_u32_e32 8, v10
; %bb.222:                              ;   in Loop: Header=BB347_15 Depth=1
	s_delay_alu instid0(VALU_DEP_2) | instskip(NEXT) | instid1(VALU_DEP_1)
	v_clz_i32_u32_e32 v7, v38
	v_min_u32_e32 v7, 32, v7
	s_delay_alu instid0(VALU_DEP_1) | instskip(NEXT) | instid1(VALU_DEP_1)
	v_subrev_nc_u32_e32 v10, 28, v7
	v_lshlrev_b64_e32 v[10:11], v10, v[38:39]
	s_delay_alu instid0(VALU_DEP_1)
	v_dual_sub_nc_u32 v7, 29, v7 :: v_dual_bitop2_b32 v38, 7, v10 bitop3:0x40
; %bb.223:                              ;   in Loop: Header=BB347_15 Depth=1
	s_or_b32 exec_lo, exec_lo, s19
	v_lshlrev_b32_e32 v10, 16, v18
	s_delay_alu instid0(VALU_DEP_2) | instskip(NEXT) | instid1(VALU_DEP_3)
	v_lshlrev_b32_e32 v11, 20, v38
	v_lshl_add_u32 v7, v7, 23, 0x3c000000
	s_delay_alu instid0(VALU_DEP_3) | instskip(NEXT) | instid1(VALU_DEP_1)
	v_and_b32_e32 v10, 0x80000000, v10
	v_or3_b32 v7, v11, v10, v7
.LBB347_224:                            ;   in Loop: Header=BB347_15 Depth=1
	s_or_b32 exec_lo, exec_lo, s18
.LBB347_225:                            ;   in Loop: Header=BB347_15 Depth=1
	s_delay_alu instid0(SALU_CYCLE_1)
	s_or_b32 exec_lo, exec_lo, s17
.LBB347_226:                            ;   in Loop: Header=BB347_15 Depth=1
	s_delay_alu instid0(SALU_CYCLE_1) | instskip(SKIP_3) | instid1(VALU_DEP_2)
	s_or_b32 exec_lo, exec_lo, s16
	v_dual_mov_b32 v11, 0 :: v_dual_lshrrev_b32 v16, 16, v18
	v_mov_b32_e32 v10, 0
	s_mov_b32 s16, exec_lo
	v_and_b32_e32 v17, 0xff, v16
	s_delay_alu instid0(VALU_DEP_1)
	v_cmpx_ne_u16_e32 0, v17
	s_cbranch_execz .LBB347_234
; %bb.227:                              ;   in Loop: Header=BB347_15 Depth=1
	v_bfrev_b32_e32 v10, 1
	s_mov_b32 s17, exec_lo
	v_cmpx_ne_u16_e32 0x80, v17
	s_cbranch_execz .LBB347_233
; %bb.228:                              ;   in Loop: Header=BB347_15 Depth=1
	v_bfe_u32 v17, v18, 16, 7
	v_mov_b32_e32 v10, 0x7f800001
	s_mov_b32 s18, exec_lo
	s_delay_alu instid0(VALU_DEP_2)
	v_cmpx_ne_u32_e32 0x7f, v17
	s_cbranch_execz .LBB347_232
; %bb.229:                              ;   in Loop: Header=BB347_15 Depth=1
	v_dual_lshrrev_b32 v10, 3, v17 :: v_dual_bitop2_b32 v38, 7, v16 bitop3:0x40
	s_mov_b32 s19, exec_lo
	v_cmpx_gt_u32_e32 8, v17
; %bb.230:                              ;   in Loop: Header=BB347_15 Depth=1
	s_delay_alu instid0(VALU_DEP_2) | instskip(NEXT) | instid1(VALU_DEP_1)
	v_clz_i32_u32_e32 v10, v38
	v_min_u32_e32 v10, 32, v10
	s_delay_alu instid0(VALU_DEP_1) | instskip(SKIP_1) | instid1(VALU_DEP_2)
	v_subrev_nc_u32_e32 v17, 28, v10
	v_sub_nc_u32_e32 v10, 29, v10
	v_lshlrev_b64_e32 v[22:23], v17, v[38:39]
	s_delay_alu instid0(VALU_DEP_1)
	v_and_b32_e32 v38, 7, v22
; %bb.231:                              ;   in Loop: Header=BB347_15 Depth=1
	s_or_b32 exec_lo, exec_lo, s19
	s_delay_alu instid0(VALU_DEP_1) | instskip(SKIP_1) | instid1(VALU_DEP_2)
	v_dual_lshlrev_b32 v16, 24, v16 :: v_dual_lshlrev_b32 v17, 20, v38
	v_lshl_add_u32 v10, v10, 23, 0x3c000000
	v_and_b32_e32 v16, 0x80000000, v16
	s_delay_alu instid0(VALU_DEP_1)
	v_or3_b32 v10, v17, v16, v10
.LBB347_232:                            ;   in Loop: Header=BB347_15 Depth=1
	s_or_b32 exec_lo, exec_lo, s18
.LBB347_233:                            ;   in Loop: Header=BB347_15 Depth=1
	s_delay_alu instid0(SALU_CYCLE_1)
	s_or_b32 exec_lo, exec_lo, s17
.LBB347_234:                            ;   in Loop: Header=BB347_15 Depth=1
	s_delay_alu instid0(SALU_CYCLE_1) | instskip(NEXT) | instid1(SALU_CYCLE_1)
	s_or_b32 exec_lo, exec_lo, s16
	s_mov_b32 s16, exec_lo
	v_cmpx_lt_u32_e32 0xffffff, v18
	s_cbranch_execz .LBB347_242
; %bb.235:                              ;   in Loop: Header=BB347_15 Depth=1
	v_lshrrev_b32_e32 v16, 24, v18
	v_bfrev_b32_e32 v11, 1
	s_mov_b32 s17, exec_lo
	s_delay_alu instid0(VALU_DEP_2)
	v_cmpx_ne_u32_e32 0x80, v16
	s_cbranch_execz .LBB347_241
; %bb.236:                              ;   in Loop: Header=BB347_15 Depth=1
	v_bfe_u32 v17, v18, 24, 7
	v_mov_b32_e32 v11, 0x7f800001
	s_mov_b32 s18, exec_lo
	s_delay_alu instid0(VALU_DEP_2)
	v_cmpx_ne_u32_e32 0x7f, v17
	s_cbranch_execz .LBB347_240
; %bb.237:                              ;   in Loop: Header=BB347_15 Depth=1
	v_dual_lshrrev_b32 v11, 3, v17 :: v_dual_bitop2_b32 v38, 7, v16 bitop3:0x40
	s_mov_b32 s19, exec_lo
	v_cmpx_gt_u32_e32 8, v17
; %bb.238:                              ;   in Loop: Header=BB347_15 Depth=1
	s_delay_alu instid0(VALU_DEP_2) | instskip(NEXT) | instid1(VALU_DEP_1)
	v_clz_i32_u32_e32 v11, v38
	v_min_u32_e32 v11, 32, v11
	s_delay_alu instid0(VALU_DEP_1) | instskip(NEXT) | instid1(VALU_DEP_1)
	v_subrev_nc_u32_e32 v17, 28, v11
	v_lshlrev_b64_e32 v[22:23], v17, v[38:39]
	s_delay_alu instid0(VALU_DEP_1)
	v_dual_sub_nc_u32 v11, 29, v11 :: v_dual_bitop2_b32 v38, 7, v22 bitop3:0x40
; %bb.239:                              ;   in Loop: Header=BB347_15 Depth=1
	s_or_b32 exec_lo, exec_lo, s19
	s_delay_alu instid0(VALU_DEP_1) | instskip(NEXT) | instid1(VALU_DEP_2)
	v_dual_lshlrev_b32 v16, 24, v16 :: v_dual_lshlrev_b32 v17, 20, v38
	v_lshl_add_u32 v11, v11, 23, 0x3c000000
	s_delay_alu instid0(VALU_DEP_2) | instskip(NEXT) | instid1(VALU_DEP_1)
	v_and_b32_e32 v16, 0x80000000, v16
	v_or3_b32 v11, v17, v16, v11
.LBB347_240:                            ;   in Loop: Header=BB347_15 Depth=1
	s_or_b32 exec_lo, exec_lo, s18
.LBB347_241:                            ;   in Loop: Header=BB347_15 Depth=1
	s_delay_alu instid0(SALU_CYCLE_1)
	s_or_b32 exec_lo, exec_lo, s17
.LBB347_242:                            ;   in Loop: Header=BB347_15 Depth=1
	s_delay_alu instid0(SALU_CYCLE_1) | instskip(SKIP_4) | instid1(VALU_DEP_3)
	s_or_b32 exec_lo, exec_lo, s16
	v_and_b32_e32 v16, 0xff, v19
	v_dual_mov_b32 v38, v19 :: v_dual_mov_b32 v37, 0
	v_mov_b32_e32 v36, 0
	s_mov_b32 s16, exec_lo
	v_cmpx_ne_u16_e32 0, v16
	s_cbranch_execz .LBB347_250
; %bb.243:                              ;   in Loop: Header=BB347_15 Depth=1
	v_bfrev_b32_e32 v36, 1
	s_mov_b32 s17, exec_lo
	v_cmpx_ne_u16_e32 0x80, v16
	s_cbranch_execz .LBB347_249
; %bb.244:                              ;   in Loop: Header=BB347_15 Depth=1
	v_and_b32_e32 v17, 0x7f, v19
	v_mov_b32_e32 v36, 0x7f800001
	s_mov_b32 s18, exec_lo
	s_delay_alu instid0(VALU_DEP_2)
	v_cmpx_ne_u32_e32 0x7f, v17
	s_cbranch_execz .LBB347_248
; %bb.245:                              ;   in Loop: Header=BB347_15 Depth=1
	v_mov_b64_e32 v[22:23], v[38:39]
	v_lshrrev_b32_e32 v16, 3, v17
	s_mov_b32 s19, exec_lo
	v_cmpx_gt_u32_e32 8, v17
; %bb.246:                              ;   in Loop: Header=BB347_15 Depth=1
	v_and_b32_e32 v16, 7, v19
	s_delay_alu instid0(VALU_DEP_1) | instskip(NEXT) | instid1(VALU_DEP_1)
	v_clz_i32_u32_e32 v16, v16
	v_min_u32_e32 v16, 32, v16
	s_delay_alu instid0(VALU_DEP_1) | instskip(SKIP_1) | instid1(VALU_DEP_2)
	v_subrev_nc_u32_e32 v17, 28, v16
	v_sub_nc_u32_e32 v16, 29, v16
	v_lshlrev_b64_e32 v[22:23], v17, v[38:39]
; %bb.247:                              ;   in Loop: Header=BB347_15 Depth=1
	s_or_b32 exec_lo, exec_lo, s19
	s_delay_alu instid0(VALU_DEP_1) | instskip(SKIP_2) | instid1(VALU_DEP_3)
	v_lshlrev_b32_e32 v17, 20, v22
	v_lshlrev_b32_e32 v22, 24, v38
	v_lshl_add_u32 v16, v16, 23, 0x3c000000
	v_and_b32_e32 v17, 0x700000, v17
	s_delay_alu instid0(VALU_DEP_3) | instskip(NEXT) | instid1(VALU_DEP_1)
	v_and_b32_e32 v22, 0x80000000, v22
	v_or3_b32 v36, v17, v22, v16
.LBB347_248:                            ;   in Loop: Header=BB347_15 Depth=1
	s_or_b32 exec_lo, exec_lo, s18
.LBB347_249:                            ;   in Loop: Header=BB347_15 Depth=1
	s_delay_alu instid0(SALU_CYCLE_1)
	s_or_b32 exec_lo, exec_lo, s17
.LBB347_250:                            ;   in Loop: Header=BB347_15 Depth=1
	s_delay_alu instid0(SALU_CYCLE_1) | instskip(SKIP_2) | instid1(VALU_DEP_1)
	s_or_b32 exec_lo, exec_lo, s16
	v_lshrrev_b16 v16, 8, v38
	s_mov_b32 s16, exec_lo
	v_cmpx_ne_u16_e32 0, v16
	s_cbranch_execz .LBB347_258
; %bb.251:                              ;   in Loop: Header=BB347_15 Depth=1
	v_bfrev_b32_e32 v37, 1
	s_mov_b32 s17, exec_lo
	v_cmpx_ne_u16_e32 0x80, v16
	s_cbranch_execz .LBB347_257
; %bb.252:                              ;   in Loop: Header=BB347_15 Depth=1
	v_and_b32_e32 v16, 0xffff, v16
	v_mov_b32_e32 v37, 0x7f800001
	s_mov_b32 s18, exec_lo
	s_delay_alu instid0(VALU_DEP_2) | instskip(NEXT) | instid1(VALU_DEP_1)
	v_and_b32_e32 v17, 0x7f, v16
	v_cmpx_ne_u32_e32 0x7f, v17
	s_cbranch_execz .LBB347_256
; %bb.253:                              ;   in Loop: Header=BB347_15 Depth=1
	v_dual_mov_b32 v23, v39 :: v_dual_bitop2_b32 v22, 7, v16 bitop3:0x40
	v_lshrrev_b32_e32 v16, 3, v17
	s_mov_b32 s19, exec_lo
	v_cmpx_gt_u32_e32 8, v17
; %bb.254:                              ;   in Loop: Header=BB347_15 Depth=1
	s_delay_alu instid0(VALU_DEP_3) | instskip(NEXT) | instid1(VALU_DEP_1)
	v_clz_i32_u32_e32 v16, v22
	v_min_u32_e32 v16, 32, v16
	s_delay_alu instid0(VALU_DEP_1) | instskip(NEXT) | instid1(VALU_DEP_1)
	v_subrev_nc_u32_e32 v17, 28, v16
	v_lshlrev_b64_e32 v[22:23], v17, v[22:23]
	s_delay_alu instid0(VALU_DEP_1)
	v_dual_sub_nc_u32 v16, 29, v16 :: v_dual_bitop2_b32 v22, 7, v22 bitop3:0x40
; %bb.255:                              ;   in Loop: Header=BB347_15 Depth=1
	s_or_b32 exec_lo, exec_lo, s19
	v_lshlrev_b32_e32 v17, 16, v38
	s_delay_alu instid0(VALU_DEP_2) | instskip(NEXT) | instid1(VALU_DEP_3)
	v_lshlrev_b32_e32 v22, 20, v22
	v_lshl_add_u32 v16, v16, 23, 0x3c000000
	s_delay_alu instid0(VALU_DEP_3) | instskip(NEXT) | instid1(VALU_DEP_1)
	v_and_b32_e32 v17, 0x80000000, v17
	v_or3_b32 v37, v22, v17, v16
.LBB347_256:                            ;   in Loop: Header=BB347_15 Depth=1
	s_or_b32 exec_lo, exec_lo, s18
.LBB347_257:                            ;   in Loop: Header=BB347_15 Depth=1
	s_delay_alu instid0(SALU_CYCLE_1)
	s_or_b32 exec_lo, exec_lo, s17
.LBB347_258:                            ;   in Loop: Header=BB347_15 Depth=1
	s_delay_alu instid0(SALU_CYCLE_1) | instskip(SKIP_3) | instid1(VALU_DEP_2)
	s_or_b32 exec_lo, exec_lo, s16
	v_dual_mov_b32 v27, 0 :: v_dual_lshrrev_b32 v16, 16, v19
	v_mov_b32_e32 v26, 0
	s_mov_b32 s16, exec_lo
	v_and_b32_e32 v17, 0xff, v16
	s_delay_alu instid0(VALU_DEP_1)
	v_cmpx_ne_u16_e32 0, v17
	s_cbranch_execz .LBB347_266
; %bb.259:                              ;   in Loop: Header=BB347_15 Depth=1
	v_bfrev_b32_e32 v26, 1
	s_mov_b32 s17, exec_lo
	v_cmpx_ne_u16_e32 0x80, v17
	s_cbranch_execz .LBB347_265
; %bb.260:                              ;   in Loop: Header=BB347_15 Depth=1
	v_bfe_u32 v22, v19, 16, 7
	v_mov_b32_e32 v26, 0x7f800001
	s_mov_b32 s18, exec_lo
	s_delay_alu instid0(VALU_DEP_2)
	v_cmpx_ne_u32_e32 0x7f, v22
	s_cbranch_execz .LBB347_264
; %bb.261:                              ;   in Loop: Header=BB347_15 Depth=1
	v_dual_lshrrev_b32 v17, 3, v22 :: v_dual_bitop2_b32 v38, 7, v16 bitop3:0x40
	s_mov_b32 s19, exec_lo
	v_cmpx_gt_u32_e32 8, v22
; %bb.262:                              ;   in Loop: Header=BB347_15 Depth=1
	s_delay_alu instid0(VALU_DEP_2) | instskip(NEXT) | instid1(VALU_DEP_1)
	v_clz_i32_u32_e32 v17, v38
	v_min_u32_e32 v17, 32, v17
	s_delay_alu instid0(VALU_DEP_1) | instskip(NEXT) | instid1(VALU_DEP_1)
	v_subrev_nc_u32_e32 v22, 28, v17
	v_lshlrev_b64_e32 v[22:23], v22, v[38:39]
	s_delay_alu instid0(VALU_DEP_1)
	v_dual_sub_nc_u32 v17, 29, v17 :: v_dual_bitop2_b32 v38, 7, v22 bitop3:0x40
; %bb.263:                              ;   in Loop: Header=BB347_15 Depth=1
	s_or_b32 exec_lo, exec_lo, s19
	s_delay_alu instid0(VALU_DEP_1) | instskip(NEXT) | instid1(VALU_DEP_2)
	v_dual_lshlrev_b32 v16, 24, v16 :: v_dual_lshlrev_b32 v22, 20, v38
	v_lshl_add_u32 v17, v17, 23, 0x3c000000
	s_delay_alu instid0(VALU_DEP_2) | instskip(NEXT) | instid1(VALU_DEP_1)
	v_and_b32_e32 v16, 0x80000000, v16
	v_or3_b32 v26, v22, v16, v17
.LBB347_264:                            ;   in Loop: Header=BB347_15 Depth=1
	s_or_b32 exec_lo, exec_lo, s18
.LBB347_265:                            ;   in Loop: Header=BB347_15 Depth=1
	s_delay_alu instid0(SALU_CYCLE_1)
	s_or_b32 exec_lo, exec_lo, s17
.LBB347_266:                            ;   in Loop: Header=BB347_15 Depth=1
	s_delay_alu instid0(SALU_CYCLE_1) | instskip(NEXT) | instid1(SALU_CYCLE_1)
	s_or_b32 exec_lo, exec_lo, s16
	s_mov_b32 s16, exec_lo
	v_cmpx_lt_u64_e64 s[8:9], v[18:19]
	s_cbranch_execz .LBB347_274
; %bb.267:                              ;   in Loop: Header=BB347_15 Depth=1
	v_lshrrev_b32_e32 v16, 24, v19
	v_bfrev_b32_e32 v27, 1
	s_mov_b32 s17, exec_lo
	s_delay_alu instid0(VALU_DEP_2)
	v_cmpx_ne_u32_e32 0x80, v16
	s_cbranch_execz .LBB347_273
; %bb.268:                              ;   in Loop: Header=BB347_15 Depth=1
	v_bfe_u32 v18, v19, 24, 7
	v_mov_b32_e32 v27, 0x7f800001
	s_mov_b32 s18, exec_lo
	s_delay_alu instid0(VALU_DEP_2)
	v_cmpx_ne_u32_e32 0x7f, v18
	s_cbranch_execz .LBB347_272
; %bb.269:                              ;   in Loop: Header=BB347_15 Depth=1
	v_dual_lshrrev_b32 v17, 3, v18 :: v_dual_bitop2_b32 v38, 7, v16 bitop3:0x40
	s_mov_b32 s19, exec_lo
	v_cmpx_gt_u32_e32 8, v18
; %bb.270:                              ;   in Loop: Header=BB347_15 Depth=1
	s_delay_alu instid0(VALU_DEP_2) | instskip(NEXT) | instid1(VALU_DEP_1)
	v_clz_i32_u32_e32 v17, v38
	v_min_u32_e32 v17, 32, v17
	s_delay_alu instid0(VALU_DEP_1) | instskip(NEXT) | instid1(VALU_DEP_1)
	v_subrev_nc_u32_e32 v18, 28, v17
	v_lshlrev_b64_e32 v[18:19], v18, v[38:39]
	s_delay_alu instid0(VALU_DEP_1)
	v_dual_sub_nc_u32 v17, 29, v17 :: v_dual_bitop2_b32 v38, 7, v18 bitop3:0x40
; %bb.271:                              ;   in Loop: Header=BB347_15 Depth=1
	s_or_b32 exec_lo, exec_lo, s19
	s_delay_alu instid0(VALU_DEP_1) | instskip(NEXT) | instid1(VALU_DEP_2)
	v_dual_lshlrev_b32 v16, 24, v16 :: v_dual_lshlrev_b32 v18, 20, v38
	v_lshl_add_u32 v17, v17, 23, 0x3c000000
	s_delay_alu instid0(VALU_DEP_2) | instskip(NEXT) | instid1(VALU_DEP_1)
	v_and_b32_e32 v16, 0x80000000, v16
	v_or3_b32 v27, v18, v16, v17
.LBB347_272:                            ;   in Loop: Header=BB347_15 Depth=1
	s_or_b32 exec_lo, exec_lo, s18
.LBB347_273:                            ;   in Loop: Header=BB347_15 Depth=1
	s_delay_alu instid0(SALU_CYCLE_1)
	s_or_b32 exec_lo, exec_lo, s17
.LBB347_274:                            ;   in Loop: Header=BB347_15 Depth=1
	s_delay_alu instid0(SALU_CYCLE_1)
	s_or_b32 exec_lo, exec_lo, s16
	flat_load_b64 v[28:29], v[0:1] offset:1024
	v_dual_mov_b32 v123, 0 :: v_dual_mov_b32 v122, 0
	s_mov_b32 s16, exec_lo
	s_wait_loadcnt_dscnt 0x0
	v_and_b32_e32 v16, 0xff, v28
	s_wait_xcnt 0x0
	s_delay_alu instid0(VALU_DEP_1)
	v_cmpx_ne_u16_e32 0, v16
	s_cbranch_execz .LBB347_282
; %bb.275:                              ;   in Loop: Header=BB347_15 Depth=1
	v_bfrev_b32_e32 v122, 1
	s_mov_b32 s17, exec_lo
	v_cmpx_ne_u16_e32 0x80, v16
	s_cbranch_execz .LBB347_281
; %bb.276:                              ;   in Loop: Header=BB347_15 Depth=1
	v_and_b32_e32 v17, 0x7f, v28
	v_mov_b32_e32 v122, 0x7f800001
	s_mov_b32 s18, exec_lo
	s_delay_alu instid0(VALU_DEP_2)
	v_cmpx_ne_u32_e32 0x7f, v17
	s_cbranch_execz .LBB347_280
; %bb.277:                              ;   in Loop: Header=BB347_15 Depth=1
	v_mov_b64_e32 v[18:19], v[28:29]
	v_lshrrev_b32_e32 v16, 3, v17
	s_mov_b32 s19, exec_lo
	v_cmpx_gt_u32_e32 8, v17
; %bb.278:                              ;   in Loop: Header=BB347_15 Depth=1
	v_and_b32_e32 v16, 7, v28
	s_delay_alu instid0(VALU_DEP_1) | instskip(NEXT) | instid1(VALU_DEP_1)
	v_clz_i32_u32_e32 v16, v16
	v_min_u32_e32 v16, 32, v16
	s_delay_alu instid0(VALU_DEP_1) | instskip(SKIP_1) | instid1(VALU_DEP_2)
	v_subrev_nc_u32_e32 v17, 28, v16
	v_sub_nc_u32_e32 v16, 29, v16
	v_lshlrev_b64_e32 v[18:19], v17, v[28:29]
; %bb.279:                              ;   in Loop: Header=BB347_15 Depth=1
	s_or_b32 exec_lo, exec_lo, s19
	s_delay_alu instid0(VALU_DEP_1) | instskip(NEXT) | instid1(VALU_DEP_3)
	v_dual_lshlrev_b32 v17, 20, v18 :: v_dual_lshlrev_b32 v18, 24, v28
	v_lshl_add_u32 v16, v16, 23, 0x3c000000
	s_delay_alu instid0(VALU_DEP_2) | instskip(NEXT) | instid1(VALU_DEP_3)
	v_and_b32_e32 v17, 0x700000, v17
	v_and_b32_e32 v18, 0x80000000, v18
	s_delay_alu instid0(VALU_DEP_1)
	v_or3_b32 v122, v17, v18, v16
.LBB347_280:                            ;   in Loop: Header=BB347_15 Depth=1
	s_or_b32 exec_lo, exec_lo, s18
.LBB347_281:                            ;   in Loop: Header=BB347_15 Depth=1
	s_delay_alu instid0(SALU_CYCLE_1)
	s_or_b32 exec_lo, exec_lo, s17
.LBB347_282:                            ;   in Loop: Header=BB347_15 Depth=1
	s_delay_alu instid0(SALU_CYCLE_1) | instskip(SKIP_2) | instid1(VALU_DEP_1)
	s_or_b32 exec_lo, exec_lo, s16
	v_lshrrev_b16 v16, 8, v28
	s_mov_b32 s16, exec_lo
	v_cmpx_ne_u16_e32 0, v16
	s_cbranch_execz .LBB347_290
; %bb.283:                              ;   in Loop: Header=BB347_15 Depth=1
	v_bfrev_b32_e32 v123, 1
	s_mov_b32 s17, exec_lo
	v_cmpx_ne_u16_e32 0x80, v16
	s_cbranch_execz .LBB347_289
; %bb.284:                              ;   in Loop: Header=BB347_15 Depth=1
	v_and_b32_e32 v16, 0xffff, v16
	v_mov_b32_e32 v123, 0x7f800001
	s_mov_b32 s18, exec_lo
	s_delay_alu instid0(VALU_DEP_2) | instskip(NEXT) | instid1(VALU_DEP_1)
	v_and_b32_e32 v17, 0x7f, v16
	v_cmpx_ne_u32_e32 0x7f, v17
	s_cbranch_execz .LBB347_288
; %bb.285:                              ;   in Loop: Header=BB347_15 Depth=1
	v_dual_lshrrev_b32 v16, 3, v17 :: v_dual_bitop2_b32 v38, 7, v16 bitop3:0x40
	s_mov_b32 s19, exec_lo
	v_cmpx_gt_u32_e32 8, v17
; %bb.286:                              ;   in Loop: Header=BB347_15 Depth=1
	s_delay_alu instid0(VALU_DEP_2) | instskip(NEXT) | instid1(VALU_DEP_1)
	v_clz_i32_u32_e32 v16, v38
	v_min_u32_e32 v16, 32, v16
	s_delay_alu instid0(VALU_DEP_1) | instskip(NEXT) | instid1(VALU_DEP_1)
	v_subrev_nc_u32_e32 v17, 28, v16
	v_lshlrev_b64_e32 v[18:19], v17, v[38:39]
	s_delay_alu instid0(VALU_DEP_1)
	v_dual_sub_nc_u32 v16, 29, v16 :: v_dual_bitop2_b32 v38, 7, v18 bitop3:0x40
; %bb.287:                              ;   in Loop: Header=BB347_15 Depth=1
	s_or_b32 exec_lo, exec_lo, s19
	s_delay_alu instid0(VALU_DEP_1) | instskip(NEXT) | instid1(VALU_DEP_2)
	v_dual_lshlrev_b32 v17, 16, v28 :: v_dual_lshlrev_b32 v18, 20, v38
	v_lshl_add_u32 v16, v16, 23, 0x3c000000
	s_delay_alu instid0(VALU_DEP_2) | instskip(NEXT) | instid1(VALU_DEP_1)
	v_and_b32_e32 v17, 0x80000000, v17
	v_or3_b32 v123, v18, v17, v16
.LBB347_288:                            ;   in Loop: Header=BB347_15 Depth=1
	s_or_b32 exec_lo, exec_lo, s18
.LBB347_289:                            ;   in Loop: Header=BB347_15 Depth=1
	s_delay_alu instid0(SALU_CYCLE_1)
	s_or_b32 exec_lo, exec_lo, s17
.LBB347_290:                            ;   in Loop: Header=BB347_15 Depth=1
	s_delay_alu instid0(SALU_CYCLE_1) | instskip(SKIP_3) | instid1(VALU_DEP_2)
	s_or_b32 exec_lo, exec_lo, s16
	v_dual_mov_b32 v23, 0 :: v_dual_lshrrev_b32 v16, 16, v28
	v_mov_b32_e32 v22, 0
	s_mov_b32 s16, exec_lo
	v_and_b32_e32 v17, 0xff, v16
	s_delay_alu instid0(VALU_DEP_1)
	v_cmpx_ne_u16_e32 0, v17
	s_cbranch_execz .LBB347_298
; %bb.291:                              ;   in Loop: Header=BB347_15 Depth=1
	v_bfrev_b32_e32 v22, 1
	s_mov_b32 s17, exec_lo
	v_cmpx_ne_u16_e32 0x80, v17
	s_cbranch_execz .LBB347_297
; %bb.292:                              ;   in Loop: Header=BB347_15 Depth=1
	v_bfe_u32 v18, v28, 16, 7
	v_mov_b32_e32 v22, 0x7f800001
	s_mov_b32 s18, exec_lo
	s_delay_alu instid0(VALU_DEP_2)
	v_cmpx_ne_u32_e32 0x7f, v18
	s_cbranch_execz .LBB347_296
; %bb.293:                              ;   in Loop: Header=BB347_15 Depth=1
	v_dual_lshrrev_b32 v17, 3, v18 :: v_dual_bitop2_b32 v38, 7, v16 bitop3:0x40
	s_mov_b32 s19, exec_lo
	v_cmpx_gt_u32_e32 8, v18
; %bb.294:                              ;   in Loop: Header=BB347_15 Depth=1
	s_delay_alu instid0(VALU_DEP_2) | instskip(NEXT) | instid1(VALU_DEP_1)
	v_clz_i32_u32_e32 v17, v38
	v_min_u32_e32 v17, 32, v17
	s_delay_alu instid0(VALU_DEP_1) | instskip(NEXT) | instid1(VALU_DEP_1)
	v_subrev_nc_u32_e32 v18, 28, v17
	v_lshlrev_b64_e32 v[18:19], v18, v[38:39]
	s_delay_alu instid0(VALU_DEP_1)
	v_dual_sub_nc_u32 v17, 29, v17 :: v_dual_bitop2_b32 v38, 7, v18 bitop3:0x40
; %bb.295:                              ;   in Loop: Header=BB347_15 Depth=1
	s_or_b32 exec_lo, exec_lo, s19
	s_delay_alu instid0(VALU_DEP_1) | instskip(NEXT) | instid1(VALU_DEP_2)
	v_dual_lshlrev_b32 v16, 24, v16 :: v_dual_lshlrev_b32 v18, 20, v38
	v_lshl_add_u32 v17, v17, 23, 0x3c000000
	s_delay_alu instid0(VALU_DEP_2) | instskip(NEXT) | instid1(VALU_DEP_1)
	v_and_b32_e32 v16, 0x80000000, v16
	v_or3_b32 v22, v18, v16, v17
.LBB347_296:                            ;   in Loop: Header=BB347_15 Depth=1
	s_or_b32 exec_lo, exec_lo, s18
.LBB347_297:                            ;   in Loop: Header=BB347_15 Depth=1
	s_delay_alu instid0(SALU_CYCLE_1)
	s_or_b32 exec_lo, exec_lo, s17
.LBB347_298:                            ;   in Loop: Header=BB347_15 Depth=1
	s_delay_alu instid0(SALU_CYCLE_1) | instskip(NEXT) | instid1(SALU_CYCLE_1)
	s_or_b32 exec_lo, exec_lo, s16
	s_mov_b32 s16, exec_lo
	v_cmpx_lt_u32_e32 0xffffff, v28
	s_cbranch_execz .LBB347_306
; %bb.299:                              ;   in Loop: Header=BB347_15 Depth=1
	v_lshrrev_b32_e32 v16, 24, v28
	v_bfrev_b32_e32 v23, 1
	s_mov_b32 s17, exec_lo
	s_delay_alu instid0(VALU_DEP_2)
	v_cmpx_ne_u32_e32 0x80, v16
	s_cbranch_execz .LBB347_305
; %bb.300:                              ;   in Loop: Header=BB347_15 Depth=1
	v_bfe_u32 v18, v28, 24, 7
	v_mov_b32_e32 v23, 0x7f800001
	s_mov_b32 s18, exec_lo
	s_delay_alu instid0(VALU_DEP_2)
	v_cmpx_ne_u32_e32 0x7f, v18
	s_cbranch_execz .LBB347_304
; %bb.301:                              ;   in Loop: Header=BB347_15 Depth=1
	v_dual_lshrrev_b32 v17, 3, v18 :: v_dual_bitop2_b32 v38, 7, v16 bitop3:0x40
	s_mov_b32 s19, exec_lo
	v_cmpx_gt_u32_e32 8, v18
; %bb.302:                              ;   in Loop: Header=BB347_15 Depth=1
	s_delay_alu instid0(VALU_DEP_2) | instskip(NEXT) | instid1(VALU_DEP_1)
	v_clz_i32_u32_e32 v17, v38
	v_min_u32_e32 v17, 32, v17
	s_delay_alu instid0(VALU_DEP_1) | instskip(NEXT) | instid1(VALU_DEP_1)
	v_subrev_nc_u32_e32 v18, 28, v17
	v_lshlrev_b64_e32 v[18:19], v18, v[38:39]
	s_delay_alu instid0(VALU_DEP_1)
	v_dual_sub_nc_u32 v17, 29, v17 :: v_dual_bitop2_b32 v38, 7, v18 bitop3:0x40
; %bb.303:                              ;   in Loop: Header=BB347_15 Depth=1
	s_or_b32 exec_lo, exec_lo, s19
	s_delay_alu instid0(VALU_DEP_1) | instskip(NEXT) | instid1(VALU_DEP_2)
	v_dual_lshlrev_b32 v16, 24, v16 :: v_dual_lshlrev_b32 v18, 20, v38
	v_lshl_add_u32 v17, v17, 23, 0x3c000000
	s_delay_alu instid0(VALU_DEP_2) | instskip(NEXT) | instid1(VALU_DEP_1)
	v_and_b32_e32 v16, 0x80000000, v16
	v_or3_b32 v23, v18, v16, v17
.LBB347_304:                            ;   in Loop: Header=BB347_15 Depth=1
	s_or_b32 exec_lo, exec_lo, s18
.LBB347_305:                            ;   in Loop: Header=BB347_15 Depth=1
	s_delay_alu instid0(SALU_CYCLE_1)
	s_or_b32 exec_lo, exec_lo, s17
.LBB347_306:                            ;   in Loop: Header=BB347_15 Depth=1
	s_delay_alu instid0(SALU_CYCLE_1) | instskip(SKIP_4) | instid1(VALU_DEP_3)
	s_or_b32 exec_lo, exec_lo, s16
	v_and_b32_e32 v16, 0xff, v29
	v_dual_mov_b32 v38, v29 :: v_dual_mov_b32 v19, 0
	v_mov_b32_e32 v18, 0
	s_mov_b32 s16, exec_lo
	v_cmpx_ne_u16_e32 0, v16
	s_cbranch_execz .LBB347_314
; %bb.307:                              ;   in Loop: Header=BB347_15 Depth=1
	v_bfrev_b32_e32 v18, 1
	s_mov_b32 s17, exec_lo
	v_cmpx_ne_u16_e32 0x80, v16
	s_cbranch_execz .LBB347_313
; %bb.308:                              ;   in Loop: Header=BB347_15 Depth=1
	v_and_b32_e32 v17, 0x7f, v29
	v_mov_b32_e32 v18, 0x7f800001
	s_mov_b32 s18, exec_lo
	s_delay_alu instid0(VALU_DEP_2)
	v_cmpx_ne_u32_e32 0x7f, v17
	s_cbranch_execz .LBB347_312
; %bb.309:                              ;   in Loop: Header=BB347_15 Depth=1
	v_mov_b64_e32 v[30:31], v[38:39]
	v_lshrrev_b32_e32 v16, 3, v17
	s_mov_b32 s19, exec_lo
	v_cmpx_gt_u32_e32 8, v17
; %bb.310:                              ;   in Loop: Header=BB347_15 Depth=1
	v_and_b32_e32 v16, 7, v29
	s_delay_alu instid0(VALU_DEP_1) | instskip(NEXT) | instid1(VALU_DEP_1)
	v_clz_i32_u32_e32 v16, v16
	v_min_u32_e32 v16, 32, v16
	s_delay_alu instid0(VALU_DEP_1) | instskip(SKIP_1) | instid1(VALU_DEP_2)
	v_subrev_nc_u32_e32 v17, 28, v16
	v_sub_nc_u32_e32 v16, 29, v16
	v_lshlrev_b64_e32 v[30:31], v17, v[38:39]
; %bb.311:                              ;   in Loop: Header=BB347_15 Depth=1
	s_or_b32 exec_lo, exec_lo, s19
	s_delay_alu instid0(VALU_DEP_1) | instskip(SKIP_2) | instid1(VALU_DEP_3)
	v_lshlrev_b32_e32 v17, 20, v30
	v_lshlrev_b32_e32 v18, 24, v38
	v_lshl_add_u32 v16, v16, 23, 0x3c000000
	v_and_b32_e32 v17, 0x700000, v17
	s_delay_alu instid0(VALU_DEP_3) | instskip(NEXT) | instid1(VALU_DEP_1)
	v_and_b32_e32 v18, 0x80000000, v18
	v_or3_b32 v18, v17, v18, v16
.LBB347_312:                            ;   in Loop: Header=BB347_15 Depth=1
	s_or_b32 exec_lo, exec_lo, s18
.LBB347_313:                            ;   in Loop: Header=BB347_15 Depth=1
	s_delay_alu instid0(SALU_CYCLE_1)
	s_or_b32 exec_lo, exec_lo, s17
.LBB347_314:                            ;   in Loop: Header=BB347_15 Depth=1
	s_delay_alu instid0(SALU_CYCLE_1) | instskip(SKIP_2) | instid1(VALU_DEP_1)
	s_or_b32 exec_lo, exec_lo, s16
	v_lshrrev_b16 v16, 8, v38
	s_mov_b32 s16, exec_lo
	v_cmpx_ne_u16_e32 0, v16
	s_cbranch_execz .LBB347_322
; %bb.315:                              ;   in Loop: Header=BB347_15 Depth=1
	v_bfrev_b32_e32 v19, 1
	s_mov_b32 s17, exec_lo
	v_cmpx_ne_u16_e32 0x80, v16
	s_cbranch_execz .LBB347_321
; %bb.316:                              ;   in Loop: Header=BB347_15 Depth=1
	v_and_b32_e32 v16, 0xffff, v16
	v_mov_b32_e32 v19, 0x7f800001
	s_mov_b32 s18, exec_lo
	s_delay_alu instid0(VALU_DEP_2) | instskip(NEXT) | instid1(VALU_DEP_1)
	v_and_b32_e32 v17, 0x7f, v16
	v_cmpx_ne_u32_e32 0x7f, v17
	s_cbranch_execz .LBB347_320
; %bb.317:                              ;   in Loop: Header=BB347_15 Depth=1
	v_dual_mov_b32 v31, v39 :: v_dual_bitop2_b32 v30, 7, v16 bitop3:0x40
	v_lshrrev_b32_e32 v16, 3, v17
	s_mov_b32 s19, exec_lo
	v_cmpx_gt_u32_e32 8, v17
; %bb.318:                              ;   in Loop: Header=BB347_15 Depth=1
	s_delay_alu instid0(VALU_DEP_3) | instskip(NEXT) | instid1(VALU_DEP_1)
	v_clz_i32_u32_e32 v16, v30
	v_min_u32_e32 v16, 32, v16
	s_delay_alu instid0(VALU_DEP_1) | instskip(NEXT) | instid1(VALU_DEP_1)
	v_subrev_nc_u32_e32 v17, 28, v16
	v_lshlrev_b64_e32 v[30:31], v17, v[30:31]
	s_delay_alu instid0(VALU_DEP_1)
	v_dual_sub_nc_u32 v16, 29, v16 :: v_dual_bitop2_b32 v30, 7, v30 bitop3:0x40
; %bb.319:                              ;   in Loop: Header=BB347_15 Depth=1
	s_or_b32 exec_lo, exec_lo, s19
	v_lshlrev_b32_e32 v17, 16, v38
	s_delay_alu instid0(VALU_DEP_2) | instskip(NEXT) | instid1(VALU_DEP_3)
	v_lshlrev_b32_e32 v19, 20, v30
	v_lshl_add_u32 v16, v16, 23, 0x3c000000
	s_delay_alu instid0(VALU_DEP_3) | instskip(NEXT) | instid1(VALU_DEP_1)
	v_and_b32_e32 v17, 0x80000000, v17
	v_or3_b32 v19, v19, v17, v16
.LBB347_320:                            ;   in Loop: Header=BB347_15 Depth=1
	s_or_b32 exec_lo, exec_lo, s18
.LBB347_321:                            ;   in Loop: Header=BB347_15 Depth=1
	s_delay_alu instid0(SALU_CYCLE_1)
	s_or_b32 exec_lo, exec_lo, s17
.LBB347_322:                            ;   in Loop: Header=BB347_15 Depth=1
	s_delay_alu instid0(SALU_CYCLE_1) | instskip(SKIP_3) | instid1(VALU_DEP_2)
	s_or_b32 exec_lo, exec_lo, s16
	v_dual_mov_b32 v49, 0 :: v_dual_lshrrev_b32 v16, 16, v29
	v_mov_b32_e32 v48, 0
	s_mov_b32 s16, exec_lo
	v_and_b32_e32 v17, 0xff, v16
	s_delay_alu instid0(VALU_DEP_1)
	v_cmpx_ne_u16_e32 0, v17
	s_cbranch_execz .LBB347_330
; %bb.323:                              ;   in Loop: Header=BB347_15 Depth=1
	v_bfrev_b32_e32 v48, 1
	s_mov_b32 s17, exec_lo
	v_cmpx_ne_u16_e32 0x80, v17
	s_cbranch_execz .LBB347_329
; %bb.324:                              ;   in Loop: Header=BB347_15 Depth=1
	v_bfe_u32 v30, v29, 16, 7
	v_mov_b32_e32 v48, 0x7f800001
	s_mov_b32 s18, exec_lo
	s_delay_alu instid0(VALU_DEP_2)
	v_cmpx_ne_u32_e32 0x7f, v30
	s_cbranch_execz .LBB347_328
; %bb.325:                              ;   in Loop: Header=BB347_15 Depth=1
	v_dual_lshrrev_b32 v17, 3, v30 :: v_dual_bitop2_b32 v38, 7, v16 bitop3:0x40
	s_mov_b32 s19, exec_lo
	v_cmpx_gt_u32_e32 8, v30
; %bb.326:                              ;   in Loop: Header=BB347_15 Depth=1
	s_delay_alu instid0(VALU_DEP_2) | instskip(NEXT) | instid1(VALU_DEP_1)
	v_clz_i32_u32_e32 v17, v38
	v_min_u32_e32 v17, 32, v17
	s_delay_alu instid0(VALU_DEP_1) | instskip(NEXT) | instid1(VALU_DEP_1)
	v_subrev_nc_u32_e32 v30, 28, v17
	v_lshlrev_b64_e32 v[30:31], v30, v[38:39]
	s_delay_alu instid0(VALU_DEP_1)
	v_dual_sub_nc_u32 v17, 29, v17 :: v_dual_bitop2_b32 v38, 7, v30 bitop3:0x40
; %bb.327:                              ;   in Loop: Header=BB347_15 Depth=1
	s_or_b32 exec_lo, exec_lo, s19
	s_delay_alu instid0(VALU_DEP_1) | instskip(NEXT) | instid1(VALU_DEP_2)
	v_dual_lshlrev_b32 v16, 24, v16 :: v_dual_lshlrev_b32 v30, 20, v38
	v_lshl_add_u32 v17, v17, 23, 0x3c000000
	s_delay_alu instid0(VALU_DEP_2) | instskip(NEXT) | instid1(VALU_DEP_1)
	v_and_b32_e32 v16, 0x80000000, v16
	v_or3_b32 v48, v30, v16, v17
.LBB347_328:                            ;   in Loop: Header=BB347_15 Depth=1
	s_or_b32 exec_lo, exec_lo, s18
.LBB347_329:                            ;   in Loop: Header=BB347_15 Depth=1
	s_delay_alu instid0(SALU_CYCLE_1)
	s_or_b32 exec_lo, exec_lo, s17
.LBB347_330:                            ;   in Loop: Header=BB347_15 Depth=1
	s_delay_alu instid0(SALU_CYCLE_1) | instskip(NEXT) | instid1(SALU_CYCLE_1)
	s_or_b32 exec_lo, exec_lo, s16
	s_mov_b32 s16, exec_lo
	v_cmpx_lt_u64_e64 s[8:9], v[28:29]
	s_cbranch_execz .LBB347_338
; %bb.331:                              ;   in Loop: Header=BB347_15 Depth=1
	v_lshrrev_b32_e32 v16, 24, v29
	v_bfrev_b32_e32 v49, 1
	s_mov_b32 s17, exec_lo
	s_delay_alu instid0(VALU_DEP_2)
	v_cmpx_ne_u32_e32 0x80, v16
	s_cbranch_execz .LBB347_337
; %bb.332:                              ;   in Loop: Header=BB347_15 Depth=1
	v_bfe_u32 v28, v29, 24, 7
	v_mov_b32_e32 v49, 0x7f800001
	s_mov_b32 s18, exec_lo
	s_delay_alu instid0(VALU_DEP_2)
	v_cmpx_ne_u32_e32 0x7f, v28
	s_cbranch_execz .LBB347_336
; %bb.333:                              ;   in Loop: Header=BB347_15 Depth=1
	v_and_b32_e32 v38, 7, v16
	v_lshrrev_b32_e32 v17, 3, v28
	s_mov_b32 s19, exec_lo
	v_cmpx_gt_u32_e32 8, v28
; %bb.334:                              ;   in Loop: Header=BB347_15 Depth=1
	s_delay_alu instid0(VALU_DEP_3) | instskip(NEXT) | instid1(VALU_DEP_1)
	v_clz_i32_u32_e32 v17, v38
	v_min_u32_e32 v17, 32, v17
	s_delay_alu instid0(VALU_DEP_1) | instskip(NEXT) | instid1(VALU_DEP_1)
	v_subrev_nc_u32_e32 v28, 28, v17
	v_lshlrev_b64_e32 v[28:29], v28, v[38:39]
	s_delay_alu instid0(VALU_DEP_1)
	v_dual_sub_nc_u32 v17, 29, v17 :: v_dual_bitop2_b32 v38, 7, v28 bitop3:0x40
; %bb.335:                              ;   in Loop: Header=BB347_15 Depth=1
	s_or_b32 exec_lo, exec_lo, s19
	s_delay_alu instid0(VALU_DEP_1) | instskip(NEXT) | instid1(VALU_DEP_2)
	v_dual_lshlrev_b32 v16, 24, v16 :: v_dual_lshlrev_b32 v28, 20, v38
	v_lshl_add_u32 v17, v17, 23, 0x3c000000
	s_delay_alu instid0(VALU_DEP_2) | instskip(NEXT) | instid1(VALU_DEP_1)
	v_and_b32_e32 v16, 0x80000000, v16
	v_or3_b32 v49, v28, v16, v17
.LBB347_336:                            ;   in Loop: Header=BB347_15 Depth=1
	s_or_b32 exec_lo, exec_lo, s18
.LBB347_337:                            ;   in Loop: Header=BB347_15 Depth=1
	s_delay_alu instid0(SALU_CYCLE_1)
	s_or_b32 exec_lo, exec_lo, s17
.LBB347_338:                            ;   in Loop: Header=BB347_15 Depth=1
	s_delay_alu instid0(SALU_CYCLE_1)
	s_or_b32 exec_lo, exec_lo, s16
	flat_load_b64 v[28:29], v[0:1] offset:1032
	v_dual_mov_b32 v51, 0 :: v_dual_mov_b32 v50, 0
	s_mov_b32 s16, exec_lo
	s_wait_loadcnt_dscnt 0x0
	v_and_b32_e32 v16, 0xff, v28
	s_wait_xcnt 0x0
	s_delay_alu instid0(VALU_DEP_1)
	v_cmpx_ne_u16_e32 0, v16
	s_cbranch_execz .LBB347_346
; %bb.339:                              ;   in Loop: Header=BB347_15 Depth=1
	v_bfrev_b32_e32 v50, 1
	s_mov_b32 s17, exec_lo
	v_cmpx_ne_u16_e32 0x80, v16
	s_cbranch_execz .LBB347_345
; %bb.340:                              ;   in Loop: Header=BB347_15 Depth=1
	v_and_b32_e32 v17, 0x7f, v28
	v_mov_b32_e32 v50, 0x7f800001
	s_mov_b32 s18, exec_lo
	s_delay_alu instid0(VALU_DEP_2)
	v_cmpx_ne_u32_e32 0x7f, v17
	s_cbranch_execz .LBB347_344
; %bb.341:                              ;   in Loop: Header=BB347_15 Depth=1
	v_mov_b64_e32 v[30:31], v[28:29]
	v_lshrrev_b32_e32 v16, 3, v17
	s_mov_b32 s19, exec_lo
	v_cmpx_gt_u32_e32 8, v17
; %bb.342:                              ;   in Loop: Header=BB347_15 Depth=1
	v_and_b32_e32 v16, 7, v28
	s_delay_alu instid0(VALU_DEP_1) | instskip(NEXT) | instid1(VALU_DEP_1)
	v_clz_i32_u32_e32 v16, v16
	v_min_u32_e32 v16, 32, v16
	s_delay_alu instid0(VALU_DEP_1) | instskip(SKIP_1) | instid1(VALU_DEP_2)
	v_subrev_nc_u32_e32 v17, 28, v16
	v_sub_nc_u32_e32 v16, 29, v16
	v_lshlrev_b64_e32 v[30:31], v17, v[28:29]
; %bb.343:                              ;   in Loop: Header=BB347_15 Depth=1
	s_or_b32 exec_lo, exec_lo, s19
	s_delay_alu instid0(VALU_DEP_1) | instskip(NEXT) | instid1(VALU_DEP_3)
	v_dual_lshlrev_b32 v17, 20, v30 :: v_dual_lshlrev_b32 v30, 24, v28
	v_lshl_add_u32 v16, v16, 23, 0x3c000000
	s_delay_alu instid0(VALU_DEP_2) | instskip(NEXT) | instid1(VALU_DEP_3)
	v_and_b32_e32 v17, 0x700000, v17
	v_and_b32_e32 v30, 0x80000000, v30
	s_delay_alu instid0(VALU_DEP_1)
	v_or3_b32 v50, v17, v30, v16
.LBB347_344:                            ;   in Loop: Header=BB347_15 Depth=1
	s_or_b32 exec_lo, exec_lo, s18
.LBB347_345:                            ;   in Loop: Header=BB347_15 Depth=1
	s_delay_alu instid0(SALU_CYCLE_1)
	s_or_b32 exec_lo, exec_lo, s17
.LBB347_346:                            ;   in Loop: Header=BB347_15 Depth=1
	s_delay_alu instid0(SALU_CYCLE_1) | instskip(SKIP_2) | instid1(VALU_DEP_1)
	s_or_b32 exec_lo, exec_lo, s16
	v_lshrrev_b16 v16, 8, v28
	s_mov_b32 s16, exec_lo
	v_cmpx_ne_u16_e32 0, v16
	s_cbranch_execz .LBB347_354
; %bb.347:                              ;   in Loop: Header=BB347_15 Depth=1
	v_bfrev_b32_e32 v51, 1
	s_mov_b32 s17, exec_lo
	v_cmpx_ne_u16_e32 0x80, v16
	s_cbranch_execz .LBB347_353
; %bb.348:                              ;   in Loop: Header=BB347_15 Depth=1
	v_and_b32_e32 v16, 0xffff, v16
	v_mov_b32_e32 v51, 0x7f800001
	s_mov_b32 s18, exec_lo
	s_delay_alu instid0(VALU_DEP_2) | instskip(NEXT) | instid1(VALU_DEP_1)
	v_and_b32_e32 v17, 0x7f, v16
	v_cmpx_ne_u32_e32 0x7f, v17
	s_cbranch_execz .LBB347_352
; %bb.349:                              ;   in Loop: Header=BB347_15 Depth=1
	v_dual_lshrrev_b32 v16, 3, v17 :: v_dual_bitop2_b32 v38, 7, v16 bitop3:0x40
	s_mov_b32 s19, exec_lo
	v_cmpx_gt_u32_e32 8, v17
; %bb.350:                              ;   in Loop: Header=BB347_15 Depth=1
	s_delay_alu instid0(VALU_DEP_2) | instskip(NEXT) | instid1(VALU_DEP_1)
	v_clz_i32_u32_e32 v16, v38
	v_min_u32_e32 v16, 32, v16
	s_delay_alu instid0(VALU_DEP_1) | instskip(NEXT) | instid1(VALU_DEP_1)
	v_subrev_nc_u32_e32 v17, 28, v16
	v_lshlrev_b64_e32 v[30:31], v17, v[38:39]
	s_delay_alu instid0(VALU_DEP_1)
	v_dual_sub_nc_u32 v16, 29, v16 :: v_dual_bitop2_b32 v38, 7, v30 bitop3:0x40
; %bb.351:                              ;   in Loop: Header=BB347_15 Depth=1
	s_or_b32 exec_lo, exec_lo, s19
	s_delay_alu instid0(VALU_DEP_1) | instskip(NEXT) | instid1(VALU_DEP_2)
	v_dual_lshlrev_b32 v17, 16, v28 :: v_dual_lshlrev_b32 v30, 20, v38
	v_lshl_add_u32 v16, v16, 23, 0x3c000000
	s_delay_alu instid0(VALU_DEP_2) | instskip(NEXT) | instid1(VALU_DEP_1)
	v_and_b32_e32 v17, 0x80000000, v17
	v_or3_b32 v51, v30, v17, v16
.LBB347_352:                            ;   in Loop: Header=BB347_15 Depth=1
	s_or_b32 exec_lo, exec_lo, s18
.LBB347_353:                            ;   in Loop: Header=BB347_15 Depth=1
	s_delay_alu instid0(SALU_CYCLE_1)
	s_or_b32 exec_lo, exec_lo, s17
.LBB347_354:                            ;   in Loop: Header=BB347_15 Depth=1
	s_delay_alu instid0(SALU_CYCLE_1) | instskip(SKIP_3) | instid1(VALU_DEP_2)
	s_or_b32 exec_lo, exec_lo, s16
	v_dual_mov_b32 v53, 0 :: v_dual_lshrrev_b32 v16, 16, v28
	v_mov_b32_e32 v52, 0
	s_mov_b32 s16, exec_lo
	v_and_b32_e32 v17, 0xff, v16
	s_delay_alu instid0(VALU_DEP_1)
	v_cmpx_ne_u16_e32 0, v17
	s_cbranch_execz .LBB347_362
; %bb.355:                              ;   in Loop: Header=BB347_15 Depth=1
	v_bfrev_b32_e32 v52, 1
	s_mov_b32 s17, exec_lo
	v_cmpx_ne_u16_e32 0x80, v17
	s_cbranch_execz .LBB347_361
; %bb.356:                              ;   in Loop: Header=BB347_15 Depth=1
	v_bfe_u32 v30, v28, 16, 7
	v_mov_b32_e32 v52, 0x7f800001
	s_mov_b32 s18, exec_lo
	s_delay_alu instid0(VALU_DEP_2)
	v_cmpx_ne_u32_e32 0x7f, v30
	s_cbranch_execz .LBB347_360
; %bb.357:                              ;   in Loop: Header=BB347_15 Depth=1
	v_dual_lshrrev_b32 v17, 3, v30 :: v_dual_bitop2_b32 v38, 7, v16 bitop3:0x40
	s_mov_b32 s19, exec_lo
	v_cmpx_gt_u32_e32 8, v30
; %bb.358:                              ;   in Loop: Header=BB347_15 Depth=1
	s_delay_alu instid0(VALU_DEP_2) | instskip(NEXT) | instid1(VALU_DEP_1)
	v_clz_i32_u32_e32 v17, v38
	v_min_u32_e32 v17, 32, v17
	s_delay_alu instid0(VALU_DEP_1) | instskip(NEXT) | instid1(VALU_DEP_1)
	v_subrev_nc_u32_e32 v30, 28, v17
	v_lshlrev_b64_e32 v[30:31], v30, v[38:39]
	s_delay_alu instid0(VALU_DEP_1)
	v_dual_sub_nc_u32 v17, 29, v17 :: v_dual_bitop2_b32 v38, 7, v30 bitop3:0x40
; %bb.359:                              ;   in Loop: Header=BB347_15 Depth=1
	s_or_b32 exec_lo, exec_lo, s19
	s_delay_alu instid0(VALU_DEP_1) | instskip(NEXT) | instid1(VALU_DEP_2)
	v_dual_lshlrev_b32 v16, 24, v16 :: v_dual_lshlrev_b32 v30, 20, v38
	v_lshl_add_u32 v17, v17, 23, 0x3c000000
	s_delay_alu instid0(VALU_DEP_2) | instskip(NEXT) | instid1(VALU_DEP_1)
	v_and_b32_e32 v16, 0x80000000, v16
	v_or3_b32 v52, v30, v16, v17
.LBB347_360:                            ;   in Loop: Header=BB347_15 Depth=1
	s_or_b32 exec_lo, exec_lo, s18
.LBB347_361:                            ;   in Loop: Header=BB347_15 Depth=1
	s_delay_alu instid0(SALU_CYCLE_1)
	s_or_b32 exec_lo, exec_lo, s17
.LBB347_362:                            ;   in Loop: Header=BB347_15 Depth=1
	s_delay_alu instid0(SALU_CYCLE_1) | instskip(NEXT) | instid1(SALU_CYCLE_1)
	s_or_b32 exec_lo, exec_lo, s16
	s_mov_b32 s16, exec_lo
	v_cmpx_lt_u32_e32 0xffffff, v28
	s_cbranch_execz .LBB347_370
; %bb.363:                              ;   in Loop: Header=BB347_15 Depth=1
	v_lshrrev_b32_e32 v16, 24, v28
	v_bfrev_b32_e32 v53, 1
	s_mov_b32 s17, exec_lo
	s_delay_alu instid0(VALU_DEP_2)
	v_cmpx_ne_u32_e32 0x80, v16
	s_cbranch_execz .LBB347_369
; %bb.364:                              ;   in Loop: Header=BB347_15 Depth=1
	v_bfe_u32 v30, v28, 24, 7
	v_mov_b32_e32 v53, 0x7f800001
	s_mov_b32 s18, exec_lo
	s_delay_alu instid0(VALU_DEP_2)
	v_cmpx_ne_u32_e32 0x7f, v30
	s_cbranch_execz .LBB347_368
; %bb.365:                              ;   in Loop: Header=BB347_15 Depth=1
	v_dual_lshrrev_b32 v17, 3, v30 :: v_dual_bitop2_b32 v38, 7, v16 bitop3:0x40
	s_mov_b32 s19, exec_lo
	v_cmpx_gt_u32_e32 8, v30
; %bb.366:                              ;   in Loop: Header=BB347_15 Depth=1
	s_delay_alu instid0(VALU_DEP_2) | instskip(NEXT) | instid1(VALU_DEP_1)
	v_clz_i32_u32_e32 v17, v38
	v_min_u32_e32 v17, 32, v17
	s_delay_alu instid0(VALU_DEP_1) | instskip(NEXT) | instid1(VALU_DEP_1)
	v_subrev_nc_u32_e32 v30, 28, v17
	v_lshlrev_b64_e32 v[30:31], v30, v[38:39]
	s_delay_alu instid0(VALU_DEP_1)
	v_dual_sub_nc_u32 v17, 29, v17 :: v_dual_bitop2_b32 v38, 7, v30 bitop3:0x40
; %bb.367:                              ;   in Loop: Header=BB347_15 Depth=1
	s_or_b32 exec_lo, exec_lo, s19
	s_delay_alu instid0(VALU_DEP_1) | instskip(NEXT) | instid1(VALU_DEP_2)
	v_dual_lshlrev_b32 v16, 24, v16 :: v_dual_lshlrev_b32 v30, 20, v38
	v_lshl_add_u32 v17, v17, 23, 0x3c000000
	s_delay_alu instid0(VALU_DEP_2) | instskip(NEXT) | instid1(VALU_DEP_1)
	v_and_b32_e32 v16, 0x80000000, v16
	v_or3_b32 v53, v30, v16, v17
.LBB347_368:                            ;   in Loop: Header=BB347_15 Depth=1
	s_or_b32 exec_lo, exec_lo, s18
.LBB347_369:                            ;   in Loop: Header=BB347_15 Depth=1
	s_delay_alu instid0(SALU_CYCLE_1)
	s_or_b32 exec_lo, exec_lo, s17
.LBB347_370:                            ;   in Loop: Header=BB347_15 Depth=1
	s_delay_alu instid0(SALU_CYCLE_1) | instskip(SKIP_4) | instid1(VALU_DEP_3)
	s_or_b32 exec_lo, exec_lo, s16
	v_and_b32_e32 v16, 0xff, v29
	v_dual_mov_b32 v38, v29 :: v_dual_mov_b32 v55, 0
	v_mov_b32_e32 v54, 0
	s_mov_b32 s16, exec_lo
	v_cmpx_ne_u16_e32 0, v16
	s_cbranch_execz .LBB347_378
; %bb.371:                              ;   in Loop: Header=BB347_15 Depth=1
	v_bfrev_b32_e32 v54, 1
	s_mov_b32 s17, exec_lo
	v_cmpx_ne_u16_e32 0x80, v16
	s_cbranch_execz .LBB347_377
; %bb.372:                              ;   in Loop: Header=BB347_15 Depth=1
	v_and_b32_e32 v17, 0x7f, v29
	v_mov_b32_e32 v54, 0x7f800001
	s_mov_b32 s18, exec_lo
	s_delay_alu instid0(VALU_DEP_2)
	v_cmpx_ne_u32_e32 0x7f, v17
	s_cbranch_execz .LBB347_376
; %bb.373:                              ;   in Loop: Header=BB347_15 Depth=1
	v_mov_b64_e32 v[30:31], v[38:39]
	v_lshrrev_b32_e32 v16, 3, v17
	s_mov_b32 s19, exec_lo
	v_cmpx_gt_u32_e32 8, v17
; %bb.374:                              ;   in Loop: Header=BB347_15 Depth=1
	v_and_b32_e32 v16, 7, v29
	s_delay_alu instid0(VALU_DEP_1) | instskip(NEXT) | instid1(VALU_DEP_1)
	v_clz_i32_u32_e32 v16, v16
	v_min_u32_e32 v16, 32, v16
	s_delay_alu instid0(VALU_DEP_1) | instskip(SKIP_1) | instid1(VALU_DEP_2)
	v_subrev_nc_u32_e32 v17, 28, v16
	v_sub_nc_u32_e32 v16, 29, v16
	v_lshlrev_b64_e32 v[30:31], v17, v[38:39]
; %bb.375:                              ;   in Loop: Header=BB347_15 Depth=1
	s_or_b32 exec_lo, exec_lo, s19
	s_delay_alu instid0(VALU_DEP_1) | instskip(SKIP_2) | instid1(VALU_DEP_3)
	v_lshlrev_b32_e32 v17, 20, v30
	v_lshlrev_b32_e32 v30, 24, v38
	v_lshl_add_u32 v16, v16, 23, 0x3c000000
	v_and_b32_e32 v17, 0x700000, v17
	s_delay_alu instid0(VALU_DEP_3) | instskip(NEXT) | instid1(VALU_DEP_1)
	v_and_b32_e32 v30, 0x80000000, v30
	v_or3_b32 v54, v17, v30, v16
.LBB347_376:                            ;   in Loop: Header=BB347_15 Depth=1
	s_or_b32 exec_lo, exec_lo, s18
.LBB347_377:                            ;   in Loop: Header=BB347_15 Depth=1
	s_delay_alu instid0(SALU_CYCLE_1)
	s_or_b32 exec_lo, exec_lo, s17
.LBB347_378:                            ;   in Loop: Header=BB347_15 Depth=1
	s_delay_alu instid0(SALU_CYCLE_1) | instskip(SKIP_2) | instid1(VALU_DEP_1)
	s_or_b32 exec_lo, exec_lo, s16
	v_lshrrev_b16 v16, 8, v38
	s_mov_b32 s16, exec_lo
	v_cmpx_ne_u16_e32 0, v16
	s_cbranch_execz .LBB347_386
; %bb.379:                              ;   in Loop: Header=BB347_15 Depth=1
	v_bfrev_b32_e32 v55, 1
	s_mov_b32 s17, exec_lo
	v_cmpx_ne_u16_e32 0x80, v16
	s_cbranch_execz .LBB347_385
; %bb.380:                              ;   in Loop: Header=BB347_15 Depth=1
	v_and_b32_e32 v16, 0xffff, v16
	v_mov_b32_e32 v55, 0x7f800001
	s_mov_b32 s18, exec_lo
	s_delay_alu instid0(VALU_DEP_2) | instskip(NEXT) | instid1(VALU_DEP_1)
	v_and_b32_e32 v17, 0x7f, v16
	v_cmpx_ne_u32_e32 0x7f, v17
	s_cbranch_execz .LBB347_384
; %bb.381:                              ;   in Loop: Header=BB347_15 Depth=1
	v_dual_mov_b32 v31, v39 :: v_dual_bitop2_b32 v30, 7, v16 bitop3:0x40
	v_lshrrev_b32_e32 v16, 3, v17
	s_mov_b32 s19, exec_lo
	v_cmpx_gt_u32_e32 8, v17
; %bb.382:                              ;   in Loop: Header=BB347_15 Depth=1
	s_delay_alu instid0(VALU_DEP_3) | instskip(NEXT) | instid1(VALU_DEP_1)
	v_clz_i32_u32_e32 v16, v30
	v_min_u32_e32 v16, 32, v16
	s_delay_alu instid0(VALU_DEP_1) | instskip(NEXT) | instid1(VALU_DEP_1)
	v_subrev_nc_u32_e32 v17, 28, v16
	v_lshlrev_b64_e32 v[30:31], v17, v[30:31]
	s_delay_alu instid0(VALU_DEP_1)
	v_dual_sub_nc_u32 v16, 29, v16 :: v_dual_bitop2_b32 v30, 7, v30 bitop3:0x40
; %bb.383:                              ;   in Loop: Header=BB347_15 Depth=1
	s_or_b32 exec_lo, exec_lo, s19
	v_lshlrev_b32_e32 v17, 16, v38
	s_delay_alu instid0(VALU_DEP_2) | instskip(NEXT) | instid1(VALU_DEP_3)
	v_lshlrev_b32_e32 v30, 20, v30
	v_lshl_add_u32 v16, v16, 23, 0x3c000000
	s_delay_alu instid0(VALU_DEP_3) | instskip(NEXT) | instid1(VALU_DEP_1)
	v_and_b32_e32 v17, 0x80000000, v17
	v_or3_b32 v55, v30, v17, v16
.LBB347_384:                            ;   in Loop: Header=BB347_15 Depth=1
	s_or_b32 exec_lo, exec_lo, s18
.LBB347_385:                            ;   in Loop: Header=BB347_15 Depth=1
	s_delay_alu instid0(SALU_CYCLE_1)
	s_or_b32 exec_lo, exec_lo, s17
.LBB347_386:                            ;   in Loop: Header=BB347_15 Depth=1
	s_delay_alu instid0(SALU_CYCLE_1) | instskip(SKIP_3) | instid1(VALU_DEP_2)
	s_or_b32 exec_lo, exec_lo, s16
	v_dual_mov_b32 v65, 0 :: v_dual_lshrrev_b32 v16, 16, v29
	v_mov_b32_e32 v64, 0
	s_mov_b32 s16, exec_lo
	v_and_b32_e32 v17, 0xff, v16
	s_delay_alu instid0(VALU_DEP_1)
	v_cmpx_ne_u16_e32 0, v17
	s_cbranch_execz .LBB347_394
; %bb.387:                              ;   in Loop: Header=BB347_15 Depth=1
	v_bfrev_b32_e32 v64, 1
	s_mov_b32 s17, exec_lo
	v_cmpx_ne_u16_e32 0x80, v17
	s_cbranch_execz .LBB347_393
; %bb.388:                              ;   in Loop: Header=BB347_15 Depth=1
	v_bfe_u32 v30, v29, 16, 7
	v_mov_b32_e32 v64, 0x7f800001
	s_mov_b32 s18, exec_lo
	s_delay_alu instid0(VALU_DEP_2)
	v_cmpx_ne_u32_e32 0x7f, v30
	s_cbranch_execz .LBB347_392
; %bb.389:                              ;   in Loop: Header=BB347_15 Depth=1
	v_dual_lshrrev_b32 v17, 3, v30 :: v_dual_bitop2_b32 v38, 7, v16 bitop3:0x40
	s_mov_b32 s19, exec_lo
	v_cmpx_gt_u32_e32 8, v30
; %bb.390:                              ;   in Loop: Header=BB347_15 Depth=1
	s_delay_alu instid0(VALU_DEP_2) | instskip(NEXT) | instid1(VALU_DEP_1)
	v_clz_i32_u32_e32 v17, v38
	v_min_u32_e32 v17, 32, v17
	s_delay_alu instid0(VALU_DEP_1) | instskip(NEXT) | instid1(VALU_DEP_1)
	v_subrev_nc_u32_e32 v30, 28, v17
	v_lshlrev_b64_e32 v[30:31], v30, v[38:39]
	s_delay_alu instid0(VALU_DEP_1)
	v_dual_sub_nc_u32 v17, 29, v17 :: v_dual_bitop2_b32 v38, 7, v30 bitop3:0x40
; %bb.391:                              ;   in Loop: Header=BB347_15 Depth=1
	s_or_b32 exec_lo, exec_lo, s19
	s_delay_alu instid0(VALU_DEP_1) | instskip(NEXT) | instid1(VALU_DEP_2)
	v_dual_lshlrev_b32 v16, 24, v16 :: v_dual_lshlrev_b32 v30, 20, v38
	v_lshl_add_u32 v17, v17, 23, 0x3c000000
	s_delay_alu instid0(VALU_DEP_2) | instskip(NEXT) | instid1(VALU_DEP_1)
	v_and_b32_e32 v16, 0x80000000, v16
	v_or3_b32 v64, v30, v16, v17
.LBB347_392:                            ;   in Loop: Header=BB347_15 Depth=1
	s_or_b32 exec_lo, exec_lo, s18
.LBB347_393:                            ;   in Loop: Header=BB347_15 Depth=1
	s_delay_alu instid0(SALU_CYCLE_1)
	s_or_b32 exec_lo, exec_lo, s17
.LBB347_394:                            ;   in Loop: Header=BB347_15 Depth=1
	s_delay_alu instid0(SALU_CYCLE_1) | instskip(NEXT) | instid1(SALU_CYCLE_1)
	s_or_b32 exec_lo, exec_lo, s16
	s_mov_b32 s16, exec_lo
	v_cmpx_lt_u64_e64 s[8:9], v[28:29]
	s_cbranch_execz .LBB347_402
; %bb.395:                              ;   in Loop: Header=BB347_15 Depth=1
	v_lshrrev_b32_e32 v16, 24, v29
	v_bfrev_b32_e32 v65, 1
	s_mov_b32 s17, exec_lo
	s_delay_alu instid0(VALU_DEP_2)
	v_cmpx_ne_u32_e32 0x80, v16
	s_cbranch_execz .LBB347_401
; %bb.396:                              ;   in Loop: Header=BB347_15 Depth=1
	v_bfe_u32 v28, v29, 24, 7
	v_mov_b32_e32 v65, 0x7f800001
	s_mov_b32 s18, exec_lo
	s_delay_alu instid0(VALU_DEP_2)
	v_cmpx_ne_u32_e32 0x7f, v28
	s_cbranch_execz .LBB347_400
; %bb.397:                              ;   in Loop: Header=BB347_15 Depth=1
	v_and_b32_e32 v38, 7, v16
	v_lshrrev_b32_e32 v17, 3, v28
	s_mov_b32 s19, exec_lo
	v_cmpx_gt_u32_e32 8, v28
; %bb.398:                              ;   in Loop: Header=BB347_15 Depth=1
	s_delay_alu instid0(VALU_DEP_3) | instskip(NEXT) | instid1(VALU_DEP_1)
	v_clz_i32_u32_e32 v17, v38
	v_min_u32_e32 v17, 32, v17
	s_delay_alu instid0(VALU_DEP_1) | instskip(NEXT) | instid1(VALU_DEP_1)
	v_subrev_nc_u32_e32 v28, 28, v17
	v_lshlrev_b64_e32 v[28:29], v28, v[38:39]
	s_delay_alu instid0(VALU_DEP_1)
	v_dual_sub_nc_u32 v17, 29, v17 :: v_dual_bitop2_b32 v38, 7, v28 bitop3:0x40
; %bb.399:                              ;   in Loop: Header=BB347_15 Depth=1
	s_or_b32 exec_lo, exec_lo, s19
	s_delay_alu instid0(VALU_DEP_1) | instskip(NEXT) | instid1(VALU_DEP_2)
	v_dual_lshlrev_b32 v16, 24, v16 :: v_dual_lshlrev_b32 v28, 20, v38
	v_lshl_add_u32 v17, v17, 23, 0x3c000000
	s_delay_alu instid0(VALU_DEP_2) | instskip(NEXT) | instid1(VALU_DEP_1)
	v_and_b32_e32 v16, 0x80000000, v16
	v_or3_b32 v65, v28, v16, v17
.LBB347_400:                            ;   in Loop: Header=BB347_15 Depth=1
	s_or_b32 exec_lo, exec_lo, s18
.LBB347_401:                            ;   in Loop: Header=BB347_15 Depth=1
	s_delay_alu instid0(SALU_CYCLE_1)
	s_or_b32 exec_lo, exec_lo, s17
.LBB347_402:                            ;   in Loop: Header=BB347_15 Depth=1
	s_delay_alu instid0(SALU_CYCLE_1)
	s_or_b32 exec_lo, exec_lo, s16
	flat_load_b64 v[28:29], v[0:1] offset:1536
	v_dual_mov_b32 v67, 0 :: v_dual_mov_b32 v66, 0
	s_mov_b32 s16, exec_lo
	s_wait_loadcnt_dscnt 0x0
	v_and_b32_e32 v16, 0xff, v28
	s_wait_xcnt 0x0
	s_delay_alu instid0(VALU_DEP_1)
	v_cmpx_ne_u16_e32 0, v16
	s_cbranch_execz .LBB347_410
; %bb.403:                              ;   in Loop: Header=BB347_15 Depth=1
	v_bfrev_b32_e32 v66, 1
	s_mov_b32 s17, exec_lo
	v_cmpx_ne_u16_e32 0x80, v16
	s_cbranch_execz .LBB347_409
; %bb.404:                              ;   in Loop: Header=BB347_15 Depth=1
	v_and_b32_e32 v17, 0x7f, v28
	v_mov_b32_e32 v66, 0x7f800001
	s_mov_b32 s18, exec_lo
	s_delay_alu instid0(VALU_DEP_2)
	v_cmpx_ne_u32_e32 0x7f, v17
	s_cbranch_execz .LBB347_408
; %bb.405:                              ;   in Loop: Header=BB347_15 Depth=1
	v_mov_b64_e32 v[30:31], v[28:29]
	v_lshrrev_b32_e32 v16, 3, v17
	s_mov_b32 s19, exec_lo
	v_cmpx_gt_u32_e32 8, v17
; %bb.406:                              ;   in Loop: Header=BB347_15 Depth=1
	v_and_b32_e32 v16, 7, v28
	s_delay_alu instid0(VALU_DEP_1) | instskip(NEXT) | instid1(VALU_DEP_1)
	v_clz_i32_u32_e32 v16, v16
	v_min_u32_e32 v16, 32, v16
	s_delay_alu instid0(VALU_DEP_1) | instskip(SKIP_1) | instid1(VALU_DEP_2)
	v_subrev_nc_u32_e32 v17, 28, v16
	v_sub_nc_u32_e32 v16, 29, v16
	v_lshlrev_b64_e32 v[30:31], v17, v[28:29]
; %bb.407:                              ;   in Loop: Header=BB347_15 Depth=1
	s_or_b32 exec_lo, exec_lo, s19
	s_delay_alu instid0(VALU_DEP_1) | instskip(NEXT) | instid1(VALU_DEP_3)
	v_dual_lshlrev_b32 v17, 20, v30 :: v_dual_lshlrev_b32 v30, 24, v28
	v_lshl_add_u32 v16, v16, 23, 0x3c000000
	s_delay_alu instid0(VALU_DEP_2) | instskip(NEXT) | instid1(VALU_DEP_3)
	v_and_b32_e32 v17, 0x700000, v17
	v_and_b32_e32 v30, 0x80000000, v30
	s_delay_alu instid0(VALU_DEP_1)
	v_or3_b32 v66, v17, v30, v16
.LBB347_408:                            ;   in Loop: Header=BB347_15 Depth=1
	s_or_b32 exec_lo, exec_lo, s18
.LBB347_409:                            ;   in Loop: Header=BB347_15 Depth=1
	s_delay_alu instid0(SALU_CYCLE_1)
	s_or_b32 exec_lo, exec_lo, s17
.LBB347_410:                            ;   in Loop: Header=BB347_15 Depth=1
	s_delay_alu instid0(SALU_CYCLE_1) | instskip(SKIP_2) | instid1(VALU_DEP_1)
	s_or_b32 exec_lo, exec_lo, s16
	v_lshrrev_b16 v16, 8, v28
	s_mov_b32 s16, exec_lo
	v_cmpx_ne_u16_e32 0, v16
	s_cbranch_execz .LBB347_418
; %bb.411:                              ;   in Loop: Header=BB347_15 Depth=1
	v_bfrev_b32_e32 v67, 1
	s_mov_b32 s17, exec_lo
	v_cmpx_ne_u16_e32 0x80, v16
	s_cbranch_execz .LBB347_417
; %bb.412:                              ;   in Loop: Header=BB347_15 Depth=1
	v_and_b32_e32 v16, 0xffff, v16
	v_mov_b32_e32 v67, 0x7f800001
	s_mov_b32 s18, exec_lo
	s_delay_alu instid0(VALU_DEP_2) | instskip(NEXT) | instid1(VALU_DEP_1)
	v_and_b32_e32 v17, 0x7f, v16
	v_cmpx_ne_u32_e32 0x7f, v17
	s_cbranch_execz .LBB347_416
; %bb.413:                              ;   in Loop: Header=BB347_15 Depth=1
	v_dual_lshrrev_b32 v16, 3, v17 :: v_dual_bitop2_b32 v38, 7, v16 bitop3:0x40
	s_mov_b32 s19, exec_lo
	v_cmpx_gt_u32_e32 8, v17
; %bb.414:                              ;   in Loop: Header=BB347_15 Depth=1
	s_delay_alu instid0(VALU_DEP_2) | instskip(NEXT) | instid1(VALU_DEP_1)
	v_clz_i32_u32_e32 v16, v38
	v_min_u32_e32 v16, 32, v16
	s_delay_alu instid0(VALU_DEP_1) | instskip(NEXT) | instid1(VALU_DEP_1)
	v_subrev_nc_u32_e32 v17, 28, v16
	v_lshlrev_b64_e32 v[30:31], v17, v[38:39]
	s_delay_alu instid0(VALU_DEP_1)
	v_dual_sub_nc_u32 v16, 29, v16 :: v_dual_bitop2_b32 v38, 7, v30 bitop3:0x40
; %bb.415:                              ;   in Loop: Header=BB347_15 Depth=1
	s_or_b32 exec_lo, exec_lo, s19
	s_delay_alu instid0(VALU_DEP_1) | instskip(NEXT) | instid1(VALU_DEP_2)
	v_dual_lshlrev_b32 v17, 16, v28 :: v_dual_lshlrev_b32 v30, 20, v38
	v_lshl_add_u32 v16, v16, 23, 0x3c000000
	s_delay_alu instid0(VALU_DEP_2) | instskip(NEXT) | instid1(VALU_DEP_1)
	v_and_b32_e32 v17, 0x80000000, v17
	v_or3_b32 v67, v30, v17, v16
.LBB347_416:                            ;   in Loop: Header=BB347_15 Depth=1
	s_or_b32 exec_lo, exec_lo, s18
.LBB347_417:                            ;   in Loop: Header=BB347_15 Depth=1
	s_delay_alu instid0(SALU_CYCLE_1)
	s_or_b32 exec_lo, exec_lo, s17
.LBB347_418:                            ;   in Loop: Header=BB347_15 Depth=1
	s_delay_alu instid0(SALU_CYCLE_1) | instskip(SKIP_3) | instid1(VALU_DEP_2)
	s_or_b32 exec_lo, exec_lo, s16
	v_dual_mov_b32 v69, 0 :: v_dual_lshrrev_b32 v16, 16, v28
	v_mov_b32_e32 v68, 0
	s_mov_b32 s16, exec_lo
	v_and_b32_e32 v17, 0xff, v16
	s_delay_alu instid0(VALU_DEP_1)
	v_cmpx_ne_u16_e32 0, v17
	s_cbranch_execz .LBB347_426
; %bb.419:                              ;   in Loop: Header=BB347_15 Depth=1
	v_bfrev_b32_e32 v68, 1
	s_mov_b32 s17, exec_lo
	v_cmpx_ne_u16_e32 0x80, v17
	s_cbranch_execz .LBB347_425
; %bb.420:                              ;   in Loop: Header=BB347_15 Depth=1
	v_bfe_u32 v30, v28, 16, 7
	v_mov_b32_e32 v68, 0x7f800001
	s_mov_b32 s18, exec_lo
	s_delay_alu instid0(VALU_DEP_2)
	v_cmpx_ne_u32_e32 0x7f, v30
	s_cbranch_execz .LBB347_424
; %bb.421:                              ;   in Loop: Header=BB347_15 Depth=1
	v_dual_lshrrev_b32 v17, 3, v30 :: v_dual_bitop2_b32 v38, 7, v16 bitop3:0x40
	s_mov_b32 s19, exec_lo
	v_cmpx_gt_u32_e32 8, v30
; %bb.422:                              ;   in Loop: Header=BB347_15 Depth=1
	s_delay_alu instid0(VALU_DEP_2) | instskip(NEXT) | instid1(VALU_DEP_1)
	v_clz_i32_u32_e32 v17, v38
	v_min_u32_e32 v17, 32, v17
	s_delay_alu instid0(VALU_DEP_1) | instskip(NEXT) | instid1(VALU_DEP_1)
	v_subrev_nc_u32_e32 v30, 28, v17
	v_lshlrev_b64_e32 v[30:31], v30, v[38:39]
	s_delay_alu instid0(VALU_DEP_1)
	v_dual_sub_nc_u32 v17, 29, v17 :: v_dual_bitop2_b32 v38, 7, v30 bitop3:0x40
; %bb.423:                              ;   in Loop: Header=BB347_15 Depth=1
	s_or_b32 exec_lo, exec_lo, s19
	s_delay_alu instid0(VALU_DEP_1) | instskip(NEXT) | instid1(VALU_DEP_2)
	v_dual_lshlrev_b32 v16, 24, v16 :: v_dual_lshlrev_b32 v30, 20, v38
	v_lshl_add_u32 v17, v17, 23, 0x3c000000
	s_delay_alu instid0(VALU_DEP_2) | instskip(NEXT) | instid1(VALU_DEP_1)
	v_and_b32_e32 v16, 0x80000000, v16
	v_or3_b32 v68, v30, v16, v17
.LBB347_424:                            ;   in Loop: Header=BB347_15 Depth=1
	s_or_b32 exec_lo, exec_lo, s18
.LBB347_425:                            ;   in Loop: Header=BB347_15 Depth=1
	s_delay_alu instid0(SALU_CYCLE_1)
	s_or_b32 exec_lo, exec_lo, s17
.LBB347_426:                            ;   in Loop: Header=BB347_15 Depth=1
	s_delay_alu instid0(SALU_CYCLE_1) | instskip(NEXT) | instid1(SALU_CYCLE_1)
	s_or_b32 exec_lo, exec_lo, s16
	s_mov_b32 s16, exec_lo
	v_cmpx_lt_u32_e32 0xffffff, v28
	s_cbranch_execz .LBB347_434
; %bb.427:                              ;   in Loop: Header=BB347_15 Depth=1
	v_lshrrev_b32_e32 v16, 24, v28
	v_bfrev_b32_e32 v69, 1
	s_mov_b32 s17, exec_lo
	s_delay_alu instid0(VALU_DEP_2)
	v_cmpx_ne_u32_e32 0x80, v16
	s_cbranch_execz .LBB347_433
; %bb.428:                              ;   in Loop: Header=BB347_15 Depth=1
	v_bfe_u32 v30, v28, 24, 7
	v_mov_b32_e32 v69, 0x7f800001
	s_mov_b32 s18, exec_lo
	s_delay_alu instid0(VALU_DEP_2)
	v_cmpx_ne_u32_e32 0x7f, v30
	s_cbranch_execz .LBB347_432
; %bb.429:                              ;   in Loop: Header=BB347_15 Depth=1
	v_dual_lshrrev_b32 v17, 3, v30 :: v_dual_bitop2_b32 v38, 7, v16 bitop3:0x40
	s_mov_b32 s19, exec_lo
	v_cmpx_gt_u32_e32 8, v30
; %bb.430:                              ;   in Loop: Header=BB347_15 Depth=1
	s_delay_alu instid0(VALU_DEP_2) | instskip(NEXT) | instid1(VALU_DEP_1)
	v_clz_i32_u32_e32 v17, v38
	v_min_u32_e32 v17, 32, v17
	s_delay_alu instid0(VALU_DEP_1) | instskip(NEXT) | instid1(VALU_DEP_1)
	v_subrev_nc_u32_e32 v30, 28, v17
	v_lshlrev_b64_e32 v[30:31], v30, v[38:39]
	s_delay_alu instid0(VALU_DEP_1)
	v_dual_sub_nc_u32 v17, 29, v17 :: v_dual_bitop2_b32 v38, 7, v30 bitop3:0x40
; %bb.431:                              ;   in Loop: Header=BB347_15 Depth=1
	s_or_b32 exec_lo, exec_lo, s19
	s_delay_alu instid0(VALU_DEP_1) | instskip(NEXT) | instid1(VALU_DEP_2)
	v_dual_lshlrev_b32 v16, 24, v16 :: v_dual_lshlrev_b32 v30, 20, v38
	v_lshl_add_u32 v17, v17, 23, 0x3c000000
	s_delay_alu instid0(VALU_DEP_2) | instskip(NEXT) | instid1(VALU_DEP_1)
	v_and_b32_e32 v16, 0x80000000, v16
	v_or3_b32 v69, v30, v16, v17
.LBB347_432:                            ;   in Loop: Header=BB347_15 Depth=1
	s_or_b32 exec_lo, exec_lo, s18
.LBB347_433:                            ;   in Loop: Header=BB347_15 Depth=1
	s_delay_alu instid0(SALU_CYCLE_1)
	s_or_b32 exec_lo, exec_lo, s17
.LBB347_434:                            ;   in Loop: Header=BB347_15 Depth=1
	s_delay_alu instid0(SALU_CYCLE_1) | instskip(SKIP_4) | instid1(VALU_DEP_3)
	s_or_b32 exec_lo, exec_lo, s16
	v_and_b32_e32 v16, 0xff, v29
	v_dual_mov_b32 v38, v29 :: v_dual_mov_b32 v71, 0
	v_mov_b32_e32 v70, 0
	s_mov_b32 s16, exec_lo
	v_cmpx_ne_u16_e32 0, v16
	s_cbranch_execz .LBB347_442
; %bb.435:                              ;   in Loop: Header=BB347_15 Depth=1
	v_bfrev_b32_e32 v70, 1
	s_mov_b32 s17, exec_lo
	v_cmpx_ne_u16_e32 0x80, v16
	s_cbranch_execz .LBB347_441
; %bb.436:                              ;   in Loop: Header=BB347_15 Depth=1
	v_and_b32_e32 v17, 0x7f, v29
	v_mov_b32_e32 v70, 0x7f800001
	s_mov_b32 s18, exec_lo
	s_delay_alu instid0(VALU_DEP_2)
	v_cmpx_ne_u32_e32 0x7f, v17
	s_cbranch_execz .LBB347_440
; %bb.437:                              ;   in Loop: Header=BB347_15 Depth=1
	v_mov_b64_e32 v[30:31], v[38:39]
	v_lshrrev_b32_e32 v16, 3, v17
	s_mov_b32 s19, exec_lo
	v_cmpx_gt_u32_e32 8, v17
; %bb.438:                              ;   in Loop: Header=BB347_15 Depth=1
	v_and_b32_e32 v16, 7, v29
	s_delay_alu instid0(VALU_DEP_1) | instskip(NEXT) | instid1(VALU_DEP_1)
	v_clz_i32_u32_e32 v16, v16
	v_min_u32_e32 v16, 32, v16
	s_delay_alu instid0(VALU_DEP_1) | instskip(SKIP_1) | instid1(VALU_DEP_2)
	v_subrev_nc_u32_e32 v17, 28, v16
	v_sub_nc_u32_e32 v16, 29, v16
	v_lshlrev_b64_e32 v[30:31], v17, v[38:39]
; %bb.439:                              ;   in Loop: Header=BB347_15 Depth=1
	s_or_b32 exec_lo, exec_lo, s19
	s_delay_alu instid0(VALU_DEP_1) | instskip(SKIP_2) | instid1(VALU_DEP_3)
	v_lshlrev_b32_e32 v17, 20, v30
	v_lshlrev_b32_e32 v30, 24, v38
	v_lshl_add_u32 v16, v16, 23, 0x3c000000
	v_and_b32_e32 v17, 0x700000, v17
	s_delay_alu instid0(VALU_DEP_3) | instskip(NEXT) | instid1(VALU_DEP_1)
	v_and_b32_e32 v30, 0x80000000, v30
	v_or3_b32 v70, v17, v30, v16
.LBB347_440:                            ;   in Loop: Header=BB347_15 Depth=1
	s_or_b32 exec_lo, exec_lo, s18
.LBB347_441:                            ;   in Loop: Header=BB347_15 Depth=1
	s_delay_alu instid0(SALU_CYCLE_1)
	s_or_b32 exec_lo, exec_lo, s17
.LBB347_442:                            ;   in Loop: Header=BB347_15 Depth=1
	s_delay_alu instid0(SALU_CYCLE_1) | instskip(SKIP_2) | instid1(VALU_DEP_1)
	s_or_b32 exec_lo, exec_lo, s16
	v_lshrrev_b16 v16, 8, v38
	s_mov_b32 s16, exec_lo
	v_cmpx_ne_u16_e32 0, v16
	s_cbranch_execz .LBB347_450
; %bb.443:                              ;   in Loop: Header=BB347_15 Depth=1
	v_bfrev_b32_e32 v71, 1
	s_mov_b32 s17, exec_lo
	v_cmpx_ne_u16_e32 0x80, v16
	s_cbranch_execz .LBB347_449
; %bb.444:                              ;   in Loop: Header=BB347_15 Depth=1
	v_and_b32_e32 v16, 0xffff, v16
	v_mov_b32_e32 v71, 0x7f800001
	s_mov_b32 s18, exec_lo
	s_delay_alu instid0(VALU_DEP_2) | instskip(NEXT) | instid1(VALU_DEP_1)
	v_and_b32_e32 v17, 0x7f, v16
	v_cmpx_ne_u32_e32 0x7f, v17
	s_cbranch_execz .LBB347_448
; %bb.445:                              ;   in Loop: Header=BB347_15 Depth=1
	v_dual_mov_b32 v31, v39 :: v_dual_bitop2_b32 v30, 7, v16 bitop3:0x40
	v_lshrrev_b32_e32 v16, 3, v17
	s_mov_b32 s19, exec_lo
	v_cmpx_gt_u32_e32 8, v17
; %bb.446:                              ;   in Loop: Header=BB347_15 Depth=1
	s_delay_alu instid0(VALU_DEP_3) | instskip(NEXT) | instid1(VALU_DEP_1)
	v_clz_i32_u32_e32 v16, v30
	v_min_u32_e32 v16, 32, v16
	s_delay_alu instid0(VALU_DEP_1) | instskip(NEXT) | instid1(VALU_DEP_1)
	v_subrev_nc_u32_e32 v17, 28, v16
	v_lshlrev_b64_e32 v[30:31], v17, v[30:31]
	s_delay_alu instid0(VALU_DEP_1)
	v_dual_sub_nc_u32 v16, 29, v16 :: v_dual_bitop2_b32 v30, 7, v30 bitop3:0x40
; %bb.447:                              ;   in Loop: Header=BB347_15 Depth=1
	s_or_b32 exec_lo, exec_lo, s19
	v_lshlrev_b32_e32 v17, 16, v38
	s_delay_alu instid0(VALU_DEP_2) | instskip(NEXT) | instid1(VALU_DEP_3)
	v_lshlrev_b32_e32 v30, 20, v30
	v_lshl_add_u32 v16, v16, 23, 0x3c000000
	s_delay_alu instid0(VALU_DEP_3) | instskip(NEXT) | instid1(VALU_DEP_1)
	v_and_b32_e32 v17, 0x80000000, v17
	v_or3_b32 v71, v30, v17, v16
.LBB347_448:                            ;   in Loop: Header=BB347_15 Depth=1
	s_or_b32 exec_lo, exec_lo, s18
.LBB347_449:                            ;   in Loop: Header=BB347_15 Depth=1
	s_delay_alu instid0(SALU_CYCLE_1)
	s_or_b32 exec_lo, exec_lo, s17
.LBB347_450:                            ;   in Loop: Header=BB347_15 Depth=1
	s_delay_alu instid0(SALU_CYCLE_1) | instskip(SKIP_3) | instid1(VALU_DEP_2)
	s_or_b32 exec_lo, exec_lo, s16
	v_dual_mov_b32 v81, 0 :: v_dual_lshrrev_b32 v16, 16, v29
	v_mov_b32_e32 v80, 0
	s_mov_b32 s16, exec_lo
	v_and_b32_e32 v17, 0xff, v16
	s_delay_alu instid0(VALU_DEP_1)
	v_cmpx_ne_u16_e32 0, v17
	s_cbranch_execz .LBB347_458
; %bb.451:                              ;   in Loop: Header=BB347_15 Depth=1
	v_bfrev_b32_e32 v80, 1
	s_mov_b32 s17, exec_lo
	v_cmpx_ne_u16_e32 0x80, v17
	s_cbranch_execz .LBB347_457
; %bb.452:                              ;   in Loop: Header=BB347_15 Depth=1
	v_bfe_u32 v30, v29, 16, 7
	v_mov_b32_e32 v80, 0x7f800001
	s_mov_b32 s18, exec_lo
	s_delay_alu instid0(VALU_DEP_2)
	v_cmpx_ne_u32_e32 0x7f, v30
	s_cbranch_execz .LBB347_456
; %bb.453:                              ;   in Loop: Header=BB347_15 Depth=1
	v_dual_lshrrev_b32 v17, 3, v30 :: v_dual_bitop2_b32 v38, 7, v16 bitop3:0x40
	s_mov_b32 s19, exec_lo
	v_cmpx_gt_u32_e32 8, v30
; %bb.454:                              ;   in Loop: Header=BB347_15 Depth=1
	s_delay_alu instid0(VALU_DEP_2) | instskip(NEXT) | instid1(VALU_DEP_1)
	v_clz_i32_u32_e32 v17, v38
	v_min_u32_e32 v17, 32, v17
	s_delay_alu instid0(VALU_DEP_1) | instskip(NEXT) | instid1(VALU_DEP_1)
	v_subrev_nc_u32_e32 v30, 28, v17
	v_lshlrev_b64_e32 v[30:31], v30, v[38:39]
	s_delay_alu instid0(VALU_DEP_1)
	v_dual_sub_nc_u32 v17, 29, v17 :: v_dual_bitop2_b32 v38, 7, v30 bitop3:0x40
; %bb.455:                              ;   in Loop: Header=BB347_15 Depth=1
	s_or_b32 exec_lo, exec_lo, s19
	s_delay_alu instid0(VALU_DEP_1) | instskip(NEXT) | instid1(VALU_DEP_2)
	v_dual_lshlrev_b32 v16, 24, v16 :: v_dual_lshlrev_b32 v30, 20, v38
	v_lshl_add_u32 v17, v17, 23, 0x3c000000
	s_delay_alu instid0(VALU_DEP_2) | instskip(NEXT) | instid1(VALU_DEP_1)
	v_and_b32_e32 v16, 0x80000000, v16
	v_or3_b32 v80, v30, v16, v17
.LBB347_456:                            ;   in Loop: Header=BB347_15 Depth=1
	s_or_b32 exec_lo, exec_lo, s18
.LBB347_457:                            ;   in Loop: Header=BB347_15 Depth=1
	s_delay_alu instid0(SALU_CYCLE_1)
	s_or_b32 exec_lo, exec_lo, s17
.LBB347_458:                            ;   in Loop: Header=BB347_15 Depth=1
	s_delay_alu instid0(SALU_CYCLE_1) | instskip(NEXT) | instid1(SALU_CYCLE_1)
	s_or_b32 exec_lo, exec_lo, s16
	s_mov_b32 s16, exec_lo
	v_cmpx_lt_u64_e64 s[8:9], v[28:29]
	s_cbranch_execz .LBB347_466
; %bb.459:                              ;   in Loop: Header=BB347_15 Depth=1
	v_lshrrev_b32_e32 v16, 24, v29
	v_bfrev_b32_e32 v81, 1
	s_mov_b32 s17, exec_lo
	s_delay_alu instid0(VALU_DEP_2)
	v_cmpx_ne_u32_e32 0x80, v16
	s_cbranch_execz .LBB347_465
; %bb.460:                              ;   in Loop: Header=BB347_15 Depth=1
	v_bfe_u32 v28, v29, 24, 7
	v_mov_b32_e32 v81, 0x7f800001
	s_mov_b32 s18, exec_lo
	s_delay_alu instid0(VALU_DEP_2)
	v_cmpx_ne_u32_e32 0x7f, v28
	s_cbranch_execz .LBB347_464
; %bb.461:                              ;   in Loop: Header=BB347_15 Depth=1
	v_and_b32_e32 v38, 7, v16
	v_lshrrev_b32_e32 v17, 3, v28
	s_mov_b32 s19, exec_lo
	v_cmpx_gt_u32_e32 8, v28
; %bb.462:                              ;   in Loop: Header=BB347_15 Depth=1
	s_delay_alu instid0(VALU_DEP_3) | instskip(NEXT) | instid1(VALU_DEP_1)
	v_clz_i32_u32_e32 v17, v38
	v_min_u32_e32 v17, 32, v17
	s_delay_alu instid0(VALU_DEP_1) | instskip(NEXT) | instid1(VALU_DEP_1)
	v_subrev_nc_u32_e32 v28, 28, v17
	v_lshlrev_b64_e32 v[28:29], v28, v[38:39]
	s_delay_alu instid0(VALU_DEP_1)
	v_dual_sub_nc_u32 v17, 29, v17 :: v_dual_bitop2_b32 v38, 7, v28 bitop3:0x40
; %bb.463:                              ;   in Loop: Header=BB347_15 Depth=1
	s_or_b32 exec_lo, exec_lo, s19
	s_delay_alu instid0(VALU_DEP_1) | instskip(NEXT) | instid1(VALU_DEP_2)
	v_dual_lshlrev_b32 v16, 24, v16 :: v_dual_lshlrev_b32 v28, 20, v38
	v_lshl_add_u32 v17, v17, 23, 0x3c000000
	s_delay_alu instid0(VALU_DEP_2) | instskip(NEXT) | instid1(VALU_DEP_1)
	v_and_b32_e32 v16, 0x80000000, v16
	v_or3_b32 v81, v28, v16, v17
.LBB347_464:                            ;   in Loop: Header=BB347_15 Depth=1
	s_or_b32 exec_lo, exec_lo, s18
.LBB347_465:                            ;   in Loop: Header=BB347_15 Depth=1
	s_delay_alu instid0(SALU_CYCLE_1)
	s_or_b32 exec_lo, exec_lo, s17
.LBB347_466:                            ;   in Loop: Header=BB347_15 Depth=1
	s_delay_alu instid0(SALU_CYCLE_1)
	s_or_b32 exec_lo, exec_lo, s16
	flat_load_b64 v[28:29], v[0:1] offset:1544
	v_dual_mov_b32 v83, 0 :: v_dual_mov_b32 v82, 0
	s_mov_b32 s16, exec_lo
	s_wait_loadcnt_dscnt 0x0
	v_and_b32_e32 v16, 0xff, v28
	s_wait_xcnt 0x0
	s_delay_alu instid0(VALU_DEP_1)
	v_cmpx_ne_u16_e32 0, v16
	s_cbranch_execz .LBB347_474
; %bb.467:                              ;   in Loop: Header=BB347_15 Depth=1
	v_bfrev_b32_e32 v82, 1
	s_mov_b32 s17, exec_lo
	v_cmpx_ne_u16_e32 0x80, v16
	s_cbranch_execz .LBB347_473
; %bb.468:                              ;   in Loop: Header=BB347_15 Depth=1
	v_and_b32_e32 v17, 0x7f, v28
	v_mov_b32_e32 v82, 0x7f800001
	s_mov_b32 s18, exec_lo
	s_delay_alu instid0(VALU_DEP_2)
	v_cmpx_ne_u32_e32 0x7f, v17
	s_cbranch_execz .LBB347_472
; %bb.469:                              ;   in Loop: Header=BB347_15 Depth=1
	v_mov_b64_e32 v[30:31], v[28:29]
	v_lshrrev_b32_e32 v16, 3, v17
	s_mov_b32 s19, exec_lo
	v_cmpx_gt_u32_e32 8, v17
; %bb.470:                              ;   in Loop: Header=BB347_15 Depth=1
	v_and_b32_e32 v16, 7, v28
	s_delay_alu instid0(VALU_DEP_1) | instskip(NEXT) | instid1(VALU_DEP_1)
	v_clz_i32_u32_e32 v16, v16
	v_min_u32_e32 v16, 32, v16
	s_delay_alu instid0(VALU_DEP_1) | instskip(SKIP_1) | instid1(VALU_DEP_2)
	v_subrev_nc_u32_e32 v17, 28, v16
	v_sub_nc_u32_e32 v16, 29, v16
	v_lshlrev_b64_e32 v[30:31], v17, v[28:29]
; %bb.471:                              ;   in Loop: Header=BB347_15 Depth=1
	s_or_b32 exec_lo, exec_lo, s19
	s_delay_alu instid0(VALU_DEP_1) | instskip(NEXT) | instid1(VALU_DEP_3)
	v_dual_lshlrev_b32 v17, 20, v30 :: v_dual_lshlrev_b32 v30, 24, v28
	v_lshl_add_u32 v16, v16, 23, 0x3c000000
	s_delay_alu instid0(VALU_DEP_2) | instskip(NEXT) | instid1(VALU_DEP_3)
	v_and_b32_e32 v17, 0x700000, v17
	v_and_b32_e32 v30, 0x80000000, v30
	s_delay_alu instid0(VALU_DEP_1)
	v_or3_b32 v82, v17, v30, v16
.LBB347_472:                            ;   in Loop: Header=BB347_15 Depth=1
	s_or_b32 exec_lo, exec_lo, s18
.LBB347_473:                            ;   in Loop: Header=BB347_15 Depth=1
	s_delay_alu instid0(SALU_CYCLE_1)
	s_or_b32 exec_lo, exec_lo, s17
.LBB347_474:                            ;   in Loop: Header=BB347_15 Depth=1
	s_delay_alu instid0(SALU_CYCLE_1) | instskip(SKIP_2) | instid1(VALU_DEP_1)
	s_or_b32 exec_lo, exec_lo, s16
	v_lshrrev_b16 v16, 8, v28
	s_mov_b32 s16, exec_lo
	v_cmpx_ne_u16_e32 0, v16
	s_cbranch_execz .LBB347_482
; %bb.475:                              ;   in Loop: Header=BB347_15 Depth=1
	v_bfrev_b32_e32 v83, 1
	s_mov_b32 s17, exec_lo
	v_cmpx_ne_u16_e32 0x80, v16
	s_cbranch_execz .LBB347_481
; %bb.476:                              ;   in Loop: Header=BB347_15 Depth=1
	v_and_b32_e32 v16, 0xffff, v16
	v_mov_b32_e32 v83, 0x7f800001
	s_mov_b32 s18, exec_lo
	s_delay_alu instid0(VALU_DEP_2) | instskip(NEXT) | instid1(VALU_DEP_1)
	v_and_b32_e32 v17, 0x7f, v16
	v_cmpx_ne_u32_e32 0x7f, v17
	s_cbranch_execz .LBB347_480
; %bb.477:                              ;   in Loop: Header=BB347_15 Depth=1
	v_dual_lshrrev_b32 v16, 3, v17 :: v_dual_bitop2_b32 v38, 7, v16 bitop3:0x40
	s_mov_b32 s19, exec_lo
	v_cmpx_gt_u32_e32 8, v17
; %bb.478:                              ;   in Loop: Header=BB347_15 Depth=1
	s_delay_alu instid0(VALU_DEP_2) | instskip(NEXT) | instid1(VALU_DEP_1)
	v_clz_i32_u32_e32 v16, v38
	v_min_u32_e32 v16, 32, v16
	s_delay_alu instid0(VALU_DEP_1) | instskip(NEXT) | instid1(VALU_DEP_1)
	v_subrev_nc_u32_e32 v17, 28, v16
	v_lshlrev_b64_e32 v[30:31], v17, v[38:39]
	s_delay_alu instid0(VALU_DEP_1)
	v_dual_sub_nc_u32 v16, 29, v16 :: v_dual_bitop2_b32 v38, 7, v30 bitop3:0x40
; %bb.479:                              ;   in Loop: Header=BB347_15 Depth=1
	s_or_b32 exec_lo, exec_lo, s19
	s_delay_alu instid0(VALU_DEP_1) | instskip(NEXT) | instid1(VALU_DEP_2)
	v_dual_lshlrev_b32 v17, 16, v28 :: v_dual_lshlrev_b32 v30, 20, v38
	v_lshl_add_u32 v16, v16, 23, 0x3c000000
	s_delay_alu instid0(VALU_DEP_2) | instskip(NEXT) | instid1(VALU_DEP_1)
	v_and_b32_e32 v17, 0x80000000, v17
	v_or3_b32 v83, v30, v17, v16
.LBB347_480:                            ;   in Loop: Header=BB347_15 Depth=1
	s_or_b32 exec_lo, exec_lo, s18
.LBB347_481:                            ;   in Loop: Header=BB347_15 Depth=1
	s_delay_alu instid0(SALU_CYCLE_1)
	s_or_b32 exec_lo, exec_lo, s17
.LBB347_482:                            ;   in Loop: Header=BB347_15 Depth=1
	s_delay_alu instid0(SALU_CYCLE_1) | instskip(SKIP_3) | instid1(VALU_DEP_2)
	s_or_b32 exec_lo, exec_lo, s16
	v_dual_mov_b32 v85, 0 :: v_dual_lshrrev_b32 v16, 16, v28
	v_mov_b32_e32 v84, 0
	s_mov_b32 s16, exec_lo
	v_and_b32_e32 v17, 0xff, v16
	s_delay_alu instid0(VALU_DEP_1)
	v_cmpx_ne_u16_e32 0, v17
	s_cbranch_execz .LBB347_490
; %bb.483:                              ;   in Loop: Header=BB347_15 Depth=1
	v_bfrev_b32_e32 v84, 1
	s_mov_b32 s17, exec_lo
	v_cmpx_ne_u16_e32 0x80, v17
	s_cbranch_execz .LBB347_489
; %bb.484:                              ;   in Loop: Header=BB347_15 Depth=1
	v_bfe_u32 v30, v28, 16, 7
	v_mov_b32_e32 v84, 0x7f800001
	s_mov_b32 s18, exec_lo
	s_delay_alu instid0(VALU_DEP_2)
	v_cmpx_ne_u32_e32 0x7f, v30
	s_cbranch_execz .LBB347_488
; %bb.485:                              ;   in Loop: Header=BB347_15 Depth=1
	v_dual_lshrrev_b32 v17, 3, v30 :: v_dual_bitop2_b32 v38, 7, v16 bitop3:0x40
	s_mov_b32 s19, exec_lo
	v_cmpx_gt_u32_e32 8, v30
; %bb.486:                              ;   in Loop: Header=BB347_15 Depth=1
	s_delay_alu instid0(VALU_DEP_2) | instskip(NEXT) | instid1(VALU_DEP_1)
	v_clz_i32_u32_e32 v17, v38
	v_min_u32_e32 v17, 32, v17
	s_delay_alu instid0(VALU_DEP_1) | instskip(NEXT) | instid1(VALU_DEP_1)
	v_subrev_nc_u32_e32 v30, 28, v17
	v_lshlrev_b64_e32 v[30:31], v30, v[38:39]
	s_delay_alu instid0(VALU_DEP_1)
	v_dual_sub_nc_u32 v17, 29, v17 :: v_dual_bitop2_b32 v38, 7, v30 bitop3:0x40
; %bb.487:                              ;   in Loop: Header=BB347_15 Depth=1
	s_or_b32 exec_lo, exec_lo, s19
	s_delay_alu instid0(VALU_DEP_1) | instskip(NEXT) | instid1(VALU_DEP_2)
	v_dual_lshlrev_b32 v16, 24, v16 :: v_dual_lshlrev_b32 v30, 20, v38
	v_lshl_add_u32 v17, v17, 23, 0x3c000000
	s_delay_alu instid0(VALU_DEP_2) | instskip(NEXT) | instid1(VALU_DEP_1)
	v_and_b32_e32 v16, 0x80000000, v16
	v_or3_b32 v84, v30, v16, v17
.LBB347_488:                            ;   in Loop: Header=BB347_15 Depth=1
	s_or_b32 exec_lo, exec_lo, s18
.LBB347_489:                            ;   in Loop: Header=BB347_15 Depth=1
	s_delay_alu instid0(SALU_CYCLE_1)
	s_or_b32 exec_lo, exec_lo, s17
.LBB347_490:                            ;   in Loop: Header=BB347_15 Depth=1
	s_delay_alu instid0(SALU_CYCLE_1) | instskip(NEXT) | instid1(SALU_CYCLE_1)
	s_or_b32 exec_lo, exec_lo, s16
	s_mov_b32 s16, exec_lo
	v_cmpx_lt_u32_e32 0xffffff, v28
	s_cbranch_execz .LBB347_498
; %bb.491:                              ;   in Loop: Header=BB347_15 Depth=1
	v_lshrrev_b32_e32 v16, 24, v28
	v_bfrev_b32_e32 v85, 1
	s_mov_b32 s17, exec_lo
	s_delay_alu instid0(VALU_DEP_2)
	v_cmpx_ne_u32_e32 0x80, v16
	s_cbranch_execz .LBB347_497
; %bb.492:                              ;   in Loop: Header=BB347_15 Depth=1
	v_bfe_u32 v30, v28, 24, 7
	v_mov_b32_e32 v85, 0x7f800001
	s_mov_b32 s18, exec_lo
	s_delay_alu instid0(VALU_DEP_2)
	v_cmpx_ne_u32_e32 0x7f, v30
	s_cbranch_execz .LBB347_496
; %bb.493:                              ;   in Loop: Header=BB347_15 Depth=1
	v_dual_lshrrev_b32 v17, 3, v30 :: v_dual_bitop2_b32 v38, 7, v16 bitop3:0x40
	s_mov_b32 s19, exec_lo
	v_cmpx_gt_u32_e32 8, v30
; %bb.494:                              ;   in Loop: Header=BB347_15 Depth=1
	s_delay_alu instid0(VALU_DEP_2) | instskip(NEXT) | instid1(VALU_DEP_1)
	v_clz_i32_u32_e32 v17, v38
	v_min_u32_e32 v17, 32, v17
	s_delay_alu instid0(VALU_DEP_1) | instskip(NEXT) | instid1(VALU_DEP_1)
	v_subrev_nc_u32_e32 v30, 28, v17
	v_lshlrev_b64_e32 v[30:31], v30, v[38:39]
	s_delay_alu instid0(VALU_DEP_1)
	v_dual_sub_nc_u32 v17, 29, v17 :: v_dual_bitop2_b32 v38, 7, v30 bitop3:0x40
; %bb.495:                              ;   in Loop: Header=BB347_15 Depth=1
	s_or_b32 exec_lo, exec_lo, s19
	s_delay_alu instid0(VALU_DEP_1) | instskip(NEXT) | instid1(VALU_DEP_2)
	v_dual_lshlrev_b32 v16, 24, v16 :: v_dual_lshlrev_b32 v30, 20, v38
	v_lshl_add_u32 v17, v17, 23, 0x3c000000
	s_delay_alu instid0(VALU_DEP_2) | instskip(NEXT) | instid1(VALU_DEP_1)
	v_and_b32_e32 v16, 0x80000000, v16
	v_or3_b32 v85, v30, v16, v17
.LBB347_496:                            ;   in Loop: Header=BB347_15 Depth=1
	s_or_b32 exec_lo, exec_lo, s18
.LBB347_497:                            ;   in Loop: Header=BB347_15 Depth=1
	s_delay_alu instid0(SALU_CYCLE_1)
	s_or_b32 exec_lo, exec_lo, s17
.LBB347_498:                            ;   in Loop: Header=BB347_15 Depth=1
	s_delay_alu instid0(SALU_CYCLE_1) | instskip(SKIP_4) | instid1(VALU_DEP_3)
	s_or_b32 exec_lo, exec_lo, s16
	v_and_b32_e32 v16, 0xff, v29
	v_dual_mov_b32 v38, v29 :: v_dual_mov_b32 v33, 0
	v_mov_b32_e32 v32, 0
	s_mov_b32 s16, exec_lo
	v_cmpx_ne_u16_e32 0, v16
	s_cbranch_execz .LBB347_506
; %bb.499:                              ;   in Loop: Header=BB347_15 Depth=1
	v_bfrev_b32_e32 v32, 1
	s_mov_b32 s17, exec_lo
	v_cmpx_ne_u16_e32 0x80, v16
	s_cbranch_execz .LBB347_505
; %bb.500:                              ;   in Loop: Header=BB347_15 Depth=1
	v_and_b32_e32 v17, 0x7f, v29
	v_mov_b32_e32 v32, 0x7f800001
	s_mov_b32 s18, exec_lo
	s_delay_alu instid0(VALU_DEP_2)
	v_cmpx_ne_u32_e32 0x7f, v17
	s_cbranch_execz .LBB347_504
; %bb.501:                              ;   in Loop: Header=BB347_15 Depth=1
	v_mov_b64_e32 v[30:31], v[38:39]
	v_lshrrev_b32_e32 v16, 3, v17
	s_mov_b32 s19, exec_lo
	v_cmpx_gt_u32_e32 8, v17
; %bb.502:                              ;   in Loop: Header=BB347_15 Depth=1
	v_and_b32_e32 v16, 7, v29
	s_delay_alu instid0(VALU_DEP_1) | instskip(NEXT) | instid1(VALU_DEP_1)
	v_clz_i32_u32_e32 v16, v16
	v_min_u32_e32 v16, 32, v16
	s_delay_alu instid0(VALU_DEP_1) | instskip(SKIP_1) | instid1(VALU_DEP_2)
	v_subrev_nc_u32_e32 v17, 28, v16
	v_sub_nc_u32_e32 v16, 29, v16
	v_lshlrev_b64_e32 v[30:31], v17, v[38:39]
; %bb.503:                              ;   in Loop: Header=BB347_15 Depth=1
	s_or_b32 exec_lo, exec_lo, s19
	s_delay_alu instid0(VALU_DEP_1) | instskip(SKIP_2) | instid1(VALU_DEP_3)
	v_lshlrev_b32_e32 v17, 20, v30
	v_lshlrev_b32_e32 v30, 24, v38
	v_lshl_add_u32 v16, v16, 23, 0x3c000000
	v_and_b32_e32 v17, 0x700000, v17
	s_delay_alu instid0(VALU_DEP_3) | instskip(NEXT) | instid1(VALU_DEP_1)
	v_and_b32_e32 v30, 0x80000000, v30
	v_or3_b32 v32, v17, v30, v16
.LBB347_504:                            ;   in Loop: Header=BB347_15 Depth=1
	s_or_b32 exec_lo, exec_lo, s18
.LBB347_505:                            ;   in Loop: Header=BB347_15 Depth=1
	s_delay_alu instid0(SALU_CYCLE_1)
	s_or_b32 exec_lo, exec_lo, s17
.LBB347_506:                            ;   in Loop: Header=BB347_15 Depth=1
	s_delay_alu instid0(SALU_CYCLE_1) | instskip(SKIP_2) | instid1(VALU_DEP_1)
	s_or_b32 exec_lo, exec_lo, s16
	v_lshrrev_b16 v16, 8, v38
	s_mov_b32 s16, exec_lo
	v_cmpx_ne_u16_e32 0, v16
	s_cbranch_execz .LBB347_514
; %bb.507:                              ;   in Loop: Header=BB347_15 Depth=1
	v_bfrev_b32_e32 v33, 1
	s_mov_b32 s17, exec_lo
	v_cmpx_ne_u16_e32 0x80, v16
	s_cbranch_execz .LBB347_513
; %bb.508:                              ;   in Loop: Header=BB347_15 Depth=1
	v_and_b32_e32 v16, 0xffff, v16
	v_mov_b32_e32 v33, 0x7f800001
	s_mov_b32 s18, exec_lo
	s_delay_alu instid0(VALU_DEP_2) | instskip(NEXT) | instid1(VALU_DEP_1)
	v_and_b32_e32 v17, 0x7f, v16
	v_cmpx_ne_u32_e32 0x7f, v17
	s_cbranch_execz .LBB347_512
; %bb.509:                              ;   in Loop: Header=BB347_15 Depth=1
	v_dual_mov_b32 v31, v39 :: v_dual_bitop2_b32 v30, 7, v16 bitop3:0x40
	v_lshrrev_b32_e32 v16, 3, v17
	s_mov_b32 s19, exec_lo
	v_cmpx_gt_u32_e32 8, v17
; %bb.510:                              ;   in Loop: Header=BB347_15 Depth=1
	s_delay_alu instid0(VALU_DEP_3) | instskip(NEXT) | instid1(VALU_DEP_1)
	v_clz_i32_u32_e32 v16, v30
	v_min_u32_e32 v16, 32, v16
	s_delay_alu instid0(VALU_DEP_1) | instskip(NEXT) | instid1(VALU_DEP_1)
	v_subrev_nc_u32_e32 v17, 28, v16
	v_lshlrev_b64_e32 v[30:31], v17, v[30:31]
	s_delay_alu instid0(VALU_DEP_1)
	v_dual_sub_nc_u32 v16, 29, v16 :: v_dual_bitop2_b32 v30, 7, v30 bitop3:0x40
; %bb.511:                              ;   in Loop: Header=BB347_15 Depth=1
	s_or_b32 exec_lo, exec_lo, s19
	v_lshlrev_b32_e32 v17, 16, v38
	s_delay_alu instid0(VALU_DEP_2) | instskip(NEXT) | instid1(VALU_DEP_3)
	v_lshlrev_b32_e32 v30, 20, v30
	v_lshl_add_u32 v16, v16, 23, 0x3c000000
	s_delay_alu instid0(VALU_DEP_3) | instskip(NEXT) | instid1(VALU_DEP_1)
	v_and_b32_e32 v17, 0x80000000, v17
	v_or3_b32 v33, v30, v17, v16
.LBB347_512:                            ;   in Loop: Header=BB347_15 Depth=1
	s_or_b32 exec_lo, exec_lo, s18
.LBB347_513:                            ;   in Loop: Header=BB347_15 Depth=1
	s_delay_alu instid0(SALU_CYCLE_1)
	s_or_b32 exec_lo, exec_lo, s17
.LBB347_514:                            ;   in Loop: Header=BB347_15 Depth=1
	s_delay_alu instid0(SALU_CYCLE_1) | instskip(SKIP_3) | instid1(VALU_DEP_2)
	s_or_b32 exec_lo, exec_lo, s16
	v_dual_mov_b32 v87, 0 :: v_dual_lshrrev_b32 v16, 16, v29
	v_mov_b32_e32 v86, 0
	s_mov_b32 s16, exec_lo
	v_and_b32_e32 v17, 0xff, v16
	s_delay_alu instid0(VALU_DEP_1)
	v_cmpx_ne_u16_e32 0, v17
	s_cbranch_execz .LBB347_522
; %bb.515:                              ;   in Loop: Header=BB347_15 Depth=1
	v_bfrev_b32_e32 v86, 1
	s_mov_b32 s17, exec_lo
	v_cmpx_ne_u16_e32 0x80, v17
	s_cbranch_execz .LBB347_521
; %bb.516:                              ;   in Loop: Header=BB347_15 Depth=1
	v_bfe_u32 v30, v29, 16, 7
	v_mov_b32_e32 v86, 0x7f800001
	s_mov_b32 s18, exec_lo
	s_delay_alu instid0(VALU_DEP_2)
	v_cmpx_ne_u32_e32 0x7f, v30
	s_cbranch_execz .LBB347_520
; %bb.517:                              ;   in Loop: Header=BB347_15 Depth=1
	v_dual_lshrrev_b32 v17, 3, v30 :: v_dual_bitop2_b32 v38, 7, v16 bitop3:0x40
	s_mov_b32 s19, exec_lo
	v_cmpx_gt_u32_e32 8, v30
; %bb.518:                              ;   in Loop: Header=BB347_15 Depth=1
	s_delay_alu instid0(VALU_DEP_2) | instskip(NEXT) | instid1(VALU_DEP_1)
	v_clz_i32_u32_e32 v17, v38
	v_min_u32_e32 v17, 32, v17
	s_delay_alu instid0(VALU_DEP_1) | instskip(NEXT) | instid1(VALU_DEP_1)
	v_subrev_nc_u32_e32 v30, 28, v17
	v_lshlrev_b64_e32 v[30:31], v30, v[38:39]
	s_delay_alu instid0(VALU_DEP_1)
	v_dual_sub_nc_u32 v17, 29, v17 :: v_dual_bitop2_b32 v38, 7, v30 bitop3:0x40
; %bb.519:                              ;   in Loop: Header=BB347_15 Depth=1
	s_or_b32 exec_lo, exec_lo, s19
	s_delay_alu instid0(VALU_DEP_1) | instskip(NEXT) | instid1(VALU_DEP_2)
	v_dual_lshlrev_b32 v16, 24, v16 :: v_dual_lshlrev_b32 v30, 20, v38
	v_lshl_add_u32 v17, v17, 23, 0x3c000000
	s_delay_alu instid0(VALU_DEP_2) | instskip(NEXT) | instid1(VALU_DEP_1)
	v_and_b32_e32 v16, 0x80000000, v16
	v_or3_b32 v86, v30, v16, v17
.LBB347_520:                            ;   in Loop: Header=BB347_15 Depth=1
	s_or_b32 exec_lo, exec_lo, s18
.LBB347_521:                            ;   in Loop: Header=BB347_15 Depth=1
	s_delay_alu instid0(SALU_CYCLE_1)
	s_or_b32 exec_lo, exec_lo, s17
.LBB347_522:                            ;   in Loop: Header=BB347_15 Depth=1
	s_delay_alu instid0(SALU_CYCLE_1) | instskip(NEXT) | instid1(SALU_CYCLE_1)
	s_or_b32 exec_lo, exec_lo, s16
	s_mov_b32 s16, exec_lo
	v_cmpx_lt_u64_e64 s[8:9], v[28:29]
	s_cbranch_execz .LBB347_530
; %bb.523:                              ;   in Loop: Header=BB347_15 Depth=1
	v_lshrrev_b32_e32 v16, 24, v29
	v_bfrev_b32_e32 v87, 1
	s_mov_b32 s17, exec_lo
	s_delay_alu instid0(VALU_DEP_2)
	v_cmpx_ne_u32_e32 0x80, v16
	s_cbranch_execz .LBB347_529
; %bb.524:                              ;   in Loop: Header=BB347_15 Depth=1
	v_bfe_u32 v28, v29, 24, 7
	v_mov_b32_e32 v87, 0x7f800001
	s_mov_b32 s18, exec_lo
	s_delay_alu instid0(VALU_DEP_2)
	v_cmpx_ne_u32_e32 0x7f, v28
	s_cbranch_execz .LBB347_528
; %bb.525:                              ;   in Loop: Header=BB347_15 Depth=1
	v_and_b32_e32 v38, 7, v16
	v_lshrrev_b32_e32 v17, 3, v28
	s_mov_b32 s19, exec_lo
	v_cmpx_gt_u32_e32 8, v28
; %bb.526:                              ;   in Loop: Header=BB347_15 Depth=1
	s_delay_alu instid0(VALU_DEP_3) | instskip(NEXT) | instid1(VALU_DEP_1)
	v_clz_i32_u32_e32 v17, v38
	v_min_u32_e32 v17, 32, v17
	s_delay_alu instid0(VALU_DEP_1) | instskip(NEXT) | instid1(VALU_DEP_1)
	v_subrev_nc_u32_e32 v28, 28, v17
	v_lshlrev_b64_e32 v[28:29], v28, v[38:39]
	s_delay_alu instid0(VALU_DEP_1)
	v_dual_sub_nc_u32 v17, 29, v17 :: v_dual_bitop2_b32 v38, 7, v28 bitop3:0x40
; %bb.527:                              ;   in Loop: Header=BB347_15 Depth=1
	s_or_b32 exec_lo, exec_lo, s19
	s_delay_alu instid0(VALU_DEP_1) | instskip(NEXT) | instid1(VALU_DEP_2)
	v_dual_lshlrev_b32 v16, 24, v16 :: v_dual_lshlrev_b32 v28, 20, v38
	v_lshl_add_u32 v17, v17, 23, 0x3c000000
	s_delay_alu instid0(VALU_DEP_2) | instskip(NEXT) | instid1(VALU_DEP_1)
	v_and_b32_e32 v16, 0x80000000, v16
	v_or3_b32 v87, v28, v16, v17
.LBB347_528:                            ;   in Loop: Header=BB347_15 Depth=1
	s_or_b32 exec_lo, exec_lo, s18
.LBB347_529:                            ;   in Loop: Header=BB347_15 Depth=1
	s_delay_alu instid0(SALU_CYCLE_1)
	s_or_b32 exec_lo, exec_lo, s17
.LBB347_530:                            ;   in Loop: Header=BB347_15 Depth=1
	s_delay_alu instid0(SALU_CYCLE_1)
	s_or_b32 exec_lo, exec_lo, s16
	flat_load_b64 v[28:29], v[0:1] offset:2048
	v_dual_mov_b32 v97, 0 :: v_dual_mov_b32 v96, 0
	s_mov_b32 s16, exec_lo
	s_wait_loadcnt_dscnt 0x0
	v_and_b32_e32 v16, 0xff, v28
	s_wait_xcnt 0x0
	s_delay_alu instid0(VALU_DEP_1)
	v_cmpx_ne_u16_e32 0, v16
	s_cbranch_execz .LBB347_538
; %bb.531:                              ;   in Loop: Header=BB347_15 Depth=1
	v_bfrev_b32_e32 v96, 1
	s_mov_b32 s17, exec_lo
	v_cmpx_ne_u16_e32 0x80, v16
	s_cbranch_execz .LBB347_537
; %bb.532:                              ;   in Loop: Header=BB347_15 Depth=1
	v_and_b32_e32 v17, 0x7f, v28
	v_mov_b32_e32 v96, 0x7f800001
	s_mov_b32 s18, exec_lo
	s_delay_alu instid0(VALU_DEP_2)
	v_cmpx_ne_u32_e32 0x7f, v17
	s_cbranch_execz .LBB347_536
; %bb.533:                              ;   in Loop: Header=BB347_15 Depth=1
	v_mov_b64_e32 v[30:31], v[28:29]
	v_lshrrev_b32_e32 v16, 3, v17
	s_mov_b32 s19, exec_lo
	v_cmpx_gt_u32_e32 8, v17
; %bb.534:                              ;   in Loop: Header=BB347_15 Depth=1
	v_and_b32_e32 v16, 7, v28
	s_delay_alu instid0(VALU_DEP_1) | instskip(NEXT) | instid1(VALU_DEP_1)
	v_clz_i32_u32_e32 v16, v16
	v_min_u32_e32 v16, 32, v16
	s_delay_alu instid0(VALU_DEP_1) | instskip(SKIP_1) | instid1(VALU_DEP_2)
	v_subrev_nc_u32_e32 v17, 28, v16
	v_sub_nc_u32_e32 v16, 29, v16
	v_lshlrev_b64_e32 v[30:31], v17, v[28:29]
; %bb.535:                              ;   in Loop: Header=BB347_15 Depth=1
	s_or_b32 exec_lo, exec_lo, s19
	s_delay_alu instid0(VALU_DEP_1) | instskip(NEXT) | instid1(VALU_DEP_3)
	v_dual_lshlrev_b32 v17, 20, v30 :: v_dual_lshlrev_b32 v30, 24, v28
	v_lshl_add_u32 v16, v16, 23, 0x3c000000
	s_delay_alu instid0(VALU_DEP_2) | instskip(NEXT) | instid1(VALU_DEP_3)
	v_and_b32_e32 v17, 0x700000, v17
	v_and_b32_e32 v30, 0x80000000, v30
	s_delay_alu instid0(VALU_DEP_1)
	v_or3_b32 v96, v17, v30, v16
.LBB347_536:                            ;   in Loop: Header=BB347_15 Depth=1
	s_or_b32 exec_lo, exec_lo, s18
.LBB347_537:                            ;   in Loop: Header=BB347_15 Depth=1
	s_delay_alu instid0(SALU_CYCLE_1)
	s_or_b32 exec_lo, exec_lo, s17
.LBB347_538:                            ;   in Loop: Header=BB347_15 Depth=1
	s_delay_alu instid0(SALU_CYCLE_1) | instskip(SKIP_2) | instid1(VALU_DEP_1)
	s_or_b32 exec_lo, exec_lo, s16
	v_lshrrev_b16 v16, 8, v28
	s_mov_b32 s16, exec_lo
	v_cmpx_ne_u16_e32 0, v16
	s_cbranch_execz .LBB347_546
; %bb.539:                              ;   in Loop: Header=BB347_15 Depth=1
	v_bfrev_b32_e32 v97, 1
	s_mov_b32 s17, exec_lo
	v_cmpx_ne_u16_e32 0x80, v16
	s_cbranch_execz .LBB347_545
; %bb.540:                              ;   in Loop: Header=BB347_15 Depth=1
	v_and_b32_e32 v16, 0xffff, v16
	v_mov_b32_e32 v97, 0x7f800001
	s_mov_b32 s18, exec_lo
	s_delay_alu instid0(VALU_DEP_2) | instskip(NEXT) | instid1(VALU_DEP_1)
	v_and_b32_e32 v17, 0x7f, v16
	v_cmpx_ne_u32_e32 0x7f, v17
	s_cbranch_execz .LBB347_544
; %bb.541:                              ;   in Loop: Header=BB347_15 Depth=1
	v_dual_lshrrev_b32 v16, 3, v17 :: v_dual_bitop2_b32 v38, 7, v16 bitop3:0x40
	s_mov_b32 s19, exec_lo
	v_cmpx_gt_u32_e32 8, v17
; %bb.542:                              ;   in Loop: Header=BB347_15 Depth=1
	s_delay_alu instid0(VALU_DEP_2) | instskip(NEXT) | instid1(VALU_DEP_1)
	v_clz_i32_u32_e32 v16, v38
	v_min_u32_e32 v16, 32, v16
	s_delay_alu instid0(VALU_DEP_1) | instskip(NEXT) | instid1(VALU_DEP_1)
	v_subrev_nc_u32_e32 v17, 28, v16
	v_lshlrev_b64_e32 v[30:31], v17, v[38:39]
	s_delay_alu instid0(VALU_DEP_1)
	v_dual_sub_nc_u32 v16, 29, v16 :: v_dual_bitop2_b32 v38, 7, v30 bitop3:0x40
; %bb.543:                              ;   in Loop: Header=BB347_15 Depth=1
	s_or_b32 exec_lo, exec_lo, s19
	s_delay_alu instid0(VALU_DEP_1) | instskip(NEXT) | instid1(VALU_DEP_2)
	v_dual_lshlrev_b32 v17, 16, v28 :: v_dual_lshlrev_b32 v30, 20, v38
	v_lshl_add_u32 v16, v16, 23, 0x3c000000
	s_delay_alu instid0(VALU_DEP_2) | instskip(NEXT) | instid1(VALU_DEP_1)
	v_and_b32_e32 v17, 0x80000000, v17
	v_or3_b32 v97, v30, v17, v16
.LBB347_544:                            ;   in Loop: Header=BB347_15 Depth=1
	s_or_b32 exec_lo, exec_lo, s18
.LBB347_545:                            ;   in Loop: Header=BB347_15 Depth=1
	s_delay_alu instid0(SALU_CYCLE_1)
	s_or_b32 exec_lo, exec_lo, s17
.LBB347_546:                            ;   in Loop: Header=BB347_15 Depth=1
	s_delay_alu instid0(SALU_CYCLE_1) | instskip(SKIP_3) | instid1(VALU_DEP_2)
	s_or_b32 exec_lo, exec_lo, s16
	v_dual_mov_b32 v99, 0 :: v_dual_lshrrev_b32 v16, 16, v28
	v_mov_b32_e32 v98, 0
	s_mov_b32 s16, exec_lo
	v_and_b32_e32 v17, 0xff, v16
	s_delay_alu instid0(VALU_DEP_1)
	v_cmpx_ne_u16_e32 0, v17
	s_cbranch_execz .LBB347_554
; %bb.547:                              ;   in Loop: Header=BB347_15 Depth=1
	v_bfrev_b32_e32 v98, 1
	s_mov_b32 s17, exec_lo
	v_cmpx_ne_u16_e32 0x80, v17
	s_cbranch_execz .LBB347_553
; %bb.548:                              ;   in Loop: Header=BB347_15 Depth=1
	v_bfe_u32 v30, v28, 16, 7
	v_mov_b32_e32 v98, 0x7f800001
	s_mov_b32 s18, exec_lo
	s_delay_alu instid0(VALU_DEP_2)
	v_cmpx_ne_u32_e32 0x7f, v30
	s_cbranch_execz .LBB347_552
; %bb.549:                              ;   in Loop: Header=BB347_15 Depth=1
	v_dual_lshrrev_b32 v17, 3, v30 :: v_dual_bitop2_b32 v38, 7, v16 bitop3:0x40
	s_mov_b32 s19, exec_lo
	v_cmpx_gt_u32_e32 8, v30
; %bb.550:                              ;   in Loop: Header=BB347_15 Depth=1
	s_delay_alu instid0(VALU_DEP_2) | instskip(NEXT) | instid1(VALU_DEP_1)
	v_clz_i32_u32_e32 v17, v38
	v_min_u32_e32 v17, 32, v17
	s_delay_alu instid0(VALU_DEP_1) | instskip(NEXT) | instid1(VALU_DEP_1)
	v_subrev_nc_u32_e32 v30, 28, v17
	v_lshlrev_b64_e32 v[30:31], v30, v[38:39]
	s_delay_alu instid0(VALU_DEP_1)
	v_dual_sub_nc_u32 v17, 29, v17 :: v_dual_bitop2_b32 v38, 7, v30 bitop3:0x40
; %bb.551:                              ;   in Loop: Header=BB347_15 Depth=1
	s_or_b32 exec_lo, exec_lo, s19
	s_delay_alu instid0(VALU_DEP_1) | instskip(NEXT) | instid1(VALU_DEP_2)
	v_dual_lshlrev_b32 v16, 24, v16 :: v_dual_lshlrev_b32 v30, 20, v38
	v_lshl_add_u32 v17, v17, 23, 0x3c000000
	s_delay_alu instid0(VALU_DEP_2) | instskip(NEXT) | instid1(VALU_DEP_1)
	v_and_b32_e32 v16, 0x80000000, v16
	v_or3_b32 v98, v30, v16, v17
.LBB347_552:                            ;   in Loop: Header=BB347_15 Depth=1
	s_or_b32 exec_lo, exec_lo, s18
.LBB347_553:                            ;   in Loop: Header=BB347_15 Depth=1
	s_delay_alu instid0(SALU_CYCLE_1)
	s_or_b32 exec_lo, exec_lo, s17
.LBB347_554:                            ;   in Loop: Header=BB347_15 Depth=1
	s_delay_alu instid0(SALU_CYCLE_1) | instskip(NEXT) | instid1(SALU_CYCLE_1)
	s_or_b32 exec_lo, exec_lo, s16
	s_mov_b32 s16, exec_lo
	v_cmpx_lt_u32_e32 0xffffff, v28
	s_cbranch_execz .LBB347_562
; %bb.555:                              ;   in Loop: Header=BB347_15 Depth=1
	v_lshrrev_b32_e32 v16, 24, v28
	v_bfrev_b32_e32 v99, 1
	s_mov_b32 s17, exec_lo
	s_delay_alu instid0(VALU_DEP_2)
	v_cmpx_ne_u32_e32 0x80, v16
	s_cbranch_execz .LBB347_561
; %bb.556:                              ;   in Loop: Header=BB347_15 Depth=1
	v_bfe_u32 v30, v28, 24, 7
	v_mov_b32_e32 v99, 0x7f800001
	s_mov_b32 s18, exec_lo
	s_delay_alu instid0(VALU_DEP_2)
	v_cmpx_ne_u32_e32 0x7f, v30
	s_cbranch_execz .LBB347_560
; %bb.557:                              ;   in Loop: Header=BB347_15 Depth=1
	v_dual_lshrrev_b32 v17, 3, v30 :: v_dual_bitop2_b32 v38, 7, v16 bitop3:0x40
	s_mov_b32 s19, exec_lo
	v_cmpx_gt_u32_e32 8, v30
; %bb.558:                              ;   in Loop: Header=BB347_15 Depth=1
	s_delay_alu instid0(VALU_DEP_2) | instskip(NEXT) | instid1(VALU_DEP_1)
	v_clz_i32_u32_e32 v17, v38
	v_min_u32_e32 v17, 32, v17
	s_delay_alu instid0(VALU_DEP_1) | instskip(NEXT) | instid1(VALU_DEP_1)
	v_subrev_nc_u32_e32 v30, 28, v17
	v_lshlrev_b64_e32 v[30:31], v30, v[38:39]
	s_delay_alu instid0(VALU_DEP_1)
	v_dual_sub_nc_u32 v17, 29, v17 :: v_dual_bitop2_b32 v38, 7, v30 bitop3:0x40
; %bb.559:                              ;   in Loop: Header=BB347_15 Depth=1
	s_or_b32 exec_lo, exec_lo, s19
	s_delay_alu instid0(VALU_DEP_1) | instskip(NEXT) | instid1(VALU_DEP_2)
	v_dual_lshlrev_b32 v16, 24, v16 :: v_dual_lshlrev_b32 v30, 20, v38
	v_lshl_add_u32 v17, v17, 23, 0x3c000000
	s_delay_alu instid0(VALU_DEP_2) | instskip(NEXT) | instid1(VALU_DEP_1)
	v_and_b32_e32 v16, 0x80000000, v16
	v_or3_b32 v99, v30, v16, v17
.LBB347_560:                            ;   in Loop: Header=BB347_15 Depth=1
	s_or_b32 exec_lo, exec_lo, s18
.LBB347_561:                            ;   in Loop: Header=BB347_15 Depth=1
	s_delay_alu instid0(SALU_CYCLE_1)
	s_or_b32 exec_lo, exec_lo, s17
.LBB347_562:                            ;   in Loop: Header=BB347_15 Depth=1
	s_delay_alu instid0(SALU_CYCLE_1) | instskip(SKIP_4) | instid1(VALU_DEP_3)
	s_or_b32 exec_lo, exec_lo, s16
	v_and_b32_e32 v16, 0xff, v29
	v_dual_mov_b32 v38, v29 :: v_dual_mov_b32 v35, 0
	v_mov_b32_e32 v34, 0
	s_mov_b32 s16, exec_lo
	v_cmpx_ne_u16_e32 0, v16
	s_cbranch_execz .LBB347_570
; %bb.563:                              ;   in Loop: Header=BB347_15 Depth=1
	v_bfrev_b32_e32 v34, 1
	s_mov_b32 s17, exec_lo
	v_cmpx_ne_u16_e32 0x80, v16
	s_cbranch_execz .LBB347_569
; %bb.564:                              ;   in Loop: Header=BB347_15 Depth=1
	v_and_b32_e32 v17, 0x7f, v29
	v_mov_b32_e32 v34, 0x7f800001
	s_mov_b32 s18, exec_lo
	s_delay_alu instid0(VALU_DEP_2)
	v_cmpx_ne_u32_e32 0x7f, v17
	s_cbranch_execz .LBB347_568
; %bb.565:                              ;   in Loop: Header=BB347_15 Depth=1
	v_mov_b64_e32 v[30:31], v[38:39]
	v_lshrrev_b32_e32 v16, 3, v17
	s_mov_b32 s19, exec_lo
	v_cmpx_gt_u32_e32 8, v17
; %bb.566:                              ;   in Loop: Header=BB347_15 Depth=1
	v_and_b32_e32 v16, 7, v29
	s_delay_alu instid0(VALU_DEP_1) | instskip(NEXT) | instid1(VALU_DEP_1)
	v_clz_i32_u32_e32 v16, v16
	v_min_u32_e32 v16, 32, v16
	s_delay_alu instid0(VALU_DEP_1) | instskip(SKIP_1) | instid1(VALU_DEP_2)
	v_subrev_nc_u32_e32 v17, 28, v16
	v_sub_nc_u32_e32 v16, 29, v16
	v_lshlrev_b64_e32 v[30:31], v17, v[38:39]
; %bb.567:                              ;   in Loop: Header=BB347_15 Depth=1
	s_or_b32 exec_lo, exec_lo, s19
	s_delay_alu instid0(VALU_DEP_1) | instskip(SKIP_2) | instid1(VALU_DEP_3)
	v_lshlrev_b32_e32 v17, 20, v30
	v_lshlrev_b32_e32 v30, 24, v38
	v_lshl_add_u32 v16, v16, 23, 0x3c000000
	v_and_b32_e32 v17, 0x700000, v17
	s_delay_alu instid0(VALU_DEP_3) | instskip(NEXT) | instid1(VALU_DEP_1)
	v_and_b32_e32 v30, 0x80000000, v30
	v_or3_b32 v34, v17, v30, v16
.LBB347_568:                            ;   in Loop: Header=BB347_15 Depth=1
	s_or_b32 exec_lo, exec_lo, s18
.LBB347_569:                            ;   in Loop: Header=BB347_15 Depth=1
	s_delay_alu instid0(SALU_CYCLE_1)
	s_or_b32 exec_lo, exec_lo, s17
.LBB347_570:                            ;   in Loop: Header=BB347_15 Depth=1
	s_delay_alu instid0(SALU_CYCLE_1) | instskip(SKIP_2) | instid1(VALU_DEP_1)
	s_or_b32 exec_lo, exec_lo, s16
	v_lshrrev_b16 v16, 8, v38
	s_mov_b32 s16, exec_lo
	v_cmpx_ne_u16_e32 0, v16
	s_cbranch_execz .LBB347_578
; %bb.571:                              ;   in Loop: Header=BB347_15 Depth=1
	v_bfrev_b32_e32 v35, 1
	s_mov_b32 s17, exec_lo
	v_cmpx_ne_u16_e32 0x80, v16
	s_cbranch_execz .LBB347_577
; %bb.572:                              ;   in Loop: Header=BB347_15 Depth=1
	v_and_b32_e32 v16, 0xffff, v16
	v_mov_b32_e32 v35, 0x7f800001
	s_mov_b32 s18, exec_lo
	s_delay_alu instid0(VALU_DEP_2) | instskip(NEXT) | instid1(VALU_DEP_1)
	v_and_b32_e32 v17, 0x7f, v16
	v_cmpx_ne_u32_e32 0x7f, v17
	s_cbranch_execz .LBB347_576
; %bb.573:                              ;   in Loop: Header=BB347_15 Depth=1
	v_dual_mov_b32 v31, v39 :: v_dual_bitop2_b32 v30, 7, v16 bitop3:0x40
	v_lshrrev_b32_e32 v16, 3, v17
	s_mov_b32 s19, exec_lo
	v_cmpx_gt_u32_e32 8, v17
; %bb.574:                              ;   in Loop: Header=BB347_15 Depth=1
	s_delay_alu instid0(VALU_DEP_3) | instskip(NEXT) | instid1(VALU_DEP_1)
	v_clz_i32_u32_e32 v16, v30
	v_min_u32_e32 v16, 32, v16
	s_delay_alu instid0(VALU_DEP_1) | instskip(NEXT) | instid1(VALU_DEP_1)
	v_subrev_nc_u32_e32 v17, 28, v16
	v_lshlrev_b64_e32 v[30:31], v17, v[30:31]
	s_delay_alu instid0(VALU_DEP_1)
	v_dual_sub_nc_u32 v16, 29, v16 :: v_dual_bitop2_b32 v30, 7, v30 bitop3:0x40
; %bb.575:                              ;   in Loop: Header=BB347_15 Depth=1
	s_or_b32 exec_lo, exec_lo, s19
	v_lshlrev_b32_e32 v17, 16, v38
	s_delay_alu instid0(VALU_DEP_2) | instskip(NEXT) | instid1(VALU_DEP_3)
	v_lshlrev_b32_e32 v30, 20, v30
	v_lshl_add_u32 v16, v16, 23, 0x3c000000
	s_delay_alu instid0(VALU_DEP_3) | instskip(NEXT) | instid1(VALU_DEP_1)
	v_and_b32_e32 v17, 0x80000000, v17
	v_or3_b32 v35, v30, v17, v16
.LBB347_576:                            ;   in Loop: Header=BB347_15 Depth=1
	s_or_b32 exec_lo, exec_lo, s18
.LBB347_577:                            ;   in Loop: Header=BB347_15 Depth=1
	s_delay_alu instid0(SALU_CYCLE_1)
	s_or_b32 exec_lo, exec_lo, s17
.LBB347_578:                            ;   in Loop: Header=BB347_15 Depth=1
	s_delay_alu instid0(SALU_CYCLE_1) | instskip(SKIP_3) | instid1(VALU_DEP_2)
	s_or_b32 exec_lo, exec_lo, s16
	v_dual_mov_b32 v101, 0 :: v_dual_lshrrev_b32 v16, 16, v29
	v_mov_b32_e32 v100, 0
	s_mov_b32 s16, exec_lo
	v_and_b32_e32 v17, 0xff, v16
	s_delay_alu instid0(VALU_DEP_1)
	v_cmpx_ne_u16_e32 0, v17
	s_cbranch_execz .LBB347_586
; %bb.579:                              ;   in Loop: Header=BB347_15 Depth=1
	v_bfrev_b32_e32 v100, 1
	s_mov_b32 s17, exec_lo
	v_cmpx_ne_u16_e32 0x80, v17
	s_cbranch_execz .LBB347_585
; %bb.580:                              ;   in Loop: Header=BB347_15 Depth=1
	v_bfe_u32 v30, v29, 16, 7
	v_mov_b32_e32 v100, 0x7f800001
	s_mov_b32 s18, exec_lo
	s_delay_alu instid0(VALU_DEP_2)
	v_cmpx_ne_u32_e32 0x7f, v30
	s_cbranch_execz .LBB347_584
; %bb.581:                              ;   in Loop: Header=BB347_15 Depth=1
	v_dual_lshrrev_b32 v17, 3, v30 :: v_dual_bitop2_b32 v38, 7, v16 bitop3:0x40
	s_mov_b32 s19, exec_lo
	v_cmpx_gt_u32_e32 8, v30
; %bb.582:                              ;   in Loop: Header=BB347_15 Depth=1
	s_delay_alu instid0(VALU_DEP_2) | instskip(NEXT) | instid1(VALU_DEP_1)
	v_clz_i32_u32_e32 v17, v38
	v_min_u32_e32 v17, 32, v17
	s_delay_alu instid0(VALU_DEP_1) | instskip(NEXT) | instid1(VALU_DEP_1)
	v_subrev_nc_u32_e32 v30, 28, v17
	v_lshlrev_b64_e32 v[30:31], v30, v[38:39]
	s_delay_alu instid0(VALU_DEP_1)
	v_dual_sub_nc_u32 v17, 29, v17 :: v_dual_bitop2_b32 v38, 7, v30 bitop3:0x40
; %bb.583:                              ;   in Loop: Header=BB347_15 Depth=1
	s_or_b32 exec_lo, exec_lo, s19
	s_delay_alu instid0(VALU_DEP_1) | instskip(NEXT) | instid1(VALU_DEP_2)
	v_dual_lshlrev_b32 v16, 24, v16 :: v_dual_lshlrev_b32 v30, 20, v38
	v_lshl_add_u32 v17, v17, 23, 0x3c000000
	s_delay_alu instid0(VALU_DEP_2) | instskip(NEXT) | instid1(VALU_DEP_1)
	v_and_b32_e32 v16, 0x80000000, v16
	v_or3_b32 v100, v30, v16, v17
.LBB347_584:                            ;   in Loop: Header=BB347_15 Depth=1
	s_or_b32 exec_lo, exec_lo, s18
.LBB347_585:                            ;   in Loop: Header=BB347_15 Depth=1
	s_delay_alu instid0(SALU_CYCLE_1)
	s_or_b32 exec_lo, exec_lo, s17
.LBB347_586:                            ;   in Loop: Header=BB347_15 Depth=1
	s_delay_alu instid0(SALU_CYCLE_1) | instskip(NEXT) | instid1(SALU_CYCLE_1)
	s_or_b32 exec_lo, exec_lo, s16
	s_mov_b32 s16, exec_lo
	v_cmpx_lt_u64_e64 s[8:9], v[28:29]
	s_cbranch_execz .LBB347_594
; %bb.587:                              ;   in Loop: Header=BB347_15 Depth=1
	v_lshrrev_b32_e32 v16, 24, v29
	v_bfrev_b32_e32 v101, 1
	s_mov_b32 s17, exec_lo
	s_delay_alu instid0(VALU_DEP_2)
	v_cmpx_ne_u32_e32 0x80, v16
	s_cbranch_execz .LBB347_593
; %bb.588:                              ;   in Loop: Header=BB347_15 Depth=1
	v_bfe_u32 v28, v29, 24, 7
	v_mov_b32_e32 v101, 0x7f800001
	s_mov_b32 s18, exec_lo
	s_delay_alu instid0(VALU_DEP_2)
	v_cmpx_ne_u32_e32 0x7f, v28
	s_cbranch_execz .LBB347_592
; %bb.589:                              ;   in Loop: Header=BB347_15 Depth=1
	v_and_b32_e32 v38, 7, v16
	v_lshrrev_b32_e32 v17, 3, v28
	s_mov_b32 s19, exec_lo
	v_cmpx_gt_u32_e32 8, v28
; %bb.590:                              ;   in Loop: Header=BB347_15 Depth=1
	s_delay_alu instid0(VALU_DEP_3) | instskip(NEXT) | instid1(VALU_DEP_1)
	v_clz_i32_u32_e32 v17, v38
	v_min_u32_e32 v17, 32, v17
	s_delay_alu instid0(VALU_DEP_1) | instskip(NEXT) | instid1(VALU_DEP_1)
	v_subrev_nc_u32_e32 v28, 28, v17
	v_lshlrev_b64_e32 v[28:29], v28, v[38:39]
	s_delay_alu instid0(VALU_DEP_1)
	v_dual_sub_nc_u32 v17, 29, v17 :: v_dual_bitop2_b32 v38, 7, v28 bitop3:0x40
; %bb.591:                              ;   in Loop: Header=BB347_15 Depth=1
	s_or_b32 exec_lo, exec_lo, s19
	s_delay_alu instid0(VALU_DEP_1) | instskip(NEXT) | instid1(VALU_DEP_2)
	v_dual_lshlrev_b32 v16, 24, v16 :: v_dual_lshlrev_b32 v28, 20, v38
	v_lshl_add_u32 v17, v17, 23, 0x3c000000
	s_delay_alu instid0(VALU_DEP_2) | instskip(NEXT) | instid1(VALU_DEP_1)
	v_and_b32_e32 v16, 0x80000000, v16
	v_or3_b32 v101, v28, v16, v17
.LBB347_592:                            ;   in Loop: Header=BB347_15 Depth=1
	s_or_b32 exec_lo, exec_lo, s18
.LBB347_593:                            ;   in Loop: Header=BB347_15 Depth=1
	s_delay_alu instid0(SALU_CYCLE_1)
	s_or_b32 exec_lo, exec_lo, s17
.LBB347_594:                            ;   in Loop: Header=BB347_15 Depth=1
	s_delay_alu instid0(SALU_CYCLE_1)
	s_or_b32 exec_lo, exec_lo, s16
	flat_load_b64 v[114:115], v[0:1] offset:2056
	v_dual_mov_b32 v103, 0 :: v_dual_mov_b32 v102, 0
	s_mov_b32 s16, exec_lo
	s_wait_loadcnt_dscnt 0x0
	v_and_b32_e32 v16, 0xff, v114
	s_wait_xcnt 0x0
	s_delay_alu instid0(VALU_DEP_1)
	v_cmpx_ne_u16_e32 0, v16
	s_cbranch_execz .LBB347_602
; %bb.595:                              ;   in Loop: Header=BB347_15 Depth=1
	v_bfrev_b32_e32 v102, 1
	s_mov_b32 s17, exec_lo
	v_cmpx_ne_u16_e32 0x80, v16
	s_cbranch_execz .LBB347_601
; %bb.596:                              ;   in Loop: Header=BB347_15 Depth=1
	v_and_b32_e32 v17, 0x7f, v114
	v_mov_b32_e32 v102, 0x7f800001
	s_mov_b32 s18, exec_lo
	s_delay_alu instid0(VALU_DEP_2)
	v_cmpx_ne_u32_e32 0x7f, v17
	s_cbranch_execz .LBB347_600
; %bb.597:                              ;   in Loop: Header=BB347_15 Depth=1
	v_mov_b64_e32 v[28:29], v[114:115]
	v_lshrrev_b32_e32 v16, 3, v17
	s_mov_b32 s19, exec_lo
	v_cmpx_gt_u32_e32 8, v17
; %bb.598:                              ;   in Loop: Header=BB347_15 Depth=1
	v_and_b32_e32 v16, 7, v114
	s_delay_alu instid0(VALU_DEP_1) | instskip(NEXT) | instid1(VALU_DEP_1)
	v_clz_i32_u32_e32 v16, v16
	v_min_u32_e32 v16, 32, v16
	s_delay_alu instid0(VALU_DEP_1) | instskip(SKIP_1) | instid1(VALU_DEP_2)
	v_subrev_nc_u32_e32 v17, 28, v16
	v_sub_nc_u32_e32 v16, 29, v16
	v_lshlrev_b64_e32 v[28:29], v17, v[114:115]
; %bb.599:                              ;   in Loop: Header=BB347_15 Depth=1
	s_or_b32 exec_lo, exec_lo, s19
	s_delay_alu instid0(VALU_DEP_1) | instskip(NEXT) | instid1(VALU_DEP_3)
	v_dual_lshlrev_b32 v17, 20, v28 :: v_dual_lshlrev_b32 v28, 24, v114
	v_lshl_add_u32 v16, v16, 23, 0x3c000000
	s_delay_alu instid0(VALU_DEP_2) | instskip(NEXT) | instid1(VALU_DEP_3)
	v_and_b32_e32 v17, 0x700000, v17
	v_and_b32_e32 v28, 0x80000000, v28
	s_delay_alu instid0(VALU_DEP_1)
	v_or3_b32 v102, v17, v28, v16
.LBB347_600:                            ;   in Loop: Header=BB347_15 Depth=1
	s_or_b32 exec_lo, exec_lo, s18
.LBB347_601:                            ;   in Loop: Header=BB347_15 Depth=1
	s_delay_alu instid0(SALU_CYCLE_1)
	s_or_b32 exec_lo, exec_lo, s17
.LBB347_602:                            ;   in Loop: Header=BB347_15 Depth=1
	s_delay_alu instid0(SALU_CYCLE_1) | instskip(SKIP_2) | instid1(VALU_DEP_1)
	s_or_b32 exec_lo, exec_lo, s16
	v_lshrrev_b16 v16, 8, v114
	s_mov_b32 s16, exec_lo
	v_cmpx_ne_u16_e32 0, v16
	s_cbranch_execz .LBB347_610
; %bb.603:                              ;   in Loop: Header=BB347_15 Depth=1
	v_bfrev_b32_e32 v103, 1
	s_mov_b32 s17, exec_lo
	v_cmpx_ne_u16_e32 0x80, v16
	s_cbranch_execz .LBB347_609
; %bb.604:                              ;   in Loop: Header=BB347_15 Depth=1
	v_and_b32_e32 v16, 0xffff, v16
	v_mov_b32_e32 v103, 0x7f800001
	s_mov_b32 s18, exec_lo
	s_delay_alu instid0(VALU_DEP_2) | instskip(NEXT) | instid1(VALU_DEP_1)
	v_and_b32_e32 v17, 0x7f, v16
	v_cmpx_ne_u32_e32 0x7f, v17
	s_cbranch_execz .LBB347_608
; %bb.605:                              ;   in Loop: Header=BB347_15 Depth=1
	v_dual_lshrrev_b32 v16, 3, v17 :: v_dual_bitop2_b32 v38, 7, v16 bitop3:0x40
	s_mov_b32 s19, exec_lo
	v_cmpx_gt_u32_e32 8, v17
; %bb.606:                              ;   in Loop: Header=BB347_15 Depth=1
	s_delay_alu instid0(VALU_DEP_2) | instskip(NEXT) | instid1(VALU_DEP_1)
	v_clz_i32_u32_e32 v16, v38
	v_min_u32_e32 v16, 32, v16
	s_delay_alu instid0(VALU_DEP_1) | instskip(SKIP_1) | instid1(VALU_DEP_2)
	v_subrev_nc_u32_e32 v17, 28, v16
	v_sub_nc_u32_e32 v16, 29, v16
	v_lshlrev_b64_e32 v[28:29], v17, v[38:39]
	s_delay_alu instid0(VALU_DEP_1)
	v_and_b32_e32 v38, 7, v28
; %bb.607:                              ;   in Loop: Header=BB347_15 Depth=1
	s_or_b32 exec_lo, exec_lo, s19
	v_lshlrev_b32_e32 v17, 16, v114
	s_delay_alu instid0(VALU_DEP_2) | instskip(SKIP_1) | instid1(VALU_DEP_3)
	v_lshlrev_b32_e32 v28, 20, v38
	v_lshl_add_u32 v16, v16, 23, 0x3c000000
	v_and_b32_e32 v17, 0x80000000, v17
	s_delay_alu instid0(VALU_DEP_1)
	v_or3_b32 v103, v28, v17, v16
.LBB347_608:                            ;   in Loop: Header=BB347_15 Depth=1
	s_or_b32 exec_lo, exec_lo, s18
.LBB347_609:                            ;   in Loop: Header=BB347_15 Depth=1
	s_delay_alu instid0(SALU_CYCLE_1)
	s_or_b32 exec_lo, exec_lo, s17
.LBB347_610:                            ;   in Loop: Header=BB347_15 Depth=1
	s_delay_alu instid0(SALU_CYCLE_1) | instskip(SKIP_3) | instid1(VALU_DEP_2)
	s_or_b32 exec_lo, exec_lo, s16
	v_dual_mov_b32 v29, 0 :: v_dual_lshrrev_b32 v16, 16, v114
	v_mov_b32_e32 v28, 0
	s_mov_b32 s16, exec_lo
	v_and_b32_e32 v17, 0xff, v16
	s_delay_alu instid0(VALU_DEP_1)
	v_cmpx_ne_u16_e32 0, v17
	s_cbranch_execz .LBB347_618
; %bb.611:                              ;   in Loop: Header=BB347_15 Depth=1
	v_bfrev_b32_e32 v28, 1
	s_mov_b32 s17, exec_lo
	v_cmpx_ne_u16_e32 0x80, v17
	s_cbranch_execz .LBB347_617
; %bb.612:                              ;   in Loop: Header=BB347_15 Depth=1
	v_bfe_u32 v30, v114, 16, 7
	v_mov_b32_e32 v28, 0x7f800001
	s_mov_b32 s18, exec_lo
	s_delay_alu instid0(VALU_DEP_2)
	v_cmpx_ne_u32_e32 0x7f, v30
	s_cbranch_execz .LBB347_616
; %bb.613:                              ;   in Loop: Header=BB347_15 Depth=1
	v_dual_lshrrev_b32 v17, 3, v30 :: v_dual_bitop2_b32 v38, 7, v16 bitop3:0x40
	s_mov_b32 s19, exec_lo
	v_cmpx_gt_u32_e32 8, v30
; %bb.614:                              ;   in Loop: Header=BB347_15 Depth=1
	s_delay_alu instid0(VALU_DEP_2) | instskip(NEXT) | instid1(VALU_DEP_1)
	v_clz_i32_u32_e32 v17, v38
	v_min_u32_e32 v17, 32, v17
	s_delay_alu instid0(VALU_DEP_1) | instskip(NEXT) | instid1(VALU_DEP_1)
	v_subrev_nc_u32_e32 v28, 28, v17
	v_lshlrev_b64_e32 v[30:31], v28, v[38:39]
	s_delay_alu instid0(VALU_DEP_1)
	v_dual_sub_nc_u32 v17, 29, v17 :: v_dual_bitop2_b32 v38, 7, v30 bitop3:0x40
; %bb.615:                              ;   in Loop: Header=BB347_15 Depth=1
	s_or_b32 exec_lo, exec_lo, s19
	s_delay_alu instid0(VALU_DEP_1) | instskip(NEXT) | instid1(VALU_DEP_2)
	v_dual_lshlrev_b32 v16, 24, v16 :: v_dual_lshlrev_b32 v28, 20, v38
	v_lshl_add_u32 v17, v17, 23, 0x3c000000
	s_delay_alu instid0(VALU_DEP_2) | instskip(NEXT) | instid1(VALU_DEP_1)
	v_and_b32_e32 v16, 0x80000000, v16
	v_or3_b32 v28, v28, v16, v17
.LBB347_616:                            ;   in Loop: Header=BB347_15 Depth=1
	s_or_b32 exec_lo, exec_lo, s18
.LBB347_617:                            ;   in Loop: Header=BB347_15 Depth=1
	s_delay_alu instid0(SALU_CYCLE_1)
	s_or_b32 exec_lo, exec_lo, s17
.LBB347_618:                            ;   in Loop: Header=BB347_15 Depth=1
	s_delay_alu instid0(SALU_CYCLE_1) | instskip(NEXT) | instid1(SALU_CYCLE_1)
	s_or_b32 exec_lo, exec_lo, s16
	s_mov_b32 s16, exec_lo
	v_cmpx_lt_u32_e32 0xffffff, v114
	s_cbranch_execz .LBB347_626
; %bb.619:                              ;   in Loop: Header=BB347_15 Depth=1
	v_lshrrev_b32_e32 v16, 24, v114
	v_bfrev_b32_e32 v29, 1
	s_mov_b32 s17, exec_lo
	s_delay_alu instid0(VALU_DEP_2)
	v_cmpx_ne_u32_e32 0x80, v16
	s_cbranch_execz .LBB347_625
; %bb.620:                              ;   in Loop: Header=BB347_15 Depth=1
	v_bfe_u32 v30, v114, 24, 7
	v_mov_b32_e32 v29, 0x7f800001
	s_mov_b32 s18, exec_lo
	s_delay_alu instid0(VALU_DEP_2)
	v_cmpx_ne_u32_e32 0x7f, v30
	s_cbranch_execz .LBB347_624
; %bb.621:                              ;   in Loop: Header=BB347_15 Depth=1
	v_dual_lshrrev_b32 v17, 3, v30 :: v_dual_bitop2_b32 v38, 7, v16 bitop3:0x40
	s_mov_b32 s19, exec_lo
	v_cmpx_gt_u32_e32 8, v30
; %bb.622:                              ;   in Loop: Header=BB347_15 Depth=1
	s_delay_alu instid0(VALU_DEP_2) | instskip(NEXT) | instid1(VALU_DEP_1)
	v_clz_i32_u32_e32 v17, v38
	v_min_u32_e32 v17, 32, v17
	s_delay_alu instid0(VALU_DEP_1) | instskip(NEXT) | instid1(VALU_DEP_1)
	v_subrev_nc_u32_e32 v29, 28, v17
	v_lshlrev_b64_e32 v[30:31], v29, v[38:39]
	s_delay_alu instid0(VALU_DEP_1)
	v_dual_sub_nc_u32 v17, 29, v17 :: v_dual_bitop2_b32 v38, 7, v30 bitop3:0x40
; %bb.623:                              ;   in Loop: Header=BB347_15 Depth=1
	s_or_b32 exec_lo, exec_lo, s19
	s_delay_alu instid0(VALU_DEP_1) | instskip(NEXT) | instid1(VALU_DEP_2)
	v_dual_lshlrev_b32 v16, 24, v16 :: v_dual_lshlrev_b32 v29, 20, v38
	v_lshl_add_u32 v17, v17, 23, 0x3c000000
	s_delay_alu instid0(VALU_DEP_2) | instskip(NEXT) | instid1(VALU_DEP_1)
	v_and_b32_e32 v16, 0x80000000, v16
	v_or3_b32 v29, v29, v16, v17
.LBB347_624:                            ;   in Loop: Header=BB347_15 Depth=1
	s_or_b32 exec_lo, exec_lo, s18
.LBB347_625:                            ;   in Loop: Header=BB347_15 Depth=1
	s_delay_alu instid0(SALU_CYCLE_1)
	s_or_b32 exec_lo, exec_lo, s17
.LBB347_626:                            ;   in Loop: Header=BB347_15 Depth=1
	s_delay_alu instid0(SALU_CYCLE_1) | instskip(SKIP_4) | instid1(VALU_DEP_3)
	s_or_b32 exec_lo, exec_lo, s16
	v_and_b32_e32 v16, 0xff, v115
	v_dual_mov_b32 v38, v115 :: v_dual_mov_b32 v113, 0
	v_mov_b32_e32 v112, 0
	s_mov_b32 s16, exec_lo
	v_cmpx_ne_u16_e32 0, v16
	s_cbranch_execz .LBB347_634
; %bb.627:                              ;   in Loop: Header=BB347_15 Depth=1
	v_bfrev_b32_e32 v112, 1
	s_mov_b32 s17, exec_lo
	v_cmpx_ne_u16_e32 0x80, v16
	s_cbranch_execz .LBB347_633
; %bb.628:                              ;   in Loop: Header=BB347_15 Depth=1
	v_and_b32_e32 v17, 0x7f, v115
	v_mov_b32_e32 v112, 0x7f800001
	s_mov_b32 s18, exec_lo
	s_delay_alu instid0(VALU_DEP_2)
	v_cmpx_ne_u32_e32 0x7f, v17
	s_cbranch_execz .LBB347_632
; %bb.629:                              ;   in Loop: Header=BB347_15 Depth=1
	v_mov_b64_e32 v[30:31], v[38:39]
	v_lshrrev_b32_e32 v16, 3, v17
	s_mov_b32 s19, exec_lo
	v_cmpx_gt_u32_e32 8, v17
; %bb.630:                              ;   in Loop: Header=BB347_15 Depth=1
	v_and_b32_e32 v16, 7, v115
	s_delay_alu instid0(VALU_DEP_1) | instskip(NEXT) | instid1(VALU_DEP_1)
	v_clz_i32_u32_e32 v16, v16
	v_min_u32_e32 v16, 32, v16
	s_delay_alu instid0(VALU_DEP_1) | instskip(SKIP_1) | instid1(VALU_DEP_2)
	v_subrev_nc_u32_e32 v17, 28, v16
	v_sub_nc_u32_e32 v16, 29, v16
	v_lshlrev_b64_e32 v[30:31], v17, v[38:39]
; %bb.631:                              ;   in Loop: Header=BB347_15 Depth=1
	s_or_b32 exec_lo, exec_lo, s19
	s_delay_alu instid0(VALU_DEP_1) | instskip(SKIP_2) | instid1(VALU_DEP_3)
	v_lshlrev_b32_e32 v17, 20, v30
	v_lshlrev_b32_e32 v30, 24, v38
	v_lshl_add_u32 v16, v16, 23, 0x3c000000
	v_and_b32_e32 v17, 0x700000, v17
	s_delay_alu instid0(VALU_DEP_3) | instskip(NEXT) | instid1(VALU_DEP_1)
	v_and_b32_e32 v30, 0x80000000, v30
	v_or3_b32 v112, v17, v30, v16
.LBB347_632:                            ;   in Loop: Header=BB347_15 Depth=1
	s_or_b32 exec_lo, exec_lo, s18
.LBB347_633:                            ;   in Loop: Header=BB347_15 Depth=1
	s_delay_alu instid0(SALU_CYCLE_1)
	s_or_b32 exec_lo, exec_lo, s17
.LBB347_634:                            ;   in Loop: Header=BB347_15 Depth=1
	s_delay_alu instid0(SALU_CYCLE_1) | instskip(SKIP_2) | instid1(VALU_DEP_1)
	s_or_b32 exec_lo, exec_lo, s16
	v_lshrrev_b16 v16, 8, v38
	s_mov_b32 s16, exec_lo
	v_cmpx_ne_u16_e32 0, v16
	s_cbranch_execz .LBB347_642
; %bb.635:                              ;   in Loop: Header=BB347_15 Depth=1
	v_bfrev_b32_e32 v113, 1
	s_mov_b32 s17, exec_lo
	v_cmpx_ne_u16_e32 0x80, v16
	s_cbranch_execz .LBB347_641
; %bb.636:                              ;   in Loop: Header=BB347_15 Depth=1
	v_and_b32_e32 v16, 0xffff, v16
	v_mov_b32_e32 v113, 0x7f800001
	s_mov_b32 s18, exec_lo
	s_delay_alu instid0(VALU_DEP_2) | instskip(NEXT) | instid1(VALU_DEP_1)
	v_and_b32_e32 v17, 0x7f, v16
	v_cmpx_ne_u32_e32 0x7f, v17
	s_cbranch_execz .LBB347_640
; %bb.637:                              ;   in Loop: Header=BB347_15 Depth=1
	v_dual_mov_b32 v31, v39 :: v_dual_bitop2_b32 v30, 7, v16 bitop3:0x40
	v_lshrrev_b32_e32 v16, 3, v17
	s_mov_b32 s19, exec_lo
	v_cmpx_gt_u32_e32 8, v17
; %bb.638:                              ;   in Loop: Header=BB347_15 Depth=1
	s_delay_alu instid0(VALU_DEP_3) | instskip(NEXT) | instid1(VALU_DEP_1)
	v_clz_i32_u32_e32 v16, v30
	v_min_u32_e32 v16, 32, v16
	s_delay_alu instid0(VALU_DEP_1) | instskip(NEXT) | instid1(VALU_DEP_1)
	v_subrev_nc_u32_e32 v17, 28, v16
	v_lshlrev_b64_e32 v[30:31], v17, v[30:31]
	s_delay_alu instid0(VALU_DEP_1)
	v_dual_sub_nc_u32 v16, 29, v16 :: v_dual_bitop2_b32 v30, 7, v30 bitop3:0x40
; %bb.639:                              ;   in Loop: Header=BB347_15 Depth=1
	s_or_b32 exec_lo, exec_lo, s19
	v_lshlrev_b32_e32 v17, 16, v38
	s_delay_alu instid0(VALU_DEP_2) | instskip(NEXT) | instid1(VALU_DEP_3)
	v_lshlrev_b32_e32 v30, 20, v30
	v_lshl_add_u32 v16, v16, 23, 0x3c000000
	s_delay_alu instid0(VALU_DEP_3) | instskip(NEXT) | instid1(VALU_DEP_1)
	v_and_b32_e32 v17, 0x80000000, v17
	v_or3_b32 v113, v30, v17, v16
.LBB347_640:                            ;   in Loop: Header=BB347_15 Depth=1
	s_or_b32 exec_lo, exec_lo, s18
.LBB347_641:                            ;   in Loop: Header=BB347_15 Depth=1
	s_delay_alu instid0(SALU_CYCLE_1)
	s_or_b32 exec_lo, exec_lo, s17
.LBB347_642:                            ;   in Loop: Header=BB347_15 Depth=1
	s_delay_alu instid0(SALU_CYCLE_1) | instskip(SKIP_3) | instid1(VALU_DEP_2)
	s_or_b32 exec_lo, exec_lo, s16
	v_dual_mov_b32 v31, 0 :: v_dual_lshrrev_b32 v16, 16, v115
	v_mov_b32_e32 v30, 0
	s_mov_b32 s16, exec_lo
	v_and_b32_e32 v17, 0xff, v16
	s_delay_alu instid0(VALU_DEP_1)
	v_cmpx_ne_u16_e32 0, v17
	s_cbranch_execz .LBB347_650
; %bb.643:                              ;   in Loop: Header=BB347_15 Depth=1
	v_bfrev_b32_e32 v30, 1
	s_mov_b32 s17, exec_lo
	v_cmpx_ne_u16_e32 0x80, v17
	s_cbranch_execz .LBB347_649
; %bb.644:                              ;   in Loop: Header=BB347_15 Depth=1
	v_bfe_u32 v116, v115, 16, 7
	v_mov_b32_e32 v30, 0x7f800001
	s_mov_b32 s18, exec_lo
	s_delay_alu instid0(VALU_DEP_2)
	v_cmpx_ne_u32_e32 0x7f, v116
	s_cbranch_execz .LBB347_648
; %bb.645:                              ;   in Loop: Header=BB347_15 Depth=1
	v_and_b32_e32 v38, 7, v16
	v_lshrrev_b32_e32 v17, 3, v116
	s_mov_b32 s19, exec_lo
	v_cmpx_gt_u32_e32 8, v116
; %bb.646:                              ;   in Loop: Header=BB347_15 Depth=1
	s_delay_alu instid0(VALU_DEP_3) | instskip(NEXT) | instid1(VALU_DEP_1)
	v_clz_i32_u32_e32 v17, v38
	v_min_u32_e32 v17, 32, v17
	s_delay_alu instid0(VALU_DEP_1) | instskip(NEXT) | instid1(VALU_DEP_1)
	v_subrev_nc_u32_e32 v30, 28, v17
	v_lshlrev_b64_e32 v[116:117], v30, v[38:39]
	s_delay_alu instid0(VALU_DEP_1)
	v_dual_sub_nc_u32 v17, 29, v17 :: v_dual_bitop2_b32 v38, 7, v116 bitop3:0x40
; %bb.647:                              ;   in Loop: Header=BB347_15 Depth=1
	s_or_b32 exec_lo, exec_lo, s19
	s_delay_alu instid0(VALU_DEP_1) | instskip(NEXT) | instid1(VALU_DEP_2)
	v_dual_lshlrev_b32 v16, 24, v16 :: v_dual_lshlrev_b32 v30, 20, v38
	v_lshl_add_u32 v17, v17, 23, 0x3c000000
	s_delay_alu instid0(VALU_DEP_2) | instskip(NEXT) | instid1(VALU_DEP_1)
	v_and_b32_e32 v16, 0x80000000, v16
	v_or3_b32 v30, v30, v16, v17
.LBB347_648:                            ;   in Loop: Header=BB347_15 Depth=1
	s_or_b32 exec_lo, exec_lo, s18
.LBB347_649:                            ;   in Loop: Header=BB347_15 Depth=1
	s_delay_alu instid0(SALU_CYCLE_1)
	s_or_b32 exec_lo, exec_lo, s17
.LBB347_650:                            ;   in Loop: Header=BB347_15 Depth=1
	s_delay_alu instid0(SALU_CYCLE_1) | instskip(NEXT) | instid1(SALU_CYCLE_1)
	s_or_b32 exec_lo, exec_lo, s16
	s_mov_b32 s16, exec_lo
	v_cmpx_lt_u64_e64 s[8:9], v[114:115]
	s_cbranch_execz .LBB347_658
; %bb.651:                              ;   in Loop: Header=BB347_15 Depth=1
	v_lshrrev_b32_e32 v16, 24, v115
	v_bfrev_b32_e32 v31, 1
	s_mov_b32 s17, exec_lo
	s_delay_alu instid0(VALU_DEP_2)
	v_cmpx_ne_u32_e32 0x80, v16
	s_cbranch_execz .LBB347_657
; %bb.652:                              ;   in Loop: Header=BB347_15 Depth=1
	v_bfe_u32 v114, v115, 24, 7
	v_mov_b32_e32 v31, 0x7f800001
	s_mov_b32 s18, exec_lo
	s_delay_alu instid0(VALU_DEP_2)
	v_cmpx_ne_u32_e32 0x7f, v114
	s_cbranch_execz .LBB347_656
; %bb.653:                              ;   in Loop: Header=BB347_15 Depth=1
	v_dual_lshrrev_b32 v17, 3, v114 :: v_dual_bitop2_b32 v38, 7, v16 bitop3:0x40
	s_mov_b32 s19, exec_lo
	v_cmpx_gt_u32_e32 8, v114
; %bb.654:                              ;   in Loop: Header=BB347_15 Depth=1
	s_delay_alu instid0(VALU_DEP_2) | instskip(NEXT) | instid1(VALU_DEP_1)
	v_clz_i32_u32_e32 v17, v38
	v_min_u32_e32 v17, 32, v17
	s_delay_alu instid0(VALU_DEP_1) | instskip(NEXT) | instid1(VALU_DEP_1)
	v_subrev_nc_u32_e32 v31, 28, v17
	v_lshlrev_b64_e32 v[114:115], v31, v[38:39]
	s_delay_alu instid0(VALU_DEP_1)
	v_dual_sub_nc_u32 v17, 29, v17 :: v_dual_bitop2_b32 v38, 7, v114 bitop3:0x40
; %bb.655:                              ;   in Loop: Header=BB347_15 Depth=1
	s_or_b32 exec_lo, exec_lo, s19
	s_delay_alu instid0(VALU_DEP_1) | instskip(NEXT) | instid1(VALU_DEP_2)
	v_dual_lshlrev_b32 v16, 24, v16 :: v_dual_lshlrev_b32 v31, 20, v38
	v_lshl_add_u32 v17, v17, 23, 0x3c000000
	s_delay_alu instid0(VALU_DEP_2) | instskip(NEXT) | instid1(VALU_DEP_1)
	v_and_b32_e32 v16, 0x80000000, v16
	v_or3_b32 v31, v31, v16, v17
.LBB347_656:                            ;   in Loop: Header=BB347_15 Depth=1
	s_or_b32 exec_lo, exec_lo, s18
.LBB347_657:                            ;   in Loop: Header=BB347_15 Depth=1
	s_delay_alu instid0(SALU_CYCLE_1)
	s_or_b32 exec_lo, exec_lo, s17
.LBB347_658:                            ;   in Loop: Header=BB347_15 Depth=1
	s_delay_alu instid0(SALU_CYCLE_1)
	s_or_b32 exec_lo, exec_lo, s16
	flat_load_b64 v[42:43], v[0:1] offset:2560
	v_dual_mov_b32 v115, 0 :: v_dual_mov_b32 v114, 0
	s_mov_b32 s16, exec_lo
	s_wait_loadcnt_dscnt 0x0
	v_and_b32_e32 v16, 0xff, v42
	s_wait_xcnt 0x0
	s_delay_alu instid0(VALU_DEP_1)
	v_cmpx_ne_u16_e32 0, v16
	s_cbranch_execz .LBB347_666
; %bb.659:                              ;   in Loop: Header=BB347_15 Depth=1
	v_bfrev_b32_e32 v114, 1
	s_mov_b32 s17, exec_lo
	v_cmpx_ne_u16_e32 0x80, v16
	s_cbranch_execz .LBB347_665
; %bb.660:                              ;   in Loop: Header=BB347_15 Depth=1
	v_and_b32_e32 v17, 0x7f, v42
	v_mov_b32_e32 v114, 0x7f800001
	s_mov_b32 s18, exec_lo
	s_delay_alu instid0(VALU_DEP_2)
	v_cmpx_ne_u32_e32 0x7f, v17
	s_cbranch_execz .LBB347_664
; %bb.661:                              ;   in Loop: Header=BB347_15 Depth=1
	v_mov_b64_e32 v[116:117], v[42:43]
	v_lshrrev_b32_e32 v16, 3, v17
	s_mov_b32 s19, exec_lo
	v_cmpx_gt_u32_e32 8, v17
; %bb.662:                              ;   in Loop: Header=BB347_15 Depth=1
	v_and_b32_e32 v16, 7, v42
	s_delay_alu instid0(VALU_DEP_1) | instskip(NEXT) | instid1(VALU_DEP_1)
	v_clz_i32_u32_e32 v16, v16
	v_min_u32_e32 v16, 32, v16
	s_delay_alu instid0(VALU_DEP_1) | instskip(SKIP_1) | instid1(VALU_DEP_2)
	v_subrev_nc_u32_e32 v17, 28, v16
	v_sub_nc_u32_e32 v16, 29, v16
	v_lshlrev_b64_e32 v[116:117], v17, v[42:43]
; %bb.663:                              ;   in Loop: Header=BB347_15 Depth=1
	s_or_b32 exec_lo, exec_lo, s19
	s_delay_alu instid0(VALU_DEP_1) | instskip(NEXT) | instid1(VALU_DEP_3)
	v_dual_lshlrev_b32 v17, 20, v116 :: v_dual_lshlrev_b32 v38, 24, v42
	v_lshl_add_u32 v16, v16, 23, 0x3c000000
	s_delay_alu instid0(VALU_DEP_2) | instskip(NEXT) | instid1(VALU_DEP_3)
	v_and_b32_e32 v17, 0x700000, v17
	v_and_b32_e32 v38, 0x80000000, v38
	s_delay_alu instid0(VALU_DEP_1)
	v_or3_b32 v114, v17, v38, v16
.LBB347_664:                            ;   in Loop: Header=BB347_15 Depth=1
	s_or_b32 exec_lo, exec_lo, s18
.LBB347_665:                            ;   in Loop: Header=BB347_15 Depth=1
	s_delay_alu instid0(SALU_CYCLE_1)
	s_or_b32 exec_lo, exec_lo, s17
.LBB347_666:                            ;   in Loop: Header=BB347_15 Depth=1
	s_delay_alu instid0(SALU_CYCLE_1) | instskip(SKIP_2) | instid1(VALU_DEP_1)
	s_or_b32 exec_lo, exec_lo, s16
	v_lshrrev_b16 v16, 8, v42
	s_mov_b32 s16, exec_lo
	v_cmpx_ne_u16_e32 0, v16
	s_cbranch_execz .LBB347_674
; %bb.667:                              ;   in Loop: Header=BB347_15 Depth=1
	v_bfrev_b32_e32 v115, 1
	s_mov_b32 s17, exec_lo
	v_cmpx_ne_u16_e32 0x80, v16
	s_cbranch_execz .LBB347_673
; %bb.668:                              ;   in Loop: Header=BB347_15 Depth=1
	v_and_b32_e32 v16, 0xffff, v16
	v_mov_b32_e32 v115, 0x7f800001
	s_mov_b32 s18, exec_lo
	s_delay_alu instid0(VALU_DEP_2) | instskip(NEXT) | instid1(VALU_DEP_1)
	v_and_b32_e32 v17, 0x7f, v16
	v_cmpx_ne_u32_e32 0x7f, v17
	s_cbranch_execz .LBB347_672
; %bb.669:                              ;   in Loop: Header=BB347_15 Depth=1
	v_dual_lshrrev_b32 v16, 3, v17 :: v_dual_bitop2_b32 v38, 7, v16 bitop3:0x40
	s_mov_b32 s19, exec_lo
	v_cmpx_gt_u32_e32 8, v17
; %bb.670:                              ;   in Loop: Header=BB347_15 Depth=1
	s_delay_alu instid0(VALU_DEP_2) | instskip(NEXT) | instid1(VALU_DEP_1)
	v_clz_i32_u32_e32 v16, v38
	v_min_u32_e32 v16, 32, v16
	s_delay_alu instid0(VALU_DEP_1) | instskip(SKIP_1) | instid1(VALU_DEP_2)
	v_subrev_nc_u32_e32 v17, 28, v16
	v_sub_nc_u32_e32 v16, 29, v16
	v_lshlrev_b64_e32 v[116:117], v17, v[38:39]
	s_delay_alu instid0(VALU_DEP_1)
	v_and_b32_e32 v38, 7, v116
; %bb.671:                              ;   in Loop: Header=BB347_15 Depth=1
	s_or_b32 exec_lo, exec_lo, s19
	v_lshlrev_b32_e32 v17, 16, v42
	s_delay_alu instid0(VALU_DEP_2) | instskip(SKIP_1) | instid1(VALU_DEP_3)
	v_lshlrev_b32_e32 v38, 20, v38
	v_lshl_add_u32 v16, v16, 23, 0x3c000000
	v_and_b32_e32 v17, 0x80000000, v17
	s_delay_alu instid0(VALU_DEP_1)
	v_or3_b32 v115, v38, v17, v16
.LBB347_672:                            ;   in Loop: Header=BB347_15 Depth=1
	s_or_b32 exec_lo, exec_lo, s18
.LBB347_673:                            ;   in Loop: Header=BB347_15 Depth=1
	s_delay_alu instid0(SALU_CYCLE_1)
	s_or_b32 exec_lo, exec_lo, s17
.LBB347_674:                            ;   in Loop: Header=BB347_15 Depth=1
	s_delay_alu instid0(SALU_CYCLE_1) | instskip(SKIP_3) | instid1(VALU_DEP_2)
	s_or_b32 exec_lo, exec_lo, s16
	v_dual_mov_b32 v117, 0 :: v_dual_lshrrev_b32 v16, 16, v42
	v_mov_b32_e32 v116, 0
	s_mov_b32 s16, exec_lo
	v_and_b32_e32 v17, 0xff, v16
	s_delay_alu instid0(VALU_DEP_1)
	v_cmpx_ne_u16_e32 0, v17
	s_cbranch_execz .LBB347_682
; %bb.675:                              ;   in Loop: Header=BB347_15 Depth=1
	v_bfrev_b32_e32 v116, 1
	s_mov_b32 s17, exec_lo
	v_cmpx_ne_u16_e32 0x80, v17
	s_cbranch_execz .LBB347_681
; %bb.676:                              ;   in Loop: Header=BB347_15 Depth=1
	v_bfe_u32 v118, v42, 16, 7
	v_mov_b32_e32 v116, 0x7f800001
	s_mov_b32 s18, exec_lo
	s_delay_alu instid0(VALU_DEP_2)
	v_cmpx_ne_u32_e32 0x7f, v118
	s_cbranch_execz .LBB347_680
; %bb.677:                              ;   in Loop: Header=BB347_15 Depth=1
	v_dual_lshrrev_b32 v17, 3, v118 :: v_dual_bitop2_b32 v38, 7, v16 bitop3:0x40
	s_mov_b32 s19, exec_lo
	v_cmpx_gt_u32_e32 8, v118
; %bb.678:                              ;   in Loop: Header=BB347_15 Depth=1
	s_delay_alu instid0(VALU_DEP_2) | instskip(NEXT) | instid1(VALU_DEP_1)
	v_clz_i32_u32_e32 v17, v38
	v_min_u32_e32 v17, 32, v17
	s_delay_alu instid0(VALU_DEP_1) | instskip(NEXT) | instid1(VALU_DEP_1)
	v_subrev_nc_u32_e32 v116, 28, v17
	v_lshlrev_b64_e32 v[118:119], v116, v[38:39]
	s_delay_alu instid0(VALU_DEP_1)
	v_dual_sub_nc_u32 v17, 29, v17 :: v_dual_bitop2_b32 v38, 7, v118 bitop3:0x40
; %bb.679:                              ;   in Loop: Header=BB347_15 Depth=1
	s_or_b32 exec_lo, exec_lo, s19
	s_delay_alu instid0(VALU_DEP_1) | instskip(NEXT) | instid1(VALU_DEP_2)
	v_dual_lshlrev_b32 v16, 24, v16 :: v_dual_lshlrev_b32 v38, 20, v38
	v_lshl_add_u32 v17, v17, 23, 0x3c000000
	s_delay_alu instid0(VALU_DEP_2) | instskip(NEXT) | instid1(VALU_DEP_1)
	v_and_b32_e32 v16, 0x80000000, v16
	v_or3_b32 v116, v38, v16, v17
.LBB347_680:                            ;   in Loop: Header=BB347_15 Depth=1
	s_or_b32 exec_lo, exec_lo, s18
.LBB347_681:                            ;   in Loop: Header=BB347_15 Depth=1
	s_delay_alu instid0(SALU_CYCLE_1)
	s_or_b32 exec_lo, exec_lo, s17
.LBB347_682:                            ;   in Loop: Header=BB347_15 Depth=1
	s_delay_alu instid0(SALU_CYCLE_1) | instskip(NEXT) | instid1(SALU_CYCLE_1)
	s_or_b32 exec_lo, exec_lo, s16
	s_mov_b32 s16, exec_lo
	v_cmpx_lt_u32_e32 0xffffff, v42
	s_cbranch_execz .LBB347_690
; %bb.683:                              ;   in Loop: Header=BB347_15 Depth=1
	v_lshrrev_b32_e32 v16, 24, v42
	v_bfrev_b32_e32 v117, 1
	s_mov_b32 s17, exec_lo
	s_delay_alu instid0(VALU_DEP_2)
	v_cmpx_ne_u32_e32 0x80, v16
	s_cbranch_execz .LBB347_689
; %bb.684:                              ;   in Loop: Header=BB347_15 Depth=1
	v_bfe_u32 v118, v42, 24, 7
	v_mov_b32_e32 v117, 0x7f800001
	s_mov_b32 s18, exec_lo
	s_delay_alu instid0(VALU_DEP_2)
	v_cmpx_ne_u32_e32 0x7f, v118
	s_cbranch_execz .LBB347_688
; %bb.685:                              ;   in Loop: Header=BB347_15 Depth=1
	v_dual_lshrrev_b32 v17, 3, v118 :: v_dual_bitop2_b32 v38, 7, v16 bitop3:0x40
	s_mov_b32 s19, exec_lo
	v_cmpx_gt_u32_e32 8, v118
; %bb.686:                              ;   in Loop: Header=BB347_15 Depth=1
	s_delay_alu instid0(VALU_DEP_2) | instskip(NEXT) | instid1(VALU_DEP_1)
	v_clz_i32_u32_e32 v17, v38
	v_min_u32_e32 v17, 32, v17
	s_delay_alu instid0(VALU_DEP_1) | instskip(NEXT) | instid1(VALU_DEP_1)
	v_subrev_nc_u32_e32 v117, 28, v17
	v_lshlrev_b64_e32 v[118:119], v117, v[38:39]
	s_delay_alu instid0(VALU_DEP_1)
	v_dual_sub_nc_u32 v17, 29, v17 :: v_dual_bitop2_b32 v38, 7, v118 bitop3:0x40
; %bb.687:                              ;   in Loop: Header=BB347_15 Depth=1
	s_or_b32 exec_lo, exec_lo, s19
	s_delay_alu instid0(VALU_DEP_1) | instskip(NEXT) | instid1(VALU_DEP_2)
	v_dual_lshlrev_b32 v16, 24, v16 :: v_dual_lshlrev_b32 v38, 20, v38
	v_lshl_add_u32 v17, v17, 23, 0x3c000000
	s_delay_alu instid0(VALU_DEP_2) | instskip(NEXT) | instid1(VALU_DEP_1)
	v_and_b32_e32 v16, 0x80000000, v16
	v_or3_b32 v117, v38, v16, v17
.LBB347_688:                            ;   in Loop: Header=BB347_15 Depth=1
	s_or_b32 exec_lo, exec_lo, s18
.LBB347_689:                            ;   in Loop: Header=BB347_15 Depth=1
	s_delay_alu instid0(SALU_CYCLE_1)
	s_or_b32 exec_lo, exec_lo, s17
.LBB347_690:                            ;   in Loop: Header=BB347_15 Depth=1
	s_delay_alu instid0(SALU_CYCLE_1) | instskip(SKIP_4) | instid1(VALU_DEP_3)
	s_or_b32 exec_lo, exec_lo, s16
	v_and_b32_e32 v16, 0xff, v43
	v_dual_mov_b32 v38, v43 :: v_dual_mov_b32 v119, 0
	v_mov_b32_e32 v118, 0
	s_mov_b32 s16, exec_lo
	v_cmpx_ne_u16_e32 0, v16
	s_cbranch_execz .LBB347_698
; %bb.691:                              ;   in Loop: Header=BB347_15 Depth=1
	v_bfrev_b32_e32 v118, 1
	s_mov_b32 s17, exec_lo
	v_cmpx_ne_u16_e32 0x80, v16
	s_cbranch_execz .LBB347_697
; %bb.692:                              ;   in Loop: Header=BB347_15 Depth=1
	v_and_b32_e32 v17, 0x7f, v43
	v_mov_b32_e32 v118, 0x7f800001
	s_mov_b32 s18, exec_lo
	s_delay_alu instid0(VALU_DEP_2)
	v_cmpx_ne_u32_e32 0x7f, v17
	s_cbranch_execz .LBB347_696
; %bb.693:                              ;   in Loop: Header=BB347_15 Depth=1
	v_mov_b64_e32 v[40:41], v[38:39]
	v_lshrrev_b32_e32 v16, 3, v17
	s_mov_b32 s19, exec_lo
	v_cmpx_gt_u32_e32 8, v17
; %bb.694:                              ;   in Loop: Header=BB347_15 Depth=1
	v_and_b32_e32 v16, 7, v43
	s_delay_alu instid0(VALU_DEP_1) | instskip(NEXT) | instid1(VALU_DEP_1)
	v_clz_i32_u32_e32 v16, v16
	v_min_u32_e32 v16, 32, v16
	s_delay_alu instid0(VALU_DEP_1) | instskip(SKIP_1) | instid1(VALU_DEP_2)
	v_subrev_nc_u32_e32 v17, 28, v16
	v_sub_nc_u32_e32 v16, 29, v16
	v_lshlrev_b64_e32 v[40:41], v17, v[38:39]
; %bb.695:                              ;   in Loop: Header=BB347_15 Depth=1
	s_or_b32 exec_lo, exec_lo, s19
	s_delay_alu instid0(VALU_DEP_1) | instskip(NEXT) | instid1(VALU_DEP_3)
	v_dual_lshlrev_b32 v17, 20, v40 :: v_dual_lshlrev_b32 v118, 24, v38
	v_lshl_add_u32 v16, v16, 23, 0x3c000000
	s_delay_alu instid0(VALU_DEP_2) | instskip(NEXT) | instid1(VALU_DEP_3)
	v_and_b32_e32 v17, 0x700000, v17
	v_and_b32_e32 v118, 0x80000000, v118
	s_delay_alu instid0(VALU_DEP_1)
	v_or3_b32 v118, v17, v118, v16
.LBB347_696:                            ;   in Loop: Header=BB347_15 Depth=1
	s_or_b32 exec_lo, exec_lo, s18
.LBB347_697:                            ;   in Loop: Header=BB347_15 Depth=1
	s_delay_alu instid0(SALU_CYCLE_1)
	s_or_b32 exec_lo, exec_lo, s17
.LBB347_698:                            ;   in Loop: Header=BB347_15 Depth=1
	s_delay_alu instid0(SALU_CYCLE_1) | instskip(SKIP_2) | instid1(VALU_DEP_1)
	s_or_b32 exec_lo, exec_lo, s16
	v_lshrrev_b16 v16, 8, v38
	s_mov_b32 s16, exec_lo
	v_cmpx_ne_u16_e32 0, v16
	s_cbranch_execz .LBB347_706
; %bb.699:                              ;   in Loop: Header=BB347_15 Depth=1
	v_bfrev_b32_e32 v119, 1
	s_mov_b32 s17, exec_lo
	v_cmpx_ne_u16_e32 0x80, v16
	s_cbranch_execz .LBB347_705
; %bb.700:                              ;   in Loop: Header=BB347_15 Depth=1
	v_and_b32_e32 v16, 0xffff, v16
	v_mov_b32_e32 v119, 0x7f800001
	s_mov_b32 s18, exec_lo
	s_delay_alu instid0(VALU_DEP_2) | instskip(NEXT) | instid1(VALU_DEP_1)
	v_and_b32_e32 v17, 0x7f, v16
	v_cmpx_ne_u32_e32 0x7f, v17
	s_cbranch_execz .LBB347_704
; %bb.701:                              ;   in Loop: Header=BB347_15 Depth=1
	v_dual_mov_b32 v41, v39 :: v_dual_bitop2_b32 v40, 7, v16 bitop3:0x40
	v_lshrrev_b32_e32 v16, 3, v17
	s_mov_b32 s19, exec_lo
	v_cmpx_gt_u32_e32 8, v17
; %bb.702:                              ;   in Loop: Header=BB347_15 Depth=1
	s_delay_alu instid0(VALU_DEP_3) | instskip(NEXT) | instid1(VALU_DEP_1)
	v_clz_i32_u32_e32 v16, v40
	v_min_u32_e32 v16, 32, v16
	s_delay_alu instid0(VALU_DEP_1) | instskip(SKIP_1) | instid1(VALU_DEP_2)
	v_subrev_nc_u32_e32 v17, 28, v16
	v_sub_nc_u32_e32 v16, 29, v16
	v_lshlrev_b64_e32 v[40:41], v17, v[40:41]
	s_delay_alu instid0(VALU_DEP_1)
	v_and_b32_e32 v40, 7, v40
; %bb.703:                              ;   in Loop: Header=BB347_15 Depth=1
	s_or_b32 exec_lo, exec_lo, s19
	s_delay_alu instid0(VALU_DEP_1) | instskip(SKIP_1) | instid1(VALU_DEP_2)
	v_dual_lshlrev_b32 v17, 16, v38 :: v_dual_lshlrev_b32 v38, 20, v40
	v_lshl_add_u32 v16, v16, 23, 0x3c000000
	v_and_b32_e32 v17, 0x80000000, v17
	s_delay_alu instid0(VALU_DEP_1)
	v_or3_b32 v119, v38, v17, v16
.LBB347_704:                            ;   in Loop: Header=BB347_15 Depth=1
	s_or_b32 exec_lo, exec_lo, s18
.LBB347_705:                            ;   in Loop: Header=BB347_15 Depth=1
	s_delay_alu instid0(SALU_CYCLE_1)
	s_or_b32 exec_lo, exec_lo, s17
.LBB347_706:                            ;   in Loop: Header=BB347_15 Depth=1
	s_delay_alu instid0(SALU_CYCLE_1) | instskip(SKIP_3) | instid1(VALU_DEP_2)
	s_or_b32 exec_lo, exec_lo, s16
	v_dual_mov_b32 v41, 0 :: v_dual_lshrrev_b32 v16, 16, v43
	v_mov_b32_e32 v40, 0
	s_mov_b32 s16, exec_lo
	v_and_b32_e32 v17, 0xff, v16
	s_delay_alu instid0(VALU_DEP_1)
	v_cmpx_ne_u16_e32 0, v17
	s_cbranch_execz .LBB347_714
; %bb.707:                              ;   in Loop: Header=BB347_15 Depth=1
	v_bfrev_b32_e32 v40, 1
	s_mov_b32 s17, exec_lo
	v_cmpx_ne_u16_e32 0x80, v17
	s_cbranch_execz .LBB347_713
; %bb.708:                              ;   in Loop: Header=BB347_15 Depth=1
	v_bfe_u32 v44, v43, 16, 7
	v_mov_b32_e32 v40, 0x7f800001
	s_mov_b32 s18, exec_lo
	s_delay_alu instid0(VALU_DEP_2)
	v_cmpx_ne_u32_e32 0x7f, v44
	s_cbranch_execz .LBB347_712
; %bb.709:                              ;   in Loop: Header=BB347_15 Depth=1
	v_and_b32_e32 v38, 7, v16
	v_lshrrev_b32_e32 v17, 3, v44
	s_mov_b32 s19, exec_lo
	v_cmpx_gt_u32_e32 8, v44
; %bb.710:                              ;   in Loop: Header=BB347_15 Depth=1
	s_delay_alu instid0(VALU_DEP_3) | instskip(NEXT) | instid1(VALU_DEP_1)
	v_clz_i32_u32_e32 v17, v38
	v_min_u32_e32 v17, 32, v17
	s_delay_alu instid0(VALU_DEP_1) | instskip(NEXT) | instid1(VALU_DEP_1)
	v_subrev_nc_u32_e32 v40, 28, v17
	v_lshlrev_b64_e32 v[44:45], v40, v[38:39]
	s_delay_alu instid0(VALU_DEP_1)
	v_dual_sub_nc_u32 v17, 29, v17 :: v_dual_bitop2_b32 v38, 7, v44 bitop3:0x40
; %bb.711:                              ;   in Loop: Header=BB347_15 Depth=1
	s_or_b32 exec_lo, exec_lo, s19
	s_delay_alu instid0(VALU_DEP_1) | instskip(NEXT) | instid1(VALU_DEP_2)
	v_dual_lshlrev_b32 v16, 24, v16 :: v_dual_lshlrev_b32 v38, 20, v38
	v_lshl_add_u32 v17, v17, 23, 0x3c000000
	s_delay_alu instid0(VALU_DEP_2) | instskip(NEXT) | instid1(VALU_DEP_1)
	v_and_b32_e32 v16, 0x80000000, v16
	v_or3_b32 v40, v38, v16, v17
.LBB347_712:                            ;   in Loop: Header=BB347_15 Depth=1
	s_or_b32 exec_lo, exec_lo, s18
.LBB347_713:                            ;   in Loop: Header=BB347_15 Depth=1
	s_delay_alu instid0(SALU_CYCLE_1)
	s_or_b32 exec_lo, exec_lo, s17
.LBB347_714:                            ;   in Loop: Header=BB347_15 Depth=1
	s_delay_alu instid0(SALU_CYCLE_1) | instskip(NEXT) | instid1(SALU_CYCLE_1)
	s_or_b32 exec_lo, exec_lo, s16
	s_mov_b32 s16, exec_lo
	v_cmpx_lt_u64_e64 s[8:9], v[42:43]
	s_cbranch_execz .LBB347_722
; %bb.715:                              ;   in Loop: Header=BB347_15 Depth=1
	v_lshrrev_b32_e32 v16, 24, v43
	v_bfrev_b32_e32 v41, 1
	s_mov_b32 s17, exec_lo
	s_delay_alu instid0(VALU_DEP_2)
	v_cmpx_ne_u32_e32 0x80, v16
	s_cbranch_execz .LBB347_721
; %bb.716:                              ;   in Loop: Header=BB347_15 Depth=1
	v_bfe_u32 v42, v43, 24, 7
	v_mov_b32_e32 v41, 0x7f800001
	s_mov_b32 s18, exec_lo
	s_delay_alu instid0(VALU_DEP_2)
	v_cmpx_ne_u32_e32 0x7f, v42
	s_cbranch_execz .LBB347_720
; %bb.717:                              ;   in Loop: Header=BB347_15 Depth=1
	v_dual_lshrrev_b32 v17, 3, v42 :: v_dual_bitop2_b32 v38, 7, v16 bitop3:0x40
	s_mov_b32 s19, exec_lo
	v_cmpx_gt_u32_e32 8, v42
; %bb.718:                              ;   in Loop: Header=BB347_15 Depth=1
	s_delay_alu instid0(VALU_DEP_2) | instskip(NEXT) | instid1(VALU_DEP_1)
	v_clz_i32_u32_e32 v17, v38
	v_min_u32_e32 v17, 32, v17
	s_delay_alu instid0(VALU_DEP_1) | instskip(NEXT) | instid1(VALU_DEP_1)
	v_subrev_nc_u32_e32 v41, 28, v17
	v_lshlrev_b64_e32 v[42:43], v41, v[38:39]
	s_delay_alu instid0(VALU_DEP_1)
	v_dual_sub_nc_u32 v17, 29, v17 :: v_dual_bitop2_b32 v38, 7, v42 bitop3:0x40
; %bb.719:                              ;   in Loop: Header=BB347_15 Depth=1
	s_or_b32 exec_lo, exec_lo, s19
	s_delay_alu instid0(VALU_DEP_1) | instskip(NEXT) | instid1(VALU_DEP_2)
	v_dual_lshlrev_b32 v16, 24, v16 :: v_dual_lshlrev_b32 v38, 20, v38
	v_lshl_add_u32 v17, v17, 23, 0x3c000000
	s_delay_alu instid0(VALU_DEP_2) | instskip(NEXT) | instid1(VALU_DEP_1)
	v_and_b32_e32 v16, 0x80000000, v16
	v_or3_b32 v41, v38, v16, v17
.LBB347_720:                            ;   in Loop: Header=BB347_15 Depth=1
	s_or_b32 exec_lo, exec_lo, s18
.LBB347_721:                            ;   in Loop: Header=BB347_15 Depth=1
	s_delay_alu instid0(SALU_CYCLE_1)
	s_or_b32 exec_lo, exec_lo, s17
.LBB347_722:                            ;   in Loop: Header=BB347_15 Depth=1
	s_delay_alu instid0(SALU_CYCLE_1)
	s_or_b32 exec_lo, exec_lo, s16
	flat_load_b64 v[44:45], v[0:1] offset:2568
	s_wait_xcnt 0x0
	v_dual_mov_b32 v1, 0 :: v_dual_mov_b32 v0, 0
	s_mov_b32 s16, exec_lo
	s_wait_loadcnt_dscnt 0x0
	v_and_b32_e32 v16, 0xff, v44
	s_delay_alu instid0(VALU_DEP_1)
	v_cmpx_ne_u16_e32 0, v16
	s_cbranch_execz .LBB347_730
; %bb.723:                              ;   in Loop: Header=BB347_15 Depth=1
	v_bfrev_b32_e32 v0, 1
	s_mov_b32 s17, exec_lo
	v_cmpx_ne_u16_e32 0x80, v16
	s_cbranch_execz .LBB347_729
; %bb.724:                              ;   in Loop: Header=BB347_15 Depth=1
	v_and_b32_e32 v16, 0x7f, v44
	v_mov_b32_e32 v0, 0x7f800001
	s_mov_b32 s18, exec_lo
	s_delay_alu instid0(VALU_DEP_2)
	v_cmpx_ne_u32_e32 0x7f, v16
	s_cbranch_execz .LBB347_728
; %bb.725:                              ;   in Loop: Header=BB347_15 Depth=1
	v_mov_b64_e32 v[42:43], v[44:45]
	v_lshrrev_b32_e32 v0, 3, v16
	s_mov_b32 s19, exec_lo
	v_cmpx_gt_u32_e32 8, v16
; %bb.726:                              ;   in Loop: Header=BB347_15 Depth=1
	v_and_b32_e32 v0, 7, v44
	s_delay_alu instid0(VALU_DEP_1) | instskip(NEXT) | instid1(VALU_DEP_1)
	v_clz_i32_u32_e32 v0, v0
	v_min_u32_e32 v0, 32, v0
	s_delay_alu instid0(VALU_DEP_1) | instskip(SKIP_1) | instid1(VALU_DEP_2)
	v_subrev_nc_u32_e32 v16, 28, v0
	v_sub_nc_u32_e32 v0, 29, v0
	v_lshlrev_b64_e32 v[42:43], v16, v[44:45]
; %bb.727:                              ;   in Loop: Header=BB347_15 Depth=1
	s_or_b32 exec_lo, exec_lo, s19
	s_delay_alu instid0(VALU_DEP_1) | instskip(NEXT) | instid1(VALU_DEP_3)
	v_dual_lshlrev_b32 v16, 20, v42 :: v_dual_lshlrev_b32 v17, 24, v44
	v_lshl_add_u32 v0, v0, 23, 0x3c000000
	s_delay_alu instid0(VALU_DEP_2) | instskip(NEXT) | instid1(VALU_DEP_3)
	v_and_b32_e32 v16, 0x700000, v16
	v_and_b32_e32 v17, 0x80000000, v17
	s_delay_alu instid0(VALU_DEP_1)
	v_or3_b32 v0, v16, v17, v0
.LBB347_728:                            ;   in Loop: Header=BB347_15 Depth=1
	s_or_b32 exec_lo, exec_lo, s18
.LBB347_729:                            ;   in Loop: Header=BB347_15 Depth=1
	s_delay_alu instid0(SALU_CYCLE_1)
	s_or_b32 exec_lo, exec_lo, s17
.LBB347_730:                            ;   in Loop: Header=BB347_15 Depth=1
	s_delay_alu instid0(SALU_CYCLE_1) | instskip(SKIP_2) | instid1(VALU_DEP_1)
	s_or_b32 exec_lo, exec_lo, s16
	v_lshrrev_b16 v16, 8, v44
	s_mov_b32 s16, exec_lo
	v_cmpx_ne_u16_e32 0, v16
	s_cbranch_execz .LBB347_738
; %bb.731:                              ;   in Loop: Header=BB347_15 Depth=1
	v_bfrev_b32_e32 v1, 1
	s_mov_b32 s17, exec_lo
	v_cmpx_ne_u16_e32 0x80, v16
	s_cbranch_execz .LBB347_737
; %bb.732:                              ;   in Loop: Header=BB347_15 Depth=1
	v_and_b32_e32 v17, 0xffff, v16
	v_mov_b32_e32 v1, 0x7f800001
	s_mov_b32 s18, exec_lo
	s_delay_alu instid0(VALU_DEP_2) | instskip(NEXT) | instid1(VALU_DEP_1)
	v_and_b32_e32 v16, 0x7f, v17
	v_cmpx_ne_u32_e32 0x7f, v16
	s_cbranch_execz .LBB347_736
; %bb.733:                              ;   in Loop: Header=BB347_15 Depth=1
	v_dual_lshrrev_b32 v1, 3, v16 :: v_dual_bitop2_b32 v38, 7, v17 bitop3:0x40
	s_mov_b32 s19, exec_lo
	v_cmpx_gt_u32_e32 8, v16
; %bb.734:                              ;   in Loop: Header=BB347_15 Depth=1
	s_delay_alu instid0(VALU_DEP_2) | instskip(NEXT) | instid1(VALU_DEP_1)
	v_clz_i32_u32_e32 v1, v38
	v_min_u32_e32 v1, 32, v1
	s_delay_alu instid0(VALU_DEP_1) | instskip(NEXT) | instid1(VALU_DEP_1)
	v_subrev_nc_u32_e32 v16, 28, v1
	v_lshlrev_b64_e32 v[16:17], v16, v[38:39]
	s_delay_alu instid0(VALU_DEP_1)
	v_dual_sub_nc_u32 v1, 29, v1 :: v_dual_bitop2_b32 v38, 7, v16 bitop3:0x40
; %bb.735:                              ;   in Loop: Header=BB347_15 Depth=1
	s_or_b32 exec_lo, exec_lo, s19
	s_delay_alu instid0(VALU_DEP_1) | instskip(NEXT) | instid1(VALU_DEP_2)
	v_dual_lshlrev_b32 v16, 16, v44 :: v_dual_lshlrev_b32 v17, 20, v38
	v_lshl_add_u32 v1, v1, 23, 0x3c000000
	s_delay_alu instid0(VALU_DEP_2) | instskip(NEXT) | instid1(VALU_DEP_1)
	v_and_b32_e32 v16, 0x80000000, v16
	v_or3_b32 v1, v17, v16, v1
.LBB347_736:                            ;   in Loop: Header=BB347_15 Depth=1
	s_or_b32 exec_lo, exec_lo, s18
.LBB347_737:                            ;   in Loop: Header=BB347_15 Depth=1
	s_delay_alu instid0(SALU_CYCLE_1)
	s_or_b32 exec_lo, exec_lo, s17
.LBB347_738:                            ;   in Loop: Header=BB347_15 Depth=1
	s_delay_alu instid0(SALU_CYCLE_1) | instskip(SKIP_3) | instid1(VALU_DEP_2)
	s_or_b32 exec_lo, exec_lo, s16
	v_dual_mov_b32 v43, 0 :: v_dual_lshrrev_b32 v16, 16, v44
	v_mov_b32_e32 v42, 0
	s_mov_b32 s16, exec_lo
	v_and_b32_e32 v17, 0xff, v16
	s_delay_alu instid0(VALU_DEP_1)
	v_cmpx_ne_u16_e32 0, v17
	s_cbranch_execz .LBB347_746
; %bb.739:                              ;   in Loop: Header=BB347_15 Depth=1
	v_bfrev_b32_e32 v42, 1
	s_mov_b32 s17, exec_lo
	v_cmpx_ne_u16_e32 0x80, v17
	s_cbranch_execz .LBB347_745
; %bb.740:                              ;   in Loop: Header=BB347_15 Depth=1
	v_bfe_u32 v46, v44, 16, 7
	v_mov_b32_e32 v42, 0x7f800001
	s_mov_b32 s18, exec_lo
	s_delay_alu instid0(VALU_DEP_2)
	v_cmpx_ne_u32_e32 0x7f, v46
	s_cbranch_execz .LBB347_744
; %bb.741:                              ;   in Loop: Header=BB347_15 Depth=1
	v_dual_lshrrev_b32 v17, 3, v46 :: v_dual_bitop2_b32 v38, 7, v16 bitop3:0x40
	s_mov_b32 s19, exec_lo
	v_cmpx_gt_u32_e32 8, v46
; %bb.742:                              ;   in Loop: Header=BB347_15 Depth=1
	s_delay_alu instid0(VALU_DEP_2) | instskip(NEXT) | instid1(VALU_DEP_1)
	v_clz_i32_u32_e32 v17, v38
	v_min_u32_e32 v17, 32, v17
	s_delay_alu instid0(VALU_DEP_1) | instskip(NEXT) | instid1(VALU_DEP_1)
	v_subrev_nc_u32_e32 v42, 28, v17
	v_lshlrev_b64_e32 v[46:47], v42, v[38:39]
	s_delay_alu instid0(VALU_DEP_1)
	v_dual_sub_nc_u32 v17, 29, v17 :: v_dual_bitop2_b32 v38, 7, v46 bitop3:0x40
; %bb.743:                              ;   in Loop: Header=BB347_15 Depth=1
	s_or_b32 exec_lo, exec_lo, s19
	s_delay_alu instid0(VALU_DEP_1) | instskip(NEXT) | instid1(VALU_DEP_2)
	v_dual_lshlrev_b32 v16, 24, v16 :: v_dual_lshlrev_b32 v38, 20, v38
	v_lshl_add_u32 v17, v17, 23, 0x3c000000
	s_delay_alu instid0(VALU_DEP_2) | instskip(NEXT) | instid1(VALU_DEP_1)
	v_and_b32_e32 v16, 0x80000000, v16
	v_or3_b32 v42, v38, v16, v17
.LBB347_744:                            ;   in Loop: Header=BB347_15 Depth=1
	s_or_b32 exec_lo, exec_lo, s18
.LBB347_745:                            ;   in Loop: Header=BB347_15 Depth=1
	s_delay_alu instid0(SALU_CYCLE_1)
	s_or_b32 exec_lo, exec_lo, s17
.LBB347_746:                            ;   in Loop: Header=BB347_15 Depth=1
	s_delay_alu instid0(SALU_CYCLE_1) | instskip(NEXT) | instid1(SALU_CYCLE_1)
	s_or_b32 exec_lo, exec_lo, s16
	s_mov_b32 s16, exec_lo
	v_cmpx_lt_u32_e32 0xffffff, v44
	s_cbranch_execz .LBB347_754
; %bb.747:                              ;   in Loop: Header=BB347_15 Depth=1
	v_lshrrev_b32_e32 v16, 24, v44
	v_bfrev_b32_e32 v43, 1
	s_mov_b32 s17, exec_lo
	s_delay_alu instid0(VALU_DEP_2)
	v_cmpx_ne_u32_e32 0x80, v16
	s_cbranch_execz .LBB347_753
; %bb.748:                              ;   in Loop: Header=BB347_15 Depth=1
	v_bfe_u32 v46, v44, 24, 7
	v_mov_b32_e32 v43, 0x7f800001
	s_mov_b32 s18, exec_lo
	s_delay_alu instid0(VALU_DEP_2)
	v_cmpx_ne_u32_e32 0x7f, v46
	s_cbranch_execz .LBB347_752
; %bb.749:                              ;   in Loop: Header=BB347_15 Depth=1
	v_dual_lshrrev_b32 v17, 3, v46 :: v_dual_bitop2_b32 v38, 7, v16 bitop3:0x40
	s_mov_b32 s19, exec_lo
	v_cmpx_gt_u32_e32 8, v46
; %bb.750:                              ;   in Loop: Header=BB347_15 Depth=1
	s_delay_alu instid0(VALU_DEP_2) | instskip(NEXT) | instid1(VALU_DEP_1)
	v_clz_i32_u32_e32 v17, v38
	v_min_u32_e32 v17, 32, v17
	s_delay_alu instid0(VALU_DEP_1) | instskip(NEXT) | instid1(VALU_DEP_1)
	v_subrev_nc_u32_e32 v43, 28, v17
	v_lshlrev_b64_e32 v[46:47], v43, v[38:39]
	s_delay_alu instid0(VALU_DEP_1)
	v_dual_sub_nc_u32 v17, 29, v17 :: v_dual_bitop2_b32 v38, 7, v46 bitop3:0x40
; %bb.751:                              ;   in Loop: Header=BB347_15 Depth=1
	s_or_b32 exec_lo, exec_lo, s19
	s_delay_alu instid0(VALU_DEP_1) | instskip(NEXT) | instid1(VALU_DEP_2)
	v_dual_lshlrev_b32 v16, 24, v16 :: v_dual_lshlrev_b32 v38, 20, v38
	v_lshl_add_u32 v17, v17, 23, 0x3c000000
	s_delay_alu instid0(VALU_DEP_2) | instskip(NEXT) | instid1(VALU_DEP_1)
	v_and_b32_e32 v16, 0x80000000, v16
	v_or3_b32 v43, v38, v16, v17
.LBB347_752:                            ;   in Loop: Header=BB347_15 Depth=1
	s_or_b32 exec_lo, exec_lo, s18
.LBB347_753:                            ;   in Loop: Header=BB347_15 Depth=1
	s_delay_alu instid0(SALU_CYCLE_1)
	s_or_b32 exec_lo, exec_lo, s17
.LBB347_754:                            ;   in Loop: Header=BB347_15 Depth=1
	s_delay_alu instid0(SALU_CYCLE_1) | instskip(SKIP_4) | instid1(VALU_DEP_3)
	s_or_b32 exec_lo, exec_lo, s16
	v_and_b32_e32 v16, 0xff, v45
	v_dual_mov_b32 v38, v45 :: v_dual_mov_b32 v47, 0
	v_mov_b32_e32 v46, 0
	s_mov_b32 s16, exec_lo
	v_cmpx_ne_u16_e32 0, v16
	s_cbranch_execz .LBB347_762
; %bb.755:                              ;   in Loop: Header=BB347_15 Depth=1
	v_bfrev_b32_e32 v46, 1
	s_mov_b32 s17, exec_lo
	v_cmpx_ne_u16_e32 0x80, v16
	s_cbranch_execz .LBB347_761
; %bb.756:                              ;   in Loop: Header=BB347_15 Depth=1
	v_and_b32_e32 v17, 0x7f, v45
	v_mov_b32_e32 v46, 0x7f800001
	s_mov_b32 s18, exec_lo
	s_delay_alu instid0(VALU_DEP_2)
	v_cmpx_ne_u32_e32 0x7f, v17
	s_cbranch_execz .LBB347_760
; %bb.757:                              ;   in Loop: Header=BB347_15 Depth=1
	v_mov_b64_e32 v[56:57], v[38:39]
	v_lshrrev_b32_e32 v16, 3, v17
	s_mov_b32 s19, exec_lo
	v_cmpx_gt_u32_e32 8, v17
; %bb.758:                              ;   in Loop: Header=BB347_15 Depth=1
	v_and_b32_e32 v16, 7, v45
	s_delay_alu instid0(VALU_DEP_1) | instskip(NEXT) | instid1(VALU_DEP_1)
	v_clz_i32_u32_e32 v16, v16
	v_min_u32_e32 v16, 32, v16
	s_delay_alu instid0(VALU_DEP_1) | instskip(SKIP_1) | instid1(VALU_DEP_2)
	v_subrev_nc_u32_e32 v17, 28, v16
	v_sub_nc_u32_e32 v16, 29, v16
	v_lshlrev_b64_e32 v[56:57], v17, v[38:39]
; %bb.759:                              ;   in Loop: Header=BB347_15 Depth=1
	s_or_b32 exec_lo, exec_lo, s19
	s_delay_alu instid0(VALU_DEP_1) | instskip(NEXT) | instid1(VALU_DEP_3)
	v_dual_lshlrev_b32 v17, 20, v56 :: v_dual_lshlrev_b32 v46, 24, v38
	v_lshl_add_u32 v16, v16, 23, 0x3c000000
	s_delay_alu instid0(VALU_DEP_2) | instskip(NEXT) | instid1(VALU_DEP_3)
	v_and_b32_e32 v17, 0x700000, v17
	v_and_b32_e32 v46, 0x80000000, v46
	s_delay_alu instid0(VALU_DEP_1)
	v_or3_b32 v46, v17, v46, v16
.LBB347_760:                            ;   in Loop: Header=BB347_15 Depth=1
	s_or_b32 exec_lo, exec_lo, s18
.LBB347_761:                            ;   in Loop: Header=BB347_15 Depth=1
	s_delay_alu instid0(SALU_CYCLE_1)
	s_or_b32 exec_lo, exec_lo, s17
.LBB347_762:                            ;   in Loop: Header=BB347_15 Depth=1
	s_delay_alu instid0(SALU_CYCLE_1) | instskip(SKIP_2) | instid1(VALU_DEP_1)
	s_or_b32 exec_lo, exec_lo, s16
	v_lshrrev_b16 v16, 8, v38
	s_mov_b32 s16, exec_lo
	v_cmpx_ne_u16_e32 0, v16
	s_cbranch_execz .LBB347_770
; %bb.763:                              ;   in Loop: Header=BB347_15 Depth=1
	v_bfrev_b32_e32 v47, 1
	s_mov_b32 s17, exec_lo
	v_cmpx_ne_u16_e32 0x80, v16
	s_cbranch_execz .LBB347_769
; %bb.764:                              ;   in Loop: Header=BB347_15 Depth=1
	v_and_b32_e32 v16, 0xffff, v16
	v_mov_b32_e32 v47, 0x7f800001
	s_mov_b32 s18, exec_lo
	s_delay_alu instid0(VALU_DEP_2) | instskip(NEXT) | instid1(VALU_DEP_1)
	v_and_b32_e32 v17, 0x7f, v16
	v_cmpx_ne_u32_e32 0x7f, v17
	s_cbranch_execz .LBB347_768
; %bb.765:                              ;   in Loop: Header=BB347_15 Depth=1
	v_dual_mov_b32 v57, v39 :: v_dual_bitop2_b32 v56, 7, v16 bitop3:0x40
	v_lshrrev_b32_e32 v16, 3, v17
	s_mov_b32 s19, exec_lo
	v_cmpx_gt_u32_e32 8, v17
; %bb.766:                              ;   in Loop: Header=BB347_15 Depth=1
	s_delay_alu instid0(VALU_DEP_3) | instskip(NEXT) | instid1(VALU_DEP_1)
	v_clz_i32_u32_e32 v16, v56
	v_min_u32_e32 v16, 32, v16
	s_delay_alu instid0(VALU_DEP_1) | instskip(SKIP_1) | instid1(VALU_DEP_2)
	v_subrev_nc_u32_e32 v17, 28, v16
	v_sub_nc_u32_e32 v16, 29, v16
	v_lshlrev_b64_e32 v[56:57], v17, v[56:57]
	s_delay_alu instid0(VALU_DEP_1)
	v_and_b32_e32 v56, 7, v56
; %bb.767:                              ;   in Loop: Header=BB347_15 Depth=1
	s_or_b32 exec_lo, exec_lo, s19
	s_delay_alu instid0(VALU_DEP_1) | instskip(SKIP_1) | instid1(VALU_DEP_2)
	v_dual_lshlrev_b32 v17, 16, v38 :: v_dual_lshlrev_b32 v38, 20, v56
	v_lshl_add_u32 v16, v16, 23, 0x3c000000
	v_and_b32_e32 v17, 0x80000000, v17
	s_delay_alu instid0(VALU_DEP_1)
	v_or3_b32 v47, v38, v17, v16
.LBB347_768:                            ;   in Loop: Header=BB347_15 Depth=1
	s_or_b32 exec_lo, exec_lo, s18
.LBB347_769:                            ;   in Loop: Header=BB347_15 Depth=1
	s_delay_alu instid0(SALU_CYCLE_1)
	s_or_b32 exec_lo, exec_lo, s17
.LBB347_770:                            ;   in Loop: Header=BB347_15 Depth=1
	s_delay_alu instid0(SALU_CYCLE_1) | instskip(SKIP_3) | instid1(VALU_DEP_2)
	s_or_b32 exec_lo, exec_lo, s16
	v_dual_mov_b32 v57, 0 :: v_dual_lshrrev_b32 v16, 16, v45
	v_mov_b32_e32 v56, 0
	s_mov_b32 s16, exec_lo
	v_and_b32_e32 v17, 0xff, v16
	s_delay_alu instid0(VALU_DEP_1)
	v_cmpx_ne_u16_e32 0, v17
	s_cbranch_execz .LBB347_778
; %bb.771:                              ;   in Loop: Header=BB347_15 Depth=1
	v_bfrev_b32_e32 v56, 1
	s_mov_b32 s17, exec_lo
	v_cmpx_ne_u16_e32 0x80, v17
	s_cbranch_execz .LBB347_777
; %bb.772:                              ;   in Loop: Header=BB347_15 Depth=1
	v_bfe_u32 v58, v45, 16, 7
	v_mov_b32_e32 v56, 0x7f800001
	s_mov_b32 s18, exec_lo
	s_delay_alu instid0(VALU_DEP_2)
	v_cmpx_ne_u32_e32 0x7f, v58
	s_cbranch_execz .LBB347_776
; %bb.773:                              ;   in Loop: Header=BB347_15 Depth=1
	v_dual_lshrrev_b32 v17, 3, v58 :: v_dual_bitop2_b32 v38, 7, v16 bitop3:0x40
	s_mov_b32 s19, exec_lo
	v_cmpx_gt_u32_e32 8, v58
; %bb.774:                              ;   in Loop: Header=BB347_15 Depth=1
	s_delay_alu instid0(VALU_DEP_2) | instskip(NEXT) | instid1(VALU_DEP_1)
	v_clz_i32_u32_e32 v17, v38
	v_min_u32_e32 v17, 32, v17
	s_delay_alu instid0(VALU_DEP_1) | instskip(NEXT) | instid1(VALU_DEP_1)
	v_subrev_nc_u32_e32 v56, 28, v17
	v_lshlrev_b64_e32 v[58:59], v56, v[38:39]
	s_delay_alu instid0(VALU_DEP_1)
	v_dual_sub_nc_u32 v17, 29, v17 :: v_dual_bitop2_b32 v38, 7, v58 bitop3:0x40
; %bb.775:                              ;   in Loop: Header=BB347_15 Depth=1
	s_or_b32 exec_lo, exec_lo, s19
	s_delay_alu instid0(VALU_DEP_1) | instskip(NEXT) | instid1(VALU_DEP_2)
	v_dual_lshlrev_b32 v16, 24, v16 :: v_dual_lshlrev_b32 v38, 20, v38
	v_lshl_add_u32 v17, v17, 23, 0x3c000000
	s_delay_alu instid0(VALU_DEP_2) | instskip(NEXT) | instid1(VALU_DEP_1)
	v_and_b32_e32 v16, 0x80000000, v16
	v_or3_b32 v56, v38, v16, v17
.LBB347_776:                            ;   in Loop: Header=BB347_15 Depth=1
	s_or_b32 exec_lo, exec_lo, s18
.LBB347_777:                            ;   in Loop: Header=BB347_15 Depth=1
	s_delay_alu instid0(SALU_CYCLE_1)
	s_or_b32 exec_lo, exec_lo, s17
.LBB347_778:                            ;   in Loop: Header=BB347_15 Depth=1
	s_delay_alu instid0(SALU_CYCLE_1) | instskip(NEXT) | instid1(SALU_CYCLE_1)
	s_or_b32 exec_lo, exec_lo, s16
	s_mov_b32 s16, exec_lo
	v_cmpx_lt_u64_e64 s[8:9], v[44:45]
	s_cbranch_execz .LBB347_13
; %bb.779:                              ;   in Loop: Header=BB347_15 Depth=1
	v_lshrrev_b32_e32 v16, 24, v45
	v_bfrev_b32_e32 v57, 1
	s_mov_b32 s17, exec_lo
	s_delay_alu instid0(VALU_DEP_2)
	v_cmpx_ne_u32_e32 0x80, v16
	s_cbranch_execz .LBB347_12
; %bb.780:                              ;   in Loop: Header=BB347_15 Depth=1
	v_bfe_u32 v44, v45, 24, 7
	v_mov_b32_e32 v57, 0x7f800001
	s_mov_b32 s18, exec_lo
	s_delay_alu instid0(VALU_DEP_2)
	v_cmpx_ne_u32_e32 0x7f, v44
	s_cbranch_execz .LBB347_11
; %bb.781:                              ;   in Loop: Header=BB347_15 Depth=1
	v_and_b32_e32 v38, 7, v16
	v_lshrrev_b32_e32 v17, 3, v44
	s_mov_b32 s19, exec_lo
	v_cmpx_gt_u32_e32 8, v44
	s_cbranch_execz .LBB347_10
; %bb.782:                              ;   in Loop: Header=BB347_15 Depth=1
	v_clz_i32_u32_e32 v17, v38
	s_delay_alu instid0(VALU_DEP_1) | instskip(NEXT) | instid1(VALU_DEP_1)
	v_min_u32_e32 v17, 32, v17
	v_subrev_nc_u32_e32 v44, 28, v17
	s_delay_alu instid0(VALU_DEP_1) | instskip(NEXT) | instid1(VALU_DEP_1)
	v_lshlrev_b64_e32 v[44:45], v44, v[38:39]
	v_dual_sub_nc_u32 v17, 29, v17 :: v_dual_bitop2_b32 v38, 7, v44 bitop3:0x40
	s_branch .LBB347_10
.LBB347_783:
	s_or_b32 exec_lo, exec_lo, s15
	s_clause 0x7
	scratch_load_b64 v[36:37], off, s32 offset:648
	scratch_load_b32 v26, off, s32 offset:656
	scratch_load_b64 v[38:39], off, s32 offset:660
	scratch_load_b64 v[52:53], off, s32 offset:668
	scratch_load_b32 v48, off, s32 offset:676
	scratch_load_b64 v[50:51], off, s32 offset:680
	scratch_load_b32 v27, off, s32 offset:688
	scratch_load_b32 v22, off, s32 offset:692
.LBB347_784:
	s_wait_xcnt 0x0
	s_or_b32 exec_lo, exec_lo, s3
	v_mbcnt_lo_u32_b32 v2, -1, 0
	s_delay_alu instid0(VALU_DEP_1) | instskip(SKIP_1) | instid1(VALU_DEP_2)
	v_dual_max_num_f32 v4, v9, v9 :: v_dual_bitop2_b32 v0, 16, v2 bitop3:0x14
	v_xor_b32_e32 v3, 8, v2
	v_cmp_gt_i32_e32 vcc_lo, 32, v0
	v_cndmask_b32_e32 v0, v2, v0, vcc_lo
	s_delay_alu instid0(VALU_DEP_3) | instskip(NEXT) | instid1(VALU_DEP_2)
	v_cmp_gt_i32_e32 vcc_lo, 32, v3
	v_dual_cndmask_b32 v3, v2, v3 :: v_dual_lshlrev_b32 v0, 2, v0
	ds_bpermute_b32 v1, v0, v9
	s_wait_dscnt 0x0
	v_dual_max_num_f32 v5, v1, v1 :: v_dual_lshlrev_b32 v1, 2, v3
	s_delay_alu instid0(VALU_DEP_1) | instskip(SKIP_4) | instid1(VALU_DEP_1)
	v_dual_max_num_f32 v4, v4, v5 :: v_dual_bitop2_b32 v5, 4, v2 bitop3:0x14
	ds_bpermute_b32 v3, v1, v4
	v_cmp_gt_i32_e32 vcc_lo, 32, v5
	s_wait_dscnt 0x0
	v_dual_cndmask_b32 v5, v2, v5 :: v_dual_max_num_f32 v6, v3, v3
	v_dual_max_num_f32 v4, v4, v6 :: v_dual_lshlrev_b32 v3, 2, v5
	ds_bpermute_b32 v5, v3, v4
	s_wait_dscnt 0x0
	v_dual_max_num_f32 v5, v5, v5 :: v_dual_bitop2_b32 v6, 2, v2 bitop3:0x14
	s_delay_alu instid0(VALU_DEP_1) | instskip(NEXT) | instid1(VALU_DEP_2)
	v_cmp_gt_i32_e32 vcc_lo, 32, v6
	v_dual_max_num_f32 v4, v4, v5 :: v_dual_cndmask_b32 v6, v2, v6, vcc_lo
	s_delay_alu instid0(VALU_DEP_1) | instskip(SKIP_3) | instid1(VALU_DEP_1)
	v_lshlrev_b32_e32 v25, 2, v6
	ds_bpermute_b32 v5, v25, v4
	s_wait_dscnt 0x0
	v_dual_max_num_f32 v5, v5, v5 :: v_dual_bitop2_b32 v6, 1, v2 bitop3:0x14
	v_cmp_gt_i32_e32 vcc_lo, 32, v6
	s_delay_alu instid0(VALU_DEP_2)
	v_dual_cndmask_b32 v6, v2, v6, vcc_lo :: v_dual_max_num_f32 v2, v4, v5
	scratch_load_b32 v4, off, s32 offset:316 ; 4-byte Folded Reload
	s_wait_loadcnt 0x0
	v_cmp_eq_u32_e32 vcc_lo, 0, v4
	scratch_load_b32 v4, off, s32 offset:636 ; 4-byte Folded Reload
	s_wait_loadcnt 0x0
	v_dual_lshlrev_b32 v4, 2, v4 :: v_dual_lshlrev_b32 v34, 2, v6
	ds_bpermute_b32 v5, v34, v2
	s_wait_xcnt 0x0
	s_and_saveexec_b32 s1, vcc_lo
	s_cbranch_execz .LBB347_786
; %bb.785:
	s_wait_dscnt 0x0
	v_dual_max_num_f32 v5, v5, v5 :: v_dual_max_num_f32 v2, v2, v2
	s_delay_alu instid0(VALU_DEP_1)
	v_max_num_f32_e32 v2, v2, v5
	ds_store_b32 v4, v2 offset:192
.LBB347_786:
	s_or_b32 exec_lo, exec_lo, s1
	scratch_load_b32 v2, off, s32 offset:316 ; 4-byte Folded Reload
	s_wait_storecnt 0x0
	s_wait_loadcnt_dscnt 0x0
	s_barrier_signal -1
	s_barrier_wait -1
	v_cmp_gt_u32_e64 s1, 4, v2
	v_mov_b32_e32 v2, 0xff7fffff
	s_and_saveexec_b32 s2, s1
; %bb.787:
	ds_load_b32 v2, v22 offset:192
; %bb.788:
	s_or_b32 exec_lo, exec_lo, s2
	s_wait_dscnt 0x0
	ds_bpermute_b32 v5, v25, v2
	s_wait_dscnt 0x0
	v_dual_max_num_f32 v2, v2, v2 :: v_dual_max_num_f32 v5, v5, v5
	s_delay_alu instid0(VALU_DEP_1) | instskip(SKIP_3) | instid1(VALU_DEP_1)
	v_max_num_f32_e32 v2, v2, v5
	ds_bpermute_b32 v5, v34, v2
	s_wait_dscnt 0x0
	v_max_num_f32_e32 v5, v5, v5
	v_dual_max_num_f32 v2, v2, v5 :: v_dual_mov_b32 v5, 0
	ds_bpermute_b32 v6, v5, v2
	scratch_load_b32 v2, off, s32 offset:192 ; 4-byte Folded Reload
	s_wait_loadcnt 0x0
	v_lshlrev_b32_e32 v2, 5, v2
	s_delay_alu instid0(VALU_DEP_1) | instskip(NEXT) | instid1(VALU_DEP_1)
	v_min_i32_e32 v2, v2, v60
	v_cmp_lt_i32_e64 s2, v111, v2
	s_and_saveexec_b32 s8, s2
	s_cbranch_execz .LBB347_792
; %bb.789:
	s_load_b32 s3, s[6:7], 0x0
	v_dual_mov_b32 v5, 0 :: v_dual_mov_b32 v8, v111
	s_mov_b32 s9, 0
	s_wait_kmcnt 0x0
	v_lshl_add_u32 v7, v111, 2, s3
.LBB347_790:                            ; =>This Inner Loop Header: Depth=1
	ds_load_b32 v9, v7
	v_add_nc_u32_e32 v8, 0x80, v8
	s_delay_alu instid0(VALU_DEP_1) | instskip(SKIP_3) | instid1(VALU_DEP_1)
	v_cmp_ge_i32_e64 s3, v8, v2
	s_or_b32 s9, s3, s9
	s_wait_dscnt 0x0
	v_sub_f32_e32 v9, v9, v6
	v_mul_f32_e32 v9, 0x3fb8aa3b, v9
	s_delay_alu instid0(VALU_DEP_1)
	v_exp_f32_e32 v9, v9
	ds_store_b32 v7, v9
	v_nop
	v_add_f32_e32 v5, v5, v9
	v_add_nc_u32_e32 v7, 0x200, v7
	s_and_not1_b32 exec_lo, exec_lo, s9
	s_cbranch_execnz .LBB347_790
; %bb.791:
	s_or_b32 exec_lo, exec_lo, s9
.LBB347_792:
	s_delay_alu instid0(SALU_CYCLE_1)
	s_or_b32 exec_lo, exec_lo, s8
	ds_bpermute_b32 v0, v0, v5
	s_wait_dscnt 0x0
	v_add_f32_e32 v0, v5, v0
	ds_bpermute_b32 v1, v1, v0
	s_wait_dscnt 0x0
	v_add_f32_e32 v0, v0, v1
	ds_bpermute_b32 v1, v3, v0
	s_wait_dscnt 0x0
	v_add_f32_e32 v0, v0, v1
	ds_bpermute_b32 v1, v25, v0
	s_wait_dscnt 0x0
	v_add_f32_e32 v0, v0, v1
	ds_bpermute_b32 v1, v34, v0
	s_wait_dscnt 0x0
	v_add_f32_e32 v0, v0, v1
	s_and_saveexec_b32 s3, vcc_lo
; %bb.793:
	ds_store_b32 v4, v0 offset:208
; %bb.794:
	s_or_b32 exec_lo, exec_lo, s3
	s_wait_dscnt 0x0
	s_barrier_signal -1
	s_barrier_wait -1
	s_and_saveexec_b32 s3, s1
; %bb.795:
	ds_load_b32 v0, v22 offset:208
; %bb.796:
	s_or_b32 exec_lo, exec_lo, s3
	s_wait_dscnt 0x0
	ds_bpermute_b32 v1, v25, v0
	s_wait_dscnt 0x0
	v_dual_mov_b32 v13, 0 :: v_dual_add_f32 v0, v0, v1
	ds_bpermute_b32 v1, v34, v0
	s_wait_dscnt 0x0
	v_add_f32_e32 v0, v0, v1
	ds_bpermute_b32 v0, v13, v0
	s_and_saveexec_b32 s1, s2
	s_cbranch_execz .LBB347_809
; %bb.797:
	s_wait_dscnt 0x0
	v_add_f32_e32 v0, 0x358637bd, v0
	s_mov_b32 s3, -1
	s_mov_b32 s2, exec_lo
	s_delay_alu instid0(VALU_DEP_1) | instskip(SKIP_1) | instid1(VALU_DEP_2)
	v_div_scale_f32 v1, null, v0, v0, 1.0
	v_div_scale_f32 v5, vcc_lo, 1.0, v0, 1.0
	v_rcp_f32_e32 v4, v1
	v_nop
	s_delay_alu instid0(TRANS32_DEP_1) | instskip(NEXT) | instid1(VALU_DEP_1)
	v_fma_f32 v3, -v1, v4, 1.0
	v_fmac_f32_e32 v4, v3, v4
	s_delay_alu instid0(VALU_DEP_1) | instskip(NEXT) | instid1(VALU_DEP_1)
	v_mul_f32_e32 v6, v5, v4
	v_fma_f32 v3, -v1, v6, v5
	s_delay_alu instid0(VALU_DEP_1) | instskip(SKIP_1) | instid1(VALU_DEP_2)
	v_fmac_f32_e32 v6, v3, v4
	v_xad_u32 v3, v111, -1, v2
	v_fma_f32 v1, -v1, v6, v5
	s_delay_alu instid0(VALU_DEP_1) | instskip(NEXT) | instid1(VALU_DEP_1)
	v_div_fmas_f32 v1, v1, v4, v6
	v_div_fixup_f32 v0, v1, v0, 1.0
	v_mov_b32_e32 v1, v111
	v_cmpx_lt_u32_e32 0x7f, v3
	s_cbranch_execz .LBB347_806
; %bb.798:
	s_delay_alu instid0(VALU_DEP_3) | instskip(NEXT) | instid1(VALU_DEP_1)
	v_dual_lshrrev_b32 v3, 7, v3 :: v_dual_mov_b32 v1, v0
	v_dual_mov_b32 v7, 0 :: v_dual_add_nc_u32 v4, -1, v3
	s_delay_alu instid0(VALU_DEP_1) | instskip(SKIP_1) | instid1(VALU_DEP_2)
	v_lshrrev_b32_e32 v5, 1, v4
	v_cmp_lt_u32_e32 vcc_lo, 13, v4
	v_add_nc_u32_e32 v4, 1, v5
	s_and_saveexec_b32 s3, vcc_lo
	s_cbranch_execz .LBB347_802
; %bb.799:
	s_load_b32 s8, s[6:7], 0x0
	s_delay_alu instid0(VALU_DEP_1)
	v_and_b32_e32 v5, -8, v4
	s_mov_b32 s9, 0
	s_wait_kmcnt 0x0
	v_lshl_add_u32 v6, v111, 2, s8
	s_mov_b32 s8, 0
.LBB347_800:                            ; =>This Inner Loop Header: Depth=1
	ds_load_2addr_stride64_b32 v[8:9], v6 offset1:2
	ds_load_2addr_stride64_b32 v[10:11], v6 offset0:4 offset1:6
	ds_load_2addr_stride64_b32 v[14:15], v6 offset0:8 offset1:10
	ds_load_2addr_stride64_b32 v[16:17], v6 offset0:12 offset1:14
	ds_load_2addr_stride64_b32 v[18:19], v6 offset0:16 offset1:18
	ds_load_2addr_stride64_b32 v[20:21], v6 offset0:20 offset1:22
	ds_load_2addr_stride64_b32 v[22:23], v6 offset0:24 offset1:26
	ds_load_2addr_stride64_b32 v[28:29], v6 offset0:28 offset1:30
	s_add_co_i32 s9, s9, 16
	s_delay_alu instid0(SALU_CYCLE_1) | instskip(NEXT) | instid1(VALU_DEP_1)
	v_dual_add_nc_u32 v5, -8, v5 :: v_dual_mov_b32 v7, s9
	v_cmp_eq_u32_e32 vcc_lo, 0, v5
	s_or_b32 s8, vcc_lo, s8
	s_wait_dscnt 0x7
	v_pk_mul_f32 v[8:9], v[0:1], v[8:9]
	s_wait_dscnt 0x6
	v_pk_mul_f32 v[10:11], v[0:1], v[10:11]
	;; [unrolled: 2-line block ×8, first 2 shown]
	ds_store_2addr_stride64_b32 v6, v8, v9 offset1:2
	ds_store_2addr_stride64_b32 v6, v10, v11 offset0:4 offset1:6
	ds_store_2addr_stride64_b32 v6, v14, v15 offset0:8 offset1:10
	ds_store_2addr_stride64_b32 v6, v16, v17 offset0:12 offset1:14
	ds_store_2addr_stride64_b32 v6, v18, v19 offset0:16 offset1:18
	ds_store_2addr_stride64_b32 v6, v20, v21 offset0:20 offset1:22
	ds_store_2addr_stride64_b32 v6, v22, v23 offset0:24 offset1:26
	ds_store_2addr_stride64_b32 v6, v28, v29 offset0:28 offset1:30
	v_add_nc_u32_e32 v6, 0x2000, v6
	s_and_not1_b32 exec_lo, exec_lo, s8
	s_cbranch_execnz .LBB347_800
; %bb.801:
	s_or_b32 exec_lo, exec_lo, s8
.LBB347_802:
	s_delay_alu instid0(SALU_CYCLE_1) | instskip(NEXT) | instid1(VALU_DEP_1)
	s_or_b32 exec_lo, exec_lo, s3
	v_and_b32_e32 v4, 7, v4
	s_mov_b32 s8, 0
	s_mov_b32 s3, exec_lo
	s_delay_alu instid0(VALU_DEP_1)
	v_cmpx_ne_u32_e32 0, v4
	s_cbranch_execz .LBB347_805
; %bb.803:
	s_load_b32 s9, s[6:7], 0x0
	v_lshlrev_b32_e32 v5, 9, v7
	v_lshlrev_b32_e32 v6, 2, v111
	s_wait_kmcnt 0x0
	s_delay_alu instid0(VALU_DEP_1)
	v_add3_u32 v5, v5, v6, s9
.LBB347_804:                            ; =>This Inner Loop Header: Depth=1
	ds_load_2addr_stride64_b32 v[6:7], v5 offset1:2
	v_add_nc_u32_e32 v4, -1, v4
	s_delay_alu instid0(VALU_DEP_1)
	v_cmp_eq_u32_e32 vcc_lo, 0, v4
	s_or_b32 s8, vcc_lo, s8
	s_wait_dscnt 0x0
	v_pk_mul_f32 v[6:7], v[0:1], v[6:7]
	ds_store_2addr_stride64_b32 v5, v6, v7 offset1:2
	v_add_nc_u32_e32 v5, 0x400, v5
	s_and_not1_b32 exec_lo, exec_lo, s8
	s_cbranch_execnz .LBB347_804
.LBB347_805:
	s_or_b32 exec_lo, exec_lo, s3
	v_add_nc_u32_e32 v1, 1, v3
	s_delay_alu instid0(VALU_DEP_1) | instskip(NEXT) | instid1(VALU_DEP_1)
	v_and_b32_e32 v3, 0x3fffffe, v1
	v_cmp_ne_u32_e32 vcc_lo, v1, v3
	v_lshl_add_u32 v1, v3, 7, v111
	s_or_not1_b32 s3, vcc_lo, exec_lo
.LBB347_806:
	s_or_b32 exec_lo, exec_lo, s2
	s_delay_alu instid0(SALU_CYCLE_1)
	s_and_b32 exec_lo, exec_lo, s3
	s_cbranch_execz .LBB347_809
; %bb.807:
	s_load_b32 s2, s[6:7], 0x0
	s_wait_kmcnt 0x0
	v_lshl_add_u32 v3, v1, 2, s2
	s_mov_b32 s2, 0
.LBB347_808:                            ; =>This Inner Loop Header: Depth=1
	ds_load_b32 v4, v3
	s_wait_dscnt 0x0
	v_dual_mul_f32 v4, v0, v4 :: v_dual_add_nc_u32 v1, 0x80, v1
	s_delay_alu instid0(VALU_DEP_1) | instskip(SKIP_3) | instid1(SALU_CYCLE_1)
	v_cmp_ge_i32_e32 vcc_lo, v1, v2
	ds_store_b32 v3, v4
	v_add_nc_u32_e32 v3, 0x200, v3
	s_or_b32 s2, vcc_lo, s2
	s_and_not1_b32 exec_lo, exec_lo, s2
	s_cbranch_execnz .LBB347_808
.LBB347_809:
	s_or_b32 exec_lo, exec_lo, s1
	v_dual_mov_b32 v12, 0 :: v_dual_bitop2_b32 v35, 3, v111 bitop3:0x40
	v_dual_mov_b32 v31, 0 :: v_dual_mov_b32 v30, 0
	v_dual_mov_b32 v33, 0 :: v_dual_mov_b32 v32, 0
	;; [unrolled: 1-line block ×5, first 2 shown]
	scratch_store_b32 off, v111, s32 offset:344 ; 4-byte Folded Spill
	s_wait_storecnt_dscnt 0x0
	s_barrier_signal -1
	s_barrier_wait -1
	s_wait_xcnt 0x0
	s_and_saveexec_b32 s1, s0
	s_cbranch_execz .LBB347_1607
; %bb.810:
	v_max_i32_e32 v49, v26, v27
	s_clause 0x1
	scratch_store_b32 off, v25, s32 offset:360
	scratch_store_b32 off, v34, s32 offset:352
	v_dual_mov_b32 v27, 0 :: v_dual_lshlrev_b32 v5, 5, v35
	v_dual_mov_b32 v21, 0 :: v_dual_mov_b32 v28, 0
	v_cvt_f32_u32_e32 v0, v49
	v_dual_mov_b32 v29, 0 :: v_dual_mov_b32 v14, 0
	v_dual_mov_b32 v15, 0 :: v_dual_mov_b32 v32, 0
	s_delay_alu instid0(VALU_DEP_3)
	v_rcp_iflag_f32_e32 v0, v0
	v_dual_mov_b32 v33, 0 :: v_dual_mov_b32 v30, 0
	v_dual_mov_b32 v31, 0 :: v_dual_mov_b32 v12, 0
	s_mov_b64 s[2:3], 0xffffffffffffff
	scratch_load_b32 v6, off, s32 offset:636 ; 4-byte Folded Reload
	v_mul_f32_e32 v2, 0x4f7ffffe, v0
	scratch_load_b32 v0, off, s32 offset:344 ; 4-byte Folded Reload
	s_mov_b32 s8, 0
	v_dual_sub_nc_u32 v4, 0, v49 :: v_dual_mov_b32 v20, 0
	v_cvt_u32_f32_e32 v2, v2
	v_mov_b32_e32 v13, 0
	s_delay_alu instid0(VALU_DEP_2) | instskip(NEXT) | instid1(VALU_DEP_1)
	v_mul_lo_u32 v4, v4, v2
	v_mul_hi_u32 v4, v2, v4
	s_delay_alu instid0(VALU_DEP_1) | instskip(SKIP_4) | instid1(VALU_DEP_3)
	v_add_nc_u32_e32 v2, v2, v4
	s_wait_loadcnt 0x0
	v_lshlrev_b32_e32 v3, 3, v0
	v_add_nc_u64_e32 v[0:1], v[38:39], v[50:51]
	v_mov_b32_e32 v50, v6
	v_and_b32_e32 v26, 0xf8, v3
	v_and_b32_e32 v3, 24, v3
	s_delay_alu instid0(VALU_DEP_2)
	v_add_nc_u64_e32 v[0:1], v[0:1], v[26:27]
	v_and_b32_e32 v26, 0x7c, v48
	scratch_store_b32 off, v3, s32 offset:336 ; 4-byte Folded Spill
	s_wait_xcnt 0x0
	v_mov_b32_e32 v3, v27
	s_clause 0x2
	scratch_store_b32 off, v35, s32 offset:368
	scratch_store_b64 off, v[0:1], s32 offset:328
	scratch_store_b64 off, v[2:3], s32 offset:276
	s_wait_xcnt 0x1
	v_lshl_add_u64 v[0:1], v[52:53], 2, v[26:27]
	v_lshl_or_b32 v52, v6, 7, v5
	s_delay_alu instid0(VALU_DEP_2)
	v_add_nc_u64_e32 v[10:11], v[36:37], v[0:1]
	s_branch .LBB347_813
.LBB347_811:                            ;   in Loop: Header=BB347_813 Depth=1
	s_or_b32 exec_lo, exec_lo, s0
	scratch_load_b128 v[2:5], off, s32 offset:300 th:TH_LOAD_LU ; 16-byte Folded Reload
	v_perm_b32 v8, v72, v25, 0x5040100
	v_perm_b32 v9, v54, v53, 0x5040100
	v_perm_b32 v1, v1, v18, 0x5040100
	v_perm_b32 v0, v17, v0, 0x5040100
	s_wait_loadcnt 0x0
	v_cvt_pk_bf16_f32 v7, v2, v3
	v_cvt_pk_bf16_f32 v6, v4, v5
	scratch_load_b128 v[2:5], off, s32 offset:284 th:TH_LOAD_LU ; 16-byte Folded Reload
	s_wait_loadcnt 0x0
	v_cvt_pk_bf16_f32 v3, v2, v3
	v_cvt_pk_bf16_f32 v2, v4, v5
	v_perm_b32 v4, v65, v66, 0x5040100
	v_perm_b32 v5, v55, v64, 0x5040100
	s_delay_alu instid0(VALU_DEP_4) | instskip(NEXT) | instid1(VALU_DEP_4)
	v_pk_mul_bf16 v8, v3, v8
	v_pk_mul_bf16 v9, v2, v9
	s_delay_alu instid0(VALU_DEP_4) | instskip(NEXT) | instid1(VALU_DEP_4)
	v_pk_mul_bf16 v4, v7, v4
	v_pk_mul_bf16 v5, v6, v5
	s_delay_alu instid0(VALU_DEP_2) | instskip(SKIP_1) | instid1(VALU_DEP_1)
	v_lshlrev_b32_e32 v25, 16, v4
	v_and_b32_e32 v4, 0xffff0000, v4
	v_dual_add_f32 v4, v25, v4 :: v_dual_lshlrev_b32 v25, 16, v5
	v_and_b32_e32 v5, 0xffff0000, v5
	s_delay_alu instid0(VALU_DEP_1) | instskip(NEXT) | instid1(VALU_DEP_1)
	v_add_f32_e32 v5, v25, v5
	v_dual_add_f32 v4, v4, v5 :: v_dual_lshlrev_b32 v5, 16, v8
	v_and_b32_e32 v8, 0xffff0000, v8
	s_delay_alu instid0(VALU_DEP_1) | instskip(SKIP_1) | instid1(VALU_DEP_2)
	v_add_f32_e32 v5, v5, v8
	v_and_b32_e32 v8, 0xffff0000, v9
	v_add_f32_e32 v4, v4, v5
	v_lshlrev_b32_e32 v5, 16, v9
	v_perm_b32 v9, v62, v39, 0x5040100
	s_delay_alu instid0(VALU_DEP_2) | instskip(SKIP_1) | instid1(VALU_DEP_3)
	v_add_f32_e32 v5, v5, v8
	v_perm_b32 v8, v51, v38, 0x5040100
	v_pk_mul_bf16 v9, v2, v9
	s_delay_alu instid0(VALU_DEP_3) | instskip(SKIP_1) | instid1(VALU_DEP_4)
	v_add_f32_e32 v4, v4, v5
	v_perm_b32 v5, v73, v36, 0x5040100
	v_pk_mul_bf16 v8, v3, v8
	s_delay_alu instid0(VALU_DEP_3) | instskip(SKIP_1) | instid1(VALU_DEP_4)
	v_add_f32_e32 v12, v12, v4
	v_perm_b32 v4, v37, v16, 0x5040100
	v_pk_mul_bf16 v5, v6, v5
	s_delay_alu instid0(VALU_DEP_2) | instskip(NEXT) | instid1(VALU_DEP_1)
	v_pk_mul_bf16 v4, v7, v4
	v_lshlrev_b32_e32 v16, 16, v4
	v_and_b32_e32 v4, 0xffff0000, v4
	s_delay_alu instid0(VALU_DEP_1) | instskip(SKIP_1) | instid1(VALU_DEP_1)
	v_dual_add_f32 v4, v16, v4 :: v_dual_lshlrev_b32 v16, 16, v5
	v_and_b32_e32 v5, 0xffff0000, v5
	v_add_f32_e32 v5, v16, v5
	s_delay_alu instid0(VALU_DEP_1) | instskip(SKIP_1) | instid1(VALU_DEP_1)
	v_dual_add_f32 v4, v4, v5 :: v_dual_lshlrev_b32 v5, 16, v8
	v_and_b32_e32 v8, 0xffff0000, v8
	v_add_f32_e32 v5, v5, v8
	v_and_b32_e32 v8, 0xffff0000, v9
	s_delay_alu instid0(VALU_DEP_2) | instskip(SKIP_2) | instid1(VALU_DEP_2)
	v_add_f32_e32 v4, v4, v5
	v_lshlrev_b32_e32 v5, 16, v9
	v_perm_b32 v9, v126, v125, 0x5040100
	v_add_f32_e32 v5, v5, v8
	v_perm_b32 v8, v123, v124, 0x5040100
	s_delay_alu instid0(VALU_DEP_3) | instskip(NEXT) | instid1(VALU_DEP_3)
	v_pk_mul_bf16 v9, v2, v9
	v_add_f32_e32 v4, v4, v5
	v_perm_b32 v5, v127, v48, 0x5040100
	s_delay_alu instid0(VALU_DEP_4) | instskip(NEXT) | instid1(VALU_DEP_3)
	v_pk_mul_bf16 v8, v3, v8
	v_add_f32_e32 v31, v31, v4
	v_perm_b32 v4, v34, v35, 0x5040100
	s_delay_alu instid0(VALU_DEP_4) | instskip(NEXT) | instid1(VALU_DEP_2)
	v_pk_mul_bf16 v5, v6, v5
	v_pk_mul_bf16 v4, v7, v4
	s_delay_alu instid0(VALU_DEP_1) | instskip(SKIP_1) | instid1(VALU_DEP_1)
	v_lshlrev_b32_e32 v16, 16, v4
	v_and_b32_e32 v4, 0xffff0000, v4
	v_dual_add_f32 v4, v16, v4 :: v_dual_lshlrev_b32 v16, 16, v5
	v_and_b32_e32 v5, 0xffff0000, v5
	s_delay_alu instid0(VALU_DEP_1) | instskip(NEXT) | instid1(VALU_DEP_1)
	v_add_f32_e32 v5, v16, v5
	v_dual_add_f32 v4, v4, v5 :: v_dual_lshlrev_b32 v5, 16, v8
	v_and_b32_e32 v8, 0xffff0000, v8
	s_delay_alu instid0(VALU_DEP_1) | instskip(SKIP_1) | instid1(VALU_DEP_2)
	v_add_f32_e32 v5, v5, v8
	v_and_b32_e32 v8, 0xffff0000, v9
	v_add_f32_e32 v4, v4, v5
	v_lshlrev_b32_e32 v5, 16, v9
	v_perm_b32 v9, v110, v109, 0x5040100
	s_delay_alu instid0(VALU_DEP_2) | instskip(SKIP_1) | instid1(VALU_DEP_3)
	v_add_f32_e32 v5, v5, v8
	v_perm_b32 v8, v107, v108, 0x5040100
	v_pk_mul_bf16 v9, v2, v9
	s_delay_alu instid0(VALU_DEP_3) | instskip(SKIP_1) | instid1(VALU_DEP_4)
	v_add_f32_e32 v4, v4, v5
	v_perm_b32 v5, v111, v120, 0x5040100
	v_pk_mul_bf16 v8, v3, v8
	s_delay_alu instid0(VALU_DEP_3) | instskip(SKIP_1) | instid1(VALU_DEP_4)
	v_add_f32_e32 v30, v30, v4
	v_perm_b32 v4, v121, v122, 0x5040100
	v_pk_mul_bf16 v5, v6, v5
	s_delay_alu instid0(VALU_DEP_2) | instskip(NEXT) | instid1(VALU_DEP_1)
	v_pk_mul_bf16 v4, v7, v4
	v_lshlrev_b32_e32 v16, 16, v4
	v_and_b32_e32 v4, 0xffff0000, v4
	s_delay_alu instid0(VALU_DEP_1) | instskip(SKIP_1) | instid1(VALU_DEP_1)
	v_dual_add_f32 v4, v16, v4 :: v_dual_lshlrev_b32 v16, 16, v5
	v_and_b32_e32 v5, 0xffff0000, v5
	v_add_f32_e32 v5, v16, v5
	s_delay_alu instid0(VALU_DEP_1) | instskip(SKIP_1) | instid1(VALU_DEP_1)
	v_dual_add_f32 v4, v4, v5 :: v_dual_lshlrev_b32 v5, 16, v8
	v_and_b32_e32 v8, 0xffff0000, v8
	v_add_f32_e32 v5, v5, v8
	v_and_b32_e32 v8, 0xffff0000, v9
	s_delay_alu instid0(VALU_DEP_2) | instskip(SKIP_2) | instid1(VALU_DEP_2)
	v_add_f32_e32 v4, v4, v5
	v_lshlrev_b32_e32 v5, 16, v9
	v_perm_b32 v9, v94, v93, 0x5040100
	v_add_f32_e32 v5, v5, v8
	v_perm_b32 v8, v91, v92, 0x5040100
	s_delay_alu instid0(VALU_DEP_3) | instskip(NEXT) | instid1(VALU_DEP_3)
	v_pk_mul_bf16 v9, v2, v9
	v_add_f32_e32 v4, v4, v5
	v_perm_b32 v5, v95, v104, 0x5040100
	s_delay_alu instid0(VALU_DEP_4) | instskip(NEXT) | instid1(VALU_DEP_3)
	v_pk_mul_bf16 v8, v3, v8
	v_add_f32_e32 v33, v33, v4
	v_perm_b32 v4, v105, v106, 0x5040100
	s_delay_alu instid0(VALU_DEP_4) | instskip(NEXT) | instid1(VALU_DEP_2)
	v_pk_mul_bf16 v5, v6, v5
	v_pk_mul_bf16 v4, v7, v4
	s_delay_alu instid0(VALU_DEP_1) | instskip(SKIP_1) | instid1(VALU_DEP_1)
	;; [unrolled: 57-line block ×4, first 2 shown]
	v_lshlrev_b32_e32 v16, 16, v4
	v_and_b32_e32 v4, 0xffff0000, v4
	v_dual_add_f32 v4, v16, v4 :: v_dual_lshlrev_b32 v16, 16, v5
	v_and_b32_e32 v5, 0xffff0000, v5
	s_delay_alu instid0(VALU_DEP_1) | instskip(NEXT) | instid1(VALU_DEP_1)
	v_add_f32_e32 v5, v16, v5
	v_dual_add_f32 v4, v4, v5 :: v_dual_lshlrev_b32 v5, 16, v8
	v_and_b32_e32 v8, 0xffff0000, v8
	s_delay_alu instid0(VALU_DEP_1) | instskip(SKIP_1) | instid1(VALU_DEP_2)
	v_add_f32_e32 v5, v5, v8
	v_and_b32_e32 v8, 0xffff0000, v9
	v_add_f32_e32 v4, v4, v5
	v_lshlrev_b32_e32 v5, 16, v9
	s_delay_alu instid0(VALU_DEP_1)
	v_add_f32_e32 v5, v5, v8
	s_clause 0x1
	scratch_load_b32 v8, off, s32 offset:252 th:TH_LOAD_LU
	scratch_load_b32 v9, off, s32 offset:260 th:TH_LOAD_LU
	v_add_f32_e32 v4, v4, v5
	v_perm_b32 v5, v81, v82, 0x5040100
	s_delay_alu instid0(VALU_DEP_2) | instskip(SKIP_1) | instid1(VALU_DEP_3)
	v_add_f32_e32 v28, v28, v4
	v_perm_b32 v4, v83, v84, 0x5040100
	v_pk_mul_bf16 v5, v6, v5
	s_delay_alu instid0(VALU_DEP_2) | instskip(NEXT) | instid1(VALU_DEP_1)
	v_pk_mul_bf16 v4, v7, v4
	v_lshlrev_b32_e32 v16, 16, v4
	v_and_b32_e32 v4, 0xffff0000, v4
	s_delay_alu instid0(VALU_DEP_1) | instskip(SKIP_1) | instid1(VALU_DEP_1)
	v_dual_add_f32 v4, v16, v4 :: v_dual_lshlrev_b32 v16, 16, v5
	v_and_b32_e32 v5, 0xffff0000, v5
	v_add_f32_e32 v5, v16, v5
	s_delay_alu instid0(VALU_DEP_1) | instskip(SKIP_3) | instid1(VALU_DEP_2)
	v_add_f32_e32 v4, v4, v5
	s_wait_loadcnt 0x0
	v_perm_b32 v8, v8, v9, 0x5040100
	v_perm_b32 v9, v80, v71, 0x5040100
	v_pk_mul_bf16 v8, v3, v8
	s_delay_alu instid0(VALU_DEP_2) | instskip(NEXT) | instid1(VALU_DEP_2)
	v_pk_mul_bf16 v9, v2, v9
	v_lshlrev_b32_e32 v5, 16, v8
	v_and_b32_e32 v8, 0xffff0000, v8
	s_delay_alu instid0(VALU_DEP_1) | instskip(NEXT) | instid1(VALU_DEP_4)
	v_add_f32_e32 v5, v5, v8
	v_and_b32_e32 v8, 0xffff0000, v9
	s_delay_alu instid0(VALU_DEP_2) | instskip(SKIP_1) | instid1(VALU_DEP_1)
	v_add_f32_e32 v4, v4, v5
	v_lshlrev_b32_e32 v5, 16, v9
	v_add_f32_e32 v5, v5, v8
	s_delay_alu instid0(VALU_DEP_1) | instskip(NEXT) | instid1(VALU_DEP_1)
	v_add_f32_e32 v4, v4, v5
	v_add_f32_e32 v21, v21, v4
	s_clause 0x1
	scratch_load_b32 v4, off, s32 offset:236 th:TH_LOAD_LU
	scratch_load_b32 v5, off, s32 offset:244 th:TH_LOAD_LU
	s_wait_loadcnt 0x0
	v_perm_b32 v4, v4, v5, 0x5040100
	s_clause 0x3
	scratch_load_b32 v5, off, s32 offset:220 th:TH_LOAD_LU
	scratch_load_b32 v8, off, s32 offset:228 th:TH_LOAD_LU
	;; [unrolled: 1-line block ×4, first 2 shown]
	v_pk_mul_bf16 v4, v7, v4
	s_wait_loadcnt 0x2
	v_perm_b32 v5, v5, v8, 0x5040100
	s_wait_loadcnt 0x0
	v_perm_b32 v9, v16, v9, 0x5040100
	v_lshlrev_b32_e32 v16, 16, v4
	v_and_b32_e32 v4, 0xffff0000, v4
	v_perm_b32 v8, v69, v70, 0x5040100
	v_pk_mul_bf16 v5, v6, v5
	v_pk_mul_bf16 v9, v2, v9
	s_delay_alu instid0(VALU_DEP_4) | instskip(NEXT) | instid1(VALU_DEP_4)
	v_add_f32_e32 v4, v16, v4
	v_pk_mul_bf16 v8, v3, v8
	s_delay_alu instid0(VALU_DEP_4) | instskip(SKIP_1) | instid1(VALU_DEP_1)
	v_lshlrev_b32_e32 v16, 16, v5
	v_and_b32_e32 v5, 0xffff0000, v5
	v_add_f32_e32 v5, v16, v5
	s_delay_alu instid0(VALU_DEP_1) | instskip(SKIP_1) | instid1(VALU_DEP_1)
	v_dual_add_f32 v4, v4, v5 :: v_dual_lshlrev_b32 v5, 16, v8
	v_and_b32_e32 v8, 0xffff0000, v8
	v_add_f32_e32 v5, v5, v8
	v_and_b32_e32 v8, 0xffff0000, v9
	s_delay_alu instid0(VALU_DEP_2) | instskip(SKIP_1) | instid1(VALU_DEP_1)
	v_add_f32_e32 v4, v4, v5
	v_lshlrev_b32_e32 v5, 16, v9
	v_add_f32_e32 v5, v5, v8
	s_delay_alu instid0(VALU_DEP_1) | instskip(SKIP_1) | instid1(VALU_DEP_1)
	v_add_f32_e32 v4, v4, v5
	v_perm_b32 v5, v19, v22, 0x5040100
	v_pk_mul_bf16 v5, v6, v5
	v_pk_mul_bf16 v6, v3, v1
	s_delay_alu instid0(VALU_DEP_2) | instskip(SKIP_2) | instid1(VALU_DEP_2)
	v_dual_add_f32 v20, v20, v4 :: v_dual_lshlrev_b32 v3, 16, v5
	v_perm_b32 v4, v23, v26, 0x5040100
	v_and_b32_e32 v1, 0xffff0000, v5
	v_pk_mul_bf16 v4, v7, v4
	v_pk_mul_bf16 v7, v2, v0
	s_delay_alu instid0(VALU_DEP_2) | instskip(NEXT) | instid1(VALU_DEP_2)
	v_and_b32_e32 v0, 0xffff0000, v4
	v_dual_lshlrev_b32 v2, 16, v4 :: v_dual_lshlrev_b32 v5, 16, v7
	v_lshlrev_b32_e32 v4, 16, v6
	s_delay_alu instid0(VALU_DEP_2) | instskip(SKIP_2) | instid1(VALU_DEP_3)
	v_pk_add_f32 v[0:1], v[2:3], v[0:1]
	v_and_b32_e32 v2, 0xffff0000, v6
	v_and_b32_e32 v3, 0xffff0000, v7
	v_add_f32_e32 v0, v0, v1
	s_delay_alu instid0(VALU_DEP_2) | instskip(NEXT) | instid1(VALU_DEP_1)
	v_pk_add_f32 v[2:3], v[4:5], v[2:3]
	v_add_f32_e32 v0, v0, v2
	s_delay_alu instid0(VALU_DEP_1) | instskip(NEXT) | instid1(VALU_DEP_1)
	v_add_f32_e32 v0, v0, v3
	v_add_f32_e32 v13, v13, v0
.LBB347_812:                            ;   in Loop: Header=BB347_813 Depth=1
	s_wait_xcnt 0x0
	s_or_b32 exec_lo, exec_lo, s9
	scratch_load_b32 v0, off, s32 offset:192 ; 4-byte Folded Reload
	v_add_nc_u32_e32 v50, 4, v50
	v_add_nc_u64_e32 v[10:11], 16, v[10:11]
	v_add_nc_u32_e32 v24, 0x80, v24
	v_add_nc_u32_e32 v52, 0x200, v52
	s_wait_loadcnt 0x0
	v_cmp_ge_i32_e32 vcc_lo, v50, v0
	s_or_b32 s8, vcc_lo, s8
	s_wait_xcnt 0x0
	s_and_not1_b32 exec_lo, exec_lo, s8
	s_cbranch_execz .LBB347_1606
.LBB347_813:                            ; =>This Inner Loop Header: Depth=1
	scratch_load_b64 v[0:1], off, s32 offset:196 ; 8-byte Folded Reload
	v_mov_b32_e32 v25, v27
	s_wait_loadcnt 0x0
	s_delay_alu instid0(VALU_DEP_1) | instskip(NEXT) | instid1(VALU_DEP_1)
	v_mul_u64_e32 v[0:1], v[24:25], v[0:1]
	v_mul_lo_u32 v0, v1, v61
	s_delay_alu instid0(VALU_DEP_1) | instskip(NEXT) | instid1(VALU_DEP_1)
	v_sub_nc_u32_e32 v0, v24, v0
	v_cmp_ge_u32_e32 vcc_lo, v0, v61
	s_wait_xcnt 0x1
	v_sub_nc_u32_e32 v3, v0, v61
	s_delay_alu instid0(VALU_DEP_1) | instskip(NEXT) | instid1(VALU_DEP_1)
	v_dual_add_nc_u32 v2, 1, v1 :: v_dual_cndmask_b32 v0, v0, v3, vcc_lo
	v_cndmask_b32_e32 v1, v1, v2, vcc_lo
	s_delay_alu instid0(VALU_DEP_2) | instskip(NEXT) | instid1(VALU_DEP_2)
	v_cmp_ge_u32_e32 vcc_lo, v0, v61
	v_add_nc_u32_e32 v2, 1, v1
	s_delay_alu instid0(VALU_DEP_1) | instskip(NEXT) | instid1(VALU_DEP_1)
	v_cndmask_b32_e32 v0, v1, v2, vcc_lo
	v_xor_b32_e32 v0, v0, v63
	s_delay_alu instid0(VALU_DEP_1) | instskip(SKIP_3) | instid1(VALU_DEP_1)
	v_sub_nc_u32_e32 v2, v0, v63
	scratch_load_b32 v0, off, s32 offset:204 ; 4-byte Folded Reload
	s_wait_loadcnt 0x0
	v_add_nc_u32_e32 v3, v2, v0
	v_sub_nc_u32_e32 v0, 0, v3
	s_delay_alu instid0(VALU_DEP_1) | instskip(SKIP_3) | instid1(VALU_DEP_1)
	v_max_i32_e32 v26, v3, v0
	scratch_load_b64 v[0:1], off, s32 offset:276 ; 8-byte Folded Reload
	s_wait_loadcnt 0x0
	v_mul_u64_e32 v[0:1], v[26:27], v[0:1]
	v_mul_lo_u32 v0, v1, v49
	s_delay_alu instid0(VALU_DEP_1) | instskip(NEXT) | instid1(VALU_DEP_1)
	v_sub_nc_u32_e32 v0, v26, v0
	v_sub_nc_u32_e32 v1, v0, v49
	v_cmp_ge_u32_e32 vcc_lo, v0, v49
	s_delay_alu instid0(VALU_DEP_2) | instskip(NEXT) | instid1(VALU_DEP_1)
	v_dual_cndmask_b32 v0, v0, v1 :: v_dual_ashrrev_i32 v3, 31, v3
	v_sub_nc_u32_e32 v1, v0, v49
	v_cmp_ge_u32_e32 vcc_lo, v0, v49
	s_delay_alu instid0(VALU_DEP_2) | instskip(NEXT) | instid1(VALU_DEP_1)
	v_cndmask_b32_e32 v0, v0, v1, vcc_lo
	v_xor_b32_e32 v0, v0, v3
	s_delay_alu instid0(VALU_DEP_1) | instskip(NEXT) | instid1(VALU_DEP_1)
	v_sub_nc_u32_e32 v0, v0, v3
	v_cmp_eq_u32_e32 vcc_lo, 0, v0
	scratch_load_b32 v0, off, s32 offset:208 ; 4-byte Folded Reload
	s_wait_loadcnt 0x0
	v_cmp_gt_i32_e64 s0, v2, v0
	s_or_b32 s0, vcc_lo, s0
	s_wait_xcnt 0x0
	s_and_saveexec_b32 s9, s0
	s_cbranch_execz .LBB347_812
; %bb.814:                              ;   in Loop: Header=BB347_813 Depth=1
	flat_load_b32 v0, v[10:11]
	s_clause 0x1
	scratch_load_b64 v[2:3], off, s32 offset:268
	scratch_load_b64 v[4:5], off, s32 offset:328
	v_dual_mov_b32 v16, 0 :: v_dual_mov_b32 v17, 0
	s_wait_loadcnt_dscnt 0x0
	v_mad_nc_i64_i32 v[0:1], v0, v2, v[4:5]
	flat_load_b64 v[18:19], v[0:1]
	scratch_load_b64 v[2:3], off, s32 offset:320 ; 8-byte Folded Reload
	s_load_b32 s0, s[6:7], 0x0
	s_wait_loadcnt 0x0
	flat_load_b32 v68, v[2:3]
	s_wait_kmcnt 0x0
	v_add_nc_u32_e32 v2, s0, v52
	s_mov_b32 s0, exec_lo
	ds_load_2addr_b64 v[4:7], v2 offset1:1
	s_wait_dscnt 0x0
	scratch_store_b128 off, v[4:7], s32 offset:300 ; 16-byte Folded Spill
	s_wait_xcnt 0x0
	ds_load_2addr_b64 v[2:5], v2 offset0:2 offset1:3
	s_wait_dscnt 0x0
	scratch_store_b128 off, v[2:5], s32 offset:284 ; 16-byte Folded Spill
	s_wait_xcnt 0x0
	v_and_b32_e32 v2, 0xff, v18
	s_delay_alu instid0(VALU_DEP_1)
	v_cmpx_ne_u16_e32 0, v2
	s_cbranch_execz .LBB347_822
; %bb.815:                              ;   in Loop: Header=BB347_813 Depth=1
	v_bfrev_b32_e32 v16, 1
	s_mov_b32 s14, exec_lo
	v_cmpx_ne_u16_e32 0x80, v2
	s_cbranch_execz .LBB347_821
; %bb.816:                              ;   in Loop: Header=BB347_813 Depth=1
	v_and_b32_e32 v3, 0x7f, v18
	v_mov_b32_e32 v16, 0x7f800001
	s_mov_b32 s15, exec_lo
	s_delay_alu instid0(VALU_DEP_2)
	v_cmpx_ne_u32_e32 0x7f, v3
	s_cbranch_execz .LBB347_820
; %bb.817:                              ;   in Loop: Header=BB347_813 Depth=1
	v_mov_b64_e32 v[22:23], v[18:19]
	v_lshrrev_b32_e32 v2, 3, v3
	s_mov_b32 s16, exec_lo
	v_cmpx_gt_u32_e32 8, v3
; %bb.818:                              ;   in Loop: Header=BB347_813 Depth=1
	v_and_b32_e32 v2, 7, v18
	s_delay_alu instid0(VALU_DEP_1) | instskip(NEXT) | instid1(VALU_DEP_1)
	v_clz_i32_u32_e32 v2, v2
	v_min_u32_e32 v2, 32, v2
	s_delay_alu instid0(VALU_DEP_1) | instskip(SKIP_1) | instid1(VALU_DEP_2)
	v_subrev_nc_u32_e32 v3, 28, v2
	v_sub_nc_u32_e32 v2, 29, v2
	v_lshlrev_b64_e32 v[22:23], v3, v[18:19]
; %bb.819:                              ;   in Loop: Header=BB347_813 Depth=1
	s_or_b32 exec_lo, exec_lo, s16
	s_delay_alu instid0(VALU_DEP_1) | instskip(SKIP_2) | instid1(VALU_DEP_3)
	v_lshlrev_b32_e32 v3, 20, v22
	v_lshlrev_b32_e32 v4, 24, v18
	v_lshl_add_u32 v2, v2, 23, 0x3c000000
	v_and_b32_e32 v3, 0x700000, v3
	s_delay_alu instid0(VALU_DEP_3) | instskip(NEXT) | instid1(VALU_DEP_1)
	v_and_b32_e32 v4, 0x80000000, v4
	v_or3_b32 v16, v3, v4, v2
.LBB347_820:                            ;   in Loop: Header=BB347_813 Depth=1
	s_or_b32 exec_lo, exec_lo, s15
.LBB347_821:                            ;   in Loop: Header=BB347_813 Depth=1
	s_delay_alu instid0(SALU_CYCLE_1)
	s_or_b32 exec_lo, exec_lo, s14
.LBB347_822:                            ;   in Loop: Header=BB347_813 Depth=1
	s_delay_alu instid0(SALU_CYCLE_1) | instskip(SKIP_2) | instid1(VALU_DEP_1)
	s_or_b32 exec_lo, exec_lo, s0
	v_lshrrev_b16 v2, 8, v18
	s_mov_b32 s0, exec_lo
	v_cmpx_ne_u16_e32 0, v2
	s_cbranch_execz .LBB347_830
; %bb.823:                              ;   in Loop: Header=BB347_813 Depth=1
	v_bfrev_b32_e32 v17, 1
	s_mov_b32 s14, exec_lo
	v_cmpx_ne_u16_e32 0x80, v2
	s_cbranch_execz .LBB347_829
; %bb.824:                              ;   in Loop: Header=BB347_813 Depth=1
	v_and_b32_e32 v2, 0xffff, v2
	v_mov_b32_e32 v17, 0x7f800001
	s_mov_b32 s15, exec_lo
	s_delay_alu instid0(VALU_DEP_2) | instskip(NEXT) | instid1(VALU_DEP_1)
	v_and_b32_e32 v3, 0x7f, v2
	v_cmpx_ne_u32_e32 0x7f, v3
	s_cbranch_execz .LBB347_828
; %bb.825:                              ;   in Loop: Header=BB347_813 Depth=1
	v_dual_lshrrev_b32 v2, 3, v3 :: v_dual_bitop2_b32 v26, 7, v2 bitop3:0x40
	s_mov_b32 s16, exec_lo
	v_cmpx_gt_u32_e32 8, v3
; %bb.826:                              ;   in Loop: Header=BB347_813 Depth=1
	s_delay_alu instid0(VALU_DEP_2) | instskip(NEXT) | instid1(VALU_DEP_1)
	v_clz_i32_u32_e32 v2, v26
	v_min_u32_e32 v2, 32, v2
	s_delay_alu instid0(VALU_DEP_1) | instskip(NEXT) | instid1(VALU_DEP_1)
	v_subrev_nc_u32_e32 v3, 28, v2
	v_lshlrev_b64_e32 v[4:5], v3, v[26:27]
	s_delay_alu instid0(VALU_DEP_1)
	v_dual_sub_nc_u32 v2, 29, v2 :: v_dual_bitop2_b32 v26, 7, v4 bitop3:0x40
; %bb.827:                              ;   in Loop: Header=BB347_813 Depth=1
	s_or_b32 exec_lo, exec_lo, s16
	v_lshlrev_b32_e32 v3, 16, v18
	s_delay_alu instid0(VALU_DEP_2) | instskip(NEXT) | instid1(VALU_DEP_3)
	v_lshlrev_b32_e32 v4, 20, v26
	v_lshl_add_u32 v2, v2, 23, 0x3c000000
	s_delay_alu instid0(VALU_DEP_3) | instskip(NEXT) | instid1(VALU_DEP_1)
	v_and_b32_e32 v3, 0x80000000, v3
	v_or3_b32 v17, v4, v3, v2
.LBB347_828:                            ;   in Loop: Header=BB347_813 Depth=1
	s_or_b32 exec_lo, exec_lo, s15
.LBB347_829:                            ;   in Loop: Header=BB347_813 Depth=1
	s_delay_alu instid0(SALU_CYCLE_1)
	s_or_b32 exec_lo, exec_lo, s14
.LBB347_830:                            ;   in Loop: Header=BB347_813 Depth=1
	s_delay_alu instid0(SALU_CYCLE_1) | instskip(SKIP_3) | instid1(VALU_DEP_2)
	s_or_b32 exec_lo, exec_lo, s0
	v_dual_lshrrev_b32 v2, 16, v18 :: v_dual_mov_b32 v34, 0
	v_mov_b32_e32 v25, 0
	s_mov_b32 s0, exec_lo
	v_and_b32_e32 v3, 0xff, v2
	s_delay_alu instid0(VALU_DEP_1)
	v_cmpx_ne_u16_e32 0, v3
	s_cbranch_execz .LBB347_838
; %bb.831:                              ;   in Loop: Header=BB347_813 Depth=1
	v_bfrev_b32_e32 v25, 1
	s_mov_b32 s14, exec_lo
	v_cmpx_ne_u16_e32 0x80, v3
	s_cbranch_execz .LBB347_837
; %bb.832:                              ;   in Loop: Header=BB347_813 Depth=1
	v_bfe_u32 v4, v18, 16, 7
	v_mov_b32_e32 v25, 0x7f800001
	s_mov_b32 s15, exec_lo
	s_delay_alu instid0(VALU_DEP_2)
	v_cmpx_ne_u32_e32 0x7f, v4
	s_cbranch_execz .LBB347_836
; %bb.833:                              ;   in Loop: Header=BB347_813 Depth=1
	v_dual_lshrrev_b32 v3, 3, v4 :: v_dual_bitop2_b32 v26, 7, v2 bitop3:0x40
	s_mov_b32 s16, exec_lo
	v_cmpx_gt_u32_e32 8, v4
; %bb.834:                              ;   in Loop: Header=BB347_813 Depth=1
	s_delay_alu instid0(VALU_DEP_2) | instskip(NEXT) | instid1(VALU_DEP_1)
	v_clz_i32_u32_e32 v3, v26
	v_min_u32_e32 v3, 32, v3
	s_delay_alu instid0(VALU_DEP_1) | instskip(NEXT) | instid1(VALU_DEP_1)
	v_subrev_nc_u32_e32 v4, 28, v3
	v_lshlrev_b64_e32 v[4:5], v4, v[26:27]
	s_delay_alu instid0(VALU_DEP_1)
	v_dual_sub_nc_u32 v3, 29, v3 :: v_dual_bitop2_b32 v26, 7, v4 bitop3:0x40
; %bb.835:                              ;   in Loop: Header=BB347_813 Depth=1
	s_or_b32 exec_lo, exec_lo, s16
	v_lshlrev_b32_e32 v2, 24, v2
	s_delay_alu instid0(VALU_DEP_2) | instskip(NEXT) | instid1(VALU_DEP_3)
	v_lshlrev_b32_e32 v4, 20, v26
	v_lshl_add_u32 v3, v3, 23, 0x3c000000
	s_delay_alu instid0(VALU_DEP_3) | instskip(NEXT) | instid1(VALU_DEP_1)
	v_and_b32_e32 v2, 0x80000000, v2
	v_or3_b32 v25, v4, v2, v3
.LBB347_836:                            ;   in Loop: Header=BB347_813 Depth=1
	s_or_b32 exec_lo, exec_lo, s15
.LBB347_837:                            ;   in Loop: Header=BB347_813 Depth=1
	s_delay_alu instid0(SALU_CYCLE_1)
	s_or_b32 exec_lo, exec_lo, s14
.LBB347_838:                            ;   in Loop: Header=BB347_813 Depth=1
	s_delay_alu instid0(SALU_CYCLE_1) | instskip(NEXT) | instid1(SALU_CYCLE_1)
	s_or_b32 exec_lo, exec_lo, s0
	s_mov_b32 s0, exec_lo
	v_cmpx_lt_u32_e32 0xffffff, v18
	s_cbranch_execz .LBB347_846
; %bb.839:                              ;   in Loop: Header=BB347_813 Depth=1
	v_lshrrev_b32_e32 v2, 24, v18
	v_bfrev_b32_e32 v34, 1
	s_mov_b32 s14, exec_lo
	s_delay_alu instid0(VALU_DEP_2)
	v_cmpx_ne_u32_e32 0x80, v2
	s_cbranch_execz .LBB347_845
; %bb.840:                              ;   in Loop: Header=BB347_813 Depth=1
	v_bfe_u32 v4, v18, 24, 7
	v_mov_b32_e32 v34, 0x7f800001
	s_mov_b32 s15, exec_lo
	s_delay_alu instid0(VALU_DEP_2)
	v_cmpx_ne_u32_e32 0x7f, v4
	s_cbranch_execz .LBB347_844
; %bb.841:                              ;   in Loop: Header=BB347_813 Depth=1
	v_dual_lshrrev_b32 v3, 3, v4 :: v_dual_bitop2_b32 v26, 7, v2 bitop3:0x40
	s_mov_b32 s16, exec_lo
	v_cmpx_gt_u32_e32 8, v4
; %bb.842:                              ;   in Loop: Header=BB347_813 Depth=1
	s_delay_alu instid0(VALU_DEP_2) | instskip(NEXT) | instid1(VALU_DEP_1)
	v_clz_i32_u32_e32 v3, v26
	v_min_u32_e32 v3, 32, v3
	s_delay_alu instid0(VALU_DEP_1) | instskip(NEXT) | instid1(VALU_DEP_1)
	v_subrev_nc_u32_e32 v4, 28, v3
	v_lshlrev_b64_e32 v[4:5], v4, v[26:27]
	s_delay_alu instid0(VALU_DEP_1)
	v_dual_sub_nc_u32 v3, 29, v3 :: v_dual_bitop2_b32 v26, 7, v4 bitop3:0x40
; %bb.843:                              ;   in Loop: Header=BB347_813 Depth=1
	s_or_b32 exec_lo, exec_lo, s16
	v_lshlrev_b32_e32 v2, 24, v2
	s_delay_alu instid0(VALU_DEP_2) | instskip(NEXT) | instid1(VALU_DEP_3)
	v_lshlrev_b32_e32 v4, 20, v26
	v_lshl_add_u32 v3, v3, 23, 0x3c000000
	s_delay_alu instid0(VALU_DEP_3) | instskip(NEXT) | instid1(VALU_DEP_1)
	v_and_b32_e32 v2, 0x80000000, v2
	v_or3_b32 v34, v4, v2, v3
.LBB347_844:                            ;   in Loop: Header=BB347_813 Depth=1
	s_or_b32 exec_lo, exec_lo, s15
.LBB347_845:                            ;   in Loop: Header=BB347_813 Depth=1
	s_delay_alu instid0(SALU_CYCLE_1)
	s_or_b32 exec_lo, exec_lo, s14
.LBB347_846:                            ;   in Loop: Header=BB347_813 Depth=1
	s_delay_alu instid0(SALU_CYCLE_1) | instskip(SKIP_4) | instid1(VALU_DEP_3)
	s_or_b32 exec_lo, exec_lo, s0
	v_and_b32_e32 v2, 0xff, v19
	v_dual_mov_b32 v26, v19 :: v_dual_mov_b32 v36, 0
	v_mov_b32_e32 v35, 0
	s_mov_b32 s0, exec_lo
	v_cmpx_ne_u16_e32 0, v2
	s_cbranch_execz .LBB347_854
; %bb.847:                              ;   in Loop: Header=BB347_813 Depth=1
	v_bfrev_b32_e32 v35, 1
	s_mov_b32 s14, exec_lo
	v_cmpx_ne_u16_e32 0x80, v2
	s_cbranch_execz .LBB347_853
; %bb.848:                              ;   in Loop: Header=BB347_813 Depth=1
	v_and_b32_e32 v3, 0x7f, v19
	v_mov_b32_e32 v35, 0x7f800001
	s_mov_b32 s15, exec_lo
	s_delay_alu instid0(VALU_DEP_2)
	v_cmpx_ne_u32_e32 0x7f, v3
	s_cbranch_execz .LBB347_852
; %bb.849:                              ;   in Loop: Header=BB347_813 Depth=1
	v_mov_b64_e32 v[22:23], v[26:27]
	v_lshrrev_b32_e32 v2, 3, v3
	s_mov_b32 s16, exec_lo
	v_cmpx_gt_u32_e32 8, v3
; %bb.850:                              ;   in Loop: Header=BB347_813 Depth=1
	v_and_b32_e32 v2, 7, v19
	s_delay_alu instid0(VALU_DEP_1) | instskip(NEXT) | instid1(VALU_DEP_1)
	v_clz_i32_u32_e32 v2, v2
	v_min_u32_e32 v2, 32, v2
	s_delay_alu instid0(VALU_DEP_1) | instskip(SKIP_1) | instid1(VALU_DEP_2)
	v_subrev_nc_u32_e32 v3, 28, v2
	v_sub_nc_u32_e32 v2, 29, v2
	v_lshlrev_b64_e32 v[22:23], v3, v[26:27]
; %bb.851:                              ;   in Loop: Header=BB347_813 Depth=1
	s_or_b32 exec_lo, exec_lo, s16
	s_delay_alu instid0(VALU_DEP_1) | instskip(SKIP_2) | instid1(VALU_DEP_3)
	v_lshlrev_b32_e32 v3, 20, v22
	v_lshlrev_b32_e32 v4, 24, v26
	v_lshl_add_u32 v2, v2, 23, 0x3c000000
	v_and_b32_e32 v3, 0x700000, v3
	s_delay_alu instid0(VALU_DEP_3) | instskip(NEXT) | instid1(VALU_DEP_1)
	v_and_b32_e32 v4, 0x80000000, v4
	v_or3_b32 v35, v3, v4, v2
.LBB347_852:                            ;   in Loop: Header=BB347_813 Depth=1
	s_or_b32 exec_lo, exec_lo, s15
.LBB347_853:                            ;   in Loop: Header=BB347_813 Depth=1
	s_delay_alu instid0(SALU_CYCLE_1)
	s_or_b32 exec_lo, exec_lo, s14
.LBB347_854:                            ;   in Loop: Header=BB347_813 Depth=1
	s_delay_alu instid0(SALU_CYCLE_1) | instskip(SKIP_2) | instid1(VALU_DEP_1)
	s_or_b32 exec_lo, exec_lo, s0
	v_lshrrev_b16 v2, 8, v26
	s_mov_b32 s0, exec_lo
	v_cmpx_ne_u16_e32 0, v2
	s_cbranch_execz .LBB347_862
; %bb.855:                              ;   in Loop: Header=BB347_813 Depth=1
	v_bfrev_b32_e32 v36, 1
	s_mov_b32 s14, exec_lo
	v_cmpx_ne_u16_e32 0x80, v2
	s_cbranch_execz .LBB347_861
; %bb.856:                              ;   in Loop: Header=BB347_813 Depth=1
	v_and_b32_e32 v2, 0xffff, v2
	v_mov_b32_e32 v36, 0x7f800001
	s_mov_b32 s15, exec_lo
	s_delay_alu instid0(VALU_DEP_2) | instskip(NEXT) | instid1(VALU_DEP_1)
	v_and_b32_e32 v3, 0x7f, v2
	v_cmpx_ne_u32_e32 0x7f, v3
	s_cbranch_execz .LBB347_860
; %bb.857:                              ;   in Loop: Header=BB347_813 Depth=1
	v_dual_mov_b32 v23, v27 :: v_dual_bitop2_b32 v22, 7, v2 bitop3:0x40
	v_lshrrev_b32_e32 v2, 3, v3
	s_mov_b32 s16, exec_lo
	v_cmpx_gt_u32_e32 8, v3
; %bb.858:                              ;   in Loop: Header=BB347_813 Depth=1
	s_delay_alu instid0(VALU_DEP_3) | instskip(NEXT) | instid1(VALU_DEP_1)
	v_clz_i32_u32_e32 v2, v22
	v_min_u32_e32 v2, 32, v2
	s_delay_alu instid0(VALU_DEP_1) | instskip(NEXT) | instid1(VALU_DEP_1)
	v_subrev_nc_u32_e32 v3, 28, v2
	v_lshlrev_b64_e32 v[4:5], v3, v[22:23]
	s_delay_alu instid0(VALU_DEP_1)
	v_dual_sub_nc_u32 v2, 29, v2 :: v_dual_bitop2_b32 v22, 7, v4 bitop3:0x40
; %bb.859:                              ;   in Loop: Header=BB347_813 Depth=1
	s_or_b32 exec_lo, exec_lo, s16
	v_lshlrev_b32_e32 v3, 16, v26
	s_delay_alu instid0(VALU_DEP_2) | instskip(NEXT) | instid1(VALU_DEP_3)
	v_lshlrev_b32_e32 v4, 20, v22
	v_lshl_add_u32 v2, v2, 23, 0x3c000000
	s_delay_alu instid0(VALU_DEP_3) | instskip(NEXT) | instid1(VALU_DEP_1)
	v_and_b32_e32 v3, 0x80000000, v3
	v_or3_b32 v36, v4, v3, v2
.LBB347_860:                            ;   in Loop: Header=BB347_813 Depth=1
	s_or_b32 exec_lo, exec_lo, s15
.LBB347_861:                            ;   in Loop: Header=BB347_813 Depth=1
	s_delay_alu instid0(SALU_CYCLE_1)
	s_or_b32 exec_lo, exec_lo, s14
.LBB347_862:                            ;   in Loop: Header=BB347_813 Depth=1
	s_delay_alu instid0(SALU_CYCLE_1) | instskip(SKIP_3) | instid1(VALU_DEP_2)
	s_or_b32 exec_lo, exec_lo, s0
	v_dual_lshrrev_b32 v4, 16, v19 :: v_dual_mov_b32 v2, 0
	v_mov_b32_e32 v3, 0
	s_mov_b32 s0, exec_lo
	v_and_b32_e32 v5, 0xff, v4
	s_delay_alu instid0(VALU_DEP_1)
	v_cmpx_ne_u16_e32 0, v5
	s_cbranch_execz .LBB347_870
; %bb.863:                              ;   in Loop: Header=BB347_813 Depth=1
	v_bfrev_b32_e32 v3, 1
	s_mov_b32 s14, exec_lo
	v_cmpx_ne_u16_e32 0x80, v5
	s_cbranch_execz .LBB347_869
; %bb.864:                              ;   in Loop: Header=BB347_813 Depth=1
	v_bfe_u32 v5, v19, 16, 7
	v_mov_b32_e32 v3, 0x7f800001
	s_mov_b32 s15, exec_lo
	s_delay_alu instid0(VALU_DEP_2)
	v_cmpx_ne_u32_e32 0x7f, v5
	s_cbranch_execz .LBB347_868
; %bb.865:                              ;   in Loop: Header=BB347_813 Depth=1
	v_dual_lshrrev_b32 v3, 3, v5 :: v_dual_bitop2_b32 v26, 7, v4 bitop3:0x40
	s_mov_b32 s16, exec_lo
	v_cmpx_gt_u32_e32 8, v5
; %bb.866:                              ;   in Loop: Header=BB347_813 Depth=1
	s_delay_alu instid0(VALU_DEP_2) | instskip(NEXT) | instid1(VALU_DEP_1)
	v_clz_i32_u32_e32 v3, v26
	v_min_u32_e32 v3, 32, v3
	s_delay_alu instid0(VALU_DEP_1) | instskip(NEXT) | instid1(VALU_DEP_1)
	v_subrev_nc_u32_e32 v5, 28, v3
	v_lshlrev_b64_e32 v[22:23], v5, v[26:27]
	s_delay_alu instid0(VALU_DEP_1)
	v_dual_sub_nc_u32 v3, 29, v3 :: v_dual_bitop2_b32 v26, 7, v22 bitop3:0x40
; %bb.867:                              ;   in Loop: Header=BB347_813 Depth=1
	s_or_b32 exec_lo, exec_lo, s16
	s_delay_alu instid0(VALU_DEP_1) | instskip(NEXT) | instid1(VALU_DEP_2)
	v_dual_lshlrev_b32 v4, 24, v4 :: v_dual_lshlrev_b32 v5, 20, v26
	v_lshl_add_u32 v3, v3, 23, 0x3c000000
	s_delay_alu instid0(VALU_DEP_2) | instskip(NEXT) | instid1(VALU_DEP_1)
	v_and_b32_e32 v4, 0x80000000, v4
	v_or3_b32 v3, v5, v4, v3
.LBB347_868:                            ;   in Loop: Header=BB347_813 Depth=1
	s_or_b32 exec_lo, exec_lo, s15
.LBB347_869:                            ;   in Loop: Header=BB347_813 Depth=1
	s_delay_alu instid0(SALU_CYCLE_1)
	s_or_b32 exec_lo, exec_lo, s14
.LBB347_870:                            ;   in Loop: Header=BB347_813 Depth=1
	s_delay_alu instid0(SALU_CYCLE_1) | instskip(NEXT) | instid1(SALU_CYCLE_1)
	s_or_b32 exec_lo, exec_lo, s0
	s_mov_b32 s0, exec_lo
	v_cmpx_lt_u64_e64 s[2:3], v[18:19]
	s_cbranch_execz .LBB347_878
; %bb.871:                              ;   in Loop: Header=BB347_813 Depth=1
	v_lshrrev_b32_e32 v4, 24, v19
	v_bfrev_b32_e32 v2, 1
	s_mov_b32 s14, exec_lo
	s_delay_alu instid0(VALU_DEP_2)
	v_cmpx_ne_u32_e32 0x80, v4
	s_cbranch_execz .LBB347_877
; %bb.872:                              ;   in Loop: Header=BB347_813 Depth=1
	v_bfe_u32 v5, v19, 24, 7
	v_mov_b32_e32 v2, 0x7f800001
	s_mov_b32 s15, exec_lo
	s_delay_alu instid0(VALU_DEP_2)
	v_cmpx_ne_u32_e32 0x7f, v5
	s_cbranch_execz .LBB347_876
; %bb.873:                              ;   in Loop: Header=BB347_813 Depth=1
	v_dual_lshrrev_b32 v2, 3, v5 :: v_dual_bitop2_b32 v26, 7, v4 bitop3:0x40
	s_mov_b32 s16, exec_lo
	v_cmpx_gt_u32_e32 8, v5
; %bb.874:                              ;   in Loop: Header=BB347_813 Depth=1
	s_delay_alu instid0(VALU_DEP_2) | instskip(NEXT) | instid1(VALU_DEP_1)
	v_clz_i32_u32_e32 v2, v26
	v_min_u32_e32 v2, 32, v2
	s_delay_alu instid0(VALU_DEP_1) | instskip(SKIP_1) | instid1(VALU_DEP_2)
	v_subrev_nc_u32_e32 v5, 28, v2
	v_sub_nc_u32_e32 v2, 29, v2
	v_lshlrev_b64_e32 v[18:19], v5, v[26:27]
	s_delay_alu instid0(VALU_DEP_1)
	v_and_b32_e32 v26, 7, v18
; %bb.875:                              ;   in Loop: Header=BB347_813 Depth=1
	s_or_b32 exec_lo, exec_lo, s16
	s_delay_alu instid0(VALU_DEP_1) | instskip(SKIP_1) | instid1(VALU_DEP_2)
	v_dual_lshlrev_b32 v4, 24, v4 :: v_dual_lshlrev_b32 v5, 20, v26
	v_lshl_add_u32 v2, v2, 23, 0x3c000000
	v_and_b32_e32 v4, 0x80000000, v4
	s_delay_alu instid0(VALU_DEP_1)
	v_or3_b32 v2, v5, v4, v2
.LBB347_876:                            ;   in Loop: Header=BB347_813 Depth=1
	s_or_b32 exec_lo, exec_lo, s15
.LBB347_877:                            ;   in Loop: Header=BB347_813 Depth=1
	s_delay_alu instid0(SALU_CYCLE_1)
	s_or_b32 exec_lo, exec_lo, s14
.LBB347_878:                            ;   in Loop: Header=BB347_813 Depth=1
	s_delay_alu instid0(SALU_CYCLE_1)
	s_or_b32 exec_lo, exec_lo, s0
	s_clause 0x1
	scratch_load_b32 v4, off, s32 offset:192
	scratch_load_b32 v5, off, s32 offset:336
	s_wait_loadcnt 0x2
	v_fma_mixlo_bf16 v3, v68, v3, 0
	v_fma_mixlo_bf16 v2, v68, v2, 0
	;; [unrolled: 1-line block ×4, first 2 shown]
	s_clause 0x1
	scratch_store_b32 off, v3, s32 offset:212
	scratch_store_b32 off, v2, s32 offset:216
	s_wait_loadcnt 0x1
	v_add_nc_u32_e32 v4, -1, v4
	s_wait_loadcnt 0x0
	v_add_nc_u32_e32 v96, v5, v24
	v_fma_mixlo_bf16 v5, v68, v34, 0
	s_delay_alu instid0(VALU_DEP_3)
	v_cmp_eq_u32_e32 vcc_lo, v4, v50
	v_fma_mixlo_bf16 v4, v68, v25, 0
	scratch_store_b32 off, v5, s32 offset:220 ; 4-byte Folded Spill
	v_dual_add_nc_u32 v100, 1, v96 :: v_dual_add_nc_u32 v99, 2, v96
	v_dual_add_nc_u32 v98, 3, v96 :: v_dual_add_nc_u32 v97, 4, v96
	scratch_store_b32 off, v4, s32 offset:228 ; 4-byte Folded Spill
	s_wait_xcnt 0x0
	v_fma_mixlo_bf16 v4, v68, v17, 0
	v_dual_add_nc_u32 v87, 5, v96 :: v_dual_add_nc_u32 v86, 6, v96
	v_add_nc_u32_e32 v85, 7, v96
	scratch_store_b32 off, v4, s32 offset:236 ; 4-byte Folded Spill
	s_wait_xcnt 0x0
	v_fma_mixlo_bf16 v4, v68, v16, 0
	scratch_store_b32 off, v4, s32 offset:244 ; 4-byte Folded Spill
	s_wait_xcnt 0x0
	s_and_saveexec_b32 s14, vcc_lo
	s_cbranch_execz .LBB347_880
; %bb.879:                              ;   in Loop: Header=BB347_813 Depth=1
	scratch_load_b32 v2, off, s32 offset:244 ; 4-byte Folded Reload
	v_cmp_lt_i32_e64 s0, v96, v60
	s_wait_loadcnt 0x0
	s_delay_alu instid0(VALU_DEP_1)
	v_cndmask_b32_e64 v2, 0, v2, s0
	v_cmp_lt_i32_e64 s0, v100, v60
	s_clause 0x1
	scratch_store_b32 off, v2, s32 offset:244
	scratch_load_b32 v2, off, s32 offset:236
	s_wait_loadcnt 0x0
	v_cndmask_b32_e64 v2, 0, v2, s0
	v_cmp_lt_i32_e64 s0, v99, v60
	s_clause 0x1
	scratch_store_b32 off, v2, s32 offset:236
	scratch_load_b32 v2, off, s32 offset:228
	s_wait_loadcnt 0x0
	;; [unrolled: 6-line block ×3, first 2 shown]
	v_cndmask_b32_e64 v2, 0, v2, s0
	v_cmp_lt_i32_e64 s0, v97, v60
	s_clause 0x1
	scratch_store_b32 off, v2, s32 offset:220
	scratch_load_b32 v2, off, s32 offset:212
	v_cndmask_b32_e64 v70, 0, v70, s0
	v_cmp_lt_i32_e64 s0, v87, v60
	s_delay_alu instid0(VALU_DEP_1) | instskip(SKIP_2) | instid1(VALU_DEP_1)
	v_cndmask_b32_e64 v69, 0, v69, s0
	v_cmp_lt_i32_e64 s0, v86, v60
	s_wait_loadcnt 0x0
	v_cndmask_b32_e64 v2, 0, v2, s0
	v_cmp_lt_i32_e64 s0, v85, v60
	s_clause 0x1
	scratch_store_b32 off, v2, s32 offset:212
	scratch_load_b32 v2, off, s32 offset:216
	s_wait_loadcnt 0x0
	v_cndmask_b32_e64 v2, 0, v2, s0
	scratch_store_b32 off, v2, s32 offset:216 ; 4-byte Folded Spill
.LBB347_880:                            ;   in Loop: Header=BB347_813 Depth=1
	s_wait_xcnt 0x0
	s_or_b32 exec_lo, exec_lo, s14
	flat_load_b64 v[18:19], v[0:1] offset:256
	v_dual_mov_b32 v17, 0 :: v_dual_mov_b32 v16, 0
	s_mov_b32 s14, exec_lo
	s_wait_loadcnt_dscnt 0x0
	v_and_b32_e32 v2, 0xff, v18
	s_wait_xcnt 0x0
	s_delay_alu instid0(VALU_DEP_1)
	v_cmpx_ne_u16_e32 0, v2
	s_cbranch_execz .LBB347_888
; %bb.881:                              ;   in Loop: Header=BB347_813 Depth=1
	v_bfrev_b32_e32 v16, 1
	s_mov_b32 s15, exec_lo
	v_cmpx_ne_u16_e32 0x80, v2
	s_cbranch_execz .LBB347_887
; %bb.882:                              ;   in Loop: Header=BB347_813 Depth=1
	v_and_b32_e32 v3, 0x7f, v18
	v_mov_b32_e32 v16, 0x7f800001
	s_mov_b32 s16, exec_lo
	s_delay_alu instid0(VALU_DEP_2)
	v_cmpx_ne_u32_e32 0x7f, v3
	s_cbranch_execz .LBB347_886
; %bb.883:                              ;   in Loop: Header=BB347_813 Depth=1
	v_mov_b64_e32 v[22:23], v[18:19]
	v_lshrrev_b32_e32 v2, 3, v3
	s_mov_b32 s17, exec_lo
	v_cmpx_gt_u32_e32 8, v3
; %bb.884:                              ;   in Loop: Header=BB347_813 Depth=1
	v_and_b32_e32 v2, 7, v18
	s_delay_alu instid0(VALU_DEP_1) | instskip(NEXT) | instid1(VALU_DEP_1)
	v_clz_i32_u32_e32 v2, v2
	v_min_u32_e32 v2, 32, v2
	s_delay_alu instid0(VALU_DEP_1) | instskip(SKIP_1) | instid1(VALU_DEP_2)
	v_subrev_nc_u32_e32 v3, 28, v2
	v_sub_nc_u32_e32 v2, 29, v2
	v_lshlrev_b64_e32 v[22:23], v3, v[18:19]
; %bb.885:                              ;   in Loop: Header=BB347_813 Depth=1
	s_or_b32 exec_lo, exec_lo, s17
	s_delay_alu instid0(VALU_DEP_1) | instskip(SKIP_2) | instid1(VALU_DEP_3)
	v_lshlrev_b32_e32 v3, 20, v22
	v_lshlrev_b32_e32 v4, 24, v18
	v_lshl_add_u32 v2, v2, 23, 0x3c000000
	v_and_b32_e32 v3, 0x700000, v3
	s_delay_alu instid0(VALU_DEP_3) | instskip(NEXT) | instid1(VALU_DEP_1)
	v_and_b32_e32 v4, 0x80000000, v4
	v_or3_b32 v16, v3, v4, v2
.LBB347_886:                            ;   in Loop: Header=BB347_813 Depth=1
	s_or_b32 exec_lo, exec_lo, s16
.LBB347_887:                            ;   in Loop: Header=BB347_813 Depth=1
	s_delay_alu instid0(SALU_CYCLE_1)
	s_or_b32 exec_lo, exec_lo, s15
.LBB347_888:                            ;   in Loop: Header=BB347_813 Depth=1
	s_delay_alu instid0(SALU_CYCLE_1) | instskip(SKIP_2) | instid1(VALU_DEP_1)
	s_or_b32 exec_lo, exec_lo, s14
	v_lshrrev_b16 v2, 8, v18
	s_mov_b32 s14, exec_lo
	v_cmpx_ne_u16_e32 0, v2
	s_cbranch_execz .LBB347_896
; %bb.889:                              ;   in Loop: Header=BB347_813 Depth=1
	v_bfrev_b32_e32 v17, 1
	s_mov_b32 s15, exec_lo
	v_cmpx_ne_u16_e32 0x80, v2
	s_cbranch_execz .LBB347_895
; %bb.890:                              ;   in Loop: Header=BB347_813 Depth=1
	v_and_b32_e32 v2, 0xffff, v2
	v_mov_b32_e32 v17, 0x7f800001
	s_mov_b32 s16, exec_lo
	s_delay_alu instid0(VALU_DEP_2) | instskip(NEXT) | instid1(VALU_DEP_1)
	v_and_b32_e32 v3, 0x7f, v2
	v_cmpx_ne_u32_e32 0x7f, v3
	s_cbranch_execz .LBB347_894
; %bb.891:                              ;   in Loop: Header=BB347_813 Depth=1
	v_dual_lshrrev_b32 v2, 3, v3 :: v_dual_bitop2_b32 v26, 7, v2 bitop3:0x40
	s_mov_b32 s17, exec_lo
	v_cmpx_gt_u32_e32 8, v3
; %bb.892:                              ;   in Loop: Header=BB347_813 Depth=1
	s_delay_alu instid0(VALU_DEP_2) | instskip(NEXT) | instid1(VALU_DEP_1)
	v_clz_i32_u32_e32 v2, v26
	v_min_u32_e32 v2, 32, v2
	s_delay_alu instid0(VALU_DEP_1) | instskip(NEXT) | instid1(VALU_DEP_1)
	v_subrev_nc_u32_e32 v3, 28, v2
	v_lshlrev_b64_e32 v[4:5], v3, v[26:27]
	s_delay_alu instid0(VALU_DEP_1)
	v_dual_sub_nc_u32 v2, 29, v2 :: v_dual_bitop2_b32 v26, 7, v4 bitop3:0x40
; %bb.893:                              ;   in Loop: Header=BB347_813 Depth=1
	s_or_b32 exec_lo, exec_lo, s17
	v_lshlrev_b32_e32 v3, 16, v18
	s_delay_alu instid0(VALU_DEP_2) | instskip(NEXT) | instid1(VALU_DEP_3)
	v_lshlrev_b32_e32 v4, 20, v26
	v_lshl_add_u32 v2, v2, 23, 0x3c000000
	s_delay_alu instid0(VALU_DEP_3) | instskip(NEXT) | instid1(VALU_DEP_1)
	v_and_b32_e32 v3, 0x80000000, v3
	v_or3_b32 v17, v4, v3, v2
.LBB347_894:                            ;   in Loop: Header=BB347_813 Depth=1
	s_or_b32 exec_lo, exec_lo, s16
.LBB347_895:                            ;   in Loop: Header=BB347_813 Depth=1
	s_delay_alu instid0(SALU_CYCLE_1)
	s_or_b32 exec_lo, exec_lo, s15
.LBB347_896:                            ;   in Loop: Header=BB347_813 Depth=1
	s_delay_alu instid0(SALU_CYCLE_1) | instskip(SKIP_3) | instid1(VALU_DEP_2)
	s_or_b32 exec_lo, exec_lo, s14
	v_dual_lshrrev_b32 v2, 16, v18 :: v_dual_mov_b32 v34, 0
	v_mov_b32_e32 v25, 0
	s_mov_b32 s14, exec_lo
	v_and_b32_e32 v3, 0xff, v2
	s_delay_alu instid0(VALU_DEP_1)
	v_cmpx_ne_u16_e32 0, v3
	s_cbranch_execz .LBB347_904
; %bb.897:                              ;   in Loop: Header=BB347_813 Depth=1
	v_bfrev_b32_e32 v25, 1
	s_mov_b32 s15, exec_lo
	v_cmpx_ne_u16_e32 0x80, v3
	s_cbranch_execz .LBB347_903
; %bb.898:                              ;   in Loop: Header=BB347_813 Depth=1
	v_bfe_u32 v4, v18, 16, 7
	v_mov_b32_e32 v25, 0x7f800001
	s_mov_b32 s16, exec_lo
	s_delay_alu instid0(VALU_DEP_2)
	v_cmpx_ne_u32_e32 0x7f, v4
	s_cbranch_execz .LBB347_902
; %bb.899:                              ;   in Loop: Header=BB347_813 Depth=1
	v_dual_lshrrev_b32 v3, 3, v4 :: v_dual_bitop2_b32 v26, 7, v2 bitop3:0x40
	s_mov_b32 s17, exec_lo
	v_cmpx_gt_u32_e32 8, v4
; %bb.900:                              ;   in Loop: Header=BB347_813 Depth=1
	s_delay_alu instid0(VALU_DEP_2) | instskip(NEXT) | instid1(VALU_DEP_1)
	v_clz_i32_u32_e32 v3, v26
	v_min_u32_e32 v3, 32, v3
	s_delay_alu instid0(VALU_DEP_1) | instskip(NEXT) | instid1(VALU_DEP_1)
	v_subrev_nc_u32_e32 v4, 28, v3
	v_lshlrev_b64_e32 v[4:5], v4, v[26:27]
	s_delay_alu instid0(VALU_DEP_1)
	v_dual_sub_nc_u32 v3, 29, v3 :: v_dual_bitop2_b32 v26, 7, v4 bitop3:0x40
; %bb.901:                              ;   in Loop: Header=BB347_813 Depth=1
	s_or_b32 exec_lo, exec_lo, s17
	v_lshlrev_b32_e32 v2, 24, v2
	s_delay_alu instid0(VALU_DEP_2) | instskip(NEXT) | instid1(VALU_DEP_3)
	v_lshlrev_b32_e32 v4, 20, v26
	v_lshl_add_u32 v3, v3, 23, 0x3c000000
	s_delay_alu instid0(VALU_DEP_3) | instskip(NEXT) | instid1(VALU_DEP_1)
	v_and_b32_e32 v2, 0x80000000, v2
	v_or3_b32 v25, v4, v2, v3
.LBB347_902:                            ;   in Loop: Header=BB347_813 Depth=1
	s_or_b32 exec_lo, exec_lo, s16
.LBB347_903:                            ;   in Loop: Header=BB347_813 Depth=1
	s_delay_alu instid0(SALU_CYCLE_1)
	s_or_b32 exec_lo, exec_lo, s15
.LBB347_904:                            ;   in Loop: Header=BB347_813 Depth=1
	s_delay_alu instid0(SALU_CYCLE_1) | instskip(NEXT) | instid1(SALU_CYCLE_1)
	s_or_b32 exec_lo, exec_lo, s14
	s_mov_b32 s14, exec_lo
	v_cmpx_lt_u32_e32 0xffffff, v18
	s_cbranch_execz .LBB347_912
; %bb.905:                              ;   in Loop: Header=BB347_813 Depth=1
	v_lshrrev_b32_e32 v2, 24, v18
	v_bfrev_b32_e32 v34, 1
	s_mov_b32 s15, exec_lo
	s_delay_alu instid0(VALU_DEP_2)
	v_cmpx_ne_u32_e32 0x80, v2
	s_cbranch_execz .LBB347_911
; %bb.906:                              ;   in Loop: Header=BB347_813 Depth=1
	v_bfe_u32 v4, v18, 24, 7
	v_mov_b32_e32 v34, 0x7f800001
	s_mov_b32 s16, exec_lo
	s_delay_alu instid0(VALU_DEP_2)
	v_cmpx_ne_u32_e32 0x7f, v4
	s_cbranch_execz .LBB347_910
; %bb.907:                              ;   in Loop: Header=BB347_813 Depth=1
	v_dual_lshrrev_b32 v3, 3, v4 :: v_dual_bitop2_b32 v26, 7, v2 bitop3:0x40
	s_mov_b32 s17, exec_lo
	v_cmpx_gt_u32_e32 8, v4
; %bb.908:                              ;   in Loop: Header=BB347_813 Depth=1
	s_delay_alu instid0(VALU_DEP_2) | instskip(NEXT) | instid1(VALU_DEP_1)
	v_clz_i32_u32_e32 v3, v26
	v_min_u32_e32 v3, 32, v3
	s_delay_alu instid0(VALU_DEP_1) | instskip(NEXT) | instid1(VALU_DEP_1)
	v_subrev_nc_u32_e32 v4, 28, v3
	v_lshlrev_b64_e32 v[4:5], v4, v[26:27]
	s_delay_alu instid0(VALU_DEP_1)
	v_dual_sub_nc_u32 v3, 29, v3 :: v_dual_bitop2_b32 v26, 7, v4 bitop3:0x40
; %bb.909:                              ;   in Loop: Header=BB347_813 Depth=1
	s_or_b32 exec_lo, exec_lo, s17
	v_lshlrev_b32_e32 v2, 24, v2
	s_delay_alu instid0(VALU_DEP_2) | instskip(NEXT) | instid1(VALU_DEP_3)
	v_lshlrev_b32_e32 v4, 20, v26
	v_lshl_add_u32 v3, v3, 23, 0x3c000000
	s_delay_alu instid0(VALU_DEP_3) | instskip(NEXT) | instid1(VALU_DEP_1)
	v_and_b32_e32 v2, 0x80000000, v2
	v_or3_b32 v34, v4, v2, v3
.LBB347_910:                            ;   in Loop: Header=BB347_813 Depth=1
	s_or_b32 exec_lo, exec_lo, s16
.LBB347_911:                            ;   in Loop: Header=BB347_813 Depth=1
	s_delay_alu instid0(SALU_CYCLE_1)
	s_or_b32 exec_lo, exec_lo, s15
.LBB347_912:                            ;   in Loop: Header=BB347_813 Depth=1
	s_delay_alu instid0(SALU_CYCLE_1) | instskip(SKIP_4) | instid1(VALU_DEP_3)
	s_or_b32 exec_lo, exec_lo, s14
	v_and_b32_e32 v3, 0xff, v19
	v_dual_mov_b32 v26, v19 :: v_dual_mov_b32 v2, 0
	v_mov_b32_e32 v35, 0
	s_mov_b32 s14, exec_lo
	v_cmpx_ne_u16_e32 0, v3
	s_cbranch_execz .LBB347_920
; %bb.913:                              ;   in Loop: Header=BB347_813 Depth=1
	v_bfrev_b32_e32 v35, 1
	s_mov_b32 s15, exec_lo
	v_cmpx_ne_u16_e32 0x80, v3
	s_cbranch_execz .LBB347_919
; %bb.914:                              ;   in Loop: Header=BB347_813 Depth=1
	v_and_b32_e32 v4, 0x7f, v19
	v_mov_b32_e32 v35, 0x7f800001
	s_mov_b32 s16, exec_lo
	s_delay_alu instid0(VALU_DEP_2)
	v_cmpx_ne_u32_e32 0x7f, v4
	s_cbranch_execz .LBB347_918
; %bb.915:                              ;   in Loop: Header=BB347_813 Depth=1
	v_mov_b64_e32 v[22:23], v[26:27]
	v_lshrrev_b32_e32 v3, 3, v4
	s_mov_b32 s17, exec_lo
	v_cmpx_gt_u32_e32 8, v4
; %bb.916:                              ;   in Loop: Header=BB347_813 Depth=1
	v_and_b32_e32 v3, 7, v19
	s_delay_alu instid0(VALU_DEP_1) | instskip(NEXT) | instid1(VALU_DEP_1)
	v_clz_i32_u32_e32 v3, v3
	v_min_u32_e32 v3, 32, v3
	s_delay_alu instid0(VALU_DEP_1) | instskip(SKIP_1) | instid1(VALU_DEP_2)
	v_subrev_nc_u32_e32 v4, 28, v3
	v_sub_nc_u32_e32 v3, 29, v3
	v_lshlrev_b64_e32 v[22:23], v4, v[26:27]
; %bb.917:                              ;   in Loop: Header=BB347_813 Depth=1
	s_or_b32 exec_lo, exec_lo, s17
	s_delay_alu instid0(VALU_DEP_1) | instskip(SKIP_2) | instid1(VALU_DEP_3)
	v_lshlrev_b32_e32 v4, 20, v22
	v_lshlrev_b32_e32 v5, 24, v26
	v_lshl_add_u32 v3, v3, 23, 0x3c000000
	v_and_b32_e32 v4, 0x700000, v4
	s_delay_alu instid0(VALU_DEP_3) | instskip(NEXT) | instid1(VALU_DEP_1)
	v_and_b32_e32 v5, 0x80000000, v5
	v_or3_b32 v35, v4, v5, v3
.LBB347_918:                            ;   in Loop: Header=BB347_813 Depth=1
	s_or_b32 exec_lo, exec_lo, s16
.LBB347_919:                            ;   in Loop: Header=BB347_813 Depth=1
	s_delay_alu instid0(SALU_CYCLE_1)
	s_or_b32 exec_lo, exec_lo, s15
.LBB347_920:                            ;   in Loop: Header=BB347_813 Depth=1
	s_delay_alu instid0(SALU_CYCLE_1) | instskip(SKIP_2) | instid1(VALU_DEP_1)
	s_or_b32 exec_lo, exec_lo, s14
	v_lshrrev_b16 v3, 8, v26
	s_mov_b32 s14, exec_lo
	v_cmpx_ne_u16_e32 0, v3
	s_cbranch_execz .LBB347_928
; %bb.921:                              ;   in Loop: Header=BB347_813 Depth=1
	v_bfrev_b32_e32 v2, 1
	s_mov_b32 s15, exec_lo
	v_cmpx_ne_u16_e32 0x80, v3
	s_cbranch_execz .LBB347_927
; %bb.922:                              ;   in Loop: Header=BB347_813 Depth=1
	v_and_b32_e32 v4, 0xffff, v3
	v_mov_b32_e32 v2, 0x7f800001
	s_mov_b32 s16, exec_lo
	s_delay_alu instid0(VALU_DEP_2) | instskip(NEXT) | instid1(VALU_DEP_1)
	v_and_b32_e32 v3, 0x7f, v4
	v_cmpx_ne_u32_e32 0x7f, v3
	s_cbranch_execz .LBB347_926
; %bb.923:                              ;   in Loop: Header=BB347_813 Depth=1
	v_dual_mov_b32 v23, v27 :: v_dual_bitop2_b32 v22, 7, v4 bitop3:0x40
	v_lshrrev_b32_e32 v2, 3, v3
	s_mov_b32 s17, exec_lo
	v_cmpx_gt_u32_e32 8, v3
; %bb.924:                              ;   in Loop: Header=BB347_813 Depth=1
	s_delay_alu instid0(VALU_DEP_3) | instskip(NEXT) | instid1(VALU_DEP_1)
	v_clz_i32_u32_e32 v2, v22
	v_min_u32_e32 v2, 32, v2
	s_delay_alu instid0(VALU_DEP_1) | instskip(NEXT) | instid1(VALU_DEP_1)
	v_subrev_nc_u32_e32 v3, 28, v2
	v_lshlrev_b64_e32 v[4:5], v3, v[22:23]
	s_delay_alu instid0(VALU_DEP_1)
	v_dual_sub_nc_u32 v2, 29, v2 :: v_dual_bitop2_b32 v22, 7, v4 bitop3:0x40
; %bb.925:                              ;   in Loop: Header=BB347_813 Depth=1
	s_or_b32 exec_lo, exec_lo, s17
	v_lshlrev_b32_e32 v3, 16, v26
	s_delay_alu instid0(VALU_DEP_2) | instskip(NEXT) | instid1(VALU_DEP_3)
	v_lshlrev_b32_e32 v4, 20, v22
	v_lshl_add_u32 v2, v2, 23, 0x3c000000
	s_delay_alu instid0(VALU_DEP_3) | instskip(NEXT) | instid1(VALU_DEP_1)
	v_and_b32_e32 v3, 0x80000000, v3
	v_or3_b32 v2, v4, v3, v2
.LBB347_926:                            ;   in Loop: Header=BB347_813 Depth=1
	s_or_b32 exec_lo, exec_lo, s16
.LBB347_927:                            ;   in Loop: Header=BB347_813 Depth=1
	s_delay_alu instid0(SALU_CYCLE_1)
	s_or_b32 exec_lo, exec_lo, s15
.LBB347_928:                            ;   in Loop: Header=BB347_813 Depth=1
	s_delay_alu instid0(SALU_CYCLE_1) | instskip(SKIP_3) | instid1(VALU_DEP_2)
	s_or_b32 exec_lo, exec_lo, s14
	v_dual_lshrrev_b32 v5, 16, v19 :: v_dual_mov_b32 v3, 0
	v_mov_b32_e32 v4, 0
	s_mov_b32 s14, exec_lo
	v_and_b32_e32 v22, 0xff, v5
	s_delay_alu instid0(VALU_DEP_1)
	v_cmpx_ne_u16_e32 0, v22
	s_cbranch_execz .LBB347_936
; %bb.929:                              ;   in Loop: Header=BB347_813 Depth=1
	v_bfrev_b32_e32 v4, 1
	s_mov_b32 s15, exec_lo
	v_cmpx_ne_u16_e32 0x80, v22
	s_cbranch_execz .LBB347_935
; %bb.930:                              ;   in Loop: Header=BB347_813 Depth=1
	v_bfe_u32 v22, v19, 16, 7
	v_mov_b32_e32 v4, 0x7f800001
	s_mov_b32 s16, exec_lo
	s_delay_alu instid0(VALU_DEP_2)
	v_cmpx_ne_u32_e32 0x7f, v22
	s_cbranch_execz .LBB347_934
; %bb.931:                              ;   in Loop: Header=BB347_813 Depth=1
	v_dual_lshrrev_b32 v4, 3, v22 :: v_dual_bitop2_b32 v26, 7, v5 bitop3:0x40
	s_mov_b32 s17, exec_lo
	v_cmpx_gt_u32_e32 8, v22
; %bb.932:                              ;   in Loop: Header=BB347_813 Depth=1
	s_delay_alu instid0(VALU_DEP_2) | instskip(NEXT) | instid1(VALU_DEP_1)
	v_clz_i32_u32_e32 v4, v26
	v_min_u32_e32 v4, 32, v4
	s_delay_alu instid0(VALU_DEP_1) | instskip(NEXT) | instid1(VALU_DEP_1)
	v_subrev_nc_u32_e32 v6, 28, v4
	v_lshlrev_b64_e32 v[22:23], v6, v[26:27]
	s_delay_alu instid0(VALU_DEP_1)
	v_dual_sub_nc_u32 v4, 29, v4 :: v_dual_bitop2_b32 v26, 7, v22 bitop3:0x40
; %bb.933:                              ;   in Loop: Header=BB347_813 Depth=1
	s_or_b32 exec_lo, exec_lo, s17
	s_delay_alu instid0(VALU_DEP_1) | instskip(NEXT) | instid1(VALU_DEP_2)
	v_dual_lshlrev_b32 v5, 24, v5 :: v_dual_lshlrev_b32 v6, 20, v26
	v_lshl_add_u32 v4, v4, 23, 0x3c000000
	s_delay_alu instid0(VALU_DEP_2) | instskip(NEXT) | instid1(VALU_DEP_1)
	v_and_b32_e32 v5, 0x80000000, v5
	v_or3_b32 v4, v6, v5, v4
.LBB347_934:                            ;   in Loop: Header=BB347_813 Depth=1
	s_or_b32 exec_lo, exec_lo, s16
.LBB347_935:                            ;   in Loop: Header=BB347_813 Depth=1
	s_delay_alu instid0(SALU_CYCLE_1)
	s_or_b32 exec_lo, exec_lo, s15
.LBB347_936:                            ;   in Loop: Header=BB347_813 Depth=1
	s_delay_alu instid0(SALU_CYCLE_1) | instskip(NEXT) | instid1(SALU_CYCLE_1)
	s_or_b32 exec_lo, exec_lo, s14
	s_mov_b32 s14, exec_lo
	v_cmpx_lt_u64_e64 s[2:3], v[18:19]
	s_cbranch_execz .LBB347_944
; %bb.937:                              ;   in Loop: Header=BB347_813 Depth=1
	v_lshrrev_b32_e32 v5, 24, v19
	v_bfrev_b32_e32 v3, 1
	s_mov_b32 s15, exec_lo
	s_delay_alu instid0(VALU_DEP_2)
	v_cmpx_ne_u32_e32 0x80, v5
	s_cbranch_execz .LBB347_943
; %bb.938:                              ;   in Loop: Header=BB347_813 Depth=1
	v_bfe_u32 v18, v19, 24, 7
	v_mov_b32_e32 v3, 0x7f800001
	s_mov_b32 s16, exec_lo
	s_delay_alu instid0(VALU_DEP_2)
	v_cmpx_ne_u32_e32 0x7f, v18
	s_cbranch_execz .LBB347_942
; %bb.939:                              ;   in Loop: Header=BB347_813 Depth=1
	v_dual_lshrrev_b32 v3, 3, v18 :: v_dual_bitop2_b32 v26, 7, v5 bitop3:0x40
	s_mov_b32 s17, exec_lo
	v_cmpx_gt_u32_e32 8, v18
; %bb.940:                              ;   in Loop: Header=BB347_813 Depth=1
	s_delay_alu instid0(VALU_DEP_2) | instskip(NEXT) | instid1(VALU_DEP_1)
	v_clz_i32_u32_e32 v3, v26
	v_min_u32_e32 v3, 32, v3
	s_delay_alu instid0(VALU_DEP_1) | instskip(NEXT) | instid1(VALU_DEP_1)
	v_subrev_nc_u32_e32 v6, 28, v3
	v_lshlrev_b64_e32 v[18:19], v6, v[26:27]
	s_delay_alu instid0(VALU_DEP_1)
	v_dual_sub_nc_u32 v3, 29, v3 :: v_dual_bitop2_b32 v26, 7, v18 bitop3:0x40
; %bb.941:                              ;   in Loop: Header=BB347_813 Depth=1
	s_or_b32 exec_lo, exec_lo, s17
	s_delay_alu instid0(VALU_DEP_1) | instskip(NEXT) | instid1(VALU_DEP_2)
	v_dual_lshlrev_b32 v5, 24, v5 :: v_dual_lshlrev_b32 v6, 20, v26
	v_lshl_add_u32 v3, v3, 23, 0x3c000000
	s_delay_alu instid0(VALU_DEP_2) | instskip(NEXT) | instid1(VALU_DEP_1)
	v_and_b32_e32 v5, 0x80000000, v5
	v_or3_b32 v3, v6, v5, v3
.LBB347_942:                            ;   in Loop: Header=BB347_813 Depth=1
	s_or_b32 exec_lo, exec_lo, s16
.LBB347_943:                            ;   in Loop: Header=BB347_813 Depth=1
	s_delay_alu instid0(SALU_CYCLE_1)
	s_or_b32 exec_lo, exec_lo, s15
.LBB347_944:                            ;   in Loop: Header=BB347_813 Depth=1
	s_delay_alu instid0(SALU_CYCLE_1)
	s_or_b32 exec_lo, exec_lo, s14
	v_fma_mixlo_bf16 v2, v68, v2, 0
	v_fma_mixlo_bf16 v81, v68, v34, 0
	;; [unrolled: 1-line block ×5, first 2 shown]
	scratch_store_b32 off, v2, s32 offset:252 ; 4-byte Folded Spill
	s_wait_xcnt 0x0
	v_fma_mixlo_bf16 v2, v68, v35, 0
	v_fma_mixlo_bf16 v71, v68, v4, 0
	;; [unrolled: 1-line block ×3, first 2 shown]
	scratch_store_b32 off, v2, s32 offset:260 ; 4-byte Folded Spill
	s_wait_xcnt 0x0
	s_and_saveexec_b32 s14, vcc_lo
	s_cbranch_execz .LBB347_946
; %bb.945:                              ;   in Loop: Header=BB347_813 Depth=1
	scratch_load_b32 v2, off, s32 offset:260 ; 4-byte Folded Reload
	v_cmp_lt_i32_e64 s0, v96, v60
	s_delay_alu instid0(VALU_DEP_1) | instskip(SKIP_1) | instid1(VALU_DEP_1)
	v_cndmask_b32_e64 v84, 0, v84, s0
	v_cmp_lt_i32_e64 s0, v100, v60
	v_cndmask_b32_e64 v83, 0, v83, s0
	v_cmp_lt_i32_e64 s0, v99, v60
	s_delay_alu instid0(VALU_DEP_1) | instskip(SKIP_1) | instid1(VALU_DEP_1)
	v_cndmask_b32_e64 v82, 0, v82, s0
	v_cmp_lt_i32_e64 s0, v98, v60
	v_cndmask_b32_e64 v81, 0, v81, s0
	v_cmp_lt_i32_e64 s0, v97, v60
	s_wait_loadcnt 0x0
	s_delay_alu instid0(VALU_DEP_1)
	v_cndmask_b32_e64 v2, 0, v2, s0
	v_cmp_lt_i32_e64 s0, v87, v60
	s_clause 0x1
	scratch_store_b32 off, v2, s32 offset:260
	scratch_load_b32 v2, off, s32 offset:252
	s_wait_loadcnt 0x0
	v_cndmask_b32_e64 v2, 0, v2, s0
	v_cmp_lt_i32_e64 s0, v86, v60
	s_delay_alu instid0(VALU_DEP_1) | instskip(SKIP_1) | instid1(VALU_DEP_1)
	v_cndmask_b32_e64 v71, 0, v71, s0
	v_cmp_lt_i32_e64 s0, v85, v60
	v_cndmask_b32_e64 v80, 0, v80, s0
	scratch_store_b32 off, v2, s32 offset:252 ; 4-byte Folded Spill
.LBB347_946:                            ;   in Loop: Header=BB347_813 Depth=1
	s_wait_xcnt 0x0
	s_or_b32 exec_lo, exec_lo, s14
	flat_load_b64 v[18:19], v[0:1] offset:512
	v_dual_mov_b32 v17, 0 :: v_dual_mov_b32 v16, 0
	s_mov_b32 s14, exec_lo
	s_wait_loadcnt_dscnt 0x0
	v_and_b32_e32 v2, 0xff, v18
	s_wait_xcnt 0x0
	s_delay_alu instid0(VALU_DEP_1)
	v_cmpx_ne_u16_e32 0, v2
	s_cbranch_execz .LBB347_954
; %bb.947:                              ;   in Loop: Header=BB347_813 Depth=1
	v_bfrev_b32_e32 v16, 1
	s_mov_b32 s15, exec_lo
	v_cmpx_ne_u16_e32 0x80, v2
	s_cbranch_execz .LBB347_953
; %bb.948:                              ;   in Loop: Header=BB347_813 Depth=1
	v_and_b32_e32 v3, 0x7f, v18
	v_mov_b32_e32 v16, 0x7f800001
	s_mov_b32 s16, exec_lo
	s_delay_alu instid0(VALU_DEP_2)
	v_cmpx_ne_u32_e32 0x7f, v3
	s_cbranch_execz .LBB347_952
; %bb.949:                              ;   in Loop: Header=BB347_813 Depth=1
	v_mov_b64_e32 v[22:23], v[18:19]
	v_lshrrev_b32_e32 v2, 3, v3
	s_mov_b32 s17, exec_lo
	v_cmpx_gt_u32_e32 8, v3
; %bb.950:                              ;   in Loop: Header=BB347_813 Depth=1
	v_and_b32_e32 v2, 7, v18
	s_delay_alu instid0(VALU_DEP_1) | instskip(NEXT) | instid1(VALU_DEP_1)
	v_clz_i32_u32_e32 v2, v2
	v_min_u32_e32 v2, 32, v2
	s_delay_alu instid0(VALU_DEP_1) | instskip(SKIP_1) | instid1(VALU_DEP_2)
	v_subrev_nc_u32_e32 v3, 28, v2
	v_sub_nc_u32_e32 v2, 29, v2
	v_lshlrev_b64_e32 v[22:23], v3, v[18:19]
; %bb.951:                              ;   in Loop: Header=BB347_813 Depth=1
	s_or_b32 exec_lo, exec_lo, s17
	s_delay_alu instid0(VALU_DEP_1) | instskip(SKIP_2) | instid1(VALU_DEP_3)
	v_lshlrev_b32_e32 v3, 20, v22
	v_lshlrev_b32_e32 v4, 24, v18
	v_lshl_add_u32 v2, v2, 23, 0x3c000000
	v_and_b32_e32 v3, 0x700000, v3
	s_delay_alu instid0(VALU_DEP_3) | instskip(NEXT) | instid1(VALU_DEP_1)
	v_and_b32_e32 v4, 0x80000000, v4
	v_or3_b32 v16, v3, v4, v2
.LBB347_952:                            ;   in Loop: Header=BB347_813 Depth=1
	s_or_b32 exec_lo, exec_lo, s16
.LBB347_953:                            ;   in Loop: Header=BB347_813 Depth=1
	s_delay_alu instid0(SALU_CYCLE_1)
	s_or_b32 exec_lo, exec_lo, s15
.LBB347_954:                            ;   in Loop: Header=BB347_813 Depth=1
	s_delay_alu instid0(SALU_CYCLE_1) | instskip(SKIP_2) | instid1(VALU_DEP_1)
	s_or_b32 exec_lo, exec_lo, s14
	v_lshrrev_b16 v2, 8, v18
	s_mov_b32 s14, exec_lo
	v_cmpx_ne_u16_e32 0, v2
	s_cbranch_execz .LBB347_962
; %bb.955:                              ;   in Loop: Header=BB347_813 Depth=1
	v_bfrev_b32_e32 v17, 1
	s_mov_b32 s15, exec_lo
	v_cmpx_ne_u16_e32 0x80, v2
	s_cbranch_execz .LBB347_961
; %bb.956:                              ;   in Loop: Header=BB347_813 Depth=1
	v_and_b32_e32 v2, 0xffff, v2
	v_mov_b32_e32 v17, 0x7f800001
	s_mov_b32 s16, exec_lo
	s_delay_alu instid0(VALU_DEP_2) | instskip(NEXT) | instid1(VALU_DEP_1)
	v_and_b32_e32 v3, 0x7f, v2
	v_cmpx_ne_u32_e32 0x7f, v3
	s_cbranch_execz .LBB347_960
; %bb.957:                              ;   in Loop: Header=BB347_813 Depth=1
	v_dual_lshrrev_b32 v2, 3, v3 :: v_dual_bitop2_b32 v26, 7, v2 bitop3:0x40
	s_mov_b32 s17, exec_lo
	v_cmpx_gt_u32_e32 8, v3
; %bb.958:                              ;   in Loop: Header=BB347_813 Depth=1
	s_delay_alu instid0(VALU_DEP_2) | instskip(NEXT) | instid1(VALU_DEP_1)
	v_clz_i32_u32_e32 v2, v26
	v_min_u32_e32 v2, 32, v2
	s_delay_alu instid0(VALU_DEP_1) | instskip(NEXT) | instid1(VALU_DEP_1)
	v_subrev_nc_u32_e32 v3, 28, v2
	v_lshlrev_b64_e32 v[4:5], v3, v[26:27]
	s_delay_alu instid0(VALU_DEP_1)
	v_dual_sub_nc_u32 v2, 29, v2 :: v_dual_bitop2_b32 v26, 7, v4 bitop3:0x40
; %bb.959:                              ;   in Loop: Header=BB347_813 Depth=1
	s_or_b32 exec_lo, exec_lo, s17
	v_lshlrev_b32_e32 v3, 16, v18
	s_delay_alu instid0(VALU_DEP_2) | instskip(NEXT) | instid1(VALU_DEP_3)
	v_lshlrev_b32_e32 v4, 20, v26
	v_lshl_add_u32 v2, v2, 23, 0x3c000000
	s_delay_alu instid0(VALU_DEP_3) | instskip(NEXT) | instid1(VALU_DEP_1)
	v_and_b32_e32 v3, 0x80000000, v3
	v_or3_b32 v17, v4, v3, v2
.LBB347_960:                            ;   in Loop: Header=BB347_813 Depth=1
	s_or_b32 exec_lo, exec_lo, s16
.LBB347_961:                            ;   in Loop: Header=BB347_813 Depth=1
	s_delay_alu instid0(SALU_CYCLE_1)
	s_or_b32 exec_lo, exec_lo, s15
.LBB347_962:                            ;   in Loop: Header=BB347_813 Depth=1
	s_delay_alu instid0(SALU_CYCLE_1) | instskip(SKIP_3) | instid1(VALU_DEP_2)
	s_or_b32 exec_lo, exec_lo, s14
	v_dual_lshrrev_b32 v2, 16, v18 :: v_dual_mov_b32 v34, 0
	v_mov_b32_e32 v25, 0
	s_mov_b32 s14, exec_lo
	v_and_b32_e32 v3, 0xff, v2
	s_delay_alu instid0(VALU_DEP_1)
	v_cmpx_ne_u16_e32 0, v3
	s_cbranch_execz .LBB347_970
; %bb.963:                              ;   in Loop: Header=BB347_813 Depth=1
	v_bfrev_b32_e32 v25, 1
	s_mov_b32 s15, exec_lo
	v_cmpx_ne_u16_e32 0x80, v3
	s_cbranch_execz .LBB347_969
; %bb.964:                              ;   in Loop: Header=BB347_813 Depth=1
	v_bfe_u32 v4, v18, 16, 7
	v_mov_b32_e32 v25, 0x7f800001
	s_mov_b32 s16, exec_lo
	s_delay_alu instid0(VALU_DEP_2)
	v_cmpx_ne_u32_e32 0x7f, v4
	s_cbranch_execz .LBB347_968
; %bb.965:                              ;   in Loop: Header=BB347_813 Depth=1
	v_dual_lshrrev_b32 v3, 3, v4 :: v_dual_bitop2_b32 v26, 7, v2 bitop3:0x40
	s_mov_b32 s17, exec_lo
	v_cmpx_gt_u32_e32 8, v4
; %bb.966:                              ;   in Loop: Header=BB347_813 Depth=1
	s_delay_alu instid0(VALU_DEP_2) | instskip(NEXT) | instid1(VALU_DEP_1)
	v_clz_i32_u32_e32 v3, v26
	v_min_u32_e32 v3, 32, v3
	s_delay_alu instid0(VALU_DEP_1) | instskip(NEXT) | instid1(VALU_DEP_1)
	v_subrev_nc_u32_e32 v4, 28, v3
	v_lshlrev_b64_e32 v[4:5], v4, v[26:27]
	s_delay_alu instid0(VALU_DEP_1)
	v_dual_sub_nc_u32 v3, 29, v3 :: v_dual_bitop2_b32 v26, 7, v4 bitop3:0x40
; %bb.967:                              ;   in Loop: Header=BB347_813 Depth=1
	s_or_b32 exec_lo, exec_lo, s17
	v_lshlrev_b32_e32 v2, 24, v2
	s_delay_alu instid0(VALU_DEP_2) | instskip(NEXT) | instid1(VALU_DEP_3)
	v_lshlrev_b32_e32 v4, 20, v26
	v_lshl_add_u32 v3, v3, 23, 0x3c000000
	s_delay_alu instid0(VALU_DEP_3) | instskip(NEXT) | instid1(VALU_DEP_1)
	v_and_b32_e32 v2, 0x80000000, v2
	v_or3_b32 v25, v4, v2, v3
.LBB347_968:                            ;   in Loop: Header=BB347_813 Depth=1
	s_or_b32 exec_lo, exec_lo, s16
.LBB347_969:                            ;   in Loop: Header=BB347_813 Depth=1
	s_delay_alu instid0(SALU_CYCLE_1)
	s_or_b32 exec_lo, exec_lo, s15
.LBB347_970:                            ;   in Loop: Header=BB347_813 Depth=1
	s_delay_alu instid0(SALU_CYCLE_1) | instskip(NEXT) | instid1(SALU_CYCLE_1)
	s_or_b32 exec_lo, exec_lo, s14
	s_mov_b32 s14, exec_lo
	v_cmpx_lt_u32_e32 0xffffff, v18
	s_cbranch_execz .LBB347_978
; %bb.971:                              ;   in Loop: Header=BB347_813 Depth=1
	v_lshrrev_b32_e32 v2, 24, v18
	v_bfrev_b32_e32 v34, 1
	s_mov_b32 s15, exec_lo
	s_delay_alu instid0(VALU_DEP_2)
	v_cmpx_ne_u32_e32 0x80, v2
	s_cbranch_execz .LBB347_977
; %bb.972:                              ;   in Loop: Header=BB347_813 Depth=1
	v_bfe_u32 v4, v18, 24, 7
	v_mov_b32_e32 v34, 0x7f800001
	s_mov_b32 s16, exec_lo
	s_delay_alu instid0(VALU_DEP_2)
	v_cmpx_ne_u32_e32 0x7f, v4
	s_cbranch_execz .LBB347_976
; %bb.973:                              ;   in Loop: Header=BB347_813 Depth=1
	v_dual_lshrrev_b32 v3, 3, v4 :: v_dual_bitop2_b32 v26, 7, v2 bitop3:0x40
	s_mov_b32 s17, exec_lo
	v_cmpx_gt_u32_e32 8, v4
; %bb.974:                              ;   in Loop: Header=BB347_813 Depth=1
	s_delay_alu instid0(VALU_DEP_2) | instskip(NEXT) | instid1(VALU_DEP_1)
	v_clz_i32_u32_e32 v3, v26
	v_min_u32_e32 v3, 32, v3
	s_delay_alu instid0(VALU_DEP_1) | instskip(NEXT) | instid1(VALU_DEP_1)
	v_subrev_nc_u32_e32 v4, 28, v3
	v_lshlrev_b64_e32 v[4:5], v4, v[26:27]
	s_delay_alu instid0(VALU_DEP_1)
	v_dual_sub_nc_u32 v3, 29, v3 :: v_dual_bitop2_b32 v26, 7, v4 bitop3:0x40
; %bb.975:                              ;   in Loop: Header=BB347_813 Depth=1
	s_or_b32 exec_lo, exec_lo, s17
	v_lshlrev_b32_e32 v2, 24, v2
	s_delay_alu instid0(VALU_DEP_2) | instskip(NEXT) | instid1(VALU_DEP_3)
	v_lshlrev_b32_e32 v4, 20, v26
	v_lshl_add_u32 v3, v3, 23, 0x3c000000
	s_delay_alu instid0(VALU_DEP_3) | instskip(NEXT) | instid1(VALU_DEP_1)
	v_and_b32_e32 v2, 0x80000000, v2
	v_or3_b32 v34, v4, v2, v3
.LBB347_976:                            ;   in Loop: Header=BB347_813 Depth=1
	s_or_b32 exec_lo, exec_lo, s16
.LBB347_977:                            ;   in Loop: Header=BB347_813 Depth=1
	s_delay_alu instid0(SALU_CYCLE_1)
	s_or_b32 exec_lo, exec_lo, s15
.LBB347_978:                            ;   in Loop: Header=BB347_813 Depth=1
	s_delay_alu instid0(SALU_CYCLE_1) | instskip(SKIP_4) | instid1(VALU_DEP_3)
	s_or_b32 exec_lo, exec_lo, s14
	v_and_b32_e32 v3, 0xff, v19
	v_dual_mov_b32 v26, v19 :: v_dual_mov_b32 v2, 0
	v_mov_b32_e32 v35, 0
	s_mov_b32 s14, exec_lo
	v_cmpx_ne_u16_e32 0, v3
	s_cbranch_execz .LBB347_986
; %bb.979:                              ;   in Loop: Header=BB347_813 Depth=1
	v_bfrev_b32_e32 v35, 1
	s_mov_b32 s15, exec_lo
	v_cmpx_ne_u16_e32 0x80, v3
	s_cbranch_execz .LBB347_985
; %bb.980:                              ;   in Loop: Header=BB347_813 Depth=1
	v_and_b32_e32 v4, 0x7f, v19
	v_mov_b32_e32 v35, 0x7f800001
	s_mov_b32 s16, exec_lo
	s_delay_alu instid0(VALU_DEP_2)
	v_cmpx_ne_u32_e32 0x7f, v4
	s_cbranch_execz .LBB347_984
; %bb.981:                              ;   in Loop: Header=BB347_813 Depth=1
	v_mov_b64_e32 v[22:23], v[26:27]
	v_lshrrev_b32_e32 v3, 3, v4
	s_mov_b32 s17, exec_lo
	v_cmpx_gt_u32_e32 8, v4
; %bb.982:                              ;   in Loop: Header=BB347_813 Depth=1
	v_and_b32_e32 v3, 7, v19
	s_delay_alu instid0(VALU_DEP_1) | instskip(NEXT) | instid1(VALU_DEP_1)
	v_clz_i32_u32_e32 v3, v3
	v_min_u32_e32 v3, 32, v3
	s_delay_alu instid0(VALU_DEP_1) | instskip(SKIP_1) | instid1(VALU_DEP_2)
	v_subrev_nc_u32_e32 v4, 28, v3
	v_sub_nc_u32_e32 v3, 29, v3
	v_lshlrev_b64_e32 v[22:23], v4, v[26:27]
; %bb.983:                              ;   in Loop: Header=BB347_813 Depth=1
	s_or_b32 exec_lo, exec_lo, s17
	s_delay_alu instid0(VALU_DEP_1) | instskip(SKIP_2) | instid1(VALU_DEP_3)
	v_lshlrev_b32_e32 v4, 20, v22
	v_lshlrev_b32_e32 v5, 24, v26
	v_lshl_add_u32 v3, v3, 23, 0x3c000000
	v_and_b32_e32 v4, 0x700000, v4
	s_delay_alu instid0(VALU_DEP_3) | instskip(NEXT) | instid1(VALU_DEP_1)
	v_and_b32_e32 v5, 0x80000000, v5
	v_or3_b32 v35, v4, v5, v3
.LBB347_984:                            ;   in Loop: Header=BB347_813 Depth=1
	s_or_b32 exec_lo, exec_lo, s16
.LBB347_985:                            ;   in Loop: Header=BB347_813 Depth=1
	s_delay_alu instid0(SALU_CYCLE_1)
	s_or_b32 exec_lo, exec_lo, s15
.LBB347_986:                            ;   in Loop: Header=BB347_813 Depth=1
	s_delay_alu instid0(SALU_CYCLE_1) | instskip(SKIP_2) | instid1(VALU_DEP_1)
	s_or_b32 exec_lo, exec_lo, s14
	v_lshrrev_b16 v3, 8, v26
	s_mov_b32 s14, exec_lo
	v_cmpx_ne_u16_e32 0, v3
	s_cbranch_execz .LBB347_994
; %bb.987:                              ;   in Loop: Header=BB347_813 Depth=1
	v_bfrev_b32_e32 v2, 1
	s_mov_b32 s15, exec_lo
	v_cmpx_ne_u16_e32 0x80, v3
	s_cbranch_execz .LBB347_993
; %bb.988:                              ;   in Loop: Header=BB347_813 Depth=1
	v_and_b32_e32 v4, 0xffff, v3
	v_mov_b32_e32 v2, 0x7f800001
	s_mov_b32 s16, exec_lo
	s_delay_alu instid0(VALU_DEP_2) | instskip(NEXT) | instid1(VALU_DEP_1)
	v_and_b32_e32 v3, 0x7f, v4
	v_cmpx_ne_u32_e32 0x7f, v3
	s_cbranch_execz .LBB347_992
; %bb.989:                              ;   in Loop: Header=BB347_813 Depth=1
	v_dual_mov_b32 v23, v27 :: v_dual_bitop2_b32 v22, 7, v4 bitop3:0x40
	v_lshrrev_b32_e32 v2, 3, v3
	s_mov_b32 s17, exec_lo
	v_cmpx_gt_u32_e32 8, v3
; %bb.990:                              ;   in Loop: Header=BB347_813 Depth=1
	s_delay_alu instid0(VALU_DEP_3) | instskip(NEXT) | instid1(VALU_DEP_1)
	v_clz_i32_u32_e32 v2, v22
	v_min_u32_e32 v2, 32, v2
	s_delay_alu instid0(VALU_DEP_1) | instskip(NEXT) | instid1(VALU_DEP_1)
	v_subrev_nc_u32_e32 v3, 28, v2
	v_lshlrev_b64_e32 v[4:5], v3, v[22:23]
	s_delay_alu instid0(VALU_DEP_1)
	v_dual_sub_nc_u32 v2, 29, v2 :: v_dual_bitop2_b32 v22, 7, v4 bitop3:0x40
; %bb.991:                              ;   in Loop: Header=BB347_813 Depth=1
	s_or_b32 exec_lo, exec_lo, s17
	v_lshlrev_b32_e32 v3, 16, v26
	s_delay_alu instid0(VALU_DEP_2) | instskip(NEXT) | instid1(VALU_DEP_3)
	v_lshlrev_b32_e32 v4, 20, v22
	v_lshl_add_u32 v2, v2, 23, 0x3c000000
	s_delay_alu instid0(VALU_DEP_3) | instskip(NEXT) | instid1(VALU_DEP_1)
	v_and_b32_e32 v3, 0x80000000, v3
	v_or3_b32 v2, v4, v3, v2
.LBB347_992:                            ;   in Loop: Header=BB347_813 Depth=1
	s_or_b32 exec_lo, exec_lo, s16
.LBB347_993:                            ;   in Loop: Header=BB347_813 Depth=1
	s_delay_alu instid0(SALU_CYCLE_1)
	s_or_b32 exec_lo, exec_lo, s15
.LBB347_994:                            ;   in Loop: Header=BB347_813 Depth=1
	s_delay_alu instid0(SALU_CYCLE_1) | instskip(SKIP_3) | instid1(VALU_DEP_2)
	s_or_b32 exec_lo, exec_lo, s14
	v_dual_lshrrev_b32 v5, 16, v19 :: v_dual_mov_b32 v3, 0
	v_mov_b32_e32 v4, 0
	s_mov_b32 s14, exec_lo
	v_and_b32_e32 v22, 0xff, v5
	s_delay_alu instid0(VALU_DEP_1)
	v_cmpx_ne_u16_e32 0, v22
	s_cbranch_execz .LBB347_1002
; %bb.995:                              ;   in Loop: Header=BB347_813 Depth=1
	v_bfrev_b32_e32 v4, 1
	s_mov_b32 s15, exec_lo
	v_cmpx_ne_u16_e32 0x80, v22
	s_cbranch_execz .LBB347_1001
; %bb.996:                              ;   in Loop: Header=BB347_813 Depth=1
	v_bfe_u32 v22, v19, 16, 7
	v_mov_b32_e32 v4, 0x7f800001
	s_mov_b32 s16, exec_lo
	s_delay_alu instid0(VALU_DEP_2)
	v_cmpx_ne_u32_e32 0x7f, v22
	s_cbranch_execz .LBB347_1000
; %bb.997:                              ;   in Loop: Header=BB347_813 Depth=1
	v_dual_lshrrev_b32 v4, 3, v22 :: v_dual_bitop2_b32 v26, 7, v5 bitop3:0x40
	s_mov_b32 s17, exec_lo
	v_cmpx_gt_u32_e32 8, v22
; %bb.998:                              ;   in Loop: Header=BB347_813 Depth=1
	s_delay_alu instid0(VALU_DEP_2) | instskip(NEXT) | instid1(VALU_DEP_1)
	v_clz_i32_u32_e32 v4, v26
	v_min_u32_e32 v4, 32, v4
	s_delay_alu instid0(VALU_DEP_1) | instskip(NEXT) | instid1(VALU_DEP_1)
	v_subrev_nc_u32_e32 v6, 28, v4
	v_lshlrev_b64_e32 v[22:23], v6, v[26:27]
	s_delay_alu instid0(VALU_DEP_1)
	v_dual_sub_nc_u32 v4, 29, v4 :: v_dual_bitop2_b32 v26, 7, v22 bitop3:0x40
; %bb.999:                              ;   in Loop: Header=BB347_813 Depth=1
	s_or_b32 exec_lo, exec_lo, s17
	s_delay_alu instid0(VALU_DEP_1) | instskip(NEXT) | instid1(VALU_DEP_2)
	v_dual_lshlrev_b32 v5, 24, v5 :: v_dual_lshlrev_b32 v6, 20, v26
	v_lshl_add_u32 v4, v4, 23, 0x3c000000
	s_delay_alu instid0(VALU_DEP_2) | instskip(NEXT) | instid1(VALU_DEP_1)
	v_and_b32_e32 v5, 0x80000000, v5
	v_or3_b32 v4, v6, v5, v4
.LBB347_1000:                           ;   in Loop: Header=BB347_813 Depth=1
	s_or_b32 exec_lo, exec_lo, s16
.LBB347_1001:                           ;   in Loop: Header=BB347_813 Depth=1
	s_delay_alu instid0(SALU_CYCLE_1)
	s_or_b32 exec_lo, exec_lo, s15
.LBB347_1002:                           ;   in Loop: Header=BB347_813 Depth=1
	s_delay_alu instid0(SALU_CYCLE_1) | instskip(NEXT) | instid1(SALU_CYCLE_1)
	s_or_b32 exec_lo, exec_lo, s14
	s_mov_b32 s14, exec_lo
	v_cmpx_lt_u64_e64 s[2:3], v[18:19]
	s_cbranch_execz .LBB347_1010
; %bb.1003:                             ;   in Loop: Header=BB347_813 Depth=1
	v_lshrrev_b32_e32 v5, 24, v19
	v_bfrev_b32_e32 v3, 1
	s_mov_b32 s15, exec_lo
	s_delay_alu instid0(VALU_DEP_2)
	v_cmpx_ne_u32_e32 0x80, v5
	s_cbranch_execz .LBB347_1009
; %bb.1004:                             ;   in Loop: Header=BB347_813 Depth=1
	v_bfe_u32 v18, v19, 24, 7
	v_mov_b32_e32 v3, 0x7f800001
	s_mov_b32 s16, exec_lo
	s_delay_alu instid0(VALU_DEP_2)
	v_cmpx_ne_u32_e32 0x7f, v18
	s_cbranch_execz .LBB347_1008
; %bb.1005:                             ;   in Loop: Header=BB347_813 Depth=1
	v_dual_lshrrev_b32 v3, 3, v18 :: v_dual_bitop2_b32 v26, 7, v5 bitop3:0x40
	s_mov_b32 s17, exec_lo
	v_cmpx_gt_u32_e32 8, v18
; %bb.1006:                             ;   in Loop: Header=BB347_813 Depth=1
	s_delay_alu instid0(VALU_DEP_2) | instskip(NEXT) | instid1(VALU_DEP_1)
	v_clz_i32_u32_e32 v3, v26
	v_min_u32_e32 v3, 32, v3
	s_delay_alu instid0(VALU_DEP_1) | instskip(NEXT) | instid1(VALU_DEP_1)
	v_subrev_nc_u32_e32 v6, 28, v3
	v_lshlrev_b64_e32 v[18:19], v6, v[26:27]
	s_delay_alu instid0(VALU_DEP_1)
	v_dual_sub_nc_u32 v3, 29, v3 :: v_dual_bitop2_b32 v26, 7, v18 bitop3:0x40
; %bb.1007:                             ;   in Loop: Header=BB347_813 Depth=1
	s_or_b32 exec_lo, exec_lo, s17
	s_delay_alu instid0(VALU_DEP_1) | instskip(NEXT) | instid1(VALU_DEP_2)
	v_dual_lshlrev_b32 v5, 24, v5 :: v_dual_lshlrev_b32 v6, 20, v26
	v_lshl_add_u32 v3, v3, 23, 0x3c000000
	s_delay_alu instid0(VALU_DEP_2) | instskip(NEXT) | instid1(VALU_DEP_1)
	v_and_b32_e32 v5, 0x80000000, v5
	v_or3_b32 v3, v6, v5, v3
.LBB347_1008:                           ;   in Loop: Header=BB347_813 Depth=1
	s_or_b32 exec_lo, exec_lo, s16
.LBB347_1009:                           ;   in Loop: Header=BB347_813 Depth=1
	s_delay_alu instid0(SALU_CYCLE_1)
	s_or_b32 exec_lo, exec_lo, s15
.LBB347_1010:                           ;   in Loop: Header=BB347_813 Depth=1
	s_delay_alu instid0(SALU_CYCLE_1)
	s_or_b32 exec_lo, exec_lo, s14
	v_fma_mixlo_bf16 v101, v68, v2, 0
	v_fma_mixlo_bf16 v102, v68, v35, 0
	;; [unrolled: 1-line block ×8, first 2 shown]
	s_and_saveexec_b32 s14, vcc_lo
	s_cbranch_execz .LBB347_1012
; %bb.1011:                             ;   in Loop: Header=BB347_813 Depth=1
	v_cmp_lt_i32_e64 s0, v96, v60
	s_delay_alu instid0(VALU_DEP_1) | instskip(SKIP_1) | instid1(VALU_DEP_1)
	v_cndmask_b32_e64 v116, 0, v116, s0
	v_cmp_lt_i32_e64 s0, v100, v60
	v_cndmask_b32_e64 v115, 0, v115, s0
	v_cmp_lt_i32_e64 s0, v99, v60
	s_delay_alu instid0(VALU_DEP_1) | instskip(SKIP_1) | instid1(VALU_DEP_1)
	v_cndmask_b32_e64 v114, 0, v114, s0
	v_cmp_lt_i32_e64 s0, v98, v60
	v_cndmask_b32_e64 v113, 0, v113, s0
	;; [unrolled: 5-line block ×4, first 2 shown]
.LBB347_1012:                           ;   in Loop: Header=BB347_813 Depth=1
	s_or_b32 exec_lo, exec_lo, s14
	flat_load_b64 v[18:19], v[0:1] offset:768
	v_dual_mov_b32 v17, 0 :: v_dual_mov_b32 v16, 0
	s_mov_b32 s14, exec_lo
	s_wait_loadcnt_dscnt 0x0
	v_and_b32_e32 v2, 0xff, v18
	s_wait_xcnt 0x0
	s_delay_alu instid0(VALU_DEP_1)
	v_cmpx_ne_u16_e32 0, v2
	s_cbranch_execz .LBB347_1020
; %bb.1013:                             ;   in Loop: Header=BB347_813 Depth=1
	v_bfrev_b32_e32 v16, 1
	s_mov_b32 s15, exec_lo
	v_cmpx_ne_u16_e32 0x80, v2
	s_cbranch_execz .LBB347_1019
; %bb.1014:                             ;   in Loop: Header=BB347_813 Depth=1
	v_and_b32_e32 v3, 0x7f, v18
	v_mov_b32_e32 v16, 0x7f800001
	s_mov_b32 s16, exec_lo
	s_delay_alu instid0(VALU_DEP_2)
	v_cmpx_ne_u32_e32 0x7f, v3
	s_cbranch_execz .LBB347_1018
; %bb.1015:                             ;   in Loop: Header=BB347_813 Depth=1
	v_mov_b64_e32 v[22:23], v[18:19]
	v_lshrrev_b32_e32 v2, 3, v3
	s_mov_b32 s17, exec_lo
	v_cmpx_gt_u32_e32 8, v3
; %bb.1016:                             ;   in Loop: Header=BB347_813 Depth=1
	v_and_b32_e32 v2, 7, v18
	s_delay_alu instid0(VALU_DEP_1) | instskip(NEXT) | instid1(VALU_DEP_1)
	v_clz_i32_u32_e32 v2, v2
	v_min_u32_e32 v2, 32, v2
	s_delay_alu instid0(VALU_DEP_1) | instskip(SKIP_1) | instid1(VALU_DEP_2)
	v_subrev_nc_u32_e32 v3, 28, v2
	v_sub_nc_u32_e32 v2, 29, v2
	v_lshlrev_b64_e32 v[22:23], v3, v[18:19]
; %bb.1017:                             ;   in Loop: Header=BB347_813 Depth=1
	s_or_b32 exec_lo, exec_lo, s17
	s_delay_alu instid0(VALU_DEP_1) | instskip(SKIP_2) | instid1(VALU_DEP_3)
	v_lshlrev_b32_e32 v3, 20, v22
	v_lshlrev_b32_e32 v4, 24, v18
	v_lshl_add_u32 v2, v2, 23, 0x3c000000
	v_and_b32_e32 v3, 0x700000, v3
	s_delay_alu instid0(VALU_DEP_3) | instskip(NEXT) | instid1(VALU_DEP_1)
	v_and_b32_e32 v4, 0x80000000, v4
	v_or3_b32 v16, v3, v4, v2
.LBB347_1018:                           ;   in Loop: Header=BB347_813 Depth=1
	s_or_b32 exec_lo, exec_lo, s16
.LBB347_1019:                           ;   in Loop: Header=BB347_813 Depth=1
	s_delay_alu instid0(SALU_CYCLE_1)
	s_or_b32 exec_lo, exec_lo, s15
.LBB347_1020:                           ;   in Loop: Header=BB347_813 Depth=1
	s_delay_alu instid0(SALU_CYCLE_1) | instskip(SKIP_2) | instid1(VALU_DEP_1)
	s_or_b32 exec_lo, exec_lo, s14
	v_lshrrev_b16 v2, 8, v18
	s_mov_b32 s14, exec_lo
	v_cmpx_ne_u16_e32 0, v2
	s_cbranch_execz .LBB347_1028
; %bb.1021:                             ;   in Loop: Header=BB347_813 Depth=1
	v_bfrev_b32_e32 v17, 1
	s_mov_b32 s15, exec_lo
	v_cmpx_ne_u16_e32 0x80, v2
	s_cbranch_execz .LBB347_1027
; %bb.1022:                             ;   in Loop: Header=BB347_813 Depth=1
	v_and_b32_e32 v2, 0xffff, v2
	v_mov_b32_e32 v17, 0x7f800001
	s_mov_b32 s16, exec_lo
	s_delay_alu instid0(VALU_DEP_2) | instskip(NEXT) | instid1(VALU_DEP_1)
	v_and_b32_e32 v3, 0x7f, v2
	v_cmpx_ne_u32_e32 0x7f, v3
	s_cbranch_execz .LBB347_1026
; %bb.1023:                             ;   in Loop: Header=BB347_813 Depth=1
	v_dual_lshrrev_b32 v2, 3, v3 :: v_dual_bitop2_b32 v26, 7, v2 bitop3:0x40
	s_mov_b32 s17, exec_lo
	v_cmpx_gt_u32_e32 8, v3
; %bb.1024:                             ;   in Loop: Header=BB347_813 Depth=1
	s_delay_alu instid0(VALU_DEP_2) | instskip(NEXT) | instid1(VALU_DEP_1)
	v_clz_i32_u32_e32 v2, v26
	v_min_u32_e32 v2, 32, v2
	s_delay_alu instid0(VALU_DEP_1) | instskip(NEXT) | instid1(VALU_DEP_1)
	v_subrev_nc_u32_e32 v3, 28, v2
	v_lshlrev_b64_e32 v[4:5], v3, v[26:27]
	s_delay_alu instid0(VALU_DEP_1)
	v_dual_sub_nc_u32 v2, 29, v2 :: v_dual_bitop2_b32 v26, 7, v4 bitop3:0x40
; %bb.1025:                             ;   in Loop: Header=BB347_813 Depth=1
	s_or_b32 exec_lo, exec_lo, s17
	v_lshlrev_b32_e32 v3, 16, v18
	s_delay_alu instid0(VALU_DEP_2) | instskip(NEXT) | instid1(VALU_DEP_3)
	v_lshlrev_b32_e32 v4, 20, v26
	v_lshl_add_u32 v2, v2, 23, 0x3c000000
	s_delay_alu instid0(VALU_DEP_3) | instskip(NEXT) | instid1(VALU_DEP_1)
	v_and_b32_e32 v3, 0x80000000, v3
	v_or3_b32 v17, v4, v3, v2
.LBB347_1026:                           ;   in Loop: Header=BB347_813 Depth=1
	s_or_b32 exec_lo, exec_lo, s16
.LBB347_1027:                           ;   in Loop: Header=BB347_813 Depth=1
	s_delay_alu instid0(SALU_CYCLE_1)
	s_or_b32 exec_lo, exec_lo, s15
.LBB347_1028:                           ;   in Loop: Header=BB347_813 Depth=1
	s_delay_alu instid0(SALU_CYCLE_1) | instskip(SKIP_3) | instid1(VALU_DEP_2)
	s_or_b32 exec_lo, exec_lo, s14
	v_dual_lshrrev_b32 v2, 16, v18 :: v_dual_mov_b32 v34, 0
	v_mov_b32_e32 v25, 0
	s_mov_b32 s14, exec_lo
	v_and_b32_e32 v3, 0xff, v2
	s_delay_alu instid0(VALU_DEP_1)
	v_cmpx_ne_u16_e32 0, v3
	s_cbranch_execz .LBB347_1036
; %bb.1029:                             ;   in Loop: Header=BB347_813 Depth=1
	v_bfrev_b32_e32 v25, 1
	s_mov_b32 s15, exec_lo
	v_cmpx_ne_u16_e32 0x80, v3
	s_cbranch_execz .LBB347_1035
; %bb.1030:                             ;   in Loop: Header=BB347_813 Depth=1
	v_bfe_u32 v4, v18, 16, 7
	v_mov_b32_e32 v25, 0x7f800001
	s_mov_b32 s16, exec_lo
	s_delay_alu instid0(VALU_DEP_2)
	v_cmpx_ne_u32_e32 0x7f, v4
	s_cbranch_execz .LBB347_1034
; %bb.1031:                             ;   in Loop: Header=BB347_813 Depth=1
	v_dual_lshrrev_b32 v3, 3, v4 :: v_dual_bitop2_b32 v26, 7, v2 bitop3:0x40
	s_mov_b32 s17, exec_lo
	v_cmpx_gt_u32_e32 8, v4
; %bb.1032:                             ;   in Loop: Header=BB347_813 Depth=1
	s_delay_alu instid0(VALU_DEP_2) | instskip(NEXT) | instid1(VALU_DEP_1)
	v_clz_i32_u32_e32 v3, v26
	v_min_u32_e32 v3, 32, v3
	s_delay_alu instid0(VALU_DEP_1) | instskip(NEXT) | instid1(VALU_DEP_1)
	v_subrev_nc_u32_e32 v4, 28, v3
	v_lshlrev_b64_e32 v[4:5], v4, v[26:27]
	s_delay_alu instid0(VALU_DEP_1)
	v_dual_sub_nc_u32 v3, 29, v3 :: v_dual_bitop2_b32 v26, 7, v4 bitop3:0x40
; %bb.1033:                             ;   in Loop: Header=BB347_813 Depth=1
	s_or_b32 exec_lo, exec_lo, s17
	v_lshlrev_b32_e32 v2, 24, v2
	s_delay_alu instid0(VALU_DEP_2) | instskip(NEXT) | instid1(VALU_DEP_3)
	v_lshlrev_b32_e32 v4, 20, v26
	v_lshl_add_u32 v3, v3, 23, 0x3c000000
	s_delay_alu instid0(VALU_DEP_3) | instskip(NEXT) | instid1(VALU_DEP_1)
	v_and_b32_e32 v2, 0x80000000, v2
	v_or3_b32 v25, v4, v2, v3
.LBB347_1034:                           ;   in Loop: Header=BB347_813 Depth=1
	s_or_b32 exec_lo, exec_lo, s16
.LBB347_1035:                           ;   in Loop: Header=BB347_813 Depth=1
	s_delay_alu instid0(SALU_CYCLE_1)
	s_or_b32 exec_lo, exec_lo, s15
.LBB347_1036:                           ;   in Loop: Header=BB347_813 Depth=1
	s_delay_alu instid0(SALU_CYCLE_1) | instskip(NEXT) | instid1(SALU_CYCLE_1)
	s_or_b32 exec_lo, exec_lo, s14
	s_mov_b32 s14, exec_lo
	v_cmpx_lt_u32_e32 0xffffff, v18
	s_cbranch_execz .LBB347_1044
; %bb.1037:                             ;   in Loop: Header=BB347_813 Depth=1
	v_lshrrev_b32_e32 v2, 24, v18
	v_bfrev_b32_e32 v34, 1
	s_mov_b32 s15, exec_lo
	s_delay_alu instid0(VALU_DEP_2)
	v_cmpx_ne_u32_e32 0x80, v2
	s_cbranch_execz .LBB347_1043
; %bb.1038:                             ;   in Loop: Header=BB347_813 Depth=1
	v_bfe_u32 v4, v18, 24, 7
	v_mov_b32_e32 v34, 0x7f800001
	s_mov_b32 s16, exec_lo
	s_delay_alu instid0(VALU_DEP_2)
	v_cmpx_ne_u32_e32 0x7f, v4
	s_cbranch_execz .LBB347_1042
; %bb.1039:                             ;   in Loop: Header=BB347_813 Depth=1
	v_dual_lshrrev_b32 v3, 3, v4 :: v_dual_bitop2_b32 v26, 7, v2 bitop3:0x40
	s_mov_b32 s17, exec_lo
	v_cmpx_gt_u32_e32 8, v4
; %bb.1040:                             ;   in Loop: Header=BB347_813 Depth=1
	s_delay_alu instid0(VALU_DEP_2) | instskip(NEXT) | instid1(VALU_DEP_1)
	v_clz_i32_u32_e32 v3, v26
	v_min_u32_e32 v3, 32, v3
	s_delay_alu instid0(VALU_DEP_1) | instskip(NEXT) | instid1(VALU_DEP_1)
	v_subrev_nc_u32_e32 v4, 28, v3
	v_lshlrev_b64_e32 v[4:5], v4, v[26:27]
	s_delay_alu instid0(VALU_DEP_1)
	v_dual_sub_nc_u32 v3, 29, v3 :: v_dual_bitop2_b32 v26, 7, v4 bitop3:0x40
; %bb.1041:                             ;   in Loop: Header=BB347_813 Depth=1
	s_or_b32 exec_lo, exec_lo, s17
	v_lshlrev_b32_e32 v2, 24, v2
	s_delay_alu instid0(VALU_DEP_2) | instskip(NEXT) | instid1(VALU_DEP_3)
	v_lshlrev_b32_e32 v4, 20, v26
	v_lshl_add_u32 v3, v3, 23, 0x3c000000
	s_delay_alu instid0(VALU_DEP_3) | instskip(NEXT) | instid1(VALU_DEP_1)
	v_and_b32_e32 v2, 0x80000000, v2
	v_or3_b32 v34, v4, v2, v3
.LBB347_1042:                           ;   in Loop: Header=BB347_813 Depth=1
	s_or_b32 exec_lo, exec_lo, s16
.LBB347_1043:                           ;   in Loop: Header=BB347_813 Depth=1
	s_delay_alu instid0(SALU_CYCLE_1)
	s_or_b32 exec_lo, exec_lo, s15
.LBB347_1044:                           ;   in Loop: Header=BB347_813 Depth=1
	s_delay_alu instid0(SALU_CYCLE_1) | instskip(SKIP_4) | instid1(VALU_DEP_3)
	s_or_b32 exec_lo, exec_lo, s14
	v_and_b32_e32 v3, 0xff, v19
	v_dual_mov_b32 v26, v19 :: v_dual_mov_b32 v2, 0
	v_mov_b32_e32 v35, 0
	s_mov_b32 s14, exec_lo
	v_cmpx_ne_u16_e32 0, v3
	s_cbranch_execz .LBB347_1052
; %bb.1045:                             ;   in Loop: Header=BB347_813 Depth=1
	v_bfrev_b32_e32 v35, 1
	s_mov_b32 s15, exec_lo
	v_cmpx_ne_u16_e32 0x80, v3
	s_cbranch_execz .LBB347_1051
; %bb.1046:                             ;   in Loop: Header=BB347_813 Depth=1
	v_and_b32_e32 v4, 0x7f, v19
	v_mov_b32_e32 v35, 0x7f800001
	s_mov_b32 s16, exec_lo
	s_delay_alu instid0(VALU_DEP_2)
	v_cmpx_ne_u32_e32 0x7f, v4
	s_cbranch_execz .LBB347_1050
; %bb.1047:                             ;   in Loop: Header=BB347_813 Depth=1
	v_mov_b64_e32 v[22:23], v[26:27]
	v_lshrrev_b32_e32 v3, 3, v4
	s_mov_b32 s17, exec_lo
	v_cmpx_gt_u32_e32 8, v4
; %bb.1048:                             ;   in Loop: Header=BB347_813 Depth=1
	v_and_b32_e32 v3, 7, v19
	s_delay_alu instid0(VALU_DEP_1) | instskip(NEXT) | instid1(VALU_DEP_1)
	v_clz_i32_u32_e32 v3, v3
	v_min_u32_e32 v3, 32, v3
	s_delay_alu instid0(VALU_DEP_1) | instskip(SKIP_1) | instid1(VALU_DEP_2)
	v_subrev_nc_u32_e32 v4, 28, v3
	v_sub_nc_u32_e32 v3, 29, v3
	v_lshlrev_b64_e32 v[22:23], v4, v[26:27]
; %bb.1049:                             ;   in Loop: Header=BB347_813 Depth=1
	s_or_b32 exec_lo, exec_lo, s17
	s_delay_alu instid0(VALU_DEP_1) | instskip(SKIP_2) | instid1(VALU_DEP_3)
	v_lshlrev_b32_e32 v4, 20, v22
	v_lshlrev_b32_e32 v5, 24, v26
	v_lshl_add_u32 v3, v3, 23, 0x3c000000
	v_and_b32_e32 v4, 0x700000, v4
	s_delay_alu instid0(VALU_DEP_3) | instskip(NEXT) | instid1(VALU_DEP_1)
	v_and_b32_e32 v5, 0x80000000, v5
	v_or3_b32 v35, v4, v5, v3
.LBB347_1050:                           ;   in Loop: Header=BB347_813 Depth=1
	s_or_b32 exec_lo, exec_lo, s16
.LBB347_1051:                           ;   in Loop: Header=BB347_813 Depth=1
	s_delay_alu instid0(SALU_CYCLE_1)
	s_or_b32 exec_lo, exec_lo, s15
.LBB347_1052:                           ;   in Loop: Header=BB347_813 Depth=1
	s_delay_alu instid0(SALU_CYCLE_1) | instskip(SKIP_2) | instid1(VALU_DEP_1)
	s_or_b32 exec_lo, exec_lo, s14
	v_lshrrev_b16 v3, 8, v26
	s_mov_b32 s14, exec_lo
	v_cmpx_ne_u16_e32 0, v3
	s_cbranch_execz .LBB347_1060
; %bb.1053:                             ;   in Loop: Header=BB347_813 Depth=1
	v_bfrev_b32_e32 v2, 1
	s_mov_b32 s15, exec_lo
	v_cmpx_ne_u16_e32 0x80, v3
	s_cbranch_execz .LBB347_1059
; %bb.1054:                             ;   in Loop: Header=BB347_813 Depth=1
	v_and_b32_e32 v4, 0xffff, v3
	v_mov_b32_e32 v2, 0x7f800001
	s_mov_b32 s16, exec_lo
	s_delay_alu instid0(VALU_DEP_2) | instskip(NEXT) | instid1(VALU_DEP_1)
	v_and_b32_e32 v3, 0x7f, v4
	v_cmpx_ne_u32_e32 0x7f, v3
	s_cbranch_execz .LBB347_1058
; %bb.1055:                             ;   in Loop: Header=BB347_813 Depth=1
	v_dual_mov_b32 v23, v27 :: v_dual_bitop2_b32 v22, 7, v4 bitop3:0x40
	v_lshrrev_b32_e32 v2, 3, v3
	s_mov_b32 s17, exec_lo
	v_cmpx_gt_u32_e32 8, v3
; %bb.1056:                             ;   in Loop: Header=BB347_813 Depth=1
	s_delay_alu instid0(VALU_DEP_3) | instskip(NEXT) | instid1(VALU_DEP_1)
	v_clz_i32_u32_e32 v2, v22
	v_min_u32_e32 v2, 32, v2
	s_delay_alu instid0(VALU_DEP_1) | instskip(NEXT) | instid1(VALU_DEP_1)
	v_subrev_nc_u32_e32 v3, 28, v2
	v_lshlrev_b64_e32 v[4:5], v3, v[22:23]
	s_delay_alu instid0(VALU_DEP_1)
	v_dual_sub_nc_u32 v2, 29, v2 :: v_dual_bitop2_b32 v22, 7, v4 bitop3:0x40
; %bb.1057:                             ;   in Loop: Header=BB347_813 Depth=1
	s_or_b32 exec_lo, exec_lo, s17
	v_lshlrev_b32_e32 v3, 16, v26
	s_delay_alu instid0(VALU_DEP_2) | instskip(NEXT) | instid1(VALU_DEP_3)
	v_lshlrev_b32_e32 v4, 20, v22
	v_lshl_add_u32 v2, v2, 23, 0x3c000000
	s_delay_alu instid0(VALU_DEP_3) | instskip(NEXT) | instid1(VALU_DEP_1)
	v_and_b32_e32 v3, 0x80000000, v3
	v_or3_b32 v2, v4, v3, v2
.LBB347_1058:                           ;   in Loop: Header=BB347_813 Depth=1
	s_or_b32 exec_lo, exec_lo, s16
.LBB347_1059:                           ;   in Loop: Header=BB347_813 Depth=1
	s_delay_alu instid0(SALU_CYCLE_1)
	s_or_b32 exec_lo, exec_lo, s15
.LBB347_1060:                           ;   in Loop: Header=BB347_813 Depth=1
	s_delay_alu instid0(SALU_CYCLE_1) | instskip(SKIP_3) | instid1(VALU_DEP_2)
	s_or_b32 exec_lo, exec_lo, s14
	v_dual_lshrrev_b32 v5, 16, v19 :: v_dual_mov_b32 v3, 0
	v_mov_b32_e32 v4, 0
	s_mov_b32 s14, exec_lo
	v_and_b32_e32 v22, 0xff, v5
	s_delay_alu instid0(VALU_DEP_1)
	v_cmpx_ne_u16_e32 0, v22
	s_cbranch_execz .LBB347_1068
; %bb.1061:                             ;   in Loop: Header=BB347_813 Depth=1
	v_bfrev_b32_e32 v4, 1
	s_mov_b32 s15, exec_lo
	v_cmpx_ne_u16_e32 0x80, v22
	s_cbranch_execz .LBB347_1067
; %bb.1062:                             ;   in Loop: Header=BB347_813 Depth=1
	v_bfe_u32 v22, v19, 16, 7
	v_mov_b32_e32 v4, 0x7f800001
	s_mov_b32 s16, exec_lo
	s_delay_alu instid0(VALU_DEP_2)
	v_cmpx_ne_u32_e32 0x7f, v22
	s_cbranch_execz .LBB347_1066
; %bb.1063:                             ;   in Loop: Header=BB347_813 Depth=1
	v_dual_lshrrev_b32 v4, 3, v22 :: v_dual_bitop2_b32 v26, 7, v5 bitop3:0x40
	s_mov_b32 s17, exec_lo
	v_cmpx_gt_u32_e32 8, v22
; %bb.1064:                             ;   in Loop: Header=BB347_813 Depth=1
	s_delay_alu instid0(VALU_DEP_2) | instskip(NEXT) | instid1(VALU_DEP_1)
	v_clz_i32_u32_e32 v4, v26
	v_min_u32_e32 v4, 32, v4
	s_delay_alu instid0(VALU_DEP_1) | instskip(NEXT) | instid1(VALU_DEP_1)
	v_subrev_nc_u32_e32 v6, 28, v4
	v_lshlrev_b64_e32 v[22:23], v6, v[26:27]
	s_delay_alu instid0(VALU_DEP_1)
	v_dual_sub_nc_u32 v4, 29, v4 :: v_dual_bitop2_b32 v26, 7, v22 bitop3:0x40
; %bb.1065:                             ;   in Loop: Header=BB347_813 Depth=1
	s_or_b32 exec_lo, exec_lo, s17
	s_delay_alu instid0(VALU_DEP_1) | instskip(NEXT) | instid1(VALU_DEP_2)
	v_dual_lshlrev_b32 v5, 24, v5 :: v_dual_lshlrev_b32 v6, 20, v26
	v_lshl_add_u32 v4, v4, 23, 0x3c000000
	s_delay_alu instid0(VALU_DEP_2) | instskip(NEXT) | instid1(VALU_DEP_1)
	v_and_b32_e32 v5, 0x80000000, v5
	v_or3_b32 v4, v6, v5, v4
.LBB347_1066:                           ;   in Loop: Header=BB347_813 Depth=1
	s_or_b32 exec_lo, exec_lo, s16
.LBB347_1067:                           ;   in Loop: Header=BB347_813 Depth=1
	s_delay_alu instid0(SALU_CYCLE_1)
	s_or_b32 exec_lo, exec_lo, s15
.LBB347_1068:                           ;   in Loop: Header=BB347_813 Depth=1
	s_delay_alu instid0(SALU_CYCLE_1) | instskip(NEXT) | instid1(SALU_CYCLE_1)
	s_or_b32 exec_lo, exec_lo, s14
	s_mov_b32 s14, exec_lo
	v_cmpx_lt_u64_e64 s[2:3], v[18:19]
	s_cbranch_execz .LBB347_1076
; %bb.1069:                             ;   in Loop: Header=BB347_813 Depth=1
	v_lshrrev_b32_e32 v5, 24, v19
	v_bfrev_b32_e32 v3, 1
	s_mov_b32 s15, exec_lo
	s_delay_alu instid0(VALU_DEP_2)
	v_cmpx_ne_u32_e32 0x80, v5
	s_cbranch_execz .LBB347_1075
; %bb.1070:                             ;   in Loop: Header=BB347_813 Depth=1
	v_bfe_u32 v18, v19, 24, 7
	v_mov_b32_e32 v3, 0x7f800001
	s_mov_b32 s16, exec_lo
	s_delay_alu instid0(VALU_DEP_2)
	v_cmpx_ne_u32_e32 0x7f, v18
	s_cbranch_execz .LBB347_1074
; %bb.1071:                             ;   in Loop: Header=BB347_813 Depth=1
	v_dual_lshrrev_b32 v3, 3, v18 :: v_dual_bitop2_b32 v26, 7, v5 bitop3:0x40
	s_mov_b32 s17, exec_lo
	v_cmpx_gt_u32_e32 8, v18
; %bb.1072:                             ;   in Loop: Header=BB347_813 Depth=1
	s_delay_alu instid0(VALU_DEP_2) | instskip(NEXT) | instid1(VALU_DEP_1)
	v_clz_i32_u32_e32 v3, v26
	v_min_u32_e32 v3, 32, v3
	s_delay_alu instid0(VALU_DEP_1) | instskip(NEXT) | instid1(VALU_DEP_1)
	v_subrev_nc_u32_e32 v6, 28, v3
	v_lshlrev_b64_e32 v[18:19], v6, v[26:27]
	s_delay_alu instid0(VALU_DEP_1)
	v_dual_sub_nc_u32 v3, 29, v3 :: v_dual_bitop2_b32 v26, 7, v18 bitop3:0x40
; %bb.1073:                             ;   in Loop: Header=BB347_813 Depth=1
	s_or_b32 exec_lo, exec_lo, s17
	s_delay_alu instid0(VALU_DEP_1) | instskip(NEXT) | instid1(VALU_DEP_2)
	v_dual_lshlrev_b32 v5, 24, v5 :: v_dual_lshlrev_b32 v6, 20, v26
	v_lshl_add_u32 v3, v3, 23, 0x3c000000
	s_delay_alu instid0(VALU_DEP_2) | instskip(NEXT) | instid1(VALU_DEP_1)
	v_and_b32_e32 v5, 0x80000000, v5
	v_or3_b32 v3, v6, v5, v3
.LBB347_1074:                           ;   in Loop: Header=BB347_813 Depth=1
	s_or_b32 exec_lo, exec_lo, s16
.LBB347_1075:                           ;   in Loop: Header=BB347_813 Depth=1
	s_delay_alu instid0(SALU_CYCLE_1)
	s_or_b32 exec_lo, exec_lo, s15
.LBB347_1076:                           ;   in Loop: Header=BB347_813 Depth=1
	s_delay_alu instid0(SALU_CYCLE_1)
	s_or_b32 exec_lo, exec_lo, s14
	v_fma_mixlo_bf16 v117, v68, v2, 0
	v_fma_mixlo_bf16 v118, v68, v35, 0
	;; [unrolled: 1-line block ×8, first 2 shown]
	s_and_saveexec_b32 s14, vcc_lo
	s_cbranch_execz .LBB347_1078
; %bb.1077:                             ;   in Loop: Header=BB347_813 Depth=1
	v_cmp_lt_i32_e64 s0, v96, v60
	s_delay_alu instid0(VALU_DEP_1) | instskip(SKIP_1) | instid1(VALU_DEP_1)
	v_cndmask_b32_e64 v44, 0, v44, s0
	v_cmp_lt_i32_e64 s0, v100, v60
	v_cndmask_b32_e64 v43, 0, v43, s0
	v_cmp_lt_i32_e64 s0, v99, v60
	s_delay_alu instid0(VALU_DEP_1) | instskip(SKIP_1) | instid1(VALU_DEP_1)
	v_cndmask_b32_e64 v42, 0, v42, s0
	v_cmp_lt_i32_e64 s0, v98, v60
	v_cndmask_b32_e64 v41, 0, v41, s0
	;; [unrolled: 5-line block ×4, first 2 shown]
.LBB347_1078:                           ;   in Loop: Header=BB347_813 Depth=1
	s_or_b32 exec_lo, exec_lo, s14
	flat_load_b64 v[18:19], v[0:1] offset:1024
	v_dual_mov_b32 v17, 0 :: v_dual_mov_b32 v16, 0
	s_mov_b32 s14, exec_lo
	s_wait_loadcnt_dscnt 0x0
	v_and_b32_e32 v2, 0xff, v18
	s_wait_xcnt 0x0
	s_delay_alu instid0(VALU_DEP_1)
	v_cmpx_ne_u16_e32 0, v2
	s_cbranch_execz .LBB347_1086
; %bb.1079:                             ;   in Loop: Header=BB347_813 Depth=1
	v_bfrev_b32_e32 v16, 1
	s_mov_b32 s15, exec_lo
	v_cmpx_ne_u16_e32 0x80, v2
	s_cbranch_execz .LBB347_1085
; %bb.1080:                             ;   in Loop: Header=BB347_813 Depth=1
	v_and_b32_e32 v3, 0x7f, v18
	v_mov_b32_e32 v16, 0x7f800001
	s_mov_b32 s16, exec_lo
	s_delay_alu instid0(VALU_DEP_2)
	v_cmpx_ne_u32_e32 0x7f, v3
	s_cbranch_execz .LBB347_1084
; %bb.1081:                             ;   in Loop: Header=BB347_813 Depth=1
	v_mov_b64_e32 v[22:23], v[18:19]
	v_lshrrev_b32_e32 v2, 3, v3
	s_mov_b32 s17, exec_lo
	v_cmpx_gt_u32_e32 8, v3
; %bb.1082:                             ;   in Loop: Header=BB347_813 Depth=1
	v_and_b32_e32 v2, 7, v18
	s_delay_alu instid0(VALU_DEP_1) | instskip(NEXT) | instid1(VALU_DEP_1)
	v_clz_i32_u32_e32 v2, v2
	v_min_u32_e32 v2, 32, v2
	s_delay_alu instid0(VALU_DEP_1) | instskip(SKIP_1) | instid1(VALU_DEP_2)
	v_subrev_nc_u32_e32 v3, 28, v2
	v_sub_nc_u32_e32 v2, 29, v2
	v_lshlrev_b64_e32 v[22:23], v3, v[18:19]
; %bb.1083:                             ;   in Loop: Header=BB347_813 Depth=1
	s_or_b32 exec_lo, exec_lo, s17
	s_delay_alu instid0(VALU_DEP_1) | instskip(SKIP_2) | instid1(VALU_DEP_3)
	v_lshlrev_b32_e32 v3, 20, v22
	v_lshlrev_b32_e32 v4, 24, v18
	v_lshl_add_u32 v2, v2, 23, 0x3c000000
	v_and_b32_e32 v3, 0x700000, v3
	s_delay_alu instid0(VALU_DEP_3) | instskip(NEXT) | instid1(VALU_DEP_1)
	v_and_b32_e32 v4, 0x80000000, v4
	v_or3_b32 v16, v3, v4, v2
.LBB347_1084:                           ;   in Loop: Header=BB347_813 Depth=1
	s_or_b32 exec_lo, exec_lo, s16
.LBB347_1085:                           ;   in Loop: Header=BB347_813 Depth=1
	s_delay_alu instid0(SALU_CYCLE_1)
	s_or_b32 exec_lo, exec_lo, s15
.LBB347_1086:                           ;   in Loop: Header=BB347_813 Depth=1
	s_delay_alu instid0(SALU_CYCLE_1) | instskip(SKIP_2) | instid1(VALU_DEP_1)
	s_or_b32 exec_lo, exec_lo, s14
	v_lshrrev_b16 v2, 8, v18
	s_mov_b32 s14, exec_lo
	v_cmpx_ne_u16_e32 0, v2
	s_cbranch_execz .LBB347_1094
; %bb.1087:                             ;   in Loop: Header=BB347_813 Depth=1
	v_bfrev_b32_e32 v17, 1
	s_mov_b32 s15, exec_lo
	v_cmpx_ne_u16_e32 0x80, v2
	s_cbranch_execz .LBB347_1093
; %bb.1088:                             ;   in Loop: Header=BB347_813 Depth=1
	v_and_b32_e32 v2, 0xffff, v2
	v_mov_b32_e32 v17, 0x7f800001
	s_mov_b32 s16, exec_lo
	s_delay_alu instid0(VALU_DEP_2) | instskip(NEXT) | instid1(VALU_DEP_1)
	v_and_b32_e32 v3, 0x7f, v2
	v_cmpx_ne_u32_e32 0x7f, v3
	s_cbranch_execz .LBB347_1092
; %bb.1089:                             ;   in Loop: Header=BB347_813 Depth=1
	v_dual_lshrrev_b32 v2, 3, v3 :: v_dual_bitop2_b32 v26, 7, v2 bitop3:0x40
	s_mov_b32 s17, exec_lo
	v_cmpx_gt_u32_e32 8, v3
; %bb.1090:                             ;   in Loop: Header=BB347_813 Depth=1
	s_delay_alu instid0(VALU_DEP_2) | instskip(NEXT) | instid1(VALU_DEP_1)
	v_clz_i32_u32_e32 v2, v26
	v_min_u32_e32 v2, 32, v2
	s_delay_alu instid0(VALU_DEP_1) | instskip(NEXT) | instid1(VALU_DEP_1)
	v_subrev_nc_u32_e32 v3, 28, v2
	v_lshlrev_b64_e32 v[4:5], v3, v[26:27]
	s_delay_alu instid0(VALU_DEP_1)
	v_dual_sub_nc_u32 v2, 29, v2 :: v_dual_bitop2_b32 v26, 7, v4 bitop3:0x40
; %bb.1091:                             ;   in Loop: Header=BB347_813 Depth=1
	s_or_b32 exec_lo, exec_lo, s17
	v_lshlrev_b32_e32 v3, 16, v18
	s_delay_alu instid0(VALU_DEP_2) | instskip(NEXT) | instid1(VALU_DEP_3)
	v_lshlrev_b32_e32 v4, 20, v26
	v_lshl_add_u32 v2, v2, 23, 0x3c000000
	s_delay_alu instid0(VALU_DEP_3) | instskip(NEXT) | instid1(VALU_DEP_1)
	v_and_b32_e32 v3, 0x80000000, v3
	v_or3_b32 v17, v4, v3, v2
.LBB347_1092:                           ;   in Loop: Header=BB347_813 Depth=1
	s_or_b32 exec_lo, exec_lo, s16
.LBB347_1093:                           ;   in Loop: Header=BB347_813 Depth=1
	s_delay_alu instid0(SALU_CYCLE_1)
	s_or_b32 exec_lo, exec_lo, s15
.LBB347_1094:                           ;   in Loop: Header=BB347_813 Depth=1
	s_delay_alu instid0(SALU_CYCLE_1) | instskip(SKIP_3) | instid1(VALU_DEP_2)
	s_or_b32 exec_lo, exec_lo, s14
	v_dual_lshrrev_b32 v2, 16, v18 :: v_dual_mov_b32 v34, 0
	v_mov_b32_e32 v25, 0
	s_mov_b32 s14, exec_lo
	v_and_b32_e32 v3, 0xff, v2
	s_delay_alu instid0(VALU_DEP_1)
	v_cmpx_ne_u16_e32 0, v3
	s_cbranch_execz .LBB347_1102
; %bb.1095:                             ;   in Loop: Header=BB347_813 Depth=1
	v_bfrev_b32_e32 v25, 1
	s_mov_b32 s15, exec_lo
	v_cmpx_ne_u16_e32 0x80, v3
	s_cbranch_execz .LBB347_1101
; %bb.1096:                             ;   in Loop: Header=BB347_813 Depth=1
	v_bfe_u32 v4, v18, 16, 7
	v_mov_b32_e32 v25, 0x7f800001
	s_mov_b32 s16, exec_lo
	s_delay_alu instid0(VALU_DEP_2)
	v_cmpx_ne_u32_e32 0x7f, v4
	s_cbranch_execz .LBB347_1100
; %bb.1097:                             ;   in Loop: Header=BB347_813 Depth=1
	v_dual_lshrrev_b32 v3, 3, v4 :: v_dual_bitop2_b32 v26, 7, v2 bitop3:0x40
	s_mov_b32 s17, exec_lo
	v_cmpx_gt_u32_e32 8, v4
; %bb.1098:                             ;   in Loop: Header=BB347_813 Depth=1
	s_delay_alu instid0(VALU_DEP_2) | instskip(NEXT) | instid1(VALU_DEP_1)
	v_clz_i32_u32_e32 v3, v26
	v_min_u32_e32 v3, 32, v3
	s_delay_alu instid0(VALU_DEP_1) | instskip(NEXT) | instid1(VALU_DEP_1)
	v_subrev_nc_u32_e32 v4, 28, v3
	v_lshlrev_b64_e32 v[4:5], v4, v[26:27]
	s_delay_alu instid0(VALU_DEP_1)
	v_dual_sub_nc_u32 v3, 29, v3 :: v_dual_bitop2_b32 v26, 7, v4 bitop3:0x40
; %bb.1099:                             ;   in Loop: Header=BB347_813 Depth=1
	s_or_b32 exec_lo, exec_lo, s17
	v_lshlrev_b32_e32 v2, 24, v2
	s_delay_alu instid0(VALU_DEP_2) | instskip(NEXT) | instid1(VALU_DEP_3)
	v_lshlrev_b32_e32 v4, 20, v26
	v_lshl_add_u32 v3, v3, 23, 0x3c000000
	s_delay_alu instid0(VALU_DEP_3) | instskip(NEXT) | instid1(VALU_DEP_1)
	v_and_b32_e32 v2, 0x80000000, v2
	v_or3_b32 v25, v4, v2, v3
.LBB347_1100:                           ;   in Loop: Header=BB347_813 Depth=1
	s_or_b32 exec_lo, exec_lo, s16
.LBB347_1101:                           ;   in Loop: Header=BB347_813 Depth=1
	s_delay_alu instid0(SALU_CYCLE_1)
	s_or_b32 exec_lo, exec_lo, s15
.LBB347_1102:                           ;   in Loop: Header=BB347_813 Depth=1
	s_delay_alu instid0(SALU_CYCLE_1) | instskip(NEXT) | instid1(SALU_CYCLE_1)
	s_or_b32 exec_lo, exec_lo, s14
	s_mov_b32 s14, exec_lo
	v_cmpx_lt_u32_e32 0xffffff, v18
	s_cbranch_execz .LBB347_1110
; %bb.1103:                             ;   in Loop: Header=BB347_813 Depth=1
	v_lshrrev_b32_e32 v2, 24, v18
	v_bfrev_b32_e32 v34, 1
	s_mov_b32 s15, exec_lo
	s_delay_alu instid0(VALU_DEP_2)
	v_cmpx_ne_u32_e32 0x80, v2
	s_cbranch_execz .LBB347_1109
; %bb.1104:                             ;   in Loop: Header=BB347_813 Depth=1
	v_bfe_u32 v4, v18, 24, 7
	v_mov_b32_e32 v34, 0x7f800001
	s_mov_b32 s16, exec_lo
	s_delay_alu instid0(VALU_DEP_2)
	v_cmpx_ne_u32_e32 0x7f, v4
	s_cbranch_execz .LBB347_1108
; %bb.1105:                             ;   in Loop: Header=BB347_813 Depth=1
	v_dual_lshrrev_b32 v3, 3, v4 :: v_dual_bitop2_b32 v26, 7, v2 bitop3:0x40
	s_mov_b32 s17, exec_lo
	v_cmpx_gt_u32_e32 8, v4
; %bb.1106:                             ;   in Loop: Header=BB347_813 Depth=1
	s_delay_alu instid0(VALU_DEP_2) | instskip(NEXT) | instid1(VALU_DEP_1)
	v_clz_i32_u32_e32 v3, v26
	v_min_u32_e32 v3, 32, v3
	s_delay_alu instid0(VALU_DEP_1) | instskip(NEXT) | instid1(VALU_DEP_1)
	v_subrev_nc_u32_e32 v4, 28, v3
	v_lshlrev_b64_e32 v[4:5], v4, v[26:27]
	s_delay_alu instid0(VALU_DEP_1)
	v_dual_sub_nc_u32 v3, 29, v3 :: v_dual_bitop2_b32 v26, 7, v4 bitop3:0x40
; %bb.1107:                             ;   in Loop: Header=BB347_813 Depth=1
	s_or_b32 exec_lo, exec_lo, s17
	v_lshlrev_b32_e32 v2, 24, v2
	s_delay_alu instid0(VALU_DEP_2) | instskip(NEXT) | instid1(VALU_DEP_3)
	v_lshlrev_b32_e32 v4, 20, v26
	v_lshl_add_u32 v3, v3, 23, 0x3c000000
	s_delay_alu instid0(VALU_DEP_3) | instskip(NEXT) | instid1(VALU_DEP_1)
	v_and_b32_e32 v2, 0x80000000, v2
	v_or3_b32 v34, v4, v2, v3
.LBB347_1108:                           ;   in Loop: Header=BB347_813 Depth=1
	s_or_b32 exec_lo, exec_lo, s16
.LBB347_1109:                           ;   in Loop: Header=BB347_813 Depth=1
	s_delay_alu instid0(SALU_CYCLE_1)
	s_or_b32 exec_lo, exec_lo, s15
.LBB347_1110:                           ;   in Loop: Header=BB347_813 Depth=1
	s_delay_alu instid0(SALU_CYCLE_1) | instskip(SKIP_4) | instid1(VALU_DEP_3)
	s_or_b32 exec_lo, exec_lo, s14
	v_and_b32_e32 v3, 0xff, v19
	v_dual_mov_b32 v26, v19 :: v_dual_mov_b32 v2, 0
	v_mov_b32_e32 v35, 0
	s_mov_b32 s14, exec_lo
	v_cmpx_ne_u16_e32 0, v3
	s_cbranch_execz .LBB347_1118
; %bb.1111:                             ;   in Loop: Header=BB347_813 Depth=1
	v_bfrev_b32_e32 v35, 1
	s_mov_b32 s15, exec_lo
	v_cmpx_ne_u16_e32 0x80, v3
	s_cbranch_execz .LBB347_1117
; %bb.1112:                             ;   in Loop: Header=BB347_813 Depth=1
	v_and_b32_e32 v4, 0x7f, v19
	v_mov_b32_e32 v35, 0x7f800001
	s_mov_b32 s16, exec_lo
	s_delay_alu instid0(VALU_DEP_2)
	v_cmpx_ne_u32_e32 0x7f, v4
	s_cbranch_execz .LBB347_1116
; %bb.1113:                             ;   in Loop: Header=BB347_813 Depth=1
	v_mov_b64_e32 v[22:23], v[26:27]
	v_lshrrev_b32_e32 v3, 3, v4
	s_mov_b32 s17, exec_lo
	v_cmpx_gt_u32_e32 8, v4
; %bb.1114:                             ;   in Loop: Header=BB347_813 Depth=1
	v_and_b32_e32 v3, 7, v19
	s_delay_alu instid0(VALU_DEP_1) | instskip(NEXT) | instid1(VALU_DEP_1)
	v_clz_i32_u32_e32 v3, v3
	v_min_u32_e32 v3, 32, v3
	s_delay_alu instid0(VALU_DEP_1) | instskip(SKIP_1) | instid1(VALU_DEP_2)
	v_subrev_nc_u32_e32 v4, 28, v3
	v_sub_nc_u32_e32 v3, 29, v3
	v_lshlrev_b64_e32 v[22:23], v4, v[26:27]
; %bb.1115:                             ;   in Loop: Header=BB347_813 Depth=1
	s_or_b32 exec_lo, exec_lo, s17
	s_delay_alu instid0(VALU_DEP_1) | instskip(SKIP_2) | instid1(VALU_DEP_3)
	v_lshlrev_b32_e32 v4, 20, v22
	v_lshlrev_b32_e32 v5, 24, v26
	v_lshl_add_u32 v3, v3, 23, 0x3c000000
	v_and_b32_e32 v4, 0x700000, v4
	s_delay_alu instid0(VALU_DEP_3) | instskip(NEXT) | instid1(VALU_DEP_1)
	v_and_b32_e32 v5, 0x80000000, v5
	v_or3_b32 v35, v4, v5, v3
.LBB347_1116:                           ;   in Loop: Header=BB347_813 Depth=1
	s_or_b32 exec_lo, exec_lo, s16
.LBB347_1117:                           ;   in Loop: Header=BB347_813 Depth=1
	s_delay_alu instid0(SALU_CYCLE_1)
	s_or_b32 exec_lo, exec_lo, s15
.LBB347_1118:                           ;   in Loop: Header=BB347_813 Depth=1
	s_delay_alu instid0(SALU_CYCLE_1) | instskip(SKIP_2) | instid1(VALU_DEP_1)
	s_or_b32 exec_lo, exec_lo, s14
	v_lshrrev_b16 v3, 8, v26
	s_mov_b32 s14, exec_lo
	v_cmpx_ne_u16_e32 0, v3
	s_cbranch_execz .LBB347_1126
; %bb.1119:                             ;   in Loop: Header=BB347_813 Depth=1
	v_bfrev_b32_e32 v2, 1
	s_mov_b32 s15, exec_lo
	v_cmpx_ne_u16_e32 0x80, v3
	s_cbranch_execz .LBB347_1125
; %bb.1120:                             ;   in Loop: Header=BB347_813 Depth=1
	v_and_b32_e32 v4, 0xffff, v3
	v_mov_b32_e32 v2, 0x7f800001
	s_mov_b32 s16, exec_lo
	s_delay_alu instid0(VALU_DEP_2) | instskip(NEXT) | instid1(VALU_DEP_1)
	v_and_b32_e32 v3, 0x7f, v4
	v_cmpx_ne_u32_e32 0x7f, v3
	s_cbranch_execz .LBB347_1124
; %bb.1121:                             ;   in Loop: Header=BB347_813 Depth=1
	v_dual_mov_b32 v23, v27 :: v_dual_bitop2_b32 v22, 7, v4 bitop3:0x40
	v_lshrrev_b32_e32 v2, 3, v3
	s_mov_b32 s17, exec_lo
	v_cmpx_gt_u32_e32 8, v3
; %bb.1122:                             ;   in Loop: Header=BB347_813 Depth=1
	s_delay_alu instid0(VALU_DEP_3) | instskip(NEXT) | instid1(VALU_DEP_1)
	v_clz_i32_u32_e32 v2, v22
	v_min_u32_e32 v2, 32, v2
	s_delay_alu instid0(VALU_DEP_1) | instskip(NEXT) | instid1(VALU_DEP_1)
	v_subrev_nc_u32_e32 v3, 28, v2
	v_lshlrev_b64_e32 v[4:5], v3, v[22:23]
	s_delay_alu instid0(VALU_DEP_1)
	v_dual_sub_nc_u32 v2, 29, v2 :: v_dual_bitop2_b32 v22, 7, v4 bitop3:0x40
; %bb.1123:                             ;   in Loop: Header=BB347_813 Depth=1
	s_or_b32 exec_lo, exec_lo, s17
	v_lshlrev_b32_e32 v3, 16, v26
	s_delay_alu instid0(VALU_DEP_2) | instskip(NEXT) | instid1(VALU_DEP_3)
	v_lshlrev_b32_e32 v4, 20, v22
	v_lshl_add_u32 v2, v2, 23, 0x3c000000
	s_delay_alu instid0(VALU_DEP_3) | instskip(NEXT) | instid1(VALU_DEP_1)
	v_and_b32_e32 v3, 0x80000000, v3
	v_or3_b32 v2, v4, v3, v2
.LBB347_1124:                           ;   in Loop: Header=BB347_813 Depth=1
	s_or_b32 exec_lo, exec_lo, s16
.LBB347_1125:                           ;   in Loop: Header=BB347_813 Depth=1
	s_delay_alu instid0(SALU_CYCLE_1)
	s_or_b32 exec_lo, exec_lo, s15
.LBB347_1126:                           ;   in Loop: Header=BB347_813 Depth=1
	s_delay_alu instid0(SALU_CYCLE_1) | instskip(SKIP_3) | instid1(VALU_DEP_2)
	s_or_b32 exec_lo, exec_lo, s14
	v_dual_lshrrev_b32 v5, 16, v19 :: v_dual_mov_b32 v3, 0
	v_mov_b32_e32 v4, 0
	s_mov_b32 s14, exec_lo
	v_and_b32_e32 v22, 0xff, v5
	s_delay_alu instid0(VALU_DEP_1)
	v_cmpx_ne_u16_e32 0, v22
	s_cbranch_execz .LBB347_1134
; %bb.1127:                             ;   in Loop: Header=BB347_813 Depth=1
	v_bfrev_b32_e32 v4, 1
	s_mov_b32 s15, exec_lo
	v_cmpx_ne_u16_e32 0x80, v22
	s_cbranch_execz .LBB347_1133
; %bb.1128:                             ;   in Loop: Header=BB347_813 Depth=1
	v_bfe_u32 v22, v19, 16, 7
	v_mov_b32_e32 v4, 0x7f800001
	s_mov_b32 s16, exec_lo
	s_delay_alu instid0(VALU_DEP_2)
	v_cmpx_ne_u32_e32 0x7f, v22
	s_cbranch_execz .LBB347_1132
; %bb.1129:                             ;   in Loop: Header=BB347_813 Depth=1
	v_dual_lshrrev_b32 v4, 3, v22 :: v_dual_bitop2_b32 v26, 7, v5 bitop3:0x40
	s_mov_b32 s17, exec_lo
	v_cmpx_gt_u32_e32 8, v22
; %bb.1130:                             ;   in Loop: Header=BB347_813 Depth=1
	s_delay_alu instid0(VALU_DEP_2) | instskip(NEXT) | instid1(VALU_DEP_1)
	v_clz_i32_u32_e32 v4, v26
	v_min_u32_e32 v4, 32, v4
	s_delay_alu instid0(VALU_DEP_1) | instskip(NEXT) | instid1(VALU_DEP_1)
	v_subrev_nc_u32_e32 v6, 28, v4
	v_lshlrev_b64_e32 v[22:23], v6, v[26:27]
	s_delay_alu instid0(VALU_DEP_1)
	v_dual_sub_nc_u32 v4, 29, v4 :: v_dual_bitop2_b32 v26, 7, v22 bitop3:0x40
; %bb.1131:                             ;   in Loop: Header=BB347_813 Depth=1
	s_or_b32 exec_lo, exec_lo, s17
	s_delay_alu instid0(VALU_DEP_1) | instskip(NEXT) | instid1(VALU_DEP_2)
	v_dual_lshlrev_b32 v5, 24, v5 :: v_dual_lshlrev_b32 v6, 20, v26
	v_lshl_add_u32 v4, v4, 23, 0x3c000000
	s_delay_alu instid0(VALU_DEP_2) | instskip(NEXT) | instid1(VALU_DEP_1)
	v_and_b32_e32 v5, 0x80000000, v5
	v_or3_b32 v4, v6, v5, v4
.LBB347_1132:                           ;   in Loop: Header=BB347_813 Depth=1
	s_or_b32 exec_lo, exec_lo, s16
.LBB347_1133:                           ;   in Loop: Header=BB347_813 Depth=1
	s_delay_alu instid0(SALU_CYCLE_1)
	s_or_b32 exec_lo, exec_lo, s15
.LBB347_1134:                           ;   in Loop: Header=BB347_813 Depth=1
	s_delay_alu instid0(SALU_CYCLE_1) | instskip(NEXT) | instid1(SALU_CYCLE_1)
	s_or_b32 exec_lo, exec_lo, s14
	s_mov_b32 s14, exec_lo
	v_cmpx_lt_u64_e64 s[2:3], v[18:19]
	s_cbranch_execz .LBB347_1142
; %bb.1135:                             ;   in Loop: Header=BB347_813 Depth=1
	v_lshrrev_b32_e32 v5, 24, v19
	v_bfrev_b32_e32 v3, 1
	s_mov_b32 s15, exec_lo
	s_delay_alu instid0(VALU_DEP_2)
	v_cmpx_ne_u32_e32 0x80, v5
	s_cbranch_execz .LBB347_1141
; %bb.1136:                             ;   in Loop: Header=BB347_813 Depth=1
	v_bfe_u32 v18, v19, 24, 7
	v_mov_b32_e32 v3, 0x7f800001
	s_mov_b32 s16, exec_lo
	s_delay_alu instid0(VALU_DEP_2)
	v_cmpx_ne_u32_e32 0x7f, v18
	s_cbranch_execz .LBB347_1140
; %bb.1137:                             ;   in Loop: Header=BB347_813 Depth=1
	v_dual_lshrrev_b32 v3, 3, v18 :: v_dual_bitop2_b32 v26, 7, v5 bitop3:0x40
	s_mov_b32 s17, exec_lo
	v_cmpx_gt_u32_e32 8, v18
; %bb.1138:                             ;   in Loop: Header=BB347_813 Depth=1
	s_delay_alu instid0(VALU_DEP_2) | instskip(NEXT) | instid1(VALU_DEP_1)
	v_clz_i32_u32_e32 v3, v26
	v_min_u32_e32 v3, 32, v3
	s_delay_alu instid0(VALU_DEP_1) | instskip(NEXT) | instid1(VALU_DEP_1)
	v_subrev_nc_u32_e32 v6, 28, v3
	v_lshlrev_b64_e32 v[18:19], v6, v[26:27]
	s_delay_alu instid0(VALU_DEP_1)
	v_dual_sub_nc_u32 v3, 29, v3 :: v_dual_bitop2_b32 v26, 7, v18 bitop3:0x40
; %bb.1139:                             ;   in Loop: Header=BB347_813 Depth=1
	s_or_b32 exec_lo, exec_lo, s17
	s_delay_alu instid0(VALU_DEP_1) | instskip(NEXT) | instid1(VALU_DEP_2)
	v_dual_lshlrev_b32 v5, 24, v5 :: v_dual_lshlrev_b32 v6, 20, v26
	v_lshl_add_u32 v3, v3, 23, 0x3c000000
	s_delay_alu instid0(VALU_DEP_2) | instskip(NEXT) | instid1(VALU_DEP_1)
	v_and_b32_e32 v5, 0x80000000, v5
	v_or3_b32 v3, v6, v5, v3
.LBB347_1140:                           ;   in Loop: Header=BB347_813 Depth=1
	s_or_b32 exec_lo, exec_lo, s16
.LBB347_1141:                           ;   in Loop: Header=BB347_813 Depth=1
	s_delay_alu instid0(SALU_CYCLE_1)
	s_or_b32 exec_lo, exec_lo, s15
.LBB347_1142:                           ;   in Loop: Header=BB347_813 Depth=1
	s_delay_alu instid0(SALU_CYCLE_1)
	s_or_b32 exec_lo, exec_lo, s14
	v_fma_mixlo_bf16 v45, v68, v2, 0
	v_fma_mixlo_bf16 v46, v68, v35, 0
	;; [unrolled: 1-line block ×8, first 2 shown]
	s_and_saveexec_b32 s14, vcc_lo
	s_cbranch_execz .LBB347_1144
; %bb.1143:                             ;   in Loop: Header=BB347_813 Depth=1
	v_cmp_lt_i32_e64 s0, v96, v60
	s_delay_alu instid0(VALU_DEP_1) | instskip(SKIP_1) | instid1(VALU_DEP_1)
	v_cndmask_b32_e64 v74, 0, v74, s0
	v_cmp_lt_i32_e64 s0, v100, v60
	v_cndmask_b32_e64 v59, 0, v59, s0
	v_cmp_lt_i32_e64 s0, v99, v60
	s_delay_alu instid0(VALU_DEP_1) | instskip(SKIP_1) | instid1(VALU_DEP_1)
	v_cndmask_b32_e64 v58, 0, v58, s0
	v_cmp_lt_i32_e64 s0, v98, v60
	v_cndmask_b32_e64 v57, 0, v57, s0
	;; [unrolled: 5-line block ×4, first 2 shown]
.LBB347_1144:                           ;   in Loop: Header=BB347_813 Depth=1
	s_or_b32 exec_lo, exec_lo, s14
	flat_load_b64 v[18:19], v[0:1] offset:1280
	v_dual_mov_b32 v17, 0 :: v_dual_mov_b32 v16, 0
	s_mov_b32 s14, exec_lo
	s_wait_loadcnt_dscnt 0x0
	v_and_b32_e32 v2, 0xff, v18
	s_wait_xcnt 0x0
	s_delay_alu instid0(VALU_DEP_1)
	v_cmpx_ne_u16_e32 0, v2
	s_cbranch_execz .LBB347_1152
; %bb.1145:                             ;   in Loop: Header=BB347_813 Depth=1
	v_bfrev_b32_e32 v16, 1
	s_mov_b32 s15, exec_lo
	v_cmpx_ne_u16_e32 0x80, v2
	s_cbranch_execz .LBB347_1151
; %bb.1146:                             ;   in Loop: Header=BB347_813 Depth=1
	v_and_b32_e32 v3, 0x7f, v18
	v_mov_b32_e32 v16, 0x7f800001
	s_mov_b32 s16, exec_lo
	s_delay_alu instid0(VALU_DEP_2)
	v_cmpx_ne_u32_e32 0x7f, v3
	s_cbranch_execz .LBB347_1150
; %bb.1147:                             ;   in Loop: Header=BB347_813 Depth=1
	v_mov_b64_e32 v[22:23], v[18:19]
	v_lshrrev_b32_e32 v2, 3, v3
	s_mov_b32 s17, exec_lo
	v_cmpx_gt_u32_e32 8, v3
; %bb.1148:                             ;   in Loop: Header=BB347_813 Depth=1
	v_and_b32_e32 v2, 7, v18
	s_delay_alu instid0(VALU_DEP_1) | instskip(NEXT) | instid1(VALU_DEP_1)
	v_clz_i32_u32_e32 v2, v2
	v_min_u32_e32 v2, 32, v2
	s_delay_alu instid0(VALU_DEP_1) | instskip(SKIP_1) | instid1(VALU_DEP_2)
	v_subrev_nc_u32_e32 v3, 28, v2
	v_sub_nc_u32_e32 v2, 29, v2
	v_lshlrev_b64_e32 v[22:23], v3, v[18:19]
; %bb.1149:                             ;   in Loop: Header=BB347_813 Depth=1
	s_or_b32 exec_lo, exec_lo, s17
	s_delay_alu instid0(VALU_DEP_1) | instskip(SKIP_2) | instid1(VALU_DEP_3)
	v_lshlrev_b32_e32 v3, 20, v22
	v_lshlrev_b32_e32 v4, 24, v18
	v_lshl_add_u32 v2, v2, 23, 0x3c000000
	v_and_b32_e32 v3, 0x700000, v3
	s_delay_alu instid0(VALU_DEP_3) | instskip(NEXT) | instid1(VALU_DEP_1)
	v_and_b32_e32 v4, 0x80000000, v4
	v_or3_b32 v16, v3, v4, v2
.LBB347_1150:                           ;   in Loop: Header=BB347_813 Depth=1
	s_or_b32 exec_lo, exec_lo, s16
.LBB347_1151:                           ;   in Loop: Header=BB347_813 Depth=1
	s_delay_alu instid0(SALU_CYCLE_1)
	s_or_b32 exec_lo, exec_lo, s15
.LBB347_1152:                           ;   in Loop: Header=BB347_813 Depth=1
	s_delay_alu instid0(SALU_CYCLE_1) | instskip(SKIP_2) | instid1(VALU_DEP_1)
	s_or_b32 exec_lo, exec_lo, s14
	v_lshrrev_b16 v2, 8, v18
	s_mov_b32 s14, exec_lo
	v_cmpx_ne_u16_e32 0, v2
	s_cbranch_execz .LBB347_1160
; %bb.1153:                             ;   in Loop: Header=BB347_813 Depth=1
	v_bfrev_b32_e32 v17, 1
	s_mov_b32 s15, exec_lo
	v_cmpx_ne_u16_e32 0x80, v2
	s_cbranch_execz .LBB347_1159
; %bb.1154:                             ;   in Loop: Header=BB347_813 Depth=1
	v_and_b32_e32 v2, 0xffff, v2
	v_mov_b32_e32 v17, 0x7f800001
	s_mov_b32 s16, exec_lo
	s_delay_alu instid0(VALU_DEP_2) | instskip(NEXT) | instid1(VALU_DEP_1)
	v_and_b32_e32 v3, 0x7f, v2
	v_cmpx_ne_u32_e32 0x7f, v3
	s_cbranch_execz .LBB347_1158
; %bb.1155:                             ;   in Loop: Header=BB347_813 Depth=1
	v_dual_lshrrev_b32 v2, 3, v3 :: v_dual_bitop2_b32 v26, 7, v2 bitop3:0x40
	s_mov_b32 s17, exec_lo
	v_cmpx_gt_u32_e32 8, v3
; %bb.1156:                             ;   in Loop: Header=BB347_813 Depth=1
	s_delay_alu instid0(VALU_DEP_2) | instskip(NEXT) | instid1(VALU_DEP_1)
	v_clz_i32_u32_e32 v2, v26
	v_min_u32_e32 v2, 32, v2
	s_delay_alu instid0(VALU_DEP_1) | instskip(NEXT) | instid1(VALU_DEP_1)
	v_subrev_nc_u32_e32 v3, 28, v2
	v_lshlrev_b64_e32 v[4:5], v3, v[26:27]
	s_delay_alu instid0(VALU_DEP_1)
	v_dual_sub_nc_u32 v2, 29, v2 :: v_dual_bitop2_b32 v26, 7, v4 bitop3:0x40
; %bb.1157:                             ;   in Loop: Header=BB347_813 Depth=1
	s_or_b32 exec_lo, exec_lo, s17
	v_lshlrev_b32_e32 v3, 16, v18
	s_delay_alu instid0(VALU_DEP_2) | instskip(NEXT) | instid1(VALU_DEP_3)
	v_lshlrev_b32_e32 v4, 20, v26
	v_lshl_add_u32 v2, v2, 23, 0x3c000000
	s_delay_alu instid0(VALU_DEP_3) | instskip(NEXT) | instid1(VALU_DEP_1)
	v_and_b32_e32 v3, 0x80000000, v3
	v_or3_b32 v17, v4, v3, v2
.LBB347_1158:                           ;   in Loop: Header=BB347_813 Depth=1
	s_or_b32 exec_lo, exec_lo, s16
.LBB347_1159:                           ;   in Loop: Header=BB347_813 Depth=1
	s_delay_alu instid0(SALU_CYCLE_1)
	s_or_b32 exec_lo, exec_lo, s15
.LBB347_1160:                           ;   in Loop: Header=BB347_813 Depth=1
	s_delay_alu instid0(SALU_CYCLE_1) | instskip(SKIP_3) | instid1(VALU_DEP_2)
	s_or_b32 exec_lo, exec_lo, s14
	v_dual_lshrrev_b32 v2, 16, v18 :: v_dual_mov_b32 v34, 0
	v_mov_b32_e32 v25, 0
	s_mov_b32 s14, exec_lo
	v_and_b32_e32 v3, 0xff, v2
	s_delay_alu instid0(VALU_DEP_1)
	v_cmpx_ne_u16_e32 0, v3
	s_cbranch_execz .LBB347_1168
; %bb.1161:                             ;   in Loop: Header=BB347_813 Depth=1
	v_bfrev_b32_e32 v25, 1
	s_mov_b32 s15, exec_lo
	v_cmpx_ne_u16_e32 0x80, v3
	s_cbranch_execz .LBB347_1167
; %bb.1162:                             ;   in Loop: Header=BB347_813 Depth=1
	v_bfe_u32 v4, v18, 16, 7
	v_mov_b32_e32 v25, 0x7f800001
	s_mov_b32 s16, exec_lo
	s_delay_alu instid0(VALU_DEP_2)
	v_cmpx_ne_u32_e32 0x7f, v4
	s_cbranch_execz .LBB347_1166
; %bb.1163:                             ;   in Loop: Header=BB347_813 Depth=1
	v_dual_lshrrev_b32 v3, 3, v4 :: v_dual_bitop2_b32 v26, 7, v2 bitop3:0x40
	s_mov_b32 s17, exec_lo
	v_cmpx_gt_u32_e32 8, v4
; %bb.1164:                             ;   in Loop: Header=BB347_813 Depth=1
	s_delay_alu instid0(VALU_DEP_2) | instskip(NEXT) | instid1(VALU_DEP_1)
	v_clz_i32_u32_e32 v3, v26
	v_min_u32_e32 v3, 32, v3
	s_delay_alu instid0(VALU_DEP_1) | instskip(NEXT) | instid1(VALU_DEP_1)
	v_subrev_nc_u32_e32 v4, 28, v3
	v_lshlrev_b64_e32 v[4:5], v4, v[26:27]
	s_delay_alu instid0(VALU_DEP_1)
	v_dual_sub_nc_u32 v3, 29, v3 :: v_dual_bitop2_b32 v26, 7, v4 bitop3:0x40
; %bb.1165:                             ;   in Loop: Header=BB347_813 Depth=1
	s_or_b32 exec_lo, exec_lo, s17
	v_lshlrev_b32_e32 v2, 24, v2
	s_delay_alu instid0(VALU_DEP_2) | instskip(NEXT) | instid1(VALU_DEP_3)
	v_lshlrev_b32_e32 v4, 20, v26
	v_lshl_add_u32 v3, v3, 23, 0x3c000000
	s_delay_alu instid0(VALU_DEP_3) | instskip(NEXT) | instid1(VALU_DEP_1)
	v_and_b32_e32 v2, 0x80000000, v2
	v_or3_b32 v25, v4, v2, v3
.LBB347_1166:                           ;   in Loop: Header=BB347_813 Depth=1
	s_or_b32 exec_lo, exec_lo, s16
.LBB347_1167:                           ;   in Loop: Header=BB347_813 Depth=1
	s_delay_alu instid0(SALU_CYCLE_1)
	s_or_b32 exec_lo, exec_lo, s15
.LBB347_1168:                           ;   in Loop: Header=BB347_813 Depth=1
	s_delay_alu instid0(SALU_CYCLE_1) | instskip(NEXT) | instid1(SALU_CYCLE_1)
	s_or_b32 exec_lo, exec_lo, s14
	s_mov_b32 s14, exec_lo
	v_cmpx_lt_u32_e32 0xffffff, v18
	s_cbranch_execz .LBB347_1176
; %bb.1169:                             ;   in Loop: Header=BB347_813 Depth=1
	v_lshrrev_b32_e32 v2, 24, v18
	v_bfrev_b32_e32 v34, 1
	s_mov_b32 s15, exec_lo
	s_delay_alu instid0(VALU_DEP_2)
	v_cmpx_ne_u32_e32 0x80, v2
	s_cbranch_execz .LBB347_1175
; %bb.1170:                             ;   in Loop: Header=BB347_813 Depth=1
	v_bfe_u32 v4, v18, 24, 7
	v_mov_b32_e32 v34, 0x7f800001
	s_mov_b32 s16, exec_lo
	s_delay_alu instid0(VALU_DEP_2)
	v_cmpx_ne_u32_e32 0x7f, v4
	s_cbranch_execz .LBB347_1174
; %bb.1171:                             ;   in Loop: Header=BB347_813 Depth=1
	v_dual_lshrrev_b32 v3, 3, v4 :: v_dual_bitop2_b32 v26, 7, v2 bitop3:0x40
	s_mov_b32 s17, exec_lo
	v_cmpx_gt_u32_e32 8, v4
; %bb.1172:                             ;   in Loop: Header=BB347_813 Depth=1
	s_delay_alu instid0(VALU_DEP_2) | instskip(NEXT) | instid1(VALU_DEP_1)
	v_clz_i32_u32_e32 v3, v26
	v_min_u32_e32 v3, 32, v3
	s_delay_alu instid0(VALU_DEP_1) | instskip(NEXT) | instid1(VALU_DEP_1)
	v_subrev_nc_u32_e32 v4, 28, v3
	v_lshlrev_b64_e32 v[4:5], v4, v[26:27]
	s_delay_alu instid0(VALU_DEP_1)
	v_dual_sub_nc_u32 v3, 29, v3 :: v_dual_bitop2_b32 v26, 7, v4 bitop3:0x40
; %bb.1173:                             ;   in Loop: Header=BB347_813 Depth=1
	s_or_b32 exec_lo, exec_lo, s17
	v_lshlrev_b32_e32 v2, 24, v2
	s_delay_alu instid0(VALU_DEP_2) | instskip(NEXT) | instid1(VALU_DEP_3)
	v_lshlrev_b32_e32 v4, 20, v26
	v_lshl_add_u32 v3, v3, 23, 0x3c000000
	s_delay_alu instid0(VALU_DEP_3) | instskip(NEXT) | instid1(VALU_DEP_1)
	v_and_b32_e32 v2, 0x80000000, v2
	v_or3_b32 v34, v4, v2, v3
.LBB347_1174:                           ;   in Loop: Header=BB347_813 Depth=1
	s_or_b32 exec_lo, exec_lo, s16
.LBB347_1175:                           ;   in Loop: Header=BB347_813 Depth=1
	s_delay_alu instid0(SALU_CYCLE_1)
	s_or_b32 exec_lo, exec_lo, s15
.LBB347_1176:                           ;   in Loop: Header=BB347_813 Depth=1
	s_delay_alu instid0(SALU_CYCLE_1) | instskip(SKIP_4) | instid1(VALU_DEP_3)
	s_or_b32 exec_lo, exec_lo, s14
	v_and_b32_e32 v3, 0xff, v19
	v_dual_mov_b32 v26, v19 :: v_dual_mov_b32 v2, 0
	v_mov_b32_e32 v35, 0
	s_mov_b32 s14, exec_lo
	v_cmpx_ne_u16_e32 0, v3
	s_cbranch_execz .LBB347_1184
; %bb.1177:                             ;   in Loop: Header=BB347_813 Depth=1
	v_bfrev_b32_e32 v35, 1
	s_mov_b32 s15, exec_lo
	v_cmpx_ne_u16_e32 0x80, v3
	s_cbranch_execz .LBB347_1183
; %bb.1178:                             ;   in Loop: Header=BB347_813 Depth=1
	v_and_b32_e32 v4, 0x7f, v19
	v_mov_b32_e32 v35, 0x7f800001
	s_mov_b32 s16, exec_lo
	s_delay_alu instid0(VALU_DEP_2)
	v_cmpx_ne_u32_e32 0x7f, v4
	s_cbranch_execz .LBB347_1182
; %bb.1179:                             ;   in Loop: Header=BB347_813 Depth=1
	v_mov_b64_e32 v[22:23], v[26:27]
	v_lshrrev_b32_e32 v3, 3, v4
	s_mov_b32 s17, exec_lo
	v_cmpx_gt_u32_e32 8, v4
; %bb.1180:                             ;   in Loop: Header=BB347_813 Depth=1
	v_and_b32_e32 v3, 7, v19
	s_delay_alu instid0(VALU_DEP_1) | instskip(NEXT) | instid1(VALU_DEP_1)
	v_clz_i32_u32_e32 v3, v3
	v_min_u32_e32 v3, 32, v3
	s_delay_alu instid0(VALU_DEP_1) | instskip(SKIP_1) | instid1(VALU_DEP_2)
	v_subrev_nc_u32_e32 v4, 28, v3
	v_sub_nc_u32_e32 v3, 29, v3
	v_lshlrev_b64_e32 v[22:23], v4, v[26:27]
; %bb.1181:                             ;   in Loop: Header=BB347_813 Depth=1
	s_or_b32 exec_lo, exec_lo, s17
	s_delay_alu instid0(VALU_DEP_1) | instskip(SKIP_2) | instid1(VALU_DEP_3)
	v_lshlrev_b32_e32 v4, 20, v22
	v_lshlrev_b32_e32 v5, 24, v26
	v_lshl_add_u32 v3, v3, 23, 0x3c000000
	v_and_b32_e32 v4, 0x700000, v4
	s_delay_alu instid0(VALU_DEP_3) | instskip(NEXT) | instid1(VALU_DEP_1)
	v_and_b32_e32 v5, 0x80000000, v5
	v_or3_b32 v35, v4, v5, v3
.LBB347_1182:                           ;   in Loop: Header=BB347_813 Depth=1
	s_or_b32 exec_lo, exec_lo, s16
.LBB347_1183:                           ;   in Loop: Header=BB347_813 Depth=1
	s_delay_alu instid0(SALU_CYCLE_1)
	s_or_b32 exec_lo, exec_lo, s15
.LBB347_1184:                           ;   in Loop: Header=BB347_813 Depth=1
	s_delay_alu instid0(SALU_CYCLE_1) | instskip(SKIP_2) | instid1(VALU_DEP_1)
	s_or_b32 exec_lo, exec_lo, s14
	v_lshrrev_b16 v3, 8, v26
	s_mov_b32 s14, exec_lo
	v_cmpx_ne_u16_e32 0, v3
	s_cbranch_execz .LBB347_1192
; %bb.1185:                             ;   in Loop: Header=BB347_813 Depth=1
	v_bfrev_b32_e32 v2, 1
	s_mov_b32 s15, exec_lo
	v_cmpx_ne_u16_e32 0x80, v3
	s_cbranch_execz .LBB347_1191
; %bb.1186:                             ;   in Loop: Header=BB347_813 Depth=1
	v_and_b32_e32 v4, 0xffff, v3
	v_mov_b32_e32 v2, 0x7f800001
	s_mov_b32 s16, exec_lo
	s_delay_alu instid0(VALU_DEP_2) | instskip(NEXT) | instid1(VALU_DEP_1)
	v_and_b32_e32 v3, 0x7f, v4
	v_cmpx_ne_u32_e32 0x7f, v3
	s_cbranch_execz .LBB347_1190
; %bb.1187:                             ;   in Loop: Header=BB347_813 Depth=1
	v_dual_mov_b32 v23, v27 :: v_dual_bitop2_b32 v22, 7, v4 bitop3:0x40
	v_lshrrev_b32_e32 v2, 3, v3
	s_mov_b32 s17, exec_lo
	v_cmpx_gt_u32_e32 8, v3
; %bb.1188:                             ;   in Loop: Header=BB347_813 Depth=1
	s_delay_alu instid0(VALU_DEP_3) | instskip(NEXT) | instid1(VALU_DEP_1)
	v_clz_i32_u32_e32 v2, v22
	v_min_u32_e32 v2, 32, v2
	s_delay_alu instid0(VALU_DEP_1) | instskip(NEXT) | instid1(VALU_DEP_1)
	v_subrev_nc_u32_e32 v3, 28, v2
	v_lshlrev_b64_e32 v[4:5], v3, v[22:23]
	s_delay_alu instid0(VALU_DEP_1)
	v_dual_sub_nc_u32 v2, 29, v2 :: v_dual_bitop2_b32 v22, 7, v4 bitop3:0x40
; %bb.1189:                             ;   in Loop: Header=BB347_813 Depth=1
	s_or_b32 exec_lo, exec_lo, s17
	v_lshlrev_b32_e32 v3, 16, v26
	s_delay_alu instid0(VALU_DEP_2) | instskip(NEXT) | instid1(VALU_DEP_3)
	v_lshlrev_b32_e32 v4, 20, v22
	v_lshl_add_u32 v2, v2, 23, 0x3c000000
	s_delay_alu instid0(VALU_DEP_3) | instskip(NEXT) | instid1(VALU_DEP_1)
	v_and_b32_e32 v3, 0x80000000, v3
	v_or3_b32 v2, v4, v3, v2
.LBB347_1190:                           ;   in Loop: Header=BB347_813 Depth=1
	s_or_b32 exec_lo, exec_lo, s16
.LBB347_1191:                           ;   in Loop: Header=BB347_813 Depth=1
	s_delay_alu instid0(SALU_CYCLE_1)
	s_or_b32 exec_lo, exec_lo, s15
.LBB347_1192:                           ;   in Loop: Header=BB347_813 Depth=1
	s_delay_alu instid0(SALU_CYCLE_1) | instskip(SKIP_3) | instid1(VALU_DEP_2)
	s_or_b32 exec_lo, exec_lo, s14
	v_dual_lshrrev_b32 v5, 16, v19 :: v_dual_mov_b32 v3, 0
	v_mov_b32_e32 v4, 0
	s_mov_b32 s14, exec_lo
	v_and_b32_e32 v22, 0xff, v5
	s_delay_alu instid0(VALU_DEP_1)
	v_cmpx_ne_u16_e32 0, v22
	s_cbranch_execz .LBB347_1200
; %bb.1193:                             ;   in Loop: Header=BB347_813 Depth=1
	v_bfrev_b32_e32 v4, 1
	s_mov_b32 s15, exec_lo
	v_cmpx_ne_u16_e32 0x80, v22
	s_cbranch_execz .LBB347_1199
; %bb.1194:                             ;   in Loop: Header=BB347_813 Depth=1
	v_bfe_u32 v22, v19, 16, 7
	v_mov_b32_e32 v4, 0x7f800001
	s_mov_b32 s16, exec_lo
	s_delay_alu instid0(VALU_DEP_2)
	v_cmpx_ne_u32_e32 0x7f, v22
	s_cbranch_execz .LBB347_1198
; %bb.1195:                             ;   in Loop: Header=BB347_813 Depth=1
	v_dual_lshrrev_b32 v4, 3, v22 :: v_dual_bitop2_b32 v26, 7, v5 bitop3:0x40
	s_mov_b32 s17, exec_lo
	v_cmpx_gt_u32_e32 8, v22
; %bb.1196:                             ;   in Loop: Header=BB347_813 Depth=1
	s_delay_alu instid0(VALU_DEP_2) | instskip(NEXT) | instid1(VALU_DEP_1)
	v_clz_i32_u32_e32 v4, v26
	v_min_u32_e32 v4, 32, v4
	s_delay_alu instid0(VALU_DEP_1) | instskip(NEXT) | instid1(VALU_DEP_1)
	v_subrev_nc_u32_e32 v6, 28, v4
	v_lshlrev_b64_e32 v[22:23], v6, v[26:27]
	s_delay_alu instid0(VALU_DEP_1)
	v_dual_sub_nc_u32 v4, 29, v4 :: v_dual_bitop2_b32 v26, 7, v22 bitop3:0x40
; %bb.1197:                             ;   in Loop: Header=BB347_813 Depth=1
	s_or_b32 exec_lo, exec_lo, s17
	s_delay_alu instid0(VALU_DEP_1) | instskip(NEXT) | instid1(VALU_DEP_2)
	v_dual_lshlrev_b32 v5, 24, v5 :: v_dual_lshlrev_b32 v6, 20, v26
	v_lshl_add_u32 v4, v4, 23, 0x3c000000
	s_delay_alu instid0(VALU_DEP_2) | instskip(NEXT) | instid1(VALU_DEP_1)
	v_and_b32_e32 v5, 0x80000000, v5
	v_or3_b32 v4, v6, v5, v4
.LBB347_1198:                           ;   in Loop: Header=BB347_813 Depth=1
	s_or_b32 exec_lo, exec_lo, s16
.LBB347_1199:                           ;   in Loop: Header=BB347_813 Depth=1
	s_delay_alu instid0(SALU_CYCLE_1)
	s_or_b32 exec_lo, exec_lo, s15
.LBB347_1200:                           ;   in Loop: Header=BB347_813 Depth=1
	s_delay_alu instid0(SALU_CYCLE_1) | instskip(NEXT) | instid1(SALU_CYCLE_1)
	s_or_b32 exec_lo, exec_lo, s14
	s_mov_b32 s14, exec_lo
	v_cmpx_lt_u64_e64 s[2:3], v[18:19]
	s_cbranch_execz .LBB347_1208
; %bb.1201:                             ;   in Loop: Header=BB347_813 Depth=1
	v_lshrrev_b32_e32 v5, 24, v19
	v_bfrev_b32_e32 v3, 1
	s_mov_b32 s15, exec_lo
	s_delay_alu instid0(VALU_DEP_2)
	v_cmpx_ne_u32_e32 0x80, v5
	s_cbranch_execz .LBB347_1207
; %bb.1202:                             ;   in Loop: Header=BB347_813 Depth=1
	v_bfe_u32 v18, v19, 24, 7
	v_mov_b32_e32 v3, 0x7f800001
	s_mov_b32 s16, exec_lo
	s_delay_alu instid0(VALU_DEP_2)
	v_cmpx_ne_u32_e32 0x7f, v18
	s_cbranch_execz .LBB347_1206
; %bb.1203:                             ;   in Loop: Header=BB347_813 Depth=1
	v_dual_lshrrev_b32 v3, 3, v18 :: v_dual_bitop2_b32 v26, 7, v5 bitop3:0x40
	s_mov_b32 s17, exec_lo
	v_cmpx_gt_u32_e32 8, v18
; %bb.1204:                             ;   in Loop: Header=BB347_813 Depth=1
	s_delay_alu instid0(VALU_DEP_2) | instskip(NEXT) | instid1(VALU_DEP_1)
	v_clz_i32_u32_e32 v3, v26
	v_min_u32_e32 v3, 32, v3
	s_delay_alu instid0(VALU_DEP_1) | instskip(NEXT) | instid1(VALU_DEP_1)
	v_subrev_nc_u32_e32 v6, 28, v3
	v_lshlrev_b64_e32 v[18:19], v6, v[26:27]
	s_delay_alu instid0(VALU_DEP_1)
	v_dual_sub_nc_u32 v3, 29, v3 :: v_dual_bitop2_b32 v26, 7, v18 bitop3:0x40
; %bb.1205:                             ;   in Loop: Header=BB347_813 Depth=1
	s_or_b32 exec_lo, exec_lo, s17
	s_delay_alu instid0(VALU_DEP_1) | instskip(NEXT) | instid1(VALU_DEP_2)
	v_dual_lshlrev_b32 v5, 24, v5 :: v_dual_lshlrev_b32 v6, 20, v26
	v_lshl_add_u32 v3, v3, 23, 0x3c000000
	s_delay_alu instid0(VALU_DEP_2) | instskip(NEXT) | instid1(VALU_DEP_1)
	v_and_b32_e32 v5, 0x80000000, v5
	v_or3_b32 v3, v6, v5, v3
.LBB347_1206:                           ;   in Loop: Header=BB347_813 Depth=1
	s_or_b32 exec_lo, exec_lo, s16
.LBB347_1207:                           ;   in Loop: Header=BB347_813 Depth=1
	s_delay_alu instid0(SALU_CYCLE_1)
	s_or_b32 exec_lo, exec_lo, s15
.LBB347_1208:                           ;   in Loop: Header=BB347_813 Depth=1
	s_delay_alu instid0(SALU_CYCLE_1)
	s_or_b32 exec_lo, exec_lo, s14
	v_fma_mixlo_bf16 v75, v68, v2, 0
	v_fma_mixlo_bf16 v76, v68, v35, 0
	v_fma_mixlo_bf16 v79, v68, v34, 0
	v_fma_mixlo_bf16 v88, v68, v25, 0
	v_fma_mixlo_bf16 v89, v68, v17, 0
	v_fma_mixlo_bf16 v90, v68, v16, 0
	v_fma_mixlo_bf16 v77, v68, v4, 0
	v_fma_mixlo_bf16 v78, v68, v3, 0
	s_and_saveexec_b32 s14, vcc_lo
	s_cbranch_execz .LBB347_1210
; %bb.1209:                             ;   in Loop: Header=BB347_813 Depth=1
	v_cmp_lt_i32_e64 s0, v96, v60
	s_delay_alu instid0(VALU_DEP_1) | instskip(SKIP_1) | instid1(VALU_DEP_1)
	v_cndmask_b32_e64 v90, 0, v90, s0
	v_cmp_lt_i32_e64 s0, v100, v60
	v_cndmask_b32_e64 v89, 0, v89, s0
	v_cmp_lt_i32_e64 s0, v99, v60
	s_delay_alu instid0(VALU_DEP_1) | instskip(SKIP_1) | instid1(VALU_DEP_1)
	v_cndmask_b32_e64 v88, 0, v88, s0
	v_cmp_lt_i32_e64 s0, v98, v60
	v_cndmask_b32_e64 v79, 0, v79, s0
	;; [unrolled: 5-line block ×4, first 2 shown]
.LBB347_1210:                           ;   in Loop: Header=BB347_813 Depth=1
	s_or_b32 exec_lo, exec_lo, s14
	flat_load_b64 v[18:19], v[0:1] offset:1536
	v_dual_mov_b32 v17, 0 :: v_dual_mov_b32 v16, 0
	s_mov_b32 s14, exec_lo
	s_wait_loadcnt_dscnt 0x0
	v_and_b32_e32 v2, 0xff, v18
	s_wait_xcnt 0x0
	s_delay_alu instid0(VALU_DEP_1)
	v_cmpx_ne_u16_e32 0, v2
	s_cbranch_execz .LBB347_1218
; %bb.1211:                             ;   in Loop: Header=BB347_813 Depth=1
	v_bfrev_b32_e32 v16, 1
	s_mov_b32 s15, exec_lo
	v_cmpx_ne_u16_e32 0x80, v2
	s_cbranch_execz .LBB347_1217
; %bb.1212:                             ;   in Loop: Header=BB347_813 Depth=1
	v_and_b32_e32 v3, 0x7f, v18
	v_mov_b32_e32 v16, 0x7f800001
	s_mov_b32 s16, exec_lo
	s_delay_alu instid0(VALU_DEP_2)
	v_cmpx_ne_u32_e32 0x7f, v3
	s_cbranch_execz .LBB347_1216
; %bb.1213:                             ;   in Loop: Header=BB347_813 Depth=1
	v_mov_b64_e32 v[22:23], v[18:19]
	v_lshrrev_b32_e32 v2, 3, v3
	s_mov_b32 s17, exec_lo
	v_cmpx_gt_u32_e32 8, v3
; %bb.1214:                             ;   in Loop: Header=BB347_813 Depth=1
	v_and_b32_e32 v2, 7, v18
	s_delay_alu instid0(VALU_DEP_1) | instskip(NEXT) | instid1(VALU_DEP_1)
	v_clz_i32_u32_e32 v2, v2
	v_min_u32_e32 v2, 32, v2
	s_delay_alu instid0(VALU_DEP_1) | instskip(SKIP_1) | instid1(VALU_DEP_2)
	v_subrev_nc_u32_e32 v3, 28, v2
	v_sub_nc_u32_e32 v2, 29, v2
	v_lshlrev_b64_e32 v[22:23], v3, v[18:19]
; %bb.1215:                             ;   in Loop: Header=BB347_813 Depth=1
	s_or_b32 exec_lo, exec_lo, s17
	s_delay_alu instid0(VALU_DEP_1) | instskip(SKIP_2) | instid1(VALU_DEP_3)
	v_lshlrev_b32_e32 v3, 20, v22
	v_lshlrev_b32_e32 v4, 24, v18
	v_lshl_add_u32 v2, v2, 23, 0x3c000000
	v_and_b32_e32 v3, 0x700000, v3
	s_delay_alu instid0(VALU_DEP_3) | instskip(NEXT) | instid1(VALU_DEP_1)
	v_and_b32_e32 v4, 0x80000000, v4
	v_or3_b32 v16, v3, v4, v2
.LBB347_1216:                           ;   in Loop: Header=BB347_813 Depth=1
	s_or_b32 exec_lo, exec_lo, s16
.LBB347_1217:                           ;   in Loop: Header=BB347_813 Depth=1
	s_delay_alu instid0(SALU_CYCLE_1)
	s_or_b32 exec_lo, exec_lo, s15
.LBB347_1218:                           ;   in Loop: Header=BB347_813 Depth=1
	s_delay_alu instid0(SALU_CYCLE_1) | instskip(SKIP_2) | instid1(VALU_DEP_1)
	s_or_b32 exec_lo, exec_lo, s14
	v_lshrrev_b16 v2, 8, v18
	s_mov_b32 s14, exec_lo
	v_cmpx_ne_u16_e32 0, v2
	s_cbranch_execz .LBB347_1226
; %bb.1219:                             ;   in Loop: Header=BB347_813 Depth=1
	v_bfrev_b32_e32 v17, 1
	s_mov_b32 s15, exec_lo
	v_cmpx_ne_u16_e32 0x80, v2
	s_cbranch_execz .LBB347_1225
; %bb.1220:                             ;   in Loop: Header=BB347_813 Depth=1
	v_and_b32_e32 v2, 0xffff, v2
	v_mov_b32_e32 v17, 0x7f800001
	s_mov_b32 s16, exec_lo
	s_delay_alu instid0(VALU_DEP_2) | instskip(NEXT) | instid1(VALU_DEP_1)
	v_and_b32_e32 v3, 0x7f, v2
	v_cmpx_ne_u32_e32 0x7f, v3
	s_cbranch_execz .LBB347_1224
; %bb.1221:                             ;   in Loop: Header=BB347_813 Depth=1
	v_dual_lshrrev_b32 v2, 3, v3 :: v_dual_bitop2_b32 v26, 7, v2 bitop3:0x40
	s_mov_b32 s17, exec_lo
	v_cmpx_gt_u32_e32 8, v3
; %bb.1222:                             ;   in Loop: Header=BB347_813 Depth=1
	s_delay_alu instid0(VALU_DEP_2) | instskip(NEXT) | instid1(VALU_DEP_1)
	v_clz_i32_u32_e32 v2, v26
	v_min_u32_e32 v2, 32, v2
	s_delay_alu instid0(VALU_DEP_1) | instskip(NEXT) | instid1(VALU_DEP_1)
	v_subrev_nc_u32_e32 v3, 28, v2
	v_lshlrev_b64_e32 v[4:5], v3, v[26:27]
	s_delay_alu instid0(VALU_DEP_1)
	v_dual_sub_nc_u32 v2, 29, v2 :: v_dual_bitop2_b32 v26, 7, v4 bitop3:0x40
; %bb.1223:                             ;   in Loop: Header=BB347_813 Depth=1
	s_or_b32 exec_lo, exec_lo, s17
	v_lshlrev_b32_e32 v3, 16, v18
	s_delay_alu instid0(VALU_DEP_2) | instskip(NEXT) | instid1(VALU_DEP_3)
	v_lshlrev_b32_e32 v4, 20, v26
	v_lshl_add_u32 v2, v2, 23, 0x3c000000
	s_delay_alu instid0(VALU_DEP_3) | instskip(NEXT) | instid1(VALU_DEP_1)
	v_and_b32_e32 v3, 0x80000000, v3
	v_or3_b32 v17, v4, v3, v2
.LBB347_1224:                           ;   in Loop: Header=BB347_813 Depth=1
	s_or_b32 exec_lo, exec_lo, s16
.LBB347_1225:                           ;   in Loop: Header=BB347_813 Depth=1
	s_delay_alu instid0(SALU_CYCLE_1)
	s_or_b32 exec_lo, exec_lo, s15
.LBB347_1226:                           ;   in Loop: Header=BB347_813 Depth=1
	s_delay_alu instid0(SALU_CYCLE_1) | instskip(SKIP_3) | instid1(VALU_DEP_2)
	s_or_b32 exec_lo, exec_lo, s14
	v_dual_lshrrev_b32 v2, 16, v18 :: v_dual_mov_b32 v34, 0
	v_mov_b32_e32 v25, 0
	s_mov_b32 s14, exec_lo
	v_and_b32_e32 v3, 0xff, v2
	s_delay_alu instid0(VALU_DEP_1)
	v_cmpx_ne_u16_e32 0, v3
	s_cbranch_execz .LBB347_1234
; %bb.1227:                             ;   in Loop: Header=BB347_813 Depth=1
	v_bfrev_b32_e32 v25, 1
	s_mov_b32 s15, exec_lo
	v_cmpx_ne_u16_e32 0x80, v3
	s_cbranch_execz .LBB347_1233
; %bb.1228:                             ;   in Loop: Header=BB347_813 Depth=1
	v_bfe_u32 v4, v18, 16, 7
	v_mov_b32_e32 v25, 0x7f800001
	s_mov_b32 s16, exec_lo
	s_delay_alu instid0(VALU_DEP_2)
	v_cmpx_ne_u32_e32 0x7f, v4
	s_cbranch_execz .LBB347_1232
; %bb.1229:                             ;   in Loop: Header=BB347_813 Depth=1
	v_dual_lshrrev_b32 v3, 3, v4 :: v_dual_bitop2_b32 v26, 7, v2 bitop3:0x40
	s_mov_b32 s17, exec_lo
	v_cmpx_gt_u32_e32 8, v4
; %bb.1230:                             ;   in Loop: Header=BB347_813 Depth=1
	s_delay_alu instid0(VALU_DEP_2) | instskip(NEXT) | instid1(VALU_DEP_1)
	v_clz_i32_u32_e32 v3, v26
	v_min_u32_e32 v3, 32, v3
	s_delay_alu instid0(VALU_DEP_1) | instskip(NEXT) | instid1(VALU_DEP_1)
	v_subrev_nc_u32_e32 v4, 28, v3
	v_lshlrev_b64_e32 v[4:5], v4, v[26:27]
	s_delay_alu instid0(VALU_DEP_1)
	v_dual_sub_nc_u32 v3, 29, v3 :: v_dual_bitop2_b32 v26, 7, v4 bitop3:0x40
; %bb.1231:                             ;   in Loop: Header=BB347_813 Depth=1
	s_or_b32 exec_lo, exec_lo, s17
	v_lshlrev_b32_e32 v2, 24, v2
	s_delay_alu instid0(VALU_DEP_2) | instskip(NEXT) | instid1(VALU_DEP_3)
	v_lshlrev_b32_e32 v4, 20, v26
	v_lshl_add_u32 v3, v3, 23, 0x3c000000
	s_delay_alu instid0(VALU_DEP_3) | instskip(NEXT) | instid1(VALU_DEP_1)
	v_and_b32_e32 v2, 0x80000000, v2
	v_or3_b32 v25, v4, v2, v3
.LBB347_1232:                           ;   in Loop: Header=BB347_813 Depth=1
	s_or_b32 exec_lo, exec_lo, s16
.LBB347_1233:                           ;   in Loop: Header=BB347_813 Depth=1
	s_delay_alu instid0(SALU_CYCLE_1)
	s_or_b32 exec_lo, exec_lo, s15
.LBB347_1234:                           ;   in Loop: Header=BB347_813 Depth=1
	s_delay_alu instid0(SALU_CYCLE_1) | instskip(NEXT) | instid1(SALU_CYCLE_1)
	s_or_b32 exec_lo, exec_lo, s14
	s_mov_b32 s14, exec_lo
	v_cmpx_lt_u32_e32 0xffffff, v18
	s_cbranch_execz .LBB347_1242
; %bb.1235:                             ;   in Loop: Header=BB347_813 Depth=1
	v_lshrrev_b32_e32 v2, 24, v18
	v_bfrev_b32_e32 v34, 1
	s_mov_b32 s15, exec_lo
	s_delay_alu instid0(VALU_DEP_2)
	v_cmpx_ne_u32_e32 0x80, v2
	s_cbranch_execz .LBB347_1241
; %bb.1236:                             ;   in Loop: Header=BB347_813 Depth=1
	v_bfe_u32 v4, v18, 24, 7
	v_mov_b32_e32 v34, 0x7f800001
	s_mov_b32 s16, exec_lo
	s_delay_alu instid0(VALU_DEP_2)
	v_cmpx_ne_u32_e32 0x7f, v4
	s_cbranch_execz .LBB347_1240
; %bb.1237:                             ;   in Loop: Header=BB347_813 Depth=1
	v_dual_lshrrev_b32 v3, 3, v4 :: v_dual_bitop2_b32 v26, 7, v2 bitop3:0x40
	s_mov_b32 s17, exec_lo
	v_cmpx_gt_u32_e32 8, v4
; %bb.1238:                             ;   in Loop: Header=BB347_813 Depth=1
	s_delay_alu instid0(VALU_DEP_2) | instskip(NEXT) | instid1(VALU_DEP_1)
	v_clz_i32_u32_e32 v3, v26
	v_min_u32_e32 v3, 32, v3
	s_delay_alu instid0(VALU_DEP_1) | instskip(NEXT) | instid1(VALU_DEP_1)
	v_subrev_nc_u32_e32 v4, 28, v3
	v_lshlrev_b64_e32 v[4:5], v4, v[26:27]
	s_delay_alu instid0(VALU_DEP_1)
	v_dual_sub_nc_u32 v3, 29, v3 :: v_dual_bitop2_b32 v26, 7, v4 bitop3:0x40
; %bb.1239:                             ;   in Loop: Header=BB347_813 Depth=1
	s_or_b32 exec_lo, exec_lo, s17
	v_lshlrev_b32_e32 v2, 24, v2
	s_delay_alu instid0(VALU_DEP_2) | instskip(NEXT) | instid1(VALU_DEP_3)
	v_lshlrev_b32_e32 v4, 20, v26
	v_lshl_add_u32 v3, v3, 23, 0x3c000000
	s_delay_alu instid0(VALU_DEP_3) | instskip(NEXT) | instid1(VALU_DEP_1)
	v_and_b32_e32 v2, 0x80000000, v2
	v_or3_b32 v34, v4, v2, v3
.LBB347_1240:                           ;   in Loop: Header=BB347_813 Depth=1
	s_or_b32 exec_lo, exec_lo, s16
.LBB347_1241:                           ;   in Loop: Header=BB347_813 Depth=1
	s_delay_alu instid0(SALU_CYCLE_1)
	s_or_b32 exec_lo, exec_lo, s15
.LBB347_1242:                           ;   in Loop: Header=BB347_813 Depth=1
	s_delay_alu instid0(SALU_CYCLE_1) | instskip(SKIP_4) | instid1(VALU_DEP_3)
	s_or_b32 exec_lo, exec_lo, s14
	v_and_b32_e32 v3, 0xff, v19
	v_dual_mov_b32 v26, v19 :: v_dual_mov_b32 v2, 0
	v_mov_b32_e32 v35, 0
	s_mov_b32 s14, exec_lo
	v_cmpx_ne_u16_e32 0, v3
	s_cbranch_execz .LBB347_1250
; %bb.1243:                             ;   in Loop: Header=BB347_813 Depth=1
	v_bfrev_b32_e32 v35, 1
	s_mov_b32 s15, exec_lo
	v_cmpx_ne_u16_e32 0x80, v3
	s_cbranch_execz .LBB347_1249
; %bb.1244:                             ;   in Loop: Header=BB347_813 Depth=1
	v_and_b32_e32 v4, 0x7f, v19
	v_mov_b32_e32 v35, 0x7f800001
	s_mov_b32 s16, exec_lo
	s_delay_alu instid0(VALU_DEP_2)
	v_cmpx_ne_u32_e32 0x7f, v4
	s_cbranch_execz .LBB347_1248
; %bb.1245:                             ;   in Loop: Header=BB347_813 Depth=1
	v_mov_b64_e32 v[22:23], v[26:27]
	v_lshrrev_b32_e32 v3, 3, v4
	s_mov_b32 s17, exec_lo
	v_cmpx_gt_u32_e32 8, v4
; %bb.1246:                             ;   in Loop: Header=BB347_813 Depth=1
	v_and_b32_e32 v3, 7, v19
	s_delay_alu instid0(VALU_DEP_1) | instskip(NEXT) | instid1(VALU_DEP_1)
	v_clz_i32_u32_e32 v3, v3
	v_min_u32_e32 v3, 32, v3
	s_delay_alu instid0(VALU_DEP_1) | instskip(SKIP_1) | instid1(VALU_DEP_2)
	v_subrev_nc_u32_e32 v4, 28, v3
	v_sub_nc_u32_e32 v3, 29, v3
	v_lshlrev_b64_e32 v[22:23], v4, v[26:27]
; %bb.1247:                             ;   in Loop: Header=BB347_813 Depth=1
	s_or_b32 exec_lo, exec_lo, s17
	s_delay_alu instid0(VALU_DEP_1) | instskip(SKIP_2) | instid1(VALU_DEP_3)
	v_lshlrev_b32_e32 v4, 20, v22
	v_lshlrev_b32_e32 v5, 24, v26
	v_lshl_add_u32 v3, v3, 23, 0x3c000000
	v_and_b32_e32 v4, 0x700000, v4
	s_delay_alu instid0(VALU_DEP_3) | instskip(NEXT) | instid1(VALU_DEP_1)
	v_and_b32_e32 v5, 0x80000000, v5
	v_or3_b32 v35, v4, v5, v3
.LBB347_1248:                           ;   in Loop: Header=BB347_813 Depth=1
	s_or_b32 exec_lo, exec_lo, s16
.LBB347_1249:                           ;   in Loop: Header=BB347_813 Depth=1
	s_delay_alu instid0(SALU_CYCLE_1)
	s_or_b32 exec_lo, exec_lo, s15
.LBB347_1250:                           ;   in Loop: Header=BB347_813 Depth=1
	s_delay_alu instid0(SALU_CYCLE_1) | instskip(SKIP_2) | instid1(VALU_DEP_1)
	s_or_b32 exec_lo, exec_lo, s14
	v_lshrrev_b16 v3, 8, v26
	s_mov_b32 s14, exec_lo
	v_cmpx_ne_u16_e32 0, v3
	s_cbranch_execz .LBB347_1258
; %bb.1251:                             ;   in Loop: Header=BB347_813 Depth=1
	v_bfrev_b32_e32 v2, 1
	s_mov_b32 s15, exec_lo
	v_cmpx_ne_u16_e32 0x80, v3
	s_cbranch_execz .LBB347_1257
; %bb.1252:                             ;   in Loop: Header=BB347_813 Depth=1
	v_and_b32_e32 v4, 0xffff, v3
	v_mov_b32_e32 v2, 0x7f800001
	s_mov_b32 s16, exec_lo
	s_delay_alu instid0(VALU_DEP_2) | instskip(NEXT) | instid1(VALU_DEP_1)
	v_and_b32_e32 v3, 0x7f, v4
	v_cmpx_ne_u32_e32 0x7f, v3
	s_cbranch_execz .LBB347_1256
; %bb.1253:                             ;   in Loop: Header=BB347_813 Depth=1
	v_dual_mov_b32 v23, v27 :: v_dual_bitop2_b32 v22, 7, v4 bitop3:0x40
	v_lshrrev_b32_e32 v2, 3, v3
	s_mov_b32 s17, exec_lo
	v_cmpx_gt_u32_e32 8, v3
; %bb.1254:                             ;   in Loop: Header=BB347_813 Depth=1
	s_delay_alu instid0(VALU_DEP_3) | instskip(NEXT) | instid1(VALU_DEP_1)
	v_clz_i32_u32_e32 v2, v22
	v_min_u32_e32 v2, 32, v2
	s_delay_alu instid0(VALU_DEP_1) | instskip(NEXT) | instid1(VALU_DEP_1)
	v_subrev_nc_u32_e32 v3, 28, v2
	v_lshlrev_b64_e32 v[4:5], v3, v[22:23]
	s_delay_alu instid0(VALU_DEP_1)
	v_dual_sub_nc_u32 v2, 29, v2 :: v_dual_bitop2_b32 v22, 7, v4 bitop3:0x40
; %bb.1255:                             ;   in Loop: Header=BB347_813 Depth=1
	s_or_b32 exec_lo, exec_lo, s17
	v_lshlrev_b32_e32 v3, 16, v26
	s_delay_alu instid0(VALU_DEP_2) | instskip(NEXT) | instid1(VALU_DEP_3)
	v_lshlrev_b32_e32 v4, 20, v22
	v_lshl_add_u32 v2, v2, 23, 0x3c000000
	s_delay_alu instid0(VALU_DEP_3) | instskip(NEXT) | instid1(VALU_DEP_1)
	v_and_b32_e32 v3, 0x80000000, v3
	v_or3_b32 v2, v4, v3, v2
.LBB347_1256:                           ;   in Loop: Header=BB347_813 Depth=1
	s_or_b32 exec_lo, exec_lo, s16
.LBB347_1257:                           ;   in Loop: Header=BB347_813 Depth=1
	s_delay_alu instid0(SALU_CYCLE_1)
	s_or_b32 exec_lo, exec_lo, s15
.LBB347_1258:                           ;   in Loop: Header=BB347_813 Depth=1
	s_delay_alu instid0(SALU_CYCLE_1) | instskip(SKIP_3) | instid1(VALU_DEP_2)
	s_or_b32 exec_lo, exec_lo, s14
	v_dual_lshrrev_b32 v5, 16, v19 :: v_dual_mov_b32 v3, 0
	v_mov_b32_e32 v4, 0
	s_mov_b32 s14, exec_lo
	v_and_b32_e32 v22, 0xff, v5
	s_delay_alu instid0(VALU_DEP_1)
	v_cmpx_ne_u16_e32 0, v22
	s_cbranch_execz .LBB347_1266
; %bb.1259:                             ;   in Loop: Header=BB347_813 Depth=1
	v_bfrev_b32_e32 v4, 1
	s_mov_b32 s15, exec_lo
	v_cmpx_ne_u16_e32 0x80, v22
	s_cbranch_execz .LBB347_1265
; %bb.1260:                             ;   in Loop: Header=BB347_813 Depth=1
	v_bfe_u32 v22, v19, 16, 7
	v_mov_b32_e32 v4, 0x7f800001
	s_mov_b32 s16, exec_lo
	s_delay_alu instid0(VALU_DEP_2)
	v_cmpx_ne_u32_e32 0x7f, v22
	s_cbranch_execz .LBB347_1264
; %bb.1261:                             ;   in Loop: Header=BB347_813 Depth=1
	v_dual_lshrrev_b32 v4, 3, v22 :: v_dual_bitop2_b32 v26, 7, v5 bitop3:0x40
	s_mov_b32 s17, exec_lo
	v_cmpx_gt_u32_e32 8, v22
; %bb.1262:                             ;   in Loop: Header=BB347_813 Depth=1
	s_delay_alu instid0(VALU_DEP_2) | instskip(NEXT) | instid1(VALU_DEP_1)
	v_clz_i32_u32_e32 v4, v26
	v_min_u32_e32 v4, 32, v4
	s_delay_alu instid0(VALU_DEP_1) | instskip(NEXT) | instid1(VALU_DEP_1)
	v_subrev_nc_u32_e32 v6, 28, v4
	v_lshlrev_b64_e32 v[22:23], v6, v[26:27]
	s_delay_alu instid0(VALU_DEP_1)
	v_dual_sub_nc_u32 v4, 29, v4 :: v_dual_bitop2_b32 v26, 7, v22 bitop3:0x40
; %bb.1263:                             ;   in Loop: Header=BB347_813 Depth=1
	s_or_b32 exec_lo, exec_lo, s17
	s_delay_alu instid0(VALU_DEP_1) | instskip(NEXT) | instid1(VALU_DEP_2)
	v_dual_lshlrev_b32 v5, 24, v5 :: v_dual_lshlrev_b32 v6, 20, v26
	v_lshl_add_u32 v4, v4, 23, 0x3c000000
	s_delay_alu instid0(VALU_DEP_2) | instskip(NEXT) | instid1(VALU_DEP_1)
	v_and_b32_e32 v5, 0x80000000, v5
	v_or3_b32 v4, v6, v5, v4
.LBB347_1264:                           ;   in Loop: Header=BB347_813 Depth=1
	s_or_b32 exec_lo, exec_lo, s16
.LBB347_1265:                           ;   in Loop: Header=BB347_813 Depth=1
	s_delay_alu instid0(SALU_CYCLE_1)
	s_or_b32 exec_lo, exec_lo, s15
.LBB347_1266:                           ;   in Loop: Header=BB347_813 Depth=1
	s_delay_alu instid0(SALU_CYCLE_1) | instskip(NEXT) | instid1(SALU_CYCLE_1)
	s_or_b32 exec_lo, exec_lo, s14
	s_mov_b32 s14, exec_lo
	v_cmpx_lt_u64_e64 s[2:3], v[18:19]
	s_cbranch_execz .LBB347_1274
; %bb.1267:                             ;   in Loop: Header=BB347_813 Depth=1
	v_lshrrev_b32_e32 v5, 24, v19
	v_bfrev_b32_e32 v3, 1
	s_mov_b32 s15, exec_lo
	s_delay_alu instid0(VALU_DEP_2)
	v_cmpx_ne_u32_e32 0x80, v5
	s_cbranch_execz .LBB347_1273
; %bb.1268:                             ;   in Loop: Header=BB347_813 Depth=1
	v_bfe_u32 v18, v19, 24, 7
	v_mov_b32_e32 v3, 0x7f800001
	s_mov_b32 s16, exec_lo
	s_delay_alu instid0(VALU_DEP_2)
	v_cmpx_ne_u32_e32 0x7f, v18
	s_cbranch_execz .LBB347_1272
; %bb.1269:                             ;   in Loop: Header=BB347_813 Depth=1
	v_dual_lshrrev_b32 v3, 3, v18 :: v_dual_bitop2_b32 v26, 7, v5 bitop3:0x40
	s_mov_b32 s17, exec_lo
	v_cmpx_gt_u32_e32 8, v18
; %bb.1270:                             ;   in Loop: Header=BB347_813 Depth=1
	s_delay_alu instid0(VALU_DEP_2) | instskip(NEXT) | instid1(VALU_DEP_1)
	v_clz_i32_u32_e32 v3, v26
	v_min_u32_e32 v3, 32, v3
	s_delay_alu instid0(VALU_DEP_1) | instskip(NEXT) | instid1(VALU_DEP_1)
	v_subrev_nc_u32_e32 v6, 28, v3
	v_lshlrev_b64_e32 v[18:19], v6, v[26:27]
	s_delay_alu instid0(VALU_DEP_1)
	v_dual_sub_nc_u32 v3, 29, v3 :: v_dual_bitop2_b32 v26, 7, v18 bitop3:0x40
; %bb.1271:                             ;   in Loop: Header=BB347_813 Depth=1
	s_or_b32 exec_lo, exec_lo, s17
	s_delay_alu instid0(VALU_DEP_1) | instskip(NEXT) | instid1(VALU_DEP_2)
	v_dual_lshlrev_b32 v5, 24, v5 :: v_dual_lshlrev_b32 v6, 20, v26
	v_lshl_add_u32 v3, v3, 23, 0x3c000000
	s_delay_alu instid0(VALU_DEP_2) | instskip(NEXT) | instid1(VALU_DEP_1)
	v_and_b32_e32 v5, 0x80000000, v5
	v_or3_b32 v3, v6, v5, v3
.LBB347_1272:                           ;   in Loop: Header=BB347_813 Depth=1
	s_or_b32 exec_lo, exec_lo, s16
.LBB347_1273:                           ;   in Loop: Header=BB347_813 Depth=1
	s_delay_alu instid0(SALU_CYCLE_1)
	s_or_b32 exec_lo, exec_lo, s15
.LBB347_1274:                           ;   in Loop: Header=BB347_813 Depth=1
	s_delay_alu instid0(SALU_CYCLE_1)
	s_or_b32 exec_lo, exec_lo, s14
	v_fma_mixlo_bf16 v91, v68, v2, 0
	v_fma_mixlo_bf16 v92, v68, v35, 0
	;; [unrolled: 1-line block ×8, first 2 shown]
	s_and_saveexec_b32 s14, vcc_lo
	s_cbranch_execz .LBB347_1276
; %bb.1275:                             ;   in Loop: Header=BB347_813 Depth=1
	v_cmp_lt_i32_e64 s0, v96, v60
	s_delay_alu instid0(VALU_DEP_1) | instskip(SKIP_1) | instid1(VALU_DEP_1)
	v_cndmask_b32_e64 v106, 0, v106, s0
	v_cmp_lt_i32_e64 s0, v100, v60
	v_cndmask_b32_e64 v105, 0, v105, s0
	v_cmp_lt_i32_e64 s0, v99, v60
	s_delay_alu instid0(VALU_DEP_1) | instskip(SKIP_1) | instid1(VALU_DEP_1)
	v_cndmask_b32_e64 v104, 0, v104, s0
	v_cmp_lt_i32_e64 s0, v98, v60
	v_cndmask_b32_e64 v95, 0, v95, s0
	;; [unrolled: 5-line block ×4, first 2 shown]
.LBB347_1276:                           ;   in Loop: Header=BB347_813 Depth=1
	s_or_b32 exec_lo, exec_lo, s14
	flat_load_b64 v[18:19], v[0:1] offset:1792
	v_dual_mov_b32 v17, 0 :: v_dual_mov_b32 v16, 0
	s_mov_b32 s14, exec_lo
	s_wait_loadcnt_dscnt 0x0
	v_and_b32_e32 v2, 0xff, v18
	s_wait_xcnt 0x0
	s_delay_alu instid0(VALU_DEP_1)
	v_cmpx_ne_u16_e32 0, v2
	s_cbranch_execz .LBB347_1284
; %bb.1277:                             ;   in Loop: Header=BB347_813 Depth=1
	v_bfrev_b32_e32 v16, 1
	s_mov_b32 s15, exec_lo
	v_cmpx_ne_u16_e32 0x80, v2
	s_cbranch_execz .LBB347_1283
; %bb.1278:                             ;   in Loop: Header=BB347_813 Depth=1
	v_and_b32_e32 v3, 0x7f, v18
	v_mov_b32_e32 v16, 0x7f800001
	s_mov_b32 s16, exec_lo
	s_delay_alu instid0(VALU_DEP_2)
	v_cmpx_ne_u32_e32 0x7f, v3
	s_cbranch_execz .LBB347_1282
; %bb.1279:                             ;   in Loop: Header=BB347_813 Depth=1
	v_mov_b64_e32 v[22:23], v[18:19]
	v_lshrrev_b32_e32 v2, 3, v3
	s_mov_b32 s17, exec_lo
	v_cmpx_gt_u32_e32 8, v3
; %bb.1280:                             ;   in Loop: Header=BB347_813 Depth=1
	v_and_b32_e32 v2, 7, v18
	s_delay_alu instid0(VALU_DEP_1) | instskip(NEXT) | instid1(VALU_DEP_1)
	v_clz_i32_u32_e32 v2, v2
	v_min_u32_e32 v2, 32, v2
	s_delay_alu instid0(VALU_DEP_1) | instskip(SKIP_1) | instid1(VALU_DEP_2)
	v_subrev_nc_u32_e32 v3, 28, v2
	v_sub_nc_u32_e32 v2, 29, v2
	v_lshlrev_b64_e32 v[22:23], v3, v[18:19]
; %bb.1281:                             ;   in Loop: Header=BB347_813 Depth=1
	s_or_b32 exec_lo, exec_lo, s17
	s_delay_alu instid0(VALU_DEP_1) | instskip(SKIP_2) | instid1(VALU_DEP_3)
	v_lshlrev_b32_e32 v3, 20, v22
	v_lshlrev_b32_e32 v4, 24, v18
	v_lshl_add_u32 v2, v2, 23, 0x3c000000
	v_and_b32_e32 v3, 0x700000, v3
	s_delay_alu instid0(VALU_DEP_3) | instskip(NEXT) | instid1(VALU_DEP_1)
	v_and_b32_e32 v4, 0x80000000, v4
	v_or3_b32 v16, v3, v4, v2
.LBB347_1282:                           ;   in Loop: Header=BB347_813 Depth=1
	s_or_b32 exec_lo, exec_lo, s16
.LBB347_1283:                           ;   in Loop: Header=BB347_813 Depth=1
	s_delay_alu instid0(SALU_CYCLE_1)
	s_or_b32 exec_lo, exec_lo, s15
.LBB347_1284:                           ;   in Loop: Header=BB347_813 Depth=1
	s_delay_alu instid0(SALU_CYCLE_1) | instskip(SKIP_2) | instid1(VALU_DEP_1)
	s_or_b32 exec_lo, exec_lo, s14
	v_lshrrev_b16 v2, 8, v18
	s_mov_b32 s14, exec_lo
	v_cmpx_ne_u16_e32 0, v2
	s_cbranch_execz .LBB347_1292
; %bb.1285:                             ;   in Loop: Header=BB347_813 Depth=1
	v_bfrev_b32_e32 v17, 1
	s_mov_b32 s15, exec_lo
	v_cmpx_ne_u16_e32 0x80, v2
	s_cbranch_execz .LBB347_1291
; %bb.1286:                             ;   in Loop: Header=BB347_813 Depth=1
	v_and_b32_e32 v2, 0xffff, v2
	v_mov_b32_e32 v17, 0x7f800001
	s_mov_b32 s16, exec_lo
	s_delay_alu instid0(VALU_DEP_2) | instskip(NEXT) | instid1(VALU_DEP_1)
	v_and_b32_e32 v3, 0x7f, v2
	v_cmpx_ne_u32_e32 0x7f, v3
	s_cbranch_execz .LBB347_1290
; %bb.1287:                             ;   in Loop: Header=BB347_813 Depth=1
	v_dual_lshrrev_b32 v2, 3, v3 :: v_dual_bitop2_b32 v26, 7, v2 bitop3:0x40
	s_mov_b32 s17, exec_lo
	v_cmpx_gt_u32_e32 8, v3
; %bb.1288:                             ;   in Loop: Header=BB347_813 Depth=1
	s_delay_alu instid0(VALU_DEP_2) | instskip(NEXT) | instid1(VALU_DEP_1)
	v_clz_i32_u32_e32 v2, v26
	v_min_u32_e32 v2, 32, v2
	s_delay_alu instid0(VALU_DEP_1) | instskip(NEXT) | instid1(VALU_DEP_1)
	v_subrev_nc_u32_e32 v3, 28, v2
	v_lshlrev_b64_e32 v[4:5], v3, v[26:27]
	s_delay_alu instid0(VALU_DEP_1)
	v_dual_sub_nc_u32 v2, 29, v2 :: v_dual_bitop2_b32 v26, 7, v4 bitop3:0x40
; %bb.1289:                             ;   in Loop: Header=BB347_813 Depth=1
	s_or_b32 exec_lo, exec_lo, s17
	v_lshlrev_b32_e32 v3, 16, v18
	s_delay_alu instid0(VALU_DEP_2) | instskip(NEXT) | instid1(VALU_DEP_3)
	v_lshlrev_b32_e32 v4, 20, v26
	v_lshl_add_u32 v2, v2, 23, 0x3c000000
	s_delay_alu instid0(VALU_DEP_3) | instskip(NEXT) | instid1(VALU_DEP_1)
	v_and_b32_e32 v3, 0x80000000, v3
	v_or3_b32 v17, v4, v3, v2
.LBB347_1290:                           ;   in Loop: Header=BB347_813 Depth=1
	s_or_b32 exec_lo, exec_lo, s16
.LBB347_1291:                           ;   in Loop: Header=BB347_813 Depth=1
	s_delay_alu instid0(SALU_CYCLE_1)
	s_or_b32 exec_lo, exec_lo, s15
.LBB347_1292:                           ;   in Loop: Header=BB347_813 Depth=1
	s_delay_alu instid0(SALU_CYCLE_1) | instskip(SKIP_3) | instid1(VALU_DEP_2)
	s_or_b32 exec_lo, exec_lo, s14
	v_dual_lshrrev_b32 v2, 16, v18 :: v_dual_mov_b32 v34, 0
	v_mov_b32_e32 v25, 0
	s_mov_b32 s14, exec_lo
	v_and_b32_e32 v3, 0xff, v2
	s_delay_alu instid0(VALU_DEP_1)
	v_cmpx_ne_u16_e32 0, v3
	s_cbranch_execz .LBB347_1300
; %bb.1293:                             ;   in Loop: Header=BB347_813 Depth=1
	v_bfrev_b32_e32 v25, 1
	s_mov_b32 s15, exec_lo
	v_cmpx_ne_u16_e32 0x80, v3
	s_cbranch_execz .LBB347_1299
; %bb.1294:                             ;   in Loop: Header=BB347_813 Depth=1
	v_bfe_u32 v4, v18, 16, 7
	v_mov_b32_e32 v25, 0x7f800001
	s_mov_b32 s16, exec_lo
	s_delay_alu instid0(VALU_DEP_2)
	v_cmpx_ne_u32_e32 0x7f, v4
	s_cbranch_execz .LBB347_1298
; %bb.1295:                             ;   in Loop: Header=BB347_813 Depth=1
	v_dual_lshrrev_b32 v3, 3, v4 :: v_dual_bitop2_b32 v26, 7, v2 bitop3:0x40
	s_mov_b32 s17, exec_lo
	v_cmpx_gt_u32_e32 8, v4
; %bb.1296:                             ;   in Loop: Header=BB347_813 Depth=1
	s_delay_alu instid0(VALU_DEP_2) | instskip(NEXT) | instid1(VALU_DEP_1)
	v_clz_i32_u32_e32 v3, v26
	v_min_u32_e32 v3, 32, v3
	s_delay_alu instid0(VALU_DEP_1) | instskip(NEXT) | instid1(VALU_DEP_1)
	v_subrev_nc_u32_e32 v4, 28, v3
	v_lshlrev_b64_e32 v[4:5], v4, v[26:27]
	s_delay_alu instid0(VALU_DEP_1)
	v_dual_sub_nc_u32 v3, 29, v3 :: v_dual_bitop2_b32 v26, 7, v4 bitop3:0x40
; %bb.1297:                             ;   in Loop: Header=BB347_813 Depth=1
	s_or_b32 exec_lo, exec_lo, s17
	v_lshlrev_b32_e32 v2, 24, v2
	s_delay_alu instid0(VALU_DEP_2) | instskip(NEXT) | instid1(VALU_DEP_3)
	v_lshlrev_b32_e32 v4, 20, v26
	v_lshl_add_u32 v3, v3, 23, 0x3c000000
	s_delay_alu instid0(VALU_DEP_3) | instskip(NEXT) | instid1(VALU_DEP_1)
	v_and_b32_e32 v2, 0x80000000, v2
	v_or3_b32 v25, v4, v2, v3
.LBB347_1298:                           ;   in Loop: Header=BB347_813 Depth=1
	s_or_b32 exec_lo, exec_lo, s16
.LBB347_1299:                           ;   in Loop: Header=BB347_813 Depth=1
	s_delay_alu instid0(SALU_CYCLE_1)
	s_or_b32 exec_lo, exec_lo, s15
.LBB347_1300:                           ;   in Loop: Header=BB347_813 Depth=1
	s_delay_alu instid0(SALU_CYCLE_1) | instskip(NEXT) | instid1(SALU_CYCLE_1)
	s_or_b32 exec_lo, exec_lo, s14
	s_mov_b32 s14, exec_lo
	v_cmpx_lt_u32_e32 0xffffff, v18
	s_cbranch_execz .LBB347_1308
; %bb.1301:                             ;   in Loop: Header=BB347_813 Depth=1
	v_lshrrev_b32_e32 v2, 24, v18
	v_bfrev_b32_e32 v34, 1
	s_mov_b32 s15, exec_lo
	s_delay_alu instid0(VALU_DEP_2)
	v_cmpx_ne_u32_e32 0x80, v2
	s_cbranch_execz .LBB347_1307
; %bb.1302:                             ;   in Loop: Header=BB347_813 Depth=1
	v_bfe_u32 v4, v18, 24, 7
	v_mov_b32_e32 v34, 0x7f800001
	s_mov_b32 s16, exec_lo
	s_delay_alu instid0(VALU_DEP_2)
	v_cmpx_ne_u32_e32 0x7f, v4
	s_cbranch_execz .LBB347_1306
; %bb.1303:                             ;   in Loop: Header=BB347_813 Depth=1
	v_dual_lshrrev_b32 v3, 3, v4 :: v_dual_bitop2_b32 v26, 7, v2 bitop3:0x40
	s_mov_b32 s17, exec_lo
	v_cmpx_gt_u32_e32 8, v4
; %bb.1304:                             ;   in Loop: Header=BB347_813 Depth=1
	s_delay_alu instid0(VALU_DEP_2) | instskip(NEXT) | instid1(VALU_DEP_1)
	v_clz_i32_u32_e32 v3, v26
	v_min_u32_e32 v3, 32, v3
	s_delay_alu instid0(VALU_DEP_1) | instskip(NEXT) | instid1(VALU_DEP_1)
	v_subrev_nc_u32_e32 v4, 28, v3
	v_lshlrev_b64_e32 v[4:5], v4, v[26:27]
	s_delay_alu instid0(VALU_DEP_1)
	v_dual_sub_nc_u32 v3, 29, v3 :: v_dual_bitop2_b32 v26, 7, v4 bitop3:0x40
; %bb.1305:                             ;   in Loop: Header=BB347_813 Depth=1
	s_or_b32 exec_lo, exec_lo, s17
	v_lshlrev_b32_e32 v2, 24, v2
	s_delay_alu instid0(VALU_DEP_2) | instskip(NEXT) | instid1(VALU_DEP_3)
	v_lshlrev_b32_e32 v4, 20, v26
	v_lshl_add_u32 v3, v3, 23, 0x3c000000
	s_delay_alu instid0(VALU_DEP_3) | instskip(NEXT) | instid1(VALU_DEP_1)
	v_and_b32_e32 v2, 0x80000000, v2
	v_or3_b32 v34, v4, v2, v3
.LBB347_1306:                           ;   in Loop: Header=BB347_813 Depth=1
	s_or_b32 exec_lo, exec_lo, s16
.LBB347_1307:                           ;   in Loop: Header=BB347_813 Depth=1
	s_delay_alu instid0(SALU_CYCLE_1)
	s_or_b32 exec_lo, exec_lo, s15
.LBB347_1308:                           ;   in Loop: Header=BB347_813 Depth=1
	s_delay_alu instid0(SALU_CYCLE_1) | instskip(SKIP_4) | instid1(VALU_DEP_3)
	s_or_b32 exec_lo, exec_lo, s14
	v_and_b32_e32 v3, 0xff, v19
	v_dual_mov_b32 v26, v19 :: v_dual_mov_b32 v2, 0
	v_mov_b32_e32 v35, 0
	s_mov_b32 s14, exec_lo
	v_cmpx_ne_u16_e32 0, v3
	s_cbranch_execz .LBB347_1316
; %bb.1309:                             ;   in Loop: Header=BB347_813 Depth=1
	v_bfrev_b32_e32 v35, 1
	s_mov_b32 s15, exec_lo
	v_cmpx_ne_u16_e32 0x80, v3
	s_cbranch_execz .LBB347_1315
; %bb.1310:                             ;   in Loop: Header=BB347_813 Depth=1
	v_and_b32_e32 v4, 0x7f, v19
	v_mov_b32_e32 v35, 0x7f800001
	s_mov_b32 s16, exec_lo
	s_delay_alu instid0(VALU_DEP_2)
	v_cmpx_ne_u32_e32 0x7f, v4
	s_cbranch_execz .LBB347_1314
; %bb.1311:                             ;   in Loop: Header=BB347_813 Depth=1
	v_mov_b64_e32 v[22:23], v[26:27]
	v_lshrrev_b32_e32 v3, 3, v4
	s_mov_b32 s17, exec_lo
	v_cmpx_gt_u32_e32 8, v4
; %bb.1312:                             ;   in Loop: Header=BB347_813 Depth=1
	v_and_b32_e32 v3, 7, v19
	s_delay_alu instid0(VALU_DEP_1) | instskip(NEXT) | instid1(VALU_DEP_1)
	v_clz_i32_u32_e32 v3, v3
	v_min_u32_e32 v3, 32, v3
	s_delay_alu instid0(VALU_DEP_1) | instskip(SKIP_1) | instid1(VALU_DEP_2)
	v_subrev_nc_u32_e32 v4, 28, v3
	v_sub_nc_u32_e32 v3, 29, v3
	v_lshlrev_b64_e32 v[22:23], v4, v[26:27]
; %bb.1313:                             ;   in Loop: Header=BB347_813 Depth=1
	s_or_b32 exec_lo, exec_lo, s17
	s_delay_alu instid0(VALU_DEP_1) | instskip(SKIP_2) | instid1(VALU_DEP_3)
	v_lshlrev_b32_e32 v4, 20, v22
	v_lshlrev_b32_e32 v5, 24, v26
	v_lshl_add_u32 v3, v3, 23, 0x3c000000
	v_and_b32_e32 v4, 0x700000, v4
	s_delay_alu instid0(VALU_DEP_3) | instskip(NEXT) | instid1(VALU_DEP_1)
	v_and_b32_e32 v5, 0x80000000, v5
	v_or3_b32 v35, v4, v5, v3
.LBB347_1314:                           ;   in Loop: Header=BB347_813 Depth=1
	s_or_b32 exec_lo, exec_lo, s16
.LBB347_1315:                           ;   in Loop: Header=BB347_813 Depth=1
	s_delay_alu instid0(SALU_CYCLE_1)
	s_or_b32 exec_lo, exec_lo, s15
.LBB347_1316:                           ;   in Loop: Header=BB347_813 Depth=1
	s_delay_alu instid0(SALU_CYCLE_1) | instskip(SKIP_2) | instid1(VALU_DEP_1)
	s_or_b32 exec_lo, exec_lo, s14
	v_lshrrev_b16 v3, 8, v26
	s_mov_b32 s14, exec_lo
	v_cmpx_ne_u16_e32 0, v3
	s_cbranch_execz .LBB347_1324
; %bb.1317:                             ;   in Loop: Header=BB347_813 Depth=1
	v_bfrev_b32_e32 v2, 1
	s_mov_b32 s15, exec_lo
	v_cmpx_ne_u16_e32 0x80, v3
	s_cbranch_execz .LBB347_1323
; %bb.1318:                             ;   in Loop: Header=BB347_813 Depth=1
	v_and_b32_e32 v4, 0xffff, v3
	v_mov_b32_e32 v2, 0x7f800001
	s_mov_b32 s16, exec_lo
	s_delay_alu instid0(VALU_DEP_2) | instskip(NEXT) | instid1(VALU_DEP_1)
	v_and_b32_e32 v3, 0x7f, v4
	v_cmpx_ne_u32_e32 0x7f, v3
	s_cbranch_execz .LBB347_1322
; %bb.1319:                             ;   in Loop: Header=BB347_813 Depth=1
	v_dual_mov_b32 v23, v27 :: v_dual_bitop2_b32 v22, 7, v4 bitop3:0x40
	v_lshrrev_b32_e32 v2, 3, v3
	s_mov_b32 s17, exec_lo
	v_cmpx_gt_u32_e32 8, v3
; %bb.1320:                             ;   in Loop: Header=BB347_813 Depth=1
	s_delay_alu instid0(VALU_DEP_3) | instskip(NEXT) | instid1(VALU_DEP_1)
	v_clz_i32_u32_e32 v2, v22
	v_min_u32_e32 v2, 32, v2
	s_delay_alu instid0(VALU_DEP_1) | instskip(NEXT) | instid1(VALU_DEP_1)
	v_subrev_nc_u32_e32 v3, 28, v2
	v_lshlrev_b64_e32 v[4:5], v3, v[22:23]
	s_delay_alu instid0(VALU_DEP_1)
	v_dual_sub_nc_u32 v2, 29, v2 :: v_dual_bitop2_b32 v22, 7, v4 bitop3:0x40
; %bb.1321:                             ;   in Loop: Header=BB347_813 Depth=1
	s_or_b32 exec_lo, exec_lo, s17
	v_lshlrev_b32_e32 v3, 16, v26
	s_delay_alu instid0(VALU_DEP_2) | instskip(NEXT) | instid1(VALU_DEP_3)
	v_lshlrev_b32_e32 v4, 20, v22
	v_lshl_add_u32 v2, v2, 23, 0x3c000000
	s_delay_alu instid0(VALU_DEP_3) | instskip(NEXT) | instid1(VALU_DEP_1)
	v_and_b32_e32 v3, 0x80000000, v3
	v_or3_b32 v2, v4, v3, v2
.LBB347_1322:                           ;   in Loop: Header=BB347_813 Depth=1
	s_or_b32 exec_lo, exec_lo, s16
.LBB347_1323:                           ;   in Loop: Header=BB347_813 Depth=1
	s_delay_alu instid0(SALU_CYCLE_1)
	s_or_b32 exec_lo, exec_lo, s15
.LBB347_1324:                           ;   in Loop: Header=BB347_813 Depth=1
	s_delay_alu instid0(SALU_CYCLE_1) | instskip(SKIP_3) | instid1(VALU_DEP_2)
	s_or_b32 exec_lo, exec_lo, s14
	v_dual_lshrrev_b32 v5, 16, v19 :: v_dual_mov_b32 v3, 0
	v_mov_b32_e32 v4, 0
	s_mov_b32 s14, exec_lo
	v_and_b32_e32 v22, 0xff, v5
	s_delay_alu instid0(VALU_DEP_1)
	v_cmpx_ne_u16_e32 0, v22
	s_cbranch_execz .LBB347_1332
; %bb.1325:                             ;   in Loop: Header=BB347_813 Depth=1
	v_bfrev_b32_e32 v4, 1
	s_mov_b32 s15, exec_lo
	v_cmpx_ne_u16_e32 0x80, v22
	s_cbranch_execz .LBB347_1331
; %bb.1326:                             ;   in Loop: Header=BB347_813 Depth=1
	v_bfe_u32 v22, v19, 16, 7
	v_mov_b32_e32 v4, 0x7f800001
	s_mov_b32 s16, exec_lo
	s_delay_alu instid0(VALU_DEP_2)
	v_cmpx_ne_u32_e32 0x7f, v22
	s_cbranch_execz .LBB347_1330
; %bb.1327:                             ;   in Loop: Header=BB347_813 Depth=1
	v_dual_lshrrev_b32 v4, 3, v22 :: v_dual_bitop2_b32 v26, 7, v5 bitop3:0x40
	s_mov_b32 s17, exec_lo
	v_cmpx_gt_u32_e32 8, v22
; %bb.1328:                             ;   in Loop: Header=BB347_813 Depth=1
	s_delay_alu instid0(VALU_DEP_2) | instskip(NEXT) | instid1(VALU_DEP_1)
	v_clz_i32_u32_e32 v4, v26
	v_min_u32_e32 v4, 32, v4
	s_delay_alu instid0(VALU_DEP_1) | instskip(NEXT) | instid1(VALU_DEP_1)
	v_subrev_nc_u32_e32 v6, 28, v4
	v_lshlrev_b64_e32 v[22:23], v6, v[26:27]
	s_delay_alu instid0(VALU_DEP_1)
	v_dual_sub_nc_u32 v4, 29, v4 :: v_dual_bitop2_b32 v26, 7, v22 bitop3:0x40
; %bb.1329:                             ;   in Loop: Header=BB347_813 Depth=1
	s_or_b32 exec_lo, exec_lo, s17
	s_delay_alu instid0(VALU_DEP_1) | instskip(NEXT) | instid1(VALU_DEP_2)
	v_dual_lshlrev_b32 v5, 24, v5 :: v_dual_lshlrev_b32 v6, 20, v26
	v_lshl_add_u32 v4, v4, 23, 0x3c000000
	s_delay_alu instid0(VALU_DEP_2) | instskip(NEXT) | instid1(VALU_DEP_1)
	v_and_b32_e32 v5, 0x80000000, v5
	v_or3_b32 v4, v6, v5, v4
.LBB347_1330:                           ;   in Loop: Header=BB347_813 Depth=1
	s_or_b32 exec_lo, exec_lo, s16
.LBB347_1331:                           ;   in Loop: Header=BB347_813 Depth=1
	s_delay_alu instid0(SALU_CYCLE_1)
	s_or_b32 exec_lo, exec_lo, s15
.LBB347_1332:                           ;   in Loop: Header=BB347_813 Depth=1
	s_delay_alu instid0(SALU_CYCLE_1) | instskip(NEXT) | instid1(SALU_CYCLE_1)
	s_or_b32 exec_lo, exec_lo, s14
	s_mov_b32 s14, exec_lo
	v_cmpx_lt_u64_e64 s[2:3], v[18:19]
	s_cbranch_execz .LBB347_1340
; %bb.1333:                             ;   in Loop: Header=BB347_813 Depth=1
	v_lshrrev_b32_e32 v5, 24, v19
	v_bfrev_b32_e32 v3, 1
	s_mov_b32 s15, exec_lo
	s_delay_alu instid0(VALU_DEP_2)
	v_cmpx_ne_u32_e32 0x80, v5
	s_cbranch_execz .LBB347_1339
; %bb.1334:                             ;   in Loop: Header=BB347_813 Depth=1
	v_bfe_u32 v18, v19, 24, 7
	v_mov_b32_e32 v3, 0x7f800001
	s_mov_b32 s16, exec_lo
	s_delay_alu instid0(VALU_DEP_2)
	v_cmpx_ne_u32_e32 0x7f, v18
	s_cbranch_execz .LBB347_1338
; %bb.1335:                             ;   in Loop: Header=BB347_813 Depth=1
	v_dual_lshrrev_b32 v3, 3, v18 :: v_dual_bitop2_b32 v26, 7, v5 bitop3:0x40
	s_mov_b32 s17, exec_lo
	v_cmpx_gt_u32_e32 8, v18
; %bb.1336:                             ;   in Loop: Header=BB347_813 Depth=1
	s_delay_alu instid0(VALU_DEP_2) | instskip(NEXT) | instid1(VALU_DEP_1)
	v_clz_i32_u32_e32 v3, v26
	v_min_u32_e32 v3, 32, v3
	s_delay_alu instid0(VALU_DEP_1) | instskip(NEXT) | instid1(VALU_DEP_1)
	v_subrev_nc_u32_e32 v6, 28, v3
	v_lshlrev_b64_e32 v[18:19], v6, v[26:27]
	s_delay_alu instid0(VALU_DEP_1)
	v_dual_sub_nc_u32 v3, 29, v3 :: v_dual_bitop2_b32 v26, 7, v18 bitop3:0x40
; %bb.1337:                             ;   in Loop: Header=BB347_813 Depth=1
	s_or_b32 exec_lo, exec_lo, s17
	s_delay_alu instid0(VALU_DEP_1) | instskip(NEXT) | instid1(VALU_DEP_2)
	v_dual_lshlrev_b32 v5, 24, v5 :: v_dual_lshlrev_b32 v6, 20, v26
	v_lshl_add_u32 v3, v3, 23, 0x3c000000
	s_delay_alu instid0(VALU_DEP_2) | instskip(NEXT) | instid1(VALU_DEP_1)
	v_and_b32_e32 v5, 0x80000000, v5
	v_or3_b32 v3, v6, v5, v3
.LBB347_1338:                           ;   in Loop: Header=BB347_813 Depth=1
	s_or_b32 exec_lo, exec_lo, s16
.LBB347_1339:                           ;   in Loop: Header=BB347_813 Depth=1
	s_delay_alu instid0(SALU_CYCLE_1)
	s_or_b32 exec_lo, exec_lo, s15
.LBB347_1340:                           ;   in Loop: Header=BB347_813 Depth=1
	s_delay_alu instid0(SALU_CYCLE_1)
	s_or_b32 exec_lo, exec_lo, s14
	v_fma_mixlo_bf16 v107, v68, v2, 0
	v_fma_mixlo_bf16 v108, v68, v35, 0
	;; [unrolled: 1-line block ×8, first 2 shown]
	s_and_saveexec_b32 s14, vcc_lo
	s_cbranch_execz .LBB347_1342
; %bb.1341:                             ;   in Loop: Header=BB347_813 Depth=1
	v_cmp_lt_i32_e64 s0, v96, v60
	s_delay_alu instid0(VALU_DEP_1) | instskip(SKIP_1) | instid1(VALU_DEP_1)
	v_cndmask_b32_e64 v122, 0, v122, s0
	v_cmp_lt_i32_e64 s0, v100, v60
	v_cndmask_b32_e64 v121, 0, v121, s0
	v_cmp_lt_i32_e64 s0, v99, v60
	s_delay_alu instid0(VALU_DEP_1) | instskip(SKIP_1) | instid1(VALU_DEP_1)
	v_cndmask_b32_e64 v120, 0, v120, s0
	v_cmp_lt_i32_e64 s0, v98, v60
	v_cndmask_b32_e64 v111, 0, v111, s0
	;; [unrolled: 5-line block ×4, first 2 shown]
.LBB347_1342:                           ;   in Loop: Header=BB347_813 Depth=1
	s_or_b32 exec_lo, exec_lo, s14
	flat_load_b64 v[18:19], v[0:1] offset:2048
	v_dual_mov_b32 v17, 0 :: v_dual_mov_b32 v16, 0
	s_mov_b32 s14, exec_lo
	s_wait_loadcnt_dscnt 0x0
	v_and_b32_e32 v2, 0xff, v18
	s_wait_xcnt 0x0
	s_delay_alu instid0(VALU_DEP_1)
	v_cmpx_ne_u16_e32 0, v2
	s_cbranch_execz .LBB347_1350
; %bb.1343:                             ;   in Loop: Header=BB347_813 Depth=1
	v_bfrev_b32_e32 v16, 1
	s_mov_b32 s15, exec_lo
	v_cmpx_ne_u16_e32 0x80, v2
	s_cbranch_execz .LBB347_1349
; %bb.1344:                             ;   in Loop: Header=BB347_813 Depth=1
	v_and_b32_e32 v3, 0x7f, v18
	v_mov_b32_e32 v16, 0x7f800001
	s_mov_b32 s16, exec_lo
	s_delay_alu instid0(VALU_DEP_2)
	v_cmpx_ne_u32_e32 0x7f, v3
	s_cbranch_execz .LBB347_1348
; %bb.1345:                             ;   in Loop: Header=BB347_813 Depth=1
	v_mov_b64_e32 v[22:23], v[18:19]
	v_lshrrev_b32_e32 v2, 3, v3
	s_mov_b32 s17, exec_lo
	v_cmpx_gt_u32_e32 8, v3
; %bb.1346:                             ;   in Loop: Header=BB347_813 Depth=1
	v_and_b32_e32 v2, 7, v18
	s_delay_alu instid0(VALU_DEP_1) | instskip(NEXT) | instid1(VALU_DEP_1)
	v_clz_i32_u32_e32 v2, v2
	v_min_u32_e32 v2, 32, v2
	s_delay_alu instid0(VALU_DEP_1) | instskip(SKIP_1) | instid1(VALU_DEP_2)
	v_subrev_nc_u32_e32 v3, 28, v2
	v_sub_nc_u32_e32 v2, 29, v2
	v_lshlrev_b64_e32 v[22:23], v3, v[18:19]
; %bb.1347:                             ;   in Loop: Header=BB347_813 Depth=1
	s_or_b32 exec_lo, exec_lo, s17
	s_delay_alu instid0(VALU_DEP_1) | instskip(SKIP_2) | instid1(VALU_DEP_3)
	v_lshlrev_b32_e32 v3, 20, v22
	v_lshlrev_b32_e32 v4, 24, v18
	v_lshl_add_u32 v2, v2, 23, 0x3c000000
	v_and_b32_e32 v3, 0x700000, v3
	s_delay_alu instid0(VALU_DEP_3) | instskip(NEXT) | instid1(VALU_DEP_1)
	v_and_b32_e32 v4, 0x80000000, v4
	v_or3_b32 v16, v3, v4, v2
.LBB347_1348:                           ;   in Loop: Header=BB347_813 Depth=1
	s_or_b32 exec_lo, exec_lo, s16
.LBB347_1349:                           ;   in Loop: Header=BB347_813 Depth=1
	s_delay_alu instid0(SALU_CYCLE_1)
	s_or_b32 exec_lo, exec_lo, s15
.LBB347_1350:                           ;   in Loop: Header=BB347_813 Depth=1
	s_delay_alu instid0(SALU_CYCLE_1) | instskip(SKIP_2) | instid1(VALU_DEP_1)
	s_or_b32 exec_lo, exec_lo, s14
	v_lshrrev_b16 v2, 8, v18
	s_mov_b32 s14, exec_lo
	v_cmpx_ne_u16_e32 0, v2
	s_cbranch_execz .LBB347_1358
; %bb.1351:                             ;   in Loop: Header=BB347_813 Depth=1
	v_bfrev_b32_e32 v17, 1
	s_mov_b32 s15, exec_lo
	v_cmpx_ne_u16_e32 0x80, v2
	s_cbranch_execz .LBB347_1357
; %bb.1352:                             ;   in Loop: Header=BB347_813 Depth=1
	v_and_b32_e32 v2, 0xffff, v2
	v_mov_b32_e32 v17, 0x7f800001
	s_mov_b32 s16, exec_lo
	s_delay_alu instid0(VALU_DEP_2) | instskip(NEXT) | instid1(VALU_DEP_1)
	v_and_b32_e32 v3, 0x7f, v2
	v_cmpx_ne_u32_e32 0x7f, v3
	s_cbranch_execz .LBB347_1356
; %bb.1353:                             ;   in Loop: Header=BB347_813 Depth=1
	v_dual_lshrrev_b32 v2, 3, v3 :: v_dual_bitop2_b32 v26, 7, v2 bitop3:0x40
	s_mov_b32 s17, exec_lo
	v_cmpx_gt_u32_e32 8, v3
; %bb.1354:                             ;   in Loop: Header=BB347_813 Depth=1
	s_delay_alu instid0(VALU_DEP_2) | instskip(NEXT) | instid1(VALU_DEP_1)
	v_clz_i32_u32_e32 v2, v26
	v_min_u32_e32 v2, 32, v2
	s_delay_alu instid0(VALU_DEP_1) | instskip(NEXT) | instid1(VALU_DEP_1)
	v_subrev_nc_u32_e32 v3, 28, v2
	v_lshlrev_b64_e32 v[4:5], v3, v[26:27]
	s_delay_alu instid0(VALU_DEP_1)
	v_dual_sub_nc_u32 v2, 29, v2 :: v_dual_bitop2_b32 v26, 7, v4 bitop3:0x40
; %bb.1355:                             ;   in Loop: Header=BB347_813 Depth=1
	s_or_b32 exec_lo, exec_lo, s17
	v_lshlrev_b32_e32 v3, 16, v18
	s_delay_alu instid0(VALU_DEP_2) | instskip(NEXT) | instid1(VALU_DEP_3)
	v_lshlrev_b32_e32 v4, 20, v26
	v_lshl_add_u32 v2, v2, 23, 0x3c000000
	s_delay_alu instid0(VALU_DEP_3) | instskip(NEXT) | instid1(VALU_DEP_1)
	v_and_b32_e32 v3, 0x80000000, v3
	v_or3_b32 v17, v4, v3, v2
.LBB347_1356:                           ;   in Loop: Header=BB347_813 Depth=1
	s_or_b32 exec_lo, exec_lo, s16
.LBB347_1357:                           ;   in Loop: Header=BB347_813 Depth=1
	s_delay_alu instid0(SALU_CYCLE_1)
	s_or_b32 exec_lo, exec_lo, s15
.LBB347_1358:                           ;   in Loop: Header=BB347_813 Depth=1
	s_delay_alu instid0(SALU_CYCLE_1) | instskip(SKIP_3) | instid1(VALU_DEP_2)
	s_or_b32 exec_lo, exec_lo, s14
	v_dual_lshrrev_b32 v2, 16, v18 :: v_dual_mov_b32 v34, 0
	v_mov_b32_e32 v25, 0
	s_mov_b32 s14, exec_lo
	v_and_b32_e32 v3, 0xff, v2
	s_delay_alu instid0(VALU_DEP_1)
	v_cmpx_ne_u16_e32 0, v3
	s_cbranch_execz .LBB347_1366
; %bb.1359:                             ;   in Loop: Header=BB347_813 Depth=1
	v_bfrev_b32_e32 v25, 1
	s_mov_b32 s15, exec_lo
	v_cmpx_ne_u16_e32 0x80, v3
	s_cbranch_execz .LBB347_1365
; %bb.1360:                             ;   in Loop: Header=BB347_813 Depth=1
	v_bfe_u32 v4, v18, 16, 7
	v_mov_b32_e32 v25, 0x7f800001
	s_mov_b32 s16, exec_lo
	s_delay_alu instid0(VALU_DEP_2)
	v_cmpx_ne_u32_e32 0x7f, v4
	s_cbranch_execz .LBB347_1364
; %bb.1361:                             ;   in Loop: Header=BB347_813 Depth=1
	v_dual_lshrrev_b32 v3, 3, v4 :: v_dual_bitop2_b32 v26, 7, v2 bitop3:0x40
	s_mov_b32 s17, exec_lo
	v_cmpx_gt_u32_e32 8, v4
; %bb.1362:                             ;   in Loop: Header=BB347_813 Depth=1
	s_delay_alu instid0(VALU_DEP_2) | instskip(NEXT) | instid1(VALU_DEP_1)
	v_clz_i32_u32_e32 v3, v26
	v_min_u32_e32 v3, 32, v3
	s_delay_alu instid0(VALU_DEP_1) | instskip(NEXT) | instid1(VALU_DEP_1)
	v_subrev_nc_u32_e32 v4, 28, v3
	v_lshlrev_b64_e32 v[4:5], v4, v[26:27]
	s_delay_alu instid0(VALU_DEP_1)
	v_dual_sub_nc_u32 v3, 29, v3 :: v_dual_bitop2_b32 v26, 7, v4 bitop3:0x40
; %bb.1363:                             ;   in Loop: Header=BB347_813 Depth=1
	s_or_b32 exec_lo, exec_lo, s17
	v_lshlrev_b32_e32 v2, 24, v2
	s_delay_alu instid0(VALU_DEP_2) | instskip(NEXT) | instid1(VALU_DEP_3)
	v_lshlrev_b32_e32 v4, 20, v26
	v_lshl_add_u32 v3, v3, 23, 0x3c000000
	s_delay_alu instid0(VALU_DEP_3) | instskip(NEXT) | instid1(VALU_DEP_1)
	v_and_b32_e32 v2, 0x80000000, v2
	v_or3_b32 v25, v4, v2, v3
.LBB347_1364:                           ;   in Loop: Header=BB347_813 Depth=1
	s_or_b32 exec_lo, exec_lo, s16
.LBB347_1365:                           ;   in Loop: Header=BB347_813 Depth=1
	s_delay_alu instid0(SALU_CYCLE_1)
	s_or_b32 exec_lo, exec_lo, s15
.LBB347_1366:                           ;   in Loop: Header=BB347_813 Depth=1
	s_delay_alu instid0(SALU_CYCLE_1) | instskip(NEXT) | instid1(SALU_CYCLE_1)
	s_or_b32 exec_lo, exec_lo, s14
	s_mov_b32 s14, exec_lo
	v_cmpx_lt_u32_e32 0xffffff, v18
	s_cbranch_execz .LBB347_1374
; %bb.1367:                             ;   in Loop: Header=BB347_813 Depth=1
	v_lshrrev_b32_e32 v2, 24, v18
	v_bfrev_b32_e32 v34, 1
	s_mov_b32 s15, exec_lo
	s_delay_alu instid0(VALU_DEP_2)
	v_cmpx_ne_u32_e32 0x80, v2
	s_cbranch_execz .LBB347_1373
; %bb.1368:                             ;   in Loop: Header=BB347_813 Depth=1
	v_bfe_u32 v4, v18, 24, 7
	v_mov_b32_e32 v34, 0x7f800001
	s_mov_b32 s16, exec_lo
	s_delay_alu instid0(VALU_DEP_2)
	v_cmpx_ne_u32_e32 0x7f, v4
	s_cbranch_execz .LBB347_1372
; %bb.1369:                             ;   in Loop: Header=BB347_813 Depth=1
	v_dual_lshrrev_b32 v3, 3, v4 :: v_dual_bitop2_b32 v26, 7, v2 bitop3:0x40
	s_mov_b32 s17, exec_lo
	v_cmpx_gt_u32_e32 8, v4
; %bb.1370:                             ;   in Loop: Header=BB347_813 Depth=1
	s_delay_alu instid0(VALU_DEP_2) | instskip(NEXT) | instid1(VALU_DEP_1)
	v_clz_i32_u32_e32 v3, v26
	v_min_u32_e32 v3, 32, v3
	s_delay_alu instid0(VALU_DEP_1) | instskip(NEXT) | instid1(VALU_DEP_1)
	v_subrev_nc_u32_e32 v4, 28, v3
	v_lshlrev_b64_e32 v[4:5], v4, v[26:27]
	s_delay_alu instid0(VALU_DEP_1)
	v_dual_sub_nc_u32 v3, 29, v3 :: v_dual_bitop2_b32 v26, 7, v4 bitop3:0x40
; %bb.1371:                             ;   in Loop: Header=BB347_813 Depth=1
	s_or_b32 exec_lo, exec_lo, s17
	v_lshlrev_b32_e32 v2, 24, v2
	s_delay_alu instid0(VALU_DEP_2) | instskip(NEXT) | instid1(VALU_DEP_3)
	v_lshlrev_b32_e32 v4, 20, v26
	v_lshl_add_u32 v3, v3, 23, 0x3c000000
	s_delay_alu instid0(VALU_DEP_3) | instskip(NEXT) | instid1(VALU_DEP_1)
	v_and_b32_e32 v2, 0x80000000, v2
	v_or3_b32 v34, v4, v2, v3
.LBB347_1372:                           ;   in Loop: Header=BB347_813 Depth=1
	s_or_b32 exec_lo, exec_lo, s16
.LBB347_1373:                           ;   in Loop: Header=BB347_813 Depth=1
	s_delay_alu instid0(SALU_CYCLE_1)
	s_or_b32 exec_lo, exec_lo, s15
.LBB347_1374:                           ;   in Loop: Header=BB347_813 Depth=1
	s_delay_alu instid0(SALU_CYCLE_1) | instskip(SKIP_4) | instid1(VALU_DEP_3)
	s_or_b32 exec_lo, exec_lo, s14
	v_and_b32_e32 v3, 0xff, v19
	v_dual_mov_b32 v26, v19 :: v_dual_mov_b32 v2, 0
	v_mov_b32_e32 v35, 0
	s_mov_b32 s14, exec_lo
	v_cmpx_ne_u16_e32 0, v3
	s_cbranch_execz .LBB347_1382
; %bb.1375:                             ;   in Loop: Header=BB347_813 Depth=1
	v_bfrev_b32_e32 v35, 1
	s_mov_b32 s15, exec_lo
	v_cmpx_ne_u16_e32 0x80, v3
	s_cbranch_execz .LBB347_1381
; %bb.1376:                             ;   in Loop: Header=BB347_813 Depth=1
	v_and_b32_e32 v4, 0x7f, v19
	v_mov_b32_e32 v35, 0x7f800001
	s_mov_b32 s16, exec_lo
	s_delay_alu instid0(VALU_DEP_2)
	v_cmpx_ne_u32_e32 0x7f, v4
	s_cbranch_execz .LBB347_1380
; %bb.1377:                             ;   in Loop: Header=BB347_813 Depth=1
	v_mov_b64_e32 v[22:23], v[26:27]
	v_lshrrev_b32_e32 v3, 3, v4
	s_mov_b32 s17, exec_lo
	v_cmpx_gt_u32_e32 8, v4
; %bb.1378:                             ;   in Loop: Header=BB347_813 Depth=1
	v_and_b32_e32 v3, 7, v19
	s_delay_alu instid0(VALU_DEP_1) | instskip(NEXT) | instid1(VALU_DEP_1)
	v_clz_i32_u32_e32 v3, v3
	v_min_u32_e32 v3, 32, v3
	s_delay_alu instid0(VALU_DEP_1) | instskip(SKIP_1) | instid1(VALU_DEP_2)
	v_subrev_nc_u32_e32 v4, 28, v3
	v_sub_nc_u32_e32 v3, 29, v3
	v_lshlrev_b64_e32 v[22:23], v4, v[26:27]
; %bb.1379:                             ;   in Loop: Header=BB347_813 Depth=1
	s_or_b32 exec_lo, exec_lo, s17
	s_delay_alu instid0(VALU_DEP_1) | instskip(SKIP_2) | instid1(VALU_DEP_3)
	v_lshlrev_b32_e32 v4, 20, v22
	v_lshlrev_b32_e32 v5, 24, v26
	v_lshl_add_u32 v3, v3, 23, 0x3c000000
	v_and_b32_e32 v4, 0x700000, v4
	s_delay_alu instid0(VALU_DEP_3) | instskip(NEXT) | instid1(VALU_DEP_1)
	v_and_b32_e32 v5, 0x80000000, v5
	v_or3_b32 v35, v4, v5, v3
.LBB347_1380:                           ;   in Loop: Header=BB347_813 Depth=1
	s_or_b32 exec_lo, exec_lo, s16
.LBB347_1381:                           ;   in Loop: Header=BB347_813 Depth=1
	s_delay_alu instid0(SALU_CYCLE_1)
	s_or_b32 exec_lo, exec_lo, s15
.LBB347_1382:                           ;   in Loop: Header=BB347_813 Depth=1
	s_delay_alu instid0(SALU_CYCLE_1) | instskip(SKIP_2) | instid1(VALU_DEP_1)
	s_or_b32 exec_lo, exec_lo, s14
	v_lshrrev_b16 v3, 8, v26
	s_mov_b32 s14, exec_lo
	v_cmpx_ne_u16_e32 0, v3
	s_cbranch_execz .LBB347_1390
; %bb.1383:                             ;   in Loop: Header=BB347_813 Depth=1
	v_bfrev_b32_e32 v2, 1
	s_mov_b32 s15, exec_lo
	v_cmpx_ne_u16_e32 0x80, v3
	s_cbranch_execz .LBB347_1389
; %bb.1384:                             ;   in Loop: Header=BB347_813 Depth=1
	v_and_b32_e32 v4, 0xffff, v3
	v_mov_b32_e32 v2, 0x7f800001
	s_mov_b32 s16, exec_lo
	s_delay_alu instid0(VALU_DEP_2) | instskip(NEXT) | instid1(VALU_DEP_1)
	v_and_b32_e32 v3, 0x7f, v4
	v_cmpx_ne_u32_e32 0x7f, v3
	s_cbranch_execz .LBB347_1388
; %bb.1385:                             ;   in Loop: Header=BB347_813 Depth=1
	v_dual_mov_b32 v23, v27 :: v_dual_bitop2_b32 v22, 7, v4 bitop3:0x40
	v_lshrrev_b32_e32 v2, 3, v3
	s_mov_b32 s17, exec_lo
	v_cmpx_gt_u32_e32 8, v3
; %bb.1386:                             ;   in Loop: Header=BB347_813 Depth=1
	s_delay_alu instid0(VALU_DEP_3) | instskip(NEXT) | instid1(VALU_DEP_1)
	v_clz_i32_u32_e32 v2, v22
	v_min_u32_e32 v2, 32, v2
	s_delay_alu instid0(VALU_DEP_1) | instskip(NEXT) | instid1(VALU_DEP_1)
	v_subrev_nc_u32_e32 v3, 28, v2
	v_lshlrev_b64_e32 v[4:5], v3, v[22:23]
	s_delay_alu instid0(VALU_DEP_1)
	v_dual_sub_nc_u32 v2, 29, v2 :: v_dual_bitop2_b32 v22, 7, v4 bitop3:0x40
; %bb.1387:                             ;   in Loop: Header=BB347_813 Depth=1
	s_or_b32 exec_lo, exec_lo, s17
	v_lshlrev_b32_e32 v3, 16, v26
	s_delay_alu instid0(VALU_DEP_2) | instskip(NEXT) | instid1(VALU_DEP_3)
	v_lshlrev_b32_e32 v4, 20, v22
	v_lshl_add_u32 v2, v2, 23, 0x3c000000
	s_delay_alu instid0(VALU_DEP_3) | instskip(NEXT) | instid1(VALU_DEP_1)
	v_and_b32_e32 v3, 0x80000000, v3
	v_or3_b32 v2, v4, v3, v2
.LBB347_1388:                           ;   in Loop: Header=BB347_813 Depth=1
	s_or_b32 exec_lo, exec_lo, s16
.LBB347_1389:                           ;   in Loop: Header=BB347_813 Depth=1
	s_delay_alu instid0(SALU_CYCLE_1)
	s_or_b32 exec_lo, exec_lo, s15
.LBB347_1390:                           ;   in Loop: Header=BB347_813 Depth=1
	s_delay_alu instid0(SALU_CYCLE_1) | instskip(SKIP_3) | instid1(VALU_DEP_2)
	s_or_b32 exec_lo, exec_lo, s14
	v_dual_lshrrev_b32 v5, 16, v19 :: v_dual_mov_b32 v3, 0
	v_mov_b32_e32 v4, 0
	s_mov_b32 s14, exec_lo
	v_and_b32_e32 v22, 0xff, v5
	s_delay_alu instid0(VALU_DEP_1)
	v_cmpx_ne_u16_e32 0, v22
	s_cbranch_execz .LBB347_1398
; %bb.1391:                             ;   in Loop: Header=BB347_813 Depth=1
	v_bfrev_b32_e32 v4, 1
	s_mov_b32 s15, exec_lo
	v_cmpx_ne_u16_e32 0x80, v22
	s_cbranch_execz .LBB347_1397
; %bb.1392:                             ;   in Loop: Header=BB347_813 Depth=1
	v_bfe_u32 v22, v19, 16, 7
	v_mov_b32_e32 v4, 0x7f800001
	s_mov_b32 s16, exec_lo
	s_delay_alu instid0(VALU_DEP_2)
	v_cmpx_ne_u32_e32 0x7f, v22
	s_cbranch_execz .LBB347_1396
; %bb.1393:                             ;   in Loop: Header=BB347_813 Depth=1
	v_dual_lshrrev_b32 v4, 3, v22 :: v_dual_bitop2_b32 v26, 7, v5 bitop3:0x40
	s_mov_b32 s17, exec_lo
	v_cmpx_gt_u32_e32 8, v22
; %bb.1394:                             ;   in Loop: Header=BB347_813 Depth=1
	s_delay_alu instid0(VALU_DEP_2) | instskip(NEXT) | instid1(VALU_DEP_1)
	v_clz_i32_u32_e32 v4, v26
	v_min_u32_e32 v4, 32, v4
	s_delay_alu instid0(VALU_DEP_1) | instskip(NEXT) | instid1(VALU_DEP_1)
	v_subrev_nc_u32_e32 v6, 28, v4
	v_lshlrev_b64_e32 v[22:23], v6, v[26:27]
	s_delay_alu instid0(VALU_DEP_1)
	v_dual_sub_nc_u32 v4, 29, v4 :: v_dual_bitop2_b32 v26, 7, v22 bitop3:0x40
; %bb.1395:                             ;   in Loop: Header=BB347_813 Depth=1
	s_or_b32 exec_lo, exec_lo, s17
	s_delay_alu instid0(VALU_DEP_1) | instskip(NEXT) | instid1(VALU_DEP_2)
	v_dual_lshlrev_b32 v5, 24, v5 :: v_dual_lshlrev_b32 v6, 20, v26
	v_lshl_add_u32 v4, v4, 23, 0x3c000000
	s_delay_alu instid0(VALU_DEP_2) | instskip(NEXT) | instid1(VALU_DEP_1)
	v_and_b32_e32 v5, 0x80000000, v5
	v_or3_b32 v4, v6, v5, v4
.LBB347_1396:                           ;   in Loop: Header=BB347_813 Depth=1
	s_or_b32 exec_lo, exec_lo, s16
.LBB347_1397:                           ;   in Loop: Header=BB347_813 Depth=1
	s_delay_alu instid0(SALU_CYCLE_1)
	s_or_b32 exec_lo, exec_lo, s15
.LBB347_1398:                           ;   in Loop: Header=BB347_813 Depth=1
	s_delay_alu instid0(SALU_CYCLE_1) | instskip(NEXT) | instid1(SALU_CYCLE_1)
	s_or_b32 exec_lo, exec_lo, s14
	s_mov_b32 s14, exec_lo
	v_cmpx_lt_u64_e64 s[2:3], v[18:19]
	s_cbranch_execz .LBB347_1406
; %bb.1399:                             ;   in Loop: Header=BB347_813 Depth=1
	v_lshrrev_b32_e32 v5, 24, v19
	v_bfrev_b32_e32 v3, 1
	s_mov_b32 s15, exec_lo
	s_delay_alu instid0(VALU_DEP_2)
	v_cmpx_ne_u32_e32 0x80, v5
	s_cbranch_execz .LBB347_1405
; %bb.1400:                             ;   in Loop: Header=BB347_813 Depth=1
	v_bfe_u32 v18, v19, 24, 7
	v_mov_b32_e32 v3, 0x7f800001
	s_mov_b32 s16, exec_lo
	s_delay_alu instid0(VALU_DEP_2)
	v_cmpx_ne_u32_e32 0x7f, v18
	s_cbranch_execz .LBB347_1404
; %bb.1401:                             ;   in Loop: Header=BB347_813 Depth=1
	v_dual_lshrrev_b32 v3, 3, v18 :: v_dual_bitop2_b32 v26, 7, v5 bitop3:0x40
	s_mov_b32 s17, exec_lo
	v_cmpx_gt_u32_e32 8, v18
; %bb.1402:                             ;   in Loop: Header=BB347_813 Depth=1
	s_delay_alu instid0(VALU_DEP_2) | instskip(NEXT) | instid1(VALU_DEP_1)
	v_clz_i32_u32_e32 v3, v26
	v_min_u32_e32 v3, 32, v3
	s_delay_alu instid0(VALU_DEP_1) | instskip(NEXT) | instid1(VALU_DEP_1)
	v_subrev_nc_u32_e32 v6, 28, v3
	v_lshlrev_b64_e32 v[18:19], v6, v[26:27]
	s_delay_alu instid0(VALU_DEP_1)
	v_dual_sub_nc_u32 v3, 29, v3 :: v_dual_bitop2_b32 v26, 7, v18 bitop3:0x40
; %bb.1403:                             ;   in Loop: Header=BB347_813 Depth=1
	s_or_b32 exec_lo, exec_lo, s17
	s_delay_alu instid0(VALU_DEP_1) | instskip(NEXT) | instid1(VALU_DEP_2)
	v_dual_lshlrev_b32 v5, 24, v5 :: v_dual_lshlrev_b32 v6, 20, v26
	v_lshl_add_u32 v3, v3, 23, 0x3c000000
	s_delay_alu instid0(VALU_DEP_2) | instskip(NEXT) | instid1(VALU_DEP_1)
	v_and_b32_e32 v5, 0x80000000, v5
	v_or3_b32 v3, v6, v5, v3
.LBB347_1404:                           ;   in Loop: Header=BB347_813 Depth=1
	s_or_b32 exec_lo, exec_lo, s16
.LBB347_1405:                           ;   in Loop: Header=BB347_813 Depth=1
	s_delay_alu instid0(SALU_CYCLE_1)
	s_or_b32 exec_lo, exec_lo, s15
.LBB347_1406:                           ;   in Loop: Header=BB347_813 Depth=1
	s_delay_alu instid0(SALU_CYCLE_1)
	s_or_b32 exec_lo, exec_lo, s14
	v_fma_mixlo_bf16 v123, v68, v2, 0
	v_fma_mixlo_bf16 v124, v68, v35, 0
	;; [unrolled: 1-line block ×8, first 2 shown]
	s_and_saveexec_b32 s14, vcc_lo
	s_cbranch_execz .LBB347_1408
; %bb.1407:                             ;   in Loop: Header=BB347_813 Depth=1
	v_cmp_lt_i32_e64 s0, v96, v60
	s_delay_alu instid0(VALU_DEP_1) | instskip(SKIP_1) | instid1(VALU_DEP_1)
	v_cndmask_b32_e64 v35, 0, v35, s0
	v_cmp_lt_i32_e64 s0, v100, v60
	v_cndmask_b32_e64 v34, 0, v34, s0
	v_cmp_lt_i32_e64 s0, v99, v60
	s_delay_alu instid0(VALU_DEP_1) | instskip(SKIP_1) | instid1(VALU_DEP_1)
	v_cndmask_b32_e64 v48, 0, v48, s0
	v_cmp_lt_i32_e64 s0, v98, v60
	v_cndmask_b32_e64 v127, 0, v127, s0
	;; [unrolled: 5-line block ×4, first 2 shown]
.LBB347_1408:                           ;   in Loop: Header=BB347_813 Depth=1
	s_or_b32 exec_lo, exec_lo, s14
	flat_load_b64 v[18:19], v[0:1] offset:2304
	v_dual_mov_b32 v17, 0 :: v_dual_mov_b32 v16, 0
	s_mov_b32 s14, exec_lo
	s_wait_loadcnt_dscnt 0x0
	v_and_b32_e32 v2, 0xff, v18
	s_wait_xcnt 0x0
	s_delay_alu instid0(VALU_DEP_1)
	v_cmpx_ne_u16_e32 0, v2
	s_cbranch_execz .LBB347_1416
; %bb.1409:                             ;   in Loop: Header=BB347_813 Depth=1
	v_bfrev_b32_e32 v16, 1
	s_mov_b32 s15, exec_lo
	v_cmpx_ne_u16_e32 0x80, v2
	s_cbranch_execz .LBB347_1415
; %bb.1410:                             ;   in Loop: Header=BB347_813 Depth=1
	v_and_b32_e32 v3, 0x7f, v18
	v_mov_b32_e32 v16, 0x7f800001
	s_mov_b32 s16, exec_lo
	s_delay_alu instid0(VALU_DEP_2)
	v_cmpx_ne_u32_e32 0x7f, v3
	s_cbranch_execz .LBB347_1414
; %bb.1411:                             ;   in Loop: Header=BB347_813 Depth=1
	v_mov_b64_e32 v[22:23], v[18:19]
	v_lshrrev_b32_e32 v2, 3, v3
	s_mov_b32 s17, exec_lo
	v_cmpx_gt_u32_e32 8, v3
; %bb.1412:                             ;   in Loop: Header=BB347_813 Depth=1
	v_and_b32_e32 v2, 7, v18
	s_delay_alu instid0(VALU_DEP_1) | instskip(NEXT) | instid1(VALU_DEP_1)
	v_clz_i32_u32_e32 v2, v2
	v_min_u32_e32 v2, 32, v2
	s_delay_alu instid0(VALU_DEP_1) | instskip(SKIP_1) | instid1(VALU_DEP_2)
	v_subrev_nc_u32_e32 v3, 28, v2
	v_sub_nc_u32_e32 v2, 29, v2
	v_lshlrev_b64_e32 v[22:23], v3, v[18:19]
; %bb.1413:                             ;   in Loop: Header=BB347_813 Depth=1
	s_or_b32 exec_lo, exec_lo, s17
	s_delay_alu instid0(VALU_DEP_1) | instskip(SKIP_2) | instid1(VALU_DEP_3)
	v_lshlrev_b32_e32 v3, 20, v22
	v_lshlrev_b32_e32 v4, 24, v18
	v_lshl_add_u32 v2, v2, 23, 0x3c000000
	v_and_b32_e32 v3, 0x700000, v3
	s_delay_alu instid0(VALU_DEP_3) | instskip(NEXT) | instid1(VALU_DEP_1)
	v_and_b32_e32 v4, 0x80000000, v4
	v_or3_b32 v16, v3, v4, v2
.LBB347_1414:                           ;   in Loop: Header=BB347_813 Depth=1
	s_or_b32 exec_lo, exec_lo, s16
.LBB347_1415:                           ;   in Loop: Header=BB347_813 Depth=1
	s_delay_alu instid0(SALU_CYCLE_1)
	s_or_b32 exec_lo, exec_lo, s15
.LBB347_1416:                           ;   in Loop: Header=BB347_813 Depth=1
	s_delay_alu instid0(SALU_CYCLE_1) | instskip(SKIP_2) | instid1(VALU_DEP_1)
	s_or_b32 exec_lo, exec_lo, s14
	v_lshrrev_b16 v2, 8, v18
	s_mov_b32 s14, exec_lo
	v_cmpx_ne_u16_e32 0, v2
	s_cbranch_execz .LBB347_1424
; %bb.1417:                             ;   in Loop: Header=BB347_813 Depth=1
	v_bfrev_b32_e32 v17, 1
	s_mov_b32 s15, exec_lo
	v_cmpx_ne_u16_e32 0x80, v2
	s_cbranch_execz .LBB347_1423
; %bb.1418:                             ;   in Loop: Header=BB347_813 Depth=1
	v_and_b32_e32 v2, 0xffff, v2
	v_mov_b32_e32 v17, 0x7f800001
	s_mov_b32 s16, exec_lo
	s_delay_alu instid0(VALU_DEP_2) | instskip(NEXT) | instid1(VALU_DEP_1)
	v_and_b32_e32 v3, 0x7f, v2
	v_cmpx_ne_u32_e32 0x7f, v3
	s_cbranch_execz .LBB347_1422
; %bb.1419:                             ;   in Loop: Header=BB347_813 Depth=1
	v_dual_lshrrev_b32 v2, 3, v3 :: v_dual_bitop2_b32 v26, 7, v2 bitop3:0x40
	s_mov_b32 s17, exec_lo
	v_cmpx_gt_u32_e32 8, v3
; %bb.1420:                             ;   in Loop: Header=BB347_813 Depth=1
	s_delay_alu instid0(VALU_DEP_2) | instskip(NEXT) | instid1(VALU_DEP_1)
	v_clz_i32_u32_e32 v2, v26
	v_min_u32_e32 v2, 32, v2
	s_delay_alu instid0(VALU_DEP_1) | instskip(NEXT) | instid1(VALU_DEP_1)
	v_subrev_nc_u32_e32 v3, 28, v2
	v_lshlrev_b64_e32 v[4:5], v3, v[26:27]
	s_delay_alu instid0(VALU_DEP_1)
	v_dual_sub_nc_u32 v2, 29, v2 :: v_dual_bitop2_b32 v26, 7, v4 bitop3:0x40
; %bb.1421:                             ;   in Loop: Header=BB347_813 Depth=1
	s_or_b32 exec_lo, exec_lo, s17
	v_lshlrev_b32_e32 v3, 16, v18
	s_delay_alu instid0(VALU_DEP_2) | instskip(NEXT) | instid1(VALU_DEP_3)
	v_lshlrev_b32_e32 v4, 20, v26
	v_lshl_add_u32 v2, v2, 23, 0x3c000000
	s_delay_alu instid0(VALU_DEP_3) | instskip(NEXT) | instid1(VALU_DEP_1)
	v_and_b32_e32 v3, 0x80000000, v3
	v_or3_b32 v17, v4, v3, v2
.LBB347_1422:                           ;   in Loop: Header=BB347_813 Depth=1
	s_or_b32 exec_lo, exec_lo, s16
.LBB347_1423:                           ;   in Loop: Header=BB347_813 Depth=1
	s_delay_alu instid0(SALU_CYCLE_1)
	s_or_b32 exec_lo, exec_lo, s15
.LBB347_1424:                           ;   in Loop: Header=BB347_813 Depth=1
	s_delay_alu instid0(SALU_CYCLE_1) | instskip(SKIP_3) | instid1(VALU_DEP_2)
	s_or_b32 exec_lo, exec_lo, s14
	v_dual_lshrrev_b32 v2, 16, v18 :: v_dual_mov_b32 v36, 0
	v_mov_b32_e32 v25, 0
	s_mov_b32 s14, exec_lo
	v_and_b32_e32 v3, 0xff, v2
	s_delay_alu instid0(VALU_DEP_1)
	v_cmpx_ne_u16_e32 0, v3
	s_cbranch_execz .LBB347_1432
; %bb.1425:                             ;   in Loop: Header=BB347_813 Depth=1
	v_bfrev_b32_e32 v25, 1
	s_mov_b32 s15, exec_lo
	v_cmpx_ne_u16_e32 0x80, v3
	s_cbranch_execz .LBB347_1431
; %bb.1426:                             ;   in Loop: Header=BB347_813 Depth=1
	v_bfe_u32 v4, v18, 16, 7
	v_mov_b32_e32 v25, 0x7f800001
	s_mov_b32 s16, exec_lo
	s_delay_alu instid0(VALU_DEP_2)
	v_cmpx_ne_u32_e32 0x7f, v4
	s_cbranch_execz .LBB347_1430
; %bb.1427:                             ;   in Loop: Header=BB347_813 Depth=1
	v_dual_lshrrev_b32 v3, 3, v4 :: v_dual_bitop2_b32 v26, 7, v2 bitop3:0x40
	s_mov_b32 s17, exec_lo
	v_cmpx_gt_u32_e32 8, v4
; %bb.1428:                             ;   in Loop: Header=BB347_813 Depth=1
	s_delay_alu instid0(VALU_DEP_2) | instskip(NEXT) | instid1(VALU_DEP_1)
	v_clz_i32_u32_e32 v3, v26
	v_min_u32_e32 v3, 32, v3
	s_delay_alu instid0(VALU_DEP_1) | instskip(NEXT) | instid1(VALU_DEP_1)
	v_subrev_nc_u32_e32 v4, 28, v3
	v_lshlrev_b64_e32 v[4:5], v4, v[26:27]
	s_delay_alu instid0(VALU_DEP_1)
	v_dual_sub_nc_u32 v3, 29, v3 :: v_dual_bitop2_b32 v26, 7, v4 bitop3:0x40
; %bb.1429:                             ;   in Loop: Header=BB347_813 Depth=1
	s_or_b32 exec_lo, exec_lo, s17
	v_lshlrev_b32_e32 v2, 24, v2
	s_delay_alu instid0(VALU_DEP_2) | instskip(NEXT) | instid1(VALU_DEP_3)
	v_lshlrev_b32_e32 v4, 20, v26
	v_lshl_add_u32 v3, v3, 23, 0x3c000000
	s_delay_alu instid0(VALU_DEP_3) | instskip(NEXT) | instid1(VALU_DEP_1)
	v_and_b32_e32 v2, 0x80000000, v2
	v_or3_b32 v25, v4, v2, v3
.LBB347_1430:                           ;   in Loop: Header=BB347_813 Depth=1
	s_or_b32 exec_lo, exec_lo, s16
.LBB347_1431:                           ;   in Loop: Header=BB347_813 Depth=1
	s_delay_alu instid0(SALU_CYCLE_1)
	s_or_b32 exec_lo, exec_lo, s15
.LBB347_1432:                           ;   in Loop: Header=BB347_813 Depth=1
	s_delay_alu instid0(SALU_CYCLE_1) | instskip(NEXT) | instid1(SALU_CYCLE_1)
	s_or_b32 exec_lo, exec_lo, s14
	s_mov_b32 s14, exec_lo
	v_cmpx_lt_u32_e32 0xffffff, v18
	s_cbranch_execz .LBB347_1440
; %bb.1433:                             ;   in Loop: Header=BB347_813 Depth=1
	v_lshrrev_b32_e32 v2, 24, v18
	v_bfrev_b32_e32 v36, 1
	s_mov_b32 s15, exec_lo
	s_delay_alu instid0(VALU_DEP_2)
	v_cmpx_ne_u32_e32 0x80, v2
	s_cbranch_execz .LBB347_1439
; %bb.1434:                             ;   in Loop: Header=BB347_813 Depth=1
	v_bfe_u32 v4, v18, 24, 7
	v_mov_b32_e32 v36, 0x7f800001
	s_mov_b32 s16, exec_lo
	s_delay_alu instid0(VALU_DEP_2)
	v_cmpx_ne_u32_e32 0x7f, v4
	s_cbranch_execz .LBB347_1438
; %bb.1435:                             ;   in Loop: Header=BB347_813 Depth=1
	v_dual_lshrrev_b32 v3, 3, v4 :: v_dual_bitop2_b32 v26, 7, v2 bitop3:0x40
	s_mov_b32 s17, exec_lo
	v_cmpx_gt_u32_e32 8, v4
; %bb.1436:                             ;   in Loop: Header=BB347_813 Depth=1
	s_delay_alu instid0(VALU_DEP_2) | instskip(NEXT) | instid1(VALU_DEP_1)
	v_clz_i32_u32_e32 v3, v26
	v_min_u32_e32 v3, 32, v3
	s_delay_alu instid0(VALU_DEP_1) | instskip(NEXT) | instid1(VALU_DEP_1)
	v_subrev_nc_u32_e32 v4, 28, v3
	v_lshlrev_b64_e32 v[4:5], v4, v[26:27]
	s_delay_alu instid0(VALU_DEP_1)
	v_dual_sub_nc_u32 v3, 29, v3 :: v_dual_bitop2_b32 v26, 7, v4 bitop3:0x40
; %bb.1437:                             ;   in Loop: Header=BB347_813 Depth=1
	s_or_b32 exec_lo, exec_lo, s17
	v_lshlrev_b32_e32 v2, 24, v2
	s_delay_alu instid0(VALU_DEP_2) | instskip(NEXT) | instid1(VALU_DEP_3)
	v_lshlrev_b32_e32 v4, 20, v26
	v_lshl_add_u32 v3, v3, 23, 0x3c000000
	s_delay_alu instid0(VALU_DEP_3) | instskip(NEXT) | instid1(VALU_DEP_1)
	v_and_b32_e32 v2, 0x80000000, v2
	v_or3_b32 v36, v4, v2, v3
.LBB347_1438:                           ;   in Loop: Header=BB347_813 Depth=1
	s_or_b32 exec_lo, exec_lo, s16
.LBB347_1439:                           ;   in Loop: Header=BB347_813 Depth=1
	s_delay_alu instid0(SALU_CYCLE_1)
	s_or_b32 exec_lo, exec_lo, s15
.LBB347_1440:                           ;   in Loop: Header=BB347_813 Depth=1
	s_delay_alu instid0(SALU_CYCLE_1) | instskip(SKIP_4) | instid1(VALU_DEP_3)
	s_or_b32 exec_lo, exec_lo, s14
	v_and_b32_e32 v3, 0xff, v19
	v_dual_mov_b32 v26, v19 :: v_dual_mov_b32 v2, 0
	v_mov_b32_e32 v37, 0
	s_mov_b32 s14, exec_lo
	v_cmpx_ne_u16_e32 0, v3
	s_cbranch_execz .LBB347_1448
; %bb.1441:                             ;   in Loop: Header=BB347_813 Depth=1
	v_bfrev_b32_e32 v37, 1
	s_mov_b32 s15, exec_lo
	v_cmpx_ne_u16_e32 0x80, v3
	s_cbranch_execz .LBB347_1447
; %bb.1442:                             ;   in Loop: Header=BB347_813 Depth=1
	v_and_b32_e32 v4, 0x7f, v19
	v_mov_b32_e32 v37, 0x7f800001
	s_mov_b32 s16, exec_lo
	s_delay_alu instid0(VALU_DEP_2)
	v_cmpx_ne_u32_e32 0x7f, v4
	s_cbranch_execz .LBB347_1446
; %bb.1443:                             ;   in Loop: Header=BB347_813 Depth=1
	v_mov_b64_e32 v[22:23], v[26:27]
	v_lshrrev_b32_e32 v3, 3, v4
	s_mov_b32 s17, exec_lo
	v_cmpx_gt_u32_e32 8, v4
; %bb.1444:                             ;   in Loop: Header=BB347_813 Depth=1
	v_and_b32_e32 v3, 7, v19
	s_delay_alu instid0(VALU_DEP_1) | instskip(NEXT) | instid1(VALU_DEP_1)
	v_clz_i32_u32_e32 v3, v3
	v_min_u32_e32 v3, 32, v3
	s_delay_alu instid0(VALU_DEP_1) | instskip(SKIP_1) | instid1(VALU_DEP_2)
	v_subrev_nc_u32_e32 v4, 28, v3
	v_sub_nc_u32_e32 v3, 29, v3
	v_lshlrev_b64_e32 v[22:23], v4, v[26:27]
; %bb.1445:                             ;   in Loop: Header=BB347_813 Depth=1
	s_or_b32 exec_lo, exec_lo, s17
	s_delay_alu instid0(VALU_DEP_1) | instskip(SKIP_2) | instid1(VALU_DEP_3)
	v_lshlrev_b32_e32 v4, 20, v22
	v_lshlrev_b32_e32 v5, 24, v26
	v_lshl_add_u32 v3, v3, 23, 0x3c000000
	v_and_b32_e32 v4, 0x700000, v4
	s_delay_alu instid0(VALU_DEP_3) | instskip(NEXT) | instid1(VALU_DEP_1)
	v_and_b32_e32 v5, 0x80000000, v5
	v_or3_b32 v37, v4, v5, v3
.LBB347_1446:                           ;   in Loop: Header=BB347_813 Depth=1
	s_or_b32 exec_lo, exec_lo, s16
.LBB347_1447:                           ;   in Loop: Header=BB347_813 Depth=1
	s_delay_alu instid0(SALU_CYCLE_1)
	s_or_b32 exec_lo, exec_lo, s15
.LBB347_1448:                           ;   in Loop: Header=BB347_813 Depth=1
	s_delay_alu instid0(SALU_CYCLE_1) | instskip(SKIP_2) | instid1(VALU_DEP_1)
	s_or_b32 exec_lo, exec_lo, s14
	v_lshrrev_b16 v3, 8, v26
	s_mov_b32 s14, exec_lo
	v_cmpx_ne_u16_e32 0, v3
	s_cbranch_execz .LBB347_1456
; %bb.1449:                             ;   in Loop: Header=BB347_813 Depth=1
	v_bfrev_b32_e32 v2, 1
	s_mov_b32 s15, exec_lo
	v_cmpx_ne_u16_e32 0x80, v3
	s_cbranch_execz .LBB347_1455
; %bb.1450:                             ;   in Loop: Header=BB347_813 Depth=1
	v_and_b32_e32 v4, 0xffff, v3
	v_mov_b32_e32 v2, 0x7f800001
	s_mov_b32 s16, exec_lo
	s_delay_alu instid0(VALU_DEP_2) | instskip(NEXT) | instid1(VALU_DEP_1)
	v_and_b32_e32 v3, 0x7f, v4
	v_cmpx_ne_u32_e32 0x7f, v3
	s_cbranch_execz .LBB347_1454
; %bb.1451:                             ;   in Loop: Header=BB347_813 Depth=1
	v_dual_mov_b32 v23, v27 :: v_dual_bitop2_b32 v22, 7, v4 bitop3:0x40
	v_lshrrev_b32_e32 v2, 3, v3
	s_mov_b32 s17, exec_lo
	v_cmpx_gt_u32_e32 8, v3
; %bb.1452:                             ;   in Loop: Header=BB347_813 Depth=1
	s_delay_alu instid0(VALU_DEP_3) | instskip(NEXT) | instid1(VALU_DEP_1)
	v_clz_i32_u32_e32 v2, v22
	v_min_u32_e32 v2, 32, v2
	s_delay_alu instid0(VALU_DEP_1) | instskip(NEXT) | instid1(VALU_DEP_1)
	v_subrev_nc_u32_e32 v3, 28, v2
	v_lshlrev_b64_e32 v[4:5], v3, v[22:23]
	s_delay_alu instid0(VALU_DEP_1)
	v_dual_sub_nc_u32 v2, 29, v2 :: v_dual_bitop2_b32 v22, 7, v4 bitop3:0x40
; %bb.1453:                             ;   in Loop: Header=BB347_813 Depth=1
	s_or_b32 exec_lo, exec_lo, s17
	v_lshlrev_b32_e32 v3, 16, v26
	s_delay_alu instid0(VALU_DEP_2) | instskip(NEXT) | instid1(VALU_DEP_3)
	v_lshlrev_b32_e32 v4, 20, v22
	v_lshl_add_u32 v2, v2, 23, 0x3c000000
	s_delay_alu instid0(VALU_DEP_3) | instskip(NEXT) | instid1(VALU_DEP_1)
	v_and_b32_e32 v3, 0x80000000, v3
	v_or3_b32 v2, v4, v3, v2
.LBB347_1454:                           ;   in Loop: Header=BB347_813 Depth=1
	s_or_b32 exec_lo, exec_lo, s16
.LBB347_1455:                           ;   in Loop: Header=BB347_813 Depth=1
	s_delay_alu instid0(SALU_CYCLE_1)
	s_or_b32 exec_lo, exec_lo, s15
.LBB347_1456:                           ;   in Loop: Header=BB347_813 Depth=1
	s_delay_alu instid0(SALU_CYCLE_1) | instskip(SKIP_3) | instid1(VALU_DEP_2)
	s_or_b32 exec_lo, exec_lo, s14
	v_dual_lshrrev_b32 v5, 16, v19 :: v_dual_mov_b32 v3, 0
	v_mov_b32_e32 v4, 0
	s_mov_b32 s14, exec_lo
	v_and_b32_e32 v22, 0xff, v5
	s_delay_alu instid0(VALU_DEP_1)
	v_cmpx_ne_u16_e32 0, v22
	s_cbranch_execz .LBB347_1464
; %bb.1457:                             ;   in Loop: Header=BB347_813 Depth=1
	v_bfrev_b32_e32 v4, 1
	s_mov_b32 s15, exec_lo
	v_cmpx_ne_u16_e32 0x80, v22
	s_cbranch_execz .LBB347_1463
; %bb.1458:                             ;   in Loop: Header=BB347_813 Depth=1
	v_bfe_u32 v22, v19, 16, 7
	v_mov_b32_e32 v4, 0x7f800001
	s_mov_b32 s16, exec_lo
	s_delay_alu instid0(VALU_DEP_2)
	v_cmpx_ne_u32_e32 0x7f, v22
	s_cbranch_execz .LBB347_1462
; %bb.1459:                             ;   in Loop: Header=BB347_813 Depth=1
	v_dual_lshrrev_b32 v4, 3, v22 :: v_dual_bitop2_b32 v26, 7, v5 bitop3:0x40
	s_mov_b32 s17, exec_lo
	v_cmpx_gt_u32_e32 8, v22
; %bb.1460:                             ;   in Loop: Header=BB347_813 Depth=1
	s_delay_alu instid0(VALU_DEP_2) | instskip(NEXT) | instid1(VALU_DEP_1)
	v_clz_i32_u32_e32 v4, v26
	v_min_u32_e32 v4, 32, v4
	s_delay_alu instid0(VALU_DEP_1) | instskip(NEXT) | instid1(VALU_DEP_1)
	v_subrev_nc_u32_e32 v6, 28, v4
	v_lshlrev_b64_e32 v[22:23], v6, v[26:27]
	s_delay_alu instid0(VALU_DEP_1)
	v_dual_sub_nc_u32 v4, 29, v4 :: v_dual_bitop2_b32 v26, 7, v22 bitop3:0x40
; %bb.1461:                             ;   in Loop: Header=BB347_813 Depth=1
	s_or_b32 exec_lo, exec_lo, s17
	s_delay_alu instid0(VALU_DEP_1) | instskip(NEXT) | instid1(VALU_DEP_2)
	v_dual_lshlrev_b32 v5, 24, v5 :: v_dual_lshlrev_b32 v6, 20, v26
	v_lshl_add_u32 v4, v4, 23, 0x3c000000
	s_delay_alu instid0(VALU_DEP_2) | instskip(NEXT) | instid1(VALU_DEP_1)
	v_and_b32_e32 v5, 0x80000000, v5
	v_or3_b32 v4, v6, v5, v4
.LBB347_1462:                           ;   in Loop: Header=BB347_813 Depth=1
	s_or_b32 exec_lo, exec_lo, s16
.LBB347_1463:                           ;   in Loop: Header=BB347_813 Depth=1
	s_delay_alu instid0(SALU_CYCLE_1)
	s_or_b32 exec_lo, exec_lo, s15
.LBB347_1464:                           ;   in Loop: Header=BB347_813 Depth=1
	s_delay_alu instid0(SALU_CYCLE_1) | instskip(NEXT) | instid1(SALU_CYCLE_1)
	s_or_b32 exec_lo, exec_lo, s14
	s_mov_b32 s14, exec_lo
	v_cmpx_lt_u64_e64 s[2:3], v[18:19]
	s_cbranch_execz .LBB347_1472
; %bb.1465:                             ;   in Loop: Header=BB347_813 Depth=1
	v_lshrrev_b32_e32 v5, 24, v19
	v_bfrev_b32_e32 v3, 1
	s_mov_b32 s15, exec_lo
	s_delay_alu instid0(VALU_DEP_2)
	v_cmpx_ne_u32_e32 0x80, v5
	s_cbranch_execz .LBB347_1471
; %bb.1466:                             ;   in Loop: Header=BB347_813 Depth=1
	v_bfe_u32 v18, v19, 24, 7
	v_mov_b32_e32 v3, 0x7f800001
	s_mov_b32 s16, exec_lo
	s_delay_alu instid0(VALU_DEP_2)
	v_cmpx_ne_u32_e32 0x7f, v18
	s_cbranch_execz .LBB347_1470
; %bb.1467:                             ;   in Loop: Header=BB347_813 Depth=1
	v_dual_lshrrev_b32 v3, 3, v18 :: v_dual_bitop2_b32 v26, 7, v5 bitop3:0x40
	s_mov_b32 s17, exec_lo
	v_cmpx_gt_u32_e32 8, v18
; %bb.1468:                             ;   in Loop: Header=BB347_813 Depth=1
	s_delay_alu instid0(VALU_DEP_2) | instskip(NEXT) | instid1(VALU_DEP_1)
	v_clz_i32_u32_e32 v3, v26
	v_min_u32_e32 v3, 32, v3
	s_delay_alu instid0(VALU_DEP_1) | instskip(NEXT) | instid1(VALU_DEP_1)
	v_subrev_nc_u32_e32 v6, 28, v3
	v_lshlrev_b64_e32 v[18:19], v6, v[26:27]
	s_delay_alu instid0(VALU_DEP_1)
	v_dual_sub_nc_u32 v3, 29, v3 :: v_dual_bitop2_b32 v26, 7, v18 bitop3:0x40
; %bb.1469:                             ;   in Loop: Header=BB347_813 Depth=1
	s_or_b32 exec_lo, exec_lo, s17
	s_delay_alu instid0(VALU_DEP_1) | instskip(NEXT) | instid1(VALU_DEP_2)
	v_dual_lshlrev_b32 v5, 24, v5 :: v_dual_lshlrev_b32 v6, 20, v26
	v_lshl_add_u32 v3, v3, 23, 0x3c000000
	s_delay_alu instid0(VALU_DEP_2) | instskip(NEXT) | instid1(VALU_DEP_1)
	v_and_b32_e32 v5, 0x80000000, v5
	v_or3_b32 v3, v6, v5, v3
.LBB347_1470:                           ;   in Loop: Header=BB347_813 Depth=1
	s_or_b32 exec_lo, exec_lo, s16
.LBB347_1471:                           ;   in Loop: Header=BB347_813 Depth=1
	s_delay_alu instid0(SALU_CYCLE_1)
	s_or_b32 exec_lo, exec_lo, s15
.LBB347_1472:                           ;   in Loop: Header=BB347_813 Depth=1
	s_delay_alu instid0(SALU_CYCLE_1)
	s_or_b32 exec_lo, exec_lo, s14
	v_fma_mixlo_bf16 v51, v68, v2, 0
	v_fma_mixlo_bf16 v38, v68, v37, 0
	;; [unrolled: 1-line block ×8, first 2 shown]
	s_and_saveexec_b32 s14, vcc_lo
	s_cbranch_execz .LBB347_1474
; %bb.1473:                             ;   in Loop: Header=BB347_813 Depth=1
	v_cmp_lt_i32_e64 s0, v96, v60
	s_delay_alu instid0(VALU_DEP_1) | instskip(SKIP_1) | instid1(VALU_DEP_1)
	v_cndmask_b32_e64 v16, 0, v16, s0
	v_cmp_lt_i32_e64 s0, v100, v60
	v_cndmask_b32_e64 v37, 0, v37, s0
	v_cmp_lt_i32_e64 s0, v99, v60
	s_delay_alu instid0(VALU_DEP_1) | instskip(SKIP_1) | instid1(VALU_DEP_1)
	v_cndmask_b32_e64 v36, 0, v36, s0
	v_cmp_lt_i32_e64 s0, v98, v60
	v_cndmask_b32_e64 v73, 0, v73, s0
	;; [unrolled: 5-line block ×4, first 2 shown]
.LBB347_1474:                           ;   in Loop: Header=BB347_813 Depth=1
	s_or_b32 exec_lo, exec_lo, s14
	flat_load_b64 v[18:19], v[0:1] offset:2560
	v_dual_mov_b32 v53, 0 :: v_dual_mov_b32 v17, 0
	s_mov_b32 s14, exec_lo
	s_wait_loadcnt_dscnt 0x0
	v_and_b32_e32 v2, 0xff, v18
	s_wait_xcnt 0x0
	s_delay_alu instid0(VALU_DEP_1)
	v_cmpx_ne_u16_e32 0, v2
	s_cbranch_execz .LBB347_1482
; %bb.1475:                             ;   in Loop: Header=BB347_813 Depth=1
	v_bfrev_b32_e32 v17, 1
	s_mov_b32 s15, exec_lo
	v_cmpx_ne_u16_e32 0x80, v2
	s_cbranch_execz .LBB347_1481
; %bb.1476:                             ;   in Loop: Header=BB347_813 Depth=1
	v_and_b32_e32 v3, 0x7f, v18
	v_mov_b32_e32 v17, 0x7f800001
	s_mov_b32 s16, exec_lo
	s_delay_alu instid0(VALU_DEP_2)
	v_cmpx_ne_u32_e32 0x7f, v3
	s_cbranch_execz .LBB347_1480
; %bb.1477:                             ;   in Loop: Header=BB347_813 Depth=1
	v_mov_b64_e32 v[22:23], v[18:19]
	v_lshrrev_b32_e32 v2, 3, v3
	s_mov_b32 s17, exec_lo
	v_cmpx_gt_u32_e32 8, v3
; %bb.1478:                             ;   in Loop: Header=BB347_813 Depth=1
	v_and_b32_e32 v2, 7, v18
	s_delay_alu instid0(VALU_DEP_1) | instskip(NEXT) | instid1(VALU_DEP_1)
	v_clz_i32_u32_e32 v2, v2
	v_min_u32_e32 v2, 32, v2
	s_delay_alu instid0(VALU_DEP_1) | instskip(SKIP_1) | instid1(VALU_DEP_2)
	v_subrev_nc_u32_e32 v3, 28, v2
	v_sub_nc_u32_e32 v2, 29, v2
	v_lshlrev_b64_e32 v[22:23], v3, v[18:19]
; %bb.1479:                             ;   in Loop: Header=BB347_813 Depth=1
	s_or_b32 exec_lo, exec_lo, s17
	s_delay_alu instid0(VALU_DEP_1) | instskip(SKIP_2) | instid1(VALU_DEP_3)
	v_lshlrev_b32_e32 v3, 20, v22
	v_lshlrev_b32_e32 v4, 24, v18
	v_lshl_add_u32 v2, v2, 23, 0x3c000000
	v_and_b32_e32 v3, 0x700000, v3
	s_delay_alu instid0(VALU_DEP_3) | instskip(NEXT) | instid1(VALU_DEP_1)
	v_and_b32_e32 v4, 0x80000000, v4
	v_or3_b32 v17, v3, v4, v2
.LBB347_1480:                           ;   in Loop: Header=BB347_813 Depth=1
	s_or_b32 exec_lo, exec_lo, s16
.LBB347_1481:                           ;   in Loop: Header=BB347_813 Depth=1
	s_delay_alu instid0(SALU_CYCLE_1)
	s_or_b32 exec_lo, exec_lo, s15
.LBB347_1482:                           ;   in Loop: Header=BB347_813 Depth=1
	s_delay_alu instid0(SALU_CYCLE_1) | instskip(SKIP_2) | instid1(VALU_DEP_1)
	s_or_b32 exec_lo, exec_lo, s14
	v_lshrrev_b16 v2, 8, v18
	s_mov_b32 s14, exec_lo
	v_cmpx_ne_u16_e32 0, v2
	s_cbranch_execz .LBB347_1490
; %bb.1483:                             ;   in Loop: Header=BB347_813 Depth=1
	v_bfrev_b32_e32 v53, 1
	s_mov_b32 s15, exec_lo
	v_cmpx_ne_u16_e32 0x80, v2
	s_cbranch_execz .LBB347_1489
; %bb.1484:                             ;   in Loop: Header=BB347_813 Depth=1
	v_and_b32_e32 v2, 0xffff, v2
	v_mov_b32_e32 v53, 0x7f800001
	s_mov_b32 s16, exec_lo
	s_delay_alu instid0(VALU_DEP_2) | instskip(NEXT) | instid1(VALU_DEP_1)
	v_and_b32_e32 v3, 0x7f, v2
	v_cmpx_ne_u32_e32 0x7f, v3
	s_cbranch_execz .LBB347_1488
; %bb.1485:                             ;   in Loop: Header=BB347_813 Depth=1
	v_dual_lshrrev_b32 v2, 3, v3 :: v_dual_bitop2_b32 v26, 7, v2 bitop3:0x40
	s_mov_b32 s17, exec_lo
	v_cmpx_gt_u32_e32 8, v3
; %bb.1486:                             ;   in Loop: Header=BB347_813 Depth=1
	s_delay_alu instid0(VALU_DEP_2) | instskip(NEXT) | instid1(VALU_DEP_1)
	v_clz_i32_u32_e32 v2, v26
	v_min_u32_e32 v2, 32, v2
	s_delay_alu instid0(VALU_DEP_1) | instskip(NEXT) | instid1(VALU_DEP_1)
	v_subrev_nc_u32_e32 v3, 28, v2
	v_lshlrev_b64_e32 v[4:5], v3, v[26:27]
	s_delay_alu instid0(VALU_DEP_1)
	v_dual_sub_nc_u32 v2, 29, v2 :: v_dual_bitop2_b32 v26, 7, v4 bitop3:0x40
; %bb.1487:                             ;   in Loop: Header=BB347_813 Depth=1
	s_or_b32 exec_lo, exec_lo, s17
	v_lshlrev_b32_e32 v3, 16, v18
	s_delay_alu instid0(VALU_DEP_2) | instskip(NEXT) | instid1(VALU_DEP_3)
	v_lshlrev_b32_e32 v4, 20, v26
	v_lshl_add_u32 v2, v2, 23, 0x3c000000
	s_delay_alu instid0(VALU_DEP_3) | instskip(NEXT) | instid1(VALU_DEP_1)
	v_and_b32_e32 v3, 0x80000000, v3
	v_or3_b32 v53, v4, v3, v2
.LBB347_1488:                           ;   in Loop: Header=BB347_813 Depth=1
	s_or_b32 exec_lo, exec_lo, s16
.LBB347_1489:                           ;   in Loop: Header=BB347_813 Depth=1
	s_delay_alu instid0(SALU_CYCLE_1)
	s_or_b32 exec_lo, exec_lo, s15
.LBB347_1490:                           ;   in Loop: Header=BB347_813 Depth=1
	s_delay_alu instid0(SALU_CYCLE_1) | instskip(SKIP_3) | instid1(VALU_DEP_2)
	s_or_b32 exec_lo, exec_lo, s14
	v_dual_mov_b32 v55, 0 :: v_dual_lshrrev_b32 v2, 16, v18
	v_mov_b32_e32 v54, 0
	s_mov_b32 s14, exec_lo
	v_and_b32_e32 v3, 0xff, v2
	s_delay_alu instid0(VALU_DEP_1)
	v_cmpx_ne_u16_e32 0, v3
	s_cbranch_execz .LBB347_1498
; %bb.1491:                             ;   in Loop: Header=BB347_813 Depth=1
	v_bfrev_b32_e32 v54, 1
	s_mov_b32 s15, exec_lo
	v_cmpx_ne_u16_e32 0x80, v3
	s_cbranch_execz .LBB347_1497
; %bb.1492:                             ;   in Loop: Header=BB347_813 Depth=1
	v_bfe_u32 v4, v18, 16, 7
	v_mov_b32_e32 v54, 0x7f800001
	s_mov_b32 s16, exec_lo
	s_delay_alu instid0(VALU_DEP_2)
	v_cmpx_ne_u32_e32 0x7f, v4
	s_cbranch_execz .LBB347_1496
; %bb.1493:                             ;   in Loop: Header=BB347_813 Depth=1
	v_dual_lshrrev_b32 v3, 3, v4 :: v_dual_bitop2_b32 v26, 7, v2 bitop3:0x40
	s_mov_b32 s17, exec_lo
	v_cmpx_gt_u32_e32 8, v4
; %bb.1494:                             ;   in Loop: Header=BB347_813 Depth=1
	s_delay_alu instid0(VALU_DEP_2) | instskip(NEXT) | instid1(VALU_DEP_1)
	v_clz_i32_u32_e32 v3, v26
	v_min_u32_e32 v3, 32, v3
	s_delay_alu instid0(VALU_DEP_1) | instskip(NEXT) | instid1(VALU_DEP_1)
	v_subrev_nc_u32_e32 v4, 28, v3
	v_lshlrev_b64_e32 v[4:5], v4, v[26:27]
	s_delay_alu instid0(VALU_DEP_1)
	v_dual_sub_nc_u32 v3, 29, v3 :: v_dual_bitop2_b32 v26, 7, v4 bitop3:0x40
; %bb.1495:                             ;   in Loop: Header=BB347_813 Depth=1
	s_or_b32 exec_lo, exec_lo, s17
	v_lshlrev_b32_e32 v2, 24, v2
	s_delay_alu instid0(VALU_DEP_2) | instskip(NEXT) | instid1(VALU_DEP_3)
	v_lshlrev_b32_e32 v4, 20, v26
	v_lshl_add_u32 v3, v3, 23, 0x3c000000
	s_delay_alu instid0(VALU_DEP_3) | instskip(NEXT) | instid1(VALU_DEP_1)
	v_and_b32_e32 v2, 0x80000000, v2
	v_or3_b32 v54, v4, v2, v3
.LBB347_1496:                           ;   in Loop: Header=BB347_813 Depth=1
	s_or_b32 exec_lo, exec_lo, s16
.LBB347_1497:                           ;   in Loop: Header=BB347_813 Depth=1
	s_delay_alu instid0(SALU_CYCLE_1)
	s_or_b32 exec_lo, exec_lo, s15
.LBB347_1498:                           ;   in Loop: Header=BB347_813 Depth=1
	s_delay_alu instid0(SALU_CYCLE_1) | instskip(NEXT) | instid1(SALU_CYCLE_1)
	s_or_b32 exec_lo, exec_lo, s14
	s_mov_b32 s14, exec_lo
	v_cmpx_lt_u32_e32 0xffffff, v18
	s_cbranch_execz .LBB347_1506
; %bb.1499:                             ;   in Loop: Header=BB347_813 Depth=1
	v_lshrrev_b32_e32 v2, 24, v18
	v_bfrev_b32_e32 v55, 1
	s_mov_b32 s15, exec_lo
	s_delay_alu instid0(VALU_DEP_2)
	v_cmpx_ne_u32_e32 0x80, v2
	s_cbranch_execz .LBB347_1505
; %bb.1500:                             ;   in Loop: Header=BB347_813 Depth=1
	v_bfe_u32 v4, v18, 24, 7
	v_mov_b32_e32 v55, 0x7f800001
	s_mov_b32 s16, exec_lo
	s_delay_alu instid0(VALU_DEP_2)
	v_cmpx_ne_u32_e32 0x7f, v4
	s_cbranch_execz .LBB347_1504
; %bb.1501:                             ;   in Loop: Header=BB347_813 Depth=1
	v_dual_lshrrev_b32 v3, 3, v4 :: v_dual_bitop2_b32 v26, 7, v2 bitop3:0x40
	s_mov_b32 s17, exec_lo
	v_cmpx_gt_u32_e32 8, v4
; %bb.1502:                             ;   in Loop: Header=BB347_813 Depth=1
	s_delay_alu instid0(VALU_DEP_2) | instskip(NEXT) | instid1(VALU_DEP_1)
	v_clz_i32_u32_e32 v3, v26
	v_min_u32_e32 v3, 32, v3
	s_delay_alu instid0(VALU_DEP_1) | instskip(NEXT) | instid1(VALU_DEP_1)
	v_subrev_nc_u32_e32 v4, 28, v3
	v_lshlrev_b64_e32 v[4:5], v4, v[26:27]
	s_delay_alu instid0(VALU_DEP_1)
	v_dual_sub_nc_u32 v3, 29, v3 :: v_dual_bitop2_b32 v26, 7, v4 bitop3:0x40
; %bb.1503:                             ;   in Loop: Header=BB347_813 Depth=1
	s_or_b32 exec_lo, exec_lo, s17
	v_lshlrev_b32_e32 v2, 24, v2
	s_delay_alu instid0(VALU_DEP_2) | instskip(NEXT) | instid1(VALU_DEP_3)
	v_lshlrev_b32_e32 v4, 20, v26
	v_lshl_add_u32 v3, v3, 23, 0x3c000000
	s_delay_alu instid0(VALU_DEP_3) | instskip(NEXT) | instid1(VALU_DEP_1)
	v_and_b32_e32 v2, 0x80000000, v2
	v_or3_b32 v55, v4, v2, v3
.LBB347_1504:                           ;   in Loop: Header=BB347_813 Depth=1
	s_or_b32 exec_lo, exec_lo, s16
.LBB347_1505:                           ;   in Loop: Header=BB347_813 Depth=1
	s_delay_alu instid0(SALU_CYCLE_1)
	s_or_b32 exec_lo, exec_lo, s15
.LBB347_1506:                           ;   in Loop: Header=BB347_813 Depth=1
	s_delay_alu instid0(SALU_CYCLE_1) | instskip(SKIP_4) | instid1(VALU_DEP_3)
	s_or_b32 exec_lo, exec_lo, s14
	v_and_b32_e32 v3, 0xff, v19
	v_dual_mov_b32 v26, v19 :: v_dual_mov_b32 v2, 0
	v_mov_b32_e32 v25, 0
	s_mov_b32 s14, exec_lo
	v_cmpx_ne_u16_e32 0, v3
	s_cbranch_execz .LBB347_1514
; %bb.1507:                             ;   in Loop: Header=BB347_813 Depth=1
	v_bfrev_b32_e32 v25, 1
	s_mov_b32 s15, exec_lo
	v_cmpx_ne_u16_e32 0x80, v3
	s_cbranch_execz .LBB347_1513
; %bb.1508:                             ;   in Loop: Header=BB347_813 Depth=1
	v_and_b32_e32 v4, 0x7f, v19
	v_mov_b32_e32 v25, 0x7f800001
	s_mov_b32 s16, exec_lo
	s_delay_alu instid0(VALU_DEP_2)
	v_cmpx_ne_u32_e32 0x7f, v4
	s_cbranch_execz .LBB347_1512
; %bb.1509:                             ;   in Loop: Header=BB347_813 Depth=1
	v_mov_b64_e32 v[22:23], v[26:27]
	v_lshrrev_b32_e32 v3, 3, v4
	s_mov_b32 s17, exec_lo
	v_cmpx_gt_u32_e32 8, v4
; %bb.1510:                             ;   in Loop: Header=BB347_813 Depth=1
	v_and_b32_e32 v3, 7, v19
	s_delay_alu instid0(VALU_DEP_1) | instskip(NEXT) | instid1(VALU_DEP_1)
	v_clz_i32_u32_e32 v3, v3
	v_min_u32_e32 v3, 32, v3
	s_delay_alu instid0(VALU_DEP_1) | instskip(SKIP_1) | instid1(VALU_DEP_2)
	v_subrev_nc_u32_e32 v4, 28, v3
	v_sub_nc_u32_e32 v3, 29, v3
	v_lshlrev_b64_e32 v[22:23], v4, v[26:27]
; %bb.1511:                             ;   in Loop: Header=BB347_813 Depth=1
	s_or_b32 exec_lo, exec_lo, s17
	s_delay_alu instid0(VALU_DEP_1) | instskip(SKIP_2) | instid1(VALU_DEP_3)
	v_lshlrev_b32_e32 v4, 20, v22
	v_lshlrev_b32_e32 v5, 24, v26
	v_lshl_add_u32 v3, v3, 23, 0x3c000000
	v_and_b32_e32 v4, 0x700000, v4
	s_delay_alu instid0(VALU_DEP_3) | instskip(NEXT) | instid1(VALU_DEP_1)
	v_and_b32_e32 v5, 0x80000000, v5
	v_or3_b32 v25, v4, v5, v3
.LBB347_1512:                           ;   in Loop: Header=BB347_813 Depth=1
	s_or_b32 exec_lo, exec_lo, s16
.LBB347_1513:                           ;   in Loop: Header=BB347_813 Depth=1
	s_delay_alu instid0(SALU_CYCLE_1)
	s_or_b32 exec_lo, exec_lo, s15
.LBB347_1514:                           ;   in Loop: Header=BB347_813 Depth=1
	s_delay_alu instid0(SALU_CYCLE_1) | instskip(SKIP_2) | instid1(VALU_DEP_1)
	s_or_b32 exec_lo, exec_lo, s14
	v_lshrrev_b16 v3, 8, v26
	s_mov_b32 s14, exec_lo
	v_cmpx_ne_u16_e32 0, v3
	s_cbranch_execz .LBB347_1522
; %bb.1515:                             ;   in Loop: Header=BB347_813 Depth=1
	v_bfrev_b32_e32 v2, 1
	s_mov_b32 s15, exec_lo
	v_cmpx_ne_u16_e32 0x80, v3
	s_cbranch_execz .LBB347_1521
; %bb.1516:                             ;   in Loop: Header=BB347_813 Depth=1
	v_and_b32_e32 v4, 0xffff, v3
	v_mov_b32_e32 v2, 0x7f800001
	s_mov_b32 s16, exec_lo
	s_delay_alu instid0(VALU_DEP_2) | instskip(NEXT) | instid1(VALU_DEP_1)
	v_and_b32_e32 v3, 0x7f, v4
	v_cmpx_ne_u32_e32 0x7f, v3
	s_cbranch_execz .LBB347_1520
; %bb.1517:                             ;   in Loop: Header=BB347_813 Depth=1
	v_dual_mov_b32 v23, v27 :: v_dual_bitop2_b32 v22, 7, v4 bitop3:0x40
	v_lshrrev_b32_e32 v2, 3, v3
	s_mov_b32 s17, exec_lo
	v_cmpx_gt_u32_e32 8, v3
; %bb.1518:                             ;   in Loop: Header=BB347_813 Depth=1
	s_delay_alu instid0(VALU_DEP_3) | instskip(NEXT) | instid1(VALU_DEP_1)
	v_clz_i32_u32_e32 v2, v22
	v_min_u32_e32 v2, 32, v2
	s_delay_alu instid0(VALU_DEP_1) | instskip(NEXT) | instid1(VALU_DEP_1)
	v_subrev_nc_u32_e32 v3, 28, v2
	v_lshlrev_b64_e32 v[4:5], v3, v[22:23]
	s_delay_alu instid0(VALU_DEP_1)
	v_dual_sub_nc_u32 v2, 29, v2 :: v_dual_bitop2_b32 v22, 7, v4 bitop3:0x40
; %bb.1519:                             ;   in Loop: Header=BB347_813 Depth=1
	s_or_b32 exec_lo, exec_lo, s17
	v_lshlrev_b32_e32 v3, 16, v26
	s_delay_alu instid0(VALU_DEP_2) | instskip(NEXT) | instid1(VALU_DEP_3)
	v_lshlrev_b32_e32 v4, 20, v22
	v_lshl_add_u32 v2, v2, 23, 0x3c000000
	s_delay_alu instid0(VALU_DEP_3) | instskip(NEXT) | instid1(VALU_DEP_1)
	v_and_b32_e32 v3, 0x80000000, v3
	v_or3_b32 v2, v4, v3, v2
.LBB347_1520:                           ;   in Loop: Header=BB347_813 Depth=1
	s_or_b32 exec_lo, exec_lo, s16
.LBB347_1521:                           ;   in Loop: Header=BB347_813 Depth=1
	s_delay_alu instid0(SALU_CYCLE_1)
	s_or_b32 exec_lo, exec_lo, s15
.LBB347_1522:                           ;   in Loop: Header=BB347_813 Depth=1
	s_delay_alu instid0(SALU_CYCLE_1) | instskip(SKIP_3) | instid1(VALU_DEP_2)
	s_or_b32 exec_lo, exec_lo, s14
	v_dual_lshrrev_b32 v5, 16, v19 :: v_dual_mov_b32 v3, 0
	v_mov_b32_e32 v4, 0
	s_mov_b32 s14, exec_lo
	v_and_b32_e32 v22, 0xff, v5
	s_delay_alu instid0(VALU_DEP_1)
	v_cmpx_ne_u16_e32 0, v22
	s_cbranch_execz .LBB347_1530
; %bb.1523:                             ;   in Loop: Header=BB347_813 Depth=1
	v_bfrev_b32_e32 v4, 1
	s_mov_b32 s15, exec_lo
	v_cmpx_ne_u16_e32 0x80, v22
	s_cbranch_execz .LBB347_1529
; %bb.1524:                             ;   in Loop: Header=BB347_813 Depth=1
	v_bfe_u32 v22, v19, 16, 7
	v_mov_b32_e32 v4, 0x7f800001
	s_mov_b32 s16, exec_lo
	s_delay_alu instid0(VALU_DEP_2)
	v_cmpx_ne_u32_e32 0x7f, v22
	s_cbranch_execz .LBB347_1528
; %bb.1525:                             ;   in Loop: Header=BB347_813 Depth=1
	v_dual_lshrrev_b32 v4, 3, v22 :: v_dual_bitop2_b32 v26, 7, v5 bitop3:0x40
	s_mov_b32 s17, exec_lo
	v_cmpx_gt_u32_e32 8, v22
; %bb.1526:                             ;   in Loop: Header=BB347_813 Depth=1
	s_delay_alu instid0(VALU_DEP_2) | instskip(NEXT) | instid1(VALU_DEP_1)
	v_clz_i32_u32_e32 v4, v26
	v_min_u32_e32 v4, 32, v4
	s_delay_alu instid0(VALU_DEP_1) | instskip(NEXT) | instid1(VALU_DEP_1)
	v_subrev_nc_u32_e32 v6, 28, v4
	v_lshlrev_b64_e32 v[22:23], v6, v[26:27]
	s_delay_alu instid0(VALU_DEP_1)
	v_dual_sub_nc_u32 v4, 29, v4 :: v_dual_bitop2_b32 v26, 7, v22 bitop3:0x40
; %bb.1527:                             ;   in Loop: Header=BB347_813 Depth=1
	s_or_b32 exec_lo, exec_lo, s17
	s_delay_alu instid0(VALU_DEP_1) | instskip(NEXT) | instid1(VALU_DEP_2)
	v_dual_lshlrev_b32 v5, 24, v5 :: v_dual_lshlrev_b32 v6, 20, v26
	v_lshl_add_u32 v4, v4, 23, 0x3c000000
	s_delay_alu instid0(VALU_DEP_2) | instskip(NEXT) | instid1(VALU_DEP_1)
	v_and_b32_e32 v5, 0x80000000, v5
	v_or3_b32 v4, v6, v5, v4
.LBB347_1528:                           ;   in Loop: Header=BB347_813 Depth=1
	s_or_b32 exec_lo, exec_lo, s16
.LBB347_1529:                           ;   in Loop: Header=BB347_813 Depth=1
	s_delay_alu instid0(SALU_CYCLE_1)
	s_or_b32 exec_lo, exec_lo, s15
.LBB347_1530:                           ;   in Loop: Header=BB347_813 Depth=1
	s_delay_alu instid0(SALU_CYCLE_1) | instskip(NEXT) | instid1(SALU_CYCLE_1)
	s_or_b32 exec_lo, exec_lo, s14
	s_mov_b32 s14, exec_lo
	v_cmpx_lt_u64_e64 s[2:3], v[18:19]
	s_cbranch_execz .LBB347_1538
; %bb.1531:                             ;   in Loop: Header=BB347_813 Depth=1
	v_lshrrev_b32_e32 v5, 24, v19
	v_bfrev_b32_e32 v3, 1
	s_mov_b32 s15, exec_lo
	s_delay_alu instid0(VALU_DEP_2)
	v_cmpx_ne_u32_e32 0x80, v5
	s_cbranch_execz .LBB347_1537
; %bb.1532:                             ;   in Loop: Header=BB347_813 Depth=1
	v_bfe_u32 v18, v19, 24, 7
	v_mov_b32_e32 v3, 0x7f800001
	s_mov_b32 s16, exec_lo
	s_delay_alu instid0(VALU_DEP_2)
	v_cmpx_ne_u32_e32 0x7f, v18
	s_cbranch_execz .LBB347_1536
; %bb.1533:                             ;   in Loop: Header=BB347_813 Depth=1
	v_dual_lshrrev_b32 v3, 3, v18 :: v_dual_bitop2_b32 v26, 7, v5 bitop3:0x40
	s_mov_b32 s17, exec_lo
	v_cmpx_gt_u32_e32 8, v18
; %bb.1534:                             ;   in Loop: Header=BB347_813 Depth=1
	s_delay_alu instid0(VALU_DEP_2) | instskip(NEXT) | instid1(VALU_DEP_1)
	v_clz_i32_u32_e32 v3, v26
	v_min_u32_e32 v3, 32, v3
	s_delay_alu instid0(VALU_DEP_1) | instskip(NEXT) | instid1(VALU_DEP_1)
	v_subrev_nc_u32_e32 v6, 28, v3
	v_lshlrev_b64_e32 v[18:19], v6, v[26:27]
	s_delay_alu instid0(VALU_DEP_1)
	v_dual_sub_nc_u32 v3, 29, v3 :: v_dual_bitop2_b32 v26, 7, v18 bitop3:0x40
; %bb.1535:                             ;   in Loop: Header=BB347_813 Depth=1
	s_or_b32 exec_lo, exec_lo, s17
	s_delay_alu instid0(VALU_DEP_1) | instskip(NEXT) | instid1(VALU_DEP_2)
	v_dual_lshlrev_b32 v5, 24, v5 :: v_dual_lshlrev_b32 v6, 20, v26
	v_lshl_add_u32 v3, v3, 23, 0x3c000000
	s_delay_alu instid0(VALU_DEP_2) | instskip(NEXT) | instid1(VALU_DEP_1)
	v_and_b32_e32 v5, 0x80000000, v5
	v_or3_b32 v3, v6, v5, v3
.LBB347_1536:                           ;   in Loop: Header=BB347_813 Depth=1
	s_or_b32 exec_lo, exec_lo, s16
.LBB347_1537:                           ;   in Loop: Header=BB347_813 Depth=1
	s_delay_alu instid0(SALU_CYCLE_1)
	s_or_b32 exec_lo, exec_lo, s15
.LBB347_1538:                           ;   in Loop: Header=BB347_813 Depth=1
	s_delay_alu instid0(SALU_CYCLE_1)
	s_or_b32 exec_lo, exec_lo, s14
	v_fma_mixlo_bf16 v72, v68, v2, 0
	v_fma_mixlo_bf16 v25, v68, v25, 0
	;; [unrolled: 1-line block ×8, first 2 shown]
	s_and_saveexec_b32 s14, vcc_lo
	s_cbranch_execz .LBB347_1540
; %bb.1539:                             ;   in Loop: Header=BB347_813 Depth=1
	v_cmp_lt_i32_e64 s0, v96, v60
	s_delay_alu instid0(VALU_DEP_1) | instskip(SKIP_1) | instid1(VALU_DEP_1)
	v_cndmask_b32_e64 v66, 0, v66, s0
	v_cmp_lt_i32_e64 s0, v100, v60
	v_cndmask_b32_e64 v65, 0, v65, s0
	v_cmp_lt_i32_e64 s0, v99, v60
	s_delay_alu instid0(VALU_DEP_1) | instskip(SKIP_1) | instid1(VALU_DEP_1)
	v_cndmask_b32_e64 v64, 0, v64, s0
	v_cmp_lt_i32_e64 s0, v98, v60
	v_cndmask_b32_e64 v55, 0, v55, s0
	;; [unrolled: 5-line block ×4, first 2 shown]
.LBB347_1540:                           ;   in Loop: Header=BB347_813 Depth=1
	s_or_b32 exec_lo, exec_lo, s14
	flat_load_b64 v[0:1], v[0:1] offset:2816
	v_dual_mov_b32 v23, 0 :: v_dual_mov_b32 v17, 0
	s_mov_b32 s14, exec_lo
	s_wait_loadcnt_dscnt 0x0
	v_and_b32_e32 v2, 0xff, v0
	s_wait_xcnt 0x0
	s_delay_alu instid0(VALU_DEP_1)
	v_cmpx_ne_u16_e32 0, v2
	s_cbranch_execz .LBB347_1548
; %bb.1541:                             ;   in Loop: Header=BB347_813 Depth=1
	v_bfrev_b32_e32 v17, 1
	s_mov_b32 s15, exec_lo
	v_cmpx_ne_u16_e32 0x80, v2
	s_cbranch_execz .LBB347_1547
; %bb.1542:                             ;   in Loop: Header=BB347_813 Depth=1
	v_and_b32_e32 v3, 0x7f, v0
	v_mov_b32_e32 v17, 0x7f800001
	s_mov_b32 s16, exec_lo
	s_delay_alu instid0(VALU_DEP_2)
	v_cmpx_ne_u32_e32 0x7f, v3
	s_cbranch_execz .LBB347_1546
; %bb.1543:                             ;   in Loop: Header=BB347_813 Depth=1
	v_mov_b64_e32 v[18:19], v[0:1]
	v_lshrrev_b32_e32 v2, 3, v3
	s_mov_b32 s17, exec_lo
	v_cmpx_gt_u32_e32 8, v3
; %bb.1544:                             ;   in Loop: Header=BB347_813 Depth=1
	v_and_b32_e32 v2, 7, v0
	s_delay_alu instid0(VALU_DEP_1) | instskip(NEXT) | instid1(VALU_DEP_1)
	v_clz_i32_u32_e32 v2, v2
	v_min_u32_e32 v2, 32, v2
	s_delay_alu instid0(VALU_DEP_1) | instskip(SKIP_1) | instid1(VALU_DEP_2)
	v_subrev_nc_u32_e32 v3, 28, v2
	v_sub_nc_u32_e32 v2, 29, v2
	v_lshlrev_b64_e32 v[18:19], v3, v[0:1]
; %bb.1545:                             ;   in Loop: Header=BB347_813 Depth=1
	s_or_b32 exec_lo, exec_lo, s17
	s_delay_alu instid0(VALU_DEP_1) | instskip(NEXT) | instid1(VALU_DEP_3)
	v_dual_lshlrev_b32 v3, 20, v18 :: v_dual_lshlrev_b32 v4, 24, v0
	v_lshl_add_u32 v2, v2, 23, 0x3c000000
	s_delay_alu instid0(VALU_DEP_2) | instskip(NEXT) | instid1(VALU_DEP_3)
	v_and_b32_e32 v3, 0x700000, v3
	v_and_b32_e32 v4, 0x80000000, v4
	s_delay_alu instid0(VALU_DEP_1)
	v_or3_b32 v17, v3, v4, v2
.LBB347_1546:                           ;   in Loop: Header=BB347_813 Depth=1
	s_or_b32 exec_lo, exec_lo, s16
.LBB347_1547:                           ;   in Loop: Header=BB347_813 Depth=1
	s_delay_alu instid0(SALU_CYCLE_1)
	s_or_b32 exec_lo, exec_lo, s15
.LBB347_1548:                           ;   in Loop: Header=BB347_813 Depth=1
	s_delay_alu instid0(SALU_CYCLE_1) | instskip(SKIP_2) | instid1(VALU_DEP_1)
	s_or_b32 exec_lo, exec_lo, s14
	v_lshrrev_b16 v2, 8, v0
	s_mov_b32 s14, exec_lo
	v_cmpx_ne_u16_e32 0, v2
	s_cbranch_execz .LBB347_1556
; %bb.1549:                             ;   in Loop: Header=BB347_813 Depth=1
	v_bfrev_b32_e32 v23, 1
	s_mov_b32 s15, exec_lo
	v_cmpx_ne_u16_e32 0x80, v2
	s_cbranch_execz .LBB347_1555
; %bb.1550:                             ;   in Loop: Header=BB347_813 Depth=1
	v_and_b32_e32 v2, 0xffff, v2
	v_mov_b32_e32 v23, 0x7f800001
	s_mov_b32 s16, exec_lo
	s_delay_alu instid0(VALU_DEP_2) | instskip(NEXT) | instid1(VALU_DEP_1)
	v_and_b32_e32 v3, 0x7f, v2
	v_cmpx_ne_u32_e32 0x7f, v3
	s_cbranch_execz .LBB347_1554
; %bb.1551:                             ;   in Loop: Header=BB347_813 Depth=1
	v_dual_lshrrev_b32 v2, 3, v3 :: v_dual_bitop2_b32 v26, 7, v2 bitop3:0x40
	s_mov_b32 s17, exec_lo
	v_cmpx_gt_u32_e32 8, v3
; %bb.1552:                             ;   in Loop: Header=BB347_813 Depth=1
	s_delay_alu instid0(VALU_DEP_2) | instskip(NEXT) | instid1(VALU_DEP_1)
	v_clz_i32_u32_e32 v2, v26
	v_min_u32_e32 v2, 32, v2
	s_delay_alu instid0(VALU_DEP_1) | instskip(NEXT) | instid1(VALU_DEP_1)
	v_subrev_nc_u32_e32 v3, 28, v2
	v_lshlrev_b64_e32 v[4:5], v3, v[26:27]
	s_delay_alu instid0(VALU_DEP_1)
	v_dual_sub_nc_u32 v2, 29, v2 :: v_dual_bitop2_b32 v26, 7, v4 bitop3:0x40
; %bb.1553:                             ;   in Loop: Header=BB347_813 Depth=1
	s_or_b32 exec_lo, exec_lo, s17
	s_delay_alu instid0(VALU_DEP_1) | instskip(NEXT) | instid1(VALU_DEP_2)
	v_dual_lshlrev_b32 v3, 16, v0 :: v_dual_lshlrev_b32 v4, 20, v26
	v_lshl_add_u32 v2, v2, 23, 0x3c000000
	s_delay_alu instid0(VALU_DEP_2) | instskip(NEXT) | instid1(VALU_DEP_1)
	v_and_b32_e32 v3, 0x80000000, v3
	v_or3_b32 v23, v4, v3, v2
.LBB347_1554:                           ;   in Loop: Header=BB347_813 Depth=1
	s_or_b32 exec_lo, exec_lo, s16
.LBB347_1555:                           ;   in Loop: Header=BB347_813 Depth=1
	s_delay_alu instid0(SALU_CYCLE_1)
	s_or_b32 exec_lo, exec_lo, s15
.LBB347_1556:                           ;   in Loop: Header=BB347_813 Depth=1
	s_delay_alu instid0(SALU_CYCLE_1) | instskip(SKIP_3) | instid1(VALU_DEP_2)
	s_or_b32 exec_lo, exec_lo, s14
	v_dual_mov_b32 v67, 0 :: v_dual_lshrrev_b32 v2, 16, v0
	v_mov_b32_e32 v22, 0
	s_mov_b32 s14, exec_lo
	v_and_b32_e32 v3, 0xff, v2
	s_delay_alu instid0(VALU_DEP_1)
	v_cmpx_ne_u16_e32 0, v3
	s_cbranch_execz .LBB347_1564
; %bb.1557:                             ;   in Loop: Header=BB347_813 Depth=1
	v_bfrev_b32_e32 v22, 1
	s_mov_b32 s15, exec_lo
	v_cmpx_ne_u16_e32 0x80, v3
	s_cbranch_execz .LBB347_1563
; %bb.1558:                             ;   in Loop: Header=BB347_813 Depth=1
	v_bfe_u32 v4, v0, 16, 7
	v_mov_b32_e32 v22, 0x7f800001
	s_mov_b32 s16, exec_lo
	s_delay_alu instid0(VALU_DEP_2)
	v_cmpx_ne_u32_e32 0x7f, v4
	s_cbranch_execz .LBB347_1562
; %bb.1559:                             ;   in Loop: Header=BB347_813 Depth=1
	v_dual_lshrrev_b32 v3, 3, v4 :: v_dual_bitop2_b32 v26, 7, v2 bitop3:0x40
	s_mov_b32 s17, exec_lo
	v_cmpx_gt_u32_e32 8, v4
; %bb.1560:                             ;   in Loop: Header=BB347_813 Depth=1
	s_delay_alu instid0(VALU_DEP_2) | instskip(NEXT) | instid1(VALU_DEP_1)
	v_clz_i32_u32_e32 v3, v26
	v_min_u32_e32 v3, 32, v3
	s_delay_alu instid0(VALU_DEP_1) | instskip(NEXT) | instid1(VALU_DEP_1)
	v_subrev_nc_u32_e32 v4, 28, v3
	v_lshlrev_b64_e32 v[4:5], v4, v[26:27]
	s_delay_alu instid0(VALU_DEP_1)
	v_dual_sub_nc_u32 v3, 29, v3 :: v_dual_bitop2_b32 v26, 7, v4 bitop3:0x40
; %bb.1561:                             ;   in Loop: Header=BB347_813 Depth=1
	s_or_b32 exec_lo, exec_lo, s17
	v_lshlrev_b32_e32 v2, 24, v2
	s_delay_alu instid0(VALU_DEP_2) | instskip(NEXT) | instid1(VALU_DEP_3)
	v_lshlrev_b32_e32 v4, 20, v26
	v_lshl_add_u32 v3, v3, 23, 0x3c000000
	s_delay_alu instid0(VALU_DEP_3) | instskip(NEXT) | instid1(VALU_DEP_1)
	v_and_b32_e32 v2, 0x80000000, v2
	v_or3_b32 v22, v4, v2, v3
.LBB347_1562:                           ;   in Loop: Header=BB347_813 Depth=1
	s_or_b32 exec_lo, exec_lo, s16
.LBB347_1563:                           ;   in Loop: Header=BB347_813 Depth=1
	s_delay_alu instid0(SALU_CYCLE_1)
	s_or_b32 exec_lo, exec_lo, s15
.LBB347_1564:                           ;   in Loop: Header=BB347_813 Depth=1
	s_delay_alu instid0(SALU_CYCLE_1) | instskip(NEXT) | instid1(SALU_CYCLE_1)
	s_or_b32 exec_lo, exec_lo, s14
	s_mov_b32 s14, exec_lo
	v_cmpx_lt_u32_e32 0xffffff, v0
	s_cbranch_execz .LBB347_1572
; %bb.1565:                             ;   in Loop: Header=BB347_813 Depth=1
	v_lshrrev_b32_e32 v2, 24, v0
	v_bfrev_b32_e32 v67, 1
	s_mov_b32 s15, exec_lo
	s_delay_alu instid0(VALU_DEP_2)
	v_cmpx_ne_u32_e32 0x80, v2
	s_cbranch_execz .LBB347_1571
; %bb.1566:                             ;   in Loop: Header=BB347_813 Depth=1
	v_bfe_u32 v4, v0, 24, 7
	v_mov_b32_e32 v67, 0x7f800001
	s_mov_b32 s16, exec_lo
	s_delay_alu instid0(VALU_DEP_2)
	v_cmpx_ne_u32_e32 0x7f, v4
	s_cbranch_execz .LBB347_1570
; %bb.1567:                             ;   in Loop: Header=BB347_813 Depth=1
	v_dual_lshrrev_b32 v3, 3, v4 :: v_dual_bitop2_b32 v26, 7, v2 bitop3:0x40
	s_mov_b32 s17, exec_lo
	v_cmpx_gt_u32_e32 8, v4
; %bb.1568:                             ;   in Loop: Header=BB347_813 Depth=1
	s_delay_alu instid0(VALU_DEP_2) | instskip(NEXT) | instid1(VALU_DEP_1)
	v_clz_i32_u32_e32 v3, v26
	v_min_u32_e32 v3, 32, v3
	s_delay_alu instid0(VALU_DEP_1) | instskip(NEXT) | instid1(VALU_DEP_1)
	v_subrev_nc_u32_e32 v4, 28, v3
	v_lshlrev_b64_e32 v[4:5], v4, v[26:27]
	s_delay_alu instid0(VALU_DEP_1)
	v_dual_sub_nc_u32 v3, 29, v3 :: v_dual_bitop2_b32 v26, 7, v4 bitop3:0x40
; %bb.1569:                             ;   in Loop: Header=BB347_813 Depth=1
	s_or_b32 exec_lo, exec_lo, s17
	v_lshlrev_b32_e32 v2, 24, v2
	s_delay_alu instid0(VALU_DEP_2) | instskip(NEXT) | instid1(VALU_DEP_3)
	v_lshlrev_b32_e32 v4, 20, v26
	v_lshl_add_u32 v3, v3, 23, 0x3c000000
	s_delay_alu instid0(VALU_DEP_3) | instskip(NEXT) | instid1(VALU_DEP_1)
	v_and_b32_e32 v2, 0x80000000, v2
	v_or3_b32 v67, v4, v2, v3
.LBB347_1570:                           ;   in Loop: Header=BB347_813 Depth=1
	s_or_b32 exec_lo, exec_lo, s16
.LBB347_1571:                           ;   in Loop: Header=BB347_813 Depth=1
	s_delay_alu instid0(SALU_CYCLE_1)
	s_or_b32 exec_lo, exec_lo, s15
.LBB347_1572:                           ;   in Loop: Header=BB347_813 Depth=1
	s_delay_alu instid0(SALU_CYCLE_1) | instskip(SKIP_4) | instid1(VALU_DEP_3)
	s_or_b32 exec_lo, exec_lo, s14
	v_and_b32_e32 v4, 0xff, v1
	v_dual_mov_b32 v26, v1 :: v_dual_mov_b32 v3, 0
	v_mov_b32_e32 v2, 0
	s_mov_b32 s14, exec_lo
	v_cmpx_ne_u16_e32 0, v4
	s_cbranch_execz .LBB347_1580
; %bb.1573:                             ;   in Loop: Header=BB347_813 Depth=1
	v_bfrev_b32_e32 v2, 1
	s_mov_b32 s15, exec_lo
	v_cmpx_ne_u16_e32 0x80, v4
	s_cbranch_execz .LBB347_1579
; %bb.1574:                             ;   in Loop: Header=BB347_813 Depth=1
	v_and_b32_e32 v4, 0x7f, v1
	v_mov_b32_e32 v2, 0x7f800001
	s_mov_b32 s16, exec_lo
	s_delay_alu instid0(VALU_DEP_2)
	v_cmpx_ne_u32_e32 0x7f, v4
	s_cbranch_execz .LBB347_1578
; %bb.1575:                             ;   in Loop: Header=BB347_813 Depth=1
	v_mov_b64_e32 v[18:19], v[26:27]
	v_lshrrev_b32_e32 v2, 3, v4
	s_mov_b32 s17, exec_lo
	v_cmpx_gt_u32_e32 8, v4
; %bb.1576:                             ;   in Loop: Header=BB347_813 Depth=1
	v_and_b32_e32 v2, 7, v1
	s_delay_alu instid0(VALU_DEP_1) | instskip(NEXT) | instid1(VALU_DEP_1)
	v_clz_i32_u32_e32 v2, v2
	v_min_u32_e32 v2, 32, v2
	s_delay_alu instid0(VALU_DEP_1) | instskip(SKIP_1) | instid1(VALU_DEP_2)
	v_subrev_nc_u32_e32 v4, 28, v2
	v_sub_nc_u32_e32 v2, 29, v2
	v_lshlrev_b64_e32 v[18:19], v4, v[26:27]
; %bb.1577:                             ;   in Loop: Header=BB347_813 Depth=1
	s_or_b32 exec_lo, exec_lo, s17
	s_delay_alu instid0(VALU_DEP_1) | instskip(SKIP_2) | instid1(VALU_DEP_3)
	v_lshlrev_b32_e32 v4, 20, v18
	v_lshlrev_b32_e32 v5, 24, v26
	v_lshl_add_u32 v2, v2, 23, 0x3c000000
	v_and_b32_e32 v4, 0x700000, v4
	s_delay_alu instid0(VALU_DEP_3) | instskip(NEXT) | instid1(VALU_DEP_1)
	v_and_b32_e32 v5, 0x80000000, v5
	v_or3_b32 v2, v4, v5, v2
.LBB347_1578:                           ;   in Loop: Header=BB347_813 Depth=1
	s_or_b32 exec_lo, exec_lo, s16
.LBB347_1579:                           ;   in Loop: Header=BB347_813 Depth=1
	s_delay_alu instid0(SALU_CYCLE_1)
	s_or_b32 exec_lo, exec_lo, s15
.LBB347_1580:                           ;   in Loop: Header=BB347_813 Depth=1
	s_delay_alu instid0(SALU_CYCLE_1) | instskip(SKIP_2) | instid1(VALU_DEP_1)
	s_or_b32 exec_lo, exec_lo, s14
	v_lshrrev_b16 v4, 8, v26
	s_mov_b32 s14, exec_lo
	v_cmpx_ne_u16_e32 0, v4
	s_cbranch_execz .LBB347_1588
; %bb.1581:                             ;   in Loop: Header=BB347_813 Depth=1
	v_bfrev_b32_e32 v3, 1
	s_mov_b32 s15, exec_lo
	v_cmpx_ne_u16_e32 0x80, v4
	s_cbranch_execz .LBB347_1587
; %bb.1582:                             ;   in Loop: Header=BB347_813 Depth=1
	v_and_b32_e32 v5, 0xffff, v4
	v_mov_b32_e32 v3, 0x7f800001
	s_mov_b32 s16, exec_lo
	s_delay_alu instid0(VALU_DEP_2) | instskip(NEXT) | instid1(VALU_DEP_1)
	v_and_b32_e32 v4, 0x7f, v5
	v_cmpx_ne_u32_e32 0x7f, v4
	s_cbranch_execz .LBB347_1586
; %bb.1583:                             ;   in Loop: Header=BB347_813 Depth=1
	v_dual_mov_b32 v19, v27 :: v_dual_bitop2_b32 v18, 7, v5 bitop3:0x40
	v_lshrrev_b32_e32 v3, 3, v4
	s_mov_b32 s17, exec_lo
	v_cmpx_gt_u32_e32 8, v4
; %bb.1584:                             ;   in Loop: Header=BB347_813 Depth=1
	s_delay_alu instid0(VALU_DEP_3) | instskip(NEXT) | instid1(VALU_DEP_1)
	v_clz_i32_u32_e32 v3, v18
	v_min_u32_e32 v3, 32, v3
	s_delay_alu instid0(VALU_DEP_1) | instskip(NEXT) | instid1(VALU_DEP_1)
	v_subrev_nc_u32_e32 v4, 28, v3
	v_lshlrev_b64_e32 v[4:5], v4, v[18:19]
	s_delay_alu instid0(VALU_DEP_1)
	v_dual_sub_nc_u32 v3, 29, v3 :: v_dual_bitop2_b32 v18, 7, v4 bitop3:0x40
; %bb.1585:                             ;   in Loop: Header=BB347_813 Depth=1
	s_or_b32 exec_lo, exec_lo, s17
	v_lshlrev_b32_e32 v4, 16, v26
	s_delay_alu instid0(VALU_DEP_2) | instskip(NEXT) | instid1(VALU_DEP_3)
	v_lshlrev_b32_e32 v5, 20, v18
	v_lshl_add_u32 v3, v3, 23, 0x3c000000
	s_delay_alu instid0(VALU_DEP_3) | instskip(NEXT) | instid1(VALU_DEP_1)
	v_and_b32_e32 v4, 0x80000000, v4
	v_or3_b32 v3, v5, v4, v3
.LBB347_1586:                           ;   in Loop: Header=BB347_813 Depth=1
	s_or_b32 exec_lo, exec_lo, s16
.LBB347_1587:                           ;   in Loop: Header=BB347_813 Depth=1
	s_delay_alu instid0(SALU_CYCLE_1)
	s_or_b32 exec_lo, exec_lo, s15
.LBB347_1588:                           ;   in Loop: Header=BB347_813 Depth=1
	s_delay_alu instid0(SALU_CYCLE_1) | instskip(SKIP_3) | instid1(VALU_DEP_2)
	s_or_b32 exec_lo, exec_lo, s14
	v_dual_lshrrev_b32 v18, 16, v1 :: v_dual_mov_b32 v4, 0
	v_mov_b32_e32 v5, 0
	s_mov_b32 s14, exec_lo
	v_and_b32_e32 v19, 0xff, v18
	s_delay_alu instid0(VALU_DEP_1)
	v_cmpx_ne_u16_e32 0, v19
	s_cbranch_execz .LBB347_1596
; %bb.1589:                             ;   in Loop: Header=BB347_813 Depth=1
	v_bfrev_b32_e32 v5, 1
	s_mov_b32 s15, exec_lo
	v_cmpx_ne_u16_e32 0x80, v19
	s_cbranch_execz .LBB347_1595
; %bb.1590:                             ;   in Loop: Header=BB347_813 Depth=1
	v_bfe_u32 v19, v1, 16, 7
	v_mov_b32_e32 v5, 0x7f800001
	s_mov_b32 s16, exec_lo
	s_delay_alu instid0(VALU_DEP_2)
	v_cmpx_ne_u32_e32 0x7f, v19
	s_cbranch_execz .LBB347_1594
; %bb.1591:                             ;   in Loop: Header=BB347_813 Depth=1
	v_dual_lshrrev_b32 v5, 3, v19 :: v_dual_bitop2_b32 v26, 7, v18 bitop3:0x40
	s_mov_b32 s17, exec_lo
	v_cmpx_gt_u32_e32 8, v19
; %bb.1592:                             ;   in Loop: Header=BB347_813 Depth=1
	s_delay_alu instid0(VALU_DEP_2) | instskip(NEXT) | instid1(VALU_DEP_1)
	v_clz_i32_u32_e32 v5, v26
	v_min_u32_e32 v5, 32, v5
	s_delay_alu instid0(VALU_DEP_1) | instskip(NEXT) | instid1(VALU_DEP_1)
	v_subrev_nc_u32_e32 v6, 28, v5
	v_lshlrev_b64_e32 v[6:7], v6, v[26:27]
	s_delay_alu instid0(VALU_DEP_1)
	v_dual_sub_nc_u32 v5, 29, v5 :: v_dual_bitop2_b32 v26, 7, v6 bitop3:0x40
; %bb.1593:                             ;   in Loop: Header=BB347_813 Depth=1
	s_or_b32 exec_lo, exec_lo, s17
	v_lshlrev_b32_e32 v6, 24, v18
	s_delay_alu instid0(VALU_DEP_2) | instskip(NEXT) | instid1(VALU_DEP_3)
	v_lshlrev_b32_e32 v7, 20, v26
	v_lshl_add_u32 v5, v5, 23, 0x3c000000
	s_delay_alu instid0(VALU_DEP_3) | instskip(NEXT) | instid1(VALU_DEP_1)
	v_and_b32_e32 v6, 0x80000000, v6
	v_or3_b32 v5, v7, v6, v5
.LBB347_1594:                           ;   in Loop: Header=BB347_813 Depth=1
	s_or_b32 exec_lo, exec_lo, s16
.LBB347_1595:                           ;   in Loop: Header=BB347_813 Depth=1
	s_delay_alu instid0(SALU_CYCLE_1)
	s_or_b32 exec_lo, exec_lo, s15
.LBB347_1596:                           ;   in Loop: Header=BB347_813 Depth=1
	s_delay_alu instid0(SALU_CYCLE_1) | instskip(NEXT) | instid1(SALU_CYCLE_1)
	s_or_b32 exec_lo, exec_lo, s14
	s_mov_b32 s14, exec_lo
	v_cmpx_lt_u64_e64 s[2:3], v[0:1]
	s_cbranch_execz .LBB347_1604
; %bb.1597:                             ;   in Loop: Header=BB347_813 Depth=1
	v_lshrrev_b32_e32 v0, 24, v1
	v_bfrev_b32_e32 v4, 1
	s_mov_b32 s15, exec_lo
	s_delay_alu instid0(VALU_DEP_2)
	v_cmpx_ne_u32_e32 0x80, v0
	s_cbranch_execz .LBB347_1603
; %bb.1598:                             ;   in Loop: Header=BB347_813 Depth=1
	v_bfe_u32 v18, v1, 24, 7
	v_mov_b32_e32 v4, 0x7f800001
	s_mov_b32 s16, exec_lo
	s_delay_alu instid0(VALU_DEP_2)
	v_cmpx_ne_u32_e32 0x7f, v18
	s_cbranch_execz .LBB347_1602
; %bb.1599:                             ;   in Loop: Header=BB347_813 Depth=1
	v_dual_lshrrev_b32 v1, 3, v18 :: v_dual_bitop2_b32 v26, 7, v0 bitop3:0x40
	s_mov_b32 s17, exec_lo
	v_cmpx_gt_u32_e32 8, v18
; %bb.1600:                             ;   in Loop: Header=BB347_813 Depth=1
	s_delay_alu instid0(VALU_DEP_2) | instskip(NEXT) | instid1(VALU_DEP_1)
	v_clz_i32_u32_e32 v1, v26
	v_min_u32_e32 v1, 32, v1
	s_delay_alu instid0(VALU_DEP_1) | instskip(NEXT) | instid1(VALU_DEP_1)
	v_subrev_nc_u32_e32 v4, 28, v1
	v_lshlrev_b64_e32 v[6:7], v4, v[26:27]
	s_delay_alu instid0(VALU_DEP_1)
	v_dual_sub_nc_u32 v1, 29, v1 :: v_dual_bitop2_b32 v26, 7, v6 bitop3:0x40
; %bb.1601:                             ;   in Loop: Header=BB347_813 Depth=1
	s_or_b32 exec_lo, exec_lo, s17
	s_delay_alu instid0(VALU_DEP_1) | instskip(NEXT) | instid1(VALU_DEP_2)
	v_dual_lshlrev_b32 v0, 24, v0 :: v_dual_lshlrev_b32 v4, 20, v26
	v_lshl_add_u32 v1, v1, 23, 0x3c000000
	s_delay_alu instid0(VALU_DEP_2) | instskip(NEXT) | instid1(VALU_DEP_1)
	v_and_b32_e32 v0, 0x80000000, v0
	v_or3_b32 v4, v4, v0, v1
.LBB347_1602:                           ;   in Loop: Header=BB347_813 Depth=1
	s_or_b32 exec_lo, exec_lo, s16
.LBB347_1603:                           ;   in Loop: Header=BB347_813 Depth=1
	s_delay_alu instid0(SALU_CYCLE_1)
	s_or_b32 exec_lo, exec_lo, s15
.LBB347_1604:                           ;   in Loop: Header=BB347_813 Depth=1
	s_delay_alu instid0(SALU_CYCLE_1)
	s_or_b32 exec_lo, exec_lo, s14
	v_fma_mixlo_bf16 v1, v68, v3, 0
	v_fma_mixlo_bf16 v18, v68, v2, 0
	;; [unrolled: 1-line block ×8, first 2 shown]
	s_and_saveexec_b32 s0, vcc_lo
	s_cbranch_execz .LBB347_811
; %bb.1605:                             ;   in Loop: Header=BB347_813 Depth=1
	v_cmp_lt_i32_e32 vcc_lo, v96, v60
	v_cndmask_b32_e32 v26, 0, v26, vcc_lo
	v_cmp_lt_i32_e32 vcc_lo, v100, v60
	v_cndmask_b32_e32 v23, 0, v23, vcc_lo
	;; [unrolled: 2-line block ×8, first 2 shown]
	s_branch .LBB347_811
.LBB347_1606:
	s_or_b32 exec_lo, exec_lo, s8
	s_clause 0x2
	scratch_load_b32 v34, off, s32 offset:352
	scratch_load_b32 v25, off, s32 offset:360
	;; [unrolled: 1-line block ×3, first 2 shown]
.LBB347_1607:
	s_wait_xcnt 0x0
	s_or_b32 exec_lo, exec_lo, s1
	s_wait_loadcnt 0x1
	ds_bpermute_b32 v2, v25, v28
	ds_bpermute_b32 v3, v25, v29
	;; [unrolled: 1-line block ×4, first 2 shown]
	s_wait_storecnt 0x0
	s_wait_loadcnt_dscnt 0x0
	s_barrier_signal -1
	s_barrier_wait -1
	ds_bpermute_b32 v0, v25, v20
	ds_bpermute_b32 v1, v25, v21
	;; [unrolled: 1-line block ×8, first 2 shown]
	s_load_b32 s0, s[6:7], 0x0
	s_mov_b32 s1, exec_lo
	v_pk_add_f32 v[2:3], v[28:29], v[2:3]
	scratch_load_b32 v28, off, s32 offset:344 ; 4-byte Folded Reload
	v_pk_add_f32 v[18:19], v[30:31], v[8:9]
	scratch_load_b32 v8, off, s32 offset:316 ; 4-byte Folded Reload
	ds_bpermute_b32 v26, v34, v18
	s_wait_dscnt 0x7
	v_pk_add_f32 v[0:1], v[20:21], v[0:1]
	ds_bpermute_b32 v20, v34, v2
	s_wait_dscnt 0x6
	v_pk_add_f32 v[4:5], v[14:15], v[4:5]
	;; [unrolled: 3-line block ×4, first 2 shown]
	ds_bpermute_b32 v7, v34, v1
	ds_bpermute_b32 v22, v34, v4
	ds_bpermute_b32 v23, v34, v5
	ds_bpermute_b32 v24, v34, v16
	ds_bpermute_b32 v25, v34, v17
	ds_bpermute_b32 v27, v34, v19
	ds_bpermute_b32 v12, v34, v10
	ds_bpermute_b32 v13, v34, v11
	s_wait_dscnt 0x5
	v_pk_add_f32 v[4:5], v[4:5], v[22:23]
	s_wait_loadcnt 0x1
	v_and_b32_e32 v15, 0x3c3, v28
	s_wait_loadcnt 0x0
	v_and_b32_e32 v14, 28, v8
	v_pk_add_f32 v[8:9], v[0:1], v[6:7]
	v_pk_add_f32 v[6:7], v[2:3], v[20:21]
	s_wait_dscnt 0x3
	v_pk_add_f32 v[2:3], v[16:17], v[24:25]
	s_wait_dscnt 0x2
	v_pk_add_f32 v[0:1], v[18:19], v[26:27]
	v_cmpx_ne_u32_e32 64, v15
	s_xor_b32 s1, exec_lo, s1
	s_delay_alu instid0(SALU_CYCLE_1)
	s_or_saveexec_b32 s1, s1
	s_wait_dscnt 0x0
	v_pk_add_f32 v[10:11], v[10:11], v[12:13]
	scratch_load_b32 v12, off, s32 offset:316 th:TH_LOAD_LU ; 4-byte Folded Reload
	s_wait_kmcnt 0x0
	v_add_nc_u32_e32 v13, s0, v14
	scratch_load_b32 v14, off, s32 offset:636 th:TH_LOAD_LU ; 4-byte Folded Reload
	s_wait_loadcnt 0x1
	v_lshrrev_b32_e32 v12, 2, v12
	s_wait_loadcnt 0x0
	v_mul_u32_u24_e32 v14, 0x180, v14
	s_xor_b32 exec_lo, exec_lo, s1
	s_cbranch_execz .LBB347_1609
; %bb.1608:
	s_delay_alu instid0(VALU_DEP_1) | instskip(NEXT) | instid1(VALU_DEP_1)
	v_add_nc_u32_e32 v15, v13, v14
	v_add_nc_u32_e32 v16, 0xfffffd00, v15
	;; [unrolled: 1-line block ×13, first 2 shown]
	ds_store_b32 v16, v8
	ds_store_b32 v17, v9
	;; [unrolled: 1-line block ×12, first 2 shown]
.LBB347_1609:
	s_or_b32 exec_lo, exec_lo, s1
	v_lshlrev_b32_e32 v12, 2, v12
	s_mov_b32 s1, exec_lo
	v_cmp_eq_u32_e32 vcc_lo, 0, v35
	s_wait_dscnt 0x0
	s_barrier_signal -1
	v_add3_u32 v12, s0, v14, v12
	s_barrier_wait -1
	v_cmpx_gt_u32_e32 64, v28
	s_cbranch_execz .LBB347_1624
; %bb.1610:
	s_and_saveexec_b32 s0, vcc_lo
	s_cbranch_execnz .LBB347_1644
; %bb.1611:
	s_or_b32 exec_lo, exec_lo, s0
	s_and_saveexec_b32 s0, vcc_lo
	s_cbranch_execnz .LBB347_1645
.LBB347_1612:
	s_or_b32 exec_lo, exec_lo, s0
	s_and_saveexec_b32 s0, vcc_lo
	s_cbranch_execnz .LBB347_1646
.LBB347_1613:
	s_or_b32 exec_lo, exec_lo, s0
	s_and_saveexec_b32 s0, vcc_lo
	s_cbranch_execnz .LBB347_1647
.LBB347_1614:
	s_or_b32 exec_lo, exec_lo, s0
	s_and_saveexec_b32 s0, vcc_lo
	s_cbranch_execnz .LBB347_1648
.LBB347_1615:
	s_or_b32 exec_lo, exec_lo, s0
	s_and_saveexec_b32 s0, vcc_lo
	s_cbranch_execnz .LBB347_1649
.LBB347_1616:
	s_or_b32 exec_lo, exec_lo, s0
	s_and_saveexec_b32 s0, vcc_lo
	s_cbranch_execnz .LBB347_1650
.LBB347_1617:
	s_or_b32 exec_lo, exec_lo, s0
	s_and_saveexec_b32 s0, vcc_lo
	s_cbranch_execnz .LBB347_1651
.LBB347_1618:
	s_or_b32 exec_lo, exec_lo, s0
	s_and_saveexec_b32 s0, vcc_lo
	s_cbranch_execnz .LBB347_1652
.LBB347_1619:
	s_or_b32 exec_lo, exec_lo, s0
	s_and_saveexec_b32 s0, vcc_lo
	s_cbranch_execnz .LBB347_1653
.LBB347_1620:
	s_or_b32 exec_lo, exec_lo, s0
	s_and_saveexec_b32 s0, vcc_lo
	s_cbranch_execnz .LBB347_1654
.LBB347_1621:
	s_or_b32 exec_lo, exec_lo, s0
	s_and_saveexec_b32 s0, vcc_lo
	s_cbranch_execz .LBB347_1623
.LBB347_1622:
	ds_load_b32 v14, v12 offset:352
	s_wait_dscnt 0x0
	v_add_f32_e32 v11, v14, v11
.LBB347_1623:
	s_or_b32 exec_lo, exec_lo, s0
.LBB347_1624:
	s_delay_alu instid0(SALU_CYCLE_1) | instskip(SKIP_4) | instid1(VALU_DEP_1)
	s_or_b32 exec_lo, exec_lo, s1
	v_and_b32_e32 v14, 0x3e3, v28
	s_mov_b32 s1, exec_lo
	s_barrier_signal -1
	s_barrier_wait -1
	v_cmpx_eq_u32_e32 32, v14
	s_cbranch_execz .LBB347_1626
; %bb.1625:
	ds_store_2addr_b32 v13, v8, v9 offset1:8
	ds_store_2addr_b32 v13, v6, v7 offset0:16 offset1:24
	ds_store_2addr_b32 v13, v4, v5 offset0:32 offset1:40
	;; [unrolled: 1-line block ×5, first 2 shown]
.LBB347_1626:
	s_or_b32 exec_lo, exec_lo, s1
	s_delay_alu instid0(SALU_CYCLE_1)
	s_mov_b32 s1, exec_lo
	s_wait_dscnt 0x0
	s_barrier_signal -1
	s_barrier_wait -1
	v_cmpx_gt_u32_e32 32, v28
	s_cbranch_execz .LBB347_1641
; %bb.1627:
	s_and_saveexec_b32 s0, vcc_lo
	s_cbranch_execnz .LBB347_1655
; %bb.1628:
	s_or_b32 exec_lo, exec_lo, s0
	s_and_saveexec_b32 s0, vcc_lo
	s_cbranch_execnz .LBB347_1656
.LBB347_1629:
	s_or_b32 exec_lo, exec_lo, s0
	s_and_saveexec_b32 s0, vcc_lo
	s_cbranch_execnz .LBB347_1657
.LBB347_1630:
	s_or_b32 exec_lo, exec_lo, s0
	s_and_saveexec_b32 s0, vcc_lo
	s_cbranch_execnz .LBB347_1658
.LBB347_1631:
	s_or_b32 exec_lo, exec_lo, s0
	s_and_saveexec_b32 s0, vcc_lo
	s_cbranch_execnz .LBB347_1659
.LBB347_1632:
	s_or_b32 exec_lo, exec_lo, s0
	s_and_saveexec_b32 s0, vcc_lo
	s_cbranch_execnz .LBB347_1660
.LBB347_1633:
	s_or_b32 exec_lo, exec_lo, s0
	s_and_saveexec_b32 s0, vcc_lo
	s_cbranch_execnz .LBB347_1661
.LBB347_1634:
	s_or_b32 exec_lo, exec_lo, s0
	s_and_saveexec_b32 s0, vcc_lo
	s_cbranch_execnz .LBB347_1662
.LBB347_1635:
	s_or_b32 exec_lo, exec_lo, s0
	s_and_saveexec_b32 s0, vcc_lo
	s_cbranch_execnz .LBB347_1663
.LBB347_1636:
	s_or_b32 exec_lo, exec_lo, s0
	s_and_saveexec_b32 s0, vcc_lo
	s_cbranch_execnz .LBB347_1664
.LBB347_1637:
	s_or_b32 exec_lo, exec_lo, s0
	s_and_saveexec_b32 s0, vcc_lo
	s_cbranch_execnz .LBB347_1665
.LBB347_1638:
	s_or_b32 exec_lo, exec_lo, s0
	s_and_saveexec_b32 s0, vcc_lo
	s_cbranch_execz .LBB347_1640
.LBB347_1639:
	ds_load_b32 v12, v12 offset:352
	s_wait_dscnt 0x0
	v_add_f32_e32 v11, v12, v11
.LBB347_1640:
	s_or_b32 exec_lo, exec_lo, s0
.LBB347_1641:
	s_delay_alu instid0(SALU_CYCLE_1)
	s_or_b32 exec_lo, exec_lo, s1
	s_mov_b32 s1, 0
	s_mov_b32 s2, exec_lo
	s_barrier_signal -1
	s_barrier_wait -1
	v_cmpx_eq_u32_e32 0, v14
	s_cbranch_execz .LBB347_1643
; %bb.1642:
	scratch_load_b64 v[12:13], off, s32 offset:640 th:TH_LOAD_LU ; 8-byte Folded Reload
	s_and_b32 s0, 0xffff, s13
	v_dual_mov_b32 v15, 0 :: v_dual_lshrrev_b32 v14, 1, v28
	s_cmp_lg_u32 s0, 0
	s_cselect_b32 s0, -1, 0
	s_delay_alu instid0(SALU_CYCLE_1)
	s_cmp_lg_u32 s0, 0
	s_add_co_ci_u32 s0, s5, 0
	s_bfe_u32 s8, ttmp6, 0x40014
	s_mul_i32 s5, s0, s11
	s_lshr_b32 s3, ttmp7, 16
	s_mul_i32 s5, s5, s12
	s_add_co_i32 s8, s8, 1
	s_mul_i32 s6, s5, 0x60
	s_bfe_u32 s9, ttmp6, 0x40008
	s_ashr_i32 s7, s6, 31
	s_mul_i32 s4, s4, s0
	s_mul_i32 s0, s3, s8
	s_ashr_i32 s5, s4, 31
	s_add_co_i32 s9, s9, s0
	s_cmp_eq_u32 s10, 0
	s_cselect_b32 s0, s3, s9
	s_delay_alu instid0(SALU_CYCLE_1) | instskip(NEXT) | instid1(SALU_CYCLE_1)
	s_mulk_i32 s0, 0xc0
	v_cvt_pk_bf16_f32 v16, v4, s0
	v_cvt_pk_bf16_f32 v17, v5, s0
	;; [unrolled: 1-line block ×12, first 2 shown]
	s_wait_loadcnt 0x0
	v_lshl_add_u64 v[12:13], s[6:7], 1, v[12:13]
	s_delay_alu instid0(VALU_DEP_1) | instskip(NEXT) | instid1(VALU_DEP_1)
	v_lshl_add_u64 v[12:13], s[4:5], 1, v[12:13]
	v_add_nc_u64_e32 v[12:13], s[0:1], v[12:13]
	s_delay_alu instid0(VALU_DEP_1)
	v_add_nc_u64_e32 v[4:5], v[12:13], v[14:15]
	s_clause 0xb
	flat_store_b16 v[4:5], v8
	flat_store_b16 v[4:5], v9 offset:16
	flat_store_b16 v[4:5], v6 offset:32
	;; [unrolled: 1-line block ×11, first 2 shown]
.LBB347_1643:
	s_wait_xcnt 0x0
	s_or_b32 exec_lo, exec_lo, s2
	s_clause 0x2f
	scratch_load_b32 v127, off, s32
	scratch_load_b32 v126, off, s32 offset:4
	scratch_load_b32 v125, off, s32 offset:8
	;; [unrolled: 1-line block ×47, first 2 shown]
	s_wait_loadcnt_dscnt 0x0
	s_set_pc_i64 s[30:31]
.LBB347_1644:
	ds_load_b32 v14, v12
	s_wait_dscnt 0x0
	v_add_f32_e32 v8, v14, v8
	s_or_b32 exec_lo, exec_lo, s0
	s_and_saveexec_b32 s0, vcc_lo
	s_cbranch_execz .LBB347_1612
.LBB347_1645:
	ds_load_b32 v14, v12 offset:32
	s_wait_dscnt 0x0
	v_add_f32_e32 v9, v14, v9
	s_or_b32 exec_lo, exec_lo, s0
	s_and_saveexec_b32 s0, vcc_lo
	s_cbranch_execz .LBB347_1613
.LBB347_1646:
	ds_load_b32 v14, v12 offset:64
	s_wait_dscnt 0x0
	v_add_f32_e32 v6, v14, v6
	s_or_b32 exec_lo, exec_lo, s0
	s_and_saveexec_b32 s0, vcc_lo
	s_cbranch_execz .LBB347_1614
.LBB347_1647:
	ds_load_b32 v14, v12 offset:96
	s_wait_dscnt 0x0
	v_add_f32_e32 v7, v14, v7
	s_or_b32 exec_lo, exec_lo, s0
	s_and_saveexec_b32 s0, vcc_lo
	s_cbranch_execz .LBB347_1615
.LBB347_1648:
	ds_load_b32 v14, v12 offset:128
	s_wait_dscnt 0x0
	v_add_f32_e32 v4, v14, v4
	s_or_b32 exec_lo, exec_lo, s0
	s_and_saveexec_b32 s0, vcc_lo
	s_cbranch_execz .LBB347_1616
.LBB347_1649:
	ds_load_b32 v14, v12 offset:160
	s_wait_dscnt 0x0
	v_add_f32_e32 v5, v14, v5
	s_or_b32 exec_lo, exec_lo, s0
	s_and_saveexec_b32 s0, vcc_lo
	s_cbranch_execz .LBB347_1617
.LBB347_1650:
	ds_load_b32 v14, v12 offset:192
	s_wait_dscnt 0x0
	v_add_f32_e32 v2, v14, v2
	s_or_b32 exec_lo, exec_lo, s0
	s_and_saveexec_b32 s0, vcc_lo
	s_cbranch_execz .LBB347_1618
.LBB347_1651:
	ds_load_b32 v14, v12 offset:224
	s_wait_dscnt 0x0
	v_add_f32_e32 v3, v14, v3
	s_or_b32 exec_lo, exec_lo, s0
	s_and_saveexec_b32 s0, vcc_lo
	s_cbranch_execz .LBB347_1619
.LBB347_1652:
	ds_load_b32 v14, v12 offset:256
	s_wait_dscnt 0x0
	v_add_f32_e32 v0, v14, v0
	s_or_b32 exec_lo, exec_lo, s0
	s_and_saveexec_b32 s0, vcc_lo
	s_cbranch_execz .LBB347_1620
.LBB347_1653:
	ds_load_b32 v14, v12 offset:288
	s_wait_dscnt 0x0
	v_add_f32_e32 v1, v14, v1
	s_or_b32 exec_lo, exec_lo, s0
	s_and_saveexec_b32 s0, vcc_lo
	s_cbranch_execz .LBB347_1621
.LBB347_1654:
	ds_load_b32 v14, v12 offset:320
	s_wait_dscnt 0x0
	v_add_f32_e32 v10, v14, v10
	s_or_b32 exec_lo, exec_lo, s0
	s_and_saveexec_b32 s0, vcc_lo
	s_cbranch_execnz .LBB347_1622
	s_branch .LBB347_1623
.LBB347_1655:
	ds_load_b32 v13, v12
	s_wait_dscnt 0x0
	v_add_f32_e32 v8, v13, v8
	s_or_b32 exec_lo, exec_lo, s0
	s_and_saveexec_b32 s0, vcc_lo
	s_cbranch_execz .LBB347_1629
.LBB347_1656:
	ds_load_b32 v13, v12 offset:32
	s_wait_dscnt 0x0
	v_add_f32_e32 v9, v13, v9
	s_or_b32 exec_lo, exec_lo, s0
	s_and_saveexec_b32 s0, vcc_lo
	s_cbranch_execz .LBB347_1630
.LBB347_1657:
	ds_load_b32 v13, v12 offset:64
	s_wait_dscnt 0x0
	v_add_f32_e32 v6, v13, v6
	s_or_b32 exec_lo, exec_lo, s0
	s_and_saveexec_b32 s0, vcc_lo
	s_cbranch_execz .LBB347_1631
.LBB347_1658:
	ds_load_b32 v13, v12 offset:96
	s_wait_dscnt 0x0
	v_add_f32_e32 v7, v13, v7
	s_or_b32 exec_lo, exec_lo, s0
	s_and_saveexec_b32 s0, vcc_lo
	s_cbranch_execz .LBB347_1632
.LBB347_1659:
	ds_load_b32 v13, v12 offset:128
	s_wait_dscnt 0x0
	v_add_f32_e32 v4, v13, v4
	s_or_b32 exec_lo, exec_lo, s0
	s_and_saveexec_b32 s0, vcc_lo
	s_cbranch_execz .LBB347_1633
.LBB347_1660:
	ds_load_b32 v13, v12 offset:160
	s_wait_dscnt 0x0
	v_add_f32_e32 v5, v13, v5
	s_or_b32 exec_lo, exec_lo, s0
	s_and_saveexec_b32 s0, vcc_lo
	s_cbranch_execz .LBB347_1634
.LBB347_1661:
	ds_load_b32 v13, v12 offset:192
	s_wait_dscnt 0x0
	v_add_f32_e32 v2, v13, v2
	s_or_b32 exec_lo, exec_lo, s0
	s_and_saveexec_b32 s0, vcc_lo
	s_cbranch_execz .LBB347_1635
.LBB347_1662:
	ds_load_b32 v13, v12 offset:224
	s_wait_dscnt 0x0
	v_add_f32_e32 v3, v13, v3
	s_or_b32 exec_lo, exec_lo, s0
	s_and_saveexec_b32 s0, vcc_lo
	s_cbranch_execz .LBB347_1636
.LBB347_1663:
	ds_load_b32 v13, v12 offset:256
	s_wait_dscnt 0x0
	v_add_f32_e32 v0, v13, v0
	s_or_b32 exec_lo, exec_lo, s0
	s_and_saveexec_b32 s0, vcc_lo
	s_cbranch_execz .LBB347_1637
.LBB347_1664:
	ds_load_b32 v13, v12 offset:288
	s_wait_dscnt 0x0
	v_add_f32_e32 v1, v13, v1
	s_or_b32 exec_lo, exec_lo, s0
	s_and_saveexec_b32 s0, vcc_lo
	s_cbranch_execz .LBB347_1638
.LBB347_1665:
	ds_load_b32 v13, v12 offset:320
	s_wait_dscnt 0x0
	v_add_f32_e32 v10, v13, v10
	s_or_b32 exec_lo, exec_lo, s0
	s_and_saveexec_b32 s0, vcc_lo
	s_cbranch_execnz .LBB347_1639
	s_branch .LBB347_1640
.Lfunc_end347:
	.size	_ZN4vllm22paged_attention_kernelI14__hip_bfloat16hLi96ELi32ELi128ELNS_18Fp8KVCacheDataTypeE1ELb1ELi0EEEvPfS3_PT_PKS4_PKT0_SA_ifPKiSC_iPKfiiiSE_SE_iiiii, .Lfunc_end347-_ZN4vllm22paged_attention_kernelI14__hip_bfloat16hLi96ELi32ELi128ELNS_18Fp8KVCacheDataTypeE1ELb1ELi0EEEvPfS3_PT_PKS4_PKT0_SA_ifPKiSC_iPKfiiiSE_SE_iiiii
                                        ; -- End function
	.set .L_ZN4vllm22paged_attention_kernelI14__hip_bfloat16hLi96ELi32ELi128ELNS_18Fp8KVCacheDataTypeE1ELb1ELi0EEEvPfS3_PT_PKS4_PKT0_SA_ifPKiSC_iPKfiiiSE_SE_iiiii.num_vgpr, 128
	.set .L_ZN4vllm22paged_attention_kernelI14__hip_bfloat16hLi96ELi32ELi128ELNS_18Fp8KVCacheDataTypeE1ELb1ELi0EEEvPfS3_PT_PKS4_PKT0_SA_ifPKiSC_iPKfiiiSE_SE_iiiii.num_agpr, 0
	.set .L_ZN4vllm22paged_attention_kernelI14__hip_bfloat16hLi96ELi32ELi128ELNS_18Fp8KVCacheDataTypeE1ELb1ELi0EEEvPfS3_PT_PKS4_PKT0_SA_ifPKiSC_iPKfiiiSE_SE_iiiii.numbered_sgpr, 33
	.set .L_ZN4vllm22paged_attention_kernelI14__hip_bfloat16hLi96ELi32ELi128ELNS_18Fp8KVCacheDataTypeE1ELb1ELi0EEEvPfS3_PT_PKS4_PKT0_SA_ifPKiSC_iPKfiiiSE_SE_iiiii.num_named_barrier, 0
	.set .L_ZN4vllm22paged_attention_kernelI14__hip_bfloat16hLi96ELi32ELi128ELNS_18Fp8KVCacheDataTypeE1ELb1ELi0EEEvPfS3_PT_PKS4_PKT0_SA_ifPKiSC_iPKfiiiSE_SE_iiiii.private_seg_size, 700
	.set .L_ZN4vllm22paged_attention_kernelI14__hip_bfloat16hLi96ELi32ELi128ELNS_18Fp8KVCacheDataTypeE1ELb1ELi0EEEvPfS3_PT_PKS4_PKT0_SA_ifPKiSC_iPKfiiiSE_SE_iiiii.uses_vcc, 1
	.set .L_ZN4vllm22paged_attention_kernelI14__hip_bfloat16hLi96ELi32ELi128ELNS_18Fp8KVCacheDataTypeE1ELb1ELi0EEEvPfS3_PT_PKS4_PKT0_SA_ifPKiSC_iPKfiiiSE_SE_iiiii.uses_flat_scratch, 1
	.set .L_ZN4vllm22paged_attention_kernelI14__hip_bfloat16hLi96ELi32ELi128ELNS_18Fp8KVCacheDataTypeE1ELb1ELi0EEEvPfS3_PT_PKS4_PKT0_SA_ifPKiSC_iPKfiiiSE_SE_iiiii.has_dyn_sized_stack, 0
	.set .L_ZN4vllm22paged_attention_kernelI14__hip_bfloat16hLi96ELi32ELi128ELNS_18Fp8KVCacheDataTypeE1ELb1ELi0EEEvPfS3_PT_PKS4_PKT0_SA_ifPKiSC_iPKfiiiSE_SE_iiiii.has_recursion, 0
	.set .L_ZN4vllm22paged_attention_kernelI14__hip_bfloat16hLi96ELi32ELi128ELNS_18Fp8KVCacheDataTypeE1ELb1ELi0EEEvPfS3_PT_PKS4_PKT0_SA_ifPKiSC_iPKfiiiSE_SE_iiiii.has_indirect_call, 0
	.section	.AMDGPU.csdata,"",@progbits
; Function info:
; codeLenInByte = 59864
; TotalNumSgprs: 35
; NumVgprs: 128
; ScratchSize: 700
; MemoryBound: 0
	.section	.text._ZN4vllm25paged_attention_v1_kernelI14__hip_bfloat16hLi96ELi32ELi128ELNS_18Fp8KVCacheDataTypeE1ELb1EEEvPT_PKS3_PKT0_S9_ifPKiSB_iPKfiiiSD_SD_iiiii,"axG",@progbits,_ZN4vllm25paged_attention_v1_kernelI14__hip_bfloat16hLi96ELi32ELi128ELNS_18Fp8KVCacheDataTypeE1ELb1EEEvPT_PKS3_PKT0_S9_ifPKiSB_iPKfiiiSD_SD_iiiii,comdat
	.protected	_ZN4vllm25paged_attention_v1_kernelI14__hip_bfloat16hLi96ELi32ELi128ELNS_18Fp8KVCacheDataTypeE1ELb1EEEvPT_PKS3_PKT0_S9_ifPKiSB_iPKfiiiSD_SD_iiiii ; -- Begin function _ZN4vllm25paged_attention_v1_kernelI14__hip_bfloat16hLi96ELi32ELi128ELNS_18Fp8KVCacheDataTypeE1ELb1EEEvPT_PKS3_PKT0_S9_ifPKiSB_iPKfiiiSD_SD_iiiii
	.globl	_ZN4vllm25paged_attention_v1_kernelI14__hip_bfloat16hLi96ELi32ELi128ELNS_18Fp8KVCacheDataTypeE1ELb1EEEvPT_PKS3_PKT0_S9_ifPKiSB_iPKfiiiSD_SD_iiiii
	.p2align	8
	.type	_ZN4vllm25paged_attention_v1_kernelI14__hip_bfloat16hLi96ELi32ELi128ELNS_18Fp8KVCacheDataTypeE1ELb1EEEvPT_PKS3_PKT0_S9_ifPKiSB_iPKfiiiSD_SD_iiiii,@function
_ZN4vllm25paged_attention_v1_kernelI14__hip_bfloat16hLi96ELi32ELi128ELNS_18Fp8KVCacheDataTypeE1ELb1EEEvPT_PKS3_PKT0_S9_ifPKiSB_iPKfiiiSD_SD_iiiii: ; @_ZN4vllm25paged_attention_v1_kernelI14__hip_bfloat16hLi96ELi32ELi128ELNS_18Fp8KVCacheDataTypeE1ELb1EEEvPT_PKS3_PKT0_S9_ifPKiSB_iPKfiiiSD_SD_iiiii
; %bb.0:
	s_clause 0x6
	s_load_b256 s[12:19], s[0:1], 0x0
	s_load_b128 s[4:7], s[0:1], 0x20
	s_load_b96 s[28:30], s[0:1], 0x30
	s_load_b64 s[10:11], s[0:1], 0x40
	s_load_b96 s[36:38], s[0:1], 0x48
	s_load_b256 s[20:27], s[0:1], 0x58
	s_load_b32 s31, s[0:1], 0x78
	v_mov_b32_e32 v31, v0
	s_get_pc_i64 s[2:3]
	s_add_nc_u64 s[2:3], s[2:3], _ZN4vllm22paged_attention_kernelI14__hip_bfloat16hLi96ELi32ELi128ELNS_18Fp8KVCacheDataTypeE1ELb1ELi0EEEvPfS3_PT_PKS4_PKT0_SA_ifPKiSC_iPKfiiiSE_SE_iiiii@rel64+4
	s_add_nc_u64 s[8:9], s[0:1], 0x80
	s_mov_b32 s32, 0
	s_wait_kmcnt 0x0
	v_dual_mov_b32 v15, s10 :: v_dual_mov_b32 v16, s11
	v_dual_mov_b32 v0, s12 :: v_dual_mov_b32 v1, s13
	;; [unrolled: 1-line block ×14, first 2 shown]
	v_mov_b32_e32 v28, s31
	s_mov_b32 s15, 15
	s_swap_pc_i64 s[30:31], s[2:3]
	s_endpgm
	.section	.rodata,"a",@progbits
	.p2align	6, 0x0
	.amdhsa_kernel _ZN4vllm25paged_attention_v1_kernelI14__hip_bfloat16hLi96ELi32ELi128ELNS_18Fp8KVCacheDataTypeE1ELb1EEEvPT_PKS3_PKT0_S9_ifPKiSB_iPKfiiiSD_SD_iiiii
		.amdhsa_group_segment_fixed_size 224
		.amdhsa_private_segment_fixed_size 700
		.amdhsa_kernarg_size 384
		.amdhsa_user_sgpr_count 2
		.amdhsa_user_sgpr_dispatch_ptr 0
		.amdhsa_user_sgpr_queue_ptr 0
		.amdhsa_user_sgpr_kernarg_segment_ptr 1
		.amdhsa_user_sgpr_dispatch_id 0
		.amdhsa_user_sgpr_kernarg_preload_length 0
		.amdhsa_user_sgpr_kernarg_preload_offset 0
		.amdhsa_user_sgpr_private_segment_size 0
		.amdhsa_wavefront_size32 1
		.amdhsa_uses_dynamic_stack 0
		.amdhsa_enable_private_segment 1
		.amdhsa_system_sgpr_workgroup_id_x 1
		.amdhsa_system_sgpr_workgroup_id_y 1
		.amdhsa_system_sgpr_workgroup_id_z 1
		.amdhsa_system_sgpr_workgroup_info 0
		.amdhsa_system_vgpr_workitem_id 0
		.amdhsa_next_free_vgpr 128
		.amdhsa_next_free_sgpr 39
		.amdhsa_named_barrier_count 0
		.amdhsa_reserve_vcc 1
		.amdhsa_float_round_mode_32 0
		.amdhsa_float_round_mode_16_64 0
		.amdhsa_float_denorm_mode_32 3
		.amdhsa_float_denorm_mode_16_64 3
		.amdhsa_fp16_overflow 0
		.amdhsa_memory_ordered 1
		.amdhsa_forward_progress 1
		.amdhsa_inst_pref_size 2
		.amdhsa_round_robin_scheduling 0
		.amdhsa_exception_fp_ieee_invalid_op 0
		.amdhsa_exception_fp_denorm_src 0
		.amdhsa_exception_fp_ieee_div_zero 0
		.amdhsa_exception_fp_ieee_overflow 0
		.amdhsa_exception_fp_ieee_underflow 0
		.amdhsa_exception_fp_ieee_inexact 0
		.amdhsa_exception_int_div_zero 0
	.end_amdhsa_kernel
	.section	.text._ZN4vllm25paged_attention_v1_kernelI14__hip_bfloat16hLi96ELi32ELi128ELNS_18Fp8KVCacheDataTypeE1ELb1EEEvPT_PKS3_PKT0_S9_ifPKiSB_iPKfiiiSD_SD_iiiii,"axG",@progbits,_ZN4vllm25paged_attention_v1_kernelI14__hip_bfloat16hLi96ELi32ELi128ELNS_18Fp8KVCacheDataTypeE1ELb1EEEvPT_PKS3_PKT0_S9_ifPKiSB_iPKfiiiSD_SD_iiiii,comdat
.Lfunc_end348:
	.size	_ZN4vllm25paged_attention_v1_kernelI14__hip_bfloat16hLi96ELi32ELi128ELNS_18Fp8KVCacheDataTypeE1ELb1EEEvPT_PKS3_PKT0_S9_ifPKiSB_iPKfiiiSD_SD_iiiii, .Lfunc_end348-_ZN4vllm25paged_attention_v1_kernelI14__hip_bfloat16hLi96ELi32ELi128ELNS_18Fp8KVCacheDataTypeE1ELb1EEEvPT_PKS3_PKT0_S9_ifPKiSB_iPKfiiiSD_SD_iiiii
                                        ; -- End function
	.set _ZN4vllm25paged_attention_v1_kernelI14__hip_bfloat16hLi96ELi32ELi128ELNS_18Fp8KVCacheDataTypeE1ELb1EEEvPT_PKS3_PKT0_S9_ifPKiSB_iPKfiiiSD_SD_iiiii.num_vgpr, max(32, .L_ZN4vllm22paged_attention_kernelI14__hip_bfloat16hLi96ELi32ELi128ELNS_18Fp8KVCacheDataTypeE1ELb1ELi0EEEvPfS3_PT_PKS4_PKT0_SA_ifPKiSC_iPKfiiiSE_SE_iiiii.num_vgpr)
	.set _ZN4vllm25paged_attention_v1_kernelI14__hip_bfloat16hLi96ELi32ELi128ELNS_18Fp8KVCacheDataTypeE1ELb1EEEvPT_PKS3_PKT0_S9_ifPKiSB_iPKfiiiSD_SD_iiiii.num_agpr, max(0, .L_ZN4vllm22paged_attention_kernelI14__hip_bfloat16hLi96ELi32ELi128ELNS_18Fp8KVCacheDataTypeE1ELb1ELi0EEEvPfS3_PT_PKS4_PKT0_SA_ifPKiSC_iPKfiiiSE_SE_iiiii.num_agpr)
	.set _ZN4vllm25paged_attention_v1_kernelI14__hip_bfloat16hLi96ELi32ELi128ELNS_18Fp8KVCacheDataTypeE1ELb1EEEvPT_PKS3_PKT0_S9_ifPKiSB_iPKfiiiSD_SD_iiiii.numbered_sgpr, max(39, .L_ZN4vllm22paged_attention_kernelI14__hip_bfloat16hLi96ELi32ELi128ELNS_18Fp8KVCacheDataTypeE1ELb1ELi0EEEvPfS3_PT_PKS4_PKT0_SA_ifPKiSC_iPKfiiiSE_SE_iiiii.numbered_sgpr)
	.set _ZN4vllm25paged_attention_v1_kernelI14__hip_bfloat16hLi96ELi32ELi128ELNS_18Fp8KVCacheDataTypeE1ELb1EEEvPT_PKS3_PKT0_S9_ifPKiSB_iPKfiiiSD_SD_iiiii.num_named_barrier, max(0, .L_ZN4vllm22paged_attention_kernelI14__hip_bfloat16hLi96ELi32ELi128ELNS_18Fp8KVCacheDataTypeE1ELb1ELi0EEEvPfS3_PT_PKS4_PKT0_SA_ifPKiSC_iPKfiiiSE_SE_iiiii.num_named_barrier)
	.set _ZN4vllm25paged_attention_v1_kernelI14__hip_bfloat16hLi96ELi32ELi128ELNS_18Fp8KVCacheDataTypeE1ELb1EEEvPT_PKS3_PKT0_S9_ifPKiSB_iPKfiiiSD_SD_iiiii.private_seg_size, 0+max(.L_ZN4vllm22paged_attention_kernelI14__hip_bfloat16hLi96ELi32ELi128ELNS_18Fp8KVCacheDataTypeE1ELb1ELi0EEEvPfS3_PT_PKS4_PKT0_SA_ifPKiSC_iPKfiiiSE_SE_iiiii.private_seg_size)
	.set _ZN4vllm25paged_attention_v1_kernelI14__hip_bfloat16hLi96ELi32ELi128ELNS_18Fp8KVCacheDataTypeE1ELb1EEEvPT_PKS3_PKT0_S9_ifPKiSB_iPKfiiiSD_SD_iiiii.uses_vcc, or(1, .L_ZN4vllm22paged_attention_kernelI14__hip_bfloat16hLi96ELi32ELi128ELNS_18Fp8KVCacheDataTypeE1ELb1ELi0EEEvPfS3_PT_PKS4_PKT0_SA_ifPKiSC_iPKfiiiSE_SE_iiiii.uses_vcc)
	.set _ZN4vllm25paged_attention_v1_kernelI14__hip_bfloat16hLi96ELi32ELi128ELNS_18Fp8KVCacheDataTypeE1ELb1EEEvPT_PKS3_PKT0_S9_ifPKiSB_iPKfiiiSD_SD_iiiii.uses_flat_scratch, or(0, .L_ZN4vllm22paged_attention_kernelI14__hip_bfloat16hLi96ELi32ELi128ELNS_18Fp8KVCacheDataTypeE1ELb1ELi0EEEvPfS3_PT_PKS4_PKT0_SA_ifPKiSC_iPKfiiiSE_SE_iiiii.uses_flat_scratch)
	.set _ZN4vllm25paged_attention_v1_kernelI14__hip_bfloat16hLi96ELi32ELi128ELNS_18Fp8KVCacheDataTypeE1ELb1EEEvPT_PKS3_PKT0_S9_ifPKiSB_iPKfiiiSD_SD_iiiii.has_dyn_sized_stack, or(0, .L_ZN4vllm22paged_attention_kernelI14__hip_bfloat16hLi96ELi32ELi128ELNS_18Fp8KVCacheDataTypeE1ELb1ELi0EEEvPfS3_PT_PKS4_PKT0_SA_ifPKiSC_iPKfiiiSE_SE_iiiii.has_dyn_sized_stack)
	.set _ZN4vllm25paged_attention_v1_kernelI14__hip_bfloat16hLi96ELi32ELi128ELNS_18Fp8KVCacheDataTypeE1ELb1EEEvPT_PKS3_PKT0_S9_ifPKiSB_iPKfiiiSD_SD_iiiii.has_recursion, or(0, .L_ZN4vllm22paged_attention_kernelI14__hip_bfloat16hLi96ELi32ELi128ELNS_18Fp8KVCacheDataTypeE1ELb1ELi0EEEvPfS3_PT_PKS4_PKT0_SA_ifPKiSC_iPKfiiiSE_SE_iiiii.has_recursion)
	.set _ZN4vllm25paged_attention_v1_kernelI14__hip_bfloat16hLi96ELi32ELi128ELNS_18Fp8KVCacheDataTypeE1ELb1EEEvPT_PKS3_PKT0_S9_ifPKiSB_iPKfiiiSD_SD_iiiii.has_indirect_call, or(0, .L_ZN4vllm22paged_attention_kernelI14__hip_bfloat16hLi96ELi32ELi128ELNS_18Fp8KVCacheDataTypeE1ELb1ELi0EEEvPfS3_PT_PKS4_PKT0_SA_ifPKiSC_iPKfiiiSE_SE_iiiii.has_indirect_call)
	.section	.AMDGPU.csdata,"",@progbits
; Kernel info:
; codeLenInByte = 224
; TotalNumSgprs: 41
; NumVgprs: 128
; ScratchSize: 700
; MemoryBound: 0
; FloatMode: 240
; IeeeMode: 1
; LDSByteSize: 224 bytes/workgroup (compile time only)
; SGPRBlocks: 0
; VGPRBlocks: 7
; NumSGPRsForWavesPerEU: 41
; NumVGPRsForWavesPerEU: 128
; NamedBarCnt: 0
; Occupancy: 8
; WaveLimiterHint : 1
; COMPUTE_PGM_RSRC2:SCRATCH_EN: 1
; COMPUTE_PGM_RSRC2:USER_SGPR: 2
; COMPUTE_PGM_RSRC2:TRAP_HANDLER: 0
; COMPUTE_PGM_RSRC2:TGID_X_EN: 1
; COMPUTE_PGM_RSRC2:TGID_Y_EN: 1
; COMPUTE_PGM_RSRC2:TGID_Z_EN: 1
; COMPUTE_PGM_RSRC2:TIDIG_COMP_CNT: 0
	.text
	.p2align	2                               ; -- Begin function _ZN4vllm22paged_attention_kernelI14__hip_bfloat16hLi112ELi32ELi128ELNS_18Fp8KVCacheDataTypeE1ELb1ELi0EEEvPfS3_PT_PKS4_PKT0_SA_ifPKiSC_iPKfiiiSE_SE_iiiii
	.type	_ZN4vllm22paged_attention_kernelI14__hip_bfloat16hLi112ELi32ELi128ELNS_18Fp8KVCacheDataTypeE1ELb1ELi0EEEvPfS3_PT_PKS4_PKT0_SA_ifPKiSC_iPKfiiiSE_SE_iiiii,@function
_ZN4vllm22paged_attention_kernelI14__hip_bfloat16hLi112ELi32ELi128ELNS_18Fp8KVCacheDataTypeE1ELb1ELi0EEEvPfS3_PT_PKS4_PKT0_SA_ifPKiSC_iPKfiiiSE_SE_iiiii: ; @_ZN4vllm22paged_attention_kernelI14__hip_bfloat16hLi112ELi32ELi128ELNS_18Fp8KVCacheDataTypeE1ELb1ELi0EEEvPfS3_PT_PKS4_PKT0_SA_ifPKiSC_iPKfiiiSE_SE_iiiii
; %bb.0:
	s_wait_loadcnt_dscnt 0x0
	s_wait_kmcnt 0x0
	s_clause 0x2f
	scratch_store_b32 off, v40, s32 offset:188
	; meta instruction
	scratch_store_b32 off, v41, s32 offset:184
	; meta instruction
	;; [unrolled: 2-line block ×47, first 2 shown]
	scratch_store_b32 off, v127, s32
	s_bfe_u32 s0, ttmp6, 0x4000c
	s_bfe_u32 s3, ttmp6, 0x40010
	s_add_co_i32 s0, s0, 1
	s_and_b32 s1, ttmp6, 15
	s_mul_i32 s0, ttmp9, s0
	s_and_b32 s4, ttmp7, 0xffff
	s_add_co_i32 s3, s3, 1
	s_add_co_i32 s1, s1, s0
	s_mul_i32 s0, s4, s3
	s_bfe_u32 s3, ttmp6, 0x40004
	s_getreg_b32 s10, hwreg(HW_REG_IB_STS2, 6, 4)
	s_add_co_i32 s3, s3, s0
	s_cmp_eq_u32 s10, 0
	s_mov_b32 s7, 0
	s_cselect_b32 s11, s4, s3
	s_cselect_b32 s0, ttmp9, s1
	s_lshl_b32 s6, s11, 2
	v_dual_mov_b32 v39, v7 :: v_dual_mov_b32 v38, v6
	v_add_nc_u64_e32 v[6:7], s[6:7], v[12:13]
	s_clause 0x5
	scratch_store_b64 off, v[22:23], s32 offset:440
	scratch_store_b64 off, v[20:21], s32 offset:240
	;; [unrolled: 1-line block ×4, first 2 shown]
	scratch_store_b32 off, v9, s32 offset:248
	scratch_store_b64 off, v[0:1], s32 offset:780
	s_wait_xcnt 0x0
	v_mov_b32_e32 v1, 0
	s_clause 0x1
	s_load_u16 s1, s[8:9], 0x12
	s_load_b32 s3, s[8:9], 0x0
	v_dual_mov_b32 v33, v16 :: v_dual_mov_b32 v32, v15
	flat_load_b32 v126, v[6:7]
	s_wait_xcnt 0x0
	v_sub_nc_u32_e32 v6, 0, v8
	global_load_u16 v0, v1, s[8:9] offset:22
	s_mov_b32 s2, s15
	v_max_i32_e32 v6, v8, v6
	s_delay_alu instid0(VALU_DEP_1) | instskip(NEXT) | instid1(VALU_DEP_1)
	v_cvt_f32_u32_e32 v7, v6
	v_rcp_iflag_f32_e32 v7, v7
	s_wait_kmcnt 0x0
	s_cmp_lg_u32 s1, 0
	s_cselect_b32 s1, -1, 0
	s_delay_alu instid0(SALU_CYCLE_1) | instskip(SKIP_1) | instid1(TRANS32_DEP_1)
	s_cmp_lg_u32 s1, 0
	v_nop
	v_mul_f32_e32 v7, 0x4f7ffffe, v7
	v_sub_nc_u32_e32 v9, 0, v6
	s_add_co_ci_u32 s12, s3, 0
	s_abs_i32 s6, s0
	s_abs_i32 s1, s12
	v_cvt_u32_f32_e32 v7, v7
	s_mov_b32 s3, exec_lo
	s_delay_alu instid0(VALU_DEP_1) | instskip(NEXT) | instid1(VALU_DEP_1)
	v_mul_lo_u32 v9, v9, v7
	v_mul_hi_u32 v9, v7, v9
	s_delay_alu instid0(VALU_DEP_1) | instskip(NEXT) | instid1(VALU_DEP_1)
	v_add_nc_u32_e32 v7, v7, v9
	v_mul_hi_u32 v7, s1, v7
	s_delay_alu instid0(VALU_DEP_1) | instskip(NEXT) | instid1(VALU_DEP_1)
	v_mul_lo_u32 v9, v7, v6
	v_dual_add_nc_u32 v10, 1, v7 :: v_dual_sub_nc_u32 v9, s1, v9
	s_delay_alu instid0(VALU_DEP_1) | instskip(SKIP_1) | instid1(VALU_DEP_3)
	v_sub_nc_u32_e32 v11, v9, v6
	v_cmp_ge_u32_e32 vcc_lo, v9, v6
	v_dual_cndmask_b32 v7, v7, v10, vcc_lo :: v_dual_bitop2_b32 v10, s12, v8 bitop3:0x14
	s_delay_alu instid0(VALU_DEP_3) | instskip(NEXT) | instid1(VALU_DEP_2)
	v_cndmask_b32_e32 v9, v9, v11, vcc_lo
	v_dual_add_nc_u32 v11, 1, v7 :: v_dual_ashrrev_i32 v10, 31, v10
	s_delay_alu instid0(VALU_DEP_2) | instskip(NEXT) | instid1(VALU_DEP_2)
	v_cmp_ge_u32_e32 vcc_lo, v9, v6
	v_cndmask_b32_e32 v6, v7, v11, vcc_lo
	s_delay_alu instid0(VALU_DEP_1) | instskip(NEXT) | instid1(VALU_DEP_1)
	v_xor_b32_e32 v6, v6, v10
	v_sub_nc_u32_e32 v7, v6, v10
	s_delay_alu instid0(VALU_DEP_1) | instskip(NEXT) | instid1(VALU_DEP_1)
	v_sub_nc_u32_e32 v6, 0, v7
	v_max_i32_e32 v6, v7, v6
	s_delay_alu instid0(VALU_DEP_1) | instskip(SKIP_1) | instid1(VALU_DEP_2)
	v_cvt_f32_u32_e32 v9, v6
	v_sub_nc_u32_e32 v10, 0, v6
	v_rcp_iflag_f32_e32 v9, v9
	v_nop
	s_delay_alu instid0(TRANS32_DEP_1) | instskip(NEXT) | instid1(VALU_DEP_1)
	v_mul_f32_e32 v9, 0x4f7ffffe, v9
	v_cvt_u32_f32_e32 v9, v9
	s_delay_alu instid0(VALU_DEP_1) | instskip(NEXT) | instid1(VALU_DEP_1)
	v_mul_lo_u32 v10, v10, v9
	v_mul_hi_u32 v10, v9, v10
	s_wait_loadcnt 0x0
	v_readfirstlane_b32 s13, v0
	s_delay_alu instid0(VALU_DEP_2)
	v_add_nc_u32_e32 v0, v9, v10
	v_mov_b32_e32 v9, v1
	scratch_store_b32 off, v9, s32 offset:236 ; 4-byte Folded Spill
	s_wait_xcnt 0x0
	v_cmpx_ne_u64_e32 0, v[32:33]
	s_cbranch_execz .LBB349_2
; %bb.1:
	s_ashr_i32 s1, s0, 31
	s_delay_alu instid0(SALU_CYCLE_1)
	v_lshl_add_u64 v[10:11], s[0:1], 2, v[32:33]
	flat_load_b32 v9, v[10:11]
	s_wait_loadcnt_dscnt 0x0
	scratch_store_b32 off, v9, s32 offset:236 ; 4-byte Folded Spill
.LBB349_2:
	s_wait_xcnt 0x0
	s_or_b32 exec_lo, exec_lo, s3
	v_mul_u64_e32 v[0:1], s[6:7], v[0:1]
	v_and_b32_e32 v29, 0x3ff, v31
	v_ashrrev_i32_e32 v0, 31, v7
	s_ashr_i32 s1, s0, 31
	s_mul_i32 s4, s0, 0x70
	s_mov_b32 s3, exec_lo
	v_cmpx_gt_u32_e32 14, v29
	s_cbranch_execz .LBB349_4
; %bb.3:
	v_mul_lo_u32 v10, v17, s11
	s_ashr_i32 s5, s4, 31
	v_dual_mov_b32 v17, 0 :: v_dual_lshlrev_b32 v16, 4, v29
	s_delay_alu instid0(VALU_DEP_2) | instskip(NEXT) | instid1(VALU_DEP_1)
	v_ashrrev_i32_e32 v11, 31, v10
	v_lshl_add_u64 v[2:3], v[10:11], 1, v[2:3]
	s_delay_alu instid0(VALU_DEP_1) | instskip(NEXT) | instid1(VALU_DEP_1)
	v_lshl_add_u64 v[2:3], s[4:5], 1, v[2:3]
	v_add_nc_u64_e32 v[2:3], v[2:3], v[16:17]
	flat_load_b128 v[10:13], v[2:3]
	s_wait_loadcnt_dscnt 0x0
	ds_store_b128 v16, v[10:13]
.LBB349_4:
	s_wait_xcnt 0x0
	s_or_b32 exec_lo, exec_lo, s3
	s_delay_alu instid0(VALU_DEP_4) | instskip(SKIP_3) | instid1(VALU_DEP_3)
	v_dual_sub_nc_u32 v2, 0, v27 :: v_dual_add_nc_u32 v9, 1, v1
	v_mul_lo_u32 v3, v1, v6
	v_xor_b32_e32 v11, s1, v0
	s_mov_b32 s1, exec_lo
	v_max_i32_e32 v127, v27, v2
	s_delay_alu instid0(VALU_DEP_1) | instskip(NEXT) | instid1(VALU_DEP_4)
	v_cvt_f32_u32_e32 v2, v127
	v_sub_nc_u32_e32 v3, s6, v3
	s_delay_alu instid0(VALU_DEP_2) | instskip(NEXT) | instid1(VALU_DEP_1)
	v_rcp_iflag_f32_e32 v2, v2
	v_cmp_ge_u32_e32 vcc_lo, v3, v6
	s_delay_alu instid0(TRANS32_DEP_1) | instskip(SKIP_1) | instid1(VALU_DEP_2)
	v_dual_mul_f32 v2, 0x4f7ffffe, v2 :: v_dual_sub_nc_u32 v7, 0, v127
	v_cndmask_b32_e32 v1, v1, v9, vcc_lo
	v_cvt_u32_f32_e32 v2, v2
	s_delay_alu instid0(VALU_DEP_2) | instskip(NEXT) | instid1(VALU_DEP_2)
	v_add_nc_u32_e32 v9, 1, v1
	v_mul_lo_u32 v10, v7, v2
	v_sub_nc_u32_e32 v7, v3, v6
	s_wait_dscnt 0x0
	s_delay_alu instid0(VALU_DEP_1) | instskip(NEXT) | instid1(VALU_DEP_1)
	v_dual_cndmask_b32 v3, v3, v7, vcc_lo :: v_dual_add_nc_u32 v7, -1, v126
	v_cmp_ge_u32_e32 vcc_lo, v3, v6
	s_delay_alu instid0(VALU_DEP_4) | instskip(SKIP_1) | instid1(VALU_DEP_4)
	v_mul_hi_u32 v10, v2, v10
	v_dual_cndmask_b32 v0, v1, v9 :: v_dual_mov_b32 v1, 0
	v_sub_nc_u32_e32 v3, 0, v7
	s_delay_alu instid0(VALU_DEP_2) | instskip(NEXT) | instid1(VALU_DEP_2)
	v_dual_mov_b32 v13, v1 :: v_dual_bitop2_b32 v6, v0, v11 bitop3:0x14
	v_dual_add_nc_u32 v12, v2, v10 :: v_dual_max_i32 v0, v7, v3
                                        ; implicit-def: $vgpr2
                                        ; kill: killed $vgpr2
	s_delay_alu instid0(VALU_DEP_2)
	v_sub_nc_u32_e32 v6, v6, v11
	scratch_store_b64 off, v[12:13], s32 offset:204 ; 8-byte Folded Spill
	s_wait_storecnt 0x0
	s_barrier_signal -1
	s_barrier_wait -1
	s_wait_xcnt 0x0
	v_cmpx_gt_i32_e32 0, v28
	s_xor_b32 s1, exec_lo, s1
	s_cbranch_execz .LBB349_6
; %bb.5:
	v_mad_u32 v2, v24, v8, v6
                                        ; implicit-def: $vgpr24
	s_delay_alu instid0(VALU_DEP_1) | instskip(NEXT) | instid1(VALU_DEP_1)
	v_mul_lo_u32 v2, v2, v28
                                        ; implicit-def: $vgpr28
	v_sub_nc_u32_e32 v2, 1, v2
	scratch_store_b32 off, v2, s32 offset:216 ; 4-byte Folded Spill
.LBB349_6:
	s_wait_xcnt 0x0
	s_or_saveexec_b32 s1, s1
	scratch_load_b64 v[2:3], off, s32 offset:204 ; 8-byte Folded Reload
	s_wait_loadcnt 0x0
	v_mul_u64_e32 v[2:3], v[0:1], v[2:3]
	v_ashrrev_i32_e32 v1, 31, v7
	v_ashrrev_i32_e32 v2, 31, v27
	scratch_store_b32 off, v2, s32 offset:212 ; 4-byte Folded Spill
	s_wait_xcnt 0x0
	s_xor_b32 exec_lo, exec_lo, s1
	s_cbranch_execz .LBB349_8
; %bb.7:
	v_mad_u32 v2, s12, v24, s0
	s_delay_alu instid0(VALU_DEP_1)
	v_mad_u32 v2, v2, v28, 1
	scratch_store_b32 off, v2, s32 offset:216 ; 4-byte Folded Spill
.LBB349_8:
	s_wait_xcnt 0x0
	s_or_b32 exec_lo, exec_lo, s1
	v_mul_lo_u32 v2, v3, v127
	s_load_b32 s5, s[8:9], 0x8
	v_mul_lo_u32 v12, v14, s11
	v_mul_lo_u32 v14, v6, v19
	s_ashr_i32 s3, s2, 31
	v_lshrrev_b32_e32 v18, 3, v29
	s_get_pc_i64 s[6:7]
	s_add_nc_u64 s[6:7], s[6:7], llvm.amdgcn.dynlds.offset.table@rel64+4
	s_lshl_b64 s[2:3], s[2:3], 2
	v_lshrrev_b32_e32 v9, 5, v29
	s_add_nc_u64 s[6:7], s[6:7], s[2:3]
	v_sub_nc_u32_e32 v48, 0, v26
	v_dual_sub_nc_u32 v0, v0, v2 :: v_dual_add_nc_u32 v2, 1, v3
	s_delay_alu instid0(VALU_DEP_3) | instskip(SKIP_1) | instid1(VALU_DEP_3)
	v_dual_add_nc_u32 v7, 31, v126 :: v_dual_lshlrev_b32 v6, 5, v9
	v_ashrrev_i32_e32 v13, 31, v12
	v_cmp_ge_u32_e32 vcc_lo, v0, v127
	v_sub_nc_u32_e32 v8, v0, v127
	scratch_store_b64 off, v[12:13], s32 offset:764 ; 8-byte Folded Spill
	v_cndmask_b32_e32 v2, v3, v2, vcc_lo
	scratch_load_b32 v3, off, s32 offset:212 ; 4-byte Folded Reload
	v_cndmask_b32_e32 v0, v0, v8, vcc_lo
	s_delay_alu instid0(VALU_DEP_1) | instskip(SKIP_3) | instid1(VALU_DEP_1)
	v_cmp_ge_u32_e32 vcc_lo, v0, v127
	s_wait_loadcnt 0x0
	v_xor_b32_e32 v1, v1, v3
	v_dual_ashrrev_i32 v3, 31, v7 :: v_dual_add_nc_u32 v8, 1, v2
	v_dual_lshrrev_b32 v3, 27, v3 :: v_dual_bitop2_b32 v10, 31, v29 bitop3:0x40
	s_delay_alu instid0(VALU_DEP_1) | instskip(SKIP_2) | instid1(VALU_DEP_1)
	v_dual_cndmask_b32 v0, v2, v8 :: v_dual_lshlrev_b32 v19, 2, v10
	scratch_store_b32 off, v10, s32 offset:436 ; 4-byte Folded Spill
	v_dual_add_nc_u32 v2, v7, v3 :: v_dual_bitop2_b32 v0, v0, v1 bitop3:0x14
	v_dual_mov_b32 v7, 0xff7fffff :: v_dual_ashrrev_i32 v2, 5, v2
	s_delay_alu instid0(VALU_DEP_2)
	v_dual_sub_nc_u32 v0, v0, v1 :: v_dual_ashrrev_i32 v15, 31, v14
	scratch_store_b64 off, v[6:7], s32 offset:788 ; 8-byte Folded Spill
	v_cmp_lt_i32_e64 s0, v9, v2
	v_sub_nc_u32_e32 v0, v0, v25
	s_clause 0x3
	scratch_store_b64 off, v[14:15], s32 offset:772
	scratch_store_b32 off, v9, s32 offset:748
	scratch_store_b32 off, v2, s32 offset:192
	;; [unrolled: 1-line block ×3, first 2 shown]
	s_wait_xcnt 0x0
	s_mov_b32 s3, exec_lo
	s_delay_alu instid0(SALU_CYCLE_1)
	s_and_b32 s1, s3, s0
	scratch_store_b32 off, v29, s32 offset:752 ; 4-byte Folded Spill
	s_wait_xcnt 0x0
	s_mov_b32 exec_lo, s1
	s_cbranch_execz .LBB349_912
; %bb.9:
	v_mov_b32_e32 v49, 0
	scratch_store_b64 off, v[38:39], s32 offset:800 ; 8-byte Folded Spill
	s_mov_b32 s15, 0
	s_mov_b64 s[8:9], 0xffffffffffffff
	ds_load_b128 v[0:3], v49
	ds_load_b128 v[6:9], v49 offset:16
	ds_load_b128 v[34:37], v49 offset:32
	;; [unrolled: 1-line block ×4, first 2 shown]
	s_wait_dscnt 0x4
	v_and_b32_e32 v11, 0xffff0000, v0
	v_dual_lshlrev_b32 v10, 16, v0 :: v_dual_lshlrev_b32 v0, 16, v2
	scratch_store_b64 off, v[10:11], s32 offset:252 ; 8-byte Folded Spill
	s_wait_xcnt 0x0
	v_and_b32_e32 v11, 0xffff0000, v1
	v_lshlrev_b32_e32 v10, 16, v1
	v_and_b32_e32 v1, 0xffff0000, v2
	scratch_store_b64 off, v[10:11], s32 offset:260 ; 8-byte Folded Spill
	s_wait_dscnt 0x0
	s_wait_xcnt 0x0
	v_and_b32_e32 v11, 0xffff0000, v31
	v_lshlrev_b32_e32 v10, 16, v31
	scratch_store_b64 off, v[0:1], s32 offset:268 ; 8-byte Folded Spill
	s_wait_xcnt 0x0
	v_and_b32_e32 v1, 0xffff0000, v3
	v_lshlrev_b32_e32 v0, 16, v3
	scratch_store_b64 off, v[0:1], s32 offset:276 ; 8-byte Folded Spill
	s_wait_xcnt 0x0
	v_and_b32_e32 v1, 0xffff0000, v6
	v_dual_lshlrev_b32 v0, 16, v6 :: v_dual_lshlrev_b32 v6, 16, v15
	scratch_store_b64 off, v[0:1], s32 offset:284 ; 8-byte Folded Spill
	s_wait_xcnt 0x0
	v_and_b32_e32 v1, 0xffff0000, v7
	v_lshlrev_b32_e32 v0, 16, v7
	v_and_b32_e32 v7, 0xffff0000, v15
	s_clause 0x1
	scratch_store_b64 off, v[0:1], s32 offset:292
	scratch_store_b64 off, v[6:7], s32 offset:372
	s_wait_xcnt 0x1
	v_and_b32_e32 v1, 0xffff0000, v8
	v_lshlrev_b32_e32 v0, 16, v8
	s_wait_xcnt 0x0
	v_and_b32_e32 v7, 0xffff0000, v28
	v_lshlrev_b32_e32 v6, 16, v28
	scratch_store_b64 off, v[0:1], s32 offset:300 ; 8-byte Folded Spill
	s_wait_xcnt 0x0
	v_and_b32_e32 v1, 0xffff0000, v9
	v_lshlrev_b32_e32 v0, 16, v9
	scratch_store_b64 off, v[6:7], s32 offset:388 ; 8-byte Folded Spill
	;; [unrolled: 4-line block ×5, first 2 shown]
	s_wait_xcnt 0x0
	v_and_b32_e32 v1, 0xffff0000, v35
	v_lshlrev_b32_e32 v0, 16, v35
	ds_load_b128 v[32:35], v49 offset:80
	scratch_store_b64 off, v[0:1], s32 offset:324 ; 8-byte Folded Spill
	s_wait_xcnt 0x0
	v_and_b32_e32 v1, 0xffff0000, v36
	v_lshlrev_b32_e32 v0, 16, v36
	scratch_store_b64 off, v[0:1], s32 offset:332 ; 8-byte Folded Spill
	s_wait_xcnt 0x0
	v_and_b32_e32 v1, 0xffff0000, v37
	v_lshlrev_b32_e32 v0, 16, v37
	;; [unrolled: 4-line block ×5, first 2 shown]
	scratch_store_b64 off, v[0:1], s32 offset:364 ; 8-byte Folded Spill
	s_wait_xcnt 0x0
	ds_load_b128 v[0:3], v49 offset:96
	s_wait_dscnt 0x1
	v_and_b32_e32 v15, 0xffff0000, v35
	v_lshlrev_b32_e32 v14, 16, v35
	scratch_store_b64 off, v[10:11], s32 offset:420 ; 8-byte Folded Spill
	s_wait_xcnt 0x0
	v_and_b32_e32 v11, 0xffff0000, v32
	v_lshlrev_b32_e32 v10, 16, v32
	scratch_store_b64 off, v[6:7], s32 offset:404 ; 8-byte Folded Spill
	s_wait_xcnt 0x0
	ds_load_b128 v[6:9], v49 offset:112
	scratch_store_b64 off, v[14:15], s32 offset:472 ; 8-byte Folded Spill
	s_wait_dscnt 0x1
	s_wait_xcnt 0x0
	v_and_b32_e32 v15, 0xffff0000, v0
	v_lshlrev_b32_e32 v14, 16, v0
	scratch_store_b64 off, v[10:11], s32 offset:448 ; 8-byte Folded Spill
	s_wait_xcnt 0x0
	v_and_b32_e32 v11, 0xffff0000, v33
	v_dual_lshlrev_b32 v10, 16, v33 :: v_dual_lshlrev_b32 v0, 16, v2
	scratch_store_b64 off, v[14:15], s32 offset:480 ; 8-byte Folded Spill
	s_wait_xcnt 0x0
	v_and_b32_e32 v15, 0xffff0000, v1
	v_lshlrev_b32_e32 v14, 16, v1
	scratch_store_b64 off, v[10:11], s32 offset:456 ; 8-byte Folded Spill
	s_wait_xcnt 0x0
	v_and_b32_e32 v11, 0xffff0000, v34
	v_lshlrev_b32_e32 v10, 16, v34
	v_and_b32_e32 v1, 0xffff0000, v2
	s_clause 0x1
	scratch_store_b64 off, v[10:11], s32 offset:464
	scratch_store_b64 off, v[0:1], s32 offset:496
	s_wait_xcnt 0x1
	ds_load_b128 v[10:13], v49 offset:128
	s_wait_xcnt 0x0
	v_and_b32_e32 v1, 0xffff0000, v3
	v_lshlrev_b32_e32 v0, 16, v3
	scratch_store_b64 off, v[14:15], s32 offset:488 ; 8-byte Folded Spill
	s_wait_xcnt 0x0
	ds_load_b128 v[14:17], v49 offset:144
	scratch_store_b64 off, v[0:1], s32 offset:504 ; 8-byte Folded Spill
	s_wait_dscnt 0x2
	s_wait_xcnt 0x0
	v_and_b32_e32 v1, 0xffff0000, v6
	v_dual_lshlrev_b32 v0, 16, v6 :: v_dual_lshlrev_b32 v6, 16, v9
	scratch_store_b64 off, v[0:1], s32 offset:512 ; 8-byte Folded Spill
	s_wait_xcnt 0x0
	v_and_b32_e32 v1, 0xffff0000, v7
	v_lshlrev_b32_e32 v0, 16, v7
	v_and_b32_e32 v7, 0xffff0000, v9
	s_clause 0x1
	scratch_store_b64 off, v[0:1], s32 offset:520
	scratch_store_b64 off, v[6:7], s32 offset:536
	s_wait_xcnt 0x1
	v_and_b32_e32 v1, 0xffff0000, v8
	v_lshlrev_b32_e32 v0, 16, v8
	s_wait_dscnt 0x1
	s_wait_xcnt 0x0
	v_and_b32_e32 v7, 0xffff0000, v10
	v_dual_lshlrev_b32 v6, 16, v10 :: v_dual_lshlrev_b32 v10, 16, v12
	scratch_store_b64 off, v[0:1], s32 offset:528 ; 8-byte Folded Spill
	s_wait_xcnt 0x0
	ds_load_b128 v[0:3], v49 offset:160
	scratch_store_b64 off, v[6:7], s32 offset:544 ; 8-byte Folded Spill
	s_wait_xcnt 0x0
	v_and_b32_e32 v7, 0xffff0000, v11
	v_lshlrev_b32_e32 v6, 16, v11
	v_and_b32_e32 v11, 0xffff0000, v12
	s_clause 0x1
	scratch_store_b64 off, v[6:7], s32 offset:552
	scratch_store_b64 off, v[10:11], s32 offset:560
	s_wait_xcnt 0x0
	v_and_b32_e32 v11, 0xffff0000, v13
	v_lshlrev_b32_e32 v10, 16, v13
	ds_load_b128 v[6:9], v49 offset:176
	scratch_store_b64 off, v[10:11], s32 offset:568 ; 8-byte Folded Spill
	s_wait_dscnt 0x2
	s_wait_xcnt 0x0
	v_and_b32_e32 v11, 0xffff0000, v14
	v_lshlrev_b32_e32 v10, 16, v14
	scratch_store_b64 off, v[10:11], s32 offset:576 ; 8-byte Folded Spill
	s_wait_xcnt 0x0
	v_and_b32_e32 v11, 0xffff0000, v15
	v_lshlrev_b32_e32 v10, 16, v15
	scratch_store_b64 off, v[10:11], s32 offset:584 ; 8-byte Folded Spill
	;; [unrolled: 4-line block ×4, first 2 shown]
	s_wait_dscnt 0x1
	s_wait_xcnt 0x0
	v_and_b32_e32 v11, 0xffff0000, v0
	v_dual_lshlrev_b32 v10, 16, v0 :: v_dual_lshlrev_b32 v0, 16, v2
	scratch_store_b64 off, v[10:11], s32 offset:608 ; 8-byte Folded Spill
	s_wait_xcnt 0x0
	v_and_b32_e32 v11, 0xffff0000, v1
	v_lshlrev_b32_e32 v10, 16, v1
	v_and_b32_e32 v1, 0xffff0000, v2
	s_clause 0x1
	scratch_store_b64 off, v[10:11], s32 offset:616
	scratch_store_b64 off, v[0:1], s32 offset:624
	s_wait_xcnt 0x0
	v_and_b32_e32 v1, 0xffff0000, v3
	v_lshlrev_b32_e32 v0, 16, v3
	scratch_store_b64 off, v[0:1], s32 offset:632 ; 8-byte Folded Spill
	s_wait_xcnt 0x0
	ds_load_b128 v[0:3], v49 offset:192
	s_wait_dscnt 0x1
	v_and_b32_e32 v11, 0xffff0000, v6
	v_dual_lshlrev_b32 v10, 16, v6 :: v_dual_lshlrev_b32 v6, 16, v8
	scratch_store_b64 off, v[10:11], s32 offset:640 ; 8-byte Folded Spill
	s_wait_xcnt 0x0
	v_and_b32_e32 v11, 0xffff0000, v7
	v_lshlrev_b32_e32 v10, 16, v7
	v_and_b32_e32 v7, 0xffff0000, v8
	scratch_store_b64 off, v[10:11], s32 offset:648 ; 8-byte Folded Spill
	s_wait_dscnt 0x0
	s_wait_xcnt 0x0
	v_and_b32_e32 v11, 0xffff0000, v0
	v_lshlrev_b32_e32 v10, 16, v0
	scratch_store_b64 off, v[6:7], s32 offset:656 ; 8-byte Folded Spill
	s_wait_xcnt 0x0
	v_and_b32_e32 v7, 0xffff0000, v9
	v_dual_lshlrev_b32 v6, 16, v9 :: v_dual_lshlrev_b32 v0, 16, v2
	scratch_store_b64 off, v[10:11], s32 offset:672 ; 8-byte Folded Spill
	s_wait_xcnt 0x0
	v_and_b32_e32 v11, 0xffff0000, v1
	v_lshlrev_b32_e32 v10, 16, v1
	scratch_store_b64 off, v[6:7], s32 offset:664 ; 8-byte Folded Spill
	s_wait_xcnt 0x0
	ds_load_b128 v[6:9], v49 offset:208
	v_and_b32_e32 v1, 0xffff0000, v2
	s_clause 0x1
	scratch_store_b64 off, v[10:11], s32 offset:680
	scratch_store_b64 off, v[0:1], s32 offset:688
	s_wait_xcnt 0x0
	v_and_b32_e32 v1, 0xffff0000, v3
	v_lshlrev_b32_e32 v0, 16, v3
	scratch_store_b64 off, v[0:1], s32 offset:696 ; 8-byte Folded Spill
	s_wait_dscnt 0x0
	s_wait_xcnt 0x0
	v_and_b32_e32 v1, 0xffff0000, v6
	v_lshlrev_b32_e32 v0, 16, v6
	scratch_store_b64 off, v[0:1], s32 offset:704 ; 8-byte Folded Spill
	s_wait_xcnt 0x0
	v_and_b32_e32 v1, 0xffff0000, v7
	v_dual_mov_b32 v7, 0xff7fffff :: v_dual_lshlrev_b32 v0, 16, v7
	scratch_store_b64 off, v[0:1], s32 offset:712 ; 8-byte Folded Spill
	s_wait_xcnt 0x0
	v_and_b32_e32 v1, 0xffff0000, v8
	v_lshlrev_b32_e32 v0, 16, v8
	scratch_store_b64 off, v[0:1], s32 offset:720 ; 8-byte Folded Spill
	s_wait_xcnt 0x0
	v_and_b32_e32 v1, 0xffff0000, v9
	v_lshlrev_b32_e32 v0, 16, v9
	s_clause 0x2
	scratch_store_b64 off, v[0:1], s32 offset:728
	scratch_store_b32 off, v26, s32 offset:796
	scratch_store_b32 off, v48, s32 offset:812
	s_wait_xcnt 0x2
	v_max_i32_e32 v1, v26, v48
	s_load_b32 s14, s[6:7], 0x0
	s_delay_alu instid0(VALU_DEP_1) | instskip(SKIP_1) | instid1(VALU_DEP_2)
	v_cvt_f32_u32_e32 v0, v1
	v_sub_nc_u32_e32 v2, 0, v1
	v_rcp_iflag_f32_e32 v0, v0
	v_nop
	s_delay_alu instid0(TRANS32_DEP_1) | instskip(NEXT) | instid1(VALU_DEP_1)
	v_mul_f32_e32 v0, 0x4f7ffffe, v0
	v_cvt_u32_f32_e32 v0, v0
	s_delay_alu instid0(VALU_DEP_1) | instskip(NEXT) | instid1(VALU_DEP_1)
	v_mul_lo_u32 v2, v2, v0
	v_mul_hi_u32 v6, v0, v2
	scratch_load_b64 v[2:3], off, s32 offset:772 ; 8-byte Folded Reload
	s_wait_loadcnt 0x0
	v_add_nc_u64_e32 v[2:3], v[4:5], v[2:3]
	scratch_load_b32 v4, off, s32 offset:436 ; 4-byte Folded Reload
	s_wait_loadcnt 0x0
	v_lshlrev_b32_e32 v48, 4, v4
	s_delay_alu instid0(VALU_DEP_1)
	v_add_nc_u64_e32 v[2:3], v[2:3], v[48:49]
	v_and_b32_e32 v48, 0x7c, v18
	s_clause 0x1
	scratch_store_b64 off, v[2:3], s32 offset:736
	scratch_load_b32 v2, off, s32 offset:236
	v_mov_b32_e32 v3, v49
	s_wait_loadcnt 0x0
	v_cmp_neq_f32_e32 vcc_lo, 0, v2
	v_add_nc_u32_e32 v2, v0, v6
	v_sub_nc_u32_e32 v0, v4, v126
	s_delay_alu instid0(VALU_DEP_1)
	v_add_nc_u32_e32 v0, 1, v0
	s_clause 0x6
	scratch_store_b64 off, v[2:3], s32 offset:224
	scratch_store_b32 off, v18, s32 offset:808
	scratch_load_b64 v[2:3], off, s32 offset:764
	scratch_load_b64 v[4:5], off, s32 offset:756
	scratch_store_b32 off, v19, s32 offset:816
	scratch_store_b32 off, v0, s32 offset:744
	scratch_load_b32 v0, off, s32 offset:748
	s_wait_loadcnt 0x2
	v_lshl_add_u64 v[2:3], v[2:3], 2, v[48:49]
	s_wait_loadcnt 0x0
	v_lshl_or_b32 v26, v0, 7, v19
	s_delay_alu instid0(VALU_DEP_2)
	v_add_nc_u64_e32 v[2:3], v[4:5], v[2:3]
	v_dual_mov_b32 v6, v0 :: v_dual_lshlrev_b32 v18, 5, v0
	scratch_store_b64 off, v[2:3], s32 offset:196 ; 8-byte Folded Spill
	s_branch .LBB349_15
.LBB349_10:                             ;   in Loop: Header=BB349_15 Depth=1
	s_or_b32 exec_lo, exec_lo, s19
	v_lshlrev_b32_e32 v0, 24, v0
	s_delay_alu instid0(VALU_DEP_2) | instskip(SKIP_1) | instid1(VALU_DEP_3)
	v_lshlrev_b32_e32 v7, 20, v48
	v_lshl_add_u32 v10, v38, 23, 0x3c000000
	v_and_b32_e32 v0, 0x80000000, v0
	s_delay_alu instid0(VALU_DEP_1)
	v_or3_b32 v125, v7, v0, v10
.LBB349_11:                             ;   in Loop: Header=BB349_15 Depth=1
	s_or_b32 exec_lo, exec_lo, s18
.LBB349_12:                             ;   in Loop: Header=BB349_15 Depth=1
	s_delay_alu instid0(SALU_CYCLE_1)
	s_or_b32 exec_lo, exec_lo, s17
.LBB349_13:                             ;   in Loop: Header=BB349_15 Depth=1
	s_delay_alu instid0(SALU_CYCLE_1)
	s_or_b32 exec_lo, exec_lo, s16
	v_fma_mixlo_bf16 v48, v8, v5, 0
	v_fma_mixlo_bf16 v5, v8, v21, 0
	;; [unrolled: 1-line block ×5, first 2 shown]
	v_pk_mul_f32 v[52:53], v[8:9], v[68:69] op_sel_hi:[0,1]
	v_pk_mul_f32 v[68:69], v[8:9], v[24:25] op_sel_hi:[0,1]
	;; [unrolled: 1-line block ×4, first 2 shown]
	scratch_load_b64 v[70:71], off, s32 offset:284 ; 8-byte Folded Reload
	v_pk_mul_f32 v[66:67], v[8:9], v[66:67] op_sel_hi:[0,1]
	v_fma_mixlo_bf16 v0, v8, v4, 0
	v_fma_mixlo_bf16 v4, v8, v39, 0
	v_cvt_pk_bf16_f32 v68, v68, v69
	v_fma_mixlo_bf16 v38, v8, v16, 0
	v_cvt_pk_bf16_f32 v39, v66, v67
	v_fma_mixlo_bf16 v16, v8, v2, 0
	v_fma_mixlo_bf16 v7, v8, v23, 0
	v_and_b32_e32 v69, 0xffff0000, v68
	s_delay_alu instid0(VALU_DEP_4)
	v_dual_lshlrev_b32 v68, 16, v68 :: v_dual_lshlrev_b32 v66, 16, v39
	v_and_b32_e32 v67, 0xffff0000, v39
	v_fma_mixlo_bf16 v2, v8, v22, 0
	v_pk_mul_f32 v[54:55], v[8:9], v[54:55] op_sel_hi:[0,1]
	v_pk_mul_f32 v[22:23], v[8:9], v[50:51] op_sel_hi:[0,1]
	v_cvt_pk_bf16_f32 v39, v52, v53
	v_pk_mul_f32 v[80:81], v[8:9], v[80:81] op_sel_hi:[0,1]
	v_pk_mul_f32 v[82:83], v[8:9], v[82:83] op_sel_hi:[0,1]
	v_cvt_pk_bf16_f32 v24, v24, v25
	v_cvt_pk_bf16_f32 v52, v22, v23
	v_and_b32_e32 v23, 0xffff0000, v39
	v_lshlrev_b32_e32 v22, 16, v39
	v_cvt_pk_bf16_f32 v39, v54, v55
	v_and_b32_e32 v25, 0xffff0000, v24
	v_and_b32_e32 v53, 0xffff0000, v52
	v_lshlrev_b32_e32 v52, 16, v52
	v_pk_mul_f32 v[84:85], v[8:9], v[84:85] op_sel_hi:[0,1]
	v_pk_mul_f32 v[98:99], v[8:9], v[98:99] op_sel_hi:[0,1]
	v_fma_mixlo_bf16 v27, v8, v27, 0
	v_pk_mul_f32 v[102:103], v[8:9], v[102:103] op_sel_hi:[0,1]
	v_pk_mul_f32 v[114:115], v[8:9], v[114:115] op_sel_hi:[0,1]
	v_fma_mixlo_bf16 v10, v8, v9, 0
	v_pk_mul_f32 v[120:121], v[8:9], v[94:95] op_sel_hi:[0,1]
	v_pk_mul_f32 v[94:95], v[8:9], v[108:109] op_sel_hi:[0,1]
	;; [unrolled: 1-line block ×9, first 2 shown]
	v_fma_mixlo_bf16 v20, v8, v20, 0
	v_pk_mul_f32 v[86:87], v[8:9], v[86:87] op_sel_hi:[0,1]
	v_fma_mixlo_bf16 v17, v8, v17, 0
	v_pk_mul_f32 v[118:119], v[8:9], v[44:45] op_sel_hi:[0,1]
	v_pk_mul_f32 v[44:45], v[8:9], v[32:33] op_sel_hi:[0,1]
	v_pk_mul_f32 v[32:33], v[8:9], v[34:35] op_sel_hi:[0,1]
	v_pk_mul_f32 v[34:35], v[8:9], v[112:113] op_sel_hi:[0,1]
	v_pk_mul_f32 v[112:113], v[8:9], v[28:29] op_sel_hi:[0,1]
	v_pk_mul_f32 v[28:29], v[8:9], v[30:31] op_sel_hi:[0,1]
	v_pk_mul_f32 v[30:31], v[8:9], v[100:101] op_sel_hi:[0,1]
	v_pk_mul_f32 v[100:101], v[8:9], v[12:13] op_sel_hi:[0,1]
	v_pk_mul_f32 v[40:41], v[8:9], v[40:41] op_sel_hi:[0,1]
	v_pk_mul_f32 v[56:57], v[8:9], v[56:57] op_sel_hi:[0,1]
	v_pk_mul_f32 v[72:73], v[8:9], v[72:73] op_sel_hi:[0,1]
	v_pk_mul_f32 v[88:89], v[8:9], v[88:89] op_sel_hi:[0,1]
	v_pk_mul_f32 v[104:105], v[8:9], v[104:105] op_sel_hi:[0,1]
	v_pk_mul_f32 v[50:51], v[8:9], v[110:111] op_sel_hi:[0,1]
	v_fma_mixlo_bf16 v3, v8, v3, 0
	v_pk_mul_f32 v[96:97], v[8:9], v[96:97] op_sel_hi:[0,1]
	v_pk_mul_f32 v[116:117], v[8:9], v[116:117] op_sel_hi:[0,1]
	v_pk_mul_f32 v[42:43], v[8:9], v[42:43] op_sel_hi:[0,1]
	v_pk_mul_f32 v[58:59], v[8:9], v[58:59] op_sel_hi:[0,1]
	v_pk_mul_f32 v[74:75], v[8:9], v[74:75] op_sel_hi:[0,1]
	v_pk_mul_f32 v[90:91], v[8:9], v[90:91] op_sel_hi:[0,1]
	v_pk_mul_f32 v[106:107], v[8:9], v[106:107] op_sel_hi:[0,1]
	v_pk_mul_f32 v[12:13], v[8:9], v[14:15] op_sel_hi:[0,1]
	v_pk_mul_f32 v[14:15], v[8:9], v[36:37] op_sel_hi:[0,1]
	v_pk_mul_f32 v[36:37], v[8:9], v[122:123] op_sel_hi:[0,1]
	v_pk_mul_f32 v[8:9], v[8:9], v[124:125] op_sel_hi:[0,1]
	s_load_b32 s16, s[6:7], 0x0
	scratch_load_b64 v[54:55], off, s32 offset:300 ; 8-byte Folded Reload
	v_dual_lshlrev_b32 v24, 16, v24 :: v_dual_lshlrev_b32 v2, 16, v2
	v_dual_lshlrev_b32 v3, 16, v3 :: v_dual_lshlrev_b32 v5, 16, v5
	s_wait_loadcnt 0x1
	v_pk_mul_f32 v[66:67], v[70:71], v[66:67]
	scratch_load_b64 v[70:71], off, s32 offset:252 ; 8-byte Folded Reload
	s_wait_loadcnt 0x0
	v_pk_fma_f32 v[68:69], v[70:71], v[68:69], v[66:67]
	scratch_load_b64 v[66:67], off, s32 offset:292 ; 8-byte Folded Reload
	s_wait_loadcnt 0x0
	v_pk_mul_f32 v[22:23], v[66:67], v[22:23]
	scratch_load_b64 v[66:67], off, s32 offset:260 ; 8-byte Folded Reload
	s_wait_loadcnt 0x0
	v_pk_fma_f32 v[66:67], v[66:67], v[52:53], v[22:23]
	v_cvt_pk_bf16_f32 v22, v80, v81
	v_lshlrev_b32_e32 v52, 16, v39
	v_and_b32_e32 v53, 0xffff0000, v39
	s_delay_alu instid0(VALU_DEP_3) | instskip(SKIP_1) | instid1(VALU_DEP_1)
	v_and_b32_e32 v23, 0xffff0000, v22
	v_lshlrev_b32_e32 v22, 16, v22
	v_pk_mul_f32 v[22:23], v[54:55], v[22:23]
	scratch_load_b64 v[54:55], off, s32 offset:268 ; 8-byte Folded Reload
	s_wait_loadcnt 0x0
	v_pk_fma_f32 v[54:55], v[54:55], v[52:53], v[22:23]
	scratch_load_b64 v[52:53], off, s32 offset:308 ; 8-byte Folded Reload
	v_cvt_pk_bf16_f32 v22, v82, v83
	s_delay_alu instid0(VALU_DEP_1) | instskip(SKIP_2) | instid1(VALU_DEP_1)
	v_and_b32_e32 v23, 0xffff0000, v22
	v_lshlrev_b32_e32 v22, 16, v22
	s_wait_loadcnt 0x0
	v_pk_mul_f32 v[22:23], v[52:53], v[22:23]
	scratch_load_b64 v[52:53], off, s32 offset:276 ; 8-byte Folded Reload
	s_wait_loadcnt 0x0
	v_pk_fma_f32 v[52:53], v[52:53], v[24:25], v[22:23]
	v_cvt_pk_bf16_f32 v22, v84, v85
	v_dual_lshlrev_b32 v24, 16, v7 :: v_dual_lshlrev_b32 v25, 16, v21
	v_cvt_pk_bf16_f32 v7, v98, v99
	s_delay_alu instid0(VALU_DEP_3)
	v_and_b32_e32 v71, 0xffff0000, v22
	v_lshlrev_b32_e32 v70, 16, v22
	scratch_load_b64 v[22:23], off, s32 offset:316 ; 8-byte Folded Reload
	s_wait_loadcnt 0x0
	v_pk_fma_f32 v[22:23], v[22:23], v[70:71], v[68:69]
	scratch_load_b64 v[68:69], off, s32 offset:348 ; 8-byte Folded Reload
	s_wait_loadcnt 0x0
	v_pk_fma_f32 v[22:23], v[24:25], v[68:69], v[22:23]
	v_lshlrev_b32_e32 v25, 16, v38
	scratch_load_b64 v[38:39], off, s32 offset:388 ; 8-byte Folded Reload
	v_lshlrev_b32_e32 v24, 16, v27
	s_wait_loadcnt 0x0
	s_delay_alu instid0(VALU_DEP_1)
	v_pk_fma_f32 v[22:23], v[38:39], v[24:25], v[22:23]
	scratch_load_b64 v[38:39], off, s32 offset:448 ; 8-byte Folded Reload
	v_and_b32_e32 v25, 0xffff0000, v7
	v_lshlrev_b32_e32 v24, 16, v7
	v_cvt_pk_bf16_f32 v7, v102, v103
	s_wait_loadcnt 0x0
	s_delay_alu instid0(VALU_DEP_2)
	v_pk_fma_f32 v[22:23], v[38:39], v[24:25], v[22:23]
	scratch_load_b64 v[38:39], off, s32 offset:480 ; 8-byte Folded Reload
	v_and_b32_e32 v25, 0xffff0000, v7
	v_lshlrev_b32_e32 v24, 16, v7
	v_cvt_pk_bf16_f32 v7, v114, v115
	s_wait_loadcnt 0x0
	s_delay_alu instid0(VALU_DEP_2)
	;; [unrolled: 7-line block ×9, first 2 shown]
	v_pk_fma_f32 v[64:65], v[38:39], v[24:25], v[22:23]
	s_clause 0x1
	scratch_load_b64 v[24:25], off, s32 offset:324
	scratch_load_b64 v[38:39], off, s32 offset:356
	v_and_b32_e32 v23, 0xffff0000, v7
	v_dual_lshlrev_b32 v22, 16, v7 :: v_dual_lshlrev_b32 v4, 16, v4
	s_wait_loadcnt 0x1
	s_delay_alu instid0(VALU_DEP_1) | instskip(SKIP_3) | instid1(VALU_DEP_2)
	v_pk_fma_f32 v[22:23], v[24:25], v[22:23], v[66:67]
	v_dual_lshlrev_b32 v24, 16, v19 :: v_dual_lshlrev_b32 v25, 16, v10
	v_dual_lshlrev_b32 v10, 16, v11 :: v_dual_lshlrev_b32 v11, 16, v16
	s_wait_loadcnt 0x0
	v_pk_fma_f32 v[22:23], v[24:25], v[38:39], v[22:23]
	scratch_load_b64 v[38:39], off, s32 offset:396 ; 8-byte Folded Reload
	v_dual_lshlrev_b32 v25, 16, v0 :: v_dual_lshlrev_b32 v24, 16, v17
	v_cvt_pk_bf16_f32 v0, v100, v101
	scratch_load_b64 v[16:17], off, s32 offset:364 ; 8-byte Folded Reload
	s_wait_loadcnt 0x1
	v_pk_fma_f32 v[22:23], v[38:39], v[24:25], v[22:23]
	scratch_load_b64 v[38:39], off, s32 offset:456 ; 8-byte Folded Reload
	v_and_b32_e32 v25, 0xffff0000, v0
	v_lshlrev_b32_e32 v24, 16, v0
	v_cvt_pk_bf16_f32 v0, v112, v113
	s_wait_loadcnt 0x0
	s_delay_alu instid0(VALU_DEP_2)
	v_pk_fma_f32 v[22:23], v[38:39], v[24:25], v[22:23]
	scratch_load_b64 v[38:39], off, s32 offset:488 ; 8-byte Folded Reload
	v_and_b32_e32 v25, 0xffff0000, v0
	v_lshlrev_b32_e32 v24, 16, v0
	v_cvt_pk_bf16_f32 v0, v44, v45
	s_wait_loadcnt 0x0
	s_delay_alu instid0(VALU_DEP_2)
	;; [unrolled: 7-line block ×9, first 2 shown]
	v_pk_fma_f32 v[22:23], v[38:39], v[24:25], v[22:23]
	scratch_load_b64 v[38:39], off, s32 offset:332 ; 8-byte Folded Reload
	v_and_b32_e32 v25, 0xffff0000, v0
	v_lshlrev_b32_e32 v24, 16, v0
	v_cvt_pk_bf16_f32 v0, v30, v31
	s_wait_loadcnt 0x0
	s_delay_alu instid0(VALU_DEP_2) | instskip(NEXT) | instid1(VALU_DEP_1)
	v_pk_fma_f32 v[24:25], v[38:39], v[24:25], v[54:55]
	v_pk_fma_f32 v[10:11], v[10:11], v[16:17], v[24:25]
	v_lshlrev_b32_e32 v17, 16, v20
	scratch_load_b64 v[20:21], off, s32 offset:404 ; 8-byte Folded Reload
	v_lshlrev_b32_e32 v16, 16, v48
	s_wait_loadcnt 0x0
	s_delay_alu instid0(VALU_DEP_1)
	v_pk_fma_f32 v[10:11], v[20:21], v[16:17], v[10:11]
	scratch_load_b64 v[20:21], off, s32 offset:464 ; 8-byte Folded Reload
	v_and_b32_e32 v17, 0xffff0000, v0
	v_lshlrev_b32_e32 v16, 16, v0
	v_cvt_pk_bf16_f32 v0, v34, v35
	s_wait_loadcnt 0x0
	s_delay_alu instid0(VALU_DEP_2)
	v_pk_fma_f32 v[10:11], v[20:21], v[16:17], v[10:11]
	scratch_load_b64 v[20:21], off, s32 offset:496 ; 8-byte Folded Reload
	v_and_b32_e32 v17, 0xffff0000, v0
	v_lshlrev_b32_e32 v16, 16, v0
	v_cvt_pk_bf16_f32 v0, v116, v117
	s_wait_loadcnt 0x0
	s_delay_alu instid0(VALU_DEP_2)
	;; [unrolled: 7-line block ×7, first 2 shown]
	v_pk_fma_f32 v[10:11], v[20:21], v[16:17], v[10:11]
	scratch_load_b64 v[20:21], off, s32 offset:688 ; 8-byte Folded Reload
	v_and_b32_e32 v17, 0xffff0000, v0
	v_lshlrev_b32_e32 v16, 16, v0
	v_cvt_pk_bf16_f32 v0, v36, v37
	s_wait_loadcnt 0x0
	s_delay_alu instid0(VALU_DEP_2) | instskip(SKIP_4) | instid1(VALU_DEP_1)
	v_pk_fma_f32 v[10:11], v[20:21], v[16:17], v[10:11]
	scratch_load_b64 v[20:21], off, s32 offset:720 ; 8-byte Folded Reload
	v_and_b32_e32 v17, 0xffff0000, v0
	v_lshlrev_b32_e32 v16, 16, v0
	v_cvt_pk_bf16_f32 v0, v14, v15
	v_and_b32_e32 v15, 0xffff0000, v0
	v_lshlrev_b32_e32 v14, 16, v0
	v_cvt_pk_bf16_f32 v0, v12, v13
	scratch_load_b64 v[12:13], off, s32 offset:472 ; 8-byte Folded Reload
	s_wait_loadcnt 0x1
	v_pk_fma_f32 v[10:11], v[20:21], v[16:17], v[10:11]
	scratch_load_b64 v[16:17], off, s32 offset:340 ; 8-byte Folded Reload
	s_wait_loadcnt 0x0
	v_pk_fma_f32 v[14:15], v[16:17], v[14:15], v[52:53]
	;; [unrolled: 3-line block ×4, first 2 shown]
	v_and_b32_e32 v5, 0xffff0000, v0
	v_lshlrev_b32_e32 v4, 16, v0
	v_cvt_pk_bf16_f32 v0, v28, v29
	s_delay_alu instid0(VALU_DEP_2)
	v_pk_fma_f32 v[2:3], v[12:13], v[4:5], v[2:3]
	scratch_load_b64 v[12:13], off, s32 offset:504 ; 8-byte Folded Reload
	v_and_b32_e32 v5, 0xffff0000, v0
	v_lshlrev_b32_e32 v4, 16, v0
	v_cvt_pk_bf16_f32 v0, v32, v33
	s_wait_loadcnt 0x0
	s_delay_alu instid0(VALU_DEP_2)
	v_pk_fma_f32 v[2:3], v[12:13], v[4:5], v[2:3]
	scratch_load_b64 v[12:13], off, s32 offset:536 ; 8-byte Folded Reload
	v_and_b32_e32 v5, 0xffff0000, v0
	v_lshlrev_b32_e32 v4, 16, v0
	v_cvt_pk_bf16_f32 v0, v118, v119
	s_wait_loadcnt 0x0
	s_delay_alu instid0(VALU_DEP_2)
	v_pk_fma_f32 v[2:3], v[12:13], v[4:5], v[2:3]
	scratch_load_b64 v[12:13], off, s32 offset:568 ; 8-byte Folded Reload
	v_and_b32_e32 v5, 0xffff0000, v0
	v_lshlrev_b32_e32 v4, 16, v0
	v_cvt_pk_bf16_f32 v0, v46, v47
	s_wait_loadcnt 0x0
	s_delay_alu instid0(VALU_DEP_2)
	v_pk_fma_f32 v[2:3], v[12:13], v[4:5], v[2:3]
	scratch_load_b64 v[12:13], off, s32 offset:600 ; 8-byte Folded Reload
	v_and_b32_e32 v5, 0xffff0000, v0
	v_lshlrev_b32_e32 v4, 16, v0
	v_cvt_pk_bf16_f32 v0, v62, v63
	s_wait_loadcnt 0x0
	s_delay_alu instid0(VALU_DEP_2)
	v_pk_fma_f32 v[2:3], v[12:13], v[4:5], v[2:3]
	scratch_load_b64 v[12:13], off, s32 offset:632 ; 8-byte Folded Reload
	v_and_b32_e32 v5, 0xffff0000, v0
	v_lshlrev_b32_e32 v4, 16, v0
	v_cvt_pk_bf16_f32 v0, v78, v79
	s_wait_loadcnt 0x0
	s_delay_alu instid0(VALU_DEP_2)
	v_pk_fma_f32 v[2:3], v[12:13], v[4:5], v[2:3]
	scratch_load_b64 v[12:13], off, s32 offset:664 ; 8-byte Folded Reload
	v_and_b32_e32 v5, 0xffff0000, v0
	v_lshlrev_b32_e32 v4, 16, v0
	v_cvt_pk_bf16_f32 v0, v94, v95
	s_wait_loadcnt 0x0
	s_delay_alu instid0(VALU_DEP_2) | instskip(SKIP_3) | instid1(VALU_DEP_1)
	v_pk_fma_f32 v[2:3], v[12:13], v[4:5], v[2:3]
	scratch_load_b64 v[12:13], off, s32 offset:696 ; 8-byte Folded Reload
	v_and_b32_e32 v5, 0xffff0000, v0
	v_dual_lshlrev_b32 v4, 16, v0 :: v_dual_add_f32 v0, v64, v65
	v_add_f32_e32 v0, v0, v22
	s_delay_alu instid0(VALU_DEP_1) | instskip(NEXT) | instid1(VALU_DEP_1)
	v_add_f32_e32 v0, v23, v0
	v_add_f32_e32 v0, v10, v0
	s_delay_alu instid0(VALU_DEP_1)
	v_add_f32_e32 v0, v11, v0
	s_wait_loadcnt 0x0
	v_pk_fma_f32 v[2:3], v[12:13], v[4:5], v[2:3]
	v_cvt_pk_bf16_f32 v4, v8, v9
	scratch_load_b64 v[8:9], off, s32 offset:728 ; 8-byte Folded Reload
	v_and_b32_e32 v5, 0xffff0000, v4
	v_lshlrev_b32_e32 v4, 16, v4
	s_wait_loadcnt 0x0
	s_delay_alu instid0(VALU_DEP_1)
	v_pk_fma_f32 v[2:3], v[8:9], v[4:5], v[2:3]
	s_clause 0x1
	scratch_load_b32 v4, off, s32 offset:248
	scratch_load_b32 v7, off, s32 offset:232 th:TH_LOAD_LU
	v_add_f32_e32 v0, v2, v0
	scratch_load_b32 v2, off, s32 offset:744 ; 4-byte Folded Reload
	v_add_f32_e32 v0, v3, v0
	scratch_load_b32 v3, off, s32 offset:236 ; 4-byte Folded Reload
	s_wait_loadcnt 0x1
	v_add_nc_u32_e32 v2, v2, v18
	s_delay_alu instid0(VALU_DEP_1) | instskip(SKIP_1) | instid1(VALU_DEP_1)
	v_cvt_f32_i32_e32 v2, v2
	s_wait_loadcnt 0x0
	v_mul_f32_e32 v2, v3, v2
	scratch_load_b32 v3, off, s32 offset:436 ; 4-byte Folded Reload
	v_cndmask_b32_e32 v2, 0, v2, vcc_lo
	s_delay_alu instid0(VALU_DEP_1) | instskip(SKIP_2) | instid1(VALU_DEP_1)
	v_dual_fmac_f32 v2, v4, v0 :: v_dual_max_num_f32 v0, v7, v7
	s_wait_loadcnt 0x0
	v_add_nc_u32_e32 v3, v3, v18
	v_cmp_lt_i32_e64 s1, v3, v126
	s_wait_kmcnt 0x0
	v_add_nc_u32_e32 v3, s16, v26
	s_delay_alu instid0(VALU_DEP_2) | instskip(NEXT) | instid1(VALU_DEP_1)
	v_dual_max_num_f32 v0, v0, v2 :: v_dual_cndmask_b32 v2, 0, v2, s1
	v_cndmask_b32_e64 v7, v7, v0, s1
	ds_store_b32 v3, v2
.LBB349_14:                             ;   in Loop: Header=BB349_15 Depth=1
	s_wait_xcnt 0x0
	s_or_b32 exec_lo, exec_lo, s2
	s_clause 0x1
	scratch_load_b32 v0, off, s32 offset:192
	scratch_load_b64 v[2:3], off, s32 offset:196
	v_add_nc_u32_e32 v6, 4, v6
	v_add_nc_u32_e32 v18, 0x80, v18
	;; [unrolled: 1-line block ×3, first 2 shown]
	s_wait_loadcnt 0x1
	s_delay_alu instid0(VALU_DEP_3)
	v_cmp_ge_i32_e64 s1, v6, v0
	s_wait_loadcnt 0x0
	v_add_nc_u64_e32 v[2:3], 16, v[2:3]
	s_or_b32 s15, s1, s15
	scratch_store_b64 off, v[2:3], s32 offset:196 ; 8-byte Folded Spill
	s_wait_xcnt 0x0
	s_and_not1_b32 exec_lo, exec_lo, s15
	s_cbranch_execz .LBB349_911
.LBB349_15:                             ; =>This Inner Loop Header: Depth=1
	scratch_load_b64 v[2:3], off, s32 offset:204 ; 8-byte Folded Reload
	v_mov_b32_e32 v19, v49
	s_wait_loadcnt 0x0
	s_delay_alu instid0(VALU_DEP_1) | instskip(NEXT) | instid1(VALU_DEP_1)
	v_mul_u64_e32 v[2:3], v[18:19], v[2:3]
	v_mul_lo_u32 v0, v3, v127
	s_delay_alu instid0(VALU_DEP_1) | instskip(NEXT) | instid1(VALU_DEP_1)
	v_sub_nc_u32_e32 v0, v18, v0
	v_cmp_ge_u32_e64 s1, v0, v127
	v_sub_nc_u32_e32 v4, v0, v127
	s_delay_alu instid0(VALU_DEP_1) | instskip(NEXT) | instid1(VALU_DEP_1)
	v_dual_add_nc_u32 v2, 1, v3 :: v_dual_cndmask_b32 v0, v0, v4, s1
	v_cndmask_b32_e64 v2, v3, v2, s1
	s_delay_alu instid0(VALU_DEP_2) | instskip(NEXT) | instid1(VALU_DEP_2)
	v_cmp_ge_u32_e64 s1, v0, v127
	v_add_nc_u32_e32 v3, 1, v2
	s_delay_alu instid0(VALU_DEP_1) | instskip(SKIP_3) | instid1(VALU_DEP_1)
	v_cndmask_b32_e64 v0, v2, v3, s1
	scratch_load_b32 v2, off, s32 offset:212 ; 4-byte Folded Reload
	s_wait_loadcnt 0x0
	v_xor_b32_e32 v0, v0, v2
	v_sub_nc_u32_e32 v0, v0, v2
	scratch_load_b32 v2, off, s32 offset:216 ; 4-byte Folded Reload
	s_wait_loadcnt 0x0
	v_add_nc_u32_e32 v4, v0, v2
	s_delay_alu instid0(VALU_DEP_1) | instskip(NEXT) | instid1(VALU_DEP_1)
	v_sub_nc_u32_e32 v2, 0, v4
	v_max_i32_e32 v48, v4, v2
	scratch_load_b64 v[2:3], off, s32 offset:224 ; 8-byte Folded Reload
	s_wait_loadcnt 0x0
	v_mul_u64_e32 v[2:3], v[48:49], v[2:3]
	s_delay_alu instid0(VALU_DEP_1) | instskip(NEXT) | instid1(VALU_DEP_1)
	v_mul_lo_u32 v2, v3, v1
	v_sub_nc_u32_e32 v2, v48, v2
	s_delay_alu instid0(VALU_DEP_1) | instskip(SKIP_1) | instid1(VALU_DEP_1)
	v_sub_nc_u32_e32 v3, v2, v1
	v_cmp_ge_u32_e64 s1, v2, v1
	v_dual_cndmask_b32 v2, v2, v3, s1 :: v_dual_ashrrev_i32 v4, 31, v4
	s_delay_alu instid0(VALU_DEP_1) | instskip(SKIP_1) | instid1(VALU_DEP_1)
	v_sub_nc_u32_e32 v3, v2, v1
	v_cmp_ge_u32_e64 s1, v2, v1
	v_cndmask_b32_e64 v2, v2, v3, s1
	s_delay_alu instid0(VALU_DEP_1) | instskip(NEXT) | instid1(VALU_DEP_1)
	v_xor_b32_e32 v2, v2, v4
	v_sub_nc_u32_e32 v2, v2, v4
	s_delay_alu instid0(VALU_DEP_1)
	v_cmp_ne_u32_e64 s1, 0, v2
	scratch_load_b32 v2, off, s32 offset:220 ; 4-byte Folded Reload
	s_wait_loadcnt 0x0
	v_cmp_le_i32_e64 s2, v0, v2
	s_and_b32 s1, s1, s2
	s_wait_xcnt 0x0
	s_and_saveexec_b32 s2, s1
	s_delay_alu instid0(SALU_CYCLE_1)
	s_xor_b32 s1, exec_lo, s2
	s_cbranch_execz .LBB349_17
; %bb.16:                               ;   in Loop: Header=BB349_15 Depth=1
	s_wait_kmcnt 0x0
	v_add_nc_u32_e32 v0, s14, v26
	v_mov_b32_e32 v2, 0xff7fffff
	ds_store_b32 v0, v2
.LBB349_17:                             ;   in Loop: Header=BB349_15 Depth=1
	s_and_not1_saveexec_b32 s2, s1
	s_cbranch_execz .LBB349_14
; %bb.18:                               ;   in Loop: Header=BB349_15 Depth=1
	s_clause 0x1
	scratch_load_b64 v[2:3], off, s32 offset:196
	scratch_store_b32 off, v7, s32 offset:232
	v_dual_mov_b32 v25, 0 :: v_dual_mov_b32 v24, 0
	s_mov_b32 s16, exec_lo
	s_wait_loadcnt 0x0
	flat_load_b32 v0, v[2:3]
	s_clause 0x1
	scratch_load_b64 v[2:3], off, s32 offset:380
	scratch_load_b64 v[4:5], off, s32 offset:736
	s_wait_loadcnt_dscnt 0x0
	v_mad_nc_i64_i32 v[70:71], v0, v2, v[4:5]
	flat_load_b64 v[12:13], v[70:71]
	scratch_load_b64 v[2:3], off, s32 offset:240 ; 8-byte Folded Reload
	s_wait_loadcnt_dscnt 0x100
	v_and_b32_e32 v0, 0xff, v12
	s_wait_loadcnt 0x0
	flat_load_b32 v8, v[2:3]
	s_wait_xcnt 0x0
	v_cmpx_ne_u16_e32 0, v0
	s_cbranch_execz .LBB349_26
; %bb.19:                               ;   in Loop: Header=BB349_15 Depth=1
	v_bfrev_b32_e32 v24, 1
	s_mov_b32 s17, exec_lo
	v_cmpx_ne_u16_e32 0x80, v0
	s_cbranch_execz .LBB349_25
; %bb.20:                               ;   in Loop: Header=BB349_15 Depth=1
	v_and_b32_e32 v2, 0x7f, v12
	v_mov_b32_e32 v24, 0x7f800001
	s_mov_b32 s18, exec_lo
	s_delay_alu instid0(VALU_DEP_2)
	v_cmpx_ne_u32_e32 0x7f, v2
	s_cbranch_execz .LBB349_24
; %bb.21:                               ;   in Loop: Header=BB349_15 Depth=1
	v_mov_b64_e32 v[14:15], v[12:13]
	v_lshrrev_b32_e32 v0, 3, v2
	s_mov_b32 s19, exec_lo
	v_cmpx_gt_u32_e32 8, v2
; %bb.22:                               ;   in Loop: Header=BB349_15 Depth=1
	v_and_b32_e32 v0, 7, v12
	s_delay_alu instid0(VALU_DEP_1) | instskip(NEXT) | instid1(VALU_DEP_1)
	v_clz_i32_u32_e32 v0, v0
	v_min_u32_e32 v0, 32, v0
	s_delay_alu instid0(VALU_DEP_1) | instskip(SKIP_1) | instid1(VALU_DEP_2)
	v_subrev_nc_u32_e32 v2, 28, v0
	v_sub_nc_u32_e32 v0, 29, v0
	v_lshlrev_b64_e32 v[14:15], v2, v[12:13]
; %bb.23:                               ;   in Loop: Header=BB349_15 Depth=1
	s_or_b32 exec_lo, exec_lo, s19
	s_delay_alu instid0(VALU_DEP_1) | instskip(NEXT) | instid1(VALU_DEP_3)
	v_dual_lshlrev_b32 v2, 20, v14 :: v_dual_lshlrev_b32 v3, 24, v12
	v_lshl_add_u32 v0, v0, 23, 0x3c000000
	s_delay_alu instid0(VALU_DEP_2) | instskip(NEXT) | instid1(VALU_DEP_3)
	v_and_b32_e32 v2, 0x700000, v2
	v_and_b32_e32 v3, 0x80000000, v3
	s_delay_alu instid0(VALU_DEP_1)
	v_or3_b32 v24, v2, v3, v0
.LBB349_24:                             ;   in Loop: Header=BB349_15 Depth=1
	s_or_b32 exec_lo, exec_lo, s18
.LBB349_25:                             ;   in Loop: Header=BB349_15 Depth=1
	s_delay_alu instid0(SALU_CYCLE_1)
	s_or_b32 exec_lo, exec_lo, s17
.LBB349_26:                             ;   in Loop: Header=BB349_15 Depth=1
	s_delay_alu instid0(SALU_CYCLE_1) | instskip(SKIP_2) | instid1(VALU_DEP_1)
	s_or_b32 exec_lo, exec_lo, s16
	v_lshrrev_b16 v0, 8, v12
	s_mov_b32 s16, exec_lo
	v_cmpx_ne_u16_e32 0, v0
	s_cbranch_execz .LBB349_34
; %bb.27:                               ;   in Loop: Header=BB349_15 Depth=1
	v_bfrev_b32_e32 v25, 1
	s_mov_b32 s17, exec_lo
	v_cmpx_ne_u16_e32 0x80, v0
	s_cbranch_execz .LBB349_33
; %bb.28:                               ;   in Loop: Header=BB349_15 Depth=1
	v_and_b32_e32 v0, 0xffff, v0
	v_mov_b32_e32 v25, 0x7f800001
	s_mov_b32 s18, exec_lo
	s_delay_alu instid0(VALU_DEP_2) | instskip(NEXT) | instid1(VALU_DEP_1)
	v_and_b32_e32 v2, 0x7f, v0
	v_cmpx_ne_u32_e32 0x7f, v2
	s_cbranch_execz .LBB349_32
; %bb.29:                               ;   in Loop: Header=BB349_15 Depth=1
	v_dual_lshrrev_b32 v0, 3, v2 :: v_dual_bitop2_b32 v48, 7, v0 bitop3:0x40
	s_mov_b32 s19, exec_lo
	v_cmpx_gt_u32_e32 8, v2
; %bb.30:                               ;   in Loop: Header=BB349_15 Depth=1
	s_delay_alu instid0(VALU_DEP_2) | instskip(NEXT) | instid1(VALU_DEP_1)
	v_clz_i32_u32_e32 v0, v48
	v_min_u32_e32 v0, 32, v0
	s_delay_alu instid0(VALU_DEP_1) | instskip(NEXT) | instid1(VALU_DEP_1)
	v_subrev_nc_u32_e32 v2, 28, v0
	v_lshlrev_b64_e32 v[2:3], v2, v[48:49]
	s_delay_alu instid0(VALU_DEP_1)
	v_dual_sub_nc_u32 v0, 29, v0 :: v_dual_bitop2_b32 v48, 7, v2 bitop3:0x40
; %bb.31:                               ;   in Loop: Header=BB349_15 Depth=1
	s_or_b32 exec_lo, exec_lo, s19
	v_lshlrev_b32_e32 v2, 16, v12
	s_delay_alu instid0(VALU_DEP_2) | instskip(NEXT) | instid1(VALU_DEP_3)
	v_lshlrev_b32_e32 v3, 20, v48
	v_lshl_add_u32 v0, v0, 23, 0x3c000000
	s_delay_alu instid0(VALU_DEP_3) | instskip(NEXT) | instid1(VALU_DEP_1)
	v_and_b32_e32 v2, 0x80000000, v2
	v_or3_b32 v25, v3, v2, v0
.LBB349_32:                             ;   in Loop: Header=BB349_15 Depth=1
	s_or_b32 exec_lo, exec_lo, s18
.LBB349_33:                             ;   in Loop: Header=BB349_15 Depth=1
	s_delay_alu instid0(SALU_CYCLE_1)
	s_or_b32 exec_lo, exec_lo, s17
.LBB349_34:                             ;   in Loop: Header=BB349_15 Depth=1
	s_delay_alu instid0(SALU_CYCLE_1) | instskip(SKIP_3) | instid1(VALU_DEP_2)
	s_or_b32 exec_lo, exec_lo, s16
	v_dual_mov_b32 v51, 0 :: v_dual_lshrrev_b32 v0, 16, v12
	v_mov_b32_e32 v50, 0
	s_mov_b32 s16, exec_lo
	v_and_b32_e32 v2, 0xff, v0
	s_delay_alu instid0(VALU_DEP_1)
	v_cmpx_ne_u16_e32 0, v2
	s_cbranch_execz .LBB349_42
; %bb.35:                               ;   in Loop: Header=BB349_15 Depth=1
	v_bfrev_b32_e32 v50, 1
	s_mov_b32 s17, exec_lo
	v_cmpx_ne_u16_e32 0x80, v2
	s_cbranch_execz .LBB349_41
; %bb.36:                               ;   in Loop: Header=BB349_15 Depth=1
	v_bfe_u32 v3, v12, 16, 7
	v_mov_b32_e32 v50, 0x7f800001
	s_mov_b32 s18, exec_lo
	s_delay_alu instid0(VALU_DEP_2)
	v_cmpx_ne_u32_e32 0x7f, v3
	s_cbranch_execz .LBB349_40
; %bb.37:                               ;   in Loop: Header=BB349_15 Depth=1
	v_dual_lshrrev_b32 v2, 3, v3 :: v_dual_bitop2_b32 v48, 7, v0 bitop3:0x40
	s_mov_b32 s19, exec_lo
	v_cmpx_gt_u32_e32 8, v3
; %bb.38:                               ;   in Loop: Header=BB349_15 Depth=1
	s_delay_alu instid0(VALU_DEP_2) | instskip(NEXT) | instid1(VALU_DEP_1)
	v_clz_i32_u32_e32 v2, v48
	v_min_u32_e32 v2, 32, v2
	s_delay_alu instid0(VALU_DEP_1) | instskip(NEXT) | instid1(VALU_DEP_1)
	v_subrev_nc_u32_e32 v3, 28, v2
	v_lshlrev_b64_e32 v[4:5], v3, v[48:49]
	s_delay_alu instid0(VALU_DEP_1)
	v_dual_sub_nc_u32 v2, 29, v2 :: v_dual_bitop2_b32 v48, 7, v4 bitop3:0x40
; %bb.39:                               ;   in Loop: Header=BB349_15 Depth=1
	s_or_b32 exec_lo, exec_lo, s19
	v_lshlrev_b32_e32 v0, 24, v0
	s_delay_alu instid0(VALU_DEP_2) | instskip(NEXT) | instid1(VALU_DEP_3)
	v_lshlrev_b32_e32 v3, 20, v48
	v_lshl_add_u32 v2, v2, 23, 0x3c000000
	s_delay_alu instid0(VALU_DEP_3) | instskip(NEXT) | instid1(VALU_DEP_1)
	v_and_b32_e32 v0, 0x80000000, v0
	v_or3_b32 v50, v3, v0, v2
.LBB349_40:                             ;   in Loop: Header=BB349_15 Depth=1
	s_or_b32 exec_lo, exec_lo, s18
.LBB349_41:                             ;   in Loop: Header=BB349_15 Depth=1
	s_delay_alu instid0(SALU_CYCLE_1)
	s_or_b32 exec_lo, exec_lo, s17
.LBB349_42:                             ;   in Loop: Header=BB349_15 Depth=1
	s_delay_alu instid0(SALU_CYCLE_1) | instskip(NEXT) | instid1(SALU_CYCLE_1)
	s_or_b32 exec_lo, exec_lo, s16
	s_mov_b32 s16, exec_lo
	v_cmpx_lt_u32_e32 0xffffff, v12
	s_cbranch_execz .LBB349_50
; %bb.43:                               ;   in Loop: Header=BB349_15 Depth=1
	v_lshrrev_b32_e32 v0, 24, v12
	v_bfrev_b32_e32 v51, 1
	s_mov_b32 s17, exec_lo
	s_delay_alu instid0(VALU_DEP_2)
	v_cmpx_ne_u32_e32 0x80, v0
	s_cbranch_execz .LBB349_49
; %bb.44:                               ;   in Loop: Header=BB349_15 Depth=1
	v_bfe_u32 v3, v12, 24, 7
	v_mov_b32_e32 v51, 0x7f800001
	s_mov_b32 s18, exec_lo
	s_delay_alu instid0(VALU_DEP_2)
	v_cmpx_ne_u32_e32 0x7f, v3
	s_cbranch_execz .LBB349_48
; %bb.45:                               ;   in Loop: Header=BB349_15 Depth=1
	v_dual_lshrrev_b32 v2, 3, v3 :: v_dual_bitop2_b32 v48, 7, v0 bitop3:0x40
	s_mov_b32 s19, exec_lo
	v_cmpx_gt_u32_e32 8, v3
; %bb.46:                               ;   in Loop: Header=BB349_15 Depth=1
	s_delay_alu instid0(VALU_DEP_2) | instskip(NEXT) | instid1(VALU_DEP_1)
	v_clz_i32_u32_e32 v2, v48
	v_min_u32_e32 v2, 32, v2
	s_delay_alu instid0(VALU_DEP_1) | instskip(NEXT) | instid1(VALU_DEP_1)
	v_subrev_nc_u32_e32 v3, 28, v2
	v_lshlrev_b64_e32 v[4:5], v3, v[48:49]
	s_delay_alu instid0(VALU_DEP_1)
	v_dual_sub_nc_u32 v2, 29, v2 :: v_dual_bitop2_b32 v48, 7, v4 bitop3:0x40
; %bb.47:                               ;   in Loop: Header=BB349_15 Depth=1
	s_or_b32 exec_lo, exec_lo, s19
	v_lshlrev_b32_e32 v0, 24, v0
	s_delay_alu instid0(VALU_DEP_2) | instskip(NEXT) | instid1(VALU_DEP_3)
	v_lshlrev_b32_e32 v3, 20, v48
	v_lshl_add_u32 v2, v2, 23, 0x3c000000
	s_delay_alu instid0(VALU_DEP_3) | instskip(NEXT) | instid1(VALU_DEP_1)
	v_and_b32_e32 v0, 0x80000000, v0
	v_or3_b32 v51, v3, v0, v2
.LBB349_48:                             ;   in Loop: Header=BB349_15 Depth=1
	s_or_b32 exec_lo, exec_lo, s18
.LBB349_49:                             ;   in Loop: Header=BB349_15 Depth=1
	s_delay_alu instid0(SALU_CYCLE_1)
	s_or_b32 exec_lo, exec_lo, s17
.LBB349_50:                             ;   in Loop: Header=BB349_15 Depth=1
	s_delay_alu instid0(SALU_CYCLE_1) | instskip(SKIP_4) | instid1(VALU_DEP_3)
	s_or_b32 exec_lo, exec_lo, s16
	v_and_b32_e32 v0, 0xff, v13
	v_dual_mov_b32 v48, v13 :: v_dual_mov_b32 v55, 0
	v_mov_b32_e32 v54, 0
	s_mov_b32 s16, exec_lo
	v_cmpx_ne_u16_e32 0, v0
	s_cbranch_execz .LBB349_58
; %bb.51:                               ;   in Loop: Header=BB349_15 Depth=1
	v_bfrev_b32_e32 v54, 1
	s_mov_b32 s17, exec_lo
	v_cmpx_ne_u16_e32 0x80, v0
	s_cbranch_execz .LBB349_57
; %bb.52:                               ;   in Loop: Header=BB349_15 Depth=1
	v_and_b32_e32 v2, 0x7f, v13
	v_mov_b32_e32 v54, 0x7f800001
	s_mov_b32 s18, exec_lo
	s_delay_alu instid0(VALU_DEP_2)
	v_cmpx_ne_u32_e32 0x7f, v2
	s_cbranch_execz .LBB349_56
; %bb.53:                               ;   in Loop: Header=BB349_15 Depth=1
	v_mov_b64_e32 v[14:15], v[48:49]
	v_lshrrev_b32_e32 v0, 3, v2
	s_mov_b32 s19, exec_lo
	v_cmpx_gt_u32_e32 8, v2
; %bb.54:                               ;   in Loop: Header=BB349_15 Depth=1
	v_and_b32_e32 v0, 7, v13
	s_delay_alu instid0(VALU_DEP_1) | instskip(NEXT) | instid1(VALU_DEP_1)
	v_clz_i32_u32_e32 v0, v0
	v_min_u32_e32 v0, 32, v0
	s_delay_alu instid0(VALU_DEP_1) | instskip(SKIP_1) | instid1(VALU_DEP_2)
	v_subrev_nc_u32_e32 v2, 28, v0
	v_sub_nc_u32_e32 v0, 29, v0
	v_lshlrev_b64_e32 v[14:15], v2, v[48:49]
; %bb.55:                               ;   in Loop: Header=BB349_15 Depth=1
	s_or_b32 exec_lo, exec_lo, s19
	s_delay_alu instid0(VALU_DEP_1) | instskip(NEXT) | instid1(VALU_DEP_3)
	v_dual_lshlrev_b32 v2, 20, v14 :: v_dual_lshlrev_b32 v3, 24, v48
	v_lshl_add_u32 v0, v0, 23, 0x3c000000
	s_delay_alu instid0(VALU_DEP_2) | instskip(NEXT) | instid1(VALU_DEP_3)
	v_and_b32_e32 v2, 0x700000, v2
	v_and_b32_e32 v3, 0x80000000, v3
	s_delay_alu instid0(VALU_DEP_1)
	v_or3_b32 v54, v2, v3, v0
.LBB349_56:                             ;   in Loop: Header=BB349_15 Depth=1
	s_or_b32 exec_lo, exec_lo, s18
.LBB349_57:                             ;   in Loop: Header=BB349_15 Depth=1
	s_delay_alu instid0(SALU_CYCLE_1)
	s_or_b32 exec_lo, exec_lo, s17
.LBB349_58:                             ;   in Loop: Header=BB349_15 Depth=1
	s_delay_alu instid0(SALU_CYCLE_1) | instskip(SKIP_2) | instid1(VALU_DEP_1)
	s_or_b32 exec_lo, exec_lo, s16
	v_lshrrev_b16 v0, 8, v48
	s_mov_b32 s16, exec_lo
	v_cmpx_ne_u16_e32 0, v0
	s_cbranch_execz .LBB349_66
; %bb.59:                               ;   in Loop: Header=BB349_15 Depth=1
	v_bfrev_b32_e32 v55, 1
	s_mov_b32 s17, exec_lo
	v_cmpx_ne_u16_e32 0x80, v0
	s_cbranch_execz .LBB349_65
; %bb.60:                               ;   in Loop: Header=BB349_15 Depth=1
	v_and_b32_e32 v0, 0xffff, v0
	v_mov_b32_e32 v55, 0x7f800001
	s_mov_b32 s18, exec_lo
	s_delay_alu instid0(VALU_DEP_2) | instskip(NEXT) | instid1(VALU_DEP_1)
	v_and_b32_e32 v2, 0x7f, v0
	v_cmpx_ne_u32_e32 0x7f, v2
	s_cbranch_execz .LBB349_64
; %bb.61:                               ;   in Loop: Header=BB349_15 Depth=1
	v_dual_mov_b32 v15, v49 :: v_dual_bitop2_b32 v14, 7, v0 bitop3:0x40
	v_lshrrev_b32_e32 v0, 3, v2
	s_mov_b32 s19, exec_lo
	v_cmpx_gt_u32_e32 8, v2
; %bb.62:                               ;   in Loop: Header=BB349_15 Depth=1
	s_delay_alu instid0(VALU_DEP_3) | instskip(NEXT) | instid1(VALU_DEP_1)
	v_clz_i32_u32_e32 v0, v14
	v_min_u32_e32 v0, 32, v0
	s_delay_alu instid0(VALU_DEP_1) | instskip(NEXT) | instid1(VALU_DEP_1)
	v_subrev_nc_u32_e32 v2, 28, v0
	v_lshlrev_b64_e32 v[2:3], v2, v[14:15]
	s_delay_alu instid0(VALU_DEP_1)
	v_dual_sub_nc_u32 v0, 29, v0 :: v_dual_bitop2_b32 v14, 7, v2 bitop3:0x40
; %bb.63:                               ;   in Loop: Header=BB349_15 Depth=1
	s_or_b32 exec_lo, exec_lo, s19
	s_delay_alu instid0(VALU_DEP_1) | instskip(NEXT) | instid1(VALU_DEP_2)
	v_dual_lshlrev_b32 v2, 16, v48 :: v_dual_lshlrev_b32 v3, 20, v14
	v_lshl_add_u32 v0, v0, 23, 0x3c000000
	s_delay_alu instid0(VALU_DEP_2) | instskip(NEXT) | instid1(VALU_DEP_1)
	v_and_b32_e32 v2, 0x80000000, v2
	v_or3_b32 v55, v3, v2, v0
.LBB349_64:                             ;   in Loop: Header=BB349_15 Depth=1
	s_or_b32 exec_lo, exec_lo, s18
.LBB349_65:                             ;   in Loop: Header=BB349_15 Depth=1
	s_delay_alu instid0(SALU_CYCLE_1)
	s_or_b32 exec_lo, exec_lo, s17
.LBB349_66:                             ;   in Loop: Header=BB349_15 Depth=1
	s_delay_alu instid0(SALU_CYCLE_1) | instskip(SKIP_3) | instid1(VALU_DEP_2)
	s_or_b32 exec_lo, exec_lo, s16
	v_dual_mov_b32 v65, 0 :: v_dual_lshrrev_b32 v0, 16, v13
	v_mov_b32_e32 v64, 0
	s_mov_b32 s16, exec_lo
	v_and_b32_e32 v2, 0xff, v0
	s_delay_alu instid0(VALU_DEP_1)
	v_cmpx_ne_u16_e32 0, v2
	s_cbranch_execz .LBB349_74
; %bb.67:                               ;   in Loop: Header=BB349_15 Depth=1
	v_bfrev_b32_e32 v64, 1
	s_mov_b32 s17, exec_lo
	v_cmpx_ne_u16_e32 0x80, v2
	s_cbranch_execz .LBB349_73
; %bb.68:                               ;   in Loop: Header=BB349_15 Depth=1
	v_bfe_u32 v3, v13, 16, 7
	v_mov_b32_e32 v64, 0x7f800001
	s_mov_b32 s18, exec_lo
	s_delay_alu instid0(VALU_DEP_2)
	v_cmpx_ne_u32_e32 0x7f, v3
	s_cbranch_execz .LBB349_72
; %bb.69:                               ;   in Loop: Header=BB349_15 Depth=1
	v_dual_lshrrev_b32 v2, 3, v3 :: v_dual_bitop2_b32 v48, 7, v0 bitop3:0x40
	s_mov_b32 s19, exec_lo
	v_cmpx_gt_u32_e32 8, v3
; %bb.70:                               ;   in Loop: Header=BB349_15 Depth=1
	s_delay_alu instid0(VALU_DEP_2) | instskip(NEXT) | instid1(VALU_DEP_1)
	v_clz_i32_u32_e32 v2, v48
	v_min_u32_e32 v2, 32, v2
	s_delay_alu instid0(VALU_DEP_1) | instskip(NEXT) | instid1(VALU_DEP_1)
	v_subrev_nc_u32_e32 v3, 28, v2
	v_lshlrev_b64_e32 v[4:5], v3, v[48:49]
	s_delay_alu instid0(VALU_DEP_1)
	v_dual_sub_nc_u32 v2, 29, v2 :: v_dual_bitop2_b32 v48, 7, v4 bitop3:0x40
; %bb.71:                               ;   in Loop: Header=BB349_15 Depth=1
	s_or_b32 exec_lo, exec_lo, s19
	v_lshlrev_b32_e32 v0, 24, v0
	s_delay_alu instid0(VALU_DEP_2) | instskip(NEXT) | instid1(VALU_DEP_3)
	v_lshlrev_b32_e32 v3, 20, v48
	v_lshl_add_u32 v2, v2, 23, 0x3c000000
	s_delay_alu instid0(VALU_DEP_3) | instskip(NEXT) | instid1(VALU_DEP_1)
	v_and_b32_e32 v0, 0x80000000, v0
	v_or3_b32 v64, v3, v0, v2
.LBB349_72:                             ;   in Loop: Header=BB349_15 Depth=1
	s_or_b32 exec_lo, exec_lo, s18
.LBB349_73:                             ;   in Loop: Header=BB349_15 Depth=1
	s_delay_alu instid0(SALU_CYCLE_1)
	s_or_b32 exec_lo, exec_lo, s17
.LBB349_74:                             ;   in Loop: Header=BB349_15 Depth=1
	s_delay_alu instid0(SALU_CYCLE_1) | instskip(NEXT) | instid1(SALU_CYCLE_1)
	s_or_b32 exec_lo, exec_lo, s16
	s_mov_b32 s16, exec_lo
	v_cmpx_lt_u64_e64 s[8:9], v[12:13]
	s_cbranch_execz .LBB349_82
; %bb.75:                               ;   in Loop: Header=BB349_15 Depth=1
	v_lshrrev_b32_e32 v0, 24, v13
	v_bfrev_b32_e32 v65, 1
	s_mov_b32 s17, exec_lo
	s_delay_alu instid0(VALU_DEP_2)
	v_cmpx_ne_u32_e32 0x80, v0
	s_cbranch_execz .LBB349_81
; %bb.76:                               ;   in Loop: Header=BB349_15 Depth=1
	v_bfe_u32 v3, v13, 24, 7
	v_mov_b32_e32 v65, 0x7f800001
	s_mov_b32 s18, exec_lo
	s_delay_alu instid0(VALU_DEP_2)
	v_cmpx_ne_u32_e32 0x7f, v3
	s_cbranch_execz .LBB349_80
; %bb.77:                               ;   in Loop: Header=BB349_15 Depth=1
	v_dual_lshrrev_b32 v2, 3, v3 :: v_dual_bitop2_b32 v48, 7, v0 bitop3:0x40
	s_mov_b32 s19, exec_lo
	v_cmpx_gt_u32_e32 8, v3
; %bb.78:                               ;   in Loop: Header=BB349_15 Depth=1
	s_delay_alu instid0(VALU_DEP_2) | instskip(NEXT) | instid1(VALU_DEP_1)
	v_clz_i32_u32_e32 v2, v48
	v_min_u32_e32 v2, 32, v2
	s_delay_alu instid0(VALU_DEP_1) | instskip(NEXT) | instid1(VALU_DEP_1)
	v_subrev_nc_u32_e32 v3, 28, v2
	v_lshlrev_b64_e32 v[4:5], v3, v[48:49]
	s_delay_alu instid0(VALU_DEP_1)
	v_dual_sub_nc_u32 v2, 29, v2 :: v_dual_bitop2_b32 v48, 7, v4 bitop3:0x40
; %bb.79:                               ;   in Loop: Header=BB349_15 Depth=1
	s_or_b32 exec_lo, exec_lo, s19
	v_lshlrev_b32_e32 v0, 24, v0
	s_delay_alu instid0(VALU_DEP_2) | instskip(NEXT) | instid1(VALU_DEP_3)
	v_lshlrev_b32_e32 v3, 20, v48
	v_lshl_add_u32 v2, v2, 23, 0x3c000000
	s_delay_alu instid0(VALU_DEP_3) | instskip(NEXT) | instid1(VALU_DEP_1)
	v_and_b32_e32 v0, 0x80000000, v0
	v_or3_b32 v65, v3, v0, v2
.LBB349_80:                             ;   in Loop: Header=BB349_15 Depth=1
	s_or_b32 exec_lo, exec_lo, s18
.LBB349_81:                             ;   in Loop: Header=BB349_15 Depth=1
	s_delay_alu instid0(SALU_CYCLE_1)
	s_or_b32 exec_lo, exec_lo, s17
.LBB349_82:                             ;   in Loop: Header=BB349_15 Depth=1
	s_delay_alu instid0(SALU_CYCLE_1)
	s_or_b32 exec_lo, exec_lo, s16
	flat_load_b64 v[12:13], v[70:71] offset:8
	v_dual_mov_b32 v67, 0 :: v_dual_mov_b32 v66, 0
	s_mov_b32 s16, exec_lo
	s_wait_loadcnt_dscnt 0x0
	v_and_b32_e32 v0, 0xff, v12
	s_wait_xcnt 0x0
	s_delay_alu instid0(VALU_DEP_1)
	v_cmpx_ne_u16_e32 0, v0
	s_cbranch_execz .LBB349_90
; %bb.83:                               ;   in Loop: Header=BB349_15 Depth=1
	v_bfrev_b32_e32 v66, 1
	s_mov_b32 s17, exec_lo
	v_cmpx_ne_u16_e32 0x80, v0
	s_cbranch_execz .LBB349_89
; %bb.84:                               ;   in Loop: Header=BB349_15 Depth=1
	v_and_b32_e32 v2, 0x7f, v12
	v_mov_b32_e32 v66, 0x7f800001
	s_mov_b32 s18, exec_lo
	s_delay_alu instid0(VALU_DEP_2)
	v_cmpx_ne_u32_e32 0x7f, v2
	s_cbranch_execz .LBB349_88
; %bb.85:                               ;   in Loop: Header=BB349_15 Depth=1
	v_mov_b64_e32 v[14:15], v[12:13]
	v_lshrrev_b32_e32 v0, 3, v2
	s_mov_b32 s19, exec_lo
	v_cmpx_gt_u32_e32 8, v2
; %bb.86:                               ;   in Loop: Header=BB349_15 Depth=1
	v_and_b32_e32 v0, 7, v12
	s_delay_alu instid0(VALU_DEP_1) | instskip(NEXT) | instid1(VALU_DEP_1)
	v_clz_i32_u32_e32 v0, v0
	v_min_u32_e32 v0, 32, v0
	s_delay_alu instid0(VALU_DEP_1) | instskip(SKIP_1) | instid1(VALU_DEP_2)
	v_subrev_nc_u32_e32 v2, 28, v0
	v_sub_nc_u32_e32 v0, 29, v0
	v_lshlrev_b64_e32 v[14:15], v2, v[12:13]
; %bb.87:                               ;   in Loop: Header=BB349_15 Depth=1
	s_or_b32 exec_lo, exec_lo, s19
	s_delay_alu instid0(VALU_DEP_1) | instskip(NEXT) | instid1(VALU_DEP_3)
	v_dual_lshlrev_b32 v2, 20, v14 :: v_dual_lshlrev_b32 v3, 24, v12
	v_lshl_add_u32 v0, v0, 23, 0x3c000000
	s_delay_alu instid0(VALU_DEP_2) | instskip(NEXT) | instid1(VALU_DEP_3)
	v_and_b32_e32 v2, 0x700000, v2
	v_and_b32_e32 v3, 0x80000000, v3
	s_delay_alu instid0(VALU_DEP_1)
	v_or3_b32 v66, v2, v3, v0
.LBB349_88:                             ;   in Loop: Header=BB349_15 Depth=1
	s_or_b32 exec_lo, exec_lo, s18
.LBB349_89:                             ;   in Loop: Header=BB349_15 Depth=1
	s_delay_alu instid0(SALU_CYCLE_1)
	s_or_b32 exec_lo, exec_lo, s17
.LBB349_90:                             ;   in Loop: Header=BB349_15 Depth=1
	s_delay_alu instid0(SALU_CYCLE_1) | instskip(SKIP_2) | instid1(VALU_DEP_1)
	s_or_b32 exec_lo, exec_lo, s16
	v_lshrrev_b16 v0, 8, v12
	s_mov_b32 s16, exec_lo
	v_cmpx_ne_u16_e32 0, v0
	s_cbranch_execz .LBB349_98
; %bb.91:                               ;   in Loop: Header=BB349_15 Depth=1
	v_bfrev_b32_e32 v67, 1
	s_mov_b32 s17, exec_lo
	v_cmpx_ne_u16_e32 0x80, v0
	s_cbranch_execz .LBB349_97
; %bb.92:                               ;   in Loop: Header=BB349_15 Depth=1
	v_and_b32_e32 v0, 0xffff, v0
	v_mov_b32_e32 v67, 0x7f800001
	s_mov_b32 s18, exec_lo
	s_delay_alu instid0(VALU_DEP_2) | instskip(NEXT) | instid1(VALU_DEP_1)
	v_and_b32_e32 v2, 0x7f, v0
	v_cmpx_ne_u32_e32 0x7f, v2
	s_cbranch_execz .LBB349_96
; %bb.93:                               ;   in Loop: Header=BB349_15 Depth=1
	v_dual_lshrrev_b32 v0, 3, v2 :: v_dual_bitop2_b32 v48, 7, v0 bitop3:0x40
	s_mov_b32 s19, exec_lo
	v_cmpx_gt_u32_e32 8, v2
; %bb.94:                               ;   in Loop: Header=BB349_15 Depth=1
	s_delay_alu instid0(VALU_DEP_2) | instskip(NEXT) | instid1(VALU_DEP_1)
	v_clz_i32_u32_e32 v0, v48
	v_min_u32_e32 v0, 32, v0
	s_delay_alu instid0(VALU_DEP_1) | instskip(NEXT) | instid1(VALU_DEP_1)
	v_subrev_nc_u32_e32 v2, 28, v0
	v_lshlrev_b64_e32 v[2:3], v2, v[48:49]
	s_delay_alu instid0(VALU_DEP_1)
	v_dual_sub_nc_u32 v0, 29, v0 :: v_dual_bitop2_b32 v48, 7, v2 bitop3:0x40
; %bb.95:                               ;   in Loop: Header=BB349_15 Depth=1
	s_or_b32 exec_lo, exec_lo, s19
	v_lshlrev_b32_e32 v2, 16, v12
	s_delay_alu instid0(VALU_DEP_2) | instskip(NEXT) | instid1(VALU_DEP_3)
	v_lshlrev_b32_e32 v3, 20, v48
	v_lshl_add_u32 v0, v0, 23, 0x3c000000
	s_delay_alu instid0(VALU_DEP_3) | instskip(NEXT) | instid1(VALU_DEP_1)
	v_and_b32_e32 v2, 0x80000000, v2
	v_or3_b32 v67, v3, v2, v0
.LBB349_96:                             ;   in Loop: Header=BB349_15 Depth=1
	s_or_b32 exec_lo, exec_lo, s18
.LBB349_97:                             ;   in Loop: Header=BB349_15 Depth=1
	s_delay_alu instid0(SALU_CYCLE_1)
	s_or_b32 exec_lo, exec_lo, s17
.LBB349_98:                             ;   in Loop: Header=BB349_15 Depth=1
	s_delay_alu instid0(SALU_CYCLE_1) | instskip(SKIP_3) | instid1(VALU_DEP_2)
	s_or_b32 exec_lo, exec_lo, s16
	v_dual_mov_b32 v69, 0 :: v_dual_lshrrev_b32 v0, 16, v12
	v_mov_b32_e32 v68, 0
	s_mov_b32 s16, exec_lo
	v_and_b32_e32 v2, 0xff, v0
	s_delay_alu instid0(VALU_DEP_1)
	v_cmpx_ne_u16_e32 0, v2
	s_cbranch_execz .LBB349_106
; %bb.99:                               ;   in Loop: Header=BB349_15 Depth=1
	v_bfrev_b32_e32 v68, 1
	s_mov_b32 s17, exec_lo
	v_cmpx_ne_u16_e32 0x80, v2
	s_cbranch_execz .LBB349_105
; %bb.100:                              ;   in Loop: Header=BB349_15 Depth=1
	v_bfe_u32 v3, v12, 16, 7
	v_mov_b32_e32 v68, 0x7f800001
	s_mov_b32 s18, exec_lo
	s_delay_alu instid0(VALU_DEP_2)
	v_cmpx_ne_u32_e32 0x7f, v3
	s_cbranch_execz .LBB349_104
; %bb.101:                              ;   in Loop: Header=BB349_15 Depth=1
	v_dual_lshrrev_b32 v2, 3, v3 :: v_dual_bitop2_b32 v48, 7, v0 bitop3:0x40
	s_mov_b32 s19, exec_lo
	v_cmpx_gt_u32_e32 8, v3
; %bb.102:                              ;   in Loop: Header=BB349_15 Depth=1
	s_delay_alu instid0(VALU_DEP_2) | instskip(NEXT) | instid1(VALU_DEP_1)
	v_clz_i32_u32_e32 v2, v48
	v_min_u32_e32 v2, 32, v2
	s_delay_alu instid0(VALU_DEP_1) | instskip(NEXT) | instid1(VALU_DEP_1)
	v_subrev_nc_u32_e32 v3, 28, v2
	v_lshlrev_b64_e32 v[4:5], v3, v[48:49]
	s_delay_alu instid0(VALU_DEP_1)
	v_dual_sub_nc_u32 v2, 29, v2 :: v_dual_bitop2_b32 v48, 7, v4 bitop3:0x40
; %bb.103:                              ;   in Loop: Header=BB349_15 Depth=1
	s_or_b32 exec_lo, exec_lo, s19
	v_lshlrev_b32_e32 v0, 24, v0
	s_delay_alu instid0(VALU_DEP_2) | instskip(NEXT) | instid1(VALU_DEP_3)
	v_lshlrev_b32_e32 v3, 20, v48
	v_lshl_add_u32 v2, v2, 23, 0x3c000000
	s_delay_alu instid0(VALU_DEP_3) | instskip(NEXT) | instid1(VALU_DEP_1)
	v_and_b32_e32 v0, 0x80000000, v0
	v_or3_b32 v68, v3, v0, v2
.LBB349_104:                            ;   in Loop: Header=BB349_15 Depth=1
	s_or_b32 exec_lo, exec_lo, s18
.LBB349_105:                            ;   in Loop: Header=BB349_15 Depth=1
	s_delay_alu instid0(SALU_CYCLE_1)
	s_or_b32 exec_lo, exec_lo, s17
.LBB349_106:                            ;   in Loop: Header=BB349_15 Depth=1
	s_delay_alu instid0(SALU_CYCLE_1) | instskip(NEXT) | instid1(SALU_CYCLE_1)
	s_or_b32 exec_lo, exec_lo, s16
	s_mov_b32 s16, exec_lo
	v_cmpx_lt_u32_e32 0xffffff, v12
	s_cbranch_execz .LBB349_114
; %bb.107:                              ;   in Loop: Header=BB349_15 Depth=1
	v_lshrrev_b32_e32 v0, 24, v12
	v_bfrev_b32_e32 v69, 1
	s_mov_b32 s17, exec_lo
	s_delay_alu instid0(VALU_DEP_2)
	v_cmpx_ne_u32_e32 0x80, v0
	s_cbranch_execz .LBB349_113
; %bb.108:                              ;   in Loop: Header=BB349_15 Depth=1
	v_bfe_u32 v3, v12, 24, 7
	v_mov_b32_e32 v69, 0x7f800001
	s_mov_b32 s18, exec_lo
	s_delay_alu instid0(VALU_DEP_2)
	v_cmpx_ne_u32_e32 0x7f, v3
	s_cbranch_execz .LBB349_112
; %bb.109:                              ;   in Loop: Header=BB349_15 Depth=1
	v_dual_lshrrev_b32 v2, 3, v3 :: v_dual_bitop2_b32 v48, 7, v0 bitop3:0x40
	s_mov_b32 s19, exec_lo
	v_cmpx_gt_u32_e32 8, v3
; %bb.110:                              ;   in Loop: Header=BB349_15 Depth=1
	s_delay_alu instid0(VALU_DEP_2) | instskip(NEXT) | instid1(VALU_DEP_1)
	v_clz_i32_u32_e32 v2, v48
	v_min_u32_e32 v2, 32, v2
	s_delay_alu instid0(VALU_DEP_1) | instskip(NEXT) | instid1(VALU_DEP_1)
	v_subrev_nc_u32_e32 v3, 28, v2
	v_lshlrev_b64_e32 v[4:5], v3, v[48:49]
	s_delay_alu instid0(VALU_DEP_1)
	v_dual_sub_nc_u32 v2, 29, v2 :: v_dual_bitop2_b32 v48, 7, v4 bitop3:0x40
; %bb.111:                              ;   in Loop: Header=BB349_15 Depth=1
	s_or_b32 exec_lo, exec_lo, s19
	v_lshlrev_b32_e32 v0, 24, v0
	s_delay_alu instid0(VALU_DEP_2) | instskip(NEXT) | instid1(VALU_DEP_3)
	v_lshlrev_b32_e32 v3, 20, v48
	v_lshl_add_u32 v2, v2, 23, 0x3c000000
	s_delay_alu instid0(VALU_DEP_3) | instskip(NEXT) | instid1(VALU_DEP_1)
	v_and_b32_e32 v0, 0x80000000, v0
	v_or3_b32 v69, v3, v0, v2
.LBB349_112:                            ;   in Loop: Header=BB349_15 Depth=1
	s_or_b32 exec_lo, exec_lo, s18
.LBB349_113:                            ;   in Loop: Header=BB349_15 Depth=1
	s_delay_alu instid0(SALU_CYCLE_1)
	s_or_b32 exec_lo, exec_lo, s17
.LBB349_114:                            ;   in Loop: Header=BB349_15 Depth=1
	s_delay_alu instid0(SALU_CYCLE_1) | instskip(SKIP_4) | instid1(VALU_DEP_3)
	s_or_b32 exec_lo, exec_lo, s16
	v_and_b32_e32 v0, 0xff, v13
	v_dual_mov_b32 v48, v13 :: v_dual_mov_b32 v81, 0
	v_mov_b32_e32 v80, 0
	s_mov_b32 s16, exec_lo
	v_cmpx_ne_u16_e32 0, v0
	s_cbranch_execz .LBB349_122
; %bb.115:                              ;   in Loop: Header=BB349_15 Depth=1
	v_bfrev_b32_e32 v80, 1
	s_mov_b32 s17, exec_lo
	v_cmpx_ne_u16_e32 0x80, v0
	s_cbranch_execz .LBB349_121
; %bb.116:                              ;   in Loop: Header=BB349_15 Depth=1
	v_and_b32_e32 v2, 0x7f, v13
	v_mov_b32_e32 v80, 0x7f800001
	s_mov_b32 s18, exec_lo
	s_delay_alu instid0(VALU_DEP_2)
	v_cmpx_ne_u32_e32 0x7f, v2
	s_cbranch_execz .LBB349_120
; %bb.117:                              ;   in Loop: Header=BB349_15 Depth=1
	v_mov_b64_e32 v[14:15], v[48:49]
	v_lshrrev_b32_e32 v0, 3, v2
	s_mov_b32 s19, exec_lo
	v_cmpx_gt_u32_e32 8, v2
; %bb.118:                              ;   in Loop: Header=BB349_15 Depth=1
	v_and_b32_e32 v0, 7, v13
	s_delay_alu instid0(VALU_DEP_1) | instskip(NEXT) | instid1(VALU_DEP_1)
	v_clz_i32_u32_e32 v0, v0
	v_min_u32_e32 v0, 32, v0
	s_delay_alu instid0(VALU_DEP_1) | instskip(SKIP_1) | instid1(VALU_DEP_2)
	v_subrev_nc_u32_e32 v2, 28, v0
	v_sub_nc_u32_e32 v0, 29, v0
	v_lshlrev_b64_e32 v[14:15], v2, v[48:49]
; %bb.119:                              ;   in Loop: Header=BB349_15 Depth=1
	s_or_b32 exec_lo, exec_lo, s19
	s_delay_alu instid0(VALU_DEP_1) | instskip(NEXT) | instid1(VALU_DEP_3)
	v_dual_lshlrev_b32 v2, 20, v14 :: v_dual_lshlrev_b32 v3, 24, v48
	v_lshl_add_u32 v0, v0, 23, 0x3c000000
	s_delay_alu instid0(VALU_DEP_2) | instskip(NEXT) | instid1(VALU_DEP_3)
	v_and_b32_e32 v2, 0x700000, v2
	v_and_b32_e32 v3, 0x80000000, v3
	s_delay_alu instid0(VALU_DEP_1)
	v_or3_b32 v80, v2, v3, v0
.LBB349_120:                            ;   in Loop: Header=BB349_15 Depth=1
	s_or_b32 exec_lo, exec_lo, s18
.LBB349_121:                            ;   in Loop: Header=BB349_15 Depth=1
	s_delay_alu instid0(SALU_CYCLE_1)
	s_or_b32 exec_lo, exec_lo, s17
.LBB349_122:                            ;   in Loop: Header=BB349_15 Depth=1
	s_delay_alu instid0(SALU_CYCLE_1) | instskip(SKIP_2) | instid1(VALU_DEP_1)
	s_or_b32 exec_lo, exec_lo, s16
	v_lshrrev_b16 v0, 8, v48
	s_mov_b32 s16, exec_lo
	v_cmpx_ne_u16_e32 0, v0
	s_cbranch_execz .LBB349_130
; %bb.123:                              ;   in Loop: Header=BB349_15 Depth=1
	v_bfrev_b32_e32 v81, 1
	s_mov_b32 s17, exec_lo
	v_cmpx_ne_u16_e32 0x80, v0
	s_cbranch_execz .LBB349_129
; %bb.124:                              ;   in Loop: Header=BB349_15 Depth=1
	v_and_b32_e32 v0, 0xffff, v0
	v_mov_b32_e32 v81, 0x7f800001
	s_mov_b32 s18, exec_lo
	s_delay_alu instid0(VALU_DEP_2) | instskip(NEXT) | instid1(VALU_DEP_1)
	v_and_b32_e32 v2, 0x7f, v0
	v_cmpx_ne_u32_e32 0x7f, v2
	s_cbranch_execz .LBB349_128
; %bb.125:                              ;   in Loop: Header=BB349_15 Depth=1
	v_dual_mov_b32 v15, v49 :: v_dual_bitop2_b32 v14, 7, v0 bitop3:0x40
	v_lshrrev_b32_e32 v0, 3, v2
	s_mov_b32 s19, exec_lo
	v_cmpx_gt_u32_e32 8, v2
; %bb.126:                              ;   in Loop: Header=BB349_15 Depth=1
	s_delay_alu instid0(VALU_DEP_3) | instskip(NEXT) | instid1(VALU_DEP_1)
	v_clz_i32_u32_e32 v0, v14
	v_min_u32_e32 v0, 32, v0
	s_delay_alu instid0(VALU_DEP_1) | instskip(NEXT) | instid1(VALU_DEP_1)
	v_subrev_nc_u32_e32 v2, 28, v0
	v_lshlrev_b64_e32 v[2:3], v2, v[14:15]
	s_delay_alu instid0(VALU_DEP_1)
	v_dual_sub_nc_u32 v0, 29, v0 :: v_dual_bitop2_b32 v14, 7, v2 bitop3:0x40
; %bb.127:                              ;   in Loop: Header=BB349_15 Depth=1
	s_or_b32 exec_lo, exec_lo, s19
	s_delay_alu instid0(VALU_DEP_1) | instskip(NEXT) | instid1(VALU_DEP_2)
	v_dual_lshlrev_b32 v2, 16, v48 :: v_dual_lshlrev_b32 v3, 20, v14
	v_lshl_add_u32 v0, v0, 23, 0x3c000000
	s_delay_alu instid0(VALU_DEP_2) | instskip(NEXT) | instid1(VALU_DEP_1)
	v_and_b32_e32 v2, 0x80000000, v2
	v_or3_b32 v81, v3, v2, v0
.LBB349_128:                            ;   in Loop: Header=BB349_15 Depth=1
	s_or_b32 exec_lo, exec_lo, s18
.LBB349_129:                            ;   in Loop: Header=BB349_15 Depth=1
	s_delay_alu instid0(SALU_CYCLE_1)
	s_or_b32 exec_lo, exec_lo, s17
.LBB349_130:                            ;   in Loop: Header=BB349_15 Depth=1
	s_delay_alu instid0(SALU_CYCLE_1) | instskip(SKIP_3) | instid1(VALU_DEP_2)
	s_or_b32 exec_lo, exec_lo, s16
	v_dual_mov_b32 v83, 0 :: v_dual_lshrrev_b32 v0, 16, v13
	v_mov_b32_e32 v82, 0
	s_mov_b32 s16, exec_lo
	v_and_b32_e32 v2, 0xff, v0
	s_delay_alu instid0(VALU_DEP_1)
	v_cmpx_ne_u16_e32 0, v2
	s_cbranch_execz .LBB349_138
; %bb.131:                              ;   in Loop: Header=BB349_15 Depth=1
	v_bfrev_b32_e32 v82, 1
	s_mov_b32 s17, exec_lo
	v_cmpx_ne_u16_e32 0x80, v2
	s_cbranch_execz .LBB349_137
; %bb.132:                              ;   in Loop: Header=BB349_15 Depth=1
	v_bfe_u32 v3, v13, 16, 7
	v_mov_b32_e32 v82, 0x7f800001
	s_mov_b32 s18, exec_lo
	s_delay_alu instid0(VALU_DEP_2)
	v_cmpx_ne_u32_e32 0x7f, v3
	s_cbranch_execz .LBB349_136
; %bb.133:                              ;   in Loop: Header=BB349_15 Depth=1
	v_dual_lshrrev_b32 v2, 3, v3 :: v_dual_bitop2_b32 v48, 7, v0 bitop3:0x40
	s_mov_b32 s19, exec_lo
	v_cmpx_gt_u32_e32 8, v3
; %bb.134:                              ;   in Loop: Header=BB349_15 Depth=1
	s_delay_alu instid0(VALU_DEP_2) | instskip(NEXT) | instid1(VALU_DEP_1)
	v_clz_i32_u32_e32 v2, v48
	v_min_u32_e32 v2, 32, v2
	s_delay_alu instid0(VALU_DEP_1) | instskip(NEXT) | instid1(VALU_DEP_1)
	v_subrev_nc_u32_e32 v3, 28, v2
	v_lshlrev_b64_e32 v[4:5], v3, v[48:49]
	s_delay_alu instid0(VALU_DEP_1)
	v_dual_sub_nc_u32 v2, 29, v2 :: v_dual_bitop2_b32 v48, 7, v4 bitop3:0x40
; %bb.135:                              ;   in Loop: Header=BB349_15 Depth=1
	s_or_b32 exec_lo, exec_lo, s19
	v_lshlrev_b32_e32 v0, 24, v0
	s_delay_alu instid0(VALU_DEP_2) | instskip(NEXT) | instid1(VALU_DEP_3)
	v_lshlrev_b32_e32 v3, 20, v48
	v_lshl_add_u32 v2, v2, 23, 0x3c000000
	s_delay_alu instid0(VALU_DEP_3) | instskip(NEXT) | instid1(VALU_DEP_1)
	v_and_b32_e32 v0, 0x80000000, v0
	v_or3_b32 v82, v3, v0, v2
.LBB349_136:                            ;   in Loop: Header=BB349_15 Depth=1
	s_or_b32 exec_lo, exec_lo, s18
.LBB349_137:                            ;   in Loop: Header=BB349_15 Depth=1
	s_delay_alu instid0(SALU_CYCLE_1)
	s_or_b32 exec_lo, exec_lo, s17
.LBB349_138:                            ;   in Loop: Header=BB349_15 Depth=1
	s_delay_alu instid0(SALU_CYCLE_1) | instskip(NEXT) | instid1(SALU_CYCLE_1)
	s_or_b32 exec_lo, exec_lo, s16
	s_mov_b32 s16, exec_lo
	v_cmpx_lt_u64_e64 s[8:9], v[12:13]
	s_cbranch_execz .LBB349_146
; %bb.139:                              ;   in Loop: Header=BB349_15 Depth=1
	v_lshrrev_b32_e32 v0, 24, v13
	v_bfrev_b32_e32 v83, 1
	s_mov_b32 s17, exec_lo
	s_delay_alu instid0(VALU_DEP_2)
	v_cmpx_ne_u32_e32 0x80, v0
	s_cbranch_execz .LBB349_145
; %bb.140:                              ;   in Loop: Header=BB349_15 Depth=1
	v_bfe_u32 v3, v13, 24, 7
	v_mov_b32_e32 v83, 0x7f800001
	s_mov_b32 s18, exec_lo
	s_delay_alu instid0(VALU_DEP_2)
	v_cmpx_ne_u32_e32 0x7f, v3
	s_cbranch_execz .LBB349_144
; %bb.141:                              ;   in Loop: Header=BB349_15 Depth=1
	v_dual_lshrrev_b32 v2, 3, v3 :: v_dual_bitop2_b32 v48, 7, v0 bitop3:0x40
	s_mov_b32 s19, exec_lo
	v_cmpx_gt_u32_e32 8, v3
; %bb.142:                              ;   in Loop: Header=BB349_15 Depth=1
	s_delay_alu instid0(VALU_DEP_2) | instskip(NEXT) | instid1(VALU_DEP_1)
	v_clz_i32_u32_e32 v2, v48
	v_min_u32_e32 v2, 32, v2
	s_delay_alu instid0(VALU_DEP_1) | instskip(NEXT) | instid1(VALU_DEP_1)
	v_subrev_nc_u32_e32 v3, 28, v2
	v_lshlrev_b64_e32 v[4:5], v3, v[48:49]
	s_delay_alu instid0(VALU_DEP_1)
	v_dual_sub_nc_u32 v2, 29, v2 :: v_dual_bitop2_b32 v48, 7, v4 bitop3:0x40
; %bb.143:                              ;   in Loop: Header=BB349_15 Depth=1
	s_or_b32 exec_lo, exec_lo, s19
	v_lshlrev_b32_e32 v0, 24, v0
	s_delay_alu instid0(VALU_DEP_2) | instskip(NEXT) | instid1(VALU_DEP_3)
	v_lshlrev_b32_e32 v3, 20, v48
	v_lshl_add_u32 v2, v2, 23, 0x3c000000
	s_delay_alu instid0(VALU_DEP_3) | instskip(NEXT) | instid1(VALU_DEP_1)
	v_and_b32_e32 v0, 0x80000000, v0
	v_or3_b32 v83, v3, v0, v2
.LBB349_144:                            ;   in Loop: Header=BB349_15 Depth=1
	s_or_b32 exec_lo, exec_lo, s18
.LBB349_145:                            ;   in Loop: Header=BB349_15 Depth=1
	s_delay_alu instid0(SALU_CYCLE_1)
	s_or_b32 exec_lo, exec_lo, s17
.LBB349_146:                            ;   in Loop: Header=BB349_15 Depth=1
	s_delay_alu instid0(SALU_CYCLE_1)
	s_or_b32 exec_lo, exec_lo, s16
	flat_load_b64 v[12:13], v[70:71] offset:512
	v_dual_mov_b32 v85, 0 :: v_dual_mov_b32 v84, 0
	s_mov_b32 s16, exec_lo
	s_wait_loadcnt_dscnt 0x0
	v_and_b32_e32 v0, 0xff, v12
	s_wait_xcnt 0x0
	s_delay_alu instid0(VALU_DEP_1)
	v_cmpx_ne_u16_e32 0, v0
	s_cbranch_execz .LBB349_154
; %bb.147:                              ;   in Loop: Header=BB349_15 Depth=1
	v_bfrev_b32_e32 v84, 1
	s_mov_b32 s17, exec_lo
	v_cmpx_ne_u16_e32 0x80, v0
	s_cbranch_execz .LBB349_153
; %bb.148:                              ;   in Loop: Header=BB349_15 Depth=1
	v_and_b32_e32 v2, 0x7f, v12
	v_mov_b32_e32 v84, 0x7f800001
	s_mov_b32 s18, exec_lo
	s_delay_alu instid0(VALU_DEP_2)
	v_cmpx_ne_u32_e32 0x7f, v2
	s_cbranch_execz .LBB349_152
; %bb.149:                              ;   in Loop: Header=BB349_15 Depth=1
	v_mov_b64_e32 v[14:15], v[12:13]
	v_lshrrev_b32_e32 v0, 3, v2
	s_mov_b32 s19, exec_lo
	v_cmpx_gt_u32_e32 8, v2
; %bb.150:                              ;   in Loop: Header=BB349_15 Depth=1
	v_and_b32_e32 v0, 7, v12
	s_delay_alu instid0(VALU_DEP_1) | instskip(NEXT) | instid1(VALU_DEP_1)
	v_clz_i32_u32_e32 v0, v0
	v_min_u32_e32 v0, 32, v0
	s_delay_alu instid0(VALU_DEP_1) | instskip(SKIP_1) | instid1(VALU_DEP_2)
	v_subrev_nc_u32_e32 v2, 28, v0
	v_sub_nc_u32_e32 v0, 29, v0
	v_lshlrev_b64_e32 v[14:15], v2, v[12:13]
; %bb.151:                              ;   in Loop: Header=BB349_15 Depth=1
	s_or_b32 exec_lo, exec_lo, s19
	s_delay_alu instid0(VALU_DEP_1) | instskip(NEXT) | instid1(VALU_DEP_3)
	v_dual_lshlrev_b32 v2, 20, v14 :: v_dual_lshlrev_b32 v3, 24, v12
	v_lshl_add_u32 v0, v0, 23, 0x3c000000
	s_delay_alu instid0(VALU_DEP_2) | instskip(NEXT) | instid1(VALU_DEP_3)
	v_and_b32_e32 v2, 0x700000, v2
	v_and_b32_e32 v3, 0x80000000, v3
	s_delay_alu instid0(VALU_DEP_1)
	v_or3_b32 v84, v2, v3, v0
.LBB349_152:                            ;   in Loop: Header=BB349_15 Depth=1
	s_or_b32 exec_lo, exec_lo, s18
.LBB349_153:                            ;   in Loop: Header=BB349_15 Depth=1
	s_delay_alu instid0(SALU_CYCLE_1)
	s_or_b32 exec_lo, exec_lo, s17
.LBB349_154:                            ;   in Loop: Header=BB349_15 Depth=1
	s_delay_alu instid0(SALU_CYCLE_1) | instskip(SKIP_2) | instid1(VALU_DEP_1)
	s_or_b32 exec_lo, exec_lo, s16
	v_lshrrev_b16 v0, 8, v12
	s_mov_b32 s16, exec_lo
	v_cmpx_ne_u16_e32 0, v0
	s_cbranch_execz .LBB349_162
; %bb.155:                              ;   in Loop: Header=BB349_15 Depth=1
	v_bfrev_b32_e32 v85, 1
	s_mov_b32 s17, exec_lo
	v_cmpx_ne_u16_e32 0x80, v0
	s_cbranch_execz .LBB349_161
; %bb.156:                              ;   in Loop: Header=BB349_15 Depth=1
	v_and_b32_e32 v0, 0xffff, v0
	v_mov_b32_e32 v85, 0x7f800001
	s_mov_b32 s18, exec_lo
	s_delay_alu instid0(VALU_DEP_2) | instskip(NEXT) | instid1(VALU_DEP_1)
	v_and_b32_e32 v2, 0x7f, v0
	v_cmpx_ne_u32_e32 0x7f, v2
	s_cbranch_execz .LBB349_160
; %bb.157:                              ;   in Loop: Header=BB349_15 Depth=1
	v_dual_lshrrev_b32 v0, 3, v2 :: v_dual_bitop2_b32 v48, 7, v0 bitop3:0x40
	s_mov_b32 s19, exec_lo
	v_cmpx_gt_u32_e32 8, v2
; %bb.158:                              ;   in Loop: Header=BB349_15 Depth=1
	s_delay_alu instid0(VALU_DEP_2) | instskip(NEXT) | instid1(VALU_DEP_1)
	v_clz_i32_u32_e32 v0, v48
	v_min_u32_e32 v0, 32, v0
	s_delay_alu instid0(VALU_DEP_1) | instskip(NEXT) | instid1(VALU_DEP_1)
	v_subrev_nc_u32_e32 v2, 28, v0
	v_lshlrev_b64_e32 v[2:3], v2, v[48:49]
	s_delay_alu instid0(VALU_DEP_1)
	v_dual_sub_nc_u32 v0, 29, v0 :: v_dual_bitop2_b32 v48, 7, v2 bitop3:0x40
; %bb.159:                              ;   in Loop: Header=BB349_15 Depth=1
	s_or_b32 exec_lo, exec_lo, s19
	v_lshlrev_b32_e32 v2, 16, v12
	s_delay_alu instid0(VALU_DEP_2) | instskip(NEXT) | instid1(VALU_DEP_3)
	v_lshlrev_b32_e32 v3, 20, v48
	v_lshl_add_u32 v0, v0, 23, 0x3c000000
	s_delay_alu instid0(VALU_DEP_3) | instskip(NEXT) | instid1(VALU_DEP_1)
	v_and_b32_e32 v2, 0x80000000, v2
	v_or3_b32 v85, v3, v2, v0
.LBB349_160:                            ;   in Loop: Header=BB349_15 Depth=1
	s_or_b32 exec_lo, exec_lo, s18
.LBB349_161:                            ;   in Loop: Header=BB349_15 Depth=1
	s_delay_alu instid0(SALU_CYCLE_1)
	s_or_b32 exec_lo, exec_lo, s17
.LBB349_162:                            ;   in Loop: Header=BB349_15 Depth=1
	s_delay_alu instid0(SALU_CYCLE_1) | instskip(SKIP_3) | instid1(VALU_DEP_2)
	s_or_b32 exec_lo, exec_lo, s16
	v_dual_mov_b32 v87, 0 :: v_dual_lshrrev_b32 v0, 16, v12
	v_mov_b32_e32 v86, 0
	s_mov_b32 s16, exec_lo
	v_and_b32_e32 v2, 0xff, v0
	s_delay_alu instid0(VALU_DEP_1)
	v_cmpx_ne_u16_e32 0, v2
	s_cbranch_execz .LBB349_170
; %bb.163:                              ;   in Loop: Header=BB349_15 Depth=1
	v_bfrev_b32_e32 v86, 1
	s_mov_b32 s17, exec_lo
	v_cmpx_ne_u16_e32 0x80, v2
	s_cbranch_execz .LBB349_169
; %bb.164:                              ;   in Loop: Header=BB349_15 Depth=1
	v_bfe_u32 v3, v12, 16, 7
	v_mov_b32_e32 v86, 0x7f800001
	s_mov_b32 s18, exec_lo
	s_delay_alu instid0(VALU_DEP_2)
	v_cmpx_ne_u32_e32 0x7f, v3
	s_cbranch_execz .LBB349_168
; %bb.165:                              ;   in Loop: Header=BB349_15 Depth=1
	v_dual_lshrrev_b32 v2, 3, v3 :: v_dual_bitop2_b32 v48, 7, v0 bitop3:0x40
	s_mov_b32 s19, exec_lo
	v_cmpx_gt_u32_e32 8, v3
; %bb.166:                              ;   in Loop: Header=BB349_15 Depth=1
	s_delay_alu instid0(VALU_DEP_2) | instskip(NEXT) | instid1(VALU_DEP_1)
	v_clz_i32_u32_e32 v2, v48
	v_min_u32_e32 v2, 32, v2
	s_delay_alu instid0(VALU_DEP_1) | instskip(NEXT) | instid1(VALU_DEP_1)
	v_subrev_nc_u32_e32 v3, 28, v2
	v_lshlrev_b64_e32 v[4:5], v3, v[48:49]
	s_delay_alu instid0(VALU_DEP_1)
	v_dual_sub_nc_u32 v2, 29, v2 :: v_dual_bitop2_b32 v48, 7, v4 bitop3:0x40
; %bb.167:                              ;   in Loop: Header=BB349_15 Depth=1
	s_or_b32 exec_lo, exec_lo, s19
	v_lshlrev_b32_e32 v0, 24, v0
	s_delay_alu instid0(VALU_DEP_2) | instskip(NEXT) | instid1(VALU_DEP_3)
	v_lshlrev_b32_e32 v3, 20, v48
	v_lshl_add_u32 v2, v2, 23, 0x3c000000
	s_delay_alu instid0(VALU_DEP_3) | instskip(NEXT) | instid1(VALU_DEP_1)
	v_and_b32_e32 v0, 0x80000000, v0
	v_or3_b32 v86, v3, v0, v2
.LBB349_168:                            ;   in Loop: Header=BB349_15 Depth=1
	s_or_b32 exec_lo, exec_lo, s18
.LBB349_169:                            ;   in Loop: Header=BB349_15 Depth=1
	s_delay_alu instid0(SALU_CYCLE_1)
	s_or_b32 exec_lo, exec_lo, s17
.LBB349_170:                            ;   in Loop: Header=BB349_15 Depth=1
	s_delay_alu instid0(SALU_CYCLE_1) | instskip(NEXT) | instid1(SALU_CYCLE_1)
	s_or_b32 exec_lo, exec_lo, s16
	s_mov_b32 s16, exec_lo
	v_cmpx_lt_u32_e32 0xffffff, v12
	s_cbranch_execz .LBB349_178
; %bb.171:                              ;   in Loop: Header=BB349_15 Depth=1
	v_lshrrev_b32_e32 v0, 24, v12
	v_bfrev_b32_e32 v87, 1
	s_mov_b32 s17, exec_lo
	s_delay_alu instid0(VALU_DEP_2)
	v_cmpx_ne_u32_e32 0x80, v0
	s_cbranch_execz .LBB349_177
; %bb.172:                              ;   in Loop: Header=BB349_15 Depth=1
	v_bfe_u32 v3, v12, 24, 7
	v_mov_b32_e32 v87, 0x7f800001
	s_mov_b32 s18, exec_lo
	s_delay_alu instid0(VALU_DEP_2)
	v_cmpx_ne_u32_e32 0x7f, v3
	s_cbranch_execz .LBB349_176
; %bb.173:                              ;   in Loop: Header=BB349_15 Depth=1
	v_dual_lshrrev_b32 v2, 3, v3 :: v_dual_bitop2_b32 v48, 7, v0 bitop3:0x40
	s_mov_b32 s19, exec_lo
	v_cmpx_gt_u32_e32 8, v3
; %bb.174:                              ;   in Loop: Header=BB349_15 Depth=1
	s_delay_alu instid0(VALU_DEP_2) | instskip(NEXT) | instid1(VALU_DEP_1)
	v_clz_i32_u32_e32 v2, v48
	v_min_u32_e32 v2, 32, v2
	s_delay_alu instid0(VALU_DEP_1) | instskip(NEXT) | instid1(VALU_DEP_1)
	v_subrev_nc_u32_e32 v3, 28, v2
	v_lshlrev_b64_e32 v[4:5], v3, v[48:49]
	s_delay_alu instid0(VALU_DEP_1)
	v_dual_sub_nc_u32 v2, 29, v2 :: v_dual_bitop2_b32 v48, 7, v4 bitop3:0x40
; %bb.175:                              ;   in Loop: Header=BB349_15 Depth=1
	s_or_b32 exec_lo, exec_lo, s19
	v_lshlrev_b32_e32 v0, 24, v0
	s_delay_alu instid0(VALU_DEP_2) | instskip(NEXT) | instid1(VALU_DEP_3)
	v_lshlrev_b32_e32 v3, 20, v48
	v_lshl_add_u32 v2, v2, 23, 0x3c000000
	s_delay_alu instid0(VALU_DEP_3) | instskip(NEXT) | instid1(VALU_DEP_1)
	v_and_b32_e32 v0, 0x80000000, v0
	v_or3_b32 v87, v3, v0, v2
.LBB349_176:                            ;   in Loop: Header=BB349_15 Depth=1
	s_or_b32 exec_lo, exec_lo, s18
.LBB349_177:                            ;   in Loop: Header=BB349_15 Depth=1
	s_delay_alu instid0(SALU_CYCLE_1)
	s_or_b32 exec_lo, exec_lo, s17
.LBB349_178:                            ;   in Loop: Header=BB349_15 Depth=1
	s_delay_alu instid0(SALU_CYCLE_1) | instskip(SKIP_4) | instid1(VALU_DEP_3)
	s_or_b32 exec_lo, exec_lo, s16
	v_and_b32_e32 v0, 0xff, v13
	v_dual_mov_b32 v48, v13 :: v_dual_mov_b32 v97, 0
	v_mov_b32_e32 v96, 0
	s_mov_b32 s16, exec_lo
	v_cmpx_ne_u16_e32 0, v0
	s_cbranch_execz .LBB349_186
; %bb.179:                              ;   in Loop: Header=BB349_15 Depth=1
	v_bfrev_b32_e32 v96, 1
	s_mov_b32 s17, exec_lo
	v_cmpx_ne_u16_e32 0x80, v0
	s_cbranch_execz .LBB349_185
; %bb.180:                              ;   in Loop: Header=BB349_15 Depth=1
	v_and_b32_e32 v2, 0x7f, v13
	v_mov_b32_e32 v96, 0x7f800001
	s_mov_b32 s18, exec_lo
	s_delay_alu instid0(VALU_DEP_2)
	v_cmpx_ne_u32_e32 0x7f, v2
	s_cbranch_execz .LBB349_184
; %bb.181:                              ;   in Loop: Header=BB349_15 Depth=1
	v_mov_b64_e32 v[14:15], v[48:49]
	v_lshrrev_b32_e32 v0, 3, v2
	s_mov_b32 s19, exec_lo
	v_cmpx_gt_u32_e32 8, v2
; %bb.182:                              ;   in Loop: Header=BB349_15 Depth=1
	v_and_b32_e32 v0, 7, v13
	s_delay_alu instid0(VALU_DEP_1) | instskip(NEXT) | instid1(VALU_DEP_1)
	v_clz_i32_u32_e32 v0, v0
	v_min_u32_e32 v0, 32, v0
	s_delay_alu instid0(VALU_DEP_1) | instskip(SKIP_1) | instid1(VALU_DEP_2)
	v_subrev_nc_u32_e32 v2, 28, v0
	v_sub_nc_u32_e32 v0, 29, v0
	v_lshlrev_b64_e32 v[14:15], v2, v[48:49]
; %bb.183:                              ;   in Loop: Header=BB349_15 Depth=1
	s_or_b32 exec_lo, exec_lo, s19
	s_delay_alu instid0(VALU_DEP_1) | instskip(NEXT) | instid1(VALU_DEP_3)
	v_dual_lshlrev_b32 v2, 20, v14 :: v_dual_lshlrev_b32 v3, 24, v48
	v_lshl_add_u32 v0, v0, 23, 0x3c000000
	s_delay_alu instid0(VALU_DEP_2) | instskip(NEXT) | instid1(VALU_DEP_3)
	v_and_b32_e32 v2, 0x700000, v2
	v_and_b32_e32 v3, 0x80000000, v3
	s_delay_alu instid0(VALU_DEP_1)
	v_or3_b32 v96, v2, v3, v0
.LBB349_184:                            ;   in Loop: Header=BB349_15 Depth=1
	s_or_b32 exec_lo, exec_lo, s18
.LBB349_185:                            ;   in Loop: Header=BB349_15 Depth=1
	s_delay_alu instid0(SALU_CYCLE_1)
	s_or_b32 exec_lo, exec_lo, s17
.LBB349_186:                            ;   in Loop: Header=BB349_15 Depth=1
	s_delay_alu instid0(SALU_CYCLE_1) | instskip(SKIP_2) | instid1(VALU_DEP_1)
	s_or_b32 exec_lo, exec_lo, s16
	v_lshrrev_b16 v0, 8, v48
	s_mov_b32 s16, exec_lo
	v_cmpx_ne_u16_e32 0, v0
	s_cbranch_execz .LBB349_194
; %bb.187:                              ;   in Loop: Header=BB349_15 Depth=1
	v_bfrev_b32_e32 v97, 1
	s_mov_b32 s17, exec_lo
	v_cmpx_ne_u16_e32 0x80, v0
	s_cbranch_execz .LBB349_193
; %bb.188:                              ;   in Loop: Header=BB349_15 Depth=1
	v_and_b32_e32 v0, 0xffff, v0
	v_mov_b32_e32 v97, 0x7f800001
	s_mov_b32 s18, exec_lo
	s_delay_alu instid0(VALU_DEP_2) | instskip(NEXT) | instid1(VALU_DEP_1)
	v_and_b32_e32 v2, 0x7f, v0
	v_cmpx_ne_u32_e32 0x7f, v2
	s_cbranch_execz .LBB349_192
; %bb.189:                              ;   in Loop: Header=BB349_15 Depth=1
	v_dual_mov_b32 v15, v49 :: v_dual_bitop2_b32 v14, 7, v0 bitop3:0x40
	v_lshrrev_b32_e32 v0, 3, v2
	s_mov_b32 s19, exec_lo
	v_cmpx_gt_u32_e32 8, v2
; %bb.190:                              ;   in Loop: Header=BB349_15 Depth=1
	s_delay_alu instid0(VALU_DEP_3) | instskip(NEXT) | instid1(VALU_DEP_1)
	v_clz_i32_u32_e32 v0, v14
	v_min_u32_e32 v0, 32, v0
	s_delay_alu instid0(VALU_DEP_1) | instskip(NEXT) | instid1(VALU_DEP_1)
	v_subrev_nc_u32_e32 v2, 28, v0
	v_lshlrev_b64_e32 v[2:3], v2, v[14:15]
	s_delay_alu instid0(VALU_DEP_1)
	v_dual_sub_nc_u32 v0, 29, v0 :: v_dual_bitop2_b32 v14, 7, v2 bitop3:0x40
; %bb.191:                              ;   in Loop: Header=BB349_15 Depth=1
	s_or_b32 exec_lo, exec_lo, s19
	s_delay_alu instid0(VALU_DEP_1) | instskip(NEXT) | instid1(VALU_DEP_2)
	v_dual_lshlrev_b32 v2, 16, v48 :: v_dual_lshlrev_b32 v3, 20, v14
	v_lshl_add_u32 v0, v0, 23, 0x3c000000
	s_delay_alu instid0(VALU_DEP_2) | instskip(NEXT) | instid1(VALU_DEP_1)
	v_and_b32_e32 v2, 0x80000000, v2
	v_or3_b32 v97, v3, v2, v0
.LBB349_192:                            ;   in Loop: Header=BB349_15 Depth=1
	s_or_b32 exec_lo, exec_lo, s18
.LBB349_193:                            ;   in Loop: Header=BB349_15 Depth=1
	s_delay_alu instid0(SALU_CYCLE_1)
	s_or_b32 exec_lo, exec_lo, s17
.LBB349_194:                            ;   in Loop: Header=BB349_15 Depth=1
	s_delay_alu instid0(SALU_CYCLE_1) | instskip(SKIP_3) | instid1(VALU_DEP_2)
	s_or_b32 exec_lo, exec_lo, s16
	v_dual_mov_b32 v37, 0 :: v_dual_lshrrev_b32 v0, 16, v13
	v_mov_b32_e32 v36, 0
	s_mov_b32 s16, exec_lo
	v_and_b32_e32 v2, 0xff, v0
	s_delay_alu instid0(VALU_DEP_1)
	v_cmpx_ne_u16_e32 0, v2
	s_cbranch_execz .LBB349_202
; %bb.195:                              ;   in Loop: Header=BB349_15 Depth=1
	v_bfrev_b32_e32 v36, 1
	s_mov_b32 s17, exec_lo
	v_cmpx_ne_u16_e32 0x80, v2
	s_cbranch_execz .LBB349_201
; %bb.196:                              ;   in Loop: Header=BB349_15 Depth=1
	v_bfe_u32 v3, v13, 16, 7
	v_mov_b32_e32 v36, 0x7f800001
	s_mov_b32 s18, exec_lo
	s_delay_alu instid0(VALU_DEP_2)
	v_cmpx_ne_u32_e32 0x7f, v3
	s_cbranch_execz .LBB349_200
; %bb.197:                              ;   in Loop: Header=BB349_15 Depth=1
	v_dual_lshrrev_b32 v2, 3, v3 :: v_dual_bitop2_b32 v48, 7, v0 bitop3:0x40
	s_mov_b32 s19, exec_lo
	v_cmpx_gt_u32_e32 8, v3
; %bb.198:                              ;   in Loop: Header=BB349_15 Depth=1
	s_delay_alu instid0(VALU_DEP_2) | instskip(NEXT) | instid1(VALU_DEP_1)
	v_clz_i32_u32_e32 v2, v48
	v_min_u32_e32 v2, 32, v2
	s_delay_alu instid0(VALU_DEP_1) | instskip(NEXT) | instid1(VALU_DEP_1)
	v_subrev_nc_u32_e32 v3, 28, v2
	v_lshlrev_b64_e32 v[4:5], v3, v[48:49]
	s_delay_alu instid0(VALU_DEP_1)
	v_dual_sub_nc_u32 v2, 29, v2 :: v_dual_bitop2_b32 v48, 7, v4 bitop3:0x40
; %bb.199:                              ;   in Loop: Header=BB349_15 Depth=1
	s_or_b32 exec_lo, exec_lo, s19
	v_lshlrev_b32_e32 v0, 24, v0
	s_delay_alu instid0(VALU_DEP_2) | instskip(NEXT) | instid1(VALU_DEP_3)
	v_lshlrev_b32_e32 v3, 20, v48
	v_lshl_add_u32 v2, v2, 23, 0x3c000000
	s_delay_alu instid0(VALU_DEP_3) | instskip(NEXT) | instid1(VALU_DEP_1)
	v_and_b32_e32 v0, 0x80000000, v0
	v_or3_b32 v36, v3, v0, v2
.LBB349_200:                            ;   in Loop: Header=BB349_15 Depth=1
	s_or_b32 exec_lo, exec_lo, s18
.LBB349_201:                            ;   in Loop: Header=BB349_15 Depth=1
	s_delay_alu instid0(SALU_CYCLE_1)
	s_or_b32 exec_lo, exec_lo, s17
.LBB349_202:                            ;   in Loop: Header=BB349_15 Depth=1
	s_delay_alu instid0(SALU_CYCLE_1) | instskip(NEXT) | instid1(SALU_CYCLE_1)
	s_or_b32 exec_lo, exec_lo, s16
	s_mov_b32 s16, exec_lo
	v_cmpx_lt_u64_e64 s[8:9], v[12:13]
	s_cbranch_execz .LBB349_210
; %bb.203:                              ;   in Loop: Header=BB349_15 Depth=1
	v_lshrrev_b32_e32 v0, 24, v13
	v_bfrev_b32_e32 v37, 1
	s_mov_b32 s17, exec_lo
	s_delay_alu instid0(VALU_DEP_2)
	v_cmpx_ne_u32_e32 0x80, v0
	s_cbranch_execz .LBB349_209
; %bb.204:                              ;   in Loop: Header=BB349_15 Depth=1
	v_bfe_u32 v3, v13, 24, 7
	v_mov_b32_e32 v37, 0x7f800001
	s_mov_b32 s18, exec_lo
	s_delay_alu instid0(VALU_DEP_2)
	v_cmpx_ne_u32_e32 0x7f, v3
	s_cbranch_execz .LBB349_208
; %bb.205:                              ;   in Loop: Header=BB349_15 Depth=1
	v_dual_lshrrev_b32 v2, 3, v3 :: v_dual_bitop2_b32 v48, 7, v0 bitop3:0x40
	s_mov_b32 s19, exec_lo
	v_cmpx_gt_u32_e32 8, v3
; %bb.206:                              ;   in Loop: Header=BB349_15 Depth=1
	s_delay_alu instid0(VALU_DEP_2) | instskip(NEXT) | instid1(VALU_DEP_1)
	v_clz_i32_u32_e32 v2, v48
	v_min_u32_e32 v2, 32, v2
	s_delay_alu instid0(VALU_DEP_1) | instskip(NEXT) | instid1(VALU_DEP_1)
	v_subrev_nc_u32_e32 v3, 28, v2
	v_lshlrev_b64_e32 v[4:5], v3, v[48:49]
	s_delay_alu instid0(VALU_DEP_1)
	v_dual_sub_nc_u32 v2, 29, v2 :: v_dual_bitop2_b32 v48, 7, v4 bitop3:0x40
; %bb.207:                              ;   in Loop: Header=BB349_15 Depth=1
	s_or_b32 exec_lo, exec_lo, s19
	v_lshlrev_b32_e32 v0, 24, v0
	s_delay_alu instid0(VALU_DEP_2) | instskip(NEXT) | instid1(VALU_DEP_3)
	v_lshlrev_b32_e32 v3, 20, v48
	v_lshl_add_u32 v2, v2, 23, 0x3c000000
	s_delay_alu instid0(VALU_DEP_3) | instskip(NEXT) | instid1(VALU_DEP_1)
	v_and_b32_e32 v0, 0x80000000, v0
	v_or3_b32 v37, v3, v0, v2
.LBB349_208:                            ;   in Loop: Header=BB349_15 Depth=1
	s_or_b32 exec_lo, exec_lo, s18
.LBB349_209:                            ;   in Loop: Header=BB349_15 Depth=1
	s_delay_alu instid0(SALU_CYCLE_1)
	s_or_b32 exec_lo, exec_lo, s17
.LBB349_210:                            ;   in Loop: Header=BB349_15 Depth=1
	s_delay_alu instid0(SALU_CYCLE_1)
	s_or_b32 exec_lo, exec_lo, s16
	flat_load_b64 v[12:13], v[70:71] offset:520
	v_dual_mov_b32 v52, 0 :: v_dual_mov_b32 v23, 0
	s_mov_b32 s16, exec_lo
	s_wait_loadcnt_dscnt 0x0
	v_and_b32_e32 v0, 0xff, v12
	s_wait_xcnt 0x0
	s_delay_alu instid0(VALU_DEP_1)
	v_cmpx_ne_u16_e32 0, v0
	s_cbranch_execz .LBB349_218
; %bb.211:                              ;   in Loop: Header=BB349_15 Depth=1
	v_bfrev_b32_e32 v23, 1
	s_mov_b32 s17, exec_lo
	v_cmpx_ne_u16_e32 0x80, v0
	s_cbranch_execz .LBB349_217
; %bb.212:                              ;   in Loop: Header=BB349_15 Depth=1
	v_and_b32_e32 v2, 0x7f, v12
	v_mov_b32_e32 v23, 0x7f800001
	s_mov_b32 s18, exec_lo
	s_delay_alu instid0(VALU_DEP_2)
	v_cmpx_ne_u32_e32 0x7f, v2
	s_cbranch_execz .LBB349_216
; %bb.213:                              ;   in Loop: Header=BB349_15 Depth=1
	v_mov_b64_e32 v[14:15], v[12:13]
	v_lshrrev_b32_e32 v0, 3, v2
	s_mov_b32 s19, exec_lo
	v_cmpx_gt_u32_e32 8, v2
; %bb.214:                              ;   in Loop: Header=BB349_15 Depth=1
	v_and_b32_e32 v0, 7, v12
	s_delay_alu instid0(VALU_DEP_1) | instskip(NEXT) | instid1(VALU_DEP_1)
	v_clz_i32_u32_e32 v0, v0
	v_min_u32_e32 v0, 32, v0
	s_delay_alu instid0(VALU_DEP_1) | instskip(SKIP_1) | instid1(VALU_DEP_2)
	v_subrev_nc_u32_e32 v2, 28, v0
	v_sub_nc_u32_e32 v0, 29, v0
	v_lshlrev_b64_e32 v[14:15], v2, v[12:13]
; %bb.215:                              ;   in Loop: Header=BB349_15 Depth=1
	s_or_b32 exec_lo, exec_lo, s19
	s_delay_alu instid0(VALU_DEP_1) | instskip(NEXT) | instid1(VALU_DEP_3)
	v_dual_lshlrev_b32 v2, 20, v14 :: v_dual_lshlrev_b32 v3, 24, v12
	v_lshl_add_u32 v0, v0, 23, 0x3c000000
	s_delay_alu instid0(VALU_DEP_2) | instskip(NEXT) | instid1(VALU_DEP_3)
	v_and_b32_e32 v2, 0x700000, v2
	v_and_b32_e32 v3, 0x80000000, v3
	s_delay_alu instid0(VALU_DEP_1)
	v_or3_b32 v23, v2, v3, v0
.LBB349_216:                            ;   in Loop: Header=BB349_15 Depth=1
	s_or_b32 exec_lo, exec_lo, s18
.LBB349_217:                            ;   in Loop: Header=BB349_15 Depth=1
	s_delay_alu instid0(SALU_CYCLE_1)
	s_or_b32 exec_lo, exec_lo, s17
.LBB349_218:                            ;   in Loop: Header=BB349_15 Depth=1
	s_delay_alu instid0(SALU_CYCLE_1) | instskip(SKIP_2) | instid1(VALU_DEP_1)
	s_or_b32 exec_lo, exec_lo, s16
	v_lshrrev_b16 v0, 8, v12
	s_mov_b32 s16, exec_lo
	v_cmpx_ne_u16_e32 0, v0
	s_cbranch_execz .LBB349_226
; %bb.219:                              ;   in Loop: Header=BB349_15 Depth=1
	v_bfrev_b32_e32 v52, 1
	s_mov_b32 s17, exec_lo
	v_cmpx_ne_u16_e32 0x80, v0
	s_cbranch_execz .LBB349_225
; %bb.220:                              ;   in Loop: Header=BB349_15 Depth=1
	v_and_b32_e32 v0, 0xffff, v0
	v_mov_b32_e32 v52, 0x7f800001
	s_mov_b32 s18, exec_lo
	s_delay_alu instid0(VALU_DEP_2) | instskip(NEXT) | instid1(VALU_DEP_1)
	v_and_b32_e32 v2, 0x7f, v0
	v_cmpx_ne_u32_e32 0x7f, v2
	s_cbranch_execz .LBB349_224
; %bb.221:                              ;   in Loop: Header=BB349_15 Depth=1
	v_dual_lshrrev_b32 v0, 3, v2 :: v_dual_bitop2_b32 v48, 7, v0 bitop3:0x40
	s_mov_b32 s19, exec_lo
	v_cmpx_gt_u32_e32 8, v2
; %bb.222:                              ;   in Loop: Header=BB349_15 Depth=1
	s_delay_alu instid0(VALU_DEP_2) | instskip(NEXT) | instid1(VALU_DEP_1)
	v_clz_i32_u32_e32 v0, v48
	v_min_u32_e32 v0, 32, v0
	s_delay_alu instid0(VALU_DEP_1) | instskip(NEXT) | instid1(VALU_DEP_1)
	v_subrev_nc_u32_e32 v2, 28, v0
	v_lshlrev_b64_e32 v[2:3], v2, v[48:49]
	s_delay_alu instid0(VALU_DEP_1)
	v_dual_sub_nc_u32 v0, 29, v0 :: v_dual_bitop2_b32 v48, 7, v2 bitop3:0x40
; %bb.223:                              ;   in Loop: Header=BB349_15 Depth=1
	s_or_b32 exec_lo, exec_lo, s19
	v_lshlrev_b32_e32 v2, 16, v12
	s_delay_alu instid0(VALU_DEP_2) | instskip(NEXT) | instid1(VALU_DEP_3)
	v_lshlrev_b32_e32 v3, 20, v48
	v_lshl_add_u32 v0, v0, 23, 0x3c000000
	s_delay_alu instid0(VALU_DEP_3) | instskip(NEXT) | instid1(VALU_DEP_1)
	v_and_b32_e32 v2, 0x80000000, v2
	v_or3_b32 v52, v3, v2, v0
.LBB349_224:                            ;   in Loop: Header=BB349_15 Depth=1
	s_or_b32 exec_lo, exec_lo, s18
.LBB349_225:                            ;   in Loop: Header=BB349_15 Depth=1
	s_delay_alu instid0(SALU_CYCLE_1)
	s_or_b32 exec_lo, exec_lo, s17
.LBB349_226:                            ;   in Loop: Header=BB349_15 Depth=1
	s_delay_alu instid0(SALU_CYCLE_1) | instskip(SKIP_3) | instid1(VALU_DEP_2)
	s_or_b32 exec_lo, exec_lo, s16
	v_dual_mov_b32 v9, 0 :: v_dual_lshrrev_b32 v0, 16, v12
	v_mov_b32_e32 v53, 0
	s_mov_b32 s16, exec_lo
	v_and_b32_e32 v2, 0xff, v0
	s_delay_alu instid0(VALU_DEP_1)
	v_cmpx_ne_u16_e32 0, v2
	s_cbranch_execz .LBB349_234
; %bb.227:                              ;   in Loop: Header=BB349_15 Depth=1
	v_bfrev_b32_e32 v53, 1
	s_mov_b32 s17, exec_lo
	v_cmpx_ne_u16_e32 0x80, v2
	s_cbranch_execz .LBB349_233
; %bb.228:                              ;   in Loop: Header=BB349_15 Depth=1
	v_bfe_u32 v3, v12, 16, 7
	v_mov_b32_e32 v53, 0x7f800001
	s_mov_b32 s18, exec_lo
	s_delay_alu instid0(VALU_DEP_2)
	v_cmpx_ne_u32_e32 0x7f, v3
	s_cbranch_execz .LBB349_232
; %bb.229:                              ;   in Loop: Header=BB349_15 Depth=1
	v_dual_lshrrev_b32 v2, 3, v3 :: v_dual_bitop2_b32 v48, 7, v0 bitop3:0x40
	s_mov_b32 s19, exec_lo
	v_cmpx_gt_u32_e32 8, v3
; %bb.230:                              ;   in Loop: Header=BB349_15 Depth=1
	s_delay_alu instid0(VALU_DEP_2) | instskip(NEXT) | instid1(VALU_DEP_1)
	v_clz_i32_u32_e32 v2, v48
	v_min_u32_e32 v2, 32, v2
	s_delay_alu instid0(VALU_DEP_1) | instskip(NEXT) | instid1(VALU_DEP_1)
	v_subrev_nc_u32_e32 v3, 28, v2
	v_lshlrev_b64_e32 v[4:5], v3, v[48:49]
	s_delay_alu instid0(VALU_DEP_1)
	v_dual_sub_nc_u32 v2, 29, v2 :: v_dual_bitop2_b32 v48, 7, v4 bitop3:0x40
; %bb.231:                              ;   in Loop: Header=BB349_15 Depth=1
	s_or_b32 exec_lo, exec_lo, s19
	v_lshlrev_b32_e32 v0, 24, v0
	s_delay_alu instid0(VALU_DEP_2) | instskip(NEXT) | instid1(VALU_DEP_3)
	v_lshlrev_b32_e32 v3, 20, v48
	v_lshl_add_u32 v2, v2, 23, 0x3c000000
	s_delay_alu instid0(VALU_DEP_3) | instskip(NEXT) | instid1(VALU_DEP_1)
	v_and_b32_e32 v0, 0x80000000, v0
	v_or3_b32 v53, v3, v0, v2
.LBB349_232:                            ;   in Loop: Header=BB349_15 Depth=1
	s_or_b32 exec_lo, exec_lo, s18
.LBB349_233:                            ;   in Loop: Header=BB349_15 Depth=1
	s_delay_alu instid0(SALU_CYCLE_1)
	s_or_b32 exec_lo, exec_lo, s17
.LBB349_234:                            ;   in Loop: Header=BB349_15 Depth=1
	s_delay_alu instid0(SALU_CYCLE_1) | instskip(NEXT) | instid1(SALU_CYCLE_1)
	s_or_b32 exec_lo, exec_lo, s16
	s_mov_b32 s16, exec_lo
	v_cmpx_lt_u32_e32 0xffffff, v12
	s_cbranch_execz .LBB349_242
; %bb.235:                              ;   in Loop: Header=BB349_15 Depth=1
	v_lshrrev_b32_e32 v0, 24, v12
	v_bfrev_b32_e32 v9, 1
	s_mov_b32 s17, exec_lo
	s_delay_alu instid0(VALU_DEP_2)
	v_cmpx_ne_u32_e32 0x80, v0
	s_cbranch_execz .LBB349_241
; %bb.236:                              ;   in Loop: Header=BB349_15 Depth=1
	v_bfe_u32 v3, v12, 24, 7
	v_mov_b32_e32 v9, 0x7f800001
	s_mov_b32 s18, exec_lo
	s_delay_alu instid0(VALU_DEP_2)
	v_cmpx_ne_u32_e32 0x7f, v3
	s_cbranch_execz .LBB349_240
; %bb.237:                              ;   in Loop: Header=BB349_15 Depth=1
	v_dual_lshrrev_b32 v2, 3, v3 :: v_dual_bitop2_b32 v48, 7, v0 bitop3:0x40
	s_mov_b32 s19, exec_lo
	v_cmpx_gt_u32_e32 8, v3
; %bb.238:                              ;   in Loop: Header=BB349_15 Depth=1
	s_delay_alu instid0(VALU_DEP_2) | instskip(NEXT) | instid1(VALU_DEP_1)
	v_clz_i32_u32_e32 v2, v48
	v_min_u32_e32 v2, 32, v2
	s_delay_alu instid0(VALU_DEP_1) | instskip(NEXT) | instid1(VALU_DEP_1)
	v_subrev_nc_u32_e32 v3, 28, v2
	v_lshlrev_b64_e32 v[4:5], v3, v[48:49]
	s_delay_alu instid0(VALU_DEP_1)
	v_dual_sub_nc_u32 v2, 29, v2 :: v_dual_bitop2_b32 v48, 7, v4 bitop3:0x40
; %bb.239:                              ;   in Loop: Header=BB349_15 Depth=1
	s_or_b32 exec_lo, exec_lo, s19
	v_lshlrev_b32_e32 v0, 24, v0
	s_delay_alu instid0(VALU_DEP_2) | instskip(NEXT) | instid1(VALU_DEP_3)
	v_lshlrev_b32_e32 v3, 20, v48
	v_lshl_add_u32 v2, v2, 23, 0x3c000000
	s_delay_alu instid0(VALU_DEP_3) | instskip(NEXT) | instid1(VALU_DEP_1)
	v_and_b32_e32 v0, 0x80000000, v0
	v_or3_b32 v9, v3, v0, v2
.LBB349_240:                            ;   in Loop: Header=BB349_15 Depth=1
	s_or_b32 exec_lo, exec_lo, s18
.LBB349_241:                            ;   in Loop: Header=BB349_15 Depth=1
	s_delay_alu instid0(SALU_CYCLE_1)
	s_or_b32 exec_lo, exec_lo, s17
.LBB349_242:                            ;   in Loop: Header=BB349_15 Depth=1
	s_delay_alu instid0(SALU_CYCLE_1) | instskip(SKIP_4) | instid1(VALU_DEP_3)
	s_or_b32 exec_lo, exec_lo, s16
	v_and_b32_e32 v0, 0xff, v13
	v_dual_mov_b32 v48, v13 :: v_dual_mov_b32 v2, 0
	v_mov_b32_e32 v19, 0
	s_mov_b32 s16, exec_lo
	v_cmpx_ne_u16_e32 0, v0
	s_cbranch_execz .LBB349_250
; %bb.243:                              ;   in Loop: Header=BB349_15 Depth=1
	v_bfrev_b32_e32 v19, 1
	s_mov_b32 s17, exec_lo
	v_cmpx_ne_u16_e32 0x80, v0
	s_cbranch_execz .LBB349_249
; %bb.244:                              ;   in Loop: Header=BB349_15 Depth=1
	v_and_b32_e32 v3, 0x7f, v13
	v_mov_b32_e32 v19, 0x7f800001
	s_mov_b32 s18, exec_lo
	s_delay_alu instid0(VALU_DEP_2)
	v_cmpx_ne_u32_e32 0x7f, v3
	s_cbranch_execz .LBB349_248
; %bb.245:                              ;   in Loop: Header=BB349_15 Depth=1
	v_mov_b64_e32 v[14:15], v[48:49]
	v_lshrrev_b32_e32 v0, 3, v3
	s_mov_b32 s19, exec_lo
	v_cmpx_gt_u32_e32 8, v3
; %bb.246:                              ;   in Loop: Header=BB349_15 Depth=1
	v_and_b32_e32 v0, 7, v13
	s_delay_alu instid0(VALU_DEP_1) | instskip(NEXT) | instid1(VALU_DEP_1)
	v_clz_i32_u32_e32 v0, v0
	v_min_u32_e32 v0, 32, v0
	s_delay_alu instid0(VALU_DEP_1) | instskip(SKIP_1) | instid1(VALU_DEP_2)
	v_subrev_nc_u32_e32 v3, 28, v0
	v_sub_nc_u32_e32 v0, 29, v0
	v_lshlrev_b64_e32 v[14:15], v3, v[48:49]
; %bb.247:                              ;   in Loop: Header=BB349_15 Depth=1
	s_or_b32 exec_lo, exec_lo, s19
	s_delay_alu instid0(VALU_DEP_1) | instskip(NEXT) | instid1(VALU_DEP_3)
	v_dual_lshlrev_b32 v3, 20, v14 :: v_dual_lshlrev_b32 v4, 24, v48
	v_lshl_add_u32 v0, v0, 23, 0x3c000000
	s_delay_alu instid0(VALU_DEP_2) | instskip(NEXT) | instid1(VALU_DEP_3)
	v_and_b32_e32 v3, 0x700000, v3
	v_and_b32_e32 v4, 0x80000000, v4
	s_delay_alu instid0(VALU_DEP_1)
	v_or3_b32 v19, v3, v4, v0
.LBB349_248:                            ;   in Loop: Header=BB349_15 Depth=1
	s_or_b32 exec_lo, exec_lo, s18
.LBB349_249:                            ;   in Loop: Header=BB349_15 Depth=1
	s_delay_alu instid0(SALU_CYCLE_1)
	s_or_b32 exec_lo, exec_lo, s17
.LBB349_250:                            ;   in Loop: Header=BB349_15 Depth=1
	s_delay_alu instid0(SALU_CYCLE_1) | instskip(SKIP_2) | instid1(VALU_DEP_1)
	s_or_b32 exec_lo, exec_lo, s16
	v_lshrrev_b16 v0, 8, v48
	s_mov_b32 s16, exec_lo
	v_cmpx_ne_u16_e32 0, v0
	s_cbranch_execz .LBB349_258
; %bb.251:                              ;   in Loop: Header=BB349_15 Depth=1
	v_bfrev_b32_e32 v2, 1
	s_mov_b32 s17, exec_lo
	v_cmpx_ne_u16_e32 0x80, v0
	s_cbranch_execz .LBB349_257
; %bb.252:                              ;   in Loop: Header=BB349_15 Depth=1
	v_and_b32_e32 v0, 0xffff, v0
	v_mov_b32_e32 v2, 0x7f800001
	s_mov_b32 s18, exec_lo
	s_delay_alu instid0(VALU_DEP_2) | instskip(NEXT) | instid1(VALU_DEP_1)
	v_and_b32_e32 v3, 0x7f, v0
	v_cmpx_ne_u32_e32 0x7f, v3
	s_cbranch_execz .LBB349_256
; %bb.253:                              ;   in Loop: Header=BB349_15 Depth=1
	v_dual_mov_b32 v15, v49 :: v_dual_bitop2_b32 v14, 7, v0 bitop3:0x40
	v_lshrrev_b32_e32 v0, 3, v3
	s_mov_b32 s19, exec_lo
	v_cmpx_gt_u32_e32 8, v3
; %bb.254:                              ;   in Loop: Header=BB349_15 Depth=1
	s_delay_alu instid0(VALU_DEP_3) | instskip(NEXT) | instid1(VALU_DEP_1)
	v_clz_i32_u32_e32 v0, v14
	v_min_u32_e32 v0, 32, v0
	s_delay_alu instid0(VALU_DEP_1) | instskip(NEXT) | instid1(VALU_DEP_1)
	v_subrev_nc_u32_e32 v2, 28, v0
	v_lshlrev_b64_e32 v[2:3], v2, v[14:15]
	s_delay_alu instid0(VALU_DEP_1)
	v_dual_sub_nc_u32 v0, 29, v0 :: v_dual_bitop2_b32 v14, 7, v2 bitop3:0x40
; %bb.255:                              ;   in Loop: Header=BB349_15 Depth=1
	s_or_b32 exec_lo, exec_lo, s19
	s_delay_alu instid0(VALU_DEP_1) | instskip(NEXT) | instid1(VALU_DEP_2)
	v_dual_lshlrev_b32 v2, 16, v48 :: v_dual_lshlrev_b32 v3, 20, v14
	v_lshl_add_u32 v0, v0, 23, 0x3c000000
	s_delay_alu instid0(VALU_DEP_2) | instskip(NEXT) | instid1(VALU_DEP_1)
	v_and_b32_e32 v2, 0x80000000, v2
	v_or3_b32 v2, v3, v2, v0
.LBB349_256:                            ;   in Loop: Header=BB349_15 Depth=1
	s_or_b32 exec_lo, exec_lo, s18
.LBB349_257:                            ;   in Loop: Header=BB349_15 Depth=1
	s_delay_alu instid0(SALU_CYCLE_1)
	s_or_b32 exec_lo, exec_lo, s17
.LBB349_258:                            ;   in Loop: Header=BB349_15 Depth=1
	s_delay_alu instid0(SALU_CYCLE_1) | instskip(SKIP_3) | instid1(VALU_DEP_2)
	s_or_b32 exec_lo, exec_lo, s16
	v_dual_mov_b32 v3, 0 :: v_dual_lshrrev_b32 v0, 16, v13
	v_mov_b32_e32 v22, 0
	s_mov_b32 s16, exec_lo
	v_and_b32_e32 v4, 0xff, v0
	s_delay_alu instid0(VALU_DEP_1)
	v_cmpx_ne_u16_e32 0, v4
	s_cbranch_execz .LBB349_266
; %bb.259:                              ;   in Loop: Header=BB349_15 Depth=1
	v_bfrev_b32_e32 v22, 1
	s_mov_b32 s17, exec_lo
	v_cmpx_ne_u16_e32 0x80, v4
	s_cbranch_execz .LBB349_265
; %bb.260:                              ;   in Loop: Header=BB349_15 Depth=1
	v_bfe_u32 v5, v13, 16, 7
	v_mov_b32_e32 v22, 0x7f800001
	s_mov_b32 s18, exec_lo
	s_delay_alu instid0(VALU_DEP_2)
	v_cmpx_ne_u32_e32 0x7f, v5
	s_cbranch_execz .LBB349_264
; %bb.261:                              ;   in Loop: Header=BB349_15 Depth=1
	v_dual_lshrrev_b32 v4, 3, v5 :: v_dual_bitop2_b32 v48, 7, v0 bitop3:0x40
	s_mov_b32 s19, exec_lo
	v_cmpx_gt_u32_e32 8, v5
; %bb.262:                              ;   in Loop: Header=BB349_15 Depth=1
	s_delay_alu instid0(VALU_DEP_2) | instskip(NEXT) | instid1(VALU_DEP_1)
	v_clz_i32_u32_e32 v4, v48
	v_min_u32_e32 v4, 32, v4
	s_delay_alu instid0(VALU_DEP_1) | instskip(NEXT) | instid1(VALU_DEP_1)
	v_subrev_nc_u32_e32 v5, 28, v4
	v_lshlrev_b64_e32 v[14:15], v5, v[48:49]
	s_delay_alu instid0(VALU_DEP_1)
	v_dual_sub_nc_u32 v4, 29, v4 :: v_dual_bitop2_b32 v48, 7, v14 bitop3:0x40
; %bb.263:                              ;   in Loop: Header=BB349_15 Depth=1
	s_or_b32 exec_lo, exec_lo, s19
	v_lshlrev_b32_e32 v0, 24, v0
	s_delay_alu instid0(VALU_DEP_2) | instskip(NEXT) | instid1(VALU_DEP_3)
	v_lshlrev_b32_e32 v5, 20, v48
	v_lshl_add_u32 v4, v4, 23, 0x3c000000
	s_delay_alu instid0(VALU_DEP_3) | instskip(NEXT) | instid1(VALU_DEP_1)
	v_and_b32_e32 v0, 0x80000000, v0
	v_or3_b32 v22, v5, v0, v4
.LBB349_264:                            ;   in Loop: Header=BB349_15 Depth=1
	s_or_b32 exec_lo, exec_lo, s18
.LBB349_265:                            ;   in Loop: Header=BB349_15 Depth=1
	s_delay_alu instid0(SALU_CYCLE_1)
	s_or_b32 exec_lo, exec_lo, s17
.LBB349_266:                            ;   in Loop: Header=BB349_15 Depth=1
	s_delay_alu instid0(SALU_CYCLE_1) | instskip(NEXT) | instid1(SALU_CYCLE_1)
	s_or_b32 exec_lo, exec_lo, s16
	s_mov_b32 s16, exec_lo
	v_cmpx_lt_u64_e64 s[8:9], v[12:13]
	s_cbranch_execz .LBB349_274
; %bb.267:                              ;   in Loop: Header=BB349_15 Depth=1
	v_lshrrev_b32_e32 v0, 24, v13
	v_bfrev_b32_e32 v3, 1
	s_mov_b32 s17, exec_lo
	s_delay_alu instid0(VALU_DEP_2)
	v_cmpx_ne_u32_e32 0x80, v0
	s_cbranch_execz .LBB349_273
; %bb.268:                              ;   in Loop: Header=BB349_15 Depth=1
	v_bfe_u32 v4, v13, 24, 7
	v_mov_b32_e32 v3, 0x7f800001
	s_mov_b32 s18, exec_lo
	s_delay_alu instid0(VALU_DEP_2)
	v_cmpx_ne_u32_e32 0x7f, v4
	s_cbranch_execz .LBB349_272
; %bb.269:                              ;   in Loop: Header=BB349_15 Depth=1
	v_and_b32_e32 v48, 7, v0
	v_lshrrev_b32_e32 v3, 3, v4
	s_mov_b32 s19, exec_lo
	v_cmpx_gt_u32_e32 8, v4
; %bb.270:                              ;   in Loop: Header=BB349_15 Depth=1
	s_delay_alu instid0(VALU_DEP_3) | instskip(NEXT) | instid1(VALU_DEP_1)
	v_clz_i32_u32_e32 v3, v48
	v_min_u32_e32 v3, 32, v3
	s_delay_alu instid0(VALU_DEP_1) | instskip(NEXT) | instid1(VALU_DEP_1)
	v_subrev_nc_u32_e32 v4, 28, v3
	v_lshlrev_b64_e32 v[4:5], v4, v[48:49]
	s_delay_alu instid0(VALU_DEP_1)
	v_dual_sub_nc_u32 v3, 29, v3 :: v_dual_bitop2_b32 v48, 7, v4 bitop3:0x40
; %bb.271:                              ;   in Loop: Header=BB349_15 Depth=1
	s_or_b32 exec_lo, exec_lo, s19
	v_lshlrev_b32_e32 v0, 24, v0
	s_delay_alu instid0(VALU_DEP_2) | instskip(NEXT) | instid1(VALU_DEP_3)
	v_lshlrev_b32_e32 v4, 20, v48
	v_lshl_add_u32 v3, v3, 23, 0x3c000000
	s_delay_alu instid0(VALU_DEP_3) | instskip(NEXT) | instid1(VALU_DEP_1)
	v_and_b32_e32 v0, 0x80000000, v0
	v_or3_b32 v3, v4, v0, v3
.LBB349_272:                            ;   in Loop: Header=BB349_15 Depth=1
	s_or_b32 exec_lo, exec_lo, s18
.LBB349_273:                            ;   in Loop: Header=BB349_15 Depth=1
	s_delay_alu instid0(SALU_CYCLE_1)
	s_or_b32 exec_lo, exec_lo, s17
.LBB349_274:                            ;   in Loop: Header=BB349_15 Depth=1
	s_delay_alu instid0(SALU_CYCLE_1)
	s_or_b32 exec_lo, exec_lo, s16
	flat_load_b64 v[12:13], v[70:71] offset:1024
	v_dual_mov_b32 v16, 0 :: v_dual_mov_b32 v27, 0
	s_mov_b32 s16, exec_lo
	s_wait_loadcnt_dscnt 0x0
	v_and_b32_e32 v0, 0xff, v12
	s_wait_xcnt 0x0
	s_delay_alu instid0(VALU_DEP_1)
	v_cmpx_ne_u16_e32 0, v0
	s_cbranch_execz .LBB349_282
; %bb.275:                              ;   in Loop: Header=BB349_15 Depth=1
	v_bfrev_b32_e32 v27, 1
	s_mov_b32 s17, exec_lo
	v_cmpx_ne_u16_e32 0x80, v0
	s_cbranch_execz .LBB349_281
; %bb.276:                              ;   in Loop: Header=BB349_15 Depth=1
	v_and_b32_e32 v4, 0x7f, v12
	v_mov_b32_e32 v27, 0x7f800001
	s_mov_b32 s18, exec_lo
	s_delay_alu instid0(VALU_DEP_2)
	v_cmpx_ne_u32_e32 0x7f, v4
	s_cbranch_execz .LBB349_280
; %bb.277:                              ;   in Loop: Header=BB349_15 Depth=1
	v_mov_b64_e32 v[14:15], v[12:13]
	v_lshrrev_b32_e32 v0, 3, v4
	s_mov_b32 s19, exec_lo
	v_cmpx_gt_u32_e32 8, v4
; %bb.278:                              ;   in Loop: Header=BB349_15 Depth=1
	v_and_b32_e32 v0, 7, v12
	s_delay_alu instid0(VALU_DEP_1) | instskip(NEXT) | instid1(VALU_DEP_1)
	v_clz_i32_u32_e32 v0, v0
	v_min_u32_e32 v0, 32, v0
	s_delay_alu instid0(VALU_DEP_1) | instskip(SKIP_1) | instid1(VALU_DEP_2)
	v_subrev_nc_u32_e32 v4, 28, v0
	v_sub_nc_u32_e32 v0, 29, v0
	v_lshlrev_b64_e32 v[14:15], v4, v[12:13]
; %bb.279:                              ;   in Loop: Header=BB349_15 Depth=1
	s_or_b32 exec_lo, exec_lo, s19
	s_delay_alu instid0(VALU_DEP_1) | instskip(NEXT) | instid1(VALU_DEP_3)
	v_dual_lshlrev_b32 v4, 20, v14 :: v_dual_lshlrev_b32 v5, 24, v12
	v_lshl_add_u32 v0, v0, 23, 0x3c000000
	s_delay_alu instid0(VALU_DEP_2) | instskip(NEXT) | instid1(VALU_DEP_3)
	v_and_b32_e32 v4, 0x700000, v4
	v_and_b32_e32 v5, 0x80000000, v5
	s_delay_alu instid0(VALU_DEP_1)
	v_or3_b32 v27, v4, v5, v0
.LBB349_280:                            ;   in Loop: Header=BB349_15 Depth=1
	s_or_b32 exec_lo, exec_lo, s18
.LBB349_281:                            ;   in Loop: Header=BB349_15 Depth=1
	s_delay_alu instid0(SALU_CYCLE_1)
	s_or_b32 exec_lo, exec_lo, s17
.LBB349_282:                            ;   in Loop: Header=BB349_15 Depth=1
	s_delay_alu instid0(SALU_CYCLE_1) | instskip(SKIP_2) | instid1(VALU_DEP_1)
	s_or_b32 exec_lo, exec_lo, s16
	v_lshrrev_b16 v0, 8, v12
	s_mov_b32 s16, exec_lo
	v_cmpx_ne_u16_e32 0, v0
	s_cbranch_execz .LBB349_290
; %bb.283:                              ;   in Loop: Header=BB349_15 Depth=1
	v_bfrev_b32_e32 v16, 1
	s_mov_b32 s17, exec_lo
	v_cmpx_ne_u16_e32 0x80, v0
	s_cbranch_execz .LBB349_289
; %bb.284:                              ;   in Loop: Header=BB349_15 Depth=1
	v_and_b32_e32 v0, 0xffff, v0
	v_mov_b32_e32 v16, 0x7f800001
	s_mov_b32 s18, exec_lo
	s_delay_alu instid0(VALU_DEP_2) | instskip(NEXT) | instid1(VALU_DEP_1)
	v_and_b32_e32 v4, 0x7f, v0
	v_cmpx_ne_u32_e32 0x7f, v4
	s_cbranch_execz .LBB349_288
; %bb.285:                              ;   in Loop: Header=BB349_15 Depth=1
	v_and_b32_e32 v48, 7, v0
	v_lshrrev_b32_e32 v0, 3, v4
	s_mov_b32 s19, exec_lo
	v_cmpx_gt_u32_e32 8, v4
; %bb.286:                              ;   in Loop: Header=BB349_15 Depth=1
	s_delay_alu instid0(VALU_DEP_3) | instskip(NEXT) | instid1(VALU_DEP_1)
	v_clz_i32_u32_e32 v0, v48
	v_min_u32_e32 v0, 32, v0
	s_delay_alu instid0(VALU_DEP_1) | instskip(SKIP_1) | instid1(VALU_DEP_2)
	v_subrev_nc_u32_e32 v4, 28, v0
	v_sub_nc_u32_e32 v0, 29, v0
	v_lshlrev_b64_e32 v[4:5], v4, v[48:49]
	s_delay_alu instid0(VALU_DEP_1)
	v_and_b32_e32 v48, 7, v4
; %bb.287:                              ;   in Loop: Header=BB349_15 Depth=1
	s_or_b32 exec_lo, exec_lo, s19
	v_lshlrev_b32_e32 v4, 16, v12
	s_delay_alu instid0(VALU_DEP_2) | instskip(SKIP_1) | instid1(VALU_DEP_3)
	v_lshlrev_b32_e32 v5, 20, v48
	v_lshl_add_u32 v0, v0, 23, 0x3c000000
	v_and_b32_e32 v4, 0x80000000, v4
	s_delay_alu instid0(VALU_DEP_1)
	v_or3_b32 v16, v5, v4, v0
.LBB349_288:                            ;   in Loop: Header=BB349_15 Depth=1
	s_or_b32 exec_lo, exec_lo, s18
.LBB349_289:                            ;   in Loop: Header=BB349_15 Depth=1
	s_delay_alu instid0(SALU_CYCLE_1)
	s_or_b32 exec_lo, exec_lo, s17
.LBB349_290:                            ;   in Loop: Header=BB349_15 Depth=1
	s_delay_alu instid0(SALU_CYCLE_1) | instskip(SKIP_3) | instid1(VALU_DEP_2)
	s_or_b32 exec_lo, exec_lo, s16
	v_dual_lshrrev_b32 v0, 16, v12 :: v_dual_mov_b32 v4, 0
	v_mov_b32_e32 v17, 0
	s_mov_b32 s16, exec_lo
	v_and_b32_e32 v5, 0xff, v0
	s_delay_alu instid0(VALU_DEP_1)
	v_cmpx_ne_u16_e32 0, v5
	s_cbranch_execz .LBB349_298
; %bb.291:                              ;   in Loop: Header=BB349_15 Depth=1
	v_bfrev_b32_e32 v17, 1
	s_mov_b32 s17, exec_lo
	v_cmpx_ne_u16_e32 0x80, v5
	s_cbranch_execz .LBB349_297
; %bb.292:                              ;   in Loop: Header=BB349_15 Depth=1
	v_bfe_u32 v14, v12, 16, 7
	v_mov_b32_e32 v17, 0x7f800001
	s_mov_b32 s18, exec_lo
	s_delay_alu instid0(VALU_DEP_2)
	v_cmpx_ne_u32_e32 0x7f, v14
	s_cbranch_execz .LBB349_296
; %bb.293:                              ;   in Loop: Header=BB349_15 Depth=1
	v_dual_lshrrev_b32 v5, 3, v14 :: v_dual_bitop2_b32 v48, 7, v0 bitop3:0x40
	s_mov_b32 s19, exec_lo
	v_cmpx_gt_u32_e32 8, v14
; %bb.294:                              ;   in Loop: Header=BB349_15 Depth=1
	s_delay_alu instid0(VALU_DEP_2) | instskip(NEXT) | instid1(VALU_DEP_1)
	v_clz_i32_u32_e32 v5, v48
	v_min_u32_e32 v5, 32, v5
	s_delay_alu instid0(VALU_DEP_1) | instskip(NEXT) | instid1(VALU_DEP_1)
	v_subrev_nc_u32_e32 v7, 28, v5
	v_lshlrev_b64_e32 v[14:15], v7, v[48:49]
	s_delay_alu instid0(VALU_DEP_1)
	v_dual_sub_nc_u32 v5, 29, v5 :: v_dual_bitop2_b32 v48, 7, v14 bitop3:0x40
; %bb.295:                              ;   in Loop: Header=BB349_15 Depth=1
	s_or_b32 exec_lo, exec_lo, s19
	v_lshlrev_b32_e32 v0, 24, v0
	s_delay_alu instid0(VALU_DEP_2) | instskip(NEXT) | instid1(VALU_DEP_3)
	v_lshlrev_b32_e32 v7, 20, v48
	v_lshl_add_u32 v5, v5, 23, 0x3c000000
	s_delay_alu instid0(VALU_DEP_3) | instskip(NEXT) | instid1(VALU_DEP_1)
	v_and_b32_e32 v0, 0x80000000, v0
	v_or3_b32 v17, v7, v0, v5
.LBB349_296:                            ;   in Loop: Header=BB349_15 Depth=1
	s_or_b32 exec_lo, exec_lo, s18
.LBB349_297:                            ;   in Loop: Header=BB349_15 Depth=1
	s_delay_alu instid0(SALU_CYCLE_1)
	s_or_b32 exec_lo, exec_lo, s17
.LBB349_298:                            ;   in Loop: Header=BB349_15 Depth=1
	s_delay_alu instid0(SALU_CYCLE_1) | instskip(NEXT) | instid1(SALU_CYCLE_1)
	s_or_b32 exec_lo, exec_lo, s16
	s_mov_b32 s16, exec_lo
	v_cmpx_lt_u32_e32 0xffffff, v12
	s_cbranch_execz .LBB349_306
; %bb.299:                              ;   in Loop: Header=BB349_15 Depth=1
	v_lshrrev_b32_e32 v0, 24, v12
	v_bfrev_b32_e32 v4, 1
	s_mov_b32 s17, exec_lo
	s_delay_alu instid0(VALU_DEP_2)
	v_cmpx_ne_u32_e32 0x80, v0
	s_cbranch_execz .LBB349_305
; %bb.300:                              ;   in Loop: Header=BB349_15 Depth=1
	v_bfe_u32 v5, v12, 24, 7
	v_mov_b32_e32 v4, 0x7f800001
	s_mov_b32 s18, exec_lo
	s_delay_alu instid0(VALU_DEP_2)
	v_cmpx_ne_u32_e32 0x7f, v5
	s_cbranch_execz .LBB349_304
; %bb.301:                              ;   in Loop: Header=BB349_15 Depth=1
	v_dual_lshrrev_b32 v4, 3, v5 :: v_dual_bitop2_b32 v48, 7, v0 bitop3:0x40
	s_mov_b32 s19, exec_lo
	v_cmpx_gt_u32_e32 8, v5
; %bb.302:                              ;   in Loop: Header=BB349_15 Depth=1
	s_delay_alu instid0(VALU_DEP_2) | instskip(NEXT) | instid1(VALU_DEP_1)
	v_clz_i32_u32_e32 v4, v48
	v_min_u32_e32 v4, 32, v4
	s_delay_alu instid0(VALU_DEP_1) | instskip(NEXT) | instid1(VALU_DEP_1)
	v_subrev_nc_u32_e32 v5, 28, v4
	v_lshlrev_b64_e32 v[14:15], v5, v[48:49]
	s_delay_alu instid0(VALU_DEP_1)
	v_dual_sub_nc_u32 v4, 29, v4 :: v_dual_bitop2_b32 v48, 7, v14 bitop3:0x40
; %bb.303:                              ;   in Loop: Header=BB349_15 Depth=1
	s_or_b32 exec_lo, exec_lo, s19
	v_lshlrev_b32_e32 v0, 24, v0
	s_delay_alu instid0(VALU_DEP_2) | instskip(NEXT) | instid1(VALU_DEP_3)
	v_lshlrev_b32_e32 v5, 20, v48
	v_lshl_add_u32 v4, v4, 23, 0x3c000000
	s_delay_alu instid0(VALU_DEP_3) | instskip(NEXT) | instid1(VALU_DEP_1)
	v_and_b32_e32 v0, 0x80000000, v0
	v_or3_b32 v4, v5, v0, v4
.LBB349_304:                            ;   in Loop: Header=BB349_15 Depth=1
	s_or_b32 exec_lo, exec_lo, s18
.LBB349_305:                            ;   in Loop: Header=BB349_15 Depth=1
	s_delay_alu instid0(SALU_CYCLE_1)
	s_or_b32 exec_lo, exec_lo, s17
.LBB349_306:                            ;   in Loop: Header=BB349_15 Depth=1
	s_delay_alu instid0(SALU_CYCLE_1) | instskip(SKIP_4) | instid1(VALU_DEP_3)
	s_or_b32 exec_lo, exec_lo, s16
	v_and_b32_e32 v0, 0xff, v13
	v_dual_mov_b32 v48, v13 :: v_dual_mov_b32 v20, 0
	v_mov_b32_e32 v5, 0
	s_mov_b32 s16, exec_lo
	v_cmpx_ne_u16_e32 0, v0
	s_cbranch_execz .LBB349_314
; %bb.307:                              ;   in Loop: Header=BB349_15 Depth=1
	v_bfrev_b32_e32 v5, 1
	s_mov_b32 s17, exec_lo
	v_cmpx_ne_u16_e32 0x80, v0
	s_cbranch_execz .LBB349_313
; %bb.308:                              ;   in Loop: Header=BB349_15 Depth=1
	v_and_b32_e32 v7, 0x7f, v13
	v_mov_b32_e32 v5, 0x7f800001
	s_mov_b32 s18, exec_lo
	s_delay_alu instid0(VALU_DEP_2)
	v_cmpx_ne_u32_e32 0x7f, v7
	s_cbranch_execz .LBB349_312
; %bb.309:                              ;   in Loop: Header=BB349_15 Depth=1
	v_mov_b64_e32 v[14:15], v[48:49]
	v_lshrrev_b32_e32 v0, 3, v7
	s_mov_b32 s19, exec_lo
	v_cmpx_gt_u32_e32 8, v7
; %bb.310:                              ;   in Loop: Header=BB349_15 Depth=1
	v_and_b32_e32 v0, 7, v13
	s_delay_alu instid0(VALU_DEP_1) | instskip(NEXT) | instid1(VALU_DEP_1)
	v_clz_i32_u32_e32 v0, v0
	v_min_u32_e32 v0, 32, v0
	s_delay_alu instid0(VALU_DEP_1) | instskip(SKIP_1) | instid1(VALU_DEP_2)
	v_subrev_nc_u32_e32 v5, 28, v0
	v_sub_nc_u32_e32 v0, 29, v0
	v_lshlrev_b64_e32 v[14:15], v5, v[48:49]
; %bb.311:                              ;   in Loop: Header=BB349_15 Depth=1
	s_or_b32 exec_lo, exec_lo, s19
	s_delay_alu instid0(VALU_DEP_1) | instskip(NEXT) | instid1(VALU_DEP_3)
	v_dual_lshlrev_b32 v5, 20, v14 :: v_dual_lshlrev_b32 v7, 24, v48
	v_lshl_add_u32 v0, v0, 23, 0x3c000000
	s_delay_alu instid0(VALU_DEP_2) | instskip(NEXT) | instid1(VALU_DEP_3)
	v_and_b32_e32 v5, 0x700000, v5
	v_and_b32_e32 v7, 0x80000000, v7
	s_delay_alu instid0(VALU_DEP_1)
	v_or3_b32 v5, v5, v7, v0
.LBB349_312:                            ;   in Loop: Header=BB349_15 Depth=1
	s_or_b32 exec_lo, exec_lo, s18
.LBB349_313:                            ;   in Loop: Header=BB349_15 Depth=1
	s_delay_alu instid0(SALU_CYCLE_1)
	s_or_b32 exec_lo, exec_lo, s17
.LBB349_314:                            ;   in Loop: Header=BB349_15 Depth=1
	s_delay_alu instid0(SALU_CYCLE_1) | instskip(SKIP_2) | instid1(VALU_DEP_1)
	s_or_b32 exec_lo, exec_lo, s16
	v_lshrrev_b16 v0, 8, v48
	s_mov_b32 s16, exec_lo
	v_cmpx_ne_u16_e32 0, v0
	s_cbranch_execz .LBB349_322
; %bb.315:                              ;   in Loop: Header=BB349_15 Depth=1
	v_bfrev_b32_e32 v20, 1
	s_mov_b32 s17, exec_lo
	v_cmpx_ne_u16_e32 0x80, v0
	s_cbranch_execz .LBB349_321
; %bb.316:                              ;   in Loop: Header=BB349_15 Depth=1
	v_and_b32_e32 v0, 0xffff, v0
	v_mov_b32_e32 v20, 0x7f800001
	s_mov_b32 s18, exec_lo
	s_delay_alu instid0(VALU_DEP_2) | instskip(NEXT) | instid1(VALU_DEP_1)
	v_and_b32_e32 v21, 0x7f, v0
	v_cmpx_ne_u32_e32 0x7f, v21
	s_cbranch_execz .LBB349_320
; %bb.317:                              ;   in Loop: Header=BB349_15 Depth=1
	v_dual_mov_b32 v15, v49 :: v_dual_bitop2_b32 v14, 7, v0 bitop3:0x40
	v_lshrrev_b32_e32 v0, 3, v21
	s_mov_b32 s19, exec_lo
	v_cmpx_gt_u32_e32 8, v21
; %bb.318:                              ;   in Loop: Header=BB349_15 Depth=1
	s_delay_alu instid0(VALU_DEP_3) | instskip(NEXT) | instid1(VALU_DEP_1)
	v_clz_i32_u32_e32 v0, v14
	v_min_u32_e32 v0, 32, v0
	s_delay_alu instid0(VALU_DEP_1) | instskip(NEXT) | instid1(VALU_DEP_1)
	v_subrev_nc_u32_e32 v7, 28, v0
	v_lshlrev_b64_e32 v[14:15], v7, v[14:15]
	s_delay_alu instid0(VALU_DEP_1)
	v_dual_sub_nc_u32 v0, 29, v0 :: v_dual_bitop2_b32 v14, 7, v14 bitop3:0x40
; %bb.319:                              ;   in Loop: Header=BB349_15 Depth=1
	s_or_b32 exec_lo, exec_lo, s19
	s_delay_alu instid0(VALU_DEP_1) | instskip(NEXT) | instid1(VALU_DEP_2)
	v_dual_lshlrev_b32 v7, 16, v48 :: v_dual_lshlrev_b32 v10, 20, v14
	v_lshl_add_u32 v0, v0, 23, 0x3c000000
	s_delay_alu instid0(VALU_DEP_2) | instskip(NEXT) | instid1(VALU_DEP_1)
	v_and_b32_e32 v7, 0x80000000, v7
	v_or3_b32 v20, v10, v7, v0
.LBB349_320:                            ;   in Loop: Header=BB349_15 Depth=1
	s_or_b32 exec_lo, exec_lo, s18
.LBB349_321:                            ;   in Loop: Header=BB349_15 Depth=1
	s_delay_alu instid0(SALU_CYCLE_1)
	s_or_b32 exec_lo, exec_lo, s17
.LBB349_322:                            ;   in Loop: Header=BB349_15 Depth=1
	s_delay_alu instid0(SALU_CYCLE_1) | instskip(SKIP_3) | instid1(VALU_DEP_2)
	s_or_b32 exec_lo, exec_lo, s16
	v_dual_mov_b32 v21, 0 :: v_dual_lshrrev_b32 v0, 16, v13
	v_mov_b32_e32 v39, 0
	s_mov_b32 s16, exec_lo
	v_and_b32_e32 v7, 0xff, v0
	s_delay_alu instid0(VALU_DEP_1)
	v_cmpx_ne_u16_e32 0, v7
	s_cbranch_execz .LBB349_330
; %bb.323:                              ;   in Loop: Header=BB349_15 Depth=1
	v_bfrev_b32_e32 v39, 1
	s_mov_b32 s17, exec_lo
	v_cmpx_ne_u16_e32 0x80, v7
	s_cbranch_execz .LBB349_329
; %bb.324:                              ;   in Loop: Header=BB349_15 Depth=1
	v_bfe_u32 v15, v13, 16, 7
	v_mov_b32_e32 v39, 0x7f800001
	s_mov_b32 s18, exec_lo
	s_delay_alu instid0(VALU_DEP_2)
	v_cmpx_ne_u32_e32 0x7f, v15
	s_cbranch_execz .LBB349_328
; %bb.325:                              ;   in Loop: Header=BB349_15 Depth=1
	v_dual_lshrrev_b32 v14, 3, v15 :: v_dual_bitop2_b32 v48, 7, v0 bitop3:0x40
	s_mov_b32 s19, exec_lo
	v_cmpx_gt_u32_e32 8, v15
; %bb.326:                              ;   in Loop: Header=BB349_15 Depth=1
	s_delay_alu instid0(VALU_DEP_2) | instskip(NEXT) | instid1(VALU_DEP_1)
	v_clz_i32_u32_e32 v7, v48
	v_min_u32_e32 v7, 32, v7
	s_delay_alu instid0(VALU_DEP_1) | instskip(NEXT) | instid1(VALU_DEP_1)
	v_subrev_nc_u32_e32 v10, 28, v7
	v_lshlrev_b64_e32 v[28:29], v10, v[48:49]
	s_delay_alu instid0(VALU_DEP_1)
	v_dual_sub_nc_u32 v14, 29, v7 :: v_dual_bitop2_b32 v48, 7, v28 bitop3:0x40
; %bb.327:                              ;   in Loop: Header=BB349_15 Depth=1
	s_or_b32 exec_lo, exec_lo, s19
	v_lshlrev_b32_e32 v0, 24, v0
	s_delay_alu instid0(VALU_DEP_2) | instskip(NEXT) | instid1(VALU_DEP_3)
	v_lshlrev_b32_e32 v7, 20, v48
	v_lshl_add_u32 v10, v14, 23, 0x3c000000
	s_delay_alu instid0(VALU_DEP_3) | instskip(NEXT) | instid1(VALU_DEP_1)
	v_and_b32_e32 v0, 0x80000000, v0
	v_or3_b32 v39, v7, v0, v10
.LBB349_328:                            ;   in Loop: Header=BB349_15 Depth=1
	s_or_b32 exec_lo, exec_lo, s18
.LBB349_329:                            ;   in Loop: Header=BB349_15 Depth=1
	s_delay_alu instid0(SALU_CYCLE_1)
	s_or_b32 exec_lo, exec_lo, s17
.LBB349_330:                            ;   in Loop: Header=BB349_15 Depth=1
	s_delay_alu instid0(SALU_CYCLE_1) | instskip(NEXT) | instid1(SALU_CYCLE_1)
	s_or_b32 exec_lo, exec_lo, s16
	s_mov_b32 s16, exec_lo
	v_cmpx_lt_u64_e64 s[8:9], v[12:13]
	s_cbranch_execz .LBB349_338
; %bb.331:                              ;   in Loop: Header=BB349_15 Depth=1
	v_lshrrev_b32_e32 v0, 24, v13
	v_bfrev_b32_e32 v21, 1
	s_mov_b32 s17, exec_lo
	s_delay_alu instid0(VALU_DEP_2)
	v_cmpx_ne_u32_e32 0x80, v0
	s_cbranch_execz .LBB349_337
; %bb.332:                              ;   in Loop: Header=BB349_15 Depth=1
	v_bfe_u32 v13, v13, 24, 7
	v_mov_b32_e32 v21, 0x7f800001
	s_mov_b32 s18, exec_lo
	s_delay_alu instid0(VALU_DEP_2)
	v_cmpx_ne_u32_e32 0x7f, v13
	s_cbranch_execz .LBB349_336
; %bb.333:                              ;   in Loop: Header=BB349_15 Depth=1
	v_dual_lshrrev_b32 v12, 3, v13 :: v_dual_bitop2_b32 v48, 7, v0 bitop3:0x40
	s_mov_b32 s19, exec_lo
	v_cmpx_gt_u32_e32 8, v13
; %bb.334:                              ;   in Loop: Header=BB349_15 Depth=1
	s_delay_alu instid0(VALU_DEP_2) | instskip(NEXT) | instid1(VALU_DEP_1)
	v_clz_i32_u32_e32 v7, v48
	v_min_u32_e32 v7, 32, v7
	s_delay_alu instid0(VALU_DEP_1) | instskip(NEXT) | instid1(VALU_DEP_1)
	v_subrev_nc_u32_e32 v10, 28, v7
	v_lshlrev_b64_e32 v[14:15], v10, v[48:49]
	s_delay_alu instid0(VALU_DEP_1)
	v_dual_sub_nc_u32 v12, 29, v7 :: v_dual_bitop2_b32 v48, 7, v14 bitop3:0x40
; %bb.335:                              ;   in Loop: Header=BB349_15 Depth=1
	s_or_b32 exec_lo, exec_lo, s19
	v_lshlrev_b32_e32 v0, 24, v0
	s_delay_alu instid0(VALU_DEP_2) | instskip(NEXT) | instid1(VALU_DEP_3)
	v_lshlrev_b32_e32 v7, 20, v48
	v_lshl_add_u32 v10, v12, 23, 0x3c000000
	s_delay_alu instid0(VALU_DEP_3) | instskip(NEXT) | instid1(VALU_DEP_1)
	v_and_b32_e32 v0, 0x80000000, v0
	v_or3_b32 v21, v7, v0, v10
.LBB349_336:                            ;   in Loop: Header=BB349_15 Depth=1
	s_or_b32 exec_lo, exec_lo, s18
.LBB349_337:                            ;   in Loop: Header=BB349_15 Depth=1
	s_delay_alu instid0(SALU_CYCLE_1)
	s_or_b32 exec_lo, exec_lo, s17
.LBB349_338:                            ;   in Loop: Header=BB349_15 Depth=1
	s_delay_alu instid0(SALU_CYCLE_1)
	s_or_b32 exec_lo, exec_lo, s16
	flat_load_b64 v[28:29], v[70:71] offset:1032
	v_dual_mov_b32 v99, 0 :: v_dual_mov_b32 v98, 0
	s_mov_b32 s16, exec_lo
	s_wait_loadcnt_dscnt 0x0
	v_and_b32_e32 v0, 0xff, v28
	s_wait_xcnt 0x0
	s_delay_alu instid0(VALU_DEP_1)
	v_cmpx_ne_u16_e32 0, v0
	s_cbranch_execz .LBB349_346
; %bb.339:                              ;   in Loop: Header=BB349_15 Depth=1
	v_bfrev_b32_e32 v98, 1
	s_mov_b32 s17, exec_lo
	v_cmpx_ne_u16_e32 0x80, v0
	s_cbranch_execz .LBB349_345
; %bb.340:                              ;   in Loop: Header=BB349_15 Depth=1
	v_and_b32_e32 v7, 0x7f, v28
	v_mov_b32_e32 v98, 0x7f800001
	s_mov_b32 s18, exec_lo
	s_delay_alu instid0(VALU_DEP_2)
	v_cmpx_ne_u32_e32 0x7f, v7
	s_cbranch_execz .LBB349_344
; %bb.341:                              ;   in Loop: Header=BB349_15 Depth=1
	v_mov_b64_e32 v[12:13], v[28:29]
	v_lshrrev_b32_e32 v0, 3, v7
	s_mov_b32 s19, exec_lo
	v_cmpx_gt_u32_e32 8, v7
; %bb.342:                              ;   in Loop: Header=BB349_15 Depth=1
	v_and_b32_e32 v0, 7, v28
	s_delay_alu instid0(VALU_DEP_1) | instskip(NEXT) | instid1(VALU_DEP_1)
	v_clz_i32_u32_e32 v0, v0
	v_min_u32_e32 v0, 32, v0
	s_delay_alu instid0(VALU_DEP_1) | instskip(SKIP_1) | instid1(VALU_DEP_2)
	v_subrev_nc_u32_e32 v7, 28, v0
	v_sub_nc_u32_e32 v0, 29, v0
	v_lshlrev_b64_e32 v[12:13], v7, v[28:29]
; %bb.343:                              ;   in Loop: Header=BB349_15 Depth=1
	s_or_b32 exec_lo, exec_lo, s19
	s_delay_alu instid0(VALU_DEP_1) | instskip(SKIP_2) | instid1(VALU_DEP_3)
	v_lshlrev_b32_e32 v7, 20, v12
	v_lshlrev_b32_e32 v10, 24, v28
	v_lshl_add_u32 v0, v0, 23, 0x3c000000
	v_and_b32_e32 v7, 0x700000, v7
	s_delay_alu instid0(VALU_DEP_3) | instskip(NEXT) | instid1(VALU_DEP_1)
	v_and_b32_e32 v10, 0x80000000, v10
	v_or3_b32 v98, v7, v10, v0
.LBB349_344:                            ;   in Loop: Header=BB349_15 Depth=1
	s_or_b32 exec_lo, exec_lo, s18
.LBB349_345:                            ;   in Loop: Header=BB349_15 Depth=1
	s_delay_alu instid0(SALU_CYCLE_1)
	s_or_b32 exec_lo, exec_lo, s17
.LBB349_346:                            ;   in Loop: Header=BB349_15 Depth=1
	s_delay_alu instid0(SALU_CYCLE_1) | instskip(SKIP_2) | instid1(VALU_DEP_1)
	s_or_b32 exec_lo, exec_lo, s16
	v_lshrrev_b16 v0, 8, v28
	s_mov_b32 s16, exec_lo
	v_cmpx_ne_u16_e32 0, v0
	s_cbranch_execz .LBB349_354
; %bb.347:                              ;   in Loop: Header=BB349_15 Depth=1
	v_bfrev_b32_e32 v99, 1
	s_mov_b32 s17, exec_lo
	v_cmpx_ne_u16_e32 0x80, v0
	s_cbranch_execz .LBB349_353
; %bb.348:                              ;   in Loop: Header=BB349_15 Depth=1
	v_and_b32_e32 v0, 0xffff, v0
	v_mov_b32_e32 v99, 0x7f800001
	s_mov_b32 s18, exec_lo
	s_delay_alu instid0(VALU_DEP_2) | instskip(NEXT) | instid1(VALU_DEP_1)
	v_and_b32_e32 v12, 0x7f, v0
	v_cmpx_ne_u32_e32 0x7f, v12
	s_cbranch_execz .LBB349_352
; %bb.349:                              ;   in Loop: Header=BB349_15 Depth=1
	v_and_b32_e32 v48, 7, v0
	v_lshrrev_b32_e32 v0, 3, v12
	s_mov_b32 s19, exec_lo
	v_cmpx_gt_u32_e32 8, v12
; %bb.350:                              ;   in Loop: Header=BB349_15 Depth=1
	s_delay_alu instid0(VALU_DEP_3) | instskip(NEXT) | instid1(VALU_DEP_1)
	v_clz_i32_u32_e32 v0, v48
	v_min_u32_e32 v0, 32, v0
	s_delay_alu instid0(VALU_DEP_1) | instskip(SKIP_1) | instid1(VALU_DEP_2)
	v_subrev_nc_u32_e32 v7, 28, v0
	v_sub_nc_u32_e32 v0, 29, v0
	v_lshlrev_b64_e32 v[12:13], v7, v[48:49]
	s_delay_alu instid0(VALU_DEP_1)
	v_and_b32_e32 v48, 7, v12
; %bb.351:                              ;   in Loop: Header=BB349_15 Depth=1
	s_or_b32 exec_lo, exec_lo, s19
	v_lshlrev_b32_e32 v7, 16, v28
	s_delay_alu instid0(VALU_DEP_2) | instskip(SKIP_1) | instid1(VALU_DEP_3)
	v_lshlrev_b32_e32 v10, 20, v48
	v_lshl_add_u32 v0, v0, 23, 0x3c000000
	v_and_b32_e32 v7, 0x80000000, v7
	s_delay_alu instid0(VALU_DEP_1)
	v_or3_b32 v99, v10, v7, v0
.LBB349_352:                            ;   in Loop: Header=BB349_15 Depth=1
	s_or_b32 exec_lo, exec_lo, s18
.LBB349_353:                            ;   in Loop: Header=BB349_15 Depth=1
	s_delay_alu instid0(SALU_CYCLE_1)
	s_or_b32 exec_lo, exec_lo, s17
.LBB349_354:                            ;   in Loop: Header=BB349_15 Depth=1
	s_delay_alu instid0(SALU_CYCLE_1) | instskip(SKIP_3) | instid1(VALU_DEP_2)
	s_or_b32 exec_lo, exec_lo, s16
	v_dual_mov_b32 v13, 0 :: v_dual_lshrrev_b32 v0, 16, v28
	v_mov_b32_e32 v12, 0
	s_mov_b32 s16, exec_lo
	v_and_b32_e32 v7, 0xff, v0
	s_delay_alu instid0(VALU_DEP_1)
	v_cmpx_ne_u16_e32 0, v7
	s_cbranch_execz .LBB349_362
; %bb.355:                              ;   in Loop: Header=BB349_15 Depth=1
	v_bfrev_b32_e32 v12, 1
	s_mov_b32 s17, exec_lo
	v_cmpx_ne_u16_e32 0x80, v7
	s_cbranch_execz .LBB349_361
; %bb.356:                              ;   in Loop: Header=BB349_15 Depth=1
	v_bfe_u32 v14, v28, 16, 7
	v_mov_b32_e32 v12, 0x7f800001
	s_mov_b32 s18, exec_lo
	s_delay_alu instid0(VALU_DEP_2)
	v_cmpx_ne_u32_e32 0x7f, v14
	s_cbranch_execz .LBB349_360
; %bb.357:                              ;   in Loop: Header=BB349_15 Depth=1
	v_dual_lshrrev_b32 v12, 3, v14 :: v_dual_bitop2_b32 v48, 7, v0 bitop3:0x40
	s_mov_b32 s19, exec_lo
	v_cmpx_gt_u32_e32 8, v14
; %bb.358:                              ;   in Loop: Header=BB349_15 Depth=1
	s_delay_alu instid0(VALU_DEP_2) | instskip(NEXT) | instid1(VALU_DEP_1)
	v_clz_i32_u32_e32 v7, v48
	v_min_u32_e32 v7, 32, v7
	s_delay_alu instid0(VALU_DEP_1) | instskip(NEXT) | instid1(VALU_DEP_1)
	v_subrev_nc_u32_e32 v10, 28, v7
	v_lshlrev_b64_e32 v[14:15], v10, v[48:49]
	s_delay_alu instid0(VALU_DEP_1)
	v_dual_sub_nc_u32 v12, 29, v7 :: v_dual_bitop2_b32 v48, 7, v14 bitop3:0x40
; %bb.359:                              ;   in Loop: Header=BB349_15 Depth=1
	s_or_b32 exec_lo, exec_lo, s19
	v_lshlrev_b32_e32 v0, 24, v0
	s_delay_alu instid0(VALU_DEP_2) | instskip(NEXT) | instid1(VALU_DEP_3)
	v_lshlrev_b32_e32 v7, 20, v48
	v_lshl_add_u32 v10, v12, 23, 0x3c000000
	s_delay_alu instid0(VALU_DEP_3) | instskip(NEXT) | instid1(VALU_DEP_1)
	v_and_b32_e32 v0, 0x80000000, v0
	v_or3_b32 v12, v7, v0, v10
.LBB349_360:                            ;   in Loop: Header=BB349_15 Depth=1
	s_or_b32 exec_lo, exec_lo, s18
.LBB349_361:                            ;   in Loop: Header=BB349_15 Depth=1
	s_delay_alu instid0(SALU_CYCLE_1)
	s_or_b32 exec_lo, exec_lo, s17
.LBB349_362:                            ;   in Loop: Header=BB349_15 Depth=1
	s_delay_alu instid0(SALU_CYCLE_1) | instskip(NEXT) | instid1(SALU_CYCLE_1)
	s_or_b32 exec_lo, exec_lo, s16
	s_mov_b32 s16, exec_lo
	v_cmpx_lt_u32_e32 0xffffff, v28
	s_cbranch_execz .LBB349_370
; %bb.363:                              ;   in Loop: Header=BB349_15 Depth=1
	v_lshrrev_b32_e32 v0, 24, v28
	v_bfrev_b32_e32 v13, 1
	s_mov_b32 s17, exec_lo
	s_delay_alu instid0(VALU_DEP_2)
	v_cmpx_ne_u32_e32 0x80, v0
	s_cbranch_execz .LBB349_369
; %bb.364:                              ;   in Loop: Header=BB349_15 Depth=1
	v_bfe_u32 v14, v28, 24, 7
	v_mov_b32_e32 v13, 0x7f800001
	s_mov_b32 s18, exec_lo
	s_delay_alu instid0(VALU_DEP_2)
	v_cmpx_ne_u32_e32 0x7f, v14
	s_cbranch_execz .LBB349_368
; %bb.365:                              ;   in Loop: Header=BB349_15 Depth=1
	v_dual_lshrrev_b32 v13, 3, v14 :: v_dual_bitop2_b32 v48, 7, v0 bitop3:0x40
	s_mov_b32 s19, exec_lo
	v_cmpx_gt_u32_e32 8, v14
; %bb.366:                              ;   in Loop: Header=BB349_15 Depth=1
	s_delay_alu instid0(VALU_DEP_2) | instskip(NEXT) | instid1(VALU_DEP_1)
	v_clz_i32_u32_e32 v7, v48
	v_min_u32_e32 v7, 32, v7
	s_delay_alu instid0(VALU_DEP_1) | instskip(NEXT) | instid1(VALU_DEP_1)
	v_subrev_nc_u32_e32 v10, 28, v7
	v_lshlrev_b64_e32 v[14:15], v10, v[48:49]
	s_delay_alu instid0(VALU_DEP_1)
	v_dual_sub_nc_u32 v13, 29, v7 :: v_dual_bitop2_b32 v48, 7, v14 bitop3:0x40
; %bb.367:                              ;   in Loop: Header=BB349_15 Depth=1
	s_or_b32 exec_lo, exec_lo, s19
	v_lshlrev_b32_e32 v0, 24, v0
	s_delay_alu instid0(VALU_DEP_2) | instskip(NEXT) | instid1(VALU_DEP_3)
	v_lshlrev_b32_e32 v7, 20, v48
	v_lshl_add_u32 v10, v13, 23, 0x3c000000
	s_delay_alu instid0(VALU_DEP_3) | instskip(NEXT) | instid1(VALU_DEP_1)
	v_and_b32_e32 v0, 0x80000000, v0
	v_or3_b32 v13, v7, v0, v10
.LBB349_368:                            ;   in Loop: Header=BB349_15 Depth=1
	s_or_b32 exec_lo, exec_lo, s18
.LBB349_369:                            ;   in Loop: Header=BB349_15 Depth=1
	s_delay_alu instid0(SALU_CYCLE_1)
	s_or_b32 exec_lo, exec_lo, s17
.LBB349_370:                            ;   in Loop: Header=BB349_15 Depth=1
	s_delay_alu instid0(SALU_CYCLE_1) | instskip(SKIP_4) | instid1(VALU_DEP_3)
	s_or_b32 exec_lo, exec_lo, s16
	v_and_b32_e32 v0, 0xff, v29
	v_dual_mov_b32 v48, v29 :: v_dual_mov_b32 v101, 0
	v_mov_b32_e32 v100, 0
	s_mov_b32 s16, exec_lo
	v_cmpx_ne_u16_e32 0, v0
	s_cbranch_execz .LBB349_378
; %bb.371:                              ;   in Loop: Header=BB349_15 Depth=1
	v_bfrev_b32_e32 v100, 1
	s_mov_b32 s17, exec_lo
	v_cmpx_ne_u16_e32 0x80, v0
	s_cbranch_execz .LBB349_377
; %bb.372:                              ;   in Loop: Header=BB349_15 Depth=1
	v_and_b32_e32 v7, 0x7f, v29
	v_mov_b32_e32 v100, 0x7f800001
	s_mov_b32 s18, exec_lo
	s_delay_alu instid0(VALU_DEP_2)
	v_cmpx_ne_u32_e32 0x7f, v7
	s_cbranch_execz .LBB349_376
; %bb.373:                              ;   in Loop: Header=BB349_15 Depth=1
	v_mov_b64_e32 v[14:15], v[48:49]
	v_lshrrev_b32_e32 v0, 3, v7
	s_mov_b32 s19, exec_lo
	v_cmpx_gt_u32_e32 8, v7
; %bb.374:                              ;   in Loop: Header=BB349_15 Depth=1
	v_and_b32_e32 v0, 7, v29
	s_delay_alu instid0(VALU_DEP_1) | instskip(NEXT) | instid1(VALU_DEP_1)
	v_clz_i32_u32_e32 v0, v0
	v_min_u32_e32 v0, 32, v0
	s_delay_alu instid0(VALU_DEP_1) | instskip(SKIP_1) | instid1(VALU_DEP_2)
	v_subrev_nc_u32_e32 v7, 28, v0
	v_sub_nc_u32_e32 v0, 29, v0
	v_lshlrev_b64_e32 v[14:15], v7, v[48:49]
; %bb.375:                              ;   in Loop: Header=BB349_15 Depth=1
	s_or_b32 exec_lo, exec_lo, s19
	s_delay_alu instid0(VALU_DEP_1) | instskip(NEXT) | instid1(VALU_DEP_3)
	v_dual_lshlrev_b32 v7, 20, v14 :: v_dual_lshlrev_b32 v10, 24, v48
	v_lshl_add_u32 v0, v0, 23, 0x3c000000
	s_delay_alu instid0(VALU_DEP_2) | instskip(NEXT) | instid1(VALU_DEP_3)
	v_and_b32_e32 v7, 0x700000, v7
	v_and_b32_e32 v10, 0x80000000, v10
	s_delay_alu instid0(VALU_DEP_1)
	v_or3_b32 v100, v7, v10, v0
.LBB349_376:                            ;   in Loop: Header=BB349_15 Depth=1
	s_or_b32 exec_lo, exec_lo, s18
.LBB349_377:                            ;   in Loop: Header=BB349_15 Depth=1
	s_delay_alu instid0(SALU_CYCLE_1)
	s_or_b32 exec_lo, exec_lo, s17
.LBB349_378:                            ;   in Loop: Header=BB349_15 Depth=1
	s_delay_alu instid0(SALU_CYCLE_1) | instskip(SKIP_2) | instid1(VALU_DEP_1)
	s_or_b32 exec_lo, exec_lo, s16
	v_lshrrev_b16 v0, 8, v48
	s_mov_b32 s16, exec_lo
	v_cmpx_ne_u16_e32 0, v0
	s_cbranch_execz .LBB349_386
; %bb.379:                              ;   in Loop: Header=BB349_15 Depth=1
	v_bfrev_b32_e32 v101, 1
	s_mov_b32 s17, exec_lo
	v_cmpx_ne_u16_e32 0x80, v0
	s_cbranch_execz .LBB349_385
; %bb.380:                              ;   in Loop: Header=BB349_15 Depth=1
	v_and_b32_e32 v0, 0xffff, v0
	v_mov_b32_e32 v101, 0x7f800001
	s_mov_b32 s18, exec_lo
	s_delay_alu instid0(VALU_DEP_2) | instskip(NEXT) | instid1(VALU_DEP_1)
	v_and_b32_e32 v30, 0x7f, v0
	v_cmpx_ne_u32_e32 0x7f, v30
	s_cbranch_execz .LBB349_384
; %bb.381:                              ;   in Loop: Header=BB349_15 Depth=1
	v_dual_mov_b32 v15, v49 :: v_dual_bitop2_b32 v14, 7, v0 bitop3:0x40
	v_lshrrev_b32_e32 v0, 3, v30
	s_mov_b32 s19, exec_lo
	v_cmpx_gt_u32_e32 8, v30
; %bb.382:                              ;   in Loop: Header=BB349_15 Depth=1
	s_delay_alu instid0(VALU_DEP_3) | instskip(NEXT) | instid1(VALU_DEP_1)
	v_clz_i32_u32_e32 v0, v14
	v_min_u32_e32 v0, 32, v0
	s_delay_alu instid0(VALU_DEP_1) | instskip(NEXT) | instid1(VALU_DEP_1)
	v_subrev_nc_u32_e32 v7, 28, v0
	v_lshlrev_b64_e32 v[14:15], v7, v[14:15]
	s_delay_alu instid0(VALU_DEP_1)
	v_dual_sub_nc_u32 v0, 29, v0 :: v_dual_bitop2_b32 v14, 7, v14 bitop3:0x40
; %bb.383:                              ;   in Loop: Header=BB349_15 Depth=1
	s_or_b32 exec_lo, exec_lo, s19
	s_delay_alu instid0(VALU_DEP_1) | instskip(NEXT) | instid1(VALU_DEP_2)
	v_dual_lshlrev_b32 v7, 16, v48 :: v_dual_lshlrev_b32 v10, 20, v14
	v_lshl_add_u32 v0, v0, 23, 0x3c000000
	s_delay_alu instid0(VALU_DEP_2) | instskip(NEXT) | instid1(VALU_DEP_1)
	v_and_b32_e32 v7, 0x80000000, v7
	v_or3_b32 v101, v10, v7, v0
.LBB349_384:                            ;   in Loop: Header=BB349_15 Depth=1
	s_or_b32 exec_lo, exec_lo, s18
.LBB349_385:                            ;   in Loop: Header=BB349_15 Depth=1
	s_delay_alu instid0(SALU_CYCLE_1)
	s_or_b32 exec_lo, exec_lo, s17
.LBB349_386:                            ;   in Loop: Header=BB349_15 Depth=1
	s_delay_alu instid0(SALU_CYCLE_1) | instskip(SKIP_3) | instid1(VALU_DEP_2)
	s_or_b32 exec_lo, exec_lo, s16
	v_dual_mov_b32 v15, 0 :: v_dual_lshrrev_b32 v0, 16, v29
	v_mov_b32_e32 v14, 0
	s_mov_b32 s16, exec_lo
	v_and_b32_e32 v7, 0xff, v0
	s_delay_alu instid0(VALU_DEP_1)
	v_cmpx_ne_u16_e32 0, v7
	s_cbranch_execz .LBB349_394
; %bb.387:                              ;   in Loop: Header=BB349_15 Depth=1
	v_bfrev_b32_e32 v14, 1
	s_mov_b32 s17, exec_lo
	v_cmpx_ne_u16_e32 0x80, v7
	s_cbranch_execz .LBB349_393
; %bb.388:                              ;   in Loop: Header=BB349_15 Depth=1
	v_bfe_u32 v30, v29, 16, 7
	v_mov_b32_e32 v14, 0x7f800001
	s_mov_b32 s18, exec_lo
	s_delay_alu instid0(VALU_DEP_2)
	v_cmpx_ne_u32_e32 0x7f, v30
	s_cbranch_execz .LBB349_392
; %bb.389:                              ;   in Loop: Header=BB349_15 Depth=1
	v_dual_lshrrev_b32 v14, 3, v30 :: v_dual_bitop2_b32 v48, 7, v0 bitop3:0x40
	s_mov_b32 s19, exec_lo
	v_cmpx_gt_u32_e32 8, v30
; %bb.390:                              ;   in Loop: Header=BB349_15 Depth=1
	s_delay_alu instid0(VALU_DEP_2) | instskip(NEXT) | instid1(VALU_DEP_1)
	v_clz_i32_u32_e32 v7, v48
	v_min_u32_e32 v7, 32, v7
	s_delay_alu instid0(VALU_DEP_1) | instskip(NEXT) | instid1(VALU_DEP_1)
	v_subrev_nc_u32_e32 v10, 28, v7
	v_lshlrev_b64_e32 v[30:31], v10, v[48:49]
	s_delay_alu instid0(VALU_DEP_1)
	v_dual_sub_nc_u32 v14, 29, v7 :: v_dual_bitop2_b32 v48, 7, v30 bitop3:0x40
; %bb.391:                              ;   in Loop: Header=BB349_15 Depth=1
	s_or_b32 exec_lo, exec_lo, s19
	v_lshlrev_b32_e32 v0, 24, v0
	s_delay_alu instid0(VALU_DEP_2) | instskip(NEXT) | instid1(VALU_DEP_3)
	v_lshlrev_b32_e32 v7, 20, v48
	v_lshl_add_u32 v10, v14, 23, 0x3c000000
	s_delay_alu instid0(VALU_DEP_3) | instskip(NEXT) | instid1(VALU_DEP_1)
	v_and_b32_e32 v0, 0x80000000, v0
	v_or3_b32 v14, v7, v0, v10
.LBB349_392:                            ;   in Loop: Header=BB349_15 Depth=1
	s_or_b32 exec_lo, exec_lo, s18
.LBB349_393:                            ;   in Loop: Header=BB349_15 Depth=1
	s_delay_alu instid0(SALU_CYCLE_1)
	s_or_b32 exec_lo, exec_lo, s17
.LBB349_394:                            ;   in Loop: Header=BB349_15 Depth=1
	s_delay_alu instid0(SALU_CYCLE_1) | instskip(NEXT) | instid1(SALU_CYCLE_1)
	s_or_b32 exec_lo, exec_lo, s16
	s_mov_b32 s16, exec_lo
	v_cmpx_lt_u64_e64 s[8:9], v[28:29]
	s_cbranch_execz .LBB349_402
; %bb.395:                              ;   in Loop: Header=BB349_15 Depth=1
	v_lshrrev_b32_e32 v0, 24, v29
	v_bfrev_b32_e32 v15, 1
	s_mov_b32 s17, exec_lo
	s_delay_alu instid0(VALU_DEP_2)
	v_cmpx_ne_u32_e32 0x80, v0
	s_cbranch_execz .LBB349_401
; %bb.396:                              ;   in Loop: Header=BB349_15 Depth=1
	v_bfe_u32 v28, v29, 24, 7
	v_mov_b32_e32 v15, 0x7f800001
	s_mov_b32 s18, exec_lo
	s_delay_alu instid0(VALU_DEP_2)
	v_cmpx_ne_u32_e32 0x7f, v28
	s_cbranch_execz .LBB349_400
; %bb.397:                              ;   in Loop: Header=BB349_15 Depth=1
	v_and_b32_e32 v48, 7, v0
	v_lshrrev_b32_e32 v15, 3, v28
	s_mov_b32 s19, exec_lo
	v_cmpx_gt_u32_e32 8, v28
; %bb.398:                              ;   in Loop: Header=BB349_15 Depth=1
	s_delay_alu instid0(VALU_DEP_3) | instskip(NEXT) | instid1(VALU_DEP_1)
	v_clz_i32_u32_e32 v7, v48
	v_min_u32_e32 v7, 32, v7
	s_delay_alu instid0(VALU_DEP_1) | instskip(NEXT) | instid1(VALU_DEP_1)
	v_subrev_nc_u32_e32 v10, 28, v7
	v_lshlrev_b64_e32 v[28:29], v10, v[48:49]
	s_delay_alu instid0(VALU_DEP_1)
	v_dual_sub_nc_u32 v15, 29, v7 :: v_dual_bitop2_b32 v48, 7, v28 bitop3:0x40
; %bb.399:                              ;   in Loop: Header=BB349_15 Depth=1
	s_or_b32 exec_lo, exec_lo, s19
	v_lshlrev_b32_e32 v0, 24, v0
	s_delay_alu instid0(VALU_DEP_2) | instskip(NEXT) | instid1(VALU_DEP_3)
	v_lshlrev_b32_e32 v7, 20, v48
	v_lshl_add_u32 v10, v15, 23, 0x3c000000
	s_delay_alu instid0(VALU_DEP_3) | instskip(NEXT) | instid1(VALU_DEP_1)
	v_and_b32_e32 v0, 0x80000000, v0
	v_or3_b32 v15, v7, v0, v10
.LBB349_400:                            ;   in Loop: Header=BB349_15 Depth=1
	s_or_b32 exec_lo, exec_lo, s18
.LBB349_401:                            ;   in Loop: Header=BB349_15 Depth=1
	s_delay_alu instid0(SALU_CYCLE_1)
	s_or_b32 exec_lo, exec_lo, s17
.LBB349_402:                            ;   in Loop: Header=BB349_15 Depth=1
	s_delay_alu instid0(SALU_CYCLE_1)
	s_or_b32 exec_lo, exec_lo, s16
	flat_load_b64 v[32:33], v[70:71] offset:1536
	v_dual_mov_b32 v103, 0 :: v_dual_mov_b32 v102, 0
	s_mov_b32 s16, exec_lo
	s_wait_loadcnt_dscnt 0x0
	v_and_b32_e32 v0, 0xff, v32
	s_wait_xcnt 0x0
	s_delay_alu instid0(VALU_DEP_1)
	v_cmpx_ne_u16_e32 0, v0
	s_cbranch_execz .LBB349_410
; %bb.403:                              ;   in Loop: Header=BB349_15 Depth=1
	v_bfrev_b32_e32 v102, 1
	s_mov_b32 s17, exec_lo
	v_cmpx_ne_u16_e32 0x80, v0
	s_cbranch_execz .LBB349_409
; %bb.404:                              ;   in Loop: Header=BB349_15 Depth=1
	v_and_b32_e32 v7, 0x7f, v32
	v_mov_b32_e32 v102, 0x7f800001
	s_mov_b32 s18, exec_lo
	s_delay_alu instid0(VALU_DEP_2)
	v_cmpx_ne_u32_e32 0x7f, v7
	s_cbranch_execz .LBB349_408
; %bb.405:                              ;   in Loop: Header=BB349_15 Depth=1
	v_mov_b64_e32 v[28:29], v[32:33]
	v_lshrrev_b32_e32 v0, 3, v7
	s_mov_b32 s19, exec_lo
	v_cmpx_gt_u32_e32 8, v7
; %bb.406:                              ;   in Loop: Header=BB349_15 Depth=1
	v_and_b32_e32 v0, 7, v32
	s_delay_alu instid0(VALU_DEP_1) | instskip(NEXT) | instid1(VALU_DEP_1)
	v_clz_i32_u32_e32 v0, v0
	v_min_u32_e32 v0, 32, v0
	s_delay_alu instid0(VALU_DEP_1) | instskip(SKIP_1) | instid1(VALU_DEP_2)
	v_subrev_nc_u32_e32 v7, 28, v0
	v_sub_nc_u32_e32 v0, 29, v0
	v_lshlrev_b64_e32 v[28:29], v7, v[32:33]
; %bb.407:                              ;   in Loop: Header=BB349_15 Depth=1
	s_or_b32 exec_lo, exec_lo, s19
	s_delay_alu instid0(VALU_DEP_1) | instskip(SKIP_2) | instid1(VALU_DEP_3)
	v_lshlrev_b32_e32 v7, 20, v28
	v_lshlrev_b32_e32 v10, 24, v32
	v_lshl_add_u32 v0, v0, 23, 0x3c000000
	v_and_b32_e32 v7, 0x700000, v7
	s_delay_alu instid0(VALU_DEP_3) | instskip(NEXT) | instid1(VALU_DEP_1)
	v_and_b32_e32 v10, 0x80000000, v10
	v_or3_b32 v102, v7, v10, v0
.LBB349_408:                            ;   in Loop: Header=BB349_15 Depth=1
	s_or_b32 exec_lo, exec_lo, s18
.LBB349_409:                            ;   in Loop: Header=BB349_15 Depth=1
	s_delay_alu instid0(SALU_CYCLE_1)
	s_or_b32 exec_lo, exec_lo, s17
.LBB349_410:                            ;   in Loop: Header=BB349_15 Depth=1
	s_delay_alu instid0(SALU_CYCLE_1) | instskip(SKIP_2) | instid1(VALU_DEP_1)
	s_or_b32 exec_lo, exec_lo, s16
	v_lshrrev_b16 v0, 8, v32
	s_mov_b32 s16, exec_lo
	v_cmpx_ne_u16_e32 0, v0
	s_cbranch_execz .LBB349_418
; %bb.411:                              ;   in Loop: Header=BB349_15 Depth=1
	v_bfrev_b32_e32 v103, 1
	s_mov_b32 s17, exec_lo
	v_cmpx_ne_u16_e32 0x80, v0
	s_cbranch_execz .LBB349_417
; %bb.412:                              ;   in Loop: Header=BB349_15 Depth=1
	v_and_b32_e32 v0, 0xffff, v0
	v_mov_b32_e32 v103, 0x7f800001
	s_mov_b32 s18, exec_lo
	s_delay_alu instid0(VALU_DEP_2) | instskip(NEXT) | instid1(VALU_DEP_1)
	v_and_b32_e32 v28, 0x7f, v0
	v_cmpx_ne_u32_e32 0x7f, v28
	s_cbranch_execz .LBB349_416
; %bb.413:                              ;   in Loop: Header=BB349_15 Depth=1
	v_and_b32_e32 v48, 7, v0
	v_lshrrev_b32_e32 v0, 3, v28
	s_mov_b32 s19, exec_lo
	v_cmpx_gt_u32_e32 8, v28
; %bb.414:                              ;   in Loop: Header=BB349_15 Depth=1
	s_delay_alu instid0(VALU_DEP_3) | instskip(NEXT) | instid1(VALU_DEP_1)
	v_clz_i32_u32_e32 v0, v48
	v_min_u32_e32 v0, 32, v0
	s_delay_alu instid0(VALU_DEP_1) | instskip(SKIP_1) | instid1(VALU_DEP_2)
	v_subrev_nc_u32_e32 v7, 28, v0
	v_sub_nc_u32_e32 v0, 29, v0
	v_lshlrev_b64_e32 v[28:29], v7, v[48:49]
	s_delay_alu instid0(VALU_DEP_1)
	v_and_b32_e32 v48, 7, v28
; %bb.415:                              ;   in Loop: Header=BB349_15 Depth=1
	s_or_b32 exec_lo, exec_lo, s19
	v_lshlrev_b32_e32 v7, 16, v32
	s_delay_alu instid0(VALU_DEP_2) | instskip(SKIP_1) | instid1(VALU_DEP_3)
	v_lshlrev_b32_e32 v10, 20, v48
	v_lshl_add_u32 v0, v0, 23, 0x3c000000
	v_and_b32_e32 v7, 0x80000000, v7
	s_delay_alu instid0(VALU_DEP_1)
	v_or3_b32 v103, v10, v7, v0
.LBB349_416:                            ;   in Loop: Header=BB349_15 Depth=1
	s_or_b32 exec_lo, exec_lo, s18
.LBB349_417:                            ;   in Loop: Header=BB349_15 Depth=1
	s_delay_alu instid0(SALU_CYCLE_1)
	s_or_b32 exec_lo, exec_lo, s17
.LBB349_418:                            ;   in Loop: Header=BB349_15 Depth=1
	s_delay_alu instid0(SALU_CYCLE_1) | instskip(SKIP_3) | instid1(VALU_DEP_2)
	s_or_b32 exec_lo, exec_lo, s16
	v_dual_mov_b32 v29, 0 :: v_dual_lshrrev_b32 v0, 16, v32
	v_mov_b32_e32 v28, 0
	s_mov_b32 s16, exec_lo
	v_and_b32_e32 v7, 0xff, v0
	s_delay_alu instid0(VALU_DEP_1)
	v_cmpx_ne_u16_e32 0, v7
	s_cbranch_execz .LBB349_426
; %bb.419:                              ;   in Loop: Header=BB349_15 Depth=1
	v_bfrev_b32_e32 v28, 1
	s_mov_b32 s17, exec_lo
	v_cmpx_ne_u16_e32 0x80, v7
	s_cbranch_execz .LBB349_425
; %bb.420:                              ;   in Loop: Header=BB349_15 Depth=1
	v_bfe_u32 v30, v32, 16, 7
	v_mov_b32_e32 v28, 0x7f800001
	s_mov_b32 s18, exec_lo
	s_delay_alu instid0(VALU_DEP_2)
	v_cmpx_ne_u32_e32 0x7f, v30
	s_cbranch_execz .LBB349_424
; %bb.421:                              ;   in Loop: Header=BB349_15 Depth=1
	v_dual_lshrrev_b32 v28, 3, v30 :: v_dual_bitop2_b32 v48, 7, v0 bitop3:0x40
	s_mov_b32 s19, exec_lo
	v_cmpx_gt_u32_e32 8, v30
; %bb.422:                              ;   in Loop: Header=BB349_15 Depth=1
	s_delay_alu instid0(VALU_DEP_2) | instskip(NEXT) | instid1(VALU_DEP_1)
	v_clz_i32_u32_e32 v7, v48
	v_min_u32_e32 v7, 32, v7
	s_delay_alu instid0(VALU_DEP_1) | instskip(NEXT) | instid1(VALU_DEP_1)
	v_subrev_nc_u32_e32 v10, 28, v7
	v_lshlrev_b64_e32 v[30:31], v10, v[48:49]
	s_delay_alu instid0(VALU_DEP_1)
	v_dual_sub_nc_u32 v28, 29, v7 :: v_dual_bitop2_b32 v48, 7, v30 bitop3:0x40
; %bb.423:                              ;   in Loop: Header=BB349_15 Depth=1
	s_or_b32 exec_lo, exec_lo, s19
	v_lshlrev_b32_e32 v0, 24, v0
	s_delay_alu instid0(VALU_DEP_2) | instskip(NEXT) | instid1(VALU_DEP_3)
	v_lshlrev_b32_e32 v7, 20, v48
	v_lshl_add_u32 v10, v28, 23, 0x3c000000
	s_delay_alu instid0(VALU_DEP_3) | instskip(NEXT) | instid1(VALU_DEP_1)
	v_and_b32_e32 v0, 0x80000000, v0
	v_or3_b32 v28, v7, v0, v10
.LBB349_424:                            ;   in Loop: Header=BB349_15 Depth=1
	s_or_b32 exec_lo, exec_lo, s18
.LBB349_425:                            ;   in Loop: Header=BB349_15 Depth=1
	s_delay_alu instid0(SALU_CYCLE_1)
	s_or_b32 exec_lo, exec_lo, s17
.LBB349_426:                            ;   in Loop: Header=BB349_15 Depth=1
	s_delay_alu instid0(SALU_CYCLE_1) | instskip(NEXT) | instid1(SALU_CYCLE_1)
	s_or_b32 exec_lo, exec_lo, s16
	s_mov_b32 s16, exec_lo
	v_cmpx_lt_u32_e32 0xffffff, v32
	s_cbranch_execz .LBB349_434
; %bb.427:                              ;   in Loop: Header=BB349_15 Depth=1
	v_lshrrev_b32_e32 v0, 24, v32
	v_bfrev_b32_e32 v29, 1
	s_mov_b32 s17, exec_lo
	s_delay_alu instid0(VALU_DEP_2)
	v_cmpx_ne_u32_e32 0x80, v0
	s_cbranch_execz .LBB349_433
; %bb.428:                              ;   in Loop: Header=BB349_15 Depth=1
	v_bfe_u32 v30, v32, 24, 7
	v_mov_b32_e32 v29, 0x7f800001
	s_mov_b32 s18, exec_lo
	s_delay_alu instid0(VALU_DEP_2)
	v_cmpx_ne_u32_e32 0x7f, v30
	s_cbranch_execz .LBB349_432
; %bb.429:                              ;   in Loop: Header=BB349_15 Depth=1
	v_dual_lshrrev_b32 v29, 3, v30 :: v_dual_bitop2_b32 v48, 7, v0 bitop3:0x40
	s_mov_b32 s19, exec_lo
	v_cmpx_gt_u32_e32 8, v30
; %bb.430:                              ;   in Loop: Header=BB349_15 Depth=1
	s_delay_alu instid0(VALU_DEP_2) | instskip(NEXT) | instid1(VALU_DEP_1)
	v_clz_i32_u32_e32 v7, v48
	v_min_u32_e32 v7, 32, v7
	s_delay_alu instid0(VALU_DEP_1) | instskip(NEXT) | instid1(VALU_DEP_1)
	v_subrev_nc_u32_e32 v10, 28, v7
	v_lshlrev_b64_e32 v[30:31], v10, v[48:49]
	s_delay_alu instid0(VALU_DEP_1)
	v_dual_sub_nc_u32 v29, 29, v7 :: v_dual_bitop2_b32 v48, 7, v30 bitop3:0x40
; %bb.431:                              ;   in Loop: Header=BB349_15 Depth=1
	s_or_b32 exec_lo, exec_lo, s19
	v_lshlrev_b32_e32 v0, 24, v0
	s_delay_alu instid0(VALU_DEP_2) | instskip(NEXT) | instid1(VALU_DEP_3)
	v_lshlrev_b32_e32 v7, 20, v48
	v_lshl_add_u32 v10, v29, 23, 0x3c000000
	s_delay_alu instid0(VALU_DEP_3) | instskip(NEXT) | instid1(VALU_DEP_1)
	v_and_b32_e32 v0, 0x80000000, v0
	v_or3_b32 v29, v7, v0, v10
.LBB349_432:                            ;   in Loop: Header=BB349_15 Depth=1
	s_or_b32 exec_lo, exec_lo, s18
.LBB349_433:                            ;   in Loop: Header=BB349_15 Depth=1
	s_delay_alu instid0(SALU_CYCLE_1)
	s_or_b32 exec_lo, exec_lo, s17
.LBB349_434:                            ;   in Loop: Header=BB349_15 Depth=1
	s_delay_alu instid0(SALU_CYCLE_1) | instskip(SKIP_4) | instid1(VALU_DEP_3)
	s_or_b32 exec_lo, exec_lo, s16
	v_and_b32_e32 v0, 0xff, v33
	v_dual_mov_b32 v48, v33 :: v_dual_mov_b32 v113, 0
	v_mov_b32_e32 v112, 0
	s_mov_b32 s16, exec_lo
	v_cmpx_ne_u16_e32 0, v0
	s_cbranch_execz .LBB349_442
; %bb.435:                              ;   in Loop: Header=BB349_15 Depth=1
	v_bfrev_b32_e32 v112, 1
	s_mov_b32 s17, exec_lo
	v_cmpx_ne_u16_e32 0x80, v0
	s_cbranch_execz .LBB349_441
; %bb.436:                              ;   in Loop: Header=BB349_15 Depth=1
	v_and_b32_e32 v7, 0x7f, v33
	v_mov_b32_e32 v112, 0x7f800001
	s_mov_b32 s18, exec_lo
	s_delay_alu instid0(VALU_DEP_2)
	v_cmpx_ne_u32_e32 0x7f, v7
	s_cbranch_execz .LBB349_440
; %bb.437:                              ;   in Loop: Header=BB349_15 Depth=1
	v_mov_b64_e32 v[30:31], v[48:49]
	v_lshrrev_b32_e32 v0, 3, v7
	s_mov_b32 s19, exec_lo
	v_cmpx_gt_u32_e32 8, v7
; %bb.438:                              ;   in Loop: Header=BB349_15 Depth=1
	v_and_b32_e32 v0, 7, v33
	s_delay_alu instid0(VALU_DEP_1) | instskip(NEXT) | instid1(VALU_DEP_1)
	v_clz_i32_u32_e32 v0, v0
	v_min_u32_e32 v0, 32, v0
	s_delay_alu instid0(VALU_DEP_1) | instskip(SKIP_1) | instid1(VALU_DEP_2)
	v_subrev_nc_u32_e32 v7, 28, v0
	v_sub_nc_u32_e32 v0, 29, v0
	v_lshlrev_b64_e32 v[30:31], v7, v[48:49]
; %bb.439:                              ;   in Loop: Header=BB349_15 Depth=1
	s_or_b32 exec_lo, exec_lo, s19
	s_delay_alu instid0(VALU_DEP_1) | instskip(NEXT) | instid1(VALU_DEP_3)
	v_dual_lshlrev_b32 v7, 20, v30 :: v_dual_lshlrev_b32 v10, 24, v48
	v_lshl_add_u32 v0, v0, 23, 0x3c000000
	s_delay_alu instid0(VALU_DEP_2) | instskip(NEXT) | instid1(VALU_DEP_3)
	v_and_b32_e32 v7, 0x700000, v7
	v_and_b32_e32 v10, 0x80000000, v10
	s_delay_alu instid0(VALU_DEP_1)
	v_or3_b32 v112, v7, v10, v0
.LBB349_440:                            ;   in Loop: Header=BB349_15 Depth=1
	s_or_b32 exec_lo, exec_lo, s18
.LBB349_441:                            ;   in Loop: Header=BB349_15 Depth=1
	s_delay_alu instid0(SALU_CYCLE_1)
	s_or_b32 exec_lo, exec_lo, s17
.LBB349_442:                            ;   in Loop: Header=BB349_15 Depth=1
	s_delay_alu instid0(SALU_CYCLE_1) | instskip(SKIP_2) | instid1(VALU_DEP_1)
	s_or_b32 exec_lo, exec_lo, s16
	v_lshrrev_b16 v0, 8, v48
	s_mov_b32 s16, exec_lo
	v_cmpx_ne_u16_e32 0, v0
	s_cbranch_execz .LBB349_450
; %bb.443:                              ;   in Loop: Header=BB349_15 Depth=1
	v_bfrev_b32_e32 v113, 1
	s_mov_b32 s17, exec_lo
	v_cmpx_ne_u16_e32 0x80, v0
	s_cbranch_execz .LBB349_449
; %bb.444:                              ;   in Loop: Header=BB349_15 Depth=1
	v_and_b32_e32 v0, 0xffff, v0
	v_mov_b32_e32 v113, 0x7f800001
	s_mov_b32 s18, exec_lo
	s_delay_alu instid0(VALU_DEP_2) | instskip(NEXT) | instid1(VALU_DEP_1)
	v_and_b32_e32 v34, 0x7f, v0
	v_cmpx_ne_u32_e32 0x7f, v34
	s_cbranch_execz .LBB349_448
; %bb.445:                              ;   in Loop: Header=BB349_15 Depth=1
	v_dual_mov_b32 v31, v49 :: v_dual_bitop2_b32 v30, 7, v0 bitop3:0x40
	v_lshrrev_b32_e32 v0, 3, v34
	s_mov_b32 s19, exec_lo
	v_cmpx_gt_u32_e32 8, v34
; %bb.446:                              ;   in Loop: Header=BB349_15 Depth=1
	s_delay_alu instid0(VALU_DEP_3) | instskip(NEXT) | instid1(VALU_DEP_1)
	v_clz_i32_u32_e32 v0, v30
	v_min_u32_e32 v0, 32, v0
	s_delay_alu instid0(VALU_DEP_1) | instskip(NEXT) | instid1(VALU_DEP_1)
	v_subrev_nc_u32_e32 v7, 28, v0
	v_lshlrev_b64_e32 v[30:31], v7, v[30:31]
	s_delay_alu instid0(VALU_DEP_1)
	v_dual_sub_nc_u32 v0, 29, v0 :: v_dual_bitop2_b32 v30, 7, v30 bitop3:0x40
; %bb.447:                              ;   in Loop: Header=BB349_15 Depth=1
	s_or_b32 exec_lo, exec_lo, s19
	s_delay_alu instid0(VALU_DEP_1) | instskip(NEXT) | instid1(VALU_DEP_2)
	v_dual_lshlrev_b32 v7, 16, v48 :: v_dual_lshlrev_b32 v10, 20, v30
	v_lshl_add_u32 v0, v0, 23, 0x3c000000
	s_delay_alu instid0(VALU_DEP_2) | instskip(NEXT) | instid1(VALU_DEP_1)
	v_and_b32_e32 v7, 0x80000000, v7
	v_or3_b32 v113, v10, v7, v0
.LBB349_448:                            ;   in Loop: Header=BB349_15 Depth=1
	s_or_b32 exec_lo, exec_lo, s18
.LBB349_449:                            ;   in Loop: Header=BB349_15 Depth=1
	s_delay_alu instid0(SALU_CYCLE_1)
	s_or_b32 exec_lo, exec_lo, s17
.LBB349_450:                            ;   in Loop: Header=BB349_15 Depth=1
	s_delay_alu instid0(SALU_CYCLE_1) | instskip(SKIP_3) | instid1(VALU_DEP_2)
	s_or_b32 exec_lo, exec_lo, s16
	v_dual_mov_b32 v31, 0 :: v_dual_lshrrev_b32 v0, 16, v33
	v_mov_b32_e32 v30, 0
	s_mov_b32 s16, exec_lo
	v_and_b32_e32 v7, 0xff, v0
	s_delay_alu instid0(VALU_DEP_1)
	v_cmpx_ne_u16_e32 0, v7
	s_cbranch_execz .LBB349_458
; %bb.451:                              ;   in Loop: Header=BB349_15 Depth=1
	v_bfrev_b32_e32 v30, 1
	s_mov_b32 s17, exec_lo
	v_cmpx_ne_u16_e32 0x80, v7
	s_cbranch_execz .LBB349_457
; %bb.452:                              ;   in Loop: Header=BB349_15 Depth=1
	v_bfe_u32 v34, v33, 16, 7
	v_mov_b32_e32 v30, 0x7f800001
	s_mov_b32 s18, exec_lo
	s_delay_alu instid0(VALU_DEP_2)
	v_cmpx_ne_u32_e32 0x7f, v34
	s_cbranch_execz .LBB349_456
; %bb.453:                              ;   in Loop: Header=BB349_15 Depth=1
	v_dual_lshrrev_b32 v30, 3, v34 :: v_dual_bitop2_b32 v48, 7, v0 bitop3:0x40
	s_mov_b32 s19, exec_lo
	v_cmpx_gt_u32_e32 8, v34
; %bb.454:                              ;   in Loop: Header=BB349_15 Depth=1
	s_delay_alu instid0(VALU_DEP_2) | instskip(NEXT) | instid1(VALU_DEP_1)
	v_clz_i32_u32_e32 v7, v48
	v_min_u32_e32 v7, 32, v7
	s_delay_alu instid0(VALU_DEP_1) | instskip(NEXT) | instid1(VALU_DEP_1)
	v_subrev_nc_u32_e32 v10, 28, v7
	v_lshlrev_b64_e32 v[34:35], v10, v[48:49]
	s_delay_alu instid0(VALU_DEP_1)
	v_dual_sub_nc_u32 v30, 29, v7 :: v_dual_bitop2_b32 v48, 7, v34 bitop3:0x40
; %bb.455:                              ;   in Loop: Header=BB349_15 Depth=1
	s_or_b32 exec_lo, exec_lo, s19
	v_lshlrev_b32_e32 v0, 24, v0
	s_delay_alu instid0(VALU_DEP_2) | instskip(NEXT) | instid1(VALU_DEP_3)
	v_lshlrev_b32_e32 v7, 20, v48
	v_lshl_add_u32 v10, v30, 23, 0x3c000000
	s_delay_alu instid0(VALU_DEP_3) | instskip(NEXT) | instid1(VALU_DEP_1)
	v_and_b32_e32 v0, 0x80000000, v0
	v_or3_b32 v30, v7, v0, v10
.LBB349_456:                            ;   in Loop: Header=BB349_15 Depth=1
	s_or_b32 exec_lo, exec_lo, s18
.LBB349_457:                            ;   in Loop: Header=BB349_15 Depth=1
	s_delay_alu instid0(SALU_CYCLE_1)
	s_or_b32 exec_lo, exec_lo, s17
.LBB349_458:                            ;   in Loop: Header=BB349_15 Depth=1
	s_delay_alu instid0(SALU_CYCLE_1) | instskip(NEXT) | instid1(SALU_CYCLE_1)
	s_or_b32 exec_lo, exec_lo, s16
	s_mov_b32 s16, exec_lo
	v_cmpx_lt_u64_e64 s[8:9], v[32:33]
	s_cbranch_execz .LBB349_466
; %bb.459:                              ;   in Loop: Header=BB349_15 Depth=1
	v_lshrrev_b32_e32 v0, 24, v33
	v_bfrev_b32_e32 v31, 1
	s_mov_b32 s17, exec_lo
	s_delay_alu instid0(VALU_DEP_2)
	v_cmpx_ne_u32_e32 0x80, v0
	s_cbranch_execz .LBB349_465
; %bb.460:                              ;   in Loop: Header=BB349_15 Depth=1
	v_bfe_u32 v32, v33, 24, 7
	v_mov_b32_e32 v31, 0x7f800001
	s_mov_b32 s18, exec_lo
	s_delay_alu instid0(VALU_DEP_2)
	v_cmpx_ne_u32_e32 0x7f, v32
	s_cbranch_execz .LBB349_464
; %bb.461:                              ;   in Loop: Header=BB349_15 Depth=1
	v_and_b32_e32 v48, 7, v0
	v_lshrrev_b32_e32 v31, 3, v32
	s_mov_b32 s19, exec_lo
	v_cmpx_gt_u32_e32 8, v32
; %bb.462:                              ;   in Loop: Header=BB349_15 Depth=1
	s_delay_alu instid0(VALU_DEP_3) | instskip(NEXT) | instid1(VALU_DEP_1)
	v_clz_i32_u32_e32 v7, v48
	v_min_u32_e32 v7, 32, v7
	s_delay_alu instid0(VALU_DEP_1) | instskip(NEXT) | instid1(VALU_DEP_1)
	v_subrev_nc_u32_e32 v10, 28, v7
	v_lshlrev_b64_e32 v[32:33], v10, v[48:49]
	s_delay_alu instid0(VALU_DEP_1)
	v_dual_sub_nc_u32 v31, 29, v7 :: v_dual_bitop2_b32 v48, 7, v32 bitop3:0x40
; %bb.463:                              ;   in Loop: Header=BB349_15 Depth=1
	s_or_b32 exec_lo, exec_lo, s19
	v_lshlrev_b32_e32 v0, 24, v0
	s_delay_alu instid0(VALU_DEP_2) | instskip(NEXT) | instid1(VALU_DEP_3)
	v_lshlrev_b32_e32 v7, 20, v48
	v_lshl_add_u32 v10, v31, 23, 0x3c000000
	s_delay_alu instid0(VALU_DEP_3) | instskip(NEXT) | instid1(VALU_DEP_1)
	v_and_b32_e32 v0, 0x80000000, v0
	v_or3_b32 v31, v7, v0, v10
.LBB349_464:                            ;   in Loop: Header=BB349_15 Depth=1
	s_or_b32 exec_lo, exec_lo, s18
.LBB349_465:                            ;   in Loop: Header=BB349_15 Depth=1
	s_delay_alu instid0(SALU_CYCLE_1)
	s_or_b32 exec_lo, exec_lo, s17
.LBB349_466:                            ;   in Loop: Header=BB349_15 Depth=1
	s_delay_alu instid0(SALU_CYCLE_1)
	s_or_b32 exec_lo, exec_lo, s16
	flat_load_b64 v[118:119], v[70:71] offset:1544
	v_dual_mov_b32 v115, 0 :: v_dual_mov_b32 v114, 0
	s_mov_b32 s16, exec_lo
	s_wait_loadcnt_dscnt 0x0
	v_and_b32_e32 v0, 0xff, v118
	s_wait_xcnt 0x0
	s_delay_alu instid0(VALU_DEP_1)
	v_cmpx_ne_u16_e32 0, v0
	s_cbranch_execz .LBB349_474
; %bb.467:                              ;   in Loop: Header=BB349_15 Depth=1
	v_bfrev_b32_e32 v114, 1
	s_mov_b32 s17, exec_lo
	v_cmpx_ne_u16_e32 0x80, v0
	s_cbranch_execz .LBB349_473
; %bb.468:                              ;   in Loop: Header=BB349_15 Depth=1
	v_and_b32_e32 v7, 0x7f, v118
	v_mov_b32_e32 v114, 0x7f800001
	s_mov_b32 s18, exec_lo
	s_delay_alu instid0(VALU_DEP_2)
	v_cmpx_ne_u32_e32 0x7f, v7
	s_cbranch_execz .LBB349_472
; %bb.469:                              ;   in Loop: Header=BB349_15 Depth=1
	v_mov_b64_e32 v[32:33], v[118:119]
	v_lshrrev_b32_e32 v0, 3, v7
	s_mov_b32 s19, exec_lo
	v_cmpx_gt_u32_e32 8, v7
; %bb.470:                              ;   in Loop: Header=BB349_15 Depth=1
	v_and_b32_e32 v0, 7, v118
	s_delay_alu instid0(VALU_DEP_1) | instskip(NEXT) | instid1(VALU_DEP_1)
	v_clz_i32_u32_e32 v0, v0
	v_min_u32_e32 v0, 32, v0
	s_delay_alu instid0(VALU_DEP_1) | instskip(SKIP_1) | instid1(VALU_DEP_2)
	v_subrev_nc_u32_e32 v7, 28, v0
	v_sub_nc_u32_e32 v0, 29, v0
	v_lshlrev_b64_e32 v[32:33], v7, v[118:119]
; %bb.471:                              ;   in Loop: Header=BB349_15 Depth=1
	s_or_b32 exec_lo, exec_lo, s19
	s_delay_alu instid0(VALU_DEP_1) | instskip(NEXT) | instid1(VALU_DEP_3)
	v_dual_lshlrev_b32 v7, 20, v32 :: v_dual_lshlrev_b32 v10, 24, v118
	v_lshl_add_u32 v0, v0, 23, 0x3c000000
	s_delay_alu instid0(VALU_DEP_2) | instskip(NEXT) | instid1(VALU_DEP_3)
	v_and_b32_e32 v7, 0x700000, v7
	v_and_b32_e32 v10, 0x80000000, v10
	s_delay_alu instid0(VALU_DEP_1)
	v_or3_b32 v114, v7, v10, v0
.LBB349_472:                            ;   in Loop: Header=BB349_15 Depth=1
	s_or_b32 exec_lo, exec_lo, s18
.LBB349_473:                            ;   in Loop: Header=BB349_15 Depth=1
	s_delay_alu instid0(SALU_CYCLE_1)
	s_or_b32 exec_lo, exec_lo, s17
.LBB349_474:                            ;   in Loop: Header=BB349_15 Depth=1
	s_delay_alu instid0(SALU_CYCLE_1) | instskip(SKIP_2) | instid1(VALU_DEP_1)
	s_or_b32 exec_lo, exec_lo, s16
	v_lshrrev_b16 v0, 8, v118
	s_mov_b32 s16, exec_lo
	v_cmpx_ne_u16_e32 0, v0
	s_cbranch_execz .LBB349_482
; %bb.475:                              ;   in Loop: Header=BB349_15 Depth=1
	v_bfrev_b32_e32 v115, 1
	s_mov_b32 s17, exec_lo
	v_cmpx_ne_u16_e32 0x80, v0
	s_cbranch_execz .LBB349_481
; %bb.476:                              ;   in Loop: Header=BB349_15 Depth=1
	v_and_b32_e32 v0, 0xffff, v0
	v_mov_b32_e32 v115, 0x7f800001
	s_mov_b32 s18, exec_lo
	s_delay_alu instid0(VALU_DEP_2) | instskip(NEXT) | instid1(VALU_DEP_1)
	v_and_b32_e32 v32, 0x7f, v0
	v_cmpx_ne_u32_e32 0x7f, v32
	s_cbranch_execz .LBB349_480
; %bb.477:                              ;   in Loop: Header=BB349_15 Depth=1
	v_and_b32_e32 v48, 7, v0
	v_lshrrev_b32_e32 v0, 3, v32
	s_mov_b32 s19, exec_lo
	v_cmpx_gt_u32_e32 8, v32
; %bb.478:                              ;   in Loop: Header=BB349_15 Depth=1
	s_delay_alu instid0(VALU_DEP_3) | instskip(NEXT) | instid1(VALU_DEP_1)
	v_clz_i32_u32_e32 v0, v48
	v_min_u32_e32 v0, 32, v0
	s_delay_alu instid0(VALU_DEP_1) | instskip(SKIP_1) | instid1(VALU_DEP_2)
	v_subrev_nc_u32_e32 v7, 28, v0
	v_sub_nc_u32_e32 v0, 29, v0
	v_lshlrev_b64_e32 v[32:33], v7, v[48:49]
	s_delay_alu instid0(VALU_DEP_1)
	v_and_b32_e32 v48, 7, v32
; %bb.479:                              ;   in Loop: Header=BB349_15 Depth=1
	s_or_b32 exec_lo, exec_lo, s19
	s_delay_alu instid0(VALU_DEP_1) | instskip(SKIP_1) | instid1(VALU_DEP_2)
	v_dual_lshlrev_b32 v7, 16, v118 :: v_dual_lshlrev_b32 v10, 20, v48
	v_lshl_add_u32 v0, v0, 23, 0x3c000000
	v_and_b32_e32 v7, 0x80000000, v7
	s_delay_alu instid0(VALU_DEP_1)
	v_or3_b32 v115, v10, v7, v0
.LBB349_480:                            ;   in Loop: Header=BB349_15 Depth=1
	s_or_b32 exec_lo, exec_lo, s18
.LBB349_481:                            ;   in Loop: Header=BB349_15 Depth=1
	s_delay_alu instid0(SALU_CYCLE_1)
	s_or_b32 exec_lo, exec_lo, s17
.LBB349_482:                            ;   in Loop: Header=BB349_15 Depth=1
	s_delay_alu instid0(SALU_CYCLE_1) | instskip(SKIP_3) | instid1(VALU_DEP_2)
	s_or_b32 exec_lo, exec_lo, s16
	v_dual_mov_b32 v33, 0 :: v_dual_lshrrev_b32 v0, 16, v118
	v_mov_b32_e32 v32, 0
	s_mov_b32 s16, exec_lo
	v_and_b32_e32 v7, 0xff, v0
	s_delay_alu instid0(VALU_DEP_1)
	v_cmpx_ne_u16_e32 0, v7
	s_cbranch_execz .LBB349_490
; %bb.483:                              ;   in Loop: Header=BB349_15 Depth=1
	v_bfrev_b32_e32 v32, 1
	s_mov_b32 s17, exec_lo
	v_cmpx_ne_u16_e32 0x80, v7
	s_cbranch_execz .LBB349_489
; %bb.484:                              ;   in Loop: Header=BB349_15 Depth=1
	v_bfe_u32 v34, v118, 16, 7
	v_mov_b32_e32 v32, 0x7f800001
	s_mov_b32 s18, exec_lo
	s_delay_alu instid0(VALU_DEP_2)
	v_cmpx_ne_u32_e32 0x7f, v34
	s_cbranch_execz .LBB349_488
; %bb.485:                              ;   in Loop: Header=BB349_15 Depth=1
	v_dual_lshrrev_b32 v32, 3, v34 :: v_dual_bitop2_b32 v48, 7, v0 bitop3:0x40
	s_mov_b32 s19, exec_lo
	v_cmpx_gt_u32_e32 8, v34
; %bb.486:                              ;   in Loop: Header=BB349_15 Depth=1
	s_delay_alu instid0(VALU_DEP_2) | instskip(NEXT) | instid1(VALU_DEP_1)
	v_clz_i32_u32_e32 v7, v48
	v_min_u32_e32 v7, 32, v7
	s_delay_alu instid0(VALU_DEP_1) | instskip(NEXT) | instid1(VALU_DEP_1)
	v_subrev_nc_u32_e32 v10, 28, v7
	v_lshlrev_b64_e32 v[34:35], v10, v[48:49]
	s_delay_alu instid0(VALU_DEP_1)
	v_dual_sub_nc_u32 v32, 29, v7 :: v_dual_bitop2_b32 v48, 7, v34 bitop3:0x40
; %bb.487:                              ;   in Loop: Header=BB349_15 Depth=1
	s_or_b32 exec_lo, exec_lo, s19
	v_lshlrev_b32_e32 v0, 24, v0
	s_delay_alu instid0(VALU_DEP_2) | instskip(NEXT) | instid1(VALU_DEP_3)
	v_lshlrev_b32_e32 v7, 20, v48
	v_lshl_add_u32 v10, v32, 23, 0x3c000000
	s_delay_alu instid0(VALU_DEP_3) | instskip(NEXT) | instid1(VALU_DEP_1)
	v_and_b32_e32 v0, 0x80000000, v0
	v_or3_b32 v32, v7, v0, v10
.LBB349_488:                            ;   in Loop: Header=BB349_15 Depth=1
	s_or_b32 exec_lo, exec_lo, s18
.LBB349_489:                            ;   in Loop: Header=BB349_15 Depth=1
	s_delay_alu instid0(SALU_CYCLE_1)
	s_or_b32 exec_lo, exec_lo, s17
.LBB349_490:                            ;   in Loop: Header=BB349_15 Depth=1
	s_delay_alu instid0(SALU_CYCLE_1) | instskip(NEXT) | instid1(SALU_CYCLE_1)
	s_or_b32 exec_lo, exec_lo, s16
	s_mov_b32 s16, exec_lo
	v_cmpx_lt_u32_e32 0xffffff, v118
	s_cbranch_execz .LBB349_498
; %bb.491:                              ;   in Loop: Header=BB349_15 Depth=1
	v_lshrrev_b32_e32 v0, 24, v118
	v_bfrev_b32_e32 v33, 1
	s_mov_b32 s17, exec_lo
	s_delay_alu instid0(VALU_DEP_2)
	v_cmpx_ne_u32_e32 0x80, v0
	s_cbranch_execz .LBB349_497
; %bb.492:                              ;   in Loop: Header=BB349_15 Depth=1
	v_bfe_u32 v34, v118, 24, 7
	v_mov_b32_e32 v33, 0x7f800001
	s_mov_b32 s18, exec_lo
	s_delay_alu instid0(VALU_DEP_2)
	v_cmpx_ne_u32_e32 0x7f, v34
	s_cbranch_execz .LBB349_496
; %bb.493:                              ;   in Loop: Header=BB349_15 Depth=1
	v_dual_lshrrev_b32 v33, 3, v34 :: v_dual_bitop2_b32 v48, 7, v0 bitop3:0x40
	s_mov_b32 s19, exec_lo
	v_cmpx_gt_u32_e32 8, v34
; %bb.494:                              ;   in Loop: Header=BB349_15 Depth=1
	s_delay_alu instid0(VALU_DEP_2) | instskip(NEXT) | instid1(VALU_DEP_1)
	v_clz_i32_u32_e32 v7, v48
	v_min_u32_e32 v7, 32, v7
	s_delay_alu instid0(VALU_DEP_1) | instskip(NEXT) | instid1(VALU_DEP_1)
	v_subrev_nc_u32_e32 v10, 28, v7
	v_lshlrev_b64_e32 v[34:35], v10, v[48:49]
	s_delay_alu instid0(VALU_DEP_1)
	v_dual_sub_nc_u32 v33, 29, v7 :: v_dual_bitop2_b32 v48, 7, v34 bitop3:0x40
; %bb.495:                              ;   in Loop: Header=BB349_15 Depth=1
	s_or_b32 exec_lo, exec_lo, s19
	v_lshlrev_b32_e32 v0, 24, v0
	s_delay_alu instid0(VALU_DEP_2) | instskip(NEXT) | instid1(VALU_DEP_3)
	v_lshlrev_b32_e32 v7, 20, v48
	v_lshl_add_u32 v10, v33, 23, 0x3c000000
	s_delay_alu instid0(VALU_DEP_3) | instskip(NEXT) | instid1(VALU_DEP_1)
	v_and_b32_e32 v0, 0x80000000, v0
	v_or3_b32 v33, v7, v0, v10
.LBB349_496:                            ;   in Loop: Header=BB349_15 Depth=1
	s_or_b32 exec_lo, exec_lo, s18
.LBB349_497:                            ;   in Loop: Header=BB349_15 Depth=1
	s_delay_alu instid0(SALU_CYCLE_1)
	s_or_b32 exec_lo, exec_lo, s17
.LBB349_498:                            ;   in Loop: Header=BB349_15 Depth=1
	s_delay_alu instid0(SALU_CYCLE_1) | instskip(SKIP_4) | instid1(VALU_DEP_3)
	s_or_b32 exec_lo, exec_lo, s16
	v_and_b32_e32 v0, 0xff, v119
	v_dual_mov_b32 v48, v119 :: v_dual_mov_b32 v117, 0
	v_mov_b32_e32 v116, 0
	s_mov_b32 s16, exec_lo
	v_cmpx_ne_u16_e32 0, v0
	s_cbranch_execz .LBB349_506
; %bb.499:                              ;   in Loop: Header=BB349_15 Depth=1
	v_bfrev_b32_e32 v116, 1
	s_mov_b32 s17, exec_lo
	v_cmpx_ne_u16_e32 0x80, v0
	s_cbranch_execz .LBB349_505
; %bb.500:                              ;   in Loop: Header=BB349_15 Depth=1
	v_and_b32_e32 v7, 0x7f, v119
	v_mov_b32_e32 v116, 0x7f800001
	s_mov_b32 s18, exec_lo
	s_delay_alu instid0(VALU_DEP_2)
	v_cmpx_ne_u32_e32 0x7f, v7
	s_cbranch_execz .LBB349_504
; %bb.501:                              ;   in Loop: Header=BB349_15 Depth=1
	v_mov_b64_e32 v[34:35], v[48:49]
	v_lshrrev_b32_e32 v0, 3, v7
	s_mov_b32 s19, exec_lo
	v_cmpx_gt_u32_e32 8, v7
; %bb.502:                              ;   in Loop: Header=BB349_15 Depth=1
	v_and_b32_e32 v0, 7, v119
	s_delay_alu instid0(VALU_DEP_1) | instskip(NEXT) | instid1(VALU_DEP_1)
	v_clz_i32_u32_e32 v0, v0
	v_min_u32_e32 v0, 32, v0
	s_delay_alu instid0(VALU_DEP_1) | instskip(SKIP_1) | instid1(VALU_DEP_2)
	v_subrev_nc_u32_e32 v7, 28, v0
	v_sub_nc_u32_e32 v0, 29, v0
	v_lshlrev_b64_e32 v[34:35], v7, v[48:49]
; %bb.503:                              ;   in Loop: Header=BB349_15 Depth=1
	s_or_b32 exec_lo, exec_lo, s19
	s_delay_alu instid0(VALU_DEP_1) | instskip(NEXT) | instid1(VALU_DEP_3)
	v_dual_lshlrev_b32 v7, 20, v34 :: v_dual_lshlrev_b32 v10, 24, v48
	v_lshl_add_u32 v0, v0, 23, 0x3c000000
	s_delay_alu instid0(VALU_DEP_2) | instskip(NEXT) | instid1(VALU_DEP_3)
	v_and_b32_e32 v7, 0x700000, v7
	v_and_b32_e32 v10, 0x80000000, v10
	s_delay_alu instid0(VALU_DEP_1)
	v_or3_b32 v116, v7, v10, v0
.LBB349_504:                            ;   in Loop: Header=BB349_15 Depth=1
	s_or_b32 exec_lo, exec_lo, s18
.LBB349_505:                            ;   in Loop: Header=BB349_15 Depth=1
	s_delay_alu instid0(SALU_CYCLE_1)
	s_or_b32 exec_lo, exec_lo, s17
.LBB349_506:                            ;   in Loop: Header=BB349_15 Depth=1
	s_delay_alu instid0(SALU_CYCLE_1) | instskip(SKIP_2) | instid1(VALU_DEP_1)
	s_or_b32 exec_lo, exec_lo, s16
	v_lshrrev_b16 v0, 8, v48
	s_mov_b32 s16, exec_lo
	v_cmpx_ne_u16_e32 0, v0
	s_cbranch_execz .LBB349_514
; %bb.507:                              ;   in Loop: Header=BB349_15 Depth=1
	v_bfrev_b32_e32 v117, 1
	s_mov_b32 s17, exec_lo
	v_cmpx_ne_u16_e32 0x80, v0
	s_cbranch_execz .LBB349_513
; %bb.508:                              ;   in Loop: Header=BB349_15 Depth=1
	v_and_b32_e32 v0, 0xffff, v0
	v_mov_b32_e32 v117, 0x7f800001
	s_mov_b32 s18, exec_lo
	s_delay_alu instid0(VALU_DEP_2) | instskip(NEXT) | instid1(VALU_DEP_1)
	v_and_b32_e32 v38, 0x7f, v0
	v_cmpx_ne_u32_e32 0x7f, v38
	s_cbranch_execz .LBB349_512
; %bb.509:                              ;   in Loop: Header=BB349_15 Depth=1
	v_dual_mov_b32 v35, v49 :: v_dual_bitop2_b32 v34, 7, v0 bitop3:0x40
	v_lshrrev_b32_e32 v0, 3, v38
	s_mov_b32 s19, exec_lo
	v_cmpx_gt_u32_e32 8, v38
; %bb.510:                              ;   in Loop: Header=BB349_15 Depth=1
	s_delay_alu instid0(VALU_DEP_3) | instskip(NEXT) | instid1(VALU_DEP_1)
	v_clz_i32_u32_e32 v0, v34
	v_min_u32_e32 v0, 32, v0
	s_delay_alu instid0(VALU_DEP_1) | instskip(NEXT) | instid1(VALU_DEP_1)
	v_subrev_nc_u32_e32 v7, 28, v0
	v_lshlrev_b64_e32 v[34:35], v7, v[34:35]
	s_delay_alu instid0(VALU_DEP_1)
	v_dual_sub_nc_u32 v0, 29, v0 :: v_dual_bitop2_b32 v34, 7, v34 bitop3:0x40
; %bb.511:                              ;   in Loop: Header=BB349_15 Depth=1
	s_or_b32 exec_lo, exec_lo, s19
	s_delay_alu instid0(VALU_DEP_1) | instskip(NEXT) | instid1(VALU_DEP_2)
	v_dual_lshlrev_b32 v7, 16, v48 :: v_dual_lshlrev_b32 v10, 20, v34
	v_lshl_add_u32 v0, v0, 23, 0x3c000000
	s_delay_alu instid0(VALU_DEP_2) | instskip(NEXT) | instid1(VALU_DEP_1)
	v_and_b32_e32 v7, 0x80000000, v7
	v_or3_b32 v117, v10, v7, v0
.LBB349_512:                            ;   in Loop: Header=BB349_15 Depth=1
	s_or_b32 exec_lo, exec_lo, s18
.LBB349_513:                            ;   in Loop: Header=BB349_15 Depth=1
	s_delay_alu instid0(SALU_CYCLE_1)
	s_or_b32 exec_lo, exec_lo, s17
.LBB349_514:                            ;   in Loop: Header=BB349_15 Depth=1
	s_delay_alu instid0(SALU_CYCLE_1) | instskip(SKIP_3) | instid1(VALU_DEP_2)
	s_or_b32 exec_lo, exec_lo, s16
	v_dual_mov_b32 v35, 0 :: v_dual_lshrrev_b32 v0, 16, v119
	v_mov_b32_e32 v34, 0
	s_mov_b32 s16, exec_lo
	v_and_b32_e32 v7, 0xff, v0
	s_delay_alu instid0(VALU_DEP_1)
	v_cmpx_ne_u16_e32 0, v7
	s_cbranch_execz .LBB349_522
; %bb.515:                              ;   in Loop: Header=BB349_15 Depth=1
	v_bfrev_b32_e32 v34, 1
	s_mov_b32 s17, exec_lo
	v_cmpx_ne_u16_e32 0x80, v7
	s_cbranch_execz .LBB349_521
; %bb.516:                              ;   in Loop: Header=BB349_15 Depth=1
	v_bfe_u32 v38, v119, 16, 7
	v_mov_b32_e32 v34, 0x7f800001
	s_mov_b32 s18, exec_lo
	s_delay_alu instid0(VALU_DEP_2)
	v_cmpx_ne_u32_e32 0x7f, v38
	s_cbranch_execz .LBB349_520
; %bb.517:                              ;   in Loop: Header=BB349_15 Depth=1
	v_dual_lshrrev_b32 v34, 3, v38 :: v_dual_bitop2_b32 v48, 7, v0 bitop3:0x40
	s_mov_b32 s19, exec_lo
	v_cmpx_gt_u32_e32 8, v38
; %bb.518:                              ;   in Loop: Header=BB349_15 Depth=1
	s_delay_alu instid0(VALU_DEP_2) | instskip(NEXT) | instid1(VALU_DEP_1)
	v_clz_i32_u32_e32 v7, v48
	v_min_u32_e32 v7, 32, v7
	s_delay_alu instid0(VALU_DEP_1) | instskip(NEXT) | instid1(VALU_DEP_1)
	v_subrev_nc_u32_e32 v10, 28, v7
	v_lshlrev_b64_e32 v[40:41], v10, v[48:49]
	s_delay_alu instid0(VALU_DEP_1)
	v_dual_sub_nc_u32 v34, 29, v7 :: v_dual_bitop2_b32 v48, 7, v40 bitop3:0x40
; %bb.519:                              ;   in Loop: Header=BB349_15 Depth=1
	s_or_b32 exec_lo, exec_lo, s19
	v_lshlrev_b32_e32 v0, 24, v0
	s_delay_alu instid0(VALU_DEP_2) | instskip(NEXT) | instid1(VALU_DEP_3)
	v_lshlrev_b32_e32 v7, 20, v48
	v_lshl_add_u32 v10, v34, 23, 0x3c000000
	s_delay_alu instid0(VALU_DEP_3) | instskip(NEXT) | instid1(VALU_DEP_1)
	v_and_b32_e32 v0, 0x80000000, v0
	v_or3_b32 v34, v7, v0, v10
.LBB349_520:                            ;   in Loop: Header=BB349_15 Depth=1
	s_or_b32 exec_lo, exec_lo, s18
.LBB349_521:                            ;   in Loop: Header=BB349_15 Depth=1
	s_delay_alu instid0(SALU_CYCLE_1)
	s_or_b32 exec_lo, exec_lo, s17
.LBB349_522:                            ;   in Loop: Header=BB349_15 Depth=1
	s_delay_alu instid0(SALU_CYCLE_1) | instskip(NEXT) | instid1(SALU_CYCLE_1)
	s_or_b32 exec_lo, exec_lo, s16
	s_mov_b32 s16, exec_lo
	v_cmpx_lt_u64_e64 s[8:9], v[118:119]
	s_cbranch_execz .LBB349_530
; %bb.523:                              ;   in Loop: Header=BB349_15 Depth=1
	v_lshrrev_b32_e32 v0, 24, v119
	v_bfrev_b32_e32 v35, 1
	s_mov_b32 s17, exec_lo
	s_delay_alu instid0(VALU_DEP_2)
	v_cmpx_ne_u32_e32 0x80, v0
	s_cbranch_execz .LBB349_529
; %bb.524:                              ;   in Loop: Header=BB349_15 Depth=1
	v_bfe_u32 v38, v119, 24, 7
	v_mov_b32_e32 v35, 0x7f800001
	s_mov_b32 s18, exec_lo
	s_delay_alu instid0(VALU_DEP_2)
	v_cmpx_ne_u32_e32 0x7f, v38
	s_cbranch_execz .LBB349_528
; %bb.525:                              ;   in Loop: Header=BB349_15 Depth=1
	v_dual_lshrrev_b32 v35, 3, v38 :: v_dual_bitop2_b32 v48, 7, v0 bitop3:0x40
	s_mov_b32 s19, exec_lo
	v_cmpx_gt_u32_e32 8, v38
; %bb.526:                              ;   in Loop: Header=BB349_15 Depth=1
	s_delay_alu instid0(VALU_DEP_2) | instskip(NEXT) | instid1(VALU_DEP_1)
	v_clz_i32_u32_e32 v7, v48
	v_min_u32_e32 v7, 32, v7
	s_delay_alu instid0(VALU_DEP_1) | instskip(NEXT) | instid1(VALU_DEP_1)
	v_subrev_nc_u32_e32 v10, 28, v7
	v_lshlrev_b64_e32 v[118:119], v10, v[48:49]
	s_delay_alu instid0(VALU_DEP_1)
	v_dual_sub_nc_u32 v35, 29, v7 :: v_dual_bitop2_b32 v48, 7, v118 bitop3:0x40
; %bb.527:                              ;   in Loop: Header=BB349_15 Depth=1
	s_or_b32 exec_lo, exec_lo, s19
	v_lshlrev_b32_e32 v0, 24, v0
	s_delay_alu instid0(VALU_DEP_2) | instskip(NEXT) | instid1(VALU_DEP_3)
	v_lshlrev_b32_e32 v7, 20, v48
	v_lshl_add_u32 v10, v35, 23, 0x3c000000
	s_delay_alu instid0(VALU_DEP_3) | instskip(NEXT) | instid1(VALU_DEP_1)
	v_and_b32_e32 v0, 0x80000000, v0
	v_or3_b32 v35, v7, v0, v10
.LBB349_528:                            ;   in Loop: Header=BB349_15 Depth=1
	s_or_b32 exec_lo, exec_lo, s18
.LBB349_529:                            ;   in Loop: Header=BB349_15 Depth=1
	s_delay_alu instid0(SALU_CYCLE_1)
	s_or_b32 exec_lo, exec_lo, s17
.LBB349_530:                            ;   in Loop: Header=BB349_15 Depth=1
	s_delay_alu instid0(SALU_CYCLE_1)
	s_or_b32 exec_lo, exec_lo, s16
	flat_load_b64 v[46:47], v[70:71] offset:2048
	v_dual_mov_b32 v119, 0 :: v_dual_mov_b32 v118, 0
	s_mov_b32 s16, exec_lo
	s_wait_loadcnt_dscnt 0x0
	v_and_b32_e32 v0, 0xff, v46
	s_wait_xcnt 0x0
	s_delay_alu instid0(VALU_DEP_1)
	v_cmpx_ne_u16_e32 0, v0
	s_cbranch_execz .LBB349_538
; %bb.531:                              ;   in Loop: Header=BB349_15 Depth=1
	v_bfrev_b32_e32 v118, 1
	s_mov_b32 s17, exec_lo
	v_cmpx_ne_u16_e32 0x80, v0
	s_cbranch_execz .LBB349_537
; %bb.532:                              ;   in Loop: Header=BB349_15 Depth=1
	v_and_b32_e32 v7, 0x7f, v46
	v_mov_b32_e32 v118, 0x7f800001
	s_mov_b32 s18, exec_lo
	s_delay_alu instid0(VALU_DEP_2)
	v_cmpx_ne_u32_e32 0x7f, v7
	s_cbranch_execz .LBB349_536
; %bb.533:                              ;   in Loop: Header=BB349_15 Depth=1
	v_mov_b64_e32 v[40:41], v[46:47]
	v_lshrrev_b32_e32 v0, 3, v7
	s_mov_b32 s19, exec_lo
	v_cmpx_gt_u32_e32 8, v7
; %bb.534:                              ;   in Loop: Header=BB349_15 Depth=1
	v_and_b32_e32 v0, 7, v46
	s_delay_alu instid0(VALU_DEP_1) | instskip(NEXT) | instid1(VALU_DEP_1)
	v_clz_i32_u32_e32 v0, v0
	v_min_u32_e32 v0, 32, v0
	s_delay_alu instid0(VALU_DEP_1) | instskip(SKIP_1) | instid1(VALU_DEP_2)
	v_subrev_nc_u32_e32 v7, 28, v0
	v_sub_nc_u32_e32 v0, 29, v0
	v_lshlrev_b64_e32 v[40:41], v7, v[46:47]
; %bb.535:                              ;   in Loop: Header=BB349_15 Depth=1
	s_or_b32 exec_lo, exec_lo, s19
	s_delay_alu instid0(VALU_DEP_1) | instskip(NEXT) | instid1(VALU_DEP_3)
	v_dual_lshlrev_b32 v7, 20, v40 :: v_dual_lshlrev_b32 v10, 24, v46
	v_lshl_add_u32 v0, v0, 23, 0x3c000000
	s_delay_alu instid0(VALU_DEP_2) | instskip(NEXT) | instid1(VALU_DEP_3)
	v_and_b32_e32 v7, 0x700000, v7
	v_and_b32_e32 v10, 0x80000000, v10
	s_delay_alu instid0(VALU_DEP_1)
	v_or3_b32 v118, v7, v10, v0
.LBB349_536:                            ;   in Loop: Header=BB349_15 Depth=1
	s_or_b32 exec_lo, exec_lo, s18
.LBB349_537:                            ;   in Loop: Header=BB349_15 Depth=1
	s_delay_alu instid0(SALU_CYCLE_1)
	s_or_b32 exec_lo, exec_lo, s17
.LBB349_538:                            ;   in Loop: Header=BB349_15 Depth=1
	s_delay_alu instid0(SALU_CYCLE_1) | instskip(SKIP_2) | instid1(VALU_DEP_1)
	s_or_b32 exec_lo, exec_lo, s16
	v_lshrrev_b16 v0, 8, v46
	s_mov_b32 s16, exec_lo
	v_cmpx_ne_u16_e32 0, v0
	s_cbranch_execz .LBB349_546
; %bb.539:                              ;   in Loop: Header=BB349_15 Depth=1
	v_bfrev_b32_e32 v119, 1
	s_mov_b32 s17, exec_lo
	v_cmpx_ne_u16_e32 0x80, v0
	s_cbranch_execz .LBB349_545
; %bb.540:                              ;   in Loop: Header=BB349_15 Depth=1
	v_and_b32_e32 v0, 0xffff, v0
	v_mov_b32_e32 v119, 0x7f800001
	s_mov_b32 s18, exec_lo
	s_delay_alu instid0(VALU_DEP_2) | instskip(NEXT) | instid1(VALU_DEP_1)
	v_and_b32_e32 v38, 0x7f, v0
	v_cmpx_ne_u32_e32 0x7f, v38
	s_cbranch_execz .LBB349_544
; %bb.541:                              ;   in Loop: Header=BB349_15 Depth=1
	v_dual_lshrrev_b32 v0, 3, v38 :: v_dual_bitop2_b32 v48, 7, v0 bitop3:0x40
	s_mov_b32 s19, exec_lo
	v_cmpx_gt_u32_e32 8, v38
; %bb.542:                              ;   in Loop: Header=BB349_15 Depth=1
	s_delay_alu instid0(VALU_DEP_2) | instskip(NEXT) | instid1(VALU_DEP_1)
	v_clz_i32_u32_e32 v0, v48
	v_min_u32_e32 v0, 32, v0
	s_delay_alu instid0(VALU_DEP_1) | instskip(SKIP_1) | instid1(VALU_DEP_2)
	v_subrev_nc_u32_e32 v7, 28, v0
	v_sub_nc_u32_e32 v0, 29, v0
	v_lshlrev_b64_e32 v[40:41], v7, v[48:49]
	s_delay_alu instid0(VALU_DEP_1)
	v_and_b32_e32 v48, 7, v40
; %bb.543:                              ;   in Loop: Header=BB349_15 Depth=1
	s_or_b32 exec_lo, exec_lo, s19
	s_delay_alu instid0(VALU_DEP_1) | instskip(SKIP_1) | instid1(VALU_DEP_2)
	v_dual_lshlrev_b32 v7, 16, v46 :: v_dual_lshlrev_b32 v10, 20, v48
	v_lshl_add_u32 v0, v0, 23, 0x3c000000
	v_and_b32_e32 v7, 0x80000000, v7
	s_delay_alu instid0(VALU_DEP_1)
	v_or3_b32 v119, v10, v7, v0
.LBB349_544:                            ;   in Loop: Header=BB349_15 Depth=1
	s_or_b32 exec_lo, exec_lo, s18
.LBB349_545:                            ;   in Loop: Header=BB349_15 Depth=1
	s_delay_alu instid0(SALU_CYCLE_1)
	s_or_b32 exec_lo, exec_lo, s17
.LBB349_546:                            ;   in Loop: Header=BB349_15 Depth=1
	s_delay_alu instid0(SALU_CYCLE_1) | instskip(SKIP_3) | instid1(VALU_DEP_2)
	s_or_b32 exec_lo, exec_lo, s16
	v_dual_mov_b32 v41, 0 :: v_dual_lshrrev_b32 v0, 16, v46
	v_mov_b32_e32 v40, 0
	s_mov_b32 s16, exec_lo
	v_and_b32_e32 v7, 0xff, v0
	s_delay_alu instid0(VALU_DEP_1)
	v_cmpx_ne_u16_e32 0, v7
	s_cbranch_execz .LBB349_554
; %bb.547:                              ;   in Loop: Header=BB349_15 Depth=1
	v_bfrev_b32_e32 v40, 1
	s_mov_b32 s17, exec_lo
	v_cmpx_ne_u16_e32 0x80, v7
	s_cbranch_execz .LBB349_553
; %bb.548:                              ;   in Loop: Header=BB349_15 Depth=1
	v_bfe_u32 v42, v46, 16, 7
	v_mov_b32_e32 v40, 0x7f800001
	s_mov_b32 s18, exec_lo
	s_delay_alu instid0(VALU_DEP_2)
	v_cmpx_ne_u32_e32 0x7f, v42
	s_cbranch_execz .LBB349_552
; %bb.549:                              ;   in Loop: Header=BB349_15 Depth=1
	v_dual_lshrrev_b32 v38, 3, v42 :: v_dual_bitop2_b32 v48, 7, v0 bitop3:0x40
	s_mov_b32 s19, exec_lo
	v_cmpx_gt_u32_e32 8, v42
; %bb.550:                              ;   in Loop: Header=BB349_15 Depth=1
	s_delay_alu instid0(VALU_DEP_2) | instskip(NEXT) | instid1(VALU_DEP_1)
	v_clz_i32_u32_e32 v7, v48
	v_min_u32_e32 v7, 32, v7
	s_delay_alu instid0(VALU_DEP_1) | instskip(NEXT) | instid1(VALU_DEP_1)
	v_subrev_nc_u32_e32 v10, 28, v7
	v_lshlrev_b64_e32 v[42:43], v10, v[48:49]
	s_delay_alu instid0(VALU_DEP_1)
	v_dual_sub_nc_u32 v38, 29, v7 :: v_dual_bitop2_b32 v48, 7, v42 bitop3:0x40
; %bb.551:                              ;   in Loop: Header=BB349_15 Depth=1
	s_or_b32 exec_lo, exec_lo, s19
	v_lshlrev_b32_e32 v0, 24, v0
	s_delay_alu instid0(VALU_DEP_2) | instskip(NEXT) | instid1(VALU_DEP_3)
	v_lshlrev_b32_e32 v7, 20, v48
	v_lshl_add_u32 v10, v38, 23, 0x3c000000
	s_delay_alu instid0(VALU_DEP_3) | instskip(NEXT) | instid1(VALU_DEP_1)
	v_and_b32_e32 v0, 0x80000000, v0
	v_or3_b32 v40, v7, v0, v10
.LBB349_552:                            ;   in Loop: Header=BB349_15 Depth=1
	s_or_b32 exec_lo, exec_lo, s18
.LBB349_553:                            ;   in Loop: Header=BB349_15 Depth=1
	s_delay_alu instid0(SALU_CYCLE_1)
	s_or_b32 exec_lo, exec_lo, s17
.LBB349_554:                            ;   in Loop: Header=BB349_15 Depth=1
	s_delay_alu instid0(SALU_CYCLE_1) | instskip(NEXT) | instid1(SALU_CYCLE_1)
	s_or_b32 exec_lo, exec_lo, s16
	s_mov_b32 s16, exec_lo
	v_cmpx_lt_u32_e32 0xffffff, v46
	s_cbranch_execz .LBB349_562
; %bb.555:                              ;   in Loop: Header=BB349_15 Depth=1
	v_lshrrev_b32_e32 v0, 24, v46
	v_bfrev_b32_e32 v41, 1
	s_mov_b32 s17, exec_lo
	s_delay_alu instid0(VALU_DEP_2)
	v_cmpx_ne_u32_e32 0x80, v0
	s_cbranch_execz .LBB349_561
; %bb.556:                              ;   in Loop: Header=BB349_15 Depth=1
	v_bfe_u32 v42, v46, 24, 7
	v_mov_b32_e32 v41, 0x7f800001
	s_mov_b32 s18, exec_lo
	s_delay_alu instid0(VALU_DEP_2)
	v_cmpx_ne_u32_e32 0x7f, v42
	s_cbranch_execz .LBB349_560
; %bb.557:                              ;   in Loop: Header=BB349_15 Depth=1
	v_dual_lshrrev_b32 v38, 3, v42 :: v_dual_bitop2_b32 v48, 7, v0 bitop3:0x40
	s_mov_b32 s19, exec_lo
	v_cmpx_gt_u32_e32 8, v42
; %bb.558:                              ;   in Loop: Header=BB349_15 Depth=1
	s_delay_alu instid0(VALU_DEP_2) | instskip(NEXT) | instid1(VALU_DEP_1)
	v_clz_i32_u32_e32 v7, v48
	v_min_u32_e32 v7, 32, v7
	s_delay_alu instid0(VALU_DEP_1) | instskip(NEXT) | instid1(VALU_DEP_1)
	v_subrev_nc_u32_e32 v10, 28, v7
	v_lshlrev_b64_e32 v[42:43], v10, v[48:49]
	s_delay_alu instid0(VALU_DEP_1)
	v_dual_sub_nc_u32 v38, 29, v7 :: v_dual_bitop2_b32 v48, 7, v42 bitop3:0x40
; %bb.559:                              ;   in Loop: Header=BB349_15 Depth=1
	s_or_b32 exec_lo, exec_lo, s19
	v_lshlrev_b32_e32 v0, 24, v0
	s_delay_alu instid0(VALU_DEP_2) | instskip(NEXT) | instid1(VALU_DEP_3)
	v_lshlrev_b32_e32 v7, 20, v48
	v_lshl_add_u32 v10, v38, 23, 0x3c000000
	s_delay_alu instid0(VALU_DEP_3) | instskip(NEXT) | instid1(VALU_DEP_1)
	v_and_b32_e32 v0, 0x80000000, v0
	v_or3_b32 v41, v7, v0, v10
.LBB349_560:                            ;   in Loop: Header=BB349_15 Depth=1
	s_or_b32 exec_lo, exec_lo, s18
.LBB349_561:                            ;   in Loop: Header=BB349_15 Depth=1
	s_delay_alu instid0(SALU_CYCLE_1)
	s_or_b32 exec_lo, exec_lo, s17
.LBB349_562:                            ;   in Loop: Header=BB349_15 Depth=1
	s_delay_alu instid0(SALU_CYCLE_1) | instskip(SKIP_4) | instid1(VALU_DEP_3)
	s_or_b32 exec_lo, exec_lo, s16
	v_and_b32_e32 v0, 0xff, v47
	v_dual_mov_b32 v48, v47 :: v_dual_mov_b32 v43, 0
	v_mov_b32_e32 v42, 0
	s_mov_b32 s16, exec_lo
	v_cmpx_ne_u16_e32 0, v0
	s_cbranch_execz .LBB349_570
; %bb.563:                              ;   in Loop: Header=BB349_15 Depth=1
	v_bfrev_b32_e32 v42, 1
	s_mov_b32 s17, exec_lo
	v_cmpx_ne_u16_e32 0x80, v0
	s_cbranch_execz .LBB349_569
; %bb.564:                              ;   in Loop: Header=BB349_15 Depth=1
	v_and_b32_e32 v7, 0x7f, v47
	v_mov_b32_e32 v42, 0x7f800001
	s_mov_b32 s18, exec_lo
	s_delay_alu instid0(VALU_DEP_2)
	v_cmpx_ne_u32_e32 0x7f, v7
	s_cbranch_execz .LBB349_568
; %bb.565:                              ;   in Loop: Header=BB349_15 Depth=1
	v_mov_b64_e32 v[44:45], v[48:49]
	v_lshrrev_b32_e32 v0, 3, v7
	s_mov_b32 s19, exec_lo
	v_cmpx_gt_u32_e32 8, v7
; %bb.566:                              ;   in Loop: Header=BB349_15 Depth=1
	v_and_b32_e32 v0, 7, v47
	s_delay_alu instid0(VALU_DEP_1) | instskip(NEXT) | instid1(VALU_DEP_1)
	v_clz_i32_u32_e32 v0, v0
	v_min_u32_e32 v0, 32, v0
	s_delay_alu instid0(VALU_DEP_1) | instskip(SKIP_1) | instid1(VALU_DEP_2)
	v_subrev_nc_u32_e32 v7, 28, v0
	v_sub_nc_u32_e32 v0, 29, v0
	v_lshlrev_b64_e32 v[44:45], v7, v[48:49]
; %bb.567:                              ;   in Loop: Header=BB349_15 Depth=1
	s_or_b32 exec_lo, exec_lo, s19
	s_delay_alu instid0(VALU_DEP_1) | instskip(SKIP_2) | instid1(VALU_DEP_3)
	v_lshlrev_b32_e32 v7, 20, v44
	v_lshlrev_b32_e32 v10, 24, v48
	v_lshl_add_u32 v0, v0, 23, 0x3c000000
	v_and_b32_e32 v7, 0x700000, v7
	s_delay_alu instid0(VALU_DEP_3) | instskip(NEXT) | instid1(VALU_DEP_1)
	v_and_b32_e32 v10, 0x80000000, v10
	v_or3_b32 v42, v7, v10, v0
.LBB349_568:                            ;   in Loop: Header=BB349_15 Depth=1
	s_or_b32 exec_lo, exec_lo, s18
.LBB349_569:                            ;   in Loop: Header=BB349_15 Depth=1
	s_delay_alu instid0(SALU_CYCLE_1)
	s_or_b32 exec_lo, exec_lo, s17
.LBB349_570:                            ;   in Loop: Header=BB349_15 Depth=1
	s_delay_alu instid0(SALU_CYCLE_1) | instskip(SKIP_2) | instid1(VALU_DEP_1)
	s_or_b32 exec_lo, exec_lo, s16
	v_lshrrev_b16 v0, 8, v48
	s_mov_b32 s16, exec_lo
	v_cmpx_ne_u16_e32 0, v0
	s_cbranch_execz .LBB349_578
; %bb.571:                              ;   in Loop: Header=BB349_15 Depth=1
	v_bfrev_b32_e32 v43, 1
	s_mov_b32 s17, exec_lo
	v_cmpx_ne_u16_e32 0x80, v0
	s_cbranch_execz .LBB349_577
; %bb.572:                              ;   in Loop: Header=BB349_15 Depth=1
	v_and_b32_e32 v0, 0xffff, v0
	v_mov_b32_e32 v43, 0x7f800001
	s_mov_b32 s18, exec_lo
	s_delay_alu instid0(VALU_DEP_2) | instskip(NEXT) | instid1(VALU_DEP_1)
	v_and_b32_e32 v38, 0x7f, v0
	v_cmpx_ne_u32_e32 0x7f, v38
	s_cbranch_execz .LBB349_576
; %bb.573:                              ;   in Loop: Header=BB349_15 Depth=1
	v_dual_mov_b32 v45, v49 :: v_dual_bitop2_b32 v44, 7, v0 bitop3:0x40
	v_lshrrev_b32_e32 v0, 3, v38
	s_mov_b32 s19, exec_lo
	v_cmpx_gt_u32_e32 8, v38
; %bb.574:                              ;   in Loop: Header=BB349_15 Depth=1
	s_delay_alu instid0(VALU_DEP_3) | instskip(NEXT) | instid1(VALU_DEP_1)
	v_clz_i32_u32_e32 v0, v44
	v_min_u32_e32 v0, 32, v0
	s_delay_alu instid0(VALU_DEP_1) | instskip(SKIP_1) | instid1(VALU_DEP_2)
	v_subrev_nc_u32_e32 v7, 28, v0
	v_sub_nc_u32_e32 v0, 29, v0
	v_lshlrev_b64_e32 v[44:45], v7, v[44:45]
	s_delay_alu instid0(VALU_DEP_1)
	v_and_b32_e32 v44, 7, v44
; %bb.575:                              ;   in Loop: Header=BB349_15 Depth=1
	s_or_b32 exec_lo, exec_lo, s19
	v_lshlrev_b32_e32 v7, 16, v48
	s_delay_alu instid0(VALU_DEP_2) | instskip(SKIP_1) | instid1(VALU_DEP_3)
	v_lshlrev_b32_e32 v10, 20, v44
	v_lshl_add_u32 v0, v0, 23, 0x3c000000
	v_and_b32_e32 v7, 0x80000000, v7
	s_delay_alu instid0(VALU_DEP_1)
	v_or3_b32 v43, v10, v7, v0
.LBB349_576:                            ;   in Loop: Header=BB349_15 Depth=1
	s_or_b32 exec_lo, exec_lo, s18
.LBB349_577:                            ;   in Loop: Header=BB349_15 Depth=1
	s_delay_alu instid0(SALU_CYCLE_1)
	s_or_b32 exec_lo, exec_lo, s17
.LBB349_578:                            ;   in Loop: Header=BB349_15 Depth=1
	s_delay_alu instid0(SALU_CYCLE_1) | instskip(SKIP_3) | instid1(VALU_DEP_2)
	s_or_b32 exec_lo, exec_lo, s16
	v_dual_mov_b32 v45, 0 :: v_dual_lshrrev_b32 v0, 16, v47
	v_mov_b32_e32 v44, 0
	s_mov_b32 s16, exec_lo
	v_and_b32_e32 v7, 0xff, v0
	s_delay_alu instid0(VALU_DEP_1)
	v_cmpx_ne_u16_e32 0, v7
	s_cbranch_execz .LBB349_586
; %bb.579:                              ;   in Loop: Header=BB349_15 Depth=1
	v_bfrev_b32_e32 v44, 1
	s_mov_b32 s17, exec_lo
	v_cmpx_ne_u16_e32 0x80, v7
	s_cbranch_execz .LBB349_585
; %bb.580:                              ;   in Loop: Header=BB349_15 Depth=1
	v_bfe_u32 v56, v47, 16, 7
	v_mov_b32_e32 v44, 0x7f800001
	s_mov_b32 s18, exec_lo
	s_delay_alu instid0(VALU_DEP_2)
	v_cmpx_ne_u32_e32 0x7f, v56
	s_cbranch_execz .LBB349_584
; %bb.581:                              ;   in Loop: Header=BB349_15 Depth=1
	v_and_b32_e32 v48, 7, v0
	v_lshrrev_b32_e32 v38, 3, v56
	s_mov_b32 s19, exec_lo
	v_cmpx_gt_u32_e32 8, v56
; %bb.582:                              ;   in Loop: Header=BB349_15 Depth=1
	s_delay_alu instid0(VALU_DEP_3) | instskip(NEXT) | instid1(VALU_DEP_1)
	v_clz_i32_u32_e32 v7, v48
	v_min_u32_e32 v7, 32, v7
	s_delay_alu instid0(VALU_DEP_1) | instskip(NEXT) | instid1(VALU_DEP_1)
	v_subrev_nc_u32_e32 v10, 28, v7
	v_lshlrev_b64_e32 v[56:57], v10, v[48:49]
	s_delay_alu instid0(VALU_DEP_1)
	v_dual_sub_nc_u32 v38, 29, v7 :: v_dual_bitop2_b32 v48, 7, v56 bitop3:0x40
; %bb.583:                              ;   in Loop: Header=BB349_15 Depth=1
	s_or_b32 exec_lo, exec_lo, s19
	v_lshlrev_b32_e32 v0, 24, v0
	s_delay_alu instid0(VALU_DEP_2) | instskip(NEXT) | instid1(VALU_DEP_3)
	v_lshlrev_b32_e32 v7, 20, v48
	v_lshl_add_u32 v10, v38, 23, 0x3c000000
	s_delay_alu instid0(VALU_DEP_3) | instskip(NEXT) | instid1(VALU_DEP_1)
	v_and_b32_e32 v0, 0x80000000, v0
	v_or3_b32 v44, v7, v0, v10
.LBB349_584:                            ;   in Loop: Header=BB349_15 Depth=1
	s_or_b32 exec_lo, exec_lo, s18
.LBB349_585:                            ;   in Loop: Header=BB349_15 Depth=1
	s_delay_alu instid0(SALU_CYCLE_1)
	s_or_b32 exec_lo, exec_lo, s17
.LBB349_586:                            ;   in Loop: Header=BB349_15 Depth=1
	s_delay_alu instid0(SALU_CYCLE_1) | instskip(NEXT) | instid1(SALU_CYCLE_1)
	s_or_b32 exec_lo, exec_lo, s16
	s_mov_b32 s16, exec_lo
	v_cmpx_lt_u64_e64 s[8:9], v[46:47]
	s_cbranch_execz .LBB349_594
; %bb.587:                              ;   in Loop: Header=BB349_15 Depth=1
	v_lshrrev_b32_e32 v0, 24, v47
	v_bfrev_b32_e32 v45, 1
	s_mov_b32 s17, exec_lo
	s_delay_alu instid0(VALU_DEP_2)
	v_cmpx_ne_u32_e32 0x80, v0
	s_cbranch_execz .LBB349_593
; %bb.588:                              ;   in Loop: Header=BB349_15 Depth=1
	v_bfe_u32 v46, v47, 24, 7
	v_mov_b32_e32 v45, 0x7f800001
	s_mov_b32 s18, exec_lo
	s_delay_alu instid0(VALU_DEP_2)
	v_cmpx_ne_u32_e32 0x7f, v46
	s_cbranch_execz .LBB349_592
; %bb.589:                              ;   in Loop: Header=BB349_15 Depth=1
	v_dual_lshrrev_b32 v38, 3, v46 :: v_dual_bitop2_b32 v48, 7, v0 bitop3:0x40
	s_mov_b32 s19, exec_lo
	v_cmpx_gt_u32_e32 8, v46
; %bb.590:                              ;   in Loop: Header=BB349_15 Depth=1
	s_delay_alu instid0(VALU_DEP_2) | instskip(NEXT) | instid1(VALU_DEP_1)
	v_clz_i32_u32_e32 v7, v48
	v_min_u32_e32 v7, 32, v7
	s_delay_alu instid0(VALU_DEP_1) | instskip(NEXT) | instid1(VALU_DEP_1)
	v_subrev_nc_u32_e32 v10, 28, v7
	v_lshlrev_b64_e32 v[46:47], v10, v[48:49]
	s_delay_alu instid0(VALU_DEP_1)
	v_dual_sub_nc_u32 v38, 29, v7 :: v_dual_bitop2_b32 v48, 7, v46 bitop3:0x40
; %bb.591:                              ;   in Loop: Header=BB349_15 Depth=1
	s_or_b32 exec_lo, exec_lo, s19
	v_lshlrev_b32_e32 v0, 24, v0
	s_delay_alu instid0(VALU_DEP_2) | instskip(NEXT) | instid1(VALU_DEP_3)
	v_lshlrev_b32_e32 v7, 20, v48
	v_lshl_add_u32 v10, v38, 23, 0x3c000000
	s_delay_alu instid0(VALU_DEP_3) | instskip(NEXT) | instid1(VALU_DEP_1)
	v_and_b32_e32 v0, 0x80000000, v0
	v_or3_b32 v45, v7, v0, v10
.LBB349_592:                            ;   in Loop: Header=BB349_15 Depth=1
	s_or_b32 exec_lo, exec_lo, s18
.LBB349_593:                            ;   in Loop: Header=BB349_15 Depth=1
	s_delay_alu instid0(SALU_CYCLE_1)
	s_or_b32 exec_lo, exec_lo, s17
.LBB349_594:                            ;   in Loop: Header=BB349_15 Depth=1
	s_delay_alu instid0(SALU_CYCLE_1)
	s_or_b32 exec_lo, exec_lo, s16
	flat_load_b64 v[62:63], v[70:71] offset:2056
	v_dual_mov_b32 v47, 0 :: v_dual_mov_b32 v46, 0
	s_mov_b32 s16, exec_lo
	s_wait_loadcnt_dscnt 0x0
	v_and_b32_e32 v0, 0xff, v62
	s_wait_xcnt 0x0
	s_delay_alu instid0(VALU_DEP_1)
	v_cmpx_ne_u16_e32 0, v0
	s_cbranch_execz .LBB349_602
; %bb.595:                              ;   in Loop: Header=BB349_15 Depth=1
	v_bfrev_b32_e32 v46, 1
	s_mov_b32 s17, exec_lo
	v_cmpx_ne_u16_e32 0x80, v0
	s_cbranch_execz .LBB349_601
; %bb.596:                              ;   in Loop: Header=BB349_15 Depth=1
	v_and_b32_e32 v7, 0x7f, v62
	v_mov_b32_e32 v46, 0x7f800001
	s_mov_b32 s18, exec_lo
	s_delay_alu instid0(VALU_DEP_2)
	v_cmpx_ne_u32_e32 0x7f, v7
	s_cbranch_execz .LBB349_600
; %bb.597:                              ;   in Loop: Header=BB349_15 Depth=1
	v_mov_b64_e32 v[56:57], v[62:63]
	v_lshrrev_b32_e32 v0, 3, v7
	s_mov_b32 s19, exec_lo
	v_cmpx_gt_u32_e32 8, v7
; %bb.598:                              ;   in Loop: Header=BB349_15 Depth=1
	v_and_b32_e32 v0, 7, v62
	s_delay_alu instid0(VALU_DEP_1) | instskip(NEXT) | instid1(VALU_DEP_1)
	v_clz_i32_u32_e32 v0, v0
	v_min_u32_e32 v0, 32, v0
	s_delay_alu instid0(VALU_DEP_1) | instskip(SKIP_1) | instid1(VALU_DEP_2)
	v_subrev_nc_u32_e32 v7, 28, v0
	v_sub_nc_u32_e32 v0, 29, v0
	v_lshlrev_b64_e32 v[56:57], v7, v[62:63]
; %bb.599:                              ;   in Loop: Header=BB349_15 Depth=1
	s_or_b32 exec_lo, exec_lo, s19
	s_delay_alu instid0(VALU_DEP_1) | instskip(NEXT) | instid1(VALU_DEP_3)
	v_dual_lshlrev_b32 v7, 20, v56 :: v_dual_lshlrev_b32 v10, 24, v62
	v_lshl_add_u32 v0, v0, 23, 0x3c000000
	s_delay_alu instid0(VALU_DEP_2) | instskip(NEXT) | instid1(VALU_DEP_3)
	v_and_b32_e32 v7, 0x700000, v7
	v_and_b32_e32 v10, 0x80000000, v10
	s_delay_alu instid0(VALU_DEP_1)
	v_or3_b32 v46, v7, v10, v0
.LBB349_600:                            ;   in Loop: Header=BB349_15 Depth=1
	s_or_b32 exec_lo, exec_lo, s18
.LBB349_601:                            ;   in Loop: Header=BB349_15 Depth=1
	s_delay_alu instid0(SALU_CYCLE_1)
	s_or_b32 exec_lo, exec_lo, s17
.LBB349_602:                            ;   in Loop: Header=BB349_15 Depth=1
	s_delay_alu instid0(SALU_CYCLE_1) | instskip(SKIP_2) | instid1(VALU_DEP_1)
	s_or_b32 exec_lo, exec_lo, s16
	v_lshrrev_b16 v0, 8, v62
	s_mov_b32 s16, exec_lo
	v_cmpx_ne_u16_e32 0, v0
	s_cbranch_execz .LBB349_610
; %bb.603:                              ;   in Loop: Header=BB349_15 Depth=1
	v_bfrev_b32_e32 v47, 1
	s_mov_b32 s17, exec_lo
	v_cmpx_ne_u16_e32 0x80, v0
	s_cbranch_execz .LBB349_609
; %bb.604:                              ;   in Loop: Header=BB349_15 Depth=1
	v_and_b32_e32 v0, 0xffff, v0
	v_mov_b32_e32 v47, 0x7f800001
	s_mov_b32 s18, exec_lo
	s_delay_alu instid0(VALU_DEP_2) | instskip(NEXT) | instid1(VALU_DEP_1)
	v_and_b32_e32 v38, 0x7f, v0
	v_cmpx_ne_u32_e32 0x7f, v38
	s_cbranch_execz .LBB349_608
; %bb.605:                              ;   in Loop: Header=BB349_15 Depth=1
	v_dual_lshrrev_b32 v0, 3, v38 :: v_dual_bitop2_b32 v48, 7, v0 bitop3:0x40
	s_mov_b32 s19, exec_lo
	v_cmpx_gt_u32_e32 8, v38
; %bb.606:                              ;   in Loop: Header=BB349_15 Depth=1
	s_delay_alu instid0(VALU_DEP_2) | instskip(NEXT) | instid1(VALU_DEP_1)
	v_clz_i32_u32_e32 v0, v48
	v_min_u32_e32 v0, 32, v0
	s_delay_alu instid0(VALU_DEP_1) | instskip(SKIP_1) | instid1(VALU_DEP_2)
	v_subrev_nc_u32_e32 v7, 28, v0
	v_sub_nc_u32_e32 v0, 29, v0
	v_lshlrev_b64_e32 v[56:57], v7, v[48:49]
	s_delay_alu instid0(VALU_DEP_1)
	v_and_b32_e32 v48, 7, v56
; %bb.607:                              ;   in Loop: Header=BB349_15 Depth=1
	s_or_b32 exec_lo, exec_lo, s19
	s_delay_alu instid0(VALU_DEP_1) | instskip(SKIP_1) | instid1(VALU_DEP_2)
	v_dual_lshlrev_b32 v7, 16, v62 :: v_dual_lshlrev_b32 v10, 20, v48
	v_lshl_add_u32 v0, v0, 23, 0x3c000000
	v_and_b32_e32 v7, 0x80000000, v7
	s_delay_alu instid0(VALU_DEP_1)
	v_or3_b32 v47, v10, v7, v0
.LBB349_608:                            ;   in Loop: Header=BB349_15 Depth=1
	s_or_b32 exec_lo, exec_lo, s18
.LBB349_609:                            ;   in Loop: Header=BB349_15 Depth=1
	s_delay_alu instid0(SALU_CYCLE_1)
	s_or_b32 exec_lo, exec_lo, s17
.LBB349_610:                            ;   in Loop: Header=BB349_15 Depth=1
	s_delay_alu instid0(SALU_CYCLE_1) | instskip(SKIP_3) | instid1(VALU_DEP_2)
	s_or_b32 exec_lo, exec_lo, s16
	v_dual_mov_b32 v57, 0 :: v_dual_lshrrev_b32 v0, 16, v62
	v_mov_b32_e32 v56, 0
	s_mov_b32 s16, exec_lo
	v_and_b32_e32 v7, 0xff, v0
	s_delay_alu instid0(VALU_DEP_1)
	v_cmpx_ne_u16_e32 0, v7
	s_cbranch_execz .LBB349_618
; %bb.611:                              ;   in Loop: Header=BB349_15 Depth=1
	v_bfrev_b32_e32 v56, 1
	s_mov_b32 s17, exec_lo
	v_cmpx_ne_u16_e32 0x80, v7
	s_cbranch_execz .LBB349_617
; %bb.612:                              ;   in Loop: Header=BB349_15 Depth=1
	v_bfe_u32 v58, v62, 16, 7
	v_mov_b32_e32 v56, 0x7f800001
	s_mov_b32 s18, exec_lo
	s_delay_alu instid0(VALU_DEP_2)
	v_cmpx_ne_u32_e32 0x7f, v58
	s_cbranch_execz .LBB349_616
; %bb.613:                              ;   in Loop: Header=BB349_15 Depth=1
	v_dual_lshrrev_b32 v38, 3, v58 :: v_dual_bitop2_b32 v48, 7, v0 bitop3:0x40
	s_mov_b32 s19, exec_lo
	v_cmpx_gt_u32_e32 8, v58
; %bb.614:                              ;   in Loop: Header=BB349_15 Depth=1
	s_delay_alu instid0(VALU_DEP_2) | instskip(NEXT) | instid1(VALU_DEP_1)
	v_clz_i32_u32_e32 v7, v48
	v_min_u32_e32 v7, 32, v7
	s_delay_alu instid0(VALU_DEP_1) | instskip(NEXT) | instid1(VALU_DEP_1)
	v_subrev_nc_u32_e32 v10, 28, v7
	v_lshlrev_b64_e32 v[58:59], v10, v[48:49]
	s_delay_alu instid0(VALU_DEP_1)
	v_dual_sub_nc_u32 v38, 29, v7 :: v_dual_bitop2_b32 v48, 7, v58 bitop3:0x40
; %bb.615:                              ;   in Loop: Header=BB349_15 Depth=1
	s_or_b32 exec_lo, exec_lo, s19
	v_lshlrev_b32_e32 v0, 24, v0
	s_delay_alu instid0(VALU_DEP_2) | instskip(NEXT) | instid1(VALU_DEP_3)
	v_lshlrev_b32_e32 v7, 20, v48
	v_lshl_add_u32 v10, v38, 23, 0x3c000000
	s_delay_alu instid0(VALU_DEP_3) | instskip(NEXT) | instid1(VALU_DEP_1)
	v_and_b32_e32 v0, 0x80000000, v0
	v_or3_b32 v56, v7, v0, v10
.LBB349_616:                            ;   in Loop: Header=BB349_15 Depth=1
	s_or_b32 exec_lo, exec_lo, s18
.LBB349_617:                            ;   in Loop: Header=BB349_15 Depth=1
	s_delay_alu instid0(SALU_CYCLE_1)
	s_or_b32 exec_lo, exec_lo, s17
.LBB349_618:                            ;   in Loop: Header=BB349_15 Depth=1
	s_delay_alu instid0(SALU_CYCLE_1) | instskip(NEXT) | instid1(SALU_CYCLE_1)
	s_or_b32 exec_lo, exec_lo, s16
	s_mov_b32 s16, exec_lo
	v_cmpx_lt_u32_e32 0xffffff, v62
	s_cbranch_execz .LBB349_626
; %bb.619:                              ;   in Loop: Header=BB349_15 Depth=1
	v_lshrrev_b32_e32 v0, 24, v62
	v_bfrev_b32_e32 v57, 1
	s_mov_b32 s17, exec_lo
	s_delay_alu instid0(VALU_DEP_2)
	v_cmpx_ne_u32_e32 0x80, v0
	s_cbranch_execz .LBB349_625
; %bb.620:                              ;   in Loop: Header=BB349_15 Depth=1
	v_bfe_u32 v58, v62, 24, 7
	v_mov_b32_e32 v57, 0x7f800001
	s_mov_b32 s18, exec_lo
	s_delay_alu instid0(VALU_DEP_2)
	v_cmpx_ne_u32_e32 0x7f, v58
	s_cbranch_execz .LBB349_624
; %bb.621:                              ;   in Loop: Header=BB349_15 Depth=1
	v_dual_lshrrev_b32 v38, 3, v58 :: v_dual_bitop2_b32 v48, 7, v0 bitop3:0x40
	s_mov_b32 s19, exec_lo
	v_cmpx_gt_u32_e32 8, v58
; %bb.622:                              ;   in Loop: Header=BB349_15 Depth=1
	s_delay_alu instid0(VALU_DEP_2) | instskip(NEXT) | instid1(VALU_DEP_1)
	v_clz_i32_u32_e32 v7, v48
	v_min_u32_e32 v7, 32, v7
	s_delay_alu instid0(VALU_DEP_1) | instskip(NEXT) | instid1(VALU_DEP_1)
	v_subrev_nc_u32_e32 v10, 28, v7
	v_lshlrev_b64_e32 v[58:59], v10, v[48:49]
	s_delay_alu instid0(VALU_DEP_1)
	v_dual_sub_nc_u32 v38, 29, v7 :: v_dual_bitop2_b32 v48, 7, v58 bitop3:0x40
; %bb.623:                              ;   in Loop: Header=BB349_15 Depth=1
	s_or_b32 exec_lo, exec_lo, s19
	v_lshlrev_b32_e32 v0, 24, v0
	s_delay_alu instid0(VALU_DEP_2) | instskip(NEXT) | instid1(VALU_DEP_3)
	v_lshlrev_b32_e32 v7, 20, v48
	v_lshl_add_u32 v10, v38, 23, 0x3c000000
	s_delay_alu instid0(VALU_DEP_3) | instskip(NEXT) | instid1(VALU_DEP_1)
	v_and_b32_e32 v0, 0x80000000, v0
	v_or3_b32 v57, v7, v0, v10
.LBB349_624:                            ;   in Loop: Header=BB349_15 Depth=1
	s_or_b32 exec_lo, exec_lo, s18
.LBB349_625:                            ;   in Loop: Header=BB349_15 Depth=1
	s_delay_alu instid0(SALU_CYCLE_1)
	s_or_b32 exec_lo, exec_lo, s17
.LBB349_626:                            ;   in Loop: Header=BB349_15 Depth=1
	s_delay_alu instid0(SALU_CYCLE_1) | instskip(SKIP_4) | instid1(VALU_DEP_3)
	s_or_b32 exec_lo, exec_lo, s16
	v_and_b32_e32 v0, 0xff, v63
	v_dual_mov_b32 v48, v63 :: v_dual_mov_b32 v59, 0
	v_mov_b32_e32 v58, 0
	s_mov_b32 s16, exec_lo
	v_cmpx_ne_u16_e32 0, v0
	s_cbranch_execz .LBB349_634
; %bb.627:                              ;   in Loop: Header=BB349_15 Depth=1
	v_bfrev_b32_e32 v58, 1
	s_mov_b32 s17, exec_lo
	v_cmpx_ne_u16_e32 0x80, v0
	s_cbranch_execz .LBB349_633
; %bb.628:                              ;   in Loop: Header=BB349_15 Depth=1
	v_and_b32_e32 v7, 0x7f, v63
	v_mov_b32_e32 v58, 0x7f800001
	s_mov_b32 s18, exec_lo
	s_delay_alu instid0(VALU_DEP_2)
	v_cmpx_ne_u32_e32 0x7f, v7
	s_cbranch_execz .LBB349_632
; %bb.629:                              ;   in Loop: Header=BB349_15 Depth=1
	v_mov_b64_e32 v[60:61], v[48:49]
	v_lshrrev_b32_e32 v0, 3, v7
	s_mov_b32 s19, exec_lo
	v_cmpx_gt_u32_e32 8, v7
; %bb.630:                              ;   in Loop: Header=BB349_15 Depth=1
	v_and_b32_e32 v0, 7, v63
	s_delay_alu instid0(VALU_DEP_1) | instskip(NEXT) | instid1(VALU_DEP_1)
	v_clz_i32_u32_e32 v0, v0
	v_min_u32_e32 v0, 32, v0
	s_delay_alu instid0(VALU_DEP_1) | instskip(SKIP_1) | instid1(VALU_DEP_2)
	v_subrev_nc_u32_e32 v7, 28, v0
	v_sub_nc_u32_e32 v0, 29, v0
	v_lshlrev_b64_e32 v[60:61], v7, v[48:49]
; %bb.631:                              ;   in Loop: Header=BB349_15 Depth=1
	s_or_b32 exec_lo, exec_lo, s19
	s_delay_alu instid0(VALU_DEP_1) | instskip(SKIP_2) | instid1(VALU_DEP_3)
	v_lshlrev_b32_e32 v7, 20, v60
	v_lshlrev_b32_e32 v10, 24, v48
	v_lshl_add_u32 v0, v0, 23, 0x3c000000
	v_and_b32_e32 v7, 0x700000, v7
	s_delay_alu instid0(VALU_DEP_3) | instskip(NEXT) | instid1(VALU_DEP_1)
	v_and_b32_e32 v10, 0x80000000, v10
	v_or3_b32 v58, v7, v10, v0
.LBB349_632:                            ;   in Loop: Header=BB349_15 Depth=1
	s_or_b32 exec_lo, exec_lo, s18
.LBB349_633:                            ;   in Loop: Header=BB349_15 Depth=1
	s_delay_alu instid0(SALU_CYCLE_1)
	s_or_b32 exec_lo, exec_lo, s17
.LBB349_634:                            ;   in Loop: Header=BB349_15 Depth=1
	s_delay_alu instid0(SALU_CYCLE_1) | instskip(SKIP_2) | instid1(VALU_DEP_1)
	s_or_b32 exec_lo, exec_lo, s16
	v_lshrrev_b16 v0, 8, v48
	s_mov_b32 s16, exec_lo
	v_cmpx_ne_u16_e32 0, v0
	s_cbranch_execz .LBB349_642
; %bb.635:                              ;   in Loop: Header=BB349_15 Depth=1
	v_bfrev_b32_e32 v59, 1
	s_mov_b32 s17, exec_lo
	v_cmpx_ne_u16_e32 0x80, v0
	s_cbranch_execz .LBB349_641
; %bb.636:                              ;   in Loop: Header=BB349_15 Depth=1
	v_and_b32_e32 v0, 0xffff, v0
	v_mov_b32_e32 v59, 0x7f800001
	s_mov_b32 s18, exec_lo
	s_delay_alu instid0(VALU_DEP_2) | instskip(NEXT) | instid1(VALU_DEP_1)
	v_and_b32_e32 v38, 0x7f, v0
	v_cmpx_ne_u32_e32 0x7f, v38
	s_cbranch_execz .LBB349_640
; %bb.637:                              ;   in Loop: Header=BB349_15 Depth=1
	v_dual_mov_b32 v61, v49 :: v_dual_bitop2_b32 v60, 7, v0 bitop3:0x40
	v_lshrrev_b32_e32 v0, 3, v38
	s_mov_b32 s19, exec_lo
	v_cmpx_gt_u32_e32 8, v38
; %bb.638:                              ;   in Loop: Header=BB349_15 Depth=1
	s_delay_alu instid0(VALU_DEP_3) | instskip(NEXT) | instid1(VALU_DEP_1)
	v_clz_i32_u32_e32 v0, v60
	v_min_u32_e32 v0, 32, v0
	s_delay_alu instid0(VALU_DEP_1) | instskip(SKIP_1) | instid1(VALU_DEP_2)
	v_subrev_nc_u32_e32 v7, 28, v0
	v_sub_nc_u32_e32 v0, 29, v0
	v_lshlrev_b64_e32 v[60:61], v7, v[60:61]
	s_delay_alu instid0(VALU_DEP_1)
	v_and_b32_e32 v60, 7, v60
; %bb.639:                              ;   in Loop: Header=BB349_15 Depth=1
	s_or_b32 exec_lo, exec_lo, s19
	v_lshlrev_b32_e32 v7, 16, v48
	s_delay_alu instid0(VALU_DEP_2) | instskip(SKIP_1) | instid1(VALU_DEP_3)
	v_lshlrev_b32_e32 v10, 20, v60
	v_lshl_add_u32 v0, v0, 23, 0x3c000000
	v_and_b32_e32 v7, 0x80000000, v7
	s_delay_alu instid0(VALU_DEP_1)
	v_or3_b32 v59, v10, v7, v0
.LBB349_640:                            ;   in Loop: Header=BB349_15 Depth=1
	s_or_b32 exec_lo, exec_lo, s18
.LBB349_641:                            ;   in Loop: Header=BB349_15 Depth=1
	s_delay_alu instid0(SALU_CYCLE_1)
	s_or_b32 exec_lo, exec_lo, s17
.LBB349_642:                            ;   in Loop: Header=BB349_15 Depth=1
	s_delay_alu instid0(SALU_CYCLE_1) | instskip(SKIP_3) | instid1(VALU_DEP_2)
	s_or_b32 exec_lo, exec_lo, s16
	v_dual_mov_b32 v61, 0 :: v_dual_lshrrev_b32 v0, 16, v63
	v_mov_b32_e32 v60, 0
	s_mov_b32 s16, exec_lo
	v_and_b32_e32 v7, 0xff, v0
	s_delay_alu instid0(VALU_DEP_1)
	v_cmpx_ne_u16_e32 0, v7
	s_cbranch_execz .LBB349_650
; %bb.643:                              ;   in Loop: Header=BB349_15 Depth=1
	v_bfrev_b32_e32 v60, 1
	s_mov_b32 s17, exec_lo
	v_cmpx_ne_u16_e32 0x80, v7
	s_cbranch_execz .LBB349_649
; %bb.644:                              ;   in Loop: Header=BB349_15 Depth=1
	v_bfe_u32 v72, v63, 16, 7
	v_mov_b32_e32 v60, 0x7f800001
	s_mov_b32 s18, exec_lo
	s_delay_alu instid0(VALU_DEP_2)
	v_cmpx_ne_u32_e32 0x7f, v72
	s_cbranch_execz .LBB349_648
; %bb.645:                              ;   in Loop: Header=BB349_15 Depth=1
	v_and_b32_e32 v48, 7, v0
	v_lshrrev_b32_e32 v38, 3, v72
	s_mov_b32 s19, exec_lo
	v_cmpx_gt_u32_e32 8, v72
; %bb.646:                              ;   in Loop: Header=BB349_15 Depth=1
	s_delay_alu instid0(VALU_DEP_3) | instskip(NEXT) | instid1(VALU_DEP_1)
	v_clz_i32_u32_e32 v7, v48
	v_min_u32_e32 v7, 32, v7
	s_delay_alu instid0(VALU_DEP_1) | instskip(NEXT) | instid1(VALU_DEP_1)
	v_subrev_nc_u32_e32 v10, 28, v7
	v_lshlrev_b64_e32 v[72:73], v10, v[48:49]
	s_delay_alu instid0(VALU_DEP_1)
	v_dual_sub_nc_u32 v38, 29, v7 :: v_dual_bitop2_b32 v48, 7, v72 bitop3:0x40
; %bb.647:                              ;   in Loop: Header=BB349_15 Depth=1
	s_or_b32 exec_lo, exec_lo, s19
	v_lshlrev_b32_e32 v0, 24, v0
	s_delay_alu instid0(VALU_DEP_2) | instskip(NEXT) | instid1(VALU_DEP_3)
	v_lshlrev_b32_e32 v7, 20, v48
	v_lshl_add_u32 v10, v38, 23, 0x3c000000
	s_delay_alu instid0(VALU_DEP_3) | instskip(NEXT) | instid1(VALU_DEP_1)
	v_and_b32_e32 v0, 0x80000000, v0
	v_or3_b32 v60, v7, v0, v10
.LBB349_648:                            ;   in Loop: Header=BB349_15 Depth=1
	s_or_b32 exec_lo, exec_lo, s18
.LBB349_649:                            ;   in Loop: Header=BB349_15 Depth=1
	s_delay_alu instid0(SALU_CYCLE_1)
	s_or_b32 exec_lo, exec_lo, s17
.LBB349_650:                            ;   in Loop: Header=BB349_15 Depth=1
	s_delay_alu instid0(SALU_CYCLE_1) | instskip(NEXT) | instid1(SALU_CYCLE_1)
	s_or_b32 exec_lo, exec_lo, s16
	s_mov_b32 s16, exec_lo
	v_cmpx_lt_u64_e64 s[8:9], v[62:63]
	s_cbranch_execz .LBB349_658
; %bb.651:                              ;   in Loop: Header=BB349_15 Depth=1
	v_lshrrev_b32_e32 v0, 24, v63
	v_bfrev_b32_e32 v61, 1
	s_mov_b32 s17, exec_lo
	s_delay_alu instid0(VALU_DEP_2)
	v_cmpx_ne_u32_e32 0x80, v0
	s_cbranch_execz .LBB349_657
; %bb.652:                              ;   in Loop: Header=BB349_15 Depth=1
	v_bfe_u32 v62, v63, 24, 7
	v_mov_b32_e32 v61, 0x7f800001
	s_mov_b32 s18, exec_lo
	s_delay_alu instid0(VALU_DEP_2)
	v_cmpx_ne_u32_e32 0x7f, v62
	s_cbranch_execz .LBB349_656
; %bb.653:                              ;   in Loop: Header=BB349_15 Depth=1
	v_dual_lshrrev_b32 v38, 3, v62 :: v_dual_bitop2_b32 v48, 7, v0 bitop3:0x40
	s_mov_b32 s19, exec_lo
	v_cmpx_gt_u32_e32 8, v62
; %bb.654:                              ;   in Loop: Header=BB349_15 Depth=1
	s_delay_alu instid0(VALU_DEP_2) | instskip(NEXT) | instid1(VALU_DEP_1)
	v_clz_i32_u32_e32 v7, v48
	v_min_u32_e32 v7, 32, v7
	s_delay_alu instid0(VALU_DEP_1) | instskip(NEXT) | instid1(VALU_DEP_1)
	v_subrev_nc_u32_e32 v10, 28, v7
	v_lshlrev_b64_e32 v[62:63], v10, v[48:49]
	s_delay_alu instid0(VALU_DEP_1)
	v_dual_sub_nc_u32 v38, 29, v7 :: v_dual_bitop2_b32 v48, 7, v62 bitop3:0x40
; %bb.655:                              ;   in Loop: Header=BB349_15 Depth=1
	s_or_b32 exec_lo, exec_lo, s19
	v_lshlrev_b32_e32 v0, 24, v0
	s_delay_alu instid0(VALU_DEP_2) | instskip(NEXT) | instid1(VALU_DEP_3)
	v_lshlrev_b32_e32 v7, 20, v48
	v_lshl_add_u32 v10, v38, 23, 0x3c000000
	s_delay_alu instid0(VALU_DEP_3) | instskip(NEXT) | instid1(VALU_DEP_1)
	v_and_b32_e32 v0, 0x80000000, v0
	v_or3_b32 v61, v7, v0, v10
.LBB349_656:                            ;   in Loop: Header=BB349_15 Depth=1
	s_or_b32 exec_lo, exec_lo, s18
.LBB349_657:                            ;   in Loop: Header=BB349_15 Depth=1
	s_delay_alu instid0(SALU_CYCLE_1)
	s_or_b32 exec_lo, exec_lo, s17
.LBB349_658:                            ;   in Loop: Header=BB349_15 Depth=1
	s_delay_alu instid0(SALU_CYCLE_1)
	s_or_b32 exec_lo, exec_lo, s16
	flat_load_b64 v[78:79], v[70:71] offset:2560
	v_dual_mov_b32 v63, 0 :: v_dual_mov_b32 v62, 0
	s_mov_b32 s16, exec_lo
	s_wait_loadcnt_dscnt 0x0
	v_and_b32_e32 v0, 0xff, v78
	s_wait_xcnt 0x0
	s_delay_alu instid0(VALU_DEP_1)
	v_cmpx_ne_u16_e32 0, v0
	s_cbranch_execz .LBB349_666
; %bb.659:                              ;   in Loop: Header=BB349_15 Depth=1
	v_bfrev_b32_e32 v62, 1
	s_mov_b32 s17, exec_lo
	v_cmpx_ne_u16_e32 0x80, v0
	s_cbranch_execz .LBB349_665
; %bb.660:                              ;   in Loop: Header=BB349_15 Depth=1
	v_and_b32_e32 v7, 0x7f, v78
	v_mov_b32_e32 v62, 0x7f800001
	s_mov_b32 s18, exec_lo
	s_delay_alu instid0(VALU_DEP_2)
	v_cmpx_ne_u32_e32 0x7f, v7
	s_cbranch_execz .LBB349_664
; %bb.661:                              ;   in Loop: Header=BB349_15 Depth=1
	v_mov_b64_e32 v[72:73], v[78:79]
	v_lshrrev_b32_e32 v0, 3, v7
	s_mov_b32 s19, exec_lo
	v_cmpx_gt_u32_e32 8, v7
; %bb.662:                              ;   in Loop: Header=BB349_15 Depth=1
	v_and_b32_e32 v0, 7, v78
	s_delay_alu instid0(VALU_DEP_1) | instskip(NEXT) | instid1(VALU_DEP_1)
	v_clz_i32_u32_e32 v0, v0
	v_min_u32_e32 v0, 32, v0
	s_delay_alu instid0(VALU_DEP_1) | instskip(SKIP_1) | instid1(VALU_DEP_2)
	v_subrev_nc_u32_e32 v7, 28, v0
	v_sub_nc_u32_e32 v0, 29, v0
	v_lshlrev_b64_e32 v[72:73], v7, v[78:79]
; %bb.663:                              ;   in Loop: Header=BB349_15 Depth=1
	s_or_b32 exec_lo, exec_lo, s19
	s_delay_alu instid0(VALU_DEP_1) | instskip(NEXT) | instid1(VALU_DEP_3)
	v_dual_lshlrev_b32 v7, 20, v72 :: v_dual_lshlrev_b32 v10, 24, v78
	v_lshl_add_u32 v0, v0, 23, 0x3c000000
	s_delay_alu instid0(VALU_DEP_2) | instskip(NEXT) | instid1(VALU_DEP_3)
	v_and_b32_e32 v7, 0x700000, v7
	v_and_b32_e32 v10, 0x80000000, v10
	s_delay_alu instid0(VALU_DEP_1)
	v_or3_b32 v62, v7, v10, v0
.LBB349_664:                            ;   in Loop: Header=BB349_15 Depth=1
	s_or_b32 exec_lo, exec_lo, s18
.LBB349_665:                            ;   in Loop: Header=BB349_15 Depth=1
	s_delay_alu instid0(SALU_CYCLE_1)
	s_or_b32 exec_lo, exec_lo, s17
.LBB349_666:                            ;   in Loop: Header=BB349_15 Depth=1
	s_delay_alu instid0(SALU_CYCLE_1) | instskip(SKIP_2) | instid1(VALU_DEP_1)
	s_or_b32 exec_lo, exec_lo, s16
	v_lshrrev_b16 v0, 8, v78
	s_mov_b32 s16, exec_lo
	v_cmpx_ne_u16_e32 0, v0
	s_cbranch_execz .LBB349_674
; %bb.667:                              ;   in Loop: Header=BB349_15 Depth=1
	v_bfrev_b32_e32 v63, 1
	s_mov_b32 s17, exec_lo
	v_cmpx_ne_u16_e32 0x80, v0
	s_cbranch_execz .LBB349_673
; %bb.668:                              ;   in Loop: Header=BB349_15 Depth=1
	v_and_b32_e32 v0, 0xffff, v0
	v_mov_b32_e32 v63, 0x7f800001
	s_mov_b32 s18, exec_lo
	s_delay_alu instid0(VALU_DEP_2) | instskip(NEXT) | instid1(VALU_DEP_1)
	v_and_b32_e32 v38, 0x7f, v0
	v_cmpx_ne_u32_e32 0x7f, v38
	s_cbranch_execz .LBB349_672
; %bb.669:                              ;   in Loop: Header=BB349_15 Depth=1
	v_dual_lshrrev_b32 v0, 3, v38 :: v_dual_bitop2_b32 v48, 7, v0 bitop3:0x40
	s_mov_b32 s19, exec_lo
	v_cmpx_gt_u32_e32 8, v38
; %bb.670:                              ;   in Loop: Header=BB349_15 Depth=1
	s_delay_alu instid0(VALU_DEP_2) | instskip(NEXT) | instid1(VALU_DEP_1)
	v_clz_i32_u32_e32 v0, v48
	v_min_u32_e32 v0, 32, v0
	s_delay_alu instid0(VALU_DEP_1) | instskip(SKIP_1) | instid1(VALU_DEP_2)
	v_subrev_nc_u32_e32 v7, 28, v0
	v_sub_nc_u32_e32 v0, 29, v0
	v_lshlrev_b64_e32 v[72:73], v7, v[48:49]
	s_delay_alu instid0(VALU_DEP_1)
	v_and_b32_e32 v48, 7, v72
; %bb.671:                              ;   in Loop: Header=BB349_15 Depth=1
	s_or_b32 exec_lo, exec_lo, s19
	s_delay_alu instid0(VALU_DEP_1) | instskip(SKIP_1) | instid1(VALU_DEP_2)
	v_dual_lshlrev_b32 v7, 16, v78 :: v_dual_lshlrev_b32 v10, 20, v48
	v_lshl_add_u32 v0, v0, 23, 0x3c000000
	v_and_b32_e32 v7, 0x80000000, v7
	s_delay_alu instid0(VALU_DEP_1)
	v_or3_b32 v63, v10, v7, v0
.LBB349_672:                            ;   in Loop: Header=BB349_15 Depth=1
	s_or_b32 exec_lo, exec_lo, s18
.LBB349_673:                            ;   in Loop: Header=BB349_15 Depth=1
	s_delay_alu instid0(SALU_CYCLE_1)
	s_or_b32 exec_lo, exec_lo, s17
.LBB349_674:                            ;   in Loop: Header=BB349_15 Depth=1
	s_delay_alu instid0(SALU_CYCLE_1) | instskip(SKIP_3) | instid1(VALU_DEP_2)
	s_or_b32 exec_lo, exec_lo, s16
	v_dual_mov_b32 v73, 0 :: v_dual_lshrrev_b32 v0, 16, v78
	v_mov_b32_e32 v72, 0
	s_mov_b32 s16, exec_lo
	v_and_b32_e32 v7, 0xff, v0
	s_delay_alu instid0(VALU_DEP_1)
	v_cmpx_ne_u16_e32 0, v7
	s_cbranch_execz .LBB349_682
; %bb.675:                              ;   in Loop: Header=BB349_15 Depth=1
	v_bfrev_b32_e32 v72, 1
	s_mov_b32 s17, exec_lo
	v_cmpx_ne_u16_e32 0x80, v7
	s_cbranch_execz .LBB349_681
; %bb.676:                              ;   in Loop: Header=BB349_15 Depth=1
	v_bfe_u32 v74, v78, 16, 7
	v_mov_b32_e32 v72, 0x7f800001
	s_mov_b32 s18, exec_lo
	s_delay_alu instid0(VALU_DEP_2)
	v_cmpx_ne_u32_e32 0x7f, v74
	s_cbranch_execz .LBB349_680
; %bb.677:                              ;   in Loop: Header=BB349_15 Depth=1
	v_dual_lshrrev_b32 v38, 3, v74 :: v_dual_bitop2_b32 v48, 7, v0 bitop3:0x40
	s_mov_b32 s19, exec_lo
	v_cmpx_gt_u32_e32 8, v74
; %bb.678:                              ;   in Loop: Header=BB349_15 Depth=1
	s_delay_alu instid0(VALU_DEP_2) | instskip(NEXT) | instid1(VALU_DEP_1)
	v_clz_i32_u32_e32 v7, v48
	v_min_u32_e32 v7, 32, v7
	s_delay_alu instid0(VALU_DEP_1) | instskip(NEXT) | instid1(VALU_DEP_1)
	v_subrev_nc_u32_e32 v10, 28, v7
	v_lshlrev_b64_e32 v[74:75], v10, v[48:49]
	s_delay_alu instid0(VALU_DEP_1)
	v_dual_sub_nc_u32 v38, 29, v7 :: v_dual_bitop2_b32 v48, 7, v74 bitop3:0x40
; %bb.679:                              ;   in Loop: Header=BB349_15 Depth=1
	s_or_b32 exec_lo, exec_lo, s19
	v_lshlrev_b32_e32 v0, 24, v0
	s_delay_alu instid0(VALU_DEP_2) | instskip(NEXT) | instid1(VALU_DEP_3)
	v_lshlrev_b32_e32 v7, 20, v48
	v_lshl_add_u32 v10, v38, 23, 0x3c000000
	s_delay_alu instid0(VALU_DEP_3) | instskip(NEXT) | instid1(VALU_DEP_1)
	v_and_b32_e32 v0, 0x80000000, v0
	v_or3_b32 v72, v7, v0, v10
.LBB349_680:                            ;   in Loop: Header=BB349_15 Depth=1
	s_or_b32 exec_lo, exec_lo, s18
.LBB349_681:                            ;   in Loop: Header=BB349_15 Depth=1
	s_delay_alu instid0(SALU_CYCLE_1)
	s_or_b32 exec_lo, exec_lo, s17
.LBB349_682:                            ;   in Loop: Header=BB349_15 Depth=1
	s_delay_alu instid0(SALU_CYCLE_1) | instskip(NEXT) | instid1(SALU_CYCLE_1)
	s_or_b32 exec_lo, exec_lo, s16
	s_mov_b32 s16, exec_lo
	v_cmpx_lt_u32_e32 0xffffff, v78
	s_cbranch_execz .LBB349_690
; %bb.683:                              ;   in Loop: Header=BB349_15 Depth=1
	v_lshrrev_b32_e32 v0, 24, v78
	v_bfrev_b32_e32 v73, 1
	s_mov_b32 s17, exec_lo
	s_delay_alu instid0(VALU_DEP_2)
	v_cmpx_ne_u32_e32 0x80, v0
	s_cbranch_execz .LBB349_689
; %bb.684:                              ;   in Loop: Header=BB349_15 Depth=1
	v_bfe_u32 v74, v78, 24, 7
	v_mov_b32_e32 v73, 0x7f800001
	s_mov_b32 s18, exec_lo
	s_delay_alu instid0(VALU_DEP_2)
	v_cmpx_ne_u32_e32 0x7f, v74
	s_cbranch_execz .LBB349_688
; %bb.685:                              ;   in Loop: Header=BB349_15 Depth=1
	v_dual_lshrrev_b32 v38, 3, v74 :: v_dual_bitop2_b32 v48, 7, v0 bitop3:0x40
	s_mov_b32 s19, exec_lo
	v_cmpx_gt_u32_e32 8, v74
; %bb.686:                              ;   in Loop: Header=BB349_15 Depth=1
	s_delay_alu instid0(VALU_DEP_2) | instskip(NEXT) | instid1(VALU_DEP_1)
	v_clz_i32_u32_e32 v7, v48
	v_min_u32_e32 v7, 32, v7
	s_delay_alu instid0(VALU_DEP_1) | instskip(NEXT) | instid1(VALU_DEP_1)
	v_subrev_nc_u32_e32 v10, 28, v7
	v_lshlrev_b64_e32 v[74:75], v10, v[48:49]
	s_delay_alu instid0(VALU_DEP_1)
	v_dual_sub_nc_u32 v38, 29, v7 :: v_dual_bitop2_b32 v48, 7, v74 bitop3:0x40
; %bb.687:                              ;   in Loop: Header=BB349_15 Depth=1
	s_or_b32 exec_lo, exec_lo, s19
	v_lshlrev_b32_e32 v0, 24, v0
	s_delay_alu instid0(VALU_DEP_2) | instskip(NEXT) | instid1(VALU_DEP_3)
	v_lshlrev_b32_e32 v7, 20, v48
	v_lshl_add_u32 v10, v38, 23, 0x3c000000
	s_delay_alu instid0(VALU_DEP_3) | instskip(NEXT) | instid1(VALU_DEP_1)
	v_and_b32_e32 v0, 0x80000000, v0
	v_or3_b32 v73, v7, v0, v10
.LBB349_688:                            ;   in Loop: Header=BB349_15 Depth=1
	s_or_b32 exec_lo, exec_lo, s18
.LBB349_689:                            ;   in Loop: Header=BB349_15 Depth=1
	s_delay_alu instid0(SALU_CYCLE_1)
	s_or_b32 exec_lo, exec_lo, s17
.LBB349_690:                            ;   in Loop: Header=BB349_15 Depth=1
	s_delay_alu instid0(SALU_CYCLE_1) | instskip(SKIP_4) | instid1(VALU_DEP_3)
	s_or_b32 exec_lo, exec_lo, s16
	v_and_b32_e32 v0, 0xff, v79
	v_dual_mov_b32 v48, v79 :: v_dual_mov_b32 v75, 0
	v_mov_b32_e32 v74, 0
	s_mov_b32 s16, exec_lo
	v_cmpx_ne_u16_e32 0, v0
	s_cbranch_execz .LBB349_698
; %bb.691:                              ;   in Loop: Header=BB349_15 Depth=1
	v_bfrev_b32_e32 v74, 1
	s_mov_b32 s17, exec_lo
	v_cmpx_ne_u16_e32 0x80, v0
	s_cbranch_execz .LBB349_697
; %bb.692:                              ;   in Loop: Header=BB349_15 Depth=1
	v_and_b32_e32 v7, 0x7f, v79
	v_mov_b32_e32 v74, 0x7f800001
	s_mov_b32 s18, exec_lo
	s_delay_alu instid0(VALU_DEP_2)
	v_cmpx_ne_u32_e32 0x7f, v7
	s_cbranch_execz .LBB349_696
; %bb.693:                              ;   in Loop: Header=BB349_15 Depth=1
	v_mov_b64_e32 v[76:77], v[48:49]
	v_lshrrev_b32_e32 v0, 3, v7
	s_mov_b32 s19, exec_lo
	v_cmpx_gt_u32_e32 8, v7
; %bb.694:                              ;   in Loop: Header=BB349_15 Depth=1
	v_and_b32_e32 v0, 7, v79
	s_delay_alu instid0(VALU_DEP_1) | instskip(NEXT) | instid1(VALU_DEP_1)
	v_clz_i32_u32_e32 v0, v0
	v_min_u32_e32 v0, 32, v0
	s_delay_alu instid0(VALU_DEP_1) | instskip(SKIP_1) | instid1(VALU_DEP_2)
	v_subrev_nc_u32_e32 v7, 28, v0
	v_sub_nc_u32_e32 v0, 29, v0
	v_lshlrev_b64_e32 v[76:77], v7, v[48:49]
; %bb.695:                              ;   in Loop: Header=BB349_15 Depth=1
	s_or_b32 exec_lo, exec_lo, s19
	s_delay_alu instid0(VALU_DEP_1) | instskip(SKIP_2) | instid1(VALU_DEP_3)
	v_lshlrev_b32_e32 v7, 20, v76
	v_lshlrev_b32_e32 v10, 24, v48
	v_lshl_add_u32 v0, v0, 23, 0x3c000000
	v_and_b32_e32 v7, 0x700000, v7
	s_delay_alu instid0(VALU_DEP_3) | instskip(NEXT) | instid1(VALU_DEP_1)
	v_and_b32_e32 v10, 0x80000000, v10
	v_or3_b32 v74, v7, v10, v0
.LBB349_696:                            ;   in Loop: Header=BB349_15 Depth=1
	s_or_b32 exec_lo, exec_lo, s18
.LBB349_697:                            ;   in Loop: Header=BB349_15 Depth=1
	s_delay_alu instid0(SALU_CYCLE_1)
	s_or_b32 exec_lo, exec_lo, s17
.LBB349_698:                            ;   in Loop: Header=BB349_15 Depth=1
	s_delay_alu instid0(SALU_CYCLE_1) | instskip(SKIP_2) | instid1(VALU_DEP_1)
	s_or_b32 exec_lo, exec_lo, s16
	v_lshrrev_b16 v0, 8, v48
	s_mov_b32 s16, exec_lo
	v_cmpx_ne_u16_e32 0, v0
	s_cbranch_execz .LBB349_706
; %bb.699:                              ;   in Loop: Header=BB349_15 Depth=1
	v_bfrev_b32_e32 v75, 1
	s_mov_b32 s17, exec_lo
	v_cmpx_ne_u16_e32 0x80, v0
	s_cbranch_execz .LBB349_705
; %bb.700:                              ;   in Loop: Header=BB349_15 Depth=1
	v_and_b32_e32 v0, 0xffff, v0
	v_mov_b32_e32 v75, 0x7f800001
	s_mov_b32 s18, exec_lo
	s_delay_alu instid0(VALU_DEP_2) | instskip(NEXT) | instid1(VALU_DEP_1)
	v_and_b32_e32 v38, 0x7f, v0
	v_cmpx_ne_u32_e32 0x7f, v38
	s_cbranch_execz .LBB349_704
; %bb.701:                              ;   in Loop: Header=BB349_15 Depth=1
	v_dual_mov_b32 v77, v49 :: v_dual_bitop2_b32 v76, 7, v0 bitop3:0x40
	v_lshrrev_b32_e32 v0, 3, v38
	s_mov_b32 s19, exec_lo
	v_cmpx_gt_u32_e32 8, v38
; %bb.702:                              ;   in Loop: Header=BB349_15 Depth=1
	s_delay_alu instid0(VALU_DEP_3) | instskip(NEXT) | instid1(VALU_DEP_1)
	v_clz_i32_u32_e32 v0, v76
	v_min_u32_e32 v0, 32, v0
	s_delay_alu instid0(VALU_DEP_1) | instskip(SKIP_1) | instid1(VALU_DEP_2)
	v_subrev_nc_u32_e32 v7, 28, v0
	v_sub_nc_u32_e32 v0, 29, v0
	v_lshlrev_b64_e32 v[76:77], v7, v[76:77]
	s_delay_alu instid0(VALU_DEP_1)
	v_and_b32_e32 v76, 7, v76
; %bb.703:                              ;   in Loop: Header=BB349_15 Depth=1
	s_or_b32 exec_lo, exec_lo, s19
	v_lshlrev_b32_e32 v7, 16, v48
	s_delay_alu instid0(VALU_DEP_2) | instskip(SKIP_1) | instid1(VALU_DEP_3)
	v_lshlrev_b32_e32 v10, 20, v76
	v_lshl_add_u32 v0, v0, 23, 0x3c000000
	v_and_b32_e32 v7, 0x80000000, v7
	s_delay_alu instid0(VALU_DEP_1)
	v_or3_b32 v75, v10, v7, v0
.LBB349_704:                            ;   in Loop: Header=BB349_15 Depth=1
	s_or_b32 exec_lo, exec_lo, s18
.LBB349_705:                            ;   in Loop: Header=BB349_15 Depth=1
	s_delay_alu instid0(SALU_CYCLE_1)
	s_or_b32 exec_lo, exec_lo, s17
.LBB349_706:                            ;   in Loop: Header=BB349_15 Depth=1
	s_delay_alu instid0(SALU_CYCLE_1) | instskip(SKIP_3) | instid1(VALU_DEP_2)
	s_or_b32 exec_lo, exec_lo, s16
	v_dual_mov_b32 v77, 0 :: v_dual_lshrrev_b32 v0, 16, v79
	v_mov_b32_e32 v76, 0
	s_mov_b32 s16, exec_lo
	v_and_b32_e32 v7, 0xff, v0
	s_delay_alu instid0(VALU_DEP_1)
	v_cmpx_ne_u16_e32 0, v7
	s_cbranch_execz .LBB349_714
; %bb.707:                              ;   in Loop: Header=BB349_15 Depth=1
	v_bfrev_b32_e32 v76, 1
	s_mov_b32 s17, exec_lo
	v_cmpx_ne_u16_e32 0x80, v7
	s_cbranch_execz .LBB349_713
; %bb.708:                              ;   in Loop: Header=BB349_15 Depth=1
	v_bfe_u32 v88, v79, 16, 7
	v_mov_b32_e32 v76, 0x7f800001
	s_mov_b32 s18, exec_lo
	s_delay_alu instid0(VALU_DEP_2)
	v_cmpx_ne_u32_e32 0x7f, v88
	s_cbranch_execz .LBB349_712
; %bb.709:                              ;   in Loop: Header=BB349_15 Depth=1
	v_and_b32_e32 v48, 7, v0
	v_lshrrev_b32_e32 v38, 3, v88
	s_mov_b32 s19, exec_lo
	v_cmpx_gt_u32_e32 8, v88
; %bb.710:                              ;   in Loop: Header=BB349_15 Depth=1
	s_delay_alu instid0(VALU_DEP_3) | instskip(NEXT) | instid1(VALU_DEP_1)
	v_clz_i32_u32_e32 v7, v48
	v_min_u32_e32 v7, 32, v7
	s_delay_alu instid0(VALU_DEP_1) | instskip(NEXT) | instid1(VALU_DEP_1)
	v_subrev_nc_u32_e32 v10, 28, v7
	v_lshlrev_b64_e32 v[88:89], v10, v[48:49]
	s_delay_alu instid0(VALU_DEP_1)
	v_dual_sub_nc_u32 v38, 29, v7 :: v_dual_bitop2_b32 v48, 7, v88 bitop3:0x40
; %bb.711:                              ;   in Loop: Header=BB349_15 Depth=1
	s_or_b32 exec_lo, exec_lo, s19
	v_lshlrev_b32_e32 v0, 24, v0
	s_delay_alu instid0(VALU_DEP_2) | instskip(NEXT) | instid1(VALU_DEP_3)
	v_lshlrev_b32_e32 v7, 20, v48
	v_lshl_add_u32 v10, v38, 23, 0x3c000000
	s_delay_alu instid0(VALU_DEP_3) | instskip(NEXT) | instid1(VALU_DEP_1)
	v_and_b32_e32 v0, 0x80000000, v0
	v_or3_b32 v76, v7, v0, v10
.LBB349_712:                            ;   in Loop: Header=BB349_15 Depth=1
	s_or_b32 exec_lo, exec_lo, s18
.LBB349_713:                            ;   in Loop: Header=BB349_15 Depth=1
	s_delay_alu instid0(SALU_CYCLE_1)
	s_or_b32 exec_lo, exec_lo, s17
.LBB349_714:                            ;   in Loop: Header=BB349_15 Depth=1
	s_delay_alu instid0(SALU_CYCLE_1) | instskip(NEXT) | instid1(SALU_CYCLE_1)
	s_or_b32 exec_lo, exec_lo, s16
	s_mov_b32 s16, exec_lo
	v_cmpx_lt_u64_e64 s[8:9], v[78:79]
	s_cbranch_execz .LBB349_722
; %bb.715:                              ;   in Loop: Header=BB349_15 Depth=1
	v_lshrrev_b32_e32 v0, 24, v79
	v_bfrev_b32_e32 v77, 1
	s_mov_b32 s17, exec_lo
	s_delay_alu instid0(VALU_DEP_2)
	v_cmpx_ne_u32_e32 0x80, v0
	s_cbranch_execz .LBB349_721
; %bb.716:                              ;   in Loop: Header=BB349_15 Depth=1
	v_bfe_u32 v78, v79, 24, 7
	v_mov_b32_e32 v77, 0x7f800001
	s_mov_b32 s18, exec_lo
	s_delay_alu instid0(VALU_DEP_2)
	v_cmpx_ne_u32_e32 0x7f, v78
	s_cbranch_execz .LBB349_720
; %bb.717:                              ;   in Loop: Header=BB349_15 Depth=1
	v_dual_lshrrev_b32 v38, 3, v78 :: v_dual_bitop2_b32 v48, 7, v0 bitop3:0x40
	s_mov_b32 s19, exec_lo
	v_cmpx_gt_u32_e32 8, v78
; %bb.718:                              ;   in Loop: Header=BB349_15 Depth=1
	s_delay_alu instid0(VALU_DEP_2) | instskip(NEXT) | instid1(VALU_DEP_1)
	v_clz_i32_u32_e32 v7, v48
	v_min_u32_e32 v7, 32, v7
	s_delay_alu instid0(VALU_DEP_1) | instskip(NEXT) | instid1(VALU_DEP_1)
	v_subrev_nc_u32_e32 v10, 28, v7
	v_lshlrev_b64_e32 v[78:79], v10, v[48:49]
	s_delay_alu instid0(VALU_DEP_1)
	v_dual_sub_nc_u32 v38, 29, v7 :: v_dual_bitop2_b32 v48, 7, v78 bitop3:0x40
; %bb.719:                              ;   in Loop: Header=BB349_15 Depth=1
	s_or_b32 exec_lo, exec_lo, s19
	v_lshlrev_b32_e32 v0, 24, v0
	s_delay_alu instid0(VALU_DEP_2) | instskip(NEXT) | instid1(VALU_DEP_3)
	v_lshlrev_b32_e32 v7, 20, v48
	v_lshl_add_u32 v10, v38, 23, 0x3c000000
	s_delay_alu instid0(VALU_DEP_3) | instskip(NEXT) | instid1(VALU_DEP_1)
	v_and_b32_e32 v0, 0x80000000, v0
	v_or3_b32 v77, v7, v0, v10
.LBB349_720:                            ;   in Loop: Header=BB349_15 Depth=1
	s_or_b32 exec_lo, exec_lo, s18
.LBB349_721:                            ;   in Loop: Header=BB349_15 Depth=1
	s_delay_alu instid0(SALU_CYCLE_1)
	s_or_b32 exec_lo, exec_lo, s17
.LBB349_722:                            ;   in Loop: Header=BB349_15 Depth=1
	s_delay_alu instid0(SALU_CYCLE_1)
	s_or_b32 exec_lo, exec_lo, s16
	flat_load_b64 v[94:95], v[70:71] offset:2568
	v_dual_mov_b32 v79, 0 :: v_dual_mov_b32 v78, 0
	s_mov_b32 s16, exec_lo
	s_wait_loadcnt_dscnt 0x0
	v_and_b32_e32 v0, 0xff, v94
	s_wait_xcnt 0x0
	s_delay_alu instid0(VALU_DEP_1)
	v_cmpx_ne_u16_e32 0, v0
	s_cbranch_execz .LBB349_730
; %bb.723:                              ;   in Loop: Header=BB349_15 Depth=1
	v_bfrev_b32_e32 v78, 1
	s_mov_b32 s17, exec_lo
	v_cmpx_ne_u16_e32 0x80, v0
	s_cbranch_execz .LBB349_729
; %bb.724:                              ;   in Loop: Header=BB349_15 Depth=1
	v_and_b32_e32 v7, 0x7f, v94
	v_mov_b32_e32 v78, 0x7f800001
	s_mov_b32 s18, exec_lo
	s_delay_alu instid0(VALU_DEP_2)
	v_cmpx_ne_u32_e32 0x7f, v7
	s_cbranch_execz .LBB349_728
; %bb.725:                              ;   in Loop: Header=BB349_15 Depth=1
	v_mov_b64_e32 v[88:89], v[94:95]
	v_lshrrev_b32_e32 v0, 3, v7
	s_mov_b32 s19, exec_lo
	v_cmpx_gt_u32_e32 8, v7
; %bb.726:                              ;   in Loop: Header=BB349_15 Depth=1
	v_and_b32_e32 v0, 7, v94
	s_delay_alu instid0(VALU_DEP_1) | instskip(NEXT) | instid1(VALU_DEP_1)
	v_clz_i32_u32_e32 v0, v0
	v_min_u32_e32 v0, 32, v0
	s_delay_alu instid0(VALU_DEP_1) | instskip(SKIP_1) | instid1(VALU_DEP_2)
	v_subrev_nc_u32_e32 v7, 28, v0
	v_sub_nc_u32_e32 v0, 29, v0
	v_lshlrev_b64_e32 v[88:89], v7, v[94:95]
; %bb.727:                              ;   in Loop: Header=BB349_15 Depth=1
	s_or_b32 exec_lo, exec_lo, s19
	s_delay_alu instid0(VALU_DEP_1) | instskip(NEXT) | instid1(VALU_DEP_3)
	v_dual_lshlrev_b32 v7, 20, v88 :: v_dual_lshlrev_b32 v10, 24, v94
	v_lshl_add_u32 v0, v0, 23, 0x3c000000
	s_delay_alu instid0(VALU_DEP_2) | instskip(NEXT) | instid1(VALU_DEP_3)
	v_and_b32_e32 v7, 0x700000, v7
	v_and_b32_e32 v10, 0x80000000, v10
	s_delay_alu instid0(VALU_DEP_1)
	v_or3_b32 v78, v7, v10, v0
.LBB349_728:                            ;   in Loop: Header=BB349_15 Depth=1
	s_or_b32 exec_lo, exec_lo, s18
.LBB349_729:                            ;   in Loop: Header=BB349_15 Depth=1
	s_delay_alu instid0(SALU_CYCLE_1)
	s_or_b32 exec_lo, exec_lo, s17
.LBB349_730:                            ;   in Loop: Header=BB349_15 Depth=1
	s_delay_alu instid0(SALU_CYCLE_1) | instskip(SKIP_2) | instid1(VALU_DEP_1)
	s_or_b32 exec_lo, exec_lo, s16
	v_lshrrev_b16 v0, 8, v94
	s_mov_b32 s16, exec_lo
	v_cmpx_ne_u16_e32 0, v0
	s_cbranch_execz .LBB349_738
; %bb.731:                              ;   in Loop: Header=BB349_15 Depth=1
	v_bfrev_b32_e32 v79, 1
	s_mov_b32 s17, exec_lo
	v_cmpx_ne_u16_e32 0x80, v0
	s_cbranch_execz .LBB349_737
; %bb.732:                              ;   in Loop: Header=BB349_15 Depth=1
	v_and_b32_e32 v0, 0xffff, v0
	v_mov_b32_e32 v79, 0x7f800001
	s_mov_b32 s18, exec_lo
	s_delay_alu instid0(VALU_DEP_2) | instskip(NEXT) | instid1(VALU_DEP_1)
	v_and_b32_e32 v38, 0x7f, v0
	v_cmpx_ne_u32_e32 0x7f, v38
	s_cbranch_execz .LBB349_736
; %bb.733:                              ;   in Loop: Header=BB349_15 Depth=1
	v_dual_lshrrev_b32 v0, 3, v38 :: v_dual_bitop2_b32 v48, 7, v0 bitop3:0x40
	s_mov_b32 s19, exec_lo
	v_cmpx_gt_u32_e32 8, v38
; %bb.734:                              ;   in Loop: Header=BB349_15 Depth=1
	s_delay_alu instid0(VALU_DEP_2) | instskip(NEXT) | instid1(VALU_DEP_1)
	v_clz_i32_u32_e32 v0, v48
	v_min_u32_e32 v0, 32, v0
	s_delay_alu instid0(VALU_DEP_1) | instskip(SKIP_1) | instid1(VALU_DEP_2)
	v_subrev_nc_u32_e32 v7, 28, v0
	v_sub_nc_u32_e32 v0, 29, v0
	v_lshlrev_b64_e32 v[88:89], v7, v[48:49]
	s_delay_alu instid0(VALU_DEP_1)
	v_and_b32_e32 v48, 7, v88
; %bb.735:                              ;   in Loop: Header=BB349_15 Depth=1
	s_or_b32 exec_lo, exec_lo, s19
	s_delay_alu instid0(VALU_DEP_1) | instskip(SKIP_1) | instid1(VALU_DEP_2)
	v_dual_lshlrev_b32 v7, 16, v94 :: v_dual_lshlrev_b32 v10, 20, v48
	v_lshl_add_u32 v0, v0, 23, 0x3c000000
	v_and_b32_e32 v7, 0x80000000, v7
	s_delay_alu instid0(VALU_DEP_1)
	v_or3_b32 v79, v10, v7, v0
.LBB349_736:                            ;   in Loop: Header=BB349_15 Depth=1
	s_or_b32 exec_lo, exec_lo, s18
.LBB349_737:                            ;   in Loop: Header=BB349_15 Depth=1
	s_delay_alu instid0(SALU_CYCLE_1)
	s_or_b32 exec_lo, exec_lo, s17
.LBB349_738:                            ;   in Loop: Header=BB349_15 Depth=1
	s_delay_alu instid0(SALU_CYCLE_1) | instskip(SKIP_3) | instid1(VALU_DEP_2)
	s_or_b32 exec_lo, exec_lo, s16
	v_dual_mov_b32 v89, 0 :: v_dual_lshrrev_b32 v0, 16, v94
	v_mov_b32_e32 v88, 0
	s_mov_b32 s16, exec_lo
	v_and_b32_e32 v7, 0xff, v0
	s_delay_alu instid0(VALU_DEP_1)
	v_cmpx_ne_u16_e32 0, v7
	s_cbranch_execz .LBB349_746
; %bb.739:                              ;   in Loop: Header=BB349_15 Depth=1
	v_bfrev_b32_e32 v88, 1
	s_mov_b32 s17, exec_lo
	v_cmpx_ne_u16_e32 0x80, v7
	s_cbranch_execz .LBB349_745
; %bb.740:                              ;   in Loop: Header=BB349_15 Depth=1
	v_bfe_u32 v90, v94, 16, 7
	v_mov_b32_e32 v88, 0x7f800001
	s_mov_b32 s18, exec_lo
	s_delay_alu instid0(VALU_DEP_2)
	v_cmpx_ne_u32_e32 0x7f, v90
	s_cbranch_execz .LBB349_744
; %bb.741:                              ;   in Loop: Header=BB349_15 Depth=1
	v_dual_lshrrev_b32 v38, 3, v90 :: v_dual_bitop2_b32 v48, 7, v0 bitop3:0x40
	s_mov_b32 s19, exec_lo
	v_cmpx_gt_u32_e32 8, v90
; %bb.742:                              ;   in Loop: Header=BB349_15 Depth=1
	s_delay_alu instid0(VALU_DEP_2) | instskip(NEXT) | instid1(VALU_DEP_1)
	v_clz_i32_u32_e32 v7, v48
	v_min_u32_e32 v7, 32, v7
	s_delay_alu instid0(VALU_DEP_1) | instskip(NEXT) | instid1(VALU_DEP_1)
	v_subrev_nc_u32_e32 v10, 28, v7
	v_lshlrev_b64_e32 v[90:91], v10, v[48:49]
	s_delay_alu instid0(VALU_DEP_1)
	v_dual_sub_nc_u32 v38, 29, v7 :: v_dual_bitop2_b32 v48, 7, v90 bitop3:0x40
; %bb.743:                              ;   in Loop: Header=BB349_15 Depth=1
	s_or_b32 exec_lo, exec_lo, s19
	v_lshlrev_b32_e32 v0, 24, v0
	s_delay_alu instid0(VALU_DEP_2) | instskip(NEXT) | instid1(VALU_DEP_3)
	v_lshlrev_b32_e32 v7, 20, v48
	v_lshl_add_u32 v10, v38, 23, 0x3c000000
	s_delay_alu instid0(VALU_DEP_3) | instskip(NEXT) | instid1(VALU_DEP_1)
	v_and_b32_e32 v0, 0x80000000, v0
	v_or3_b32 v88, v7, v0, v10
.LBB349_744:                            ;   in Loop: Header=BB349_15 Depth=1
	s_or_b32 exec_lo, exec_lo, s18
.LBB349_745:                            ;   in Loop: Header=BB349_15 Depth=1
	s_delay_alu instid0(SALU_CYCLE_1)
	s_or_b32 exec_lo, exec_lo, s17
.LBB349_746:                            ;   in Loop: Header=BB349_15 Depth=1
	s_delay_alu instid0(SALU_CYCLE_1) | instskip(NEXT) | instid1(SALU_CYCLE_1)
	s_or_b32 exec_lo, exec_lo, s16
	s_mov_b32 s16, exec_lo
	v_cmpx_lt_u32_e32 0xffffff, v94
	s_cbranch_execz .LBB349_754
; %bb.747:                              ;   in Loop: Header=BB349_15 Depth=1
	v_lshrrev_b32_e32 v0, 24, v94
	v_bfrev_b32_e32 v89, 1
	s_mov_b32 s17, exec_lo
	s_delay_alu instid0(VALU_DEP_2)
	v_cmpx_ne_u32_e32 0x80, v0
	s_cbranch_execz .LBB349_753
; %bb.748:                              ;   in Loop: Header=BB349_15 Depth=1
	v_bfe_u32 v90, v94, 24, 7
	v_mov_b32_e32 v89, 0x7f800001
	s_mov_b32 s18, exec_lo
	s_delay_alu instid0(VALU_DEP_2)
	v_cmpx_ne_u32_e32 0x7f, v90
	s_cbranch_execz .LBB349_752
; %bb.749:                              ;   in Loop: Header=BB349_15 Depth=1
	v_dual_lshrrev_b32 v38, 3, v90 :: v_dual_bitop2_b32 v48, 7, v0 bitop3:0x40
	s_mov_b32 s19, exec_lo
	v_cmpx_gt_u32_e32 8, v90
; %bb.750:                              ;   in Loop: Header=BB349_15 Depth=1
	s_delay_alu instid0(VALU_DEP_2) | instskip(NEXT) | instid1(VALU_DEP_1)
	v_clz_i32_u32_e32 v7, v48
	v_min_u32_e32 v7, 32, v7
	s_delay_alu instid0(VALU_DEP_1) | instskip(NEXT) | instid1(VALU_DEP_1)
	v_subrev_nc_u32_e32 v10, 28, v7
	v_lshlrev_b64_e32 v[90:91], v10, v[48:49]
	s_delay_alu instid0(VALU_DEP_1)
	v_dual_sub_nc_u32 v38, 29, v7 :: v_dual_bitop2_b32 v48, 7, v90 bitop3:0x40
; %bb.751:                              ;   in Loop: Header=BB349_15 Depth=1
	s_or_b32 exec_lo, exec_lo, s19
	v_lshlrev_b32_e32 v0, 24, v0
	s_delay_alu instid0(VALU_DEP_2) | instskip(NEXT) | instid1(VALU_DEP_3)
	v_lshlrev_b32_e32 v7, 20, v48
	v_lshl_add_u32 v10, v38, 23, 0x3c000000
	s_delay_alu instid0(VALU_DEP_3) | instskip(NEXT) | instid1(VALU_DEP_1)
	v_and_b32_e32 v0, 0x80000000, v0
	v_or3_b32 v89, v7, v0, v10
.LBB349_752:                            ;   in Loop: Header=BB349_15 Depth=1
	s_or_b32 exec_lo, exec_lo, s18
.LBB349_753:                            ;   in Loop: Header=BB349_15 Depth=1
	s_delay_alu instid0(SALU_CYCLE_1)
	s_or_b32 exec_lo, exec_lo, s17
.LBB349_754:                            ;   in Loop: Header=BB349_15 Depth=1
	s_delay_alu instid0(SALU_CYCLE_1) | instskip(SKIP_4) | instid1(VALU_DEP_3)
	s_or_b32 exec_lo, exec_lo, s16
	v_and_b32_e32 v0, 0xff, v95
	v_dual_mov_b32 v48, v95 :: v_dual_mov_b32 v91, 0
	v_mov_b32_e32 v90, 0
	s_mov_b32 s16, exec_lo
	v_cmpx_ne_u16_e32 0, v0
	s_cbranch_execz .LBB349_762
; %bb.755:                              ;   in Loop: Header=BB349_15 Depth=1
	v_bfrev_b32_e32 v90, 1
	s_mov_b32 s17, exec_lo
	v_cmpx_ne_u16_e32 0x80, v0
	s_cbranch_execz .LBB349_761
; %bb.756:                              ;   in Loop: Header=BB349_15 Depth=1
	v_and_b32_e32 v7, 0x7f, v95
	v_mov_b32_e32 v90, 0x7f800001
	s_mov_b32 s18, exec_lo
	s_delay_alu instid0(VALU_DEP_2)
	v_cmpx_ne_u32_e32 0x7f, v7
	s_cbranch_execz .LBB349_760
; %bb.757:                              ;   in Loop: Header=BB349_15 Depth=1
	v_mov_b64_e32 v[92:93], v[48:49]
	v_lshrrev_b32_e32 v0, 3, v7
	s_mov_b32 s19, exec_lo
	v_cmpx_gt_u32_e32 8, v7
; %bb.758:                              ;   in Loop: Header=BB349_15 Depth=1
	v_and_b32_e32 v0, 7, v95
	s_delay_alu instid0(VALU_DEP_1) | instskip(NEXT) | instid1(VALU_DEP_1)
	v_clz_i32_u32_e32 v0, v0
	v_min_u32_e32 v0, 32, v0
	s_delay_alu instid0(VALU_DEP_1) | instskip(SKIP_1) | instid1(VALU_DEP_2)
	v_subrev_nc_u32_e32 v7, 28, v0
	v_sub_nc_u32_e32 v0, 29, v0
	v_lshlrev_b64_e32 v[92:93], v7, v[48:49]
; %bb.759:                              ;   in Loop: Header=BB349_15 Depth=1
	s_or_b32 exec_lo, exec_lo, s19
	s_delay_alu instid0(VALU_DEP_1) | instskip(SKIP_2) | instid1(VALU_DEP_3)
	v_lshlrev_b32_e32 v7, 20, v92
	v_lshlrev_b32_e32 v10, 24, v48
	v_lshl_add_u32 v0, v0, 23, 0x3c000000
	v_and_b32_e32 v7, 0x700000, v7
	s_delay_alu instid0(VALU_DEP_3) | instskip(NEXT) | instid1(VALU_DEP_1)
	v_and_b32_e32 v10, 0x80000000, v10
	v_or3_b32 v90, v7, v10, v0
.LBB349_760:                            ;   in Loop: Header=BB349_15 Depth=1
	s_or_b32 exec_lo, exec_lo, s18
.LBB349_761:                            ;   in Loop: Header=BB349_15 Depth=1
	s_delay_alu instid0(SALU_CYCLE_1)
	s_or_b32 exec_lo, exec_lo, s17
.LBB349_762:                            ;   in Loop: Header=BB349_15 Depth=1
	s_delay_alu instid0(SALU_CYCLE_1) | instskip(SKIP_2) | instid1(VALU_DEP_1)
	s_or_b32 exec_lo, exec_lo, s16
	v_lshrrev_b16 v0, 8, v48
	s_mov_b32 s16, exec_lo
	v_cmpx_ne_u16_e32 0, v0
	s_cbranch_execz .LBB349_770
; %bb.763:                              ;   in Loop: Header=BB349_15 Depth=1
	v_bfrev_b32_e32 v91, 1
	s_mov_b32 s17, exec_lo
	v_cmpx_ne_u16_e32 0x80, v0
	s_cbranch_execz .LBB349_769
; %bb.764:                              ;   in Loop: Header=BB349_15 Depth=1
	v_and_b32_e32 v0, 0xffff, v0
	v_mov_b32_e32 v91, 0x7f800001
	s_mov_b32 s18, exec_lo
	s_delay_alu instid0(VALU_DEP_2) | instskip(NEXT) | instid1(VALU_DEP_1)
	v_and_b32_e32 v38, 0x7f, v0
	v_cmpx_ne_u32_e32 0x7f, v38
	s_cbranch_execz .LBB349_768
; %bb.765:                              ;   in Loop: Header=BB349_15 Depth=1
	v_dual_mov_b32 v93, v49 :: v_dual_bitop2_b32 v92, 7, v0 bitop3:0x40
	v_lshrrev_b32_e32 v0, 3, v38
	s_mov_b32 s19, exec_lo
	v_cmpx_gt_u32_e32 8, v38
; %bb.766:                              ;   in Loop: Header=BB349_15 Depth=1
	s_delay_alu instid0(VALU_DEP_3) | instskip(NEXT) | instid1(VALU_DEP_1)
	v_clz_i32_u32_e32 v0, v92
	v_min_u32_e32 v0, 32, v0
	s_delay_alu instid0(VALU_DEP_1) | instskip(SKIP_1) | instid1(VALU_DEP_2)
	v_subrev_nc_u32_e32 v7, 28, v0
	v_sub_nc_u32_e32 v0, 29, v0
	v_lshlrev_b64_e32 v[92:93], v7, v[92:93]
	s_delay_alu instid0(VALU_DEP_1)
	v_and_b32_e32 v92, 7, v92
; %bb.767:                              ;   in Loop: Header=BB349_15 Depth=1
	s_or_b32 exec_lo, exec_lo, s19
	v_lshlrev_b32_e32 v7, 16, v48
	s_delay_alu instid0(VALU_DEP_2) | instskip(SKIP_1) | instid1(VALU_DEP_3)
	v_lshlrev_b32_e32 v10, 20, v92
	v_lshl_add_u32 v0, v0, 23, 0x3c000000
	v_and_b32_e32 v7, 0x80000000, v7
	s_delay_alu instid0(VALU_DEP_1)
	v_or3_b32 v91, v10, v7, v0
.LBB349_768:                            ;   in Loop: Header=BB349_15 Depth=1
	s_or_b32 exec_lo, exec_lo, s18
.LBB349_769:                            ;   in Loop: Header=BB349_15 Depth=1
	s_delay_alu instid0(SALU_CYCLE_1)
	s_or_b32 exec_lo, exec_lo, s17
.LBB349_770:                            ;   in Loop: Header=BB349_15 Depth=1
	s_delay_alu instid0(SALU_CYCLE_1) | instskip(SKIP_3) | instid1(VALU_DEP_2)
	s_or_b32 exec_lo, exec_lo, s16
	v_dual_mov_b32 v93, 0 :: v_dual_lshrrev_b32 v0, 16, v95
	v_mov_b32_e32 v92, 0
	s_mov_b32 s16, exec_lo
	v_and_b32_e32 v7, 0xff, v0
	s_delay_alu instid0(VALU_DEP_1)
	v_cmpx_ne_u16_e32 0, v7
	s_cbranch_execz .LBB349_778
; %bb.771:                              ;   in Loop: Header=BB349_15 Depth=1
	v_bfrev_b32_e32 v92, 1
	s_mov_b32 s17, exec_lo
	v_cmpx_ne_u16_e32 0x80, v7
	s_cbranch_execz .LBB349_777
; %bb.772:                              ;   in Loop: Header=BB349_15 Depth=1
	v_bfe_u32 v104, v95, 16, 7
	v_mov_b32_e32 v92, 0x7f800001
	s_mov_b32 s18, exec_lo
	s_delay_alu instid0(VALU_DEP_2)
	v_cmpx_ne_u32_e32 0x7f, v104
	s_cbranch_execz .LBB349_776
; %bb.773:                              ;   in Loop: Header=BB349_15 Depth=1
	v_and_b32_e32 v48, 7, v0
	v_lshrrev_b32_e32 v38, 3, v104
	s_mov_b32 s19, exec_lo
	v_cmpx_gt_u32_e32 8, v104
; %bb.774:                              ;   in Loop: Header=BB349_15 Depth=1
	s_delay_alu instid0(VALU_DEP_3) | instskip(NEXT) | instid1(VALU_DEP_1)
	v_clz_i32_u32_e32 v7, v48
	v_min_u32_e32 v7, 32, v7
	s_delay_alu instid0(VALU_DEP_1) | instskip(NEXT) | instid1(VALU_DEP_1)
	v_subrev_nc_u32_e32 v10, 28, v7
	v_lshlrev_b64_e32 v[104:105], v10, v[48:49]
	s_delay_alu instid0(VALU_DEP_1)
	v_dual_sub_nc_u32 v38, 29, v7 :: v_dual_bitop2_b32 v48, 7, v104 bitop3:0x40
; %bb.775:                              ;   in Loop: Header=BB349_15 Depth=1
	s_or_b32 exec_lo, exec_lo, s19
	v_lshlrev_b32_e32 v0, 24, v0
	s_delay_alu instid0(VALU_DEP_2) | instskip(NEXT) | instid1(VALU_DEP_3)
	v_lshlrev_b32_e32 v7, 20, v48
	v_lshl_add_u32 v10, v38, 23, 0x3c000000
	s_delay_alu instid0(VALU_DEP_3) | instskip(NEXT) | instid1(VALU_DEP_1)
	v_and_b32_e32 v0, 0x80000000, v0
	v_or3_b32 v92, v7, v0, v10
.LBB349_776:                            ;   in Loop: Header=BB349_15 Depth=1
	s_or_b32 exec_lo, exec_lo, s18
.LBB349_777:                            ;   in Loop: Header=BB349_15 Depth=1
	s_delay_alu instid0(SALU_CYCLE_1)
	s_or_b32 exec_lo, exec_lo, s17
.LBB349_778:                            ;   in Loop: Header=BB349_15 Depth=1
	s_delay_alu instid0(SALU_CYCLE_1) | instskip(NEXT) | instid1(SALU_CYCLE_1)
	s_or_b32 exec_lo, exec_lo, s16
	s_mov_b32 s16, exec_lo
	v_cmpx_lt_u64_e64 s[8:9], v[94:95]
	s_cbranch_execz .LBB349_786
; %bb.779:                              ;   in Loop: Header=BB349_15 Depth=1
	v_lshrrev_b32_e32 v0, 24, v95
	v_bfrev_b32_e32 v93, 1
	s_mov_b32 s17, exec_lo
	s_delay_alu instid0(VALU_DEP_2)
	v_cmpx_ne_u32_e32 0x80, v0
	s_cbranch_execz .LBB349_785
; %bb.780:                              ;   in Loop: Header=BB349_15 Depth=1
	v_bfe_u32 v94, v95, 24, 7
	v_mov_b32_e32 v93, 0x7f800001
	s_mov_b32 s18, exec_lo
	s_delay_alu instid0(VALU_DEP_2)
	v_cmpx_ne_u32_e32 0x7f, v94
	s_cbranch_execz .LBB349_784
; %bb.781:                              ;   in Loop: Header=BB349_15 Depth=1
	v_dual_lshrrev_b32 v38, 3, v94 :: v_dual_bitop2_b32 v48, 7, v0 bitop3:0x40
	s_mov_b32 s19, exec_lo
	v_cmpx_gt_u32_e32 8, v94
; %bb.782:                              ;   in Loop: Header=BB349_15 Depth=1
	s_delay_alu instid0(VALU_DEP_2) | instskip(NEXT) | instid1(VALU_DEP_1)
	v_clz_i32_u32_e32 v7, v48
	v_min_u32_e32 v7, 32, v7
	s_delay_alu instid0(VALU_DEP_1) | instskip(NEXT) | instid1(VALU_DEP_1)
	v_subrev_nc_u32_e32 v10, 28, v7
	v_lshlrev_b64_e32 v[94:95], v10, v[48:49]
	s_delay_alu instid0(VALU_DEP_1)
	v_dual_sub_nc_u32 v38, 29, v7 :: v_dual_bitop2_b32 v48, 7, v94 bitop3:0x40
; %bb.783:                              ;   in Loop: Header=BB349_15 Depth=1
	s_or_b32 exec_lo, exec_lo, s19
	v_lshlrev_b32_e32 v0, 24, v0
	s_delay_alu instid0(VALU_DEP_2) | instskip(NEXT) | instid1(VALU_DEP_3)
	v_lshlrev_b32_e32 v7, 20, v48
	v_lshl_add_u32 v10, v38, 23, 0x3c000000
	s_delay_alu instid0(VALU_DEP_3) | instskip(NEXT) | instid1(VALU_DEP_1)
	v_and_b32_e32 v0, 0x80000000, v0
	v_or3_b32 v93, v7, v0, v10
.LBB349_784:                            ;   in Loop: Header=BB349_15 Depth=1
	s_or_b32 exec_lo, exec_lo, s18
.LBB349_785:                            ;   in Loop: Header=BB349_15 Depth=1
	s_delay_alu instid0(SALU_CYCLE_1)
	s_or_b32 exec_lo, exec_lo, s17
.LBB349_786:                            ;   in Loop: Header=BB349_15 Depth=1
	s_delay_alu instid0(SALU_CYCLE_1)
	s_or_b32 exec_lo, exec_lo, s16
	flat_load_b64 v[110:111], v[70:71] offset:3072
	v_dual_mov_b32 v95, 0 :: v_dual_mov_b32 v94, 0
	s_mov_b32 s16, exec_lo
	s_wait_loadcnt_dscnt 0x0
	v_and_b32_e32 v0, 0xff, v110
	s_wait_xcnt 0x0
	s_delay_alu instid0(VALU_DEP_1)
	v_cmpx_ne_u16_e32 0, v0
	s_cbranch_execz .LBB349_794
; %bb.787:                              ;   in Loop: Header=BB349_15 Depth=1
	v_bfrev_b32_e32 v94, 1
	s_mov_b32 s17, exec_lo
	v_cmpx_ne_u16_e32 0x80, v0
	s_cbranch_execz .LBB349_793
; %bb.788:                              ;   in Loop: Header=BB349_15 Depth=1
	v_and_b32_e32 v7, 0x7f, v110
	v_mov_b32_e32 v94, 0x7f800001
	s_mov_b32 s18, exec_lo
	s_delay_alu instid0(VALU_DEP_2)
	v_cmpx_ne_u32_e32 0x7f, v7
	s_cbranch_execz .LBB349_792
; %bb.789:                              ;   in Loop: Header=BB349_15 Depth=1
	v_mov_b64_e32 v[104:105], v[110:111]
	v_lshrrev_b32_e32 v0, 3, v7
	s_mov_b32 s19, exec_lo
	v_cmpx_gt_u32_e32 8, v7
; %bb.790:                              ;   in Loop: Header=BB349_15 Depth=1
	v_and_b32_e32 v0, 7, v110
	s_delay_alu instid0(VALU_DEP_1) | instskip(NEXT) | instid1(VALU_DEP_1)
	v_clz_i32_u32_e32 v0, v0
	v_min_u32_e32 v0, 32, v0
	s_delay_alu instid0(VALU_DEP_1) | instskip(SKIP_1) | instid1(VALU_DEP_2)
	v_subrev_nc_u32_e32 v7, 28, v0
	v_sub_nc_u32_e32 v0, 29, v0
	v_lshlrev_b64_e32 v[104:105], v7, v[110:111]
; %bb.791:                              ;   in Loop: Header=BB349_15 Depth=1
	s_or_b32 exec_lo, exec_lo, s19
	s_delay_alu instid0(VALU_DEP_1) | instskip(NEXT) | instid1(VALU_DEP_3)
	v_dual_lshlrev_b32 v7, 20, v104 :: v_dual_lshlrev_b32 v10, 24, v110
	v_lshl_add_u32 v0, v0, 23, 0x3c000000
	s_delay_alu instid0(VALU_DEP_2) | instskip(NEXT) | instid1(VALU_DEP_3)
	v_and_b32_e32 v7, 0x700000, v7
	v_and_b32_e32 v10, 0x80000000, v10
	s_delay_alu instid0(VALU_DEP_1)
	v_or3_b32 v94, v7, v10, v0
.LBB349_792:                            ;   in Loop: Header=BB349_15 Depth=1
	s_or_b32 exec_lo, exec_lo, s18
.LBB349_793:                            ;   in Loop: Header=BB349_15 Depth=1
	s_delay_alu instid0(SALU_CYCLE_1)
	s_or_b32 exec_lo, exec_lo, s17
.LBB349_794:                            ;   in Loop: Header=BB349_15 Depth=1
	s_delay_alu instid0(SALU_CYCLE_1) | instskip(SKIP_2) | instid1(VALU_DEP_1)
	s_or_b32 exec_lo, exec_lo, s16
	v_lshrrev_b16 v0, 8, v110
	s_mov_b32 s16, exec_lo
	v_cmpx_ne_u16_e32 0, v0
	s_cbranch_execz .LBB349_802
; %bb.795:                              ;   in Loop: Header=BB349_15 Depth=1
	v_bfrev_b32_e32 v95, 1
	s_mov_b32 s17, exec_lo
	v_cmpx_ne_u16_e32 0x80, v0
	s_cbranch_execz .LBB349_801
; %bb.796:                              ;   in Loop: Header=BB349_15 Depth=1
	v_and_b32_e32 v0, 0xffff, v0
	v_mov_b32_e32 v95, 0x7f800001
	s_mov_b32 s18, exec_lo
	s_delay_alu instid0(VALU_DEP_2) | instskip(NEXT) | instid1(VALU_DEP_1)
	v_and_b32_e32 v38, 0x7f, v0
	v_cmpx_ne_u32_e32 0x7f, v38
	s_cbranch_execz .LBB349_800
; %bb.797:                              ;   in Loop: Header=BB349_15 Depth=1
	v_dual_lshrrev_b32 v0, 3, v38 :: v_dual_bitop2_b32 v48, 7, v0 bitop3:0x40
	s_mov_b32 s19, exec_lo
	v_cmpx_gt_u32_e32 8, v38
; %bb.798:                              ;   in Loop: Header=BB349_15 Depth=1
	s_delay_alu instid0(VALU_DEP_2) | instskip(NEXT) | instid1(VALU_DEP_1)
	v_clz_i32_u32_e32 v0, v48
	v_min_u32_e32 v0, 32, v0
	s_delay_alu instid0(VALU_DEP_1) | instskip(SKIP_1) | instid1(VALU_DEP_2)
	v_subrev_nc_u32_e32 v7, 28, v0
	v_sub_nc_u32_e32 v0, 29, v0
	v_lshlrev_b64_e32 v[104:105], v7, v[48:49]
	s_delay_alu instid0(VALU_DEP_1)
	v_and_b32_e32 v48, 7, v104
; %bb.799:                              ;   in Loop: Header=BB349_15 Depth=1
	s_or_b32 exec_lo, exec_lo, s19
	s_delay_alu instid0(VALU_DEP_1) | instskip(SKIP_1) | instid1(VALU_DEP_2)
	v_dual_lshlrev_b32 v7, 16, v110 :: v_dual_lshlrev_b32 v10, 20, v48
	v_lshl_add_u32 v0, v0, 23, 0x3c000000
	v_and_b32_e32 v7, 0x80000000, v7
	s_delay_alu instid0(VALU_DEP_1)
	v_or3_b32 v95, v10, v7, v0
.LBB349_800:                            ;   in Loop: Header=BB349_15 Depth=1
	s_or_b32 exec_lo, exec_lo, s18
.LBB349_801:                            ;   in Loop: Header=BB349_15 Depth=1
	s_delay_alu instid0(SALU_CYCLE_1)
	s_or_b32 exec_lo, exec_lo, s17
.LBB349_802:                            ;   in Loop: Header=BB349_15 Depth=1
	s_delay_alu instid0(SALU_CYCLE_1) | instskip(SKIP_3) | instid1(VALU_DEP_2)
	s_or_b32 exec_lo, exec_lo, s16
	v_dual_mov_b32 v105, 0 :: v_dual_lshrrev_b32 v0, 16, v110
	v_mov_b32_e32 v104, 0
	s_mov_b32 s16, exec_lo
	v_and_b32_e32 v7, 0xff, v0
	s_delay_alu instid0(VALU_DEP_1)
	v_cmpx_ne_u16_e32 0, v7
	s_cbranch_execz .LBB349_810
; %bb.803:                              ;   in Loop: Header=BB349_15 Depth=1
	v_bfrev_b32_e32 v104, 1
	s_mov_b32 s17, exec_lo
	v_cmpx_ne_u16_e32 0x80, v7
	s_cbranch_execz .LBB349_809
; %bb.804:                              ;   in Loop: Header=BB349_15 Depth=1
	v_bfe_u32 v106, v110, 16, 7
	v_mov_b32_e32 v104, 0x7f800001
	s_mov_b32 s18, exec_lo
	s_delay_alu instid0(VALU_DEP_2)
	v_cmpx_ne_u32_e32 0x7f, v106
	s_cbranch_execz .LBB349_808
; %bb.805:                              ;   in Loop: Header=BB349_15 Depth=1
	v_dual_lshrrev_b32 v38, 3, v106 :: v_dual_bitop2_b32 v48, 7, v0 bitop3:0x40
	s_mov_b32 s19, exec_lo
	v_cmpx_gt_u32_e32 8, v106
; %bb.806:                              ;   in Loop: Header=BB349_15 Depth=1
	s_delay_alu instid0(VALU_DEP_2) | instskip(NEXT) | instid1(VALU_DEP_1)
	v_clz_i32_u32_e32 v7, v48
	v_min_u32_e32 v7, 32, v7
	s_delay_alu instid0(VALU_DEP_1) | instskip(NEXT) | instid1(VALU_DEP_1)
	v_subrev_nc_u32_e32 v10, 28, v7
	v_lshlrev_b64_e32 v[106:107], v10, v[48:49]
	s_delay_alu instid0(VALU_DEP_1)
	v_dual_sub_nc_u32 v38, 29, v7 :: v_dual_bitop2_b32 v48, 7, v106 bitop3:0x40
; %bb.807:                              ;   in Loop: Header=BB349_15 Depth=1
	s_or_b32 exec_lo, exec_lo, s19
	v_lshlrev_b32_e32 v0, 24, v0
	s_delay_alu instid0(VALU_DEP_2) | instskip(NEXT) | instid1(VALU_DEP_3)
	v_lshlrev_b32_e32 v7, 20, v48
	v_lshl_add_u32 v10, v38, 23, 0x3c000000
	s_delay_alu instid0(VALU_DEP_3) | instskip(NEXT) | instid1(VALU_DEP_1)
	v_and_b32_e32 v0, 0x80000000, v0
	v_or3_b32 v104, v7, v0, v10
.LBB349_808:                            ;   in Loop: Header=BB349_15 Depth=1
	s_or_b32 exec_lo, exec_lo, s18
.LBB349_809:                            ;   in Loop: Header=BB349_15 Depth=1
	s_delay_alu instid0(SALU_CYCLE_1)
	s_or_b32 exec_lo, exec_lo, s17
.LBB349_810:                            ;   in Loop: Header=BB349_15 Depth=1
	s_delay_alu instid0(SALU_CYCLE_1) | instskip(NEXT) | instid1(SALU_CYCLE_1)
	s_or_b32 exec_lo, exec_lo, s16
	s_mov_b32 s16, exec_lo
	v_cmpx_lt_u32_e32 0xffffff, v110
	s_cbranch_execz .LBB349_818
; %bb.811:                              ;   in Loop: Header=BB349_15 Depth=1
	v_lshrrev_b32_e32 v0, 24, v110
	v_bfrev_b32_e32 v105, 1
	s_mov_b32 s17, exec_lo
	s_delay_alu instid0(VALU_DEP_2)
	v_cmpx_ne_u32_e32 0x80, v0
	s_cbranch_execz .LBB349_817
; %bb.812:                              ;   in Loop: Header=BB349_15 Depth=1
	v_bfe_u32 v106, v110, 24, 7
	v_mov_b32_e32 v105, 0x7f800001
	s_mov_b32 s18, exec_lo
	s_delay_alu instid0(VALU_DEP_2)
	v_cmpx_ne_u32_e32 0x7f, v106
	s_cbranch_execz .LBB349_816
; %bb.813:                              ;   in Loop: Header=BB349_15 Depth=1
	v_dual_lshrrev_b32 v38, 3, v106 :: v_dual_bitop2_b32 v48, 7, v0 bitop3:0x40
	s_mov_b32 s19, exec_lo
	v_cmpx_gt_u32_e32 8, v106
; %bb.814:                              ;   in Loop: Header=BB349_15 Depth=1
	s_delay_alu instid0(VALU_DEP_2) | instskip(NEXT) | instid1(VALU_DEP_1)
	v_clz_i32_u32_e32 v7, v48
	v_min_u32_e32 v7, 32, v7
	s_delay_alu instid0(VALU_DEP_1) | instskip(NEXT) | instid1(VALU_DEP_1)
	v_subrev_nc_u32_e32 v10, 28, v7
	v_lshlrev_b64_e32 v[106:107], v10, v[48:49]
	s_delay_alu instid0(VALU_DEP_1)
	v_dual_sub_nc_u32 v38, 29, v7 :: v_dual_bitop2_b32 v48, 7, v106 bitop3:0x40
; %bb.815:                              ;   in Loop: Header=BB349_15 Depth=1
	s_or_b32 exec_lo, exec_lo, s19
	v_lshlrev_b32_e32 v0, 24, v0
	s_delay_alu instid0(VALU_DEP_2) | instskip(NEXT) | instid1(VALU_DEP_3)
	v_lshlrev_b32_e32 v7, 20, v48
	v_lshl_add_u32 v10, v38, 23, 0x3c000000
	s_delay_alu instid0(VALU_DEP_3) | instskip(NEXT) | instid1(VALU_DEP_1)
	v_and_b32_e32 v0, 0x80000000, v0
	v_or3_b32 v105, v7, v0, v10
.LBB349_816:                            ;   in Loop: Header=BB349_15 Depth=1
	s_or_b32 exec_lo, exec_lo, s18
.LBB349_817:                            ;   in Loop: Header=BB349_15 Depth=1
	s_delay_alu instid0(SALU_CYCLE_1)
	s_or_b32 exec_lo, exec_lo, s17
.LBB349_818:                            ;   in Loop: Header=BB349_15 Depth=1
	s_delay_alu instid0(SALU_CYCLE_1) | instskip(SKIP_4) | instid1(VALU_DEP_3)
	s_or_b32 exec_lo, exec_lo, s16
	v_and_b32_e32 v0, 0xff, v111
	v_dual_mov_b32 v48, v111 :: v_dual_mov_b32 v107, 0
	v_mov_b32_e32 v106, 0
	s_mov_b32 s16, exec_lo
	v_cmpx_ne_u16_e32 0, v0
	s_cbranch_execz .LBB349_826
; %bb.819:                              ;   in Loop: Header=BB349_15 Depth=1
	v_bfrev_b32_e32 v106, 1
	s_mov_b32 s17, exec_lo
	v_cmpx_ne_u16_e32 0x80, v0
	s_cbranch_execz .LBB349_825
; %bb.820:                              ;   in Loop: Header=BB349_15 Depth=1
	v_and_b32_e32 v7, 0x7f, v111
	v_mov_b32_e32 v106, 0x7f800001
	s_mov_b32 s18, exec_lo
	s_delay_alu instid0(VALU_DEP_2)
	v_cmpx_ne_u32_e32 0x7f, v7
	s_cbranch_execz .LBB349_824
; %bb.821:                              ;   in Loop: Header=BB349_15 Depth=1
	v_mov_b64_e32 v[108:109], v[48:49]
	v_lshrrev_b32_e32 v0, 3, v7
	s_mov_b32 s19, exec_lo
	v_cmpx_gt_u32_e32 8, v7
; %bb.822:                              ;   in Loop: Header=BB349_15 Depth=1
	v_and_b32_e32 v0, 7, v111
	s_delay_alu instid0(VALU_DEP_1) | instskip(NEXT) | instid1(VALU_DEP_1)
	v_clz_i32_u32_e32 v0, v0
	v_min_u32_e32 v0, 32, v0
	s_delay_alu instid0(VALU_DEP_1) | instskip(SKIP_1) | instid1(VALU_DEP_2)
	v_subrev_nc_u32_e32 v7, 28, v0
	v_sub_nc_u32_e32 v0, 29, v0
	v_lshlrev_b64_e32 v[108:109], v7, v[48:49]
; %bb.823:                              ;   in Loop: Header=BB349_15 Depth=1
	s_or_b32 exec_lo, exec_lo, s19
	s_delay_alu instid0(VALU_DEP_1) | instskip(SKIP_2) | instid1(VALU_DEP_3)
	v_lshlrev_b32_e32 v7, 20, v108
	v_lshlrev_b32_e32 v10, 24, v48
	v_lshl_add_u32 v0, v0, 23, 0x3c000000
	v_and_b32_e32 v7, 0x700000, v7
	s_delay_alu instid0(VALU_DEP_3) | instskip(NEXT) | instid1(VALU_DEP_1)
	v_and_b32_e32 v10, 0x80000000, v10
	v_or3_b32 v106, v7, v10, v0
.LBB349_824:                            ;   in Loop: Header=BB349_15 Depth=1
	s_or_b32 exec_lo, exec_lo, s18
.LBB349_825:                            ;   in Loop: Header=BB349_15 Depth=1
	s_delay_alu instid0(SALU_CYCLE_1)
	s_or_b32 exec_lo, exec_lo, s17
.LBB349_826:                            ;   in Loop: Header=BB349_15 Depth=1
	s_delay_alu instid0(SALU_CYCLE_1) | instskip(SKIP_2) | instid1(VALU_DEP_1)
	s_or_b32 exec_lo, exec_lo, s16
	v_lshrrev_b16 v0, 8, v48
	s_mov_b32 s16, exec_lo
	v_cmpx_ne_u16_e32 0, v0
	s_cbranch_execz .LBB349_834
; %bb.827:                              ;   in Loop: Header=BB349_15 Depth=1
	v_bfrev_b32_e32 v107, 1
	s_mov_b32 s17, exec_lo
	v_cmpx_ne_u16_e32 0x80, v0
	s_cbranch_execz .LBB349_833
; %bb.828:                              ;   in Loop: Header=BB349_15 Depth=1
	v_and_b32_e32 v0, 0xffff, v0
	v_mov_b32_e32 v107, 0x7f800001
	s_mov_b32 s18, exec_lo
	s_delay_alu instid0(VALU_DEP_2) | instskip(NEXT) | instid1(VALU_DEP_1)
	v_and_b32_e32 v38, 0x7f, v0
	v_cmpx_ne_u32_e32 0x7f, v38
	s_cbranch_execz .LBB349_832
; %bb.829:                              ;   in Loop: Header=BB349_15 Depth=1
	v_dual_mov_b32 v109, v49 :: v_dual_bitop2_b32 v108, 7, v0 bitop3:0x40
	v_lshrrev_b32_e32 v0, 3, v38
	s_mov_b32 s19, exec_lo
	v_cmpx_gt_u32_e32 8, v38
; %bb.830:                              ;   in Loop: Header=BB349_15 Depth=1
	s_delay_alu instid0(VALU_DEP_3) | instskip(NEXT) | instid1(VALU_DEP_1)
	v_clz_i32_u32_e32 v0, v108
	v_min_u32_e32 v0, 32, v0
	s_delay_alu instid0(VALU_DEP_1) | instskip(SKIP_1) | instid1(VALU_DEP_2)
	v_subrev_nc_u32_e32 v7, 28, v0
	v_sub_nc_u32_e32 v0, 29, v0
	v_lshlrev_b64_e32 v[108:109], v7, v[108:109]
	s_delay_alu instid0(VALU_DEP_1)
	v_and_b32_e32 v108, 7, v108
; %bb.831:                              ;   in Loop: Header=BB349_15 Depth=1
	s_or_b32 exec_lo, exec_lo, s19
	v_lshlrev_b32_e32 v7, 16, v48
	s_delay_alu instid0(VALU_DEP_2) | instskip(SKIP_1) | instid1(VALU_DEP_3)
	v_lshlrev_b32_e32 v10, 20, v108
	v_lshl_add_u32 v0, v0, 23, 0x3c000000
	v_and_b32_e32 v7, 0x80000000, v7
	s_delay_alu instid0(VALU_DEP_1)
	v_or3_b32 v107, v10, v7, v0
.LBB349_832:                            ;   in Loop: Header=BB349_15 Depth=1
	s_or_b32 exec_lo, exec_lo, s18
.LBB349_833:                            ;   in Loop: Header=BB349_15 Depth=1
	s_delay_alu instid0(SALU_CYCLE_1)
	s_or_b32 exec_lo, exec_lo, s17
.LBB349_834:                            ;   in Loop: Header=BB349_15 Depth=1
	s_delay_alu instid0(SALU_CYCLE_1) | instskip(SKIP_3) | instid1(VALU_DEP_2)
	s_or_b32 exec_lo, exec_lo, s16
	v_dual_mov_b32 v109, 0 :: v_dual_lshrrev_b32 v0, 16, v111
	v_mov_b32_e32 v108, 0
	s_mov_b32 s16, exec_lo
	v_and_b32_e32 v7, 0xff, v0
	s_delay_alu instid0(VALU_DEP_1)
	v_cmpx_ne_u16_e32 0, v7
	s_cbranch_execz .LBB349_842
; %bb.835:                              ;   in Loop: Header=BB349_15 Depth=1
	v_bfrev_b32_e32 v108, 1
	s_mov_b32 s17, exec_lo
	v_cmpx_ne_u16_e32 0x80, v7
	s_cbranch_execz .LBB349_841
; %bb.836:                              ;   in Loop: Header=BB349_15 Depth=1
	v_bfe_u32 v120, v111, 16, 7
	v_mov_b32_e32 v108, 0x7f800001
	s_mov_b32 s18, exec_lo
	s_delay_alu instid0(VALU_DEP_2)
	v_cmpx_ne_u32_e32 0x7f, v120
	s_cbranch_execz .LBB349_840
; %bb.837:                              ;   in Loop: Header=BB349_15 Depth=1
	v_and_b32_e32 v48, 7, v0
	v_lshrrev_b32_e32 v38, 3, v120
	s_mov_b32 s19, exec_lo
	v_cmpx_gt_u32_e32 8, v120
; %bb.838:                              ;   in Loop: Header=BB349_15 Depth=1
	s_delay_alu instid0(VALU_DEP_3) | instskip(NEXT) | instid1(VALU_DEP_1)
	v_clz_i32_u32_e32 v7, v48
	v_min_u32_e32 v7, 32, v7
	s_delay_alu instid0(VALU_DEP_1) | instskip(NEXT) | instid1(VALU_DEP_1)
	v_subrev_nc_u32_e32 v10, 28, v7
	v_lshlrev_b64_e32 v[120:121], v10, v[48:49]
	s_delay_alu instid0(VALU_DEP_1)
	v_dual_sub_nc_u32 v38, 29, v7 :: v_dual_bitop2_b32 v48, 7, v120 bitop3:0x40
; %bb.839:                              ;   in Loop: Header=BB349_15 Depth=1
	s_or_b32 exec_lo, exec_lo, s19
	v_lshlrev_b32_e32 v0, 24, v0
	s_delay_alu instid0(VALU_DEP_2) | instskip(NEXT) | instid1(VALU_DEP_3)
	v_lshlrev_b32_e32 v7, 20, v48
	v_lshl_add_u32 v10, v38, 23, 0x3c000000
	s_delay_alu instid0(VALU_DEP_3) | instskip(NEXT) | instid1(VALU_DEP_1)
	v_and_b32_e32 v0, 0x80000000, v0
	v_or3_b32 v108, v7, v0, v10
.LBB349_840:                            ;   in Loop: Header=BB349_15 Depth=1
	s_or_b32 exec_lo, exec_lo, s18
.LBB349_841:                            ;   in Loop: Header=BB349_15 Depth=1
	s_delay_alu instid0(SALU_CYCLE_1)
	s_or_b32 exec_lo, exec_lo, s17
.LBB349_842:                            ;   in Loop: Header=BB349_15 Depth=1
	s_delay_alu instid0(SALU_CYCLE_1) | instskip(NEXT) | instid1(SALU_CYCLE_1)
	s_or_b32 exec_lo, exec_lo, s16
	s_mov_b32 s16, exec_lo
	v_cmpx_lt_u64_e64 s[8:9], v[110:111]
	s_cbranch_execz .LBB349_850
; %bb.843:                              ;   in Loop: Header=BB349_15 Depth=1
	v_lshrrev_b32_e32 v0, 24, v111
	v_bfrev_b32_e32 v109, 1
	s_mov_b32 s17, exec_lo
	s_delay_alu instid0(VALU_DEP_2)
	v_cmpx_ne_u32_e32 0x80, v0
	s_cbranch_execz .LBB349_849
; %bb.844:                              ;   in Loop: Header=BB349_15 Depth=1
	v_bfe_u32 v110, v111, 24, 7
	v_mov_b32_e32 v109, 0x7f800001
	s_mov_b32 s18, exec_lo
	s_delay_alu instid0(VALU_DEP_2)
	v_cmpx_ne_u32_e32 0x7f, v110
	s_cbranch_execz .LBB349_848
; %bb.845:                              ;   in Loop: Header=BB349_15 Depth=1
	v_dual_lshrrev_b32 v38, 3, v110 :: v_dual_bitop2_b32 v48, 7, v0 bitop3:0x40
	s_mov_b32 s19, exec_lo
	v_cmpx_gt_u32_e32 8, v110
; %bb.846:                              ;   in Loop: Header=BB349_15 Depth=1
	s_delay_alu instid0(VALU_DEP_2) | instskip(NEXT) | instid1(VALU_DEP_1)
	v_clz_i32_u32_e32 v7, v48
	v_min_u32_e32 v7, 32, v7
	s_delay_alu instid0(VALU_DEP_1) | instskip(NEXT) | instid1(VALU_DEP_1)
	v_subrev_nc_u32_e32 v10, 28, v7
	v_lshlrev_b64_e32 v[110:111], v10, v[48:49]
	s_delay_alu instid0(VALU_DEP_1)
	v_dual_sub_nc_u32 v38, 29, v7 :: v_dual_bitop2_b32 v48, 7, v110 bitop3:0x40
; %bb.847:                              ;   in Loop: Header=BB349_15 Depth=1
	s_or_b32 exec_lo, exec_lo, s19
	v_lshlrev_b32_e32 v0, 24, v0
	s_delay_alu instid0(VALU_DEP_2) | instskip(NEXT) | instid1(VALU_DEP_3)
	v_lshlrev_b32_e32 v7, 20, v48
	v_lshl_add_u32 v10, v38, 23, 0x3c000000
	s_delay_alu instid0(VALU_DEP_3) | instskip(NEXT) | instid1(VALU_DEP_1)
	v_and_b32_e32 v0, 0x80000000, v0
	v_or3_b32 v109, v7, v0, v10
.LBB349_848:                            ;   in Loop: Header=BB349_15 Depth=1
	s_or_b32 exec_lo, exec_lo, s18
.LBB349_849:                            ;   in Loop: Header=BB349_15 Depth=1
	s_delay_alu instid0(SALU_CYCLE_1)
	s_or_b32 exec_lo, exec_lo, s17
.LBB349_850:                            ;   in Loop: Header=BB349_15 Depth=1
	s_delay_alu instid0(SALU_CYCLE_1)
	s_or_b32 exec_lo, exec_lo, s16
	flat_load_b64 v[120:121], v[70:71] offset:3080
	s_wait_xcnt 0x0
	v_dual_mov_b32 v71, 0 :: v_dual_mov_b32 v70, 0
	s_mov_b32 s16, exec_lo
	s_wait_loadcnt_dscnt 0x0
	v_and_b32_e32 v0, 0xff, v120
	s_delay_alu instid0(VALU_DEP_1)
	v_cmpx_ne_u16_e32 0, v0
	s_cbranch_execz .LBB349_858
; %bb.851:                              ;   in Loop: Header=BB349_15 Depth=1
	v_bfrev_b32_e32 v70, 1
	s_mov_b32 s17, exec_lo
	v_cmpx_ne_u16_e32 0x80, v0
	s_cbranch_execz .LBB349_857
; %bb.852:                              ;   in Loop: Header=BB349_15 Depth=1
	v_and_b32_e32 v7, 0x7f, v120
	v_mov_b32_e32 v70, 0x7f800001
	s_mov_b32 s18, exec_lo
	s_delay_alu instid0(VALU_DEP_2)
	v_cmpx_ne_u32_e32 0x7f, v7
	s_cbranch_execz .LBB349_856
; %bb.853:                              ;   in Loop: Header=BB349_15 Depth=1
	v_mov_b64_e32 v[110:111], v[120:121]
	v_lshrrev_b32_e32 v0, 3, v7
	s_mov_b32 s19, exec_lo
	v_cmpx_gt_u32_e32 8, v7
; %bb.854:                              ;   in Loop: Header=BB349_15 Depth=1
	v_and_b32_e32 v0, 7, v120
	s_delay_alu instid0(VALU_DEP_1) | instskip(NEXT) | instid1(VALU_DEP_1)
	v_clz_i32_u32_e32 v0, v0
	v_min_u32_e32 v0, 32, v0
	s_delay_alu instid0(VALU_DEP_1) | instskip(SKIP_1) | instid1(VALU_DEP_2)
	v_subrev_nc_u32_e32 v7, 28, v0
	v_sub_nc_u32_e32 v0, 29, v0
	v_lshlrev_b64_e32 v[110:111], v7, v[120:121]
; %bb.855:                              ;   in Loop: Header=BB349_15 Depth=1
	s_or_b32 exec_lo, exec_lo, s19
	s_delay_alu instid0(VALU_DEP_1) | instskip(NEXT) | instid1(VALU_DEP_3)
	v_dual_lshlrev_b32 v7, 20, v110 :: v_dual_lshlrev_b32 v10, 24, v120
	v_lshl_add_u32 v0, v0, 23, 0x3c000000
	s_delay_alu instid0(VALU_DEP_2) | instskip(NEXT) | instid1(VALU_DEP_3)
	v_and_b32_e32 v7, 0x700000, v7
	v_and_b32_e32 v10, 0x80000000, v10
	s_delay_alu instid0(VALU_DEP_1)
	v_or3_b32 v70, v7, v10, v0
.LBB349_856:                            ;   in Loop: Header=BB349_15 Depth=1
	s_or_b32 exec_lo, exec_lo, s18
.LBB349_857:                            ;   in Loop: Header=BB349_15 Depth=1
	s_delay_alu instid0(SALU_CYCLE_1)
	s_or_b32 exec_lo, exec_lo, s17
.LBB349_858:                            ;   in Loop: Header=BB349_15 Depth=1
	s_delay_alu instid0(SALU_CYCLE_1) | instskip(SKIP_2) | instid1(VALU_DEP_1)
	s_or_b32 exec_lo, exec_lo, s16
	v_lshrrev_b16 v0, 8, v120
	s_mov_b32 s16, exec_lo
	v_cmpx_ne_u16_e32 0, v0
	s_cbranch_execz .LBB349_866
; %bb.859:                              ;   in Loop: Header=BB349_15 Depth=1
	v_bfrev_b32_e32 v71, 1
	s_mov_b32 s17, exec_lo
	v_cmpx_ne_u16_e32 0x80, v0
	s_cbranch_execz .LBB349_865
; %bb.860:                              ;   in Loop: Header=BB349_15 Depth=1
	v_and_b32_e32 v0, 0xffff, v0
	v_mov_b32_e32 v71, 0x7f800001
	s_mov_b32 s18, exec_lo
	s_delay_alu instid0(VALU_DEP_2) | instskip(NEXT) | instid1(VALU_DEP_1)
	v_and_b32_e32 v38, 0x7f, v0
	v_cmpx_ne_u32_e32 0x7f, v38
	s_cbranch_execz .LBB349_864
; %bb.861:                              ;   in Loop: Header=BB349_15 Depth=1
	v_dual_lshrrev_b32 v0, 3, v38 :: v_dual_bitop2_b32 v48, 7, v0 bitop3:0x40
	s_mov_b32 s19, exec_lo
	v_cmpx_gt_u32_e32 8, v38
; %bb.862:                              ;   in Loop: Header=BB349_15 Depth=1
	s_delay_alu instid0(VALU_DEP_2) | instskip(NEXT) | instid1(VALU_DEP_1)
	v_clz_i32_u32_e32 v0, v48
	v_min_u32_e32 v0, 32, v0
	s_delay_alu instid0(VALU_DEP_1) | instskip(NEXT) | instid1(VALU_DEP_1)
	v_subrev_nc_u32_e32 v7, 28, v0
	v_lshlrev_b64_e32 v[110:111], v7, v[48:49]
	s_delay_alu instid0(VALU_DEP_1)
	v_dual_sub_nc_u32 v0, 29, v0 :: v_dual_bitop2_b32 v48, 7, v110 bitop3:0x40
; %bb.863:                              ;   in Loop: Header=BB349_15 Depth=1
	s_or_b32 exec_lo, exec_lo, s19
	v_lshlrev_b32_e32 v7, 16, v120
	s_delay_alu instid0(VALU_DEP_2) | instskip(NEXT) | instid1(VALU_DEP_3)
	v_lshlrev_b32_e32 v10, 20, v48
	v_lshl_add_u32 v0, v0, 23, 0x3c000000
	s_delay_alu instid0(VALU_DEP_3) | instskip(NEXT) | instid1(VALU_DEP_1)
	v_and_b32_e32 v7, 0x80000000, v7
	v_or3_b32 v71, v10, v7, v0
.LBB349_864:                            ;   in Loop: Header=BB349_15 Depth=1
	s_or_b32 exec_lo, exec_lo, s18
.LBB349_865:                            ;   in Loop: Header=BB349_15 Depth=1
	s_delay_alu instid0(SALU_CYCLE_1)
	s_or_b32 exec_lo, exec_lo, s17
.LBB349_866:                            ;   in Loop: Header=BB349_15 Depth=1
	s_delay_alu instid0(SALU_CYCLE_1) | instskip(SKIP_3) | instid1(VALU_DEP_2)
	s_or_b32 exec_lo, exec_lo, s16
	v_dual_mov_b32 v111, 0 :: v_dual_lshrrev_b32 v0, 16, v120
	v_mov_b32_e32 v110, 0
	s_mov_b32 s16, exec_lo
	v_and_b32_e32 v7, 0xff, v0
	s_delay_alu instid0(VALU_DEP_1)
	v_cmpx_ne_u16_e32 0, v7
	s_cbranch_execz .LBB349_874
; %bb.867:                              ;   in Loop: Header=BB349_15 Depth=1
	v_bfrev_b32_e32 v110, 1
	s_mov_b32 s17, exec_lo
	v_cmpx_ne_u16_e32 0x80, v7
	s_cbranch_execz .LBB349_873
; %bb.868:                              ;   in Loop: Header=BB349_15 Depth=1
	v_bfe_u32 v122, v120, 16, 7
	v_mov_b32_e32 v110, 0x7f800001
	s_mov_b32 s18, exec_lo
	s_delay_alu instid0(VALU_DEP_2)
	v_cmpx_ne_u32_e32 0x7f, v122
	s_cbranch_execz .LBB349_872
; %bb.869:                              ;   in Loop: Header=BB349_15 Depth=1
	v_dual_lshrrev_b32 v38, 3, v122 :: v_dual_bitop2_b32 v48, 7, v0 bitop3:0x40
	s_mov_b32 s19, exec_lo
	v_cmpx_gt_u32_e32 8, v122
; %bb.870:                              ;   in Loop: Header=BB349_15 Depth=1
	s_delay_alu instid0(VALU_DEP_2) | instskip(NEXT) | instid1(VALU_DEP_1)
	v_clz_i32_u32_e32 v7, v48
	v_min_u32_e32 v7, 32, v7
	s_delay_alu instid0(VALU_DEP_1) | instskip(NEXT) | instid1(VALU_DEP_1)
	v_subrev_nc_u32_e32 v10, 28, v7
	v_lshlrev_b64_e32 v[122:123], v10, v[48:49]
	s_delay_alu instid0(VALU_DEP_1)
	v_dual_sub_nc_u32 v38, 29, v7 :: v_dual_bitop2_b32 v48, 7, v122 bitop3:0x40
; %bb.871:                              ;   in Loop: Header=BB349_15 Depth=1
	s_or_b32 exec_lo, exec_lo, s19
	v_lshlrev_b32_e32 v0, 24, v0
	s_delay_alu instid0(VALU_DEP_2) | instskip(NEXT) | instid1(VALU_DEP_3)
	v_lshlrev_b32_e32 v7, 20, v48
	v_lshl_add_u32 v10, v38, 23, 0x3c000000
	s_delay_alu instid0(VALU_DEP_3) | instskip(NEXT) | instid1(VALU_DEP_1)
	v_and_b32_e32 v0, 0x80000000, v0
	v_or3_b32 v110, v7, v0, v10
.LBB349_872:                            ;   in Loop: Header=BB349_15 Depth=1
	s_or_b32 exec_lo, exec_lo, s18
.LBB349_873:                            ;   in Loop: Header=BB349_15 Depth=1
	s_delay_alu instid0(SALU_CYCLE_1)
	s_or_b32 exec_lo, exec_lo, s17
.LBB349_874:                            ;   in Loop: Header=BB349_15 Depth=1
	s_delay_alu instid0(SALU_CYCLE_1) | instskip(NEXT) | instid1(SALU_CYCLE_1)
	s_or_b32 exec_lo, exec_lo, s16
	s_mov_b32 s16, exec_lo
	v_cmpx_lt_u32_e32 0xffffff, v120
	s_cbranch_execz .LBB349_882
; %bb.875:                              ;   in Loop: Header=BB349_15 Depth=1
	v_lshrrev_b32_e32 v0, 24, v120
	v_bfrev_b32_e32 v111, 1
	s_mov_b32 s17, exec_lo
	s_delay_alu instid0(VALU_DEP_2)
	v_cmpx_ne_u32_e32 0x80, v0
	s_cbranch_execz .LBB349_881
; %bb.876:                              ;   in Loop: Header=BB349_15 Depth=1
	v_bfe_u32 v122, v120, 24, 7
	v_mov_b32_e32 v111, 0x7f800001
	s_mov_b32 s18, exec_lo
	s_delay_alu instid0(VALU_DEP_2)
	v_cmpx_ne_u32_e32 0x7f, v122
	s_cbranch_execz .LBB349_880
; %bb.877:                              ;   in Loop: Header=BB349_15 Depth=1
	v_dual_lshrrev_b32 v38, 3, v122 :: v_dual_bitop2_b32 v48, 7, v0 bitop3:0x40
	s_mov_b32 s19, exec_lo
	v_cmpx_gt_u32_e32 8, v122
; %bb.878:                              ;   in Loop: Header=BB349_15 Depth=1
	s_delay_alu instid0(VALU_DEP_2) | instskip(NEXT) | instid1(VALU_DEP_1)
	v_clz_i32_u32_e32 v7, v48
	v_min_u32_e32 v7, 32, v7
	s_delay_alu instid0(VALU_DEP_1) | instskip(NEXT) | instid1(VALU_DEP_1)
	v_subrev_nc_u32_e32 v10, 28, v7
	v_lshlrev_b64_e32 v[122:123], v10, v[48:49]
	s_delay_alu instid0(VALU_DEP_1)
	v_dual_sub_nc_u32 v38, 29, v7 :: v_dual_bitop2_b32 v48, 7, v122 bitop3:0x40
; %bb.879:                              ;   in Loop: Header=BB349_15 Depth=1
	s_or_b32 exec_lo, exec_lo, s19
	v_lshlrev_b32_e32 v0, 24, v0
	s_delay_alu instid0(VALU_DEP_2) | instskip(NEXT) | instid1(VALU_DEP_3)
	v_lshlrev_b32_e32 v7, 20, v48
	v_lshl_add_u32 v10, v38, 23, 0x3c000000
	s_delay_alu instid0(VALU_DEP_3) | instskip(NEXT) | instid1(VALU_DEP_1)
	v_and_b32_e32 v0, 0x80000000, v0
	v_or3_b32 v111, v7, v0, v10
.LBB349_880:                            ;   in Loop: Header=BB349_15 Depth=1
	s_or_b32 exec_lo, exec_lo, s18
.LBB349_881:                            ;   in Loop: Header=BB349_15 Depth=1
	s_delay_alu instid0(SALU_CYCLE_1)
	s_or_b32 exec_lo, exec_lo, s17
.LBB349_882:                            ;   in Loop: Header=BB349_15 Depth=1
	s_delay_alu instid0(SALU_CYCLE_1) | instskip(SKIP_4) | instid1(VALU_DEP_3)
	s_or_b32 exec_lo, exec_lo, s16
	v_and_b32_e32 v0, 0xff, v121
	v_dual_mov_b32 v48, v121 :: v_dual_mov_b32 v123, 0
	v_mov_b32_e32 v122, 0
	s_mov_b32 s16, exec_lo
	v_cmpx_ne_u16_e32 0, v0
	s_cbranch_execz .LBB349_890
; %bb.883:                              ;   in Loop: Header=BB349_15 Depth=1
	v_bfrev_b32_e32 v122, 1
	s_mov_b32 s17, exec_lo
	v_cmpx_ne_u16_e32 0x80, v0
	s_cbranch_execz .LBB349_889
; %bb.884:                              ;   in Loop: Header=BB349_15 Depth=1
	v_and_b32_e32 v7, 0x7f, v121
	v_mov_b32_e32 v122, 0x7f800001
	s_mov_b32 s18, exec_lo
	s_delay_alu instid0(VALU_DEP_2)
	v_cmpx_ne_u32_e32 0x7f, v7
	s_cbranch_execz .LBB349_888
; %bb.885:                              ;   in Loop: Header=BB349_15 Depth=1
	v_mov_b64_e32 v[124:125], v[48:49]
	v_lshrrev_b32_e32 v0, 3, v7
	s_mov_b32 s19, exec_lo
	v_cmpx_gt_u32_e32 8, v7
; %bb.886:                              ;   in Loop: Header=BB349_15 Depth=1
	v_and_b32_e32 v0, 7, v121
	s_delay_alu instid0(VALU_DEP_1) | instskip(NEXT) | instid1(VALU_DEP_1)
	v_clz_i32_u32_e32 v0, v0
	v_min_u32_e32 v0, 32, v0
	s_delay_alu instid0(VALU_DEP_1) | instskip(SKIP_1) | instid1(VALU_DEP_2)
	v_subrev_nc_u32_e32 v7, 28, v0
	v_sub_nc_u32_e32 v0, 29, v0
	v_lshlrev_b64_e32 v[124:125], v7, v[48:49]
; %bb.887:                              ;   in Loop: Header=BB349_15 Depth=1
	s_or_b32 exec_lo, exec_lo, s19
	s_delay_alu instid0(VALU_DEP_1) | instskip(SKIP_2) | instid1(VALU_DEP_3)
	v_lshlrev_b32_e32 v7, 20, v124
	v_lshlrev_b32_e32 v10, 24, v48
	v_lshl_add_u32 v0, v0, 23, 0x3c000000
	v_and_b32_e32 v7, 0x700000, v7
	s_delay_alu instid0(VALU_DEP_3) | instskip(NEXT) | instid1(VALU_DEP_1)
	v_and_b32_e32 v10, 0x80000000, v10
	v_or3_b32 v122, v7, v10, v0
.LBB349_888:                            ;   in Loop: Header=BB349_15 Depth=1
	s_or_b32 exec_lo, exec_lo, s18
.LBB349_889:                            ;   in Loop: Header=BB349_15 Depth=1
	s_delay_alu instid0(SALU_CYCLE_1)
	s_or_b32 exec_lo, exec_lo, s17
.LBB349_890:                            ;   in Loop: Header=BB349_15 Depth=1
	s_delay_alu instid0(SALU_CYCLE_1) | instskip(SKIP_2) | instid1(VALU_DEP_1)
	s_or_b32 exec_lo, exec_lo, s16
	v_lshrrev_b16 v0, 8, v48
	s_mov_b32 s16, exec_lo
	v_cmpx_ne_u16_e32 0, v0
	s_cbranch_execz .LBB349_898
; %bb.891:                              ;   in Loop: Header=BB349_15 Depth=1
	v_bfrev_b32_e32 v123, 1
	s_mov_b32 s17, exec_lo
	v_cmpx_ne_u16_e32 0x80, v0
	s_cbranch_execz .LBB349_897
; %bb.892:                              ;   in Loop: Header=BB349_15 Depth=1
	v_and_b32_e32 v0, 0xffff, v0
	v_mov_b32_e32 v123, 0x7f800001
	s_mov_b32 s18, exec_lo
	s_delay_alu instid0(VALU_DEP_2) | instskip(NEXT) | instid1(VALU_DEP_1)
	v_and_b32_e32 v38, 0x7f, v0
	v_cmpx_ne_u32_e32 0x7f, v38
	s_cbranch_execz .LBB349_896
; %bb.893:                              ;   in Loop: Header=BB349_15 Depth=1
	v_dual_mov_b32 v125, v49 :: v_dual_bitop2_b32 v124, 7, v0 bitop3:0x40
	v_lshrrev_b32_e32 v0, 3, v38
	s_mov_b32 s19, exec_lo
	v_cmpx_gt_u32_e32 8, v38
; %bb.894:                              ;   in Loop: Header=BB349_15 Depth=1
	s_delay_alu instid0(VALU_DEP_3) | instskip(NEXT) | instid1(VALU_DEP_1)
	v_clz_i32_u32_e32 v0, v124
	v_min_u32_e32 v0, 32, v0
	s_delay_alu instid0(VALU_DEP_1) | instskip(SKIP_1) | instid1(VALU_DEP_2)
	v_subrev_nc_u32_e32 v7, 28, v0
	v_sub_nc_u32_e32 v0, 29, v0
	v_lshlrev_b64_e32 v[124:125], v7, v[124:125]
	s_delay_alu instid0(VALU_DEP_1)
	v_and_b32_e32 v124, 7, v124
; %bb.895:                              ;   in Loop: Header=BB349_15 Depth=1
	s_or_b32 exec_lo, exec_lo, s19
	v_lshlrev_b32_e32 v7, 16, v48
	s_delay_alu instid0(VALU_DEP_2) | instskip(SKIP_1) | instid1(VALU_DEP_3)
	v_lshlrev_b32_e32 v10, 20, v124
	v_lshl_add_u32 v0, v0, 23, 0x3c000000
	v_and_b32_e32 v7, 0x80000000, v7
	s_delay_alu instid0(VALU_DEP_1)
	v_or3_b32 v123, v10, v7, v0
.LBB349_896:                            ;   in Loop: Header=BB349_15 Depth=1
	s_or_b32 exec_lo, exec_lo, s18
.LBB349_897:                            ;   in Loop: Header=BB349_15 Depth=1
	s_delay_alu instid0(SALU_CYCLE_1)
	s_or_b32 exec_lo, exec_lo, s17
.LBB349_898:                            ;   in Loop: Header=BB349_15 Depth=1
	s_delay_alu instid0(SALU_CYCLE_1) | instskip(SKIP_3) | instid1(VALU_DEP_2)
	s_or_b32 exec_lo, exec_lo, s16
	v_dual_mov_b32 v125, 0 :: v_dual_lshrrev_b32 v0, 16, v121
	v_mov_b32_e32 v124, 0
	s_mov_b32 s16, exec_lo
	v_and_b32_e32 v7, 0xff, v0
	s_delay_alu instid0(VALU_DEP_1)
	v_cmpx_ne_u16_e32 0, v7
	s_cbranch_execz .LBB349_906
; %bb.899:                              ;   in Loop: Header=BB349_15 Depth=1
	v_bfrev_b32_e32 v124, 1
	s_mov_b32 s17, exec_lo
	v_cmpx_ne_u16_e32 0x80, v7
	s_cbranch_execz .LBB349_905
; %bb.900:                              ;   in Loop: Header=BB349_15 Depth=1
	v_bfe_u32 v7, v121, 16, 7
	v_mov_b32_e32 v124, 0x7f800001
	s_mov_b32 s18, exec_lo
	s_delay_alu instid0(VALU_DEP_2)
	v_cmpx_ne_u32_e32 0x7f, v7
	s_cbranch_execz .LBB349_904
; %bb.901:                              ;   in Loop: Header=BB349_15 Depth=1
	v_dual_lshrrev_b32 v38, 3, v7 :: v_dual_bitop2_b32 v48, 7, v0 bitop3:0x40
	s_mov_b32 s19, exec_lo
	v_cmpx_gt_u32_e32 8, v7
; %bb.902:                              ;   in Loop: Header=BB349_15 Depth=1
	s_delay_alu instid0(VALU_DEP_2) | instskip(NEXT) | instid1(VALU_DEP_1)
	v_clz_i32_u32_e32 v7, v48
	v_min_u32_e32 v7, 32, v7
	s_delay_alu instid0(VALU_DEP_1) | instskip(NEXT) | instid1(VALU_DEP_1)
	v_subrev_nc_u32_e32 v10, 28, v7
	v_lshlrev_b64_e32 v[10:11], v10, v[48:49]
	s_delay_alu instid0(VALU_DEP_1)
	v_dual_sub_nc_u32 v38, 29, v7 :: v_dual_bitop2_b32 v48, 7, v10 bitop3:0x40
; %bb.903:                              ;   in Loop: Header=BB349_15 Depth=1
	s_or_b32 exec_lo, exec_lo, s19
	v_lshlrev_b32_e32 v0, 24, v0
	s_delay_alu instid0(VALU_DEP_2) | instskip(NEXT) | instid1(VALU_DEP_3)
	v_lshlrev_b32_e32 v7, 20, v48
	v_lshl_add_u32 v10, v38, 23, 0x3c000000
	s_delay_alu instid0(VALU_DEP_3) | instskip(NEXT) | instid1(VALU_DEP_1)
	v_and_b32_e32 v0, 0x80000000, v0
	v_or3_b32 v124, v7, v0, v10
.LBB349_904:                            ;   in Loop: Header=BB349_15 Depth=1
	s_or_b32 exec_lo, exec_lo, s18
.LBB349_905:                            ;   in Loop: Header=BB349_15 Depth=1
	s_delay_alu instid0(SALU_CYCLE_1)
	s_or_b32 exec_lo, exec_lo, s17
.LBB349_906:                            ;   in Loop: Header=BB349_15 Depth=1
	s_delay_alu instid0(SALU_CYCLE_1) | instskip(NEXT) | instid1(SALU_CYCLE_1)
	s_or_b32 exec_lo, exec_lo, s16
	s_mov_b32 s16, exec_lo
	v_cmpx_lt_u64_e64 s[8:9], v[120:121]
	s_cbranch_execz .LBB349_13
; %bb.907:                              ;   in Loop: Header=BB349_15 Depth=1
	v_lshrrev_b32_e32 v0, 24, v121
	v_bfrev_b32_e32 v125, 1
	s_mov_b32 s17, exec_lo
	s_delay_alu instid0(VALU_DEP_2)
	v_cmpx_ne_u32_e32 0x80, v0
	s_cbranch_execz .LBB349_12
; %bb.908:                              ;   in Loop: Header=BB349_15 Depth=1
	v_bfe_u32 v7, v121, 24, 7
	v_mov_b32_e32 v125, 0x7f800001
	s_mov_b32 s18, exec_lo
	s_delay_alu instid0(VALU_DEP_2)
	v_cmpx_ne_u32_e32 0x7f, v7
	s_cbranch_execz .LBB349_11
; %bb.909:                              ;   in Loop: Header=BB349_15 Depth=1
	v_dual_lshrrev_b32 v38, 3, v7 :: v_dual_bitop2_b32 v48, 7, v0 bitop3:0x40
	s_mov_b32 s19, exec_lo
	v_cmpx_gt_u32_e32 8, v7
	s_cbranch_execz .LBB349_10
; %bb.910:                              ;   in Loop: Header=BB349_15 Depth=1
	s_delay_alu instid0(VALU_DEP_2) | instskip(NEXT) | instid1(VALU_DEP_1)
	v_clz_i32_u32_e32 v7, v48
	v_min_u32_e32 v7, 32, v7
	s_delay_alu instid0(VALU_DEP_1) | instskip(NEXT) | instid1(VALU_DEP_1)
	v_subrev_nc_u32_e32 v10, 28, v7
	v_lshlrev_b64_e32 v[10:11], v10, v[48:49]
	s_delay_alu instid0(VALU_DEP_1)
	v_dual_sub_nc_u32 v38, 29, v7 :: v_dual_bitop2_b32 v48, 7, v10 bitop3:0x40
	s_branch .LBB349_10
.LBB349_911:
	s_or_b32 exec_lo, exec_lo, s15
	s_clause 0x5
	scratch_load_b32 v29, off, s32 offset:752
	scratch_load_b32 v26, off, s32 offset:796
	scratch_load_b64 v[38:39], off, s32 offset:800
	scratch_load_b32 v18, off, s32 offset:808
	scratch_load_b32 v48, off, s32 offset:812
	;; [unrolled: 1-line block ×3, first 2 shown]
.LBB349_912:
	s_wait_xcnt 0x0
	s_or_b32 exec_lo, exec_lo, s3
	v_mbcnt_lo_u32_b32 v2, -1, 0
	s_delay_alu instid0(VALU_DEP_1) | instskip(SKIP_1) | instid1(VALU_DEP_2)
	v_dual_max_num_f32 v4, v7, v7 :: v_dual_bitop2_b32 v0, 16, v2 bitop3:0x14
	v_xor_b32_e32 v3, 8, v2
	v_cmp_gt_i32_e32 vcc_lo, 32, v0
	v_cndmask_b32_e32 v0, v2, v0, vcc_lo
	s_delay_alu instid0(VALU_DEP_3) | instskip(NEXT) | instid1(VALU_DEP_2)
	v_cmp_gt_i32_e32 vcc_lo, 32, v3
	v_dual_cndmask_b32 v3, v2, v3 :: v_dual_lshlrev_b32 v0, 2, v0
	ds_bpermute_b32 v1, v0, v7
	s_wait_dscnt 0x0
	v_dual_max_num_f32 v5, v1, v1 :: v_dual_lshlrev_b32 v1, 2, v3
	s_delay_alu instid0(VALU_DEP_1) | instskip(SKIP_4) | instid1(VALU_DEP_1)
	v_dual_max_num_f32 v4, v4, v5 :: v_dual_bitop2_b32 v5, 4, v2 bitop3:0x14
	ds_bpermute_b32 v3, v1, v4
	v_cmp_gt_i32_e32 vcc_lo, 32, v5
	s_wait_dscnt 0x0
	v_dual_cndmask_b32 v5, v2, v5 :: v_dual_max_num_f32 v6, v3, v3
	v_dual_max_num_f32 v4, v4, v6 :: v_dual_lshlrev_b32 v3, 2, v5
	ds_bpermute_b32 v5, v3, v4
	s_wait_dscnt 0x0
	v_dual_max_num_f32 v5, v5, v5 :: v_dual_bitop2_b32 v6, 2, v2 bitop3:0x14
	s_delay_alu instid0(VALU_DEP_1) | instskip(NEXT) | instid1(VALU_DEP_2)
	v_cmp_gt_i32_e32 vcc_lo, 32, v6
	v_dual_max_num_f32 v4, v4, v5 :: v_dual_cndmask_b32 v6, v2, v6, vcc_lo
	s_delay_alu instid0(VALU_DEP_1) | instskip(SKIP_3) | instid1(VALU_DEP_1)
	v_lshlrev_b32_e32 v27, 2, v6
	ds_bpermute_b32 v5, v27, v4
	s_wait_dscnt 0x0
	v_dual_max_num_f32 v5, v5, v5 :: v_dual_bitop2_b32 v6, 1, v2 bitop3:0x14
	v_cmp_gt_i32_e32 vcc_lo, 32, v6
	s_delay_alu instid0(VALU_DEP_2)
	v_dual_cndmask_b32 v6, v2, v6, vcc_lo :: v_dual_max_num_f32 v2, v4, v5
	scratch_load_b32 v4, off, s32 offset:436 ; 4-byte Folded Reload
	s_wait_loadcnt 0x0
	v_cmp_eq_u32_e32 vcc_lo, 0, v4
	scratch_load_b32 v4, off, s32 offset:748 ; 4-byte Folded Reload
	s_wait_loadcnt 0x0
	v_dual_lshlrev_b32 v4, 2, v4 :: v_dual_lshlrev_b32 v36, 2, v6
	ds_bpermute_b32 v5, v36, v2
	s_wait_xcnt 0x0
	s_and_saveexec_b32 s1, vcc_lo
	s_cbranch_execz .LBB349_914
; %bb.913:
	s_wait_dscnt 0x0
	v_dual_max_num_f32 v5, v5, v5 :: v_dual_max_num_f32 v2, v2, v2
	s_delay_alu instid0(VALU_DEP_1)
	v_max_num_f32_e32 v2, v2, v5
	ds_store_b32 v4, v2 offset:224
.LBB349_914:
	s_or_b32 exec_lo, exec_lo, s1
	scratch_load_b32 v2, off, s32 offset:436 ; 4-byte Folded Reload
	s_wait_storecnt 0x0
	s_wait_loadcnt_dscnt 0x0
	s_barrier_signal -1
	s_barrier_wait -1
	v_cmp_gt_u32_e64 s1, 4, v2
	v_mov_b32_e32 v2, 0xff7fffff
	s_and_saveexec_b32 s2, s1
; %bb.915:
	ds_load_b32 v2, v19 offset:224
; %bb.916:
	s_or_b32 exec_lo, exec_lo, s2
	s_wait_dscnt 0x0
	ds_bpermute_b32 v5, v27, v2
	s_wait_dscnt 0x0
	v_dual_max_num_f32 v2, v2, v2 :: v_dual_max_num_f32 v5, v5, v5
	s_delay_alu instid0(VALU_DEP_1) | instskip(SKIP_3) | instid1(VALU_DEP_1)
	v_max_num_f32_e32 v2, v2, v5
	ds_bpermute_b32 v5, v36, v2
	s_wait_dscnt 0x0
	v_max_num_f32_e32 v5, v5, v5
	v_dual_max_num_f32 v2, v2, v5 :: v_dual_mov_b32 v5, 0
	ds_bpermute_b32 v6, v5, v2
	scratch_load_b32 v2, off, s32 offset:192 ; 4-byte Folded Reload
	s_wait_loadcnt 0x0
	v_lshlrev_b32_e32 v2, 5, v2
	s_delay_alu instid0(VALU_DEP_1) | instskip(NEXT) | instid1(VALU_DEP_1)
	v_min_i32_e32 v2, v2, v126
	v_cmp_lt_i32_e64 s2, v29, v2
	s_and_saveexec_b32 s8, s2
	s_cbranch_execz .LBB349_920
; %bb.917:
	s_load_b32 s3, s[6:7], 0x0
	v_dual_mov_b32 v5, 0 :: v_dual_mov_b32 v8, v29
	s_mov_b32 s9, 0
	s_wait_kmcnt 0x0
	v_lshl_add_u32 v7, v29, 2, s3
.LBB349_918:                            ; =>This Inner Loop Header: Depth=1
	ds_load_b32 v9, v7
	v_add_nc_u32_e32 v8, 0x80, v8
	s_delay_alu instid0(VALU_DEP_1) | instskip(SKIP_3) | instid1(VALU_DEP_1)
	v_cmp_ge_i32_e64 s3, v8, v2
	s_or_b32 s9, s3, s9
	s_wait_dscnt 0x0
	v_sub_f32_e32 v9, v9, v6
	v_mul_f32_e32 v9, 0x3fb8aa3b, v9
	s_delay_alu instid0(VALU_DEP_1)
	v_exp_f32_e32 v9, v9
	ds_store_b32 v7, v9
	v_nop
	v_add_f32_e32 v5, v5, v9
	v_add_nc_u32_e32 v7, 0x200, v7
	s_and_not1_b32 exec_lo, exec_lo, s9
	s_cbranch_execnz .LBB349_918
; %bb.919:
	s_or_b32 exec_lo, exec_lo, s9
.LBB349_920:
	s_delay_alu instid0(SALU_CYCLE_1)
	s_or_b32 exec_lo, exec_lo, s8
	ds_bpermute_b32 v0, v0, v5
	s_wait_dscnt 0x0
	v_add_f32_e32 v0, v5, v0
	ds_bpermute_b32 v1, v1, v0
	s_wait_dscnt 0x0
	v_add_f32_e32 v0, v0, v1
	;; [unrolled: 3-line block ×5, first 2 shown]
	s_and_saveexec_b32 s3, vcc_lo
; %bb.921:
	ds_store_b32 v4, v0 offset:240
; %bb.922:
	s_or_b32 exec_lo, exec_lo, s3
	s_wait_dscnt 0x0
	s_barrier_signal -1
	s_barrier_wait -1
	s_and_saveexec_b32 s3, s1
; %bb.923:
	ds_load_b32 v0, v19 offset:240
; %bb.924:
	s_or_b32 exec_lo, exec_lo, s3
	s_wait_dscnt 0x0
	ds_bpermute_b32 v1, v27, v0
	s_wait_dscnt 0x0
	v_dual_mov_b32 v13, 0 :: v_dual_add_f32 v0, v0, v1
	ds_bpermute_b32 v1, v36, v0
	s_wait_dscnt 0x0
	v_add_f32_e32 v0, v0, v1
	ds_bpermute_b32 v0, v13, v0
	s_and_saveexec_b32 s1, s2
	s_cbranch_execz .LBB349_937
; %bb.925:
	s_wait_dscnt 0x0
	v_add_f32_e32 v0, 0x358637bd, v0
	s_mov_b32 s3, -1
	s_mov_b32 s2, exec_lo
	s_delay_alu instid0(VALU_DEP_1) | instskip(SKIP_1) | instid1(VALU_DEP_2)
	v_div_scale_f32 v1, null, v0, v0, 1.0
	v_div_scale_f32 v5, vcc_lo, 1.0, v0, 1.0
	v_rcp_f32_e32 v4, v1
	v_nop
	s_delay_alu instid0(TRANS32_DEP_1) | instskip(NEXT) | instid1(VALU_DEP_1)
	v_fma_f32 v3, -v1, v4, 1.0
	v_fmac_f32_e32 v4, v3, v4
	s_delay_alu instid0(VALU_DEP_1) | instskip(NEXT) | instid1(VALU_DEP_1)
	v_mul_f32_e32 v6, v5, v4
	v_fma_f32 v3, -v1, v6, v5
	s_delay_alu instid0(VALU_DEP_1) | instskip(SKIP_1) | instid1(VALU_DEP_2)
	v_fmac_f32_e32 v6, v3, v4
	v_xad_u32 v3, v29, -1, v2
	v_fma_f32 v1, -v1, v6, v5
	s_delay_alu instid0(VALU_DEP_1) | instskip(NEXT) | instid1(VALU_DEP_1)
	v_div_fmas_f32 v1, v1, v4, v6
	v_div_fixup_f32 v0, v1, v0, 1.0
	v_mov_b32_e32 v1, v29
	v_cmpx_lt_u32_e32 0x7f, v3
	s_cbranch_execz .LBB349_934
; %bb.926:
	s_delay_alu instid0(VALU_DEP_3) | instskip(NEXT) | instid1(VALU_DEP_1)
	v_dual_lshrrev_b32 v3, 7, v3 :: v_dual_mov_b32 v1, v0
	v_dual_mov_b32 v7, 0 :: v_dual_add_nc_u32 v4, -1, v3
	s_delay_alu instid0(VALU_DEP_1) | instskip(SKIP_1) | instid1(VALU_DEP_2)
	v_lshrrev_b32_e32 v5, 1, v4
	v_cmp_lt_u32_e32 vcc_lo, 13, v4
	v_add_nc_u32_e32 v4, 1, v5
	s_and_saveexec_b32 s3, vcc_lo
	s_cbranch_execz .LBB349_930
; %bb.927:
	s_load_b32 s8, s[6:7], 0x0
	s_delay_alu instid0(VALU_DEP_1)
	v_dual_mov_b32 v12, v18 :: v_dual_bitop2_b32 v5, -8, v4 bitop3:0x40
	s_mov_b32 s9, 0
	s_wait_kmcnt 0x0
	v_lshl_add_u32 v6, v29, 2, s8
	s_mov_b32 s8, 0
.LBB349_928:                            ; =>This Inner Loop Header: Depth=1
	ds_load_2addr_stride64_b32 v[8:9], v6 offset1:2
	ds_load_2addr_stride64_b32 v[10:11], v6 offset0:4 offset1:6
	ds_load_2addr_stride64_b32 v[14:15], v6 offset0:8 offset1:10
	;; [unrolled: 1-line block ×7, first 2 shown]
	s_add_co_i32 s9, s9, 16
	s_delay_alu instid0(SALU_CYCLE_1) | instskip(NEXT) | instid1(VALU_DEP_1)
	v_dual_add_nc_u32 v5, -8, v5 :: v_dual_mov_b32 v7, s9
	v_cmp_eq_u32_e32 vcc_lo, 0, v5
	s_or_b32 s8, vcc_lo, s8
	s_wait_dscnt 0x7
	v_pk_mul_f32 v[8:9], v[0:1], v[8:9]
	s_wait_dscnt 0x6
	v_pk_mul_f32 v[10:11], v[0:1], v[10:11]
	;; [unrolled: 2-line block ×8, first 2 shown]
	ds_store_2addr_stride64_b32 v6, v8, v9 offset1:2
	ds_store_2addr_stride64_b32 v6, v10, v11 offset0:4 offset1:6
	ds_store_2addr_stride64_b32 v6, v14, v15 offset0:8 offset1:10
	;; [unrolled: 1-line block ×7, first 2 shown]
	v_add_nc_u32_e32 v6, 0x2000, v6
	s_and_not1_b32 exec_lo, exec_lo, s8
	s_cbranch_execnz .LBB349_928
; %bb.929:
	s_or_b32 exec_lo, exec_lo, s8
	v_mov_b32_e32 v18, v12
.LBB349_930:
	s_or_b32 exec_lo, exec_lo, s3
	s_delay_alu instid0(VALU_DEP_1) | instskip(SKIP_2) | instid1(VALU_DEP_1)
	v_and_b32_e32 v4, 7, v4
	s_mov_b32 s8, 0
	s_mov_b32 s3, exec_lo
	v_cmpx_ne_u32_e32 0, v4
	s_cbranch_execz .LBB349_933
; %bb.931:
	s_load_b32 s9, s[6:7], 0x0
	v_dual_lshlrev_b32 v5, 9, v7 :: v_dual_lshlrev_b32 v6, 2, v29
	s_wait_kmcnt 0x0
	s_delay_alu instid0(VALU_DEP_1)
	v_add3_u32 v5, v5, v6, s9
.LBB349_932:                            ; =>This Inner Loop Header: Depth=1
	ds_load_2addr_stride64_b32 v[6:7], v5 offset1:2
	v_add_nc_u32_e32 v4, -1, v4
	s_delay_alu instid0(VALU_DEP_1)
	v_cmp_eq_u32_e32 vcc_lo, 0, v4
	s_or_b32 s8, vcc_lo, s8
	s_wait_dscnt 0x0
	v_pk_mul_f32 v[6:7], v[0:1], v[6:7]
	ds_store_2addr_stride64_b32 v5, v6, v7 offset1:2
	v_add_nc_u32_e32 v5, 0x400, v5
	s_and_not1_b32 exec_lo, exec_lo, s8
	s_cbranch_execnz .LBB349_932
.LBB349_933:
	s_or_b32 exec_lo, exec_lo, s3
	v_add_nc_u32_e32 v1, 1, v3
	s_delay_alu instid0(VALU_DEP_1) | instskip(NEXT) | instid1(VALU_DEP_1)
	v_and_b32_e32 v3, 0x3fffffe, v1
	v_cmp_ne_u32_e32 vcc_lo, v1, v3
	v_lshl_add_u32 v1, v3, 7, v29
	s_or_not1_b32 s3, vcc_lo, exec_lo
.LBB349_934:
	s_or_b32 exec_lo, exec_lo, s2
	s_delay_alu instid0(SALU_CYCLE_1)
	s_and_b32 exec_lo, exec_lo, s3
	s_cbranch_execz .LBB349_937
; %bb.935:
	s_load_b32 s2, s[6:7], 0x0
	s_wait_kmcnt 0x0
	v_lshl_add_u32 v3, v1, 2, s2
	s_mov_b32 s2, 0
.LBB349_936:                            ; =>This Inner Loop Header: Depth=1
	ds_load_b32 v4, v3
	s_wait_dscnt 0x0
	v_dual_mul_f32 v4, v0, v4 :: v_dual_add_nc_u32 v1, 0x80, v1
	s_delay_alu instid0(VALU_DEP_1) | instskip(SKIP_3) | instid1(SALU_CYCLE_1)
	v_cmp_ge_i32_e32 vcc_lo, v1, v2
	ds_store_b32 v3, v4
	v_add_nc_u32_e32 v3, 0x200, v3
	s_or_b32 s2, vcc_lo, s2
	s_and_not1_b32 exec_lo, exec_lo, s2
	s_cbranch_execnz .LBB349_936
.LBB349_937:
	s_or_b32 exec_lo, exec_lo, s1
	v_dual_mov_b32 v12, 0 :: v_dual_bitop2_b32 v37, 3, v29 bitop3:0x40
	v_dual_mov_b32 v15, 0 :: v_dual_mov_b32 v14, 0
	v_dual_mov_b32 v35, 0 :: v_dual_mov_b32 v34, 0
	;; [unrolled: 1-line block ×6, first 2 shown]
	s_wait_dscnt 0x0
	s_barrier_signal -1
	s_barrier_wait -1
	s_and_saveexec_b32 s1, s0
	s_cbranch_execz .LBB349_1867
; %bb.938:
	s_clause 0x4
	scratch_store_b32 off, v27, s32 offset:472
	scratch_store_b32 off, v36, s32 offset:464
	scratch_load_b32 v1, off, s32 offset:752
	scratch_load_b64 v[8:9], off, s32 offset:756 th:TH_LOAD_LU
	scratch_load_b32 v6, off, s32 offset:748
	v_dual_mov_b32 v15, 0 :: v_dual_max_i32 v53, v26, v48
	v_dual_mov_b32 v12, 0 :: v_dual_mov_b32 v29, 0
	v_dual_mov_b32 v30, 0 :: v_dual_mov_b32 v31, 0
	;; [unrolled: 1-line block ×5, first 2 shown]
	v_mov_b32_e32 v14, 0
	s_mov_b64 s[2:3], 0xffffffffffffff
	s_mov_b32 s8, 0
	scratch_store_b32 off, v37, s32 offset:480 ; 4-byte Folded Spill
	v_dual_mov_b32 v28, 0 :: v_dual_lshlrev_b32 v4, 5, v37
	v_mov_b32_e32 v13, 0
	scratch_store_b64 off, v[12:13], s32 offset:388 ; 8-byte Folded Spill
	s_wait_loadcnt 0x2
	v_lshlrev_b32_e32 v2, 3, v1
	v_cvt_f32_u32_e32 v0, v53
	s_wait_xcnt 0x6
	v_dual_mov_b32 v27, 0 :: v_dual_sub_nc_u32 v5, 0, v53
	s_wait_loadcnt 0x0
	v_mov_b32_e32 v54, v6
	v_and_b32_e32 v26, 0xf8, v2
	v_rcp_iflag_f32_e32 v0, v0
	v_dual_mov_b32 v7, v27 :: v_dual_bitop2_b32 v2, 24, v2 bitop3:0x40
	v_lshl_or_b32 v64, v6, 7, v4
	scratch_store_b32 off, v2, s32 offset:456 ; 4-byte Folded Spill
	v_mul_f32_e32 v3, 0x4f7ffffe, v0
	scratch_load_b64 v[0:1], off, s32 offset:772 th:TH_LOAD_LU ; 8-byte Folded Reload
	v_cvt_u32_f32_e32 v3, v3
	s_delay_alu instid0(VALU_DEP_1) | instskip(NEXT) | instid1(VALU_DEP_1)
	v_mul_lo_u32 v5, v5, v3
	v_mul_hi_u32 v5, v3, v5
	s_delay_alu instid0(VALU_DEP_1)
	v_add_nc_u32_e32 v6, v3, v5
	s_clause 0x1
	scratch_load_b64 v[2:3], off, s32 offset:788
	scratch_store_b64 off, v[6:7], s32 offset:396
	s_wait_loadcnt 0x1
	v_add_nc_u64_e32 v[0:1], v[38:39], v[0:1]
	s_delay_alu instid0(VALU_DEP_1)
	v_add_nc_u64_e32 v[0:1], v[0:1], v[26:27]
	v_and_b32_e32 v26, 0x7c, v18
	s_clause 0x1
	scratch_store_b64 off, v[0:1], s32 offset:448
	scratch_load_b64 v[0:1], off, s32 offset:764 th:TH_LOAD_LU
	s_wait_loadcnt 0x0
	v_lshl_add_u64 v[0:1], v[0:1], 2, v[26:27]
	s_delay_alu instid0(VALU_DEP_1)
	v_add_nc_u64_e32 v[10:11], v[8:9], v[0:1]
	s_branch .LBB349_941
.LBB349_939:                            ;   in Loop: Header=BB349_941 Depth=1
	s_or_b32 exec_lo, exec_lo, s0
	scratch_load_b128 v[96:99], off, s32 offset:420 th:TH_LOAD_LU ; 16-byte Folded Reload
	v_perm_b32 v24, v116, v117, 0x5040100
	v_perm_b32 v38, v114, v115, 0x5040100
	;; [unrolled: 1-line block ×7, first 2 shown]
	scratch_load_b64 v[12:13], off, s32 offset:388 th:TH_LOAD_LU ; 8-byte Folded Reload
	s_wait_loadcnt 0x1
	v_cvt_pk_bf16_f32 v7, v96, v97
	v_cvt_pk_bf16_f32 v6, v98, v99
	scratch_load_b128 v[96:99], off, s32 offset:404 th:TH_LOAD_LU ; 16-byte Folded Reload
	v_pk_mul_bf16 v24, v7, v24
	v_pk_mul_bf16 v38, v6, v38
	;; [unrolled: 1-line block ×3, first 2 shown]
	s_delay_alu instid0(VALU_DEP_3) | instskip(SKIP_1) | instid1(VALU_DEP_1)
	v_lshlrev_b32_e32 v9, 16, v24
	v_and_b32_e32 v24, 0xffff0000, v24
	v_dual_add_f32 v9, v9, v24 :: v_dual_lshlrev_b32 v24, 16, v38
	v_and_b32_e32 v38, 0xffff0000, v38
	s_delay_alu instid0(VALU_DEP_1) | instskip(SKIP_3) | instid1(VALU_DEP_2)
	v_add_f32_e32 v24, v24, v38
	s_wait_loadcnt 0x0
	v_cvt_pk_bf16_f32 v3, v96, v97
	v_cvt_pk_bf16_f32 v2, v98, v99
	v_pk_mul_bf16 v5, v3, v5
	v_add_f32_e32 v9, v9, v24
	s_delay_alu instid0(VALU_DEP_3) | instskip(NEXT) | instid1(VALU_DEP_3)
	v_pk_mul_bf16 v8, v2, v8
	v_lshlrev_b32_e32 v24, 16, v5
	v_and_b32_e32 v5, 0xffff0000, v5
	s_delay_alu instid0(VALU_DEP_1) | instskip(SKIP_1) | instid1(VALU_DEP_2)
	v_dual_add_f32 v5, v24, v5 :: v_dual_lshlrev_b32 v24, 16, v4
	v_and_b32_e32 v4, 0xffff0000, v4
	v_dual_add_f32 v5, v9, v5 :: v_dual_lshlrev_b32 v9, 16, v8
	v_and_b32_e32 v8, 0xffff0000, v8
	s_delay_alu instid0(VALU_DEP_1) | instskip(SKIP_1) | instid1(VALU_DEP_2)
	v_add_f32_e32 v8, v9, v8
	v_perm_b32 v9, v82, v81, 0x5040100
	v_add_f32_e32 v5, v5, v8
	v_perm_b32 v8, v83, v84, 0x5040100
	s_delay_alu instid0(VALU_DEP_3) | instskip(NEXT) | instid1(VALU_DEP_3)
	v_pk_mul_bf16 v9, v2, v9
	v_add_f32_e32 v12, v12, v5
	v_perm_b32 v5, v85, v86, 0x5040100
	s_delay_alu instid0(VALU_DEP_4) | instskip(NEXT) | instid1(VALU_DEP_2)
	v_pk_mul_bf16 v8, v3, v8
	v_pk_mul_bf16 v5, v6, v5
	s_delay_alu instid0(VALU_DEP_1) | instskip(SKIP_1) | instid1(VALU_DEP_1)
	v_dual_add_f32 v4, v24, v4 :: v_dual_lshlrev_b32 v24, 16, v5
	v_and_b32_e32 v5, 0xffff0000, v5
	v_add_f32_e32 v5, v24, v5
	s_delay_alu instid0(VALU_DEP_1) | instskip(SKIP_1) | instid1(VALU_DEP_1)
	v_dual_add_f32 v4, v4, v5 :: v_dual_lshlrev_b32 v5, 16, v8
	v_and_b32_e32 v8, 0xffff0000, v8
	v_add_f32_e32 v5, v5, v8
	v_and_b32_e32 v8, 0xffff0000, v9
	s_delay_alu instid0(VALU_DEP_2) | instskip(SKIP_2) | instid1(VALU_DEP_2)
	v_add_f32_e32 v4, v4, v5
	v_lshlrev_b32_e32 v5, 16, v9
	v_perm_b32 v9, v67, v66, 0x5040100
	v_add_f32_e32 v5, v5, v8
	v_perm_b32 v8, v25, v65, 0x5040100
	s_delay_alu instid0(VALU_DEP_3) | instskip(NEXT) | instid1(VALU_DEP_3)
	v_pk_mul_bf16 v9, v2, v9
	v_add_f32_e32 v4, v4, v5
	v_perm_b32 v5, v68, v69, 0x5040100
	s_delay_alu instid0(VALU_DEP_4) | instskip(NEXT) | instid1(VALU_DEP_3)
	v_pk_mul_bf16 v8, v3, v8
	v_add_f32_e32 v15, v15, v4
	v_perm_b32 v4, v70, v71, 0x5040100
	s_delay_alu instid0(VALU_DEP_4) | instskip(NEXT) | instid1(VALU_DEP_2)
	v_pk_mul_bf16 v5, v6, v5
	v_pk_mul_bf16 v4, v7, v4
	s_delay_alu instid0(VALU_DEP_1) | instskip(SKIP_1) | instid1(VALU_DEP_1)
	v_lshlrev_b32_e32 v24, 16, v4
	v_and_b32_e32 v4, 0xffff0000, v4
	v_dual_add_f32 v4, v24, v4 :: v_dual_lshlrev_b32 v24, 16, v5
	v_and_b32_e32 v5, 0xffff0000, v5
	s_delay_alu instid0(VALU_DEP_1) | instskip(NEXT) | instid1(VALU_DEP_1)
	v_add_f32_e32 v5, v24, v5
	v_dual_add_f32 v4, v4, v5 :: v_dual_lshlrev_b32 v5, 16, v8
	v_and_b32_e32 v8, 0xffff0000, v8
	s_delay_alu instid0(VALU_DEP_1) | instskip(SKIP_1) | instid1(VALU_DEP_2)
	v_add_f32_e32 v5, v5, v8
	v_and_b32_e32 v8, 0xffff0000, v9
	v_add_f32_e32 v4, v4, v5
	v_lshlrev_b32_e32 v5, 16, v9
	v_perm_b32 v9, v55, v37, 0x5040100
	s_delay_alu instid0(VALU_DEP_2) | instskip(SKIP_1) | instid1(VALU_DEP_3)
	v_add_f32_e32 v5, v5, v8
	v_perm_b32 v8, v52, v36, 0x5040100
	v_pk_mul_bf16 v9, v2, v9
	s_delay_alu instid0(VALU_DEP_3) | instskip(SKIP_1) | instid1(VALU_DEP_4)
	v_add_f32_e32 v4, v4, v5
	v_perm_b32 v5, v48, v49, 0x5040100
	v_pk_mul_bf16 v8, v3, v8
	s_delay_alu instid0(VALU_DEP_3) | instskip(SKIP_1) | instid1(VALU_DEP_4)
	v_add_f32_e32 v14, v14, v4
	v_perm_b32 v4, v50, v51, 0x5040100
	v_pk_mul_bf16 v5, v6, v5
	s_delay_alu instid0(VALU_DEP_2) | instskip(NEXT) | instid1(VALU_DEP_1)
	v_pk_mul_bf16 v4, v7, v4
	v_lshlrev_b32_e32 v24, 16, v4
	v_and_b32_e32 v4, 0xffff0000, v4
	s_delay_alu instid0(VALU_DEP_1) | instskip(SKIP_1) | instid1(VALU_DEP_1)
	v_dual_add_f32 v4, v24, v4 :: v_dual_lshlrev_b32 v24, 16, v5
	v_and_b32_e32 v5, 0xffff0000, v5
	v_add_f32_e32 v5, v24, v5
	s_delay_alu instid0(VALU_DEP_1) | instskip(SKIP_1) | instid1(VALU_DEP_1)
	v_dual_add_f32 v4, v4, v5 :: v_dual_lshlrev_b32 v5, 16, v8
	v_and_b32_e32 v8, 0xffff0000, v8
	v_add_f32_e32 v5, v5, v8
	v_and_b32_e32 v8, 0xffff0000, v9
	s_delay_alu instid0(VALU_DEP_2) | instskip(SKIP_2) | instid1(VALU_DEP_2)
	v_add_f32_e32 v4, v4, v5
	v_lshlrev_b32_e32 v5, 16, v9
	v_perm_b32 v9, v121, v120, 0x5040100
	v_add_f32_e32 v5, v5, v8
	v_perm_b32 v8, v110, v111, 0x5040100
	s_delay_alu instid0(VALU_DEP_3) | instskip(NEXT) | instid1(VALU_DEP_3)
	v_pk_mul_bf16 v9, v2, v9
	v_add_f32_e32 v4, v4, v5
	v_perm_b32 v5, v122, v123, 0x5040100
	s_delay_alu instid0(VALU_DEP_4) | instskip(NEXT) | instid1(VALU_DEP_3)
	v_pk_mul_bf16 v8, v3, v8
	v_add_f32_e32 v35, v35, v4
	v_perm_b32 v4, v124, v125, 0x5040100
	s_delay_alu instid0(VALU_DEP_4) | instskip(NEXT) | instid1(VALU_DEP_2)
	v_pk_mul_bf16 v5, v6, v5
	v_pk_mul_bf16 v4, v7, v4
	s_delay_alu instid0(VALU_DEP_1) | instskip(SKIP_1) | instid1(VALU_DEP_1)
	v_lshlrev_b32_e32 v24, 16, v4
	v_and_b32_e32 v4, 0xffff0000, v4
	v_dual_add_f32 v4, v24, v4 :: v_dual_lshlrev_b32 v24, 16, v5
	v_and_b32_e32 v5, 0xffff0000, v5
	s_delay_alu instid0(VALU_DEP_1) | instskip(NEXT) | instid1(VALU_DEP_1)
	v_add_f32_e32 v5, v24, v5
	v_dual_add_f32 v4, v4, v5 :: v_dual_lshlrev_b32 v5, 16, v8
	v_and_b32_e32 v8, 0xffff0000, v8
	s_delay_alu instid0(VALU_DEP_1) | instskip(SKIP_1) | instid1(VALU_DEP_2)
	v_add_f32_e32 v5, v5, v8
	v_and_b32_e32 v8, 0xffff0000, v9
	v_add_f32_e32 v4, v4, v5
	v_lshlrev_b32_e32 v5, 16, v9
	v_perm_b32 v9, v105, v104, 0x5040100
	s_delay_alu instid0(VALU_DEP_2) | instskip(SKIP_1) | instid1(VALU_DEP_3)
	v_add_f32_e32 v5, v5, v8
	v_perm_b32 v8, v94, v95, 0x5040100
	v_pk_mul_bf16 v9, v2, v9
	s_delay_alu instid0(VALU_DEP_3) | instskip(SKIP_1) | instid1(VALU_DEP_4)
	v_add_f32_e32 v4, v4, v5
	v_perm_b32 v5, v106, v107, 0x5040100
	v_pk_mul_bf16 v8, v3, v8
	s_delay_alu instid0(VALU_DEP_3) | instskip(SKIP_1) | instid1(VALU_DEP_4)
	v_add_f32_e32 v34, v34, v4
	v_perm_b32 v4, v108, v109, 0x5040100
	v_pk_mul_bf16 v5, v6, v5
	s_delay_alu instid0(VALU_DEP_2) | instskip(NEXT) | instid1(VALU_DEP_1)
	v_pk_mul_bf16 v4, v7, v4
	v_lshlrev_b32_e32 v24, 16, v4
	v_and_b32_e32 v4, 0xffff0000, v4
	;; [unrolled: 57-line block ×3, first 2 shown]
	s_delay_alu instid0(VALU_DEP_1) | instskip(SKIP_1) | instid1(VALU_DEP_1)
	v_dual_add_f32 v4, v16, v4 :: v_dual_lshlrev_b32 v16, 16, v5
	v_and_b32_e32 v5, 0xffff0000, v5
	v_add_f32_e32 v5, v16, v5
	s_delay_alu instid0(VALU_DEP_1) | instskip(SKIP_1) | instid1(VALU_DEP_1)
	v_dual_add_f32 v4, v4, v5 :: v_dual_lshlrev_b32 v5, 16, v8
	v_and_b32_e32 v8, 0xffff0000, v8
	v_add_f32_e32 v5, v5, v8
	v_and_b32_e32 v8, 0xffff0000, v9
	s_delay_alu instid0(VALU_DEP_2) | instskip(SKIP_1) | instid1(VALU_DEP_1)
	v_add_f32_e32 v4, v4, v5
	v_lshlrev_b32_e32 v5, 16, v9
	v_add_f32_e32 v5, v5, v8
	s_delay_alu instid0(VALU_DEP_1) | instskip(NEXT) | instid1(VALU_DEP_1)
	v_add_f32_e32 v4, v4, v5
	v_add_f32_e32 v33, v33, v4
	s_clause 0x1
	scratch_load_b32 v4, off, s32 offset:364 th:TH_LOAD_LU
	scratch_load_b32 v5, off, s32 offset:372 th:TH_LOAD_LU
	s_wait_loadcnt 0x0
	v_perm_b32 v4, v4, v5, 0x5040100
	s_clause 0x1
	scratch_load_b32 v5, off, s32 offset:348 th:TH_LOAD_LU
	scratch_load_b32 v8, off, s32 offset:356 th:TH_LOAD_LU
	v_pk_mul_bf16 v4, v7, v4
	s_wait_loadcnt 0x0
	v_perm_b32 v5, v5, v8, 0x5040100
	s_clause 0x1
	scratch_load_b32 v8, off, s32 offset:316 th:TH_LOAD_LU
	scratch_load_b32 v9, off, s32 offset:324 th:TH_LOAD_LU
	v_pk_mul_bf16 v5, v6, v5
	;; [unrolled: 6-line block ×3, first 2 shown]
	s_wait_loadcnt 0x0
	v_perm_b32 v9, v16, v9, 0x5040100
	v_lshlrev_b32_e32 v16, 16, v4
	v_and_b32_e32 v4, 0xffff0000, v4
	s_delay_alu instid0(VALU_DEP_3) | instskip(NEXT) | instid1(VALU_DEP_2)
	v_pk_mul_bf16 v9, v2, v9
	v_dual_add_f32 v4, v16, v4 :: v_dual_lshlrev_b32 v16, 16, v5
	v_and_b32_e32 v5, 0xffff0000, v5
	s_delay_alu instid0(VALU_DEP_1) | instskip(NEXT) | instid1(VALU_DEP_1)
	v_add_f32_e32 v5, v16, v5
	v_dual_add_f32 v4, v4, v5 :: v_dual_lshlrev_b32 v5, 16, v8
	v_and_b32_e32 v8, 0xffff0000, v8
	s_delay_alu instid0(VALU_DEP_1) | instskip(SKIP_1) | instid1(VALU_DEP_2)
	v_add_f32_e32 v5, v5, v8
	v_and_b32_e32 v8, 0xffff0000, v9
	v_add_f32_e32 v4, v4, v5
	v_lshlrev_b32_e32 v5, 16, v9
	s_delay_alu instid0(VALU_DEP_1) | instskip(NEXT) | instid1(VALU_DEP_1)
	v_add_f32_e32 v5, v5, v8
	v_add_f32_e32 v4, v4, v5
	s_delay_alu instid0(VALU_DEP_1)
	v_add_f32_e32 v32, v32, v4
	s_clause 0x1
	scratch_load_b32 v4, off, s32 offset:300 th:TH_LOAD_LU
	scratch_load_b32 v5, off, s32 offset:308 th:TH_LOAD_LU
	s_wait_loadcnt 0x0
	v_perm_b32 v4, v4, v5, 0x5040100
	s_clause 0x1
	scratch_load_b32 v5, off, s32 offset:284 th:TH_LOAD_LU
	scratch_load_b32 v8, off, s32 offset:292 th:TH_LOAD_LU
	v_pk_mul_bf16 v4, v7, v4
	s_wait_loadcnt 0x0
	v_perm_b32 v5, v5, v8, 0x5040100
	s_clause 0x1
	scratch_load_b32 v8, off, s32 offset:252 th:TH_LOAD_LU
	scratch_load_b32 v9, off, s32 offset:260 th:TH_LOAD_LU
	v_pk_mul_bf16 v5, v6, v5
	;; [unrolled: 6-line block ×3, first 2 shown]
	s_wait_loadcnt 0x0
	v_perm_b32 v9, v16, v9, 0x5040100
	v_lshlrev_b32_e32 v16, 16, v4
	v_and_b32_e32 v4, 0xffff0000, v4
	s_delay_alu instid0(VALU_DEP_3) | instskip(NEXT) | instid1(VALU_DEP_2)
	v_pk_mul_bf16 v9, v2, v9
	v_dual_add_f32 v4, v16, v4 :: v_dual_lshlrev_b32 v16, 16, v5
	v_and_b32_e32 v5, 0xffff0000, v5
	s_delay_alu instid0(VALU_DEP_1) | instskip(NEXT) | instid1(VALU_DEP_1)
	v_add_f32_e32 v5, v16, v5
	v_dual_add_f32 v4, v4, v5 :: v_dual_lshlrev_b32 v5, 16, v8
	v_and_b32_e32 v8, 0xffff0000, v8
	s_delay_alu instid0(VALU_DEP_1) | instskip(SKIP_1) | instid1(VALU_DEP_2)
	v_add_f32_e32 v5, v5, v8
	v_and_b32_e32 v8, 0xffff0000, v9
	v_add_f32_e32 v4, v4, v5
	v_lshlrev_b32_e32 v5, 16, v9
	s_delay_alu instid0(VALU_DEP_1) | instskip(NEXT) | instid1(VALU_DEP_1)
	v_add_f32_e32 v5, v5, v8
	v_add_f32_e32 v4, v4, v5
	s_delay_alu instid0(VALU_DEP_1)
	v_add_f32_e32 v31, v31, v4
	s_clause 0x1
	scratch_load_b32 v4, off, s32 offset:240 th:TH_LOAD_LU
	scratch_load_b32 v5, off, s32 offset:248 th:TH_LOAD_LU
	s_wait_loadcnt 0x0
	v_perm_b32 v4, v4, v5, 0x5040100
	s_clause 0x3
	scratch_load_b32 v5, off, s32 offset:232 th:TH_LOAD_LU
	scratch_load_b32 v8, off, s32 offset:236 th:TH_LOAD_LU
	;; [unrolled: 1-line block ×4, first 2 shown]
	v_pk_mul_bf16 v4, v7, v4
	s_wait_loadcnt 0x2
	v_perm_b32 v5, v5, v8, 0x5040100
	s_wait_loadcnt 0x0
	v_perm_b32 v9, v16, v9, 0x5040100
	v_lshlrev_b32_e32 v16, 16, v4
	v_and_b32_e32 v4, 0xffff0000, v4
	v_perm_b32 v8, v119, v42, 0x5040100
	v_pk_mul_bf16 v5, v6, v5
	v_pk_mul_bf16 v9, v2, v9
	s_delay_alu instid0(VALU_DEP_4) | instskip(NEXT) | instid1(VALU_DEP_4)
	v_add_f32_e32 v4, v16, v4
	v_pk_mul_bf16 v8, v3, v8
	s_delay_alu instid0(VALU_DEP_4) | instskip(SKIP_1) | instid1(VALU_DEP_1)
	v_lshlrev_b32_e32 v16, 16, v5
	v_and_b32_e32 v5, 0xffff0000, v5
	v_add_f32_e32 v5, v16, v5
	s_delay_alu instid0(VALU_DEP_1) | instskip(SKIP_1) | instid1(VALU_DEP_1)
	v_dual_add_f32 v4, v4, v5 :: v_dual_lshlrev_b32 v5, 16, v8
	v_and_b32_e32 v8, 0xffff0000, v8
	v_add_f32_e32 v5, v5, v8
	v_and_b32_e32 v8, 0xffff0000, v9
	s_delay_alu instid0(VALU_DEP_2) | instskip(SKIP_2) | instid1(VALU_DEP_2)
	v_add_f32_e32 v4, v4, v5
	v_lshlrev_b32_e32 v5, 16, v9
	v_perm_b32 v9, v61, v60, 0x5040100
	v_add_f32_e32 v5, v5, v8
	v_perm_b32 v8, v58, v59, 0x5040100
	s_delay_alu instid0(VALU_DEP_3) | instskip(NEXT) | instid1(VALU_DEP_3)
	v_pk_mul_bf16 v9, v2, v9
	v_add_f32_e32 v4, v4, v5
	v_perm_b32 v5, v62, v63, 0x5040100
	s_delay_alu instid0(VALU_DEP_4) | instskip(NEXT) | instid1(VALU_DEP_3)
	v_pk_mul_bf16 v8, v3, v8
	v_add_f32_e32 v30, v30, v4
	v_perm_b32 v4, v72, v118, 0x5040100
	s_delay_alu instid0(VALU_DEP_4) | instskip(NEXT) | instid1(VALU_DEP_2)
	v_pk_mul_bf16 v5, v6, v5
	v_pk_mul_bf16 v4, v7, v4
	s_delay_alu instid0(VALU_DEP_1) | instskip(SKIP_1) | instid1(VALU_DEP_1)
	v_lshlrev_b32_e32 v16, 16, v4
	v_and_b32_e32 v4, 0xffff0000, v4
	v_dual_add_f32 v4, v16, v4 :: v_dual_lshlrev_b32 v16, 16, v5
	v_and_b32_e32 v5, 0xffff0000, v5
	s_delay_alu instid0(VALU_DEP_1) | instskip(NEXT) | instid1(VALU_DEP_1)
	v_add_f32_e32 v5, v16, v5
	v_dual_add_f32 v4, v4, v5 :: v_dual_lshlrev_b32 v5, 16, v8
	v_and_b32_e32 v8, 0xffff0000, v8
	s_delay_alu instid0(VALU_DEP_1) | instskip(SKIP_1) | instid1(VALU_DEP_2)
	v_add_f32_e32 v5, v5, v8
	v_and_b32_e32 v8, 0xffff0000, v9
	v_add_f32_e32 v4, v4, v5
	v_lshlrev_b32_e32 v5, 16, v9
	v_perm_b32 v9, v45, v44, 0x5040100
	s_delay_alu instid0(VALU_DEP_2) | instskip(SKIP_1) | instid1(VALU_DEP_3)
	v_add_f32_e32 v5, v5, v8
	v_perm_b32 v8, v43, v41, 0x5040100
	v_pk_mul_bf16 v9, v2, v9
	s_delay_alu instid0(VALU_DEP_3) | instskip(SKIP_1) | instid1(VALU_DEP_4)
	v_add_f32_e32 v4, v4, v5
	v_perm_b32 v5, v46, v47, 0x5040100
	v_pk_mul_bf16 v8, v3, v8
	s_delay_alu instid0(VALU_DEP_3) | instskip(SKIP_1) | instid1(VALU_DEP_4)
	v_add_f32_e32 v29, v29, v4
	v_perm_b32 v4, v56, v57, 0x5040100
	v_pk_mul_bf16 v5, v6, v5
	s_delay_alu instid0(VALU_DEP_2) | instskip(NEXT) | instid1(VALU_DEP_1)
	v_pk_mul_bf16 v4, v7, v4
	v_lshlrev_b32_e32 v16, 16, v4
	v_and_b32_e32 v4, 0xffff0000, v4
	s_delay_alu instid0(VALU_DEP_1) | instskip(SKIP_1) | instid1(VALU_DEP_1)
	v_dual_add_f32 v4, v16, v4 :: v_dual_lshlrev_b32 v16, 16, v5
	v_and_b32_e32 v5, 0xffff0000, v5
	v_add_f32_e32 v5, v16, v5
	s_delay_alu instid0(VALU_DEP_1) | instskip(SKIP_1) | instid1(VALU_DEP_1)
	v_dual_add_f32 v4, v4, v5 :: v_dual_lshlrev_b32 v5, 16, v8
	v_and_b32_e32 v8, 0xffff0000, v8
	v_add_f32_e32 v5, v5, v8
	v_and_b32_e32 v8, 0xffff0000, v9
	s_delay_alu instid0(VALU_DEP_2) | instskip(SKIP_1) | instid1(VALU_DEP_1)
	v_add_f32_e32 v4, v4, v5
	v_lshlrev_b32_e32 v5, 16, v9
	v_add_f32_e32 v5, v5, v8
	s_delay_alu instid0(VALU_DEP_1) | instskip(SKIP_1) | instid1(VALU_DEP_1)
	v_add_f32_e32 v4, v4, v5
	v_perm_b32 v5, v22, v23, 0x5040100
	v_pk_mul_bf16 v5, v6, v5
	v_pk_mul_bf16 v6, v3, v1
	s_delay_alu instid0(VALU_DEP_2) | instskip(SKIP_2) | instid1(VALU_DEP_2)
	v_dual_add_f32 v28, v28, v4 :: v_dual_lshlrev_b32 v3, 16, v5
	v_perm_b32 v4, v26, v80, 0x5040100
	v_and_b32_e32 v1, 0xffff0000, v5
	v_pk_mul_bf16 v4, v7, v4
	v_pk_mul_bf16 v7, v2, v0
	s_delay_alu instid0(VALU_DEP_2) | instskip(NEXT) | instid1(VALU_DEP_2)
	v_and_b32_e32 v0, 0xffff0000, v4
	v_dual_lshlrev_b32 v2, 16, v4 :: v_dual_lshlrev_b32 v5, 16, v7
	v_lshlrev_b32_e32 v4, 16, v6
	s_delay_alu instid0(VALU_DEP_2) | instskip(SKIP_2) | instid1(VALU_DEP_3)
	v_pk_add_f32 v[0:1], v[2:3], v[0:1]
	v_and_b32_e32 v2, 0xffff0000, v6
	v_and_b32_e32 v3, 0xffff0000, v7
	v_add_f32_e32 v0, v0, v1
	s_delay_alu instid0(VALU_DEP_2) | instskip(NEXT) | instid1(VALU_DEP_1)
	v_pk_add_f32 v[2:3], v[4:5], v[2:3]
	v_add_f32_e32 v0, v0, v2
	s_delay_alu instid0(VALU_DEP_1) | instskip(NEXT) | instid1(VALU_DEP_1)
	v_add_f32_e32 v0, v0, v3
	v_add_f32_e32 v13, v13, v0
	scratch_store_b64 off, v[12:13], s32 offset:388 ; 8-byte Folded Spill
.LBB349_940:                            ;   in Loop: Header=BB349_941 Depth=1
	s_wait_xcnt 0x0
	s_or_b32 exec_lo, exec_lo, s9
	scratch_load_b32 v0, off, s32 offset:192 ; 4-byte Folded Reload
	v_dual_add_nc_u32 v54, 4, v54 :: v_dual_mov_b32 v2, v40
	v_add_nc_u64_e32 v[10:11], 16, v[10:11]
	v_add_nc_u32_e32 v64, 0x200, v64
	s_delay_alu instid0(VALU_DEP_3)
	v_add_nc_u32_e32 v2, 0x80, v2
	s_wait_loadcnt 0x0
	v_cmp_ge_i32_e32 vcc_lo, v54, v0
	s_or_b32 s8, vcc_lo, s8
	s_wait_xcnt 0x0
	s_and_not1_b32 exec_lo, exec_lo, s8
	s_cbranch_execz .LBB349_1866
.LBB349_941:                            ; =>This Inner Loop Header: Depth=1
	scratch_load_b64 v[0:1], off, s32 offset:204 ; 8-byte Folded Reload
	v_dual_mov_b32 v3, v27 :: v_dual_mov_b32 v40, v2
	s_wait_loadcnt 0x0
	s_delay_alu instid0(VALU_DEP_1) | instskip(NEXT) | instid1(VALU_DEP_1)
	v_mul_u64_e32 v[0:1], v[2:3], v[0:1]
	v_mul_lo_u32 v0, v1, v127
	s_delay_alu instid0(VALU_DEP_1) | instskip(NEXT) | instid1(VALU_DEP_1)
	v_dual_sub_nc_u32 v0, v2, v0 :: v_dual_add_nc_u32 v2, 1, v1
	v_cmp_ge_u32_e32 vcc_lo, v0, v127
	s_delay_alu instid0(VALU_DEP_2) | instskip(NEXT) | instid1(VALU_DEP_1)
	v_dual_sub_nc_u32 v3, v0, v127 :: v_dual_cndmask_b32 v1, v1, v2, vcc_lo
	v_dual_cndmask_b32 v0, v0, v3, vcc_lo :: v_dual_add_nc_u32 v2, 1, v1
	s_delay_alu instid0(VALU_DEP_1) | instskip(NEXT) | instid1(VALU_DEP_2)
	v_cmp_ge_u32_e32 vcc_lo, v0, v127
	v_cndmask_b32_e32 v0, v1, v2, vcc_lo
	scratch_load_b32 v1, off, s32 offset:212 ; 4-byte Folded Reload
	s_wait_loadcnt 0x0
	v_xor_b32_e32 v0, v0, v1
	s_delay_alu instid0(VALU_DEP_1) | instskip(SKIP_3) | instid1(VALU_DEP_1)
	v_sub_nc_u32_e32 v2, v0, v1
	scratch_load_b32 v0, off, s32 offset:216 ; 4-byte Folded Reload
	s_wait_loadcnt 0x0
	v_add_nc_u32_e32 v3, v2, v0
	v_sub_nc_u32_e32 v0, 0, v3
	s_delay_alu instid0(VALU_DEP_1) | instskip(SKIP_3) | instid1(VALU_DEP_1)
	v_max_i32_e32 v26, v3, v0
	scratch_load_b64 v[0:1], off, s32 offset:396 ; 8-byte Folded Reload
	s_wait_loadcnt 0x0
	v_mul_u64_e32 v[0:1], v[26:27], v[0:1]
	v_mul_lo_u32 v0, v1, v53
	s_delay_alu instid0(VALU_DEP_1) | instskip(NEXT) | instid1(VALU_DEP_1)
	v_sub_nc_u32_e32 v0, v26, v0
	v_sub_nc_u32_e32 v1, v0, v53
	v_cmp_ge_u32_e32 vcc_lo, v0, v53
	s_delay_alu instid0(VALU_DEP_2) | instskip(NEXT) | instid1(VALU_DEP_1)
	v_dual_cndmask_b32 v0, v0, v1 :: v_dual_ashrrev_i32 v3, 31, v3
	v_sub_nc_u32_e32 v1, v0, v53
	v_cmp_ge_u32_e32 vcc_lo, v0, v53
	s_delay_alu instid0(VALU_DEP_2) | instskip(NEXT) | instid1(VALU_DEP_1)
	v_cndmask_b32_e32 v0, v0, v1, vcc_lo
	v_xor_b32_e32 v0, v0, v3
	s_delay_alu instid0(VALU_DEP_1) | instskip(NEXT) | instid1(VALU_DEP_1)
	v_sub_nc_u32_e32 v0, v0, v3
	v_cmp_eq_u32_e32 vcc_lo, 0, v0
	scratch_load_b32 v0, off, s32 offset:220 ; 4-byte Folded Reload
	s_wait_loadcnt 0x0
	v_cmp_gt_i32_e64 s0, v2, v0
	s_or_b32 s0, vcc_lo, s0
	s_wait_xcnt 0x0
	s_and_saveexec_b32 s9, s0
	s_cbranch_execz .LBB349_940
; %bb.942:                              ;   in Loop: Header=BB349_941 Depth=1
	flat_load_b32 v0, v[10:11]
	s_clause 0x1
	scratch_load_b64 v[2:3], off, s32 offset:380
	scratch_load_b64 v[4:5], off, s32 offset:448
	s_wait_loadcnt_dscnt 0x0
	v_mad_nc_i64_i32 v[0:1], v0, v2, v[4:5]
	flat_load_b64 v[18:19], v[0:1]
	scratch_load_b64 v[2:3], off, s32 offset:440 ; 8-byte Folded Reload
	s_load_b32 s0, s[6:7], 0x0
	s_wait_loadcnt 0x0
	flat_load_b32 v96, v[2:3]
	s_wait_kmcnt 0x0
	v_add_nc_u32_e32 v2, s0, v64
	s_mov_b32 s0, exec_lo
	ds_load_2addr_b64 v[4:7], v2 offset1:1
	s_wait_dscnt 0x0
	scratch_store_b128 off, v[4:7], s32 offset:420 ; 16-byte Folded Spill
	s_wait_xcnt 0x0
	ds_load_2addr_b64 v[2:5], v2 offset0:2 offset1:3
	s_wait_dscnt 0x0
	scratch_store_b128 off, v[2:5], s32 offset:404 ; 16-byte Folded Spill
	s_wait_xcnt 0x0
	v_and_b32_e32 v4, 0xff, v18
	v_dual_mov_b32 v3, 0 :: v_dual_mov_b32 v2, 0
	s_delay_alu instid0(VALU_DEP_2)
	v_cmpx_ne_u16_e32 0, v4
	s_cbranch_execz .LBB349_950
; %bb.943:                              ;   in Loop: Header=BB349_941 Depth=1
	v_bfrev_b32_e32 v2, 1
	s_mov_b32 s14, exec_lo
	v_cmpx_ne_u16_e32 0x80, v4
	s_cbranch_execz .LBB349_949
; %bb.944:                              ;   in Loop: Header=BB349_941 Depth=1
	v_and_b32_e32 v4, 0x7f, v18
	v_mov_b32_e32 v2, 0x7f800001
	s_mov_b32 s15, exec_lo
	s_delay_alu instid0(VALU_DEP_2)
	v_cmpx_ne_u32_e32 0x7f, v4
	s_cbranch_execz .LBB349_948
; %bb.945:                              ;   in Loop: Header=BB349_941 Depth=1
	v_mov_b64_e32 v[22:23], v[18:19]
	v_lshrrev_b32_e32 v2, 3, v4
	s_mov_b32 s16, exec_lo
	v_cmpx_gt_u32_e32 8, v4
; %bb.946:                              ;   in Loop: Header=BB349_941 Depth=1
	v_and_b32_e32 v2, 7, v18
	s_delay_alu instid0(VALU_DEP_1) | instskip(NEXT) | instid1(VALU_DEP_1)
	v_clz_i32_u32_e32 v2, v2
	v_min_u32_e32 v2, 32, v2
	s_delay_alu instid0(VALU_DEP_1) | instskip(SKIP_1) | instid1(VALU_DEP_2)
	v_subrev_nc_u32_e32 v4, 28, v2
	v_sub_nc_u32_e32 v2, 29, v2
	v_lshlrev_b64_e32 v[22:23], v4, v[18:19]
; %bb.947:                              ;   in Loop: Header=BB349_941 Depth=1
	s_or_b32 exec_lo, exec_lo, s16
	s_delay_alu instid0(VALU_DEP_1) | instskip(SKIP_2) | instid1(VALU_DEP_3)
	v_lshlrev_b32_e32 v4, 20, v22
	v_lshlrev_b32_e32 v5, 24, v18
	v_lshl_add_u32 v2, v2, 23, 0x3c000000
	v_and_b32_e32 v4, 0x700000, v4
	s_delay_alu instid0(VALU_DEP_3) | instskip(NEXT) | instid1(VALU_DEP_1)
	v_and_b32_e32 v5, 0x80000000, v5
	v_or3_b32 v2, v4, v5, v2
.LBB349_948:                            ;   in Loop: Header=BB349_941 Depth=1
	s_or_b32 exec_lo, exec_lo, s15
.LBB349_949:                            ;   in Loop: Header=BB349_941 Depth=1
	s_delay_alu instid0(SALU_CYCLE_1)
	s_or_b32 exec_lo, exec_lo, s14
.LBB349_950:                            ;   in Loop: Header=BB349_941 Depth=1
	s_delay_alu instid0(SALU_CYCLE_1) | instskip(SKIP_2) | instid1(VALU_DEP_1)
	s_or_b32 exec_lo, exec_lo, s0
	v_lshrrev_b16 v4, 8, v18
	s_mov_b32 s0, exec_lo
	v_cmpx_ne_u16_e32 0, v4
	s_cbranch_execz .LBB349_958
; %bb.951:                              ;   in Loop: Header=BB349_941 Depth=1
	v_bfrev_b32_e32 v3, 1
	s_mov_b32 s14, exec_lo
	v_cmpx_ne_u16_e32 0x80, v4
	s_cbranch_execz .LBB349_957
; %bb.952:                              ;   in Loop: Header=BB349_941 Depth=1
	v_and_b32_e32 v5, 0xffff, v4
	v_mov_b32_e32 v3, 0x7f800001
	s_mov_b32 s15, exec_lo
	s_delay_alu instid0(VALU_DEP_2) | instskip(NEXT) | instid1(VALU_DEP_1)
	v_and_b32_e32 v4, 0x7f, v5
	v_cmpx_ne_u32_e32 0x7f, v4
	s_cbranch_execz .LBB349_956
; %bb.953:                              ;   in Loop: Header=BB349_941 Depth=1
	v_dual_lshrrev_b32 v3, 3, v4 :: v_dual_bitop2_b32 v26, 7, v5 bitop3:0x40
	s_mov_b32 s16, exec_lo
	v_cmpx_gt_u32_e32 8, v4
; %bb.954:                              ;   in Loop: Header=BB349_941 Depth=1
	s_delay_alu instid0(VALU_DEP_2) | instskip(NEXT) | instid1(VALU_DEP_1)
	v_clz_i32_u32_e32 v3, v26
	v_min_u32_e32 v3, 32, v3
	s_delay_alu instid0(VALU_DEP_1) | instskip(NEXT) | instid1(VALU_DEP_1)
	v_subrev_nc_u32_e32 v4, 28, v3
	v_lshlrev_b64_e32 v[4:5], v4, v[26:27]
	s_delay_alu instid0(VALU_DEP_1)
	v_dual_sub_nc_u32 v3, 29, v3 :: v_dual_bitop2_b32 v26, 7, v4 bitop3:0x40
; %bb.955:                              ;   in Loop: Header=BB349_941 Depth=1
	s_or_b32 exec_lo, exec_lo, s16
	v_lshlrev_b32_e32 v4, 16, v18
	s_delay_alu instid0(VALU_DEP_2) | instskip(NEXT) | instid1(VALU_DEP_3)
	v_lshlrev_b32_e32 v5, 20, v26
	v_lshl_add_u32 v3, v3, 23, 0x3c000000
	s_delay_alu instid0(VALU_DEP_3) | instskip(NEXT) | instid1(VALU_DEP_1)
	v_and_b32_e32 v4, 0x80000000, v4
	v_or3_b32 v3, v5, v4, v3
.LBB349_956:                            ;   in Loop: Header=BB349_941 Depth=1
	s_or_b32 exec_lo, exec_lo, s15
.LBB349_957:                            ;   in Loop: Header=BB349_941 Depth=1
	s_delay_alu instid0(SALU_CYCLE_1)
	s_or_b32 exec_lo, exec_lo, s14
.LBB349_958:                            ;   in Loop: Header=BB349_941 Depth=1
	s_delay_alu instid0(SALU_CYCLE_1) | instskip(SKIP_3) | instid1(VALU_DEP_2)
	s_or_b32 exec_lo, exec_lo, s0
	v_dual_mov_b32 v5, 0 :: v_dual_lshrrev_b32 v6, 16, v18
	v_mov_b32_e32 v4, 0
	s_mov_b32 s0, exec_lo
	v_and_b32_e32 v7, 0xff, v6
	s_delay_alu instid0(VALU_DEP_1)
	v_cmpx_ne_u16_e32 0, v7
	s_cbranch_execz .LBB349_966
; %bb.959:                              ;   in Loop: Header=BB349_941 Depth=1
	v_bfrev_b32_e32 v4, 1
	s_mov_b32 s14, exec_lo
	v_cmpx_ne_u16_e32 0x80, v7
	s_cbranch_execz .LBB349_965
; %bb.960:                              ;   in Loop: Header=BB349_941 Depth=1
	v_bfe_u32 v7, v18, 16, 7
	v_mov_b32_e32 v4, 0x7f800001
	s_mov_b32 s15, exec_lo
	s_delay_alu instid0(VALU_DEP_2)
	v_cmpx_ne_u32_e32 0x7f, v7
	s_cbranch_execz .LBB349_964
; %bb.961:                              ;   in Loop: Header=BB349_941 Depth=1
	v_dual_lshrrev_b32 v4, 3, v7 :: v_dual_bitop2_b32 v26, 7, v6 bitop3:0x40
	s_mov_b32 s16, exec_lo
	v_cmpx_gt_u32_e32 8, v7
; %bb.962:                              ;   in Loop: Header=BB349_941 Depth=1
	s_delay_alu instid0(VALU_DEP_2) | instskip(NEXT) | instid1(VALU_DEP_1)
	v_clz_i32_u32_e32 v4, v26
	v_min_u32_e32 v4, 32, v4
	s_delay_alu instid0(VALU_DEP_1) | instskip(SKIP_1) | instid1(VALU_DEP_2)
	v_subrev_nc_u32_e32 v7, 28, v4
	v_sub_nc_u32_e32 v4, 29, v4
	v_lshlrev_b64_e32 v[8:9], v7, v[26:27]
	s_delay_alu instid0(VALU_DEP_1)
	v_and_b32_e32 v26, 7, v8
; %bb.963:                              ;   in Loop: Header=BB349_941 Depth=1
	s_or_b32 exec_lo, exec_lo, s16
	v_lshlrev_b32_e32 v6, 24, v6
	s_delay_alu instid0(VALU_DEP_2) | instskip(SKIP_1) | instid1(VALU_DEP_3)
	v_lshlrev_b32_e32 v7, 20, v26
	v_lshl_add_u32 v4, v4, 23, 0x3c000000
	v_and_b32_e32 v6, 0x80000000, v6
	s_delay_alu instid0(VALU_DEP_1)
	v_or3_b32 v4, v7, v6, v4
.LBB349_964:                            ;   in Loop: Header=BB349_941 Depth=1
	s_or_b32 exec_lo, exec_lo, s15
.LBB349_965:                            ;   in Loop: Header=BB349_941 Depth=1
	s_delay_alu instid0(SALU_CYCLE_1)
	s_or_b32 exec_lo, exec_lo, s14
.LBB349_966:                            ;   in Loop: Header=BB349_941 Depth=1
	s_delay_alu instid0(SALU_CYCLE_1) | instskip(NEXT) | instid1(SALU_CYCLE_1)
	s_or_b32 exec_lo, exec_lo, s0
	s_mov_b32 s0, exec_lo
	v_cmpx_lt_u32_e32 0xffffff, v18
	s_cbranch_execz .LBB349_974
; %bb.967:                              ;   in Loop: Header=BB349_941 Depth=1
	v_lshrrev_b32_e32 v6, 24, v18
	v_bfrev_b32_e32 v5, 1
	s_mov_b32 s14, exec_lo
	s_delay_alu instid0(VALU_DEP_2)
	v_cmpx_ne_u32_e32 0x80, v6
	s_cbranch_execz .LBB349_973
; %bb.968:                              ;   in Loop: Header=BB349_941 Depth=1
	v_bfe_u32 v7, v18, 24, 7
	v_mov_b32_e32 v5, 0x7f800001
	s_mov_b32 s15, exec_lo
	s_delay_alu instid0(VALU_DEP_2)
	v_cmpx_ne_u32_e32 0x7f, v7
	s_cbranch_execz .LBB349_972
; %bb.969:                              ;   in Loop: Header=BB349_941 Depth=1
	v_dual_lshrrev_b32 v5, 3, v7 :: v_dual_bitop2_b32 v26, 7, v6 bitop3:0x40
	s_mov_b32 s16, exec_lo
	v_cmpx_gt_u32_e32 8, v7
; %bb.970:                              ;   in Loop: Header=BB349_941 Depth=1
	s_delay_alu instid0(VALU_DEP_2) | instskip(NEXT) | instid1(VALU_DEP_1)
	v_clz_i32_u32_e32 v5, v26
	v_min_u32_e32 v5, 32, v5
	s_delay_alu instid0(VALU_DEP_1) | instskip(NEXT) | instid1(VALU_DEP_1)
	v_subrev_nc_u32_e32 v7, 28, v5
	v_lshlrev_b64_e32 v[8:9], v7, v[26:27]
	s_delay_alu instid0(VALU_DEP_1)
	v_dual_sub_nc_u32 v5, 29, v5 :: v_dual_bitop2_b32 v26, 7, v8 bitop3:0x40
; %bb.971:                              ;   in Loop: Header=BB349_941 Depth=1
	s_or_b32 exec_lo, exec_lo, s16
	v_lshlrev_b32_e32 v6, 24, v6
	s_delay_alu instid0(VALU_DEP_2) | instskip(NEXT) | instid1(VALU_DEP_3)
	v_lshlrev_b32_e32 v7, 20, v26
	v_lshl_add_u32 v5, v5, 23, 0x3c000000
	s_delay_alu instid0(VALU_DEP_3) | instskip(NEXT) | instid1(VALU_DEP_1)
	v_and_b32_e32 v6, 0x80000000, v6
	v_or3_b32 v5, v7, v6, v5
.LBB349_972:                            ;   in Loop: Header=BB349_941 Depth=1
	s_or_b32 exec_lo, exec_lo, s15
.LBB349_973:                            ;   in Loop: Header=BB349_941 Depth=1
	s_delay_alu instid0(SALU_CYCLE_1)
	s_or_b32 exec_lo, exec_lo, s14
.LBB349_974:                            ;   in Loop: Header=BB349_941 Depth=1
	s_delay_alu instid0(SALU_CYCLE_1) | instskip(SKIP_4) | instid1(VALU_DEP_3)
	s_or_b32 exec_lo, exec_lo, s0
	v_and_b32_e32 v8, 0xff, v19
	v_dual_mov_b32 v26, v19 :: v_dual_mov_b32 v7, 0
	v_mov_b32_e32 v6, 0
	s_mov_b32 s0, exec_lo
	v_cmpx_ne_u16_e32 0, v8
	s_cbranch_execz .LBB349_982
; %bb.975:                              ;   in Loop: Header=BB349_941 Depth=1
	v_bfrev_b32_e32 v6, 1
	s_mov_b32 s14, exec_lo
	v_cmpx_ne_u16_e32 0x80, v8
	s_cbranch_execz .LBB349_981
; %bb.976:                              ;   in Loop: Header=BB349_941 Depth=1
	v_and_b32_e32 v8, 0x7f, v19
	v_mov_b32_e32 v6, 0x7f800001
	s_mov_b32 s15, exec_lo
	s_delay_alu instid0(VALU_DEP_2)
	v_cmpx_ne_u32_e32 0x7f, v8
	s_cbranch_execz .LBB349_980
; %bb.977:                              ;   in Loop: Header=BB349_941 Depth=1
	v_mov_b64_e32 v[22:23], v[26:27]
	v_lshrrev_b32_e32 v6, 3, v8
	s_mov_b32 s16, exec_lo
	v_cmpx_gt_u32_e32 8, v8
; %bb.978:                              ;   in Loop: Header=BB349_941 Depth=1
	v_and_b32_e32 v6, 7, v19
	s_delay_alu instid0(VALU_DEP_1) | instskip(NEXT) | instid1(VALU_DEP_1)
	v_clz_i32_u32_e32 v6, v6
	v_min_u32_e32 v6, 32, v6
	s_delay_alu instid0(VALU_DEP_1) | instskip(SKIP_1) | instid1(VALU_DEP_2)
	v_subrev_nc_u32_e32 v8, 28, v6
	v_sub_nc_u32_e32 v6, 29, v6
	v_lshlrev_b64_e32 v[22:23], v8, v[26:27]
; %bb.979:                              ;   in Loop: Header=BB349_941 Depth=1
	s_or_b32 exec_lo, exec_lo, s16
	s_delay_alu instid0(VALU_DEP_1) | instskip(SKIP_2) | instid1(VALU_DEP_3)
	v_lshlrev_b32_e32 v8, 20, v22
	v_lshlrev_b32_e32 v9, 24, v26
	v_lshl_add_u32 v6, v6, 23, 0x3c000000
	v_and_b32_e32 v8, 0x700000, v8
	s_delay_alu instid0(VALU_DEP_3) | instskip(NEXT) | instid1(VALU_DEP_1)
	v_and_b32_e32 v9, 0x80000000, v9
	v_or3_b32 v6, v8, v9, v6
.LBB349_980:                            ;   in Loop: Header=BB349_941 Depth=1
	s_or_b32 exec_lo, exec_lo, s15
.LBB349_981:                            ;   in Loop: Header=BB349_941 Depth=1
	s_delay_alu instid0(SALU_CYCLE_1)
	s_or_b32 exec_lo, exec_lo, s14
.LBB349_982:                            ;   in Loop: Header=BB349_941 Depth=1
	s_delay_alu instid0(SALU_CYCLE_1) | instskip(SKIP_2) | instid1(VALU_DEP_1)
	s_or_b32 exec_lo, exec_lo, s0
	v_lshrrev_b16 v8, 8, v26
	s_mov_b32 s0, exec_lo
	v_cmpx_ne_u16_e32 0, v8
	s_cbranch_execz .LBB349_990
; %bb.983:                              ;   in Loop: Header=BB349_941 Depth=1
	v_bfrev_b32_e32 v7, 1
	s_mov_b32 s14, exec_lo
	v_cmpx_ne_u16_e32 0x80, v8
	s_cbranch_execz .LBB349_989
; %bb.984:                              ;   in Loop: Header=BB349_941 Depth=1
	v_and_b32_e32 v9, 0xffff, v8
	v_mov_b32_e32 v7, 0x7f800001
	s_mov_b32 s15, exec_lo
	s_delay_alu instid0(VALU_DEP_2) | instskip(NEXT) | instid1(VALU_DEP_1)
	v_and_b32_e32 v8, 0x7f, v9
	v_cmpx_ne_u32_e32 0x7f, v8
	s_cbranch_execz .LBB349_988
; %bb.985:                              ;   in Loop: Header=BB349_941 Depth=1
	v_dual_mov_b32 v23, v27 :: v_dual_bitop2_b32 v22, 7, v9 bitop3:0x40
	v_lshrrev_b32_e32 v7, 3, v8
	s_mov_b32 s16, exec_lo
	v_cmpx_gt_u32_e32 8, v8
; %bb.986:                              ;   in Loop: Header=BB349_941 Depth=1
	s_delay_alu instid0(VALU_DEP_3) | instskip(NEXT) | instid1(VALU_DEP_1)
	v_clz_i32_u32_e32 v7, v22
	v_min_u32_e32 v7, 32, v7
	s_delay_alu instid0(VALU_DEP_1) | instskip(NEXT) | instid1(VALU_DEP_1)
	v_subrev_nc_u32_e32 v8, 28, v7
	v_lshlrev_b64_e32 v[8:9], v8, v[22:23]
	s_delay_alu instid0(VALU_DEP_1)
	v_dual_sub_nc_u32 v7, 29, v7 :: v_dual_bitop2_b32 v22, 7, v8 bitop3:0x40
; %bb.987:                              ;   in Loop: Header=BB349_941 Depth=1
	s_or_b32 exec_lo, exec_lo, s16
	v_lshlrev_b32_e32 v8, 16, v26
	s_delay_alu instid0(VALU_DEP_2) | instskip(NEXT) | instid1(VALU_DEP_3)
	v_lshlrev_b32_e32 v9, 20, v22
	v_lshl_add_u32 v7, v7, 23, 0x3c000000
	s_delay_alu instid0(VALU_DEP_3) | instskip(NEXT) | instid1(VALU_DEP_1)
	v_and_b32_e32 v8, 0x80000000, v8
	v_or3_b32 v7, v9, v8, v7
.LBB349_988:                            ;   in Loop: Header=BB349_941 Depth=1
	s_or_b32 exec_lo, exec_lo, s15
.LBB349_989:                            ;   in Loop: Header=BB349_941 Depth=1
	s_delay_alu instid0(SALU_CYCLE_1)
	s_or_b32 exec_lo, exec_lo, s14
.LBB349_990:                            ;   in Loop: Header=BB349_941 Depth=1
	s_delay_alu instid0(SALU_CYCLE_1) | instskip(SKIP_3) | instid1(VALU_DEP_2)
	s_or_b32 exec_lo, exec_lo, s0
	v_dual_lshrrev_b32 v16, 16, v19 :: v_dual_mov_b32 v8, 0
	v_mov_b32_e32 v9, 0
	s_mov_b32 s0, exec_lo
	v_and_b32_e32 v17, 0xff, v16
	s_delay_alu instid0(VALU_DEP_1)
	v_cmpx_ne_u16_e32 0, v17
	s_cbranch_execz .LBB349_998
; %bb.991:                              ;   in Loop: Header=BB349_941 Depth=1
	v_bfrev_b32_e32 v9, 1
	s_mov_b32 s14, exec_lo
	v_cmpx_ne_u16_e32 0x80, v17
	s_cbranch_execz .LBB349_997
; %bb.992:                              ;   in Loop: Header=BB349_941 Depth=1
	v_bfe_u32 v17, v19, 16, 7
	v_mov_b32_e32 v9, 0x7f800001
	s_mov_b32 s15, exec_lo
	s_delay_alu instid0(VALU_DEP_2)
	v_cmpx_ne_u32_e32 0x7f, v17
	s_cbranch_execz .LBB349_996
; %bb.993:                              ;   in Loop: Header=BB349_941 Depth=1
	v_dual_lshrrev_b32 v9, 3, v17 :: v_dual_bitop2_b32 v26, 7, v16 bitop3:0x40
	s_mov_b32 s16, exec_lo
	v_cmpx_gt_u32_e32 8, v17
; %bb.994:                              ;   in Loop: Header=BB349_941 Depth=1
	s_delay_alu instid0(VALU_DEP_2) | instskip(NEXT) | instid1(VALU_DEP_1)
	v_clz_i32_u32_e32 v9, v26
	v_min_u32_e32 v9, 32, v9
	s_delay_alu instid0(VALU_DEP_1) | instskip(NEXT) | instid1(VALU_DEP_1)
	v_subrev_nc_u32_e32 v17, 28, v9
	v_lshlrev_b64_e32 v[22:23], v17, v[26:27]
	s_delay_alu instid0(VALU_DEP_1)
	v_dual_sub_nc_u32 v9, 29, v9 :: v_dual_bitop2_b32 v26, 7, v22 bitop3:0x40
; %bb.995:                              ;   in Loop: Header=BB349_941 Depth=1
	s_or_b32 exec_lo, exec_lo, s16
	s_delay_alu instid0(VALU_DEP_1) | instskip(NEXT) | instid1(VALU_DEP_2)
	v_dual_lshlrev_b32 v16, 24, v16 :: v_dual_lshlrev_b32 v17, 20, v26
	v_lshl_add_u32 v9, v9, 23, 0x3c000000
	s_delay_alu instid0(VALU_DEP_2) | instskip(NEXT) | instid1(VALU_DEP_1)
	v_and_b32_e32 v16, 0x80000000, v16
	v_or3_b32 v9, v17, v16, v9
.LBB349_996:                            ;   in Loop: Header=BB349_941 Depth=1
	s_or_b32 exec_lo, exec_lo, s15
.LBB349_997:                            ;   in Loop: Header=BB349_941 Depth=1
	s_delay_alu instid0(SALU_CYCLE_1)
	s_or_b32 exec_lo, exec_lo, s14
.LBB349_998:                            ;   in Loop: Header=BB349_941 Depth=1
	s_delay_alu instid0(SALU_CYCLE_1) | instskip(NEXT) | instid1(SALU_CYCLE_1)
	s_or_b32 exec_lo, exec_lo, s0
	s_mov_b32 s0, exec_lo
	v_cmpx_lt_u64_e64 s[2:3], v[18:19]
	s_cbranch_execz .LBB349_1006
; %bb.999:                              ;   in Loop: Header=BB349_941 Depth=1
	v_lshrrev_b32_e32 v16, 24, v19
	v_bfrev_b32_e32 v8, 1
	s_mov_b32 s14, exec_lo
	s_delay_alu instid0(VALU_DEP_2)
	v_cmpx_ne_u32_e32 0x80, v16
	s_cbranch_execz .LBB349_1005
; %bb.1000:                             ;   in Loop: Header=BB349_941 Depth=1
	v_bfe_u32 v17, v19, 24, 7
	v_mov_b32_e32 v8, 0x7f800001
	s_mov_b32 s15, exec_lo
	s_delay_alu instid0(VALU_DEP_2)
	v_cmpx_ne_u32_e32 0x7f, v17
	s_cbranch_execz .LBB349_1004
; %bb.1001:                             ;   in Loop: Header=BB349_941 Depth=1
	v_dual_lshrrev_b32 v8, 3, v17 :: v_dual_bitop2_b32 v26, 7, v16 bitop3:0x40
	s_mov_b32 s16, exec_lo
	v_cmpx_gt_u32_e32 8, v17
; %bb.1002:                             ;   in Loop: Header=BB349_941 Depth=1
	s_delay_alu instid0(VALU_DEP_2) | instskip(NEXT) | instid1(VALU_DEP_1)
	v_clz_i32_u32_e32 v8, v26
	v_min_u32_e32 v8, 32, v8
	s_delay_alu instid0(VALU_DEP_1) | instskip(NEXT) | instid1(VALU_DEP_1)
	v_subrev_nc_u32_e32 v17, 28, v8
	v_lshlrev_b64_e32 v[18:19], v17, v[26:27]
	s_delay_alu instid0(VALU_DEP_1)
	v_dual_sub_nc_u32 v8, 29, v8 :: v_dual_bitop2_b32 v26, 7, v18 bitop3:0x40
; %bb.1003:                             ;   in Loop: Header=BB349_941 Depth=1
	s_or_b32 exec_lo, exec_lo, s16
	s_delay_alu instid0(VALU_DEP_1) | instskip(NEXT) | instid1(VALU_DEP_2)
	v_dual_lshlrev_b32 v16, 24, v16 :: v_dual_lshlrev_b32 v17, 20, v26
	v_lshl_add_u32 v8, v8, 23, 0x3c000000
	s_delay_alu instid0(VALU_DEP_2) | instskip(NEXT) | instid1(VALU_DEP_1)
	v_and_b32_e32 v16, 0x80000000, v16
	v_or3_b32 v8, v17, v16, v8
.LBB349_1004:                           ;   in Loop: Header=BB349_941 Depth=1
	s_or_b32 exec_lo, exec_lo, s15
.LBB349_1005:                           ;   in Loop: Header=BB349_941 Depth=1
	s_delay_alu instid0(SALU_CYCLE_1)
	s_or_b32 exec_lo, exec_lo, s14
.LBB349_1006:                           ;   in Loop: Header=BB349_941 Depth=1
	s_delay_alu instid0(SALU_CYCLE_1)
	s_or_b32 exec_lo, exec_lo, s0
	s_clause 0x1
	scratch_load_b32 v16, off, s32 offset:192
	scratch_load_b32 v12, off, s32 offset:456
	s_wait_loadcnt 0x2
	v_fma_mixlo_bf16 v43, v96, v7, 0
	v_fma_mixlo_bf16 v41, v96, v6, 0
	;; [unrolled: 1-line block ×8, first 2 shown]
	s_wait_loadcnt 0x1
	v_add_nc_u32_e32 v16, -1, v16
	s_wait_loadcnt 0x0
	v_add_nc_u32_e32 v100, v12, v40
	s_delay_alu instid0(VALU_DEP_2) | instskip(NEXT) | instid1(VALU_DEP_2)
	v_cmp_eq_u32_e32 vcc_lo, v16, v54
	v_dual_add_nc_u32 v112, 1, v100 :: v_dual_add_nc_u32 v103, 2, v100
	v_dual_add_nc_u32 v102, 3, v100 :: v_dual_add_nc_u32 v101, 4, v100
	;; [unrolled: 1-line block ×3, first 2 shown]
	v_add_nc_u32_e32 v97, 7, v100
	s_wait_xcnt 0x0
	s_and_saveexec_b32 s14, vcc_lo
	s_cbranch_execz .LBB349_1008
; %bb.1007:                             ;   in Loop: Header=BB349_941 Depth=1
	v_cmp_lt_i32_e64 s0, v100, v126
	s_delay_alu instid0(VALU_DEP_1) | instskip(SKIP_1) | instid1(VALU_DEP_1)
	v_cndmask_b32_e64 v57, 0, v57, s0
	v_cmp_lt_i32_e64 s0, v112, v126
	v_cndmask_b32_e64 v56, 0, v56, s0
	v_cmp_lt_i32_e64 s0, v103, v126
	s_delay_alu instid0(VALU_DEP_1) | instskip(SKIP_1) | instid1(VALU_DEP_1)
	v_cndmask_b32_e64 v47, 0, v47, s0
	v_cmp_lt_i32_e64 s0, v102, v126
	v_cndmask_b32_e64 v46, 0, v46, s0
	v_cmp_lt_i32_e64 s0, v101, v126
	s_delay_alu instid0(VALU_DEP_1) | instskip(SKIP_1) | instid1(VALU_DEP_1)
	v_cndmask_b32_e64 v41, 0, v41, s0
	v_cmp_lt_i32_e64 s0, v99, v126
	v_cndmask_b32_e64 v43, 0, v43, s0
	v_cmp_lt_i32_e64 s0, v98, v126
	s_delay_alu instid0(VALU_DEP_1) | instskip(SKIP_1) | instid1(VALU_DEP_1)
	v_cndmask_b32_e64 v44, 0, v44, s0
	v_cmp_lt_i32_e64 s0, v97, v126
	v_cndmask_b32_e64 v45, 0, v45, s0
.LBB349_1008:                           ;   in Loop: Header=BB349_941 Depth=1
	s_or_b32 exec_lo, exec_lo, s14
	flat_load_b64 v[18:19], v[0:1] offset:256
	v_dual_mov_b32 v3, 0 :: v_dual_mov_b32 v2, 0
	s_mov_b32 s14, exec_lo
	s_wait_loadcnt_dscnt 0x0
	v_and_b32_e32 v4, 0xff, v18
	s_wait_xcnt 0x0
	s_delay_alu instid0(VALU_DEP_1)
	v_cmpx_ne_u16_e32 0, v4
	s_cbranch_execz .LBB349_1016
; %bb.1009:                             ;   in Loop: Header=BB349_941 Depth=1
	v_bfrev_b32_e32 v2, 1
	s_mov_b32 s15, exec_lo
	v_cmpx_ne_u16_e32 0x80, v4
	s_cbranch_execz .LBB349_1015
; %bb.1010:                             ;   in Loop: Header=BB349_941 Depth=1
	v_and_b32_e32 v4, 0x7f, v18
	v_mov_b32_e32 v2, 0x7f800001
	s_mov_b32 s16, exec_lo
	s_delay_alu instid0(VALU_DEP_2)
	v_cmpx_ne_u32_e32 0x7f, v4
	s_cbranch_execz .LBB349_1014
; %bb.1011:                             ;   in Loop: Header=BB349_941 Depth=1
	v_mov_b64_e32 v[22:23], v[18:19]
	v_lshrrev_b32_e32 v2, 3, v4
	s_mov_b32 s17, exec_lo
	v_cmpx_gt_u32_e32 8, v4
; %bb.1012:                             ;   in Loop: Header=BB349_941 Depth=1
	v_and_b32_e32 v2, 7, v18
	s_delay_alu instid0(VALU_DEP_1) | instskip(NEXT) | instid1(VALU_DEP_1)
	v_clz_i32_u32_e32 v2, v2
	v_min_u32_e32 v2, 32, v2
	s_delay_alu instid0(VALU_DEP_1) | instskip(SKIP_1) | instid1(VALU_DEP_2)
	v_subrev_nc_u32_e32 v4, 28, v2
	v_sub_nc_u32_e32 v2, 29, v2
	v_lshlrev_b64_e32 v[22:23], v4, v[18:19]
; %bb.1013:                             ;   in Loop: Header=BB349_941 Depth=1
	s_or_b32 exec_lo, exec_lo, s17
	s_delay_alu instid0(VALU_DEP_1) | instskip(SKIP_2) | instid1(VALU_DEP_3)
	v_lshlrev_b32_e32 v4, 20, v22
	v_lshlrev_b32_e32 v5, 24, v18
	v_lshl_add_u32 v2, v2, 23, 0x3c000000
	v_and_b32_e32 v4, 0x700000, v4
	s_delay_alu instid0(VALU_DEP_3) | instskip(NEXT) | instid1(VALU_DEP_1)
	v_and_b32_e32 v5, 0x80000000, v5
	v_or3_b32 v2, v4, v5, v2
.LBB349_1014:                           ;   in Loop: Header=BB349_941 Depth=1
	s_or_b32 exec_lo, exec_lo, s16
.LBB349_1015:                           ;   in Loop: Header=BB349_941 Depth=1
	s_delay_alu instid0(SALU_CYCLE_1)
	s_or_b32 exec_lo, exec_lo, s15
.LBB349_1016:                           ;   in Loop: Header=BB349_941 Depth=1
	s_delay_alu instid0(SALU_CYCLE_1) | instskip(SKIP_2) | instid1(VALU_DEP_1)
	s_or_b32 exec_lo, exec_lo, s14
	v_lshrrev_b16 v4, 8, v18
	s_mov_b32 s14, exec_lo
	v_cmpx_ne_u16_e32 0, v4
	s_cbranch_execz .LBB349_1024
; %bb.1017:                             ;   in Loop: Header=BB349_941 Depth=1
	v_bfrev_b32_e32 v3, 1
	s_mov_b32 s15, exec_lo
	v_cmpx_ne_u16_e32 0x80, v4
	s_cbranch_execz .LBB349_1023
; %bb.1018:                             ;   in Loop: Header=BB349_941 Depth=1
	v_and_b32_e32 v5, 0xffff, v4
	v_mov_b32_e32 v3, 0x7f800001
	s_mov_b32 s16, exec_lo
	s_delay_alu instid0(VALU_DEP_2) | instskip(NEXT) | instid1(VALU_DEP_1)
	v_and_b32_e32 v4, 0x7f, v5
	v_cmpx_ne_u32_e32 0x7f, v4
	s_cbranch_execz .LBB349_1022
; %bb.1019:                             ;   in Loop: Header=BB349_941 Depth=1
	v_dual_lshrrev_b32 v3, 3, v4 :: v_dual_bitop2_b32 v26, 7, v5 bitop3:0x40
	s_mov_b32 s17, exec_lo
	v_cmpx_gt_u32_e32 8, v4
; %bb.1020:                             ;   in Loop: Header=BB349_941 Depth=1
	s_delay_alu instid0(VALU_DEP_2) | instskip(NEXT) | instid1(VALU_DEP_1)
	v_clz_i32_u32_e32 v3, v26
	v_min_u32_e32 v3, 32, v3
	s_delay_alu instid0(VALU_DEP_1) | instskip(NEXT) | instid1(VALU_DEP_1)
	v_subrev_nc_u32_e32 v4, 28, v3
	v_lshlrev_b64_e32 v[4:5], v4, v[26:27]
	s_delay_alu instid0(VALU_DEP_1)
	v_dual_sub_nc_u32 v3, 29, v3 :: v_dual_bitop2_b32 v26, 7, v4 bitop3:0x40
; %bb.1021:                             ;   in Loop: Header=BB349_941 Depth=1
	s_or_b32 exec_lo, exec_lo, s17
	v_lshlrev_b32_e32 v4, 16, v18
	s_delay_alu instid0(VALU_DEP_2) | instskip(NEXT) | instid1(VALU_DEP_3)
	v_lshlrev_b32_e32 v5, 20, v26
	v_lshl_add_u32 v3, v3, 23, 0x3c000000
	s_delay_alu instid0(VALU_DEP_3) | instskip(NEXT) | instid1(VALU_DEP_1)
	v_and_b32_e32 v4, 0x80000000, v4
	v_or3_b32 v3, v5, v4, v3
.LBB349_1022:                           ;   in Loop: Header=BB349_941 Depth=1
	s_or_b32 exec_lo, exec_lo, s16
.LBB349_1023:                           ;   in Loop: Header=BB349_941 Depth=1
	s_delay_alu instid0(SALU_CYCLE_1)
	s_or_b32 exec_lo, exec_lo, s15
.LBB349_1024:                           ;   in Loop: Header=BB349_941 Depth=1
	s_delay_alu instid0(SALU_CYCLE_1) | instskip(SKIP_3) | instid1(VALU_DEP_2)
	s_or_b32 exec_lo, exec_lo, s14
	v_dual_mov_b32 v5, 0 :: v_dual_lshrrev_b32 v6, 16, v18
	v_mov_b32_e32 v4, 0
	s_mov_b32 s14, exec_lo
	v_and_b32_e32 v7, 0xff, v6
	s_delay_alu instid0(VALU_DEP_1)
	v_cmpx_ne_u16_e32 0, v7
	s_cbranch_execz .LBB349_1032
; %bb.1025:                             ;   in Loop: Header=BB349_941 Depth=1
	v_bfrev_b32_e32 v4, 1
	s_mov_b32 s15, exec_lo
	v_cmpx_ne_u16_e32 0x80, v7
	s_cbranch_execz .LBB349_1031
; %bb.1026:                             ;   in Loop: Header=BB349_941 Depth=1
	v_bfe_u32 v7, v18, 16, 7
	v_mov_b32_e32 v4, 0x7f800001
	s_mov_b32 s16, exec_lo
	s_delay_alu instid0(VALU_DEP_2)
	v_cmpx_ne_u32_e32 0x7f, v7
	s_cbranch_execz .LBB349_1030
; %bb.1027:                             ;   in Loop: Header=BB349_941 Depth=1
	v_dual_lshrrev_b32 v4, 3, v7 :: v_dual_bitop2_b32 v26, 7, v6 bitop3:0x40
	s_mov_b32 s17, exec_lo
	v_cmpx_gt_u32_e32 8, v7
; %bb.1028:                             ;   in Loop: Header=BB349_941 Depth=1
	s_delay_alu instid0(VALU_DEP_2) | instskip(NEXT) | instid1(VALU_DEP_1)
	v_clz_i32_u32_e32 v4, v26
	v_min_u32_e32 v4, 32, v4
	s_delay_alu instid0(VALU_DEP_1) | instskip(SKIP_1) | instid1(VALU_DEP_2)
	v_subrev_nc_u32_e32 v7, 28, v4
	v_sub_nc_u32_e32 v4, 29, v4
	v_lshlrev_b64_e32 v[8:9], v7, v[26:27]
	s_delay_alu instid0(VALU_DEP_1)
	v_and_b32_e32 v26, 7, v8
; %bb.1029:                             ;   in Loop: Header=BB349_941 Depth=1
	s_or_b32 exec_lo, exec_lo, s17
	v_lshlrev_b32_e32 v6, 24, v6
	s_delay_alu instid0(VALU_DEP_2) | instskip(SKIP_1) | instid1(VALU_DEP_3)
	v_lshlrev_b32_e32 v7, 20, v26
	v_lshl_add_u32 v4, v4, 23, 0x3c000000
	v_and_b32_e32 v6, 0x80000000, v6
	s_delay_alu instid0(VALU_DEP_1)
	v_or3_b32 v4, v7, v6, v4
.LBB349_1030:                           ;   in Loop: Header=BB349_941 Depth=1
	s_or_b32 exec_lo, exec_lo, s16
.LBB349_1031:                           ;   in Loop: Header=BB349_941 Depth=1
	s_delay_alu instid0(SALU_CYCLE_1)
	s_or_b32 exec_lo, exec_lo, s15
.LBB349_1032:                           ;   in Loop: Header=BB349_941 Depth=1
	s_delay_alu instid0(SALU_CYCLE_1) | instskip(NEXT) | instid1(SALU_CYCLE_1)
	s_or_b32 exec_lo, exec_lo, s14
	s_mov_b32 s14, exec_lo
	v_cmpx_lt_u32_e32 0xffffff, v18
	s_cbranch_execz .LBB349_1040
; %bb.1033:                             ;   in Loop: Header=BB349_941 Depth=1
	v_lshrrev_b32_e32 v6, 24, v18
	v_bfrev_b32_e32 v5, 1
	s_mov_b32 s15, exec_lo
	s_delay_alu instid0(VALU_DEP_2)
	v_cmpx_ne_u32_e32 0x80, v6
	s_cbranch_execz .LBB349_1039
; %bb.1034:                             ;   in Loop: Header=BB349_941 Depth=1
	v_bfe_u32 v7, v18, 24, 7
	v_mov_b32_e32 v5, 0x7f800001
	s_mov_b32 s16, exec_lo
	s_delay_alu instid0(VALU_DEP_2)
	v_cmpx_ne_u32_e32 0x7f, v7
	s_cbranch_execz .LBB349_1038
; %bb.1035:                             ;   in Loop: Header=BB349_941 Depth=1
	v_dual_lshrrev_b32 v5, 3, v7 :: v_dual_bitop2_b32 v26, 7, v6 bitop3:0x40
	s_mov_b32 s17, exec_lo
	v_cmpx_gt_u32_e32 8, v7
; %bb.1036:                             ;   in Loop: Header=BB349_941 Depth=1
	s_delay_alu instid0(VALU_DEP_2) | instskip(NEXT) | instid1(VALU_DEP_1)
	v_clz_i32_u32_e32 v5, v26
	v_min_u32_e32 v5, 32, v5
	s_delay_alu instid0(VALU_DEP_1) | instskip(NEXT) | instid1(VALU_DEP_1)
	v_subrev_nc_u32_e32 v7, 28, v5
	v_lshlrev_b64_e32 v[8:9], v7, v[26:27]
	s_delay_alu instid0(VALU_DEP_1)
	v_dual_sub_nc_u32 v5, 29, v5 :: v_dual_bitop2_b32 v26, 7, v8 bitop3:0x40
; %bb.1037:                             ;   in Loop: Header=BB349_941 Depth=1
	s_or_b32 exec_lo, exec_lo, s17
	v_lshlrev_b32_e32 v6, 24, v6
	s_delay_alu instid0(VALU_DEP_2) | instskip(NEXT) | instid1(VALU_DEP_3)
	v_lshlrev_b32_e32 v7, 20, v26
	v_lshl_add_u32 v5, v5, 23, 0x3c000000
	s_delay_alu instid0(VALU_DEP_3) | instskip(NEXT) | instid1(VALU_DEP_1)
	v_and_b32_e32 v6, 0x80000000, v6
	v_or3_b32 v5, v7, v6, v5
.LBB349_1038:                           ;   in Loop: Header=BB349_941 Depth=1
	s_or_b32 exec_lo, exec_lo, s16
.LBB349_1039:                           ;   in Loop: Header=BB349_941 Depth=1
	s_delay_alu instid0(SALU_CYCLE_1)
	s_or_b32 exec_lo, exec_lo, s15
.LBB349_1040:                           ;   in Loop: Header=BB349_941 Depth=1
	s_delay_alu instid0(SALU_CYCLE_1) | instskip(SKIP_4) | instid1(VALU_DEP_3)
	s_or_b32 exec_lo, exec_lo, s14
	v_and_b32_e32 v8, 0xff, v19
	v_dual_mov_b32 v26, v19 :: v_dual_mov_b32 v7, 0
	v_mov_b32_e32 v6, 0
	s_mov_b32 s14, exec_lo
	v_cmpx_ne_u16_e32 0, v8
	s_cbranch_execz .LBB349_1048
; %bb.1041:                             ;   in Loop: Header=BB349_941 Depth=1
	v_bfrev_b32_e32 v6, 1
	s_mov_b32 s15, exec_lo
	v_cmpx_ne_u16_e32 0x80, v8
	s_cbranch_execz .LBB349_1047
; %bb.1042:                             ;   in Loop: Header=BB349_941 Depth=1
	v_and_b32_e32 v8, 0x7f, v19
	v_mov_b32_e32 v6, 0x7f800001
	s_mov_b32 s16, exec_lo
	s_delay_alu instid0(VALU_DEP_2)
	v_cmpx_ne_u32_e32 0x7f, v8
	s_cbranch_execz .LBB349_1046
; %bb.1043:                             ;   in Loop: Header=BB349_941 Depth=1
	v_mov_b64_e32 v[22:23], v[26:27]
	v_lshrrev_b32_e32 v6, 3, v8
	s_mov_b32 s17, exec_lo
	v_cmpx_gt_u32_e32 8, v8
; %bb.1044:                             ;   in Loop: Header=BB349_941 Depth=1
	v_and_b32_e32 v6, 7, v19
	s_delay_alu instid0(VALU_DEP_1) | instskip(NEXT) | instid1(VALU_DEP_1)
	v_clz_i32_u32_e32 v6, v6
	v_min_u32_e32 v6, 32, v6
	s_delay_alu instid0(VALU_DEP_1) | instskip(SKIP_1) | instid1(VALU_DEP_2)
	v_subrev_nc_u32_e32 v8, 28, v6
	v_sub_nc_u32_e32 v6, 29, v6
	v_lshlrev_b64_e32 v[22:23], v8, v[26:27]
; %bb.1045:                             ;   in Loop: Header=BB349_941 Depth=1
	s_or_b32 exec_lo, exec_lo, s17
	s_delay_alu instid0(VALU_DEP_1) | instskip(SKIP_2) | instid1(VALU_DEP_3)
	v_lshlrev_b32_e32 v8, 20, v22
	v_lshlrev_b32_e32 v9, 24, v26
	v_lshl_add_u32 v6, v6, 23, 0x3c000000
	v_and_b32_e32 v8, 0x700000, v8
	s_delay_alu instid0(VALU_DEP_3) | instskip(NEXT) | instid1(VALU_DEP_1)
	v_and_b32_e32 v9, 0x80000000, v9
	v_or3_b32 v6, v8, v9, v6
.LBB349_1046:                           ;   in Loop: Header=BB349_941 Depth=1
	s_or_b32 exec_lo, exec_lo, s16
.LBB349_1047:                           ;   in Loop: Header=BB349_941 Depth=1
	s_delay_alu instid0(SALU_CYCLE_1)
	s_or_b32 exec_lo, exec_lo, s15
.LBB349_1048:                           ;   in Loop: Header=BB349_941 Depth=1
	s_delay_alu instid0(SALU_CYCLE_1) | instskip(SKIP_2) | instid1(VALU_DEP_1)
	s_or_b32 exec_lo, exec_lo, s14
	v_lshrrev_b16 v8, 8, v26
	s_mov_b32 s14, exec_lo
	v_cmpx_ne_u16_e32 0, v8
	s_cbranch_execz .LBB349_1056
; %bb.1049:                             ;   in Loop: Header=BB349_941 Depth=1
	v_bfrev_b32_e32 v7, 1
	s_mov_b32 s15, exec_lo
	v_cmpx_ne_u16_e32 0x80, v8
	s_cbranch_execz .LBB349_1055
; %bb.1050:                             ;   in Loop: Header=BB349_941 Depth=1
	v_and_b32_e32 v9, 0xffff, v8
	v_mov_b32_e32 v7, 0x7f800001
	s_mov_b32 s16, exec_lo
	s_delay_alu instid0(VALU_DEP_2) | instskip(NEXT) | instid1(VALU_DEP_1)
	v_and_b32_e32 v8, 0x7f, v9
	v_cmpx_ne_u32_e32 0x7f, v8
	s_cbranch_execz .LBB349_1054
; %bb.1051:                             ;   in Loop: Header=BB349_941 Depth=1
	v_dual_mov_b32 v23, v27 :: v_dual_bitop2_b32 v22, 7, v9 bitop3:0x40
	v_lshrrev_b32_e32 v7, 3, v8
	s_mov_b32 s17, exec_lo
	v_cmpx_gt_u32_e32 8, v8
; %bb.1052:                             ;   in Loop: Header=BB349_941 Depth=1
	s_delay_alu instid0(VALU_DEP_3) | instskip(NEXT) | instid1(VALU_DEP_1)
	v_clz_i32_u32_e32 v7, v22
	v_min_u32_e32 v7, 32, v7
	s_delay_alu instid0(VALU_DEP_1) | instskip(NEXT) | instid1(VALU_DEP_1)
	v_subrev_nc_u32_e32 v8, 28, v7
	v_lshlrev_b64_e32 v[8:9], v8, v[22:23]
	s_delay_alu instid0(VALU_DEP_1)
	v_dual_sub_nc_u32 v7, 29, v7 :: v_dual_bitop2_b32 v22, 7, v8 bitop3:0x40
; %bb.1053:                             ;   in Loop: Header=BB349_941 Depth=1
	s_or_b32 exec_lo, exec_lo, s17
	v_lshlrev_b32_e32 v8, 16, v26
	s_delay_alu instid0(VALU_DEP_2) | instskip(NEXT) | instid1(VALU_DEP_3)
	v_lshlrev_b32_e32 v9, 20, v22
	v_lshl_add_u32 v7, v7, 23, 0x3c000000
	s_delay_alu instid0(VALU_DEP_3) | instskip(NEXT) | instid1(VALU_DEP_1)
	v_and_b32_e32 v8, 0x80000000, v8
	v_or3_b32 v7, v9, v8, v7
.LBB349_1054:                           ;   in Loop: Header=BB349_941 Depth=1
	s_or_b32 exec_lo, exec_lo, s16
.LBB349_1055:                           ;   in Loop: Header=BB349_941 Depth=1
	s_delay_alu instid0(SALU_CYCLE_1)
	s_or_b32 exec_lo, exec_lo, s15
.LBB349_1056:                           ;   in Loop: Header=BB349_941 Depth=1
	s_delay_alu instid0(SALU_CYCLE_1) | instskip(SKIP_3) | instid1(VALU_DEP_2)
	s_or_b32 exec_lo, exec_lo, s14
	v_dual_lshrrev_b32 v16, 16, v19 :: v_dual_mov_b32 v8, 0
	v_mov_b32_e32 v9, 0
	s_mov_b32 s14, exec_lo
	v_and_b32_e32 v17, 0xff, v16
	s_delay_alu instid0(VALU_DEP_1)
	v_cmpx_ne_u16_e32 0, v17
	s_cbranch_execz .LBB349_1064
; %bb.1057:                             ;   in Loop: Header=BB349_941 Depth=1
	v_bfrev_b32_e32 v9, 1
	s_mov_b32 s15, exec_lo
	v_cmpx_ne_u16_e32 0x80, v17
	s_cbranch_execz .LBB349_1063
; %bb.1058:                             ;   in Loop: Header=BB349_941 Depth=1
	v_bfe_u32 v17, v19, 16, 7
	v_mov_b32_e32 v9, 0x7f800001
	s_mov_b32 s16, exec_lo
	s_delay_alu instid0(VALU_DEP_2)
	v_cmpx_ne_u32_e32 0x7f, v17
	s_cbranch_execz .LBB349_1062
; %bb.1059:                             ;   in Loop: Header=BB349_941 Depth=1
	v_dual_lshrrev_b32 v9, 3, v17 :: v_dual_bitop2_b32 v26, 7, v16 bitop3:0x40
	s_mov_b32 s17, exec_lo
	v_cmpx_gt_u32_e32 8, v17
; %bb.1060:                             ;   in Loop: Header=BB349_941 Depth=1
	s_delay_alu instid0(VALU_DEP_2) | instskip(NEXT) | instid1(VALU_DEP_1)
	v_clz_i32_u32_e32 v9, v26
	v_min_u32_e32 v9, 32, v9
	s_delay_alu instid0(VALU_DEP_1) | instskip(NEXT) | instid1(VALU_DEP_1)
	v_subrev_nc_u32_e32 v17, 28, v9
	v_lshlrev_b64_e32 v[22:23], v17, v[26:27]
	s_delay_alu instid0(VALU_DEP_1)
	v_dual_sub_nc_u32 v9, 29, v9 :: v_dual_bitop2_b32 v26, 7, v22 bitop3:0x40
; %bb.1061:                             ;   in Loop: Header=BB349_941 Depth=1
	s_or_b32 exec_lo, exec_lo, s17
	s_delay_alu instid0(VALU_DEP_1) | instskip(NEXT) | instid1(VALU_DEP_2)
	v_dual_lshlrev_b32 v16, 24, v16 :: v_dual_lshlrev_b32 v17, 20, v26
	v_lshl_add_u32 v9, v9, 23, 0x3c000000
	s_delay_alu instid0(VALU_DEP_2) | instskip(NEXT) | instid1(VALU_DEP_1)
	v_and_b32_e32 v16, 0x80000000, v16
	v_or3_b32 v9, v17, v16, v9
.LBB349_1062:                           ;   in Loop: Header=BB349_941 Depth=1
	s_or_b32 exec_lo, exec_lo, s16
.LBB349_1063:                           ;   in Loop: Header=BB349_941 Depth=1
	s_delay_alu instid0(SALU_CYCLE_1)
	s_or_b32 exec_lo, exec_lo, s15
.LBB349_1064:                           ;   in Loop: Header=BB349_941 Depth=1
	s_delay_alu instid0(SALU_CYCLE_1) | instskip(NEXT) | instid1(SALU_CYCLE_1)
	s_or_b32 exec_lo, exec_lo, s14
	s_mov_b32 s14, exec_lo
	v_cmpx_lt_u64_e64 s[2:3], v[18:19]
	s_cbranch_execz .LBB349_1072
; %bb.1065:                             ;   in Loop: Header=BB349_941 Depth=1
	v_lshrrev_b32_e32 v16, 24, v19
	v_bfrev_b32_e32 v8, 1
	s_mov_b32 s15, exec_lo
	s_delay_alu instid0(VALU_DEP_2)
	v_cmpx_ne_u32_e32 0x80, v16
	s_cbranch_execz .LBB349_1071
; %bb.1066:                             ;   in Loop: Header=BB349_941 Depth=1
	v_bfe_u32 v17, v19, 24, 7
	v_mov_b32_e32 v8, 0x7f800001
	s_mov_b32 s16, exec_lo
	s_delay_alu instid0(VALU_DEP_2)
	v_cmpx_ne_u32_e32 0x7f, v17
	s_cbranch_execz .LBB349_1070
; %bb.1067:                             ;   in Loop: Header=BB349_941 Depth=1
	v_dual_lshrrev_b32 v8, 3, v17 :: v_dual_bitop2_b32 v26, 7, v16 bitop3:0x40
	s_mov_b32 s17, exec_lo
	v_cmpx_gt_u32_e32 8, v17
; %bb.1068:                             ;   in Loop: Header=BB349_941 Depth=1
	s_delay_alu instid0(VALU_DEP_2) | instskip(NEXT) | instid1(VALU_DEP_1)
	v_clz_i32_u32_e32 v8, v26
	v_min_u32_e32 v8, 32, v8
	s_delay_alu instid0(VALU_DEP_1) | instskip(NEXT) | instid1(VALU_DEP_1)
	v_subrev_nc_u32_e32 v17, 28, v8
	v_lshlrev_b64_e32 v[18:19], v17, v[26:27]
	s_delay_alu instid0(VALU_DEP_1)
	v_dual_sub_nc_u32 v8, 29, v8 :: v_dual_bitop2_b32 v26, 7, v18 bitop3:0x40
; %bb.1069:                             ;   in Loop: Header=BB349_941 Depth=1
	s_or_b32 exec_lo, exec_lo, s17
	s_delay_alu instid0(VALU_DEP_1) | instskip(NEXT) | instid1(VALU_DEP_2)
	v_dual_lshlrev_b32 v16, 24, v16 :: v_dual_lshlrev_b32 v17, 20, v26
	v_lshl_add_u32 v8, v8, 23, 0x3c000000
	s_delay_alu instid0(VALU_DEP_2) | instskip(NEXT) | instid1(VALU_DEP_1)
	v_and_b32_e32 v16, 0x80000000, v16
	v_or3_b32 v8, v17, v16, v8
.LBB349_1070:                           ;   in Loop: Header=BB349_941 Depth=1
	s_or_b32 exec_lo, exec_lo, s16
.LBB349_1071:                           ;   in Loop: Header=BB349_941 Depth=1
	s_delay_alu instid0(SALU_CYCLE_1)
	s_or_b32 exec_lo, exec_lo, s15
.LBB349_1072:                           ;   in Loop: Header=BB349_941 Depth=1
	s_delay_alu instid0(SALU_CYCLE_1)
	s_or_b32 exec_lo, exec_lo, s14
	v_fma_mixlo_bf16 v58, v96, v7, 0
	v_fma_mixlo_bf16 v59, v96, v6, 0
	;; [unrolled: 1-line block ×8, first 2 shown]
	s_and_saveexec_b32 s14, vcc_lo
	s_cbranch_execz .LBB349_1074
; %bb.1073:                             ;   in Loop: Header=BB349_941 Depth=1
	v_cmp_lt_i32_e64 s0, v100, v126
	s_delay_alu instid0(VALU_DEP_1) | instskip(SKIP_1) | instid1(VALU_DEP_1)
	v_cndmask_b32_e64 v118, 0, v118, s0
	v_cmp_lt_i32_e64 s0, v112, v126
	v_cndmask_b32_e64 v72, 0, v72, s0
	v_cmp_lt_i32_e64 s0, v103, v126
	s_delay_alu instid0(VALU_DEP_1) | instskip(SKIP_1) | instid1(VALU_DEP_1)
	v_cndmask_b32_e64 v63, 0, v63, s0
	v_cmp_lt_i32_e64 s0, v102, v126
	v_cndmask_b32_e64 v62, 0, v62, s0
	;; [unrolled: 5-line block ×4, first 2 shown]
.LBB349_1074:                           ;   in Loop: Header=BB349_941 Depth=1
	s_or_b32 exec_lo, exec_lo, s14
	flat_load_b64 v[18:19], v[0:1] offset:512
	v_dual_mov_b32 v3, 0 :: v_dual_mov_b32 v2, 0
	s_mov_b32 s14, exec_lo
	s_wait_loadcnt_dscnt 0x0
	v_and_b32_e32 v4, 0xff, v18
	s_wait_xcnt 0x0
	s_delay_alu instid0(VALU_DEP_1)
	v_cmpx_ne_u16_e32 0, v4
	s_cbranch_execz .LBB349_1082
; %bb.1075:                             ;   in Loop: Header=BB349_941 Depth=1
	v_bfrev_b32_e32 v2, 1
	s_mov_b32 s15, exec_lo
	v_cmpx_ne_u16_e32 0x80, v4
	s_cbranch_execz .LBB349_1081
; %bb.1076:                             ;   in Loop: Header=BB349_941 Depth=1
	v_and_b32_e32 v4, 0x7f, v18
	v_mov_b32_e32 v2, 0x7f800001
	s_mov_b32 s16, exec_lo
	s_delay_alu instid0(VALU_DEP_2)
	v_cmpx_ne_u32_e32 0x7f, v4
	s_cbranch_execz .LBB349_1080
; %bb.1077:                             ;   in Loop: Header=BB349_941 Depth=1
	v_mov_b64_e32 v[22:23], v[18:19]
	v_lshrrev_b32_e32 v2, 3, v4
	s_mov_b32 s17, exec_lo
	v_cmpx_gt_u32_e32 8, v4
; %bb.1078:                             ;   in Loop: Header=BB349_941 Depth=1
	v_and_b32_e32 v2, 7, v18
	s_delay_alu instid0(VALU_DEP_1) | instskip(NEXT) | instid1(VALU_DEP_1)
	v_clz_i32_u32_e32 v2, v2
	v_min_u32_e32 v2, 32, v2
	s_delay_alu instid0(VALU_DEP_1) | instskip(SKIP_1) | instid1(VALU_DEP_2)
	v_subrev_nc_u32_e32 v4, 28, v2
	v_sub_nc_u32_e32 v2, 29, v2
	v_lshlrev_b64_e32 v[22:23], v4, v[18:19]
; %bb.1079:                             ;   in Loop: Header=BB349_941 Depth=1
	s_or_b32 exec_lo, exec_lo, s17
	s_delay_alu instid0(VALU_DEP_1) | instskip(SKIP_2) | instid1(VALU_DEP_3)
	v_lshlrev_b32_e32 v4, 20, v22
	v_lshlrev_b32_e32 v5, 24, v18
	v_lshl_add_u32 v2, v2, 23, 0x3c000000
	v_and_b32_e32 v4, 0x700000, v4
	s_delay_alu instid0(VALU_DEP_3) | instskip(NEXT) | instid1(VALU_DEP_1)
	v_and_b32_e32 v5, 0x80000000, v5
	v_or3_b32 v2, v4, v5, v2
.LBB349_1080:                           ;   in Loop: Header=BB349_941 Depth=1
	s_or_b32 exec_lo, exec_lo, s16
.LBB349_1081:                           ;   in Loop: Header=BB349_941 Depth=1
	s_delay_alu instid0(SALU_CYCLE_1)
	s_or_b32 exec_lo, exec_lo, s15
.LBB349_1082:                           ;   in Loop: Header=BB349_941 Depth=1
	s_delay_alu instid0(SALU_CYCLE_1) | instskip(SKIP_2) | instid1(VALU_DEP_1)
	s_or_b32 exec_lo, exec_lo, s14
	v_lshrrev_b16 v4, 8, v18
	s_mov_b32 s14, exec_lo
	v_cmpx_ne_u16_e32 0, v4
	s_cbranch_execz .LBB349_1090
; %bb.1083:                             ;   in Loop: Header=BB349_941 Depth=1
	v_bfrev_b32_e32 v3, 1
	s_mov_b32 s15, exec_lo
	v_cmpx_ne_u16_e32 0x80, v4
	s_cbranch_execz .LBB349_1089
; %bb.1084:                             ;   in Loop: Header=BB349_941 Depth=1
	v_and_b32_e32 v5, 0xffff, v4
	v_mov_b32_e32 v3, 0x7f800001
	s_mov_b32 s16, exec_lo
	s_delay_alu instid0(VALU_DEP_2) | instskip(NEXT) | instid1(VALU_DEP_1)
	v_and_b32_e32 v4, 0x7f, v5
	v_cmpx_ne_u32_e32 0x7f, v4
	s_cbranch_execz .LBB349_1088
; %bb.1085:                             ;   in Loop: Header=BB349_941 Depth=1
	v_dual_lshrrev_b32 v3, 3, v4 :: v_dual_bitop2_b32 v26, 7, v5 bitop3:0x40
	s_mov_b32 s17, exec_lo
	v_cmpx_gt_u32_e32 8, v4
; %bb.1086:                             ;   in Loop: Header=BB349_941 Depth=1
	s_delay_alu instid0(VALU_DEP_2) | instskip(NEXT) | instid1(VALU_DEP_1)
	v_clz_i32_u32_e32 v3, v26
	v_min_u32_e32 v3, 32, v3
	s_delay_alu instid0(VALU_DEP_1) | instskip(NEXT) | instid1(VALU_DEP_1)
	v_subrev_nc_u32_e32 v4, 28, v3
	v_lshlrev_b64_e32 v[4:5], v4, v[26:27]
	s_delay_alu instid0(VALU_DEP_1)
	v_dual_sub_nc_u32 v3, 29, v3 :: v_dual_bitop2_b32 v26, 7, v4 bitop3:0x40
; %bb.1087:                             ;   in Loop: Header=BB349_941 Depth=1
	s_or_b32 exec_lo, exec_lo, s17
	v_lshlrev_b32_e32 v4, 16, v18
	s_delay_alu instid0(VALU_DEP_2) | instskip(NEXT) | instid1(VALU_DEP_3)
	v_lshlrev_b32_e32 v5, 20, v26
	v_lshl_add_u32 v3, v3, 23, 0x3c000000
	s_delay_alu instid0(VALU_DEP_3) | instskip(NEXT) | instid1(VALU_DEP_1)
	v_and_b32_e32 v4, 0x80000000, v4
	v_or3_b32 v3, v5, v4, v3
.LBB349_1088:                           ;   in Loop: Header=BB349_941 Depth=1
	s_or_b32 exec_lo, exec_lo, s16
.LBB349_1089:                           ;   in Loop: Header=BB349_941 Depth=1
	s_delay_alu instid0(SALU_CYCLE_1)
	s_or_b32 exec_lo, exec_lo, s15
.LBB349_1090:                           ;   in Loop: Header=BB349_941 Depth=1
	s_delay_alu instid0(SALU_CYCLE_1) | instskip(SKIP_3) | instid1(VALU_DEP_2)
	s_or_b32 exec_lo, exec_lo, s14
	v_dual_mov_b32 v5, 0 :: v_dual_lshrrev_b32 v6, 16, v18
	v_mov_b32_e32 v4, 0
	s_mov_b32 s14, exec_lo
	v_and_b32_e32 v7, 0xff, v6
	s_delay_alu instid0(VALU_DEP_1)
	v_cmpx_ne_u16_e32 0, v7
	s_cbranch_execz .LBB349_1098
; %bb.1091:                             ;   in Loop: Header=BB349_941 Depth=1
	v_bfrev_b32_e32 v4, 1
	s_mov_b32 s15, exec_lo
	v_cmpx_ne_u16_e32 0x80, v7
	s_cbranch_execz .LBB349_1097
; %bb.1092:                             ;   in Loop: Header=BB349_941 Depth=1
	v_bfe_u32 v7, v18, 16, 7
	v_mov_b32_e32 v4, 0x7f800001
	s_mov_b32 s16, exec_lo
	s_delay_alu instid0(VALU_DEP_2)
	v_cmpx_ne_u32_e32 0x7f, v7
	s_cbranch_execz .LBB349_1096
; %bb.1093:                             ;   in Loop: Header=BB349_941 Depth=1
	v_dual_lshrrev_b32 v4, 3, v7 :: v_dual_bitop2_b32 v26, 7, v6 bitop3:0x40
	s_mov_b32 s17, exec_lo
	v_cmpx_gt_u32_e32 8, v7
; %bb.1094:                             ;   in Loop: Header=BB349_941 Depth=1
	s_delay_alu instid0(VALU_DEP_2) | instskip(NEXT) | instid1(VALU_DEP_1)
	v_clz_i32_u32_e32 v4, v26
	v_min_u32_e32 v4, 32, v4
	s_delay_alu instid0(VALU_DEP_1) | instskip(SKIP_1) | instid1(VALU_DEP_2)
	v_subrev_nc_u32_e32 v7, 28, v4
	v_sub_nc_u32_e32 v4, 29, v4
	v_lshlrev_b64_e32 v[8:9], v7, v[26:27]
	s_delay_alu instid0(VALU_DEP_1)
	v_and_b32_e32 v26, 7, v8
; %bb.1095:                             ;   in Loop: Header=BB349_941 Depth=1
	s_or_b32 exec_lo, exec_lo, s17
	v_lshlrev_b32_e32 v6, 24, v6
	s_delay_alu instid0(VALU_DEP_2) | instskip(SKIP_1) | instid1(VALU_DEP_3)
	v_lshlrev_b32_e32 v7, 20, v26
	v_lshl_add_u32 v4, v4, 23, 0x3c000000
	v_and_b32_e32 v6, 0x80000000, v6
	s_delay_alu instid0(VALU_DEP_1)
	v_or3_b32 v4, v7, v6, v4
.LBB349_1096:                           ;   in Loop: Header=BB349_941 Depth=1
	s_or_b32 exec_lo, exec_lo, s16
.LBB349_1097:                           ;   in Loop: Header=BB349_941 Depth=1
	s_delay_alu instid0(SALU_CYCLE_1)
	s_or_b32 exec_lo, exec_lo, s15
.LBB349_1098:                           ;   in Loop: Header=BB349_941 Depth=1
	s_delay_alu instid0(SALU_CYCLE_1) | instskip(NEXT) | instid1(SALU_CYCLE_1)
	s_or_b32 exec_lo, exec_lo, s14
	s_mov_b32 s14, exec_lo
	v_cmpx_lt_u32_e32 0xffffff, v18
	s_cbranch_execz .LBB349_1106
; %bb.1099:                             ;   in Loop: Header=BB349_941 Depth=1
	v_lshrrev_b32_e32 v6, 24, v18
	v_bfrev_b32_e32 v5, 1
	s_mov_b32 s15, exec_lo
	s_delay_alu instid0(VALU_DEP_2)
	v_cmpx_ne_u32_e32 0x80, v6
	s_cbranch_execz .LBB349_1105
; %bb.1100:                             ;   in Loop: Header=BB349_941 Depth=1
	v_bfe_u32 v7, v18, 24, 7
	v_mov_b32_e32 v5, 0x7f800001
	s_mov_b32 s16, exec_lo
	s_delay_alu instid0(VALU_DEP_2)
	v_cmpx_ne_u32_e32 0x7f, v7
	s_cbranch_execz .LBB349_1104
; %bb.1101:                             ;   in Loop: Header=BB349_941 Depth=1
	v_dual_lshrrev_b32 v5, 3, v7 :: v_dual_bitop2_b32 v26, 7, v6 bitop3:0x40
	s_mov_b32 s17, exec_lo
	v_cmpx_gt_u32_e32 8, v7
; %bb.1102:                             ;   in Loop: Header=BB349_941 Depth=1
	s_delay_alu instid0(VALU_DEP_2) | instskip(NEXT) | instid1(VALU_DEP_1)
	v_clz_i32_u32_e32 v5, v26
	v_min_u32_e32 v5, 32, v5
	s_delay_alu instid0(VALU_DEP_1) | instskip(NEXT) | instid1(VALU_DEP_1)
	v_subrev_nc_u32_e32 v7, 28, v5
	v_lshlrev_b64_e32 v[8:9], v7, v[26:27]
	s_delay_alu instid0(VALU_DEP_1)
	v_dual_sub_nc_u32 v5, 29, v5 :: v_dual_bitop2_b32 v26, 7, v8 bitop3:0x40
; %bb.1103:                             ;   in Loop: Header=BB349_941 Depth=1
	s_or_b32 exec_lo, exec_lo, s17
	v_lshlrev_b32_e32 v6, 24, v6
	s_delay_alu instid0(VALU_DEP_2) | instskip(NEXT) | instid1(VALU_DEP_3)
	v_lshlrev_b32_e32 v7, 20, v26
	v_lshl_add_u32 v5, v5, 23, 0x3c000000
	s_delay_alu instid0(VALU_DEP_3) | instskip(NEXT) | instid1(VALU_DEP_1)
	v_and_b32_e32 v6, 0x80000000, v6
	v_or3_b32 v5, v7, v6, v5
.LBB349_1104:                           ;   in Loop: Header=BB349_941 Depth=1
	s_or_b32 exec_lo, exec_lo, s16
.LBB349_1105:                           ;   in Loop: Header=BB349_941 Depth=1
	s_delay_alu instid0(SALU_CYCLE_1)
	s_or_b32 exec_lo, exec_lo, s15
.LBB349_1106:                           ;   in Loop: Header=BB349_941 Depth=1
	s_delay_alu instid0(SALU_CYCLE_1) | instskip(SKIP_4) | instid1(VALU_DEP_3)
	s_or_b32 exec_lo, exec_lo, s14
	v_and_b32_e32 v8, 0xff, v19
	v_dual_mov_b32 v26, v19 :: v_dual_mov_b32 v7, 0
	v_mov_b32_e32 v6, 0
	s_mov_b32 s14, exec_lo
	v_cmpx_ne_u16_e32 0, v8
	s_cbranch_execz .LBB349_1114
; %bb.1107:                             ;   in Loop: Header=BB349_941 Depth=1
	v_bfrev_b32_e32 v6, 1
	s_mov_b32 s15, exec_lo
	v_cmpx_ne_u16_e32 0x80, v8
	s_cbranch_execz .LBB349_1113
; %bb.1108:                             ;   in Loop: Header=BB349_941 Depth=1
	v_and_b32_e32 v8, 0x7f, v19
	v_mov_b32_e32 v6, 0x7f800001
	s_mov_b32 s16, exec_lo
	s_delay_alu instid0(VALU_DEP_2)
	v_cmpx_ne_u32_e32 0x7f, v8
	s_cbranch_execz .LBB349_1112
; %bb.1109:                             ;   in Loop: Header=BB349_941 Depth=1
	v_mov_b64_e32 v[22:23], v[26:27]
	v_lshrrev_b32_e32 v6, 3, v8
	s_mov_b32 s17, exec_lo
	v_cmpx_gt_u32_e32 8, v8
; %bb.1110:                             ;   in Loop: Header=BB349_941 Depth=1
	v_and_b32_e32 v6, 7, v19
	s_delay_alu instid0(VALU_DEP_1) | instskip(NEXT) | instid1(VALU_DEP_1)
	v_clz_i32_u32_e32 v6, v6
	v_min_u32_e32 v6, 32, v6
	s_delay_alu instid0(VALU_DEP_1) | instskip(SKIP_1) | instid1(VALU_DEP_2)
	v_subrev_nc_u32_e32 v8, 28, v6
	v_sub_nc_u32_e32 v6, 29, v6
	v_lshlrev_b64_e32 v[22:23], v8, v[26:27]
; %bb.1111:                             ;   in Loop: Header=BB349_941 Depth=1
	s_or_b32 exec_lo, exec_lo, s17
	s_delay_alu instid0(VALU_DEP_1) | instskip(SKIP_2) | instid1(VALU_DEP_3)
	v_lshlrev_b32_e32 v8, 20, v22
	v_lshlrev_b32_e32 v9, 24, v26
	v_lshl_add_u32 v6, v6, 23, 0x3c000000
	v_and_b32_e32 v8, 0x700000, v8
	s_delay_alu instid0(VALU_DEP_3) | instskip(NEXT) | instid1(VALU_DEP_1)
	v_and_b32_e32 v9, 0x80000000, v9
	v_or3_b32 v6, v8, v9, v6
.LBB349_1112:                           ;   in Loop: Header=BB349_941 Depth=1
	s_or_b32 exec_lo, exec_lo, s16
.LBB349_1113:                           ;   in Loop: Header=BB349_941 Depth=1
	s_delay_alu instid0(SALU_CYCLE_1)
	s_or_b32 exec_lo, exec_lo, s15
.LBB349_1114:                           ;   in Loop: Header=BB349_941 Depth=1
	s_delay_alu instid0(SALU_CYCLE_1) | instskip(SKIP_2) | instid1(VALU_DEP_1)
	s_or_b32 exec_lo, exec_lo, s14
	v_lshrrev_b16 v8, 8, v26
	s_mov_b32 s14, exec_lo
	v_cmpx_ne_u16_e32 0, v8
	s_cbranch_execz .LBB349_1122
; %bb.1115:                             ;   in Loop: Header=BB349_941 Depth=1
	v_bfrev_b32_e32 v7, 1
	s_mov_b32 s15, exec_lo
	v_cmpx_ne_u16_e32 0x80, v8
	s_cbranch_execz .LBB349_1121
; %bb.1116:                             ;   in Loop: Header=BB349_941 Depth=1
	v_and_b32_e32 v9, 0xffff, v8
	v_mov_b32_e32 v7, 0x7f800001
	s_mov_b32 s16, exec_lo
	s_delay_alu instid0(VALU_DEP_2) | instskip(NEXT) | instid1(VALU_DEP_1)
	v_and_b32_e32 v8, 0x7f, v9
	v_cmpx_ne_u32_e32 0x7f, v8
	s_cbranch_execz .LBB349_1120
; %bb.1117:                             ;   in Loop: Header=BB349_941 Depth=1
	v_dual_mov_b32 v23, v27 :: v_dual_bitop2_b32 v22, 7, v9 bitop3:0x40
	v_lshrrev_b32_e32 v7, 3, v8
	s_mov_b32 s17, exec_lo
	v_cmpx_gt_u32_e32 8, v8
; %bb.1118:                             ;   in Loop: Header=BB349_941 Depth=1
	s_delay_alu instid0(VALU_DEP_3) | instskip(NEXT) | instid1(VALU_DEP_1)
	v_clz_i32_u32_e32 v7, v22
	v_min_u32_e32 v7, 32, v7
	s_delay_alu instid0(VALU_DEP_1) | instskip(NEXT) | instid1(VALU_DEP_1)
	v_subrev_nc_u32_e32 v8, 28, v7
	v_lshlrev_b64_e32 v[8:9], v8, v[22:23]
	s_delay_alu instid0(VALU_DEP_1)
	v_dual_sub_nc_u32 v7, 29, v7 :: v_dual_bitop2_b32 v22, 7, v8 bitop3:0x40
; %bb.1119:                             ;   in Loop: Header=BB349_941 Depth=1
	s_or_b32 exec_lo, exec_lo, s17
	v_lshlrev_b32_e32 v8, 16, v26
	s_delay_alu instid0(VALU_DEP_2) | instskip(NEXT) | instid1(VALU_DEP_3)
	v_lshlrev_b32_e32 v9, 20, v22
	v_lshl_add_u32 v7, v7, 23, 0x3c000000
	s_delay_alu instid0(VALU_DEP_3) | instskip(NEXT) | instid1(VALU_DEP_1)
	v_and_b32_e32 v8, 0x80000000, v8
	v_or3_b32 v7, v9, v8, v7
.LBB349_1120:                           ;   in Loop: Header=BB349_941 Depth=1
	s_or_b32 exec_lo, exec_lo, s16
.LBB349_1121:                           ;   in Loop: Header=BB349_941 Depth=1
	s_delay_alu instid0(SALU_CYCLE_1)
	s_or_b32 exec_lo, exec_lo, s15
.LBB349_1122:                           ;   in Loop: Header=BB349_941 Depth=1
	s_delay_alu instid0(SALU_CYCLE_1) | instskip(SKIP_3) | instid1(VALU_DEP_2)
	s_or_b32 exec_lo, exec_lo, s14
	v_dual_lshrrev_b32 v16, 16, v19 :: v_dual_mov_b32 v8, 0
	v_mov_b32_e32 v9, 0
	s_mov_b32 s14, exec_lo
	v_and_b32_e32 v17, 0xff, v16
	s_delay_alu instid0(VALU_DEP_1)
	v_cmpx_ne_u16_e32 0, v17
	s_cbranch_execz .LBB349_1130
; %bb.1123:                             ;   in Loop: Header=BB349_941 Depth=1
	v_bfrev_b32_e32 v9, 1
	s_mov_b32 s15, exec_lo
	v_cmpx_ne_u16_e32 0x80, v17
	s_cbranch_execz .LBB349_1129
; %bb.1124:                             ;   in Loop: Header=BB349_941 Depth=1
	v_bfe_u32 v17, v19, 16, 7
	v_mov_b32_e32 v9, 0x7f800001
	s_mov_b32 s16, exec_lo
	s_delay_alu instid0(VALU_DEP_2)
	v_cmpx_ne_u32_e32 0x7f, v17
	s_cbranch_execz .LBB349_1128
; %bb.1125:                             ;   in Loop: Header=BB349_941 Depth=1
	v_dual_lshrrev_b32 v9, 3, v17 :: v_dual_bitop2_b32 v26, 7, v16 bitop3:0x40
	s_mov_b32 s17, exec_lo
	v_cmpx_gt_u32_e32 8, v17
; %bb.1126:                             ;   in Loop: Header=BB349_941 Depth=1
	s_delay_alu instid0(VALU_DEP_2) | instskip(NEXT) | instid1(VALU_DEP_1)
	v_clz_i32_u32_e32 v9, v26
	v_min_u32_e32 v9, 32, v9
	s_delay_alu instid0(VALU_DEP_1) | instskip(NEXT) | instid1(VALU_DEP_1)
	v_subrev_nc_u32_e32 v17, 28, v9
	v_lshlrev_b64_e32 v[22:23], v17, v[26:27]
	s_delay_alu instid0(VALU_DEP_1)
	v_dual_sub_nc_u32 v9, 29, v9 :: v_dual_bitop2_b32 v26, 7, v22 bitop3:0x40
; %bb.1127:                             ;   in Loop: Header=BB349_941 Depth=1
	s_or_b32 exec_lo, exec_lo, s17
	s_delay_alu instid0(VALU_DEP_1) | instskip(NEXT) | instid1(VALU_DEP_2)
	v_dual_lshlrev_b32 v16, 24, v16 :: v_dual_lshlrev_b32 v17, 20, v26
	v_lshl_add_u32 v9, v9, 23, 0x3c000000
	s_delay_alu instid0(VALU_DEP_2) | instskip(NEXT) | instid1(VALU_DEP_1)
	v_and_b32_e32 v16, 0x80000000, v16
	v_or3_b32 v9, v17, v16, v9
.LBB349_1128:                           ;   in Loop: Header=BB349_941 Depth=1
	s_or_b32 exec_lo, exec_lo, s16
.LBB349_1129:                           ;   in Loop: Header=BB349_941 Depth=1
	s_delay_alu instid0(SALU_CYCLE_1)
	s_or_b32 exec_lo, exec_lo, s15
.LBB349_1130:                           ;   in Loop: Header=BB349_941 Depth=1
	s_delay_alu instid0(SALU_CYCLE_1) | instskip(NEXT) | instid1(SALU_CYCLE_1)
	s_or_b32 exec_lo, exec_lo, s14
	s_mov_b32 s14, exec_lo
	v_cmpx_lt_u64_e64 s[2:3], v[18:19]
	s_cbranch_execz .LBB349_1138
; %bb.1131:                             ;   in Loop: Header=BB349_941 Depth=1
	v_lshrrev_b32_e32 v16, 24, v19
	v_bfrev_b32_e32 v8, 1
	s_mov_b32 s15, exec_lo
	s_delay_alu instid0(VALU_DEP_2)
	v_cmpx_ne_u32_e32 0x80, v16
	s_cbranch_execz .LBB349_1137
; %bb.1132:                             ;   in Loop: Header=BB349_941 Depth=1
	v_bfe_u32 v17, v19, 24, 7
	v_mov_b32_e32 v8, 0x7f800001
	s_mov_b32 s16, exec_lo
	s_delay_alu instid0(VALU_DEP_2)
	v_cmpx_ne_u32_e32 0x7f, v17
	s_cbranch_execz .LBB349_1136
; %bb.1133:                             ;   in Loop: Header=BB349_941 Depth=1
	v_dual_lshrrev_b32 v8, 3, v17 :: v_dual_bitop2_b32 v26, 7, v16 bitop3:0x40
	s_mov_b32 s17, exec_lo
	v_cmpx_gt_u32_e32 8, v17
; %bb.1134:                             ;   in Loop: Header=BB349_941 Depth=1
	s_delay_alu instid0(VALU_DEP_2) | instskip(NEXT) | instid1(VALU_DEP_1)
	v_clz_i32_u32_e32 v8, v26
	v_min_u32_e32 v8, 32, v8
	s_delay_alu instid0(VALU_DEP_1) | instskip(NEXT) | instid1(VALU_DEP_1)
	v_subrev_nc_u32_e32 v17, 28, v8
	v_lshlrev_b64_e32 v[18:19], v17, v[26:27]
	s_delay_alu instid0(VALU_DEP_1)
	v_dual_sub_nc_u32 v8, 29, v8 :: v_dual_bitop2_b32 v26, 7, v18 bitop3:0x40
; %bb.1135:                             ;   in Loop: Header=BB349_941 Depth=1
	s_or_b32 exec_lo, exec_lo, s17
	s_delay_alu instid0(VALU_DEP_1) | instskip(NEXT) | instid1(VALU_DEP_2)
	v_dual_lshlrev_b32 v16, 24, v16 :: v_dual_lshlrev_b32 v17, 20, v26
	v_lshl_add_u32 v8, v8, 23, 0x3c000000
	s_delay_alu instid0(VALU_DEP_2) | instskip(NEXT) | instid1(VALU_DEP_1)
	v_and_b32_e32 v16, 0x80000000, v16
	v_or3_b32 v8, v17, v16, v8
.LBB349_1136:                           ;   in Loop: Header=BB349_941 Depth=1
	s_or_b32 exec_lo, exec_lo, s16
.LBB349_1137:                           ;   in Loop: Header=BB349_941 Depth=1
	s_delay_alu instid0(SALU_CYCLE_1)
	s_or_b32 exec_lo, exec_lo, s15
.LBB349_1138:                           ;   in Loop: Header=BB349_941 Depth=1
	s_delay_alu instid0(SALU_CYCLE_1)
	s_or_b32 exec_lo, exec_lo, s14
	v_fma_mixlo_bf16 v2, v96, v2, 0
	v_fma_mixlo_bf16 v5, v96, v5, 0
	;; [unrolled: 1-line block ×5, first 2 shown]
	scratch_store_b32 off, v2, s32 offset:248 ; 4-byte Folded Spill
	s_wait_xcnt 0x0
	v_fma_mixlo_bf16 v2, v96, v9, 0
	v_fma_mixlo_bf16 v3, v96, v3, 0
	s_clause 0x2
	scratch_store_b32 off, v5, s32 offset:232
	scratch_store_b32 off, v2, s32 offset:196
	;; [unrolled: 1-line block ×3, first 2 shown]
	s_wait_xcnt 0x1
	v_fma_mixlo_bf16 v2, v96, v8, 0
	s_clause 0x1
	scratch_store_b32 off, v4, s32 offset:236
	scratch_store_b32 off, v2, s32 offset:224
	s_wait_xcnt 0x0
	s_and_saveexec_b32 s14, vcc_lo
	s_cbranch_execz .LBB349_1140
; %bb.1139:                             ;   in Loop: Header=BB349_941 Depth=1
	scratch_load_b32 v2, off, s32 offset:248 ; 4-byte Folded Reload
	v_cmp_lt_i32_e64 s0, v100, v126
	s_wait_loadcnt 0x0
	s_delay_alu instid0(VALU_DEP_1)
	v_cndmask_b32_e64 v2, 0, v2, s0
	v_cmp_lt_i32_e64 s0, v112, v126
	s_clause 0x1
	scratch_store_b32 off, v2, s32 offset:248
	scratch_load_b32 v2, off, s32 offset:240
	s_wait_loadcnt 0x0
	v_cndmask_b32_e64 v2, 0, v2, s0
	v_cmp_lt_i32_e64 s0, v103, v126
	s_clause 0x1
	scratch_store_b32 off, v2, s32 offset:240
	scratch_load_b32 v2, off, s32 offset:236
	s_wait_loadcnt 0x0
	;; [unrolled: 6-line block ×3, first 2 shown]
	v_cndmask_b32_e64 v2, 0, v2, s0
	v_cmp_lt_i32_e64 s0, v101, v126
	s_clause 0x1
	scratch_store_b32 off, v2, s32 offset:232
	scratch_load_b32 v2, off, s32 offset:196
	v_cndmask_b32_e64 v13, 0, v13, s0
	v_cmp_lt_i32_e64 s0, v99, v126
	s_delay_alu instid0(VALU_DEP_1) | instskip(SKIP_2) | instid1(VALU_DEP_1)
	v_cndmask_b32_e64 v119, 0, v119, s0
	v_cmp_lt_i32_e64 s0, v98, v126
	s_wait_loadcnt 0x0
	v_cndmask_b32_e64 v2, 0, v2, s0
	v_cmp_lt_i32_e64 s0, v97, v126
	s_clause 0x1
	scratch_store_b32 off, v2, s32 offset:196
	scratch_load_b32 v2, off, s32 offset:224
	s_wait_loadcnt 0x0
	v_cndmask_b32_e64 v2, 0, v2, s0
	scratch_store_b32 off, v2, s32 offset:224 ; 4-byte Folded Spill
.LBB349_1140:                           ;   in Loop: Header=BB349_941 Depth=1
	s_wait_xcnt 0x0
	s_or_b32 exec_lo, exec_lo, s14
	flat_load_b64 v[18:19], v[0:1] offset:768
	v_dual_mov_b32 v3, 0 :: v_dual_mov_b32 v2, 0
	s_mov_b32 s14, exec_lo
	s_wait_loadcnt_dscnt 0x0
	v_and_b32_e32 v4, 0xff, v18
	s_wait_xcnt 0x0
	s_delay_alu instid0(VALU_DEP_1)
	v_cmpx_ne_u16_e32 0, v4
	s_cbranch_execz .LBB349_1148
; %bb.1141:                             ;   in Loop: Header=BB349_941 Depth=1
	v_bfrev_b32_e32 v2, 1
	s_mov_b32 s15, exec_lo
	v_cmpx_ne_u16_e32 0x80, v4
	s_cbranch_execz .LBB349_1147
; %bb.1142:                             ;   in Loop: Header=BB349_941 Depth=1
	v_and_b32_e32 v4, 0x7f, v18
	v_mov_b32_e32 v2, 0x7f800001
	s_mov_b32 s16, exec_lo
	s_delay_alu instid0(VALU_DEP_2)
	v_cmpx_ne_u32_e32 0x7f, v4
	s_cbranch_execz .LBB349_1146
; %bb.1143:                             ;   in Loop: Header=BB349_941 Depth=1
	v_mov_b64_e32 v[22:23], v[18:19]
	v_lshrrev_b32_e32 v2, 3, v4
	s_mov_b32 s17, exec_lo
	v_cmpx_gt_u32_e32 8, v4
; %bb.1144:                             ;   in Loop: Header=BB349_941 Depth=1
	v_and_b32_e32 v2, 7, v18
	s_delay_alu instid0(VALU_DEP_1) | instskip(NEXT) | instid1(VALU_DEP_1)
	v_clz_i32_u32_e32 v2, v2
	v_min_u32_e32 v2, 32, v2
	s_delay_alu instid0(VALU_DEP_1) | instskip(SKIP_1) | instid1(VALU_DEP_2)
	v_subrev_nc_u32_e32 v4, 28, v2
	v_sub_nc_u32_e32 v2, 29, v2
	v_lshlrev_b64_e32 v[22:23], v4, v[18:19]
; %bb.1145:                             ;   in Loop: Header=BB349_941 Depth=1
	s_or_b32 exec_lo, exec_lo, s17
	s_delay_alu instid0(VALU_DEP_1) | instskip(SKIP_2) | instid1(VALU_DEP_3)
	v_lshlrev_b32_e32 v4, 20, v22
	v_lshlrev_b32_e32 v5, 24, v18
	v_lshl_add_u32 v2, v2, 23, 0x3c000000
	v_and_b32_e32 v4, 0x700000, v4
	s_delay_alu instid0(VALU_DEP_3) | instskip(NEXT) | instid1(VALU_DEP_1)
	v_and_b32_e32 v5, 0x80000000, v5
	v_or3_b32 v2, v4, v5, v2
.LBB349_1146:                           ;   in Loop: Header=BB349_941 Depth=1
	s_or_b32 exec_lo, exec_lo, s16
.LBB349_1147:                           ;   in Loop: Header=BB349_941 Depth=1
	s_delay_alu instid0(SALU_CYCLE_1)
	s_or_b32 exec_lo, exec_lo, s15
.LBB349_1148:                           ;   in Loop: Header=BB349_941 Depth=1
	s_delay_alu instid0(SALU_CYCLE_1) | instskip(SKIP_2) | instid1(VALU_DEP_1)
	s_or_b32 exec_lo, exec_lo, s14
	v_lshrrev_b16 v4, 8, v18
	s_mov_b32 s14, exec_lo
	v_cmpx_ne_u16_e32 0, v4
	s_cbranch_execz .LBB349_1156
; %bb.1149:                             ;   in Loop: Header=BB349_941 Depth=1
	v_bfrev_b32_e32 v3, 1
	s_mov_b32 s15, exec_lo
	v_cmpx_ne_u16_e32 0x80, v4
	s_cbranch_execz .LBB349_1155
; %bb.1150:                             ;   in Loop: Header=BB349_941 Depth=1
	v_and_b32_e32 v5, 0xffff, v4
	v_mov_b32_e32 v3, 0x7f800001
	s_mov_b32 s16, exec_lo
	s_delay_alu instid0(VALU_DEP_2) | instskip(NEXT) | instid1(VALU_DEP_1)
	v_and_b32_e32 v4, 0x7f, v5
	v_cmpx_ne_u32_e32 0x7f, v4
	s_cbranch_execz .LBB349_1154
; %bb.1151:                             ;   in Loop: Header=BB349_941 Depth=1
	v_dual_lshrrev_b32 v3, 3, v4 :: v_dual_bitop2_b32 v26, 7, v5 bitop3:0x40
	s_mov_b32 s17, exec_lo
	v_cmpx_gt_u32_e32 8, v4
; %bb.1152:                             ;   in Loop: Header=BB349_941 Depth=1
	s_delay_alu instid0(VALU_DEP_2) | instskip(NEXT) | instid1(VALU_DEP_1)
	v_clz_i32_u32_e32 v3, v26
	v_min_u32_e32 v3, 32, v3
	s_delay_alu instid0(VALU_DEP_1) | instskip(NEXT) | instid1(VALU_DEP_1)
	v_subrev_nc_u32_e32 v4, 28, v3
	v_lshlrev_b64_e32 v[4:5], v4, v[26:27]
	s_delay_alu instid0(VALU_DEP_1)
	v_dual_sub_nc_u32 v3, 29, v3 :: v_dual_bitop2_b32 v26, 7, v4 bitop3:0x40
; %bb.1153:                             ;   in Loop: Header=BB349_941 Depth=1
	s_or_b32 exec_lo, exec_lo, s17
	v_lshlrev_b32_e32 v4, 16, v18
	s_delay_alu instid0(VALU_DEP_2) | instskip(NEXT) | instid1(VALU_DEP_3)
	v_lshlrev_b32_e32 v5, 20, v26
	v_lshl_add_u32 v3, v3, 23, 0x3c000000
	s_delay_alu instid0(VALU_DEP_3) | instskip(NEXT) | instid1(VALU_DEP_1)
	v_and_b32_e32 v4, 0x80000000, v4
	v_or3_b32 v3, v5, v4, v3
.LBB349_1154:                           ;   in Loop: Header=BB349_941 Depth=1
	s_or_b32 exec_lo, exec_lo, s16
.LBB349_1155:                           ;   in Loop: Header=BB349_941 Depth=1
	s_delay_alu instid0(SALU_CYCLE_1)
	s_or_b32 exec_lo, exec_lo, s15
.LBB349_1156:                           ;   in Loop: Header=BB349_941 Depth=1
	s_delay_alu instid0(SALU_CYCLE_1) | instskip(SKIP_3) | instid1(VALU_DEP_2)
	s_or_b32 exec_lo, exec_lo, s14
	v_dual_mov_b32 v5, 0 :: v_dual_lshrrev_b32 v6, 16, v18
	v_mov_b32_e32 v4, 0
	s_mov_b32 s14, exec_lo
	v_and_b32_e32 v7, 0xff, v6
	s_delay_alu instid0(VALU_DEP_1)
	v_cmpx_ne_u16_e32 0, v7
	s_cbranch_execz .LBB349_1164
; %bb.1157:                             ;   in Loop: Header=BB349_941 Depth=1
	v_bfrev_b32_e32 v4, 1
	s_mov_b32 s15, exec_lo
	v_cmpx_ne_u16_e32 0x80, v7
	s_cbranch_execz .LBB349_1163
; %bb.1158:                             ;   in Loop: Header=BB349_941 Depth=1
	v_bfe_u32 v7, v18, 16, 7
	v_mov_b32_e32 v4, 0x7f800001
	s_mov_b32 s16, exec_lo
	s_delay_alu instid0(VALU_DEP_2)
	v_cmpx_ne_u32_e32 0x7f, v7
	s_cbranch_execz .LBB349_1162
; %bb.1159:                             ;   in Loop: Header=BB349_941 Depth=1
	v_dual_lshrrev_b32 v4, 3, v7 :: v_dual_bitop2_b32 v26, 7, v6 bitop3:0x40
	s_mov_b32 s17, exec_lo
	v_cmpx_gt_u32_e32 8, v7
; %bb.1160:                             ;   in Loop: Header=BB349_941 Depth=1
	s_delay_alu instid0(VALU_DEP_2) | instskip(NEXT) | instid1(VALU_DEP_1)
	v_clz_i32_u32_e32 v4, v26
	v_min_u32_e32 v4, 32, v4
	s_delay_alu instid0(VALU_DEP_1) | instskip(SKIP_1) | instid1(VALU_DEP_2)
	v_subrev_nc_u32_e32 v7, 28, v4
	v_sub_nc_u32_e32 v4, 29, v4
	v_lshlrev_b64_e32 v[8:9], v7, v[26:27]
	s_delay_alu instid0(VALU_DEP_1)
	v_and_b32_e32 v26, 7, v8
; %bb.1161:                             ;   in Loop: Header=BB349_941 Depth=1
	s_or_b32 exec_lo, exec_lo, s17
	v_lshlrev_b32_e32 v6, 24, v6
	s_delay_alu instid0(VALU_DEP_2) | instskip(SKIP_1) | instid1(VALU_DEP_3)
	v_lshlrev_b32_e32 v7, 20, v26
	v_lshl_add_u32 v4, v4, 23, 0x3c000000
	v_and_b32_e32 v6, 0x80000000, v6
	s_delay_alu instid0(VALU_DEP_1)
	v_or3_b32 v4, v7, v6, v4
.LBB349_1162:                           ;   in Loop: Header=BB349_941 Depth=1
	s_or_b32 exec_lo, exec_lo, s16
.LBB349_1163:                           ;   in Loop: Header=BB349_941 Depth=1
	s_delay_alu instid0(SALU_CYCLE_1)
	s_or_b32 exec_lo, exec_lo, s15
.LBB349_1164:                           ;   in Loop: Header=BB349_941 Depth=1
	s_delay_alu instid0(SALU_CYCLE_1) | instskip(NEXT) | instid1(SALU_CYCLE_1)
	s_or_b32 exec_lo, exec_lo, s14
	s_mov_b32 s14, exec_lo
	v_cmpx_lt_u32_e32 0xffffff, v18
	s_cbranch_execz .LBB349_1172
; %bb.1165:                             ;   in Loop: Header=BB349_941 Depth=1
	v_lshrrev_b32_e32 v6, 24, v18
	v_bfrev_b32_e32 v5, 1
	s_mov_b32 s15, exec_lo
	s_delay_alu instid0(VALU_DEP_2)
	v_cmpx_ne_u32_e32 0x80, v6
	s_cbranch_execz .LBB349_1171
; %bb.1166:                             ;   in Loop: Header=BB349_941 Depth=1
	v_bfe_u32 v7, v18, 24, 7
	v_mov_b32_e32 v5, 0x7f800001
	s_mov_b32 s16, exec_lo
	s_delay_alu instid0(VALU_DEP_2)
	v_cmpx_ne_u32_e32 0x7f, v7
	s_cbranch_execz .LBB349_1170
; %bb.1167:                             ;   in Loop: Header=BB349_941 Depth=1
	v_dual_lshrrev_b32 v5, 3, v7 :: v_dual_bitop2_b32 v26, 7, v6 bitop3:0x40
	s_mov_b32 s17, exec_lo
	v_cmpx_gt_u32_e32 8, v7
; %bb.1168:                             ;   in Loop: Header=BB349_941 Depth=1
	s_delay_alu instid0(VALU_DEP_2) | instskip(NEXT) | instid1(VALU_DEP_1)
	v_clz_i32_u32_e32 v5, v26
	v_min_u32_e32 v5, 32, v5
	s_delay_alu instid0(VALU_DEP_1) | instskip(NEXT) | instid1(VALU_DEP_1)
	v_subrev_nc_u32_e32 v7, 28, v5
	v_lshlrev_b64_e32 v[8:9], v7, v[26:27]
	s_delay_alu instid0(VALU_DEP_1)
	v_dual_sub_nc_u32 v5, 29, v5 :: v_dual_bitop2_b32 v26, 7, v8 bitop3:0x40
; %bb.1169:                             ;   in Loop: Header=BB349_941 Depth=1
	s_or_b32 exec_lo, exec_lo, s17
	v_lshlrev_b32_e32 v6, 24, v6
	s_delay_alu instid0(VALU_DEP_2) | instskip(NEXT) | instid1(VALU_DEP_3)
	v_lshlrev_b32_e32 v7, 20, v26
	v_lshl_add_u32 v5, v5, 23, 0x3c000000
	s_delay_alu instid0(VALU_DEP_3) | instskip(NEXT) | instid1(VALU_DEP_1)
	v_and_b32_e32 v6, 0x80000000, v6
	v_or3_b32 v5, v7, v6, v5
.LBB349_1170:                           ;   in Loop: Header=BB349_941 Depth=1
	s_or_b32 exec_lo, exec_lo, s16
.LBB349_1171:                           ;   in Loop: Header=BB349_941 Depth=1
	s_delay_alu instid0(SALU_CYCLE_1)
	s_or_b32 exec_lo, exec_lo, s15
.LBB349_1172:                           ;   in Loop: Header=BB349_941 Depth=1
	s_delay_alu instid0(SALU_CYCLE_1) | instskip(SKIP_4) | instid1(VALU_DEP_3)
	s_or_b32 exec_lo, exec_lo, s14
	v_and_b32_e32 v8, 0xff, v19
	v_dual_mov_b32 v26, v19 :: v_dual_mov_b32 v7, 0
	v_mov_b32_e32 v6, 0
	s_mov_b32 s14, exec_lo
	v_cmpx_ne_u16_e32 0, v8
	s_cbranch_execz .LBB349_1180
; %bb.1173:                             ;   in Loop: Header=BB349_941 Depth=1
	v_bfrev_b32_e32 v6, 1
	s_mov_b32 s15, exec_lo
	v_cmpx_ne_u16_e32 0x80, v8
	s_cbranch_execz .LBB349_1179
; %bb.1174:                             ;   in Loop: Header=BB349_941 Depth=1
	v_and_b32_e32 v8, 0x7f, v19
	v_mov_b32_e32 v6, 0x7f800001
	s_mov_b32 s16, exec_lo
	s_delay_alu instid0(VALU_DEP_2)
	v_cmpx_ne_u32_e32 0x7f, v8
	s_cbranch_execz .LBB349_1178
; %bb.1175:                             ;   in Loop: Header=BB349_941 Depth=1
	v_mov_b64_e32 v[22:23], v[26:27]
	v_lshrrev_b32_e32 v6, 3, v8
	s_mov_b32 s17, exec_lo
	v_cmpx_gt_u32_e32 8, v8
; %bb.1176:                             ;   in Loop: Header=BB349_941 Depth=1
	v_and_b32_e32 v6, 7, v19
	s_delay_alu instid0(VALU_DEP_1) | instskip(NEXT) | instid1(VALU_DEP_1)
	v_clz_i32_u32_e32 v6, v6
	v_min_u32_e32 v6, 32, v6
	s_delay_alu instid0(VALU_DEP_1) | instskip(SKIP_1) | instid1(VALU_DEP_2)
	v_subrev_nc_u32_e32 v8, 28, v6
	v_sub_nc_u32_e32 v6, 29, v6
	v_lshlrev_b64_e32 v[22:23], v8, v[26:27]
; %bb.1177:                             ;   in Loop: Header=BB349_941 Depth=1
	s_or_b32 exec_lo, exec_lo, s17
	s_delay_alu instid0(VALU_DEP_1) | instskip(SKIP_2) | instid1(VALU_DEP_3)
	v_lshlrev_b32_e32 v8, 20, v22
	v_lshlrev_b32_e32 v9, 24, v26
	v_lshl_add_u32 v6, v6, 23, 0x3c000000
	v_and_b32_e32 v8, 0x700000, v8
	s_delay_alu instid0(VALU_DEP_3) | instskip(NEXT) | instid1(VALU_DEP_1)
	v_and_b32_e32 v9, 0x80000000, v9
	v_or3_b32 v6, v8, v9, v6
.LBB349_1178:                           ;   in Loop: Header=BB349_941 Depth=1
	s_or_b32 exec_lo, exec_lo, s16
.LBB349_1179:                           ;   in Loop: Header=BB349_941 Depth=1
	s_delay_alu instid0(SALU_CYCLE_1)
	s_or_b32 exec_lo, exec_lo, s15
.LBB349_1180:                           ;   in Loop: Header=BB349_941 Depth=1
	s_delay_alu instid0(SALU_CYCLE_1) | instskip(SKIP_2) | instid1(VALU_DEP_1)
	s_or_b32 exec_lo, exec_lo, s14
	v_lshrrev_b16 v8, 8, v26
	s_mov_b32 s14, exec_lo
	v_cmpx_ne_u16_e32 0, v8
	s_cbranch_execz .LBB349_1188
; %bb.1181:                             ;   in Loop: Header=BB349_941 Depth=1
	v_bfrev_b32_e32 v7, 1
	s_mov_b32 s15, exec_lo
	v_cmpx_ne_u16_e32 0x80, v8
	s_cbranch_execz .LBB349_1187
; %bb.1182:                             ;   in Loop: Header=BB349_941 Depth=1
	v_and_b32_e32 v9, 0xffff, v8
	v_mov_b32_e32 v7, 0x7f800001
	s_mov_b32 s16, exec_lo
	s_delay_alu instid0(VALU_DEP_2) | instskip(NEXT) | instid1(VALU_DEP_1)
	v_and_b32_e32 v8, 0x7f, v9
	v_cmpx_ne_u32_e32 0x7f, v8
	s_cbranch_execz .LBB349_1186
; %bb.1183:                             ;   in Loop: Header=BB349_941 Depth=1
	v_dual_mov_b32 v23, v27 :: v_dual_bitop2_b32 v22, 7, v9 bitop3:0x40
	v_lshrrev_b32_e32 v7, 3, v8
	s_mov_b32 s17, exec_lo
	v_cmpx_gt_u32_e32 8, v8
; %bb.1184:                             ;   in Loop: Header=BB349_941 Depth=1
	s_delay_alu instid0(VALU_DEP_3) | instskip(NEXT) | instid1(VALU_DEP_1)
	v_clz_i32_u32_e32 v7, v22
	v_min_u32_e32 v7, 32, v7
	s_delay_alu instid0(VALU_DEP_1) | instskip(NEXT) | instid1(VALU_DEP_1)
	v_subrev_nc_u32_e32 v8, 28, v7
	v_lshlrev_b64_e32 v[8:9], v8, v[22:23]
	s_delay_alu instid0(VALU_DEP_1)
	v_dual_sub_nc_u32 v7, 29, v7 :: v_dual_bitop2_b32 v22, 7, v8 bitop3:0x40
; %bb.1185:                             ;   in Loop: Header=BB349_941 Depth=1
	s_or_b32 exec_lo, exec_lo, s17
	v_lshlrev_b32_e32 v8, 16, v26
	s_delay_alu instid0(VALU_DEP_2) | instskip(NEXT) | instid1(VALU_DEP_3)
	v_lshlrev_b32_e32 v9, 20, v22
	v_lshl_add_u32 v7, v7, 23, 0x3c000000
	s_delay_alu instid0(VALU_DEP_3) | instskip(NEXT) | instid1(VALU_DEP_1)
	v_and_b32_e32 v8, 0x80000000, v8
	v_or3_b32 v7, v9, v8, v7
.LBB349_1186:                           ;   in Loop: Header=BB349_941 Depth=1
	s_or_b32 exec_lo, exec_lo, s16
.LBB349_1187:                           ;   in Loop: Header=BB349_941 Depth=1
	s_delay_alu instid0(SALU_CYCLE_1)
	s_or_b32 exec_lo, exec_lo, s15
.LBB349_1188:                           ;   in Loop: Header=BB349_941 Depth=1
	s_delay_alu instid0(SALU_CYCLE_1) | instskip(SKIP_3) | instid1(VALU_DEP_2)
	s_or_b32 exec_lo, exec_lo, s14
	v_dual_lshrrev_b32 v16, 16, v19 :: v_dual_mov_b32 v8, 0
	v_mov_b32_e32 v9, 0
	s_mov_b32 s14, exec_lo
	v_and_b32_e32 v17, 0xff, v16
	s_delay_alu instid0(VALU_DEP_1)
	v_cmpx_ne_u16_e32 0, v17
	s_cbranch_execz .LBB349_1196
; %bb.1189:                             ;   in Loop: Header=BB349_941 Depth=1
	v_bfrev_b32_e32 v9, 1
	s_mov_b32 s15, exec_lo
	v_cmpx_ne_u16_e32 0x80, v17
	s_cbranch_execz .LBB349_1195
; %bb.1190:                             ;   in Loop: Header=BB349_941 Depth=1
	v_bfe_u32 v17, v19, 16, 7
	v_mov_b32_e32 v9, 0x7f800001
	s_mov_b32 s16, exec_lo
	s_delay_alu instid0(VALU_DEP_2)
	v_cmpx_ne_u32_e32 0x7f, v17
	s_cbranch_execz .LBB349_1194
; %bb.1191:                             ;   in Loop: Header=BB349_941 Depth=1
	v_dual_lshrrev_b32 v9, 3, v17 :: v_dual_bitop2_b32 v26, 7, v16 bitop3:0x40
	s_mov_b32 s17, exec_lo
	v_cmpx_gt_u32_e32 8, v17
; %bb.1192:                             ;   in Loop: Header=BB349_941 Depth=1
	s_delay_alu instid0(VALU_DEP_2) | instskip(NEXT) | instid1(VALU_DEP_1)
	v_clz_i32_u32_e32 v9, v26
	v_min_u32_e32 v9, 32, v9
	s_delay_alu instid0(VALU_DEP_1) | instskip(NEXT) | instid1(VALU_DEP_1)
	v_subrev_nc_u32_e32 v17, 28, v9
	v_lshlrev_b64_e32 v[22:23], v17, v[26:27]
	s_delay_alu instid0(VALU_DEP_1)
	v_dual_sub_nc_u32 v9, 29, v9 :: v_dual_bitop2_b32 v26, 7, v22 bitop3:0x40
; %bb.1193:                             ;   in Loop: Header=BB349_941 Depth=1
	s_or_b32 exec_lo, exec_lo, s17
	s_delay_alu instid0(VALU_DEP_1) | instskip(NEXT) | instid1(VALU_DEP_2)
	v_dual_lshlrev_b32 v16, 24, v16 :: v_dual_lshlrev_b32 v17, 20, v26
	v_lshl_add_u32 v9, v9, 23, 0x3c000000
	s_delay_alu instid0(VALU_DEP_2) | instskip(NEXT) | instid1(VALU_DEP_1)
	v_and_b32_e32 v16, 0x80000000, v16
	v_or3_b32 v9, v17, v16, v9
.LBB349_1194:                           ;   in Loop: Header=BB349_941 Depth=1
	s_or_b32 exec_lo, exec_lo, s16
.LBB349_1195:                           ;   in Loop: Header=BB349_941 Depth=1
	s_delay_alu instid0(SALU_CYCLE_1)
	s_or_b32 exec_lo, exec_lo, s15
.LBB349_1196:                           ;   in Loop: Header=BB349_941 Depth=1
	s_delay_alu instid0(SALU_CYCLE_1) | instskip(NEXT) | instid1(SALU_CYCLE_1)
	s_or_b32 exec_lo, exec_lo, s14
	s_mov_b32 s14, exec_lo
	v_cmpx_lt_u64_e64 s[2:3], v[18:19]
	s_cbranch_execz .LBB349_1204
; %bb.1197:                             ;   in Loop: Header=BB349_941 Depth=1
	v_lshrrev_b32_e32 v16, 24, v19
	v_bfrev_b32_e32 v8, 1
	s_mov_b32 s15, exec_lo
	s_delay_alu instid0(VALU_DEP_2)
	v_cmpx_ne_u32_e32 0x80, v16
	s_cbranch_execz .LBB349_1203
; %bb.1198:                             ;   in Loop: Header=BB349_941 Depth=1
	v_bfe_u32 v17, v19, 24, 7
	v_mov_b32_e32 v8, 0x7f800001
	s_mov_b32 s16, exec_lo
	s_delay_alu instid0(VALU_DEP_2)
	v_cmpx_ne_u32_e32 0x7f, v17
	s_cbranch_execz .LBB349_1202
; %bb.1199:                             ;   in Loop: Header=BB349_941 Depth=1
	v_dual_lshrrev_b32 v8, 3, v17 :: v_dual_bitop2_b32 v26, 7, v16 bitop3:0x40
	s_mov_b32 s17, exec_lo
	v_cmpx_gt_u32_e32 8, v17
; %bb.1200:                             ;   in Loop: Header=BB349_941 Depth=1
	s_delay_alu instid0(VALU_DEP_2) | instskip(NEXT) | instid1(VALU_DEP_1)
	v_clz_i32_u32_e32 v8, v26
	v_min_u32_e32 v8, 32, v8
	s_delay_alu instid0(VALU_DEP_1) | instskip(NEXT) | instid1(VALU_DEP_1)
	v_subrev_nc_u32_e32 v17, 28, v8
	v_lshlrev_b64_e32 v[18:19], v17, v[26:27]
	s_delay_alu instid0(VALU_DEP_1)
	v_dual_sub_nc_u32 v8, 29, v8 :: v_dual_bitop2_b32 v26, 7, v18 bitop3:0x40
; %bb.1201:                             ;   in Loop: Header=BB349_941 Depth=1
	s_or_b32 exec_lo, exec_lo, s17
	s_delay_alu instid0(VALU_DEP_1) | instskip(NEXT) | instid1(VALU_DEP_2)
	v_dual_lshlrev_b32 v16, 24, v16 :: v_dual_lshlrev_b32 v17, 20, v26
	v_lshl_add_u32 v8, v8, 23, 0x3c000000
	s_delay_alu instid0(VALU_DEP_2) | instskip(NEXT) | instid1(VALU_DEP_1)
	v_and_b32_e32 v16, 0x80000000, v16
	v_or3_b32 v8, v17, v16, v8
.LBB349_1202:                           ;   in Loop: Header=BB349_941 Depth=1
	s_or_b32 exec_lo, exec_lo, s16
.LBB349_1203:                           ;   in Loop: Header=BB349_941 Depth=1
	s_delay_alu instid0(SALU_CYCLE_1)
	s_or_b32 exec_lo, exec_lo, s15
.LBB349_1204:                           ;   in Loop: Header=BB349_941 Depth=1
	s_delay_alu instid0(SALU_CYCLE_1)
	s_or_b32 exec_lo, exec_lo, s14
	v_fma_mixlo_bf16 v2, v96, v2, 0
	v_fma_mixlo_bf16 v7, v96, v7, 0
	;; [unrolled: 1-line block ×5, first 2 shown]
	scratch_store_b32 off, v2, s32 offset:308 ; 4-byte Folded Spill
	s_wait_xcnt 0x0
	v_fma_mixlo_bf16 v2, v96, v9, 0
	s_clause 0x1
	scratch_store_b32 off, v7, s32 offset:252
	scratch_store_b32 off, v6, s32 offset:260
	v_fma_mixlo_bf16 v3, v96, v3, 0
	s_clause 0x1
	scratch_store_b32 off, v5, s32 offset:284
	scratch_store_b32 off, v2, s32 offset:268
	s_wait_xcnt 0x0
	v_fma_mixlo_bf16 v2, v96, v8, 0
	s_clause 0x2
	scratch_store_b32 off, v4, s32 offset:292
	scratch_store_b32 off, v3, s32 offset:300
	;; [unrolled: 1-line block ×3, first 2 shown]
	s_wait_xcnt 0x0
	s_and_saveexec_b32 s14, vcc_lo
	s_cbranch_execz .LBB349_1206
; %bb.1205:                             ;   in Loop: Header=BB349_941 Depth=1
	scratch_load_b32 v2, off, s32 offset:308 ; 4-byte Folded Reload
	v_cmp_lt_i32_e64 s0, v100, v126
	s_wait_loadcnt 0x0
	s_delay_alu instid0(VALU_DEP_1)
	v_cndmask_b32_e64 v2, 0, v2, s0
	v_cmp_lt_i32_e64 s0, v112, v126
	s_clause 0x1
	scratch_store_b32 off, v2, s32 offset:308
	scratch_load_b32 v2, off, s32 offset:300
	s_wait_loadcnt 0x0
	v_cndmask_b32_e64 v2, 0, v2, s0
	v_cmp_lt_i32_e64 s0, v103, v126
	s_clause 0x1
	scratch_store_b32 off, v2, s32 offset:300
	scratch_load_b32 v2, off, s32 offset:292
	s_wait_loadcnt 0x0
	v_cndmask_b32_e64 v2, 0, v2, s0
	v_cmp_lt_i32_e64 s0, v102, v126
	s_clause 0x1
	scratch_store_b32 off, v2, s32 offset:292
	scratch_load_b32 v2, off, s32 offset:284
	s_wait_loadcnt 0x0
	v_cndmask_b32_e64 v2, 0, v2, s0
	v_cmp_lt_i32_e64 s0, v101, v126
	s_clause 0x1
	scratch_store_b32 off, v2, s32 offset:284
	scratch_load_b32 v2, off, s32 offset:260
	s_wait_loadcnt 0x0
	v_cndmask_b32_e64 v2, 0, v2, s0
	v_cmp_lt_i32_e64 s0, v99, v126
	s_clause 0x1
	scratch_store_b32 off, v2, s32 offset:260
	scratch_load_b32 v2, off, s32 offset:252
	s_wait_loadcnt 0x0
	v_cndmask_b32_e64 v2, 0, v2, s0
	v_cmp_lt_i32_e64 s0, v98, v126
	s_clause 0x1
	scratch_store_b32 off, v2, s32 offset:252
	scratch_load_b32 v2, off, s32 offset:268
	s_wait_loadcnt 0x0
	v_cndmask_b32_e64 v2, 0, v2, s0
	v_cmp_lt_i32_e64 s0, v97, v126
	s_clause 0x1
	scratch_store_b32 off, v2, s32 offset:268
	scratch_load_b32 v2, off, s32 offset:276
	s_wait_loadcnt 0x0
	v_cndmask_b32_e64 v2, 0, v2, s0
	scratch_store_b32 off, v2, s32 offset:276 ; 4-byte Folded Spill
.LBB349_1206:                           ;   in Loop: Header=BB349_941 Depth=1
	s_wait_xcnt 0x0
	s_or_b32 exec_lo, exec_lo, s14
	flat_load_b64 v[18:19], v[0:1] offset:1024
	v_dual_mov_b32 v3, 0 :: v_dual_mov_b32 v2, 0
	s_mov_b32 s14, exec_lo
	s_wait_loadcnt_dscnt 0x0
	v_and_b32_e32 v4, 0xff, v18
	s_wait_xcnt 0x0
	s_delay_alu instid0(VALU_DEP_1)
	v_cmpx_ne_u16_e32 0, v4
	s_cbranch_execz .LBB349_1214
; %bb.1207:                             ;   in Loop: Header=BB349_941 Depth=1
	v_bfrev_b32_e32 v2, 1
	s_mov_b32 s15, exec_lo
	v_cmpx_ne_u16_e32 0x80, v4
	s_cbranch_execz .LBB349_1213
; %bb.1208:                             ;   in Loop: Header=BB349_941 Depth=1
	v_and_b32_e32 v4, 0x7f, v18
	v_mov_b32_e32 v2, 0x7f800001
	s_mov_b32 s16, exec_lo
	s_delay_alu instid0(VALU_DEP_2)
	v_cmpx_ne_u32_e32 0x7f, v4
	s_cbranch_execz .LBB349_1212
; %bb.1209:                             ;   in Loop: Header=BB349_941 Depth=1
	v_mov_b64_e32 v[22:23], v[18:19]
	v_lshrrev_b32_e32 v2, 3, v4
	s_mov_b32 s17, exec_lo
	v_cmpx_gt_u32_e32 8, v4
; %bb.1210:                             ;   in Loop: Header=BB349_941 Depth=1
	v_and_b32_e32 v2, 7, v18
	s_delay_alu instid0(VALU_DEP_1) | instskip(NEXT) | instid1(VALU_DEP_1)
	v_clz_i32_u32_e32 v2, v2
	v_min_u32_e32 v2, 32, v2
	s_delay_alu instid0(VALU_DEP_1) | instskip(SKIP_1) | instid1(VALU_DEP_2)
	v_subrev_nc_u32_e32 v4, 28, v2
	v_sub_nc_u32_e32 v2, 29, v2
	v_lshlrev_b64_e32 v[22:23], v4, v[18:19]
; %bb.1211:                             ;   in Loop: Header=BB349_941 Depth=1
	s_or_b32 exec_lo, exec_lo, s17
	s_delay_alu instid0(VALU_DEP_1) | instskip(SKIP_2) | instid1(VALU_DEP_3)
	v_lshlrev_b32_e32 v4, 20, v22
	v_lshlrev_b32_e32 v5, 24, v18
	v_lshl_add_u32 v2, v2, 23, 0x3c000000
	v_and_b32_e32 v4, 0x700000, v4
	s_delay_alu instid0(VALU_DEP_3) | instskip(NEXT) | instid1(VALU_DEP_1)
	v_and_b32_e32 v5, 0x80000000, v5
	v_or3_b32 v2, v4, v5, v2
.LBB349_1212:                           ;   in Loop: Header=BB349_941 Depth=1
	s_or_b32 exec_lo, exec_lo, s16
.LBB349_1213:                           ;   in Loop: Header=BB349_941 Depth=1
	s_delay_alu instid0(SALU_CYCLE_1)
	s_or_b32 exec_lo, exec_lo, s15
.LBB349_1214:                           ;   in Loop: Header=BB349_941 Depth=1
	s_delay_alu instid0(SALU_CYCLE_1) | instskip(SKIP_2) | instid1(VALU_DEP_1)
	s_or_b32 exec_lo, exec_lo, s14
	v_lshrrev_b16 v4, 8, v18
	s_mov_b32 s14, exec_lo
	v_cmpx_ne_u16_e32 0, v4
	s_cbranch_execz .LBB349_1222
; %bb.1215:                             ;   in Loop: Header=BB349_941 Depth=1
	v_bfrev_b32_e32 v3, 1
	s_mov_b32 s15, exec_lo
	v_cmpx_ne_u16_e32 0x80, v4
	s_cbranch_execz .LBB349_1221
; %bb.1216:                             ;   in Loop: Header=BB349_941 Depth=1
	v_and_b32_e32 v5, 0xffff, v4
	v_mov_b32_e32 v3, 0x7f800001
	s_mov_b32 s16, exec_lo
	s_delay_alu instid0(VALU_DEP_2) | instskip(NEXT) | instid1(VALU_DEP_1)
	v_and_b32_e32 v4, 0x7f, v5
	v_cmpx_ne_u32_e32 0x7f, v4
	s_cbranch_execz .LBB349_1220
; %bb.1217:                             ;   in Loop: Header=BB349_941 Depth=1
	v_dual_lshrrev_b32 v3, 3, v4 :: v_dual_bitop2_b32 v26, 7, v5 bitop3:0x40
	s_mov_b32 s17, exec_lo
	v_cmpx_gt_u32_e32 8, v4
; %bb.1218:                             ;   in Loop: Header=BB349_941 Depth=1
	s_delay_alu instid0(VALU_DEP_2) | instskip(NEXT) | instid1(VALU_DEP_1)
	v_clz_i32_u32_e32 v3, v26
	v_min_u32_e32 v3, 32, v3
	s_delay_alu instid0(VALU_DEP_1) | instskip(NEXT) | instid1(VALU_DEP_1)
	v_subrev_nc_u32_e32 v4, 28, v3
	v_lshlrev_b64_e32 v[4:5], v4, v[26:27]
	s_delay_alu instid0(VALU_DEP_1)
	v_dual_sub_nc_u32 v3, 29, v3 :: v_dual_bitop2_b32 v26, 7, v4 bitop3:0x40
; %bb.1219:                             ;   in Loop: Header=BB349_941 Depth=1
	s_or_b32 exec_lo, exec_lo, s17
	v_lshlrev_b32_e32 v4, 16, v18
	s_delay_alu instid0(VALU_DEP_2) | instskip(NEXT) | instid1(VALU_DEP_3)
	v_lshlrev_b32_e32 v5, 20, v26
	v_lshl_add_u32 v3, v3, 23, 0x3c000000
	s_delay_alu instid0(VALU_DEP_3) | instskip(NEXT) | instid1(VALU_DEP_1)
	v_and_b32_e32 v4, 0x80000000, v4
	v_or3_b32 v3, v5, v4, v3
.LBB349_1220:                           ;   in Loop: Header=BB349_941 Depth=1
	s_or_b32 exec_lo, exec_lo, s16
.LBB349_1221:                           ;   in Loop: Header=BB349_941 Depth=1
	s_delay_alu instid0(SALU_CYCLE_1)
	s_or_b32 exec_lo, exec_lo, s15
.LBB349_1222:                           ;   in Loop: Header=BB349_941 Depth=1
	s_delay_alu instid0(SALU_CYCLE_1) | instskip(SKIP_3) | instid1(VALU_DEP_2)
	s_or_b32 exec_lo, exec_lo, s14
	v_dual_mov_b32 v5, 0 :: v_dual_lshrrev_b32 v6, 16, v18
	v_mov_b32_e32 v4, 0
	s_mov_b32 s14, exec_lo
	v_and_b32_e32 v7, 0xff, v6
	s_delay_alu instid0(VALU_DEP_1)
	v_cmpx_ne_u16_e32 0, v7
	s_cbranch_execz .LBB349_1230
; %bb.1223:                             ;   in Loop: Header=BB349_941 Depth=1
	v_bfrev_b32_e32 v4, 1
	s_mov_b32 s15, exec_lo
	v_cmpx_ne_u16_e32 0x80, v7
	s_cbranch_execz .LBB349_1229
; %bb.1224:                             ;   in Loop: Header=BB349_941 Depth=1
	v_bfe_u32 v7, v18, 16, 7
	v_mov_b32_e32 v4, 0x7f800001
	s_mov_b32 s16, exec_lo
	s_delay_alu instid0(VALU_DEP_2)
	v_cmpx_ne_u32_e32 0x7f, v7
	s_cbranch_execz .LBB349_1228
; %bb.1225:                             ;   in Loop: Header=BB349_941 Depth=1
	v_dual_lshrrev_b32 v4, 3, v7 :: v_dual_bitop2_b32 v26, 7, v6 bitop3:0x40
	s_mov_b32 s17, exec_lo
	v_cmpx_gt_u32_e32 8, v7
; %bb.1226:                             ;   in Loop: Header=BB349_941 Depth=1
	s_delay_alu instid0(VALU_DEP_2) | instskip(NEXT) | instid1(VALU_DEP_1)
	v_clz_i32_u32_e32 v4, v26
	v_min_u32_e32 v4, 32, v4
	s_delay_alu instid0(VALU_DEP_1) | instskip(SKIP_1) | instid1(VALU_DEP_2)
	v_subrev_nc_u32_e32 v7, 28, v4
	v_sub_nc_u32_e32 v4, 29, v4
	v_lshlrev_b64_e32 v[8:9], v7, v[26:27]
	s_delay_alu instid0(VALU_DEP_1)
	v_and_b32_e32 v26, 7, v8
; %bb.1227:                             ;   in Loop: Header=BB349_941 Depth=1
	s_or_b32 exec_lo, exec_lo, s17
	v_lshlrev_b32_e32 v6, 24, v6
	s_delay_alu instid0(VALU_DEP_2) | instskip(SKIP_1) | instid1(VALU_DEP_3)
	v_lshlrev_b32_e32 v7, 20, v26
	v_lshl_add_u32 v4, v4, 23, 0x3c000000
	v_and_b32_e32 v6, 0x80000000, v6
	s_delay_alu instid0(VALU_DEP_1)
	v_or3_b32 v4, v7, v6, v4
.LBB349_1228:                           ;   in Loop: Header=BB349_941 Depth=1
	s_or_b32 exec_lo, exec_lo, s16
.LBB349_1229:                           ;   in Loop: Header=BB349_941 Depth=1
	s_delay_alu instid0(SALU_CYCLE_1)
	s_or_b32 exec_lo, exec_lo, s15
.LBB349_1230:                           ;   in Loop: Header=BB349_941 Depth=1
	s_delay_alu instid0(SALU_CYCLE_1) | instskip(NEXT) | instid1(SALU_CYCLE_1)
	s_or_b32 exec_lo, exec_lo, s14
	s_mov_b32 s14, exec_lo
	v_cmpx_lt_u32_e32 0xffffff, v18
	s_cbranch_execz .LBB349_1238
; %bb.1231:                             ;   in Loop: Header=BB349_941 Depth=1
	v_lshrrev_b32_e32 v6, 24, v18
	v_bfrev_b32_e32 v5, 1
	s_mov_b32 s15, exec_lo
	s_delay_alu instid0(VALU_DEP_2)
	v_cmpx_ne_u32_e32 0x80, v6
	s_cbranch_execz .LBB349_1237
; %bb.1232:                             ;   in Loop: Header=BB349_941 Depth=1
	v_bfe_u32 v7, v18, 24, 7
	v_mov_b32_e32 v5, 0x7f800001
	s_mov_b32 s16, exec_lo
	s_delay_alu instid0(VALU_DEP_2)
	v_cmpx_ne_u32_e32 0x7f, v7
	s_cbranch_execz .LBB349_1236
; %bb.1233:                             ;   in Loop: Header=BB349_941 Depth=1
	v_dual_lshrrev_b32 v5, 3, v7 :: v_dual_bitop2_b32 v26, 7, v6 bitop3:0x40
	s_mov_b32 s17, exec_lo
	v_cmpx_gt_u32_e32 8, v7
; %bb.1234:                             ;   in Loop: Header=BB349_941 Depth=1
	s_delay_alu instid0(VALU_DEP_2) | instskip(NEXT) | instid1(VALU_DEP_1)
	v_clz_i32_u32_e32 v5, v26
	v_min_u32_e32 v5, 32, v5
	s_delay_alu instid0(VALU_DEP_1) | instskip(NEXT) | instid1(VALU_DEP_1)
	v_subrev_nc_u32_e32 v7, 28, v5
	v_lshlrev_b64_e32 v[8:9], v7, v[26:27]
	s_delay_alu instid0(VALU_DEP_1)
	v_dual_sub_nc_u32 v5, 29, v5 :: v_dual_bitop2_b32 v26, 7, v8 bitop3:0x40
; %bb.1235:                             ;   in Loop: Header=BB349_941 Depth=1
	s_or_b32 exec_lo, exec_lo, s17
	v_lshlrev_b32_e32 v6, 24, v6
	s_delay_alu instid0(VALU_DEP_2) | instskip(NEXT) | instid1(VALU_DEP_3)
	v_lshlrev_b32_e32 v7, 20, v26
	v_lshl_add_u32 v5, v5, 23, 0x3c000000
	s_delay_alu instid0(VALU_DEP_3) | instskip(NEXT) | instid1(VALU_DEP_1)
	v_and_b32_e32 v6, 0x80000000, v6
	v_or3_b32 v5, v7, v6, v5
.LBB349_1236:                           ;   in Loop: Header=BB349_941 Depth=1
	s_or_b32 exec_lo, exec_lo, s16
.LBB349_1237:                           ;   in Loop: Header=BB349_941 Depth=1
	s_delay_alu instid0(SALU_CYCLE_1)
	s_or_b32 exec_lo, exec_lo, s15
.LBB349_1238:                           ;   in Loop: Header=BB349_941 Depth=1
	s_delay_alu instid0(SALU_CYCLE_1) | instskip(SKIP_4) | instid1(VALU_DEP_3)
	s_or_b32 exec_lo, exec_lo, s14
	v_and_b32_e32 v8, 0xff, v19
	v_dual_mov_b32 v26, v19 :: v_dual_mov_b32 v7, 0
	v_mov_b32_e32 v6, 0
	s_mov_b32 s14, exec_lo
	v_cmpx_ne_u16_e32 0, v8
	s_cbranch_execz .LBB349_1246
; %bb.1239:                             ;   in Loop: Header=BB349_941 Depth=1
	v_bfrev_b32_e32 v6, 1
	s_mov_b32 s15, exec_lo
	v_cmpx_ne_u16_e32 0x80, v8
	s_cbranch_execz .LBB349_1245
; %bb.1240:                             ;   in Loop: Header=BB349_941 Depth=1
	v_and_b32_e32 v8, 0x7f, v19
	v_mov_b32_e32 v6, 0x7f800001
	s_mov_b32 s16, exec_lo
	s_delay_alu instid0(VALU_DEP_2)
	v_cmpx_ne_u32_e32 0x7f, v8
	s_cbranch_execz .LBB349_1244
; %bb.1241:                             ;   in Loop: Header=BB349_941 Depth=1
	v_mov_b64_e32 v[22:23], v[26:27]
	v_lshrrev_b32_e32 v6, 3, v8
	s_mov_b32 s17, exec_lo
	v_cmpx_gt_u32_e32 8, v8
; %bb.1242:                             ;   in Loop: Header=BB349_941 Depth=1
	v_and_b32_e32 v6, 7, v19
	s_delay_alu instid0(VALU_DEP_1) | instskip(NEXT) | instid1(VALU_DEP_1)
	v_clz_i32_u32_e32 v6, v6
	v_min_u32_e32 v6, 32, v6
	s_delay_alu instid0(VALU_DEP_1) | instskip(SKIP_1) | instid1(VALU_DEP_2)
	v_subrev_nc_u32_e32 v8, 28, v6
	v_sub_nc_u32_e32 v6, 29, v6
	v_lshlrev_b64_e32 v[22:23], v8, v[26:27]
; %bb.1243:                             ;   in Loop: Header=BB349_941 Depth=1
	s_or_b32 exec_lo, exec_lo, s17
	s_delay_alu instid0(VALU_DEP_1) | instskip(SKIP_2) | instid1(VALU_DEP_3)
	v_lshlrev_b32_e32 v8, 20, v22
	v_lshlrev_b32_e32 v9, 24, v26
	v_lshl_add_u32 v6, v6, 23, 0x3c000000
	v_and_b32_e32 v8, 0x700000, v8
	s_delay_alu instid0(VALU_DEP_3) | instskip(NEXT) | instid1(VALU_DEP_1)
	v_and_b32_e32 v9, 0x80000000, v9
	v_or3_b32 v6, v8, v9, v6
.LBB349_1244:                           ;   in Loop: Header=BB349_941 Depth=1
	s_or_b32 exec_lo, exec_lo, s16
.LBB349_1245:                           ;   in Loop: Header=BB349_941 Depth=1
	s_delay_alu instid0(SALU_CYCLE_1)
	s_or_b32 exec_lo, exec_lo, s15
.LBB349_1246:                           ;   in Loop: Header=BB349_941 Depth=1
	s_delay_alu instid0(SALU_CYCLE_1) | instskip(SKIP_2) | instid1(VALU_DEP_1)
	s_or_b32 exec_lo, exec_lo, s14
	v_lshrrev_b16 v8, 8, v26
	s_mov_b32 s14, exec_lo
	v_cmpx_ne_u16_e32 0, v8
	s_cbranch_execz .LBB349_1254
; %bb.1247:                             ;   in Loop: Header=BB349_941 Depth=1
	v_bfrev_b32_e32 v7, 1
	s_mov_b32 s15, exec_lo
	v_cmpx_ne_u16_e32 0x80, v8
	s_cbranch_execz .LBB349_1253
; %bb.1248:                             ;   in Loop: Header=BB349_941 Depth=1
	v_and_b32_e32 v9, 0xffff, v8
	v_mov_b32_e32 v7, 0x7f800001
	s_mov_b32 s16, exec_lo
	s_delay_alu instid0(VALU_DEP_2) | instskip(NEXT) | instid1(VALU_DEP_1)
	v_and_b32_e32 v8, 0x7f, v9
	v_cmpx_ne_u32_e32 0x7f, v8
	s_cbranch_execz .LBB349_1252
; %bb.1249:                             ;   in Loop: Header=BB349_941 Depth=1
	v_dual_mov_b32 v23, v27 :: v_dual_bitop2_b32 v22, 7, v9 bitop3:0x40
	v_lshrrev_b32_e32 v7, 3, v8
	s_mov_b32 s17, exec_lo
	v_cmpx_gt_u32_e32 8, v8
; %bb.1250:                             ;   in Loop: Header=BB349_941 Depth=1
	s_delay_alu instid0(VALU_DEP_3) | instskip(NEXT) | instid1(VALU_DEP_1)
	v_clz_i32_u32_e32 v7, v22
	v_min_u32_e32 v7, 32, v7
	s_delay_alu instid0(VALU_DEP_1) | instskip(NEXT) | instid1(VALU_DEP_1)
	v_subrev_nc_u32_e32 v8, 28, v7
	v_lshlrev_b64_e32 v[8:9], v8, v[22:23]
	s_delay_alu instid0(VALU_DEP_1)
	v_dual_sub_nc_u32 v7, 29, v7 :: v_dual_bitop2_b32 v22, 7, v8 bitop3:0x40
; %bb.1251:                             ;   in Loop: Header=BB349_941 Depth=1
	s_or_b32 exec_lo, exec_lo, s17
	v_lshlrev_b32_e32 v8, 16, v26
	s_delay_alu instid0(VALU_DEP_2) | instskip(NEXT) | instid1(VALU_DEP_3)
	v_lshlrev_b32_e32 v9, 20, v22
	v_lshl_add_u32 v7, v7, 23, 0x3c000000
	s_delay_alu instid0(VALU_DEP_3) | instskip(NEXT) | instid1(VALU_DEP_1)
	v_and_b32_e32 v8, 0x80000000, v8
	v_or3_b32 v7, v9, v8, v7
.LBB349_1252:                           ;   in Loop: Header=BB349_941 Depth=1
	s_or_b32 exec_lo, exec_lo, s16
.LBB349_1253:                           ;   in Loop: Header=BB349_941 Depth=1
	s_delay_alu instid0(SALU_CYCLE_1)
	s_or_b32 exec_lo, exec_lo, s15
.LBB349_1254:                           ;   in Loop: Header=BB349_941 Depth=1
	s_delay_alu instid0(SALU_CYCLE_1) | instskip(SKIP_3) | instid1(VALU_DEP_2)
	s_or_b32 exec_lo, exec_lo, s14
	v_dual_lshrrev_b32 v16, 16, v19 :: v_dual_mov_b32 v8, 0
	v_mov_b32_e32 v9, 0
	s_mov_b32 s14, exec_lo
	v_and_b32_e32 v17, 0xff, v16
	s_delay_alu instid0(VALU_DEP_1)
	v_cmpx_ne_u16_e32 0, v17
	s_cbranch_execz .LBB349_1262
; %bb.1255:                             ;   in Loop: Header=BB349_941 Depth=1
	v_bfrev_b32_e32 v9, 1
	s_mov_b32 s15, exec_lo
	v_cmpx_ne_u16_e32 0x80, v17
	s_cbranch_execz .LBB349_1261
; %bb.1256:                             ;   in Loop: Header=BB349_941 Depth=1
	v_bfe_u32 v17, v19, 16, 7
	v_mov_b32_e32 v9, 0x7f800001
	s_mov_b32 s16, exec_lo
	s_delay_alu instid0(VALU_DEP_2)
	v_cmpx_ne_u32_e32 0x7f, v17
	s_cbranch_execz .LBB349_1260
; %bb.1257:                             ;   in Loop: Header=BB349_941 Depth=1
	v_dual_lshrrev_b32 v9, 3, v17 :: v_dual_bitop2_b32 v26, 7, v16 bitop3:0x40
	s_mov_b32 s17, exec_lo
	v_cmpx_gt_u32_e32 8, v17
; %bb.1258:                             ;   in Loop: Header=BB349_941 Depth=1
	s_delay_alu instid0(VALU_DEP_2) | instskip(NEXT) | instid1(VALU_DEP_1)
	v_clz_i32_u32_e32 v9, v26
	v_min_u32_e32 v9, 32, v9
	s_delay_alu instid0(VALU_DEP_1) | instskip(NEXT) | instid1(VALU_DEP_1)
	v_subrev_nc_u32_e32 v17, 28, v9
	v_lshlrev_b64_e32 v[22:23], v17, v[26:27]
	s_delay_alu instid0(VALU_DEP_1)
	v_dual_sub_nc_u32 v9, 29, v9 :: v_dual_bitop2_b32 v26, 7, v22 bitop3:0x40
; %bb.1259:                             ;   in Loop: Header=BB349_941 Depth=1
	s_or_b32 exec_lo, exec_lo, s17
	s_delay_alu instid0(VALU_DEP_1) | instskip(NEXT) | instid1(VALU_DEP_2)
	v_dual_lshlrev_b32 v16, 24, v16 :: v_dual_lshlrev_b32 v17, 20, v26
	v_lshl_add_u32 v9, v9, 23, 0x3c000000
	s_delay_alu instid0(VALU_DEP_2) | instskip(NEXT) | instid1(VALU_DEP_1)
	v_and_b32_e32 v16, 0x80000000, v16
	v_or3_b32 v9, v17, v16, v9
.LBB349_1260:                           ;   in Loop: Header=BB349_941 Depth=1
	s_or_b32 exec_lo, exec_lo, s16
.LBB349_1261:                           ;   in Loop: Header=BB349_941 Depth=1
	s_delay_alu instid0(SALU_CYCLE_1)
	s_or_b32 exec_lo, exec_lo, s15
.LBB349_1262:                           ;   in Loop: Header=BB349_941 Depth=1
	s_delay_alu instid0(SALU_CYCLE_1) | instskip(NEXT) | instid1(SALU_CYCLE_1)
	s_or_b32 exec_lo, exec_lo, s14
	s_mov_b32 s14, exec_lo
	v_cmpx_lt_u64_e64 s[2:3], v[18:19]
	s_cbranch_execz .LBB349_1270
; %bb.1263:                             ;   in Loop: Header=BB349_941 Depth=1
	v_lshrrev_b32_e32 v16, 24, v19
	v_bfrev_b32_e32 v8, 1
	s_mov_b32 s15, exec_lo
	s_delay_alu instid0(VALU_DEP_2)
	v_cmpx_ne_u32_e32 0x80, v16
	s_cbranch_execz .LBB349_1269
; %bb.1264:                             ;   in Loop: Header=BB349_941 Depth=1
	v_bfe_u32 v17, v19, 24, 7
	v_mov_b32_e32 v8, 0x7f800001
	s_mov_b32 s16, exec_lo
	s_delay_alu instid0(VALU_DEP_2)
	v_cmpx_ne_u32_e32 0x7f, v17
	s_cbranch_execz .LBB349_1268
; %bb.1265:                             ;   in Loop: Header=BB349_941 Depth=1
	v_dual_lshrrev_b32 v8, 3, v17 :: v_dual_bitop2_b32 v26, 7, v16 bitop3:0x40
	s_mov_b32 s17, exec_lo
	v_cmpx_gt_u32_e32 8, v17
; %bb.1266:                             ;   in Loop: Header=BB349_941 Depth=1
	s_delay_alu instid0(VALU_DEP_2) | instskip(NEXT) | instid1(VALU_DEP_1)
	v_clz_i32_u32_e32 v8, v26
	v_min_u32_e32 v8, 32, v8
	s_delay_alu instid0(VALU_DEP_1) | instskip(NEXT) | instid1(VALU_DEP_1)
	v_subrev_nc_u32_e32 v17, 28, v8
	v_lshlrev_b64_e32 v[18:19], v17, v[26:27]
	s_delay_alu instid0(VALU_DEP_1)
	v_dual_sub_nc_u32 v8, 29, v8 :: v_dual_bitop2_b32 v26, 7, v18 bitop3:0x40
; %bb.1267:                             ;   in Loop: Header=BB349_941 Depth=1
	s_or_b32 exec_lo, exec_lo, s17
	s_delay_alu instid0(VALU_DEP_1) | instskip(NEXT) | instid1(VALU_DEP_2)
	v_dual_lshlrev_b32 v16, 24, v16 :: v_dual_lshlrev_b32 v17, 20, v26
	v_lshl_add_u32 v8, v8, 23, 0x3c000000
	s_delay_alu instid0(VALU_DEP_2) | instskip(NEXT) | instid1(VALU_DEP_1)
	v_and_b32_e32 v16, 0x80000000, v16
	v_or3_b32 v8, v17, v16, v8
.LBB349_1268:                           ;   in Loop: Header=BB349_941 Depth=1
	s_or_b32 exec_lo, exec_lo, s16
.LBB349_1269:                           ;   in Loop: Header=BB349_941 Depth=1
	s_delay_alu instid0(SALU_CYCLE_1)
	s_or_b32 exec_lo, exec_lo, s15
.LBB349_1270:                           ;   in Loop: Header=BB349_941 Depth=1
	s_delay_alu instid0(SALU_CYCLE_1)
	s_or_b32 exec_lo, exec_lo, s14
	v_fma_mixlo_bf16 v2, v96, v2, 0
	v_fma_mixlo_bf16 v7, v96, v7, 0
	;; [unrolled: 1-line block ×5, first 2 shown]
	scratch_store_b32 off, v2, s32 offset:372 ; 4-byte Folded Spill
	s_wait_xcnt 0x0
	v_fma_mixlo_bf16 v2, v96, v9, 0
	s_clause 0x1
	scratch_store_b32 off, v7, s32 offset:316
	scratch_store_b32 off, v6, s32 offset:324
	v_fma_mixlo_bf16 v3, v96, v3, 0
	s_clause 0x1
	scratch_store_b32 off, v5, s32 offset:348
	scratch_store_b32 off, v2, s32 offset:332
	s_wait_xcnt 0x0
	v_fma_mixlo_bf16 v2, v96, v8, 0
	s_clause 0x2
	scratch_store_b32 off, v4, s32 offset:356
	scratch_store_b32 off, v3, s32 offset:364
	;; [unrolled: 1-line block ×3, first 2 shown]
	s_wait_xcnt 0x0
	s_and_saveexec_b32 s14, vcc_lo
	s_cbranch_execz .LBB349_1272
; %bb.1271:                             ;   in Loop: Header=BB349_941 Depth=1
	scratch_load_b32 v2, off, s32 offset:372 ; 4-byte Folded Reload
	v_cmp_lt_i32_e64 s0, v100, v126
	s_wait_loadcnt 0x0
	s_delay_alu instid0(VALU_DEP_1)
	v_cndmask_b32_e64 v2, 0, v2, s0
	v_cmp_lt_i32_e64 s0, v112, v126
	s_clause 0x1
	scratch_store_b32 off, v2, s32 offset:372
	scratch_load_b32 v2, off, s32 offset:364
	s_wait_loadcnt 0x0
	v_cndmask_b32_e64 v2, 0, v2, s0
	v_cmp_lt_i32_e64 s0, v103, v126
	s_clause 0x1
	scratch_store_b32 off, v2, s32 offset:364
	scratch_load_b32 v2, off, s32 offset:356
	s_wait_loadcnt 0x0
	;; [unrolled: 6-line block ×7, first 2 shown]
	v_cndmask_b32_e64 v2, 0, v2, s0
	scratch_store_b32 off, v2, s32 offset:340 ; 4-byte Folded Spill
.LBB349_1272:                           ;   in Loop: Header=BB349_941 Depth=1
	s_wait_xcnt 0x0
	s_or_b32 exec_lo, exec_lo, s14
	flat_load_b64 v[18:19], v[0:1] offset:1280
	v_dual_mov_b32 v3, 0 :: v_dual_mov_b32 v2, 0
	s_mov_b32 s14, exec_lo
	s_wait_loadcnt_dscnt 0x0
	v_and_b32_e32 v4, 0xff, v18
	s_wait_xcnt 0x0
	s_delay_alu instid0(VALU_DEP_1)
	v_cmpx_ne_u16_e32 0, v4
	s_cbranch_execz .LBB349_1280
; %bb.1273:                             ;   in Loop: Header=BB349_941 Depth=1
	v_bfrev_b32_e32 v2, 1
	s_mov_b32 s15, exec_lo
	v_cmpx_ne_u16_e32 0x80, v4
	s_cbranch_execz .LBB349_1279
; %bb.1274:                             ;   in Loop: Header=BB349_941 Depth=1
	v_and_b32_e32 v4, 0x7f, v18
	v_mov_b32_e32 v2, 0x7f800001
	s_mov_b32 s16, exec_lo
	s_delay_alu instid0(VALU_DEP_2)
	v_cmpx_ne_u32_e32 0x7f, v4
	s_cbranch_execz .LBB349_1278
; %bb.1275:                             ;   in Loop: Header=BB349_941 Depth=1
	v_mov_b64_e32 v[22:23], v[18:19]
	v_lshrrev_b32_e32 v2, 3, v4
	s_mov_b32 s17, exec_lo
	v_cmpx_gt_u32_e32 8, v4
; %bb.1276:                             ;   in Loop: Header=BB349_941 Depth=1
	v_and_b32_e32 v2, 7, v18
	s_delay_alu instid0(VALU_DEP_1) | instskip(NEXT) | instid1(VALU_DEP_1)
	v_clz_i32_u32_e32 v2, v2
	v_min_u32_e32 v2, 32, v2
	s_delay_alu instid0(VALU_DEP_1) | instskip(SKIP_1) | instid1(VALU_DEP_2)
	v_subrev_nc_u32_e32 v4, 28, v2
	v_sub_nc_u32_e32 v2, 29, v2
	v_lshlrev_b64_e32 v[22:23], v4, v[18:19]
; %bb.1277:                             ;   in Loop: Header=BB349_941 Depth=1
	s_or_b32 exec_lo, exec_lo, s17
	s_delay_alu instid0(VALU_DEP_1) | instskip(SKIP_2) | instid1(VALU_DEP_3)
	v_lshlrev_b32_e32 v4, 20, v22
	v_lshlrev_b32_e32 v5, 24, v18
	v_lshl_add_u32 v2, v2, 23, 0x3c000000
	v_and_b32_e32 v4, 0x700000, v4
	s_delay_alu instid0(VALU_DEP_3) | instskip(NEXT) | instid1(VALU_DEP_1)
	v_and_b32_e32 v5, 0x80000000, v5
	v_or3_b32 v2, v4, v5, v2
.LBB349_1278:                           ;   in Loop: Header=BB349_941 Depth=1
	s_or_b32 exec_lo, exec_lo, s16
.LBB349_1279:                           ;   in Loop: Header=BB349_941 Depth=1
	s_delay_alu instid0(SALU_CYCLE_1)
	s_or_b32 exec_lo, exec_lo, s15
.LBB349_1280:                           ;   in Loop: Header=BB349_941 Depth=1
	s_delay_alu instid0(SALU_CYCLE_1) | instskip(SKIP_2) | instid1(VALU_DEP_1)
	s_or_b32 exec_lo, exec_lo, s14
	v_lshrrev_b16 v4, 8, v18
	s_mov_b32 s14, exec_lo
	v_cmpx_ne_u16_e32 0, v4
	s_cbranch_execz .LBB349_1288
; %bb.1281:                             ;   in Loop: Header=BB349_941 Depth=1
	v_bfrev_b32_e32 v3, 1
	s_mov_b32 s15, exec_lo
	v_cmpx_ne_u16_e32 0x80, v4
	s_cbranch_execz .LBB349_1287
; %bb.1282:                             ;   in Loop: Header=BB349_941 Depth=1
	v_and_b32_e32 v5, 0xffff, v4
	v_mov_b32_e32 v3, 0x7f800001
	s_mov_b32 s16, exec_lo
	s_delay_alu instid0(VALU_DEP_2) | instskip(NEXT) | instid1(VALU_DEP_1)
	v_and_b32_e32 v4, 0x7f, v5
	v_cmpx_ne_u32_e32 0x7f, v4
	s_cbranch_execz .LBB349_1286
; %bb.1283:                             ;   in Loop: Header=BB349_941 Depth=1
	v_dual_lshrrev_b32 v3, 3, v4 :: v_dual_bitop2_b32 v26, 7, v5 bitop3:0x40
	s_mov_b32 s17, exec_lo
	v_cmpx_gt_u32_e32 8, v4
; %bb.1284:                             ;   in Loop: Header=BB349_941 Depth=1
	s_delay_alu instid0(VALU_DEP_2) | instskip(NEXT) | instid1(VALU_DEP_1)
	v_clz_i32_u32_e32 v3, v26
	v_min_u32_e32 v3, 32, v3
	s_delay_alu instid0(VALU_DEP_1) | instskip(NEXT) | instid1(VALU_DEP_1)
	v_subrev_nc_u32_e32 v4, 28, v3
	v_lshlrev_b64_e32 v[4:5], v4, v[26:27]
	s_delay_alu instid0(VALU_DEP_1)
	v_dual_sub_nc_u32 v3, 29, v3 :: v_dual_bitop2_b32 v26, 7, v4 bitop3:0x40
; %bb.1285:                             ;   in Loop: Header=BB349_941 Depth=1
	s_or_b32 exec_lo, exec_lo, s17
	v_lshlrev_b32_e32 v4, 16, v18
	s_delay_alu instid0(VALU_DEP_2) | instskip(NEXT) | instid1(VALU_DEP_3)
	v_lshlrev_b32_e32 v5, 20, v26
	v_lshl_add_u32 v3, v3, 23, 0x3c000000
	s_delay_alu instid0(VALU_DEP_3) | instskip(NEXT) | instid1(VALU_DEP_1)
	v_and_b32_e32 v4, 0x80000000, v4
	v_or3_b32 v3, v5, v4, v3
.LBB349_1286:                           ;   in Loop: Header=BB349_941 Depth=1
	s_or_b32 exec_lo, exec_lo, s16
.LBB349_1287:                           ;   in Loop: Header=BB349_941 Depth=1
	s_delay_alu instid0(SALU_CYCLE_1)
	s_or_b32 exec_lo, exec_lo, s15
.LBB349_1288:                           ;   in Loop: Header=BB349_941 Depth=1
	s_delay_alu instid0(SALU_CYCLE_1) | instskip(SKIP_3) | instid1(VALU_DEP_2)
	s_or_b32 exec_lo, exec_lo, s14
	v_dual_mov_b32 v5, 0 :: v_dual_lshrrev_b32 v6, 16, v18
	v_mov_b32_e32 v4, 0
	s_mov_b32 s14, exec_lo
	v_and_b32_e32 v7, 0xff, v6
	s_delay_alu instid0(VALU_DEP_1)
	v_cmpx_ne_u16_e32 0, v7
	s_cbranch_execz .LBB349_1296
; %bb.1289:                             ;   in Loop: Header=BB349_941 Depth=1
	v_bfrev_b32_e32 v4, 1
	s_mov_b32 s15, exec_lo
	v_cmpx_ne_u16_e32 0x80, v7
	s_cbranch_execz .LBB349_1295
; %bb.1290:                             ;   in Loop: Header=BB349_941 Depth=1
	v_bfe_u32 v7, v18, 16, 7
	v_mov_b32_e32 v4, 0x7f800001
	s_mov_b32 s16, exec_lo
	s_delay_alu instid0(VALU_DEP_2)
	v_cmpx_ne_u32_e32 0x7f, v7
	s_cbranch_execz .LBB349_1294
; %bb.1291:                             ;   in Loop: Header=BB349_941 Depth=1
	v_dual_lshrrev_b32 v4, 3, v7 :: v_dual_bitop2_b32 v26, 7, v6 bitop3:0x40
	s_mov_b32 s17, exec_lo
	v_cmpx_gt_u32_e32 8, v7
; %bb.1292:                             ;   in Loop: Header=BB349_941 Depth=1
	s_delay_alu instid0(VALU_DEP_2) | instskip(NEXT) | instid1(VALU_DEP_1)
	v_clz_i32_u32_e32 v4, v26
	v_min_u32_e32 v4, 32, v4
	s_delay_alu instid0(VALU_DEP_1) | instskip(SKIP_1) | instid1(VALU_DEP_2)
	v_subrev_nc_u32_e32 v7, 28, v4
	v_sub_nc_u32_e32 v4, 29, v4
	v_lshlrev_b64_e32 v[8:9], v7, v[26:27]
	s_delay_alu instid0(VALU_DEP_1)
	v_and_b32_e32 v26, 7, v8
; %bb.1293:                             ;   in Loop: Header=BB349_941 Depth=1
	s_or_b32 exec_lo, exec_lo, s17
	v_lshlrev_b32_e32 v6, 24, v6
	s_delay_alu instid0(VALU_DEP_2) | instskip(SKIP_1) | instid1(VALU_DEP_3)
	v_lshlrev_b32_e32 v7, 20, v26
	v_lshl_add_u32 v4, v4, 23, 0x3c000000
	v_and_b32_e32 v6, 0x80000000, v6
	s_delay_alu instid0(VALU_DEP_1)
	v_or3_b32 v4, v7, v6, v4
.LBB349_1294:                           ;   in Loop: Header=BB349_941 Depth=1
	s_or_b32 exec_lo, exec_lo, s16
.LBB349_1295:                           ;   in Loop: Header=BB349_941 Depth=1
	s_delay_alu instid0(SALU_CYCLE_1)
	s_or_b32 exec_lo, exec_lo, s15
.LBB349_1296:                           ;   in Loop: Header=BB349_941 Depth=1
	s_delay_alu instid0(SALU_CYCLE_1) | instskip(NEXT) | instid1(SALU_CYCLE_1)
	s_or_b32 exec_lo, exec_lo, s14
	s_mov_b32 s14, exec_lo
	v_cmpx_lt_u32_e32 0xffffff, v18
	s_cbranch_execz .LBB349_1304
; %bb.1297:                             ;   in Loop: Header=BB349_941 Depth=1
	v_lshrrev_b32_e32 v6, 24, v18
	v_bfrev_b32_e32 v5, 1
	s_mov_b32 s15, exec_lo
	s_delay_alu instid0(VALU_DEP_2)
	v_cmpx_ne_u32_e32 0x80, v6
	s_cbranch_execz .LBB349_1303
; %bb.1298:                             ;   in Loop: Header=BB349_941 Depth=1
	v_bfe_u32 v7, v18, 24, 7
	v_mov_b32_e32 v5, 0x7f800001
	s_mov_b32 s16, exec_lo
	s_delay_alu instid0(VALU_DEP_2)
	v_cmpx_ne_u32_e32 0x7f, v7
	s_cbranch_execz .LBB349_1302
; %bb.1299:                             ;   in Loop: Header=BB349_941 Depth=1
	v_dual_lshrrev_b32 v5, 3, v7 :: v_dual_bitop2_b32 v26, 7, v6 bitop3:0x40
	s_mov_b32 s17, exec_lo
	v_cmpx_gt_u32_e32 8, v7
; %bb.1300:                             ;   in Loop: Header=BB349_941 Depth=1
	s_delay_alu instid0(VALU_DEP_2) | instskip(NEXT) | instid1(VALU_DEP_1)
	v_clz_i32_u32_e32 v5, v26
	v_min_u32_e32 v5, 32, v5
	s_delay_alu instid0(VALU_DEP_1) | instskip(NEXT) | instid1(VALU_DEP_1)
	v_subrev_nc_u32_e32 v7, 28, v5
	v_lshlrev_b64_e32 v[8:9], v7, v[26:27]
	s_delay_alu instid0(VALU_DEP_1)
	v_dual_sub_nc_u32 v5, 29, v5 :: v_dual_bitop2_b32 v26, 7, v8 bitop3:0x40
; %bb.1301:                             ;   in Loop: Header=BB349_941 Depth=1
	s_or_b32 exec_lo, exec_lo, s17
	v_lshlrev_b32_e32 v6, 24, v6
	s_delay_alu instid0(VALU_DEP_2) | instskip(NEXT) | instid1(VALU_DEP_3)
	v_lshlrev_b32_e32 v7, 20, v26
	v_lshl_add_u32 v5, v5, 23, 0x3c000000
	s_delay_alu instid0(VALU_DEP_3) | instskip(NEXT) | instid1(VALU_DEP_1)
	v_and_b32_e32 v6, 0x80000000, v6
	v_or3_b32 v5, v7, v6, v5
.LBB349_1302:                           ;   in Loop: Header=BB349_941 Depth=1
	s_or_b32 exec_lo, exec_lo, s16
.LBB349_1303:                           ;   in Loop: Header=BB349_941 Depth=1
	s_delay_alu instid0(SALU_CYCLE_1)
	s_or_b32 exec_lo, exec_lo, s15
.LBB349_1304:                           ;   in Loop: Header=BB349_941 Depth=1
	s_delay_alu instid0(SALU_CYCLE_1) | instskip(SKIP_4) | instid1(VALU_DEP_3)
	s_or_b32 exec_lo, exec_lo, s14
	v_and_b32_e32 v8, 0xff, v19
	v_dual_mov_b32 v26, v19 :: v_dual_mov_b32 v7, 0
	v_mov_b32_e32 v6, 0
	s_mov_b32 s14, exec_lo
	v_cmpx_ne_u16_e32 0, v8
	s_cbranch_execz .LBB349_1312
; %bb.1305:                             ;   in Loop: Header=BB349_941 Depth=1
	v_bfrev_b32_e32 v6, 1
	s_mov_b32 s15, exec_lo
	v_cmpx_ne_u16_e32 0x80, v8
	s_cbranch_execz .LBB349_1311
; %bb.1306:                             ;   in Loop: Header=BB349_941 Depth=1
	v_and_b32_e32 v8, 0x7f, v19
	v_mov_b32_e32 v6, 0x7f800001
	s_mov_b32 s16, exec_lo
	s_delay_alu instid0(VALU_DEP_2)
	v_cmpx_ne_u32_e32 0x7f, v8
	s_cbranch_execz .LBB349_1310
; %bb.1307:                             ;   in Loop: Header=BB349_941 Depth=1
	v_mov_b64_e32 v[22:23], v[26:27]
	v_lshrrev_b32_e32 v6, 3, v8
	s_mov_b32 s17, exec_lo
	v_cmpx_gt_u32_e32 8, v8
; %bb.1308:                             ;   in Loop: Header=BB349_941 Depth=1
	v_and_b32_e32 v6, 7, v19
	s_delay_alu instid0(VALU_DEP_1) | instskip(NEXT) | instid1(VALU_DEP_1)
	v_clz_i32_u32_e32 v6, v6
	v_min_u32_e32 v6, 32, v6
	s_delay_alu instid0(VALU_DEP_1) | instskip(SKIP_1) | instid1(VALU_DEP_2)
	v_subrev_nc_u32_e32 v8, 28, v6
	v_sub_nc_u32_e32 v6, 29, v6
	v_lshlrev_b64_e32 v[22:23], v8, v[26:27]
; %bb.1309:                             ;   in Loop: Header=BB349_941 Depth=1
	s_or_b32 exec_lo, exec_lo, s17
	s_delay_alu instid0(VALU_DEP_1) | instskip(SKIP_2) | instid1(VALU_DEP_3)
	v_lshlrev_b32_e32 v8, 20, v22
	v_lshlrev_b32_e32 v9, 24, v26
	v_lshl_add_u32 v6, v6, 23, 0x3c000000
	v_and_b32_e32 v8, 0x700000, v8
	s_delay_alu instid0(VALU_DEP_3) | instskip(NEXT) | instid1(VALU_DEP_1)
	v_and_b32_e32 v9, 0x80000000, v9
	v_or3_b32 v6, v8, v9, v6
.LBB349_1310:                           ;   in Loop: Header=BB349_941 Depth=1
	s_or_b32 exec_lo, exec_lo, s16
.LBB349_1311:                           ;   in Loop: Header=BB349_941 Depth=1
	s_delay_alu instid0(SALU_CYCLE_1)
	s_or_b32 exec_lo, exec_lo, s15
.LBB349_1312:                           ;   in Loop: Header=BB349_941 Depth=1
	s_delay_alu instid0(SALU_CYCLE_1) | instskip(SKIP_2) | instid1(VALU_DEP_1)
	s_or_b32 exec_lo, exec_lo, s14
	v_lshrrev_b16 v8, 8, v26
	s_mov_b32 s14, exec_lo
	v_cmpx_ne_u16_e32 0, v8
	s_cbranch_execz .LBB349_1320
; %bb.1313:                             ;   in Loop: Header=BB349_941 Depth=1
	v_bfrev_b32_e32 v7, 1
	s_mov_b32 s15, exec_lo
	v_cmpx_ne_u16_e32 0x80, v8
	s_cbranch_execz .LBB349_1319
; %bb.1314:                             ;   in Loop: Header=BB349_941 Depth=1
	v_and_b32_e32 v9, 0xffff, v8
	v_mov_b32_e32 v7, 0x7f800001
	s_mov_b32 s16, exec_lo
	s_delay_alu instid0(VALU_DEP_2) | instskip(NEXT) | instid1(VALU_DEP_1)
	v_and_b32_e32 v8, 0x7f, v9
	v_cmpx_ne_u32_e32 0x7f, v8
	s_cbranch_execz .LBB349_1318
; %bb.1315:                             ;   in Loop: Header=BB349_941 Depth=1
	v_dual_mov_b32 v23, v27 :: v_dual_bitop2_b32 v22, 7, v9 bitop3:0x40
	v_lshrrev_b32_e32 v7, 3, v8
	s_mov_b32 s17, exec_lo
	v_cmpx_gt_u32_e32 8, v8
; %bb.1316:                             ;   in Loop: Header=BB349_941 Depth=1
	s_delay_alu instid0(VALU_DEP_3) | instskip(NEXT) | instid1(VALU_DEP_1)
	v_clz_i32_u32_e32 v7, v22
	v_min_u32_e32 v7, 32, v7
	s_delay_alu instid0(VALU_DEP_1) | instskip(NEXT) | instid1(VALU_DEP_1)
	v_subrev_nc_u32_e32 v8, 28, v7
	v_lshlrev_b64_e32 v[8:9], v8, v[22:23]
	s_delay_alu instid0(VALU_DEP_1)
	v_dual_sub_nc_u32 v7, 29, v7 :: v_dual_bitop2_b32 v22, 7, v8 bitop3:0x40
; %bb.1317:                             ;   in Loop: Header=BB349_941 Depth=1
	s_or_b32 exec_lo, exec_lo, s17
	v_lshlrev_b32_e32 v8, 16, v26
	s_delay_alu instid0(VALU_DEP_2) | instskip(NEXT) | instid1(VALU_DEP_3)
	v_lshlrev_b32_e32 v9, 20, v22
	v_lshl_add_u32 v7, v7, 23, 0x3c000000
	s_delay_alu instid0(VALU_DEP_3) | instskip(NEXT) | instid1(VALU_DEP_1)
	v_and_b32_e32 v8, 0x80000000, v8
	v_or3_b32 v7, v9, v8, v7
.LBB349_1318:                           ;   in Loop: Header=BB349_941 Depth=1
	s_or_b32 exec_lo, exec_lo, s16
.LBB349_1319:                           ;   in Loop: Header=BB349_941 Depth=1
	s_delay_alu instid0(SALU_CYCLE_1)
	s_or_b32 exec_lo, exec_lo, s15
.LBB349_1320:                           ;   in Loop: Header=BB349_941 Depth=1
	s_delay_alu instid0(SALU_CYCLE_1) | instskip(SKIP_3) | instid1(VALU_DEP_2)
	s_or_b32 exec_lo, exec_lo, s14
	v_dual_lshrrev_b32 v16, 16, v19 :: v_dual_mov_b32 v8, 0
	v_mov_b32_e32 v9, 0
	s_mov_b32 s14, exec_lo
	v_and_b32_e32 v17, 0xff, v16
	s_delay_alu instid0(VALU_DEP_1)
	v_cmpx_ne_u16_e32 0, v17
	s_cbranch_execz .LBB349_1328
; %bb.1321:                             ;   in Loop: Header=BB349_941 Depth=1
	v_bfrev_b32_e32 v9, 1
	s_mov_b32 s15, exec_lo
	v_cmpx_ne_u16_e32 0x80, v17
	s_cbranch_execz .LBB349_1327
; %bb.1322:                             ;   in Loop: Header=BB349_941 Depth=1
	v_bfe_u32 v17, v19, 16, 7
	v_mov_b32_e32 v9, 0x7f800001
	s_mov_b32 s16, exec_lo
	s_delay_alu instid0(VALU_DEP_2)
	v_cmpx_ne_u32_e32 0x7f, v17
	s_cbranch_execz .LBB349_1326
; %bb.1323:                             ;   in Loop: Header=BB349_941 Depth=1
	v_dual_lshrrev_b32 v9, 3, v17 :: v_dual_bitop2_b32 v26, 7, v16 bitop3:0x40
	s_mov_b32 s17, exec_lo
	v_cmpx_gt_u32_e32 8, v17
; %bb.1324:                             ;   in Loop: Header=BB349_941 Depth=1
	s_delay_alu instid0(VALU_DEP_2) | instskip(NEXT) | instid1(VALU_DEP_1)
	v_clz_i32_u32_e32 v9, v26
	v_min_u32_e32 v9, 32, v9
	s_delay_alu instid0(VALU_DEP_1) | instskip(NEXT) | instid1(VALU_DEP_1)
	v_subrev_nc_u32_e32 v17, 28, v9
	v_lshlrev_b64_e32 v[22:23], v17, v[26:27]
	s_delay_alu instid0(VALU_DEP_1)
	v_dual_sub_nc_u32 v9, 29, v9 :: v_dual_bitop2_b32 v26, 7, v22 bitop3:0x40
; %bb.1325:                             ;   in Loop: Header=BB349_941 Depth=1
	s_or_b32 exec_lo, exec_lo, s17
	s_delay_alu instid0(VALU_DEP_1) | instskip(NEXT) | instid1(VALU_DEP_2)
	v_dual_lshlrev_b32 v16, 24, v16 :: v_dual_lshlrev_b32 v17, 20, v26
	v_lshl_add_u32 v9, v9, 23, 0x3c000000
	s_delay_alu instid0(VALU_DEP_2) | instskip(NEXT) | instid1(VALU_DEP_1)
	v_and_b32_e32 v16, 0x80000000, v16
	v_or3_b32 v9, v17, v16, v9
.LBB349_1326:                           ;   in Loop: Header=BB349_941 Depth=1
	s_or_b32 exec_lo, exec_lo, s16
.LBB349_1327:                           ;   in Loop: Header=BB349_941 Depth=1
	s_delay_alu instid0(SALU_CYCLE_1)
	s_or_b32 exec_lo, exec_lo, s15
.LBB349_1328:                           ;   in Loop: Header=BB349_941 Depth=1
	s_delay_alu instid0(SALU_CYCLE_1) | instskip(NEXT) | instid1(SALU_CYCLE_1)
	s_or_b32 exec_lo, exec_lo, s14
	s_mov_b32 s14, exec_lo
	v_cmpx_lt_u64_e64 s[2:3], v[18:19]
	s_cbranch_execz .LBB349_1336
; %bb.1329:                             ;   in Loop: Header=BB349_941 Depth=1
	v_lshrrev_b32_e32 v16, 24, v19
	v_bfrev_b32_e32 v8, 1
	s_mov_b32 s15, exec_lo
	s_delay_alu instid0(VALU_DEP_2)
	v_cmpx_ne_u32_e32 0x80, v16
	s_cbranch_execz .LBB349_1335
; %bb.1330:                             ;   in Loop: Header=BB349_941 Depth=1
	v_bfe_u32 v17, v19, 24, 7
	v_mov_b32_e32 v8, 0x7f800001
	s_mov_b32 s16, exec_lo
	s_delay_alu instid0(VALU_DEP_2)
	v_cmpx_ne_u32_e32 0x7f, v17
	s_cbranch_execz .LBB349_1334
; %bb.1331:                             ;   in Loop: Header=BB349_941 Depth=1
	v_dual_lshrrev_b32 v8, 3, v17 :: v_dual_bitop2_b32 v26, 7, v16 bitop3:0x40
	s_mov_b32 s17, exec_lo
	v_cmpx_gt_u32_e32 8, v17
; %bb.1332:                             ;   in Loop: Header=BB349_941 Depth=1
	s_delay_alu instid0(VALU_DEP_2) | instskip(NEXT) | instid1(VALU_DEP_1)
	v_clz_i32_u32_e32 v8, v26
	v_min_u32_e32 v8, 32, v8
	s_delay_alu instid0(VALU_DEP_1) | instskip(NEXT) | instid1(VALU_DEP_1)
	v_subrev_nc_u32_e32 v17, 28, v8
	v_lshlrev_b64_e32 v[18:19], v17, v[26:27]
	s_delay_alu instid0(VALU_DEP_1)
	v_dual_sub_nc_u32 v8, 29, v8 :: v_dual_bitop2_b32 v26, 7, v18 bitop3:0x40
; %bb.1333:                             ;   in Loop: Header=BB349_941 Depth=1
	s_or_b32 exec_lo, exec_lo, s17
	s_delay_alu instid0(VALU_DEP_1) | instskip(NEXT) | instid1(VALU_DEP_2)
	v_dual_lshlrev_b32 v16, 24, v16 :: v_dual_lshlrev_b32 v17, 20, v26
	v_lshl_add_u32 v8, v8, 23, 0x3c000000
	s_delay_alu instid0(VALU_DEP_2) | instskip(NEXT) | instid1(VALU_DEP_1)
	v_and_b32_e32 v16, 0x80000000, v16
	v_or3_b32 v8, v17, v16, v8
.LBB349_1334:                           ;   in Loop: Header=BB349_941 Depth=1
	s_or_b32 exec_lo, exec_lo, s16
.LBB349_1335:                           ;   in Loop: Header=BB349_941 Depth=1
	s_delay_alu instid0(SALU_CYCLE_1)
	s_or_b32 exec_lo, exec_lo, s15
.LBB349_1336:                           ;   in Loop: Header=BB349_941 Depth=1
	s_delay_alu instid0(SALU_CYCLE_1)
	s_or_b32 exec_lo, exec_lo, s14
	v_fma_mixlo_bf16 v73, v96, v7, 0
	v_fma_mixlo_bf16 v74, v96, v6, 0
	;; [unrolled: 1-line block ×8, first 2 shown]
	s_and_saveexec_b32 s14, vcc_lo
	s_cbranch_execz .LBB349_1338
; %bb.1337:                             ;   in Loop: Header=BB349_941 Depth=1
	v_cmp_lt_i32_e64 s0, v100, v126
	s_delay_alu instid0(VALU_DEP_1) | instskip(SKIP_1) | instid1(VALU_DEP_1)
	v_cndmask_b32_e64 v88, 0, v88, s0
	v_cmp_lt_i32_e64 s0, v112, v126
	v_cndmask_b32_e64 v79, 0, v79, s0
	v_cmp_lt_i32_e64 s0, v103, v126
	s_delay_alu instid0(VALU_DEP_1) | instskip(SKIP_1) | instid1(VALU_DEP_1)
	v_cndmask_b32_e64 v78, 0, v78, s0
	v_cmp_lt_i32_e64 s0, v102, v126
	v_cndmask_b32_e64 v77, 0, v77, s0
	;; [unrolled: 5-line block ×4, first 2 shown]
.LBB349_1338:                           ;   in Loop: Header=BB349_941 Depth=1
	s_or_b32 exec_lo, exec_lo, s14
	flat_load_b64 v[18:19], v[0:1] offset:1536
	v_dual_mov_b32 v3, 0 :: v_dual_mov_b32 v2, 0
	s_mov_b32 s14, exec_lo
	s_wait_loadcnt_dscnt 0x0
	v_and_b32_e32 v4, 0xff, v18
	s_wait_xcnt 0x0
	s_delay_alu instid0(VALU_DEP_1)
	v_cmpx_ne_u16_e32 0, v4
	s_cbranch_execz .LBB349_1346
; %bb.1339:                             ;   in Loop: Header=BB349_941 Depth=1
	v_bfrev_b32_e32 v2, 1
	s_mov_b32 s15, exec_lo
	v_cmpx_ne_u16_e32 0x80, v4
	s_cbranch_execz .LBB349_1345
; %bb.1340:                             ;   in Loop: Header=BB349_941 Depth=1
	v_and_b32_e32 v4, 0x7f, v18
	v_mov_b32_e32 v2, 0x7f800001
	s_mov_b32 s16, exec_lo
	s_delay_alu instid0(VALU_DEP_2)
	v_cmpx_ne_u32_e32 0x7f, v4
	s_cbranch_execz .LBB349_1344
; %bb.1341:                             ;   in Loop: Header=BB349_941 Depth=1
	v_mov_b64_e32 v[22:23], v[18:19]
	v_lshrrev_b32_e32 v2, 3, v4
	s_mov_b32 s17, exec_lo
	v_cmpx_gt_u32_e32 8, v4
; %bb.1342:                             ;   in Loop: Header=BB349_941 Depth=1
	v_and_b32_e32 v2, 7, v18
	s_delay_alu instid0(VALU_DEP_1) | instskip(NEXT) | instid1(VALU_DEP_1)
	v_clz_i32_u32_e32 v2, v2
	v_min_u32_e32 v2, 32, v2
	s_delay_alu instid0(VALU_DEP_1) | instskip(SKIP_1) | instid1(VALU_DEP_2)
	v_subrev_nc_u32_e32 v4, 28, v2
	v_sub_nc_u32_e32 v2, 29, v2
	v_lshlrev_b64_e32 v[22:23], v4, v[18:19]
; %bb.1343:                             ;   in Loop: Header=BB349_941 Depth=1
	s_or_b32 exec_lo, exec_lo, s17
	s_delay_alu instid0(VALU_DEP_1) | instskip(SKIP_2) | instid1(VALU_DEP_3)
	v_lshlrev_b32_e32 v4, 20, v22
	v_lshlrev_b32_e32 v5, 24, v18
	v_lshl_add_u32 v2, v2, 23, 0x3c000000
	v_and_b32_e32 v4, 0x700000, v4
	s_delay_alu instid0(VALU_DEP_3) | instskip(NEXT) | instid1(VALU_DEP_1)
	v_and_b32_e32 v5, 0x80000000, v5
	v_or3_b32 v2, v4, v5, v2
.LBB349_1344:                           ;   in Loop: Header=BB349_941 Depth=1
	s_or_b32 exec_lo, exec_lo, s16
.LBB349_1345:                           ;   in Loop: Header=BB349_941 Depth=1
	s_delay_alu instid0(SALU_CYCLE_1)
	s_or_b32 exec_lo, exec_lo, s15
.LBB349_1346:                           ;   in Loop: Header=BB349_941 Depth=1
	s_delay_alu instid0(SALU_CYCLE_1) | instskip(SKIP_2) | instid1(VALU_DEP_1)
	s_or_b32 exec_lo, exec_lo, s14
	v_lshrrev_b16 v4, 8, v18
	s_mov_b32 s14, exec_lo
	v_cmpx_ne_u16_e32 0, v4
	s_cbranch_execz .LBB349_1354
; %bb.1347:                             ;   in Loop: Header=BB349_941 Depth=1
	v_bfrev_b32_e32 v3, 1
	s_mov_b32 s15, exec_lo
	v_cmpx_ne_u16_e32 0x80, v4
	s_cbranch_execz .LBB349_1353
; %bb.1348:                             ;   in Loop: Header=BB349_941 Depth=1
	v_and_b32_e32 v5, 0xffff, v4
	v_mov_b32_e32 v3, 0x7f800001
	s_mov_b32 s16, exec_lo
	s_delay_alu instid0(VALU_DEP_2) | instskip(NEXT) | instid1(VALU_DEP_1)
	v_and_b32_e32 v4, 0x7f, v5
	v_cmpx_ne_u32_e32 0x7f, v4
	s_cbranch_execz .LBB349_1352
; %bb.1349:                             ;   in Loop: Header=BB349_941 Depth=1
	v_dual_lshrrev_b32 v3, 3, v4 :: v_dual_bitop2_b32 v26, 7, v5 bitop3:0x40
	s_mov_b32 s17, exec_lo
	v_cmpx_gt_u32_e32 8, v4
; %bb.1350:                             ;   in Loop: Header=BB349_941 Depth=1
	s_delay_alu instid0(VALU_DEP_2) | instskip(NEXT) | instid1(VALU_DEP_1)
	v_clz_i32_u32_e32 v3, v26
	v_min_u32_e32 v3, 32, v3
	s_delay_alu instid0(VALU_DEP_1) | instskip(NEXT) | instid1(VALU_DEP_1)
	v_subrev_nc_u32_e32 v4, 28, v3
	v_lshlrev_b64_e32 v[4:5], v4, v[26:27]
	s_delay_alu instid0(VALU_DEP_1)
	v_dual_sub_nc_u32 v3, 29, v3 :: v_dual_bitop2_b32 v26, 7, v4 bitop3:0x40
; %bb.1351:                             ;   in Loop: Header=BB349_941 Depth=1
	s_or_b32 exec_lo, exec_lo, s17
	v_lshlrev_b32_e32 v4, 16, v18
	s_delay_alu instid0(VALU_DEP_2) | instskip(NEXT) | instid1(VALU_DEP_3)
	v_lshlrev_b32_e32 v5, 20, v26
	v_lshl_add_u32 v3, v3, 23, 0x3c000000
	s_delay_alu instid0(VALU_DEP_3) | instskip(NEXT) | instid1(VALU_DEP_1)
	v_and_b32_e32 v4, 0x80000000, v4
	v_or3_b32 v3, v5, v4, v3
.LBB349_1352:                           ;   in Loop: Header=BB349_941 Depth=1
	s_or_b32 exec_lo, exec_lo, s16
.LBB349_1353:                           ;   in Loop: Header=BB349_941 Depth=1
	s_delay_alu instid0(SALU_CYCLE_1)
	s_or_b32 exec_lo, exec_lo, s15
.LBB349_1354:                           ;   in Loop: Header=BB349_941 Depth=1
	s_delay_alu instid0(SALU_CYCLE_1) | instskip(SKIP_3) | instid1(VALU_DEP_2)
	s_or_b32 exec_lo, exec_lo, s14
	v_dual_mov_b32 v5, 0 :: v_dual_lshrrev_b32 v6, 16, v18
	v_mov_b32_e32 v4, 0
	s_mov_b32 s14, exec_lo
	v_and_b32_e32 v7, 0xff, v6
	s_delay_alu instid0(VALU_DEP_1)
	v_cmpx_ne_u16_e32 0, v7
	s_cbranch_execz .LBB349_1362
; %bb.1355:                             ;   in Loop: Header=BB349_941 Depth=1
	v_bfrev_b32_e32 v4, 1
	s_mov_b32 s15, exec_lo
	v_cmpx_ne_u16_e32 0x80, v7
	s_cbranch_execz .LBB349_1361
; %bb.1356:                             ;   in Loop: Header=BB349_941 Depth=1
	v_bfe_u32 v7, v18, 16, 7
	v_mov_b32_e32 v4, 0x7f800001
	s_mov_b32 s16, exec_lo
	s_delay_alu instid0(VALU_DEP_2)
	v_cmpx_ne_u32_e32 0x7f, v7
	s_cbranch_execz .LBB349_1360
; %bb.1357:                             ;   in Loop: Header=BB349_941 Depth=1
	v_dual_lshrrev_b32 v4, 3, v7 :: v_dual_bitop2_b32 v26, 7, v6 bitop3:0x40
	s_mov_b32 s17, exec_lo
	v_cmpx_gt_u32_e32 8, v7
; %bb.1358:                             ;   in Loop: Header=BB349_941 Depth=1
	s_delay_alu instid0(VALU_DEP_2) | instskip(NEXT) | instid1(VALU_DEP_1)
	v_clz_i32_u32_e32 v4, v26
	v_min_u32_e32 v4, 32, v4
	s_delay_alu instid0(VALU_DEP_1) | instskip(SKIP_1) | instid1(VALU_DEP_2)
	v_subrev_nc_u32_e32 v7, 28, v4
	v_sub_nc_u32_e32 v4, 29, v4
	v_lshlrev_b64_e32 v[8:9], v7, v[26:27]
	s_delay_alu instid0(VALU_DEP_1)
	v_and_b32_e32 v26, 7, v8
; %bb.1359:                             ;   in Loop: Header=BB349_941 Depth=1
	s_or_b32 exec_lo, exec_lo, s17
	v_lshlrev_b32_e32 v6, 24, v6
	s_delay_alu instid0(VALU_DEP_2) | instskip(SKIP_1) | instid1(VALU_DEP_3)
	v_lshlrev_b32_e32 v7, 20, v26
	v_lshl_add_u32 v4, v4, 23, 0x3c000000
	v_and_b32_e32 v6, 0x80000000, v6
	s_delay_alu instid0(VALU_DEP_1)
	v_or3_b32 v4, v7, v6, v4
.LBB349_1360:                           ;   in Loop: Header=BB349_941 Depth=1
	s_or_b32 exec_lo, exec_lo, s16
.LBB349_1361:                           ;   in Loop: Header=BB349_941 Depth=1
	s_delay_alu instid0(SALU_CYCLE_1)
	s_or_b32 exec_lo, exec_lo, s15
.LBB349_1362:                           ;   in Loop: Header=BB349_941 Depth=1
	s_delay_alu instid0(SALU_CYCLE_1) | instskip(NEXT) | instid1(SALU_CYCLE_1)
	s_or_b32 exec_lo, exec_lo, s14
	s_mov_b32 s14, exec_lo
	v_cmpx_lt_u32_e32 0xffffff, v18
	s_cbranch_execz .LBB349_1370
; %bb.1363:                             ;   in Loop: Header=BB349_941 Depth=1
	v_lshrrev_b32_e32 v6, 24, v18
	v_bfrev_b32_e32 v5, 1
	s_mov_b32 s15, exec_lo
	s_delay_alu instid0(VALU_DEP_2)
	v_cmpx_ne_u32_e32 0x80, v6
	s_cbranch_execz .LBB349_1369
; %bb.1364:                             ;   in Loop: Header=BB349_941 Depth=1
	v_bfe_u32 v7, v18, 24, 7
	v_mov_b32_e32 v5, 0x7f800001
	s_mov_b32 s16, exec_lo
	s_delay_alu instid0(VALU_DEP_2)
	v_cmpx_ne_u32_e32 0x7f, v7
	s_cbranch_execz .LBB349_1368
; %bb.1365:                             ;   in Loop: Header=BB349_941 Depth=1
	v_dual_lshrrev_b32 v5, 3, v7 :: v_dual_bitop2_b32 v26, 7, v6 bitop3:0x40
	s_mov_b32 s17, exec_lo
	v_cmpx_gt_u32_e32 8, v7
; %bb.1366:                             ;   in Loop: Header=BB349_941 Depth=1
	s_delay_alu instid0(VALU_DEP_2) | instskip(NEXT) | instid1(VALU_DEP_1)
	v_clz_i32_u32_e32 v5, v26
	v_min_u32_e32 v5, 32, v5
	s_delay_alu instid0(VALU_DEP_1) | instskip(NEXT) | instid1(VALU_DEP_1)
	v_subrev_nc_u32_e32 v7, 28, v5
	v_lshlrev_b64_e32 v[8:9], v7, v[26:27]
	s_delay_alu instid0(VALU_DEP_1)
	v_dual_sub_nc_u32 v5, 29, v5 :: v_dual_bitop2_b32 v26, 7, v8 bitop3:0x40
; %bb.1367:                             ;   in Loop: Header=BB349_941 Depth=1
	s_or_b32 exec_lo, exec_lo, s17
	v_lshlrev_b32_e32 v6, 24, v6
	s_delay_alu instid0(VALU_DEP_2) | instskip(NEXT) | instid1(VALU_DEP_3)
	v_lshlrev_b32_e32 v7, 20, v26
	v_lshl_add_u32 v5, v5, 23, 0x3c000000
	s_delay_alu instid0(VALU_DEP_3) | instskip(NEXT) | instid1(VALU_DEP_1)
	v_and_b32_e32 v6, 0x80000000, v6
	v_or3_b32 v5, v7, v6, v5
.LBB349_1368:                           ;   in Loop: Header=BB349_941 Depth=1
	s_or_b32 exec_lo, exec_lo, s16
.LBB349_1369:                           ;   in Loop: Header=BB349_941 Depth=1
	s_delay_alu instid0(SALU_CYCLE_1)
	s_or_b32 exec_lo, exec_lo, s15
.LBB349_1370:                           ;   in Loop: Header=BB349_941 Depth=1
	s_delay_alu instid0(SALU_CYCLE_1) | instskip(SKIP_4) | instid1(VALU_DEP_3)
	s_or_b32 exec_lo, exec_lo, s14
	v_and_b32_e32 v8, 0xff, v19
	v_dual_mov_b32 v26, v19 :: v_dual_mov_b32 v7, 0
	v_mov_b32_e32 v6, 0
	s_mov_b32 s14, exec_lo
	v_cmpx_ne_u16_e32 0, v8
	s_cbranch_execz .LBB349_1378
; %bb.1371:                             ;   in Loop: Header=BB349_941 Depth=1
	v_bfrev_b32_e32 v6, 1
	s_mov_b32 s15, exec_lo
	v_cmpx_ne_u16_e32 0x80, v8
	s_cbranch_execz .LBB349_1377
; %bb.1372:                             ;   in Loop: Header=BB349_941 Depth=1
	v_and_b32_e32 v8, 0x7f, v19
	v_mov_b32_e32 v6, 0x7f800001
	s_mov_b32 s16, exec_lo
	s_delay_alu instid0(VALU_DEP_2)
	v_cmpx_ne_u32_e32 0x7f, v8
	s_cbranch_execz .LBB349_1376
; %bb.1373:                             ;   in Loop: Header=BB349_941 Depth=1
	v_mov_b64_e32 v[22:23], v[26:27]
	v_lshrrev_b32_e32 v6, 3, v8
	s_mov_b32 s17, exec_lo
	v_cmpx_gt_u32_e32 8, v8
; %bb.1374:                             ;   in Loop: Header=BB349_941 Depth=1
	v_and_b32_e32 v6, 7, v19
	s_delay_alu instid0(VALU_DEP_1) | instskip(NEXT) | instid1(VALU_DEP_1)
	v_clz_i32_u32_e32 v6, v6
	v_min_u32_e32 v6, 32, v6
	s_delay_alu instid0(VALU_DEP_1) | instskip(SKIP_1) | instid1(VALU_DEP_2)
	v_subrev_nc_u32_e32 v8, 28, v6
	v_sub_nc_u32_e32 v6, 29, v6
	v_lshlrev_b64_e32 v[22:23], v8, v[26:27]
; %bb.1375:                             ;   in Loop: Header=BB349_941 Depth=1
	s_or_b32 exec_lo, exec_lo, s17
	s_delay_alu instid0(VALU_DEP_1) | instskip(SKIP_2) | instid1(VALU_DEP_3)
	v_lshlrev_b32_e32 v8, 20, v22
	v_lshlrev_b32_e32 v9, 24, v26
	v_lshl_add_u32 v6, v6, 23, 0x3c000000
	v_and_b32_e32 v8, 0x700000, v8
	s_delay_alu instid0(VALU_DEP_3) | instskip(NEXT) | instid1(VALU_DEP_1)
	v_and_b32_e32 v9, 0x80000000, v9
	v_or3_b32 v6, v8, v9, v6
.LBB349_1376:                           ;   in Loop: Header=BB349_941 Depth=1
	s_or_b32 exec_lo, exec_lo, s16
.LBB349_1377:                           ;   in Loop: Header=BB349_941 Depth=1
	s_delay_alu instid0(SALU_CYCLE_1)
	s_or_b32 exec_lo, exec_lo, s15
.LBB349_1378:                           ;   in Loop: Header=BB349_941 Depth=1
	s_delay_alu instid0(SALU_CYCLE_1) | instskip(SKIP_2) | instid1(VALU_DEP_1)
	s_or_b32 exec_lo, exec_lo, s14
	v_lshrrev_b16 v8, 8, v26
	s_mov_b32 s14, exec_lo
	v_cmpx_ne_u16_e32 0, v8
	s_cbranch_execz .LBB349_1386
; %bb.1379:                             ;   in Loop: Header=BB349_941 Depth=1
	v_bfrev_b32_e32 v7, 1
	s_mov_b32 s15, exec_lo
	v_cmpx_ne_u16_e32 0x80, v8
	s_cbranch_execz .LBB349_1385
; %bb.1380:                             ;   in Loop: Header=BB349_941 Depth=1
	v_and_b32_e32 v9, 0xffff, v8
	v_mov_b32_e32 v7, 0x7f800001
	s_mov_b32 s16, exec_lo
	s_delay_alu instid0(VALU_DEP_2) | instskip(NEXT) | instid1(VALU_DEP_1)
	v_and_b32_e32 v8, 0x7f, v9
	v_cmpx_ne_u32_e32 0x7f, v8
	s_cbranch_execz .LBB349_1384
; %bb.1381:                             ;   in Loop: Header=BB349_941 Depth=1
	v_dual_mov_b32 v23, v27 :: v_dual_bitop2_b32 v22, 7, v9 bitop3:0x40
	v_lshrrev_b32_e32 v7, 3, v8
	s_mov_b32 s17, exec_lo
	v_cmpx_gt_u32_e32 8, v8
; %bb.1382:                             ;   in Loop: Header=BB349_941 Depth=1
	s_delay_alu instid0(VALU_DEP_3) | instskip(NEXT) | instid1(VALU_DEP_1)
	v_clz_i32_u32_e32 v7, v22
	v_min_u32_e32 v7, 32, v7
	s_delay_alu instid0(VALU_DEP_1) | instskip(NEXT) | instid1(VALU_DEP_1)
	v_subrev_nc_u32_e32 v8, 28, v7
	v_lshlrev_b64_e32 v[8:9], v8, v[22:23]
	s_delay_alu instid0(VALU_DEP_1)
	v_dual_sub_nc_u32 v7, 29, v7 :: v_dual_bitop2_b32 v22, 7, v8 bitop3:0x40
; %bb.1383:                             ;   in Loop: Header=BB349_941 Depth=1
	s_or_b32 exec_lo, exec_lo, s17
	v_lshlrev_b32_e32 v8, 16, v26
	s_delay_alu instid0(VALU_DEP_2) | instskip(NEXT) | instid1(VALU_DEP_3)
	v_lshlrev_b32_e32 v9, 20, v22
	v_lshl_add_u32 v7, v7, 23, 0x3c000000
	s_delay_alu instid0(VALU_DEP_3) | instskip(NEXT) | instid1(VALU_DEP_1)
	v_and_b32_e32 v8, 0x80000000, v8
	v_or3_b32 v7, v9, v8, v7
.LBB349_1384:                           ;   in Loop: Header=BB349_941 Depth=1
	s_or_b32 exec_lo, exec_lo, s16
.LBB349_1385:                           ;   in Loop: Header=BB349_941 Depth=1
	s_delay_alu instid0(SALU_CYCLE_1)
	s_or_b32 exec_lo, exec_lo, s15
.LBB349_1386:                           ;   in Loop: Header=BB349_941 Depth=1
	s_delay_alu instid0(SALU_CYCLE_1) | instskip(SKIP_3) | instid1(VALU_DEP_2)
	s_or_b32 exec_lo, exec_lo, s14
	v_dual_lshrrev_b32 v16, 16, v19 :: v_dual_mov_b32 v8, 0
	v_mov_b32_e32 v9, 0
	s_mov_b32 s14, exec_lo
	v_and_b32_e32 v17, 0xff, v16
	s_delay_alu instid0(VALU_DEP_1)
	v_cmpx_ne_u16_e32 0, v17
	s_cbranch_execz .LBB349_1394
; %bb.1387:                             ;   in Loop: Header=BB349_941 Depth=1
	v_bfrev_b32_e32 v9, 1
	s_mov_b32 s15, exec_lo
	v_cmpx_ne_u16_e32 0x80, v17
	s_cbranch_execz .LBB349_1393
; %bb.1388:                             ;   in Loop: Header=BB349_941 Depth=1
	v_bfe_u32 v17, v19, 16, 7
	v_mov_b32_e32 v9, 0x7f800001
	s_mov_b32 s16, exec_lo
	s_delay_alu instid0(VALU_DEP_2)
	v_cmpx_ne_u32_e32 0x7f, v17
	s_cbranch_execz .LBB349_1392
; %bb.1389:                             ;   in Loop: Header=BB349_941 Depth=1
	v_dual_lshrrev_b32 v9, 3, v17 :: v_dual_bitop2_b32 v26, 7, v16 bitop3:0x40
	s_mov_b32 s17, exec_lo
	v_cmpx_gt_u32_e32 8, v17
; %bb.1390:                             ;   in Loop: Header=BB349_941 Depth=1
	s_delay_alu instid0(VALU_DEP_2) | instskip(NEXT) | instid1(VALU_DEP_1)
	v_clz_i32_u32_e32 v9, v26
	v_min_u32_e32 v9, 32, v9
	s_delay_alu instid0(VALU_DEP_1) | instskip(NEXT) | instid1(VALU_DEP_1)
	v_subrev_nc_u32_e32 v17, 28, v9
	v_lshlrev_b64_e32 v[22:23], v17, v[26:27]
	s_delay_alu instid0(VALU_DEP_1)
	v_dual_sub_nc_u32 v9, 29, v9 :: v_dual_bitop2_b32 v26, 7, v22 bitop3:0x40
; %bb.1391:                             ;   in Loop: Header=BB349_941 Depth=1
	s_or_b32 exec_lo, exec_lo, s17
	s_delay_alu instid0(VALU_DEP_1) | instskip(NEXT) | instid1(VALU_DEP_2)
	v_dual_lshlrev_b32 v16, 24, v16 :: v_dual_lshlrev_b32 v17, 20, v26
	v_lshl_add_u32 v9, v9, 23, 0x3c000000
	s_delay_alu instid0(VALU_DEP_2) | instskip(NEXT) | instid1(VALU_DEP_1)
	v_and_b32_e32 v16, 0x80000000, v16
	v_or3_b32 v9, v17, v16, v9
.LBB349_1392:                           ;   in Loop: Header=BB349_941 Depth=1
	s_or_b32 exec_lo, exec_lo, s16
.LBB349_1393:                           ;   in Loop: Header=BB349_941 Depth=1
	s_delay_alu instid0(SALU_CYCLE_1)
	s_or_b32 exec_lo, exec_lo, s15
.LBB349_1394:                           ;   in Loop: Header=BB349_941 Depth=1
	s_delay_alu instid0(SALU_CYCLE_1) | instskip(NEXT) | instid1(SALU_CYCLE_1)
	s_or_b32 exec_lo, exec_lo, s14
	s_mov_b32 s14, exec_lo
	v_cmpx_lt_u64_e64 s[2:3], v[18:19]
	s_cbranch_execz .LBB349_1402
; %bb.1395:                             ;   in Loop: Header=BB349_941 Depth=1
	v_lshrrev_b32_e32 v16, 24, v19
	v_bfrev_b32_e32 v8, 1
	s_mov_b32 s15, exec_lo
	s_delay_alu instid0(VALU_DEP_2)
	v_cmpx_ne_u32_e32 0x80, v16
	s_cbranch_execz .LBB349_1401
; %bb.1396:                             ;   in Loop: Header=BB349_941 Depth=1
	v_bfe_u32 v17, v19, 24, 7
	v_mov_b32_e32 v8, 0x7f800001
	s_mov_b32 s16, exec_lo
	s_delay_alu instid0(VALU_DEP_2)
	v_cmpx_ne_u32_e32 0x7f, v17
	s_cbranch_execz .LBB349_1400
; %bb.1397:                             ;   in Loop: Header=BB349_941 Depth=1
	v_dual_lshrrev_b32 v8, 3, v17 :: v_dual_bitop2_b32 v26, 7, v16 bitop3:0x40
	s_mov_b32 s17, exec_lo
	v_cmpx_gt_u32_e32 8, v17
; %bb.1398:                             ;   in Loop: Header=BB349_941 Depth=1
	s_delay_alu instid0(VALU_DEP_2) | instskip(NEXT) | instid1(VALU_DEP_1)
	v_clz_i32_u32_e32 v8, v26
	v_min_u32_e32 v8, 32, v8
	s_delay_alu instid0(VALU_DEP_1) | instskip(NEXT) | instid1(VALU_DEP_1)
	v_subrev_nc_u32_e32 v17, 28, v8
	v_lshlrev_b64_e32 v[18:19], v17, v[26:27]
	s_delay_alu instid0(VALU_DEP_1)
	v_dual_sub_nc_u32 v8, 29, v8 :: v_dual_bitop2_b32 v26, 7, v18 bitop3:0x40
; %bb.1399:                             ;   in Loop: Header=BB349_941 Depth=1
	s_or_b32 exec_lo, exec_lo, s17
	s_delay_alu instid0(VALU_DEP_1) | instskip(NEXT) | instid1(VALU_DEP_2)
	v_dual_lshlrev_b32 v16, 24, v16 :: v_dual_lshlrev_b32 v17, 20, v26
	v_lshl_add_u32 v8, v8, 23, 0x3c000000
	s_delay_alu instid0(VALU_DEP_2) | instskip(NEXT) | instid1(VALU_DEP_1)
	v_and_b32_e32 v16, 0x80000000, v16
	v_or3_b32 v8, v17, v16, v8
.LBB349_1400:                           ;   in Loop: Header=BB349_941 Depth=1
	s_or_b32 exec_lo, exec_lo, s16
.LBB349_1401:                           ;   in Loop: Header=BB349_941 Depth=1
	s_delay_alu instid0(SALU_CYCLE_1)
	s_or_b32 exec_lo, exec_lo, s15
.LBB349_1402:                           ;   in Loop: Header=BB349_941 Depth=1
	s_delay_alu instid0(SALU_CYCLE_1)
	s_or_b32 exec_lo, exec_lo, s14
	v_fma_mixlo_bf16 v16, v96, v7, 0
	v_fma_mixlo_bf16 v17, v96, v6, 0
	;; [unrolled: 1-line block ×8, first 2 shown]
	s_and_saveexec_b32 s14, vcc_lo
	s_cbranch_execz .LBB349_1404
; %bb.1403:                             ;   in Loop: Header=BB349_941 Depth=1
	v_cmp_lt_i32_e64 s0, v100, v126
	s_delay_alu instid0(VALU_DEP_1) | instskip(SKIP_1) | instid1(VALU_DEP_1)
	v_cndmask_b32_e64 v93, 0, v93, s0
	v_cmp_lt_i32_e64 s0, v112, v126
	v_cndmask_b32_e64 v92, 0, v92, s0
	v_cmp_lt_i32_e64 s0, v103, v126
	s_delay_alu instid0(VALU_DEP_1) | instskip(SKIP_1) | instid1(VALU_DEP_1)
	v_cndmask_b32_e64 v91, 0, v91, s0
	v_cmp_lt_i32_e64 s0, v102, v126
	v_cndmask_b32_e64 v90, 0, v90, s0
	;; [unrolled: 5-line block ×4, first 2 shown]
.LBB349_1404:                           ;   in Loop: Header=BB349_941 Depth=1
	s_or_b32 exec_lo, exec_lo, s14
	flat_load_b64 v[18:19], v[0:1] offset:1792
	v_dual_mov_b32 v3, 0 :: v_dual_mov_b32 v2, 0
	s_mov_b32 s14, exec_lo
	s_wait_loadcnt_dscnt 0x0
	v_and_b32_e32 v4, 0xff, v18
	s_wait_xcnt 0x0
	s_delay_alu instid0(VALU_DEP_1)
	v_cmpx_ne_u16_e32 0, v4
	s_cbranch_execz .LBB349_1412
; %bb.1405:                             ;   in Loop: Header=BB349_941 Depth=1
	v_bfrev_b32_e32 v2, 1
	s_mov_b32 s15, exec_lo
	v_cmpx_ne_u16_e32 0x80, v4
	s_cbranch_execz .LBB349_1411
; %bb.1406:                             ;   in Loop: Header=BB349_941 Depth=1
	v_and_b32_e32 v4, 0x7f, v18
	v_mov_b32_e32 v2, 0x7f800001
	s_mov_b32 s16, exec_lo
	s_delay_alu instid0(VALU_DEP_2)
	v_cmpx_ne_u32_e32 0x7f, v4
	s_cbranch_execz .LBB349_1410
; %bb.1407:                             ;   in Loop: Header=BB349_941 Depth=1
	v_mov_b64_e32 v[22:23], v[18:19]
	v_lshrrev_b32_e32 v2, 3, v4
	s_mov_b32 s17, exec_lo
	v_cmpx_gt_u32_e32 8, v4
; %bb.1408:                             ;   in Loop: Header=BB349_941 Depth=1
	v_and_b32_e32 v2, 7, v18
	s_delay_alu instid0(VALU_DEP_1) | instskip(NEXT) | instid1(VALU_DEP_1)
	v_clz_i32_u32_e32 v2, v2
	v_min_u32_e32 v2, 32, v2
	s_delay_alu instid0(VALU_DEP_1) | instskip(SKIP_1) | instid1(VALU_DEP_2)
	v_subrev_nc_u32_e32 v4, 28, v2
	v_sub_nc_u32_e32 v2, 29, v2
	v_lshlrev_b64_e32 v[22:23], v4, v[18:19]
; %bb.1409:                             ;   in Loop: Header=BB349_941 Depth=1
	s_or_b32 exec_lo, exec_lo, s17
	s_delay_alu instid0(VALU_DEP_1) | instskip(SKIP_2) | instid1(VALU_DEP_3)
	v_lshlrev_b32_e32 v4, 20, v22
	v_lshlrev_b32_e32 v5, 24, v18
	v_lshl_add_u32 v2, v2, 23, 0x3c000000
	v_and_b32_e32 v4, 0x700000, v4
	s_delay_alu instid0(VALU_DEP_3) | instskip(NEXT) | instid1(VALU_DEP_1)
	v_and_b32_e32 v5, 0x80000000, v5
	v_or3_b32 v2, v4, v5, v2
.LBB349_1410:                           ;   in Loop: Header=BB349_941 Depth=1
	s_or_b32 exec_lo, exec_lo, s16
.LBB349_1411:                           ;   in Loop: Header=BB349_941 Depth=1
	s_delay_alu instid0(SALU_CYCLE_1)
	s_or_b32 exec_lo, exec_lo, s15
.LBB349_1412:                           ;   in Loop: Header=BB349_941 Depth=1
	s_delay_alu instid0(SALU_CYCLE_1) | instskip(SKIP_2) | instid1(VALU_DEP_1)
	s_or_b32 exec_lo, exec_lo, s14
	v_lshrrev_b16 v4, 8, v18
	s_mov_b32 s14, exec_lo
	v_cmpx_ne_u16_e32 0, v4
	s_cbranch_execz .LBB349_1420
; %bb.1413:                             ;   in Loop: Header=BB349_941 Depth=1
	v_bfrev_b32_e32 v3, 1
	s_mov_b32 s15, exec_lo
	v_cmpx_ne_u16_e32 0x80, v4
	s_cbranch_execz .LBB349_1419
; %bb.1414:                             ;   in Loop: Header=BB349_941 Depth=1
	v_and_b32_e32 v5, 0xffff, v4
	v_mov_b32_e32 v3, 0x7f800001
	s_mov_b32 s16, exec_lo
	s_delay_alu instid0(VALU_DEP_2) | instskip(NEXT) | instid1(VALU_DEP_1)
	v_and_b32_e32 v4, 0x7f, v5
	v_cmpx_ne_u32_e32 0x7f, v4
	s_cbranch_execz .LBB349_1418
; %bb.1415:                             ;   in Loop: Header=BB349_941 Depth=1
	v_dual_lshrrev_b32 v3, 3, v4 :: v_dual_bitop2_b32 v26, 7, v5 bitop3:0x40
	s_mov_b32 s17, exec_lo
	v_cmpx_gt_u32_e32 8, v4
; %bb.1416:                             ;   in Loop: Header=BB349_941 Depth=1
	s_delay_alu instid0(VALU_DEP_2) | instskip(NEXT) | instid1(VALU_DEP_1)
	v_clz_i32_u32_e32 v3, v26
	v_min_u32_e32 v3, 32, v3
	s_delay_alu instid0(VALU_DEP_1) | instskip(NEXT) | instid1(VALU_DEP_1)
	v_subrev_nc_u32_e32 v4, 28, v3
	v_lshlrev_b64_e32 v[4:5], v4, v[26:27]
	s_delay_alu instid0(VALU_DEP_1)
	v_dual_sub_nc_u32 v3, 29, v3 :: v_dual_bitop2_b32 v26, 7, v4 bitop3:0x40
; %bb.1417:                             ;   in Loop: Header=BB349_941 Depth=1
	s_or_b32 exec_lo, exec_lo, s17
	v_lshlrev_b32_e32 v4, 16, v18
	s_delay_alu instid0(VALU_DEP_2) | instskip(NEXT) | instid1(VALU_DEP_3)
	v_lshlrev_b32_e32 v5, 20, v26
	v_lshl_add_u32 v3, v3, 23, 0x3c000000
	s_delay_alu instid0(VALU_DEP_3) | instskip(NEXT) | instid1(VALU_DEP_1)
	v_and_b32_e32 v4, 0x80000000, v4
	v_or3_b32 v3, v5, v4, v3
.LBB349_1418:                           ;   in Loop: Header=BB349_941 Depth=1
	s_or_b32 exec_lo, exec_lo, s16
.LBB349_1419:                           ;   in Loop: Header=BB349_941 Depth=1
	s_delay_alu instid0(SALU_CYCLE_1)
	s_or_b32 exec_lo, exec_lo, s15
.LBB349_1420:                           ;   in Loop: Header=BB349_941 Depth=1
	s_delay_alu instid0(SALU_CYCLE_1) | instskip(SKIP_3) | instid1(VALU_DEP_2)
	s_or_b32 exec_lo, exec_lo, s14
	v_dual_mov_b32 v5, 0 :: v_dual_lshrrev_b32 v6, 16, v18
	v_mov_b32_e32 v4, 0
	s_mov_b32 s14, exec_lo
	v_and_b32_e32 v7, 0xff, v6
	s_delay_alu instid0(VALU_DEP_1)
	v_cmpx_ne_u16_e32 0, v7
	s_cbranch_execz .LBB349_1428
; %bb.1421:                             ;   in Loop: Header=BB349_941 Depth=1
	v_bfrev_b32_e32 v4, 1
	s_mov_b32 s15, exec_lo
	v_cmpx_ne_u16_e32 0x80, v7
	s_cbranch_execz .LBB349_1427
; %bb.1422:                             ;   in Loop: Header=BB349_941 Depth=1
	v_bfe_u32 v7, v18, 16, 7
	v_mov_b32_e32 v4, 0x7f800001
	s_mov_b32 s16, exec_lo
	s_delay_alu instid0(VALU_DEP_2)
	v_cmpx_ne_u32_e32 0x7f, v7
	s_cbranch_execz .LBB349_1426
; %bb.1423:                             ;   in Loop: Header=BB349_941 Depth=1
	v_dual_lshrrev_b32 v4, 3, v7 :: v_dual_bitop2_b32 v26, 7, v6 bitop3:0x40
	s_mov_b32 s17, exec_lo
	v_cmpx_gt_u32_e32 8, v7
; %bb.1424:                             ;   in Loop: Header=BB349_941 Depth=1
	s_delay_alu instid0(VALU_DEP_2) | instskip(NEXT) | instid1(VALU_DEP_1)
	v_clz_i32_u32_e32 v4, v26
	v_min_u32_e32 v4, 32, v4
	s_delay_alu instid0(VALU_DEP_1) | instskip(SKIP_1) | instid1(VALU_DEP_2)
	v_subrev_nc_u32_e32 v7, 28, v4
	v_sub_nc_u32_e32 v4, 29, v4
	v_lshlrev_b64_e32 v[8:9], v7, v[26:27]
	s_delay_alu instid0(VALU_DEP_1)
	v_and_b32_e32 v26, 7, v8
; %bb.1425:                             ;   in Loop: Header=BB349_941 Depth=1
	s_or_b32 exec_lo, exec_lo, s17
	v_lshlrev_b32_e32 v6, 24, v6
	s_delay_alu instid0(VALU_DEP_2) | instskip(SKIP_1) | instid1(VALU_DEP_3)
	v_lshlrev_b32_e32 v7, 20, v26
	v_lshl_add_u32 v4, v4, 23, 0x3c000000
	v_and_b32_e32 v6, 0x80000000, v6
	s_delay_alu instid0(VALU_DEP_1)
	v_or3_b32 v4, v7, v6, v4
.LBB349_1426:                           ;   in Loop: Header=BB349_941 Depth=1
	s_or_b32 exec_lo, exec_lo, s16
.LBB349_1427:                           ;   in Loop: Header=BB349_941 Depth=1
	s_delay_alu instid0(SALU_CYCLE_1)
	s_or_b32 exec_lo, exec_lo, s15
.LBB349_1428:                           ;   in Loop: Header=BB349_941 Depth=1
	s_delay_alu instid0(SALU_CYCLE_1) | instskip(NEXT) | instid1(SALU_CYCLE_1)
	s_or_b32 exec_lo, exec_lo, s14
	s_mov_b32 s14, exec_lo
	v_cmpx_lt_u32_e32 0xffffff, v18
	s_cbranch_execz .LBB349_1436
; %bb.1429:                             ;   in Loop: Header=BB349_941 Depth=1
	v_lshrrev_b32_e32 v6, 24, v18
	v_bfrev_b32_e32 v5, 1
	s_mov_b32 s15, exec_lo
	s_delay_alu instid0(VALU_DEP_2)
	v_cmpx_ne_u32_e32 0x80, v6
	s_cbranch_execz .LBB349_1435
; %bb.1430:                             ;   in Loop: Header=BB349_941 Depth=1
	v_bfe_u32 v7, v18, 24, 7
	v_mov_b32_e32 v5, 0x7f800001
	s_mov_b32 s16, exec_lo
	s_delay_alu instid0(VALU_DEP_2)
	v_cmpx_ne_u32_e32 0x7f, v7
	s_cbranch_execz .LBB349_1434
; %bb.1431:                             ;   in Loop: Header=BB349_941 Depth=1
	v_dual_lshrrev_b32 v5, 3, v7 :: v_dual_bitop2_b32 v26, 7, v6 bitop3:0x40
	s_mov_b32 s17, exec_lo
	v_cmpx_gt_u32_e32 8, v7
; %bb.1432:                             ;   in Loop: Header=BB349_941 Depth=1
	s_delay_alu instid0(VALU_DEP_2) | instskip(NEXT) | instid1(VALU_DEP_1)
	v_clz_i32_u32_e32 v5, v26
	v_min_u32_e32 v5, 32, v5
	s_delay_alu instid0(VALU_DEP_1) | instskip(NEXT) | instid1(VALU_DEP_1)
	v_subrev_nc_u32_e32 v7, 28, v5
	v_lshlrev_b64_e32 v[8:9], v7, v[26:27]
	s_delay_alu instid0(VALU_DEP_1)
	v_dual_sub_nc_u32 v5, 29, v5 :: v_dual_bitop2_b32 v26, 7, v8 bitop3:0x40
; %bb.1433:                             ;   in Loop: Header=BB349_941 Depth=1
	s_or_b32 exec_lo, exec_lo, s17
	v_lshlrev_b32_e32 v6, 24, v6
	s_delay_alu instid0(VALU_DEP_2) | instskip(NEXT) | instid1(VALU_DEP_3)
	v_lshlrev_b32_e32 v7, 20, v26
	v_lshl_add_u32 v5, v5, 23, 0x3c000000
	s_delay_alu instid0(VALU_DEP_3) | instskip(NEXT) | instid1(VALU_DEP_1)
	v_and_b32_e32 v6, 0x80000000, v6
	v_or3_b32 v5, v7, v6, v5
.LBB349_1434:                           ;   in Loop: Header=BB349_941 Depth=1
	s_or_b32 exec_lo, exec_lo, s16
.LBB349_1435:                           ;   in Loop: Header=BB349_941 Depth=1
	s_delay_alu instid0(SALU_CYCLE_1)
	s_or_b32 exec_lo, exec_lo, s15
.LBB349_1436:                           ;   in Loop: Header=BB349_941 Depth=1
	s_delay_alu instid0(SALU_CYCLE_1) | instskip(SKIP_4) | instid1(VALU_DEP_3)
	s_or_b32 exec_lo, exec_lo, s14
	v_and_b32_e32 v8, 0xff, v19
	v_dual_mov_b32 v26, v19 :: v_dual_mov_b32 v7, 0
	v_mov_b32_e32 v6, 0
	s_mov_b32 s14, exec_lo
	v_cmpx_ne_u16_e32 0, v8
	s_cbranch_execz .LBB349_1444
; %bb.1437:                             ;   in Loop: Header=BB349_941 Depth=1
	v_bfrev_b32_e32 v6, 1
	s_mov_b32 s15, exec_lo
	v_cmpx_ne_u16_e32 0x80, v8
	s_cbranch_execz .LBB349_1443
; %bb.1438:                             ;   in Loop: Header=BB349_941 Depth=1
	v_and_b32_e32 v8, 0x7f, v19
	v_mov_b32_e32 v6, 0x7f800001
	s_mov_b32 s16, exec_lo
	s_delay_alu instid0(VALU_DEP_2)
	v_cmpx_ne_u32_e32 0x7f, v8
	s_cbranch_execz .LBB349_1442
; %bb.1439:                             ;   in Loop: Header=BB349_941 Depth=1
	v_mov_b64_e32 v[22:23], v[26:27]
	v_lshrrev_b32_e32 v6, 3, v8
	s_mov_b32 s17, exec_lo
	v_cmpx_gt_u32_e32 8, v8
; %bb.1440:                             ;   in Loop: Header=BB349_941 Depth=1
	v_and_b32_e32 v6, 7, v19
	s_delay_alu instid0(VALU_DEP_1) | instskip(NEXT) | instid1(VALU_DEP_1)
	v_clz_i32_u32_e32 v6, v6
	v_min_u32_e32 v6, 32, v6
	s_delay_alu instid0(VALU_DEP_1) | instskip(SKIP_1) | instid1(VALU_DEP_2)
	v_subrev_nc_u32_e32 v8, 28, v6
	v_sub_nc_u32_e32 v6, 29, v6
	v_lshlrev_b64_e32 v[22:23], v8, v[26:27]
; %bb.1441:                             ;   in Loop: Header=BB349_941 Depth=1
	s_or_b32 exec_lo, exec_lo, s17
	s_delay_alu instid0(VALU_DEP_1) | instskip(SKIP_2) | instid1(VALU_DEP_3)
	v_lshlrev_b32_e32 v8, 20, v22
	v_lshlrev_b32_e32 v9, 24, v26
	v_lshl_add_u32 v6, v6, 23, 0x3c000000
	v_and_b32_e32 v8, 0x700000, v8
	s_delay_alu instid0(VALU_DEP_3) | instskip(NEXT) | instid1(VALU_DEP_1)
	v_and_b32_e32 v9, 0x80000000, v9
	v_or3_b32 v6, v8, v9, v6
.LBB349_1442:                           ;   in Loop: Header=BB349_941 Depth=1
	s_or_b32 exec_lo, exec_lo, s16
.LBB349_1443:                           ;   in Loop: Header=BB349_941 Depth=1
	s_delay_alu instid0(SALU_CYCLE_1)
	s_or_b32 exec_lo, exec_lo, s15
.LBB349_1444:                           ;   in Loop: Header=BB349_941 Depth=1
	s_delay_alu instid0(SALU_CYCLE_1) | instskip(SKIP_2) | instid1(VALU_DEP_1)
	s_or_b32 exec_lo, exec_lo, s14
	v_lshrrev_b16 v8, 8, v26
	s_mov_b32 s14, exec_lo
	v_cmpx_ne_u16_e32 0, v8
	s_cbranch_execz .LBB349_1452
; %bb.1445:                             ;   in Loop: Header=BB349_941 Depth=1
	v_bfrev_b32_e32 v7, 1
	s_mov_b32 s15, exec_lo
	v_cmpx_ne_u16_e32 0x80, v8
	s_cbranch_execz .LBB349_1451
; %bb.1446:                             ;   in Loop: Header=BB349_941 Depth=1
	v_and_b32_e32 v9, 0xffff, v8
	v_mov_b32_e32 v7, 0x7f800001
	s_mov_b32 s16, exec_lo
	s_delay_alu instid0(VALU_DEP_2) | instskip(NEXT) | instid1(VALU_DEP_1)
	v_and_b32_e32 v8, 0x7f, v9
	v_cmpx_ne_u32_e32 0x7f, v8
	s_cbranch_execz .LBB349_1450
; %bb.1447:                             ;   in Loop: Header=BB349_941 Depth=1
	v_dual_mov_b32 v23, v27 :: v_dual_bitop2_b32 v22, 7, v9 bitop3:0x40
	v_lshrrev_b32_e32 v7, 3, v8
	s_mov_b32 s17, exec_lo
	v_cmpx_gt_u32_e32 8, v8
; %bb.1448:                             ;   in Loop: Header=BB349_941 Depth=1
	s_delay_alu instid0(VALU_DEP_3) | instskip(NEXT) | instid1(VALU_DEP_1)
	v_clz_i32_u32_e32 v7, v22
	v_min_u32_e32 v7, 32, v7
	s_delay_alu instid0(VALU_DEP_1) | instskip(NEXT) | instid1(VALU_DEP_1)
	v_subrev_nc_u32_e32 v8, 28, v7
	v_lshlrev_b64_e32 v[8:9], v8, v[22:23]
	s_delay_alu instid0(VALU_DEP_1)
	v_dual_sub_nc_u32 v7, 29, v7 :: v_dual_bitop2_b32 v22, 7, v8 bitop3:0x40
; %bb.1449:                             ;   in Loop: Header=BB349_941 Depth=1
	s_or_b32 exec_lo, exec_lo, s17
	v_lshlrev_b32_e32 v8, 16, v26
	s_delay_alu instid0(VALU_DEP_2) | instskip(NEXT) | instid1(VALU_DEP_3)
	v_lshlrev_b32_e32 v9, 20, v22
	v_lshl_add_u32 v7, v7, 23, 0x3c000000
	s_delay_alu instid0(VALU_DEP_3) | instskip(NEXT) | instid1(VALU_DEP_1)
	v_and_b32_e32 v8, 0x80000000, v8
	v_or3_b32 v7, v9, v8, v7
.LBB349_1450:                           ;   in Loop: Header=BB349_941 Depth=1
	s_or_b32 exec_lo, exec_lo, s16
.LBB349_1451:                           ;   in Loop: Header=BB349_941 Depth=1
	s_delay_alu instid0(SALU_CYCLE_1)
	s_or_b32 exec_lo, exec_lo, s15
.LBB349_1452:                           ;   in Loop: Header=BB349_941 Depth=1
	s_delay_alu instid0(SALU_CYCLE_1) | instskip(SKIP_3) | instid1(VALU_DEP_2)
	s_or_b32 exec_lo, exec_lo, s14
	v_dual_lshrrev_b32 v22, 16, v19 :: v_dual_mov_b32 v8, 0
	v_mov_b32_e32 v9, 0
	s_mov_b32 s14, exec_lo
	v_and_b32_e32 v23, 0xff, v22
	s_delay_alu instid0(VALU_DEP_1)
	v_cmpx_ne_u16_e32 0, v23
	s_cbranch_execz .LBB349_1460
; %bb.1453:                             ;   in Loop: Header=BB349_941 Depth=1
	v_bfrev_b32_e32 v9, 1
	s_mov_b32 s15, exec_lo
	v_cmpx_ne_u16_e32 0x80, v23
	s_cbranch_execz .LBB349_1459
; %bb.1454:                             ;   in Loop: Header=BB349_941 Depth=1
	v_bfe_u32 v23, v19, 16, 7
	v_mov_b32_e32 v9, 0x7f800001
	s_mov_b32 s16, exec_lo
	s_delay_alu instid0(VALU_DEP_2)
	v_cmpx_ne_u32_e32 0x7f, v23
	s_cbranch_execz .LBB349_1458
; %bb.1455:                             ;   in Loop: Header=BB349_941 Depth=1
	v_dual_lshrrev_b32 v9, 3, v23 :: v_dual_bitop2_b32 v26, 7, v22 bitop3:0x40
	s_mov_b32 s17, exec_lo
	v_cmpx_gt_u32_e32 8, v23
; %bb.1456:                             ;   in Loop: Header=BB349_941 Depth=1
	s_delay_alu instid0(VALU_DEP_2) | instskip(NEXT) | instid1(VALU_DEP_1)
	v_clz_i32_u32_e32 v9, v26
	v_min_u32_e32 v9, 32, v9
	s_delay_alu instid0(VALU_DEP_1) | instskip(NEXT) | instid1(VALU_DEP_1)
	v_subrev_nc_u32_e32 v23, 28, v9
	v_lshlrev_b64_e32 v[24:25], v23, v[26:27]
	s_delay_alu instid0(VALU_DEP_1)
	v_dual_sub_nc_u32 v9, 29, v9 :: v_dual_bitop2_b32 v26, 7, v24 bitop3:0x40
; %bb.1457:                             ;   in Loop: Header=BB349_941 Depth=1
	s_or_b32 exec_lo, exec_lo, s17
	v_lshlrev_b32_e32 v22, 24, v22
	s_delay_alu instid0(VALU_DEP_2) | instskip(NEXT) | instid1(VALU_DEP_3)
	v_lshlrev_b32_e32 v23, 20, v26
	v_lshl_add_u32 v9, v9, 23, 0x3c000000
	s_delay_alu instid0(VALU_DEP_3) | instskip(NEXT) | instid1(VALU_DEP_1)
	v_and_b32_e32 v22, 0x80000000, v22
	v_or3_b32 v9, v23, v22, v9
.LBB349_1458:                           ;   in Loop: Header=BB349_941 Depth=1
	s_or_b32 exec_lo, exec_lo, s16
.LBB349_1459:                           ;   in Loop: Header=BB349_941 Depth=1
	s_delay_alu instid0(SALU_CYCLE_1)
	s_or_b32 exec_lo, exec_lo, s15
.LBB349_1460:                           ;   in Loop: Header=BB349_941 Depth=1
	s_delay_alu instid0(SALU_CYCLE_1) | instskip(NEXT) | instid1(SALU_CYCLE_1)
	s_or_b32 exec_lo, exec_lo, s14
	s_mov_b32 s14, exec_lo
	v_cmpx_lt_u64_e64 s[2:3], v[18:19]
	s_cbranch_execz .LBB349_1468
; %bb.1461:                             ;   in Loop: Header=BB349_941 Depth=1
	v_lshrrev_b32_e32 v18, 24, v19
	v_bfrev_b32_e32 v8, 1
	s_mov_b32 s15, exec_lo
	s_delay_alu instid0(VALU_DEP_2)
	v_cmpx_ne_u32_e32 0x80, v18
	s_cbranch_execz .LBB349_1467
; %bb.1462:                             ;   in Loop: Header=BB349_941 Depth=1
	v_bfe_u32 v19, v19, 24, 7
	v_mov_b32_e32 v8, 0x7f800001
	s_mov_b32 s16, exec_lo
	s_delay_alu instid0(VALU_DEP_2)
	v_cmpx_ne_u32_e32 0x7f, v19
	s_cbranch_execz .LBB349_1466
; %bb.1463:                             ;   in Loop: Header=BB349_941 Depth=1
	v_dual_lshrrev_b32 v8, 3, v19 :: v_dual_bitop2_b32 v26, 7, v18 bitop3:0x40
	s_mov_b32 s17, exec_lo
	v_cmpx_gt_u32_e32 8, v19
; %bb.1464:                             ;   in Loop: Header=BB349_941 Depth=1
	s_delay_alu instid0(VALU_DEP_2) | instskip(NEXT) | instid1(VALU_DEP_1)
	v_clz_i32_u32_e32 v8, v26
	v_min_u32_e32 v8, 32, v8
	s_delay_alu instid0(VALU_DEP_1) | instskip(NEXT) | instid1(VALU_DEP_1)
	v_subrev_nc_u32_e32 v19, 28, v8
	v_lshlrev_b64_e32 v[22:23], v19, v[26:27]
	s_delay_alu instid0(VALU_DEP_1)
	v_dual_sub_nc_u32 v8, 29, v8 :: v_dual_bitop2_b32 v26, 7, v22 bitop3:0x40
; %bb.1465:                             ;   in Loop: Header=BB349_941 Depth=1
	s_or_b32 exec_lo, exec_lo, s17
	v_lshlrev_b32_e32 v18, 24, v18
	s_delay_alu instid0(VALU_DEP_2) | instskip(NEXT) | instid1(VALU_DEP_3)
	v_lshlrev_b32_e32 v19, 20, v26
	v_lshl_add_u32 v8, v8, 23, 0x3c000000
	s_delay_alu instid0(VALU_DEP_3) | instskip(NEXT) | instid1(VALU_DEP_1)
	v_and_b32_e32 v18, 0x80000000, v18
	v_or3_b32 v8, v19, v18, v8
.LBB349_1466:                           ;   in Loop: Header=BB349_941 Depth=1
	s_or_b32 exec_lo, exec_lo, s16
.LBB349_1467:                           ;   in Loop: Header=BB349_941 Depth=1
	s_delay_alu instid0(SALU_CYCLE_1)
	s_or_b32 exec_lo, exec_lo, s15
.LBB349_1468:                           ;   in Loop: Header=BB349_941 Depth=1
	s_delay_alu instid0(SALU_CYCLE_1)
	s_or_b32 exec_lo, exec_lo, s14
	v_fma_mixlo_bf16 v94, v96, v7, 0
	v_fma_mixlo_bf16 v95, v96, v6, 0
	;; [unrolled: 1-line block ×8, first 2 shown]
	s_and_saveexec_b32 s14, vcc_lo
	s_cbranch_execz .LBB349_1470
; %bb.1469:                             ;   in Loop: Header=BB349_941 Depth=1
	v_cmp_lt_i32_e64 s0, v100, v126
	s_delay_alu instid0(VALU_DEP_1) | instskip(SKIP_1) | instid1(VALU_DEP_1)
	v_cndmask_b32_e64 v109, 0, v109, s0
	v_cmp_lt_i32_e64 s0, v112, v126
	v_cndmask_b32_e64 v108, 0, v108, s0
	v_cmp_lt_i32_e64 s0, v103, v126
	s_delay_alu instid0(VALU_DEP_1) | instskip(SKIP_1) | instid1(VALU_DEP_1)
	v_cndmask_b32_e64 v107, 0, v107, s0
	v_cmp_lt_i32_e64 s0, v102, v126
	v_cndmask_b32_e64 v106, 0, v106, s0
	;; [unrolled: 5-line block ×4, first 2 shown]
.LBB349_1470:                           ;   in Loop: Header=BB349_941 Depth=1
	s_or_b32 exec_lo, exec_lo, s14
	flat_load_b64 v[18:19], v[0:1] offset:2048
	v_dual_mov_b32 v3, 0 :: v_dual_mov_b32 v2, 0
	s_mov_b32 s14, exec_lo
	s_wait_loadcnt_dscnt 0x0
	v_and_b32_e32 v4, 0xff, v18
	s_wait_xcnt 0x0
	s_delay_alu instid0(VALU_DEP_1)
	v_cmpx_ne_u16_e32 0, v4
	s_cbranch_execz .LBB349_1478
; %bb.1471:                             ;   in Loop: Header=BB349_941 Depth=1
	v_bfrev_b32_e32 v2, 1
	s_mov_b32 s15, exec_lo
	v_cmpx_ne_u16_e32 0x80, v4
	s_cbranch_execz .LBB349_1477
; %bb.1472:                             ;   in Loop: Header=BB349_941 Depth=1
	v_and_b32_e32 v4, 0x7f, v18
	v_mov_b32_e32 v2, 0x7f800001
	s_mov_b32 s16, exec_lo
	s_delay_alu instid0(VALU_DEP_2)
	v_cmpx_ne_u32_e32 0x7f, v4
	s_cbranch_execz .LBB349_1476
; %bb.1473:                             ;   in Loop: Header=BB349_941 Depth=1
	v_mov_b64_e32 v[22:23], v[18:19]
	v_lshrrev_b32_e32 v2, 3, v4
	s_mov_b32 s17, exec_lo
	v_cmpx_gt_u32_e32 8, v4
; %bb.1474:                             ;   in Loop: Header=BB349_941 Depth=1
	v_and_b32_e32 v2, 7, v18
	s_delay_alu instid0(VALU_DEP_1) | instskip(NEXT) | instid1(VALU_DEP_1)
	v_clz_i32_u32_e32 v2, v2
	v_min_u32_e32 v2, 32, v2
	s_delay_alu instid0(VALU_DEP_1) | instskip(SKIP_1) | instid1(VALU_DEP_2)
	v_subrev_nc_u32_e32 v4, 28, v2
	v_sub_nc_u32_e32 v2, 29, v2
	v_lshlrev_b64_e32 v[22:23], v4, v[18:19]
; %bb.1475:                             ;   in Loop: Header=BB349_941 Depth=1
	s_or_b32 exec_lo, exec_lo, s17
	s_delay_alu instid0(VALU_DEP_1) | instskip(SKIP_2) | instid1(VALU_DEP_3)
	v_lshlrev_b32_e32 v4, 20, v22
	v_lshlrev_b32_e32 v5, 24, v18
	v_lshl_add_u32 v2, v2, 23, 0x3c000000
	v_and_b32_e32 v4, 0x700000, v4
	s_delay_alu instid0(VALU_DEP_3) | instskip(NEXT) | instid1(VALU_DEP_1)
	v_and_b32_e32 v5, 0x80000000, v5
	v_or3_b32 v2, v4, v5, v2
.LBB349_1476:                           ;   in Loop: Header=BB349_941 Depth=1
	s_or_b32 exec_lo, exec_lo, s16
.LBB349_1477:                           ;   in Loop: Header=BB349_941 Depth=1
	s_delay_alu instid0(SALU_CYCLE_1)
	s_or_b32 exec_lo, exec_lo, s15
.LBB349_1478:                           ;   in Loop: Header=BB349_941 Depth=1
	s_delay_alu instid0(SALU_CYCLE_1) | instskip(SKIP_2) | instid1(VALU_DEP_1)
	s_or_b32 exec_lo, exec_lo, s14
	v_lshrrev_b16 v4, 8, v18
	s_mov_b32 s14, exec_lo
	v_cmpx_ne_u16_e32 0, v4
	s_cbranch_execz .LBB349_1486
; %bb.1479:                             ;   in Loop: Header=BB349_941 Depth=1
	v_bfrev_b32_e32 v3, 1
	s_mov_b32 s15, exec_lo
	v_cmpx_ne_u16_e32 0x80, v4
	s_cbranch_execz .LBB349_1485
; %bb.1480:                             ;   in Loop: Header=BB349_941 Depth=1
	v_and_b32_e32 v5, 0xffff, v4
	v_mov_b32_e32 v3, 0x7f800001
	s_mov_b32 s16, exec_lo
	s_delay_alu instid0(VALU_DEP_2) | instskip(NEXT) | instid1(VALU_DEP_1)
	v_and_b32_e32 v4, 0x7f, v5
	v_cmpx_ne_u32_e32 0x7f, v4
	s_cbranch_execz .LBB349_1484
; %bb.1481:                             ;   in Loop: Header=BB349_941 Depth=1
	v_dual_lshrrev_b32 v3, 3, v4 :: v_dual_bitop2_b32 v26, 7, v5 bitop3:0x40
	s_mov_b32 s17, exec_lo
	v_cmpx_gt_u32_e32 8, v4
; %bb.1482:                             ;   in Loop: Header=BB349_941 Depth=1
	s_delay_alu instid0(VALU_DEP_2) | instskip(NEXT) | instid1(VALU_DEP_1)
	v_clz_i32_u32_e32 v3, v26
	v_min_u32_e32 v3, 32, v3
	s_delay_alu instid0(VALU_DEP_1) | instskip(NEXT) | instid1(VALU_DEP_1)
	v_subrev_nc_u32_e32 v4, 28, v3
	v_lshlrev_b64_e32 v[4:5], v4, v[26:27]
	s_delay_alu instid0(VALU_DEP_1)
	v_dual_sub_nc_u32 v3, 29, v3 :: v_dual_bitop2_b32 v26, 7, v4 bitop3:0x40
; %bb.1483:                             ;   in Loop: Header=BB349_941 Depth=1
	s_or_b32 exec_lo, exec_lo, s17
	v_lshlrev_b32_e32 v4, 16, v18
	s_delay_alu instid0(VALU_DEP_2) | instskip(NEXT) | instid1(VALU_DEP_3)
	v_lshlrev_b32_e32 v5, 20, v26
	v_lshl_add_u32 v3, v3, 23, 0x3c000000
	s_delay_alu instid0(VALU_DEP_3) | instskip(NEXT) | instid1(VALU_DEP_1)
	v_and_b32_e32 v4, 0x80000000, v4
	v_or3_b32 v3, v5, v4, v3
.LBB349_1484:                           ;   in Loop: Header=BB349_941 Depth=1
	s_or_b32 exec_lo, exec_lo, s16
.LBB349_1485:                           ;   in Loop: Header=BB349_941 Depth=1
	s_delay_alu instid0(SALU_CYCLE_1)
	s_or_b32 exec_lo, exec_lo, s15
.LBB349_1486:                           ;   in Loop: Header=BB349_941 Depth=1
	s_delay_alu instid0(SALU_CYCLE_1) | instskip(SKIP_3) | instid1(VALU_DEP_2)
	s_or_b32 exec_lo, exec_lo, s14
	v_dual_mov_b32 v5, 0 :: v_dual_lshrrev_b32 v6, 16, v18
	v_mov_b32_e32 v4, 0
	s_mov_b32 s14, exec_lo
	v_and_b32_e32 v7, 0xff, v6
	s_delay_alu instid0(VALU_DEP_1)
	v_cmpx_ne_u16_e32 0, v7
	s_cbranch_execz .LBB349_1494
; %bb.1487:                             ;   in Loop: Header=BB349_941 Depth=1
	v_bfrev_b32_e32 v4, 1
	s_mov_b32 s15, exec_lo
	v_cmpx_ne_u16_e32 0x80, v7
	s_cbranch_execz .LBB349_1493
; %bb.1488:                             ;   in Loop: Header=BB349_941 Depth=1
	v_bfe_u32 v7, v18, 16, 7
	v_mov_b32_e32 v4, 0x7f800001
	s_mov_b32 s16, exec_lo
	s_delay_alu instid0(VALU_DEP_2)
	v_cmpx_ne_u32_e32 0x7f, v7
	s_cbranch_execz .LBB349_1492
; %bb.1489:                             ;   in Loop: Header=BB349_941 Depth=1
	v_dual_lshrrev_b32 v4, 3, v7 :: v_dual_bitop2_b32 v26, 7, v6 bitop3:0x40
	s_mov_b32 s17, exec_lo
	v_cmpx_gt_u32_e32 8, v7
; %bb.1490:                             ;   in Loop: Header=BB349_941 Depth=1
	s_delay_alu instid0(VALU_DEP_2) | instskip(NEXT) | instid1(VALU_DEP_1)
	v_clz_i32_u32_e32 v4, v26
	v_min_u32_e32 v4, 32, v4
	s_delay_alu instid0(VALU_DEP_1) | instskip(SKIP_1) | instid1(VALU_DEP_2)
	v_subrev_nc_u32_e32 v7, 28, v4
	v_sub_nc_u32_e32 v4, 29, v4
	v_lshlrev_b64_e32 v[8:9], v7, v[26:27]
	s_delay_alu instid0(VALU_DEP_1)
	v_and_b32_e32 v26, 7, v8
; %bb.1491:                             ;   in Loop: Header=BB349_941 Depth=1
	s_or_b32 exec_lo, exec_lo, s17
	v_lshlrev_b32_e32 v6, 24, v6
	s_delay_alu instid0(VALU_DEP_2) | instskip(SKIP_1) | instid1(VALU_DEP_3)
	v_lshlrev_b32_e32 v7, 20, v26
	v_lshl_add_u32 v4, v4, 23, 0x3c000000
	v_and_b32_e32 v6, 0x80000000, v6
	s_delay_alu instid0(VALU_DEP_1)
	v_or3_b32 v4, v7, v6, v4
.LBB349_1492:                           ;   in Loop: Header=BB349_941 Depth=1
	s_or_b32 exec_lo, exec_lo, s16
.LBB349_1493:                           ;   in Loop: Header=BB349_941 Depth=1
	s_delay_alu instid0(SALU_CYCLE_1)
	s_or_b32 exec_lo, exec_lo, s15
.LBB349_1494:                           ;   in Loop: Header=BB349_941 Depth=1
	s_delay_alu instid0(SALU_CYCLE_1) | instskip(NEXT) | instid1(SALU_CYCLE_1)
	s_or_b32 exec_lo, exec_lo, s14
	s_mov_b32 s14, exec_lo
	v_cmpx_lt_u32_e32 0xffffff, v18
	s_cbranch_execz .LBB349_1502
; %bb.1495:                             ;   in Loop: Header=BB349_941 Depth=1
	v_lshrrev_b32_e32 v6, 24, v18
	v_bfrev_b32_e32 v5, 1
	s_mov_b32 s15, exec_lo
	s_delay_alu instid0(VALU_DEP_2)
	v_cmpx_ne_u32_e32 0x80, v6
	s_cbranch_execz .LBB349_1501
; %bb.1496:                             ;   in Loop: Header=BB349_941 Depth=1
	v_bfe_u32 v7, v18, 24, 7
	v_mov_b32_e32 v5, 0x7f800001
	s_mov_b32 s16, exec_lo
	s_delay_alu instid0(VALU_DEP_2)
	v_cmpx_ne_u32_e32 0x7f, v7
	s_cbranch_execz .LBB349_1500
; %bb.1497:                             ;   in Loop: Header=BB349_941 Depth=1
	v_dual_lshrrev_b32 v5, 3, v7 :: v_dual_bitop2_b32 v26, 7, v6 bitop3:0x40
	s_mov_b32 s17, exec_lo
	v_cmpx_gt_u32_e32 8, v7
; %bb.1498:                             ;   in Loop: Header=BB349_941 Depth=1
	s_delay_alu instid0(VALU_DEP_2) | instskip(NEXT) | instid1(VALU_DEP_1)
	v_clz_i32_u32_e32 v5, v26
	v_min_u32_e32 v5, 32, v5
	s_delay_alu instid0(VALU_DEP_1) | instskip(NEXT) | instid1(VALU_DEP_1)
	v_subrev_nc_u32_e32 v7, 28, v5
	v_lshlrev_b64_e32 v[8:9], v7, v[26:27]
	s_delay_alu instid0(VALU_DEP_1)
	v_dual_sub_nc_u32 v5, 29, v5 :: v_dual_bitop2_b32 v26, 7, v8 bitop3:0x40
; %bb.1499:                             ;   in Loop: Header=BB349_941 Depth=1
	s_or_b32 exec_lo, exec_lo, s17
	v_lshlrev_b32_e32 v6, 24, v6
	s_delay_alu instid0(VALU_DEP_2) | instskip(NEXT) | instid1(VALU_DEP_3)
	v_lshlrev_b32_e32 v7, 20, v26
	v_lshl_add_u32 v5, v5, 23, 0x3c000000
	s_delay_alu instid0(VALU_DEP_3) | instskip(NEXT) | instid1(VALU_DEP_1)
	v_and_b32_e32 v6, 0x80000000, v6
	v_or3_b32 v5, v7, v6, v5
.LBB349_1500:                           ;   in Loop: Header=BB349_941 Depth=1
	s_or_b32 exec_lo, exec_lo, s16
.LBB349_1501:                           ;   in Loop: Header=BB349_941 Depth=1
	s_delay_alu instid0(SALU_CYCLE_1)
	s_or_b32 exec_lo, exec_lo, s15
.LBB349_1502:                           ;   in Loop: Header=BB349_941 Depth=1
	s_delay_alu instid0(SALU_CYCLE_1) | instskip(SKIP_4) | instid1(VALU_DEP_3)
	s_or_b32 exec_lo, exec_lo, s14
	v_and_b32_e32 v8, 0xff, v19
	v_dual_mov_b32 v26, v19 :: v_dual_mov_b32 v7, 0
	v_mov_b32_e32 v6, 0
	s_mov_b32 s14, exec_lo
	v_cmpx_ne_u16_e32 0, v8
	s_cbranch_execz .LBB349_1510
; %bb.1503:                             ;   in Loop: Header=BB349_941 Depth=1
	v_bfrev_b32_e32 v6, 1
	s_mov_b32 s15, exec_lo
	v_cmpx_ne_u16_e32 0x80, v8
	s_cbranch_execz .LBB349_1509
; %bb.1504:                             ;   in Loop: Header=BB349_941 Depth=1
	v_and_b32_e32 v8, 0x7f, v19
	v_mov_b32_e32 v6, 0x7f800001
	s_mov_b32 s16, exec_lo
	s_delay_alu instid0(VALU_DEP_2)
	v_cmpx_ne_u32_e32 0x7f, v8
	s_cbranch_execz .LBB349_1508
; %bb.1505:                             ;   in Loop: Header=BB349_941 Depth=1
	v_mov_b64_e32 v[22:23], v[26:27]
	v_lshrrev_b32_e32 v6, 3, v8
	s_mov_b32 s17, exec_lo
	v_cmpx_gt_u32_e32 8, v8
; %bb.1506:                             ;   in Loop: Header=BB349_941 Depth=1
	v_and_b32_e32 v6, 7, v19
	s_delay_alu instid0(VALU_DEP_1) | instskip(NEXT) | instid1(VALU_DEP_1)
	v_clz_i32_u32_e32 v6, v6
	v_min_u32_e32 v6, 32, v6
	s_delay_alu instid0(VALU_DEP_1) | instskip(SKIP_1) | instid1(VALU_DEP_2)
	v_subrev_nc_u32_e32 v8, 28, v6
	v_sub_nc_u32_e32 v6, 29, v6
	v_lshlrev_b64_e32 v[22:23], v8, v[26:27]
; %bb.1507:                             ;   in Loop: Header=BB349_941 Depth=1
	s_or_b32 exec_lo, exec_lo, s17
	s_delay_alu instid0(VALU_DEP_1) | instskip(SKIP_2) | instid1(VALU_DEP_3)
	v_lshlrev_b32_e32 v8, 20, v22
	v_lshlrev_b32_e32 v9, 24, v26
	v_lshl_add_u32 v6, v6, 23, 0x3c000000
	v_and_b32_e32 v8, 0x700000, v8
	s_delay_alu instid0(VALU_DEP_3) | instskip(NEXT) | instid1(VALU_DEP_1)
	v_and_b32_e32 v9, 0x80000000, v9
	v_or3_b32 v6, v8, v9, v6
.LBB349_1508:                           ;   in Loop: Header=BB349_941 Depth=1
	s_or_b32 exec_lo, exec_lo, s16
.LBB349_1509:                           ;   in Loop: Header=BB349_941 Depth=1
	s_delay_alu instid0(SALU_CYCLE_1)
	s_or_b32 exec_lo, exec_lo, s15
.LBB349_1510:                           ;   in Loop: Header=BB349_941 Depth=1
	s_delay_alu instid0(SALU_CYCLE_1) | instskip(SKIP_2) | instid1(VALU_DEP_1)
	s_or_b32 exec_lo, exec_lo, s14
	v_lshrrev_b16 v8, 8, v26
	s_mov_b32 s14, exec_lo
	v_cmpx_ne_u16_e32 0, v8
	s_cbranch_execz .LBB349_1518
; %bb.1511:                             ;   in Loop: Header=BB349_941 Depth=1
	v_bfrev_b32_e32 v7, 1
	s_mov_b32 s15, exec_lo
	v_cmpx_ne_u16_e32 0x80, v8
	s_cbranch_execz .LBB349_1517
; %bb.1512:                             ;   in Loop: Header=BB349_941 Depth=1
	v_and_b32_e32 v9, 0xffff, v8
	v_mov_b32_e32 v7, 0x7f800001
	s_mov_b32 s16, exec_lo
	s_delay_alu instid0(VALU_DEP_2) | instskip(NEXT) | instid1(VALU_DEP_1)
	v_and_b32_e32 v8, 0x7f, v9
	v_cmpx_ne_u32_e32 0x7f, v8
	s_cbranch_execz .LBB349_1516
; %bb.1513:                             ;   in Loop: Header=BB349_941 Depth=1
	v_dual_mov_b32 v23, v27 :: v_dual_bitop2_b32 v22, 7, v9 bitop3:0x40
	v_lshrrev_b32_e32 v7, 3, v8
	s_mov_b32 s17, exec_lo
	v_cmpx_gt_u32_e32 8, v8
; %bb.1514:                             ;   in Loop: Header=BB349_941 Depth=1
	s_delay_alu instid0(VALU_DEP_3) | instskip(NEXT) | instid1(VALU_DEP_1)
	v_clz_i32_u32_e32 v7, v22
	v_min_u32_e32 v7, 32, v7
	s_delay_alu instid0(VALU_DEP_1) | instskip(NEXT) | instid1(VALU_DEP_1)
	v_subrev_nc_u32_e32 v8, 28, v7
	v_lshlrev_b64_e32 v[8:9], v8, v[22:23]
	s_delay_alu instid0(VALU_DEP_1)
	v_dual_sub_nc_u32 v7, 29, v7 :: v_dual_bitop2_b32 v22, 7, v8 bitop3:0x40
; %bb.1515:                             ;   in Loop: Header=BB349_941 Depth=1
	s_or_b32 exec_lo, exec_lo, s17
	v_lshlrev_b32_e32 v8, 16, v26
	s_delay_alu instid0(VALU_DEP_2) | instskip(NEXT) | instid1(VALU_DEP_3)
	v_lshlrev_b32_e32 v9, 20, v22
	v_lshl_add_u32 v7, v7, 23, 0x3c000000
	s_delay_alu instid0(VALU_DEP_3) | instskip(NEXT) | instid1(VALU_DEP_1)
	v_and_b32_e32 v8, 0x80000000, v8
	v_or3_b32 v7, v9, v8, v7
.LBB349_1516:                           ;   in Loop: Header=BB349_941 Depth=1
	s_or_b32 exec_lo, exec_lo, s16
.LBB349_1517:                           ;   in Loop: Header=BB349_941 Depth=1
	s_delay_alu instid0(SALU_CYCLE_1)
	s_or_b32 exec_lo, exec_lo, s15
.LBB349_1518:                           ;   in Loop: Header=BB349_941 Depth=1
	s_delay_alu instid0(SALU_CYCLE_1) | instskip(SKIP_3) | instid1(VALU_DEP_2)
	s_or_b32 exec_lo, exec_lo, s14
	v_dual_lshrrev_b32 v22, 16, v19 :: v_dual_mov_b32 v8, 0
	v_mov_b32_e32 v9, 0
	s_mov_b32 s14, exec_lo
	v_and_b32_e32 v23, 0xff, v22
	s_delay_alu instid0(VALU_DEP_1)
	v_cmpx_ne_u16_e32 0, v23
	s_cbranch_execz .LBB349_1526
; %bb.1519:                             ;   in Loop: Header=BB349_941 Depth=1
	v_bfrev_b32_e32 v9, 1
	s_mov_b32 s15, exec_lo
	v_cmpx_ne_u16_e32 0x80, v23
	s_cbranch_execz .LBB349_1525
; %bb.1520:                             ;   in Loop: Header=BB349_941 Depth=1
	v_bfe_u32 v23, v19, 16, 7
	v_mov_b32_e32 v9, 0x7f800001
	s_mov_b32 s16, exec_lo
	s_delay_alu instid0(VALU_DEP_2)
	v_cmpx_ne_u32_e32 0x7f, v23
	s_cbranch_execz .LBB349_1524
; %bb.1521:                             ;   in Loop: Header=BB349_941 Depth=1
	v_dual_lshrrev_b32 v9, 3, v23 :: v_dual_bitop2_b32 v26, 7, v22 bitop3:0x40
	s_mov_b32 s17, exec_lo
	v_cmpx_gt_u32_e32 8, v23
; %bb.1522:                             ;   in Loop: Header=BB349_941 Depth=1
	s_delay_alu instid0(VALU_DEP_2) | instskip(NEXT) | instid1(VALU_DEP_1)
	v_clz_i32_u32_e32 v9, v26
	v_min_u32_e32 v9, 32, v9
	s_delay_alu instid0(VALU_DEP_1) | instskip(NEXT) | instid1(VALU_DEP_1)
	v_subrev_nc_u32_e32 v23, 28, v9
	v_lshlrev_b64_e32 v[24:25], v23, v[26:27]
	s_delay_alu instid0(VALU_DEP_1)
	v_dual_sub_nc_u32 v9, 29, v9 :: v_dual_bitop2_b32 v26, 7, v24 bitop3:0x40
; %bb.1523:                             ;   in Loop: Header=BB349_941 Depth=1
	s_or_b32 exec_lo, exec_lo, s17
	v_lshlrev_b32_e32 v22, 24, v22
	s_delay_alu instid0(VALU_DEP_2) | instskip(NEXT) | instid1(VALU_DEP_3)
	v_lshlrev_b32_e32 v23, 20, v26
	v_lshl_add_u32 v9, v9, 23, 0x3c000000
	s_delay_alu instid0(VALU_DEP_3) | instskip(NEXT) | instid1(VALU_DEP_1)
	v_and_b32_e32 v22, 0x80000000, v22
	v_or3_b32 v9, v23, v22, v9
.LBB349_1524:                           ;   in Loop: Header=BB349_941 Depth=1
	s_or_b32 exec_lo, exec_lo, s16
.LBB349_1525:                           ;   in Loop: Header=BB349_941 Depth=1
	s_delay_alu instid0(SALU_CYCLE_1)
	s_or_b32 exec_lo, exec_lo, s15
.LBB349_1526:                           ;   in Loop: Header=BB349_941 Depth=1
	s_delay_alu instid0(SALU_CYCLE_1) | instskip(NEXT) | instid1(SALU_CYCLE_1)
	s_or_b32 exec_lo, exec_lo, s14
	s_mov_b32 s14, exec_lo
	v_cmpx_lt_u64_e64 s[2:3], v[18:19]
	s_cbranch_execz .LBB349_1534
; %bb.1527:                             ;   in Loop: Header=BB349_941 Depth=1
	v_lshrrev_b32_e32 v18, 24, v19
	v_bfrev_b32_e32 v8, 1
	s_mov_b32 s15, exec_lo
	s_delay_alu instid0(VALU_DEP_2)
	v_cmpx_ne_u32_e32 0x80, v18
	s_cbranch_execz .LBB349_1533
; %bb.1528:                             ;   in Loop: Header=BB349_941 Depth=1
	v_bfe_u32 v19, v19, 24, 7
	v_mov_b32_e32 v8, 0x7f800001
	s_mov_b32 s16, exec_lo
	s_delay_alu instid0(VALU_DEP_2)
	v_cmpx_ne_u32_e32 0x7f, v19
	s_cbranch_execz .LBB349_1532
; %bb.1529:                             ;   in Loop: Header=BB349_941 Depth=1
	v_dual_lshrrev_b32 v8, 3, v19 :: v_dual_bitop2_b32 v26, 7, v18 bitop3:0x40
	s_mov_b32 s17, exec_lo
	v_cmpx_gt_u32_e32 8, v19
; %bb.1530:                             ;   in Loop: Header=BB349_941 Depth=1
	s_delay_alu instid0(VALU_DEP_2) | instskip(NEXT) | instid1(VALU_DEP_1)
	v_clz_i32_u32_e32 v8, v26
	v_min_u32_e32 v8, 32, v8
	s_delay_alu instid0(VALU_DEP_1) | instskip(NEXT) | instid1(VALU_DEP_1)
	v_subrev_nc_u32_e32 v19, 28, v8
	v_lshlrev_b64_e32 v[22:23], v19, v[26:27]
	s_delay_alu instid0(VALU_DEP_1)
	v_dual_sub_nc_u32 v8, 29, v8 :: v_dual_bitop2_b32 v26, 7, v22 bitop3:0x40
; %bb.1531:                             ;   in Loop: Header=BB349_941 Depth=1
	s_or_b32 exec_lo, exec_lo, s17
	v_lshlrev_b32_e32 v18, 24, v18
	s_delay_alu instid0(VALU_DEP_2) | instskip(NEXT) | instid1(VALU_DEP_3)
	v_lshlrev_b32_e32 v19, 20, v26
	v_lshl_add_u32 v8, v8, 23, 0x3c000000
	s_delay_alu instid0(VALU_DEP_3) | instskip(NEXT) | instid1(VALU_DEP_1)
	v_and_b32_e32 v18, 0x80000000, v18
	v_or3_b32 v8, v19, v18, v8
.LBB349_1532:                           ;   in Loop: Header=BB349_941 Depth=1
	s_or_b32 exec_lo, exec_lo, s16
.LBB349_1533:                           ;   in Loop: Header=BB349_941 Depth=1
	s_delay_alu instid0(SALU_CYCLE_1)
	s_or_b32 exec_lo, exec_lo, s15
.LBB349_1534:                           ;   in Loop: Header=BB349_941 Depth=1
	s_delay_alu instid0(SALU_CYCLE_1)
	s_or_b32 exec_lo, exec_lo, s14
	v_fma_mixlo_bf16 v110, v96, v7, 0
	v_fma_mixlo_bf16 v111, v96, v6, 0
	;; [unrolled: 1-line block ×8, first 2 shown]
	s_and_saveexec_b32 s14, vcc_lo
	s_cbranch_execz .LBB349_1536
; %bb.1535:                             ;   in Loop: Header=BB349_941 Depth=1
	v_cmp_lt_i32_e64 s0, v100, v126
	s_delay_alu instid0(VALU_DEP_1) | instskip(SKIP_1) | instid1(VALU_DEP_1)
	v_cndmask_b32_e64 v125, 0, v125, s0
	v_cmp_lt_i32_e64 s0, v112, v126
	v_cndmask_b32_e64 v124, 0, v124, s0
	v_cmp_lt_i32_e64 s0, v103, v126
	s_delay_alu instid0(VALU_DEP_1) | instskip(SKIP_1) | instid1(VALU_DEP_1)
	v_cndmask_b32_e64 v123, 0, v123, s0
	v_cmp_lt_i32_e64 s0, v102, v126
	v_cndmask_b32_e64 v122, 0, v122, s0
	;; [unrolled: 5-line block ×4, first 2 shown]
.LBB349_1536:                           ;   in Loop: Header=BB349_941 Depth=1
	s_or_b32 exec_lo, exec_lo, s14
	flat_load_b64 v[18:19], v[0:1] offset:2304
	v_dual_mov_b32 v3, 0 :: v_dual_mov_b32 v2, 0
	s_mov_b32 s14, exec_lo
	s_wait_loadcnt_dscnt 0x0
	v_and_b32_e32 v4, 0xff, v18
	s_wait_xcnt 0x0
	s_delay_alu instid0(VALU_DEP_1)
	v_cmpx_ne_u16_e32 0, v4
	s_cbranch_execz .LBB349_1544
; %bb.1537:                             ;   in Loop: Header=BB349_941 Depth=1
	v_bfrev_b32_e32 v2, 1
	s_mov_b32 s15, exec_lo
	v_cmpx_ne_u16_e32 0x80, v4
	s_cbranch_execz .LBB349_1543
; %bb.1538:                             ;   in Loop: Header=BB349_941 Depth=1
	v_and_b32_e32 v4, 0x7f, v18
	v_mov_b32_e32 v2, 0x7f800001
	s_mov_b32 s16, exec_lo
	s_delay_alu instid0(VALU_DEP_2)
	v_cmpx_ne_u32_e32 0x7f, v4
	s_cbranch_execz .LBB349_1542
; %bb.1539:                             ;   in Loop: Header=BB349_941 Depth=1
	v_mov_b64_e32 v[22:23], v[18:19]
	v_lshrrev_b32_e32 v2, 3, v4
	s_mov_b32 s17, exec_lo
	v_cmpx_gt_u32_e32 8, v4
; %bb.1540:                             ;   in Loop: Header=BB349_941 Depth=1
	v_and_b32_e32 v2, 7, v18
	s_delay_alu instid0(VALU_DEP_1) | instskip(NEXT) | instid1(VALU_DEP_1)
	v_clz_i32_u32_e32 v2, v2
	v_min_u32_e32 v2, 32, v2
	s_delay_alu instid0(VALU_DEP_1) | instskip(SKIP_1) | instid1(VALU_DEP_2)
	v_subrev_nc_u32_e32 v4, 28, v2
	v_sub_nc_u32_e32 v2, 29, v2
	v_lshlrev_b64_e32 v[22:23], v4, v[18:19]
; %bb.1541:                             ;   in Loop: Header=BB349_941 Depth=1
	s_or_b32 exec_lo, exec_lo, s17
	s_delay_alu instid0(VALU_DEP_1) | instskip(SKIP_2) | instid1(VALU_DEP_3)
	v_lshlrev_b32_e32 v4, 20, v22
	v_lshlrev_b32_e32 v5, 24, v18
	v_lshl_add_u32 v2, v2, 23, 0x3c000000
	v_and_b32_e32 v4, 0x700000, v4
	s_delay_alu instid0(VALU_DEP_3) | instskip(NEXT) | instid1(VALU_DEP_1)
	v_and_b32_e32 v5, 0x80000000, v5
	v_or3_b32 v2, v4, v5, v2
.LBB349_1542:                           ;   in Loop: Header=BB349_941 Depth=1
	s_or_b32 exec_lo, exec_lo, s16
.LBB349_1543:                           ;   in Loop: Header=BB349_941 Depth=1
	s_delay_alu instid0(SALU_CYCLE_1)
	s_or_b32 exec_lo, exec_lo, s15
.LBB349_1544:                           ;   in Loop: Header=BB349_941 Depth=1
	s_delay_alu instid0(SALU_CYCLE_1) | instskip(SKIP_2) | instid1(VALU_DEP_1)
	s_or_b32 exec_lo, exec_lo, s14
	v_lshrrev_b16 v4, 8, v18
	s_mov_b32 s14, exec_lo
	v_cmpx_ne_u16_e32 0, v4
	s_cbranch_execz .LBB349_1552
; %bb.1545:                             ;   in Loop: Header=BB349_941 Depth=1
	v_bfrev_b32_e32 v3, 1
	s_mov_b32 s15, exec_lo
	v_cmpx_ne_u16_e32 0x80, v4
	s_cbranch_execz .LBB349_1551
; %bb.1546:                             ;   in Loop: Header=BB349_941 Depth=1
	v_and_b32_e32 v5, 0xffff, v4
	v_mov_b32_e32 v3, 0x7f800001
	s_mov_b32 s16, exec_lo
	s_delay_alu instid0(VALU_DEP_2) | instskip(NEXT) | instid1(VALU_DEP_1)
	v_and_b32_e32 v4, 0x7f, v5
	v_cmpx_ne_u32_e32 0x7f, v4
	s_cbranch_execz .LBB349_1550
; %bb.1547:                             ;   in Loop: Header=BB349_941 Depth=1
	v_dual_lshrrev_b32 v3, 3, v4 :: v_dual_bitop2_b32 v26, 7, v5 bitop3:0x40
	s_mov_b32 s17, exec_lo
	v_cmpx_gt_u32_e32 8, v4
; %bb.1548:                             ;   in Loop: Header=BB349_941 Depth=1
	s_delay_alu instid0(VALU_DEP_2) | instskip(NEXT) | instid1(VALU_DEP_1)
	v_clz_i32_u32_e32 v3, v26
	v_min_u32_e32 v3, 32, v3
	s_delay_alu instid0(VALU_DEP_1) | instskip(NEXT) | instid1(VALU_DEP_1)
	v_subrev_nc_u32_e32 v4, 28, v3
	v_lshlrev_b64_e32 v[4:5], v4, v[26:27]
	s_delay_alu instid0(VALU_DEP_1)
	v_dual_sub_nc_u32 v3, 29, v3 :: v_dual_bitop2_b32 v26, 7, v4 bitop3:0x40
; %bb.1549:                             ;   in Loop: Header=BB349_941 Depth=1
	s_or_b32 exec_lo, exec_lo, s17
	v_lshlrev_b32_e32 v4, 16, v18
	s_delay_alu instid0(VALU_DEP_2) | instskip(NEXT) | instid1(VALU_DEP_3)
	v_lshlrev_b32_e32 v5, 20, v26
	v_lshl_add_u32 v3, v3, 23, 0x3c000000
	s_delay_alu instid0(VALU_DEP_3) | instskip(NEXT) | instid1(VALU_DEP_1)
	v_and_b32_e32 v4, 0x80000000, v4
	v_or3_b32 v3, v5, v4, v3
.LBB349_1550:                           ;   in Loop: Header=BB349_941 Depth=1
	s_or_b32 exec_lo, exec_lo, s16
.LBB349_1551:                           ;   in Loop: Header=BB349_941 Depth=1
	s_delay_alu instid0(SALU_CYCLE_1)
	s_or_b32 exec_lo, exec_lo, s15
.LBB349_1552:                           ;   in Loop: Header=BB349_941 Depth=1
	s_delay_alu instid0(SALU_CYCLE_1) | instskip(SKIP_3) | instid1(VALU_DEP_2)
	s_or_b32 exec_lo, exec_lo, s14
	v_dual_mov_b32 v5, 0 :: v_dual_lshrrev_b32 v6, 16, v18
	v_mov_b32_e32 v4, 0
	s_mov_b32 s14, exec_lo
	v_and_b32_e32 v7, 0xff, v6
	s_delay_alu instid0(VALU_DEP_1)
	v_cmpx_ne_u16_e32 0, v7
	s_cbranch_execz .LBB349_1560
; %bb.1553:                             ;   in Loop: Header=BB349_941 Depth=1
	v_bfrev_b32_e32 v4, 1
	s_mov_b32 s15, exec_lo
	v_cmpx_ne_u16_e32 0x80, v7
	s_cbranch_execz .LBB349_1559
; %bb.1554:                             ;   in Loop: Header=BB349_941 Depth=1
	v_bfe_u32 v7, v18, 16, 7
	v_mov_b32_e32 v4, 0x7f800001
	s_mov_b32 s16, exec_lo
	s_delay_alu instid0(VALU_DEP_2)
	v_cmpx_ne_u32_e32 0x7f, v7
	s_cbranch_execz .LBB349_1558
; %bb.1555:                             ;   in Loop: Header=BB349_941 Depth=1
	v_dual_lshrrev_b32 v4, 3, v7 :: v_dual_bitop2_b32 v26, 7, v6 bitop3:0x40
	s_mov_b32 s17, exec_lo
	v_cmpx_gt_u32_e32 8, v7
; %bb.1556:                             ;   in Loop: Header=BB349_941 Depth=1
	s_delay_alu instid0(VALU_DEP_2) | instskip(NEXT) | instid1(VALU_DEP_1)
	v_clz_i32_u32_e32 v4, v26
	v_min_u32_e32 v4, 32, v4
	s_delay_alu instid0(VALU_DEP_1) | instskip(SKIP_1) | instid1(VALU_DEP_2)
	v_subrev_nc_u32_e32 v7, 28, v4
	v_sub_nc_u32_e32 v4, 29, v4
	v_lshlrev_b64_e32 v[8:9], v7, v[26:27]
	s_delay_alu instid0(VALU_DEP_1)
	v_and_b32_e32 v26, 7, v8
; %bb.1557:                             ;   in Loop: Header=BB349_941 Depth=1
	s_or_b32 exec_lo, exec_lo, s17
	v_lshlrev_b32_e32 v6, 24, v6
	s_delay_alu instid0(VALU_DEP_2) | instskip(SKIP_1) | instid1(VALU_DEP_3)
	v_lshlrev_b32_e32 v7, 20, v26
	v_lshl_add_u32 v4, v4, 23, 0x3c000000
	v_and_b32_e32 v6, 0x80000000, v6
	s_delay_alu instid0(VALU_DEP_1)
	v_or3_b32 v4, v7, v6, v4
.LBB349_1558:                           ;   in Loop: Header=BB349_941 Depth=1
	s_or_b32 exec_lo, exec_lo, s16
.LBB349_1559:                           ;   in Loop: Header=BB349_941 Depth=1
	s_delay_alu instid0(SALU_CYCLE_1)
	s_or_b32 exec_lo, exec_lo, s15
.LBB349_1560:                           ;   in Loop: Header=BB349_941 Depth=1
	s_delay_alu instid0(SALU_CYCLE_1) | instskip(NEXT) | instid1(SALU_CYCLE_1)
	s_or_b32 exec_lo, exec_lo, s14
	s_mov_b32 s14, exec_lo
	v_cmpx_lt_u32_e32 0xffffff, v18
	s_cbranch_execz .LBB349_1568
; %bb.1561:                             ;   in Loop: Header=BB349_941 Depth=1
	v_lshrrev_b32_e32 v6, 24, v18
	v_bfrev_b32_e32 v5, 1
	s_mov_b32 s15, exec_lo
	s_delay_alu instid0(VALU_DEP_2)
	v_cmpx_ne_u32_e32 0x80, v6
	s_cbranch_execz .LBB349_1567
; %bb.1562:                             ;   in Loop: Header=BB349_941 Depth=1
	v_bfe_u32 v7, v18, 24, 7
	v_mov_b32_e32 v5, 0x7f800001
	s_mov_b32 s16, exec_lo
	s_delay_alu instid0(VALU_DEP_2)
	v_cmpx_ne_u32_e32 0x7f, v7
	s_cbranch_execz .LBB349_1566
; %bb.1563:                             ;   in Loop: Header=BB349_941 Depth=1
	v_dual_lshrrev_b32 v5, 3, v7 :: v_dual_bitop2_b32 v26, 7, v6 bitop3:0x40
	s_mov_b32 s17, exec_lo
	v_cmpx_gt_u32_e32 8, v7
; %bb.1564:                             ;   in Loop: Header=BB349_941 Depth=1
	s_delay_alu instid0(VALU_DEP_2) | instskip(NEXT) | instid1(VALU_DEP_1)
	v_clz_i32_u32_e32 v5, v26
	v_min_u32_e32 v5, 32, v5
	s_delay_alu instid0(VALU_DEP_1) | instskip(NEXT) | instid1(VALU_DEP_1)
	v_subrev_nc_u32_e32 v7, 28, v5
	v_lshlrev_b64_e32 v[8:9], v7, v[26:27]
	s_delay_alu instid0(VALU_DEP_1)
	v_dual_sub_nc_u32 v5, 29, v5 :: v_dual_bitop2_b32 v26, 7, v8 bitop3:0x40
; %bb.1565:                             ;   in Loop: Header=BB349_941 Depth=1
	s_or_b32 exec_lo, exec_lo, s17
	v_lshlrev_b32_e32 v6, 24, v6
	s_delay_alu instid0(VALU_DEP_2) | instskip(NEXT) | instid1(VALU_DEP_3)
	v_lshlrev_b32_e32 v7, 20, v26
	v_lshl_add_u32 v5, v5, 23, 0x3c000000
	s_delay_alu instid0(VALU_DEP_3) | instskip(NEXT) | instid1(VALU_DEP_1)
	v_and_b32_e32 v6, 0x80000000, v6
	v_or3_b32 v5, v7, v6, v5
.LBB349_1566:                           ;   in Loop: Header=BB349_941 Depth=1
	s_or_b32 exec_lo, exec_lo, s16
.LBB349_1567:                           ;   in Loop: Header=BB349_941 Depth=1
	s_delay_alu instid0(SALU_CYCLE_1)
	s_or_b32 exec_lo, exec_lo, s15
.LBB349_1568:                           ;   in Loop: Header=BB349_941 Depth=1
	s_delay_alu instid0(SALU_CYCLE_1) | instskip(SKIP_4) | instid1(VALU_DEP_3)
	s_or_b32 exec_lo, exec_lo, s14
	v_and_b32_e32 v8, 0xff, v19
	v_dual_mov_b32 v26, v19 :: v_dual_mov_b32 v7, 0
	v_mov_b32_e32 v6, 0
	s_mov_b32 s14, exec_lo
	v_cmpx_ne_u16_e32 0, v8
	s_cbranch_execz .LBB349_1576
; %bb.1569:                             ;   in Loop: Header=BB349_941 Depth=1
	v_bfrev_b32_e32 v6, 1
	s_mov_b32 s15, exec_lo
	v_cmpx_ne_u16_e32 0x80, v8
	s_cbranch_execz .LBB349_1575
; %bb.1570:                             ;   in Loop: Header=BB349_941 Depth=1
	v_and_b32_e32 v8, 0x7f, v19
	v_mov_b32_e32 v6, 0x7f800001
	s_mov_b32 s16, exec_lo
	s_delay_alu instid0(VALU_DEP_2)
	v_cmpx_ne_u32_e32 0x7f, v8
	s_cbranch_execz .LBB349_1574
; %bb.1571:                             ;   in Loop: Header=BB349_941 Depth=1
	v_mov_b64_e32 v[22:23], v[26:27]
	v_lshrrev_b32_e32 v6, 3, v8
	s_mov_b32 s17, exec_lo
	v_cmpx_gt_u32_e32 8, v8
; %bb.1572:                             ;   in Loop: Header=BB349_941 Depth=1
	v_and_b32_e32 v6, 7, v19
	s_delay_alu instid0(VALU_DEP_1) | instskip(NEXT) | instid1(VALU_DEP_1)
	v_clz_i32_u32_e32 v6, v6
	v_min_u32_e32 v6, 32, v6
	s_delay_alu instid0(VALU_DEP_1) | instskip(SKIP_1) | instid1(VALU_DEP_2)
	v_subrev_nc_u32_e32 v8, 28, v6
	v_sub_nc_u32_e32 v6, 29, v6
	v_lshlrev_b64_e32 v[22:23], v8, v[26:27]
; %bb.1573:                             ;   in Loop: Header=BB349_941 Depth=1
	s_or_b32 exec_lo, exec_lo, s17
	s_delay_alu instid0(VALU_DEP_1) | instskip(SKIP_2) | instid1(VALU_DEP_3)
	v_lshlrev_b32_e32 v8, 20, v22
	v_lshlrev_b32_e32 v9, 24, v26
	v_lshl_add_u32 v6, v6, 23, 0x3c000000
	v_and_b32_e32 v8, 0x700000, v8
	s_delay_alu instid0(VALU_DEP_3) | instskip(NEXT) | instid1(VALU_DEP_1)
	v_and_b32_e32 v9, 0x80000000, v9
	v_or3_b32 v6, v8, v9, v6
.LBB349_1574:                           ;   in Loop: Header=BB349_941 Depth=1
	s_or_b32 exec_lo, exec_lo, s16
.LBB349_1575:                           ;   in Loop: Header=BB349_941 Depth=1
	s_delay_alu instid0(SALU_CYCLE_1)
	s_or_b32 exec_lo, exec_lo, s15
.LBB349_1576:                           ;   in Loop: Header=BB349_941 Depth=1
	s_delay_alu instid0(SALU_CYCLE_1) | instskip(SKIP_2) | instid1(VALU_DEP_1)
	s_or_b32 exec_lo, exec_lo, s14
	v_lshrrev_b16 v8, 8, v26
	s_mov_b32 s14, exec_lo
	v_cmpx_ne_u16_e32 0, v8
	s_cbranch_execz .LBB349_1584
; %bb.1577:                             ;   in Loop: Header=BB349_941 Depth=1
	v_bfrev_b32_e32 v7, 1
	s_mov_b32 s15, exec_lo
	v_cmpx_ne_u16_e32 0x80, v8
	s_cbranch_execz .LBB349_1583
; %bb.1578:                             ;   in Loop: Header=BB349_941 Depth=1
	v_and_b32_e32 v9, 0xffff, v8
	v_mov_b32_e32 v7, 0x7f800001
	s_mov_b32 s16, exec_lo
	s_delay_alu instid0(VALU_DEP_2) | instskip(NEXT) | instid1(VALU_DEP_1)
	v_and_b32_e32 v8, 0x7f, v9
	v_cmpx_ne_u32_e32 0x7f, v8
	s_cbranch_execz .LBB349_1582
; %bb.1579:                             ;   in Loop: Header=BB349_941 Depth=1
	v_dual_mov_b32 v23, v27 :: v_dual_bitop2_b32 v22, 7, v9 bitop3:0x40
	v_lshrrev_b32_e32 v7, 3, v8
	s_mov_b32 s17, exec_lo
	v_cmpx_gt_u32_e32 8, v8
; %bb.1580:                             ;   in Loop: Header=BB349_941 Depth=1
	s_delay_alu instid0(VALU_DEP_3) | instskip(NEXT) | instid1(VALU_DEP_1)
	v_clz_i32_u32_e32 v7, v22
	v_min_u32_e32 v7, 32, v7
	s_delay_alu instid0(VALU_DEP_1) | instskip(NEXT) | instid1(VALU_DEP_1)
	v_subrev_nc_u32_e32 v8, 28, v7
	v_lshlrev_b64_e32 v[8:9], v8, v[22:23]
	s_delay_alu instid0(VALU_DEP_1)
	v_dual_sub_nc_u32 v7, 29, v7 :: v_dual_bitop2_b32 v22, 7, v8 bitop3:0x40
; %bb.1581:                             ;   in Loop: Header=BB349_941 Depth=1
	s_or_b32 exec_lo, exec_lo, s17
	v_lshlrev_b32_e32 v8, 16, v26
	s_delay_alu instid0(VALU_DEP_2) | instskip(NEXT) | instid1(VALU_DEP_3)
	v_lshlrev_b32_e32 v9, 20, v22
	v_lshl_add_u32 v7, v7, 23, 0x3c000000
	s_delay_alu instid0(VALU_DEP_3) | instskip(NEXT) | instid1(VALU_DEP_1)
	v_and_b32_e32 v8, 0x80000000, v8
	v_or3_b32 v7, v9, v8, v7
.LBB349_1582:                           ;   in Loop: Header=BB349_941 Depth=1
	s_or_b32 exec_lo, exec_lo, s16
.LBB349_1583:                           ;   in Loop: Header=BB349_941 Depth=1
	s_delay_alu instid0(SALU_CYCLE_1)
	s_or_b32 exec_lo, exec_lo, s15
.LBB349_1584:                           ;   in Loop: Header=BB349_941 Depth=1
	s_delay_alu instid0(SALU_CYCLE_1) | instskip(SKIP_3) | instid1(VALU_DEP_2)
	s_or_b32 exec_lo, exec_lo, s14
	v_dual_lshrrev_b32 v22, 16, v19 :: v_dual_mov_b32 v8, 0
	v_mov_b32_e32 v9, 0
	s_mov_b32 s14, exec_lo
	v_and_b32_e32 v23, 0xff, v22
	s_delay_alu instid0(VALU_DEP_1)
	v_cmpx_ne_u16_e32 0, v23
	s_cbranch_execz .LBB349_1592
; %bb.1585:                             ;   in Loop: Header=BB349_941 Depth=1
	v_bfrev_b32_e32 v9, 1
	s_mov_b32 s15, exec_lo
	v_cmpx_ne_u16_e32 0x80, v23
	s_cbranch_execz .LBB349_1591
; %bb.1586:                             ;   in Loop: Header=BB349_941 Depth=1
	v_bfe_u32 v23, v19, 16, 7
	v_mov_b32_e32 v9, 0x7f800001
	s_mov_b32 s16, exec_lo
	s_delay_alu instid0(VALU_DEP_2)
	v_cmpx_ne_u32_e32 0x7f, v23
	s_cbranch_execz .LBB349_1590
; %bb.1587:                             ;   in Loop: Header=BB349_941 Depth=1
	v_dual_lshrrev_b32 v9, 3, v23 :: v_dual_bitop2_b32 v26, 7, v22 bitop3:0x40
	s_mov_b32 s17, exec_lo
	v_cmpx_gt_u32_e32 8, v23
; %bb.1588:                             ;   in Loop: Header=BB349_941 Depth=1
	s_delay_alu instid0(VALU_DEP_2) | instskip(NEXT) | instid1(VALU_DEP_1)
	v_clz_i32_u32_e32 v9, v26
	v_min_u32_e32 v9, 32, v9
	s_delay_alu instid0(VALU_DEP_1) | instskip(NEXT) | instid1(VALU_DEP_1)
	v_subrev_nc_u32_e32 v23, 28, v9
	v_lshlrev_b64_e32 v[24:25], v23, v[26:27]
	s_delay_alu instid0(VALU_DEP_1)
	v_dual_sub_nc_u32 v9, 29, v9 :: v_dual_bitop2_b32 v26, 7, v24 bitop3:0x40
; %bb.1589:                             ;   in Loop: Header=BB349_941 Depth=1
	s_or_b32 exec_lo, exec_lo, s17
	v_lshlrev_b32_e32 v22, 24, v22
	s_delay_alu instid0(VALU_DEP_2) | instskip(NEXT) | instid1(VALU_DEP_3)
	v_lshlrev_b32_e32 v23, 20, v26
	v_lshl_add_u32 v9, v9, 23, 0x3c000000
	s_delay_alu instid0(VALU_DEP_3) | instskip(NEXT) | instid1(VALU_DEP_1)
	v_and_b32_e32 v22, 0x80000000, v22
	v_or3_b32 v9, v23, v22, v9
.LBB349_1590:                           ;   in Loop: Header=BB349_941 Depth=1
	s_or_b32 exec_lo, exec_lo, s16
.LBB349_1591:                           ;   in Loop: Header=BB349_941 Depth=1
	s_delay_alu instid0(SALU_CYCLE_1)
	s_or_b32 exec_lo, exec_lo, s15
.LBB349_1592:                           ;   in Loop: Header=BB349_941 Depth=1
	s_delay_alu instid0(SALU_CYCLE_1) | instskip(NEXT) | instid1(SALU_CYCLE_1)
	s_or_b32 exec_lo, exec_lo, s14
	s_mov_b32 s14, exec_lo
	v_cmpx_lt_u64_e64 s[2:3], v[18:19]
	s_cbranch_execz .LBB349_1600
; %bb.1593:                             ;   in Loop: Header=BB349_941 Depth=1
	v_lshrrev_b32_e32 v18, 24, v19
	v_bfrev_b32_e32 v8, 1
	s_mov_b32 s15, exec_lo
	s_delay_alu instid0(VALU_DEP_2)
	v_cmpx_ne_u32_e32 0x80, v18
	s_cbranch_execz .LBB349_1599
; %bb.1594:                             ;   in Loop: Header=BB349_941 Depth=1
	v_bfe_u32 v19, v19, 24, 7
	v_mov_b32_e32 v8, 0x7f800001
	s_mov_b32 s16, exec_lo
	s_delay_alu instid0(VALU_DEP_2)
	v_cmpx_ne_u32_e32 0x7f, v19
	s_cbranch_execz .LBB349_1598
; %bb.1595:                             ;   in Loop: Header=BB349_941 Depth=1
	v_dual_lshrrev_b32 v8, 3, v19 :: v_dual_bitop2_b32 v26, 7, v18 bitop3:0x40
	s_mov_b32 s17, exec_lo
	v_cmpx_gt_u32_e32 8, v19
; %bb.1596:                             ;   in Loop: Header=BB349_941 Depth=1
	s_delay_alu instid0(VALU_DEP_2) | instskip(NEXT) | instid1(VALU_DEP_1)
	v_clz_i32_u32_e32 v8, v26
	v_min_u32_e32 v8, 32, v8
	s_delay_alu instid0(VALU_DEP_1) | instskip(NEXT) | instid1(VALU_DEP_1)
	v_subrev_nc_u32_e32 v19, 28, v8
	v_lshlrev_b64_e32 v[22:23], v19, v[26:27]
	s_delay_alu instid0(VALU_DEP_1)
	v_dual_sub_nc_u32 v8, 29, v8 :: v_dual_bitop2_b32 v26, 7, v22 bitop3:0x40
; %bb.1597:                             ;   in Loop: Header=BB349_941 Depth=1
	s_or_b32 exec_lo, exec_lo, s17
	v_lshlrev_b32_e32 v18, 24, v18
	s_delay_alu instid0(VALU_DEP_2) | instskip(NEXT) | instid1(VALU_DEP_3)
	v_lshlrev_b32_e32 v19, 20, v26
	v_lshl_add_u32 v8, v8, 23, 0x3c000000
	s_delay_alu instid0(VALU_DEP_3) | instskip(NEXT) | instid1(VALU_DEP_1)
	v_and_b32_e32 v18, 0x80000000, v18
	v_or3_b32 v8, v19, v18, v8
.LBB349_1598:                           ;   in Loop: Header=BB349_941 Depth=1
	s_or_b32 exec_lo, exec_lo, s16
.LBB349_1599:                           ;   in Loop: Header=BB349_941 Depth=1
	s_delay_alu instid0(SALU_CYCLE_1)
	s_or_b32 exec_lo, exec_lo, s15
.LBB349_1600:                           ;   in Loop: Header=BB349_941 Depth=1
	s_delay_alu instid0(SALU_CYCLE_1)
	s_or_b32 exec_lo, exec_lo, s14
	v_fma_mixlo_bf16 v52, v96, v7, 0
	v_fma_mixlo_bf16 v36, v96, v6, 0
	;; [unrolled: 1-line block ×8, first 2 shown]
	s_and_saveexec_b32 s14, vcc_lo
	s_cbranch_execz .LBB349_1602
; %bb.1601:                             ;   in Loop: Header=BB349_941 Depth=1
	v_cmp_lt_i32_e64 s0, v100, v126
	s_delay_alu instid0(VALU_DEP_1) | instskip(SKIP_1) | instid1(VALU_DEP_1)
	v_cndmask_b32_e64 v51, 0, v51, s0
	v_cmp_lt_i32_e64 s0, v112, v126
	v_cndmask_b32_e64 v50, 0, v50, s0
	v_cmp_lt_i32_e64 s0, v103, v126
	s_delay_alu instid0(VALU_DEP_1) | instskip(SKIP_1) | instid1(VALU_DEP_1)
	v_cndmask_b32_e64 v49, 0, v49, s0
	v_cmp_lt_i32_e64 s0, v102, v126
	v_cndmask_b32_e64 v48, 0, v48, s0
	v_cmp_lt_i32_e64 s0, v101, v126
	s_delay_alu instid0(VALU_DEP_1) | instskip(SKIP_1) | instid1(VALU_DEP_1)
	v_cndmask_b32_e64 v36, 0, v36, s0
	v_cmp_lt_i32_e64 s0, v99, v126
	v_cndmask_b32_e64 v52, 0, v52, s0
	v_cmp_lt_i32_e64 s0, v98, v126
	s_delay_alu instid0(VALU_DEP_1) | instskip(SKIP_1) | instid1(VALU_DEP_1)
	v_cndmask_b32_e64 v37, 0, v37, s0
	v_cmp_lt_i32_e64 s0, v97, v126
	v_cndmask_b32_e64 v55, 0, v55, s0
.LBB349_1602:                           ;   in Loop: Header=BB349_941 Depth=1
	s_or_b32 exec_lo, exec_lo, s14
	flat_load_b64 v[18:19], v[0:1] offset:2560
	v_dual_mov_b32 v3, 0 :: v_dual_mov_b32 v2, 0
	s_mov_b32 s14, exec_lo
	s_wait_loadcnt_dscnt 0x0
	v_and_b32_e32 v4, 0xff, v18
	s_wait_xcnt 0x0
	s_delay_alu instid0(VALU_DEP_1)
	v_cmpx_ne_u16_e32 0, v4
	s_cbranch_execz .LBB349_1610
; %bb.1603:                             ;   in Loop: Header=BB349_941 Depth=1
	v_bfrev_b32_e32 v2, 1
	s_mov_b32 s15, exec_lo
	v_cmpx_ne_u16_e32 0x80, v4
	s_cbranch_execz .LBB349_1609
; %bb.1604:                             ;   in Loop: Header=BB349_941 Depth=1
	v_and_b32_e32 v4, 0x7f, v18
	v_mov_b32_e32 v2, 0x7f800001
	s_mov_b32 s16, exec_lo
	s_delay_alu instid0(VALU_DEP_2)
	v_cmpx_ne_u32_e32 0x7f, v4
	s_cbranch_execz .LBB349_1608
; %bb.1605:                             ;   in Loop: Header=BB349_941 Depth=1
	v_mov_b64_e32 v[22:23], v[18:19]
	v_lshrrev_b32_e32 v2, 3, v4
	s_mov_b32 s17, exec_lo
	v_cmpx_gt_u32_e32 8, v4
; %bb.1606:                             ;   in Loop: Header=BB349_941 Depth=1
	v_and_b32_e32 v2, 7, v18
	s_delay_alu instid0(VALU_DEP_1) | instskip(NEXT) | instid1(VALU_DEP_1)
	v_clz_i32_u32_e32 v2, v2
	v_min_u32_e32 v2, 32, v2
	s_delay_alu instid0(VALU_DEP_1) | instskip(SKIP_1) | instid1(VALU_DEP_2)
	v_subrev_nc_u32_e32 v4, 28, v2
	v_sub_nc_u32_e32 v2, 29, v2
	v_lshlrev_b64_e32 v[22:23], v4, v[18:19]
; %bb.1607:                             ;   in Loop: Header=BB349_941 Depth=1
	s_or_b32 exec_lo, exec_lo, s17
	s_delay_alu instid0(VALU_DEP_1) | instskip(SKIP_2) | instid1(VALU_DEP_3)
	v_lshlrev_b32_e32 v4, 20, v22
	v_lshlrev_b32_e32 v5, 24, v18
	v_lshl_add_u32 v2, v2, 23, 0x3c000000
	v_and_b32_e32 v4, 0x700000, v4
	s_delay_alu instid0(VALU_DEP_3) | instskip(NEXT) | instid1(VALU_DEP_1)
	v_and_b32_e32 v5, 0x80000000, v5
	v_or3_b32 v2, v4, v5, v2
.LBB349_1608:                           ;   in Loop: Header=BB349_941 Depth=1
	s_or_b32 exec_lo, exec_lo, s16
.LBB349_1609:                           ;   in Loop: Header=BB349_941 Depth=1
	s_delay_alu instid0(SALU_CYCLE_1)
	s_or_b32 exec_lo, exec_lo, s15
.LBB349_1610:                           ;   in Loop: Header=BB349_941 Depth=1
	s_delay_alu instid0(SALU_CYCLE_1) | instskip(SKIP_2) | instid1(VALU_DEP_1)
	s_or_b32 exec_lo, exec_lo, s14
	v_lshrrev_b16 v4, 8, v18
	s_mov_b32 s14, exec_lo
	v_cmpx_ne_u16_e32 0, v4
	s_cbranch_execz .LBB349_1618
; %bb.1611:                             ;   in Loop: Header=BB349_941 Depth=1
	v_bfrev_b32_e32 v3, 1
	s_mov_b32 s15, exec_lo
	v_cmpx_ne_u16_e32 0x80, v4
	s_cbranch_execz .LBB349_1617
; %bb.1612:                             ;   in Loop: Header=BB349_941 Depth=1
	v_and_b32_e32 v5, 0xffff, v4
	v_mov_b32_e32 v3, 0x7f800001
	s_mov_b32 s16, exec_lo
	s_delay_alu instid0(VALU_DEP_2) | instskip(NEXT) | instid1(VALU_DEP_1)
	v_and_b32_e32 v4, 0x7f, v5
	v_cmpx_ne_u32_e32 0x7f, v4
	s_cbranch_execz .LBB349_1616
; %bb.1613:                             ;   in Loop: Header=BB349_941 Depth=1
	v_dual_lshrrev_b32 v3, 3, v4 :: v_dual_bitop2_b32 v26, 7, v5 bitop3:0x40
	s_mov_b32 s17, exec_lo
	v_cmpx_gt_u32_e32 8, v4
; %bb.1614:                             ;   in Loop: Header=BB349_941 Depth=1
	s_delay_alu instid0(VALU_DEP_2) | instskip(NEXT) | instid1(VALU_DEP_1)
	v_clz_i32_u32_e32 v3, v26
	v_min_u32_e32 v3, 32, v3
	s_delay_alu instid0(VALU_DEP_1) | instskip(NEXT) | instid1(VALU_DEP_1)
	v_subrev_nc_u32_e32 v4, 28, v3
	v_lshlrev_b64_e32 v[4:5], v4, v[26:27]
	s_delay_alu instid0(VALU_DEP_1)
	v_dual_sub_nc_u32 v3, 29, v3 :: v_dual_bitop2_b32 v26, 7, v4 bitop3:0x40
; %bb.1615:                             ;   in Loop: Header=BB349_941 Depth=1
	s_or_b32 exec_lo, exec_lo, s17
	v_lshlrev_b32_e32 v4, 16, v18
	s_delay_alu instid0(VALU_DEP_2) | instskip(NEXT) | instid1(VALU_DEP_3)
	v_lshlrev_b32_e32 v5, 20, v26
	v_lshl_add_u32 v3, v3, 23, 0x3c000000
	s_delay_alu instid0(VALU_DEP_3) | instskip(NEXT) | instid1(VALU_DEP_1)
	v_and_b32_e32 v4, 0x80000000, v4
	v_or3_b32 v3, v5, v4, v3
.LBB349_1616:                           ;   in Loop: Header=BB349_941 Depth=1
	s_or_b32 exec_lo, exec_lo, s16
.LBB349_1617:                           ;   in Loop: Header=BB349_941 Depth=1
	s_delay_alu instid0(SALU_CYCLE_1)
	s_or_b32 exec_lo, exec_lo, s15
.LBB349_1618:                           ;   in Loop: Header=BB349_941 Depth=1
	s_delay_alu instid0(SALU_CYCLE_1) | instskip(SKIP_3) | instid1(VALU_DEP_2)
	s_or_b32 exec_lo, exec_lo, s14
	v_dual_mov_b32 v5, 0 :: v_dual_lshrrev_b32 v6, 16, v18
	v_mov_b32_e32 v4, 0
	s_mov_b32 s14, exec_lo
	v_and_b32_e32 v7, 0xff, v6
	s_delay_alu instid0(VALU_DEP_1)
	v_cmpx_ne_u16_e32 0, v7
	s_cbranch_execz .LBB349_1626
; %bb.1619:                             ;   in Loop: Header=BB349_941 Depth=1
	v_bfrev_b32_e32 v4, 1
	s_mov_b32 s15, exec_lo
	v_cmpx_ne_u16_e32 0x80, v7
	s_cbranch_execz .LBB349_1625
; %bb.1620:                             ;   in Loop: Header=BB349_941 Depth=1
	v_bfe_u32 v7, v18, 16, 7
	v_mov_b32_e32 v4, 0x7f800001
	s_mov_b32 s16, exec_lo
	s_delay_alu instid0(VALU_DEP_2)
	v_cmpx_ne_u32_e32 0x7f, v7
	s_cbranch_execz .LBB349_1624
; %bb.1621:                             ;   in Loop: Header=BB349_941 Depth=1
	v_dual_lshrrev_b32 v4, 3, v7 :: v_dual_bitop2_b32 v26, 7, v6 bitop3:0x40
	s_mov_b32 s17, exec_lo
	v_cmpx_gt_u32_e32 8, v7
; %bb.1622:                             ;   in Loop: Header=BB349_941 Depth=1
	s_delay_alu instid0(VALU_DEP_2) | instskip(NEXT) | instid1(VALU_DEP_1)
	v_clz_i32_u32_e32 v4, v26
	v_min_u32_e32 v4, 32, v4
	s_delay_alu instid0(VALU_DEP_1) | instskip(SKIP_1) | instid1(VALU_DEP_2)
	v_subrev_nc_u32_e32 v7, 28, v4
	v_sub_nc_u32_e32 v4, 29, v4
	v_lshlrev_b64_e32 v[8:9], v7, v[26:27]
	s_delay_alu instid0(VALU_DEP_1)
	v_and_b32_e32 v26, 7, v8
; %bb.1623:                             ;   in Loop: Header=BB349_941 Depth=1
	s_or_b32 exec_lo, exec_lo, s17
	v_lshlrev_b32_e32 v6, 24, v6
	s_delay_alu instid0(VALU_DEP_2) | instskip(SKIP_1) | instid1(VALU_DEP_3)
	v_lshlrev_b32_e32 v7, 20, v26
	v_lshl_add_u32 v4, v4, 23, 0x3c000000
	v_and_b32_e32 v6, 0x80000000, v6
	s_delay_alu instid0(VALU_DEP_1)
	v_or3_b32 v4, v7, v6, v4
.LBB349_1624:                           ;   in Loop: Header=BB349_941 Depth=1
	s_or_b32 exec_lo, exec_lo, s16
.LBB349_1625:                           ;   in Loop: Header=BB349_941 Depth=1
	s_delay_alu instid0(SALU_CYCLE_1)
	s_or_b32 exec_lo, exec_lo, s15
.LBB349_1626:                           ;   in Loop: Header=BB349_941 Depth=1
	s_delay_alu instid0(SALU_CYCLE_1) | instskip(NEXT) | instid1(SALU_CYCLE_1)
	s_or_b32 exec_lo, exec_lo, s14
	s_mov_b32 s14, exec_lo
	v_cmpx_lt_u32_e32 0xffffff, v18
	s_cbranch_execz .LBB349_1634
; %bb.1627:                             ;   in Loop: Header=BB349_941 Depth=1
	v_lshrrev_b32_e32 v6, 24, v18
	v_bfrev_b32_e32 v5, 1
	s_mov_b32 s15, exec_lo
	s_delay_alu instid0(VALU_DEP_2)
	v_cmpx_ne_u32_e32 0x80, v6
	s_cbranch_execz .LBB349_1633
; %bb.1628:                             ;   in Loop: Header=BB349_941 Depth=1
	v_bfe_u32 v7, v18, 24, 7
	v_mov_b32_e32 v5, 0x7f800001
	s_mov_b32 s16, exec_lo
	s_delay_alu instid0(VALU_DEP_2)
	v_cmpx_ne_u32_e32 0x7f, v7
	s_cbranch_execz .LBB349_1632
; %bb.1629:                             ;   in Loop: Header=BB349_941 Depth=1
	v_dual_lshrrev_b32 v5, 3, v7 :: v_dual_bitop2_b32 v26, 7, v6 bitop3:0x40
	s_mov_b32 s17, exec_lo
	v_cmpx_gt_u32_e32 8, v7
; %bb.1630:                             ;   in Loop: Header=BB349_941 Depth=1
	s_delay_alu instid0(VALU_DEP_2) | instskip(NEXT) | instid1(VALU_DEP_1)
	v_clz_i32_u32_e32 v5, v26
	v_min_u32_e32 v5, 32, v5
	s_delay_alu instid0(VALU_DEP_1) | instskip(NEXT) | instid1(VALU_DEP_1)
	v_subrev_nc_u32_e32 v7, 28, v5
	v_lshlrev_b64_e32 v[8:9], v7, v[26:27]
	s_delay_alu instid0(VALU_DEP_1)
	v_dual_sub_nc_u32 v5, 29, v5 :: v_dual_bitop2_b32 v26, 7, v8 bitop3:0x40
; %bb.1631:                             ;   in Loop: Header=BB349_941 Depth=1
	s_or_b32 exec_lo, exec_lo, s17
	v_lshlrev_b32_e32 v6, 24, v6
	s_delay_alu instid0(VALU_DEP_2) | instskip(NEXT) | instid1(VALU_DEP_3)
	v_lshlrev_b32_e32 v7, 20, v26
	v_lshl_add_u32 v5, v5, 23, 0x3c000000
	s_delay_alu instid0(VALU_DEP_3) | instskip(NEXT) | instid1(VALU_DEP_1)
	v_and_b32_e32 v6, 0x80000000, v6
	v_or3_b32 v5, v7, v6, v5
.LBB349_1632:                           ;   in Loop: Header=BB349_941 Depth=1
	s_or_b32 exec_lo, exec_lo, s16
.LBB349_1633:                           ;   in Loop: Header=BB349_941 Depth=1
	s_delay_alu instid0(SALU_CYCLE_1)
	s_or_b32 exec_lo, exec_lo, s15
.LBB349_1634:                           ;   in Loop: Header=BB349_941 Depth=1
	s_delay_alu instid0(SALU_CYCLE_1) | instskip(SKIP_4) | instid1(VALU_DEP_3)
	s_or_b32 exec_lo, exec_lo, s14
	v_and_b32_e32 v8, 0xff, v19
	v_dual_mov_b32 v26, v19 :: v_dual_mov_b32 v7, 0
	v_mov_b32_e32 v6, 0
	s_mov_b32 s14, exec_lo
	v_cmpx_ne_u16_e32 0, v8
	s_cbranch_execz .LBB349_1642
; %bb.1635:                             ;   in Loop: Header=BB349_941 Depth=1
	v_bfrev_b32_e32 v6, 1
	s_mov_b32 s15, exec_lo
	v_cmpx_ne_u16_e32 0x80, v8
	s_cbranch_execz .LBB349_1641
; %bb.1636:                             ;   in Loop: Header=BB349_941 Depth=1
	v_and_b32_e32 v8, 0x7f, v19
	v_mov_b32_e32 v6, 0x7f800001
	s_mov_b32 s16, exec_lo
	s_delay_alu instid0(VALU_DEP_2)
	v_cmpx_ne_u32_e32 0x7f, v8
	s_cbranch_execz .LBB349_1640
; %bb.1637:                             ;   in Loop: Header=BB349_941 Depth=1
	v_mov_b64_e32 v[22:23], v[26:27]
	v_lshrrev_b32_e32 v6, 3, v8
	s_mov_b32 s17, exec_lo
	v_cmpx_gt_u32_e32 8, v8
; %bb.1638:                             ;   in Loop: Header=BB349_941 Depth=1
	v_and_b32_e32 v6, 7, v19
	s_delay_alu instid0(VALU_DEP_1) | instskip(NEXT) | instid1(VALU_DEP_1)
	v_clz_i32_u32_e32 v6, v6
	v_min_u32_e32 v6, 32, v6
	s_delay_alu instid0(VALU_DEP_1) | instskip(SKIP_1) | instid1(VALU_DEP_2)
	v_subrev_nc_u32_e32 v8, 28, v6
	v_sub_nc_u32_e32 v6, 29, v6
	v_lshlrev_b64_e32 v[22:23], v8, v[26:27]
; %bb.1639:                             ;   in Loop: Header=BB349_941 Depth=1
	s_or_b32 exec_lo, exec_lo, s17
	s_delay_alu instid0(VALU_DEP_1) | instskip(SKIP_2) | instid1(VALU_DEP_3)
	v_lshlrev_b32_e32 v8, 20, v22
	v_lshlrev_b32_e32 v9, 24, v26
	v_lshl_add_u32 v6, v6, 23, 0x3c000000
	v_and_b32_e32 v8, 0x700000, v8
	s_delay_alu instid0(VALU_DEP_3) | instskip(NEXT) | instid1(VALU_DEP_1)
	v_and_b32_e32 v9, 0x80000000, v9
	v_or3_b32 v6, v8, v9, v6
.LBB349_1640:                           ;   in Loop: Header=BB349_941 Depth=1
	s_or_b32 exec_lo, exec_lo, s16
.LBB349_1641:                           ;   in Loop: Header=BB349_941 Depth=1
	s_delay_alu instid0(SALU_CYCLE_1)
	s_or_b32 exec_lo, exec_lo, s15
.LBB349_1642:                           ;   in Loop: Header=BB349_941 Depth=1
	s_delay_alu instid0(SALU_CYCLE_1) | instskip(SKIP_2) | instid1(VALU_DEP_1)
	s_or_b32 exec_lo, exec_lo, s14
	v_lshrrev_b16 v8, 8, v26
	s_mov_b32 s14, exec_lo
	v_cmpx_ne_u16_e32 0, v8
	s_cbranch_execz .LBB349_1650
; %bb.1643:                             ;   in Loop: Header=BB349_941 Depth=1
	v_bfrev_b32_e32 v7, 1
	s_mov_b32 s15, exec_lo
	v_cmpx_ne_u16_e32 0x80, v8
	s_cbranch_execz .LBB349_1649
; %bb.1644:                             ;   in Loop: Header=BB349_941 Depth=1
	v_and_b32_e32 v9, 0xffff, v8
	v_mov_b32_e32 v7, 0x7f800001
	s_mov_b32 s16, exec_lo
	s_delay_alu instid0(VALU_DEP_2) | instskip(NEXT) | instid1(VALU_DEP_1)
	v_and_b32_e32 v8, 0x7f, v9
	v_cmpx_ne_u32_e32 0x7f, v8
	s_cbranch_execz .LBB349_1648
; %bb.1645:                             ;   in Loop: Header=BB349_941 Depth=1
	v_dual_mov_b32 v23, v27 :: v_dual_bitop2_b32 v22, 7, v9 bitop3:0x40
	v_lshrrev_b32_e32 v7, 3, v8
	s_mov_b32 s17, exec_lo
	v_cmpx_gt_u32_e32 8, v8
; %bb.1646:                             ;   in Loop: Header=BB349_941 Depth=1
	s_delay_alu instid0(VALU_DEP_3) | instskip(NEXT) | instid1(VALU_DEP_1)
	v_clz_i32_u32_e32 v7, v22
	v_min_u32_e32 v7, 32, v7
	s_delay_alu instid0(VALU_DEP_1) | instskip(NEXT) | instid1(VALU_DEP_1)
	v_subrev_nc_u32_e32 v8, 28, v7
	v_lshlrev_b64_e32 v[8:9], v8, v[22:23]
	s_delay_alu instid0(VALU_DEP_1)
	v_dual_sub_nc_u32 v7, 29, v7 :: v_dual_bitop2_b32 v22, 7, v8 bitop3:0x40
; %bb.1647:                             ;   in Loop: Header=BB349_941 Depth=1
	s_or_b32 exec_lo, exec_lo, s17
	v_lshlrev_b32_e32 v8, 16, v26
	s_delay_alu instid0(VALU_DEP_2) | instskip(NEXT) | instid1(VALU_DEP_3)
	v_lshlrev_b32_e32 v9, 20, v22
	v_lshl_add_u32 v7, v7, 23, 0x3c000000
	s_delay_alu instid0(VALU_DEP_3) | instskip(NEXT) | instid1(VALU_DEP_1)
	v_and_b32_e32 v8, 0x80000000, v8
	v_or3_b32 v7, v9, v8, v7
.LBB349_1648:                           ;   in Loop: Header=BB349_941 Depth=1
	s_or_b32 exec_lo, exec_lo, s16
.LBB349_1649:                           ;   in Loop: Header=BB349_941 Depth=1
	s_delay_alu instid0(SALU_CYCLE_1)
	s_or_b32 exec_lo, exec_lo, s15
.LBB349_1650:                           ;   in Loop: Header=BB349_941 Depth=1
	s_delay_alu instid0(SALU_CYCLE_1) | instskip(SKIP_3) | instid1(VALU_DEP_2)
	s_or_b32 exec_lo, exec_lo, s14
	v_dual_lshrrev_b32 v22, 16, v19 :: v_dual_mov_b32 v8, 0
	v_mov_b32_e32 v9, 0
	s_mov_b32 s14, exec_lo
	v_and_b32_e32 v23, 0xff, v22
	s_delay_alu instid0(VALU_DEP_1)
	v_cmpx_ne_u16_e32 0, v23
	s_cbranch_execz .LBB349_1658
; %bb.1651:                             ;   in Loop: Header=BB349_941 Depth=1
	v_bfrev_b32_e32 v9, 1
	s_mov_b32 s15, exec_lo
	v_cmpx_ne_u16_e32 0x80, v23
	s_cbranch_execz .LBB349_1657
; %bb.1652:                             ;   in Loop: Header=BB349_941 Depth=1
	v_bfe_u32 v23, v19, 16, 7
	v_mov_b32_e32 v9, 0x7f800001
	s_mov_b32 s16, exec_lo
	s_delay_alu instid0(VALU_DEP_2)
	v_cmpx_ne_u32_e32 0x7f, v23
	s_cbranch_execz .LBB349_1656
; %bb.1653:                             ;   in Loop: Header=BB349_941 Depth=1
	v_dual_lshrrev_b32 v9, 3, v23 :: v_dual_bitop2_b32 v26, 7, v22 bitop3:0x40
	s_mov_b32 s17, exec_lo
	v_cmpx_gt_u32_e32 8, v23
; %bb.1654:                             ;   in Loop: Header=BB349_941 Depth=1
	s_delay_alu instid0(VALU_DEP_2) | instskip(NEXT) | instid1(VALU_DEP_1)
	v_clz_i32_u32_e32 v9, v26
	v_min_u32_e32 v9, 32, v9
	s_delay_alu instid0(VALU_DEP_1) | instskip(NEXT) | instid1(VALU_DEP_1)
	v_subrev_nc_u32_e32 v23, 28, v9
	v_lshlrev_b64_e32 v[24:25], v23, v[26:27]
	s_delay_alu instid0(VALU_DEP_1)
	v_dual_sub_nc_u32 v9, 29, v9 :: v_dual_bitop2_b32 v26, 7, v24 bitop3:0x40
; %bb.1655:                             ;   in Loop: Header=BB349_941 Depth=1
	s_or_b32 exec_lo, exec_lo, s17
	v_lshlrev_b32_e32 v22, 24, v22
	s_delay_alu instid0(VALU_DEP_2) | instskip(NEXT) | instid1(VALU_DEP_3)
	v_lshlrev_b32_e32 v23, 20, v26
	v_lshl_add_u32 v9, v9, 23, 0x3c000000
	s_delay_alu instid0(VALU_DEP_3) | instskip(NEXT) | instid1(VALU_DEP_1)
	v_and_b32_e32 v22, 0x80000000, v22
	v_or3_b32 v9, v23, v22, v9
.LBB349_1656:                           ;   in Loop: Header=BB349_941 Depth=1
	s_or_b32 exec_lo, exec_lo, s16
.LBB349_1657:                           ;   in Loop: Header=BB349_941 Depth=1
	s_delay_alu instid0(SALU_CYCLE_1)
	s_or_b32 exec_lo, exec_lo, s15
.LBB349_1658:                           ;   in Loop: Header=BB349_941 Depth=1
	s_delay_alu instid0(SALU_CYCLE_1) | instskip(NEXT) | instid1(SALU_CYCLE_1)
	s_or_b32 exec_lo, exec_lo, s14
	s_mov_b32 s14, exec_lo
	v_cmpx_lt_u64_e64 s[2:3], v[18:19]
	s_cbranch_execz .LBB349_1666
; %bb.1659:                             ;   in Loop: Header=BB349_941 Depth=1
	v_lshrrev_b32_e32 v18, 24, v19
	v_bfrev_b32_e32 v8, 1
	s_mov_b32 s15, exec_lo
	s_delay_alu instid0(VALU_DEP_2)
	v_cmpx_ne_u32_e32 0x80, v18
	s_cbranch_execz .LBB349_1665
; %bb.1660:                             ;   in Loop: Header=BB349_941 Depth=1
	v_bfe_u32 v19, v19, 24, 7
	v_mov_b32_e32 v8, 0x7f800001
	s_mov_b32 s16, exec_lo
	s_delay_alu instid0(VALU_DEP_2)
	v_cmpx_ne_u32_e32 0x7f, v19
	s_cbranch_execz .LBB349_1664
; %bb.1661:                             ;   in Loop: Header=BB349_941 Depth=1
	v_dual_lshrrev_b32 v8, 3, v19 :: v_dual_bitop2_b32 v26, 7, v18 bitop3:0x40
	s_mov_b32 s17, exec_lo
	v_cmpx_gt_u32_e32 8, v19
; %bb.1662:                             ;   in Loop: Header=BB349_941 Depth=1
	s_delay_alu instid0(VALU_DEP_2) | instskip(NEXT) | instid1(VALU_DEP_1)
	v_clz_i32_u32_e32 v8, v26
	v_min_u32_e32 v8, 32, v8
	s_delay_alu instid0(VALU_DEP_1) | instskip(NEXT) | instid1(VALU_DEP_1)
	v_subrev_nc_u32_e32 v19, 28, v8
	v_lshlrev_b64_e32 v[22:23], v19, v[26:27]
	s_delay_alu instid0(VALU_DEP_1)
	v_dual_sub_nc_u32 v8, 29, v8 :: v_dual_bitop2_b32 v26, 7, v22 bitop3:0x40
; %bb.1663:                             ;   in Loop: Header=BB349_941 Depth=1
	s_or_b32 exec_lo, exec_lo, s17
	v_lshlrev_b32_e32 v18, 24, v18
	s_delay_alu instid0(VALU_DEP_2) | instskip(NEXT) | instid1(VALU_DEP_3)
	v_lshlrev_b32_e32 v19, 20, v26
	v_lshl_add_u32 v8, v8, 23, 0x3c000000
	s_delay_alu instid0(VALU_DEP_3) | instskip(NEXT) | instid1(VALU_DEP_1)
	v_and_b32_e32 v18, 0x80000000, v18
	v_or3_b32 v8, v19, v18, v8
.LBB349_1664:                           ;   in Loop: Header=BB349_941 Depth=1
	s_or_b32 exec_lo, exec_lo, s16
.LBB349_1665:                           ;   in Loop: Header=BB349_941 Depth=1
	s_delay_alu instid0(SALU_CYCLE_1)
	s_or_b32 exec_lo, exec_lo, s15
.LBB349_1666:                           ;   in Loop: Header=BB349_941 Depth=1
	s_delay_alu instid0(SALU_CYCLE_1)
	s_or_b32 exec_lo, exec_lo, s14
	v_fma_mixlo_bf16 v25, v96, v7, 0
	v_fma_mixlo_bf16 v65, v96, v6, 0
	;; [unrolled: 1-line block ×8, first 2 shown]
	s_and_saveexec_b32 s14, vcc_lo
	s_cbranch_execz .LBB349_1668
; %bb.1667:                             ;   in Loop: Header=BB349_941 Depth=1
	v_cmp_lt_i32_e64 s0, v100, v126
	s_delay_alu instid0(VALU_DEP_1) | instskip(SKIP_1) | instid1(VALU_DEP_1)
	v_cndmask_b32_e64 v71, 0, v71, s0
	v_cmp_lt_i32_e64 s0, v112, v126
	v_cndmask_b32_e64 v70, 0, v70, s0
	v_cmp_lt_i32_e64 s0, v103, v126
	s_delay_alu instid0(VALU_DEP_1) | instskip(SKIP_1) | instid1(VALU_DEP_1)
	v_cndmask_b32_e64 v69, 0, v69, s0
	v_cmp_lt_i32_e64 s0, v102, v126
	v_cndmask_b32_e64 v68, 0, v68, s0
	v_cmp_lt_i32_e64 s0, v101, v126
	s_delay_alu instid0(VALU_DEP_1) | instskip(SKIP_1) | instid1(VALU_DEP_1)
	v_cndmask_b32_e64 v65, 0, v65, s0
	v_cmp_lt_i32_e64 s0, v99, v126
	v_cndmask_b32_e64 v25, 0, v25, s0
	v_cmp_lt_i32_e64 s0, v98, v126
	s_delay_alu instid0(VALU_DEP_1) | instskip(SKIP_1) | instid1(VALU_DEP_1)
	v_cndmask_b32_e64 v66, 0, v66, s0
	v_cmp_lt_i32_e64 s0, v97, v126
	v_cndmask_b32_e64 v67, 0, v67, s0
.LBB349_1668:                           ;   in Loop: Header=BB349_941 Depth=1
	s_or_b32 exec_lo, exec_lo, s14
	flat_load_b64 v[18:19], v[0:1] offset:2816
	v_dual_mov_b32 v3, 0 :: v_dual_mov_b32 v2, 0
	s_mov_b32 s14, exec_lo
	s_wait_loadcnt_dscnt 0x0
	v_and_b32_e32 v4, 0xff, v18
	s_wait_xcnt 0x0
	s_delay_alu instid0(VALU_DEP_1)
	v_cmpx_ne_u16_e32 0, v4
	s_cbranch_execz .LBB349_1676
; %bb.1669:                             ;   in Loop: Header=BB349_941 Depth=1
	v_bfrev_b32_e32 v2, 1
	s_mov_b32 s15, exec_lo
	v_cmpx_ne_u16_e32 0x80, v4
	s_cbranch_execz .LBB349_1675
; %bb.1670:                             ;   in Loop: Header=BB349_941 Depth=1
	v_and_b32_e32 v4, 0x7f, v18
	v_mov_b32_e32 v2, 0x7f800001
	s_mov_b32 s16, exec_lo
	s_delay_alu instid0(VALU_DEP_2)
	v_cmpx_ne_u32_e32 0x7f, v4
	s_cbranch_execz .LBB349_1674
; %bb.1671:                             ;   in Loop: Header=BB349_941 Depth=1
	v_mov_b64_e32 v[22:23], v[18:19]
	v_lshrrev_b32_e32 v2, 3, v4
	s_mov_b32 s17, exec_lo
	v_cmpx_gt_u32_e32 8, v4
; %bb.1672:                             ;   in Loop: Header=BB349_941 Depth=1
	v_and_b32_e32 v2, 7, v18
	s_delay_alu instid0(VALU_DEP_1) | instskip(NEXT) | instid1(VALU_DEP_1)
	v_clz_i32_u32_e32 v2, v2
	v_min_u32_e32 v2, 32, v2
	s_delay_alu instid0(VALU_DEP_1) | instskip(SKIP_1) | instid1(VALU_DEP_2)
	v_subrev_nc_u32_e32 v4, 28, v2
	v_sub_nc_u32_e32 v2, 29, v2
	v_lshlrev_b64_e32 v[22:23], v4, v[18:19]
; %bb.1673:                             ;   in Loop: Header=BB349_941 Depth=1
	s_or_b32 exec_lo, exec_lo, s17
	s_delay_alu instid0(VALU_DEP_1) | instskip(SKIP_2) | instid1(VALU_DEP_3)
	v_lshlrev_b32_e32 v4, 20, v22
	v_lshlrev_b32_e32 v5, 24, v18
	v_lshl_add_u32 v2, v2, 23, 0x3c000000
	v_and_b32_e32 v4, 0x700000, v4
	s_delay_alu instid0(VALU_DEP_3) | instskip(NEXT) | instid1(VALU_DEP_1)
	v_and_b32_e32 v5, 0x80000000, v5
	v_or3_b32 v2, v4, v5, v2
.LBB349_1674:                           ;   in Loop: Header=BB349_941 Depth=1
	s_or_b32 exec_lo, exec_lo, s16
.LBB349_1675:                           ;   in Loop: Header=BB349_941 Depth=1
	s_delay_alu instid0(SALU_CYCLE_1)
	s_or_b32 exec_lo, exec_lo, s15
.LBB349_1676:                           ;   in Loop: Header=BB349_941 Depth=1
	s_delay_alu instid0(SALU_CYCLE_1) | instskip(SKIP_2) | instid1(VALU_DEP_1)
	s_or_b32 exec_lo, exec_lo, s14
	v_lshrrev_b16 v4, 8, v18
	s_mov_b32 s14, exec_lo
	v_cmpx_ne_u16_e32 0, v4
	s_cbranch_execz .LBB349_1684
; %bb.1677:                             ;   in Loop: Header=BB349_941 Depth=1
	v_bfrev_b32_e32 v3, 1
	s_mov_b32 s15, exec_lo
	v_cmpx_ne_u16_e32 0x80, v4
	s_cbranch_execz .LBB349_1683
; %bb.1678:                             ;   in Loop: Header=BB349_941 Depth=1
	v_and_b32_e32 v5, 0xffff, v4
	v_mov_b32_e32 v3, 0x7f800001
	s_mov_b32 s16, exec_lo
	s_delay_alu instid0(VALU_DEP_2) | instskip(NEXT) | instid1(VALU_DEP_1)
	v_and_b32_e32 v4, 0x7f, v5
	v_cmpx_ne_u32_e32 0x7f, v4
	s_cbranch_execz .LBB349_1682
; %bb.1679:                             ;   in Loop: Header=BB349_941 Depth=1
	v_dual_lshrrev_b32 v3, 3, v4 :: v_dual_bitop2_b32 v26, 7, v5 bitop3:0x40
	s_mov_b32 s17, exec_lo
	v_cmpx_gt_u32_e32 8, v4
; %bb.1680:                             ;   in Loop: Header=BB349_941 Depth=1
	s_delay_alu instid0(VALU_DEP_2) | instskip(NEXT) | instid1(VALU_DEP_1)
	v_clz_i32_u32_e32 v3, v26
	v_min_u32_e32 v3, 32, v3
	s_delay_alu instid0(VALU_DEP_1) | instskip(NEXT) | instid1(VALU_DEP_1)
	v_subrev_nc_u32_e32 v4, 28, v3
	v_lshlrev_b64_e32 v[4:5], v4, v[26:27]
	s_delay_alu instid0(VALU_DEP_1)
	v_dual_sub_nc_u32 v3, 29, v3 :: v_dual_bitop2_b32 v26, 7, v4 bitop3:0x40
; %bb.1681:                             ;   in Loop: Header=BB349_941 Depth=1
	s_or_b32 exec_lo, exec_lo, s17
	v_lshlrev_b32_e32 v4, 16, v18
	s_delay_alu instid0(VALU_DEP_2) | instskip(NEXT) | instid1(VALU_DEP_3)
	v_lshlrev_b32_e32 v5, 20, v26
	v_lshl_add_u32 v3, v3, 23, 0x3c000000
	s_delay_alu instid0(VALU_DEP_3) | instskip(NEXT) | instid1(VALU_DEP_1)
	v_and_b32_e32 v4, 0x80000000, v4
	v_or3_b32 v3, v5, v4, v3
.LBB349_1682:                           ;   in Loop: Header=BB349_941 Depth=1
	s_or_b32 exec_lo, exec_lo, s16
.LBB349_1683:                           ;   in Loop: Header=BB349_941 Depth=1
	s_delay_alu instid0(SALU_CYCLE_1)
	s_or_b32 exec_lo, exec_lo, s15
.LBB349_1684:                           ;   in Loop: Header=BB349_941 Depth=1
	s_delay_alu instid0(SALU_CYCLE_1) | instskip(SKIP_3) | instid1(VALU_DEP_2)
	s_or_b32 exec_lo, exec_lo, s14
	v_dual_mov_b32 v5, 0 :: v_dual_lshrrev_b32 v6, 16, v18
	v_mov_b32_e32 v4, 0
	s_mov_b32 s14, exec_lo
	v_and_b32_e32 v7, 0xff, v6
	s_delay_alu instid0(VALU_DEP_1)
	v_cmpx_ne_u16_e32 0, v7
	s_cbranch_execz .LBB349_1692
; %bb.1685:                             ;   in Loop: Header=BB349_941 Depth=1
	v_bfrev_b32_e32 v4, 1
	s_mov_b32 s15, exec_lo
	v_cmpx_ne_u16_e32 0x80, v7
	s_cbranch_execz .LBB349_1691
; %bb.1686:                             ;   in Loop: Header=BB349_941 Depth=1
	v_bfe_u32 v7, v18, 16, 7
	v_mov_b32_e32 v4, 0x7f800001
	s_mov_b32 s16, exec_lo
	s_delay_alu instid0(VALU_DEP_2)
	v_cmpx_ne_u32_e32 0x7f, v7
	s_cbranch_execz .LBB349_1690
; %bb.1687:                             ;   in Loop: Header=BB349_941 Depth=1
	v_dual_lshrrev_b32 v4, 3, v7 :: v_dual_bitop2_b32 v26, 7, v6 bitop3:0x40
	s_mov_b32 s17, exec_lo
	v_cmpx_gt_u32_e32 8, v7
; %bb.1688:                             ;   in Loop: Header=BB349_941 Depth=1
	s_delay_alu instid0(VALU_DEP_2) | instskip(NEXT) | instid1(VALU_DEP_1)
	v_clz_i32_u32_e32 v4, v26
	v_min_u32_e32 v4, 32, v4
	s_delay_alu instid0(VALU_DEP_1) | instskip(SKIP_1) | instid1(VALU_DEP_2)
	v_subrev_nc_u32_e32 v7, 28, v4
	v_sub_nc_u32_e32 v4, 29, v4
	v_lshlrev_b64_e32 v[8:9], v7, v[26:27]
	s_delay_alu instid0(VALU_DEP_1)
	v_and_b32_e32 v26, 7, v8
; %bb.1689:                             ;   in Loop: Header=BB349_941 Depth=1
	s_or_b32 exec_lo, exec_lo, s17
	v_lshlrev_b32_e32 v6, 24, v6
	s_delay_alu instid0(VALU_DEP_2) | instskip(SKIP_1) | instid1(VALU_DEP_3)
	v_lshlrev_b32_e32 v7, 20, v26
	v_lshl_add_u32 v4, v4, 23, 0x3c000000
	v_and_b32_e32 v6, 0x80000000, v6
	s_delay_alu instid0(VALU_DEP_1)
	v_or3_b32 v4, v7, v6, v4
.LBB349_1690:                           ;   in Loop: Header=BB349_941 Depth=1
	s_or_b32 exec_lo, exec_lo, s16
.LBB349_1691:                           ;   in Loop: Header=BB349_941 Depth=1
	s_delay_alu instid0(SALU_CYCLE_1)
	s_or_b32 exec_lo, exec_lo, s15
.LBB349_1692:                           ;   in Loop: Header=BB349_941 Depth=1
	s_delay_alu instid0(SALU_CYCLE_1) | instskip(NEXT) | instid1(SALU_CYCLE_1)
	s_or_b32 exec_lo, exec_lo, s14
	s_mov_b32 s14, exec_lo
	v_cmpx_lt_u32_e32 0xffffff, v18
	s_cbranch_execz .LBB349_1700
; %bb.1693:                             ;   in Loop: Header=BB349_941 Depth=1
	v_lshrrev_b32_e32 v6, 24, v18
	v_bfrev_b32_e32 v5, 1
	s_mov_b32 s15, exec_lo
	s_delay_alu instid0(VALU_DEP_2)
	v_cmpx_ne_u32_e32 0x80, v6
	s_cbranch_execz .LBB349_1699
; %bb.1694:                             ;   in Loop: Header=BB349_941 Depth=1
	v_bfe_u32 v7, v18, 24, 7
	v_mov_b32_e32 v5, 0x7f800001
	s_mov_b32 s16, exec_lo
	s_delay_alu instid0(VALU_DEP_2)
	v_cmpx_ne_u32_e32 0x7f, v7
	s_cbranch_execz .LBB349_1698
; %bb.1695:                             ;   in Loop: Header=BB349_941 Depth=1
	v_dual_lshrrev_b32 v5, 3, v7 :: v_dual_bitop2_b32 v26, 7, v6 bitop3:0x40
	s_mov_b32 s17, exec_lo
	v_cmpx_gt_u32_e32 8, v7
; %bb.1696:                             ;   in Loop: Header=BB349_941 Depth=1
	s_delay_alu instid0(VALU_DEP_2) | instskip(NEXT) | instid1(VALU_DEP_1)
	v_clz_i32_u32_e32 v5, v26
	v_min_u32_e32 v5, 32, v5
	s_delay_alu instid0(VALU_DEP_1) | instskip(NEXT) | instid1(VALU_DEP_1)
	v_subrev_nc_u32_e32 v7, 28, v5
	v_lshlrev_b64_e32 v[8:9], v7, v[26:27]
	s_delay_alu instid0(VALU_DEP_1)
	v_dual_sub_nc_u32 v5, 29, v5 :: v_dual_bitop2_b32 v26, 7, v8 bitop3:0x40
; %bb.1697:                             ;   in Loop: Header=BB349_941 Depth=1
	s_or_b32 exec_lo, exec_lo, s17
	v_lshlrev_b32_e32 v6, 24, v6
	s_delay_alu instid0(VALU_DEP_2) | instskip(NEXT) | instid1(VALU_DEP_3)
	v_lshlrev_b32_e32 v7, 20, v26
	v_lshl_add_u32 v5, v5, 23, 0x3c000000
	s_delay_alu instid0(VALU_DEP_3) | instskip(NEXT) | instid1(VALU_DEP_1)
	v_and_b32_e32 v6, 0x80000000, v6
	v_or3_b32 v5, v7, v6, v5
.LBB349_1698:                           ;   in Loop: Header=BB349_941 Depth=1
	s_or_b32 exec_lo, exec_lo, s16
.LBB349_1699:                           ;   in Loop: Header=BB349_941 Depth=1
	s_delay_alu instid0(SALU_CYCLE_1)
	s_or_b32 exec_lo, exec_lo, s15
.LBB349_1700:                           ;   in Loop: Header=BB349_941 Depth=1
	s_delay_alu instid0(SALU_CYCLE_1) | instskip(SKIP_4) | instid1(VALU_DEP_3)
	s_or_b32 exec_lo, exec_lo, s14
	v_and_b32_e32 v8, 0xff, v19
	v_dual_mov_b32 v26, v19 :: v_dual_mov_b32 v7, 0
	v_mov_b32_e32 v6, 0
	s_mov_b32 s14, exec_lo
	v_cmpx_ne_u16_e32 0, v8
	s_cbranch_execz .LBB349_1708
; %bb.1701:                             ;   in Loop: Header=BB349_941 Depth=1
	v_bfrev_b32_e32 v6, 1
	s_mov_b32 s15, exec_lo
	v_cmpx_ne_u16_e32 0x80, v8
	s_cbranch_execz .LBB349_1707
; %bb.1702:                             ;   in Loop: Header=BB349_941 Depth=1
	v_and_b32_e32 v8, 0x7f, v19
	v_mov_b32_e32 v6, 0x7f800001
	s_mov_b32 s16, exec_lo
	s_delay_alu instid0(VALU_DEP_2)
	v_cmpx_ne_u32_e32 0x7f, v8
	s_cbranch_execz .LBB349_1706
; %bb.1703:                             ;   in Loop: Header=BB349_941 Depth=1
	v_mov_b64_e32 v[22:23], v[26:27]
	v_lshrrev_b32_e32 v6, 3, v8
	s_mov_b32 s17, exec_lo
	v_cmpx_gt_u32_e32 8, v8
; %bb.1704:                             ;   in Loop: Header=BB349_941 Depth=1
	v_and_b32_e32 v6, 7, v19
	s_delay_alu instid0(VALU_DEP_1) | instskip(NEXT) | instid1(VALU_DEP_1)
	v_clz_i32_u32_e32 v6, v6
	v_min_u32_e32 v6, 32, v6
	s_delay_alu instid0(VALU_DEP_1) | instskip(SKIP_1) | instid1(VALU_DEP_2)
	v_subrev_nc_u32_e32 v8, 28, v6
	v_sub_nc_u32_e32 v6, 29, v6
	v_lshlrev_b64_e32 v[22:23], v8, v[26:27]
; %bb.1705:                             ;   in Loop: Header=BB349_941 Depth=1
	s_or_b32 exec_lo, exec_lo, s17
	s_delay_alu instid0(VALU_DEP_1) | instskip(SKIP_2) | instid1(VALU_DEP_3)
	v_lshlrev_b32_e32 v8, 20, v22
	v_lshlrev_b32_e32 v9, 24, v26
	v_lshl_add_u32 v6, v6, 23, 0x3c000000
	v_and_b32_e32 v8, 0x700000, v8
	s_delay_alu instid0(VALU_DEP_3) | instskip(NEXT) | instid1(VALU_DEP_1)
	v_and_b32_e32 v9, 0x80000000, v9
	v_or3_b32 v6, v8, v9, v6
.LBB349_1706:                           ;   in Loop: Header=BB349_941 Depth=1
	s_or_b32 exec_lo, exec_lo, s16
.LBB349_1707:                           ;   in Loop: Header=BB349_941 Depth=1
	s_delay_alu instid0(SALU_CYCLE_1)
	s_or_b32 exec_lo, exec_lo, s15
.LBB349_1708:                           ;   in Loop: Header=BB349_941 Depth=1
	s_delay_alu instid0(SALU_CYCLE_1) | instskip(SKIP_2) | instid1(VALU_DEP_1)
	s_or_b32 exec_lo, exec_lo, s14
	v_lshrrev_b16 v8, 8, v26
	s_mov_b32 s14, exec_lo
	v_cmpx_ne_u16_e32 0, v8
	s_cbranch_execz .LBB349_1716
; %bb.1709:                             ;   in Loop: Header=BB349_941 Depth=1
	v_bfrev_b32_e32 v7, 1
	s_mov_b32 s15, exec_lo
	v_cmpx_ne_u16_e32 0x80, v8
	s_cbranch_execz .LBB349_1715
; %bb.1710:                             ;   in Loop: Header=BB349_941 Depth=1
	v_and_b32_e32 v9, 0xffff, v8
	v_mov_b32_e32 v7, 0x7f800001
	s_mov_b32 s16, exec_lo
	s_delay_alu instid0(VALU_DEP_2) | instskip(NEXT) | instid1(VALU_DEP_1)
	v_and_b32_e32 v8, 0x7f, v9
	v_cmpx_ne_u32_e32 0x7f, v8
	s_cbranch_execz .LBB349_1714
; %bb.1711:                             ;   in Loop: Header=BB349_941 Depth=1
	v_dual_mov_b32 v23, v27 :: v_dual_bitop2_b32 v22, 7, v9 bitop3:0x40
	v_lshrrev_b32_e32 v7, 3, v8
	s_mov_b32 s17, exec_lo
	v_cmpx_gt_u32_e32 8, v8
; %bb.1712:                             ;   in Loop: Header=BB349_941 Depth=1
	s_delay_alu instid0(VALU_DEP_3) | instskip(NEXT) | instid1(VALU_DEP_1)
	v_clz_i32_u32_e32 v7, v22
	v_min_u32_e32 v7, 32, v7
	s_delay_alu instid0(VALU_DEP_1) | instskip(NEXT) | instid1(VALU_DEP_1)
	v_subrev_nc_u32_e32 v8, 28, v7
	v_lshlrev_b64_e32 v[8:9], v8, v[22:23]
	s_delay_alu instid0(VALU_DEP_1)
	v_dual_sub_nc_u32 v7, 29, v7 :: v_dual_bitop2_b32 v22, 7, v8 bitop3:0x40
; %bb.1713:                             ;   in Loop: Header=BB349_941 Depth=1
	s_or_b32 exec_lo, exec_lo, s17
	v_lshlrev_b32_e32 v8, 16, v26
	s_delay_alu instid0(VALU_DEP_2) | instskip(NEXT) | instid1(VALU_DEP_3)
	v_lshlrev_b32_e32 v9, 20, v22
	v_lshl_add_u32 v7, v7, 23, 0x3c000000
	s_delay_alu instid0(VALU_DEP_3) | instskip(NEXT) | instid1(VALU_DEP_1)
	v_and_b32_e32 v8, 0x80000000, v8
	v_or3_b32 v7, v9, v8, v7
.LBB349_1714:                           ;   in Loop: Header=BB349_941 Depth=1
	s_or_b32 exec_lo, exec_lo, s16
.LBB349_1715:                           ;   in Loop: Header=BB349_941 Depth=1
	s_delay_alu instid0(SALU_CYCLE_1)
	s_or_b32 exec_lo, exec_lo, s15
.LBB349_1716:                           ;   in Loop: Header=BB349_941 Depth=1
	s_delay_alu instid0(SALU_CYCLE_1) | instskip(SKIP_3) | instid1(VALU_DEP_2)
	s_or_b32 exec_lo, exec_lo, s14
	v_dual_lshrrev_b32 v22, 16, v19 :: v_dual_mov_b32 v8, 0
	v_mov_b32_e32 v9, 0
	s_mov_b32 s14, exec_lo
	v_and_b32_e32 v23, 0xff, v22
	s_delay_alu instid0(VALU_DEP_1)
	v_cmpx_ne_u16_e32 0, v23
	s_cbranch_execz .LBB349_1724
; %bb.1717:                             ;   in Loop: Header=BB349_941 Depth=1
	v_bfrev_b32_e32 v9, 1
	s_mov_b32 s15, exec_lo
	v_cmpx_ne_u16_e32 0x80, v23
	s_cbranch_execz .LBB349_1723
; %bb.1718:                             ;   in Loop: Header=BB349_941 Depth=1
	v_bfe_u32 v23, v19, 16, 7
	v_mov_b32_e32 v9, 0x7f800001
	s_mov_b32 s16, exec_lo
	s_delay_alu instid0(VALU_DEP_2)
	v_cmpx_ne_u32_e32 0x7f, v23
	s_cbranch_execz .LBB349_1722
; %bb.1719:                             ;   in Loop: Header=BB349_941 Depth=1
	v_dual_lshrrev_b32 v9, 3, v23 :: v_dual_bitop2_b32 v26, 7, v22 bitop3:0x40
	s_mov_b32 s17, exec_lo
	v_cmpx_gt_u32_e32 8, v23
; %bb.1720:                             ;   in Loop: Header=BB349_941 Depth=1
	s_delay_alu instid0(VALU_DEP_2) | instskip(NEXT) | instid1(VALU_DEP_1)
	v_clz_i32_u32_e32 v9, v26
	v_min_u32_e32 v9, 32, v9
	s_delay_alu instid0(VALU_DEP_1) | instskip(NEXT) | instid1(VALU_DEP_1)
	v_subrev_nc_u32_e32 v23, 28, v9
	v_lshlrev_b64_e32 v[80:81], v23, v[26:27]
	s_delay_alu instid0(VALU_DEP_1)
	v_dual_sub_nc_u32 v9, 29, v9 :: v_dual_bitop2_b32 v26, 7, v80 bitop3:0x40
; %bb.1721:                             ;   in Loop: Header=BB349_941 Depth=1
	s_or_b32 exec_lo, exec_lo, s17
	v_lshlrev_b32_e32 v22, 24, v22
	s_delay_alu instid0(VALU_DEP_2) | instskip(NEXT) | instid1(VALU_DEP_3)
	v_lshlrev_b32_e32 v23, 20, v26
	v_lshl_add_u32 v9, v9, 23, 0x3c000000
	s_delay_alu instid0(VALU_DEP_3) | instskip(NEXT) | instid1(VALU_DEP_1)
	v_and_b32_e32 v22, 0x80000000, v22
	v_or3_b32 v9, v23, v22, v9
.LBB349_1722:                           ;   in Loop: Header=BB349_941 Depth=1
	s_or_b32 exec_lo, exec_lo, s16
.LBB349_1723:                           ;   in Loop: Header=BB349_941 Depth=1
	s_delay_alu instid0(SALU_CYCLE_1)
	s_or_b32 exec_lo, exec_lo, s15
.LBB349_1724:                           ;   in Loop: Header=BB349_941 Depth=1
	s_delay_alu instid0(SALU_CYCLE_1) | instskip(NEXT) | instid1(SALU_CYCLE_1)
	s_or_b32 exec_lo, exec_lo, s14
	s_mov_b32 s14, exec_lo
	v_cmpx_lt_u64_e64 s[2:3], v[18:19]
	s_cbranch_execz .LBB349_1732
; %bb.1725:                             ;   in Loop: Header=BB349_941 Depth=1
	v_lshrrev_b32_e32 v18, 24, v19
	v_bfrev_b32_e32 v8, 1
	s_mov_b32 s15, exec_lo
	s_delay_alu instid0(VALU_DEP_2)
	v_cmpx_ne_u32_e32 0x80, v18
	s_cbranch_execz .LBB349_1731
; %bb.1726:                             ;   in Loop: Header=BB349_941 Depth=1
	v_bfe_u32 v19, v19, 24, 7
	v_mov_b32_e32 v8, 0x7f800001
	s_mov_b32 s16, exec_lo
	s_delay_alu instid0(VALU_DEP_2)
	v_cmpx_ne_u32_e32 0x7f, v19
	s_cbranch_execz .LBB349_1730
; %bb.1727:                             ;   in Loop: Header=BB349_941 Depth=1
	v_dual_lshrrev_b32 v8, 3, v19 :: v_dual_bitop2_b32 v26, 7, v18 bitop3:0x40
	s_mov_b32 s17, exec_lo
	v_cmpx_gt_u32_e32 8, v19
; %bb.1728:                             ;   in Loop: Header=BB349_941 Depth=1
	s_delay_alu instid0(VALU_DEP_2) | instskip(NEXT) | instid1(VALU_DEP_1)
	v_clz_i32_u32_e32 v8, v26
	v_min_u32_e32 v8, 32, v8
	s_delay_alu instid0(VALU_DEP_1) | instskip(NEXT) | instid1(VALU_DEP_1)
	v_subrev_nc_u32_e32 v19, 28, v8
	v_lshlrev_b64_e32 v[22:23], v19, v[26:27]
	s_delay_alu instid0(VALU_DEP_1)
	v_dual_sub_nc_u32 v8, 29, v8 :: v_dual_bitop2_b32 v26, 7, v22 bitop3:0x40
; %bb.1729:                             ;   in Loop: Header=BB349_941 Depth=1
	s_or_b32 exec_lo, exec_lo, s17
	v_lshlrev_b32_e32 v18, 24, v18
	s_delay_alu instid0(VALU_DEP_2) | instskip(NEXT) | instid1(VALU_DEP_3)
	v_lshlrev_b32_e32 v19, 20, v26
	v_lshl_add_u32 v8, v8, 23, 0x3c000000
	s_delay_alu instid0(VALU_DEP_3) | instskip(NEXT) | instid1(VALU_DEP_1)
	v_and_b32_e32 v18, 0x80000000, v18
	v_or3_b32 v8, v19, v18, v8
.LBB349_1730:                           ;   in Loop: Header=BB349_941 Depth=1
	s_or_b32 exec_lo, exec_lo, s16
.LBB349_1731:                           ;   in Loop: Header=BB349_941 Depth=1
	s_delay_alu instid0(SALU_CYCLE_1)
	s_or_b32 exec_lo, exec_lo, s15
.LBB349_1732:                           ;   in Loop: Header=BB349_941 Depth=1
	s_delay_alu instid0(SALU_CYCLE_1)
	s_or_b32 exec_lo, exec_lo, s14
	v_fma_mixlo_bf16 v83, v96, v7, 0
	v_fma_mixlo_bf16 v84, v96, v6, 0
	;; [unrolled: 1-line block ×8, first 2 shown]
	s_and_saveexec_b32 s14, vcc_lo
	s_cbranch_execz .LBB349_1734
; %bb.1733:                             ;   in Loop: Header=BB349_941 Depth=1
	v_cmp_lt_i32_e64 s0, v100, v126
	s_delay_alu instid0(VALU_DEP_1) | instskip(SKIP_1) | instid1(VALU_DEP_1)
	v_cndmask_b32_e64 v4, 0, v4, s0
	v_cmp_lt_i32_e64 s0, v112, v126
	v_cndmask_b32_e64 v87, 0, v87, s0
	v_cmp_lt_i32_e64 s0, v103, v126
	s_delay_alu instid0(VALU_DEP_1) | instskip(SKIP_1) | instid1(VALU_DEP_1)
	v_cndmask_b32_e64 v86, 0, v86, s0
	v_cmp_lt_i32_e64 s0, v102, v126
	v_cndmask_b32_e64 v85, 0, v85, s0
	;; [unrolled: 5-line block ×4, first 2 shown]
.LBB349_1734:                           ;   in Loop: Header=BB349_941 Depth=1
	s_or_b32 exec_lo, exec_lo, s14
	flat_load_b64 v[18:19], v[0:1] offset:3072
	v_dual_mov_b32 v3, 0 :: v_dual_mov_b32 v2, 0
	s_mov_b32 s14, exec_lo
	s_wait_loadcnt_dscnt 0x0
	v_and_b32_e32 v5, 0xff, v18
	s_wait_xcnt 0x0
	s_delay_alu instid0(VALU_DEP_1)
	v_cmpx_ne_u16_e32 0, v5
	s_cbranch_execz .LBB349_1742
; %bb.1735:                             ;   in Loop: Header=BB349_941 Depth=1
	v_bfrev_b32_e32 v2, 1
	s_mov_b32 s15, exec_lo
	v_cmpx_ne_u16_e32 0x80, v5
	s_cbranch_execz .LBB349_1741
; %bb.1736:                             ;   in Loop: Header=BB349_941 Depth=1
	v_and_b32_e32 v5, 0x7f, v18
	v_mov_b32_e32 v2, 0x7f800001
	s_mov_b32 s16, exec_lo
	s_delay_alu instid0(VALU_DEP_2)
	v_cmpx_ne_u32_e32 0x7f, v5
	s_cbranch_execz .LBB349_1740
; %bb.1737:                             ;   in Loop: Header=BB349_941 Depth=1
	v_mov_b64_e32 v[22:23], v[18:19]
	v_lshrrev_b32_e32 v2, 3, v5
	s_mov_b32 s17, exec_lo
	v_cmpx_gt_u32_e32 8, v5
; %bb.1738:                             ;   in Loop: Header=BB349_941 Depth=1
	v_and_b32_e32 v2, 7, v18
	s_delay_alu instid0(VALU_DEP_1) | instskip(NEXT) | instid1(VALU_DEP_1)
	v_clz_i32_u32_e32 v2, v2
	v_min_u32_e32 v2, 32, v2
	s_delay_alu instid0(VALU_DEP_1) | instskip(SKIP_1) | instid1(VALU_DEP_2)
	v_subrev_nc_u32_e32 v5, 28, v2
	v_sub_nc_u32_e32 v2, 29, v2
	v_lshlrev_b64_e32 v[22:23], v5, v[18:19]
; %bb.1739:                             ;   in Loop: Header=BB349_941 Depth=1
	s_or_b32 exec_lo, exec_lo, s17
	s_delay_alu instid0(VALU_DEP_1) | instskip(SKIP_2) | instid1(VALU_DEP_3)
	v_lshlrev_b32_e32 v5, 20, v22
	v_lshlrev_b32_e32 v6, 24, v18
	v_lshl_add_u32 v2, v2, 23, 0x3c000000
	v_and_b32_e32 v5, 0x700000, v5
	s_delay_alu instid0(VALU_DEP_3) | instskip(NEXT) | instid1(VALU_DEP_1)
	v_and_b32_e32 v6, 0x80000000, v6
	v_or3_b32 v2, v5, v6, v2
.LBB349_1740:                           ;   in Loop: Header=BB349_941 Depth=1
	s_or_b32 exec_lo, exec_lo, s16
.LBB349_1741:                           ;   in Loop: Header=BB349_941 Depth=1
	s_delay_alu instid0(SALU_CYCLE_1)
	s_or_b32 exec_lo, exec_lo, s15
.LBB349_1742:                           ;   in Loop: Header=BB349_941 Depth=1
	s_delay_alu instid0(SALU_CYCLE_1) | instskip(SKIP_2) | instid1(VALU_DEP_1)
	s_or_b32 exec_lo, exec_lo, s14
	v_lshrrev_b16 v5, 8, v18
	s_mov_b32 s14, exec_lo
	v_cmpx_ne_u16_e32 0, v5
	s_cbranch_execz .LBB349_1750
; %bb.1743:                             ;   in Loop: Header=BB349_941 Depth=1
	v_bfrev_b32_e32 v3, 1
	s_mov_b32 s15, exec_lo
	v_cmpx_ne_u16_e32 0x80, v5
	s_cbranch_execz .LBB349_1749
; %bb.1744:                             ;   in Loop: Header=BB349_941 Depth=1
	v_and_b32_e32 v6, 0xffff, v5
	v_mov_b32_e32 v3, 0x7f800001
	s_mov_b32 s16, exec_lo
	s_delay_alu instid0(VALU_DEP_2) | instskip(NEXT) | instid1(VALU_DEP_1)
	v_and_b32_e32 v5, 0x7f, v6
	v_cmpx_ne_u32_e32 0x7f, v5
	s_cbranch_execz .LBB349_1748
; %bb.1745:                             ;   in Loop: Header=BB349_941 Depth=1
	v_dual_lshrrev_b32 v3, 3, v5 :: v_dual_bitop2_b32 v26, 7, v6 bitop3:0x40
	s_mov_b32 s17, exec_lo
	v_cmpx_gt_u32_e32 8, v5
; %bb.1746:                             ;   in Loop: Header=BB349_941 Depth=1
	s_delay_alu instid0(VALU_DEP_2) | instskip(NEXT) | instid1(VALU_DEP_1)
	v_clz_i32_u32_e32 v3, v26
	v_min_u32_e32 v3, 32, v3
	s_delay_alu instid0(VALU_DEP_1) | instskip(NEXT) | instid1(VALU_DEP_1)
	v_subrev_nc_u32_e32 v5, 28, v3
	v_lshlrev_b64_e32 v[6:7], v5, v[26:27]
	s_delay_alu instid0(VALU_DEP_1)
	v_dual_sub_nc_u32 v3, 29, v3 :: v_dual_bitop2_b32 v26, 7, v6 bitop3:0x40
; %bb.1747:                             ;   in Loop: Header=BB349_941 Depth=1
	s_or_b32 exec_lo, exec_lo, s17
	v_lshlrev_b32_e32 v5, 16, v18
	s_delay_alu instid0(VALU_DEP_2) | instskip(NEXT) | instid1(VALU_DEP_3)
	v_lshlrev_b32_e32 v6, 20, v26
	v_lshl_add_u32 v3, v3, 23, 0x3c000000
	s_delay_alu instid0(VALU_DEP_3) | instskip(NEXT) | instid1(VALU_DEP_1)
	v_and_b32_e32 v5, 0x80000000, v5
	v_or3_b32 v3, v6, v5, v3
.LBB349_1748:                           ;   in Loop: Header=BB349_941 Depth=1
	s_or_b32 exec_lo, exec_lo, s16
.LBB349_1749:                           ;   in Loop: Header=BB349_941 Depth=1
	s_delay_alu instid0(SALU_CYCLE_1)
	s_or_b32 exec_lo, exec_lo, s15
.LBB349_1750:                           ;   in Loop: Header=BB349_941 Depth=1
	s_delay_alu instid0(SALU_CYCLE_1) | instskip(SKIP_3) | instid1(VALU_DEP_2)
	s_or_b32 exec_lo, exec_lo, s14
	v_dual_lshrrev_b32 v5, 16, v18 :: v_dual_mov_b32 v7, 0
	v_mov_b32_e32 v6, 0
	s_mov_b32 s14, exec_lo
	v_and_b32_e32 v8, 0xff, v5
	s_delay_alu instid0(VALU_DEP_1)
	v_cmpx_ne_u16_e32 0, v8
	s_cbranch_execz .LBB349_1758
; %bb.1751:                             ;   in Loop: Header=BB349_941 Depth=1
	v_bfrev_b32_e32 v6, 1
	s_mov_b32 s15, exec_lo
	v_cmpx_ne_u16_e32 0x80, v8
	s_cbranch_execz .LBB349_1757
; %bb.1752:                             ;   in Loop: Header=BB349_941 Depth=1
	v_bfe_u32 v8, v18, 16, 7
	v_mov_b32_e32 v6, 0x7f800001
	s_mov_b32 s16, exec_lo
	s_delay_alu instid0(VALU_DEP_2)
	v_cmpx_ne_u32_e32 0x7f, v8
	s_cbranch_execz .LBB349_1756
; %bb.1753:                             ;   in Loop: Header=BB349_941 Depth=1
	v_dual_lshrrev_b32 v6, 3, v8 :: v_dual_bitop2_b32 v26, 7, v5 bitop3:0x40
	s_mov_b32 s17, exec_lo
	v_cmpx_gt_u32_e32 8, v8
; %bb.1754:                             ;   in Loop: Header=BB349_941 Depth=1
	s_delay_alu instid0(VALU_DEP_2) | instskip(NEXT) | instid1(VALU_DEP_1)
	v_clz_i32_u32_e32 v6, v26
	v_min_u32_e32 v6, 32, v6
	s_delay_alu instid0(VALU_DEP_1) | instskip(NEXT) | instid1(VALU_DEP_1)
	v_subrev_nc_u32_e32 v8, 28, v6
	v_lshlrev_b64_e32 v[8:9], v8, v[26:27]
	s_delay_alu instid0(VALU_DEP_1)
	v_dual_sub_nc_u32 v6, 29, v6 :: v_dual_bitop2_b32 v26, 7, v8 bitop3:0x40
; %bb.1755:                             ;   in Loop: Header=BB349_941 Depth=1
	s_or_b32 exec_lo, exec_lo, s17
	s_delay_alu instid0(VALU_DEP_1) | instskip(NEXT) | instid1(VALU_DEP_2)
	v_dual_lshlrev_b32 v5, 24, v5 :: v_dual_lshlrev_b32 v8, 20, v26
	v_lshl_add_u32 v6, v6, 23, 0x3c000000
	s_delay_alu instid0(VALU_DEP_2) | instskip(NEXT) | instid1(VALU_DEP_1)
	v_and_b32_e32 v5, 0x80000000, v5
	v_or3_b32 v6, v8, v5, v6
.LBB349_1756:                           ;   in Loop: Header=BB349_941 Depth=1
	s_or_b32 exec_lo, exec_lo, s16
.LBB349_1757:                           ;   in Loop: Header=BB349_941 Depth=1
	s_delay_alu instid0(SALU_CYCLE_1)
	s_or_b32 exec_lo, exec_lo, s15
.LBB349_1758:                           ;   in Loop: Header=BB349_941 Depth=1
	s_delay_alu instid0(SALU_CYCLE_1) | instskip(NEXT) | instid1(SALU_CYCLE_1)
	s_or_b32 exec_lo, exec_lo, s14
	s_mov_b32 s14, exec_lo
	v_cmpx_lt_u32_e32 0xffffff, v18
	s_cbranch_execz .LBB349_1766
; %bb.1759:                             ;   in Loop: Header=BB349_941 Depth=1
	v_lshrrev_b32_e32 v5, 24, v18
	v_bfrev_b32_e32 v7, 1
	s_mov_b32 s15, exec_lo
	s_delay_alu instid0(VALU_DEP_2)
	v_cmpx_ne_u32_e32 0x80, v5
	s_cbranch_execz .LBB349_1765
; %bb.1760:                             ;   in Loop: Header=BB349_941 Depth=1
	v_bfe_u32 v8, v18, 24, 7
	v_mov_b32_e32 v7, 0x7f800001
	s_mov_b32 s16, exec_lo
	s_delay_alu instid0(VALU_DEP_2)
	v_cmpx_ne_u32_e32 0x7f, v8
	s_cbranch_execz .LBB349_1764
; %bb.1761:                             ;   in Loop: Header=BB349_941 Depth=1
	v_dual_lshrrev_b32 v7, 3, v8 :: v_dual_bitop2_b32 v26, 7, v5 bitop3:0x40
	s_mov_b32 s17, exec_lo
	v_cmpx_gt_u32_e32 8, v8
; %bb.1762:                             ;   in Loop: Header=BB349_941 Depth=1
	s_delay_alu instid0(VALU_DEP_2) | instskip(NEXT) | instid1(VALU_DEP_1)
	v_clz_i32_u32_e32 v7, v26
	v_min_u32_e32 v7, 32, v7
	s_delay_alu instid0(VALU_DEP_1) | instskip(NEXT) | instid1(VALU_DEP_1)
	v_subrev_nc_u32_e32 v8, 28, v7
	v_lshlrev_b64_e32 v[8:9], v8, v[26:27]
	s_delay_alu instid0(VALU_DEP_1)
	v_dual_sub_nc_u32 v7, 29, v7 :: v_dual_bitop2_b32 v26, 7, v8 bitop3:0x40
; %bb.1763:                             ;   in Loop: Header=BB349_941 Depth=1
	s_or_b32 exec_lo, exec_lo, s17
	s_delay_alu instid0(VALU_DEP_1) | instskip(NEXT) | instid1(VALU_DEP_2)
	v_dual_lshlrev_b32 v5, 24, v5 :: v_dual_lshlrev_b32 v8, 20, v26
	v_lshl_add_u32 v7, v7, 23, 0x3c000000
	s_delay_alu instid0(VALU_DEP_2) | instskip(NEXT) | instid1(VALU_DEP_1)
	v_and_b32_e32 v5, 0x80000000, v5
	v_or3_b32 v7, v8, v5, v7
.LBB349_1764:                           ;   in Loop: Header=BB349_941 Depth=1
	s_or_b32 exec_lo, exec_lo, s16
.LBB349_1765:                           ;   in Loop: Header=BB349_941 Depth=1
	s_delay_alu instid0(SALU_CYCLE_1)
	s_or_b32 exec_lo, exec_lo, s15
.LBB349_1766:                           ;   in Loop: Header=BB349_941 Depth=1
	s_delay_alu instid0(SALU_CYCLE_1) | instskip(SKIP_4) | instid1(VALU_DEP_3)
	s_or_b32 exec_lo, exec_lo, s14
	v_and_b32_e32 v9, 0xff, v19
	v_dual_mov_b32 v26, v19 :: v_dual_mov_b32 v5, 0
	v_mov_b32_e32 v8, 0
	s_mov_b32 s14, exec_lo
	v_cmpx_ne_u16_e32 0, v9
	s_cbranch_execz .LBB349_1774
; %bb.1767:                             ;   in Loop: Header=BB349_941 Depth=1
	v_bfrev_b32_e32 v8, 1
	s_mov_b32 s15, exec_lo
	v_cmpx_ne_u16_e32 0x80, v9
	s_cbranch_execz .LBB349_1773
; %bb.1768:                             ;   in Loop: Header=BB349_941 Depth=1
	v_and_b32_e32 v9, 0x7f, v19
	v_mov_b32_e32 v8, 0x7f800001
	s_mov_b32 s16, exec_lo
	s_delay_alu instid0(VALU_DEP_2)
	v_cmpx_ne_u32_e32 0x7f, v9
	s_cbranch_execz .LBB349_1772
; %bb.1769:                             ;   in Loop: Header=BB349_941 Depth=1
	v_mov_b64_e32 v[22:23], v[26:27]
	v_lshrrev_b32_e32 v8, 3, v9
	s_mov_b32 s17, exec_lo
	v_cmpx_gt_u32_e32 8, v9
; %bb.1770:                             ;   in Loop: Header=BB349_941 Depth=1
	v_and_b32_e32 v8, 7, v19
	s_delay_alu instid0(VALU_DEP_1) | instskip(NEXT) | instid1(VALU_DEP_1)
	v_clz_i32_u32_e32 v8, v8
	v_min_u32_e32 v8, 32, v8
	s_delay_alu instid0(VALU_DEP_1) | instskip(SKIP_1) | instid1(VALU_DEP_2)
	v_subrev_nc_u32_e32 v9, 28, v8
	v_sub_nc_u32_e32 v8, 29, v8
	v_lshlrev_b64_e32 v[22:23], v9, v[26:27]
; %bb.1771:                             ;   in Loop: Header=BB349_941 Depth=1
	s_or_b32 exec_lo, exec_lo, s17
	s_delay_alu instid0(VALU_DEP_1) | instskip(SKIP_2) | instid1(VALU_DEP_3)
	v_lshlrev_b32_e32 v9, 20, v22
	v_lshlrev_b32_e32 v22, 24, v26
	v_lshl_add_u32 v8, v8, 23, 0x3c000000
	v_and_b32_e32 v9, 0x700000, v9
	s_delay_alu instid0(VALU_DEP_3) | instskip(NEXT) | instid1(VALU_DEP_1)
	v_and_b32_e32 v22, 0x80000000, v22
	v_or3_b32 v8, v9, v22, v8
.LBB349_1772:                           ;   in Loop: Header=BB349_941 Depth=1
	s_or_b32 exec_lo, exec_lo, s16
.LBB349_1773:                           ;   in Loop: Header=BB349_941 Depth=1
	s_delay_alu instid0(SALU_CYCLE_1)
	s_or_b32 exec_lo, exec_lo, s15
.LBB349_1774:                           ;   in Loop: Header=BB349_941 Depth=1
	s_delay_alu instid0(SALU_CYCLE_1) | instskip(SKIP_2) | instid1(VALU_DEP_1)
	s_or_b32 exec_lo, exec_lo, s14
	v_lshrrev_b16 v9, 8, v26
	s_mov_b32 s14, exec_lo
	v_cmpx_ne_u16_e32 0, v9
	s_cbranch_execz .LBB349_1782
; %bb.1775:                             ;   in Loop: Header=BB349_941 Depth=1
	v_bfrev_b32_e32 v5, 1
	s_mov_b32 s15, exec_lo
	v_cmpx_ne_u16_e32 0x80, v9
	s_cbranch_execz .LBB349_1781
; %bb.1776:                             ;   in Loop: Header=BB349_941 Depth=1
	v_and_b32_e32 v22, 0xffff, v9
	v_mov_b32_e32 v5, 0x7f800001
	s_mov_b32 s16, exec_lo
	s_delay_alu instid0(VALU_DEP_2) | instskip(NEXT) | instid1(VALU_DEP_1)
	v_and_b32_e32 v9, 0x7f, v22
	v_cmpx_ne_u32_e32 0x7f, v9
	s_cbranch_execz .LBB349_1780
; %bb.1777:                             ;   in Loop: Header=BB349_941 Depth=1
	v_dual_mov_b32 v23, v27 :: v_dual_bitop2_b32 v22, 7, v22 bitop3:0x40
	v_lshrrev_b32_e32 v5, 3, v9
	s_mov_b32 s17, exec_lo
	v_cmpx_gt_u32_e32 8, v9
; %bb.1778:                             ;   in Loop: Header=BB349_941 Depth=1
	s_delay_alu instid0(VALU_DEP_3) | instskip(NEXT) | instid1(VALU_DEP_1)
	v_clz_i32_u32_e32 v5, v22
	v_min_u32_e32 v5, 32, v5
	s_delay_alu instid0(VALU_DEP_1) | instskip(NEXT) | instid1(VALU_DEP_1)
	v_subrev_nc_u32_e32 v9, 28, v5
	v_lshlrev_b64_e32 v[22:23], v9, v[22:23]
	s_delay_alu instid0(VALU_DEP_1)
	v_dual_sub_nc_u32 v5, 29, v5 :: v_dual_bitop2_b32 v22, 7, v22 bitop3:0x40
; %bb.1779:                             ;   in Loop: Header=BB349_941 Depth=1
	s_or_b32 exec_lo, exec_lo, s17
	v_lshlrev_b32_e32 v9, 16, v26
	s_delay_alu instid0(VALU_DEP_2) | instskip(NEXT) | instid1(VALU_DEP_3)
	v_lshlrev_b32_e32 v22, 20, v22
	v_lshl_add_u32 v5, v5, 23, 0x3c000000
	s_delay_alu instid0(VALU_DEP_3) | instskip(NEXT) | instid1(VALU_DEP_1)
	v_and_b32_e32 v9, 0x80000000, v9
	v_or3_b32 v5, v22, v9, v5
.LBB349_1780:                           ;   in Loop: Header=BB349_941 Depth=1
	s_or_b32 exec_lo, exec_lo, s16
.LBB349_1781:                           ;   in Loop: Header=BB349_941 Depth=1
	s_delay_alu instid0(SALU_CYCLE_1)
	s_or_b32 exec_lo, exec_lo, s15
.LBB349_1782:                           ;   in Loop: Header=BB349_941 Depth=1
	s_delay_alu instid0(SALU_CYCLE_1) | instskip(SKIP_3) | instid1(VALU_DEP_2)
	s_or_b32 exec_lo, exec_lo, s14
	v_dual_mov_b32 v22, 0 :: v_dual_lshrrev_b32 v23, 16, v19
	v_mov_b32_e32 v9, 0
	s_mov_b32 s14, exec_lo
	v_and_b32_e32 v26, 0xff, v23
	s_delay_alu instid0(VALU_DEP_1)
	v_cmpx_ne_u16_e32 0, v26
	s_cbranch_execz .LBB349_1790
; %bb.1783:                             ;   in Loop: Header=BB349_941 Depth=1
	v_bfrev_b32_e32 v9, 1
	s_mov_b32 s15, exec_lo
	v_cmpx_ne_u16_e32 0x80, v26
	s_cbranch_execz .LBB349_1789
; %bb.1784:                             ;   in Loop: Header=BB349_941 Depth=1
	v_bfe_u32 v38, v19, 16, 7
	v_mov_b32_e32 v9, 0x7f800001
	s_mov_b32 s16, exec_lo
	s_delay_alu instid0(VALU_DEP_2)
	v_cmpx_ne_u32_e32 0x7f, v38
	s_cbranch_execz .LBB349_1788
; %bb.1785:                             ;   in Loop: Header=BB349_941 Depth=1
	v_dual_lshrrev_b32 v9, 3, v38 :: v_dual_bitop2_b32 v26, 7, v23 bitop3:0x40
	s_mov_b32 s17, exec_lo
	v_cmpx_gt_u32_e32 8, v38
; %bb.1786:                             ;   in Loop: Header=BB349_941 Depth=1
	s_delay_alu instid0(VALU_DEP_2) | instskip(NEXT) | instid1(VALU_DEP_1)
	v_clz_i32_u32_e32 v9, v26
	v_min_u32_e32 v9, 32, v9
	s_delay_alu instid0(VALU_DEP_1) | instskip(NEXT) | instid1(VALU_DEP_1)
	v_subrev_nc_u32_e32 v24, 28, v9
	v_lshlrev_b64_e32 v[114:115], v24, v[26:27]
	s_delay_alu instid0(VALU_DEP_1)
	v_dual_sub_nc_u32 v9, 29, v9 :: v_dual_bitop2_b32 v26, 7, v114 bitop3:0x40
; %bb.1787:                             ;   in Loop: Header=BB349_941 Depth=1
	s_or_b32 exec_lo, exec_lo, s17
	s_delay_alu instid0(VALU_DEP_1) | instskip(NEXT) | instid1(VALU_DEP_2)
	v_dual_lshlrev_b32 v23, 24, v23 :: v_dual_lshlrev_b32 v24, 20, v26
	v_lshl_add_u32 v9, v9, 23, 0x3c000000
	s_delay_alu instid0(VALU_DEP_2) | instskip(NEXT) | instid1(VALU_DEP_1)
	v_and_b32_e32 v23, 0x80000000, v23
	v_or3_b32 v9, v24, v23, v9
.LBB349_1788:                           ;   in Loop: Header=BB349_941 Depth=1
	s_or_b32 exec_lo, exec_lo, s16
.LBB349_1789:                           ;   in Loop: Header=BB349_941 Depth=1
	s_delay_alu instid0(SALU_CYCLE_1)
	s_or_b32 exec_lo, exec_lo, s15
.LBB349_1790:                           ;   in Loop: Header=BB349_941 Depth=1
	s_delay_alu instid0(SALU_CYCLE_1) | instskip(NEXT) | instid1(SALU_CYCLE_1)
	s_or_b32 exec_lo, exec_lo, s14
	s_mov_b32 s14, exec_lo
	v_cmpx_lt_u64_e64 s[2:3], v[18:19]
	s_cbranch_execz .LBB349_1798
; %bb.1791:                             ;   in Loop: Header=BB349_941 Depth=1
	v_lshrrev_b32_e32 v18, 24, v19
	v_bfrev_b32_e32 v22, 1
	s_mov_b32 s15, exec_lo
	s_delay_alu instid0(VALU_DEP_2)
	v_cmpx_ne_u32_e32 0x80, v18
	s_cbranch_execz .LBB349_1797
; %bb.1792:                             ;   in Loop: Header=BB349_941 Depth=1
	v_bfe_u32 v23, v19, 24, 7
	v_mov_b32_e32 v22, 0x7f800001
	s_mov_b32 s16, exec_lo
	s_delay_alu instid0(VALU_DEP_2)
	v_cmpx_ne_u32_e32 0x7f, v23
	s_cbranch_execz .LBB349_1796
; %bb.1793:                             ;   in Loop: Header=BB349_941 Depth=1
	v_dual_lshrrev_b32 v19, 3, v23 :: v_dual_bitop2_b32 v26, 7, v18 bitop3:0x40
	s_mov_b32 s17, exec_lo
	v_cmpx_gt_u32_e32 8, v23
; %bb.1794:                             ;   in Loop: Header=BB349_941 Depth=1
	s_delay_alu instid0(VALU_DEP_2) | instskip(NEXT) | instid1(VALU_DEP_1)
	v_clz_i32_u32_e32 v19, v26
	v_min_u32_e32 v19, 32, v19
	s_delay_alu instid0(VALU_DEP_1) | instskip(NEXT) | instid1(VALU_DEP_1)
	v_subrev_nc_u32_e32 v22, 28, v19
	v_lshlrev_b64_e32 v[22:23], v22, v[26:27]
	s_delay_alu instid0(VALU_DEP_1)
	v_dual_sub_nc_u32 v19, 29, v19 :: v_dual_bitop2_b32 v26, 7, v22 bitop3:0x40
; %bb.1795:                             ;   in Loop: Header=BB349_941 Depth=1
	s_or_b32 exec_lo, exec_lo, s17
	v_lshlrev_b32_e32 v18, 24, v18
	s_delay_alu instid0(VALU_DEP_2) | instskip(NEXT) | instid1(VALU_DEP_3)
	v_lshlrev_b32_e32 v22, 20, v26
	v_lshl_add_u32 v19, v19, 23, 0x3c000000
	s_delay_alu instid0(VALU_DEP_3) | instskip(NEXT) | instid1(VALU_DEP_1)
	v_and_b32_e32 v18, 0x80000000, v18
	v_or3_b32 v22, v22, v18, v19
.LBB349_1796:                           ;   in Loop: Header=BB349_941 Depth=1
	s_or_b32 exec_lo, exec_lo, s16
.LBB349_1797:                           ;   in Loop: Header=BB349_941 Depth=1
	s_delay_alu instid0(SALU_CYCLE_1)
	s_or_b32 exec_lo, exec_lo, s15
.LBB349_1798:                           ;   in Loop: Header=BB349_941 Depth=1
	s_delay_alu instid0(SALU_CYCLE_1)
	s_or_b32 exec_lo, exec_lo, s14
	v_fma_mixlo_bf16 v5, v96, v5, 0
	v_fma_mixlo_bf16 v8, v96, v8, 0
	;; [unrolled: 1-line block ×8, first 2 shown]
	s_and_saveexec_b32 s14, vcc_lo
	s_cbranch_execz .LBB349_1800
; %bb.1799:                             ;   in Loop: Header=BB349_941 Depth=1
	v_cmp_lt_i32_e64 s0, v100, v126
	s_delay_alu instid0(VALU_DEP_1) | instskip(SKIP_1) | instid1(VALU_DEP_1)
	v_cndmask_b32_e64 v117, 0, v117, s0
	v_cmp_lt_i32_e64 s0, v112, v126
	v_cndmask_b32_e64 v116, 0, v116, s0
	v_cmp_lt_i32_e64 s0, v103, v126
	s_delay_alu instid0(VALU_DEP_1) | instskip(SKIP_1) | instid1(VALU_DEP_1)
	v_cndmask_b32_e64 v115, 0, v115, s0
	v_cmp_lt_i32_e64 s0, v102, v126
	v_cndmask_b32_e64 v114, 0, v114, s0
	v_cmp_lt_i32_e64 s0, v101, v126
	s_delay_alu instid0(VALU_DEP_1) | instskip(SKIP_1) | instid1(VALU_DEP_1)
	v_cndmask_b32_e64 v8, 0, v8, s0
	v_cmp_lt_i32_e64 s0, v99, v126
	v_cndmask_b32_e64 v5, 0, v5, s0
	v_cmp_lt_i32_e64 s0, v98, v126
	s_delay_alu instid0(VALU_DEP_1) | instskip(SKIP_1) | instid1(VALU_DEP_1)
	v_cndmask_b32_e64 v9, 0, v9, s0
	v_cmp_lt_i32_e64 s0, v97, v126
	v_cndmask_b32_e64 v113, 0, v113, s0
.LBB349_1800:                           ;   in Loop: Header=BB349_941 Depth=1
	s_or_b32 exec_lo, exec_lo, s14
	flat_load_b64 v[0:1], v[0:1] offset:3328
	v_dual_mov_b32 v3, 0 :: v_dual_mov_b32 v2, 0
	s_mov_b32 s14, exec_lo
	s_wait_loadcnt_dscnt 0x0
	v_and_b32_e32 v6, 0xff, v0
	s_wait_xcnt 0x0
	s_delay_alu instid0(VALU_DEP_1)
	v_cmpx_ne_u16_e32 0, v6
	s_cbranch_execz .LBB349_1808
; %bb.1801:                             ;   in Loop: Header=BB349_941 Depth=1
	v_bfrev_b32_e32 v2, 1
	s_mov_b32 s15, exec_lo
	v_cmpx_ne_u16_e32 0x80, v6
	s_cbranch_execz .LBB349_1807
; %bb.1802:                             ;   in Loop: Header=BB349_941 Depth=1
	v_and_b32_e32 v6, 0x7f, v0
	v_mov_b32_e32 v2, 0x7f800001
	s_mov_b32 s16, exec_lo
	s_delay_alu instid0(VALU_DEP_2)
	v_cmpx_ne_u32_e32 0x7f, v6
	s_cbranch_execz .LBB349_1806
; %bb.1803:                             ;   in Loop: Header=BB349_941 Depth=1
	v_mov_b64_e32 v[18:19], v[0:1]
	v_lshrrev_b32_e32 v2, 3, v6
	s_mov_b32 s17, exec_lo
	v_cmpx_gt_u32_e32 8, v6
; %bb.1804:                             ;   in Loop: Header=BB349_941 Depth=1
	v_and_b32_e32 v2, 7, v0
	s_delay_alu instid0(VALU_DEP_1) | instskip(NEXT) | instid1(VALU_DEP_1)
	v_clz_i32_u32_e32 v2, v2
	v_min_u32_e32 v2, 32, v2
	s_delay_alu instid0(VALU_DEP_1) | instskip(SKIP_1) | instid1(VALU_DEP_2)
	v_subrev_nc_u32_e32 v6, 28, v2
	v_sub_nc_u32_e32 v2, 29, v2
	v_lshlrev_b64_e32 v[18:19], v6, v[0:1]
; %bb.1805:                             ;   in Loop: Header=BB349_941 Depth=1
	s_or_b32 exec_lo, exec_lo, s17
	s_delay_alu instid0(VALU_DEP_1) | instskip(NEXT) | instid1(VALU_DEP_3)
	v_dual_lshlrev_b32 v6, 20, v18 :: v_dual_lshlrev_b32 v7, 24, v0
	v_lshl_add_u32 v2, v2, 23, 0x3c000000
	s_delay_alu instid0(VALU_DEP_2) | instskip(NEXT) | instid1(VALU_DEP_3)
	v_and_b32_e32 v6, 0x700000, v6
	v_and_b32_e32 v7, 0x80000000, v7
	s_delay_alu instid0(VALU_DEP_1)
	v_or3_b32 v2, v6, v7, v2
.LBB349_1806:                           ;   in Loop: Header=BB349_941 Depth=1
	s_or_b32 exec_lo, exec_lo, s16
.LBB349_1807:                           ;   in Loop: Header=BB349_941 Depth=1
	s_delay_alu instid0(SALU_CYCLE_1)
	s_or_b32 exec_lo, exec_lo, s15
.LBB349_1808:                           ;   in Loop: Header=BB349_941 Depth=1
	s_delay_alu instid0(SALU_CYCLE_1) | instskip(SKIP_2) | instid1(VALU_DEP_1)
	s_or_b32 exec_lo, exec_lo, s14
	v_lshrrev_b16 v6, 8, v0
	s_mov_b32 s14, exec_lo
	v_cmpx_ne_u16_e32 0, v6
	s_cbranch_execz .LBB349_1816
; %bb.1809:                             ;   in Loop: Header=BB349_941 Depth=1
	v_bfrev_b32_e32 v3, 1
	s_mov_b32 s15, exec_lo
	v_cmpx_ne_u16_e32 0x80, v6
	s_cbranch_execz .LBB349_1815
; %bb.1810:                             ;   in Loop: Header=BB349_941 Depth=1
	v_and_b32_e32 v7, 0xffff, v6
	v_mov_b32_e32 v3, 0x7f800001
	s_mov_b32 s16, exec_lo
	s_delay_alu instid0(VALU_DEP_2) | instskip(NEXT) | instid1(VALU_DEP_1)
	v_and_b32_e32 v6, 0x7f, v7
	v_cmpx_ne_u32_e32 0x7f, v6
	s_cbranch_execz .LBB349_1814
; %bb.1811:                             ;   in Loop: Header=BB349_941 Depth=1
	v_dual_lshrrev_b32 v3, 3, v6 :: v_dual_bitop2_b32 v26, 7, v7 bitop3:0x40
	s_mov_b32 s17, exec_lo
	v_cmpx_gt_u32_e32 8, v6
; %bb.1812:                             ;   in Loop: Header=BB349_941 Depth=1
	s_delay_alu instid0(VALU_DEP_2) | instskip(NEXT) | instid1(VALU_DEP_1)
	v_clz_i32_u32_e32 v3, v26
	v_min_u32_e32 v3, 32, v3
	s_delay_alu instid0(VALU_DEP_1) | instskip(NEXT) | instid1(VALU_DEP_1)
	v_subrev_nc_u32_e32 v6, 28, v3
	v_lshlrev_b64_e32 v[6:7], v6, v[26:27]
	s_delay_alu instid0(VALU_DEP_1)
	v_dual_sub_nc_u32 v3, 29, v3 :: v_dual_bitop2_b32 v26, 7, v6 bitop3:0x40
; %bb.1813:                             ;   in Loop: Header=BB349_941 Depth=1
	s_or_b32 exec_lo, exec_lo, s17
	s_delay_alu instid0(VALU_DEP_1) | instskip(NEXT) | instid1(VALU_DEP_2)
	v_dual_lshlrev_b32 v6, 16, v0 :: v_dual_lshlrev_b32 v7, 20, v26
	v_lshl_add_u32 v3, v3, 23, 0x3c000000
	s_delay_alu instid0(VALU_DEP_2) | instskip(NEXT) | instid1(VALU_DEP_1)
	v_and_b32_e32 v6, 0x80000000, v6
	v_or3_b32 v3, v7, v6, v3
.LBB349_1814:                           ;   in Loop: Header=BB349_941 Depth=1
	s_or_b32 exec_lo, exec_lo, s16
.LBB349_1815:                           ;   in Loop: Header=BB349_941 Depth=1
	s_delay_alu instid0(SALU_CYCLE_1)
	s_or_b32 exec_lo, exec_lo, s15
.LBB349_1816:                           ;   in Loop: Header=BB349_941 Depth=1
	s_delay_alu instid0(SALU_CYCLE_1) | instskip(SKIP_3) | instid1(VALU_DEP_2)
	s_or_b32 exec_lo, exec_lo, s14
	v_dual_mov_b32 v7, 0 :: v_dual_lshrrev_b32 v18, 16, v0
	v_mov_b32_e32 v6, 0
	s_mov_b32 s14, exec_lo
	v_and_b32_e32 v19, 0xff, v18
	s_delay_alu instid0(VALU_DEP_1)
	v_cmpx_ne_u16_e32 0, v19
	s_cbranch_execz .LBB349_1824
; %bb.1817:                             ;   in Loop: Header=BB349_941 Depth=1
	v_bfrev_b32_e32 v6, 1
	s_mov_b32 s15, exec_lo
	v_cmpx_ne_u16_e32 0x80, v19
	s_cbranch_execz .LBB349_1823
; %bb.1818:                             ;   in Loop: Header=BB349_941 Depth=1
	v_bfe_u32 v19, v0, 16, 7
	v_mov_b32_e32 v6, 0x7f800001
	s_mov_b32 s16, exec_lo
	s_delay_alu instid0(VALU_DEP_2)
	v_cmpx_ne_u32_e32 0x7f, v19
	s_cbranch_execz .LBB349_1822
; %bb.1819:                             ;   in Loop: Header=BB349_941 Depth=1
	v_dual_lshrrev_b32 v6, 3, v19 :: v_dual_bitop2_b32 v26, 7, v18 bitop3:0x40
	s_mov_b32 s17, exec_lo
	v_cmpx_gt_u32_e32 8, v19
; %bb.1820:                             ;   in Loop: Header=BB349_941 Depth=1
	s_delay_alu instid0(VALU_DEP_2) | instskip(NEXT) | instid1(VALU_DEP_1)
	v_clz_i32_u32_e32 v6, v26
	v_min_u32_e32 v6, 32, v6
	s_delay_alu instid0(VALU_DEP_1) | instskip(SKIP_1) | instid1(VALU_DEP_2)
	v_subrev_nc_u32_e32 v19, 28, v6
	v_sub_nc_u32_e32 v6, 29, v6
	v_lshlrev_b64_e32 v[22:23], v19, v[26:27]
	s_delay_alu instid0(VALU_DEP_1)
	v_and_b32_e32 v26, 7, v22
; %bb.1821:                             ;   in Loop: Header=BB349_941 Depth=1
	s_or_b32 exec_lo, exec_lo, s17
	v_lshlrev_b32_e32 v18, 24, v18
	s_delay_alu instid0(VALU_DEP_2) | instskip(SKIP_1) | instid1(VALU_DEP_3)
	v_lshlrev_b32_e32 v19, 20, v26
	v_lshl_add_u32 v6, v6, 23, 0x3c000000
	v_and_b32_e32 v18, 0x80000000, v18
	s_delay_alu instid0(VALU_DEP_1)
	v_or3_b32 v6, v19, v18, v6
.LBB349_1822:                           ;   in Loop: Header=BB349_941 Depth=1
	s_or_b32 exec_lo, exec_lo, s16
.LBB349_1823:                           ;   in Loop: Header=BB349_941 Depth=1
	s_delay_alu instid0(SALU_CYCLE_1)
	s_or_b32 exec_lo, exec_lo, s15
.LBB349_1824:                           ;   in Loop: Header=BB349_941 Depth=1
	s_delay_alu instid0(SALU_CYCLE_1) | instskip(NEXT) | instid1(SALU_CYCLE_1)
	s_or_b32 exec_lo, exec_lo, s14
	s_mov_b32 s14, exec_lo
	v_cmpx_lt_u32_e32 0xffffff, v0
	s_cbranch_execz .LBB349_1832
; %bb.1825:                             ;   in Loop: Header=BB349_941 Depth=1
	v_lshrrev_b32_e32 v18, 24, v0
	v_bfrev_b32_e32 v7, 1
	s_mov_b32 s15, exec_lo
	s_delay_alu instid0(VALU_DEP_2)
	v_cmpx_ne_u32_e32 0x80, v18
	s_cbranch_execz .LBB349_1831
; %bb.1826:                             ;   in Loop: Header=BB349_941 Depth=1
	v_bfe_u32 v19, v0, 24, 7
	v_mov_b32_e32 v7, 0x7f800001
	s_mov_b32 s16, exec_lo
	s_delay_alu instid0(VALU_DEP_2)
	v_cmpx_ne_u32_e32 0x7f, v19
	s_cbranch_execz .LBB349_1830
; %bb.1827:                             ;   in Loop: Header=BB349_941 Depth=1
	v_dual_lshrrev_b32 v7, 3, v19 :: v_dual_bitop2_b32 v26, 7, v18 bitop3:0x40
	s_mov_b32 s17, exec_lo
	v_cmpx_gt_u32_e32 8, v19
; %bb.1828:                             ;   in Loop: Header=BB349_941 Depth=1
	s_delay_alu instid0(VALU_DEP_2) | instskip(NEXT) | instid1(VALU_DEP_1)
	v_clz_i32_u32_e32 v7, v26
	v_min_u32_e32 v7, 32, v7
	s_delay_alu instid0(VALU_DEP_1) | instskip(NEXT) | instid1(VALU_DEP_1)
	v_subrev_nc_u32_e32 v19, 28, v7
	v_lshlrev_b64_e32 v[22:23], v19, v[26:27]
	s_delay_alu instid0(VALU_DEP_1)
	v_dual_sub_nc_u32 v7, 29, v7 :: v_dual_bitop2_b32 v26, 7, v22 bitop3:0x40
; %bb.1829:                             ;   in Loop: Header=BB349_941 Depth=1
	s_or_b32 exec_lo, exec_lo, s17
	v_lshlrev_b32_e32 v18, 24, v18
	s_delay_alu instid0(VALU_DEP_2) | instskip(NEXT) | instid1(VALU_DEP_3)
	v_lshlrev_b32_e32 v19, 20, v26
	v_lshl_add_u32 v7, v7, 23, 0x3c000000
	s_delay_alu instid0(VALU_DEP_3) | instskip(NEXT) | instid1(VALU_DEP_1)
	v_and_b32_e32 v18, 0x80000000, v18
	v_or3_b32 v7, v19, v18, v7
.LBB349_1830:                           ;   in Loop: Header=BB349_941 Depth=1
	s_or_b32 exec_lo, exec_lo, s16
.LBB349_1831:                           ;   in Loop: Header=BB349_941 Depth=1
	s_delay_alu instid0(SALU_CYCLE_1)
	s_or_b32 exec_lo, exec_lo, s15
.LBB349_1832:                           ;   in Loop: Header=BB349_941 Depth=1
	s_delay_alu instid0(SALU_CYCLE_1) | instskip(SKIP_4) | instid1(VALU_DEP_3)
	s_or_b32 exec_lo, exec_lo, s14
	v_and_b32_e32 v18, 0xff, v1
	v_dual_mov_b32 v26, v1 :: v_dual_mov_b32 v23, 0
	v_mov_b32_e32 v22, 0
	s_mov_b32 s14, exec_lo
	v_cmpx_ne_u16_e32 0, v18
	s_cbranch_execz .LBB349_1840
; %bb.1833:                             ;   in Loop: Header=BB349_941 Depth=1
	v_bfrev_b32_e32 v22, 1
	s_mov_b32 s15, exec_lo
	v_cmpx_ne_u16_e32 0x80, v18
	s_cbranch_execz .LBB349_1839
; %bb.1834:                             ;   in Loop: Header=BB349_941 Depth=1
	v_and_b32_e32 v18, 0x7f, v1
	v_mov_b32_e32 v22, 0x7f800001
	s_mov_b32 s16, exec_lo
	s_delay_alu instid0(VALU_DEP_2)
	v_cmpx_ne_u32_e32 0x7f, v18
	s_cbranch_execz .LBB349_1838
; %bb.1835:                             ;   in Loop: Header=BB349_941 Depth=1
	v_lshrrev_b32_e32 v22, 3, v18
	v_cmp_gt_u32_e64 s0, 8, v18
	v_mov_b64_e32 v[18:19], v[26:27]
	s_and_saveexec_b32 s17, s0
; %bb.1836:                             ;   in Loop: Header=BB349_941 Depth=1
	v_and_b32_e32 v18, 7, v1
	s_delay_alu instid0(VALU_DEP_1) | instskip(NEXT) | instid1(VALU_DEP_1)
	v_clz_i32_u32_e32 v18, v18
	v_min_u32_e32 v22, 32, v18
	s_delay_alu instid0(VALU_DEP_1) | instskip(SKIP_1) | instid1(VALU_DEP_2)
	v_subrev_nc_u32_e32 v18, 28, v22
	v_sub_nc_u32_e32 v22, 29, v22
	v_lshlrev_b64_e32 v[18:19], v18, v[26:27]
; %bb.1837:                             ;   in Loop: Header=BB349_941 Depth=1
	s_or_b32 exec_lo, exec_lo, s17
	s_delay_alu instid0(VALU_DEP_1) | instskip(SKIP_2) | instid1(VALU_DEP_3)
	v_lshlrev_b32_e32 v18, 20, v18
	v_lshlrev_b32_e32 v19, 24, v26
	v_lshl_add_u32 v22, v22, 23, 0x3c000000
	v_and_b32_e32 v18, 0x700000, v18
	s_delay_alu instid0(VALU_DEP_3) | instskip(NEXT) | instid1(VALU_DEP_1)
	v_and_b32_e32 v19, 0x80000000, v19
	v_or3_b32 v22, v18, v19, v22
.LBB349_1838:                           ;   in Loop: Header=BB349_941 Depth=1
	s_or_b32 exec_lo, exec_lo, s16
.LBB349_1839:                           ;   in Loop: Header=BB349_941 Depth=1
	s_delay_alu instid0(SALU_CYCLE_1)
	s_or_b32 exec_lo, exec_lo, s15
.LBB349_1840:                           ;   in Loop: Header=BB349_941 Depth=1
	s_delay_alu instid0(SALU_CYCLE_1) | instskip(SKIP_2) | instid1(VALU_DEP_1)
	s_or_b32 exec_lo, exec_lo, s14
	v_lshrrev_b16 v18, 8, v26
	s_mov_b32 s14, exec_lo
	v_cmpx_ne_u16_e32 0, v18
	s_cbranch_execz .LBB349_1848
; %bb.1841:                             ;   in Loop: Header=BB349_941 Depth=1
	v_bfrev_b32_e32 v23, 1
	s_mov_b32 s15, exec_lo
	v_cmpx_ne_u16_e32 0x80, v18
	s_cbranch_execz .LBB349_1847
; %bb.1842:                             ;   in Loop: Header=BB349_941 Depth=1
	v_and_b32_e32 v18, 0xffff, v18
	v_mov_b32_e32 v23, 0x7f800001
	s_mov_b32 s16, exec_lo
	s_delay_alu instid0(VALU_DEP_2) | instskip(NEXT) | instid1(VALU_DEP_1)
	v_and_b32_e32 v38, 0x7f, v18
	v_cmpx_ne_u32_e32 0x7f, v38
	s_cbranch_execz .LBB349_1846
; %bb.1843:                             ;   in Loop: Header=BB349_941 Depth=1
	v_dual_mov_b32 v19, v27 :: v_dual_bitop2_b32 v18, 7, v18 bitop3:0x40
	v_lshrrev_b32_e32 v23, 3, v38
	s_mov_b32 s17, exec_lo
	v_cmpx_gt_u32_e32 8, v38
; %bb.1844:                             ;   in Loop: Header=BB349_941 Depth=1
	s_delay_alu instid0(VALU_DEP_3) | instskip(NEXT) | instid1(VALU_DEP_1)
	v_clz_i32_u32_e32 v23, v18
	v_min_u32_e32 v23, 32, v23
	s_delay_alu instid0(VALU_DEP_1) | instskip(NEXT) | instid1(VALU_DEP_1)
	v_subrev_nc_u32_e32 v24, 28, v23
	v_lshlrev_b64_e32 v[18:19], v24, v[18:19]
	s_delay_alu instid0(VALU_DEP_1)
	v_dual_sub_nc_u32 v23, 29, v23 :: v_dual_bitop2_b32 v18, 7, v18 bitop3:0x40
; %bb.1845:                             ;   in Loop: Header=BB349_941 Depth=1
	s_or_b32 exec_lo, exec_lo, s17
	v_lshlrev_b32_e32 v19, 16, v26
	s_delay_alu instid0(VALU_DEP_2) | instskip(NEXT) | instid1(VALU_DEP_3)
	v_lshlrev_b32_e32 v18, 20, v18
	v_lshl_add_u32 v23, v23, 23, 0x3c000000
	s_delay_alu instid0(VALU_DEP_3) | instskip(NEXT) | instid1(VALU_DEP_1)
	v_and_b32_e32 v19, 0x80000000, v19
	v_or3_b32 v23, v18, v19, v23
.LBB349_1846:                           ;   in Loop: Header=BB349_941 Depth=1
	s_or_b32 exec_lo, exec_lo, s16
.LBB349_1847:                           ;   in Loop: Header=BB349_941 Depth=1
	s_delay_alu instid0(SALU_CYCLE_1)
	s_or_b32 exec_lo, exec_lo, s15
.LBB349_1848:                           ;   in Loop: Header=BB349_941 Depth=1
	s_delay_alu instid0(SALU_CYCLE_1) | instskip(SKIP_3) | instid1(VALU_DEP_2)
	s_or_b32 exec_lo, exec_lo, s14
	v_dual_mov_b32 v18, 0 :: v_dual_lshrrev_b32 v19, 16, v1
	v_mov_b32_e32 v38, 0
	s_mov_b32 s14, exec_lo
	v_and_b32_e32 v26, 0xff, v19
	s_delay_alu instid0(VALU_DEP_1)
	v_cmpx_ne_u16_e32 0, v26
	s_cbranch_execz .LBB349_1856
; %bb.1849:                             ;   in Loop: Header=BB349_941 Depth=1
	v_bfrev_b32_e32 v38, 1
	s_mov_b32 s15, exec_lo
	v_cmpx_ne_u16_e32 0x80, v26
	s_cbranch_execz .LBB349_1855
; %bb.1850:                             ;   in Loop: Header=BB349_941 Depth=1
	v_bfe_u32 v80, v1, 16, 7
	v_mov_b32_e32 v38, 0x7f800001
	s_mov_b32 s16, exec_lo
	s_delay_alu instid0(VALU_DEP_2)
	v_cmpx_ne_u32_e32 0x7f, v80
	s_cbranch_execz .LBB349_1854
; %bb.1851:                             ;   in Loop: Header=BB349_941 Depth=1
	v_dual_lshrrev_b32 v38, 3, v80 :: v_dual_bitop2_b32 v26, 7, v19 bitop3:0x40
	s_mov_b32 s17, exec_lo
	v_cmpx_gt_u32_e32 8, v80
	s_cbranch_execz .LBB349_1853
; %bb.1852:                             ;   in Loop: Header=BB349_941 Depth=1
	s_delay_alu instid0(VALU_DEP_2) | instskip(SKIP_3) | instid1(VALU_DEP_4)
	v_clz_i32_u32_e32 v24, v26
	v_dual_mov_b32 v42, v118 :: v_dual_mov_b32 v80, v13
	v_mov_b64_e32 v[12:13], v[34:35]
	v_mov_b64_e32 v[34:35], v[32:33]
	v_min_u32_e32 v24, 32, v24
	v_mov_b64_e32 v[32:33], v[30:31]
	v_mov_b64_e32 v[30:31], v[28:29]
	;; [unrolled: 1-line block ×4, first 2 shown]
	v_subrev_nc_u32_e32 v38, 28, v24
	v_dual_mov_b32 v14, v72 :: v_dual_mov_b32 v72, v63
	v_dual_mov_b32 v63, v62 :: v_dual_mov_b32 v62, v61
	;; [unrolled: 1-line block ×7, first 2 shown]
	v_lshlrev_b64_e32 v[118:119], v38, v[26:27]
	s_delay_alu instid0(VALU_DEP_2) | instskip(NEXT) | instid1(VALU_DEP_3)
	v_dual_sub_nc_u32 v38, 29, v24 :: v_dual_mov_b32 v44, v45
	v_dual_mov_b32 v119, v15 :: v_dual_mov_b32 v45, v46
	s_delay_alu instid0(VALU_DEP_3)
	v_dual_mov_b32 v46, v47 :: v_dual_bitop2_b32 v26, 7, v118 bitop3:0x40
	v_dual_mov_b32 v47, v56 :: v_dual_mov_b32 v56, v57
	v_dual_mov_b32 v57, v58 :: v_dual_mov_b32 v58, v59
	;; [unrolled: 1-line block ×5, first 2 shown]
	v_mov_b64_e32 v[14:15], v[20:21]
	v_mov_b64_e32 v[20:21], v[28:29]
	;; [unrolled: 1-line block ×6, first 2 shown]
	v_dual_mov_b32 v13, v80 :: v_dual_mov_b32 v118, v42
.LBB349_1853:                           ;   in Loop: Header=BB349_941 Depth=1
	s_or_b32 exec_lo, exec_lo, s17
	v_dual_lshlrev_b32 v19, 24, v19 :: v_dual_lshlrev_b32 v24, 20, v26
	v_lshl_add_u32 v26, v38, 23, 0x3c000000
	s_delay_alu instid0(VALU_DEP_2) | instskip(NEXT) | instid1(VALU_DEP_1)
	v_and_b32_e32 v19, 0x80000000, v19
	v_or3_b32 v38, v24, v19, v26
.LBB349_1854:                           ;   in Loop: Header=BB349_941 Depth=1
	s_or_b32 exec_lo, exec_lo, s16
.LBB349_1855:                           ;   in Loop: Header=BB349_941 Depth=1
	s_delay_alu instid0(SALU_CYCLE_1)
	s_or_b32 exec_lo, exec_lo, s15
.LBB349_1856:                           ;   in Loop: Header=BB349_941 Depth=1
	s_delay_alu instid0(SALU_CYCLE_1) | instskip(NEXT) | instid1(SALU_CYCLE_1)
	s_or_b32 exec_lo, exec_lo, s14
	s_mov_b32 s14, exec_lo
	v_cmpx_lt_u64_e64 s[2:3], v[0:1]
	s_cbranch_execz .LBB349_1864
; %bb.1857:                             ;   in Loop: Header=BB349_941 Depth=1
	v_lshrrev_b32_e32 v0, 24, v1
	v_bfrev_b32_e32 v18, 1
	s_mov_b32 s15, exec_lo
	s_delay_alu instid0(VALU_DEP_2)
	v_cmpx_ne_u32_e32 0x80, v0
	s_cbranch_execz .LBB349_1863
; %bb.1858:                             ;   in Loop: Header=BB349_941 Depth=1
	v_bfe_u32 v19, v1, 24, 7
	v_mov_b32_e32 v18, 0x7f800001
	s_mov_b32 s16, exec_lo
	s_delay_alu instid0(VALU_DEP_2)
	v_cmpx_ne_u32_e32 0x7f, v19
	s_cbranch_execz .LBB349_1862
; %bb.1859:                             ;   in Loop: Header=BB349_941 Depth=1
	v_dual_lshrrev_b32 v1, 3, v19 :: v_dual_bitop2_b32 v26, 7, v0 bitop3:0x40
	s_mov_b32 s17, exec_lo
	v_cmpx_gt_u32_e32 8, v19
; %bb.1860:                             ;   in Loop: Header=BB349_941 Depth=1
	s_delay_alu instid0(VALU_DEP_2) | instskip(NEXT) | instid1(VALU_DEP_1)
	v_clz_i32_u32_e32 v1, v26
	v_min_u32_e32 v1, 32, v1
	s_delay_alu instid0(VALU_DEP_1) | instskip(NEXT) | instid1(VALU_DEP_1)
	v_subrev_nc_u32_e32 v18, 28, v1
	v_lshlrev_b64_e32 v[18:19], v18, v[26:27]
	s_delay_alu instid0(VALU_DEP_1)
	v_dual_sub_nc_u32 v1, 29, v1 :: v_dual_bitop2_b32 v26, 7, v18 bitop3:0x40
; %bb.1861:                             ;   in Loop: Header=BB349_941 Depth=1
	s_or_b32 exec_lo, exec_lo, s17
	s_delay_alu instid0(VALU_DEP_1) | instskip(NEXT) | instid1(VALU_DEP_2)
	v_dual_lshlrev_b32 v0, 24, v0 :: v_dual_lshlrev_b32 v18, 20, v26
	v_lshl_add_u32 v1, v1, 23, 0x3c000000
	s_delay_alu instid0(VALU_DEP_2) | instskip(NEXT) | instid1(VALU_DEP_1)
	v_and_b32_e32 v0, 0x80000000, v0
	v_or3_b32 v18, v18, v0, v1
.LBB349_1862:                           ;   in Loop: Header=BB349_941 Depth=1
	s_or_b32 exec_lo, exec_lo, s16
.LBB349_1863:                           ;   in Loop: Header=BB349_941 Depth=1
	s_delay_alu instid0(SALU_CYCLE_1)
	s_or_b32 exec_lo, exec_lo, s15
.LBB349_1864:                           ;   in Loop: Header=BB349_941 Depth=1
	s_delay_alu instid0(SALU_CYCLE_1)
	s_or_b32 exec_lo, exec_lo, s14
	v_mov_b32_e32 v42, v13
	v_fma_mixlo_bf16 v1, v96, v23, 0
	v_fma_mixlo_bf16 v19, v96, v22, 0
	;; [unrolled: 1-line block ×8, first 2 shown]
	s_and_saveexec_b32 s0, vcc_lo
	s_cbranch_execz .LBB349_939
; %bb.1865:                             ;   in Loop: Header=BB349_941 Depth=1
	v_cmp_lt_i32_e32 vcc_lo, v100, v126
	v_cndmask_b32_e32 v80, 0, v80, vcc_lo
	v_cmp_lt_i32_e32 vcc_lo, v112, v126
	v_cndmask_b32_e32 v26, 0, v26, vcc_lo
	;; [unrolled: 2-line block ×8, first 2 shown]
	s_branch .LBB349_939
.LBB349_1866:
	s_or_b32 exec_lo, exec_lo, s8
	s_clause 0x3
	scratch_load_b32 v36, off, s32 offset:464
	scratch_load_b32 v27, off, s32 offset:472
	;; [unrolled: 1-line block ×3, first 2 shown]
	scratch_load_b64 v[12:13], off, s32 offset:388
.LBB349_1867:
	s_wait_xcnt 0x0
	s_or_b32 exec_lo, exec_lo, s1
	s_wait_loadcnt 0x2
	ds_bpermute_b32 v2, v27, v30
	ds_bpermute_b32 v3, v27, v31
	;; [unrolled: 1-line block ×6, first 2 shown]
	s_wait_loadcnt 0x0
	ds_bpermute_b32 v16, v27, v12
	ds_bpermute_b32 v17, v27, v13
	s_wait_storecnt_dscnt 0x0
	s_barrier_signal -1
	s_barrier_wait -1
	ds_bpermute_b32 v0, v27, v28
	ds_bpermute_b32 v1, v27, v29
	;; [unrolled: 1-line block ×6, first 2 shown]
	s_load_b32 s0, s[6:7], 0x0
	s_mov_b32 s1, exec_lo
	v_pk_add_f32 v[2:3], v[30:31], v[2:3]
	scratch_load_b32 v31, off, s32 offset:752 ; 4-byte Folded Reload
	v_pk_add_f32 v[18:19], v[20:21], v[6:7]
	v_pk_add_f32 v[20:21], v[34:35], v[8:9]
	ds_bpermute_b32 v8, v36, v2
	ds_bpermute_b32 v9, v36, v3
	v_pk_add_f32 v[12:13], v[12:13], v[16:17]
	ds_bpermute_b32 v24, v36, v18
	ds_bpermute_b32 v16, v36, v20
	ds_bpermute_b32 v17, v36, v21
	ds_bpermute_b32 v25, v36, v19
	s_wait_dscnt 0xa
	v_pk_add_f32 v[0:1], v[28:29], v[0:1]
	s_wait_dscnt 0x8
	v_pk_add_f32 v[4:5], v[32:33], v[4:5]
	;; [unrolled: 2-line block ×3, first 2 shown]
	ds_bpermute_b32 v6, v36, v0
	ds_bpermute_b32 v7, v36, v1
	;; [unrolled: 1-line block ×8, first 2 shown]
	s_wait_dscnt 0xc
	v_pk_add_f32 v[8:9], v[2:3], v[8:9]
	s_wait_dscnt 0x9
	v_pk_add_f32 v[2:3], v[20:21], v[16:17]
	scratch_load_b32 v16, off, s32 offset:436 ; 4-byte Folded Reload
	s_wait_dscnt 0x6
	v_pk_add_f32 v[10:11], v[0:1], v[6:7]
	s_wait_dscnt 0x4
	v_pk_add_f32 v[6:7], v[4:5], v[22:23]
	v_pk_add_f32 v[4:5], v[18:19], v[24:25]
	s_wait_dscnt 0x2
	v_pk_add_f32 v[0:1], v[26:27], v[28:29]
	s_wait_loadcnt 0x1
	v_and_b32_e32 v30, 0x3c3, v31
	s_wait_loadcnt 0x0
	v_and_b32_e32 v16, 28, v16
	s_delay_alu instid0(VALU_DEP_2) | instskip(SKIP_1) | instid1(SALU_CYCLE_1)
	v_cmpx_ne_u32_e32 64, v30
	s_xor_b32 s1, exec_lo, s1
	s_or_saveexec_b32 s1, s1
	s_wait_dscnt 0x0
	v_pk_add_f32 v[12:13], v[12:13], v[14:15]
	scratch_load_b32 v14, off, s32 offset:436 th:TH_LOAD_LU ; 4-byte Folded Reload
	s_wait_kmcnt 0x0
	v_add_nc_u32_e32 v15, s0, v16
	scratch_load_b32 v16, off, s32 offset:748 th:TH_LOAD_LU ; 4-byte Folded Reload
	s_wait_loadcnt 0x1
	v_lshrrev_b32_e32 v14, 2, v14
	s_wait_loadcnt 0x0
	v_mul_u32_u24_e32 v16, 0x1c0, v16
	s_xor_b32 exec_lo, exec_lo, s1
	s_cbranch_execz .LBB349_1869
; %bb.1868:
	s_delay_alu instid0(VALU_DEP_1) | instskip(NEXT) | instid1(VALU_DEP_1)
	v_add_nc_u32_e32 v17, v15, v16
	v_add_nc_u32_e32 v18, 0xfffffc80, v17
	;; [unrolled: 1-line block ×9, first 2 shown]
	ds_store_b32 v18, v10
	ds_store_b32 v19, v11
	;; [unrolled: 1-line block ×8, first 2 shown]
	v_add_nc_u32_e32 v18, 0xfffffd80, v17
	v_add_nc_u32_e32 v19, 0xfffffda0, v17
	;; [unrolled: 1-line block ×6, first 2 shown]
	ds_store_b32 v18, v2
	ds_store_b32 v19, v3
	;; [unrolled: 1-line block ×6, first 2 shown]
.LBB349_1869:
	s_or_b32 exec_lo, exec_lo, s1
	v_lshlrev_b32_e32 v14, 2, v14
	s_mov_b32 s1, exec_lo
	v_cmp_eq_u32_e32 vcc_lo, 0, v37
	s_wait_dscnt 0x0
	s_barrier_signal -1
	v_add3_u32 v14, s0, v16, v14
	s_barrier_wait -1
	v_cmpx_gt_u32_e32 64, v31
	s_cbranch_execz .LBB349_1886
; %bb.1870:
	s_and_saveexec_b32 s0, vcc_lo
	s_cbranch_execnz .LBB349_1908
; %bb.1871:
	s_or_b32 exec_lo, exec_lo, s0
	s_and_saveexec_b32 s0, vcc_lo
	s_cbranch_execnz .LBB349_1909
.LBB349_1872:
	s_or_b32 exec_lo, exec_lo, s0
	s_and_saveexec_b32 s0, vcc_lo
	s_cbranch_execnz .LBB349_1910
.LBB349_1873:
	s_or_b32 exec_lo, exec_lo, s0
	s_and_saveexec_b32 s0, vcc_lo
	s_cbranch_execnz .LBB349_1911
.LBB349_1874:
	s_or_b32 exec_lo, exec_lo, s0
	s_and_saveexec_b32 s0, vcc_lo
	s_cbranch_execnz .LBB349_1912
.LBB349_1875:
	s_or_b32 exec_lo, exec_lo, s0
	s_and_saveexec_b32 s0, vcc_lo
	s_cbranch_execnz .LBB349_1913
.LBB349_1876:
	s_or_b32 exec_lo, exec_lo, s0
	s_and_saveexec_b32 s0, vcc_lo
	s_cbranch_execnz .LBB349_1914
.LBB349_1877:
	s_or_b32 exec_lo, exec_lo, s0
	s_and_saveexec_b32 s0, vcc_lo
	s_cbranch_execnz .LBB349_1915
.LBB349_1878:
	s_or_b32 exec_lo, exec_lo, s0
	s_and_saveexec_b32 s0, vcc_lo
	s_cbranch_execnz .LBB349_1916
.LBB349_1879:
	s_or_b32 exec_lo, exec_lo, s0
	s_and_saveexec_b32 s0, vcc_lo
	s_cbranch_execnz .LBB349_1917
.LBB349_1880:
	s_or_b32 exec_lo, exec_lo, s0
	s_and_saveexec_b32 s0, vcc_lo
	s_cbranch_execnz .LBB349_1918
.LBB349_1881:
	s_or_b32 exec_lo, exec_lo, s0
	s_and_saveexec_b32 s0, vcc_lo
	s_cbranch_execnz .LBB349_1919
.LBB349_1882:
	s_or_b32 exec_lo, exec_lo, s0
	s_and_saveexec_b32 s0, vcc_lo
	s_cbranch_execnz .LBB349_1920
.LBB349_1883:
	s_or_b32 exec_lo, exec_lo, s0
	s_and_saveexec_b32 s0, vcc_lo
	s_cbranch_execz .LBB349_1885
.LBB349_1884:
	ds_load_b32 v16, v14 offset:416
	s_wait_dscnt 0x0
	v_add_f32_e32 v13, v16, v13
.LBB349_1885:
	s_or_b32 exec_lo, exec_lo, s0
.LBB349_1886:
	s_delay_alu instid0(SALU_CYCLE_1) | instskip(SKIP_4) | instid1(VALU_DEP_1)
	s_or_b32 exec_lo, exec_lo, s1
	v_and_b32_e32 v16, 0x3e3, v31
	s_mov_b32 s1, exec_lo
	s_barrier_signal -1
	s_barrier_wait -1
	v_cmpx_eq_u32_e32 32, v16
	s_cbranch_execz .LBB349_1888
; %bb.1887:
	ds_store_2addr_b32 v15, v10, v11 offset1:8
	ds_store_2addr_b32 v15, v8, v9 offset0:16 offset1:24
	ds_store_2addr_b32 v15, v6, v7 offset0:32 offset1:40
	;; [unrolled: 1-line block ×6, first 2 shown]
.LBB349_1888:
	s_or_b32 exec_lo, exec_lo, s1
	s_delay_alu instid0(SALU_CYCLE_1)
	s_mov_b32 s1, exec_lo
	s_wait_dscnt 0x0
	s_barrier_signal -1
	s_barrier_wait -1
	v_cmpx_gt_u32_e32 32, v31
	s_cbranch_execz .LBB349_1905
; %bb.1889:
	s_and_saveexec_b32 s0, vcc_lo
	s_cbranch_execnz .LBB349_1921
; %bb.1890:
	s_or_b32 exec_lo, exec_lo, s0
	s_and_saveexec_b32 s0, vcc_lo
	s_cbranch_execnz .LBB349_1922
.LBB349_1891:
	s_or_b32 exec_lo, exec_lo, s0
	s_and_saveexec_b32 s0, vcc_lo
	s_cbranch_execnz .LBB349_1923
.LBB349_1892:
	s_or_b32 exec_lo, exec_lo, s0
	s_and_saveexec_b32 s0, vcc_lo
	s_cbranch_execnz .LBB349_1924
.LBB349_1893:
	s_or_b32 exec_lo, exec_lo, s0
	s_and_saveexec_b32 s0, vcc_lo
	s_cbranch_execnz .LBB349_1925
.LBB349_1894:
	s_or_b32 exec_lo, exec_lo, s0
	s_and_saveexec_b32 s0, vcc_lo
	s_cbranch_execnz .LBB349_1926
.LBB349_1895:
	s_or_b32 exec_lo, exec_lo, s0
	s_and_saveexec_b32 s0, vcc_lo
	s_cbranch_execnz .LBB349_1927
.LBB349_1896:
	s_or_b32 exec_lo, exec_lo, s0
	s_and_saveexec_b32 s0, vcc_lo
	s_cbranch_execnz .LBB349_1928
.LBB349_1897:
	s_or_b32 exec_lo, exec_lo, s0
	s_and_saveexec_b32 s0, vcc_lo
	s_cbranch_execnz .LBB349_1929
.LBB349_1898:
	s_or_b32 exec_lo, exec_lo, s0
	s_and_saveexec_b32 s0, vcc_lo
	s_cbranch_execnz .LBB349_1930
.LBB349_1899:
	s_or_b32 exec_lo, exec_lo, s0
	s_and_saveexec_b32 s0, vcc_lo
	s_cbranch_execnz .LBB349_1931
.LBB349_1900:
	s_or_b32 exec_lo, exec_lo, s0
	s_and_saveexec_b32 s0, vcc_lo
	s_cbranch_execnz .LBB349_1932
.LBB349_1901:
	s_or_b32 exec_lo, exec_lo, s0
	s_and_saveexec_b32 s0, vcc_lo
	s_cbranch_execnz .LBB349_1933
.LBB349_1902:
	s_or_b32 exec_lo, exec_lo, s0
	s_and_saveexec_b32 s0, vcc_lo
	s_cbranch_execz .LBB349_1904
.LBB349_1903:
	ds_load_b32 v14, v14 offset:416
	s_wait_dscnt 0x0
	v_add_f32_e32 v13, v14, v13
.LBB349_1904:
	s_or_b32 exec_lo, exec_lo, s0
.LBB349_1905:
	s_delay_alu instid0(SALU_CYCLE_1)
	s_or_b32 exec_lo, exec_lo, s1
	s_mov_b32 s1, 0
	s_mov_b32 s2, exec_lo
	s_barrier_signal -1
	s_barrier_wait -1
	v_cmpx_eq_u32_e32 0, v16
	s_cbranch_execz .LBB349_1907
; %bb.1906:
	scratch_load_b64 v[14:15], off, s32 offset:780 th:TH_LOAD_LU ; 8-byte Folded Reload
	s_and_b32 s0, 0xffff, s13
	v_dual_mov_b32 v17, 0 :: v_dual_lshrrev_b32 v16, 1, v31
	s_cmp_lg_u32 s0, 0
	s_cselect_b32 s0, -1, 0
	s_delay_alu instid0(SALU_CYCLE_1)
	s_cmp_lg_u32 s0, 0
	s_add_co_ci_u32 s0, s5, 0
	s_bfe_u32 s8, ttmp6, 0x40014
	s_mul_i32 s5, s0, s11
	s_lshr_b32 s3, ttmp7, 16
	s_mul_i32 s5, s5, s12
	s_add_co_i32 s8, s8, 1
	s_mul_i32 s6, s5, 0x70
	s_bfe_u32 s9, ttmp6, 0x40008
	s_ashr_i32 s7, s6, 31
	s_mul_i32 s4, s4, s0
	s_mul_i32 s0, s3, s8
	s_ashr_i32 s5, s4, 31
	s_add_co_i32 s9, s9, s0
	s_cmp_eq_u32 s10, 0
	s_cselect_b32 s0, s3, s9
	s_delay_alu instid0(SALU_CYCLE_1) | instskip(NEXT) | instid1(SALU_CYCLE_1)
	s_mulk_i32 s0, 0xe0
	v_cvt_pk_bf16_f32 v18, v10, s0
	v_cvt_pk_bf16_f32 v19, v11, s0
	v_cvt_pk_bf16_f32 v2, v2, s0
	v_cvt_pk_bf16_f32 v8, v8, s0
	v_cvt_pk_bf16_f32 v3, v3, s0
	v_cvt_pk_bf16_f32 v9, v9, s0
	v_cvt_pk_bf16_f32 v0, v0, s0
	v_cvt_pk_bf16_f32 v6, v6, s0
	v_cvt_pk_bf16_f32 v4, v4, s0
	v_cvt_pk_bf16_f32 v1, v1, s0
	v_cvt_pk_bf16_f32 v7, v7, s0
	v_cvt_pk_bf16_f32 v5, v5, s0
	s_wait_loadcnt 0x0
	v_lshl_add_u64 v[14:15], s[6:7], 1, v[14:15]
	s_delay_alu instid0(VALU_DEP_1) | instskip(NEXT) | instid1(VALU_DEP_1)
	v_lshl_add_u64 v[14:15], s[4:5], 1, v[14:15]
	v_add_nc_u64_e32 v[14:15], s[0:1], v[14:15]
	s_delay_alu instid0(VALU_DEP_1)
	v_add_nc_u64_e32 v[10:11], v[14:15], v[16:17]
	s_clause 0x7
	flat_store_b16 v[10:11], v18
	flat_store_b16 v[10:11], v19 offset:16
	flat_store_b16 v[10:11], v8 offset:32
	;; [unrolled: 1-line block ×7, first 2 shown]
	s_wait_xcnt 0x1
	v_cvt_pk_bf16_f32 v4, v12, s0
	s_wait_xcnt 0x0
	v_cvt_pk_bf16_f32 v5, v13, s0
	s_clause 0x5
	flat_store_b16 v[10:11], v2 offset:128
	flat_store_b16 v[10:11], v3 offset:144
	;; [unrolled: 1-line block ×6, first 2 shown]
.LBB349_1907:
	s_wait_xcnt 0x0
	s_or_b32 exec_lo, exec_lo, s2
	s_clause 0x2f
	scratch_load_b32 v127, off, s32
	scratch_load_b32 v126, off, s32 offset:4
	scratch_load_b32 v125, off, s32 offset:8
	;; [unrolled: 1-line block ×47, first 2 shown]
	s_wait_loadcnt_dscnt 0x0
	s_set_pc_i64 s[30:31]
.LBB349_1908:
	ds_load_b32 v16, v14
	s_wait_dscnt 0x0
	v_add_f32_e32 v10, v16, v10
	s_or_b32 exec_lo, exec_lo, s0
	s_and_saveexec_b32 s0, vcc_lo
	s_cbranch_execz .LBB349_1872
.LBB349_1909:
	ds_load_b32 v16, v14 offset:32
	s_wait_dscnt 0x0
	v_add_f32_e32 v11, v16, v11
	s_or_b32 exec_lo, exec_lo, s0
	s_and_saveexec_b32 s0, vcc_lo
	s_cbranch_execz .LBB349_1873
.LBB349_1910:
	ds_load_b32 v16, v14 offset:64
	s_wait_dscnt 0x0
	v_add_f32_e32 v8, v16, v8
	s_or_b32 exec_lo, exec_lo, s0
	s_and_saveexec_b32 s0, vcc_lo
	s_cbranch_execz .LBB349_1874
.LBB349_1911:
	ds_load_b32 v16, v14 offset:96
	s_wait_dscnt 0x0
	v_add_f32_e32 v9, v16, v9
	s_or_b32 exec_lo, exec_lo, s0
	s_and_saveexec_b32 s0, vcc_lo
	s_cbranch_execz .LBB349_1875
.LBB349_1912:
	ds_load_b32 v16, v14 offset:128
	s_wait_dscnt 0x0
	v_add_f32_e32 v6, v16, v6
	s_or_b32 exec_lo, exec_lo, s0
	s_and_saveexec_b32 s0, vcc_lo
	s_cbranch_execz .LBB349_1876
.LBB349_1913:
	ds_load_b32 v16, v14 offset:160
	s_wait_dscnt 0x0
	v_add_f32_e32 v7, v16, v7
	s_or_b32 exec_lo, exec_lo, s0
	s_and_saveexec_b32 s0, vcc_lo
	s_cbranch_execz .LBB349_1877
.LBB349_1914:
	ds_load_b32 v16, v14 offset:192
	s_wait_dscnt 0x0
	v_add_f32_e32 v4, v16, v4
	s_or_b32 exec_lo, exec_lo, s0
	s_and_saveexec_b32 s0, vcc_lo
	s_cbranch_execz .LBB349_1878
.LBB349_1915:
	ds_load_b32 v16, v14 offset:224
	s_wait_dscnt 0x0
	v_add_f32_e32 v5, v16, v5
	s_or_b32 exec_lo, exec_lo, s0
	s_and_saveexec_b32 s0, vcc_lo
	s_cbranch_execz .LBB349_1879
.LBB349_1916:
	ds_load_b32 v16, v14 offset:256
	s_wait_dscnt 0x0
	v_add_f32_e32 v2, v16, v2
	s_or_b32 exec_lo, exec_lo, s0
	s_and_saveexec_b32 s0, vcc_lo
	s_cbranch_execz .LBB349_1880
.LBB349_1917:
	ds_load_b32 v16, v14 offset:288
	s_wait_dscnt 0x0
	v_add_f32_e32 v3, v16, v3
	s_or_b32 exec_lo, exec_lo, s0
	s_and_saveexec_b32 s0, vcc_lo
	s_cbranch_execz .LBB349_1881
.LBB349_1918:
	ds_load_b32 v16, v14 offset:320
	s_wait_dscnt 0x0
	v_add_f32_e32 v0, v16, v0
	s_or_b32 exec_lo, exec_lo, s0
	s_and_saveexec_b32 s0, vcc_lo
	s_cbranch_execz .LBB349_1882
.LBB349_1919:
	ds_load_b32 v16, v14 offset:352
	s_wait_dscnt 0x0
	v_add_f32_e32 v1, v16, v1
	s_or_b32 exec_lo, exec_lo, s0
	s_and_saveexec_b32 s0, vcc_lo
	s_cbranch_execz .LBB349_1883
.LBB349_1920:
	ds_load_b32 v16, v14 offset:384
	s_wait_dscnt 0x0
	v_add_f32_e32 v12, v16, v12
	s_or_b32 exec_lo, exec_lo, s0
	s_and_saveexec_b32 s0, vcc_lo
	s_cbranch_execnz .LBB349_1884
	s_branch .LBB349_1885
.LBB349_1921:
	ds_load_b32 v15, v14
	s_wait_dscnt 0x0
	v_add_f32_e32 v10, v15, v10
	s_or_b32 exec_lo, exec_lo, s0
	s_and_saveexec_b32 s0, vcc_lo
	s_cbranch_execz .LBB349_1891
.LBB349_1922:
	ds_load_b32 v15, v14 offset:32
	s_wait_dscnt 0x0
	v_add_f32_e32 v11, v15, v11
	s_or_b32 exec_lo, exec_lo, s0
	s_and_saveexec_b32 s0, vcc_lo
	s_cbranch_execz .LBB349_1892
.LBB349_1923:
	ds_load_b32 v15, v14 offset:64
	s_wait_dscnt 0x0
	v_add_f32_e32 v8, v15, v8
	s_or_b32 exec_lo, exec_lo, s0
	s_and_saveexec_b32 s0, vcc_lo
	s_cbranch_execz .LBB349_1893
.LBB349_1924:
	ds_load_b32 v15, v14 offset:96
	s_wait_dscnt 0x0
	v_add_f32_e32 v9, v15, v9
	s_or_b32 exec_lo, exec_lo, s0
	s_and_saveexec_b32 s0, vcc_lo
	s_cbranch_execz .LBB349_1894
.LBB349_1925:
	ds_load_b32 v15, v14 offset:128
	s_wait_dscnt 0x0
	v_add_f32_e32 v6, v15, v6
	s_or_b32 exec_lo, exec_lo, s0
	s_and_saveexec_b32 s0, vcc_lo
	s_cbranch_execz .LBB349_1895
.LBB349_1926:
	ds_load_b32 v15, v14 offset:160
	s_wait_dscnt 0x0
	v_add_f32_e32 v7, v15, v7
	s_or_b32 exec_lo, exec_lo, s0
	s_and_saveexec_b32 s0, vcc_lo
	s_cbranch_execz .LBB349_1896
.LBB349_1927:
	ds_load_b32 v15, v14 offset:192
	s_wait_dscnt 0x0
	v_add_f32_e32 v4, v15, v4
	s_or_b32 exec_lo, exec_lo, s0
	s_and_saveexec_b32 s0, vcc_lo
	s_cbranch_execz .LBB349_1897
.LBB349_1928:
	ds_load_b32 v15, v14 offset:224
	s_wait_dscnt 0x0
	v_add_f32_e32 v5, v15, v5
	s_or_b32 exec_lo, exec_lo, s0
	s_and_saveexec_b32 s0, vcc_lo
	s_cbranch_execz .LBB349_1898
.LBB349_1929:
	ds_load_b32 v15, v14 offset:256
	s_wait_dscnt 0x0
	v_add_f32_e32 v2, v15, v2
	s_or_b32 exec_lo, exec_lo, s0
	s_and_saveexec_b32 s0, vcc_lo
	s_cbranch_execz .LBB349_1899
.LBB349_1930:
	ds_load_b32 v15, v14 offset:288
	s_wait_dscnt 0x0
	v_add_f32_e32 v3, v15, v3
	s_or_b32 exec_lo, exec_lo, s0
	s_and_saveexec_b32 s0, vcc_lo
	s_cbranch_execz .LBB349_1900
.LBB349_1931:
	ds_load_b32 v15, v14 offset:320
	s_wait_dscnt 0x0
	v_add_f32_e32 v0, v15, v0
	s_or_b32 exec_lo, exec_lo, s0
	s_and_saveexec_b32 s0, vcc_lo
	s_cbranch_execz .LBB349_1901
.LBB349_1932:
	ds_load_b32 v15, v14 offset:352
	s_wait_dscnt 0x0
	v_add_f32_e32 v1, v15, v1
	s_or_b32 exec_lo, exec_lo, s0
	s_and_saveexec_b32 s0, vcc_lo
	s_cbranch_execz .LBB349_1902
.LBB349_1933:
	ds_load_b32 v15, v14 offset:384
	s_wait_dscnt 0x0
	v_add_f32_e32 v12, v15, v12
	s_or_b32 exec_lo, exec_lo, s0
	s_and_saveexec_b32 s0, vcc_lo
	s_cbranch_execnz .LBB349_1903
	s_branch .LBB349_1904
.Lfunc_end349:
	.size	_ZN4vllm22paged_attention_kernelI14__hip_bfloat16hLi112ELi32ELi128ELNS_18Fp8KVCacheDataTypeE1ELb1ELi0EEEvPfS3_PT_PKS4_PKT0_SA_ifPKiSC_iPKfiiiSE_SE_iiiii, .Lfunc_end349-_ZN4vllm22paged_attention_kernelI14__hip_bfloat16hLi112ELi32ELi128ELNS_18Fp8KVCacheDataTypeE1ELb1ELi0EEEvPfS3_PT_PKS4_PKT0_SA_ifPKiSC_iPKfiiiSE_SE_iiiii
                                        ; -- End function
	.set .L_ZN4vllm22paged_attention_kernelI14__hip_bfloat16hLi112ELi32ELi128ELNS_18Fp8KVCacheDataTypeE1ELb1ELi0EEEvPfS3_PT_PKS4_PKT0_SA_ifPKiSC_iPKfiiiSE_SE_iiiii.num_vgpr, 128
	.set .L_ZN4vllm22paged_attention_kernelI14__hip_bfloat16hLi112ELi32ELi128ELNS_18Fp8KVCacheDataTypeE1ELb1ELi0EEEvPfS3_PT_PKS4_PKT0_SA_ifPKiSC_iPKfiiiSE_SE_iiiii.num_agpr, 0
	.set .L_ZN4vllm22paged_attention_kernelI14__hip_bfloat16hLi112ELi32ELi128ELNS_18Fp8KVCacheDataTypeE1ELb1ELi0EEEvPfS3_PT_PKS4_PKT0_SA_ifPKiSC_iPKfiiiSE_SE_iiiii.numbered_sgpr, 33
	.set .L_ZN4vllm22paged_attention_kernelI14__hip_bfloat16hLi112ELi32ELi128ELNS_18Fp8KVCacheDataTypeE1ELb1ELi0EEEvPfS3_PT_PKS4_PKT0_SA_ifPKiSC_iPKfiiiSE_SE_iiiii.num_named_barrier, 0
	.set .L_ZN4vllm22paged_attention_kernelI14__hip_bfloat16hLi112ELi32ELi128ELNS_18Fp8KVCacheDataTypeE1ELb1ELi0EEEvPfS3_PT_PKS4_PKT0_SA_ifPKiSC_iPKfiiiSE_SE_iiiii.private_seg_size, 824
	.set .L_ZN4vllm22paged_attention_kernelI14__hip_bfloat16hLi112ELi32ELi128ELNS_18Fp8KVCacheDataTypeE1ELb1ELi0EEEvPfS3_PT_PKS4_PKT0_SA_ifPKiSC_iPKfiiiSE_SE_iiiii.uses_vcc, 1
	.set .L_ZN4vllm22paged_attention_kernelI14__hip_bfloat16hLi112ELi32ELi128ELNS_18Fp8KVCacheDataTypeE1ELb1ELi0EEEvPfS3_PT_PKS4_PKT0_SA_ifPKiSC_iPKfiiiSE_SE_iiiii.uses_flat_scratch, 1
	.set .L_ZN4vllm22paged_attention_kernelI14__hip_bfloat16hLi112ELi32ELi128ELNS_18Fp8KVCacheDataTypeE1ELb1ELi0EEEvPfS3_PT_PKS4_PKT0_SA_ifPKiSC_iPKfiiiSE_SE_iiiii.has_dyn_sized_stack, 0
	.set .L_ZN4vllm22paged_attention_kernelI14__hip_bfloat16hLi112ELi32ELi128ELNS_18Fp8KVCacheDataTypeE1ELb1ELi0EEEvPfS3_PT_PKS4_PKT0_SA_ifPKiSC_iPKfiiiSE_SE_iiiii.has_recursion, 0
	.set .L_ZN4vllm22paged_attention_kernelI14__hip_bfloat16hLi112ELi32ELi128ELNS_18Fp8KVCacheDataTypeE1ELb1ELi0EEEvPfS3_PT_PKS4_PKT0_SA_ifPKiSC_iPKfiiiSE_SE_iiiii.has_indirect_call, 0
	.section	.AMDGPU.csdata,"",@progbits
; Function info:
; codeLenInByte = 69880
; TotalNumSgprs: 35
; NumVgprs: 128
; ScratchSize: 824
; MemoryBound: 0
	.section	.text._ZN4vllm25paged_attention_v1_kernelI14__hip_bfloat16hLi112ELi32ELi128ELNS_18Fp8KVCacheDataTypeE1ELb1EEEvPT_PKS3_PKT0_S9_ifPKiSB_iPKfiiiSD_SD_iiiii,"axG",@progbits,_ZN4vllm25paged_attention_v1_kernelI14__hip_bfloat16hLi112ELi32ELi128ELNS_18Fp8KVCacheDataTypeE1ELb1EEEvPT_PKS3_PKT0_S9_ifPKiSB_iPKfiiiSD_SD_iiiii,comdat
	.protected	_ZN4vllm25paged_attention_v1_kernelI14__hip_bfloat16hLi112ELi32ELi128ELNS_18Fp8KVCacheDataTypeE1ELb1EEEvPT_PKS3_PKT0_S9_ifPKiSB_iPKfiiiSD_SD_iiiii ; -- Begin function _ZN4vllm25paged_attention_v1_kernelI14__hip_bfloat16hLi112ELi32ELi128ELNS_18Fp8KVCacheDataTypeE1ELb1EEEvPT_PKS3_PKT0_S9_ifPKiSB_iPKfiiiSD_SD_iiiii
	.globl	_ZN4vllm25paged_attention_v1_kernelI14__hip_bfloat16hLi112ELi32ELi128ELNS_18Fp8KVCacheDataTypeE1ELb1EEEvPT_PKS3_PKT0_S9_ifPKiSB_iPKfiiiSD_SD_iiiii
	.p2align	8
	.type	_ZN4vllm25paged_attention_v1_kernelI14__hip_bfloat16hLi112ELi32ELi128ELNS_18Fp8KVCacheDataTypeE1ELb1EEEvPT_PKS3_PKT0_S9_ifPKiSB_iPKfiiiSD_SD_iiiii,@function
_ZN4vllm25paged_attention_v1_kernelI14__hip_bfloat16hLi112ELi32ELi128ELNS_18Fp8KVCacheDataTypeE1ELb1EEEvPT_PKS3_PKT0_S9_ifPKiSB_iPKfiiiSD_SD_iiiii: ; @_ZN4vllm25paged_attention_v1_kernelI14__hip_bfloat16hLi112ELi32ELi128ELNS_18Fp8KVCacheDataTypeE1ELb1EEEvPT_PKS3_PKT0_S9_ifPKiSB_iPKfiiiSD_SD_iiiii
; %bb.0:
	s_clause 0x6
	s_load_b256 s[12:19], s[0:1], 0x0
	s_load_b128 s[4:7], s[0:1], 0x20
	s_load_b96 s[28:30], s[0:1], 0x30
	s_load_b64 s[10:11], s[0:1], 0x40
	s_load_b96 s[36:38], s[0:1], 0x48
	s_load_b256 s[20:27], s[0:1], 0x58
	s_load_b32 s31, s[0:1], 0x78
	v_mov_b32_e32 v31, v0
	s_get_pc_i64 s[2:3]
	s_add_nc_u64 s[2:3], s[2:3], _ZN4vllm22paged_attention_kernelI14__hip_bfloat16hLi112ELi32ELi128ELNS_18Fp8KVCacheDataTypeE1ELb1ELi0EEEvPfS3_PT_PKS4_PKT0_SA_ifPKiSC_iPKfiiiSE_SE_iiiii@rel64+4
	s_add_nc_u64 s[8:9], s[0:1], 0x80
	s_mov_b32 s32, 0
	s_wait_kmcnt 0x0
	v_dual_mov_b32 v15, s10 :: v_dual_mov_b32 v16, s11
	v_dual_mov_b32 v0, s12 :: v_dual_mov_b32 v1, s13
	;; [unrolled: 1-line block ×14, first 2 shown]
	v_mov_b32_e32 v28, s31
	s_mov_b32 s15, 1
	s_swap_pc_i64 s[30:31], s[2:3]
	s_endpgm
	.section	.rodata,"a",@progbits
	.p2align	6, 0x0
	.amdhsa_kernel _ZN4vllm25paged_attention_v1_kernelI14__hip_bfloat16hLi112ELi32ELi128ELNS_18Fp8KVCacheDataTypeE1ELb1EEEvPT_PKS3_PKT0_S9_ifPKiSB_iPKfiiiSD_SD_iiiii
		.amdhsa_group_segment_fixed_size 256
		.amdhsa_private_segment_fixed_size 824
		.amdhsa_kernarg_size 384
		.amdhsa_user_sgpr_count 2
		.amdhsa_user_sgpr_dispatch_ptr 0
		.amdhsa_user_sgpr_queue_ptr 0
		.amdhsa_user_sgpr_kernarg_segment_ptr 1
		.amdhsa_user_sgpr_dispatch_id 0
		.amdhsa_user_sgpr_kernarg_preload_length 0
		.amdhsa_user_sgpr_kernarg_preload_offset 0
		.amdhsa_user_sgpr_private_segment_size 0
		.amdhsa_wavefront_size32 1
		.amdhsa_uses_dynamic_stack 0
		.amdhsa_enable_private_segment 1
		.amdhsa_system_sgpr_workgroup_id_x 1
		.amdhsa_system_sgpr_workgroup_id_y 1
		.amdhsa_system_sgpr_workgroup_id_z 1
		.amdhsa_system_sgpr_workgroup_info 0
		.amdhsa_system_vgpr_workitem_id 0
		.amdhsa_next_free_vgpr 128
		.amdhsa_next_free_sgpr 39
		.amdhsa_named_barrier_count 0
		.amdhsa_reserve_vcc 1
		.amdhsa_float_round_mode_32 0
		.amdhsa_float_round_mode_16_64 0
		.amdhsa_float_denorm_mode_32 3
		.amdhsa_float_denorm_mode_16_64 3
		.amdhsa_fp16_overflow 0
		.amdhsa_memory_ordered 1
		.amdhsa_forward_progress 1
		.amdhsa_inst_pref_size 2
		.amdhsa_round_robin_scheduling 0
		.amdhsa_exception_fp_ieee_invalid_op 0
		.amdhsa_exception_fp_denorm_src 0
		.amdhsa_exception_fp_ieee_div_zero 0
		.amdhsa_exception_fp_ieee_overflow 0
		.amdhsa_exception_fp_ieee_underflow 0
		.amdhsa_exception_fp_ieee_inexact 0
		.amdhsa_exception_int_div_zero 0
	.end_amdhsa_kernel
	.section	.text._ZN4vllm25paged_attention_v1_kernelI14__hip_bfloat16hLi112ELi32ELi128ELNS_18Fp8KVCacheDataTypeE1ELb1EEEvPT_PKS3_PKT0_S9_ifPKiSB_iPKfiiiSD_SD_iiiii,"axG",@progbits,_ZN4vllm25paged_attention_v1_kernelI14__hip_bfloat16hLi112ELi32ELi128ELNS_18Fp8KVCacheDataTypeE1ELb1EEEvPT_PKS3_PKT0_S9_ifPKiSB_iPKfiiiSD_SD_iiiii,comdat
.Lfunc_end350:
	.size	_ZN4vllm25paged_attention_v1_kernelI14__hip_bfloat16hLi112ELi32ELi128ELNS_18Fp8KVCacheDataTypeE1ELb1EEEvPT_PKS3_PKT0_S9_ifPKiSB_iPKfiiiSD_SD_iiiii, .Lfunc_end350-_ZN4vllm25paged_attention_v1_kernelI14__hip_bfloat16hLi112ELi32ELi128ELNS_18Fp8KVCacheDataTypeE1ELb1EEEvPT_PKS3_PKT0_S9_ifPKiSB_iPKfiiiSD_SD_iiiii
                                        ; -- End function
	.set _ZN4vllm25paged_attention_v1_kernelI14__hip_bfloat16hLi112ELi32ELi128ELNS_18Fp8KVCacheDataTypeE1ELb1EEEvPT_PKS3_PKT0_S9_ifPKiSB_iPKfiiiSD_SD_iiiii.num_vgpr, max(32, .L_ZN4vllm22paged_attention_kernelI14__hip_bfloat16hLi112ELi32ELi128ELNS_18Fp8KVCacheDataTypeE1ELb1ELi0EEEvPfS3_PT_PKS4_PKT0_SA_ifPKiSC_iPKfiiiSE_SE_iiiii.num_vgpr)
	.set _ZN4vllm25paged_attention_v1_kernelI14__hip_bfloat16hLi112ELi32ELi128ELNS_18Fp8KVCacheDataTypeE1ELb1EEEvPT_PKS3_PKT0_S9_ifPKiSB_iPKfiiiSD_SD_iiiii.num_agpr, max(0, .L_ZN4vllm22paged_attention_kernelI14__hip_bfloat16hLi112ELi32ELi128ELNS_18Fp8KVCacheDataTypeE1ELb1ELi0EEEvPfS3_PT_PKS4_PKT0_SA_ifPKiSC_iPKfiiiSE_SE_iiiii.num_agpr)
	.set _ZN4vllm25paged_attention_v1_kernelI14__hip_bfloat16hLi112ELi32ELi128ELNS_18Fp8KVCacheDataTypeE1ELb1EEEvPT_PKS3_PKT0_S9_ifPKiSB_iPKfiiiSD_SD_iiiii.numbered_sgpr, max(39, .L_ZN4vllm22paged_attention_kernelI14__hip_bfloat16hLi112ELi32ELi128ELNS_18Fp8KVCacheDataTypeE1ELb1ELi0EEEvPfS3_PT_PKS4_PKT0_SA_ifPKiSC_iPKfiiiSE_SE_iiiii.numbered_sgpr)
	.set _ZN4vllm25paged_attention_v1_kernelI14__hip_bfloat16hLi112ELi32ELi128ELNS_18Fp8KVCacheDataTypeE1ELb1EEEvPT_PKS3_PKT0_S9_ifPKiSB_iPKfiiiSD_SD_iiiii.num_named_barrier, max(0, .L_ZN4vllm22paged_attention_kernelI14__hip_bfloat16hLi112ELi32ELi128ELNS_18Fp8KVCacheDataTypeE1ELb1ELi0EEEvPfS3_PT_PKS4_PKT0_SA_ifPKiSC_iPKfiiiSE_SE_iiiii.num_named_barrier)
	.set _ZN4vllm25paged_attention_v1_kernelI14__hip_bfloat16hLi112ELi32ELi128ELNS_18Fp8KVCacheDataTypeE1ELb1EEEvPT_PKS3_PKT0_S9_ifPKiSB_iPKfiiiSD_SD_iiiii.private_seg_size, 0+max(.L_ZN4vllm22paged_attention_kernelI14__hip_bfloat16hLi112ELi32ELi128ELNS_18Fp8KVCacheDataTypeE1ELb1ELi0EEEvPfS3_PT_PKS4_PKT0_SA_ifPKiSC_iPKfiiiSE_SE_iiiii.private_seg_size)
	.set _ZN4vllm25paged_attention_v1_kernelI14__hip_bfloat16hLi112ELi32ELi128ELNS_18Fp8KVCacheDataTypeE1ELb1EEEvPT_PKS3_PKT0_S9_ifPKiSB_iPKfiiiSD_SD_iiiii.uses_vcc, or(1, .L_ZN4vllm22paged_attention_kernelI14__hip_bfloat16hLi112ELi32ELi128ELNS_18Fp8KVCacheDataTypeE1ELb1ELi0EEEvPfS3_PT_PKS4_PKT0_SA_ifPKiSC_iPKfiiiSE_SE_iiiii.uses_vcc)
	.set _ZN4vllm25paged_attention_v1_kernelI14__hip_bfloat16hLi112ELi32ELi128ELNS_18Fp8KVCacheDataTypeE1ELb1EEEvPT_PKS3_PKT0_S9_ifPKiSB_iPKfiiiSD_SD_iiiii.uses_flat_scratch, or(0, .L_ZN4vllm22paged_attention_kernelI14__hip_bfloat16hLi112ELi32ELi128ELNS_18Fp8KVCacheDataTypeE1ELb1ELi0EEEvPfS3_PT_PKS4_PKT0_SA_ifPKiSC_iPKfiiiSE_SE_iiiii.uses_flat_scratch)
	.set _ZN4vllm25paged_attention_v1_kernelI14__hip_bfloat16hLi112ELi32ELi128ELNS_18Fp8KVCacheDataTypeE1ELb1EEEvPT_PKS3_PKT0_S9_ifPKiSB_iPKfiiiSD_SD_iiiii.has_dyn_sized_stack, or(0, .L_ZN4vllm22paged_attention_kernelI14__hip_bfloat16hLi112ELi32ELi128ELNS_18Fp8KVCacheDataTypeE1ELb1ELi0EEEvPfS3_PT_PKS4_PKT0_SA_ifPKiSC_iPKfiiiSE_SE_iiiii.has_dyn_sized_stack)
	.set _ZN4vllm25paged_attention_v1_kernelI14__hip_bfloat16hLi112ELi32ELi128ELNS_18Fp8KVCacheDataTypeE1ELb1EEEvPT_PKS3_PKT0_S9_ifPKiSB_iPKfiiiSD_SD_iiiii.has_recursion, or(0, .L_ZN4vllm22paged_attention_kernelI14__hip_bfloat16hLi112ELi32ELi128ELNS_18Fp8KVCacheDataTypeE1ELb1ELi0EEEvPfS3_PT_PKS4_PKT0_SA_ifPKiSC_iPKfiiiSE_SE_iiiii.has_recursion)
	.set _ZN4vllm25paged_attention_v1_kernelI14__hip_bfloat16hLi112ELi32ELi128ELNS_18Fp8KVCacheDataTypeE1ELb1EEEvPT_PKS3_PKT0_S9_ifPKiSB_iPKfiiiSD_SD_iiiii.has_indirect_call, or(0, .L_ZN4vllm22paged_attention_kernelI14__hip_bfloat16hLi112ELi32ELi128ELNS_18Fp8KVCacheDataTypeE1ELb1ELi0EEEvPfS3_PT_PKS4_PKT0_SA_ifPKiSC_iPKfiiiSE_SE_iiiii.has_indirect_call)
	.section	.AMDGPU.csdata,"",@progbits
; Kernel info:
; codeLenInByte = 224
; TotalNumSgprs: 41
; NumVgprs: 128
; ScratchSize: 824
; MemoryBound: 0
; FloatMode: 240
; IeeeMode: 1
; LDSByteSize: 256 bytes/workgroup (compile time only)
; SGPRBlocks: 0
; VGPRBlocks: 7
; NumSGPRsForWavesPerEU: 41
; NumVGPRsForWavesPerEU: 128
; NamedBarCnt: 0
; Occupancy: 8
; WaveLimiterHint : 1
; COMPUTE_PGM_RSRC2:SCRATCH_EN: 1
; COMPUTE_PGM_RSRC2:USER_SGPR: 2
; COMPUTE_PGM_RSRC2:TRAP_HANDLER: 0
; COMPUTE_PGM_RSRC2:TGID_X_EN: 1
; COMPUTE_PGM_RSRC2:TGID_Y_EN: 1
; COMPUTE_PGM_RSRC2:TGID_Z_EN: 1
; COMPUTE_PGM_RSRC2:TIDIG_COMP_CNT: 0
	.text
	.p2align	2                               ; -- Begin function _ZN4vllm22paged_attention_kernelI14__hip_bfloat16hLi120ELi32ELi128ELNS_18Fp8KVCacheDataTypeE1ELb1ELi0EEEvPfS3_PT_PKS4_PKT0_SA_ifPKiSC_iPKfiiiSE_SE_iiiii
	.type	_ZN4vllm22paged_attention_kernelI14__hip_bfloat16hLi120ELi32ELi128ELNS_18Fp8KVCacheDataTypeE1ELb1ELi0EEEvPfS3_PT_PKS4_PKT0_SA_ifPKiSC_iPKfiiiSE_SE_iiiii,@function
_ZN4vllm22paged_attention_kernelI14__hip_bfloat16hLi120ELi32ELi128ELNS_18Fp8KVCacheDataTypeE1ELb1ELi0EEEvPfS3_PT_PKS4_PKT0_SA_ifPKiSC_iPKfiiiSE_SE_iiiii: ; @_ZN4vllm22paged_attention_kernelI14__hip_bfloat16hLi120ELi32ELi128ELNS_18Fp8KVCacheDataTypeE1ELb1ELi0EEEvPfS3_PT_PKS4_PKT0_SA_ifPKiSC_iPKfiiiSE_SE_iiiii
; %bb.0:
	s_wait_loadcnt_dscnt 0x0
	s_wait_kmcnt 0x0
	s_clause 0x2f
	scratch_store_b32 off, v40, s32 offset:188
	; meta instruction
	scratch_store_b32 off, v41, s32 offset:184
	; meta instruction
	;; [unrolled: 2-line block ×47, first 2 shown]
	scratch_store_b32 off, v127, s32
	s_bfe_u32 s0, ttmp6, 0x4000c
	s_bfe_u32 s3, ttmp6, 0x40010
	s_add_co_i32 s0, s0, 1
	s_and_b32 s1, ttmp6, 15
	s_mul_i32 s0, ttmp9, s0
	s_and_b32 s4, ttmp7, 0xffff
	s_add_co_i32 s3, s3, 1
	s_add_co_i32 s1, s1, s0
	s_mul_i32 s0, s4, s3
	s_bfe_u32 s3, ttmp6, 0x40004
	s_getreg_b32 s10, hwreg(HW_REG_IB_STS2, 6, 4)
	s_add_co_i32 s3, s3, s0
	s_cmp_eq_u32 s10, 0
	s_mov_b32 s7, 0
	s_cselect_b32 s11, s4, s3
	s_cselect_b32 s0, ttmp9, s1
	s_lshl_b32 s6, s11, 2
	v_dual_mov_b32 v49, v7 :: v_dual_mov_b32 v48, v6
	v_add_nc_u64_e32 v[6:7], s[6:7], v[12:13]
	s_clause 0x5
	scratch_store_b64 off, v[22:23], s32 offset:476
	scratch_store_b64 off, v[20:21], s32 offset:316
	;; [unrolled: 1-line block ×4, first 2 shown]
	scratch_store_b32 off, v9, s32 offset:324
	scratch_store_b64 off, v[0:1], s32 offset:896
	s_wait_xcnt 0x0
	v_dual_mov_b32 v1, 0 :: v_dual_mov_b32 v33, v16
	v_mov_b32_e32 v32, v15
	s_clause 0x1
	s_load_u16 s1, s[8:9], 0x12
	s_load_b32 s3, s[8:9], 0x0
	flat_load_b32 v16, v[6:7]
	s_wait_xcnt 0x0
	v_sub_nc_u32_e32 v6, 0, v8
	global_load_u16 v0, v1, s[8:9] offset:22
	s_mov_b32 s2, s15
	v_max_i32_e32 v6, v8, v6
	s_delay_alu instid0(VALU_DEP_1) | instskip(NEXT) | instid1(VALU_DEP_1)
	v_cvt_f32_u32_e32 v7, v6
	v_rcp_iflag_f32_e32 v7, v7
	s_wait_kmcnt 0x0
	s_cmp_lg_u32 s1, 0
	s_cselect_b32 s1, -1, 0
	s_delay_alu instid0(SALU_CYCLE_1) | instskip(SKIP_1) | instid1(TRANS32_DEP_1)
	s_cmp_lg_u32 s1, 0
	v_nop
	v_mul_f32_e32 v7, 0x4f7ffffe, v7
	v_sub_nc_u32_e32 v9, 0, v6
	s_add_co_ci_u32 s12, s3, 0
	s_abs_i32 s6, s0
	s_abs_i32 s1, s12
	v_cvt_u32_f32_e32 v7, v7
	s_mov_b32 s3, exec_lo
	s_delay_alu instid0(VALU_DEP_1) | instskip(NEXT) | instid1(VALU_DEP_1)
	v_mul_lo_u32 v9, v9, v7
	v_mul_hi_u32 v9, v7, v9
	s_delay_alu instid0(VALU_DEP_1) | instskip(NEXT) | instid1(VALU_DEP_1)
	v_add_nc_u32_e32 v7, v7, v9
	v_mul_hi_u32 v7, s1, v7
	s_delay_alu instid0(VALU_DEP_1) | instskip(NEXT) | instid1(VALU_DEP_1)
	v_mul_lo_u32 v9, v7, v6
	v_dual_add_nc_u32 v10, 1, v7 :: v_dual_sub_nc_u32 v9, s1, v9
	s_delay_alu instid0(VALU_DEP_1) | instskip(SKIP_1) | instid1(VALU_DEP_3)
	v_sub_nc_u32_e32 v11, v9, v6
	v_cmp_ge_u32_e32 vcc_lo, v9, v6
	v_dual_cndmask_b32 v7, v7, v10, vcc_lo :: v_dual_bitop2_b32 v10, s12, v8 bitop3:0x14
	s_delay_alu instid0(VALU_DEP_3) | instskip(NEXT) | instid1(VALU_DEP_2)
	v_cndmask_b32_e32 v9, v9, v11, vcc_lo
	v_dual_add_nc_u32 v11, 1, v7 :: v_dual_ashrrev_i32 v10, 31, v10
	s_delay_alu instid0(VALU_DEP_2) | instskip(NEXT) | instid1(VALU_DEP_2)
	v_cmp_ge_u32_e32 vcc_lo, v9, v6
	v_cndmask_b32_e32 v6, v7, v11, vcc_lo
	s_delay_alu instid0(VALU_DEP_1) | instskip(NEXT) | instid1(VALU_DEP_1)
	v_xor_b32_e32 v6, v6, v10
	v_sub_nc_u32_e32 v7, v6, v10
	s_delay_alu instid0(VALU_DEP_1) | instskip(NEXT) | instid1(VALU_DEP_1)
	v_sub_nc_u32_e32 v6, 0, v7
	v_max_i32_e32 v6, v7, v6
	s_delay_alu instid0(VALU_DEP_1) | instskip(SKIP_1) | instid1(VALU_DEP_2)
	v_cvt_f32_u32_e32 v9, v6
	v_sub_nc_u32_e32 v10, 0, v6
	v_rcp_iflag_f32_e32 v9, v9
	v_nop
	s_delay_alu instid0(TRANS32_DEP_1) | instskip(NEXT) | instid1(VALU_DEP_1)
	v_mul_f32_e32 v9, 0x4f7ffffe, v9
	v_cvt_u32_f32_e32 v9, v9
	s_delay_alu instid0(VALU_DEP_1) | instskip(NEXT) | instid1(VALU_DEP_1)
	v_mul_lo_u32 v10, v10, v9
	v_mul_hi_u32 v10, v9, v10
	s_wait_loadcnt 0x0
	v_readfirstlane_b32 s13, v0
	s_delay_alu instid0(VALU_DEP_2)
	v_add_nc_u32_e32 v0, v9, v10
	v_mov_b32_e32 v9, v1
	scratch_store_b32 off, v9, s32 offset:312 ; 4-byte Folded Spill
	s_wait_xcnt 0x0
	v_cmpx_ne_u64_e32 0, v[32:33]
	s_cbranch_execz .LBB351_2
; %bb.1:
	s_ashr_i32 s1, s0, 31
	s_delay_alu instid0(SALU_CYCLE_1)
	v_lshl_add_u64 v[10:11], s[0:1], 2, v[32:33]
	flat_load_b32 v9, v[10:11]
	s_wait_loadcnt_dscnt 0x0
	scratch_store_b32 off, v9, s32 offset:312 ; 4-byte Folded Spill
.LBB351_2:
	s_wait_xcnt 0x0
	s_or_b32 exec_lo, exec_lo, s3
	v_mul_u64_e32 v[0:1], s[6:7], v[0:1]
	v_and_b32_e32 v37, 0x3ff, v31
	v_ashrrev_i32_e32 v0, 31, v7
	s_ashr_i32 s1, s0, 31
	s_mul_i32 s4, s0, 0x78
	s_mov_b32 s3, exec_lo
	v_cmpx_gt_u32_e32 15, v37
	s_cbranch_execz .LBB351_4
; %bb.3:
	v_mul_lo_u32 v10, v17, s11
	s_ashr_i32 s5, s4, 31
	v_dual_mov_b32 v21, 0 :: v_dual_lshlrev_b32 v20, 4, v37
	s_delay_alu instid0(VALU_DEP_2) | instskip(NEXT) | instid1(VALU_DEP_1)
	v_ashrrev_i32_e32 v11, 31, v10
	v_lshl_add_u64 v[2:3], v[10:11], 1, v[2:3]
	s_delay_alu instid0(VALU_DEP_1) | instskip(NEXT) | instid1(VALU_DEP_1)
	v_lshl_add_u64 v[2:3], s[4:5], 1, v[2:3]
	v_add_nc_u64_e32 v[2:3], v[2:3], v[20:21]
	flat_load_b128 v[10:13], v[2:3]
	s_wait_loadcnt_dscnt 0x0
	ds_store_b128 v20, v[10:13]
.LBB351_4:
	s_wait_xcnt 0x0
	s_or_b32 exec_lo, exec_lo, s3
	s_delay_alu instid0(VALU_DEP_4) | instskip(SKIP_3) | instid1(VALU_DEP_3)
	v_dual_sub_nc_u32 v2, 0, v27 :: v_dual_add_nc_u32 v9, 1, v1
	v_mul_lo_u32 v3, v1, v6
	v_xor_b32_e32 v11, s1, v0
	s_mov_b32 s1, exec_lo
	v_max_i32_e32 v7, v27, v2
	s_delay_alu instid0(VALU_DEP_1) | instskip(NEXT) | instid1(VALU_DEP_4)
	v_cvt_f32_u32_e32 v2, v7
	v_sub_nc_u32_e32 v3, s6, v3
	s_delay_alu instid0(VALU_DEP_2) | instskip(NEXT) | instid1(VALU_DEP_1)
	v_rcp_iflag_f32_e32 v2, v2
	v_cmp_ge_u32_e32 vcc_lo, v3, v6
	s_delay_alu instid0(TRANS32_DEP_1) | instskip(SKIP_4) | instid1(VALU_DEP_2)
	v_mul_f32_e32 v2, 0x4f7ffffe, v2
	scratch_store_b32 off, v7, s32 offset:204 ; 4-byte Folded Spill
	s_wait_xcnt 0x0
	v_dual_sub_nc_u32 v7, 0, v7 :: v_dual_cndmask_b32 v1, v1, v9, vcc_lo
	v_cvt_u32_f32_e32 v2, v2
	v_add_nc_u32_e32 v9, 1, v1
	s_delay_alu instid0(VALU_DEP_2) | instskip(SKIP_2) | instid1(VALU_DEP_1)
	v_mul_lo_u32 v10, v7, v2
	v_sub_nc_u32_e32 v7, v3, v6
	s_wait_dscnt 0x0
	v_dual_cndmask_b32 v3, v3, v7, vcc_lo :: v_dual_add_nc_u32 v7, -1, v16
	s_delay_alu instid0(VALU_DEP_1) | instskip(NEXT) | instid1(VALU_DEP_4)
	v_cmp_ge_u32_e32 vcc_lo, v3, v6
	v_mul_hi_u32 v10, v2, v10
	v_dual_cndmask_b32 v0, v1, v9 :: v_dual_mov_b32 v1, 0
	s_delay_alu instid0(VALU_DEP_4) | instskip(NEXT) | instid1(VALU_DEP_2)
	v_sub_nc_u32_e32 v3, 0, v7
	v_dual_mov_b32 v13, v1 :: v_dual_bitop2_b32 v6, v0, v11 bitop3:0x14
	s_delay_alu instid0(VALU_DEP_2) | instskip(NEXT) | instid1(VALU_DEP_2)
	v_dual_add_nc_u32 v12, v2, v10 :: v_dual_max_i32 v0, v7, v3
                                        ; implicit-def: $vgpr2
                                        ; kill: killed $vgpr2
	v_sub_nc_u32_e32 v6, v6, v11
	scratch_store_b64 off, v[12:13], s32 offset:208 ; 8-byte Folded Spill
	s_wait_storecnt 0x0
	s_barrier_signal -1
	s_barrier_wait -1
	s_wait_xcnt 0x0
	v_cmpx_gt_i32_e32 0, v28
	s_xor_b32 s1, exec_lo, s1
	s_cbranch_execz .LBB351_6
; %bb.5:
	v_mad_u32 v2, v24, v8, v6
                                        ; implicit-def: $vgpr24
	s_delay_alu instid0(VALU_DEP_1) | instskip(NEXT) | instid1(VALU_DEP_1)
	v_mul_lo_u32 v2, v2, v28
                                        ; implicit-def: $vgpr28
	v_sub_nc_u32_e32 v2, 1, v2
	scratch_store_b32 off, v2, s32 offset:220 ; 4-byte Folded Spill
.LBB351_6:
	s_wait_xcnt 0x0
	s_or_saveexec_b32 s1, s1
	scratch_load_b64 v[2:3], off, s32 offset:208 ; 8-byte Folded Reload
	s_wait_loadcnt 0x0
	v_mul_u64_e32 v[2:3], v[0:1], v[2:3]
	v_ashrrev_i32_e32 v1, 31, v7
	v_ashrrev_i32_e32 v2, 31, v27
	scratch_store_b32 off, v2, s32 offset:216 ; 4-byte Folded Spill
	s_wait_xcnt 0x0
	s_xor_b32 exec_lo, exec_lo, s1
	s_cbranch_execz .LBB351_8
; %bb.7:
	v_mad_u32 v2, s12, v24, s0
	s_delay_alu instid0(VALU_DEP_1)
	v_mad_u32 v2, v2, v28, 1
	scratch_store_b32 off, v2, s32 offset:220 ; 4-byte Folded Spill
.LBB351_8:
	s_wait_xcnt 0x0
	s_or_b32 exec_lo, exec_lo, s1
	scratch_load_b32 v10, off, s32 offset:204 ; 4-byte Folded Reload
	v_mul_lo_u32 v12, v14, s11
	s_load_b32 s5, s[8:9], 0x8
	v_mov_b32_e32 v24, 0xff7fffff
	s_ashr_i32 s3, s2, 31
	s_get_pc_i64 s[6:7]
	s_add_nc_u64 s[6:7], s[6:7], llvm.amdgcn.dynlds.offset.table@rel64+4
	s_lshl_b64 s[2:3], s[2:3], 2
	v_lshrrev_b32_e32 v38, 5, v37
	s_add_nc_u64 s[6:7], s[6:7], s[2:3]
	s_delay_alu instid0(VALU_DEP_3) | instskip(SKIP_3) | instid1(VALU_DEP_1)
	v_dual_sub_nc_u32 v17, 0, v26 :: v_dual_ashrrev_i32 v13, 31, v12
	scratch_store_b64 off, v[12:13], s32 offset:876 ; 8-byte Folded Spill
	s_wait_loadcnt 0x0
	v_mul_lo_u32 v2, v3, v10
	v_dual_sub_nc_u32 v0, v0, v2 :: v_dual_add_nc_u32 v2, 1, v3
	s_delay_alu instid0(VALU_DEP_1) | instskip(SKIP_1) | instid1(VALU_DEP_3)
	v_dual_add_nc_u32 v7, 31, v16 :: v_dual_sub_nc_u32 v8, v0, v10
	v_cmp_ge_u32_e32 vcc_lo, v0, v10
	v_cndmask_b32_e32 v2, v3, v2, vcc_lo
	scratch_load_b32 v3, off, s32 offset:216 ; 4-byte Folded Reload
	v_cndmask_b32_e32 v0, v0, v8, vcc_lo
	s_delay_alu instid0(VALU_DEP_1) | instskip(SKIP_3) | instid1(VALU_DEP_1)
	v_cmp_ge_u32_e32 vcc_lo, v0, v10
	s_wait_loadcnt 0x0
	v_xor_b32_e32 v1, v1, v3
	v_dual_ashrrev_i32 v3, 31, v7 :: v_dual_add_nc_u32 v8, 1, v2
	v_dual_lshrrev_b32 v3, 27, v3 :: v_dual_bitop2_b32 v9, 31, v37 bitop3:0x40
	s_delay_alu instid0(VALU_DEP_2) | instskip(SKIP_4) | instid1(VALU_DEP_1)
	v_cndmask_b32_e32 v0, v2, v8, vcc_lo
	v_mul_lo_u32 v8, v6, v19
	scratch_store_b32 off, v9, s32 offset:472 ; 4-byte Folded Spill
	v_dual_lshlrev_b32 v22, 2, v9 :: v_dual_add_nc_u32 v2, v7, v3
	v_dual_lshlrev_b32 v6, 5, v38 :: v_dual_bitop2_b32 v0, v0, v1 bitop3:0x14
	v_dual_ashrrev_i32 v2, 5, v2 :: v_dual_sub_nc_u32 v0, v0, v1
	scratch_store_b64 off, v[6:7], s32 offset:904 ; 8-byte Folded Spill
	s_wait_xcnt 0x1
	v_ashrrev_i32_e32 v9, 31, v8
	v_cmp_lt_i32_e64 s0, v38, v2
	v_sub_nc_u32_e32 v0, v0, v25
	s_clause 0x2
	scratch_store_b64 off, v[8:9], s32 offset:884
	scratch_store_b32 off, v2, s32 offset:192
	scratch_store_b32 off, v0, s32 offset:224
	s_wait_xcnt 0x0
	v_lshrrev_b32_e32 v0, 3, v37
	scratch_store_b32 off, v0, s32 offset:892 ; 4-byte Folded Spill
	s_wait_xcnt 0x0
	s_mov_b32 s3, exec_lo
	s_delay_alu instid0(SALU_CYCLE_1)
	s_and_b32 s1, s3, s0
	s_clause 0x1
	scratch_store_b32 off, v37, s32 offset:860
	scratch_store_b32 off, v38, s32 offset:864
	s_wait_xcnt 0x0
	s_mov_b32 exec_lo, s1
	s_cbranch_execz .LBB351_976
; %bb.9:
	scratch_store_b64 off, v[48:49], s32 offset:916 ; 8-byte Folded Spill
	s_wait_xcnt 0x0
	v_mov_b32_e32 v49, 0
	v_lshl_or_b32 v25, v38, 7, v22
	v_mov_b32_e32 v24, 0xff7fffff
	s_mov_b32 s15, 0
	ds_load_b128 v[0:3], v49
	ds_load_b128 v[6:9], v49 offset:16
	ds_load_b128 v[34:37], v49 offset:32
	;; [unrolled: 1-line block ×4, first 2 shown]
	s_mov_b64 s[8:9], 0xffffffffffffff
	v_lshlrev_b32_e32 v52, 5, v38
	s_wait_dscnt 0x4
	v_and_b32_e32 v11, 0xffff0000, v0
	s_wait_dscnt 0x3
	v_dual_lshlrev_b32 v10, 16, v0 :: v_dual_lshlrev_b32 v0, 16, v7
	ds_load_b128 v[18:21], v49 offset:144
	scratch_store_b64 off, v[10:11], s32 offset:328 ; 8-byte Folded Spill
	s_wait_xcnt 0x0
	v_and_b32_e32 v11, 0xffff0000, v6
	s_wait_dscnt 0x2
	v_dual_lshlrev_b32 v10, 16, v6 :: v_dual_lshlrev_b32 v6, 16, v15
	scratch_store_b64 off, v[10:11], s32 offset:336 ; 8-byte Folded Spill
	s_wait_xcnt 0x0
	v_and_b32_e32 v11, 0xffff0000, v1
	v_lshlrev_b32_e32 v10, 16, v1
	v_and_b32_e32 v1, 0xffff0000, v7
	v_and_b32_e32 v7, 0xffff0000, v15
	s_clause 0x2
	scratch_store_b64 off, v[10:11], s32 offset:344
	scratch_store_b64 off, v[0:1], s32 offset:352
	;; [unrolled: 1-line block ×3, first 2 shown]
	s_wait_xcnt 0x1
	v_and_b32_e32 v1, 0xffff0000, v2
	v_lshlrev_b32_e32 v0, 16, v2
	s_wait_dscnt 0x1
	s_wait_xcnt 0x0
	v_and_b32_e32 v7, 0xffff0000, v28
	v_lshlrev_b32_e32 v6, 16, v28
	v_and_b32_e32 v11, 0xffff0000, v31
	v_lshlrev_b32_e32 v10, 16, v31
	scratch_store_b64 off, v[0:1], s32 offset:360 ; 8-byte Folded Spill
	s_wait_xcnt 0x0
	v_and_b32_e32 v1, 0xffff0000, v8
	v_lshlrev_b32_e32 v0, 16, v8
	scratch_store_b64 off, v[6:7], s32 offset:492 ; 8-byte Folded Spill
	s_wait_xcnt 0x0
	;; [unrolled: 4-line block ×7, first 2 shown]
	v_and_b32_e32 v1, 0xffff0000, v35
	v_lshlrev_b32_e32 v0, 16, v35
	ds_load_b128 v[32:35], v49 offset:80
	scratch_store_b64 off, v[0:1], s32 offset:400 ; 8-byte Folded Spill
	s_wait_xcnt 0x0
	v_and_b32_e32 v1, 0xffff0000, v36
	v_lshlrev_b32_e32 v0, 16, v36
	scratch_store_b64 off, v[0:1], s32 offset:408 ; 8-byte Folded Spill
	s_wait_xcnt 0x0
	v_and_b32_e32 v1, 0xffff0000, v37
	v_lshlrev_b32_e32 v0, 16, v37
	;; [unrolled: 4-line block ×5, first 2 shown]
	scratch_store_b64 off, v[0:1], s32 offset:456 ; 8-byte Folded Spill
	s_wait_xcnt 0x0
	ds_load_b128 v[0:3], v49 offset:96
	s_wait_dscnt 0x1
	v_and_b32_e32 v15, 0xffff0000, v35
	v_lshlrev_b32_e32 v14, 16, v35
	scratch_store_b64 off, v[10:11], s32 offset:516 ; 8-byte Folded Spill
	s_wait_xcnt 0x0
	v_and_b32_e32 v11, 0xffff0000, v32
	v_lshlrev_b32_e32 v10, 16, v32
	scratch_store_b64 off, v[6:7], s32 offset:508 ; 8-byte Folded Spill
	s_wait_xcnt 0x0
	ds_load_b128 v[6:9], v49 offset:112
	scratch_store_b64 off, v[14:15], s32 offset:548 ; 8-byte Folded Spill
	s_wait_dscnt 0x1
	s_wait_xcnt 0x0
	v_and_b32_e32 v15, 0xffff0000, v0
	v_lshlrev_b32_e32 v14, 16, v0
	scratch_store_b64 off, v[10:11], s32 offset:524 ; 8-byte Folded Spill
	s_wait_xcnt 0x0
	v_and_b32_e32 v11, 0xffff0000, v33
	v_dual_lshlrev_b32 v10, 16, v33 :: v_dual_lshlrev_b32 v0, 16, v2
	scratch_store_b64 off, v[14:15], s32 offset:556 ; 8-byte Folded Spill
	s_wait_xcnt 0x0
	v_and_b32_e32 v15, 0xffff0000, v1
	v_lshlrev_b32_e32 v14, 16, v1
	scratch_store_b64 off, v[10:11], s32 offset:532 ; 8-byte Folded Spill
	s_wait_xcnt 0x0
	v_and_b32_e32 v11, 0xffff0000, v34
	v_lshlrev_b32_e32 v10, 16, v34
	v_and_b32_e32 v1, 0xffff0000, v2
	s_clause 0x1
	scratch_store_b64 off, v[10:11], s32 offset:540
	scratch_store_b64 off, v[0:1], s32 offset:572
	s_wait_xcnt 0x1
	ds_load_b128 v[10:13], v49 offset:128
	s_wait_xcnt 0x0
	v_and_b32_e32 v1, 0xffff0000, v3
	v_lshlrev_b32_e32 v0, 16, v3
	s_clause 0x1
	scratch_store_b64 off, v[14:15], s32 offset:564
	scratch_store_b64 off, v[0:1], s32 offset:580
	s_wait_dscnt 0x1
	s_wait_xcnt 0x0
	v_and_b32_e32 v1, 0xffff0000, v6
	v_dual_lshlrev_b32 v0, 16, v6 :: v_dual_lshlrev_b32 v6, 16, v9
	scratch_store_b64 off, v[0:1], s32 offset:588 ; 8-byte Folded Spill
	s_wait_xcnt 0x0
	v_and_b32_e32 v1, 0xffff0000, v7
	v_lshlrev_b32_e32 v0, 16, v7
	v_and_b32_e32 v7, 0xffff0000, v9
	s_clause 0x1
	scratch_store_b64 off, v[0:1], s32 offset:596
	scratch_store_b64 off, v[6:7], s32 offset:612
	s_wait_xcnt 0x1
	v_and_b32_e32 v1, 0xffff0000, v8
	v_lshlrev_b32_e32 v0, 16, v8
	s_wait_dscnt 0x0
	s_wait_xcnt 0x0
	v_and_b32_e32 v7, 0xffff0000, v10
	v_dual_lshlrev_b32 v6, 16, v10 :: v_dual_lshlrev_b32 v10, 16, v12
	scratch_store_b64 off, v[0:1], s32 offset:604 ; 8-byte Folded Spill
	s_wait_xcnt 0x0
	ds_load_b128 v[0:3], v49 offset:160
	scratch_store_b64 off, v[6:7], s32 offset:620 ; 8-byte Folded Spill
	s_wait_xcnt 0x0
	v_and_b32_e32 v7, 0xffff0000, v11
	v_lshlrev_b32_e32 v6, 16, v11
	v_and_b32_e32 v11, 0xffff0000, v12
	s_clause 0x1
	scratch_store_b64 off, v[6:7], s32 offset:628
	scratch_store_b64 off, v[10:11], s32 offset:636
	s_wait_xcnt 0x0
	v_and_b32_e32 v11, 0xffff0000, v13
	v_lshlrev_b32_e32 v10, 16, v13
	ds_load_b128 v[6:9], v49 offset:176
	scratch_store_b64 off, v[10:11], s32 offset:644 ; 8-byte Folded Spill
	s_wait_xcnt 0x0
	v_and_b32_e32 v11, 0xffff0000, v18
	v_lshlrev_b32_e32 v10, 16, v18
	scratch_store_b64 off, v[10:11], s32 offset:652 ; 8-byte Folded Spill
	s_wait_xcnt 0x0
	v_and_b32_e32 v11, 0xffff0000, v19
	v_lshlrev_b32_e32 v10, 16, v19
	scratch_store_b64 off, v[10:11], s32 offset:660 ; 8-byte Folded Spill
	s_wait_xcnt 0x0
	v_and_b32_e32 v11, 0xffff0000, v20
	v_lshlrev_b32_e32 v10, 16, v20
	scratch_store_b64 off, v[10:11], s32 offset:668 ; 8-byte Folded Spill
	s_wait_xcnt 0x0
	v_and_b32_e32 v11, 0xffff0000, v21
	v_lshlrev_b32_e32 v10, 16, v21
	scratch_store_b64 off, v[10:11], s32 offset:676 ; 8-byte Folded Spill
	s_wait_dscnt 0x1
	s_wait_xcnt 0x0
	v_and_b32_e32 v11, 0xffff0000, v0
	v_dual_lshlrev_b32 v10, 16, v0 :: v_dual_lshlrev_b32 v0, 16, v2
	scratch_store_b64 off, v[10:11], s32 offset:684 ; 8-byte Folded Spill
	s_wait_xcnt 0x0
	v_and_b32_e32 v11, 0xffff0000, v1
	v_lshlrev_b32_e32 v10, 16, v1
	v_and_b32_e32 v1, 0xffff0000, v2
	s_clause 0x1
	scratch_store_b64 off, v[10:11], s32 offset:692
	scratch_store_b64 off, v[0:1], s32 offset:700
	s_wait_xcnt 0x0
	v_and_b32_e32 v1, 0xffff0000, v3
	v_lshlrev_b32_e32 v0, 16, v3
	scratch_store_b64 off, v[0:1], s32 offset:708 ; 8-byte Folded Spill
	s_wait_xcnt 0x0
	ds_load_b128 v[0:3], v49 offset:192
	s_wait_dscnt 0x1
	v_and_b32_e32 v11, 0xffff0000, v6
	v_dual_lshlrev_b32 v10, 16, v6 :: v_dual_lshlrev_b32 v6, 16, v8
	scratch_store_b64 off, v[10:11], s32 offset:716 ; 8-byte Folded Spill
	s_wait_xcnt 0x0
	v_and_b32_e32 v11, 0xffff0000, v7
	v_lshlrev_b32_e32 v10, 16, v7
	v_and_b32_e32 v7, 0xffff0000, v8
	scratch_store_b64 off, v[10:11], s32 offset:724 ; 8-byte Folded Spill
	s_wait_dscnt 0x0
	s_wait_xcnt 0x0
	v_and_b32_e32 v11, 0xffff0000, v0
	v_lshlrev_b32_e32 v10, 16, v0
	scratch_store_b64 off, v[6:7], s32 offset:732 ; 8-byte Folded Spill
	s_wait_xcnt 0x0
	v_and_b32_e32 v7, 0xffff0000, v9
	v_dual_lshlrev_b32 v6, 16, v9 :: v_dual_lshlrev_b32 v0, 16, v2
	scratch_store_b64 off, v[10:11], s32 offset:748 ; 8-byte Folded Spill
	s_wait_xcnt 0x0
	v_and_b32_e32 v11, 0xffff0000, v1
	v_lshlrev_b32_e32 v10, 16, v1
	scratch_store_b64 off, v[6:7], s32 offset:740 ; 8-byte Folded Spill
	s_wait_xcnt 0x0
	ds_load_b128 v[6:9], v49 offset:208
	v_and_b32_e32 v1, 0xffff0000, v2
	s_clause 0x1
	scratch_store_b64 off, v[10:11], s32 offset:756
	scratch_store_b64 off, v[0:1], s32 offset:764
	s_wait_xcnt 0x0
	v_and_b32_e32 v1, 0xffff0000, v3
	v_lshlrev_b32_e32 v0, 16, v3
	scratch_store_b64 off, v[0:1], s32 offset:772 ; 8-byte Folded Spill
	s_wait_dscnt 0x0
	s_wait_xcnt 0x0
	v_and_b32_e32 v1, 0xffff0000, v6
	v_lshlrev_b32_e32 v0, 16, v6
	scratch_store_b64 off, v[0:1], s32 offset:780 ; 8-byte Folded Spill
	s_wait_xcnt 0x0
	v_and_b32_e32 v1, 0xffff0000, v7
	v_lshlrev_b32_e32 v0, 16, v7
	scratch_store_b64 off, v[0:1], s32 offset:788 ; 8-byte Folded Spill
	;; [unrolled: 4-line block ×4, first 2 shown]
	s_wait_xcnt 0x0
	ds_load_b128 v[0:3], v49 offset:224
	s_wait_dscnt 0x0
	v_and_b32_e32 v7, 0xffff0000, v0
	v_dual_lshlrev_b32 v6, 16, v0 :: v_dual_lshlrev_b32 v0, 16, v2
	scratch_store_b64 off, v[6:7], s32 offset:812 ; 8-byte Folded Spill
	s_wait_xcnt 0x0
	v_and_b32_e32 v7, 0xffff0000, v1
	v_lshlrev_b32_e32 v6, 16, v1
	v_and_b32_e32 v1, 0xffff0000, v2
	s_clause 0x1
	scratch_store_b64 off, v[6:7], s32 offset:820
	scratch_store_b64 off, v[0:1], s32 offset:828
	s_wait_xcnt 0x0
	v_and_b32_e32 v1, 0xffff0000, v3
	v_dual_mov_b32 v3, v49 :: v_dual_lshlrev_b32 v0, 16, v3
	s_clause 0x1
	scratch_store_b64 off, v[0:1], s32 offset:836
	scratch_load_b64 v[0:1], off, s32 offset:884
	s_wait_loadcnt 0x0
	v_add_nc_u64_e32 v[0:1], v[4:5], v[0:1]
	scratch_load_b32 v4, off, s32 offset:472 ; 4-byte Folded Reload
	s_wait_loadcnt 0x0
	v_lshlrev_b32_e32 v2, 4, v4
	s_delay_alu instid0(VALU_DEP_1)
	v_add_nc_u64_e32 v[0:1], v[0:1], v[2:3]
	s_clause 0x2
	scratch_store_b64 off, v[0:1], s32 offset:844
	scratch_store_b32 off, v26, s32 offset:912
	scratch_store_b32 off, v17, s32 offset:924
	s_wait_xcnt 0x2
	v_max_i32_e32 v1, v26, v17
	scratch_load_b32 v5, off, s32 offset:312 ; 4-byte Folded Reload
	s_load_b32 s14, s[6:7], 0x0
	s_clause 0x1
	scratch_store_b32 off, v22, s32 offset:928
	scratch_store_b32 off, v16, s32 offset:856
	v_cvt_f32_u32_e32 v0, v1
	s_delay_alu instid0(VALU_DEP_1) | instskip(SKIP_1) | instid1(TRANS32_DEP_1)
	v_rcp_iflag_f32_e32 v0, v0
	v_nop
	v_mul_f32_e32 v0, 0x4f7ffffe, v0
	s_delay_alu instid0(VALU_DEP_1) | instskip(SKIP_1) | instid1(VALU_DEP_1)
	v_cvt_u32_f32_e32 v2, v0
	v_sub_nc_u32_e32 v0, 0, v1
	v_mul_lo_u32 v0, v0, v2
	s_delay_alu instid0(VALU_DEP_1)
	v_mul_hi_u32 v3, v2, v0
	scratch_load_b32 v0, off, s32 offset:892 ; 4-byte Folded Reload
	v_dual_mov_b32 v3, v49 :: v_dual_add_nc_u32 v2, v2, v3
	scratch_store_b32 off, v1, s32 offset:252 ; 4-byte Folded Spill
	s_wait_xcnt 0x0
	v_mov_b32_e32 v1, v49
	s_clause 0x1
	scratch_store_b64 off, v[2:3], s32 offset:256
	scratch_load_b64 v[2:3], off, s32 offset:876
	s_wait_loadcnt 0x1
	v_and_b32_e32 v0, 0x7c, v0
	s_wait_loadcnt 0x0
	s_delay_alu instid0(VALU_DEP_1) | instskip(SKIP_1) | instid1(VALU_DEP_1)
	v_lshl_add_u64 v[0:1], v[2:3], 2, v[0:1]
	v_sub_nc_u32_e32 v2, v4, v16
	v_add_nc_u32_e32 v2, 1, v2
	s_clause 0x1
	scratch_store_b32 off, v2, s32 offset:852
	scratch_load_b64 v[2:3], off, s32 offset:868
	v_cmp_neq_f32_e32 vcc_lo, 0, v5
	s_wait_loadcnt 0x0
	v_add_nc_u64_e32 v[0:1], v[2:3], v[0:1]
	v_mov_b32_e32 v2, v38
	scratch_store_b64 off, v[0:1], s32 offset:196 ; 8-byte Folded Spill
	s_branch .LBB351_15
.LBB351_10:                             ;   in Loop: Header=BB351_15 Depth=1
	s_or_b32 exec_lo, exec_lo, s19
	s_delay_alu instid0(VALU_DEP_1) | instskip(NEXT) | instid1(VALU_DEP_2)
	v_dual_lshlrev_b32 v17, 24, v17 :: v_dual_lshlrev_b32 v23, 20, v26
	v_lshl_add_u32 v19, v19, 23, 0x3c000000
	s_delay_alu instid0(VALU_DEP_2) | instskip(NEXT) | instid1(VALU_DEP_1)
	v_and_b32_e32 v17, 0x80000000, v17
	v_or3_b32 v23, v23, v17, v19
.LBB351_11:                             ;   in Loop: Header=BB351_15 Depth=1
	s_or_b32 exec_lo, exec_lo, s18
.LBB351_12:                             ;   in Loop: Header=BB351_15 Depth=1
	s_delay_alu instid0(SALU_CYCLE_1)
	s_or_b32 exec_lo, exec_lo, s17
.LBB351_13:                             ;   in Loop: Header=BB351_15 Depth=1
	s_delay_alu instid0(SALU_CYCLE_1)
	s_or_b32 exec_lo, exec_lo, s16
	v_pk_mul_f32 v[0:1], v[64:65], v[0:1] op_sel_hi:[0,1]
	v_fma_mixlo_bf16 v5, v64, v55, 0
	v_fma_mixlo_bf16 v48, v64, v9, 0
	;; [unrolled: 1-line block ×3, first 2 shown]
	v_pk_mul_f32 v[52:53], v[64:65], v[36:37] op_sel_hi:[0,1]
	scratch_store_b64 off, v[0:1], s32 offset:296 ; 8-byte Folded Spill
	s_wait_xcnt 0x0
	v_pk_mul_f32 v[0:1], v[64:65], v[6:7] op_sel_hi:[0,1]
	v_fma_mixlo_bf16 v7, v64, v4, 0
	v_fma_mixlo_bf16 v6, v64, v8, 0
	;; [unrolled: 1-line block ×3, first 2 shown]
	v_pk_mul_f32 v[36:37], v[64:65], v[14:15] op_sel_hi:[0,1]
	scratch_store_b64 off, v[0:1], s32 offset:280 ; 8-byte Folded Spill
	s_wait_xcnt 0x0
	v_pk_mul_f32 v[0:1], v[64:65], v[124:125] op_sel_hi:[0,1]
	v_fma_mixlo_bf16 v125, v64, v20, 0
	v_pk_mul_f32 v[24:25], v[64:65], v[12:13] op_sel_hi:[0,1]
	v_pk_mul_f32 v[12:13], v[64:65], v[50:51] op_sel_hi:[0,1]
	;; [unrolled: 1-line block ×3, first 2 shown]
	scratch_store_b64 off, v[0:1], s32 offset:288 ; 8-byte Folded Spill
	s_wait_xcnt 0x0
	v_pk_mul_f32 v[0:1], v[64:65], v[108:109] op_sel_hi:[0,1]
	v_pk_mul_f32 v[108:109], v[64:65], v[78:79] op_sel_hi:[0,1]
	v_pk_mul_f32 v[78:79], v[64:65], v[92:93] op_sel_hi:[0,1]
	v_pk_mul_f32 v[92:93], v[64:65], v[62:63] op_sel_hi:[0,1]
	v_pk_mul_f32 v[62:63], v[64:65], v[76:77] op_sel_hi:[0,1]
	s_clause 0x1
	scratch_store_b64 off, v[0:1], s32 offset:304
	scratch_load_b32 v0, off, s32 offset:240 th:TH_LOAD_LU
	v_pk_mul_f32 v[76:77], v[64:65], v[46:47] op_sel_hi:[0,1]
	v_pk_mul_f32 v[46:47], v[64:65], v[60:61] op_sel_hi:[0,1]
	;; [unrolled: 1-line block ×17, first 2 shown]
	v_cvt_pk_bf16_f32 v22, v82, v83
	v_pk_mul_f32 v[120:121], v[64:65], v[120:121] op_sel_hi:[0,1]
	v_pk_mul_f32 v[110:111], v[64:65], v[110:111] op_sel_hi:[0,1]
	;; [unrolled: 1-line block ×15, first 2 shown]
	v_fma_mixlo_bf16 v21, v64, v21, 0
	v_fma_mixlo_bf16 v124, v64, v65, 0
	v_fma_mixlo_bf16 v17, v64, v39, 0
	v_fma_mixlo_bf16 v16, v64, v54, 0
	v_pk_mul_f32 v[102:103], v[64:65], v[102:103] op_sel_hi:[0,1]
	v_pk_mul_f32 v[100:101], v[64:65], v[100:101] op_sel_hi:[0,1]
	;; [unrolled: 1-line block ×5, first 2 shown]
	v_cvt_pk_bf16_f32 v12, v12, v13
	s_delay_alu instid0(VALU_DEP_2) | instskip(NEXT) | instid1(VALU_DEP_2)
	v_cvt_pk_bf16_f32 v2, v2, v3
	v_and_b32_e32 v13, 0xffff0000, v12
	v_lshlrev_b32_e32 v12, 16, v12
	s_delay_alu instid0(VALU_DEP_3)
	v_and_b32_e32 v3, 0xffff0000, v2
	v_lshlrev_b32_e32 v2, 16, v2
	s_wait_loadcnt 0x0
	v_fma_mixlo_bf16 v20, v64, v0, 0
	scratch_load_b32 v0, off, s32 offset:236 th:TH_LOAD_LU ; 4-byte Folded Reload
	s_wait_loadcnt 0x0
	v_fma_mixlo_bf16 v55, v64, v0, 0
	scratch_load_b32 v0, off, s32 offset:232 th:TH_LOAD_LU ; 4-byte Folded Reload
	;; [unrolled: 3-line block ×4, first 2 shown]
	s_wait_loadcnt 0x0
	v_fma_mixlo_bf16 v18, v64, v0, 0
	v_pk_mul_f32 v[0:1], v[64:65], v[30:31] op_sel_hi:[0,1]
	v_pk_mul_f32 v[30:31], v[64:65], v[86:87] op_sel_hi:[0,1]
	s_delay_alu instid0(VALU_DEP_2) | instskip(SKIP_2) | instid1(VALU_DEP_3)
	v_cvt_pk_bf16_f32 v50, v0, v1
	v_and_b32_e32 v1, 0xffff0000, v22
	v_lshlrev_b32_e32 v0, 16, v22
	v_and_b32_e32 v23, 0xffff0000, v50
	v_lshlrev_b32_e32 v22, 16, v50
	scratch_load_b64 v[50:51], off, s32 offset:336 ; 8-byte Folded Reload
	s_wait_loadcnt 0x0
	v_pk_mul_f32 v[0:1], v[50:51], v[0:1]
	scratch_load_b64 v[50:51], off, s32 offset:328 ; 8-byte Folded Reload
	s_wait_loadcnt 0x0
	v_pk_fma_f32 v[0:1], v[50:51], v[22:23], v[0:1]
	scratch_load_b64 v[50:51], off, s32 offset:392 ; 8-byte Folded Reload
	v_cvt_pk_bf16_f32 v22, v80, v81
	s_delay_alu instid0(VALU_DEP_1) | instskip(SKIP_2) | instid1(VALU_DEP_1)
	v_and_b32_e32 v23, 0xffff0000, v22
	v_lshlrev_b32_e32 v22, 16, v22
	s_wait_loadcnt 0x0
	v_pk_fma_f32 v[64:65], v[50:51], v[22:23], v[0:1]
	v_cvt_pk_bf16_f32 v22, v24, v25
	scratch_load_b64 v[24:25], off, s32 offset:352 ; 8-byte Folded Reload
	v_cvt_pk_bf16_f32 v0, v84, v85
	v_and_b32_e32 v23, 0xffff0000, v22
	v_lshlrev_b32_e32 v22, 16, v22
	s_delay_alu instid0(VALU_DEP_3) | instskip(SKIP_2) | instid1(VALU_DEP_1)
	v_and_b32_e32 v1, 0xffff0000, v0
	v_lshlrev_b32_e32 v0, 16, v0
	s_wait_loadcnt 0x0
	v_pk_mul_f32 v[0:1], v[24:25], v[0:1]
	scratch_load_b64 v[24:25], off, s32 offset:344 ; 8-byte Folded Reload
	s_wait_loadcnt 0x0
	v_pk_fma_f32 v[0:1], v[24:25], v[22:23], v[0:1]
	scratch_load_b64 v[24:25], off, s32 offset:400 ; 8-byte Folded Reload
	v_cvt_pk_bf16_f32 v22, v66, v67
	s_delay_alu instid0(VALU_DEP_1) | instskip(SKIP_2) | instid1(VALU_DEP_1)
	v_and_b32_e32 v23, 0xffff0000, v22
	v_lshlrev_b32_e32 v22, 16, v22
	s_wait_loadcnt 0x0
	v_pk_fma_f32 v[50:51], v[24:25], v[22:23], v[0:1]
	scratch_load_b64 v[24:25], off, s32 offset:368 ; 8-byte Folded Reload
	v_cvt_pk_bf16_f32 v0, v96, v97
	v_cvt_pk_bf16_f32 v22, v36, v37
	s_delay_alu instid0(VALU_DEP_2) | instskip(SKIP_1) | instid1(VALU_DEP_3)
	v_and_b32_e32 v1, 0xffff0000, v0
	v_lshlrev_b32_e32 v0, 16, v0
	v_and_b32_e32 v23, 0xffff0000, v22
	v_lshlrev_b32_e32 v22, 16, v22
	s_wait_loadcnt 0x0
	s_delay_alu instid0(VALU_DEP_3)
	v_pk_mul_f32 v[0:1], v[24:25], v[0:1]
	scratch_load_b64 v[24:25], off, s32 offset:360 ; 8-byte Folded Reload
	s_wait_loadcnt 0x0
	v_pk_fma_f32 v[0:1], v[24:25], v[22:23], v[0:1]
	scratch_load_b64 v[24:25], off, s32 offset:408 ; 8-byte Folded Reload
	v_cvt_pk_bf16_f32 v22, v100, v101
	s_delay_alu instid0(VALU_DEP_1) | instskip(SKIP_2) | instid1(VALU_DEP_1)
	v_and_b32_e32 v23, 0xffff0000, v22
	v_lshlrev_b32_e32 v22, 16, v22
	s_wait_loadcnt 0x0
	v_pk_fma_f32 v[36:37], v[24:25], v[22:23], v[0:1]
	scratch_load_b64 v[22:23], off, s32 offset:384 ; 8-byte Folded Reload
	v_cvt_pk_bf16_f32 v0, v52, v53
	scratch_load_b64 v[24:25], off, s32 offset:492 ; 8-byte Folded Reload
	v_and_b32_e32 v1, 0xffff0000, v0
	v_lshlrev_b32_e32 v0, 16, v0
	s_wait_loadcnt 0x1
	s_delay_alu instid0(VALU_DEP_1)
	v_pk_mul_f32 v[0:1], v[22:23], v[0:1]
	scratch_load_b64 v[22:23], off, s32 offset:376 ; 8-byte Folded Reload
	s_wait_loadcnt 0x0
	v_pk_fma_f32 v[0:1], v[22:23], v[2:3], v[0:1]
	scratch_load_b64 v[22:23], off, s32 offset:424 ; 8-byte Folded Reload
	v_cvt_pk_bf16_f32 v2, v98, v99
	s_delay_alu instid0(VALU_DEP_1) | instskip(SKIP_2) | instid1(VALU_DEP_1)
	v_and_b32_e32 v3, 0xffff0000, v2
	v_lshlrev_b32_e32 v2, 16, v2
	s_wait_loadcnt 0x0
	v_pk_fma_f32 v[22:23], v[22:23], v[2:3], v[0:1]
	v_cvt_pk_bf16_f32 v0, v102, v103
	v_lshlrev_b32_e32 v2, 16, v4
	v_lshlrev_b32_e32 v3, 16, v16
	s_delay_alu instid0(VALU_DEP_3) | instskip(SKIP_4) | instid1(VALU_DEP_1)
	v_and_b32_e32 v67, 0xffff0000, v0
	v_lshlrev_b32_e32 v66, 16, v0
	scratch_load_b64 v[0:1], off, s32 offset:432 ; 8-byte Folded Reload
	s_wait_loadcnt 0x0
	v_pk_fma_f32 v[0:1], v[0:1], v[66:67], v[64:65]
	v_pk_fma_f32 v[0:1], v[2:3], v[24:25], v[0:1]
	scratch_load_b64 v[24:25], off, s32 offset:524 ; 8-byte Folded Reload
	v_dual_lshlrev_b32 v3, 16, v5 :: v_dual_lshlrev_b32 v2, 16, v7
	s_wait_loadcnt 0x0
	s_delay_alu instid0(VALU_DEP_1) | instskip(SKIP_2) | instid1(VALU_DEP_1)
	v_pk_fma_f32 v[0:1], v[24:25], v[2:3], v[0:1]
	scratch_load_b64 v[24:25], off, s32 offset:556 ; 8-byte Folded Reload
	v_cvt_pk_bf16_f32 v2, v114, v115
	v_and_b32_e32 v3, 0xffff0000, v2
	v_lshlrev_b32_e32 v2, 16, v2
	s_wait_loadcnt 0x0
	s_delay_alu instid0(VALU_DEP_1) | instskip(SKIP_2) | instid1(VALU_DEP_1)
	v_pk_fma_f32 v[0:1], v[24:25], v[2:3], v[0:1]
	scratch_load_b64 v[24:25], off, s32 offset:588 ; 8-byte Folded Reload
	v_cvt_pk_bf16_f32 v2, v60, v61
	v_and_b32_e32 v3, 0xffff0000, v2
	v_lshlrev_b32_e32 v2, 16, v2
	;; [unrolled: 7-line block ×9, first 2 shown]
	s_wait_loadcnt 0x0
	s_delay_alu instid0(VALU_DEP_1)
	v_pk_fma_f32 v[30:31], v[24:25], v[2:3], v[0:1]
	s_clause 0x2
	scratch_load_b64 v[2:3], off, s32 offset:440
	scratch_load_b64 v[24:25], off, s32 offset:500
	scratch_load_b64 v[4:5], off, s32 offset:296 th:TH_LOAD_LU
	v_cvt_pk_bf16_f32 v0, v112, v113
	s_delay_alu instid0(VALU_DEP_1) | instskip(SKIP_2) | instid1(VALU_DEP_1)
	v_and_b32_e32 v1, 0xffff0000, v0
	v_lshlrev_b32_e32 v0, 16, v0
	s_wait_loadcnt 0x2
	v_pk_fma_f32 v[0:1], v[2:3], v[0:1], v[50:51]
	v_dual_lshlrev_b32 v2, 16, v17 :: v_dual_lshlrev_b32 v3, 16, v19
	s_wait_loadcnt 0x1
	s_delay_alu instid0(VALU_DEP_1) | instskip(SKIP_3) | instid1(VALU_DEP_1)
	v_pk_fma_f32 v[0:1], v[2:3], v[24:25], v[0:1]
	scratch_load_b64 v[24:25], off, s32 offset:532 ; 8-byte Folded Reload
	v_dual_lshlrev_b32 v3, 16, v124 :: v_dual_lshlrev_b32 v2, 16, v125
	s_wait_loadcnt 0x0
	v_pk_fma_f32 v[0:1], v[24:25], v[2:3], v[0:1]
	scratch_load_b64 v[24:25], off, s32 offset:564 ; 8-byte Folded Reload
	v_cvt_pk_bf16_f32 v2, v44, v45
	s_delay_alu instid0(VALU_DEP_1) | instskip(SKIP_2) | instid1(VALU_DEP_1)
	v_and_b32_e32 v3, 0xffff0000, v2
	v_lshlrev_b32_e32 v2, 16, v2
	s_wait_loadcnt 0x0
	v_pk_fma_f32 v[0:1], v[24:25], v[2:3], v[0:1]
	scratch_load_b64 v[24:25], off, s32 offset:596 ; 8-byte Folded Reload
	v_cvt_pk_bf16_f32 v2, v40, v41
	s_delay_alu instid0(VALU_DEP_1) | instskip(SKIP_2) | instid1(VALU_DEP_1)
	v_and_b32_e32 v3, 0xffff0000, v2
	v_lshlrev_b32_e32 v2, 16, v2
	;; [unrolled: 7-line block ×8, first 2 shown]
	s_wait_loadcnt 0x0
	v_pk_fma_f32 v[0:1], v[24:25], v[2:3], v[0:1]
	v_cvt_pk_bf16_f32 v2, v14, v15
	s_clause 0x1
	scratch_load_b64 v[14:15], off, s32 offset:820
	scratch_load_b64 v[24:25], off, s32 offset:508
	v_and_b32_e32 v3, 0xffff0000, v2
	v_lshlrev_b32_e32 v2, 16, v2
	s_wait_loadcnt 0x1
	s_delay_alu instid0(VALU_DEP_1) | instskip(SKIP_2) | instid1(VALU_DEP_1)
	v_pk_fma_f32 v[0:1], v[14:15], v[2:3], v[0:1]
	scratch_load_b64 v[14:15], off, s32 offset:456 ; 8-byte Folded Reload
	v_cvt_pk_bf16_f32 v2, v34, v35
	v_and_b32_e32 v3, 0xffff0000, v2
	v_lshlrev_b32_e32 v2, 16, v2
	s_wait_loadcnt 0x0
	s_delay_alu instid0(VALU_DEP_1) | instskip(SKIP_1) | instid1(VALU_DEP_1)
	v_pk_fma_f32 v[2:3], v[14:15], v[2:3], v[36:37]
	v_dual_lshlrev_b32 v14, 16, v55 :: v_dual_lshlrev_b32 v15, 16, v20
	v_pk_fma_f32 v[2:3], v[14:15], v[24:25], v[2:3]
	v_lshlrev_b32_e32 v14, 16, v21
	scratch_load_b64 v[20:21], off, s32 offset:540 ; 8-byte Folded Reload
	v_lshlrev_b32_e32 v15, 16, v48
	s_wait_loadcnt 0x0
	s_delay_alu instid0(VALU_DEP_1) | instskip(SKIP_2) | instid1(VALU_DEP_1)
	v_pk_fma_f32 v[2:3], v[20:21], v[14:15], v[2:3]
	scratch_load_b64 v[20:21], off, s32 offset:572 ; 8-byte Folded Reload
	v_cvt_pk_bf16_f32 v14, v116, v117
	v_and_b32_e32 v15, 0xffff0000, v14
	v_lshlrev_b32_e32 v14, 16, v14
	s_wait_loadcnt 0x0
	s_delay_alu instid0(VALU_DEP_1) | instskip(SKIP_2) | instid1(VALU_DEP_1)
	v_pk_fma_f32 v[2:3], v[20:21], v[14:15], v[2:3]
	scratch_load_b64 v[20:21], off, s32 offset:604 ; 8-byte Folded Reload
	v_cvt_pk_bf16_f32 v14, v42, v43
	v_and_b32_e32 v15, 0xffff0000, v14
	;; [unrolled: 7-line block ×7, first 2 shown]
	v_lshlrev_b32_e32 v14, 16, v14
	s_wait_loadcnt 0x0
	s_delay_alu instid0(VALU_DEP_1) | instskip(SKIP_3) | instid1(VALU_DEP_2)
	v_pk_fma_f32 v[2:3], v[20:21], v[14:15], v[2:3]
	scratch_load_b64 v[20:21], off, s32 offset:796 ; 8-byte Folded Reload
	v_cvt_pk_bf16_f32 v14, v4, v5
	v_cvt_pk_bf16_f32 v5, v32, v33
	v_and_b32_e32 v15, 0xffff0000, v14
	v_lshlrev_b32_e32 v14, 16, v14
	s_wait_loadcnt 0x0
	s_delay_alu instid0(VALU_DEP_1)
	v_pk_fma_f32 v[2:3], v[20:21], v[14:15], v[2:3]
	scratch_load_b64 v[14:15], off, s32 offset:828 ; 8-byte Folded Reload
	s_wait_loadcnt 0x0
	v_pk_fma_f32 v[2:3], v[14:15], v[12:13], v[2:3]
	scratch_load_b64 v[14:15], off, s32 offset:484 ; 8-byte Folded Reload
	v_cvt_pk_bf16_f32 v12, v28, v29
	s_delay_alu instid0(VALU_DEP_1) | instskip(SKIP_2) | instid1(VALU_DEP_1)
	v_and_b32_e32 v13, 0xffff0000, v12
	v_lshlrev_b32_e32 v12, 16, v12
	s_wait_loadcnt 0x0
	v_pk_fma_f32 v[12:13], v[14:15], v[12:13], v[22:23]
	v_lshlrev_b32_e32 v15, 16, v18
	scratch_load_b64 v[18:19], off, s32 offset:516 ; 8-byte Folded Reload
	v_dual_lshlrev_b32 v14, 16, v9 :: v_dual_lshlrev_b32 v9, 16, v8
	v_lshlrev_b32_e32 v8, 16, v6
	s_wait_loadcnt 0x0
	s_delay_alu instid0(VALU_DEP_2)
	v_pk_fma_f32 v[12:13], v[14:15], v[18:19], v[12:13]
	scratch_load_b64 v[14:15], off, s32 offset:548 ; 8-byte Folded Reload
	s_wait_loadcnt 0x0
	v_pk_fma_f32 v[8:9], v[14:15], v[8:9], v[12:13]
	scratch_load_b64 v[14:15], off, s32 offset:580 ; 8-byte Folded Reload
	v_and_b32_e32 v13, 0xffff0000, v5
	v_lshlrev_b32_e32 v12, 16, v5
	v_cvt_pk_bf16_f32 v5, v118, v119
	s_wait_loadcnt 0x0
	s_delay_alu instid0(VALU_DEP_2)
	v_pk_fma_f32 v[8:9], v[14:15], v[12:13], v[8:9]
	scratch_load_b64 v[14:15], off, s32 offset:612 ; 8-byte Folded Reload
	v_and_b32_e32 v13, 0xffff0000, v5
	v_lshlrev_b32_e32 v12, 16, v5
	v_cvt_pk_bf16_f32 v5, v46, v47
	s_wait_loadcnt 0x0
	s_delay_alu instid0(VALU_DEP_2)
	;; [unrolled: 7-line block ×3, first 2 shown]
	v_pk_fma_f32 v[8:9], v[14:15], v[12:13], v[8:9]
	scratch_load_b64 v[14:15], off, s32 offset:676 ; 8-byte Folded Reload
	v_and_b32_e32 v13, 0xffff0000, v5
	v_lshlrev_b32_e32 v12, 16, v5
	v_cvt_pk_bf16_f32 v5, v78, v79
	s_wait_loadcnt 0x0
	s_delay_alu instid0(VALU_DEP_2) | instskip(NEXT) | instid1(VALU_DEP_2)
	v_pk_fma_f32 v[8:9], v[14:15], v[12:13], v[8:9]
	v_and_b32_e32 v13, 0xffff0000, v5
	v_lshlrev_b32_e32 v12, 16, v5
	s_clause 0x1
	scratch_load_b64 v[4:5], off, s32 offset:304 th:TH_LOAD_LU
	scratch_load_b64 v[14:15], off, s32 offset:708
	s_wait_loadcnt 0x1
	v_cvt_pk_bf16_f32 v5, v4, v5
	s_delay_alu instid0(VALU_DEP_1)
	v_and_b32_e32 v7, 0xffff0000, v5
	v_lshlrev_b32_e32 v6, 16, v5
	scratch_load_b64 v[4:5], off, s32 offset:288 th:TH_LOAD_LU ; 8-byte Folded Reload
	s_wait_loadcnt 0x1
	v_pk_fma_f32 v[8:9], v[14:15], v[12:13], v[8:9]
	scratch_load_b64 v[12:13], off, s32 offset:740 ; 8-byte Folded Reload
	s_wait_loadcnt 0x1
	v_cvt_pk_bf16_f32 v5, v4, v5
	s_wait_loadcnt 0x0
	v_pk_fma_f32 v[6:7], v[12:13], v[6:7], v[8:9]
	scratch_load_b64 v[12:13], off, s32 offset:772 ; 8-byte Folded Reload
	v_and_b32_e32 v9, 0xffff0000, v5
	v_lshlrev_b32_e32 v8, 16, v5
	scratch_load_b64 v[4:5], off, s32 offset:280 th:TH_LOAD_LU ; 8-byte Folded Reload
	s_wait_loadcnt 0x1
	v_pk_fma_f32 v[6:7], v[12:13], v[8:9], v[6:7]
	scratch_load_b64 v[12:13], off, s32 offset:804 ; 8-byte Folded Reload
	s_wait_loadcnt 0x1
	v_cvt_pk_bf16_f32 v5, v4, v5
	s_delay_alu instid0(VALU_DEP_1) | instskip(SKIP_1) | instid1(VALU_DEP_1)
	v_and_b32_e32 v9, 0xffff0000, v5
	v_dual_add_f32 v5, v30, v31 :: v_dual_lshlrev_b32 v8, 16, v5
	v_add_f32_e32 v0, v5, v0
	s_delay_alu instid0(VALU_DEP_1) | instskip(SKIP_1) | instid1(VALU_DEP_2)
	v_add_f32_e32 v5, v1, v0
	v_cvt_pk_bf16_f32 v0, v10, v11
	v_add_f32_e32 v2, v2, v5
	s_delay_alu instid0(VALU_DEP_2) | instskip(NEXT) | instid1(VALU_DEP_2)
	v_and_b32_e32 v1, 0xffff0000, v0
	v_dual_lshlrev_b32 v0, 16, v0 :: v_dual_add_f32 v2, v3, v2
	s_wait_loadcnt 0x0
	v_pk_fma_f32 v[6:7], v[12:13], v[8:9], v[6:7]
	scratch_load_b64 v[8:9], off, s32 offset:836 ; 8-byte Folded Reload
	s_wait_loadcnt 0x0
	v_pk_fma_f32 v[0:1], v[8:9], v[0:1], v[6:7]
	s_delay_alu instid0(VALU_DEP_1) | instskip(NEXT) | instid1(VALU_DEP_1)
	v_add_f32_e32 v0, v0, v2
	v_add_f32_e32 v0, v1, v0
	s_clause 0x5
	scratch_load_b32 v1, off, s32 offset:852
	scratch_load_b64 v[52:53], off, s32 offset:264
	scratch_load_b32 v2, off, s32 offset:312
	scratch_load_b32 v16, off, s32 offset:856
	;; [unrolled: 1-line block ×3, first 2 shown]
	scratch_load_b32 v24, off, s32 offset:272 th:TH_LOAD_LU
	s_load_b32 s16, s[6:7], 0x0
	s_wait_loadcnt 0x4
	v_add_nc_u32_e32 v1, v1, v52
	s_delay_alu instid0(VALU_DEP_1) | instskip(SKIP_1) | instid1(VALU_DEP_1)
	v_cvt_f32_i32_e32 v1, v1
	s_wait_loadcnt 0x3
	v_mul_f32_e32 v1, v2, v1
	scratch_load_b32 v2, off, s32 offset:324 ; 4-byte Folded Reload
	v_cndmask_b32_e32 v1, 0, v1, vcc_lo
	s_wait_loadcnt 0x0
	s_delay_alu instid0(VALU_DEP_1) | instskip(SKIP_3) | instid1(VALU_DEP_1)
	v_fmac_f32_e32 v1, v2, v0
	scratch_load_b32 v0, off, s32 offset:472 ; 4-byte Folded Reload
	s_wait_loadcnt 0x0
	v_add_nc_u32_e32 v0, v0, v52
	v_cmp_lt_i32_e64 s1, v0, v16
	s_wait_kmcnt 0x0
	v_add_nc_u32_e32 v0, s16, v25
	s_delay_alu instid0(VALU_DEP_2) | instskip(SKIP_2) | instid1(VALU_DEP_1)
	v_cndmask_b32_e64 v2, 0, v1, s1
	ds_store_b32 v0, v2
	v_max_num_f32_e32 v0, v24, v24
	v_max_num_f32_e32 v0, v0, v1
	s_delay_alu instid0(VALU_DEP_1)
	v_cndmask_b32_e64 v24, v24, v0, s1
.LBB351_14:                             ;   in Loop: Header=BB351_15 Depth=1
	s_wait_xcnt 0x0
	s_or_b32 exec_lo, exec_lo, s2
	s_clause 0x1
	scratch_load_b32 v2, off, s32 offset:228
	scratch_load_b32 v0, off, s32 offset:192
	v_add_nc_u32_e32 v52, 0x80, v52
	v_add_nc_u32_e32 v25, 0x200, v25
	s_wait_loadcnt 0x1
	v_add_nc_u32_e32 v2, 4, v2
	s_wait_loadcnt 0x0
	s_delay_alu instid0(VALU_DEP_1)
	v_cmp_ge_i32_e64 s1, v2, v0
	scratch_load_b64 v[0:1], off, s32 offset:196 ; 8-byte Folded Reload
	s_or_b32 s15, s1, s15
	s_wait_loadcnt 0x0
	v_add_nc_u64_e32 v[0:1], 16, v[0:1]
	scratch_store_b64 off, v[0:1], s32 offset:196 ; 8-byte Folded Spill
	s_wait_xcnt 0x0
	s_and_not1_b32 exec_lo, exec_lo, s15
	s_cbranch_execz .LBB351_975
.LBB351_15:                             ; =>This Inner Loop Header: Depth=1
	s_clause 0x2
	scratch_load_b64 v[0:1], off, s32 offset:208
	scratch_load_b32 v4, off, s32 offset:252
	scratch_load_b32 v5, off, s32 offset:204
	v_mov_b32_e32 v53, v49
	scratch_store_b32 off, v2, s32 offset:228 ; 4-byte Folded Spill
	s_wait_loadcnt 0x2
	v_mul_u64_e32 v[0:1], v[52:53], v[0:1]
	s_wait_loadcnt 0x0
	s_delay_alu instid0(VALU_DEP_1) | instskip(NEXT) | instid1(VALU_DEP_1)
	v_mul_lo_u32 v0, v1, v5
	v_sub_nc_u32_e32 v0, v52, v0
	s_delay_alu instid0(VALU_DEP_1) | instskip(SKIP_2) | instid1(VALU_DEP_1)
	v_cmp_ge_u32_e64 s1, v0, v5
	v_sub_nc_u32_e32 v3, v0, v5
	s_wait_xcnt 0x0
	v_dual_add_nc_u32 v2, 1, v1 :: v_dual_cndmask_b32 v0, v0, v3, s1
	s_delay_alu instid0(VALU_DEP_1) | instskip(NEXT) | instid1(VALU_DEP_2)
	v_cndmask_b32_e64 v1, v1, v2, s1
	v_cmp_ge_u32_e64 s1, v0, v5
	s_delay_alu instid0(VALU_DEP_2) | instskip(NEXT) | instid1(VALU_DEP_1)
	v_add_nc_u32_e32 v2, 1, v1
	v_cndmask_b32_e64 v0, v1, v2, s1
	scratch_load_b32 v1, off, s32 offset:216 ; 4-byte Folded Reload
	s_wait_loadcnt 0x0
	v_xor_b32_e32 v0, v0, v1
	s_delay_alu instid0(VALU_DEP_1) | instskip(SKIP_3) | instid1(VALU_DEP_1)
	v_sub_nc_u32_e32 v2, v0, v1
	scratch_load_b32 v0, off, s32 offset:220 ; 4-byte Folded Reload
	s_wait_loadcnt 0x0
	v_add_nc_u32_e32 v3, v2, v0
	v_sub_nc_u32_e32 v0, 0, v3
	s_delay_alu instid0(VALU_DEP_1) | instskip(SKIP_3) | instid1(VALU_DEP_1)
	v_max_i32_e32 v48, v3, v0
	scratch_load_b64 v[0:1], off, s32 offset:256 ; 8-byte Folded Reload
	s_wait_loadcnt 0x0
	v_mul_u64_e32 v[0:1], v[48:49], v[0:1]
	v_mul_lo_u32 v0, v1, v4
	s_delay_alu instid0(VALU_DEP_1) | instskip(NEXT) | instid1(VALU_DEP_1)
	v_dual_sub_nc_u32 v0, v48, v0 :: v_dual_ashrrev_i32 v3, 31, v3
	v_sub_nc_u32_e32 v1, v0, v4
	v_cmp_ge_u32_e64 s1, v0, v4
	s_delay_alu instid0(VALU_DEP_1) | instskip(NEXT) | instid1(VALU_DEP_1)
	v_cndmask_b32_e64 v0, v0, v1, s1
	v_sub_nc_u32_e32 v1, v0, v4
	v_cmp_ge_u32_e64 s1, v0, v4
	s_delay_alu instid0(VALU_DEP_1) | instskip(NEXT) | instid1(VALU_DEP_1)
	v_cndmask_b32_e64 v0, v0, v1, s1
	v_xor_b32_e32 v0, v0, v3
	s_delay_alu instid0(VALU_DEP_1) | instskip(NEXT) | instid1(VALU_DEP_1)
	v_sub_nc_u32_e32 v0, v0, v3
	v_cmp_ne_u32_e64 s1, 0, v0
	scratch_load_b32 v0, off, s32 offset:224 ; 4-byte Folded Reload
	s_wait_loadcnt 0x0
	v_cmp_le_i32_e64 s2, v2, v0
	s_and_b32 s1, s1, s2
	s_wait_xcnt 0x0
	s_and_saveexec_b32 s2, s1
	s_delay_alu instid0(SALU_CYCLE_1)
	s_xor_b32 s1, exec_lo, s2
	s_cbranch_execz .LBB351_17
; %bb.16:                               ;   in Loop: Header=BB351_15 Depth=1
	s_wait_kmcnt 0x0
	v_dual_mov_b32 v1, 0xff7fffff :: v_dual_add_nc_u32 v0, s14, v25
	ds_store_b32 v0, v1
.LBB351_17:                             ;   in Loop: Header=BB351_15 Depth=1
	s_and_not1_saveexec_b32 s2, s1
	s_cbranch_execz .LBB351_14
; %bb.18:                               ;   in Loop: Header=BB351_15 Depth=1
	scratch_load_b64 v[0:1], off, s32 offset:196 ; 8-byte Folded Reload
	v_dual_mov_b32 v31, 0 :: v_dual_mov_b32 v30, 0
	s_mov_b32 s16, exec_lo
	s_wait_loadcnt 0x0
	flat_load_b32 v0, v[0:1]
	s_clause 0x1
	scratch_load_b64 v[2:3], off, s32 offset:416
	scratch_load_b64 v[4:5], off, s32 offset:844
	s_wait_loadcnt_dscnt 0x0
	v_mad_nc_i64_i32 v[86:87], v0, v2, v[4:5]
	flat_load_b64 v[0:1], v[86:87]
	scratch_load_b64 v[2:3], off, s32 offset:316 ; 8-byte Folded Reload
	s_wait_loadcnt 0x0
	flat_load_b32 v64, v[2:3]
	s_wait_dscnt 0x1
	s_wait_xcnt 0x0
	v_and_b32_e32 v2, 0xff, v0
	s_delay_alu instid0(VALU_DEP_1)
	v_cmpx_ne_u16_e32 0, v2
	s_cbranch_execz .LBB351_26
; %bb.19:                               ;   in Loop: Header=BB351_15 Depth=1
	v_bfrev_b32_e32 v30, 1
	s_mov_b32 s17, exec_lo
	v_cmpx_ne_u16_e32 0x80, v2
	s_cbranch_execz .LBB351_25
; %bb.20:                               ;   in Loop: Header=BB351_15 Depth=1
	v_and_b32_e32 v2, 0x7f, v0
	v_mov_b32_e32 v30, 0x7f800001
	s_mov_b32 s18, exec_lo
	s_delay_alu instid0(VALU_DEP_2)
	v_cmpx_ne_u32_e32 0x7f, v2
	s_cbranch_execz .LBB351_24
; %bb.21:                               ;   in Loop: Header=BB351_15 Depth=1
	v_lshrrev_b32_e32 v5, 3, v2
	v_cmp_gt_u32_e64 s1, 8, v2
	v_mov_b64_e32 v[2:3], v[0:1]
	s_and_saveexec_b32 s19, s1
; %bb.22:                               ;   in Loop: Header=BB351_15 Depth=1
	v_and_b32_e32 v2, 7, v0
	s_delay_alu instid0(VALU_DEP_1) | instskip(NEXT) | instid1(VALU_DEP_1)
	v_clz_i32_u32_e32 v2, v2
	v_min_u32_e32 v5, 32, v2
	s_delay_alu instid0(VALU_DEP_1) | instskip(SKIP_1) | instid1(VALU_DEP_2)
	v_subrev_nc_u32_e32 v2, 28, v5
	v_sub_nc_u32_e32 v5, 29, v5
	v_lshlrev_b64_e32 v[2:3], v2, v[0:1]
; %bb.23:                               ;   in Loop: Header=BB351_15 Depth=1
	s_or_b32 exec_lo, exec_lo, s19
	s_delay_alu instid0(VALU_DEP_1) | instskip(NEXT) | instid1(VALU_DEP_3)
	v_dual_lshlrev_b32 v2, 20, v2 :: v_dual_lshlrev_b32 v3, 24, v0
	v_lshl_add_u32 v5, v5, 23, 0x3c000000
	s_delay_alu instid0(VALU_DEP_2) | instskip(NEXT) | instid1(VALU_DEP_3)
	v_and_b32_e32 v2, 0x700000, v2
	v_and_b32_e32 v3, 0x80000000, v3
	s_delay_alu instid0(VALU_DEP_1)
	v_or3_b32 v30, v2, v3, v5
.LBB351_24:                             ;   in Loop: Header=BB351_15 Depth=1
	s_or_b32 exec_lo, exec_lo, s18
.LBB351_25:                             ;   in Loop: Header=BB351_15 Depth=1
	s_delay_alu instid0(SALU_CYCLE_1)
	s_or_b32 exec_lo, exec_lo, s17
.LBB351_26:                             ;   in Loop: Header=BB351_15 Depth=1
	s_delay_alu instid0(SALU_CYCLE_1) | instskip(SKIP_2) | instid1(VALU_DEP_1)
	s_or_b32 exec_lo, exec_lo, s16
	v_lshrrev_b16 v2, 8, v0
	s_mov_b32 s16, exec_lo
	v_cmpx_ne_u16_e32 0, v2
	s_cbranch_execz .LBB351_34
; %bb.27:                               ;   in Loop: Header=BB351_15 Depth=1
	v_bfrev_b32_e32 v31, 1
	s_mov_b32 s17, exec_lo
	v_cmpx_ne_u16_e32 0x80, v2
	s_cbranch_execz .LBB351_33
; %bb.28:                               ;   in Loop: Header=BB351_15 Depth=1
	v_and_b32_e32 v3, 0xffff, v2
	v_mov_b32_e32 v31, 0x7f800001
	s_mov_b32 s18, exec_lo
	s_delay_alu instid0(VALU_DEP_2) | instskip(NEXT) | instid1(VALU_DEP_1)
	v_and_b32_e32 v2, 0x7f, v3
	v_cmpx_ne_u32_e32 0x7f, v2
	s_cbranch_execz .LBB351_32
; %bb.29:                               ;   in Loop: Header=BB351_15 Depth=1
	v_dual_lshrrev_b32 v5, 3, v2 :: v_dual_bitop2_b32 v48, 7, v3 bitop3:0x40
	v_cmp_gt_u32_e64 s1, 8, v2
	s_delay_alu instid0(VALU_DEP_2)
	v_mov_b64_e32 v[2:3], v[48:49]
	s_and_saveexec_b32 s19, s1
; %bb.30:                               ;   in Loop: Header=BB351_15 Depth=1
	v_clz_i32_u32_e32 v2, v48
	s_delay_alu instid0(VALU_DEP_1) | instskip(NEXT) | instid1(VALU_DEP_1)
	v_min_u32_e32 v5, 32, v2
	v_subrev_nc_u32_e32 v2, 28, v5
	s_delay_alu instid0(VALU_DEP_1) | instskip(NEXT) | instid1(VALU_DEP_1)
	v_lshlrev_b64_e32 v[2:3], v2, v[48:49]
	v_dual_sub_nc_u32 v5, 29, v5 :: v_dual_bitop2_b32 v2, 7, v2 bitop3:0x40
; %bb.31:                               ;   in Loop: Header=BB351_15 Depth=1
	s_or_b32 exec_lo, exec_lo, s19
	s_delay_alu instid0(VALU_DEP_1) | instskip(NEXT) | instid1(VALU_DEP_2)
	v_dual_lshlrev_b32 v3, 16, v0 :: v_dual_lshlrev_b32 v2, 20, v2
	v_lshl_add_u32 v5, v5, 23, 0x3c000000
	s_delay_alu instid0(VALU_DEP_2) | instskip(NEXT) | instid1(VALU_DEP_1)
	v_and_b32_e32 v3, 0x80000000, v3
	v_or3_b32 v31, v2, v3, v5
.LBB351_32:                             ;   in Loop: Header=BB351_15 Depth=1
	s_or_b32 exec_lo, exec_lo, s18
.LBB351_33:                             ;   in Loop: Header=BB351_15 Depth=1
	s_delay_alu instid0(SALU_CYCLE_1)
	s_or_b32 exec_lo, exec_lo, s17
.LBB351_34:                             ;   in Loop: Header=BB351_15 Depth=1
	s_delay_alu instid0(SALU_CYCLE_1) | instskip(SKIP_3) | instid1(VALU_DEP_2)
	s_or_b32 exec_lo, exec_lo, s16
	v_dual_lshrrev_b32 v5, 16, v0 :: v_dual_mov_b32 v13, 0
	v_mov_b32_e32 v12, 0
	s_mov_b32 s16, exec_lo
	v_and_b32_e32 v2, 0xff, v5
	s_delay_alu instid0(VALU_DEP_1)
	v_cmpx_ne_u16_e32 0, v2
	s_cbranch_execz .LBB351_42
; %bb.35:                               ;   in Loop: Header=BB351_15 Depth=1
	v_bfrev_b32_e32 v12, 1
	s_mov_b32 s17, exec_lo
	v_cmpx_ne_u16_e32 0x80, v2
	s_cbranch_execz .LBB351_41
; %bb.36:                               ;   in Loop: Header=BB351_15 Depth=1
	v_bfe_u32 v2, v0, 16, 7
	v_mov_b32_e32 v12, 0x7f800001
	s_mov_b32 s18, exec_lo
	s_delay_alu instid0(VALU_DEP_2)
	v_cmpx_ne_u32_e32 0x7f, v2
	s_cbranch_execz .LBB351_40
; %bb.37:                               ;   in Loop: Header=BB351_15 Depth=1
	v_dual_lshrrev_b32 v6, 3, v2 :: v_dual_bitop2_b32 v48, 7, v5 bitop3:0x40
	v_cmp_gt_u32_e64 s1, 8, v2
	s_delay_alu instid0(VALU_DEP_2)
	v_mov_b64_e32 v[2:3], v[48:49]
	s_and_saveexec_b32 s19, s1
; %bb.38:                               ;   in Loop: Header=BB351_15 Depth=1
	v_clz_i32_u32_e32 v2, v48
	s_delay_alu instid0(VALU_DEP_1) | instskip(NEXT) | instid1(VALU_DEP_1)
	v_min_u32_e32 v6, 32, v2
	v_subrev_nc_u32_e32 v2, 28, v6
	v_sub_nc_u32_e32 v6, 29, v6
	s_delay_alu instid0(VALU_DEP_2) | instskip(NEXT) | instid1(VALU_DEP_1)
	v_lshlrev_b64_e32 v[2:3], v2, v[48:49]
	v_and_b32_e32 v2, 7, v2
; %bb.39:                               ;   in Loop: Header=BB351_15 Depth=1
	s_or_b32 exec_lo, exec_lo, s19
	s_delay_alu instid0(VALU_DEP_1) | instskip(SKIP_1) | instid1(VALU_DEP_2)
	v_dual_lshlrev_b32 v3, 24, v5 :: v_dual_lshlrev_b32 v2, 20, v2
	v_lshl_add_u32 v5, v6, 23, 0x3c000000
	v_and_b32_e32 v3, 0x80000000, v3
	s_delay_alu instid0(VALU_DEP_1)
	v_or3_b32 v12, v2, v3, v5
.LBB351_40:                             ;   in Loop: Header=BB351_15 Depth=1
	s_or_b32 exec_lo, exec_lo, s18
.LBB351_41:                             ;   in Loop: Header=BB351_15 Depth=1
	s_delay_alu instid0(SALU_CYCLE_1)
	s_or_b32 exec_lo, exec_lo, s17
.LBB351_42:                             ;   in Loop: Header=BB351_15 Depth=1
	s_delay_alu instid0(SALU_CYCLE_1) | instskip(NEXT) | instid1(SALU_CYCLE_1)
	s_or_b32 exec_lo, exec_lo, s16
	s_mov_b32 s16, exec_lo
	v_cmpx_lt_u32_e32 0xffffff, v0
	s_cbranch_execz .LBB351_50
; %bb.43:                               ;   in Loop: Header=BB351_15 Depth=1
	v_lshrrev_b32_e32 v5, 24, v0
	v_bfrev_b32_e32 v13, 1
	s_mov_b32 s17, exec_lo
	s_delay_alu instid0(VALU_DEP_2)
	v_cmpx_ne_u32_e32 0x80, v5
	s_cbranch_execz .LBB351_49
; %bb.44:                               ;   in Loop: Header=BB351_15 Depth=1
	v_bfe_u32 v2, v0, 24, 7
	v_mov_b32_e32 v13, 0x7f800001
	s_mov_b32 s18, exec_lo
	s_delay_alu instid0(VALU_DEP_2)
	v_cmpx_ne_u32_e32 0x7f, v2
	s_cbranch_execz .LBB351_48
; %bb.45:                               ;   in Loop: Header=BB351_15 Depth=1
	v_dual_lshrrev_b32 v6, 3, v2 :: v_dual_bitop2_b32 v48, 7, v5 bitop3:0x40
	v_cmp_gt_u32_e64 s1, 8, v2
	s_delay_alu instid0(VALU_DEP_2)
	v_mov_b64_e32 v[2:3], v[48:49]
	s_and_saveexec_b32 s19, s1
; %bb.46:                               ;   in Loop: Header=BB351_15 Depth=1
	v_clz_i32_u32_e32 v2, v48
	s_delay_alu instid0(VALU_DEP_1) | instskip(NEXT) | instid1(VALU_DEP_1)
	v_min_u32_e32 v6, 32, v2
	v_subrev_nc_u32_e32 v2, 28, v6
	v_sub_nc_u32_e32 v6, 29, v6
	s_delay_alu instid0(VALU_DEP_2) | instskip(NEXT) | instid1(VALU_DEP_1)
	v_lshlrev_b64_e32 v[2:3], v2, v[48:49]
	v_and_b32_e32 v2, 7, v2
; %bb.47:                               ;   in Loop: Header=BB351_15 Depth=1
	s_or_b32 exec_lo, exec_lo, s19
	s_delay_alu instid0(VALU_DEP_1) | instskip(SKIP_1) | instid1(VALU_DEP_2)
	v_dual_lshlrev_b32 v3, 24, v5 :: v_dual_lshlrev_b32 v2, 20, v2
	v_lshl_add_u32 v5, v6, 23, 0x3c000000
	v_and_b32_e32 v3, 0x80000000, v3
	s_delay_alu instid0(VALU_DEP_1)
	v_or3_b32 v13, v2, v3, v5
.LBB351_48:                             ;   in Loop: Header=BB351_15 Depth=1
	s_or_b32 exec_lo, exec_lo, s18
.LBB351_49:                             ;   in Loop: Header=BB351_15 Depth=1
	s_delay_alu instid0(SALU_CYCLE_1)
	s_or_b32 exec_lo, exec_lo, s17
.LBB351_50:                             ;   in Loop: Header=BB351_15 Depth=1
	s_delay_alu instid0(SALU_CYCLE_1) | instskip(SKIP_4) | instid1(VALU_DEP_3)
	s_or_b32 exec_lo, exec_lo, s16
	v_and_b32_e32 v2, 0xff, v1
	v_dual_mov_b32 v48, v1 :: v_dual_mov_b32 v15, 0
	v_mov_b32_e32 v14, 0
	s_mov_b32 s16, exec_lo
	v_cmpx_ne_u16_e32 0, v2
	s_cbranch_execz .LBB351_58
; %bb.51:                               ;   in Loop: Header=BB351_15 Depth=1
	v_bfrev_b32_e32 v14, 1
	s_mov_b32 s17, exec_lo
	v_cmpx_ne_u16_e32 0x80, v2
	s_cbranch_execz .LBB351_57
; %bb.52:                               ;   in Loop: Header=BB351_15 Depth=1
	v_and_b32_e32 v2, 0x7f, v1
	v_mov_b32_e32 v14, 0x7f800001
	s_mov_b32 s18, exec_lo
	s_delay_alu instid0(VALU_DEP_2)
	v_cmpx_ne_u32_e32 0x7f, v2
	s_cbranch_execz .LBB351_56
; %bb.53:                               ;   in Loop: Header=BB351_15 Depth=1
	v_lshrrev_b32_e32 v5, 3, v2
	v_cmp_gt_u32_e64 s1, 8, v2
	v_mov_b64_e32 v[2:3], v[48:49]
	s_and_saveexec_b32 s19, s1
; %bb.54:                               ;   in Loop: Header=BB351_15 Depth=1
	v_and_b32_e32 v2, 7, v1
	s_delay_alu instid0(VALU_DEP_1) | instskip(NEXT) | instid1(VALU_DEP_1)
	v_clz_i32_u32_e32 v2, v2
	v_min_u32_e32 v5, 32, v2
	s_delay_alu instid0(VALU_DEP_1) | instskip(SKIP_1) | instid1(VALU_DEP_2)
	v_subrev_nc_u32_e32 v2, 28, v5
	v_sub_nc_u32_e32 v5, 29, v5
	v_lshlrev_b64_e32 v[2:3], v2, v[48:49]
; %bb.55:                               ;   in Loop: Header=BB351_15 Depth=1
	s_or_b32 exec_lo, exec_lo, s19
	s_delay_alu instid0(VALU_DEP_1) | instskip(NEXT) | instid1(VALU_DEP_3)
	v_dual_lshlrev_b32 v2, 20, v2 :: v_dual_lshlrev_b32 v3, 24, v48
	v_lshl_add_u32 v5, v5, 23, 0x3c000000
	s_delay_alu instid0(VALU_DEP_2) | instskip(NEXT) | instid1(VALU_DEP_3)
	v_and_b32_e32 v2, 0x700000, v2
	v_and_b32_e32 v3, 0x80000000, v3
	s_delay_alu instid0(VALU_DEP_1)
	v_or3_b32 v14, v2, v3, v5
.LBB351_56:                             ;   in Loop: Header=BB351_15 Depth=1
	s_or_b32 exec_lo, exec_lo, s18
.LBB351_57:                             ;   in Loop: Header=BB351_15 Depth=1
	s_delay_alu instid0(SALU_CYCLE_1)
	s_or_b32 exec_lo, exec_lo, s17
.LBB351_58:                             ;   in Loop: Header=BB351_15 Depth=1
	s_delay_alu instid0(SALU_CYCLE_1) | instskip(SKIP_2) | instid1(VALU_DEP_1)
	s_or_b32 exec_lo, exec_lo, s16
	v_lshrrev_b16 v2, 8, v48
	s_mov_b32 s16, exec_lo
	v_cmpx_ne_u16_e32 0, v2
	s_cbranch_execz .LBB351_66
; %bb.59:                               ;   in Loop: Header=BB351_15 Depth=1
	v_bfrev_b32_e32 v15, 1
	s_mov_b32 s17, exec_lo
	v_cmpx_ne_u16_e32 0x80, v2
	s_cbranch_execz .LBB351_65
; %bb.60:                               ;   in Loop: Header=BB351_15 Depth=1
	v_and_b32_e32 v2, 0xffff, v2
	v_mov_b32_e32 v15, 0x7f800001
	s_mov_b32 s18, exec_lo
	s_delay_alu instid0(VALU_DEP_2) | instskip(NEXT) | instid1(VALU_DEP_1)
	v_and_b32_e32 v6, 0x7f, v2
	v_cmpx_ne_u32_e32 0x7f, v6
	s_cbranch_execz .LBB351_64
; %bb.61:                               ;   in Loop: Header=BB351_15 Depth=1
	v_dual_mov_b32 v3, v49 :: v_dual_bitop2_b32 v2, 7, v2 bitop3:0x40
	v_lshrrev_b32_e32 v5, 3, v6
	s_mov_b32 s19, exec_lo
	v_cmpx_gt_u32_e32 8, v6
; %bb.62:                               ;   in Loop: Header=BB351_15 Depth=1
	s_delay_alu instid0(VALU_DEP_3) | instskip(NEXT) | instid1(VALU_DEP_1)
	v_clz_i32_u32_e32 v5, v2
	v_min_u32_e32 v5, 32, v5
	s_delay_alu instid0(VALU_DEP_1) | instskip(NEXT) | instid1(VALU_DEP_1)
	v_subrev_nc_u32_e32 v6, 28, v5
	v_lshlrev_b64_e32 v[2:3], v6, v[2:3]
	s_delay_alu instid0(VALU_DEP_1)
	v_dual_sub_nc_u32 v5, 29, v5 :: v_dual_bitop2_b32 v2, 7, v2 bitop3:0x40
; %bb.63:                               ;   in Loop: Header=BB351_15 Depth=1
	s_or_b32 exec_lo, exec_lo, s19
	s_delay_alu instid0(VALU_DEP_1) | instskip(NEXT) | instid1(VALU_DEP_2)
	v_dual_lshlrev_b32 v3, 16, v48 :: v_dual_lshlrev_b32 v2, 20, v2
	v_lshl_add_u32 v5, v5, 23, 0x3c000000
	s_delay_alu instid0(VALU_DEP_2) | instskip(NEXT) | instid1(VALU_DEP_1)
	v_and_b32_e32 v3, 0x80000000, v3
	v_or3_b32 v15, v2, v3, v5
.LBB351_64:                             ;   in Loop: Header=BB351_15 Depth=1
	s_or_b32 exec_lo, exec_lo, s18
.LBB351_65:                             ;   in Loop: Header=BB351_15 Depth=1
	s_delay_alu instid0(SALU_CYCLE_1)
	s_or_b32 exec_lo, exec_lo, s17
.LBB351_66:                             ;   in Loop: Header=BB351_15 Depth=1
	s_delay_alu instid0(SALU_CYCLE_1) | instskip(SKIP_3) | instid1(VALU_DEP_2)
	s_or_b32 exec_lo, exec_lo, s16
	v_dual_lshrrev_b32 v5, 16, v1 :: v_dual_mov_b32 v69, 0
	v_mov_b32_e32 v68, 0
	s_mov_b32 s16, exec_lo
	v_and_b32_e32 v2, 0xff, v5
	s_delay_alu instid0(VALU_DEP_1)
	v_cmpx_ne_u16_e32 0, v2
	s_cbranch_execz .LBB351_74
; %bb.67:                               ;   in Loop: Header=BB351_15 Depth=1
	v_bfrev_b32_e32 v68, 1
	s_mov_b32 s17, exec_lo
	v_cmpx_ne_u16_e32 0x80, v2
	s_cbranch_execz .LBB351_73
; %bb.68:                               ;   in Loop: Header=BB351_15 Depth=1
	v_bfe_u32 v2, v1, 16, 7
	v_mov_b32_e32 v68, 0x7f800001
	s_mov_b32 s18, exec_lo
	s_delay_alu instid0(VALU_DEP_2)
	v_cmpx_ne_u32_e32 0x7f, v2
	s_cbranch_execz .LBB351_72
; %bb.69:                               ;   in Loop: Header=BB351_15 Depth=1
	v_dual_lshrrev_b32 v6, 3, v2 :: v_dual_bitop2_b32 v48, 7, v5 bitop3:0x40
	v_cmp_gt_u32_e64 s1, 8, v2
	s_delay_alu instid0(VALU_DEP_2)
	v_mov_b64_e32 v[2:3], v[48:49]
	s_and_saveexec_b32 s19, s1
; %bb.70:                               ;   in Loop: Header=BB351_15 Depth=1
	v_clz_i32_u32_e32 v2, v48
	s_delay_alu instid0(VALU_DEP_1) | instskip(NEXT) | instid1(VALU_DEP_1)
	v_min_u32_e32 v6, 32, v2
	v_subrev_nc_u32_e32 v2, 28, v6
	v_sub_nc_u32_e32 v6, 29, v6
	s_delay_alu instid0(VALU_DEP_2) | instskip(NEXT) | instid1(VALU_DEP_1)
	v_lshlrev_b64_e32 v[2:3], v2, v[48:49]
	v_and_b32_e32 v2, 7, v2
; %bb.71:                               ;   in Loop: Header=BB351_15 Depth=1
	s_or_b32 exec_lo, exec_lo, s19
	s_delay_alu instid0(VALU_DEP_1) | instskip(SKIP_1) | instid1(VALU_DEP_2)
	v_dual_lshlrev_b32 v3, 24, v5 :: v_dual_lshlrev_b32 v2, 20, v2
	v_lshl_add_u32 v5, v6, 23, 0x3c000000
	v_and_b32_e32 v3, 0x80000000, v3
	s_delay_alu instid0(VALU_DEP_1)
	v_or3_b32 v68, v2, v3, v5
.LBB351_72:                             ;   in Loop: Header=BB351_15 Depth=1
	s_or_b32 exec_lo, exec_lo, s18
.LBB351_73:                             ;   in Loop: Header=BB351_15 Depth=1
	s_delay_alu instid0(SALU_CYCLE_1)
	s_or_b32 exec_lo, exec_lo, s17
.LBB351_74:                             ;   in Loop: Header=BB351_15 Depth=1
	s_delay_alu instid0(SALU_CYCLE_1) | instskip(NEXT) | instid1(SALU_CYCLE_1)
	s_or_b32 exec_lo, exec_lo, s16
	s_mov_b32 s16, exec_lo
	v_cmpx_lt_u64_e64 s[8:9], v[0:1]
	s_cbranch_execz .LBB351_82
; %bb.75:                               ;   in Loop: Header=BB351_15 Depth=1
	v_lshrrev_b32_e32 v2, 24, v1
	v_bfrev_b32_e32 v69, 1
	s_mov_b32 s17, exec_lo
	s_delay_alu instid0(VALU_DEP_2)
	v_cmpx_ne_u32_e32 0x80, v2
	s_cbranch_execz .LBB351_81
; %bb.76:                               ;   in Loop: Header=BB351_15 Depth=1
	v_bfe_u32 v0, v1, 24, 7
	v_mov_b32_e32 v69, 0x7f800001
	s_mov_b32 s18, exec_lo
	s_delay_alu instid0(VALU_DEP_2)
	v_cmpx_ne_u32_e32 0x7f, v0
	s_cbranch_execz .LBB351_80
; %bb.77:                               ;   in Loop: Header=BB351_15 Depth=1
	v_dual_lshrrev_b32 v3, 3, v0 :: v_dual_bitop2_b32 v48, 7, v2 bitop3:0x40
	v_cmp_gt_u32_e64 s1, 8, v0
	s_delay_alu instid0(VALU_DEP_2)
	v_mov_b64_e32 v[0:1], v[48:49]
	s_and_saveexec_b32 s19, s1
; %bb.78:                               ;   in Loop: Header=BB351_15 Depth=1
	v_clz_i32_u32_e32 v0, v48
	s_delay_alu instid0(VALU_DEP_1) | instskip(NEXT) | instid1(VALU_DEP_1)
	v_min_u32_e32 v3, 32, v0
	v_subrev_nc_u32_e32 v0, 28, v3
	s_delay_alu instid0(VALU_DEP_1) | instskip(NEXT) | instid1(VALU_DEP_1)
	v_lshlrev_b64_e32 v[0:1], v0, v[48:49]
	v_dual_sub_nc_u32 v3, 29, v3 :: v_dual_bitop2_b32 v0, 7, v0 bitop3:0x40
; %bb.79:                               ;   in Loop: Header=BB351_15 Depth=1
	s_or_b32 exec_lo, exec_lo, s19
	s_delay_alu instid0(VALU_DEP_1) | instskip(NEXT) | instid1(VALU_DEP_2)
	v_dual_lshlrev_b32 v1, 24, v2 :: v_dual_lshlrev_b32 v0, 20, v0
	v_lshl_add_u32 v2, v3, 23, 0x3c000000
	s_delay_alu instid0(VALU_DEP_2) | instskip(NEXT) | instid1(VALU_DEP_1)
	v_and_b32_e32 v1, 0x80000000, v1
	v_or3_b32 v69, v0, v1, v2
.LBB351_80:                             ;   in Loop: Header=BB351_15 Depth=1
	s_or_b32 exec_lo, exec_lo, s18
.LBB351_81:                             ;   in Loop: Header=BB351_15 Depth=1
	s_delay_alu instid0(SALU_CYCLE_1)
	s_or_b32 exec_lo, exec_lo, s17
.LBB351_82:                             ;   in Loop: Header=BB351_15 Depth=1
	s_delay_alu instid0(SALU_CYCLE_1)
	s_or_b32 exec_lo, exec_lo, s16
	flat_load_b64 v[0:1], v[86:87] offset:8
	v_dual_mov_b32 v71, 0 :: v_dual_mov_b32 v70, 0
	s_mov_b32 s16, exec_lo
	s_wait_loadcnt_dscnt 0x0
	v_and_b32_e32 v2, 0xff, v0
	s_wait_xcnt 0x0
	s_delay_alu instid0(VALU_DEP_1)
	v_cmpx_ne_u16_e32 0, v2
	s_cbranch_execz .LBB351_90
; %bb.83:                               ;   in Loop: Header=BB351_15 Depth=1
	v_bfrev_b32_e32 v70, 1
	s_mov_b32 s17, exec_lo
	v_cmpx_ne_u16_e32 0x80, v2
	s_cbranch_execz .LBB351_89
; %bb.84:                               ;   in Loop: Header=BB351_15 Depth=1
	v_and_b32_e32 v2, 0x7f, v0
	v_mov_b32_e32 v70, 0x7f800001
	s_mov_b32 s18, exec_lo
	s_delay_alu instid0(VALU_DEP_2)
	v_cmpx_ne_u32_e32 0x7f, v2
	s_cbranch_execz .LBB351_88
; %bb.85:                               ;   in Loop: Header=BB351_15 Depth=1
	v_lshrrev_b32_e32 v5, 3, v2
	v_cmp_gt_u32_e64 s1, 8, v2
	v_mov_b64_e32 v[2:3], v[0:1]
	s_and_saveexec_b32 s19, s1
; %bb.86:                               ;   in Loop: Header=BB351_15 Depth=1
	v_and_b32_e32 v2, 7, v0
	s_delay_alu instid0(VALU_DEP_1) | instskip(NEXT) | instid1(VALU_DEP_1)
	v_clz_i32_u32_e32 v2, v2
	v_min_u32_e32 v5, 32, v2
	s_delay_alu instid0(VALU_DEP_1) | instskip(SKIP_1) | instid1(VALU_DEP_2)
	v_subrev_nc_u32_e32 v2, 28, v5
	v_sub_nc_u32_e32 v5, 29, v5
	v_lshlrev_b64_e32 v[2:3], v2, v[0:1]
; %bb.87:                               ;   in Loop: Header=BB351_15 Depth=1
	s_or_b32 exec_lo, exec_lo, s19
	s_delay_alu instid0(VALU_DEP_1) | instskip(NEXT) | instid1(VALU_DEP_3)
	v_dual_lshlrev_b32 v2, 20, v2 :: v_dual_lshlrev_b32 v3, 24, v0
	v_lshl_add_u32 v5, v5, 23, 0x3c000000
	s_delay_alu instid0(VALU_DEP_2) | instskip(NEXT) | instid1(VALU_DEP_3)
	v_and_b32_e32 v2, 0x700000, v2
	v_and_b32_e32 v3, 0x80000000, v3
	s_delay_alu instid0(VALU_DEP_1)
	v_or3_b32 v70, v2, v3, v5
.LBB351_88:                             ;   in Loop: Header=BB351_15 Depth=1
	s_or_b32 exec_lo, exec_lo, s18
.LBB351_89:                             ;   in Loop: Header=BB351_15 Depth=1
	s_delay_alu instid0(SALU_CYCLE_1)
	s_or_b32 exec_lo, exec_lo, s17
.LBB351_90:                             ;   in Loop: Header=BB351_15 Depth=1
	s_delay_alu instid0(SALU_CYCLE_1) | instskip(SKIP_2) | instid1(VALU_DEP_1)
	s_or_b32 exec_lo, exec_lo, s16
	v_lshrrev_b16 v2, 8, v0
	s_mov_b32 s16, exec_lo
	v_cmpx_ne_u16_e32 0, v2
	s_cbranch_execz .LBB351_98
; %bb.91:                               ;   in Loop: Header=BB351_15 Depth=1
	v_bfrev_b32_e32 v71, 1
	s_mov_b32 s17, exec_lo
	v_cmpx_ne_u16_e32 0x80, v2
	s_cbranch_execz .LBB351_97
; %bb.92:                               ;   in Loop: Header=BB351_15 Depth=1
	v_and_b32_e32 v3, 0xffff, v2
	v_mov_b32_e32 v71, 0x7f800001
	s_mov_b32 s18, exec_lo
	s_delay_alu instid0(VALU_DEP_2) | instskip(NEXT) | instid1(VALU_DEP_1)
	v_and_b32_e32 v2, 0x7f, v3
	v_cmpx_ne_u32_e32 0x7f, v2
	s_cbranch_execz .LBB351_96
; %bb.93:                               ;   in Loop: Header=BB351_15 Depth=1
	v_dual_lshrrev_b32 v5, 3, v2 :: v_dual_bitop2_b32 v48, 7, v3 bitop3:0x40
	v_cmp_gt_u32_e64 s1, 8, v2
	s_delay_alu instid0(VALU_DEP_2)
	v_mov_b64_e32 v[2:3], v[48:49]
	s_and_saveexec_b32 s19, s1
; %bb.94:                               ;   in Loop: Header=BB351_15 Depth=1
	v_clz_i32_u32_e32 v2, v48
	s_delay_alu instid0(VALU_DEP_1) | instskip(NEXT) | instid1(VALU_DEP_1)
	v_min_u32_e32 v5, 32, v2
	v_subrev_nc_u32_e32 v2, 28, v5
	s_delay_alu instid0(VALU_DEP_1) | instskip(NEXT) | instid1(VALU_DEP_1)
	v_lshlrev_b64_e32 v[2:3], v2, v[48:49]
	v_dual_sub_nc_u32 v5, 29, v5 :: v_dual_bitop2_b32 v2, 7, v2 bitop3:0x40
; %bb.95:                               ;   in Loop: Header=BB351_15 Depth=1
	s_or_b32 exec_lo, exec_lo, s19
	s_delay_alu instid0(VALU_DEP_1) | instskip(NEXT) | instid1(VALU_DEP_2)
	v_dual_lshlrev_b32 v3, 16, v0 :: v_dual_lshlrev_b32 v2, 20, v2
	v_lshl_add_u32 v5, v5, 23, 0x3c000000
	s_delay_alu instid0(VALU_DEP_2) | instskip(NEXT) | instid1(VALU_DEP_1)
	v_and_b32_e32 v3, 0x80000000, v3
	v_or3_b32 v71, v2, v3, v5
.LBB351_96:                             ;   in Loop: Header=BB351_15 Depth=1
	s_or_b32 exec_lo, exec_lo, s18
.LBB351_97:                             ;   in Loop: Header=BB351_15 Depth=1
	s_delay_alu instid0(SALU_CYCLE_1)
	s_or_b32 exec_lo, exec_lo, s17
.LBB351_98:                             ;   in Loop: Header=BB351_15 Depth=1
	s_delay_alu instid0(SALU_CYCLE_1) | instskip(SKIP_3) | instid1(VALU_DEP_2)
	s_or_b32 exec_lo, exec_lo, s16
	v_dual_lshrrev_b32 v5, 16, v0 :: v_dual_mov_b32 v85, 0
	v_mov_b32_e32 v84, 0
	s_mov_b32 s16, exec_lo
	v_and_b32_e32 v2, 0xff, v5
	s_delay_alu instid0(VALU_DEP_1)
	v_cmpx_ne_u16_e32 0, v2
	s_cbranch_execz .LBB351_106
; %bb.99:                               ;   in Loop: Header=BB351_15 Depth=1
	v_bfrev_b32_e32 v84, 1
	s_mov_b32 s17, exec_lo
	v_cmpx_ne_u16_e32 0x80, v2
	s_cbranch_execz .LBB351_105
; %bb.100:                              ;   in Loop: Header=BB351_15 Depth=1
	v_bfe_u32 v2, v0, 16, 7
	v_mov_b32_e32 v84, 0x7f800001
	s_mov_b32 s18, exec_lo
	s_delay_alu instid0(VALU_DEP_2)
	v_cmpx_ne_u32_e32 0x7f, v2
	s_cbranch_execz .LBB351_104
; %bb.101:                              ;   in Loop: Header=BB351_15 Depth=1
	v_dual_lshrrev_b32 v6, 3, v2 :: v_dual_bitop2_b32 v48, 7, v5 bitop3:0x40
	v_cmp_gt_u32_e64 s1, 8, v2
	s_delay_alu instid0(VALU_DEP_2)
	v_mov_b64_e32 v[2:3], v[48:49]
	s_and_saveexec_b32 s19, s1
; %bb.102:                              ;   in Loop: Header=BB351_15 Depth=1
	v_clz_i32_u32_e32 v2, v48
	s_delay_alu instid0(VALU_DEP_1) | instskip(NEXT) | instid1(VALU_DEP_1)
	v_min_u32_e32 v6, 32, v2
	v_subrev_nc_u32_e32 v2, 28, v6
	v_sub_nc_u32_e32 v6, 29, v6
	s_delay_alu instid0(VALU_DEP_2) | instskip(NEXT) | instid1(VALU_DEP_1)
	v_lshlrev_b64_e32 v[2:3], v2, v[48:49]
	v_and_b32_e32 v2, 7, v2
; %bb.103:                              ;   in Loop: Header=BB351_15 Depth=1
	s_or_b32 exec_lo, exec_lo, s19
	s_delay_alu instid0(VALU_DEP_1) | instskip(SKIP_1) | instid1(VALU_DEP_2)
	v_dual_lshlrev_b32 v3, 24, v5 :: v_dual_lshlrev_b32 v2, 20, v2
	v_lshl_add_u32 v5, v6, 23, 0x3c000000
	v_and_b32_e32 v3, 0x80000000, v3
	s_delay_alu instid0(VALU_DEP_1)
	v_or3_b32 v84, v2, v3, v5
.LBB351_104:                            ;   in Loop: Header=BB351_15 Depth=1
	s_or_b32 exec_lo, exec_lo, s18
.LBB351_105:                            ;   in Loop: Header=BB351_15 Depth=1
	s_delay_alu instid0(SALU_CYCLE_1)
	s_or_b32 exec_lo, exec_lo, s17
.LBB351_106:                            ;   in Loop: Header=BB351_15 Depth=1
	s_delay_alu instid0(SALU_CYCLE_1) | instskip(NEXT) | instid1(SALU_CYCLE_1)
	s_or_b32 exec_lo, exec_lo, s16
	s_mov_b32 s16, exec_lo
	v_cmpx_lt_u32_e32 0xffffff, v0
	s_cbranch_execz .LBB351_114
; %bb.107:                              ;   in Loop: Header=BB351_15 Depth=1
	v_lshrrev_b32_e32 v5, 24, v0
	v_bfrev_b32_e32 v85, 1
	s_mov_b32 s17, exec_lo
	s_delay_alu instid0(VALU_DEP_2)
	v_cmpx_ne_u32_e32 0x80, v5
	s_cbranch_execz .LBB351_113
; %bb.108:                              ;   in Loop: Header=BB351_15 Depth=1
	v_bfe_u32 v2, v0, 24, 7
	v_mov_b32_e32 v85, 0x7f800001
	s_mov_b32 s18, exec_lo
	s_delay_alu instid0(VALU_DEP_2)
	v_cmpx_ne_u32_e32 0x7f, v2
	s_cbranch_execz .LBB351_112
; %bb.109:                              ;   in Loop: Header=BB351_15 Depth=1
	v_dual_lshrrev_b32 v6, 3, v2 :: v_dual_bitop2_b32 v48, 7, v5 bitop3:0x40
	v_cmp_gt_u32_e64 s1, 8, v2
	s_delay_alu instid0(VALU_DEP_2)
	v_mov_b64_e32 v[2:3], v[48:49]
	s_and_saveexec_b32 s19, s1
; %bb.110:                              ;   in Loop: Header=BB351_15 Depth=1
	v_clz_i32_u32_e32 v2, v48
	s_delay_alu instid0(VALU_DEP_1) | instskip(NEXT) | instid1(VALU_DEP_1)
	v_min_u32_e32 v6, 32, v2
	v_subrev_nc_u32_e32 v2, 28, v6
	v_sub_nc_u32_e32 v6, 29, v6
	s_delay_alu instid0(VALU_DEP_2) | instskip(NEXT) | instid1(VALU_DEP_1)
	v_lshlrev_b64_e32 v[2:3], v2, v[48:49]
	v_and_b32_e32 v2, 7, v2
; %bb.111:                              ;   in Loop: Header=BB351_15 Depth=1
	s_or_b32 exec_lo, exec_lo, s19
	s_delay_alu instid0(VALU_DEP_1) | instskip(SKIP_1) | instid1(VALU_DEP_2)
	v_dual_lshlrev_b32 v3, 24, v5 :: v_dual_lshlrev_b32 v2, 20, v2
	v_lshl_add_u32 v5, v6, 23, 0x3c000000
	v_and_b32_e32 v3, 0x80000000, v3
	s_delay_alu instid0(VALU_DEP_1)
	v_or3_b32 v85, v2, v3, v5
.LBB351_112:                            ;   in Loop: Header=BB351_15 Depth=1
	s_or_b32 exec_lo, exec_lo, s18
.LBB351_113:                            ;   in Loop: Header=BB351_15 Depth=1
	s_delay_alu instid0(SALU_CYCLE_1)
	s_or_b32 exec_lo, exec_lo, s17
.LBB351_114:                            ;   in Loop: Header=BB351_15 Depth=1
	s_delay_alu instid0(SALU_CYCLE_1) | instskip(SKIP_4) | instid1(VALU_DEP_3)
	s_or_b32 exec_lo, exec_lo, s16
	v_and_b32_e32 v2, 0xff, v1
	v_dual_mov_b32 v48, v1 :: v_dual_mov_b32 v97, 0
	v_mov_b32_e32 v96, 0
	s_mov_b32 s16, exec_lo
	v_cmpx_ne_u16_e32 0, v2
	s_cbranch_execz .LBB351_122
; %bb.115:                              ;   in Loop: Header=BB351_15 Depth=1
	v_bfrev_b32_e32 v96, 1
	s_mov_b32 s17, exec_lo
	v_cmpx_ne_u16_e32 0x80, v2
	s_cbranch_execz .LBB351_121
; %bb.116:                              ;   in Loop: Header=BB351_15 Depth=1
	v_and_b32_e32 v2, 0x7f, v1
	v_mov_b32_e32 v96, 0x7f800001
	s_mov_b32 s18, exec_lo
	s_delay_alu instid0(VALU_DEP_2)
	v_cmpx_ne_u32_e32 0x7f, v2
	s_cbranch_execz .LBB351_120
; %bb.117:                              ;   in Loop: Header=BB351_15 Depth=1
	v_lshrrev_b32_e32 v5, 3, v2
	v_cmp_gt_u32_e64 s1, 8, v2
	v_mov_b64_e32 v[2:3], v[48:49]
	s_and_saveexec_b32 s19, s1
; %bb.118:                              ;   in Loop: Header=BB351_15 Depth=1
	v_and_b32_e32 v2, 7, v1
	s_delay_alu instid0(VALU_DEP_1) | instskip(NEXT) | instid1(VALU_DEP_1)
	v_clz_i32_u32_e32 v2, v2
	v_min_u32_e32 v5, 32, v2
	s_delay_alu instid0(VALU_DEP_1) | instskip(SKIP_1) | instid1(VALU_DEP_2)
	v_subrev_nc_u32_e32 v2, 28, v5
	v_sub_nc_u32_e32 v5, 29, v5
	v_lshlrev_b64_e32 v[2:3], v2, v[48:49]
; %bb.119:                              ;   in Loop: Header=BB351_15 Depth=1
	s_or_b32 exec_lo, exec_lo, s19
	s_delay_alu instid0(VALU_DEP_1) | instskip(NEXT) | instid1(VALU_DEP_3)
	v_dual_lshlrev_b32 v2, 20, v2 :: v_dual_lshlrev_b32 v3, 24, v48
	v_lshl_add_u32 v5, v5, 23, 0x3c000000
	s_delay_alu instid0(VALU_DEP_2) | instskip(NEXT) | instid1(VALU_DEP_3)
	v_and_b32_e32 v2, 0x700000, v2
	v_and_b32_e32 v3, 0x80000000, v3
	s_delay_alu instid0(VALU_DEP_1)
	v_or3_b32 v96, v2, v3, v5
.LBB351_120:                            ;   in Loop: Header=BB351_15 Depth=1
	s_or_b32 exec_lo, exec_lo, s18
.LBB351_121:                            ;   in Loop: Header=BB351_15 Depth=1
	s_delay_alu instid0(SALU_CYCLE_1)
	s_or_b32 exec_lo, exec_lo, s17
.LBB351_122:                            ;   in Loop: Header=BB351_15 Depth=1
	s_delay_alu instid0(SALU_CYCLE_1) | instskip(SKIP_2) | instid1(VALU_DEP_1)
	s_or_b32 exec_lo, exec_lo, s16
	v_lshrrev_b16 v2, 8, v48
	s_mov_b32 s16, exec_lo
	v_cmpx_ne_u16_e32 0, v2
	s_cbranch_execz .LBB351_130
; %bb.123:                              ;   in Loop: Header=BB351_15 Depth=1
	v_bfrev_b32_e32 v97, 1
	s_mov_b32 s17, exec_lo
	v_cmpx_ne_u16_e32 0x80, v2
	s_cbranch_execz .LBB351_129
; %bb.124:                              ;   in Loop: Header=BB351_15 Depth=1
	v_and_b32_e32 v2, 0xffff, v2
	v_mov_b32_e32 v97, 0x7f800001
	s_mov_b32 s18, exec_lo
	s_delay_alu instid0(VALU_DEP_2) | instskip(NEXT) | instid1(VALU_DEP_1)
	v_and_b32_e32 v6, 0x7f, v2
	v_cmpx_ne_u32_e32 0x7f, v6
	s_cbranch_execz .LBB351_128
; %bb.125:                              ;   in Loop: Header=BB351_15 Depth=1
	v_dual_mov_b32 v3, v49 :: v_dual_bitop2_b32 v2, 7, v2 bitop3:0x40
	v_lshrrev_b32_e32 v5, 3, v6
	s_mov_b32 s19, exec_lo
	v_cmpx_gt_u32_e32 8, v6
; %bb.126:                              ;   in Loop: Header=BB351_15 Depth=1
	s_delay_alu instid0(VALU_DEP_3) | instskip(NEXT) | instid1(VALU_DEP_1)
	v_clz_i32_u32_e32 v5, v2
	v_min_u32_e32 v5, 32, v5
	s_delay_alu instid0(VALU_DEP_1) | instskip(NEXT) | instid1(VALU_DEP_1)
	v_subrev_nc_u32_e32 v6, 28, v5
	v_lshlrev_b64_e32 v[2:3], v6, v[2:3]
	s_delay_alu instid0(VALU_DEP_1)
	v_dual_sub_nc_u32 v5, 29, v5 :: v_dual_bitop2_b32 v2, 7, v2 bitop3:0x40
; %bb.127:                              ;   in Loop: Header=BB351_15 Depth=1
	s_or_b32 exec_lo, exec_lo, s19
	s_delay_alu instid0(VALU_DEP_1) | instskip(NEXT) | instid1(VALU_DEP_2)
	v_dual_lshlrev_b32 v3, 16, v48 :: v_dual_lshlrev_b32 v2, 20, v2
	v_lshl_add_u32 v5, v5, 23, 0x3c000000
	s_delay_alu instid0(VALU_DEP_2) | instskip(NEXT) | instid1(VALU_DEP_1)
	v_and_b32_e32 v3, 0x80000000, v3
	v_or3_b32 v97, v2, v3, v5
.LBB351_128:                            ;   in Loop: Header=BB351_15 Depth=1
	s_or_b32 exec_lo, exec_lo, s18
.LBB351_129:                            ;   in Loop: Header=BB351_15 Depth=1
	s_delay_alu instid0(SALU_CYCLE_1)
	s_or_b32 exec_lo, exec_lo, s17
.LBB351_130:                            ;   in Loop: Header=BB351_15 Depth=1
	s_delay_alu instid0(SALU_CYCLE_1) | instskip(SKIP_3) | instid1(VALU_DEP_2)
	s_or_b32 exec_lo, exec_lo, s16
	v_dual_lshrrev_b32 v5, 16, v1 :: v_dual_mov_b32 v37, 0
	v_mov_b32_e32 v36, 0
	s_mov_b32 s16, exec_lo
	v_and_b32_e32 v2, 0xff, v5
	s_delay_alu instid0(VALU_DEP_1)
	v_cmpx_ne_u16_e32 0, v2
	s_cbranch_execz .LBB351_138
; %bb.131:                              ;   in Loop: Header=BB351_15 Depth=1
	v_bfrev_b32_e32 v36, 1
	s_mov_b32 s17, exec_lo
	v_cmpx_ne_u16_e32 0x80, v2
	s_cbranch_execz .LBB351_137
; %bb.132:                              ;   in Loop: Header=BB351_15 Depth=1
	v_bfe_u32 v2, v1, 16, 7
	v_mov_b32_e32 v36, 0x7f800001
	s_mov_b32 s18, exec_lo
	s_delay_alu instid0(VALU_DEP_2)
	v_cmpx_ne_u32_e32 0x7f, v2
	s_cbranch_execz .LBB351_136
; %bb.133:                              ;   in Loop: Header=BB351_15 Depth=1
	v_dual_lshrrev_b32 v6, 3, v2 :: v_dual_bitop2_b32 v48, 7, v5 bitop3:0x40
	v_cmp_gt_u32_e64 s1, 8, v2
	s_delay_alu instid0(VALU_DEP_2)
	v_mov_b64_e32 v[2:3], v[48:49]
	s_and_saveexec_b32 s19, s1
; %bb.134:                              ;   in Loop: Header=BB351_15 Depth=1
	v_clz_i32_u32_e32 v2, v48
	s_delay_alu instid0(VALU_DEP_1) | instskip(NEXT) | instid1(VALU_DEP_1)
	v_min_u32_e32 v6, 32, v2
	v_subrev_nc_u32_e32 v2, 28, v6
	v_sub_nc_u32_e32 v6, 29, v6
	s_delay_alu instid0(VALU_DEP_2) | instskip(NEXT) | instid1(VALU_DEP_1)
	v_lshlrev_b64_e32 v[2:3], v2, v[48:49]
	v_and_b32_e32 v2, 7, v2
; %bb.135:                              ;   in Loop: Header=BB351_15 Depth=1
	s_or_b32 exec_lo, exec_lo, s19
	s_delay_alu instid0(VALU_DEP_1) | instskip(SKIP_1) | instid1(VALU_DEP_2)
	v_dual_lshlrev_b32 v3, 24, v5 :: v_dual_lshlrev_b32 v2, 20, v2
	v_lshl_add_u32 v5, v6, 23, 0x3c000000
	v_and_b32_e32 v3, 0x80000000, v3
	s_delay_alu instid0(VALU_DEP_1)
	v_or3_b32 v36, v2, v3, v5
.LBB351_136:                            ;   in Loop: Header=BB351_15 Depth=1
	s_or_b32 exec_lo, exec_lo, s18
.LBB351_137:                            ;   in Loop: Header=BB351_15 Depth=1
	s_delay_alu instid0(SALU_CYCLE_1)
	s_or_b32 exec_lo, exec_lo, s17
.LBB351_138:                            ;   in Loop: Header=BB351_15 Depth=1
	s_delay_alu instid0(SALU_CYCLE_1) | instskip(NEXT) | instid1(SALU_CYCLE_1)
	s_or_b32 exec_lo, exec_lo, s16
	s_mov_b32 s16, exec_lo
	v_cmpx_lt_u64_e64 s[8:9], v[0:1]
	s_cbranch_execz .LBB351_146
; %bb.139:                              ;   in Loop: Header=BB351_15 Depth=1
	v_lshrrev_b32_e32 v2, 24, v1
	v_bfrev_b32_e32 v37, 1
	s_mov_b32 s17, exec_lo
	s_delay_alu instid0(VALU_DEP_2)
	v_cmpx_ne_u32_e32 0x80, v2
	s_cbranch_execz .LBB351_145
; %bb.140:                              ;   in Loop: Header=BB351_15 Depth=1
	v_bfe_u32 v0, v1, 24, 7
	v_mov_b32_e32 v37, 0x7f800001
	s_mov_b32 s18, exec_lo
	s_delay_alu instid0(VALU_DEP_2)
	v_cmpx_ne_u32_e32 0x7f, v0
	s_cbranch_execz .LBB351_144
; %bb.141:                              ;   in Loop: Header=BB351_15 Depth=1
	v_dual_lshrrev_b32 v3, 3, v0 :: v_dual_bitop2_b32 v48, 7, v2 bitop3:0x40
	v_cmp_gt_u32_e64 s1, 8, v0
	s_delay_alu instid0(VALU_DEP_2)
	v_mov_b64_e32 v[0:1], v[48:49]
	s_and_saveexec_b32 s19, s1
; %bb.142:                              ;   in Loop: Header=BB351_15 Depth=1
	v_clz_i32_u32_e32 v0, v48
	s_delay_alu instid0(VALU_DEP_1) | instskip(NEXT) | instid1(VALU_DEP_1)
	v_min_u32_e32 v3, 32, v0
	v_subrev_nc_u32_e32 v0, 28, v3
	s_delay_alu instid0(VALU_DEP_1) | instskip(NEXT) | instid1(VALU_DEP_1)
	v_lshlrev_b64_e32 v[0:1], v0, v[48:49]
	v_dual_sub_nc_u32 v3, 29, v3 :: v_dual_bitop2_b32 v0, 7, v0 bitop3:0x40
; %bb.143:                              ;   in Loop: Header=BB351_15 Depth=1
	s_or_b32 exec_lo, exec_lo, s19
	s_delay_alu instid0(VALU_DEP_1) | instskip(NEXT) | instid1(VALU_DEP_2)
	v_dual_lshlrev_b32 v1, 24, v2 :: v_dual_lshlrev_b32 v0, 20, v0
	v_lshl_add_u32 v2, v3, 23, 0x3c000000
	s_delay_alu instid0(VALU_DEP_2) | instskip(NEXT) | instid1(VALU_DEP_1)
	v_and_b32_e32 v1, 0x80000000, v1
	v_or3_b32 v37, v0, v1, v2
.LBB351_144:                            ;   in Loop: Header=BB351_15 Depth=1
	s_or_b32 exec_lo, exec_lo, s18
.LBB351_145:                            ;   in Loop: Header=BB351_15 Depth=1
	s_delay_alu instid0(SALU_CYCLE_1)
	s_or_b32 exec_lo, exec_lo, s17
.LBB351_146:                            ;   in Loop: Header=BB351_15 Depth=1
	s_delay_alu instid0(SALU_CYCLE_1)
	s_or_b32 exec_lo, exec_lo, s16
	flat_load_b64 v[0:1], v[86:87] offset:512
	v_dual_mov_b32 v99, 0 :: v_dual_mov_b32 v98, 0
	s_mov_b32 s16, exec_lo
	s_wait_loadcnt_dscnt 0x0
	v_and_b32_e32 v2, 0xff, v0
	s_wait_xcnt 0x0
	s_delay_alu instid0(VALU_DEP_1)
	v_cmpx_ne_u16_e32 0, v2
	s_cbranch_execz .LBB351_154
; %bb.147:                              ;   in Loop: Header=BB351_15 Depth=1
	v_bfrev_b32_e32 v98, 1
	s_mov_b32 s17, exec_lo
	v_cmpx_ne_u16_e32 0x80, v2
	s_cbranch_execz .LBB351_153
; %bb.148:                              ;   in Loop: Header=BB351_15 Depth=1
	v_and_b32_e32 v2, 0x7f, v0
	v_mov_b32_e32 v98, 0x7f800001
	s_mov_b32 s18, exec_lo
	s_delay_alu instid0(VALU_DEP_2)
	v_cmpx_ne_u32_e32 0x7f, v2
	s_cbranch_execz .LBB351_152
; %bb.149:                              ;   in Loop: Header=BB351_15 Depth=1
	v_lshrrev_b32_e32 v5, 3, v2
	v_cmp_gt_u32_e64 s1, 8, v2
	v_mov_b64_e32 v[2:3], v[0:1]
	s_and_saveexec_b32 s19, s1
; %bb.150:                              ;   in Loop: Header=BB351_15 Depth=1
	v_and_b32_e32 v2, 7, v0
	s_delay_alu instid0(VALU_DEP_1) | instskip(NEXT) | instid1(VALU_DEP_1)
	v_clz_i32_u32_e32 v2, v2
	v_min_u32_e32 v5, 32, v2
	s_delay_alu instid0(VALU_DEP_1) | instskip(SKIP_1) | instid1(VALU_DEP_2)
	v_subrev_nc_u32_e32 v2, 28, v5
	v_sub_nc_u32_e32 v5, 29, v5
	v_lshlrev_b64_e32 v[2:3], v2, v[0:1]
; %bb.151:                              ;   in Loop: Header=BB351_15 Depth=1
	s_or_b32 exec_lo, exec_lo, s19
	s_delay_alu instid0(VALU_DEP_1) | instskip(NEXT) | instid1(VALU_DEP_3)
	v_dual_lshlrev_b32 v2, 20, v2 :: v_dual_lshlrev_b32 v3, 24, v0
	v_lshl_add_u32 v5, v5, 23, 0x3c000000
	s_delay_alu instid0(VALU_DEP_2) | instskip(NEXT) | instid1(VALU_DEP_3)
	v_and_b32_e32 v2, 0x700000, v2
	v_and_b32_e32 v3, 0x80000000, v3
	s_delay_alu instid0(VALU_DEP_1)
	v_or3_b32 v98, v2, v3, v5
.LBB351_152:                            ;   in Loop: Header=BB351_15 Depth=1
	s_or_b32 exec_lo, exec_lo, s18
.LBB351_153:                            ;   in Loop: Header=BB351_15 Depth=1
	s_delay_alu instid0(SALU_CYCLE_1)
	s_or_b32 exec_lo, exec_lo, s17
.LBB351_154:                            ;   in Loop: Header=BB351_15 Depth=1
	s_delay_alu instid0(SALU_CYCLE_1) | instskip(SKIP_2) | instid1(VALU_DEP_1)
	s_or_b32 exec_lo, exec_lo, s16
	v_lshrrev_b16 v2, 8, v0
	s_mov_b32 s16, exec_lo
	v_cmpx_ne_u16_e32 0, v2
	s_cbranch_execz .LBB351_162
; %bb.155:                              ;   in Loop: Header=BB351_15 Depth=1
	v_bfrev_b32_e32 v99, 1
	s_mov_b32 s17, exec_lo
	v_cmpx_ne_u16_e32 0x80, v2
	s_cbranch_execz .LBB351_161
; %bb.156:                              ;   in Loop: Header=BB351_15 Depth=1
	v_and_b32_e32 v3, 0xffff, v2
	v_mov_b32_e32 v99, 0x7f800001
	s_mov_b32 s18, exec_lo
	s_delay_alu instid0(VALU_DEP_2) | instskip(NEXT) | instid1(VALU_DEP_1)
	v_and_b32_e32 v2, 0x7f, v3
	v_cmpx_ne_u32_e32 0x7f, v2
	s_cbranch_execz .LBB351_160
; %bb.157:                              ;   in Loop: Header=BB351_15 Depth=1
	v_dual_lshrrev_b32 v5, 3, v2 :: v_dual_bitop2_b32 v48, 7, v3 bitop3:0x40
	v_cmp_gt_u32_e64 s1, 8, v2
	s_delay_alu instid0(VALU_DEP_2)
	v_mov_b64_e32 v[2:3], v[48:49]
	s_and_saveexec_b32 s19, s1
; %bb.158:                              ;   in Loop: Header=BB351_15 Depth=1
	v_clz_i32_u32_e32 v2, v48
	s_delay_alu instid0(VALU_DEP_1) | instskip(NEXT) | instid1(VALU_DEP_1)
	v_min_u32_e32 v5, 32, v2
	v_subrev_nc_u32_e32 v2, 28, v5
	s_delay_alu instid0(VALU_DEP_1) | instskip(NEXT) | instid1(VALU_DEP_1)
	v_lshlrev_b64_e32 v[2:3], v2, v[48:49]
	v_dual_sub_nc_u32 v5, 29, v5 :: v_dual_bitop2_b32 v2, 7, v2 bitop3:0x40
; %bb.159:                              ;   in Loop: Header=BB351_15 Depth=1
	s_or_b32 exec_lo, exec_lo, s19
	s_delay_alu instid0(VALU_DEP_1) | instskip(NEXT) | instid1(VALU_DEP_2)
	v_dual_lshlrev_b32 v3, 16, v0 :: v_dual_lshlrev_b32 v2, 20, v2
	v_lshl_add_u32 v5, v5, 23, 0x3c000000
	s_delay_alu instid0(VALU_DEP_2) | instskip(NEXT) | instid1(VALU_DEP_1)
	v_and_b32_e32 v3, 0x80000000, v3
	v_or3_b32 v99, v2, v3, v5
.LBB351_160:                            ;   in Loop: Header=BB351_15 Depth=1
	s_or_b32 exec_lo, exec_lo, s18
.LBB351_161:                            ;   in Loop: Header=BB351_15 Depth=1
	s_delay_alu instid0(SALU_CYCLE_1)
	s_or_b32 exec_lo, exec_lo, s17
.LBB351_162:                            ;   in Loop: Header=BB351_15 Depth=1
	s_delay_alu instid0(SALU_CYCLE_1) | instskip(SKIP_3) | instid1(VALU_DEP_2)
	s_or_b32 exec_lo, exec_lo, s16
	v_dual_lshrrev_b32 v5, 16, v0 :: v_dual_mov_b32 v81, 0
	v_mov_b32_e32 v80, 0
	s_mov_b32 s16, exec_lo
	v_and_b32_e32 v2, 0xff, v5
	s_delay_alu instid0(VALU_DEP_1)
	v_cmpx_ne_u16_e32 0, v2
	s_cbranch_execz .LBB351_170
; %bb.163:                              ;   in Loop: Header=BB351_15 Depth=1
	v_bfrev_b32_e32 v80, 1
	s_mov_b32 s17, exec_lo
	v_cmpx_ne_u16_e32 0x80, v2
	s_cbranch_execz .LBB351_169
; %bb.164:                              ;   in Loop: Header=BB351_15 Depth=1
	v_bfe_u32 v2, v0, 16, 7
	v_mov_b32_e32 v80, 0x7f800001
	s_mov_b32 s18, exec_lo
	s_delay_alu instid0(VALU_DEP_2)
	v_cmpx_ne_u32_e32 0x7f, v2
	s_cbranch_execz .LBB351_168
; %bb.165:                              ;   in Loop: Header=BB351_15 Depth=1
	v_dual_lshrrev_b32 v6, 3, v2 :: v_dual_bitop2_b32 v48, 7, v5 bitop3:0x40
	v_cmp_gt_u32_e64 s1, 8, v2
	s_delay_alu instid0(VALU_DEP_2)
	v_mov_b64_e32 v[2:3], v[48:49]
	s_and_saveexec_b32 s19, s1
; %bb.166:                              ;   in Loop: Header=BB351_15 Depth=1
	v_clz_i32_u32_e32 v2, v48
	s_delay_alu instid0(VALU_DEP_1) | instskip(NEXT) | instid1(VALU_DEP_1)
	v_min_u32_e32 v6, 32, v2
	v_subrev_nc_u32_e32 v2, 28, v6
	v_sub_nc_u32_e32 v6, 29, v6
	s_delay_alu instid0(VALU_DEP_2) | instskip(NEXT) | instid1(VALU_DEP_1)
	v_lshlrev_b64_e32 v[2:3], v2, v[48:49]
	v_and_b32_e32 v2, 7, v2
; %bb.167:                              ;   in Loop: Header=BB351_15 Depth=1
	s_or_b32 exec_lo, exec_lo, s19
	s_delay_alu instid0(VALU_DEP_1) | instskip(SKIP_1) | instid1(VALU_DEP_2)
	v_dual_lshlrev_b32 v3, 24, v5 :: v_dual_lshlrev_b32 v2, 20, v2
	v_lshl_add_u32 v5, v6, 23, 0x3c000000
	v_and_b32_e32 v3, 0x80000000, v3
	s_delay_alu instid0(VALU_DEP_1)
	v_or3_b32 v80, v2, v3, v5
.LBB351_168:                            ;   in Loop: Header=BB351_15 Depth=1
	s_or_b32 exec_lo, exec_lo, s18
.LBB351_169:                            ;   in Loop: Header=BB351_15 Depth=1
	s_delay_alu instid0(SALU_CYCLE_1)
	s_or_b32 exec_lo, exec_lo, s17
.LBB351_170:                            ;   in Loop: Header=BB351_15 Depth=1
	s_delay_alu instid0(SALU_CYCLE_1) | instskip(NEXT) | instid1(SALU_CYCLE_1)
	s_or_b32 exec_lo, exec_lo, s16
	s_mov_b32 s16, exec_lo
	v_cmpx_lt_u32_e32 0xffffff, v0
	s_cbranch_execz .LBB351_178
; %bb.171:                              ;   in Loop: Header=BB351_15 Depth=1
	v_lshrrev_b32_e32 v5, 24, v0
	v_bfrev_b32_e32 v81, 1
	s_mov_b32 s17, exec_lo
	s_delay_alu instid0(VALU_DEP_2)
	v_cmpx_ne_u32_e32 0x80, v5
	s_cbranch_execz .LBB351_177
; %bb.172:                              ;   in Loop: Header=BB351_15 Depth=1
	v_bfe_u32 v2, v0, 24, 7
	v_mov_b32_e32 v81, 0x7f800001
	s_mov_b32 s18, exec_lo
	s_delay_alu instid0(VALU_DEP_2)
	v_cmpx_ne_u32_e32 0x7f, v2
	s_cbranch_execz .LBB351_176
; %bb.173:                              ;   in Loop: Header=BB351_15 Depth=1
	v_dual_lshrrev_b32 v6, 3, v2 :: v_dual_bitop2_b32 v48, 7, v5 bitop3:0x40
	v_cmp_gt_u32_e64 s1, 8, v2
	s_delay_alu instid0(VALU_DEP_2)
	v_mov_b64_e32 v[2:3], v[48:49]
	s_and_saveexec_b32 s19, s1
; %bb.174:                              ;   in Loop: Header=BB351_15 Depth=1
	v_clz_i32_u32_e32 v2, v48
	s_delay_alu instid0(VALU_DEP_1) | instskip(NEXT) | instid1(VALU_DEP_1)
	v_min_u32_e32 v6, 32, v2
	v_subrev_nc_u32_e32 v2, 28, v6
	v_sub_nc_u32_e32 v6, 29, v6
	s_delay_alu instid0(VALU_DEP_2) | instskip(NEXT) | instid1(VALU_DEP_1)
	v_lshlrev_b64_e32 v[2:3], v2, v[48:49]
	v_and_b32_e32 v2, 7, v2
; %bb.175:                              ;   in Loop: Header=BB351_15 Depth=1
	s_or_b32 exec_lo, exec_lo, s19
	s_delay_alu instid0(VALU_DEP_1) | instskip(SKIP_1) | instid1(VALU_DEP_2)
	v_dual_lshlrev_b32 v3, 24, v5 :: v_dual_lshlrev_b32 v2, 20, v2
	v_lshl_add_u32 v5, v6, 23, 0x3c000000
	v_and_b32_e32 v3, 0x80000000, v3
	s_delay_alu instid0(VALU_DEP_1)
	v_or3_b32 v81, v2, v3, v5
.LBB351_176:                            ;   in Loop: Header=BB351_15 Depth=1
	s_or_b32 exec_lo, exec_lo, s18
.LBB351_177:                            ;   in Loop: Header=BB351_15 Depth=1
	s_delay_alu instid0(SALU_CYCLE_1)
	s_or_b32 exec_lo, exec_lo, s17
.LBB351_178:                            ;   in Loop: Header=BB351_15 Depth=1
	s_delay_alu instid0(SALU_CYCLE_1) | instskip(SKIP_4) | instid1(VALU_DEP_3)
	s_or_b32 exec_lo, exec_lo, s16
	v_and_b32_e32 v2, 0xff, v1
	v_dual_mov_b32 v48, v1 :: v_dual_mov_b32 v101, 0
	v_mov_b32_e32 v100, 0
	s_mov_b32 s16, exec_lo
	v_cmpx_ne_u16_e32 0, v2
	s_cbranch_execz .LBB351_186
; %bb.179:                              ;   in Loop: Header=BB351_15 Depth=1
	v_bfrev_b32_e32 v100, 1
	s_mov_b32 s17, exec_lo
	v_cmpx_ne_u16_e32 0x80, v2
	s_cbranch_execz .LBB351_185
; %bb.180:                              ;   in Loop: Header=BB351_15 Depth=1
	v_and_b32_e32 v2, 0x7f, v1
	v_mov_b32_e32 v100, 0x7f800001
	s_mov_b32 s18, exec_lo
	s_delay_alu instid0(VALU_DEP_2)
	v_cmpx_ne_u32_e32 0x7f, v2
	s_cbranch_execz .LBB351_184
; %bb.181:                              ;   in Loop: Header=BB351_15 Depth=1
	v_lshrrev_b32_e32 v5, 3, v2
	v_cmp_gt_u32_e64 s1, 8, v2
	v_mov_b64_e32 v[2:3], v[48:49]
	s_and_saveexec_b32 s19, s1
; %bb.182:                              ;   in Loop: Header=BB351_15 Depth=1
	v_and_b32_e32 v2, 7, v1
	s_delay_alu instid0(VALU_DEP_1) | instskip(NEXT) | instid1(VALU_DEP_1)
	v_clz_i32_u32_e32 v2, v2
	v_min_u32_e32 v5, 32, v2
	s_delay_alu instid0(VALU_DEP_1) | instskip(SKIP_1) | instid1(VALU_DEP_2)
	v_subrev_nc_u32_e32 v2, 28, v5
	v_sub_nc_u32_e32 v5, 29, v5
	v_lshlrev_b64_e32 v[2:3], v2, v[48:49]
; %bb.183:                              ;   in Loop: Header=BB351_15 Depth=1
	s_or_b32 exec_lo, exec_lo, s19
	s_delay_alu instid0(VALU_DEP_1) | instskip(NEXT) | instid1(VALU_DEP_3)
	v_dual_lshlrev_b32 v2, 20, v2 :: v_dual_lshlrev_b32 v3, 24, v48
	v_lshl_add_u32 v5, v5, 23, 0x3c000000
	s_delay_alu instid0(VALU_DEP_2) | instskip(NEXT) | instid1(VALU_DEP_3)
	v_and_b32_e32 v2, 0x700000, v2
	v_and_b32_e32 v3, 0x80000000, v3
	s_delay_alu instid0(VALU_DEP_1)
	v_or3_b32 v100, v2, v3, v5
.LBB351_184:                            ;   in Loop: Header=BB351_15 Depth=1
	s_or_b32 exec_lo, exec_lo, s18
.LBB351_185:                            ;   in Loop: Header=BB351_15 Depth=1
	s_delay_alu instid0(SALU_CYCLE_1)
	s_or_b32 exec_lo, exec_lo, s17
.LBB351_186:                            ;   in Loop: Header=BB351_15 Depth=1
	s_delay_alu instid0(SALU_CYCLE_1) | instskip(SKIP_2) | instid1(VALU_DEP_1)
	s_or_b32 exec_lo, exec_lo, s16
	v_lshrrev_b16 v2, 8, v48
	s_mov_b32 s16, exec_lo
	v_cmpx_ne_u16_e32 0, v2
	s_cbranch_execz .LBB351_194
; %bb.187:                              ;   in Loop: Header=BB351_15 Depth=1
	v_bfrev_b32_e32 v101, 1
	s_mov_b32 s17, exec_lo
	v_cmpx_ne_u16_e32 0x80, v2
	s_cbranch_execz .LBB351_193
; %bb.188:                              ;   in Loop: Header=BB351_15 Depth=1
	v_and_b32_e32 v2, 0xffff, v2
	v_mov_b32_e32 v101, 0x7f800001
	s_mov_b32 s18, exec_lo
	s_delay_alu instid0(VALU_DEP_2) | instskip(NEXT) | instid1(VALU_DEP_1)
	v_and_b32_e32 v6, 0x7f, v2
	v_cmpx_ne_u32_e32 0x7f, v6
	s_cbranch_execz .LBB351_192
; %bb.189:                              ;   in Loop: Header=BB351_15 Depth=1
	v_dual_mov_b32 v3, v49 :: v_dual_bitop2_b32 v2, 7, v2 bitop3:0x40
	v_lshrrev_b32_e32 v5, 3, v6
	s_mov_b32 s19, exec_lo
	v_cmpx_gt_u32_e32 8, v6
; %bb.190:                              ;   in Loop: Header=BB351_15 Depth=1
	s_delay_alu instid0(VALU_DEP_3) | instskip(NEXT) | instid1(VALU_DEP_1)
	v_clz_i32_u32_e32 v5, v2
	v_min_u32_e32 v5, 32, v5
	s_delay_alu instid0(VALU_DEP_1) | instskip(NEXT) | instid1(VALU_DEP_1)
	v_subrev_nc_u32_e32 v6, 28, v5
	v_lshlrev_b64_e32 v[2:3], v6, v[2:3]
	s_delay_alu instid0(VALU_DEP_1)
	v_dual_sub_nc_u32 v5, 29, v5 :: v_dual_bitop2_b32 v2, 7, v2 bitop3:0x40
; %bb.191:                              ;   in Loop: Header=BB351_15 Depth=1
	s_or_b32 exec_lo, exec_lo, s19
	s_delay_alu instid0(VALU_DEP_1) | instskip(NEXT) | instid1(VALU_DEP_2)
	v_dual_lshlrev_b32 v3, 16, v48 :: v_dual_lshlrev_b32 v2, 20, v2
	v_lshl_add_u32 v5, v5, 23, 0x3c000000
	s_delay_alu instid0(VALU_DEP_2) | instskip(NEXT) | instid1(VALU_DEP_1)
	v_and_b32_e32 v3, 0x80000000, v3
	v_or3_b32 v101, v2, v3, v5
.LBB351_192:                            ;   in Loop: Header=BB351_15 Depth=1
	s_or_b32 exec_lo, exec_lo, s18
.LBB351_193:                            ;   in Loop: Header=BB351_15 Depth=1
	s_delay_alu instid0(SALU_CYCLE_1)
	s_or_b32 exec_lo, exec_lo, s17
.LBB351_194:                            ;   in Loop: Header=BB351_15 Depth=1
	s_delay_alu instid0(SALU_CYCLE_1) | instskip(SKIP_3) | instid1(VALU_DEP_2)
	s_or_b32 exec_lo, exec_lo, s16
	v_dual_lshrrev_b32 v5, 16, v1 :: v_dual_mov_b32 v83, 0
	v_mov_b32_e32 v82, 0
	s_mov_b32 s16, exec_lo
	v_and_b32_e32 v2, 0xff, v5
	s_delay_alu instid0(VALU_DEP_1)
	v_cmpx_ne_u16_e32 0, v2
	s_cbranch_execz .LBB351_202
; %bb.195:                              ;   in Loop: Header=BB351_15 Depth=1
	v_bfrev_b32_e32 v82, 1
	s_mov_b32 s17, exec_lo
	v_cmpx_ne_u16_e32 0x80, v2
	s_cbranch_execz .LBB351_201
; %bb.196:                              ;   in Loop: Header=BB351_15 Depth=1
	v_bfe_u32 v2, v1, 16, 7
	v_mov_b32_e32 v82, 0x7f800001
	s_mov_b32 s18, exec_lo
	s_delay_alu instid0(VALU_DEP_2)
	v_cmpx_ne_u32_e32 0x7f, v2
	s_cbranch_execz .LBB351_200
; %bb.197:                              ;   in Loop: Header=BB351_15 Depth=1
	v_dual_lshrrev_b32 v6, 3, v2 :: v_dual_bitop2_b32 v48, 7, v5 bitop3:0x40
	v_cmp_gt_u32_e64 s1, 8, v2
	s_delay_alu instid0(VALU_DEP_2)
	v_mov_b64_e32 v[2:3], v[48:49]
	s_and_saveexec_b32 s19, s1
; %bb.198:                              ;   in Loop: Header=BB351_15 Depth=1
	v_clz_i32_u32_e32 v2, v48
	s_delay_alu instid0(VALU_DEP_1) | instskip(NEXT) | instid1(VALU_DEP_1)
	v_min_u32_e32 v6, 32, v2
	v_subrev_nc_u32_e32 v2, 28, v6
	v_sub_nc_u32_e32 v6, 29, v6
	s_delay_alu instid0(VALU_DEP_2) | instskip(NEXT) | instid1(VALU_DEP_1)
	v_lshlrev_b64_e32 v[2:3], v2, v[48:49]
	v_and_b32_e32 v2, 7, v2
; %bb.199:                              ;   in Loop: Header=BB351_15 Depth=1
	s_or_b32 exec_lo, exec_lo, s19
	s_delay_alu instid0(VALU_DEP_1) | instskip(SKIP_1) | instid1(VALU_DEP_2)
	v_dual_lshlrev_b32 v3, 24, v5 :: v_dual_lshlrev_b32 v2, 20, v2
	v_lshl_add_u32 v5, v6, 23, 0x3c000000
	v_and_b32_e32 v3, 0x80000000, v3
	s_delay_alu instid0(VALU_DEP_1)
	v_or3_b32 v82, v2, v3, v5
.LBB351_200:                            ;   in Loop: Header=BB351_15 Depth=1
	s_or_b32 exec_lo, exec_lo, s18
.LBB351_201:                            ;   in Loop: Header=BB351_15 Depth=1
	s_delay_alu instid0(SALU_CYCLE_1)
	s_or_b32 exec_lo, exec_lo, s17
.LBB351_202:                            ;   in Loop: Header=BB351_15 Depth=1
	s_delay_alu instid0(SALU_CYCLE_1) | instskip(NEXT) | instid1(SALU_CYCLE_1)
	s_or_b32 exec_lo, exec_lo, s16
	s_mov_b32 s16, exec_lo
	v_cmpx_lt_u64_e64 s[8:9], v[0:1]
	s_cbranch_execz .LBB351_210
; %bb.203:                              ;   in Loop: Header=BB351_15 Depth=1
	v_lshrrev_b32_e32 v2, 24, v1
	v_bfrev_b32_e32 v83, 1
	s_mov_b32 s17, exec_lo
	s_delay_alu instid0(VALU_DEP_2)
	v_cmpx_ne_u32_e32 0x80, v2
	s_cbranch_execz .LBB351_209
; %bb.204:                              ;   in Loop: Header=BB351_15 Depth=1
	v_bfe_u32 v0, v1, 24, 7
	v_mov_b32_e32 v83, 0x7f800001
	s_mov_b32 s18, exec_lo
	s_delay_alu instid0(VALU_DEP_2)
	v_cmpx_ne_u32_e32 0x7f, v0
	s_cbranch_execz .LBB351_208
; %bb.205:                              ;   in Loop: Header=BB351_15 Depth=1
	v_dual_lshrrev_b32 v3, 3, v0 :: v_dual_bitop2_b32 v48, 7, v2 bitop3:0x40
	v_cmp_gt_u32_e64 s1, 8, v0
	s_delay_alu instid0(VALU_DEP_2)
	v_mov_b64_e32 v[0:1], v[48:49]
	s_and_saveexec_b32 s19, s1
; %bb.206:                              ;   in Loop: Header=BB351_15 Depth=1
	v_clz_i32_u32_e32 v0, v48
	s_delay_alu instid0(VALU_DEP_1) | instskip(NEXT) | instid1(VALU_DEP_1)
	v_min_u32_e32 v3, 32, v0
	v_subrev_nc_u32_e32 v0, 28, v3
	s_delay_alu instid0(VALU_DEP_1) | instskip(NEXT) | instid1(VALU_DEP_1)
	v_lshlrev_b64_e32 v[0:1], v0, v[48:49]
	v_dual_sub_nc_u32 v3, 29, v3 :: v_dual_bitop2_b32 v0, 7, v0 bitop3:0x40
; %bb.207:                              ;   in Loop: Header=BB351_15 Depth=1
	s_or_b32 exec_lo, exec_lo, s19
	s_delay_alu instid0(VALU_DEP_1) | instskip(NEXT) | instid1(VALU_DEP_2)
	v_dual_lshlrev_b32 v1, 24, v2 :: v_dual_lshlrev_b32 v0, 20, v0
	v_lshl_add_u32 v2, v3, 23, 0x3c000000
	s_delay_alu instid0(VALU_DEP_2) | instskip(NEXT) | instid1(VALU_DEP_1)
	v_and_b32_e32 v1, 0x80000000, v1
	v_or3_b32 v83, v0, v1, v2
.LBB351_208:                            ;   in Loop: Header=BB351_15 Depth=1
	s_or_b32 exec_lo, exec_lo, s18
.LBB351_209:                            ;   in Loop: Header=BB351_15 Depth=1
	s_delay_alu instid0(SALU_CYCLE_1)
	s_or_b32 exec_lo, exec_lo, s17
.LBB351_210:                            ;   in Loop: Header=BB351_15 Depth=1
	s_delay_alu instid0(SALU_CYCLE_1)
	s_or_b32 exec_lo, exec_lo, s16
	flat_load_b64 v[0:1], v[86:87] offset:520
	v_dual_mov_b32 v103, 0 :: v_dual_mov_b32 v102, 0
	s_mov_b32 s16, exec_lo
	s_wait_loadcnt_dscnt 0x0
	v_and_b32_e32 v2, 0xff, v0
	s_wait_xcnt 0x0
	s_delay_alu instid0(VALU_DEP_1)
	v_cmpx_ne_u16_e32 0, v2
	s_cbranch_execz .LBB351_218
; %bb.211:                              ;   in Loop: Header=BB351_15 Depth=1
	v_bfrev_b32_e32 v102, 1
	s_mov_b32 s17, exec_lo
	v_cmpx_ne_u16_e32 0x80, v2
	s_cbranch_execz .LBB351_217
; %bb.212:                              ;   in Loop: Header=BB351_15 Depth=1
	v_and_b32_e32 v2, 0x7f, v0
	v_mov_b32_e32 v102, 0x7f800001
	s_mov_b32 s18, exec_lo
	s_delay_alu instid0(VALU_DEP_2)
	v_cmpx_ne_u32_e32 0x7f, v2
	s_cbranch_execz .LBB351_216
; %bb.213:                              ;   in Loop: Header=BB351_15 Depth=1
	v_lshrrev_b32_e32 v5, 3, v2
	v_cmp_gt_u32_e64 s1, 8, v2
	v_mov_b64_e32 v[2:3], v[0:1]
	s_and_saveexec_b32 s19, s1
; %bb.214:                              ;   in Loop: Header=BB351_15 Depth=1
	v_and_b32_e32 v2, 7, v0
	s_delay_alu instid0(VALU_DEP_1) | instskip(NEXT) | instid1(VALU_DEP_1)
	v_clz_i32_u32_e32 v2, v2
	v_min_u32_e32 v5, 32, v2
	s_delay_alu instid0(VALU_DEP_1) | instskip(SKIP_1) | instid1(VALU_DEP_2)
	v_subrev_nc_u32_e32 v2, 28, v5
	v_sub_nc_u32_e32 v5, 29, v5
	v_lshlrev_b64_e32 v[2:3], v2, v[0:1]
; %bb.215:                              ;   in Loop: Header=BB351_15 Depth=1
	s_or_b32 exec_lo, exec_lo, s19
	s_delay_alu instid0(VALU_DEP_1) | instskip(NEXT) | instid1(VALU_DEP_3)
	v_dual_lshlrev_b32 v2, 20, v2 :: v_dual_lshlrev_b32 v3, 24, v0
	v_lshl_add_u32 v5, v5, 23, 0x3c000000
	s_delay_alu instid0(VALU_DEP_2) | instskip(NEXT) | instid1(VALU_DEP_3)
	v_and_b32_e32 v2, 0x700000, v2
	v_and_b32_e32 v3, 0x80000000, v3
	s_delay_alu instid0(VALU_DEP_1)
	v_or3_b32 v102, v2, v3, v5
.LBB351_216:                            ;   in Loop: Header=BB351_15 Depth=1
	s_or_b32 exec_lo, exec_lo, s18
.LBB351_217:                            ;   in Loop: Header=BB351_15 Depth=1
	s_delay_alu instid0(SALU_CYCLE_1)
	s_or_b32 exec_lo, exec_lo, s17
.LBB351_218:                            ;   in Loop: Header=BB351_15 Depth=1
	s_delay_alu instid0(SALU_CYCLE_1) | instskip(SKIP_2) | instid1(VALU_DEP_1)
	s_or_b32 exec_lo, exec_lo, s16
	v_lshrrev_b16 v2, 8, v0
	s_mov_b32 s16, exec_lo
	v_cmpx_ne_u16_e32 0, v2
	s_cbranch_execz .LBB351_226
; %bb.219:                              ;   in Loop: Header=BB351_15 Depth=1
	v_bfrev_b32_e32 v103, 1
	s_mov_b32 s17, exec_lo
	v_cmpx_ne_u16_e32 0x80, v2
	s_cbranch_execz .LBB351_225
; %bb.220:                              ;   in Loop: Header=BB351_15 Depth=1
	v_and_b32_e32 v3, 0xffff, v2
	v_mov_b32_e32 v103, 0x7f800001
	s_mov_b32 s18, exec_lo
	s_delay_alu instid0(VALU_DEP_2) | instskip(NEXT) | instid1(VALU_DEP_1)
	v_and_b32_e32 v2, 0x7f, v3
	v_cmpx_ne_u32_e32 0x7f, v2
	s_cbranch_execz .LBB351_224
; %bb.221:                              ;   in Loop: Header=BB351_15 Depth=1
	v_dual_lshrrev_b32 v5, 3, v2 :: v_dual_bitop2_b32 v48, 7, v3 bitop3:0x40
	v_cmp_gt_u32_e64 s1, 8, v2
	s_delay_alu instid0(VALU_DEP_2)
	v_mov_b64_e32 v[2:3], v[48:49]
	s_and_saveexec_b32 s19, s1
; %bb.222:                              ;   in Loop: Header=BB351_15 Depth=1
	v_clz_i32_u32_e32 v2, v48
	s_delay_alu instid0(VALU_DEP_1) | instskip(NEXT) | instid1(VALU_DEP_1)
	v_min_u32_e32 v5, 32, v2
	v_subrev_nc_u32_e32 v2, 28, v5
	s_delay_alu instid0(VALU_DEP_1) | instskip(NEXT) | instid1(VALU_DEP_1)
	v_lshlrev_b64_e32 v[2:3], v2, v[48:49]
	v_dual_sub_nc_u32 v5, 29, v5 :: v_dual_bitop2_b32 v2, 7, v2 bitop3:0x40
; %bb.223:                              ;   in Loop: Header=BB351_15 Depth=1
	s_or_b32 exec_lo, exec_lo, s19
	s_delay_alu instid0(VALU_DEP_1) | instskip(NEXT) | instid1(VALU_DEP_2)
	v_dual_lshlrev_b32 v3, 16, v0 :: v_dual_lshlrev_b32 v2, 20, v2
	v_lshl_add_u32 v5, v5, 23, 0x3c000000
	s_delay_alu instid0(VALU_DEP_2) | instskip(NEXT) | instid1(VALU_DEP_1)
	v_and_b32_e32 v3, 0x80000000, v3
	v_or3_b32 v103, v2, v3, v5
.LBB351_224:                            ;   in Loop: Header=BB351_15 Depth=1
	s_or_b32 exec_lo, exec_lo, s18
.LBB351_225:                            ;   in Loop: Header=BB351_15 Depth=1
	s_delay_alu instid0(SALU_CYCLE_1)
	s_or_b32 exec_lo, exec_lo, s17
.LBB351_226:                            ;   in Loop: Header=BB351_15 Depth=1
	s_delay_alu instid0(SALU_CYCLE_1) | instskip(SKIP_3) | instid1(VALU_DEP_2)
	s_or_b32 exec_lo, exec_lo, s16
	v_dual_lshrrev_b32 v5, 16, v0 :: v_dual_mov_b32 v29, 0
	v_mov_b32_e32 v28, 0
	s_mov_b32 s16, exec_lo
	v_and_b32_e32 v2, 0xff, v5
	s_delay_alu instid0(VALU_DEP_1)
	v_cmpx_ne_u16_e32 0, v2
	s_cbranch_execz .LBB351_234
; %bb.227:                              ;   in Loop: Header=BB351_15 Depth=1
	v_bfrev_b32_e32 v28, 1
	s_mov_b32 s17, exec_lo
	v_cmpx_ne_u16_e32 0x80, v2
	s_cbranch_execz .LBB351_233
; %bb.228:                              ;   in Loop: Header=BB351_15 Depth=1
	v_bfe_u32 v2, v0, 16, 7
	v_mov_b32_e32 v28, 0x7f800001
	s_mov_b32 s18, exec_lo
	s_delay_alu instid0(VALU_DEP_2)
	v_cmpx_ne_u32_e32 0x7f, v2
	s_cbranch_execz .LBB351_232
; %bb.229:                              ;   in Loop: Header=BB351_15 Depth=1
	v_dual_lshrrev_b32 v6, 3, v2 :: v_dual_bitop2_b32 v48, 7, v5 bitop3:0x40
	v_cmp_gt_u32_e64 s1, 8, v2
	s_delay_alu instid0(VALU_DEP_2)
	v_mov_b64_e32 v[2:3], v[48:49]
	s_and_saveexec_b32 s19, s1
; %bb.230:                              ;   in Loop: Header=BB351_15 Depth=1
	v_clz_i32_u32_e32 v2, v48
	s_delay_alu instid0(VALU_DEP_1) | instskip(NEXT) | instid1(VALU_DEP_1)
	v_min_u32_e32 v6, 32, v2
	v_subrev_nc_u32_e32 v2, 28, v6
	v_sub_nc_u32_e32 v6, 29, v6
	s_delay_alu instid0(VALU_DEP_2) | instskip(NEXT) | instid1(VALU_DEP_1)
	v_lshlrev_b64_e32 v[2:3], v2, v[48:49]
	v_and_b32_e32 v2, 7, v2
; %bb.231:                              ;   in Loop: Header=BB351_15 Depth=1
	s_or_b32 exec_lo, exec_lo, s19
	s_delay_alu instid0(VALU_DEP_1) | instskip(SKIP_1) | instid1(VALU_DEP_2)
	v_dual_lshlrev_b32 v3, 24, v5 :: v_dual_lshlrev_b32 v2, 20, v2
	v_lshl_add_u32 v5, v6, 23, 0x3c000000
	v_and_b32_e32 v3, 0x80000000, v3
	s_delay_alu instid0(VALU_DEP_1)
	v_or3_b32 v28, v2, v3, v5
.LBB351_232:                            ;   in Loop: Header=BB351_15 Depth=1
	s_or_b32 exec_lo, exec_lo, s18
.LBB351_233:                            ;   in Loop: Header=BB351_15 Depth=1
	s_delay_alu instid0(SALU_CYCLE_1)
	s_or_b32 exec_lo, exec_lo, s17
.LBB351_234:                            ;   in Loop: Header=BB351_15 Depth=1
	s_delay_alu instid0(SALU_CYCLE_1) | instskip(NEXT) | instid1(SALU_CYCLE_1)
	s_or_b32 exec_lo, exec_lo, s16
	s_mov_b32 s16, exec_lo
	v_cmpx_lt_u32_e32 0xffffff, v0
	s_cbranch_execz .LBB351_242
; %bb.235:                              ;   in Loop: Header=BB351_15 Depth=1
	v_lshrrev_b32_e32 v5, 24, v0
	v_bfrev_b32_e32 v29, 1
	s_mov_b32 s17, exec_lo
	s_delay_alu instid0(VALU_DEP_2)
	v_cmpx_ne_u32_e32 0x80, v5
	s_cbranch_execz .LBB351_241
; %bb.236:                              ;   in Loop: Header=BB351_15 Depth=1
	v_bfe_u32 v2, v0, 24, 7
	v_mov_b32_e32 v29, 0x7f800001
	s_mov_b32 s18, exec_lo
	s_delay_alu instid0(VALU_DEP_2)
	v_cmpx_ne_u32_e32 0x7f, v2
	s_cbranch_execz .LBB351_240
; %bb.237:                              ;   in Loop: Header=BB351_15 Depth=1
	v_dual_lshrrev_b32 v6, 3, v2 :: v_dual_bitop2_b32 v48, 7, v5 bitop3:0x40
	v_cmp_gt_u32_e64 s1, 8, v2
	s_delay_alu instid0(VALU_DEP_2)
	v_mov_b64_e32 v[2:3], v[48:49]
	s_and_saveexec_b32 s19, s1
; %bb.238:                              ;   in Loop: Header=BB351_15 Depth=1
	v_clz_i32_u32_e32 v2, v48
	s_delay_alu instid0(VALU_DEP_1) | instskip(NEXT) | instid1(VALU_DEP_1)
	v_min_u32_e32 v6, 32, v2
	v_subrev_nc_u32_e32 v2, 28, v6
	v_sub_nc_u32_e32 v6, 29, v6
	s_delay_alu instid0(VALU_DEP_2) | instskip(NEXT) | instid1(VALU_DEP_1)
	v_lshlrev_b64_e32 v[2:3], v2, v[48:49]
	v_and_b32_e32 v2, 7, v2
; %bb.239:                              ;   in Loop: Header=BB351_15 Depth=1
	s_or_b32 exec_lo, exec_lo, s19
	s_delay_alu instid0(VALU_DEP_1) | instskip(SKIP_1) | instid1(VALU_DEP_2)
	v_dual_lshlrev_b32 v3, 24, v5 :: v_dual_lshlrev_b32 v2, 20, v2
	v_lshl_add_u32 v5, v6, 23, 0x3c000000
	v_and_b32_e32 v3, 0x80000000, v3
	s_delay_alu instid0(VALU_DEP_1)
	v_or3_b32 v29, v2, v3, v5
.LBB351_240:                            ;   in Loop: Header=BB351_15 Depth=1
	s_or_b32 exec_lo, exec_lo, s18
.LBB351_241:                            ;   in Loop: Header=BB351_15 Depth=1
	s_delay_alu instid0(SALU_CYCLE_1)
	s_or_b32 exec_lo, exec_lo, s17
.LBB351_242:                            ;   in Loop: Header=BB351_15 Depth=1
	s_delay_alu instid0(SALU_CYCLE_1) | instskip(SKIP_4) | instid1(VALU_DEP_3)
	s_or_b32 exec_lo, exec_lo, s16
	v_and_b32_e32 v2, 0xff, v1
	v_dual_mov_b32 v48, v1 :: v_dual_mov_b32 v113, 0
	v_mov_b32_e32 v112, 0
	s_mov_b32 s16, exec_lo
	v_cmpx_ne_u16_e32 0, v2
	s_cbranch_execz .LBB351_250
; %bb.243:                              ;   in Loop: Header=BB351_15 Depth=1
	v_bfrev_b32_e32 v112, 1
	s_mov_b32 s17, exec_lo
	v_cmpx_ne_u16_e32 0x80, v2
	s_cbranch_execz .LBB351_249
; %bb.244:                              ;   in Loop: Header=BB351_15 Depth=1
	v_and_b32_e32 v2, 0x7f, v1
	v_mov_b32_e32 v112, 0x7f800001
	s_mov_b32 s18, exec_lo
	s_delay_alu instid0(VALU_DEP_2)
	v_cmpx_ne_u32_e32 0x7f, v2
	s_cbranch_execz .LBB351_248
; %bb.245:                              ;   in Loop: Header=BB351_15 Depth=1
	v_lshrrev_b32_e32 v5, 3, v2
	v_cmp_gt_u32_e64 s1, 8, v2
	v_mov_b64_e32 v[2:3], v[48:49]
	s_and_saveexec_b32 s19, s1
; %bb.246:                              ;   in Loop: Header=BB351_15 Depth=1
	v_and_b32_e32 v2, 7, v1
	s_delay_alu instid0(VALU_DEP_1) | instskip(NEXT) | instid1(VALU_DEP_1)
	v_clz_i32_u32_e32 v2, v2
	v_min_u32_e32 v5, 32, v2
	s_delay_alu instid0(VALU_DEP_1) | instskip(SKIP_1) | instid1(VALU_DEP_2)
	v_subrev_nc_u32_e32 v2, 28, v5
	v_sub_nc_u32_e32 v5, 29, v5
	v_lshlrev_b64_e32 v[2:3], v2, v[48:49]
; %bb.247:                              ;   in Loop: Header=BB351_15 Depth=1
	s_or_b32 exec_lo, exec_lo, s19
	s_delay_alu instid0(VALU_DEP_1) | instskip(NEXT) | instid1(VALU_DEP_3)
	v_dual_lshlrev_b32 v2, 20, v2 :: v_dual_lshlrev_b32 v3, 24, v48
	v_lshl_add_u32 v5, v5, 23, 0x3c000000
	s_delay_alu instid0(VALU_DEP_2) | instskip(NEXT) | instid1(VALU_DEP_3)
	v_and_b32_e32 v2, 0x700000, v2
	v_and_b32_e32 v3, 0x80000000, v3
	s_delay_alu instid0(VALU_DEP_1)
	v_or3_b32 v112, v2, v3, v5
.LBB351_248:                            ;   in Loop: Header=BB351_15 Depth=1
	s_or_b32 exec_lo, exec_lo, s18
.LBB351_249:                            ;   in Loop: Header=BB351_15 Depth=1
	s_delay_alu instid0(SALU_CYCLE_1)
	s_or_b32 exec_lo, exec_lo, s17
.LBB351_250:                            ;   in Loop: Header=BB351_15 Depth=1
	s_delay_alu instid0(SALU_CYCLE_1) | instskip(SKIP_2) | instid1(VALU_DEP_1)
	s_or_b32 exec_lo, exec_lo, s16
	v_lshrrev_b16 v2, 8, v48
	s_mov_b32 s16, exec_lo
	v_cmpx_ne_u16_e32 0, v2
	s_cbranch_execz .LBB351_258
; %bb.251:                              ;   in Loop: Header=BB351_15 Depth=1
	v_bfrev_b32_e32 v113, 1
	s_mov_b32 s17, exec_lo
	v_cmpx_ne_u16_e32 0x80, v2
	s_cbranch_execz .LBB351_257
; %bb.252:                              ;   in Loop: Header=BB351_15 Depth=1
	v_and_b32_e32 v2, 0xffff, v2
	v_mov_b32_e32 v113, 0x7f800001
	s_mov_b32 s18, exec_lo
	s_delay_alu instid0(VALU_DEP_2) | instskip(NEXT) | instid1(VALU_DEP_1)
	v_and_b32_e32 v6, 0x7f, v2
	v_cmpx_ne_u32_e32 0x7f, v6
	s_cbranch_execz .LBB351_256
; %bb.253:                              ;   in Loop: Header=BB351_15 Depth=1
	v_dual_mov_b32 v3, v49 :: v_dual_bitop2_b32 v2, 7, v2 bitop3:0x40
	v_lshrrev_b32_e32 v5, 3, v6
	s_mov_b32 s19, exec_lo
	v_cmpx_gt_u32_e32 8, v6
; %bb.254:                              ;   in Loop: Header=BB351_15 Depth=1
	s_delay_alu instid0(VALU_DEP_3) | instskip(NEXT) | instid1(VALU_DEP_1)
	v_clz_i32_u32_e32 v5, v2
	v_min_u32_e32 v5, 32, v5
	s_delay_alu instid0(VALU_DEP_1) | instskip(NEXT) | instid1(VALU_DEP_1)
	v_subrev_nc_u32_e32 v6, 28, v5
	v_lshlrev_b64_e32 v[2:3], v6, v[2:3]
	s_delay_alu instid0(VALU_DEP_1)
	v_dual_sub_nc_u32 v5, 29, v5 :: v_dual_bitop2_b32 v2, 7, v2 bitop3:0x40
; %bb.255:                              ;   in Loop: Header=BB351_15 Depth=1
	s_or_b32 exec_lo, exec_lo, s19
	s_delay_alu instid0(VALU_DEP_1) | instskip(NEXT) | instid1(VALU_DEP_2)
	v_dual_lshlrev_b32 v3, 16, v48 :: v_dual_lshlrev_b32 v2, 20, v2
	v_lshl_add_u32 v5, v5, 23, 0x3c000000
	s_delay_alu instid0(VALU_DEP_2) | instskip(NEXT) | instid1(VALU_DEP_1)
	v_and_b32_e32 v3, 0x80000000, v3
	v_or3_b32 v113, v2, v3, v5
.LBB351_256:                            ;   in Loop: Header=BB351_15 Depth=1
	s_or_b32 exec_lo, exec_lo, s18
.LBB351_257:                            ;   in Loop: Header=BB351_15 Depth=1
	s_delay_alu instid0(SALU_CYCLE_1)
	s_or_b32 exec_lo, exec_lo, s17
.LBB351_258:                            ;   in Loop: Header=BB351_15 Depth=1
	s_delay_alu instid0(SALU_CYCLE_1) | instskip(SKIP_3) | instid1(VALU_DEP_2)
	s_or_b32 exec_lo, exec_lo, s16
	v_dual_lshrrev_b32 v5, 16, v1 :: v_dual_mov_b32 v67, 0
	v_mov_b32_e32 v66, 0
	s_mov_b32 s16, exec_lo
	v_and_b32_e32 v2, 0xff, v5
	s_delay_alu instid0(VALU_DEP_1)
	v_cmpx_ne_u16_e32 0, v2
	s_cbranch_execz .LBB351_266
; %bb.259:                              ;   in Loop: Header=BB351_15 Depth=1
	v_bfrev_b32_e32 v66, 1
	s_mov_b32 s17, exec_lo
	v_cmpx_ne_u16_e32 0x80, v2
	s_cbranch_execz .LBB351_265
; %bb.260:                              ;   in Loop: Header=BB351_15 Depth=1
	v_bfe_u32 v2, v1, 16, 7
	v_mov_b32_e32 v66, 0x7f800001
	s_mov_b32 s18, exec_lo
	s_delay_alu instid0(VALU_DEP_2)
	v_cmpx_ne_u32_e32 0x7f, v2
	s_cbranch_execz .LBB351_264
; %bb.261:                              ;   in Loop: Header=BB351_15 Depth=1
	v_dual_lshrrev_b32 v6, 3, v2 :: v_dual_bitop2_b32 v48, 7, v5 bitop3:0x40
	v_cmp_gt_u32_e64 s1, 8, v2
	s_delay_alu instid0(VALU_DEP_2)
	v_mov_b64_e32 v[2:3], v[48:49]
	s_and_saveexec_b32 s19, s1
; %bb.262:                              ;   in Loop: Header=BB351_15 Depth=1
	v_clz_i32_u32_e32 v2, v48
	s_delay_alu instid0(VALU_DEP_1) | instskip(NEXT) | instid1(VALU_DEP_1)
	v_min_u32_e32 v6, 32, v2
	v_subrev_nc_u32_e32 v2, 28, v6
	v_sub_nc_u32_e32 v6, 29, v6
	s_delay_alu instid0(VALU_DEP_2) | instskip(NEXT) | instid1(VALU_DEP_1)
	v_lshlrev_b64_e32 v[2:3], v2, v[48:49]
	v_and_b32_e32 v2, 7, v2
; %bb.263:                              ;   in Loop: Header=BB351_15 Depth=1
	s_or_b32 exec_lo, exec_lo, s19
	s_delay_alu instid0(VALU_DEP_1) | instskip(SKIP_1) | instid1(VALU_DEP_2)
	v_dual_lshlrev_b32 v3, 24, v5 :: v_dual_lshlrev_b32 v2, 20, v2
	v_lshl_add_u32 v5, v6, 23, 0x3c000000
	v_and_b32_e32 v3, 0x80000000, v3
	s_delay_alu instid0(VALU_DEP_1)
	v_or3_b32 v66, v2, v3, v5
.LBB351_264:                            ;   in Loop: Header=BB351_15 Depth=1
	s_or_b32 exec_lo, exec_lo, s18
.LBB351_265:                            ;   in Loop: Header=BB351_15 Depth=1
	s_delay_alu instid0(SALU_CYCLE_1)
	s_or_b32 exec_lo, exec_lo, s17
.LBB351_266:                            ;   in Loop: Header=BB351_15 Depth=1
	s_delay_alu instid0(SALU_CYCLE_1) | instskip(NEXT) | instid1(SALU_CYCLE_1)
	s_or_b32 exec_lo, exec_lo, s16
	s_mov_b32 s16, exec_lo
	v_cmpx_lt_u64_e64 s[8:9], v[0:1]
	s_cbranch_execz .LBB351_274
; %bb.267:                              ;   in Loop: Header=BB351_15 Depth=1
	v_lshrrev_b32_e32 v2, 24, v1
	v_bfrev_b32_e32 v67, 1
	s_mov_b32 s17, exec_lo
	s_delay_alu instid0(VALU_DEP_2)
	v_cmpx_ne_u32_e32 0x80, v2
	s_cbranch_execz .LBB351_273
; %bb.268:                              ;   in Loop: Header=BB351_15 Depth=1
	v_bfe_u32 v0, v1, 24, 7
	v_mov_b32_e32 v67, 0x7f800001
	s_mov_b32 s18, exec_lo
	s_delay_alu instid0(VALU_DEP_2)
	v_cmpx_ne_u32_e32 0x7f, v0
	s_cbranch_execz .LBB351_272
; %bb.269:                              ;   in Loop: Header=BB351_15 Depth=1
	v_dual_lshrrev_b32 v3, 3, v0 :: v_dual_bitop2_b32 v48, 7, v2 bitop3:0x40
	v_cmp_gt_u32_e64 s1, 8, v0
	s_delay_alu instid0(VALU_DEP_2)
	v_mov_b64_e32 v[0:1], v[48:49]
	s_and_saveexec_b32 s19, s1
; %bb.270:                              ;   in Loop: Header=BB351_15 Depth=1
	v_clz_i32_u32_e32 v0, v48
	s_delay_alu instid0(VALU_DEP_1) | instskip(NEXT) | instid1(VALU_DEP_1)
	v_min_u32_e32 v3, 32, v0
	v_subrev_nc_u32_e32 v0, 28, v3
	s_delay_alu instid0(VALU_DEP_1) | instskip(NEXT) | instid1(VALU_DEP_1)
	v_lshlrev_b64_e32 v[0:1], v0, v[48:49]
	v_dual_sub_nc_u32 v3, 29, v3 :: v_dual_bitop2_b32 v0, 7, v0 bitop3:0x40
; %bb.271:                              ;   in Loop: Header=BB351_15 Depth=1
	s_or_b32 exec_lo, exec_lo, s19
	s_delay_alu instid0(VALU_DEP_1) | instskip(NEXT) | instid1(VALU_DEP_2)
	v_dual_lshlrev_b32 v1, 24, v2 :: v_dual_lshlrev_b32 v0, 20, v0
	v_lshl_add_u32 v2, v3, 23, 0x3c000000
	s_delay_alu instid0(VALU_DEP_2) | instskip(NEXT) | instid1(VALU_DEP_1)
	v_and_b32_e32 v1, 0x80000000, v1
	v_or3_b32 v67, v0, v1, v2
.LBB351_272:                            ;   in Loop: Header=BB351_15 Depth=1
	s_or_b32 exec_lo, exec_lo, s18
.LBB351_273:                            ;   in Loop: Header=BB351_15 Depth=1
	s_delay_alu instid0(SALU_CYCLE_1)
	s_or_b32 exec_lo, exec_lo, s17
.LBB351_274:                            ;   in Loop: Header=BB351_15 Depth=1
	s_delay_alu instid0(SALU_CYCLE_1)
	s_or_b32 exec_lo, exec_lo, s16
	flat_load_b64 v[0:1], v[86:87] offset:1024
	v_dual_mov_b32 v54, 0 :: v_dual_mov_b32 v3, 0
	s_mov_b32 s16, exec_lo
	scratch_store_b32 off, v3, s32 offset:232 ; 4-byte Folded Spill
	s_wait_loadcnt_dscnt 0x0
	v_and_b32_e32 v2, 0xff, v0
	s_wait_xcnt 0x0
	s_delay_alu instid0(VALU_DEP_1)
	v_cmpx_ne_u16_e32 0, v2
	s_cbranch_execz .LBB351_282
; %bb.275:                              ;   in Loop: Header=BB351_15 Depth=1
	v_cmp_ne_u16_e64 s1, 0x80, v2
	v_bfrev_b32_e32 v2, 1
	scratch_store_b32 off, v2, s32 offset:232 ; 4-byte Folded Spill
	s_wait_xcnt 0x0
	s_and_saveexec_b32 s17, s1
	s_cbranch_execz .LBB351_281
; %bb.276:                              ;   in Loop: Header=BB351_15 Depth=1
	v_and_b32_e32 v2, 0x7f, v0
	v_mov_b32_e32 v3, 0x7f800001
	s_mov_b32 s18, exec_lo
	scratch_store_b32 off, v3, s32 offset:232 ; 4-byte Folded Spill
	s_wait_xcnt 0x0
	v_cmpx_ne_u32_e32 0x7f, v2
	s_cbranch_execz .LBB351_280
; %bb.277:                              ;   in Loop: Header=BB351_15 Depth=1
	v_lshrrev_b32_e32 v5, 3, v2
	v_cmp_gt_u32_e64 s1, 8, v2
	v_mov_b64_e32 v[2:3], v[0:1]
	s_and_saveexec_b32 s19, s1
; %bb.278:                              ;   in Loop: Header=BB351_15 Depth=1
	v_and_b32_e32 v2, 7, v0
	s_delay_alu instid0(VALU_DEP_1) | instskip(NEXT) | instid1(VALU_DEP_1)
	v_clz_i32_u32_e32 v2, v2
	v_min_u32_e32 v5, 32, v2
	s_delay_alu instid0(VALU_DEP_1) | instskip(SKIP_1) | instid1(VALU_DEP_2)
	v_subrev_nc_u32_e32 v2, 28, v5
	v_sub_nc_u32_e32 v5, 29, v5
	v_lshlrev_b64_e32 v[2:3], v2, v[0:1]
; %bb.279:                              ;   in Loop: Header=BB351_15 Depth=1
	s_or_b32 exec_lo, exec_lo, s19
	s_delay_alu instid0(VALU_DEP_1) | instskip(NEXT) | instid1(VALU_DEP_3)
	v_dual_lshlrev_b32 v2, 20, v2 :: v_dual_lshlrev_b32 v3, 24, v0
	v_lshl_add_u32 v5, v5, 23, 0x3c000000
	s_delay_alu instid0(VALU_DEP_2) | instskip(NEXT) | instid1(VALU_DEP_3)
	v_and_b32_e32 v2, 0x700000, v2
	v_and_b32_e32 v3, 0x80000000, v3
	s_delay_alu instid0(VALU_DEP_1)
	v_or3_b32 v2, v2, v3, v5
	scratch_store_b32 off, v2, s32 offset:232 ; 4-byte Folded Spill
.LBB351_280:                            ;   in Loop: Header=BB351_15 Depth=1
	s_wait_xcnt 0x0
	s_or_b32 exec_lo, exec_lo, s18
.LBB351_281:                            ;   in Loop: Header=BB351_15 Depth=1
	s_delay_alu instid0(SALU_CYCLE_1)
	s_or_b32 exec_lo, exec_lo, s17
.LBB351_282:                            ;   in Loop: Header=BB351_15 Depth=1
	s_delay_alu instid0(SALU_CYCLE_1) | instskip(SKIP_2) | instid1(VALU_DEP_1)
	s_or_b32 exec_lo, exec_lo, s16
	v_lshrrev_b16 v2, 8, v0
	s_mov_b32 s16, exec_lo
	v_cmpx_ne_u16_e32 0, v2
	s_cbranch_execz .LBB351_290
; %bb.283:                              ;   in Loop: Header=BB351_15 Depth=1
	v_bfrev_b32_e32 v54, 1
	s_mov_b32 s17, exec_lo
	v_cmpx_ne_u16_e32 0x80, v2
	s_cbranch_execz .LBB351_289
; %bb.284:                              ;   in Loop: Header=BB351_15 Depth=1
	v_and_b32_e32 v3, 0xffff, v2
	v_mov_b32_e32 v54, 0x7f800001
	s_mov_b32 s18, exec_lo
	s_delay_alu instid0(VALU_DEP_2) | instskip(NEXT) | instid1(VALU_DEP_1)
	v_and_b32_e32 v2, 0x7f, v3
	v_cmpx_ne_u32_e32 0x7f, v2
	s_cbranch_execz .LBB351_288
; %bb.285:                              ;   in Loop: Header=BB351_15 Depth=1
	v_dual_lshrrev_b32 v5, 3, v2 :: v_dual_bitop2_b32 v48, 7, v3 bitop3:0x40
	v_cmp_gt_u32_e64 s1, 8, v2
	s_delay_alu instid0(VALU_DEP_2)
	v_mov_b64_e32 v[2:3], v[48:49]
	s_and_saveexec_b32 s19, s1
; %bb.286:                              ;   in Loop: Header=BB351_15 Depth=1
	v_clz_i32_u32_e32 v2, v48
	s_delay_alu instid0(VALU_DEP_1) | instskip(NEXT) | instid1(VALU_DEP_1)
	v_min_u32_e32 v5, 32, v2
	v_subrev_nc_u32_e32 v2, 28, v5
	s_delay_alu instid0(VALU_DEP_1) | instskip(NEXT) | instid1(VALU_DEP_1)
	v_lshlrev_b64_e32 v[2:3], v2, v[48:49]
	v_dual_sub_nc_u32 v5, 29, v5 :: v_dual_bitop2_b32 v2, 7, v2 bitop3:0x40
; %bb.287:                              ;   in Loop: Header=BB351_15 Depth=1
	s_or_b32 exec_lo, exec_lo, s19
	s_delay_alu instid0(VALU_DEP_1) | instskip(NEXT) | instid1(VALU_DEP_2)
	v_dual_lshlrev_b32 v3, 16, v0 :: v_dual_lshlrev_b32 v2, 20, v2
	v_lshl_add_u32 v5, v5, 23, 0x3c000000
	s_delay_alu instid0(VALU_DEP_2) | instskip(NEXT) | instid1(VALU_DEP_1)
	v_and_b32_e32 v3, 0x80000000, v3
	v_or3_b32 v54, v2, v3, v5
.LBB351_288:                            ;   in Loop: Header=BB351_15 Depth=1
	s_or_b32 exec_lo, exec_lo, s18
.LBB351_289:                            ;   in Loop: Header=BB351_15 Depth=1
	s_delay_alu instid0(SALU_CYCLE_1)
	s_or_b32 exec_lo, exec_lo, s17
.LBB351_290:                            ;   in Loop: Header=BB351_15 Depth=1
	s_delay_alu instid0(SALU_CYCLE_1) | instskip(SKIP_3) | instid1(VALU_DEP_2)
	s_or_b32 exec_lo, exec_lo, s16
	v_dual_lshrrev_b32 v5, 16, v0 :: v_dual_mov_b32 v53, 0
	v_mov_b32_e32 v39, 0
	s_mov_b32 s16, exec_lo
	v_and_b32_e32 v2, 0xff, v5
	s_delay_alu instid0(VALU_DEP_1)
	v_cmpx_ne_u16_e32 0, v2
	s_cbranch_execz .LBB351_298
; %bb.291:                              ;   in Loop: Header=BB351_15 Depth=1
	v_bfrev_b32_e32 v39, 1
	s_mov_b32 s17, exec_lo
	v_cmpx_ne_u16_e32 0x80, v2
	s_cbranch_execz .LBB351_297
; %bb.292:                              ;   in Loop: Header=BB351_15 Depth=1
	v_bfe_u32 v2, v0, 16, 7
	v_mov_b32_e32 v39, 0x7f800001
	s_mov_b32 s18, exec_lo
	s_delay_alu instid0(VALU_DEP_2)
	v_cmpx_ne_u32_e32 0x7f, v2
	s_cbranch_execz .LBB351_296
; %bb.293:                              ;   in Loop: Header=BB351_15 Depth=1
	v_dual_lshrrev_b32 v6, 3, v2 :: v_dual_bitop2_b32 v48, 7, v5 bitop3:0x40
	v_cmp_gt_u32_e64 s1, 8, v2
	s_delay_alu instid0(VALU_DEP_2)
	v_mov_b64_e32 v[2:3], v[48:49]
	s_and_saveexec_b32 s19, s1
; %bb.294:                              ;   in Loop: Header=BB351_15 Depth=1
	v_clz_i32_u32_e32 v2, v48
	s_delay_alu instid0(VALU_DEP_1) | instskip(NEXT) | instid1(VALU_DEP_1)
	v_min_u32_e32 v6, 32, v2
	v_subrev_nc_u32_e32 v2, 28, v6
	v_sub_nc_u32_e32 v6, 29, v6
	s_delay_alu instid0(VALU_DEP_2) | instskip(NEXT) | instid1(VALU_DEP_1)
	v_lshlrev_b64_e32 v[2:3], v2, v[48:49]
	v_and_b32_e32 v2, 7, v2
; %bb.295:                              ;   in Loop: Header=BB351_15 Depth=1
	s_or_b32 exec_lo, exec_lo, s19
	s_delay_alu instid0(VALU_DEP_1) | instskip(SKIP_1) | instid1(VALU_DEP_2)
	v_dual_lshlrev_b32 v3, 24, v5 :: v_dual_lshlrev_b32 v2, 20, v2
	v_lshl_add_u32 v5, v6, 23, 0x3c000000
	v_and_b32_e32 v3, 0x80000000, v3
	s_delay_alu instid0(VALU_DEP_1)
	v_or3_b32 v39, v2, v3, v5
.LBB351_296:                            ;   in Loop: Header=BB351_15 Depth=1
	s_or_b32 exec_lo, exec_lo, s18
.LBB351_297:                            ;   in Loop: Header=BB351_15 Depth=1
	s_delay_alu instid0(SALU_CYCLE_1)
	s_or_b32 exec_lo, exec_lo, s17
.LBB351_298:                            ;   in Loop: Header=BB351_15 Depth=1
	s_delay_alu instid0(SALU_CYCLE_1) | instskip(NEXT) | instid1(SALU_CYCLE_1)
	s_or_b32 exec_lo, exec_lo, s16
	s_mov_b32 s16, exec_lo
	v_cmpx_lt_u32_e32 0xffffff, v0
	s_cbranch_execz .LBB351_306
; %bb.299:                              ;   in Loop: Header=BB351_15 Depth=1
	v_lshrrev_b32_e32 v5, 24, v0
	v_bfrev_b32_e32 v53, 1
	s_mov_b32 s17, exec_lo
	s_delay_alu instid0(VALU_DEP_2)
	v_cmpx_ne_u32_e32 0x80, v5
	s_cbranch_execz .LBB351_305
; %bb.300:                              ;   in Loop: Header=BB351_15 Depth=1
	v_bfe_u32 v2, v0, 24, 7
	v_mov_b32_e32 v53, 0x7f800001
	s_mov_b32 s18, exec_lo
	s_delay_alu instid0(VALU_DEP_2)
	v_cmpx_ne_u32_e32 0x7f, v2
	s_cbranch_execz .LBB351_304
; %bb.301:                              ;   in Loop: Header=BB351_15 Depth=1
	v_dual_lshrrev_b32 v6, 3, v2 :: v_dual_bitop2_b32 v48, 7, v5 bitop3:0x40
	v_cmp_gt_u32_e64 s1, 8, v2
	s_delay_alu instid0(VALU_DEP_2)
	v_mov_b64_e32 v[2:3], v[48:49]
	s_and_saveexec_b32 s19, s1
; %bb.302:                              ;   in Loop: Header=BB351_15 Depth=1
	v_clz_i32_u32_e32 v2, v48
	s_delay_alu instid0(VALU_DEP_1) | instskip(NEXT) | instid1(VALU_DEP_1)
	v_min_u32_e32 v6, 32, v2
	v_subrev_nc_u32_e32 v2, 28, v6
	v_sub_nc_u32_e32 v6, 29, v6
	s_delay_alu instid0(VALU_DEP_2) | instskip(NEXT) | instid1(VALU_DEP_1)
	v_lshlrev_b64_e32 v[2:3], v2, v[48:49]
	v_and_b32_e32 v2, 7, v2
; %bb.303:                              ;   in Loop: Header=BB351_15 Depth=1
	s_or_b32 exec_lo, exec_lo, s19
	s_delay_alu instid0(VALU_DEP_1) | instskip(SKIP_1) | instid1(VALU_DEP_2)
	v_dual_lshlrev_b32 v3, 24, v5 :: v_dual_lshlrev_b32 v2, 20, v2
	v_lshl_add_u32 v5, v6, 23, 0x3c000000
	v_and_b32_e32 v3, 0x80000000, v3
	s_delay_alu instid0(VALU_DEP_1)
	v_or3_b32 v53, v2, v3, v5
.LBB351_304:                            ;   in Loop: Header=BB351_15 Depth=1
	s_or_b32 exec_lo, exec_lo, s18
.LBB351_305:                            ;   in Loop: Header=BB351_15 Depth=1
	s_delay_alu instid0(SALU_CYCLE_1)
	s_or_b32 exec_lo, exec_lo, s17
.LBB351_306:                            ;   in Loop: Header=BB351_15 Depth=1
	s_delay_alu instid0(SALU_CYCLE_1)
	s_or_b32 exec_lo, exec_lo, s16
	v_dual_mov_b32 v48, v1 :: v_dual_mov_b32 v3, 0
	v_and_b32_e32 v2, 0xff, v1
	s_mov_b32 s16, exec_lo
	scratch_store_b32 off, v3, s32 offset:240 ; 4-byte Folded Spill
	s_wait_xcnt 0x0
	v_mov_b32_e32 v3, 0
	scratch_store_b32 off, v3, s32 offset:236 ; 4-byte Folded Spill
	s_wait_xcnt 0x0
	v_cmpx_ne_u16_e32 0, v2
	s_cbranch_execz .LBB351_314
; %bb.307:                              ;   in Loop: Header=BB351_15 Depth=1
	v_cmp_ne_u16_e64 s1, 0x80, v2
	v_bfrev_b32_e32 v2, 1
	scratch_store_b32 off, v2, s32 offset:236 ; 4-byte Folded Spill
	s_wait_xcnt 0x0
	s_and_saveexec_b32 s17, s1
	s_cbranch_execz .LBB351_313
; %bb.308:                              ;   in Loop: Header=BB351_15 Depth=1
	v_and_b32_e32 v2, 0x7f, v1
	v_mov_b32_e32 v3, 0x7f800001
	s_mov_b32 s18, exec_lo
	scratch_store_b32 off, v3, s32 offset:236 ; 4-byte Folded Spill
	s_wait_xcnt 0x0
	v_cmpx_ne_u32_e32 0x7f, v2
	s_cbranch_execz .LBB351_312
; %bb.309:                              ;   in Loop: Header=BB351_15 Depth=1
	v_lshrrev_b32_e32 v5, 3, v2
	v_cmp_gt_u32_e64 s1, 8, v2
	v_mov_b64_e32 v[2:3], v[48:49]
	s_and_saveexec_b32 s19, s1
; %bb.310:                              ;   in Loop: Header=BB351_15 Depth=1
	v_and_b32_e32 v2, 7, v1
	s_delay_alu instid0(VALU_DEP_1) | instskip(NEXT) | instid1(VALU_DEP_1)
	v_clz_i32_u32_e32 v2, v2
	v_min_u32_e32 v5, 32, v2
	s_delay_alu instid0(VALU_DEP_1) | instskip(SKIP_1) | instid1(VALU_DEP_2)
	v_subrev_nc_u32_e32 v2, 28, v5
	v_sub_nc_u32_e32 v5, 29, v5
	v_lshlrev_b64_e32 v[2:3], v2, v[48:49]
; %bb.311:                              ;   in Loop: Header=BB351_15 Depth=1
	s_or_b32 exec_lo, exec_lo, s19
	s_delay_alu instid0(VALU_DEP_1) | instskip(NEXT) | instid1(VALU_DEP_3)
	v_dual_lshlrev_b32 v2, 20, v2 :: v_dual_lshlrev_b32 v3, 24, v48
	v_lshl_add_u32 v5, v5, 23, 0x3c000000
	s_delay_alu instid0(VALU_DEP_2) | instskip(NEXT) | instid1(VALU_DEP_3)
	v_and_b32_e32 v2, 0x700000, v2
	v_and_b32_e32 v3, 0x80000000, v3
	s_delay_alu instid0(VALU_DEP_1)
	v_or3_b32 v2, v2, v3, v5
	scratch_store_b32 off, v2, s32 offset:236 ; 4-byte Folded Spill
.LBB351_312:                            ;   in Loop: Header=BB351_15 Depth=1
	s_wait_xcnt 0x0
	s_or_b32 exec_lo, exec_lo, s18
.LBB351_313:                            ;   in Loop: Header=BB351_15 Depth=1
	s_delay_alu instid0(SALU_CYCLE_1)
	s_or_b32 exec_lo, exec_lo, s17
.LBB351_314:                            ;   in Loop: Header=BB351_15 Depth=1
	s_delay_alu instid0(SALU_CYCLE_1) | instskip(SKIP_2) | instid1(VALU_DEP_1)
	s_or_b32 exec_lo, exec_lo, s16
	v_lshrrev_b16 v2, 8, v48
	s_mov_b32 s16, exec_lo
	v_cmpx_ne_u16_e32 0, v2
	s_cbranch_execz .LBB351_322
; %bb.315:                              ;   in Loop: Header=BB351_15 Depth=1
	v_bfrev_b32_e32 v3, 1
	s_mov_b32 s17, exec_lo
	scratch_store_b32 off, v3, s32 offset:240 ; 4-byte Folded Spill
	s_wait_xcnt 0x0
	v_cmpx_ne_u16_e32 0x80, v2
	s_cbranch_execz .LBB351_321
; %bb.316:                              ;   in Loop: Header=BB351_15 Depth=1
	v_and_b32_e32 v2, 0xffff, v2
	v_mov_b32_e32 v3, 0x7f800001
	s_mov_b32 s18, exec_lo
	s_delay_alu instid0(VALU_DEP_2)
	v_and_b32_e32 v6, 0x7f, v2
	scratch_store_b32 off, v3, s32 offset:240 ; 4-byte Folded Spill
	s_wait_xcnt 0x0
	v_cmpx_ne_u32_e32 0x7f, v6
	s_cbranch_execz .LBB351_320
; %bb.317:                              ;   in Loop: Header=BB351_15 Depth=1
	v_dual_mov_b32 v3, v49 :: v_dual_bitop2_b32 v2, 7, v2 bitop3:0x40
	v_lshrrev_b32_e32 v5, 3, v6
	s_mov_b32 s19, exec_lo
	v_cmpx_gt_u32_e32 8, v6
; %bb.318:                              ;   in Loop: Header=BB351_15 Depth=1
	s_delay_alu instid0(VALU_DEP_3) | instskip(NEXT) | instid1(VALU_DEP_1)
	v_clz_i32_u32_e32 v5, v2
	v_min_u32_e32 v5, 32, v5
	s_delay_alu instid0(VALU_DEP_1) | instskip(NEXT) | instid1(VALU_DEP_1)
	v_subrev_nc_u32_e32 v6, 28, v5
	v_lshlrev_b64_e32 v[2:3], v6, v[2:3]
	s_delay_alu instid0(VALU_DEP_1)
	v_dual_sub_nc_u32 v5, 29, v5 :: v_dual_bitop2_b32 v2, 7, v2 bitop3:0x40
; %bb.319:                              ;   in Loop: Header=BB351_15 Depth=1
	s_or_b32 exec_lo, exec_lo, s19
	s_delay_alu instid0(VALU_DEP_1) | instskip(NEXT) | instid1(VALU_DEP_2)
	v_dual_lshlrev_b32 v3, 16, v48 :: v_dual_lshlrev_b32 v2, 20, v2
	v_lshl_add_u32 v5, v5, 23, 0x3c000000
	s_delay_alu instid0(VALU_DEP_2) | instskip(NEXT) | instid1(VALU_DEP_1)
	v_and_b32_e32 v3, 0x80000000, v3
	v_or3_b32 v2, v2, v3, v5
	scratch_store_b32 off, v2, s32 offset:240 ; 4-byte Folded Spill
.LBB351_320:                            ;   in Loop: Header=BB351_15 Depth=1
	s_wait_xcnt 0x0
	s_or_b32 exec_lo, exec_lo, s18
.LBB351_321:                            ;   in Loop: Header=BB351_15 Depth=1
	s_delay_alu instid0(SALU_CYCLE_1)
	s_or_b32 exec_lo, exec_lo, s17
.LBB351_322:                            ;   in Loop: Header=BB351_15 Depth=1
	s_delay_alu instid0(SALU_CYCLE_1) | instskip(SKIP_2) | instid1(VALU_DEP_1)
	s_or_b32 exec_lo, exec_lo, s16
	v_dual_lshrrev_b32 v5, 16, v1 :: v_dual_mov_b32 v3, 0
	s_mov_b32 s16, exec_lo
	v_and_b32_e32 v2, 0xff, v5
	scratch_store_b32 off, v3, s32 offset:248 ; 4-byte Folded Spill
	s_wait_xcnt 0x0
	v_mov_b32_e32 v3, 0
	scratch_store_b32 off, v3, s32 offset:244 ; 4-byte Folded Spill
	s_wait_xcnt 0x0
	v_cmpx_ne_u16_e32 0, v2
	s_cbranch_execz .LBB351_330
; %bb.323:                              ;   in Loop: Header=BB351_15 Depth=1
	v_cmp_ne_u16_e64 s1, 0x80, v2
	v_bfrev_b32_e32 v2, 1
	scratch_store_b32 off, v2, s32 offset:244 ; 4-byte Folded Spill
	s_wait_xcnt 0x0
	s_and_saveexec_b32 s17, s1
	s_cbranch_execz .LBB351_329
; %bb.324:                              ;   in Loop: Header=BB351_15 Depth=1
	v_bfe_u32 v2, v1, 16, 7
	v_mov_b32_e32 v3, 0x7f800001
	s_mov_b32 s18, exec_lo
	scratch_store_b32 off, v3, s32 offset:244 ; 4-byte Folded Spill
	s_wait_xcnt 0x0
	v_cmpx_ne_u32_e32 0x7f, v2
	s_cbranch_execz .LBB351_328
; %bb.325:                              ;   in Loop: Header=BB351_15 Depth=1
	v_dual_lshrrev_b32 v6, 3, v2 :: v_dual_bitop2_b32 v48, 7, v5 bitop3:0x40
	v_cmp_gt_u32_e64 s1, 8, v2
	s_delay_alu instid0(VALU_DEP_2)
	v_mov_b64_e32 v[2:3], v[48:49]
	s_and_saveexec_b32 s19, s1
; %bb.326:                              ;   in Loop: Header=BB351_15 Depth=1
	v_clz_i32_u32_e32 v2, v48
	s_delay_alu instid0(VALU_DEP_1) | instskip(NEXT) | instid1(VALU_DEP_1)
	v_min_u32_e32 v6, 32, v2
	v_subrev_nc_u32_e32 v2, 28, v6
	v_sub_nc_u32_e32 v6, 29, v6
	s_delay_alu instid0(VALU_DEP_2) | instskip(NEXT) | instid1(VALU_DEP_1)
	v_lshlrev_b64_e32 v[2:3], v2, v[48:49]
	v_and_b32_e32 v2, 7, v2
; %bb.327:                              ;   in Loop: Header=BB351_15 Depth=1
	s_or_b32 exec_lo, exec_lo, s19
	s_delay_alu instid0(VALU_DEP_1) | instskip(SKIP_1) | instid1(VALU_DEP_2)
	v_dual_lshlrev_b32 v3, 24, v5 :: v_dual_lshlrev_b32 v2, 20, v2
	v_lshl_add_u32 v5, v6, 23, 0x3c000000
	v_and_b32_e32 v3, 0x80000000, v3
	s_delay_alu instid0(VALU_DEP_1)
	v_or3_b32 v2, v2, v3, v5
	scratch_store_b32 off, v2, s32 offset:244 ; 4-byte Folded Spill
.LBB351_328:                            ;   in Loop: Header=BB351_15 Depth=1
	s_wait_xcnt 0x0
	s_or_b32 exec_lo, exec_lo, s18
.LBB351_329:                            ;   in Loop: Header=BB351_15 Depth=1
	s_delay_alu instid0(SALU_CYCLE_1)
	s_or_b32 exec_lo, exec_lo, s17
.LBB351_330:                            ;   in Loop: Header=BB351_15 Depth=1
	s_delay_alu instid0(SALU_CYCLE_1) | instskip(NEXT) | instid1(SALU_CYCLE_1)
	s_or_b32 exec_lo, exec_lo, s16
	s_mov_b32 s16, exec_lo
	v_cmpx_lt_u64_e64 s[8:9], v[0:1]
	s_cbranch_execz .LBB351_338
; %bb.331:                              ;   in Loop: Header=BB351_15 Depth=1
	v_lshrrev_b32_e32 v2, 24, v1
	v_bfrev_b32_e32 v0, 1
	s_mov_b32 s17, exec_lo
	scratch_store_b32 off, v0, s32 offset:248 ; 4-byte Folded Spill
	s_wait_xcnt 0x0
	v_cmpx_ne_u32_e32 0x80, v2
	s_cbranch_execz .LBB351_337
; %bb.332:                              ;   in Loop: Header=BB351_15 Depth=1
	v_bfe_u32 v0, v1, 24, 7
	v_mov_b32_e32 v1, 0x7f800001
	s_mov_b32 s18, exec_lo
	s_delay_alu instid0(VALU_DEP_2)
	v_cmpx_ne_u32_e32 0x7f, v0
	s_cbranch_execz .LBB351_336
; %bb.333:                              ;   in Loop: Header=BB351_15 Depth=1
	v_dual_lshrrev_b32 v3, 3, v0 :: v_dual_bitop2_b32 v48, 7, v2 bitop3:0x40
	v_cmp_gt_u32_e64 s1, 8, v0
	s_delay_alu instid0(VALU_DEP_2)
	v_mov_b64_e32 v[0:1], v[48:49]
	s_and_saveexec_b32 s19, s1
; %bb.334:                              ;   in Loop: Header=BB351_15 Depth=1
	v_clz_i32_u32_e32 v0, v48
	s_delay_alu instid0(VALU_DEP_1) | instskip(NEXT) | instid1(VALU_DEP_1)
	v_min_u32_e32 v3, 32, v0
	v_subrev_nc_u32_e32 v0, 28, v3
	s_delay_alu instid0(VALU_DEP_1) | instskip(NEXT) | instid1(VALU_DEP_1)
	v_lshlrev_b64_e32 v[0:1], v0, v[48:49]
	v_dual_sub_nc_u32 v3, 29, v3 :: v_dual_bitop2_b32 v0, 7, v0 bitop3:0x40
; %bb.335:                              ;   in Loop: Header=BB351_15 Depth=1
	s_or_b32 exec_lo, exec_lo, s19
	s_delay_alu instid0(VALU_DEP_1) | instskip(NEXT) | instid1(VALU_DEP_2)
	v_dual_lshlrev_b32 v1, 24, v2 :: v_dual_lshlrev_b32 v0, 20, v0
	v_lshl_add_u32 v2, v3, 23, 0x3c000000
	s_delay_alu instid0(VALU_DEP_2) | instskip(NEXT) | instid1(VALU_DEP_1)
	v_and_b32_e32 v1, 0x80000000, v1
	v_or3_b32 v1, v0, v1, v2
.LBB351_336:                            ;   in Loop: Header=BB351_15 Depth=1
	s_or_b32 exec_lo, exec_lo, s18
	scratch_store_b32 off, v1, s32 offset:248 ; 4-byte Folded Spill
.LBB351_337:                            ;   in Loop: Header=BB351_15 Depth=1
	s_wait_xcnt 0x0
	s_or_b32 exec_lo, exec_lo, s17
.LBB351_338:                            ;   in Loop: Header=BB351_15 Depth=1
	s_delay_alu instid0(SALU_CYCLE_1)
	s_or_b32 exec_lo, exec_lo, s16
	flat_load_b64 v[0:1], v[86:87] offset:1032
	v_dual_mov_b32 v55, 0 :: v_dual_mov_b32 v4, 0
	s_mov_b32 s16, exec_lo
	s_wait_loadcnt_dscnt 0x0
	v_and_b32_e32 v2, 0xff, v0
	s_wait_xcnt 0x0
	s_delay_alu instid0(VALU_DEP_1)
	v_cmpx_ne_u16_e32 0, v2
	s_cbranch_execz .LBB351_346
; %bb.339:                              ;   in Loop: Header=BB351_15 Depth=1
	v_bfrev_b32_e32 v4, 1
	s_mov_b32 s17, exec_lo
	v_cmpx_ne_u16_e32 0x80, v2
	s_cbranch_execz .LBB351_345
; %bb.340:                              ;   in Loop: Header=BB351_15 Depth=1
	v_and_b32_e32 v2, 0x7f, v0
	v_mov_b32_e32 v4, 0x7f800001
	s_mov_b32 s18, exec_lo
	s_delay_alu instid0(VALU_DEP_2)
	v_cmpx_ne_u32_e32 0x7f, v2
	s_cbranch_execz .LBB351_344
; %bb.341:                              ;   in Loop: Header=BB351_15 Depth=1
	v_lshrrev_b32_e32 v5, 3, v2
	v_cmp_gt_u32_e64 s1, 8, v2
	v_mov_b64_e32 v[2:3], v[0:1]
	s_and_saveexec_b32 s19, s1
; %bb.342:                              ;   in Loop: Header=BB351_15 Depth=1
	v_and_b32_e32 v2, 7, v0
	s_delay_alu instid0(VALU_DEP_1) | instskip(NEXT) | instid1(VALU_DEP_1)
	v_clz_i32_u32_e32 v2, v2
	v_min_u32_e32 v5, 32, v2
	s_delay_alu instid0(VALU_DEP_1) | instskip(SKIP_1) | instid1(VALU_DEP_2)
	v_subrev_nc_u32_e32 v2, 28, v5
	v_sub_nc_u32_e32 v5, 29, v5
	v_lshlrev_b64_e32 v[2:3], v2, v[0:1]
; %bb.343:                              ;   in Loop: Header=BB351_15 Depth=1
	s_or_b32 exec_lo, exec_lo, s19
	s_delay_alu instid0(VALU_DEP_1) | instskip(NEXT) | instid1(VALU_DEP_3)
	v_dual_lshlrev_b32 v2, 20, v2 :: v_dual_lshlrev_b32 v3, 24, v0
	v_lshl_add_u32 v5, v5, 23, 0x3c000000
	s_delay_alu instid0(VALU_DEP_2) | instskip(NEXT) | instid1(VALU_DEP_3)
	v_and_b32_e32 v2, 0x700000, v2
	v_and_b32_e32 v3, 0x80000000, v3
	s_delay_alu instid0(VALU_DEP_1)
	v_or3_b32 v4, v2, v3, v5
.LBB351_344:                            ;   in Loop: Header=BB351_15 Depth=1
	s_or_b32 exec_lo, exec_lo, s18
.LBB351_345:                            ;   in Loop: Header=BB351_15 Depth=1
	s_delay_alu instid0(SALU_CYCLE_1)
	s_or_b32 exec_lo, exec_lo, s17
.LBB351_346:                            ;   in Loop: Header=BB351_15 Depth=1
	s_delay_alu instid0(SALU_CYCLE_1) | instskip(SKIP_2) | instid1(VALU_DEP_1)
	s_or_b32 exec_lo, exec_lo, s16
	v_lshrrev_b16 v2, 8, v0
	s_mov_b32 s16, exec_lo
	v_cmpx_ne_u16_e32 0, v2
	s_cbranch_execz .LBB351_354
; %bb.347:                              ;   in Loop: Header=BB351_15 Depth=1
	v_bfrev_b32_e32 v55, 1
	s_mov_b32 s17, exec_lo
	v_cmpx_ne_u16_e32 0x80, v2
	s_cbranch_execz .LBB351_353
; %bb.348:                              ;   in Loop: Header=BB351_15 Depth=1
	v_and_b32_e32 v3, 0xffff, v2
	v_mov_b32_e32 v55, 0x7f800001
	s_mov_b32 s18, exec_lo
	s_delay_alu instid0(VALU_DEP_2) | instskip(NEXT) | instid1(VALU_DEP_1)
	v_and_b32_e32 v2, 0x7f, v3
	v_cmpx_ne_u32_e32 0x7f, v2
	s_cbranch_execz .LBB351_352
; %bb.349:                              ;   in Loop: Header=BB351_15 Depth=1
	v_dual_lshrrev_b32 v6, 3, v2 :: v_dual_bitop2_b32 v48, 7, v3 bitop3:0x40
	v_cmp_gt_u32_e64 s1, 8, v2
	s_delay_alu instid0(VALU_DEP_2)
	v_mov_b64_e32 v[2:3], v[48:49]
	s_and_saveexec_b32 s19, s1
; %bb.350:                              ;   in Loop: Header=BB351_15 Depth=1
	v_clz_i32_u32_e32 v2, v48
	s_delay_alu instid0(VALU_DEP_1) | instskip(NEXT) | instid1(VALU_DEP_1)
	v_min_u32_e32 v6, 32, v2
	v_subrev_nc_u32_e32 v2, 28, v6
	v_sub_nc_u32_e32 v6, 29, v6
	s_delay_alu instid0(VALU_DEP_2) | instskip(NEXT) | instid1(VALU_DEP_1)
	v_lshlrev_b64_e32 v[2:3], v2, v[48:49]
	v_and_b32_e32 v2, 7, v2
; %bb.351:                              ;   in Loop: Header=BB351_15 Depth=1
	s_or_b32 exec_lo, exec_lo, s19
	s_delay_alu instid0(VALU_DEP_1) | instskip(SKIP_1) | instid1(VALU_DEP_2)
	v_dual_lshlrev_b32 v3, 16, v0 :: v_dual_lshlrev_b32 v2, 20, v2
	v_lshl_add_u32 v6, v6, 23, 0x3c000000
	v_and_b32_e32 v3, 0x80000000, v3
	s_delay_alu instid0(VALU_DEP_1)
	v_or3_b32 v55, v2, v3, v6
.LBB351_352:                            ;   in Loop: Header=BB351_15 Depth=1
	s_or_b32 exec_lo, exec_lo, s18
.LBB351_353:                            ;   in Loop: Header=BB351_15 Depth=1
	s_delay_alu instid0(SALU_CYCLE_1)
	s_or_b32 exec_lo, exec_lo, s17
.LBB351_354:                            ;   in Loop: Header=BB351_15 Depth=1
	s_delay_alu instid0(SALU_CYCLE_1) | instskip(SKIP_3) | instid1(VALU_DEP_2)
	s_or_b32 exec_lo, exec_lo, s16
	v_dual_mov_b32 v65, 0 :: v_dual_lshrrev_b32 v6, 16, v0
	v_mov_b32_e32 v20, 0
	s_mov_b32 s16, exec_lo
	v_and_b32_e32 v2, 0xff, v6
	s_delay_alu instid0(VALU_DEP_1)
	v_cmpx_ne_u16_e32 0, v2
	s_cbranch_execz .LBB351_362
; %bb.355:                              ;   in Loop: Header=BB351_15 Depth=1
	v_bfrev_b32_e32 v20, 1
	s_mov_b32 s17, exec_lo
	v_cmpx_ne_u16_e32 0x80, v2
	s_cbranch_execz .LBB351_361
; %bb.356:                              ;   in Loop: Header=BB351_15 Depth=1
	v_bfe_u32 v2, v0, 16, 7
	v_mov_b32_e32 v20, 0x7f800001
	s_mov_b32 s18, exec_lo
	s_delay_alu instid0(VALU_DEP_2)
	v_cmpx_ne_u32_e32 0x7f, v2
	s_cbranch_execz .LBB351_360
; %bb.357:                              ;   in Loop: Header=BB351_15 Depth=1
	v_and_b32_e32 v48, 7, v6
	v_lshrrev_b32_e32 v7, 3, v2
	v_cmp_gt_u32_e64 s1, 8, v2
	s_delay_alu instid0(VALU_DEP_3)
	v_mov_b64_e32 v[2:3], v[48:49]
	s_and_saveexec_b32 s19, s1
; %bb.358:                              ;   in Loop: Header=BB351_15 Depth=1
	v_clz_i32_u32_e32 v2, v48
	s_delay_alu instid0(VALU_DEP_1) | instskip(NEXT) | instid1(VALU_DEP_1)
	v_min_u32_e32 v7, 32, v2
	v_subrev_nc_u32_e32 v2, 28, v7
	s_delay_alu instid0(VALU_DEP_1) | instskip(NEXT) | instid1(VALU_DEP_1)
	v_lshlrev_b64_e32 v[2:3], v2, v[48:49]
	v_dual_sub_nc_u32 v7, 29, v7 :: v_dual_bitop2_b32 v2, 7, v2 bitop3:0x40
; %bb.359:                              ;   in Loop: Header=BB351_15 Depth=1
	s_or_b32 exec_lo, exec_lo, s19
	v_lshlrev_b32_e32 v3, 24, v6
	s_delay_alu instid0(VALU_DEP_2) | instskip(NEXT) | instid1(VALU_DEP_3)
	v_lshlrev_b32_e32 v2, 20, v2
	v_lshl_add_u32 v6, v7, 23, 0x3c000000
	s_delay_alu instid0(VALU_DEP_3) | instskip(NEXT) | instid1(VALU_DEP_1)
	v_and_b32_e32 v3, 0x80000000, v3
	v_or3_b32 v20, v2, v3, v6
.LBB351_360:                            ;   in Loop: Header=BB351_15 Depth=1
	s_or_b32 exec_lo, exec_lo, s18
.LBB351_361:                            ;   in Loop: Header=BB351_15 Depth=1
	s_delay_alu instid0(SALU_CYCLE_1)
	s_or_b32 exec_lo, exec_lo, s17
.LBB351_362:                            ;   in Loop: Header=BB351_15 Depth=1
	s_delay_alu instid0(SALU_CYCLE_1) | instskip(NEXT) | instid1(SALU_CYCLE_1)
	s_or_b32 exec_lo, exec_lo, s16
	s_mov_b32 s16, exec_lo
	v_cmpx_lt_u32_e32 0xffffff, v0
	s_cbranch_execz .LBB351_370
; %bb.363:                              ;   in Loop: Header=BB351_15 Depth=1
	v_lshrrev_b32_e32 v6, 24, v0
	v_bfrev_b32_e32 v65, 1
	s_mov_b32 s17, exec_lo
	s_delay_alu instid0(VALU_DEP_2)
	v_cmpx_ne_u32_e32 0x80, v6
	s_cbranch_execz .LBB351_369
; %bb.364:                              ;   in Loop: Header=BB351_15 Depth=1
	v_bfe_u32 v2, v0, 24, 7
	v_mov_b32_e32 v65, 0x7f800001
	s_mov_b32 s18, exec_lo
	s_delay_alu instid0(VALU_DEP_2)
	v_cmpx_ne_u32_e32 0x7f, v2
	s_cbranch_execz .LBB351_368
; %bb.365:                              ;   in Loop: Header=BB351_15 Depth=1
	v_and_b32_e32 v48, 7, v6
	v_lshrrev_b32_e32 v7, 3, v2
	v_cmp_gt_u32_e64 s1, 8, v2
	s_delay_alu instid0(VALU_DEP_3)
	v_mov_b64_e32 v[2:3], v[48:49]
	s_and_saveexec_b32 s19, s1
; %bb.366:                              ;   in Loop: Header=BB351_15 Depth=1
	v_clz_i32_u32_e32 v2, v48
	s_delay_alu instid0(VALU_DEP_1) | instskip(NEXT) | instid1(VALU_DEP_1)
	v_min_u32_e32 v7, 32, v2
	v_subrev_nc_u32_e32 v2, 28, v7
	s_delay_alu instid0(VALU_DEP_1) | instskip(NEXT) | instid1(VALU_DEP_1)
	v_lshlrev_b64_e32 v[2:3], v2, v[48:49]
	v_dual_sub_nc_u32 v7, 29, v7 :: v_dual_bitop2_b32 v2, 7, v2 bitop3:0x40
; %bb.367:                              ;   in Loop: Header=BB351_15 Depth=1
	s_or_b32 exec_lo, exec_lo, s19
	v_lshlrev_b32_e32 v3, 24, v6
	s_delay_alu instid0(VALU_DEP_2) | instskip(NEXT) | instid1(VALU_DEP_3)
	v_lshlrev_b32_e32 v2, 20, v2
	v_lshl_add_u32 v6, v7, 23, 0x3c000000
	s_delay_alu instid0(VALU_DEP_3) | instskip(NEXT) | instid1(VALU_DEP_1)
	v_and_b32_e32 v3, 0x80000000, v3
	v_or3_b32 v65, v2, v3, v6
.LBB351_368:                            ;   in Loop: Header=BB351_15 Depth=1
	s_or_b32 exec_lo, exec_lo, s18
.LBB351_369:                            ;   in Loop: Header=BB351_15 Depth=1
	s_delay_alu instid0(SALU_CYCLE_1)
	s_or_b32 exec_lo, exec_lo, s17
.LBB351_370:                            ;   in Loop: Header=BB351_15 Depth=1
	s_delay_alu instid0(SALU_CYCLE_1) | instskip(SKIP_4) | instid1(VALU_DEP_3)
	s_or_b32 exec_lo, exec_lo, s16
	v_and_b32_e32 v2, 0xff, v1
	v_dual_mov_b32 v48, v1 :: v_dual_mov_b32 v9, 0
	v_mov_b32_e32 v21, 0
	s_mov_b32 s16, exec_lo
	v_cmpx_ne_u16_e32 0, v2
	s_cbranch_execz .LBB351_378
; %bb.371:                              ;   in Loop: Header=BB351_15 Depth=1
	v_bfrev_b32_e32 v21, 1
	s_mov_b32 s17, exec_lo
	v_cmpx_ne_u16_e32 0x80, v2
	s_cbranch_execz .LBB351_377
; %bb.372:                              ;   in Loop: Header=BB351_15 Depth=1
	v_and_b32_e32 v2, 0x7f, v1
	v_mov_b32_e32 v21, 0x7f800001
	s_mov_b32 s18, exec_lo
	s_delay_alu instid0(VALU_DEP_2)
	v_cmpx_ne_u32_e32 0x7f, v2
	s_cbranch_execz .LBB351_376
; %bb.373:                              ;   in Loop: Header=BB351_15 Depth=1
	v_lshrrev_b32_e32 v6, 3, v2
	v_cmp_gt_u32_e64 s1, 8, v2
	v_mov_b64_e32 v[2:3], v[48:49]
	s_and_saveexec_b32 s19, s1
; %bb.374:                              ;   in Loop: Header=BB351_15 Depth=1
	v_and_b32_e32 v2, 7, v1
	s_delay_alu instid0(VALU_DEP_1) | instskip(NEXT) | instid1(VALU_DEP_1)
	v_clz_i32_u32_e32 v2, v2
	v_min_u32_e32 v6, 32, v2
	s_delay_alu instid0(VALU_DEP_1) | instskip(SKIP_1) | instid1(VALU_DEP_2)
	v_subrev_nc_u32_e32 v2, 28, v6
	v_sub_nc_u32_e32 v6, 29, v6
	v_lshlrev_b64_e32 v[2:3], v2, v[48:49]
; %bb.375:                              ;   in Loop: Header=BB351_15 Depth=1
	s_or_b32 exec_lo, exec_lo, s19
	s_delay_alu instid0(VALU_DEP_1) | instskip(NEXT) | instid1(VALU_DEP_3)
	v_dual_lshlrev_b32 v2, 20, v2 :: v_dual_lshlrev_b32 v3, 24, v48
	v_lshl_add_u32 v6, v6, 23, 0x3c000000
	s_delay_alu instid0(VALU_DEP_2) | instskip(NEXT) | instid1(VALU_DEP_3)
	v_and_b32_e32 v2, 0x700000, v2
	v_and_b32_e32 v3, 0x80000000, v3
	s_delay_alu instid0(VALU_DEP_1)
	v_or3_b32 v21, v2, v3, v6
.LBB351_376:                            ;   in Loop: Header=BB351_15 Depth=1
	s_or_b32 exec_lo, exec_lo, s18
.LBB351_377:                            ;   in Loop: Header=BB351_15 Depth=1
	s_delay_alu instid0(SALU_CYCLE_1)
	s_or_b32 exec_lo, exec_lo, s17
.LBB351_378:                            ;   in Loop: Header=BB351_15 Depth=1
	s_delay_alu instid0(SALU_CYCLE_1) | instskip(SKIP_2) | instid1(VALU_DEP_1)
	s_or_b32 exec_lo, exec_lo, s16
	v_lshrrev_b16 v2, 8, v48
	s_mov_b32 s16, exec_lo
	v_cmpx_ne_u16_e32 0, v2
	s_cbranch_execz .LBB351_386
; %bb.379:                              ;   in Loop: Header=BB351_15 Depth=1
	v_bfrev_b32_e32 v9, 1
	s_mov_b32 s17, exec_lo
	v_cmpx_ne_u16_e32 0x80, v2
	s_cbranch_execz .LBB351_385
; %bb.380:                              ;   in Loop: Header=BB351_15 Depth=1
	v_and_b32_e32 v2, 0xffff, v2
	v_mov_b32_e32 v9, 0x7f800001
	s_mov_b32 s18, exec_lo
	s_delay_alu instid0(VALU_DEP_2) | instskip(NEXT) | instid1(VALU_DEP_1)
	v_and_b32_e32 v7, 0x7f, v2
	v_cmpx_ne_u32_e32 0x7f, v7
	s_cbranch_execz .LBB351_384
; %bb.381:                              ;   in Loop: Header=BB351_15 Depth=1
	v_dual_mov_b32 v3, v49 :: v_dual_bitop2_b32 v2, 7, v2 bitop3:0x40
	v_lshrrev_b32_e32 v6, 3, v7
	s_mov_b32 s19, exec_lo
	v_cmpx_gt_u32_e32 8, v7
; %bb.382:                              ;   in Loop: Header=BB351_15 Depth=1
	s_delay_alu instid0(VALU_DEP_3) | instskip(NEXT) | instid1(VALU_DEP_1)
	v_clz_i32_u32_e32 v6, v2
	v_min_u32_e32 v6, 32, v6
	s_delay_alu instid0(VALU_DEP_1) | instskip(SKIP_1) | instid1(VALU_DEP_2)
	v_subrev_nc_u32_e32 v7, 28, v6
	v_sub_nc_u32_e32 v6, 29, v6
	v_lshlrev_b64_e32 v[2:3], v7, v[2:3]
	s_delay_alu instid0(VALU_DEP_1)
	v_and_b32_e32 v2, 7, v2
; %bb.383:                              ;   in Loop: Header=BB351_15 Depth=1
	s_or_b32 exec_lo, exec_lo, s19
	s_delay_alu instid0(VALU_DEP_1) | instskip(SKIP_1) | instid1(VALU_DEP_2)
	v_dual_lshlrev_b32 v3, 16, v48 :: v_dual_lshlrev_b32 v2, 20, v2
	v_lshl_add_u32 v6, v6, 23, 0x3c000000
	v_and_b32_e32 v3, 0x80000000, v3
	s_delay_alu instid0(VALU_DEP_1)
	v_or3_b32 v9, v2, v3, v6
.LBB351_384:                            ;   in Loop: Header=BB351_15 Depth=1
	s_or_b32 exec_lo, exec_lo, s18
.LBB351_385:                            ;   in Loop: Header=BB351_15 Depth=1
	s_delay_alu instid0(SALU_CYCLE_1)
	s_or_b32 exec_lo, exec_lo, s17
.LBB351_386:                            ;   in Loop: Header=BB351_15 Depth=1
	s_delay_alu instid0(SALU_CYCLE_1) | instskip(SKIP_3) | instid1(VALU_DEP_2)
	s_or_b32 exec_lo, exec_lo, s16
	v_dual_lshrrev_b32 v6, 16, v1 :: v_dual_mov_b32 v18, 0
	v_mov_b32_e32 v8, 0
	s_mov_b32 s16, exec_lo
	v_and_b32_e32 v2, 0xff, v6
	s_delay_alu instid0(VALU_DEP_1)
	v_cmpx_ne_u16_e32 0, v2
	s_cbranch_execz .LBB351_394
; %bb.387:                              ;   in Loop: Header=BB351_15 Depth=1
	v_bfrev_b32_e32 v8, 1
	s_mov_b32 s17, exec_lo
	v_cmpx_ne_u16_e32 0x80, v2
	s_cbranch_execz .LBB351_393
; %bb.388:                              ;   in Loop: Header=BB351_15 Depth=1
	v_bfe_u32 v2, v1, 16, 7
	v_mov_b32_e32 v8, 0x7f800001
	s_mov_b32 s18, exec_lo
	s_delay_alu instid0(VALU_DEP_2)
	v_cmpx_ne_u32_e32 0x7f, v2
	s_cbranch_execz .LBB351_392
; %bb.389:                              ;   in Loop: Header=BB351_15 Depth=1
	v_and_b32_e32 v48, 7, v6
	v_lshrrev_b32_e32 v7, 3, v2
	v_cmp_gt_u32_e64 s1, 8, v2
	s_delay_alu instid0(VALU_DEP_3)
	v_mov_b64_e32 v[2:3], v[48:49]
	s_and_saveexec_b32 s19, s1
; %bb.390:                              ;   in Loop: Header=BB351_15 Depth=1
	v_clz_i32_u32_e32 v2, v48
	s_delay_alu instid0(VALU_DEP_1) | instskip(NEXT) | instid1(VALU_DEP_1)
	v_min_u32_e32 v7, 32, v2
	v_subrev_nc_u32_e32 v2, 28, v7
	s_delay_alu instid0(VALU_DEP_1) | instskip(NEXT) | instid1(VALU_DEP_1)
	v_lshlrev_b64_e32 v[2:3], v2, v[48:49]
	v_dual_sub_nc_u32 v7, 29, v7 :: v_dual_bitop2_b32 v2, 7, v2 bitop3:0x40
; %bb.391:                              ;   in Loop: Header=BB351_15 Depth=1
	s_or_b32 exec_lo, exec_lo, s19
	v_lshlrev_b32_e32 v3, 24, v6
	s_delay_alu instid0(VALU_DEP_2) | instskip(NEXT) | instid1(VALU_DEP_3)
	v_lshlrev_b32_e32 v2, 20, v2
	v_lshl_add_u32 v6, v7, 23, 0x3c000000
	s_delay_alu instid0(VALU_DEP_3) | instskip(NEXT) | instid1(VALU_DEP_1)
	v_and_b32_e32 v3, 0x80000000, v3
	v_or3_b32 v8, v2, v3, v6
.LBB351_392:                            ;   in Loop: Header=BB351_15 Depth=1
	s_or_b32 exec_lo, exec_lo, s18
.LBB351_393:                            ;   in Loop: Header=BB351_15 Depth=1
	s_delay_alu instid0(SALU_CYCLE_1)
	s_or_b32 exec_lo, exec_lo, s17
.LBB351_394:                            ;   in Loop: Header=BB351_15 Depth=1
	s_delay_alu instid0(SALU_CYCLE_1) | instskip(NEXT) | instid1(SALU_CYCLE_1)
	s_or_b32 exec_lo, exec_lo, s16
	s_mov_b32 s16, exec_lo
	v_cmpx_lt_u64_e64 s[8:9], v[0:1]
	s_cbranch_execz .LBB351_402
; %bb.395:                              ;   in Loop: Header=BB351_15 Depth=1
	v_lshrrev_b32_e32 v2, 24, v1
	v_bfrev_b32_e32 v18, 1
	s_mov_b32 s17, exec_lo
	s_delay_alu instid0(VALU_DEP_2)
	v_cmpx_ne_u32_e32 0x80, v2
	s_cbranch_execz .LBB351_401
; %bb.396:                              ;   in Loop: Header=BB351_15 Depth=1
	v_bfe_u32 v0, v1, 24, 7
	v_mov_b32_e32 v18, 0x7f800001
	s_mov_b32 s18, exec_lo
	s_delay_alu instid0(VALU_DEP_2)
	v_cmpx_ne_u32_e32 0x7f, v0
	s_cbranch_execz .LBB351_400
; %bb.397:                              ;   in Loop: Header=BB351_15 Depth=1
	v_dual_lshrrev_b32 v3, 3, v0 :: v_dual_bitop2_b32 v48, 7, v2 bitop3:0x40
	v_cmp_gt_u32_e64 s1, 8, v0
	s_delay_alu instid0(VALU_DEP_2)
	v_mov_b64_e32 v[0:1], v[48:49]
	s_and_saveexec_b32 s19, s1
; %bb.398:                              ;   in Loop: Header=BB351_15 Depth=1
	v_clz_i32_u32_e32 v0, v48
	s_delay_alu instid0(VALU_DEP_1) | instskip(NEXT) | instid1(VALU_DEP_1)
	v_min_u32_e32 v3, 32, v0
	v_subrev_nc_u32_e32 v0, 28, v3
	s_delay_alu instid0(VALU_DEP_1) | instskip(NEXT) | instid1(VALU_DEP_1)
	v_lshlrev_b64_e32 v[0:1], v0, v[48:49]
	v_dual_sub_nc_u32 v3, 29, v3 :: v_dual_bitop2_b32 v0, 7, v0 bitop3:0x40
; %bb.399:                              ;   in Loop: Header=BB351_15 Depth=1
	s_or_b32 exec_lo, exec_lo, s19
	s_delay_alu instid0(VALU_DEP_1) | instskip(NEXT) | instid1(VALU_DEP_2)
	v_dual_lshlrev_b32 v1, 24, v2 :: v_dual_lshlrev_b32 v0, 20, v0
	v_lshl_add_u32 v2, v3, 23, 0x3c000000
	s_delay_alu instid0(VALU_DEP_2) | instskip(NEXT) | instid1(VALU_DEP_1)
	v_and_b32_e32 v1, 0x80000000, v1
	v_or3_b32 v18, v0, v1, v2
.LBB351_400:                            ;   in Loop: Header=BB351_15 Depth=1
	s_or_b32 exec_lo, exec_lo, s18
.LBB351_401:                            ;   in Loop: Header=BB351_15 Depth=1
	s_delay_alu instid0(SALU_CYCLE_1)
	s_or_b32 exec_lo, exec_lo, s17
.LBB351_402:                            ;   in Loop: Header=BB351_15 Depth=1
	s_delay_alu instid0(SALU_CYCLE_1)
	s_or_b32 exec_lo, exec_lo, s16
	flat_load_b64 v[0:1], v[86:87] offset:1536
	v_dual_mov_b32 v115, 0 :: v_dual_mov_b32 v114, 0
	s_mov_b32 s16, exec_lo
	s_wait_loadcnt_dscnt 0x0
	v_and_b32_e32 v2, 0xff, v0
	s_wait_xcnt 0x0
	s_delay_alu instid0(VALU_DEP_1)
	v_cmpx_ne_u16_e32 0, v2
	s_cbranch_execz .LBB351_410
; %bb.403:                              ;   in Loop: Header=BB351_15 Depth=1
	v_bfrev_b32_e32 v114, 1
	s_mov_b32 s17, exec_lo
	v_cmpx_ne_u16_e32 0x80, v2
	s_cbranch_execz .LBB351_409
; %bb.404:                              ;   in Loop: Header=BB351_15 Depth=1
	v_and_b32_e32 v2, 0x7f, v0
	v_mov_b32_e32 v114, 0x7f800001
	s_mov_b32 s18, exec_lo
	s_delay_alu instid0(VALU_DEP_2)
	v_cmpx_ne_u32_e32 0x7f, v2
	s_cbranch_execz .LBB351_408
; %bb.405:                              ;   in Loop: Header=BB351_15 Depth=1
	v_lshrrev_b32_e32 v6, 3, v2
	v_cmp_gt_u32_e64 s1, 8, v2
	v_mov_b64_e32 v[2:3], v[0:1]
	s_and_saveexec_b32 s19, s1
; %bb.406:                              ;   in Loop: Header=BB351_15 Depth=1
	v_and_b32_e32 v2, 7, v0
	s_delay_alu instid0(VALU_DEP_1) | instskip(NEXT) | instid1(VALU_DEP_1)
	v_clz_i32_u32_e32 v2, v2
	v_min_u32_e32 v6, 32, v2
	s_delay_alu instid0(VALU_DEP_1) | instskip(SKIP_1) | instid1(VALU_DEP_2)
	v_subrev_nc_u32_e32 v2, 28, v6
	v_sub_nc_u32_e32 v6, 29, v6
	v_lshlrev_b64_e32 v[2:3], v2, v[0:1]
; %bb.407:                              ;   in Loop: Header=BB351_15 Depth=1
	s_or_b32 exec_lo, exec_lo, s19
	s_delay_alu instid0(VALU_DEP_1) | instskip(NEXT) | instid1(VALU_DEP_3)
	v_dual_lshlrev_b32 v2, 20, v2 :: v_dual_lshlrev_b32 v3, 24, v0
	v_lshl_add_u32 v6, v6, 23, 0x3c000000
	s_delay_alu instid0(VALU_DEP_2) | instskip(NEXT) | instid1(VALU_DEP_3)
	v_and_b32_e32 v2, 0x700000, v2
	v_and_b32_e32 v3, 0x80000000, v3
	s_delay_alu instid0(VALU_DEP_1)
	v_or3_b32 v114, v2, v3, v6
.LBB351_408:                            ;   in Loop: Header=BB351_15 Depth=1
	s_or_b32 exec_lo, exec_lo, s18
.LBB351_409:                            ;   in Loop: Header=BB351_15 Depth=1
	s_delay_alu instid0(SALU_CYCLE_1)
	s_or_b32 exec_lo, exec_lo, s17
.LBB351_410:                            ;   in Loop: Header=BB351_15 Depth=1
	s_delay_alu instid0(SALU_CYCLE_1) | instskip(SKIP_2) | instid1(VALU_DEP_1)
	s_or_b32 exec_lo, exec_lo, s16
	v_lshrrev_b16 v2, 8, v0
	s_mov_b32 s16, exec_lo
	v_cmpx_ne_u16_e32 0, v2
	s_cbranch_execz .LBB351_418
; %bb.411:                              ;   in Loop: Header=BB351_15 Depth=1
	v_bfrev_b32_e32 v115, 1
	s_mov_b32 s17, exec_lo
	v_cmpx_ne_u16_e32 0x80, v2
	s_cbranch_execz .LBB351_417
; %bb.412:                              ;   in Loop: Header=BB351_15 Depth=1
	v_and_b32_e32 v3, 0xffff, v2
	v_mov_b32_e32 v115, 0x7f800001
	s_mov_b32 s18, exec_lo
	s_delay_alu instid0(VALU_DEP_2) | instskip(NEXT) | instid1(VALU_DEP_1)
	v_and_b32_e32 v2, 0x7f, v3
	v_cmpx_ne_u32_e32 0x7f, v2
	s_cbranch_execz .LBB351_416
; %bb.413:                              ;   in Loop: Header=BB351_15 Depth=1
	v_dual_lshrrev_b32 v6, 3, v2 :: v_dual_bitop2_b32 v48, 7, v3 bitop3:0x40
	v_cmp_gt_u32_e64 s1, 8, v2
	s_delay_alu instid0(VALU_DEP_2)
	v_mov_b64_e32 v[2:3], v[48:49]
	s_and_saveexec_b32 s19, s1
; %bb.414:                              ;   in Loop: Header=BB351_15 Depth=1
	v_clz_i32_u32_e32 v2, v48
	s_delay_alu instid0(VALU_DEP_1) | instskip(NEXT) | instid1(VALU_DEP_1)
	v_min_u32_e32 v6, 32, v2
	v_subrev_nc_u32_e32 v2, 28, v6
	v_sub_nc_u32_e32 v6, 29, v6
	s_delay_alu instid0(VALU_DEP_2) | instskip(NEXT) | instid1(VALU_DEP_1)
	v_lshlrev_b64_e32 v[2:3], v2, v[48:49]
	v_and_b32_e32 v2, 7, v2
; %bb.415:                              ;   in Loop: Header=BB351_15 Depth=1
	s_or_b32 exec_lo, exec_lo, s19
	s_delay_alu instid0(VALU_DEP_1) | instskip(SKIP_1) | instid1(VALU_DEP_2)
	v_dual_lshlrev_b32 v3, 16, v0 :: v_dual_lshlrev_b32 v2, 20, v2
	v_lshl_add_u32 v6, v6, 23, 0x3c000000
	v_and_b32_e32 v3, 0x80000000, v3
	s_delay_alu instid0(VALU_DEP_1)
	v_or3_b32 v115, v2, v3, v6
.LBB351_416:                            ;   in Loop: Header=BB351_15 Depth=1
	s_or_b32 exec_lo, exec_lo, s18
.LBB351_417:                            ;   in Loop: Header=BB351_15 Depth=1
	s_delay_alu instid0(SALU_CYCLE_1)
	s_or_b32 exec_lo, exec_lo, s17
.LBB351_418:                            ;   in Loop: Header=BB351_15 Depth=1
	s_delay_alu instid0(SALU_CYCLE_1) | instskip(SKIP_3) | instid1(VALU_DEP_2)
	s_or_b32 exec_lo, exec_lo, s16
	v_dual_mov_b32 v33, 0 :: v_dual_lshrrev_b32 v6, 16, v0
	v_mov_b32_e32 v32, 0
	s_mov_b32 s16, exec_lo
	v_and_b32_e32 v2, 0xff, v6
	s_delay_alu instid0(VALU_DEP_1)
	v_cmpx_ne_u16_e32 0, v2
	s_cbranch_execz .LBB351_426
; %bb.419:                              ;   in Loop: Header=BB351_15 Depth=1
	v_bfrev_b32_e32 v32, 1
	s_mov_b32 s17, exec_lo
	v_cmpx_ne_u16_e32 0x80, v2
	s_cbranch_execz .LBB351_425
; %bb.420:                              ;   in Loop: Header=BB351_15 Depth=1
	v_bfe_u32 v2, v0, 16, 7
	v_mov_b32_e32 v32, 0x7f800001
	s_mov_b32 s18, exec_lo
	s_delay_alu instid0(VALU_DEP_2)
	v_cmpx_ne_u32_e32 0x7f, v2
	s_cbranch_execz .LBB351_424
; %bb.421:                              ;   in Loop: Header=BB351_15 Depth=1
	v_and_b32_e32 v48, 7, v6
	v_lshrrev_b32_e32 v7, 3, v2
	v_cmp_gt_u32_e64 s1, 8, v2
	s_delay_alu instid0(VALU_DEP_3)
	v_mov_b64_e32 v[2:3], v[48:49]
	s_and_saveexec_b32 s19, s1
; %bb.422:                              ;   in Loop: Header=BB351_15 Depth=1
	v_clz_i32_u32_e32 v2, v48
	s_delay_alu instid0(VALU_DEP_1) | instskip(NEXT) | instid1(VALU_DEP_1)
	v_min_u32_e32 v7, 32, v2
	v_subrev_nc_u32_e32 v2, 28, v7
	s_delay_alu instid0(VALU_DEP_1) | instskip(NEXT) | instid1(VALU_DEP_1)
	v_lshlrev_b64_e32 v[2:3], v2, v[48:49]
	v_dual_sub_nc_u32 v7, 29, v7 :: v_dual_bitop2_b32 v2, 7, v2 bitop3:0x40
; %bb.423:                              ;   in Loop: Header=BB351_15 Depth=1
	s_or_b32 exec_lo, exec_lo, s19
	v_lshlrev_b32_e32 v3, 24, v6
	s_delay_alu instid0(VALU_DEP_2) | instskip(NEXT) | instid1(VALU_DEP_3)
	v_lshlrev_b32_e32 v2, 20, v2
	v_lshl_add_u32 v6, v7, 23, 0x3c000000
	s_delay_alu instid0(VALU_DEP_3) | instskip(NEXT) | instid1(VALU_DEP_1)
	v_and_b32_e32 v3, 0x80000000, v3
	v_or3_b32 v32, v2, v3, v6
.LBB351_424:                            ;   in Loop: Header=BB351_15 Depth=1
	s_or_b32 exec_lo, exec_lo, s18
.LBB351_425:                            ;   in Loop: Header=BB351_15 Depth=1
	s_delay_alu instid0(SALU_CYCLE_1)
	s_or_b32 exec_lo, exec_lo, s17
.LBB351_426:                            ;   in Loop: Header=BB351_15 Depth=1
	s_delay_alu instid0(SALU_CYCLE_1) | instskip(NEXT) | instid1(SALU_CYCLE_1)
	s_or_b32 exec_lo, exec_lo, s16
	s_mov_b32 s16, exec_lo
	v_cmpx_lt_u32_e32 0xffffff, v0
	s_cbranch_execz .LBB351_434
; %bb.427:                              ;   in Loop: Header=BB351_15 Depth=1
	v_lshrrev_b32_e32 v6, 24, v0
	v_bfrev_b32_e32 v33, 1
	s_mov_b32 s17, exec_lo
	s_delay_alu instid0(VALU_DEP_2)
	v_cmpx_ne_u32_e32 0x80, v6
	s_cbranch_execz .LBB351_433
; %bb.428:                              ;   in Loop: Header=BB351_15 Depth=1
	v_bfe_u32 v2, v0, 24, 7
	v_mov_b32_e32 v33, 0x7f800001
	s_mov_b32 s18, exec_lo
	s_delay_alu instid0(VALU_DEP_2)
	v_cmpx_ne_u32_e32 0x7f, v2
	s_cbranch_execz .LBB351_432
; %bb.429:                              ;   in Loop: Header=BB351_15 Depth=1
	v_and_b32_e32 v48, 7, v6
	v_lshrrev_b32_e32 v7, 3, v2
	v_cmp_gt_u32_e64 s1, 8, v2
	s_delay_alu instid0(VALU_DEP_3)
	v_mov_b64_e32 v[2:3], v[48:49]
	s_and_saveexec_b32 s19, s1
; %bb.430:                              ;   in Loop: Header=BB351_15 Depth=1
	v_clz_i32_u32_e32 v2, v48
	s_delay_alu instid0(VALU_DEP_1) | instskip(NEXT) | instid1(VALU_DEP_1)
	v_min_u32_e32 v7, 32, v2
	v_subrev_nc_u32_e32 v2, 28, v7
	s_delay_alu instid0(VALU_DEP_1) | instskip(NEXT) | instid1(VALU_DEP_1)
	v_lshlrev_b64_e32 v[2:3], v2, v[48:49]
	v_dual_sub_nc_u32 v7, 29, v7 :: v_dual_bitop2_b32 v2, 7, v2 bitop3:0x40
; %bb.431:                              ;   in Loop: Header=BB351_15 Depth=1
	s_or_b32 exec_lo, exec_lo, s19
	v_lshlrev_b32_e32 v3, 24, v6
	s_delay_alu instid0(VALU_DEP_2) | instskip(NEXT) | instid1(VALU_DEP_3)
	v_lshlrev_b32_e32 v2, 20, v2
	v_lshl_add_u32 v6, v7, 23, 0x3c000000
	s_delay_alu instid0(VALU_DEP_3) | instskip(NEXT) | instid1(VALU_DEP_1)
	v_and_b32_e32 v3, 0x80000000, v3
	v_or3_b32 v33, v2, v3, v6
.LBB351_432:                            ;   in Loop: Header=BB351_15 Depth=1
	s_or_b32 exec_lo, exec_lo, s18
.LBB351_433:                            ;   in Loop: Header=BB351_15 Depth=1
	s_delay_alu instid0(SALU_CYCLE_1)
	s_or_b32 exec_lo, exec_lo, s17
.LBB351_434:                            ;   in Loop: Header=BB351_15 Depth=1
	s_delay_alu instid0(SALU_CYCLE_1) | instskip(SKIP_4) | instid1(VALU_DEP_3)
	s_or_b32 exec_lo, exec_lo, s16
	v_and_b32_e32 v2, 0xff, v1
	v_dual_mov_b32 v48, v1 :: v_dual_mov_b32 v117, 0
	v_mov_b32_e32 v116, 0
	s_mov_b32 s16, exec_lo
	v_cmpx_ne_u16_e32 0, v2
	s_cbranch_execz .LBB351_442
; %bb.435:                              ;   in Loop: Header=BB351_15 Depth=1
	v_bfrev_b32_e32 v116, 1
	s_mov_b32 s17, exec_lo
	v_cmpx_ne_u16_e32 0x80, v2
	s_cbranch_execz .LBB351_441
; %bb.436:                              ;   in Loop: Header=BB351_15 Depth=1
	v_and_b32_e32 v2, 0x7f, v1
	v_mov_b32_e32 v116, 0x7f800001
	s_mov_b32 s18, exec_lo
	s_delay_alu instid0(VALU_DEP_2)
	v_cmpx_ne_u32_e32 0x7f, v2
	s_cbranch_execz .LBB351_440
; %bb.437:                              ;   in Loop: Header=BB351_15 Depth=1
	v_lshrrev_b32_e32 v6, 3, v2
	v_cmp_gt_u32_e64 s1, 8, v2
	v_mov_b64_e32 v[2:3], v[48:49]
	s_and_saveexec_b32 s19, s1
; %bb.438:                              ;   in Loop: Header=BB351_15 Depth=1
	v_and_b32_e32 v2, 7, v1
	s_delay_alu instid0(VALU_DEP_1) | instskip(NEXT) | instid1(VALU_DEP_1)
	v_clz_i32_u32_e32 v2, v2
	v_min_u32_e32 v6, 32, v2
	s_delay_alu instid0(VALU_DEP_1) | instskip(SKIP_1) | instid1(VALU_DEP_2)
	v_subrev_nc_u32_e32 v2, 28, v6
	v_sub_nc_u32_e32 v6, 29, v6
	v_lshlrev_b64_e32 v[2:3], v2, v[48:49]
; %bb.439:                              ;   in Loop: Header=BB351_15 Depth=1
	s_or_b32 exec_lo, exec_lo, s19
	s_delay_alu instid0(VALU_DEP_1) | instskip(NEXT) | instid1(VALU_DEP_3)
	v_dual_lshlrev_b32 v2, 20, v2 :: v_dual_lshlrev_b32 v3, 24, v48
	v_lshl_add_u32 v6, v6, 23, 0x3c000000
	s_delay_alu instid0(VALU_DEP_2) | instskip(NEXT) | instid1(VALU_DEP_3)
	v_and_b32_e32 v2, 0x700000, v2
	v_and_b32_e32 v3, 0x80000000, v3
	s_delay_alu instid0(VALU_DEP_1)
	v_or3_b32 v116, v2, v3, v6
.LBB351_440:                            ;   in Loop: Header=BB351_15 Depth=1
	s_or_b32 exec_lo, exec_lo, s18
.LBB351_441:                            ;   in Loop: Header=BB351_15 Depth=1
	s_delay_alu instid0(SALU_CYCLE_1)
	s_or_b32 exec_lo, exec_lo, s17
.LBB351_442:                            ;   in Loop: Header=BB351_15 Depth=1
	s_delay_alu instid0(SALU_CYCLE_1) | instskip(SKIP_2) | instid1(VALU_DEP_1)
	s_or_b32 exec_lo, exec_lo, s16
	v_lshrrev_b16 v2, 8, v48
	s_mov_b32 s16, exec_lo
	v_cmpx_ne_u16_e32 0, v2
	s_cbranch_execz .LBB351_450
; %bb.443:                              ;   in Loop: Header=BB351_15 Depth=1
	v_bfrev_b32_e32 v117, 1
	s_mov_b32 s17, exec_lo
	v_cmpx_ne_u16_e32 0x80, v2
	s_cbranch_execz .LBB351_449
; %bb.444:                              ;   in Loop: Header=BB351_15 Depth=1
	v_and_b32_e32 v2, 0xffff, v2
	v_mov_b32_e32 v117, 0x7f800001
	s_mov_b32 s18, exec_lo
	s_delay_alu instid0(VALU_DEP_2) | instskip(NEXT) | instid1(VALU_DEP_1)
	v_and_b32_e32 v7, 0x7f, v2
	v_cmpx_ne_u32_e32 0x7f, v7
	s_cbranch_execz .LBB351_448
; %bb.445:                              ;   in Loop: Header=BB351_15 Depth=1
	v_dual_mov_b32 v3, v49 :: v_dual_bitop2_b32 v2, 7, v2 bitop3:0x40
	v_lshrrev_b32_e32 v6, 3, v7
	s_mov_b32 s19, exec_lo
	v_cmpx_gt_u32_e32 8, v7
; %bb.446:                              ;   in Loop: Header=BB351_15 Depth=1
	s_delay_alu instid0(VALU_DEP_3) | instskip(NEXT) | instid1(VALU_DEP_1)
	v_clz_i32_u32_e32 v6, v2
	v_min_u32_e32 v6, 32, v6
	s_delay_alu instid0(VALU_DEP_1) | instskip(SKIP_1) | instid1(VALU_DEP_2)
	v_subrev_nc_u32_e32 v7, 28, v6
	v_sub_nc_u32_e32 v6, 29, v6
	v_lshlrev_b64_e32 v[2:3], v7, v[2:3]
	s_delay_alu instid0(VALU_DEP_1)
	v_and_b32_e32 v2, 7, v2
; %bb.447:                              ;   in Loop: Header=BB351_15 Depth=1
	s_or_b32 exec_lo, exec_lo, s19
	s_delay_alu instid0(VALU_DEP_1) | instskip(SKIP_1) | instid1(VALU_DEP_2)
	v_dual_lshlrev_b32 v3, 16, v48 :: v_dual_lshlrev_b32 v2, 20, v2
	v_lshl_add_u32 v6, v6, 23, 0x3c000000
	v_and_b32_e32 v3, 0x80000000, v3
	s_delay_alu instid0(VALU_DEP_1)
	v_or3_b32 v117, v2, v3, v6
.LBB351_448:                            ;   in Loop: Header=BB351_15 Depth=1
	s_or_b32 exec_lo, exec_lo, s18
.LBB351_449:                            ;   in Loop: Header=BB351_15 Depth=1
	s_delay_alu instid0(SALU_CYCLE_1)
	s_or_b32 exec_lo, exec_lo, s17
.LBB351_450:                            ;   in Loop: Header=BB351_15 Depth=1
	s_delay_alu instid0(SALU_CYCLE_1) | instskip(SKIP_3) | instid1(VALU_DEP_2)
	s_or_b32 exec_lo, exec_lo, s16
	v_dual_mov_b32 v35, 0 :: v_dual_lshrrev_b32 v6, 16, v1
	v_mov_b32_e32 v34, 0
	s_mov_b32 s16, exec_lo
	v_and_b32_e32 v2, 0xff, v6
	s_delay_alu instid0(VALU_DEP_1)
	v_cmpx_ne_u16_e32 0, v2
	s_cbranch_execz .LBB351_458
; %bb.451:                              ;   in Loop: Header=BB351_15 Depth=1
	v_bfrev_b32_e32 v34, 1
	s_mov_b32 s17, exec_lo
	v_cmpx_ne_u16_e32 0x80, v2
	s_cbranch_execz .LBB351_457
; %bb.452:                              ;   in Loop: Header=BB351_15 Depth=1
	v_bfe_u32 v2, v1, 16, 7
	v_mov_b32_e32 v34, 0x7f800001
	s_mov_b32 s18, exec_lo
	s_delay_alu instid0(VALU_DEP_2)
	v_cmpx_ne_u32_e32 0x7f, v2
	s_cbranch_execz .LBB351_456
; %bb.453:                              ;   in Loop: Header=BB351_15 Depth=1
	v_and_b32_e32 v48, 7, v6
	v_lshrrev_b32_e32 v7, 3, v2
	v_cmp_gt_u32_e64 s1, 8, v2
	s_delay_alu instid0(VALU_DEP_3)
	v_mov_b64_e32 v[2:3], v[48:49]
	s_and_saveexec_b32 s19, s1
; %bb.454:                              ;   in Loop: Header=BB351_15 Depth=1
	v_clz_i32_u32_e32 v2, v48
	s_delay_alu instid0(VALU_DEP_1) | instskip(NEXT) | instid1(VALU_DEP_1)
	v_min_u32_e32 v7, 32, v2
	v_subrev_nc_u32_e32 v2, 28, v7
	s_delay_alu instid0(VALU_DEP_1) | instskip(NEXT) | instid1(VALU_DEP_1)
	v_lshlrev_b64_e32 v[2:3], v2, v[48:49]
	v_dual_sub_nc_u32 v7, 29, v7 :: v_dual_bitop2_b32 v2, 7, v2 bitop3:0x40
; %bb.455:                              ;   in Loop: Header=BB351_15 Depth=1
	s_or_b32 exec_lo, exec_lo, s19
	v_lshlrev_b32_e32 v3, 24, v6
	s_delay_alu instid0(VALU_DEP_2) | instskip(NEXT) | instid1(VALU_DEP_3)
	v_lshlrev_b32_e32 v2, 20, v2
	v_lshl_add_u32 v6, v7, 23, 0x3c000000
	s_delay_alu instid0(VALU_DEP_3) | instskip(NEXT) | instid1(VALU_DEP_1)
	v_and_b32_e32 v3, 0x80000000, v3
	v_or3_b32 v34, v2, v3, v6
.LBB351_456:                            ;   in Loop: Header=BB351_15 Depth=1
	s_or_b32 exec_lo, exec_lo, s18
.LBB351_457:                            ;   in Loop: Header=BB351_15 Depth=1
	s_delay_alu instid0(SALU_CYCLE_1)
	s_or_b32 exec_lo, exec_lo, s17
.LBB351_458:                            ;   in Loop: Header=BB351_15 Depth=1
	s_delay_alu instid0(SALU_CYCLE_1) | instskip(NEXT) | instid1(SALU_CYCLE_1)
	s_or_b32 exec_lo, exec_lo, s16
	s_mov_b32 s16, exec_lo
	v_cmpx_lt_u64_e64 s[8:9], v[0:1]
	s_cbranch_execz .LBB351_466
; %bb.459:                              ;   in Loop: Header=BB351_15 Depth=1
	v_lshrrev_b32_e32 v2, 24, v1
	v_bfrev_b32_e32 v35, 1
	s_mov_b32 s17, exec_lo
	s_delay_alu instid0(VALU_DEP_2)
	v_cmpx_ne_u32_e32 0x80, v2
	s_cbranch_execz .LBB351_465
; %bb.460:                              ;   in Loop: Header=BB351_15 Depth=1
	v_bfe_u32 v0, v1, 24, 7
	v_mov_b32_e32 v35, 0x7f800001
	s_mov_b32 s18, exec_lo
	s_delay_alu instid0(VALU_DEP_2)
	v_cmpx_ne_u32_e32 0x7f, v0
	s_cbranch_execz .LBB351_464
; %bb.461:                              ;   in Loop: Header=BB351_15 Depth=1
	v_dual_lshrrev_b32 v3, 3, v0 :: v_dual_bitop2_b32 v48, 7, v2 bitop3:0x40
	v_cmp_gt_u32_e64 s1, 8, v0
	s_delay_alu instid0(VALU_DEP_2)
	v_mov_b64_e32 v[0:1], v[48:49]
	s_and_saveexec_b32 s19, s1
; %bb.462:                              ;   in Loop: Header=BB351_15 Depth=1
	v_clz_i32_u32_e32 v0, v48
	s_delay_alu instid0(VALU_DEP_1) | instskip(NEXT) | instid1(VALU_DEP_1)
	v_min_u32_e32 v3, 32, v0
	v_subrev_nc_u32_e32 v0, 28, v3
	s_delay_alu instid0(VALU_DEP_1) | instskip(NEXT) | instid1(VALU_DEP_1)
	v_lshlrev_b64_e32 v[0:1], v0, v[48:49]
	v_dual_sub_nc_u32 v3, 29, v3 :: v_dual_bitop2_b32 v0, 7, v0 bitop3:0x40
; %bb.463:                              ;   in Loop: Header=BB351_15 Depth=1
	s_or_b32 exec_lo, exec_lo, s19
	s_delay_alu instid0(VALU_DEP_1) | instskip(NEXT) | instid1(VALU_DEP_2)
	v_dual_lshlrev_b32 v1, 24, v2 :: v_dual_lshlrev_b32 v0, 20, v0
	v_lshl_add_u32 v2, v3, 23, 0x3c000000
	s_delay_alu instid0(VALU_DEP_2) | instskip(NEXT) | instid1(VALU_DEP_1)
	v_and_b32_e32 v1, 0x80000000, v1
	v_or3_b32 v35, v0, v1, v2
.LBB351_464:                            ;   in Loop: Header=BB351_15 Depth=1
	s_or_b32 exec_lo, exec_lo, s18
.LBB351_465:                            ;   in Loop: Header=BB351_15 Depth=1
	s_delay_alu instid0(SALU_CYCLE_1)
	s_or_b32 exec_lo, exec_lo, s17
.LBB351_466:                            ;   in Loop: Header=BB351_15 Depth=1
	s_delay_alu instid0(SALU_CYCLE_1)
	s_or_b32 exec_lo, exec_lo, s16
	flat_load_b64 v[0:1], v[86:87] offset:1544
	v_dual_mov_b32 v119, 0 :: v_dual_mov_b32 v118, 0
	s_mov_b32 s16, exec_lo
	s_wait_loadcnt_dscnt 0x0
	v_and_b32_e32 v2, 0xff, v0
	s_wait_xcnt 0x0
	s_delay_alu instid0(VALU_DEP_1)
	v_cmpx_ne_u16_e32 0, v2
	s_cbranch_execz .LBB351_474
; %bb.467:                              ;   in Loop: Header=BB351_15 Depth=1
	v_bfrev_b32_e32 v118, 1
	s_mov_b32 s17, exec_lo
	v_cmpx_ne_u16_e32 0x80, v2
	s_cbranch_execz .LBB351_473
; %bb.468:                              ;   in Loop: Header=BB351_15 Depth=1
	v_and_b32_e32 v2, 0x7f, v0
	v_mov_b32_e32 v118, 0x7f800001
	s_mov_b32 s18, exec_lo
	s_delay_alu instid0(VALU_DEP_2)
	v_cmpx_ne_u32_e32 0x7f, v2
	s_cbranch_execz .LBB351_472
; %bb.469:                              ;   in Loop: Header=BB351_15 Depth=1
	v_lshrrev_b32_e32 v6, 3, v2
	v_cmp_gt_u32_e64 s1, 8, v2
	v_mov_b64_e32 v[2:3], v[0:1]
	s_and_saveexec_b32 s19, s1
; %bb.470:                              ;   in Loop: Header=BB351_15 Depth=1
	v_and_b32_e32 v2, 7, v0
	s_delay_alu instid0(VALU_DEP_1) | instskip(NEXT) | instid1(VALU_DEP_1)
	v_clz_i32_u32_e32 v2, v2
	v_min_u32_e32 v6, 32, v2
	s_delay_alu instid0(VALU_DEP_1) | instskip(SKIP_1) | instid1(VALU_DEP_2)
	v_subrev_nc_u32_e32 v2, 28, v6
	v_sub_nc_u32_e32 v6, 29, v6
	v_lshlrev_b64_e32 v[2:3], v2, v[0:1]
; %bb.471:                              ;   in Loop: Header=BB351_15 Depth=1
	s_or_b32 exec_lo, exec_lo, s19
	s_delay_alu instid0(VALU_DEP_1) | instskip(NEXT) | instid1(VALU_DEP_3)
	v_dual_lshlrev_b32 v2, 20, v2 :: v_dual_lshlrev_b32 v3, 24, v0
	v_lshl_add_u32 v6, v6, 23, 0x3c000000
	s_delay_alu instid0(VALU_DEP_2) | instskip(NEXT) | instid1(VALU_DEP_3)
	v_and_b32_e32 v2, 0x700000, v2
	v_and_b32_e32 v3, 0x80000000, v3
	s_delay_alu instid0(VALU_DEP_1)
	v_or3_b32 v118, v2, v3, v6
.LBB351_472:                            ;   in Loop: Header=BB351_15 Depth=1
	s_or_b32 exec_lo, exec_lo, s18
.LBB351_473:                            ;   in Loop: Header=BB351_15 Depth=1
	s_delay_alu instid0(SALU_CYCLE_1)
	s_or_b32 exec_lo, exec_lo, s17
.LBB351_474:                            ;   in Loop: Header=BB351_15 Depth=1
	s_delay_alu instid0(SALU_CYCLE_1) | instskip(SKIP_2) | instid1(VALU_DEP_1)
	s_or_b32 exec_lo, exec_lo, s16
	v_lshrrev_b16 v2, 8, v0
	s_mov_b32 s16, exec_lo
	v_cmpx_ne_u16_e32 0, v2
	s_cbranch_execz .LBB351_482
; %bb.475:                              ;   in Loop: Header=BB351_15 Depth=1
	v_bfrev_b32_e32 v119, 1
	s_mov_b32 s17, exec_lo
	v_cmpx_ne_u16_e32 0x80, v2
	s_cbranch_execz .LBB351_481
; %bb.476:                              ;   in Loop: Header=BB351_15 Depth=1
	v_and_b32_e32 v3, 0xffff, v2
	v_mov_b32_e32 v119, 0x7f800001
	s_mov_b32 s18, exec_lo
	s_delay_alu instid0(VALU_DEP_2) | instskip(NEXT) | instid1(VALU_DEP_1)
	v_and_b32_e32 v2, 0x7f, v3
	v_cmpx_ne_u32_e32 0x7f, v2
	s_cbranch_execz .LBB351_480
; %bb.477:                              ;   in Loop: Header=BB351_15 Depth=1
	v_dual_lshrrev_b32 v6, 3, v2 :: v_dual_bitop2_b32 v48, 7, v3 bitop3:0x40
	v_cmp_gt_u32_e64 s1, 8, v2
	s_delay_alu instid0(VALU_DEP_2)
	v_mov_b64_e32 v[2:3], v[48:49]
	s_and_saveexec_b32 s19, s1
; %bb.478:                              ;   in Loop: Header=BB351_15 Depth=1
	v_clz_i32_u32_e32 v2, v48
	s_delay_alu instid0(VALU_DEP_1) | instskip(NEXT) | instid1(VALU_DEP_1)
	v_min_u32_e32 v6, 32, v2
	v_subrev_nc_u32_e32 v2, 28, v6
	v_sub_nc_u32_e32 v6, 29, v6
	s_delay_alu instid0(VALU_DEP_2) | instskip(NEXT) | instid1(VALU_DEP_1)
	v_lshlrev_b64_e32 v[2:3], v2, v[48:49]
	v_and_b32_e32 v2, 7, v2
; %bb.479:                              ;   in Loop: Header=BB351_15 Depth=1
	s_or_b32 exec_lo, exec_lo, s19
	s_delay_alu instid0(VALU_DEP_1) | instskip(SKIP_1) | instid1(VALU_DEP_2)
	v_dual_lshlrev_b32 v3, 16, v0 :: v_dual_lshlrev_b32 v2, 20, v2
	v_lshl_add_u32 v6, v6, 23, 0x3c000000
	v_and_b32_e32 v3, 0x80000000, v3
	s_delay_alu instid0(VALU_DEP_1)
	v_or3_b32 v119, v2, v3, v6
.LBB351_480:                            ;   in Loop: Header=BB351_15 Depth=1
	s_or_b32 exec_lo, exec_lo, s18
.LBB351_481:                            ;   in Loop: Header=BB351_15 Depth=1
	s_delay_alu instid0(SALU_CYCLE_1)
	s_or_b32 exec_lo, exec_lo, s17
.LBB351_482:                            ;   in Loop: Header=BB351_15 Depth=1
	s_delay_alu instid0(SALU_CYCLE_1) | instskip(SKIP_3) | instid1(VALU_DEP_2)
	s_or_b32 exec_lo, exec_lo, s16
	v_dual_mov_b32 v41, 0 :: v_dual_lshrrev_b32 v6, 16, v0
	v_mov_b32_e32 v40, 0
	s_mov_b32 s16, exec_lo
	v_and_b32_e32 v2, 0xff, v6
	s_delay_alu instid0(VALU_DEP_1)
	v_cmpx_ne_u16_e32 0, v2
	s_cbranch_execz .LBB351_490
; %bb.483:                              ;   in Loop: Header=BB351_15 Depth=1
	v_bfrev_b32_e32 v40, 1
	s_mov_b32 s17, exec_lo
	v_cmpx_ne_u16_e32 0x80, v2
	s_cbranch_execz .LBB351_489
; %bb.484:                              ;   in Loop: Header=BB351_15 Depth=1
	v_bfe_u32 v2, v0, 16, 7
	v_mov_b32_e32 v40, 0x7f800001
	s_mov_b32 s18, exec_lo
	s_delay_alu instid0(VALU_DEP_2)
	v_cmpx_ne_u32_e32 0x7f, v2
	s_cbranch_execz .LBB351_488
; %bb.485:                              ;   in Loop: Header=BB351_15 Depth=1
	v_and_b32_e32 v48, 7, v6
	v_lshrrev_b32_e32 v7, 3, v2
	v_cmp_gt_u32_e64 s1, 8, v2
	s_delay_alu instid0(VALU_DEP_3)
	v_mov_b64_e32 v[2:3], v[48:49]
	s_and_saveexec_b32 s19, s1
; %bb.486:                              ;   in Loop: Header=BB351_15 Depth=1
	v_clz_i32_u32_e32 v2, v48
	s_delay_alu instid0(VALU_DEP_1) | instskip(NEXT) | instid1(VALU_DEP_1)
	v_min_u32_e32 v7, 32, v2
	v_subrev_nc_u32_e32 v2, 28, v7
	s_delay_alu instid0(VALU_DEP_1) | instskip(NEXT) | instid1(VALU_DEP_1)
	v_lshlrev_b64_e32 v[2:3], v2, v[48:49]
	v_dual_sub_nc_u32 v7, 29, v7 :: v_dual_bitop2_b32 v2, 7, v2 bitop3:0x40
; %bb.487:                              ;   in Loop: Header=BB351_15 Depth=1
	s_or_b32 exec_lo, exec_lo, s19
	v_lshlrev_b32_e32 v3, 24, v6
	s_delay_alu instid0(VALU_DEP_2) | instskip(NEXT) | instid1(VALU_DEP_3)
	v_lshlrev_b32_e32 v2, 20, v2
	v_lshl_add_u32 v6, v7, 23, 0x3c000000
	s_delay_alu instid0(VALU_DEP_3) | instskip(NEXT) | instid1(VALU_DEP_1)
	v_and_b32_e32 v3, 0x80000000, v3
	v_or3_b32 v40, v2, v3, v6
.LBB351_488:                            ;   in Loop: Header=BB351_15 Depth=1
	s_or_b32 exec_lo, exec_lo, s18
.LBB351_489:                            ;   in Loop: Header=BB351_15 Depth=1
	s_delay_alu instid0(SALU_CYCLE_1)
	s_or_b32 exec_lo, exec_lo, s17
.LBB351_490:                            ;   in Loop: Header=BB351_15 Depth=1
	s_delay_alu instid0(SALU_CYCLE_1) | instskip(NEXT) | instid1(SALU_CYCLE_1)
	s_or_b32 exec_lo, exec_lo, s16
	s_mov_b32 s16, exec_lo
	v_cmpx_lt_u32_e32 0xffffff, v0
	s_cbranch_execz .LBB351_498
; %bb.491:                              ;   in Loop: Header=BB351_15 Depth=1
	v_lshrrev_b32_e32 v6, 24, v0
	v_bfrev_b32_e32 v41, 1
	s_mov_b32 s17, exec_lo
	s_delay_alu instid0(VALU_DEP_2)
	v_cmpx_ne_u32_e32 0x80, v6
	s_cbranch_execz .LBB351_497
; %bb.492:                              ;   in Loop: Header=BB351_15 Depth=1
	v_bfe_u32 v2, v0, 24, 7
	v_mov_b32_e32 v41, 0x7f800001
	s_mov_b32 s18, exec_lo
	s_delay_alu instid0(VALU_DEP_2)
	v_cmpx_ne_u32_e32 0x7f, v2
	s_cbranch_execz .LBB351_496
; %bb.493:                              ;   in Loop: Header=BB351_15 Depth=1
	v_and_b32_e32 v48, 7, v6
	v_lshrrev_b32_e32 v7, 3, v2
	v_cmp_gt_u32_e64 s1, 8, v2
	s_delay_alu instid0(VALU_DEP_3)
	v_mov_b64_e32 v[2:3], v[48:49]
	s_and_saveexec_b32 s19, s1
; %bb.494:                              ;   in Loop: Header=BB351_15 Depth=1
	v_clz_i32_u32_e32 v2, v48
	s_delay_alu instid0(VALU_DEP_1) | instskip(NEXT) | instid1(VALU_DEP_1)
	v_min_u32_e32 v7, 32, v2
	v_subrev_nc_u32_e32 v2, 28, v7
	s_delay_alu instid0(VALU_DEP_1) | instskip(NEXT) | instid1(VALU_DEP_1)
	v_lshlrev_b64_e32 v[2:3], v2, v[48:49]
	v_dual_sub_nc_u32 v7, 29, v7 :: v_dual_bitop2_b32 v2, 7, v2 bitop3:0x40
; %bb.495:                              ;   in Loop: Header=BB351_15 Depth=1
	s_or_b32 exec_lo, exec_lo, s19
	v_lshlrev_b32_e32 v3, 24, v6
	s_delay_alu instid0(VALU_DEP_2) | instskip(NEXT) | instid1(VALU_DEP_3)
	v_lshlrev_b32_e32 v2, 20, v2
	v_lshl_add_u32 v6, v7, 23, 0x3c000000
	s_delay_alu instid0(VALU_DEP_3) | instskip(NEXT) | instid1(VALU_DEP_1)
	v_and_b32_e32 v3, 0x80000000, v3
	v_or3_b32 v41, v2, v3, v6
.LBB351_496:                            ;   in Loop: Header=BB351_15 Depth=1
	s_or_b32 exec_lo, exec_lo, s18
.LBB351_497:                            ;   in Loop: Header=BB351_15 Depth=1
	s_delay_alu instid0(SALU_CYCLE_1)
	s_or_b32 exec_lo, exec_lo, s17
.LBB351_498:                            ;   in Loop: Header=BB351_15 Depth=1
	s_delay_alu instid0(SALU_CYCLE_1) | instskip(SKIP_4) | instid1(VALU_DEP_3)
	s_or_b32 exec_lo, exec_lo, s16
	v_and_b32_e32 v2, 0xff, v1
	v_dual_mov_b32 v48, v1 :: v_dual_mov_b32 v43, 0
	v_mov_b32_e32 v42, 0
	s_mov_b32 s16, exec_lo
	v_cmpx_ne_u16_e32 0, v2
	s_cbranch_execz .LBB351_506
; %bb.499:                              ;   in Loop: Header=BB351_15 Depth=1
	v_bfrev_b32_e32 v42, 1
	s_mov_b32 s17, exec_lo
	v_cmpx_ne_u16_e32 0x80, v2
	s_cbranch_execz .LBB351_505
; %bb.500:                              ;   in Loop: Header=BB351_15 Depth=1
	v_and_b32_e32 v2, 0x7f, v1
	v_mov_b32_e32 v42, 0x7f800001
	s_mov_b32 s18, exec_lo
	s_delay_alu instid0(VALU_DEP_2)
	v_cmpx_ne_u32_e32 0x7f, v2
	s_cbranch_execz .LBB351_504
; %bb.501:                              ;   in Loop: Header=BB351_15 Depth=1
	v_lshrrev_b32_e32 v6, 3, v2
	v_cmp_gt_u32_e64 s1, 8, v2
	v_mov_b64_e32 v[2:3], v[48:49]
	s_and_saveexec_b32 s19, s1
; %bb.502:                              ;   in Loop: Header=BB351_15 Depth=1
	v_and_b32_e32 v2, 7, v1
	s_delay_alu instid0(VALU_DEP_1) | instskip(NEXT) | instid1(VALU_DEP_1)
	v_clz_i32_u32_e32 v2, v2
	v_min_u32_e32 v6, 32, v2
	s_delay_alu instid0(VALU_DEP_1) | instskip(SKIP_1) | instid1(VALU_DEP_2)
	v_subrev_nc_u32_e32 v2, 28, v6
	v_sub_nc_u32_e32 v6, 29, v6
	v_lshlrev_b64_e32 v[2:3], v2, v[48:49]
; %bb.503:                              ;   in Loop: Header=BB351_15 Depth=1
	s_or_b32 exec_lo, exec_lo, s19
	s_delay_alu instid0(VALU_DEP_1) | instskip(NEXT) | instid1(VALU_DEP_3)
	v_dual_lshlrev_b32 v2, 20, v2 :: v_dual_lshlrev_b32 v3, 24, v48
	v_lshl_add_u32 v6, v6, 23, 0x3c000000
	s_delay_alu instid0(VALU_DEP_2) | instskip(NEXT) | instid1(VALU_DEP_3)
	v_and_b32_e32 v2, 0x700000, v2
	v_and_b32_e32 v3, 0x80000000, v3
	s_delay_alu instid0(VALU_DEP_1)
	v_or3_b32 v42, v2, v3, v6
.LBB351_504:                            ;   in Loop: Header=BB351_15 Depth=1
	s_or_b32 exec_lo, exec_lo, s18
.LBB351_505:                            ;   in Loop: Header=BB351_15 Depth=1
	s_delay_alu instid0(SALU_CYCLE_1)
	s_or_b32 exec_lo, exec_lo, s17
.LBB351_506:                            ;   in Loop: Header=BB351_15 Depth=1
	s_delay_alu instid0(SALU_CYCLE_1) | instskip(SKIP_2) | instid1(VALU_DEP_1)
	s_or_b32 exec_lo, exec_lo, s16
	v_lshrrev_b16 v2, 8, v48
	s_mov_b32 s16, exec_lo
	v_cmpx_ne_u16_e32 0, v2
	s_cbranch_execz .LBB351_514
; %bb.507:                              ;   in Loop: Header=BB351_15 Depth=1
	v_bfrev_b32_e32 v43, 1
	s_mov_b32 s17, exec_lo
	v_cmpx_ne_u16_e32 0x80, v2
	s_cbranch_execz .LBB351_513
; %bb.508:                              ;   in Loop: Header=BB351_15 Depth=1
	v_and_b32_e32 v2, 0xffff, v2
	v_mov_b32_e32 v43, 0x7f800001
	s_mov_b32 s18, exec_lo
	s_delay_alu instid0(VALU_DEP_2) | instskip(NEXT) | instid1(VALU_DEP_1)
	v_and_b32_e32 v7, 0x7f, v2
	v_cmpx_ne_u32_e32 0x7f, v7
	s_cbranch_execz .LBB351_512
; %bb.509:                              ;   in Loop: Header=BB351_15 Depth=1
	v_dual_mov_b32 v3, v49 :: v_dual_bitop2_b32 v2, 7, v2 bitop3:0x40
	v_lshrrev_b32_e32 v6, 3, v7
	s_mov_b32 s19, exec_lo
	v_cmpx_gt_u32_e32 8, v7
; %bb.510:                              ;   in Loop: Header=BB351_15 Depth=1
	s_delay_alu instid0(VALU_DEP_3) | instskip(NEXT) | instid1(VALU_DEP_1)
	v_clz_i32_u32_e32 v6, v2
	v_min_u32_e32 v6, 32, v6
	s_delay_alu instid0(VALU_DEP_1) | instskip(SKIP_1) | instid1(VALU_DEP_2)
	v_subrev_nc_u32_e32 v7, 28, v6
	v_sub_nc_u32_e32 v6, 29, v6
	v_lshlrev_b64_e32 v[2:3], v7, v[2:3]
	s_delay_alu instid0(VALU_DEP_1)
	v_and_b32_e32 v2, 7, v2
; %bb.511:                              ;   in Loop: Header=BB351_15 Depth=1
	s_or_b32 exec_lo, exec_lo, s19
	s_delay_alu instid0(VALU_DEP_1) | instskip(SKIP_1) | instid1(VALU_DEP_2)
	v_dual_lshlrev_b32 v3, 16, v48 :: v_dual_lshlrev_b32 v2, 20, v2
	v_lshl_add_u32 v6, v6, 23, 0x3c000000
	v_and_b32_e32 v3, 0x80000000, v3
	s_delay_alu instid0(VALU_DEP_1)
	v_or3_b32 v43, v2, v3, v6
.LBB351_512:                            ;   in Loop: Header=BB351_15 Depth=1
	s_or_b32 exec_lo, exec_lo, s18
.LBB351_513:                            ;   in Loop: Header=BB351_15 Depth=1
	s_delay_alu instid0(SALU_CYCLE_1)
	s_or_b32 exec_lo, exec_lo, s17
.LBB351_514:                            ;   in Loop: Header=BB351_15 Depth=1
	s_delay_alu instid0(SALU_CYCLE_1) | instskip(SKIP_3) | instid1(VALU_DEP_2)
	s_or_b32 exec_lo, exec_lo, s16
	v_dual_mov_b32 v45, 0 :: v_dual_lshrrev_b32 v6, 16, v1
	v_mov_b32_e32 v44, 0
	s_mov_b32 s16, exec_lo
	v_and_b32_e32 v2, 0xff, v6
	s_delay_alu instid0(VALU_DEP_1)
	v_cmpx_ne_u16_e32 0, v2
	s_cbranch_execz .LBB351_522
; %bb.515:                              ;   in Loop: Header=BB351_15 Depth=1
	v_bfrev_b32_e32 v44, 1
	s_mov_b32 s17, exec_lo
	v_cmpx_ne_u16_e32 0x80, v2
	s_cbranch_execz .LBB351_521
; %bb.516:                              ;   in Loop: Header=BB351_15 Depth=1
	v_bfe_u32 v2, v1, 16, 7
	v_mov_b32_e32 v44, 0x7f800001
	s_mov_b32 s18, exec_lo
	s_delay_alu instid0(VALU_DEP_2)
	v_cmpx_ne_u32_e32 0x7f, v2
	s_cbranch_execz .LBB351_520
; %bb.517:                              ;   in Loop: Header=BB351_15 Depth=1
	v_and_b32_e32 v48, 7, v6
	v_lshrrev_b32_e32 v7, 3, v2
	v_cmp_gt_u32_e64 s1, 8, v2
	s_delay_alu instid0(VALU_DEP_3)
	v_mov_b64_e32 v[2:3], v[48:49]
	s_and_saveexec_b32 s19, s1
; %bb.518:                              ;   in Loop: Header=BB351_15 Depth=1
	v_clz_i32_u32_e32 v2, v48
	s_delay_alu instid0(VALU_DEP_1) | instskip(NEXT) | instid1(VALU_DEP_1)
	v_min_u32_e32 v7, 32, v2
	v_subrev_nc_u32_e32 v2, 28, v7
	s_delay_alu instid0(VALU_DEP_1) | instskip(NEXT) | instid1(VALU_DEP_1)
	v_lshlrev_b64_e32 v[2:3], v2, v[48:49]
	v_dual_sub_nc_u32 v7, 29, v7 :: v_dual_bitop2_b32 v2, 7, v2 bitop3:0x40
; %bb.519:                              ;   in Loop: Header=BB351_15 Depth=1
	s_or_b32 exec_lo, exec_lo, s19
	v_lshlrev_b32_e32 v3, 24, v6
	s_delay_alu instid0(VALU_DEP_2) | instskip(NEXT) | instid1(VALU_DEP_3)
	v_lshlrev_b32_e32 v2, 20, v2
	v_lshl_add_u32 v6, v7, 23, 0x3c000000
	s_delay_alu instid0(VALU_DEP_3) | instskip(NEXT) | instid1(VALU_DEP_1)
	v_and_b32_e32 v3, 0x80000000, v3
	v_or3_b32 v44, v2, v3, v6
.LBB351_520:                            ;   in Loop: Header=BB351_15 Depth=1
	s_or_b32 exec_lo, exec_lo, s18
.LBB351_521:                            ;   in Loop: Header=BB351_15 Depth=1
	s_delay_alu instid0(SALU_CYCLE_1)
	s_or_b32 exec_lo, exec_lo, s17
.LBB351_522:                            ;   in Loop: Header=BB351_15 Depth=1
	s_delay_alu instid0(SALU_CYCLE_1) | instskip(NEXT) | instid1(SALU_CYCLE_1)
	s_or_b32 exec_lo, exec_lo, s16
	s_mov_b32 s16, exec_lo
	v_cmpx_lt_u64_e64 s[8:9], v[0:1]
	s_cbranch_execz .LBB351_530
; %bb.523:                              ;   in Loop: Header=BB351_15 Depth=1
	v_lshrrev_b32_e32 v2, 24, v1
	v_bfrev_b32_e32 v45, 1
	s_mov_b32 s17, exec_lo
	s_delay_alu instid0(VALU_DEP_2)
	v_cmpx_ne_u32_e32 0x80, v2
	s_cbranch_execz .LBB351_529
; %bb.524:                              ;   in Loop: Header=BB351_15 Depth=1
	v_bfe_u32 v0, v1, 24, 7
	v_mov_b32_e32 v45, 0x7f800001
	s_mov_b32 s18, exec_lo
	s_delay_alu instid0(VALU_DEP_2)
	v_cmpx_ne_u32_e32 0x7f, v0
	s_cbranch_execz .LBB351_528
; %bb.525:                              ;   in Loop: Header=BB351_15 Depth=1
	v_dual_lshrrev_b32 v3, 3, v0 :: v_dual_bitop2_b32 v48, 7, v2 bitop3:0x40
	v_cmp_gt_u32_e64 s1, 8, v0
	s_delay_alu instid0(VALU_DEP_2)
	v_mov_b64_e32 v[0:1], v[48:49]
	s_and_saveexec_b32 s19, s1
; %bb.526:                              ;   in Loop: Header=BB351_15 Depth=1
	v_clz_i32_u32_e32 v0, v48
	s_delay_alu instid0(VALU_DEP_1) | instskip(NEXT) | instid1(VALU_DEP_1)
	v_min_u32_e32 v3, 32, v0
	v_subrev_nc_u32_e32 v0, 28, v3
	s_delay_alu instid0(VALU_DEP_1) | instskip(NEXT) | instid1(VALU_DEP_1)
	v_lshlrev_b64_e32 v[0:1], v0, v[48:49]
	v_dual_sub_nc_u32 v3, 29, v3 :: v_dual_bitop2_b32 v0, 7, v0 bitop3:0x40
; %bb.527:                              ;   in Loop: Header=BB351_15 Depth=1
	s_or_b32 exec_lo, exec_lo, s19
	s_delay_alu instid0(VALU_DEP_1) | instskip(NEXT) | instid1(VALU_DEP_2)
	v_dual_lshlrev_b32 v1, 24, v2 :: v_dual_lshlrev_b32 v0, 20, v0
	v_lshl_add_u32 v2, v3, 23, 0x3c000000
	s_delay_alu instid0(VALU_DEP_2) | instskip(NEXT) | instid1(VALU_DEP_1)
	v_and_b32_e32 v1, 0x80000000, v1
	v_or3_b32 v45, v0, v1, v2
.LBB351_528:                            ;   in Loop: Header=BB351_15 Depth=1
	s_or_b32 exec_lo, exec_lo, s18
.LBB351_529:                            ;   in Loop: Header=BB351_15 Depth=1
	s_delay_alu instid0(SALU_CYCLE_1)
	s_or_b32 exec_lo, exec_lo, s17
.LBB351_530:                            ;   in Loop: Header=BB351_15 Depth=1
	s_delay_alu instid0(SALU_CYCLE_1)
	s_or_b32 exec_lo, exec_lo, s16
	flat_load_b64 v[0:1], v[86:87] offset:2048
	v_dual_mov_b32 v47, 0 :: v_dual_mov_b32 v46, 0
	s_mov_b32 s16, exec_lo
	s_wait_loadcnt_dscnt 0x0
	v_and_b32_e32 v2, 0xff, v0
	s_wait_xcnt 0x0
	s_delay_alu instid0(VALU_DEP_1)
	v_cmpx_ne_u16_e32 0, v2
	s_cbranch_execz .LBB351_538
; %bb.531:                              ;   in Loop: Header=BB351_15 Depth=1
	v_bfrev_b32_e32 v46, 1
	s_mov_b32 s17, exec_lo
	v_cmpx_ne_u16_e32 0x80, v2
	s_cbranch_execz .LBB351_537
; %bb.532:                              ;   in Loop: Header=BB351_15 Depth=1
	v_and_b32_e32 v2, 0x7f, v0
	v_mov_b32_e32 v46, 0x7f800001
	s_mov_b32 s18, exec_lo
	s_delay_alu instid0(VALU_DEP_2)
	v_cmpx_ne_u32_e32 0x7f, v2
	s_cbranch_execz .LBB351_536
; %bb.533:                              ;   in Loop: Header=BB351_15 Depth=1
	v_lshrrev_b32_e32 v6, 3, v2
	v_cmp_gt_u32_e64 s1, 8, v2
	v_mov_b64_e32 v[2:3], v[0:1]
	s_and_saveexec_b32 s19, s1
; %bb.534:                              ;   in Loop: Header=BB351_15 Depth=1
	v_and_b32_e32 v2, 7, v0
	s_delay_alu instid0(VALU_DEP_1) | instskip(NEXT) | instid1(VALU_DEP_1)
	v_clz_i32_u32_e32 v2, v2
	v_min_u32_e32 v6, 32, v2
	s_delay_alu instid0(VALU_DEP_1) | instskip(SKIP_1) | instid1(VALU_DEP_2)
	v_subrev_nc_u32_e32 v2, 28, v6
	v_sub_nc_u32_e32 v6, 29, v6
	v_lshlrev_b64_e32 v[2:3], v2, v[0:1]
; %bb.535:                              ;   in Loop: Header=BB351_15 Depth=1
	s_or_b32 exec_lo, exec_lo, s19
	s_delay_alu instid0(VALU_DEP_1) | instskip(NEXT) | instid1(VALU_DEP_3)
	v_dual_lshlrev_b32 v2, 20, v2 :: v_dual_lshlrev_b32 v3, 24, v0
	v_lshl_add_u32 v6, v6, 23, 0x3c000000
	s_delay_alu instid0(VALU_DEP_2) | instskip(NEXT) | instid1(VALU_DEP_3)
	v_and_b32_e32 v2, 0x700000, v2
	v_and_b32_e32 v3, 0x80000000, v3
	s_delay_alu instid0(VALU_DEP_1)
	v_or3_b32 v46, v2, v3, v6
.LBB351_536:                            ;   in Loop: Header=BB351_15 Depth=1
	s_or_b32 exec_lo, exec_lo, s18
.LBB351_537:                            ;   in Loop: Header=BB351_15 Depth=1
	s_delay_alu instid0(SALU_CYCLE_1)
	s_or_b32 exec_lo, exec_lo, s17
.LBB351_538:                            ;   in Loop: Header=BB351_15 Depth=1
	s_delay_alu instid0(SALU_CYCLE_1) | instskip(SKIP_2) | instid1(VALU_DEP_1)
	s_or_b32 exec_lo, exec_lo, s16
	v_lshrrev_b16 v2, 8, v0
	s_mov_b32 s16, exec_lo
	v_cmpx_ne_u16_e32 0, v2
	s_cbranch_execz .LBB351_546
; %bb.539:                              ;   in Loop: Header=BB351_15 Depth=1
	v_bfrev_b32_e32 v47, 1
	s_mov_b32 s17, exec_lo
	v_cmpx_ne_u16_e32 0x80, v2
	s_cbranch_execz .LBB351_545
; %bb.540:                              ;   in Loop: Header=BB351_15 Depth=1
	v_and_b32_e32 v3, 0xffff, v2
	v_mov_b32_e32 v47, 0x7f800001
	s_mov_b32 s18, exec_lo
	s_delay_alu instid0(VALU_DEP_2) | instskip(NEXT) | instid1(VALU_DEP_1)
	v_and_b32_e32 v2, 0x7f, v3
	v_cmpx_ne_u32_e32 0x7f, v2
	s_cbranch_execz .LBB351_544
; %bb.541:                              ;   in Loop: Header=BB351_15 Depth=1
	v_dual_lshrrev_b32 v6, 3, v2 :: v_dual_bitop2_b32 v48, 7, v3 bitop3:0x40
	v_cmp_gt_u32_e64 s1, 8, v2
	s_delay_alu instid0(VALU_DEP_2)
	v_mov_b64_e32 v[2:3], v[48:49]
	s_and_saveexec_b32 s19, s1
; %bb.542:                              ;   in Loop: Header=BB351_15 Depth=1
	v_clz_i32_u32_e32 v2, v48
	s_delay_alu instid0(VALU_DEP_1) | instskip(NEXT) | instid1(VALU_DEP_1)
	v_min_u32_e32 v6, 32, v2
	v_subrev_nc_u32_e32 v2, 28, v6
	v_sub_nc_u32_e32 v6, 29, v6
	s_delay_alu instid0(VALU_DEP_2) | instskip(NEXT) | instid1(VALU_DEP_1)
	v_lshlrev_b64_e32 v[2:3], v2, v[48:49]
	v_and_b32_e32 v2, 7, v2
; %bb.543:                              ;   in Loop: Header=BB351_15 Depth=1
	s_or_b32 exec_lo, exec_lo, s19
	s_delay_alu instid0(VALU_DEP_1) | instskip(SKIP_1) | instid1(VALU_DEP_2)
	v_dual_lshlrev_b32 v3, 16, v0 :: v_dual_lshlrev_b32 v2, 20, v2
	v_lshl_add_u32 v6, v6, 23, 0x3c000000
	v_and_b32_e32 v3, 0x80000000, v3
	s_delay_alu instid0(VALU_DEP_1)
	v_or3_b32 v47, v2, v3, v6
.LBB351_544:                            ;   in Loop: Header=BB351_15 Depth=1
	s_or_b32 exec_lo, exec_lo, s18
.LBB351_545:                            ;   in Loop: Header=BB351_15 Depth=1
	s_delay_alu instid0(SALU_CYCLE_1)
	s_or_b32 exec_lo, exec_lo, s17
.LBB351_546:                            ;   in Loop: Header=BB351_15 Depth=1
	s_delay_alu instid0(SALU_CYCLE_1) | instskip(SKIP_3) | instid1(VALU_DEP_2)
	s_or_b32 exec_lo, exec_lo, s16
	v_dual_mov_b32 v57, 0 :: v_dual_lshrrev_b32 v6, 16, v0
	v_mov_b32_e32 v56, 0
	s_mov_b32 s16, exec_lo
	v_and_b32_e32 v2, 0xff, v6
	s_delay_alu instid0(VALU_DEP_1)
	v_cmpx_ne_u16_e32 0, v2
	s_cbranch_execz .LBB351_554
; %bb.547:                              ;   in Loop: Header=BB351_15 Depth=1
	v_bfrev_b32_e32 v56, 1
	s_mov_b32 s17, exec_lo
	v_cmpx_ne_u16_e32 0x80, v2
	s_cbranch_execz .LBB351_553
; %bb.548:                              ;   in Loop: Header=BB351_15 Depth=1
	v_bfe_u32 v2, v0, 16, 7
	v_mov_b32_e32 v56, 0x7f800001
	s_mov_b32 s18, exec_lo
	s_delay_alu instid0(VALU_DEP_2)
	v_cmpx_ne_u32_e32 0x7f, v2
	s_cbranch_execz .LBB351_552
; %bb.549:                              ;   in Loop: Header=BB351_15 Depth=1
	v_and_b32_e32 v48, 7, v6
	v_lshrrev_b32_e32 v7, 3, v2
	v_cmp_gt_u32_e64 s1, 8, v2
	s_delay_alu instid0(VALU_DEP_3)
	v_mov_b64_e32 v[2:3], v[48:49]
	s_and_saveexec_b32 s19, s1
; %bb.550:                              ;   in Loop: Header=BB351_15 Depth=1
	v_clz_i32_u32_e32 v2, v48
	s_delay_alu instid0(VALU_DEP_1) | instskip(NEXT) | instid1(VALU_DEP_1)
	v_min_u32_e32 v7, 32, v2
	v_subrev_nc_u32_e32 v2, 28, v7
	s_delay_alu instid0(VALU_DEP_1) | instskip(NEXT) | instid1(VALU_DEP_1)
	v_lshlrev_b64_e32 v[2:3], v2, v[48:49]
	v_dual_sub_nc_u32 v7, 29, v7 :: v_dual_bitop2_b32 v2, 7, v2 bitop3:0x40
; %bb.551:                              ;   in Loop: Header=BB351_15 Depth=1
	s_or_b32 exec_lo, exec_lo, s19
	v_lshlrev_b32_e32 v3, 24, v6
	s_delay_alu instid0(VALU_DEP_2) | instskip(NEXT) | instid1(VALU_DEP_3)
	v_lshlrev_b32_e32 v2, 20, v2
	v_lshl_add_u32 v6, v7, 23, 0x3c000000
	s_delay_alu instid0(VALU_DEP_3) | instskip(NEXT) | instid1(VALU_DEP_1)
	v_and_b32_e32 v3, 0x80000000, v3
	v_or3_b32 v56, v2, v3, v6
.LBB351_552:                            ;   in Loop: Header=BB351_15 Depth=1
	s_or_b32 exec_lo, exec_lo, s18
.LBB351_553:                            ;   in Loop: Header=BB351_15 Depth=1
	s_delay_alu instid0(SALU_CYCLE_1)
	s_or_b32 exec_lo, exec_lo, s17
.LBB351_554:                            ;   in Loop: Header=BB351_15 Depth=1
	s_delay_alu instid0(SALU_CYCLE_1) | instskip(NEXT) | instid1(SALU_CYCLE_1)
	s_or_b32 exec_lo, exec_lo, s16
	s_mov_b32 s16, exec_lo
	v_cmpx_lt_u32_e32 0xffffff, v0
	s_cbranch_execz .LBB351_562
; %bb.555:                              ;   in Loop: Header=BB351_15 Depth=1
	v_lshrrev_b32_e32 v6, 24, v0
	v_bfrev_b32_e32 v57, 1
	s_mov_b32 s17, exec_lo
	s_delay_alu instid0(VALU_DEP_2)
	v_cmpx_ne_u32_e32 0x80, v6
	s_cbranch_execz .LBB351_561
; %bb.556:                              ;   in Loop: Header=BB351_15 Depth=1
	v_bfe_u32 v2, v0, 24, 7
	v_mov_b32_e32 v57, 0x7f800001
	s_mov_b32 s18, exec_lo
	s_delay_alu instid0(VALU_DEP_2)
	v_cmpx_ne_u32_e32 0x7f, v2
	s_cbranch_execz .LBB351_560
; %bb.557:                              ;   in Loop: Header=BB351_15 Depth=1
	v_and_b32_e32 v48, 7, v6
	v_lshrrev_b32_e32 v7, 3, v2
	v_cmp_gt_u32_e64 s1, 8, v2
	s_delay_alu instid0(VALU_DEP_3)
	v_mov_b64_e32 v[2:3], v[48:49]
	s_and_saveexec_b32 s19, s1
; %bb.558:                              ;   in Loop: Header=BB351_15 Depth=1
	v_clz_i32_u32_e32 v2, v48
	s_delay_alu instid0(VALU_DEP_1) | instskip(NEXT) | instid1(VALU_DEP_1)
	v_min_u32_e32 v7, 32, v2
	v_subrev_nc_u32_e32 v2, 28, v7
	s_delay_alu instid0(VALU_DEP_1) | instskip(NEXT) | instid1(VALU_DEP_1)
	v_lshlrev_b64_e32 v[2:3], v2, v[48:49]
	v_dual_sub_nc_u32 v7, 29, v7 :: v_dual_bitop2_b32 v2, 7, v2 bitop3:0x40
; %bb.559:                              ;   in Loop: Header=BB351_15 Depth=1
	s_or_b32 exec_lo, exec_lo, s19
	v_lshlrev_b32_e32 v3, 24, v6
	s_delay_alu instid0(VALU_DEP_2) | instskip(NEXT) | instid1(VALU_DEP_3)
	v_lshlrev_b32_e32 v2, 20, v2
	v_lshl_add_u32 v6, v7, 23, 0x3c000000
	s_delay_alu instid0(VALU_DEP_3) | instskip(NEXT) | instid1(VALU_DEP_1)
	v_and_b32_e32 v3, 0x80000000, v3
	v_or3_b32 v57, v2, v3, v6
.LBB351_560:                            ;   in Loop: Header=BB351_15 Depth=1
	s_or_b32 exec_lo, exec_lo, s18
.LBB351_561:                            ;   in Loop: Header=BB351_15 Depth=1
	s_delay_alu instid0(SALU_CYCLE_1)
	s_or_b32 exec_lo, exec_lo, s17
.LBB351_562:                            ;   in Loop: Header=BB351_15 Depth=1
	s_delay_alu instid0(SALU_CYCLE_1) | instskip(SKIP_4) | instid1(VALU_DEP_3)
	s_or_b32 exec_lo, exec_lo, s16
	v_and_b32_e32 v2, 0xff, v1
	v_dual_mov_b32 v48, v1 :: v_dual_mov_b32 v59, 0
	v_mov_b32_e32 v58, 0
	s_mov_b32 s16, exec_lo
	v_cmpx_ne_u16_e32 0, v2
	s_cbranch_execz .LBB351_570
; %bb.563:                              ;   in Loop: Header=BB351_15 Depth=1
	v_bfrev_b32_e32 v58, 1
	s_mov_b32 s17, exec_lo
	v_cmpx_ne_u16_e32 0x80, v2
	s_cbranch_execz .LBB351_569
; %bb.564:                              ;   in Loop: Header=BB351_15 Depth=1
	v_and_b32_e32 v2, 0x7f, v1
	v_mov_b32_e32 v58, 0x7f800001
	s_mov_b32 s18, exec_lo
	s_delay_alu instid0(VALU_DEP_2)
	v_cmpx_ne_u32_e32 0x7f, v2
	s_cbranch_execz .LBB351_568
; %bb.565:                              ;   in Loop: Header=BB351_15 Depth=1
	v_lshrrev_b32_e32 v6, 3, v2
	v_cmp_gt_u32_e64 s1, 8, v2
	v_mov_b64_e32 v[2:3], v[48:49]
	s_and_saveexec_b32 s19, s1
; %bb.566:                              ;   in Loop: Header=BB351_15 Depth=1
	v_and_b32_e32 v2, 7, v1
	s_delay_alu instid0(VALU_DEP_1) | instskip(NEXT) | instid1(VALU_DEP_1)
	v_clz_i32_u32_e32 v2, v2
	v_min_u32_e32 v6, 32, v2
	s_delay_alu instid0(VALU_DEP_1) | instskip(SKIP_1) | instid1(VALU_DEP_2)
	v_subrev_nc_u32_e32 v2, 28, v6
	v_sub_nc_u32_e32 v6, 29, v6
	v_lshlrev_b64_e32 v[2:3], v2, v[48:49]
; %bb.567:                              ;   in Loop: Header=BB351_15 Depth=1
	s_or_b32 exec_lo, exec_lo, s19
	s_delay_alu instid0(VALU_DEP_1) | instskip(NEXT) | instid1(VALU_DEP_3)
	v_dual_lshlrev_b32 v2, 20, v2 :: v_dual_lshlrev_b32 v3, 24, v48
	v_lshl_add_u32 v6, v6, 23, 0x3c000000
	s_delay_alu instid0(VALU_DEP_2) | instskip(NEXT) | instid1(VALU_DEP_3)
	v_and_b32_e32 v2, 0x700000, v2
	v_and_b32_e32 v3, 0x80000000, v3
	s_delay_alu instid0(VALU_DEP_1)
	v_or3_b32 v58, v2, v3, v6
.LBB351_568:                            ;   in Loop: Header=BB351_15 Depth=1
	s_or_b32 exec_lo, exec_lo, s18
.LBB351_569:                            ;   in Loop: Header=BB351_15 Depth=1
	s_delay_alu instid0(SALU_CYCLE_1)
	s_or_b32 exec_lo, exec_lo, s17
.LBB351_570:                            ;   in Loop: Header=BB351_15 Depth=1
	s_delay_alu instid0(SALU_CYCLE_1) | instskip(SKIP_2) | instid1(VALU_DEP_1)
	s_or_b32 exec_lo, exec_lo, s16
	v_lshrrev_b16 v2, 8, v48
	s_mov_b32 s16, exec_lo
	v_cmpx_ne_u16_e32 0, v2
	s_cbranch_execz .LBB351_578
; %bb.571:                              ;   in Loop: Header=BB351_15 Depth=1
	v_bfrev_b32_e32 v59, 1
	s_mov_b32 s17, exec_lo
	v_cmpx_ne_u16_e32 0x80, v2
	s_cbranch_execz .LBB351_577
; %bb.572:                              ;   in Loop: Header=BB351_15 Depth=1
	v_and_b32_e32 v2, 0xffff, v2
	v_mov_b32_e32 v59, 0x7f800001
	s_mov_b32 s18, exec_lo
	s_delay_alu instid0(VALU_DEP_2) | instskip(NEXT) | instid1(VALU_DEP_1)
	v_and_b32_e32 v7, 0x7f, v2
	v_cmpx_ne_u32_e32 0x7f, v7
	s_cbranch_execz .LBB351_576
; %bb.573:                              ;   in Loop: Header=BB351_15 Depth=1
	v_dual_mov_b32 v3, v49 :: v_dual_bitop2_b32 v2, 7, v2 bitop3:0x40
	v_lshrrev_b32_e32 v6, 3, v7
	s_mov_b32 s19, exec_lo
	v_cmpx_gt_u32_e32 8, v7
; %bb.574:                              ;   in Loop: Header=BB351_15 Depth=1
	s_delay_alu instid0(VALU_DEP_3) | instskip(NEXT) | instid1(VALU_DEP_1)
	v_clz_i32_u32_e32 v6, v2
	v_min_u32_e32 v6, 32, v6
	s_delay_alu instid0(VALU_DEP_1) | instskip(SKIP_1) | instid1(VALU_DEP_2)
	v_subrev_nc_u32_e32 v7, 28, v6
	v_sub_nc_u32_e32 v6, 29, v6
	v_lshlrev_b64_e32 v[2:3], v7, v[2:3]
	s_delay_alu instid0(VALU_DEP_1)
	v_and_b32_e32 v2, 7, v2
; %bb.575:                              ;   in Loop: Header=BB351_15 Depth=1
	s_or_b32 exec_lo, exec_lo, s19
	s_delay_alu instid0(VALU_DEP_1) | instskip(SKIP_1) | instid1(VALU_DEP_2)
	v_dual_lshlrev_b32 v3, 16, v48 :: v_dual_lshlrev_b32 v2, 20, v2
	v_lshl_add_u32 v6, v6, 23, 0x3c000000
	v_and_b32_e32 v3, 0x80000000, v3
	s_delay_alu instid0(VALU_DEP_1)
	v_or3_b32 v59, v2, v3, v6
.LBB351_576:                            ;   in Loop: Header=BB351_15 Depth=1
	s_or_b32 exec_lo, exec_lo, s18
.LBB351_577:                            ;   in Loop: Header=BB351_15 Depth=1
	s_delay_alu instid0(SALU_CYCLE_1)
	s_or_b32 exec_lo, exec_lo, s17
.LBB351_578:                            ;   in Loop: Header=BB351_15 Depth=1
	s_delay_alu instid0(SALU_CYCLE_1) | instskip(SKIP_3) | instid1(VALU_DEP_2)
	s_or_b32 exec_lo, exec_lo, s16
	v_dual_mov_b32 v61, 0 :: v_dual_lshrrev_b32 v6, 16, v1
	v_mov_b32_e32 v60, 0
	s_mov_b32 s16, exec_lo
	v_and_b32_e32 v2, 0xff, v6
	s_delay_alu instid0(VALU_DEP_1)
	v_cmpx_ne_u16_e32 0, v2
	s_cbranch_execz .LBB351_586
; %bb.579:                              ;   in Loop: Header=BB351_15 Depth=1
	v_bfrev_b32_e32 v60, 1
	s_mov_b32 s17, exec_lo
	v_cmpx_ne_u16_e32 0x80, v2
	s_cbranch_execz .LBB351_585
; %bb.580:                              ;   in Loop: Header=BB351_15 Depth=1
	v_bfe_u32 v2, v1, 16, 7
	v_mov_b32_e32 v60, 0x7f800001
	s_mov_b32 s18, exec_lo
	s_delay_alu instid0(VALU_DEP_2)
	v_cmpx_ne_u32_e32 0x7f, v2
	s_cbranch_execz .LBB351_584
; %bb.581:                              ;   in Loop: Header=BB351_15 Depth=1
	v_and_b32_e32 v48, 7, v6
	v_lshrrev_b32_e32 v7, 3, v2
	v_cmp_gt_u32_e64 s1, 8, v2
	s_delay_alu instid0(VALU_DEP_3)
	v_mov_b64_e32 v[2:3], v[48:49]
	s_and_saveexec_b32 s19, s1
; %bb.582:                              ;   in Loop: Header=BB351_15 Depth=1
	v_clz_i32_u32_e32 v2, v48
	s_delay_alu instid0(VALU_DEP_1) | instskip(NEXT) | instid1(VALU_DEP_1)
	v_min_u32_e32 v7, 32, v2
	v_subrev_nc_u32_e32 v2, 28, v7
	s_delay_alu instid0(VALU_DEP_1) | instskip(NEXT) | instid1(VALU_DEP_1)
	v_lshlrev_b64_e32 v[2:3], v2, v[48:49]
	v_dual_sub_nc_u32 v7, 29, v7 :: v_dual_bitop2_b32 v2, 7, v2 bitop3:0x40
; %bb.583:                              ;   in Loop: Header=BB351_15 Depth=1
	s_or_b32 exec_lo, exec_lo, s19
	v_lshlrev_b32_e32 v3, 24, v6
	s_delay_alu instid0(VALU_DEP_2) | instskip(NEXT) | instid1(VALU_DEP_3)
	v_lshlrev_b32_e32 v2, 20, v2
	v_lshl_add_u32 v6, v7, 23, 0x3c000000
	s_delay_alu instid0(VALU_DEP_3) | instskip(NEXT) | instid1(VALU_DEP_1)
	v_and_b32_e32 v3, 0x80000000, v3
	v_or3_b32 v60, v2, v3, v6
.LBB351_584:                            ;   in Loop: Header=BB351_15 Depth=1
	s_or_b32 exec_lo, exec_lo, s18
.LBB351_585:                            ;   in Loop: Header=BB351_15 Depth=1
	s_delay_alu instid0(SALU_CYCLE_1)
	s_or_b32 exec_lo, exec_lo, s17
.LBB351_586:                            ;   in Loop: Header=BB351_15 Depth=1
	s_delay_alu instid0(SALU_CYCLE_1) | instskip(NEXT) | instid1(SALU_CYCLE_1)
	s_or_b32 exec_lo, exec_lo, s16
	s_mov_b32 s16, exec_lo
	v_cmpx_lt_u64_e64 s[8:9], v[0:1]
	s_cbranch_execz .LBB351_594
; %bb.587:                              ;   in Loop: Header=BB351_15 Depth=1
	v_lshrrev_b32_e32 v2, 24, v1
	v_bfrev_b32_e32 v61, 1
	s_mov_b32 s17, exec_lo
	s_delay_alu instid0(VALU_DEP_2)
	v_cmpx_ne_u32_e32 0x80, v2
	s_cbranch_execz .LBB351_593
; %bb.588:                              ;   in Loop: Header=BB351_15 Depth=1
	v_bfe_u32 v0, v1, 24, 7
	v_mov_b32_e32 v61, 0x7f800001
	s_mov_b32 s18, exec_lo
	s_delay_alu instid0(VALU_DEP_2)
	v_cmpx_ne_u32_e32 0x7f, v0
	s_cbranch_execz .LBB351_592
; %bb.589:                              ;   in Loop: Header=BB351_15 Depth=1
	v_dual_lshrrev_b32 v3, 3, v0 :: v_dual_bitop2_b32 v48, 7, v2 bitop3:0x40
	v_cmp_gt_u32_e64 s1, 8, v0
	s_delay_alu instid0(VALU_DEP_2)
	v_mov_b64_e32 v[0:1], v[48:49]
	s_and_saveexec_b32 s19, s1
; %bb.590:                              ;   in Loop: Header=BB351_15 Depth=1
	v_clz_i32_u32_e32 v0, v48
	s_delay_alu instid0(VALU_DEP_1) | instskip(NEXT) | instid1(VALU_DEP_1)
	v_min_u32_e32 v3, 32, v0
	v_subrev_nc_u32_e32 v0, 28, v3
	s_delay_alu instid0(VALU_DEP_1) | instskip(NEXT) | instid1(VALU_DEP_1)
	v_lshlrev_b64_e32 v[0:1], v0, v[48:49]
	v_dual_sub_nc_u32 v3, 29, v3 :: v_dual_bitop2_b32 v0, 7, v0 bitop3:0x40
; %bb.591:                              ;   in Loop: Header=BB351_15 Depth=1
	s_or_b32 exec_lo, exec_lo, s19
	s_delay_alu instid0(VALU_DEP_1) | instskip(NEXT) | instid1(VALU_DEP_2)
	v_dual_lshlrev_b32 v1, 24, v2 :: v_dual_lshlrev_b32 v0, 20, v0
	v_lshl_add_u32 v2, v3, 23, 0x3c000000
	s_delay_alu instid0(VALU_DEP_2) | instskip(NEXT) | instid1(VALU_DEP_1)
	v_and_b32_e32 v1, 0x80000000, v1
	v_or3_b32 v61, v0, v1, v2
.LBB351_592:                            ;   in Loop: Header=BB351_15 Depth=1
	s_or_b32 exec_lo, exec_lo, s18
.LBB351_593:                            ;   in Loop: Header=BB351_15 Depth=1
	s_delay_alu instid0(SALU_CYCLE_1)
	s_or_b32 exec_lo, exec_lo, s17
.LBB351_594:                            ;   in Loop: Header=BB351_15 Depth=1
	s_delay_alu instid0(SALU_CYCLE_1)
	s_or_b32 exec_lo, exec_lo, s16
	flat_load_b64 v[0:1], v[86:87] offset:2056
	v_dual_mov_b32 v63, 0 :: v_dual_mov_b32 v62, 0
	s_mov_b32 s16, exec_lo
	s_wait_loadcnt_dscnt 0x0
	v_and_b32_e32 v2, 0xff, v0
	s_wait_xcnt 0x0
	s_delay_alu instid0(VALU_DEP_1)
	v_cmpx_ne_u16_e32 0, v2
	s_cbranch_execz .LBB351_602
; %bb.595:                              ;   in Loop: Header=BB351_15 Depth=1
	v_bfrev_b32_e32 v62, 1
	s_mov_b32 s17, exec_lo
	v_cmpx_ne_u16_e32 0x80, v2
	s_cbranch_execz .LBB351_601
; %bb.596:                              ;   in Loop: Header=BB351_15 Depth=1
	v_and_b32_e32 v2, 0x7f, v0
	v_mov_b32_e32 v62, 0x7f800001
	s_mov_b32 s18, exec_lo
	s_delay_alu instid0(VALU_DEP_2)
	v_cmpx_ne_u32_e32 0x7f, v2
	s_cbranch_execz .LBB351_600
; %bb.597:                              ;   in Loop: Header=BB351_15 Depth=1
	v_lshrrev_b32_e32 v6, 3, v2
	v_cmp_gt_u32_e64 s1, 8, v2
	v_mov_b64_e32 v[2:3], v[0:1]
	s_and_saveexec_b32 s19, s1
; %bb.598:                              ;   in Loop: Header=BB351_15 Depth=1
	v_and_b32_e32 v2, 7, v0
	s_delay_alu instid0(VALU_DEP_1) | instskip(NEXT) | instid1(VALU_DEP_1)
	v_clz_i32_u32_e32 v2, v2
	v_min_u32_e32 v6, 32, v2
	s_delay_alu instid0(VALU_DEP_1) | instskip(SKIP_1) | instid1(VALU_DEP_2)
	v_subrev_nc_u32_e32 v2, 28, v6
	v_sub_nc_u32_e32 v6, 29, v6
	v_lshlrev_b64_e32 v[2:3], v2, v[0:1]
; %bb.599:                              ;   in Loop: Header=BB351_15 Depth=1
	s_or_b32 exec_lo, exec_lo, s19
	s_delay_alu instid0(VALU_DEP_1) | instskip(NEXT) | instid1(VALU_DEP_3)
	v_dual_lshlrev_b32 v2, 20, v2 :: v_dual_lshlrev_b32 v3, 24, v0
	v_lshl_add_u32 v6, v6, 23, 0x3c000000
	s_delay_alu instid0(VALU_DEP_2) | instskip(NEXT) | instid1(VALU_DEP_3)
	v_and_b32_e32 v2, 0x700000, v2
	v_and_b32_e32 v3, 0x80000000, v3
	s_delay_alu instid0(VALU_DEP_1)
	v_or3_b32 v62, v2, v3, v6
.LBB351_600:                            ;   in Loop: Header=BB351_15 Depth=1
	s_or_b32 exec_lo, exec_lo, s18
.LBB351_601:                            ;   in Loop: Header=BB351_15 Depth=1
	s_delay_alu instid0(SALU_CYCLE_1)
	s_or_b32 exec_lo, exec_lo, s17
.LBB351_602:                            ;   in Loop: Header=BB351_15 Depth=1
	s_delay_alu instid0(SALU_CYCLE_1) | instskip(SKIP_2) | instid1(VALU_DEP_1)
	s_or_b32 exec_lo, exec_lo, s16
	v_lshrrev_b16 v2, 8, v0
	s_mov_b32 s16, exec_lo
	v_cmpx_ne_u16_e32 0, v2
	s_cbranch_execz .LBB351_610
; %bb.603:                              ;   in Loop: Header=BB351_15 Depth=1
	v_bfrev_b32_e32 v63, 1
	s_mov_b32 s17, exec_lo
	v_cmpx_ne_u16_e32 0x80, v2
	s_cbranch_execz .LBB351_609
; %bb.604:                              ;   in Loop: Header=BB351_15 Depth=1
	v_and_b32_e32 v3, 0xffff, v2
	v_mov_b32_e32 v63, 0x7f800001
	s_mov_b32 s18, exec_lo
	s_delay_alu instid0(VALU_DEP_2) | instskip(NEXT) | instid1(VALU_DEP_1)
	v_and_b32_e32 v2, 0x7f, v3
	v_cmpx_ne_u32_e32 0x7f, v2
	s_cbranch_execz .LBB351_608
; %bb.605:                              ;   in Loop: Header=BB351_15 Depth=1
	v_dual_lshrrev_b32 v6, 3, v2 :: v_dual_bitop2_b32 v48, 7, v3 bitop3:0x40
	v_cmp_gt_u32_e64 s1, 8, v2
	s_delay_alu instid0(VALU_DEP_2)
	v_mov_b64_e32 v[2:3], v[48:49]
	s_and_saveexec_b32 s19, s1
; %bb.606:                              ;   in Loop: Header=BB351_15 Depth=1
	v_clz_i32_u32_e32 v2, v48
	s_delay_alu instid0(VALU_DEP_1) | instskip(NEXT) | instid1(VALU_DEP_1)
	v_min_u32_e32 v6, 32, v2
	v_subrev_nc_u32_e32 v2, 28, v6
	v_sub_nc_u32_e32 v6, 29, v6
	s_delay_alu instid0(VALU_DEP_2) | instskip(NEXT) | instid1(VALU_DEP_1)
	v_lshlrev_b64_e32 v[2:3], v2, v[48:49]
	v_and_b32_e32 v2, 7, v2
; %bb.607:                              ;   in Loop: Header=BB351_15 Depth=1
	s_or_b32 exec_lo, exec_lo, s19
	s_delay_alu instid0(VALU_DEP_1) | instskip(SKIP_1) | instid1(VALU_DEP_2)
	v_dual_lshlrev_b32 v3, 16, v0 :: v_dual_lshlrev_b32 v2, 20, v2
	v_lshl_add_u32 v6, v6, 23, 0x3c000000
	v_and_b32_e32 v3, 0x80000000, v3
	s_delay_alu instid0(VALU_DEP_1)
	v_or3_b32 v63, v2, v3, v6
.LBB351_608:                            ;   in Loop: Header=BB351_15 Depth=1
	s_or_b32 exec_lo, exec_lo, s18
.LBB351_609:                            ;   in Loop: Header=BB351_15 Depth=1
	s_delay_alu instid0(SALU_CYCLE_1)
	s_or_b32 exec_lo, exec_lo, s17
.LBB351_610:                            ;   in Loop: Header=BB351_15 Depth=1
	s_delay_alu instid0(SALU_CYCLE_1) | instskip(SKIP_3) | instid1(VALU_DEP_2)
	s_or_b32 exec_lo, exec_lo, s16
	v_dual_mov_b32 v73, 0 :: v_dual_lshrrev_b32 v6, 16, v0
	v_mov_b32_e32 v72, 0
	s_mov_b32 s16, exec_lo
	v_and_b32_e32 v2, 0xff, v6
	s_delay_alu instid0(VALU_DEP_1)
	v_cmpx_ne_u16_e32 0, v2
	s_cbranch_execz .LBB351_618
; %bb.611:                              ;   in Loop: Header=BB351_15 Depth=1
	v_bfrev_b32_e32 v72, 1
	s_mov_b32 s17, exec_lo
	v_cmpx_ne_u16_e32 0x80, v2
	s_cbranch_execz .LBB351_617
; %bb.612:                              ;   in Loop: Header=BB351_15 Depth=1
	v_bfe_u32 v2, v0, 16, 7
	v_mov_b32_e32 v72, 0x7f800001
	s_mov_b32 s18, exec_lo
	s_delay_alu instid0(VALU_DEP_2)
	v_cmpx_ne_u32_e32 0x7f, v2
	s_cbranch_execz .LBB351_616
; %bb.613:                              ;   in Loop: Header=BB351_15 Depth=1
	v_and_b32_e32 v48, 7, v6
	v_lshrrev_b32_e32 v7, 3, v2
	v_cmp_gt_u32_e64 s1, 8, v2
	s_delay_alu instid0(VALU_DEP_3)
	v_mov_b64_e32 v[2:3], v[48:49]
	s_and_saveexec_b32 s19, s1
; %bb.614:                              ;   in Loop: Header=BB351_15 Depth=1
	v_clz_i32_u32_e32 v2, v48
	s_delay_alu instid0(VALU_DEP_1) | instskip(NEXT) | instid1(VALU_DEP_1)
	v_min_u32_e32 v7, 32, v2
	v_subrev_nc_u32_e32 v2, 28, v7
	s_delay_alu instid0(VALU_DEP_1) | instskip(NEXT) | instid1(VALU_DEP_1)
	v_lshlrev_b64_e32 v[2:3], v2, v[48:49]
	v_dual_sub_nc_u32 v7, 29, v7 :: v_dual_bitop2_b32 v2, 7, v2 bitop3:0x40
; %bb.615:                              ;   in Loop: Header=BB351_15 Depth=1
	s_or_b32 exec_lo, exec_lo, s19
	v_lshlrev_b32_e32 v3, 24, v6
	s_delay_alu instid0(VALU_DEP_2) | instskip(NEXT) | instid1(VALU_DEP_3)
	v_lshlrev_b32_e32 v2, 20, v2
	v_lshl_add_u32 v6, v7, 23, 0x3c000000
	s_delay_alu instid0(VALU_DEP_3) | instskip(NEXT) | instid1(VALU_DEP_1)
	v_and_b32_e32 v3, 0x80000000, v3
	v_or3_b32 v72, v2, v3, v6
.LBB351_616:                            ;   in Loop: Header=BB351_15 Depth=1
	s_or_b32 exec_lo, exec_lo, s18
.LBB351_617:                            ;   in Loop: Header=BB351_15 Depth=1
	s_delay_alu instid0(SALU_CYCLE_1)
	s_or_b32 exec_lo, exec_lo, s17
.LBB351_618:                            ;   in Loop: Header=BB351_15 Depth=1
	s_delay_alu instid0(SALU_CYCLE_1) | instskip(NEXT) | instid1(SALU_CYCLE_1)
	s_or_b32 exec_lo, exec_lo, s16
	s_mov_b32 s16, exec_lo
	v_cmpx_lt_u32_e32 0xffffff, v0
	s_cbranch_execz .LBB351_626
; %bb.619:                              ;   in Loop: Header=BB351_15 Depth=1
	v_lshrrev_b32_e32 v6, 24, v0
	v_bfrev_b32_e32 v73, 1
	s_mov_b32 s17, exec_lo
	s_delay_alu instid0(VALU_DEP_2)
	v_cmpx_ne_u32_e32 0x80, v6
	s_cbranch_execz .LBB351_625
; %bb.620:                              ;   in Loop: Header=BB351_15 Depth=1
	v_bfe_u32 v2, v0, 24, 7
	v_mov_b32_e32 v73, 0x7f800001
	s_mov_b32 s18, exec_lo
	s_delay_alu instid0(VALU_DEP_2)
	v_cmpx_ne_u32_e32 0x7f, v2
	s_cbranch_execz .LBB351_624
; %bb.621:                              ;   in Loop: Header=BB351_15 Depth=1
	v_and_b32_e32 v48, 7, v6
	v_lshrrev_b32_e32 v7, 3, v2
	v_cmp_gt_u32_e64 s1, 8, v2
	s_delay_alu instid0(VALU_DEP_3)
	v_mov_b64_e32 v[2:3], v[48:49]
	s_and_saveexec_b32 s19, s1
; %bb.622:                              ;   in Loop: Header=BB351_15 Depth=1
	v_clz_i32_u32_e32 v2, v48
	s_delay_alu instid0(VALU_DEP_1) | instskip(NEXT) | instid1(VALU_DEP_1)
	v_min_u32_e32 v7, 32, v2
	v_subrev_nc_u32_e32 v2, 28, v7
	s_delay_alu instid0(VALU_DEP_1) | instskip(NEXT) | instid1(VALU_DEP_1)
	v_lshlrev_b64_e32 v[2:3], v2, v[48:49]
	v_dual_sub_nc_u32 v7, 29, v7 :: v_dual_bitop2_b32 v2, 7, v2 bitop3:0x40
; %bb.623:                              ;   in Loop: Header=BB351_15 Depth=1
	s_or_b32 exec_lo, exec_lo, s19
	v_lshlrev_b32_e32 v3, 24, v6
	s_delay_alu instid0(VALU_DEP_2) | instskip(NEXT) | instid1(VALU_DEP_3)
	v_lshlrev_b32_e32 v2, 20, v2
	v_lshl_add_u32 v6, v7, 23, 0x3c000000
	s_delay_alu instid0(VALU_DEP_3) | instskip(NEXT) | instid1(VALU_DEP_1)
	v_and_b32_e32 v3, 0x80000000, v3
	v_or3_b32 v73, v2, v3, v6
.LBB351_624:                            ;   in Loop: Header=BB351_15 Depth=1
	s_or_b32 exec_lo, exec_lo, s18
.LBB351_625:                            ;   in Loop: Header=BB351_15 Depth=1
	s_delay_alu instid0(SALU_CYCLE_1)
	s_or_b32 exec_lo, exec_lo, s17
.LBB351_626:                            ;   in Loop: Header=BB351_15 Depth=1
	s_delay_alu instid0(SALU_CYCLE_1) | instskip(SKIP_4) | instid1(VALU_DEP_3)
	s_or_b32 exec_lo, exec_lo, s16
	v_and_b32_e32 v2, 0xff, v1
	v_dual_mov_b32 v48, v1 :: v_dual_mov_b32 v75, 0
	v_mov_b32_e32 v74, 0
	s_mov_b32 s16, exec_lo
	v_cmpx_ne_u16_e32 0, v2
	s_cbranch_execz .LBB351_634
; %bb.627:                              ;   in Loop: Header=BB351_15 Depth=1
	v_bfrev_b32_e32 v74, 1
	s_mov_b32 s17, exec_lo
	v_cmpx_ne_u16_e32 0x80, v2
	s_cbranch_execz .LBB351_633
; %bb.628:                              ;   in Loop: Header=BB351_15 Depth=1
	v_and_b32_e32 v2, 0x7f, v1
	v_mov_b32_e32 v74, 0x7f800001
	s_mov_b32 s18, exec_lo
	s_delay_alu instid0(VALU_DEP_2)
	v_cmpx_ne_u32_e32 0x7f, v2
	s_cbranch_execz .LBB351_632
; %bb.629:                              ;   in Loop: Header=BB351_15 Depth=1
	v_lshrrev_b32_e32 v6, 3, v2
	v_cmp_gt_u32_e64 s1, 8, v2
	v_mov_b64_e32 v[2:3], v[48:49]
	s_and_saveexec_b32 s19, s1
; %bb.630:                              ;   in Loop: Header=BB351_15 Depth=1
	v_and_b32_e32 v2, 7, v1
	s_delay_alu instid0(VALU_DEP_1) | instskip(NEXT) | instid1(VALU_DEP_1)
	v_clz_i32_u32_e32 v2, v2
	v_min_u32_e32 v6, 32, v2
	s_delay_alu instid0(VALU_DEP_1) | instskip(SKIP_1) | instid1(VALU_DEP_2)
	v_subrev_nc_u32_e32 v2, 28, v6
	v_sub_nc_u32_e32 v6, 29, v6
	v_lshlrev_b64_e32 v[2:3], v2, v[48:49]
; %bb.631:                              ;   in Loop: Header=BB351_15 Depth=1
	s_or_b32 exec_lo, exec_lo, s19
	s_delay_alu instid0(VALU_DEP_1) | instskip(NEXT) | instid1(VALU_DEP_3)
	v_dual_lshlrev_b32 v2, 20, v2 :: v_dual_lshlrev_b32 v3, 24, v48
	v_lshl_add_u32 v6, v6, 23, 0x3c000000
	s_delay_alu instid0(VALU_DEP_2) | instskip(NEXT) | instid1(VALU_DEP_3)
	v_and_b32_e32 v2, 0x700000, v2
	v_and_b32_e32 v3, 0x80000000, v3
	s_delay_alu instid0(VALU_DEP_1)
	v_or3_b32 v74, v2, v3, v6
.LBB351_632:                            ;   in Loop: Header=BB351_15 Depth=1
	s_or_b32 exec_lo, exec_lo, s18
.LBB351_633:                            ;   in Loop: Header=BB351_15 Depth=1
	s_delay_alu instid0(SALU_CYCLE_1)
	s_or_b32 exec_lo, exec_lo, s17
.LBB351_634:                            ;   in Loop: Header=BB351_15 Depth=1
	s_delay_alu instid0(SALU_CYCLE_1) | instskip(SKIP_2) | instid1(VALU_DEP_1)
	s_or_b32 exec_lo, exec_lo, s16
	v_lshrrev_b16 v2, 8, v48
	s_mov_b32 s16, exec_lo
	v_cmpx_ne_u16_e32 0, v2
	s_cbranch_execz .LBB351_642
; %bb.635:                              ;   in Loop: Header=BB351_15 Depth=1
	v_bfrev_b32_e32 v75, 1
	s_mov_b32 s17, exec_lo
	v_cmpx_ne_u16_e32 0x80, v2
	s_cbranch_execz .LBB351_641
; %bb.636:                              ;   in Loop: Header=BB351_15 Depth=1
	v_and_b32_e32 v2, 0xffff, v2
	v_mov_b32_e32 v75, 0x7f800001
	s_mov_b32 s18, exec_lo
	s_delay_alu instid0(VALU_DEP_2) | instskip(NEXT) | instid1(VALU_DEP_1)
	v_and_b32_e32 v7, 0x7f, v2
	v_cmpx_ne_u32_e32 0x7f, v7
	s_cbranch_execz .LBB351_640
; %bb.637:                              ;   in Loop: Header=BB351_15 Depth=1
	v_dual_mov_b32 v3, v49 :: v_dual_bitop2_b32 v2, 7, v2 bitop3:0x40
	v_lshrrev_b32_e32 v6, 3, v7
	s_mov_b32 s19, exec_lo
	v_cmpx_gt_u32_e32 8, v7
; %bb.638:                              ;   in Loop: Header=BB351_15 Depth=1
	s_delay_alu instid0(VALU_DEP_3) | instskip(NEXT) | instid1(VALU_DEP_1)
	v_clz_i32_u32_e32 v6, v2
	v_min_u32_e32 v6, 32, v6
	s_delay_alu instid0(VALU_DEP_1) | instskip(SKIP_1) | instid1(VALU_DEP_2)
	v_subrev_nc_u32_e32 v7, 28, v6
	v_sub_nc_u32_e32 v6, 29, v6
	v_lshlrev_b64_e32 v[2:3], v7, v[2:3]
	s_delay_alu instid0(VALU_DEP_1)
	v_and_b32_e32 v2, 7, v2
; %bb.639:                              ;   in Loop: Header=BB351_15 Depth=1
	s_or_b32 exec_lo, exec_lo, s19
	s_delay_alu instid0(VALU_DEP_1) | instskip(SKIP_1) | instid1(VALU_DEP_2)
	v_dual_lshlrev_b32 v3, 16, v48 :: v_dual_lshlrev_b32 v2, 20, v2
	v_lshl_add_u32 v6, v6, 23, 0x3c000000
	v_and_b32_e32 v3, 0x80000000, v3
	s_delay_alu instid0(VALU_DEP_1)
	v_or3_b32 v75, v2, v3, v6
.LBB351_640:                            ;   in Loop: Header=BB351_15 Depth=1
	s_or_b32 exec_lo, exec_lo, s18
.LBB351_641:                            ;   in Loop: Header=BB351_15 Depth=1
	s_delay_alu instid0(SALU_CYCLE_1)
	s_or_b32 exec_lo, exec_lo, s17
.LBB351_642:                            ;   in Loop: Header=BB351_15 Depth=1
	s_delay_alu instid0(SALU_CYCLE_1) | instskip(SKIP_3) | instid1(VALU_DEP_2)
	s_or_b32 exec_lo, exec_lo, s16
	v_dual_mov_b32 v77, 0 :: v_dual_lshrrev_b32 v6, 16, v1
	v_mov_b32_e32 v76, 0
	s_mov_b32 s16, exec_lo
	v_and_b32_e32 v2, 0xff, v6
	s_delay_alu instid0(VALU_DEP_1)
	v_cmpx_ne_u16_e32 0, v2
	s_cbranch_execz .LBB351_650
; %bb.643:                              ;   in Loop: Header=BB351_15 Depth=1
	v_bfrev_b32_e32 v76, 1
	s_mov_b32 s17, exec_lo
	v_cmpx_ne_u16_e32 0x80, v2
	s_cbranch_execz .LBB351_649
; %bb.644:                              ;   in Loop: Header=BB351_15 Depth=1
	v_bfe_u32 v2, v1, 16, 7
	v_mov_b32_e32 v76, 0x7f800001
	s_mov_b32 s18, exec_lo
	s_delay_alu instid0(VALU_DEP_2)
	v_cmpx_ne_u32_e32 0x7f, v2
	s_cbranch_execz .LBB351_648
; %bb.645:                              ;   in Loop: Header=BB351_15 Depth=1
	v_and_b32_e32 v48, 7, v6
	v_lshrrev_b32_e32 v7, 3, v2
	v_cmp_gt_u32_e64 s1, 8, v2
	s_delay_alu instid0(VALU_DEP_3)
	v_mov_b64_e32 v[2:3], v[48:49]
	s_and_saveexec_b32 s19, s1
; %bb.646:                              ;   in Loop: Header=BB351_15 Depth=1
	v_clz_i32_u32_e32 v2, v48
	s_delay_alu instid0(VALU_DEP_1) | instskip(NEXT) | instid1(VALU_DEP_1)
	v_min_u32_e32 v7, 32, v2
	v_subrev_nc_u32_e32 v2, 28, v7
	s_delay_alu instid0(VALU_DEP_1) | instskip(NEXT) | instid1(VALU_DEP_1)
	v_lshlrev_b64_e32 v[2:3], v2, v[48:49]
	v_dual_sub_nc_u32 v7, 29, v7 :: v_dual_bitop2_b32 v2, 7, v2 bitop3:0x40
; %bb.647:                              ;   in Loop: Header=BB351_15 Depth=1
	s_or_b32 exec_lo, exec_lo, s19
	v_lshlrev_b32_e32 v3, 24, v6
	s_delay_alu instid0(VALU_DEP_2) | instskip(NEXT) | instid1(VALU_DEP_3)
	v_lshlrev_b32_e32 v2, 20, v2
	v_lshl_add_u32 v6, v7, 23, 0x3c000000
	s_delay_alu instid0(VALU_DEP_3) | instskip(NEXT) | instid1(VALU_DEP_1)
	v_and_b32_e32 v3, 0x80000000, v3
	v_or3_b32 v76, v2, v3, v6
.LBB351_648:                            ;   in Loop: Header=BB351_15 Depth=1
	s_or_b32 exec_lo, exec_lo, s18
.LBB351_649:                            ;   in Loop: Header=BB351_15 Depth=1
	s_delay_alu instid0(SALU_CYCLE_1)
	s_or_b32 exec_lo, exec_lo, s17
.LBB351_650:                            ;   in Loop: Header=BB351_15 Depth=1
	s_delay_alu instid0(SALU_CYCLE_1) | instskip(NEXT) | instid1(SALU_CYCLE_1)
	s_or_b32 exec_lo, exec_lo, s16
	s_mov_b32 s16, exec_lo
	v_cmpx_lt_u64_e64 s[8:9], v[0:1]
	s_cbranch_execz .LBB351_658
; %bb.651:                              ;   in Loop: Header=BB351_15 Depth=1
	v_lshrrev_b32_e32 v2, 24, v1
	v_bfrev_b32_e32 v77, 1
	s_mov_b32 s17, exec_lo
	s_delay_alu instid0(VALU_DEP_2)
	v_cmpx_ne_u32_e32 0x80, v2
	s_cbranch_execz .LBB351_657
; %bb.652:                              ;   in Loop: Header=BB351_15 Depth=1
	v_bfe_u32 v0, v1, 24, 7
	v_mov_b32_e32 v77, 0x7f800001
	s_mov_b32 s18, exec_lo
	s_delay_alu instid0(VALU_DEP_2)
	v_cmpx_ne_u32_e32 0x7f, v0
	s_cbranch_execz .LBB351_656
; %bb.653:                              ;   in Loop: Header=BB351_15 Depth=1
	v_dual_lshrrev_b32 v3, 3, v0 :: v_dual_bitop2_b32 v48, 7, v2 bitop3:0x40
	v_cmp_gt_u32_e64 s1, 8, v0
	s_delay_alu instid0(VALU_DEP_2)
	v_mov_b64_e32 v[0:1], v[48:49]
	s_and_saveexec_b32 s19, s1
; %bb.654:                              ;   in Loop: Header=BB351_15 Depth=1
	v_clz_i32_u32_e32 v0, v48
	s_delay_alu instid0(VALU_DEP_1) | instskip(NEXT) | instid1(VALU_DEP_1)
	v_min_u32_e32 v3, 32, v0
	v_subrev_nc_u32_e32 v0, 28, v3
	s_delay_alu instid0(VALU_DEP_1) | instskip(NEXT) | instid1(VALU_DEP_1)
	v_lshlrev_b64_e32 v[0:1], v0, v[48:49]
	v_dual_sub_nc_u32 v3, 29, v3 :: v_dual_bitop2_b32 v0, 7, v0 bitop3:0x40
; %bb.655:                              ;   in Loop: Header=BB351_15 Depth=1
	s_or_b32 exec_lo, exec_lo, s19
	s_delay_alu instid0(VALU_DEP_1) | instskip(NEXT) | instid1(VALU_DEP_2)
	v_dual_lshlrev_b32 v1, 24, v2 :: v_dual_lshlrev_b32 v0, 20, v0
	v_lshl_add_u32 v2, v3, 23, 0x3c000000
	s_delay_alu instid0(VALU_DEP_2) | instskip(NEXT) | instid1(VALU_DEP_1)
	v_and_b32_e32 v1, 0x80000000, v1
	v_or3_b32 v77, v0, v1, v2
.LBB351_656:                            ;   in Loop: Header=BB351_15 Depth=1
	s_or_b32 exec_lo, exec_lo, s18
.LBB351_657:                            ;   in Loop: Header=BB351_15 Depth=1
	s_delay_alu instid0(SALU_CYCLE_1)
	s_or_b32 exec_lo, exec_lo, s17
.LBB351_658:                            ;   in Loop: Header=BB351_15 Depth=1
	s_delay_alu instid0(SALU_CYCLE_1)
	s_or_b32 exec_lo, exec_lo, s16
	flat_load_b64 v[0:1], v[86:87] offset:2560
	v_dual_mov_b32 v79, 0 :: v_dual_mov_b32 v78, 0
	s_mov_b32 s16, exec_lo
	s_wait_loadcnt_dscnt 0x0
	v_and_b32_e32 v2, 0xff, v0
	s_wait_xcnt 0x0
	s_delay_alu instid0(VALU_DEP_1)
	v_cmpx_ne_u16_e32 0, v2
	s_cbranch_execz .LBB351_666
; %bb.659:                              ;   in Loop: Header=BB351_15 Depth=1
	v_bfrev_b32_e32 v78, 1
	s_mov_b32 s17, exec_lo
	v_cmpx_ne_u16_e32 0x80, v2
	s_cbranch_execz .LBB351_665
; %bb.660:                              ;   in Loop: Header=BB351_15 Depth=1
	v_and_b32_e32 v2, 0x7f, v0
	v_mov_b32_e32 v78, 0x7f800001
	s_mov_b32 s18, exec_lo
	s_delay_alu instid0(VALU_DEP_2)
	v_cmpx_ne_u32_e32 0x7f, v2
	s_cbranch_execz .LBB351_664
; %bb.661:                              ;   in Loop: Header=BB351_15 Depth=1
	v_lshrrev_b32_e32 v6, 3, v2
	v_cmp_gt_u32_e64 s1, 8, v2
	v_mov_b64_e32 v[2:3], v[0:1]
	s_and_saveexec_b32 s19, s1
; %bb.662:                              ;   in Loop: Header=BB351_15 Depth=1
	v_and_b32_e32 v2, 7, v0
	s_delay_alu instid0(VALU_DEP_1) | instskip(NEXT) | instid1(VALU_DEP_1)
	v_clz_i32_u32_e32 v2, v2
	v_min_u32_e32 v6, 32, v2
	s_delay_alu instid0(VALU_DEP_1) | instskip(SKIP_1) | instid1(VALU_DEP_2)
	v_subrev_nc_u32_e32 v2, 28, v6
	v_sub_nc_u32_e32 v6, 29, v6
	v_lshlrev_b64_e32 v[2:3], v2, v[0:1]
; %bb.663:                              ;   in Loop: Header=BB351_15 Depth=1
	s_or_b32 exec_lo, exec_lo, s19
	s_delay_alu instid0(VALU_DEP_1) | instskip(NEXT) | instid1(VALU_DEP_3)
	v_dual_lshlrev_b32 v2, 20, v2 :: v_dual_lshlrev_b32 v3, 24, v0
	v_lshl_add_u32 v6, v6, 23, 0x3c000000
	s_delay_alu instid0(VALU_DEP_2) | instskip(NEXT) | instid1(VALU_DEP_3)
	v_and_b32_e32 v2, 0x700000, v2
	v_and_b32_e32 v3, 0x80000000, v3
	s_delay_alu instid0(VALU_DEP_1)
	v_or3_b32 v78, v2, v3, v6
.LBB351_664:                            ;   in Loop: Header=BB351_15 Depth=1
	s_or_b32 exec_lo, exec_lo, s18
.LBB351_665:                            ;   in Loop: Header=BB351_15 Depth=1
	s_delay_alu instid0(SALU_CYCLE_1)
	s_or_b32 exec_lo, exec_lo, s17
.LBB351_666:                            ;   in Loop: Header=BB351_15 Depth=1
	s_delay_alu instid0(SALU_CYCLE_1) | instskip(SKIP_2) | instid1(VALU_DEP_1)
	s_or_b32 exec_lo, exec_lo, s16
	v_lshrrev_b16 v2, 8, v0
	s_mov_b32 s16, exec_lo
	v_cmpx_ne_u16_e32 0, v2
	s_cbranch_execz .LBB351_674
; %bb.667:                              ;   in Loop: Header=BB351_15 Depth=1
	v_bfrev_b32_e32 v79, 1
	s_mov_b32 s17, exec_lo
	v_cmpx_ne_u16_e32 0x80, v2
	s_cbranch_execz .LBB351_673
; %bb.668:                              ;   in Loop: Header=BB351_15 Depth=1
	v_and_b32_e32 v3, 0xffff, v2
	v_mov_b32_e32 v79, 0x7f800001
	s_mov_b32 s18, exec_lo
	s_delay_alu instid0(VALU_DEP_2) | instskip(NEXT) | instid1(VALU_DEP_1)
	v_and_b32_e32 v2, 0x7f, v3
	v_cmpx_ne_u32_e32 0x7f, v2
	s_cbranch_execz .LBB351_672
; %bb.669:                              ;   in Loop: Header=BB351_15 Depth=1
	v_dual_lshrrev_b32 v6, 3, v2 :: v_dual_bitop2_b32 v48, 7, v3 bitop3:0x40
	v_cmp_gt_u32_e64 s1, 8, v2
	s_delay_alu instid0(VALU_DEP_2)
	v_mov_b64_e32 v[2:3], v[48:49]
	s_and_saveexec_b32 s19, s1
; %bb.670:                              ;   in Loop: Header=BB351_15 Depth=1
	v_clz_i32_u32_e32 v2, v48
	s_delay_alu instid0(VALU_DEP_1) | instskip(NEXT) | instid1(VALU_DEP_1)
	v_min_u32_e32 v6, 32, v2
	v_subrev_nc_u32_e32 v2, 28, v6
	v_sub_nc_u32_e32 v6, 29, v6
	s_delay_alu instid0(VALU_DEP_2) | instskip(NEXT) | instid1(VALU_DEP_1)
	v_lshlrev_b64_e32 v[2:3], v2, v[48:49]
	v_and_b32_e32 v2, 7, v2
; %bb.671:                              ;   in Loop: Header=BB351_15 Depth=1
	s_or_b32 exec_lo, exec_lo, s19
	s_delay_alu instid0(VALU_DEP_1) | instskip(SKIP_1) | instid1(VALU_DEP_2)
	v_dual_lshlrev_b32 v3, 16, v0 :: v_dual_lshlrev_b32 v2, 20, v2
	v_lshl_add_u32 v6, v6, 23, 0x3c000000
	v_and_b32_e32 v3, 0x80000000, v3
	s_delay_alu instid0(VALU_DEP_1)
	v_or3_b32 v79, v2, v3, v6
.LBB351_672:                            ;   in Loop: Header=BB351_15 Depth=1
	s_or_b32 exec_lo, exec_lo, s18
.LBB351_673:                            ;   in Loop: Header=BB351_15 Depth=1
	s_delay_alu instid0(SALU_CYCLE_1)
	s_or_b32 exec_lo, exec_lo, s17
.LBB351_674:                            ;   in Loop: Header=BB351_15 Depth=1
	s_delay_alu instid0(SALU_CYCLE_1) | instskip(SKIP_3) | instid1(VALU_DEP_2)
	s_or_b32 exec_lo, exec_lo, s16
	v_dual_mov_b32 v89, 0 :: v_dual_lshrrev_b32 v6, 16, v0
	v_mov_b32_e32 v88, 0
	s_mov_b32 s16, exec_lo
	v_and_b32_e32 v2, 0xff, v6
	s_delay_alu instid0(VALU_DEP_1)
	v_cmpx_ne_u16_e32 0, v2
	s_cbranch_execz .LBB351_682
; %bb.675:                              ;   in Loop: Header=BB351_15 Depth=1
	v_bfrev_b32_e32 v88, 1
	s_mov_b32 s17, exec_lo
	v_cmpx_ne_u16_e32 0x80, v2
	s_cbranch_execz .LBB351_681
; %bb.676:                              ;   in Loop: Header=BB351_15 Depth=1
	v_bfe_u32 v2, v0, 16, 7
	v_mov_b32_e32 v88, 0x7f800001
	s_mov_b32 s18, exec_lo
	s_delay_alu instid0(VALU_DEP_2)
	v_cmpx_ne_u32_e32 0x7f, v2
	s_cbranch_execz .LBB351_680
; %bb.677:                              ;   in Loop: Header=BB351_15 Depth=1
	v_and_b32_e32 v48, 7, v6
	v_lshrrev_b32_e32 v7, 3, v2
	v_cmp_gt_u32_e64 s1, 8, v2
	s_delay_alu instid0(VALU_DEP_3)
	v_mov_b64_e32 v[2:3], v[48:49]
	s_and_saveexec_b32 s19, s1
; %bb.678:                              ;   in Loop: Header=BB351_15 Depth=1
	v_clz_i32_u32_e32 v2, v48
	s_delay_alu instid0(VALU_DEP_1) | instskip(NEXT) | instid1(VALU_DEP_1)
	v_min_u32_e32 v7, 32, v2
	v_subrev_nc_u32_e32 v2, 28, v7
	s_delay_alu instid0(VALU_DEP_1) | instskip(NEXT) | instid1(VALU_DEP_1)
	v_lshlrev_b64_e32 v[2:3], v2, v[48:49]
	v_dual_sub_nc_u32 v7, 29, v7 :: v_dual_bitop2_b32 v2, 7, v2 bitop3:0x40
; %bb.679:                              ;   in Loop: Header=BB351_15 Depth=1
	s_or_b32 exec_lo, exec_lo, s19
	v_lshlrev_b32_e32 v3, 24, v6
	s_delay_alu instid0(VALU_DEP_2) | instskip(NEXT) | instid1(VALU_DEP_3)
	v_lshlrev_b32_e32 v2, 20, v2
	v_lshl_add_u32 v6, v7, 23, 0x3c000000
	s_delay_alu instid0(VALU_DEP_3) | instskip(NEXT) | instid1(VALU_DEP_1)
	v_and_b32_e32 v3, 0x80000000, v3
	v_or3_b32 v88, v2, v3, v6
.LBB351_680:                            ;   in Loop: Header=BB351_15 Depth=1
	s_or_b32 exec_lo, exec_lo, s18
.LBB351_681:                            ;   in Loop: Header=BB351_15 Depth=1
	s_delay_alu instid0(SALU_CYCLE_1)
	s_or_b32 exec_lo, exec_lo, s17
.LBB351_682:                            ;   in Loop: Header=BB351_15 Depth=1
	s_delay_alu instid0(SALU_CYCLE_1) | instskip(NEXT) | instid1(SALU_CYCLE_1)
	s_or_b32 exec_lo, exec_lo, s16
	s_mov_b32 s16, exec_lo
	v_cmpx_lt_u32_e32 0xffffff, v0
	s_cbranch_execz .LBB351_690
; %bb.683:                              ;   in Loop: Header=BB351_15 Depth=1
	v_lshrrev_b32_e32 v6, 24, v0
	v_bfrev_b32_e32 v89, 1
	s_mov_b32 s17, exec_lo
	s_delay_alu instid0(VALU_DEP_2)
	v_cmpx_ne_u32_e32 0x80, v6
	s_cbranch_execz .LBB351_689
; %bb.684:                              ;   in Loop: Header=BB351_15 Depth=1
	v_bfe_u32 v2, v0, 24, 7
	v_mov_b32_e32 v89, 0x7f800001
	s_mov_b32 s18, exec_lo
	s_delay_alu instid0(VALU_DEP_2)
	v_cmpx_ne_u32_e32 0x7f, v2
	s_cbranch_execz .LBB351_688
; %bb.685:                              ;   in Loop: Header=BB351_15 Depth=1
	v_and_b32_e32 v48, 7, v6
	v_lshrrev_b32_e32 v7, 3, v2
	v_cmp_gt_u32_e64 s1, 8, v2
	s_delay_alu instid0(VALU_DEP_3)
	v_mov_b64_e32 v[2:3], v[48:49]
	s_and_saveexec_b32 s19, s1
; %bb.686:                              ;   in Loop: Header=BB351_15 Depth=1
	v_clz_i32_u32_e32 v2, v48
	s_delay_alu instid0(VALU_DEP_1) | instskip(NEXT) | instid1(VALU_DEP_1)
	v_min_u32_e32 v7, 32, v2
	v_subrev_nc_u32_e32 v2, 28, v7
	s_delay_alu instid0(VALU_DEP_1) | instskip(NEXT) | instid1(VALU_DEP_1)
	v_lshlrev_b64_e32 v[2:3], v2, v[48:49]
	v_dual_sub_nc_u32 v7, 29, v7 :: v_dual_bitop2_b32 v2, 7, v2 bitop3:0x40
; %bb.687:                              ;   in Loop: Header=BB351_15 Depth=1
	s_or_b32 exec_lo, exec_lo, s19
	v_lshlrev_b32_e32 v3, 24, v6
	s_delay_alu instid0(VALU_DEP_2) | instskip(NEXT) | instid1(VALU_DEP_3)
	v_lshlrev_b32_e32 v2, 20, v2
	v_lshl_add_u32 v6, v7, 23, 0x3c000000
	s_delay_alu instid0(VALU_DEP_3) | instskip(NEXT) | instid1(VALU_DEP_1)
	v_and_b32_e32 v3, 0x80000000, v3
	v_or3_b32 v89, v2, v3, v6
.LBB351_688:                            ;   in Loop: Header=BB351_15 Depth=1
	s_or_b32 exec_lo, exec_lo, s18
.LBB351_689:                            ;   in Loop: Header=BB351_15 Depth=1
	s_delay_alu instid0(SALU_CYCLE_1)
	s_or_b32 exec_lo, exec_lo, s17
.LBB351_690:                            ;   in Loop: Header=BB351_15 Depth=1
	s_delay_alu instid0(SALU_CYCLE_1) | instskip(SKIP_4) | instid1(VALU_DEP_3)
	s_or_b32 exec_lo, exec_lo, s16
	v_and_b32_e32 v2, 0xff, v1
	v_dual_mov_b32 v48, v1 :: v_dual_mov_b32 v91, 0
	v_mov_b32_e32 v90, 0
	s_mov_b32 s16, exec_lo
	v_cmpx_ne_u16_e32 0, v2
	s_cbranch_execz .LBB351_698
; %bb.691:                              ;   in Loop: Header=BB351_15 Depth=1
	v_bfrev_b32_e32 v90, 1
	s_mov_b32 s17, exec_lo
	v_cmpx_ne_u16_e32 0x80, v2
	s_cbranch_execz .LBB351_697
; %bb.692:                              ;   in Loop: Header=BB351_15 Depth=1
	v_and_b32_e32 v2, 0x7f, v1
	v_mov_b32_e32 v90, 0x7f800001
	s_mov_b32 s18, exec_lo
	s_delay_alu instid0(VALU_DEP_2)
	v_cmpx_ne_u32_e32 0x7f, v2
	s_cbranch_execz .LBB351_696
; %bb.693:                              ;   in Loop: Header=BB351_15 Depth=1
	v_lshrrev_b32_e32 v6, 3, v2
	v_cmp_gt_u32_e64 s1, 8, v2
	v_mov_b64_e32 v[2:3], v[48:49]
	s_and_saveexec_b32 s19, s1
; %bb.694:                              ;   in Loop: Header=BB351_15 Depth=1
	v_and_b32_e32 v2, 7, v1
	s_delay_alu instid0(VALU_DEP_1) | instskip(NEXT) | instid1(VALU_DEP_1)
	v_clz_i32_u32_e32 v2, v2
	v_min_u32_e32 v6, 32, v2
	s_delay_alu instid0(VALU_DEP_1) | instskip(SKIP_1) | instid1(VALU_DEP_2)
	v_subrev_nc_u32_e32 v2, 28, v6
	v_sub_nc_u32_e32 v6, 29, v6
	v_lshlrev_b64_e32 v[2:3], v2, v[48:49]
; %bb.695:                              ;   in Loop: Header=BB351_15 Depth=1
	s_or_b32 exec_lo, exec_lo, s19
	s_delay_alu instid0(VALU_DEP_1) | instskip(NEXT) | instid1(VALU_DEP_3)
	v_dual_lshlrev_b32 v2, 20, v2 :: v_dual_lshlrev_b32 v3, 24, v48
	v_lshl_add_u32 v6, v6, 23, 0x3c000000
	s_delay_alu instid0(VALU_DEP_2) | instskip(NEXT) | instid1(VALU_DEP_3)
	v_and_b32_e32 v2, 0x700000, v2
	v_and_b32_e32 v3, 0x80000000, v3
	s_delay_alu instid0(VALU_DEP_1)
	v_or3_b32 v90, v2, v3, v6
.LBB351_696:                            ;   in Loop: Header=BB351_15 Depth=1
	s_or_b32 exec_lo, exec_lo, s18
.LBB351_697:                            ;   in Loop: Header=BB351_15 Depth=1
	s_delay_alu instid0(SALU_CYCLE_1)
	s_or_b32 exec_lo, exec_lo, s17
.LBB351_698:                            ;   in Loop: Header=BB351_15 Depth=1
	s_delay_alu instid0(SALU_CYCLE_1) | instskip(SKIP_2) | instid1(VALU_DEP_1)
	s_or_b32 exec_lo, exec_lo, s16
	v_lshrrev_b16 v2, 8, v48
	s_mov_b32 s16, exec_lo
	v_cmpx_ne_u16_e32 0, v2
	s_cbranch_execz .LBB351_706
; %bb.699:                              ;   in Loop: Header=BB351_15 Depth=1
	v_bfrev_b32_e32 v91, 1
	s_mov_b32 s17, exec_lo
	v_cmpx_ne_u16_e32 0x80, v2
	s_cbranch_execz .LBB351_705
; %bb.700:                              ;   in Loop: Header=BB351_15 Depth=1
	v_and_b32_e32 v2, 0xffff, v2
	v_mov_b32_e32 v91, 0x7f800001
	s_mov_b32 s18, exec_lo
	s_delay_alu instid0(VALU_DEP_2) | instskip(NEXT) | instid1(VALU_DEP_1)
	v_and_b32_e32 v7, 0x7f, v2
	v_cmpx_ne_u32_e32 0x7f, v7
	s_cbranch_execz .LBB351_704
; %bb.701:                              ;   in Loop: Header=BB351_15 Depth=1
	v_dual_mov_b32 v3, v49 :: v_dual_bitop2_b32 v2, 7, v2 bitop3:0x40
	v_lshrrev_b32_e32 v6, 3, v7
	s_mov_b32 s19, exec_lo
	v_cmpx_gt_u32_e32 8, v7
; %bb.702:                              ;   in Loop: Header=BB351_15 Depth=1
	s_delay_alu instid0(VALU_DEP_3) | instskip(NEXT) | instid1(VALU_DEP_1)
	v_clz_i32_u32_e32 v6, v2
	v_min_u32_e32 v6, 32, v6
	s_delay_alu instid0(VALU_DEP_1) | instskip(SKIP_1) | instid1(VALU_DEP_2)
	v_subrev_nc_u32_e32 v7, 28, v6
	v_sub_nc_u32_e32 v6, 29, v6
	v_lshlrev_b64_e32 v[2:3], v7, v[2:3]
	s_delay_alu instid0(VALU_DEP_1)
	v_and_b32_e32 v2, 7, v2
; %bb.703:                              ;   in Loop: Header=BB351_15 Depth=1
	s_or_b32 exec_lo, exec_lo, s19
	s_delay_alu instid0(VALU_DEP_1) | instskip(SKIP_1) | instid1(VALU_DEP_2)
	v_dual_lshlrev_b32 v3, 16, v48 :: v_dual_lshlrev_b32 v2, 20, v2
	v_lshl_add_u32 v6, v6, 23, 0x3c000000
	v_and_b32_e32 v3, 0x80000000, v3
	s_delay_alu instid0(VALU_DEP_1)
	v_or3_b32 v91, v2, v3, v6
.LBB351_704:                            ;   in Loop: Header=BB351_15 Depth=1
	s_or_b32 exec_lo, exec_lo, s18
.LBB351_705:                            ;   in Loop: Header=BB351_15 Depth=1
	s_delay_alu instid0(SALU_CYCLE_1)
	s_or_b32 exec_lo, exec_lo, s17
.LBB351_706:                            ;   in Loop: Header=BB351_15 Depth=1
	s_delay_alu instid0(SALU_CYCLE_1) | instskip(SKIP_3) | instid1(VALU_DEP_2)
	s_or_b32 exec_lo, exec_lo, s16
	v_dual_mov_b32 v93, 0 :: v_dual_lshrrev_b32 v6, 16, v1
	v_mov_b32_e32 v92, 0
	s_mov_b32 s16, exec_lo
	v_and_b32_e32 v2, 0xff, v6
	s_delay_alu instid0(VALU_DEP_1)
	v_cmpx_ne_u16_e32 0, v2
	s_cbranch_execz .LBB351_714
; %bb.707:                              ;   in Loop: Header=BB351_15 Depth=1
	v_bfrev_b32_e32 v92, 1
	s_mov_b32 s17, exec_lo
	v_cmpx_ne_u16_e32 0x80, v2
	s_cbranch_execz .LBB351_713
; %bb.708:                              ;   in Loop: Header=BB351_15 Depth=1
	v_bfe_u32 v2, v1, 16, 7
	v_mov_b32_e32 v92, 0x7f800001
	s_mov_b32 s18, exec_lo
	s_delay_alu instid0(VALU_DEP_2)
	v_cmpx_ne_u32_e32 0x7f, v2
	s_cbranch_execz .LBB351_712
; %bb.709:                              ;   in Loop: Header=BB351_15 Depth=1
	v_and_b32_e32 v48, 7, v6
	v_lshrrev_b32_e32 v7, 3, v2
	v_cmp_gt_u32_e64 s1, 8, v2
	s_delay_alu instid0(VALU_DEP_3)
	v_mov_b64_e32 v[2:3], v[48:49]
	s_and_saveexec_b32 s19, s1
; %bb.710:                              ;   in Loop: Header=BB351_15 Depth=1
	v_clz_i32_u32_e32 v2, v48
	s_delay_alu instid0(VALU_DEP_1) | instskip(NEXT) | instid1(VALU_DEP_1)
	v_min_u32_e32 v7, 32, v2
	v_subrev_nc_u32_e32 v2, 28, v7
	s_delay_alu instid0(VALU_DEP_1) | instskip(NEXT) | instid1(VALU_DEP_1)
	v_lshlrev_b64_e32 v[2:3], v2, v[48:49]
	v_dual_sub_nc_u32 v7, 29, v7 :: v_dual_bitop2_b32 v2, 7, v2 bitop3:0x40
; %bb.711:                              ;   in Loop: Header=BB351_15 Depth=1
	s_or_b32 exec_lo, exec_lo, s19
	v_lshlrev_b32_e32 v3, 24, v6
	s_delay_alu instid0(VALU_DEP_2) | instskip(NEXT) | instid1(VALU_DEP_3)
	v_lshlrev_b32_e32 v2, 20, v2
	v_lshl_add_u32 v6, v7, 23, 0x3c000000
	s_delay_alu instid0(VALU_DEP_3) | instskip(NEXT) | instid1(VALU_DEP_1)
	v_and_b32_e32 v3, 0x80000000, v3
	v_or3_b32 v92, v2, v3, v6
.LBB351_712:                            ;   in Loop: Header=BB351_15 Depth=1
	s_or_b32 exec_lo, exec_lo, s18
.LBB351_713:                            ;   in Loop: Header=BB351_15 Depth=1
	s_delay_alu instid0(SALU_CYCLE_1)
	s_or_b32 exec_lo, exec_lo, s17
.LBB351_714:                            ;   in Loop: Header=BB351_15 Depth=1
	s_delay_alu instid0(SALU_CYCLE_1) | instskip(NEXT) | instid1(SALU_CYCLE_1)
	s_or_b32 exec_lo, exec_lo, s16
	s_mov_b32 s16, exec_lo
	v_cmpx_lt_u64_e64 s[8:9], v[0:1]
	s_cbranch_execz .LBB351_722
; %bb.715:                              ;   in Loop: Header=BB351_15 Depth=1
	v_lshrrev_b32_e32 v2, 24, v1
	v_bfrev_b32_e32 v93, 1
	s_mov_b32 s17, exec_lo
	s_delay_alu instid0(VALU_DEP_2)
	v_cmpx_ne_u32_e32 0x80, v2
	s_cbranch_execz .LBB351_721
; %bb.716:                              ;   in Loop: Header=BB351_15 Depth=1
	v_bfe_u32 v0, v1, 24, 7
	v_mov_b32_e32 v93, 0x7f800001
	s_mov_b32 s18, exec_lo
	s_delay_alu instid0(VALU_DEP_2)
	v_cmpx_ne_u32_e32 0x7f, v0
	s_cbranch_execz .LBB351_720
; %bb.717:                              ;   in Loop: Header=BB351_15 Depth=1
	v_dual_lshrrev_b32 v3, 3, v0 :: v_dual_bitop2_b32 v48, 7, v2 bitop3:0x40
	v_cmp_gt_u32_e64 s1, 8, v0
	s_delay_alu instid0(VALU_DEP_2)
	v_mov_b64_e32 v[0:1], v[48:49]
	s_and_saveexec_b32 s19, s1
; %bb.718:                              ;   in Loop: Header=BB351_15 Depth=1
	v_clz_i32_u32_e32 v0, v48
	s_delay_alu instid0(VALU_DEP_1) | instskip(NEXT) | instid1(VALU_DEP_1)
	v_min_u32_e32 v3, 32, v0
	v_subrev_nc_u32_e32 v0, 28, v3
	s_delay_alu instid0(VALU_DEP_1) | instskip(NEXT) | instid1(VALU_DEP_1)
	v_lshlrev_b64_e32 v[0:1], v0, v[48:49]
	v_dual_sub_nc_u32 v3, 29, v3 :: v_dual_bitop2_b32 v0, 7, v0 bitop3:0x40
; %bb.719:                              ;   in Loop: Header=BB351_15 Depth=1
	s_or_b32 exec_lo, exec_lo, s19
	s_delay_alu instid0(VALU_DEP_1) | instskip(NEXT) | instid1(VALU_DEP_2)
	v_dual_lshlrev_b32 v1, 24, v2 :: v_dual_lshlrev_b32 v0, 20, v0
	v_lshl_add_u32 v2, v3, 23, 0x3c000000
	s_delay_alu instid0(VALU_DEP_2) | instskip(NEXT) | instid1(VALU_DEP_1)
	v_and_b32_e32 v1, 0x80000000, v1
	v_or3_b32 v93, v0, v1, v2
.LBB351_720:                            ;   in Loop: Header=BB351_15 Depth=1
	s_or_b32 exec_lo, exec_lo, s18
.LBB351_721:                            ;   in Loop: Header=BB351_15 Depth=1
	s_delay_alu instid0(SALU_CYCLE_1)
	s_or_b32 exec_lo, exec_lo, s17
.LBB351_722:                            ;   in Loop: Header=BB351_15 Depth=1
	s_delay_alu instid0(SALU_CYCLE_1)
	s_or_b32 exec_lo, exec_lo, s16
	flat_load_b64 v[0:1], v[86:87] offset:2568
	v_dual_mov_b32 v95, 0 :: v_dual_mov_b32 v94, 0
	s_mov_b32 s16, exec_lo
	s_wait_loadcnt_dscnt 0x0
	v_and_b32_e32 v2, 0xff, v0
	s_wait_xcnt 0x0
	s_delay_alu instid0(VALU_DEP_1)
	v_cmpx_ne_u16_e32 0, v2
	s_cbranch_execz .LBB351_730
; %bb.723:                              ;   in Loop: Header=BB351_15 Depth=1
	v_bfrev_b32_e32 v94, 1
	s_mov_b32 s17, exec_lo
	v_cmpx_ne_u16_e32 0x80, v2
	s_cbranch_execz .LBB351_729
; %bb.724:                              ;   in Loop: Header=BB351_15 Depth=1
	v_and_b32_e32 v2, 0x7f, v0
	v_mov_b32_e32 v94, 0x7f800001
	s_mov_b32 s18, exec_lo
	s_delay_alu instid0(VALU_DEP_2)
	v_cmpx_ne_u32_e32 0x7f, v2
	s_cbranch_execz .LBB351_728
; %bb.725:                              ;   in Loop: Header=BB351_15 Depth=1
	v_lshrrev_b32_e32 v6, 3, v2
	v_cmp_gt_u32_e64 s1, 8, v2
	v_mov_b64_e32 v[2:3], v[0:1]
	s_and_saveexec_b32 s19, s1
; %bb.726:                              ;   in Loop: Header=BB351_15 Depth=1
	v_and_b32_e32 v2, 7, v0
	s_delay_alu instid0(VALU_DEP_1) | instskip(NEXT) | instid1(VALU_DEP_1)
	v_clz_i32_u32_e32 v2, v2
	v_min_u32_e32 v6, 32, v2
	s_delay_alu instid0(VALU_DEP_1) | instskip(SKIP_1) | instid1(VALU_DEP_2)
	v_subrev_nc_u32_e32 v2, 28, v6
	v_sub_nc_u32_e32 v6, 29, v6
	v_lshlrev_b64_e32 v[2:3], v2, v[0:1]
; %bb.727:                              ;   in Loop: Header=BB351_15 Depth=1
	s_or_b32 exec_lo, exec_lo, s19
	s_delay_alu instid0(VALU_DEP_1) | instskip(NEXT) | instid1(VALU_DEP_3)
	v_dual_lshlrev_b32 v2, 20, v2 :: v_dual_lshlrev_b32 v3, 24, v0
	v_lshl_add_u32 v6, v6, 23, 0x3c000000
	s_delay_alu instid0(VALU_DEP_2) | instskip(NEXT) | instid1(VALU_DEP_3)
	v_and_b32_e32 v2, 0x700000, v2
	v_and_b32_e32 v3, 0x80000000, v3
	s_delay_alu instid0(VALU_DEP_1)
	v_or3_b32 v94, v2, v3, v6
.LBB351_728:                            ;   in Loop: Header=BB351_15 Depth=1
	s_or_b32 exec_lo, exec_lo, s18
.LBB351_729:                            ;   in Loop: Header=BB351_15 Depth=1
	s_delay_alu instid0(SALU_CYCLE_1)
	s_or_b32 exec_lo, exec_lo, s17
.LBB351_730:                            ;   in Loop: Header=BB351_15 Depth=1
	s_delay_alu instid0(SALU_CYCLE_1) | instskip(SKIP_2) | instid1(VALU_DEP_1)
	s_or_b32 exec_lo, exec_lo, s16
	v_lshrrev_b16 v2, 8, v0
	s_mov_b32 s16, exec_lo
	v_cmpx_ne_u16_e32 0, v2
	s_cbranch_execz .LBB351_738
; %bb.731:                              ;   in Loop: Header=BB351_15 Depth=1
	v_bfrev_b32_e32 v95, 1
	s_mov_b32 s17, exec_lo
	v_cmpx_ne_u16_e32 0x80, v2
	s_cbranch_execz .LBB351_737
; %bb.732:                              ;   in Loop: Header=BB351_15 Depth=1
	v_and_b32_e32 v3, 0xffff, v2
	v_mov_b32_e32 v95, 0x7f800001
	s_mov_b32 s18, exec_lo
	s_delay_alu instid0(VALU_DEP_2) | instskip(NEXT) | instid1(VALU_DEP_1)
	v_and_b32_e32 v2, 0x7f, v3
	v_cmpx_ne_u32_e32 0x7f, v2
	s_cbranch_execz .LBB351_736
; %bb.733:                              ;   in Loop: Header=BB351_15 Depth=1
	v_dual_lshrrev_b32 v6, 3, v2 :: v_dual_bitop2_b32 v48, 7, v3 bitop3:0x40
	v_cmp_gt_u32_e64 s1, 8, v2
	s_delay_alu instid0(VALU_DEP_2)
	v_mov_b64_e32 v[2:3], v[48:49]
	s_and_saveexec_b32 s19, s1
; %bb.734:                              ;   in Loop: Header=BB351_15 Depth=1
	v_clz_i32_u32_e32 v2, v48
	s_delay_alu instid0(VALU_DEP_1) | instskip(NEXT) | instid1(VALU_DEP_1)
	v_min_u32_e32 v6, 32, v2
	v_subrev_nc_u32_e32 v2, 28, v6
	v_sub_nc_u32_e32 v6, 29, v6
	s_delay_alu instid0(VALU_DEP_2) | instskip(NEXT) | instid1(VALU_DEP_1)
	v_lshlrev_b64_e32 v[2:3], v2, v[48:49]
	v_and_b32_e32 v2, 7, v2
; %bb.735:                              ;   in Loop: Header=BB351_15 Depth=1
	s_or_b32 exec_lo, exec_lo, s19
	s_delay_alu instid0(VALU_DEP_1) | instskip(SKIP_1) | instid1(VALU_DEP_2)
	v_dual_lshlrev_b32 v3, 16, v0 :: v_dual_lshlrev_b32 v2, 20, v2
	v_lshl_add_u32 v6, v6, 23, 0x3c000000
	v_and_b32_e32 v3, 0x80000000, v3
	s_delay_alu instid0(VALU_DEP_1)
	v_or3_b32 v95, v2, v3, v6
.LBB351_736:                            ;   in Loop: Header=BB351_15 Depth=1
	s_or_b32 exec_lo, exec_lo, s18
.LBB351_737:                            ;   in Loop: Header=BB351_15 Depth=1
	s_delay_alu instid0(SALU_CYCLE_1)
	s_or_b32 exec_lo, exec_lo, s17
.LBB351_738:                            ;   in Loop: Header=BB351_15 Depth=1
	s_delay_alu instid0(SALU_CYCLE_1) | instskip(SKIP_3) | instid1(VALU_DEP_2)
	s_or_b32 exec_lo, exec_lo, s16
	v_dual_mov_b32 v105, 0 :: v_dual_lshrrev_b32 v6, 16, v0
	v_mov_b32_e32 v104, 0
	s_mov_b32 s16, exec_lo
	v_and_b32_e32 v2, 0xff, v6
	s_delay_alu instid0(VALU_DEP_1)
	v_cmpx_ne_u16_e32 0, v2
	s_cbranch_execz .LBB351_746
; %bb.739:                              ;   in Loop: Header=BB351_15 Depth=1
	v_bfrev_b32_e32 v104, 1
	s_mov_b32 s17, exec_lo
	v_cmpx_ne_u16_e32 0x80, v2
	s_cbranch_execz .LBB351_745
; %bb.740:                              ;   in Loop: Header=BB351_15 Depth=1
	v_bfe_u32 v2, v0, 16, 7
	v_mov_b32_e32 v104, 0x7f800001
	s_mov_b32 s18, exec_lo
	s_delay_alu instid0(VALU_DEP_2)
	v_cmpx_ne_u32_e32 0x7f, v2
	s_cbranch_execz .LBB351_744
; %bb.741:                              ;   in Loop: Header=BB351_15 Depth=1
	v_and_b32_e32 v48, 7, v6
	v_lshrrev_b32_e32 v7, 3, v2
	v_cmp_gt_u32_e64 s1, 8, v2
	s_delay_alu instid0(VALU_DEP_3)
	v_mov_b64_e32 v[2:3], v[48:49]
	s_and_saveexec_b32 s19, s1
; %bb.742:                              ;   in Loop: Header=BB351_15 Depth=1
	v_clz_i32_u32_e32 v2, v48
	s_delay_alu instid0(VALU_DEP_1) | instskip(NEXT) | instid1(VALU_DEP_1)
	v_min_u32_e32 v7, 32, v2
	v_subrev_nc_u32_e32 v2, 28, v7
	s_delay_alu instid0(VALU_DEP_1) | instskip(NEXT) | instid1(VALU_DEP_1)
	v_lshlrev_b64_e32 v[2:3], v2, v[48:49]
	v_dual_sub_nc_u32 v7, 29, v7 :: v_dual_bitop2_b32 v2, 7, v2 bitop3:0x40
; %bb.743:                              ;   in Loop: Header=BB351_15 Depth=1
	s_or_b32 exec_lo, exec_lo, s19
	v_lshlrev_b32_e32 v3, 24, v6
	s_delay_alu instid0(VALU_DEP_2) | instskip(NEXT) | instid1(VALU_DEP_3)
	v_lshlrev_b32_e32 v2, 20, v2
	v_lshl_add_u32 v6, v7, 23, 0x3c000000
	s_delay_alu instid0(VALU_DEP_3) | instskip(NEXT) | instid1(VALU_DEP_1)
	v_and_b32_e32 v3, 0x80000000, v3
	v_or3_b32 v104, v2, v3, v6
.LBB351_744:                            ;   in Loop: Header=BB351_15 Depth=1
	s_or_b32 exec_lo, exec_lo, s18
.LBB351_745:                            ;   in Loop: Header=BB351_15 Depth=1
	s_delay_alu instid0(SALU_CYCLE_1)
	s_or_b32 exec_lo, exec_lo, s17
.LBB351_746:                            ;   in Loop: Header=BB351_15 Depth=1
	s_delay_alu instid0(SALU_CYCLE_1) | instskip(NEXT) | instid1(SALU_CYCLE_1)
	s_or_b32 exec_lo, exec_lo, s16
	s_mov_b32 s16, exec_lo
	v_cmpx_lt_u32_e32 0xffffff, v0
	s_cbranch_execz .LBB351_754
; %bb.747:                              ;   in Loop: Header=BB351_15 Depth=1
	v_lshrrev_b32_e32 v6, 24, v0
	v_bfrev_b32_e32 v105, 1
	s_mov_b32 s17, exec_lo
	s_delay_alu instid0(VALU_DEP_2)
	v_cmpx_ne_u32_e32 0x80, v6
	s_cbranch_execz .LBB351_753
; %bb.748:                              ;   in Loop: Header=BB351_15 Depth=1
	v_bfe_u32 v2, v0, 24, 7
	v_mov_b32_e32 v105, 0x7f800001
	s_mov_b32 s18, exec_lo
	s_delay_alu instid0(VALU_DEP_2)
	v_cmpx_ne_u32_e32 0x7f, v2
	s_cbranch_execz .LBB351_752
; %bb.749:                              ;   in Loop: Header=BB351_15 Depth=1
	v_and_b32_e32 v48, 7, v6
	v_lshrrev_b32_e32 v7, 3, v2
	v_cmp_gt_u32_e64 s1, 8, v2
	s_delay_alu instid0(VALU_DEP_3)
	v_mov_b64_e32 v[2:3], v[48:49]
	s_and_saveexec_b32 s19, s1
; %bb.750:                              ;   in Loop: Header=BB351_15 Depth=1
	v_clz_i32_u32_e32 v2, v48
	s_delay_alu instid0(VALU_DEP_1) | instskip(NEXT) | instid1(VALU_DEP_1)
	v_min_u32_e32 v7, 32, v2
	v_subrev_nc_u32_e32 v2, 28, v7
	s_delay_alu instid0(VALU_DEP_1) | instskip(NEXT) | instid1(VALU_DEP_1)
	v_lshlrev_b64_e32 v[2:3], v2, v[48:49]
	v_dual_sub_nc_u32 v7, 29, v7 :: v_dual_bitop2_b32 v2, 7, v2 bitop3:0x40
; %bb.751:                              ;   in Loop: Header=BB351_15 Depth=1
	s_or_b32 exec_lo, exec_lo, s19
	v_lshlrev_b32_e32 v3, 24, v6
	s_delay_alu instid0(VALU_DEP_2) | instskip(NEXT) | instid1(VALU_DEP_3)
	v_lshlrev_b32_e32 v2, 20, v2
	v_lshl_add_u32 v6, v7, 23, 0x3c000000
	s_delay_alu instid0(VALU_DEP_3) | instskip(NEXT) | instid1(VALU_DEP_1)
	v_and_b32_e32 v3, 0x80000000, v3
	v_or3_b32 v105, v2, v3, v6
.LBB351_752:                            ;   in Loop: Header=BB351_15 Depth=1
	s_or_b32 exec_lo, exec_lo, s18
.LBB351_753:                            ;   in Loop: Header=BB351_15 Depth=1
	s_delay_alu instid0(SALU_CYCLE_1)
	s_or_b32 exec_lo, exec_lo, s17
.LBB351_754:                            ;   in Loop: Header=BB351_15 Depth=1
	s_delay_alu instid0(SALU_CYCLE_1) | instskip(SKIP_4) | instid1(VALU_DEP_3)
	s_or_b32 exec_lo, exec_lo, s16
	v_and_b32_e32 v2, 0xff, v1
	v_dual_mov_b32 v48, v1 :: v_dual_mov_b32 v107, 0
	v_mov_b32_e32 v106, 0
	s_mov_b32 s16, exec_lo
	v_cmpx_ne_u16_e32 0, v2
	s_cbranch_execz .LBB351_762
; %bb.755:                              ;   in Loop: Header=BB351_15 Depth=1
	v_bfrev_b32_e32 v106, 1
	s_mov_b32 s17, exec_lo
	v_cmpx_ne_u16_e32 0x80, v2
	s_cbranch_execz .LBB351_761
; %bb.756:                              ;   in Loop: Header=BB351_15 Depth=1
	v_and_b32_e32 v2, 0x7f, v1
	v_mov_b32_e32 v106, 0x7f800001
	s_mov_b32 s18, exec_lo
	s_delay_alu instid0(VALU_DEP_2)
	v_cmpx_ne_u32_e32 0x7f, v2
	s_cbranch_execz .LBB351_760
; %bb.757:                              ;   in Loop: Header=BB351_15 Depth=1
	v_lshrrev_b32_e32 v6, 3, v2
	v_cmp_gt_u32_e64 s1, 8, v2
	v_mov_b64_e32 v[2:3], v[48:49]
	s_and_saveexec_b32 s19, s1
; %bb.758:                              ;   in Loop: Header=BB351_15 Depth=1
	v_and_b32_e32 v2, 7, v1
	s_delay_alu instid0(VALU_DEP_1) | instskip(NEXT) | instid1(VALU_DEP_1)
	v_clz_i32_u32_e32 v2, v2
	v_min_u32_e32 v6, 32, v2
	s_delay_alu instid0(VALU_DEP_1) | instskip(SKIP_1) | instid1(VALU_DEP_2)
	v_subrev_nc_u32_e32 v2, 28, v6
	v_sub_nc_u32_e32 v6, 29, v6
	v_lshlrev_b64_e32 v[2:3], v2, v[48:49]
; %bb.759:                              ;   in Loop: Header=BB351_15 Depth=1
	s_or_b32 exec_lo, exec_lo, s19
	s_delay_alu instid0(VALU_DEP_1) | instskip(NEXT) | instid1(VALU_DEP_3)
	v_dual_lshlrev_b32 v2, 20, v2 :: v_dual_lshlrev_b32 v3, 24, v48
	v_lshl_add_u32 v6, v6, 23, 0x3c000000
	s_delay_alu instid0(VALU_DEP_2) | instskip(NEXT) | instid1(VALU_DEP_3)
	v_and_b32_e32 v2, 0x700000, v2
	v_and_b32_e32 v3, 0x80000000, v3
	s_delay_alu instid0(VALU_DEP_1)
	v_or3_b32 v106, v2, v3, v6
.LBB351_760:                            ;   in Loop: Header=BB351_15 Depth=1
	s_or_b32 exec_lo, exec_lo, s18
.LBB351_761:                            ;   in Loop: Header=BB351_15 Depth=1
	s_delay_alu instid0(SALU_CYCLE_1)
	s_or_b32 exec_lo, exec_lo, s17
.LBB351_762:                            ;   in Loop: Header=BB351_15 Depth=1
	s_delay_alu instid0(SALU_CYCLE_1) | instskip(SKIP_2) | instid1(VALU_DEP_1)
	s_or_b32 exec_lo, exec_lo, s16
	v_lshrrev_b16 v2, 8, v48
	s_mov_b32 s16, exec_lo
	v_cmpx_ne_u16_e32 0, v2
	s_cbranch_execz .LBB351_770
; %bb.763:                              ;   in Loop: Header=BB351_15 Depth=1
	v_bfrev_b32_e32 v107, 1
	s_mov_b32 s17, exec_lo
	v_cmpx_ne_u16_e32 0x80, v2
	s_cbranch_execz .LBB351_769
; %bb.764:                              ;   in Loop: Header=BB351_15 Depth=1
	v_and_b32_e32 v2, 0xffff, v2
	v_mov_b32_e32 v107, 0x7f800001
	s_mov_b32 s18, exec_lo
	s_delay_alu instid0(VALU_DEP_2) | instskip(NEXT) | instid1(VALU_DEP_1)
	v_and_b32_e32 v7, 0x7f, v2
	v_cmpx_ne_u32_e32 0x7f, v7
	s_cbranch_execz .LBB351_768
; %bb.765:                              ;   in Loop: Header=BB351_15 Depth=1
	v_dual_mov_b32 v3, v49 :: v_dual_bitop2_b32 v2, 7, v2 bitop3:0x40
	v_lshrrev_b32_e32 v6, 3, v7
	s_mov_b32 s19, exec_lo
	v_cmpx_gt_u32_e32 8, v7
; %bb.766:                              ;   in Loop: Header=BB351_15 Depth=1
	s_delay_alu instid0(VALU_DEP_3) | instskip(NEXT) | instid1(VALU_DEP_1)
	v_clz_i32_u32_e32 v6, v2
	v_min_u32_e32 v6, 32, v6
	s_delay_alu instid0(VALU_DEP_1) | instskip(SKIP_1) | instid1(VALU_DEP_2)
	v_subrev_nc_u32_e32 v7, 28, v6
	v_sub_nc_u32_e32 v6, 29, v6
	v_lshlrev_b64_e32 v[2:3], v7, v[2:3]
	s_delay_alu instid0(VALU_DEP_1)
	v_and_b32_e32 v2, 7, v2
; %bb.767:                              ;   in Loop: Header=BB351_15 Depth=1
	s_or_b32 exec_lo, exec_lo, s19
	s_delay_alu instid0(VALU_DEP_1) | instskip(SKIP_1) | instid1(VALU_DEP_2)
	v_dual_lshlrev_b32 v3, 16, v48 :: v_dual_lshlrev_b32 v2, 20, v2
	v_lshl_add_u32 v6, v6, 23, 0x3c000000
	v_and_b32_e32 v3, 0x80000000, v3
	s_delay_alu instid0(VALU_DEP_1)
	v_or3_b32 v107, v2, v3, v6
.LBB351_768:                            ;   in Loop: Header=BB351_15 Depth=1
	s_or_b32 exec_lo, exec_lo, s18
.LBB351_769:                            ;   in Loop: Header=BB351_15 Depth=1
	s_delay_alu instid0(SALU_CYCLE_1)
	s_or_b32 exec_lo, exec_lo, s17
.LBB351_770:                            ;   in Loop: Header=BB351_15 Depth=1
	s_delay_alu instid0(SALU_CYCLE_1) | instskip(SKIP_3) | instid1(VALU_DEP_2)
	s_or_b32 exec_lo, exec_lo, s16
	v_dual_mov_b32 v109, 0 :: v_dual_lshrrev_b32 v6, 16, v1
	v_mov_b32_e32 v108, 0
	s_mov_b32 s16, exec_lo
	v_and_b32_e32 v2, 0xff, v6
	s_delay_alu instid0(VALU_DEP_1)
	v_cmpx_ne_u16_e32 0, v2
	s_cbranch_execz .LBB351_778
; %bb.771:                              ;   in Loop: Header=BB351_15 Depth=1
	v_bfrev_b32_e32 v108, 1
	s_mov_b32 s17, exec_lo
	v_cmpx_ne_u16_e32 0x80, v2
	s_cbranch_execz .LBB351_777
; %bb.772:                              ;   in Loop: Header=BB351_15 Depth=1
	v_bfe_u32 v2, v1, 16, 7
	v_mov_b32_e32 v108, 0x7f800001
	s_mov_b32 s18, exec_lo
	s_delay_alu instid0(VALU_DEP_2)
	v_cmpx_ne_u32_e32 0x7f, v2
	s_cbranch_execz .LBB351_776
; %bb.773:                              ;   in Loop: Header=BB351_15 Depth=1
	v_and_b32_e32 v48, 7, v6
	v_lshrrev_b32_e32 v7, 3, v2
	v_cmp_gt_u32_e64 s1, 8, v2
	s_delay_alu instid0(VALU_DEP_3)
	v_mov_b64_e32 v[2:3], v[48:49]
	s_and_saveexec_b32 s19, s1
; %bb.774:                              ;   in Loop: Header=BB351_15 Depth=1
	v_clz_i32_u32_e32 v2, v48
	s_delay_alu instid0(VALU_DEP_1) | instskip(NEXT) | instid1(VALU_DEP_1)
	v_min_u32_e32 v7, 32, v2
	v_subrev_nc_u32_e32 v2, 28, v7
	s_delay_alu instid0(VALU_DEP_1) | instskip(NEXT) | instid1(VALU_DEP_1)
	v_lshlrev_b64_e32 v[2:3], v2, v[48:49]
	v_dual_sub_nc_u32 v7, 29, v7 :: v_dual_bitop2_b32 v2, 7, v2 bitop3:0x40
; %bb.775:                              ;   in Loop: Header=BB351_15 Depth=1
	s_or_b32 exec_lo, exec_lo, s19
	v_lshlrev_b32_e32 v3, 24, v6
	s_delay_alu instid0(VALU_DEP_2) | instskip(NEXT) | instid1(VALU_DEP_3)
	v_lshlrev_b32_e32 v2, 20, v2
	v_lshl_add_u32 v6, v7, 23, 0x3c000000
	s_delay_alu instid0(VALU_DEP_3) | instskip(NEXT) | instid1(VALU_DEP_1)
	v_and_b32_e32 v3, 0x80000000, v3
	v_or3_b32 v108, v2, v3, v6
.LBB351_776:                            ;   in Loop: Header=BB351_15 Depth=1
	s_or_b32 exec_lo, exec_lo, s18
.LBB351_777:                            ;   in Loop: Header=BB351_15 Depth=1
	s_delay_alu instid0(SALU_CYCLE_1)
	s_or_b32 exec_lo, exec_lo, s17
.LBB351_778:                            ;   in Loop: Header=BB351_15 Depth=1
	s_delay_alu instid0(SALU_CYCLE_1) | instskip(NEXT) | instid1(SALU_CYCLE_1)
	s_or_b32 exec_lo, exec_lo, s16
	s_mov_b32 s16, exec_lo
	v_cmpx_lt_u64_e64 s[8:9], v[0:1]
	s_cbranch_execz .LBB351_786
; %bb.779:                              ;   in Loop: Header=BB351_15 Depth=1
	v_lshrrev_b32_e32 v2, 24, v1
	v_bfrev_b32_e32 v109, 1
	s_mov_b32 s17, exec_lo
	s_delay_alu instid0(VALU_DEP_2)
	v_cmpx_ne_u32_e32 0x80, v2
	s_cbranch_execz .LBB351_785
; %bb.780:                              ;   in Loop: Header=BB351_15 Depth=1
	v_bfe_u32 v0, v1, 24, 7
	v_mov_b32_e32 v109, 0x7f800001
	s_mov_b32 s18, exec_lo
	s_delay_alu instid0(VALU_DEP_2)
	v_cmpx_ne_u32_e32 0x7f, v0
	s_cbranch_execz .LBB351_784
; %bb.781:                              ;   in Loop: Header=BB351_15 Depth=1
	v_dual_lshrrev_b32 v3, 3, v0 :: v_dual_bitop2_b32 v48, 7, v2 bitop3:0x40
	v_cmp_gt_u32_e64 s1, 8, v0
	s_delay_alu instid0(VALU_DEP_2)
	v_mov_b64_e32 v[0:1], v[48:49]
	s_and_saveexec_b32 s19, s1
; %bb.782:                              ;   in Loop: Header=BB351_15 Depth=1
	v_clz_i32_u32_e32 v0, v48
	s_delay_alu instid0(VALU_DEP_1) | instskip(NEXT) | instid1(VALU_DEP_1)
	v_min_u32_e32 v3, 32, v0
	v_subrev_nc_u32_e32 v0, 28, v3
	s_delay_alu instid0(VALU_DEP_1) | instskip(NEXT) | instid1(VALU_DEP_1)
	v_lshlrev_b64_e32 v[0:1], v0, v[48:49]
	v_dual_sub_nc_u32 v3, 29, v3 :: v_dual_bitop2_b32 v0, 7, v0 bitop3:0x40
; %bb.783:                              ;   in Loop: Header=BB351_15 Depth=1
	s_or_b32 exec_lo, exec_lo, s19
	s_delay_alu instid0(VALU_DEP_1) | instskip(NEXT) | instid1(VALU_DEP_2)
	v_dual_lshlrev_b32 v1, 24, v2 :: v_dual_lshlrev_b32 v0, 20, v0
	v_lshl_add_u32 v2, v3, 23, 0x3c000000
	s_delay_alu instid0(VALU_DEP_2) | instskip(NEXT) | instid1(VALU_DEP_1)
	v_and_b32_e32 v1, 0x80000000, v1
	v_or3_b32 v109, v0, v1, v2
.LBB351_784:                            ;   in Loop: Header=BB351_15 Depth=1
	s_or_b32 exec_lo, exec_lo, s18
.LBB351_785:                            ;   in Loop: Header=BB351_15 Depth=1
	s_delay_alu instid0(SALU_CYCLE_1)
	s_or_b32 exec_lo, exec_lo, s17
.LBB351_786:                            ;   in Loop: Header=BB351_15 Depth=1
	s_delay_alu instid0(SALU_CYCLE_1)
	s_or_b32 exec_lo, exec_lo, s16
	flat_load_b64 v[0:1], v[86:87] offset:3072
	v_dual_mov_b32 v111, 0 :: v_dual_mov_b32 v110, 0
	s_mov_b32 s16, exec_lo
	s_wait_loadcnt_dscnt 0x0
	v_and_b32_e32 v2, 0xff, v0
	s_wait_xcnt 0x0
	s_delay_alu instid0(VALU_DEP_1)
	v_cmpx_ne_u16_e32 0, v2
	s_cbranch_execz .LBB351_794
; %bb.787:                              ;   in Loop: Header=BB351_15 Depth=1
	v_bfrev_b32_e32 v110, 1
	s_mov_b32 s17, exec_lo
	v_cmpx_ne_u16_e32 0x80, v2
	s_cbranch_execz .LBB351_793
; %bb.788:                              ;   in Loop: Header=BB351_15 Depth=1
	v_and_b32_e32 v2, 0x7f, v0
	v_mov_b32_e32 v110, 0x7f800001
	s_mov_b32 s18, exec_lo
	s_delay_alu instid0(VALU_DEP_2)
	v_cmpx_ne_u32_e32 0x7f, v2
	s_cbranch_execz .LBB351_792
; %bb.789:                              ;   in Loop: Header=BB351_15 Depth=1
	v_lshrrev_b32_e32 v6, 3, v2
	v_cmp_gt_u32_e64 s1, 8, v2
	v_mov_b64_e32 v[2:3], v[0:1]
	s_and_saveexec_b32 s19, s1
; %bb.790:                              ;   in Loop: Header=BB351_15 Depth=1
	v_and_b32_e32 v2, 7, v0
	s_delay_alu instid0(VALU_DEP_1) | instskip(NEXT) | instid1(VALU_DEP_1)
	v_clz_i32_u32_e32 v2, v2
	v_min_u32_e32 v6, 32, v2
	s_delay_alu instid0(VALU_DEP_1) | instskip(SKIP_1) | instid1(VALU_DEP_2)
	v_subrev_nc_u32_e32 v2, 28, v6
	v_sub_nc_u32_e32 v6, 29, v6
	v_lshlrev_b64_e32 v[2:3], v2, v[0:1]
; %bb.791:                              ;   in Loop: Header=BB351_15 Depth=1
	s_or_b32 exec_lo, exec_lo, s19
	s_delay_alu instid0(VALU_DEP_1) | instskip(NEXT) | instid1(VALU_DEP_3)
	v_dual_lshlrev_b32 v2, 20, v2 :: v_dual_lshlrev_b32 v3, 24, v0
	v_lshl_add_u32 v6, v6, 23, 0x3c000000
	s_delay_alu instid0(VALU_DEP_2) | instskip(NEXT) | instid1(VALU_DEP_3)
	v_and_b32_e32 v2, 0x700000, v2
	v_and_b32_e32 v3, 0x80000000, v3
	s_delay_alu instid0(VALU_DEP_1)
	v_or3_b32 v110, v2, v3, v6
.LBB351_792:                            ;   in Loop: Header=BB351_15 Depth=1
	s_or_b32 exec_lo, exec_lo, s18
.LBB351_793:                            ;   in Loop: Header=BB351_15 Depth=1
	s_delay_alu instid0(SALU_CYCLE_1)
	s_or_b32 exec_lo, exec_lo, s17
.LBB351_794:                            ;   in Loop: Header=BB351_15 Depth=1
	s_delay_alu instid0(SALU_CYCLE_1) | instskip(SKIP_2) | instid1(VALU_DEP_1)
	s_or_b32 exec_lo, exec_lo, s16
	v_lshrrev_b16 v2, 8, v0
	s_mov_b32 s16, exec_lo
	v_cmpx_ne_u16_e32 0, v2
	s_cbranch_execz .LBB351_802
; %bb.795:                              ;   in Loop: Header=BB351_15 Depth=1
	v_bfrev_b32_e32 v111, 1
	s_mov_b32 s17, exec_lo
	v_cmpx_ne_u16_e32 0x80, v2
	s_cbranch_execz .LBB351_801
; %bb.796:                              ;   in Loop: Header=BB351_15 Depth=1
	v_and_b32_e32 v3, 0xffff, v2
	v_mov_b32_e32 v111, 0x7f800001
	s_mov_b32 s18, exec_lo
	s_delay_alu instid0(VALU_DEP_2) | instskip(NEXT) | instid1(VALU_DEP_1)
	v_and_b32_e32 v2, 0x7f, v3
	v_cmpx_ne_u32_e32 0x7f, v2
	s_cbranch_execz .LBB351_800
; %bb.797:                              ;   in Loop: Header=BB351_15 Depth=1
	v_dual_lshrrev_b32 v6, 3, v2 :: v_dual_bitop2_b32 v48, 7, v3 bitop3:0x40
	v_cmp_gt_u32_e64 s1, 8, v2
	s_delay_alu instid0(VALU_DEP_2)
	v_mov_b64_e32 v[2:3], v[48:49]
	s_and_saveexec_b32 s19, s1
; %bb.798:                              ;   in Loop: Header=BB351_15 Depth=1
	v_clz_i32_u32_e32 v2, v48
	s_delay_alu instid0(VALU_DEP_1) | instskip(NEXT) | instid1(VALU_DEP_1)
	v_min_u32_e32 v6, 32, v2
	v_subrev_nc_u32_e32 v2, 28, v6
	v_sub_nc_u32_e32 v6, 29, v6
	s_delay_alu instid0(VALU_DEP_2) | instskip(NEXT) | instid1(VALU_DEP_1)
	v_lshlrev_b64_e32 v[2:3], v2, v[48:49]
	v_and_b32_e32 v2, 7, v2
; %bb.799:                              ;   in Loop: Header=BB351_15 Depth=1
	s_or_b32 exec_lo, exec_lo, s19
	s_delay_alu instid0(VALU_DEP_1) | instskip(SKIP_1) | instid1(VALU_DEP_2)
	v_dual_lshlrev_b32 v3, 16, v0 :: v_dual_lshlrev_b32 v2, 20, v2
	v_lshl_add_u32 v6, v6, 23, 0x3c000000
	v_and_b32_e32 v3, 0x80000000, v3
	s_delay_alu instid0(VALU_DEP_1)
	v_or3_b32 v111, v2, v3, v6
.LBB351_800:                            ;   in Loop: Header=BB351_15 Depth=1
	s_or_b32 exec_lo, exec_lo, s18
.LBB351_801:                            ;   in Loop: Header=BB351_15 Depth=1
	s_delay_alu instid0(SALU_CYCLE_1)
	s_or_b32 exec_lo, exec_lo, s17
.LBB351_802:                            ;   in Loop: Header=BB351_15 Depth=1
	s_delay_alu instid0(SALU_CYCLE_1) | instskip(SKIP_3) | instid1(VALU_DEP_2)
	s_or_b32 exec_lo, exec_lo, s16
	v_dual_mov_b32 v121, 0 :: v_dual_lshrrev_b32 v6, 16, v0
	v_mov_b32_e32 v120, 0
	s_mov_b32 s16, exec_lo
	v_and_b32_e32 v2, 0xff, v6
	s_delay_alu instid0(VALU_DEP_1)
	v_cmpx_ne_u16_e32 0, v2
	s_cbranch_execz .LBB351_810
; %bb.803:                              ;   in Loop: Header=BB351_15 Depth=1
	v_bfrev_b32_e32 v120, 1
	s_mov_b32 s17, exec_lo
	v_cmpx_ne_u16_e32 0x80, v2
	s_cbranch_execz .LBB351_809
; %bb.804:                              ;   in Loop: Header=BB351_15 Depth=1
	v_bfe_u32 v2, v0, 16, 7
	v_mov_b32_e32 v120, 0x7f800001
	s_mov_b32 s18, exec_lo
	s_delay_alu instid0(VALU_DEP_2)
	v_cmpx_ne_u32_e32 0x7f, v2
	s_cbranch_execz .LBB351_808
; %bb.805:                              ;   in Loop: Header=BB351_15 Depth=1
	v_and_b32_e32 v48, 7, v6
	v_lshrrev_b32_e32 v7, 3, v2
	v_cmp_gt_u32_e64 s1, 8, v2
	s_delay_alu instid0(VALU_DEP_3)
	v_mov_b64_e32 v[2:3], v[48:49]
	s_and_saveexec_b32 s19, s1
; %bb.806:                              ;   in Loop: Header=BB351_15 Depth=1
	v_clz_i32_u32_e32 v2, v48
	s_delay_alu instid0(VALU_DEP_1) | instskip(NEXT) | instid1(VALU_DEP_1)
	v_min_u32_e32 v7, 32, v2
	v_subrev_nc_u32_e32 v2, 28, v7
	s_delay_alu instid0(VALU_DEP_1) | instskip(NEXT) | instid1(VALU_DEP_1)
	v_lshlrev_b64_e32 v[2:3], v2, v[48:49]
	v_dual_sub_nc_u32 v7, 29, v7 :: v_dual_bitop2_b32 v2, 7, v2 bitop3:0x40
; %bb.807:                              ;   in Loop: Header=BB351_15 Depth=1
	s_or_b32 exec_lo, exec_lo, s19
	v_lshlrev_b32_e32 v3, 24, v6
	s_delay_alu instid0(VALU_DEP_2) | instskip(NEXT) | instid1(VALU_DEP_3)
	v_lshlrev_b32_e32 v2, 20, v2
	v_lshl_add_u32 v6, v7, 23, 0x3c000000
	s_delay_alu instid0(VALU_DEP_3) | instskip(NEXT) | instid1(VALU_DEP_1)
	v_and_b32_e32 v3, 0x80000000, v3
	v_or3_b32 v120, v2, v3, v6
.LBB351_808:                            ;   in Loop: Header=BB351_15 Depth=1
	s_or_b32 exec_lo, exec_lo, s18
.LBB351_809:                            ;   in Loop: Header=BB351_15 Depth=1
	s_delay_alu instid0(SALU_CYCLE_1)
	s_or_b32 exec_lo, exec_lo, s17
.LBB351_810:                            ;   in Loop: Header=BB351_15 Depth=1
	s_delay_alu instid0(SALU_CYCLE_1) | instskip(NEXT) | instid1(SALU_CYCLE_1)
	s_or_b32 exec_lo, exec_lo, s16
	s_mov_b32 s16, exec_lo
	v_cmpx_lt_u32_e32 0xffffff, v0
	s_cbranch_execz .LBB351_818
; %bb.811:                              ;   in Loop: Header=BB351_15 Depth=1
	v_lshrrev_b32_e32 v6, 24, v0
	v_bfrev_b32_e32 v121, 1
	s_mov_b32 s17, exec_lo
	s_delay_alu instid0(VALU_DEP_2)
	v_cmpx_ne_u32_e32 0x80, v6
	s_cbranch_execz .LBB351_817
; %bb.812:                              ;   in Loop: Header=BB351_15 Depth=1
	v_bfe_u32 v2, v0, 24, 7
	v_mov_b32_e32 v121, 0x7f800001
	s_mov_b32 s18, exec_lo
	s_delay_alu instid0(VALU_DEP_2)
	v_cmpx_ne_u32_e32 0x7f, v2
	s_cbranch_execz .LBB351_816
; %bb.813:                              ;   in Loop: Header=BB351_15 Depth=1
	v_and_b32_e32 v48, 7, v6
	v_lshrrev_b32_e32 v7, 3, v2
	v_cmp_gt_u32_e64 s1, 8, v2
	s_delay_alu instid0(VALU_DEP_3)
	v_mov_b64_e32 v[2:3], v[48:49]
	s_and_saveexec_b32 s19, s1
; %bb.814:                              ;   in Loop: Header=BB351_15 Depth=1
	v_clz_i32_u32_e32 v2, v48
	s_delay_alu instid0(VALU_DEP_1) | instskip(NEXT) | instid1(VALU_DEP_1)
	v_min_u32_e32 v7, 32, v2
	v_subrev_nc_u32_e32 v2, 28, v7
	s_delay_alu instid0(VALU_DEP_1) | instskip(NEXT) | instid1(VALU_DEP_1)
	v_lshlrev_b64_e32 v[2:3], v2, v[48:49]
	v_dual_sub_nc_u32 v7, 29, v7 :: v_dual_bitop2_b32 v2, 7, v2 bitop3:0x40
; %bb.815:                              ;   in Loop: Header=BB351_15 Depth=1
	s_or_b32 exec_lo, exec_lo, s19
	v_lshlrev_b32_e32 v3, 24, v6
	s_delay_alu instid0(VALU_DEP_2) | instskip(NEXT) | instid1(VALU_DEP_3)
	v_lshlrev_b32_e32 v2, 20, v2
	v_lshl_add_u32 v6, v7, 23, 0x3c000000
	s_delay_alu instid0(VALU_DEP_3) | instskip(NEXT) | instid1(VALU_DEP_1)
	v_and_b32_e32 v3, 0x80000000, v3
	v_or3_b32 v121, v2, v3, v6
.LBB351_816:                            ;   in Loop: Header=BB351_15 Depth=1
	s_or_b32 exec_lo, exec_lo, s18
.LBB351_817:                            ;   in Loop: Header=BB351_15 Depth=1
	s_delay_alu instid0(SALU_CYCLE_1)
	s_or_b32 exec_lo, exec_lo, s17
.LBB351_818:                            ;   in Loop: Header=BB351_15 Depth=1
	s_delay_alu instid0(SALU_CYCLE_1) | instskip(SKIP_4) | instid1(VALU_DEP_3)
	s_or_b32 exec_lo, exec_lo, s16
	v_and_b32_e32 v2, 0xff, v1
	v_dual_mov_b32 v48, v1 :: v_dual_mov_b32 v123, 0
	v_mov_b32_e32 v122, 0
	s_mov_b32 s16, exec_lo
	v_cmpx_ne_u16_e32 0, v2
	s_cbranch_execz .LBB351_826
; %bb.819:                              ;   in Loop: Header=BB351_15 Depth=1
	v_bfrev_b32_e32 v122, 1
	s_mov_b32 s17, exec_lo
	v_cmpx_ne_u16_e32 0x80, v2
	s_cbranch_execz .LBB351_825
; %bb.820:                              ;   in Loop: Header=BB351_15 Depth=1
	v_and_b32_e32 v2, 0x7f, v1
	v_mov_b32_e32 v122, 0x7f800001
	s_mov_b32 s18, exec_lo
	s_delay_alu instid0(VALU_DEP_2)
	v_cmpx_ne_u32_e32 0x7f, v2
	s_cbranch_execz .LBB351_824
; %bb.821:                              ;   in Loop: Header=BB351_15 Depth=1
	v_lshrrev_b32_e32 v6, 3, v2
	v_cmp_gt_u32_e64 s1, 8, v2
	v_mov_b64_e32 v[2:3], v[48:49]
	s_and_saveexec_b32 s19, s1
; %bb.822:                              ;   in Loop: Header=BB351_15 Depth=1
	v_and_b32_e32 v2, 7, v1
	s_delay_alu instid0(VALU_DEP_1) | instskip(NEXT) | instid1(VALU_DEP_1)
	v_clz_i32_u32_e32 v2, v2
	v_min_u32_e32 v6, 32, v2
	s_delay_alu instid0(VALU_DEP_1) | instskip(SKIP_1) | instid1(VALU_DEP_2)
	v_subrev_nc_u32_e32 v2, 28, v6
	v_sub_nc_u32_e32 v6, 29, v6
	v_lshlrev_b64_e32 v[2:3], v2, v[48:49]
; %bb.823:                              ;   in Loop: Header=BB351_15 Depth=1
	s_or_b32 exec_lo, exec_lo, s19
	s_delay_alu instid0(VALU_DEP_1) | instskip(NEXT) | instid1(VALU_DEP_3)
	v_dual_lshlrev_b32 v2, 20, v2 :: v_dual_lshlrev_b32 v3, 24, v48
	v_lshl_add_u32 v6, v6, 23, 0x3c000000
	s_delay_alu instid0(VALU_DEP_2) | instskip(NEXT) | instid1(VALU_DEP_3)
	v_and_b32_e32 v2, 0x700000, v2
	v_and_b32_e32 v3, 0x80000000, v3
	s_delay_alu instid0(VALU_DEP_1)
	v_or3_b32 v122, v2, v3, v6
.LBB351_824:                            ;   in Loop: Header=BB351_15 Depth=1
	s_or_b32 exec_lo, exec_lo, s18
.LBB351_825:                            ;   in Loop: Header=BB351_15 Depth=1
	s_delay_alu instid0(SALU_CYCLE_1)
	s_or_b32 exec_lo, exec_lo, s17
.LBB351_826:                            ;   in Loop: Header=BB351_15 Depth=1
	s_delay_alu instid0(SALU_CYCLE_1) | instskip(SKIP_2) | instid1(VALU_DEP_1)
	s_or_b32 exec_lo, exec_lo, s16
	v_lshrrev_b16 v2, 8, v48
	s_mov_b32 s16, exec_lo
	v_cmpx_ne_u16_e32 0, v2
	s_cbranch_execz .LBB351_834
; %bb.827:                              ;   in Loop: Header=BB351_15 Depth=1
	v_bfrev_b32_e32 v123, 1
	s_mov_b32 s17, exec_lo
	v_cmpx_ne_u16_e32 0x80, v2
	s_cbranch_execz .LBB351_833
; %bb.828:                              ;   in Loop: Header=BB351_15 Depth=1
	v_and_b32_e32 v2, 0xffff, v2
	v_mov_b32_e32 v123, 0x7f800001
	s_mov_b32 s18, exec_lo
	s_delay_alu instid0(VALU_DEP_2) | instskip(NEXT) | instid1(VALU_DEP_1)
	v_and_b32_e32 v7, 0x7f, v2
	v_cmpx_ne_u32_e32 0x7f, v7
	s_cbranch_execz .LBB351_832
; %bb.829:                              ;   in Loop: Header=BB351_15 Depth=1
	v_dual_mov_b32 v3, v49 :: v_dual_bitop2_b32 v2, 7, v2 bitop3:0x40
	v_lshrrev_b32_e32 v6, 3, v7
	s_mov_b32 s19, exec_lo
	v_cmpx_gt_u32_e32 8, v7
; %bb.830:                              ;   in Loop: Header=BB351_15 Depth=1
	s_delay_alu instid0(VALU_DEP_3) | instskip(NEXT) | instid1(VALU_DEP_1)
	v_clz_i32_u32_e32 v6, v2
	v_min_u32_e32 v6, 32, v6
	s_delay_alu instid0(VALU_DEP_1) | instskip(SKIP_1) | instid1(VALU_DEP_2)
	v_subrev_nc_u32_e32 v7, 28, v6
	v_sub_nc_u32_e32 v6, 29, v6
	v_lshlrev_b64_e32 v[2:3], v7, v[2:3]
	s_delay_alu instid0(VALU_DEP_1)
	v_and_b32_e32 v2, 7, v2
; %bb.831:                              ;   in Loop: Header=BB351_15 Depth=1
	s_or_b32 exec_lo, exec_lo, s19
	s_delay_alu instid0(VALU_DEP_1) | instskip(SKIP_1) | instid1(VALU_DEP_2)
	v_dual_lshlrev_b32 v3, 16, v48 :: v_dual_lshlrev_b32 v2, 20, v2
	v_lshl_add_u32 v6, v6, 23, 0x3c000000
	v_and_b32_e32 v3, 0x80000000, v3
	s_delay_alu instid0(VALU_DEP_1)
	v_or3_b32 v123, v2, v3, v6
.LBB351_832:                            ;   in Loop: Header=BB351_15 Depth=1
	s_or_b32 exec_lo, exec_lo, s18
.LBB351_833:                            ;   in Loop: Header=BB351_15 Depth=1
	s_delay_alu instid0(SALU_CYCLE_1)
	s_or_b32 exec_lo, exec_lo, s17
.LBB351_834:                            ;   in Loop: Header=BB351_15 Depth=1
	s_delay_alu instid0(SALU_CYCLE_1) | instskip(SKIP_3) | instid1(VALU_DEP_2)
	s_or_b32 exec_lo, exec_lo, s16
	v_dual_mov_b32 v125, 0 :: v_dual_lshrrev_b32 v6, 16, v1
	v_mov_b32_e32 v124, 0
	s_mov_b32 s16, exec_lo
	v_and_b32_e32 v2, 0xff, v6
	s_delay_alu instid0(VALU_DEP_1)
	v_cmpx_ne_u16_e32 0, v2
	s_cbranch_execz .LBB351_842
; %bb.835:                              ;   in Loop: Header=BB351_15 Depth=1
	v_bfrev_b32_e32 v124, 1
	s_mov_b32 s17, exec_lo
	v_cmpx_ne_u16_e32 0x80, v2
	s_cbranch_execz .LBB351_841
; %bb.836:                              ;   in Loop: Header=BB351_15 Depth=1
	v_bfe_u32 v2, v1, 16, 7
	v_mov_b32_e32 v124, 0x7f800001
	s_mov_b32 s18, exec_lo
	s_delay_alu instid0(VALU_DEP_2)
	v_cmpx_ne_u32_e32 0x7f, v2
	s_cbranch_execz .LBB351_840
; %bb.837:                              ;   in Loop: Header=BB351_15 Depth=1
	v_and_b32_e32 v48, 7, v6
	v_lshrrev_b32_e32 v7, 3, v2
	v_cmp_gt_u32_e64 s1, 8, v2
	s_delay_alu instid0(VALU_DEP_3)
	v_mov_b64_e32 v[2:3], v[48:49]
	s_and_saveexec_b32 s19, s1
; %bb.838:                              ;   in Loop: Header=BB351_15 Depth=1
	v_clz_i32_u32_e32 v2, v48
	s_delay_alu instid0(VALU_DEP_1) | instskip(NEXT) | instid1(VALU_DEP_1)
	v_min_u32_e32 v7, 32, v2
	v_subrev_nc_u32_e32 v2, 28, v7
	s_delay_alu instid0(VALU_DEP_1) | instskip(NEXT) | instid1(VALU_DEP_1)
	v_lshlrev_b64_e32 v[2:3], v2, v[48:49]
	v_dual_sub_nc_u32 v7, 29, v7 :: v_dual_bitop2_b32 v2, 7, v2 bitop3:0x40
; %bb.839:                              ;   in Loop: Header=BB351_15 Depth=1
	s_or_b32 exec_lo, exec_lo, s19
	v_lshlrev_b32_e32 v3, 24, v6
	s_delay_alu instid0(VALU_DEP_2) | instskip(NEXT) | instid1(VALU_DEP_3)
	v_lshlrev_b32_e32 v2, 20, v2
	v_lshl_add_u32 v6, v7, 23, 0x3c000000
	s_delay_alu instid0(VALU_DEP_3) | instskip(NEXT) | instid1(VALU_DEP_1)
	v_and_b32_e32 v3, 0x80000000, v3
	v_or3_b32 v124, v2, v3, v6
.LBB351_840:                            ;   in Loop: Header=BB351_15 Depth=1
	s_or_b32 exec_lo, exec_lo, s18
.LBB351_841:                            ;   in Loop: Header=BB351_15 Depth=1
	s_delay_alu instid0(SALU_CYCLE_1)
	s_or_b32 exec_lo, exec_lo, s17
.LBB351_842:                            ;   in Loop: Header=BB351_15 Depth=1
	s_delay_alu instid0(SALU_CYCLE_1) | instskip(NEXT) | instid1(SALU_CYCLE_1)
	s_or_b32 exec_lo, exec_lo, s16
	s_mov_b32 s16, exec_lo
	v_cmpx_lt_u64_e64 s[8:9], v[0:1]
	s_cbranch_execz .LBB351_850
; %bb.843:                              ;   in Loop: Header=BB351_15 Depth=1
	v_lshrrev_b32_e32 v2, 24, v1
	v_bfrev_b32_e32 v125, 1
	s_mov_b32 s17, exec_lo
	s_delay_alu instid0(VALU_DEP_2)
	v_cmpx_ne_u32_e32 0x80, v2
	s_cbranch_execz .LBB351_849
; %bb.844:                              ;   in Loop: Header=BB351_15 Depth=1
	v_bfe_u32 v0, v1, 24, 7
	v_mov_b32_e32 v125, 0x7f800001
	s_mov_b32 s18, exec_lo
	s_delay_alu instid0(VALU_DEP_2)
	v_cmpx_ne_u32_e32 0x7f, v0
	s_cbranch_execz .LBB351_848
; %bb.845:                              ;   in Loop: Header=BB351_15 Depth=1
	v_dual_lshrrev_b32 v3, 3, v0 :: v_dual_bitop2_b32 v48, 7, v2 bitop3:0x40
	v_cmp_gt_u32_e64 s1, 8, v0
	s_delay_alu instid0(VALU_DEP_2)
	v_mov_b64_e32 v[0:1], v[48:49]
	s_and_saveexec_b32 s19, s1
; %bb.846:                              ;   in Loop: Header=BB351_15 Depth=1
	v_clz_i32_u32_e32 v0, v48
	s_delay_alu instid0(VALU_DEP_1) | instskip(NEXT) | instid1(VALU_DEP_1)
	v_min_u32_e32 v3, 32, v0
	v_subrev_nc_u32_e32 v0, 28, v3
	s_delay_alu instid0(VALU_DEP_1) | instskip(NEXT) | instid1(VALU_DEP_1)
	v_lshlrev_b64_e32 v[0:1], v0, v[48:49]
	v_dual_sub_nc_u32 v3, 29, v3 :: v_dual_bitop2_b32 v0, 7, v0 bitop3:0x40
; %bb.847:                              ;   in Loop: Header=BB351_15 Depth=1
	s_or_b32 exec_lo, exec_lo, s19
	s_delay_alu instid0(VALU_DEP_1) | instskip(NEXT) | instid1(VALU_DEP_2)
	v_dual_lshlrev_b32 v1, 24, v2 :: v_dual_lshlrev_b32 v0, 20, v0
	v_lshl_add_u32 v2, v3, 23, 0x3c000000
	s_delay_alu instid0(VALU_DEP_2) | instskip(NEXT) | instid1(VALU_DEP_1)
	v_and_b32_e32 v1, 0x80000000, v1
	v_or3_b32 v125, v0, v1, v2
.LBB351_848:                            ;   in Loop: Header=BB351_15 Depth=1
	s_or_b32 exec_lo, exec_lo, s18
.LBB351_849:                            ;   in Loop: Header=BB351_15 Depth=1
	s_delay_alu instid0(SALU_CYCLE_1)
	s_or_b32 exec_lo, exec_lo, s17
.LBB351_850:                            ;   in Loop: Header=BB351_15 Depth=1
	s_delay_alu instid0(SALU_CYCLE_1)
	s_or_b32 exec_lo, exec_lo, s16
	flat_load_b64 v[10:11], v[86:87] offset:3080
	v_dual_mov_b32 v127, 0 :: v_dual_mov_b32 v126, 0
	s_mov_b32 s16, exec_lo
	s_wait_loadcnt_dscnt 0x0
	v_and_b32_e32 v0, 0xff, v10
	s_wait_xcnt 0x0
	s_delay_alu instid0(VALU_DEP_1)
	v_cmpx_ne_u16_e32 0, v0
	s_cbranch_execz .LBB351_858
; %bb.851:                              ;   in Loop: Header=BB351_15 Depth=1
	v_bfrev_b32_e32 v126, 1
	s_mov_b32 s17, exec_lo
	v_cmpx_ne_u16_e32 0x80, v0
	s_cbranch_execz .LBB351_857
; %bb.852:                              ;   in Loop: Header=BB351_15 Depth=1
	v_and_b32_e32 v0, 0x7f, v10
	v_mov_b32_e32 v126, 0x7f800001
	s_mov_b32 s18, exec_lo
	s_delay_alu instid0(VALU_DEP_2)
	v_cmpx_ne_u32_e32 0x7f, v0
	s_cbranch_execz .LBB351_856
; %bb.853:                              ;   in Loop: Header=BB351_15 Depth=1
	v_lshrrev_b32_e32 v2, 3, v0
	v_cmp_gt_u32_e64 s1, 8, v0
	v_mov_b64_e32 v[0:1], v[10:11]
	s_and_saveexec_b32 s19, s1
; %bb.854:                              ;   in Loop: Header=BB351_15 Depth=1
	v_and_b32_e32 v0, 7, v10
	s_delay_alu instid0(VALU_DEP_1) | instskip(NEXT) | instid1(VALU_DEP_1)
	v_clz_i32_u32_e32 v0, v0
	v_min_u32_e32 v2, 32, v0
	s_delay_alu instid0(VALU_DEP_1) | instskip(SKIP_1) | instid1(VALU_DEP_2)
	v_subrev_nc_u32_e32 v0, 28, v2
	v_sub_nc_u32_e32 v2, 29, v2
	v_lshlrev_b64_e32 v[0:1], v0, v[10:11]
; %bb.855:                              ;   in Loop: Header=BB351_15 Depth=1
	s_or_b32 exec_lo, exec_lo, s19
	s_delay_alu instid0(VALU_DEP_1) | instskip(NEXT) | instid1(VALU_DEP_3)
	v_dual_lshlrev_b32 v0, 20, v0 :: v_dual_lshlrev_b32 v1, 24, v10
	v_lshl_add_u32 v2, v2, 23, 0x3c000000
	s_delay_alu instid0(VALU_DEP_2) | instskip(NEXT) | instid1(VALU_DEP_3)
	v_and_b32_e32 v0, 0x700000, v0
	v_and_b32_e32 v1, 0x80000000, v1
	s_delay_alu instid0(VALU_DEP_1)
	v_or3_b32 v126, v0, v1, v2
.LBB351_856:                            ;   in Loop: Header=BB351_15 Depth=1
	s_or_b32 exec_lo, exec_lo, s18
.LBB351_857:                            ;   in Loop: Header=BB351_15 Depth=1
	s_delay_alu instid0(SALU_CYCLE_1)
	s_or_b32 exec_lo, exec_lo, s17
.LBB351_858:                            ;   in Loop: Header=BB351_15 Depth=1
	s_delay_alu instid0(SALU_CYCLE_1) | instskip(SKIP_2) | instid1(VALU_DEP_1)
	s_or_b32 exec_lo, exec_lo, s16
	v_lshrrev_b16 v0, 8, v10
	s_mov_b32 s16, exec_lo
	v_cmpx_ne_u16_e32 0, v0
	s_cbranch_execz .LBB351_866
; %bb.859:                              ;   in Loop: Header=BB351_15 Depth=1
	v_bfrev_b32_e32 v127, 1
	s_mov_b32 s17, exec_lo
	v_cmpx_ne_u16_e32 0x80, v0
	s_cbranch_execz .LBB351_865
; %bb.860:                              ;   in Loop: Header=BB351_15 Depth=1
	v_and_b32_e32 v1, 0xffff, v0
	v_mov_b32_e32 v127, 0x7f800001
	s_mov_b32 s18, exec_lo
	s_delay_alu instid0(VALU_DEP_2) | instskip(NEXT) | instid1(VALU_DEP_1)
	v_and_b32_e32 v0, 0x7f, v1
	v_cmpx_ne_u32_e32 0x7f, v0
	s_cbranch_execz .LBB351_864
; %bb.861:                              ;   in Loop: Header=BB351_15 Depth=1
	v_dual_lshrrev_b32 v2, 3, v0 :: v_dual_bitop2_b32 v48, 7, v1 bitop3:0x40
	v_cmp_gt_u32_e64 s1, 8, v0
	s_delay_alu instid0(VALU_DEP_2)
	v_mov_b64_e32 v[0:1], v[48:49]
	s_and_saveexec_b32 s19, s1
; %bb.862:                              ;   in Loop: Header=BB351_15 Depth=1
	v_clz_i32_u32_e32 v0, v48
	s_delay_alu instid0(VALU_DEP_1) | instskip(NEXT) | instid1(VALU_DEP_1)
	v_min_u32_e32 v2, 32, v0
	v_subrev_nc_u32_e32 v0, 28, v2
	s_delay_alu instid0(VALU_DEP_1) | instskip(NEXT) | instid1(VALU_DEP_1)
	v_lshlrev_b64_e32 v[0:1], v0, v[48:49]
	v_dual_sub_nc_u32 v2, 29, v2 :: v_dual_bitop2_b32 v0, 7, v0 bitop3:0x40
; %bb.863:                              ;   in Loop: Header=BB351_15 Depth=1
	s_or_b32 exec_lo, exec_lo, s19
	s_delay_alu instid0(VALU_DEP_1) | instskip(NEXT) | instid1(VALU_DEP_2)
	v_dual_lshlrev_b32 v1, 16, v10 :: v_dual_lshlrev_b32 v0, 20, v0
	v_lshl_add_u32 v2, v2, 23, 0x3c000000
	s_delay_alu instid0(VALU_DEP_2) | instskip(NEXT) | instid1(VALU_DEP_1)
	v_and_b32_e32 v1, 0x80000000, v1
	v_or3_b32 v127, v0, v1, v2
.LBB351_864:                            ;   in Loop: Header=BB351_15 Depth=1
	s_or_b32 exec_lo, exec_lo, s18
.LBB351_865:                            ;   in Loop: Header=BB351_15 Depth=1
	s_delay_alu instid0(SALU_CYCLE_1)
	s_or_b32 exec_lo, exec_lo, s17
.LBB351_866:                            ;   in Loop: Header=BB351_15 Depth=1
	s_delay_alu instid0(SALU_CYCLE_1) | instskip(SKIP_3) | instid1(VALU_DEP_2)
	s_or_b32 exec_lo, exec_lo, s16
	v_dual_mov_b32 v3, 0 :: v_dual_lshrrev_b32 v6, 16, v10
	v_mov_b32_e32 v2, 0
	s_mov_b32 s16, exec_lo
	v_and_b32_e32 v0, 0xff, v6
	s_delay_alu instid0(VALU_DEP_1)
	v_cmpx_ne_u16_e32 0, v0
	s_cbranch_execz .LBB351_874
; %bb.867:                              ;   in Loop: Header=BB351_15 Depth=1
	v_bfrev_b32_e32 v2, 1
	s_mov_b32 s17, exec_lo
	v_cmpx_ne_u16_e32 0x80, v0
	s_cbranch_execz .LBB351_873
; %bb.868:                              ;   in Loop: Header=BB351_15 Depth=1
	v_bfe_u32 v0, v10, 16, 7
	v_mov_b32_e32 v2, 0x7f800001
	s_mov_b32 s18, exec_lo
	s_delay_alu instid0(VALU_DEP_2)
	v_cmpx_ne_u32_e32 0x7f, v0
	s_cbranch_execz .LBB351_872
; %bb.869:                              ;   in Loop: Header=BB351_15 Depth=1
	v_dual_lshrrev_b32 v2, 3, v0 :: v_dual_bitop2_b32 v48, 7, v6 bitop3:0x40
	v_cmp_gt_u32_e64 s1, 8, v0
	s_delay_alu instid0(VALU_DEP_2)
	v_mov_b64_e32 v[0:1], v[48:49]
	s_and_saveexec_b32 s19, s1
; %bb.870:                              ;   in Loop: Header=BB351_15 Depth=1
	v_clz_i32_u32_e32 v0, v48
	s_delay_alu instid0(VALU_DEP_1) | instskip(NEXT) | instid1(VALU_DEP_1)
	v_min_u32_e32 v2, 32, v0
	v_subrev_nc_u32_e32 v0, 28, v2
	s_delay_alu instid0(VALU_DEP_1) | instskip(NEXT) | instid1(VALU_DEP_1)
	v_lshlrev_b64_e32 v[0:1], v0, v[48:49]
	v_dual_sub_nc_u32 v2, 29, v2 :: v_dual_bitop2_b32 v0, 7, v0 bitop3:0x40
; %bb.871:                              ;   in Loop: Header=BB351_15 Depth=1
	s_or_b32 exec_lo, exec_lo, s19
	s_delay_alu instid0(VALU_DEP_1) | instskip(NEXT) | instid1(VALU_DEP_2)
	v_dual_lshlrev_b32 v1, 24, v6 :: v_dual_lshlrev_b32 v0, 20, v0
	v_lshl_add_u32 v2, v2, 23, 0x3c000000
	s_delay_alu instid0(VALU_DEP_2) | instskip(NEXT) | instid1(VALU_DEP_1)
	v_and_b32_e32 v1, 0x80000000, v1
	v_or3_b32 v2, v0, v1, v2
.LBB351_872:                            ;   in Loop: Header=BB351_15 Depth=1
	s_or_b32 exec_lo, exec_lo, s18
.LBB351_873:                            ;   in Loop: Header=BB351_15 Depth=1
	s_delay_alu instid0(SALU_CYCLE_1)
	s_or_b32 exec_lo, exec_lo, s17
.LBB351_874:                            ;   in Loop: Header=BB351_15 Depth=1
	s_delay_alu instid0(SALU_CYCLE_1) | instskip(NEXT) | instid1(SALU_CYCLE_1)
	s_or_b32 exec_lo, exec_lo, s16
	s_mov_b32 s16, exec_lo
	v_cmpx_lt_u32_e32 0xffffff, v10
	s_cbranch_execz .LBB351_882
; %bb.875:                              ;   in Loop: Header=BB351_15 Depth=1
	v_lshrrev_b32_e32 v6, 24, v10
	v_bfrev_b32_e32 v3, 1
	s_mov_b32 s17, exec_lo
	s_delay_alu instid0(VALU_DEP_2)
	v_cmpx_ne_u32_e32 0x80, v6
	s_cbranch_execz .LBB351_881
; %bb.876:                              ;   in Loop: Header=BB351_15 Depth=1
	v_bfe_u32 v0, v10, 24, 7
	v_mov_b32_e32 v3, 0x7f800001
	s_mov_b32 s18, exec_lo
	s_delay_alu instid0(VALU_DEP_2)
	v_cmpx_ne_u32_e32 0x7f, v0
	s_cbranch_execz .LBB351_880
; %bb.877:                              ;   in Loop: Header=BB351_15 Depth=1
	v_dual_lshrrev_b32 v3, 3, v0 :: v_dual_bitop2_b32 v48, 7, v6 bitop3:0x40
	v_cmp_gt_u32_e64 s1, 8, v0
	s_delay_alu instid0(VALU_DEP_2)
	v_mov_b64_e32 v[0:1], v[48:49]
	s_and_saveexec_b32 s19, s1
; %bb.878:                              ;   in Loop: Header=BB351_15 Depth=1
	v_clz_i32_u32_e32 v0, v48
	s_delay_alu instid0(VALU_DEP_1) | instskip(NEXT) | instid1(VALU_DEP_1)
	v_min_u32_e32 v3, 32, v0
	v_subrev_nc_u32_e32 v0, 28, v3
	s_delay_alu instid0(VALU_DEP_1) | instskip(NEXT) | instid1(VALU_DEP_1)
	v_lshlrev_b64_e32 v[0:1], v0, v[48:49]
	v_dual_sub_nc_u32 v3, 29, v3 :: v_dual_bitop2_b32 v0, 7, v0 bitop3:0x40
; %bb.879:                              ;   in Loop: Header=BB351_15 Depth=1
	s_or_b32 exec_lo, exec_lo, s19
	s_delay_alu instid0(VALU_DEP_1) | instskip(NEXT) | instid1(VALU_DEP_2)
	v_dual_lshlrev_b32 v1, 24, v6 :: v_dual_lshlrev_b32 v0, 20, v0
	v_lshl_add_u32 v3, v3, 23, 0x3c000000
	s_delay_alu instid0(VALU_DEP_2) | instskip(NEXT) | instid1(VALU_DEP_1)
	v_and_b32_e32 v1, 0x80000000, v1
	v_or3_b32 v3, v0, v1, v3
.LBB351_880:                            ;   in Loop: Header=BB351_15 Depth=1
	s_or_b32 exec_lo, exec_lo, s18
.LBB351_881:                            ;   in Loop: Header=BB351_15 Depth=1
	s_delay_alu instid0(SALU_CYCLE_1)
	s_or_b32 exec_lo, exec_lo, s17
.LBB351_882:                            ;   in Loop: Header=BB351_15 Depth=1
	s_delay_alu instid0(SALU_CYCLE_1) | instskip(SKIP_4) | instid1(VALU_DEP_3)
	s_or_b32 exec_lo, exec_lo, s16
	v_and_b32_e32 v6, 0xff, v11
	v_dual_mov_b32 v48, v11 :: v_dual_mov_b32 v1, 0
	v_mov_b32_e32 v0, 0
	s_mov_b32 s16, exec_lo
	v_cmpx_ne_u16_e32 0, v6
	s_cbranch_execz .LBB351_890
; %bb.883:                              ;   in Loop: Header=BB351_15 Depth=1
	v_bfrev_b32_e32 v0, 1
	s_mov_b32 s17, exec_lo
	v_cmpx_ne_u16_e32 0x80, v6
	s_cbranch_execz .LBB351_889
; %bb.884:                              ;   in Loop: Header=BB351_15 Depth=1
	v_and_b32_e32 v6, 0x7f, v11
	v_mov_b32_e32 v0, 0x7f800001
	s_mov_b32 s18, exec_lo
	s_delay_alu instid0(VALU_DEP_2)
	v_cmpx_ne_u32_e32 0x7f, v6
	s_cbranch_execz .LBB351_888
; %bb.885:                              ;   in Loop: Header=BB351_15 Depth=1
	v_lshrrev_b32_e32 v0, 3, v6
	v_cmp_gt_u32_e64 s1, 8, v6
	v_mov_b64_e32 v[6:7], v[48:49]
	s_and_saveexec_b32 s19, s1
; %bb.886:                              ;   in Loop: Header=BB351_15 Depth=1
	v_and_b32_e32 v0, 7, v11
	s_delay_alu instid0(VALU_DEP_1) | instskip(NEXT) | instid1(VALU_DEP_1)
	v_clz_i32_u32_e32 v0, v0
	v_min_u32_e32 v0, 32, v0
	s_delay_alu instid0(VALU_DEP_1) | instskip(SKIP_1) | instid1(VALU_DEP_2)
	v_subrev_nc_u32_e32 v6, 28, v0
	v_sub_nc_u32_e32 v0, 29, v0
	v_lshlrev_b64_e32 v[6:7], v6, v[48:49]
; %bb.887:                              ;   in Loop: Header=BB351_15 Depth=1
	s_or_b32 exec_lo, exec_lo, s19
	s_delay_alu instid0(VALU_DEP_1) | instskip(NEXT) | instid1(VALU_DEP_3)
	v_dual_lshlrev_b32 v6, 20, v6 :: v_dual_lshlrev_b32 v7, 24, v48
	v_lshl_add_u32 v0, v0, 23, 0x3c000000
	s_delay_alu instid0(VALU_DEP_2) | instskip(NEXT) | instid1(VALU_DEP_3)
	v_and_b32_e32 v6, 0x700000, v6
	v_and_b32_e32 v7, 0x80000000, v7
	s_delay_alu instid0(VALU_DEP_1)
	v_or3_b32 v0, v6, v7, v0
.LBB351_888:                            ;   in Loop: Header=BB351_15 Depth=1
	s_or_b32 exec_lo, exec_lo, s18
.LBB351_889:                            ;   in Loop: Header=BB351_15 Depth=1
	s_delay_alu instid0(SALU_CYCLE_1)
	s_or_b32 exec_lo, exec_lo, s17
.LBB351_890:                            ;   in Loop: Header=BB351_15 Depth=1
	s_delay_alu instid0(SALU_CYCLE_1) | instskip(SKIP_2) | instid1(VALU_DEP_1)
	s_or_b32 exec_lo, exec_lo, s16
	v_lshrrev_b16 v6, 8, v48
	s_mov_b32 s16, exec_lo
	v_cmpx_ne_u16_e32 0, v6
	s_cbranch_execz .LBB351_898
; %bb.891:                              ;   in Loop: Header=BB351_15 Depth=1
	v_bfrev_b32_e32 v1, 1
	s_mov_b32 s17, exec_lo
	v_cmpx_ne_u16_e32 0x80, v6
	s_cbranch_execz .LBB351_897
; %bb.892:                              ;   in Loop: Header=BB351_15 Depth=1
	v_and_b32_e32 v6, 0xffff, v6
	v_mov_b32_e32 v1, 0x7f800001
	s_mov_b32 s18, exec_lo
	s_delay_alu instid0(VALU_DEP_2) | instskip(NEXT) | instid1(VALU_DEP_1)
	v_and_b32_e32 v17, 0x7f, v6
	v_cmpx_ne_u32_e32 0x7f, v17
	s_cbranch_execz .LBB351_896
; %bb.893:                              ;   in Loop: Header=BB351_15 Depth=1
	v_dual_mov_b32 v7, v49 :: v_dual_bitop2_b32 v6, 7, v6 bitop3:0x40
	v_lshrrev_b32_e32 v1, 3, v17
	s_mov_b32 s19, exec_lo
	v_cmpx_gt_u32_e32 8, v17
; %bb.894:                              ;   in Loop: Header=BB351_15 Depth=1
	s_delay_alu instid0(VALU_DEP_3) | instskip(NEXT) | instid1(VALU_DEP_1)
	v_clz_i32_u32_e32 v1, v6
	v_min_u32_e32 v1, 32, v1
	s_delay_alu instid0(VALU_DEP_1) | instskip(NEXT) | instid1(VALU_DEP_1)
	v_subrev_nc_u32_e32 v17, 28, v1
	v_lshlrev_b64_e32 v[6:7], v17, v[6:7]
	s_delay_alu instid0(VALU_DEP_1)
	v_dual_sub_nc_u32 v1, 29, v1 :: v_dual_bitop2_b32 v6, 7, v6 bitop3:0x40
; %bb.895:                              ;   in Loop: Header=BB351_15 Depth=1
	s_or_b32 exec_lo, exec_lo, s19
	s_delay_alu instid0(VALU_DEP_1) | instskip(NEXT) | instid1(VALU_DEP_2)
	v_dual_lshlrev_b32 v7, 16, v48 :: v_dual_lshlrev_b32 v6, 20, v6
	v_lshl_add_u32 v1, v1, 23, 0x3c000000
	s_delay_alu instid0(VALU_DEP_2) | instskip(NEXT) | instid1(VALU_DEP_1)
	v_and_b32_e32 v7, 0x80000000, v7
	v_or3_b32 v1, v6, v7, v1
.LBB351_896:                            ;   in Loop: Header=BB351_15 Depth=1
	s_or_b32 exec_lo, exec_lo, s18
.LBB351_897:                            ;   in Loop: Header=BB351_15 Depth=1
	s_delay_alu instid0(SALU_CYCLE_1)
	s_or_b32 exec_lo, exec_lo, s17
.LBB351_898:                            ;   in Loop: Header=BB351_15 Depth=1
	s_delay_alu instid0(SALU_CYCLE_1) | instskip(SKIP_3) | instid1(VALU_DEP_2)
	s_or_b32 exec_lo, exec_lo, s16
	v_dual_lshrrev_b32 v17, 16, v11 :: v_dual_mov_b32 v7, 0
	v_mov_b32_e32 v6, 0
	s_mov_b32 s16, exec_lo
	v_and_b32_e32 v19, 0xff, v17
	s_delay_alu instid0(VALU_DEP_1)
	v_cmpx_ne_u16_e32 0, v19
	s_cbranch_execz .LBB351_906
; %bb.899:                              ;   in Loop: Header=BB351_15 Depth=1
	v_bfrev_b32_e32 v6, 1
	s_mov_b32 s17, exec_lo
	v_cmpx_ne_u16_e32 0x80, v19
	s_cbranch_execz .LBB351_905
; %bb.900:                              ;   in Loop: Header=BB351_15 Depth=1
	v_bfe_u32 v19, v11, 16, 7
	v_mov_b32_e32 v6, 0x7f800001
	s_mov_b32 s18, exec_lo
	s_delay_alu instid0(VALU_DEP_2)
	v_cmpx_ne_u32_e32 0x7f, v19
	s_cbranch_execz .LBB351_904
; %bb.901:                              ;   in Loop: Header=BB351_15 Depth=1
	v_dual_lshrrev_b32 v6, 3, v19 :: v_dual_bitop2_b32 v48, 7, v17 bitop3:0x40
	s_mov_b32 s19, exec_lo
	s_delay_alu instid0(VALU_DEP_1)
	v_mov_b64_e32 v[22:23], v[48:49]
	v_cmpx_gt_u32_e32 8, v19
; %bb.902:                              ;   in Loop: Header=BB351_15 Depth=1
	v_clz_i32_u32_e32 v6, v48
	s_delay_alu instid0(VALU_DEP_1) | instskip(NEXT) | instid1(VALU_DEP_1)
	v_min_u32_e32 v6, 32, v6
	v_subrev_nc_u32_e32 v19, 28, v6
	v_sub_nc_u32_e32 v6, 29, v6
	s_delay_alu instid0(VALU_DEP_2) | instskip(NEXT) | instid1(VALU_DEP_1)
	v_lshlrev_b64_e32 v[22:23], v19, v[48:49]
	v_and_b32_e32 v22, 7, v22
; %bb.903:                              ;   in Loop: Header=BB351_15 Depth=1
	s_or_b32 exec_lo, exec_lo, s19
	s_delay_alu instid0(VALU_DEP_1) | instskip(SKIP_1) | instid1(VALU_DEP_2)
	v_dual_lshlrev_b32 v17, 24, v17 :: v_dual_lshlrev_b32 v19, 20, v22
	v_lshl_add_u32 v6, v6, 23, 0x3c000000
	v_and_b32_e32 v17, 0x80000000, v17
	s_delay_alu instid0(VALU_DEP_1)
	v_or3_b32 v6, v19, v17, v6
.LBB351_904:                            ;   in Loop: Header=BB351_15 Depth=1
	s_or_b32 exec_lo, exec_lo, s18
.LBB351_905:                            ;   in Loop: Header=BB351_15 Depth=1
	s_delay_alu instid0(SALU_CYCLE_1)
	s_or_b32 exec_lo, exec_lo, s17
.LBB351_906:                            ;   in Loop: Header=BB351_15 Depth=1
	s_delay_alu instid0(SALU_CYCLE_1) | instskip(NEXT) | instid1(SALU_CYCLE_1)
	s_or_b32 exec_lo, exec_lo, s16
	s_mov_b32 s16, exec_lo
	v_cmpx_lt_u64_e64 s[8:9], v[10:11]
	s_cbranch_execz .LBB351_914
; %bb.907:                              ;   in Loop: Header=BB351_15 Depth=1
	v_lshrrev_b32_e32 v17, 24, v11
	v_bfrev_b32_e32 v7, 1
	s_mov_b32 s17, exec_lo
	s_delay_alu instid0(VALU_DEP_2)
	v_cmpx_ne_u32_e32 0x80, v17
	s_cbranch_execz .LBB351_913
; %bb.908:                              ;   in Loop: Header=BB351_15 Depth=1
	v_bfe_u32 v10, v11, 24, 7
	v_mov_b32_e32 v7, 0x7f800001
	s_mov_b32 s18, exec_lo
	s_delay_alu instid0(VALU_DEP_2)
	v_cmpx_ne_u32_e32 0x7f, v10
	s_cbranch_execz .LBB351_912
; %bb.909:                              ;   in Loop: Header=BB351_15 Depth=1
	v_dual_lshrrev_b32 v7, 3, v10 :: v_dual_bitop2_b32 v48, 7, v17 bitop3:0x40
	v_cmp_gt_u32_e64 s1, 8, v10
	s_delay_alu instid0(VALU_DEP_2)
	v_mov_b64_e32 v[10:11], v[48:49]
	s_and_saveexec_b32 s19, s1
; %bb.910:                              ;   in Loop: Header=BB351_15 Depth=1
	v_clz_i32_u32_e32 v7, v48
	s_delay_alu instid0(VALU_DEP_1) | instskip(NEXT) | instid1(VALU_DEP_1)
	v_min_u32_e32 v7, 32, v7
	v_subrev_nc_u32_e32 v10, 28, v7
	s_delay_alu instid0(VALU_DEP_1) | instskip(NEXT) | instid1(VALU_DEP_1)
	v_lshlrev_b64_e32 v[10:11], v10, v[48:49]
	v_dual_sub_nc_u32 v7, 29, v7 :: v_dual_bitop2_b32 v10, 7, v10 bitop3:0x40
; %bb.911:                              ;   in Loop: Header=BB351_15 Depth=1
	s_or_b32 exec_lo, exec_lo, s19
	s_delay_alu instid0(VALU_DEP_1) | instskip(NEXT) | instid1(VALU_DEP_2)
	v_dual_lshlrev_b32 v11, 24, v17 :: v_dual_lshlrev_b32 v10, 20, v10
	v_lshl_add_u32 v7, v7, 23, 0x3c000000
	s_delay_alu instid0(VALU_DEP_2) | instskip(NEXT) | instid1(VALU_DEP_1)
	v_and_b32_e32 v11, 0x80000000, v11
	v_or3_b32 v7, v10, v11, v7
.LBB351_912:                            ;   in Loop: Header=BB351_15 Depth=1
	s_or_b32 exec_lo, exec_lo, s18
.LBB351_913:                            ;   in Loop: Header=BB351_15 Depth=1
	s_delay_alu instid0(SALU_CYCLE_1)
	s_or_b32 exec_lo, exec_lo, s17
.LBB351_914:                            ;   in Loop: Header=BB351_15 Depth=1
	s_delay_alu instid0(SALU_CYCLE_1)
	s_or_b32 exec_lo, exec_lo, s16
	flat_load_b64 v[26:27], v[86:87] offset:3584
	s_wait_xcnt 0x0
	v_dual_mov_b32 v87, 0 :: v_dual_mov_b32 v86, 0
	s_mov_b32 s16, exec_lo
	s_wait_loadcnt_dscnt 0x0
	v_and_b32_e32 v10, 0xff, v26
	s_delay_alu instid0(VALU_DEP_1)
	v_cmpx_ne_u16_e32 0, v10
	s_cbranch_execz .LBB351_922
; %bb.915:                              ;   in Loop: Header=BB351_15 Depth=1
	v_bfrev_b32_e32 v86, 1
	s_mov_b32 s17, exec_lo
	v_cmpx_ne_u16_e32 0x80, v10
	s_cbranch_execz .LBB351_921
; %bb.916:                              ;   in Loop: Header=BB351_15 Depth=1
	v_and_b32_e32 v10, 0x7f, v26
	v_mov_b32_e32 v86, 0x7f800001
	s_mov_b32 s18, exec_lo
	s_delay_alu instid0(VALU_DEP_2)
	v_cmpx_ne_u32_e32 0x7f, v10
	s_cbranch_execz .LBB351_920
; %bb.917:                              ;   in Loop: Header=BB351_15 Depth=1
	v_lshrrev_b32_e32 v17, 3, v10
	v_cmp_gt_u32_e64 s1, 8, v10
	v_mov_b64_e32 v[10:11], v[26:27]
	s_and_saveexec_b32 s19, s1
; %bb.918:                              ;   in Loop: Header=BB351_15 Depth=1
	v_and_b32_e32 v10, 7, v26
	s_delay_alu instid0(VALU_DEP_1) | instskip(NEXT) | instid1(VALU_DEP_1)
	v_clz_i32_u32_e32 v10, v10
	v_min_u32_e32 v17, 32, v10
	s_delay_alu instid0(VALU_DEP_1) | instskip(SKIP_1) | instid1(VALU_DEP_2)
	v_subrev_nc_u32_e32 v10, 28, v17
	v_sub_nc_u32_e32 v17, 29, v17
	v_lshlrev_b64_e32 v[10:11], v10, v[26:27]
; %bb.919:                              ;   in Loop: Header=BB351_15 Depth=1
	s_or_b32 exec_lo, exec_lo, s19
	s_delay_alu instid0(VALU_DEP_1) | instskip(SKIP_2) | instid1(VALU_DEP_3)
	v_lshlrev_b32_e32 v10, 20, v10
	v_lshlrev_b32_e32 v11, 24, v26
	v_lshl_add_u32 v17, v17, 23, 0x3c000000
	v_and_b32_e32 v10, 0x700000, v10
	s_delay_alu instid0(VALU_DEP_3) | instskip(NEXT) | instid1(VALU_DEP_1)
	v_and_b32_e32 v11, 0x80000000, v11
	v_or3_b32 v86, v10, v11, v17
.LBB351_920:                            ;   in Loop: Header=BB351_15 Depth=1
	s_or_b32 exec_lo, exec_lo, s18
.LBB351_921:                            ;   in Loop: Header=BB351_15 Depth=1
	s_delay_alu instid0(SALU_CYCLE_1)
	s_or_b32 exec_lo, exec_lo, s17
.LBB351_922:                            ;   in Loop: Header=BB351_15 Depth=1
	s_delay_alu instid0(SALU_CYCLE_1) | instskip(SKIP_2) | instid1(VALU_DEP_1)
	s_or_b32 exec_lo, exec_lo, s16
	v_lshrrev_b16 v10, 8, v26
	s_mov_b32 s16, exec_lo
	v_cmpx_ne_u16_e32 0, v10
	s_cbranch_execz .LBB351_930
; %bb.923:                              ;   in Loop: Header=BB351_15 Depth=1
	v_bfrev_b32_e32 v87, 1
	s_mov_b32 s17, exec_lo
	v_cmpx_ne_u16_e32 0x80, v10
	s_cbranch_execz .LBB351_929
; %bb.924:                              ;   in Loop: Header=BB351_15 Depth=1
	v_and_b32_e32 v11, 0xffff, v10
	v_mov_b32_e32 v87, 0x7f800001
	s_mov_b32 s18, exec_lo
	s_delay_alu instid0(VALU_DEP_2) | instskip(NEXT) | instid1(VALU_DEP_1)
	v_and_b32_e32 v10, 0x7f, v11
	v_cmpx_ne_u32_e32 0x7f, v10
	s_cbranch_execz .LBB351_928
; %bb.925:                              ;   in Loop: Header=BB351_15 Depth=1
	v_dual_lshrrev_b32 v17, 3, v10 :: v_dual_bitop2_b32 v48, 7, v11 bitop3:0x40
	v_cmp_gt_u32_e64 s1, 8, v10
	s_delay_alu instid0(VALU_DEP_2)
	v_mov_b64_e32 v[10:11], v[48:49]
	s_and_saveexec_b32 s19, s1
; %bb.926:                              ;   in Loop: Header=BB351_15 Depth=1
	v_clz_i32_u32_e32 v10, v48
	s_delay_alu instid0(VALU_DEP_1) | instskip(NEXT) | instid1(VALU_DEP_1)
	v_min_u32_e32 v17, 32, v10
	v_subrev_nc_u32_e32 v10, 28, v17
	s_delay_alu instid0(VALU_DEP_1) | instskip(NEXT) | instid1(VALU_DEP_1)
	v_lshlrev_b64_e32 v[10:11], v10, v[48:49]
	v_dual_sub_nc_u32 v17, 29, v17 :: v_dual_bitop2_b32 v10, 7, v10 bitop3:0x40
; %bb.927:                              ;   in Loop: Header=BB351_15 Depth=1
	s_or_b32 exec_lo, exec_lo, s19
	v_lshlrev_b32_e32 v11, 16, v26
	s_delay_alu instid0(VALU_DEP_2) | instskip(NEXT) | instid1(VALU_DEP_3)
	v_lshlrev_b32_e32 v10, 20, v10
	v_lshl_add_u32 v17, v17, 23, 0x3c000000
	s_delay_alu instid0(VALU_DEP_3) | instskip(NEXT) | instid1(VALU_DEP_1)
	v_and_b32_e32 v11, 0x80000000, v11
	v_or3_b32 v87, v10, v11, v17
.LBB351_928:                            ;   in Loop: Header=BB351_15 Depth=1
	s_or_b32 exec_lo, exec_lo, s18
.LBB351_929:                            ;   in Loop: Header=BB351_15 Depth=1
	s_delay_alu instid0(SALU_CYCLE_1)
	s_or_b32 exec_lo, exec_lo, s17
.LBB351_930:                            ;   in Loop: Header=BB351_15 Depth=1
	s_delay_alu instid0(SALU_CYCLE_1) | instskip(SKIP_3) | instid1(VALU_DEP_2)
	s_or_b32 exec_lo, exec_lo, s16
	v_dual_lshrrev_b32 v17, 16, v26 :: v_dual_mov_b32 v11, 0
	v_mov_b32_e32 v10, 0
	s_mov_b32 s16, exec_lo
	v_and_b32_e32 v19, 0xff, v17
	s_delay_alu instid0(VALU_DEP_1)
	v_cmpx_ne_u16_e32 0, v19
	s_cbranch_execz .LBB351_938
; %bb.931:                              ;   in Loop: Header=BB351_15 Depth=1
	v_bfrev_b32_e32 v10, 1
	s_mov_b32 s17, exec_lo
	v_cmpx_ne_u16_e32 0x80, v19
	s_cbranch_execz .LBB351_937
; %bb.932:                              ;   in Loop: Header=BB351_15 Depth=1
	v_bfe_u32 v19, v26, 16, 7
	v_mov_b32_e32 v10, 0x7f800001
	s_mov_b32 s18, exec_lo
	s_delay_alu instid0(VALU_DEP_2)
	v_cmpx_ne_u32_e32 0x7f, v19
	s_cbranch_execz .LBB351_936
; %bb.933:                              ;   in Loop: Header=BB351_15 Depth=1
	v_dual_lshrrev_b32 v10, 3, v19 :: v_dual_bitop2_b32 v48, 7, v17 bitop3:0x40
	s_mov_b32 s19, exec_lo
	s_delay_alu instid0(VALU_DEP_1)
	v_mov_b64_e32 v[22:23], v[48:49]
	v_cmpx_gt_u32_e32 8, v19
; %bb.934:                              ;   in Loop: Header=BB351_15 Depth=1
	v_clz_i32_u32_e32 v10, v48
	s_delay_alu instid0(VALU_DEP_1) | instskip(NEXT) | instid1(VALU_DEP_1)
	v_min_u32_e32 v10, 32, v10
	v_subrev_nc_u32_e32 v19, 28, v10
	v_sub_nc_u32_e32 v10, 29, v10
	s_delay_alu instid0(VALU_DEP_2) | instskip(NEXT) | instid1(VALU_DEP_1)
	v_lshlrev_b64_e32 v[22:23], v19, v[48:49]
	v_and_b32_e32 v22, 7, v22
; %bb.935:                              ;   in Loop: Header=BB351_15 Depth=1
	s_or_b32 exec_lo, exec_lo, s19
	s_delay_alu instid0(VALU_DEP_1) | instskip(SKIP_1) | instid1(VALU_DEP_2)
	v_dual_lshlrev_b32 v17, 24, v17 :: v_dual_lshlrev_b32 v19, 20, v22
	v_lshl_add_u32 v10, v10, 23, 0x3c000000
	v_and_b32_e32 v17, 0x80000000, v17
	s_delay_alu instid0(VALU_DEP_1)
	v_or3_b32 v10, v19, v17, v10
.LBB351_936:                            ;   in Loop: Header=BB351_15 Depth=1
	s_or_b32 exec_lo, exec_lo, s18
.LBB351_937:                            ;   in Loop: Header=BB351_15 Depth=1
	s_delay_alu instid0(SALU_CYCLE_1)
	s_or_b32 exec_lo, exec_lo, s17
.LBB351_938:                            ;   in Loop: Header=BB351_15 Depth=1
	s_delay_alu instid0(SALU_CYCLE_1) | instskip(NEXT) | instid1(SALU_CYCLE_1)
	s_or_b32 exec_lo, exec_lo, s16
	s_mov_b32 s16, exec_lo
	v_cmpx_lt_u32_e32 0xffffff, v26
	s_cbranch_execz .LBB351_946
; %bb.939:                              ;   in Loop: Header=BB351_15 Depth=1
	v_lshrrev_b32_e32 v17, 24, v26
	v_bfrev_b32_e32 v11, 1
	s_mov_b32 s17, exec_lo
	s_delay_alu instid0(VALU_DEP_2)
	v_cmpx_ne_u32_e32 0x80, v17
	s_cbranch_execz .LBB351_945
; %bb.940:                              ;   in Loop: Header=BB351_15 Depth=1
	v_bfe_u32 v19, v26, 24, 7
	v_mov_b32_e32 v11, 0x7f800001
	s_mov_b32 s18, exec_lo
	s_delay_alu instid0(VALU_DEP_2)
	v_cmpx_ne_u32_e32 0x7f, v19
	s_cbranch_execz .LBB351_944
; %bb.941:                              ;   in Loop: Header=BB351_15 Depth=1
	v_dual_lshrrev_b32 v11, 3, v19 :: v_dual_bitop2_b32 v48, 7, v17 bitop3:0x40
	s_mov_b32 s19, exec_lo
	s_delay_alu instid0(VALU_DEP_1)
	v_mov_b64_e32 v[22:23], v[48:49]
	v_cmpx_gt_u32_e32 8, v19
; %bb.942:                              ;   in Loop: Header=BB351_15 Depth=1
	v_clz_i32_u32_e32 v11, v48
	s_delay_alu instid0(VALU_DEP_1) | instskip(NEXT) | instid1(VALU_DEP_1)
	v_min_u32_e32 v11, 32, v11
	v_subrev_nc_u32_e32 v19, 28, v11
	s_delay_alu instid0(VALU_DEP_1) | instskip(NEXT) | instid1(VALU_DEP_1)
	v_lshlrev_b64_e32 v[22:23], v19, v[48:49]
	v_dual_sub_nc_u32 v11, 29, v11 :: v_dual_bitop2_b32 v22, 7, v22 bitop3:0x40
; %bb.943:                              ;   in Loop: Header=BB351_15 Depth=1
	s_or_b32 exec_lo, exec_lo, s19
	s_delay_alu instid0(VALU_DEP_1) | instskip(NEXT) | instid1(VALU_DEP_2)
	v_dual_lshlrev_b32 v17, 24, v17 :: v_dual_lshlrev_b32 v19, 20, v22
	v_lshl_add_u32 v11, v11, 23, 0x3c000000
	s_delay_alu instid0(VALU_DEP_2) | instskip(NEXT) | instid1(VALU_DEP_1)
	v_and_b32_e32 v17, 0x80000000, v17
	v_or3_b32 v11, v19, v17, v11
.LBB351_944:                            ;   in Loop: Header=BB351_15 Depth=1
	s_or_b32 exec_lo, exec_lo, s18
.LBB351_945:                            ;   in Loop: Header=BB351_15 Depth=1
	s_delay_alu instid0(SALU_CYCLE_1)
	s_or_b32 exec_lo, exec_lo, s17
.LBB351_946:                            ;   in Loop: Header=BB351_15 Depth=1
	s_delay_alu instid0(SALU_CYCLE_1) | instskip(SKIP_4) | instid1(VALU_DEP_3)
	s_or_b32 exec_lo, exec_lo, s16
	v_and_b32_e32 v17, 0xff, v27
	v_dual_mov_b32 v48, v27 :: v_dual_mov_b32 v51, 0
	v_mov_b32_e32 v50, 0
	s_mov_b32 s16, exec_lo
	v_cmpx_ne_u16_e32 0, v17
	s_cbranch_execz .LBB351_954
; %bb.947:                              ;   in Loop: Header=BB351_15 Depth=1
	v_bfrev_b32_e32 v50, 1
	s_mov_b32 s17, exec_lo
	v_cmpx_ne_u16_e32 0x80, v17
	s_cbranch_execz .LBB351_953
; %bb.948:                              ;   in Loop: Header=BB351_15 Depth=1
	v_and_b32_e32 v19, 0x7f, v27
	v_mov_b32_e32 v50, 0x7f800001
	s_mov_b32 s18, exec_lo
	s_delay_alu instid0(VALU_DEP_2)
	v_cmpx_ne_u32_e32 0x7f, v19
	s_cbranch_execz .LBB351_952
; %bb.949:                              ;   in Loop: Header=BB351_15 Depth=1
	v_mov_b64_e32 v[22:23], v[48:49]
	v_lshrrev_b32_e32 v17, 3, v19
	s_mov_b32 s19, exec_lo
	v_cmpx_gt_u32_e32 8, v19
; %bb.950:                              ;   in Loop: Header=BB351_15 Depth=1
	v_and_b32_e32 v17, 7, v27
	s_delay_alu instid0(VALU_DEP_1) | instskip(NEXT) | instid1(VALU_DEP_1)
	v_clz_i32_u32_e32 v17, v17
	v_min_u32_e32 v17, 32, v17
	s_delay_alu instid0(VALU_DEP_1) | instskip(SKIP_1) | instid1(VALU_DEP_2)
	v_subrev_nc_u32_e32 v19, 28, v17
	v_sub_nc_u32_e32 v17, 29, v17
	v_lshlrev_b64_e32 v[22:23], v19, v[48:49]
; %bb.951:                              ;   in Loop: Header=BB351_15 Depth=1
	s_or_b32 exec_lo, exec_lo, s19
	s_delay_alu instid0(VALU_DEP_1) | instskip(NEXT) | instid1(VALU_DEP_3)
	v_dual_lshlrev_b32 v19, 20, v22 :: v_dual_lshlrev_b32 v22, 24, v48
	v_lshl_add_u32 v17, v17, 23, 0x3c000000
	s_delay_alu instid0(VALU_DEP_2) | instskip(NEXT) | instid1(VALU_DEP_3)
	v_and_b32_e32 v19, 0x700000, v19
	v_and_b32_e32 v22, 0x80000000, v22
	s_delay_alu instid0(VALU_DEP_1)
	v_or3_b32 v50, v19, v22, v17
.LBB351_952:                            ;   in Loop: Header=BB351_15 Depth=1
	s_or_b32 exec_lo, exec_lo, s18
.LBB351_953:                            ;   in Loop: Header=BB351_15 Depth=1
	s_delay_alu instid0(SALU_CYCLE_1)
	s_or_b32 exec_lo, exec_lo, s17
.LBB351_954:                            ;   in Loop: Header=BB351_15 Depth=1
	s_delay_alu instid0(SALU_CYCLE_1) | instskip(SKIP_2) | instid1(VALU_DEP_1)
	s_or_b32 exec_lo, exec_lo, s16
	v_lshrrev_b16 v17, 8, v48
	s_mov_b32 s16, exec_lo
	v_cmpx_ne_u16_e32 0, v17
	s_cbranch_execz .LBB351_962
; %bb.955:                              ;   in Loop: Header=BB351_15 Depth=1
	v_bfrev_b32_e32 v51, 1
	s_mov_b32 s17, exec_lo
	v_cmpx_ne_u16_e32 0x80, v17
	s_cbranch_execz .LBB351_961
; %bb.956:                              ;   in Loop: Header=BB351_15 Depth=1
	v_and_b32_e32 v17, 0xffff, v17
	v_mov_b32_e32 v51, 0x7f800001
	s_mov_b32 s18, exec_lo
	s_delay_alu instid0(VALU_DEP_2) | instskip(NEXT) | instid1(VALU_DEP_1)
	v_and_b32_e32 v19, 0x7f, v17
	v_cmpx_ne_u32_e32 0x7f, v19
	s_cbranch_execz .LBB351_960
; %bb.957:                              ;   in Loop: Header=BB351_15 Depth=1
	v_dual_mov_b32 v23, v49 :: v_dual_bitop2_b32 v22, 7, v17 bitop3:0x40
	v_lshrrev_b32_e32 v17, 3, v19
	s_mov_b32 s19, exec_lo
	v_cmpx_gt_u32_e32 8, v19
; %bb.958:                              ;   in Loop: Header=BB351_15 Depth=1
	s_delay_alu instid0(VALU_DEP_3) | instskip(NEXT) | instid1(VALU_DEP_1)
	v_clz_i32_u32_e32 v17, v22
	v_min_u32_e32 v17, 32, v17
	s_delay_alu instid0(VALU_DEP_1) | instskip(NEXT) | instid1(VALU_DEP_1)
	v_subrev_nc_u32_e32 v19, 28, v17
	v_lshlrev_b64_e32 v[22:23], v19, v[22:23]
	s_delay_alu instid0(VALU_DEP_1)
	v_dual_sub_nc_u32 v17, 29, v17 :: v_dual_bitop2_b32 v22, 7, v22 bitop3:0x40
; %bb.959:                              ;   in Loop: Header=BB351_15 Depth=1
	s_or_b32 exec_lo, exec_lo, s19
	s_delay_alu instid0(VALU_DEP_1) | instskip(NEXT) | instid1(VALU_DEP_2)
	v_dual_lshlrev_b32 v19, 16, v48 :: v_dual_lshlrev_b32 v22, 20, v22
	v_lshl_add_u32 v17, v17, 23, 0x3c000000
	s_delay_alu instid0(VALU_DEP_2) | instskip(NEXT) | instid1(VALU_DEP_1)
	v_and_b32_e32 v19, 0x80000000, v19
	v_or3_b32 v51, v22, v19, v17
.LBB351_960:                            ;   in Loop: Header=BB351_15 Depth=1
	s_or_b32 exec_lo, exec_lo, s18
.LBB351_961:                            ;   in Loop: Header=BB351_15 Depth=1
	s_delay_alu instid0(SALU_CYCLE_1)
	s_or_b32 exec_lo, exec_lo, s17
.LBB351_962:                            ;   in Loop: Header=BB351_15 Depth=1
	s_delay_alu instid0(SALU_CYCLE_1) | instskip(SKIP_3) | instid1(VALU_DEP_2)
	s_or_b32 exec_lo, exec_lo, s16
	v_dual_lshrrev_b32 v17, 16, v27 :: v_dual_mov_b32 v23, 0
	v_mov_b32_e32 v22, 0
	s_mov_b32 s16, exec_lo
	v_and_b32_e32 v19, 0xff, v17
	s_delay_alu instid0(VALU_DEP_1)
	v_cmpx_ne_u16_e32 0, v19
	s_cbranch_execz .LBB351_970
; %bb.963:                              ;   in Loop: Header=BB351_15 Depth=1
	v_bfrev_b32_e32 v22, 1
	s_mov_b32 s17, exec_lo
	v_cmpx_ne_u16_e32 0x80, v19
	s_cbranch_execz .LBB351_969
; %bb.964:                              ;   in Loop: Header=BB351_15 Depth=1
	v_bfe_u32 v38, v27, 16, 7
	v_mov_b32_e32 v22, 0x7f800001
	s_mov_b32 s18, exec_lo
	s_delay_alu instid0(VALU_DEP_2)
	v_cmpx_ne_u32_e32 0x7f, v38
	s_cbranch_execz .LBB351_968
; %bb.965:                              ;   in Loop: Header=BB351_15 Depth=1
	v_dual_mov_b32 v5, v39 :: v_dual_bitop2_b32 v48, 7, v17 bitop3:0x40
	v_lshrrev_b32_e32 v19, 3, v38
	v_cmp_gt_u32_e64 s1, 8, v38
	s_delay_alu instid0(VALU_DEP_3)
	v_mov_b64_e32 v[38:39], v[48:49]
	s_and_saveexec_b32 s19, s1
; %bb.966:                              ;   in Loop: Header=BB351_15 Depth=1
	v_clz_i32_u32_e32 v19, v48
	s_delay_alu instid0(VALU_DEP_1) | instskip(NEXT) | instid1(VALU_DEP_1)
	v_min_u32_e32 v19, 32, v19
	v_subrev_nc_u32_e32 v22, 28, v19
	s_delay_alu instid0(VALU_DEP_1) | instskip(NEXT) | instid1(VALU_DEP_1)
	v_lshlrev_b64_e32 v[38:39], v22, v[48:49]
	v_dual_sub_nc_u32 v19, 29, v19 :: v_dual_bitop2_b32 v38, 7, v38 bitop3:0x40
; %bb.967:                              ;   in Loop: Header=BB351_15 Depth=1
	s_or_b32 exec_lo, exec_lo, s19
	s_delay_alu instid0(VALU_DEP_1) | instskip(NEXT) | instid1(VALU_DEP_2)
	v_dual_lshlrev_b32 v17, 24, v17 :: v_dual_lshlrev_b32 v22, 20, v38
	v_lshl_add_u32 v19, v19, 23, 0x3c000000
	v_mov_b32_e32 v39, v5
	s_delay_alu instid0(VALU_DEP_3) | instskip(NEXT) | instid1(VALU_DEP_1)
	v_and_b32_e32 v17, 0x80000000, v17
	v_or3_b32 v22, v22, v17, v19
.LBB351_968:                            ;   in Loop: Header=BB351_15 Depth=1
	s_or_b32 exec_lo, exec_lo, s18
.LBB351_969:                            ;   in Loop: Header=BB351_15 Depth=1
	s_delay_alu instid0(SALU_CYCLE_1)
	s_or_b32 exec_lo, exec_lo, s17
.LBB351_970:                            ;   in Loop: Header=BB351_15 Depth=1
	s_delay_alu instid0(SALU_CYCLE_1) | instskip(NEXT) | instid1(SALU_CYCLE_1)
	s_or_b32 exec_lo, exec_lo, s16
	s_mov_b32 s16, exec_lo
	s_clause 0x2
	scratch_store_b64 off, v[52:53], s32 offset:264
	scratch_store_b32 off, v25, s32 offset:276
	scratch_store_b32 off, v24, s32 offset:272
	s_wait_xcnt 0x0
	v_cmpx_lt_u64_e64 s[8:9], v[26:27]
	s_cbranch_execz .LBB351_13
; %bb.971:                              ;   in Loop: Header=BB351_15 Depth=1
	v_lshrrev_b32_e32 v17, 24, v27
	v_bfrev_b32_e32 v23, 1
	s_mov_b32 s17, exec_lo
	s_delay_alu instid0(VALU_DEP_2)
	v_cmpx_ne_u32_e32 0x80, v17
	s_cbranch_execz .LBB351_12
; %bb.972:                              ;   in Loop: Header=BB351_15 Depth=1
	v_bfe_u32 v26, v27, 24, 7
	v_mov_b32_e32 v23, 0x7f800001
	s_mov_b32 s18, exec_lo
	s_delay_alu instid0(VALU_DEP_2)
	v_cmpx_ne_u32_e32 0x7f, v26
	s_cbranch_execz .LBB351_11
; %bb.973:                              ;   in Loop: Header=BB351_15 Depth=1
	v_dual_lshrrev_b32 v19, 3, v26 :: v_dual_bitop2_b32 v48, 7, v17 bitop3:0x40
	v_cmp_gt_u32_e64 s1, 8, v26
	s_delay_alu instid0(VALU_DEP_2)
	v_mov_b64_e32 v[26:27], v[48:49]
	s_and_saveexec_b32 s19, s1
	s_cbranch_execz .LBB351_10
; %bb.974:                              ;   in Loop: Header=BB351_15 Depth=1
	v_clz_i32_u32_e32 v19, v48
	s_delay_alu instid0(VALU_DEP_1) | instskip(NEXT) | instid1(VALU_DEP_1)
	v_min_u32_e32 v19, 32, v19
	v_subrev_nc_u32_e32 v23, 28, v19
	s_delay_alu instid0(VALU_DEP_1) | instskip(NEXT) | instid1(VALU_DEP_1)
	v_lshlrev_b64_e32 v[26:27], v23, v[48:49]
	v_dual_sub_nc_u32 v19, 29, v19 :: v_dual_bitop2_b32 v26, 7, v26 bitop3:0x40
	s_branch .LBB351_10
.LBB351_975:
	s_or_b32 exec_lo, exec_lo, s15
	s_clause 0x5
	scratch_load_b32 v37, off, s32 offset:860
	scratch_load_b32 v38, off, s32 offset:864
	;; [unrolled: 1-line block ×3, first 2 shown]
	scratch_load_b64 v[48:49], off, s32 offset:916
	scratch_load_b32 v17, off, s32 offset:924
	scratch_load_b32 v22, off, s32 offset:928
.LBB351_976:
	s_wait_xcnt 0x0
	s_or_b32 exec_lo, exec_lo, s3
	v_mbcnt_lo_u32_b32 v2, -1, 0
	s_delay_alu instid0(VALU_DEP_1) | instskip(SKIP_1) | instid1(VALU_DEP_2)
	v_dual_max_num_f32 v4, v24, v24 :: v_dual_bitop2_b32 v0, 16, v2 bitop3:0x14
	v_xor_b32_e32 v3, 8, v2
	v_cmp_gt_i32_e32 vcc_lo, 32, v0
	v_cndmask_b32_e32 v0, v2, v0, vcc_lo
	s_delay_alu instid0(VALU_DEP_3) | instskip(NEXT) | instid1(VALU_DEP_2)
	v_cmp_gt_i32_e32 vcc_lo, 32, v3
	v_dual_cndmask_b32 v3, v2, v3 :: v_dual_lshlrev_b32 v0, 2, v0
	ds_bpermute_b32 v1, v0, v24
	s_wait_dscnt 0x0
	v_dual_max_num_f32 v5, v1, v1 :: v_dual_lshlrev_b32 v1, 2, v3
	s_delay_alu instid0(VALU_DEP_1) | instskip(SKIP_4) | instid1(VALU_DEP_1)
	v_dual_max_num_f32 v4, v4, v5 :: v_dual_bitop2_b32 v5, 4, v2 bitop3:0x14
	ds_bpermute_b32 v3, v1, v4
	v_cmp_gt_i32_e32 vcc_lo, 32, v5
	s_wait_dscnt 0x0
	v_dual_cndmask_b32 v5, v2, v5 :: v_dual_max_num_f32 v6, v3, v3
	v_dual_max_num_f32 v4, v4, v6 :: v_dual_lshlrev_b32 v3, 2, v5
	ds_bpermute_b32 v5, v3, v4
	s_wait_dscnt 0x0
	v_dual_max_num_f32 v5, v5, v5 :: v_dual_bitop2_b32 v6, 2, v2 bitop3:0x14
	s_delay_alu instid0(VALU_DEP_1) | instskip(NEXT) | instid1(VALU_DEP_2)
	v_cmp_gt_i32_e32 vcc_lo, 32, v6
	v_dual_max_num_f32 v4, v4, v5 :: v_dual_cndmask_b32 v6, v2, v6, vcc_lo
	s_delay_alu instid0(VALU_DEP_1) | instskip(SKIP_3) | instid1(VALU_DEP_1)
	v_lshlrev_b32_e32 v36, 2, v6
	ds_bpermute_b32 v5, v36, v4
	s_wait_dscnt 0x0
	v_dual_max_num_f32 v5, v5, v5 :: v_dual_bitop2_b32 v6, 1, v2 bitop3:0x14
	v_cmp_gt_i32_e32 vcc_lo, 32, v6
	s_delay_alu instid0(VALU_DEP_2)
	v_dual_cndmask_b32 v6, v2, v6, vcc_lo :: v_dual_max_num_f32 v2, v4, v5
	scratch_load_b32 v4, off, s32 offset:472 ; 4-byte Folded Reload
	v_lshlrev_b32_e32 v39, 2, v6
	ds_bpermute_b32 v5, v39, v2
	s_wait_loadcnt 0x0
	v_cmp_eq_u32_e32 vcc_lo, 0, v4
	v_lshlrev_b32_e32 v4, 2, v38
	s_wait_xcnt 0x0
	s_and_saveexec_b32 s1, vcc_lo
	s_cbranch_execz .LBB351_978
; %bb.977:
	s_wait_dscnt 0x0
	v_dual_max_num_f32 v5, v5, v5 :: v_dual_max_num_f32 v2, v2, v2
	s_delay_alu instid0(VALU_DEP_1)
	v_max_num_f32_e32 v2, v2, v5
	ds_store_b32 v4, v2 offset:240
.LBB351_978:
	s_or_b32 exec_lo, exec_lo, s1
	scratch_load_b32 v2, off, s32 offset:472 ; 4-byte Folded Reload
	s_wait_storecnt 0x0
	s_wait_loadcnt_dscnt 0x0
	s_barrier_signal -1
	s_barrier_wait -1
	v_cmp_gt_u32_e64 s1, 4, v2
	v_mov_b32_e32 v2, 0xff7fffff
	s_and_saveexec_b32 s2, s1
; %bb.979:
	ds_load_b32 v2, v22 offset:240
; %bb.980:
	s_or_b32 exec_lo, exec_lo, s2
	s_wait_dscnt 0x0
	ds_bpermute_b32 v5, v36, v2
	s_wait_dscnt 0x0
	v_dual_max_num_f32 v2, v2, v2 :: v_dual_max_num_f32 v5, v5, v5
	s_delay_alu instid0(VALU_DEP_1) | instskip(SKIP_3) | instid1(VALU_DEP_1)
	v_max_num_f32_e32 v2, v2, v5
	ds_bpermute_b32 v5, v39, v2
	s_wait_dscnt 0x0
	v_max_num_f32_e32 v5, v5, v5
	v_dual_max_num_f32 v2, v2, v5 :: v_dual_mov_b32 v5, 0
	ds_bpermute_b32 v6, v5, v2
	scratch_load_b32 v2, off, s32 offset:192 ; 4-byte Folded Reload
	s_wait_loadcnt 0x0
	v_lshlrev_b32_e32 v2, 5, v2
	s_delay_alu instid0(VALU_DEP_1) | instskip(NEXT) | instid1(VALU_DEP_1)
	v_min_i32_e32 v2, v2, v16
	v_cmp_lt_i32_e64 s2, v37, v2
	s_and_saveexec_b32 s8, s2
	s_cbranch_execz .LBB351_984
; %bb.981:
	s_load_b32 s3, s[6:7], 0x0
	v_dual_mov_b32 v5, 0 :: v_dual_mov_b32 v8, v37
	s_mov_b32 s9, 0
	s_wait_kmcnt 0x0
	v_lshl_add_u32 v7, v37, 2, s3
.LBB351_982:                            ; =>This Inner Loop Header: Depth=1
	ds_load_b32 v9, v7
	v_add_nc_u32_e32 v8, 0x80, v8
	s_delay_alu instid0(VALU_DEP_1) | instskip(SKIP_3) | instid1(VALU_DEP_1)
	v_cmp_ge_i32_e64 s3, v8, v2
	s_or_b32 s9, s3, s9
	s_wait_dscnt 0x0
	v_sub_f32_e32 v9, v9, v6
	v_mul_f32_e32 v9, 0x3fb8aa3b, v9
	s_delay_alu instid0(VALU_DEP_1)
	v_exp_f32_e32 v9, v9
	ds_store_b32 v7, v9
	v_nop
	v_add_f32_e32 v5, v5, v9
	v_add_nc_u32_e32 v7, 0x200, v7
	s_and_not1_b32 exec_lo, exec_lo, s9
	s_cbranch_execnz .LBB351_982
; %bb.983:
	s_or_b32 exec_lo, exec_lo, s9
.LBB351_984:
	s_delay_alu instid0(SALU_CYCLE_1)
	s_or_b32 exec_lo, exec_lo, s8
	ds_bpermute_b32 v0, v0, v5
	s_wait_dscnt 0x0
	v_add_f32_e32 v0, v5, v0
	ds_bpermute_b32 v1, v1, v0
	s_wait_dscnt 0x0
	v_add_f32_e32 v0, v0, v1
	;; [unrolled: 3-line block ×5, first 2 shown]
	s_and_saveexec_b32 s3, vcc_lo
; %bb.985:
	ds_store_b32 v4, v0 offset:256
; %bb.986:
	s_or_b32 exec_lo, exec_lo, s3
	s_wait_dscnt 0x0
	s_barrier_signal -1
	s_barrier_wait -1
	s_and_saveexec_b32 s3, s1
; %bb.987:
	ds_load_b32 v0, v22 offset:256
; %bb.988:
	s_or_b32 exec_lo, exec_lo, s3
	s_wait_dscnt 0x0
	ds_bpermute_b32 v1, v36, v0
	s_wait_dscnt 0x0
	v_dual_mov_b32 v13, 0 :: v_dual_add_f32 v0, v0, v1
	ds_bpermute_b32 v1, v39, v0
	s_wait_dscnt 0x0
	v_add_f32_e32 v0, v0, v1
	ds_bpermute_b32 v0, v13, v0
	s_and_saveexec_b32 s1, s2
	s_cbranch_execz .LBB351_1001
; %bb.989:
	s_wait_dscnt 0x0
	v_add_f32_e32 v0, 0x358637bd, v0
	s_mov_b32 s3, -1
	s_mov_b32 s2, exec_lo
	s_delay_alu instid0(VALU_DEP_1) | instskip(SKIP_1) | instid1(VALU_DEP_2)
	v_div_scale_f32 v1, null, v0, v0, 1.0
	v_div_scale_f32 v5, vcc_lo, 1.0, v0, 1.0
	v_rcp_f32_e32 v4, v1
	v_nop
	s_delay_alu instid0(TRANS32_DEP_1) | instskip(NEXT) | instid1(VALU_DEP_1)
	v_fma_f32 v3, -v1, v4, 1.0
	v_fmac_f32_e32 v4, v3, v4
	s_delay_alu instid0(VALU_DEP_1) | instskip(NEXT) | instid1(VALU_DEP_1)
	v_mul_f32_e32 v6, v5, v4
	v_fma_f32 v3, -v1, v6, v5
	s_delay_alu instid0(VALU_DEP_1) | instskip(SKIP_1) | instid1(VALU_DEP_2)
	v_fmac_f32_e32 v6, v3, v4
	v_xad_u32 v3, v37, -1, v2
	v_fma_f32 v1, -v1, v6, v5
	s_delay_alu instid0(VALU_DEP_1) | instskip(NEXT) | instid1(VALU_DEP_1)
	v_div_fmas_f32 v1, v1, v4, v6
	v_div_fixup_f32 v0, v1, v0, 1.0
	v_mov_b32_e32 v1, v37
	v_cmpx_lt_u32_e32 0x7f, v3
	s_cbranch_execz .LBB351_998
; %bb.990:
	s_delay_alu instid0(VALU_DEP_3) | instskip(NEXT) | instid1(VALU_DEP_1)
	v_dual_lshrrev_b32 v3, 7, v3 :: v_dual_mov_b32 v1, v0
	v_dual_mov_b32 v7, 0 :: v_dual_add_nc_u32 v4, -1, v3
	s_delay_alu instid0(VALU_DEP_1) | instskip(SKIP_1) | instid1(VALU_DEP_2)
	v_lshrrev_b32_e32 v5, 1, v4
	v_cmp_lt_u32_e32 vcc_lo, 13, v4
	v_add_nc_u32_e32 v4, 1, v5
	s_and_saveexec_b32 s3, vcc_lo
	s_cbranch_execz .LBB351_994
; %bb.991:
	s_load_b32 s8, s[6:7], 0x0
	s_delay_alu instid0(VALU_DEP_1)
	v_and_b32_e32 v5, -8, v4
	s_mov_b32 s9, 0
	s_wait_kmcnt 0x0
	v_lshl_add_u32 v6, v37, 2, s8
	s_mov_b32 s8, 0
.LBB351_992:                            ; =>This Inner Loop Header: Depth=1
	ds_load_2addr_stride64_b32 v[8:9], v6 offset1:2
	ds_load_2addr_stride64_b32 v[10:11], v6 offset0:4 offset1:6
	ds_load_2addr_stride64_b32 v[14:15], v6 offset0:8 offset1:10
	;; [unrolled: 1-line block ×7, first 2 shown]
	s_add_co_i32 s9, s9, 16
	s_delay_alu instid0(SALU_CYCLE_1) | instskip(NEXT) | instid1(VALU_DEP_1)
	v_dual_add_nc_u32 v5, -8, v5 :: v_dual_mov_b32 v7, s9
	v_cmp_eq_u32_e32 vcc_lo, 0, v5
	s_or_b32 s8, vcc_lo, s8
	s_wait_dscnt 0x7
	v_pk_mul_f32 v[8:9], v[0:1], v[8:9]
	s_wait_dscnt 0x6
	v_pk_mul_f32 v[10:11], v[0:1], v[10:11]
	;; [unrolled: 2-line block ×8, first 2 shown]
	ds_store_2addr_stride64_b32 v6, v8, v9 offset1:2
	ds_store_2addr_stride64_b32 v6, v10, v11 offset0:4 offset1:6
	ds_store_2addr_stride64_b32 v6, v14, v15 offset0:8 offset1:10
	;; [unrolled: 1-line block ×7, first 2 shown]
	v_add_nc_u32_e32 v6, 0x2000, v6
	s_and_not1_b32 exec_lo, exec_lo, s8
	s_cbranch_execnz .LBB351_992
; %bb.993:
	s_or_b32 exec_lo, exec_lo, s8
.LBB351_994:
	s_delay_alu instid0(SALU_CYCLE_1) | instskip(NEXT) | instid1(VALU_DEP_1)
	s_or_b32 exec_lo, exec_lo, s3
	v_and_b32_e32 v4, 7, v4
	s_mov_b32 s8, 0
	s_mov_b32 s3, exec_lo
	s_delay_alu instid0(VALU_DEP_1)
	v_cmpx_ne_u32_e32 0, v4
	s_cbranch_execz .LBB351_997
; %bb.995:
	s_load_b32 s9, s[6:7], 0x0
	v_dual_lshlrev_b32 v5, 9, v7 :: v_dual_lshlrev_b32 v6, 2, v37
	s_wait_kmcnt 0x0
	s_delay_alu instid0(VALU_DEP_1)
	v_add3_u32 v5, v5, v6, s9
.LBB351_996:                            ; =>This Inner Loop Header: Depth=1
	ds_load_2addr_stride64_b32 v[6:7], v5 offset1:2
	v_add_nc_u32_e32 v4, -1, v4
	s_delay_alu instid0(VALU_DEP_1)
	v_cmp_eq_u32_e32 vcc_lo, 0, v4
	s_or_b32 s8, vcc_lo, s8
	s_wait_dscnt 0x0
	v_pk_mul_f32 v[6:7], v[0:1], v[6:7]
	ds_store_2addr_stride64_b32 v5, v6, v7 offset1:2
	v_add_nc_u32_e32 v5, 0x400, v5
	s_and_not1_b32 exec_lo, exec_lo, s8
	s_cbranch_execnz .LBB351_996
.LBB351_997:
	s_or_b32 exec_lo, exec_lo, s3
	v_add_nc_u32_e32 v1, 1, v3
	s_delay_alu instid0(VALU_DEP_1) | instskip(NEXT) | instid1(VALU_DEP_1)
	v_and_b32_e32 v3, 0x3fffffe, v1
	v_cmp_ne_u32_e32 vcc_lo, v1, v3
	v_lshl_add_u32 v1, v3, 7, v37
	s_or_not1_b32 s3, vcc_lo, exec_lo
.LBB351_998:
	s_or_b32 exec_lo, exec_lo, s2
	s_delay_alu instid0(SALU_CYCLE_1)
	s_and_b32 exec_lo, exec_lo, s3
	s_cbranch_execz .LBB351_1001
; %bb.999:
	s_load_b32 s2, s[6:7], 0x0
	s_wait_kmcnt 0x0
	v_lshl_add_u32 v3, v1, 2, s2
	s_mov_b32 s2, 0
.LBB351_1000:                           ; =>This Inner Loop Header: Depth=1
	ds_load_b32 v4, v3
	s_wait_dscnt 0x0
	v_dual_mul_f32 v4, v0, v4 :: v_dual_add_nc_u32 v1, 0x80, v1
	s_delay_alu instid0(VALU_DEP_1) | instskip(SKIP_3) | instid1(SALU_CYCLE_1)
	v_cmp_ge_i32_e32 vcc_lo, v1, v2
	ds_store_b32 v3, v4
	v_add_nc_u32_e32 v3, 0x200, v3
	s_or_b32 s2, vcc_lo, s2
	s_and_not1_b32 exec_lo, exec_lo, s2
	s_cbranch_execnz .LBB351_1000
.LBB351_1001:
	s_or_b32 exec_lo, exec_lo, s1
	v_dual_mov_b32 v12, 0 :: v_dual_bitop2_b32 v50, 3, v37 bitop3:0x40
	v_dual_mov_b32 v15, 0 :: v_dual_mov_b32 v14, 0
	v_dual_mov_b32 v21, 0 :: v_dual_mov_b32 v20, 0
	;; [unrolled: 1-line block ×6, first 2 shown]
	v_mov_b32_e32 v25, 0
	s_wait_dscnt 0x0
	s_barrier_signal -1
	s_barrier_wait -1
	s_and_saveexec_b32 s1, s0
	s_cbranch_execz .LBB351_1997
; %bb.1002:
	v_dual_mov_b32 v27, 0 :: v_dual_max_i32 v54, v26, v17
	s_clause 0x1
	scratch_store_b32 off, v36, s32 offset:508
	scratch_store_b32 off, v39, s32 offset:500
	v_dual_mov_b32 v10, v38 :: v_dual_lshlrev_b32 v6, 3, v37
	v_cvt_f32_u32_e32 v0, v54
	v_dual_mov_b32 v55, v38 :: v_dual_sub_nc_u32 v4, 0, v54
	v_dual_mov_b32 v12, 0 :: v_dual_mov_b32 v5, v27
	s_delay_alu instid0(VALU_DEP_3)
	v_rcp_iflag_f32_e32 v2, v0
	scratch_load_b64 v[0:1], off, s32 offset:884 th:TH_LOAD_LU ; 8-byte Folded Reload
	v_dual_lshlrev_b32 v7, 5, v50 :: v_dual_mov_b32 v25, 0
	v_dual_mov_b32 v33, 0 :: v_dual_mov_b32 v34, 0
	v_dual_mov_b32 v35, 0 :: v_dual_mov_b32 v30, 0
	v_dual_mul_f32 v3, 0x4f7ffffe, v2 :: v_dual_mov_b32 v32, 0
	s_clause 0x1
	scratch_load_b32 v2, off, s32 offset:892 th:TH_LOAD_LU
	scratch_load_b64 v[18:19], off, s32 offset:876 th:TH_LOAD_LU
	v_mov_b32_e32 v15, 0
	v_cvt_u32_f32_e32 v8, v3
	v_mov_b32_e32 v3, v27
	v_lshl_or_b32 v65, v10, 7, v7
	v_dual_mov_b32 v31, 0 :: v_dual_mov_b32 v28, 0
	s_delay_alu instid0(VALU_DEP_4)
	v_mul_lo_u32 v4, v4, v8
	v_dual_mov_b32 v29, 0 :: v_dual_mov_b32 v20, 0
	v_dual_mov_b32 v21, 0 :: v_dual_mov_b32 v14, 0
	s_mov_b64 s[2:3], 0xffffffffffffff
	s_mov_b32 s8, 0
	v_mov_b32_e32 v13, 0
	s_delay_alu instid0(VALU_DEP_4) | instskip(SKIP_3) | instid1(VALU_DEP_1)
	v_mul_hi_u32 v9, v8, v4
	v_and_b32_e32 v4, 0xf8, v6
	s_wait_loadcnt 0x2
	v_add_nc_u64_e32 v[0:1], v[48:49], v[0:1]
	v_add_nc_u64_e32 v[0:1], v[0:1], v[4:5]
	s_wait_loadcnt 0x1
	v_and_b32_e32 v2, 0x7c, v2
	s_clause 0x1
	scratch_store_b64 off, v[0:1], s32 offset:492
	scratch_load_b64 v[0:1], off, s32 offset:868 th:TH_LOAD_LU
	s_wait_loadcnt 0x1
	v_lshl_add_u64 v[2:3], v[18:19], 2, v[2:3]
	v_dual_mov_b32 v19, v27 :: v_dual_bitop2_b32 v6, 24, v6 bitop3:0x40
	v_add_nc_u32_e32 v18, v8, v9
	s_clause 0x2
	scratch_store_b32 off, v50, s32 offset:516
	scratch_store_b32 off, v6, s32 offset:484
	scratch_store_b64 off, v[18:19], s32 offset:424
	s_wait_loadcnt 0x0
	v_add_nc_u64_e32 v[10:11], v[0:1], v[2:3]
	scratch_load_b64 v[2:3], off, s32 offset:904 ; 8-byte Folded Reload
	s_branch .LBB351_1005
.LBB351_1003:                           ;   in Loop: Header=BB351_1005 Depth=1
	s_or_b32 exec_lo, exec_lo, s0
	s_clause 0x1
	scratch_load_b128 v[82:85], off, s32 offset:456 th:TH_LOAD_LU
	scratch_load_b128 v[42:45], off, s32 offset:440 th:TH_LOAD_LU
	v_perm_b32 v17, v117, v118, 0x5040100
	v_perm_b32 v24, v115, v116, 0x5040100
	;; [unrolled: 1-line block ×16, first 2 shown]
	s_wait_loadcnt 0x1
	v_cvt_pk_bf16_f32 v83, v82, v83
	v_cvt_pk_bf16_f32 v84, v84, v85
	s_wait_loadcnt 0x0
	v_cvt_pk_bf16_f32 v82, v42, v43
	v_perm_b32 v85, v113, v114, 0x5040100
	v_cvt_pk_bf16_f32 v25, v44, v45
	v_pk_mul_bf16 v17, v83, v17
	v_pk_mul_bf16 v24, v84, v24
	;; [unrolled: 1-line block ×5, first 2 shown]
	v_lshlrev_b32_e32 v86, 16, v17
	v_and_b32_e32 v17, 0xffff0000, v17
	v_pk_mul_bf16 v69, v84, v69
	v_pk_mul_bf16 v67, v82, v67
	;; [unrolled: 1-line block ×4, first 2 shown]
	v_dual_add_f32 v17, v86, v17 :: v_dual_lshlrev_b32 v86, 16, v24
	v_and_b32_e32 v24, 0xffff0000, v24
	v_pk_mul_bf16 v3, v82, v3
	v_pk_mul_bf16 v6, v83, v6
	;; [unrolled: 1-line block ×4, first 2 shown]
	v_dual_add_f32 v24, v86, v24 :: v_dual_lshlrev_b32 v86, 16, v85
	v_and_b32_e32 v85, 0xffff0000, v85
	v_pk_mul_bf16 v1, v82, v1
	v_pk_mul_bf16 v0, v25, v0
	s_delay_alu instid0(VALU_DEP_4)
	v_add_f32_e32 v17, v17, v24
	v_perm_b32 v24, v103, v112, 0x5040100
	v_add_f32_e32 v85, v86, v85
	v_perm_b32 v86, v99, v100, 0x5040100
	v_lshlrev_b32_e32 v66, 16, v69
	v_and_b32_e32 v69, 0xffff0000, v69
	v_pk_mul_bf16 v24, v83, v24
	v_dual_add_f32 v17, v17, v85 :: v_dual_lshlrev_b32 v7, 16, v3
	v_and_b32_e32 v3, 0xffff0000, v3
	s_delay_alu instid0(VALU_DEP_3) | instskip(SKIP_1) | instid1(VALU_DEP_3)
	v_dual_add_f32 v66, v66, v69 :: v_dual_lshlrev_b32 v85, 16, v24
	v_and_b32_e32 v24, 0xffff0000, v24
	v_add_f32_e32 v3, v7, v3
	v_perm_b32 v7, v38, v39, 0x5040100
	s_delay_alu instid0(VALU_DEP_3) | instskip(SKIP_1) | instid1(VALU_DEP_3)
	v_dual_add_f32 v24, v85, v24 :: v_dual_lshlrev_b32 v85, 16, v23
	v_and_b32_e32 v23, 0xffff0000, v23
	v_pk_mul_bf16 v7, v82, v7
	s_delay_alu instid0(VALU_DEP_2) | instskip(SKIP_1) | instid1(VALU_DEP_2)
	v_dual_add_f32 v23, v85, v23 :: v_dual_lshlrev_b32 v85, 16, v22
	v_and_b32_e32 v22, 0xffff0000, v22
	v_add_f32_e32 v23, v24, v23
	v_pk_mul_bf16 v24, v82, v86
	s_delay_alu instid0(VALU_DEP_1) | instskip(SKIP_1) | instid1(VALU_DEP_1)
	v_dual_add_f32 v22, v85, v22 :: v_dual_lshlrev_b32 v85, 16, v24
	v_and_b32_e32 v24, 0xffff0000, v24
	v_add_f32_e32 v24, v85, v24
	s_delay_alu instid0(VALU_DEP_3) | instskip(SKIP_1) | instid1(VALU_DEP_3)
	v_add_f32_e32 v17, v17, v22
	v_perm_b32 v22, v98, v81, 0x5040100
	v_add_f32_e32 v23, v23, v24
	v_pk_mul_bf16 v24, v83, v71
	s_delay_alu instid0(VALU_DEP_3) | instskip(NEXT) | instid1(VALU_DEP_2)
	v_pk_mul_bf16 v22, v25, v22
	v_lshlrev_b32_e32 v68, 16, v24
	v_and_b32_e32 v24, 0xffff0000, v24
	s_delay_alu instid0(VALU_DEP_1) | instskip(SKIP_3) | instid1(VALU_DEP_3)
	v_dual_add_f32 v24, v68, v24 :: v_dual_lshlrev_b32 v68, 16, v22
	v_and_b32_e32 v22, 0xffff0000, v22
	v_lshlrev_b32_e32 v69, 16, v67
	v_and_b32_e32 v67, 0xffff0000, v67
	v_add_f32_e32 v22, v68, v22
	s_delay_alu instid0(VALU_DEP_2) | instskip(SKIP_2) | instid1(VALU_DEP_4)
	v_dual_add_f32 v24, v24, v66 :: v_dual_add_f32 v66, v69, v67
	v_lshlrev_b32_e32 v67, 16, v51
	v_and_b32_e32 v51, 0xffff0000, v51
	v_add_f32_e32 v22, v23, v22
	v_perm_b32 v23, v49, v50, 0x5040100
	v_dual_add_f32 v24, v24, v66 :: v_dual_add_f32 v13, v13, v17
	s_delay_alu instid0(VALU_DEP_3) | instskip(NEXT) | instid1(VALU_DEP_3)
	v_dual_add_f32 v48, v67, v51 :: v_dual_add_f32 v12, v12, v22
	v_pk_mul_bf16 v17, v83, v23
	s_delay_alu instid0(VALU_DEP_1) | instskip(SKIP_1) | instid1(VALU_DEP_2)
	v_dual_add_f32 v22, v24, v48 :: v_dual_lshlrev_b32 v4, 16, v17
	v_and_b32_e32 v17, 0xffff0000, v17
	v_dual_lshlrev_b32 v23, 16, v5 :: v_dual_add_f32 v15, v15, v22
	v_and_b32_e32 v5, 0xffff0000, v5
	s_delay_alu instid0(VALU_DEP_3) | instskip(SKIP_1) | instid1(VALU_DEP_3)
	v_add_f32_e32 v4, v4, v17
	v_perm_b32 v17, v36, v37, 0x5040100
	v_dual_add_f32 v5, v23, v5 :: v_dual_lshlrev_b32 v23, 16, v2
	v_and_b32_e32 v2, 0xffff0000, v2
	s_delay_alu instid0(VALU_DEP_2) | instskip(NEXT) | instid1(VALU_DEP_4)
	v_add_f32_e32 v4, v4, v5
	v_pk_mul_bf16 v5, v84, v17
	v_lshlrev_b32_e32 v17, 16, v6
	v_and_b32_e32 v6, 0xffff0000, v6
	s_delay_alu instid0(VALU_DEP_3) | instskip(SKIP_1) | instid1(VALU_DEP_3)
	v_dual_add_f32 v2, v23, v2 :: v_dual_lshlrev_b32 v22, 16, v5
	v_and_b32_e32 v5, 0xffff0000, v5
	v_dual_add_f32 v6, v17, v6 :: v_dual_lshlrev_b32 v17, 16, v7
	v_and_b32_e32 v7, 0xffff0000, v7
	s_delay_alu instid0(VALU_DEP_3) | instskip(SKIP_1) | instid1(VALU_DEP_2)
	v_dual_add_f32 v5, v22, v5 :: v_dual_add_f32 v3, v4, v3
	v_perm_b32 v4, v64, v52, 0x5040100
	v_dual_add_f32 v5, v6, v5 :: v_dual_add_f32 v6, v17, v7
	s_delay_alu instid0(VALU_DEP_3)
	v_add_f32_e32 v2, v3, v2
	v_perm_b32 v7, v126, v127, 0x5040100
	v_perm_b32 v17, v124, v125, 0x5040100
	v_pk_mul_bf16 v4, v25, v4
	v_add_f32_e32 v3, v5, v6
	v_add_f32_e32 v14, v14, v2
	v_pk_mul_bf16 v5, v83, v7
	v_pk_mul_bf16 v7, v84, v17
	v_perm_b32 v17, v122, v123, 0x5040100
	v_lshlrev_b32_e32 v6, 16, v4
	v_and_b32_e32 v4, 0xffff0000, v4
	s_delay_alu instid0(VALU_DEP_4)
	v_dual_lshlrev_b32 v22, 16, v5 :: v_dual_lshlrev_b32 v23, 16, v7
	v_and_b32_e32 v5, 0xffff0000, v5
	v_and_b32_e32 v7, 0xffff0000, v7
	v_pk_mul_bf16 v17, v82, v17
	v_add_f32_e32 v4, v6, v4
	v_perm_b32 v6, v121, v120, 0x5040100
	s_delay_alu instid0(VALU_DEP_4) | instskip(NEXT) | instid1(VALU_DEP_3)
	v_dual_add_f32 v7, v23, v7 :: v_dual_add_f32 v5, v22, v5
	v_dual_add_f32 v3, v3, v4 :: v_dual_lshlrev_b32 v22, 16, v17
	v_and_b32_e32 v17, 0xffff0000, v17
	s_delay_alu instid0(VALU_DEP_4) | instskip(NEXT) | instid1(VALU_DEP_4)
	v_pk_mul_bf16 v2, v25, v6
	v_add_f32_e32 v4, v5, v7
	v_perm_b32 v6, v110, v111, 0x5040100
	s_delay_alu instid0(VALU_DEP_4)
	v_dual_add_f32 v21, v21, v3 :: v_dual_add_f32 v5, v22, v17
	v_perm_b32 v17, v108, v109, 0x5040100
	v_lshlrev_b32_e32 v7, 16, v2
	v_and_b32_e32 v2, 0xffff0000, v2
	v_pk_mul_bf16 v3, v83, v6
	v_add_f32_e32 v4, v4, v5
	v_pk_mul_bf16 v5, v84, v17
	v_perm_b32 v6, v106, v107, 0x5040100
	s_delay_alu instid0(VALU_DEP_4) | instskip(SKIP_1) | instid1(VALU_DEP_4)
	v_dual_add_f32 v2, v7, v2 :: v_dual_lshlrev_b32 v7, 16, v3
	v_and_b32_e32 v3, 0xffff0000, v3
	v_lshlrev_b32_e32 v17, 16, v5
	v_and_b32_e32 v5, 0xffff0000, v5
	v_pk_mul_bf16 v6, v82, v6
	s_delay_alu instid0(VALU_DEP_4) | instskip(SKIP_1) | instid1(VALU_DEP_3)
	v_dual_add_f32 v2, v4, v2 :: v_dual_add_f32 v3, v7, v3
	v_perm_b32 v4, v105, v104, 0x5040100
	v_dual_add_f32 v5, v17, v5 :: v_dual_lshlrev_b32 v7, 16, v6
	v_perm_b32 v17, v94, v95, 0x5040100
	v_and_b32_e32 v6, 0xffff0000, v6
	v_perm_b32 v22, v92, v93, 0x5040100
	v_pk_mul_bf16 v4, v25, v4
	v_add_f32_e32 v3, v3, v5
	v_pk_mul_bf16 v5, v83, v17
	v_add_f32_e32 v6, v7, v6
	v_pk_mul_bf16 v7, v84, v22
	v_perm_b32 v22, v90, v91, 0x5040100
	s_delay_alu instid0(VALU_DEP_4) | instskip(SKIP_1) | instid1(VALU_DEP_4)
	v_dual_lshlrev_b32 v17, 16, v4 :: v_dual_lshlrev_b32 v23, 16, v5
	v_and_b32_e32 v5, 0xffff0000, v5
	v_lshlrev_b32_e32 v24, 16, v7
	v_and_b32_e32 v7, 0xffff0000, v7
	v_pk_mul_bf16 v22, v82, v22
	v_and_b32_e32 v4, 0xffff0000, v4
	v_add_f32_e32 v5, v23, v5
	s_delay_alu instid0(VALU_DEP_4) | instskip(NEXT) | instid1(VALU_DEP_4)
	v_dual_add_f32 v3, v3, v6 :: v_dual_add_f32 v7, v24, v7
	v_lshlrev_b32_e32 v23, 16, v22
	v_and_b32_e32 v22, 0xffff0000, v22
	v_dual_add_f32 v4, v17, v4 :: v_dual_add_f32 v20, v20, v2
	s_delay_alu instid0(VALU_DEP_2) | instskip(SKIP_2) | instid1(VALU_DEP_4)
	v_dual_add_f32 v5, v5, v7 :: v_dual_add_f32 v6, v23, v22
	v_lshlrev_b32_e32 v7, 16, v8
	v_and_b32_e32 v8, 0xffff0000, v8
	v_add_f32_e32 v3, v3, v4
	v_perm_b32 v4, v79, v88, 0x5040100
	v_add_f32_e32 v5, v5, v6
	v_perm_b32 v6, v77, v78, 0x5040100
	s_delay_alu instid0(VALU_DEP_4) | instskip(NEXT) | instid1(VALU_DEP_4)
	v_dual_add_f32 v7, v7, v8 :: v_dual_add_f32 v29, v29, v3
	v_pk_mul_bf16 v2, v83, v4
	v_perm_b32 v8, v62, v63, 0x5040100
	s_delay_alu instid0(VALU_DEP_4) | instskip(NEXT) | instid1(VALU_DEP_4)
	v_pk_mul_bf16 v3, v84, v6
	v_add_f32_e32 v4, v5, v7
	v_perm_b32 v5, v75, v76, 0x5040100
	v_lshlrev_b32_e32 v6, 16, v2
	v_and_b32_e32 v2, 0xffff0000, v2
	s_delay_alu instid0(VALU_DEP_4)
	v_dual_add_f32 v28, v28, v4 :: v_dual_lshlrev_b32 v7, 16, v3
	v_and_b32_e32 v3, 0xffff0000, v3
	v_pk_mul_bf16 v5, v82, v5
	v_perm_b32 v4, v74, v9, 0x5040100
	v_add_f32_e32 v2, v6, v2
	v_perm_b32 v22, v59, v58, 0x5040100
	s_delay_alu instid0(VALU_DEP_4) | instskip(SKIP_3) | instid1(VALU_DEP_4)
	v_dual_add_f32 v3, v7, v3 :: v_dual_lshlrev_b32 v6, 16, v5
	v_perm_b32 v7, v72, v73, 0x5040100
	v_and_b32_e32 v5, 0xffff0000, v5
	v_pk_mul_bf16 v4, v25, v4
	v_add_f32_e32 v2, v2, v3
	s_delay_alu instid0(VALU_DEP_4) | instskip(NEXT) | instid1(VALU_DEP_3)
	v_pk_mul_bf16 v3, v83, v7
	v_dual_add_f32 v5, v6, v5 :: v_dual_lshlrev_b32 v7, 16, v4
	v_pk_mul_bf16 v6, v84, v8
	v_perm_b32 v8, v60, v61, 0x5040100
	s_delay_alu instid0(VALU_DEP_4)
	v_lshlrev_b32_e32 v9, 16, v3
	v_and_b32_e32 v3, 0xffff0000, v3
	v_and_b32_e32 v4, 0xffff0000, v4
	v_lshlrev_b32_e32 v17, 16, v6
	v_and_b32_e32 v6, 0xffff0000, v6
	v_pk_mul_bf16 v8, v82, v8
	v_dual_add_f32 v3, v9, v3 :: v_dual_add_f32 v2, v2, v5
	v_pk_mul_bf16 v5, v25, v22
	s_delay_alu instid0(VALU_DEP_3) | instskip(SKIP_3) | instid1(VALU_DEP_3)
	v_dual_add_f32 v6, v17, v6 :: v_dual_lshlrev_b32 v9, 16, v8
	v_and_b32_e32 v8, 0xffff0000, v8
	v_add_f32_e32 v4, v7, v4
	v_perm_b32 v7, v57, v47, 0x5040100
	v_dual_add_f32 v3, v3, v6 :: v_dual_add_f32 v6, v9, v8
	v_lshlrev_b32_e32 v8, 16, v5
	s_clause 0x1
	scratch_load_b32 v9, off, s32 offset:400 th:TH_LOAD_LU
	scratch_load_b32 v17, off, s32 offset:408 th:TH_LOAD_LU
	v_and_b32_e32 v5, 0xffff0000, v5
	v_dual_add_f32 v2, v2, v4 :: v_dual_add_f32 v3, v3, v6
	v_pk_mul_bf16 v4, v83, v7
	s_delay_alu instid0(VALU_DEP_3)
	v_add_f32_e32 v5, v8, v5
	s_clause 0x1
	scratch_load_b32 v7, off, s32 offset:384 th:TH_LOAD_LU
	scratch_load_b32 v8, off, s32 offset:392 th:TH_LOAD_LU
	s_wait_loadcnt 0x2
	v_perm_b32 v9, v9, v17, 0x5040100
	s_delay_alu instid0(VALU_DEP_1)
	v_pk_mul_bf16 v6, v84, v9
	s_wait_loadcnt 0x0
	v_perm_b32 v7, v7, v8, 0x5040100
	v_lshlrev_b32_e32 v8, 16, v4
	v_and_b32_e32 v4, 0xffff0000, v4
	v_lshlrev_b32_e32 v9, 16, v6
	v_and_b32_e32 v6, 0xffff0000, v6
	v_pk_mul_bf16 v7, v82, v7
	v_add_f32_e32 v31, v31, v2
	v_dual_add_f32 v2, v3, v5 :: v_dual_add_f32 v3, v8, v4
	s_delay_alu instid0(VALU_DEP_3)
	v_dual_add_f32 v4, v9, v6 :: v_dual_lshlrev_b32 v5, 16, v7
	v_and_b32_e32 v6, 0xffff0000, v7
	s_clause 0x1
	scratch_load_b32 v7, off, s32 offset:368 th:TH_LOAD_LU
	scratch_load_b32 v8, off, s32 offset:376 th:TH_LOAD_LU
	v_dual_add_f32 v3, v3, v4 :: v_dual_add_f32 v5, v5, v6
	s_delay_alu instid0(VALU_DEP_1)
	v_dual_add_f32 v30, v30, v2 :: v_dual_add_f32 v3, v3, v5
	s_wait_loadcnt 0x0
	v_perm_b32 v7, v8, v7, 0x5040100
	s_clause 0x1
	scratch_load_b32 v8, off, s32 offset:352 th:TH_LOAD_LU
	scratch_load_b32 v9, off, s32 offset:360 th:TH_LOAD_LU
	v_pk_mul_bf16 v6, v25, v7
	s_wait_loadcnt 0x0
	v_perm_b32 v8, v8, v9, 0x5040100
	s_clause 0x3
	scratch_load_b32 v4, off, s32 offset:336 th:TH_LOAD_LU
	scratch_load_b32 v9, off, s32 offset:344 th:TH_LOAD_LU
	;; [unrolled: 1-line block ×4, first 2 shown]
	v_pk_mul_bf16 v2, v83, v8
	s_wait_loadcnt 0x2
	v_perm_b32 v4, v4, v9, 0x5040100
	s_wait_loadcnt 0x0
	v_perm_b32 v5, v5, v7, 0x5040100
	s_delay_alu instid0(VALU_DEP_2) | instskip(SKIP_2) | instid1(VALU_DEP_4)
	v_pk_mul_bf16 v4, v84, v4
	v_lshlrev_b32_e32 v7, 16, v2
	v_and_b32_e32 v2, 0xffff0000, v2
	v_pk_mul_bf16 v5, v82, v5
	s_delay_alu instid0(VALU_DEP_4) | instskip(SKIP_2) | instid1(VALU_DEP_4)
	v_lshlrev_b32_e32 v8, 16, v4
	v_and_b32_e32 v4, 0xffff0000, v4
	v_lshlrev_b32_e32 v9, 16, v6
	v_dual_add_f32 v2, v7, v2 :: v_dual_lshlrev_b32 v7, 16, v5
	v_and_b32_e32 v5, 0xffff0000, v5
	s_delay_alu instid0(VALU_DEP_4)
	v_add_f32_e32 v4, v8, v4
	s_clause 0x1
	scratch_load_b32 v8, off, s32 offset:312 th:TH_LOAD_LU
	scratch_load_b32 v17, off, s32 offset:316 th:TH_LOAD_LU
	v_and_b32_e32 v6, 0xffff0000, v6
	v_dual_add_f32 v5, v7, v5 :: v_dual_add_f32 v2, v2, v4
	s_delay_alu instid0(VALU_DEP_1) | instskip(NEXT) | instid1(VALU_DEP_1)
	v_dual_add_f32 v6, v9, v6 :: v_dual_add_f32 v2, v2, v5
	v_add_f32_e32 v3, v3, v6
	s_wait_loadcnt 0x0
	v_perm_b32 v8, v17, v8, 0x5040100
	s_clause 0x1
	scratch_load_b32 v17, off, s32 offset:296 th:TH_LOAD_LU
	scratch_load_b32 v22, off, s32 offset:304 th:TH_LOAD_LU
	v_pk_mul_bf16 v8, v25, v8
	s_wait_loadcnt 0x0
	v_perm_b32 v17, v17, v22, 0x5040100
	s_clause 0x3
	scratch_load_b32 v4, off, s32 offset:280 th:TH_LOAD_LU
	scratch_load_b32 v22, off, s32 offset:288 th:TH_LOAD_LU
	;; [unrolled: 1-line block ×4, first 2 shown]
	v_pk_mul_bf16 v7, v83, v17
	s_wait_loadcnt 0x2
	v_perm_b32 v4, v4, v22, 0x5040100
	s_wait_loadcnt 0x0
	v_perm_b32 v5, v5, v9, 0x5040100
	s_delay_alu instid0(VALU_DEP_2) | instskip(SKIP_1) | instid1(VALU_DEP_3)
	v_pk_mul_bf16 v4, v84, v4
	v_lshlrev_b32_e32 v9, 16, v7
	v_pk_mul_bf16 v5, v82, v5
	v_and_b32_e32 v7, 0xffff0000, v7
	s_delay_alu instid0(VALU_DEP_4) | instskip(SKIP_1) | instid1(VALU_DEP_3)
	v_lshlrev_b32_e32 v17, 16, v4
	v_and_b32_e32 v4, 0xffff0000, v4
	v_dual_add_f32 v7, v9, v7 :: v_dual_lshlrev_b32 v22, 16, v8
	v_lshlrev_b32_e32 v9, 16, v5
	v_and_b32_e32 v5, 0xffff0000, v5
	s_delay_alu instid0(VALU_DEP_4)
	v_add_f32_e32 v4, v17, v4
	s_clause 0x1
	scratch_load_b32 v17, off, s32 offset:256 th:TH_LOAD_LU
	scratch_load_b32 v23, off, s32 offset:264 th:TH_LOAD_LU
	v_and_b32_e32 v8, 0xffff0000, v8
	v_dual_add_f32 v5, v9, v5 :: v_dual_add_f32 v4, v7, v4
	s_delay_alu instid0(VALU_DEP_1) | instskip(NEXT) | instid1(VALU_DEP_1)
	v_dual_add_f32 v8, v22, v8 :: v_dual_add_f32 v4, v4, v5
	v_add_f32_e32 v2, v2, v8
	s_delay_alu instid0(VALU_DEP_1)
	v_add_f32_e32 v34, v34, v2
	s_wait_loadcnt 0x0
	v_perm_b32 v17, v23, v17, 0x5040100
	s_clause 0x1
	scratch_load_b32 v23, off, s32 offset:248 th:TH_LOAD_LU
	scratch_load_b32 v24, off, s32 offset:252 th:TH_LOAD_LU
	v_pk_mul_bf16 v9, v25, v17
	s_wait_loadcnt 0x0
	v_perm_b32 v23, v23, v24, 0x5040100
	s_clause 0x1
	scratch_load_b32 v7, off, s32 offset:240 th:TH_LOAD_LU
	scratch_load_b32 v24, off, s32 offset:244 th:TH_LOAD_LU
	v_pk_mul_bf16 v17, v83, v23
	;; [unrolled: 6-line block ×3, first 2 shown]
	v_lshlrev_b32_e32 v5, 16, v9
	v_and_b32_e32 v9, 0xffff0000, v9
	s_delay_alu instid0(VALU_DEP_3) | instskip(SKIP_3) | instid1(VALU_DEP_3)
	v_lshlrev_b32_e32 v23, 16, v7
	v_and_b32_e32 v7, 0xffff0000, v7
	v_lshlrev_b32_e32 v22, 16, v17
	v_and_b32_e32 v17, 0xffff0000, v17
	v_dual_add_f32 v5, v5, v9 :: v_dual_add_f32 v7, v23, v7
	s_delay_alu instid0(VALU_DEP_2)
	v_add_f32_e32 v17, v22, v17
	s_wait_loadcnt 0x0
	v_perm_b32 v24, v24, v36, 0x5040100
	s_clause 0x1
	scratch_load_b32 v36, off, s32 offset:232 th:TH_LOAD_LU
	scratch_load_b32 v37, off, s32 offset:236 th:TH_LOAD_LU
	v_pk_mul_bf16 v22, v82, v24
	v_perm_b32 v24, v40, v41, 0x5040100
	s_delay_alu instid0(VALU_DEP_1) | instskip(SKIP_1) | instid1(VALU_DEP_2)
	v_pk_mul_bf16 v19, v83, v24
	v_pk_mul_bf16 v24, v84, v26
	v_lshlrev_b32_e32 v18, 16, v19
	v_dual_add_f32 v7, v17, v7 :: v_dual_lshlrev_b32 v17, 16, v22
	v_and_b32_e32 v22, 0xffff0000, v22
	s_delay_alu instid0(VALU_DEP_4) | instskip(SKIP_2) | instid1(VALU_DEP_4)
	v_lshlrev_b32_e32 v26, 16, v24
	v_and_b32_e32 v24, 0xffff0000, v24
	v_and_b32_e32 v19, 0xffff0000, v19
	v_dual_add_f32 v17, v17, v22 :: v_dual_lshlrev_b32 v22, 16, v1
	s_delay_alu instid0(VALU_DEP_3) | instskip(SKIP_1) | instid1(VALU_DEP_1)
	v_add_f32_e32 v24, v24, v26
	v_and_b32_e32 v1, 0xffff0000, v1
	v_dual_add_f32 v7, v7, v17 :: v_dual_add_f32 v1, v1, v22
	s_wait_loadcnt 0x0
	v_perm_b32 v36, v37, v36, 0x5040100
	s_delay_alu instid0(VALU_DEP_1) | instskip(SKIP_2) | instid1(VALU_DEP_3)
	v_pk_mul_bf16 v23, v25, v36
	v_lshlrev_b32_e32 v25, 16, v0
	v_and_b32_e32 v0, 0xffff0000, v0
	v_dual_add_f32 v18, v19, v18 :: v_dual_lshlrev_b32 v19, 16, v23
	v_and_b32_e32 v23, 0xffff0000, v23
	s_delay_alu instid0(VALU_DEP_3) | instskip(SKIP_2) | instid1(VALU_DEP_1)
	v_add_f32_e32 v0, v0, v25
	scratch_load_b32 v25, off, s32 offset:432 th:TH_LOAD_LU ; 4-byte Folded Reload
	v_dual_add_f32 v18, v18, v24 :: v_dual_add_f32 v9, v19, v23
	v_add_f32_e32 v1, v18, v1
	v_add_f32_e32 v4, v4, v5
	s_delay_alu instid0(VALU_DEP_2) | instskip(NEXT) | instid1(VALU_DEP_2)
	v_dual_add_f32 v5, v7, v9 :: v_dual_add_f32 v0, v1, v0
	v_dual_add_f32 v35, v35, v3 :: v_dual_add_f32 v33, v33, v4
	s_wait_loadcnt 0x0
	s_delay_alu instid0(VALU_DEP_2)
	v_dual_add_f32 v32, v32, v5 :: v_dual_add_f32 v25, v25, v0
.LBB351_1004:                           ;   in Loop: Header=BB351_1005 Depth=1
	s_wait_xcnt 0x0
	s_or_b32 exec_lo, exec_lo, s9
	scratch_load_b32 v0, off, s32 offset:192 ; 4-byte Folded Reload
	v_dual_mov_b32 v2, v56 :: v_dual_add_nc_u32 v55, 4, v55
	v_add_nc_u64_e32 v[10:11], 16, v[10:11]
	v_add_nc_u32_e32 v65, 0x200, v65
	s_delay_alu instid0(VALU_DEP_3)
	v_add_nc_u32_e32 v2, 0x80, v2
	s_wait_loadcnt 0x0
	v_cmp_ge_i32_e32 vcc_lo, v55, v0
	s_or_b32 s8, vcc_lo, s8
	s_wait_xcnt 0x0
	s_and_not1_b32 exec_lo, exec_lo, s8
	s_cbranch_execz .LBB351_1996
.LBB351_1005:                           ; =>This Inner Loop Header: Depth=1
	s_clause 0x1
	scratch_load_b64 v[0:1], off, s32 offset:208
	scratch_load_b32 v4, off, s32 offset:204
	s_wait_loadcnt 0x2
	v_dual_mov_b32 v3, v27 :: v_dual_mov_b32 v56, v2
	s_wait_loadcnt 0x1
	s_delay_alu instid0(VALU_DEP_1) | instskip(SKIP_1) | instid1(VALU_DEP_1)
	v_mul_u64_e32 v[0:1], v[2:3], v[0:1]
	s_wait_loadcnt 0x0
	v_mul_lo_u32 v0, v1, v4
	s_delay_alu instid0(VALU_DEP_1) | instskip(NEXT) | instid1(VALU_DEP_1)
	v_dual_sub_nc_u32 v0, v2, v0 :: v_dual_add_nc_u32 v2, 1, v1
	v_cmp_ge_u32_e32 vcc_lo, v0, v4
	s_delay_alu instid0(VALU_DEP_2) | instskip(NEXT) | instid1(VALU_DEP_1)
	v_dual_sub_nc_u32 v3, v0, v4 :: v_dual_cndmask_b32 v1, v1, v2, vcc_lo
	v_dual_cndmask_b32 v0, v0, v3, vcc_lo :: v_dual_add_nc_u32 v2, 1, v1
	s_delay_alu instid0(VALU_DEP_1) | instskip(NEXT) | instid1(VALU_DEP_2)
	v_cmp_ge_u32_e32 vcc_lo, v0, v4
	v_cndmask_b32_e32 v0, v1, v2, vcc_lo
	scratch_load_b32 v1, off, s32 offset:216 ; 4-byte Folded Reload
	s_wait_loadcnt 0x0
	v_xor_b32_e32 v0, v0, v1
	s_delay_alu instid0(VALU_DEP_1) | instskip(SKIP_3) | instid1(VALU_DEP_1)
	v_sub_nc_u32_e32 v2, v0, v1
	scratch_load_b32 v0, off, s32 offset:220 ; 4-byte Folded Reload
	s_wait_loadcnt 0x0
	v_add_nc_u32_e32 v3, v2, v0
	v_sub_nc_u32_e32 v0, 0, v3
	s_delay_alu instid0(VALU_DEP_1) | instskip(SKIP_3) | instid1(VALU_DEP_1)
	v_max_i32_e32 v26, v3, v0
	scratch_load_b64 v[0:1], off, s32 offset:424 ; 8-byte Folded Reload
	s_wait_loadcnt 0x0
	v_mul_u64_e32 v[0:1], v[26:27], v[0:1]
	v_mul_lo_u32 v0, v1, v54
	s_delay_alu instid0(VALU_DEP_1) | instskip(NEXT) | instid1(VALU_DEP_1)
	v_sub_nc_u32_e32 v0, v26, v0
	v_sub_nc_u32_e32 v1, v0, v54
	v_cmp_ge_u32_e32 vcc_lo, v0, v54
	s_delay_alu instid0(VALU_DEP_2) | instskip(NEXT) | instid1(VALU_DEP_1)
	v_dual_cndmask_b32 v0, v0, v1 :: v_dual_ashrrev_i32 v3, 31, v3
	v_sub_nc_u32_e32 v1, v0, v54
	v_cmp_ge_u32_e32 vcc_lo, v0, v54
	s_delay_alu instid0(VALU_DEP_2) | instskip(NEXT) | instid1(VALU_DEP_1)
	v_cndmask_b32_e32 v0, v0, v1, vcc_lo
	v_xor_b32_e32 v0, v0, v3
	s_delay_alu instid0(VALU_DEP_1) | instskip(NEXT) | instid1(VALU_DEP_1)
	v_sub_nc_u32_e32 v0, v0, v3
	v_cmp_eq_u32_e32 vcc_lo, 0, v0
	scratch_load_b32 v0, off, s32 offset:224 ; 4-byte Folded Reload
	s_wait_loadcnt 0x0
	v_cmp_gt_i32_e64 s0, v2, v0
	s_or_b32 s0, vcc_lo, s0
	s_wait_xcnt 0x0
	s_and_saveexec_b32 s9, s0
	s_cbranch_execz .LBB351_1004
; %bb.1006:                             ;   in Loop: Header=BB351_1005 Depth=1
	scratch_store_b32 off, v25, s32 offset:432 ; 4-byte Folded Spill
	flat_load_b32 v0, v[10:11]
	s_clause 0x1
	scratch_load_b64 v[2:3], off, s32 offset:416
	scratch_load_b64 v[4:5], off, s32 offset:492
	s_wait_loadcnt_dscnt 0x0
	v_mad_nc_i64_i32 v[0:1], v0, v2, v[4:5]
	flat_load_b64 v[18:19], v[0:1]
	scratch_load_b64 v[2:3], off, s32 offset:476 ; 8-byte Folded Reload
	s_load_b32 s0, s[6:7], 0x0
	s_wait_loadcnt 0x0
	flat_load_b32 v25, v[2:3]
	s_wait_kmcnt 0x0
	v_add_nc_u32_e32 v2, s0, v65
	s_mov_b32 s0, exec_lo
	ds_load_2addr_b64 v[4:7], v2 offset1:1
	s_wait_dscnt 0x0
	scratch_store_b128 off, v[4:7], s32 offset:456 ; 16-byte Folded Spill
	s_wait_xcnt 0x0
	ds_load_2addr_b64 v[2:5], v2 offset0:2 offset1:3
	s_wait_dscnt 0x0
	scratch_store_b128 off, v[2:5], s32 offset:440 ; 16-byte Folded Spill
	s_wait_xcnt 0x0
	v_and_b32_e32 v4, 0xff, v18
	v_dual_mov_b32 v3, 0 :: v_dual_mov_b32 v2, 0
	s_delay_alu instid0(VALU_DEP_2)
	v_cmpx_ne_u16_e32 0, v4
	s_cbranch_execz .LBB351_1014
; %bb.1007:                             ;   in Loop: Header=BB351_1005 Depth=1
	v_bfrev_b32_e32 v2, 1
	s_mov_b32 s14, exec_lo
	v_cmpx_ne_u16_e32 0x80, v4
	s_cbranch_execz .LBB351_1013
; %bb.1008:                             ;   in Loop: Header=BB351_1005 Depth=1
	v_and_b32_e32 v4, 0x7f, v18
	v_mov_b32_e32 v2, 0x7f800001
	s_mov_b32 s15, exec_lo
	s_delay_alu instid0(VALU_DEP_2)
	v_cmpx_ne_u32_e32 0x7f, v4
	s_cbranch_execz .LBB351_1012
; %bb.1009:                             ;   in Loop: Header=BB351_1005 Depth=1
	v_mov_b64_e32 v[22:23], v[18:19]
	v_lshrrev_b32_e32 v2, 3, v4
	s_mov_b32 s16, exec_lo
	v_cmpx_gt_u32_e32 8, v4
; %bb.1010:                             ;   in Loop: Header=BB351_1005 Depth=1
	v_and_b32_e32 v2, 7, v18
	s_delay_alu instid0(VALU_DEP_1) | instskip(NEXT) | instid1(VALU_DEP_1)
	v_clz_i32_u32_e32 v2, v2
	v_min_u32_e32 v2, 32, v2
	s_delay_alu instid0(VALU_DEP_1) | instskip(SKIP_1) | instid1(VALU_DEP_2)
	v_subrev_nc_u32_e32 v4, 28, v2
	v_sub_nc_u32_e32 v2, 29, v2
	v_lshlrev_b64_e32 v[22:23], v4, v[18:19]
; %bb.1011:                             ;   in Loop: Header=BB351_1005 Depth=1
	s_or_b32 exec_lo, exec_lo, s16
	s_delay_alu instid0(VALU_DEP_1) | instskip(SKIP_2) | instid1(VALU_DEP_3)
	v_lshlrev_b32_e32 v4, 20, v22
	v_lshlrev_b32_e32 v5, 24, v18
	v_lshl_add_u32 v2, v2, 23, 0x3c000000
	v_and_b32_e32 v4, 0x700000, v4
	s_delay_alu instid0(VALU_DEP_3) | instskip(NEXT) | instid1(VALU_DEP_1)
	v_and_b32_e32 v5, 0x80000000, v5
	v_or3_b32 v2, v4, v5, v2
.LBB351_1012:                           ;   in Loop: Header=BB351_1005 Depth=1
	s_or_b32 exec_lo, exec_lo, s15
.LBB351_1013:                           ;   in Loop: Header=BB351_1005 Depth=1
	s_delay_alu instid0(SALU_CYCLE_1)
	s_or_b32 exec_lo, exec_lo, s14
.LBB351_1014:                           ;   in Loop: Header=BB351_1005 Depth=1
	s_delay_alu instid0(SALU_CYCLE_1) | instskip(SKIP_2) | instid1(VALU_DEP_1)
	s_or_b32 exec_lo, exec_lo, s0
	v_lshrrev_b16 v4, 8, v18
	s_mov_b32 s0, exec_lo
	v_cmpx_ne_u16_e32 0, v4
	s_cbranch_execz .LBB351_1022
; %bb.1015:                             ;   in Loop: Header=BB351_1005 Depth=1
	v_bfrev_b32_e32 v3, 1
	s_mov_b32 s14, exec_lo
	v_cmpx_ne_u16_e32 0x80, v4
	s_cbranch_execz .LBB351_1021
; %bb.1016:                             ;   in Loop: Header=BB351_1005 Depth=1
	v_and_b32_e32 v5, 0xffff, v4
	v_mov_b32_e32 v3, 0x7f800001
	s_mov_b32 s15, exec_lo
	s_delay_alu instid0(VALU_DEP_2) | instskip(NEXT) | instid1(VALU_DEP_1)
	v_and_b32_e32 v4, 0x7f, v5
	v_cmpx_ne_u32_e32 0x7f, v4
	s_cbranch_execz .LBB351_1020
; %bb.1017:                             ;   in Loop: Header=BB351_1005 Depth=1
	v_dual_lshrrev_b32 v3, 3, v4 :: v_dual_bitop2_b32 v26, 7, v5 bitop3:0x40
	s_mov_b32 s16, exec_lo
	s_delay_alu instid0(VALU_DEP_1)
	v_mov_b64_e32 v[22:23], v[26:27]
	v_cmpx_gt_u32_e32 8, v4
; %bb.1018:                             ;   in Loop: Header=BB351_1005 Depth=1
	v_clz_i32_u32_e32 v3, v26
	s_delay_alu instid0(VALU_DEP_1) | instskip(NEXT) | instid1(VALU_DEP_1)
	v_min_u32_e32 v3, 32, v3
	v_subrev_nc_u32_e32 v4, 28, v3
	s_delay_alu instid0(VALU_DEP_1) | instskip(NEXT) | instid1(VALU_DEP_1)
	v_lshlrev_b64_e32 v[4:5], v4, v[26:27]
	v_dual_sub_nc_u32 v3, 29, v3 :: v_dual_bitop2_b32 v22, 7, v4 bitop3:0x40
; %bb.1019:                             ;   in Loop: Header=BB351_1005 Depth=1
	s_or_b32 exec_lo, exec_lo, s16
	v_lshlrev_b32_e32 v4, 16, v18
	s_delay_alu instid0(VALU_DEP_2) | instskip(NEXT) | instid1(VALU_DEP_3)
	v_lshlrev_b32_e32 v5, 20, v22
	v_lshl_add_u32 v3, v3, 23, 0x3c000000
	s_delay_alu instid0(VALU_DEP_3) | instskip(NEXT) | instid1(VALU_DEP_1)
	v_and_b32_e32 v4, 0x80000000, v4
	v_or3_b32 v3, v5, v4, v3
.LBB351_1020:                           ;   in Loop: Header=BB351_1005 Depth=1
	s_or_b32 exec_lo, exec_lo, s15
.LBB351_1021:                           ;   in Loop: Header=BB351_1005 Depth=1
	s_delay_alu instid0(SALU_CYCLE_1)
	s_or_b32 exec_lo, exec_lo, s14
.LBB351_1022:                           ;   in Loop: Header=BB351_1005 Depth=1
	s_delay_alu instid0(SALU_CYCLE_1) | instskip(SKIP_3) | instid1(VALU_DEP_2)
	s_or_b32 exec_lo, exec_lo, s0
	v_dual_mov_b32 v5, 0 :: v_dual_lshrrev_b32 v6, 16, v18
	v_mov_b32_e32 v4, 0
	s_mov_b32 s0, exec_lo
	v_and_b32_e32 v7, 0xff, v6
	s_delay_alu instid0(VALU_DEP_1)
	v_cmpx_ne_u16_e32 0, v7
	s_cbranch_execz .LBB351_1030
; %bb.1023:                             ;   in Loop: Header=BB351_1005 Depth=1
	v_bfrev_b32_e32 v4, 1
	s_mov_b32 s14, exec_lo
	v_cmpx_ne_u16_e32 0x80, v7
	s_cbranch_execz .LBB351_1029
; %bb.1024:                             ;   in Loop: Header=BB351_1005 Depth=1
	v_bfe_u32 v7, v18, 16, 7
	v_mov_b32_e32 v4, 0x7f800001
	s_mov_b32 s15, exec_lo
	s_delay_alu instid0(VALU_DEP_2)
	v_cmpx_ne_u32_e32 0x7f, v7
	s_cbranch_execz .LBB351_1028
; %bb.1025:                             ;   in Loop: Header=BB351_1005 Depth=1
	v_dual_lshrrev_b32 v4, 3, v7 :: v_dual_bitop2_b32 v26, 7, v6 bitop3:0x40
	s_mov_b32 s16, exec_lo
	s_delay_alu instid0(VALU_DEP_1)
	v_mov_b64_e32 v[22:23], v[26:27]
	v_cmpx_gt_u32_e32 8, v7
; %bb.1026:                             ;   in Loop: Header=BB351_1005 Depth=1
	v_clz_i32_u32_e32 v4, v26
	s_delay_alu instid0(VALU_DEP_1) | instskip(NEXT) | instid1(VALU_DEP_1)
	v_min_u32_e32 v4, 32, v4
	v_subrev_nc_u32_e32 v7, 28, v4
	v_sub_nc_u32_e32 v4, 29, v4
	s_delay_alu instid0(VALU_DEP_2) | instskip(NEXT) | instid1(VALU_DEP_1)
	v_lshlrev_b64_e32 v[8:9], v7, v[26:27]
	v_and_b32_e32 v22, 7, v8
; %bb.1027:                             ;   in Loop: Header=BB351_1005 Depth=1
	s_or_b32 exec_lo, exec_lo, s16
	v_lshlrev_b32_e32 v6, 24, v6
	s_delay_alu instid0(VALU_DEP_2) | instskip(SKIP_1) | instid1(VALU_DEP_3)
	v_lshlrev_b32_e32 v7, 20, v22
	v_lshl_add_u32 v4, v4, 23, 0x3c000000
	v_and_b32_e32 v6, 0x80000000, v6
	s_delay_alu instid0(VALU_DEP_1)
	v_or3_b32 v4, v7, v6, v4
.LBB351_1028:                           ;   in Loop: Header=BB351_1005 Depth=1
	s_or_b32 exec_lo, exec_lo, s15
.LBB351_1029:                           ;   in Loop: Header=BB351_1005 Depth=1
	s_delay_alu instid0(SALU_CYCLE_1)
	s_or_b32 exec_lo, exec_lo, s14
.LBB351_1030:                           ;   in Loop: Header=BB351_1005 Depth=1
	s_delay_alu instid0(SALU_CYCLE_1) | instskip(NEXT) | instid1(SALU_CYCLE_1)
	s_or_b32 exec_lo, exec_lo, s0
	s_mov_b32 s0, exec_lo
	v_cmpx_lt_u32_e32 0xffffff, v18
	s_cbranch_execz .LBB351_1038
; %bb.1031:                             ;   in Loop: Header=BB351_1005 Depth=1
	v_lshrrev_b32_e32 v6, 24, v18
	v_bfrev_b32_e32 v5, 1
	s_mov_b32 s14, exec_lo
	s_delay_alu instid0(VALU_DEP_2)
	v_cmpx_ne_u32_e32 0x80, v6
	s_cbranch_execz .LBB351_1037
; %bb.1032:                             ;   in Loop: Header=BB351_1005 Depth=1
	v_bfe_u32 v7, v18, 24, 7
	v_mov_b32_e32 v5, 0x7f800001
	s_mov_b32 s15, exec_lo
	s_delay_alu instid0(VALU_DEP_2)
	v_cmpx_ne_u32_e32 0x7f, v7
	s_cbranch_execz .LBB351_1036
; %bb.1033:                             ;   in Loop: Header=BB351_1005 Depth=1
	v_dual_lshrrev_b32 v5, 3, v7 :: v_dual_bitop2_b32 v26, 7, v6 bitop3:0x40
	s_mov_b32 s16, exec_lo
	s_delay_alu instid0(VALU_DEP_1)
	v_mov_b64_e32 v[22:23], v[26:27]
	v_cmpx_gt_u32_e32 8, v7
; %bb.1034:                             ;   in Loop: Header=BB351_1005 Depth=1
	v_clz_i32_u32_e32 v5, v26
	s_delay_alu instid0(VALU_DEP_1) | instskip(NEXT) | instid1(VALU_DEP_1)
	v_min_u32_e32 v5, 32, v5
	v_subrev_nc_u32_e32 v7, 28, v5
	s_delay_alu instid0(VALU_DEP_1) | instskip(NEXT) | instid1(VALU_DEP_1)
	v_lshlrev_b64_e32 v[8:9], v7, v[26:27]
	v_dual_sub_nc_u32 v5, 29, v5 :: v_dual_bitop2_b32 v22, 7, v8 bitop3:0x40
; %bb.1035:                             ;   in Loop: Header=BB351_1005 Depth=1
	s_or_b32 exec_lo, exec_lo, s16
	v_lshlrev_b32_e32 v6, 24, v6
	s_delay_alu instid0(VALU_DEP_2) | instskip(NEXT) | instid1(VALU_DEP_3)
	v_lshlrev_b32_e32 v7, 20, v22
	v_lshl_add_u32 v5, v5, 23, 0x3c000000
	s_delay_alu instid0(VALU_DEP_3) | instskip(NEXT) | instid1(VALU_DEP_1)
	v_and_b32_e32 v6, 0x80000000, v6
	v_or3_b32 v5, v7, v6, v5
.LBB351_1036:                           ;   in Loop: Header=BB351_1005 Depth=1
	s_or_b32 exec_lo, exec_lo, s15
.LBB351_1037:                           ;   in Loop: Header=BB351_1005 Depth=1
	s_delay_alu instid0(SALU_CYCLE_1)
	s_or_b32 exec_lo, exec_lo, s14
.LBB351_1038:                           ;   in Loop: Header=BB351_1005 Depth=1
	s_delay_alu instid0(SALU_CYCLE_1) | instskip(SKIP_4) | instid1(VALU_DEP_3)
	s_or_b32 exec_lo, exec_lo, s0
	v_and_b32_e32 v8, 0xff, v19
	v_dual_mov_b32 v26, v19 :: v_dual_mov_b32 v7, 0
	v_mov_b32_e32 v6, 0
	s_mov_b32 s0, exec_lo
	v_cmpx_ne_u16_e32 0, v8
	s_cbranch_execz .LBB351_1046
; %bb.1039:                             ;   in Loop: Header=BB351_1005 Depth=1
	v_bfrev_b32_e32 v6, 1
	s_mov_b32 s14, exec_lo
	v_cmpx_ne_u16_e32 0x80, v8
	s_cbranch_execz .LBB351_1045
; %bb.1040:                             ;   in Loop: Header=BB351_1005 Depth=1
	v_and_b32_e32 v8, 0x7f, v19
	v_mov_b32_e32 v6, 0x7f800001
	s_mov_b32 s15, exec_lo
	s_delay_alu instid0(VALU_DEP_2)
	v_cmpx_ne_u32_e32 0x7f, v8
	s_cbranch_execz .LBB351_1044
; %bb.1041:                             ;   in Loop: Header=BB351_1005 Depth=1
	v_mov_b64_e32 v[22:23], v[26:27]
	v_lshrrev_b32_e32 v6, 3, v8
	s_mov_b32 s16, exec_lo
	v_cmpx_gt_u32_e32 8, v8
; %bb.1042:                             ;   in Loop: Header=BB351_1005 Depth=1
	v_and_b32_e32 v6, 7, v19
	s_delay_alu instid0(VALU_DEP_1) | instskip(NEXT) | instid1(VALU_DEP_1)
	v_clz_i32_u32_e32 v6, v6
	v_min_u32_e32 v6, 32, v6
	s_delay_alu instid0(VALU_DEP_1) | instskip(SKIP_1) | instid1(VALU_DEP_2)
	v_subrev_nc_u32_e32 v8, 28, v6
	v_sub_nc_u32_e32 v6, 29, v6
	v_lshlrev_b64_e32 v[22:23], v8, v[26:27]
; %bb.1043:                             ;   in Loop: Header=BB351_1005 Depth=1
	s_or_b32 exec_lo, exec_lo, s16
	s_delay_alu instid0(VALU_DEP_1) | instskip(SKIP_2) | instid1(VALU_DEP_3)
	v_lshlrev_b32_e32 v8, 20, v22
	v_lshlrev_b32_e32 v9, 24, v26
	v_lshl_add_u32 v6, v6, 23, 0x3c000000
	v_and_b32_e32 v8, 0x700000, v8
	s_delay_alu instid0(VALU_DEP_3) | instskip(NEXT) | instid1(VALU_DEP_1)
	v_and_b32_e32 v9, 0x80000000, v9
	v_or3_b32 v6, v8, v9, v6
.LBB351_1044:                           ;   in Loop: Header=BB351_1005 Depth=1
	s_or_b32 exec_lo, exec_lo, s15
.LBB351_1045:                           ;   in Loop: Header=BB351_1005 Depth=1
	s_delay_alu instid0(SALU_CYCLE_1)
	s_or_b32 exec_lo, exec_lo, s14
.LBB351_1046:                           ;   in Loop: Header=BB351_1005 Depth=1
	s_delay_alu instid0(SALU_CYCLE_1) | instskip(SKIP_2) | instid1(VALU_DEP_1)
	s_or_b32 exec_lo, exec_lo, s0
	v_lshrrev_b16 v8, 8, v26
	s_mov_b32 s0, exec_lo
	v_cmpx_ne_u16_e32 0, v8
	s_cbranch_execz .LBB351_1054
; %bb.1047:                             ;   in Loop: Header=BB351_1005 Depth=1
	v_bfrev_b32_e32 v7, 1
	s_mov_b32 s14, exec_lo
	v_cmpx_ne_u16_e32 0x80, v8
	s_cbranch_execz .LBB351_1053
; %bb.1048:                             ;   in Loop: Header=BB351_1005 Depth=1
	v_and_b32_e32 v9, 0xffff, v8
	v_mov_b32_e32 v7, 0x7f800001
	s_mov_b32 s15, exec_lo
	s_delay_alu instid0(VALU_DEP_2) | instskip(NEXT) | instid1(VALU_DEP_1)
	v_and_b32_e32 v8, 0x7f, v9
	v_cmpx_ne_u32_e32 0x7f, v8
	s_cbranch_execz .LBB351_1052
; %bb.1049:                             ;   in Loop: Header=BB351_1005 Depth=1
	v_dual_mov_b32 v23, v27 :: v_dual_bitop2_b32 v22, 7, v9 bitop3:0x40
	v_lshrrev_b32_e32 v7, 3, v8
	s_mov_b32 s16, exec_lo
	v_cmpx_gt_u32_e32 8, v8
; %bb.1050:                             ;   in Loop: Header=BB351_1005 Depth=1
	s_delay_alu instid0(VALU_DEP_3) | instskip(NEXT) | instid1(VALU_DEP_1)
	v_clz_i32_u32_e32 v7, v22
	v_min_u32_e32 v7, 32, v7
	s_delay_alu instid0(VALU_DEP_1) | instskip(NEXT) | instid1(VALU_DEP_1)
	v_subrev_nc_u32_e32 v8, 28, v7
	v_lshlrev_b64_e32 v[8:9], v8, v[22:23]
	s_delay_alu instid0(VALU_DEP_1)
	v_dual_sub_nc_u32 v7, 29, v7 :: v_dual_bitop2_b32 v22, 7, v8 bitop3:0x40
; %bb.1051:                             ;   in Loop: Header=BB351_1005 Depth=1
	s_or_b32 exec_lo, exec_lo, s16
	v_lshlrev_b32_e32 v8, 16, v26
	s_delay_alu instid0(VALU_DEP_2) | instskip(NEXT) | instid1(VALU_DEP_3)
	v_lshlrev_b32_e32 v9, 20, v22
	v_lshl_add_u32 v7, v7, 23, 0x3c000000
	s_delay_alu instid0(VALU_DEP_3) | instskip(NEXT) | instid1(VALU_DEP_1)
	v_and_b32_e32 v8, 0x80000000, v8
	v_or3_b32 v7, v9, v8, v7
.LBB351_1052:                           ;   in Loop: Header=BB351_1005 Depth=1
	s_or_b32 exec_lo, exec_lo, s15
.LBB351_1053:                           ;   in Loop: Header=BB351_1005 Depth=1
	s_delay_alu instid0(SALU_CYCLE_1)
	s_or_b32 exec_lo, exec_lo, s14
.LBB351_1054:                           ;   in Loop: Header=BB351_1005 Depth=1
	s_delay_alu instid0(SALU_CYCLE_1) | instskip(SKIP_3) | instid1(VALU_DEP_2)
	s_or_b32 exec_lo, exec_lo, s0
	v_dual_mov_b32 v8, 0 :: v_dual_lshrrev_b32 v17, 16, v19
	v_mov_b32_e32 v9, 0
	s_mov_b32 s0, exec_lo
	v_and_b32_e32 v22, 0xff, v17
	s_delay_alu instid0(VALU_DEP_1)
	v_cmpx_ne_u16_e32 0, v22
	s_cbranch_execz .LBB351_1062
; %bb.1055:                             ;   in Loop: Header=BB351_1005 Depth=1
	v_bfrev_b32_e32 v9, 1
	s_mov_b32 s14, exec_lo
	v_cmpx_ne_u16_e32 0x80, v22
	s_cbranch_execz .LBB351_1061
; %bb.1056:                             ;   in Loop: Header=BB351_1005 Depth=1
	v_bfe_u32 v22, v19, 16, 7
	v_mov_b32_e32 v9, 0x7f800001
	s_mov_b32 s15, exec_lo
	s_delay_alu instid0(VALU_DEP_2)
	v_cmpx_ne_u32_e32 0x7f, v22
	s_cbranch_execz .LBB351_1060
; %bb.1057:                             ;   in Loop: Header=BB351_1005 Depth=1
	v_dual_lshrrev_b32 v9, 3, v22 :: v_dual_bitop2_b32 v26, 7, v17 bitop3:0x40
	v_cmp_gt_u32_e32 vcc_lo, 8, v22
	s_delay_alu instid0(VALU_DEP_2)
	v_mov_b64_e32 v[22:23], v[26:27]
	s_and_saveexec_b32 s16, vcc_lo
; %bb.1058:                             ;   in Loop: Header=BB351_1005 Depth=1
	v_clz_i32_u32_e32 v9, v26
	s_delay_alu instid0(VALU_DEP_1) | instskip(NEXT) | instid1(VALU_DEP_1)
	v_min_u32_e32 v9, 32, v9
	v_subrev_nc_u32_e32 v22, 28, v9
	s_delay_alu instid0(VALU_DEP_1) | instskip(NEXT) | instid1(VALU_DEP_1)
	v_lshlrev_b64_e32 v[22:23], v22, v[26:27]
	v_dual_sub_nc_u32 v9, 29, v9 :: v_dual_bitop2_b32 v22, 7, v22 bitop3:0x40
; %bb.1059:                             ;   in Loop: Header=BB351_1005 Depth=1
	s_or_b32 exec_lo, exec_lo, s16
	s_delay_alu instid0(VALU_DEP_1) | instskip(NEXT) | instid1(VALU_DEP_2)
	v_dual_lshlrev_b32 v17, 24, v17 :: v_dual_lshlrev_b32 v22, 20, v22
	v_lshl_add_u32 v9, v9, 23, 0x3c000000
	s_delay_alu instid0(VALU_DEP_2) | instskip(NEXT) | instid1(VALU_DEP_1)
	v_and_b32_e32 v17, 0x80000000, v17
	v_or3_b32 v9, v22, v17, v9
.LBB351_1060:                           ;   in Loop: Header=BB351_1005 Depth=1
	s_or_b32 exec_lo, exec_lo, s15
.LBB351_1061:                           ;   in Loop: Header=BB351_1005 Depth=1
	s_delay_alu instid0(SALU_CYCLE_1)
	s_or_b32 exec_lo, exec_lo, s14
.LBB351_1062:                           ;   in Loop: Header=BB351_1005 Depth=1
	s_delay_alu instid0(SALU_CYCLE_1) | instskip(NEXT) | instid1(SALU_CYCLE_1)
	s_or_b32 exec_lo, exec_lo, s0
	s_mov_b32 s0, exec_lo
	v_cmpx_lt_u64_e64 s[2:3], v[18:19]
	s_cbranch_execz .LBB351_1070
; %bb.1063:                             ;   in Loop: Header=BB351_1005 Depth=1
	v_lshrrev_b32_e32 v17, 24, v19
	v_bfrev_b32_e32 v8, 1
	s_mov_b32 s14, exec_lo
	s_delay_alu instid0(VALU_DEP_2)
	v_cmpx_ne_u32_e32 0x80, v17
	s_cbranch_execz .LBB351_1069
; %bb.1064:                             ;   in Loop: Header=BB351_1005 Depth=1
	v_bfe_u32 v18, v19, 24, 7
	v_mov_b32_e32 v8, 0x7f800001
	s_mov_b32 s15, exec_lo
	s_delay_alu instid0(VALU_DEP_2)
	v_cmpx_ne_u32_e32 0x7f, v18
	s_cbranch_execz .LBB351_1068
; %bb.1065:                             ;   in Loop: Header=BB351_1005 Depth=1
	v_dual_lshrrev_b32 v8, 3, v18 :: v_dual_bitop2_b32 v26, 7, v17 bitop3:0x40
	v_cmp_gt_u32_e32 vcc_lo, 8, v18
	s_delay_alu instid0(VALU_DEP_2)
	v_mov_b64_e32 v[18:19], v[26:27]
	s_and_saveexec_b32 s16, vcc_lo
; %bb.1066:                             ;   in Loop: Header=BB351_1005 Depth=1
	v_clz_i32_u32_e32 v8, v26
	s_delay_alu instid0(VALU_DEP_1) | instskip(NEXT) | instid1(VALU_DEP_1)
	v_min_u32_e32 v8, 32, v8
	v_subrev_nc_u32_e32 v18, 28, v8
	s_delay_alu instid0(VALU_DEP_1) | instskip(NEXT) | instid1(VALU_DEP_1)
	v_lshlrev_b64_e32 v[18:19], v18, v[26:27]
	v_dual_sub_nc_u32 v8, 29, v8 :: v_dual_bitop2_b32 v18, 7, v18 bitop3:0x40
; %bb.1067:                             ;   in Loop: Header=BB351_1005 Depth=1
	s_or_b32 exec_lo, exec_lo, s16
	s_delay_alu instid0(VALU_DEP_1) | instskip(NEXT) | instid1(VALU_DEP_2)
	v_dual_lshlrev_b32 v17, 24, v17 :: v_dual_lshlrev_b32 v18, 20, v18
	v_lshl_add_u32 v8, v8, 23, 0x3c000000
	s_delay_alu instid0(VALU_DEP_2) | instskip(NEXT) | instid1(VALU_DEP_1)
	v_and_b32_e32 v17, 0x80000000, v17
	v_or3_b32 v8, v18, v17, v8
.LBB351_1068:                           ;   in Loop: Header=BB351_1005 Depth=1
	s_or_b32 exec_lo, exec_lo, s15
.LBB351_1069:                           ;   in Loop: Header=BB351_1005 Depth=1
	s_delay_alu instid0(SALU_CYCLE_1)
	s_or_b32 exec_lo, exec_lo, s14
.LBB351_1070:                           ;   in Loop: Header=BB351_1005 Depth=1
	s_delay_alu instid0(SALU_CYCLE_1)
	s_or_b32 exec_lo, exec_lo, s0
	s_clause 0x1
	scratch_load_b32 v17, off, s32 offset:192
	scratch_load_b32 v18, off, s32 offset:484
	s_wait_loadcnt 0x2
	v_fma_mixlo_bf16 v2, v25, v2, 0
	v_fma_mixlo_bf16 v7, v25, v7, 0
	;; [unrolled: 1-line block ×5, first 2 shown]
	scratch_store_b32 off, v2, s32 offset:252 ; 4-byte Folded Spill
	s_wait_xcnt 0x0
	v_fma_mixlo_bf16 v2, v25, v9, 0
	s_clause 0x1
	scratch_store_b32 off, v7, s32 offset:196
	scratch_store_b32 off, v6, s32 offset:228
	v_fma_mixlo_bf16 v3, v25, v3, 0
	s_clause 0x1
	scratch_store_b32 off, v5, s32 offset:240
	scratch_store_b32 off, v2, s32 offset:232
	s_wait_xcnt 0x0
	v_fma_mixlo_bf16 v2, v25, v8, 0
	s_clause 0x2
	scratch_store_b32 off, v4, s32 offset:244
	scratch_store_b32 off, v3, s32 offset:248
	;; [unrolled: 1-line block ×3, first 2 shown]
	s_wait_loadcnt 0x0
	v_dual_add_nc_u32 v17, -1, v17 :: v_dual_add_nc_u32 v85, v18, v56
	s_delay_alu instid0(VALU_DEP_1) | instskip(NEXT) | instid1(VALU_DEP_2)
	v_cmp_eq_u32_e32 vcc_lo, v17, v55
	v_dual_add_nc_u32 v97, 1, v85 :: v_dual_add_nc_u32 v96, 2, v85
	v_dual_add_nc_u32 v87, 3, v85 :: v_dual_add_nc_u32 v86, 4, v85
	;; [unrolled: 1-line block ×3, first 2 shown]
	v_add_nc_u32_e32 v82, 7, v85
	s_wait_xcnt 0x0
	s_and_saveexec_b32 s14, vcc_lo
	s_cbranch_execz .LBB351_1072
; %bb.1071:                             ;   in Loop: Header=BB351_1005 Depth=1
	scratch_load_b32 v2, off, s32 offset:252 ; 4-byte Folded Reload
	v_cmp_lt_i32_e64 s0, v85, v16
	s_wait_loadcnt 0x0
	s_delay_alu instid0(VALU_DEP_1)
	v_cndmask_b32_e64 v2, 0, v2, s0
	v_cmp_lt_i32_e64 s0, v97, v16
	s_clause 0x1
	scratch_store_b32 off, v2, s32 offset:252
	scratch_load_b32 v2, off, s32 offset:248
	s_wait_loadcnt 0x0
	v_cndmask_b32_e64 v2, 0, v2, s0
	v_cmp_lt_i32_e64 s0, v96, v16
	s_clause 0x1
	scratch_store_b32 off, v2, s32 offset:248
	scratch_load_b32 v2, off, s32 offset:244
	s_wait_loadcnt 0x0
	;; [unrolled: 6-line block ×7, first 2 shown]
	v_cndmask_b32_e64 v2, 0, v2, s0
	scratch_store_b32 off, v2, s32 offset:236 ; 4-byte Folded Spill
.LBB351_1072:                           ;   in Loop: Header=BB351_1005 Depth=1
	s_wait_xcnt 0x0
	s_or_b32 exec_lo, exec_lo, s14
	flat_load_b64 v[18:19], v[0:1] offset:256
	v_dual_mov_b32 v3, 0 :: v_dual_mov_b32 v2, 0
	s_mov_b32 s14, exec_lo
	s_wait_loadcnt_dscnt 0x0
	v_and_b32_e32 v4, 0xff, v18
	s_wait_xcnt 0x0
	s_delay_alu instid0(VALU_DEP_1)
	v_cmpx_ne_u16_e32 0, v4
	s_cbranch_execz .LBB351_1080
; %bb.1073:                             ;   in Loop: Header=BB351_1005 Depth=1
	v_bfrev_b32_e32 v2, 1
	s_mov_b32 s15, exec_lo
	v_cmpx_ne_u16_e32 0x80, v4
	s_cbranch_execz .LBB351_1079
; %bb.1074:                             ;   in Loop: Header=BB351_1005 Depth=1
	v_and_b32_e32 v4, 0x7f, v18
	v_mov_b32_e32 v2, 0x7f800001
	s_mov_b32 s16, exec_lo
	s_delay_alu instid0(VALU_DEP_2)
	v_cmpx_ne_u32_e32 0x7f, v4
	s_cbranch_execz .LBB351_1078
; %bb.1075:                             ;   in Loop: Header=BB351_1005 Depth=1
	v_mov_b64_e32 v[22:23], v[18:19]
	v_lshrrev_b32_e32 v2, 3, v4
	s_mov_b32 s17, exec_lo
	v_cmpx_gt_u32_e32 8, v4
; %bb.1076:                             ;   in Loop: Header=BB351_1005 Depth=1
	v_and_b32_e32 v2, 7, v18
	s_delay_alu instid0(VALU_DEP_1) | instskip(NEXT) | instid1(VALU_DEP_1)
	v_clz_i32_u32_e32 v2, v2
	v_min_u32_e32 v2, 32, v2
	s_delay_alu instid0(VALU_DEP_1) | instskip(SKIP_1) | instid1(VALU_DEP_2)
	v_subrev_nc_u32_e32 v4, 28, v2
	v_sub_nc_u32_e32 v2, 29, v2
	v_lshlrev_b64_e32 v[22:23], v4, v[18:19]
; %bb.1077:                             ;   in Loop: Header=BB351_1005 Depth=1
	s_or_b32 exec_lo, exec_lo, s17
	s_delay_alu instid0(VALU_DEP_1) | instskip(SKIP_2) | instid1(VALU_DEP_3)
	v_lshlrev_b32_e32 v4, 20, v22
	v_lshlrev_b32_e32 v5, 24, v18
	v_lshl_add_u32 v2, v2, 23, 0x3c000000
	v_and_b32_e32 v4, 0x700000, v4
	s_delay_alu instid0(VALU_DEP_3) | instskip(NEXT) | instid1(VALU_DEP_1)
	v_and_b32_e32 v5, 0x80000000, v5
	v_or3_b32 v2, v4, v5, v2
.LBB351_1078:                           ;   in Loop: Header=BB351_1005 Depth=1
	s_or_b32 exec_lo, exec_lo, s16
.LBB351_1079:                           ;   in Loop: Header=BB351_1005 Depth=1
	s_delay_alu instid0(SALU_CYCLE_1)
	s_or_b32 exec_lo, exec_lo, s15
.LBB351_1080:                           ;   in Loop: Header=BB351_1005 Depth=1
	s_delay_alu instid0(SALU_CYCLE_1) | instskip(SKIP_2) | instid1(VALU_DEP_1)
	s_or_b32 exec_lo, exec_lo, s14
	v_lshrrev_b16 v4, 8, v18
	s_mov_b32 s14, exec_lo
	v_cmpx_ne_u16_e32 0, v4
	s_cbranch_execz .LBB351_1088
; %bb.1081:                             ;   in Loop: Header=BB351_1005 Depth=1
	v_bfrev_b32_e32 v3, 1
	s_mov_b32 s15, exec_lo
	v_cmpx_ne_u16_e32 0x80, v4
	s_cbranch_execz .LBB351_1087
; %bb.1082:                             ;   in Loop: Header=BB351_1005 Depth=1
	v_and_b32_e32 v5, 0xffff, v4
	v_mov_b32_e32 v3, 0x7f800001
	s_mov_b32 s16, exec_lo
	s_delay_alu instid0(VALU_DEP_2) | instskip(NEXT) | instid1(VALU_DEP_1)
	v_and_b32_e32 v4, 0x7f, v5
	v_cmpx_ne_u32_e32 0x7f, v4
	s_cbranch_execz .LBB351_1086
; %bb.1083:                             ;   in Loop: Header=BB351_1005 Depth=1
	v_dual_lshrrev_b32 v3, 3, v4 :: v_dual_bitop2_b32 v26, 7, v5 bitop3:0x40
	s_mov_b32 s17, exec_lo
	s_delay_alu instid0(VALU_DEP_1)
	v_mov_b64_e32 v[22:23], v[26:27]
	v_cmpx_gt_u32_e32 8, v4
; %bb.1084:                             ;   in Loop: Header=BB351_1005 Depth=1
	v_clz_i32_u32_e32 v3, v26
	s_delay_alu instid0(VALU_DEP_1) | instskip(NEXT) | instid1(VALU_DEP_1)
	v_min_u32_e32 v3, 32, v3
	v_subrev_nc_u32_e32 v4, 28, v3
	s_delay_alu instid0(VALU_DEP_1) | instskip(NEXT) | instid1(VALU_DEP_1)
	v_lshlrev_b64_e32 v[4:5], v4, v[26:27]
	v_dual_sub_nc_u32 v3, 29, v3 :: v_dual_bitop2_b32 v22, 7, v4 bitop3:0x40
; %bb.1085:                             ;   in Loop: Header=BB351_1005 Depth=1
	s_or_b32 exec_lo, exec_lo, s17
	v_lshlrev_b32_e32 v4, 16, v18
	s_delay_alu instid0(VALU_DEP_2) | instskip(NEXT) | instid1(VALU_DEP_3)
	v_lshlrev_b32_e32 v5, 20, v22
	v_lshl_add_u32 v3, v3, 23, 0x3c000000
	s_delay_alu instid0(VALU_DEP_3) | instskip(NEXT) | instid1(VALU_DEP_1)
	v_and_b32_e32 v4, 0x80000000, v4
	v_or3_b32 v3, v5, v4, v3
.LBB351_1086:                           ;   in Loop: Header=BB351_1005 Depth=1
	s_or_b32 exec_lo, exec_lo, s16
.LBB351_1087:                           ;   in Loop: Header=BB351_1005 Depth=1
	s_delay_alu instid0(SALU_CYCLE_1)
	s_or_b32 exec_lo, exec_lo, s15
.LBB351_1088:                           ;   in Loop: Header=BB351_1005 Depth=1
	s_delay_alu instid0(SALU_CYCLE_1) | instskip(SKIP_3) | instid1(VALU_DEP_2)
	s_or_b32 exec_lo, exec_lo, s14
	v_dual_mov_b32 v5, 0 :: v_dual_lshrrev_b32 v6, 16, v18
	v_mov_b32_e32 v4, 0
	s_mov_b32 s14, exec_lo
	v_and_b32_e32 v7, 0xff, v6
	s_delay_alu instid0(VALU_DEP_1)
	v_cmpx_ne_u16_e32 0, v7
	s_cbranch_execz .LBB351_1096
; %bb.1089:                             ;   in Loop: Header=BB351_1005 Depth=1
	v_bfrev_b32_e32 v4, 1
	s_mov_b32 s15, exec_lo
	v_cmpx_ne_u16_e32 0x80, v7
	s_cbranch_execz .LBB351_1095
; %bb.1090:                             ;   in Loop: Header=BB351_1005 Depth=1
	v_bfe_u32 v7, v18, 16, 7
	v_mov_b32_e32 v4, 0x7f800001
	s_mov_b32 s16, exec_lo
	s_delay_alu instid0(VALU_DEP_2)
	v_cmpx_ne_u32_e32 0x7f, v7
	s_cbranch_execz .LBB351_1094
; %bb.1091:                             ;   in Loop: Header=BB351_1005 Depth=1
	v_dual_lshrrev_b32 v4, 3, v7 :: v_dual_bitop2_b32 v26, 7, v6 bitop3:0x40
	s_mov_b32 s17, exec_lo
	s_delay_alu instid0(VALU_DEP_1)
	v_mov_b64_e32 v[22:23], v[26:27]
	v_cmpx_gt_u32_e32 8, v7
; %bb.1092:                             ;   in Loop: Header=BB351_1005 Depth=1
	v_clz_i32_u32_e32 v4, v26
	s_delay_alu instid0(VALU_DEP_1) | instskip(NEXT) | instid1(VALU_DEP_1)
	v_min_u32_e32 v4, 32, v4
	v_subrev_nc_u32_e32 v7, 28, v4
	v_sub_nc_u32_e32 v4, 29, v4
	s_delay_alu instid0(VALU_DEP_2) | instskip(NEXT) | instid1(VALU_DEP_1)
	v_lshlrev_b64_e32 v[8:9], v7, v[26:27]
	v_and_b32_e32 v22, 7, v8
; %bb.1093:                             ;   in Loop: Header=BB351_1005 Depth=1
	s_or_b32 exec_lo, exec_lo, s17
	v_lshlrev_b32_e32 v6, 24, v6
	s_delay_alu instid0(VALU_DEP_2) | instskip(SKIP_1) | instid1(VALU_DEP_3)
	v_lshlrev_b32_e32 v7, 20, v22
	v_lshl_add_u32 v4, v4, 23, 0x3c000000
	v_and_b32_e32 v6, 0x80000000, v6
	s_delay_alu instid0(VALU_DEP_1)
	v_or3_b32 v4, v7, v6, v4
.LBB351_1094:                           ;   in Loop: Header=BB351_1005 Depth=1
	s_or_b32 exec_lo, exec_lo, s16
.LBB351_1095:                           ;   in Loop: Header=BB351_1005 Depth=1
	s_delay_alu instid0(SALU_CYCLE_1)
	s_or_b32 exec_lo, exec_lo, s15
.LBB351_1096:                           ;   in Loop: Header=BB351_1005 Depth=1
	s_delay_alu instid0(SALU_CYCLE_1) | instskip(NEXT) | instid1(SALU_CYCLE_1)
	s_or_b32 exec_lo, exec_lo, s14
	s_mov_b32 s14, exec_lo
	v_cmpx_lt_u32_e32 0xffffff, v18
	s_cbranch_execz .LBB351_1104
; %bb.1097:                             ;   in Loop: Header=BB351_1005 Depth=1
	v_lshrrev_b32_e32 v6, 24, v18
	v_bfrev_b32_e32 v5, 1
	s_mov_b32 s15, exec_lo
	s_delay_alu instid0(VALU_DEP_2)
	v_cmpx_ne_u32_e32 0x80, v6
	s_cbranch_execz .LBB351_1103
; %bb.1098:                             ;   in Loop: Header=BB351_1005 Depth=1
	v_bfe_u32 v7, v18, 24, 7
	v_mov_b32_e32 v5, 0x7f800001
	s_mov_b32 s16, exec_lo
	s_delay_alu instid0(VALU_DEP_2)
	v_cmpx_ne_u32_e32 0x7f, v7
	s_cbranch_execz .LBB351_1102
; %bb.1099:                             ;   in Loop: Header=BB351_1005 Depth=1
	v_dual_lshrrev_b32 v5, 3, v7 :: v_dual_bitop2_b32 v26, 7, v6 bitop3:0x40
	s_mov_b32 s17, exec_lo
	s_delay_alu instid0(VALU_DEP_1)
	v_mov_b64_e32 v[22:23], v[26:27]
	v_cmpx_gt_u32_e32 8, v7
; %bb.1100:                             ;   in Loop: Header=BB351_1005 Depth=1
	v_clz_i32_u32_e32 v5, v26
	s_delay_alu instid0(VALU_DEP_1) | instskip(NEXT) | instid1(VALU_DEP_1)
	v_min_u32_e32 v5, 32, v5
	v_subrev_nc_u32_e32 v7, 28, v5
	s_delay_alu instid0(VALU_DEP_1) | instskip(NEXT) | instid1(VALU_DEP_1)
	v_lshlrev_b64_e32 v[8:9], v7, v[26:27]
	v_dual_sub_nc_u32 v5, 29, v5 :: v_dual_bitop2_b32 v22, 7, v8 bitop3:0x40
; %bb.1101:                             ;   in Loop: Header=BB351_1005 Depth=1
	s_or_b32 exec_lo, exec_lo, s17
	v_lshlrev_b32_e32 v6, 24, v6
	s_delay_alu instid0(VALU_DEP_2) | instskip(NEXT) | instid1(VALU_DEP_3)
	v_lshlrev_b32_e32 v7, 20, v22
	v_lshl_add_u32 v5, v5, 23, 0x3c000000
	s_delay_alu instid0(VALU_DEP_3) | instskip(NEXT) | instid1(VALU_DEP_1)
	v_and_b32_e32 v6, 0x80000000, v6
	v_or3_b32 v5, v7, v6, v5
.LBB351_1102:                           ;   in Loop: Header=BB351_1005 Depth=1
	s_or_b32 exec_lo, exec_lo, s16
.LBB351_1103:                           ;   in Loop: Header=BB351_1005 Depth=1
	s_delay_alu instid0(SALU_CYCLE_1)
	s_or_b32 exec_lo, exec_lo, s15
.LBB351_1104:                           ;   in Loop: Header=BB351_1005 Depth=1
	s_delay_alu instid0(SALU_CYCLE_1) | instskip(SKIP_4) | instid1(VALU_DEP_3)
	s_or_b32 exec_lo, exec_lo, s14
	v_and_b32_e32 v8, 0xff, v19
	v_dual_mov_b32 v26, v19 :: v_dual_mov_b32 v7, 0
	v_mov_b32_e32 v6, 0
	s_mov_b32 s14, exec_lo
	v_cmpx_ne_u16_e32 0, v8
	s_cbranch_execz .LBB351_1112
; %bb.1105:                             ;   in Loop: Header=BB351_1005 Depth=1
	v_bfrev_b32_e32 v6, 1
	s_mov_b32 s15, exec_lo
	v_cmpx_ne_u16_e32 0x80, v8
	s_cbranch_execz .LBB351_1111
; %bb.1106:                             ;   in Loop: Header=BB351_1005 Depth=1
	v_and_b32_e32 v8, 0x7f, v19
	v_mov_b32_e32 v6, 0x7f800001
	s_mov_b32 s16, exec_lo
	s_delay_alu instid0(VALU_DEP_2)
	v_cmpx_ne_u32_e32 0x7f, v8
	s_cbranch_execz .LBB351_1110
; %bb.1107:                             ;   in Loop: Header=BB351_1005 Depth=1
	v_mov_b64_e32 v[22:23], v[26:27]
	v_lshrrev_b32_e32 v6, 3, v8
	s_mov_b32 s17, exec_lo
	v_cmpx_gt_u32_e32 8, v8
; %bb.1108:                             ;   in Loop: Header=BB351_1005 Depth=1
	v_and_b32_e32 v6, 7, v19
	s_delay_alu instid0(VALU_DEP_1) | instskip(NEXT) | instid1(VALU_DEP_1)
	v_clz_i32_u32_e32 v6, v6
	v_min_u32_e32 v6, 32, v6
	s_delay_alu instid0(VALU_DEP_1) | instskip(SKIP_1) | instid1(VALU_DEP_2)
	v_subrev_nc_u32_e32 v8, 28, v6
	v_sub_nc_u32_e32 v6, 29, v6
	v_lshlrev_b64_e32 v[22:23], v8, v[26:27]
; %bb.1109:                             ;   in Loop: Header=BB351_1005 Depth=1
	s_or_b32 exec_lo, exec_lo, s17
	s_delay_alu instid0(VALU_DEP_1) | instskip(SKIP_2) | instid1(VALU_DEP_3)
	v_lshlrev_b32_e32 v8, 20, v22
	v_lshlrev_b32_e32 v9, 24, v26
	v_lshl_add_u32 v6, v6, 23, 0x3c000000
	v_and_b32_e32 v8, 0x700000, v8
	s_delay_alu instid0(VALU_DEP_3) | instskip(NEXT) | instid1(VALU_DEP_1)
	v_and_b32_e32 v9, 0x80000000, v9
	v_or3_b32 v6, v8, v9, v6
.LBB351_1110:                           ;   in Loop: Header=BB351_1005 Depth=1
	s_or_b32 exec_lo, exec_lo, s16
.LBB351_1111:                           ;   in Loop: Header=BB351_1005 Depth=1
	s_delay_alu instid0(SALU_CYCLE_1)
	s_or_b32 exec_lo, exec_lo, s15
.LBB351_1112:                           ;   in Loop: Header=BB351_1005 Depth=1
	s_delay_alu instid0(SALU_CYCLE_1) | instskip(SKIP_2) | instid1(VALU_DEP_1)
	s_or_b32 exec_lo, exec_lo, s14
	v_lshrrev_b16 v8, 8, v26
	s_mov_b32 s14, exec_lo
	v_cmpx_ne_u16_e32 0, v8
	s_cbranch_execz .LBB351_1120
; %bb.1113:                             ;   in Loop: Header=BB351_1005 Depth=1
	v_bfrev_b32_e32 v7, 1
	s_mov_b32 s15, exec_lo
	v_cmpx_ne_u16_e32 0x80, v8
	s_cbranch_execz .LBB351_1119
; %bb.1114:                             ;   in Loop: Header=BB351_1005 Depth=1
	v_and_b32_e32 v9, 0xffff, v8
	v_mov_b32_e32 v7, 0x7f800001
	s_mov_b32 s16, exec_lo
	s_delay_alu instid0(VALU_DEP_2) | instskip(NEXT) | instid1(VALU_DEP_1)
	v_and_b32_e32 v8, 0x7f, v9
	v_cmpx_ne_u32_e32 0x7f, v8
	s_cbranch_execz .LBB351_1118
; %bb.1115:                             ;   in Loop: Header=BB351_1005 Depth=1
	v_dual_mov_b32 v23, v27 :: v_dual_bitop2_b32 v22, 7, v9 bitop3:0x40
	v_lshrrev_b32_e32 v7, 3, v8
	s_mov_b32 s17, exec_lo
	v_cmpx_gt_u32_e32 8, v8
; %bb.1116:                             ;   in Loop: Header=BB351_1005 Depth=1
	s_delay_alu instid0(VALU_DEP_3) | instskip(NEXT) | instid1(VALU_DEP_1)
	v_clz_i32_u32_e32 v7, v22
	v_min_u32_e32 v7, 32, v7
	s_delay_alu instid0(VALU_DEP_1) | instskip(NEXT) | instid1(VALU_DEP_1)
	v_subrev_nc_u32_e32 v8, 28, v7
	v_lshlrev_b64_e32 v[8:9], v8, v[22:23]
	s_delay_alu instid0(VALU_DEP_1)
	v_dual_sub_nc_u32 v7, 29, v7 :: v_dual_bitop2_b32 v22, 7, v8 bitop3:0x40
; %bb.1117:                             ;   in Loop: Header=BB351_1005 Depth=1
	s_or_b32 exec_lo, exec_lo, s17
	v_lshlrev_b32_e32 v8, 16, v26
	s_delay_alu instid0(VALU_DEP_2) | instskip(NEXT) | instid1(VALU_DEP_3)
	v_lshlrev_b32_e32 v9, 20, v22
	v_lshl_add_u32 v7, v7, 23, 0x3c000000
	s_delay_alu instid0(VALU_DEP_3) | instskip(NEXT) | instid1(VALU_DEP_1)
	v_and_b32_e32 v8, 0x80000000, v8
	v_or3_b32 v7, v9, v8, v7
.LBB351_1118:                           ;   in Loop: Header=BB351_1005 Depth=1
	s_or_b32 exec_lo, exec_lo, s16
.LBB351_1119:                           ;   in Loop: Header=BB351_1005 Depth=1
	s_delay_alu instid0(SALU_CYCLE_1)
	s_or_b32 exec_lo, exec_lo, s15
.LBB351_1120:                           ;   in Loop: Header=BB351_1005 Depth=1
	s_delay_alu instid0(SALU_CYCLE_1) | instskip(SKIP_3) | instid1(VALU_DEP_2)
	s_or_b32 exec_lo, exec_lo, s14
	v_dual_mov_b32 v8, 0 :: v_dual_lshrrev_b32 v17, 16, v19
	v_mov_b32_e32 v9, 0
	s_mov_b32 s14, exec_lo
	v_and_b32_e32 v22, 0xff, v17
	s_delay_alu instid0(VALU_DEP_1)
	v_cmpx_ne_u16_e32 0, v22
	s_cbranch_execz .LBB351_1128
; %bb.1121:                             ;   in Loop: Header=BB351_1005 Depth=1
	v_bfrev_b32_e32 v9, 1
	s_mov_b32 s15, exec_lo
	v_cmpx_ne_u16_e32 0x80, v22
	s_cbranch_execz .LBB351_1127
; %bb.1122:                             ;   in Loop: Header=BB351_1005 Depth=1
	v_bfe_u32 v22, v19, 16, 7
	v_mov_b32_e32 v9, 0x7f800001
	s_mov_b32 s16, exec_lo
	s_delay_alu instid0(VALU_DEP_2)
	v_cmpx_ne_u32_e32 0x7f, v22
	s_cbranch_execz .LBB351_1126
; %bb.1123:                             ;   in Loop: Header=BB351_1005 Depth=1
	v_dual_lshrrev_b32 v9, 3, v22 :: v_dual_bitop2_b32 v26, 7, v17 bitop3:0x40
	v_cmp_gt_u32_e64 s0, 8, v22
	s_delay_alu instid0(VALU_DEP_2)
	v_mov_b64_e32 v[22:23], v[26:27]
	s_and_saveexec_b32 s17, s0
; %bb.1124:                             ;   in Loop: Header=BB351_1005 Depth=1
	v_clz_i32_u32_e32 v9, v26
	s_delay_alu instid0(VALU_DEP_1) | instskip(NEXT) | instid1(VALU_DEP_1)
	v_min_u32_e32 v9, 32, v9
	v_subrev_nc_u32_e32 v22, 28, v9
	s_delay_alu instid0(VALU_DEP_1) | instskip(NEXT) | instid1(VALU_DEP_1)
	v_lshlrev_b64_e32 v[22:23], v22, v[26:27]
	v_dual_sub_nc_u32 v9, 29, v9 :: v_dual_bitop2_b32 v22, 7, v22 bitop3:0x40
; %bb.1125:                             ;   in Loop: Header=BB351_1005 Depth=1
	s_or_b32 exec_lo, exec_lo, s17
	s_delay_alu instid0(VALU_DEP_1) | instskip(NEXT) | instid1(VALU_DEP_2)
	v_dual_lshlrev_b32 v17, 24, v17 :: v_dual_lshlrev_b32 v22, 20, v22
	v_lshl_add_u32 v9, v9, 23, 0x3c000000
	s_delay_alu instid0(VALU_DEP_2) | instskip(NEXT) | instid1(VALU_DEP_1)
	v_and_b32_e32 v17, 0x80000000, v17
	v_or3_b32 v9, v22, v17, v9
.LBB351_1126:                           ;   in Loop: Header=BB351_1005 Depth=1
	s_or_b32 exec_lo, exec_lo, s16
.LBB351_1127:                           ;   in Loop: Header=BB351_1005 Depth=1
	s_delay_alu instid0(SALU_CYCLE_1)
	s_or_b32 exec_lo, exec_lo, s15
.LBB351_1128:                           ;   in Loop: Header=BB351_1005 Depth=1
	s_delay_alu instid0(SALU_CYCLE_1) | instskip(NEXT) | instid1(SALU_CYCLE_1)
	s_or_b32 exec_lo, exec_lo, s14
	s_mov_b32 s14, exec_lo
	v_cmpx_lt_u64_e64 s[2:3], v[18:19]
	s_cbranch_execz .LBB351_1136
; %bb.1129:                             ;   in Loop: Header=BB351_1005 Depth=1
	v_lshrrev_b32_e32 v17, 24, v19
	v_bfrev_b32_e32 v8, 1
	s_mov_b32 s15, exec_lo
	s_delay_alu instid0(VALU_DEP_2)
	v_cmpx_ne_u32_e32 0x80, v17
	s_cbranch_execz .LBB351_1135
; %bb.1130:                             ;   in Loop: Header=BB351_1005 Depth=1
	v_bfe_u32 v18, v19, 24, 7
	v_mov_b32_e32 v8, 0x7f800001
	s_mov_b32 s16, exec_lo
	s_delay_alu instid0(VALU_DEP_2)
	v_cmpx_ne_u32_e32 0x7f, v18
	s_cbranch_execz .LBB351_1134
; %bb.1131:                             ;   in Loop: Header=BB351_1005 Depth=1
	v_dual_lshrrev_b32 v8, 3, v18 :: v_dual_bitop2_b32 v26, 7, v17 bitop3:0x40
	v_cmp_gt_u32_e64 s0, 8, v18
	s_delay_alu instid0(VALU_DEP_2)
	v_mov_b64_e32 v[18:19], v[26:27]
	s_and_saveexec_b32 s17, s0
; %bb.1132:                             ;   in Loop: Header=BB351_1005 Depth=1
	v_clz_i32_u32_e32 v8, v26
	s_delay_alu instid0(VALU_DEP_1) | instskip(NEXT) | instid1(VALU_DEP_1)
	v_min_u32_e32 v8, 32, v8
	v_subrev_nc_u32_e32 v18, 28, v8
	s_delay_alu instid0(VALU_DEP_1) | instskip(NEXT) | instid1(VALU_DEP_1)
	v_lshlrev_b64_e32 v[18:19], v18, v[26:27]
	v_dual_sub_nc_u32 v8, 29, v8 :: v_dual_bitop2_b32 v18, 7, v18 bitop3:0x40
; %bb.1133:                             ;   in Loop: Header=BB351_1005 Depth=1
	s_or_b32 exec_lo, exec_lo, s17
	s_delay_alu instid0(VALU_DEP_1) | instskip(NEXT) | instid1(VALU_DEP_2)
	v_dual_lshlrev_b32 v17, 24, v17 :: v_dual_lshlrev_b32 v18, 20, v18
	v_lshl_add_u32 v8, v8, 23, 0x3c000000
	s_delay_alu instid0(VALU_DEP_2) | instskip(NEXT) | instid1(VALU_DEP_1)
	v_and_b32_e32 v17, 0x80000000, v17
	v_or3_b32 v8, v18, v17, v8
.LBB351_1134:                           ;   in Loop: Header=BB351_1005 Depth=1
	s_or_b32 exec_lo, exec_lo, s16
.LBB351_1135:                           ;   in Loop: Header=BB351_1005 Depth=1
	s_delay_alu instid0(SALU_CYCLE_1)
	s_or_b32 exec_lo, exec_lo, s15
.LBB351_1136:                           ;   in Loop: Header=BB351_1005 Depth=1
	s_delay_alu instid0(SALU_CYCLE_1)
	s_or_b32 exec_lo, exec_lo, s14
	v_fma_mixlo_bf16 v2, v25, v2, 0
	v_fma_mixlo_bf16 v7, v25, v7, 0
	;; [unrolled: 1-line block ×5, first 2 shown]
	scratch_store_b32 off, v2, s32 offset:304 ; 4-byte Folded Spill
	s_wait_xcnt 0x0
	v_fma_mixlo_bf16 v2, v25, v9, 0
	scratch_store_b32 off, v7, s32 offset:272 ; 4-byte Folded Spill
	v_fma_mixlo_bf16 v3, v25, v3, 0
	s_clause 0x2
	scratch_store_b32 off, v5, s32 offset:280
	scratch_store_b32 off, v4, s32 offset:288
	;; [unrolled: 1-line block ×3, first 2 shown]
	s_wait_xcnt 0x0
	v_fma_mixlo_bf16 v2, v25, v8, 0
	s_clause 0x2
	scratch_store_b32 off, v6, s32 offset:276
	scratch_store_b32 off, v3, s32 offset:296
	;; [unrolled: 1-line block ×3, first 2 shown]
	s_wait_xcnt 0x0
	s_and_saveexec_b32 s14, vcc_lo
	s_cbranch_execz .LBB351_1138
; %bb.1137:                             ;   in Loop: Header=BB351_1005 Depth=1
	scratch_load_b32 v2, off, s32 offset:304 ; 4-byte Folded Reload
	v_cmp_lt_i32_e64 s0, v85, v16
	s_wait_loadcnt 0x0
	s_delay_alu instid0(VALU_DEP_1)
	v_cndmask_b32_e64 v2, 0, v2, s0
	v_cmp_lt_i32_e64 s0, v97, v16
	s_clause 0x1
	scratch_store_b32 off, v2, s32 offset:304
	scratch_load_b32 v2, off, s32 offset:296
	s_wait_loadcnt 0x0
	v_cndmask_b32_e64 v2, 0, v2, s0
	v_cmp_lt_i32_e64 s0, v96, v16
	s_clause 0x1
	scratch_store_b32 off, v2, s32 offset:296
	scratch_load_b32 v2, off, s32 offset:288
	s_wait_loadcnt 0x0
	;; [unrolled: 6-line block ×7, first 2 shown]
	v_cndmask_b32_e64 v2, 0, v2, s0
	scratch_store_b32 off, v2, s32 offset:264 ; 4-byte Folded Spill
.LBB351_1138:                           ;   in Loop: Header=BB351_1005 Depth=1
	s_wait_xcnt 0x0
	s_or_b32 exec_lo, exec_lo, s14
	flat_load_b64 v[18:19], v[0:1] offset:512
	v_dual_mov_b32 v3, 0 :: v_dual_mov_b32 v2, 0
	s_mov_b32 s14, exec_lo
	s_wait_loadcnt_dscnt 0x0
	v_and_b32_e32 v4, 0xff, v18
	s_wait_xcnt 0x0
	s_delay_alu instid0(VALU_DEP_1)
	v_cmpx_ne_u16_e32 0, v4
	s_cbranch_execz .LBB351_1146
; %bb.1139:                             ;   in Loop: Header=BB351_1005 Depth=1
	v_bfrev_b32_e32 v2, 1
	s_mov_b32 s15, exec_lo
	v_cmpx_ne_u16_e32 0x80, v4
	s_cbranch_execz .LBB351_1145
; %bb.1140:                             ;   in Loop: Header=BB351_1005 Depth=1
	v_and_b32_e32 v4, 0x7f, v18
	v_mov_b32_e32 v2, 0x7f800001
	s_mov_b32 s16, exec_lo
	s_delay_alu instid0(VALU_DEP_2)
	v_cmpx_ne_u32_e32 0x7f, v4
	s_cbranch_execz .LBB351_1144
; %bb.1141:                             ;   in Loop: Header=BB351_1005 Depth=1
	v_mov_b64_e32 v[22:23], v[18:19]
	v_lshrrev_b32_e32 v2, 3, v4
	s_mov_b32 s17, exec_lo
	v_cmpx_gt_u32_e32 8, v4
; %bb.1142:                             ;   in Loop: Header=BB351_1005 Depth=1
	v_and_b32_e32 v2, 7, v18
	s_delay_alu instid0(VALU_DEP_1) | instskip(NEXT) | instid1(VALU_DEP_1)
	v_clz_i32_u32_e32 v2, v2
	v_min_u32_e32 v2, 32, v2
	s_delay_alu instid0(VALU_DEP_1) | instskip(SKIP_1) | instid1(VALU_DEP_2)
	v_subrev_nc_u32_e32 v4, 28, v2
	v_sub_nc_u32_e32 v2, 29, v2
	v_lshlrev_b64_e32 v[22:23], v4, v[18:19]
; %bb.1143:                             ;   in Loop: Header=BB351_1005 Depth=1
	s_or_b32 exec_lo, exec_lo, s17
	s_delay_alu instid0(VALU_DEP_1) | instskip(SKIP_2) | instid1(VALU_DEP_3)
	v_lshlrev_b32_e32 v4, 20, v22
	v_lshlrev_b32_e32 v5, 24, v18
	v_lshl_add_u32 v2, v2, 23, 0x3c000000
	v_and_b32_e32 v4, 0x700000, v4
	s_delay_alu instid0(VALU_DEP_3) | instskip(NEXT) | instid1(VALU_DEP_1)
	v_and_b32_e32 v5, 0x80000000, v5
	v_or3_b32 v2, v4, v5, v2
.LBB351_1144:                           ;   in Loop: Header=BB351_1005 Depth=1
	s_or_b32 exec_lo, exec_lo, s16
.LBB351_1145:                           ;   in Loop: Header=BB351_1005 Depth=1
	s_delay_alu instid0(SALU_CYCLE_1)
	s_or_b32 exec_lo, exec_lo, s15
.LBB351_1146:                           ;   in Loop: Header=BB351_1005 Depth=1
	s_delay_alu instid0(SALU_CYCLE_1) | instskip(SKIP_2) | instid1(VALU_DEP_1)
	s_or_b32 exec_lo, exec_lo, s14
	v_lshrrev_b16 v4, 8, v18
	s_mov_b32 s14, exec_lo
	v_cmpx_ne_u16_e32 0, v4
	s_cbranch_execz .LBB351_1154
; %bb.1147:                             ;   in Loop: Header=BB351_1005 Depth=1
	v_bfrev_b32_e32 v3, 1
	s_mov_b32 s15, exec_lo
	v_cmpx_ne_u16_e32 0x80, v4
	s_cbranch_execz .LBB351_1153
; %bb.1148:                             ;   in Loop: Header=BB351_1005 Depth=1
	v_and_b32_e32 v5, 0xffff, v4
	v_mov_b32_e32 v3, 0x7f800001
	s_mov_b32 s16, exec_lo
	s_delay_alu instid0(VALU_DEP_2) | instskip(NEXT) | instid1(VALU_DEP_1)
	v_and_b32_e32 v4, 0x7f, v5
	v_cmpx_ne_u32_e32 0x7f, v4
	s_cbranch_execz .LBB351_1152
; %bb.1149:                             ;   in Loop: Header=BB351_1005 Depth=1
	v_dual_lshrrev_b32 v3, 3, v4 :: v_dual_bitop2_b32 v26, 7, v5 bitop3:0x40
	s_mov_b32 s17, exec_lo
	s_delay_alu instid0(VALU_DEP_1)
	v_mov_b64_e32 v[22:23], v[26:27]
	v_cmpx_gt_u32_e32 8, v4
; %bb.1150:                             ;   in Loop: Header=BB351_1005 Depth=1
	v_clz_i32_u32_e32 v3, v26
	s_delay_alu instid0(VALU_DEP_1) | instskip(NEXT) | instid1(VALU_DEP_1)
	v_min_u32_e32 v3, 32, v3
	v_subrev_nc_u32_e32 v4, 28, v3
	s_delay_alu instid0(VALU_DEP_1) | instskip(NEXT) | instid1(VALU_DEP_1)
	v_lshlrev_b64_e32 v[4:5], v4, v[26:27]
	v_dual_sub_nc_u32 v3, 29, v3 :: v_dual_bitop2_b32 v22, 7, v4 bitop3:0x40
; %bb.1151:                             ;   in Loop: Header=BB351_1005 Depth=1
	s_or_b32 exec_lo, exec_lo, s17
	v_lshlrev_b32_e32 v4, 16, v18
	s_delay_alu instid0(VALU_DEP_2) | instskip(NEXT) | instid1(VALU_DEP_3)
	v_lshlrev_b32_e32 v5, 20, v22
	v_lshl_add_u32 v3, v3, 23, 0x3c000000
	s_delay_alu instid0(VALU_DEP_3) | instskip(NEXT) | instid1(VALU_DEP_1)
	v_and_b32_e32 v4, 0x80000000, v4
	v_or3_b32 v3, v5, v4, v3
.LBB351_1152:                           ;   in Loop: Header=BB351_1005 Depth=1
	s_or_b32 exec_lo, exec_lo, s16
.LBB351_1153:                           ;   in Loop: Header=BB351_1005 Depth=1
	s_delay_alu instid0(SALU_CYCLE_1)
	s_or_b32 exec_lo, exec_lo, s15
.LBB351_1154:                           ;   in Loop: Header=BB351_1005 Depth=1
	s_delay_alu instid0(SALU_CYCLE_1) | instskip(SKIP_3) | instid1(VALU_DEP_2)
	s_or_b32 exec_lo, exec_lo, s14
	v_dual_mov_b32 v5, 0 :: v_dual_lshrrev_b32 v6, 16, v18
	v_mov_b32_e32 v4, 0
	s_mov_b32 s14, exec_lo
	v_and_b32_e32 v7, 0xff, v6
	s_delay_alu instid0(VALU_DEP_1)
	v_cmpx_ne_u16_e32 0, v7
	s_cbranch_execz .LBB351_1162
; %bb.1155:                             ;   in Loop: Header=BB351_1005 Depth=1
	v_bfrev_b32_e32 v4, 1
	s_mov_b32 s15, exec_lo
	v_cmpx_ne_u16_e32 0x80, v7
	s_cbranch_execz .LBB351_1161
; %bb.1156:                             ;   in Loop: Header=BB351_1005 Depth=1
	v_bfe_u32 v7, v18, 16, 7
	v_mov_b32_e32 v4, 0x7f800001
	s_mov_b32 s16, exec_lo
	s_delay_alu instid0(VALU_DEP_2)
	v_cmpx_ne_u32_e32 0x7f, v7
	s_cbranch_execz .LBB351_1160
; %bb.1157:                             ;   in Loop: Header=BB351_1005 Depth=1
	v_dual_lshrrev_b32 v4, 3, v7 :: v_dual_bitop2_b32 v26, 7, v6 bitop3:0x40
	s_mov_b32 s17, exec_lo
	s_delay_alu instid0(VALU_DEP_1)
	v_mov_b64_e32 v[22:23], v[26:27]
	v_cmpx_gt_u32_e32 8, v7
; %bb.1158:                             ;   in Loop: Header=BB351_1005 Depth=1
	v_clz_i32_u32_e32 v4, v26
	s_delay_alu instid0(VALU_DEP_1) | instskip(NEXT) | instid1(VALU_DEP_1)
	v_min_u32_e32 v4, 32, v4
	v_subrev_nc_u32_e32 v7, 28, v4
	v_sub_nc_u32_e32 v4, 29, v4
	s_delay_alu instid0(VALU_DEP_2) | instskip(NEXT) | instid1(VALU_DEP_1)
	v_lshlrev_b64_e32 v[8:9], v7, v[26:27]
	v_and_b32_e32 v22, 7, v8
; %bb.1159:                             ;   in Loop: Header=BB351_1005 Depth=1
	s_or_b32 exec_lo, exec_lo, s17
	v_lshlrev_b32_e32 v6, 24, v6
	s_delay_alu instid0(VALU_DEP_2) | instskip(SKIP_1) | instid1(VALU_DEP_3)
	v_lshlrev_b32_e32 v7, 20, v22
	v_lshl_add_u32 v4, v4, 23, 0x3c000000
	v_and_b32_e32 v6, 0x80000000, v6
	s_delay_alu instid0(VALU_DEP_1)
	v_or3_b32 v4, v7, v6, v4
.LBB351_1160:                           ;   in Loop: Header=BB351_1005 Depth=1
	s_or_b32 exec_lo, exec_lo, s16
.LBB351_1161:                           ;   in Loop: Header=BB351_1005 Depth=1
	s_delay_alu instid0(SALU_CYCLE_1)
	s_or_b32 exec_lo, exec_lo, s15
.LBB351_1162:                           ;   in Loop: Header=BB351_1005 Depth=1
	s_delay_alu instid0(SALU_CYCLE_1) | instskip(NEXT) | instid1(SALU_CYCLE_1)
	s_or_b32 exec_lo, exec_lo, s14
	s_mov_b32 s14, exec_lo
	v_cmpx_lt_u32_e32 0xffffff, v18
	s_cbranch_execz .LBB351_1170
; %bb.1163:                             ;   in Loop: Header=BB351_1005 Depth=1
	v_lshrrev_b32_e32 v6, 24, v18
	v_bfrev_b32_e32 v5, 1
	s_mov_b32 s15, exec_lo
	s_delay_alu instid0(VALU_DEP_2)
	v_cmpx_ne_u32_e32 0x80, v6
	s_cbranch_execz .LBB351_1169
; %bb.1164:                             ;   in Loop: Header=BB351_1005 Depth=1
	v_bfe_u32 v7, v18, 24, 7
	v_mov_b32_e32 v5, 0x7f800001
	s_mov_b32 s16, exec_lo
	s_delay_alu instid0(VALU_DEP_2)
	v_cmpx_ne_u32_e32 0x7f, v7
	s_cbranch_execz .LBB351_1168
; %bb.1165:                             ;   in Loop: Header=BB351_1005 Depth=1
	v_dual_lshrrev_b32 v5, 3, v7 :: v_dual_bitop2_b32 v26, 7, v6 bitop3:0x40
	s_mov_b32 s17, exec_lo
	s_delay_alu instid0(VALU_DEP_1)
	v_mov_b64_e32 v[22:23], v[26:27]
	v_cmpx_gt_u32_e32 8, v7
; %bb.1166:                             ;   in Loop: Header=BB351_1005 Depth=1
	v_clz_i32_u32_e32 v5, v26
	s_delay_alu instid0(VALU_DEP_1) | instskip(NEXT) | instid1(VALU_DEP_1)
	v_min_u32_e32 v5, 32, v5
	v_subrev_nc_u32_e32 v7, 28, v5
	s_delay_alu instid0(VALU_DEP_1) | instskip(NEXT) | instid1(VALU_DEP_1)
	v_lshlrev_b64_e32 v[8:9], v7, v[26:27]
	v_dual_sub_nc_u32 v5, 29, v5 :: v_dual_bitop2_b32 v22, 7, v8 bitop3:0x40
; %bb.1167:                             ;   in Loop: Header=BB351_1005 Depth=1
	s_or_b32 exec_lo, exec_lo, s17
	v_lshlrev_b32_e32 v6, 24, v6
	s_delay_alu instid0(VALU_DEP_2) | instskip(NEXT) | instid1(VALU_DEP_3)
	v_lshlrev_b32_e32 v7, 20, v22
	v_lshl_add_u32 v5, v5, 23, 0x3c000000
	s_delay_alu instid0(VALU_DEP_3) | instskip(NEXT) | instid1(VALU_DEP_1)
	v_and_b32_e32 v6, 0x80000000, v6
	v_or3_b32 v5, v7, v6, v5
.LBB351_1168:                           ;   in Loop: Header=BB351_1005 Depth=1
	s_or_b32 exec_lo, exec_lo, s16
.LBB351_1169:                           ;   in Loop: Header=BB351_1005 Depth=1
	s_delay_alu instid0(SALU_CYCLE_1)
	s_or_b32 exec_lo, exec_lo, s15
.LBB351_1170:                           ;   in Loop: Header=BB351_1005 Depth=1
	s_delay_alu instid0(SALU_CYCLE_1) | instskip(SKIP_4) | instid1(VALU_DEP_3)
	s_or_b32 exec_lo, exec_lo, s14
	v_and_b32_e32 v8, 0xff, v19
	v_dual_mov_b32 v26, v19 :: v_dual_mov_b32 v7, 0
	v_mov_b32_e32 v6, 0
	s_mov_b32 s14, exec_lo
	v_cmpx_ne_u16_e32 0, v8
	s_cbranch_execz .LBB351_1178
; %bb.1171:                             ;   in Loop: Header=BB351_1005 Depth=1
	v_bfrev_b32_e32 v6, 1
	s_mov_b32 s15, exec_lo
	v_cmpx_ne_u16_e32 0x80, v8
	s_cbranch_execz .LBB351_1177
; %bb.1172:                             ;   in Loop: Header=BB351_1005 Depth=1
	v_and_b32_e32 v8, 0x7f, v19
	v_mov_b32_e32 v6, 0x7f800001
	s_mov_b32 s16, exec_lo
	s_delay_alu instid0(VALU_DEP_2)
	v_cmpx_ne_u32_e32 0x7f, v8
	s_cbranch_execz .LBB351_1176
; %bb.1173:                             ;   in Loop: Header=BB351_1005 Depth=1
	v_mov_b64_e32 v[22:23], v[26:27]
	v_lshrrev_b32_e32 v6, 3, v8
	s_mov_b32 s17, exec_lo
	v_cmpx_gt_u32_e32 8, v8
; %bb.1174:                             ;   in Loop: Header=BB351_1005 Depth=1
	v_and_b32_e32 v6, 7, v19
	s_delay_alu instid0(VALU_DEP_1) | instskip(NEXT) | instid1(VALU_DEP_1)
	v_clz_i32_u32_e32 v6, v6
	v_min_u32_e32 v6, 32, v6
	s_delay_alu instid0(VALU_DEP_1) | instskip(SKIP_1) | instid1(VALU_DEP_2)
	v_subrev_nc_u32_e32 v8, 28, v6
	v_sub_nc_u32_e32 v6, 29, v6
	v_lshlrev_b64_e32 v[22:23], v8, v[26:27]
; %bb.1175:                             ;   in Loop: Header=BB351_1005 Depth=1
	s_or_b32 exec_lo, exec_lo, s17
	s_delay_alu instid0(VALU_DEP_1) | instskip(SKIP_2) | instid1(VALU_DEP_3)
	v_lshlrev_b32_e32 v8, 20, v22
	v_lshlrev_b32_e32 v9, 24, v26
	v_lshl_add_u32 v6, v6, 23, 0x3c000000
	v_and_b32_e32 v8, 0x700000, v8
	s_delay_alu instid0(VALU_DEP_3) | instskip(NEXT) | instid1(VALU_DEP_1)
	v_and_b32_e32 v9, 0x80000000, v9
	v_or3_b32 v6, v8, v9, v6
.LBB351_1176:                           ;   in Loop: Header=BB351_1005 Depth=1
	s_or_b32 exec_lo, exec_lo, s16
.LBB351_1177:                           ;   in Loop: Header=BB351_1005 Depth=1
	s_delay_alu instid0(SALU_CYCLE_1)
	s_or_b32 exec_lo, exec_lo, s15
.LBB351_1178:                           ;   in Loop: Header=BB351_1005 Depth=1
	s_delay_alu instid0(SALU_CYCLE_1) | instskip(SKIP_2) | instid1(VALU_DEP_1)
	s_or_b32 exec_lo, exec_lo, s14
	v_lshrrev_b16 v8, 8, v26
	s_mov_b32 s14, exec_lo
	v_cmpx_ne_u16_e32 0, v8
	s_cbranch_execz .LBB351_1186
; %bb.1179:                             ;   in Loop: Header=BB351_1005 Depth=1
	v_bfrev_b32_e32 v7, 1
	s_mov_b32 s15, exec_lo
	v_cmpx_ne_u16_e32 0x80, v8
	s_cbranch_execz .LBB351_1185
; %bb.1180:                             ;   in Loop: Header=BB351_1005 Depth=1
	v_and_b32_e32 v9, 0xffff, v8
	v_mov_b32_e32 v7, 0x7f800001
	s_mov_b32 s16, exec_lo
	s_delay_alu instid0(VALU_DEP_2) | instskip(NEXT) | instid1(VALU_DEP_1)
	v_and_b32_e32 v8, 0x7f, v9
	v_cmpx_ne_u32_e32 0x7f, v8
	s_cbranch_execz .LBB351_1184
; %bb.1181:                             ;   in Loop: Header=BB351_1005 Depth=1
	v_dual_mov_b32 v23, v27 :: v_dual_bitop2_b32 v22, 7, v9 bitop3:0x40
	v_lshrrev_b32_e32 v7, 3, v8
	s_mov_b32 s17, exec_lo
	v_cmpx_gt_u32_e32 8, v8
; %bb.1182:                             ;   in Loop: Header=BB351_1005 Depth=1
	s_delay_alu instid0(VALU_DEP_3) | instskip(NEXT) | instid1(VALU_DEP_1)
	v_clz_i32_u32_e32 v7, v22
	v_min_u32_e32 v7, 32, v7
	s_delay_alu instid0(VALU_DEP_1) | instskip(NEXT) | instid1(VALU_DEP_1)
	v_subrev_nc_u32_e32 v8, 28, v7
	v_lshlrev_b64_e32 v[8:9], v8, v[22:23]
	s_delay_alu instid0(VALU_DEP_1)
	v_dual_sub_nc_u32 v7, 29, v7 :: v_dual_bitop2_b32 v22, 7, v8 bitop3:0x40
; %bb.1183:                             ;   in Loop: Header=BB351_1005 Depth=1
	s_or_b32 exec_lo, exec_lo, s17
	v_lshlrev_b32_e32 v8, 16, v26
	s_delay_alu instid0(VALU_DEP_2) | instskip(NEXT) | instid1(VALU_DEP_3)
	v_lshlrev_b32_e32 v9, 20, v22
	v_lshl_add_u32 v7, v7, 23, 0x3c000000
	s_delay_alu instid0(VALU_DEP_3) | instskip(NEXT) | instid1(VALU_DEP_1)
	v_and_b32_e32 v8, 0x80000000, v8
	v_or3_b32 v7, v9, v8, v7
.LBB351_1184:                           ;   in Loop: Header=BB351_1005 Depth=1
	s_or_b32 exec_lo, exec_lo, s16
.LBB351_1185:                           ;   in Loop: Header=BB351_1005 Depth=1
	s_delay_alu instid0(SALU_CYCLE_1)
	s_or_b32 exec_lo, exec_lo, s15
.LBB351_1186:                           ;   in Loop: Header=BB351_1005 Depth=1
	s_delay_alu instid0(SALU_CYCLE_1) | instskip(SKIP_3) | instid1(VALU_DEP_2)
	s_or_b32 exec_lo, exec_lo, s14
	v_dual_mov_b32 v8, 0 :: v_dual_lshrrev_b32 v17, 16, v19
	v_mov_b32_e32 v9, 0
	s_mov_b32 s14, exec_lo
	v_and_b32_e32 v22, 0xff, v17
	s_delay_alu instid0(VALU_DEP_1)
	v_cmpx_ne_u16_e32 0, v22
	s_cbranch_execz .LBB351_1194
; %bb.1187:                             ;   in Loop: Header=BB351_1005 Depth=1
	v_bfrev_b32_e32 v9, 1
	s_mov_b32 s15, exec_lo
	v_cmpx_ne_u16_e32 0x80, v22
	s_cbranch_execz .LBB351_1193
; %bb.1188:                             ;   in Loop: Header=BB351_1005 Depth=1
	v_bfe_u32 v22, v19, 16, 7
	v_mov_b32_e32 v9, 0x7f800001
	s_mov_b32 s16, exec_lo
	s_delay_alu instid0(VALU_DEP_2)
	v_cmpx_ne_u32_e32 0x7f, v22
	s_cbranch_execz .LBB351_1192
; %bb.1189:                             ;   in Loop: Header=BB351_1005 Depth=1
	v_dual_lshrrev_b32 v9, 3, v22 :: v_dual_bitop2_b32 v26, 7, v17 bitop3:0x40
	v_cmp_gt_u32_e64 s0, 8, v22
	s_delay_alu instid0(VALU_DEP_2)
	v_mov_b64_e32 v[22:23], v[26:27]
	s_and_saveexec_b32 s17, s0
; %bb.1190:                             ;   in Loop: Header=BB351_1005 Depth=1
	v_clz_i32_u32_e32 v9, v26
	s_delay_alu instid0(VALU_DEP_1) | instskip(NEXT) | instid1(VALU_DEP_1)
	v_min_u32_e32 v9, 32, v9
	v_subrev_nc_u32_e32 v22, 28, v9
	s_delay_alu instid0(VALU_DEP_1) | instskip(NEXT) | instid1(VALU_DEP_1)
	v_lshlrev_b64_e32 v[22:23], v22, v[26:27]
	v_dual_sub_nc_u32 v9, 29, v9 :: v_dual_bitop2_b32 v22, 7, v22 bitop3:0x40
; %bb.1191:                             ;   in Loop: Header=BB351_1005 Depth=1
	s_or_b32 exec_lo, exec_lo, s17
	s_delay_alu instid0(VALU_DEP_1) | instskip(NEXT) | instid1(VALU_DEP_2)
	v_dual_lshlrev_b32 v17, 24, v17 :: v_dual_lshlrev_b32 v22, 20, v22
	v_lshl_add_u32 v9, v9, 23, 0x3c000000
	s_delay_alu instid0(VALU_DEP_2) | instskip(NEXT) | instid1(VALU_DEP_1)
	v_and_b32_e32 v17, 0x80000000, v17
	v_or3_b32 v9, v22, v17, v9
.LBB351_1192:                           ;   in Loop: Header=BB351_1005 Depth=1
	s_or_b32 exec_lo, exec_lo, s16
.LBB351_1193:                           ;   in Loop: Header=BB351_1005 Depth=1
	s_delay_alu instid0(SALU_CYCLE_1)
	s_or_b32 exec_lo, exec_lo, s15
.LBB351_1194:                           ;   in Loop: Header=BB351_1005 Depth=1
	s_delay_alu instid0(SALU_CYCLE_1) | instskip(NEXT) | instid1(SALU_CYCLE_1)
	s_or_b32 exec_lo, exec_lo, s14
	s_mov_b32 s14, exec_lo
	v_cmpx_lt_u64_e64 s[2:3], v[18:19]
	s_cbranch_execz .LBB351_1202
; %bb.1195:                             ;   in Loop: Header=BB351_1005 Depth=1
	v_lshrrev_b32_e32 v17, 24, v19
	v_bfrev_b32_e32 v8, 1
	s_mov_b32 s15, exec_lo
	s_delay_alu instid0(VALU_DEP_2)
	v_cmpx_ne_u32_e32 0x80, v17
	s_cbranch_execz .LBB351_1201
; %bb.1196:                             ;   in Loop: Header=BB351_1005 Depth=1
	v_bfe_u32 v18, v19, 24, 7
	v_mov_b32_e32 v8, 0x7f800001
	s_mov_b32 s16, exec_lo
	s_delay_alu instid0(VALU_DEP_2)
	v_cmpx_ne_u32_e32 0x7f, v18
	s_cbranch_execz .LBB351_1200
; %bb.1197:                             ;   in Loop: Header=BB351_1005 Depth=1
	v_dual_lshrrev_b32 v8, 3, v18 :: v_dual_bitop2_b32 v26, 7, v17 bitop3:0x40
	v_cmp_gt_u32_e64 s0, 8, v18
	s_delay_alu instid0(VALU_DEP_2)
	v_mov_b64_e32 v[18:19], v[26:27]
	s_and_saveexec_b32 s17, s0
; %bb.1198:                             ;   in Loop: Header=BB351_1005 Depth=1
	v_clz_i32_u32_e32 v8, v26
	s_delay_alu instid0(VALU_DEP_1) | instskip(NEXT) | instid1(VALU_DEP_1)
	v_min_u32_e32 v8, 32, v8
	v_subrev_nc_u32_e32 v18, 28, v8
	s_delay_alu instid0(VALU_DEP_1) | instskip(NEXT) | instid1(VALU_DEP_1)
	v_lshlrev_b64_e32 v[18:19], v18, v[26:27]
	v_dual_sub_nc_u32 v8, 29, v8 :: v_dual_bitop2_b32 v18, 7, v18 bitop3:0x40
; %bb.1199:                             ;   in Loop: Header=BB351_1005 Depth=1
	s_or_b32 exec_lo, exec_lo, s17
	s_delay_alu instid0(VALU_DEP_1) | instskip(NEXT) | instid1(VALU_DEP_2)
	v_dual_lshlrev_b32 v17, 24, v17 :: v_dual_lshlrev_b32 v18, 20, v18
	v_lshl_add_u32 v8, v8, 23, 0x3c000000
	s_delay_alu instid0(VALU_DEP_2) | instskip(NEXT) | instid1(VALU_DEP_1)
	v_and_b32_e32 v17, 0x80000000, v17
	v_or3_b32 v8, v18, v17, v8
.LBB351_1200:                           ;   in Loop: Header=BB351_1005 Depth=1
	s_or_b32 exec_lo, exec_lo, s16
.LBB351_1201:                           ;   in Loop: Header=BB351_1005 Depth=1
	s_delay_alu instid0(SALU_CYCLE_1)
	s_or_b32 exec_lo, exec_lo, s15
.LBB351_1202:                           ;   in Loop: Header=BB351_1005 Depth=1
	s_delay_alu instid0(SALU_CYCLE_1)
	s_or_b32 exec_lo, exec_lo, s14
	v_fma_mixlo_bf16 v2, v25, v2, 0
	v_fma_mixlo_bf16 v7, v25, v7, 0
	;; [unrolled: 1-line block ×5, first 2 shown]
	scratch_store_b32 off, v2, s32 offset:360 ; 4-byte Folded Spill
	s_wait_xcnt 0x0
	v_fma_mixlo_bf16 v2, v25, v9, 0
	scratch_store_b32 off, v7, s32 offset:324 ; 4-byte Folded Spill
	v_fma_mixlo_bf16 v3, v25, v3, 0
	s_clause 0x2
	scratch_store_b32 off, v5, s32 offset:336
	scratch_store_b32 off, v4, s32 offset:344
	;; [unrolled: 1-line block ×3, first 2 shown]
	s_wait_xcnt 0x0
	v_fma_mixlo_bf16 v2, v25, v8, 0
	s_clause 0x2
	scratch_store_b32 off, v6, s32 offset:328
	scratch_store_b32 off, v3, s32 offset:352
	;; [unrolled: 1-line block ×3, first 2 shown]
	s_wait_xcnt 0x0
	s_and_saveexec_b32 s14, vcc_lo
	s_cbranch_execz .LBB351_1204
; %bb.1203:                             ;   in Loop: Header=BB351_1005 Depth=1
	scratch_load_b32 v2, off, s32 offset:360 ; 4-byte Folded Reload
	v_cmp_lt_i32_e64 s0, v85, v16
	s_wait_loadcnt 0x0
	s_delay_alu instid0(VALU_DEP_1)
	v_cndmask_b32_e64 v2, 0, v2, s0
	v_cmp_lt_i32_e64 s0, v97, v16
	s_clause 0x1
	scratch_store_b32 off, v2, s32 offset:360
	scratch_load_b32 v2, off, s32 offset:352
	s_wait_loadcnt 0x0
	v_cndmask_b32_e64 v2, 0, v2, s0
	v_cmp_lt_i32_e64 s0, v96, v16
	s_clause 0x1
	scratch_store_b32 off, v2, s32 offset:352
	scratch_load_b32 v2, off, s32 offset:344
	s_wait_loadcnt 0x0
	;; [unrolled: 6-line block ×7, first 2 shown]
	v_cndmask_b32_e64 v2, 0, v2, s0
	scratch_store_b32 off, v2, s32 offset:316 ; 4-byte Folded Spill
.LBB351_1204:                           ;   in Loop: Header=BB351_1005 Depth=1
	s_wait_xcnt 0x0
	s_or_b32 exec_lo, exec_lo, s14
	flat_load_b64 v[18:19], v[0:1] offset:768
	v_dual_mov_b32 v3, 0 :: v_dual_mov_b32 v2, 0
	s_mov_b32 s14, exec_lo
	s_wait_loadcnt_dscnt 0x0
	v_and_b32_e32 v4, 0xff, v18
	s_wait_xcnt 0x0
	s_delay_alu instid0(VALU_DEP_1)
	v_cmpx_ne_u16_e32 0, v4
	s_cbranch_execz .LBB351_1212
; %bb.1205:                             ;   in Loop: Header=BB351_1005 Depth=1
	v_bfrev_b32_e32 v2, 1
	s_mov_b32 s15, exec_lo
	v_cmpx_ne_u16_e32 0x80, v4
	s_cbranch_execz .LBB351_1211
; %bb.1206:                             ;   in Loop: Header=BB351_1005 Depth=1
	v_and_b32_e32 v4, 0x7f, v18
	v_mov_b32_e32 v2, 0x7f800001
	s_mov_b32 s16, exec_lo
	s_delay_alu instid0(VALU_DEP_2)
	v_cmpx_ne_u32_e32 0x7f, v4
	s_cbranch_execz .LBB351_1210
; %bb.1207:                             ;   in Loop: Header=BB351_1005 Depth=1
	v_mov_b64_e32 v[22:23], v[18:19]
	v_lshrrev_b32_e32 v2, 3, v4
	s_mov_b32 s17, exec_lo
	v_cmpx_gt_u32_e32 8, v4
; %bb.1208:                             ;   in Loop: Header=BB351_1005 Depth=1
	v_and_b32_e32 v2, 7, v18
	s_delay_alu instid0(VALU_DEP_1) | instskip(NEXT) | instid1(VALU_DEP_1)
	v_clz_i32_u32_e32 v2, v2
	v_min_u32_e32 v2, 32, v2
	s_delay_alu instid0(VALU_DEP_1) | instskip(SKIP_1) | instid1(VALU_DEP_2)
	v_subrev_nc_u32_e32 v4, 28, v2
	v_sub_nc_u32_e32 v2, 29, v2
	v_lshlrev_b64_e32 v[22:23], v4, v[18:19]
; %bb.1209:                             ;   in Loop: Header=BB351_1005 Depth=1
	s_or_b32 exec_lo, exec_lo, s17
	s_delay_alu instid0(VALU_DEP_1) | instskip(SKIP_2) | instid1(VALU_DEP_3)
	v_lshlrev_b32_e32 v4, 20, v22
	v_lshlrev_b32_e32 v5, 24, v18
	v_lshl_add_u32 v2, v2, 23, 0x3c000000
	v_and_b32_e32 v4, 0x700000, v4
	s_delay_alu instid0(VALU_DEP_3) | instskip(NEXT) | instid1(VALU_DEP_1)
	v_and_b32_e32 v5, 0x80000000, v5
	v_or3_b32 v2, v4, v5, v2
.LBB351_1210:                           ;   in Loop: Header=BB351_1005 Depth=1
	s_or_b32 exec_lo, exec_lo, s16
.LBB351_1211:                           ;   in Loop: Header=BB351_1005 Depth=1
	s_delay_alu instid0(SALU_CYCLE_1)
	s_or_b32 exec_lo, exec_lo, s15
.LBB351_1212:                           ;   in Loop: Header=BB351_1005 Depth=1
	s_delay_alu instid0(SALU_CYCLE_1) | instskip(SKIP_2) | instid1(VALU_DEP_1)
	s_or_b32 exec_lo, exec_lo, s14
	v_lshrrev_b16 v4, 8, v18
	s_mov_b32 s14, exec_lo
	v_cmpx_ne_u16_e32 0, v4
	s_cbranch_execz .LBB351_1220
; %bb.1213:                             ;   in Loop: Header=BB351_1005 Depth=1
	v_bfrev_b32_e32 v3, 1
	s_mov_b32 s15, exec_lo
	v_cmpx_ne_u16_e32 0x80, v4
	s_cbranch_execz .LBB351_1219
; %bb.1214:                             ;   in Loop: Header=BB351_1005 Depth=1
	v_and_b32_e32 v5, 0xffff, v4
	v_mov_b32_e32 v3, 0x7f800001
	s_mov_b32 s16, exec_lo
	s_delay_alu instid0(VALU_DEP_2) | instskip(NEXT) | instid1(VALU_DEP_1)
	v_and_b32_e32 v4, 0x7f, v5
	v_cmpx_ne_u32_e32 0x7f, v4
	s_cbranch_execz .LBB351_1218
; %bb.1215:                             ;   in Loop: Header=BB351_1005 Depth=1
	v_dual_lshrrev_b32 v3, 3, v4 :: v_dual_bitop2_b32 v26, 7, v5 bitop3:0x40
	s_mov_b32 s17, exec_lo
	s_delay_alu instid0(VALU_DEP_1)
	v_mov_b64_e32 v[22:23], v[26:27]
	v_cmpx_gt_u32_e32 8, v4
; %bb.1216:                             ;   in Loop: Header=BB351_1005 Depth=1
	v_clz_i32_u32_e32 v3, v26
	s_delay_alu instid0(VALU_DEP_1) | instskip(NEXT) | instid1(VALU_DEP_1)
	v_min_u32_e32 v3, 32, v3
	v_subrev_nc_u32_e32 v4, 28, v3
	s_delay_alu instid0(VALU_DEP_1) | instskip(NEXT) | instid1(VALU_DEP_1)
	v_lshlrev_b64_e32 v[4:5], v4, v[26:27]
	v_dual_sub_nc_u32 v3, 29, v3 :: v_dual_bitop2_b32 v22, 7, v4 bitop3:0x40
; %bb.1217:                             ;   in Loop: Header=BB351_1005 Depth=1
	s_or_b32 exec_lo, exec_lo, s17
	v_lshlrev_b32_e32 v4, 16, v18
	s_delay_alu instid0(VALU_DEP_2) | instskip(NEXT) | instid1(VALU_DEP_3)
	v_lshlrev_b32_e32 v5, 20, v22
	v_lshl_add_u32 v3, v3, 23, 0x3c000000
	s_delay_alu instid0(VALU_DEP_3) | instskip(NEXT) | instid1(VALU_DEP_1)
	v_and_b32_e32 v4, 0x80000000, v4
	v_or3_b32 v3, v5, v4, v3
.LBB351_1218:                           ;   in Loop: Header=BB351_1005 Depth=1
	s_or_b32 exec_lo, exec_lo, s16
.LBB351_1219:                           ;   in Loop: Header=BB351_1005 Depth=1
	s_delay_alu instid0(SALU_CYCLE_1)
	s_or_b32 exec_lo, exec_lo, s15
.LBB351_1220:                           ;   in Loop: Header=BB351_1005 Depth=1
	s_delay_alu instid0(SALU_CYCLE_1) | instskip(SKIP_3) | instid1(VALU_DEP_2)
	s_or_b32 exec_lo, exec_lo, s14
	v_dual_mov_b32 v5, 0 :: v_dual_lshrrev_b32 v6, 16, v18
	v_mov_b32_e32 v4, 0
	s_mov_b32 s14, exec_lo
	v_and_b32_e32 v7, 0xff, v6
	s_delay_alu instid0(VALU_DEP_1)
	v_cmpx_ne_u16_e32 0, v7
	s_cbranch_execz .LBB351_1228
; %bb.1221:                             ;   in Loop: Header=BB351_1005 Depth=1
	v_bfrev_b32_e32 v4, 1
	s_mov_b32 s15, exec_lo
	v_cmpx_ne_u16_e32 0x80, v7
	s_cbranch_execz .LBB351_1227
; %bb.1222:                             ;   in Loop: Header=BB351_1005 Depth=1
	v_bfe_u32 v7, v18, 16, 7
	v_mov_b32_e32 v4, 0x7f800001
	s_mov_b32 s16, exec_lo
	s_delay_alu instid0(VALU_DEP_2)
	v_cmpx_ne_u32_e32 0x7f, v7
	s_cbranch_execz .LBB351_1226
; %bb.1223:                             ;   in Loop: Header=BB351_1005 Depth=1
	v_dual_lshrrev_b32 v4, 3, v7 :: v_dual_bitop2_b32 v26, 7, v6 bitop3:0x40
	s_mov_b32 s17, exec_lo
	s_delay_alu instid0(VALU_DEP_1)
	v_mov_b64_e32 v[22:23], v[26:27]
	v_cmpx_gt_u32_e32 8, v7
; %bb.1224:                             ;   in Loop: Header=BB351_1005 Depth=1
	v_clz_i32_u32_e32 v4, v26
	s_delay_alu instid0(VALU_DEP_1) | instskip(NEXT) | instid1(VALU_DEP_1)
	v_min_u32_e32 v4, 32, v4
	v_subrev_nc_u32_e32 v7, 28, v4
	v_sub_nc_u32_e32 v4, 29, v4
	s_delay_alu instid0(VALU_DEP_2) | instskip(NEXT) | instid1(VALU_DEP_1)
	v_lshlrev_b64_e32 v[8:9], v7, v[26:27]
	v_and_b32_e32 v22, 7, v8
; %bb.1225:                             ;   in Loop: Header=BB351_1005 Depth=1
	s_or_b32 exec_lo, exec_lo, s17
	v_lshlrev_b32_e32 v6, 24, v6
	s_delay_alu instid0(VALU_DEP_2) | instskip(SKIP_1) | instid1(VALU_DEP_3)
	v_lshlrev_b32_e32 v7, 20, v22
	v_lshl_add_u32 v4, v4, 23, 0x3c000000
	v_and_b32_e32 v6, 0x80000000, v6
	s_delay_alu instid0(VALU_DEP_1)
	v_or3_b32 v4, v7, v6, v4
.LBB351_1226:                           ;   in Loop: Header=BB351_1005 Depth=1
	s_or_b32 exec_lo, exec_lo, s16
.LBB351_1227:                           ;   in Loop: Header=BB351_1005 Depth=1
	s_delay_alu instid0(SALU_CYCLE_1)
	s_or_b32 exec_lo, exec_lo, s15
.LBB351_1228:                           ;   in Loop: Header=BB351_1005 Depth=1
	s_delay_alu instid0(SALU_CYCLE_1) | instskip(NEXT) | instid1(SALU_CYCLE_1)
	s_or_b32 exec_lo, exec_lo, s14
	s_mov_b32 s14, exec_lo
	v_cmpx_lt_u32_e32 0xffffff, v18
	s_cbranch_execz .LBB351_1236
; %bb.1229:                             ;   in Loop: Header=BB351_1005 Depth=1
	v_lshrrev_b32_e32 v6, 24, v18
	v_bfrev_b32_e32 v5, 1
	s_mov_b32 s15, exec_lo
	s_delay_alu instid0(VALU_DEP_2)
	v_cmpx_ne_u32_e32 0x80, v6
	s_cbranch_execz .LBB351_1235
; %bb.1230:                             ;   in Loop: Header=BB351_1005 Depth=1
	v_bfe_u32 v7, v18, 24, 7
	v_mov_b32_e32 v5, 0x7f800001
	s_mov_b32 s16, exec_lo
	s_delay_alu instid0(VALU_DEP_2)
	v_cmpx_ne_u32_e32 0x7f, v7
	s_cbranch_execz .LBB351_1234
; %bb.1231:                             ;   in Loop: Header=BB351_1005 Depth=1
	v_dual_lshrrev_b32 v5, 3, v7 :: v_dual_bitop2_b32 v26, 7, v6 bitop3:0x40
	s_mov_b32 s17, exec_lo
	s_delay_alu instid0(VALU_DEP_1)
	v_mov_b64_e32 v[22:23], v[26:27]
	v_cmpx_gt_u32_e32 8, v7
; %bb.1232:                             ;   in Loop: Header=BB351_1005 Depth=1
	v_clz_i32_u32_e32 v5, v26
	s_delay_alu instid0(VALU_DEP_1) | instskip(NEXT) | instid1(VALU_DEP_1)
	v_min_u32_e32 v5, 32, v5
	v_subrev_nc_u32_e32 v7, 28, v5
	s_delay_alu instid0(VALU_DEP_1) | instskip(NEXT) | instid1(VALU_DEP_1)
	v_lshlrev_b64_e32 v[8:9], v7, v[26:27]
	v_dual_sub_nc_u32 v5, 29, v5 :: v_dual_bitop2_b32 v22, 7, v8 bitop3:0x40
; %bb.1233:                             ;   in Loop: Header=BB351_1005 Depth=1
	s_or_b32 exec_lo, exec_lo, s17
	v_lshlrev_b32_e32 v6, 24, v6
	s_delay_alu instid0(VALU_DEP_2) | instskip(NEXT) | instid1(VALU_DEP_3)
	v_lshlrev_b32_e32 v7, 20, v22
	v_lshl_add_u32 v5, v5, 23, 0x3c000000
	s_delay_alu instid0(VALU_DEP_3) | instskip(NEXT) | instid1(VALU_DEP_1)
	v_and_b32_e32 v6, 0x80000000, v6
	v_or3_b32 v5, v7, v6, v5
.LBB351_1234:                           ;   in Loop: Header=BB351_1005 Depth=1
	s_or_b32 exec_lo, exec_lo, s16
.LBB351_1235:                           ;   in Loop: Header=BB351_1005 Depth=1
	s_delay_alu instid0(SALU_CYCLE_1)
	s_or_b32 exec_lo, exec_lo, s15
.LBB351_1236:                           ;   in Loop: Header=BB351_1005 Depth=1
	s_delay_alu instid0(SALU_CYCLE_1) | instskip(SKIP_4) | instid1(VALU_DEP_3)
	s_or_b32 exec_lo, exec_lo, s14
	v_and_b32_e32 v8, 0xff, v19
	v_dual_mov_b32 v26, v19 :: v_dual_mov_b32 v7, 0
	v_mov_b32_e32 v6, 0
	s_mov_b32 s14, exec_lo
	v_cmpx_ne_u16_e32 0, v8
	s_cbranch_execz .LBB351_1244
; %bb.1237:                             ;   in Loop: Header=BB351_1005 Depth=1
	v_bfrev_b32_e32 v6, 1
	s_mov_b32 s15, exec_lo
	v_cmpx_ne_u16_e32 0x80, v8
	s_cbranch_execz .LBB351_1243
; %bb.1238:                             ;   in Loop: Header=BB351_1005 Depth=1
	v_and_b32_e32 v8, 0x7f, v19
	v_mov_b32_e32 v6, 0x7f800001
	s_mov_b32 s16, exec_lo
	s_delay_alu instid0(VALU_DEP_2)
	v_cmpx_ne_u32_e32 0x7f, v8
	s_cbranch_execz .LBB351_1242
; %bb.1239:                             ;   in Loop: Header=BB351_1005 Depth=1
	v_mov_b64_e32 v[22:23], v[26:27]
	v_lshrrev_b32_e32 v6, 3, v8
	s_mov_b32 s17, exec_lo
	v_cmpx_gt_u32_e32 8, v8
; %bb.1240:                             ;   in Loop: Header=BB351_1005 Depth=1
	v_and_b32_e32 v6, 7, v19
	s_delay_alu instid0(VALU_DEP_1) | instskip(NEXT) | instid1(VALU_DEP_1)
	v_clz_i32_u32_e32 v6, v6
	v_min_u32_e32 v6, 32, v6
	s_delay_alu instid0(VALU_DEP_1) | instskip(SKIP_1) | instid1(VALU_DEP_2)
	v_subrev_nc_u32_e32 v8, 28, v6
	v_sub_nc_u32_e32 v6, 29, v6
	v_lshlrev_b64_e32 v[22:23], v8, v[26:27]
; %bb.1241:                             ;   in Loop: Header=BB351_1005 Depth=1
	s_or_b32 exec_lo, exec_lo, s17
	s_delay_alu instid0(VALU_DEP_1) | instskip(SKIP_2) | instid1(VALU_DEP_3)
	v_lshlrev_b32_e32 v8, 20, v22
	v_lshlrev_b32_e32 v9, 24, v26
	v_lshl_add_u32 v6, v6, 23, 0x3c000000
	v_and_b32_e32 v8, 0x700000, v8
	s_delay_alu instid0(VALU_DEP_3) | instskip(NEXT) | instid1(VALU_DEP_1)
	v_and_b32_e32 v9, 0x80000000, v9
	v_or3_b32 v6, v8, v9, v6
.LBB351_1242:                           ;   in Loop: Header=BB351_1005 Depth=1
	s_or_b32 exec_lo, exec_lo, s16
.LBB351_1243:                           ;   in Loop: Header=BB351_1005 Depth=1
	s_delay_alu instid0(SALU_CYCLE_1)
	s_or_b32 exec_lo, exec_lo, s15
.LBB351_1244:                           ;   in Loop: Header=BB351_1005 Depth=1
	s_delay_alu instid0(SALU_CYCLE_1) | instskip(SKIP_2) | instid1(VALU_DEP_1)
	s_or_b32 exec_lo, exec_lo, s14
	v_lshrrev_b16 v8, 8, v26
	s_mov_b32 s14, exec_lo
	v_cmpx_ne_u16_e32 0, v8
	s_cbranch_execz .LBB351_1252
; %bb.1245:                             ;   in Loop: Header=BB351_1005 Depth=1
	v_bfrev_b32_e32 v7, 1
	s_mov_b32 s15, exec_lo
	v_cmpx_ne_u16_e32 0x80, v8
	s_cbranch_execz .LBB351_1251
; %bb.1246:                             ;   in Loop: Header=BB351_1005 Depth=1
	v_and_b32_e32 v9, 0xffff, v8
	v_mov_b32_e32 v7, 0x7f800001
	s_mov_b32 s16, exec_lo
	s_delay_alu instid0(VALU_DEP_2) | instskip(NEXT) | instid1(VALU_DEP_1)
	v_and_b32_e32 v8, 0x7f, v9
	v_cmpx_ne_u32_e32 0x7f, v8
	s_cbranch_execz .LBB351_1250
; %bb.1247:                             ;   in Loop: Header=BB351_1005 Depth=1
	v_dual_mov_b32 v23, v27 :: v_dual_bitop2_b32 v22, 7, v9 bitop3:0x40
	v_lshrrev_b32_e32 v7, 3, v8
	s_mov_b32 s17, exec_lo
	v_cmpx_gt_u32_e32 8, v8
; %bb.1248:                             ;   in Loop: Header=BB351_1005 Depth=1
	s_delay_alu instid0(VALU_DEP_3) | instskip(NEXT) | instid1(VALU_DEP_1)
	v_clz_i32_u32_e32 v7, v22
	v_min_u32_e32 v7, 32, v7
	s_delay_alu instid0(VALU_DEP_1) | instskip(NEXT) | instid1(VALU_DEP_1)
	v_subrev_nc_u32_e32 v8, 28, v7
	v_lshlrev_b64_e32 v[8:9], v8, v[22:23]
	s_delay_alu instid0(VALU_DEP_1)
	v_dual_sub_nc_u32 v7, 29, v7 :: v_dual_bitop2_b32 v22, 7, v8 bitop3:0x40
; %bb.1249:                             ;   in Loop: Header=BB351_1005 Depth=1
	s_or_b32 exec_lo, exec_lo, s17
	v_lshlrev_b32_e32 v8, 16, v26
	s_delay_alu instid0(VALU_DEP_2) | instskip(NEXT) | instid1(VALU_DEP_3)
	v_lshlrev_b32_e32 v9, 20, v22
	v_lshl_add_u32 v7, v7, 23, 0x3c000000
	s_delay_alu instid0(VALU_DEP_3) | instskip(NEXT) | instid1(VALU_DEP_1)
	v_and_b32_e32 v8, 0x80000000, v8
	v_or3_b32 v7, v9, v8, v7
.LBB351_1250:                           ;   in Loop: Header=BB351_1005 Depth=1
	s_or_b32 exec_lo, exec_lo, s16
.LBB351_1251:                           ;   in Loop: Header=BB351_1005 Depth=1
	s_delay_alu instid0(SALU_CYCLE_1)
	s_or_b32 exec_lo, exec_lo, s15
.LBB351_1252:                           ;   in Loop: Header=BB351_1005 Depth=1
	s_delay_alu instid0(SALU_CYCLE_1) | instskip(SKIP_3) | instid1(VALU_DEP_2)
	s_or_b32 exec_lo, exec_lo, s14
	v_dual_mov_b32 v8, 0 :: v_dual_lshrrev_b32 v17, 16, v19
	v_mov_b32_e32 v9, 0
	s_mov_b32 s14, exec_lo
	v_and_b32_e32 v22, 0xff, v17
	s_delay_alu instid0(VALU_DEP_1)
	v_cmpx_ne_u16_e32 0, v22
	s_cbranch_execz .LBB351_1260
; %bb.1253:                             ;   in Loop: Header=BB351_1005 Depth=1
	v_bfrev_b32_e32 v9, 1
	s_mov_b32 s15, exec_lo
	v_cmpx_ne_u16_e32 0x80, v22
	s_cbranch_execz .LBB351_1259
; %bb.1254:                             ;   in Loop: Header=BB351_1005 Depth=1
	v_bfe_u32 v22, v19, 16, 7
	v_mov_b32_e32 v9, 0x7f800001
	s_mov_b32 s16, exec_lo
	s_delay_alu instid0(VALU_DEP_2)
	v_cmpx_ne_u32_e32 0x7f, v22
	s_cbranch_execz .LBB351_1258
; %bb.1255:                             ;   in Loop: Header=BB351_1005 Depth=1
	v_dual_lshrrev_b32 v9, 3, v22 :: v_dual_bitop2_b32 v26, 7, v17 bitop3:0x40
	v_cmp_gt_u32_e64 s0, 8, v22
	s_delay_alu instid0(VALU_DEP_2)
	v_mov_b64_e32 v[22:23], v[26:27]
	s_and_saveexec_b32 s17, s0
; %bb.1256:                             ;   in Loop: Header=BB351_1005 Depth=1
	v_clz_i32_u32_e32 v9, v26
	s_delay_alu instid0(VALU_DEP_1) | instskip(NEXT) | instid1(VALU_DEP_1)
	v_min_u32_e32 v9, 32, v9
	v_subrev_nc_u32_e32 v22, 28, v9
	s_delay_alu instid0(VALU_DEP_1) | instskip(NEXT) | instid1(VALU_DEP_1)
	v_lshlrev_b64_e32 v[22:23], v22, v[26:27]
	v_dual_sub_nc_u32 v9, 29, v9 :: v_dual_bitop2_b32 v22, 7, v22 bitop3:0x40
; %bb.1257:                             ;   in Loop: Header=BB351_1005 Depth=1
	s_or_b32 exec_lo, exec_lo, s17
	s_delay_alu instid0(VALU_DEP_1) | instskip(NEXT) | instid1(VALU_DEP_2)
	v_dual_lshlrev_b32 v17, 24, v17 :: v_dual_lshlrev_b32 v22, 20, v22
	v_lshl_add_u32 v9, v9, 23, 0x3c000000
	s_delay_alu instid0(VALU_DEP_2) | instskip(NEXT) | instid1(VALU_DEP_1)
	v_and_b32_e32 v17, 0x80000000, v17
	v_or3_b32 v9, v22, v17, v9
.LBB351_1258:                           ;   in Loop: Header=BB351_1005 Depth=1
	s_or_b32 exec_lo, exec_lo, s16
.LBB351_1259:                           ;   in Loop: Header=BB351_1005 Depth=1
	s_delay_alu instid0(SALU_CYCLE_1)
	s_or_b32 exec_lo, exec_lo, s15
.LBB351_1260:                           ;   in Loop: Header=BB351_1005 Depth=1
	s_delay_alu instid0(SALU_CYCLE_1) | instskip(NEXT) | instid1(SALU_CYCLE_1)
	s_or_b32 exec_lo, exec_lo, s14
	s_mov_b32 s14, exec_lo
	v_cmpx_lt_u64_e64 s[2:3], v[18:19]
	s_cbranch_execz .LBB351_1268
; %bb.1261:                             ;   in Loop: Header=BB351_1005 Depth=1
	v_lshrrev_b32_e32 v17, 24, v19
	v_bfrev_b32_e32 v8, 1
	s_mov_b32 s15, exec_lo
	s_delay_alu instid0(VALU_DEP_2)
	v_cmpx_ne_u32_e32 0x80, v17
	s_cbranch_execz .LBB351_1267
; %bb.1262:                             ;   in Loop: Header=BB351_1005 Depth=1
	v_bfe_u32 v18, v19, 24, 7
	v_mov_b32_e32 v8, 0x7f800001
	s_mov_b32 s16, exec_lo
	s_delay_alu instid0(VALU_DEP_2)
	v_cmpx_ne_u32_e32 0x7f, v18
	s_cbranch_execz .LBB351_1266
; %bb.1263:                             ;   in Loop: Header=BB351_1005 Depth=1
	v_dual_lshrrev_b32 v8, 3, v18 :: v_dual_bitop2_b32 v26, 7, v17 bitop3:0x40
	v_cmp_gt_u32_e64 s0, 8, v18
	s_delay_alu instid0(VALU_DEP_2)
	v_mov_b64_e32 v[18:19], v[26:27]
	s_and_saveexec_b32 s17, s0
; %bb.1264:                             ;   in Loop: Header=BB351_1005 Depth=1
	v_clz_i32_u32_e32 v8, v26
	s_delay_alu instid0(VALU_DEP_1) | instskip(NEXT) | instid1(VALU_DEP_1)
	v_min_u32_e32 v8, 32, v8
	v_subrev_nc_u32_e32 v18, 28, v8
	s_delay_alu instid0(VALU_DEP_1) | instskip(NEXT) | instid1(VALU_DEP_1)
	v_lshlrev_b64_e32 v[18:19], v18, v[26:27]
	v_dual_sub_nc_u32 v8, 29, v8 :: v_dual_bitop2_b32 v18, 7, v18 bitop3:0x40
; %bb.1265:                             ;   in Loop: Header=BB351_1005 Depth=1
	s_or_b32 exec_lo, exec_lo, s17
	s_delay_alu instid0(VALU_DEP_1) | instskip(NEXT) | instid1(VALU_DEP_2)
	v_dual_lshlrev_b32 v17, 24, v17 :: v_dual_lshlrev_b32 v18, 20, v18
	v_lshl_add_u32 v8, v8, 23, 0x3c000000
	s_delay_alu instid0(VALU_DEP_2) | instskip(NEXT) | instid1(VALU_DEP_1)
	v_and_b32_e32 v17, 0x80000000, v17
	v_or3_b32 v8, v18, v17, v8
.LBB351_1266:                           ;   in Loop: Header=BB351_1005 Depth=1
	s_or_b32 exec_lo, exec_lo, s16
.LBB351_1267:                           ;   in Loop: Header=BB351_1005 Depth=1
	s_delay_alu instid0(SALU_CYCLE_1)
	s_or_b32 exec_lo, exec_lo, s15
.LBB351_1268:                           ;   in Loop: Header=BB351_1005 Depth=1
	s_delay_alu instid0(SALU_CYCLE_1)
	s_or_b32 exec_lo, exec_lo, s14
	v_fma_mixlo_bf16 v7, v25, v7, 0
	v_fma_mixlo_bf16 v47, v25, v2, 0
	;; [unrolled: 1-line block ×5, first 2 shown]
	scratch_store_b32 off, v7, s32 offset:384 ; 4-byte Folded Spill
	v_fma_mixlo_bf16 v4, v25, v4, 0
	v_fma_mixlo_bf16 v57, v25, v3, 0
	s_clause 0x1
	scratch_store_b32 off, v2, s32 offset:368
	scratch_store_b32 off, v5, s32 offset:400
	s_wait_xcnt 0x1
	v_fma_mixlo_bf16 v2, v25, v8, 0
	s_clause 0x2
	scratch_store_b32 off, v6, s32 offset:392
	scratch_store_b32 off, v4, s32 offset:408
	;; [unrolled: 1-line block ×3, first 2 shown]
	s_wait_xcnt 0x0
	s_and_saveexec_b32 s14, vcc_lo
	s_cbranch_execz .LBB351_1270
; %bb.1269:                             ;   in Loop: Header=BB351_1005 Depth=1
	scratch_load_b32 v2, off, s32 offset:408 ; 4-byte Folded Reload
	v_cmp_lt_i32_e64 s0, v85, v16
	s_delay_alu instid0(VALU_DEP_1) | instskip(SKIP_1) | instid1(VALU_DEP_1)
	v_cndmask_b32_e64 v47, 0, v47, s0
	v_cmp_lt_i32_e64 s0, v97, v16
	v_cndmask_b32_e64 v57, 0, v57, s0
	v_cmp_lt_i32_e64 s0, v96, v16
	s_wait_loadcnt 0x0
	s_delay_alu instid0(VALU_DEP_1)
	v_cndmask_b32_e64 v2, 0, v2, s0
	v_cmp_lt_i32_e64 s0, v87, v16
	s_clause 0x1
	scratch_store_b32 off, v2, s32 offset:408
	scratch_load_b32 v2, off, s32 offset:400
	s_wait_loadcnt 0x0
	v_cndmask_b32_e64 v2, 0, v2, s0
	v_cmp_lt_i32_e64 s0, v86, v16
	s_clause 0x1
	scratch_store_b32 off, v2, s32 offset:400
	scratch_load_b32 v2, off, s32 offset:392
	s_wait_loadcnt 0x0
	;; [unrolled: 6-line block ×5, first 2 shown]
	v_cndmask_b32_e64 v2, 0, v2, s0
	scratch_store_b32 off, v2, s32 offset:376 ; 4-byte Folded Spill
.LBB351_1270:                           ;   in Loop: Header=BB351_1005 Depth=1
	s_wait_xcnt 0x0
	s_or_b32 exec_lo, exec_lo, s14
	flat_load_b64 v[18:19], v[0:1] offset:1024
	v_dual_mov_b32 v3, 0 :: v_dual_mov_b32 v2, 0
	s_mov_b32 s14, exec_lo
	s_wait_loadcnt_dscnt 0x0
	v_and_b32_e32 v4, 0xff, v18
	s_wait_xcnt 0x0
	s_delay_alu instid0(VALU_DEP_1)
	v_cmpx_ne_u16_e32 0, v4
	s_cbranch_execz .LBB351_1278
; %bb.1271:                             ;   in Loop: Header=BB351_1005 Depth=1
	v_bfrev_b32_e32 v2, 1
	s_mov_b32 s15, exec_lo
	v_cmpx_ne_u16_e32 0x80, v4
	s_cbranch_execz .LBB351_1277
; %bb.1272:                             ;   in Loop: Header=BB351_1005 Depth=1
	v_and_b32_e32 v4, 0x7f, v18
	v_mov_b32_e32 v2, 0x7f800001
	s_mov_b32 s16, exec_lo
	s_delay_alu instid0(VALU_DEP_2)
	v_cmpx_ne_u32_e32 0x7f, v4
	s_cbranch_execz .LBB351_1276
; %bb.1273:                             ;   in Loop: Header=BB351_1005 Depth=1
	v_mov_b64_e32 v[22:23], v[18:19]
	v_lshrrev_b32_e32 v2, 3, v4
	s_mov_b32 s17, exec_lo
	v_cmpx_gt_u32_e32 8, v4
; %bb.1274:                             ;   in Loop: Header=BB351_1005 Depth=1
	v_and_b32_e32 v2, 7, v18
	s_delay_alu instid0(VALU_DEP_1) | instskip(NEXT) | instid1(VALU_DEP_1)
	v_clz_i32_u32_e32 v2, v2
	v_min_u32_e32 v2, 32, v2
	s_delay_alu instid0(VALU_DEP_1) | instskip(SKIP_1) | instid1(VALU_DEP_2)
	v_subrev_nc_u32_e32 v4, 28, v2
	v_sub_nc_u32_e32 v2, 29, v2
	v_lshlrev_b64_e32 v[22:23], v4, v[18:19]
; %bb.1275:                             ;   in Loop: Header=BB351_1005 Depth=1
	s_or_b32 exec_lo, exec_lo, s17
	s_delay_alu instid0(VALU_DEP_1) | instskip(SKIP_2) | instid1(VALU_DEP_3)
	v_lshlrev_b32_e32 v4, 20, v22
	v_lshlrev_b32_e32 v5, 24, v18
	v_lshl_add_u32 v2, v2, 23, 0x3c000000
	v_and_b32_e32 v4, 0x700000, v4
	s_delay_alu instid0(VALU_DEP_3) | instskip(NEXT) | instid1(VALU_DEP_1)
	v_and_b32_e32 v5, 0x80000000, v5
	v_or3_b32 v2, v4, v5, v2
.LBB351_1276:                           ;   in Loop: Header=BB351_1005 Depth=1
	s_or_b32 exec_lo, exec_lo, s16
.LBB351_1277:                           ;   in Loop: Header=BB351_1005 Depth=1
	s_delay_alu instid0(SALU_CYCLE_1)
	s_or_b32 exec_lo, exec_lo, s15
.LBB351_1278:                           ;   in Loop: Header=BB351_1005 Depth=1
	s_delay_alu instid0(SALU_CYCLE_1) | instskip(SKIP_2) | instid1(VALU_DEP_1)
	s_or_b32 exec_lo, exec_lo, s14
	v_lshrrev_b16 v4, 8, v18
	s_mov_b32 s14, exec_lo
	v_cmpx_ne_u16_e32 0, v4
	s_cbranch_execz .LBB351_1286
; %bb.1279:                             ;   in Loop: Header=BB351_1005 Depth=1
	v_bfrev_b32_e32 v3, 1
	s_mov_b32 s15, exec_lo
	v_cmpx_ne_u16_e32 0x80, v4
	s_cbranch_execz .LBB351_1285
; %bb.1280:                             ;   in Loop: Header=BB351_1005 Depth=1
	v_and_b32_e32 v5, 0xffff, v4
	v_mov_b32_e32 v3, 0x7f800001
	s_mov_b32 s16, exec_lo
	s_delay_alu instid0(VALU_DEP_2) | instskip(NEXT) | instid1(VALU_DEP_1)
	v_and_b32_e32 v4, 0x7f, v5
	v_cmpx_ne_u32_e32 0x7f, v4
	s_cbranch_execz .LBB351_1284
; %bb.1281:                             ;   in Loop: Header=BB351_1005 Depth=1
	v_dual_lshrrev_b32 v3, 3, v4 :: v_dual_bitop2_b32 v26, 7, v5 bitop3:0x40
	s_mov_b32 s17, exec_lo
	s_delay_alu instid0(VALU_DEP_1)
	v_mov_b64_e32 v[22:23], v[26:27]
	v_cmpx_gt_u32_e32 8, v4
; %bb.1282:                             ;   in Loop: Header=BB351_1005 Depth=1
	v_clz_i32_u32_e32 v3, v26
	s_delay_alu instid0(VALU_DEP_1) | instskip(NEXT) | instid1(VALU_DEP_1)
	v_min_u32_e32 v3, 32, v3
	v_subrev_nc_u32_e32 v4, 28, v3
	s_delay_alu instid0(VALU_DEP_1) | instskip(NEXT) | instid1(VALU_DEP_1)
	v_lshlrev_b64_e32 v[4:5], v4, v[26:27]
	v_dual_sub_nc_u32 v3, 29, v3 :: v_dual_bitop2_b32 v22, 7, v4 bitop3:0x40
; %bb.1283:                             ;   in Loop: Header=BB351_1005 Depth=1
	s_or_b32 exec_lo, exec_lo, s17
	v_lshlrev_b32_e32 v4, 16, v18
	s_delay_alu instid0(VALU_DEP_2) | instskip(NEXT) | instid1(VALU_DEP_3)
	v_lshlrev_b32_e32 v5, 20, v22
	v_lshl_add_u32 v3, v3, 23, 0x3c000000
	s_delay_alu instid0(VALU_DEP_3) | instskip(NEXT) | instid1(VALU_DEP_1)
	v_and_b32_e32 v4, 0x80000000, v4
	v_or3_b32 v3, v5, v4, v3
.LBB351_1284:                           ;   in Loop: Header=BB351_1005 Depth=1
	s_or_b32 exec_lo, exec_lo, s16
.LBB351_1285:                           ;   in Loop: Header=BB351_1005 Depth=1
	s_delay_alu instid0(SALU_CYCLE_1)
	s_or_b32 exec_lo, exec_lo, s15
.LBB351_1286:                           ;   in Loop: Header=BB351_1005 Depth=1
	s_delay_alu instid0(SALU_CYCLE_1) | instskip(SKIP_3) | instid1(VALU_DEP_2)
	s_or_b32 exec_lo, exec_lo, s14
	v_dual_mov_b32 v5, 0 :: v_dual_lshrrev_b32 v6, 16, v18
	v_mov_b32_e32 v4, 0
	s_mov_b32 s14, exec_lo
	v_and_b32_e32 v7, 0xff, v6
	s_delay_alu instid0(VALU_DEP_1)
	v_cmpx_ne_u16_e32 0, v7
	s_cbranch_execz .LBB351_1294
; %bb.1287:                             ;   in Loop: Header=BB351_1005 Depth=1
	v_bfrev_b32_e32 v4, 1
	s_mov_b32 s15, exec_lo
	v_cmpx_ne_u16_e32 0x80, v7
	s_cbranch_execz .LBB351_1293
; %bb.1288:                             ;   in Loop: Header=BB351_1005 Depth=1
	v_bfe_u32 v7, v18, 16, 7
	v_mov_b32_e32 v4, 0x7f800001
	s_mov_b32 s16, exec_lo
	s_delay_alu instid0(VALU_DEP_2)
	v_cmpx_ne_u32_e32 0x7f, v7
	s_cbranch_execz .LBB351_1292
; %bb.1289:                             ;   in Loop: Header=BB351_1005 Depth=1
	v_dual_lshrrev_b32 v4, 3, v7 :: v_dual_bitop2_b32 v26, 7, v6 bitop3:0x40
	s_mov_b32 s17, exec_lo
	s_delay_alu instid0(VALU_DEP_1)
	v_mov_b64_e32 v[22:23], v[26:27]
	v_cmpx_gt_u32_e32 8, v7
; %bb.1290:                             ;   in Loop: Header=BB351_1005 Depth=1
	v_clz_i32_u32_e32 v4, v26
	s_delay_alu instid0(VALU_DEP_1) | instskip(NEXT) | instid1(VALU_DEP_1)
	v_min_u32_e32 v4, 32, v4
	v_subrev_nc_u32_e32 v7, 28, v4
	v_sub_nc_u32_e32 v4, 29, v4
	s_delay_alu instid0(VALU_DEP_2) | instskip(NEXT) | instid1(VALU_DEP_1)
	v_lshlrev_b64_e32 v[8:9], v7, v[26:27]
	v_and_b32_e32 v22, 7, v8
; %bb.1291:                             ;   in Loop: Header=BB351_1005 Depth=1
	s_or_b32 exec_lo, exec_lo, s17
	v_lshlrev_b32_e32 v6, 24, v6
	s_delay_alu instid0(VALU_DEP_2) | instskip(SKIP_1) | instid1(VALU_DEP_3)
	v_lshlrev_b32_e32 v7, 20, v22
	v_lshl_add_u32 v4, v4, 23, 0x3c000000
	v_and_b32_e32 v6, 0x80000000, v6
	s_delay_alu instid0(VALU_DEP_1)
	v_or3_b32 v4, v7, v6, v4
.LBB351_1292:                           ;   in Loop: Header=BB351_1005 Depth=1
	s_or_b32 exec_lo, exec_lo, s16
.LBB351_1293:                           ;   in Loop: Header=BB351_1005 Depth=1
	s_delay_alu instid0(SALU_CYCLE_1)
	s_or_b32 exec_lo, exec_lo, s15
.LBB351_1294:                           ;   in Loop: Header=BB351_1005 Depth=1
	s_delay_alu instid0(SALU_CYCLE_1) | instskip(NEXT) | instid1(SALU_CYCLE_1)
	s_or_b32 exec_lo, exec_lo, s14
	s_mov_b32 s14, exec_lo
	v_cmpx_lt_u32_e32 0xffffff, v18
	s_cbranch_execz .LBB351_1302
; %bb.1295:                             ;   in Loop: Header=BB351_1005 Depth=1
	v_lshrrev_b32_e32 v6, 24, v18
	v_bfrev_b32_e32 v5, 1
	s_mov_b32 s15, exec_lo
	s_delay_alu instid0(VALU_DEP_2)
	v_cmpx_ne_u32_e32 0x80, v6
	s_cbranch_execz .LBB351_1301
; %bb.1296:                             ;   in Loop: Header=BB351_1005 Depth=1
	v_bfe_u32 v7, v18, 24, 7
	v_mov_b32_e32 v5, 0x7f800001
	s_mov_b32 s16, exec_lo
	s_delay_alu instid0(VALU_DEP_2)
	v_cmpx_ne_u32_e32 0x7f, v7
	s_cbranch_execz .LBB351_1300
; %bb.1297:                             ;   in Loop: Header=BB351_1005 Depth=1
	v_dual_lshrrev_b32 v5, 3, v7 :: v_dual_bitop2_b32 v26, 7, v6 bitop3:0x40
	s_mov_b32 s17, exec_lo
	s_delay_alu instid0(VALU_DEP_1)
	v_mov_b64_e32 v[22:23], v[26:27]
	v_cmpx_gt_u32_e32 8, v7
; %bb.1298:                             ;   in Loop: Header=BB351_1005 Depth=1
	v_clz_i32_u32_e32 v5, v26
	s_delay_alu instid0(VALU_DEP_1) | instskip(NEXT) | instid1(VALU_DEP_1)
	v_min_u32_e32 v5, 32, v5
	v_subrev_nc_u32_e32 v7, 28, v5
	s_delay_alu instid0(VALU_DEP_1) | instskip(NEXT) | instid1(VALU_DEP_1)
	v_lshlrev_b64_e32 v[8:9], v7, v[26:27]
	v_dual_sub_nc_u32 v5, 29, v5 :: v_dual_bitop2_b32 v22, 7, v8 bitop3:0x40
; %bb.1299:                             ;   in Loop: Header=BB351_1005 Depth=1
	s_or_b32 exec_lo, exec_lo, s17
	v_lshlrev_b32_e32 v6, 24, v6
	s_delay_alu instid0(VALU_DEP_2) | instskip(NEXT) | instid1(VALU_DEP_3)
	v_lshlrev_b32_e32 v7, 20, v22
	v_lshl_add_u32 v5, v5, 23, 0x3c000000
	s_delay_alu instid0(VALU_DEP_3) | instskip(NEXT) | instid1(VALU_DEP_1)
	v_and_b32_e32 v6, 0x80000000, v6
	v_or3_b32 v5, v7, v6, v5
.LBB351_1300:                           ;   in Loop: Header=BB351_1005 Depth=1
	s_or_b32 exec_lo, exec_lo, s16
.LBB351_1301:                           ;   in Loop: Header=BB351_1005 Depth=1
	s_delay_alu instid0(SALU_CYCLE_1)
	s_or_b32 exec_lo, exec_lo, s15
.LBB351_1302:                           ;   in Loop: Header=BB351_1005 Depth=1
	s_delay_alu instid0(SALU_CYCLE_1) | instskip(SKIP_4) | instid1(VALU_DEP_3)
	s_or_b32 exec_lo, exec_lo, s14
	v_and_b32_e32 v8, 0xff, v19
	v_dual_mov_b32 v26, v19 :: v_dual_mov_b32 v7, 0
	v_mov_b32_e32 v6, 0
	s_mov_b32 s14, exec_lo
	v_cmpx_ne_u16_e32 0, v8
	s_cbranch_execz .LBB351_1310
; %bb.1303:                             ;   in Loop: Header=BB351_1005 Depth=1
	v_bfrev_b32_e32 v6, 1
	s_mov_b32 s15, exec_lo
	v_cmpx_ne_u16_e32 0x80, v8
	s_cbranch_execz .LBB351_1309
; %bb.1304:                             ;   in Loop: Header=BB351_1005 Depth=1
	v_and_b32_e32 v8, 0x7f, v19
	v_mov_b32_e32 v6, 0x7f800001
	s_mov_b32 s16, exec_lo
	s_delay_alu instid0(VALU_DEP_2)
	v_cmpx_ne_u32_e32 0x7f, v8
	s_cbranch_execz .LBB351_1308
; %bb.1305:                             ;   in Loop: Header=BB351_1005 Depth=1
	v_mov_b64_e32 v[22:23], v[26:27]
	v_lshrrev_b32_e32 v6, 3, v8
	s_mov_b32 s17, exec_lo
	v_cmpx_gt_u32_e32 8, v8
; %bb.1306:                             ;   in Loop: Header=BB351_1005 Depth=1
	v_and_b32_e32 v6, 7, v19
	s_delay_alu instid0(VALU_DEP_1) | instskip(NEXT) | instid1(VALU_DEP_1)
	v_clz_i32_u32_e32 v6, v6
	v_min_u32_e32 v6, 32, v6
	s_delay_alu instid0(VALU_DEP_1) | instskip(SKIP_1) | instid1(VALU_DEP_2)
	v_subrev_nc_u32_e32 v8, 28, v6
	v_sub_nc_u32_e32 v6, 29, v6
	v_lshlrev_b64_e32 v[22:23], v8, v[26:27]
; %bb.1307:                             ;   in Loop: Header=BB351_1005 Depth=1
	s_or_b32 exec_lo, exec_lo, s17
	s_delay_alu instid0(VALU_DEP_1) | instskip(SKIP_2) | instid1(VALU_DEP_3)
	v_lshlrev_b32_e32 v8, 20, v22
	v_lshlrev_b32_e32 v9, 24, v26
	v_lshl_add_u32 v6, v6, 23, 0x3c000000
	v_and_b32_e32 v8, 0x700000, v8
	s_delay_alu instid0(VALU_DEP_3) | instskip(NEXT) | instid1(VALU_DEP_1)
	v_and_b32_e32 v9, 0x80000000, v9
	v_or3_b32 v6, v8, v9, v6
.LBB351_1308:                           ;   in Loop: Header=BB351_1005 Depth=1
	s_or_b32 exec_lo, exec_lo, s16
.LBB351_1309:                           ;   in Loop: Header=BB351_1005 Depth=1
	s_delay_alu instid0(SALU_CYCLE_1)
	s_or_b32 exec_lo, exec_lo, s15
.LBB351_1310:                           ;   in Loop: Header=BB351_1005 Depth=1
	s_delay_alu instid0(SALU_CYCLE_1) | instskip(SKIP_2) | instid1(VALU_DEP_1)
	s_or_b32 exec_lo, exec_lo, s14
	v_lshrrev_b16 v8, 8, v26
	s_mov_b32 s14, exec_lo
	v_cmpx_ne_u16_e32 0, v8
	s_cbranch_execz .LBB351_1318
; %bb.1311:                             ;   in Loop: Header=BB351_1005 Depth=1
	v_bfrev_b32_e32 v7, 1
	s_mov_b32 s15, exec_lo
	v_cmpx_ne_u16_e32 0x80, v8
	s_cbranch_execz .LBB351_1317
; %bb.1312:                             ;   in Loop: Header=BB351_1005 Depth=1
	v_and_b32_e32 v9, 0xffff, v8
	v_mov_b32_e32 v7, 0x7f800001
	s_mov_b32 s16, exec_lo
	s_delay_alu instid0(VALU_DEP_2) | instskip(NEXT) | instid1(VALU_DEP_1)
	v_and_b32_e32 v8, 0x7f, v9
	v_cmpx_ne_u32_e32 0x7f, v8
	s_cbranch_execz .LBB351_1316
; %bb.1313:                             ;   in Loop: Header=BB351_1005 Depth=1
	v_dual_mov_b32 v23, v27 :: v_dual_bitop2_b32 v22, 7, v9 bitop3:0x40
	v_lshrrev_b32_e32 v7, 3, v8
	s_mov_b32 s17, exec_lo
	v_cmpx_gt_u32_e32 8, v8
; %bb.1314:                             ;   in Loop: Header=BB351_1005 Depth=1
	s_delay_alu instid0(VALU_DEP_3) | instskip(NEXT) | instid1(VALU_DEP_1)
	v_clz_i32_u32_e32 v7, v22
	v_min_u32_e32 v7, 32, v7
	s_delay_alu instid0(VALU_DEP_1) | instskip(NEXT) | instid1(VALU_DEP_1)
	v_subrev_nc_u32_e32 v8, 28, v7
	v_lshlrev_b64_e32 v[8:9], v8, v[22:23]
	s_delay_alu instid0(VALU_DEP_1)
	v_dual_sub_nc_u32 v7, 29, v7 :: v_dual_bitop2_b32 v22, 7, v8 bitop3:0x40
; %bb.1315:                             ;   in Loop: Header=BB351_1005 Depth=1
	s_or_b32 exec_lo, exec_lo, s17
	v_lshlrev_b32_e32 v8, 16, v26
	s_delay_alu instid0(VALU_DEP_2) | instskip(NEXT) | instid1(VALU_DEP_3)
	v_lshlrev_b32_e32 v9, 20, v22
	v_lshl_add_u32 v7, v7, 23, 0x3c000000
	s_delay_alu instid0(VALU_DEP_3) | instskip(NEXT) | instid1(VALU_DEP_1)
	v_and_b32_e32 v8, 0x80000000, v8
	v_or3_b32 v7, v9, v8, v7
.LBB351_1316:                           ;   in Loop: Header=BB351_1005 Depth=1
	s_or_b32 exec_lo, exec_lo, s16
.LBB351_1317:                           ;   in Loop: Header=BB351_1005 Depth=1
	s_delay_alu instid0(SALU_CYCLE_1)
	s_or_b32 exec_lo, exec_lo, s15
.LBB351_1318:                           ;   in Loop: Header=BB351_1005 Depth=1
	s_delay_alu instid0(SALU_CYCLE_1) | instskip(SKIP_3) | instid1(VALU_DEP_2)
	s_or_b32 exec_lo, exec_lo, s14
	v_dual_mov_b32 v8, 0 :: v_dual_lshrrev_b32 v17, 16, v19
	v_mov_b32_e32 v9, 0
	s_mov_b32 s14, exec_lo
	v_and_b32_e32 v22, 0xff, v17
	s_delay_alu instid0(VALU_DEP_1)
	v_cmpx_ne_u16_e32 0, v22
	s_cbranch_execz .LBB351_1326
; %bb.1319:                             ;   in Loop: Header=BB351_1005 Depth=1
	v_bfrev_b32_e32 v9, 1
	s_mov_b32 s15, exec_lo
	v_cmpx_ne_u16_e32 0x80, v22
	s_cbranch_execz .LBB351_1325
; %bb.1320:                             ;   in Loop: Header=BB351_1005 Depth=1
	v_bfe_u32 v22, v19, 16, 7
	v_mov_b32_e32 v9, 0x7f800001
	s_mov_b32 s16, exec_lo
	s_delay_alu instid0(VALU_DEP_2)
	v_cmpx_ne_u32_e32 0x7f, v22
	s_cbranch_execz .LBB351_1324
; %bb.1321:                             ;   in Loop: Header=BB351_1005 Depth=1
	v_dual_lshrrev_b32 v9, 3, v22 :: v_dual_bitop2_b32 v26, 7, v17 bitop3:0x40
	v_cmp_gt_u32_e64 s0, 8, v22
	s_delay_alu instid0(VALU_DEP_2)
	v_mov_b64_e32 v[22:23], v[26:27]
	s_and_saveexec_b32 s17, s0
; %bb.1322:                             ;   in Loop: Header=BB351_1005 Depth=1
	v_clz_i32_u32_e32 v9, v26
	s_delay_alu instid0(VALU_DEP_1) | instskip(NEXT) | instid1(VALU_DEP_1)
	v_min_u32_e32 v9, 32, v9
	v_subrev_nc_u32_e32 v22, 28, v9
	s_delay_alu instid0(VALU_DEP_1) | instskip(NEXT) | instid1(VALU_DEP_1)
	v_lshlrev_b64_e32 v[22:23], v22, v[26:27]
	v_dual_sub_nc_u32 v9, 29, v9 :: v_dual_bitop2_b32 v22, 7, v22 bitop3:0x40
; %bb.1323:                             ;   in Loop: Header=BB351_1005 Depth=1
	s_or_b32 exec_lo, exec_lo, s17
	s_delay_alu instid0(VALU_DEP_1) | instskip(NEXT) | instid1(VALU_DEP_2)
	v_dual_lshlrev_b32 v17, 24, v17 :: v_dual_lshlrev_b32 v22, 20, v22
	v_lshl_add_u32 v9, v9, 23, 0x3c000000
	s_delay_alu instid0(VALU_DEP_2) | instskip(NEXT) | instid1(VALU_DEP_1)
	v_and_b32_e32 v17, 0x80000000, v17
	v_or3_b32 v9, v22, v17, v9
.LBB351_1324:                           ;   in Loop: Header=BB351_1005 Depth=1
	s_or_b32 exec_lo, exec_lo, s16
.LBB351_1325:                           ;   in Loop: Header=BB351_1005 Depth=1
	s_delay_alu instid0(SALU_CYCLE_1)
	s_or_b32 exec_lo, exec_lo, s15
.LBB351_1326:                           ;   in Loop: Header=BB351_1005 Depth=1
	s_delay_alu instid0(SALU_CYCLE_1) | instskip(NEXT) | instid1(SALU_CYCLE_1)
	s_or_b32 exec_lo, exec_lo, s14
	s_mov_b32 s14, exec_lo
	v_cmpx_lt_u64_e64 s[2:3], v[18:19]
	s_cbranch_execz .LBB351_1334
; %bb.1327:                             ;   in Loop: Header=BB351_1005 Depth=1
	v_lshrrev_b32_e32 v17, 24, v19
	v_bfrev_b32_e32 v8, 1
	s_mov_b32 s15, exec_lo
	s_delay_alu instid0(VALU_DEP_2)
	v_cmpx_ne_u32_e32 0x80, v17
	s_cbranch_execz .LBB351_1333
; %bb.1328:                             ;   in Loop: Header=BB351_1005 Depth=1
	v_bfe_u32 v18, v19, 24, 7
	v_mov_b32_e32 v8, 0x7f800001
	s_mov_b32 s16, exec_lo
	s_delay_alu instid0(VALU_DEP_2)
	v_cmpx_ne_u32_e32 0x7f, v18
	s_cbranch_execz .LBB351_1332
; %bb.1329:                             ;   in Loop: Header=BB351_1005 Depth=1
	v_dual_lshrrev_b32 v8, 3, v18 :: v_dual_bitop2_b32 v26, 7, v17 bitop3:0x40
	v_cmp_gt_u32_e64 s0, 8, v18
	s_delay_alu instid0(VALU_DEP_2)
	v_mov_b64_e32 v[18:19], v[26:27]
	s_and_saveexec_b32 s17, s0
; %bb.1330:                             ;   in Loop: Header=BB351_1005 Depth=1
	v_clz_i32_u32_e32 v8, v26
	s_delay_alu instid0(VALU_DEP_1) | instskip(NEXT) | instid1(VALU_DEP_1)
	v_min_u32_e32 v8, 32, v8
	v_subrev_nc_u32_e32 v18, 28, v8
	s_delay_alu instid0(VALU_DEP_1) | instskip(NEXT) | instid1(VALU_DEP_1)
	v_lshlrev_b64_e32 v[18:19], v18, v[26:27]
	v_dual_sub_nc_u32 v8, 29, v8 :: v_dual_bitop2_b32 v18, 7, v18 bitop3:0x40
; %bb.1331:                             ;   in Loop: Header=BB351_1005 Depth=1
	s_or_b32 exec_lo, exec_lo, s17
	s_delay_alu instid0(VALU_DEP_1) | instskip(NEXT) | instid1(VALU_DEP_2)
	v_dual_lshlrev_b32 v17, 24, v17 :: v_dual_lshlrev_b32 v18, 20, v18
	v_lshl_add_u32 v8, v8, 23, 0x3c000000
	s_delay_alu instid0(VALU_DEP_2) | instskip(NEXT) | instid1(VALU_DEP_1)
	v_and_b32_e32 v17, 0x80000000, v17
	v_or3_b32 v8, v18, v17, v8
.LBB351_1332:                           ;   in Loop: Header=BB351_1005 Depth=1
	s_or_b32 exec_lo, exec_lo, s16
.LBB351_1333:                           ;   in Loop: Header=BB351_1005 Depth=1
	s_delay_alu instid0(SALU_CYCLE_1)
	s_or_b32 exec_lo, exec_lo, s15
.LBB351_1334:                           ;   in Loop: Header=BB351_1005 Depth=1
	s_delay_alu instid0(SALU_CYCLE_1)
	s_or_b32 exec_lo, exec_lo, s14
	v_fma_mixlo_bf16 v60, v25, v7, 0
	v_fma_mixlo_bf16 v61, v25, v6, 0
	;; [unrolled: 1-line block ×8, first 2 shown]
	s_and_saveexec_b32 s14, vcc_lo
	s_cbranch_execz .LBB351_1336
; %bb.1335:                             ;   in Loop: Header=BB351_1005 Depth=1
	v_cmp_lt_i32_e64 s0, v85, v16
	s_delay_alu instid0(VALU_DEP_1) | instskip(SKIP_1) | instid1(VALU_DEP_1)
	v_cndmask_b32_e64 v73, 0, v73, s0
	v_cmp_lt_i32_e64 s0, v97, v16
	v_cndmask_b32_e64 v72, 0, v72, s0
	v_cmp_lt_i32_e64 s0, v96, v16
	s_delay_alu instid0(VALU_DEP_1) | instskip(SKIP_1) | instid1(VALU_DEP_1)
	v_cndmask_b32_e64 v63, 0, v63, s0
	v_cmp_lt_i32_e64 s0, v87, v16
	v_cndmask_b32_e64 v62, 0, v62, s0
	;; [unrolled: 5-line block ×4, first 2 shown]
.LBB351_1336:                           ;   in Loop: Header=BB351_1005 Depth=1
	s_or_b32 exec_lo, exec_lo, s14
	flat_load_b64 v[18:19], v[0:1] offset:1280
	v_dual_mov_b32 v3, 0 :: v_dual_mov_b32 v2, 0
	s_mov_b32 s14, exec_lo
	s_wait_loadcnt_dscnt 0x0
	v_and_b32_e32 v4, 0xff, v18
	s_wait_xcnt 0x0
	s_delay_alu instid0(VALU_DEP_1)
	v_cmpx_ne_u16_e32 0, v4
	s_cbranch_execz .LBB351_1344
; %bb.1337:                             ;   in Loop: Header=BB351_1005 Depth=1
	v_bfrev_b32_e32 v2, 1
	s_mov_b32 s15, exec_lo
	v_cmpx_ne_u16_e32 0x80, v4
	s_cbranch_execz .LBB351_1343
; %bb.1338:                             ;   in Loop: Header=BB351_1005 Depth=1
	v_and_b32_e32 v4, 0x7f, v18
	v_mov_b32_e32 v2, 0x7f800001
	s_mov_b32 s16, exec_lo
	s_delay_alu instid0(VALU_DEP_2)
	v_cmpx_ne_u32_e32 0x7f, v4
	s_cbranch_execz .LBB351_1342
; %bb.1339:                             ;   in Loop: Header=BB351_1005 Depth=1
	v_mov_b64_e32 v[22:23], v[18:19]
	v_lshrrev_b32_e32 v2, 3, v4
	s_mov_b32 s17, exec_lo
	v_cmpx_gt_u32_e32 8, v4
; %bb.1340:                             ;   in Loop: Header=BB351_1005 Depth=1
	v_and_b32_e32 v2, 7, v18
	s_delay_alu instid0(VALU_DEP_1) | instskip(NEXT) | instid1(VALU_DEP_1)
	v_clz_i32_u32_e32 v2, v2
	v_min_u32_e32 v2, 32, v2
	s_delay_alu instid0(VALU_DEP_1) | instskip(SKIP_1) | instid1(VALU_DEP_2)
	v_subrev_nc_u32_e32 v4, 28, v2
	v_sub_nc_u32_e32 v2, 29, v2
	v_lshlrev_b64_e32 v[22:23], v4, v[18:19]
; %bb.1341:                             ;   in Loop: Header=BB351_1005 Depth=1
	s_or_b32 exec_lo, exec_lo, s17
	s_delay_alu instid0(VALU_DEP_1) | instskip(SKIP_2) | instid1(VALU_DEP_3)
	v_lshlrev_b32_e32 v4, 20, v22
	v_lshlrev_b32_e32 v5, 24, v18
	v_lshl_add_u32 v2, v2, 23, 0x3c000000
	v_and_b32_e32 v4, 0x700000, v4
	s_delay_alu instid0(VALU_DEP_3) | instskip(NEXT) | instid1(VALU_DEP_1)
	v_and_b32_e32 v5, 0x80000000, v5
	v_or3_b32 v2, v4, v5, v2
.LBB351_1342:                           ;   in Loop: Header=BB351_1005 Depth=1
	s_or_b32 exec_lo, exec_lo, s16
.LBB351_1343:                           ;   in Loop: Header=BB351_1005 Depth=1
	s_delay_alu instid0(SALU_CYCLE_1)
	s_or_b32 exec_lo, exec_lo, s15
.LBB351_1344:                           ;   in Loop: Header=BB351_1005 Depth=1
	s_delay_alu instid0(SALU_CYCLE_1) | instskip(SKIP_2) | instid1(VALU_DEP_1)
	s_or_b32 exec_lo, exec_lo, s14
	v_lshrrev_b16 v4, 8, v18
	s_mov_b32 s14, exec_lo
	v_cmpx_ne_u16_e32 0, v4
	s_cbranch_execz .LBB351_1352
; %bb.1345:                             ;   in Loop: Header=BB351_1005 Depth=1
	v_bfrev_b32_e32 v3, 1
	s_mov_b32 s15, exec_lo
	v_cmpx_ne_u16_e32 0x80, v4
	s_cbranch_execz .LBB351_1351
; %bb.1346:                             ;   in Loop: Header=BB351_1005 Depth=1
	v_and_b32_e32 v5, 0xffff, v4
	v_mov_b32_e32 v3, 0x7f800001
	s_mov_b32 s16, exec_lo
	s_delay_alu instid0(VALU_DEP_2) | instskip(NEXT) | instid1(VALU_DEP_1)
	v_and_b32_e32 v4, 0x7f, v5
	v_cmpx_ne_u32_e32 0x7f, v4
	s_cbranch_execz .LBB351_1350
; %bb.1347:                             ;   in Loop: Header=BB351_1005 Depth=1
	v_dual_lshrrev_b32 v3, 3, v4 :: v_dual_bitop2_b32 v26, 7, v5 bitop3:0x40
	s_mov_b32 s17, exec_lo
	s_delay_alu instid0(VALU_DEP_1)
	v_mov_b64_e32 v[22:23], v[26:27]
	v_cmpx_gt_u32_e32 8, v4
; %bb.1348:                             ;   in Loop: Header=BB351_1005 Depth=1
	v_clz_i32_u32_e32 v3, v26
	s_delay_alu instid0(VALU_DEP_1) | instskip(NEXT) | instid1(VALU_DEP_1)
	v_min_u32_e32 v3, 32, v3
	v_subrev_nc_u32_e32 v4, 28, v3
	s_delay_alu instid0(VALU_DEP_1) | instskip(NEXT) | instid1(VALU_DEP_1)
	v_lshlrev_b64_e32 v[4:5], v4, v[26:27]
	v_dual_sub_nc_u32 v3, 29, v3 :: v_dual_bitop2_b32 v22, 7, v4 bitop3:0x40
; %bb.1349:                             ;   in Loop: Header=BB351_1005 Depth=1
	s_or_b32 exec_lo, exec_lo, s17
	v_lshlrev_b32_e32 v4, 16, v18
	s_delay_alu instid0(VALU_DEP_2) | instskip(NEXT) | instid1(VALU_DEP_3)
	v_lshlrev_b32_e32 v5, 20, v22
	v_lshl_add_u32 v3, v3, 23, 0x3c000000
	s_delay_alu instid0(VALU_DEP_3) | instskip(NEXT) | instid1(VALU_DEP_1)
	v_and_b32_e32 v4, 0x80000000, v4
	v_or3_b32 v3, v5, v4, v3
.LBB351_1350:                           ;   in Loop: Header=BB351_1005 Depth=1
	s_or_b32 exec_lo, exec_lo, s16
.LBB351_1351:                           ;   in Loop: Header=BB351_1005 Depth=1
	s_delay_alu instid0(SALU_CYCLE_1)
	s_or_b32 exec_lo, exec_lo, s15
.LBB351_1352:                           ;   in Loop: Header=BB351_1005 Depth=1
	s_delay_alu instid0(SALU_CYCLE_1) | instskip(SKIP_3) | instid1(VALU_DEP_2)
	s_or_b32 exec_lo, exec_lo, s14
	v_dual_mov_b32 v5, 0 :: v_dual_lshrrev_b32 v6, 16, v18
	v_mov_b32_e32 v4, 0
	s_mov_b32 s14, exec_lo
	v_and_b32_e32 v7, 0xff, v6
	s_delay_alu instid0(VALU_DEP_1)
	v_cmpx_ne_u16_e32 0, v7
	s_cbranch_execz .LBB351_1360
; %bb.1353:                             ;   in Loop: Header=BB351_1005 Depth=1
	v_bfrev_b32_e32 v4, 1
	s_mov_b32 s15, exec_lo
	v_cmpx_ne_u16_e32 0x80, v7
	s_cbranch_execz .LBB351_1359
; %bb.1354:                             ;   in Loop: Header=BB351_1005 Depth=1
	v_bfe_u32 v7, v18, 16, 7
	v_mov_b32_e32 v4, 0x7f800001
	s_mov_b32 s16, exec_lo
	s_delay_alu instid0(VALU_DEP_2)
	v_cmpx_ne_u32_e32 0x7f, v7
	s_cbranch_execz .LBB351_1358
; %bb.1355:                             ;   in Loop: Header=BB351_1005 Depth=1
	v_dual_lshrrev_b32 v4, 3, v7 :: v_dual_bitop2_b32 v26, 7, v6 bitop3:0x40
	s_mov_b32 s17, exec_lo
	s_delay_alu instid0(VALU_DEP_1)
	v_mov_b64_e32 v[22:23], v[26:27]
	v_cmpx_gt_u32_e32 8, v7
; %bb.1356:                             ;   in Loop: Header=BB351_1005 Depth=1
	v_clz_i32_u32_e32 v4, v26
	s_delay_alu instid0(VALU_DEP_1) | instskip(NEXT) | instid1(VALU_DEP_1)
	v_min_u32_e32 v4, 32, v4
	v_subrev_nc_u32_e32 v7, 28, v4
	v_sub_nc_u32_e32 v4, 29, v4
	s_delay_alu instid0(VALU_DEP_2) | instskip(NEXT) | instid1(VALU_DEP_1)
	v_lshlrev_b64_e32 v[8:9], v7, v[26:27]
	v_and_b32_e32 v22, 7, v8
; %bb.1357:                             ;   in Loop: Header=BB351_1005 Depth=1
	s_or_b32 exec_lo, exec_lo, s17
	v_lshlrev_b32_e32 v6, 24, v6
	s_delay_alu instid0(VALU_DEP_2) | instskip(SKIP_1) | instid1(VALU_DEP_3)
	v_lshlrev_b32_e32 v7, 20, v22
	v_lshl_add_u32 v4, v4, 23, 0x3c000000
	v_and_b32_e32 v6, 0x80000000, v6
	s_delay_alu instid0(VALU_DEP_1)
	v_or3_b32 v4, v7, v6, v4
.LBB351_1358:                           ;   in Loop: Header=BB351_1005 Depth=1
	s_or_b32 exec_lo, exec_lo, s16
.LBB351_1359:                           ;   in Loop: Header=BB351_1005 Depth=1
	s_delay_alu instid0(SALU_CYCLE_1)
	s_or_b32 exec_lo, exec_lo, s15
.LBB351_1360:                           ;   in Loop: Header=BB351_1005 Depth=1
	s_delay_alu instid0(SALU_CYCLE_1) | instskip(NEXT) | instid1(SALU_CYCLE_1)
	s_or_b32 exec_lo, exec_lo, s14
	s_mov_b32 s14, exec_lo
	v_cmpx_lt_u32_e32 0xffffff, v18
	s_cbranch_execz .LBB351_1368
; %bb.1361:                             ;   in Loop: Header=BB351_1005 Depth=1
	v_lshrrev_b32_e32 v6, 24, v18
	v_bfrev_b32_e32 v5, 1
	s_mov_b32 s15, exec_lo
	s_delay_alu instid0(VALU_DEP_2)
	v_cmpx_ne_u32_e32 0x80, v6
	s_cbranch_execz .LBB351_1367
; %bb.1362:                             ;   in Loop: Header=BB351_1005 Depth=1
	v_bfe_u32 v7, v18, 24, 7
	v_mov_b32_e32 v5, 0x7f800001
	s_mov_b32 s16, exec_lo
	s_delay_alu instid0(VALU_DEP_2)
	v_cmpx_ne_u32_e32 0x7f, v7
	s_cbranch_execz .LBB351_1366
; %bb.1363:                             ;   in Loop: Header=BB351_1005 Depth=1
	v_dual_lshrrev_b32 v5, 3, v7 :: v_dual_bitop2_b32 v26, 7, v6 bitop3:0x40
	s_mov_b32 s17, exec_lo
	s_delay_alu instid0(VALU_DEP_1)
	v_mov_b64_e32 v[22:23], v[26:27]
	v_cmpx_gt_u32_e32 8, v7
; %bb.1364:                             ;   in Loop: Header=BB351_1005 Depth=1
	v_clz_i32_u32_e32 v5, v26
	s_delay_alu instid0(VALU_DEP_1) | instskip(NEXT) | instid1(VALU_DEP_1)
	v_min_u32_e32 v5, 32, v5
	v_subrev_nc_u32_e32 v7, 28, v5
	s_delay_alu instid0(VALU_DEP_1) | instskip(NEXT) | instid1(VALU_DEP_1)
	v_lshlrev_b64_e32 v[8:9], v7, v[26:27]
	v_dual_sub_nc_u32 v5, 29, v5 :: v_dual_bitop2_b32 v22, 7, v8 bitop3:0x40
; %bb.1365:                             ;   in Loop: Header=BB351_1005 Depth=1
	s_or_b32 exec_lo, exec_lo, s17
	v_lshlrev_b32_e32 v6, 24, v6
	s_delay_alu instid0(VALU_DEP_2) | instskip(NEXT) | instid1(VALU_DEP_3)
	v_lshlrev_b32_e32 v7, 20, v22
	v_lshl_add_u32 v5, v5, 23, 0x3c000000
	s_delay_alu instid0(VALU_DEP_3) | instskip(NEXT) | instid1(VALU_DEP_1)
	v_and_b32_e32 v6, 0x80000000, v6
	v_or3_b32 v5, v7, v6, v5
.LBB351_1366:                           ;   in Loop: Header=BB351_1005 Depth=1
	s_or_b32 exec_lo, exec_lo, s16
.LBB351_1367:                           ;   in Loop: Header=BB351_1005 Depth=1
	s_delay_alu instid0(SALU_CYCLE_1)
	s_or_b32 exec_lo, exec_lo, s15
.LBB351_1368:                           ;   in Loop: Header=BB351_1005 Depth=1
	s_delay_alu instid0(SALU_CYCLE_1) | instskip(SKIP_4) | instid1(VALU_DEP_3)
	s_or_b32 exec_lo, exec_lo, s14
	v_and_b32_e32 v8, 0xff, v19
	v_dual_mov_b32 v26, v19 :: v_dual_mov_b32 v7, 0
	v_mov_b32_e32 v6, 0
	s_mov_b32 s14, exec_lo
	v_cmpx_ne_u16_e32 0, v8
	s_cbranch_execz .LBB351_1376
; %bb.1369:                             ;   in Loop: Header=BB351_1005 Depth=1
	v_bfrev_b32_e32 v6, 1
	s_mov_b32 s15, exec_lo
	v_cmpx_ne_u16_e32 0x80, v8
	s_cbranch_execz .LBB351_1375
; %bb.1370:                             ;   in Loop: Header=BB351_1005 Depth=1
	v_and_b32_e32 v8, 0x7f, v19
	v_mov_b32_e32 v6, 0x7f800001
	s_mov_b32 s16, exec_lo
	s_delay_alu instid0(VALU_DEP_2)
	v_cmpx_ne_u32_e32 0x7f, v8
	s_cbranch_execz .LBB351_1374
; %bb.1371:                             ;   in Loop: Header=BB351_1005 Depth=1
	v_mov_b64_e32 v[22:23], v[26:27]
	v_lshrrev_b32_e32 v6, 3, v8
	s_mov_b32 s17, exec_lo
	v_cmpx_gt_u32_e32 8, v8
; %bb.1372:                             ;   in Loop: Header=BB351_1005 Depth=1
	v_and_b32_e32 v6, 7, v19
	s_delay_alu instid0(VALU_DEP_1) | instskip(NEXT) | instid1(VALU_DEP_1)
	v_clz_i32_u32_e32 v6, v6
	v_min_u32_e32 v6, 32, v6
	s_delay_alu instid0(VALU_DEP_1) | instskip(SKIP_1) | instid1(VALU_DEP_2)
	v_subrev_nc_u32_e32 v8, 28, v6
	v_sub_nc_u32_e32 v6, 29, v6
	v_lshlrev_b64_e32 v[22:23], v8, v[26:27]
; %bb.1373:                             ;   in Loop: Header=BB351_1005 Depth=1
	s_or_b32 exec_lo, exec_lo, s17
	s_delay_alu instid0(VALU_DEP_1) | instskip(SKIP_2) | instid1(VALU_DEP_3)
	v_lshlrev_b32_e32 v8, 20, v22
	v_lshlrev_b32_e32 v9, 24, v26
	v_lshl_add_u32 v6, v6, 23, 0x3c000000
	v_and_b32_e32 v8, 0x700000, v8
	s_delay_alu instid0(VALU_DEP_3) | instskip(NEXT) | instid1(VALU_DEP_1)
	v_and_b32_e32 v9, 0x80000000, v9
	v_or3_b32 v6, v8, v9, v6
.LBB351_1374:                           ;   in Loop: Header=BB351_1005 Depth=1
	s_or_b32 exec_lo, exec_lo, s16
.LBB351_1375:                           ;   in Loop: Header=BB351_1005 Depth=1
	s_delay_alu instid0(SALU_CYCLE_1)
	s_or_b32 exec_lo, exec_lo, s15
.LBB351_1376:                           ;   in Loop: Header=BB351_1005 Depth=1
	s_delay_alu instid0(SALU_CYCLE_1) | instskip(SKIP_2) | instid1(VALU_DEP_1)
	s_or_b32 exec_lo, exec_lo, s14
	v_lshrrev_b16 v8, 8, v26
	s_mov_b32 s14, exec_lo
	v_cmpx_ne_u16_e32 0, v8
	s_cbranch_execz .LBB351_1384
; %bb.1377:                             ;   in Loop: Header=BB351_1005 Depth=1
	v_bfrev_b32_e32 v7, 1
	s_mov_b32 s15, exec_lo
	v_cmpx_ne_u16_e32 0x80, v8
	s_cbranch_execz .LBB351_1383
; %bb.1378:                             ;   in Loop: Header=BB351_1005 Depth=1
	v_and_b32_e32 v9, 0xffff, v8
	v_mov_b32_e32 v7, 0x7f800001
	s_mov_b32 s16, exec_lo
	s_delay_alu instid0(VALU_DEP_2) | instskip(NEXT) | instid1(VALU_DEP_1)
	v_and_b32_e32 v8, 0x7f, v9
	v_cmpx_ne_u32_e32 0x7f, v8
	s_cbranch_execz .LBB351_1382
; %bb.1379:                             ;   in Loop: Header=BB351_1005 Depth=1
	v_dual_mov_b32 v23, v27 :: v_dual_bitop2_b32 v22, 7, v9 bitop3:0x40
	v_lshrrev_b32_e32 v7, 3, v8
	s_mov_b32 s17, exec_lo
	v_cmpx_gt_u32_e32 8, v8
; %bb.1380:                             ;   in Loop: Header=BB351_1005 Depth=1
	s_delay_alu instid0(VALU_DEP_3) | instskip(NEXT) | instid1(VALU_DEP_1)
	v_clz_i32_u32_e32 v7, v22
	v_min_u32_e32 v7, 32, v7
	s_delay_alu instid0(VALU_DEP_1) | instskip(NEXT) | instid1(VALU_DEP_1)
	v_subrev_nc_u32_e32 v8, 28, v7
	v_lshlrev_b64_e32 v[8:9], v8, v[22:23]
	s_delay_alu instid0(VALU_DEP_1)
	v_dual_sub_nc_u32 v7, 29, v7 :: v_dual_bitop2_b32 v22, 7, v8 bitop3:0x40
; %bb.1381:                             ;   in Loop: Header=BB351_1005 Depth=1
	s_or_b32 exec_lo, exec_lo, s17
	v_lshlrev_b32_e32 v8, 16, v26
	s_delay_alu instid0(VALU_DEP_2) | instskip(NEXT) | instid1(VALU_DEP_3)
	v_lshlrev_b32_e32 v9, 20, v22
	v_lshl_add_u32 v7, v7, 23, 0x3c000000
	s_delay_alu instid0(VALU_DEP_3) | instskip(NEXT) | instid1(VALU_DEP_1)
	v_and_b32_e32 v8, 0x80000000, v8
	v_or3_b32 v7, v9, v8, v7
.LBB351_1382:                           ;   in Loop: Header=BB351_1005 Depth=1
	s_or_b32 exec_lo, exec_lo, s16
.LBB351_1383:                           ;   in Loop: Header=BB351_1005 Depth=1
	s_delay_alu instid0(SALU_CYCLE_1)
	s_or_b32 exec_lo, exec_lo, s15
.LBB351_1384:                           ;   in Loop: Header=BB351_1005 Depth=1
	s_delay_alu instid0(SALU_CYCLE_1) | instskip(SKIP_3) | instid1(VALU_DEP_2)
	s_or_b32 exec_lo, exec_lo, s14
	v_dual_mov_b32 v8, 0 :: v_dual_lshrrev_b32 v17, 16, v19
	v_mov_b32_e32 v9, 0
	s_mov_b32 s14, exec_lo
	v_and_b32_e32 v22, 0xff, v17
	s_delay_alu instid0(VALU_DEP_1)
	v_cmpx_ne_u16_e32 0, v22
	s_cbranch_execz .LBB351_1392
; %bb.1385:                             ;   in Loop: Header=BB351_1005 Depth=1
	v_bfrev_b32_e32 v9, 1
	s_mov_b32 s15, exec_lo
	v_cmpx_ne_u16_e32 0x80, v22
	s_cbranch_execz .LBB351_1391
; %bb.1386:                             ;   in Loop: Header=BB351_1005 Depth=1
	v_bfe_u32 v22, v19, 16, 7
	v_mov_b32_e32 v9, 0x7f800001
	s_mov_b32 s16, exec_lo
	s_delay_alu instid0(VALU_DEP_2)
	v_cmpx_ne_u32_e32 0x7f, v22
	s_cbranch_execz .LBB351_1390
; %bb.1387:                             ;   in Loop: Header=BB351_1005 Depth=1
	v_dual_lshrrev_b32 v9, 3, v22 :: v_dual_bitop2_b32 v26, 7, v17 bitop3:0x40
	v_cmp_gt_u32_e64 s0, 8, v22
	s_delay_alu instid0(VALU_DEP_2)
	v_mov_b64_e32 v[22:23], v[26:27]
	s_and_saveexec_b32 s17, s0
; %bb.1388:                             ;   in Loop: Header=BB351_1005 Depth=1
	v_clz_i32_u32_e32 v9, v26
	s_delay_alu instid0(VALU_DEP_1) | instskip(NEXT) | instid1(VALU_DEP_1)
	v_min_u32_e32 v9, 32, v9
	v_subrev_nc_u32_e32 v22, 28, v9
	s_delay_alu instid0(VALU_DEP_1) | instskip(NEXT) | instid1(VALU_DEP_1)
	v_lshlrev_b64_e32 v[22:23], v22, v[26:27]
	v_dual_sub_nc_u32 v9, 29, v9 :: v_dual_bitop2_b32 v22, 7, v22 bitop3:0x40
; %bb.1389:                             ;   in Loop: Header=BB351_1005 Depth=1
	s_or_b32 exec_lo, exec_lo, s17
	s_delay_alu instid0(VALU_DEP_1) | instskip(NEXT) | instid1(VALU_DEP_2)
	v_dual_lshlrev_b32 v17, 24, v17 :: v_dual_lshlrev_b32 v22, 20, v22
	v_lshl_add_u32 v9, v9, 23, 0x3c000000
	s_delay_alu instid0(VALU_DEP_2) | instskip(NEXT) | instid1(VALU_DEP_1)
	v_and_b32_e32 v17, 0x80000000, v17
	v_or3_b32 v9, v22, v17, v9
.LBB351_1390:                           ;   in Loop: Header=BB351_1005 Depth=1
	s_or_b32 exec_lo, exec_lo, s16
.LBB351_1391:                           ;   in Loop: Header=BB351_1005 Depth=1
	s_delay_alu instid0(SALU_CYCLE_1)
	s_or_b32 exec_lo, exec_lo, s15
.LBB351_1392:                           ;   in Loop: Header=BB351_1005 Depth=1
	s_delay_alu instid0(SALU_CYCLE_1) | instskip(NEXT) | instid1(SALU_CYCLE_1)
	s_or_b32 exec_lo, exec_lo, s14
	s_mov_b32 s14, exec_lo
	v_cmpx_lt_u64_e64 s[2:3], v[18:19]
	s_cbranch_execz .LBB351_1400
; %bb.1393:                             ;   in Loop: Header=BB351_1005 Depth=1
	v_lshrrev_b32_e32 v17, 24, v19
	v_bfrev_b32_e32 v8, 1
	s_mov_b32 s15, exec_lo
	s_delay_alu instid0(VALU_DEP_2)
	v_cmpx_ne_u32_e32 0x80, v17
	s_cbranch_execz .LBB351_1399
; %bb.1394:                             ;   in Loop: Header=BB351_1005 Depth=1
	v_bfe_u32 v18, v19, 24, 7
	v_mov_b32_e32 v8, 0x7f800001
	s_mov_b32 s16, exec_lo
	s_delay_alu instid0(VALU_DEP_2)
	v_cmpx_ne_u32_e32 0x7f, v18
	s_cbranch_execz .LBB351_1398
; %bb.1395:                             ;   in Loop: Header=BB351_1005 Depth=1
	v_dual_lshrrev_b32 v8, 3, v18 :: v_dual_bitop2_b32 v26, 7, v17 bitop3:0x40
	v_cmp_gt_u32_e64 s0, 8, v18
	s_delay_alu instid0(VALU_DEP_2)
	v_mov_b64_e32 v[18:19], v[26:27]
	s_and_saveexec_b32 s17, s0
; %bb.1396:                             ;   in Loop: Header=BB351_1005 Depth=1
	v_clz_i32_u32_e32 v8, v26
	s_delay_alu instid0(VALU_DEP_1) | instskip(NEXT) | instid1(VALU_DEP_1)
	v_min_u32_e32 v8, 32, v8
	v_subrev_nc_u32_e32 v18, 28, v8
	s_delay_alu instid0(VALU_DEP_1) | instskip(NEXT) | instid1(VALU_DEP_1)
	v_lshlrev_b64_e32 v[18:19], v18, v[26:27]
	v_dual_sub_nc_u32 v8, 29, v8 :: v_dual_bitop2_b32 v18, 7, v18 bitop3:0x40
; %bb.1397:                             ;   in Loop: Header=BB351_1005 Depth=1
	s_or_b32 exec_lo, exec_lo, s17
	s_delay_alu instid0(VALU_DEP_1) | instskip(NEXT) | instid1(VALU_DEP_2)
	v_dual_lshlrev_b32 v17, 24, v17 :: v_dual_lshlrev_b32 v18, 20, v18
	v_lshl_add_u32 v8, v8, 23, 0x3c000000
	s_delay_alu instid0(VALU_DEP_2) | instskip(NEXT) | instid1(VALU_DEP_1)
	v_and_b32_e32 v17, 0x80000000, v17
	v_or3_b32 v8, v18, v17, v8
.LBB351_1398:                           ;   in Loop: Header=BB351_1005 Depth=1
	s_or_b32 exec_lo, exec_lo, s16
.LBB351_1399:                           ;   in Loop: Header=BB351_1005 Depth=1
	s_delay_alu instid0(SALU_CYCLE_1)
	s_or_b32 exec_lo, exec_lo, s15
.LBB351_1400:                           ;   in Loop: Header=BB351_1005 Depth=1
	s_delay_alu instid0(SALU_CYCLE_1)
	s_or_b32 exec_lo, exec_lo, s14
	v_fma_mixlo_bf16 v75, v25, v7, 0
	v_fma_mixlo_bf16 v76, v25, v6, 0
	;; [unrolled: 1-line block ×8, first 2 shown]
	s_and_saveexec_b32 s14, vcc_lo
	s_cbranch_execz .LBB351_1402
; %bb.1401:                             ;   in Loop: Header=BB351_1005 Depth=1
	v_cmp_lt_i32_e64 s0, v85, v16
	s_delay_alu instid0(VALU_DEP_1) | instskip(SKIP_1) | instid1(VALU_DEP_1)
	v_cndmask_b32_e64 v88, 0, v88, s0
	v_cmp_lt_i32_e64 s0, v97, v16
	v_cndmask_b32_e64 v79, 0, v79, s0
	v_cmp_lt_i32_e64 s0, v96, v16
	s_delay_alu instid0(VALU_DEP_1) | instskip(SKIP_1) | instid1(VALU_DEP_1)
	v_cndmask_b32_e64 v78, 0, v78, s0
	v_cmp_lt_i32_e64 s0, v87, v16
	v_cndmask_b32_e64 v77, 0, v77, s0
	;; [unrolled: 5-line block ×4, first 2 shown]
.LBB351_1402:                           ;   in Loop: Header=BB351_1005 Depth=1
	s_or_b32 exec_lo, exec_lo, s14
	flat_load_b64 v[18:19], v[0:1] offset:1536
	v_dual_mov_b32 v3, 0 :: v_dual_mov_b32 v2, 0
	s_mov_b32 s14, exec_lo
	s_wait_loadcnt_dscnt 0x0
	v_and_b32_e32 v4, 0xff, v18
	s_wait_xcnt 0x0
	s_delay_alu instid0(VALU_DEP_1)
	v_cmpx_ne_u16_e32 0, v4
	s_cbranch_execz .LBB351_1410
; %bb.1403:                             ;   in Loop: Header=BB351_1005 Depth=1
	v_bfrev_b32_e32 v2, 1
	s_mov_b32 s15, exec_lo
	v_cmpx_ne_u16_e32 0x80, v4
	s_cbranch_execz .LBB351_1409
; %bb.1404:                             ;   in Loop: Header=BB351_1005 Depth=1
	v_and_b32_e32 v4, 0x7f, v18
	v_mov_b32_e32 v2, 0x7f800001
	s_mov_b32 s16, exec_lo
	s_delay_alu instid0(VALU_DEP_2)
	v_cmpx_ne_u32_e32 0x7f, v4
	s_cbranch_execz .LBB351_1408
; %bb.1405:                             ;   in Loop: Header=BB351_1005 Depth=1
	v_mov_b64_e32 v[22:23], v[18:19]
	v_lshrrev_b32_e32 v2, 3, v4
	s_mov_b32 s17, exec_lo
	v_cmpx_gt_u32_e32 8, v4
; %bb.1406:                             ;   in Loop: Header=BB351_1005 Depth=1
	v_and_b32_e32 v2, 7, v18
	s_delay_alu instid0(VALU_DEP_1) | instskip(NEXT) | instid1(VALU_DEP_1)
	v_clz_i32_u32_e32 v2, v2
	v_min_u32_e32 v2, 32, v2
	s_delay_alu instid0(VALU_DEP_1) | instskip(SKIP_1) | instid1(VALU_DEP_2)
	v_subrev_nc_u32_e32 v4, 28, v2
	v_sub_nc_u32_e32 v2, 29, v2
	v_lshlrev_b64_e32 v[22:23], v4, v[18:19]
; %bb.1407:                             ;   in Loop: Header=BB351_1005 Depth=1
	s_or_b32 exec_lo, exec_lo, s17
	s_delay_alu instid0(VALU_DEP_1) | instskip(SKIP_2) | instid1(VALU_DEP_3)
	v_lshlrev_b32_e32 v4, 20, v22
	v_lshlrev_b32_e32 v5, 24, v18
	v_lshl_add_u32 v2, v2, 23, 0x3c000000
	v_and_b32_e32 v4, 0x700000, v4
	s_delay_alu instid0(VALU_DEP_3) | instskip(NEXT) | instid1(VALU_DEP_1)
	v_and_b32_e32 v5, 0x80000000, v5
	v_or3_b32 v2, v4, v5, v2
.LBB351_1408:                           ;   in Loop: Header=BB351_1005 Depth=1
	s_or_b32 exec_lo, exec_lo, s16
.LBB351_1409:                           ;   in Loop: Header=BB351_1005 Depth=1
	s_delay_alu instid0(SALU_CYCLE_1)
	s_or_b32 exec_lo, exec_lo, s15
.LBB351_1410:                           ;   in Loop: Header=BB351_1005 Depth=1
	s_delay_alu instid0(SALU_CYCLE_1) | instskip(SKIP_2) | instid1(VALU_DEP_1)
	s_or_b32 exec_lo, exec_lo, s14
	v_lshrrev_b16 v4, 8, v18
	s_mov_b32 s14, exec_lo
	v_cmpx_ne_u16_e32 0, v4
	s_cbranch_execz .LBB351_1418
; %bb.1411:                             ;   in Loop: Header=BB351_1005 Depth=1
	v_bfrev_b32_e32 v3, 1
	s_mov_b32 s15, exec_lo
	v_cmpx_ne_u16_e32 0x80, v4
	s_cbranch_execz .LBB351_1417
; %bb.1412:                             ;   in Loop: Header=BB351_1005 Depth=1
	v_and_b32_e32 v5, 0xffff, v4
	v_mov_b32_e32 v3, 0x7f800001
	s_mov_b32 s16, exec_lo
	s_delay_alu instid0(VALU_DEP_2) | instskip(NEXT) | instid1(VALU_DEP_1)
	v_and_b32_e32 v4, 0x7f, v5
	v_cmpx_ne_u32_e32 0x7f, v4
	s_cbranch_execz .LBB351_1416
; %bb.1413:                             ;   in Loop: Header=BB351_1005 Depth=1
	v_dual_lshrrev_b32 v3, 3, v4 :: v_dual_bitop2_b32 v26, 7, v5 bitop3:0x40
	s_mov_b32 s17, exec_lo
	s_delay_alu instid0(VALU_DEP_1)
	v_mov_b64_e32 v[22:23], v[26:27]
	v_cmpx_gt_u32_e32 8, v4
; %bb.1414:                             ;   in Loop: Header=BB351_1005 Depth=1
	v_clz_i32_u32_e32 v3, v26
	s_delay_alu instid0(VALU_DEP_1) | instskip(NEXT) | instid1(VALU_DEP_1)
	v_min_u32_e32 v3, 32, v3
	v_subrev_nc_u32_e32 v4, 28, v3
	s_delay_alu instid0(VALU_DEP_1) | instskip(NEXT) | instid1(VALU_DEP_1)
	v_lshlrev_b64_e32 v[4:5], v4, v[26:27]
	v_dual_sub_nc_u32 v3, 29, v3 :: v_dual_bitop2_b32 v22, 7, v4 bitop3:0x40
; %bb.1415:                             ;   in Loop: Header=BB351_1005 Depth=1
	s_or_b32 exec_lo, exec_lo, s17
	v_lshlrev_b32_e32 v4, 16, v18
	s_delay_alu instid0(VALU_DEP_2) | instskip(NEXT) | instid1(VALU_DEP_3)
	v_lshlrev_b32_e32 v5, 20, v22
	v_lshl_add_u32 v3, v3, 23, 0x3c000000
	s_delay_alu instid0(VALU_DEP_3) | instskip(NEXT) | instid1(VALU_DEP_1)
	v_and_b32_e32 v4, 0x80000000, v4
	v_or3_b32 v3, v5, v4, v3
.LBB351_1416:                           ;   in Loop: Header=BB351_1005 Depth=1
	s_or_b32 exec_lo, exec_lo, s16
.LBB351_1417:                           ;   in Loop: Header=BB351_1005 Depth=1
	s_delay_alu instid0(SALU_CYCLE_1)
	s_or_b32 exec_lo, exec_lo, s15
.LBB351_1418:                           ;   in Loop: Header=BB351_1005 Depth=1
	s_delay_alu instid0(SALU_CYCLE_1) | instskip(SKIP_3) | instid1(VALU_DEP_2)
	s_or_b32 exec_lo, exec_lo, s14
	v_dual_mov_b32 v5, 0 :: v_dual_lshrrev_b32 v6, 16, v18
	v_mov_b32_e32 v4, 0
	s_mov_b32 s14, exec_lo
	v_and_b32_e32 v7, 0xff, v6
	s_delay_alu instid0(VALU_DEP_1)
	v_cmpx_ne_u16_e32 0, v7
	s_cbranch_execz .LBB351_1426
; %bb.1419:                             ;   in Loop: Header=BB351_1005 Depth=1
	v_bfrev_b32_e32 v4, 1
	s_mov_b32 s15, exec_lo
	v_cmpx_ne_u16_e32 0x80, v7
	s_cbranch_execz .LBB351_1425
; %bb.1420:                             ;   in Loop: Header=BB351_1005 Depth=1
	v_bfe_u32 v7, v18, 16, 7
	v_mov_b32_e32 v4, 0x7f800001
	s_mov_b32 s16, exec_lo
	s_delay_alu instid0(VALU_DEP_2)
	v_cmpx_ne_u32_e32 0x7f, v7
	s_cbranch_execz .LBB351_1424
; %bb.1421:                             ;   in Loop: Header=BB351_1005 Depth=1
	v_dual_lshrrev_b32 v4, 3, v7 :: v_dual_bitop2_b32 v26, 7, v6 bitop3:0x40
	s_mov_b32 s17, exec_lo
	s_delay_alu instid0(VALU_DEP_1)
	v_mov_b64_e32 v[22:23], v[26:27]
	v_cmpx_gt_u32_e32 8, v7
; %bb.1422:                             ;   in Loop: Header=BB351_1005 Depth=1
	v_clz_i32_u32_e32 v4, v26
	s_delay_alu instid0(VALU_DEP_1) | instskip(NEXT) | instid1(VALU_DEP_1)
	v_min_u32_e32 v4, 32, v4
	v_subrev_nc_u32_e32 v7, 28, v4
	s_delay_alu instid0(VALU_DEP_1) | instskip(NEXT) | instid1(VALU_DEP_1)
	v_lshlrev_b64_e32 v[22:23], v7, v[26:27]
	v_dual_sub_nc_u32 v4, 29, v4 :: v_dual_bitop2_b32 v22, 7, v22 bitop3:0x40
; %bb.1423:                             ;   in Loop: Header=BB351_1005 Depth=1
	s_or_b32 exec_lo, exec_lo, s17
	v_lshlrev_b32_e32 v6, 24, v6
	s_delay_alu instid0(VALU_DEP_2) | instskip(NEXT) | instid1(VALU_DEP_3)
	v_lshlrev_b32_e32 v7, 20, v22
	v_lshl_add_u32 v4, v4, 23, 0x3c000000
	s_delay_alu instid0(VALU_DEP_3) | instskip(NEXT) | instid1(VALU_DEP_1)
	v_and_b32_e32 v6, 0x80000000, v6
	v_or3_b32 v4, v7, v6, v4
.LBB351_1424:                           ;   in Loop: Header=BB351_1005 Depth=1
	s_or_b32 exec_lo, exec_lo, s16
.LBB351_1425:                           ;   in Loop: Header=BB351_1005 Depth=1
	s_delay_alu instid0(SALU_CYCLE_1)
	s_or_b32 exec_lo, exec_lo, s15
.LBB351_1426:                           ;   in Loop: Header=BB351_1005 Depth=1
	s_delay_alu instid0(SALU_CYCLE_1) | instskip(NEXT) | instid1(SALU_CYCLE_1)
	s_or_b32 exec_lo, exec_lo, s14
	s_mov_b32 s14, exec_lo
	v_cmpx_lt_u32_e32 0xffffff, v18
	s_cbranch_execz .LBB351_1434
; %bb.1427:                             ;   in Loop: Header=BB351_1005 Depth=1
	v_lshrrev_b32_e32 v6, 24, v18
	v_bfrev_b32_e32 v5, 1
	s_mov_b32 s15, exec_lo
	s_delay_alu instid0(VALU_DEP_2)
	v_cmpx_ne_u32_e32 0x80, v6
	s_cbranch_execz .LBB351_1433
; %bb.1428:                             ;   in Loop: Header=BB351_1005 Depth=1
	v_bfe_u32 v7, v18, 24, 7
	v_mov_b32_e32 v5, 0x7f800001
	s_mov_b32 s16, exec_lo
	s_delay_alu instid0(VALU_DEP_2)
	v_cmpx_ne_u32_e32 0x7f, v7
	s_cbranch_execz .LBB351_1432
; %bb.1429:                             ;   in Loop: Header=BB351_1005 Depth=1
	v_dual_lshrrev_b32 v5, 3, v7 :: v_dual_bitop2_b32 v26, 7, v6 bitop3:0x40
	s_mov_b32 s17, exec_lo
	s_delay_alu instid0(VALU_DEP_1)
	v_mov_b64_e32 v[22:23], v[26:27]
	v_cmpx_gt_u32_e32 8, v7
; %bb.1430:                             ;   in Loop: Header=BB351_1005 Depth=1
	v_clz_i32_u32_e32 v5, v26
	s_delay_alu instid0(VALU_DEP_1) | instskip(NEXT) | instid1(VALU_DEP_1)
	v_min_u32_e32 v5, 32, v5
	v_subrev_nc_u32_e32 v7, 28, v5
	s_delay_alu instid0(VALU_DEP_1) | instskip(NEXT) | instid1(VALU_DEP_1)
	v_lshlrev_b64_e32 v[22:23], v7, v[26:27]
	v_dual_sub_nc_u32 v5, 29, v5 :: v_dual_bitop2_b32 v22, 7, v22 bitop3:0x40
; %bb.1431:                             ;   in Loop: Header=BB351_1005 Depth=1
	s_or_b32 exec_lo, exec_lo, s17
	v_lshlrev_b32_e32 v6, 24, v6
	s_delay_alu instid0(VALU_DEP_2) | instskip(NEXT) | instid1(VALU_DEP_3)
	v_lshlrev_b32_e32 v7, 20, v22
	v_lshl_add_u32 v5, v5, 23, 0x3c000000
	s_delay_alu instid0(VALU_DEP_3) | instskip(NEXT) | instid1(VALU_DEP_1)
	v_and_b32_e32 v6, 0x80000000, v6
	v_or3_b32 v5, v7, v6, v5
.LBB351_1432:                           ;   in Loop: Header=BB351_1005 Depth=1
	s_or_b32 exec_lo, exec_lo, s16
.LBB351_1433:                           ;   in Loop: Header=BB351_1005 Depth=1
	s_delay_alu instid0(SALU_CYCLE_1)
	s_or_b32 exec_lo, exec_lo, s15
.LBB351_1434:                           ;   in Loop: Header=BB351_1005 Depth=1
	s_delay_alu instid0(SALU_CYCLE_1) | instskip(SKIP_4) | instid1(VALU_DEP_3)
	s_or_b32 exec_lo, exec_lo, s14
	v_and_b32_e32 v8, 0xff, v19
	v_dual_mov_b32 v26, v19 :: v_dual_mov_b32 v7, 0
	v_mov_b32_e32 v6, 0
	s_mov_b32 s14, exec_lo
	v_cmpx_ne_u16_e32 0, v8
	s_cbranch_execz .LBB351_1442
; %bb.1435:                             ;   in Loop: Header=BB351_1005 Depth=1
	v_bfrev_b32_e32 v6, 1
	s_mov_b32 s15, exec_lo
	v_cmpx_ne_u16_e32 0x80, v8
	s_cbranch_execz .LBB351_1441
; %bb.1436:                             ;   in Loop: Header=BB351_1005 Depth=1
	v_and_b32_e32 v8, 0x7f, v19
	v_mov_b32_e32 v6, 0x7f800001
	s_mov_b32 s16, exec_lo
	s_delay_alu instid0(VALU_DEP_2)
	v_cmpx_ne_u32_e32 0x7f, v8
	s_cbranch_execz .LBB351_1440
; %bb.1437:                             ;   in Loop: Header=BB351_1005 Depth=1
	v_mov_b64_e32 v[22:23], v[26:27]
	v_lshrrev_b32_e32 v6, 3, v8
	s_mov_b32 s17, exec_lo
	v_cmpx_gt_u32_e32 8, v8
; %bb.1438:                             ;   in Loop: Header=BB351_1005 Depth=1
	v_and_b32_e32 v6, 7, v19
	s_delay_alu instid0(VALU_DEP_1) | instskip(NEXT) | instid1(VALU_DEP_1)
	v_clz_i32_u32_e32 v6, v6
	v_min_u32_e32 v6, 32, v6
	s_delay_alu instid0(VALU_DEP_1) | instskip(SKIP_1) | instid1(VALU_DEP_2)
	v_subrev_nc_u32_e32 v8, 28, v6
	v_sub_nc_u32_e32 v6, 29, v6
	v_lshlrev_b64_e32 v[22:23], v8, v[26:27]
; %bb.1439:                             ;   in Loop: Header=BB351_1005 Depth=1
	s_or_b32 exec_lo, exec_lo, s17
	s_delay_alu instid0(VALU_DEP_1) | instskip(SKIP_2) | instid1(VALU_DEP_3)
	v_lshlrev_b32_e32 v8, 20, v22
	v_lshlrev_b32_e32 v17, 24, v26
	v_lshl_add_u32 v6, v6, 23, 0x3c000000
	v_and_b32_e32 v8, 0x700000, v8
	s_delay_alu instid0(VALU_DEP_3) | instskip(NEXT) | instid1(VALU_DEP_1)
	v_and_b32_e32 v17, 0x80000000, v17
	v_or3_b32 v6, v8, v17, v6
.LBB351_1440:                           ;   in Loop: Header=BB351_1005 Depth=1
	s_or_b32 exec_lo, exec_lo, s16
.LBB351_1441:                           ;   in Loop: Header=BB351_1005 Depth=1
	s_delay_alu instid0(SALU_CYCLE_1)
	s_or_b32 exec_lo, exec_lo, s15
.LBB351_1442:                           ;   in Loop: Header=BB351_1005 Depth=1
	s_delay_alu instid0(SALU_CYCLE_1) | instskip(SKIP_2) | instid1(VALU_DEP_1)
	s_or_b32 exec_lo, exec_lo, s14
	v_lshrrev_b16 v8, 8, v26
	s_mov_b32 s14, exec_lo
	v_cmpx_ne_u16_e32 0, v8
	s_cbranch_execz .LBB351_1450
; %bb.1443:                             ;   in Loop: Header=BB351_1005 Depth=1
	v_bfrev_b32_e32 v7, 1
	s_mov_b32 s15, exec_lo
	v_cmpx_ne_u16_e32 0x80, v8
	s_cbranch_execz .LBB351_1449
; %bb.1444:                             ;   in Loop: Header=BB351_1005 Depth=1
	v_and_b32_e32 v17, 0xffff, v8
	v_mov_b32_e32 v7, 0x7f800001
	s_mov_b32 s16, exec_lo
	s_delay_alu instid0(VALU_DEP_2) | instskip(NEXT) | instid1(VALU_DEP_1)
	v_and_b32_e32 v8, 0x7f, v17
	v_cmpx_ne_u32_e32 0x7f, v8
	s_cbranch_execz .LBB351_1448
; %bb.1445:                             ;   in Loop: Header=BB351_1005 Depth=1
	v_dual_mov_b32 v23, v27 :: v_dual_bitop2_b32 v22, 7, v17 bitop3:0x40
	v_lshrrev_b32_e32 v7, 3, v8
	s_mov_b32 s17, exec_lo
	v_cmpx_gt_u32_e32 8, v8
; %bb.1446:                             ;   in Loop: Header=BB351_1005 Depth=1
	s_delay_alu instid0(VALU_DEP_3) | instskip(NEXT) | instid1(VALU_DEP_1)
	v_clz_i32_u32_e32 v7, v22
	v_min_u32_e32 v7, 32, v7
	s_delay_alu instid0(VALU_DEP_1) | instskip(NEXT) | instid1(VALU_DEP_1)
	v_subrev_nc_u32_e32 v8, 28, v7
	v_lshlrev_b64_e32 v[22:23], v8, v[22:23]
	s_delay_alu instid0(VALU_DEP_1)
	v_dual_sub_nc_u32 v7, 29, v7 :: v_dual_bitop2_b32 v22, 7, v22 bitop3:0x40
; %bb.1447:                             ;   in Loop: Header=BB351_1005 Depth=1
	s_or_b32 exec_lo, exec_lo, s17
	v_lshlrev_b32_e32 v8, 16, v26
	s_delay_alu instid0(VALU_DEP_2) | instskip(NEXT) | instid1(VALU_DEP_3)
	v_lshlrev_b32_e32 v17, 20, v22
	v_lshl_add_u32 v7, v7, 23, 0x3c000000
	s_delay_alu instid0(VALU_DEP_3) | instskip(NEXT) | instid1(VALU_DEP_1)
	v_and_b32_e32 v8, 0x80000000, v8
	v_or3_b32 v7, v17, v8, v7
.LBB351_1448:                           ;   in Loop: Header=BB351_1005 Depth=1
	s_or_b32 exec_lo, exec_lo, s16
.LBB351_1449:                           ;   in Loop: Header=BB351_1005 Depth=1
	s_delay_alu instid0(SALU_CYCLE_1)
	s_or_b32 exec_lo, exec_lo, s15
.LBB351_1450:                           ;   in Loop: Header=BB351_1005 Depth=1
	s_delay_alu instid0(SALU_CYCLE_1) | instskip(SKIP_3) | instid1(VALU_DEP_2)
	s_or_b32 exec_lo, exec_lo, s14
	v_dual_mov_b32 v17, 0 :: v_dual_lshrrev_b32 v36, 16, v19
	v_mov_b32_e32 v8, 0
	s_mov_b32 s14, exec_lo
	v_and_b32_e32 v22, 0xff, v36
	s_delay_alu instid0(VALU_DEP_1)
	v_cmpx_ne_u16_e32 0, v22
	s_cbranch_execz .LBB351_1458
; %bb.1451:                             ;   in Loop: Header=BB351_1005 Depth=1
	v_bfrev_b32_e32 v8, 1
	s_mov_b32 s15, exec_lo
	v_cmpx_ne_u16_e32 0x80, v22
	s_cbranch_execz .LBB351_1457
; %bb.1452:                             ;   in Loop: Header=BB351_1005 Depth=1
	v_bfe_u32 v22, v19, 16, 7
	v_mov_b32_e32 v8, 0x7f800001
	s_mov_b32 s16, exec_lo
	s_delay_alu instid0(VALU_DEP_2)
	v_cmpx_ne_u32_e32 0x7f, v22
	s_cbranch_execz .LBB351_1456
; %bb.1453:                             ;   in Loop: Header=BB351_1005 Depth=1
	v_dual_lshrrev_b32 v8, 3, v22 :: v_dual_bitop2_b32 v26, 7, v36 bitop3:0x40
	v_cmp_gt_u32_e64 s0, 8, v22
	s_delay_alu instid0(VALU_DEP_2)
	v_mov_b64_e32 v[22:23], v[26:27]
	s_and_saveexec_b32 s17, s0
; %bb.1454:                             ;   in Loop: Header=BB351_1005 Depth=1
	v_clz_i32_u32_e32 v8, v26
	s_delay_alu instid0(VALU_DEP_1) | instskip(NEXT) | instid1(VALU_DEP_1)
	v_min_u32_e32 v8, 32, v8
	v_subrev_nc_u32_e32 v22, 28, v8
	s_delay_alu instid0(VALU_DEP_1) | instskip(NEXT) | instid1(VALU_DEP_1)
	v_lshlrev_b64_e32 v[22:23], v22, v[26:27]
	v_dual_sub_nc_u32 v8, 29, v8 :: v_dual_bitop2_b32 v22, 7, v22 bitop3:0x40
; %bb.1455:                             ;   in Loop: Header=BB351_1005 Depth=1
	s_or_b32 exec_lo, exec_lo, s17
	s_delay_alu instid0(VALU_DEP_1) | instskip(NEXT) | instid1(VALU_DEP_2)
	v_dual_lshlrev_b32 v23, 24, v36 :: v_dual_lshlrev_b32 v22, 20, v22
	v_lshl_add_u32 v8, v8, 23, 0x3c000000
	s_delay_alu instid0(VALU_DEP_2) | instskip(NEXT) | instid1(VALU_DEP_1)
	v_and_b32_e32 v23, 0x80000000, v23
	v_or3_b32 v8, v22, v23, v8
.LBB351_1456:                           ;   in Loop: Header=BB351_1005 Depth=1
	s_or_b32 exec_lo, exec_lo, s16
.LBB351_1457:                           ;   in Loop: Header=BB351_1005 Depth=1
	s_delay_alu instid0(SALU_CYCLE_1)
	s_or_b32 exec_lo, exec_lo, s15
.LBB351_1458:                           ;   in Loop: Header=BB351_1005 Depth=1
	s_delay_alu instid0(SALU_CYCLE_1) | instskip(NEXT) | instid1(SALU_CYCLE_1)
	s_or_b32 exec_lo, exec_lo, s14
	s_mov_b32 s14, exec_lo
	v_cmpx_lt_u64_e64 s[2:3], v[18:19]
	s_cbranch_execz .LBB351_1466
; %bb.1459:                             ;   in Loop: Header=BB351_1005 Depth=1
	v_lshrrev_b32_e32 v22, 24, v19
	v_bfrev_b32_e32 v17, 1
	s_mov_b32 s15, exec_lo
	s_delay_alu instid0(VALU_DEP_2)
	v_cmpx_ne_u32_e32 0x80, v22
	s_cbranch_execz .LBB351_1465
; %bb.1460:                             ;   in Loop: Header=BB351_1005 Depth=1
	v_bfe_u32 v18, v19, 24, 7
	v_mov_b32_e32 v17, 0x7f800001
	s_mov_b32 s16, exec_lo
	s_delay_alu instid0(VALU_DEP_2)
	v_cmpx_ne_u32_e32 0x7f, v18
	s_cbranch_execz .LBB351_1464
; %bb.1461:                             ;   in Loop: Header=BB351_1005 Depth=1
	v_and_b32_e32 v26, 7, v22
	v_lshrrev_b32_e32 v17, 3, v18
	v_cmp_gt_u32_e64 s0, 8, v18
	s_delay_alu instid0(VALU_DEP_3)
	v_mov_b64_e32 v[18:19], v[26:27]
	s_and_saveexec_b32 s17, s0
; %bb.1462:                             ;   in Loop: Header=BB351_1005 Depth=1
	v_clz_i32_u32_e32 v17, v26
	s_delay_alu instid0(VALU_DEP_1) | instskip(NEXT) | instid1(VALU_DEP_1)
	v_min_u32_e32 v17, 32, v17
	v_subrev_nc_u32_e32 v18, 28, v17
	s_delay_alu instid0(VALU_DEP_1) | instskip(NEXT) | instid1(VALU_DEP_1)
	v_lshlrev_b64_e32 v[18:19], v18, v[26:27]
	v_dual_sub_nc_u32 v17, 29, v17 :: v_dual_bitop2_b32 v18, 7, v18 bitop3:0x40
; %bb.1463:                             ;   in Loop: Header=BB351_1005 Depth=1
	s_or_b32 exec_lo, exec_lo, s17
	v_lshlrev_b32_e32 v19, 24, v22
	s_delay_alu instid0(VALU_DEP_2) | instskip(NEXT) | instid1(VALU_DEP_3)
	v_lshlrev_b32_e32 v18, 20, v18
	v_lshl_add_u32 v17, v17, 23, 0x3c000000
	s_delay_alu instid0(VALU_DEP_3) | instskip(NEXT) | instid1(VALU_DEP_1)
	v_and_b32_e32 v19, 0x80000000, v19
	v_or3_b32 v17, v18, v19, v17
.LBB351_1464:                           ;   in Loop: Header=BB351_1005 Depth=1
	s_or_b32 exec_lo, exec_lo, s16
.LBB351_1465:                           ;   in Loop: Header=BB351_1005 Depth=1
	s_delay_alu instid0(SALU_CYCLE_1)
	s_or_b32 exec_lo, exec_lo, s15
.LBB351_1466:                           ;   in Loop: Header=BB351_1005 Depth=1
	s_delay_alu instid0(SALU_CYCLE_1)
	s_or_b32 exec_lo, exec_lo, s14
	v_fma_mixlo_bf16 v90, v25, v7, 0
	v_fma_mixlo_bf16 v91, v25, v6, 0
	;; [unrolled: 1-line block ×8, first 2 shown]
	s_and_saveexec_b32 s14, vcc_lo
	s_cbranch_execz .LBB351_1468
; %bb.1467:                             ;   in Loop: Header=BB351_1005 Depth=1
	v_cmp_lt_i32_e64 s0, v85, v16
	s_delay_alu instid0(VALU_DEP_1) | instskip(SKIP_1) | instid1(VALU_DEP_1)
	v_cndmask_b32_e64 v95, 0, v95, s0
	v_cmp_lt_i32_e64 s0, v97, v16
	v_cndmask_b32_e64 v94, 0, v94, s0
	v_cmp_lt_i32_e64 s0, v96, v16
	s_delay_alu instid0(VALU_DEP_1) | instskip(SKIP_1) | instid1(VALU_DEP_1)
	v_cndmask_b32_e64 v93, 0, v93, s0
	v_cmp_lt_i32_e64 s0, v87, v16
	v_cndmask_b32_e64 v92, 0, v92, s0
	;; [unrolled: 5-line block ×4, first 2 shown]
.LBB351_1468:                           ;   in Loop: Header=BB351_1005 Depth=1
	s_or_b32 exec_lo, exec_lo, s14
	flat_load_b64 v[18:19], v[0:1] offset:1792
	v_dual_mov_b32 v3, 0 :: v_dual_mov_b32 v2, 0
	s_mov_b32 s14, exec_lo
	s_wait_loadcnt_dscnt 0x0
	v_and_b32_e32 v4, 0xff, v18
	s_wait_xcnt 0x0
	s_delay_alu instid0(VALU_DEP_1)
	v_cmpx_ne_u16_e32 0, v4
	s_cbranch_execz .LBB351_1476
; %bb.1469:                             ;   in Loop: Header=BB351_1005 Depth=1
	v_bfrev_b32_e32 v2, 1
	s_mov_b32 s15, exec_lo
	v_cmpx_ne_u16_e32 0x80, v4
	s_cbranch_execz .LBB351_1475
; %bb.1470:                             ;   in Loop: Header=BB351_1005 Depth=1
	v_and_b32_e32 v4, 0x7f, v18
	v_mov_b32_e32 v2, 0x7f800001
	s_mov_b32 s16, exec_lo
	s_delay_alu instid0(VALU_DEP_2)
	v_cmpx_ne_u32_e32 0x7f, v4
	s_cbranch_execz .LBB351_1474
; %bb.1471:                             ;   in Loop: Header=BB351_1005 Depth=1
	v_mov_b64_e32 v[22:23], v[18:19]
	v_lshrrev_b32_e32 v2, 3, v4
	s_mov_b32 s17, exec_lo
	v_cmpx_gt_u32_e32 8, v4
; %bb.1472:                             ;   in Loop: Header=BB351_1005 Depth=1
	v_and_b32_e32 v2, 7, v18
	s_delay_alu instid0(VALU_DEP_1) | instskip(NEXT) | instid1(VALU_DEP_1)
	v_clz_i32_u32_e32 v2, v2
	v_min_u32_e32 v2, 32, v2
	s_delay_alu instid0(VALU_DEP_1) | instskip(SKIP_1) | instid1(VALU_DEP_2)
	v_subrev_nc_u32_e32 v4, 28, v2
	v_sub_nc_u32_e32 v2, 29, v2
	v_lshlrev_b64_e32 v[22:23], v4, v[18:19]
; %bb.1473:                             ;   in Loop: Header=BB351_1005 Depth=1
	s_or_b32 exec_lo, exec_lo, s17
	s_delay_alu instid0(VALU_DEP_1) | instskip(SKIP_2) | instid1(VALU_DEP_3)
	v_lshlrev_b32_e32 v4, 20, v22
	v_lshlrev_b32_e32 v5, 24, v18
	v_lshl_add_u32 v2, v2, 23, 0x3c000000
	v_and_b32_e32 v4, 0x700000, v4
	s_delay_alu instid0(VALU_DEP_3) | instskip(NEXT) | instid1(VALU_DEP_1)
	v_and_b32_e32 v5, 0x80000000, v5
	v_or3_b32 v2, v4, v5, v2
.LBB351_1474:                           ;   in Loop: Header=BB351_1005 Depth=1
	s_or_b32 exec_lo, exec_lo, s16
.LBB351_1475:                           ;   in Loop: Header=BB351_1005 Depth=1
	s_delay_alu instid0(SALU_CYCLE_1)
	s_or_b32 exec_lo, exec_lo, s15
.LBB351_1476:                           ;   in Loop: Header=BB351_1005 Depth=1
	s_delay_alu instid0(SALU_CYCLE_1) | instskip(SKIP_2) | instid1(VALU_DEP_1)
	s_or_b32 exec_lo, exec_lo, s14
	v_lshrrev_b16 v4, 8, v18
	s_mov_b32 s14, exec_lo
	v_cmpx_ne_u16_e32 0, v4
	s_cbranch_execz .LBB351_1484
; %bb.1477:                             ;   in Loop: Header=BB351_1005 Depth=1
	v_bfrev_b32_e32 v3, 1
	s_mov_b32 s15, exec_lo
	v_cmpx_ne_u16_e32 0x80, v4
	s_cbranch_execz .LBB351_1483
; %bb.1478:                             ;   in Loop: Header=BB351_1005 Depth=1
	v_and_b32_e32 v5, 0xffff, v4
	v_mov_b32_e32 v3, 0x7f800001
	s_mov_b32 s16, exec_lo
	s_delay_alu instid0(VALU_DEP_2) | instskip(NEXT) | instid1(VALU_DEP_1)
	v_and_b32_e32 v4, 0x7f, v5
	v_cmpx_ne_u32_e32 0x7f, v4
	s_cbranch_execz .LBB351_1482
; %bb.1479:                             ;   in Loop: Header=BB351_1005 Depth=1
	v_dual_lshrrev_b32 v3, 3, v4 :: v_dual_bitop2_b32 v26, 7, v5 bitop3:0x40
	s_mov_b32 s17, exec_lo
	s_delay_alu instid0(VALU_DEP_1)
	v_mov_b64_e32 v[22:23], v[26:27]
	v_cmpx_gt_u32_e32 8, v4
; %bb.1480:                             ;   in Loop: Header=BB351_1005 Depth=1
	v_clz_i32_u32_e32 v3, v26
	s_delay_alu instid0(VALU_DEP_1) | instskip(NEXT) | instid1(VALU_DEP_1)
	v_min_u32_e32 v3, 32, v3
	v_subrev_nc_u32_e32 v4, 28, v3
	s_delay_alu instid0(VALU_DEP_1) | instskip(NEXT) | instid1(VALU_DEP_1)
	v_lshlrev_b64_e32 v[4:5], v4, v[26:27]
	v_dual_sub_nc_u32 v3, 29, v3 :: v_dual_bitop2_b32 v22, 7, v4 bitop3:0x40
; %bb.1481:                             ;   in Loop: Header=BB351_1005 Depth=1
	s_or_b32 exec_lo, exec_lo, s17
	v_lshlrev_b32_e32 v4, 16, v18
	s_delay_alu instid0(VALU_DEP_2) | instskip(NEXT) | instid1(VALU_DEP_3)
	v_lshlrev_b32_e32 v5, 20, v22
	v_lshl_add_u32 v3, v3, 23, 0x3c000000
	s_delay_alu instid0(VALU_DEP_3) | instskip(NEXT) | instid1(VALU_DEP_1)
	v_and_b32_e32 v4, 0x80000000, v4
	v_or3_b32 v3, v5, v4, v3
.LBB351_1482:                           ;   in Loop: Header=BB351_1005 Depth=1
	s_or_b32 exec_lo, exec_lo, s16
.LBB351_1483:                           ;   in Loop: Header=BB351_1005 Depth=1
	s_delay_alu instid0(SALU_CYCLE_1)
	s_or_b32 exec_lo, exec_lo, s15
.LBB351_1484:                           ;   in Loop: Header=BB351_1005 Depth=1
	s_delay_alu instid0(SALU_CYCLE_1) | instskip(SKIP_3) | instid1(VALU_DEP_2)
	s_or_b32 exec_lo, exec_lo, s14
	v_dual_mov_b32 v5, 0 :: v_dual_lshrrev_b32 v6, 16, v18
	v_mov_b32_e32 v4, 0
	s_mov_b32 s14, exec_lo
	v_and_b32_e32 v7, 0xff, v6
	s_delay_alu instid0(VALU_DEP_1)
	v_cmpx_ne_u16_e32 0, v7
	s_cbranch_execz .LBB351_1492
; %bb.1485:                             ;   in Loop: Header=BB351_1005 Depth=1
	v_bfrev_b32_e32 v4, 1
	s_mov_b32 s15, exec_lo
	v_cmpx_ne_u16_e32 0x80, v7
	s_cbranch_execz .LBB351_1491
; %bb.1486:                             ;   in Loop: Header=BB351_1005 Depth=1
	v_bfe_u32 v7, v18, 16, 7
	v_mov_b32_e32 v4, 0x7f800001
	s_mov_b32 s16, exec_lo
	s_delay_alu instid0(VALU_DEP_2)
	v_cmpx_ne_u32_e32 0x7f, v7
	s_cbranch_execz .LBB351_1490
; %bb.1487:                             ;   in Loop: Header=BB351_1005 Depth=1
	v_dual_lshrrev_b32 v4, 3, v7 :: v_dual_bitop2_b32 v26, 7, v6 bitop3:0x40
	s_mov_b32 s17, exec_lo
	s_delay_alu instid0(VALU_DEP_1)
	v_mov_b64_e32 v[22:23], v[26:27]
	v_cmpx_gt_u32_e32 8, v7
; %bb.1488:                             ;   in Loop: Header=BB351_1005 Depth=1
	v_clz_i32_u32_e32 v4, v26
	s_delay_alu instid0(VALU_DEP_1) | instskip(NEXT) | instid1(VALU_DEP_1)
	v_min_u32_e32 v4, 32, v4
	v_subrev_nc_u32_e32 v7, 28, v4
	s_delay_alu instid0(VALU_DEP_1) | instskip(NEXT) | instid1(VALU_DEP_1)
	v_lshlrev_b64_e32 v[22:23], v7, v[26:27]
	v_dual_sub_nc_u32 v4, 29, v4 :: v_dual_bitop2_b32 v22, 7, v22 bitop3:0x40
; %bb.1489:                             ;   in Loop: Header=BB351_1005 Depth=1
	s_or_b32 exec_lo, exec_lo, s17
	v_lshlrev_b32_e32 v6, 24, v6
	s_delay_alu instid0(VALU_DEP_2) | instskip(NEXT) | instid1(VALU_DEP_3)
	v_lshlrev_b32_e32 v7, 20, v22
	v_lshl_add_u32 v4, v4, 23, 0x3c000000
	s_delay_alu instid0(VALU_DEP_3) | instskip(NEXT) | instid1(VALU_DEP_1)
	v_and_b32_e32 v6, 0x80000000, v6
	v_or3_b32 v4, v7, v6, v4
.LBB351_1490:                           ;   in Loop: Header=BB351_1005 Depth=1
	s_or_b32 exec_lo, exec_lo, s16
.LBB351_1491:                           ;   in Loop: Header=BB351_1005 Depth=1
	s_delay_alu instid0(SALU_CYCLE_1)
	s_or_b32 exec_lo, exec_lo, s15
.LBB351_1492:                           ;   in Loop: Header=BB351_1005 Depth=1
	s_delay_alu instid0(SALU_CYCLE_1) | instskip(NEXT) | instid1(SALU_CYCLE_1)
	s_or_b32 exec_lo, exec_lo, s14
	s_mov_b32 s14, exec_lo
	v_cmpx_lt_u32_e32 0xffffff, v18
	s_cbranch_execz .LBB351_1500
; %bb.1493:                             ;   in Loop: Header=BB351_1005 Depth=1
	v_lshrrev_b32_e32 v6, 24, v18
	v_bfrev_b32_e32 v5, 1
	s_mov_b32 s15, exec_lo
	s_delay_alu instid0(VALU_DEP_2)
	v_cmpx_ne_u32_e32 0x80, v6
	s_cbranch_execz .LBB351_1499
; %bb.1494:                             ;   in Loop: Header=BB351_1005 Depth=1
	v_bfe_u32 v7, v18, 24, 7
	v_mov_b32_e32 v5, 0x7f800001
	s_mov_b32 s16, exec_lo
	s_delay_alu instid0(VALU_DEP_2)
	v_cmpx_ne_u32_e32 0x7f, v7
	s_cbranch_execz .LBB351_1498
; %bb.1495:                             ;   in Loop: Header=BB351_1005 Depth=1
	v_dual_lshrrev_b32 v5, 3, v7 :: v_dual_bitop2_b32 v26, 7, v6 bitop3:0x40
	s_mov_b32 s17, exec_lo
	s_delay_alu instid0(VALU_DEP_1)
	v_mov_b64_e32 v[22:23], v[26:27]
	v_cmpx_gt_u32_e32 8, v7
; %bb.1496:                             ;   in Loop: Header=BB351_1005 Depth=1
	v_clz_i32_u32_e32 v5, v26
	s_delay_alu instid0(VALU_DEP_1) | instskip(NEXT) | instid1(VALU_DEP_1)
	v_min_u32_e32 v5, 32, v5
	v_subrev_nc_u32_e32 v7, 28, v5
	s_delay_alu instid0(VALU_DEP_1) | instskip(NEXT) | instid1(VALU_DEP_1)
	v_lshlrev_b64_e32 v[22:23], v7, v[26:27]
	v_dual_sub_nc_u32 v5, 29, v5 :: v_dual_bitop2_b32 v22, 7, v22 bitop3:0x40
; %bb.1497:                             ;   in Loop: Header=BB351_1005 Depth=1
	s_or_b32 exec_lo, exec_lo, s17
	v_lshlrev_b32_e32 v6, 24, v6
	s_delay_alu instid0(VALU_DEP_2) | instskip(NEXT) | instid1(VALU_DEP_3)
	v_lshlrev_b32_e32 v7, 20, v22
	v_lshl_add_u32 v5, v5, 23, 0x3c000000
	s_delay_alu instid0(VALU_DEP_3) | instskip(NEXT) | instid1(VALU_DEP_1)
	v_and_b32_e32 v6, 0x80000000, v6
	v_or3_b32 v5, v7, v6, v5
.LBB351_1498:                           ;   in Loop: Header=BB351_1005 Depth=1
	s_or_b32 exec_lo, exec_lo, s16
.LBB351_1499:                           ;   in Loop: Header=BB351_1005 Depth=1
	s_delay_alu instid0(SALU_CYCLE_1)
	s_or_b32 exec_lo, exec_lo, s15
.LBB351_1500:                           ;   in Loop: Header=BB351_1005 Depth=1
	s_delay_alu instid0(SALU_CYCLE_1) | instskip(SKIP_4) | instid1(VALU_DEP_3)
	s_or_b32 exec_lo, exec_lo, s14
	v_and_b32_e32 v17, 0xff, v19
	v_dual_mov_b32 v26, v19 :: v_dual_mov_b32 v7, 0
	v_mov_b32_e32 v6, 0
	s_mov_b32 s14, exec_lo
	v_cmpx_ne_u16_e32 0, v17
	s_cbranch_execz .LBB351_1508
; %bb.1501:                             ;   in Loop: Header=BB351_1005 Depth=1
	v_bfrev_b32_e32 v6, 1
	s_mov_b32 s15, exec_lo
	v_cmpx_ne_u16_e32 0x80, v17
	s_cbranch_execz .LBB351_1507
; %bb.1502:                             ;   in Loop: Header=BB351_1005 Depth=1
	v_and_b32_e32 v17, 0x7f, v19
	v_mov_b32_e32 v6, 0x7f800001
	s_mov_b32 s16, exec_lo
	s_delay_alu instid0(VALU_DEP_2)
	v_cmpx_ne_u32_e32 0x7f, v17
	s_cbranch_execz .LBB351_1506
; %bb.1503:                             ;   in Loop: Header=BB351_1005 Depth=1
	v_mov_b64_e32 v[22:23], v[26:27]
	v_lshrrev_b32_e32 v6, 3, v17
	s_mov_b32 s17, exec_lo
	v_cmpx_gt_u32_e32 8, v17
; %bb.1504:                             ;   in Loop: Header=BB351_1005 Depth=1
	v_and_b32_e32 v6, 7, v19
	s_delay_alu instid0(VALU_DEP_1) | instskip(NEXT) | instid1(VALU_DEP_1)
	v_clz_i32_u32_e32 v6, v6
	v_min_u32_e32 v6, 32, v6
	s_delay_alu instid0(VALU_DEP_1) | instskip(SKIP_1) | instid1(VALU_DEP_2)
	v_subrev_nc_u32_e32 v17, 28, v6
	v_sub_nc_u32_e32 v6, 29, v6
	v_lshlrev_b64_e32 v[22:23], v17, v[26:27]
; %bb.1505:                             ;   in Loop: Header=BB351_1005 Depth=1
	s_or_b32 exec_lo, exec_lo, s17
	s_delay_alu instid0(VALU_DEP_1) | instskip(SKIP_2) | instid1(VALU_DEP_3)
	v_lshlrev_b32_e32 v17, 20, v22
	v_lshlrev_b32_e32 v22, 24, v26
	v_lshl_add_u32 v6, v6, 23, 0x3c000000
	v_and_b32_e32 v17, 0x700000, v17
	s_delay_alu instid0(VALU_DEP_3) | instskip(NEXT) | instid1(VALU_DEP_1)
	v_and_b32_e32 v22, 0x80000000, v22
	v_or3_b32 v6, v17, v22, v6
.LBB351_1506:                           ;   in Loop: Header=BB351_1005 Depth=1
	s_or_b32 exec_lo, exec_lo, s16
.LBB351_1507:                           ;   in Loop: Header=BB351_1005 Depth=1
	s_delay_alu instid0(SALU_CYCLE_1)
	s_or_b32 exec_lo, exec_lo, s15
.LBB351_1508:                           ;   in Loop: Header=BB351_1005 Depth=1
	s_delay_alu instid0(SALU_CYCLE_1) | instskip(SKIP_2) | instid1(VALU_DEP_1)
	s_or_b32 exec_lo, exec_lo, s14
	v_lshrrev_b16 v17, 8, v26
	s_mov_b32 s14, exec_lo
	v_cmpx_ne_u16_e32 0, v17
	s_cbranch_execz .LBB351_1516
; %bb.1509:                             ;   in Loop: Header=BB351_1005 Depth=1
	v_bfrev_b32_e32 v7, 1
	s_mov_b32 s15, exec_lo
	v_cmpx_ne_u16_e32 0x80, v17
	s_cbranch_execz .LBB351_1515
; %bb.1510:                             ;   in Loop: Header=BB351_1005 Depth=1
	v_and_b32_e32 v22, 0xffff, v17
	v_mov_b32_e32 v7, 0x7f800001
	s_mov_b32 s16, exec_lo
	s_delay_alu instid0(VALU_DEP_2) | instskip(NEXT) | instid1(VALU_DEP_1)
	v_and_b32_e32 v17, 0x7f, v22
	v_cmpx_ne_u32_e32 0x7f, v17
	s_cbranch_execz .LBB351_1514
; %bb.1511:                             ;   in Loop: Header=BB351_1005 Depth=1
	v_dual_mov_b32 v23, v27 :: v_dual_bitop2_b32 v22, 7, v22 bitop3:0x40
	v_lshrrev_b32_e32 v7, 3, v17
	s_mov_b32 s17, exec_lo
	v_cmpx_gt_u32_e32 8, v17
; %bb.1512:                             ;   in Loop: Header=BB351_1005 Depth=1
	s_delay_alu instid0(VALU_DEP_3) | instskip(NEXT) | instid1(VALU_DEP_1)
	v_clz_i32_u32_e32 v7, v22
	v_min_u32_e32 v7, 32, v7
	s_delay_alu instid0(VALU_DEP_1) | instskip(NEXT) | instid1(VALU_DEP_1)
	v_subrev_nc_u32_e32 v17, 28, v7
	v_lshlrev_b64_e32 v[22:23], v17, v[22:23]
	s_delay_alu instid0(VALU_DEP_1)
	v_dual_sub_nc_u32 v7, 29, v7 :: v_dual_bitop2_b32 v22, 7, v22 bitop3:0x40
; %bb.1513:                             ;   in Loop: Header=BB351_1005 Depth=1
	s_or_b32 exec_lo, exec_lo, s17
	v_lshlrev_b32_e32 v17, 16, v26
	s_delay_alu instid0(VALU_DEP_2) | instskip(NEXT) | instid1(VALU_DEP_3)
	v_lshlrev_b32_e32 v22, 20, v22
	v_lshl_add_u32 v7, v7, 23, 0x3c000000
	s_delay_alu instid0(VALU_DEP_3) | instskip(NEXT) | instid1(VALU_DEP_1)
	v_and_b32_e32 v17, 0x80000000, v17
	v_or3_b32 v7, v22, v17, v7
.LBB351_1514:                           ;   in Loop: Header=BB351_1005 Depth=1
	s_or_b32 exec_lo, exec_lo, s16
.LBB351_1515:                           ;   in Loop: Header=BB351_1005 Depth=1
	s_delay_alu instid0(SALU_CYCLE_1)
	s_or_b32 exec_lo, exec_lo, s15
.LBB351_1516:                           ;   in Loop: Header=BB351_1005 Depth=1
	s_delay_alu instid0(SALU_CYCLE_1) | instskip(SKIP_3) | instid1(VALU_DEP_2)
	s_or_b32 exec_lo, exec_lo, s14
	v_dual_mov_b32 v17, 0 :: v_dual_lshrrev_b32 v36, 16, v19
	v_mov_b32_e32 v22, 0
	s_mov_b32 s14, exec_lo
	v_and_b32_e32 v23, 0xff, v36
	s_delay_alu instid0(VALU_DEP_1)
	v_cmpx_ne_u16_e32 0, v23
	s_cbranch_execz .LBB351_1524
; %bb.1517:                             ;   in Loop: Header=BB351_1005 Depth=1
	v_bfrev_b32_e32 v22, 1
	s_mov_b32 s15, exec_lo
	v_cmpx_ne_u16_e32 0x80, v23
	s_cbranch_execz .LBB351_1523
; %bb.1518:                             ;   in Loop: Header=BB351_1005 Depth=1
	v_bfe_u32 v23, v19, 16, 7
	v_mov_b32_e32 v22, 0x7f800001
	s_mov_b32 s16, exec_lo
	s_delay_alu instid0(VALU_DEP_2)
	v_cmpx_ne_u32_e32 0x7f, v23
	s_cbranch_execz .LBB351_1522
; %bb.1519:                             ;   in Loop: Header=BB351_1005 Depth=1
	v_dual_lshrrev_b32 v37, 3, v23 :: v_dual_bitop2_b32 v26, 7, v36 bitop3:0x40
	v_cmp_gt_u32_e64 s0, 8, v23
	s_delay_alu instid0(VALU_DEP_2)
	v_mov_b64_e32 v[22:23], v[26:27]
	s_and_saveexec_b32 s17, s0
; %bb.1520:                             ;   in Loop: Header=BB351_1005 Depth=1
	v_clz_i32_u32_e32 v22, v26
	s_delay_alu instid0(VALU_DEP_1) | instskip(NEXT) | instid1(VALU_DEP_1)
	v_min_u32_e32 v24, 32, v22
	v_subrev_nc_u32_e32 v22, 28, v24
	s_delay_alu instid0(VALU_DEP_1) | instskip(NEXT) | instid1(VALU_DEP_1)
	v_lshlrev_b64_e32 v[22:23], v22, v[26:27]
	v_dual_sub_nc_u32 v37, 29, v24 :: v_dual_bitop2_b32 v22, 7, v22 bitop3:0x40
; %bb.1521:                             ;   in Loop: Header=BB351_1005 Depth=1
	s_or_b32 exec_lo, exec_lo, s17
	s_delay_alu instid0(VALU_DEP_1) | instskip(NEXT) | instid1(VALU_DEP_2)
	v_dual_lshlrev_b32 v23, 24, v36 :: v_dual_lshlrev_b32 v22, 20, v22
	v_lshl_add_u32 v24, v37, 23, 0x3c000000
	s_delay_alu instid0(VALU_DEP_2) | instskip(NEXT) | instid1(VALU_DEP_1)
	v_and_b32_e32 v23, 0x80000000, v23
	v_or3_b32 v22, v22, v23, v24
.LBB351_1522:                           ;   in Loop: Header=BB351_1005 Depth=1
	s_or_b32 exec_lo, exec_lo, s16
.LBB351_1523:                           ;   in Loop: Header=BB351_1005 Depth=1
	s_delay_alu instid0(SALU_CYCLE_1)
	s_or_b32 exec_lo, exec_lo, s15
.LBB351_1524:                           ;   in Loop: Header=BB351_1005 Depth=1
	s_delay_alu instid0(SALU_CYCLE_1) | instskip(NEXT) | instid1(SALU_CYCLE_1)
	s_or_b32 exec_lo, exec_lo, s14
	s_mov_b32 s14, exec_lo
	v_cmpx_lt_u64_e64 s[2:3], v[18:19]
	s_cbranch_execz .LBB351_1532
; %bb.1525:                             ;   in Loop: Header=BB351_1005 Depth=1
	v_lshrrev_b32_e32 v23, 24, v19
	v_bfrev_b32_e32 v17, 1
	s_mov_b32 s15, exec_lo
	s_delay_alu instid0(VALU_DEP_2)
	v_cmpx_ne_u32_e32 0x80, v23
	s_cbranch_execz .LBB351_1531
; %bb.1526:                             ;   in Loop: Header=BB351_1005 Depth=1
	v_bfe_u32 v18, v19, 24, 7
	v_mov_b32_e32 v17, 0x7f800001
	s_mov_b32 s16, exec_lo
	s_delay_alu instid0(VALU_DEP_2)
	v_cmpx_ne_u32_e32 0x7f, v18
	s_cbranch_execz .LBB351_1530
; %bb.1527:                             ;   in Loop: Header=BB351_1005 Depth=1
	v_dual_lshrrev_b32 v17, 3, v18 :: v_dual_bitop2_b32 v26, 7, v23 bitop3:0x40
	v_cmp_gt_u32_e64 s0, 8, v18
	s_delay_alu instid0(VALU_DEP_2)
	v_mov_b64_e32 v[18:19], v[26:27]
	s_and_saveexec_b32 s17, s0
; %bb.1528:                             ;   in Loop: Header=BB351_1005 Depth=1
	v_clz_i32_u32_e32 v17, v26
	s_delay_alu instid0(VALU_DEP_1) | instskip(NEXT) | instid1(VALU_DEP_1)
	v_min_u32_e32 v17, 32, v17
	v_subrev_nc_u32_e32 v18, 28, v17
	s_delay_alu instid0(VALU_DEP_1) | instskip(NEXT) | instid1(VALU_DEP_1)
	v_lshlrev_b64_e32 v[18:19], v18, v[26:27]
	v_dual_sub_nc_u32 v17, 29, v17 :: v_dual_bitop2_b32 v18, 7, v18 bitop3:0x40
; %bb.1529:                             ;   in Loop: Header=BB351_1005 Depth=1
	s_or_b32 exec_lo, exec_lo, s17
	s_delay_alu instid0(VALU_DEP_1) | instskip(NEXT) | instid1(VALU_DEP_2)
	v_dual_lshlrev_b32 v19, 24, v23 :: v_dual_lshlrev_b32 v18, 20, v18
	v_lshl_add_u32 v17, v17, 23, 0x3c000000
	s_delay_alu instid0(VALU_DEP_2) | instskip(NEXT) | instid1(VALU_DEP_1)
	v_and_b32_e32 v19, 0x80000000, v19
	v_or3_b32 v17, v18, v19, v17
.LBB351_1530:                           ;   in Loop: Header=BB351_1005 Depth=1
	s_or_b32 exec_lo, exec_lo, s16
.LBB351_1531:                           ;   in Loop: Header=BB351_1005 Depth=1
	s_delay_alu instid0(SALU_CYCLE_1)
	s_or_b32 exec_lo, exec_lo, s15
.LBB351_1532:                           ;   in Loop: Header=BB351_1005 Depth=1
	s_delay_alu instid0(SALU_CYCLE_1)
	s_or_b32 exec_lo, exec_lo, s14
	v_fma_mixlo_bf16 v106, v25, v7, 0
	v_fma_mixlo_bf16 v107, v25, v6, 0
	;; [unrolled: 1-line block ×8, first 2 shown]
	s_and_saveexec_b32 s14, vcc_lo
	s_cbranch_execz .LBB351_1534
; %bb.1533:                             ;   in Loop: Header=BB351_1005 Depth=1
	v_cmp_lt_i32_e64 s0, v85, v16
	s_delay_alu instid0(VALU_DEP_1) | instskip(SKIP_1) | instid1(VALU_DEP_1)
	v_cndmask_b32_e64 v111, 0, v111, s0
	v_cmp_lt_i32_e64 s0, v97, v16
	v_cndmask_b32_e64 v110, 0, v110, s0
	v_cmp_lt_i32_e64 s0, v96, v16
	s_delay_alu instid0(VALU_DEP_1) | instskip(SKIP_1) | instid1(VALU_DEP_1)
	v_cndmask_b32_e64 v109, 0, v109, s0
	v_cmp_lt_i32_e64 s0, v87, v16
	v_cndmask_b32_e64 v108, 0, v108, s0
	;; [unrolled: 5-line block ×4, first 2 shown]
.LBB351_1534:                           ;   in Loop: Header=BB351_1005 Depth=1
	s_or_b32 exec_lo, exec_lo, s14
	flat_load_b64 v[18:19], v[0:1] offset:2048
	v_dual_mov_b32 v3, 0 :: v_dual_mov_b32 v2, 0
	s_mov_b32 s14, exec_lo
	s_wait_loadcnt_dscnt 0x0
	v_and_b32_e32 v4, 0xff, v18
	s_wait_xcnt 0x0
	s_delay_alu instid0(VALU_DEP_1)
	v_cmpx_ne_u16_e32 0, v4
	s_cbranch_execz .LBB351_1542
; %bb.1535:                             ;   in Loop: Header=BB351_1005 Depth=1
	v_bfrev_b32_e32 v2, 1
	s_mov_b32 s15, exec_lo
	v_cmpx_ne_u16_e32 0x80, v4
	s_cbranch_execz .LBB351_1541
; %bb.1536:                             ;   in Loop: Header=BB351_1005 Depth=1
	v_and_b32_e32 v4, 0x7f, v18
	v_mov_b32_e32 v2, 0x7f800001
	s_mov_b32 s16, exec_lo
	s_delay_alu instid0(VALU_DEP_2)
	v_cmpx_ne_u32_e32 0x7f, v4
	s_cbranch_execz .LBB351_1540
; %bb.1537:                             ;   in Loop: Header=BB351_1005 Depth=1
	v_mov_b64_e32 v[22:23], v[18:19]
	v_lshrrev_b32_e32 v2, 3, v4
	s_mov_b32 s17, exec_lo
	v_cmpx_gt_u32_e32 8, v4
; %bb.1538:                             ;   in Loop: Header=BB351_1005 Depth=1
	v_and_b32_e32 v2, 7, v18
	s_delay_alu instid0(VALU_DEP_1) | instskip(NEXT) | instid1(VALU_DEP_1)
	v_clz_i32_u32_e32 v2, v2
	v_min_u32_e32 v2, 32, v2
	s_delay_alu instid0(VALU_DEP_1) | instskip(SKIP_1) | instid1(VALU_DEP_2)
	v_subrev_nc_u32_e32 v4, 28, v2
	v_sub_nc_u32_e32 v2, 29, v2
	v_lshlrev_b64_e32 v[22:23], v4, v[18:19]
; %bb.1539:                             ;   in Loop: Header=BB351_1005 Depth=1
	s_or_b32 exec_lo, exec_lo, s17
	s_delay_alu instid0(VALU_DEP_1) | instskip(SKIP_2) | instid1(VALU_DEP_3)
	v_lshlrev_b32_e32 v4, 20, v22
	v_lshlrev_b32_e32 v5, 24, v18
	v_lshl_add_u32 v2, v2, 23, 0x3c000000
	v_and_b32_e32 v4, 0x700000, v4
	s_delay_alu instid0(VALU_DEP_3) | instskip(NEXT) | instid1(VALU_DEP_1)
	v_and_b32_e32 v5, 0x80000000, v5
	v_or3_b32 v2, v4, v5, v2
.LBB351_1540:                           ;   in Loop: Header=BB351_1005 Depth=1
	s_or_b32 exec_lo, exec_lo, s16
.LBB351_1541:                           ;   in Loop: Header=BB351_1005 Depth=1
	s_delay_alu instid0(SALU_CYCLE_1)
	s_or_b32 exec_lo, exec_lo, s15
.LBB351_1542:                           ;   in Loop: Header=BB351_1005 Depth=1
	s_delay_alu instid0(SALU_CYCLE_1) | instskip(SKIP_2) | instid1(VALU_DEP_1)
	s_or_b32 exec_lo, exec_lo, s14
	v_lshrrev_b16 v4, 8, v18
	s_mov_b32 s14, exec_lo
	v_cmpx_ne_u16_e32 0, v4
	s_cbranch_execz .LBB351_1550
; %bb.1543:                             ;   in Loop: Header=BB351_1005 Depth=1
	v_bfrev_b32_e32 v3, 1
	s_mov_b32 s15, exec_lo
	v_cmpx_ne_u16_e32 0x80, v4
	s_cbranch_execz .LBB351_1549
; %bb.1544:                             ;   in Loop: Header=BB351_1005 Depth=1
	v_and_b32_e32 v5, 0xffff, v4
	v_mov_b32_e32 v3, 0x7f800001
	s_mov_b32 s16, exec_lo
	s_delay_alu instid0(VALU_DEP_2) | instskip(NEXT) | instid1(VALU_DEP_1)
	v_and_b32_e32 v4, 0x7f, v5
	v_cmpx_ne_u32_e32 0x7f, v4
	s_cbranch_execz .LBB351_1548
; %bb.1545:                             ;   in Loop: Header=BB351_1005 Depth=1
	v_dual_lshrrev_b32 v3, 3, v4 :: v_dual_bitop2_b32 v26, 7, v5 bitop3:0x40
	s_mov_b32 s17, exec_lo
	s_delay_alu instid0(VALU_DEP_1)
	v_mov_b64_e32 v[22:23], v[26:27]
	v_cmpx_gt_u32_e32 8, v4
; %bb.1546:                             ;   in Loop: Header=BB351_1005 Depth=1
	v_clz_i32_u32_e32 v3, v26
	s_delay_alu instid0(VALU_DEP_1) | instskip(NEXT) | instid1(VALU_DEP_1)
	v_min_u32_e32 v3, 32, v3
	v_subrev_nc_u32_e32 v4, 28, v3
	s_delay_alu instid0(VALU_DEP_1) | instskip(NEXT) | instid1(VALU_DEP_1)
	v_lshlrev_b64_e32 v[4:5], v4, v[26:27]
	v_dual_sub_nc_u32 v3, 29, v3 :: v_dual_bitop2_b32 v22, 7, v4 bitop3:0x40
; %bb.1547:                             ;   in Loop: Header=BB351_1005 Depth=1
	s_or_b32 exec_lo, exec_lo, s17
	v_lshlrev_b32_e32 v4, 16, v18
	s_delay_alu instid0(VALU_DEP_2) | instskip(NEXT) | instid1(VALU_DEP_3)
	v_lshlrev_b32_e32 v5, 20, v22
	v_lshl_add_u32 v3, v3, 23, 0x3c000000
	s_delay_alu instid0(VALU_DEP_3) | instskip(NEXT) | instid1(VALU_DEP_1)
	v_and_b32_e32 v4, 0x80000000, v4
	v_or3_b32 v3, v5, v4, v3
.LBB351_1548:                           ;   in Loop: Header=BB351_1005 Depth=1
	s_or_b32 exec_lo, exec_lo, s16
.LBB351_1549:                           ;   in Loop: Header=BB351_1005 Depth=1
	s_delay_alu instid0(SALU_CYCLE_1)
	s_or_b32 exec_lo, exec_lo, s15
.LBB351_1550:                           ;   in Loop: Header=BB351_1005 Depth=1
	s_delay_alu instid0(SALU_CYCLE_1) | instskip(SKIP_3) | instid1(VALU_DEP_2)
	s_or_b32 exec_lo, exec_lo, s14
	v_dual_mov_b32 v5, 0 :: v_dual_lshrrev_b32 v6, 16, v18
	v_mov_b32_e32 v4, 0
	s_mov_b32 s14, exec_lo
	v_and_b32_e32 v7, 0xff, v6
	s_delay_alu instid0(VALU_DEP_1)
	v_cmpx_ne_u16_e32 0, v7
	s_cbranch_execz .LBB351_1558
; %bb.1551:                             ;   in Loop: Header=BB351_1005 Depth=1
	v_bfrev_b32_e32 v4, 1
	s_mov_b32 s15, exec_lo
	v_cmpx_ne_u16_e32 0x80, v7
	s_cbranch_execz .LBB351_1557
; %bb.1552:                             ;   in Loop: Header=BB351_1005 Depth=1
	v_bfe_u32 v7, v18, 16, 7
	v_mov_b32_e32 v4, 0x7f800001
	s_mov_b32 s16, exec_lo
	s_delay_alu instid0(VALU_DEP_2)
	v_cmpx_ne_u32_e32 0x7f, v7
	s_cbranch_execz .LBB351_1556
; %bb.1553:                             ;   in Loop: Header=BB351_1005 Depth=1
	v_dual_lshrrev_b32 v4, 3, v7 :: v_dual_bitop2_b32 v26, 7, v6 bitop3:0x40
	s_mov_b32 s17, exec_lo
	s_delay_alu instid0(VALU_DEP_1)
	v_mov_b64_e32 v[22:23], v[26:27]
	v_cmpx_gt_u32_e32 8, v7
; %bb.1554:                             ;   in Loop: Header=BB351_1005 Depth=1
	v_clz_i32_u32_e32 v4, v26
	s_delay_alu instid0(VALU_DEP_1) | instskip(NEXT) | instid1(VALU_DEP_1)
	v_min_u32_e32 v4, 32, v4
	v_subrev_nc_u32_e32 v7, 28, v4
	s_delay_alu instid0(VALU_DEP_1) | instskip(NEXT) | instid1(VALU_DEP_1)
	v_lshlrev_b64_e32 v[22:23], v7, v[26:27]
	v_dual_sub_nc_u32 v4, 29, v4 :: v_dual_bitop2_b32 v22, 7, v22 bitop3:0x40
; %bb.1555:                             ;   in Loop: Header=BB351_1005 Depth=1
	s_or_b32 exec_lo, exec_lo, s17
	v_lshlrev_b32_e32 v6, 24, v6
	s_delay_alu instid0(VALU_DEP_2) | instskip(NEXT) | instid1(VALU_DEP_3)
	v_lshlrev_b32_e32 v7, 20, v22
	v_lshl_add_u32 v4, v4, 23, 0x3c000000
	s_delay_alu instid0(VALU_DEP_3) | instskip(NEXT) | instid1(VALU_DEP_1)
	v_and_b32_e32 v6, 0x80000000, v6
	v_or3_b32 v4, v7, v6, v4
.LBB351_1556:                           ;   in Loop: Header=BB351_1005 Depth=1
	s_or_b32 exec_lo, exec_lo, s16
.LBB351_1557:                           ;   in Loop: Header=BB351_1005 Depth=1
	s_delay_alu instid0(SALU_CYCLE_1)
	s_or_b32 exec_lo, exec_lo, s15
.LBB351_1558:                           ;   in Loop: Header=BB351_1005 Depth=1
	s_delay_alu instid0(SALU_CYCLE_1) | instskip(NEXT) | instid1(SALU_CYCLE_1)
	s_or_b32 exec_lo, exec_lo, s14
	s_mov_b32 s14, exec_lo
	v_cmpx_lt_u32_e32 0xffffff, v18
	s_cbranch_execz .LBB351_1566
; %bb.1559:                             ;   in Loop: Header=BB351_1005 Depth=1
	v_lshrrev_b32_e32 v6, 24, v18
	v_bfrev_b32_e32 v5, 1
	s_mov_b32 s15, exec_lo
	s_delay_alu instid0(VALU_DEP_2)
	v_cmpx_ne_u32_e32 0x80, v6
	s_cbranch_execz .LBB351_1565
; %bb.1560:                             ;   in Loop: Header=BB351_1005 Depth=1
	v_bfe_u32 v7, v18, 24, 7
	v_mov_b32_e32 v5, 0x7f800001
	s_mov_b32 s16, exec_lo
	s_delay_alu instid0(VALU_DEP_2)
	v_cmpx_ne_u32_e32 0x7f, v7
	s_cbranch_execz .LBB351_1564
; %bb.1561:                             ;   in Loop: Header=BB351_1005 Depth=1
	v_dual_lshrrev_b32 v5, 3, v7 :: v_dual_bitop2_b32 v26, 7, v6 bitop3:0x40
	s_mov_b32 s17, exec_lo
	s_delay_alu instid0(VALU_DEP_1)
	v_mov_b64_e32 v[22:23], v[26:27]
	v_cmpx_gt_u32_e32 8, v7
; %bb.1562:                             ;   in Loop: Header=BB351_1005 Depth=1
	v_clz_i32_u32_e32 v5, v26
	s_delay_alu instid0(VALU_DEP_1) | instskip(NEXT) | instid1(VALU_DEP_1)
	v_min_u32_e32 v5, 32, v5
	v_subrev_nc_u32_e32 v7, 28, v5
	s_delay_alu instid0(VALU_DEP_1) | instskip(NEXT) | instid1(VALU_DEP_1)
	v_lshlrev_b64_e32 v[22:23], v7, v[26:27]
	v_dual_sub_nc_u32 v5, 29, v5 :: v_dual_bitop2_b32 v22, 7, v22 bitop3:0x40
; %bb.1563:                             ;   in Loop: Header=BB351_1005 Depth=1
	s_or_b32 exec_lo, exec_lo, s17
	v_lshlrev_b32_e32 v6, 24, v6
	s_delay_alu instid0(VALU_DEP_2) | instskip(NEXT) | instid1(VALU_DEP_3)
	v_lshlrev_b32_e32 v7, 20, v22
	v_lshl_add_u32 v5, v5, 23, 0x3c000000
	s_delay_alu instid0(VALU_DEP_3) | instskip(NEXT) | instid1(VALU_DEP_1)
	v_and_b32_e32 v6, 0x80000000, v6
	v_or3_b32 v5, v7, v6, v5
.LBB351_1564:                           ;   in Loop: Header=BB351_1005 Depth=1
	s_or_b32 exec_lo, exec_lo, s16
.LBB351_1565:                           ;   in Loop: Header=BB351_1005 Depth=1
	s_delay_alu instid0(SALU_CYCLE_1)
	s_or_b32 exec_lo, exec_lo, s15
.LBB351_1566:                           ;   in Loop: Header=BB351_1005 Depth=1
	s_delay_alu instid0(SALU_CYCLE_1) | instskip(SKIP_4) | instid1(VALU_DEP_3)
	s_or_b32 exec_lo, exec_lo, s14
	v_and_b32_e32 v17, 0xff, v19
	v_dual_mov_b32 v26, v19 :: v_dual_mov_b32 v7, 0
	v_mov_b32_e32 v6, 0
	s_mov_b32 s14, exec_lo
	v_cmpx_ne_u16_e32 0, v17
	s_cbranch_execz .LBB351_1574
; %bb.1567:                             ;   in Loop: Header=BB351_1005 Depth=1
	v_bfrev_b32_e32 v6, 1
	s_mov_b32 s15, exec_lo
	v_cmpx_ne_u16_e32 0x80, v17
	s_cbranch_execz .LBB351_1573
; %bb.1568:                             ;   in Loop: Header=BB351_1005 Depth=1
	v_and_b32_e32 v17, 0x7f, v19
	v_mov_b32_e32 v6, 0x7f800001
	s_mov_b32 s16, exec_lo
	s_delay_alu instid0(VALU_DEP_2)
	v_cmpx_ne_u32_e32 0x7f, v17
	s_cbranch_execz .LBB351_1572
; %bb.1569:                             ;   in Loop: Header=BB351_1005 Depth=1
	v_mov_b64_e32 v[22:23], v[26:27]
	v_lshrrev_b32_e32 v6, 3, v17
	s_mov_b32 s17, exec_lo
	v_cmpx_gt_u32_e32 8, v17
; %bb.1570:                             ;   in Loop: Header=BB351_1005 Depth=1
	v_and_b32_e32 v6, 7, v19
	s_delay_alu instid0(VALU_DEP_1) | instskip(NEXT) | instid1(VALU_DEP_1)
	v_clz_i32_u32_e32 v6, v6
	v_min_u32_e32 v6, 32, v6
	s_delay_alu instid0(VALU_DEP_1) | instskip(SKIP_1) | instid1(VALU_DEP_2)
	v_subrev_nc_u32_e32 v17, 28, v6
	v_sub_nc_u32_e32 v6, 29, v6
	v_lshlrev_b64_e32 v[22:23], v17, v[26:27]
; %bb.1571:                             ;   in Loop: Header=BB351_1005 Depth=1
	s_or_b32 exec_lo, exec_lo, s17
	s_delay_alu instid0(VALU_DEP_1) | instskip(SKIP_2) | instid1(VALU_DEP_3)
	v_lshlrev_b32_e32 v17, 20, v22
	v_lshlrev_b32_e32 v22, 24, v26
	v_lshl_add_u32 v6, v6, 23, 0x3c000000
	v_and_b32_e32 v17, 0x700000, v17
	s_delay_alu instid0(VALU_DEP_3) | instskip(NEXT) | instid1(VALU_DEP_1)
	v_and_b32_e32 v22, 0x80000000, v22
	v_or3_b32 v6, v17, v22, v6
.LBB351_1572:                           ;   in Loop: Header=BB351_1005 Depth=1
	s_or_b32 exec_lo, exec_lo, s16
.LBB351_1573:                           ;   in Loop: Header=BB351_1005 Depth=1
	s_delay_alu instid0(SALU_CYCLE_1)
	s_or_b32 exec_lo, exec_lo, s15
.LBB351_1574:                           ;   in Loop: Header=BB351_1005 Depth=1
	s_delay_alu instid0(SALU_CYCLE_1) | instskip(SKIP_2) | instid1(VALU_DEP_1)
	s_or_b32 exec_lo, exec_lo, s14
	v_lshrrev_b16 v17, 8, v26
	s_mov_b32 s14, exec_lo
	v_cmpx_ne_u16_e32 0, v17
	s_cbranch_execz .LBB351_1582
; %bb.1575:                             ;   in Loop: Header=BB351_1005 Depth=1
	v_bfrev_b32_e32 v7, 1
	s_mov_b32 s15, exec_lo
	v_cmpx_ne_u16_e32 0x80, v17
	s_cbranch_execz .LBB351_1581
; %bb.1576:                             ;   in Loop: Header=BB351_1005 Depth=1
	v_and_b32_e32 v22, 0xffff, v17
	v_mov_b32_e32 v7, 0x7f800001
	s_mov_b32 s16, exec_lo
	s_delay_alu instid0(VALU_DEP_2) | instskip(NEXT) | instid1(VALU_DEP_1)
	v_and_b32_e32 v17, 0x7f, v22
	v_cmpx_ne_u32_e32 0x7f, v17
	s_cbranch_execz .LBB351_1580
; %bb.1577:                             ;   in Loop: Header=BB351_1005 Depth=1
	v_dual_mov_b32 v23, v27 :: v_dual_bitop2_b32 v22, 7, v22 bitop3:0x40
	v_lshrrev_b32_e32 v7, 3, v17
	s_mov_b32 s17, exec_lo
	v_cmpx_gt_u32_e32 8, v17
; %bb.1578:                             ;   in Loop: Header=BB351_1005 Depth=1
	s_delay_alu instid0(VALU_DEP_3) | instskip(NEXT) | instid1(VALU_DEP_1)
	v_clz_i32_u32_e32 v7, v22
	v_min_u32_e32 v7, 32, v7
	s_delay_alu instid0(VALU_DEP_1) | instskip(NEXT) | instid1(VALU_DEP_1)
	v_subrev_nc_u32_e32 v17, 28, v7
	v_lshlrev_b64_e32 v[22:23], v17, v[22:23]
	s_delay_alu instid0(VALU_DEP_1)
	v_dual_sub_nc_u32 v7, 29, v7 :: v_dual_bitop2_b32 v22, 7, v22 bitop3:0x40
; %bb.1579:                             ;   in Loop: Header=BB351_1005 Depth=1
	s_or_b32 exec_lo, exec_lo, s17
	v_lshlrev_b32_e32 v17, 16, v26
	s_delay_alu instid0(VALU_DEP_2) | instskip(NEXT) | instid1(VALU_DEP_3)
	v_lshlrev_b32_e32 v22, 20, v22
	v_lshl_add_u32 v7, v7, 23, 0x3c000000
	s_delay_alu instid0(VALU_DEP_3) | instskip(NEXT) | instid1(VALU_DEP_1)
	v_and_b32_e32 v17, 0x80000000, v17
	v_or3_b32 v7, v22, v17, v7
.LBB351_1580:                           ;   in Loop: Header=BB351_1005 Depth=1
	s_or_b32 exec_lo, exec_lo, s16
.LBB351_1581:                           ;   in Loop: Header=BB351_1005 Depth=1
	s_delay_alu instid0(SALU_CYCLE_1)
	s_or_b32 exec_lo, exec_lo, s15
.LBB351_1582:                           ;   in Loop: Header=BB351_1005 Depth=1
	s_delay_alu instid0(SALU_CYCLE_1) | instskip(SKIP_3) | instid1(VALU_DEP_2)
	s_or_b32 exec_lo, exec_lo, s14
	v_dual_mov_b32 v17, 0 :: v_dual_lshrrev_b32 v36, 16, v19
	v_mov_b32_e32 v22, 0
	s_mov_b32 s14, exec_lo
	v_and_b32_e32 v23, 0xff, v36
	s_delay_alu instid0(VALU_DEP_1)
	v_cmpx_ne_u16_e32 0, v23
	s_cbranch_execz .LBB351_1590
; %bb.1583:                             ;   in Loop: Header=BB351_1005 Depth=1
	v_bfrev_b32_e32 v22, 1
	s_mov_b32 s15, exec_lo
	v_cmpx_ne_u16_e32 0x80, v23
	s_cbranch_execz .LBB351_1589
; %bb.1584:                             ;   in Loop: Header=BB351_1005 Depth=1
	v_bfe_u32 v23, v19, 16, 7
	v_mov_b32_e32 v22, 0x7f800001
	s_mov_b32 s16, exec_lo
	s_delay_alu instid0(VALU_DEP_2)
	v_cmpx_ne_u32_e32 0x7f, v23
	s_cbranch_execz .LBB351_1588
; %bb.1585:                             ;   in Loop: Header=BB351_1005 Depth=1
	v_dual_lshrrev_b32 v37, 3, v23 :: v_dual_bitop2_b32 v26, 7, v36 bitop3:0x40
	v_cmp_gt_u32_e64 s0, 8, v23
	s_delay_alu instid0(VALU_DEP_2)
	v_mov_b64_e32 v[22:23], v[26:27]
	s_and_saveexec_b32 s17, s0
; %bb.1586:                             ;   in Loop: Header=BB351_1005 Depth=1
	v_clz_i32_u32_e32 v22, v26
	s_delay_alu instid0(VALU_DEP_1) | instskip(NEXT) | instid1(VALU_DEP_1)
	v_min_u32_e32 v24, 32, v22
	v_subrev_nc_u32_e32 v22, 28, v24
	s_delay_alu instid0(VALU_DEP_1) | instskip(NEXT) | instid1(VALU_DEP_1)
	v_lshlrev_b64_e32 v[22:23], v22, v[26:27]
	v_dual_sub_nc_u32 v37, 29, v24 :: v_dual_bitop2_b32 v22, 7, v22 bitop3:0x40
; %bb.1587:                             ;   in Loop: Header=BB351_1005 Depth=1
	s_or_b32 exec_lo, exec_lo, s17
	s_delay_alu instid0(VALU_DEP_1) | instskip(NEXT) | instid1(VALU_DEP_2)
	v_dual_lshlrev_b32 v23, 24, v36 :: v_dual_lshlrev_b32 v22, 20, v22
	v_lshl_add_u32 v24, v37, 23, 0x3c000000
	s_delay_alu instid0(VALU_DEP_2) | instskip(NEXT) | instid1(VALU_DEP_1)
	v_and_b32_e32 v23, 0x80000000, v23
	v_or3_b32 v22, v22, v23, v24
.LBB351_1588:                           ;   in Loop: Header=BB351_1005 Depth=1
	s_or_b32 exec_lo, exec_lo, s16
.LBB351_1589:                           ;   in Loop: Header=BB351_1005 Depth=1
	s_delay_alu instid0(SALU_CYCLE_1)
	s_or_b32 exec_lo, exec_lo, s15
.LBB351_1590:                           ;   in Loop: Header=BB351_1005 Depth=1
	s_delay_alu instid0(SALU_CYCLE_1) | instskip(NEXT) | instid1(SALU_CYCLE_1)
	s_or_b32 exec_lo, exec_lo, s14
	s_mov_b32 s14, exec_lo
	v_cmpx_lt_u64_e64 s[2:3], v[18:19]
	s_cbranch_execz .LBB351_1598
; %bb.1591:                             ;   in Loop: Header=BB351_1005 Depth=1
	v_lshrrev_b32_e32 v23, 24, v19
	v_bfrev_b32_e32 v17, 1
	s_mov_b32 s15, exec_lo
	s_delay_alu instid0(VALU_DEP_2)
	v_cmpx_ne_u32_e32 0x80, v23
	s_cbranch_execz .LBB351_1597
; %bb.1592:                             ;   in Loop: Header=BB351_1005 Depth=1
	v_bfe_u32 v18, v19, 24, 7
	v_mov_b32_e32 v17, 0x7f800001
	s_mov_b32 s16, exec_lo
	s_delay_alu instid0(VALU_DEP_2)
	v_cmpx_ne_u32_e32 0x7f, v18
	s_cbranch_execz .LBB351_1596
; %bb.1593:                             ;   in Loop: Header=BB351_1005 Depth=1
	v_dual_lshrrev_b32 v17, 3, v18 :: v_dual_bitop2_b32 v26, 7, v23 bitop3:0x40
	v_cmp_gt_u32_e64 s0, 8, v18
	s_delay_alu instid0(VALU_DEP_2)
	v_mov_b64_e32 v[18:19], v[26:27]
	s_and_saveexec_b32 s17, s0
; %bb.1594:                             ;   in Loop: Header=BB351_1005 Depth=1
	v_clz_i32_u32_e32 v17, v26
	s_delay_alu instid0(VALU_DEP_1) | instskip(NEXT) | instid1(VALU_DEP_1)
	v_min_u32_e32 v17, 32, v17
	v_subrev_nc_u32_e32 v18, 28, v17
	s_delay_alu instid0(VALU_DEP_1) | instskip(NEXT) | instid1(VALU_DEP_1)
	v_lshlrev_b64_e32 v[18:19], v18, v[26:27]
	v_dual_sub_nc_u32 v17, 29, v17 :: v_dual_bitop2_b32 v18, 7, v18 bitop3:0x40
; %bb.1595:                             ;   in Loop: Header=BB351_1005 Depth=1
	s_or_b32 exec_lo, exec_lo, s17
	s_delay_alu instid0(VALU_DEP_1) | instskip(NEXT) | instid1(VALU_DEP_2)
	v_dual_lshlrev_b32 v19, 24, v23 :: v_dual_lshlrev_b32 v18, 20, v18
	v_lshl_add_u32 v17, v17, 23, 0x3c000000
	s_delay_alu instid0(VALU_DEP_2) | instskip(NEXT) | instid1(VALU_DEP_1)
	v_and_b32_e32 v19, 0x80000000, v19
	v_or3_b32 v17, v18, v19, v17
.LBB351_1596:                           ;   in Loop: Header=BB351_1005 Depth=1
	s_or_b32 exec_lo, exec_lo, s16
.LBB351_1597:                           ;   in Loop: Header=BB351_1005 Depth=1
	s_delay_alu instid0(SALU_CYCLE_1)
	s_or_b32 exec_lo, exec_lo, s15
.LBB351_1598:                           ;   in Loop: Header=BB351_1005 Depth=1
	s_delay_alu instid0(SALU_CYCLE_1)
	s_or_b32 exec_lo, exec_lo, s14
	v_fma_mixlo_bf16 v122, v25, v7, 0
	v_fma_mixlo_bf16 v123, v25, v6, 0
	;; [unrolled: 1-line block ×8, first 2 shown]
	s_and_saveexec_b32 s14, vcc_lo
	s_cbranch_execz .LBB351_1600
; %bb.1599:                             ;   in Loop: Header=BB351_1005 Depth=1
	v_cmp_lt_i32_e64 s0, v85, v16
	s_delay_alu instid0(VALU_DEP_1) | instskip(SKIP_1) | instid1(VALU_DEP_1)
	v_cndmask_b32_e64 v127, 0, v127, s0
	v_cmp_lt_i32_e64 s0, v97, v16
	v_cndmask_b32_e64 v126, 0, v126, s0
	v_cmp_lt_i32_e64 s0, v96, v16
	s_delay_alu instid0(VALU_DEP_1) | instskip(SKIP_1) | instid1(VALU_DEP_1)
	v_cndmask_b32_e64 v125, 0, v125, s0
	v_cmp_lt_i32_e64 s0, v87, v16
	v_cndmask_b32_e64 v124, 0, v124, s0
	;; [unrolled: 5-line block ×4, first 2 shown]
.LBB351_1600:                           ;   in Loop: Header=BB351_1005 Depth=1
	s_or_b32 exec_lo, exec_lo, s14
	flat_load_b64 v[18:19], v[0:1] offset:2304
	v_dual_mov_b32 v3, 0 :: v_dual_mov_b32 v2, 0
	s_mov_b32 s14, exec_lo
	s_wait_loadcnt_dscnt 0x0
	v_and_b32_e32 v4, 0xff, v18
	s_wait_xcnt 0x0
	s_delay_alu instid0(VALU_DEP_1)
	v_cmpx_ne_u16_e32 0, v4
	s_cbranch_execz .LBB351_1608
; %bb.1601:                             ;   in Loop: Header=BB351_1005 Depth=1
	v_bfrev_b32_e32 v2, 1
	s_mov_b32 s15, exec_lo
	v_cmpx_ne_u16_e32 0x80, v4
	s_cbranch_execz .LBB351_1607
; %bb.1602:                             ;   in Loop: Header=BB351_1005 Depth=1
	v_and_b32_e32 v4, 0x7f, v18
	v_mov_b32_e32 v2, 0x7f800001
	s_mov_b32 s16, exec_lo
	s_delay_alu instid0(VALU_DEP_2)
	v_cmpx_ne_u32_e32 0x7f, v4
	s_cbranch_execz .LBB351_1606
; %bb.1603:                             ;   in Loop: Header=BB351_1005 Depth=1
	v_mov_b64_e32 v[22:23], v[18:19]
	v_lshrrev_b32_e32 v2, 3, v4
	s_mov_b32 s17, exec_lo
	v_cmpx_gt_u32_e32 8, v4
; %bb.1604:                             ;   in Loop: Header=BB351_1005 Depth=1
	v_and_b32_e32 v2, 7, v18
	s_delay_alu instid0(VALU_DEP_1) | instskip(NEXT) | instid1(VALU_DEP_1)
	v_clz_i32_u32_e32 v2, v2
	v_min_u32_e32 v2, 32, v2
	s_delay_alu instid0(VALU_DEP_1) | instskip(SKIP_1) | instid1(VALU_DEP_2)
	v_subrev_nc_u32_e32 v4, 28, v2
	v_sub_nc_u32_e32 v2, 29, v2
	v_lshlrev_b64_e32 v[22:23], v4, v[18:19]
; %bb.1605:                             ;   in Loop: Header=BB351_1005 Depth=1
	s_or_b32 exec_lo, exec_lo, s17
	s_delay_alu instid0(VALU_DEP_1) | instskip(SKIP_2) | instid1(VALU_DEP_3)
	v_lshlrev_b32_e32 v4, 20, v22
	v_lshlrev_b32_e32 v5, 24, v18
	v_lshl_add_u32 v2, v2, 23, 0x3c000000
	v_and_b32_e32 v4, 0x700000, v4
	s_delay_alu instid0(VALU_DEP_3) | instskip(NEXT) | instid1(VALU_DEP_1)
	v_and_b32_e32 v5, 0x80000000, v5
	v_or3_b32 v2, v4, v5, v2
.LBB351_1606:                           ;   in Loop: Header=BB351_1005 Depth=1
	s_or_b32 exec_lo, exec_lo, s16
.LBB351_1607:                           ;   in Loop: Header=BB351_1005 Depth=1
	s_delay_alu instid0(SALU_CYCLE_1)
	s_or_b32 exec_lo, exec_lo, s15
.LBB351_1608:                           ;   in Loop: Header=BB351_1005 Depth=1
	s_delay_alu instid0(SALU_CYCLE_1) | instskip(SKIP_2) | instid1(VALU_DEP_1)
	s_or_b32 exec_lo, exec_lo, s14
	v_lshrrev_b16 v4, 8, v18
	s_mov_b32 s14, exec_lo
	v_cmpx_ne_u16_e32 0, v4
	s_cbranch_execz .LBB351_1616
; %bb.1609:                             ;   in Loop: Header=BB351_1005 Depth=1
	v_bfrev_b32_e32 v3, 1
	s_mov_b32 s15, exec_lo
	v_cmpx_ne_u16_e32 0x80, v4
	s_cbranch_execz .LBB351_1615
; %bb.1610:                             ;   in Loop: Header=BB351_1005 Depth=1
	v_and_b32_e32 v5, 0xffff, v4
	v_mov_b32_e32 v3, 0x7f800001
	s_mov_b32 s16, exec_lo
	s_delay_alu instid0(VALU_DEP_2) | instskip(NEXT) | instid1(VALU_DEP_1)
	v_and_b32_e32 v4, 0x7f, v5
	v_cmpx_ne_u32_e32 0x7f, v4
	s_cbranch_execz .LBB351_1614
; %bb.1611:                             ;   in Loop: Header=BB351_1005 Depth=1
	v_dual_lshrrev_b32 v3, 3, v4 :: v_dual_bitop2_b32 v26, 7, v5 bitop3:0x40
	s_mov_b32 s17, exec_lo
	s_delay_alu instid0(VALU_DEP_1)
	v_mov_b64_e32 v[22:23], v[26:27]
	v_cmpx_gt_u32_e32 8, v4
; %bb.1612:                             ;   in Loop: Header=BB351_1005 Depth=1
	v_clz_i32_u32_e32 v3, v26
	s_delay_alu instid0(VALU_DEP_1) | instskip(NEXT) | instid1(VALU_DEP_1)
	v_min_u32_e32 v3, 32, v3
	v_subrev_nc_u32_e32 v4, 28, v3
	s_delay_alu instid0(VALU_DEP_1) | instskip(NEXT) | instid1(VALU_DEP_1)
	v_lshlrev_b64_e32 v[4:5], v4, v[26:27]
	v_dual_sub_nc_u32 v3, 29, v3 :: v_dual_bitop2_b32 v22, 7, v4 bitop3:0x40
; %bb.1613:                             ;   in Loop: Header=BB351_1005 Depth=1
	s_or_b32 exec_lo, exec_lo, s17
	v_lshlrev_b32_e32 v4, 16, v18
	s_delay_alu instid0(VALU_DEP_2) | instskip(NEXT) | instid1(VALU_DEP_3)
	v_lshlrev_b32_e32 v5, 20, v22
	v_lshl_add_u32 v3, v3, 23, 0x3c000000
	s_delay_alu instid0(VALU_DEP_3) | instskip(NEXT) | instid1(VALU_DEP_1)
	v_and_b32_e32 v4, 0x80000000, v4
	v_or3_b32 v3, v5, v4, v3
.LBB351_1614:                           ;   in Loop: Header=BB351_1005 Depth=1
	s_or_b32 exec_lo, exec_lo, s16
.LBB351_1615:                           ;   in Loop: Header=BB351_1005 Depth=1
	s_delay_alu instid0(SALU_CYCLE_1)
	s_or_b32 exec_lo, exec_lo, s15
.LBB351_1616:                           ;   in Loop: Header=BB351_1005 Depth=1
	s_delay_alu instid0(SALU_CYCLE_1) | instskip(SKIP_3) | instid1(VALU_DEP_2)
	s_or_b32 exec_lo, exec_lo, s14
	v_dual_mov_b32 v5, 0 :: v_dual_lshrrev_b32 v6, 16, v18
	v_mov_b32_e32 v4, 0
	s_mov_b32 s14, exec_lo
	v_and_b32_e32 v7, 0xff, v6
	s_delay_alu instid0(VALU_DEP_1)
	v_cmpx_ne_u16_e32 0, v7
	s_cbranch_execz .LBB351_1624
; %bb.1617:                             ;   in Loop: Header=BB351_1005 Depth=1
	v_bfrev_b32_e32 v4, 1
	s_mov_b32 s15, exec_lo
	v_cmpx_ne_u16_e32 0x80, v7
	s_cbranch_execz .LBB351_1623
; %bb.1618:                             ;   in Loop: Header=BB351_1005 Depth=1
	v_bfe_u32 v7, v18, 16, 7
	v_mov_b32_e32 v4, 0x7f800001
	s_mov_b32 s16, exec_lo
	s_delay_alu instid0(VALU_DEP_2)
	v_cmpx_ne_u32_e32 0x7f, v7
	s_cbranch_execz .LBB351_1622
; %bb.1619:                             ;   in Loop: Header=BB351_1005 Depth=1
	v_dual_lshrrev_b32 v4, 3, v7 :: v_dual_bitop2_b32 v26, 7, v6 bitop3:0x40
	s_mov_b32 s17, exec_lo
	s_delay_alu instid0(VALU_DEP_1)
	v_mov_b64_e32 v[22:23], v[26:27]
	v_cmpx_gt_u32_e32 8, v7
; %bb.1620:                             ;   in Loop: Header=BB351_1005 Depth=1
	v_clz_i32_u32_e32 v4, v26
	s_delay_alu instid0(VALU_DEP_1) | instskip(NEXT) | instid1(VALU_DEP_1)
	v_min_u32_e32 v4, 32, v4
	v_subrev_nc_u32_e32 v7, 28, v4
	s_delay_alu instid0(VALU_DEP_1) | instskip(NEXT) | instid1(VALU_DEP_1)
	v_lshlrev_b64_e32 v[22:23], v7, v[26:27]
	v_dual_sub_nc_u32 v4, 29, v4 :: v_dual_bitop2_b32 v22, 7, v22 bitop3:0x40
; %bb.1621:                             ;   in Loop: Header=BB351_1005 Depth=1
	s_or_b32 exec_lo, exec_lo, s17
	v_lshlrev_b32_e32 v6, 24, v6
	s_delay_alu instid0(VALU_DEP_2) | instskip(NEXT) | instid1(VALU_DEP_3)
	v_lshlrev_b32_e32 v7, 20, v22
	v_lshl_add_u32 v4, v4, 23, 0x3c000000
	s_delay_alu instid0(VALU_DEP_3) | instskip(NEXT) | instid1(VALU_DEP_1)
	v_and_b32_e32 v6, 0x80000000, v6
	v_or3_b32 v4, v7, v6, v4
.LBB351_1622:                           ;   in Loop: Header=BB351_1005 Depth=1
	s_or_b32 exec_lo, exec_lo, s16
.LBB351_1623:                           ;   in Loop: Header=BB351_1005 Depth=1
	s_delay_alu instid0(SALU_CYCLE_1)
	s_or_b32 exec_lo, exec_lo, s15
.LBB351_1624:                           ;   in Loop: Header=BB351_1005 Depth=1
	s_delay_alu instid0(SALU_CYCLE_1) | instskip(NEXT) | instid1(SALU_CYCLE_1)
	s_or_b32 exec_lo, exec_lo, s14
	s_mov_b32 s14, exec_lo
	v_cmpx_lt_u32_e32 0xffffff, v18
	s_cbranch_execz .LBB351_1632
; %bb.1625:                             ;   in Loop: Header=BB351_1005 Depth=1
	v_lshrrev_b32_e32 v6, 24, v18
	v_bfrev_b32_e32 v5, 1
	s_mov_b32 s15, exec_lo
	s_delay_alu instid0(VALU_DEP_2)
	v_cmpx_ne_u32_e32 0x80, v6
	s_cbranch_execz .LBB351_1631
; %bb.1626:                             ;   in Loop: Header=BB351_1005 Depth=1
	v_bfe_u32 v7, v18, 24, 7
	v_mov_b32_e32 v5, 0x7f800001
	s_mov_b32 s16, exec_lo
	s_delay_alu instid0(VALU_DEP_2)
	v_cmpx_ne_u32_e32 0x7f, v7
	s_cbranch_execz .LBB351_1630
; %bb.1627:                             ;   in Loop: Header=BB351_1005 Depth=1
	v_dual_lshrrev_b32 v5, 3, v7 :: v_dual_bitop2_b32 v26, 7, v6 bitop3:0x40
	s_mov_b32 s17, exec_lo
	s_delay_alu instid0(VALU_DEP_1)
	v_mov_b64_e32 v[22:23], v[26:27]
	v_cmpx_gt_u32_e32 8, v7
; %bb.1628:                             ;   in Loop: Header=BB351_1005 Depth=1
	v_clz_i32_u32_e32 v5, v26
	s_delay_alu instid0(VALU_DEP_1) | instskip(NEXT) | instid1(VALU_DEP_1)
	v_min_u32_e32 v5, 32, v5
	v_subrev_nc_u32_e32 v7, 28, v5
	s_delay_alu instid0(VALU_DEP_1) | instskip(NEXT) | instid1(VALU_DEP_1)
	v_lshlrev_b64_e32 v[22:23], v7, v[26:27]
	v_dual_sub_nc_u32 v5, 29, v5 :: v_dual_bitop2_b32 v22, 7, v22 bitop3:0x40
; %bb.1629:                             ;   in Loop: Header=BB351_1005 Depth=1
	s_or_b32 exec_lo, exec_lo, s17
	v_lshlrev_b32_e32 v6, 24, v6
	s_delay_alu instid0(VALU_DEP_2) | instskip(NEXT) | instid1(VALU_DEP_3)
	v_lshlrev_b32_e32 v7, 20, v22
	v_lshl_add_u32 v5, v5, 23, 0x3c000000
	s_delay_alu instid0(VALU_DEP_3) | instskip(NEXT) | instid1(VALU_DEP_1)
	v_and_b32_e32 v6, 0x80000000, v6
	v_or3_b32 v5, v7, v6, v5
.LBB351_1630:                           ;   in Loop: Header=BB351_1005 Depth=1
	s_or_b32 exec_lo, exec_lo, s16
.LBB351_1631:                           ;   in Loop: Header=BB351_1005 Depth=1
	s_delay_alu instid0(SALU_CYCLE_1)
	s_or_b32 exec_lo, exec_lo, s15
.LBB351_1632:                           ;   in Loop: Header=BB351_1005 Depth=1
	s_delay_alu instid0(SALU_CYCLE_1) | instskip(SKIP_4) | instid1(VALU_DEP_3)
	s_or_b32 exec_lo, exec_lo, s14
	v_and_b32_e32 v17, 0xff, v19
	v_dual_mov_b32 v26, v19 :: v_dual_mov_b32 v7, 0
	v_mov_b32_e32 v6, 0
	s_mov_b32 s14, exec_lo
	v_cmpx_ne_u16_e32 0, v17
	s_cbranch_execz .LBB351_1640
; %bb.1633:                             ;   in Loop: Header=BB351_1005 Depth=1
	v_bfrev_b32_e32 v6, 1
	s_mov_b32 s15, exec_lo
	v_cmpx_ne_u16_e32 0x80, v17
	s_cbranch_execz .LBB351_1639
; %bb.1634:                             ;   in Loop: Header=BB351_1005 Depth=1
	v_and_b32_e32 v17, 0x7f, v19
	v_mov_b32_e32 v6, 0x7f800001
	s_mov_b32 s16, exec_lo
	s_delay_alu instid0(VALU_DEP_2)
	v_cmpx_ne_u32_e32 0x7f, v17
	s_cbranch_execz .LBB351_1638
; %bb.1635:                             ;   in Loop: Header=BB351_1005 Depth=1
	v_mov_b64_e32 v[22:23], v[26:27]
	v_lshrrev_b32_e32 v6, 3, v17
	s_mov_b32 s17, exec_lo
	v_cmpx_gt_u32_e32 8, v17
; %bb.1636:                             ;   in Loop: Header=BB351_1005 Depth=1
	v_and_b32_e32 v6, 7, v19
	s_delay_alu instid0(VALU_DEP_1) | instskip(NEXT) | instid1(VALU_DEP_1)
	v_clz_i32_u32_e32 v6, v6
	v_min_u32_e32 v6, 32, v6
	s_delay_alu instid0(VALU_DEP_1) | instskip(SKIP_1) | instid1(VALU_DEP_2)
	v_subrev_nc_u32_e32 v17, 28, v6
	v_sub_nc_u32_e32 v6, 29, v6
	v_lshlrev_b64_e32 v[22:23], v17, v[26:27]
; %bb.1637:                             ;   in Loop: Header=BB351_1005 Depth=1
	s_or_b32 exec_lo, exec_lo, s17
	s_delay_alu instid0(VALU_DEP_1) | instskip(SKIP_2) | instid1(VALU_DEP_3)
	v_lshlrev_b32_e32 v17, 20, v22
	v_lshlrev_b32_e32 v22, 24, v26
	v_lshl_add_u32 v6, v6, 23, 0x3c000000
	v_and_b32_e32 v17, 0x700000, v17
	s_delay_alu instid0(VALU_DEP_3) | instskip(NEXT) | instid1(VALU_DEP_1)
	v_and_b32_e32 v22, 0x80000000, v22
	v_or3_b32 v6, v17, v22, v6
.LBB351_1638:                           ;   in Loop: Header=BB351_1005 Depth=1
	s_or_b32 exec_lo, exec_lo, s16
.LBB351_1639:                           ;   in Loop: Header=BB351_1005 Depth=1
	s_delay_alu instid0(SALU_CYCLE_1)
	s_or_b32 exec_lo, exec_lo, s15
.LBB351_1640:                           ;   in Loop: Header=BB351_1005 Depth=1
	s_delay_alu instid0(SALU_CYCLE_1) | instskip(SKIP_2) | instid1(VALU_DEP_1)
	s_or_b32 exec_lo, exec_lo, s14
	v_lshrrev_b16 v17, 8, v26
	s_mov_b32 s14, exec_lo
	v_cmpx_ne_u16_e32 0, v17
	s_cbranch_execz .LBB351_1648
; %bb.1641:                             ;   in Loop: Header=BB351_1005 Depth=1
	v_bfrev_b32_e32 v7, 1
	s_mov_b32 s15, exec_lo
	v_cmpx_ne_u16_e32 0x80, v17
	s_cbranch_execz .LBB351_1647
; %bb.1642:                             ;   in Loop: Header=BB351_1005 Depth=1
	v_and_b32_e32 v22, 0xffff, v17
	v_mov_b32_e32 v7, 0x7f800001
	s_mov_b32 s16, exec_lo
	s_delay_alu instid0(VALU_DEP_2) | instskip(NEXT) | instid1(VALU_DEP_1)
	v_and_b32_e32 v17, 0x7f, v22
	v_cmpx_ne_u32_e32 0x7f, v17
	s_cbranch_execz .LBB351_1646
; %bb.1643:                             ;   in Loop: Header=BB351_1005 Depth=1
	v_dual_mov_b32 v23, v27 :: v_dual_bitop2_b32 v22, 7, v22 bitop3:0x40
	v_lshrrev_b32_e32 v7, 3, v17
	s_mov_b32 s17, exec_lo
	v_cmpx_gt_u32_e32 8, v17
; %bb.1644:                             ;   in Loop: Header=BB351_1005 Depth=1
	s_delay_alu instid0(VALU_DEP_3) | instskip(NEXT) | instid1(VALU_DEP_1)
	v_clz_i32_u32_e32 v7, v22
	v_min_u32_e32 v7, 32, v7
	s_delay_alu instid0(VALU_DEP_1) | instskip(NEXT) | instid1(VALU_DEP_1)
	v_subrev_nc_u32_e32 v17, 28, v7
	v_lshlrev_b64_e32 v[22:23], v17, v[22:23]
	s_delay_alu instid0(VALU_DEP_1)
	v_dual_sub_nc_u32 v7, 29, v7 :: v_dual_bitop2_b32 v22, 7, v22 bitop3:0x40
; %bb.1645:                             ;   in Loop: Header=BB351_1005 Depth=1
	s_or_b32 exec_lo, exec_lo, s17
	v_lshlrev_b32_e32 v17, 16, v26
	s_delay_alu instid0(VALU_DEP_2) | instskip(NEXT) | instid1(VALU_DEP_3)
	v_lshlrev_b32_e32 v22, 20, v22
	v_lshl_add_u32 v7, v7, 23, 0x3c000000
	s_delay_alu instid0(VALU_DEP_3) | instskip(NEXT) | instid1(VALU_DEP_1)
	v_and_b32_e32 v17, 0x80000000, v17
	v_or3_b32 v7, v22, v17, v7
.LBB351_1646:                           ;   in Loop: Header=BB351_1005 Depth=1
	s_or_b32 exec_lo, exec_lo, s16
.LBB351_1647:                           ;   in Loop: Header=BB351_1005 Depth=1
	s_delay_alu instid0(SALU_CYCLE_1)
	s_or_b32 exec_lo, exec_lo, s15
.LBB351_1648:                           ;   in Loop: Header=BB351_1005 Depth=1
	s_delay_alu instid0(SALU_CYCLE_1) | instskip(SKIP_3) | instid1(VALU_DEP_2)
	s_or_b32 exec_lo, exec_lo, s14
	v_dual_mov_b32 v17, 0 :: v_dual_lshrrev_b32 v36, 16, v19
	v_mov_b32_e32 v22, 0
	s_mov_b32 s14, exec_lo
	v_and_b32_e32 v23, 0xff, v36
	s_delay_alu instid0(VALU_DEP_1)
	v_cmpx_ne_u16_e32 0, v23
	s_cbranch_execz .LBB351_1656
; %bb.1649:                             ;   in Loop: Header=BB351_1005 Depth=1
	v_bfrev_b32_e32 v22, 1
	s_mov_b32 s15, exec_lo
	v_cmpx_ne_u16_e32 0x80, v23
	s_cbranch_execz .LBB351_1655
; %bb.1650:                             ;   in Loop: Header=BB351_1005 Depth=1
	v_bfe_u32 v23, v19, 16, 7
	v_mov_b32_e32 v22, 0x7f800001
	s_mov_b32 s16, exec_lo
	s_delay_alu instid0(VALU_DEP_2)
	v_cmpx_ne_u32_e32 0x7f, v23
	s_cbranch_execz .LBB351_1654
; %bb.1651:                             ;   in Loop: Header=BB351_1005 Depth=1
	v_dual_lshrrev_b32 v37, 3, v23 :: v_dual_bitop2_b32 v26, 7, v36 bitop3:0x40
	v_cmp_gt_u32_e64 s0, 8, v23
	s_delay_alu instid0(VALU_DEP_2)
	v_mov_b64_e32 v[22:23], v[26:27]
	s_and_saveexec_b32 s17, s0
; %bb.1652:                             ;   in Loop: Header=BB351_1005 Depth=1
	v_clz_i32_u32_e32 v22, v26
	s_delay_alu instid0(VALU_DEP_1) | instskip(NEXT) | instid1(VALU_DEP_1)
	v_min_u32_e32 v24, 32, v22
	v_subrev_nc_u32_e32 v22, 28, v24
	s_delay_alu instid0(VALU_DEP_1) | instskip(NEXT) | instid1(VALU_DEP_1)
	v_lshlrev_b64_e32 v[22:23], v22, v[26:27]
	v_dual_sub_nc_u32 v37, 29, v24 :: v_dual_bitop2_b32 v22, 7, v22 bitop3:0x40
; %bb.1653:                             ;   in Loop: Header=BB351_1005 Depth=1
	s_or_b32 exec_lo, exec_lo, s17
	s_delay_alu instid0(VALU_DEP_1) | instskip(NEXT) | instid1(VALU_DEP_2)
	v_dual_lshlrev_b32 v23, 24, v36 :: v_dual_lshlrev_b32 v22, 20, v22
	v_lshl_add_u32 v24, v37, 23, 0x3c000000
	s_delay_alu instid0(VALU_DEP_2) | instskip(NEXT) | instid1(VALU_DEP_1)
	v_and_b32_e32 v23, 0x80000000, v23
	v_or3_b32 v22, v22, v23, v24
.LBB351_1654:                           ;   in Loop: Header=BB351_1005 Depth=1
	s_or_b32 exec_lo, exec_lo, s16
.LBB351_1655:                           ;   in Loop: Header=BB351_1005 Depth=1
	s_delay_alu instid0(SALU_CYCLE_1)
	s_or_b32 exec_lo, exec_lo, s15
.LBB351_1656:                           ;   in Loop: Header=BB351_1005 Depth=1
	s_delay_alu instid0(SALU_CYCLE_1) | instskip(NEXT) | instid1(SALU_CYCLE_1)
	s_or_b32 exec_lo, exec_lo, s14
	s_mov_b32 s14, exec_lo
	v_cmpx_lt_u64_e64 s[2:3], v[18:19]
	s_cbranch_execz .LBB351_1664
; %bb.1657:                             ;   in Loop: Header=BB351_1005 Depth=1
	v_lshrrev_b32_e32 v23, 24, v19
	v_bfrev_b32_e32 v17, 1
	s_mov_b32 s15, exec_lo
	s_delay_alu instid0(VALU_DEP_2)
	v_cmpx_ne_u32_e32 0x80, v23
	s_cbranch_execz .LBB351_1663
; %bb.1658:                             ;   in Loop: Header=BB351_1005 Depth=1
	v_bfe_u32 v18, v19, 24, 7
	v_mov_b32_e32 v17, 0x7f800001
	s_mov_b32 s16, exec_lo
	s_delay_alu instid0(VALU_DEP_2)
	v_cmpx_ne_u32_e32 0x7f, v18
	s_cbranch_execz .LBB351_1662
; %bb.1659:                             ;   in Loop: Header=BB351_1005 Depth=1
	v_dual_lshrrev_b32 v17, 3, v18 :: v_dual_bitop2_b32 v26, 7, v23 bitop3:0x40
	v_cmp_gt_u32_e64 s0, 8, v18
	s_delay_alu instid0(VALU_DEP_2)
	v_mov_b64_e32 v[18:19], v[26:27]
	s_and_saveexec_b32 s17, s0
; %bb.1660:                             ;   in Loop: Header=BB351_1005 Depth=1
	v_clz_i32_u32_e32 v17, v26
	s_delay_alu instid0(VALU_DEP_1) | instskip(NEXT) | instid1(VALU_DEP_1)
	v_min_u32_e32 v17, 32, v17
	v_subrev_nc_u32_e32 v18, 28, v17
	s_delay_alu instid0(VALU_DEP_1) | instskip(NEXT) | instid1(VALU_DEP_1)
	v_lshlrev_b64_e32 v[18:19], v18, v[26:27]
	v_dual_sub_nc_u32 v17, 29, v17 :: v_dual_bitop2_b32 v18, 7, v18 bitop3:0x40
; %bb.1661:                             ;   in Loop: Header=BB351_1005 Depth=1
	s_or_b32 exec_lo, exec_lo, s17
	s_delay_alu instid0(VALU_DEP_1) | instskip(NEXT) | instid1(VALU_DEP_2)
	v_dual_lshlrev_b32 v19, 24, v23 :: v_dual_lshlrev_b32 v18, 20, v18
	v_lshl_add_u32 v17, v17, 23, 0x3c000000
	s_delay_alu instid0(VALU_DEP_2) | instskip(NEXT) | instid1(VALU_DEP_1)
	v_and_b32_e32 v19, 0x80000000, v19
	v_or3_b32 v17, v18, v19, v17
.LBB351_1662:                           ;   in Loop: Header=BB351_1005 Depth=1
	s_or_b32 exec_lo, exec_lo, s16
.LBB351_1663:                           ;   in Loop: Header=BB351_1005 Depth=1
	s_delay_alu instid0(SALU_CYCLE_1)
	s_or_b32 exec_lo, exec_lo, s15
.LBB351_1664:                           ;   in Loop: Header=BB351_1005 Depth=1
	s_delay_alu instid0(SALU_CYCLE_1)
	s_or_b32 exec_lo, exec_lo, s14
	v_fma_mixlo_bf16 v38, v25, v7, 0
	v_fma_mixlo_bf16 v39, v25, v6, 0
	;; [unrolled: 1-line block ×8, first 2 shown]
	s_and_saveexec_b32 s14, vcc_lo
	s_cbranch_execz .LBB351_1666
; %bb.1665:                             ;   in Loop: Header=BB351_1005 Depth=1
	v_cmp_lt_i32_e64 s0, v85, v16
	s_delay_alu instid0(VALU_DEP_1) | instskip(SKIP_1) | instid1(VALU_DEP_1)
	v_cndmask_b32_e64 v7, 0, v7, s0
	v_cmp_lt_i32_e64 s0, v97, v16
	v_cndmask_b32_e64 v6, 0, v6, s0
	v_cmp_lt_i32_e64 s0, v96, v16
	s_delay_alu instid0(VALU_DEP_1) | instskip(SKIP_1) | instid1(VALU_DEP_1)
	v_cndmask_b32_e64 v37, 0, v37, s0
	v_cmp_lt_i32_e64 s0, v87, v16
	v_cndmask_b32_e64 v36, 0, v36, s0
	;; [unrolled: 5-line block ×4, first 2 shown]
.LBB351_1666:                           ;   in Loop: Header=BB351_1005 Depth=1
	s_or_b32 exec_lo, exec_lo, s14
	flat_load_b64 v[18:19], v[0:1] offset:2560
	v_dual_mov_b32 v49, 0 :: v_dual_mov_b32 v2, 0
	s_mov_b32 s14, exec_lo
	s_wait_loadcnt_dscnt 0x0
	v_and_b32_e32 v3, 0xff, v18
	s_wait_xcnt 0x0
	s_delay_alu instid0(VALU_DEP_1)
	v_cmpx_ne_u16_e32 0, v3
	s_cbranch_execz .LBB351_1674
; %bb.1667:                             ;   in Loop: Header=BB351_1005 Depth=1
	v_bfrev_b32_e32 v2, 1
	s_mov_b32 s15, exec_lo
	v_cmpx_ne_u16_e32 0x80, v3
	s_cbranch_execz .LBB351_1673
; %bb.1668:                             ;   in Loop: Header=BB351_1005 Depth=1
	v_and_b32_e32 v3, 0x7f, v18
	v_mov_b32_e32 v2, 0x7f800001
	s_mov_b32 s16, exec_lo
	s_delay_alu instid0(VALU_DEP_2)
	v_cmpx_ne_u32_e32 0x7f, v3
	s_cbranch_execz .LBB351_1672
; %bb.1669:                             ;   in Loop: Header=BB351_1005 Depth=1
	v_mov_b64_e32 v[22:23], v[18:19]
	v_lshrrev_b32_e32 v2, 3, v3
	s_mov_b32 s17, exec_lo
	v_cmpx_gt_u32_e32 8, v3
; %bb.1670:                             ;   in Loop: Header=BB351_1005 Depth=1
	v_and_b32_e32 v2, 7, v18
	s_delay_alu instid0(VALU_DEP_1) | instskip(NEXT) | instid1(VALU_DEP_1)
	v_clz_i32_u32_e32 v2, v2
	v_min_u32_e32 v2, 32, v2
	s_delay_alu instid0(VALU_DEP_1) | instskip(SKIP_1) | instid1(VALU_DEP_2)
	v_subrev_nc_u32_e32 v3, 28, v2
	v_sub_nc_u32_e32 v2, 29, v2
	v_lshlrev_b64_e32 v[22:23], v3, v[18:19]
; %bb.1671:                             ;   in Loop: Header=BB351_1005 Depth=1
	s_or_b32 exec_lo, exec_lo, s17
	s_delay_alu instid0(VALU_DEP_1) | instskip(SKIP_2) | instid1(VALU_DEP_3)
	v_lshlrev_b32_e32 v3, 20, v22
	v_lshlrev_b32_e32 v4, 24, v18
	v_lshl_add_u32 v2, v2, 23, 0x3c000000
	v_and_b32_e32 v3, 0x700000, v3
	s_delay_alu instid0(VALU_DEP_3) | instskip(NEXT) | instid1(VALU_DEP_1)
	v_and_b32_e32 v4, 0x80000000, v4
	v_or3_b32 v2, v3, v4, v2
.LBB351_1672:                           ;   in Loop: Header=BB351_1005 Depth=1
	s_or_b32 exec_lo, exec_lo, s16
.LBB351_1673:                           ;   in Loop: Header=BB351_1005 Depth=1
	s_delay_alu instid0(SALU_CYCLE_1)
	s_or_b32 exec_lo, exec_lo, s15
.LBB351_1674:                           ;   in Loop: Header=BB351_1005 Depth=1
	s_delay_alu instid0(SALU_CYCLE_1) | instskip(SKIP_2) | instid1(VALU_DEP_1)
	s_or_b32 exec_lo, exec_lo, s14
	v_lshrrev_b16 v3, 8, v18
	s_mov_b32 s14, exec_lo
	v_cmpx_ne_u16_e32 0, v3
	s_cbranch_execz .LBB351_1682
; %bb.1675:                             ;   in Loop: Header=BB351_1005 Depth=1
	v_bfrev_b32_e32 v49, 1
	s_mov_b32 s15, exec_lo
	v_cmpx_ne_u16_e32 0x80, v3
	s_cbranch_execz .LBB351_1681
; %bb.1676:                             ;   in Loop: Header=BB351_1005 Depth=1
	v_and_b32_e32 v3, 0xffff, v3
	v_mov_b32_e32 v49, 0x7f800001
	s_mov_b32 s16, exec_lo
	s_delay_alu instid0(VALU_DEP_2) | instskip(NEXT) | instid1(VALU_DEP_1)
	v_and_b32_e32 v4, 0x7f, v3
	v_cmpx_ne_u32_e32 0x7f, v4
	s_cbranch_execz .LBB351_1680
; %bb.1677:                             ;   in Loop: Header=BB351_1005 Depth=1
	v_dual_lshrrev_b32 v3, 3, v4 :: v_dual_bitop2_b32 v26, 7, v3 bitop3:0x40
	s_mov_b32 s17, exec_lo
	s_delay_alu instid0(VALU_DEP_1)
	v_mov_b64_e32 v[22:23], v[26:27]
	v_cmpx_gt_u32_e32 8, v4
; %bb.1678:                             ;   in Loop: Header=BB351_1005 Depth=1
	v_clz_i32_u32_e32 v3, v26
	s_delay_alu instid0(VALU_DEP_1) | instskip(NEXT) | instid1(VALU_DEP_1)
	v_min_u32_e32 v3, 32, v3
	v_subrev_nc_u32_e32 v4, 28, v3
	s_delay_alu instid0(VALU_DEP_1) | instskip(NEXT) | instid1(VALU_DEP_1)
	v_lshlrev_b64_e32 v[4:5], v4, v[26:27]
	v_dual_sub_nc_u32 v3, 29, v3 :: v_dual_bitop2_b32 v22, 7, v4 bitop3:0x40
; %bb.1679:                             ;   in Loop: Header=BB351_1005 Depth=1
	s_or_b32 exec_lo, exec_lo, s17
	v_lshlrev_b32_e32 v4, 16, v18
	s_delay_alu instid0(VALU_DEP_2) | instskip(NEXT) | instid1(VALU_DEP_3)
	v_lshlrev_b32_e32 v5, 20, v22
	v_lshl_add_u32 v3, v3, 23, 0x3c000000
	s_delay_alu instid0(VALU_DEP_3) | instskip(NEXT) | instid1(VALU_DEP_1)
	v_and_b32_e32 v4, 0x80000000, v4
	v_or3_b32 v49, v5, v4, v3
.LBB351_1680:                           ;   in Loop: Header=BB351_1005 Depth=1
	s_or_b32 exec_lo, exec_lo, s16
.LBB351_1681:                           ;   in Loop: Header=BB351_1005 Depth=1
	s_delay_alu instid0(SALU_CYCLE_1)
	s_or_b32 exec_lo, exec_lo, s15
.LBB351_1682:                           ;   in Loop: Header=BB351_1005 Depth=1
	s_delay_alu instid0(SALU_CYCLE_1) | instskip(SKIP_3) | instid1(VALU_DEP_2)
	s_or_b32 exec_lo, exec_lo, s14
	v_dual_lshrrev_b32 v3, 16, v18 :: v_dual_mov_b32 v5, 0
	v_mov_b32_e32 v48, 0
	s_mov_b32 s14, exec_lo
	v_and_b32_e32 v4, 0xff, v3
	s_delay_alu instid0(VALU_DEP_1)
	v_cmpx_ne_u16_e32 0, v4
	s_cbranch_execz .LBB351_1690
; %bb.1683:                             ;   in Loop: Header=BB351_1005 Depth=1
	v_bfrev_b32_e32 v48, 1
	s_mov_b32 s15, exec_lo
	v_cmpx_ne_u16_e32 0x80, v4
	s_cbranch_execz .LBB351_1689
; %bb.1684:                             ;   in Loop: Header=BB351_1005 Depth=1
	v_bfe_u32 v17, v18, 16, 7
	v_mov_b32_e32 v48, 0x7f800001
	s_mov_b32 s16, exec_lo
	s_delay_alu instid0(VALU_DEP_2)
	v_cmpx_ne_u32_e32 0x7f, v17
	s_cbranch_execz .LBB351_1688
; %bb.1685:                             ;   in Loop: Header=BB351_1005 Depth=1
	v_dual_lshrrev_b32 v4, 3, v17 :: v_dual_bitop2_b32 v26, 7, v3 bitop3:0x40
	s_mov_b32 s17, exec_lo
	s_delay_alu instid0(VALU_DEP_1)
	v_mov_b64_e32 v[22:23], v[26:27]
	v_cmpx_gt_u32_e32 8, v17
; %bb.1686:                             ;   in Loop: Header=BB351_1005 Depth=1
	v_clz_i32_u32_e32 v4, v26
	s_delay_alu instid0(VALU_DEP_1) | instskip(NEXT) | instid1(VALU_DEP_1)
	v_min_u32_e32 v4, 32, v4
	v_subrev_nc_u32_e32 v17, 28, v4
	s_delay_alu instid0(VALU_DEP_1) | instskip(NEXT) | instid1(VALU_DEP_1)
	v_lshlrev_b64_e32 v[22:23], v17, v[26:27]
	v_dual_sub_nc_u32 v4, 29, v4 :: v_dual_bitop2_b32 v22, 7, v22 bitop3:0x40
; %bb.1687:                             ;   in Loop: Header=BB351_1005 Depth=1
	s_or_b32 exec_lo, exec_lo, s17
	s_delay_alu instid0(VALU_DEP_1) | instskip(NEXT) | instid1(VALU_DEP_2)
	v_dual_lshlrev_b32 v3, 24, v3 :: v_dual_lshlrev_b32 v17, 20, v22
	v_lshl_add_u32 v4, v4, 23, 0x3c000000
	s_delay_alu instid0(VALU_DEP_2) | instskip(NEXT) | instid1(VALU_DEP_1)
	v_and_b32_e32 v3, 0x80000000, v3
	v_or3_b32 v48, v17, v3, v4
.LBB351_1688:                           ;   in Loop: Header=BB351_1005 Depth=1
	s_or_b32 exec_lo, exec_lo, s16
.LBB351_1689:                           ;   in Loop: Header=BB351_1005 Depth=1
	s_delay_alu instid0(SALU_CYCLE_1)
	s_or_b32 exec_lo, exec_lo, s15
.LBB351_1690:                           ;   in Loop: Header=BB351_1005 Depth=1
	s_delay_alu instid0(SALU_CYCLE_1) | instskip(NEXT) | instid1(SALU_CYCLE_1)
	s_or_b32 exec_lo, exec_lo, s14
	s_mov_b32 s14, exec_lo
	v_cmpx_lt_u32_e32 0xffffff, v18
	s_cbranch_execz .LBB351_1698
; %bb.1691:                             ;   in Loop: Header=BB351_1005 Depth=1
	v_lshrrev_b32_e32 v3, 24, v18
	v_bfrev_b32_e32 v5, 1
	s_mov_b32 s15, exec_lo
	s_delay_alu instid0(VALU_DEP_2)
	v_cmpx_ne_u32_e32 0x80, v3
	s_cbranch_execz .LBB351_1697
; %bb.1692:                             ;   in Loop: Header=BB351_1005 Depth=1
	v_bfe_u32 v17, v18, 24, 7
	v_mov_b32_e32 v5, 0x7f800001
	s_mov_b32 s16, exec_lo
	s_delay_alu instid0(VALU_DEP_2)
	v_cmpx_ne_u32_e32 0x7f, v17
	s_cbranch_execz .LBB351_1696
; %bb.1693:                             ;   in Loop: Header=BB351_1005 Depth=1
	v_dual_lshrrev_b32 v4, 3, v17 :: v_dual_bitop2_b32 v26, 7, v3 bitop3:0x40
	s_mov_b32 s17, exec_lo
	s_delay_alu instid0(VALU_DEP_1)
	v_mov_b64_e32 v[22:23], v[26:27]
	v_cmpx_gt_u32_e32 8, v17
; %bb.1694:                             ;   in Loop: Header=BB351_1005 Depth=1
	v_clz_i32_u32_e32 v4, v26
	s_delay_alu instid0(VALU_DEP_1) | instskip(NEXT) | instid1(VALU_DEP_1)
	v_min_u32_e32 v4, 32, v4
	v_subrev_nc_u32_e32 v5, 28, v4
	s_delay_alu instid0(VALU_DEP_1) | instskip(NEXT) | instid1(VALU_DEP_1)
	v_lshlrev_b64_e32 v[22:23], v5, v[26:27]
	v_dual_sub_nc_u32 v4, 29, v4 :: v_dual_bitop2_b32 v22, 7, v22 bitop3:0x40
; %bb.1695:                             ;   in Loop: Header=BB351_1005 Depth=1
	s_or_b32 exec_lo, exec_lo, s17
	s_delay_alu instid0(VALU_DEP_1) | instskip(NEXT) | instid1(VALU_DEP_2)
	v_dual_lshlrev_b32 v3, 24, v3 :: v_dual_lshlrev_b32 v5, 20, v22
	v_lshl_add_u32 v4, v4, 23, 0x3c000000
	s_delay_alu instid0(VALU_DEP_2) | instskip(NEXT) | instid1(VALU_DEP_1)
	v_and_b32_e32 v3, 0x80000000, v3
	v_or3_b32 v5, v5, v3, v4
.LBB351_1696:                           ;   in Loop: Header=BB351_1005 Depth=1
	s_or_b32 exec_lo, exec_lo, s16
.LBB351_1697:                           ;   in Loop: Header=BB351_1005 Depth=1
	s_delay_alu instid0(SALU_CYCLE_1)
	s_or_b32 exec_lo, exec_lo, s15
.LBB351_1698:                           ;   in Loop: Header=BB351_1005 Depth=1
	s_delay_alu instid0(SALU_CYCLE_1) | instskip(SKIP_4) | instid1(VALU_DEP_3)
	s_or_b32 exec_lo, exec_lo, s14
	v_and_b32_e32 v17, 0xff, v19
	v_dual_mov_b32 v26, v19 :: v_dual_mov_b32 v3, 0
	v_mov_b32_e32 v4, 0
	s_mov_b32 s14, exec_lo
	v_cmpx_ne_u16_e32 0, v17
	s_cbranch_execz .LBB351_1706
; %bb.1699:                             ;   in Loop: Header=BB351_1005 Depth=1
	v_bfrev_b32_e32 v4, 1
	s_mov_b32 s15, exec_lo
	v_cmpx_ne_u16_e32 0x80, v17
	s_cbranch_execz .LBB351_1705
; %bb.1700:                             ;   in Loop: Header=BB351_1005 Depth=1
	v_and_b32_e32 v17, 0x7f, v19
	v_mov_b32_e32 v4, 0x7f800001
	s_mov_b32 s16, exec_lo
	s_delay_alu instid0(VALU_DEP_2)
	v_cmpx_ne_u32_e32 0x7f, v17
	s_cbranch_execz .LBB351_1704
; %bb.1701:                             ;   in Loop: Header=BB351_1005 Depth=1
	v_mov_b64_e32 v[22:23], v[26:27]
	v_lshrrev_b32_e32 v4, 3, v17
	s_mov_b32 s17, exec_lo
	v_cmpx_gt_u32_e32 8, v17
; %bb.1702:                             ;   in Loop: Header=BB351_1005 Depth=1
	v_and_b32_e32 v4, 7, v19
	s_delay_alu instid0(VALU_DEP_1) | instskip(NEXT) | instid1(VALU_DEP_1)
	v_clz_i32_u32_e32 v4, v4
	v_min_u32_e32 v4, 32, v4
	s_delay_alu instid0(VALU_DEP_1) | instskip(SKIP_1) | instid1(VALU_DEP_2)
	v_subrev_nc_u32_e32 v17, 28, v4
	v_sub_nc_u32_e32 v4, 29, v4
	v_lshlrev_b64_e32 v[22:23], v17, v[26:27]
; %bb.1703:                             ;   in Loop: Header=BB351_1005 Depth=1
	s_or_b32 exec_lo, exec_lo, s17
	s_delay_alu instid0(VALU_DEP_1) | instskip(SKIP_2) | instid1(VALU_DEP_3)
	v_lshlrev_b32_e32 v17, 20, v22
	v_lshlrev_b32_e32 v22, 24, v26
	v_lshl_add_u32 v4, v4, 23, 0x3c000000
	v_and_b32_e32 v17, 0x700000, v17
	s_delay_alu instid0(VALU_DEP_3) | instskip(NEXT) | instid1(VALU_DEP_1)
	v_and_b32_e32 v22, 0x80000000, v22
	v_or3_b32 v4, v17, v22, v4
.LBB351_1704:                           ;   in Loop: Header=BB351_1005 Depth=1
	s_or_b32 exec_lo, exec_lo, s16
.LBB351_1705:                           ;   in Loop: Header=BB351_1005 Depth=1
	s_delay_alu instid0(SALU_CYCLE_1)
	s_or_b32 exec_lo, exec_lo, s15
.LBB351_1706:                           ;   in Loop: Header=BB351_1005 Depth=1
	s_delay_alu instid0(SALU_CYCLE_1) | instskip(SKIP_2) | instid1(VALU_DEP_1)
	s_or_b32 exec_lo, exec_lo, s14
	v_lshrrev_b16 v17, 8, v26
	s_mov_b32 s14, exec_lo
	v_cmpx_ne_u16_e32 0, v17
	s_cbranch_execz .LBB351_1714
; %bb.1707:                             ;   in Loop: Header=BB351_1005 Depth=1
	v_bfrev_b32_e32 v3, 1
	s_mov_b32 s15, exec_lo
	v_cmpx_ne_u16_e32 0x80, v17
	s_cbranch_execz .LBB351_1713
; %bb.1708:                             ;   in Loop: Header=BB351_1005 Depth=1
	v_and_b32_e32 v22, 0xffff, v17
	v_mov_b32_e32 v3, 0x7f800001
	s_mov_b32 s16, exec_lo
	s_delay_alu instid0(VALU_DEP_2) | instskip(NEXT) | instid1(VALU_DEP_1)
	v_and_b32_e32 v17, 0x7f, v22
	v_cmpx_ne_u32_e32 0x7f, v17
	s_cbranch_execz .LBB351_1712
; %bb.1709:                             ;   in Loop: Header=BB351_1005 Depth=1
	v_dual_mov_b32 v23, v27 :: v_dual_bitop2_b32 v22, 7, v22 bitop3:0x40
	v_lshrrev_b32_e32 v3, 3, v17
	s_mov_b32 s17, exec_lo
	v_cmpx_gt_u32_e32 8, v17
; %bb.1710:                             ;   in Loop: Header=BB351_1005 Depth=1
	s_delay_alu instid0(VALU_DEP_3) | instskip(NEXT) | instid1(VALU_DEP_1)
	v_clz_i32_u32_e32 v3, v22
	v_min_u32_e32 v3, 32, v3
	s_delay_alu instid0(VALU_DEP_1) | instskip(NEXT) | instid1(VALU_DEP_1)
	v_subrev_nc_u32_e32 v17, 28, v3
	v_lshlrev_b64_e32 v[22:23], v17, v[22:23]
	s_delay_alu instid0(VALU_DEP_1)
	v_dual_sub_nc_u32 v3, 29, v3 :: v_dual_bitop2_b32 v22, 7, v22 bitop3:0x40
; %bb.1711:                             ;   in Loop: Header=BB351_1005 Depth=1
	s_or_b32 exec_lo, exec_lo, s17
	v_lshlrev_b32_e32 v17, 16, v26
	s_delay_alu instid0(VALU_DEP_2) | instskip(NEXT) | instid1(VALU_DEP_3)
	v_lshlrev_b32_e32 v22, 20, v22
	v_lshl_add_u32 v3, v3, 23, 0x3c000000
	s_delay_alu instid0(VALU_DEP_3) | instskip(NEXT) | instid1(VALU_DEP_1)
	v_and_b32_e32 v17, 0x80000000, v17
	v_or3_b32 v3, v22, v17, v3
.LBB351_1712:                           ;   in Loop: Header=BB351_1005 Depth=1
	s_or_b32 exec_lo, exec_lo, s16
.LBB351_1713:                           ;   in Loop: Header=BB351_1005 Depth=1
	s_delay_alu instid0(SALU_CYCLE_1)
	s_or_b32 exec_lo, exec_lo, s15
.LBB351_1714:                           ;   in Loop: Header=BB351_1005 Depth=1
	s_delay_alu instid0(SALU_CYCLE_1) | instskip(SKIP_3) | instid1(VALU_DEP_2)
	s_or_b32 exec_lo, exec_lo, s14
	v_dual_mov_b32 v17, 0 :: v_dual_lshrrev_b32 v50, 16, v19
	v_mov_b32_e32 v22, 0
	s_mov_b32 s14, exec_lo
	v_and_b32_e32 v23, 0xff, v50
	s_delay_alu instid0(VALU_DEP_1)
	v_cmpx_ne_u16_e32 0, v23
	s_cbranch_execz .LBB351_1722
; %bb.1715:                             ;   in Loop: Header=BB351_1005 Depth=1
	v_bfrev_b32_e32 v22, 1
	s_mov_b32 s15, exec_lo
	v_cmpx_ne_u16_e32 0x80, v23
	s_cbranch_execz .LBB351_1721
; %bb.1716:                             ;   in Loop: Header=BB351_1005 Depth=1
	v_bfe_u32 v23, v19, 16, 7
	v_mov_b32_e32 v22, 0x7f800001
	s_mov_b32 s16, exec_lo
	s_delay_alu instid0(VALU_DEP_2)
	v_cmpx_ne_u32_e32 0x7f, v23
	s_cbranch_execz .LBB351_1720
; %bb.1717:                             ;   in Loop: Header=BB351_1005 Depth=1
	v_dual_lshrrev_b32 v51, 3, v23 :: v_dual_bitop2_b32 v26, 7, v50 bitop3:0x40
	v_cmp_gt_u32_e64 s0, 8, v23
	s_delay_alu instid0(VALU_DEP_2)
	v_mov_b64_e32 v[22:23], v[26:27]
	s_and_saveexec_b32 s17, s0
; %bb.1718:                             ;   in Loop: Header=BB351_1005 Depth=1
	v_clz_i32_u32_e32 v22, v26
	s_delay_alu instid0(VALU_DEP_1) | instskip(NEXT) | instid1(VALU_DEP_1)
	v_min_u32_e32 v24, 32, v22
	v_subrev_nc_u32_e32 v22, 28, v24
	s_delay_alu instid0(VALU_DEP_1) | instskip(NEXT) | instid1(VALU_DEP_1)
	v_lshlrev_b64_e32 v[22:23], v22, v[26:27]
	v_dual_sub_nc_u32 v51, 29, v24 :: v_dual_bitop2_b32 v22, 7, v22 bitop3:0x40
; %bb.1719:                             ;   in Loop: Header=BB351_1005 Depth=1
	s_or_b32 exec_lo, exec_lo, s17
	v_lshlrev_b32_e32 v23, 24, v50
	s_delay_alu instid0(VALU_DEP_2) | instskip(NEXT) | instid1(VALU_DEP_3)
	v_lshlrev_b32_e32 v22, 20, v22
	v_lshl_add_u32 v24, v51, 23, 0x3c000000
	s_delay_alu instid0(VALU_DEP_3) | instskip(NEXT) | instid1(VALU_DEP_1)
	v_and_b32_e32 v23, 0x80000000, v23
	v_or3_b32 v22, v22, v23, v24
.LBB351_1720:                           ;   in Loop: Header=BB351_1005 Depth=1
	s_or_b32 exec_lo, exec_lo, s16
.LBB351_1721:                           ;   in Loop: Header=BB351_1005 Depth=1
	s_delay_alu instid0(SALU_CYCLE_1)
	s_or_b32 exec_lo, exec_lo, s15
.LBB351_1722:                           ;   in Loop: Header=BB351_1005 Depth=1
	s_delay_alu instid0(SALU_CYCLE_1) | instskip(NEXT) | instid1(SALU_CYCLE_1)
	s_or_b32 exec_lo, exec_lo, s14
	s_mov_b32 s14, exec_lo
	v_cmpx_lt_u64_e64 s[2:3], v[18:19]
	s_cbranch_execz .LBB351_1730
; %bb.1723:                             ;   in Loop: Header=BB351_1005 Depth=1
	v_lshrrev_b32_e32 v23, 24, v19
	v_bfrev_b32_e32 v17, 1
	s_mov_b32 s15, exec_lo
	s_delay_alu instid0(VALU_DEP_2)
	v_cmpx_ne_u32_e32 0x80, v23
	s_cbranch_execz .LBB351_1729
; %bb.1724:                             ;   in Loop: Header=BB351_1005 Depth=1
	v_bfe_u32 v18, v19, 24, 7
	v_mov_b32_e32 v17, 0x7f800001
	s_mov_b32 s16, exec_lo
	s_delay_alu instid0(VALU_DEP_2)
	v_cmpx_ne_u32_e32 0x7f, v18
	s_cbranch_execz .LBB351_1728
; %bb.1725:                             ;   in Loop: Header=BB351_1005 Depth=1
	v_dual_lshrrev_b32 v17, 3, v18 :: v_dual_bitop2_b32 v26, 7, v23 bitop3:0x40
	v_cmp_gt_u32_e64 s0, 8, v18
	s_delay_alu instid0(VALU_DEP_2)
	v_mov_b64_e32 v[18:19], v[26:27]
	s_and_saveexec_b32 s17, s0
; %bb.1726:                             ;   in Loop: Header=BB351_1005 Depth=1
	v_clz_i32_u32_e32 v17, v26
	s_delay_alu instid0(VALU_DEP_1) | instskip(NEXT) | instid1(VALU_DEP_1)
	v_min_u32_e32 v17, 32, v17
	v_subrev_nc_u32_e32 v18, 28, v17
	s_delay_alu instid0(VALU_DEP_1) | instskip(NEXT) | instid1(VALU_DEP_1)
	v_lshlrev_b64_e32 v[18:19], v18, v[26:27]
	v_dual_sub_nc_u32 v17, 29, v17 :: v_dual_bitop2_b32 v18, 7, v18 bitop3:0x40
; %bb.1727:                             ;   in Loop: Header=BB351_1005 Depth=1
	s_or_b32 exec_lo, exec_lo, s17
	s_delay_alu instid0(VALU_DEP_1) | instskip(NEXT) | instid1(VALU_DEP_2)
	v_dual_lshlrev_b32 v19, 24, v23 :: v_dual_lshlrev_b32 v18, 20, v18
	v_lshl_add_u32 v17, v17, 23, 0x3c000000
	s_delay_alu instid0(VALU_DEP_2) | instskip(NEXT) | instid1(VALU_DEP_1)
	v_and_b32_e32 v19, 0x80000000, v19
	v_or3_b32 v17, v18, v19, v17
.LBB351_1728:                           ;   in Loop: Header=BB351_1005 Depth=1
	s_or_b32 exec_lo, exec_lo, s16
.LBB351_1729:                           ;   in Loop: Header=BB351_1005 Depth=1
	s_delay_alu instid0(SALU_CYCLE_1)
	s_or_b32 exec_lo, exec_lo, s15
.LBB351_1730:                           ;   in Loop: Header=BB351_1005 Depth=1
	s_delay_alu instid0(SALU_CYCLE_1)
	s_or_b32 exec_lo, exec_lo, s14
	v_fma_mixlo_bf16 v3, v25, v3, 0
	v_fma_mixlo_bf16 v4, v25, v4, 0
	;; [unrolled: 1-line block ×8, first 2 shown]
	s_and_saveexec_b32 s14, vcc_lo
	s_cbranch_execz .LBB351_1732
; %bb.1731:                             ;   in Loop: Header=BB351_1005 Depth=1
	v_cmp_lt_i32_e64 s0, v85, v16
	s_delay_alu instid0(VALU_DEP_1) | instskip(SKIP_1) | instid1(VALU_DEP_1)
	v_cndmask_b32_e64 v50, 0, v50, s0
	v_cmp_lt_i32_e64 s0, v97, v16
	v_cndmask_b32_e64 v49, 0, v49, s0
	v_cmp_lt_i32_e64 s0, v96, v16
	s_delay_alu instid0(VALU_DEP_1) | instskip(SKIP_1) | instid1(VALU_DEP_1)
	v_cndmask_b32_e64 v48, 0, v48, s0
	v_cmp_lt_i32_e64 s0, v87, v16
	v_cndmask_b32_e64 v5, 0, v5, s0
	;; [unrolled: 5-line block ×4, first 2 shown]
.LBB351_1732:                           ;   in Loop: Header=BB351_1005 Depth=1
	s_or_b32 exec_lo, exec_lo, s14
	flat_load_b64 v[18:19], v[0:1] offset:2816
	v_dual_mov_b32 v66, 0 :: v_dual_mov_b32 v51, 0
	s_mov_b32 s14, exec_lo
	s_wait_loadcnt_dscnt 0x0
	v_and_b32_e32 v17, 0xff, v18
	s_wait_xcnt 0x0
	s_delay_alu instid0(VALU_DEP_1)
	v_cmpx_ne_u16_e32 0, v17
	s_cbranch_execz .LBB351_1740
; %bb.1733:                             ;   in Loop: Header=BB351_1005 Depth=1
	v_bfrev_b32_e32 v51, 1
	s_mov_b32 s15, exec_lo
	v_cmpx_ne_u16_e32 0x80, v17
	s_cbranch_execz .LBB351_1739
; %bb.1734:                             ;   in Loop: Header=BB351_1005 Depth=1
	v_and_b32_e32 v22, 0x7f, v18
	v_mov_b32_e32 v51, 0x7f800001
	s_mov_b32 s16, exec_lo
	s_delay_alu instid0(VALU_DEP_2)
	v_cmpx_ne_u32_e32 0x7f, v22
	s_cbranch_execz .LBB351_1738
; %bb.1735:                             ;   in Loop: Header=BB351_1005 Depth=1
	v_lshrrev_b32_e32 v17, 3, v22
	v_cmp_gt_u32_e64 s0, 8, v22
	v_mov_b64_e32 v[22:23], v[18:19]
	s_and_saveexec_b32 s17, s0
; %bb.1736:                             ;   in Loop: Header=BB351_1005 Depth=1
	v_and_b32_e32 v17, 7, v18
	s_delay_alu instid0(VALU_DEP_1) | instskip(NEXT) | instid1(VALU_DEP_1)
	v_clz_i32_u32_e32 v17, v17
	v_min_u32_e32 v17, 32, v17
	s_delay_alu instid0(VALU_DEP_1) | instskip(SKIP_1) | instid1(VALU_DEP_2)
	v_subrev_nc_u32_e32 v22, 28, v17
	v_sub_nc_u32_e32 v17, 29, v17
	v_lshlrev_b64_e32 v[22:23], v22, v[18:19]
; %bb.1737:                             ;   in Loop: Header=BB351_1005 Depth=1
	s_or_b32 exec_lo, exec_lo, s17
	s_delay_alu instid0(VALU_DEP_1) | instskip(SKIP_2) | instid1(VALU_DEP_3)
	v_lshlrev_b32_e32 v22, 20, v22
	v_lshlrev_b32_e32 v23, 24, v18
	v_lshl_add_u32 v17, v17, 23, 0x3c000000
	v_and_b32_e32 v22, 0x700000, v22
	s_delay_alu instid0(VALU_DEP_3) | instskip(NEXT) | instid1(VALU_DEP_1)
	v_and_b32_e32 v23, 0x80000000, v23
	v_or3_b32 v51, v22, v23, v17
.LBB351_1738:                           ;   in Loop: Header=BB351_1005 Depth=1
	s_or_b32 exec_lo, exec_lo, s16
.LBB351_1739:                           ;   in Loop: Header=BB351_1005 Depth=1
	s_delay_alu instid0(SALU_CYCLE_1)
	s_or_b32 exec_lo, exec_lo, s15
.LBB351_1740:                           ;   in Loop: Header=BB351_1005 Depth=1
	s_delay_alu instid0(SALU_CYCLE_1) | instskip(SKIP_2) | instid1(VALU_DEP_1)
	s_or_b32 exec_lo, exec_lo, s14
	v_lshrrev_b16 v17, 8, v18
	s_mov_b32 s14, exec_lo
	v_cmpx_ne_u16_e32 0, v17
	s_cbranch_execz .LBB351_1748
; %bb.1741:                             ;   in Loop: Header=BB351_1005 Depth=1
	v_bfrev_b32_e32 v66, 1
	s_mov_b32 s15, exec_lo
	v_cmpx_ne_u16_e32 0x80, v17
	s_cbranch_execz .LBB351_1747
; %bb.1742:                             ;   in Loop: Header=BB351_1005 Depth=1
	v_and_b32_e32 v17, 0xffff, v17
	v_mov_b32_e32 v66, 0x7f800001
	s_mov_b32 s16, exec_lo
	s_delay_alu instid0(VALU_DEP_2) | instskip(NEXT) | instid1(VALU_DEP_1)
	v_and_b32_e32 v22, 0x7f, v17
	v_cmpx_ne_u32_e32 0x7f, v22
	s_cbranch_execz .LBB351_1746
; %bb.1743:                             ;   in Loop: Header=BB351_1005 Depth=1
	v_dual_lshrrev_b32 v17, 3, v22 :: v_dual_bitop2_b32 v26, 7, v17 bitop3:0x40
	v_cmp_gt_u32_e64 s0, 8, v22
	s_delay_alu instid0(VALU_DEP_2)
	v_mov_b64_e32 v[22:23], v[26:27]
	s_and_saveexec_b32 s17, s0
; %bb.1744:                             ;   in Loop: Header=BB351_1005 Depth=1
	v_clz_i32_u32_e32 v17, v26
	s_delay_alu instid0(VALU_DEP_1) | instskip(NEXT) | instid1(VALU_DEP_1)
	v_min_u32_e32 v17, 32, v17
	v_subrev_nc_u32_e32 v22, 28, v17
	s_delay_alu instid0(VALU_DEP_1) | instskip(NEXT) | instid1(VALU_DEP_1)
	v_lshlrev_b64_e32 v[22:23], v22, v[26:27]
	v_dual_sub_nc_u32 v17, 29, v17 :: v_dual_bitop2_b32 v22, 7, v22 bitop3:0x40
; %bb.1745:                             ;   in Loop: Header=BB351_1005 Depth=1
	s_or_b32 exec_lo, exec_lo, s17
	v_lshlrev_b32_e32 v23, 16, v18
	s_delay_alu instid0(VALU_DEP_2) | instskip(NEXT) | instid1(VALU_DEP_3)
	v_lshlrev_b32_e32 v22, 20, v22
	v_lshl_add_u32 v17, v17, 23, 0x3c000000
	s_delay_alu instid0(VALU_DEP_3) | instskip(NEXT) | instid1(VALU_DEP_1)
	v_and_b32_e32 v23, 0x80000000, v23
	v_or3_b32 v66, v22, v23, v17
.LBB351_1746:                           ;   in Loop: Header=BB351_1005 Depth=1
	s_or_b32 exec_lo, exec_lo, s16
.LBB351_1747:                           ;   in Loop: Header=BB351_1005 Depth=1
	s_delay_alu instid0(SALU_CYCLE_1)
	s_or_b32 exec_lo, exec_lo, s15
.LBB351_1748:                           ;   in Loop: Header=BB351_1005 Depth=1
	s_delay_alu instid0(SALU_CYCLE_1) | instskip(SKIP_3) | instid1(VALU_DEP_2)
	s_or_b32 exec_lo, exec_lo, s14
	v_dual_lshrrev_b32 v17, 16, v18 :: v_dual_mov_b32 v69, 0
	v_mov_b32_e32 v70, 0
	s_mov_b32 s14, exec_lo
	v_and_b32_e32 v22, 0xff, v17
	s_delay_alu instid0(VALU_DEP_1)
	v_cmpx_ne_u16_e32 0, v22
	s_cbranch_execz .LBB351_1756
; %bb.1749:                             ;   in Loop: Header=BB351_1005 Depth=1
	v_bfrev_b32_e32 v70, 1
	s_mov_b32 s15, exec_lo
	v_cmpx_ne_u16_e32 0x80, v22
	s_cbranch_execz .LBB351_1755
; %bb.1750:                             ;   in Loop: Header=BB351_1005 Depth=1
	v_bfe_u32 v22, v18, 16, 7
	v_mov_b32_e32 v70, 0x7f800001
	s_mov_b32 s16, exec_lo
	s_delay_alu instid0(VALU_DEP_2)
	v_cmpx_ne_u32_e32 0x7f, v22
	s_cbranch_execz .LBB351_1754
; %bb.1751:                             ;   in Loop: Header=BB351_1005 Depth=1
	v_dual_lshrrev_b32 v67, 3, v22 :: v_dual_bitop2_b32 v26, 7, v17 bitop3:0x40
	v_cmp_gt_u32_e64 s0, 8, v22
	s_delay_alu instid0(VALU_DEP_2)
	v_mov_b64_e32 v[22:23], v[26:27]
	s_and_saveexec_b32 s17, s0
; %bb.1752:                             ;   in Loop: Header=BB351_1005 Depth=1
	v_clz_i32_u32_e32 v22, v26
	s_delay_alu instid0(VALU_DEP_1) | instskip(NEXT) | instid1(VALU_DEP_1)
	v_min_u32_e32 v24, 32, v22
	v_subrev_nc_u32_e32 v22, 28, v24
	s_delay_alu instid0(VALU_DEP_1) | instskip(NEXT) | instid1(VALU_DEP_1)
	v_lshlrev_b64_e32 v[22:23], v22, v[26:27]
	v_dual_sub_nc_u32 v67, 29, v24 :: v_dual_bitop2_b32 v22, 7, v22 bitop3:0x40
; %bb.1753:                             ;   in Loop: Header=BB351_1005 Depth=1
	s_or_b32 exec_lo, exec_lo, s17
	s_delay_alu instid0(VALU_DEP_1) | instskip(NEXT) | instid1(VALU_DEP_2)
	v_dual_lshlrev_b32 v17, 24, v17 :: v_dual_lshlrev_b32 v22, 20, v22
	v_lshl_add_u32 v23, v67, 23, 0x3c000000
	s_delay_alu instid0(VALU_DEP_2) | instskip(NEXT) | instid1(VALU_DEP_1)
	v_and_b32_e32 v17, 0x80000000, v17
	v_or3_b32 v70, v22, v17, v23
.LBB351_1754:                           ;   in Loop: Header=BB351_1005 Depth=1
	s_or_b32 exec_lo, exec_lo, s16
.LBB351_1755:                           ;   in Loop: Header=BB351_1005 Depth=1
	s_delay_alu instid0(SALU_CYCLE_1)
	s_or_b32 exec_lo, exec_lo, s15
.LBB351_1756:                           ;   in Loop: Header=BB351_1005 Depth=1
	s_delay_alu instid0(SALU_CYCLE_1) | instskip(NEXT) | instid1(SALU_CYCLE_1)
	s_or_b32 exec_lo, exec_lo, s14
	s_mov_b32 s14, exec_lo
	v_cmpx_lt_u32_e32 0xffffff, v18
	s_cbranch_execz .LBB351_1764
; %bb.1757:                             ;   in Loop: Header=BB351_1005 Depth=1
	v_lshrrev_b32_e32 v17, 24, v18
	v_bfrev_b32_e32 v69, 1
	s_mov_b32 s15, exec_lo
	s_delay_alu instid0(VALU_DEP_2)
	v_cmpx_ne_u32_e32 0x80, v17
	s_cbranch_execz .LBB351_1763
; %bb.1758:                             ;   in Loop: Header=BB351_1005 Depth=1
	v_bfe_u32 v22, v18, 24, 7
	v_mov_b32_e32 v69, 0x7f800001
	s_mov_b32 s16, exec_lo
	s_delay_alu instid0(VALU_DEP_2)
	v_cmpx_ne_u32_e32 0x7f, v22
	s_cbranch_execz .LBB351_1762
; %bb.1759:                             ;   in Loop: Header=BB351_1005 Depth=1
	v_dual_lshrrev_b32 v67, 3, v22 :: v_dual_bitop2_b32 v26, 7, v17 bitop3:0x40
	v_cmp_gt_u32_e64 s0, 8, v22
	s_delay_alu instid0(VALU_DEP_2)
	v_mov_b64_e32 v[22:23], v[26:27]
	s_and_saveexec_b32 s17, s0
; %bb.1760:                             ;   in Loop: Header=BB351_1005 Depth=1
	v_clz_i32_u32_e32 v22, v26
	s_delay_alu instid0(VALU_DEP_1) | instskip(NEXT) | instid1(VALU_DEP_1)
	v_min_u32_e32 v24, 32, v22
	v_subrev_nc_u32_e32 v22, 28, v24
	s_delay_alu instid0(VALU_DEP_1) | instskip(NEXT) | instid1(VALU_DEP_1)
	v_lshlrev_b64_e32 v[22:23], v22, v[26:27]
	v_dual_sub_nc_u32 v67, 29, v24 :: v_dual_bitop2_b32 v22, 7, v22 bitop3:0x40
; %bb.1761:                             ;   in Loop: Header=BB351_1005 Depth=1
	s_or_b32 exec_lo, exec_lo, s17
	s_delay_alu instid0(VALU_DEP_1) | instskip(NEXT) | instid1(VALU_DEP_2)
	v_dual_lshlrev_b32 v17, 24, v17 :: v_dual_lshlrev_b32 v22, 20, v22
	v_lshl_add_u32 v23, v67, 23, 0x3c000000
	s_delay_alu instid0(VALU_DEP_2) | instskip(NEXT) | instid1(VALU_DEP_1)
	v_and_b32_e32 v17, 0x80000000, v17
	v_or3_b32 v69, v22, v17, v23
.LBB351_1762:                           ;   in Loop: Header=BB351_1005 Depth=1
	s_or_b32 exec_lo, exec_lo, s16
.LBB351_1763:                           ;   in Loop: Header=BB351_1005 Depth=1
	s_delay_alu instid0(SALU_CYCLE_1)
	s_or_b32 exec_lo, exec_lo, s15
.LBB351_1764:                           ;   in Loop: Header=BB351_1005 Depth=1
	s_delay_alu instid0(SALU_CYCLE_1) | instskip(SKIP_4) | instid1(VALU_DEP_3)
	s_or_b32 exec_lo, exec_lo, s14
	v_and_b32_e32 v22, 0xff, v19
	v_dual_mov_b32 v26, v19 :: v_dual_mov_b32 v67, 0
	v_mov_b32_e32 v17, 0
	s_mov_b32 s14, exec_lo
	v_cmpx_ne_u16_e32 0, v22
	s_cbranch_execz .LBB351_1772
; %bb.1765:                             ;   in Loop: Header=BB351_1005 Depth=1
	v_bfrev_b32_e32 v17, 1
	s_mov_b32 s15, exec_lo
	v_cmpx_ne_u16_e32 0x80, v22
	s_cbranch_execz .LBB351_1771
; %bb.1766:                             ;   in Loop: Header=BB351_1005 Depth=1
	v_and_b32_e32 v22, 0x7f, v19
	v_mov_b32_e32 v17, 0x7f800001
	s_mov_b32 s16, exec_lo
	s_delay_alu instid0(VALU_DEP_2)
	v_cmpx_ne_u32_e32 0x7f, v22
	s_cbranch_execz .LBB351_1770
; %bb.1767:                             ;   in Loop: Header=BB351_1005 Depth=1
	v_lshrrev_b32_e32 v17, 3, v22
	v_cmp_gt_u32_e64 s0, 8, v22
	v_mov_b64_e32 v[22:23], v[26:27]
	s_and_saveexec_b32 s17, s0
; %bb.1768:                             ;   in Loop: Header=BB351_1005 Depth=1
	v_and_b32_e32 v17, 7, v19
	s_delay_alu instid0(VALU_DEP_1) | instskip(NEXT) | instid1(VALU_DEP_1)
	v_clz_i32_u32_e32 v17, v17
	v_min_u32_e32 v17, 32, v17
	s_delay_alu instid0(VALU_DEP_1) | instskip(SKIP_1) | instid1(VALU_DEP_2)
	v_subrev_nc_u32_e32 v22, 28, v17
	v_sub_nc_u32_e32 v17, 29, v17
	v_lshlrev_b64_e32 v[22:23], v22, v[26:27]
; %bb.1769:                             ;   in Loop: Header=BB351_1005 Depth=1
	s_or_b32 exec_lo, exec_lo, s17
	s_delay_alu instid0(VALU_DEP_1) | instskip(SKIP_2) | instid1(VALU_DEP_3)
	v_lshlrev_b32_e32 v22, 20, v22
	v_lshlrev_b32_e32 v23, 24, v26
	v_lshl_add_u32 v17, v17, 23, 0x3c000000
	v_and_b32_e32 v22, 0x700000, v22
	s_delay_alu instid0(VALU_DEP_3) | instskip(NEXT) | instid1(VALU_DEP_1)
	v_and_b32_e32 v23, 0x80000000, v23
	v_or3_b32 v17, v22, v23, v17
.LBB351_1770:                           ;   in Loop: Header=BB351_1005 Depth=1
	s_or_b32 exec_lo, exec_lo, s16
.LBB351_1771:                           ;   in Loop: Header=BB351_1005 Depth=1
	s_delay_alu instid0(SALU_CYCLE_1)
	s_or_b32 exec_lo, exec_lo, s15
.LBB351_1772:                           ;   in Loop: Header=BB351_1005 Depth=1
	s_delay_alu instid0(SALU_CYCLE_1) | instskip(SKIP_2) | instid1(VALU_DEP_1)
	s_or_b32 exec_lo, exec_lo, s14
	v_lshrrev_b16 v22, 8, v26
	s_mov_b32 s14, exec_lo
	v_cmpx_ne_u16_e32 0, v22
	s_cbranch_execz .LBB351_1780
; %bb.1773:                             ;   in Loop: Header=BB351_1005 Depth=1
	v_bfrev_b32_e32 v67, 1
	s_mov_b32 s15, exec_lo
	v_cmpx_ne_u16_e32 0x80, v22
	s_cbranch_execz .LBB351_1779
; %bb.1774:                             ;   in Loop: Header=BB351_1005 Depth=1
	v_and_b32_e32 v22, 0xffff, v22
	v_mov_b32_e32 v67, 0x7f800001
	s_mov_b32 s16, exec_lo
	s_delay_alu instid0(VALU_DEP_2) | instskip(NEXT) | instid1(VALU_DEP_1)
	v_and_b32_e32 v68, 0x7f, v22
	v_cmpx_ne_u32_e32 0x7f, v68
	s_cbranch_execz .LBB351_1778
; %bb.1775:                             ;   in Loop: Header=BB351_1005 Depth=1
	v_dual_mov_b32 v23, v27 :: v_dual_bitop2_b32 v22, 7, v22 bitop3:0x40
	v_lshrrev_b32_e32 v67, 3, v68
	s_mov_b32 s17, exec_lo
	v_cmpx_gt_u32_e32 8, v68
; %bb.1776:                             ;   in Loop: Header=BB351_1005 Depth=1
	s_delay_alu instid0(VALU_DEP_3) | instskip(NEXT) | instid1(VALU_DEP_1)
	v_clz_i32_u32_e32 v24, v22
	v_min_u32_e32 v24, 32, v24
	s_delay_alu instid0(VALU_DEP_1) | instskip(NEXT) | instid1(VALU_DEP_1)
	v_subrev_nc_u32_e32 v67, 28, v24
	v_lshlrev_b64_e32 v[22:23], v67, v[22:23]
	s_delay_alu instid0(VALU_DEP_1)
	v_dual_sub_nc_u32 v67, 29, v24 :: v_dual_bitop2_b32 v22, 7, v22 bitop3:0x40
; %bb.1777:                             ;   in Loop: Header=BB351_1005 Depth=1
	s_or_b32 exec_lo, exec_lo, s17
	v_lshlrev_b32_e32 v23, 16, v26
	s_delay_alu instid0(VALU_DEP_2) | instskip(NEXT) | instid1(VALU_DEP_3)
	v_lshlrev_b32_e32 v22, 20, v22
	v_lshl_add_u32 v24, v67, 23, 0x3c000000
	s_delay_alu instid0(VALU_DEP_3) | instskip(NEXT) | instid1(VALU_DEP_1)
	v_and_b32_e32 v23, 0x80000000, v23
	v_or3_b32 v67, v22, v23, v24
.LBB351_1778:                           ;   in Loop: Header=BB351_1005 Depth=1
	s_or_b32 exec_lo, exec_lo, s16
.LBB351_1779:                           ;   in Loop: Header=BB351_1005 Depth=1
	s_delay_alu instid0(SALU_CYCLE_1)
	s_or_b32 exec_lo, exec_lo, s15
.LBB351_1780:                           ;   in Loop: Header=BB351_1005 Depth=1
	s_delay_alu instid0(SALU_CYCLE_1) | instskip(SKIP_3) | instid1(VALU_DEP_2)
	s_or_b32 exec_lo, exec_lo, s14
	v_dual_mov_b32 v81, 0 :: v_dual_lshrrev_b32 v68, 16, v19
	v_mov_b32_e32 v22, 0
	s_mov_b32 s14, exec_lo
	v_and_b32_e32 v23, 0xff, v68
	s_delay_alu instid0(VALU_DEP_1)
	v_cmpx_ne_u16_e32 0, v23
	s_cbranch_execz .LBB351_1788
; %bb.1781:                             ;   in Loop: Header=BB351_1005 Depth=1
	v_bfrev_b32_e32 v22, 1
	s_mov_b32 s15, exec_lo
	v_cmpx_ne_u16_e32 0x80, v23
	s_cbranch_execz .LBB351_1787
; %bb.1782:                             ;   in Loop: Header=BB351_1005 Depth=1
	v_bfe_u32 v23, v19, 16, 7
	v_mov_b32_e32 v22, 0x7f800001
	s_mov_b32 s16, exec_lo
	s_delay_alu instid0(VALU_DEP_2)
	v_cmpx_ne_u32_e32 0x7f, v23
	s_cbranch_execz .LBB351_1786
; %bb.1783:                             ;   in Loop: Header=BB351_1005 Depth=1
	v_dual_lshrrev_b32 v71, 3, v23 :: v_dual_bitop2_b32 v26, 7, v68 bitop3:0x40
	v_cmp_gt_u32_e64 s0, 8, v23
	s_delay_alu instid0(VALU_DEP_2)
	v_mov_b64_e32 v[22:23], v[26:27]
	s_and_saveexec_b32 s17, s0
; %bb.1784:                             ;   in Loop: Header=BB351_1005 Depth=1
	v_clz_i32_u32_e32 v22, v26
	s_delay_alu instid0(VALU_DEP_1) | instskip(NEXT) | instid1(VALU_DEP_1)
	v_min_u32_e32 v24, 32, v22
	v_subrev_nc_u32_e32 v22, 28, v24
	s_delay_alu instid0(VALU_DEP_1) | instskip(NEXT) | instid1(VALU_DEP_1)
	v_lshlrev_b64_e32 v[22:23], v22, v[26:27]
	v_dual_sub_nc_u32 v71, 29, v24 :: v_dual_bitop2_b32 v22, 7, v22 bitop3:0x40
; %bb.1785:                             ;   in Loop: Header=BB351_1005 Depth=1
	s_or_b32 exec_lo, exec_lo, s17
	s_delay_alu instid0(VALU_DEP_1) | instskip(NEXT) | instid1(VALU_DEP_2)
	v_dual_lshlrev_b32 v23, 24, v68 :: v_dual_lshlrev_b32 v22, 20, v22
	v_lshl_add_u32 v24, v71, 23, 0x3c000000
	s_delay_alu instid0(VALU_DEP_2) | instskip(NEXT) | instid1(VALU_DEP_1)
	v_and_b32_e32 v23, 0x80000000, v23
	v_or3_b32 v22, v22, v23, v24
.LBB351_1786:                           ;   in Loop: Header=BB351_1005 Depth=1
	s_or_b32 exec_lo, exec_lo, s16
.LBB351_1787:                           ;   in Loop: Header=BB351_1005 Depth=1
	s_delay_alu instid0(SALU_CYCLE_1)
	s_or_b32 exec_lo, exec_lo, s15
.LBB351_1788:                           ;   in Loop: Header=BB351_1005 Depth=1
	s_delay_alu instid0(SALU_CYCLE_1) | instskip(NEXT) | instid1(SALU_CYCLE_1)
	s_or_b32 exec_lo, exec_lo, s14
	s_mov_b32 s14, exec_lo
	v_cmpx_lt_u64_e64 s[2:3], v[18:19]
	s_cbranch_execz .LBB351_1796
; %bb.1789:                             ;   in Loop: Header=BB351_1005 Depth=1
	v_lshrrev_b32_e32 v23, 24, v19
	v_bfrev_b32_e32 v81, 1
	s_mov_b32 s15, exec_lo
	s_delay_alu instid0(VALU_DEP_2)
	v_cmpx_ne_u32_e32 0x80, v23
	s_cbranch_execz .LBB351_1795
; %bb.1790:                             ;   in Loop: Header=BB351_1005 Depth=1
	v_bfe_u32 v18, v19, 24, 7
	v_mov_b32_e32 v81, 0x7f800001
	s_mov_b32 s16, exec_lo
	s_delay_alu instid0(VALU_DEP_2)
	v_cmpx_ne_u32_e32 0x7f, v18
	s_cbranch_execz .LBB351_1794
; %bb.1791:                             ;   in Loop: Header=BB351_1005 Depth=1
	v_dual_lshrrev_b32 v68, 3, v18 :: v_dual_bitop2_b32 v26, 7, v23 bitop3:0x40
	v_cmp_gt_u32_e64 s0, 8, v18
	s_delay_alu instid0(VALU_DEP_2)
	v_mov_b64_e32 v[18:19], v[26:27]
	s_and_saveexec_b32 s17, s0
; %bb.1792:                             ;   in Loop: Header=BB351_1005 Depth=1
	v_clz_i32_u32_e32 v18, v26
	s_delay_alu instid0(VALU_DEP_1) | instskip(NEXT) | instid1(VALU_DEP_1)
	v_min_u32_e32 v24, 32, v18
	v_subrev_nc_u32_e32 v18, 28, v24
	s_delay_alu instid0(VALU_DEP_1) | instskip(NEXT) | instid1(VALU_DEP_1)
	v_lshlrev_b64_e32 v[18:19], v18, v[26:27]
	v_dual_sub_nc_u32 v68, 29, v24 :: v_dual_bitop2_b32 v18, 7, v18 bitop3:0x40
; %bb.1793:                             ;   in Loop: Header=BB351_1005 Depth=1
	s_or_b32 exec_lo, exec_lo, s17
	s_delay_alu instid0(VALU_DEP_1) | instskip(NEXT) | instid1(VALU_DEP_2)
	v_dual_lshlrev_b32 v19, 24, v23 :: v_dual_lshlrev_b32 v18, 20, v18
	v_lshl_add_u32 v23, v68, 23, 0x3c000000
	s_delay_alu instid0(VALU_DEP_2) | instskip(NEXT) | instid1(VALU_DEP_1)
	v_and_b32_e32 v19, 0x80000000, v19
	v_or3_b32 v81, v18, v19, v23
.LBB351_1794:                           ;   in Loop: Header=BB351_1005 Depth=1
	s_or_b32 exec_lo, exec_lo, s16
.LBB351_1795:                           ;   in Loop: Header=BB351_1005 Depth=1
	s_delay_alu instid0(SALU_CYCLE_1)
	s_or_b32 exec_lo, exec_lo, s15
.LBB351_1796:                           ;   in Loop: Header=BB351_1005 Depth=1
	s_delay_alu instid0(SALU_CYCLE_1)
	s_or_b32 exec_lo, exec_lo, s14
	v_fma_mixlo_bf16 v67, v25, v67, 0
	v_fma_mixlo_bf16 v68, v25, v17, 0
	;; [unrolled: 1-line block ×8, first 2 shown]
	s_and_saveexec_b32 s14, vcc_lo
	s_cbranch_execz .LBB351_1798
; %bb.1797:                             ;   in Loop: Header=BB351_1005 Depth=1
	v_cmp_lt_i32_e64 s0, v85, v16
	s_delay_alu instid0(VALU_DEP_1) | instskip(SKIP_1) | instid1(VALU_DEP_1)
	v_cndmask_b32_e64 v80, 0, v80, s0
	v_cmp_lt_i32_e64 s0, v97, v16
	v_cndmask_b32_e64 v71, 0, v71, s0
	v_cmp_lt_i32_e64 s0, v96, v16
	s_delay_alu instid0(VALU_DEP_1) | instskip(SKIP_1) | instid1(VALU_DEP_1)
	v_cndmask_b32_e64 v70, 0, v70, s0
	v_cmp_lt_i32_e64 s0, v87, v16
	v_cndmask_b32_e64 v69, 0, v69, s0
	;; [unrolled: 5-line block ×4, first 2 shown]
.LBB351_1798:                           ;   in Loop: Header=BB351_1005 Depth=1
	s_or_b32 exec_lo, exec_lo, s14
	flat_load_b64 v[18:19], v[0:1] offset:3072
	v_dual_mov_b32 v98, 0 :: v_dual_mov_b32 v81, 0
	s_mov_b32 s14, exec_lo
	s_wait_loadcnt_dscnt 0x0
	v_and_b32_e32 v17, 0xff, v18
	s_wait_xcnt 0x0
	s_delay_alu instid0(VALU_DEP_1)
	v_cmpx_ne_u16_e32 0, v17
	s_cbranch_execz .LBB351_1806
; %bb.1799:                             ;   in Loop: Header=BB351_1005 Depth=1
	v_bfrev_b32_e32 v81, 1
	s_mov_b32 s15, exec_lo
	v_cmpx_ne_u16_e32 0x80, v17
	s_cbranch_execz .LBB351_1805
; %bb.1800:                             ;   in Loop: Header=BB351_1005 Depth=1
	v_and_b32_e32 v22, 0x7f, v18
	v_mov_b32_e32 v81, 0x7f800001
	s_mov_b32 s16, exec_lo
	s_delay_alu instid0(VALU_DEP_2)
	v_cmpx_ne_u32_e32 0x7f, v22
	s_cbranch_execz .LBB351_1804
; %bb.1801:                             ;   in Loop: Header=BB351_1005 Depth=1
	v_lshrrev_b32_e32 v17, 3, v22
	v_cmp_gt_u32_e64 s0, 8, v22
	v_mov_b64_e32 v[22:23], v[18:19]
	s_and_saveexec_b32 s17, s0
; %bb.1802:                             ;   in Loop: Header=BB351_1005 Depth=1
	v_and_b32_e32 v17, 7, v18
	s_delay_alu instid0(VALU_DEP_1) | instskip(NEXT) | instid1(VALU_DEP_1)
	v_clz_i32_u32_e32 v17, v17
	v_min_u32_e32 v17, 32, v17
	s_delay_alu instid0(VALU_DEP_1) | instskip(SKIP_1) | instid1(VALU_DEP_2)
	v_subrev_nc_u32_e32 v22, 28, v17
	v_sub_nc_u32_e32 v17, 29, v17
	v_lshlrev_b64_e32 v[22:23], v22, v[18:19]
; %bb.1803:                             ;   in Loop: Header=BB351_1005 Depth=1
	s_or_b32 exec_lo, exec_lo, s17
	s_delay_alu instid0(VALU_DEP_1) | instskip(SKIP_2) | instid1(VALU_DEP_3)
	v_lshlrev_b32_e32 v22, 20, v22
	v_lshlrev_b32_e32 v23, 24, v18
	v_lshl_add_u32 v17, v17, 23, 0x3c000000
	v_and_b32_e32 v22, 0x700000, v22
	s_delay_alu instid0(VALU_DEP_3) | instskip(NEXT) | instid1(VALU_DEP_1)
	v_and_b32_e32 v23, 0x80000000, v23
	v_or3_b32 v81, v22, v23, v17
.LBB351_1804:                           ;   in Loop: Header=BB351_1005 Depth=1
	s_or_b32 exec_lo, exec_lo, s16
.LBB351_1805:                           ;   in Loop: Header=BB351_1005 Depth=1
	s_delay_alu instid0(SALU_CYCLE_1)
	s_or_b32 exec_lo, exec_lo, s15
.LBB351_1806:                           ;   in Loop: Header=BB351_1005 Depth=1
	s_delay_alu instid0(SALU_CYCLE_1) | instskip(SKIP_2) | instid1(VALU_DEP_1)
	s_or_b32 exec_lo, exec_lo, s14
	v_lshrrev_b16 v17, 8, v18
	s_mov_b32 s14, exec_lo
	v_cmpx_ne_u16_e32 0, v17
	s_cbranch_execz .LBB351_1814
; %bb.1807:                             ;   in Loop: Header=BB351_1005 Depth=1
	v_bfrev_b32_e32 v98, 1
	s_mov_b32 s15, exec_lo
	v_cmpx_ne_u16_e32 0x80, v17
	s_cbranch_execz .LBB351_1813
; %bb.1808:                             ;   in Loop: Header=BB351_1005 Depth=1
	v_and_b32_e32 v17, 0xffff, v17
	v_mov_b32_e32 v98, 0x7f800001
	s_mov_b32 s16, exec_lo
	s_delay_alu instid0(VALU_DEP_2) | instskip(NEXT) | instid1(VALU_DEP_1)
	v_and_b32_e32 v22, 0x7f, v17
	v_cmpx_ne_u32_e32 0x7f, v22
	s_cbranch_execz .LBB351_1812
; %bb.1809:                             ;   in Loop: Header=BB351_1005 Depth=1
	v_dual_lshrrev_b32 v17, 3, v22 :: v_dual_bitop2_b32 v26, 7, v17 bitop3:0x40
	v_cmp_gt_u32_e64 s0, 8, v22
	s_delay_alu instid0(VALU_DEP_2)
	v_mov_b64_e32 v[22:23], v[26:27]
	s_and_saveexec_b32 s17, s0
; %bb.1810:                             ;   in Loop: Header=BB351_1005 Depth=1
	v_clz_i32_u32_e32 v17, v26
	s_delay_alu instid0(VALU_DEP_1) | instskip(NEXT) | instid1(VALU_DEP_1)
	v_min_u32_e32 v17, 32, v17
	v_subrev_nc_u32_e32 v22, 28, v17
	s_delay_alu instid0(VALU_DEP_1) | instskip(NEXT) | instid1(VALU_DEP_1)
	v_lshlrev_b64_e32 v[22:23], v22, v[26:27]
	v_dual_sub_nc_u32 v17, 29, v17 :: v_dual_bitop2_b32 v22, 7, v22 bitop3:0x40
; %bb.1811:                             ;   in Loop: Header=BB351_1005 Depth=1
	s_or_b32 exec_lo, exec_lo, s17
	v_lshlrev_b32_e32 v23, 16, v18
	s_delay_alu instid0(VALU_DEP_2) | instskip(NEXT) | instid1(VALU_DEP_3)
	v_lshlrev_b32_e32 v22, 20, v22
	v_lshl_add_u32 v17, v17, 23, 0x3c000000
	s_delay_alu instid0(VALU_DEP_3) | instskip(NEXT) | instid1(VALU_DEP_1)
	v_and_b32_e32 v23, 0x80000000, v23
	v_or3_b32 v98, v22, v23, v17
.LBB351_1812:                           ;   in Loop: Header=BB351_1005 Depth=1
	s_or_b32 exec_lo, exec_lo, s16
.LBB351_1813:                           ;   in Loop: Header=BB351_1005 Depth=1
	s_delay_alu instid0(SALU_CYCLE_1)
	s_or_b32 exec_lo, exec_lo, s15
.LBB351_1814:                           ;   in Loop: Header=BB351_1005 Depth=1
	s_delay_alu instid0(SALU_CYCLE_1) | instskip(SKIP_3) | instid1(VALU_DEP_2)
	s_or_b32 exec_lo, exec_lo, s14
	v_dual_lshrrev_b32 v17, 16, v18 :: v_dual_mov_b32 v101, 0
	v_mov_b32_e32 v102, 0
	s_mov_b32 s14, exec_lo
	v_and_b32_e32 v22, 0xff, v17
	s_delay_alu instid0(VALU_DEP_1)
	v_cmpx_ne_u16_e32 0, v22
	s_cbranch_execz .LBB351_1822
; %bb.1815:                             ;   in Loop: Header=BB351_1005 Depth=1
	v_bfrev_b32_e32 v102, 1
	s_mov_b32 s15, exec_lo
	v_cmpx_ne_u16_e32 0x80, v22
	s_cbranch_execz .LBB351_1821
; %bb.1816:                             ;   in Loop: Header=BB351_1005 Depth=1
	v_bfe_u32 v22, v18, 16, 7
	v_mov_b32_e32 v102, 0x7f800001
	s_mov_b32 s16, exec_lo
	s_delay_alu instid0(VALU_DEP_2)
	v_cmpx_ne_u32_e32 0x7f, v22
	s_cbranch_execz .LBB351_1820
; %bb.1817:                             ;   in Loop: Header=BB351_1005 Depth=1
	v_dual_lshrrev_b32 v99, 3, v22 :: v_dual_bitop2_b32 v26, 7, v17 bitop3:0x40
	v_cmp_gt_u32_e64 s0, 8, v22
	s_delay_alu instid0(VALU_DEP_2)
	v_mov_b64_e32 v[22:23], v[26:27]
	s_and_saveexec_b32 s17, s0
; %bb.1818:                             ;   in Loop: Header=BB351_1005 Depth=1
	v_clz_i32_u32_e32 v22, v26
	s_delay_alu instid0(VALU_DEP_1) | instskip(NEXT) | instid1(VALU_DEP_1)
	v_min_u32_e32 v24, 32, v22
	v_subrev_nc_u32_e32 v22, 28, v24
	s_delay_alu instid0(VALU_DEP_1) | instskip(NEXT) | instid1(VALU_DEP_1)
	v_lshlrev_b64_e32 v[22:23], v22, v[26:27]
	v_dual_sub_nc_u32 v99, 29, v24 :: v_dual_bitop2_b32 v22, 7, v22 bitop3:0x40
; %bb.1819:                             ;   in Loop: Header=BB351_1005 Depth=1
	s_or_b32 exec_lo, exec_lo, s17
	s_delay_alu instid0(VALU_DEP_1) | instskip(NEXT) | instid1(VALU_DEP_2)
	v_dual_lshlrev_b32 v17, 24, v17 :: v_dual_lshlrev_b32 v22, 20, v22
	v_lshl_add_u32 v23, v99, 23, 0x3c000000
	s_delay_alu instid0(VALU_DEP_2) | instskip(NEXT) | instid1(VALU_DEP_1)
	v_and_b32_e32 v17, 0x80000000, v17
	v_or3_b32 v102, v22, v17, v23
.LBB351_1820:                           ;   in Loop: Header=BB351_1005 Depth=1
	s_or_b32 exec_lo, exec_lo, s16
.LBB351_1821:                           ;   in Loop: Header=BB351_1005 Depth=1
	s_delay_alu instid0(SALU_CYCLE_1)
	s_or_b32 exec_lo, exec_lo, s15
.LBB351_1822:                           ;   in Loop: Header=BB351_1005 Depth=1
	s_delay_alu instid0(SALU_CYCLE_1) | instskip(NEXT) | instid1(SALU_CYCLE_1)
	s_or_b32 exec_lo, exec_lo, s14
	s_mov_b32 s14, exec_lo
	v_cmpx_lt_u32_e32 0xffffff, v18
	s_cbranch_execz .LBB351_1830
; %bb.1823:                             ;   in Loop: Header=BB351_1005 Depth=1
	v_lshrrev_b32_e32 v17, 24, v18
	v_bfrev_b32_e32 v101, 1
	s_mov_b32 s15, exec_lo
	s_delay_alu instid0(VALU_DEP_2)
	v_cmpx_ne_u32_e32 0x80, v17
	s_cbranch_execz .LBB351_1829
; %bb.1824:                             ;   in Loop: Header=BB351_1005 Depth=1
	v_bfe_u32 v22, v18, 24, 7
	v_mov_b32_e32 v101, 0x7f800001
	s_mov_b32 s16, exec_lo
	s_delay_alu instid0(VALU_DEP_2)
	v_cmpx_ne_u32_e32 0x7f, v22
	s_cbranch_execz .LBB351_1828
; %bb.1825:                             ;   in Loop: Header=BB351_1005 Depth=1
	v_dual_lshrrev_b32 v99, 3, v22 :: v_dual_bitop2_b32 v26, 7, v17 bitop3:0x40
	v_cmp_gt_u32_e64 s0, 8, v22
	s_delay_alu instid0(VALU_DEP_2)
	v_mov_b64_e32 v[22:23], v[26:27]
	s_and_saveexec_b32 s17, s0
; %bb.1826:                             ;   in Loop: Header=BB351_1005 Depth=1
	v_clz_i32_u32_e32 v22, v26
	s_delay_alu instid0(VALU_DEP_1) | instskip(NEXT) | instid1(VALU_DEP_1)
	v_min_u32_e32 v24, 32, v22
	v_subrev_nc_u32_e32 v22, 28, v24
	s_delay_alu instid0(VALU_DEP_1) | instskip(NEXT) | instid1(VALU_DEP_1)
	v_lshlrev_b64_e32 v[22:23], v22, v[26:27]
	v_dual_sub_nc_u32 v99, 29, v24 :: v_dual_bitop2_b32 v22, 7, v22 bitop3:0x40
; %bb.1827:                             ;   in Loop: Header=BB351_1005 Depth=1
	s_or_b32 exec_lo, exec_lo, s17
	s_delay_alu instid0(VALU_DEP_1) | instskip(NEXT) | instid1(VALU_DEP_2)
	v_dual_lshlrev_b32 v17, 24, v17 :: v_dual_lshlrev_b32 v22, 20, v22
	v_lshl_add_u32 v23, v99, 23, 0x3c000000
	s_delay_alu instid0(VALU_DEP_2) | instskip(NEXT) | instid1(VALU_DEP_1)
	v_and_b32_e32 v17, 0x80000000, v17
	v_or3_b32 v101, v22, v17, v23
.LBB351_1828:                           ;   in Loop: Header=BB351_1005 Depth=1
	s_or_b32 exec_lo, exec_lo, s16
.LBB351_1829:                           ;   in Loop: Header=BB351_1005 Depth=1
	s_delay_alu instid0(SALU_CYCLE_1)
	s_or_b32 exec_lo, exec_lo, s15
.LBB351_1830:                           ;   in Loop: Header=BB351_1005 Depth=1
	s_delay_alu instid0(SALU_CYCLE_1) | instskip(SKIP_4) | instid1(VALU_DEP_3)
	s_or_b32 exec_lo, exec_lo, s14
	v_and_b32_e32 v22, 0xff, v19
	v_dual_mov_b32 v26, v19 :: v_dual_mov_b32 v99, 0
	v_mov_b32_e32 v17, 0
	s_mov_b32 s14, exec_lo
	v_cmpx_ne_u16_e32 0, v22
	s_cbranch_execz .LBB351_1838
; %bb.1831:                             ;   in Loop: Header=BB351_1005 Depth=1
	v_bfrev_b32_e32 v17, 1
	s_mov_b32 s15, exec_lo
	v_cmpx_ne_u16_e32 0x80, v22
	s_cbranch_execz .LBB351_1837
; %bb.1832:                             ;   in Loop: Header=BB351_1005 Depth=1
	v_and_b32_e32 v22, 0x7f, v19
	v_mov_b32_e32 v17, 0x7f800001
	s_mov_b32 s16, exec_lo
	s_delay_alu instid0(VALU_DEP_2)
	v_cmpx_ne_u32_e32 0x7f, v22
	s_cbranch_execz .LBB351_1836
; %bb.1833:                             ;   in Loop: Header=BB351_1005 Depth=1
	v_lshrrev_b32_e32 v17, 3, v22
	v_cmp_gt_u32_e64 s0, 8, v22
	v_mov_b64_e32 v[22:23], v[26:27]
	s_and_saveexec_b32 s17, s0
; %bb.1834:                             ;   in Loop: Header=BB351_1005 Depth=1
	v_and_b32_e32 v17, 7, v19
	s_delay_alu instid0(VALU_DEP_1) | instskip(NEXT) | instid1(VALU_DEP_1)
	v_clz_i32_u32_e32 v17, v17
	v_min_u32_e32 v17, 32, v17
	s_delay_alu instid0(VALU_DEP_1) | instskip(SKIP_1) | instid1(VALU_DEP_2)
	v_subrev_nc_u32_e32 v22, 28, v17
	v_sub_nc_u32_e32 v17, 29, v17
	v_lshlrev_b64_e32 v[22:23], v22, v[26:27]
; %bb.1835:                             ;   in Loop: Header=BB351_1005 Depth=1
	s_or_b32 exec_lo, exec_lo, s17
	s_delay_alu instid0(VALU_DEP_1) | instskip(SKIP_2) | instid1(VALU_DEP_3)
	v_lshlrev_b32_e32 v22, 20, v22
	v_lshlrev_b32_e32 v23, 24, v26
	v_lshl_add_u32 v17, v17, 23, 0x3c000000
	v_and_b32_e32 v22, 0x700000, v22
	s_delay_alu instid0(VALU_DEP_3) | instskip(NEXT) | instid1(VALU_DEP_1)
	v_and_b32_e32 v23, 0x80000000, v23
	v_or3_b32 v17, v22, v23, v17
.LBB351_1836:                           ;   in Loop: Header=BB351_1005 Depth=1
	s_or_b32 exec_lo, exec_lo, s16
.LBB351_1837:                           ;   in Loop: Header=BB351_1005 Depth=1
	s_delay_alu instid0(SALU_CYCLE_1)
	s_or_b32 exec_lo, exec_lo, s15
.LBB351_1838:                           ;   in Loop: Header=BB351_1005 Depth=1
	s_delay_alu instid0(SALU_CYCLE_1) | instskip(SKIP_2) | instid1(VALU_DEP_1)
	s_or_b32 exec_lo, exec_lo, s14
	v_lshrrev_b16 v22, 8, v26
	s_mov_b32 s14, exec_lo
	v_cmpx_ne_u16_e32 0, v22
	s_cbranch_execz .LBB351_1846
; %bb.1839:                             ;   in Loop: Header=BB351_1005 Depth=1
	v_bfrev_b32_e32 v99, 1
	s_mov_b32 s15, exec_lo
	v_cmpx_ne_u16_e32 0x80, v22
	s_cbranch_execz .LBB351_1845
; %bb.1840:                             ;   in Loop: Header=BB351_1005 Depth=1
	v_and_b32_e32 v22, 0xffff, v22
	v_mov_b32_e32 v99, 0x7f800001
	s_mov_b32 s16, exec_lo
	s_delay_alu instid0(VALU_DEP_2) | instskip(NEXT) | instid1(VALU_DEP_1)
	v_and_b32_e32 v100, 0x7f, v22
	v_cmpx_ne_u32_e32 0x7f, v100
	s_cbranch_execz .LBB351_1844
; %bb.1841:                             ;   in Loop: Header=BB351_1005 Depth=1
	v_dual_mov_b32 v23, v27 :: v_dual_bitop2_b32 v22, 7, v22 bitop3:0x40
	v_lshrrev_b32_e32 v99, 3, v100
	s_mov_b32 s17, exec_lo
	v_cmpx_gt_u32_e32 8, v100
; %bb.1842:                             ;   in Loop: Header=BB351_1005 Depth=1
	s_delay_alu instid0(VALU_DEP_3) | instskip(NEXT) | instid1(VALU_DEP_1)
	v_clz_i32_u32_e32 v24, v22
	v_min_u32_e32 v24, 32, v24
	s_delay_alu instid0(VALU_DEP_1) | instskip(NEXT) | instid1(VALU_DEP_1)
	v_subrev_nc_u32_e32 v99, 28, v24
	v_lshlrev_b64_e32 v[22:23], v99, v[22:23]
	s_delay_alu instid0(VALU_DEP_1)
	v_dual_sub_nc_u32 v99, 29, v24 :: v_dual_bitop2_b32 v22, 7, v22 bitop3:0x40
; %bb.1843:                             ;   in Loop: Header=BB351_1005 Depth=1
	s_or_b32 exec_lo, exec_lo, s17
	v_lshlrev_b32_e32 v23, 16, v26
	s_delay_alu instid0(VALU_DEP_2) | instskip(NEXT) | instid1(VALU_DEP_3)
	v_lshlrev_b32_e32 v22, 20, v22
	v_lshl_add_u32 v24, v99, 23, 0x3c000000
	s_delay_alu instid0(VALU_DEP_3) | instskip(NEXT) | instid1(VALU_DEP_1)
	v_and_b32_e32 v23, 0x80000000, v23
	v_or3_b32 v99, v22, v23, v24
.LBB351_1844:                           ;   in Loop: Header=BB351_1005 Depth=1
	s_or_b32 exec_lo, exec_lo, s16
.LBB351_1845:                           ;   in Loop: Header=BB351_1005 Depth=1
	s_delay_alu instid0(SALU_CYCLE_1)
	s_or_b32 exec_lo, exec_lo, s15
.LBB351_1846:                           ;   in Loop: Header=BB351_1005 Depth=1
	s_delay_alu instid0(SALU_CYCLE_1) | instskip(SKIP_3) | instid1(VALU_DEP_2)
	s_or_b32 exec_lo, exec_lo, s14
	v_dual_mov_b32 v113, 0 :: v_dual_lshrrev_b32 v100, 16, v19
	v_mov_b32_e32 v22, 0
	s_mov_b32 s14, exec_lo
	v_and_b32_e32 v23, 0xff, v100
	s_delay_alu instid0(VALU_DEP_1)
	v_cmpx_ne_u16_e32 0, v23
	s_cbranch_execz .LBB351_1854
; %bb.1847:                             ;   in Loop: Header=BB351_1005 Depth=1
	v_bfrev_b32_e32 v22, 1
	s_mov_b32 s15, exec_lo
	v_cmpx_ne_u16_e32 0x80, v23
	s_cbranch_execz .LBB351_1853
; %bb.1848:                             ;   in Loop: Header=BB351_1005 Depth=1
	v_bfe_u32 v23, v19, 16, 7
	v_mov_b32_e32 v22, 0x7f800001
	s_mov_b32 s16, exec_lo
	s_delay_alu instid0(VALU_DEP_2)
	v_cmpx_ne_u32_e32 0x7f, v23
	s_cbranch_execz .LBB351_1852
; %bb.1849:                             ;   in Loop: Header=BB351_1005 Depth=1
	v_dual_lshrrev_b32 v103, 3, v23 :: v_dual_bitop2_b32 v26, 7, v100 bitop3:0x40
	v_cmp_gt_u32_e64 s0, 8, v23
	s_delay_alu instid0(VALU_DEP_2)
	v_mov_b64_e32 v[22:23], v[26:27]
	s_and_saveexec_b32 s17, s0
; %bb.1850:                             ;   in Loop: Header=BB351_1005 Depth=1
	v_clz_i32_u32_e32 v22, v26
	s_delay_alu instid0(VALU_DEP_1) | instskip(NEXT) | instid1(VALU_DEP_1)
	v_min_u32_e32 v24, 32, v22
	v_subrev_nc_u32_e32 v22, 28, v24
	s_delay_alu instid0(VALU_DEP_1) | instskip(NEXT) | instid1(VALU_DEP_1)
	v_lshlrev_b64_e32 v[22:23], v22, v[26:27]
	v_dual_sub_nc_u32 v103, 29, v24 :: v_dual_bitop2_b32 v22, 7, v22 bitop3:0x40
; %bb.1851:                             ;   in Loop: Header=BB351_1005 Depth=1
	s_or_b32 exec_lo, exec_lo, s17
	s_delay_alu instid0(VALU_DEP_1) | instskip(NEXT) | instid1(VALU_DEP_2)
	v_dual_lshlrev_b32 v23, 24, v100 :: v_dual_lshlrev_b32 v22, 20, v22
	v_lshl_add_u32 v24, v103, 23, 0x3c000000
	s_delay_alu instid0(VALU_DEP_2) | instskip(NEXT) | instid1(VALU_DEP_1)
	v_and_b32_e32 v23, 0x80000000, v23
	v_or3_b32 v22, v22, v23, v24
.LBB351_1852:                           ;   in Loop: Header=BB351_1005 Depth=1
	s_or_b32 exec_lo, exec_lo, s16
.LBB351_1853:                           ;   in Loop: Header=BB351_1005 Depth=1
	s_delay_alu instid0(SALU_CYCLE_1)
	s_or_b32 exec_lo, exec_lo, s15
.LBB351_1854:                           ;   in Loop: Header=BB351_1005 Depth=1
	s_delay_alu instid0(SALU_CYCLE_1) | instskip(NEXT) | instid1(SALU_CYCLE_1)
	s_or_b32 exec_lo, exec_lo, s14
	s_mov_b32 s14, exec_lo
	v_cmpx_lt_u64_e64 s[2:3], v[18:19]
	s_cbranch_execz .LBB351_1862
; %bb.1855:                             ;   in Loop: Header=BB351_1005 Depth=1
	v_lshrrev_b32_e32 v23, 24, v19
	v_bfrev_b32_e32 v113, 1
	s_mov_b32 s15, exec_lo
	s_delay_alu instid0(VALU_DEP_2)
	v_cmpx_ne_u32_e32 0x80, v23
	s_cbranch_execz .LBB351_1861
; %bb.1856:                             ;   in Loop: Header=BB351_1005 Depth=1
	v_bfe_u32 v18, v19, 24, 7
	v_mov_b32_e32 v113, 0x7f800001
	s_mov_b32 s16, exec_lo
	s_delay_alu instid0(VALU_DEP_2)
	v_cmpx_ne_u32_e32 0x7f, v18
	s_cbranch_execz .LBB351_1860
; %bb.1857:                             ;   in Loop: Header=BB351_1005 Depth=1
	v_dual_lshrrev_b32 v100, 3, v18 :: v_dual_bitop2_b32 v26, 7, v23 bitop3:0x40
	v_cmp_gt_u32_e64 s0, 8, v18
	s_delay_alu instid0(VALU_DEP_2)
	v_mov_b64_e32 v[18:19], v[26:27]
	s_and_saveexec_b32 s17, s0
; %bb.1858:                             ;   in Loop: Header=BB351_1005 Depth=1
	v_clz_i32_u32_e32 v18, v26
	s_delay_alu instid0(VALU_DEP_1) | instskip(NEXT) | instid1(VALU_DEP_1)
	v_min_u32_e32 v24, 32, v18
	v_subrev_nc_u32_e32 v18, 28, v24
	s_delay_alu instid0(VALU_DEP_1) | instskip(NEXT) | instid1(VALU_DEP_1)
	v_lshlrev_b64_e32 v[18:19], v18, v[26:27]
	v_dual_sub_nc_u32 v100, 29, v24 :: v_dual_bitop2_b32 v18, 7, v18 bitop3:0x40
; %bb.1859:                             ;   in Loop: Header=BB351_1005 Depth=1
	s_or_b32 exec_lo, exec_lo, s17
	s_delay_alu instid0(VALU_DEP_1) | instskip(NEXT) | instid1(VALU_DEP_2)
	v_dual_lshlrev_b32 v19, 24, v23 :: v_dual_lshlrev_b32 v18, 20, v18
	v_lshl_add_u32 v23, v100, 23, 0x3c000000
	s_delay_alu instid0(VALU_DEP_2) | instskip(NEXT) | instid1(VALU_DEP_1)
	v_and_b32_e32 v19, 0x80000000, v19
	v_or3_b32 v113, v18, v19, v23
.LBB351_1860:                           ;   in Loop: Header=BB351_1005 Depth=1
	s_or_b32 exec_lo, exec_lo, s16
.LBB351_1861:                           ;   in Loop: Header=BB351_1005 Depth=1
	s_delay_alu instid0(SALU_CYCLE_1)
	s_or_b32 exec_lo, exec_lo, s15
.LBB351_1862:                           ;   in Loop: Header=BB351_1005 Depth=1
	s_delay_alu instid0(SALU_CYCLE_1)
	s_or_b32 exec_lo, exec_lo, s14
	v_fma_mixlo_bf16 v99, v25, v99, 0
	v_fma_mixlo_bf16 v100, v25, v17, 0
	;; [unrolled: 1-line block ×8, first 2 shown]
	s_and_saveexec_b32 s14, vcc_lo
	s_cbranch_execz .LBB351_1864
; %bb.1863:                             ;   in Loop: Header=BB351_1005 Depth=1
	v_cmp_lt_i32_e64 s0, v85, v16
	s_delay_alu instid0(VALU_DEP_1) | instskip(SKIP_1) | instid1(VALU_DEP_1)
	v_cndmask_b32_e64 v112, 0, v112, s0
	v_cmp_lt_i32_e64 s0, v97, v16
	v_cndmask_b32_e64 v103, 0, v103, s0
	v_cmp_lt_i32_e64 s0, v96, v16
	s_delay_alu instid0(VALU_DEP_1) | instskip(SKIP_1) | instid1(VALU_DEP_1)
	v_cndmask_b32_e64 v102, 0, v102, s0
	v_cmp_lt_i32_e64 s0, v87, v16
	v_cndmask_b32_e64 v101, 0, v101, s0
	;; [unrolled: 5-line block ×4, first 2 shown]
.LBB351_1864:                           ;   in Loop: Header=BB351_1005 Depth=1
	s_or_b32 exec_lo, exec_lo, s14
	flat_load_b64 v[18:19], v[0:1] offset:3328
	v_dual_mov_b32 v117, 0 :: v_dual_mov_b32 v118, 0
	s_mov_b32 s14, exec_lo
	s_wait_loadcnt_dscnt 0x0
	v_and_b32_e32 v17, 0xff, v18
	s_wait_xcnt 0x0
	s_delay_alu instid0(VALU_DEP_1)
	v_cmpx_ne_u16_e32 0, v17
	s_cbranch_execz .LBB351_1872
; %bb.1865:                             ;   in Loop: Header=BB351_1005 Depth=1
	v_bfrev_b32_e32 v118, 1
	s_mov_b32 s15, exec_lo
	v_cmpx_ne_u16_e32 0x80, v17
	s_cbranch_execz .LBB351_1871
; %bb.1866:                             ;   in Loop: Header=BB351_1005 Depth=1
	v_and_b32_e32 v22, 0x7f, v18
	v_mov_b32_e32 v118, 0x7f800001
	s_mov_b32 s16, exec_lo
	s_delay_alu instid0(VALU_DEP_2)
	v_cmpx_ne_u32_e32 0x7f, v22
	s_cbranch_execz .LBB351_1870
; %bb.1867:                             ;   in Loop: Header=BB351_1005 Depth=1
	v_lshrrev_b32_e32 v17, 3, v22
	v_cmp_gt_u32_e64 s0, 8, v22
	v_mov_b64_e32 v[22:23], v[18:19]
	s_and_saveexec_b32 s17, s0
; %bb.1868:                             ;   in Loop: Header=BB351_1005 Depth=1
	v_and_b32_e32 v17, 7, v18
	s_delay_alu instid0(VALU_DEP_1) | instskip(NEXT) | instid1(VALU_DEP_1)
	v_clz_i32_u32_e32 v17, v17
	v_min_u32_e32 v17, 32, v17
	s_delay_alu instid0(VALU_DEP_1) | instskip(SKIP_1) | instid1(VALU_DEP_2)
	v_subrev_nc_u32_e32 v22, 28, v17
	v_sub_nc_u32_e32 v17, 29, v17
	v_lshlrev_b64_e32 v[22:23], v22, v[18:19]
; %bb.1869:                             ;   in Loop: Header=BB351_1005 Depth=1
	s_or_b32 exec_lo, exec_lo, s17
	s_delay_alu instid0(VALU_DEP_1) | instskip(SKIP_2) | instid1(VALU_DEP_3)
	v_lshlrev_b32_e32 v22, 20, v22
	v_lshlrev_b32_e32 v23, 24, v18
	v_lshl_add_u32 v17, v17, 23, 0x3c000000
	v_and_b32_e32 v22, 0x700000, v22
	s_delay_alu instid0(VALU_DEP_3) | instskip(NEXT) | instid1(VALU_DEP_1)
	v_and_b32_e32 v23, 0x80000000, v23
	v_or3_b32 v118, v22, v23, v17
.LBB351_1870:                           ;   in Loop: Header=BB351_1005 Depth=1
	s_or_b32 exec_lo, exec_lo, s16
.LBB351_1871:                           ;   in Loop: Header=BB351_1005 Depth=1
	s_delay_alu instid0(SALU_CYCLE_1)
	s_or_b32 exec_lo, exec_lo, s15
.LBB351_1872:                           ;   in Loop: Header=BB351_1005 Depth=1
	s_delay_alu instid0(SALU_CYCLE_1) | instskip(SKIP_2) | instid1(VALU_DEP_1)
	s_or_b32 exec_lo, exec_lo, s14
	v_lshrrev_b16 v17, 8, v18
	s_mov_b32 s14, exec_lo
	v_cmpx_ne_u16_e32 0, v17
	s_cbranch_execz .LBB351_1880
; %bb.1873:                             ;   in Loop: Header=BB351_1005 Depth=1
	v_bfrev_b32_e32 v117, 1
	s_mov_b32 s15, exec_lo
	v_cmpx_ne_u16_e32 0x80, v17
	s_cbranch_execz .LBB351_1879
; %bb.1874:                             ;   in Loop: Header=BB351_1005 Depth=1
	v_and_b32_e32 v17, 0xffff, v17
	v_mov_b32_e32 v117, 0x7f800001
	s_mov_b32 s16, exec_lo
	s_delay_alu instid0(VALU_DEP_2) | instskip(NEXT) | instid1(VALU_DEP_1)
	v_and_b32_e32 v22, 0x7f, v17
	v_cmpx_ne_u32_e32 0x7f, v22
	s_cbranch_execz .LBB351_1878
; %bb.1875:                             ;   in Loop: Header=BB351_1005 Depth=1
	v_dual_lshrrev_b32 v17, 3, v22 :: v_dual_bitop2_b32 v26, 7, v17 bitop3:0x40
	v_cmp_gt_u32_e64 s0, 8, v22
	s_delay_alu instid0(VALU_DEP_2)
	v_mov_b64_e32 v[22:23], v[26:27]
	s_and_saveexec_b32 s17, s0
; %bb.1876:                             ;   in Loop: Header=BB351_1005 Depth=1
	v_clz_i32_u32_e32 v17, v26
	s_delay_alu instid0(VALU_DEP_1) | instskip(NEXT) | instid1(VALU_DEP_1)
	v_min_u32_e32 v17, 32, v17
	v_subrev_nc_u32_e32 v22, 28, v17
	s_delay_alu instid0(VALU_DEP_1) | instskip(NEXT) | instid1(VALU_DEP_1)
	v_lshlrev_b64_e32 v[22:23], v22, v[26:27]
	v_dual_sub_nc_u32 v17, 29, v17 :: v_dual_bitop2_b32 v22, 7, v22 bitop3:0x40
; %bb.1877:                             ;   in Loop: Header=BB351_1005 Depth=1
	s_or_b32 exec_lo, exec_lo, s17
	v_lshlrev_b32_e32 v23, 16, v18
	s_delay_alu instid0(VALU_DEP_2) | instskip(NEXT) | instid1(VALU_DEP_3)
	v_lshlrev_b32_e32 v22, 20, v22
	v_lshl_add_u32 v17, v17, 23, 0x3c000000
	s_delay_alu instid0(VALU_DEP_3) | instskip(NEXT) | instid1(VALU_DEP_1)
	v_and_b32_e32 v23, 0x80000000, v23
	v_or3_b32 v117, v22, v23, v17
.LBB351_1878:                           ;   in Loop: Header=BB351_1005 Depth=1
	s_or_b32 exec_lo, exec_lo, s16
.LBB351_1879:                           ;   in Loop: Header=BB351_1005 Depth=1
	s_delay_alu instid0(SALU_CYCLE_1)
	s_or_b32 exec_lo, exec_lo, s15
.LBB351_1880:                           ;   in Loop: Header=BB351_1005 Depth=1
	s_delay_alu instid0(SALU_CYCLE_1) | instskip(SKIP_3) | instid1(VALU_DEP_2)
	s_or_b32 exec_lo, exec_lo, s14
	v_dual_lshrrev_b32 v17, 16, v18 :: v_dual_mov_b32 v115, 0
	v_mov_b32_e32 v116, 0
	s_mov_b32 s14, exec_lo
	v_and_b32_e32 v22, 0xff, v17
	s_delay_alu instid0(VALU_DEP_1)
	v_cmpx_ne_u16_e32 0, v22
	s_cbranch_execz .LBB351_1888
; %bb.1881:                             ;   in Loop: Header=BB351_1005 Depth=1
	v_bfrev_b32_e32 v116, 1
	s_mov_b32 s15, exec_lo
	v_cmpx_ne_u16_e32 0x80, v22
	s_cbranch_execz .LBB351_1887
; %bb.1882:                             ;   in Loop: Header=BB351_1005 Depth=1
	v_bfe_u32 v22, v18, 16, 7
	v_mov_b32_e32 v116, 0x7f800001
	s_mov_b32 s16, exec_lo
	s_delay_alu instid0(VALU_DEP_2)
	v_cmpx_ne_u32_e32 0x7f, v22
	s_cbranch_execz .LBB351_1886
; %bb.1883:                             ;   in Loop: Header=BB351_1005 Depth=1
	v_dual_lshrrev_b32 v113, 3, v22 :: v_dual_bitop2_b32 v26, 7, v17 bitop3:0x40
	v_cmp_gt_u32_e64 s0, 8, v22
	s_delay_alu instid0(VALU_DEP_2)
	v_mov_b64_e32 v[22:23], v[26:27]
	s_and_saveexec_b32 s17, s0
; %bb.1884:                             ;   in Loop: Header=BB351_1005 Depth=1
	v_clz_i32_u32_e32 v22, v26
	s_delay_alu instid0(VALU_DEP_1) | instskip(NEXT) | instid1(VALU_DEP_1)
	v_min_u32_e32 v24, 32, v22
	v_subrev_nc_u32_e32 v22, 28, v24
	s_delay_alu instid0(VALU_DEP_1) | instskip(NEXT) | instid1(VALU_DEP_1)
	v_lshlrev_b64_e32 v[22:23], v22, v[26:27]
	v_dual_sub_nc_u32 v113, 29, v24 :: v_dual_bitop2_b32 v22, 7, v22 bitop3:0x40
; %bb.1885:                             ;   in Loop: Header=BB351_1005 Depth=1
	s_or_b32 exec_lo, exec_lo, s17
	s_delay_alu instid0(VALU_DEP_1) | instskip(NEXT) | instid1(VALU_DEP_2)
	v_dual_lshlrev_b32 v17, 24, v17 :: v_dual_lshlrev_b32 v22, 20, v22
	v_lshl_add_u32 v23, v113, 23, 0x3c000000
	s_delay_alu instid0(VALU_DEP_2) | instskip(NEXT) | instid1(VALU_DEP_1)
	v_and_b32_e32 v17, 0x80000000, v17
	v_or3_b32 v116, v22, v17, v23
.LBB351_1886:                           ;   in Loop: Header=BB351_1005 Depth=1
	s_or_b32 exec_lo, exec_lo, s16
.LBB351_1887:                           ;   in Loop: Header=BB351_1005 Depth=1
	s_delay_alu instid0(SALU_CYCLE_1)
	s_or_b32 exec_lo, exec_lo, s15
.LBB351_1888:                           ;   in Loop: Header=BB351_1005 Depth=1
	s_delay_alu instid0(SALU_CYCLE_1) | instskip(NEXT) | instid1(SALU_CYCLE_1)
	s_or_b32 exec_lo, exec_lo, s14
	s_mov_b32 s14, exec_lo
	v_cmpx_lt_u32_e32 0xffffff, v18
	s_cbranch_execz .LBB351_1896
; %bb.1889:                             ;   in Loop: Header=BB351_1005 Depth=1
	v_lshrrev_b32_e32 v17, 24, v18
	v_bfrev_b32_e32 v115, 1
	s_mov_b32 s15, exec_lo
	s_delay_alu instid0(VALU_DEP_2)
	v_cmpx_ne_u32_e32 0x80, v17
	s_cbranch_execz .LBB351_1895
; %bb.1890:                             ;   in Loop: Header=BB351_1005 Depth=1
	v_bfe_u32 v22, v18, 24, 7
	v_mov_b32_e32 v115, 0x7f800001
	s_mov_b32 s16, exec_lo
	s_delay_alu instid0(VALU_DEP_2)
	v_cmpx_ne_u32_e32 0x7f, v22
	s_cbranch_execz .LBB351_1894
; %bb.1891:                             ;   in Loop: Header=BB351_1005 Depth=1
	v_dual_lshrrev_b32 v113, 3, v22 :: v_dual_bitop2_b32 v26, 7, v17 bitop3:0x40
	v_cmp_gt_u32_e64 s0, 8, v22
	s_delay_alu instid0(VALU_DEP_2)
	v_mov_b64_e32 v[22:23], v[26:27]
	s_and_saveexec_b32 s17, s0
; %bb.1892:                             ;   in Loop: Header=BB351_1005 Depth=1
	v_clz_i32_u32_e32 v22, v26
	s_delay_alu instid0(VALU_DEP_1) | instskip(NEXT) | instid1(VALU_DEP_1)
	v_min_u32_e32 v24, 32, v22
	v_subrev_nc_u32_e32 v22, 28, v24
	s_delay_alu instid0(VALU_DEP_1) | instskip(NEXT) | instid1(VALU_DEP_1)
	v_lshlrev_b64_e32 v[22:23], v22, v[26:27]
	v_dual_sub_nc_u32 v113, 29, v24 :: v_dual_bitop2_b32 v22, 7, v22 bitop3:0x40
; %bb.1893:                             ;   in Loop: Header=BB351_1005 Depth=1
	s_or_b32 exec_lo, exec_lo, s17
	s_delay_alu instid0(VALU_DEP_1) | instskip(NEXT) | instid1(VALU_DEP_2)
	v_dual_lshlrev_b32 v17, 24, v17 :: v_dual_lshlrev_b32 v22, 20, v22
	v_lshl_add_u32 v23, v113, 23, 0x3c000000
	s_delay_alu instid0(VALU_DEP_2) | instskip(NEXT) | instid1(VALU_DEP_1)
	v_and_b32_e32 v17, 0x80000000, v17
	v_or3_b32 v115, v22, v17, v23
.LBB351_1894:                           ;   in Loop: Header=BB351_1005 Depth=1
	s_or_b32 exec_lo, exec_lo, s16
.LBB351_1895:                           ;   in Loop: Header=BB351_1005 Depth=1
	s_delay_alu instid0(SALU_CYCLE_1)
	s_or_b32 exec_lo, exec_lo, s15
.LBB351_1896:                           ;   in Loop: Header=BB351_1005 Depth=1
	s_delay_alu instid0(SALU_CYCLE_1) | instskip(SKIP_4) | instid1(VALU_DEP_3)
	s_or_b32 exec_lo, exec_lo, s14
	v_and_b32_e32 v22, 0xff, v19
	v_dual_mov_b32 v26, v19 :: v_dual_mov_b32 v113, 0
	v_mov_b32_e32 v17, 0
	s_mov_b32 s14, exec_lo
	v_cmpx_ne_u16_e32 0, v22
	s_cbranch_execz .LBB351_1904
; %bb.1897:                             ;   in Loop: Header=BB351_1005 Depth=1
	v_bfrev_b32_e32 v17, 1
	s_mov_b32 s15, exec_lo
	v_cmpx_ne_u16_e32 0x80, v22
	s_cbranch_execz .LBB351_1903
; %bb.1898:                             ;   in Loop: Header=BB351_1005 Depth=1
	v_and_b32_e32 v22, 0x7f, v19
	v_mov_b32_e32 v17, 0x7f800001
	s_mov_b32 s16, exec_lo
	s_delay_alu instid0(VALU_DEP_2)
	v_cmpx_ne_u32_e32 0x7f, v22
	s_cbranch_execz .LBB351_1902
; %bb.1899:                             ;   in Loop: Header=BB351_1005 Depth=1
	v_lshrrev_b32_e32 v17, 3, v22
	v_cmp_gt_u32_e64 s0, 8, v22
	v_mov_b64_e32 v[22:23], v[26:27]
	s_and_saveexec_b32 s17, s0
; %bb.1900:                             ;   in Loop: Header=BB351_1005 Depth=1
	v_and_b32_e32 v17, 7, v19
	s_delay_alu instid0(VALU_DEP_1) | instskip(NEXT) | instid1(VALU_DEP_1)
	v_clz_i32_u32_e32 v17, v17
	v_min_u32_e32 v17, 32, v17
	s_delay_alu instid0(VALU_DEP_1) | instskip(SKIP_1) | instid1(VALU_DEP_2)
	v_subrev_nc_u32_e32 v22, 28, v17
	v_sub_nc_u32_e32 v17, 29, v17
	v_lshlrev_b64_e32 v[22:23], v22, v[26:27]
; %bb.1901:                             ;   in Loop: Header=BB351_1005 Depth=1
	s_or_b32 exec_lo, exec_lo, s17
	s_delay_alu instid0(VALU_DEP_1) | instskip(SKIP_2) | instid1(VALU_DEP_3)
	v_lshlrev_b32_e32 v22, 20, v22
	v_lshlrev_b32_e32 v23, 24, v26
	v_lshl_add_u32 v17, v17, 23, 0x3c000000
	v_and_b32_e32 v22, 0x700000, v22
	s_delay_alu instid0(VALU_DEP_3) | instskip(NEXT) | instid1(VALU_DEP_1)
	v_and_b32_e32 v23, 0x80000000, v23
	v_or3_b32 v17, v22, v23, v17
.LBB351_1902:                           ;   in Loop: Header=BB351_1005 Depth=1
	s_or_b32 exec_lo, exec_lo, s16
.LBB351_1903:                           ;   in Loop: Header=BB351_1005 Depth=1
	s_delay_alu instid0(SALU_CYCLE_1)
	s_or_b32 exec_lo, exec_lo, s15
.LBB351_1904:                           ;   in Loop: Header=BB351_1005 Depth=1
	s_delay_alu instid0(SALU_CYCLE_1) | instskip(SKIP_2) | instid1(VALU_DEP_1)
	s_or_b32 exec_lo, exec_lo, s14
	v_lshrrev_b16 v22, 8, v26
	s_mov_b32 s14, exec_lo
	v_cmpx_ne_u16_e32 0, v22
	s_cbranch_execz .LBB351_1912
; %bb.1905:                             ;   in Loop: Header=BB351_1005 Depth=1
	v_bfrev_b32_e32 v113, 1
	s_mov_b32 s15, exec_lo
	v_cmpx_ne_u16_e32 0x80, v22
	s_cbranch_execz .LBB351_1911
; %bb.1906:                             ;   in Loop: Header=BB351_1005 Depth=1
	v_and_b32_e32 v22, 0xffff, v22
	v_mov_b32_e32 v113, 0x7f800001
	s_mov_b32 s16, exec_lo
	s_delay_alu instid0(VALU_DEP_2) | instskip(NEXT) | instid1(VALU_DEP_1)
	v_and_b32_e32 v114, 0x7f, v22
	v_cmpx_ne_u32_e32 0x7f, v114
	s_cbranch_execz .LBB351_1910
; %bb.1907:                             ;   in Loop: Header=BB351_1005 Depth=1
	v_dual_mov_b32 v23, v27 :: v_dual_bitop2_b32 v22, 7, v22 bitop3:0x40
	v_lshrrev_b32_e32 v113, 3, v114
	s_mov_b32 s17, exec_lo
	v_cmpx_gt_u32_e32 8, v114
; %bb.1908:                             ;   in Loop: Header=BB351_1005 Depth=1
	s_delay_alu instid0(VALU_DEP_3) | instskip(NEXT) | instid1(VALU_DEP_1)
	v_clz_i32_u32_e32 v24, v22
	v_min_u32_e32 v24, 32, v24
	s_delay_alu instid0(VALU_DEP_1) | instskip(NEXT) | instid1(VALU_DEP_1)
	v_subrev_nc_u32_e32 v113, 28, v24
	v_lshlrev_b64_e32 v[22:23], v113, v[22:23]
	s_delay_alu instid0(VALU_DEP_1)
	v_dual_sub_nc_u32 v113, 29, v24 :: v_dual_bitop2_b32 v22, 7, v22 bitop3:0x40
; %bb.1909:                             ;   in Loop: Header=BB351_1005 Depth=1
	s_or_b32 exec_lo, exec_lo, s17
	v_lshlrev_b32_e32 v23, 16, v26
	s_delay_alu instid0(VALU_DEP_2) | instskip(NEXT) | instid1(VALU_DEP_3)
	v_lshlrev_b32_e32 v22, 20, v22
	v_lshl_add_u32 v24, v113, 23, 0x3c000000
	s_delay_alu instid0(VALU_DEP_3) | instskip(NEXT) | instid1(VALU_DEP_1)
	v_and_b32_e32 v23, 0x80000000, v23
	v_or3_b32 v113, v22, v23, v24
.LBB351_1910:                           ;   in Loop: Header=BB351_1005 Depth=1
	s_or_b32 exec_lo, exec_lo, s16
.LBB351_1911:                           ;   in Loop: Header=BB351_1005 Depth=1
	s_delay_alu instid0(SALU_CYCLE_1)
	s_or_b32 exec_lo, exec_lo, s15
.LBB351_1912:                           ;   in Loop: Header=BB351_1005 Depth=1
	s_delay_alu instid0(SALU_CYCLE_1) | instskip(SKIP_3) | instid1(VALU_DEP_2)
	s_or_b32 exec_lo, exec_lo, s14
	v_dual_mov_b32 v119, 0 :: v_dual_lshrrev_b32 v114, 16, v19
	v_mov_b32_e32 v22, 0
	s_mov_b32 s14, exec_lo
	v_and_b32_e32 v23, 0xff, v114
	s_delay_alu instid0(VALU_DEP_1)
	v_cmpx_ne_u16_e32 0, v23
	s_cbranch_execz .LBB351_1920
; %bb.1913:                             ;   in Loop: Header=BB351_1005 Depth=1
	v_bfrev_b32_e32 v22, 1
	s_mov_b32 s15, exec_lo
	v_cmpx_ne_u16_e32 0x80, v23
	s_cbranch_execz .LBB351_1919
; %bb.1914:                             ;   in Loop: Header=BB351_1005 Depth=1
	v_bfe_u32 v23, v19, 16, 7
	v_mov_b32_e32 v22, 0x7f800001
	s_mov_b32 s16, exec_lo
	s_delay_alu instid0(VALU_DEP_2)
	v_cmpx_ne_u32_e32 0x7f, v23
	s_cbranch_execz .LBB351_1918
; %bb.1915:                             ;   in Loop: Header=BB351_1005 Depth=1
	v_dual_lshrrev_b32 v40, 3, v23 :: v_dual_bitop2_b32 v26, 7, v114 bitop3:0x40
	v_cmp_gt_u32_e64 s0, 8, v23
	s_delay_alu instid0(VALU_DEP_2)
	v_mov_b64_e32 v[22:23], v[26:27]
	s_and_saveexec_b32 s17, s0
; %bb.1916:                             ;   in Loop: Header=BB351_1005 Depth=1
	v_clz_i32_u32_e32 v22, v26
	s_delay_alu instid0(VALU_DEP_1) | instskip(NEXT) | instid1(VALU_DEP_1)
	v_min_u32_e32 v24, 32, v22
	v_subrev_nc_u32_e32 v22, 28, v24
	s_delay_alu instid0(VALU_DEP_1) | instskip(NEXT) | instid1(VALU_DEP_1)
	v_lshlrev_b64_e32 v[22:23], v22, v[26:27]
	v_dual_sub_nc_u32 v40, 29, v24 :: v_dual_bitop2_b32 v22, 7, v22 bitop3:0x40
; %bb.1917:                             ;   in Loop: Header=BB351_1005 Depth=1
	s_or_b32 exec_lo, exec_lo, s17
	v_lshlrev_b32_e32 v23, 24, v114
	s_delay_alu instid0(VALU_DEP_2) | instskip(NEXT) | instid1(VALU_DEP_3)
	v_lshlrev_b32_e32 v22, 20, v22
	v_lshl_add_u32 v24, v40, 23, 0x3c000000
	s_delay_alu instid0(VALU_DEP_3) | instskip(NEXT) | instid1(VALU_DEP_1)
	v_and_b32_e32 v23, 0x80000000, v23
	v_or3_b32 v22, v22, v23, v24
.LBB351_1918:                           ;   in Loop: Header=BB351_1005 Depth=1
	s_or_b32 exec_lo, exec_lo, s16
.LBB351_1919:                           ;   in Loop: Header=BB351_1005 Depth=1
	s_delay_alu instid0(SALU_CYCLE_1)
	s_or_b32 exec_lo, exec_lo, s15
.LBB351_1920:                           ;   in Loop: Header=BB351_1005 Depth=1
	s_delay_alu instid0(SALU_CYCLE_1) | instskip(NEXT) | instid1(SALU_CYCLE_1)
	s_or_b32 exec_lo, exec_lo, s14
	s_mov_b32 s14, exec_lo
	v_cmpx_lt_u64_e64 s[2:3], v[18:19]
	s_cbranch_execz .LBB351_1928
; %bb.1921:                             ;   in Loop: Header=BB351_1005 Depth=1
	v_lshrrev_b32_e32 v23, 24, v19
	v_bfrev_b32_e32 v119, 1
	s_mov_b32 s15, exec_lo
	s_delay_alu instid0(VALU_DEP_2)
	v_cmpx_ne_u32_e32 0x80, v23
	s_cbranch_execz .LBB351_1927
; %bb.1922:                             ;   in Loop: Header=BB351_1005 Depth=1
	v_bfe_u32 v18, v19, 24, 7
	v_mov_b32_e32 v119, 0x7f800001
	s_mov_b32 s16, exec_lo
	s_delay_alu instid0(VALU_DEP_2)
	v_cmpx_ne_u32_e32 0x7f, v18
	s_cbranch_execz .LBB351_1926
; %bb.1923:                             ;   in Loop: Header=BB351_1005 Depth=1
	v_dual_lshrrev_b32 v114, 3, v18 :: v_dual_bitop2_b32 v26, 7, v23 bitop3:0x40
	v_cmp_gt_u32_e64 s0, 8, v18
	s_delay_alu instid0(VALU_DEP_2)
	v_mov_b64_e32 v[18:19], v[26:27]
	s_and_saveexec_b32 s17, s0
; %bb.1924:                             ;   in Loop: Header=BB351_1005 Depth=1
	v_clz_i32_u32_e32 v18, v26
	s_delay_alu instid0(VALU_DEP_1) | instskip(NEXT) | instid1(VALU_DEP_1)
	v_min_u32_e32 v24, 32, v18
	v_subrev_nc_u32_e32 v18, 28, v24
	s_delay_alu instid0(VALU_DEP_1) | instskip(NEXT) | instid1(VALU_DEP_1)
	v_lshlrev_b64_e32 v[18:19], v18, v[26:27]
	v_dual_sub_nc_u32 v114, 29, v24 :: v_dual_bitop2_b32 v18, 7, v18 bitop3:0x40
; %bb.1925:                             ;   in Loop: Header=BB351_1005 Depth=1
	s_or_b32 exec_lo, exec_lo, s17
	s_delay_alu instid0(VALU_DEP_1) | instskip(NEXT) | instid1(VALU_DEP_2)
	v_dual_lshlrev_b32 v19, 24, v23 :: v_dual_lshlrev_b32 v18, 20, v18
	v_lshl_add_u32 v23, v114, 23, 0x3c000000
	s_delay_alu instid0(VALU_DEP_2) | instskip(NEXT) | instid1(VALU_DEP_1)
	v_and_b32_e32 v19, 0x80000000, v19
	v_or3_b32 v119, v18, v19, v23
.LBB351_1926:                           ;   in Loop: Header=BB351_1005 Depth=1
	s_or_b32 exec_lo, exec_lo, s16
.LBB351_1927:                           ;   in Loop: Header=BB351_1005 Depth=1
	s_delay_alu instid0(SALU_CYCLE_1)
	s_or_b32 exec_lo, exec_lo, s15
.LBB351_1928:                           ;   in Loop: Header=BB351_1005 Depth=1
	s_delay_alu instid0(SALU_CYCLE_1)
	s_or_b32 exec_lo, exec_lo, s14
	v_fma_mixlo_bf16 v113, v25, v113, 0
	v_fma_mixlo_bf16 v114, v25, v17, 0
	;; [unrolled: 1-line block ×8, first 2 shown]
	s_and_saveexec_b32 s14, vcc_lo
	s_cbranch_execz .LBB351_1930
; %bb.1929:                             ;   in Loop: Header=BB351_1005 Depth=1
	v_cmp_lt_i32_e64 s0, v85, v16
	s_delay_alu instid0(VALU_DEP_1) | instskip(SKIP_1) | instid1(VALU_DEP_1)
	v_cndmask_b32_e64 v118, 0, v118, s0
	v_cmp_lt_i32_e64 s0, v97, v16
	v_cndmask_b32_e64 v117, 0, v117, s0
	v_cmp_lt_i32_e64 s0, v96, v16
	s_delay_alu instid0(VALU_DEP_1) | instskip(SKIP_1) | instid1(VALU_DEP_1)
	v_cndmask_b32_e64 v116, 0, v116, s0
	v_cmp_lt_i32_e64 s0, v87, v16
	v_cndmask_b32_e64 v115, 0, v115, s0
	;; [unrolled: 5-line block ×4, first 2 shown]
.LBB351_1930:                           ;   in Loop: Header=BB351_1005 Depth=1
	s_or_b32 exec_lo, exec_lo, s14
	flat_load_b64 v[0:1], v[0:1] offset:3584
	v_dual_mov_b32 v40, 0 :: v_dual_mov_b32 v41, 0
	s_mov_b32 s14, exec_lo
	s_wait_loadcnt_dscnt 0x0
	v_and_b32_e32 v17, 0xff, v0
	s_wait_xcnt 0x0
	s_delay_alu instid0(VALU_DEP_1)
	v_cmpx_ne_u16_e32 0, v17
	s_cbranch_execz .LBB351_1938
; %bb.1931:                             ;   in Loop: Header=BB351_1005 Depth=1
	v_bfrev_b32_e32 v41, 1
	s_mov_b32 s15, exec_lo
	v_cmpx_ne_u16_e32 0x80, v17
	s_cbranch_execz .LBB351_1937
; %bb.1932:                             ;   in Loop: Header=BB351_1005 Depth=1
	v_and_b32_e32 v18, 0x7f, v0
	v_mov_b32_e32 v41, 0x7f800001
	s_mov_b32 s16, exec_lo
	s_delay_alu instid0(VALU_DEP_2)
	v_cmpx_ne_u32_e32 0x7f, v18
	s_cbranch_execz .LBB351_1936
; %bb.1933:                             ;   in Loop: Header=BB351_1005 Depth=1
	v_lshrrev_b32_e32 v17, 3, v18
	v_cmp_gt_u32_e64 s0, 8, v18
	v_mov_b64_e32 v[18:19], v[0:1]
	s_and_saveexec_b32 s17, s0
; %bb.1934:                             ;   in Loop: Header=BB351_1005 Depth=1
	v_and_b32_e32 v17, 7, v0
	s_delay_alu instid0(VALU_DEP_1) | instskip(NEXT) | instid1(VALU_DEP_1)
	v_clz_i32_u32_e32 v17, v17
	v_min_u32_e32 v17, 32, v17
	s_delay_alu instid0(VALU_DEP_1) | instskip(SKIP_1) | instid1(VALU_DEP_2)
	v_subrev_nc_u32_e32 v18, 28, v17
	v_sub_nc_u32_e32 v17, 29, v17
	v_lshlrev_b64_e32 v[18:19], v18, v[0:1]
; %bb.1935:                             ;   in Loop: Header=BB351_1005 Depth=1
	s_or_b32 exec_lo, exec_lo, s17
	s_delay_alu instid0(VALU_DEP_1) | instskip(NEXT) | instid1(VALU_DEP_3)
	v_dual_lshlrev_b32 v18, 20, v18 :: v_dual_lshlrev_b32 v19, 24, v0
	v_lshl_add_u32 v17, v17, 23, 0x3c000000
	s_delay_alu instid0(VALU_DEP_2) | instskip(NEXT) | instid1(VALU_DEP_3)
	v_and_b32_e32 v18, 0x700000, v18
	v_and_b32_e32 v19, 0x80000000, v19
	s_delay_alu instid0(VALU_DEP_1)
	v_or3_b32 v41, v18, v19, v17
.LBB351_1936:                           ;   in Loop: Header=BB351_1005 Depth=1
	s_or_b32 exec_lo, exec_lo, s16
.LBB351_1937:                           ;   in Loop: Header=BB351_1005 Depth=1
	s_delay_alu instid0(SALU_CYCLE_1)
	s_or_b32 exec_lo, exec_lo, s15
.LBB351_1938:                           ;   in Loop: Header=BB351_1005 Depth=1
	s_delay_alu instid0(SALU_CYCLE_1) | instskip(SKIP_2) | instid1(VALU_DEP_1)
	s_or_b32 exec_lo, exec_lo, s14
	v_lshrrev_b16 v17, 8, v0
	s_mov_b32 s14, exec_lo
	v_cmpx_ne_u16_e32 0, v17
	s_cbranch_execz .LBB351_1946
; %bb.1939:                             ;   in Loop: Header=BB351_1005 Depth=1
	v_bfrev_b32_e32 v40, 1
	s_mov_b32 s15, exec_lo
	v_cmpx_ne_u16_e32 0x80, v17
	s_cbranch_execz .LBB351_1945
; %bb.1940:                             ;   in Loop: Header=BB351_1005 Depth=1
	v_and_b32_e32 v17, 0xffff, v17
	v_mov_b32_e32 v40, 0x7f800001
	s_mov_b32 s16, exec_lo
	s_delay_alu instid0(VALU_DEP_2) | instskip(NEXT) | instid1(VALU_DEP_1)
	v_and_b32_e32 v18, 0x7f, v17
	v_cmpx_ne_u32_e32 0x7f, v18
	s_cbranch_execz .LBB351_1944
; %bb.1941:                             ;   in Loop: Header=BB351_1005 Depth=1
	v_dual_lshrrev_b32 v17, 3, v18 :: v_dual_bitop2_b32 v26, 7, v17 bitop3:0x40
	v_cmp_gt_u32_e64 s0, 8, v18
	s_delay_alu instid0(VALU_DEP_2)
	v_mov_b64_e32 v[18:19], v[26:27]
	s_and_saveexec_b32 s17, s0
; %bb.1942:                             ;   in Loop: Header=BB351_1005 Depth=1
	v_clz_i32_u32_e32 v17, v26
	s_delay_alu instid0(VALU_DEP_1) | instskip(NEXT) | instid1(VALU_DEP_1)
	v_min_u32_e32 v17, 32, v17
	v_subrev_nc_u32_e32 v18, 28, v17
	s_delay_alu instid0(VALU_DEP_1) | instskip(NEXT) | instid1(VALU_DEP_1)
	v_lshlrev_b64_e32 v[18:19], v18, v[26:27]
	v_dual_sub_nc_u32 v17, 29, v17 :: v_dual_bitop2_b32 v18, 7, v18 bitop3:0x40
; %bb.1943:                             ;   in Loop: Header=BB351_1005 Depth=1
	s_or_b32 exec_lo, exec_lo, s17
	s_delay_alu instid0(VALU_DEP_1) | instskip(NEXT) | instid1(VALU_DEP_2)
	v_dual_lshlrev_b32 v19, 16, v0 :: v_dual_lshlrev_b32 v18, 20, v18
	v_lshl_add_u32 v17, v17, 23, 0x3c000000
	s_delay_alu instid0(VALU_DEP_2) | instskip(NEXT) | instid1(VALU_DEP_1)
	v_and_b32_e32 v19, 0x80000000, v19
	v_or3_b32 v40, v18, v19, v17
.LBB351_1944:                           ;   in Loop: Header=BB351_1005 Depth=1
	s_or_b32 exec_lo, exec_lo, s16
.LBB351_1945:                           ;   in Loop: Header=BB351_1005 Depth=1
	s_delay_alu instid0(SALU_CYCLE_1)
	s_or_b32 exec_lo, exec_lo, s15
.LBB351_1946:                           ;   in Loop: Header=BB351_1005 Depth=1
	s_delay_alu instid0(SALU_CYCLE_1) | instskip(SKIP_3) | instid1(VALU_DEP_2)
	s_or_b32 exec_lo, exec_lo, s14
	v_dual_mov_b32 v42, 0 :: v_dual_lshrrev_b32 v17, 16, v0
	v_mov_b32_e32 v119, 0
	s_mov_b32 s14, exec_lo
	v_and_b32_e32 v18, 0xff, v17
	s_delay_alu instid0(VALU_DEP_1)
	v_cmpx_ne_u16_e32 0, v18
	s_cbranch_execz .LBB351_1954
; %bb.1947:                             ;   in Loop: Header=BB351_1005 Depth=1
	v_bfrev_b32_e32 v119, 1
	s_mov_b32 s15, exec_lo
	v_cmpx_ne_u16_e32 0x80, v18
	s_cbranch_execz .LBB351_1953
; %bb.1948:                             ;   in Loop: Header=BB351_1005 Depth=1
	v_bfe_u32 v18, v0, 16, 7
	v_mov_b32_e32 v119, 0x7f800001
	s_mov_b32 s16, exec_lo
	s_delay_alu instid0(VALU_DEP_2)
	v_cmpx_ne_u32_e32 0x7f, v18
	s_cbranch_execz .LBB351_1952
; %bb.1949:                             ;   in Loop: Header=BB351_1005 Depth=1
	v_dual_lshrrev_b32 v119, 3, v18 :: v_dual_bitop2_b32 v26, 7, v17 bitop3:0x40
	v_cmp_gt_u32_e64 s0, 8, v18
	s_delay_alu instid0(VALU_DEP_2)
	v_mov_b64_e32 v[18:19], v[26:27]
	s_and_saveexec_b32 s17, s0
; %bb.1950:                             ;   in Loop: Header=BB351_1005 Depth=1
	v_clz_i32_u32_e32 v18, v26
	s_delay_alu instid0(VALU_DEP_1) | instskip(NEXT) | instid1(VALU_DEP_1)
	v_min_u32_e32 v24, 32, v18
	v_subrev_nc_u32_e32 v18, 28, v24
	s_delay_alu instid0(VALU_DEP_1) | instskip(NEXT) | instid1(VALU_DEP_1)
	v_lshlrev_b64_e32 v[18:19], v18, v[26:27]
	v_dual_sub_nc_u32 v119, 29, v24 :: v_dual_bitop2_b32 v18, 7, v18 bitop3:0x40
; %bb.1951:                             ;   in Loop: Header=BB351_1005 Depth=1
	s_or_b32 exec_lo, exec_lo, s17
	s_delay_alu instid0(VALU_DEP_1) | instskip(NEXT) | instid1(VALU_DEP_2)
	v_dual_lshlrev_b32 v17, 24, v17 :: v_dual_lshlrev_b32 v18, 20, v18
	v_lshl_add_u32 v19, v119, 23, 0x3c000000
	s_delay_alu instid0(VALU_DEP_2) | instskip(NEXT) | instid1(VALU_DEP_1)
	v_and_b32_e32 v17, 0x80000000, v17
	v_or3_b32 v119, v18, v17, v19
.LBB351_1952:                           ;   in Loop: Header=BB351_1005 Depth=1
	s_or_b32 exec_lo, exec_lo, s16
.LBB351_1953:                           ;   in Loop: Header=BB351_1005 Depth=1
	s_delay_alu instid0(SALU_CYCLE_1)
	s_or_b32 exec_lo, exec_lo, s15
.LBB351_1954:                           ;   in Loop: Header=BB351_1005 Depth=1
	s_delay_alu instid0(SALU_CYCLE_1) | instskip(NEXT) | instid1(SALU_CYCLE_1)
	s_or_b32 exec_lo, exec_lo, s14
	s_mov_b32 s14, exec_lo
	v_cmpx_lt_u32_e32 0xffffff, v0
	s_cbranch_execz .LBB351_1962
; %bb.1955:                             ;   in Loop: Header=BB351_1005 Depth=1
	v_lshrrev_b32_e32 v17, 24, v0
	v_bfrev_b32_e32 v42, 1
	s_mov_b32 s15, exec_lo
	s_delay_alu instid0(VALU_DEP_2)
	v_cmpx_ne_u32_e32 0x80, v17
	s_cbranch_execz .LBB351_1961
; %bb.1956:                             ;   in Loop: Header=BB351_1005 Depth=1
	v_bfe_u32 v18, v0, 24, 7
	v_mov_b32_e32 v42, 0x7f800001
	s_mov_b32 s16, exec_lo
	s_delay_alu instid0(VALU_DEP_2)
	v_cmpx_ne_u32_e32 0x7f, v18
	s_cbranch_execz .LBB351_1960
; %bb.1957:                             ;   in Loop: Header=BB351_1005 Depth=1
	v_dual_lshrrev_b32 v42, 3, v18 :: v_dual_bitop2_b32 v26, 7, v17 bitop3:0x40
	v_cmp_gt_u32_e64 s0, 8, v18
	s_delay_alu instid0(VALU_DEP_2)
	v_mov_b64_e32 v[18:19], v[26:27]
	s_and_saveexec_b32 s17, s0
; %bb.1958:                             ;   in Loop: Header=BB351_1005 Depth=1
	v_clz_i32_u32_e32 v18, v26
	s_delay_alu instid0(VALU_DEP_1) | instskip(NEXT) | instid1(VALU_DEP_1)
	v_min_u32_e32 v24, 32, v18
	v_subrev_nc_u32_e32 v18, 28, v24
	s_delay_alu instid0(VALU_DEP_1) | instskip(NEXT) | instid1(VALU_DEP_1)
	v_lshlrev_b64_e32 v[18:19], v18, v[26:27]
	v_dual_sub_nc_u32 v42, 29, v24 :: v_dual_bitop2_b32 v18, 7, v18 bitop3:0x40
; %bb.1959:                             ;   in Loop: Header=BB351_1005 Depth=1
	s_or_b32 exec_lo, exec_lo, s17
	s_delay_alu instid0(VALU_DEP_1) | instskip(NEXT) | instid1(VALU_DEP_2)
	v_dual_lshlrev_b32 v17, 24, v17 :: v_dual_lshlrev_b32 v18, 20, v18
	v_lshl_add_u32 v19, v42, 23, 0x3c000000
	s_delay_alu instid0(VALU_DEP_2) | instskip(NEXT) | instid1(VALU_DEP_1)
	v_and_b32_e32 v17, 0x80000000, v17
	v_or3_b32 v42, v18, v17, v19
.LBB351_1960:                           ;   in Loop: Header=BB351_1005 Depth=1
	s_or_b32 exec_lo, exec_lo, s16
.LBB351_1961:                           ;   in Loop: Header=BB351_1005 Depth=1
	s_delay_alu instid0(SALU_CYCLE_1)
	s_or_b32 exec_lo, exec_lo, s15
.LBB351_1962:                           ;   in Loop: Header=BB351_1005 Depth=1
	s_delay_alu instid0(SALU_CYCLE_1) | instskip(SKIP_4) | instid1(VALU_DEP_3)
	s_or_b32 exec_lo, exec_lo, s14
	v_and_b32_e32 v18, 0xff, v1
	v_dual_mov_b32 v26, v1 :: v_dual_mov_b32 v43, 0
	v_mov_b32_e32 v17, 0
	s_mov_b32 s14, exec_lo
	v_cmpx_ne_u16_e32 0, v18
	s_cbranch_execz .LBB351_1970
; %bb.1963:                             ;   in Loop: Header=BB351_1005 Depth=1
	v_bfrev_b32_e32 v17, 1
	s_mov_b32 s15, exec_lo
	v_cmpx_ne_u16_e32 0x80, v18
	s_cbranch_execz .LBB351_1969
; %bb.1964:                             ;   in Loop: Header=BB351_1005 Depth=1
	v_and_b32_e32 v18, 0x7f, v1
	v_mov_b32_e32 v17, 0x7f800001
	s_mov_b32 s16, exec_lo
	s_delay_alu instid0(VALU_DEP_2)
	v_cmpx_ne_u32_e32 0x7f, v18
	s_cbranch_execz .LBB351_1968
; %bb.1965:                             ;   in Loop: Header=BB351_1005 Depth=1
	v_lshrrev_b32_e32 v17, 3, v18
	v_cmp_gt_u32_e64 s0, 8, v18
	v_mov_b64_e32 v[18:19], v[26:27]
	s_and_saveexec_b32 s17, s0
; %bb.1966:                             ;   in Loop: Header=BB351_1005 Depth=1
	v_and_b32_e32 v17, 7, v1
	s_delay_alu instid0(VALU_DEP_1) | instskip(NEXT) | instid1(VALU_DEP_1)
	v_clz_i32_u32_e32 v17, v17
	v_min_u32_e32 v17, 32, v17
	s_delay_alu instid0(VALU_DEP_1) | instskip(SKIP_1) | instid1(VALU_DEP_2)
	v_subrev_nc_u32_e32 v18, 28, v17
	v_sub_nc_u32_e32 v17, 29, v17
	v_lshlrev_b64_e32 v[18:19], v18, v[26:27]
; %bb.1967:                             ;   in Loop: Header=BB351_1005 Depth=1
	s_or_b32 exec_lo, exec_lo, s17
	s_delay_alu instid0(VALU_DEP_1) | instskip(SKIP_2) | instid1(VALU_DEP_3)
	v_lshlrev_b32_e32 v18, 20, v18
	v_lshlrev_b32_e32 v19, 24, v26
	v_lshl_add_u32 v17, v17, 23, 0x3c000000
	v_and_b32_e32 v18, 0x700000, v18
	s_delay_alu instid0(VALU_DEP_3) | instskip(NEXT) | instid1(VALU_DEP_1)
	v_and_b32_e32 v19, 0x80000000, v19
	v_or3_b32 v17, v18, v19, v17
.LBB351_1968:                           ;   in Loop: Header=BB351_1005 Depth=1
	s_or_b32 exec_lo, exec_lo, s16
.LBB351_1969:                           ;   in Loop: Header=BB351_1005 Depth=1
	s_delay_alu instid0(SALU_CYCLE_1)
	s_or_b32 exec_lo, exec_lo, s15
.LBB351_1970:                           ;   in Loop: Header=BB351_1005 Depth=1
	s_delay_alu instid0(SALU_CYCLE_1) | instskip(SKIP_2) | instid1(VALU_DEP_1)
	s_or_b32 exec_lo, exec_lo, s14
	v_lshrrev_b16 v18, 8, v26
	s_mov_b32 s14, exec_lo
	v_cmpx_ne_u16_e32 0, v18
	s_cbranch_execz .LBB351_1978
; %bb.1971:                             ;   in Loop: Header=BB351_1005 Depth=1
	v_bfrev_b32_e32 v43, 1
	s_mov_b32 s15, exec_lo
	v_cmpx_ne_u16_e32 0x80, v18
	s_cbranch_execz .LBB351_1977
; %bb.1972:                             ;   in Loop: Header=BB351_1005 Depth=1
	v_and_b32_e32 v18, 0xffff, v18
	v_mov_b32_e32 v43, 0x7f800001
	s_mov_b32 s16, exec_lo
	s_delay_alu instid0(VALU_DEP_2) | instskip(NEXT) | instid1(VALU_DEP_1)
	v_and_b32_e32 v44, 0x7f, v18
	v_cmpx_ne_u32_e32 0x7f, v44
	s_cbranch_execz .LBB351_1976
; %bb.1973:                             ;   in Loop: Header=BB351_1005 Depth=1
	v_dual_mov_b32 v19, v27 :: v_dual_bitop2_b32 v18, 7, v18 bitop3:0x40
	v_lshrrev_b32_e32 v43, 3, v44
	s_mov_b32 s17, exec_lo
	v_cmpx_gt_u32_e32 8, v44
; %bb.1974:                             ;   in Loop: Header=BB351_1005 Depth=1
	s_delay_alu instid0(VALU_DEP_3) | instskip(NEXT) | instid1(VALU_DEP_1)
	v_clz_i32_u32_e32 v24, v18
	v_min_u32_e32 v24, 32, v24
	s_delay_alu instid0(VALU_DEP_1) | instskip(NEXT) | instid1(VALU_DEP_1)
	v_subrev_nc_u32_e32 v43, 28, v24
	v_lshlrev_b64_e32 v[18:19], v43, v[18:19]
	s_delay_alu instid0(VALU_DEP_1)
	v_dual_sub_nc_u32 v43, 29, v24 :: v_dual_bitop2_b32 v18, 7, v18 bitop3:0x40
; %bb.1975:                             ;   in Loop: Header=BB351_1005 Depth=1
	s_or_b32 exec_lo, exec_lo, s17
	v_lshlrev_b32_e32 v19, 16, v26
	s_delay_alu instid0(VALU_DEP_2) | instskip(NEXT) | instid1(VALU_DEP_3)
	v_lshlrev_b32_e32 v18, 20, v18
	v_lshl_add_u32 v24, v43, 23, 0x3c000000
	s_delay_alu instid0(VALU_DEP_3) | instskip(NEXT) | instid1(VALU_DEP_1)
	v_and_b32_e32 v19, 0x80000000, v19
	v_or3_b32 v43, v18, v19, v24
.LBB351_1976:                           ;   in Loop: Header=BB351_1005 Depth=1
	s_or_b32 exec_lo, exec_lo, s16
.LBB351_1977:                           ;   in Loop: Header=BB351_1005 Depth=1
	s_delay_alu instid0(SALU_CYCLE_1)
	s_or_b32 exec_lo, exec_lo, s15
.LBB351_1978:                           ;   in Loop: Header=BB351_1005 Depth=1
	s_delay_alu instid0(SALU_CYCLE_1) | instskip(SKIP_3) | instid1(VALU_DEP_2)
	s_or_b32 exec_lo, exec_lo, s14
	v_dual_mov_b32 v44, 0 :: v_dual_lshrrev_b32 v45, 16, v1
	v_mov_b32_e32 v18, 0
	s_mov_b32 s14, exec_lo
	v_and_b32_e32 v19, 0xff, v45
	s_delay_alu instid0(VALU_DEP_1)
	v_cmpx_ne_u16_e32 0, v19
	s_cbranch_execz .LBB351_1986
; %bb.1979:                             ;   in Loop: Header=BB351_1005 Depth=1
	v_bfrev_b32_e32 v18, 1
	s_mov_b32 s15, exec_lo
	v_cmpx_ne_u16_e32 0x80, v19
	s_cbranch_execz .LBB351_1985
; %bb.1980:                             ;   in Loop: Header=BB351_1005 Depth=1
	v_bfe_u32 v19, v1, 16, 7
	v_mov_b32_e32 v18, 0x7f800001
	s_mov_b32 s16, exec_lo
	s_delay_alu instid0(VALU_DEP_2)
	v_cmpx_ne_u32_e32 0x7f, v19
	s_cbranch_execz .LBB351_1984
; %bb.1981:                             ;   in Loop: Header=BB351_1005 Depth=1
	v_dual_lshrrev_b32 v46, 3, v19 :: v_dual_bitop2_b32 v26, 7, v45 bitop3:0x40
	v_cmp_gt_u32_e64 s0, 8, v19
	s_delay_alu instid0(VALU_DEP_2)
	v_mov_b64_e32 v[18:19], v[26:27]
	s_and_saveexec_b32 s17, s0
; %bb.1982:                             ;   in Loop: Header=BB351_1005 Depth=1
	v_clz_i32_u32_e32 v18, v26
	s_delay_alu instid0(VALU_DEP_1) | instskip(NEXT) | instid1(VALU_DEP_1)
	v_min_u32_e32 v24, 32, v18
	v_subrev_nc_u32_e32 v18, 28, v24
	s_delay_alu instid0(VALU_DEP_1) | instskip(NEXT) | instid1(VALU_DEP_1)
	v_lshlrev_b64_e32 v[18:19], v18, v[26:27]
	v_dual_sub_nc_u32 v46, 29, v24 :: v_dual_bitop2_b32 v18, 7, v18 bitop3:0x40
; %bb.1983:                             ;   in Loop: Header=BB351_1005 Depth=1
	s_or_b32 exec_lo, exec_lo, s17
	s_delay_alu instid0(VALU_DEP_1) | instskip(NEXT) | instid1(VALU_DEP_2)
	v_dual_lshlrev_b32 v19, 24, v45 :: v_dual_lshlrev_b32 v18, 20, v18
	v_lshl_add_u32 v24, v46, 23, 0x3c000000
	s_delay_alu instid0(VALU_DEP_2) | instskip(NEXT) | instid1(VALU_DEP_1)
	v_and_b32_e32 v19, 0x80000000, v19
	v_or3_b32 v18, v18, v19, v24
.LBB351_1984:                           ;   in Loop: Header=BB351_1005 Depth=1
	s_or_b32 exec_lo, exec_lo, s16
.LBB351_1985:                           ;   in Loop: Header=BB351_1005 Depth=1
	s_delay_alu instid0(SALU_CYCLE_1)
	s_or_b32 exec_lo, exec_lo, s15
.LBB351_1986:                           ;   in Loop: Header=BB351_1005 Depth=1
	s_delay_alu instid0(SALU_CYCLE_1) | instskip(NEXT) | instid1(SALU_CYCLE_1)
	s_or_b32 exec_lo, exec_lo, s14
	s_mov_b32 s14, exec_lo
	v_cmpx_lt_u64_e64 s[2:3], v[0:1]
	s_cbranch_execz .LBB351_1994
; %bb.1987:                             ;   in Loop: Header=BB351_1005 Depth=1
	v_lshrrev_b32_e32 v19, 24, v1
	v_bfrev_b32_e32 v44, 1
	s_mov_b32 s15, exec_lo
	s_delay_alu instid0(VALU_DEP_2)
	v_cmpx_ne_u32_e32 0x80, v19
	s_cbranch_execz .LBB351_1993
; %bb.1988:                             ;   in Loop: Header=BB351_1005 Depth=1
	v_bfe_u32 v0, v1, 24, 7
	v_mov_b32_e32 v44, 0x7f800001
	s_mov_b32 s16, exec_lo
	s_delay_alu instid0(VALU_DEP_2)
	v_cmpx_ne_u32_e32 0x7f, v0
	s_cbranch_execz .LBB351_1992
; %bb.1989:                             ;   in Loop: Header=BB351_1005 Depth=1
	v_dual_lshrrev_b32 v44, 3, v0 :: v_dual_bitop2_b32 v26, 7, v19 bitop3:0x40
	v_cmp_gt_u32_e64 s0, 8, v0
	s_delay_alu instid0(VALU_DEP_2)
	v_mov_b64_e32 v[0:1], v[26:27]
	s_and_saveexec_b32 s17, s0
; %bb.1990:                             ;   in Loop: Header=BB351_1005 Depth=1
	v_clz_i32_u32_e32 v0, v26
	s_delay_alu instid0(VALU_DEP_1) | instskip(NEXT) | instid1(VALU_DEP_1)
	v_min_u32_e32 v24, 32, v0
	v_subrev_nc_u32_e32 v0, 28, v24
	v_sub_nc_u32_e32 v44, 29, v24
	s_delay_alu instid0(VALU_DEP_2) | instskip(NEXT) | instid1(VALU_DEP_1)
	v_lshlrev_b64_e32 v[0:1], v0, v[26:27]
	v_and_b32_e32 v0, 7, v0
; %bb.1991:                             ;   in Loop: Header=BB351_1005 Depth=1
	s_or_b32 exec_lo, exec_lo, s17
	s_delay_alu instid0(VALU_DEP_1) | instskip(SKIP_1) | instid1(VALU_DEP_2)
	v_dual_lshlrev_b32 v1, 24, v19 :: v_dual_lshlrev_b32 v0, 20, v0
	v_lshl_add_u32 v19, v44, 23, 0x3c000000
	v_and_b32_e32 v1, 0x80000000, v1
	s_delay_alu instid0(VALU_DEP_1)
	v_or3_b32 v44, v0, v1, v19
.LBB351_1992:                           ;   in Loop: Header=BB351_1005 Depth=1
	s_or_b32 exec_lo, exec_lo, s16
.LBB351_1993:                           ;   in Loop: Header=BB351_1005 Depth=1
	s_delay_alu instid0(SALU_CYCLE_1)
	s_or_b32 exec_lo, exec_lo, s15
.LBB351_1994:                           ;   in Loop: Header=BB351_1005 Depth=1
	s_delay_alu instid0(SALU_CYCLE_1)
	s_or_b32 exec_lo, exec_lo, s14
	v_fma_mixlo_bf16 v1, v25, v43, 0
	v_fma_mixlo_bf16 v19, v25, v17, 0
	;; [unrolled: 1-line block ×8, first 2 shown]
	s_and_saveexec_b32 s0, vcc_lo
	s_cbranch_execz .LBB351_1003
; %bb.1995:                             ;   in Loop: Header=BB351_1005 Depth=1
	v_cmp_lt_i32_e32 vcc_lo, v85, v16
	v_cndmask_b32_e32 v41, 0, v41, vcc_lo
	v_cmp_lt_i32_e32 vcc_lo, v97, v16
	v_cndmask_b32_e32 v40, 0, v40, vcc_lo
	;; [unrolled: 2-line block ×8, first 2 shown]
	s_branch .LBB351_1003
.LBB351_1996:
	s_or_b32 exec_lo, exec_lo, s8
	s_clause 0x4
	scratch_load_b32 v37, off, s32 offset:860
	scratch_load_b32 v38, off, s32 offset:864
	;; [unrolled: 1-line block ×5, first 2 shown]
.LBB351_1997:
	s_wait_xcnt 0x0
	s_or_b32 exec_lo, exec_lo, s1
	s_wait_loadcnt 0x1
	ds_bpermute_b32 v0, v36, v32
	ds_bpermute_b32 v1, v36, v33
	;; [unrolled: 1-line block ×6, first 2 shown]
	s_wait_storecnt 0x0
	s_wait_loadcnt_dscnt 0x0
	s_barrier_signal -1
	s_barrier_wait -1
	ds_bpermute_b32 v2, v36, v34
	ds_bpermute_b32 v3, v36, v35
	;; [unrolled: 1-line block ×9, first 2 shown]
	s_load_b32 s0, s[6:7], 0x0
	s_mov_b32 s1, exec_lo
	v_pk_add_f32 v[0:1], v[32:33], v[0:1]
	v_pk_add_f32 v[16:17], v[12:13], v[16:17]
	;; [unrolled: 1-line block ×3, first 2 shown]
	ds_bpermute_b32 v8, v39, v0
	ds_bpermute_b32 v9, v39, v1
	;; [unrolled: 1-line block ×4, first 2 shown]
	s_wait_dscnt 0xb
	v_pk_add_f32 v[2:3], v[34:35], v[2:3]
	s_wait_dscnt 0x9
	v_pk_add_f32 v[4:5], v[30:31], v[4:5]
	s_wait_dscnt 0x7
	v_pk_add_f32 v[6:7], v[28:29], v[6:7]
	ds_bpermute_b32 v20, v39, v2
	s_wait_dscnt 0x6
	v_pk_add_f32 v[26:27], v[14:15], v[10:11]
	ds_bpermute_b32 v21, v39, v3
	ds_bpermute_b32 v22, v39, v4
	ds_bpermute_b32 v23, v39, v5
	ds_bpermute_b32 v24, v39, v6
	ds_bpermute_b32 v28, v39, v18
	ds_bpermute_b32 v29, v39, v19
	ds_bpermute_b32 v30, v39, v26
	ds_bpermute_b32 v31, v39, v27
	s_wait_dscnt 0xb
	v_pk_add_f32 v[12:13], v[0:1], v[8:9]
	s_wait_dscnt 0x9
	v_pk_add_f32 v[0:1], v[16:17], v[32:33]
	scratch_load_b32 v16, off, s32 offset:472 ; 4-byte Folded Reload
	v_mov_b32_e32 v10, v25
	ds_bpermute_b32 v25, v39, v7
	s_wait_dscnt 0x6
	v_pk_add_f32 v[8:9], v[4:5], v[22:23]
	s_wait_dscnt 0x3
	v_pk_add_f32 v[4:5], v[18:19], v[28:29]
	;; [unrolled: 2-line block ×3, first 2 shown]
	s_wait_loadcnt 0x0
	v_and_b32_e32 v16, 28, v16
	v_add_f32_e32 v14, v10, v36
	v_pk_add_f32 v[10:11], v[2:3], v[20:21]
	v_and_b32_e32 v20, 0x3c3, v37
	v_pk_add_f32 v[2:3], v[26:27], v[30:31]
	ds_bpermute_b32 v15, v39, v14
	v_cmpx_ne_u32_e32 64, v20
	s_xor_b32 s1, exec_lo, s1
	s_delay_alu instid0(SALU_CYCLE_1)
	s_or_saveexec_b32 s1, s1
	s_wait_dscnt 0x0
	v_add_f32_e32 v14, v14, v15
	scratch_load_b32 v15, off, s32 offset:472 th:TH_LOAD_LU ; 4-byte Folded Reload
	s_wait_kmcnt 0x0
	v_add_nc_u32_e32 v16, s0, v16
	v_mul_u32_u24_e32 v17, 0x1e0, v38
	s_wait_loadcnt 0x0
	v_lshrrev_b32_e32 v15, 2, v15
	s_xor_b32 exec_lo, exec_lo, s1
	s_cbranch_execz .LBB351_1999
; %bb.1998:
	v_add_nc_u32_e32 v18, v16, v17
	s_delay_alu instid0(VALU_DEP_1)
	v_add_nc_u32_e32 v19, 0xfffffc40, v18
	v_add_nc_u32_e32 v20, 0xfffffc60, v18
	;; [unrolled: 1-line block ×8, first 2 shown]
	ds_store_b32 v19, v12
	ds_store_b32 v20, v13
	;; [unrolled: 1-line block ×8, first 2 shown]
	v_add_nc_u32_e32 v19, 0xfffffd40, v18
	v_add_nc_u32_e32 v20, 0xfffffd60, v18
	;; [unrolled: 1-line block ×7, first 2 shown]
	ds_store_b32 v19, v4
	ds_store_b32 v20, v5
	ds_store_b32 v21, v2
	ds_store_b32 v22, v3
	ds_store_b32 v23, v0
	ds_store_b32 v24, v1
	ds_store_b32 v18, v14
.LBB351_1999:
	s_or_b32 exec_lo, exec_lo, s1
	s_delay_alu instid0(VALU_DEP_1)
	v_lshlrev_b32_e32 v15, 2, v15
	s_mov_b32 s1, exec_lo
	v_cmp_eq_u32_e32 vcc_lo, 0, v50
	s_wait_dscnt 0x0
	s_barrier_signal -1
	v_add3_u32 v15, s0, v17, v15
	s_barrier_wait -1
	v_cmpx_gt_u32_e32 64, v37
	s_cbranch_execz .LBB351_2017
; %bb.2000:
	s_and_saveexec_b32 s0, vcc_lo
	s_cbranch_execnz .LBB351_2040
; %bb.2001:
	s_or_b32 exec_lo, exec_lo, s0
	s_and_saveexec_b32 s0, vcc_lo
	s_cbranch_execnz .LBB351_2041
.LBB351_2002:
	s_or_b32 exec_lo, exec_lo, s0
	s_and_saveexec_b32 s0, vcc_lo
	s_cbranch_execnz .LBB351_2042
.LBB351_2003:
	s_or_b32 exec_lo, exec_lo, s0
	s_and_saveexec_b32 s0, vcc_lo
	s_cbranch_execnz .LBB351_2043
.LBB351_2004:
	s_or_b32 exec_lo, exec_lo, s0
	s_and_saveexec_b32 s0, vcc_lo
	s_cbranch_execnz .LBB351_2044
.LBB351_2005:
	s_or_b32 exec_lo, exec_lo, s0
	s_and_saveexec_b32 s0, vcc_lo
	s_cbranch_execnz .LBB351_2045
.LBB351_2006:
	s_or_b32 exec_lo, exec_lo, s0
	s_and_saveexec_b32 s0, vcc_lo
	s_cbranch_execnz .LBB351_2046
.LBB351_2007:
	s_or_b32 exec_lo, exec_lo, s0
	s_and_saveexec_b32 s0, vcc_lo
	s_cbranch_execnz .LBB351_2047
.LBB351_2008:
	s_or_b32 exec_lo, exec_lo, s0
	s_and_saveexec_b32 s0, vcc_lo
	s_cbranch_execnz .LBB351_2048
.LBB351_2009:
	s_or_b32 exec_lo, exec_lo, s0
	s_and_saveexec_b32 s0, vcc_lo
	s_cbranch_execnz .LBB351_2049
.LBB351_2010:
	s_or_b32 exec_lo, exec_lo, s0
	s_and_saveexec_b32 s0, vcc_lo
	s_cbranch_execnz .LBB351_2050
.LBB351_2011:
	s_or_b32 exec_lo, exec_lo, s0
	s_and_saveexec_b32 s0, vcc_lo
	s_cbranch_execnz .LBB351_2051
.LBB351_2012:
	s_or_b32 exec_lo, exec_lo, s0
	s_and_saveexec_b32 s0, vcc_lo
	s_cbranch_execnz .LBB351_2052
.LBB351_2013:
	s_or_b32 exec_lo, exec_lo, s0
	s_and_saveexec_b32 s0, vcc_lo
	s_cbranch_execnz .LBB351_2053
.LBB351_2014:
	s_or_b32 exec_lo, exec_lo, s0
	s_and_saveexec_b32 s0, vcc_lo
	s_cbranch_execz .LBB351_2016
.LBB351_2015:
	ds_load_b32 v17, v15 offset:448
	s_wait_dscnt 0x0
	v_add_f32_e32 v14, v17, v14
.LBB351_2016:
	s_or_b32 exec_lo, exec_lo, s0
.LBB351_2017:
	s_delay_alu instid0(SALU_CYCLE_1) | instskip(SKIP_4) | instid1(VALU_DEP_1)
	s_or_b32 exec_lo, exec_lo, s1
	v_and_b32_e32 v17, 0x3e3, v37
	s_mov_b32 s1, exec_lo
	s_barrier_signal -1
	s_barrier_wait -1
	v_cmpx_eq_u32_e32 32, v17
	s_cbranch_execz .LBB351_2019
; %bb.2018:
	ds_store_2addr_b32 v16, v12, v13 offset1:8
	ds_store_2addr_b32 v16, v10, v11 offset0:16 offset1:24
	ds_store_2addr_b32 v16, v8, v9 offset0:32 offset1:40
	;; [unrolled: 1-line block ×6, first 2 shown]
	ds_store_b32 v16, v14 offset:448
.LBB351_2019:
	s_or_b32 exec_lo, exec_lo, s1
	s_delay_alu instid0(SALU_CYCLE_1)
	s_mov_b32 s1, exec_lo
	s_wait_dscnt 0x0
	s_barrier_signal -1
	s_barrier_wait -1
	v_cmpx_gt_u32_e32 32, v37
	s_cbranch_execz .LBB351_2037
; %bb.2020:
	s_and_saveexec_b32 s0, vcc_lo
	s_cbranch_execnz .LBB351_2054
; %bb.2021:
	s_or_b32 exec_lo, exec_lo, s0
	s_and_saveexec_b32 s0, vcc_lo
	s_cbranch_execnz .LBB351_2055
.LBB351_2022:
	s_or_b32 exec_lo, exec_lo, s0
	s_and_saveexec_b32 s0, vcc_lo
	s_cbranch_execnz .LBB351_2056
.LBB351_2023:
	s_or_b32 exec_lo, exec_lo, s0
	s_and_saveexec_b32 s0, vcc_lo
	s_cbranch_execnz .LBB351_2057
.LBB351_2024:
	s_or_b32 exec_lo, exec_lo, s0
	s_and_saveexec_b32 s0, vcc_lo
	s_cbranch_execnz .LBB351_2058
.LBB351_2025:
	s_or_b32 exec_lo, exec_lo, s0
	s_and_saveexec_b32 s0, vcc_lo
	s_cbranch_execnz .LBB351_2059
.LBB351_2026:
	s_or_b32 exec_lo, exec_lo, s0
	s_and_saveexec_b32 s0, vcc_lo
	s_cbranch_execnz .LBB351_2060
.LBB351_2027:
	s_or_b32 exec_lo, exec_lo, s0
	s_and_saveexec_b32 s0, vcc_lo
	s_cbranch_execnz .LBB351_2061
.LBB351_2028:
	s_or_b32 exec_lo, exec_lo, s0
	s_and_saveexec_b32 s0, vcc_lo
	s_cbranch_execnz .LBB351_2062
.LBB351_2029:
	s_or_b32 exec_lo, exec_lo, s0
	s_and_saveexec_b32 s0, vcc_lo
	s_cbranch_execnz .LBB351_2063
.LBB351_2030:
	s_or_b32 exec_lo, exec_lo, s0
	s_and_saveexec_b32 s0, vcc_lo
	s_cbranch_execnz .LBB351_2064
.LBB351_2031:
	s_or_b32 exec_lo, exec_lo, s0
	s_and_saveexec_b32 s0, vcc_lo
	s_cbranch_execnz .LBB351_2065
.LBB351_2032:
	s_or_b32 exec_lo, exec_lo, s0
	s_and_saveexec_b32 s0, vcc_lo
	s_cbranch_execnz .LBB351_2066
.LBB351_2033:
	s_or_b32 exec_lo, exec_lo, s0
	s_and_saveexec_b32 s0, vcc_lo
	s_cbranch_execnz .LBB351_2067
.LBB351_2034:
	s_or_b32 exec_lo, exec_lo, s0
	s_and_saveexec_b32 s0, vcc_lo
	s_cbranch_execz .LBB351_2036
.LBB351_2035:
	ds_load_b32 v15, v15 offset:448
	s_wait_dscnt 0x0
	v_add_f32_e32 v14, v15, v14
.LBB351_2036:
	s_or_b32 exec_lo, exec_lo, s0
.LBB351_2037:
	s_delay_alu instid0(SALU_CYCLE_1)
	s_or_b32 exec_lo, exec_lo, s1
	s_mov_b32 s1, 0
	s_mov_b32 s2, exec_lo
	s_barrier_signal -1
	s_barrier_wait -1
	v_cmpx_eq_u32_e32 0, v17
	s_cbranch_execz .LBB351_2039
; %bb.2038:
	scratch_load_b64 v[16:17], off, s32 offset:896 th:TH_LOAD_LU ; 8-byte Folded Reload
	s_and_b32 s0, 0xffff, s13
	v_dual_mov_b32 v19, 0 :: v_dual_lshrrev_b32 v18, 1, v37
	s_cmp_lg_u32 s0, 0
	s_cselect_b32 s0, -1, 0
	s_delay_alu instid0(SALU_CYCLE_1)
	s_cmp_lg_u32 s0, 0
	s_add_co_ci_u32 s0, s5, 0
	s_bfe_u32 s8, ttmp6, 0x40014
	s_mul_i32 s5, s0, s11
	s_lshr_b32 s3, ttmp7, 16
	s_mul_i32 s5, s5, s12
	s_add_co_i32 s8, s8, 1
	s_mul_i32 s6, s5, 0x78
	s_bfe_u32 s9, ttmp6, 0x40008
	s_ashr_i32 s7, s6, 31
	s_mul_i32 s4, s4, s0
	s_mul_i32 s0, s3, s8
	s_ashr_i32 s5, s4, 31
	s_add_co_i32 s9, s9, s0
	s_cmp_eq_u32 s10, 0
	s_cselect_b32 s0, s3, s9
	s_delay_alu instid0(SALU_CYCLE_1) | instskip(NEXT) | instid1(SALU_CYCLE_1)
	s_mulk_i32 s0, 0xf0
	v_cvt_pk_bf16_f32 v15, v12, s0
	v_cvt_pk_bf16_f32 v20, v13, s0
	;; [unrolled: 1-line block ×14, first 2 shown]
	s_wait_loadcnt 0x0
	v_lshl_add_u64 v[16:17], s[6:7], 1, v[16:17]
	s_delay_alu instid0(VALU_DEP_1) | instskip(NEXT) | instid1(VALU_DEP_1)
	v_lshl_add_u64 v[16:17], s[4:5], 1, v[16:17]
	v_add_nc_u64_e32 v[16:17], s[0:1], v[16:17]
	s_delay_alu instid0(VALU_DEP_1)
	v_add_nc_u64_e32 v[12:13], v[16:17], v[18:19]
	s_clause 0x7
	flat_store_b16 v[12:13], v15
	flat_store_b16 v[12:13], v20 offset:16
	flat_store_b16 v[12:13], v10 offset:32
	flat_store_b16 v[12:13], v11 offset:48
	flat_store_b16 v[12:13], v8 offset:64
	flat_store_b16 v[12:13], v9 offset:80
	flat_store_b16 v[12:13], v6 offset:96
	flat_store_b16 v[12:13], v7 offset:112
	s_wait_xcnt 0x1
	v_cvt_pk_bf16_f32 v6, v14, s0
	s_clause 0x6
	flat_store_b16 v[12:13], v4 offset:128
	flat_store_b16 v[12:13], v5 offset:144
	;; [unrolled: 1-line block ×7, first 2 shown]
.LBB351_2039:
	s_wait_xcnt 0x0
	s_or_b32 exec_lo, exec_lo, s2
	s_clause 0x2f
	scratch_load_b32 v127, off, s32
	scratch_load_b32 v126, off, s32 offset:4
	scratch_load_b32 v125, off, s32 offset:8
	;; [unrolled: 1-line block ×47, first 2 shown]
	s_wait_loadcnt_dscnt 0x0
	s_set_pc_i64 s[30:31]
.LBB351_2040:
	ds_load_b32 v17, v15
	s_wait_dscnt 0x0
	v_add_f32_e32 v12, v17, v12
	s_or_b32 exec_lo, exec_lo, s0
	s_and_saveexec_b32 s0, vcc_lo
	s_cbranch_execz .LBB351_2002
.LBB351_2041:
	ds_load_b32 v17, v15 offset:32
	s_wait_dscnt 0x0
	v_add_f32_e32 v13, v17, v13
	s_or_b32 exec_lo, exec_lo, s0
	s_and_saveexec_b32 s0, vcc_lo
	s_cbranch_execz .LBB351_2003
.LBB351_2042:
	ds_load_b32 v17, v15 offset:64
	s_wait_dscnt 0x0
	v_add_f32_e32 v10, v17, v10
	s_or_b32 exec_lo, exec_lo, s0
	s_and_saveexec_b32 s0, vcc_lo
	s_cbranch_execz .LBB351_2004
.LBB351_2043:
	ds_load_b32 v17, v15 offset:96
	s_wait_dscnt 0x0
	v_add_f32_e32 v11, v17, v11
	s_or_b32 exec_lo, exec_lo, s0
	s_and_saveexec_b32 s0, vcc_lo
	s_cbranch_execz .LBB351_2005
.LBB351_2044:
	ds_load_b32 v17, v15 offset:128
	s_wait_dscnt 0x0
	v_add_f32_e32 v8, v17, v8
	s_or_b32 exec_lo, exec_lo, s0
	s_and_saveexec_b32 s0, vcc_lo
	s_cbranch_execz .LBB351_2006
.LBB351_2045:
	ds_load_b32 v17, v15 offset:160
	s_wait_dscnt 0x0
	v_add_f32_e32 v9, v17, v9
	s_or_b32 exec_lo, exec_lo, s0
	s_and_saveexec_b32 s0, vcc_lo
	s_cbranch_execz .LBB351_2007
.LBB351_2046:
	ds_load_b32 v17, v15 offset:192
	s_wait_dscnt 0x0
	v_add_f32_e32 v6, v17, v6
	s_or_b32 exec_lo, exec_lo, s0
	s_and_saveexec_b32 s0, vcc_lo
	s_cbranch_execz .LBB351_2008
.LBB351_2047:
	ds_load_b32 v17, v15 offset:224
	s_wait_dscnt 0x0
	v_add_f32_e32 v7, v17, v7
	s_or_b32 exec_lo, exec_lo, s0
	s_and_saveexec_b32 s0, vcc_lo
	s_cbranch_execz .LBB351_2009
.LBB351_2048:
	ds_load_b32 v17, v15 offset:256
	s_wait_dscnt 0x0
	v_add_f32_e32 v4, v17, v4
	s_or_b32 exec_lo, exec_lo, s0
	s_and_saveexec_b32 s0, vcc_lo
	s_cbranch_execz .LBB351_2010
.LBB351_2049:
	ds_load_b32 v17, v15 offset:288
	s_wait_dscnt 0x0
	v_add_f32_e32 v5, v17, v5
	s_or_b32 exec_lo, exec_lo, s0
	s_and_saveexec_b32 s0, vcc_lo
	s_cbranch_execz .LBB351_2011
.LBB351_2050:
	ds_load_b32 v17, v15 offset:320
	s_wait_dscnt 0x0
	v_add_f32_e32 v2, v17, v2
	s_or_b32 exec_lo, exec_lo, s0
	s_and_saveexec_b32 s0, vcc_lo
	s_cbranch_execz .LBB351_2012
.LBB351_2051:
	ds_load_b32 v17, v15 offset:352
	s_wait_dscnt 0x0
	v_add_f32_e32 v3, v17, v3
	s_or_b32 exec_lo, exec_lo, s0
	s_and_saveexec_b32 s0, vcc_lo
	s_cbranch_execz .LBB351_2013
.LBB351_2052:
	ds_load_b32 v17, v15 offset:384
	s_wait_dscnt 0x0
	v_add_f32_e32 v0, v17, v0
	s_or_b32 exec_lo, exec_lo, s0
	s_and_saveexec_b32 s0, vcc_lo
	s_cbranch_execz .LBB351_2014
.LBB351_2053:
	ds_load_b32 v17, v15 offset:416
	s_wait_dscnt 0x0
	v_add_f32_e32 v1, v17, v1
	s_or_b32 exec_lo, exec_lo, s0
	s_and_saveexec_b32 s0, vcc_lo
	s_cbranch_execnz .LBB351_2015
	s_branch .LBB351_2016
.LBB351_2054:
	ds_load_b32 v16, v15
	s_wait_dscnt 0x0
	v_add_f32_e32 v12, v16, v12
	s_or_b32 exec_lo, exec_lo, s0
	s_and_saveexec_b32 s0, vcc_lo
	s_cbranch_execz .LBB351_2022
.LBB351_2055:
	ds_load_b32 v16, v15 offset:32
	s_wait_dscnt 0x0
	v_add_f32_e32 v13, v16, v13
	s_or_b32 exec_lo, exec_lo, s0
	s_and_saveexec_b32 s0, vcc_lo
	s_cbranch_execz .LBB351_2023
.LBB351_2056:
	ds_load_b32 v16, v15 offset:64
	s_wait_dscnt 0x0
	v_add_f32_e32 v10, v16, v10
	s_or_b32 exec_lo, exec_lo, s0
	s_and_saveexec_b32 s0, vcc_lo
	s_cbranch_execz .LBB351_2024
.LBB351_2057:
	ds_load_b32 v16, v15 offset:96
	s_wait_dscnt 0x0
	v_add_f32_e32 v11, v16, v11
	s_or_b32 exec_lo, exec_lo, s0
	s_and_saveexec_b32 s0, vcc_lo
	s_cbranch_execz .LBB351_2025
.LBB351_2058:
	ds_load_b32 v16, v15 offset:128
	s_wait_dscnt 0x0
	v_add_f32_e32 v8, v16, v8
	s_or_b32 exec_lo, exec_lo, s0
	s_and_saveexec_b32 s0, vcc_lo
	s_cbranch_execz .LBB351_2026
.LBB351_2059:
	ds_load_b32 v16, v15 offset:160
	s_wait_dscnt 0x0
	v_add_f32_e32 v9, v16, v9
	s_or_b32 exec_lo, exec_lo, s0
	s_and_saveexec_b32 s0, vcc_lo
	s_cbranch_execz .LBB351_2027
.LBB351_2060:
	ds_load_b32 v16, v15 offset:192
	s_wait_dscnt 0x0
	v_add_f32_e32 v6, v16, v6
	s_or_b32 exec_lo, exec_lo, s0
	s_and_saveexec_b32 s0, vcc_lo
	s_cbranch_execz .LBB351_2028
.LBB351_2061:
	ds_load_b32 v16, v15 offset:224
	s_wait_dscnt 0x0
	v_add_f32_e32 v7, v16, v7
	s_or_b32 exec_lo, exec_lo, s0
	s_and_saveexec_b32 s0, vcc_lo
	s_cbranch_execz .LBB351_2029
.LBB351_2062:
	ds_load_b32 v16, v15 offset:256
	s_wait_dscnt 0x0
	v_add_f32_e32 v4, v16, v4
	s_or_b32 exec_lo, exec_lo, s0
	s_and_saveexec_b32 s0, vcc_lo
	s_cbranch_execz .LBB351_2030
.LBB351_2063:
	ds_load_b32 v16, v15 offset:288
	s_wait_dscnt 0x0
	v_add_f32_e32 v5, v16, v5
	s_or_b32 exec_lo, exec_lo, s0
	s_and_saveexec_b32 s0, vcc_lo
	s_cbranch_execz .LBB351_2031
.LBB351_2064:
	ds_load_b32 v16, v15 offset:320
	s_wait_dscnt 0x0
	v_add_f32_e32 v2, v16, v2
	s_or_b32 exec_lo, exec_lo, s0
	s_and_saveexec_b32 s0, vcc_lo
	s_cbranch_execz .LBB351_2032
.LBB351_2065:
	ds_load_b32 v16, v15 offset:352
	s_wait_dscnt 0x0
	v_add_f32_e32 v3, v16, v3
	s_or_b32 exec_lo, exec_lo, s0
	s_and_saveexec_b32 s0, vcc_lo
	s_cbranch_execz .LBB351_2033
.LBB351_2066:
	ds_load_b32 v16, v15 offset:384
	s_wait_dscnt 0x0
	v_add_f32_e32 v0, v16, v0
	s_or_b32 exec_lo, exec_lo, s0
	s_and_saveexec_b32 s0, vcc_lo
	s_cbranch_execz .LBB351_2034
.LBB351_2067:
	ds_load_b32 v16, v15 offset:416
	s_wait_dscnt 0x0
	v_add_f32_e32 v1, v16, v1
	s_or_b32 exec_lo, exec_lo, s0
	s_and_saveexec_b32 s0, vcc_lo
	s_cbranch_execnz .LBB351_2035
	s_branch .LBB351_2036
.Lfunc_end351:
	.size	_ZN4vllm22paged_attention_kernelI14__hip_bfloat16hLi120ELi32ELi128ELNS_18Fp8KVCacheDataTypeE1ELb1ELi0EEEvPfS3_PT_PKS4_PKT0_SA_ifPKiSC_iPKfiiiSE_SE_iiiii, .Lfunc_end351-_ZN4vllm22paged_attention_kernelI14__hip_bfloat16hLi120ELi32ELi128ELNS_18Fp8KVCacheDataTypeE1ELb1ELi0EEEvPfS3_PT_PKS4_PKT0_SA_ifPKiSC_iPKfiiiSE_SE_iiiii
                                        ; -- End function
	.set .L_ZN4vllm22paged_attention_kernelI14__hip_bfloat16hLi120ELi32ELi128ELNS_18Fp8KVCacheDataTypeE1ELb1ELi0EEEvPfS3_PT_PKS4_PKT0_SA_ifPKiSC_iPKfiiiSE_SE_iiiii.num_vgpr, 128
	.set .L_ZN4vllm22paged_attention_kernelI14__hip_bfloat16hLi120ELi32ELi128ELNS_18Fp8KVCacheDataTypeE1ELb1ELi0EEEvPfS3_PT_PKS4_PKT0_SA_ifPKiSC_iPKfiiiSE_SE_iiiii.num_agpr, 0
	.set .L_ZN4vllm22paged_attention_kernelI14__hip_bfloat16hLi120ELi32ELi128ELNS_18Fp8KVCacheDataTypeE1ELb1ELi0EEEvPfS3_PT_PKS4_PKT0_SA_ifPKiSC_iPKfiiiSE_SE_iiiii.numbered_sgpr, 33
	.set .L_ZN4vllm22paged_attention_kernelI14__hip_bfloat16hLi120ELi32ELi128ELNS_18Fp8KVCacheDataTypeE1ELb1ELi0EEEvPfS3_PT_PKS4_PKT0_SA_ifPKiSC_iPKfiiiSE_SE_iiiii.num_named_barrier, 0
	.set .L_ZN4vllm22paged_attention_kernelI14__hip_bfloat16hLi120ELi32ELi128ELNS_18Fp8KVCacheDataTypeE1ELb1ELi0EEEvPfS3_PT_PKS4_PKT0_SA_ifPKiSC_iPKfiiiSE_SE_iiiii.private_seg_size, 936
	.set .L_ZN4vllm22paged_attention_kernelI14__hip_bfloat16hLi120ELi32ELi128ELNS_18Fp8KVCacheDataTypeE1ELb1ELi0EEEvPfS3_PT_PKS4_PKT0_SA_ifPKiSC_iPKfiiiSE_SE_iiiii.uses_vcc, 1
	.set .L_ZN4vllm22paged_attention_kernelI14__hip_bfloat16hLi120ELi32ELi128ELNS_18Fp8KVCacheDataTypeE1ELb1ELi0EEEvPfS3_PT_PKS4_PKT0_SA_ifPKiSC_iPKfiiiSE_SE_iiiii.uses_flat_scratch, 1
	.set .L_ZN4vllm22paged_attention_kernelI14__hip_bfloat16hLi120ELi32ELi128ELNS_18Fp8KVCacheDataTypeE1ELb1ELi0EEEvPfS3_PT_PKS4_PKT0_SA_ifPKiSC_iPKfiiiSE_SE_iiiii.has_dyn_sized_stack, 0
	.set .L_ZN4vllm22paged_attention_kernelI14__hip_bfloat16hLi120ELi32ELi128ELNS_18Fp8KVCacheDataTypeE1ELb1ELi0EEEvPfS3_PT_PKS4_PKT0_SA_ifPKiSC_iPKfiiiSE_SE_iiiii.has_recursion, 0
	.set .L_ZN4vllm22paged_attention_kernelI14__hip_bfloat16hLi120ELi32ELi128ELNS_18Fp8KVCacheDataTypeE1ELb1ELi0EEEvPfS3_PT_PKS4_PKT0_SA_ifPKiSC_iPKfiiiSE_SE_iiiii.has_indirect_call, 0
	.section	.AMDGPU.csdata,"",@progbits
; Function info:
; codeLenInByte = 76608
; TotalNumSgprs: 35
; NumVgprs: 128
; ScratchSize: 936
; MemoryBound: 0
	.section	.text._ZN4vllm25paged_attention_v1_kernelI14__hip_bfloat16hLi120ELi32ELi128ELNS_18Fp8KVCacheDataTypeE1ELb1EEEvPT_PKS3_PKT0_S9_ifPKiSB_iPKfiiiSD_SD_iiiii,"axG",@progbits,_ZN4vllm25paged_attention_v1_kernelI14__hip_bfloat16hLi120ELi32ELi128ELNS_18Fp8KVCacheDataTypeE1ELb1EEEvPT_PKS3_PKT0_S9_ifPKiSB_iPKfiiiSD_SD_iiiii,comdat
	.protected	_ZN4vllm25paged_attention_v1_kernelI14__hip_bfloat16hLi120ELi32ELi128ELNS_18Fp8KVCacheDataTypeE1ELb1EEEvPT_PKS3_PKT0_S9_ifPKiSB_iPKfiiiSD_SD_iiiii ; -- Begin function _ZN4vllm25paged_attention_v1_kernelI14__hip_bfloat16hLi120ELi32ELi128ELNS_18Fp8KVCacheDataTypeE1ELb1EEEvPT_PKS3_PKT0_S9_ifPKiSB_iPKfiiiSD_SD_iiiii
	.globl	_ZN4vllm25paged_attention_v1_kernelI14__hip_bfloat16hLi120ELi32ELi128ELNS_18Fp8KVCacheDataTypeE1ELb1EEEvPT_PKS3_PKT0_S9_ifPKiSB_iPKfiiiSD_SD_iiiii
	.p2align	8
	.type	_ZN4vllm25paged_attention_v1_kernelI14__hip_bfloat16hLi120ELi32ELi128ELNS_18Fp8KVCacheDataTypeE1ELb1EEEvPT_PKS3_PKT0_S9_ifPKiSB_iPKfiiiSD_SD_iiiii,@function
_ZN4vllm25paged_attention_v1_kernelI14__hip_bfloat16hLi120ELi32ELi128ELNS_18Fp8KVCacheDataTypeE1ELb1EEEvPT_PKS3_PKT0_S9_ifPKiSB_iPKfiiiSD_SD_iiiii: ; @_ZN4vllm25paged_attention_v1_kernelI14__hip_bfloat16hLi120ELi32ELi128ELNS_18Fp8KVCacheDataTypeE1ELb1EEEvPT_PKS3_PKT0_S9_ifPKiSB_iPKfiiiSD_SD_iiiii
; %bb.0:
	s_clause 0x6
	s_load_b256 s[12:19], s[0:1], 0x0
	s_load_b128 s[4:7], s[0:1], 0x20
	s_load_b96 s[28:30], s[0:1], 0x30
	s_load_b64 s[10:11], s[0:1], 0x40
	s_load_b96 s[36:38], s[0:1], 0x48
	s_load_b256 s[20:27], s[0:1], 0x58
	s_load_b32 s31, s[0:1], 0x78
	v_mov_b32_e32 v31, v0
	s_get_pc_i64 s[2:3]
	s_add_nc_u64 s[2:3], s[2:3], _ZN4vllm22paged_attention_kernelI14__hip_bfloat16hLi120ELi32ELi128ELNS_18Fp8KVCacheDataTypeE1ELb1ELi0EEEvPfS3_PT_PKS4_PKT0_SA_ifPKiSC_iPKfiiiSE_SE_iiiii@rel64+4
	s_add_nc_u64 s[8:9], s[0:1], 0x80
	s_mov_b32 s32, 0
	s_wait_kmcnt 0x0
	v_dual_mov_b32 v15, s10 :: v_dual_mov_b32 v16, s11
	v_dual_mov_b32 v0, s12 :: v_dual_mov_b32 v1, s13
	;; [unrolled: 1-line block ×14, first 2 shown]
	v_mov_b32_e32 v28, s31
	s_mov_b32 s15, 3
	s_swap_pc_i64 s[30:31], s[2:3]
	s_endpgm
	.section	.rodata,"a",@progbits
	.p2align	6, 0x0
	.amdhsa_kernel _ZN4vllm25paged_attention_v1_kernelI14__hip_bfloat16hLi120ELi32ELi128ELNS_18Fp8KVCacheDataTypeE1ELb1EEEvPT_PKS3_PKT0_S9_ifPKiSB_iPKfiiiSD_SD_iiiii
		.amdhsa_group_segment_fixed_size 272
		.amdhsa_private_segment_fixed_size 936
		.amdhsa_kernarg_size 384
		.amdhsa_user_sgpr_count 2
		.amdhsa_user_sgpr_dispatch_ptr 0
		.amdhsa_user_sgpr_queue_ptr 0
		.amdhsa_user_sgpr_kernarg_segment_ptr 1
		.amdhsa_user_sgpr_dispatch_id 0
		.amdhsa_user_sgpr_kernarg_preload_length 0
		.amdhsa_user_sgpr_kernarg_preload_offset 0
		.amdhsa_user_sgpr_private_segment_size 0
		.amdhsa_wavefront_size32 1
		.amdhsa_uses_dynamic_stack 0
		.amdhsa_enable_private_segment 1
		.amdhsa_system_sgpr_workgroup_id_x 1
		.amdhsa_system_sgpr_workgroup_id_y 1
		.amdhsa_system_sgpr_workgroup_id_z 1
		.amdhsa_system_sgpr_workgroup_info 0
		.amdhsa_system_vgpr_workitem_id 0
		.amdhsa_next_free_vgpr 128
		.amdhsa_next_free_sgpr 39
		.amdhsa_named_barrier_count 0
		.amdhsa_reserve_vcc 1
		.amdhsa_float_round_mode_32 0
		.amdhsa_float_round_mode_16_64 0
		.amdhsa_float_denorm_mode_32 3
		.amdhsa_float_denorm_mode_16_64 3
		.amdhsa_fp16_overflow 0
		.amdhsa_memory_ordered 1
		.amdhsa_forward_progress 1
		.amdhsa_inst_pref_size 2
		.amdhsa_round_robin_scheduling 0
		.amdhsa_exception_fp_ieee_invalid_op 0
		.amdhsa_exception_fp_denorm_src 0
		.amdhsa_exception_fp_ieee_div_zero 0
		.amdhsa_exception_fp_ieee_overflow 0
		.amdhsa_exception_fp_ieee_underflow 0
		.amdhsa_exception_fp_ieee_inexact 0
		.amdhsa_exception_int_div_zero 0
	.end_amdhsa_kernel
	.section	.text._ZN4vllm25paged_attention_v1_kernelI14__hip_bfloat16hLi120ELi32ELi128ELNS_18Fp8KVCacheDataTypeE1ELb1EEEvPT_PKS3_PKT0_S9_ifPKiSB_iPKfiiiSD_SD_iiiii,"axG",@progbits,_ZN4vllm25paged_attention_v1_kernelI14__hip_bfloat16hLi120ELi32ELi128ELNS_18Fp8KVCacheDataTypeE1ELb1EEEvPT_PKS3_PKT0_S9_ifPKiSB_iPKfiiiSD_SD_iiiii,comdat
.Lfunc_end352:
	.size	_ZN4vllm25paged_attention_v1_kernelI14__hip_bfloat16hLi120ELi32ELi128ELNS_18Fp8KVCacheDataTypeE1ELb1EEEvPT_PKS3_PKT0_S9_ifPKiSB_iPKfiiiSD_SD_iiiii, .Lfunc_end352-_ZN4vllm25paged_attention_v1_kernelI14__hip_bfloat16hLi120ELi32ELi128ELNS_18Fp8KVCacheDataTypeE1ELb1EEEvPT_PKS3_PKT0_S9_ifPKiSB_iPKfiiiSD_SD_iiiii
                                        ; -- End function
	.set _ZN4vllm25paged_attention_v1_kernelI14__hip_bfloat16hLi120ELi32ELi128ELNS_18Fp8KVCacheDataTypeE1ELb1EEEvPT_PKS3_PKT0_S9_ifPKiSB_iPKfiiiSD_SD_iiiii.num_vgpr, max(32, .L_ZN4vllm22paged_attention_kernelI14__hip_bfloat16hLi120ELi32ELi128ELNS_18Fp8KVCacheDataTypeE1ELb1ELi0EEEvPfS3_PT_PKS4_PKT0_SA_ifPKiSC_iPKfiiiSE_SE_iiiii.num_vgpr)
	.set _ZN4vllm25paged_attention_v1_kernelI14__hip_bfloat16hLi120ELi32ELi128ELNS_18Fp8KVCacheDataTypeE1ELb1EEEvPT_PKS3_PKT0_S9_ifPKiSB_iPKfiiiSD_SD_iiiii.num_agpr, max(0, .L_ZN4vllm22paged_attention_kernelI14__hip_bfloat16hLi120ELi32ELi128ELNS_18Fp8KVCacheDataTypeE1ELb1ELi0EEEvPfS3_PT_PKS4_PKT0_SA_ifPKiSC_iPKfiiiSE_SE_iiiii.num_agpr)
	.set _ZN4vllm25paged_attention_v1_kernelI14__hip_bfloat16hLi120ELi32ELi128ELNS_18Fp8KVCacheDataTypeE1ELb1EEEvPT_PKS3_PKT0_S9_ifPKiSB_iPKfiiiSD_SD_iiiii.numbered_sgpr, max(39, .L_ZN4vllm22paged_attention_kernelI14__hip_bfloat16hLi120ELi32ELi128ELNS_18Fp8KVCacheDataTypeE1ELb1ELi0EEEvPfS3_PT_PKS4_PKT0_SA_ifPKiSC_iPKfiiiSE_SE_iiiii.numbered_sgpr)
	.set _ZN4vllm25paged_attention_v1_kernelI14__hip_bfloat16hLi120ELi32ELi128ELNS_18Fp8KVCacheDataTypeE1ELb1EEEvPT_PKS3_PKT0_S9_ifPKiSB_iPKfiiiSD_SD_iiiii.num_named_barrier, max(0, .L_ZN4vllm22paged_attention_kernelI14__hip_bfloat16hLi120ELi32ELi128ELNS_18Fp8KVCacheDataTypeE1ELb1ELi0EEEvPfS3_PT_PKS4_PKT0_SA_ifPKiSC_iPKfiiiSE_SE_iiiii.num_named_barrier)
	.set _ZN4vllm25paged_attention_v1_kernelI14__hip_bfloat16hLi120ELi32ELi128ELNS_18Fp8KVCacheDataTypeE1ELb1EEEvPT_PKS3_PKT0_S9_ifPKiSB_iPKfiiiSD_SD_iiiii.private_seg_size, 0+max(.L_ZN4vllm22paged_attention_kernelI14__hip_bfloat16hLi120ELi32ELi128ELNS_18Fp8KVCacheDataTypeE1ELb1ELi0EEEvPfS3_PT_PKS4_PKT0_SA_ifPKiSC_iPKfiiiSE_SE_iiiii.private_seg_size)
	.set _ZN4vllm25paged_attention_v1_kernelI14__hip_bfloat16hLi120ELi32ELi128ELNS_18Fp8KVCacheDataTypeE1ELb1EEEvPT_PKS3_PKT0_S9_ifPKiSB_iPKfiiiSD_SD_iiiii.uses_vcc, or(1, .L_ZN4vllm22paged_attention_kernelI14__hip_bfloat16hLi120ELi32ELi128ELNS_18Fp8KVCacheDataTypeE1ELb1ELi0EEEvPfS3_PT_PKS4_PKT0_SA_ifPKiSC_iPKfiiiSE_SE_iiiii.uses_vcc)
	.set _ZN4vllm25paged_attention_v1_kernelI14__hip_bfloat16hLi120ELi32ELi128ELNS_18Fp8KVCacheDataTypeE1ELb1EEEvPT_PKS3_PKT0_S9_ifPKiSB_iPKfiiiSD_SD_iiiii.uses_flat_scratch, or(0, .L_ZN4vllm22paged_attention_kernelI14__hip_bfloat16hLi120ELi32ELi128ELNS_18Fp8KVCacheDataTypeE1ELb1ELi0EEEvPfS3_PT_PKS4_PKT0_SA_ifPKiSC_iPKfiiiSE_SE_iiiii.uses_flat_scratch)
	.set _ZN4vllm25paged_attention_v1_kernelI14__hip_bfloat16hLi120ELi32ELi128ELNS_18Fp8KVCacheDataTypeE1ELb1EEEvPT_PKS3_PKT0_S9_ifPKiSB_iPKfiiiSD_SD_iiiii.has_dyn_sized_stack, or(0, .L_ZN4vllm22paged_attention_kernelI14__hip_bfloat16hLi120ELi32ELi128ELNS_18Fp8KVCacheDataTypeE1ELb1ELi0EEEvPfS3_PT_PKS4_PKT0_SA_ifPKiSC_iPKfiiiSE_SE_iiiii.has_dyn_sized_stack)
	.set _ZN4vllm25paged_attention_v1_kernelI14__hip_bfloat16hLi120ELi32ELi128ELNS_18Fp8KVCacheDataTypeE1ELb1EEEvPT_PKS3_PKT0_S9_ifPKiSB_iPKfiiiSD_SD_iiiii.has_recursion, or(0, .L_ZN4vllm22paged_attention_kernelI14__hip_bfloat16hLi120ELi32ELi128ELNS_18Fp8KVCacheDataTypeE1ELb1ELi0EEEvPfS3_PT_PKS4_PKT0_SA_ifPKiSC_iPKfiiiSE_SE_iiiii.has_recursion)
	.set _ZN4vllm25paged_attention_v1_kernelI14__hip_bfloat16hLi120ELi32ELi128ELNS_18Fp8KVCacheDataTypeE1ELb1EEEvPT_PKS3_PKT0_S9_ifPKiSB_iPKfiiiSD_SD_iiiii.has_indirect_call, or(0, .L_ZN4vllm22paged_attention_kernelI14__hip_bfloat16hLi120ELi32ELi128ELNS_18Fp8KVCacheDataTypeE1ELb1ELi0EEEvPfS3_PT_PKS4_PKT0_SA_ifPKiSC_iPKfiiiSE_SE_iiiii.has_indirect_call)
	.section	.AMDGPU.csdata,"",@progbits
; Kernel info:
; codeLenInByte = 224
; TotalNumSgprs: 41
; NumVgprs: 128
; ScratchSize: 936
; MemoryBound: 0
; FloatMode: 240
; IeeeMode: 1
; LDSByteSize: 272 bytes/workgroup (compile time only)
; SGPRBlocks: 0
; VGPRBlocks: 7
; NumSGPRsForWavesPerEU: 41
; NumVGPRsForWavesPerEU: 128
; NamedBarCnt: 0
; Occupancy: 8
; WaveLimiterHint : 1
; COMPUTE_PGM_RSRC2:SCRATCH_EN: 1
; COMPUTE_PGM_RSRC2:USER_SGPR: 2
; COMPUTE_PGM_RSRC2:TRAP_HANDLER: 0
; COMPUTE_PGM_RSRC2:TGID_X_EN: 1
; COMPUTE_PGM_RSRC2:TGID_Y_EN: 1
; COMPUTE_PGM_RSRC2:TGID_Z_EN: 1
; COMPUTE_PGM_RSRC2:TIDIG_COMP_CNT: 0
	.text
	.p2align	2                               ; -- Begin function _ZN4vllm22paged_attention_kernelI14__hip_bfloat16hLi128ELi32ELi128ELNS_18Fp8KVCacheDataTypeE1ELb1ELi0EEEvPfS3_PT_PKS4_PKT0_SA_ifPKiSC_iPKfiiiSE_SE_iiiii
	.type	_ZN4vllm22paged_attention_kernelI14__hip_bfloat16hLi128ELi32ELi128ELNS_18Fp8KVCacheDataTypeE1ELb1ELi0EEEvPfS3_PT_PKS4_PKT0_SA_ifPKiSC_iPKfiiiSE_SE_iiiii,@function
_ZN4vllm22paged_attention_kernelI14__hip_bfloat16hLi128ELi32ELi128ELNS_18Fp8KVCacheDataTypeE1ELb1ELi0EEEvPfS3_PT_PKS4_PKT0_SA_ifPKiSC_iPKfiiiSE_SE_iiiii: ; @_ZN4vllm22paged_attention_kernelI14__hip_bfloat16hLi128ELi32ELi128ELNS_18Fp8KVCacheDataTypeE1ELb1ELi0EEEvPfS3_PT_PKS4_PKT0_SA_ifPKiSC_iPKfiiiSE_SE_iiiii
; %bb.0:
	s_wait_loadcnt_dscnt 0x0
	s_wait_kmcnt 0x0
	s_clause 0x2f
	scratch_store_b32 off, v40, s32 offset:188
	; meta instruction
	scratch_store_b32 off, v41, s32 offset:184
	; meta instruction
	;; [unrolled: 2-line block ×47, first 2 shown]
	scratch_store_b32 off, v127, s32
	s_bfe_u32 s0, ttmp6, 0x4000c
	s_bfe_u32 s3, ttmp6, 0x40010
	s_add_co_i32 s0, s0, 1
	s_and_b32 s1, ttmp6, 15
	s_mul_i32 s0, ttmp9, s0
	s_and_b32 s4, ttmp7, 0xffff
	s_add_co_i32 s3, s3, 1
	s_add_co_i32 s1, s1, s0
	s_mul_i32 s0, s4, s3
	s_bfe_u32 s3, ttmp6, 0x40004
	s_getreg_b32 s10, hwreg(HW_REG_IB_STS2, 6, 4)
	s_add_co_i32 s3, s3, s0
	s_cmp_eq_u32 s10, 0
	s_mov_b32 s7, 0
	s_cselect_b32 s11, s4, s3
	s_cselect_b32 s0, ttmp9, s1
	s_lshl_b32 s6, s11, 2
	v_dual_mov_b32 v39, v7 :: v_dual_mov_b32 v38, v6
	v_add_nc_u64_e32 v[6:7], s[6:7], v[12:13]
	s_clause 0x4
	scratch_store_b64 off, v[22:23], s32 offset:528
	scratch_store_b64 off, v[20:21], s32 offset:376
	;; [unrolled: 1-line block ×4, first 2 shown]
	scratch_store_b32 off, v9, s32 offset:384
	s_clause 0x1
	s_load_u16 s1, s[8:9], 0x12
	s_load_b32 s3, s[8:9], 0x0
	v_dual_mov_b32 v33, v16 :: v_dual_mov_b32 v32, v15
	s_mov_b32 s2, s15
	flat_load_b32 v6, v[6:7]
	scratch_store_b64 off, v[0:1], s32 offset:988 ; 8-byte Folded Spill
	s_wait_xcnt 0x0
	v_mov_b32_e32 v1, 0
	s_wait_kmcnt 0x0
	s_cmp_lg_u32 s1, 0
	s_cselect_b32 s1, -1, 0
	s_delay_alu instid0(SALU_CYCLE_1)
	s_cmp_lg_u32 s1, 0
	s_add_co_ci_u32 s12, s3, 0
	s_abs_i32 s6, s0
	s_mov_b32 s3, exec_lo
	s_abs_i32 s1, s12
	s_wait_loadcnt_dscnt 0x0
	scratch_store_b32 off, v6, s32 offset:192 ; 4-byte Folded Spill
	s_wait_xcnt 0x0
	v_sub_nc_u32_e32 v6, 0, v8
	global_load_u16 v0, v1, s[8:9] offset:22
	v_max_i32_e32 v6, v8, v6
	s_delay_alu instid0(VALU_DEP_1) | instskip(NEXT) | instid1(VALU_DEP_1)
	v_cvt_f32_u32_e32 v7, v6
	v_rcp_iflag_f32_e32 v7, v7
	v_nop
	s_delay_alu instid0(TRANS32_DEP_1) | instskip(SKIP_1) | instid1(VALU_DEP_2)
	v_mul_f32_e32 v7, 0x4f7ffffe, v7
	v_sub_nc_u32_e32 v9, 0, v6
	v_cvt_u32_f32_e32 v7, v7
	s_delay_alu instid0(VALU_DEP_1) | instskip(NEXT) | instid1(VALU_DEP_1)
	v_mul_lo_u32 v9, v9, v7
	v_mul_hi_u32 v9, v7, v9
	s_delay_alu instid0(VALU_DEP_1) | instskip(NEXT) | instid1(VALU_DEP_1)
	v_add_nc_u32_e32 v7, v7, v9
	v_mul_hi_u32 v7, s1, v7
	s_delay_alu instid0(VALU_DEP_1) | instskip(NEXT) | instid1(VALU_DEP_1)
	v_mul_lo_u32 v9, v7, v6
	v_dual_add_nc_u32 v10, 1, v7 :: v_dual_sub_nc_u32 v9, s1, v9
	s_delay_alu instid0(VALU_DEP_1) | instskip(SKIP_1) | instid1(VALU_DEP_3)
	v_sub_nc_u32_e32 v11, v9, v6
	v_cmp_ge_u32_e32 vcc_lo, v9, v6
	v_dual_cndmask_b32 v7, v7, v10, vcc_lo :: v_dual_bitop2_b32 v10, s12, v8 bitop3:0x14
	s_delay_alu instid0(VALU_DEP_3) | instskip(NEXT) | instid1(VALU_DEP_2)
	v_cndmask_b32_e32 v9, v9, v11, vcc_lo
	v_dual_add_nc_u32 v11, 1, v7 :: v_dual_ashrrev_i32 v10, 31, v10
	s_delay_alu instid0(VALU_DEP_2) | instskip(NEXT) | instid1(VALU_DEP_2)
	v_cmp_ge_u32_e32 vcc_lo, v9, v6
	v_cndmask_b32_e32 v6, v7, v11, vcc_lo
	s_delay_alu instid0(VALU_DEP_1) | instskip(NEXT) | instid1(VALU_DEP_1)
	v_xor_b32_e32 v6, v6, v10
	v_sub_nc_u32_e32 v7, v6, v10
	s_delay_alu instid0(VALU_DEP_1) | instskip(NEXT) | instid1(VALU_DEP_1)
	v_sub_nc_u32_e32 v6, 0, v7
	v_max_i32_e32 v6, v7, v6
	s_delay_alu instid0(VALU_DEP_1) | instskip(SKIP_1) | instid1(VALU_DEP_2)
	v_cvt_f32_u32_e32 v9, v6
	v_sub_nc_u32_e32 v10, 0, v6
	v_rcp_iflag_f32_e32 v9, v9
	v_nop
	s_delay_alu instid0(TRANS32_DEP_1) | instskip(NEXT) | instid1(VALU_DEP_1)
	v_mul_f32_e32 v9, 0x4f7ffffe, v9
	v_cvt_u32_f32_e32 v9, v9
	s_delay_alu instid0(VALU_DEP_1) | instskip(NEXT) | instid1(VALU_DEP_1)
	v_mul_lo_u32 v10, v10, v9
	v_mul_hi_u32 v10, v9, v10
	s_wait_loadcnt 0x0
	v_readfirstlane_b32 s13, v0
	s_delay_alu instid0(VALU_DEP_2)
	v_add_nc_u32_e32 v0, v9, v10
	v_mov_b32_e32 v9, v1
	scratch_store_b32 off, v9, s32 offset:372 ; 4-byte Folded Spill
	s_wait_xcnt 0x0
	v_cmpx_ne_u64_e32 0, v[32:33]
	s_cbranch_execz .LBB353_2
; %bb.1:
	s_ashr_i32 s1, s0, 31
	s_delay_alu instid0(SALU_CYCLE_1)
	v_lshl_add_u64 v[10:11], s[0:1], 2, v[32:33]
	flat_load_b32 v9, v[10:11]
	s_wait_loadcnt_dscnt 0x0
	scratch_store_b32 off, v9, s32 offset:372 ; 4-byte Folded Spill
.LBB353_2:
	s_wait_xcnt 0x0
	s_or_b32 exec_lo, exec_lo, s3
	v_mul_u64_e32 v[0:1], s[6:7], v[0:1]
	v_and_b32_e32 v29, 0x3ff, v31
	v_ashrrev_i32_e32 v0, 31, v7
	s_ashr_i32 s1, s0, 31
	s_lshl_b32 s4, s0, 7
	s_mov_b32 s3, exec_lo
	v_cmpx_gt_u32_e32 16, v29
	s_cbranch_execz .LBB353_4
; %bb.3:
	v_mul_lo_u32 v10, v17, s11
	s_ashr_i32 s5, s4, 31
	v_dual_mov_b32 v17, 0 :: v_dual_lshlrev_b32 v16, 4, v29
	s_delay_alu instid0(VALU_DEP_2) | instskip(NEXT) | instid1(VALU_DEP_1)
	v_ashrrev_i32_e32 v11, 31, v10
	v_lshl_add_u64 v[2:3], v[10:11], 1, v[2:3]
	s_delay_alu instid0(VALU_DEP_1) | instskip(NEXT) | instid1(VALU_DEP_1)
	v_lshl_add_u64 v[2:3], s[4:5], 1, v[2:3]
	v_add_nc_u64_e32 v[2:3], v[2:3], v[16:17]
	flat_load_b128 v[10:13], v[2:3]
	s_wait_loadcnt_dscnt 0x0
	ds_store_b128 v16, v[10:13]
.LBB353_4:
	s_wait_xcnt 0x0
	s_or_b32 exec_lo, exec_lo, s3
	s_delay_alu instid0(VALU_DEP_4)
	v_dual_sub_nc_u32 v2, 0, v27 :: v_dual_add_nc_u32 v9, 1, v1
	v_mul_lo_u32 v3, v1, v6
	v_xor_b32_e32 v11, s1, v0
	scratch_load_b32 v0, off, s32 offset:192 ; 4-byte Folded Reload
	v_max_i32_e32 v7, v27, v2
	s_mov_b32 s1, exec_lo
	s_delay_alu instid0(VALU_DEP_1) | instskip(SKIP_1) | instid1(VALU_DEP_2)
	v_cvt_f32_u32_e32 v2, v7
	v_sub_nc_u32_e32 v3, s6, v3
	v_rcp_iflag_f32_e32 v2, v2
	s_delay_alu instid0(VALU_DEP_1) | instskip(NEXT) | instid1(TRANS32_DEP_1)
	v_cmp_ge_u32_e32 vcc_lo, v3, v6
	v_mul_f32_e32 v2, 0x4f7ffffe, v2
	scratch_store_b32 off, v7, s32 offset:208 ; 4-byte Folded Spill
	s_wait_xcnt 0x0
	v_dual_sub_nc_u32 v7, 0, v7 :: v_dual_cndmask_b32 v1, v1, v9, vcc_lo
	v_cvt_u32_f32_e32 v2, v2
	s_delay_alu instid0(VALU_DEP_2) | instskip(NEXT) | instid1(VALU_DEP_2)
	v_add_nc_u32_e32 v9, 1, v1
	v_mul_lo_u32 v10, v7, v2
	v_sub_nc_u32_e32 v7, v3, v6
	s_delay_alu instid0(VALU_DEP_1) | instskip(NEXT) | instid1(VALU_DEP_3)
	v_cndmask_b32_e32 v3, v3, v7, vcc_lo
	v_mul_hi_u32 v10, v2, v10
	s_delay_alu instid0(VALU_DEP_1) | instskip(SKIP_4) | instid1(VALU_DEP_3)
	v_add_nc_u32_e32 v12, v2, v10
                                        ; implicit-def: $vgpr2
                                        ; kill: killed $vgpr2
	s_wait_loadcnt 0x0
	v_add_nc_u32_e32 v7, -1, v0
	v_cmp_ge_u32_e32 vcc_lo, v3, v6
	v_dual_cndmask_b32 v0, v1, v9 :: v_dual_mov_b32 v1, 0
	v_sub_nc_u32_e32 v3, 0, v7
	s_delay_alu instid0(VALU_DEP_2) | instskip(NEXT) | instid1(VALU_DEP_2)
	v_dual_mov_b32 v13, v1 :: v_dual_bitop2_b32 v6, v0, v11 bitop3:0x14
	v_max_i32_e32 v0, v7, v3
	s_delay_alu instid0(VALU_DEP_2)
	v_sub_nc_u32_e32 v6, v6, v11
	scratch_store_b64 off, v[12:13], s32 offset:212 ; 8-byte Folded Spill
	s_wait_storecnt_dscnt 0x0
	s_barrier_signal -1
	s_barrier_wait -1
	s_wait_xcnt 0x0
	v_cmpx_gt_i32_e32 0, v28
	s_xor_b32 s1, exec_lo, s1
	s_cbranch_execz .LBB353_6
; %bb.5:
	v_mad_u32 v2, v24, v8, v6
                                        ; implicit-def: $vgpr24
	s_delay_alu instid0(VALU_DEP_1) | instskip(NEXT) | instid1(VALU_DEP_1)
	v_mul_lo_u32 v2, v2, v28
                                        ; implicit-def: $vgpr28
	v_sub_nc_u32_e32 v2, 1, v2
	scratch_store_b32 off, v2, s32 offset:224 ; 4-byte Folded Spill
.LBB353_6:
	s_wait_xcnt 0x0
	s_or_saveexec_b32 s1, s1
	scratch_load_b64 v[2:3], off, s32 offset:212 ; 8-byte Folded Reload
	s_wait_loadcnt 0x0
	v_mul_u64_e32 v[2:3], v[0:1], v[2:3]
	v_ashrrev_i32_e32 v1, 31, v7
	v_ashrrev_i32_e32 v2, 31, v27
	scratch_store_b32 off, v2, s32 offset:220 ; 4-byte Folded Spill
	s_wait_xcnt 0x0
	s_xor_b32 exec_lo, exec_lo, s1
	s_cbranch_execz .LBB353_8
; %bb.7:
	v_mad_u32 v2, s12, v24, s0
	s_delay_alu instid0(VALU_DEP_1)
	v_mad_u32 v2, v2, v28, 1
	scratch_store_b32 off, v2, s32 offset:224 ; 4-byte Folded Spill
.LBB353_8:
	s_wait_xcnt 0x0
	s_or_b32 exec_lo, exec_lo, s1
	s_clause 0x1
	scratch_load_b32 v11, off, s32 offset:208
	scratch_load_b32 v7, off, s32 offset:192
	v_mul_lo_u32 v12, v14, s11
	v_mul_lo_u32 v14, v6, v19
	s_load_b32 s5, s[8:9], 0x8
	v_mov_b32_e32 v48, 0xff7fffff
	s_ashr_i32 s3, s2, 31
	s_get_pc_i64 s[6:7]
	s_add_nc_u64 s[6:7], s[6:7], llvm.amdgcn.dynlds.offset.table@rel64+4
	s_lshl_b64 s[2:3], s[2:3], 2
	v_lshrrev_b32_e32 v9, 5, v29
	s_add_nc_u64 s[6:7], s[6:7], s[2:3]
	s_delay_alu instid0(VALU_DEP_4) | instskip(SKIP_3) | instid1(VALU_DEP_1)
	v_ashrrev_i32_e32 v13, 31, v12
	scratch_store_b64 off, v[12:13], s32 offset:964 ; 8-byte Folded Spill
	s_wait_loadcnt 0x1
	v_mul_lo_u32 v2, v3, v11
	v_dual_sub_nc_u32 v0, v0, v2 :: v_dual_add_nc_u32 v2, 1, v3
	s_delay_alu instid0(VALU_DEP_1) | instskip(SKIP_2) | instid1(VALU_DEP_3)
	v_cmp_ge_u32_e32 vcc_lo, v0, v11
	s_wait_loadcnt 0x0
	v_add_nc_u32_e32 v7, 31, v7
	v_dual_sub_nc_u32 v8, v0, v11 :: v_dual_cndmask_b32 v2, v3, v2, vcc_lo
	scratch_load_b32 v3, off, s32 offset:220 ; 4-byte Folded Reload
	v_dual_cndmask_b32 v0, v0, v8, vcc_lo :: v_dual_add_nc_u32 v8, 1, v2
	s_delay_alu instid0(VALU_DEP_1) | instskip(SKIP_3) | instid1(VALU_DEP_1)
	v_cmp_ge_u32_e32 vcc_lo, v0, v11
	s_wait_loadcnt 0x0
	v_xor_b32_e32 v1, v1, v3
	v_dual_ashrrev_i32 v3, 31, v7 :: v_dual_bitop2_b32 v10, 31, v29 bitop3:0x40
	v_dual_cndmask_b32 v0, v2, v8 :: v_dual_lshrrev_b32 v3, 27, v3
	s_delay_alu instid0(VALU_DEP_2) | instskip(SKIP_3) | instid1(VALU_DEP_2)
	v_lshlrev_b32_e32 v18, 2, v10
	scratch_store_b32 off, v10, s32 offset:524 ; 4-byte Folded Spill
	v_dual_add_nc_u32 v2, v7, v3 :: v_dual_bitop2_b32 v0, v0, v1 bitop3:0x14
	v_dual_sub_nc_u32 v3, 0, v26 :: v_dual_lshlrev_b32 v6, 5, v9
	v_dual_ashrrev_i32 v2, 5, v2 :: v_dual_sub_nc_u32 v0, v0, v1
	v_ashrrev_i32_e32 v15, 31, v14
	s_clause 0x1
	scratch_store_b32 off, v3, s32 offset:984
	scratch_store_b64 off, v[6:7], s32 offset:996
	v_cmp_lt_i32_e64 s0, v9, v2
	v_sub_nc_u32_e32 v0, v0, v25
	s_clause 0x3
	scratch_store_b64 off, v[14:15], s32 offset:972
	scratch_store_b32 off, v9, s32 offset:948
	scratch_store_b32 off, v2, s32 offset:196
	;; [unrolled: 1-line block ×3, first 2 shown]
	s_wait_xcnt 0x0
	v_lshrrev_b32_e32 v0, 3, v29
	scratch_store_b32 off, v0, s32 offset:980 ; 4-byte Folded Spill
	s_wait_xcnt 0x0
	s_mov_b32 s3, exec_lo
	s_delay_alu instid0(SALU_CYCLE_1)
	s_and_b32 s1, s3, s0
	scratch_store_b32 off, v29, s32 offset:952 ; 4-byte Folded Spill
	s_wait_xcnt 0x0
	s_mov_b32 exec_lo, s1
	s_cbranch_execz .LBB353_1040
; %bb.9:
	v_mov_b32_e32 v53, 0
	scratch_store_b64 off, v[38:39], s32 offset:1008 ; 8-byte Folded Spill
	v_mov_b32_e32 v48, 0xff7fffff
	s_mov_b32 s15, 0
	s_mov_b64 s[8:9], 0xffffffffffffff
	ds_load_b128 v[0:3], v53
	ds_load_b128 v[6:9], v53 offset:16
	ds_load_b128 v[14:17], v53 offset:32
	;; [unrolled: 1-line block ×3, first 2 shown]
	s_wait_xcnt 0x0
	ds_load_b128 v[36:39], v53 offset:64
	s_wait_dscnt 0x4
	v_and_b32_e32 v11, 0xffff0000, v0
	s_wait_dscnt 0x3
	v_dual_lshlrev_b32 v10, 16, v0 :: v_dual_lshlrev_b32 v0, 16, v7
	ds_load_b128 v[32:35], v53 offset:96
	scratch_store_b64 off, v[10:11], s32 offset:388 ; 8-byte Folded Spill
	s_wait_xcnt 0x0
	v_and_b32_e32 v11, 0xffff0000, v6
	v_lshlrev_b32_e32 v10, 16, v6
	scratch_store_b64 off, v[10:11], s32 offset:396 ; 8-byte Folded Spill
	s_wait_dscnt 0x3
	s_wait_xcnt 0x0
	v_and_b32_e32 v11, 0xffff0000, v14
	v_lshlrev_b32_e32 v10, 16, v14
	scratch_store_b64 off, v[10:11], s32 offset:404 ; 8-byte Folded Spill
	s_wait_xcnt 0x0
	v_and_b32_e32 v11, 0xffff0000, v1
	v_lshlrev_b32_e32 v10, 16, v1
	v_and_b32_e32 v1, 0xffff0000, v7
	s_clause 0x1
	scratch_store_b64 off, v[10:11], s32 offset:412
	scratch_store_b64 off, v[0:1], s32 offset:420
	s_wait_xcnt 0x0
	v_and_b32_e32 v1, 0xffff0000, v15
	v_lshlrev_b32_e32 v0, 16, v15
	ds_load_b128 v[12:15], v53 offset:80
	s_wait_dscnt 0x1
	v_and_b32_e32 v11, 0xffff0000, v35
	v_lshlrev_b32_e32 v10, 16, v35
	s_wait_dscnt 0x0
	v_and_b32_e32 v7, 0xffff0000, v15
	v_lshlrev_b32_e32 v6, 16, v15
	scratch_store_b64 off, v[0:1], s32 offset:428 ; 8-byte Folded Spill
	s_wait_xcnt 0x0
	v_and_b32_e32 v1, 0xffff0000, v2
	v_lshlrev_b32_e32 v0, 16, v2
	scratch_store_b64 off, v[6:7], s32 offset:608 ; 8-byte Folded Spill
	s_wait_xcnt 0x0
	;; [unrolled: 4-line block ×13, first 2 shown]
	v_and_b32_e32 v1, 0xffff0000, v31
	v_lshlrev_b32_e32 v0, 16, v31
	ds_load_b128 v[28:31], v53 offset:112
	scratch_store_b64 off, v[0:1], s32 offset:544 ; 8-byte Folded Spill
	s_wait_xcnt 0x0
	v_and_b32_e32 v1, 0xffff0000, v36
	v_lshlrev_b32_e32 v0, 16, v36
	scratch_store_b64 off, v[0:1], s32 offset:552 ; 8-byte Folded Spill
	s_wait_xcnt 0x0
	v_and_b32_e32 v1, 0xffff0000, v37
	v_lshlrev_b32_e32 v0, 16, v37
	;; [unrolled: 4-line block ×7, first 2 shown]
	scratch_store_b64 off, v[0:1], s32 offset:600 ; 8-byte Folded Spill
	s_wait_xcnt 0x0
	ds_load_b128 v[0:3], v53 offset:128
	s_wait_dscnt 0x1
	v_and_b32_e32 v15, 0xffff0000, v31
	v_lshlrev_b32_e32 v14, 16, v31
	scratch_store_b64 off, v[10:11], s32 offset:640 ; 8-byte Folded Spill
	s_wait_xcnt 0x0
	v_and_b32_e32 v11, 0xffff0000, v28
	v_lshlrev_b32_e32 v10, 16, v28
	scratch_store_b64 off, v[6:7], s32 offset:632 ; 8-byte Folded Spill
	s_wait_xcnt 0x0
	ds_load_b128 v[6:9], v53 offset:144
	scratch_store_b64 off, v[14:15], s32 offset:672 ; 8-byte Folded Spill
	s_wait_dscnt 0x1
	s_wait_xcnt 0x0
	v_and_b32_e32 v15, 0xffff0000, v0
	v_lshlrev_b32_e32 v14, 16, v0
	scratch_store_b64 off, v[10:11], s32 offset:648 ; 8-byte Folded Spill
	s_wait_xcnt 0x0
	v_and_b32_e32 v11, 0xffff0000, v29
	v_dual_lshlrev_b32 v10, 16, v29 :: v_dual_lshlrev_b32 v0, 16, v2
	scratch_store_b64 off, v[14:15], s32 offset:680 ; 8-byte Folded Spill
	s_wait_xcnt 0x0
	v_and_b32_e32 v15, 0xffff0000, v1
	v_lshlrev_b32_e32 v14, 16, v1
	scratch_store_b64 off, v[10:11], s32 offset:656 ; 8-byte Folded Spill
	s_wait_xcnt 0x0
	v_and_b32_e32 v11, 0xffff0000, v30
	v_lshlrev_b32_e32 v10, 16, v30
	v_and_b32_e32 v1, 0xffff0000, v2
	s_clause 0x1
	scratch_store_b64 off, v[10:11], s32 offset:664
	scratch_store_b64 off, v[0:1], s32 offset:696
	s_wait_xcnt 0x0
	v_and_b32_e32 v1, 0xffff0000, v3
	v_lshlrev_b32_e32 v0, 16, v3
	ds_load_b128 v[10:13], v53 offset:160
	scratch_store_b64 off, v[14:15], s32 offset:688 ; 8-byte Folded Spill
	s_wait_xcnt 0x0
	ds_load_b128 v[14:17], v53 offset:176
	scratch_store_b64 off, v[0:1], s32 offset:704 ; 8-byte Folded Spill
	s_wait_dscnt 0x2
	s_wait_xcnt 0x0
	v_and_b32_e32 v1, 0xffff0000, v6
	v_lshlrev_b32_e32 v0, 16, v6
	scratch_store_b64 off, v[0:1], s32 offset:712 ; 8-byte Folded Spill
	s_wait_xcnt 0x0
	v_and_b32_e32 v1, 0xffff0000, v7
	v_lshlrev_b32_e32 v0, 16, v7
	scratch_store_b64 off, v[0:1], s32 offset:720 ; 8-byte Folded Spill
	;; [unrolled: 4-line block ×4, first 2 shown]
	s_wait_dscnt 0x1
	s_wait_xcnt 0x0
	v_and_b32_e32 v1, 0xffff0000, v10
	v_lshlrev_b32_e32 v0, 16, v10
	scratch_store_b64 off, v[0:1], s32 offset:744 ; 8-byte Folded Spill
	s_wait_xcnt 0x0
	v_and_b32_e32 v1, 0xffff0000, v11
	v_lshlrev_b32_e32 v0, 16, v11
	scratch_store_b64 off, v[0:1], s32 offset:752 ; 8-byte Folded Spill
	;; [unrolled: 4-line block ×4, first 2 shown]
	s_wait_xcnt 0x0
	ds_load_b128 v[0:3], v53 offset:192
	s_wait_dscnt 0x1
	v_and_b32_e32 v7, 0xffff0000, v14
	v_lshlrev_b32_e32 v6, 16, v14
	s_wait_dscnt 0x0
	v_and_b32_e32 v11, 0xffff0000, v0
	v_dual_lshlrev_b32 v10, 16, v0 :: v_dual_lshlrev_b32 v0, 16, v2
	scratch_store_b64 off, v[6:7], s32 offset:776 ; 8-byte Folded Spill
	s_wait_xcnt 0x0
	v_and_b32_e32 v7, 0xffff0000, v15
	v_lshlrev_b32_e32 v6, 16, v15
	scratch_store_b64 off, v[10:11], s32 offset:808 ; 8-byte Folded Spill
	s_wait_xcnt 0x0
	v_and_b32_e32 v11, 0xffff0000, v1
	v_lshlrev_b32_e32 v10, 16, v1
	v_and_b32_e32 v1, 0xffff0000, v2
	scratch_store_b64 off, v[6:7], s32 offset:784 ; 8-byte Folded Spill
	s_wait_xcnt 0x0
	v_and_b32_e32 v7, 0xffff0000, v16
	v_lshlrev_b32_e32 v6, 16, v16
	scratch_store_b64 off, v[0:1], s32 offset:824 ; 8-byte Folded Spill
	s_wait_xcnt 0x0
	v_and_b32_e32 v1, 0xffff0000, v3
	v_lshlrev_b32_e32 v0, 16, v3
	;; [unrolled: 4-line block ×3, first 2 shown]
	s_clause 0x1
	scratch_store_b64 off, v[0:1], s32 offset:832
	scratch_store_b64 off, v[6:7], s32 offset:800
	s_wait_xcnt 0x0
	ds_load_b128 v[6:9], v53 offset:208
	s_wait_dscnt 0x0
	v_and_b32_e32 v1, 0xffff0000, v6
	v_lshlrev_b32_e32 v0, 16, v6
	s_clause 0x1
	scratch_store_b64 off, v[10:11], s32 offset:816
	scratch_store_b64 off, v[0:1], s32 offset:840
	s_wait_xcnt 0x0
	v_and_b32_e32 v1, 0xffff0000, v7
	v_lshlrev_b32_e32 v0, 16, v7
	scratch_store_b64 off, v[0:1], s32 offset:848 ; 8-byte Folded Spill
	s_wait_xcnt 0x0
	v_and_b32_e32 v1, 0xffff0000, v8
	v_lshlrev_b32_e32 v0, 16, v8
	scratch_store_b64 off, v[0:1], s32 offset:856 ; 8-byte Folded Spill
	;; [unrolled: 4-line block ×3, first 2 shown]
	s_wait_xcnt 0x0
	ds_load_b128 v[0:3], v53 offset:224
	ds_load_b128 v[6:9], v53 offset:240
	s_wait_dscnt 0x1
	v_and_b32_e32 v11, 0xffff0000, v0
	v_dual_lshlrev_b32 v10, 16, v0 :: v_dual_lshlrev_b32 v0, 16, v2
	scratch_store_b64 off, v[10:11], s32 offset:872 ; 8-byte Folded Spill
	s_wait_xcnt 0x0
	v_and_b32_e32 v11, 0xffff0000, v1
	v_lshlrev_b32_e32 v10, 16, v1
	v_and_b32_e32 v1, 0xffff0000, v2
	s_clause 0x1
	scratch_store_b64 off, v[10:11], s32 offset:880
	scratch_store_b64 off, v[0:1], s32 offset:888
	s_wait_xcnt 0x0
	v_and_b32_e32 v1, 0xffff0000, v3
	v_dual_mov_b32 v3, v53 :: v_dual_lshlrev_b32 v0, 16, v3
	scratch_store_b64 off, v[0:1], s32 offset:896 ; 8-byte Folded Spill
	s_wait_dscnt 0x0
	s_wait_xcnt 0x0
	v_and_b32_e32 v1, 0xffff0000, v6
	v_lshlrev_b32_e32 v0, 16, v6
	scratch_store_b64 off, v[0:1], s32 offset:904 ; 8-byte Folded Spill
	s_wait_xcnt 0x0
	v_and_b32_e32 v1, 0xffff0000, v7
	v_lshlrev_b32_e32 v0, 16, v7
	scratch_store_b64 off, v[0:1], s32 offset:912 ; 8-byte Folded Spill
	;; [unrolled: 4-line block ×3, first 2 shown]
	s_wait_xcnt 0x0
	v_and_b32_e32 v1, 0xffff0000, v9
	v_lshlrev_b32_e32 v0, 16, v9
	s_clause 0x1
	scratch_store_b64 off, v[0:1], s32 offset:928
	scratch_load_b64 v[0:1], off, s32 offset:972
	s_wait_loadcnt 0x0
	v_add_nc_u64_e32 v[0:1], v[4:5], v[0:1]
	scratch_load_b32 v4, off, s32 offset:524 ; 4-byte Folded Reload
	s_wait_loadcnt 0x0
	v_lshlrev_b32_e32 v2, 4, v4
	s_delay_alu instid0(VALU_DEP_1)
	v_add_nc_u64_e32 v[0:1], v[0:1], v[2:3]
	s_clause 0x3
	scratch_store_b64 off, v[0:1], s32 offset:936
	scratch_store_b32 off, v26, s32 offset:1004
	scratch_load_b32 v0, off, s32 offset:984
	scratch_load_b32 v5, off, s32 offset:372
	s_load_b32 s14, s[6:7], 0x0
	scratch_store_b32 off, v18, s32 offset:1016 ; 4-byte Folded Spill
	s_wait_loadcnt 0x1
	v_max_i32_e32 v1, v26, v0
	s_delay_alu instid0(VALU_DEP_1) | instskip(NEXT) | instid1(VALU_DEP_1)
	v_cvt_f32_u32_e32 v0, v1
	v_rcp_iflag_f32_e32 v0, v0
	v_nop
	s_delay_alu instid0(TRANS32_DEP_1) | instskip(NEXT) | instid1(VALU_DEP_1)
	v_mul_f32_e32 v0, 0x4f7ffffe, v0
	v_cvt_u32_f32_e32 v2, v0
	v_sub_nc_u32_e32 v0, 0, v1
	s_delay_alu instid0(VALU_DEP_1) | instskip(NEXT) | instid1(VALU_DEP_1)
	v_mul_lo_u32 v0, v0, v2
	v_mul_hi_u32 v3, v2, v0
	scratch_load_b32 v0, off, s32 offset:980 ; 4-byte Folded Reload
	v_dual_mov_b32 v3, v53 :: v_dual_add_nc_u32 v2, v2, v3
	scratch_store_b32 off, v1, s32 offset:280 ; 4-byte Folded Spill
	s_wait_xcnt 0x0
	v_mov_b32_e32 v1, v53
	s_clause 0x1
	scratch_store_b64 off, v[2:3], s32 offset:284
	scratch_load_b64 v[2:3], off, s32 offset:964
	s_wait_loadcnt 0x1
	v_and_b32_e32 v0, 0x7c, v0
	s_wait_loadcnt 0x0
	s_delay_alu instid0(VALU_DEP_1) | instskip(SKIP_4) | instid1(VALU_DEP_1)
	v_lshl_add_u64 v[0:1], v[2:3], 2, v[0:1]
	scratch_load_b32 v2, off, s32 offset:192 ; 4-byte Folded Reload
	v_cmp_neq_f32_e32 vcc_lo, 0, v5
	s_wait_loadcnt 0x0
	v_sub_nc_u32_e32 v2, v4, v2
	v_add_nc_u32_e32 v2, 1, v2
	s_clause 0x1
	scratch_store_b32 off, v2, s32 offset:944
	scratch_load_b64 v[2:3], off, s32 offset:956
	s_wait_loadcnt 0x0
	v_add_nc_u64_e32 v[0:1], v[2:3], v[0:1]
	s_clause 0x1
	scratch_store_b64 off, v[0:1], s32 offset:200
	scratch_load_b32 v0, off, s32 offset:948
	s_wait_loadcnt 0x0
	v_lshl_or_b32 v5, v0, 7, v18
	v_dual_mov_b32 v2, v0 :: v_dual_lshlrev_b32 v38, 5, v0
	s_branch .LBB353_15
.LBB353_10:                             ;   in Loop: Header=BB353_15 Depth=1
	s_or_b32 exec_lo, exec_lo, s19
	v_lshlrev_b32_e32 v24, 24, v24
	s_delay_alu instid0(VALU_DEP_2) | instskip(SKIP_1) | instid1(VALU_DEP_3)
	v_lshlrev_b32_e32 v4, 20, v4
	v_lshl_add_u32 v5, v5, 23, 0x3c000000
	v_and_b32_e32 v24, 0x80000000, v24
	s_delay_alu instid0(VALU_DEP_1)
	v_or3_b32 v97, v4, v24, v5
.LBB353_11:                             ;   in Loop: Header=BB353_15 Depth=1
	s_or_b32 exec_lo, exec_lo, s18
.LBB353_12:                             ;   in Loop: Header=BB353_15 Depth=1
	s_delay_alu instid0(SALU_CYCLE_1)
	s_or_b32 exec_lo, exec_lo, s17
.LBB353_13:                             ;   in Loop: Header=BB353_15 Depth=1
	s_delay_alu instid0(SALU_CYCLE_1)
	s_or_b32 exec_lo, exec_lo, s16
	v_pk_mul_f32 v[4:5], v[70:71], v[8:9] op_sel_hi:[0,1]
	v_pk_mul_f32 v[0:1], v[70:71], v[0:1] op_sel_hi:[0,1]
	;; [unrolled: 1-line block ×5, first 2 shown]
	s_clause 0x1
	scratch_store_b64 off, v[4:5], s32 offset:324
	scratch_store_b64 off, v[0:1], s32 offset:356
	s_wait_xcnt 0x1
	v_pk_mul_f32 v[4:5], v[70:71], v[64:65] op_sel_hi:[0,1]
	s_wait_xcnt 0x0
	v_pk_mul_f32 v[0:1], v[70:71], v[6:7] op_sel_hi:[0,1]
	v_pk_mul_f32 v[64:65], v[70:71], v[50:51] op_sel_hi:[0,1]
	scratch_store_b64 off, v[8:9], s32 offset:316 ; 8-byte Folded Spill
	v_pk_mul_f32 v[22:23], v[70:71], v[2:3] op_sel_hi:[0,1]
	s_clause 0x1
	scratch_store_b64 off, v[4:5], s32 offset:308
	scratch_store_b64 off, v[0:1], s32 offset:332
	s_wait_xcnt 0x1
	v_pk_mul_f32 v[4:5], v[70:71], v[26:27] op_sel_hi:[0,1]
	s_wait_xcnt 0x0
	v_pk_mul_f32 v[0:1], v[70:71], v[124:125] op_sel_hi:[0,1]
	v_pk_mul_f32 v[26:27], v[70:71], v[122:123] op_sel_hi:[0,1]
	;; [unrolled: 1-line block ×4, first 2 shown]
	s_clause 0x1
	scratch_store_b64 off, v[4:5], s32 offset:340
	scratch_store_b64 off, v[0:1], s32 offset:348
	s_wait_xcnt 0x0
	v_pk_mul_f32 v[0:1], v[70:71], v[108:109] op_sel_hi:[0,1]
	v_pk_mul_f32 v[4:5], v[70:71], v[10:11] op_sel_hi:[0,1]
	v_pk_mul_f32 v[110:111], v[70:71], v[110:111] op_sel_hi:[0,1]
	v_pk_mul_f32 v[54:55], v[70:71], v[106:107] op_sel_hi:[0,1]
	v_pk_mul_f32 v[104:105], v[70:71], v[104:105] op_sel_hi:[0,1]
	s_clause 0x1
	scratch_store_b64 off, v[0:1], s32 offset:364
	scratch_load_b32 v0, off, s32 offset:272 th:TH_LOAD_LU
	v_pk_mul_f32 v[94:95], v[70:71], v[94:95] op_sel_hi:[0,1]
	v_pk_mul_f32 v[90:91], v[70:71], v[90:91] op_sel_hi:[0,1]
	;; [unrolled: 1-line block ×13, first 2 shown]
	v_fma_mixlo_bf16 v11, v70, v82, 0
	v_fma_mixlo_bf16 v82, v70, v71, 0
	;; [unrolled: 1-line block ×5, first 2 shown]
	s_wait_loadcnt 0x0
	v_fma_mixlo_bf16 v122, v70, v0, 0
	scratch_load_b32 v0, off, s32 offset:268 th:TH_LOAD_LU ; 4-byte Folded Reload
	s_wait_loadcnt 0x0
	v_fma_mixlo_bf16 v123, v70, v0, 0
	scratch_load_b32 v0, off, s32 offset:264 th:TH_LOAD_LU ; 4-byte Folded Reload
	;; [unrolled: 3-line block ×10, first 2 shown]
	v_pk_mul_f32 v[30:31], v[70:71], v[34:35] op_sel_hi:[0,1]
	v_pk_mul_f32 v[34:35], v[70:71], v[14:15] op_sel_hi:[0,1]
	;; [unrolled: 1-line block ×4, first 2 shown]
	scratch_load_b64 v[112:113], off, s32 offset:396 ; 8-byte Folded Reload
	v_pk_mul_f32 v[106:107], v[70:71], v[12:13] op_sel_hi:[0,1]
	v_pk_mul_f32 v[12:13], v[70:71], v[84:85] op_sel_hi:[0,1]
	;; [unrolled: 1-line block ×6, first 2 shown]
	v_cvt_pk_bf16_f32 v12, v12, v13
	v_cvt_pk_bf16_f32 v66, v108, v109
	;; [unrolled: 1-line block ×3, first 2 shown]
	v_pk_mul_f32 v[42:43], v[70:71], v[42:43] op_sel_hi:[0,1]
	v_pk_mul_f32 v[84:85], v[70:71], v[86:87] op_sel_hi:[0,1]
	v_and_b32_e32 v13, 0xffff0000, v12
	v_lshlrev_b32_e32 v12, 16, v12
	v_and_b32_e32 v67, 0xffff0000, v66
	v_lshlrev_b32_e32 v66, 16, v66
	v_and_b32_e32 v39, 0xffff0000, v38
	v_pk_mul_f32 v[36:37], v[70:71], v[36:37] op_sel_hi:[0,1]
	v_pk_mul_f32 v[2:3], v[70:71], v[100:101] op_sel_hi:[0,1]
	;; [unrolled: 1-line block ×6, first 2 shown]
	v_cvt_pk_bf16_f32 v2, v2, v3
	v_pk_mul_f32 v[32:33], v[70:71], v[32:33] op_sel_hi:[0,1]
	v_pk_mul_f32 v[56:57], v[70:71], v[56:57] op_sel_hi:[0,1]
	;; [unrolled: 1-line block ×3, first 2 shown]
	s_delay_alu instid0(VALU_DEP_4)
	v_and_b32_e32 v3, 0xffff0000, v2
	v_lshlrev_b32_e32 v2, 16, v2
	s_wait_loadcnt 0x0
	v_pk_mul_f32 v[12:13], v[112:113], v[12:13]
	scratch_load_b64 v[112:113], off, s32 offset:388 ; 8-byte Folded Reload
	v_fma_mixlo_bf16 v10, v70, v0, 0
	v_pk_mul_f32 v[0:1], v[70:71], v[102:103] op_sel_hi:[0,1]
	v_pk_mul_f32 v[102:103], v[70:71], v[98:99] op_sel_hi:[0,1]
	;; [unrolled: 1-line block ×3, first 2 shown]
	s_delay_alu instid0(VALU_DEP_3) | instskip(SKIP_1) | instid1(VALU_DEP_2)
	v_cvt_pk_bf16_f32 v0, v0, v1
	v_lshlrev_b32_e32 v38, 16, v38
	v_and_b32_e32 v1, 0xffff0000, v0
	v_lshlrev_b32_e32 v0, 16, v0
	s_wait_loadcnt 0x0
	v_pk_fma_f32 v[12:13], v[112:113], v[66:67], v[12:13]
	scratch_load_b64 v[66:67], off, s32 offset:404 ; 8-byte Folded Reload
	s_wait_loadcnt 0x0
	v_pk_fma_f32 v[12:13], v[66:67], v[38:39], v[12:13]
	scratch_load_b64 v[66:67], off, s32 offset:492 ; 8-byte Folded Reload
	v_cvt_pk_bf16_f32 v38, v42, v43
	s_delay_alu instid0(VALU_DEP_1) | instskip(SKIP_2) | instid1(VALU_DEP_1)
	v_and_b32_e32 v39, 0xffff0000, v38
	v_lshlrev_b32_e32 v38, 16, v38
	s_wait_loadcnt 0x0
	v_pk_fma_f32 v[66:67], v[66:67], v[38:39], v[12:13]
	scratch_load_b64 v[38:39], off, s32 offset:420 ; 8-byte Folded Reload
	v_cvt_pk_bf16_f32 v12, v84, v85
	s_delay_alu instid0(VALU_DEP_1)
	v_and_b32_e32 v13, 0xffff0000, v12
	v_lshlrev_b32_e32 v12, 16, v12
	s_wait_loadcnt 0x0
	v_pk_mul_f32 v[0:1], v[38:39], v[0:1]
	scratch_load_b64 v[38:39], off, s32 offset:412 ; 8-byte Folded Reload
	s_wait_loadcnt 0x0
	v_pk_fma_f32 v[0:1], v[38:39], v[12:13], v[0:1]
	v_cvt_pk_bf16_f32 v12, v36, v37
	scratch_load_b64 v[36:37], off, s32 offset:428 ; 8-byte Folded Reload
	v_and_b32_e32 v13, 0xffff0000, v12
	v_lshlrev_b32_e32 v12, 16, v12
	s_wait_loadcnt 0x0
	s_delay_alu instid0(VALU_DEP_1) | instskip(SKIP_2) | instid1(VALU_DEP_1)
	v_pk_fma_f32 v[0:1], v[36:37], v[12:13], v[0:1]
	scratch_load_b64 v[36:37], off, s32 offset:508 ; 8-byte Folded Reload
	v_cvt_pk_bf16_f32 v12, v106, v107
	v_and_b32_e32 v13, 0xffff0000, v12
	v_lshlrev_b32_e32 v12, 16, v12
	s_wait_loadcnt 0x0
	s_delay_alu instid0(VALU_DEP_1) | instskip(SKIP_2) | instid1(VALU_DEP_1)
	v_pk_fma_f32 v[38:39], v[36:37], v[12:13], v[0:1]
	scratch_load_b64 v[12:13], off, s32 offset:444 ; 8-byte Folded Reload
	v_cvt_pk_bf16_f32 v0, v114, v115
	v_and_b32_e32 v1, 0xffff0000, v0
	v_lshlrev_b32_e32 v0, 16, v0
	s_wait_loadcnt 0x0
	s_delay_alu instid0(VALU_DEP_1)
	v_pk_mul_f32 v[0:1], v[12:13], v[0:1]
	scratch_load_b64 v[12:13], off, s32 offset:436 ; 8-byte Folded Reload
	s_wait_loadcnt 0x0
	v_pk_fma_f32 v[0:1], v[12:13], v[2:3], v[0:1]
	scratch_load_b64 v[12:13], off, s32 offset:452 ; 8-byte Folded Reload
	v_cvt_pk_bf16_f32 v2, v40, v41
	s_delay_alu instid0(VALU_DEP_1) | instskip(SKIP_2) | instid1(VALU_DEP_1)
	v_and_b32_e32 v3, 0xffff0000, v2
	v_lshlrev_b32_e32 v2, 16, v2
	s_wait_loadcnt 0x0
	v_pk_fma_f32 v[0:1], v[12:13], v[2:3], v[0:1]
	scratch_load_b64 v[12:13], off, s32 offset:536 ; 8-byte Folded Reload
	v_cvt_pk_bf16_f32 v2, v44, v45
	s_delay_alu instid0(VALU_DEP_1) | instskip(SKIP_2) | instid1(VALU_DEP_1)
	v_and_b32_e32 v3, 0xffff0000, v2
	v_lshlrev_b32_e32 v2, 16, v2
	s_wait_loadcnt 0x0
	v_pk_fma_f32 v[36:37], v[12:13], v[2:3], v[0:1]
	scratch_load_b64 v[12:13], off, s32 offset:468 ; 8-byte Folded Reload
	v_cvt_pk_bf16_f32 v0, v102, v103
	v_cvt_pk_bf16_f32 v2, v98, v99
	s_delay_alu instid0(VALU_DEP_2) | instskip(SKIP_1) | instid1(VALU_DEP_3)
	v_and_b32_e32 v1, 0xffff0000, v0
	v_lshlrev_b32_e32 v0, 16, v0
	v_and_b32_e32 v3, 0xffff0000, v2
	v_lshlrev_b32_e32 v2, 16, v2
	s_wait_loadcnt 0x0
	s_delay_alu instid0(VALU_DEP_3)
	v_pk_mul_f32 v[0:1], v[12:13], v[0:1]
	scratch_load_b64 v[12:13], off, s32 offset:460 ; 8-byte Folded Reload
	s_wait_loadcnt 0x0
	v_pk_fma_f32 v[0:1], v[12:13], v[2:3], v[0:1]
	scratch_load_b64 v[12:13], off, s32 offset:484 ; 8-byte Folded Reload
	v_cvt_pk_bf16_f32 v2, v118, v119
	s_delay_alu instid0(VALU_DEP_1) | instskip(SKIP_2) | instid1(VALU_DEP_1)
	v_and_b32_e32 v3, 0xffff0000, v2
	v_lshlrev_b32_e32 v2, 16, v2
	s_wait_loadcnt 0x0
	v_pk_fma_f32 v[0:1], v[12:13], v[2:3], v[0:1]
	scratch_load_b64 v[12:13], off, s32 offset:544 ; 8-byte Folded Reload
	v_cvt_pk_bf16_f32 v2, v34, v35
	s_delay_alu instid0(VALU_DEP_1) | instskip(SKIP_2) | instid1(VALU_DEP_1)
	v_and_b32_e32 v3, 0xffff0000, v2
	v_lshlrev_b32_e32 v2, 16, v2
	s_wait_loadcnt 0x0
	v_pk_fma_f32 v[34:35], v[12:13], v[2:3], v[0:1]
	v_cvt_pk_bf16_f32 v0, v46, v47
	scratch_load_b64 v[12:13], off, s32 offset:584 ; 8-byte Folded Reload
	v_dual_lshlrev_b32 v2, 16, v82 :: v_dual_lshlrev_b32 v3, 16, v11
	v_and_b32_e32 v85, 0xffff0000, v0
	v_lshlrev_b32_e32 v84, 16, v0
	scratch_load_b64 v[0:1], off, s32 offset:552 ; 8-byte Folded Reload
	s_wait_loadcnt 0x0
	v_pk_fma_f32 v[0:1], v[0:1], v[84:85], v[66:67]
	s_delay_alu instid0(VALU_DEP_1) | instskip(SKIP_3) | instid1(VALU_DEP_1)
	v_pk_fma_f32 v[0:1], v[2:3], v[12:13], v[0:1]
	scratch_load_b64 v[12:13], off, s32 offset:616 ; 8-byte Folded Reload
	v_dual_lshlrev_b32 v3, 16, v7 :: v_dual_lshlrev_b32 v2, 16, v25
	s_wait_loadcnt 0x0
	v_pk_fma_f32 v[0:1], v[12:13], v[2:3], v[0:1]
	scratch_load_b64 v[12:13], off, s32 offset:648 ; 8-byte Folded Reload
	v_cvt_pk_bf16_f32 v2, v58, v59
	s_delay_alu instid0(VALU_DEP_1) | instskip(SKIP_2) | instid1(VALU_DEP_1)
	v_and_b32_e32 v3, 0xffff0000, v2
	v_lshlrev_b32_e32 v2, 16, v2
	s_wait_loadcnt 0x0
	v_pk_fma_f32 v[0:1], v[12:13], v[2:3], v[0:1]
	scratch_load_b64 v[12:13], off, s32 offset:680 ; 8-byte Folded Reload
	v_cvt_pk_bf16_f32 v2, v92, v93
	s_delay_alu instid0(VALU_DEP_1) | instskip(SKIP_2) | instid1(VALU_DEP_1)
	v_and_b32_e32 v3, 0xffff0000, v2
	v_lshlrev_b32_e32 v2, 16, v2
	;; [unrolled: 7-line block ×6, first 2 shown]
	s_wait_loadcnt 0x0
	v_pk_fma_f32 v[0:1], v[12:13], v[2:3], v[0:1]
	scratch_load_b64 v[12:13], off, s32 offset:840 ; 8-byte Folded Reload
	v_cvt_pk_bf16_f32 v2, v4, v5
	scratch_load_b64 v[4:5], off, s32 offset:872 ; 8-byte Folded Reload
	v_and_b32_e32 v3, 0xffff0000, v2
	v_lshlrev_b32_e32 v2, 16, v2
	s_wait_loadcnt 0x1
	s_delay_alu instid0(VALU_DEP_1)
	v_pk_fma_f32 v[0:1], v[12:13], v[2:3], v[0:1]
	v_cvt_pk_bf16_f32 v2, v18, v19
	scratch_load_b64 v[12:13], off, s32 offset:592 ; 8-byte Folded Reload
	v_and_b32_e32 v3, 0xffff0000, v2
	v_lshlrev_b32_e32 v2, 16, v2
	s_wait_loadcnt 0x1
	s_delay_alu instid0(VALU_DEP_1) | instskip(SKIP_2) | instid1(VALU_DEP_1)
	v_pk_fma_f32 v[0:1], v[4:5], v[2:3], v[0:1]
	scratch_load_b64 v[4:5], off, s32 offset:904 ; 8-byte Folded Reload
	v_cvt_pk_bf16_f32 v2, v20, v21
	v_and_b32_e32 v3, 0xffff0000, v2
	v_lshlrev_b32_e32 v2, 16, v2
	s_wait_loadcnt 0x0
	s_delay_alu instid0(VALU_DEP_1) | instskip(SKIP_3) | instid1(VALU_DEP_2)
	v_pk_fma_f32 v[4:5], v[4:5], v[2:3], v[0:1]
	scratch_load_b64 v[2:3], off, s32 offset:560 ; 8-byte Folded Reload
	v_cvt_pk_bf16_f32 v0, v32, v33
	v_add_f32_e32 v4, v4, v5
	v_and_b32_e32 v1, 0xffff0000, v0
	v_lshlrev_b32_e32 v0, 16, v0
	s_wait_loadcnt 0x0
	s_delay_alu instid0(VALU_DEP_1) | instskip(SKIP_1) | instid1(VALU_DEP_1)
	v_pk_fma_f32 v[0:1], v[2:3], v[0:1], v[38:39]
	v_dual_lshlrev_b32 v2, 16, v6 :: v_dual_lshlrev_b32 v3, 16, v24
	v_pk_fma_f32 v[0:1], v[2:3], v[12:13], v[0:1]
	scratch_load_b64 v[12:13], off, s32 offset:624 ; 8-byte Folded Reload
	v_dual_lshlrev_b32 v3, 16, v8 :: v_dual_lshlrev_b32 v2, 16, v9
	scratch_load_b64 v[8:9], off, s32 offset:880 ; 8-byte Folded Reload
	s_wait_loadcnt 0x1
	v_pk_fma_f32 v[0:1], v[12:13], v[2:3], v[0:1]
	scratch_load_b64 v[12:13], off, s32 offset:656 ; 8-byte Folded Reload
	v_cvt_pk_bf16_f32 v2, v76, v77
	s_delay_alu instid0(VALU_DEP_1) | instskip(SKIP_2) | instid1(VALU_DEP_1)
	v_and_b32_e32 v3, 0xffff0000, v2
	v_lshlrev_b32_e32 v2, 16, v2
	s_wait_loadcnt 0x0
	v_pk_fma_f32 v[0:1], v[12:13], v[2:3], v[0:1]
	scratch_load_b64 v[12:13], off, s32 offset:688 ; 8-byte Folded Reload
	v_cvt_pk_bf16_f32 v2, v72, v73
	s_delay_alu instid0(VALU_DEP_1) | instskip(SKIP_2) | instid1(VALU_DEP_1)
	v_and_b32_e32 v3, 0xffff0000, v2
	v_lshlrev_b32_e32 v2, 16, v2
	;; [unrolled: 7-line block ×7, first 2 shown]
	s_wait_loadcnt 0x0
	v_pk_fma_f32 v[0:1], v[12:13], v[2:3], v[0:1]
	v_cvt_pk_bf16_f32 v2, v68, v69
	s_clause 0x1
	scratch_load_b64 v[12:13], off, s32 offset:600
	scratch_load_b64 v[6:7], off, s32 offset:356 th:TH_LOAD_LU
	v_and_b32_e32 v3, 0xffff0000, v2
	v_lshlrev_b32_e32 v2, 16, v2
	s_delay_alu instid0(VALU_DEP_1) | instskip(SKIP_2) | instid1(VALU_DEP_1)
	v_pk_fma_f32 v[0:1], v[8:9], v[2:3], v[0:1]
	scratch_load_b64 v[8:9], off, s32 offset:912 ; 8-byte Folded Reload
	v_cvt_pk_bf16_f32 v2, v16, v17
	v_and_b32_e32 v3, 0xffff0000, v2
	v_lshlrev_b32_e32 v2, 16, v2
	s_wait_loadcnt 0x0
	s_delay_alu instid0(VALU_DEP_1) | instskip(SKIP_3) | instid1(VALU_DEP_2)
	v_pk_fma_f32 v[0:1], v[8:9], v[2:3], v[0:1]
	scratch_load_b64 v[8:9], off, s32 offset:568 ; 8-byte Folded Reload
	v_cvt_pk_bf16_f32 v2, v56, v57
	v_add_f32_e32 v0, v4, v0
	v_and_b32_e32 v3, 0xffff0000, v2
	s_delay_alu instid0(VALU_DEP_2) | instskip(SKIP_1) | instid1(VALU_DEP_1)
	v_dual_lshlrev_b32 v2, 16, v2 :: v_dual_add_f32 v4, v1, v0
	v_cvt_pk_bf16_f32 v0, v96, v97
	v_and_b32_e32 v1, 0xffff0000, v0
	v_lshlrev_b32_e32 v0, 16, v0
	s_wait_loadcnt 0x0
	v_pk_fma_f32 v[2:3], v[8:9], v[2:3], v[36:37]
	v_dual_lshlrev_b32 v8, 16, v125 :: v_dual_lshlrev_b32 v9, 16, v124
	s_delay_alu instid0(VALU_DEP_1) | instskip(SKIP_3) | instid1(VALU_DEP_1)
	v_pk_fma_f32 v[2:3], v[8:9], v[12:13], v[2:3]
	scratch_load_b64 v[12:13], off, s32 offset:632 ; 8-byte Folded Reload
	v_dual_lshlrev_b32 v9, 16, v122 :: v_dual_lshlrev_b32 v8, 16, v123
	s_wait_loadcnt 0x0
	v_pk_fma_f32 v[2:3], v[12:13], v[8:9], v[2:3]
	scratch_load_b64 v[12:13], off, s32 offset:664 ; 8-byte Folded Reload
	v_cvt_pk_bf16_f32 v8, v60, v61
	s_delay_alu instid0(VALU_DEP_1) | instskip(SKIP_2) | instid1(VALU_DEP_1)
	v_and_b32_e32 v9, 0xffff0000, v8
	v_lshlrev_b32_e32 v8, 16, v8
	s_wait_loadcnt 0x0
	v_pk_fma_f32 v[2:3], v[12:13], v[8:9], v[2:3]
	scratch_load_b64 v[12:13], off, s32 offset:696 ; 8-byte Folded Reload
	v_cvt_pk_bf16_f32 v8, v74, v75
	s_delay_alu instid0(VALU_DEP_1) | instskip(SKIP_2) | instid1(VALU_DEP_1)
	v_and_b32_e32 v9, 0xffff0000, v8
	v_lshlrev_b32_e32 v8, 16, v8
	;; [unrolled: 7-line block ×5, first 2 shown]
	s_wait_loadcnt 0x0
	v_pk_fma_f32 v[2:3], v[12:13], v[8:9], v[2:3]
	scratch_load_b64 v[12:13], off, s32 offset:824 ; 8-byte Folded Reload
	v_cvt_pk_bf16_f32 v8, v6, v7
	scratch_load_b64 v[6:7], off, s32 offset:340 th:TH_LOAD_LU ; 8-byte Folded Reload
	v_and_b32_e32 v9, 0xffff0000, v8
	v_lshlrev_b32_e32 v8, 16, v8
	s_wait_loadcnt 0x1
	s_delay_alu instid0(VALU_DEP_1)
	v_pk_fma_f32 v[2:3], v[12:13], v[8:9], v[2:3]
	scratch_load_b64 v[12:13], off, s32 offset:856 ; 8-byte Folded Reload
	s_wait_loadcnt 0x1
	v_cvt_pk_bf16_f32 v8, v6, v7
	scratch_load_b64 v[6:7], off, s32 offset:324 th:TH_LOAD_LU ; 8-byte Folded Reload
	v_and_b32_e32 v9, 0xffff0000, v8
	v_lshlrev_b32_e32 v8, 16, v8
	s_wait_loadcnt 0x1
	s_delay_alu instid0(VALU_DEP_1) | instskip(SKIP_3) | instid1(VALU_DEP_1)
	v_pk_fma_f32 v[2:3], v[12:13], v[8:9], v[2:3]
	scratch_load_b64 v[12:13], off, s32 offset:888 ; 8-byte Folded Reload
	s_wait_loadcnt 0x1
	v_cvt_pk_bf16_f32 v8, v6, v7
	v_and_b32_e32 v9, 0xffff0000, v8
	v_lshlrev_b32_e32 v8, 16, v8
	s_wait_loadcnt 0x0
	s_delay_alu instid0(VALU_DEP_1)
	v_pk_fma_f32 v[2:3], v[12:13], v[8:9], v[2:3]
	scratch_load_b64 v[12:13], off, s32 offset:920 ; 8-byte Folded Reload
	v_cvt_pk_bf16_f32 v8, v14, v15
	s_clause 0x1
	scratch_load_b64 v[14:15], off, s32 offset:608
	scratch_load_b64 v[6:7], off, s32 offset:364 th:TH_LOAD_LU
	v_and_b32_e32 v9, 0xffff0000, v8
	v_lshlrev_b32_e32 v8, 16, v8
	s_wait_loadcnt 0x2
	s_delay_alu instid0(VALU_DEP_1)
	v_pk_fma_f32 v[2:3], v[12:13], v[8:9], v[2:3]
	scratch_load_b64 v[12:13], off, s32 offset:576 ; 8-byte Folded Reload
	v_cvt_pk_bf16_f32 v8, v30, v31
	s_wait_loadcnt 0x1
	v_cvt_pk_bf16_f32 v6, v6, v7
	v_add_f32_e32 v2, v2, v4
	s_delay_alu instid0(VALU_DEP_3) | instskip(SKIP_1) | instid1(VALU_DEP_4)
	v_and_b32_e32 v9, 0xffff0000, v8
	v_lshlrev_b32_e32 v8, 16, v8
	v_and_b32_e32 v7, 0xffff0000, v6
	v_lshlrev_b32_e32 v6, 16, v6
	v_add_f32_e32 v2, v3, v2
	s_wait_loadcnt 0x0
	v_pk_fma_f32 v[8:9], v[12:13], v[8:9], v[34:35]
	v_dual_lshlrev_b32 v12, 16, v71 :: v_dual_lshlrev_b32 v13, 16, v10
	scratch_load_b64 v[10:11], off, s32 offset:800 ; 8-byte Folded Reload
	v_pk_fma_f32 v[8:9], v[12:13], v[14:15], v[8:9]
	scratch_load_b64 v[14:15], off, s32 offset:640 ; 8-byte Folded Reload
	v_dual_lshlrev_b32 v13, 16, v83 :: v_dual_lshlrev_b32 v12, 16, v52
	s_wait_loadcnt 0x0
	s_delay_alu instid0(VALU_DEP_1) | instskip(SKIP_2) | instid1(VALU_DEP_1)
	v_pk_fma_f32 v[8:9], v[14:15], v[12:13], v[8:9]
	scratch_load_b64 v[14:15], off, s32 offset:672 ; 8-byte Folded Reload
	v_cvt_pk_bf16_f32 v12, v28, v29
	v_and_b32_e32 v13, 0xffff0000, v12
	v_lshlrev_b32_e32 v12, 16, v12
	s_wait_loadcnt 0x0
	s_delay_alu instid0(VALU_DEP_1) | instskip(SKIP_2) | instid1(VALU_DEP_1)
	v_pk_fma_f32 v[8:9], v[14:15], v[12:13], v[8:9]
	scratch_load_b64 v[14:15], off, s32 offset:704 ; 8-byte Folded Reload
	v_cvt_pk_bf16_f32 v12, v62, v63
	v_and_b32_e32 v13, 0xffff0000, v12
	v_lshlrev_b32_e32 v12, 16, v12
	;; [unrolled: 7-line block ×3, first 2 shown]
	s_wait_loadcnt 0x0
	s_delay_alu instid0(VALU_DEP_1)
	v_pk_fma_f32 v[8:9], v[14:15], v[12:13], v[8:9]
	scratch_load_b64 v[12:13], off, s32 offset:768 ; 8-byte Folded Reload
	s_wait_loadcnt 0x0
	v_pk_fma_f32 v[6:7], v[12:13], v[6:7], v[8:9]
	scratch_load_b64 v[8:9], off, s32 offset:348 th:TH_LOAD_LU ; 8-byte Folded Reload
	s_wait_loadcnt 0x0
	v_cvt_pk_bf16_f32 v8, v8, v9
	s_delay_alu instid0(VALU_DEP_1) | instskip(SKIP_1) | instid1(VALU_DEP_1)
	v_and_b32_e32 v9, 0xffff0000, v8
	v_lshlrev_b32_e32 v8, 16, v8
	v_pk_fma_f32 v[6:7], v[10:11], v[8:9], v[6:7]
	s_clause 0x1
	scratch_load_b64 v[8:9], off, s32 offset:332 th:TH_LOAD_LU
	scratch_load_b64 v[10:11], off, s32 offset:832
	s_wait_loadcnt 0x1
	v_cvt_pk_bf16_f32 v8, v8, v9
	s_delay_alu instid0(VALU_DEP_1) | instskip(SKIP_2) | instid1(VALU_DEP_1)
	v_and_b32_e32 v9, 0xffff0000, v8
	v_lshlrev_b32_e32 v8, 16, v8
	s_wait_loadcnt 0x0
	v_pk_fma_f32 v[6:7], v[10:11], v[8:9], v[6:7]
	s_clause 0x1
	scratch_load_b64 v[8:9], off, s32 offset:316 th:TH_LOAD_LU
	scratch_load_b64 v[10:11], off, s32 offset:864
	s_wait_loadcnt 0x1
	v_cvt_pk_bf16_f32 v8, v8, v9
	s_delay_alu instid0(VALU_DEP_1) | instskip(SKIP_2) | instid1(VALU_DEP_1)
	v_and_b32_e32 v9, 0xffff0000, v8
	v_lshlrev_b32_e32 v8, 16, v8
	s_wait_loadcnt 0x0
	;; [unrolled: 10-line block ×3, first 2 shown]
	v_pk_fma_f32 v[6:7], v[10:11], v[8:9], v[6:7]
	scratch_load_b64 v[8:9], off, s32 offset:928 ; 8-byte Folded Reload
	s_wait_loadcnt 0x0
	v_pk_fma_f32 v[0:1], v[8:9], v[0:1], v[6:7]
	s_delay_alu instid0(VALU_DEP_1) | instskip(NEXT) | instid1(VALU_DEP_1)
	v_add_f32_e32 v0, v0, v2
	v_add_f32_e32 v0, v1, v0
	s_clause 0x4
	scratch_load_b32 v1, off, s32 offset:944
	scratch_load_b64 v[38:39], off, s32 offset:300
	scratch_load_b32 v2, off, s32 offset:372
	scratch_load_b32 v5, off, s32 offset:296
	scratch_load_b32 v48, off, s32 offset:292 th:TH_LOAD_LU
	s_load_b32 s16, s[6:7], 0x0
	s_wait_loadcnt 0x3
	v_add_nc_u32_e32 v1, v1, v38
	s_delay_alu instid0(VALU_DEP_1) | instskip(SKIP_1) | instid1(VALU_DEP_1)
	v_cvt_f32_i32_e32 v1, v1
	s_wait_loadcnt 0x2
	v_mul_f32_e32 v1, v2, v1
	scratch_load_b32 v2, off, s32 offset:384 ; 4-byte Folded Reload
	v_cndmask_b32_e32 v1, 0, v1, vcc_lo
	s_wait_loadcnt 0x0
	s_delay_alu instid0(VALU_DEP_1)
	v_fmac_f32_e32 v1, v2, v0
	s_clause 0x1
	scratch_load_b32 v0, off, s32 offset:524
	scratch_load_b32 v2, off, s32 offset:192
	s_wait_loadcnt 0x1
	v_add_nc_u32_e32 v0, v0, v38
	s_wait_loadcnt 0x0
	s_delay_alu instid0(VALU_DEP_1) | instskip(SKIP_2) | instid1(VALU_DEP_2)
	v_cmp_lt_i32_e64 s1, v0, v2
	s_wait_kmcnt 0x0
	v_add_nc_u32_e32 v0, s16, v5
	v_cndmask_b32_e64 v2, 0, v1, s1
	ds_store_b32 v0, v2
	v_max_num_f32_e32 v0, v48, v48
	s_delay_alu instid0(VALU_DEP_1) | instskip(NEXT) | instid1(VALU_DEP_1)
	v_max_num_f32_e32 v0, v0, v1
	v_cndmask_b32_e64 v48, v48, v0, s1
.LBB353_14:                             ;   in Loop: Header=BB353_15 Depth=1
	s_wait_xcnt 0x0
	s_or_b32 exec_lo, exec_lo, s2
	s_clause 0x1
	scratch_load_b32 v2, off, s32 offset:232
	scratch_load_b32 v0, off, s32 offset:196
	v_add_nc_u32_e32 v38, 0x80, v38
	v_add_nc_u32_e32 v5, 0x200, v5
	s_wait_loadcnt 0x1
	v_add_nc_u32_e32 v2, 4, v2
	s_wait_loadcnt 0x0
	s_delay_alu instid0(VALU_DEP_1)
	v_cmp_ge_i32_e64 s1, v2, v0
	scratch_load_b64 v[0:1], off, s32 offset:200 ; 8-byte Folded Reload
	s_or_b32 s15, s1, s15
	s_wait_loadcnt 0x0
	v_add_nc_u64_e32 v[0:1], 16, v[0:1]
	scratch_store_b64 off, v[0:1], s32 offset:200 ; 8-byte Folded Spill
	s_wait_xcnt 0x0
	s_and_not1_b32 exec_lo, exec_lo, s15
	s_cbranch_execz .LBB353_1039
.LBB353_15:                             ; =>This Inner Loop Header: Depth=1
	s_clause 0x1
	scratch_load_b64 v[0:1], off, s32 offset:212
	scratch_load_b32 v4, off, s32 offset:208
	v_mov_b32_e32 v39, v53
	scratch_store_b32 off, v2, s32 offset:232 ; 4-byte Folded Spill
	s_wait_loadcnt 0x1
	v_mul_u64_e32 v[0:1], v[38:39], v[0:1]
	s_wait_loadcnt 0x0
	s_delay_alu instid0(VALU_DEP_1) | instskip(SKIP_1) | instid1(VALU_DEP_1)
	v_mul_lo_u32 v0, v1, v4
	s_wait_xcnt 0x0
	v_dual_sub_nc_u32 v0, v38, v0 :: v_dual_add_nc_u32 v2, 1, v1
	s_delay_alu instid0(VALU_DEP_1) | instskip(SKIP_1) | instid1(VALU_DEP_1)
	v_sub_nc_u32_e32 v3, v0, v4
	v_cmp_ge_u32_e64 s1, v0, v4
	v_dual_cndmask_b32 v1, v1, v2, s1 :: v_dual_cndmask_b32 v0, v0, v3, s1
	s_delay_alu instid0(VALU_DEP_1) | instskip(NEXT) | instid1(VALU_DEP_2)
	v_add_nc_u32_e32 v2, 1, v1
	v_cmp_ge_u32_e64 s1, v0, v4
	scratch_load_b32 v4, off, s32 offset:280 ; 4-byte Folded Reload
	v_cndmask_b32_e64 v0, v1, v2, s1
	scratch_load_b32 v1, off, s32 offset:220 ; 4-byte Folded Reload
	s_wait_loadcnt 0x0
	v_xor_b32_e32 v0, v0, v1
	s_delay_alu instid0(VALU_DEP_1) | instskip(SKIP_3) | instid1(VALU_DEP_1)
	v_sub_nc_u32_e32 v2, v0, v1
	scratch_load_b32 v0, off, s32 offset:224 ; 4-byte Folded Reload
	s_wait_loadcnt 0x0
	v_add_nc_u32_e32 v3, v2, v0
	v_sub_nc_u32_e32 v0, 0, v3
	s_delay_alu instid0(VALU_DEP_1) | instskip(SKIP_3) | instid1(VALU_DEP_1)
	v_max_i32_e32 v52, v3, v0
	scratch_load_b64 v[0:1], off, s32 offset:284 ; 8-byte Folded Reload
	s_wait_loadcnt 0x0
	v_mul_u64_e32 v[0:1], v[52:53], v[0:1]
	v_mul_lo_u32 v0, v1, v4
	s_delay_alu instid0(VALU_DEP_1) | instskip(NEXT) | instid1(VALU_DEP_1)
	v_dual_sub_nc_u32 v0, v52, v0 :: v_dual_ashrrev_i32 v3, 31, v3
	v_sub_nc_u32_e32 v1, v0, v4
	v_cmp_ge_u32_e64 s1, v0, v4
	s_delay_alu instid0(VALU_DEP_1) | instskip(NEXT) | instid1(VALU_DEP_1)
	v_cndmask_b32_e64 v0, v0, v1, s1
	v_sub_nc_u32_e32 v1, v0, v4
	v_cmp_ge_u32_e64 s1, v0, v4
	s_delay_alu instid0(VALU_DEP_1) | instskip(NEXT) | instid1(VALU_DEP_1)
	v_cndmask_b32_e64 v0, v0, v1, s1
	v_xor_b32_e32 v0, v0, v3
	s_delay_alu instid0(VALU_DEP_1) | instskip(NEXT) | instid1(VALU_DEP_1)
	v_sub_nc_u32_e32 v0, v0, v3
	v_cmp_ne_u32_e64 s1, 0, v0
	scratch_load_b32 v0, off, s32 offset:228 ; 4-byte Folded Reload
	s_wait_loadcnt 0x0
	v_cmp_le_i32_e64 s2, v2, v0
	s_and_b32 s1, s1, s2
	s_wait_xcnt 0x0
	s_and_saveexec_b32 s2, s1
	s_delay_alu instid0(SALU_CYCLE_1)
	s_xor_b32 s1, exec_lo, s2
	s_cbranch_execz .LBB353_17
; %bb.16:                               ;   in Loop: Header=BB353_15 Depth=1
	s_wait_kmcnt 0x0
	v_dual_mov_b32 v1, 0xff7fffff :: v_dual_add_nc_u32 v0, s14, v5
	ds_store_b32 v0, v1
.LBB353_17:                             ;   in Loop: Header=BB353_15 Depth=1
	s_and_not1_saveexec_b32 s2, s1
	s_cbranch_execz .LBB353_14
; %bb.18:                               ;   in Loop: Header=BB353_15 Depth=1
	s_clause 0x1
	scratch_load_b64 v[0:1], off, s32 offset:200
	scratch_store_b32 off, v5, s32 offset:296
	v_dual_mov_b32 v81, 0 :: v_dual_mov_b32 v80, 0
	s_mov_b32 s16, exec_lo
	s_wait_loadcnt 0x0
	flat_load_b32 v0, v[0:1]
	s_clause 0x1
	scratch_load_b64 v[2:3], off, s32 offset:476
	scratch_load_b64 v[4:5], off, s32 offset:936
	s_wait_loadcnt_dscnt 0x0
	v_mad_nc_i64_i32 v[112:113], v0, v2, v[4:5]
	flat_load_b64 v[0:1], v[112:113]
	scratch_load_b64 v[2:3], off, s32 offset:376 ; 8-byte Folded Reload
	s_wait_loadcnt 0x0
	flat_load_b32 v70, v[2:3]
	s_wait_dscnt 0x1
	s_wait_xcnt 0x0
	v_and_b32_e32 v2, 0xff, v0
	s_delay_alu instid0(VALU_DEP_1)
	v_cmpx_ne_u16_e32 0, v2
	s_cbranch_execz .LBB353_26
; %bb.19:                               ;   in Loop: Header=BB353_15 Depth=1
	v_bfrev_b32_e32 v80, 1
	s_mov_b32 s17, exec_lo
	v_cmpx_ne_u16_e32 0x80, v2
	s_cbranch_execz .LBB353_25
; %bb.20:                               ;   in Loop: Header=BB353_15 Depth=1
	v_and_b32_e32 v2, 0x7f, v0
	v_mov_b32_e32 v80, 0x7f800001
	s_mov_b32 s18, exec_lo
	s_delay_alu instid0(VALU_DEP_2)
	v_cmpx_ne_u32_e32 0x7f, v2
	s_cbranch_execz .LBB353_24
; %bb.21:                               ;   in Loop: Header=BB353_15 Depth=1
	v_lshrrev_b32_e32 v4, 3, v2
	v_cmp_gt_u32_e64 s1, 8, v2
	v_mov_b64_e32 v[2:3], v[0:1]
	s_and_saveexec_b32 s19, s1
; %bb.22:                               ;   in Loop: Header=BB353_15 Depth=1
	v_and_b32_e32 v2, 7, v0
	s_delay_alu instid0(VALU_DEP_1) | instskip(NEXT) | instid1(VALU_DEP_1)
	v_clz_i32_u32_e32 v2, v2
	v_min_u32_e32 v4, 32, v2
	s_delay_alu instid0(VALU_DEP_1) | instskip(SKIP_1) | instid1(VALU_DEP_2)
	v_subrev_nc_u32_e32 v2, 28, v4
	v_sub_nc_u32_e32 v4, 29, v4
	v_lshlrev_b64_e32 v[2:3], v2, v[0:1]
; %bb.23:                               ;   in Loop: Header=BB353_15 Depth=1
	s_or_b32 exec_lo, exec_lo, s19
	s_delay_alu instid0(VALU_DEP_1) | instskip(NEXT) | instid1(VALU_DEP_3)
	v_dual_lshlrev_b32 v2, 20, v2 :: v_dual_lshlrev_b32 v3, 24, v0
	v_lshl_add_u32 v4, v4, 23, 0x3c000000
	s_delay_alu instid0(VALU_DEP_2) | instskip(NEXT) | instid1(VALU_DEP_3)
	v_and_b32_e32 v2, 0x700000, v2
	v_and_b32_e32 v3, 0x80000000, v3
	s_delay_alu instid0(VALU_DEP_1)
	v_or3_b32 v80, v2, v3, v4
.LBB353_24:                             ;   in Loop: Header=BB353_15 Depth=1
	s_or_b32 exec_lo, exec_lo, s18
.LBB353_25:                             ;   in Loop: Header=BB353_15 Depth=1
	s_delay_alu instid0(SALU_CYCLE_1)
	s_or_b32 exec_lo, exec_lo, s17
.LBB353_26:                             ;   in Loop: Header=BB353_15 Depth=1
	s_delay_alu instid0(SALU_CYCLE_1) | instskip(SKIP_2) | instid1(VALU_DEP_1)
	s_or_b32 exec_lo, exec_lo, s16
	v_lshrrev_b16 v2, 8, v0
	s_mov_b32 s16, exec_lo
	v_cmpx_ne_u16_e32 0, v2
	s_cbranch_execz .LBB353_34
; %bb.27:                               ;   in Loop: Header=BB353_15 Depth=1
	v_bfrev_b32_e32 v81, 1
	s_mov_b32 s17, exec_lo
	v_cmpx_ne_u16_e32 0x80, v2
	s_cbranch_execz .LBB353_33
; %bb.28:                               ;   in Loop: Header=BB353_15 Depth=1
	v_and_b32_e32 v3, 0xffff, v2
	v_mov_b32_e32 v81, 0x7f800001
	s_mov_b32 s18, exec_lo
	s_delay_alu instid0(VALU_DEP_2) | instskip(NEXT) | instid1(VALU_DEP_1)
	v_and_b32_e32 v2, 0x7f, v3
	v_cmpx_ne_u32_e32 0x7f, v2
	s_cbranch_execz .LBB353_32
; %bb.29:                               ;   in Loop: Header=BB353_15 Depth=1
	v_dual_lshrrev_b32 v4, 3, v2 :: v_dual_bitop2_b32 v52, 7, v3 bitop3:0x40
	v_cmp_gt_u32_e64 s1, 8, v2
	s_delay_alu instid0(VALU_DEP_2)
	v_mov_b64_e32 v[2:3], v[52:53]
	s_and_saveexec_b32 s19, s1
; %bb.30:                               ;   in Loop: Header=BB353_15 Depth=1
	v_clz_i32_u32_e32 v2, v52
	s_delay_alu instid0(VALU_DEP_1) | instskip(NEXT) | instid1(VALU_DEP_1)
	v_min_u32_e32 v4, 32, v2
	v_subrev_nc_u32_e32 v2, 28, v4
	s_delay_alu instid0(VALU_DEP_1) | instskip(NEXT) | instid1(VALU_DEP_1)
	v_lshlrev_b64_e32 v[2:3], v2, v[52:53]
	v_dual_sub_nc_u32 v4, 29, v4 :: v_dual_bitop2_b32 v2, 7, v2 bitop3:0x40
; %bb.31:                               ;   in Loop: Header=BB353_15 Depth=1
	s_or_b32 exec_lo, exec_lo, s19
	s_delay_alu instid0(VALU_DEP_1) | instskip(NEXT) | instid1(VALU_DEP_2)
	v_dual_lshlrev_b32 v3, 16, v0 :: v_dual_lshlrev_b32 v2, 20, v2
	v_lshl_add_u32 v4, v4, 23, 0x3c000000
	s_delay_alu instid0(VALU_DEP_2) | instskip(NEXT) | instid1(VALU_DEP_1)
	v_and_b32_e32 v3, 0x80000000, v3
	v_or3_b32 v81, v2, v3, v4
.LBB353_32:                             ;   in Loop: Header=BB353_15 Depth=1
	s_or_b32 exec_lo, exec_lo, s18
.LBB353_33:                             ;   in Loop: Header=BB353_15 Depth=1
	s_delay_alu instid0(SALU_CYCLE_1)
	s_or_b32 exec_lo, exec_lo, s17
.LBB353_34:                             ;   in Loop: Header=BB353_15 Depth=1
	s_delay_alu instid0(SALU_CYCLE_1) | instskip(SKIP_3) | instid1(VALU_DEP_2)
	s_or_b32 exec_lo, exec_lo, s16
	v_dual_mov_b32 v87, 0 :: v_dual_lshrrev_b32 v4, 16, v0
	v_mov_b32_e32 v86, 0
	s_mov_b32 s16, exec_lo
	v_and_b32_e32 v2, 0xff, v4
	s_delay_alu instid0(VALU_DEP_1)
	v_cmpx_ne_u16_e32 0, v2
	s_cbranch_execz .LBB353_42
; %bb.35:                               ;   in Loop: Header=BB353_15 Depth=1
	v_bfrev_b32_e32 v86, 1
	s_mov_b32 s17, exec_lo
	v_cmpx_ne_u16_e32 0x80, v2
	s_cbranch_execz .LBB353_41
; %bb.36:                               ;   in Loop: Header=BB353_15 Depth=1
	v_bfe_u32 v2, v0, 16, 7
	v_mov_b32_e32 v86, 0x7f800001
	s_mov_b32 s18, exec_lo
	s_delay_alu instid0(VALU_DEP_2)
	v_cmpx_ne_u32_e32 0x7f, v2
	s_cbranch_execz .LBB353_40
; %bb.37:                               ;   in Loop: Header=BB353_15 Depth=1
	v_dual_lshrrev_b32 v5, 3, v2 :: v_dual_bitop2_b32 v52, 7, v4 bitop3:0x40
	v_cmp_gt_u32_e64 s1, 8, v2
	s_delay_alu instid0(VALU_DEP_2)
	v_mov_b64_e32 v[2:3], v[52:53]
	s_and_saveexec_b32 s19, s1
; %bb.38:                               ;   in Loop: Header=BB353_15 Depth=1
	v_clz_i32_u32_e32 v2, v52
	s_delay_alu instid0(VALU_DEP_1) | instskip(NEXT) | instid1(VALU_DEP_1)
	v_min_u32_e32 v5, 32, v2
	v_subrev_nc_u32_e32 v2, 28, v5
	s_delay_alu instid0(VALU_DEP_1) | instskip(NEXT) | instid1(VALU_DEP_1)
	v_lshlrev_b64_e32 v[2:3], v2, v[52:53]
	v_dual_sub_nc_u32 v5, 29, v5 :: v_dual_bitop2_b32 v2, 7, v2 bitop3:0x40
; %bb.39:                               ;   in Loop: Header=BB353_15 Depth=1
	s_or_b32 exec_lo, exec_lo, s19
	s_delay_alu instid0(VALU_DEP_1) | instskip(NEXT) | instid1(VALU_DEP_2)
	v_dual_lshlrev_b32 v3, 24, v4 :: v_dual_lshlrev_b32 v2, 20, v2
	v_lshl_add_u32 v4, v5, 23, 0x3c000000
	s_delay_alu instid0(VALU_DEP_2) | instskip(NEXT) | instid1(VALU_DEP_1)
	v_and_b32_e32 v3, 0x80000000, v3
	v_or3_b32 v86, v2, v3, v4
.LBB353_40:                             ;   in Loop: Header=BB353_15 Depth=1
	s_or_b32 exec_lo, exec_lo, s18
.LBB353_41:                             ;   in Loop: Header=BB353_15 Depth=1
	s_delay_alu instid0(SALU_CYCLE_1)
	s_or_b32 exec_lo, exec_lo, s17
.LBB353_42:                             ;   in Loop: Header=BB353_15 Depth=1
	s_delay_alu instid0(SALU_CYCLE_1) | instskip(NEXT) | instid1(SALU_CYCLE_1)
	s_or_b32 exec_lo, exec_lo, s16
	s_mov_b32 s16, exec_lo
	v_cmpx_lt_u32_e32 0xffffff, v0
	s_cbranch_execz .LBB353_50
; %bb.43:                               ;   in Loop: Header=BB353_15 Depth=1
	v_lshrrev_b32_e32 v4, 24, v0
	v_bfrev_b32_e32 v87, 1
	s_mov_b32 s17, exec_lo
	s_delay_alu instid0(VALU_DEP_2)
	v_cmpx_ne_u32_e32 0x80, v4
	s_cbranch_execz .LBB353_49
; %bb.44:                               ;   in Loop: Header=BB353_15 Depth=1
	v_bfe_u32 v2, v0, 24, 7
	v_mov_b32_e32 v87, 0x7f800001
	s_mov_b32 s18, exec_lo
	s_delay_alu instid0(VALU_DEP_2)
	v_cmpx_ne_u32_e32 0x7f, v2
	s_cbranch_execz .LBB353_48
; %bb.45:                               ;   in Loop: Header=BB353_15 Depth=1
	v_dual_lshrrev_b32 v5, 3, v2 :: v_dual_bitop2_b32 v52, 7, v4 bitop3:0x40
	v_cmp_gt_u32_e64 s1, 8, v2
	s_delay_alu instid0(VALU_DEP_2)
	v_mov_b64_e32 v[2:3], v[52:53]
	s_and_saveexec_b32 s19, s1
; %bb.46:                               ;   in Loop: Header=BB353_15 Depth=1
	v_clz_i32_u32_e32 v2, v52
	s_delay_alu instid0(VALU_DEP_1) | instskip(NEXT) | instid1(VALU_DEP_1)
	v_min_u32_e32 v5, 32, v2
	v_subrev_nc_u32_e32 v2, 28, v5
	s_delay_alu instid0(VALU_DEP_1) | instskip(NEXT) | instid1(VALU_DEP_1)
	v_lshlrev_b64_e32 v[2:3], v2, v[52:53]
	v_dual_sub_nc_u32 v5, 29, v5 :: v_dual_bitop2_b32 v2, 7, v2 bitop3:0x40
; %bb.47:                               ;   in Loop: Header=BB353_15 Depth=1
	s_or_b32 exec_lo, exec_lo, s19
	s_delay_alu instid0(VALU_DEP_1) | instskip(NEXT) | instid1(VALU_DEP_2)
	v_dual_lshlrev_b32 v3, 24, v4 :: v_dual_lshlrev_b32 v2, 20, v2
	v_lshl_add_u32 v4, v5, 23, 0x3c000000
	s_delay_alu instid0(VALU_DEP_2) | instskip(NEXT) | instid1(VALU_DEP_1)
	v_and_b32_e32 v3, 0x80000000, v3
	v_or3_b32 v87, v2, v3, v4
.LBB353_48:                             ;   in Loop: Header=BB353_15 Depth=1
	s_or_b32 exec_lo, exec_lo, s18
.LBB353_49:                             ;   in Loop: Header=BB353_15 Depth=1
	s_delay_alu instid0(SALU_CYCLE_1)
	s_or_b32 exec_lo, exec_lo, s17
.LBB353_50:                             ;   in Loop: Header=BB353_15 Depth=1
	s_delay_alu instid0(SALU_CYCLE_1) | instskip(SKIP_4) | instid1(VALU_DEP_3)
	s_or_b32 exec_lo, exec_lo, s16
	v_and_b32_e32 v2, 0xff, v1
	v_dual_mov_b32 v52, v1 :: v_dual_mov_b32 v101, 0
	v_mov_b32_e32 v100, 0
	s_mov_b32 s16, exec_lo
	v_cmpx_ne_u16_e32 0, v2
	s_cbranch_execz .LBB353_58
; %bb.51:                               ;   in Loop: Header=BB353_15 Depth=1
	v_bfrev_b32_e32 v100, 1
	s_mov_b32 s17, exec_lo
	v_cmpx_ne_u16_e32 0x80, v2
	s_cbranch_execz .LBB353_57
; %bb.52:                               ;   in Loop: Header=BB353_15 Depth=1
	v_and_b32_e32 v2, 0x7f, v1
	v_mov_b32_e32 v100, 0x7f800001
	s_mov_b32 s18, exec_lo
	s_delay_alu instid0(VALU_DEP_2)
	v_cmpx_ne_u32_e32 0x7f, v2
	s_cbranch_execz .LBB353_56
; %bb.53:                               ;   in Loop: Header=BB353_15 Depth=1
	v_lshrrev_b32_e32 v4, 3, v2
	v_cmp_gt_u32_e64 s1, 8, v2
	v_mov_b64_e32 v[2:3], v[52:53]
	s_and_saveexec_b32 s19, s1
; %bb.54:                               ;   in Loop: Header=BB353_15 Depth=1
	v_and_b32_e32 v2, 7, v1
	s_delay_alu instid0(VALU_DEP_1) | instskip(NEXT) | instid1(VALU_DEP_1)
	v_clz_i32_u32_e32 v2, v2
	v_min_u32_e32 v4, 32, v2
	s_delay_alu instid0(VALU_DEP_1) | instskip(SKIP_1) | instid1(VALU_DEP_2)
	v_subrev_nc_u32_e32 v2, 28, v4
	v_sub_nc_u32_e32 v4, 29, v4
	v_lshlrev_b64_e32 v[2:3], v2, v[52:53]
; %bb.55:                               ;   in Loop: Header=BB353_15 Depth=1
	s_or_b32 exec_lo, exec_lo, s19
	s_delay_alu instid0(VALU_DEP_1) | instskip(NEXT) | instid1(VALU_DEP_3)
	v_dual_lshlrev_b32 v2, 20, v2 :: v_dual_lshlrev_b32 v3, 24, v52
	v_lshl_add_u32 v4, v4, 23, 0x3c000000
	s_delay_alu instid0(VALU_DEP_2) | instskip(NEXT) | instid1(VALU_DEP_3)
	v_and_b32_e32 v2, 0x700000, v2
	v_and_b32_e32 v3, 0x80000000, v3
	s_delay_alu instid0(VALU_DEP_1)
	v_or3_b32 v100, v2, v3, v4
.LBB353_56:                             ;   in Loop: Header=BB353_15 Depth=1
	s_or_b32 exec_lo, exec_lo, s18
.LBB353_57:                             ;   in Loop: Header=BB353_15 Depth=1
	s_delay_alu instid0(SALU_CYCLE_1)
	s_or_b32 exec_lo, exec_lo, s17
.LBB353_58:                             ;   in Loop: Header=BB353_15 Depth=1
	s_delay_alu instid0(SALU_CYCLE_1) | instskip(SKIP_2) | instid1(VALU_DEP_1)
	s_or_b32 exec_lo, exec_lo, s16
	v_lshrrev_b16 v2, 8, v52
	s_mov_b32 s16, exec_lo
	v_cmpx_ne_u16_e32 0, v2
	s_cbranch_execz .LBB353_66
; %bb.59:                               ;   in Loop: Header=BB353_15 Depth=1
	v_bfrev_b32_e32 v101, 1
	s_mov_b32 s17, exec_lo
	v_cmpx_ne_u16_e32 0x80, v2
	s_cbranch_execz .LBB353_65
; %bb.60:                               ;   in Loop: Header=BB353_15 Depth=1
	v_and_b32_e32 v2, 0xffff, v2
	v_mov_b32_e32 v101, 0x7f800001
	s_mov_b32 s18, exec_lo
	s_delay_alu instid0(VALU_DEP_2) | instskip(NEXT) | instid1(VALU_DEP_1)
	v_and_b32_e32 v5, 0x7f, v2
	v_cmpx_ne_u32_e32 0x7f, v5
	s_cbranch_execz .LBB353_64
; %bb.61:                               ;   in Loop: Header=BB353_15 Depth=1
	v_dual_mov_b32 v3, v53 :: v_dual_bitop2_b32 v2, 7, v2 bitop3:0x40
	v_lshrrev_b32_e32 v4, 3, v5
	s_mov_b32 s19, exec_lo
	v_cmpx_gt_u32_e32 8, v5
; %bb.62:                               ;   in Loop: Header=BB353_15 Depth=1
	s_delay_alu instid0(VALU_DEP_3) | instskip(NEXT) | instid1(VALU_DEP_1)
	v_clz_i32_u32_e32 v4, v2
	v_min_u32_e32 v4, 32, v4
	s_delay_alu instid0(VALU_DEP_1) | instskip(NEXT) | instid1(VALU_DEP_1)
	v_subrev_nc_u32_e32 v5, 28, v4
	v_lshlrev_b64_e32 v[2:3], v5, v[2:3]
	s_delay_alu instid0(VALU_DEP_1)
	v_dual_sub_nc_u32 v4, 29, v4 :: v_dual_bitop2_b32 v2, 7, v2 bitop3:0x40
; %bb.63:                               ;   in Loop: Header=BB353_15 Depth=1
	s_or_b32 exec_lo, exec_lo, s19
	s_delay_alu instid0(VALU_DEP_1) | instskip(NEXT) | instid1(VALU_DEP_2)
	v_dual_lshlrev_b32 v3, 16, v52 :: v_dual_lshlrev_b32 v2, 20, v2
	v_lshl_add_u32 v4, v4, 23, 0x3c000000
	s_delay_alu instid0(VALU_DEP_2) | instskip(NEXT) | instid1(VALU_DEP_1)
	v_and_b32_e32 v3, 0x80000000, v3
	v_or3_b32 v101, v2, v3, v4
.LBB353_64:                             ;   in Loop: Header=BB353_15 Depth=1
	s_or_b32 exec_lo, exec_lo, s18
.LBB353_65:                             ;   in Loop: Header=BB353_15 Depth=1
	s_delay_alu instid0(SALU_CYCLE_1)
	s_or_b32 exec_lo, exec_lo, s17
.LBB353_66:                             ;   in Loop: Header=BB353_15 Depth=1
	s_delay_alu instid0(SALU_CYCLE_1) | instskip(SKIP_3) | instid1(VALU_DEP_2)
	s_or_b32 exec_lo, exec_lo, s16
	v_dual_mov_b32 v117, 0 :: v_dual_lshrrev_b32 v4, 16, v1
	v_mov_b32_e32 v116, 0
	s_mov_b32 s16, exec_lo
	v_and_b32_e32 v2, 0xff, v4
	s_delay_alu instid0(VALU_DEP_1)
	v_cmpx_ne_u16_e32 0, v2
	s_cbranch_execz .LBB353_74
; %bb.67:                               ;   in Loop: Header=BB353_15 Depth=1
	v_bfrev_b32_e32 v116, 1
	s_mov_b32 s17, exec_lo
	v_cmpx_ne_u16_e32 0x80, v2
	s_cbranch_execz .LBB353_73
; %bb.68:                               ;   in Loop: Header=BB353_15 Depth=1
	v_bfe_u32 v2, v1, 16, 7
	v_mov_b32_e32 v116, 0x7f800001
	s_mov_b32 s18, exec_lo
	s_delay_alu instid0(VALU_DEP_2)
	v_cmpx_ne_u32_e32 0x7f, v2
	s_cbranch_execz .LBB353_72
; %bb.69:                               ;   in Loop: Header=BB353_15 Depth=1
	v_dual_lshrrev_b32 v5, 3, v2 :: v_dual_bitop2_b32 v52, 7, v4 bitop3:0x40
	v_cmp_gt_u32_e64 s1, 8, v2
	s_delay_alu instid0(VALU_DEP_2)
	v_mov_b64_e32 v[2:3], v[52:53]
	s_and_saveexec_b32 s19, s1
; %bb.70:                               ;   in Loop: Header=BB353_15 Depth=1
	v_clz_i32_u32_e32 v2, v52
	s_delay_alu instid0(VALU_DEP_1) | instskip(NEXT) | instid1(VALU_DEP_1)
	v_min_u32_e32 v5, 32, v2
	v_subrev_nc_u32_e32 v2, 28, v5
	s_delay_alu instid0(VALU_DEP_1) | instskip(NEXT) | instid1(VALU_DEP_1)
	v_lshlrev_b64_e32 v[2:3], v2, v[52:53]
	v_dual_sub_nc_u32 v5, 29, v5 :: v_dual_bitop2_b32 v2, 7, v2 bitop3:0x40
; %bb.71:                               ;   in Loop: Header=BB353_15 Depth=1
	s_or_b32 exec_lo, exec_lo, s19
	s_delay_alu instid0(VALU_DEP_1) | instskip(NEXT) | instid1(VALU_DEP_2)
	v_dual_lshlrev_b32 v3, 24, v4 :: v_dual_lshlrev_b32 v2, 20, v2
	v_lshl_add_u32 v4, v5, 23, 0x3c000000
	s_delay_alu instid0(VALU_DEP_2) | instskip(NEXT) | instid1(VALU_DEP_1)
	v_and_b32_e32 v3, 0x80000000, v3
	v_or3_b32 v116, v2, v3, v4
.LBB353_72:                             ;   in Loop: Header=BB353_15 Depth=1
	s_or_b32 exec_lo, exec_lo, s18
.LBB353_73:                             ;   in Loop: Header=BB353_15 Depth=1
	s_delay_alu instid0(SALU_CYCLE_1)
	s_or_b32 exec_lo, exec_lo, s17
.LBB353_74:                             ;   in Loop: Header=BB353_15 Depth=1
	s_delay_alu instid0(SALU_CYCLE_1) | instskip(NEXT) | instid1(SALU_CYCLE_1)
	s_or_b32 exec_lo, exec_lo, s16
	s_mov_b32 s16, exec_lo
	v_cmpx_lt_u64_e64 s[8:9], v[0:1]
	s_cbranch_execz .LBB353_82
; %bb.75:                               ;   in Loop: Header=BB353_15 Depth=1
	v_lshrrev_b32_e32 v2, 24, v1
	v_bfrev_b32_e32 v117, 1
	s_mov_b32 s17, exec_lo
	s_delay_alu instid0(VALU_DEP_2)
	v_cmpx_ne_u32_e32 0x80, v2
	s_cbranch_execz .LBB353_81
; %bb.76:                               ;   in Loop: Header=BB353_15 Depth=1
	v_bfe_u32 v0, v1, 24, 7
	v_mov_b32_e32 v117, 0x7f800001
	s_mov_b32 s18, exec_lo
	s_delay_alu instid0(VALU_DEP_2)
	v_cmpx_ne_u32_e32 0x7f, v0
	s_cbranch_execz .LBB353_80
; %bb.77:                               ;   in Loop: Header=BB353_15 Depth=1
	v_dual_lshrrev_b32 v3, 3, v0 :: v_dual_bitop2_b32 v52, 7, v2 bitop3:0x40
	v_cmp_gt_u32_e64 s1, 8, v0
	s_delay_alu instid0(VALU_DEP_2)
	v_mov_b64_e32 v[0:1], v[52:53]
	s_and_saveexec_b32 s19, s1
; %bb.78:                               ;   in Loop: Header=BB353_15 Depth=1
	v_clz_i32_u32_e32 v0, v52
	s_delay_alu instid0(VALU_DEP_1) | instskip(NEXT) | instid1(VALU_DEP_1)
	v_min_u32_e32 v3, 32, v0
	v_subrev_nc_u32_e32 v0, 28, v3
	s_delay_alu instid0(VALU_DEP_1) | instskip(NEXT) | instid1(VALU_DEP_1)
	v_lshlrev_b64_e32 v[0:1], v0, v[52:53]
	v_dual_sub_nc_u32 v3, 29, v3 :: v_dual_bitop2_b32 v0, 7, v0 bitop3:0x40
; %bb.79:                               ;   in Loop: Header=BB353_15 Depth=1
	s_or_b32 exec_lo, exec_lo, s19
	s_delay_alu instid0(VALU_DEP_1) | instskip(NEXT) | instid1(VALU_DEP_2)
	v_dual_lshlrev_b32 v1, 24, v2 :: v_dual_lshlrev_b32 v0, 20, v0
	v_lshl_add_u32 v2, v3, 23, 0x3c000000
	s_delay_alu instid0(VALU_DEP_2) | instskip(NEXT) | instid1(VALU_DEP_1)
	v_and_b32_e32 v1, 0x80000000, v1
	v_or3_b32 v117, v0, v1, v2
.LBB353_80:                             ;   in Loop: Header=BB353_15 Depth=1
	s_or_b32 exec_lo, exec_lo, s18
.LBB353_81:                             ;   in Loop: Header=BB353_15 Depth=1
	s_delay_alu instid0(SALU_CYCLE_1)
	s_or_b32 exec_lo, exec_lo, s17
.LBB353_82:                             ;   in Loop: Header=BB353_15 Depth=1
	s_delay_alu instid0(SALU_CYCLE_1)
	s_or_b32 exec_lo, exec_lo, s16
	flat_load_b64 v[0:1], v[112:113] offset:8
	v_dual_mov_b32 v85, 0 :: v_dual_mov_b32 v84, 0
	s_mov_b32 s16, exec_lo
	s_wait_loadcnt_dscnt 0x0
	v_and_b32_e32 v2, 0xff, v0
	s_wait_xcnt 0x0
	s_delay_alu instid0(VALU_DEP_1)
	v_cmpx_ne_u16_e32 0, v2
	s_cbranch_execz .LBB353_90
; %bb.83:                               ;   in Loop: Header=BB353_15 Depth=1
	v_bfrev_b32_e32 v84, 1
	s_mov_b32 s17, exec_lo
	v_cmpx_ne_u16_e32 0x80, v2
	s_cbranch_execz .LBB353_89
; %bb.84:                               ;   in Loop: Header=BB353_15 Depth=1
	v_and_b32_e32 v2, 0x7f, v0
	v_mov_b32_e32 v84, 0x7f800001
	s_mov_b32 s18, exec_lo
	s_delay_alu instid0(VALU_DEP_2)
	v_cmpx_ne_u32_e32 0x7f, v2
	s_cbranch_execz .LBB353_88
; %bb.85:                               ;   in Loop: Header=BB353_15 Depth=1
	v_lshrrev_b32_e32 v4, 3, v2
	v_cmp_gt_u32_e64 s1, 8, v2
	v_mov_b64_e32 v[2:3], v[0:1]
	s_and_saveexec_b32 s19, s1
; %bb.86:                               ;   in Loop: Header=BB353_15 Depth=1
	v_and_b32_e32 v2, 7, v0
	s_delay_alu instid0(VALU_DEP_1) | instskip(NEXT) | instid1(VALU_DEP_1)
	v_clz_i32_u32_e32 v2, v2
	v_min_u32_e32 v4, 32, v2
	s_delay_alu instid0(VALU_DEP_1) | instskip(SKIP_1) | instid1(VALU_DEP_2)
	v_subrev_nc_u32_e32 v2, 28, v4
	v_sub_nc_u32_e32 v4, 29, v4
	v_lshlrev_b64_e32 v[2:3], v2, v[0:1]
; %bb.87:                               ;   in Loop: Header=BB353_15 Depth=1
	s_or_b32 exec_lo, exec_lo, s19
	s_delay_alu instid0(VALU_DEP_1) | instskip(NEXT) | instid1(VALU_DEP_3)
	v_dual_lshlrev_b32 v2, 20, v2 :: v_dual_lshlrev_b32 v3, 24, v0
	v_lshl_add_u32 v4, v4, 23, 0x3c000000
	s_delay_alu instid0(VALU_DEP_2) | instskip(NEXT) | instid1(VALU_DEP_3)
	v_and_b32_e32 v2, 0x700000, v2
	v_and_b32_e32 v3, 0x80000000, v3
	s_delay_alu instid0(VALU_DEP_1)
	v_or3_b32 v84, v2, v3, v4
.LBB353_88:                             ;   in Loop: Header=BB353_15 Depth=1
	s_or_b32 exec_lo, exec_lo, s18
.LBB353_89:                             ;   in Loop: Header=BB353_15 Depth=1
	s_delay_alu instid0(SALU_CYCLE_1)
	s_or_b32 exec_lo, exec_lo, s17
.LBB353_90:                             ;   in Loop: Header=BB353_15 Depth=1
	s_delay_alu instid0(SALU_CYCLE_1) | instskip(SKIP_2) | instid1(VALU_DEP_1)
	s_or_b32 exec_lo, exec_lo, s16
	v_lshrrev_b16 v2, 8, v0
	s_mov_b32 s16, exec_lo
	v_cmpx_ne_u16_e32 0, v2
	s_cbranch_execz .LBB353_98
; %bb.91:                               ;   in Loop: Header=BB353_15 Depth=1
	v_bfrev_b32_e32 v85, 1
	s_mov_b32 s17, exec_lo
	v_cmpx_ne_u16_e32 0x80, v2
	s_cbranch_execz .LBB353_97
; %bb.92:                               ;   in Loop: Header=BB353_15 Depth=1
	v_and_b32_e32 v3, 0xffff, v2
	v_mov_b32_e32 v85, 0x7f800001
	s_mov_b32 s18, exec_lo
	s_delay_alu instid0(VALU_DEP_2) | instskip(NEXT) | instid1(VALU_DEP_1)
	v_and_b32_e32 v2, 0x7f, v3
	v_cmpx_ne_u32_e32 0x7f, v2
	s_cbranch_execz .LBB353_96
; %bb.93:                               ;   in Loop: Header=BB353_15 Depth=1
	v_dual_lshrrev_b32 v4, 3, v2 :: v_dual_bitop2_b32 v52, 7, v3 bitop3:0x40
	v_cmp_gt_u32_e64 s1, 8, v2
	s_delay_alu instid0(VALU_DEP_2)
	v_mov_b64_e32 v[2:3], v[52:53]
	s_and_saveexec_b32 s19, s1
; %bb.94:                               ;   in Loop: Header=BB353_15 Depth=1
	v_clz_i32_u32_e32 v2, v52
	s_delay_alu instid0(VALU_DEP_1) | instskip(NEXT) | instid1(VALU_DEP_1)
	v_min_u32_e32 v4, 32, v2
	v_subrev_nc_u32_e32 v2, 28, v4
	s_delay_alu instid0(VALU_DEP_1) | instskip(NEXT) | instid1(VALU_DEP_1)
	v_lshlrev_b64_e32 v[2:3], v2, v[52:53]
	v_dual_sub_nc_u32 v4, 29, v4 :: v_dual_bitop2_b32 v2, 7, v2 bitop3:0x40
; %bb.95:                               ;   in Loop: Header=BB353_15 Depth=1
	s_or_b32 exec_lo, exec_lo, s19
	s_delay_alu instid0(VALU_DEP_1) | instskip(NEXT) | instid1(VALU_DEP_2)
	v_dual_lshlrev_b32 v3, 16, v0 :: v_dual_lshlrev_b32 v2, 20, v2
	v_lshl_add_u32 v4, v4, 23, 0x3c000000
	s_delay_alu instid0(VALU_DEP_2) | instskip(NEXT) | instid1(VALU_DEP_1)
	v_and_b32_e32 v3, 0x80000000, v3
	v_or3_b32 v85, v2, v3, v4
.LBB353_96:                             ;   in Loop: Header=BB353_15 Depth=1
	s_or_b32 exec_lo, exec_lo, s18
.LBB353_97:                             ;   in Loop: Header=BB353_15 Depth=1
	s_delay_alu instid0(SALU_CYCLE_1)
	s_or_b32 exec_lo, exec_lo, s17
.LBB353_98:                             ;   in Loop: Header=BB353_15 Depth=1
	s_delay_alu instid0(SALU_CYCLE_1) | instskip(SKIP_3) | instid1(VALU_DEP_2)
	s_or_b32 exec_lo, exec_lo, s16
	v_dual_mov_b32 v103, 0 :: v_dual_lshrrev_b32 v4, 16, v0
	v_mov_b32_e32 v102, 0
	s_mov_b32 s16, exec_lo
	v_and_b32_e32 v2, 0xff, v4
	s_delay_alu instid0(VALU_DEP_1)
	v_cmpx_ne_u16_e32 0, v2
	s_cbranch_execz .LBB353_106
; %bb.99:                               ;   in Loop: Header=BB353_15 Depth=1
	v_bfrev_b32_e32 v102, 1
	s_mov_b32 s17, exec_lo
	v_cmpx_ne_u16_e32 0x80, v2
	s_cbranch_execz .LBB353_105
; %bb.100:                              ;   in Loop: Header=BB353_15 Depth=1
	v_bfe_u32 v2, v0, 16, 7
	v_mov_b32_e32 v102, 0x7f800001
	s_mov_b32 s18, exec_lo
	s_delay_alu instid0(VALU_DEP_2)
	v_cmpx_ne_u32_e32 0x7f, v2
	s_cbranch_execz .LBB353_104
; %bb.101:                              ;   in Loop: Header=BB353_15 Depth=1
	v_dual_lshrrev_b32 v5, 3, v2 :: v_dual_bitop2_b32 v52, 7, v4 bitop3:0x40
	v_cmp_gt_u32_e64 s1, 8, v2
	s_delay_alu instid0(VALU_DEP_2)
	v_mov_b64_e32 v[2:3], v[52:53]
	s_and_saveexec_b32 s19, s1
; %bb.102:                              ;   in Loop: Header=BB353_15 Depth=1
	v_clz_i32_u32_e32 v2, v52
	s_delay_alu instid0(VALU_DEP_1) | instskip(NEXT) | instid1(VALU_DEP_1)
	v_min_u32_e32 v5, 32, v2
	v_subrev_nc_u32_e32 v2, 28, v5
	s_delay_alu instid0(VALU_DEP_1) | instskip(NEXT) | instid1(VALU_DEP_1)
	v_lshlrev_b64_e32 v[2:3], v2, v[52:53]
	v_dual_sub_nc_u32 v5, 29, v5 :: v_dual_bitop2_b32 v2, 7, v2 bitop3:0x40
; %bb.103:                              ;   in Loop: Header=BB353_15 Depth=1
	s_or_b32 exec_lo, exec_lo, s19
	s_delay_alu instid0(VALU_DEP_1) | instskip(NEXT) | instid1(VALU_DEP_2)
	v_dual_lshlrev_b32 v3, 24, v4 :: v_dual_lshlrev_b32 v2, 20, v2
	v_lshl_add_u32 v4, v5, 23, 0x3c000000
	s_delay_alu instid0(VALU_DEP_2) | instskip(NEXT) | instid1(VALU_DEP_1)
	v_and_b32_e32 v3, 0x80000000, v3
	v_or3_b32 v102, v2, v3, v4
.LBB353_104:                            ;   in Loop: Header=BB353_15 Depth=1
	s_or_b32 exec_lo, exec_lo, s18
.LBB353_105:                            ;   in Loop: Header=BB353_15 Depth=1
	s_delay_alu instid0(SALU_CYCLE_1)
	s_or_b32 exec_lo, exec_lo, s17
.LBB353_106:                            ;   in Loop: Header=BB353_15 Depth=1
	s_delay_alu instid0(SALU_CYCLE_1) | instskip(NEXT) | instid1(SALU_CYCLE_1)
	s_or_b32 exec_lo, exec_lo, s16
	s_mov_b32 s16, exec_lo
	v_cmpx_lt_u32_e32 0xffffff, v0
	s_cbranch_execz .LBB353_114
; %bb.107:                              ;   in Loop: Header=BB353_15 Depth=1
	v_lshrrev_b32_e32 v4, 24, v0
	v_bfrev_b32_e32 v103, 1
	s_mov_b32 s17, exec_lo
	s_delay_alu instid0(VALU_DEP_2)
	v_cmpx_ne_u32_e32 0x80, v4
	s_cbranch_execz .LBB353_113
; %bb.108:                              ;   in Loop: Header=BB353_15 Depth=1
	v_bfe_u32 v2, v0, 24, 7
	v_mov_b32_e32 v103, 0x7f800001
	s_mov_b32 s18, exec_lo
	s_delay_alu instid0(VALU_DEP_2)
	v_cmpx_ne_u32_e32 0x7f, v2
	s_cbranch_execz .LBB353_112
; %bb.109:                              ;   in Loop: Header=BB353_15 Depth=1
	v_dual_lshrrev_b32 v5, 3, v2 :: v_dual_bitop2_b32 v52, 7, v4 bitop3:0x40
	v_cmp_gt_u32_e64 s1, 8, v2
	s_delay_alu instid0(VALU_DEP_2)
	v_mov_b64_e32 v[2:3], v[52:53]
	s_and_saveexec_b32 s19, s1
; %bb.110:                              ;   in Loop: Header=BB353_15 Depth=1
	v_clz_i32_u32_e32 v2, v52
	s_delay_alu instid0(VALU_DEP_1) | instskip(NEXT) | instid1(VALU_DEP_1)
	v_min_u32_e32 v5, 32, v2
	v_subrev_nc_u32_e32 v2, 28, v5
	s_delay_alu instid0(VALU_DEP_1) | instskip(NEXT) | instid1(VALU_DEP_1)
	v_lshlrev_b64_e32 v[2:3], v2, v[52:53]
	v_dual_sub_nc_u32 v5, 29, v5 :: v_dual_bitop2_b32 v2, 7, v2 bitop3:0x40
; %bb.111:                              ;   in Loop: Header=BB353_15 Depth=1
	s_or_b32 exec_lo, exec_lo, s19
	s_delay_alu instid0(VALU_DEP_1) | instskip(NEXT) | instid1(VALU_DEP_2)
	v_dual_lshlrev_b32 v3, 24, v4 :: v_dual_lshlrev_b32 v2, 20, v2
	v_lshl_add_u32 v4, v5, 23, 0x3c000000
	s_delay_alu instid0(VALU_DEP_2) | instskip(NEXT) | instid1(VALU_DEP_1)
	v_and_b32_e32 v3, 0x80000000, v3
	v_or3_b32 v103, v2, v3, v4
.LBB353_112:                            ;   in Loop: Header=BB353_15 Depth=1
	s_or_b32 exec_lo, exec_lo, s18
.LBB353_113:                            ;   in Loop: Header=BB353_15 Depth=1
	s_delay_alu instid0(SALU_CYCLE_1)
	s_or_b32 exec_lo, exec_lo, s17
.LBB353_114:                            ;   in Loop: Header=BB353_15 Depth=1
	s_delay_alu instid0(SALU_CYCLE_1) | instskip(SKIP_4) | instid1(VALU_DEP_3)
	s_or_b32 exec_lo, exec_lo, s16
	v_and_b32_e32 v2, 0xff, v1
	v_dual_mov_b32 v52, v1 :: v_dual_mov_b32 v115, 0
	v_mov_b32_e32 v114, 0
	s_mov_b32 s16, exec_lo
	v_cmpx_ne_u16_e32 0, v2
	s_cbranch_execz .LBB353_122
; %bb.115:                              ;   in Loop: Header=BB353_15 Depth=1
	v_bfrev_b32_e32 v114, 1
	s_mov_b32 s17, exec_lo
	v_cmpx_ne_u16_e32 0x80, v2
	s_cbranch_execz .LBB353_121
; %bb.116:                              ;   in Loop: Header=BB353_15 Depth=1
	v_and_b32_e32 v2, 0x7f, v1
	v_mov_b32_e32 v114, 0x7f800001
	s_mov_b32 s18, exec_lo
	s_delay_alu instid0(VALU_DEP_2)
	v_cmpx_ne_u32_e32 0x7f, v2
	s_cbranch_execz .LBB353_120
; %bb.117:                              ;   in Loop: Header=BB353_15 Depth=1
	v_lshrrev_b32_e32 v4, 3, v2
	v_cmp_gt_u32_e64 s1, 8, v2
	v_mov_b64_e32 v[2:3], v[52:53]
	s_and_saveexec_b32 s19, s1
; %bb.118:                              ;   in Loop: Header=BB353_15 Depth=1
	v_and_b32_e32 v2, 7, v1
	s_delay_alu instid0(VALU_DEP_1) | instskip(NEXT) | instid1(VALU_DEP_1)
	v_clz_i32_u32_e32 v2, v2
	v_min_u32_e32 v4, 32, v2
	s_delay_alu instid0(VALU_DEP_1) | instskip(SKIP_1) | instid1(VALU_DEP_2)
	v_subrev_nc_u32_e32 v2, 28, v4
	v_sub_nc_u32_e32 v4, 29, v4
	v_lshlrev_b64_e32 v[2:3], v2, v[52:53]
; %bb.119:                              ;   in Loop: Header=BB353_15 Depth=1
	s_or_b32 exec_lo, exec_lo, s19
	s_delay_alu instid0(VALU_DEP_1) | instskip(NEXT) | instid1(VALU_DEP_3)
	v_dual_lshlrev_b32 v2, 20, v2 :: v_dual_lshlrev_b32 v3, 24, v52
	v_lshl_add_u32 v4, v4, 23, 0x3c000000
	s_delay_alu instid0(VALU_DEP_2) | instskip(NEXT) | instid1(VALU_DEP_3)
	v_and_b32_e32 v2, 0x700000, v2
	v_and_b32_e32 v3, 0x80000000, v3
	s_delay_alu instid0(VALU_DEP_1)
	v_or3_b32 v114, v2, v3, v4
.LBB353_120:                            ;   in Loop: Header=BB353_15 Depth=1
	s_or_b32 exec_lo, exec_lo, s18
.LBB353_121:                            ;   in Loop: Header=BB353_15 Depth=1
	s_delay_alu instid0(SALU_CYCLE_1)
	s_or_b32 exec_lo, exec_lo, s17
.LBB353_122:                            ;   in Loop: Header=BB353_15 Depth=1
	s_delay_alu instid0(SALU_CYCLE_1) | instskip(SKIP_2) | instid1(VALU_DEP_1)
	s_or_b32 exec_lo, exec_lo, s16
	v_lshrrev_b16 v2, 8, v52
	s_mov_b32 s16, exec_lo
	v_cmpx_ne_u16_e32 0, v2
	s_cbranch_execz .LBB353_130
; %bb.123:                              ;   in Loop: Header=BB353_15 Depth=1
	v_bfrev_b32_e32 v115, 1
	s_mov_b32 s17, exec_lo
	v_cmpx_ne_u16_e32 0x80, v2
	s_cbranch_execz .LBB353_129
; %bb.124:                              ;   in Loop: Header=BB353_15 Depth=1
	v_and_b32_e32 v2, 0xffff, v2
	v_mov_b32_e32 v115, 0x7f800001
	s_mov_b32 s18, exec_lo
	s_delay_alu instid0(VALU_DEP_2) | instskip(NEXT) | instid1(VALU_DEP_1)
	v_and_b32_e32 v5, 0x7f, v2
	v_cmpx_ne_u32_e32 0x7f, v5
	s_cbranch_execz .LBB353_128
; %bb.125:                              ;   in Loop: Header=BB353_15 Depth=1
	v_dual_mov_b32 v3, v53 :: v_dual_bitop2_b32 v2, 7, v2 bitop3:0x40
	v_lshrrev_b32_e32 v4, 3, v5
	s_mov_b32 s19, exec_lo
	v_cmpx_gt_u32_e32 8, v5
; %bb.126:                              ;   in Loop: Header=BB353_15 Depth=1
	s_delay_alu instid0(VALU_DEP_3) | instskip(NEXT) | instid1(VALU_DEP_1)
	v_clz_i32_u32_e32 v4, v2
	v_min_u32_e32 v4, 32, v4
	s_delay_alu instid0(VALU_DEP_1) | instskip(NEXT) | instid1(VALU_DEP_1)
	v_subrev_nc_u32_e32 v5, 28, v4
	v_lshlrev_b64_e32 v[2:3], v5, v[2:3]
	s_delay_alu instid0(VALU_DEP_1)
	v_dual_sub_nc_u32 v4, 29, v4 :: v_dual_bitop2_b32 v2, 7, v2 bitop3:0x40
; %bb.127:                              ;   in Loop: Header=BB353_15 Depth=1
	s_or_b32 exec_lo, exec_lo, s19
	s_delay_alu instid0(VALU_DEP_1) | instskip(NEXT) | instid1(VALU_DEP_2)
	v_dual_lshlrev_b32 v3, 16, v52 :: v_dual_lshlrev_b32 v2, 20, v2
	v_lshl_add_u32 v4, v4, 23, 0x3c000000
	s_delay_alu instid0(VALU_DEP_2) | instskip(NEXT) | instid1(VALU_DEP_1)
	v_and_b32_e32 v3, 0x80000000, v3
	v_or3_b32 v115, v2, v3, v4
.LBB353_128:                            ;   in Loop: Header=BB353_15 Depth=1
	s_or_b32 exec_lo, exec_lo, s18
.LBB353_129:                            ;   in Loop: Header=BB353_15 Depth=1
	s_delay_alu instid0(SALU_CYCLE_1)
	s_or_b32 exec_lo, exec_lo, s17
.LBB353_130:                            ;   in Loop: Header=BB353_15 Depth=1
	s_delay_alu instid0(SALU_CYCLE_1) | instskip(SKIP_3) | instid1(VALU_DEP_2)
	s_or_b32 exec_lo, exec_lo, s16
	v_dual_mov_b32 v99, 0 :: v_dual_lshrrev_b32 v4, 16, v1
	v_mov_b32_e32 v98, 0
	s_mov_b32 s16, exec_lo
	v_and_b32_e32 v2, 0xff, v4
	s_delay_alu instid0(VALU_DEP_1)
	v_cmpx_ne_u16_e32 0, v2
	s_cbranch_execz .LBB353_138
; %bb.131:                              ;   in Loop: Header=BB353_15 Depth=1
	v_bfrev_b32_e32 v98, 1
	s_mov_b32 s17, exec_lo
	v_cmpx_ne_u16_e32 0x80, v2
	s_cbranch_execz .LBB353_137
; %bb.132:                              ;   in Loop: Header=BB353_15 Depth=1
	v_bfe_u32 v2, v1, 16, 7
	v_mov_b32_e32 v98, 0x7f800001
	s_mov_b32 s18, exec_lo
	s_delay_alu instid0(VALU_DEP_2)
	v_cmpx_ne_u32_e32 0x7f, v2
	s_cbranch_execz .LBB353_136
; %bb.133:                              ;   in Loop: Header=BB353_15 Depth=1
	v_dual_lshrrev_b32 v5, 3, v2 :: v_dual_bitop2_b32 v52, 7, v4 bitop3:0x40
	v_cmp_gt_u32_e64 s1, 8, v2
	s_delay_alu instid0(VALU_DEP_2)
	v_mov_b64_e32 v[2:3], v[52:53]
	s_and_saveexec_b32 s19, s1
; %bb.134:                              ;   in Loop: Header=BB353_15 Depth=1
	v_clz_i32_u32_e32 v2, v52
	s_delay_alu instid0(VALU_DEP_1) | instskip(NEXT) | instid1(VALU_DEP_1)
	v_min_u32_e32 v5, 32, v2
	v_subrev_nc_u32_e32 v2, 28, v5
	s_delay_alu instid0(VALU_DEP_1) | instskip(NEXT) | instid1(VALU_DEP_1)
	v_lshlrev_b64_e32 v[2:3], v2, v[52:53]
	v_dual_sub_nc_u32 v5, 29, v5 :: v_dual_bitop2_b32 v2, 7, v2 bitop3:0x40
; %bb.135:                              ;   in Loop: Header=BB353_15 Depth=1
	s_or_b32 exec_lo, exec_lo, s19
	s_delay_alu instid0(VALU_DEP_1) | instskip(NEXT) | instid1(VALU_DEP_2)
	v_dual_lshlrev_b32 v3, 24, v4 :: v_dual_lshlrev_b32 v2, 20, v2
	v_lshl_add_u32 v4, v5, 23, 0x3c000000
	s_delay_alu instid0(VALU_DEP_2) | instskip(NEXT) | instid1(VALU_DEP_1)
	v_and_b32_e32 v3, 0x80000000, v3
	v_or3_b32 v98, v2, v3, v4
.LBB353_136:                            ;   in Loop: Header=BB353_15 Depth=1
	s_or_b32 exec_lo, exec_lo, s18
.LBB353_137:                            ;   in Loop: Header=BB353_15 Depth=1
	s_delay_alu instid0(SALU_CYCLE_1)
	s_or_b32 exec_lo, exec_lo, s17
.LBB353_138:                            ;   in Loop: Header=BB353_15 Depth=1
	s_delay_alu instid0(SALU_CYCLE_1) | instskip(NEXT) | instid1(SALU_CYCLE_1)
	s_or_b32 exec_lo, exec_lo, s16
	s_mov_b32 s16, exec_lo
	v_cmpx_lt_u64_e64 s[8:9], v[0:1]
	s_cbranch_execz .LBB353_146
; %bb.139:                              ;   in Loop: Header=BB353_15 Depth=1
	v_lshrrev_b32_e32 v2, 24, v1
	v_bfrev_b32_e32 v99, 1
	s_mov_b32 s17, exec_lo
	s_delay_alu instid0(VALU_DEP_2)
	v_cmpx_ne_u32_e32 0x80, v2
	s_cbranch_execz .LBB353_145
; %bb.140:                              ;   in Loop: Header=BB353_15 Depth=1
	v_bfe_u32 v0, v1, 24, 7
	v_mov_b32_e32 v99, 0x7f800001
	s_mov_b32 s18, exec_lo
	s_delay_alu instid0(VALU_DEP_2)
	v_cmpx_ne_u32_e32 0x7f, v0
	s_cbranch_execz .LBB353_144
; %bb.141:                              ;   in Loop: Header=BB353_15 Depth=1
	v_dual_lshrrev_b32 v3, 3, v0 :: v_dual_bitop2_b32 v52, 7, v2 bitop3:0x40
	v_cmp_gt_u32_e64 s1, 8, v0
	s_delay_alu instid0(VALU_DEP_2)
	v_mov_b64_e32 v[0:1], v[52:53]
	s_and_saveexec_b32 s19, s1
; %bb.142:                              ;   in Loop: Header=BB353_15 Depth=1
	v_clz_i32_u32_e32 v0, v52
	s_delay_alu instid0(VALU_DEP_1) | instskip(NEXT) | instid1(VALU_DEP_1)
	v_min_u32_e32 v3, 32, v0
	v_subrev_nc_u32_e32 v0, 28, v3
	s_delay_alu instid0(VALU_DEP_1) | instskip(NEXT) | instid1(VALU_DEP_1)
	v_lshlrev_b64_e32 v[0:1], v0, v[52:53]
	v_dual_sub_nc_u32 v3, 29, v3 :: v_dual_bitop2_b32 v0, 7, v0 bitop3:0x40
; %bb.143:                              ;   in Loop: Header=BB353_15 Depth=1
	s_or_b32 exec_lo, exec_lo, s19
	s_delay_alu instid0(VALU_DEP_1) | instskip(NEXT) | instid1(VALU_DEP_2)
	v_dual_lshlrev_b32 v1, 24, v2 :: v_dual_lshlrev_b32 v0, 20, v0
	v_lshl_add_u32 v2, v3, 23, 0x3c000000
	s_delay_alu instid0(VALU_DEP_2) | instskip(NEXT) | instid1(VALU_DEP_1)
	v_and_b32_e32 v1, 0x80000000, v1
	v_or3_b32 v99, v0, v1, v2
.LBB353_144:                            ;   in Loop: Header=BB353_15 Depth=1
	s_or_b32 exec_lo, exec_lo, s18
.LBB353_145:                            ;   in Loop: Header=BB353_15 Depth=1
	s_delay_alu instid0(SALU_CYCLE_1)
	s_or_b32 exec_lo, exec_lo, s17
.LBB353_146:                            ;   in Loop: Header=BB353_15 Depth=1
	s_delay_alu instid0(SALU_CYCLE_1)
	s_or_b32 exec_lo, exec_lo, s16
	flat_load_b64 v[0:1], v[112:113] offset:512
	v_dual_mov_b32 v119, 0 :: v_dual_mov_b32 v118, 0
	s_mov_b32 s16, exec_lo
	s_wait_loadcnt_dscnt 0x0
	v_and_b32_e32 v2, 0xff, v0
	s_wait_xcnt 0x0
	s_delay_alu instid0(VALU_DEP_1)
	v_cmpx_ne_u16_e32 0, v2
	s_cbranch_execz .LBB353_154
; %bb.147:                              ;   in Loop: Header=BB353_15 Depth=1
	v_bfrev_b32_e32 v118, 1
	s_mov_b32 s17, exec_lo
	v_cmpx_ne_u16_e32 0x80, v2
	s_cbranch_execz .LBB353_153
; %bb.148:                              ;   in Loop: Header=BB353_15 Depth=1
	v_and_b32_e32 v2, 0x7f, v0
	v_mov_b32_e32 v118, 0x7f800001
	s_mov_b32 s18, exec_lo
	s_delay_alu instid0(VALU_DEP_2)
	v_cmpx_ne_u32_e32 0x7f, v2
	s_cbranch_execz .LBB353_152
; %bb.149:                              ;   in Loop: Header=BB353_15 Depth=1
	v_lshrrev_b32_e32 v4, 3, v2
	v_cmp_gt_u32_e64 s1, 8, v2
	v_mov_b64_e32 v[2:3], v[0:1]
	s_and_saveexec_b32 s19, s1
; %bb.150:                              ;   in Loop: Header=BB353_15 Depth=1
	v_and_b32_e32 v2, 7, v0
	s_delay_alu instid0(VALU_DEP_1) | instskip(NEXT) | instid1(VALU_DEP_1)
	v_clz_i32_u32_e32 v2, v2
	v_min_u32_e32 v4, 32, v2
	s_delay_alu instid0(VALU_DEP_1) | instskip(SKIP_1) | instid1(VALU_DEP_2)
	v_subrev_nc_u32_e32 v2, 28, v4
	v_sub_nc_u32_e32 v4, 29, v4
	v_lshlrev_b64_e32 v[2:3], v2, v[0:1]
; %bb.151:                              ;   in Loop: Header=BB353_15 Depth=1
	s_or_b32 exec_lo, exec_lo, s19
	s_delay_alu instid0(VALU_DEP_1) | instskip(NEXT) | instid1(VALU_DEP_3)
	v_dual_lshlrev_b32 v2, 20, v2 :: v_dual_lshlrev_b32 v3, 24, v0
	v_lshl_add_u32 v4, v4, 23, 0x3c000000
	s_delay_alu instid0(VALU_DEP_2) | instskip(NEXT) | instid1(VALU_DEP_3)
	v_and_b32_e32 v2, 0x700000, v2
	v_and_b32_e32 v3, 0x80000000, v3
	s_delay_alu instid0(VALU_DEP_1)
	v_or3_b32 v118, v2, v3, v4
.LBB353_152:                            ;   in Loop: Header=BB353_15 Depth=1
	s_or_b32 exec_lo, exec_lo, s18
.LBB353_153:                            ;   in Loop: Header=BB353_15 Depth=1
	s_delay_alu instid0(SALU_CYCLE_1)
	s_or_b32 exec_lo, exec_lo, s17
.LBB353_154:                            ;   in Loop: Header=BB353_15 Depth=1
	s_delay_alu instid0(SALU_CYCLE_1) | instskip(SKIP_2) | instid1(VALU_DEP_1)
	s_or_b32 exec_lo, exec_lo, s16
	v_lshrrev_b16 v2, 8, v0
	s_mov_b32 s16, exec_lo
	v_cmpx_ne_u16_e32 0, v2
	s_cbranch_execz .LBB353_162
; %bb.155:                              ;   in Loop: Header=BB353_15 Depth=1
	v_bfrev_b32_e32 v119, 1
	s_mov_b32 s17, exec_lo
	v_cmpx_ne_u16_e32 0x80, v2
	s_cbranch_execz .LBB353_161
; %bb.156:                              ;   in Loop: Header=BB353_15 Depth=1
	v_and_b32_e32 v3, 0xffff, v2
	v_mov_b32_e32 v119, 0x7f800001
	s_mov_b32 s18, exec_lo
	s_delay_alu instid0(VALU_DEP_2) | instskip(NEXT) | instid1(VALU_DEP_1)
	v_and_b32_e32 v2, 0x7f, v3
	v_cmpx_ne_u32_e32 0x7f, v2
	s_cbranch_execz .LBB353_160
; %bb.157:                              ;   in Loop: Header=BB353_15 Depth=1
	v_dual_lshrrev_b32 v4, 3, v2 :: v_dual_bitop2_b32 v52, 7, v3 bitop3:0x40
	v_cmp_gt_u32_e64 s1, 8, v2
	s_delay_alu instid0(VALU_DEP_2)
	v_mov_b64_e32 v[2:3], v[52:53]
	s_and_saveexec_b32 s19, s1
; %bb.158:                              ;   in Loop: Header=BB353_15 Depth=1
	v_clz_i32_u32_e32 v2, v52
	s_delay_alu instid0(VALU_DEP_1) | instskip(NEXT) | instid1(VALU_DEP_1)
	v_min_u32_e32 v4, 32, v2
	v_subrev_nc_u32_e32 v2, 28, v4
	s_delay_alu instid0(VALU_DEP_1) | instskip(NEXT) | instid1(VALU_DEP_1)
	v_lshlrev_b64_e32 v[2:3], v2, v[52:53]
	v_dual_sub_nc_u32 v4, 29, v4 :: v_dual_bitop2_b32 v2, 7, v2 bitop3:0x40
; %bb.159:                              ;   in Loop: Header=BB353_15 Depth=1
	s_or_b32 exec_lo, exec_lo, s19
	s_delay_alu instid0(VALU_DEP_1) | instskip(NEXT) | instid1(VALU_DEP_2)
	v_dual_lshlrev_b32 v3, 16, v0 :: v_dual_lshlrev_b32 v2, 20, v2
	v_lshl_add_u32 v4, v4, 23, 0x3c000000
	s_delay_alu instid0(VALU_DEP_2) | instskip(NEXT) | instid1(VALU_DEP_1)
	v_and_b32_e32 v3, 0x80000000, v3
	v_or3_b32 v119, v2, v3, v4
.LBB353_160:                            ;   in Loop: Header=BB353_15 Depth=1
	s_or_b32 exec_lo, exec_lo, s18
.LBB353_161:                            ;   in Loop: Header=BB353_15 Depth=1
	s_delay_alu instid0(SALU_CYCLE_1)
	s_or_b32 exec_lo, exec_lo, s17
.LBB353_162:                            ;   in Loop: Header=BB353_15 Depth=1
	s_delay_alu instid0(SALU_CYCLE_1) | instskip(SKIP_3) | instid1(VALU_DEP_2)
	s_or_b32 exec_lo, exec_lo, s16
	v_dual_mov_b32 v37, 0 :: v_dual_lshrrev_b32 v4, 16, v0
	v_mov_b32_e32 v36, 0
	s_mov_b32 s16, exec_lo
	v_and_b32_e32 v2, 0xff, v4
	s_delay_alu instid0(VALU_DEP_1)
	v_cmpx_ne_u16_e32 0, v2
	s_cbranch_execz .LBB353_170
; %bb.163:                              ;   in Loop: Header=BB353_15 Depth=1
	v_bfrev_b32_e32 v36, 1
	s_mov_b32 s17, exec_lo
	v_cmpx_ne_u16_e32 0x80, v2
	s_cbranch_execz .LBB353_169
; %bb.164:                              ;   in Loop: Header=BB353_15 Depth=1
	v_bfe_u32 v2, v0, 16, 7
	v_mov_b32_e32 v36, 0x7f800001
	s_mov_b32 s18, exec_lo
	s_delay_alu instid0(VALU_DEP_2)
	v_cmpx_ne_u32_e32 0x7f, v2
	s_cbranch_execz .LBB353_168
; %bb.165:                              ;   in Loop: Header=BB353_15 Depth=1
	v_dual_lshrrev_b32 v5, 3, v2 :: v_dual_bitop2_b32 v52, 7, v4 bitop3:0x40
	v_cmp_gt_u32_e64 s1, 8, v2
	s_delay_alu instid0(VALU_DEP_2)
	v_mov_b64_e32 v[2:3], v[52:53]
	s_and_saveexec_b32 s19, s1
; %bb.166:                              ;   in Loop: Header=BB353_15 Depth=1
	v_clz_i32_u32_e32 v2, v52
	s_delay_alu instid0(VALU_DEP_1) | instskip(NEXT) | instid1(VALU_DEP_1)
	v_min_u32_e32 v5, 32, v2
	v_subrev_nc_u32_e32 v2, 28, v5
	s_delay_alu instid0(VALU_DEP_1) | instskip(NEXT) | instid1(VALU_DEP_1)
	v_lshlrev_b64_e32 v[2:3], v2, v[52:53]
	v_dual_sub_nc_u32 v5, 29, v5 :: v_dual_bitop2_b32 v2, 7, v2 bitop3:0x40
; %bb.167:                              ;   in Loop: Header=BB353_15 Depth=1
	s_or_b32 exec_lo, exec_lo, s19
	s_delay_alu instid0(VALU_DEP_1) | instskip(NEXT) | instid1(VALU_DEP_2)
	v_dual_lshlrev_b32 v3, 24, v4 :: v_dual_lshlrev_b32 v2, 20, v2
	v_lshl_add_u32 v4, v5, 23, 0x3c000000
	s_delay_alu instid0(VALU_DEP_2) | instskip(NEXT) | instid1(VALU_DEP_1)
	v_and_b32_e32 v3, 0x80000000, v3
	v_or3_b32 v36, v2, v3, v4
.LBB353_168:                            ;   in Loop: Header=BB353_15 Depth=1
	s_or_b32 exec_lo, exec_lo, s18
.LBB353_169:                            ;   in Loop: Header=BB353_15 Depth=1
	s_delay_alu instid0(SALU_CYCLE_1)
	s_or_b32 exec_lo, exec_lo, s17
.LBB353_170:                            ;   in Loop: Header=BB353_15 Depth=1
	s_delay_alu instid0(SALU_CYCLE_1) | instskip(NEXT) | instid1(SALU_CYCLE_1)
	s_or_b32 exec_lo, exec_lo, s16
	s_mov_b32 s16, exec_lo
	v_cmpx_lt_u32_e32 0xffffff, v0
	s_cbranch_execz .LBB353_178
; %bb.171:                              ;   in Loop: Header=BB353_15 Depth=1
	v_lshrrev_b32_e32 v4, 24, v0
	v_bfrev_b32_e32 v37, 1
	s_mov_b32 s17, exec_lo
	s_delay_alu instid0(VALU_DEP_2)
	v_cmpx_ne_u32_e32 0x80, v4
	s_cbranch_execz .LBB353_177
; %bb.172:                              ;   in Loop: Header=BB353_15 Depth=1
	v_bfe_u32 v2, v0, 24, 7
	v_mov_b32_e32 v37, 0x7f800001
	s_mov_b32 s18, exec_lo
	s_delay_alu instid0(VALU_DEP_2)
	v_cmpx_ne_u32_e32 0x7f, v2
	s_cbranch_execz .LBB353_176
; %bb.173:                              ;   in Loop: Header=BB353_15 Depth=1
	v_dual_lshrrev_b32 v5, 3, v2 :: v_dual_bitop2_b32 v52, 7, v4 bitop3:0x40
	v_cmp_gt_u32_e64 s1, 8, v2
	s_delay_alu instid0(VALU_DEP_2)
	v_mov_b64_e32 v[2:3], v[52:53]
	s_and_saveexec_b32 s19, s1
; %bb.174:                              ;   in Loop: Header=BB353_15 Depth=1
	v_clz_i32_u32_e32 v2, v52
	s_delay_alu instid0(VALU_DEP_1) | instskip(NEXT) | instid1(VALU_DEP_1)
	v_min_u32_e32 v5, 32, v2
	v_subrev_nc_u32_e32 v2, 28, v5
	s_delay_alu instid0(VALU_DEP_1) | instskip(NEXT) | instid1(VALU_DEP_1)
	v_lshlrev_b64_e32 v[2:3], v2, v[52:53]
	v_dual_sub_nc_u32 v5, 29, v5 :: v_dual_bitop2_b32 v2, 7, v2 bitop3:0x40
; %bb.175:                              ;   in Loop: Header=BB353_15 Depth=1
	s_or_b32 exec_lo, exec_lo, s19
	s_delay_alu instid0(VALU_DEP_1) | instskip(NEXT) | instid1(VALU_DEP_2)
	v_dual_lshlrev_b32 v3, 24, v4 :: v_dual_lshlrev_b32 v2, 20, v2
	v_lshl_add_u32 v4, v5, 23, 0x3c000000
	s_delay_alu instid0(VALU_DEP_2) | instskip(NEXT) | instid1(VALU_DEP_1)
	v_and_b32_e32 v3, 0x80000000, v3
	v_or3_b32 v37, v2, v3, v4
.LBB353_176:                            ;   in Loop: Header=BB353_15 Depth=1
	s_or_b32 exec_lo, exec_lo, s18
.LBB353_177:                            ;   in Loop: Header=BB353_15 Depth=1
	s_delay_alu instid0(SALU_CYCLE_1)
	s_or_b32 exec_lo, exec_lo, s17
.LBB353_178:                            ;   in Loop: Header=BB353_15 Depth=1
	s_delay_alu instid0(SALU_CYCLE_1) | instskip(SKIP_4) | instid1(VALU_DEP_3)
	s_or_b32 exec_lo, exec_lo, s16
	v_and_b32_e32 v2, 0xff, v1
	v_dual_mov_b32 v52, v1 :: v_dual_mov_b32 v41, 0
	v_mov_b32_e32 v40, 0
	s_mov_b32 s16, exec_lo
	v_cmpx_ne_u16_e32 0, v2
	s_cbranch_execz .LBB353_186
; %bb.179:                              ;   in Loop: Header=BB353_15 Depth=1
	v_bfrev_b32_e32 v40, 1
	s_mov_b32 s17, exec_lo
	v_cmpx_ne_u16_e32 0x80, v2
	s_cbranch_execz .LBB353_185
; %bb.180:                              ;   in Loop: Header=BB353_15 Depth=1
	v_and_b32_e32 v2, 0x7f, v1
	v_mov_b32_e32 v40, 0x7f800001
	s_mov_b32 s18, exec_lo
	s_delay_alu instid0(VALU_DEP_2)
	v_cmpx_ne_u32_e32 0x7f, v2
	s_cbranch_execz .LBB353_184
; %bb.181:                              ;   in Loop: Header=BB353_15 Depth=1
	v_lshrrev_b32_e32 v4, 3, v2
	v_cmp_gt_u32_e64 s1, 8, v2
	v_mov_b64_e32 v[2:3], v[52:53]
	s_and_saveexec_b32 s19, s1
; %bb.182:                              ;   in Loop: Header=BB353_15 Depth=1
	v_and_b32_e32 v2, 7, v1
	s_delay_alu instid0(VALU_DEP_1) | instskip(NEXT) | instid1(VALU_DEP_1)
	v_clz_i32_u32_e32 v2, v2
	v_min_u32_e32 v4, 32, v2
	s_delay_alu instid0(VALU_DEP_1) | instskip(SKIP_1) | instid1(VALU_DEP_2)
	v_subrev_nc_u32_e32 v2, 28, v4
	v_sub_nc_u32_e32 v4, 29, v4
	v_lshlrev_b64_e32 v[2:3], v2, v[52:53]
; %bb.183:                              ;   in Loop: Header=BB353_15 Depth=1
	s_or_b32 exec_lo, exec_lo, s19
	s_delay_alu instid0(VALU_DEP_1) | instskip(NEXT) | instid1(VALU_DEP_3)
	v_dual_lshlrev_b32 v2, 20, v2 :: v_dual_lshlrev_b32 v3, 24, v52
	v_lshl_add_u32 v4, v4, 23, 0x3c000000
	s_delay_alu instid0(VALU_DEP_2) | instskip(NEXT) | instid1(VALU_DEP_3)
	v_and_b32_e32 v2, 0x700000, v2
	v_and_b32_e32 v3, 0x80000000, v3
	s_delay_alu instid0(VALU_DEP_1)
	v_or3_b32 v40, v2, v3, v4
.LBB353_184:                            ;   in Loop: Header=BB353_15 Depth=1
	s_or_b32 exec_lo, exec_lo, s18
.LBB353_185:                            ;   in Loop: Header=BB353_15 Depth=1
	s_delay_alu instid0(SALU_CYCLE_1)
	s_or_b32 exec_lo, exec_lo, s17
.LBB353_186:                            ;   in Loop: Header=BB353_15 Depth=1
	s_delay_alu instid0(SALU_CYCLE_1) | instskip(SKIP_2) | instid1(VALU_DEP_1)
	s_or_b32 exec_lo, exec_lo, s16
	v_lshrrev_b16 v2, 8, v52
	s_mov_b32 s16, exec_lo
	v_cmpx_ne_u16_e32 0, v2
	s_cbranch_execz .LBB353_194
; %bb.187:                              ;   in Loop: Header=BB353_15 Depth=1
	v_bfrev_b32_e32 v41, 1
	s_mov_b32 s17, exec_lo
	v_cmpx_ne_u16_e32 0x80, v2
	s_cbranch_execz .LBB353_193
; %bb.188:                              ;   in Loop: Header=BB353_15 Depth=1
	v_and_b32_e32 v2, 0xffff, v2
	v_mov_b32_e32 v41, 0x7f800001
	s_mov_b32 s18, exec_lo
	s_delay_alu instid0(VALU_DEP_2) | instskip(NEXT) | instid1(VALU_DEP_1)
	v_and_b32_e32 v5, 0x7f, v2
	v_cmpx_ne_u32_e32 0x7f, v5
	s_cbranch_execz .LBB353_192
; %bb.189:                              ;   in Loop: Header=BB353_15 Depth=1
	v_dual_mov_b32 v3, v53 :: v_dual_bitop2_b32 v2, 7, v2 bitop3:0x40
	v_lshrrev_b32_e32 v4, 3, v5
	s_mov_b32 s19, exec_lo
	v_cmpx_gt_u32_e32 8, v5
; %bb.190:                              ;   in Loop: Header=BB353_15 Depth=1
	s_delay_alu instid0(VALU_DEP_3) | instskip(NEXT) | instid1(VALU_DEP_1)
	v_clz_i32_u32_e32 v4, v2
	v_min_u32_e32 v4, 32, v4
	s_delay_alu instid0(VALU_DEP_1) | instskip(NEXT) | instid1(VALU_DEP_1)
	v_subrev_nc_u32_e32 v5, 28, v4
	v_lshlrev_b64_e32 v[2:3], v5, v[2:3]
	s_delay_alu instid0(VALU_DEP_1)
	v_dual_sub_nc_u32 v4, 29, v4 :: v_dual_bitop2_b32 v2, 7, v2 bitop3:0x40
; %bb.191:                              ;   in Loop: Header=BB353_15 Depth=1
	s_or_b32 exec_lo, exec_lo, s19
	s_delay_alu instid0(VALU_DEP_1) | instskip(NEXT) | instid1(VALU_DEP_2)
	v_dual_lshlrev_b32 v3, 16, v52 :: v_dual_lshlrev_b32 v2, 20, v2
	v_lshl_add_u32 v4, v4, 23, 0x3c000000
	s_delay_alu instid0(VALU_DEP_2) | instskip(NEXT) | instid1(VALU_DEP_1)
	v_and_b32_e32 v3, 0x80000000, v3
	v_or3_b32 v41, v2, v3, v4
.LBB353_192:                            ;   in Loop: Header=BB353_15 Depth=1
	s_or_b32 exec_lo, exec_lo, s18
.LBB353_193:                            ;   in Loop: Header=BB353_15 Depth=1
	s_delay_alu instid0(SALU_CYCLE_1)
	s_or_b32 exec_lo, exec_lo, s17
.LBB353_194:                            ;   in Loop: Header=BB353_15 Depth=1
	s_delay_alu instid0(SALU_CYCLE_1) | instskip(SKIP_3) | instid1(VALU_DEP_2)
	s_or_b32 exec_lo, exec_lo, s16
	v_dual_mov_b32 v17, 0 :: v_dual_lshrrev_b32 v4, 16, v1
	v_mov_b32_e32 v16, 0
	s_mov_b32 s16, exec_lo
	v_and_b32_e32 v2, 0xff, v4
	s_delay_alu instid0(VALU_DEP_1)
	v_cmpx_ne_u16_e32 0, v2
	s_cbranch_execz .LBB353_202
; %bb.195:                              ;   in Loop: Header=BB353_15 Depth=1
	v_bfrev_b32_e32 v16, 1
	s_mov_b32 s17, exec_lo
	v_cmpx_ne_u16_e32 0x80, v2
	s_cbranch_execz .LBB353_201
; %bb.196:                              ;   in Loop: Header=BB353_15 Depth=1
	v_bfe_u32 v2, v1, 16, 7
	v_mov_b32_e32 v16, 0x7f800001
	s_mov_b32 s18, exec_lo
	s_delay_alu instid0(VALU_DEP_2)
	v_cmpx_ne_u32_e32 0x7f, v2
	s_cbranch_execz .LBB353_200
; %bb.197:                              ;   in Loop: Header=BB353_15 Depth=1
	v_dual_lshrrev_b32 v5, 3, v2 :: v_dual_bitop2_b32 v52, 7, v4 bitop3:0x40
	v_cmp_gt_u32_e64 s1, 8, v2
	s_delay_alu instid0(VALU_DEP_2)
	v_mov_b64_e32 v[2:3], v[52:53]
	s_and_saveexec_b32 s19, s1
; %bb.198:                              ;   in Loop: Header=BB353_15 Depth=1
	v_clz_i32_u32_e32 v2, v52
	s_delay_alu instid0(VALU_DEP_1) | instskip(NEXT) | instid1(VALU_DEP_1)
	v_min_u32_e32 v5, 32, v2
	v_subrev_nc_u32_e32 v2, 28, v5
	s_delay_alu instid0(VALU_DEP_1) | instskip(NEXT) | instid1(VALU_DEP_1)
	v_lshlrev_b64_e32 v[2:3], v2, v[52:53]
	v_dual_sub_nc_u32 v5, 29, v5 :: v_dual_bitop2_b32 v2, 7, v2 bitop3:0x40
; %bb.199:                              ;   in Loop: Header=BB353_15 Depth=1
	s_or_b32 exec_lo, exec_lo, s19
	s_delay_alu instid0(VALU_DEP_1) | instskip(NEXT) | instid1(VALU_DEP_2)
	v_dual_lshlrev_b32 v3, 24, v4 :: v_dual_lshlrev_b32 v2, 20, v2
	v_lshl_add_u32 v4, v5, 23, 0x3c000000
	s_delay_alu instid0(VALU_DEP_2) | instskip(NEXT) | instid1(VALU_DEP_1)
	v_and_b32_e32 v3, 0x80000000, v3
	v_or3_b32 v16, v2, v3, v4
.LBB353_200:                            ;   in Loop: Header=BB353_15 Depth=1
	s_or_b32 exec_lo, exec_lo, s18
.LBB353_201:                            ;   in Loop: Header=BB353_15 Depth=1
	s_delay_alu instid0(SALU_CYCLE_1)
	s_or_b32 exec_lo, exec_lo, s17
.LBB353_202:                            ;   in Loop: Header=BB353_15 Depth=1
	s_delay_alu instid0(SALU_CYCLE_1) | instskip(NEXT) | instid1(SALU_CYCLE_1)
	s_or_b32 exec_lo, exec_lo, s16
	s_mov_b32 s16, exec_lo
	v_cmpx_lt_u64_e64 s[8:9], v[0:1]
	s_cbranch_execz .LBB353_210
; %bb.203:                              ;   in Loop: Header=BB353_15 Depth=1
	v_lshrrev_b32_e32 v2, 24, v1
	v_bfrev_b32_e32 v17, 1
	s_mov_b32 s17, exec_lo
	s_delay_alu instid0(VALU_DEP_2)
	v_cmpx_ne_u32_e32 0x80, v2
	s_cbranch_execz .LBB353_209
; %bb.204:                              ;   in Loop: Header=BB353_15 Depth=1
	v_bfe_u32 v0, v1, 24, 7
	v_mov_b32_e32 v17, 0x7f800001
	s_mov_b32 s18, exec_lo
	s_delay_alu instid0(VALU_DEP_2)
	v_cmpx_ne_u32_e32 0x7f, v0
	s_cbranch_execz .LBB353_208
; %bb.205:                              ;   in Loop: Header=BB353_15 Depth=1
	v_dual_lshrrev_b32 v3, 3, v0 :: v_dual_bitop2_b32 v52, 7, v2 bitop3:0x40
	v_cmp_gt_u32_e64 s1, 8, v0
	s_delay_alu instid0(VALU_DEP_2)
	v_mov_b64_e32 v[0:1], v[52:53]
	s_and_saveexec_b32 s19, s1
; %bb.206:                              ;   in Loop: Header=BB353_15 Depth=1
	v_clz_i32_u32_e32 v0, v52
	s_delay_alu instid0(VALU_DEP_1) | instskip(NEXT) | instid1(VALU_DEP_1)
	v_min_u32_e32 v3, 32, v0
	v_subrev_nc_u32_e32 v0, 28, v3
	s_delay_alu instid0(VALU_DEP_1) | instskip(NEXT) | instid1(VALU_DEP_1)
	v_lshlrev_b64_e32 v[0:1], v0, v[52:53]
	v_dual_sub_nc_u32 v3, 29, v3 :: v_dual_bitop2_b32 v0, 7, v0 bitop3:0x40
; %bb.207:                              ;   in Loop: Header=BB353_15 Depth=1
	s_or_b32 exec_lo, exec_lo, s19
	s_delay_alu instid0(VALU_DEP_1) | instskip(NEXT) | instid1(VALU_DEP_2)
	v_dual_lshlrev_b32 v1, 24, v2 :: v_dual_lshlrev_b32 v0, 20, v0
	v_lshl_add_u32 v2, v3, 23, 0x3c000000
	s_delay_alu instid0(VALU_DEP_2) | instskip(NEXT) | instid1(VALU_DEP_1)
	v_and_b32_e32 v1, 0x80000000, v1
	v_or3_b32 v17, v0, v1, v2
.LBB353_208:                            ;   in Loop: Header=BB353_15 Depth=1
	s_or_b32 exec_lo, exec_lo, s18
.LBB353_209:                            ;   in Loop: Header=BB353_15 Depth=1
	s_delay_alu instid0(SALU_CYCLE_1)
	s_or_b32 exec_lo, exec_lo, s17
.LBB353_210:                            ;   in Loop: Header=BB353_15 Depth=1
	s_delay_alu instid0(SALU_CYCLE_1)
	s_or_b32 exec_lo, exec_lo, s16
	flat_load_b64 v[0:1], v[112:113] offset:520
	v_dual_mov_b32 v43, 0 :: v_dual_mov_b32 v42, 0
	s_mov_b32 s16, exec_lo
	s_wait_loadcnt_dscnt 0x0
	v_and_b32_e32 v2, 0xff, v0
	s_wait_xcnt 0x0
	s_delay_alu instid0(VALU_DEP_1)
	v_cmpx_ne_u16_e32 0, v2
	s_cbranch_execz .LBB353_218
; %bb.211:                              ;   in Loop: Header=BB353_15 Depth=1
	v_bfrev_b32_e32 v42, 1
	s_mov_b32 s17, exec_lo
	v_cmpx_ne_u16_e32 0x80, v2
	s_cbranch_execz .LBB353_217
; %bb.212:                              ;   in Loop: Header=BB353_15 Depth=1
	v_and_b32_e32 v2, 0x7f, v0
	v_mov_b32_e32 v42, 0x7f800001
	s_mov_b32 s18, exec_lo
	s_delay_alu instid0(VALU_DEP_2)
	v_cmpx_ne_u32_e32 0x7f, v2
	s_cbranch_execz .LBB353_216
; %bb.213:                              ;   in Loop: Header=BB353_15 Depth=1
	v_lshrrev_b32_e32 v4, 3, v2
	v_cmp_gt_u32_e64 s1, 8, v2
	v_mov_b64_e32 v[2:3], v[0:1]
	s_and_saveexec_b32 s19, s1
; %bb.214:                              ;   in Loop: Header=BB353_15 Depth=1
	v_and_b32_e32 v2, 7, v0
	s_delay_alu instid0(VALU_DEP_1) | instskip(NEXT) | instid1(VALU_DEP_1)
	v_clz_i32_u32_e32 v2, v2
	v_min_u32_e32 v4, 32, v2
	s_delay_alu instid0(VALU_DEP_1) | instskip(SKIP_1) | instid1(VALU_DEP_2)
	v_subrev_nc_u32_e32 v2, 28, v4
	v_sub_nc_u32_e32 v4, 29, v4
	v_lshlrev_b64_e32 v[2:3], v2, v[0:1]
; %bb.215:                              ;   in Loop: Header=BB353_15 Depth=1
	s_or_b32 exec_lo, exec_lo, s19
	s_delay_alu instid0(VALU_DEP_1) | instskip(NEXT) | instid1(VALU_DEP_3)
	v_dual_lshlrev_b32 v2, 20, v2 :: v_dual_lshlrev_b32 v3, 24, v0
	v_lshl_add_u32 v4, v4, 23, 0x3c000000
	s_delay_alu instid0(VALU_DEP_2) | instskip(NEXT) | instid1(VALU_DEP_3)
	v_and_b32_e32 v2, 0x700000, v2
	v_and_b32_e32 v3, 0x80000000, v3
	s_delay_alu instid0(VALU_DEP_1)
	v_or3_b32 v42, v2, v3, v4
.LBB353_216:                            ;   in Loop: Header=BB353_15 Depth=1
	s_or_b32 exec_lo, exec_lo, s18
.LBB353_217:                            ;   in Loop: Header=BB353_15 Depth=1
	s_delay_alu instid0(SALU_CYCLE_1)
	s_or_b32 exec_lo, exec_lo, s17
.LBB353_218:                            ;   in Loop: Header=BB353_15 Depth=1
	s_delay_alu instid0(SALU_CYCLE_1) | instskip(SKIP_2) | instid1(VALU_DEP_1)
	s_or_b32 exec_lo, exec_lo, s16
	v_lshrrev_b16 v2, 8, v0
	s_mov_b32 s16, exec_lo
	v_cmpx_ne_u16_e32 0, v2
	s_cbranch_execz .LBB353_226
; %bb.219:                              ;   in Loop: Header=BB353_15 Depth=1
	v_bfrev_b32_e32 v43, 1
	s_mov_b32 s17, exec_lo
	v_cmpx_ne_u16_e32 0x80, v2
	s_cbranch_execz .LBB353_225
; %bb.220:                              ;   in Loop: Header=BB353_15 Depth=1
	v_and_b32_e32 v3, 0xffff, v2
	v_mov_b32_e32 v43, 0x7f800001
	s_mov_b32 s18, exec_lo
	s_delay_alu instid0(VALU_DEP_2) | instskip(NEXT) | instid1(VALU_DEP_1)
	v_and_b32_e32 v2, 0x7f, v3
	v_cmpx_ne_u32_e32 0x7f, v2
	s_cbranch_execz .LBB353_224
; %bb.221:                              ;   in Loop: Header=BB353_15 Depth=1
	v_dual_lshrrev_b32 v4, 3, v2 :: v_dual_bitop2_b32 v52, 7, v3 bitop3:0x40
	v_cmp_gt_u32_e64 s1, 8, v2
	s_delay_alu instid0(VALU_DEP_2)
	v_mov_b64_e32 v[2:3], v[52:53]
	s_and_saveexec_b32 s19, s1
; %bb.222:                              ;   in Loop: Header=BB353_15 Depth=1
	v_clz_i32_u32_e32 v2, v52
	s_delay_alu instid0(VALU_DEP_1) | instskip(NEXT) | instid1(VALU_DEP_1)
	v_min_u32_e32 v4, 32, v2
	v_subrev_nc_u32_e32 v2, 28, v4
	s_delay_alu instid0(VALU_DEP_1) | instskip(NEXT) | instid1(VALU_DEP_1)
	v_lshlrev_b64_e32 v[2:3], v2, v[52:53]
	v_dual_sub_nc_u32 v4, 29, v4 :: v_dual_bitop2_b32 v2, 7, v2 bitop3:0x40
; %bb.223:                              ;   in Loop: Header=BB353_15 Depth=1
	s_or_b32 exec_lo, exec_lo, s19
	s_delay_alu instid0(VALU_DEP_1) | instskip(NEXT) | instid1(VALU_DEP_2)
	v_dual_lshlrev_b32 v3, 16, v0 :: v_dual_lshlrev_b32 v2, 20, v2
	v_lshl_add_u32 v4, v4, 23, 0x3c000000
	s_delay_alu instid0(VALU_DEP_2) | instskip(NEXT) | instid1(VALU_DEP_1)
	v_and_b32_e32 v3, 0x80000000, v3
	v_or3_b32 v43, v2, v3, v4
.LBB353_224:                            ;   in Loop: Header=BB353_15 Depth=1
	s_or_b32 exec_lo, exec_lo, s18
.LBB353_225:                            ;   in Loop: Header=BB353_15 Depth=1
	s_delay_alu instid0(SALU_CYCLE_1)
	s_or_b32 exec_lo, exec_lo, s17
.LBB353_226:                            ;   in Loop: Header=BB353_15 Depth=1
	s_delay_alu instid0(SALU_CYCLE_1) | instskip(SKIP_3) | instid1(VALU_DEP_2)
	s_or_b32 exec_lo, exec_lo, s16
	v_dual_mov_b32 v13, 0 :: v_dual_lshrrev_b32 v4, 16, v0
	v_mov_b32_e32 v12, 0
	s_mov_b32 s16, exec_lo
	v_and_b32_e32 v2, 0xff, v4
	s_delay_alu instid0(VALU_DEP_1)
	v_cmpx_ne_u16_e32 0, v2
	s_cbranch_execz .LBB353_234
; %bb.227:                              ;   in Loop: Header=BB353_15 Depth=1
	v_bfrev_b32_e32 v12, 1
	s_mov_b32 s17, exec_lo
	v_cmpx_ne_u16_e32 0x80, v2
	s_cbranch_execz .LBB353_233
; %bb.228:                              ;   in Loop: Header=BB353_15 Depth=1
	v_bfe_u32 v2, v0, 16, 7
	v_mov_b32_e32 v12, 0x7f800001
	s_mov_b32 s18, exec_lo
	s_delay_alu instid0(VALU_DEP_2)
	v_cmpx_ne_u32_e32 0x7f, v2
	s_cbranch_execz .LBB353_232
; %bb.229:                              ;   in Loop: Header=BB353_15 Depth=1
	v_dual_lshrrev_b32 v5, 3, v2 :: v_dual_bitop2_b32 v52, 7, v4 bitop3:0x40
	v_cmp_gt_u32_e64 s1, 8, v2
	s_delay_alu instid0(VALU_DEP_2)
	v_mov_b64_e32 v[2:3], v[52:53]
	s_and_saveexec_b32 s19, s1
; %bb.230:                              ;   in Loop: Header=BB353_15 Depth=1
	v_clz_i32_u32_e32 v2, v52
	s_delay_alu instid0(VALU_DEP_1) | instskip(NEXT) | instid1(VALU_DEP_1)
	v_min_u32_e32 v5, 32, v2
	v_subrev_nc_u32_e32 v2, 28, v5
	s_delay_alu instid0(VALU_DEP_1) | instskip(NEXT) | instid1(VALU_DEP_1)
	v_lshlrev_b64_e32 v[2:3], v2, v[52:53]
	v_dual_sub_nc_u32 v5, 29, v5 :: v_dual_bitop2_b32 v2, 7, v2 bitop3:0x40
; %bb.231:                              ;   in Loop: Header=BB353_15 Depth=1
	s_or_b32 exec_lo, exec_lo, s19
	s_delay_alu instid0(VALU_DEP_1) | instskip(NEXT) | instid1(VALU_DEP_2)
	v_dual_lshlrev_b32 v3, 24, v4 :: v_dual_lshlrev_b32 v2, 20, v2
	v_lshl_add_u32 v4, v5, 23, 0x3c000000
	s_delay_alu instid0(VALU_DEP_2) | instskip(NEXT) | instid1(VALU_DEP_1)
	v_and_b32_e32 v3, 0x80000000, v3
	v_or3_b32 v12, v2, v3, v4
.LBB353_232:                            ;   in Loop: Header=BB353_15 Depth=1
	s_or_b32 exec_lo, exec_lo, s18
.LBB353_233:                            ;   in Loop: Header=BB353_15 Depth=1
	s_delay_alu instid0(SALU_CYCLE_1)
	s_or_b32 exec_lo, exec_lo, s17
.LBB353_234:                            ;   in Loop: Header=BB353_15 Depth=1
	s_delay_alu instid0(SALU_CYCLE_1) | instskip(NEXT) | instid1(SALU_CYCLE_1)
	s_or_b32 exec_lo, exec_lo, s16
	s_mov_b32 s16, exec_lo
	v_cmpx_lt_u32_e32 0xffffff, v0
	s_cbranch_execz .LBB353_242
; %bb.235:                              ;   in Loop: Header=BB353_15 Depth=1
	v_lshrrev_b32_e32 v4, 24, v0
	v_bfrev_b32_e32 v13, 1
	s_mov_b32 s17, exec_lo
	s_delay_alu instid0(VALU_DEP_2)
	v_cmpx_ne_u32_e32 0x80, v4
	s_cbranch_execz .LBB353_241
; %bb.236:                              ;   in Loop: Header=BB353_15 Depth=1
	v_bfe_u32 v2, v0, 24, 7
	v_mov_b32_e32 v13, 0x7f800001
	s_mov_b32 s18, exec_lo
	s_delay_alu instid0(VALU_DEP_2)
	v_cmpx_ne_u32_e32 0x7f, v2
	s_cbranch_execz .LBB353_240
; %bb.237:                              ;   in Loop: Header=BB353_15 Depth=1
	v_dual_lshrrev_b32 v5, 3, v2 :: v_dual_bitop2_b32 v52, 7, v4 bitop3:0x40
	v_cmp_gt_u32_e64 s1, 8, v2
	s_delay_alu instid0(VALU_DEP_2)
	v_mov_b64_e32 v[2:3], v[52:53]
	s_and_saveexec_b32 s19, s1
; %bb.238:                              ;   in Loop: Header=BB353_15 Depth=1
	v_clz_i32_u32_e32 v2, v52
	s_delay_alu instid0(VALU_DEP_1) | instskip(NEXT) | instid1(VALU_DEP_1)
	v_min_u32_e32 v5, 32, v2
	v_subrev_nc_u32_e32 v2, 28, v5
	s_delay_alu instid0(VALU_DEP_1) | instskip(NEXT) | instid1(VALU_DEP_1)
	v_lshlrev_b64_e32 v[2:3], v2, v[52:53]
	v_dual_sub_nc_u32 v5, 29, v5 :: v_dual_bitop2_b32 v2, 7, v2 bitop3:0x40
; %bb.239:                              ;   in Loop: Header=BB353_15 Depth=1
	s_or_b32 exec_lo, exec_lo, s19
	s_delay_alu instid0(VALU_DEP_1) | instskip(NEXT) | instid1(VALU_DEP_2)
	v_dual_lshlrev_b32 v3, 24, v4 :: v_dual_lshlrev_b32 v2, 20, v2
	v_lshl_add_u32 v4, v5, 23, 0x3c000000
	s_delay_alu instid0(VALU_DEP_2) | instskip(NEXT) | instid1(VALU_DEP_1)
	v_and_b32_e32 v3, 0x80000000, v3
	v_or3_b32 v13, v2, v3, v4
.LBB353_240:                            ;   in Loop: Header=BB353_15 Depth=1
	s_or_b32 exec_lo, exec_lo, s18
.LBB353_241:                            ;   in Loop: Header=BB353_15 Depth=1
	s_delay_alu instid0(SALU_CYCLE_1)
	s_or_b32 exec_lo, exec_lo, s17
.LBB353_242:                            ;   in Loop: Header=BB353_15 Depth=1
	s_delay_alu instid0(SALU_CYCLE_1) | instskip(SKIP_4) | instid1(VALU_DEP_3)
	s_or_b32 exec_lo, exec_lo, s16
	v_and_b32_e32 v2, 0xff, v1
	v_dual_mov_b32 v52, v1 :: v_dual_mov_b32 v45, 0
	v_mov_b32_e32 v44, 0
	s_mov_b32 s16, exec_lo
	v_cmpx_ne_u16_e32 0, v2
	s_cbranch_execz .LBB353_250
; %bb.243:                              ;   in Loop: Header=BB353_15 Depth=1
	v_bfrev_b32_e32 v44, 1
	s_mov_b32 s17, exec_lo
	v_cmpx_ne_u16_e32 0x80, v2
	s_cbranch_execz .LBB353_249
; %bb.244:                              ;   in Loop: Header=BB353_15 Depth=1
	v_and_b32_e32 v2, 0x7f, v1
	v_mov_b32_e32 v44, 0x7f800001
	s_mov_b32 s18, exec_lo
	s_delay_alu instid0(VALU_DEP_2)
	v_cmpx_ne_u32_e32 0x7f, v2
	s_cbranch_execz .LBB353_248
; %bb.245:                              ;   in Loop: Header=BB353_15 Depth=1
	v_lshrrev_b32_e32 v4, 3, v2
	v_cmp_gt_u32_e64 s1, 8, v2
	v_mov_b64_e32 v[2:3], v[52:53]
	s_and_saveexec_b32 s19, s1
; %bb.246:                              ;   in Loop: Header=BB353_15 Depth=1
	v_and_b32_e32 v2, 7, v1
	s_delay_alu instid0(VALU_DEP_1) | instskip(NEXT) | instid1(VALU_DEP_1)
	v_clz_i32_u32_e32 v2, v2
	v_min_u32_e32 v4, 32, v2
	s_delay_alu instid0(VALU_DEP_1) | instskip(SKIP_1) | instid1(VALU_DEP_2)
	v_subrev_nc_u32_e32 v2, 28, v4
	v_sub_nc_u32_e32 v4, 29, v4
	v_lshlrev_b64_e32 v[2:3], v2, v[52:53]
; %bb.247:                              ;   in Loop: Header=BB353_15 Depth=1
	s_or_b32 exec_lo, exec_lo, s19
	s_delay_alu instid0(VALU_DEP_1) | instskip(NEXT) | instid1(VALU_DEP_3)
	v_dual_lshlrev_b32 v2, 20, v2 :: v_dual_lshlrev_b32 v3, 24, v52
	v_lshl_add_u32 v4, v4, 23, 0x3c000000
	s_delay_alu instid0(VALU_DEP_2) | instskip(NEXT) | instid1(VALU_DEP_3)
	v_and_b32_e32 v2, 0x700000, v2
	v_and_b32_e32 v3, 0x80000000, v3
	s_delay_alu instid0(VALU_DEP_1)
	v_or3_b32 v44, v2, v3, v4
.LBB353_248:                            ;   in Loop: Header=BB353_15 Depth=1
	s_or_b32 exec_lo, exec_lo, s18
.LBB353_249:                            ;   in Loop: Header=BB353_15 Depth=1
	s_delay_alu instid0(SALU_CYCLE_1)
	s_or_b32 exec_lo, exec_lo, s17
.LBB353_250:                            ;   in Loop: Header=BB353_15 Depth=1
	s_delay_alu instid0(SALU_CYCLE_1) | instskip(SKIP_2) | instid1(VALU_DEP_1)
	s_or_b32 exec_lo, exec_lo, s16
	v_lshrrev_b16 v2, 8, v52
	s_mov_b32 s16, exec_lo
	v_cmpx_ne_u16_e32 0, v2
	s_cbranch_execz .LBB353_258
; %bb.251:                              ;   in Loop: Header=BB353_15 Depth=1
	v_bfrev_b32_e32 v45, 1
	s_mov_b32 s17, exec_lo
	v_cmpx_ne_u16_e32 0x80, v2
	s_cbranch_execz .LBB353_257
; %bb.252:                              ;   in Loop: Header=BB353_15 Depth=1
	v_and_b32_e32 v2, 0xffff, v2
	v_mov_b32_e32 v45, 0x7f800001
	s_mov_b32 s18, exec_lo
	s_delay_alu instid0(VALU_DEP_2) | instskip(NEXT) | instid1(VALU_DEP_1)
	v_and_b32_e32 v5, 0x7f, v2
	v_cmpx_ne_u32_e32 0x7f, v5
	s_cbranch_execz .LBB353_256
; %bb.253:                              ;   in Loop: Header=BB353_15 Depth=1
	v_dual_mov_b32 v3, v53 :: v_dual_bitop2_b32 v2, 7, v2 bitop3:0x40
	v_lshrrev_b32_e32 v4, 3, v5
	s_mov_b32 s19, exec_lo
	v_cmpx_gt_u32_e32 8, v5
; %bb.254:                              ;   in Loop: Header=BB353_15 Depth=1
	s_delay_alu instid0(VALU_DEP_3) | instskip(NEXT) | instid1(VALU_DEP_1)
	v_clz_i32_u32_e32 v4, v2
	v_min_u32_e32 v4, 32, v4
	s_delay_alu instid0(VALU_DEP_1) | instskip(NEXT) | instid1(VALU_DEP_1)
	v_subrev_nc_u32_e32 v5, 28, v4
	v_lshlrev_b64_e32 v[2:3], v5, v[2:3]
	s_delay_alu instid0(VALU_DEP_1)
	v_dual_sub_nc_u32 v4, 29, v4 :: v_dual_bitop2_b32 v2, 7, v2 bitop3:0x40
; %bb.255:                              ;   in Loop: Header=BB353_15 Depth=1
	s_or_b32 exec_lo, exec_lo, s19
	s_delay_alu instid0(VALU_DEP_1) | instskip(NEXT) | instid1(VALU_DEP_2)
	v_dual_lshlrev_b32 v3, 16, v52 :: v_dual_lshlrev_b32 v2, 20, v2
	v_lshl_add_u32 v4, v4, 23, 0x3c000000
	s_delay_alu instid0(VALU_DEP_2) | instskip(NEXT) | instid1(VALU_DEP_1)
	v_and_b32_e32 v3, 0x80000000, v3
	v_or3_b32 v45, v2, v3, v4
.LBB353_256:                            ;   in Loop: Header=BB353_15 Depth=1
	s_or_b32 exec_lo, exec_lo, s18
.LBB353_257:                            ;   in Loop: Header=BB353_15 Depth=1
	s_delay_alu instid0(SALU_CYCLE_1)
	s_or_b32 exec_lo, exec_lo, s17
.LBB353_258:                            ;   in Loop: Header=BB353_15 Depth=1
	s_delay_alu instid0(SALU_CYCLE_1) | instskip(SKIP_3) | instid1(VALU_DEP_2)
	s_or_b32 exec_lo, exec_lo, s16
	v_dual_mov_b32 v15, 0 :: v_dual_lshrrev_b32 v4, 16, v1
	v_mov_b32_e32 v14, 0
	s_mov_b32 s16, exec_lo
	v_and_b32_e32 v2, 0xff, v4
	s_delay_alu instid0(VALU_DEP_1)
	v_cmpx_ne_u16_e32 0, v2
	s_cbranch_execz .LBB353_266
; %bb.259:                              ;   in Loop: Header=BB353_15 Depth=1
	v_bfrev_b32_e32 v14, 1
	s_mov_b32 s17, exec_lo
	v_cmpx_ne_u16_e32 0x80, v2
	s_cbranch_execz .LBB353_265
; %bb.260:                              ;   in Loop: Header=BB353_15 Depth=1
	v_bfe_u32 v2, v1, 16, 7
	v_mov_b32_e32 v14, 0x7f800001
	s_mov_b32 s18, exec_lo
	s_delay_alu instid0(VALU_DEP_2)
	v_cmpx_ne_u32_e32 0x7f, v2
	s_cbranch_execz .LBB353_264
; %bb.261:                              ;   in Loop: Header=BB353_15 Depth=1
	v_dual_lshrrev_b32 v5, 3, v2 :: v_dual_bitop2_b32 v52, 7, v4 bitop3:0x40
	v_cmp_gt_u32_e64 s1, 8, v2
	s_delay_alu instid0(VALU_DEP_2)
	v_mov_b64_e32 v[2:3], v[52:53]
	s_and_saveexec_b32 s19, s1
; %bb.262:                              ;   in Loop: Header=BB353_15 Depth=1
	v_clz_i32_u32_e32 v2, v52
	s_delay_alu instid0(VALU_DEP_1) | instskip(NEXT) | instid1(VALU_DEP_1)
	v_min_u32_e32 v5, 32, v2
	v_subrev_nc_u32_e32 v2, 28, v5
	s_delay_alu instid0(VALU_DEP_1) | instskip(NEXT) | instid1(VALU_DEP_1)
	v_lshlrev_b64_e32 v[2:3], v2, v[52:53]
	v_dual_sub_nc_u32 v5, 29, v5 :: v_dual_bitop2_b32 v2, 7, v2 bitop3:0x40
; %bb.263:                              ;   in Loop: Header=BB353_15 Depth=1
	s_or_b32 exec_lo, exec_lo, s19
	s_delay_alu instid0(VALU_DEP_1) | instskip(NEXT) | instid1(VALU_DEP_2)
	v_dual_lshlrev_b32 v3, 24, v4 :: v_dual_lshlrev_b32 v2, 20, v2
	v_lshl_add_u32 v4, v5, 23, 0x3c000000
	s_delay_alu instid0(VALU_DEP_2) | instskip(NEXT) | instid1(VALU_DEP_1)
	v_and_b32_e32 v3, 0x80000000, v3
	v_or3_b32 v14, v2, v3, v4
.LBB353_264:                            ;   in Loop: Header=BB353_15 Depth=1
	s_or_b32 exec_lo, exec_lo, s18
.LBB353_265:                            ;   in Loop: Header=BB353_15 Depth=1
	s_delay_alu instid0(SALU_CYCLE_1)
	s_or_b32 exec_lo, exec_lo, s17
.LBB353_266:                            ;   in Loop: Header=BB353_15 Depth=1
	s_delay_alu instid0(SALU_CYCLE_1) | instskip(NEXT) | instid1(SALU_CYCLE_1)
	s_or_b32 exec_lo, exec_lo, s16
	s_mov_b32 s16, exec_lo
	v_cmpx_lt_u64_e64 s[8:9], v[0:1]
	s_cbranch_execz .LBB353_274
; %bb.267:                              ;   in Loop: Header=BB353_15 Depth=1
	v_lshrrev_b32_e32 v2, 24, v1
	v_bfrev_b32_e32 v15, 1
	s_mov_b32 s17, exec_lo
	s_delay_alu instid0(VALU_DEP_2)
	v_cmpx_ne_u32_e32 0x80, v2
	s_cbranch_execz .LBB353_273
; %bb.268:                              ;   in Loop: Header=BB353_15 Depth=1
	v_bfe_u32 v0, v1, 24, 7
	v_mov_b32_e32 v15, 0x7f800001
	s_mov_b32 s18, exec_lo
	s_delay_alu instid0(VALU_DEP_2)
	v_cmpx_ne_u32_e32 0x7f, v0
	s_cbranch_execz .LBB353_272
; %bb.269:                              ;   in Loop: Header=BB353_15 Depth=1
	v_dual_lshrrev_b32 v3, 3, v0 :: v_dual_bitop2_b32 v52, 7, v2 bitop3:0x40
	v_cmp_gt_u32_e64 s1, 8, v0
	s_delay_alu instid0(VALU_DEP_2)
	v_mov_b64_e32 v[0:1], v[52:53]
	s_and_saveexec_b32 s19, s1
; %bb.270:                              ;   in Loop: Header=BB353_15 Depth=1
	v_clz_i32_u32_e32 v0, v52
	s_delay_alu instid0(VALU_DEP_1) | instskip(NEXT) | instid1(VALU_DEP_1)
	v_min_u32_e32 v3, 32, v0
	v_subrev_nc_u32_e32 v0, 28, v3
	s_delay_alu instid0(VALU_DEP_1) | instskip(NEXT) | instid1(VALU_DEP_1)
	v_lshlrev_b64_e32 v[0:1], v0, v[52:53]
	v_dual_sub_nc_u32 v3, 29, v3 :: v_dual_bitop2_b32 v0, 7, v0 bitop3:0x40
; %bb.271:                              ;   in Loop: Header=BB353_15 Depth=1
	s_or_b32 exec_lo, exec_lo, s19
	s_delay_alu instid0(VALU_DEP_1) | instskip(NEXT) | instid1(VALU_DEP_2)
	v_dual_lshlrev_b32 v1, 24, v2 :: v_dual_lshlrev_b32 v0, 20, v0
	v_lshl_add_u32 v2, v3, 23, 0x3c000000
	s_delay_alu instid0(VALU_DEP_2) | instskip(NEXT) | instid1(VALU_DEP_1)
	v_and_b32_e32 v1, 0x80000000, v1
	v_or3_b32 v15, v0, v1, v2
.LBB353_272:                            ;   in Loop: Header=BB353_15 Depth=1
	s_or_b32 exec_lo, exec_lo, s18
.LBB353_273:                            ;   in Loop: Header=BB353_15 Depth=1
	s_delay_alu instid0(SALU_CYCLE_1)
	s_or_b32 exec_lo, exec_lo, s17
.LBB353_274:                            ;   in Loop: Header=BB353_15 Depth=1
	s_delay_alu instid0(SALU_CYCLE_1)
	s_or_b32 exec_lo, exec_lo, s16
	flat_load_b64 v[0:1], v[112:113] offset:1024
	v_dual_mov_b32 v47, 0 :: v_dual_mov_b32 v46, 0
	s_mov_b32 s16, exec_lo
	s_wait_loadcnt_dscnt 0x0
	v_and_b32_e32 v2, 0xff, v0
	s_wait_xcnt 0x0
	s_delay_alu instid0(VALU_DEP_1)
	v_cmpx_ne_u16_e32 0, v2
	s_cbranch_execz .LBB353_282
; %bb.275:                              ;   in Loop: Header=BB353_15 Depth=1
	v_bfrev_b32_e32 v46, 1
	s_mov_b32 s17, exec_lo
	v_cmpx_ne_u16_e32 0x80, v2
	s_cbranch_execz .LBB353_281
; %bb.276:                              ;   in Loop: Header=BB353_15 Depth=1
	v_and_b32_e32 v2, 0x7f, v0
	v_mov_b32_e32 v46, 0x7f800001
	s_mov_b32 s18, exec_lo
	s_delay_alu instid0(VALU_DEP_2)
	v_cmpx_ne_u32_e32 0x7f, v2
	s_cbranch_execz .LBB353_280
; %bb.277:                              ;   in Loop: Header=BB353_15 Depth=1
	v_lshrrev_b32_e32 v4, 3, v2
	v_cmp_gt_u32_e64 s1, 8, v2
	v_mov_b64_e32 v[2:3], v[0:1]
	s_and_saveexec_b32 s19, s1
; %bb.278:                              ;   in Loop: Header=BB353_15 Depth=1
	v_and_b32_e32 v2, 7, v0
	s_delay_alu instid0(VALU_DEP_1) | instskip(NEXT) | instid1(VALU_DEP_1)
	v_clz_i32_u32_e32 v2, v2
	v_min_u32_e32 v4, 32, v2
	s_delay_alu instid0(VALU_DEP_1) | instskip(SKIP_1) | instid1(VALU_DEP_2)
	v_subrev_nc_u32_e32 v2, 28, v4
	v_sub_nc_u32_e32 v4, 29, v4
	v_lshlrev_b64_e32 v[2:3], v2, v[0:1]
; %bb.279:                              ;   in Loop: Header=BB353_15 Depth=1
	s_or_b32 exec_lo, exec_lo, s19
	s_delay_alu instid0(VALU_DEP_1) | instskip(NEXT) | instid1(VALU_DEP_3)
	v_dual_lshlrev_b32 v2, 20, v2 :: v_dual_lshlrev_b32 v3, 24, v0
	v_lshl_add_u32 v4, v4, 23, 0x3c000000
	s_delay_alu instid0(VALU_DEP_2) | instskip(NEXT) | instid1(VALU_DEP_3)
	v_and_b32_e32 v2, 0x700000, v2
	v_and_b32_e32 v3, 0x80000000, v3
	s_delay_alu instid0(VALU_DEP_1)
	v_or3_b32 v46, v2, v3, v4
.LBB353_280:                            ;   in Loop: Header=BB353_15 Depth=1
	s_or_b32 exec_lo, exec_lo, s18
.LBB353_281:                            ;   in Loop: Header=BB353_15 Depth=1
	s_delay_alu instid0(SALU_CYCLE_1)
	s_or_b32 exec_lo, exec_lo, s17
.LBB353_282:                            ;   in Loop: Header=BB353_15 Depth=1
	s_delay_alu instid0(SALU_CYCLE_1) | instskip(SKIP_2) | instid1(VALU_DEP_1)
	s_or_b32 exec_lo, exec_lo, s16
	v_lshrrev_b16 v2, 8, v0
	s_mov_b32 s16, exec_lo
	v_cmpx_ne_u16_e32 0, v2
	s_cbranch_execz .LBB353_290
; %bb.283:                              ;   in Loop: Header=BB353_15 Depth=1
	v_bfrev_b32_e32 v47, 1
	s_mov_b32 s17, exec_lo
	v_cmpx_ne_u16_e32 0x80, v2
	s_cbranch_execz .LBB353_289
; %bb.284:                              ;   in Loop: Header=BB353_15 Depth=1
	v_and_b32_e32 v3, 0xffff, v2
	v_mov_b32_e32 v47, 0x7f800001
	s_mov_b32 s18, exec_lo
	s_delay_alu instid0(VALU_DEP_2) | instskip(NEXT) | instid1(VALU_DEP_1)
	v_and_b32_e32 v2, 0x7f, v3
	v_cmpx_ne_u32_e32 0x7f, v2
	s_cbranch_execz .LBB353_288
; %bb.285:                              ;   in Loop: Header=BB353_15 Depth=1
	v_dual_lshrrev_b32 v4, 3, v2 :: v_dual_bitop2_b32 v52, 7, v3 bitop3:0x40
	v_cmp_gt_u32_e64 s1, 8, v2
	s_delay_alu instid0(VALU_DEP_2)
	v_mov_b64_e32 v[2:3], v[52:53]
	s_and_saveexec_b32 s19, s1
; %bb.286:                              ;   in Loop: Header=BB353_15 Depth=1
	v_clz_i32_u32_e32 v2, v52
	s_delay_alu instid0(VALU_DEP_1) | instskip(NEXT) | instid1(VALU_DEP_1)
	v_min_u32_e32 v4, 32, v2
	v_subrev_nc_u32_e32 v2, 28, v4
	s_delay_alu instid0(VALU_DEP_1) | instskip(NEXT) | instid1(VALU_DEP_1)
	v_lshlrev_b64_e32 v[2:3], v2, v[52:53]
	v_dual_sub_nc_u32 v4, 29, v4 :: v_dual_bitop2_b32 v2, 7, v2 bitop3:0x40
; %bb.287:                              ;   in Loop: Header=BB353_15 Depth=1
	s_or_b32 exec_lo, exec_lo, s19
	s_delay_alu instid0(VALU_DEP_1) | instskip(NEXT) | instid1(VALU_DEP_2)
	v_dual_lshlrev_b32 v3, 16, v0 :: v_dual_lshlrev_b32 v2, 20, v2
	v_lshl_add_u32 v4, v4, 23, 0x3c000000
	s_delay_alu instid0(VALU_DEP_2) | instskip(NEXT) | instid1(VALU_DEP_1)
	v_and_b32_e32 v3, 0x80000000, v3
	v_or3_b32 v47, v2, v3, v4
.LBB353_288:                            ;   in Loop: Header=BB353_15 Depth=1
	s_or_b32 exec_lo, exec_lo, s18
.LBB353_289:                            ;   in Loop: Header=BB353_15 Depth=1
	s_delay_alu instid0(SALU_CYCLE_1)
	s_or_b32 exec_lo, exec_lo, s17
.LBB353_290:                            ;   in Loop: Header=BB353_15 Depth=1
	s_delay_alu instid0(SALU_CYCLE_1) | instskip(SKIP_3) | instid1(VALU_DEP_2)
	s_or_b32 exec_lo, exec_lo, s16
	v_dual_mov_b32 v33, 0 :: v_dual_lshrrev_b32 v4, 16, v0
	v_mov_b32_e32 v32, 0
	s_mov_b32 s16, exec_lo
	v_and_b32_e32 v2, 0xff, v4
	s_delay_alu instid0(VALU_DEP_1)
	v_cmpx_ne_u16_e32 0, v2
	s_cbranch_execz .LBB353_298
; %bb.291:                              ;   in Loop: Header=BB353_15 Depth=1
	v_bfrev_b32_e32 v32, 1
	s_mov_b32 s17, exec_lo
	v_cmpx_ne_u16_e32 0x80, v2
	s_cbranch_execz .LBB353_297
; %bb.292:                              ;   in Loop: Header=BB353_15 Depth=1
	v_bfe_u32 v2, v0, 16, 7
	v_mov_b32_e32 v32, 0x7f800001
	s_mov_b32 s18, exec_lo
	s_delay_alu instid0(VALU_DEP_2)
	v_cmpx_ne_u32_e32 0x7f, v2
	s_cbranch_execz .LBB353_296
; %bb.293:                              ;   in Loop: Header=BB353_15 Depth=1
	v_dual_lshrrev_b32 v5, 3, v2 :: v_dual_bitop2_b32 v52, 7, v4 bitop3:0x40
	v_cmp_gt_u32_e64 s1, 8, v2
	s_delay_alu instid0(VALU_DEP_2)
	v_mov_b64_e32 v[2:3], v[52:53]
	s_and_saveexec_b32 s19, s1
; %bb.294:                              ;   in Loop: Header=BB353_15 Depth=1
	v_clz_i32_u32_e32 v2, v52
	s_delay_alu instid0(VALU_DEP_1) | instskip(NEXT) | instid1(VALU_DEP_1)
	v_min_u32_e32 v5, 32, v2
	v_subrev_nc_u32_e32 v2, 28, v5
	s_delay_alu instid0(VALU_DEP_1) | instskip(NEXT) | instid1(VALU_DEP_1)
	v_lshlrev_b64_e32 v[2:3], v2, v[52:53]
	v_dual_sub_nc_u32 v5, 29, v5 :: v_dual_bitop2_b32 v2, 7, v2 bitop3:0x40
; %bb.295:                              ;   in Loop: Header=BB353_15 Depth=1
	s_or_b32 exec_lo, exec_lo, s19
	s_delay_alu instid0(VALU_DEP_1) | instskip(NEXT) | instid1(VALU_DEP_2)
	v_dual_lshlrev_b32 v3, 24, v4 :: v_dual_lshlrev_b32 v2, 20, v2
	v_lshl_add_u32 v4, v5, 23, 0x3c000000
	s_delay_alu instid0(VALU_DEP_2) | instskip(NEXT) | instid1(VALU_DEP_1)
	v_and_b32_e32 v3, 0x80000000, v3
	v_or3_b32 v32, v2, v3, v4
.LBB353_296:                            ;   in Loop: Header=BB353_15 Depth=1
	s_or_b32 exec_lo, exec_lo, s18
.LBB353_297:                            ;   in Loop: Header=BB353_15 Depth=1
	s_delay_alu instid0(SALU_CYCLE_1)
	s_or_b32 exec_lo, exec_lo, s17
.LBB353_298:                            ;   in Loop: Header=BB353_15 Depth=1
	s_delay_alu instid0(SALU_CYCLE_1) | instskip(NEXT) | instid1(SALU_CYCLE_1)
	s_or_b32 exec_lo, exec_lo, s16
	s_mov_b32 s16, exec_lo
	v_cmpx_lt_u32_e32 0xffffff, v0
	s_cbranch_execz .LBB353_306
; %bb.299:                              ;   in Loop: Header=BB353_15 Depth=1
	v_lshrrev_b32_e32 v4, 24, v0
	v_bfrev_b32_e32 v33, 1
	s_mov_b32 s17, exec_lo
	s_delay_alu instid0(VALU_DEP_2)
	v_cmpx_ne_u32_e32 0x80, v4
	s_cbranch_execz .LBB353_305
; %bb.300:                              ;   in Loop: Header=BB353_15 Depth=1
	v_bfe_u32 v2, v0, 24, 7
	v_mov_b32_e32 v33, 0x7f800001
	s_mov_b32 s18, exec_lo
	s_delay_alu instid0(VALU_DEP_2)
	v_cmpx_ne_u32_e32 0x7f, v2
	s_cbranch_execz .LBB353_304
; %bb.301:                              ;   in Loop: Header=BB353_15 Depth=1
	v_dual_lshrrev_b32 v5, 3, v2 :: v_dual_bitop2_b32 v52, 7, v4 bitop3:0x40
	v_cmp_gt_u32_e64 s1, 8, v2
	s_delay_alu instid0(VALU_DEP_2)
	v_mov_b64_e32 v[2:3], v[52:53]
	s_and_saveexec_b32 s19, s1
; %bb.302:                              ;   in Loop: Header=BB353_15 Depth=1
	v_clz_i32_u32_e32 v2, v52
	s_delay_alu instid0(VALU_DEP_1) | instskip(NEXT) | instid1(VALU_DEP_1)
	v_min_u32_e32 v5, 32, v2
	v_subrev_nc_u32_e32 v2, 28, v5
	s_delay_alu instid0(VALU_DEP_1) | instskip(NEXT) | instid1(VALU_DEP_1)
	v_lshlrev_b64_e32 v[2:3], v2, v[52:53]
	v_dual_sub_nc_u32 v5, 29, v5 :: v_dual_bitop2_b32 v2, 7, v2 bitop3:0x40
; %bb.303:                              ;   in Loop: Header=BB353_15 Depth=1
	s_or_b32 exec_lo, exec_lo, s19
	s_delay_alu instid0(VALU_DEP_1) | instskip(NEXT) | instid1(VALU_DEP_2)
	v_dual_lshlrev_b32 v3, 24, v4 :: v_dual_lshlrev_b32 v2, 20, v2
	v_lshl_add_u32 v4, v5, 23, 0x3c000000
	s_delay_alu instid0(VALU_DEP_2) | instskip(NEXT) | instid1(VALU_DEP_1)
	v_and_b32_e32 v3, 0x80000000, v3
	v_or3_b32 v33, v2, v3, v4
.LBB353_304:                            ;   in Loop: Header=BB353_15 Depth=1
	s_or_b32 exec_lo, exec_lo, s18
.LBB353_305:                            ;   in Loop: Header=BB353_15 Depth=1
	s_delay_alu instid0(SALU_CYCLE_1)
	s_or_b32 exec_lo, exec_lo, s17
.LBB353_306:                            ;   in Loop: Header=BB353_15 Depth=1
	s_delay_alu instid0(SALU_CYCLE_1) | instskip(SKIP_4) | instid1(VALU_DEP_3)
	s_or_b32 exec_lo, exec_lo, s16
	v_and_b32_e32 v2, 0xff, v1
	v_dual_mov_b32 v52, v1 :: v_dual_mov_b32 v57, 0
	v_mov_b32_e32 v56, 0
	s_mov_b32 s16, exec_lo
	v_cmpx_ne_u16_e32 0, v2
	s_cbranch_execz .LBB353_314
; %bb.307:                              ;   in Loop: Header=BB353_15 Depth=1
	v_bfrev_b32_e32 v56, 1
	s_mov_b32 s17, exec_lo
	v_cmpx_ne_u16_e32 0x80, v2
	s_cbranch_execz .LBB353_313
; %bb.308:                              ;   in Loop: Header=BB353_15 Depth=1
	v_and_b32_e32 v2, 0x7f, v1
	v_mov_b32_e32 v56, 0x7f800001
	s_mov_b32 s18, exec_lo
	s_delay_alu instid0(VALU_DEP_2)
	v_cmpx_ne_u32_e32 0x7f, v2
	s_cbranch_execz .LBB353_312
; %bb.309:                              ;   in Loop: Header=BB353_15 Depth=1
	v_lshrrev_b32_e32 v4, 3, v2
	v_cmp_gt_u32_e64 s1, 8, v2
	v_mov_b64_e32 v[2:3], v[52:53]
	s_and_saveexec_b32 s19, s1
; %bb.310:                              ;   in Loop: Header=BB353_15 Depth=1
	v_and_b32_e32 v2, 7, v1
	s_delay_alu instid0(VALU_DEP_1) | instskip(NEXT) | instid1(VALU_DEP_1)
	v_clz_i32_u32_e32 v2, v2
	v_min_u32_e32 v4, 32, v2
	s_delay_alu instid0(VALU_DEP_1) | instskip(SKIP_1) | instid1(VALU_DEP_2)
	v_subrev_nc_u32_e32 v2, 28, v4
	v_sub_nc_u32_e32 v4, 29, v4
	v_lshlrev_b64_e32 v[2:3], v2, v[52:53]
; %bb.311:                              ;   in Loop: Header=BB353_15 Depth=1
	s_or_b32 exec_lo, exec_lo, s19
	s_delay_alu instid0(VALU_DEP_1) | instskip(NEXT) | instid1(VALU_DEP_3)
	v_dual_lshlrev_b32 v2, 20, v2 :: v_dual_lshlrev_b32 v3, 24, v52
	v_lshl_add_u32 v4, v4, 23, 0x3c000000
	s_delay_alu instid0(VALU_DEP_2) | instskip(NEXT) | instid1(VALU_DEP_3)
	v_and_b32_e32 v2, 0x700000, v2
	v_and_b32_e32 v3, 0x80000000, v3
	s_delay_alu instid0(VALU_DEP_1)
	v_or3_b32 v56, v2, v3, v4
.LBB353_312:                            ;   in Loop: Header=BB353_15 Depth=1
	s_or_b32 exec_lo, exec_lo, s18
.LBB353_313:                            ;   in Loop: Header=BB353_15 Depth=1
	s_delay_alu instid0(SALU_CYCLE_1)
	s_or_b32 exec_lo, exec_lo, s17
.LBB353_314:                            ;   in Loop: Header=BB353_15 Depth=1
	s_delay_alu instid0(SALU_CYCLE_1) | instskip(SKIP_2) | instid1(VALU_DEP_1)
	s_or_b32 exec_lo, exec_lo, s16
	v_lshrrev_b16 v2, 8, v52
	s_mov_b32 s16, exec_lo
	v_cmpx_ne_u16_e32 0, v2
	s_cbranch_execz .LBB353_322
; %bb.315:                              ;   in Loop: Header=BB353_15 Depth=1
	v_bfrev_b32_e32 v57, 1
	s_mov_b32 s17, exec_lo
	v_cmpx_ne_u16_e32 0x80, v2
	s_cbranch_execz .LBB353_321
; %bb.316:                              ;   in Loop: Header=BB353_15 Depth=1
	v_and_b32_e32 v2, 0xffff, v2
	v_mov_b32_e32 v57, 0x7f800001
	s_mov_b32 s18, exec_lo
	s_delay_alu instid0(VALU_DEP_2) | instskip(NEXT) | instid1(VALU_DEP_1)
	v_and_b32_e32 v5, 0x7f, v2
	v_cmpx_ne_u32_e32 0x7f, v5
	s_cbranch_execz .LBB353_320
; %bb.317:                              ;   in Loop: Header=BB353_15 Depth=1
	v_dual_mov_b32 v3, v53 :: v_dual_bitop2_b32 v2, 7, v2 bitop3:0x40
	v_lshrrev_b32_e32 v4, 3, v5
	s_mov_b32 s19, exec_lo
	v_cmpx_gt_u32_e32 8, v5
; %bb.318:                              ;   in Loop: Header=BB353_15 Depth=1
	s_delay_alu instid0(VALU_DEP_3) | instskip(NEXT) | instid1(VALU_DEP_1)
	v_clz_i32_u32_e32 v4, v2
	v_min_u32_e32 v4, 32, v4
	s_delay_alu instid0(VALU_DEP_1) | instskip(NEXT) | instid1(VALU_DEP_1)
	v_subrev_nc_u32_e32 v5, 28, v4
	v_lshlrev_b64_e32 v[2:3], v5, v[2:3]
	s_delay_alu instid0(VALU_DEP_1)
	v_dual_sub_nc_u32 v4, 29, v4 :: v_dual_bitop2_b32 v2, 7, v2 bitop3:0x40
; %bb.319:                              ;   in Loop: Header=BB353_15 Depth=1
	s_or_b32 exec_lo, exec_lo, s19
	s_delay_alu instid0(VALU_DEP_1) | instskip(NEXT) | instid1(VALU_DEP_2)
	v_dual_lshlrev_b32 v3, 16, v52 :: v_dual_lshlrev_b32 v2, 20, v2
	v_lshl_add_u32 v4, v4, 23, 0x3c000000
	s_delay_alu instid0(VALU_DEP_2) | instskip(NEXT) | instid1(VALU_DEP_1)
	v_and_b32_e32 v3, 0x80000000, v3
	v_or3_b32 v57, v2, v3, v4
.LBB353_320:                            ;   in Loop: Header=BB353_15 Depth=1
	s_or_b32 exec_lo, exec_lo, s18
.LBB353_321:                            ;   in Loop: Header=BB353_15 Depth=1
	s_delay_alu instid0(SALU_CYCLE_1)
	s_or_b32 exec_lo, exec_lo, s17
.LBB353_322:                            ;   in Loop: Header=BB353_15 Depth=1
	s_delay_alu instid0(SALU_CYCLE_1) | instskip(SKIP_3) | instid1(VALU_DEP_2)
	s_or_b32 exec_lo, exec_lo, s16
	v_dual_mov_b32 v35, 0 :: v_dual_lshrrev_b32 v4, 16, v1
	v_mov_b32_e32 v34, 0
	s_mov_b32 s16, exec_lo
	v_and_b32_e32 v2, 0xff, v4
	s_delay_alu instid0(VALU_DEP_1)
	v_cmpx_ne_u16_e32 0, v2
	s_cbranch_execz .LBB353_330
; %bb.323:                              ;   in Loop: Header=BB353_15 Depth=1
	v_bfrev_b32_e32 v34, 1
	s_mov_b32 s17, exec_lo
	v_cmpx_ne_u16_e32 0x80, v2
	s_cbranch_execz .LBB353_329
; %bb.324:                              ;   in Loop: Header=BB353_15 Depth=1
	v_bfe_u32 v2, v1, 16, 7
	v_mov_b32_e32 v34, 0x7f800001
	s_mov_b32 s18, exec_lo
	s_delay_alu instid0(VALU_DEP_2)
	v_cmpx_ne_u32_e32 0x7f, v2
	s_cbranch_execz .LBB353_328
; %bb.325:                              ;   in Loop: Header=BB353_15 Depth=1
	v_dual_lshrrev_b32 v5, 3, v2 :: v_dual_bitop2_b32 v52, 7, v4 bitop3:0x40
	v_cmp_gt_u32_e64 s1, 8, v2
	s_delay_alu instid0(VALU_DEP_2)
	v_mov_b64_e32 v[2:3], v[52:53]
	s_and_saveexec_b32 s19, s1
; %bb.326:                              ;   in Loop: Header=BB353_15 Depth=1
	v_clz_i32_u32_e32 v2, v52
	s_delay_alu instid0(VALU_DEP_1) | instskip(NEXT) | instid1(VALU_DEP_1)
	v_min_u32_e32 v5, 32, v2
	v_subrev_nc_u32_e32 v2, 28, v5
	s_delay_alu instid0(VALU_DEP_1) | instskip(NEXT) | instid1(VALU_DEP_1)
	v_lshlrev_b64_e32 v[2:3], v2, v[52:53]
	v_dual_sub_nc_u32 v5, 29, v5 :: v_dual_bitop2_b32 v2, 7, v2 bitop3:0x40
; %bb.327:                              ;   in Loop: Header=BB353_15 Depth=1
	s_or_b32 exec_lo, exec_lo, s19
	s_delay_alu instid0(VALU_DEP_1) | instskip(NEXT) | instid1(VALU_DEP_2)
	v_dual_lshlrev_b32 v3, 24, v4 :: v_dual_lshlrev_b32 v2, 20, v2
	v_lshl_add_u32 v4, v5, 23, 0x3c000000
	s_delay_alu instid0(VALU_DEP_2) | instskip(NEXT) | instid1(VALU_DEP_1)
	v_and_b32_e32 v3, 0x80000000, v3
	v_or3_b32 v34, v2, v3, v4
.LBB353_328:                            ;   in Loop: Header=BB353_15 Depth=1
	s_or_b32 exec_lo, exec_lo, s18
.LBB353_329:                            ;   in Loop: Header=BB353_15 Depth=1
	s_delay_alu instid0(SALU_CYCLE_1)
	s_or_b32 exec_lo, exec_lo, s17
.LBB353_330:                            ;   in Loop: Header=BB353_15 Depth=1
	s_delay_alu instid0(SALU_CYCLE_1) | instskip(NEXT) | instid1(SALU_CYCLE_1)
	s_or_b32 exec_lo, exec_lo, s16
	s_mov_b32 s16, exec_lo
	v_cmpx_lt_u64_e64 s[8:9], v[0:1]
	s_cbranch_execz .LBB353_338
; %bb.331:                              ;   in Loop: Header=BB353_15 Depth=1
	v_lshrrev_b32_e32 v2, 24, v1
	v_bfrev_b32_e32 v35, 1
	s_mov_b32 s17, exec_lo
	s_delay_alu instid0(VALU_DEP_2)
	v_cmpx_ne_u32_e32 0x80, v2
	s_cbranch_execz .LBB353_337
; %bb.332:                              ;   in Loop: Header=BB353_15 Depth=1
	v_bfe_u32 v0, v1, 24, 7
	v_mov_b32_e32 v35, 0x7f800001
	s_mov_b32 s18, exec_lo
	s_delay_alu instid0(VALU_DEP_2)
	v_cmpx_ne_u32_e32 0x7f, v0
	s_cbranch_execz .LBB353_336
; %bb.333:                              ;   in Loop: Header=BB353_15 Depth=1
	v_dual_lshrrev_b32 v3, 3, v0 :: v_dual_bitop2_b32 v52, 7, v2 bitop3:0x40
	v_cmp_gt_u32_e64 s1, 8, v0
	s_delay_alu instid0(VALU_DEP_2)
	v_mov_b64_e32 v[0:1], v[52:53]
	s_and_saveexec_b32 s19, s1
; %bb.334:                              ;   in Loop: Header=BB353_15 Depth=1
	v_clz_i32_u32_e32 v0, v52
	s_delay_alu instid0(VALU_DEP_1) | instskip(NEXT) | instid1(VALU_DEP_1)
	v_min_u32_e32 v3, 32, v0
	v_subrev_nc_u32_e32 v0, 28, v3
	s_delay_alu instid0(VALU_DEP_1) | instskip(NEXT) | instid1(VALU_DEP_1)
	v_lshlrev_b64_e32 v[0:1], v0, v[52:53]
	v_dual_sub_nc_u32 v3, 29, v3 :: v_dual_bitop2_b32 v0, 7, v0 bitop3:0x40
; %bb.335:                              ;   in Loop: Header=BB353_15 Depth=1
	s_or_b32 exec_lo, exec_lo, s19
	s_delay_alu instid0(VALU_DEP_1) | instskip(NEXT) | instid1(VALU_DEP_2)
	v_dual_lshlrev_b32 v1, 24, v2 :: v_dual_lshlrev_b32 v0, 20, v0
	v_lshl_add_u32 v2, v3, 23, 0x3c000000
	s_delay_alu instid0(VALU_DEP_2) | instskip(NEXT) | instid1(VALU_DEP_1)
	v_and_b32_e32 v1, 0x80000000, v1
	v_or3_b32 v35, v0, v1, v2
.LBB353_336:                            ;   in Loop: Header=BB353_15 Depth=1
	s_or_b32 exec_lo, exec_lo, s18
.LBB353_337:                            ;   in Loop: Header=BB353_15 Depth=1
	s_delay_alu instid0(SALU_CYCLE_1)
	s_or_b32 exec_lo, exec_lo, s17
.LBB353_338:                            ;   in Loop: Header=BB353_15 Depth=1
	s_delay_alu instid0(SALU_CYCLE_1)
	s_or_b32 exec_lo, exec_lo, s16
	flat_load_b64 v[0:1], v[112:113] offset:1032
	v_dual_mov_b32 v82, 0 :: v_dual_mov_b32 v71, 0
	s_mov_b32 s16, exec_lo
	s_wait_loadcnt_dscnt 0x0
	v_and_b32_e32 v2, 0xff, v0
	s_wait_xcnt 0x0
	s_delay_alu instid0(VALU_DEP_1)
	v_cmpx_ne_u16_e32 0, v2
	s_cbranch_execz .LBB353_346
; %bb.339:                              ;   in Loop: Header=BB353_15 Depth=1
	v_bfrev_b32_e32 v71, 1
	s_mov_b32 s17, exec_lo
	v_cmpx_ne_u16_e32 0x80, v2
	s_cbranch_execz .LBB353_345
; %bb.340:                              ;   in Loop: Header=BB353_15 Depth=1
	v_and_b32_e32 v2, 0x7f, v0
	v_mov_b32_e32 v71, 0x7f800001
	s_mov_b32 s18, exec_lo
	s_delay_alu instid0(VALU_DEP_2)
	v_cmpx_ne_u32_e32 0x7f, v2
	s_cbranch_execz .LBB353_344
; %bb.341:                              ;   in Loop: Header=BB353_15 Depth=1
	v_lshrrev_b32_e32 v4, 3, v2
	v_cmp_gt_u32_e64 s1, 8, v2
	v_mov_b64_e32 v[2:3], v[0:1]
	s_and_saveexec_b32 s19, s1
; %bb.342:                              ;   in Loop: Header=BB353_15 Depth=1
	v_and_b32_e32 v2, 7, v0
	s_delay_alu instid0(VALU_DEP_1) | instskip(NEXT) | instid1(VALU_DEP_1)
	v_clz_i32_u32_e32 v2, v2
	v_min_u32_e32 v4, 32, v2
	s_delay_alu instid0(VALU_DEP_1) | instskip(SKIP_1) | instid1(VALU_DEP_2)
	v_subrev_nc_u32_e32 v2, 28, v4
	v_sub_nc_u32_e32 v4, 29, v4
	v_lshlrev_b64_e32 v[2:3], v2, v[0:1]
; %bb.343:                              ;   in Loop: Header=BB353_15 Depth=1
	s_or_b32 exec_lo, exec_lo, s19
	s_delay_alu instid0(VALU_DEP_1) | instskip(NEXT) | instid1(VALU_DEP_3)
	v_dual_lshlrev_b32 v2, 20, v2 :: v_dual_lshlrev_b32 v3, 24, v0
	v_lshl_add_u32 v4, v4, 23, 0x3c000000
	s_delay_alu instid0(VALU_DEP_2) | instskip(NEXT) | instid1(VALU_DEP_3)
	v_and_b32_e32 v2, 0x700000, v2
	v_and_b32_e32 v3, 0x80000000, v3
	s_delay_alu instid0(VALU_DEP_1)
	v_or3_b32 v71, v2, v3, v4
.LBB353_344:                            ;   in Loop: Header=BB353_15 Depth=1
	s_or_b32 exec_lo, exec_lo, s18
.LBB353_345:                            ;   in Loop: Header=BB353_15 Depth=1
	s_delay_alu instid0(SALU_CYCLE_1)
	s_or_b32 exec_lo, exec_lo, s17
.LBB353_346:                            ;   in Loop: Header=BB353_15 Depth=1
	s_delay_alu instid0(SALU_CYCLE_1) | instskip(SKIP_2) | instid1(VALU_DEP_1)
	s_or_b32 exec_lo, exec_lo, s16
	v_lshrrev_b16 v2, 8, v0
	s_mov_b32 s16, exec_lo
	v_cmpx_ne_u16_e32 0, v2
	s_cbranch_execz .LBB353_354
; %bb.347:                              ;   in Loop: Header=BB353_15 Depth=1
	v_bfrev_b32_e32 v82, 1
	s_mov_b32 s17, exec_lo
	v_cmpx_ne_u16_e32 0x80, v2
	s_cbranch_execz .LBB353_353
; %bb.348:                              ;   in Loop: Header=BB353_15 Depth=1
	v_and_b32_e32 v3, 0xffff, v2
	v_mov_b32_e32 v82, 0x7f800001
	s_mov_b32 s18, exec_lo
	s_delay_alu instid0(VALU_DEP_2) | instskip(NEXT) | instid1(VALU_DEP_1)
	v_and_b32_e32 v2, 0x7f, v3
	v_cmpx_ne_u32_e32 0x7f, v2
	s_cbranch_execz .LBB353_352
; %bb.349:                              ;   in Loop: Header=BB353_15 Depth=1
	v_dual_lshrrev_b32 v4, 3, v2 :: v_dual_bitop2_b32 v52, 7, v3 bitop3:0x40
	v_cmp_gt_u32_e64 s1, 8, v2
	s_delay_alu instid0(VALU_DEP_2)
	v_mov_b64_e32 v[2:3], v[52:53]
	s_and_saveexec_b32 s19, s1
; %bb.350:                              ;   in Loop: Header=BB353_15 Depth=1
	v_clz_i32_u32_e32 v2, v52
	s_delay_alu instid0(VALU_DEP_1) | instskip(NEXT) | instid1(VALU_DEP_1)
	v_min_u32_e32 v4, 32, v2
	v_subrev_nc_u32_e32 v2, 28, v4
	s_delay_alu instid0(VALU_DEP_1) | instskip(NEXT) | instid1(VALU_DEP_1)
	v_lshlrev_b64_e32 v[2:3], v2, v[52:53]
	v_dual_sub_nc_u32 v4, 29, v4 :: v_dual_bitop2_b32 v2, 7, v2 bitop3:0x40
; %bb.351:                              ;   in Loop: Header=BB353_15 Depth=1
	s_or_b32 exec_lo, exec_lo, s19
	s_delay_alu instid0(VALU_DEP_1) | instskip(NEXT) | instid1(VALU_DEP_2)
	v_dual_lshlrev_b32 v3, 16, v0 :: v_dual_lshlrev_b32 v2, 20, v2
	v_lshl_add_u32 v4, v4, 23, 0x3c000000
	s_delay_alu instid0(VALU_DEP_2) | instskip(NEXT) | instid1(VALU_DEP_1)
	v_and_b32_e32 v3, 0x80000000, v3
	v_or3_b32 v82, v2, v3, v4
.LBB353_352:                            ;   in Loop: Header=BB353_15 Depth=1
	s_or_b32 exec_lo, exec_lo, s18
.LBB353_353:                            ;   in Loop: Header=BB353_15 Depth=1
	s_delay_alu instid0(SALU_CYCLE_1)
	s_or_b32 exec_lo, exec_lo, s17
.LBB353_354:                            ;   in Loop: Header=BB353_15 Depth=1
	s_delay_alu instid0(SALU_CYCLE_1) | instskip(SKIP_3) | instid1(VALU_DEP_2)
	s_or_b32 exec_lo, exec_lo, s16
	v_dual_mov_b32 v3, 0 :: v_dual_lshrrev_b32 v4, 16, v0
	v_mov_b32_e32 v49, 0
	s_mov_b32 s16, exec_lo
	v_and_b32_e32 v2, 0xff, v4
	scratch_store_b32 off, v3, s32 offset:236 ; 4-byte Folded Spill
	s_wait_xcnt 0x0
	v_cmpx_ne_u16_e32 0, v2
	s_cbranch_execz .LBB353_362
; %bb.355:                              ;   in Loop: Header=BB353_15 Depth=1
	v_bfrev_b32_e32 v49, 1
	s_mov_b32 s17, exec_lo
	v_cmpx_ne_u16_e32 0x80, v2
	s_cbranch_execz .LBB353_361
; %bb.356:                              ;   in Loop: Header=BB353_15 Depth=1
	v_bfe_u32 v2, v0, 16, 7
	v_mov_b32_e32 v49, 0x7f800001
	s_mov_b32 s18, exec_lo
	s_delay_alu instid0(VALU_DEP_2)
	v_cmpx_ne_u32_e32 0x7f, v2
	s_cbranch_execz .LBB353_360
; %bb.357:                              ;   in Loop: Header=BB353_15 Depth=1
	v_dual_lshrrev_b32 v5, 3, v2 :: v_dual_bitop2_b32 v52, 7, v4 bitop3:0x40
	v_cmp_gt_u32_e64 s1, 8, v2
	s_delay_alu instid0(VALU_DEP_2)
	v_mov_b64_e32 v[2:3], v[52:53]
	s_and_saveexec_b32 s19, s1
; %bb.358:                              ;   in Loop: Header=BB353_15 Depth=1
	v_clz_i32_u32_e32 v2, v52
	s_delay_alu instid0(VALU_DEP_1) | instskip(NEXT) | instid1(VALU_DEP_1)
	v_min_u32_e32 v5, 32, v2
	v_subrev_nc_u32_e32 v2, 28, v5
	s_delay_alu instid0(VALU_DEP_1) | instskip(NEXT) | instid1(VALU_DEP_1)
	v_lshlrev_b64_e32 v[2:3], v2, v[52:53]
	v_dual_sub_nc_u32 v5, 29, v5 :: v_dual_bitop2_b32 v2, 7, v2 bitop3:0x40
; %bb.359:                              ;   in Loop: Header=BB353_15 Depth=1
	s_or_b32 exec_lo, exec_lo, s19
	s_delay_alu instid0(VALU_DEP_1) | instskip(NEXT) | instid1(VALU_DEP_2)
	v_dual_lshlrev_b32 v3, 24, v4 :: v_dual_lshlrev_b32 v2, 20, v2
	v_lshl_add_u32 v4, v5, 23, 0x3c000000
	s_delay_alu instid0(VALU_DEP_2) | instskip(NEXT) | instid1(VALU_DEP_1)
	v_and_b32_e32 v3, 0x80000000, v3
	v_or3_b32 v49, v2, v3, v4
.LBB353_360:                            ;   in Loop: Header=BB353_15 Depth=1
	s_or_b32 exec_lo, exec_lo, s18
.LBB353_361:                            ;   in Loop: Header=BB353_15 Depth=1
	s_delay_alu instid0(SALU_CYCLE_1)
	s_or_b32 exec_lo, exec_lo, s17
.LBB353_362:                            ;   in Loop: Header=BB353_15 Depth=1
	s_delay_alu instid0(SALU_CYCLE_1) | instskip(NEXT) | instid1(SALU_CYCLE_1)
	s_or_b32 exec_lo, exec_lo, s16
	s_mov_b32 s16, exec_lo
	v_cmpx_lt_u32_e32 0xffffff, v0
	s_cbranch_execz .LBB353_370
; %bb.363:                              ;   in Loop: Header=BB353_15 Depth=1
	v_lshrrev_b32_e32 v4, 24, v0
	v_bfrev_b32_e32 v2, 1
	s_mov_b32 s17, exec_lo
	scratch_store_b32 off, v2, s32 offset:236 ; 4-byte Folded Spill
	s_wait_xcnt 0x0
	v_cmpx_ne_u32_e32 0x80, v4
	s_cbranch_execz .LBB353_369
; %bb.364:                              ;   in Loop: Header=BB353_15 Depth=1
	v_bfe_u32 v2, v0, 24, 7
	v_mov_b32_e32 v3, 0x7f800001
	s_mov_b32 s18, exec_lo
	scratch_store_b32 off, v3, s32 offset:236 ; 4-byte Folded Spill
	s_wait_xcnt 0x0
	v_cmpx_ne_u32_e32 0x7f, v2
	s_cbranch_execz .LBB353_368
; %bb.365:                              ;   in Loop: Header=BB353_15 Depth=1
	v_dual_lshrrev_b32 v5, 3, v2 :: v_dual_bitop2_b32 v52, 7, v4 bitop3:0x40
	v_cmp_gt_u32_e64 s1, 8, v2
	s_delay_alu instid0(VALU_DEP_2)
	v_mov_b64_e32 v[2:3], v[52:53]
	s_and_saveexec_b32 s19, s1
; %bb.366:                              ;   in Loop: Header=BB353_15 Depth=1
	v_clz_i32_u32_e32 v2, v52
	s_delay_alu instid0(VALU_DEP_1) | instskip(NEXT) | instid1(VALU_DEP_1)
	v_min_u32_e32 v5, 32, v2
	v_subrev_nc_u32_e32 v2, 28, v5
	s_delay_alu instid0(VALU_DEP_1) | instskip(NEXT) | instid1(VALU_DEP_1)
	v_lshlrev_b64_e32 v[2:3], v2, v[52:53]
	v_dual_sub_nc_u32 v5, 29, v5 :: v_dual_bitop2_b32 v2, 7, v2 bitop3:0x40
; %bb.367:                              ;   in Loop: Header=BB353_15 Depth=1
	s_or_b32 exec_lo, exec_lo, s19
	s_delay_alu instid0(VALU_DEP_1) | instskip(NEXT) | instid1(VALU_DEP_2)
	v_dual_lshlrev_b32 v3, 24, v4 :: v_dual_lshlrev_b32 v2, 20, v2
	v_lshl_add_u32 v4, v5, 23, 0x3c000000
	s_delay_alu instid0(VALU_DEP_2) | instskip(NEXT) | instid1(VALU_DEP_1)
	v_and_b32_e32 v3, 0x80000000, v3
	v_or3_b32 v2, v2, v3, v4
	scratch_store_b32 off, v2, s32 offset:236 ; 4-byte Folded Spill
.LBB353_368:                            ;   in Loop: Header=BB353_15 Depth=1
	s_wait_xcnt 0x0
	s_or_b32 exec_lo, exec_lo, s18
.LBB353_369:                            ;   in Loop: Header=BB353_15 Depth=1
	s_delay_alu instid0(SALU_CYCLE_1)
	s_or_b32 exec_lo, exec_lo, s17
.LBB353_370:                            ;   in Loop: Header=BB353_15 Depth=1
	s_delay_alu instid0(SALU_CYCLE_1)
	s_or_b32 exec_lo, exec_lo, s16
	v_dual_mov_b32 v52, v1 :: v_dual_mov_b32 v3, 0
	v_and_b32_e32 v2, 0xff, v1
	s_mov_b32 s16, exec_lo
	scratch_store_b32 off, v3, s32 offset:244 ; 4-byte Folded Spill
	s_wait_xcnt 0x0
	v_mov_b32_e32 v3, 0
	scratch_store_b32 off, v3, s32 offset:240 ; 4-byte Folded Spill
	s_wait_xcnt 0x0
	v_cmpx_ne_u16_e32 0, v2
	s_cbranch_execz .LBB353_378
; %bb.371:                              ;   in Loop: Header=BB353_15 Depth=1
	v_cmp_ne_u16_e64 s1, 0x80, v2
	v_bfrev_b32_e32 v2, 1
	scratch_store_b32 off, v2, s32 offset:240 ; 4-byte Folded Spill
	s_wait_xcnt 0x0
	s_and_saveexec_b32 s17, s1
	s_cbranch_execz .LBB353_377
; %bb.372:                              ;   in Loop: Header=BB353_15 Depth=1
	v_and_b32_e32 v2, 0x7f, v1
	v_mov_b32_e32 v3, 0x7f800001
	s_mov_b32 s18, exec_lo
	scratch_store_b32 off, v3, s32 offset:240 ; 4-byte Folded Spill
	s_wait_xcnt 0x0
	v_cmpx_ne_u32_e32 0x7f, v2
	s_cbranch_execz .LBB353_376
; %bb.373:                              ;   in Loop: Header=BB353_15 Depth=1
	v_lshrrev_b32_e32 v4, 3, v2
	v_cmp_gt_u32_e64 s1, 8, v2
	v_mov_b64_e32 v[2:3], v[52:53]
	s_and_saveexec_b32 s19, s1
; %bb.374:                              ;   in Loop: Header=BB353_15 Depth=1
	v_and_b32_e32 v2, 7, v1
	s_delay_alu instid0(VALU_DEP_1) | instskip(NEXT) | instid1(VALU_DEP_1)
	v_clz_i32_u32_e32 v2, v2
	v_min_u32_e32 v4, 32, v2
	s_delay_alu instid0(VALU_DEP_1) | instskip(SKIP_1) | instid1(VALU_DEP_2)
	v_subrev_nc_u32_e32 v2, 28, v4
	v_sub_nc_u32_e32 v4, 29, v4
	v_lshlrev_b64_e32 v[2:3], v2, v[52:53]
; %bb.375:                              ;   in Loop: Header=BB353_15 Depth=1
	s_or_b32 exec_lo, exec_lo, s19
	s_delay_alu instid0(VALU_DEP_1) | instskip(NEXT) | instid1(VALU_DEP_3)
	v_dual_lshlrev_b32 v2, 20, v2 :: v_dual_lshlrev_b32 v3, 24, v52
	v_lshl_add_u32 v4, v4, 23, 0x3c000000
	s_delay_alu instid0(VALU_DEP_2) | instskip(NEXT) | instid1(VALU_DEP_3)
	v_and_b32_e32 v2, 0x700000, v2
	v_and_b32_e32 v3, 0x80000000, v3
	s_delay_alu instid0(VALU_DEP_1)
	v_or3_b32 v2, v2, v3, v4
	scratch_store_b32 off, v2, s32 offset:240 ; 4-byte Folded Spill
.LBB353_376:                            ;   in Loop: Header=BB353_15 Depth=1
	s_wait_xcnt 0x0
	s_or_b32 exec_lo, exec_lo, s18
.LBB353_377:                            ;   in Loop: Header=BB353_15 Depth=1
	s_delay_alu instid0(SALU_CYCLE_1)
	s_or_b32 exec_lo, exec_lo, s17
.LBB353_378:                            ;   in Loop: Header=BB353_15 Depth=1
	s_delay_alu instid0(SALU_CYCLE_1) | instskip(SKIP_2) | instid1(VALU_DEP_1)
	s_or_b32 exec_lo, exec_lo, s16
	v_lshrrev_b16 v2, 8, v52
	s_mov_b32 s16, exec_lo
	v_cmpx_ne_u16_e32 0, v2
	s_cbranch_execz .LBB353_386
; %bb.379:                              ;   in Loop: Header=BB353_15 Depth=1
	v_bfrev_b32_e32 v3, 1
	s_mov_b32 s17, exec_lo
	scratch_store_b32 off, v3, s32 offset:244 ; 4-byte Folded Spill
	s_wait_xcnt 0x0
	v_cmpx_ne_u16_e32 0x80, v2
	s_cbranch_execz .LBB353_385
; %bb.380:                              ;   in Loop: Header=BB353_15 Depth=1
	v_and_b32_e32 v2, 0xffff, v2
	v_mov_b32_e32 v3, 0x7f800001
	s_mov_b32 s18, exec_lo
	s_delay_alu instid0(VALU_DEP_2)
	v_and_b32_e32 v5, 0x7f, v2
	scratch_store_b32 off, v3, s32 offset:244 ; 4-byte Folded Spill
	s_wait_xcnt 0x0
	v_cmpx_ne_u32_e32 0x7f, v5
	s_cbranch_execz .LBB353_384
; %bb.381:                              ;   in Loop: Header=BB353_15 Depth=1
	v_dual_mov_b32 v3, v53 :: v_dual_bitop2_b32 v2, 7, v2 bitop3:0x40
	v_lshrrev_b32_e32 v4, 3, v5
	s_mov_b32 s19, exec_lo
	v_cmpx_gt_u32_e32 8, v5
; %bb.382:                              ;   in Loop: Header=BB353_15 Depth=1
	s_delay_alu instid0(VALU_DEP_3) | instskip(NEXT) | instid1(VALU_DEP_1)
	v_clz_i32_u32_e32 v4, v2
	v_min_u32_e32 v4, 32, v4
	s_delay_alu instid0(VALU_DEP_1) | instskip(NEXT) | instid1(VALU_DEP_1)
	v_subrev_nc_u32_e32 v5, 28, v4
	v_lshlrev_b64_e32 v[2:3], v5, v[2:3]
	s_delay_alu instid0(VALU_DEP_1)
	v_dual_sub_nc_u32 v4, 29, v4 :: v_dual_bitop2_b32 v2, 7, v2 bitop3:0x40
; %bb.383:                              ;   in Loop: Header=BB353_15 Depth=1
	s_or_b32 exec_lo, exec_lo, s19
	s_delay_alu instid0(VALU_DEP_1) | instskip(NEXT) | instid1(VALU_DEP_2)
	v_dual_lshlrev_b32 v3, 16, v52 :: v_dual_lshlrev_b32 v2, 20, v2
	v_lshl_add_u32 v4, v4, 23, 0x3c000000
	s_delay_alu instid0(VALU_DEP_2) | instskip(NEXT) | instid1(VALU_DEP_1)
	v_and_b32_e32 v3, 0x80000000, v3
	v_or3_b32 v2, v2, v3, v4
	scratch_store_b32 off, v2, s32 offset:244 ; 4-byte Folded Spill
.LBB353_384:                            ;   in Loop: Header=BB353_15 Depth=1
	s_wait_xcnt 0x0
	s_or_b32 exec_lo, exec_lo, s18
.LBB353_385:                            ;   in Loop: Header=BB353_15 Depth=1
	s_delay_alu instid0(SALU_CYCLE_1)
	s_or_b32 exec_lo, exec_lo, s17
.LBB353_386:                            ;   in Loop: Header=BB353_15 Depth=1
	s_delay_alu instid0(SALU_CYCLE_1) | instskip(SKIP_2) | instid1(VALU_DEP_1)
	s_or_b32 exec_lo, exec_lo, s16
	v_dual_mov_b32 v3, 0 :: v_dual_lshrrev_b32 v4, 16, v1
	s_mov_b32 s16, exec_lo
	v_and_b32_e32 v2, 0xff, v4
	scratch_store_b32 off, v3, s32 offset:276 ; 4-byte Folded Spill
	s_wait_xcnt 0x0
	v_mov_b32_e32 v3, 0
	scratch_store_b32 off, v3, s32 offset:248 ; 4-byte Folded Spill
	s_wait_xcnt 0x0
	v_cmpx_ne_u16_e32 0, v2
	s_cbranch_execz .LBB353_394
; %bb.387:                              ;   in Loop: Header=BB353_15 Depth=1
	v_cmp_ne_u16_e64 s1, 0x80, v2
	v_bfrev_b32_e32 v2, 1
	scratch_store_b32 off, v2, s32 offset:248 ; 4-byte Folded Spill
	s_wait_xcnt 0x0
	s_and_saveexec_b32 s17, s1
	s_cbranch_execz .LBB353_393
; %bb.388:                              ;   in Loop: Header=BB353_15 Depth=1
	v_bfe_u32 v2, v1, 16, 7
	v_mov_b32_e32 v3, 0x7f800001
	s_mov_b32 s18, exec_lo
	scratch_store_b32 off, v3, s32 offset:248 ; 4-byte Folded Spill
	s_wait_xcnt 0x0
	v_cmpx_ne_u32_e32 0x7f, v2
	s_cbranch_execz .LBB353_392
; %bb.389:                              ;   in Loop: Header=BB353_15 Depth=1
	v_dual_lshrrev_b32 v5, 3, v2 :: v_dual_bitop2_b32 v52, 7, v4 bitop3:0x40
	v_cmp_gt_u32_e64 s1, 8, v2
	s_delay_alu instid0(VALU_DEP_2)
	v_mov_b64_e32 v[2:3], v[52:53]
	s_and_saveexec_b32 s19, s1
; %bb.390:                              ;   in Loop: Header=BB353_15 Depth=1
	v_clz_i32_u32_e32 v2, v52
	s_delay_alu instid0(VALU_DEP_1) | instskip(NEXT) | instid1(VALU_DEP_1)
	v_min_u32_e32 v5, 32, v2
	v_subrev_nc_u32_e32 v2, 28, v5
	s_delay_alu instid0(VALU_DEP_1) | instskip(NEXT) | instid1(VALU_DEP_1)
	v_lshlrev_b64_e32 v[2:3], v2, v[52:53]
	v_dual_sub_nc_u32 v5, 29, v5 :: v_dual_bitop2_b32 v2, 7, v2 bitop3:0x40
; %bb.391:                              ;   in Loop: Header=BB353_15 Depth=1
	s_or_b32 exec_lo, exec_lo, s19
	s_delay_alu instid0(VALU_DEP_1) | instskip(NEXT) | instid1(VALU_DEP_2)
	v_dual_lshlrev_b32 v3, 24, v4 :: v_dual_lshlrev_b32 v2, 20, v2
	v_lshl_add_u32 v4, v5, 23, 0x3c000000
	s_delay_alu instid0(VALU_DEP_2) | instskip(NEXT) | instid1(VALU_DEP_1)
	v_and_b32_e32 v3, 0x80000000, v3
	v_or3_b32 v2, v2, v3, v4
	scratch_store_b32 off, v2, s32 offset:248 ; 4-byte Folded Spill
.LBB353_392:                            ;   in Loop: Header=BB353_15 Depth=1
	s_wait_xcnt 0x0
	s_or_b32 exec_lo, exec_lo, s18
.LBB353_393:                            ;   in Loop: Header=BB353_15 Depth=1
	s_delay_alu instid0(SALU_CYCLE_1)
	s_or_b32 exec_lo, exec_lo, s17
.LBB353_394:                            ;   in Loop: Header=BB353_15 Depth=1
	s_delay_alu instid0(SALU_CYCLE_1) | instskip(NEXT) | instid1(SALU_CYCLE_1)
	s_or_b32 exec_lo, exec_lo, s16
	s_mov_b32 s16, exec_lo
	v_cmpx_lt_u64_e64 s[8:9], v[0:1]
	s_cbranch_execz .LBB353_402
; %bb.395:                              ;   in Loop: Header=BB353_15 Depth=1
	v_lshrrev_b32_e32 v2, 24, v1
	v_bfrev_b32_e32 v0, 1
	s_mov_b32 s17, exec_lo
	scratch_store_b32 off, v0, s32 offset:276 ; 4-byte Folded Spill
	s_wait_xcnt 0x0
	v_cmpx_ne_u32_e32 0x80, v2
	s_cbranch_execz .LBB353_401
; %bb.396:                              ;   in Loop: Header=BB353_15 Depth=1
	v_bfe_u32 v0, v1, 24, 7
	v_mov_b32_e32 v1, 0x7f800001
	s_mov_b32 s18, exec_lo
	s_delay_alu instid0(VALU_DEP_2)
	v_cmpx_ne_u32_e32 0x7f, v0
	s_cbranch_execz .LBB353_400
; %bb.397:                              ;   in Loop: Header=BB353_15 Depth=1
	v_dual_lshrrev_b32 v3, 3, v0 :: v_dual_bitop2_b32 v52, 7, v2 bitop3:0x40
	v_cmp_gt_u32_e64 s1, 8, v0
	s_delay_alu instid0(VALU_DEP_2)
	v_mov_b64_e32 v[0:1], v[52:53]
	s_and_saveexec_b32 s19, s1
; %bb.398:                              ;   in Loop: Header=BB353_15 Depth=1
	v_clz_i32_u32_e32 v0, v52
	s_delay_alu instid0(VALU_DEP_1) | instskip(NEXT) | instid1(VALU_DEP_1)
	v_min_u32_e32 v3, 32, v0
	v_subrev_nc_u32_e32 v0, 28, v3
	s_delay_alu instid0(VALU_DEP_1) | instskip(NEXT) | instid1(VALU_DEP_1)
	v_lshlrev_b64_e32 v[0:1], v0, v[52:53]
	v_dual_sub_nc_u32 v3, 29, v3 :: v_dual_bitop2_b32 v0, 7, v0 bitop3:0x40
; %bb.399:                              ;   in Loop: Header=BB353_15 Depth=1
	s_or_b32 exec_lo, exec_lo, s19
	s_delay_alu instid0(VALU_DEP_1) | instskip(NEXT) | instid1(VALU_DEP_2)
	v_dual_lshlrev_b32 v1, 24, v2 :: v_dual_lshlrev_b32 v0, 20, v0
	v_lshl_add_u32 v2, v3, 23, 0x3c000000
	s_delay_alu instid0(VALU_DEP_2) | instskip(NEXT) | instid1(VALU_DEP_1)
	v_and_b32_e32 v1, 0x80000000, v1
	v_or3_b32 v1, v0, v1, v2
.LBB353_400:                            ;   in Loop: Header=BB353_15 Depth=1
	s_or_b32 exec_lo, exec_lo, s18
	scratch_store_b32 off, v1, s32 offset:276 ; 4-byte Folded Spill
.LBB353_401:                            ;   in Loop: Header=BB353_15 Depth=1
	s_wait_xcnt 0x0
	s_or_b32 exec_lo, exec_lo, s17
.LBB353_402:                            ;   in Loop: Header=BB353_15 Depth=1
	s_delay_alu instid0(SALU_CYCLE_1)
	s_or_b32 exec_lo, exec_lo, s16
	flat_load_b64 v[0:1], v[112:113] offset:1536
	v_mov_b32_e32 v3, 0
	s_mov_b32 s16, exec_lo
	scratch_store_b32 off, v3, s32 offset:256 ; 4-byte Folded Spill
	s_wait_xcnt 0x0
	v_mov_b32_e32 v3, 0
	scratch_store_b32 off, v3, s32 offset:252 ; 4-byte Folded Spill
	s_wait_loadcnt_dscnt 0x0
	v_and_b32_e32 v2, 0xff, v0
	s_wait_xcnt 0x0
	s_delay_alu instid0(VALU_DEP_1)
	v_cmpx_ne_u16_e32 0, v2
	s_cbranch_execz .LBB353_410
; %bb.403:                              ;   in Loop: Header=BB353_15 Depth=1
	v_cmp_ne_u16_e64 s1, 0x80, v2
	v_bfrev_b32_e32 v2, 1
	scratch_store_b32 off, v2, s32 offset:252 ; 4-byte Folded Spill
	s_wait_xcnt 0x0
	s_and_saveexec_b32 s17, s1
	s_cbranch_execz .LBB353_409
; %bb.404:                              ;   in Loop: Header=BB353_15 Depth=1
	v_and_b32_e32 v2, 0x7f, v0
	v_mov_b32_e32 v3, 0x7f800001
	s_mov_b32 s18, exec_lo
	scratch_store_b32 off, v3, s32 offset:252 ; 4-byte Folded Spill
	s_wait_xcnt 0x0
	v_cmpx_ne_u32_e32 0x7f, v2
	s_cbranch_execz .LBB353_408
; %bb.405:                              ;   in Loop: Header=BB353_15 Depth=1
	v_lshrrev_b32_e32 v4, 3, v2
	v_cmp_gt_u32_e64 s1, 8, v2
	v_mov_b64_e32 v[2:3], v[0:1]
	s_and_saveexec_b32 s19, s1
; %bb.406:                              ;   in Loop: Header=BB353_15 Depth=1
	v_and_b32_e32 v2, 7, v0
	s_delay_alu instid0(VALU_DEP_1) | instskip(NEXT) | instid1(VALU_DEP_1)
	v_clz_i32_u32_e32 v2, v2
	v_min_u32_e32 v4, 32, v2
	s_delay_alu instid0(VALU_DEP_1) | instskip(SKIP_1) | instid1(VALU_DEP_2)
	v_subrev_nc_u32_e32 v2, 28, v4
	v_sub_nc_u32_e32 v4, 29, v4
	v_lshlrev_b64_e32 v[2:3], v2, v[0:1]
; %bb.407:                              ;   in Loop: Header=BB353_15 Depth=1
	s_or_b32 exec_lo, exec_lo, s19
	s_delay_alu instid0(VALU_DEP_1) | instskip(NEXT) | instid1(VALU_DEP_3)
	v_dual_lshlrev_b32 v2, 20, v2 :: v_dual_lshlrev_b32 v3, 24, v0
	v_lshl_add_u32 v4, v4, 23, 0x3c000000
	s_delay_alu instid0(VALU_DEP_2) | instskip(NEXT) | instid1(VALU_DEP_3)
	v_and_b32_e32 v2, 0x700000, v2
	v_and_b32_e32 v3, 0x80000000, v3
	s_delay_alu instid0(VALU_DEP_1)
	v_or3_b32 v2, v2, v3, v4
	scratch_store_b32 off, v2, s32 offset:252 ; 4-byte Folded Spill
.LBB353_408:                            ;   in Loop: Header=BB353_15 Depth=1
	s_wait_xcnt 0x0
	s_or_b32 exec_lo, exec_lo, s18
.LBB353_409:                            ;   in Loop: Header=BB353_15 Depth=1
	s_delay_alu instid0(SALU_CYCLE_1)
	s_or_b32 exec_lo, exec_lo, s17
.LBB353_410:                            ;   in Loop: Header=BB353_15 Depth=1
	s_delay_alu instid0(SALU_CYCLE_1) | instskip(SKIP_2) | instid1(VALU_DEP_1)
	s_or_b32 exec_lo, exec_lo, s16
	v_lshrrev_b16 v2, 8, v0
	s_mov_b32 s16, exec_lo
	v_cmpx_ne_u16_e32 0, v2
	s_cbranch_execz .LBB353_418
; %bb.411:                              ;   in Loop: Header=BB353_15 Depth=1
	v_bfrev_b32_e32 v3, 1
	s_mov_b32 s17, exec_lo
	scratch_store_b32 off, v3, s32 offset:256 ; 4-byte Folded Spill
	s_wait_xcnt 0x0
	v_cmpx_ne_u16_e32 0x80, v2
	s_cbranch_execz .LBB353_417
; %bb.412:                              ;   in Loop: Header=BB353_15 Depth=1
	v_and_b32_e32 v3, 0xffff, v2
	v_mov_b32_e32 v4, 0x7f800001
	s_mov_b32 s18, exec_lo
	s_delay_alu instid0(VALU_DEP_2)
	v_and_b32_e32 v2, 0x7f, v3
	scratch_store_b32 off, v4, s32 offset:256 ; 4-byte Folded Spill
	s_wait_xcnt 0x0
	v_cmpx_ne_u32_e32 0x7f, v2
	s_cbranch_execz .LBB353_416
; %bb.413:                              ;   in Loop: Header=BB353_15 Depth=1
	v_dual_lshrrev_b32 v4, 3, v2 :: v_dual_bitop2_b32 v52, 7, v3 bitop3:0x40
	v_cmp_gt_u32_e64 s1, 8, v2
	s_delay_alu instid0(VALU_DEP_2)
	v_mov_b64_e32 v[2:3], v[52:53]
	s_and_saveexec_b32 s19, s1
; %bb.414:                              ;   in Loop: Header=BB353_15 Depth=1
	v_clz_i32_u32_e32 v2, v52
	s_delay_alu instid0(VALU_DEP_1) | instskip(NEXT) | instid1(VALU_DEP_1)
	v_min_u32_e32 v4, 32, v2
	v_subrev_nc_u32_e32 v2, 28, v4
	s_delay_alu instid0(VALU_DEP_1) | instskip(NEXT) | instid1(VALU_DEP_1)
	v_lshlrev_b64_e32 v[2:3], v2, v[52:53]
	v_dual_sub_nc_u32 v4, 29, v4 :: v_dual_bitop2_b32 v2, 7, v2 bitop3:0x40
; %bb.415:                              ;   in Loop: Header=BB353_15 Depth=1
	s_or_b32 exec_lo, exec_lo, s19
	s_delay_alu instid0(VALU_DEP_1) | instskip(NEXT) | instid1(VALU_DEP_2)
	v_dual_lshlrev_b32 v3, 16, v0 :: v_dual_lshlrev_b32 v2, 20, v2
	v_lshl_add_u32 v4, v4, 23, 0x3c000000
	s_delay_alu instid0(VALU_DEP_2) | instskip(NEXT) | instid1(VALU_DEP_1)
	v_and_b32_e32 v3, 0x80000000, v3
	v_or3_b32 v2, v2, v3, v4
	scratch_store_b32 off, v2, s32 offset:256 ; 4-byte Folded Spill
.LBB353_416:                            ;   in Loop: Header=BB353_15 Depth=1
	s_wait_xcnt 0x0
	s_or_b32 exec_lo, exec_lo, s18
.LBB353_417:                            ;   in Loop: Header=BB353_15 Depth=1
	s_delay_alu instid0(SALU_CYCLE_1)
	s_or_b32 exec_lo, exec_lo, s17
.LBB353_418:                            ;   in Loop: Header=BB353_15 Depth=1
	s_delay_alu instid0(SALU_CYCLE_1) | instskip(SKIP_2) | instid1(VALU_DEP_1)
	s_or_b32 exec_lo, exec_lo, s16
	v_dual_mov_b32 v3, 0 :: v_dual_lshrrev_b32 v4, 16, v0
	s_mov_b32 s16, exec_lo
	v_and_b32_e32 v2, 0xff, v4
	scratch_store_b32 off, v3, s32 offset:264 ; 4-byte Folded Spill
	s_wait_xcnt 0x0
	v_mov_b32_e32 v3, 0
	scratch_store_b32 off, v3, s32 offset:260 ; 4-byte Folded Spill
	s_wait_xcnt 0x0
	v_cmpx_ne_u16_e32 0, v2
	s_cbranch_execz .LBB353_426
; %bb.419:                              ;   in Loop: Header=BB353_15 Depth=1
	v_cmp_ne_u16_e64 s1, 0x80, v2
	v_bfrev_b32_e32 v2, 1
	scratch_store_b32 off, v2, s32 offset:260 ; 4-byte Folded Spill
	s_wait_xcnt 0x0
	s_and_saveexec_b32 s17, s1
	s_cbranch_execz .LBB353_425
; %bb.420:                              ;   in Loop: Header=BB353_15 Depth=1
	v_bfe_u32 v2, v0, 16, 7
	v_mov_b32_e32 v3, 0x7f800001
	s_mov_b32 s18, exec_lo
	scratch_store_b32 off, v3, s32 offset:260 ; 4-byte Folded Spill
	s_wait_xcnt 0x0
	v_cmpx_ne_u32_e32 0x7f, v2
	s_cbranch_execz .LBB353_424
; %bb.421:                              ;   in Loop: Header=BB353_15 Depth=1
	v_dual_lshrrev_b32 v5, 3, v2 :: v_dual_bitop2_b32 v52, 7, v4 bitop3:0x40
	v_cmp_gt_u32_e64 s1, 8, v2
	s_delay_alu instid0(VALU_DEP_2)
	v_mov_b64_e32 v[2:3], v[52:53]
	s_and_saveexec_b32 s19, s1
; %bb.422:                              ;   in Loop: Header=BB353_15 Depth=1
	v_clz_i32_u32_e32 v2, v52
	s_delay_alu instid0(VALU_DEP_1) | instskip(NEXT) | instid1(VALU_DEP_1)
	v_min_u32_e32 v5, 32, v2
	v_subrev_nc_u32_e32 v2, 28, v5
	s_delay_alu instid0(VALU_DEP_1) | instskip(NEXT) | instid1(VALU_DEP_1)
	v_lshlrev_b64_e32 v[2:3], v2, v[52:53]
	v_dual_sub_nc_u32 v5, 29, v5 :: v_dual_bitop2_b32 v2, 7, v2 bitop3:0x40
; %bb.423:                              ;   in Loop: Header=BB353_15 Depth=1
	s_or_b32 exec_lo, exec_lo, s19
	s_delay_alu instid0(VALU_DEP_1) | instskip(NEXT) | instid1(VALU_DEP_2)
	v_dual_lshlrev_b32 v3, 24, v4 :: v_dual_lshlrev_b32 v2, 20, v2
	v_lshl_add_u32 v4, v5, 23, 0x3c000000
	s_delay_alu instid0(VALU_DEP_2) | instskip(NEXT) | instid1(VALU_DEP_1)
	v_and_b32_e32 v3, 0x80000000, v3
	v_or3_b32 v2, v2, v3, v4
	scratch_store_b32 off, v2, s32 offset:260 ; 4-byte Folded Spill
.LBB353_424:                            ;   in Loop: Header=BB353_15 Depth=1
	s_wait_xcnt 0x0
	s_or_b32 exec_lo, exec_lo, s18
.LBB353_425:                            ;   in Loop: Header=BB353_15 Depth=1
	s_delay_alu instid0(SALU_CYCLE_1)
	s_or_b32 exec_lo, exec_lo, s17
.LBB353_426:                            ;   in Loop: Header=BB353_15 Depth=1
	s_delay_alu instid0(SALU_CYCLE_1) | instskip(NEXT) | instid1(SALU_CYCLE_1)
	s_or_b32 exec_lo, exec_lo, s16
	s_mov_b32 s16, exec_lo
	v_cmpx_lt_u32_e32 0xffffff, v0
	s_cbranch_execz .LBB353_434
; %bb.427:                              ;   in Loop: Header=BB353_15 Depth=1
	v_lshrrev_b32_e32 v4, 24, v0
	v_bfrev_b32_e32 v2, 1
	s_mov_b32 s17, exec_lo
	scratch_store_b32 off, v2, s32 offset:264 ; 4-byte Folded Spill
	s_wait_xcnt 0x0
	v_cmpx_ne_u32_e32 0x80, v4
	s_cbranch_execz .LBB353_433
; %bb.428:                              ;   in Loop: Header=BB353_15 Depth=1
	v_bfe_u32 v2, v0, 24, 7
	v_mov_b32_e32 v3, 0x7f800001
	s_mov_b32 s18, exec_lo
	scratch_store_b32 off, v3, s32 offset:264 ; 4-byte Folded Spill
	s_wait_xcnt 0x0
	v_cmpx_ne_u32_e32 0x7f, v2
	s_cbranch_execz .LBB353_432
; %bb.429:                              ;   in Loop: Header=BB353_15 Depth=1
	v_dual_lshrrev_b32 v5, 3, v2 :: v_dual_bitop2_b32 v52, 7, v4 bitop3:0x40
	v_cmp_gt_u32_e64 s1, 8, v2
	s_delay_alu instid0(VALU_DEP_2)
	v_mov_b64_e32 v[2:3], v[52:53]
	s_and_saveexec_b32 s19, s1
; %bb.430:                              ;   in Loop: Header=BB353_15 Depth=1
	v_clz_i32_u32_e32 v2, v52
	s_delay_alu instid0(VALU_DEP_1) | instskip(NEXT) | instid1(VALU_DEP_1)
	v_min_u32_e32 v5, 32, v2
	v_subrev_nc_u32_e32 v2, 28, v5
	s_delay_alu instid0(VALU_DEP_1) | instskip(NEXT) | instid1(VALU_DEP_1)
	v_lshlrev_b64_e32 v[2:3], v2, v[52:53]
	v_dual_sub_nc_u32 v5, 29, v5 :: v_dual_bitop2_b32 v2, 7, v2 bitop3:0x40
; %bb.431:                              ;   in Loop: Header=BB353_15 Depth=1
	s_or_b32 exec_lo, exec_lo, s19
	s_delay_alu instid0(VALU_DEP_1) | instskip(NEXT) | instid1(VALU_DEP_2)
	v_dual_lshlrev_b32 v3, 24, v4 :: v_dual_lshlrev_b32 v2, 20, v2
	v_lshl_add_u32 v4, v5, 23, 0x3c000000
	s_delay_alu instid0(VALU_DEP_2) | instskip(NEXT) | instid1(VALU_DEP_1)
	v_and_b32_e32 v3, 0x80000000, v3
	v_or3_b32 v2, v2, v3, v4
	scratch_store_b32 off, v2, s32 offset:264 ; 4-byte Folded Spill
.LBB353_432:                            ;   in Loop: Header=BB353_15 Depth=1
	s_wait_xcnt 0x0
	s_or_b32 exec_lo, exec_lo, s18
.LBB353_433:                            ;   in Loop: Header=BB353_15 Depth=1
	s_delay_alu instid0(SALU_CYCLE_1)
	s_or_b32 exec_lo, exec_lo, s17
.LBB353_434:                            ;   in Loop: Header=BB353_15 Depth=1
	s_delay_alu instid0(SALU_CYCLE_1)
	s_or_b32 exec_lo, exec_lo, s16
	v_dual_mov_b32 v52, v1 :: v_dual_mov_b32 v3, 0
	v_and_b32_e32 v2, 0xff, v1
	s_mov_b32 s16, exec_lo
	scratch_store_b32 off, v3, s32 offset:272 ; 4-byte Folded Spill
	s_wait_xcnt 0x0
	v_mov_b32_e32 v3, 0
	scratch_store_b32 off, v3, s32 offset:268 ; 4-byte Folded Spill
	s_wait_xcnt 0x0
	v_cmpx_ne_u16_e32 0, v2
	s_cbranch_execz .LBB353_442
; %bb.435:                              ;   in Loop: Header=BB353_15 Depth=1
	v_cmp_ne_u16_e64 s1, 0x80, v2
	v_bfrev_b32_e32 v2, 1
	scratch_store_b32 off, v2, s32 offset:268 ; 4-byte Folded Spill
	s_wait_xcnt 0x0
	s_and_saveexec_b32 s17, s1
	s_cbranch_execz .LBB353_441
; %bb.436:                              ;   in Loop: Header=BB353_15 Depth=1
	v_and_b32_e32 v2, 0x7f, v1
	v_mov_b32_e32 v3, 0x7f800001
	s_mov_b32 s18, exec_lo
	scratch_store_b32 off, v3, s32 offset:268 ; 4-byte Folded Spill
	s_wait_xcnt 0x0
	v_cmpx_ne_u32_e32 0x7f, v2
	s_cbranch_execz .LBB353_440
; %bb.437:                              ;   in Loop: Header=BB353_15 Depth=1
	v_lshrrev_b32_e32 v4, 3, v2
	v_cmp_gt_u32_e64 s1, 8, v2
	v_mov_b64_e32 v[2:3], v[52:53]
	s_and_saveexec_b32 s19, s1
; %bb.438:                              ;   in Loop: Header=BB353_15 Depth=1
	v_and_b32_e32 v2, 7, v1
	s_delay_alu instid0(VALU_DEP_1) | instskip(NEXT) | instid1(VALU_DEP_1)
	v_clz_i32_u32_e32 v2, v2
	v_min_u32_e32 v4, 32, v2
	s_delay_alu instid0(VALU_DEP_1) | instskip(SKIP_1) | instid1(VALU_DEP_2)
	v_subrev_nc_u32_e32 v2, 28, v4
	v_sub_nc_u32_e32 v4, 29, v4
	v_lshlrev_b64_e32 v[2:3], v2, v[52:53]
; %bb.439:                              ;   in Loop: Header=BB353_15 Depth=1
	s_or_b32 exec_lo, exec_lo, s19
	s_delay_alu instid0(VALU_DEP_1) | instskip(NEXT) | instid1(VALU_DEP_3)
	v_dual_lshlrev_b32 v2, 20, v2 :: v_dual_lshlrev_b32 v3, 24, v52
	v_lshl_add_u32 v4, v4, 23, 0x3c000000
	s_delay_alu instid0(VALU_DEP_2) | instskip(NEXT) | instid1(VALU_DEP_3)
	v_and_b32_e32 v2, 0x700000, v2
	v_and_b32_e32 v3, 0x80000000, v3
	s_delay_alu instid0(VALU_DEP_1)
	v_or3_b32 v2, v2, v3, v4
	scratch_store_b32 off, v2, s32 offset:268 ; 4-byte Folded Spill
.LBB353_440:                            ;   in Loop: Header=BB353_15 Depth=1
	s_wait_xcnt 0x0
	s_or_b32 exec_lo, exec_lo, s18
.LBB353_441:                            ;   in Loop: Header=BB353_15 Depth=1
	s_delay_alu instid0(SALU_CYCLE_1)
	s_or_b32 exec_lo, exec_lo, s17
.LBB353_442:                            ;   in Loop: Header=BB353_15 Depth=1
	s_delay_alu instid0(SALU_CYCLE_1) | instskip(SKIP_2) | instid1(VALU_DEP_1)
	s_or_b32 exec_lo, exec_lo, s16
	v_lshrrev_b16 v2, 8, v52
	s_mov_b32 s16, exec_lo
	v_cmpx_ne_u16_e32 0, v2
	s_cbranch_execz .LBB353_450
; %bb.443:                              ;   in Loop: Header=BB353_15 Depth=1
	v_bfrev_b32_e32 v3, 1
	s_mov_b32 s17, exec_lo
	scratch_store_b32 off, v3, s32 offset:272 ; 4-byte Folded Spill
	s_wait_xcnt 0x0
	v_cmpx_ne_u16_e32 0x80, v2
	s_cbranch_execz .LBB353_449
; %bb.444:                              ;   in Loop: Header=BB353_15 Depth=1
	v_and_b32_e32 v2, 0xffff, v2
	v_mov_b32_e32 v3, 0x7f800001
	s_mov_b32 s18, exec_lo
	s_delay_alu instid0(VALU_DEP_2)
	v_and_b32_e32 v5, 0x7f, v2
	scratch_store_b32 off, v3, s32 offset:272 ; 4-byte Folded Spill
	s_wait_xcnt 0x0
	v_cmpx_ne_u32_e32 0x7f, v5
	s_cbranch_execz .LBB353_448
; %bb.445:                              ;   in Loop: Header=BB353_15 Depth=1
	v_dual_mov_b32 v3, v53 :: v_dual_bitop2_b32 v2, 7, v2 bitop3:0x40
	v_lshrrev_b32_e32 v4, 3, v5
	s_mov_b32 s19, exec_lo
	v_cmpx_gt_u32_e32 8, v5
; %bb.446:                              ;   in Loop: Header=BB353_15 Depth=1
	s_delay_alu instid0(VALU_DEP_3) | instskip(NEXT) | instid1(VALU_DEP_1)
	v_clz_i32_u32_e32 v4, v2
	v_min_u32_e32 v4, 32, v4
	s_delay_alu instid0(VALU_DEP_1) | instskip(NEXT) | instid1(VALU_DEP_1)
	v_subrev_nc_u32_e32 v5, 28, v4
	v_lshlrev_b64_e32 v[2:3], v5, v[2:3]
	s_delay_alu instid0(VALU_DEP_1)
	v_dual_sub_nc_u32 v4, 29, v4 :: v_dual_bitop2_b32 v2, 7, v2 bitop3:0x40
; %bb.447:                              ;   in Loop: Header=BB353_15 Depth=1
	s_or_b32 exec_lo, exec_lo, s19
	s_delay_alu instid0(VALU_DEP_1) | instskip(NEXT) | instid1(VALU_DEP_2)
	v_dual_lshlrev_b32 v3, 16, v52 :: v_dual_lshlrev_b32 v2, 20, v2
	v_lshl_add_u32 v4, v4, 23, 0x3c000000
	s_delay_alu instid0(VALU_DEP_2) | instskip(NEXT) | instid1(VALU_DEP_1)
	v_and_b32_e32 v3, 0x80000000, v3
	v_or3_b32 v2, v2, v3, v4
	scratch_store_b32 off, v2, s32 offset:272 ; 4-byte Folded Spill
.LBB353_448:                            ;   in Loop: Header=BB353_15 Depth=1
	s_wait_xcnt 0x0
	s_or_b32 exec_lo, exec_lo, s18
.LBB353_449:                            ;   in Loop: Header=BB353_15 Depth=1
	s_delay_alu instid0(SALU_CYCLE_1)
	s_or_b32 exec_lo, exec_lo, s17
.LBB353_450:                            ;   in Loop: Header=BB353_15 Depth=1
	s_delay_alu instid0(SALU_CYCLE_1) | instskip(SKIP_3) | instid1(VALU_DEP_2)
	s_or_b32 exec_lo, exec_lo, s16
	v_dual_mov_b32 v83, 0 :: v_dual_lshrrev_b32 v4, 16, v1
	v_mov_b32_e32 v39, 0
	s_mov_b32 s16, exec_lo
	v_and_b32_e32 v2, 0xff, v4
	s_delay_alu instid0(VALU_DEP_1)
	v_cmpx_ne_u16_e32 0, v2
	s_cbranch_execz .LBB353_458
; %bb.451:                              ;   in Loop: Header=BB353_15 Depth=1
	v_bfrev_b32_e32 v39, 1
	s_mov_b32 s17, exec_lo
	v_cmpx_ne_u16_e32 0x80, v2
	s_cbranch_execz .LBB353_457
; %bb.452:                              ;   in Loop: Header=BB353_15 Depth=1
	v_bfe_u32 v2, v1, 16, 7
	v_mov_b32_e32 v39, 0x7f800001
	s_mov_b32 s18, exec_lo
	s_delay_alu instid0(VALU_DEP_2)
	v_cmpx_ne_u32_e32 0x7f, v2
	s_cbranch_execz .LBB353_456
; %bb.453:                              ;   in Loop: Header=BB353_15 Depth=1
	v_dual_lshrrev_b32 v5, 3, v2 :: v_dual_bitop2_b32 v52, 7, v4 bitop3:0x40
	v_cmp_gt_u32_e64 s1, 8, v2
	s_delay_alu instid0(VALU_DEP_2)
	v_mov_b64_e32 v[2:3], v[52:53]
	s_and_saveexec_b32 s19, s1
; %bb.454:                              ;   in Loop: Header=BB353_15 Depth=1
	v_clz_i32_u32_e32 v2, v52
	s_delay_alu instid0(VALU_DEP_1) | instskip(NEXT) | instid1(VALU_DEP_1)
	v_min_u32_e32 v5, 32, v2
	v_subrev_nc_u32_e32 v2, 28, v5
	s_delay_alu instid0(VALU_DEP_1) | instskip(NEXT) | instid1(VALU_DEP_1)
	v_lshlrev_b64_e32 v[2:3], v2, v[52:53]
	v_dual_sub_nc_u32 v5, 29, v5 :: v_dual_bitop2_b32 v2, 7, v2 bitop3:0x40
; %bb.455:                              ;   in Loop: Header=BB353_15 Depth=1
	s_or_b32 exec_lo, exec_lo, s19
	s_delay_alu instid0(VALU_DEP_1) | instskip(NEXT) | instid1(VALU_DEP_2)
	v_dual_lshlrev_b32 v3, 24, v4 :: v_dual_lshlrev_b32 v2, 20, v2
	v_lshl_add_u32 v4, v5, 23, 0x3c000000
	s_delay_alu instid0(VALU_DEP_2) | instskip(NEXT) | instid1(VALU_DEP_1)
	v_and_b32_e32 v3, 0x80000000, v3
	v_or3_b32 v39, v2, v3, v4
.LBB353_456:                            ;   in Loop: Header=BB353_15 Depth=1
	s_or_b32 exec_lo, exec_lo, s18
.LBB353_457:                            ;   in Loop: Header=BB353_15 Depth=1
	s_delay_alu instid0(SALU_CYCLE_1)
	s_or_b32 exec_lo, exec_lo, s17
.LBB353_458:                            ;   in Loop: Header=BB353_15 Depth=1
	s_delay_alu instid0(SALU_CYCLE_1) | instskip(NEXT) | instid1(SALU_CYCLE_1)
	s_or_b32 exec_lo, exec_lo, s16
	s_mov_b32 s16, exec_lo
	v_cmpx_lt_u64_e64 s[8:9], v[0:1]
	s_cbranch_execz .LBB353_466
; %bb.459:                              ;   in Loop: Header=BB353_15 Depth=1
	v_lshrrev_b32_e32 v2, 24, v1
	v_bfrev_b32_e32 v83, 1
	s_mov_b32 s17, exec_lo
	s_delay_alu instid0(VALU_DEP_2)
	v_cmpx_ne_u32_e32 0x80, v2
	s_cbranch_execz .LBB353_465
; %bb.460:                              ;   in Loop: Header=BB353_15 Depth=1
	v_bfe_u32 v0, v1, 24, 7
	v_mov_b32_e32 v83, 0x7f800001
	s_mov_b32 s18, exec_lo
	s_delay_alu instid0(VALU_DEP_2)
	v_cmpx_ne_u32_e32 0x7f, v0
	s_cbranch_execz .LBB353_464
; %bb.461:                              ;   in Loop: Header=BB353_15 Depth=1
	v_dual_lshrrev_b32 v3, 3, v0 :: v_dual_bitop2_b32 v52, 7, v2 bitop3:0x40
	v_cmp_gt_u32_e64 s1, 8, v0
	s_delay_alu instid0(VALU_DEP_2)
	v_mov_b64_e32 v[0:1], v[52:53]
	s_and_saveexec_b32 s19, s1
; %bb.462:                              ;   in Loop: Header=BB353_15 Depth=1
	v_clz_i32_u32_e32 v0, v52
	s_delay_alu instid0(VALU_DEP_1) | instskip(NEXT) | instid1(VALU_DEP_1)
	v_min_u32_e32 v3, 32, v0
	v_subrev_nc_u32_e32 v0, 28, v3
	s_delay_alu instid0(VALU_DEP_1) | instskip(NEXT) | instid1(VALU_DEP_1)
	v_lshlrev_b64_e32 v[0:1], v0, v[52:53]
	v_dual_sub_nc_u32 v3, 29, v3 :: v_dual_bitop2_b32 v0, 7, v0 bitop3:0x40
; %bb.463:                              ;   in Loop: Header=BB353_15 Depth=1
	s_or_b32 exec_lo, exec_lo, s19
	s_delay_alu instid0(VALU_DEP_1) | instskip(NEXT) | instid1(VALU_DEP_2)
	v_dual_lshlrev_b32 v1, 24, v2 :: v_dual_lshlrev_b32 v0, 20, v0
	v_lshl_add_u32 v2, v3, 23, 0x3c000000
	s_delay_alu instid0(VALU_DEP_2) | instskip(NEXT) | instid1(VALU_DEP_1)
	v_and_b32_e32 v1, 0x80000000, v1
	v_or3_b32 v83, v0, v1, v2
.LBB353_464:                            ;   in Loop: Header=BB353_15 Depth=1
	s_or_b32 exec_lo, exec_lo, s18
.LBB353_465:                            ;   in Loop: Header=BB353_15 Depth=1
	s_delay_alu instid0(SALU_CYCLE_1)
	s_or_b32 exec_lo, exec_lo, s17
.LBB353_466:                            ;   in Loop: Header=BB353_15 Depth=1
	s_delay_alu instid0(SALU_CYCLE_1)
	s_or_b32 exec_lo, exec_lo, s16
	flat_load_b64 v[0:1], v[112:113] offset:1544
	v_dual_mov_b32 v59, 0 :: v_dual_mov_b32 v58, 0
	s_mov_b32 s16, exec_lo
	s_wait_loadcnt_dscnt 0x0
	v_and_b32_e32 v2, 0xff, v0
	s_wait_xcnt 0x0
	s_delay_alu instid0(VALU_DEP_1)
	v_cmpx_ne_u16_e32 0, v2
	s_cbranch_execz .LBB353_474
; %bb.467:                              ;   in Loop: Header=BB353_15 Depth=1
	v_bfrev_b32_e32 v58, 1
	s_mov_b32 s17, exec_lo
	v_cmpx_ne_u16_e32 0x80, v2
	s_cbranch_execz .LBB353_473
; %bb.468:                              ;   in Loop: Header=BB353_15 Depth=1
	v_and_b32_e32 v2, 0x7f, v0
	v_mov_b32_e32 v58, 0x7f800001
	s_mov_b32 s18, exec_lo
	s_delay_alu instid0(VALU_DEP_2)
	v_cmpx_ne_u32_e32 0x7f, v2
	s_cbranch_execz .LBB353_472
; %bb.469:                              ;   in Loop: Header=BB353_15 Depth=1
	v_lshrrev_b32_e32 v4, 3, v2
	v_cmp_gt_u32_e64 s1, 8, v2
	v_mov_b64_e32 v[2:3], v[0:1]
	s_and_saveexec_b32 s19, s1
; %bb.470:                              ;   in Loop: Header=BB353_15 Depth=1
	v_and_b32_e32 v2, 7, v0
	s_delay_alu instid0(VALU_DEP_1) | instskip(NEXT) | instid1(VALU_DEP_1)
	v_clz_i32_u32_e32 v2, v2
	v_min_u32_e32 v4, 32, v2
	s_delay_alu instid0(VALU_DEP_1) | instskip(SKIP_1) | instid1(VALU_DEP_2)
	v_subrev_nc_u32_e32 v2, 28, v4
	v_sub_nc_u32_e32 v4, 29, v4
	v_lshlrev_b64_e32 v[2:3], v2, v[0:1]
; %bb.471:                              ;   in Loop: Header=BB353_15 Depth=1
	s_or_b32 exec_lo, exec_lo, s19
	s_delay_alu instid0(VALU_DEP_1) | instskip(NEXT) | instid1(VALU_DEP_3)
	v_dual_lshlrev_b32 v2, 20, v2 :: v_dual_lshlrev_b32 v3, 24, v0
	v_lshl_add_u32 v4, v4, 23, 0x3c000000
	s_delay_alu instid0(VALU_DEP_2) | instskip(NEXT) | instid1(VALU_DEP_3)
	v_and_b32_e32 v2, 0x700000, v2
	v_and_b32_e32 v3, 0x80000000, v3
	s_delay_alu instid0(VALU_DEP_1)
	v_or3_b32 v58, v2, v3, v4
.LBB353_472:                            ;   in Loop: Header=BB353_15 Depth=1
	s_or_b32 exec_lo, exec_lo, s18
.LBB353_473:                            ;   in Loop: Header=BB353_15 Depth=1
	s_delay_alu instid0(SALU_CYCLE_1)
	s_or_b32 exec_lo, exec_lo, s17
.LBB353_474:                            ;   in Loop: Header=BB353_15 Depth=1
	s_delay_alu instid0(SALU_CYCLE_1) | instskip(SKIP_2) | instid1(VALU_DEP_1)
	s_or_b32 exec_lo, exec_lo, s16
	v_lshrrev_b16 v2, 8, v0
	s_mov_b32 s16, exec_lo
	v_cmpx_ne_u16_e32 0, v2
	s_cbranch_execz .LBB353_482
; %bb.475:                              ;   in Loop: Header=BB353_15 Depth=1
	v_bfrev_b32_e32 v59, 1
	s_mov_b32 s17, exec_lo
	v_cmpx_ne_u16_e32 0x80, v2
	s_cbranch_execz .LBB353_481
; %bb.476:                              ;   in Loop: Header=BB353_15 Depth=1
	v_and_b32_e32 v3, 0xffff, v2
	v_mov_b32_e32 v59, 0x7f800001
	s_mov_b32 s18, exec_lo
	s_delay_alu instid0(VALU_DEP_2) | instskip(NEXT) | instid1(VALU_DEP_1)
	v_and_b32_e32 v2, 0x7f, v3
	v_cmpx_ne_u32_e32 0x7f, v2
	s_cbranch_execz .LBB353_480
; %bb.477:                              ;   in Loop: Header=BB353_15 Depth=1
	v_dual_lshrrev_b32 v4, 3, v2 :: v_dual_bitop2_b32 v52, 7, v3 bitop3:0x40
	v_cmp_gt_u32_e64 s1, 8, v2
	s_delay_alu instid0(VALU_DEP_2)
	v_mov_b64_e32 v[2:3], v[52:53]
	s_and_saveexec_b32 s19, s1
; %bb.478:                              ;   in Loop: Header=BB353_15 Depth=1
	v_clz_i32_u32_e32 v2, v52
	s_delay_alu instid0(VALU_DEP_1) | instskip(NEXT) | instid1(VALU_DEP_1)
	v_min_u32_e32 v4, 32, v2
	v_subrev_nc_u32_e32 v2, 28, v4
	s_delay_alu instid0(VALU_DEP_1) | instskip(NEXT) | instid1(VALU_DEP_1)
	v_lshlrev_b64_e32 v[2:3], v2, v[52:53]
	v_dual_sub_nc_u32 v4, 29, v4 :: v_dual_bitop2_b32 v2, 7, v2 bitop3:0x40
; %bb.479:                              ;   in Loop: Header=BB353_15 Depth=1
	s_or_b32 exec_lo, exec_lo, s19
	s_delay_alu instid0(VALU_DEP_1) | instskip(NEXT) | instid1(VALU_DEP_2)
	v_dual_lshlrev_b32 v3, 16, v0 :: v_dual_lshlrev_b32 v2, 20, v2
	v_lshl_add_u32 v4, v4, 23, 0x3c000000
	s_delay_alu instid0(VALU_DEP_2) | instskip(NEXT) | instid1(VALU_DEP_1)
	v_and_b32_e32 v3, 0x80000000, v3
	v_or3_b32 v59, v2, v3, v4
.LBB353_480:                            ;   in Loop: Header=BB353_15 Depth=1
	s_or_b32 exec_lo, exec_lo, s18
.LBB353_481:                            ;   in Loop: Header=BB353_15 Depth=1
	s_delay_alu instid0(SALU_CYCLE_1)
	s_or_b32 exec_lo, exec_lo, s17
.LBB353_482:                            ;   in Loop: Header=BB353_15 Depth=1
	s_delay_alu instid0(SALU_CYCLE_1) | instskip(SKIP_3) | instid1(VALU_DEP_2)
	s_or_b32 exec_lo, exec_lo, s16
	v_dual_mov_b32 v29, 0 :: v_dual_lshrrev_b32 v4, 16, v0
	v_mov_b32_e32 v28, 0
	s_mov_b32 s16, exec_lo
	v_and_b32_e32 v2, 0xff, v4
	s_delay_alu instid0(VALU_DEP_1)
	v_cmpx_ne_u16_e32 0, v2
	s_cbranch_execz .LBB353_490
; %bb.483:                              ;   in Loop: Header=BB353_15 Depth=1
	v_bfrev_b32_e32 v28, 1
	s_mov_b32 s17, exec_lo
	v_cmpx_ne_u16_e32 0x80, v2
	s_cbranch_execz .LBB353_489
; %bb.484:                              ;   in Loop: Header=BB353_15 Depth=1
	v_bfe_u32 v2, v0, 16, 7
	v_mov_b32_e32 v28, 0x7f800001
	s_mov_b32 s18, exec_lo
	s_delay_alu instid0(VALU_DEP_2)
	v_cmpx_ne_u32_e32 0x7f, v2
	s_cbranch_execz .LBB353_488
; %bb.485:                              ;   in Loop: Header=BB353_15 Depth=1
	v_dual_lshrrev_b32 v5, 3, v2 :: v_dual_bitop2_b32 v52, 7, v4 bitop3:0x40
	v_cmp_gt_u32_e64 s1, 8, v2
	s_delay_alu instid0(VALU_DEP_2)
	v_mov_b64_e32 v[2:3], v[52:53]
	s_and_saveexec_b32 s19, s1
; %bb.486:                              ;   in Loop: Header=BB353_15 Depth=1
	v_clz_i32_u32_e32 v2, v52
	s_delay_alu instid0(VALU_DEP_1) | instskip(NEXT) | instid1(VALU_DEP_1)
	v_min_u32_e32 v5, 32, v2
	v_subrev_nc_u32_e32 v2, 28, v5
	s_delay_alu instid0(VALU_DEP_1) | instskip(NEXT) | instid1(VALU_DEP_1)
	v_lshlrev_b64_e32 v[2:3], v2, v[52:53]
	v_dual_sub_nc_u32 v5, 29, v5 :: v_dual_bitop2_b32 v2, 7, v2 bitop3:0x40
; %bb.487:                              ;   in Loop: Header=BB353_15 Depth=1
	s_or_b32 exec_lo, exec_lo, s19
	s_delay_alu instid0(VALU_DEP_1) | instskip(NEXT) | instid1(VALU_DEP_2)
	v_dual_lshlrev_b32 v3, 24, v4 :: v_dual_lshlrev_b32 v2, 20, v2
	v_lshl_add_u32 v4, v5, 23, 0x3c000000
	s_delay_alu instid0(VALU_DEP_2) | instskip(NEXT) | instid1(VALU_DEP_1)
	v_and_b32_e32 v3, 0x80000000, v3
	v_or3_b32 v28, v2, v3, v4
.LBB353_488:                            ;   in Loop: Header=BB353_15 Depth=1
	s_or_b32 exec_lo, exec_lo, s18
.LBB353_489:                            ;   in Loop: Header=BB353_15 Depth=1
	s_delay_alu instid0(SALU_CYCLE_1)
	s_or_b32 exec_lo, exec_lo, s17
.LBB353_490:                            ;   in Loop: Header=BB353_15 Depth=1
	s_delay_alu instid0(SALU_CYCLE_1) | instskip(NEXT) | instid1(SALU_CYCLE_1)
	s_or_b32 exec_lo, exec_lo, s16
	s_mov_b32 s16, exec_lo
	v_cmpx_lt_u32_e32 0xffffff, v0
	s_cbranch_execz .LBB353_498
; %bb.491:                              ;   in Loop: Header=BB353_15 Depth=1
	v_lshrrev_b32_e32 v4, 24, v0
	v_bfrev_b32_e32 v29, 1
	s_mov_b32 s17, exec_lo
	s_delay_alu instid0(VALU_DEP_2)
	v_cmpx_ne_u32_e32 0x80, v4
	s_cbranch_execz .LBB353_497
; %bb.492:                              ;   in Loop: Header=BB353_15 Depth=1
	v_bfe_u32 v2, v0, 24, 7
	v_mov_b32_e32 v29, 0x7f800001
	s_mov_b32 s18, exec_lo
	s_delay_alu instid0(VALU_DEP_2)
	v_cmpx_ne_u32_e32 0x7f, v2
	s_cbranch_execz .LBB353_496
; %bb.493:                              ;   in Loop: Header=BB353_15 Depth=1
	v_dual_lshrrev_b32 v5, 3, v2 :: v_dual_bitop2_b32 v52, 7, v4 bitop3:0x40
	v_cmp_gt_u32_e64 s1, 8, v2
	s_delay_alu instid0(VALU_DEP_2)
	v_mov_b64_e32 v[2:3], v[52:53]
	s_and_saveexec_b32 s19, s1
; %bb.494:                              ;   in Loop: Header=BB353_15 Depth=1
	v_clz_i32_u32_e32 v2, v52
	s_delay_alu instid0(VALU_DEP_1) | instskip(NEXT) | instid1(VALU_DEP_1)
	v_min_u32_e32 v5, 32, v2
	v_subrev_nc_u32_e32 v2, 28, v5
	s_delay_alu instid0(VALU_DEP_1) | instskip(NEXT) | instid1(VALU_DEP_1)
	v_lshlrev_b64_e32 v[2:3], v2, v[52:53]
	v_dual_sub_nc_u32 v5, 29, v5 :: v_dual_bitop2_b32 v2, 7, v2 bitop3:0x40
; %bb.495:                              ;   in Loop: Header=BB353_15 Depth=1
	s_or_b32 exec_lo, exec_lo, s19
	s_delay_alu instid0(VALU_DEP_1) | instskip(NEXT) | instid1(VALU_DEP_2)
	v_dual_lshlrev_b32 v3, 24, v4 :: v_dual_lshlrev_b32 v2, 20, v2
	v_lshl_add_u32 v4, v5, 23, 0x3c000000
	s_delay_alu instid0(VALU_DEP_2) | instskip(NEXT) | instid1(VALU_DEP_1)
	v_and_b32_e32 v3, 0x80000000, v3
	v_or3_b32 v29, v2, v3, v4
.LBB353_496:                            ;   in Loop: Header=BB353_15 Depth=1
	s_or_b32 exec_lo, exec_lo, s18
.LBB353_497:                            ;   in Loop: Header=BB353_15 Depth=1
	s_delay_alu instid0(SALU_CYCLE_1)
	s_or_b32 exec_lo, exec_lo, s17
.LBB353_498:                            ;   in Loop: Header=BB353_15 Depth=1
	s_delay_alu instid0(SALU_CYCLE_1) | instskip(SKIP_4) | instid1(VALU_DEP_3)
	s_or_b32 exec_lo, exec_lo, s16
	v_and_b32_e32 v2, 0xff, v1
	v_dual_mov_b32 v52, v1 :: v_dual_mov_b32 v61, 0
	v_mov_b32_e32 v60, 0
	s_mov_b32 s16, exec_lo
	v_cmpx_ne_u16_e32 0, v2
	s_cbranch_execz .LBB353_506
; %bb.499:                              ;   in Loop: Header=BB353_15 Depth=1
	v_bfrev_b32_e32 v60, 1
	s_mov_b32 s17, exec_lo
	v_cmpx_ne_u16_e32 0x80, v2
	s_cbranch_execz .LBB353_505
; %bb.500:                              ;   in Loop: Header=BB353_15 Depth=1
	v_and_b32_e32 v2, 0x7f, v1
	v_mov_b32_e32 v60, 0x7f800001
	s_mov_b32 s18, exec_lo
	s_delay_alu instid0(VALU_DEP_2)
	v_cmpx_ne_u32_e32 0x7f, v2
	s_cbranch_execz .LBB353_504
; %bb.501:                              ;   in Loop: Header=BB353_15 Depth=1
	v_lshrrev_b32_e32 v4, 3, v2
	v_cmp_gt_u32_e64 s1, 8, v2
	v_mov_b64_e32 v[2:3], v[52:53]
	s_and_saveexec_b32 s19, s1
; %bb.502:                              ;   in Loop: Header=BB353_15 Depth=1
	v_and_b32_e32 v2, 7, v1
	s_delay_alu instid0(VALU_DEP_1) | instskip(NEXT) | instid1(VALU_DEP_1)
	v_clz_i32_u32_e32 v2, v2
	v_min_u32_e32 v4, 32, v2
	s_delay_alu instid0(VALU_DEP_1) | instskip(SKIP_1) | instid1(VALU_DEP_2)
	v_subrev_nc_u32_e32 v2, 28, v4
	v_sub_nc_u32_e32 v4, 29, v4
	v_lshlrev_b64_e32 v[2:3], v2, v[52:53]
; %bb.503:                              ;   in Loop: Header=BB353_15 Depth=1
	s_or_b32 exec_lo, exec_lo, s19
	s_delay_alu instid0(VALU_DEP_1) | instskip(NEXT) | instid1(VALU_DEP_3)
	v_dual_lshlrev_b32 v2, 20, v2 :: v_dual_lshlrev_b32 v3, 24, v52
	v_lshl_add_u32 v4, v4, 23, 0x3c000000
	s_delay_alu instid0(VALU_DEP_2) | instskip(NEXT) | instid1(VALU_DEP_3)
	v_and_b32_e32 v2, 0x700000, v2
	v_and_b32_e32 v3, 0x80000000, v3
	s_delay_alu instid0(VALU_DEP_1)
	v_or3_b32 v60, v2, v3, v4
.LBB353_504:                            ;   in Loop: Header=BB353_15 Depth=1
	s_or_b32 exec_lo, exec_lo, s18
.LBB353_505:                            ;   in Loop: Header=BB353_15 Depth=1
	s_delay_alu instid0(SALU_CYCLE_1)
	s_or_b32 exec_lo, exec_lo, s17
.LBB353_506:                            ;   in Loop: Header=BB353_15 Depth=1
	s_delay_alu instid0(SALU_CYCLE_1) | instskip(SKIP_2) | instid1(VALU_DEP_1)
	s_or_b32 exec_lo, exec_lo, s16
	v_lshrrev_b16 v2, 8, v52
	s_mov_b32 s16, exec_lo
	v_cmpx_ne_u16_e32 0, v2
	s_cbranch_execz .LBB353_514
; %bb.507:                              ;   in Loop: Header=BB353_15 Depth=1
	v_bfrev_b32_e32 v61, 1
	s_mov_b32 s17, exec_lo
	v_cmpx_ne_u16_e32 0x80, v2
	s_cbranch_execz .LBB353_513
; %bb.508:                              ;   in Loop: Header=BB353_15 Depth=1
	v_and_b32_e32 v2, 0xffff, v2
	v_mov_b32_e32 v61, 0x7f800001
	s_mov_b32 s18, exec_lo
	s_delay_alu instid0(VALU_DEP_2) | instskip(NEXT) | instid1(VALU_DEP_1)
	v_and_b32_e32 v5, 0x7f, v2
	v_cmpx_ne_u32_e32 0x7f, v5
	s_cbranch_execz .LBB353_512
; %bb.509:                              ;   in Loop: Header=BB353_15 Depth=1
	v_dual_mov_b32 v3, v53 :: v_dual_bitop2_b32 v2, 7, v2 bitop3:0x40
	v_lshrrev_b32_e32 v4, 3, v5
	s_mov_b32 s19, exec_lo
	v_cmpx_gt_u32_e32 8, v5
; %bb.510:                              ;   in Loop: Header=BB353_15 Depth=1
	s_delay_alu instid0(VALU_DEP_3) | instskip(NEXT) | instid1(VALU_DEP_1)
	v_clz_i32_u32_e32 v4, v2
	v_min_u32_e32 v4, 32, v4
	s_delay_alu instid0(VALU_DEP_1) | instskip(NEXT) | instid1(VALU_DEP_1)
	v_subrev_nc_u32_e32 v5, 28, v4
	v_lshlrev_b64_e32 v[2:3], v5, v[2:3]
	s_delay_alu instid0(VALU_DEP_1)
	v_dual_sub_nc_u32 v4, 29, v4 :: v_dual_bitop2_b32 v2, 7, v2 bitop3:0x40
; %bb.511:                              ;   in Loop: Header=BB353_15 Depth=1
	s_or_b32 exec_lo, exec_lo, s19
	s_delay_alu instid0(VALU_DEP_1) | instskip(NEXT) | instid1(VALU_DEP_2)
	v_dual_lshlrev_b32 v3, 16, v52 :: v_dual_lshlrev_b32 v2, 20, v2
	v_lshl_add_u32 v4, v4, 23, 0x3c000000
	s_delay_alu instid0(VALU_DEP_2) | instskip(NEXT) | instid1(VALU_DEP_1)
	v_and_b32_e32 v3, 0x80000000, v3
	v_or3_b32 v61, v2, v3, v4
.LBB353_512:                            ;   in Loop: Header=BB353_15 Depth=1
	s_or_b32 exec_lo, exec_lo, s18
.LBB353_513:                            ;   in Loop: Header=BB353_15 Depth=1
	s_delay_alu instid0(SALU_CYCLE_1)
	s_or_b32 exec_lo, exec_lo, s17
.LBB353_514:                            ;   in Loop: Header=BB353_15 Depth=1
	s_delay_alu instid0(SALU_CYCLE_1) | instskip(SKIP_3) | instid1(VALU_DEP_2)
	s_or_b32 exec_lo, exec_lo, s16
	v_dual_mov_b32 v31, 0 :: v_dual_lshrrev_b32 v4, 16, v1
	v_mov_b32_e32 v30, 0
	s_mov_b32 s16, exec_lo
	v_and_b32_e32 v2, 0xff, v4
	s_delay_alu instid0(VALU_DEP_1)
	v_cmpx_ne_u16_e32 0, v2
	s_cbranch_execz .LBB353_522
; %bb.515:                              ;   in Loop: Header=BB353_15 Depth=1
	v_bfrev_b32_e32 v30, 1
	s_mov_b32 s17, exec_lo
	v_cmpx_ne_u16_e32 0x80, v2
	s_cbranch_execz .LBB353_521
; %bb.516:                              ;   in Loop: Header=BB353_15 Depth=1
	v_bfe_u32 v2, v1, 16, 7
	v_mov_b32_e32 v30, 0x7f800001
	s_mov_b32 s18, exec_lo
	s_delay_alu instid0(VALU_DEP_2)
	v_cmpx_ne_u32_e32 0x7f, v2
	s_cbranch_execz .LBB353_520
; %bb.517:                              ;   in Loop: Header=BB353_15 Depth=1
	v_dual_lshrrev_b32 v5, 3, v2 :: v_dual_bitop2_b32 v52, 7, v4 bitop3:0x40
	v_cmp_gt_u32_e64 s1, 8, v2
	s_delay_alu instid0(VALU_DEP_2)
	v_mov_b64_e32 v[2:3], v[52:53]
	s_and_saveexec_b32 s19, s1
; %bb.518:                              ;   in Loop: Header=BB353_15 Depth=1
	v_clz_i32_u32_e32 v2, v52
	s_delay_alu instid0(VALU_DEP_1) | instskip(NEXT) | instid1(VALU_DEP_1)
	v_min_u32_e32 v5, 32, v2
	v_subrev_nc_u32_e32 v2, 28, v5
	s_delay_alu instid0(VALU_DEP_1) | instskip(NEXT) | instid1(VALU_DEP_1)
	v_lshlrev_b64_e32 v[2:3], v2, v[52:53]
	v_dual_sub_nc_u32 v5, 29, v5 :: v_dual_bitop2_b32 v2, 7, v2 bitop3:0x40
; %bb.519:                              ;   in Loop: Header=BB353_15 Depth=1
	s_or_b32 exec_lo, exec_lo, s19
	s_delay_alu instid0(VALU_DEP_1) | instskip(NEXT) | instid1(VALU_DEP_2)
	v_dual_lshlrev_b32 v3, 24, v4 :: v_dual_lshlrev_b32 v2, 20, v2
	v_lshl_add_u32 v4, v5, 23, 0x3c000000
	s_delay_alu instid0(VALU_DEP_2) | instskip(NEXT) | instid1(VALU_DEP_1)
	v_and_b32_e32 v3, 0x80000000, v3
	v_or3_b32 v30, v2, v3, v4
.LBB353_520:                            ;   in Loop: Header=BB353_15 Depth=1
	s_or_b32 exec_lo, exec_lo, s18
.LBB353_521:                            ;   in Loop: Header=BB353_15 Depth=1
	s_delay_alu instid0(SALU_CYCLE_1)
	s_or_b32 exec_lo, exec_lo, s17
.LBB353_522:                            ;   in Loop: Header=BB353_15 Depth=1
	s_delay_alu instid0(SALU_CYCLE_1) | instskip(NEXT) | instid1(SALU_CYCLE_1)
	s_or_b32 exec_lo, exec_lo, s16
	s_mov_b32 s16, exec_lo
	v_cmpx_lt_u64_e64 s[8:9], v[0:1]
	s_cbranch_execz .LBB353_530
; %bb.523:                              ;   in Loop: Header=BB353_15 Depth=1
	v_lshrrev_b32_e32 v2, 24, v1
	v_bfrev_b32_e32 v31, 1
	s_mov_b32 s17, exec_lo
	s_delay_alu instid0(VALU_DEP_2)
	v_cmpx_ne_u32_e32 0x80, v2
	s_cbranch_execz .LBB353_529
; %bb.524:                              ;   in Loop: Header=BB353_15 Depth=1
	v_bfe_u32 v0, v1, 24, 7
	v_mov_b32_e32 v31, 0x7f800001
	s_mov_b32 s18, exec_lo
	s_delay_alu instid0(VALU_DEP_2)
	v_cmpx_ne_u32_e32 0x7f, v0
	s_cbranch_execz .LBB353_528
; %bb.525:                              ;   in Loop: Header=BB353_15 Depth=1
	v_dual_lshrrev_b32 v3, 3, v0 :: v_dual_bitop2_b32 v52, 7, v2 bitop3:0x40
	v_cmp_gt_u32_e64 s1, 8, v0
	s_delay_alu instid0(VALU_DEP_2)
	v_mov_b64_e32 v[0:1], v[52:53]
	s_and_saveexec_b32 s19, s1
; %bb.526:                              ;   in Loop: Header=BB353_15 Depth=1
	v_clz_i32_u32_e32 v0, v52
	s_delay_alu instid0(VALU_DEP_1) | instskip(NEXT) | instid1(VALU_DEP_1)
	v_min_u32_e32 v3, 32, v0
	v_subrev_nc_u32_e32 v0, 28, v3
	s_delay_alu instid0(VALU_DEP_1) | instskip(NEXT) | instid1(VALU_DEP_1)
	v_lshlrev_b64_e32 v[0:1], v0, v[52:53]
	v_dual_sub_nc_u32 v3, 29, v3 :: v_dual_bitop2_b32 v0, 7, v0 bitop3:0x40
; %bb.527:                              ;   in Loop: Header=BB353_15 Depth=1
	s_or_b32 exec_lo, exec_lo, s19
	s_delay_alu instid0(VALU_DEP_1) | instskip(NEXT) | instid1(VALU_DEP_2)
	v_dual_lshlrev_b32 v1, 24, v2 :: v_dual_lshlrev_b32 v0, 20, v0
	v_lshl_add_u32 v2, v3, 23, 0x3c000000
	s_delay_alu instid0(VALU_DEP_2) | instskip(NEXT) | instid1(VALU_DEP_1)
	v_and_b32_e32 v1, 0x80000000, v1
	v_or3_b32 v31, v0, v1, v2
.LBB353_528:                            ;   in Loop: Header=BB353_15 Depth=1
	s_or_b32 exec_lo, exec_lo, s18
.LBB353_529:                            ;   in Loop: Header=BB353_15 Depth=1
	s_delay_alu instid0(SALU_CYCLE_1)
	s_or_b32 exec_lo, exec_lo, s17
.LBB353_530:                            ;   in Loop: Header=BB353_15 Depth=1
	s_delay_alu instid0(SALU_CYCLE_1)
	s_or_b32 exec_lo, exec_lo, s16
	flat_load_b64 v[0:1], v[112:113] offset:2048
	v_dual_mov_b32 v63, 0 :: v_dual_mov_b32 v62, 0
	s_mov_b32 s16, exec_lo
	s_wait_loadcnt_dscnt 0x0
	v_and_b32_e32 v2, 0xff, v0
	s_wait_xcnt 0x0
	s_delay_alu instid0(VALU_DEP_1)
	v_cmpx_ne_u16_e32 0, v2
	s_cbranch_execz .LBB353_538
; %bb.531:                              ;   in Loop: Header=BB353_15 Depth=1
	v_bfrev_b32_e32 v62, 1
	s_mov_b32 s17, exec_lo
	v_cmpx_ne_u16_e32 0x80, v2
	s_cbranch_execz .LBB353_537
; %bb.532:                              ;   in Loop: Header=BB353_15 Depth=1
	v_and_b32_e32 v2, 0x7f, v0
	v_mov_b32_e32 v62, 0x7f800001
	s_mov_b32 s18, exec_lo
	s_delay_alu instid0(VALU_DEP_2)
	v_cmpx_ne_u32_e32 0x7f, v2
	s_cbranch_execz .LBB353_536
; %bb.533:                              ;   in Loop: Header=BB353_15 Depth=1
	v_lshrrev_b32_e32 v4, 3, v2
	v_cmp_gt_u32_e64 s1, 8, v2
	v_mov_b64_e32 v[2:3], v[0:1]
	s_and_saveexec_b32 s19, s1
; %bb.534:                              ;   in Loop: Header=BB353_15 Depth=1
	v_and_b32_e32 v2, 7, v0
	s_delay_alu instid0(VALU_DEP_1) | instskip(NEXT) | instid1(VALU_DEP_1)
	v_clz_i32_u32_e32 v2, v2
	v_min_u32_e32 v4, 32, v2
	s_delay_alu instid0(VALU_DEP_1) | instskip(SKIP_1) | instid1(VALU_DEP_2)
	v_subrev_nc_u32_e32 v2, 28, v4
	v_sub_nc_u32_e32 v4, 29, v4
	v_lshlrev_b64_e32 v[2:3], v2, v[0:1]
; %bb.535:                              ;   in Loop: Header=BB353_15 Depth=1
	s_or_b32 exec_lo, exec_lo, s19
	s_delay_alu instid0(VALU_DEP_1) | instskip(NEXT) | instid1(VALU_DEP_3)
	v_dual_lshlrev_b32 v2, 20, v2 :: v_dual_lshlrev_b32 v3, 24, v0
	v_lshl_add_u32 v4, v4, 23, 0x3c000000
	s_delay_alu instid0(VALU_DEP_2) | instskip(NEXT) | instid1(VALU_DEP_3)
	v_and_b32_e32 v2, 0x700000, v2
	v_and_b32_e32 v3, 0x80000000, v3
	s_delay_alu instid0(VALU_DEP_1)
	v_or3_b32 v62, v2, v3, v4
.LBB353_536:                            ;   in Loop: Header=BB353_15 Depth=1
	s_or_b32 exec_lo, exec_lo, s18
.LBB353_537:                            ;   in Loop: Header=BB353_15 Depth=1
	s_delay_alu instid0(SALU_CYCLE_1)
	s_or_b32 exec_lo, exec_lo, s17
.LBB353_538:                            ;   in Loop: Header=BB353_15 Depth=1
	s_delay_alu instid0(SALU_CYCLE_1) | instskip(SKIP_2) | instid1(VALU_DEP_1)
	s_or_b32 exec_lo, exec_lo, s16
	v_lshrrev_b16 v2, 8, v0
	s_mov_b32 s16, exec_lo
	v_cmpx_ne_u16_e32 0, v2
	s_cbranch_execz .LBB353_546
; %bb.539:                              ;   in Loop: Header=BB353_15 Depth=1
	v_bfrev_b32_e32 v63, 1
	s_mov_b32 s17, exec_lo
	v_cmpx_ne_u16_e32 0x80, v2
	s_cbranch_execz .LBB353_545
; %bb.540:                              ;   in Loop: Header=BB353_15 Depth=1
	v_and_b32_e32 v3, 0xffff, v2
	v_mov_b32_e32 v63, 0x7f800001
	s_mov_b32 s18, exec_lo
	s_delay_alu instid0(VALU_DEP_2) | instskip(NEXT) | instid1(VALU_DEP_1)
	v_and_b32_e32 v2, 0x7f, v3
	v_cmpx_ne_u32_e32 0x7f, v2
	s_cbranch_execz .LBB353_544
; %bb.541:                              ;   in Loop: Header=BB353_15 Depth=1
	v_dual_lshrrev_b32 v4, 3, v2 :: v_dual_bitop2_b32 v52, 7, v3 bitop3:0x40
	v_cmp_gt_u32_e64 s1, 8, v2
	s_delay_alu instid0(VALU_DEP_2)
	v_mov_b64_e32 v[2:3], v[52:53]
	s_and_saveexec_b32 s19, s1
; %bb.542:                              ;   in Loop: Header=BB353_15 Depth=1
	v_clz_i32_u32_e32 v2, v52
	s_delay_alu instid0(VALU_DEP_1) | instskip(NEXT) | instid1(VALU_DEP_1)
	v_min_u32_e32 v4, 32, v2
	v_subrev_nc_u32_e32 v2, 28, v4
	s_delay_alu instid0(VALU_DEP_1) | instskip(NEXT) | instid1(VALU_DEP_1)
	v_lshlrev_b64_e32 v[2:3], v2, v[52:53]
	v_dual_sub_nc_u32 v4, 29, v4 :: v_dual_bitop2_b32 v2, 7, v2 bitop3:0x40
; %bb.543:                              ;   in Loop: Header=BB353_15 Depth=1
	s_or_b32 exec_lo, exec_lo, s19
	s_delay_alu instid0(VALU_DEP_1) | instskip(NEXT) | instid1(VALU_DEP_2)
	v_dual_lshlrev_b32 v3, 16, v0 :: v_dual_lshlrev_b32 v2, 20, v2
	v_lshl_add_u32 v4, v4, 23, 0x3c000000
	s_delay_alu instid0(VALU_DEP_2) | instskip(NEXT) | instid1(VALU_DEP_1)
	v_and_b32_e32 v3, 0x80000000, v3
	v_or3_b32 v63, v2, v3, v4
.LBB353_544:                            ;   in Loop: Header=BB353_15 Depth=1
	s_or_b32 exec_lo, exec_lo, s18
.LBB353_545:                            ;   in Loop: Header=BB353_15 Depth=1
	s_delay_alu instid0(SALU_CYCLE_1)
	s_or_b32 exec_lo, exec_lo, s17
.LBB353_546:                            ;   in Loop: Header=BB353_15 Depth=1
	s_delay_alu instid0(SALU_CYCLE_1) | instskip(SKIP_3) | instid1(VALU_DEP_2)
	s_or_b32 exec_lo, exec_lo, s16
	v_dual_mov_b32 v73, 0 :: v_dual_lshrrev_b32 v4, 16, v0
	v_mov_b32_e32 v72, 0
	s_mov_b32 s16, exec_lo
	v_and_b32_e32 v2, 0xff, v4
	s_delay_alu instid0(VALU_DEP_1)
	v_cmpx_ne_u16_e32 0, v2
	s_cbranch_execz .LBB353_554
; %bb.547:                              ;   in Loop: Header=BB353_15 Depth=1
	v_bfrev_b32_e32 v72, 1
	s_mov_b32 s17, exec_lo
	v_cmpx_ne_u16_e32 0x80, v2
	s_cbranch_execz .LBB353_553
; %bb.548:                              ;   in Loop: Header=BB353_15 Depth=1
	v_bfe_u32 v2, v0, 16, 7
	v_mov_b32_e32 v72, 0x7f800001
	s_mov_b32 s18, exec_lo
	s_delay_alu instid0(VALU_DEP_2)
	v_cmpx_ne_u32_e32 0x7f, v2
	s_cbranch_execz .LBB353_552
; %bb.549:                              ;   in Loop: Header=BB353_15 Depth=1
	v_dual_lshrrev_b32 v5, 3, v2 :: v_dual_bitop2_b32 v52, 7, v4 bitop3:0x40
	v_cmp_gt_u32_e64 s1, 8, v2
	s_delay_alu instid0(VALU_DEP_2)
	v_mov_b64_e32 v[2:3], v[52:53]
	s_and_saveexec_b32 s19, s1
; %bb.550:                              ;   in Loop: Header=BB353_15 Depth=1
	v_clz_i32_u32_e32 v2, v52
	s_delay_alu instid0(VALU_DEP_1) | instskip(NEXT) | instid1(VALU_DEP_1)
	v_min_u32_e32 v5, 32, v2
	v_subrev_nc_u32_e32 v2, 28, v5
	s_delay_alu instid0(VALU_DEP_1) | instskip(NEXT) | instid1(VALU_DEP_1)
	v_lshlrev_b64_e32 v[2:3], v2, v[52:53]
	v_dual_sub_nc_u32 v5, 29, v5 :: v_dual_bitop2_b32 v2, 7, v2 bitop3:0x40
; %bb.551:                              ;   in Loop: Header=BB353_15 Depth=1
	s_or_b32 exec_lo, exec_lo, s19
	s_delay_alu instid0(VALU_DEP_1) | instskip(NEXT) | instid1(VALU_DEP_2)
	v_dual_lshlrev_b32 v3, 24, v4 :: v_dual_lshlrev_b32 v2, 20, v2
	v_lshl_add_u32 v4, v5, 23, 0x3c000000
	s_delay_alu instid0(VALU_DEP_2) | instskip(NEXT) | instid1(VALU_DEP_1)
	v_and_b32_e32 v3, 0x80000000, v3
	v_or3_b32 v72, v2, v3, v4
.LBB353_552:                            ;   in Loop: Header=BB353_15 Depth=1
	s_or_b32 exec_lo, exec_lo, s18
.LBB353_553:                            ;   in Loop: Header=BB353_15 Depth=1
	s_delay_alu instid0(SALU_CYCLE_1)
	s_or_b32 exec_lo, exec_lo, s17
.LBB353_554:                            ;   in Loop: Header=BB353_15 Depth=1
	s_delay_alu instid0(SALU_CYCLE_1) | instskip(NEXT) | instid1(SALU_CYCLE_1)
	s_or_b32 exec_lo, exec_lo, s16
	s_mov_b32 s16, exec_lo
	v_cmpx_lt_u32_e32 0xffffff, v0
	s_cbranch_execz .LBB353_562
; %bb.555:                              ;   in Loop: Header=BB353_15 Depth=1
	v_lshrrev_b32_e32 v4, 24, v0
	v_bfrev_b32_e32 v73, 1
	s_mov_b32 s17, exec_lo
	s_delay_alu instid0(VALU_DEP_2)
	v_cmpx_ne_u32_e32 0x80, v4
	s_cbranch_execz .LBB353_561
; %bb.556:                              ;   in Loop: Header=BB353_15 Depth=1
	v_bfe_u32 v2, v0, 24, 7
	v_mov_b32_e32 v73, 0x7f800001
	s_mov_b32 s18, exec_lo
	s_delay_alu instid0(VALU_DEP_2)
	v_cmpx_ne_u32_e32 0x7f, v2
	s_cbranch_execz .LBB353_560
; %bb.557:                              ;   in Loop: Header=BB353_15 Depth=1
	v_dual_lshrrev_b32 v5, 3, v2 :: v_dual_bitop2_b32 v52, 7, v4 bitop3:0x40
	v_cmp_gt_u32_e64 s1, 8, v2
	s_delay_alu instid0(VALU_DEP_2)
	v_mov_b64_e32 v[2:3], v[52:53]
	s_and_saveexec_b32 s19, s1
; %bb.558:                              ;   in Loop: Header=BB353_15 Depth=1
	v_clz_i32_u32_e32 v2, v52
	s_delay_alu instid0(VALU_DEP_1) | instskip(NEXT) | instid1(VALU_DEP_1)
	v_min_u32_e32 v5, 32, v2
	v_subrev_nc_u32_e32 v2, 28, v5
	s_delay_alu instid0(VALU_DEP_1) | instskip(NEXT) | instid1(VALU_DEP_1)
	v_lshlrev_b64_e32 v[2:3], v2, v[52:53]
	v_dual_sub_nc_u32 v5, 29, v5 :: v_dual_bitop2_b32 v2, 7, v2 bitop3:0x40
; %bb.559:                              ;   in Loop: Header=BB353_15 Depth=1
	s_or_b32 exec_lo, exec_lo, s19
	s_delay_alu instid0(VALU_DEP_1) | instskip(NEXT) | instid1(VALU_DEP_2)
	v_dual_lshlrev_b32 v3, 24, v4 :: v_dual_lshlrev_b32 v2, 20, v2
	v_lshl_add_u32 v4, v5, 23, 0x3c000000
	s_delay_alu instid0(VALU_DEP_2) | instskip(NEXT) | instid1(VALU_DEP_1)
	v_and_b32_e32 v3, 0x80000000, v3
	v_or3_b32 v73, v2, v3, v4
.LBB353_560:                            ;   in Loop: Header=BB353_15 Depth=1
	s_or_b32 exec_lo, exec_lo, s18
.LBB353_561:                            ;   in Loop: Header=BB353_15 Depth=1
	s_delay_alu instid0(SALU_CYCLE_1)
	s_or_b32 exec_lo, exec_lo, s17
.LBB353_562:                            ;   in Loop: Header=BB353_15 Depth=1
	s_delay_alu instid0(SALU_CYCLE_1) | instskip(SKIP_4) | instid1(VALU_DEP_3)
	s_or_b32 exec_lo, exec_lo, s16
	v_and_b32_e32 v2, 0xff, v1
	v_dual_mov_b32 v52, v1 :: v_dual_mov_b32 v75, 0
	v_mov_b32_e32 v74, 0
	s_mov_b32 s16, exec_lo
	v_cmpx_ne_u16_e32 0, v2
	s_cbranch_execz .LBB353_570
; %bb.563:                              ;   in Loop: Header=BB353_15 Depth=1
	v_bfrev_b32_e32 v74, 1
	s_mov_b32 s17, exec_lo
	v_cmpx_ne_u16_e32 0x80, v2
	s_cbranch_execz .LBB353_569
; %bb.564:                              ;   in Loop: Header=BB353_15 Depth=1
	v_and_b32_e32 v2, 0x7f, v1
	v_mov_b32_e32 v74, 0x7f800001
	s_mov_b32 s18, exec_lo
	s_delay_alu instid0(VALU_DEP_2)
	v_cmpx_ne_u32_e32 0x7f, v2
	s_cbranch_execz .LBB353_568
; %bb.565:                              ;   in Loop: Header=BB353_15 Depth=1
	v_lshrrev_b32_e32 v4, 3, v2
	v_cmp_gt_u32_e64 s1, 8, v2
	v_mov_b64_e32 v[2:3], v[52:53]
	s_and_saveexec_b32 s19, s1
; %bb.566:                              ;   in Loop: Header=BB353_15 Depth=1
	v_and_b32_e32 v2, 7, v1
	s_delay_alu instid0(VALU_DEP_1) | instskip(NEXT) | instid1(VALU_DEP_1)
	v_clz_i32_u32_e32 v2, v2
	v_min_u32_e32 v4, 32, v2
	s_delay_alu instid0(VALU_DEP_1) | instskip(SKIP_1) | instid1(VALU_DEP_2)
	v_subrev_nc_u32_e32 v2, 28, v4
	v_sub_nc_u32_e32 v4, 29, v4
	v_lshlrev_b64_e32 v[2:3], v2, v[52:53]
; %bb.567:                              ;   in Loop: Header=BB353_15 Depth=1
	s_or_b32 exec_lo, exec_lo, s19
	s_delay_alu instid0(VALU_DEP_1) | instskip(NEXT) | instid1(VALU_DEP_3)
	v_dual_lshlrev_b32 v2, 20, v2 :: v_dual_lshlrev_b32 v3, 24, v52
	v_lshl_add_u32 v4, v4, 23, 0x3c000000
	s_delay_alu instid0(VALU_DEP_2) | instskip(NEXT) | instid1(VALU_DEP_3)
	v_and_b32_e32 v2, 0x700000, v2
	v_and_b32_e32 v3, 0x80000000, v3
	s_delay_alu instid0(VALU_DEP_1)
	v_or3_b32 v74, v2, v3, v4
.LBB353_568:                            ;   in Loop: Header=BB353_15 Depth=1
	s_or_b32 exec_lo, exec_lo, s18
.LBB353_569:                            ;   in Loop: Header=BB353_15 Depth=1
	s_delay_alu instid0(SALU_CYCLE_1)
	s_or_b32 exec_lo, exec_lo, s17
.LBB353_570:                            ;   in Loop: Header=BB353_15 Depth=1
	s_delay_alu instid0(SALU_CYCLE_1) | instskip(SKIP_2) | instid1(VALU_DEP_1)
	s_or_b32 exec_lo, exec_lo, s16
	v_lshrrev_b16 v2, 8, v52
	s_mov_b32 s16, exec_lo
	v_cmpx_ne_u16_e32 0, v2
	s_cbranch_execz .LBB353_578
; %bb.571:                              ;   in Loop: Header=BB353_15 Depth=1
	v_bfrev_b32_e32 v75, 1
	s_mov_b32 s17, exec_lo
	v_cmpx_ne_u16_e32 0x80, v2
	s_cbranch_execz .LBB353_577
; %bb.572:                              ;   in Loop: Header=BB353_15 Depth=1
	v_and_b32_e32 v2, 0xffff, v2
	v_mov_b32_e32 v75, 0x7f800001
	s_mov_b32 s18, exec_lo
	s_delay_alu instid0(VALU_DEP_2) | instskip(NEXT) | instid1(VALU_DEP_1)
	v_and_b32_e32 v5, 0x7f, v2
	v_cmpx_ne_u32_e32 0x7f, v5
	s_cbranch_execz .LBB353_576
; %bb.573:                              ;   in Loop: Header=BB353_15 Depth=1
	v_dual_mov_b32 v3, v53 :: v_dual_bitop2_b32 v2, 7, v2 bitop3:0x40
	v_lshrrev_b32_e32 v4, 3, v5
	s_mov_b32 s19, exec_lo
	v_cmpx_gt_u32_e32 8, v5
; %bb.574:                              ;   in Loop: Header=BB353_15 Depth=1
	s_delay_alu instid0(VALU_DEP_3) | instskip(NEXT) | instid1(VALU_DEP_1)
	v_clz_i32_u32_e32 v4, v2
	v_min_u32_e32 v4, 32, v4
	s_delay_alu instid0(VALU_DEP_1) | instskip(NEXT) | instid1(VALU_DEP_1)
	v_subrev_nc_u32_e32 v5, 28, v4
	v_lshlrev_b64_e32 v[2:3], v5, v[2:3]
	s_delay_alu instid0(VALU_DEP_1)
	v_dual_sub_nc_u32 v4, 29, v4 :: v_dual_bitop2_b32 v2, 7, v2 bitop3:0x40
; %bb.575:                              ;   in Loop: Header=BB353_15 Depth=1
	s_or_b32 exec_lo, exec_lo, s19
	s_delay_alu instid0(VALU_DEP_1) | instskip(NEXT) | instid1(VALU_DEP_2)
	v_dual_lshlrev_b32 v3, 16, v52 :: v_dual_lshlrev_b32 v2, 20, v2
	v_lshl_add_u32 v4, v4, 23, 0x3c000000
	s_delay_alu instid0(VALU_DEP_2) | instskip(NEXT) | instid1(VALU_DEP_1)
	v_and_b32_e32 v3, 0x80000000, v3
	v_or3_b32 v75, v2, v3, v4
.LBB353_576:                            ;   in Loop: Header=BB353_15 Depth=1
	s_or_b32 exec_lo, exec_lo, s18
.LBB353_577:                            ;   in Loop: Header=BB353_15 Depth=1
	s_delay_alu instid0(SALU_CYCLE_1)
	s_or_b32 exec_lo, exec_lo, s17
.LBB353_578:                            ;   in Loop: Header=BB353_15 Depth=1
	s_delay_alu instid0(SALU_CYCLE_1) | instskip(SKIP_3) | instid1(VALU_DEP_2)
	s_or_b32 exec_lo, exec_lo, s16
	v_dual_mov_b32 v77, 0 :: v_dual_lshrrev_b32 v4, 16, v1
	v_mov_b32_e32 v76, 0
	s_mov_b32 s16, exec_lo
	v_and_b32_e32 v2, 0xff, v4
	s_delay_alu instid0(VALU_DEP_1)
	v_cmpx_ne_u16_e32 0, v2
	s_cbranch_execz .LBB353_586
; %bb.579:                              ;   in Loop: Header=BB353_15 Depth=1
	v_bfrev_b32_e32 v76, 1
	s_mov_b32 s17, exec_lo
	v_cmpx_ne_u16_e32 0x80, v2
	s_cbranch_execz .LBB353_585
; %bb.580:                              ;   in Loop: Header=BB353_15 Depth=1
	v_bfe_u32 v2, v1, 16, 7
	v_mov_b32_e32 v76, 0x7f800001
	s_mov_b32 s18, exec_lo
	s_delay_alu instid0(VALU_DEP_2)
	v_cmpx_ne_u32_e32 0x7f, v2
	s_cbranch_execz .LBB353_584
; %bb.581:                              ;   in Loop: Header=BB353_15 Depth=1
	v_dual_lshrrev_b32 v5, 3, v2 :: v_dual_bitop2_b32 v52, 7, v4 bitop3:0x40
	v_cmp_gt_u32_e64 s1, 8, v2
	s_delay_alu instid0(VALU_DEP_2)
	v_mov_b64_e32 v[2:3], v[52:53]
	s_and_saveexec_b32 s19, s1
; %bb.582:                              ;   in Loop: Header=BB353_15 Depth=1
	v_clz_i32_u32_e32 v2, v52
	s_delay_alu instid0(VALU_DEP_1) | instskip(NEXT) | instid1(VALU_DEP_1)
	v_min_u32_e32 v5, 32, v2
	v_subrev_nc_u32_e32 v2, 28, v5
	s_delay_alu instid0(VALU_DEP_1) | instskip(NEXT) | instid1(VALU_DEP_1)
	v_lshlrev_b64_e32 v[2:3], v2, v[52:53]
	v_dual_sub_nc_u32 v5, 29, v5 :: v_dual_bitop2_b32 v2, 7, v2 bitop3:0x40
; %bb.583:                              ;   in Loop: Header=BB353_15 Depth=1
	s_or_b32 exec_lo, exec_lo, s19
	s_delay_alu instid0(VALU_DEP_1) | instskip(NEXT) | instid1(VALU_DEP_2)
	v_dual_lshlrev_b32 v3, 24, v4 :: v_dual_lshlrev_b32 v2, 20, v2
	v_lshl_add_u32 v4, v5, 23, 0x3c000000
	s_delay_alu instid0(VALU_DEP_2) | instskip(NEXT) | instid1(VALU_DEP_1)
	v_and_b32_e32 v3, 0x80000000, v3
	v_or3_b32 v76, v2, v3, v4
.LBB353_584:                            ;   in Loop: Header=BB353_15 Depth=1
	s_or_b32 exec_lo, exec_lo, s18
.LBB353_585:                            ;   in Loop: Header=BB353_15 Depth=1
	s_delay_alu instid0(SALU_CYCLE_1)
	s_or_b32 exec_lo, exec_lo, s17
.LBB353_586:                            ;   in Loop: Header=BB353_15 Depth=1
	s_delay_alu instid0(SALU_CYCLE_1) | instskip(NEXT) | instid1(SALU_CYCLE_1)
	s_or_b32 exec_lo, exec_lo, s16
	s_mov_b32 s16, exec_lo
	v_cmpx_lt_u64_e64 s[8:9], v[0:1]
	s_cbranch_execz .LBB353_594
; %bb.587:                              ;   in Loop: Header=BB353_15 Depth=1
	v_lshrrev_b32_e32 v2, 24, v1
	v_bfrev_b32_e32 v77, 1
	s_mov_b32 s17, exec_lo
	s_delay_alu instid0(VALU_DEP_2)
	v_cmpx_ne_u32_e32 0x80, v2
	s_cbranch_execz .LBB353_593
; %bb.588:                              ;   in Loop: Header=BB353_15 Depth=1
	v_bfe_u32 v0, v1, 24, 7
	v_mov_b32_e32 v77, 0x7f800001
	s_mov_b32 s18, exec_lo
	s_delay_alu instid0(VALU_DEP_2)
	v_cmpx_ne_u32_e32 0x7f, v0
	s_cbranch_execz .LBB353_592
; %bb.589:                              ;   in Loop: Header=BB353_15 Depth=1
	v_dual_lshrrev_b32 v3, 3, v0 :: v_dual_bitop2_b32 v52, 7, v2 bitop3:0x40
	v_cmp_gt_u32_e64 s1, 8, v0
	s_delay_alu instid0(VALU_DEP_2)
	v_mov_b64_e32 v[0:1], v[52:53]
	s_and_saveexec_b32 s19, s1
; %bb.590:                              ;   in Loop: Header=BB353_15 Depth=1
	v_clz_i32_u32_e32 v0, v52
	s_delay_alu instid0(VALU_DEP_1) | instskip(NEXT) | instid1(VALU_DEP_1)
	v_min_u32_e32 v3, 32, v0
	v_subrev_nc_u32_e32 v0, 28, v3
	s_delay_alu instid0(VALU_DEP_1) | instskip(NEXT) | instid1(VALU_DEP_1)
	v_lshlrev_b64_e32 v[0:1], v0, v[52:53]
	v_dual_sub_nc_u32 v3, 29, v3 :: v_dual_bitop2_b32 v0, 7, v0 bitop3:0x40
; %bb.591:                              ;   in Loop: Header=BB353_15 Depth=1
	s_or_b32 exec_lo, exec_lo, s19
	s_delay_alu instid0(VALU_DEP_1) | instskip(NEXT) | instid1(VALU_DEP_2)
	v_dual_lshlrev_b32 v1, 24, v2 :: v_dual_lshlrev_b32 v0, 20, v0
	v_lshl_add_u32 v2, v3, 23, 0x3c000000
	s_delay_alu instid0(VALU_DEP_2) | instskip(NEXT) | instid1(VALU_DEP_1)
	v_and_b32_e32 v1, 0x80000000, v1
	v_or3_b32 v77, v0, v1, v2
.LBB353_592:                            ;   in Loop: Header=BB353_15 Depth=1
	s_or_b32 exec_lo, exec_lo, s18
.LBB353_593:                            ;   in Loop: Header=BB353_15 Depth=1
	s_delay_alu instid0(SALU_CYCLE_1)
	s_or_b32 exec_lo, exec_lo, s17
.LBB353_594:                            ;   in Loop: Header=BB353_15 Depth=1
	s_delay_alu instid0(SALU_CYCLE_1)
	s_or_b32 exec_lo, exec_lo, s16
	flat_load_b64 v[0:1], v[112:113] offset:2056
	v_dual_mov_b32 v79, 0 :: v_dual_mov_b32 v78, 0
	s_mov_b32 s16, exec_lo
	s_wait_loadcnt_dscnt 0x0
	v_and_b32_e32 v2, 0xff, v0
	s_wait_xcnt 0x0
	s_delay_alu instid0(VALU_DEP_1)
	v_cmpx_ne_u16_e32 0, v2
	s_cbranch_execz .LBB353_602
; %bb.595:                              ;   in Loop: Header=BB353_15 Depth=1
	v_bfrev_b32_e32 v78, 1
	s_mov_b32 s17, exec_lo
	v_cmpx_ne_u16_e32 0x80, v2
	s_cbranch_execz .LBB353_601
; %bb.596:                              ;   in Loop: Header=BB353_15 Depth=1
	v_and_b32_e32 v2, 0x7f, v0
	v_mov_b32_e32 v78, 0x7f800001
	s_mov_b32 s18, exec_lo
	s_delay_alu instid0(VALU_DEP_2)
	v_cmpx_ne_u32_e32 0x7f, v2
	s_cbranch_execz .LBB353_600
; %bb.597:                              ;   in Loop: Header=BB353_15 Depth=1
	v_lshrrev_b32_e32 v4, 3, v2
	v_cmp_gt_u32_e64 s1, 8, v2
	v_mov_b64_e32 v[2:3], v[0:1]
	s_and_saveexec_b32 s19, s1
; %bb.598:                              ;   in Loop: Header=BB353_15 Depth=1
	v_and_b32_e32 v2, 7, v0
	s_delay_alu instid0(VALU_DEP_1) | instskip(NEXT) | instid1(VALU_DEP_1)
	v_clz_i32_u32_e32 v2, v2
	v_min_u32_e32 v4, 32, v2
	s_delay_alu instid0(VALU_DEP_1) | instskip(SKIP_1) | instid1(VALU_DEP_2)
	v_subrev_nc_u32_e32 v2, 28, v4
	v_sub_nc_u32_e32 v4, 29, v4
	v_lshlrev_b64_e32 v[2:3], v2, v[0:1]
; %bb.599:                              ;   in Loop: Header=BB353_15 Depth=1
	s_or_b32 exec_lo, exec_lo, s19
	s_delay_alu instid0(VALU_DEP_1) | instskip(NEXT) | instid1(VALU_DEP_3)
	v_dual_lshlrev_b32 v2, 20, v2 :: v_dual_lshlrev_b32 v3, 24, v0
	v_lshl_add_u32 v4, v4, 23, 0x3c000000
	s_delay_alu instid0(VALU_DEP_2) | instskip(NEXT) | instid1(VALU_DEP_3)
	v_and_b32_e32 v2, 0x700000, v2
	v_and_b32_e32 v3, 0x80000000, v3
	s_delay_alu instid0(VALU_DEP_1)
	v_or3_b32 v78, v2, v3, v4
.LBB353_600:                            ;   in Loop: Header=BB353_15 Depth=1
	s_or_b32 exec_lo, exec_lo, s18
.LBB353_601:                            ;   in Loop: Header=BB353_15 Depth=1
	s_delay_alu instid0(SALU_CYCLE_1)
	s_or_b32 exec_lo, exec_lo, s17
.LBB353_602:                            ;   in Loop: Header=BB353_15 Depth=1
	s_delay_alu instid0(SALU_CYCLE_1) | instskip(SKIP_2) | instid1(VALU_DEP_1)
	s_or_b32 exec_lo, exec_lo, s16
	v_lshrrev_b16 v2, 8, v0
	s_mov_b32 s16, exec_lo
	v_cmpx_ne_u16_e32 0, v2
	s_cbranch_execz .LBB353_610
; %bb.603:                              ;   in Loop: Header=BB353_15 Depth=1
	v_bfrev_b32_e32 v79, 1
	s_mov_b32 s17, exec_lo
	v_cmpx_ne_u16_e32 0x80, v2
	s_cbranch_execz .LBB353_609
; %bb.604:                              ;   in Loop: Header=BB353_15 Depth=1
	v_and_b32_e32 v3, 0xffff, v2
	v_mov_b32_e32 v79, 0x7f800001
	s_mov_b32 s18, exec_lo
	s_delay_alu instid0(VALU_DEP_2) | instskip(NEXT) | instid1(VALU_DEP_1)
	v_and_b32_e32 v2, 0x7f, v3
	v_cmpx_ne_u32_e32 0x7f, v2
	s_cbranch_execz .LBB353_608
; %bb.605:                              ;   in Loop: Header=BB353_15 Depth=1
	v_dual_lshrrev_b32 v4, 3, v2 :: v_dual_bitop2_b32 v52, 7, v3 bitop3:0x40
	v_cmp_gt_u32_e64 s1, 8, v2
	s_delay_alu instid0(VALU_DEP_2)
	v_mov_b64_e32 v[2:3], v[52:53]
	s_and_saveexec_b32 s19, s1
; %bb.606:                              ;   in Loop: Header=BB353_15 Depth=1
	v_clz_i32_u32_e32 v2, v52
	s_delay_alu instid0(VALU_DEP_1) | instskip(NEXT) | instid1(VALU_DEP_1)
	v_min_u32_e32 v4, 32, v2
	v_subrev_nc_u32_e32 v2, 28, v4
	s_delay_alu instid0(VALU_DEP_1) | instskip(NEXT) | instid1(VALU_DEP_1)
	v_lshlrev_b64_e32 v[2:3], v2, v[52:53]
	v_dual_sub_nc_u32 v4, 29, v4 :: v_dual_bitop2_b32 v2, 7, v2 bitop3:0x40
; %bb.607:                              ;   in Loop: Header=BB353_15 Depth=1
	s_or_b32 exec_lo, exec_lo, s19
	s_delay_alu instid0(VALU_DEP_1) | instskip(NEXT) | instid1(VALU_DEP_2)
	v_dual_lshlrev_b32 v3, 16, v0 :: v_dual_lshlrev_b32 v2, 20, v2
	v_lshl_add_u32 v4, v4, 23, 0x3c000000
	s_delay_alu instid0(VALU_DEP_2) | instskip(NEXT) | instid1(VALU_DEP_1)
	v_and_b32_e32 v3, 0x80000000, v3
	v_or3_b32 v79, v2, v3, v4
.LBB353_608:                            ;   in Loop: Header=BB353_15 Depth=1
	s_or_b32 exec_lo, exec_lo, s18
.LBB353_609:                            ;   in Loop: Header=BB353_15 Depth=1
	s_delay_alu instid0(SALU_CYCLE_1)
	s_or_b32 exec_lo, exec_lo, s17
.LBB353_610:                            ;   in Loop: Header=BB353_15 Depth=1
	s_delay_alu instid0(SALU_CYCLE_1) | instskip(SKIP_3) | instid1(VALU_DEP_2)
	s_or_b32 exec_lo, exec_lo, s16
	v_dual_mov_b32 v89, 0 :: v_dual_lshrrev_b32 v4, 16, v0
	v_mov_b32_e32 v88, 0
	s_mov_b32 s16, exec_lo
	v_and_b32_e32 v2, 0xff, v4
	s_delay_alu instid0(VALU_DEP_1)
	v_cmpx_ne_u16_e32 0, v2
	s_cbranch_execz .LBB353_618
; %bb.611:                              ;   in Loop: Header=BB353_15 Depth=1
	v_bfrev_b32_e32 v88, 1
	s_mov_b32 s17, exec_lo
	v_cmpx_ne_u16_e32 0x80, v2
	s_cbranch_execz .LBB353_617
; %bb.612:                              ;   in Loop: Header=BB353_15 Depth=1
	v_bfe_u32 v2, v0, 16, 7
	v_mov_b32_e32 v88, 0x7f800001
	s_mov_b32 s18, exec_lo
	s_delay_alu instid0(VALU_DEP_2)
	v_cmpx_ne_u32_e32 0x7f, v2
	s_cbranch_execz .LBB353_616
; %bb.613:                              ;   in Loop: Header=BB353_15 Depth=1
	v_dual_lshrrev_b32 v5, 3, v2 :: v_dual_bitop2_b32 v52, 7, v4 bitop3:0x40
	v_cmp_gt_u32_e64 s1, 8, v2
	s_delay_alu instid0(VALU_DEP_2)
	v_mov_b64_e32 v[2:3], v[52:53]
	s_and_saveexec_b32 s19, s1
; %bb.614:                              ;   in Loop: Header=BB353_15 Depth=1
	v_clz_i32_u32_e32 v2, v52
	s_delay_alu instid0(VALU_DEP_1) | instskip(NEXT) | instid1(VALU_DEP_1)
	v_min_u32_e32 v5, 32, v2
	v_subrev_nc_u32_e32 v2, 28, v5
	s_delay_alu instid0(VALU_DEP_1) | instskip(NEXT) | instid1(VALU_DEP_1)
	v_lshlrev_b64_e32 v[2:3], v2, v[52:53]
	v_dual_sub_nc_u32 v5, 29, v5 :: v_dual_bitop2_b32 v2, 7, v2 bitop3:0x40
; %bb.615:                              ;   in Loop: Header=BB353_15 Depth=1
	s_or_b32 exec_lo, exec_lo, s19
	s_delay_alu instid0(VALU_DEP_1) | instskip(NEXT) | instid1(VALU_DEP_2)
	v_dual_lshlrev_b32 v3, 24, v4 :: v_dual_lshlrev_b32 v2, 20, v2
	v_lshl_add_u32 v4, v5, 23, 0x3c000000
	s_delay_alu instid0(VALU_DEP_2) | instskip(NEXT) | instid1(VALU_DEP_1)
	v_and_b32_e32 v3, 0x80000000, v3
	v_or3_b32 v88, v2, v3, v4
.LBB353_616:                            ;   in Loop: Header=BB353_15 Depth=1
	s_or_b32 exec_lo, exec_lo, s18
.LBB353_617:                            ;   in Loop: Header=BB353_15 Depth=1
	s_delay_alu instid0(SALU_CYCLE_1)
	s_or_b32 exec_lo, exec_lo, s17
.LBB353_618:                            ;   in Loop: Header=BB353_15 Depth=1
	s_delay_alu instid0(SALU_CYCLE_1) | instskip(NEXT) | instid1(SALU_CYCLE_1)
	s_or_b32 exec_lo, exec_lo, s16
	s_mov_b32 s16, exec_lo
	v_cmpx_lt_u32_e32 0xffffff, v0
	s_cbranch_execz .LBB353_626
; %bb.619:                              ;   in Loop: Header=BB353_15 Depth=1
	v_lshrrev_b32_e32 v4, 24, v0
	v_bfrev_b32_e32 v89, 1
	s_mov_b32 s17, exec_lo
	s_delay_alu instid0(VALU_DEP_2)
	v_cmpx_ne_u32_e32 0x80, v4
	s_cbranch_execz .LBB353_625
; %bb.620:                              ;   in Loop: Header=BB353_15 Depth=1
	v_bfe_u32 v2, v0, 24, 7
	v_mov_b32_e32 v89, 0x7f800001
	s_mov_b32 s18, exec_lo
	s_delay_alu instid0(VALU_DEP_2)
	v_cmpx_ne_u32_e32 0x7f, v2
	s_cbranch_execz .LBB353_624
; %bb.621:                              ;   in Loop: Header=BB353_15 Depth=1
	v_dual_lshrrev_b32 v5, 3, v2 :: v_dual_bitop2_b32 v52, 7, v4 bitop3:0x40
	v_cmp_gt_u32_e64 s1, 8, v2
	s_delay_alu instid0(VALU_DEP_2)
	v_mov_b64_e32 v[2:3], v[52:53]
	s_and_saveexec_b32 s19, s1
; %bb.622:                              ;   in Loop: Header=BB353_15 Depth=1
	v_clz_i32_u32_e32 v2, v52
	s_delay_alu instid0(VALU_DEP_1) | instskip(NEXT) | instid1(VALU_DEP_1)
	v_min_u32_e32 v5, 32, v2
	v_subrev_nc_u32_e32 v2, 28, v5
	s_delay_alu instid0(VALU_DEP_1) | instskip(NEXT) | instid1(VALU_DEP_1)
	v_lshlrev_b64_e32 v[2:3], v2, v[52:53]
	v_dual_sub_nc_u32 v5, 29, v5 :: v_dual_bitop2_b32 v2, 7, v2 bitop3:0x40
; %bb.623:                              ;   in Loop: Header=BB353_15 Depth=1
	s_or_b32 exec_lo, exec_lo, s19
	s_delay_alu instid0(VALU_DEP_1) | instskip(NEXT) | instid1(VALU_DEP_2)
	v_dual_lshlrev_b32 v3, 24, v4 :: v_dual_lshlrev_b32 v2, 20, v2
	v_lshl_add_u32 v4, v5, 23, 0x3c000000
	s_delay_alu instid0(VALU_DEP_2) | instskip(NEXT) | instid1(VALU_DEP_1)
	v_and_b32_e32 v3, 0x80000000, v3
	v_or3_b32 v89, v2, v3, v4
.LBB353_624:                            ;   in Loop: Header=BB353_15 Depth=1
	s_or_b32 exec_lo, exec_lo, s18
.LBB353_625:                            ;   in Loop: Header=BB353_15 Depth=1
	s_delay_alu instid0(SALU_CYCLE_1)
	s_or_b32 exec_lo, exec_lo, s17
.LBB353_626:                            ;   in Loop: Header=BB353_15 Depth=1
	s_delay_alu instid0(SALU_CYCLE_1) | instskip(SKIP_4) | instid1(VALU_DEP_3)
	s_or_b32 exec_lo, exec_lo, s16
	v_and_b32_e32 v2, 0xff, v1
	v_dual_mov_b32 v52, v1 :: v_dual_mov_b32 v91, 0
	v_mov_b32_e32 v90, 0
	s_mov_b32 s16, exec_lo
	v_cmpx_ne_u16_e32 0, v2
	s_cbranch_execz .LBB353_634
; %bb.627:                              ;   in Loop: Header=BB353_15 Depth=1
	v_bfrev_b32_e32 v90, 1
	s_mov_b32 s17, exec_lo
	v_cmpx_ne_u16_e32 0x80, v2
	s_cbranch_execz .LBB353_633
; %bb.628:                              ;   in Loop: Header=BB353_15 Depth=1
	v_and_b32_e32 v2, 0x7f, v1
	v_mov_b32_e32 v90, 0x7f800001
	s_mov_b32 s18, exec_lo
	s_delay_alu instid0(VALU_DEP_2)
	v_cmpx_ne_u32_e32 0x7f, v2
	s_cbranch_execz .LBB353_632
; %bb.629:                              ;   in Loop: Header=BB353_15 Depth=1
	v_lshrrev_b32_e32 v4, 3, v2
	v_cmp_gt_u32_e64 s1, 8, v2
	v_mov_b64_e32 v[2:3], v[52:53]
	s_and_saveexec_b32 s19, s1
; %bb.630:                              ;   in Loop: Header=BB353_15 Depth=1
	v_and_b32_e32 v2, 7, v1
	s_delay_alu instid0(VALU_DEP_1) | instskip(NEXT) | instid1(VALU_DEP_1)
	v_clz_i32_u32_e32 v2, v2
	v_min_u32_e32 v4, 32, v2
	s_delay_alu instid0(VALU_DEP_1) | instskip(SKIP_1) | instid1(VALU_DEP_2)
	v_subrev_nc_u32_e32 v2, 28, v4
	v_sub_nc_u32_e32 v4, 29, v4
	v_lshlrev_b64_e32 v[2:3], v2, v[52:53]
; %bb.631:                              ;   in Loop: Header=BB353_15 Depth=1
	s_or_b32 exec_lo, exec_lo, s19
	s_delay_alu instid0(VALU_DEP_1) | instskip(NEXT) | instid1(VALU_DEP_3)
	v_dual_lshlrev_b32 v2, 20, v2 :: v_dual_lshlrev_b32 v3, 24, v52
	v_lshl_add_u32 v4, v4, 23, 0x3c000000
	s_delay_alu instid0(VALU_DEP_2) | instskip(NEXT) | instid1(VALU_DEP_3)
	v_and_b32_e32 v2, 0x700000, v2
	v_and_b32_e32 v3, 0x80000000, v3
	s_delay_alu instid0(VALU_DEP_1)
	v_or3_b32 v90, v2, v3, v4
.LBB353_632:                            ;   in Loop: Header=BB353_15 Depth=1
	s_or_b32 exec_lo, exec_lo, s18
.LBB353_633:                            ;   in Loop: Header=BB353_15 Depth=1
	s_delay_alu instid0(SALU_CYCLE_1)
	s_or_b32 exec_lo, exec_lo, s17
.LBB353_634:                            ;   in Loop: Header=BB353_15 Depth=1
	s_delay_alu instid0(SALU_CYCLE_1) | instskip(SKIP_2) | instid1(VALU_DEP_1)
	s_or_b32 exec_lo, exec_lo, s16
	v_lshrrev_b16 v2, 8, v52
	s_mov_b32 s16, exec_lo
	v_cmpx_ne_u16_e32 0, v2
	s_cbranch_execz .LBB353_642
; %bb.635:                              ;   in Loop: Header=BB353_15 Depth=1
	v_bfrev_b32_e32 v91, 1
	s_mov_b32 s17, exec_lo
	v_cmpx_ne_u16_e32 0x80, v2
	s_cbranch_execz .LBB353_641
; %bb.636:                              ;   in Loop: Header=BB353_15 Depth=1
	v_and_b32_e32 v2, 0xffff, v2
	v_mov_b32_e32 v91, 0x7f800001
	s_mov_b32 s18, exec_lo
	s_delay_alu instid0(VALU_DEP_2) | instskip(NEXT) | instid1(VALU_DEP_1)
	v_and_b32_e32 v5, 0x7f, v2
	v_cmpx_ne_u32_e32 0x7f, v5
	s_cbranch_execz .LBB353_640
; %bb.637:                              ;   in Loop: Header=BB353_15 Depth=1
	v_dual_mov_b32 v3, v53 :: v_dual_bitop2_b32 v2, 7, v2 bitop3:0x40
	v_lshrrev_b32_e32 v4, 3, v5
	s_mov_b32 s19, exec_lo
	v_cmpx_gt_u32_e32 8, v5
; %bb.638:                              ;   in Loop: Header=BB353_15 Depth=1
	s_delay_alu instid0(VALU_DEP_3) | instskip(NEXT) | instid1(VALU_DEP_1)
	v_clz_i32_u32_e32 v4, v2
	v_min_u32_e32 v4, 32, v4
	s_delay_alu instid0(VALU_DEP_1) | instskip(NEXT) | instid1(VALU_DEP_1)
	v_subrev_nc_u32_e32 v5, 28, v4
	v_lshlrev_b64_e32 v[2:3], v5, v[2:3]
	s_delay_alu instid0(VALU_DEP_1)
	v_dual_sub_nc_u32 v4, 29, v4 :: v_dual_bitop2_b32 v2, 7, v2 bitop3:0x40
; %bb.639:                              ;   in Loop: Header=BB353_15 Depth=1
	s_or_b32 exec_lo, exec_lo, s19
	s_delay_alu instid0(VALU_DEP_1) | instskip(NEXT) | instid1(VALU_DEP_2)
	v_dual_lshlrev_b32 v3, 16, v52 :: v_dual_lshlrev_b32 v2, 20, v2
	v_lshl_add_u32 v4, v4, 23, 0x3c000000
	s_delay_alu instid0(VALU_DEP_2) | instskip(NEXT) | instid1(VALU_DEP_1)
	v_and_b32_e32 v3, 0x80000000, v3
	v_or3_b32 v91, v2, v3, v4
.LBB353_640:                            ;   in Loop: Header=BB353_15 Depth=1
	s_or_b32 exec_lo, exec_lo, s18
.LBB353_641:                            ;   in Loop: Header=BB353_15 Depth=1
	s_delay_alu instid0(SALU_CYCLE_1)
	s_or_b32 exec_lo, exec_lo, s17
.LBB353_642:                            ;   in Loop: Header=BB353_15 Depth=1
	s_delay_alu instid0(SALU_CYCLE_1) | instskip(SKIP_3) | instid1(VALU_DEP_2)
	s_or_b32 exec_lo, exec_lo, s16
	v_dual_mov_b32 v93, 0 :: v_dual_lshrrev_b32 v4, 16, v1
	v_mov_b32_e32 v92, 0
	s_mov_b32 s16, exec_lo
	v_and_b32_e32 v2, 0xff, v4
	s_delay_alu instid0(VALU_DEP_1)
	v_cmpx_ne_u16_e32 0, v2
	s_cbranch_execz .LBB353_650
; %bb.643:                              ;   in Loop: Header=BB353_15 Depth=1
	v_bfrev_b32_e32 v92, 1
	s_mov_b32 s17, exec_lo
	v_cmpx_ne_u16_e32 0x80, v2
	s_cbranch_execz .LBB353_649
; %bb.644:                              ;   in Loop: Header=BB353_15 Depth=1
	v_bfe_u32 v2, v1, 16, 7
	v_mov_b32_e32 v92, 0x7f800001
	s_mov_b32 s18, exec_lo
	s_delay_alu instid0(VALU_DEP_2)
	v_cmpx_ne_u32_e32 0x7f, v2
	s_cbranch_execz .LBB353_648
; %bb.645:                              ;   in Loop: Header=BB353_15 Depth=1
	v_dual_lshrrev_b32 v5, 3, v2 :: v_dual_bitop2_b32 v52, 7, v4 bitop3:0x40
	v_cmp_gt_u32_e64 s1, 8, v2
	s_delay_alu instid0(VALU_DEP_2)
	v_mov_b64_e32 v[2:3], v[52:53]
	s_and_saveexec_b32 s19, s1
; %bb.646:                              ;   in Loop: Header=BB353_15 Depth=1
	v_clz_i32_u32_e32 v2, v52
	s_delay_alu instid0(VALU_DEP_1) | instskip(NEXT) | instid1(VALU_DEP_1)
	v_min_u32_e32 v5, 32, v2
	v_subrev_nc_u32_e32 v2, 28, v5
	s_delay_alu instid0(VALU_DEP_1) | instskip(NEXT) | instid1(VALU_DEP_1)
	v_lshlrev_b64_e32 v[2:3], v2, v[52:53]
	v_dual_sub_nc_u32 v5, 29, v5 :: v_dual_bitop2_b32 v2, 7, v2 bitop3:0x40
; %bb.647:                              ;   in Loop: Header=BB353_15 Depth=1
	s_or_b32 exec_lo, exec_lo, s19
	s_delay_alu instid0(VALU_DEP_1) | instskip(NEXT) | instid1(VALU_DEP_2)
	v_dual_lshlrev_b32 v3, 24, v4 :: v_dual_lshlrev_b32 v2, 20, v2
	v_lshl_add_u32 v4, v5, 23, 0x3c000000
	s_delay_alu instid0(VALU_DEP_2) | instskip(NEXT) | instid1(VALU_DEP_1)
	v_and_b32_e32 v3, 0x80000000, v3
	v_or3_b32 v92, v2, v3, v4
.LBB353_648:                            ;   in Loop: Header=BB353_15 Depth=1
	s_or_b32 exec_lo, exec_lo, s18
.LBB353_649:                            ;   in Loop: Header=BB353_15 Depth=1
	s_delay_alu instid0(SALU_CYCLE_1)
	s_or_b32 exec_lo, exec_lo, s17
.LBB353_650:                            ;   in Loop: Header=BB353_15 Depth=1
	s_delay_alu instid0(SALU_CYCLE_1) | instskip(NEXT) | instid1(SALU_CYCLE_1)
	s_or_b32 exec_lo, exec_lo, s16
	s_mov_b32 s16, exec_lo
	v_cmpx_lt_u64_e64 s[8:9], v[0:1]
	s_cbranch_execz .LBB353_658
; %bb.651:                              ;   in Loop: Header=BB353_15 Depth=1
	v_lshrrev_b32_e32 v2, 24, v1
	v_bfrev_b32_e32 v93, 1
	s_mov_b32 s17, exec_lo
	s_delay_alu instid0(VALU_DEP_2)
	v_cmpx_ne_u32_e32 0x80, v2
	s_cbranch_execz .LBB353_657
; %bb.652:                              ;   in Loop: Header=BB353_15 Depth=1
	v_bfe_u32 v0, v1, 24, 7
	v_mov_b32_e32 v93, 0x7f800001
	s_mov_b32 s18, exec_lo
	s_delay_alu instid0(VALU_DEP_2)
	v_cmpx_ne_u32_e32 0x7f, v0
	s_cbranch_execz .LBB353_656
; %bb.653:                              ;   in Loop: Header=BB353_15 Depth=1
	v_dual_lshrrev_b32 v3, 3, v0 :: v_dual_bitop2_b32 v52, 7, v2 bitop3:0x40
	v_cmp_gt_u32_e64 s1, 8, v0
	s_delay_alu instid0(VALU_DEP_2)
	v_mov_b64_e32 v[0:1], v[52:53]
	s_and_saveexec_b32 s19, s1
; %bb.654:                              ;   in Loop: Header=BB353_15 Depth=1
	v_clz_i32_u32_e32 v0, v52
	s_delay_alu instid0(VALU_DEP_1) | instskip(NEXT) | instid1(VALU_DEP_1)
	v_min_u32_e32 v3, 32, v0
	v_subrev_nc_u32_e32 v0, 28, v3
	s_delay_alu instid0(VALU_DEP_1) | instskip(NEXT) | instid1(VALU_DEP_1)
	v_lshlrev_b64_e32 v[0:1], v0, v[52:53]
	v_dual_sub_nc_u32 v3, 29, v3 :: v_dual_bitop2_b32 v0, 7, v0 bitop3:0x40
; %bb.655:                              ;   in Loop: Header=BB353_15 Depth=1
	s_or_b32 exec_lo, exec_lo, s19
	s_delay_alu instid0(VALU_DEP_1) | instskip(NEXT) | instid1(VALU_DEP_2)
	v_dual_lshlrev_b32 v1, 24, v2 :: v_dual_lshlrev_b32 v0, 20, v0
	v_lshl_add_u32 v2, v3, 23, 0x3c000000
	s_delay_alu instid0(VALU_DEP_2) | instskip(NEXT) | instid1(VALU_DEP_1)
	v_and_b32_e32 v1, 0x80000000, v1
	v_or3_b32 v93, v0, v1, v2
.LBB353_656:                            ;   in Loop: Header=BB353_15 Depth=1
	s_or_b32 exec_lo, exec_lo, s18
.LBB353_657:                            ;   in Loop: Header=BB353_15 Depth=1
	s_delay_alu instid0(SALU_CYCLE_1)
	s_or_b32 exec_lo, exec_lo, s17
.LBB353_658:                            ;   in Loop: Header=BB353_15 Depth=1
	s_delay_alu instid0(SALU_CYCLE_1)
	s_or_b32 exec_lo, exec_lo, s16
	flat_load_b64 v[0:1], v[112:113] offset:2560
	v_dual_mov_b32 v95, 0 :: v_dual_mov_b32 v94, 0
	s_mov_b32 s16, exec_lo
	s_wait_loadcnt_dscnt 0x0
	v_and_b32_e32 v2, 0xff, v0
	s_wait_xcnt 0x0
	s_delay_alu instid0(VALU_DEP_1)
	v_cmpx_ne_u16_e32 0, v2
	s_cbranch_execz .LBB353_666
; %bb.659:                              ;   in Loop: Header=BB353_15 Depth=1
	v_bfrev_b32_e32 v94, 1
	s_mov_b32 s17, exec_lo
	v_cmpx_ne_u16_e32 0x80, v2
	s_cbranch_execz .LBB353_665
; %bb.660:                              ;   in Loop: Header=BB353_15 Depth=1
	v_and_b32_e32 v2, 0x7f, v0
	v_mov_b32_e32 v94, 0x7f800001
	s_mov_b32 s18, exec_lo
	s_delay_alu instid0(VALU_DEP_2)
	v_cmpx_ne_u32_e32 0x7f, v2
	s_cbranch_execz .LBB353_664
; %bb.661:                              ;   in Loop: Header=BB353_15 Depth=1
	v_lshrrev_b32_e32 v4, 3, v2
	v_cmp_gt_u32_e64 s1, 8, v2
	v_mov_b64_e32 v[2:3], v[0:1]
	s_and_saveexec_b32 s19, s1
; %bb.662:                              ;   in Loop: Header=BB353_15 Depth=1
	v_and_b32_e32 v2, 7, v0
	s_delay_alu instid0(VALU_DEP_1) | instskip(NEXT) | instid1(VALU_DEP_1)
	v_clz_i32_u32_e32 v2, v2
	v_min_u32_e32 v4, 32, v2
	s_delay_alu instid0(VALU_DEP_1) | instskip(SKIP_1) | instid1(VALU_DEP_2)
	v_subrev_nc_u32_e32 v2, 28, v4
	v_sub_nc_u32_e32 v4, 29, v4
	v_lshlrev_b64_e32 v[2:3], v2, v[0:1]
; %bb.663:                              ;   in Loop: Header=BB353_15 Depth=1
	s_or_b32 exec_lo, exec_lo, s19
	s_delay_alu instid0(VALU_DEP_1) | instskip(NEXT) | instid1(VALU_DEP_3)
	v_dual_lshlrev_b32 v2, 20, v2 :: v_dual_lshlrev_b32 v3, 24, v0
	v_lshl_add_u32 v4, v4, 23, 0x3c000000
	s_delay_alu instid0(VALU_DEP_2) | instskip(NEXT) | instid1(VALU_DEP_3)
	v_and_b32_e32 v2, 0x700000, v2
	v_and_b32_e32 v3, 0x80000000, v3
	s_delay_alu instid0(VALU_DEP_1)
	v_or3_b32 v94, v2, v3, v4
.LBB353_664:                            ;   in Loop: Header=BB353_15 Depth=1
	s_or_b32 exec_lo, exec_lo, s18
.LBB353_665:                            ;   in Loop: Header=BB353_15 Depth=1
	s_delay_alu instid0(SALU_CYCLE_1)
	s_or_b32 exec_lo, exec_lo, s17
.LBB353_666:                            ;   in Loop: Header=BB353_15 Depth=1
	s_delay_alu instid0(SALU_CYCLE_1) | instskip(SKIP_2) | instid1(VALU_DEP_1)
	s_or_b32 exec_lo, exec_lo, s16
	v_lshrrev_b16 v2, 8, v0
	s_mov_b32 s16, exec_lo
	v_cmpx_ne_u16_e32 0, v2
	s_cbranch_execz .LBB353_674
; %bb.667:                              ;   in Loop: Header=BB353_15 Depth=1
	v_bfrev_b32_e32 v95, 1
	s_mov_b32 s17, exec_lo
	v_cmpx_ne_u16_e32 0x80, v2
	s_cbranch_execz .LBB353_673
; %bb.668:                              ;   in Loop: Header=BB353_15 Depth=1
	v_and_b32_e32 v3, 0xffff, v2
	v_mov_b32_e32 v95, 0x7f800001
	s_mov_b32 s18, exec_lo
	s_delay_alu instid0(VALU_DEP_2) | instskip(NEXT) | instid1(VALU_DEP_1)
	v_and_b32_e32 v2, 0x7f, v3
	v_cmpx_ne_u32_e32 0x7f, v2
	s_cbranch_execz .LBB353_672
; %bb.669:                              ;   in Loop: Header=BB353_15 Depth=1
	v_dual_lshrrev_b32 v4, 3, v2 :: v_dual_bitop2_b32 v52, 7, v3 bitop3:0x40
	v_cmp_gt_u32_e64 s1, 8, v2
	s_delay_alu instid0(VALU_DEP_2)
	v_mov_b64_e32 v[2:3], v[52:53]
	s_and_saveexec_b32 s19, s1
; %bb.670:                              ;   in Loop: Header=BB353_15 Depth=1
	v_clz_i32_u32_e32 v2, v52
	s_delay_alu instid0(VALU_DEP_1) | instskip(NEXT) | instid1(VALU_DEP_1)
	v_min_u32_e32 v4, 32, v2
	v_subrev_nc_u32_e32 v2, 28, v4
	s_delay_alu instid0(VALU_DEP_1) | instskip(NEXT) | instid1(VALU_DEP_1)
	v_lshlrev_b64_e32 v[2:3], v2, v[52:53]
	v_dual_sub_nc_u32 v4, 29, v4 :: v_dual_bitop2_b32 v2, 7, v2 bitop3:0x40
; %bb.671:                              ;   in Loop: Header=BB353_15 Depth=1
	s_or_b32 exec_lo, exec_lo, s19
	s_delay_alu instid0(VALU_DEP_1) | instskip(NEXT) | instid1(VALU_DEP_2)
	v_dual_lshlrev_b32 v3, 16, v0 :: v_dual_lshlrev_b32 v2, 20, v2
	v_lshl_add_u32 v4, v4, 23, 0x3c000000
	s_delay_alu instid0(VALU_DEP_2) | instskip(NEXT) | instid1(VALU_DEP_1)
	v_and_b32_e32 v3, 0x80000000, v3
	v_or3_b32 v95, v2, v3, v4
.LBB353_672:                            ;   in Loop: Header=BB353_15 Depth=1
	s_or_b32 exec_lo, exec_lo, s18
.LBB353_673:                            ;   in Loop: Header=BB353_15 Depth=1
	s_delay_alu instid0(SALU_CYCLE_1)
	s_or_b32 exec_lo, exec_lo, s17
.LBB353_674:                            ;   in Loop: Header=BB353_15 Depth=1
	s_delay_alu instid0(SALU_CYCLE_1) | instskip(SKIP_3) | instid1(VALU_DEP_2)
	s_or_b32 exec_lo, exec_lo, s16
	v_dual_mov_b32 v105, 0 :: v_dual_lshrrev_b32 v4, 16, v0
	v_mov_b32_e32 v104, 0
	s_mov_b32 s16, exec_lo
	v_and_b32_e32 v2, 0xff, v4
	s_delay_alu instid0(VALU_DEP_1)
	v_cmpx_ne_u16_e32 0, v2
	s_cbranch_execz .LBB353_682
; %bb.675:                              ;   in Loop: Header=BB353_15 Depth=1
	v_bfrev_b32_e32 v104, 1
	s_mov_b32 s17, exec_lo
	v_cmpx_ne_u16_e32 0x80, v2
	s_cbranch_execz .LBB353_681
; %bb.676:                              ;   in Loop: Header=BB353_15 Depth=1
	v_bfe_u32 v2, v0, 16, 7
	v_mov_b32_e32 v104, 0x7f800001
	s_mov_b32 s18, exec_lo
	s_delay_alu instid0(VALU_DEP_2)
	v_cmpx_ne_u32_e32 0x7f, v2
	s_cbranch_execz .LBB353_680
; %bb.677:                              ;   in Loop: Header=BB353_15 Depth=1
	v_dual_lshrrev_b32 v5, 3, v2 :: v_dual_bitop2_b32 v52, 7, v4 bitop3:0x40
	v_cmp_gt_u32_e64 s1, 8, v2
	s_delay_alu instid0(VALU_DEP_2)
	v_mov_b64_e32 v[2:3], v[52:53]
	s_and_saveexec_b32 s19, s1
; %bb.678:                              ;   in Loop: Header=BB353_15 Depth=1
	v_clz_i32_u32_e32 v2, v52
	s_delay_alu instid0(VALU_DEP_1) | instskip(NEXT) | instid1(VALU_DEP_1)
	v_min_u32_e32 v5, 32, v2
	v_subrev_nc_u32_e32 v2, 28, v5
	s_delay_alu instid0(VALU_DEP_1) | instskip(NEXT) | instid1(VALU_DEP_1)
	v_lshlrev_b64_e32 v[2:3], v2, v[52:53]
	v_dual_sub_nc_u32 v5, 29, v5 :: v_dual_bitop2_b32 v2, 7, v2 bitop3:0x40
; %bb.679:                              ;   in Loop: Header=BB353_15 Depth=1
	s_or_b32 exec_lo, exec_lo, s19
	s_delay_alu instid0(VALU_DEP_1) | instskip(NEXT) | instid1(VALU_DEP_2)
	v_dual_lshlrev_b32 v3, 24, v4 :: v_dual_lshlrev_b32 v2, 20, v2
	v_lshl_add_u32 v4, v5, 23, 0x3c000000
	s_delay_alu instid0(VALU_DEP_2) | instskip(NEXT) | instid1(VALU_DEP_1)
	v_and_b32_e32 v3, 0x80000000, v3
	v_or3_b32 v104, v2, v3, v4
.LBB353_680:                            ;   in Loop: Header=BB353_15 Depth=1
	s_or_b32 exec_lo, exec_lo, s18
.LBB353_681:                            ;   in Loop: Header=BB353_15 Depth=1
	s_delay_alu instid0(SALU_CYCLE_1)
	s_or_b32 exec_lo, exec_lo, s17
.LBB353_682:                            ;   in Loop: Header=BB353_15 Depth=1
	s_delay_alu instid0(SALU_CYCLE_1) | instskip(NEXT) | instid1(SALU_CYCLE_1)
	s_or_b32 exec_lo, exec_lo, s16
	s_mov_b32 s16, exec_lo
	v_cmpx_lt_u32_e32 0xffffff, v0
	s_cbranch_execz .LBB353_690
; %bb.683:                              ;   in Loop: Header=BB353_15 Depth=1
	v_lshrrev_b32_e32 v4, 24, v0
	v_bfrev_b32_e32 v105, 1
	s_mov_b32 s17, exec_lo
	s_delay_alu instid0(VALU_DEP_2)
	v_cmpx_ne_u32_e32 0x80, v4
	s_cbranch_execz .LBB353_689
; %bb.684:                              ;   in Loop: Header=BB353_15 Depth=1
	v_bfe_u32 v2, v0, 24, 7
	v_mov_b32_e32 v105, 0x7f800001
	s_mov_b32 s18, exec_lo
	s_delay_alu instid0(VALU_DEP_2)
	v_cmpx_ne_u32_e32 0x7f, v2
	s_cbranch_execz .LBB353_688
; %bb.685:                              ;   in Loop: Header=BB353_15 Depth=1
	v_dual_lshrrev_b32 v5, 3, v2 :: v_dual_bitop2_b32 v52, 7, v4 bitop3:0x40
	v_cmp_gt_u32_e64 s1, 8, v2
	s_delay_alu instid0(VALU_DEP_2)
	v_mov_b64_e32 v[2:3], v[52:53]
	s_and_saveexec_b32 s19, s1
; %bb.686:                              ;   in Loop: Header=BB353_15 Depth=1
	v_clz_i32_u32_e32 v2, v52
	s_delay_alu instid0(VALU_DEP_1) | instskip(NEXT) | instid1(VALU_DEP_1)
	v_min_u32_e32 v5, 32, v2
	v_subrev_nc_u32_e32 v2, 28, v5
	s_delay_alu instid0(VALU_DEP_1) | instskip(NEXT) | instid1(VALU_DEP_1)
	v_lshlrev_b64_e32 v[2:3], v2, v[52:53]
	v_dual_sub_nc_u32 v5, 29, v5 :: v_dual_bitop2_b32 v2, 7, v2 bitop3:0x40
; %bb.687:                              ;   in Loop: Header=BB353_15 Depth=1
	s_or_b32 exec_lo, exec_lo, s19
	s_delay_alu instid0(VALU_DEP_1) | instskip(NEXT) | instid1(VALU_DEP_2)
	v_dual_lshlrev_b32 v3, 24, v4 :: v_dual_lshlrev_b32 v2, 20, v2
	v_lshl_add_u32 v4, v5, 23, 0x3c000000
	s_delay_alu instid0(VALU_DEP_2) | instskip(NEXT) | instid1(VALU_DEP_1)
	v_and_b32_e32 v3, 0x80000000, v3
	v_or3_b32 v105, v2, v3, v4
.LBB353_688:                            ;   in Loop: Header=BB353_15 Depth=1
	s_or_b32 exec_lo, exec_lo, s18
.LBB353_689:                            ;   in Loop: Header=BB353_15 Depth=1
	s_delay_alu instid0(SALU_CYCLE_1)
	s_or_b32 exec_lo, exec_lo, s17
.LBB353_690:                            ;   in Loop: Header=BB353_15 Depth=1
	s_delay_alu instid0(SALU_CYCLE_1) | instskip(SKIP_4) | instid1(VALU_DEP_3)
	s_or_b32 exec_lo, exec_lo, s16
	v_and_b32_e32 v2, 0xff, v1
	v_dual_mov_b32 v52, v1 :: v_dual_mov_b32 v107, 0
	v_mov_b32_e32 v106, 0
	s_mov_b32 s16, exec_lo
	v_cmpx_ne_u16_e32 0, v2
	s_cbranch_execz .LBB353_698
; %bb.691:                              ;   in Loop: Header=BB353_15 Depth=1
	v_bfrev_b32_e32 v106, 1
	s_mov_b32 s17, exec_lo
	v_cmpx_ne_u16_e32 0x80, v2
	s_cbranch_execz .LBB353_697
; %bb.692:                              ;   in Loop: Header=BB353_15 Depth=1
	v_and_b32_e32 v2, 0x7f, v1
	v_mov_b32_e32 v106, 0x7f800001
	s_mov_b32 s18, exec_lo
	s_delay_alu instid0(VALU_DEP_2)
	v_cmpx_ne_u32_e32 0x7f, v2
	s_cbranch_execz .LBB353_696
; %bb.693:                              ;   in Loop: Header=BB353_15 Depth=1
	v_lshrrev_b32_e32 v4, 3, v2
	v_cmp_gt_u32_e64 s1, 8, v2
	v_mov_b64_e32 v[2:3], v[52:53]
	s_and_saveexec_b32 s19, s1
; %bb.694:                              ;   in Loop: Header=BB353_15 Depth=1
	v_and_b32_e32 v2, 7, v1
	s_delay_alu instid0(VALU_DEP_1) | instskip(NEXT) | instid1(VALU_DEP_1)
	v_clz_i32_u32_e32 v2, v2
	v_min_u32_e32 v4, 32, v2
	s_delay_alu instid0(VALU_DEP_1) | instskip(SKIP_1) | instid1(VALU_DEP_2)
	v_subrev_nc_u32_e32 v2, 28, v4
	v_sub_nc_u32_e32 v4, 29, v4
	v_lshlrev_b64_e32 v[2:3], v2, v[52:53]
; %bb.695:                              ;   in Loop: Header=BB353_15 Depth=1
	s_or_b32 exec_lo, exec_lo, s19
	s_delay_alu instid0(VALU_DEP_1) | instskip(NEXT) | instid1(VALU_DEP_3)
	v_dual_lshlrev_b32 v2, 20, v2 :: v_dual_lshlrev_b32 v3, 24, v52
	v_lshl_add_u32 v4, v4, 23, 0x3c000000
	s_delay_alu instid0(VALU_DEP_2) | instskip(NEXT) | instid1(VALU_DEP_3)
	v_and_b32_e32 v2, 0x700000, v2
	v_and_b32_e32 v3, 0x80000000, v3
	s_delay_alu instid0(VALU_DEP_1)
	v_or3_b32 v106, v2, v3, v4
.LBB353_696:                            ;   in Loop: Header=BB353_15 Depth=1
	s_or_b32 exec_lo, exec_lo, s18
.LBB353_697:                            ;   in Loop: Header=BB353_15 Depth=1
	s_delay_alu instid0(SALU_CYCLE_1)
	s_or_b32 exec_lo, exec_lo, s17
.LBB353_698:                            ;   in Loop: Header=BB353_15 Depth=1
	s_delay_alu instid0(SALU_CYCLE_1) | instskip(SKIP_2) | instid1(VALU_DEP_1)
	s_or_b32 exec_lo, exec_lo, s16
	v_lshrrev_b16 v2, 8, v52
	s_mov_b32 s16, exec_lo
	v_cmpx_ne_u16_e32 0, v2
	s_cbranch_execz .LBB353_706
; %bb.699:                              ;   in Loop: Header=BB353_15 Depth=1
	v_bfrev_b32_e32 v107, 1
	s_mov_b32 s17, exec_lo
	v_cmpx_ne_u16_e32 0x80, v2
	s_cbranch_execz .LBB353_705
; %bb.700:                              ;   in Loop: Header=BB353_15 Depth=1
	v_and_b32_e32 v2, 0xffff, v2
	v_mov_b32_e32 v107, 0x7f800001
	s_mov_b32 s18, exec_lo
	s_delay_alu instid0(VALU_DEP_2) | instskip(NEXT) | instid1(VALU_DEP_1)
	v_and_b32_e32 v5, 0x7f, v2
	v_cmpx_ne_u32_e32 0x7f, v5
	s_cbranch_execz .LBB353_704
; %bb.701:                              ;   in Loop: Header=BB353_15 Depth=1
	v_dual_mov_b32 v3, v53 :: v_dual_bitop2_b32 v2, 7, v2 bitop3:0x40
	v_lshrrev_b32_e32 v4, 3, v5
	s_mov_b32 s19, exec_lo
	v_cmpx_gt_u32_e32 8, v5
; %bb.702:                              ;   in Loop: Header=BB353_15 Depth=1
	s_delay_alu instid0(VALU_DEP_3) | instskip(NEXT) | instid1(VALU_DEP_1)
	v_clz_i32_u32_e32 v4, v2
	v_min_u32_e32 v4, 32, v4
	s_delay_alu instid0(VALU_DEP_1) | instskip(NEXT) | instid1(VALU_DEP_1)
	v_subrev_nc_u32_e32 v5, 28, v4
	v_lshlrev_b64_e32 v[2:3], v5, v[2:3]
	s_delay_alu instid0(VALU_DEP_1)
	v_dual_sub_nc_u32 v4, 29, v4 :: v_dual_bitop2_b32 v2, 7, v2 bitop3:0x40
; %bb.703:                              ;   in Loop: Header=BB353_15 Depth=1
	s_or_b32 exec_lo, exec_lo, s19
	s_delay_alu instid0(VALU_DEP_1) | instskip(NEXT) | instid1(VALU_DEP_2)
	v_dual_lshlrev_b32 v3, 16, v52 :: v_dual_lshlrev_b32 v2, 20, v2
	v_lshl_add_u32 v4, v4, 23, 0x3c000000
	s_delay_alu instid0(VALU_DEP_2) | instskip(NEXT) | instid1(VALU_DEP_1)
	v_and_b32_e32 v3, 0x80000000, v3
	v_or3_b32 v107, v2, v3, v4
.LBB353_704:                            ;   in Loop: Header=BB353_15 Depth=1
	s_or_b32 exec_lo, exec_lo, s18
.LBB353_705:                            ;   in Loop: Header=BB353_15 Depth=1
	s_delay_alu instid0(SALU_CYCLE_1)
	s_or_b32 exec_lo, exec_lo, s17
.LBB353_706:                            ;   in Loop: Header=BB353_15 Depth=1
	s_delay_alu instid0(SALU_CYCLE_1) | instskip(SKIP_3) | instid1(VALU_DEP_2)
	s_or_b32 exec_lo, exec_lo, s16
	v_dual_mov_b32 v109, 0 :: v_dual_lshrrev_b32 v4, 16, v1
	v_mov_b32_e32 v108, 0
	s_mov_b32 s16, exec_lo
	v_and_b32_e32 v2, 0xff, v4
	s_delay_alu instid0(VALU_DEP_1)
	v_cmpx_ne_u16_e32 0, v2
	s_cbranch_execz .LBB353_714
; %bb.707:                              ;   in Loop: Header=BB353_15 Depth=1
	v_bfrev_b32_e32 v108, 1
	s_mov_b32 s17, exec_lo
	v_cmpx_ne_u16_e32 0x80, v2
	s_cbranch_execz .LBB353_713
; %bb.708:                              ;   in Loop: Header=BB353_15 Depth=1
	v_bfe_u32 v2, v1, 16, 7
	v_mov_b32_e32 v108, 0x7f800001
	s_mov_b32 s18, exec_lo
	s_delay_alu instid0(VALU_DEP_2)
	v_cmpx_ne_u32_e32 0x7f, v2
	s_cbranch_execz .LBB353_712
; %bb.709:                              ;   in Loop: Header=BB353_15 Depth=1
	v_dual_lshrrev_b32 v5, 3, v2 :: v_dual_bitop2_b32 v52, 7, v4 bitop3:0x40
	v_cmp_gt_u32_e64 s1, 8, v2
	s_delay_alu instid0(VALU_DEP_2)
	v_mov_b64_e32 v[2:3], v[52:53]
	s_and_saveexec_b32 s19, s1
; %bb.710:                              ;   in Loop: Header=BB353_15 Depth=1
	v_clz_i32_u32_e32 v2, v52
	s_delay_alu instid0(VALU_DEP_1) | instskip(NEXT) | instid1(VALU_DEP_1)
	v_min_u32_e32 v5, 32, v2
	v_subrev_nc_u32_e32 v2, 28, v5
	s_delay_alu instid0(VALU_DEP_1) | instskip(NEXT) | instid1(VALU_DEP_1)
	v_lshlrev_b64_e32 v[2:3], v2, v[52:53]
	v_dual_sub_nc_u32 v5, 29, v5 :: v_dual_bitop2_b32 v2, 7, v2 bitop3:0x40
; %bb.711:                              ;   in Loop: Header=BB353_15 Depth=1
	s_or_b32 exec_lo, exec_lo, s19
	s_delay_alu instid0(VALU_DEP_1) | instskip(NEXT) | instid1(VALU_DEP_2)
	v_dual_lshlrev_b32 v3, 24, v4 :: v_dual_lshlrev_b32 v2, 20, v2
	v_lshl_add_u32 v4, v5, 23, 0x3c000000
	s_delay_alu instid0(VALU_DEP_2) | instskip(NEXT) | instid1(VALU_DEP_1)
	v_and_b32_e32 v3, 0x80000000, v3
	v_or3_b32 v108, v2, v3, v4
.LBB353_712:                            ;   in Loop: Header=BB353_15 Depth=1
	s_or_b32 exec_lo, exec_lo, s18
.LBB353_713:                            ;   in Loop: Header=BB353_15 Depth=1
	s_delay_alu instid0(SALU_CYCLE_1)
	s_or_b32 exec_lo, exec_lo, s17
.LBB353_714:                            ;   in Loop: Header=BB353_15 Depth=1
	s_delay_alu instid0(SALU_CYCLE_1) | instskip(NEXT) | instid1(SALU_CYCLE_1)
	s_or_b32 exec_lo, exec_lo, s16
	s_mov_b32 s16, exec_lo
	v_cmpx_lt_u64_e64 s[8:9], v[0:1]
	s_cbranch_execz .LBB353_722
; %bb.715:                              ;   in Loop: Header=BB353_15 Depth=1
	v_lshrrev_b32_e32 v2, 24, v1
	v_bfrev_b32_e32 v109, 1
	s_mov_b32 s17, exec_lo
	s_delay_alu instid0(VALU_DEP_2)
	v_cmpx_ne_u32_e32 0x80, v2
	s_cbranch_execz .LBB353_721
; %bb.716:                              ;   in Loop: Header=BB353_15 Depth=1
	v_bfe_u32 v0, v1, 24, 7
	v_mov_b32_e32 v109, 0x7f800001
	s_mov_b32 s18, exec_lo
	s_delay_alu instid0(VALU_DEP_2)
	v_cmpx_ne_u32_e32 0x7f, v0
	s_cbranch_execz .LBB353_720
; %bb.717:                              ;   in Loop: Header=BB353_15 Depth=1
	v_dual_lshrrev_b32 v3, 3, v0 :: v_dual_bitop2_b32 v52, 7, v2 bitop3:0x40
	v_cmp_gt_u32_e64 s1, 8, v0
	s_delay_alu instid0(VALU_DEP_2)
	v_mov_b64_e32 v[0:1], v[52:53]
	s_and_saveexec_b32 s19, s1
; %bb.718:                              ;   in Loop: Header=BB353_15 Depth=1
	v_clz_i32_u32_e32 v0, v52
	s_delay_alu instid0(VALU_DEP_1) | instskip(NEXT) | instid1(VALU_DEP_1)
	v_min_u32_e32 v3, 32, v0
	v_subrev_nc_u32_e32 v0, 28, v3
	s_delay_alu instid0(VALU_DEP_1) | instskip(NEXT) | instid1(VALU_DEP_1)
	v_lshlrev_b64_e32 v[0:1], v0, v[52:53]
	v_dual_sub_nc_u32 v3, 29, v3 :: v_dual_bitop2_b32 v0, 7, v0 bitop3:0x40
; %bb.719:                              ;   in Loop: Header=BB353_15 Depth=1
	s_or_b32 exec_lo, exec_lo, s19
	s_delay_alu instid0(VALU_DEP_1) | instskip(NEXT) | instid1(VALU_DEP_2)
	v_dual_lshlrev_b32 v1, 24, v2 :: v_dual_lshlrev_b32 v0, 20, v0
	v_lshl_add_u32 v2, v3, 23, 0x3c000000
	s_delay_alu instid0(VALU_DEP_2) | instskip(NEXT) | instid1(VALU_DEP_1)
	v_and_b32_e32 v1, 0x80000000, v1
	v_or3_b32 v109, v0, v1, v2
.LBB353_720:                            ;   in Loop: Header=BB353_15 Depth=1
	s_or_b32 exec_lo, exec_lo, s18
.LBB353_721:                            ;   in Loop: Header=BB353_15 Depth=1
	s_delay_alu instid0(SALU_CYCLE_1)
	s_or_b32 exec_lo, exec_lo, s17
.LBB353_722:                            ;   in Loop: Header=BB353_15 Depth=1
	s_delay_alu instid0(SALU_CYCLE_1)
	s_or_b32 exec_lo, exec_lo, s16
	flat_load_b64 v[0:1], v[112:113] offset:2568
	v_dual_mov_b32 v111, 0 :: v_dual_mov_b32 v110, 0
	s_mov_b32 s16, exec_lo
	s_wait_loadcnt_dscnt 0x0
	v_and_b32_e32 v2, 0xff, v0
	s_wait_xcnt 0x0
	s_delay_alu instid0(VALU_DEP_1)
	v_cmpx_ne_u16_e32 0, v2
	s_cbranch_execz .LBB353_730
; %bb.723:                              ;   in Loop: Header=BB353_15 Depth=1
	v_bfrev_b32_e32 v110, 1
	s_mov_b32 s17, exec_lo
	v_cmpx_ne_u16_e32 0x80, v2
	s_cbranch_execz .LBB353_729
; %bb.724:                              ;   in Loop: Header=BB353_15 Depth=1
	v_and_b32_e32 v2, 0x7f, v0
	v_mov_b32_e32 v110, 0x7f800001
	s_mov_b32 s18, exec_lo
	s_delay_alu instid0(VALU_DEP_2)
	v_cmpx_ne_u32_e32 0x7f, v2
	s_cbranch_execz .LBB353_728
; %bb.725:                              ;   in Loop: Header=BB353_15 Depth=1
	v_lshrrev_b32_e32 v4, 3, v2
	v_cmp_gt_u32_e64 s1, 8, v2
	v_mov_b64_e32 v[2:3], v[0:1]
	s_and_saveexec_b32 s19, s1
; %bb.726:                              ;   in Loop: Header=BB353_15 Depth=1
	v_and_b32_e32 v2, 7, v0
	s_delay_alu instid0(VALU_DEP_1) | instskip(NEXT) | instid1(VALU_DEP_1)
	v_clz_i32_u32_e32 v2, v2
	v_min_u32_e32 v4, 32, v2
	s_delay_alu instid0(VALU_DEP_1) | instskip(SKIP_1) | instid1(VALU_DEP_2)
	v_subrev_nc_u32_e32 v2, 28, v4
	v_sub_nc_u32_e32 v4, 29, v4
	v_lshlrev_b64_e32 v[2:3], v2, v[0:1]
; %bb.727:                              ;   in Loop: Header=BB353_15 Depth=1
	s_or_b32 exec_lo, exec_lo, s19
	s_delay_alu instid0(VALU_DEP_1) | instskip(NEXT) | instid1(VALU_DEP_3)
	v_dual_lshlrev_b32 v2, 20, v2 :: v_dual_lshlrev_b32 v3, 24, v0
	v_lshl_add_u32 v4, v4, 23, 0x3c000000
	s_delay_alu instid0(VALU_DEP_2) | instskip(NEXT) | instid1(VALU_DEP_3)
	v_and_b32_e32 v2, 0x700000, v2
	v_and_b32_e32 v3, 0x80000000, v3
	s_delay_alu instid0(VALU_DEP_1)
	v_or3_b32 v110, v2, v3, v4
.LBB353_728:                            ;   in Loop: Header=BB353_15 Depth=1
	s_or_b32 exec_lo, exec_lo, s18
.LBB353_729:                            ;   in Loop: Header=BB353_15 Depth=1
	s_delay_alu instid0(SALU_CYCLE_1)
	s_or_b32 exec_lo, exec_lo, s17
.LBB353_730:                            ;   in Loop: Header=BB353_15 Depth=1
	s_delay_alu instid0(SALU_CYCLE_1) | instskip(SKIP_2) | instid1(VALU_DEP_1)
	s_or_b32 exec_lo, exec_lo, s16
	v_lshrrev_b16 v2, 8, v0
	s_mov_b32 s16, exec_lo
	v_cmpx_ne_u16_e32 0, v2
	s_cbranch_execz .LBB353_738
; %bb.731:                              ;   in Loop: Header=BB353_15 Depth=1
	v_bfrev_b32_e32 v111, 1
	s_mov_b32 s17, exec_lo
	v_cmpx_ne_u16_e32 0x80, v2
	s_cbranch_execz .LBB353_737
; %bb.732:                              ;   in Loop: Header=BB353_15 Depth=1
	v_and_b32_e32 v3, 0xffff, v2
	v_mov_b32_e32 v111, 0x7f800001
	s_mov_b32 s18, exec_lo
	s_delay_alu instid0(VALU_DEP_2) | instskip(NEXT) | instid1(VALU_DEP_1)
	v_and_b32_e32 v2, 0x7f, v3
	v_cmpx_ne_u32_e32 0x7f, v2
	s_cbranch_execz .LBB353_736
; %bb.733:                              ;   in Loop: Header=BB353_15 Depth=1
	v_dual_lshrrev_b32 v4, 3, v2 :: v_dual_bitop2_b32 v52, 7, v3 bitop3:0x40
	v_cmp_gt_u32_e64 s1, 8, v2
	s_delay_alu instid0(VALU_DEP_2)
	v_mov_b64_e32 v[2:3], v[52:53]
	s_and_saveexec_b32 s19, s1
; %bb.734:                              ;   in Loop: Header=BB353_15 Depth=1
	v_clz_i32_u32_e32 v2, v52
	s_delay_alu instid0(VALU_DEP_1) | instskip(NEXT) | instid1(VALU_DEP_1)
	v_min_u32_e32 v4, 32, v2
	v_subrev_nc_u32_e32 v2, 28, v4
	s_delay_alu instid0(VALU_DEP_1) | instskip(NEXT) | instid1(VALU_DEP_1)
	v_lshlrev_b64_e32 v[2:3], v2, v[52:53]
	v_dual_sub_nc_u32 v4, 29, v4 :: v_dual_bitop2_b32 v2, 7, v2 bitop3:0x40
; %bb.735:                              ;   in Loop: Header=BB353_15 Depth=1
	s_or_b32 exec_lo, exec_lo, s19
	s_delay_alu instid0(VALU_DEP_1) | instskip(NEXT) | instid1(VALU_DEP_2)
	v_dual_lshlrev_b32 v3, 16, v0 :: v_dual_lshlrev_b32 v2, 20, v2
	v_lshl_add_u32 v4, v4, 23, 0x3c000000
	s_delay_alu instid0(VALU_DEP_2) | instskip(NEXT) | instid1(VALU_DEP_1)
	v_and_b32_e32 v3, 0x80000000, v3
	v_or3_b32 v111, v2, v3, v4
.LBB353_736:                            ;   in Loop: Header=BB353_15 Depth=1
	s_or_b32 exec_lo, exec_lo, s18
.LBB353_737:                            ;   in Loop: Header=BB353_15 Depth=1
	s_delay_alu instid0(SALU_CYCLE_1)
	s_or_b32 exec_lo, exec_lo, s17
.LBB353_738:                            ;   in Loop: Header=BB353_15 Depth=1
	s_delay_alu instid0(SALU_CYCLE_1) | instskip(SKIP_3) | instid1(VALU_DEP_2)
	s_or_b32 exec_lo, exec_lo, s16
	v_dual_mov_b32 v121, 0 :: v_dual_lshrrev_b32 v4, 16, v0
	v_mov_b32_e32 v120, 0
	s_mov_b32 s16, exec_lo
	v_and_b32_e32 v2, 0xff, v4
	s_delay_alu instid0(VALU_DEP_1)
	v_cmpx_ne_u16_e32 0, v2
	s_cbranch_execz .LBB353_746
; %bb.739:                              ;   in Loop: Header=BB353_15 Depth=1
	v_bfrev_b32_e32 v120, 1
	s_mov_b32 s17, exec_lo
	v_cmpx_ne_u16_e32 0x80, v2
	s_cbranch_execz .LBB353_745
; %bb.740:                              ;   in Loop: Header=BB353_15 Depth=1
	v_bfe_u32 v2, v0, 16, 7
	v_mov_b32_e32 v120, 0x7f800001
	s_mov_b32 s18, exec_lo
	s_delay_alu instid0(VALU_DEP_2)
	v_cmpx_ne_u32_e32 0x7f, v2
	s_cbranch_execz .LBB353_744
; %bb.741:                              ;   in Loop: Header=BB353_15 Depth=1
	v_dual_lshrrev_b32 v5, 3, v2 :: v_dual_bitop2_b32 v52, 7, v4 bitop3:0x40
	v_cmp_gt_u32_e64 s1, 8, v2
	s_delay_alu instid0(VALU_DEP_2)
	v_mov_b64_e32 v[2:3], v[52:53]
	s_and_saveexec_b32 s19, s1
; %bb.742:                              ;   in Loop: Header=BB353_15 Depth=1
	v_clz_i32_u32_e32 v2, v52
	s_delay_alu instid0(VALU_DEP_1) | instskip(NEXT) | instid1(VALU_DEP_1)
	v_min_u32_e32 v5, 32, v2
	v_subrev_nc_u32_e32 v2, 28, v5
	s_delay_alu instid0(VALU_DEP_1) | instskip(NEXT) | instid1(VALU_DEP_1)
	v_lshlrev_b64_e32 v[2:3], v2, v[52:53]
	v_dual_sub_nc_u32 v5, 29, v5 :: v_dual_bitop2_b32 v2, 7, v2 bitop3:0x40
; %bb.743:                              ;   in Loop: Header=BB353_15 Depth=1
	s_or_b32 exec_lo, exec_lo, s19
	s_delay_alu instid0(VALU_DEP_1) | instskip(NEXT) | instid1(VALU_DEP_2)
	v_dual_lshlrev_b32 v3, 24, v4 :: v_dual_lshlrev_b32 v2, 20, v2
	v_lshl_add_u32 v4, v5, 23, 0x3c000000
	s_delay_alu instid0(VALU_DEP_2) | instskip(NEXT) | instid1(VALU_DEP_1)
	v_and_b32_e32 v3, 0x80000000, v3
	v_or3_b32 v120, v2, v3, v4
.LBB353_744:                            ;   in Loop: Header=BB353_15 Depth=1
	s_or_b32 exec_lo, exec_lo, s18
.LBB353_745:                            ;   in Loop: Header=BB353_15 Depth=1
	s_delay_alu instid0(SALU_CYCLE_1)
	s_or_b32 exec_lo, exec_lo, s17
.LBB353_746:                            ;   in Loop: Header=BB353_15 Depth=1
	s_delay_alu instid0(SALU_CYCLE_1) | instskip(NEXT) | instid1(SALU_CYCLE_1)
	s_or_b32 exec_lo, exec_lo, s16
	s_mov_b32 s16, exec_lo
	v_cmpx_lt_u32_e32 0xffffff, v0
	s_cbranch_execz .LBB353_754
; %bb.747:                              ;   in Loop: Header=BB353_15 Depth=1
	v_lshrrev_b32_e32 v4, 24, v0
	v_bfrev_b32_e32 v121, 1
	s_mov_b32 s17, exec_lo
	s_delay_alu instid0(VALU_DEP_2)
	v_cmpx_ne_u32_e32 0x80, v4
	s_cbranch_execz .LBB353_753
; %bb.748:                              ;   in Loop: Header=BB353_15 Depth=1
	v_bfe_u32 v2, v0, 24, 7
	v_mov_b32_e32 v121, 0x7f800001
	s_mov_b32 s18, exec_lo
	s_delay_alu instid0(VALU_DEP_2)
	v_cmpx_ne_u32_e32 0x7f, v2
	s_cbranch_execz .LBB353_752
; %bb.749:                              ;   in Loop: Header=BB353_15 Depth=1
	v_dual_lshrrev_b32 v5, 3, v2 :: v_dual_bitop2_b32 v52, 7, v4 bitop3:0x40
	v_cmp_gt_u32_e64 s1, 8, v2
	s_delay_alu instid0(VALU_DEP_2)
	v_mov_b64_e32 v[2:3], v[52:53]
	s_and_saveexec_b32 s19, s1
; %bb.750:                              ;   in Loop: Header=BB353_15 Depth=1
	v_clz_i32_u32_e32 v2, v52
	s_delay_alu instid0(VALU_DEP_1) | instskip(NEXT) | instid1(VALU_DEP_1)
	v_min_u32_e32 v5, 32, v2
	v_subrev_nc_u32_e32 v2, 28, v5
	s_delay_alu instid0(VALU_DEP_1) | instskip(NEXT) | instid1(VALU_DEP_1)
	v_lshlrev_b64_e32 v[2:3], v2, v[52:53]
	v_dual_sub_nc_u32 v5, 29, v5 :: v_dual_bitop2_b32 v2, 7, v2 bitop3:0x40
; %bb.751:                              ;   in Loop: Header=BB353_15 Depth=1
	s_or_b32 exec_lo, exec_lo, s19
	s_delay_alu instid0(VALU_DEP_1) | instskip(NEXT) | instid1(VALU_DEP_2)
	v_dual_lshlrev_b32 v3, 24, v4 :: v_dual_lshlrev_b32 v2, 20, v2
	v_lshl_add_u32 v4, v5, 23, 0x3c000000
	s_delay_alu instid0(VALU_DEP_2) | instskip(NEXT) | instid1(VALU_DEP_1)
	v_and_b32_e32 v3, 0x80000000, v3
	v_or3_b32 v121, v2, v3, v4
.LBB353_752:                            ;   in Loop: Header=BB353_15 Depth=1
	s_or_b32 exec_lo, exec_lo, s18
.LBB353_753:                            ;   in Loop: Header=BB353_15 Depth=1
	s_delay_alu instid0(SALU_CYCLE_1)
	s_or_b32 exec_lo, exec_lo, s17
.LBB353_754:                            ;   in Loop: Header=BB353_15 Depth=1
	s_delay_alu instid0(SALU_CYCLE_1) | instskip(SKIP_4) | instid1(VALU_DEP_3)
	s_or_b32 exec_lo, exec_lo, s16
	v_and_b32_e32 v2, 0xff, v1
	v_dual_mov_b32 v52, v1 :: v_dual_mov_b32 v123, 0
	v_mov_b32_e32 v122, 0
	s_mov_b32 s16, exec_lo
	v_cmpx_ne_u16_e32 0, v2
	s_cbranch_execz .LBB353_762
; %bb.755:                              ;   in Loop: Header=BB353_15 Depth=1
	v_bfrev_b32_e32 v122, 1
	s_mov_b32 s17, exec_lo
	v_cmpx_ne_u16_e32 0x80, v2
	s_cbranch_execz .LBB353_761
; %bb.756:                              ;   in Loop: Header=BB353_15 Depth=1
	v_and_b32_e32 v2, 0x7f, v1
	v_mov_b32_e32 v122, 0x7f800001
	s_mov_b32 s18, exec_lo
	s_delay_alu instid0(VALU_DEP_2)
	v_cmpx_ne_u32_e32 0x7f, v2
	s_cbranch_execz .LBB353_760
; %bb.757:                              ;   in Loop: Header=BB353_15 Depth=1
	v_lshrrev_b32_e32 v4, 3, v2
	v_cmp_gt_u32_e64 s1, 8, v2
	v_mov_b64_e32 v[2:3], v[52:53]
	s_and_saveexec_b32 s19, s1
; %bb.758:                              ;   in Loop: Header=BB353_15 Depth=1
	v_and_b32_e32 v2, 7, v1
	s_delay_alu instid0(VALU_DEP_1) | instskip(NEXT) | instid1(VALU_DEP_1)
	v_clz_i32_u32_e32 v2, v2
	v_min_u32_e32 v4, 32, v2
	s_delay_alu instid0(VALU_DEP_1) | instskip(SKIP_1) | instid1(VALU_DEP_2)
	v_subrev_nc_u32_e32 v2, 28, v4
	v_sub_nc_u32_e32 v4, 29, v4
	v_lshlrev_b64_e32 v[2:3], v2, v[52:53]
; %bb.759:                              ;   in Loop: Header=BB353_15 Depth=1
	s_or_b32 exec_lo, exec_lo, s19
	s_delay_alu instid0(VALU_DEP_1) | instskip(NEXT) | instid1(VALU_DEP_3)
	v_dual_lshlrev_b32 v2, 20, v2 :: v_dual_lshlrev_b32 v3, 24, v52
	v_lshl_add_u32 v4, v4, 23, 0x3c000000
	s_delay_alu instid0(VALU_DEP_2) | instskip(NEXT) | instid1(VALU_DEP_3)
	v_and_b32_e32 v2, 0x700000, v2
	v_and_b32_e32 v3, 0x80000000, v3
	s_delay_alu instid0(VALU_DEP_1)
	v_or3_b32 v122, v2, v3, v4
.LBB353_760:                            ;   in Loop: Header=BB353_15 Depth=1
	s_or_b32 exec_lo, exec_lo, s18
.LBB353_761:                            ;   in Loop: Header=BB353_15 Depth=1
	s_delay_alu instid0(SALU_CYCLE_1)
	s_or_b32 exec_lo, exec_lo, s17
.LBB353_762:                            ;   in Loop: Header=BB353_15 Depth=1
	s_delay_alu instid0(SALU_CYCLE_1) | instskip(SKIP_2) | instid1(VALU_DEP_1)
	s_or_b32 exec_lo, exec_lo, s16
	v_lshrrev_b16 v2, 8, v52
	s_mov_b32 s16, exec_lo
	v_cmpx_ne_u16_e32 0, v2
	s_cbranch_execz .LBB353_770
; %bb.763:                              ;   in Loop: Header=BB353_15 Depth=1
	v_bfrev_b32_e32 v123, 1
	s_mov_b32 s17, exec_lo
	v_cmpx_ne_u16_e32 0x80, v2
	s_cbranch_execz .LBB353_769
; %bb.764:                              ;   in Loop: Header=BB353_15 Depth=1
	v_and_b32_e32 v2, 0xffff, v2
	v_mov_b32_e32 v123, 0x7f800001
	s_mov_b32 s18, exec_lo
	s_delay_alu instid0(VALU_DEP_2) | instskip(NEXT) | instid1(VALU_DEP_1)
	v_and_b32_e32 v5, 0x7f, v2
	v_cmpx_ne_u32_e32 0x7f, v5
	s_cbranch_execz .LBB353_768
; %bb.765:                              ;   in Loop: Header=BB353_15 Depth=1
	v_dual_mov_b32 v3, v53 :: v_dual_bitop2_b32 v2, 7, v2 bitop3:0x40
	v_lshrrev_b32_e32 v4, 3, v5
	s_mov_b32 s19, exec_lo
	v_cmpx_gt_u32_e32 8, v5
; %bb.766:                              ;   in Loop: Header=BB353_15 Depth=1
	s_delay_alu instid0(VALU_DEP_3) | instskip(NEXT) | instid1(VALU_DEP_1)
	v_clz_i32_u32_e32 v4, v2
	v_min_u32_e32 v4, 32, v4
	s_delay_alu instid0(VALU_DEP_1) | instskip(NEXT) | instid1(VALU_DEP_1)
	v_subrev_nc_u32_e32 v5, 28, v4
	v_lshlrev_b64_e32 v[2:3], v5, v[2:3]
	s_delay_alu instid0(VALU_DEP_1)
	v_dual_sub_nc_u32 v4, 29, v4 :: v_dual_bitop2_b32 v2, 7, v2 bitop3:0x40
; %bb.767:                              ;   in Loop: Header=BB353_15 Depth=1
	s_or_b32 exec_lo, exec_lo, s19
	s_delay_alu instid0(VALU_DEP_1) | instskip(NEXT) | instid1(VALU_DEP_2)
	v_dual_lshlrev_b32 v3, 16, v52 :: v_dual_lshlrev_b32 v2, 20, v2
	v_lshl_add_u32 v4, v4, 23, 0x3c000000
	s_delay_alu instid0(VALU_DEP_2) | instskip(NEXT) | instid1(VALU_DEP_1)
	v_and_b32_e32 v3, 0x80000000, v3
	v_or3_b32 v123, v2, v3, v4
.LBB353_768:                            ;   in Loop: Header=BB353_15 Depth=1
	s_or_b32 exec_lo, exec_lo, s18
.LBB353_769:                            ;   in Loop: Header=BB353_15 Depth=1
	s_delay_alu instid0(SALU_CYCLE_1)
	s_or_b32 exec_lo, exec_lo, s17
.LBB353_770:                            ;   in Loop: Header=BB353_15 Depth=1
	s_delay_alu instid0(SALU_CYCLE_1) | instskip(SKIP_3) | instid1(VALU_DEP_2)
	s_or_b32 exec_lo, exec_lo, s16
	v_dual_mov_b32 v125, 0 :: v_dual_lshrrev_b32 v4, 16, v1
	v_mov_b32_e32 v124, 0
	s_mov_b32 s16, exec_lo
	v_and_b32_e32 v2, 0xff, v4
	s_delay_alu instid0(VALU_DEP_1)
	v_cmpx_ne_u16_e32 0, v2
	s_cbranch_execz .LBB353_778
; %bb.771:                              ;   in Loop: Header=BB353_15 Depth=1
	v_bfrev_b32_e32 v124, 1
	s_mov_b32 s17, exec_lo
	v_cmpx_ne_u16_e32 0x80, v2
	s_cbranch_execz .LBB353_777
; %bb.772:                              ;   in Loop: Header=BB353_15 Depth=1
	v_bfe_u32 v2, v1, 16, 7
	v_mov_b32_e32 v124, 0x7f800001
	s_mov_b32 s18, exec_lo
	s_delay_alu instid0(VALU_DEP_2)
	v_cmpx_ne_u32_e32 0x7f, v2
	s_cbranch_execz .LBB353_776
; %bb.773:                              ;   in Loop: Header=BB353_15 Depth=1
	v_dual_lshrrev_b32 v5, 3, v2 :: v_dual_bitop2_b32 v52, 7, v4 bitop3:0x40
	v_cmp_gt_u32_e64 s1, 8, v2
	s_delay_alu instid0(VALU_DEP_2)
	v_mov_b64_e32 v[2:3], v[52:53]
	s_and_saveexec_b32 s19, s1
; %bb.774:                              ;   in Loop: Header=BB353_15 Depth=1
	v_clz_i32_u32_e32 v2, v52
	s_delay_alu instid0(VALU_DEP_1) | instskip(NEXT) | instid1(VALU_DEP_1)
	v_min_u32_e32 v5, 32, v2
	v_subrev_nc_u32_e32 v2, 28, v5
	s_delay_alu instid0(VALU_DEP_1) | instskip(NEXT) | instid1(VALU_DEP_1)
	v_lshlrev_b64_e32 v[2:3], v2, v[52:53]
	v_dual_sub_nc_u32 v5, 29, v5 :: v_dual_bitop2_b32 v2, 7, v2 bitop3:0x40
; %bb.775:                              ;   in Loop: Header=BB353_15 Depth=1
	s_or_b32 exec_lo, exec_lo, s19
	s_delay_alu instid0(VALU_DEP_1) | instskip(NEXT) | instid1(VALU_DEP_2)
	v_dual_lshlrev_b32 v3, 24, v4 :: v_dual_lshlrev_b32 v2, 20, v2
	v_lshl_add_u32 v4, v5, 23, 0x3c000000
	s_delay_alu instid0(VALU_DEP_2) | instskip(NEXT) | instid1(VALU_DEP_1)
	v_and_b32_e32 v3, 0x80000000, v3
	v_or3_b32 v124, v2, v3, v4
.LBB353_776:                            ;   in Loop: Header=BB353_15 Depth=1
	s_or_b32 exec_lo, exec_lo, s18
.LBB353_777:                            ;   in Loop: Header=BB353_15 Depth=1
	s_delay_alu instid0(SALU_CYCLE_1)
	s_or_b32 exec_lo, exec_lo, s17
.LBB353_778:                            ;   in Loop: Header=BB353_15 Depth=1
	s_delay_alu instid0(SALU_CYCLE_1) | instskip(NEXT) | instid1(SALU_CYCLE_1)
	s_or_b32 exec_lo, exec_lo, s16
	s_mov_b32 s16, exec_lo
	v_cmpx_lt_u64_e64 s[8:9], v[0:1]
	s_cbranch_execz .LBB353_786
; %bb.779:                              ;   in Loop: Header=BB353_15 Depth=1
	v_lshrrev_b32_e32 v2, 24, v1
	v_bfrev_b32_e32 v125, 1
	s_mov_b32 s17, exec_lo
	s_delay_alu instid0(VALU_DEP_2)
	v_cmpx_ne_u32_e32 0x80, v2
	s_cbranch_execz .LBB353_785
; %bb.780:                              ;   in Loop: Header=BB353_15 Depth=1
	v_bfe_u32 v0, v1, 24, 7
	v_mov_b32_e32 v125, 0x7f800001
	s_mov_b32 s18, exec_lo
	s_delay_alu instid0(VALU_DEP_2)
	v_cmpx_ne_u32_e32 0x7f, v0
	s_cbranch_execz .LBB353_784
; %bb.781:                              ;   in Loop: Header=BB353_15 Depth=1
	v_dual_lshrrev_b32 v3, 3, v0 :: v_dual_bitop2_b32 v52, 7, v2 bitop3:0x40
	v_cmp_gt_u32_e64 s1, 8, v0
	s_delay_alu instid0(VALU_DEP_2)
	v_mov_b64_e32 v[0:1], v[52:53]
	s_and_saveexec_b32 s19, s1
; %bb.782:                              ;   in Loop: Header=BB353_15 Depth=1
	v_clz_i32_u32_e32 v0, v52
	s_delay_alu instid0(VALU_DEP_1) | instskip(NEXT) | instid1(VALU_DEP_1)
	v_min_u32_e32 v3, 32, v0
	v_subrev_nc_u32_e32 v0, 28, v3
	s_delay_alu instid0(VALU_DEP_1) | instskip(NEXT) | instid1(VALU_DEP_1)
	v_lshlrev_b64_e32 v[0:1], v0, v[52:53]
	v_dual_sub_nc_u32 v3, 29, v3 :: v_dual_bitop2_b32 v0, 7, v0 bitop3:0x40
; %bb.783:                              ;   in Loop: Header=BB353_15 Depth=1
	s_or_b32 exec_lo, exec_lo, s19
	s_delay_alu instid0(VALU_DEP_1) | instskip(NEXT) | instid1(VALU_DEP_2)
	v_dual_lshlrev_b32 v1, 24, v2 :: v_dual_lshlrev_b32 v0, 20, v0
	v_lshl_add_u32 v2, v3, 23, 0x3c000000
	s_delay_alu instid0(VALU_DEP_2) | instskip(NEXT) | instid1(VALU_DEP_1)
	v_and_b32_e32 v1, 0x80000000, v1
	v_or3_b32 v125, v0, v1, v2
.LBB353_784:                            ;   in Loop: Header=BB353_15 Depth=1
	s_or_b32 exec_lo, exec_lo, s18
.LBB353_785:                            ;   in Loop: Header=BB353_15 Depth=1
	s_delay_alu instid0(SALU_CYCLE_1)
	s_or_b32 exec_lo, exec_lo, s17
.LBB353_786:                            ;   in Loop: Header=BB353_15 Depth=1
	s_delay_alu instid0(SALU_CYCLE_1)
	s_or_b32 exec_lo, exec_lo, s16
	flat_load_b64 v[4:5], v[112:113] offset:3072
	v_dual_mov_b32 v127, 0 :: v_dual_mov_b32 v126, 0
	s_mov_b32 s16, exec_lo
	s_wait_loadcnt_dscnt 0x0
	v_and_b32_e32 v0, 0xff, v4
	s_wait_xcnt 0x0
	s_delay_alu instid0(VALU_DEP_1)
	v_cmpx_ne_u16_e32 0, v0
	s_cbranch_execz .LBB353_794
; %bb.787:                              ;   in Loop: Header=BB353_15 Depth=1
	v_bfrev_b32_e32 v126, 1
	s_mov_b32 s17, exec_lo
	v_cmpx_ne_u16_e32 0x80, v0
	s_cbranch_execz .LBB353_793
; %bb.788:                              ;   in Loop: Header=BB353_15 Depth=1
	v_and_b32_e32 v0, 0x7f, v4
	v_mov_b32_e32 v126, 0x7f800001
	s_mov_b32 s18, exec_lo
	s_delay_alu instid0(VALU_DEP_2)
	v_cmpx_ne_u32_e32 0x7f, v0
	s_cbranch_execz .LBB353_792
; %bb.789:                              ;   in Loop: Header=BB353_15 Depth=1
	v_lshrrev_b32_e32 v2, 3, v0
	v_cmp_gt_u32_e64 s1, 8, v0
	v_mov_b64_e32 v[0:1], v[4:5]
	s_and_saveexec_b32 s19, s1
; %bb.790:                              ;   in Loop: Header=BB353_15 Depth=1
	v_and_b32_e32 v0, 7, v4
	s_delay_alu instid0(VALU_DEP_1) | instskip(NEXT) | instid1(VALU_DEP_1)
	v_clz_i32_u32_e32 v0, v0
	v_min_u32_e32 v2, 32, v0
	s_delay_alu instid0(VALU_DEP_1) | instskip(SKIP_1) | instid1(VALU_DEP_2)
	v_subrev_nc_u32_e32 v0, 28, v2
	v_sub_nc_u32_e32 v2, 29, v2
	v_lshlrev_b64_e32 v[0:1], v0, v[4:5]
; %bb.791:                              ;   in Loop: Header=BB353_15 Depth=1
	s_or_b32 exec_lo, exec_lo, s19
	s_delay_alu instid0(VALU_DEP_1) | instskip(SKIP_2) | instid1(VALU_DEP_3)
	v_lshlrev_b32_e32 v0, 20, v0
	v_lshlrev_b32_e32 v1, 24, v4
	v_lshl_add_u32 v2, v2, 23, 0x3c000000
	v_and_b32_e32 v0, 0x700000, v0
	s_delay_alu instid0(VALU_DEP_3) | instskip(NEXT) | instid1(VALU_DEP_1)
	v_and_b32_e32 v1, 0x80000000, v1
	v_or3_b32 v126, v0, v1, v2
.LBB353_792:                            ;   in Loop: Header=BB353_15 Depth=1
	s_or_b32 exec_lo, exec_lo, s18
.LBB353_793:                            ;   in Loop: Header=BB353_15 Depth=1
	s_delay_alu instid0(SALU_CYCLE_1)
	s_or_b32 exec_lo, exec_lo, s17
.LBB353_794:                            ;   in Loop: Header=BB353_15 Depth=1
	s_delay_alu instid0(SALU_CYCLE_1) | instskip(SKIP_2) | instid1(VALU_DEP_1)
	s_or_b32 exec_lo, exec_lo, s16
	v_lshrrev_b16 v0, 8, v4
	s_mov_b32 s16, exec_lo
	v_cmpx_ne_u16_e32 0, v0
	s_cbranch_execz .LBB353_802
; %bb.795:                              ;   in Loop: Header=BB353_15 Depth=1
	v_bfrev_b32_e32 v127, 1
	s_mov_b32 s17, exec_lo
	v_cmpx_ne_u16_e32 0x80, v0
	s_cbranch_execz .LBB353_801
; %bb.796:                              ;   in Loop: Header=BB353_15 Depth=1
	v_and_b32_e32 v1, 0xffff, v0
	v_mov_b32_e32 v127, 0x7f800001
	s_mov_b32 s18, exec_lo
	s_delay_alu instid0(VALU_DEP_2) | instskip(NEXT) | instid1(VALU_DEP_1)
	v_and_b32_e32 v0, 0x7f, v1
	v_cmpx_ne_u32_e32 0x7f, v0
	s_cbranch_execz .LBB353_800
; %bb.797:                              ;   in Loop: Header=BB353_15 Depth=1
	v_dual_lshrrev_b32 v2, 3, v0 :: v_dual_bitop2_b32 v52, 7, v1 bitop3:0x40
	v_cmp_gt_u32_e64 s1, 8, v0
	s_delay_alu instid0(VALU_DEP_2)
	v_mov_b64_e32 v[0:1], v[52:53]
	s_and_saveexec_b32 s19, s1
; %bb.798:                              ;   in Loop: Header=BB353_15 Depth=1
	v_clz_i32_u32_e32 v0, v52
	s_delay_alu instid0(VALU_DEP_1) | instskip(NEXT) | instid1(VALU_DEP_1)
	v_min_u32_e32 v2, 32, v0
	v_subrev_nc_u32_e32 v0, 28, v2
	s_delay_alu instid0(VALU_DEP_1) | instskip(NEXT) | instid1(VALU_DEP_1)
	v_lshlrev_b64_e32 v[0:1], v0, v[52:53]
	v_dual_sub_nc_u32 v2, 29, v2 :: v_dual_bitop2_b32 v0, 7, v0 bitop3:0x40
; %bb.799:                              ;   in Loop: Header=BB353_15 Depth=1
	s_or_b32 exec_lo, exec_lo, s19
	v_lshlrev_b32_e32 v1, 16, v4
	s_delay_alu instid0(VALU_DEP_2) | instskip(NEXT) | instid1(VALU_DEP_3)
	v_lshlrev_b32_e32 v0, 20, v0
	v_lshl_add_u32 v2, v2, 23, 0x3c000000
	s_delay_alu instid0(VALU_DEP_3) | instskip(NEXT) | instid1(VALU_DEP_1)
	v_and_b32_e32 v1, 0x80000000, v1
	v_or3_b32 v127, v0, v1, v2
.LBB353_800:                            ;   in Loop: Header=BB353_15 Depth=1
	s_or_b32 exec_lo, exec_lo, s18
.LBB353_801:                            ;   in Loop: Header=BB353_15 Depth=1
	s_delay_alu instid0(SALU_CYCLE_1)
	s_or_b32 exec_lo, exec_lo, s17
.LBB353_802:                            ;   in Loop: Header=BB353_15 Depth=1
	s_delay_alu instid0(SALU_CYCLE_1) | instskip(SKIP_3) | instid1(VALU_DEP_2)
	s_or_b32 exec_lo, exec_lo, s16
	v_dual_mov_b32 v3, 0 :: v_dual_lshrrev_b32 v6, 16, v4
	v_mov_b32_e32 v2, 0
	s_mov_b32 s16, exec_lo
	v_and_b32_e32 v0, 0xff, v6
	s_delay_alu instid0(VALU_DEP_1)
	v_cmpx_ne_u16_e32 0, v0
	s_cbranch_execz .LBB353_810
; %bb.803:                              ;   in Loop: Header=BB353_15 Depth=1
	v_bfrev_b32_e32 v2, 1
	s_mov_b32 s17, exec_lo
	v_cmpx_ne_u16_e32 0x80, v0
	s_cbranch_execz .LBB353_809
; %bb.804:                              ;   in Loop: Header=BB353_15 Depth=1
	v_bfe_u32 v0, v4, 16, 7
	v_mov_b32_e32 v2, 0x7f800001
	s_mov_b32 s18, exec_lo
	s_delay_alu instid0(VALU_DEP_2)
	v_cmpx_ne_u32_e32 0x7f, v0
	s_cbranch_execz .LBB353_808
; %bb.805:                              ;   in Loop: Header=BB353_15 Depth=1
	v_dual_lshrrev_b32 v2, 3, v0 :: v_dual_bitop2_b32 v52, 7, v6 bitop3:0x40
	v_cmp_gt_u32_e64 s1, 8, v0
	s_delay_alu instid0(VALU_DEP_2)
	v_mov_b64_e32 v[0:1], v[52:53]
	s_and_saveexec_b32 s19, s1
; %bb.806:                              ;   in Loop: Header=BB353_15 Depth=1
	v_clz_i32_u32_e32 v0, v52
	s_delay_alu instid0(VALU_DEP_1) | instskip(NEXT) | instid1(VALU_DEP_1)
	v_min_u32_e32 v2, 32, v0
	v_subrev_nc_u32_e32 v0, 28, v2
	s_delay_alu instid0(VALU_DEP_1) | instskip(NEXT) | instid1(VALU_DEP_1)
	v_lshlrev_b64_e32 v[0:1], v0, v[52:53]
	v_dual_sub_nc_u32 v2, 29, v2 :: v_dual_bitop2_b32 v0, 7, v0 bitop3:0x40
; %bb.807:                              ;   in Loop: Header=BB353_15 Depth=1
	s_or_b32 exec_lo, exec_lo, s19
	s_delay_alu instid0(VALU_DEP_1) | instskip(NEXT) | instid1(VALU_DEP_2)
	v_dual_lshlrev_b32 v1, 24, v6 :: v_dual_lshlrev_b32 v0, 20, v0
	v_lshl_add_u32 v2, v2, 23, 0x3c000000
	s_delay_alu instid0(VALU_DEP_2) | instskip(NEXT) | instid1(VALU_DEP_1)
	v_and_b32_e32 v1, 0x80000000, v1
	v_or3_b32 v2, v0, v1, v2
.LBB353_808:                            ;   in Loop: Header=BB353_15 Depth=1
	s_or_b32 exec_lo, exec_lo, s18
.LBB353_809:                            ;   in Loop: Header=BB353_15 Depth=1
	s_delay_alu instid0(SALU_CYCLE_1)
	s_or_b32 exec_lo, exec_lo, s17
.LBB353_810:                            ;   in Loop: Header=BB353_15 Depth=1
	s_delay_alu instid0(SALU_CYCLE_1) | instskip(NEXT) | instid1(SALU_CYCLE_1)
	s_or_b32 exec_lo, exec_lo, s16
	s_mov_b32 s16, exec_lo
	v_cmpx_lt_u32_e32 0xffffff, v4
	s_cbranch_execz .LBB353_818
; %bb.811:                              ;   in Loop: Header=BB353_15 Depth=1
	v_lshrrev_b32_e32 v6, 24, v4
	v_bfrev_b32_e32 v3, 1
	s_mov_b32 s17, exec_lo
	s_delay_alu instid0(VALU_DEP_2)
	v_cmpx_ne_u32_e32 0x80, v6
	s_cbranch_execz .LBB353_817
; %bb.812:                              ;   in Loop: Header=BB353_15 Depth=1
	v_bfe_u32 v0, v4, 24, 7
	v_mov_b32_e32 v3, 0x7f800001
	s_mov_b32 s18, exec_lo
	s_delay_alu instid0(VALU_DEP_2)
	v_cmpx_ne_u32_e32 0x7f, v0
	s_cbranch_execz .LBB353_816
; %bb.813:                              ;   in Loop: Header=BB353_15 Depth=1
	v_dual_lshrrev_b32 v3, 3, v0 :: v_dual_bitop2_b32 v52, 7, v6 bitop3:0x40
	v_cmp_gt_u32_e64 s1, 8, v0
	s_delay_alu instid0(VALU_DEP_2)
	v_mov_b64_e32 v[0:1], v[52:53]
	s_and_saveexec_b32 s19, s1
; %bb.814:                              ;   in Loop: Header=BB353_15 Depth=1
	v_clz_i32_u32_e32 v0, v52
	s_delay_alu instid0(VALU_DEP_1) | instskip(NEXT) | instid1(VALU_DEP_1)
	v_min_u32_e32 v3, 32, v0
	v_subrev_nc_u32_e32 v0, 28, v3
	s_delay_alu instid0(VALU_DEP_1) | instskip(NEXT) | instid1(VALU_DEP_1)
	v_lshlrev_b64_e32 v[0:1], v0, v[52:53]
	v_dual_sub_nc_u32 v3, 29, v3 :: v_dual_bitop2_b32 v0, 7, v0 bitop3:0x40
; %bb.815:                              ;   in Loop: Header=BB353_15 Depth=1
	s_or_b32 exec_lo, exec_lo, s19
	s_delay_alu instid0(VALU_DEP_1) | instskip(NEXT) | instid1(VALU_DEP_2)
	v_dual_lshlrev_b32 v1, 24, v6 :: v_dual_lshlrev_b32 v0, 20, v0
	v_lshl_add_u32 v3, v3, 23, 0x3c000000
	s_delay_alu instid0(VALU_DEP_2) | instskip(NEXT) | instid1(VALU_DEP_1)
	v_and_b32_e32 v1, 0x80000000, v1
	v_or3_b32 v3, v0, v1, v3
.LBB353_816:                            ;   in Loop: Header=BB353_15 Depth=1
	s_or_b32 exec_lo, exec_lo, s18
.LBB353_817:                            ;   in Loop: Header=BB353_15 Depth=1
	s_delay_alu instid0(SALU_CYCLE_1)
	s_or_b32 exec_lo, exec_lo, s17
.LBB353_818:                            ;   in Loop: Header=BB353_15 Depth=1
	s_delay_alu instid0(SALU_CYCLE_1) | instskip(SKIP_4) | instid1(VALU_DEP_3)
	s_or_b32 exec_lo, exec_lo, s16
	v_and_b32_e32 v6, 0xff, v5
	v_dual_mov_b32 v52, v5 :: v_dual_mov_b32 v1, 0
	v_mov_b32_e32 v0, 0
	s_mov_b32 s16, exec_lo
	v_cmpx_ne_u16_e32 0, v6
	s_cbranch_execz .LBB353_826
; %bb.819:                              ;   in Loop: Header=BB353_15 Depth=1
	v_bfrev_b32_e32 v0, 1
	s_mov_b32 s17, exec_lo
	v_cmpx_ne_u16_e32 0x80, v6
	s_cbranch_execz .LBB353_825
; %bb.820:                              ;   in Loop: Header=BB353_15 Depth=1
	v_and_b32_e32 v6, 0x7f, v5
	v_mov_b32_e32 v0, 0x7f800001
	s_mov_b32 s18, exec_lo
	s_delay_alu instid0(VALU_DEP_2)
	v_cmpx_ne_u32_e32 0x7f, v6
	s_cbranch_execz .LBB353_824
; %bb.821:                              ;   in Loop: Header=BB353_15 Depth=1
	v_lshrrev_b32_e32 v0, 3, v6
	v_cmp_gt_u32_e64 s1, 8, v6
	v_mov_b64_e32 v[6:7], v[52:53]
	s_and_saveexec_b32 s19, s1
; %bb.822:                              ;   in Loop: Header=BB353_15 Depth=1
	v_and_b32_e32 v0, 7, v5
	s_delay_alu instid0(VALU_DEP_1) | instskip(NEXT) | instid1(VALU_DEP_1)
	v_clz_i32_u32_e32 v0, v0
	v_min_u32_e32 v0, 32, v0
	s_delay_alu instid0(VALU_DEP_1) | instskip(SKIP_1) | instid1(VALU_DEP_2)
	v_subrev_nc_u32_e32 v6, 28, v0
	v_sub_nc_u32_e32 v0, 29, v0
	v_lshlrev_b64_e32 v[6:7], v6, v[52:53]
; %bb.823:                              ;   in Loop: Header=BB353_15 Depth=1
	s_or_b32 exec_lo, exec_lo, s19
	s_delay_alu instid0(VALU_DEP_1) | instskip(NEXT) | instid1(VALU_DEP_3)
	v_dual_lshlrev_b32 v6, 20, v6 :: v_dual_lshlrev_b32 v7, 24, v52
	v_lshl_add_u32 v0, v0, 23, 0x3c000000
	s_delay_alu instid0(VALU_DEP_2) | instskip(NEXT) | instid1(VALU_DEP_3)
	v_and_b32_e32 v6, 0x700000, v6
	v_and_b32_e32 v7, 0x80000000, v7
	s_delay_alu instid0(VALU_DEP_1)
	v_or3_b32 v0, v6, v7, v0
.LBB353_824:                            ;   in Loop: Header=BB353_15 Depth=1
	s_or_b32 exec_lo, exec_lo, s18
.LBB353_825:                            ;   in Loop: Header=BB353_15 Depth=1
	s_delay_alu instid0(SALU_CYCLE_1)
	s_or_b32 exec_lo, exec_lo, s17
.LBB353_826:                            ;   in Loop: Header=BB353_15 Depth=1
	s_delay_alu instid0(SALU_CYCLE_1) | instskip(SKIP_2) | instid1(VALU_DEP_1)
	s_or_b32 exec_lo, exec_lo, s16
	v_lshrrev_b16 v6, 8, v52
	s_mov_b32 s16, exec_lo
	v_cmpx_ne_u16_e32 0, v6
	s_cbranch_execz .LBB353_834
; %bb.827:                              ;   in Loop: Header=BB353_15 Depth=1
	v_bfrev_b32_e32 v1, 1
	s_mov_b32 s17, exec_lo
	v_cmpx_ne_u16_e32 0x80, v6
	s_cbranch_execz .LBB353_833
; %bb.828:                              ;   in Loop: Header=BB353_15 Depth=1
	v_and_b32_e32 v6, 0xffff, v6
	v_mov_b32_e32 v1, 0x7f800001
	s_mov_b32 s18, exec_lo
	s_delay_alu instid0(VALU_DEP_2) | instskip(NEXT) | instid1(VALU_DEP_1)
	v_and_b32_e32 v8, 0x7f, v6
	v_cmpx_ne_u32_e32 0x7f, v8
	s_cbranch_execz .LBB353_832
; %bb.829:                              ;   in Loop: Header=BB353_15 Depth=1
	v_dual_mov_b32 v7, v53 :: v_dual_bitop2_b32 v6, 7, v6 bitop3:0x40
	v_lshrrev_b32_e32 v1, 3, v8
	s_mov_b32 s19, exec_lo
	v_cmpx_gt_u32_e32 8, v8
; %bb.830:                              ;   in Loop: Header=BB353_15 Depth=1
	s_delay_alu instid0(VALU_DEP_3) | instskip(NEXT) | instid1(VALU_DEP_1)
	v_clz_i32_u32_e32 v1, v6
	v_min_u32_e32 v1, 32, v1
	s_delay_alu instid0(VALU_DEP_1) | instskip(NEXT) | instid1(VALU_DEP_1)
	v_subrev_nc_u32_e32 v8, 28, v1
	v_lshlrev_b64_e32 v[6:7], v8, v[6:7]
	s_delay_alu instid0(VALU_DEP_1)
	v_dual_sub_nc_u32 v1, 29, v1 :: v_dual_bitop2_b32 v6, 7, v6 bitop3:0x40
; %bb.831:                              ;   in Loop: Header=BB353_15 Depth=1
	s_or_b32 exec_lo, exec_lo, s19
	s_delay_alu instid0(VALU_DEP_1) | instskip(NEXT) | instid1(VALU_DEP_2)
	v_dual_lshlrev_b32 v7, 16, v52 :: v_dual_lshlrev_b32 v6, 20, v6
	v_lshl_add_u32 v1, v1, 23, 0x3c000000
	s_delay_alu instid0(VALU_DEP_2) | instskip(NEXT) | instid1(VALU_DEP_1)
	v_and_b32_e32 v7, 0x80000000, v7
	v_or3_b32 v1, v6, v7, v1
.LBB353_832:                            ;   in Loop: Header=BB353_15 Depth=1
	s_or_b32 exec_lo, exec_lo, s18
.LBB353_833:                            ;   in Loop: Header=BB353_15 Depth=1
	s_delay_alu instid0(SALU_CYCLE_1)
	s_or_b32 exec_lo, exec_lo, s17
.LBB353_834:                            ;   in Loop: Header=BB353_15 Depth=1
	s_delay_alu instid0(SALU_CYCLE_1) | instskip(SKIP_3) | instid1(VALU_DEP_2)
	s_or_b32 exec_lo, exec_lo, s16
	v_dual_mov_b32 v7, 0 :: v_dual_lshrrev_b32 v10, 16, v5
	v_mov_b32_e32 v6, 0
	s_mov_b32 s16, exec_lo
	v_and_b32_e32 v8, 0xff, v10
	s_delay_alu instid0(VALU_DEP_1)
	v_cmpx_ne_u16_e32 0, v8
	s_cbranch_execz .LBB353_842
; %bb.835:                              ;   in Loop: Header=BB353_15 Depth=1
	v_bfrev_b32_e32 v6, 1
	s_mov_b32 s17, exec_lo
	v_cmpx_ne_u16_e32 0x80, v8
	s_cbranch_execz .LBB353_841
; %bb.836:                              ;   in Loop: Header=BB353_15 Depth=1
	v_bfe_u32 v8, v5, 16, 7
	v_mov_b32_e32 v6, 0x7f800001
	s_mov_b32 s18, exec_lo
	s_delay_alu instid0(VALU_DEP_2)
	v_cmpx_ne_u32_e32 0x7f, v8
	s_cbranch_execz .LBB353_840
; %bb.837:                              ;   in Loop: Header=BB353_15 Depth=1
	v_dual_lshrrev_b32 v6, 3, v8 :: v_dual_bitop2_b32 v52, 7, v10 bitop3:0x40
	v_cmp_gt_u32_e64 s1, 8, v8
	s_delay_alu instid0(VALU_DEP_2)
	v_mov_b64_e32 v[8:9], v[52:53]
	s_and_saveexec_b32 s19, s1
; %bb.838:                              ;   in Loop: Header=BB353_15 Depth=1
	v_clz_i32_u32_e32 v6, v52
	s_delay_alu instid0(VALU_DEP_1) | instskip(NEXT) | instid1(VALU_DEP_1)
	v_min_u32_e32 v6, 32, v6
	v_subrev_nc_u32_e32 v8, 28, v6
	s_delay_alu instid0(VALU_DEP_1) | instskip(NEXT) | instid1(VALU_DEP_1)
	v_lshlrev_b64_e32 v[8:9], v8, v[52:53]
	v_dual_sub_nc_u32 v6, 29, v6 :: v_dual_bitop2_b32 v8, 7, v8 bitop3:0x40
; %bb.839:                              ;   in Loop: Header=BB353_15 Depth=1
	s_or_b32 exec_lo, exec_lo, s19
	s_delay_alu instid0(VALU_DEP_1) | instskip(NEXT) | instid1(VALU_DEP_2)
	v_dual_lshlrev_b32 v9, 24, v10 :: v_dual_lshlrev_b32 v8, 20, v8
	v_lshl_add_u32 v6, v6, 23, 0x3c000000
	s_delay_alu instid0(VALU_DEP_2) | instskip(NEXT) | instid1(VALU_DEP_1)
	v_and_b32_e32 v9, 0x80000000, v9
	v_or3_b32 v6, v8, v9, v6
.LBB353_840:                            ;   in Loop: Header=BB353_15 Depth=1
	s_or_b32 exec_lo, exec_lo, s18
.LBB353_841:                            ;   in Loop: Header=BB353_15 Depth=1
	s_delay_alu instid0(SALU_CYCLE_1)
	s_or_b32 exec_lo, exec_lo, s17
.LBB353_842:                            ;   in Loop: Header=BB353_15 Depth=1
	s_delay_alu instid0(SALU_CYCLE_1) | instskip(NEXT) | instid1(SALU_CYCLE_1)
	s_or_b32 exec_lo, exec_lo, s16
	s_mov_b32 s16, exec_lo
	v_cmpx_lt_u64_e64 s[8:9], v[4:5]
	s_cbranch_execz .LBB353_850
; %bb.843:                              ;   in Loop: Header=BB353_15 Depth=1
	v_lshrrev_b32_e32 v8, 24, v5
	v_bfrev_b32_e32 v7, 1
	s_mov_b32 s17, exec_lo
	s_delay_alu instid0(VALU_DEP_2)
	v_cmpx_ne_u32_e32 0x80, v8
	s_cbranch_execz .LBB353_849
; %bb.844:                              ;   in Loop: Header=BB353_15 Depth=1
	v_bfe_u32 v4, v5, 24, 7
	v_mov_b32_e32 v7, 0x7f800001
	s_mov_b32 s18, exec_lo
	s_delay_alu instid0(VALU_DEP_2)
	v_cmpx_ne_u32_e32 0x7f, v4
	s_cbranch_execz .LBB353_848
; %bb.845:                              ;   in Loop: Header=BB353_15 Depth=1
	v_and_b32_e32 v52, 7, v8
	v_lshrrev_b32_e32 v7, 3, v4
	v_cmp_gt_u32_e64 s1, 8, v4
	s_delay_alu instid0(VALU_DEP_3)
	v_mov_b64_e32 v[4:5], v[52:53]
	s_and_saveexec_b32 s19, s1
; %bb.846:                              ;   in Loop: Header=BB353_15 Depth=1
	v_clz_i32_u32_e32 v4, v52
	s_delay_alu instid0(VALU_DEP_1) | instskip(NEXT) | instid1(VALU_DEP_1)
	v_min_u32_e32 v7, 32, v4
	v_subrev_nc_u32_e32 v4, 28, v7
	s_delay_alu instid0(VALU_DEP_1) | instskip(NEXT) | instid1(VALU_DEP_1)
	v_lshlrev_b64_e32 v[4:5], v4, v[52:53]
	v_dual_sub_nc_u32 v7, 29, v7 :: v_dual_bitop2_b32 v4, 7, v4 bitop3:0x40
; %bb.847:                              ;   in Loop: Header=BB353_15 Depth=1
	s_or_b32 exec_lo, exec_lo, s19
	v_lshlrev_b32_e32 v5, 24, v8
	s_delay_alu instid0(VALU_DEP_2) | instskip(NEXT) | instid1(VALU_DEP_3)
	v_lshlrev_b32_e32 v4, 20, v4
	v_lshl_add_u32 v7, v7, 23, 0x3c000000
	s_delay_alu instid0(VALU_DEP_3) | instskip(NEXT) | instid1(VALU_DEP_1)
	v_and_b32_e32 v5, 0x80000000, v5
	v_or3_b32 v7, v4, v5, v7
.LBB353_848:                            ;   in Loop: Header=BB353_15 Depth=1
	s_or_b32 exec_lo, exec_lo, s18
.LBB353_849:                            ;   in Loop: Header=BB353_15 Depth=1
	s_delay_alu instid0(SALU_CYCLE_1)
	s_or_b32 exec_lo, exec_lo, s17
.LBB353_850:                            ;   in Loop: Header=BB353_15 Depth=1
	s_delay_alu instid0(SALU_CYCLE_1)
	s_or_b32 exec_lo, exec_lo, s16
	flat_load_b64 v[4:5], v[112:113] offset:3080
	v_dual_mov_b32 v11, 0 :: v_dual_mov_b32 v10, 0
	s_mov_b32 s16, exec_lo
	s_wait_loadcnt_dscnt 0x0
	v_and_b32_e32 v8, 0xff, v4
	s_wait_xcnt 0x0
	s_delay_alu instid0(VALU_DEP_1)
	v_cmpx_ne_u16_e32 0, v8
	s_cbranch_execz .LBB353_858
; %bb.851:                              ;   in Loop: Header=BB353_15 Depth=1
	v_bfrev_b32_e32 v10, 1
	s_mov_b32 s17, exec_lo
	v_cmpx_ne_u16_e32 0x80, v8
	s_cbranch_execz .LBB353_857
; %bb.852:                              ;   in Loop: Header=BB353_15 Depth=1
	v_and_b32_e32 v8, 0x7f, v4
	v_mov_b32_e32 v10, 0x7f800001
	s_mov_b32 s18, exec_lo
	s_delay_alu instid0(VALU_DEP_2)
	v_cmpx_ne_u32_e32 0x7f, v8
	s_cbranch_execz .LBB353_856
; %bb.853:                              ;   in Loop: Header=BB353_15 Depth=1
	v_lshrrev_b32_e32 v10, 3, v8
	v_cmp_gt_u32_e64 s1, 8, v8
	v_mov_b64_e32 v[8:9], v[4:5]
	s_and_saveexec_b32 s19, s1
; %bb.854:                              ;   in Loop: Header=BB353_15 Depth=1
	v_and_b32_e32 v8, 7, v4
	s_delay_alu instid0(VALU_DEP_1) | instskip(NEXT) | instid1(VALU_DEP_1)
	v_clz_i32_u32_e32 v8, v8
	v_min_u32_e32 v10, 32, v8
	s_delay_alu instid0(VALU_DEP_1) | instskip(SKIP_1) | instid1(VALU_DEP_2)
	v_subrev_nc_u32_e32 v8, 28, v10
	v_sub_nc_u32_e32 v10, 29, v10
	v_lshlrev_b64_e32 v[8:9], v8, v[4:5]
; %bb.855:                              ;   in Loop: Header=BB353_15 Depth=1
	s_or_b32 exec_lo, exec_lo, s19
	s_delay_alu instid0(VALU_DEP_1) | instskip(SKIP_2) | instid1(VALU_DEP_3)
	v_lshlrev_b32_e32 v8, 20, v8
	v_lshlrev_b32_e32 v9, 24, v4
	v_lshl_add_u32 v10, v10, 23, 0x3c000000
	v_and_b32_e32 v8, 0x700000, v8
	s_delay_alu instid0(VALU_DEP_3) | instskip(NEXT) | instid1(VALU_DEP_1)
	v_and_b32_e32 v9, 0x80000000, v9
	v_or3_b32 v10, v8, v9, v10
.LBB353_856:                            ;   in Loop: Header=BB353_15 Depth=1
	s_or_b32 exec_lo, exec_lo, s18
.LBB353_857:                            ;   in Loop: Header=BB353_15 Depth=1
	s_delay_alu instid0(SALU_CYCLE_1)
	s_or_b32 exec_lo, exec_lo, s17
.LBB353_858:                            ;   in Loop: Header=BB353_15 Depth=1
	s_delay_alu instid0(SALU_CYCLE_1) | instskip(SKIP_2) | instid1(VALU_DEP_1)
	s_or_b32 exec_lo, exec_lo, s16
	v_lshrrev_b16 v8, 8, v4
	s_mov_b32 s16, exec_lo
	v_cmpx_ne_u16_e32 0, v8
	s_cbranch_execz .LBB353_866
; %bb.859:                              ;   in Loop: Header=BB353_15 Depth=1
	v_bfrev_b32_e32 v11, 1
	s_mov_b32 s17, exec_lo
	v_cmpx_ne_u16_e32 0x80, v8
	s_cbranch_execz .LBB353_865
; %bb.860:                              ;   in Loop: Header=BB353_15 Depth=1
	v_and_b32_e32 v9, 0xffff, v8
	v_mov_b32_e32 v11, 0x7f800001
	s_mov_b32 s18, exec_lo
	s_delay_alu instid0(VALU_DEP_2) | instskip(NEXT) | instid1(VALU_DEP_1)
	v_and_b32_e32 v8, 0x7f, v9
	v_cmpx_ne_u32_e32 0x7f, v8
	s_cbranch_execz .LBB353_864
; %bb.861:                              ;   in Loop: Header=BB353_15 Depth=1
	v_dual_lshrrev_b32 v11, 3, v8 :: v_dual_bitop2_b32 v52, 7, v9 bitop3:0x40
	v_cmp_gt_u32_e64 s1, 8, v8
	s_delay_alu instid0(VALU_DEP_2)
	v_mov_b64_e32 v[8:9], v[52:53]
	s_and_saveexec_b32 s19, s1
; %bb.862:                              ;   in Loop: Header=BB353_15 Depth=1
	v_clz_i32_u32_e32 v8, v52
	s_delay_alu instid0(VALU_DEP_1) | instskip(NEXT) | instid1(VALU_DEP_1)
	v_min_u32_e32 v11, 32, v8
	v_subrev_nc_u32_e32 v8, 28, v11
	s_delay_alu instid0(VALU_DEP_1) | instskip(NEXT) | instid1(VALU_DEP_1)
	v_lshlrev_b64_e32 v[8:9], v8, v[52:53]
	v_dual_sub_nc_u32 v11, 29, v11 :: v_dual_bitop2_b32 v8, 7, v8 bitop3:0x40
; %bb.863:                              ;   in Loop: Header=BB353_15 Depth=1
	s_or_b32 exec_lo, exec_lo, s19
	v_lshlrev_b32_e32 v9, 16, v4
	s_delay_alu instid0(VALU_DEP_2) | instskip(NEXT) | instid1(VALU_DEP_3)
	v_lshlrev_b32_e32 v8, 20, v8
	v_lshl_add_u32 v11, v11, 23, 0x3c000000
	s_delay_alu instid0(VALU_DEP_3) | instskip(NEXT) | instid1(VALU_DEP_1)
	v_and_b32_e32 v9, 0x80000000, v9
	v_or3_b32 v11, v8, v9, v11
.LBB353_864:                            ;   in Loop: Header=BB353_15 Depth=1
	s_or_b32 exec_lo, exec_lo, s18
.LBB353_865:                            ;   in Loop: Header=BB353_15 Depth=1
	s_delay_alu instid0(SALU_CYCLE_1)
	s_or_b32 exec_lo, exec_lo, s17
.LBB353_866:                            ;   in Loop: Header=BB353_15 Depth=1
	s_delay_alu instid0(SALU_CYCLE_1) | instskip(SKIP_3) | instid1(VALU_DEP_2)
	s_or_b32 exec_lo, exec_lo, s16
	v_dual_mov_b32 v51, 0 :: v_dual_lshrrev_b32 v18, 16, v4
	v_mov_b32_e32 v50, 0
	s_mov_b32 s16, exec_lo
	v_and_b32_e32 v8, 0xff, v18
	s_delay_alu instid0(VALU_DEP_1)
	v_cmpx_ne_u16_e32 0, v8
	s_cbranch_execz .LBB353_874
; %bb.867:                              ;   in Loop: Header=BB353_15 Depth=1
	v_bfrev_b32_e32 v50, 1
	s_mov_b32 s17, exec_lo
	v_cmpx_ne_u16_e32 0x80, v8
	s_cbranch_execz .LBB353_873
; %bb.868:                              ;   in Loop: Header=BB353_15 Depth=1
	v_bfe_u32 v8, v4, 16, 7
	v_mov_b32_e32 v50, 0x7f800001
	s_mov_b32 s18, exec_lo
	s_delay_alu instid0(VALU_DEP_2)
	v_cmpx_ne_u32_e32 0x7f, v8
	s_cbranch_execz .LBB353_872
; %bb.869:                              ;   in Loop: Header=BB353_15 Depth=1
	v_dual_lshrrev_b32 v19, 3, v8 :: v_dual_bitop2_b32 v52, 7, v18 bitop3:0x40
	v_cmp_gt_u32_e64 s1, 8, v8
	s_delay_alu instid0(VALU_DEP_2)
	v_mov_b64_e32 v[8:9], v[52:53]
	s_and_saveexec_b32 s19, s1
; %bb.870:                              ;   in Loop: Header=BB353_15 Depth=1
	v_clz_i32_u32_e32 v8, v52
	s_delay_alu instid0(VALU_DEP_1) | instskip(NEXT) | instid1(VALU_DEP_1)
	v_min_u32_e32 v19, 32, v8
	v_subrev_nc_u32_e32 v8, 28, v19
	s_delay_alu instid0(VALU_DEP_1) | instskip(NEXT) | instid1(VALU_DEP_1)
	v_lshlrev_b64_e32 v[8:9], v8, v[52:53]
	v_dual_sub_nc_u32 v19, 29, v19 :: v_dual_bitop2_b32 v8, 7, v8 bitop3:0x40
; %bb.871:                              ;   in Loop: Header=BB353_15 Depth=1
	s_or_b32 exec_lo, exec_lo, s19
	s_delay_alu instid0(VALU_DEP_1) | instskip(NEXT) | instid1(VALU_DEP_2)
	v_dual_lshlrev_b32 v9, 24, v18 :: v_dual_lshlrev_b32 v8, 20, v8
	v_lshl_add_u32 v18, v19, 23, 0x3c000000
	s_delay_alu instid0(VALU_DEP_2) | instskip(NEXT) | instid1(VALU_DEP_1)
	v_and_b32_e32 v9, 0x80000000, v9
	v_or3_b32 v50, v8, v9, v18
.LBB353_872:                            ;   in Loop: Header=BB353_15 Depth=1
	s_or_b32 exec_lo, exec_lo, s18
.LBB353_873:                            ;   in Loop: Header=BB353_15 Depth=1
	s_delay_alu instid0(SALU_CYCLE_1)
	s_or_b32 exec_lo, exec_lo, s17
.LBB353_874:                            ;   in Loop: Header=BB353_15 Depth=1
	s_delay_alu instid0(SALU_CYCLE_1) | instskip(NEXT) | instid1(SALU_CYCLE_1)
	s_or_b32 exec_lo, exec_lo, s16
	s_mov_b32 s16, exec_lo
	v_cmpx_lt_u32_e32 0xffffff, v4
	s_cbranch_execz .LBB353_882
; %bb.875:                              ;   in Loop: Header=BB353_15 Depth=1
	v_lshrrev_b32_e32 v18, 24, v4
	v_bfrev_b32_e32 v51, 1
	s_mov_b32 s17, exec_lo
	s_delay_alu instid0(VALU_DEP_2)
	v_cmpx_ne_u32_e32 0x80, v18
	s_cbranch_execz .LBB353_881
; %bb.876:                              ;   in Loop: Header=BB353_15 Depth=1
	v_bfe_u32 v8, v4, 24, 7
	v_mov_b32_e32 v51, 0x7f800001
	s_mov_b32 s18, exec_lo
	s_delay_alu instid0(VALU_DEP_2)
	v_cmpx_ne_u32_e32 0x7f, v8
	s_cbranch_execz .LBB353_880
; %bb.877:                              ;   in Loop: Header=BB353_15 Depth=1
	v_dual_lshrrev_b32 v19, 3, v8 :: v_dual_bitop2_b32 v52, 7, v18 bitop3:0x40
	v_cmp_gt_u32_e64 s1, 8, v8
	s_delay_alu instid0(VALU_DEP_2)
	v_mov_b64_e32 v[8:9], v[52:53]
	s_and_saveexec_b32 s19, s1
; %bb.878:                              ;   in Loop: Header=BB353_15 Depth=1
	v_clz_i32_u32_e32 v8, v52
	s_delay_alu instid0(VALU_DEP_1) | instskip(NEXT) | instid1(VALU_DEP_1)
	v_min_u32_e32 v19, 32, v8
	v_subrev_nc_u32_e32 v8, 28, v19
	s_delay_alu instid0(VALU_DEP_1) | instskip(NEXT) | instid1(VALU_DEP_1)
	v_lshlrev_b64_e32 v[8:9], v8, v[52:53]
	v_dual_sub_nc_u32 v19, 29, v19 :: v_dual_bitop2_b32 v8, 7, v8 bitop3:0x40
; %bb.879:                              ;   in Loop: Header=BB353_15 Depth=1
	s_or_b32 exec_lo, exec_lo, s19
	s_delay_alu instid0(VALU_DEP_1) | instskip(NEXT) | instid1(VALU_DEP_2)
	v_dual_lshlrev_b32 v9, 24, v18 :: v_dual_lshlrev_b32 v8, 20, v8
	v_lshl_add_u32 v18, v19, 23, 0x3c000000
	s_delay_alu instid0(VALU_DEP_2) | instskip(NEXT) | instid1(VALU_DEP_1)
	v_and_b32_e32 v9, 0x80000000, v9
	v_or3_b32 v51, v8, v9, v18
.LBB353_880:                            ;   in Loop: Header=BB353_15 Depth=1
	s_or_b32 exec_lo, exec_lo, s18
.LBB353_881:                            ;   in Loop: Header=BB353_15 Depth=1
	s_delay_alu instid0(SALU_CYCLE_1)
	s_or_b32 exec_lo, exec_lo, s17
.LBB353_882:                            ;   in Loop: Header=BB353_15 Depth=1
	s_delay_alu instid0(SALU_CYCLE_1) | instskip(SKIP_4) | instid1(VALU_DEP_3)
	s_or_b32 exec_lo, exec_lo, s16
	v_and_b32_e32 v8, 0xff, v5
	v_dual_mov_b32 v52, v5 :: v_dual_mov_b32 v27, 0
	v_mov_b32_e32 v26, 0
	s_mov_b32 s16, exec_lo
	v_cmpx_ne_u16_e32 0, v8
	s_cbranch_execz .LBB353_890
; %bb.883:                              ;   in Loop: Header=BB353_15 Depth=1
	v_bfrev_b32_e32 v26, 1
	s_mov_b32 s17, exec_lo
	v_cmpx_ne_u16_e32 0x80, v8
	s_cbranch_execz .LBB353_889
; %bb.884:                              ;   in Loop: Header=BB353_15 Depth=1
	v_and_b32_e32 v8, 0x7f, v5
	v_mov_b32_e32 v26, 0x7f800001
	s_mov_b32 s18, exec_lo
	s_delay_alu instid0(VALU_DEP_2)
	v_cmpx_ne_u32_e32 0x7f, v8
	s_cbranch_execz .LBB353_888
; %bb.885:                              ;   in Loop: Header=BB353_15 Depth=1
	v_lshrrev_b32_e32 v18, 3, v8
	v_cmp_gt_u32_e64 s1, 8, v8
	v_mov_b64_e32 v[8:9], v[52:53]
	s_and_saveexec_b32 s19, s1
; %bb.886:                              ;   in Loop: Header=BB353_15 Depth=1
	v_and_b32_e32 v8, 7, v5
	s_delay_alu instid0(VALU_DEP_1) | instskip(NEXT) | instid1(VALU_DEP_1)
	v_clz_i32_u32_e32 v8, v8
	v_min_u32_e32 v18, 32, v8
	s_delay_alu instid0(VALU_DEP_1) | instskip(SKIP_1) | instid1(VALU_DEP_2)
	v_subrev_nc_u32_e32 v8, 28, v18
	v_sub_nc_u32_e32 v18, 29, v18
	v_lshlrev_b64_e32 v[8:9], v8, v[52:53]
; %bb.887:                              ;   in Loop: Header=BB353_15 Depth=1
	s_or_b32 exec_lo, exec_lo, s19
	s_delay_alu instid0(VALU_DEP_1) | instskip(SKIP_2) | instid1(VALU_DEP_3)
	v_lshlrev_b32_e32 v8, 20, v8
	v_lshlrev_b32_e32 v9, 24, v52
	v_lshl_add_u32 v18, v18, 23, 0x3c000000
	v_and_b32_e32 v8, 0x700000, v8
	s_delay_alu instid0(VALU_DEP_3) | instskip(NEXT) | instid1(VALU_DEP_1)
	v_and_b32_e32 v9, 0x80000000, v9
	v_or3_b32 v26, v8, v9, v18
.LBB353_888:                            ;   in Loop: Header=BB353_15 Depth=1
	s_or_b32 exec_lo, exec_lo, s18
.LBB353_889:                            ;   in Loop: Header=BB353_15 Depth=1
	s_delay_alu instid0(SALU_CYCLE_1)
	s_or_b32 exec_lo, exec_lo, s17
.LBB353_890:                            ;   in Loop: Header=BB353_15 Depth=1
	s_delay_alu instid0(SALU_CYCLE_1) | instskip(SKIP_2) | instid1(VALU_DEP_1)
	s_or_b32 exec_lo, exec_lo, s16
	v_lshrrev_b16 v8, 8, v52
	s_mov_b32 s16, exec_lo
	v_cmpx_ne_u16_e32 0, v8
	s_cbranch_execz .LBB353_898
; %bb.891:                              ;   in Loop: Header=BB353_15 Depth=1
	v_bfrev_b32_e32 v27, 1
	s_mov_b32 s17, exec_lo
	v_cmpx_ne_u16_e32 0x80, v8
	s_cbranch_execz .LBB353_897
; %bb.892:                              ;   in Loop: Header=BB353_15 Depth=1
	v_and_b32_e32 v8, 0xffff, v8
	v_mov_b32_e32 v27, 0x7f800001
	s_mov_b32 s18, exec_lo
	s_delay_alu instid0(VALU_DEP_2) | instskip(NEXT) | instid1(VALU_DEP_1)
	v_and_b32_e32 v19, 0x7f, v8
	v_cmpx_ne_u32_e32 0x7f, v19
	s_cbranch_execz .LBB353_896
; %bb.893:                              ;   in Loop: Header=BB353_15 Depth=1
	v_dual_mov_b32 v9, v53 :: v_dual_bitop2_b32 v8, 7, v8 bitop3:0x40
	v_lshrrev_b32_e32 v18, 3, v19
	s_mov_b32 s19, exec_lo
	v_cmpx_gt_u32_e32 8, v19
; %bb.894:                              ;   in Loop: Header=BB353_15 Depth=1
	s_delay_alu instid0(VALU_DEP_3) | instskip(NEXT) | instid1(VALU_DEP_1)
	v_clz_i32_u32_e32 v18, v8
	v_min_u32_e32 v18, 32, v18
	s_delay_alu instid0(VALU_DEP_1) | instskip(NEXT) | instid1(VALU_DEP_1)
	v_subrev_nc_u32_e32 v19, 28, v18
	v_lshlrev_b64_e32 v[8:9], v19, v[8:9]
	s_delay_alu instid0(VALU_DEP_1)
	v_dual_sub_nc_u32 v18, 29, v18 :: v_dual_bitop2_b32 v8, 7, v8 bitop3:0x40
; %bb.895:                              ;   in Loop: Header=BB353_15 Depth=1
	s_or_b32 exec_lo, exec_lo, s19
	v_lshlrev_b32_e32 v9, 16, v52
	s_delay_alu instid0(VALU_DEP_2) | instskip(NEXT) | instid1(VALU_DEP_3)
	v_lshlrev_b32_e32 v8, 20, v8
	v_lshl_add_u32 v18, v18, 23, 0x3c000000
	s_delay_alu instid0(VALU_DEP_3) | instskip(NEXT) | instid1(VALU_DEP_1)
	v_and_b32_e32 v9, 0x80000000, v9
	v_or3_b32 v27, v8, v9, v18
.LBB353_896:                            ;   in Loop: Header=BB353_15 Depth=1
	s_or_b32 exec_lo, exec_lo, s18
.LBB353_897:                            ;   in Loop: Header=BB353_15 Depth=1
	s_delay_alu instid0(SALU_CYCLE_1)
	s_or_b32 exec_lo, exec_lo, s17
.LBB353_898:                            ;   in Loop: Header=BB353_15 Depth=1
	s_delay_alu instid0(SALU_CYCLE_1) | instskip(SKIP_3) | instid1(VALU_DEP_2)
	s_or_b32 exec_lo, exec_lo, s16
	v_dual_mov_b32 v55, 0 :: v_dual_lshrrev_b32 v18, 16, v5
	v_mov_b32_e32 v54, 0
	s_mov_b32 s16, exec_lo
	v_and_b32_e32 v8, 0xff, v18
	s_delay_alu instid0(VALU_DEP_1)
	v_cmpx_ne_u16_e32 0, v8
	s_cbranch_execz .LBB353_906
; %bb.899:                              ;   in Loop: Header=BB353_15 Depth=1
	v_bfrev_b32_e32 v54, 1
	s_mov_b32 s17, exec_lo
	v_cmpx_ne_u16_e32 0x80, v8
	s_cbranch_execz .LBB353_905
; %bb.900:                              ;   in Loop: Header=BB353_15 Depth=1
	v_bfe_u32 v8, v5, 16, 7
	v_mov_b32_e32 v54, 0x7f800001
	s_mov_b32 s18, exec_lo
	s_delay_alu instid0(VALU_DEP_2)
	v_cmpx_ne_u32_e32 0x7f, v8
	s_cbranch_execz .LBB353_904
; %bb.901:                              ;   in Loop: Header=BB353_15 Depth=1
	v_dual_lshrrev_b32 v19, 3, v8 :: v_dual_bitop2_b32 v52, 7, v18 bitop3:0x40
	v_cmp_gt_u32_e64 s1, 8, v8
	s_delay_alu instid0(VALU_DEP_2)
	v_mov_b64_e32 v[8:9], v[52:53]
	s_and_saveexec_b32 s19, s1
; %bb.902:                              ;   in Loop: Header=BB353_15 Depth=1
	v_clz_i32_u32_e32 v8, v52
	s_delay_alu instid0(VALU_DEP_1) | instskip(NEXT) | instid1(VALU_DEP_1)
	v_min_u32_e32 v19, 32, v8
	v_subrev_nc_u32_e32 v8, 28, v19
	s_delay_alu instid0(VALU_DEP_1) | instskip(NEXT) | instid1(VALU_DEP_1)
	v_lshlrev_b64_e32 v[8:9], v8, v[52:53]
	v_dual_sub_nc_u32 v19, 29, v19 :: v_dual_bitop2_b32 v8, 7, v8 bitop3:0x40
; %bb.903:                              ;   in Loop: Header=BB353_15 Depth=1
	s_or_b32 exec_lo, exec_lo, s19
	s_delay_alu instid0(VALU_DEP_1) | instskip(NEXT) | instid1(VALU_DEP_2)
	v_dual_lshlrev_b32 v9, 24, v18 :: v_dual_lshlrev_b32 v8, 20, v8
	v_lshl_add_u32 v18, v19, 23, 0x3c000000
	s_delay_alu instid0(VALU_DEP_2) | instskip(NEXT) | instid1(VALU_DEP_1)
	v_and_b32_e32 v9, 0x80000000, v9
	v_or3_b32 v54, v8, v9, v18
.LBB353_904:                            ;   in Loop: Header=BB353_15 Depth=1
	s_or_b32 exec_lo, exec_lo, s18
.LBB353_905:                            ;   in Loop: Header=BB353_15 Depth=1
	s_delay_alu instid0(SALU_CYCLE_1)
	s_or_b32 exec_lo, exec_lo, s17
.LBB353_906:                            ;   in Loop: Header=BB353_15 Depth=1
	s_delay_alu instid0(SALU_CYCLE_1) | instskip(NEXT) | instid1(SALU_CYCLE_1)
	s_or_b32 exec_lo, exec_lo, s16
	s_mov_b32 s16, exec_lo
	v_cmpx_lt_u64_e64 s[8:9], v[4:5]
	s_cbranch_execz .LBB353_914
; %bb.907:                              ;   in Loop: Header=BB353_15 Depth=1
	v_lshrrev_b32_e32 v8, 24, v5
	v_bfrev_b32_e32 v55, 1
	s_mov_b32 s17, exec_lo
	s_delay_alu instid0(VALU_DEP_2)
	v_cmpx_ne_u32_e32 0x80, v8
	s_cbranch_execz .LBB353_913
; %bb.908:                              ;   in Loop: Header=BB353_15 Depth=1
	v_bfe_u32 v4, v5, 24, 7
	v_mov_b32_e32 v55, 0x7f800001
	s_mov_b32 s18, exec_lo
	s_delay_alu instid0(VALU_DEP_2)
	v_cmpx_ne_u32_e32 0x7f, v4
	s_cbranch_execz .LBB353_912
; %bb.909:                              ;   in Loop: Header=BB353_15 Depth=1
	v_and_b32_e32 v52, 7, v8
	v_lshrrev_b32_e32 v9, 3, v4
	v_cmp_gt_u32_e64 s1, 8, v4
	s_delay_alu instid0(VALU_DEP_3)
	v_mov_b64_e32 v[4:5], v[52:53]
	s_and_saveexec_b32 s19, s1
; %bb.910:                              ;   in Loop: Header=BB353_15 Depth=1
	v_clz_i32_u32_e32 v4, v52
	s_delay_alu instid0(VALU_DEP_1) | instskip(NEXT) | instid1(VALU_DEP_1)
	v_min_u32_e32 v9, 32, v4
	v_subrev_nc_u32_e32 v4, 28, v9
	s_delay_alu instid0(VALU_DEP_1) | instskip(NEXT) | instid1(VALU_DEP_1)
	v_lshlrev_b64_e32 v[4:5], v4, v[52:53]
	v_dual_sub_nc_u32 v9, 29, v9 :: v_dual_bitop2_b32 v4, 7, v4 bitop3:0x40
; %bb.911:                              ;   in Loop: Header=BB353_15 Depth=1
	s_or_b32 exec_lo, exec_lo, s19
	v_lshlrev_b32_e32 v5, 24, v8
	s_delay_alu instid0(VALU_DEP_2) | instskip(NEXT) | instid1(VALU_DEP_3)
	v_lshlrev_b32_e32 v4, 20, v4
	v_lshl_add_u32 v8, v9, 23, 0x3c000000
	s_delay_alu instid0(VALU_DEP_3) | instskip(NEXT) | instid1(VALU_DEP_1)
	v_and_b32_e32 v5, 0x80000000, v5
	v_or3_b32 v55, v4, v5, v8
.LBB353_912:                            ;   in Loop: Header=BB353_15 Depth=1
	s_or_b32 exec_lo, exec_lo, s18
.LBB353_913:                            ;   in Loop: Header=BB353_15 Depth=1
	s_delay_alu instid0(SALU_CYCLE_1)
	s_or_b32 exec_lo, exec_lo, s17
.LBB353_914:                            ;   in Loop: Header=BB353_15 Depth=1
	s_delay_alu instid0(SALU_CYCLE_1)
	s_or_b32 exec_lo, exec_lo, s16
	flat_load_b64 v[4:5], v[112:113] offset:3584
	v_dual_mov_b32 v23, 0 :: v_dual_mov_b32 v22, 0
	s_mov_b32 s16, exec_lo
	s_wait_loadcnt_dscnt 0x0
	v_and_b32_e32 v8, 0xff, v4
	s_wait_xcnt 0x0
	s_delay_alu instid0(VALU_DEP_1)
	v_cmpx_ne_u16_e32 0, v8
	s_cbranch_execz .LBB353_922
; %bb.915:                              ;   in Loop: Header=BB353_15 Depth=1
	v_bfrev_b32_e32 v22, 1
	s_mov_b32 s17, exec_lo
	v_cmpx_ne_u16_e32 0x80, v8
	s_cbranch_execz .LBB353_921
; %bb.916:                              ;   in Loop: Header=BB353_15 Depth=1
	v_and_b32_e32 v8, 0x7f, v4
	v_mov_b32_e32 v22, 0x7f800001
	s_mov_b32 s18, exec_lo
	s_delay_alu instid0(VALU_DEP_2)
	v_cmpx_ne_u32_e32 0x7f, v8
	s_cbranch_execz .LBB353_920
; %bb.917:                              ;   in Loop: Header=BB353_15 Depth=1
	v_lshrrev_b32_e32 v18, 3, v8
	v_cmp_gt_u32_e64 s1, 8, v8
	v_mov_b64_e32 v[8:9], v[4:5]
	s_and_saveexec_b32 s19, s1
; %bb.918:                              ;   in Loop: Header=BB353_15 Depth=1
	v_and_b32_e32 v8, 7, v4
	s_delay_alu instid0(VALU_DEP_1) | instskip(NEXT) | instid1(VALU_DEP_1)
	v_clz_i32_u32_e32 v8, v8
	v_min_u32_e32 v18, 32, v8
	s_delay_alu instid0(VALU_DEP_1) | instskip(SKIP_1) | instid1(VALU_DEP_2)
	v_subrev_nc_u32_e32 v8, 28, v18
	v_sub_nc_u32_e32 v18, 29, v18
	v_lshlrev_b64_e32 v[8:9], v8, v[4:5]
; %bb.919:                              ;   in Loop: Header=BB353_15 Depth=1
	s_or_b32 exec_lo, exec_lo, s19
	s_delay_alu instid0(VALU_DEP_1) | instskip(SKIP_2) | instid1(VALU_DEP_3)
	v_lshlrev_b32_e32 v8, 20, v8
	v_lshlrev_b32_e32 v9, 24, v4
	v_lshl_add_u32 v18, v18, 23, 0x3c000000
	v_and_b32_e32 v8, 0x700000, v8
	s_delay_alu instid0(VALU_DEP_3) | instskip(NEXT) | instid1(VALU_DEP_1)
	v_and_b32_e32 v9, 0x80000000, v9
	v_or3_b32 v22, v8, v9, v18
.LBB353_920:                            ;   in Loop: Header=BB353_15 Depth=1
	s_or_b32 exec_lo, exec_lo, s18
.LBB353_921:                            ;   in Loop: Header=BB353_15 Depth=1
	s_delay_alu instid0(SALU_CYCLE_1)
	s_or_b32 exec_lo, exec_lo, s17
.LBB353_922:                            ;   in Loop: Header=BB353_15 Depth=1
	s_delay_alu instid0(SALU_CYCLE_1) | instskip(SKIP_2) | instid1(VALU_DEP_1)
	s_or_b32 exec_lo, exec_lo, s16
	v_lshrrev_b16 v8, 8, v4
	s_mov_b32 s16, exec_lo
	v_cmpx_ne_u16_e32 0, v8
	s_cbranch_execz .LBB353_930
; %bb.923:                              ;   in Loop: Header=BB353_15 Depth=1
	v_bfrev_b32_e32 v23, 1
	s_mov_b32 s17, exec_lo
	v_cmpx_ne_u16_e32 0x80, v8
	s_cbranch_execz .LBB353_929
; %bb.924:                              ;   in Loop: Header=BB353_15 Depth=1
	v_and_b32_e32 v9, 0xffff, v8
	v_mov_b32_e32 v23, 0x7f800001
	s_mov_b32 s18, exec_lo
	s_delay_alu instid0(VALU_DEP_2) | instskip(NEXT) | instid1(VALU_DEP_1)
	v_and_b32_e32 v8, 0x7f, v9
	v_cmpx_ne_u32_e32 0x7f, v8
	s_cbranch_execz .LBB353_928
; %bb.925:                              ;   in Loop: Header=BB353_15 Depth=1
	v_dual_lshrrev_b32 v18, 3, v8 :: v_dual_bitop2_b32 v52, 7, v9 bitop3:0x40
	v_cmp_gt_u32_e64 s1, 8, v8
	s_delay_alu instid0(VALU_DEP_2)
	v_mov_b64_e32 v[8:9], v[52:53]
	s_and_saveexec_b32 s19, s1
; %bb.926:                              ;   in Loop: Header=BB353_15 Depth=1
	v_clz_i32_u32_e32 v8, v52
	s_delay_alu instid0(VALU_DEP_1) | instskip(NEXT) | instid1(VALU_DEP_1)
	v_min_u32_e32 v18, 32, v8
	v_subrev_nc_u32_e32 v8, 28, v18
	s_delay_alu instid0(VALU_DEP_1) | instskip(NEXT) | instid1(VALU_DEP_1)
	v_lshlrev_b64_e32 v[8:9], v8, v[52:53]
	v_dual_sub_nc_u32 v18, 29, v18 :: v_dual_bitop2_b32 v8, 7, v8 bitop3:0x40
; %bb.927:                              ;   in Loop: Header=BB353_15 Depth=1
	s_or_b32 exec_lo, exec_lo, s19
	v_lshlrev_b32_e32 v9, 16, v4
	s_delay_alu instid0(VALU_DEP_2) | instskip(NEXT) | instid1(VALU_DEP_3)
	v_lshlrev_b32_e32 v8, 20, v8
	v_lshl_add_u32 v18, v18, 23, 0x3c000000
	s_delay_alu instid0(VALU_DEP_3) | instskip(NEXT) | instid1(VALU_DEP_1)
	v_and_b32_e32 v9, 0x80000000, v9
	v_or3_b32 v23, v8, v9, v18
.LBB353_928:                            ;   in Loop: Header=BB353_15 Depth=1
	s_or_b32 exec_lo, exec_lo, s18
.LBB353_929:                            ;   in Loop: Header=BB353_15 Depth=1
	s_delay_alu instid0(SALU_CYCLE_1)
	s_or_b32 exec_lo, exec_lo, s17
.LBB353_930:                            ;   in Loop: Header=BB353_15 Depth=1
	s_delay_alu instid0(SALU_CYCLE_1) | instskip(SKIP_3) | instid1(VALU_DEP_2)
	s_or_b32 exec_lo, exec_lo, s16
	v_dual_mov_b32 v19, 0 :: v_dual_lshrrev_b32 v20, 16, v4
	v_mov_b32_e32 v18, 0
	s_mov_b32 s16, exec_lo
	v_and_b32_e32 v8, 0xff, v20
	s_delay_alu instid0(VALU_DEP_1)
	v_cmpx_ne_u16_e32 0, v8
	s_cbranch_execz .LBB353_938
; %bb.931:                              ;   in Loop: Header=BB353_15 Depth=1
	v_bfrev_b32_e32 v18, 1
	s_mov_b32 s17, exec_lo
	v_cmpx_ne_u16_e32 0x80, v8
	s_cbranch_execz .LBB353_937
; %bb.932:                              ;   in Loop: Header=BB353_15 Depth=1
	v_bfe_u32 v8, v4, 16, 7
	v_mov_b32_e32 v18, 0x7f800001
	s_mov_b32 s18, exec_lo
	s_delay_alu instid0(VALU_DEP_2)
	v_cmpx_ne_u32_e32 0x7f, v8
	s_cbranch_execz .LBB353_936
; %bb.933:                              ;   in Loop: Header=BB353_15 Depth=1
	v_and_b32_e32 v52, 7, v20
	v_lshrrev_b32_e32 v18, 3, v8
	v_cmp_gt_u32_e64 s1, 8, v8
	s_delay_alu instid0(VALU_DEP_3)
	v_mov_b64_e32 v[8:9], v[52:53]
	s_and_saveexec_b32 s19, s1
; %bb.934:                              ;   in Loop: Header=BB353_15 Depth=1
	v_clz_i32_u32_e32 v8, v52
	s_delay_alu instid0(VALU_DEP_1) | instskip(NEXT) | instid1(VALU_DEP_1)
	v_min_u32_e32 v18, 32, v8
	v_subrev_nc_u32_e32 v8, 28, v18
	s_delay_alu instid0(VALU_DEP_1) | instskip(NEXT) | instid1(VALU_DEP_1)
	v_lshlrev_b64_e32 v[8:9], v8, v[52:53]
	v_dual_sub_nc_u32 v18, 29, v18 :: v_dual_bitop2_b32 v8, 7, v8 bitop3:0x40
; %bb.935:                              ;   in Loop: Header=BB353_15 Depth=1
	s_or_b32 exec_lo, exec_lo, s19
	v_lshlrev_b32_e32 v9, 24, v20
	s_delay_alu instid0(VALU_DEP_2) | instskip(NEXT) | instid1(VALU_DEP_3)
	v_lshlrev_b32_e32 v8, 20, v8
	v_lshl_add_u32 v18, v18, 23, 0x3c000000
	s_delay_alu instid0(VALU_DEP_3) | instskip(NEXT) | instid1(VALU_DEP_1)
	v_and_b32_e32 v9, 0x80000000, v9
	v_or3_b32 v18, v8, v9, v18
.LBB353_936:                            ;   in Loop: Header=BB353_15 Depth=1
	s_or_b32 exec_lo, exec_lo, s18
.LBB353_937:                            ;   in Loop: Header=BB353_15 Depth=1
	s_delay_alu instid0(SALU_CYCLE_1)
	s_or_b32 exec_lo, exec_lo, s17
.LBB353_938:                            ;   in Loop: Header=BB353_15 Depth=1
	s_delay_alu instid0(SALU_CYCLE_1) | instskip(NEXT) | instid1(SALU_CYCLE_1)
	s_or_b32 exec_lo, exec_lo, s16
	s_mov_b32 s16, exec_lo
	v_cmpx_lt_u32_e32 0xffffff, v4
	s_cbranch_execz .LBB353_946
; %bb.939:                              ;   in Loop: Header=BB353_15 Depth=1
	v_lshrrev_b32_e32 v20, 24, v4
	v_bfrev_b32_e32 v19, 1
	s_mov_b32 s17, exec_lo
	s_delay_alu instid0(VALU_DEP_2)
	v_cmpx_ne_u32_e32 0x80, v20
	s_cbranch_execz .LBB353_945
; %bb.940:                              ;   in Loop: Header=BB353_15 Depth=1
	v_bfe_u32 v8, v4, 24, 7
	v_mov_b32_e32 v19, 0x7f800001
	s_mov_b32 s18, exec_lo
	s_delay_alu instid0(VALU_DEP_2)
	v_cmpx_ne_u32_e32 0x7f, v8
	s_cbranch_execz .LBB353_944
; %bb.941:                              ;   in Loop: Header=BB353_15 Depth=1
	v_and_b32_e32 v52, 7, v20
	v_lshrrev_b32_e32 v19, 3, v8
	v_cmp_gt_u32_e64 s1, 8, v8
	s_delay_alu instid0(VALU_DEP_3)
	v_mov_b64_e32 v[8:9], v[52:53]
	s_and_saveexec_b32 s19, s1
; %bb.942:                              ;   in Loop: Header=BB353_15 Depth=1
	v_clz_i32_u32_e32 v8, v52
	s_delay_alu instid0(VALU_DEP_1) | instskip(NEXT) | instid1(VALU_DEP_1)
	v_min_u32_e32 v19, 32, v8
	v_subrev_nc_u32_e32 v8, 28, v19
	s_delay_alu instid0(VALU_DEP_1) | instskip(NEXT) | instid1(VALU_DEP_1)
	v_lshlrev_b64_e32 v[8:9], v8, v[52:53]
	v_dual_sub_nc_u32 v19, 29, v19 :: v_dual_bitop2_b32 v8, 7, v8 bitop3:0x40
; %bb.943:                              ;   in Loop: Header=BB353_15 Depth=1
	s_or_b32 exec_lo, exec_lo, s19
	v_lshlrev_b32_e32 v9, 24, v20
	s_delay_alu instid0(VALU_DEP_2) | instskip(NEXT) | instid1(VALU_DEP_3)
	v_lshlrev_b32_e32 v8, 20, v8
	v_lshl_add_u32 v19, v19, 23, 0x3c000000
	s_delay_alu instid0(VALU_DEP_3) | instskip(NEXT) | instid1(VALU_DEP_1)
	v_and_b32_e32 v9, 0x80000000, v9
	v_or3_b32 v19, v8, v9, v19
.LBB353_944:                            ;   in Loop: Header=BB353_15 Depth=1
	s_or_b32 exec_lo, exec_lo, s18
.LBB353_945:                            ;   in Loop: Header=BB353_15 Depth=1
	s_delay_alu instid0(SALU_CYCLE_1)
	s_or_b32 exec_lo, exec_lo, s17
.LBB353_946:                            ;   in Loop: Header=BB353_15 Depth=1
	s_delay_alu instid0(SALU_CYCLE_1) | instskip(SKIP_4) | instid1(VALU_DEP_3)
	s_or_b32 exec_lo, exec_lo, s16
	v_and_b32_e32 v20, 0xff, v5
	v_dual_mov_b32 v52, v5 :: v_dual_mov_b32 v9, 0
	v_mov_b32_e32 v8, 0
	s_mov_b32 s16, exec_lo
	v_cmpx_ne_u16_e32 0, v20
	s_cbranch_execz .LBB353_954
; %bb.947:                              ;   in Loop: Header=BB353_15 Depth=1
	v_bfrev_b32_e32 v8, 1
	s_mov_b32 s17, exec_lo
	v_cmpx_ne_u16_e32 0x80, v20
	s_cbranch_execz .LBB353_953
; %bb.948:                              ;   in Loop: Header=BB353_15 Depth=1
	v_and_b32_e32 v20, 0x7f, v5
	v_mov_b32_e32 v8, 0x7f800001
	s_mov_b32 s18, exec_lo
	s_delay_alu instid0(VALU_DEP_2)
	v_cmpx_ne_u32_e32 0x7f, v20
	s_cbranch_execz .LBB353_952
; %bb.949:                              ;   in Loop: Header=BB353_15 Depth=1
	v_lshrrev_b32_e32 v8, 3, v20
	v_cmp_gt_u32_e64 s1, 8, v20
	v_mov_b64_e32 v[20:21], v[52:53]
	s_and_saveexec_b32 s19, s1
; %bb.950:                              ;   in Loop: Header=BB353_15 Depth=1
	v_and_b32_e32 v8, 7, v5
	s_delay_alu instid0(VALU_DEP_1) | instskip(NEXT) | instid1(VALU_DEP_1)
	v_clz_i32_u32_e32 v8, v8
	v_min_u32_e32 v8, 32, v8
	s_delay_alu instid0(VALU_DEP_1) | instskip(SKIP_1) | instid1(VALU_DEP_2)
	v_subrev_nc_u32_e32 v20, 28, v8
	v_sub_nc_u32_e32 v8, 29, v8
	v_lshlrev_b64_e32 v[20:21], v20, v[52:53]
; %bb.951:                              ;   in Loop: Header=BB353_15 Depth=1
	s_or_b32 exec_lo, exec_lo, s19
	s_delay_alu instid0(VALU_DEP_1) | instskip(SKIP_2) | instid1(VALU_DEP_3)
	v_lshlrev_b32_e32 v20, 20, v20
	v_lshlrev_b32_e32 v21, 24, v52
	v_lshl_add_u32 v8, v8, 23, 0x3c000000
	v_and_b32_e32 v20, 0x700000, v20
	s_delay_alu instid0(VALU_DEP_3) | instskip(NEXT) | instid1(VALU_DEP_1)
	v_and_b32_e32 v21, 0x80000000, v21
	v_or3_b32 v8, v20, v21, v8
.LBB353_952:                            ;   in Loop: Header=BB353_15 Depth=1
	s_or_b32 exec_lo, exec_lo, s18
.LBB353_953:                            ;   in Loop: Header=BB353_15 Depth=1
	s_delay_alu instid0(SALU_CYCLE_1)
	s_or_b32 exec_lo, exec_lo, s17
.LBB353_954:                            ;   in Loop: Header=BB353_15 Depth=1
	s_delay_alu instid0(SALU_CYCLE_1) | instskip(SKIP_2) | instid1(VALU_DEP_1)
	s_or_b32 exec_lo, exec_lo, s16
	v_lshrrev_b16 v20, 8, v52
	s_mov_b32 s16, exec_lo
	v_cmpx_ne_u16_e32 0, v20
	s_cbranch_execz .LBB353_962
; %bb.955:                              ;   in Loop: Header=BB353_15 Depth=1
	v_bfrev_b32_e32 v9, 1
	s_mov_b32 s17, exec_lo
	v_cmpx_ne_u16_e32 0x80, v20
	s_cbranch_execz .LBB353_961
; %bb.956:                              ;   in Loop: Header=BB353_15 Depth=1
	v_and_b32_e32 v20, 0xffff, v20
	v_mov_b32_e32 v9, 0x7f800001
	s_mov_b32 s18, exec_lo
	s_delay_alu instid0(VALU_DEP_2) | instskip(NEXT) | instid1(VALU_DEP_1)
	v_and_b32_e32 v24, 0x7f, v20
	v_cmpx_ne_u32_e32 0x7f, v24
	s_cbranch_execz .LBB353_960
; %bb.957:                              ;   in Loop: Header=BB353_15 Depth=1
	v_dual_mov_b32 v21, v53 :: v_dual_bitop2_b32 v20, 7, v20 bitop3:0x40
	v_lshrrev_b32_e32 v9, 3, v24
	s_mov_b32 s19, exec_lo
	v_cmpx_gt_u32_e32 8, v24
; %bb.958:                              ;   in Loop: Header=BB353_15 Depth=1
	s_delay_alu instid0(VALU_DEP_3) | instskip(NEXT) | instid1(VALU_DEP_1)
	v_clz_i32_u32_e32 v9, v20
	v_min_u32_e32 v9, 32, v9
	s_delay_alu instid0(VALU_DEP_1) | instskip(NEXT) | instid1(VALU_DEP_1)
	v_subrev_nc_u32_e32 v24, 28, v9
	v_lshlrev_b64_e32 v[20:21], v24, v[20:21]
	s_delay_alu instid0(VALU_DEP_1)
	v_dual_sub_nc_u32 v9, 29, v9 :: v_dual_bitop2_b32 v20, 7, v20 bitop3:0x40
; %bb.959:                              ;   in Loop: Header=BB353_15 Depth=1
	s_or_b32 exec_lo, exec_lo, s19
	v_lshlrev_b32_e32 v21, 16, v52
	s_delay_alu instid0(VALU_DEP_2) | instskip(NEXT) | instid1(VALU_DEP_3)
	v_lshlrev_b32_e32 v20, 20, v20
	v_lshl_add_u32 v9, v9, 23, 0x3c000000
	s_delay_alu instid0(VALU_DEP_3) | instskip(NEXT) | instid1(VALU_DEP_1)
	v_and_b32_e32 v21, 0x80000000, v21
	v_or3_b32 v9, v20, v21, v9
.LBB353_960:                            ;   in Loop: Header=BB353_15 Depth=1
	s_or_b32 exec_lo, exec_lo, s18
.LBB353_961:                            ;   in Loop: Header=BB353_15 Depth=1
	s_delay_alu instid0(SALU_CYCLE_1)
	s_or_b32 exec_lo, exec_lo, s17
.LBB353_962:                            ;   in Loop: Header=BB353_15 Depth=1
	s_delay_alu instid0(SALU_CYCLE_1) | instskip(SKIP_3) | instid1(VALU_DEP_2)
	s_or_b32 exec_lo, exec_lo, s16
	v_dual_mov_b32 v65, 0 :: v_dual_lshrrev_b32 v24, 16, v5
	v_mov_b32_e32 v64, 0
	s_mov_b32 s16, exec_lo
	v_and_b32_e32 v20, 0xff, v24
	s_delay_alu instid0(VALU_DEP_1)
	v_cmpx_ne_u16_e32 0, v20
	s_cbranch_execz .LBB353_970
; %bb.963:                              ;   in Loop: Header=BB353_15 Depth=1
	v_bfrev_b32_e32 v64, 1
	s_mov_b32 s17, exec_lo
	v_cmpx_ne_u16_e32 0x80, v20
	s_cbranch_execz .LBB353_969
; %bb.964:                              ;   in Loop: Header=BB353_15 Depth=1
	v_bfe_u32 v20, v5, 16, 7
	v_mov_b32_e32 v64, 0x7f800001
	s_mov_b32 s18, exec_lo
	s_delay_alu instid0(VALU_DEP_2)
	v_cmpx_ne_u32_e32 0x7f, v20
	s_cbranch_execz .LBB353_968
; %bb.965:                              ;   in Loop: Header=BB353_15 Depth=1
	v_and_b32_e32 v52, 7, v24
	v_lshrrev_b32_e32 v25, 3, v20
	v_cmp_gt_u32_e64 s1, 8, v20
	s_delay_alu instid0(VALU_DEP_3)
	v_mov_b64_e32 v[20:21], v[52:53]
	s_and_saveexec_b32 s19, s1
; %bb.966:                              ;   in Loop: Header=BB353_15 Depth=1
	v_clz_i32_u32_e32 v20, v52
	s_delay_alu instid0(VALU_DEP_1) | instskip(NEXT) | instid1(VALU_DEP_1)
	v_min_u32_e32 v25, 32, v20
	v_subrev_nc_u32_e32 v20, 28, v25
	s_delay_alu instid0(VALU_DEP_1) | instskip(NEXT) | instid1(VALU_DEP_1)
	v_lshlrev_b64_e32 v[20:21], v20, v[52:53]
	v_dual_sub_nc_u32 v25, 29, v25 :: v_dual_bitop2_b32 v20, 7, v20 bitop3:0x40
; %bb.967:                              ;   in Loop: Header=BB353_15 Depth=1
	s_or_b32 exec_lo, exec_lo, s19
	v_lshlrev_b32_e32 v21, 24, v24
	s_delay_alu instid0(VALU_DEP_2) | instskip(NEXT) | instid1(VALU_DEP_3)
	v_lshlrev_b32_e32 v20, 20, v20
	v_lshl_add_u32 v24, v25, 23, 0x3c000000
	s_delay_alu instid0(VALU_DEP_3) | instskip(NEXT) | instid1(VALU_DEP_1)
	v_and_b32_e32 v21, 0x80000000, v21
	v_or3_b32 v64, v20, v21, v24
.LBB353_968:                            ;   in Loop: Header=BB353_15 Depth=1
	s_or_b32 exec_lo, exec_lo, s18
.LBB353_969:                            ;   in Loop: Header=BB353_15 Depth=1
	s_delay_alu instid0(SALU_CYCLE_1)
	s_or_b32 exec_lo, exec_lo, s17
.LBB353_970:                            ;   in Loop: Header=BB353_15 Depth=1
	s_delay_alu instid0(SALU_CYCLE_1) | instskip(NEXT) | instid1(SALU_CYCLE_1)
	s_or_b32 exec_lo, exec_lo, s16
	s_mov_b32 s16, exec_lo
	v_cmpx_lt_u64_e64 s[8:9], v[4:5]
	s_cbranch_execz .LBB353_978
; %bb.971:                              ;   in Loop: Header=BB353_15 Depth=1
	v_lshrrev_b32_e32 v20, 24, v5
	v_bfrev_b32_e32 v65, 1
	s_mov_b32 s17, exec_lo
	s_delay_alu instid0(VALU_DEP_2)
	v_cmpx_ne_u32_e32 0x80, v20
	s_cbranch_execz .LBB353_977
; %bb.972:                              ;   in Loop: Header=BB353_15 Depth=1
	v_bfe_u32 v4, v5, 24, 7
	v_mov_b32_e32 v65, 0x7f800001
	s_mov_b32 s18, exec_lo
	s_delay_alu instid0(VALU_DEP_2)
	v_cmpx_ne_u32_e32 0x7f, v4
	s_cbranch_execz .LBB353_976
; %bb.973:                              ;   in Loop: Header=BB353_15 Depth=1
	v_and_b32_e32 v52, 7, v20
	v_lshrrev_b32_e32 v21, 3, v4
	v_cmp_gt_u32_e64 s1, 8, v4
	s_delay_alu instid0(VALU_DEP_3)
	v_mov_b64_e32 v[4:5], v[52:53]
	s_and_saveexec_b32 s19, s1
; %bb.974:                              ;   in Loop: Header=BB353_15 Depth=1
	v_clz_i32_u32_e32 v4, v52
	s_delay_alu instid0(VALU_DEP_1) | instskip(NEXT) | instid1(VALU_DEP_1)
	v_min_u32_e32 v21, 32, v4
	v_subrev_nc_u32_e32 v4, 28, v21
	s_delay_alu instid0(VALU_DEP_1) | instskip(NEXT) | instid1(VALU_DEP_1)
	v_lshlrev_b64_e32 v[4:5], v4, v[52:53]
	v_dual_sub_nc_u32 v21, 29, v21 :: v_dual_bitop2_b32 v4, 7, v4 bitop3:0x40
; %bb.975:                              ;   in Loop: Header=BB353_15 Depth=1
	s_or_b32 exec_lo, exec_lo, s19
	v_lshlrev_b32_e32 v5, 24, v20
	s_delay_alu instid0(VALU_DEP_2) | instskip(NEXT) | instid1(VALU_DEP_3)
	v_lshlrev_b32_e32 v4, 20, v4
	v_lshl_add_u32 v20, v21, 23, 0x3c000000
	s_delay_alu instid0(VALU_DEP_3) | instskip(NEXT) | instid1(VALU_DEP_1)
	v_and_b32_e32 v5, 0x80000000, v5
	v_or3_b32 v65, v4, v5, v20
.LBB353_976:                            ;   in Loop: Header=BB353_15 Depth=1
	s_or_b32 exec_lo, exec_lo, s18
.LBB353_977:                            ;   in Loop: Header=BB353_15 Depth=1
	s_delay_alu instid0(SALU_CYCLE_1)
	s_or_b32 exec_lo, exec_lo, s17
.LBB353_978:                            ;   in Loop: Header=BB353_15 Depth=1
	s_delay_alu instid0(SALU_CYCLE_1)
	s_or_b32 exec_lo, exec_lo, s16
	flat_load_b64 v[68:69], v[112:113] offset:3592
	s_wait_xcnt 0x0
	v_dual_mov_b32 v113, 0 :: v_dual_mov_b32 v112, 0
	s_mov_b32 s16, exec_lo
	s_wait_loadcnt_dscnt 0x0
	v_and_b32_e32 v4, 0xff, v68
	s_delay_alu instid0(VALU_DEP_1)
	v_cmpx_ne_u16_e32 0, v4
	s_cbranch_execz .LBB353_986
; %bb.979:                              ;   in Loop: Header=BB353_15 Depth=1
	v_bfrev_b32_e32 v112, 1
	s_mov_b32 s17, exec_lo
	v_cmpx_ne_u16_e32 0x80, v4
	s_cbranch_execz .LBB353_985
; %bb.980:                              ;   in Loop: Header=BB353_15 Depth=1
	v_and_b32_e32 v4, 0x7f, v68
	v_mov_b32_e32 v112, 0x7f800001
	s_mov_b32 s18, exec_lo
	s_delay_alu instid0(VALU_DEP_2)
	v_cmpx_ne_u32_e32 0x7f, v4
	s_cbranch_execz .LBB353_984
; %bb.981:                              ;   in Loop: Header=BB353_15 Depth=1
	v_lshrrev_b32_e32 v20, 3, v4
	v_cmp_gt_u32_e64 s1, 8, v4
	v_mov_b64_e32 v[4:5], v[68:69]
	s_and_saveexec_b32 s19, s1
; %bb.982:                              ;   in Loop: Header=BB353_15 Depth=1
	v_and_b32_e32 v4, 7, v68
	s_delay_alu instid0(VALU_DEP_1) | instskip(NEXT) | instid1(VALU_DEP_1)
	v_clz_i32_u32_e32 v4, v4
	v_min_u32_e32 v20, 32, v4
	s_delay_alu instid0(VALU_DEP_1) | instskip(SKIP_1) | instid1(VALU_DEP_2)
	v_subrev_nc_u32_e32 v4, 28, v20
	v_sub_nc_u32_e32 v20, 29, v20
	v_lshlrev_b64_e32 v[4:5], v4, v[68:69]
; %bb.983:                              ;   in Loop: Header=BB353_15 Depth=1
	s_or_b32 exec_lo, exec_lo, s19
	s_delay_alu instid0(VALU_DEP_1) | instskip(SKIP_2) | instid1(VALU_DEP_3)
	v_lshlrev_b32_e32 v4, 20, v4
	v_lshlrev_b32_e32 v5, 24, v68
	v_lshl_add_u32 v20, v20, 23, 0x3c000000
	v_and_b32_e32 v4, 0x700000, v4
	s_delay_alu instid0(VALU_DEP_3) | instskip(NEXT) | instid1(VALU_DEP_1)
	v_and_b32_e32 v5, 0x80000000, v5
	v_or3_b32 v112, v4, v5, v20
.LBB353_984:                            ;   in Loop: Header=BB353_15 Depth=1
	s_or_b32 exec_lo, exec_lo, s18
.LBB353_985:                            ;   in Loop: Header=BB353_15 Depth=1
	s_delay_alu instid0(SALU_CYCLE_1)
	s_or_b32 exec_lo, exec_lo, s17
.LBB353_986:                            ;   in Loop: Header=BB353_15 Depth=1
	s_delay_alu instid0(SALU_CYCLE_1) | instskip(SKIP_2) | instid1(VALU_DEP_1)
	s_or_b32 exec_lo, exec_lo, s16
	v_lshrrev_b16 v4, 8, v68
	s_mov_b32 s16, exec_lo
	v_cmpx_ne_u16_e32 0, v4
	s_cbranch_execz .LBB353_994
; %bb.987:                              ;   in Loop: Header=BB353_15 Depth=1
	v_bfrev_b32_e32 v113, 1
	s_mov_b32 s17, exec_lo
	v_cmpx_ne_u16_e32 0x80, v4
	s_cbranch_execz .LBB353_993
; %bb.988:                              ;   in Loop: Header=BB353_15 Depth=1
	v_and_b32_e32 v4, 0xffff, v4
	v_mov_b32_e32 v113, 0x7f800001
	s_mov_b32 s18, exec_lo
	s_delay_alu instid0(VALU_DEP_2) | instskip(NEXT) | instid1(VALU_DEP_1)
	v_and_b32_e32 v20, 0x7f, v4
	v_cmpx_ne_u32_e32 0x7f, v20
	s_cbranch_execz .LBB353_992
; %bb.989:                              ;   in Loop: Header=BB353_15 Depth=1
	v_and_b32_e32 v52, 7, v4
	s_mov_b32 s19, exec_lo
	s_delay_alu instid0(VALU_DEP_1)
	v_mov_b64_e32 v[4:5], v[52:53]
	v_lshrrev_b32_e32 v5, 3, v20
	v_cmpx_gt_u32_e32 8, v20
; %bb.990:                              ;   in Loop: Header=BB353_15 Depth=1
	v_clz_i32_u32_e32 v4, v52
	s_delay_alu instid0(VALU_DEP_1) | instskip(NEXT) | instid1(VALU_DEP_1)
	v_min_u32_e32 v20, 32, v4
	v_subrev_nc_u32_e32 v4, 28, v20
	s_delay_alu instid0(VALU_DEP_1) | instskip(SKIP_1) | instid1(VALU_DEP_2)
	v_lshlrev_b64_e32 v[4:5], v4, v[52:53]
	v_sub_nc_u32_e32 v5, 29, v20
	v_and_b32_e32 v4, 7, v4
; %bb.991:                              ;   in Loop: Header=BB353_15 Depth=1
	s_or_b32 exec_lo, exec_lo, s19
	v_lshlrev_b32_e32 v20, 16, v68
	s_delay_alu instid0(VALU_DEP_2) | instskip(SKIP_1) | instid1(VALU_DEP_3)
	v_lshlrev_b32_e32 v4, 20, v4
	v_lshl_add_u32 v5, v5, 23, 0x3c000000
	v_and_b32_e32 v20, 0x80000000, v20
	s_delay_alu instid0(VALU_DEP_1)
	v_or3_b32 v113, v4, v20, v5
.LBB353_992:                            ;   in Loop: Header=BB353_15 Depth=1
	s_or_b32 exec_lo, exec_lo, s18
.LBB353_993:                            ;   in Loop: Header=BB353_15 Depth=1
	s_delay_alu instid0(SALU_CYCLE_1)
	s_or_b32 exec_lo, exec_lo, s17
.LBB353_994:                            ;   in Loop: Header=BB353_15 Depth=1
	s_delay_alu instid0(SALU_CYCLE_1) | instskip(SKIP_3) | instid1(VALU_DEP_2)
	s_or_b32 exec_lo, exec_lo, s16
	v_dual_mov_b32 v67, 0 :: v_dual_lshrrev_b32 v20, 16, v68
	v_mov_b32_e32 v66, 0
	s_mov_b32 s16, exec_lo
	v_and_b32_e32 v4, 0xff, v20
	s_delay_alu instid0(VALU_DEP_1)
	v_cmpx_ne_u16_e32 0, v4
	s_cbranch_execz .LBB353_1002
; %bb.995:                              ;   in Loop: Header=BB353_15 Depth=1
	v_bfrev_b32_e32 v66, 1
	s_mov_b32 s17, exec_lo
	v_cmpx_ne_u16_e32 0x80, v4
	s_cbranch_execz .LBB353_1001
; %bb.996:                              ;   in Loop: Header=BB353_15 Depth=1
	v_bfe_u32 v21, v68, 16, 7
	v_mov_b32_e32 v66, 0x7f800001
	s_mov_b32 s18, exec_lo
	s_delay_alu instid0(VALU_DEP_2)
	v_cmpx_ne_u32_e32 0x7f, v21
	s_cbranch_execz .LBB353_1000
; %bb.997:                              ;   in Loop: Header=BB353_15 Depth=1
	v_and_b32_e32 v52, 7, v20
	s_mov_b32 s19, exec_lo
	s_delay_alu instid0(VALU_DEP_1)
	v_mov_b64_e32 v[4:5], v[52:53]
	v_lshrrev_b32_e32 v5, 3, v21
	v_cmpx_gt_u32_e32 8, v21
; %bb.998:                              ;   in Loop: Header=BB353_15 Depth=1
	v_clz_i32_u32_e32 v4, v52
	s_delay_alu instid0(VALU_DEP_1) | instskip(NEXT) | instid1(VALU_DEP_1)
	v_min_u32_e32 v21, 32, v4
	v_subrev_nc_u32_e32 v4, 28, v21
	s_delay_alu instid0(VALU_DEP_1) | instskip(NEXT) | instid1(VALU_DEP_1)
	v_lshlrev_b64_e32 v[4:5], v4, v[52:53]
	v_dual_sub_nc_u32 v5, 29, v21 :: v_dual_bitop2_b32 v4, 7, v4 bitop3:0x40
; %bb.999:                              ;   in Loop: Header=BB353_15 Depth=1
	s_or_b32 exec_lo, exec_lo, s19
	v_lshlrev_b32_e32 v20, 24, v20
	s_delay_alu instid0(VALU_DEP_2) | instskip(NEXT) | instid1(VALU_DEP_3)
	v_lshlrev_b32_e32 v4, 20, v4
	v_lshl_add_u32 v5, v5, 23, 0x3c000000
	s_delay_alu instid0(VALU_DEP_3) | instskip(NEXT) | instid1(VALU_DEP_1)
	v_and_b32_e32 v20, 0x80000000, v20
	v_or3_b32 v66, v4, v20, v5
.LBB353_1000:                           ;   in Loop: Header=BB353_15 Depth=1
	s_or_b32 exec_lo, exec_lo, s18
.LBB353_1001:                           ;   in Loop: Header=BB353_15 Depth=1
	s_delay_alu instid0(SALU_CYCLE_1)
	s_or_b32 exec_lo, exec_lo, s17
.LBB353_1002:                           ;   in Loop: Header=BB353_15 Depth=1
	s_delay_alu instid0(SALU_CYCLE_1) | instskip(NEXT) | instid1(SALU_CYCLE_1)
	s_or_b32 exec_lo, exec_lo, s16
	s_mov_b32 s16, exec_lo
	v_cmpx_lt_u32_e32 0xffffff, v68
	s_cbranch_execz .LBB353_1010
; %bb.1003:                             ;   in Loop: Header=BB353_15 Depth=1
	v_lshrrev_b32_e32 v20, 24, v68
	v_bfrev_b32_e32 v67, 1
	s_mov_b32 s17, exec_lo
	s_delay_alu instid0(VALU_DEP_2)
	v_cmpx_ne_u32_e32 0x80, v20
	s_cbranch_execz .LBB353_1009
; %bb.1004:                             ;   in Loop: Header=BB353_15 Depth=1
	v_bfe_u32 v21, v68, 24, 7
	v_mov_b32_e32 v67, 0x7f800001
	s_mov_b32 s18, exec_lo
	s_delay_alu instid0(VALU_DEP_2)
	v_cmpx_ne_u32_e32 0x7f, v21
	s_cbranch_execz .LBB353_1008
; %bb.1005:                             ;   in Loop: Header=BB353_15 Depth=1
	v_and_b32_e32 v52, 7, v20
	s_mov_b32 s19, exec_lo
	s_delay_alu instid0(VALU_DEP_1)
	v_mov_b64_e32 v[4:5], v[52:53]
	v_lshrrev_b32_e32 v5, 3, v21
	v_cmpx_gt_u32_e32 8, v21
; %bb.1006:                             ;   in Loop: Header=BB353_15 Depth=1
	v_clz_i32_u32_e32 v4, v52
	s_delay_alu instid0(VALU_DEP_1) | instskip(NEXT) | instid1(VALU_DEP_1)
	v_min_u32_e32 v21, 32, v4
	v_subrev_nc_u32_e32 v4, 28, v21
	s_delay_alu instid0(VALU_DEP_1) | instskip(NEXT) | instid1(VALU_DEP_1)
	v_lshlrev_b64_e32 v[4:5], v4, v[52:53]
	v_dual_sub_nc_u32 v5, 29, v21 :: v_dual_bitop2_b32 v4, 7, v4 bitop3:0x40
; %bb.1007:                             ;   in Loop: Header=BB353_15 Depth=1
	s_or_b32 exec_lo, exec_lo, s19
	v_lshlrev_b32_e32 v20, 24, v20
	s_delay_alu instid0(VALU_DEP_2) | instskip(NEXT) | instid1(VALU_DEP_3)
	v_lshlrev_b32_e32 v4, 20, v4
	v_lshl_add_u32 v5, v5, 23, 0x3c000000
	s_delay_alu instid0(VALU_DEP_3) | instskip(NEXT) | instid1(VALU_DEP_1)
	v_and_b32_e32 v20, 0x80000000, v20
	v_or3_b32 v67, v4, v20, v5
.LBB353_1008:                           ;   in Loop: Header=BB353_15 Depth=1
	s_or_b32 exec_lo, exec_lo, s18
.LBB353_1009:                           ;   in Loop: Header=BB353_15 Depth=1
	s_delay_alu instid0(SALU_CYCLE_1)
	s_or_b32 exec_lo, exec_lo, s17
.LBB353_1010:                           ;   in Loop: Header=BB353_15 Depth=1
	s_delay_alu instid0(SALU_CYCLE_1) | instskip(SKIP_4) | instid1(VALU_DEP_3)
	s_or_b32 exec_lo, exec_lo, s16
	v_and_b32_e32 v4, 0xff, v69
	v_dual_mov_b32 v52, v69 :: v_dual_mov_b32 v21, 0
	v_mov_b32_e32 v20, 0
	s_mov_b32 s16, exec_lo
	v_cmpx_ne_u16_e32 0, v4
	s_cbranch_execz .LBB353_1018
; %bb.1011:                             ;   in Loop: Header=BB353_15 Depth=1
	v_bfrev_b32_e32 v20, 1
	s_mov_b32 s17, exec_lo
	v_cmpx_ne_u16_e32 0x80, v4
	s_cbranch_execz .LBB353_1017
; %bb.1012:                             ;   in Loop: Header=BB353_15 Depth=1
	v_and_b32_e32 v24, 0x7f, v69
	v_mov_b32_e32 v20, 0x7f800001
	s_mov_b32 s18, exec_lo
	s_delay_alu instid0(VALU_DEP_2)
	v_cmpx_ne_u32_e32 0x7f, v24
	s_cbranch_execz .LBB353_1016
; %bb.1013:                             ;   in Loop: Header=BB353_15 Depth=1
	v_mov_b64_e32 v[4:5], v[52:53]
	v_lshrrev_b32_e32 v5, 3, v24
	s_mov_b32 s19, exec_lo
	v_cmpx_gt_u32_e32 8, v24
; %bb.1014:                             ;   in Loop: Header=BB353_15 Depth=1
	v_and_b32_e32 v4, 7, v69
	s_delay_alu instid0(VALU_DEP_1) | instskip(NEXT) | instid1(VALU_DEP_1)
	v_clz_i32_u32_e32 v4, v4
	v_min_u32_e32 v20, 32, v4
	s_delay_alu instid0(VALU_DEP_1) | instskip(NEXT) | instid1(VALU_DEP_1)
	v_subrev_nc_u32_e32 v4, 28, v20
	v_lshlrev_b64_e32 v[4:5], v4, v[52:53]
	v_sub_nc_u32_e32 v5, 29, v20
; %bb.1015:                             ;   in Loop: Header=BB353_15 Depth=1
	s_or_b32 exec_lo, exec_lo, s19
	s_delay_alu instid0(VALU_DEP_2) | instskip(SKIP_1) | instid1(VALU_DEP_3)
	v_lshlrev_b32_e32 v4, 20, v4
	v_lshlrev_b32_e32 v20, 24, v52
	v_lshl_add_u32 v5, v5, 23, 0x3c000000
	s_delay_alu instid0(VALU_DEP_3) | instskip(NEXT) | instid1(VALU_DEP_3)
	v_and_b32_e32 v4, 0x700000, v4
	v_and_b32_e32 v20, 0x80000000, v20
	s_delay_alu instid0(VALU_DEP_1)
	v_or3_b32 v20, v4, v20, v5
.LBB353_1016:                           ;   in Loop: Header=BB353_15 Depth=1
	s_or_b32 exec_lo, exec_lo, s18
.LBB353_1017:                           ;   in Loop: Header=BB353_15 Depth=1
	s_delay_alu instid0(SALU_CYCLE_1)
	s_or_b32 exec_lo, exec_lo, s17
.LBB353_1018:                           ;   in Loop: Header=BB353_15 Depth=1
	s_delay_alu instid0(SALU_CYCLE_1) | instskip(SKIP_2) | instid1(VALU_DEP_1)
	s_or_b32 exec_lo, exec_lo, s16
	v_lshrrev_b16 v4, 8, v52
	s_mov_b32 s16, exec_lo
	v_cmpx_ne_u16_e32 0, v4
	s_cbranch_execz .LBB353_1026
; %bb.1019:                             ;   in Loop: Header=BB353_15 Depth=1
	v_bfrev_b32_e32 v21, 1
	s_mov_b32 s17, exec_lo
	v_cmpx_ne_u16_e32 0x80, v4
	s_cbranch_execz .LBB353_1025
; %bb.1020:                             ;   in Loop: Header=BB353_15 Depth=1
	v_and_b32_e32 v4, 0xffff, v4
	v_mov_b32_e32 v21, 0x7f800001
	s_mov_b32 s18, exec_lo
	s_delay_alu instid0(VALU_DEP_2) | instskip(NEXT) | instid1(VALU_DEP_1)
	v_and_b32_e32 v24, 0x7f, v4
	v_cmpx_ne_u32_e32 0x7f, v24
	s_cbranch_execz .LBB353_1024
; %bb.1021:                             ;   in Loop: Header=BB353_15 Depth=1
	v_dual_mov_b32 v5, v53 :: v_dual_bitop2_b32 v4, 7, v4 bitop3:0x40
	v_lshrrev_b32_e32 v21, 3, v24
	s_mov_b32 s19, exec_lo
	v_cmpx_gt_u32_e32 8, v24
; %bb.1022:                             ;   in Loop: Header=BB353_15 Depth=1
	s_delay_alu instid0(VALU_DEP_3) | instskip(NEXT) | instid1(VALU_DEP_1)
	v_clz_i32_u32_e32 v21, v4
	v_min_u32_e32 v21, 32, v21
	s_delay_alu instid0(VALU_DEP_1) | instskip(NEXT) | instid1(VALU_DEP_1)
	v_subrev_nc_u32_e32 v24, 28, v21
	v_lshlrev_b64_e32 v[4:5], v24, v[4:5]
	s_delay_alu instid0(VALU_DEP_1)
	v_dual_sub_nc_u32 v21, 29, v21 :: v_dual_bitop2_b32 v4, 7, v4 bitop3:0x40
; %bb.1023:                             ;   in Loop: Header=BB353_15 Depth=1
	s_or_b32 exec_lo, exec_lo, s19
	v_lshlrev_b32_e32 v5, 16, v52
	s_delay_alu instid0(VALU_DEP_2) | instskip(NEXT) | instid1(VALU_DEP_3)
	v_lshlrev_b32_e32 v4, 20, v4
	v_lshl_add_u32 v21, v21, 23, 0x3c000000
	s_delay_alu instid0(VALU_DEP_3) | instskip(NEXT) | instid1(VALU_DEP_1)
	v_and_b32_e32 v5, 0x80000000, v5
	v_or3_b32 v21, v4, v5, v21
.LBB353_1024:                           ;   in Loop: Header=BB353_15 Depth=1
	s_or_b32 exec_lo, exec_lo, s18
.LBB353_1025:                           ;   in Loop: Header=BB353_15 Depth=1
	s_delay_alu instid0(SALU_CYCLE_1)
	s_or_b32 exec_lo, exec_lo, s17
.LBB353_1026:                           ;   in Loop: Header=BB353_15 Depth=1
	s_delay_alu instid0(SALU_CYCLE_1) | instskip(SKIP_3) | instid1(VALU_DEP_2)
	s_or_b32 exec_lo, exec_lo, s16
	v_dual_mov_b32 v97, 0 :: v_dual_lshrrev_b32 v24, 16, v69
	v_mov_b32_e32 v96, 0
	s_mov_b32 s16, exec_lo
	v_and_b32_e32 v4, 0xff, v24
	s_delay_alu instid0(VALU_DEP_1)
	v_cmpx_ne_u16_e32 0, v4
	s_cbranch_execz .LBB353_1034
; %bb.1027:                             ;   in Loop: Header=BB353_15 Depth=1
	v_bfrev_b32_e32 v96, 1
	s_mov_b32 s17, exec_lo
	v_cmpx_ne_u16_e32 0x80, v4
	s_cbranch_execz .LBB353_1033
; %bb.1028:                             ;   in Loop: Header=BB353_15 Depth=1
	v_bfe_u32 v25, v69, 16, 7
	v_mov_b32_e32 v96, 0x7f800001
	s_mov_b32 s18, exec_lo
	s_delay_alu instid0(VALU_DEP_2)
	v_cmpx_ne_u32_e32 0x7f, v25
	s_cbranch_execz .LBB353_1032
; %bb.1029:                             ;   in Loop: Header=BB353_15 Depth=1
	v_and_b32_e32 v52, 7, v24
	s_mov_b32 s19, exec_lo
	s_delay_alu instid0(VALU_DEP_1)
	v_mov_b64_e32 v[4:5], v[52:53]
	v_lshrrev_b32_e32 v5, 3, v25
	v_cmpx_gt_u32_e32 8, v25
; %bb.1030:                             ;   in Loop: Header=BB353_15 Depth=1
	v_clz_i32_u32_e32 v4, v52
	s_delay_alu instid0(VALU_DEP_1) | instskip(NEXT) | instid1(VALU_DEP_1)
	v_min_u32_e32 v25, 32, v4
	v_subrev_nc_u32_e32 v4, 28, v25
	s_delay_alu instid0(VALU_DEP_1) | instskip(NEXT) | instid1(VALU_DEP_1)
	v_lshlrev_b64_e32 v[4:5], v4, v[52:53]
	v_dual_sub_nc_u32 v5, 29, v25 :: v_dual_bitop2_b32 v4, 7, v4 bitop3:0x40
; %bb.1031:                             ;   in Loop: Header=BB353_15 Depth=1
	s_or_b32 exec_lo, exec_lo, s19
	v_lshlrev_b32_e32 v24, 24, v24
	s_delay_alu instid0(VALU_DEP_2) | instskip(NEXT) | instid1(VALU_DEP_3)
	v_lshlrev_b32_e32 v4, 20, v4
	v_lshl_add_u32 v5, v5, 23, 0x3c000000
	s_delay_alu instid0(VALU_DEP_3) | instskip(NEXT) | instid1(VALU_DEP_1)
	v_and_b32_e32 v24, 0x80000000, v24
	v_or3_b32 v96, v4, v24, v5
.LBB353_1032:                           ;   in Loop: Header=BB353_15 Depth=1
	s_or_b32 exec_lo, exec_lo, s18
.LBB353_1033:                           ;   in Loop: Header=BB353_15 Depth=1
	s_delay_alu instid0(SALU_CYCLE_1)
	s_or_b32 exec_lo, exec_lo, s17
.LBB353_1034:                           ;   in Loop: Header=BB353_15 Depth=1
	s_delay_alu instid0(SALU_CYCLE_1) | instskip(NEXT) | instid1(SALU_CYCLE_1)
	s_or_b32 exec_lo, exec_lo, s16
	s_mov_b32 s16, exec_lo
	s_clause 0x1
	scratch_store_b64 off, v[38:39], s32 offset:300
	scratch_store_b32 off, v48, s32 offset:292
	s_wait_xcnt 0x0
	v_cmpx_lt_u64_e64 s[8:9], v[68:69]
	s_cbranch_execz .LBB353_13
; %bb.1035:                             ;   in Loop: Header=BB353_15 Depth=1
	v_lshrrev_b32_e32 v24, 24, v69
	v_bfrev_b32_e32 v97, 1
	s_mov_b32 s17, exec_lo
	s_delay_alu instid0(VALU_DEP_2)
	v_cmpx_ne_u32_e32 0x80, v24
	s_cbranch_execz .LBB353_12
; %bb.1036:                             ;   in Loop: Header=BB353_15 Depth=1
	v_bfe_u32 v25, v69, 24, 7
	v_mov_b32_e32 v97, 0x7f800001
	s_mov_b32 s18, exec_lo
	s_delay_alu instid0(VALU_DEP_2)
	v_cmpx_ne_u32_e32 0x7f, v25
	s_cbranch_execz .LBB353_11
; %bb.1037:                             ;   in Loop: Header=BB353_15 Depth=1
	v_and_b32_e32 v52, 7, v24
	s_mov_b32 s19, exec_lo
	s_delay_alu instid0(VALU_DEP_1)
	v_mov_b64_e32 v[4:5], v[52:53]
	v_lshrrev_b32_e32 v5, 3, v25
	v_cmpx_gt_u32_e32 8, v25
	s_cbranch_execz .LBB353_10
; %bb.1038:                             ;   in Loop: Header=BB353_15 Depth=1
	v_clz_i32_u32_e32 v4, v52
	s_delay_alu instid0(VALU_DEP_1) | instskip(NEXT) | instid1(VALU_DEP_1)
	v_min_u32_e32 v25, 32, v4
	v_subrev_nc_u32_e32 v4, 28, v25
	s_delay_alu instid0(VALU_DEP_1) | instskip(NEXT) | instid1(VALU_DEP_1)
	v_lshlrev_b64_e32 v[4:5], v4, v[52:53]
	v_dual_sub_nc_u32 v5, 29, v25 :: v_dual_bitop2_b32 v4, 7, v4 bitop3:0x40
	s_branch .LBB353_10
.LBB353_1039:
	s_or_b32 exec_lo, exec_lo, s15
	s_clause 0x3
	scratch_load_b32 v29, off, s32 offset:952
	scratch_load_b32 v26, off, s32 offset:1004
	scratch_load_b64 v[38:39], off, s32 offset:1008
	scratch_load_b32 v18, off, s32 offset:1016
.LBB353_1040:
	s_wait_xcnt 0x0
	s_or_b32 exec_lo, exec_lo, s3
	v_mbcnt_lo_u32_b32 v2, -1, 0
	s_delay_alu instid0(VALU_DEP_1) | instskip(SKIP_1) | instid1(VALU_DEP_2)
	v_dual_max_num_f32 v4, v48, v48 :: v_dual_bitop2_b32 v0, 16, v2 bitop3:0x14
	v_xor_b32_e32 v3, 8, v2
	v_cmp_gt_i32_e32 vcc_lo, 32, v0
	v_cndmask_b32_e32 v0, v2, v0, vcc_lo
	s_delay_alu instid0(VALU_DEP_3) | instskip(NEXT) | instid1(VALU_DEP_2)
	v_cmp_gt_i32_e32 vcc_lo, 32, v3
	v_dual_cndmask_b32 v3, v2, v3 :: v_dual_lshlrev_b32 v0, 2, v0
	ds_bpermute_b32 v1, v0, v48
	s_wait_dscnt 0x0
	v_dual_max_num_f32 v5, v1, v1 :: v_dual_lshlrev_b32 v1, 2, v3
	s_delay_alu instid0(VALU_DEP_1) | instskip(SKIP_4) | instid1(VALU_DEP_1)
	v_dual_max_num_f32 v4, v4, v5 :: v_dual_bitop2_b32 v5, 4, v2 bitop3:0x14
	ds_bpermute_b32 v3, v1, v4
	v_cmp_gt_i32_e32 vcc_lo, 32, v5
	s_wait_dscnt 0x0
	v_dual_cndmask_b32 v5, v2, v5 :: v_dual_max_num_f32 v6, v3, v3
	v_dual_max_num_f32 v4, v4, v6 :: v_dual_lshlrev_b32 v3, 2, v5
	ds_bpermute_b32 v5, v3, v4
	s_wait_dscnt 0x0
	v_dual_max_num_f32 v5, v5, v5 :: v_dual_bitop2_b32 v6, 2, v2 bitop3:0x14
	s_delay_alu instid0(VALU_DEP_1) | instskip(NEXT) | instid1(VALU_DEP_2)
	v_cmp_gt_i32_e32 vcc_lo, 32, v6
	v_dual_max_num_f32 v4, v4, v5 :: v_dual_cndmask_b32 v6, v2, v6, vcc_lo
	s_delay_alu instid0(VALU_DEP_1) | instskip(SKIP_3) | instid1(VALU_DEP_1)
	v_lshlrev_b32_e32 v27, 2, v6
	ds_bpermute_b32 v5, v27, v4
	s_wait_dscnt 0x0
	v_dual_max_num_f32 v5, v5, v5 :: v_dual_bitop2_b32 v6, 1, v2 bitop3:0x14
	v_cmp_gt_i32_e32 vcc_lo, 32, v6
	s_delay_alu instid0(VALU_DEP_2)
	v_dual_cndmask_b32 v6, v2, v6, vcc_lo :: v_dual_max_num_f32 v2, v4, v5
	scratch_load_b32 v4, off, s32 offset:524 ; 4-byte Folded Reload
	s_wait_loadcnt 0x0
	v_cmp_eq_u32_e32 vcc_lo, 0, v4
	scratch_load_b32 v4, off, s32 offset:948 ; 4-byte Folded Reload
	s_wait_loadcnt 0x0
	v_dual_lshlrev_b32 v4, 2, v4 :: v_dual_lshlrev_b32 v36, 2, v6
	ds_bpermute_b32 v5, v36, v2
	s_wait_xcnt 0x0
	s_and_saveexec_b32 s1, vcc_lo
	s_cbranch_execz .LBB353_1042
; %bb.1041:
	s_wait_dscnt 0x0
	v_dual_max_num_f32 v5, v5, v5 :: v_dual_max_num_f32 v2, v2, v2
	s_delay_alu instid0(VALU_DEP_1)
	v_max_num_f32_e32 v2, v2, v5
	ds_store_b32 v4, v2 offset:256
.LBB353_1042:
	s_or_b32 exec_lo, exec_lo, s1
	scratch_load_b32 v2, off, s32 offset:524 ; 4-byte Folded Reload
	s_wait_storecnt 0x0
	s_wait_loadcnt_dscnt 0x0
	s_barrier_signal -1
	s_barrier_wait -1
	v_cmp_gt_u32_e64 s1, 4, v2
	v_mov_b32_e32 v2, 0xff7fffff
	s_and_saveexec_b32 s2, s1
; %bb.1043:
	ds_load_b32 v2, v18 offset:256
; %bb.1044:
	s_or_b32 exec_lo, exec_lo, s2
	s_wait_dscnt 0x0
	ds_bpermute_b32 v5, v27, v2
	v_max_num_f32_e32 v2, v2, v2
	scratch_load_b32 v7, off, s32 offset:192 ; 4-byte Folded Reload
	s_wait_dscnt 0x0
	v_max_num_f32_e32 v5, v5, v5
	s_delay_alu instid0(VALU_DEP_1) | instskip(SKIP_3) | instid1(VALU_DEP_1)
	v_max_num_f32_e32 v2, v2, v5
	ds_bpermute_b32 v5, v36, v2
	s_wait_dscnt 0x0
	v_max_num_f32_e32 v5, v5, v5
	v_dual_max_num_f32 v2, v2, v5 :: v_dual_mov_b32 v5, 0
	ds_bpermute_b32 v6, v5, v2
	scratch_load_b32 v2, off, s32 offset:196 ; 4-byte Folded Reload
	s_wait_loadcnt 0x0
	v_lshlrev_b32_e32 v2, 5, v2
	s_delay_alu instid0(VALU_DEP_1) | instskip(NEXT) | instid1(VALU_DEP_1)
	v_min_i32_e32 v2, v2, v7
	v_cmp_lt_i32_e64 s2, v29, v2
	s_and_saveexec_b32 s8, s2
	s_cbranch_execz .LBB353_1048
; %bb.1045:
	s_load_b32 s3, s[6:7], 0x0
	v_dual_mov_b32 v5, 0 :: v_dual_mov_b32 v8, v29
	s_mov_b32 s9, 0
	s_wait_kmcnt 0x0
	v_lshl_add_u32 v7, v29, 2, s3
.LBB353_1046:                           ; =>This Inner Loop Header: Depth=1
	ds_load_b32 v9, v7
	v_add_nc_u32_e32 v8, 0x80, v8
	s_delay_alu instid0(VALU_DEP_1) | instskip(SKIP_3) | instid1(VALU_DEP_1)
	v_cmp_ge_i32_e64 s3, v8, v2
	s_or_b32 s9, s3, s9
	s_wait_dscnt 0x0
	v_sub_f32_e32 v9, v9, v6
	v_mul_f32_e32 v9, 0x3fb8aa3b, v9
	s_delay_alu instid0(VALU_DEP_1)
	v_exp_f32_e32 v9, v9
	ds_store_b32 v7, v9
	v_nop
	v_add_f32_e32 v5, v5, v9
	v_add_nc_u32_e32 v7, 0x200, v7
	s_and_not1_b32 exec_lo, exec_lo, s9
	s_cbranch_execnz .LBB353_1046
; %bb.1047:
	s_or_b32 exec_lo, exec_lo, s9
.LBB353_1048:
	s_delay_alu instid0(SALU_CYCLE_1)
	s_or_b32 exec_lo, exec_lo, s8
	ds_bpermute_b32 v0, v0, v5
	s_wait_dscnt 0x0
	v_add_f32_e32 v0, v5, v0
	ds_bpermute_b32 v1, v1, v0
	s_wait_dscnt 0x0
	v_add_f32_e32 v0, v0, v1
	;; [unrolled: 3-line block ×5, first 2 shown]
	s_and_saveexec_b32 s3, vcc_lo
; %bb.1049:
	ds_store_b32 v4, v0 offset:272
; %bb.1050:
	s_or_b32 exec_lo, exec_lo, s3
	s_wait_dscnt 0x0
	s_barrier_signal -1
	s_barrier_wait -1
	s_and_saveexec_b32 s3, s1
; %bb.1051:
	ds_load_b32 v0, v18 offset:272
; %bb.1052:
	s_or_b32 exec_lo, exec_lo, s3
	s_wait_dscnt 0x0
	ds_bpermute_b32 v1, v27, v0
	s_wait_dscnt 0x0
	v_dual_mov_b32 v13, 0 :: v_dual_add_f32 v0, v0, v1
	ds_bpermute_b32 v1, v36, v0
	s_wait_dscnt 0x0
	v_add_f32_e32 v0, v0, v1
	ds_bpermute_b32 v0, v13, v0
	s_and_saveexec_b32 s1, s2
	s_cbranch_execz .LBB353_1065
; %bb.1053:
	s_wait_dscnt 0x0
	v_add_f32_e32 v0, 0x358637bd, v0
	s_mov_b32 s3, -1
	s_mov_b32 s2, exec_lo
	s_delay_alu instid0(VALU_DEP_1) | instskip(SKIP_1) | instid1(VALU_DEP_2)
	v_div_scale_f32 v1, null, v0, v0, 1.0
	v_div_scale_f32 v5, vcc_lo, 1.0, v0, 1.0
	v_rcp_f32_e32 v4, v1
	v_nop
	s_delay_alu instid0(TRANS32_DEP_1) | instskip(NEXT) | instid1(VALU_DEP_1)
	v_fma_f32 v3, -v1, v4, 1.0
	v_fmac_f32_e32 v4, v3, v4
	s_delay_alu instid0(VALU_DEP_1) | instskip(NEXT) | instid1(VALU_DEP_1)
	v_mul_f32_e32 v6, v5, v4
	v_fma_f32 v3, -v1, v6, v5
	s_delay_alu instid0(VALU_DEP_1) | instskip(SKIP_1) | instid1(VALU_DEP_2)
	v_fmac_f32_e32 v6, v3, v4
	v_xad_u32 v3, v29, -1, v2
	v_fma_f32 v1, -v1, v6, v5
	s_delay_alu instid0(VALU_DEP_1) | instskip(NEXT) | instid1(VALU_DEP_1)
	v_div_fmas_f32 v1, v1, v4, v6
	v_div_fixup_f32 v0, v1, v0, 1.0
	v_mov_b32_e32 v1, v29
	v_cmpx_lt_u32_e32 0x7f, v3
	s_cbranch_execz .LBB353_1062
; %bb.1054:
	s_delay_alu instid0(VALU_DEP_3) | instskip(NEXT) | instid1(VALU_DEP_1)
	v_dual_lshrrev_b32 v3, 7, v3 :: v_dual_mov_b32 v1, v0
	v_dual_mov_b32 v7, 0 :: v_dual_add_nc_u32 v4, -1, v3
	s_delay_alu instid0(VALU_DEP_1) | instskip(SKIP_1) | instid1(VALU_DEP_2)
	v_lshrrev_b32_e32 v5, 1, v4
	v_cmp_lt_u32_e32 vcc_lo, 13, v4
	v_add_nc_u32_e32 v4, 1, v5
	s_and_saveexec_b32 s3, vcc_lo
	s_cbranch_execz .LBB353_1058
; %bb.1055:
	s_load_b32 s8, s[6:7], 0x0
	s_delay_alu instid0(VALU_DEP_1)
	v_and_b32_e32 v5, -8, v4
	s_mov_b32 s9, 0
	s_wait_kmcnt 0x0
	v_lshl_add_u32 v6, v29, 2, s8
	s_mov_b32 s8, 0
.LBB353_1056:                           ; =>This Inner Loop Header: Depth=1
	ds_load_2addr_stride64_b32 v[8:9], v6 offset1:2
	ds_load_2addr_stride64_b32 v[10:11], v6 offset0:4 offset1:6
	ds_load_2addr_stride64_b32 v[14:15], v6 offset0:8 offset1:10
	ds_load_2addr_stride64_b32 v[16:17], v6 offset0:12 offset1:14
	ds_load_2addr_stride64_b32 v[18:19], v6 offset0:16 offset1:18
	ds_load_2addr_stride64_b32 v[20:21], v6 offset0:20 offset1:22
	ds_load_2addr_stride64_b32 v[22:23], v6 offset0:24 offset1:26
	ds_load_2addr_stride64_b32 v[24:25], v6 offset0:28 offset1:30
	s_add_co_i32 s9, s9, 16
	s_delay_alu instid0(SALU_CYCLE_1) | instskip(NEXT) | instid1(VALU_DEP_1)
	v_dual_add_nc_u32 v5, -8, v5 :: v_dual_mov_b32 v7, s9
	v_cmp_eq_u32_e32 vcc_lo, 0, v5
	s_or_b32 s8, vcc_lo, s8
	s_wait_dscnt 0x7
	v_pk_mul_f32 v[8:9], v[0:1], v[8:9]
	s_wait_dscnt 0x6
	v_pk_mul_f32 v[10:11], v[0:1], v[10:11]
	;; [unrolled: 2-line block ×8, first 2 shown]
	ds_store_2addr_stride64_b32 v6, v8, v9 offset1:2
	ds_store_2addr_stride64_b32 v6, v10, v11 offset0:4 offset1:6
	ds_store_2addr_stride64_b32 v6, v14, v15 offset0:8 offset1:10
	;; [unrolled: 1-line block ×7, first 2 shown]
	v_add_nc_u32_e32 v6, 0x2000, v6
	s_and_not1_b32 exec_lo, exec_lo, s8
	s_cbranch_execnz .LBB353_1056
; %bb.1057:
	s_or_b32 exec_lo, exec_lo, s8
.LBB353_1058:
	s_delay_alu instid0(SALU_CYCLE_1) | instskip(NEXT) | instid1(VALU_DEP_1)
	s_or_b32 exec_lo, exec_lo, s3
	v_and_b32_e32 v4, 7, v4
	s_mov_b32 s8, 0
	s_mov_b32 s3, exec_lo
	s_delay_alu instid0(VALU_DEP_1)
	v_cmpx_ne_u32_e32 0, v4
	s_cbranch_execz .LBB353_1061
; %bb.1059:
	s_load_b32 s9, s[6:7], 0x0
	v_dual_lshlrev_b32 v5, 9, v7 :: v_dual_lshlrev_b32 v6, 2, v29
	s_wait_kmcnt 0x0
	s_delay_alu instid0(VALU_DEP_1)
	v_add3_u32 v5, v5, v6, s9
.LBB353_1060:                           ; =>This Inner Loop Header: Depth=1
	ds_load_2addr_stride64_b32 v[6:7], v5 offset1:2
	v_add_nc_u32_e32 v4, -1, v4
	s_delay_alu instid0(VALU_DEP_1)
	v_cmp_eq_u32_e32 vcc_lo, 0, v4
	s_or_b32 s8, vcc_lo, s8
	s_wait_dscnt 0x0
	v_pk_mul_f32 v[6:7], v[0:1], v[6:7]
	ds_store_2addr_stride64_b32 v5, v6, v7 offset1:2
	v_add_nc_u32_e32 v5, 0x400, v5
	s_and_not1_b32 exec_lo, exec_lo, s8
	s_cbranch_execnz .LBB353_1060
.LBB353_1061:
	s_or_b32 exec_lo, exec_lo, s3
	v_add_nc_u32_e32 v1, 1, v3
	s_delay_alu instid0(VALU_DEP_1) | instskip(NEXT) | instid1(VALU_DEP_1)
	v_and_b32_e32 v3, 0x3fffffe, v1
	v_cmp_ne_u32_e32 vcc_lo, v1, v3
	v_lshl_add_u32 v1, v3, 7, v29
	s_or_not1_b32 s3, vcc_lo, exec_lo
.LBB353_1062:
	s_or_b32 exec_lo, exec_lo, s2
	s_delay_alu instid0(SALU_CYCLE_1)
	s_and_b32 exec_lo, exec_lo, s3
	s_cbranch_execz .LBB353_1065
; %bb.1063:
	s_load_b32 s2, s[6:7], 0x0
	s_wait_kmcnt 0x0
	v_lshl_add_u32 v3, v1, 2, s2
	s_mov_b32 s2, 0
.LBB353_1064:                           ; =>This Inner Loop Header: Depth=1
	ds_load_b32 v4, v3
	s_wait_dscnt 0x0
	v_dual_mul_f32 v4, v0, v4 :: v_dual_add_nc_u32 v1, 0x80, v1
	s_delay_alu instid0(VALU_DEP_1) | instskip(SKIP_3) | instid1(SALU_CYCLE_1)
	v_cmp_ge_i32_e32 vcc_lo, v1, v2
	ds_store_b32 v3, v4
	v_add_nc_u32_e32 v3, 0x200, v3
	s_or_b32 s2, vcc_lo, s2
	s_and_not1_b32 exec_lo, exec_lo, s2
	s_cbranch_execnz .LBB353_1064
.LBB353_1065:
	s_or_b32 exec_lo, exec_lo, s1
	v_dual_mov_b32 v12, 0 :: v_dual_bitop2_b32 v37, 3, v29 bitop3:0x40
	v_dual_mov_b32 v15, 0 :: v_dual_mov_b32 v14, 0
	v_dual_mov_b32 v17, 0 :: v_dual_mov_b32 v16, 0
	;; [unrolled: 1-line block ×7, first 2 shown]
	s_wait_dscnt 0x0
	s_barrier_signal -1
	s_barrier_wait -1
	s_and_saveexec_b32 s1, s0
	s_cbranch_execz .LBB353_2127
; %bb.1066:
	s_clause 0x3
	scratch_store_b32 off, v27, s32 offset:552
	scratch_store_b32 off, v36, s32 offset:544
	scratch_load_b32 v0, off, s32 offset:984 th:TH_LOAD_LU
	scratch_load_b32 v2, off, s32 offset:980 th:TH_LOAD_LU
	s_wait_xcnt 0x3
	v_dual_mov_b32 v27, 0 :: v_dual_lshlrev_b32 v7, 5, v37
	v_dual_mov_b32 v12, 0 :: v_dual_mov_b32 v35, 0
	s_delay_alu instid0(VALU_DEP_2)
	v_dual_mov_b32 v30, 0 :: v_dual_mov_b32 v5, v27
	v_dual_mov_b32 v31, 0 :: v_dual_mov_b32 v32, 0
	;; [unrolled: 1-line block ×6, first 2 shown]
	s_mov_b64 s[2:3], 0xffffffffffffff
	s_mov_b32 s8, 0
	s_clause 0x1
	scratch_load_b64 v[18:19], off, s32 offset:964 th:TH_LOAD_LU
	scratch_load_b32 v10, off, s32 offset:948
	v_dual_mov_b32 v34, 0 :: v_dual_mov_b32 v15, 0
	s_wait_loadcnt 0x3
	v_dual_mov_b32 v13, 0 :: v_dual_max_i32 v51, v26, v0
	s_delay_alu instid0(VALU_DEP_1) | instskip(NEXT) | instid1(VALU_DEP_1)
	v_cvt_f32_u32_e32 v0, v51
	v_rcp_iflag_f32_e32 v3, v0
	scratch_load_b32 v0, off, s32 offset:952 ; 4-byte Folded Reload
	s_wait_loadcnt 0x1
	v_nop
	v_dual_mul_f32 v3, 0x4f7ffffe, v3 :: v_dual_mov_b32 v52, v10
	s_delay_alu instid0(VALU_DEP_1)
	v_cvt_u32_f32_e32 v8, v3
	v_mov_b32_e32 v3, v27
	v_lshl_or_b32 v54, v10, 7, v7
	s_wait_loadcnt 0x0
	v_lshlrev_b32_e32 v6, 3, v0
	scratch_load_b64 v[0:1], off, s32 offset:972 th:TH_LOAD_LU ; 8-byte Folded Reload
	v_dual_sub_nc_u32 v4, 0, v51 :: v_dual_bitop2_b32 v63, 24, v6 bitop3:0x40
	s_delay_alu instid0(VALU_DEP_1) | instskip(NEXT) | instid1(VALU_DEP_1)
	v_mul_lo_u32 v4, v4, v8
	v_mul_hi_u32 v9, v8, v4
	v_and_b32_e32 v4, 0xf8, v6
	s_wait_loadcnt 0x0
	v_add_nc_u64_e32 v[0:1], v[38:39], v[0:1]
	s_delay_alu instid0(VALU_DEP_1) | instskip(SKIP_4) | instid1(VALU_DEP_1)
	v_add_nc_u64_e32 v[0:1], v[0:1], v[4:5]
	s_clause 0x1
	scratch_store_b64 off, v[0:1], s32 offset:536
	scratch_load_b64 v[0:1], off, s32 offset:956 th:TH_LOAD_LU
	v_and_b32_e32 v2, 0x7c, v2
	v_lshl_add_u64 v[2:3], v[18:19], 2, v[2:3]
	v_dual_mov_b32 v19, v27 :: v_dual_add_nc_u32 v18, v8, v9
	s_clause 0x1
	scratch_store_b32 off, v37, s32 offset:560
	scratch_store_b64 off, v[18:19], s32 offset:484
	s_wait_loadcnt 0x0
	v_add_nc_u64_e32 v[10:11], v[0:1], v[2:3]
	scratch_load_b64 v[2:3], off, s32 offset:996 ; 8-byte Folded Reload
	s_branch .LBB353_1069
.LBB353_1067:                           ;   in Loop: Header=BB353_1069 Depth=1
	s_wait_xcnt 0x0
	s_or_b32 exec_lo, exec_lo, s0
	scratch_load_b128 v[114:117], off, s32 offset:508 th:TH_LOAD_LU ; 16-byte Folded Reload
	v_perm_b32 v24, v47, v56, 0x5040100
	v_perm_b32 v100, v45, v46, 0x5040100
	;; [unrolled: 1-line block ×10, first 2 shown]
	s_wait_loadcnt 0x0
	v_cvt_pk_bf16_f32 v113, v116, v117
	scratch_load_b128 v[116:119], off, s32 offset:492 th:TH_LOAD_LU ; 16-byte Folded Reload
	v_cvt_pk_bf16_f32 v114, v114, v115
	v_perm_b32 v115, v41, v42, 0x5040100
	v_pk_mul_bf16 v100, v113, v100
	v_pk_mul_bf16 v6, v113, v6
	s_delay_alu instid0(VALU_DEP_4) | instskip(SKIP_1) | instid1(VALU_DEP_1)
	v_pk_mul_bf16 v24, v114, v24
	v_pk_mul_bf16 v8, v114, v8
	v_lshlrev_b32_e32 v4, 16, v8
	v_and_b32_e32 v5, 0xffff0000, v8
	s_delay_alu instid0(VALU_DEP_1) | instskip(SKIP_1) | instid1(VALU_DEP_1)
	v_dual_add_f32 v4, v4, v5 :: v_dual_lshlrev_b32 v5, 16, v6
	v_and_b32_e32 v6, 0xffff0000, v6
	v_add_f32_e32 v5, v5, v6
	s_wait_loadcnt 0x0
	v_cvt_pk_bf16_f32 v112, v116, v117
	v_cvt_pk_bf16_f32 v86, v118, v119
	v_perm_b32 v116, v44, v43, 0x5040100
	s_delay_alu instid0(VALU_DEP_3) | instskip(SKIP_2) | instid1(VALU_DEP_4)
	v_pk_mul_bf16 v115, v112, v115
	v_lshlrev_b32_e32 v117, 16, v24
	v_and_b32_e32 v24, 0xffff0000, v24
	v_pk_mul_bf16 v116, v86, v116
	v_pk_mul_bf16 v97, v86, v97
	;; [unrolled: 1-line block ×4, first 2 shown]
	v_add_f32_e32 v24, v117, v24
	v_lshlrev_b32_e32 v117, 16, v100
	v_and_b32_e32 v100, 0xffff0000, v100
	v_pk_mul_bf16 v3, v86, v3
	v_dual_add_f32 v4, v4, v5 :: v_dual_lshlrev_b32 v5, 16, v2
	v_and_b32_e32 v2, 0xffff0000, v2
	s_delay_alu instid0(VALU_DEP_4) | instskip(NEXT) | instid1(VALU_DEP_1)
	v_add_f32_e32 v100, v117, v100
	v_dual_add_f32 v2, v5, v2 :: v_dual_add_f32 v24, v24, v100
	v_lshlrev_b32_e32 v100, 16, v115
	v_and_b32_e32 v115, 0xffff0000, v115
	v_perm_b32 v5, v80, v70, 0x5040100
	s_delay_alu instid0(VALU_DEP_4) | instskip(SKIP_1) | instid1(VALU_DEP_4)
	v_dual_add_f32 v2, v4, v2 :: v_dual_lshlrev_b32 v4, 16, v3
	v_and_b32_e32 v3, 0xffff0000, v3
	v_add_f32_e32 v100, v100, v115
	v_and_b32_e32 v115, 0xffff0000, v116
	v_pk_mul_bf16 v5, v86, v5
	s_delay_alu instid0(VALU_DEP_4) | instskip(NEXT) | instid1(VALU_DEP_4)
	v_add_f32_e32 v3, v4, v3
	v_add_f32_e32 v24, v24, v100
	v_lshlrev_b32_e32 v100, 16, v116
	v_perm_b32 v4, v71, v81, 0x5040100
	s_delay_alu instid0(VALU_DEP_4) | instskip(SKIP_1) | instid1(VALU_DEP_4)
	v_add_f32_e32 v2, v2, v3
	v_perm_b32 v3, v82, v83, 0x5040100
	v_add_f32_e32 v100, v100, v115
	s_delay_alu instid0(VALU_DEP_4) | instskip(NEXT) | instid1(VALU_DEP_4)
	v_pk_mul_bf16 v4, v112, v4
	v_add_f32_e32 v14, v14, v2
	v_perm_b32 v2, v84, v85, 0x5040100
	s_delay_alu instid0(VALU_DEP_4) | instskip(SKIP_2) | instid1(VALU_DEP_4)
	v_add_f32_e32 v24, v24, v100
	v_perm_b32 v100, v101, v102, 0x5040100
	v_pk_mul_bf16 v3, v113, v3
	v_pk_mul_bf16 v2, v114, v2
	s_delay_alu instid0(VALU_DEP_4) | instskip(SKIP_2) | instid1(VALU_DEP_4)
	v_add_f32_e32 v12, v12, v24
	v_perm_b32 v24, v103, v40, 0x5040100
	v_pk_mul_bf16 v100, v113, v100
	v_lshlrev_b32_e32 v6, 16, v2
	v_and_b32_e32 v2, 0xffff0000, v2
	s_delay_alu instid0(VALU_DEP_4) | instskip(NEXT) | instid1(VALU_DEP_4)
	v_pk_mul_bf16 v24, v114, v24
	v_and_b32_e32 v99, 0xffff0000, v100
	s_delay_alu instid0(VALU_DEP_2) | instskip(SKIP_3) | instid1(VALU_DEP_3)
	v_dual_add_f32 v2, v6, v2 :: v_dual_lshlrev_b32 v98, 16, v24
	v_and_b32_e32 v24, 0xffff0000, v24
	v_lshlrev_b32_e32 v6, 16, v3
	v_and_b32_e32 v3, 0xffff0000, v3
	v_add_f32_e32 v24, v98, v24
	s_delay_alu instid0(VALU_DEP_2) | instskip(NEXT) | instid1(VALU_DEP_1)
	v_dual_add_f32 v3, v6, v3 :: v_dual_lshlrev_b32 v98, 16, v100
	v_add_f32_e32 v98, v98, v99
	s_delay_alu instid0(VALU_DEP_2) | instskip(SKIP_1) | instid1(VALU_DEP_3)
	v_dual_add_f32 v2, v2, v3 :: v_dual_lshlrev_b32 v3, 16, v4
	v_and_b32_e32 v4, 0xffff0000, v4
	v_dual_add_f32 v24, v24, v98 :: v_dual_lshlrev_b32 v98, 16, v96
	v_and_b32_e32 v96, 0xffff0000, v96
	s_delay_alu instid0(VALU_DEP_3) | instskip(SKIP_1) | instid1(VALU_DEP_3)
	v_add_f32_e32 v3, v3, v4
	v_and_b32_e32 v4, 0xffff0000, v5
	v_add_f32_e32 v96, v98, v96
	s_delay_alu instid0(VALU_DEP_3) | instskip(SKIP_1) | instid1(VALU_DEP_3)
	v_dual_add_f32 v2, v2, v3 :: v_dual_lshlrev_b32 v3, 16, v5
	v_perm_b32 v5, v65, v64, 0x5040100
	v_dual_add_f32 v24, v24, v96 :: v_dual_lshlrev_b32 v96, 16, v97
	v_and_b32_e32 v97, 0xffff0000, v97
	s_delay_alu instid0(VALU_DEP_4) | instskip(SKIP_2) | instid1(VALU_DEP_3)
	v_add_f32_e32 v3, v3, v4
	v_perm_b32 v4, v25, v55, 0x5040100
	v_pk_mul_bf16 v5, v86, v5
	v_dual_add_f32 v96, v96, v97 :: v_dual_add_f32 v2, v2, v3
	v_perm_b32 v3, v66, v67, 0x5040100
	s_delay_alu instid0(VALU_DEP_4) | instskip(NEXT) | instid1(VALU_DEP_3)
	v_pk_mul_bf16 v4, v112, v4
	v_dual_add_f32 v24, v24, v96 :: v_dual_add_f32 v17, v17, v2
	v_perm_b32 v2, v68, v69, 0x5040100
	s_delay_alu instid0(VALU_DEP_4) | instskip(NEXT) | instid1(VALU_DEP_3)
	v_pk_mul_bf16 v3, v113, v3
	v_add_f32_e32 v15, v15, v24
	s_delay_alu instid0(VALU_DEP_3) | instskip(NEXT) | instid1(VALU_DEP_1)
	v_pk_mul_bf16 v2, v114, v2
	v_lshlrev_b32_e32 v6, 16, v2
	v_and_b32_e32 v2, 0xffff0000, v2
	s_delay_alu instid0(VALU_DEP_1) | instskip(SKIP_1) | instid1(VALU_DEP_1)
	v_dual_add_f32 v2, v6, v2 :: v_dual_lshlrev_b32 v6, 16, v3
	v_and_b32_e32 v3, 0xffff0000, v3
	v_add_f32_e32 v3, v6, v3
	s_delay_alu instid0(VALU_DEP_1) | instskip(SKIP_1) | instid1(VALU_DEP_1)
	v_dual_add_f32 v2, v2, v3 :: v_dual_lshlrev_b32 v3, 16, v4
	v_and_b32_e32 v4, 0xffff0000, v4
	v_add_f32_e32 v3, v3, v4
	v_and_b32_e32 v4, 0xffff0000, v5
	s_delay_alu instid0(VALU_DEP_2) | instskip(SKIP_1) | instid1(VALU_DEP_2)
	v_dual_add_f32 v2, v2, v3 :: v_dual_lshlrev_b32 v3, 16, v5
	v_perm_b32 v5, v39, v38, 0x5040100
	v_add_f32_e32 v3, v3, v4
	v_perm_b32 v4, v50, v53, 0x5040100
	s_delay_alu instid0(VALU_DEP_3) | instskip(NEXT) | instid1(VALU_DEP_3)
	v_pk_mul_bf16 v5, v86, v5
	v_add_f32_e32 v2, v2, v3
	v_perm_b32 v3, v36, v37, 0x5040100
	s_delay_alu instid0(VALU_DEP_4) | instskip(NEXT) | instid1(VALU_DEP_3)
	v_pk_mul_bf16 v4, v112, v4
	v_add_f32_e32 v16, v16, v2
	v_perm_b32 v2, v48, v49, 0x5040100
	s_delay_alu instid0(VALU_DEP_4) | instskip(NEXT) | instid1(VALU_DEP_2)
	v_pk_mul_bf16 v3, v113, v3
	v_pk_mul_bf16 v2, v114, v2
	s_delay_alu instid0(VALU_DEP_1) | instskip(SKIP_1) | instid1(VALU_DEP_1)
	v_lshlrev_b32_e32 v6, 16, v2
	v_and_b32_e32 v2, 0xffff0000, v2
	v_dual_add_f32 v2, v6, v2 :: v_dual_lshlrev_b32 v6, 16, v3
	v_and_b32_e32 v3, 0xffff0000, v3
	s_delay_alu instid0(VALU_DEP_1) | instskip(NEXT) | instid1(VALU_DEP_1)
	v_add_f32_e32 v3, v6, v3
	v_dual_add_f32 v2, v2, v3 :: v_dual_lshlrev_b32 v3, 16, v4
	v_and_b32_e32 v4, 0xffff0000, v4
	s_delay_alu instid0(VALU_DEP_1) | instskip(SKIP_1) | instid1(VALU_DEP_2)
	v_add_f32_e32 v3, v3, v4
	v_and_b32_e32 v4, 0xffff0000, v5
	v_dual_add_f32 v2, v2, v3 :: v_dual_lshlrev_b32 v3, 16, v5
	v_perm_b32 v5, v123, v122, 0x5040100
	s_delay_alu instid0(VALU_DEP_2) | instskip(SKIP_1) | instid1(VALU_DEP_3)
	v_add_f32_e32 v3, v3, v4
	v_perm_b32 v4, v120, v121, 0x5040100
	v_pk_mul_bf16 v5, v86, v5
	s_delay_alu instid0(VALU_DEP_3) | instskip(SKIP_1) | instid1(VALU_DEP_4)
	v_add_f32_e32 v2, v2, v3
	v_perm_b32 v3, v124, v125, 0x5040100
	v_pk_mul_bf16 v4, v112, v4
	s_delay_alu instid0(VALU_DEP_3) | instskip(SKIP_1) | instid1(VALU_DEP_4)
	v_add_f32_e32 v21, v21, v2
	v_perm_b32 v2, v126, v127, 0x5040100
	v_pk_mul_bf16 v3, v113, v3
	s_delay_alu instid0(VALU_DEP_2) | instskip(NEXT) | instid1(VALU_DEP_1)
	v_pk_mul_bf16 v2, v114, v2
	v_lshlrev_b32_e32 v6, 16, v2
	v_and_b32_e32 v2, 0xffff0000, v2
	s_delay_alu instid0(VALU_DEP_1) | instskip(SKIP_1) | instid1(VALU_DEP_1)
	v_dual_add_f32 v2, v6, v2 :: v_dual_lshlrev_b32 v6, 16, v3
	v_and_b32_e32 v3, 0xffff0000, v3
	v_add_f32_e32 v3, v6, v3
	s_delay_alu instid0(VALU_DEP_1) | instskip(SKIP_1) | instid1(VALU_DEP_1)
	v_dual_add_f32 v2, v2, v3 :: v_dual_lshlrev_b32 v3, 16, v4
	v_and_b32_e32 v4, 0xffff0000, v4
	v_add_f32_e32 v3, v3, v4
	v_and_b32_e32 v4, 0xffff0000, v5
	s_delay_alu instid0(VALU_DEP_2) | instskip(SKIP_1) | instid1(VALU_DEP_2)
	v_dual_add_f32 v2, v2, v3 :: v_dual_lshlrev_b32 v3, 16, v5
	v_perm_b32 v5, v107, v106, 0x5040100
	v_add_f32_e32 v3, v3, v4
	v_perm_b32 v4, v104, v105, 0x5040100
	s_delay_alu instid0(VALU_DEP_3) | instskip(NEXT) | instid1(VALU_DEP_3)
	v_pk_mul_bf16 v5, v86, v5
	v_add_f32_e32 v2, v2, v3
	v_perm_b32 v3, v108, v109, 0x5040100
	s_delay_alu instid0(VALU_DEP_4) | instskip(NEXT) | instid1(VALU_DEP_3)
	v_pk_mul_bf16 v4, v112, v4
	v_add_f32_e32 v20, v20, v2
	v_perm_b32 v2, v110, v111, 0x5040100
	s_delay_alu instid0(VALU_DEP_4) | instskip(NEXT) | instid1(VALU_DEP_2)
	v_pk_mul_bf16 v3, v113, v3
	v_pk_mul_bf16 v2, v114, v2
	s_delay_alu instid0(VALU_DEP_1) | instskip(SKIP_1) | instid1(VALU_DEP_1)
	v_lshlrev_b32_e32 v6, 16, v2
	v_and_b32_e32 v2, 0xffff0000, v2
	v_dual_add_f32 v2, v6, v2 :: v_dual_lshlrev_b32 v6, 16, v3
	v_and_b32_e32 v3, 0xffff0000, v3
	s_delay_alu instid0(VALU_DEP_1) | instskip(NEXT) | instid1(VALU_DEP_1)
	v_add_f32_e32 v3, v6, v3
	v_dual_add_f32 v2, v2, v3 :: v_dual_lshlrev_b32 v3, 16, v4
	v_and_b32_e32 v4, 0xffff0000, v4
	s_delay_alu instid0(VALU_DEP_1) | instskip(SKIP_1) | instid1(VALU_DEP_2)
	v_add_f32_e32 v3, v3, v4
	v_and_b32_e32 v4, 0xffff0000, v5
	v_dual_add_f32 v2, v2, v3 :: v_dual_lshlrev_b32 v3, 16, v5
	v_perm_b32 v5, v91, v90, 0x5040100
	s_delay_alu instid0(VALU_DEP_2) | instskip(SKIP_1) | instid1(VALU_DEP_3)
	v_add_f32_e32 v3, v3, v4
	v_perm_b32 v4, v88, v89, 0x5040100
	v_pk_mul_bf16 v5, v86, v5
	s_delay_alu instid0(VALU_DEP_3) | instskip(SKIP_1) | instid1(VALU_DEP_4)
	v_add_f32_e32 v2, v2, v3
	v_perm_b32 v3, v92, v93, 0x5040100
	v_pk_mul_bf16 v4, v112, v4
	s_delay_alu instid0(VALU_DEP_3) | instskip(SKIP_1) | instid1(VALU_DEP_4)
	v_add_f32_e32 v29, v29, v2
	v_perm_b32 v2, v94, v95, 0x5040100
	v_pk_mul_bf16 v3, v113, v3
	s_delay_alu instid0(VALU_DEP_2) | instskip(NEXT) | instid1(VALU_DEP_1)
	v_pk_mul_bf16 v2, v114, v2
	v_lshlrev_b32_e32 v6, 16, v2
	v_and_b32_e32 v2, 0xffff0000, v2
	s_delay_alu instid0(VALU_DEP_1) | instskip(SKIP_1) | instid1(VALU_DEP_1)
	v_dual_add_f32 v2, v6, v2 :: v_dual_lshlrev_b32 v6, 16, v3
	v_and_b32_e32 v3, 0xffff0000, v3
	v_add_f32_e32 v3, v6, v3
	s_delay_alu instid0(VALU_DEP_1) | instskip(SKIP_1) | instid1(VALU_DEP_1)
	v_dual_add_f32 v2, v2, v3 :: v_dual_lshlrev_b32 v3, 16, v4
	v_and_b32_e32 v4, 0xffff0000, v4
	v_add_f32_e32 v3, v3, v4
	v_and_b32_e32 v4, 0xffff0000, v5
	s_delay_alu instid0(VALU_DEP_2) | instskip(SKIP_1) | instid1(VALU_DEP_2)
	v_dual_add_f32 v2, v2, v3 :: v_dual_lshlrev_b32 v3, 16, v5
	v_perm_b32 v5, v75, v74, 0x5040100
	v_add_f32_e32 v3, v3, v4
	v_perm_b32 v4, v72, v73, 0x5040100
	s_delay_alu instid0(VALU_DEP_3) | instskip(NEXT) | instid1(VALU_DEP_3)
	v_pk_mul_bf16 v5, v86, v5
	v_add_f32_e32 v2, v2, v3
	v_perm_b32 v3, v76, v77, 0x5040100
	s_delay_alu instid0(VALU_DEP_4) | instskip(NEXT) | instid1(VALU_DEP_3)
	v_pk_mul_bf16 v4, v112, v4
	v_add_f32_e32 v28, v28, v2
	v_perm_b32 v2, v78, v79, 0x5040100
	s_delay_alu instid0(VALU_DEP_4) | instskip(NEXT) | instid1(VALU_DEP_2)
	v_pk_mul_bf16 v3, v113, v3
	v_pk_mul_bf16 v2, v114, v2
	s_delay_alu instid0(VALU_DEP_1) | instskip(SKIP_1) | instid1(VALU_DEP_1)
	v_lshlrev_b32_e32 v6, 16, v2
	v_and_b32_e32 v2, 0xffff0000, v2
	v_dual_add_f32 v2, v6, v2 :: v_dual_lshlrev_b32 v6, 16, v3
	v_and_b32_e32 v3, 0xffff0000, v3
	s_delay_alu instid0(VALU_DEP_1) | instskip(NEXT) | instid1(VALU_DEP_1)
	v_add_f32_e32 v3, v6, v3
	v_dual_add_f32 v2, v2, v3 :: v_dual_lshlrev_b32 v3, 16, v4
	v_and_b32_e32 v4, 0xffff0000, v4
	s_delay_alu instid0(VALU_DEP_1) | instskip(SKIP_1) | instid1(VALU_DEP_2)
	v_add_f32_e32 v3, v3, v4
	v_and_b32_e32 v4, 0xffff0000, v5
	v_dual_add_f32 v2, v2, v3 :: v_dual_lshlrev_b32 v3, 16, v5
	s_delay_alu instid0(VALU_DEP_1) | instskip(NEXT) | instid1(VALU_DEP_1)
	v_add_f32_e32 v3, v3, v4
	v_add_f32_e32 v2, v2, v3
	s_delay_alu instid0(VALU_DEP_1)
	v_add_f32_e32 v33, v33, v2
	s_clause 0x1
	scratch_load_b32 v2, off, s32 offset:460 th:TH_LOAD_LU
	scratch_load_b32 v3, off, s32 offset:468 th:TH_LOAD_LU
	s_wait_loadcnt 0x0
	v_perm_b32 v2, v2, v3, 0x5040100
	s_clause 0x1
	scratch_load_b32 v3, off, s32 offset:444 th:TH_LOAD_LU
	scratch_load_b32 v4, off, s32 offset:452 th:TH_LOAD_LU
	v_pk_mul_bf16 v2, v114, v2
	s_wait_loadcnt 0x0
	v_perm_b32 v3, v3, v4, 0x5040100
	s_clause 0x1
	scratch_load_b32 v4, off, s32 offset:412 th:TH_LOAD_LU
	scratch_load_b32 v5, off, s32 offset:420 th:TH_LOAD_LU
	v_pk_mul_bf16 v3, v113, v3
	s_wait_loadcnt 0x0
	v_perm_b32 v4, v4, v5, 0x5040100
	s_clause 0x1
	scratch_load_b32 v5, off, s32 offset:428 th:TH_LOAD_LU
	scratch_load_b32 v6, off, s32 offset:436 th:TH_LOAD_LU
	v_pk_mul_bf16 v4, v112, v4
	s_wait_loadcnt 0x0
	v_perm_b32 v5, v6, v5, 0x5040100
	v_lshlrev_b32_e32 v6, 16, v2
	v_and_b32_e32 v2, 0xffff0000, v2
	s_delay_alu instid0(VALU_DEP_3) | instskip(NEXT) | instid1(VALU_DEP_2)
	v_pk_mul_bf16 v5, v86, v5
	v_dual_add_f32 v2, v6, v2 :: v_dual_lshlrev_b32 v6, 16, v3
	v_and_b32_e32 v3, 0xffff0000, v3
	s_delay_alu instid0(VALU_DEP_1) | instskip(NEXT) | instid1(VALU_DEP_1)
	v_add_f32_e32 v3, v6, v3
	v_dual_add_f32 v2, v2, v3 :: v_dual_lshlrev_b32 v3, 16, v4
	v_and_b32_e32 v4, 0xffff0000, v4
	s_delay_alu instid0(VALU_DEP_1) | instskip(SKIP_1) | instid1(VALU_DEP_2)
	v_add_f32_e32 v3, v3, v4
	v_and_b32_e32 v4, 0xffff0000, v5
	v_dual_add_f32 v2, v2, v3 :: v_dual_lshlrev_b32 v3, 16, v5
	s_delay_alu instid0(VALU_DEP_1) | instskip(NEXT) | instid1(VALU_DEP_1)
	v_add_f32_e32 v3, v3, v4
	v_add_f32_e32 v2, v2, v3
	s_delay_alu instid0(VALU_DEP_1)
	v_add_f32_e32 v32, v32, v2
	s_clause 0x1
	scratch_load_b32 v2, off, s32 offset:396 th:TH_LOAD_LU
	scratch_load_b32 v3, off, s32 offset:404 th:TH_LOAD_LU
	s_wait_loadcnt 0x0
	v_perm_b32 v2, v2, v3, 0x5040100
	s_clause 0x1
	scratch_load_b32 v3, off, s32 offset:384 th:TH_LOAD_LU
	scratch_load_b32 v4, off, s32 offset:388 th:TH_LOAD_LU
	v_pk_mul_bf16 v2, v114, v2
	s_wait_loadcnt 0x0
	v_perm_b32 v3, v3, v4, 0x5040100
	s_clause 0x1
	scratch_load_b32 v4, off, s32 offset:356 th:TH_LOAD_LU
	scratch_load_b32 v5, off, s32 offset:364 th:TH_LOAD_LU
	v_pk_mul_bf16 v3, v113, v3
	s_wait_loadcnt 0x0
	v_perm_b32 v4, v4, v5, 0x5040100
	s_clause 0x1
	scratch_load_b32 v5, off, s32 offset:372 th:TH_LOAD_LU
	scratch_load_b32 v6, off, s32 offset:376 th:TH_LOAD_LU
	v_pk_mul_bf16 v4, v112, v4
	s_wait_loadcnt 0x0
	v_perm_b32 v5, v6, v5, 0x5040100
	v_lshlrev_b32_e32 v6, 16, v2
	v_and_b32_e32 v2, 0xffff0000, v2
	s_delay_alu instid0(VALU_DEP_3) | instskip(NEXT) | instid1(VALU_DEP_2)
	v_pk_mul_bf16 v5, v86, v5
	;; [unrolled: 42-line block ×5, first 2 shown]
	v_dual_add_f32 v2, v6, v2 :: v_dual_lshlrev_b32 v6, 16, v3
	v_and_b32_e32 v3, 0xffff0000, v3
	s_delay_alu instid0(VALU_DEP_1) | instskip(NEXT) | instid1(VALU_DEP_1)
	v_add_f32_e32 v3, v6, v3
	v_dual_add_f32 v2, v2, v3 :: v_dual_lshlrev_b32 v3, 16, v4
	v_and_b32_e32 v4, 0xffff0000, v4
	s_delay_alu instid0(VALU_DEP_1) | instskip(SKIP_1) | instid1(VALU_DEP_2)
	v_add_f32_e32 v3, v3, v4
	v_and_b32_e32 v4, 0xffff0000, v5
	v_dual_add_f32 v2, v2, v3 :: v_dual_lshlrev_b32 v3, 16, v5
	v_pk_mul_bf16 v5, v86, v0
	s_delay_alu instid0(VALU_DEP_2) | instskip(SKIP_1) | instid1(VALU_DEP_2)
	v_add_f32_e32 v3, v3, v4
	v_pk_mul_bf16 v4, v112, v1
	v_add_f32_e32 v2, v2, v3
	v_perm_b32 v3, v22, v23, 0x5040100
	s_delay_alu instid0(VALU_DEP_1) | instskip(NEXT) | instid1(VALU_DEP_1)
	v_pk_mul_bf16 v3, v113, v3
	v_and_b32_e32 v1, 0xffff0000, v3
	s_delay_alu instid0(VALU_DEP_4) | instskip(SKIP_1) | instid1(VALU_DEP_1)
	v_dual_add_f32 v34, v34, v2 :: v_dual_lshlrev_b32 v3, 16, v3
	v_perm_b32 v2, v26, v87, 0x5040100
	v_pk_mul_bf16 v2, v114, v2
	s_delay_alu instid0(VALU_DEP_1) | instskip(SKIP_1) | instid1(VALU_DEP_1)
	v_and_b32_e32 v0, 0xffff0000, v2
	v_lshlrev_b32_e32 v2, 16, v2
	v_pk_add_f32 v[0:1], v[2:3], v[0:1]
	v_and_b32_e32 v2, 0xffff0000, v4
	v_lshlrev_b32_e32 v4, 16, v4
	v_and_b32_e32 v3, 0xffff0000, v5
	v_lshlrev_b32_e32 v5, 16, v5
	v_add_f32_e32 v0, v0, v1
	s_delay_alu instid0(VALU_DEP_2) | instskip(NEXT) | instid1(VALU_DEP_1)
	v_pk_add_f32 v[2:3], v[4:5], v[2:3]
	v_add_f32_e32 v0, v0, v2
	s_delay_alu instid0(VALU_DEP_1) | instskip(NEXT) | instid1(VALU_DEP_1)
	v_add_f32_e32 v0, v0, v3
	v_add_f32_e32 v13, v13, v0
.LBB353_1068:                           ;   in Loop: Header=BB353_1069 Depth=1
	s_wait_xcnt 0x0
	s_or_b32 exec_lo, exec_lo, s9
	scratch_load_b32 v0, off, s32 offset:196 ; 4-byte Folded Reload
	v_dual_add_nc_u32 v52, 4, v52 :: v_dual_mov_b32 v2, v62
	v_add_nc_u64_e32 v[10:11], 16, v[10:11]
	v_add_nc_u32_e32 v54, 0x200, v54
	s_delay_alu instid0(VALU_DEP_3)
	v_add_nc_u32_e32 v2, 0x80, v2
	s_wait_loadcnt 0x0
	v_cmp_ge_i32_e32 vcc_lo, v52, v0
	s_or_b32 s8, vcc_lo, s8
	s_wait_xcnt 0x0
	s_and_not1_b32 exec_lo, exec_lo, s8
	s_cbranch_execz .LBB353_2126
.LBB353_1069:                           ; =>This Inner Loop Header: Depth=1
	s_clause 0x1
	scratch_load_b64 v[0:1], off, s32 offset:212
	scratch_load_b32 v4, off, s32 offset:208
	s_wait_loadcnt 0x2
	v_dual_mov_b32 v3, v27 :: v_dual_mov_b32 v62, v2
	s_wait_loadcnt 0x1
	s_delay_alu instid0(VALU_DEP_1) | instskip(SKIP_1) | instid1(VALU_DEP_1)
	v_mul_u64_e32 v[0:1], v[2:3], v[0:1]
	s_wait_loadcnt 0x0
	v_mul_lo_u32 v0, v1, v4
	s_delay_alu instid0(VALU_DEP_1) | instskip(NEXT) | instid1(VALU_DEP_1)
	v_dual_sub_nc_u32 v0, v2, v0 :: v_dual_add_nc_u32 v2, 1, v1
	v_cmp_ge_u32_e32 vcc_lo, v0, v4
	s_delay_alu instid0(VALU_DEP_2) | instskip(NEXT) | instid1(VALU_DEP_1)
	v_dual_sub_nc_u32 v3, v0, v4 :: v_dual_cndmask_b32 v1, v1, v2, vcc_lo
	v_dual_cndmask_b32 v0, v0, v3, vcc_lo :: v_dual_add_nc_u32 v2, 1, v1
	s_delay_alu instid0(VALU_DEP_1) | instskip(NEXT) | instid1(VALU_DEP_2)
	v_cmp_ge_u32_e32 vcc_lo, v0, v4
	v_cndmask_b32_e32 v0, v1, v2, vcc_lo
	scratch_load_b32 v1, off, s32 offset:220 ; 4-byte Folded Reload
	s_wait_loadcnt 0x0
	v_xor_b32_e32 v0, v0, v1
	s_delay_alu instid0(VALU_DEP_1) | instskip(SKIP_3) | instid1(VALU_DEP_1)
	v_sub_nc_u32_e32 v2, v0, v1
	scratch_load_b32 v0, off, s32 offset:224 ; 4-byte Folded Reload
	s_wait_loadcnt 0x0
	v_add_nc_u32_e32 v3, v2, v0
	v_sub_nc_u32_e32 v0, 0, v3
	s_delay_alu instid0(VALU_DEP_1) | instskip(SKIP_3) | instid1(VALU_DEP_1)
	v_max_i32_e32 v26, v3, v0
	scratch_load_b64 v[0:1], off, s32 offset:484 ; 8-byte Folded Reload
	s_wait_loadcnt 0x0
	v_mul_u64_e32 v[0:1], v[26:27], v[0:1]
	v_mul_lo_u32 v0, v1, v51
	s_delay_alu instid0(VALU_DEP_1) | instskip(NEXT) | instid1(VALU_DEP_1)
	v_sub_nc_u32_e32 v0, v26, v0
	v_sub_nc_u32_e32 v1, v0, v51
	v_cmp_ge_u32_e32 vcc_lo, v0, v51
	s_delay_alu instid0(VALU_DEP_2) | instskip(NEXT) | instid1(VALU_DEP_1)
	v_dual_cndmask_b32 v0, v0, v1 :: v_dual_ashrrev_i32 v3, 31, v3
	v_sub_nc_u32_e32 v1, v0, v51
	v_cmp_ge_u32_e32 vcc_lo, v0, v51
	s_delay_alu instid0(VALU_DEP_2) | instskip(NEXT) | instid1(VALU_DEP_1)
	v_cndmask_b32_e32 v0, v0, v1, vcc_lo
	v_xor_b32_e32 v0, v0, v3
	s_delay_alu instid0(VALU_DEP_1) | instskip(NEXT) | instid1(VALU_DEP_1)
	v_sub_nc_u32_e32 v0, v0, v3
	v_cmp_eq_u32_e32 vcc_lo, 0, v0
	scratch_load_b32 v0, off, s32 offset:228 ; 4-byte Folded Reload
	s_wait_loadcnt 0x0
	v_cmp_gt_i32_e64 s0, v2, v0
	s_or_b32 s0, vcc_lo, s0
	s_wait_xcnt 0x0
	s_and_saveexec_b32 s9, s0
	s_cbranch_execz .LBB353_1068
; %bb.1070:                             ;   in Loop: Header=BB353_1069 Depth=1
	flat_load_b32 v0, v[10:11]
	s_clause 0x1
	scratch_load_b64 v[2:3], off, s32 offset:476
	scratch_load_b64 v[4:5], off, s32 offset:536
	s_wait_loadcnt_dscnt 0x0
	v_mad_nc_i64_i32 v[0:1], v0, v2, v[4:5]
	flat_load_b64 v[18:19], v[0:1]
	scratch_load_b64 v[2:3], off, s32 offset:528 ; 8-byte Folded Reload
	s_load_b32 s0, s[6:7], 0x0
	s_wait_loadcnt 0x0
	flat_load_b32 v86, v[2:3]
	s_wait_kmcnt 0x0
	v_add_nc_u32_e32 v2, s0, v54
	s_mov_b32 s0, exec_lo
	ds_load_2addr_b64 v[4:7], v2 offset1:1
	s_wait_dscnt 0x0
	scratch_store_b128 off, v[4:7], s32 offset:508 ; 16-byte Folded Spill
	s_wait_xcnt 0x0
	ds_load_2addr_b64 v[2:5], v2 offset0:2 offset1:3
	s_wait_dscnt 0x0
	scratch_store_b128 off, v[2:5], s32 offset:492 ; 16-byte Folded Spill
	s_wait_xcnt 0x0
	v_and_b32_e32 v4, 0xff, v18
	v_dual_mov_b32 v3, 0 :: v_dual_mov_b32 v2, 0
	s_delay_alu instid0(VALU_DEP_2)
	v_cmpx_ne_u16_e32 0, v4
	s_cbranch_execz .LBB353_1078
; %bb.1071:                             ;   in Loop: Header=BB353_1069 Depth=1
	v_bfrev_b32_e32 v2, 1
	s_mov_b32 s14, exec_lo
	v_cmpx_ne_u16_e32 0x80, v4
	s_cbranch_execz .LBB353_1077
; %bb.1072:                             ;   in Loop: Header=BB353_1069 Depth=1
	v_and_b32_e32 v4, 0x7f, v18
	v_mov_b32_e32 v2, 0x7f800001
	s_mov_b32 s15, exec_lo
	s_delay_alu instid0(VALU_DEP_2)
	v_cmpx_ne_u32_e32 0x7f, v4
	s_cbranch_execz .LBB353_1076
; %bb.1073:                             ;   in Loop: Header=BB353_1069 Depth=1
	v_mov_b64_e32 v[22:23], v[18:19]
	v_lshrrev_b32_e32 v2, 3, v4
	s_mov_b32 s16, exec_lo
	v_cmpx_gt_u32_e32 8, v4
; %bb.1074:                             ;   in Loop: Header=BB353_1069 Depth=1
	v_and_b32_e32 v2, 7, v18
	s_delay_alu instid0(VALU_DEP_1) | instskip(NEXT) | instid1(VALU_DEP_1)
	v_clz_i32_u32_e32 v2, v2
	v_min_u32_e32 v2, 32, v2
	s_delay_alu instid0(VALU_DEP_1) | instskip(SKIP_1) | instid1(VALU_DEP_2)
	v_subrev_nc_u32_e32 v4, 28, v2
	v_sub_nc_u32_e32 v2, 29, v2
	v_lshlrev_b64_e32 v[22:23], v4, v[18:19]
; %bb.1075:                             ;   in Loop: Header=BB353_1069 Depth=1
	s_or_b32 exec_lo, exec_lo, s16
	s_delay_alu instid0(VALU_DEP_1) | instskip(SKIP_2) | instid1(VALU_DEP_3)
	v_lshlrev_b32_e32 v4, 20, v22
	v_lshlrev_b32_e32 v5, 24, v18
	v_lshl_add_u32 v2, v2, 23, 0x3c000000
	v_and_b32_e32 v4, 0x700000, v4
	s_delay_alu instid0(VALU_DEP_3) | instskip(NEXT) | instid1(VALU_DEP_1)
	v_and_b32_e32 v5, 0x80000000, v5
	v_or3_b32 v2, v4, v5, v2
.LBB353_1076:                           ;   in Loop: Header=BB353_1069 Depth=1
	s_or_b32 exec_lo, exec_lo, s15
.LBB353_1077:                           ;   in Loop: Header=BB353_1069 Depth=1
	s_delay_alu instid0(SALU_CYCLE_1)
	s_or_b32 exec_lo, exec_lo, s14
.LBB353_1078:                           ;   in Loop: Header=BB353_1069 Depth=1
	s_delay_alu instid0(SALU_CYCLE_1) | instskip(SKIP_2) | instid1(VALU_DEP_1)
	s_or_b32 exec_lo, exec_lo, s0
	v_lshrrev_b16 v4, 8, v18
	s_mov_b32 s0, exec_lo
	v_cmpx_ne_u16_e32 0, v4
	s_cbranch_execz .LBB353_1086
; %bb.1079:                             ;   in Loop: Header=BB353_1069 Depth=1
	v_bfrev_b32_e32 v3, 1
	s_mov_b32 s14, exec_lo
	v_cmpx_ne_u16_e32 0x80, v4
	s_cbranch_execz .LBB353_1085
; %bb.1080:                             ;   in Loop: Header=BB353_1069 Depth=1
	v_and_b32_e32 v5, 0xffff, v4
	v_mov_b32_e32 v3, 0x7f800001
	s_mov_b32 s15, exec_lo
	s_delay_alu instid0(VALU_DEP_2) | instskip(NEXT) | instid1(VALU_DEP_1)
	v_and_b32_e32 v4, 0x7f, v5
	v_cmpx_ne_u32_e32 0x7f, v4
	s_cbranch_execz .LBB353_1084
; %bb.1081:                             ;   in Loop: Header=BB353_1069 Depth=1
	v_dual_lshrrev_b32 v3, 3, v4 :: v_dual_bitop2_b32 v26, 7, v5 bitop3:0x40
	s_mov_b32 s16, exec_lo
	s_delay_alu instid0(VALU_DEP_1)
	v_mov_b64_e32 v[22:23], v[26:27]
	v_cmpx_gt_u32_e32 8, v4
; %bb.1082:                             ;   in Loop: Header=BB353_1069 Depth=1
	v_clz_i32_u32_e32 v3, v26
	s_delay_alu instid0(VALU_DEP_1) | instskip(NEXT) | instid1(VALU_DEP_1)
	v_min_u32_e32 v3, 32, v3
	v_subrev_nc_u32_e32 v4, 28, v3
	s_delay_alu instid0(VALU_DEP_1) | instskip(NEXT) | instid1(VALU_DEP_1)
	v_lshlrev_b64_e32 v[4:5], v4, v[26:27]
	v_dual_sub_nc_u32 v3, 29, v3 :: v_dual_bitop2_b32 v22, 7, v4 bitop3:0x40
; %bb.1083:                             ;   in Loop: Header=BB353_1069 Depth=1
	s_or_b32 exec_lo, exec_lo, s16
	v_lshlrev_b32_e32 v4, 16, v18
	s_delay_alu instid0(VALU_DEP_2) | instskip(NEXT) | instid1(VALU_DEP_3)
	v_lshlrev_b32_e32 v5, 20, v22
	v_lshl_add_u32 v3, v3, 23, 0x3c000000
	s_delay_alu instid0(VALU_DEP_3) | instskip(NEXT) | instid1(VALU_DEP_1)
	v_and_b32_e32 v4, 0x80000000, v4
	v_or3_b32 v3, v5, v4, v3
.LBB353_1084:                           ;   in Loop: Header=BB353_1069 Depth=1
	s_or_b32 exec_lo, exec_lo, s15
.LBB353_1085:                           ;   in Loop: Header=BB353_1069 Depth=1
	s_delay_alu instid0(SALU_CYCLE_1)
	s_or_b32 exec_lo, exec_lo, s14
.LBB353_1086:                           ;   in Loop: Header=BB353_1069 Depth=1
	s_delay_alu instid0(SALU_CYCLE_1) | instskip(SKIP_3) | instid1(VALU_DEP_2)
	s_or_b32 exec_lo, exec_lo, s0
	v_dual_mov_b32 v5, 0 :: v_dual_lshrrev_b32 v6, 16, v18
	v_mov_b32_e32 v4, 0
	s_mov_b32 s0, exec_lo
	v_and_b32_e32 v7, 0xff, v6
	s_delay_alu instid0(VALU_DEP_1)
	v_cmpx_ne_u16_e32 0, v7
	s_cbranch_execz .LBB353_1094
; %bb.1087:                             ;   in Loop: Header=BB353_1069 Depth=1
	v_bfrev_b32_e32 v4, 1
	s_mov_b32 s14, exec_lo
	v_cmpx_ne_u16_e32 0x80, v7
	s_cbranch_execz .LBB353_1093
; %bb.1088:                             ;   in Loop: Header=BB353_1069 Depth=1
	v_bfe_u32 v7, v18, 16, 7
	v_mov_b32_e32 v4, 0x7f800001
	s_mov_b32 s15, exec_lo
	s_delay_alu instid0(VALU_DEP_2)
	v_cmpx_ne_u32_e32 0x7f, v7
	s_cbranch_execz .LBB353_1092
; %bb.1089:                             ;   in Loop: Header=BB353_1069 Depth=1
	v_dual_lshrrev_b32 v4, 3, v7 :: v_dual_bitop2_b32 v26, 7, v6 bitop3:0x40
	s_mov_b32 s16, exec_lo
	s_delay_alu instid0(VALU_DEP_1)
	v_mov_b64_e32 v[22:23], v[26:27]
	v_cmpx_gt_u32_e32 8, v7
; %bb.1090:                             ;   in Loop: Header=BB353_1069 Depth=1
	v_clz_i32_u32_e32 v4, v26
	s_delay_alu instid0(VALU_DEP_1) | instskip(NEXT) | instid1(VALU_DEP_1)
	v_min_u32_e32 v4, 32, v4
	v_subrev_nc_u32_e32 v7, 28, v4
	v_sub_nc_u32_e32 v4, 29, v4
	s_delay_alu instid0(VALU_DEP_2) | instskip(NEXT) | instid1(VALU_DEP_1)
	v_lshlrev_b64_e32 v[8:9], v7, v[26:27]
	v_and_b32_e32 v22, 7, v8
; %bb.1091:                             ;   in Loop: Header=BB353_1069 Depth=1
	s_or_b32 exec_lo, exec_lo, s16
	v_lshlrev_b32_e32 v6, 24, v6
	s_delay_alu instid0(VALU_DEP_2) | instskip(SKIP_1) | instid1(VALU_DEP_3)
	v_lshlrev_b32_e32 v7, 20, v22
	v_lshl_add_u32 v4, v4, 23, 0x3c000000
	v_and_b32_e32 v6, 0x80000000, v6
	s_delay_alu instid0(VALU_DEP_1)
	v_or3_b32 v4, v7, v6, v4
.LBB353_1092:                           ;   in Loop: Header=BB353_1069 Depth=1
	s_or_b32 exec_lo, exec_lo, s15
.LBB353_1093:                           ;   in Loop: Header=BB353_1069 Depth=1
	s_delay_alu instid0(SALU_CYCLE_1)
	s_or_b32 exec_lo, exec_lo, s14
.LBB353_1094:                           ;   in Loop: Header=BB353_1069 Depth=1
	s_delay_alu instid0(SALU_CYCLE_1) | instskip(NEXT) | instid1(SALU_CYCLE_1)
	s_or_b32 exec_lo, exec_lo, s0
	s_mov_b32 s0, exec_lo
	v_cmpx_lt_u32_e32 0xffffff, v18
	s_cbranch_execz .LBB353_1102
; %bb.1095:                             ;   in Loop: Header=BB353_1069 Depth=1
	v_lshrrev_b32_e32 v6, 24, v18
	v_bfrev_b32_e32 v5, 1
	s_mov_b32 s14, exec_lo
	s_delay_alu instid0(VALU_DEP_2)
	v_cmpx_ne_u32_e32 0x80, v6
	s_cbranch_execz .LBB353_1101
; %bb.1096:                             ;   in Loop: Header=BB353_1069 Depth=1
	v_bfe_u32 v7, v18, 24, 7
	v_mov_b32_e32 v5, 0x7f800001
	s_mov_b32 s15, exec_lo
	s_delay_alu instid0(VALU_DEP_2)
	v_cmpx_ne_u32_e32 0x7f, v7
	s_cbranch_execz .LBB353_1100
; %bb.1097:                             ;   in Loop: Header=BB353_1069 Depth=1
	v_dual_lshrrev_b32 v5, 3, v7 :: v_dual_bitop2_b32 v26, 7, v6 bitop3:0x40
	s_mov_b32 s16, exec_lo
	s_delay_alu instid0(VALU_DEP_1)
	v_mov_b64_e32 v[22:23], v[26:27]
	v_cmpx_gt_u32_e32 8, v7
; %bb.1098:                             ;   in Loop: Header=BB353_1069 Depth=1
	v_clz_i32_u32_e32 v5, v26
	s_delay_alu instid0(VALU_DEP_1) | instskip(NEXT) | instid1(VALU_DEP_1)
	v_min_u32_e32 v5, 32, v5
	v_subrev_nc_u32_e32 v7, 28, v5
	s_delay_alu instid0(VALU_DEP_1) | instskip(NEXT) | instid1(VALU_DEP_1)
	v_lshlrev_b64_e32 v[8:9], v7, v[26:27]
	v_dual_sub_nc_u32 v5, 29, v5 :: v_dual_bitop2_b32 v22, 7, v8 bitop3:0x40
; %bb.1099:                             ;   in Loop: Header=BB353_1069 Depth=1
	s_or_b32 exec_lo, exec_lo, s16
	v_lshlrev_b32_e32 v6, 24, v6
	s_delay_alu instid0(VALU_DEP_2) | instskip(NEXT) | instid1(VALU_DEP_3)
	v_lshlrev_b32_e32 v7, 20, v22
	v_lshl_add_u32 v5, v5, 23, 0x3c000000
	s_delay_alu instid0(VALU_DEP_3) | instskip(NEXT) | instid1(VALU_DEP_1)
	v_and_b32_e32 v6, 0x80000000, v6
	v_or3_b32 v5, v7, v6, v5
.LBB353_1100:                           ;   in Loop: Header=BB353_1069 Depth=1
	s_or_b32 exec_lo, exec_lo, s15
.LBB353_1101:                           ;   in Loop: Header=BB353_1069 Depth=1
	s_delay_alu instid0(SALU_CYCLE_1)
	s_or_b32 exec_lo, exec_lo, s14
.LBB353_1102:                           ;   in Loop: Header=BB353_1069 Depth=1
	s_delay_alu instid0(SALU_CYCLE_1) | instskip(SKIP_4) | instid1(VALU_DEP_3)
	s_or_b32 exec_lo, exec_lo, s0
	v_and_b32_e32 v8, 0xff, v19
	v_dual_mov_b32 v26, v19 :: v_dual_mov_b32 v7, 0
	v_mov_b32_e32 v6, 0
	s_mov_b32 s0, exec_lo
	v_cmpx_ne_u16_e32 0, v8
	s_cbranch_execz .LBB353_1110
; %bb.1103:                             ;   in Loop: Header=BB353_1069 Depth=1
	v_bfrev_b32_e32 v6, 1
	s_mov_b32 s14, exec_lo
	v_cmpx_ne_u16_e32 0x80, v8
	s_cbranch_execz .LBB353_1109
; %bb.1104:                             ;   in Loop: Header=BB353_1069 Depth=1
	v_and_b32_e32 v8, 0x7f, v19
	v_mov_b32_e32 v6, 0x7f800001
	s_mov_b32 s15, exec_lo
	s_delay_alu instid0(VALU_DEP_2)
	v_cmpx_ne_u32_e32 0x7f, v8
	s_cbranch_execz .LBB353_1108
; %bb.1105:                             ;   in Loop: Header=BB353_1069 Depth=1
	v_mov_b64_e32 v[22:23], v[26:27]
	v_lshrrev_b32_e32 v6, 3, v8
	s_mov_b32 s16, exec_lo
	v_cmpx_gt_u32_e32 8, v8
; %bb.1106:                             ;   in Loop: Header=BB353_1069 Depth=1
	v_and_b32_e32 v6, 7, v19
	s_delay_alu instid0(VALU_DEP_1) | instskip(NEXT) | instid1(VALU_DEP_1)
	v_clz_i32_u32_e32 v6, v6
	v_min_u32_e32 v6, 32, v6
	s_delay_alu instid0(VALU_DEP_1) | instskip(SKIP_1) | instid1(VALU_DEP_2)
	v_subrev_nc_u32_e32 v8, 28, v6
	v_sub_nc_u32_e32 v6, 29, v6
	v_lshlrev_b64_e32 v[22:23], v8, v[26:27]
; %bb.1107:                             ;   in Loop: Header=BB353_1069 Depth=1
	s_or_b32 exec_lo, exec_lo, s16
	s_delay_alu instid0(VALU_DEP_1) | instskip(SKIP_2) | instid1(VALU_DEP_3)
	v_lshlrev_b32_e32 v8, 20, v22
	v_lshlrev_b32_e32 v9, 24, v26
	v_lshl_add_u32 v6, v6, 23, 0x3c000000
	v_and_b32_e32 v8, 0x700000, v8
	s_delay_alu instid0(VALU_DEP_3) | instskip(NEXT) | instid1(VALU_DEP_1)
	v_and_b32_e32 v9, 0x80000000, v9
	v_or3_b32 v6, v8, v9, v6
.LBB353_1108:                           ;   in Loop: Header=BB353_1069 Depth=1
	s_or_b32 exec_lo, exec_lo, s15
.LBB353_1109:                           ;   in Loop: Header=BB353_1069 Depth=1
	s_delay_alu instid0(SALU_CYCLE_1)
	s_or_b32 exec_lo, exec_lo, s14
.LBB353_1110:                           ;   in Loop: Header=BB353_1069 Depth=1
	s_delay_alu instid0(SALU_CYCLE_1) | instskip(SKIP_2) | instid1(VALU_DEP_1)
	s_or_b32 exec_lo, exec_lo, s0
	v_lshrrev_b16 v8, 8, v26
	s_mov_b32 s0, exec_lo
	v_cmpx_ne_u16_e32 0, v8
	s_cbranch_execz .LBB353_1118
; %bb.1111:                             ;   in Loop: Header=BB353_1069 Depth=1
	v_bfrev_b32_e32 v7, 1
	s_mov_b32 s14, exec_lo
	v_cmpx_ne_u16_e32 0x80, v8
	s_cbranch_execz .LBB353_1117
; %bb.1112:                             ;   in Loop: Header=BB353_1069 Depth=1
	v_and_b32_e32 v9, 0xffff, v8
	v_mov_b32_e32 v7, 0x7f800001
	s_mov_b32 s15, exec_lo
	s_delay_alu instid0(VALU_DEP_2) | instskip(NEXT) | instid1(VALU_DEP_1)
	v_and_b32_e32 v8, 0x7f, v9
	v_cmpx_ne_u32_e32 0x7f, v8
	s_cbranch_execz .LBB353_1116
; %bb.1113:                             ;   in Loop: Header=BB353_1069 Depth=1
	v_dual_mov_b32 v23, v27 :: v_dual_bitop2_b32 v22, 7, v9 bitop3:0x40
	v_lshrrev_b32_e32 v7, 3, v8
	s_mov_b32 s16, exec_lo
	v_cmpx_gt_u32_e32 8, v8
; %bb.1114:                             ;   in Loop: Header=BB353_1069 Depth=1
	s_delay_alu instid0(VALU_DEP_3) | instskip(NEXT) | instid1(VALU_DEP_1)
	v_clz_i32_u32_e32 v7, v22
	v_min_u32_e32 v7, 32, v7
	s_delay_alu instid0(VALU_DEP_1) | instskip(NEXT) | instid1(VALU_DEP_1)
	v_subrev_nc_u32_e32 v8, 28, v7
	v_lshlrev_b64_e32 v[8:9], v8, v[22:23]
	s_delay_alu instid0(VALU_DEP_1)
	v_dual_sub_nc_u32 v7, 29, v7 :: v_dual_bitop2_b32 v22, 7, v8 bitop3:0x40
; %bb.1115:                             ;   in Loop: Header=BB353_1069 Depth=1
	s_or_b32 exec_lo, exec_lo, s16
	v_lshlrev_b32_e32 v8, 16, v26
	s_delay_alu instid0(VALU_DEP_2) | instskip(NEXT) | instid1(VALU_DEP_3)
	v_lshlrev_b32_e32 v9, 20, v22
	v_lshl_add_u32 v7, v7, 23, 0x3c000000
	s_delay_alu instid0(VALU_DEP_3) | instskip(NEXT) | instid1(VALU_DEP_1)
	v_and_b32_e32 v8, 0x80000000, v8
	v_or3_b32 v7, v9, v8, v7
.LBB353_1116:                           ;   in Loop: Header=BB353_1069 Depth=1
	s_or_b32 exec_lo, exec_lo, s15
.LBB353_1117:                           ;   in Loop: Header=BB353_1069 Depth=1
	s_delay_alu instid0(SALU_CYCLE_1)
	s_or_b32 exec_lo, exec_lo, s14
.LBB353_1118:                           ;   in Loop: Header=BB353_1069 Depth=1
	s_delay_alu instid0(SALU_CYCLE_1) | instskip(SKIP_3) | instid1(VALU_DEP_2)
	s_or_b32 exec_lo, exec_lo, s0
	v_dual_lshrrev_b32 v24, 16, v19 :: v_dual_mov_b32 v8, 0
	v_mov_b32_e32 v9, 0
	s_mov_b32 s0, exec_lo
	v_and_b32_e32 v22, 0xff, v24
	s_delay_alu instid0(VALU_DEP_1)
	v_cmpx_ne_u16_e32 0, v22
	s_cbranch_execz .LBB353_1126
; %bb.1119:                             ;   in Loop: Header=BB353_1069 Depth=1
	v_bfrev_b32_e32 v9, 1
	s_mov_b32 s14, exec_lo
	v_cmpx_ne_u16_e32 0x80, v22
	s_cbranch_execz .LBB353_1125
; %bb.1120:                             ;   in Loop: Header=BB353_1069 Depth=1
	v_bfe_u32 v22, v19, 16, 7
	v_mov_b32_e32 v9, 0x7f800001
	s_mov_b32 s15, exec_lo
	s_delay_alu instid0(VALU_DEP_2)
	v_cmpx_ne_u32_e32 0x7f, v22
	s_cbranch_execz .LBB353_1124
; %bb.1121:                             ;   in Loop: Header=BB353_1069 Depth=1
	v_dual_lshrrev_b32 v9, 3, v22 :: v_dual_bitop2_b32 v26, 7, v24 bitop3:0x40
	v_cmp_gt_u32_e32 vcc_lo, 8, v22
	s_delay_alu instid0(VALU_DEP_2)
	v_mov_b64_e32 v[22:23], v[26:27]
	s_and_saveexec_b32 s16, vcc_lo
; %bb.1122:                             ;   in Loop: Header=BB353_1069 Depth=1
	v_clz_i32_u32_e32 v9, v26
	s_delay_alu instid0(VALU_DEP_1) | instskip(NEXT) | instid1(VALU_DEP_1)
	v_min_u32_e32 v9, 32, v9
	v_subrev_nc_u32_e32 v22, 28, v9
	s_delay_alu instid0(VALU_DEP_1) | instskip(NEXT) | instid1(VALU_DEP_1)
	v_lshlrev_b64_e32 v[22:23], v22, v[26:27]
	v_dual_sub_nc_u32 v9, 29, v9 :: v_dual_bitop2_b32 v22, 7, v22 bitop3:0x40
; %bb.1123:                             ;   in Loop: Header=BB353_1069 Depth=1
	s_or_b32 exec_lo, exec_lo, s16
	s_delay_alu instid0(VALU_DEP_1) | instskip(NEXT) | instid1(VALU_DEP_2)
	v_dual_lshlrev_b32 v23, 24, v24 :: v_dual_lshlrev_b32 v22, 20, v22
	v_lshl_add_u32 v9, v9, 23, 0x3c000000
	s_delay_alu instid0(VALU_DEP_2) | instskip(NEXT) | instid1(VALU_DEP_1)
	v_and_b32_e32 v23, 0x80000000, v23
	v_or3_b32 v9, v22, v23, v9
.LBB353_1124:                           ;   in Loop: Header=BB353_1069 Depth=1
	s_or_b32 exec_lo, exec_lo, s15
.LBB353_1125:                           ;   in Loop: Header=BB353_1069 Depth=1
	s_delay_alu instid0(SALU_CYCLE_1)
	s_or_b32 exec_lo, exec_lo, s14
.LBB353_1126:                           ;   in Loop: Header=BB353_1069 Depth=1
	s_delay_alu instid0(SALU_CYCLE_1) | instskip(NEXT) | instid1(SALU_CYCLE_1)
	s_or_b32 exec_lo, exec_lo, s0
	s_mov_b32 s0, exec_lo
	v_cmpx_lt_u64_e64 s[2:3], v[18:19]
	s_cbranch_execz .LBB353_1134
; %bb.1127:                             ;   in Loop: Header=BB353_1069 Depth=1
	v_lshrrev_b32_e32 v22, 24, v19
	v_bfrev_b32_e32 v8, 1
	s_mov_b32 s14, exec_lo
	s_delay_alu instid0(VALU_DEP_2)
	v_cmpx_ne_u32_e32 0x80, v22
	s_cbranch_execz .LBB353_1133
; %bb.1128:                             ;   in Loop: Header=BB353_1069 Depth=1
	v_bfe_u32 v18, v19, 24, 7
	v_mov_b32_e32 v8, 0x7f800001
	s_mov_b32 s15, exec_lo
	s_delay_alu instid0(VALU_DEP_2)
	v_cmpx_ne_u32_e32 0x7f, v18
	s_cbranch_execz .LBB353_1132
; %bb.1129:                             ;   in Loop: Header=BB353_1069 Depth=1
	v_and_b32_e32 v26, 7, v22
	v_lshrrev_b32_e32 v8, 3, v18
	v_cmp_gt_u32_e32 vcc_lo, 8, v18
	s_delay_alu instid0(VALU_DEP_3)
	v_mov_b64_e32 v[18:19], v[26:27]
	s_and_saveexec_b32 s16, vcc_lo
; %bb.1130:                             ;   in Loop: Header=BB353_1069 Depth=1
	v_clz_i32_u32_e32 v8, v26
	s_delay_alu instid0(VALU_DEP_1) | instskip(NEXT) | instid1(VALU_DEP_1)
	v_min_u32_e32 v8, 32, v8
	v_subrev_nc_u32_e32 v18, 28, v8
	s_delay_alu instid0(VALU_DEP_1) | instskip(NEXT) | instid1(VALU_DEP_1)
	v_lshlrev_b64_e32 v[18:19], v18, v[26:27]
	v_dual_sub_nc_u32 v8, 29, v8 :: v_dual_bitop2_b32 v18, 7, v18 bitop3:0x40
; %bb.1131:                             ;   in Loop: Header=BB353_1069 Depth=1
	s_or_b32 exec_lo, exec_lo, s16
	v_lshlrev_b32_e32 v19, 24, v22
	s_delay_alu instid0(VALU_DEP_2) | instskip(NEXT) | instid1(VALU_DEP_3)
	v_lshlrev_b32_e32 v18, 20, v18
	v_lshl_add_u32 v8, v8, 23, 0x3c000000
	s_delay_alu instid0(VALU_DEP_3) | instskip(NEXT) | instid1(VALU_DEP_1)
	v_and_b32_e32 v19, 0x80000000, v19
	v_or3_b32 v8, v18, v19, v8
.LBB353_1132:                           ;   in Loop: Header=BB353_1069 Depth=1
	s_or_b32 exec_lo, exec_lo, s15
.LBB353_1133:                           ;   in Loop: Header=BB353_1069 Depth=1
	s_delay_alu instid0(SALU_CYCLE_1)
	s_or_b32 exec_lo, exec_lo, s14
.LBB353_1134:                           ;   in Loop: Header=BB353_1069 Depth=1
	s_delay_alu instid0(SALU_CYCLE_1)
	s_or_b32 exec_lo, exec_lo, s0
	scratch_load_b32 v18, off, s32 offset:196 ; 4-byte Folded Reload
	s_wait_loadcnt 0x1
	v_fma_mixlo_bf16 v2, v86, v2, 0
	v_add_nc_u32_e32 v115, v63, v62
	v_fma_mixlo_bf16 v7, v86, v7, 0
	v_fma_mixlo_bf16 v6, v86, v6, 0
	;; [unrolled: 1-line block ×3, first 2 shown]
	scratch_store_b32 off, v2, s32 offset:256 ; 4-byte Folded Spill
	s_wait_xcnt 0x0
	v_fma_mixlo_bf16 v2, v86, v9, 0
	s_clause 0x1
	scratch_store_b32 off, v7, s32 offset:200
	scratch_store_b32 off, v6, s32 offset:232
	v_fma_mixlo_bf16 v4, v86, v4, 0
	v_fma_mixlo_bf16 v3, v86, v3, 0
	s_clause 0x1
	scratch_store_b32 off, v5, s32 offset:244
	scratch_store_b32 off, v2, s32 offset:236
	s_wait_xcnt 0x0
	v_fma_mixlo_bf16 v2, v86, v8, 0
	v_dual_add_nc_u32 v118, 2, v115 :: v_dual_add_nc_u32 v117, 3, v115
	v_dual_add_nc_u32 v116, 4, v115 :: v_dual_add_nc_u32 v114, 5, v115
	v_dual_add_nc_u32 v113, 6, v115 :: v_dual_add_nc_u32 v112, 7, v115
	s_clause 0x2
	scratch_store_b32 off, v4, s32 offset:248
	scratch_store_b32 off, v2, s32 offset:240
	;; [unrolled: 1-line block ×3, first 2 shown]
	s_wait_loadcnt 0x0
	v_dual_add_nc_u32 v119, 1, v115 :: v_dual_add_nc_u32 v18, -1, v18
	s_delay_alu instid0(VALU_DEP_1)
	v_cmp_eq_u32_e32 vcc_lo, v18, v52
	s_wait_xcnt 0x0
	s_and_saveexec_b32 s14, vcc_lo
	s_cbranch_execz .LBB353_1136
; %bb.1135:                             ;   in Loop: Header=BB353_1069 Depth=1
	s_clause 0x1
	scratch_load_b32 v2, off, s32 offset:192
	scratch_load_b32 v3, off, s32 offset:256
	s_wait_loadcnt 0x1
	v_cmp_lt_i32_e64 s0, v115, v2
	s_wait_loadcnt 0x0
	s_delay_alu instid0(VALU_DEP_1)
	v_cndmask_b32_e64 v3, 0, v3, s0
	v_cmp_lt_i32_e64 s0, v119, v2
	s_clause 0x1
	scratch_store_b32 off, v3, s32 offset:256
	scratch_load_b32 v3, off, s32 offset:252
	s_wait_loadcnt 0x0
	v_cndmask_b32_e64 v3, 0, v3, s0
	v_cmp_lt_i32_e64 s0, v118, v2
	s_clause 0x1
	scratch_store_b32 off, v3, s32 offset:252
	scratch_load_b32 v3, off, s32 offset:248
	s_wait_loadcnt 0x0
	;; [unrolled: 6-line block ×6, first 2 shown]
	v_cndmask_b32_e64 v3, 0, v3, s0
	v_cmp_lt_i32_e64 s0, v112, v2
	scratch_load_b32 v2, off, s32 offset:240 ; 4-byte Folded Reload
	s_wait_loadcnt 0x0
	v_cndmask_b32_e64 v2, 0, v2, s0
	s_clause 0x1
	scratch_store_b32 off, v3, s32 offset:236
	scratch_store_b32 off, v2, s32 offset:240
.LBB353_1136:                           ;   in Loop: Header=BB353_1069 Depth=1
	s_wait_xcnt 0x0
	s_or_b32 exec_lo, exec_lo, s14
	flat_load_b64 v[18:19], v[0:1] offset:256
	v_dual_mov_b32 v3, 0 :: v_dual_mov_b32 v2, 0
	s_mov_b32 s14, exec_lo
	s_wait_loadcnt_dscnt 0x0
	v_and_b32_e32 v4, 0xff, v18
	s_wait_xcnt 0x0
	s_delay_alu instid0(VALU_DEP_1)
	v_cmpx_ne_u16_e32 0, v4
	s_cbranch_execz .LBB353_1144
; %bb.1137:                             ;   in Loop: Header=BB353_1069 Depth=1
	v_bfrev_b32_e32 v2, 1
	s_mov_b32 s15, exec_lo
	v_cmpx_ne_u16_e32 0x80, v4
	s_cbranch_execz .LBB353_1143
; %bb.1138:                             ;   in Loop: Header=BB353_1069 Depth=1
	v_and_b32_e32 v4, 0x7f, v18
	v_mov_b32_e32 v2, 0x7f800001
	s_mov_b32 s16, exec_lo
	s_delay_alu instid0(VALU_DEP_2)
	v_cmpx_ne_u32_e32 0x7f, v4
	s_cbranch_execz .LBB353_1142
; %bb.1139:                             ;   in Loop: Header=BB353_1069 Depth=1
	v_mov_b64_e32 v[22:23], v[18:19]
	v_lshrrev_b32_e32 v2, 3, v4
	s_mov_b32 s17, exec_lo
	v_cmpx_gt_u32_e32 8, v4
; %bb.1140:                             ;   in Loop: Header=BB353_1069 Depth=1
	v_and_b32_e32 v2, 7, v18
	s_delay_alu instid0(VALU_DEP_1) | instskip(NEXT) | instid1(VALU_DEP_1)
	v_clz_i32_u32_e32 v2, v2
	v_min_u32_e32 v2, 32, v2
	s_delay_alu instid0(VALU_DEP_1) | instskip(SKIP_1) | instid1(VALU_DEP_2)
	v_subrev_nc_u32_e32 v4, 28, v2
	v_sub_nc_u32_e32 v2, 29, v2
	v_lshlrev_b64_e32 v[22:23], v4, v[18:19]
; %bb.1141:                             ;   in Loop: Header=BB353_1069 Depth=1
	s_or_b32 exec_lo, exec_lo, s17
	s_delay_alu instid0(VALU_DEP_1) | instskip(SKIP_2) | instid1(VALU_DEP_3)
	v_lshlrev_b32_e32 v4, 20, v22
	v_lshlrev_b32_e32 v5, 24, v18
	v_lshl_add_u32 v2, v2, 23, 0x3c000000
	v_and_b32_e32 v4, 0x700000, v4
	s_delay_alu instid0(VALU_DEP_3) | instskip(NEXT) | instid1(VALU_DEP_1)
	v_and_b32_e32 v5, 0x80000000, v5
	v_or3_b32 v2, v4, v5, v2
.LBB353_1142:                           ;   in Loop: Header=BB353_1069 Depth=1
	s_or_b32 exec_lo, exec_lo, s16
.LBB353_1143:                           ;   in Loop: Header=BB353_1069 Depth=1
	s_delay_alu instid0(SALU_CYCLE_1)
	s_or_b32 exec_lo, exec_lo, s15
.LBB353_1144:                           ;   in Loop: Header=BB353_1069 Depth=1
	s_delay_alu instid0(SALU_CYCLE_1) | instskip(SKIP_2) | instid1(VALU_DEP_1)
	s_or_b32 exec_lo, exec_lo, s14
	v_lshrrev_b16 v4, 8, v18
	s_mov_b32 s14, exec_lo
	v_cmpx_ne_u16_e32 0, v4
	s_cbranch_execz .LBB353_1152
; %bb.1145:                             ;   in Loop: Header=BB353_1069 Depth=1
	v_bfrev_b32_e32 v3, 1
	s_mov_b32 s15, exec_lo
	v_cmpx_ne_u16_e32 0x80, v4
	s_cbranch_execz .LBB353_1151
; %bb.1146:                             ;   in Loop: Header=BB353_1069 Depth=1
	v_and_b32_e32 v5, 0xffff, v4
	v_mov_b32_e32 v3, 0x7f800001
	s_mov_b32 s16, exec_lo
	s_delay_alu instid0(VALU_DEP_2) | instskip(NEXT) | instid1(VALU_DEP_1)
	v_and_b32_e32 v4, 0x7f, v5
	v_cmpx_ne_u32_e32 0x7f, v4
	s_cbranch_execz .LBB353_1150
; %bb.1147:                             ;   in Loop: Header=BB353_1069 Depth=1
	v_dual_lshrrev_b32 v3, 3, v4 :: v_dual_bitop2_b32 v26, 7, v5 bitop3:0x40
	s_mov_b32 s17, exec_lo
	s_delay_alu instid0(VALU_DEP_1)
	v_mov_b64_e32 v[22:23], v[26:27]
	v_cmpx_gt_u32_e32 8, v4
; %bb.1148:                             ;   in Loop: Header=BB353_1069 Depth=1
	v_clz_i32_u32_e32 v3, v26
	s_delay_alu instid0(VALU_DEP_1) | instskip(NEXT) | instid1(VALU_DEP_1)
	v_min_u32_e32 v3, 32, v3
	v_subrev_nc_u32_e32 v4, 28, v3
	s_delay_alu instid0(VALU_DEP_1) | instskip(NEXT) | instid1(VALU_DEP_1)
	v_lshlrev_b64_e32 v[4:5], v4, v[26:27]
	v_dual_sub_nc_u32 v3, 29, v3 :: v_dual_bitop2_b32 v22, 7, v4 bitop3:0x40
; %bb.1149:                             ;   in Loop: Header=BB353_1069 Depth=1
	s_or_b32 exec_lo, exec_lo, s17
	v_lshlrev_b32_e32 v4, 16, v18
	s_delay_alu instid0(VALU_DEP_2) | instskip(NEXT) | instid1(VALU_DEP_3)
	v_lshlrev_b32_e32 v5, 20, v22
	v_lshl_add_u32 v3, v3, 23, 0x3c000000
	s_delay_alu instid0(VALU_DEP_3) | instskip(NEXT) | instid1(VALU_DEP_1)
	v_and_b32_e32 v4, 0x80000000, v4
	v_or3_b32 v3, v5, v4, v3
.LBB353_1150:                           ;   in Loop: Header=BB353_1069 Depth=1
	s_or_b32 exec_lo, exec_lo, s16
.LBB353_1151:                           ;   in Loop: Header=BB353_1069 Depth=1
	s_delay_alu instid0(SALU_CYCLE_1)
	s_or_b32 exec_lo, exec_lo, s15
.LBB353_1152:                           ;   in Loop: Header=BB353_1069 Depth=1
	s_delay_alu instid0(SALU_CYCLE_1) | instskip(SKIP_3) | instid1(VALU_DEP_2)
	s_or_b32 exec_lo, exec_lo, s14
	v_dual_mov_b32 v5, 0 :: v_dual_lshrrev_b32 v6, 16, v18
	v_mov_b32_e32 v4, 0
	s_mov_b32 s14, exec_lo
	v_and_b32_e32 v7, 0xff, v6
	s_delay_alu instid0(VALU_DEP_1)
	v_cmpx_ne_u16_e32 0, v7
	s_cbranch_execz .LBB353_1160
; %bb.1153:                             ;   in Loop: Header=BB353_1069 Depth=1
	v_bfrev_b32_e32 v4, 1
	s_mov_b32 s15, exec_lo
	v_cmpx_ne_u16_e32 0x80, v7
	s_cbranch_execz .LBB353_1159
; %bb.1154:                             ;   in Loop: Header=BB353_1069 Depth=1
	v_bfe_u32 v7, v18, 16, 7
	v_mov_b32_e32 v4, 0x7f800001
	s_mov_b32 s16, exec_lo
	s_delay_alu instid0(VALU_DEP_2)
	v_cmpx_ne_u32_e32 0x7f, v7
	s_cbranch_execz .LBB353_1158
; %bb.1155:                             ;   in Loop: Header=BB353_1069 Depth=1
	v_dual_lshrrev_b32 v4, 3, v7 :: v_dual_bitop2_b32 v26, 7, v6 bitop3:0x40
	s_mov_b32 s17, exec_lo
	s_delay_alu instid0(VALU_DEP_1)
	v_mov_b64_e32 v[22:23], v[26:27]
	v_cmpx_gt_u32_e32 8, v7
; %bb.1156:                             ;   in Loop: Header=BB353_1069 Depth=1
	v_clz_i32_u32_e32 v4, v26
	s_delay_alu instid0(VALU_DEP_1) | instskip(NEXT) | instid1(VALU_DEP_1)
	v_min_u32_e32 v4, 32, v4
	v_subrev_nc_u32_e32 v7, 28, v4
	v_sub_nc_u32_e32 v4, 29, v4
	s_delay_alu instid0(VALU_DEP_2) | instskip(NEXT) | instid1(VALU_DEP_1)
	v_lshlrev_b64_e32 v[8:9], v7, v[26:27]
	v_and_b32_e32 v22, 7, v8
; %bb.1157:                             ;   in Loop: Header=BB353_1069 Depth=1
	s_or_b32 exec_lo, exec_lo, s17
	v_lshlrev_b32_e32 v6, 24, v6
	s_delay_alu instid0(VALU_DEP_2) | instskip(SKIP_1) | instid1(VALU_DEP_3)
	v_lshlrev_b32_e32 v7, 20, v22
	v_lshl_add_u32 v4, v4, 23, 0x3c000000
	v_and_b32_e32 v6, 0x80000000, v6
	s_delay_alu instid0(VALU_DEP_1)
	v_or3_b32 v4, v7, v6, v4
.LBB353_1158:                           ;   in Loop: Header=BB353_1069 Depth=1
	s_or_b32 exec_lo, exec_lo, s16
.LBB353_1159:                           ;   in Loop: Header=BB353_1069 Depth=1
	s_delay_alu instid0(SALU_CYCLE_1)
	s_or_b32 exec_lo, exec_lo, s15
.LBB353_1160:                           ;   in Loop: Header=BB353_1069 Depth=1
	s_delay_alu instid0(SALU_CYCLE_1) | instskip(NEXT) | instid1(SALU_CYCLE_1)
	s_or_b32 exec_lo, exec_lo, s14
	s_mov_b32 s14, exec_lo
	v_cmpx_lt_u32_e32 0xffffff, v18
	s_cbranch_execz .LBB353_1168
; %bb.1161:                             ;   in Loop: Header=BB353_1069 Depth=1
	v_lshrrev_b32_e32 v6, 24, v18
	v_bfrev_b32_e32 v5, 1
	s_mov_b32 s15, exec_lo
	s_delay_alu instid0(VALU_DEP_2)
	v_cmpx_ne_u32_e32 0x80, v6
	s_cbranch_execz .LBB353_1167
; %bb.1162:                             ;   in Loop: Header=BB353_1069 Depth=1
	v_bfe_u32 v7, v18, 24, 7
	v_mov_b32_e32 v5, 0x7f800001
	s_mov_b32 s16, exec_lo
	s_delay_alu instid0(VALU_DEP_2)
	v_cmpx_ne_u32_e32 0x7f, v7
	s_cbranch_execz .LBB353_1166
; %bb.1163:                             ;   in Loop: Header=BB353_1069 Depth=1
	v_dual_lshrrev_b32 v5, 3, v7 :: v_dual_bitop2_b32 v26, 7, v6 bitop3:0x40
	s_mov_b32 s17, exec_lo
	s_delay_alu instid0(VALU_DEP_1)
	v_mov_b64_e32 v[22:23], v[26:27]
	v_cmpx_gt_u32_e32 8, v7
; %bb.1164:                             ;   in Loop: Header=BB353_1069 Depth=1
	v_clz_i32_u32_e32 v5, v26
	s_delay_alu instid0(VALU_DEP_1) | instskip(NEXT) | instid1(VALU_DEP_1)
	v_min_u32_e32 v5, 32, v5
	v_subrev_nc_u32_e32 v7, 28, v5
	s_delay_alu instid0(VALU_DEP_1) | instskip(NEXT) | instid1(VALU_DEP_1)
	v_lshlrev_b64_e32 v[8:9], v7, v[26:27]
	v_dual_sub_nc_u32 v5, 29, v5 :: v_dual_bitop2_b32 v22, 7, v8 bitop3:0x40
; %bb.1165:                             ;   in Loop: Header=BB353_1069 Depth=1
	s_or_b32 exec_lo, exec_lo, s17
	v_lshlrev_b32_e32 v6, 24, v6
	s_delay_alu instid0(VALU_DEP_2) | instskip(NEXT) | instid1(VALU_DEP_3)
	v_lshlrev_b32_e32 v7, 20, v22
	v_lshl_add_u32 v5, v5, 23, 0x3c000000
	s_delay_alu instid0(VALU_DEP_3) | instskip(NEXT) | instid1(VALU_DEP_1)
	v_and_b32_e32 v6, 0x80000000, v6
	v_or3_b32 v5, v7, v6, v5
.LBB353_1166:                           ;   in Loop: Header=BB353_1069 Depth=1
	s_or_b32 exec_lo, exec_lo, s16
.LBB353_1167:                           ;   in Loop: Header=BB353_1069 Depth=1
	s_delay_alu instid0(SALU_CYCLE_1)
	s_or_b32 exec_lo, exec_lo, s15
.LBB353_1168:                           ;   in Loop: Header=BB353_1069 Depth=1
	s_delay_alu instid0(SALU_CYCLE_1) | instskip(SKIP_4) | instid1(VALU_DEP_3)
	s_or_b32 exec_lo, exec_lo, s14
	v_and_b32_e32 v8, 0xff, v19
	v_dual_mov_b32 v26, v19 :: v_dual_mov_b32 v7, 0
	v_mov_b32_e32 v6, 0
	s_mov_b32 s14, exec_lo
	v_cmpx_ne_u16_e32 0, v8
	s_cbranch_execz .LBB353_1176
; %bb.1169:                             ;   in Loop: Header=BB353_1069 Depth=1
	v_bfrev_b32_e32 v6, 1
	s_mov_b32 s15, exec_lo
	v_cmpx_ne_u16_e32 0x80, v8
	s_cbranch_execz .LBB353_1175
; %bb.1170:                             ;   in Loop: Header=BB353_1069 Depth=1
	v_and_b32_e32 v8, 0x7f, v19
	v_mov_b32_e32 v6, 0x7f800001
	s_mov_b32 s16, exec_lo
	s_delay_alu instid0(VALU_DEP_2)
	v_cmpx_ne_u32_e32 0x7f, v8
	s_cbranch_execz .LBB353_1174
; %bb.1171:                             ;   in Loop: Header=BB353_1069 Depth=1
	v_mov_b64_e32 v[22:23], v[26:27]
	v_lshrrev_b32_e32 v6, 3, v8
	s_mov_b32 s17, exec_lo
	v_cmpx_gt_u32_e32 8, v8
; %bb.1172:                             ;   in Loop: Header=BB353_1069 Depth=1
	v_and_b32_e32 v6, 7, v19
	s_delay_alu instid0(VALU_DEP_1) | instskip(NEXT) | instid1(VALU_DEP_1)
	v_clz_i32_u32_e32 v6, v6
	v_min_u32_e32 v6, 32, v6
	s_delay_alu instid0(VALU_DEP_1) | instskip(SKIP_1) | instid1(VALU_DEP_2)
	v_subrev_nc_u32_e32 v8, 28, v6
	v_sub_nc_u32_e32 v6, 29, v6
	v_lshlrev_b64_e32 v[22:23], v8, v[26:27]
; %bb.1173:                             ;   in Loop: Header=BB353_1069 Depth=1
	s_or_b32 exec_lo, exec_lo, s17
	s_delay_alu instid0(VALU_DEP_1) | instskip(SKIP_2) | instid1(VALU_DEP_3)
	v_lshlrev_b32_e32 v8, 20, v22
	v_lshlrev_b32_e32 v9, 24, v26
	v_lshl_add_u32 v6, v6, 23, 0x3c000000
	v_and_b32_e32 v8, 0x700000, v8
	s_delay_alu instid0(VALU_DEP_3) | instskip(NEXT) | instid1(VALU_DEP_1)
	v_and_b32_e32 v9, 0x80000000, v9
	v_or3_b32 v6, v8, v9, v6
.LBB353_1174:                           ;   in Loop: Header=BB353_1069 Depth=1
	s_or_b32 exec_lo, exec_lo, s16
.LBB353_1175:                           ;   in Loop: Header=BB353_1069 Depth=1
	s_delay_alu instid0(SALU_CYCLE_1)
	s_or_b32 exec_lo, exec_lo, s15
.LBB353_1176:                           ;   in Loop: Header=BB353_1069 Depth=1
	s_delay_alu instid0(SALU_CYCLE_1) | instskip(SKIP_2) | instid1(VALU_DEP_1)
	s_or_b32 exec_lo, exec_lo, s14
	v_lshrrev_b16 v8, 8, v26
	s_mov_b32 s14, exec_lo
	v_cmpx_ne_u16_e32 0, v8
	s_cbranch_execz .LBB353_1184
; %bb.1177:                             ;   in Loop: Header=BB353_1069 Depth=1
	v_bfrev_b32_e32 v7, 1
	s_mov_b32 s15, exec_lo
	v_cmpx_ne_u16_e32 0x80, v8
	s_cbranch_execz .LBB353_1183
; %bb.1178:                             ;   in Loop: Header=BB353_1069 Depth=1
	v_and_b32_e32 v9, 0xffff, v8
	v_mov_b32_e32 v7, 0x7f800001
	s_mov_b32 s16, exec_lo
	s_delay_alu instid0(VALU_DEP_2) | instskip(NEXT) | instid1(VALU_DEP_1)
	v_and_b32_e32 v8, 0x7f, v9
	v_cmpx_ne_u32_e32 0x7f, v8
	s_cbranch_execz .LBB353_1182
; %bb.1179:                             ;   in Loop: Header=BB353_1069 Depth=1
	v_dual_mov_b32 v23, v27 :: v_dual_bitop2_b32 v22, 7, v9 bitop3:0x40
	v_lshrrev_b32_e32 v7, 3, v8
	s_mov_b32 s17, exec_lo
	v_cmpx_gt_u32_e32 8, v8
; %bb.1180:                             ;   in Loop: Header=BB353_1069 Depth=1
	s_delay_alu instid0(VALU_DEP_3) | instskip(NEXT) | instid1(VALU_DEP_1)
	v_clz_i32_u32_e32 v7, v22
	v_min_u32_e32 v7, 32, v7
	s_delay_alu instid0(VALU_DEP_1) | instskip(NEXT) | instid1(VALU_DEP_1)
	v_subrev_nc_u32_e32 v8, 28, v7
	v_lshlrev_b64_e32 v[8:9], v8, v[22:23]
	s_delay_alu instid0(VALU_DEP_1)
	v_dual_sub_nc_u32 v7, 29, v7 :: v_dual_bitop2_b32 v22, 7, v8 bitop3:0x40
; %bb.1181:                             ;   in Loop: Header=BB353_1069 Depth=1
	s_or_b32 exec_lo, exec_lo, s17
	v_lshlrev_b32_e32 v8, 16, v26
	s_delay_alu instid0(VALU_DEP_2) | instskip(NEXT) | instid1(VALU_DEP_3)
	v_lshlrev_b32_e32 v9, 20, v22
	v_lshl_add_u32 v7, v7, 23, 0x3c000000
	s_delay_alu instid0(VALU_DEP_3) | instskip(NEXT) | instid1(VALU_DEP_1)
	v_and_b32_e32 v8, 0x80000000, v8
	v_or3_b32 v7, v9, v8, v7
.LBB353_1182:                           ;   in Loop: Header=BB353_1069 Depth=1
	s_or_b32 exec_lo, exec_lo, s16
.LBB353_1183:                           ;   in Loop: Header=BB353_1069 Depth=1
	s_delay_alu instid0(SALU_CYCLE_1)
	s_or_b32 exec_lo, exec_lo, s15
.LBB353_1184:                           ;   in Loop: Header=BB353_1069 Depth=1
	s_delay_alu instid0(SALU_CYCLE_1) | instskip(SKIP_3) | instid1(VALU_DEP_2)
	s_or_b32 exec_lo, exec_lo, s14
	v_dual_lshrrev_b32 v24, 16, v19 :: v_dual_mov_b32 v8, 0
	v_mov_b32_e32 v9, 0
	s_mov_b32 s14, exec_lo
	v_and_b32_e32 v22, 0xff, v24
	s_delay_alu instid0(VALU_DEP_1)
	v_cmpx_ne_u16_e32 0, v22
	s_cbranch_execz .LBB353_1192
; %bb.1185:                             ;   in Loop: Header=BB353_1069 Depth=1
	v_bfrev_b32_e32 v9, 1
	s_mov_b32 s15, exec_lo
	v_cmpx_ne_u16_e32 0x80, v22
	s_cbranch_execz .LBB353_1191
; %bb.1186:                             ;   in Loop: Header=BB353_1069 Depth=1
	v_bfe_u32 v22, v19, 16, 7
	v_mov_b32_e32 v9, 0x7f800001
	s_mov_b32 s16, exec_lo
	s_delay_alu instid0(VALU_DEP_2)
	v_cmpx_ne_u32_e32 0x7f, v22
	s_cbranch_execz .LBB353_1190
; %bb.1187:                             ;   in Loop: Header=BB353_1069 Depth=1
	v_dual_lshrrev_b32 v9, 3, v22 :: v_dual_bitop2_b32 v26, 7, v24 bitop3:0x40
	v_cmp_gt_u32_e64 s0, 8, v22
	s_delay_alu instid0(VALU_DEP_2)
	v_mov_b64_e32 v[22:23], v[26:27]
	s_and_saveexec_b32 s17, s0
; %bb.1188:                             ;   in Loop: Header=BB353_1069 Depth=1
	v_clz_i32_u32_e32 v9, v26
	s_delay_alu instid0(VALU_DEP_1) | instskip(NEXT) | instid1(VALU_DEP_1)
	v_min_u32_e32 v9, 32, v9
	v_subrev_nc_u32_e32 v22, 28, v9
	s_delay_alu instid0(VALU_DEP_1) | instskip(NEXT) | instid1(VALU_DEP_1)
	v_lshlrev_b64_e32 v[22:23], v22, v[26:27]
	v_dual_sub_nc_u32 v9, 29, v9 :: v_dual_bitop2_b32 v22, 7, v22 bitop3:0x40
; %bb.1189:                             ;   in Loop: Header=BB353_1069 Depth=1
	s_or_b32 exec_lo, exec_lo, s17
	s_delay_alu instid0(VALU_DEP_1) | instskip(NEXT) | instid1(VALU_DEP_2)
	v_dual_lshlrev_b32 v23, 24, v24 :: v_dual_lshlrev_b32 v22, 20, v22
	v_lshl_add_u32 v9, v9, 23, 0x3c000000
	s_delay_alu instid0(VALU_DEP_2) | instskip(NEXT) | instid1(VALU_DEP_1)
	v_and_b32_e32 v23, 0x80000000, v23
	v_or3_b32 v9, v22, v23, v9
.LBB353_1190:                           ;   in Loop: Header=BB353_1069 Depth=1
	s_or_b32 exec_lo, exec_lo, s16
.LBB353_1191:                           ;   in Loop: Header=BB353_1069 Depth=1
	s_delay_alu instid0(SALU_CYCLE_1)
	s_or_b32 exec_lo, exec_lo, s15
.LBB353_1192:                           ;   in Loop: Header=BB353_1069 Depth=1
	s_delay_alu instid0(SALU_CYCLE_1) | instskip(NEXT) | instid1(SALU_CYCLE_1)
	s_or_b32 exec_lo, exec_lo, s14
	s_mov_b32 s14, exec_lo
	v_cmpx_lt_u64_e64 s[2:3], v[18:19]
	s_cbranch_execz .LBB353_1200
; %bb.1193:                             ;   in Loop: Header=BB353_1069 Depth=1
	v_lshrrev_b32_e32 v22, 24, v19
	v_bfrev_b32_e32 v8, 1
	s_mov_b32 s15, exec_lo
	s_delay_alu instid0(VALU_DEP_2)
	v_cmpx_ne_u32_e32 0x80, v22
	s_cbranch_execz .LBB353_1199
; %bb.1194:                             ;   in Loop: Header=BB353_1069 Depth=1
	v_bfe_u32 v18, v19, 24, 7
	v_mov_b32_e32 v8, 0x7f800001
	s_mov_b32 s16, exec_lo
	s_delay_alu instid0(VALU_DEP_2)
	v_cmpx_ne_u32_e32 0x7f, v18
	s_cbranch_execz .LBB353_1198
; %bb.1195:                             ;   in Loop: Header=BB353_1069 Depth=1
	v_and_b32_e32 v26, 7, v22
	v_lshrrev_b32_e32 v8, 3, v18
	v_cmp_gt_u32_e64 s0, 8, v18
	s_delay_alu instid0(VALU_DEP_3)
	v_mov_b64_e32 v[18:19], v[26:27]
	s_and_saveexec_b32 s17, s0
; %bb.1196:                             ;   in Loop: Header=BB353_1069 Depth=1
	v_clz_i32_u32_e32 v8, v26
	s_delay_alu instid0(VALU_DEP_1) | instskip(NEXT) | instid1(VALU_DEP_1)
	v_min_u32_e32 v8, 32, v8
	v_subrev_nc_u32_e32 v18, 28, v8
	s_delay_alu instid0(VALU_DEP_1) | instskip(NEXT) | instid1(VALU_DEP_1)
	v_lshlrev_b64_e32 v[18:19], v18, v[26:27]
	v_dual_sub_nc_u32 v8, 29, v8 :: v_dual_bitop2_b32 v18, 7, v18 bitop3:0x40
; %bb.1197:                             ;   in Loop: Header=BB353_1069 Depth=1
	s_or_b32 exec_lo, exec_lo, s17
	v_lshlrev_b32_e32 v19, 24, v22
	s_delay_alu instid0(VALU_DEP_2) | instskip(NEXT) | instid1(VALU_DEP_3)
	v_lshlrev_b32_e32 v18, 20, v18
	v_lshl_add_u32 v8, v8, 23, 0x3c000000
	s_delay_alu instid0(VALU_DEP_3) | instskip(NEXT) | instid1(VALU_DEP_1)
	v_and_b32_e32 v19, 0x80000000, v19
	v_or3_b32 v8, v18, v19, v8
.LBB353_1198:                           ;   in Loop: Header=BB353_1069 Depth=1
	s_or_b32 exec_lo, exec_lo, s16
.LBB353_1199:                           ;   in Loop: Header=BB353_1069 Depth=1
	s_delay_alu instid0(SALU_CYCLE_1)
	s_or_b32 exec_lo, exec_lo, s15
.LBB353_1200:                           ;   in Loop: Header=BB353_1069 Depth=1
	s_delay_alu instid0(SALU_CYCLE_1)
	s_or_b32 exec_lo, exec_lo, s14
	v_fma_mixlo_bf16 v2, v86, v2, 0
	v_fma_mixlo_bf16 v7, v86, v7, 0
	;; [unrolled: 1-line block ×5, first 2 shown]
	scratch_store_b32 off, v2, s32 offset:292 ; 4-byte Folded Spill
	s_wait_xcnt 0x0
	v_fma_mixlo_bf16 v2, v86, v9, 0
	s_clause 0x1
	scratch_store_b32 off, v7, s32 offset:260
	scratch_store_b32 off, v6, s32 offset:264
	v_fma_mixlo_bf16 v3, v86, v3, 0
	s_clause 0x1
	scratch_store_b32 off, v5, s32 offset:276
	scratch_store_b32 off, v2, s32 offset:268
	s_wait_xcnt 0x0
	v_fma_mixlo_bf16 v2, v86, v8, 0
	s_clause 0x2
	scratch_store_b32 off, v4, s32 offset:280
	scratch_store_b32 off, v3, s32 offset:284
	;; [unrolled: 1-line block ×3, first 2 shown]
	s_wait_xcnt 0x0
	s_and_saveexec_b32 s14, vcc_lo
	s_cbranch_execz .LBB353_1202
; %bb.1201:                             ;   in Loop: Header=BB353_1069 Depth=1
	s_clause 0x1
	scratch_load_b32 v2, off, s32 offset:192
	scratch_load_b32 v3, off, s32 offset:292
	s_wait_loadcnt 0x1
	v_cmp_lt_i32_e64 s0, v115, v2
	s_wait_loadcnt 0x0
	s_delay_alu instid0(VALU_DEP_1)
	v_cndmask_b32_e64 v3, 0, v3, s0
	v_cmp_lt_i32_e64 s0, v119, v2
	s_clause 0x1
	scratch_store_b32 off, v3, s32 offset:292
	scratch_load_b32 v3, off, s32 offset:284
	s_wait_loadcnt 0x0
	v_cndmask_b32_e64 v3, 0, v3, s0
	v_cmp_lt_i32_e64 s0, v118, v2
	s_clause 0x1
	scratch_store_b32 off, v3, s32 offset:284
	scratch_load_b32 v3, off, s32 offset:280
	s_wait_loadcnt 0x0
	;; [unrolled: 6-line block ×6, first 2 shown]
	v_cndmask_b32_e64 v3, 0, v3, s0
	v_cmp_lt_i32_e64 s0, v112, v2
	scratch_load_b32 v2, off, s32 offset:272 ; 4-byte Folded Reload
	s_wait_loadcnt 0x0
	v_cndmask_b32_e64 v2, 0, v2, s0
	s_clause 0x1
	scratch_store_b32 off, v3, s32 offset:268
	scratch_store_b32 off, v2, s32 offset:272
.LBB353_1202:                           ;   in Loop: Header=BB353_1069 Depth=1
	s_wait_xcnt 0x0
	s_or_b32 exec_lo, exec_lo, s14
	flat_load_b64 v[18:19], v[0:1] offset:512
	v_dual_mov_b32 v3, 0 :: v_dual_mov_b32 v2, 0
	s_mov_b32 s14, exec_lo
	s_wait_loadcnt_dscnt 0x0
	v_and_b32_e32 v4, 0xff, v18
	s_wait_xcnt 0x0
	s_delay_alu instid0(VALU_DEP_1)
	v_cmpx_ne_u16_e32 0, v4
	s_cbranch_execz .LBB353_1210
; %bb.1203:                             ;   in Loop: Header=BB353_1069 Depth=1
	v_bfrev_b32_e32 v2, 1
	s_mov_b32 s15, exec_lo
	v_cmpx_ne_u16_e32 0x80, v4
	s_cbranch_execz .LBB353_1209
; %bb.1204:                             ;   in Loop: Header=BB353_1069 Depth=1
	v_and_b32_e32 v4, 0x7f, v18
	v_mov_b32_e32 v2, 0x7f800001
	s_mov_b32 s16, exec_lo
	s_delay_alu instid0(VALU_DEP_2)
	v_cmpx_ne_u32_e32 0x7f, v4
	s_cbranch_execz .LBB353_1208
; %bb.1205:                             ;   in Loop: Header=BB353_1069 Depth=1
	v_mov_b64_e32 v[22:23], v[18:19]
	v_lshrrev_b32_e32 v2, 3, v4
	s_mov_b32 s17, exec_lo
	v_cmpx_gt_u32_e32 8, v4
; %bb.1206:                             ;   in Loop: Header=BB353_1069 Depth=1
	v_and_b32_e32 v2, 7, v18
	s_delay_alu instid0(VALU_DEP_1) | instskip(NEXT) | instid1(VALU_DEP_1)
	v_clz_i32_u32_e32 v2, v2
	v_min_u32_e32 v2, 32, v2
	s_delay_alu instid0(VALU_DEP_1) | instskip(SKIP_1) | instid1(VALU_DEP_2)
	v_subrev_nc_u32_e32 v4, 28, v2
	v_sub_nc_u32_e32 v2, 29, v2
	v_lshlrev_b64_e32 v[22:23], v4, v[18:19]
; %bb.1207:                             ;   in Loop: Header=BB353_1069 Depth=1
	s_or_b32 exec_lo, exec_lo, s17
	s_delay_alu instid0(VALU_DEP_1) | instskip(SKIP_2) | instid1(VALU_DEP_3)
	v_lshlrev_b32_e32 v4, 20, v22
	v_lshlrev_b32_e32 v5, 24, v18
	v_lshl_add_u32 v2, v2, 23, 0x3c000000
	v_and_b32_e32 v4, 0x700000, v4
	s_delay_alu instid0(VALU_DEP_3) | instskip(NEXT) | instid1(VALU_DEP_1)
	v_and_b32_e32 v5, 0x80000000, v5
	v_or3_b32 v2, v4, v5, v2
.LBB353_1208:                           ;   in Loop: Header=BB353_1069 Depth=1
	s_or_b32 exec_lo, exec_lo, s16
.LBB353_1209:                           ;   in Loop: Header=BB353_1069 Depth=1
	s_delay_alu instid0(SALU_CYCLE_1)
	s_or_b32 exec_lo, exec_lo, s15
.LBB353_1210:                           ;   in Loop: Header=BB353_1069 Depth=1
	s_delay_alu instid0(SALU_CYCLE_1) | instskip(SKIP_2) | instid1(VALU_DEP_1)
	s_or_b32 exec_lo, exec_lo, s14
	v_lshrrev_b16 v4, 8, v18
	s_mov_b32 s14, exec_lo
	v_cmpx_ne_u16_e32 0, v4
	s_cbranch_execz .LBB353_1218
; %bb.1211:                             ;   in Loop: Header=BB353_1069 Depth=1
	v_bfrev_b32_e32 v3, 1
	s_mov_b32 s15, exec_lo
	v_cmpx_ne_u16_e32 0x80, v4
	s_cbranch_execz .LBB353_1217
; %bb.1212:                             ;   in Loop: Header=BB353_1069 Depth=1
	v_and_b32_e32 v5, 0xffff, v4
	v_mov_b32_e32 v3, 0x7f800001
	s_mov_b32 s16, exec_lo
	s_delay_alu instid0(VALU_DEP_2) | instskip(NEXT) | instid1(VALU_DEP_1)
	v_and_b32_e32 v4, 0x7f, v5
	v_cmpx_ne_u32_e32 0x7f, v4
	s_cbranch_execz .LBB353_1216
; %bb.1213:                             ;   in Loop: Header=BB353_1069 Depth=1
	v_dual_lshrrev_b32 v3, 3, v4 :: v_dual_bitop2_b32 v26, 7, v5 bitop3:0x40
	s_mov_b32 s17, exec_lo
	s_delay_alu instid0(VALU_DEP_1)
	v_mov_b64_e32 v[22:23], v[26:27]
	v_cmpx_gt_u32_e32 8, v4
; %bb.1214:                             ;   in Loop: Header=BB353_1069 Depth=1
	v_clz_i32_u32_e32 v3, v26
	s_delay_alu instid0(VALU_DEP_1) | instskip(NEXT) | instid1(VALU_DEP_1)
	v_min_u32_e32 v3, 32, v3
	v_subrev_nc_u32_e32 v4, 28, v3
	s_delay_alu instid0(VALU_DEP_1) | instskip(NEXT) | instid1(VALU_DEP_1)
	v_lshlrev_b64_e32 v[4:5], v4, v[26:27]
	v_dual_sub_nc_u32 v3, 29, v3 :: v_dual_bitop2_b32 v22, 7, v4 bitop3:0x40
; %bb.1215:                             ;   in Loop: Header=BB353_1069 Depth=1
	s_or_b32 exec_lo, exec_lo, s17
	v_lshlrev_b32_e32 v4, 16, v18
	s_delay_alu instid0(VALU_DEP_2) | instskip(NEXT) | instid1(VALU_DEP_3)
	v_lshlrev_b32_e32 v5, 20, v22
	v_lshl_add_u32 v3, v3, 23, 0x3c000000
	s_delay_alu instid0(VALU_DEP_3) | instskip(NEXT) | instid1(VALU_DEP_1)
	v_and_b32_e32 v4, 0x80000000, v4
	v_or3_b32 v3, v5, v4, v3
.LBB353_1216:                           ;   in Loop: Header=BB353_1069 Depth=1
	s_or_b32 exec_lo, exec_lo, s16
.LBB353_1217:                           ;   in Loop: Header=BB353_1069 Depth=1
	s_delay_alu instid0(SALU_CYCLE_1)
	s_or_b32 exec_lo, exec_lo, s15
.LBB353_1218:                           ;   in Loop: Header=BB353_1069 Depth=1
	s_delay_alu instid0(SALU_CYCLE_1) | instskip(SKIP_3) | instid1(VALU_DEP_2)
	s_or_b32 exec_lo, exec_lo, s14
	v_dual_mov_b32 v5, 0 :: v_dual_lshrrev_b32 v6, 16, v18
	v_mov_b32_e32 v4, 0
	s_mov_b32 s14, exec_lo
	v_and_b32_e32 v7, 0xff, v6
	s_delay_alu instid0(VALU_DEP_1)
	v_cmpx_ne_u16_e32 0, v7
	s_cbranch_execz .LBB353_1226
; %bb.1219:                             ;   in Loop: Header=BB353_1069 Depth=1
	v_bfrev_b32_e32 v4, 1
	s_mov_b32 s15, exec_lo
	v_cmpx_ne_u16_e32 0x80, v7
	s_cbranch_execz .LBB353_1225
; %bb.1220:                             ;   in Loop: Header=BB353_1069 Depth=1
	v_bfe_u32 v7, v18, 16, 7
	v_mov_b32_e32 v4, 0x7f800001
	s_mov_b32 s16, exec_lo
	s_delay_alu instid0(VALU_DEP_2)
	v_cmpx_ne_u32_e32 0x7f, v7
	s_cbranch_execz .LBB353_1224
; %bb.1221:                             ;   in Loop: Header=BB353_1069 Depth=1
	v_dual_lshrrev_b32 v4, 3, v7 :: v_dual_bitop2_b32 v26, 7, v6 bitop3:0x40
	s_mov_b32 s17, exec_lo
	s_delay_alu instid0(VALU_DEP_1)
	v_mov_b64_e32 v[22:23], v[26:27]
	v_cmpx_gt_u32_e32 8, v7
; %bb.1222:                             ;   in Loop: Header=BB353_1069 Depth=1
	v_clz_i32_u32_e32 v4, v26
	s_delay_alu instid0(VALU_DEP_1) | instskip(NEXT) | instid1(VALU_DEP_1)
	v_min_u32_e32 v4, 32, v4
	v_subrev_nc_u32_e32 v7, 28, v4
	v_sub_nc_u32_e32 v4, 29, v4
	s_delay_alu instid0(VALU_DEP_2) | instskip(NEXT) | instid1(VALU_DEP_1)
	v_lshlrev_b64_e32 v[8:9], v7, v[26:27]
	v_and_b32_e32 v22, 7, v8
; %bb.1223:                             ;   in Loop: Header=BB353_1069 Depth=1
	s_or_b32 exec_lo, exec_lo, s17
	v_lshlrev_b32_e32 v6, 24, v6
	s_delay_alu instid0(VALU_DEP_2) | instskip(SKIP_1) | instid1(VALU_DEP_3)
	v_lshlrev_b32_e32 v7, 20, v22
	v_lshl_add_u32 v4, v4, 23, 0x3c000000
	v_and_b32_e32 v6, 0x80000000, v6
	s_delay_alu instid0(VALU_DEP_1)
	v_or3_b32 v4, v7, v6, v4
.LBB353_1224:                           ;   in Loop: Header=BB353_1069 Depth=1
	s_or_b32 exec_lo, exec_lo, s16
.LBB353_1225:                           ;   in Loop: Header=BB353_1069 Depth=1
	s_delay_alu instid0(SALU_CYCLE_1)
	s_or_b32 exec_lo, exec_lo, s15
.LBB353_1226:                           ;   in Loop: Header=BB353_1069 Depth=1
	s_delay_alu instid0(SALU_CYCLE_1) | instskip(NEXT) | instid1(SALU_CYCLE_1)
	s_or_b32 exec_lo, exec_lo, s14
	s_mov_b32 s14, exec_lo
	v_cmpx_lt_u32_e32 0xffffff, v18
	s_cbranch_execz .LBB353_1234
; %bb.1227:                             ;   in Loop: Header=BB353_1069 Depth=1
	v_lshrrev_b32_e32 v6, 24, v18
	v_bfrev_b32_e32 v5, 1
	s_mov_b32 s15, exec_lo
	s_delay_alu instid0(VALU_DEP_2)
	v_cmpx_ne_u32_e32 0x80, v6
	s_cbranch_execz .LBB353_1233
; %bb.1228:                             ;   in Loop: Header=BB353_1069 Depth=1
	v_bfe_u32 v7, v18, 24, 7
	v_mov_b32_e32 v5, 0x7f800001
	s_mov_b32 s16, exec_lo
	s_delay_alu instid0(VALU_DEP_2)
	v_cmpx_ne_u32_e32 0x7f, v7
	s_cbranch_execz .LBB353_1232
; %bb.1229:                             ;   in Loop: Header=BB353_1069 Depth=1
	v_dual_lshrrev_b32 v5, 3, v7 :: v_dual_bitop2_b32 v26, 7, v6 bitop3:0x40
	s_mov_b32 s17, exec_lo
	s_delay_alu instid0(VALU_DEP_1)
	v_mov_b64_e32 v[22:23], v[26:27]
	v_cmpx_gt_u32_e32 8, v7
; %bb.1230:                             ;   in Loop: Header=BB353_1069 Depth=1
	v_clz_i32_u32_e32 v5, v26
	s_delay_alu instid0(VALU_DEP_1) | instskip(NEXT) | instid1(VALU_DEP_1)
	v_min_u32_e32 v5, 32, v5
	v_subrev_nc_u32_e32 v7, 28, v5
	s_delay_alu instid0(VALU_DEP_1) | instskip(NEXT) | instid1(VALU_DEP_1)
	v_lshlrev_b64_e32 v[8:9], v7, v[26:27]
	v_dual_sub_nc_u32 v5, 29, v5 :: v_dual_bitop2_b32 v22, 7, v8 bitop3:0x40
; %bb.1231:                             ;   in Loop: Header=BB353_1069 Depth=1
	s_or_b32 exec_lo, exec_lo, s17
	v_lshlrev_b32_e32 v6, 24, v6
	s_delay_alu instid0(VALU_DEP_2) | instskip(NEXT) | instid1(VALU_DEP_3)
	v_lshlrev_b32_e32 v7, 20, v22
	v_lshl_add_u32 v5, v5, 23, 0x3c000000
	s_delay_alu instid0(VALU_DEP_3) | instskip(NEXT) | instid1(VALU_DEP_1)
	v_and_b32_e32 v6, 0x80000000, v6
	v_or3_b32 v5, v7, v6, v5
.LBB353_1232:                           ;   in Loop: Header=BB353_1069 Depth=1
	s_or_b32 exec_lo, exec_lo, s16
.LBB353_1233:                           ;   in Loop: Header=BB353_1069 Depth=1
	s_delay_alu instid0(SALU_CYCLE_1)
	s_or_b32 exec_lo, exec_lo, s15
.LBB353_1234:                           ;   in Loop: Header=BB353_1069 Depth=1
	s_delay_alu instid0(SALU_CYCLE_1) | instskip(SKIP_4) | instid1(VALU_DEP_3)
	s_or_b32 exec_lo, exec_lo, s14
	v_and_b32_e32 v8, 0xff, v19
	v_dual_mov_b32 v26, v19 :: v_dual_mov_b32 v7, 0
	v_mov_b32_e32 v6, 0
	s_mov_b32 s14, exec_lo
	v_cmpx_ne_u16_e32 0, v8
	s_cbranch_execz .LBB353_1242
; %bb.1235:                             ;   in Loop: Header=BB353_1069 Depth=1
	v_bfrev_b32_e32 v6, 1
	s_mov_b32 s15, exec_lo
	v_cmpx_ne_u16_e32 0x80, v8
	s_cbranch_execz .LBB353_1241
; %bb.1236:                             ;   in Loop: Header=BB353_1069 Depth=1
	v_and_b32_e32 v8, 0x7f, v19
	v_mov_b32_e32 v6, 0x7f800001
	s_mov_b32 s16, exec_lo
	s_delay_alu instid0(VALU_DEP_2)
	v_cmpx_ne_u32_e32 0x7f, v8
	s_cbranch_execz .LBB353_1240
; %bb.1237:                             ;   in Loop: Header=BB353_1069 Depth=1
	v_mov_b64_e32 v[22:23], v[26:27]
	v_lshrrev_b32_e32 v6, 3, v8
	s_mov_b32 s17, exec_lo
	v_cmpx_gt_u32_e32 8, v8
; %bb.1238:                             ;   in Loop: Header=BB353_1069 Depth=1
	v_and_b32_e32 v6, 7, v19
	s_delay_alu instid0(VALU_DEP_1) | instskip(NEXT) | instid1(VALU_DEP_1)
	v_clz_i32_u32_e32 v6, v6
	v_min_u32_e32 v6, 32, v6
	s_delay_alu instid0(VALU_DEP_1) | instskip(SKIP_1) | instid1(VALU_DEP_2)
	v_subrev_nc_u32_e32 v8, 28, v6
	v_sub_nc_u32_e32 v6, 29, v6
	v_lshlrev_b64_e32 v[22:23], v8, v[26:27]
; %bb.1239:                             ;   in Loop: Header=BB353_1069 Depth=1
	s_or_b32 exec_lo, exec_lo, s17
	s_delay_alu instid0(VALU_DEP_1) | instskip(SKIP_2) | instid1(VALU_DEP_3)
	v_lshlrev_b32_e32 v8, 20, v22
	v_lshlrev_b32_e32 v9, 24, v26
	v_lshl_add_u32 v6, v6, 23, 0x3c000000
	v_and_b32_e32 v8, 0x700000, v8
	s_delay_alu instid0(VALU_DEP_3) | instskip(NEXT) | instid1(VALU_DEP_1)
	v_and_b32_e32 v9, 0x80000000, v9
	v_or3_b32 v6, v8, v9, v6
.LBB353_1240:                           ;   in Loop: Header=BB353_1069 Depth=1
	s_or_b32 exec_lo, exec_lo, s16
.LBB353_1241:                           ;   in Loop: Header=BB353_1069 Depth=1
	s_delay_alu instid0(SALU_CYCLE_1)
	s_or_b32 exec_lo, exec_lo, s15
.LBB353_1242:                           ;   in Loop: Header=BB353_1069 Depth=1
	s_delay_alu instid0(SALU_CYCLE_1) | instskip(SKIP_2) | instid1(VALU_DEP_1)
	s_or_b32 exec_lo, exec_lo, s14
	v_lshrrev_b16 v8, 8, v26
	s_mov_b32 s14, exec_lo
	v_cmpx_ne_u16_e32 0, v8
	s_cbranch_execz .LBB353_1250
; %bb.1243:                             ;   in Loop: Header=BB353_1069 Depth=1
	v_bfrev_b32_e32 v7, 1
	s_mov_b32 s15, exec_lo
	v_cmpx_ne_u16_e32 0x80, v8
	s_cbranch_execz .LBB353_1249
; %bb.1244:                             ;   in Loop: Header=BB353_1069 Depth=1
	v_and_b32_e32 v9, 0xffff, v8
	v_mov_b32_e32 v7, 0x7f800001
	s_mov_b32 s16, exec_lo
	s_delay_alu instid0(VALU_DEP_2) | instskip(NEXT) | instid1(VALU_DEP_1)
	v_and_b32_e32 v8, 0x7f, v9
	v_cmpx_ne_u32_e32 0x7f, v8
	s_cbranch_execz .LBB353_1248
; %bb.1245:                             ;   in Loop: Header=BB353_1069 Depth=1
	v_dual_mov_b32 v23, v27 :: v_dual_bitop2_b32 v22, 7, v9 bitop3:0x40
	v_lshrrev_b32_e32 v7, 3, v8
	s_mov_b32 s17, exec_lo
	v_cmpx_gt_u32_e32 8, v8
; %bb.1246:                             ;   in Loop: Header=BB353_1069 Depth=1
	s_delay_alu instid0(VALU_DEP_3) | instskip(NEXT) | instid1(VALU_DEP_1)
	v_clz_i32_u32_e32 v7, v22
	v_min_u32_e32 v7, 32, v7
	s_delay_alu instid0(VALU_DEP_1) | instskip(NEXT) | instid1(VALU_DEP_1)
	v_subrev_nc_u32_e32 v8, 28, v7
	v_lshlrev_b64_e32 v[8:9], v8, v[22:23]
	s_delay_alu instid0(VALU_DEP_1)
	v_dual_sub_nc_u32 v7, 29, v7 :: v_dual_bitop2_b32 v22, 7, v8 bitop3:0x40
; %bb.1247:                             ;   in Loop: Header=BB353_1069 Depth=1
	s_or_b32 exec_lo, exec_lo, s17
	v_lshlrev_b32_e32 v8, 16, v26
	s_delay_alu instid0(VALU_DEP_2) | instskip(NEXT) | instid1(VALU_DEP_3)
	v_lshlrev_b32_e32 v9, 20, v22
	v_lshl_add_u32 v7, v7, 23, 0x3c000000
	s_delay_alu instid0(VALU_DEP_3) | instskip(NEXT) | instid1(VALU_DEP_1)
	v_and_b32_e32 v8, 0x80000000, v8
	v_or3_b32 v7, v9, v8, v7
.LBB353_1248:                           ;   in Loop: Header=BB353_1069 Depth=1
	s_or_b32 exec_lo, exec_lo, s16
.LBB353_1249:                           ;   in Loop: Header=BB353_1069 Depth=1
	s_delay_alu instid0(SALU_CYCLE_1)
	s_or_b32 exec_lo, exec_lo, s15
.LBB353_1250:                           ;   in Loop: Header=BB353_1069 Depth=1
	s_delay_alu instid0(SALU_CYCLE_1) | instskip(SKIP_3) | instid1(VALU_DEP_2)
	s_or_b32 exec_lo, exec_lo, s14
	v_dual_lshrrev_b32 v24, 16, v19 :: v_dual_mov_b32 v8, 0
	v_mov_b32_e32 v9, 0
	s_mov_b32 s14, exec_lo
	v_and_b32_e32 v22, 0xff, v24
	s_delay_alu instid0(VALU_DEP_1)
	v_cmpx_ne_u16_e32 0, v22
	s_cbranch_execz .LBB353_1258
; %bb.1251:                             ;   in Loop: Header=BB353_1069 Depth=1
	v_bfrev_b32_e32 v9, 1
	s_mov_b32 s15, exec_lo
	v_cmpx_ne_u16_e32 0x80, v22
	s_cbranch_execz .LBB353_1257
; %bb.1252:                             ;   in Loop: Header=BB353_1069 Depth=1
	v_bfe_u32 v22, v19, 16, 7
	v_mov_b32_e32 v9, 0x7f800001
	s_mov_b32 s16, exec_lo
	s_delay_alu instid0(VALU_DEP_2)
	v_cmpx_ne_u32_e32 0x7f, v22
	s_cbranch_execz .LBB353_1256
; %bb.1253:                             ;   in Loop: Header=BB353_1069 Depth=1
	v_dual_lshrrev_b32 v9, 3, v22 :: v_dual_bitop2_b32 v26, 7, v24 bitop3:0x40
	v_cmp_gt_u32_e64 s0, 8, v22
	s_delay_alu instid0(VALU_DEP_2)
	v_mov_b64_e32 v[22:23], v[26:27]
	s_and_saveexec_b32 s17, s0
; %bb.1254:                             ;   in Loop: Header=BB353_1069 Depth=1
	v_clz_i32_u32_e32 v9, v26
	s_delay_alu instid0(VALU_DEP_1) | instskip(NEXT) | instid1(VALU_DEP_1)
	v_min_u32_e32 v9, 32, v9
	v_subrev_nc_u32_e32 v22, 28, v9
	s_delay_alu instid0(VALU_DEP_1) | instskip(NEXT) | instid1(VALU_DEP_1)
	v_lshlrev_b64_e32 v[22:23], v22, v[26:27]
	v_dual_sub_nc_u32 v9, 29, v9 :: v_dual_bitop2_b32 v22, 7, v22 bitop3:0x40
; %bb.1255:                             ;   in Loop: Header=BB353_1069 Depth=1
	s_or_b32 exec_lo, exec_lo, s17
	s_delay_alu instid0(VALU_DEP_1) | instskip(NEXT) | instid1(VALU_DEP_2)
	v_dual_lshlrev_b32 v23, 24, v24 :: v_dual_lshlrev_b32 v22, 20, v22
	v_lshl_add_u32 v9, v9, 23, 0x3c000000
	s_delay_alu instid0(VALU_DEP_2) | instskip(NEXT) | instid1(VALU_DEP_1)
	v_and_b32_e32 v23, 0x80000000, v23
	v_or3_b32 v9, v22, v23, v9
.LBB353_1256:                           ;   in Loop: Header=BB353_1069 Depth=1
	s_or_b32 exec_lo, exec_lo, s16
.LBB353_1257:                           ;   in Loop: Header=BB353_1069 Depth=1
	s_delay_alu instid0(SALU_CYCLE_1)
	s_or_b32 exec_lo, exec_lo, s15
.LBB353_1258:                           ;   in Loop: Header=BB353_1069 Depth=1
	s_delay_alu instid0(SALU_CYCLE_1) | instskip(NEXT) | instid1(SALU_CYCLE_1)
	s_or_b32 exec_lo, exec_lo, s14
	s_mov_b32 s14, exec_lo
	v_cmpx_lt_u64_e64 s[2:3], v[18:19]
	s_cbranch_execz .LBB353_1266
; %bb.1259:                             ;   in Loop: Header=BB353_1069 Depth=1
	v_lshrrev_b32_e32 v22, 24, v19
	v_bfrev_b32_e32 v8, 1
	s_mov_b32 s15, exec_lo
	s_delay_alu instid0(VALU_DEP_2)
	v_cmpx_ne_u32_e32 0x80, v22
	s_cbranch_execz .LBB353_1265
; %bb.1260:                             ;   in Loop: Header=BB353_1069 Depth=1
	v_bfe_u32 v18, v19, 24, 7
	v_mov_b32_e32 v8, 0x7f800001
	s_mov_b32 s16, exec_lo
	s_delay_alu instid0(VALU_DEP_2)
	v_cmpx_ne_u32_e32 0x7f, v18
	s_cbranch_execz .LBB353_1264
; %bb.1261:                             ;   in Loop: Header=BB353_1069 Depth=1
	v_and_b32_e32 v26, 7, v22
	v_lshrrev_b32_e32 v8, 3, v18
	v_cmp_gt_u32_e64 s0, 8, v18
	s_delay_alu instid0(VALU_DEP_3)
	v_mov_b64_e32 v[18:19], v[26:27]
	s_and_saveexec_b32 s17, s0
; %bb.1262:                             ;   in Loop: Header=BB353_1069 Depth=1
	v_clz_i32_u32_e32 v8, v26
	s_delay_alu instid0(VALU_DEP_1) | instskip(NEXT) | instid1(VALU_DEP_1)
	v_min_u32_e32 v8, 32, v8
	v_subrev_nc_u32_e32 v18, 28, v8
	s_delay_alu instid0(VALU_DEP_1) | instskip(NEXT) | instid1(VALU_DEP_1)
	v_lshlrev_b64_e32 v[18:19], v18, v[26:27]
	v_dual_sub_nc_u32 v8, 29, v8 :: v_dual_bitop2_b32 v18, 7, v18 bitop3:0x40
; %bb.1263:                             ;   in Loop: Header=BB353_1069 Depth=1
	s_or_b32 exec_lo, exec_lo, s17
	v_lshlrev_b32_e32 v19, 24, v22
	s_delay_alu instid0(VALU_DEP_2) | instskip(NEXT) | instid1(VALU_DEP_3)
	v_lshlrev_b32_e32 v18, 20, v18
	v_lshl_add_u32 v8, v8, 23, 0x3c000000
	s_delay_alu instid0(VALU_DEP_3) | instskip(NEXT) | instid1(VALU_DEP_1)
	v_and_b32_e32 v19, 0x80000000, v19
	v_or3_b32 v8, v18, v19, v8
.LBB353_1264:                           ;   in Loop: Header=BB353_1069 Depth=1
	s_or_b32 exec_lo, exec_lo, s16
.LBB353_1265:                           ;   in Loop: Header=BB353_1069 Depth=1
	s_delay_alu instid0(SALU_CYCLE_1)
	s_or_b32 exec_lo, exec_lo, s15
.LBB353_1266:                           ;   in Loop: Header=BB353_1069 Depth=1
	s_delay_alu instid0(SALU_CYCLE_1)
	s_or_b32 exec_lo, exec_lo, s14
	v_fma_mixlo_bf16 v2, v86, v2, 0
	v_fma_mixlo_bf16 v7, v86, v7, 0
	;; [unrolled: 1-line block ×5, first 2 shown]
	scratch_store_b32 off, v2, s32 offset:348 ; 4-byte Folded Spill
	s_wait_xcnt 0x0
	v_fma_mixlo_bf16 v2, v86, v9, 0
	s_clause 0x1
	scratch_store_b32 off, v7, s32 offset:296
	scratch_store_b32 off, v6, s32 offset:300
	v_fma_mixlo_bf16 v3, v86, v3, 0
	s_clause 0x1
	scratch_store_b32 off, v5, s32 offset:324
	scratch_store_b32 off, v2, s32 offset:308
	s_wait_xcnt 0x0
	v_fma_mixlo_bf16 v2, v86, v8, 0
	s_clause 0x2
	scratch_store_b32 off, v4, s32 offset:332
	scratch_store_b32 off, v3, s32 offset:340
	;; [unrolled: 1-line block ×3, first 2 shown]
	s_wait_xcnt 0x0
	s_and_saveexec_b32 s14, vcc_lo
	s_cbranch_execz .LBB353_1268
; %bb.1267:                             ;   in Loop: Header=BB353_1069 Depth=1
	s_clause 0x1
	scratch_load_b32 v2, off, s32 offset:192
	scratch_load_b32 v3, off, s32 offset:348
	s_wait_loadcnt 0x1
	v_cmp_lt_i32_e64 s0, v115, v2
	s_wait_loadcnt 0x0
	s_delay_alu instid0(VALU_DEP_1)
	v_cndmask_b32_e64 v3, 0, v3, s0
	v_cmp_lt_i32_e64 s0, v119, v2
	s_clause 0x1
	scratch_store_b32 off, v3, s32 offset:348
	scratch_load_b32 v3, off, s32 offset:340
	s_wait_loadcnt 0x0
	v_cndmask_b32_e64 v3, 0, v3, s0
	v_cmp_lt_i32_e64 s0, v118, v2
	s_clause 0x1
	scratch_store_b32 off, v3, s32 offset:340
	scratch_load_b32 v3, off, s32 offset:332
	s_wait_loadcnt 0x0
	;; [unrolled: 6-line block ×6, first 2 shown]
	v_cndmask_b32_e64 v3, 0, v3, s0
	v_cmp_lt_i32_e64 s0, v112, v2
	scratch_load_b32 v2, off, s32 offset:316 ; 4-byte Folded Reload
	s_wait_loadcnt 0x0
	v_cndmask_b32_e64 v2, 0, v2, s0
	s_clause 0x1
	scratch_store_b32 off, v3, s32 offset:308
	scratch_store_b32 off, v2, s32 offset:316
.LBB353_1268:                           ;   in Loop: Header=BB353_1069 Depth=1
	s_wait_xcnt 0x0
	s_or_b32 exec_lo, exec_lo, s14
	flat_load_b64 v[18:19], v[0:1] offset:768
	v_dual_mov_b32 v3, 0 :: v_dual_mov_b32 v2, 0
	s_mov_b32 s14, exec_lo
	s_wait_loadcnt_dscnt 0x0
	v_and_b32_e32 v4, 0xff, v18
	s_wait_xcnt 0x0
	s_delay_alu instid0(VALU_DEP_1)
	v_cmpx_ne_u16_e32 0, v4
	s_cbranch_execz .LBB353_1276
; %bb.1269:                             ;   in Loop: Header=BB353_1069 Depth=1
	v_bfrev_b32_e32 v2, 1
	s_mov_b32 s15, exec_lo
	v_cmpx_ne_u16_e32 0x80, v4
	s_cbranch_execz .LBB353_1275
; %bb.1270:                             ;   in Loop: Header=BB353_1069 Depth=1
	v_and_b32_e32 v4, 0x7f, v18
	v_mov_b32_e32 v2, 0x7f800001
	s_mov_b32 s16, exec_lo
	s_delay_alu instid0(VALU_DEP_2)
	v_cmpx_ne_u32_e32 0x7f, v4
	s_cbranch_execz .LBB353_1274
; %bb.1271:                             ;   in Loop: Header=BB353_1069 Depth=1
	v_mov_b64_e32 v[22:23], v[18:19]
	v_lshrrev_b32_e32 v2, 3, v4
	s_mov_b32 s17, exec_lo
	v_cmpx_gt_u32_e32 8, v4
; %bb.1272:                             ;   in Loop: Header=BB353_1069 Depth=1
	v_and_b32_e32 v2, 7, v18
	s_delay_alu instid0(VALU_DEP_1) | instskip(NEXT) | instid1(VALU_DEP_1)
	v_clz_i32_u32_e32 v2, v2
	v_min_u32_e32 v2, 32, v2
	s_delay_alu instid0(VALU_DEP_1) | instskip(SKIP_1) | instid1(VALU_DEP_2)
	v_subrev_nc_u32_e32 v4, 28, v2
	v_sub_nc_u32_e32 v2, 29, v2
	v_lshlrev_b64_e32 v[22:23], v4, v[18:19]
; %bb.1273:                             ;   in Loop: Header=BB353_1069 Depth=1
	s_or_b32 exec_lo, exec_lo, s17
	s_delay_alu instid0(VALU_DEP_1) | instskip(SKIP_2) | instid1(VALU_DEP_3)
	v_lshlrev_b32_e32 v4, 20, v22
	v_lshlrev_b32_e32 v5, 24, v18
	v_lshl_add_u32 v2, v2, 23, 0x3c000000
	v_and_b32_e32 v4, 0x700000, v4
	s_delay_alu instid0(VALU_DEP_3) | instskip(NEXT) | instid1(VALU_DEP_1)
	v_and_b32_e32 v5, 0x80000000, v5
	v_or3_b32 v2, v4, v5, v2
.LBB353_1274:                           ;   in Loop: Header=BB353_1069 Depth=1
	s_or_b32 exec_lo, exec_lo, s16
.LBB353_1275:                           ;   in Loop: Header=BB353_1069 Depth=1
	s_delay_alu instid0(SALU_CYCLE_1)
	s_or_b32 exec_lo, exec_lo, s15
.LBB353_1276:                           ;   in Loop: Header=BB353_1069 Depth=1
	s_delay_alu instid0(SALU_CYCLE_1) | instskip(SKIP_2) | instid1(VALU_DEP_1)
	s_or_b32 exec_lo, exec_lo, s14
	v_lshrrev_b16 v4, 8, v18
	s_mov_b32 s14, exec_lo
	v_cmpx_ne_u16_e32 0, v4
	s_cbranch_execz .LBB353_1284
; %bb.1277:                             ;   in Loop: Header=BB353_1069 Depth=1
	v_bfrev_b32_e32 v3, 1
	s_mov_b32 s15, exec_lo
	v_cmpx_ne_u16_e32 0x80, v4
	s_cbranch_execz .LBB353_1283
; %bb.1278:                             ;   in Loop: Header=BB353_1069 Depth=1
	v_and_b32_e32 v5, 0xffff, v4
	v_mov_b32_e32 v3, 0x7f800001
	s_mov_b32 s16, exec_lo
	s_delay_alu instid0(VALU_DEP_2) | instskip(NEXT) | instid1(VALU_DEP_1)
	v_and_b32_e32 v4, 0x7f, v5
	v_cmpx_ne_u32_e32 0x7f, v4
	s_cbranch_execz .LBB353_1282
; %bb.1279:                             ;   in Loop: Header=BB353_1069 Depth=1
	v_dual_lshrrev_b32 v3, 3, v4 :: v_dual_bitop2_b32 v26, 7, v5 bitop3:0x40
	s_mov_b32 s17, exec_lo
	s_delay_alu instid0(VALU_DEP_1)
	v_mov_b64_e32 v[22:23], v[26:27]
	v_cmpx_gt_u32_e32 8, v4
; %bb.1280:                             ;   in Loop: Header=BB353_1069 Depth=1
	v_clz_i32_u32_e32 v3, v26
	s_delay_alu instid0(VALU_DEP_1) | instskip(NEXT) | instid1(VALU_DEP_1)
	v_min_u32_e32 v3, 32, v3
	v_subrev_nc_u32_e32 v4, 28, v3
	s_delay_alu instid0(VALU_DEP_1) | instskip(NEXT) | instid1(VALU_DEP_1)
	v_lshlrev_b64_e32 v[4:5], v4, v[26:27]
	v_dual_sub_nc_u32 v3, 29, v3 :: v_dual_bitop2_b32 v22, 7, v4 bitop3:0x40
; %bb.1281:                             ;   in Loop: Header=BB353_1069 Depth=1
	s_or_b32 exec_lo, exec_lo, s17
	v_lshlrev_b32_e32 v4, 16, v18
	s_delay_alu instid0(VALU_DEP_2) | instskip(NEXT) | instid1(VALU_DEP_3)
	v_lshlrev_b32_e32 v5, 20, v22
	v_lshl_add_u32 v3, v3, 23, 0x3c000000
	s_delay_alu instid0(VALU_DEP_3) | instskip(NEXT) | instid1(VALU_DEP_1)
	v_and_b32_e32 v4, 0x80000000, v4
	v_or3_b32 v3, v5, v4, v3
.LBB353_1282:                           ;   in Loop: Header=BB353_1069 Depth=1
	s_or_b32 exec_lo, exec_lo, s16
.LBB353_1283:                           ;   in Loop: Header=BB353_1069 Depth=1
	s_delay_alu instid0(SALU_CYCLE_1)
	s_or_b32 exec_lo, exec_lo, s15
.LBB353_1284:                           ;   in Loop: Header=BB353_1069 Depth=1
	s_delay_alu instid0(SALU_CYCLE_1) | instskip(SKIP_3) | instid1(VALU_DEP_2)
	s_or_b32 exec_lo, exec_lo, s14
	v_dual_mov_b32 v5, 0 :: v_dual_lshrrev_b32 v6, 16, v18
	v_mov_b32_e32 v4, 0
	s_mov_b32 s14, exec_lo
	v_and_b32_e32 v7, 0xff, v6
	s_delay_alu instid0(VALU_DEP_1)
	v_cmpx_ne_u16_e32 0, v7
	s_cbranch_execz .LBB353_1292
; %bb.1285:                             ;   in Loop: Header=BB353_1069 Depth=1
	v_bfrev_b32_e32 v4, 1
	s_mov_b32 s15, exec_lo
	v_cmpx_ne_u16_e32 0x80, v7
	s_cbranch_execz .LBB353_1291
; %bb.1286:                             ;   in Loop: Header=BB353_1069 Depth=1
	v_bfe_u32 v7, v18, 16, 7
	v_mov_b32_e32 v4, 0x7f800001
	s_mov_b32 s16, exec_lo
	s_delay_alu instid0(VALU_DEP_2)
	v_cmpx_ne_u32_e32 0x7f, v7
	s_cbranch_execz .LBB353_1290
; %bb.1287:                             ;   in Loop: Header=BB353_1069 Depth=1
	v_dual_lshrrev_b32 v4, 3, v7 :: v_dual_bitop2_b32 v26, 7, v6 bitop3:0x40
	s_mov_b32 s17, exec_lo
	s_delay_alu instid0(VALU_DEP_1)
	v_mov_b64_e32 v[22:23], v[26:27]
	v_cmpx_gt_u32_e32 8, v7
; %bb.1288:                             ;   in Loop: Header=BB353_1069 Depth=1
	v_clz_i32_u32_e32 v4, v26
	s_delay_alu instid0(VALU_DEP_1) | instskip(NEXT) | instid1(VALU_DEP_1)
	v_min_u32_e32 v4, 32, v4
	v_subrev_nc_u32_e32 v7, 28, v4
	v_sub_nc_u32_e32 v4, 29, v4
	s_delay_alu instid0(VALU_DEP_2) | instskip(NEXT) | instid1(VALU_DEP_1)
	v_lshlrev_b64_e32 v[8:9], v7, v[26:27]
	v_and_b32_e32 v22, 7, v8
; %bb.1289:                             ;   in Loop: Header=BB353_1069 Depth=1
	s_or_b32 exec_lo, exec_lo, s17
	v_lshlrev_b32_e32 v6, 24, v6
	s_delay_alu instid0(VALU_DEP_2) | instskip(SKIP_1) | instid1(VALU_DEP_3)
	v_lshlrev_b32_e32 v7, 20, v22
	v_lshl_add_u32 v4, v4, 23, 0x3c000000
	v_and_b32_e32 v6, 0x80000000, v6
	s_delay_alu instid0(VALU_DEP_1)
	v_or3_b32 v4, v7, v6, v4
.LBB353_1290:                           ;   in Loop: Header=BB353_1069 Depth=1
	s_or_b32 exec_lo, exec_lo, s16
.LBB353_1291:                           ;   in Loop: Header=BB353_1069 Depth=1
	s_delay_alu instid0(SALU_CYCLE_1)
	s_or_b32 exec_lo, exec_lo, s15
.LBB353_1292:                           ;   in Loop: Header=BB353_1069 Depth=1
	s_delay_alu instid0(SALU_CYCLE_1) | instskip(NEXT) | instid1(SALU_CYCLE_1)
	s_or_b32 exec_lo, exec_lo, s14
	s_mov_b32 s14, exec_lo
	v_cmpx_lt_u32_e32 0xffffff, v18
	s_cbranch_execz .LBB353_1300
; %bb.1293:                             ;   in Loop: Header=BB353_1069 Depth=1
	v_lshrrev_b32_e32 v6, 24, v18
	v_bfrev_b32_e32 v5, 1
	s_mov_b32 s15, exec_lo
	s_delay_alu instid0(VALU_DEP_2)
	v_cmpx_ne_u32_e32 0x80, v6
	s_cbranch_execz .LBB353_1299
; %bb.1294:                             ;   in Loop: Header=BB353_1069 Depth=1
	v_bfe_u32 v7, v18, 24, 7
	v_mov_b32_e32 v5, 0x7f800001
	s_mov_b32 s16, exec_lo
	s_delay_alu instid0(VALU_DEP_2)
	v_cmpx_ne_u32_e32 0x7f, v7
	s_cbranch_execz .LBB353_1298
; %bb.1295:                             ;   in Loop: Header=BB353_1069 Depth=1
	v_dual_lshrrev_b32 v5, 3, v7 :: v_dual_bitop2_b32 v26, 7, v6 bitop3:0x40
	s_mov_b32 s17, exec_lo
	s_delay_alu instid0(VALU_DEP_1)
	v_mov_b64_e32 v[22:23], v[26:27]
	v_cmpx_gt_u32_e32 8, v7
; %bb.1296:                             ;   in Loop: Header=BB353_1069 Depth=1
	v_clz_i32_u32_e32 v5, v26
	s_delay_alu instid0(VALU_DEP_1) | instskip(NEXT) | instid1(VALU_DEP_1)
	v_min_u32_e32 v5, 32, v5
	v_subrev_nc_u32_e32 v7, 28, v5
	s_delay_alu instid0(VALU_DEP_1) | instskip(NEXT) | instid1(VALU_DEP_1)
	v_lshlrev_b64_e32 v[8:9], v7, v[26:27]
	v_dual_sub_nc_u32 v5, 29, v5 :: v_dual_bitop2_b32 v22, 7, v8 bitop3:0x40
; %bb.1297:                             ;   in Loop: Header=BB353_1069 Depth=1
	s_or_b32 exec_lo, exec_lo, s17
	v_lshlrev_b32_e32 v6, 24, v6
	s_delay_alu instid0(VALU_DEP_2) | instskip(NEXT) | instid1(VALU_DEP_3)
	v_lshlrev_b32_e32 v7, 20, v22
	v_lshl_add_u32 v5, v5, 23, 0x3c000000
	s_delay_alu instid0(VALU_DEP_3) | instskip(NEXT) | instid1(VALU_DEP_1)
	v_and_b32_e32 v6, 0x80000000, v6
	v_or3_b32 v5, v7, v6, v5
.LBB353_1298:                           ;   in Loop: Header=BB353_1069 Depth=1
	s_or_b32 exec_lo, exec_lo, s16
.LBB353_1299:                           ;   in Loop: Header=BB353_1069 Depth=1
	s_delay_alu instid0(SALU_CYCLE_1)
	s_or_b32 exec_lo, exec_lo, s15
.LBB353_1300:                           ;   in Loop: Header=BB353_1069 Depth=1
	s_delay_alu instid0(SALU_CYCLE_1) | instskip(SKIP_4) | instid1(VALU_DEP_3)
	s_or_b32 exec_lo, exec_lo, s14
	v_and_b32_e32 v8, 0xff, v19
	v_dual_mov_b32 v26, v19 :: v_dual_mov_b32 v7, 0
	v_mov_b32_e32 v6, 0
	s_mov_b32 s14, exec_lo
	v_cmpx_ne_u16_e32 0, v8
	s_cbranch_execz .LBB353_1308
; %bb.1301:                             ;   in Loop: Header=BB353_1069 Depth=1
	v_bfrev_b32_e32 v6, 1
	s_mov_b32 s15, exec_lo
	v_cmpx_ne_u16_e32 0x80, v8
	s_cbranch_execz .LBB353_1307
; %bb.1302:                             ;   in Loop: Header=BB353_1069 Depth=1
	v_and_b32_e32 v8, 0x7f, v19
	v_mov_b32_e32 v6, 0x7f800001
	s_mov_b32 s16, exec_lo
	s_delay_alu instid0(VALU_DEP_2)
	v_cmpx_ne_u32_e32 0x7f, v8
	s_cbranch_execz .LBB353_1306
; %bb.1303:                             ;   in Loop: Header=BB353_1069 Depth=1
	v_mov_b64_e32 v[22:23], v[26:27]
	v_lshrrev_b32_e32 v6, 3, v8
	s_mov_b32 s17, exec_lo
	v_cmpx_gt_u32_e32 8, v8
; %bb.1304:                             ;   in Loop: Header=BB353_1069 Depth=1
	v_and_b32_e32 v6, 7, v19
	s_delay_alu instid0(VALU_DEP_1) | instskip(NEXT) | instid1(VALU_DEP_1)
	v_clz_i32_u32_e32 v6, v6
	v_min_u32_e32 v6, 32, v6
	s_delay_alu instid0(VALU_DEP_1) | instskip(SKIP_1) | instid1(VALU_DEP_2)
	v_subrev_nc_u32_e32 v8, 28, v6
	v_sub_nc_u32_e32 v6, 29, v6
	v_lshlrev_b64_e32 v[22:23], v8, v[26:27]
; %bb.1305:                             ;   in Loop: Header=BB353_1069 Depth=1
	s_or_b32 exec_lo, exec_lo, s17
	s_delay_alu instid0(VALU_DEP_1) | instskip(SKIP_2) | instid1(VALU_DEP_3)
	v_lshlrev_b32_e32 v8, 20, v22
	v_lshlrev_b32_e32 v9, 24, v26
	v_lshl_add_u32 v6, v6, 23, 0x3c000000
	v_and_b32_e32 v8, 0x700000, v8
	s_delay_alu instid0(VALU_DEP_3) | instskip(NEXT) | instid1(VALU_DEP_1)
	v_and_b32_e32 v9, 0x80000000, v9
	v_or3_b32 v6, v8, v9, v6
.LBB353_1306:                           ;   in Loop: Header=BB353_1069 Depth=1
	s_or_b32 exec_lo, exec_lo, s16
.LBB353_1307:                           ;   in Loop: Header=BB353_1069 Depth=1
	s_delay_alu instid0(SALU_CYCLE_1)
	s_or_b32 exec_lo, exec_lo, s15
.LBB353_1308:                           ;   in Loop: Header=BB353_1069 Depth=1
	s_delay_alu instid0(SALU_CYCLE_1) | instskip(SKIP_2) | instid1(VALU_DEP_1)
	s_or_b32 exec_lo, exec_lo, s14
	v_lshrrev_b16 v8, 8, v26
	s_mov_b32 s14, exec_lo
	v_cmpx_ne_u16_e32 0, v8
	s_cbranch_execz .LBB353_1316
; %bb.1309:                             ;   in Loop: Header=BB353_1069 Depth=1
	v_bfrev_b32_e32 v7, 1
	s_mov_b32 s15, exec_lo
	v_cmpx_ne_u16_e32 0x80, v8
	s_cbranch_execz .LBB353_1315
; %bb.1310:                             ;   in Loop: Header=BB353_1069 Depth=1
	v_and_b32_e32 v9, 0xffff, v8
	v_mov_b32_e32 v7, 0x7f800001
	s_mov_b32 s16, exec_lo
	s_delay_alu instid0(VALU_DEP_2) | instskip(NEXT) | instid1(VALU_DEP_1)
	v_and_b32_e32 v8, 0x7f, v9
	v_cmpx_ne_u32_e32 0x7f, v8
	s_cbranch_execz .LBB353_1314
; %bb.1311:                             ;   in Loop: Header=BB353_1069 Depth=1
	v_dual_mov_b32 v23, v27 :: v_dual_bitop2_b32 v22, 7, v9 bitop3:0x40
	v_lshrrev_b32_e32 v7, 3, v8
	s_mov_b32 s17, exec_lo
	v_cmpx_gt_u32_e32 8, v8
; %bb.1312:                             ;   in Loop: Header=BB353_1069 Depth=1
	s_delay_alu instid0(VALU_DEP_3) | instskip(NEXT) | instid1(VALU_DEP_1)
	v_clz_i32_u32_e32 v7, v22
	v_min_u32_e32 v7, 32, v7
	s_delay_alu instid0(VALU_DEP_1) | instskip(NEXT) | instid1(VALU_DEP_1)
	v_subrev_nc_u32_e32 v8, 28, v7
	v_lshlrev_b64_e32 v[8:9], v8, v[22:23]
	s_delay_alu instid0(VALU_DEP_1)
	v_dual_sub_nc_u32 v7, 29, v7 :: v_dual_bitop2_b32 v22, 7, v8 bitop3:0x40
; %bb.1313:                             ;   in Loop: Header=BB353_1069 Depth=1
	s_or_b32 exec_lo, exec_lo, s17
	v_lshlrev_b32_e32 v8, 16, v26
	s_delay_alu instid0(VALU_DEP_2) | instskip(NEXT) | instid1(VALU_DEP_3)
	v_lshlrev_b32_e32 v9, 20, v22
	v_lshl_add_u32 v7, v7, 23, 0x3c000000
	s_delay_alu instid0(VALU_DEP_3) | instskip(NEXT) | instid1(VALU_DEP_1)
	v_and_b32_e32 v8, 0x80000000, v8
	v_or3_b32 v7, v9, v8, v7
.LBB353_1314:                           ;   in Loop: Header=BB353_1069 Depth=1
	s_or_b32 exec_lo, exec_lo, s16
.LBB353_1315:                           ;   in Loop: Header=BB353_1069 Depth=1
	s_delay_alu instid0(SALU_CYCLE_1)
	s_or_b32 exec_lo, exec_lo, s15
.LBB353_1316:                           ;   in Loop: Header=BB353_1069 Depth=1
	s_delay_alu instid0(SALU_CYCLE_1) | instskip(SKIP_3) | instid1(VALU_DEP_2)
	s_or_b32 exec_lo, exec_lo, s14
	v_dual_lshrrev_b32 v24, 16, v19 :: v_dual_mov_b32 v8, 0
	v_mov_b32_e32 v9, 0
	s_mov_b32 s14, exec_lo
	v_and_b32_e32 v22, 0xff, v24
	s_delay_alu instid0(VALU_DEP_1)
	v_cmpx_ne_u16_e32 0, v22
	s_cbranch_execz .LBB353_1324
; %bb.1317:                             ;   in Loop: Header=BB353_1069 Depth=1
	v_bfrev_b32_e32 v9, 1
	s_mov_b32 s15, exec_lo
	v_cmpx_ne_u16_e32 0x80, v22
	s_cbranch_execz .LBB353_1323
; %bb.1318:                             ;   in Loop: Header=BB353_1069 Depth=1
	v_bfe_u32 v22, v19, 16, 7
	v_mov_b32_e32 v9, 0x7f800001
	s_mov_b32 s16, exec_lo
	s_delay_alu instid0(VALU_DEP_2)
	v_cmpx_ne_u32_e32 0x7f, v22
	s_cbranch_execz .LBB353_1322
; %bb.1319:                             ;   in Loop: Header=BB353_1069 Depth=1
	v_dual_lshrrev_b32 v9, 3, v22 :: v_dual_bitop2_b32 v26, 7, v24 bitop3:0x40
	v_cmp_gt_u32_e64 s0, 8, v22
	s_delay_alu instid0(VALU_DEP_2)
	v_mov_b64_e32 v[22:23], v[26:27]
	s_and_saveexec_b32 s17, s0
; %bb.1320:                             ;   in Loop: Header=BB353_1069 Depth=1
	v_clz_i32_u32_e32 v9, v26
	s_delay_alu instid0(VALU_DEP_1) | instskip(NEXT) | instid1(VALU_DEP_1)
	v_min_u32_e32 v9, 32, v9
	v_subrev_nc_u32_e32 v22, 28, v9
	s_delay_alu instid0(VALU_DEP_1) | instskip(NEXT) | instid1(VALU_DEP_1)
	v_lshlrev_b64_e32 v[22:23], v22, v[26:27]
	v_dual_sub_nc_u32 v9, 29, v9 :: v_dual_bitop2_b32 v22, 7, v22 bitop3:0x40
; %bb.1321:                             ;   in Loop: Header=BB353_1069 Depth=1
	s_or_b32 exec_lo, exec_lo, s17
	s_delay_alu instid0(VALU_DEP_1) | instskip(NEXT) | instid1(VALU_DEP_2)
	v_dual_lshlrev_b32 v23, 24, v24 :: v_dual_lshlrev_b32 v22, 20, v22
	v_lshl_add_u32 v9, v9, 23, 0x3c000000
	s_delay_alu instid0(VALU_DEP_2) | instskip(NEXT) | instid1(VALU_DEP_1)
	v_and_b32_e32 v23, 0x80000000, v23
	v_or3_b32 v9, v22, v23, v9
.LBB353_1322:                           ;   in Loop: Header=BB353_1069 Depth=1
	s_or_b32 exec_lo, exec_lo, s16
.LBB353_1323:                           ;   in Loop: Header=BB353_1069 Depth=1
	s_delay_alu instid0(SALU_CYCLE_1)
	s_or_b32 exec_lo, exec_lo, s15
.LBB353_1324:                           ;   in Loop: Header=BB353_1069 Depth=1
	s_delay_alu instid0(SALU_CYCLE_1) | instskip(NEXT) | instid1(SALU_CYCLE_1)
	s_or_b32 exec_lo, exec_lo, s14
	s_mov_b32 s14, exec_lo
	v_cmpx_lt_u64_e64 s[2:3], v[18:19]
	s_cbranch_execz .LBB353_1332
; %bb.1325:                             ;   in Loop: Header=BB353_1069 Depth=1
	v_lshrrev_b32_e32 v22, 24, v19
	v_bfrev_b32_e32 v8, 1
	s_mov_b32 s15, exec_lo
	s_delay_alu instid0(VALU_DEP_2)
	v_cmpx_ne_u32_e32 0x80, v22
	s_cbranch_execz .LBB353_1331
; %bb.1326:                             ;   in Loop: Header=BB353_1069 Depth=1
	v_bfe_u32 v18, v19, 24, 7
	v_mov_b32_e32 v8, 0x7f800001
	s_mov_b32 s16, exec_lo
	s_delay_alu instid0(VALU_DEP_2)
	v_cmpx_ne_u32_e32 0x7f, v18
	s_cbranch_execz .LBB353_1330
; %bb.1327:                             ;   in Loop: Header=BB353_1069 Depth=1
	v_and_b32_e32 v26, 7, v22
	v_lshrrev_b32_e32 v8, 3, v18
	v_cmp_gt_u32_e64 s0, 8, v18
	s_delay_alu instid0(VALU_DEP_3)
	v_mov_b64_e32 v[18:19], v[26:27]
	s_and_saveexec_b32 s17, s0
; %bb.1328:                             ;   in Loop: Header=BB353_1069 Depth=1
	v_clz_i32_u32_e32 v8, v26
	s_delay_alu instid0(VALU_DEP_1) | instskip(NEXT) | instid1(VALU_DEP_1)
	v_min_u32_e32 v8, 32, v8
	v_subrev_nc_u32_e32 v18, 28, v8
	s_delay_alu instid0(VALU_DEP_1) | instskip(NEXT) | instid1(VALU_DEP_1)
	v_lshlrev_b64_e32 v[18:19], v18, v[26:27]
	v_dual_sub_nc_u32 v8, 29, v8 :: v_dual_bitop2_b32 v18, 7, v18 bitop3:0x40
; %bb.1329:                             ;   in Loop: Header=BB353_1069 Depth=1
	s_or_b32 exec_lo, exec_lo, s17
	v_lshlrev_b32_e32 v19, 24, v22
	s_delay_alu instid0(VALU_DEP_2) | instskip(NEXT) | instid1(VALU_DEP_3)
	v_lshlrev_b32_e32 v18, 20, v18
	v_lshl_add_u32 v8, v8, 23, 0x3c000000
	s_delay_alu instid0(VALU_DEP_3) | instskip(NEXT) | instid1(VALU_DEP_1)
	v_and_b32_e32 v19, 0x80000000, v19
	v_or3_b32 v8, v18, v19, v8
.LBB353_1330:                           ;   in Loop: Header=BB353_1069 Depth=1
	s_or_b32 exec_lo, exec_lo, s16
.LBB353_1331:                           ;   in Loop: Header=BB353_1069 Depth=1
	s_delay_alu instid0(SALU_CYCLE_1)
	s_or_b32 exec_lo, exec_lo, s15
.LBB353_1332:                           ;   in Loop: Header=BB353_1069 Depth=1
	s_delay_alu instid0(SALU_CYCLE_1)
	s_or_b32 exec_lo, exec_lo, s14
	v_fma_mixlo_bf16 v2, v86, v2, 0
	v_fma_mixlo_bf16 v7, v86, v7, 0
	v_fma_mixlo_bf16 v6, v86, v6, 0
	v_fma_mixlo_bf16 v5, v86, v5, 0
	v_fma_mixlo_bf16 v4, v86, v4, 0
	scratch_store_b32 off, v2, s32 offset:404 ; 4-byte Folded Spill
	s_wait_xcnt 0x0
	v_fma_mixlo_bf16 v2, v86, v9, 0
	s_clause 0x1
	scratch_store_b32 off, v7, s32 offset:356
	scratch_store_b32 off, v6, s32 offset:364
	v_fma_mixlo_bf16 v3, v86, v3, 0
	s_clause 0x1
	scratch_store_b32 off, v5, s32 offset:384
	scratch_store_b32 off, v2, s32 offset:372
	s_wait_xcnt 0x0
	v_fma_mixlo_bf16 v2, v86, v8, 0
	s_clause 0x2
	scratch_store_b32 off, v4, s32 offset:388
	scratch_store_b32 off, v3, s32 offset:396
	;; [unrolled: 1-line block ×3, first 2 shown]
	s_wait_xcnt 0x0
	s_and_saveexec_b32 s14, vcc_lo
	s_cbranch_execz .LBB353_1334
; %bb.1333:                             ;   in Loop: Header=BB353_1069 Depth=1
	s_clause 0x1
	scratch_load_b32 v2, off, s32 offset:192
	scratch_load_b32 v3, off, s32 offset:404
	s_wait_loadcnt 0x1
	v_cmp_lt_i32_e64 s0, v115, v2
	s_wait_loadcnt 0x0
	s_delay_alu instid0(VALU_DEP_1)
	v_cndmask_b32_e64 v3, 0, v3, s0
	v_cmp_lt_i32_e64 s0, v119, v2
	s_clause 0x1
	scratch_store_b32 off, v3, s32 offset:404
	scratch_load_b32 v3, off, s32 offset:396
	s_wait_loadcnt 0x0
	v_cndmask_b32_e64 v3, 0, v3, s0
	v_cmp_lt_i32_e64 s0, v118, v2
	s_clause 0x1
	scratch_store_b32 off, v3, s32 offset:396
	scratch_load_b32 v3, off, s32 offset:388
	s_wait_loadcnt 0x0
	;; [unrolled: 6-line block ×6, first 2 shown]
	v_cndmask_b32_e64 v3, 0, v3, s0
	v_cmp_lt_i32_e64 s0, v112, v2
	scratch_load_b32 v2, off, s32 offset:376 ; 4-byte Folded Reload
	s_wait_loadcnt 0x0
	v_cndmask_b32_e64 v2, 0, v2, s0
	s_clause 0x1
	scratch_store_b32 off, v3, s32 offset:372
	scratch_store_b32 off, v2, s32 offset:376
.LBB353_1334:                           ;   in Loop: Header=BB353_1069 Depth=1
	s_wait_xcnt 0x0
	s_or_b32 exec_lo, exec_lo, s14
	flat_load_b64 v[18:19], v[0:1] offset:1024
	v_dual_mov_b32 v3, 0 :: v_dual_mov_b32 v2, 0
	s_mov_b32 s14, exec_lo
	s_wait_loadcnt_dscnt 0x0
	v_and_b32_e32 v4, 0xff, v18
	s_wait_xcnt 0x0
	s_delay_alu instid0(VALU_DEP_1)
	v_cmpx_ne_u16_e32 0, v4
	s_cbranch_execz .LBB353_1342
; %bb.1335:                             ;   in Loop: Header=BB353_1069 Depth=1
	v_bfrev_b32_e32 v2, 1
	s_mov_b32 s15, exec_lo
	v_cmpx_ne_u16_e32 0x80, v4
	s_cbranch_execz .LBB353_1341
; %bb.1336:                             ;   in Loop: Header=BB353_1069 Depth=1
	v_and_b32_e32 v4, 0x7f, v18
	v_mov_b32_e32 v2, 0x7f800001
	s_mov_b32 s16, exec_lo
	s_delay_alu instid0(VALU_DEP_2)
	v_cmpx_ne_u32_e32 0x7f, v4
	s_cbranch_execz .LBB353_1340
; %bb.1337:                             ;   in Loop: Header=BB353_1069 Depth=1
	v_mov_b64_e32 v[22:23], v[18:19]
	v_lshrrev_b32_e32 v2, 3, v4
	s_mov_b32 s17, exec_lo
	v_cmpx_gt_u32_e32 8, v4
; %bb.1338:                             ;   in Loop: Header=BB353_1069 Depth=1
	v_and_b32_e32 v2, 7, v18
	s_delay_alu instid0(VALU_DEP_1) | instskip(NEXT) | instid1(VALU_DEP_1)
	v_clz_i32_u32_e32 v2, v2
	v_min_u32_e32 v2, 32, v2
	s_delay_alu instid0(VALU_DEP_1) | instskip(SKIP_1) | instid1(VALU_DEP_2)
	v_subrev_nc_u32_e32 v4, 28, v2
	v_sub_nc_u32_e32 v2, 29, v2
	v_lshlrev_b64_e32 v[22:23], v4, v[18:19]
; %bb.1339:                             ;   in Loop: Header=BB353_1069 Depth=1
	s_or_b32 exec_lo, exec_lo, s17
	s_delay_alu instid0(VALU_DEP_1) | instskip(SKIP_2) | instid1(VALU_DEP_3)
	v_lshlrev_b32_e32 v4, 20, v22
	v_lshlrev_b32_e32 v5, 24, v18
	v_lshl_add_u32 v2, v2, 23, 0x3c000000
	v_and_b32_e32 v4, 0x700000, v4
	s_delay_alu instid0(VALU_DEP_3) | instskip(NEXT) | instid1(VALU_DEP_1)
	v_and_b32_e32 v5, 0x80000000, v5
	v_or3_b32 v2, v4, v5, v2
.LBB353_1340:                           ;   in Loop: Header=BB353_1069 Depth=1
	s_or_b32 exec_lo, exec_lo, s16
.LBB353_1341:                           ;   in Loop: Header=BB353_1069 Depth=1
	s_delay_alu instid0(SALU_CYCLE_1)
	s_or_b32 exec_lo, exec_lo, s15
.LBB353_1342:                           ;   in Loop: Header=BB353_1069 Depth=1
	s_delay_alu instid0(SALU_CYCLE_1) | instskip(SKIP_2) | instid1(VALU_DEP_1)
	s_or_b32 exec_lo, exec_lo, s14
	v_lshrrev_b16 v4, 8, v18
	s_mov_b32 s14, exec_lo
	v_cmpx_ne_u16_e32 0, v4
	s_cbranch_execz .LBB353_1350
; %bb.1343:                             ;   in Loop: Header=BB353_1069 Depth=1
	v_bfrev_b32_e32 v3, 1
	s_mov_b32 s15, exec_lo
	v_cmpx_ne_u16_e32 0x80, v4
	s_cbranch_execz .LBB353_1349
; %bb.1344:                             ;   in Loop: Header=BB353_1069 Depth=1
	v_and_b32_e32 v5, 0xffff, v4
	v_mov_b32_e32 v3, 0x7f800001
	s_mov_b32 s16, exec_lo
	s_delay_alu instid0(VALU_DEP_2) | instskip(NEXT) | instid1(VALU_DEP_1)
	v_and_b32_e32 v4, 0x7f, v5
	v_cmpx_ne_u32_e32 0x7f, v4
	s_cbranch_execz .LBB353_1348
; %bb.1345:                             ;   in Loop: Header=BB353_1069 Depth=1
	v_dual_lshrrev_b32 v3, 3, v4 :: v_dual_bitop2_b32 v26, 7, v5 bitop3:0x40
	s_mov_b32 s17, exec_lo
	s_delay_alu instid0(VALU_DEP_1)
	v_mov_b64_e32 v[22:23], v[26:27]
	v_cmpx_gt_u32_e32 8, v4
; %bb.1346:                             ;   in Loop: Header=BB353_1069 Depth=1
	v_clz_i32_u32_e32 v3, v26
	s_delay_alu instid0(VALU_DEP_1) | instskip(NEXT) | instid1(VALU_DEP_1)
	v_min_u32_e32 v3, 32, v3
	v_subrev_nc_u32_e32 v4, 28, v3
	s_delay_alu instid0(VALU_DEP_1) | instskip(NEXT) | instid1(VALU_DEP_1)
	v_lshlrev_b64_e32 v[4:5], v4, v[26:27]
	v_dual_sub_nc_u32 v3, 29, v3 :: v_dual_bitop2_b32 v22, 7, v4 bitop3:0x40
; %bb.1347:                             ;   in Loop: Header=BB353_1069 Depth=1
	s_or_b32 exec_lo, exec_lo, s17
	v_lshlrev_b32_e32 v4, 16, v18
	s_delay_alu instid0(VALU_DEP_2) | instskip(NEXT) | instid1(VALU_DEP_3)
	v_lshlrev_b32_e32 v5, 20, v22
	v_lshl_add_u32 v3, v3, 23, 0x3c000000
	s_delay_alu instid0(VALU_DEP_3) | instskip(NEXT) | instid1(VALU_DEP_1)
	v_and_b32_e32 v4, 0x80000000, v4
	v_or3_b32 v3, v5, v4, v3
.LBB353_1348:                           ;   in Loop: Header=BB353_1069 Depth=1
	s_or_b32 exec_lo, exec_lo, s16
.LBB353_1349:                           ;   in Loop: Header=BB353_1069 Depth=1
	s_delay_alu instid0(SALU_CYCLE_1)
	s_or_b32 exec_lo, exec_lo, s15
.LBB353_1350:                           ;   in Loop: Header=BB353_1069 Depth=1
	s_delay_alu instid0(SALU_CYCLE_1) | instskip(SKIP_3) | instid1(VALU_DEP_2)
	s_or_b32 exec_lo, exec_lo, s14
	v_dual_mov_b32 v5, 0 :: v_dual_lshrrev_b32 v6, 16, v18
	v_mov_b32_e32 v4, 0
	s_mov_b32 s14, exec_lo
	v_and_b32_e32 v7, 0xff, v6
	s_delay_alu instid0(VALU_DEP_1)
	v_cmpx_ne_u16_e32 0, v7
	s_cbranch_execz .LBB353_1358
; %bb.1351:                             ;   in Loop: Header=BB353_1069 Depth=1
	v_bfrev_b32_e32 v4, 1
	s_mov_b32 s15, exec_lo
	v_cmpx_ne_u16_e32 0x80, v7
	s_cbranch_execz .LBB353_1357
; %bb.1352:                             ;   in Loop: Header=BB353_1069 Depth=1
	v_bfe_u32 v7, v18, 16, 7
	v_mov_b32_e32 v4, 0x7f800001
	s_mov_b32 s16, exec_lo
	s_delay_alu instid0(VALU_DEP_2)
	v_cmpx_ne_u32_e32 0x7f, v7
	s_cbranch_execz .LBB353_1356
; %bb.1353:                             ;   in Loop: Header=BB353_1069 Depth=1
	v_dual_lshrrev_b32 v4, 3, v7 :: v_dual_bitop2_b32 v26, 7, v6 bitop3:0x40
	s_mov_b32 s17, exec_lo
	s_delay_alu instid0(VALU_DEP_1)
	v_mov_b64_e32 v[22:23], v[26:27]
	v_cmpx_gt_u32_e32 8, v7
; %bb.1354:                             ;   in Loop: Header=BB353_1069 Depth=1
	v_clz_i32_u32_e32 v4, v26
	s_delay_alu instid0(VALU_DEP_1) | instskip(NEXT) | instid1(VALU_DEP_1)
	v_min_u32_e32 v4, 32, v4
	v_subrev_nc_u32_e32 v7, 28, v4
	v_sub_nc_u32_e32 v4, 29, v4
	s_delay_alu instid0(VALU_DEP_2) | instskip(NEXT) | instid1(VALU_DEP_1)
	v_lshlrev_b64_e32 v[8:9], v7, v[26:27]
	v_and_b32_e32 v22, 7, v8
; %bb.1355:                             ;   in Loop: Header=BB353_1069 Depth=1
	s_or_b32 exec_lo, exec_lo, s17
	v_lshlrev_b32_e32 v6, 24, v6
	s_delay_alu instid0(VALU_DEP_2) | instskip(SKIP_1) | instid1(VALU_DEP_3)
	v_lshlrev_b32_e32 v7, 20, v22
	v_lshl_add_u32 v4, v4, 23, 0x3c000000
	v_and_b32_e32 v6, 0x80000000, v6
	s_delay_alu instid0(VALU_DEP_1)
	v_or3_b32 v4, v7, v6, v4
.LBB353_1356:                           ;   in Loop: Header=BB353_1069 Depth=1
	s_or_b32 exec_lo, exec_lo, s16
.LBB353_1357:                           ;   in Loop: Header=BB353_1069 Depth=1
	s_delay_alu instid0(SALU_CYCLE_1)
	s_or_b32 exec_lo, exec_lo, s15
.LBB353_1358:                           ;   in Loop: Header=BB353_1069 Depth=1
	s_delay_alu instid0(SALU_CYCLE_1) | instskip(NEXT) | instid1(SALU_CYCLE_1)
	s_or_b32 exec_lo, exec_lo, s14
	s_mov_b32 s14, exec_lo
	v_cmpx_lt_u32_e32 0xffffff, v18
	s_cbranch_execz .LBB353_1366
; %bb.1359:                             ;   in Loop: Header=BB353_1069 Depth=1
	v_lshrrev_b32_e32 v6, 24, v18
	v_bfrev_b32_e32 v5, 1
	s_mov_b32 s15, exec_lo
	s_delay_alu instid0(VALU_DEP_2)
	v_cmpx_ne_u32_e32 0x80, v6
	s_cbranch_execz .LBB353_1365
; %bb.1360:                             ;   in Loop: Header=BB353_1069 Depth=1
	v_bfe_u32 v7, v18, 24, 7
	v_mov_b32_e32 v5, 0x7f800001
	s_mov_b32 s16, exec_lo
	s_delay_alu instid0(VALU_DEP_2)
	v_cmpx_ne_u32_e32 0x7f, v7
	s_cbranch_execz .LBB353_1364
; %bb.1361:                             ;   in Loop: Header=BB353_1069 Depth=1
	v_dual_lshrrev_b32 v5, 3, v7 :: v_dual_bitop2_b32 v26, 7, v6 bitop3:0x40
	s_mov_b32 s17, exec_lo
	s_delay_alu instid0(VALU_DEP_1)
	v_mov_b64_e32 v[22:23], v[26:27]
	v_cmpx_gt_u32_e32 8, v7
; %bb.1362:                             ;   in Loop: Header=BB353_1069 Depth=1
	v_clz_i32_u32_e32 v5, v26
	s_delay_alu instid0(VALU_DEP_1) | instskip(NEXT) | instid1(VALU_DEP_1)
	v_min_u32_e32 v5, 32, v5
	v_subrev_nc_u32_e32 v7, 28, v5
	s_delay_alu instid0(VALU_DEP_1) | instskip(NEXT) | instid1(VALU_DEP_1)
	v_lshlrev_b64_e32 v[8:9], v7, v[26:27]
	v_dual_sub_nc_u32 v5, 29, v5 :: v_dual_bitop2_b32 v22, 7, v8 bitop3:0x40
; %bb.1363:                             ;   in Loop: Header=BB353_1069 Depth=1
	s_or_b32 exec_lo, exec_lo, s17
	v_lshlrev_b32_e32 v6, 24, v6
	s_delay_alu instid0(VALU_DEP_2) | instskip(NEXT) | instid1(VALU_DEP_3)
	v_lshlrev_b32_e32 v7, 20, v22
	v_lshl_add_u32 v5, v5, 23, 0x3c000000
	s_delay_alu instid0(VALU_DEP_3) | instskip(NEXT) | instid1(VALU_DEP_1)
	v_and_b32_e32 v6, 0x80000000, v6
	v_or3_b32 v5, v7, v6, v5
.LBB353_1364:                           ;   in Loop: Header=BB353_1069 Depth=1
	s_or_b32 exec_lo, exec_lo, s16
.LBB353_1365:                           ;   in Loop: Header=BB353_1069 Depth=1
	s_delay_alu instid0(SALU_CYCLE_1)
	s_or_b32 exec_lo, exec_lo, s15
.LBB353_1366:                           ;   in Loop: Header=BB353_1069 Depth=1
	s_delay_alu instid0(SALU_CYCLE_1) | instskip(SKIP_4) | instid1(VALU_DEP_3)
	s_or_b32 exec_lo, exec_lo, s14
	v_and_b32_e32 v8, 0xff, v19
	v_dual_mov_b32 v26, v19 :: v_dual_mov_b32 v7, 0
	v_mov_b32_e32 v6, 0
	s_mov_b32 s14, exec_lo
	v_cmpx_ne_u16_e32 0, v8
	s_cbranch_execz .LBB353_1374
; %bb.1367:                             ;   in Loop: Header=BB353_1069 Depth=1
	v_bfrev_b32_e32 v6, 1
	s_mov_b32 s15, exec_lo
	v_cmpx_ne_u16_e32 0x80, v8
	s_cbranch_execz .LBB353_1373
; %bb.1368:                             ;   in Loop: Header=BB353_1069 Depth=1
	v_and_b32_e32 v8, 0x7f, v19
	v_mov_b32_e32 v6, 0x7f800001
	s_mov_b32 s16, exec_lo
	s_delay_alu instid0(VALU_DEP_2)
	v_cmpx_ne_u32_e32 0x7f, v8
	s_cbranch_execz .LBB353_1372
; %bb.1369:                             ;   in Loop: Header=BB353_1069 Depth=1
	v_mov_b64_e32 v[22:23], v[26:27]
	v_lshrrev_b32_e32 v6, 3, v8
	s_mov_b32 s17, exec_lo
	v_cmpx_gt_u32_e32 8, v8
; %bb.1370:                             ;   in Loop: Header=BB353_1069 Depth=1
	v_and_b32_e32 v6, 7, v19
	s_delay_alu instid0(VALU_DEP_1) | instskip(NEXT) | instid1(VALU_DEP_1)
	v_clz_i32_u32_e32 v6, v6
	v_min_u32_e32 v6, 32, v6
	s_delay_alu instid0(VALU_DEP_1) | instskip(SKIP_1) | instid1(VALU_DEP_2)
	v_subrev_nc_u32_e32 v8, 28, v6
	v_sub_nc_u32_e32 v6, 29, v6
	v_lshlrev_b64_e32 v[22:23], v8, v[26:27]
; %bb.1371:                             ;   in Loop: Header=BB353_1069 Depth=1
	s_or_b32 exec_lo, exec_lo, s17
	s_delay_alu instid0(VALU_DEP_1) | instskip(SKIP_2) | instid1(VALU_DEP_3)
	v_lshlrev_b32_e32 v8, 20, v22
	v_lshlrev_b32_e32 v9, 24, v26
	v_lshl_add_u32 v6, v6, 23, 0x3c000000
	v_and_b32_e32 v8, 0x700000, v8
	s_delay_alu instid0(VALU_DEP_3) | instskip(NEXT) | instid1(VALU_DEP_1)
	v_and_b32_e32 v9, 0x80000000, v9
	v_or3_b32 v6, v8, v9, v6
.LBB353_1372:                           ;   in Loop: Header=BB353_1069 Depth=1
	s_or_b32 exec_lo, exec_lo, s16
.LBB353_1373:                           ;   in Loop: Header=BB353_1069 Depth=1
	s_delay_alu instid0(SALU_CYCLE_1)
	s_or_b32 exec_lo, exec_lo, s15
.LBB353_1374:                           ;   in Loop: Header=BB353_1069 Depth=1
	s_delay_alu instid0(SALU_CYCLE_1) | instskip(SKIP_2) | instid1(VALU_DEP_1)
	s_or_b32 exec_lo, exec_lo, s14
	v_lshrrev_b16 v8, 8, v26
	s_mov_b32 s14, exec_lo
	v_cmpx_ne_u16_e32 0, v8
	s_cbranch_execz .LBB353_1382
; %bb.1375:                             ;   in Loop: Header=BB353_1069 Depth=1
	v_bfrev_b32_e32 v7, 1
	s_mov_b32 s15, exec_lo
	v_cmpx_ne_u16_e32 0x80, v8
	s_cbranch_execz .LBB353_1381
; %bb.1376:                             ;   in Loop: Header=BB353_1069 Depth=1
	v_and_b32_e32 v9, 0xffff, v8
	v_mov_b32_e32 v7, 0x7f800001
	s_mov_b32 s16, exec_lo
	s_delay_alu instid0(VALU_DEP_2) | instskip(NEXT) | instid1(VALU_DEP_1)
	v_and_b32_e32 v8, 0x7f, v9
	v_cmpx_ne_u32_e32 0x7f, v8
	s_cbranch_execz .LBB353_1380
; %bb.1377:                             ;   in Loop: Header=BB353_1069 Depth=1
	v_dual_mov_b32 v23, v27 :: v_dual_bitop2_b32 v22, 7, v9 bitop3:0x40
	v_lshrrev_b32_e32 v7, 3, v8
	s_mov_b32 s17, exec_lo
	v_cmpx_gt_u32_e32 8, v8
; %bb.1378:                             ;   in Loop: Header=BB353_1069 Depth=1
	s_delay_alu instid0(VALU_DEP_3) | instskip(NEXT) | instid1(VALU_DEP_1)
	v_clz_i32_u32_e32 v7, v22
	v_min_u32_e32 v7, 32, v7
	s_delay_alu instid0(VALU_DEP_1) | instskip(NEXT) | instid1(VALU_DEP_1)
	v_subrev_nc_u32_e32 v8, 28, v7
	v_lshlrev_b64_e32 v[8:9], v8, v[22:23]
	s_delay_alu instid0(VALU_DEP_1)
	v_dual_sub_nc_u32 v7, 29, v7 :: v_dual_bitop2_b32 v22, 7, v8 bitop3:0x40
; %bb.1379:                             ;   in Loop: Header=BB353_1069 Depth=1
	s_or_b32 exec_lo, exec_lo, s17
	v_lshlrev_b32_e32 v8, 16, v26
	s_delay_alu instid0(VALU_DEP_2) | instskip(NEXT) | instid1(VALU_DEP_3)
	v_lshlrev_b32_e32 v9, 20, v22
	v_lshl_add_u32 v7, v7, 23, 0x3c000000
	s_delay_alu instid0(VALU_DEP_3) | instskip(NEXT) | instid1(VALU_DEP_1)
	v_and_b32_e32 v8, 0x80000000, v8
	v_or3_b32 v7, v9, v8, v7
.LBB353_1380:                           ;   in Loop: Header=BB353_1069 Depth=1
	s_or_b32 exec_lo, exec_lo, s16
.LBB353_1381:                           ;   in Loop: Header=BB353_1069 Depth=1
	s_delay_alu instid0(SALU_CYCLE_1)
	s_or_b32 exec_lo, exec_lo, s15
.LBB353_1382:                           ;   in Loop: Header=BB353_1069 Depth=1
	s_delay_alu instid0(SALU_CYCLE_1) | instskip(SKIP_3) | instid1(VALU_DEP_2)
	s_or_b32 exec_lo, exec_lo, s14
	v_dual_lshrrev_b32 v24, 16, v19 :: v_dual_mov_b32 v8, 0
	v_mov_b32_e32 v9, 0
	s_mov_b32 s14, exec_lo
	v_and_b32_e32 v22, 0xff, v24
	s_delay_alu instid0(VALU_DEP_1)
	v_cmpx_ne_u16_e32 0, v22
	s_cbranch_execz .LBB353_1390
; %bb.1383:                             ;   in Loop: Header=BB353_1069 Depth=1
	v_bfrev_b32_e32 v9, 1
	s_mov_b32 s15, exec_lo
	v_cmpx_ne_u16_e32 0x80, v22
	s_cbranch_execz .LBB353_1389
; %bb.1384:                             ;   in Loop: Header=BB353_1069 Depth=1
	v_bfe_u32 v22, v19, 16, 7
	v_mov_b32_e32 v9, 0x7f800001
	s_mov_b32 s16, exec_lo
	s_delay_alu instid0(VALU_DEP_2)
	v_cmpx_ne_u32_e32 0x7f, v22
	s_cbranch_execz .LBB353_1388
; %bb.1385:                             ;   in Loop: Header=BB353_1069 Depth=1
	v_dual_lshrrev_b32 v9, 3, v22 :: v_dual_bitop2_b32 v26, 7, v24 bitop3:0x40
	v_cmp_gt_u32_e64 s0, 8, v22
	s_delay_alu instid0(VALU_DEP_2)
	v_mov_b64_e32 v[22:23], v[26:27]
	s_and_saveexec_b32 s17, s0
; %bb.1386:                             ;   in Loop: Header=BB353_1069 Depth=1
	v_clz_i32_u32_e32 v9, v26
	s_delay_alu instid0(VALU_DEP_1) | instskip(NEXT) | instid1(VALU_DEP_1)
	v_min_u32_e32 v9, 32, v9
	v_subrev_nc_u32_e32 v22, 28, v9
	s_delay_alu instid0(VALU_DEP_1) | instskip(NEXT) | instid1(VALU_DEP_1)
	v_lshlrev_b64_e32 v[22:23], v22, v[26:27]
	v_dual_sub_nc_u32 v9, 29, v9 :: v_dual_bitop2_b32 v22, 7, v22 bitop3:0x40
; %bb.1387:                             ;   in Loop: Header=BB353_1069 Depth=1
	s_or_b32 exec_lo, exec_lo, s17
	s_delay_alu instid0(VALU_DEP_1) | instskip(NEXT) | instid1(VALU_DEP_2)
	v_dual_lshlrev_b32 v23, 24, v24 :: v_dual_lshlrev_b32 v22, 20, v22
	v_lshl_add_u32 v9, v9, 23, 0x3c000000
	s_delay_alu instid0(VALU_DEP_2) | instskip(NEXT) | instid1(VALU_DEP_1)
	v_and_b32_e32 v23, 0x80000000, v23
	v_or3_b32 v9, v22, v23, v9
.LBB353_1388:                           ;   in Loop: Header=BB353_1069 Depth=1
	s_or_b32 exec_lo, exec_lo, s16
.LBB353_1389:                           ;   in Loop: Header=BB353_1069 Depth=1
	s_delay_alu instid0(SALU_CYCLE_1)
	s_or_b32 exec_lo, exec_lo, s15
.LBB353_1390:                           ;   in Loop: Header=BB353_1069 Depth=1
	s_delay_alu instid0(SALU_CYCLE_1) | instskip(NEXT) | instid1(SALU_CYCLE_1)
	s_or_b32 exec_lo, exec_lo, s14
	s_mov_b32 s14, exec_lo
	v_cmpx_lt_u64_e64 s[2:3], v[18:19]
	s_cbranch_execz .LBB353_1398
; %bb.1391:                             ;   in Loop: Header=BB353_1069 Depth=1
	v_lshrrev_b32_e32 v22, 24, v19
	v_bfrev_b32_e32 v8, 1
	s_mov_b32 s15, exec_lo
	s_delay_alu instid0(VALU_DEP_2)
	v_cmpx_ne_u32_e32 0x80, v22
	s_cbranch_execz .LBB353_1397
; %bb.1392:                             ;   in Loop: Header=BB353_1069 Depth=1
	v_bfe_u32 v18, v19, 24, 7
	v_mov_b32_e32 v8, 0x7f800001
	s_mov_b32 s16, exec_lo
	s_delay_alu instid0(VALU_DEP_2)
	v_cmpx_ne_u32_e32 0x7f, v18
	s_cbranch_execz .LBB353_1396
; %bb.1393:                             ;   in Loop: Header=BB353_1069 Depth=1
	v_and_b32_e32 v26, 7, v22
	v_lshrrev_b32_e32 v8, 3, v18
	v_cmp_gt_u32_e64 s0, 8, v18
	s_delay_alu instid0(VALU_DEP_3)
	v_mov_b64_e32 v[18:19], v[26:27]
	s_and_saveexec_b32 s17, s0
; %bb.1394:                             ;   in Loop: Header=BB353_1069 Depth=1
	v_clz_i32_u32_e32 v8, v26
	s_delay_alu instid0(VALU_DEP_1) | instskip(NEXT) | instid1(VALU_DEP_1)
	v_min_u32_e32 v8, 32, v8
	v_subrev_nc_u32_e32 v18, 28, v8
	s_delay_alu instid0(VALU_DEP_1) | instskip(NEXT) | instid1(VALU_DEP_1)
	v_lshlrev_b64_e32 v[18:19], v18, v[26:27]
	v_dual_sub_nc_u32 v8, 29, v8 :: v_dual_bitop2_b32 v18, 7, v18 bitop3:0x40
; %bb.1395:                             ;   in Loop: Header=BB353_1069 Depth=1
	s_or_b32 exec_lo, exec_lo, s17
	v_lshlrev_b32_e32 v19, 24, v22
	s_delay_alu instid0(VALU_DEP_2) | instskip(NEXT) | instid1(VALU_DEP_3)
	v_lshlrev_b32_e32 v18, 20, v18
	v_lshl_add_u32 v8, v8, 23, 0x3c000000
	s_delay_alu instid0(VALU_DEP_3) | instskip(NEXT) | instid1(VALU_DEP_1)
	v_and_b32_e32 v19, 0x80000000, v19
	v_or3_b32 v8, v18, v19, v8
.LBB353_1396:                           ;   in Loop: Header=BB353_1069 Depth=1
	s_or_b32 exec_lo, exec_lo, s16
.LBB353_1397:                           ;   in Loop: Header=BB353_1069 Depth=1
	s_delay_alu instid0(SALU_CYCLE_1)
	s_or_b32 exec_lo, exec_lo, s15
.LBB353_1398:                           ;   in Loop: Header=BB353_1069 Depth=1
	s_delay_alu instid0(SALU_CYCLE_1)
	s_or_b32 exec_lo, exec_lo, s14
	v_fma_mixlo_bf16 v2, v86, v2, 0
	v_fma_mixlo_bf16 v7, v86, v7, 0
	;; [unrolled: 1-line block ×5, first 2 shown]
	scratch_store_b32 off, v2, s32 offset:468 ; 4-byte Folded Spill
	s_wait_xcnt 0x0
	v_fma_mixlo_bf16 v2, v86, v9, 0
	s_clause 0x1
	scratch_store_b32 off, v7, s32 offset:412
	scratch_store_b32 off, v6, s32 offset:420
	v_fma_mixlo_bf16 v3, v86, v3, 0
	s_clause 0x1
	scratch_store_b32 off, v5, s32 offset:444
	scratch_store_b32 off, v2, s32 offset:428
	s_wait_xcnt 0x0
	v_fma_mixlo_bf16 v2, v86, v8, 0
	s_clause 0x2
	scratch_store_b32 off, v4, s32 offset:452
	scratch_store_b32 off, v3, s32 offset:460
	;; [unrolled: 1-line block ×3, first 2 shown]
	s_wait_xcnt 0x0
	s_and_saveexec_b32 s14, vcc_lo
	s_cbranch_execz .LBB353_1400
; %bb.1399:                             ;   in Loop: Header=BB353_1069 Depth=1
	s_clause 0x1
	scratch_load_b32 v2, off, s32 offset:192
	scratch_load_b32 v3, off, s32 offset:468
	s_wait_loadcnt 0x1
	v_cmp_lt_i32_e64 s0, v115, v2
	s_wait_loadcnt 0x0
	s_delay_alu instid0(VALU_DEP_1)
	v_cndmask_b32_e64 v3, 0, v3, s0
	v_cmp_lt_i32_e64 s0, v119, v2
	s_clause 0x1
	scratch_store_b32 off, v3, s32 offset:468
	scratch_load_b32 v3, off, s32 offset:460
	s_wait_loadcnt 0x0
	v_cndmask_b32_e64 v3, 0, v3, s0
	v_cmp_lt_i32_e64 s0, v118, v2
	s_clause 0x1
	scratch_store_b32 off, v3, s32 offset:460
	scratch_load_b32 v3, off, s32 offset:452
	s_wait_loadcnt 0x0
	;; [unrolled: 6-line block ×6, first 2 shown]
	v_cndmask_b32_e64 v3, 0, v3, s0
	v_cmp_lt_i32_e64 s0, v112, v2
	scratch_load_b32 v2, off, s32 offset:436 ; 4-byte Folded Reload
	s_wait_loadcnt 0x0
	v_cndmask_b32_e64 v2, 0, v2, s0
	s_clause 0x1
	scratch_store_b32 off, v3, s32 offset:428
	scratch_store_b32 off, v2, s32 offset:436
.LBB353_1400:                           ;   in Loop: Header=BB353_1069 Depth=1
	s_wait_xcnt 0x0
	s_or_b32 exec_lo, exec_lo, s14
	flat_load_b64 v[18:19], v[0:1] offset:1280
	v_dual_mov_b32 v3, 0 :: v_dual_mov_b32 v2, 0
	s_mov_b32 s14, exec_lo
	s_wait_loadcnt_dscnt 0x0
	v_and_b32_e32 v4, 0xff, v18
	s_wait_xcnt 0x0
	s_delay_alu instid0(VALU_DEP_1)
	v_cmpx_ne_u16_e32 0, v4
	s_cbranch_execz .LBB353_1408
; %bb.1401:                             ;   in Loop: Header=BB353_1069 Depth=1
	v_bfrev_b32_e32 v2, 1
	s_mov_b32 s15, exec_lo
	v_cmpx_ne_u16_e32 0x80, v4
	s_cbranch_execz .LBB353_1407
; %bb.1402:                             ;   in Loop: Header=BB353_1069 Depth=1
	v_and_b32_e32 v4, 0x7f, v18
	v_mov_b32_e32 v2, 0x7f800001
	s_mov_b32 s16, exec_lo
	s_delay_alu instid0(VALU_DEP_2)
	v_cmpx_ne_u32_e32 0x7f, v4
	s_cbranch_execz .LBB353_1406
; %bb.1403:                             ;   in Loop: Header=BB353_1069 Depth=1
	v_mov_b64_e32 v[22:23], v[18:19]
	v_lshrrev_b32_e32 v2, 3, v4
	s_mov_b32 s17, exec_lo
	v_cmpx_gt_u32_e32 8, v4
; %bb.1404:                             ;   in Loop: Header=BB353_1069 Depth=1
	v_and_b32_e32 v2, 7, v18
	s_delay_alu instid0(VALU_DEP_1) | instskip(NEXT) | instid1(VALU_DEP_1)
	v_clz_i32_u32_e32 v2, v2
	v_min_u32_e32 v2, 32, v2
	s_delay_alu instid0(VALU_DEP_1) | instskip(SKIP_1) | instid1(VALU_DEP_2)
	v_subrev_nc_u32_e32 v4, 28, v2
	v_sub_nc_u32_e32 v2, 29, v2
	v_lshlrev_b64_e32 v[22:23], v4, v[18:19]
; %bb.1405:                             ;   in Loop: Header=BB353_1069 Depth=1
	s_or_b32 exec_lo, exec_lo, s17
	s_delay_alu instid0(VALU_DEP_1) | instskip(SKIP_2) | instid1(VALU_DEP_3)
	v_lshlrev_b32_e32 v4, 20, v22
	v_lshlrev_b32_e32 v5, 24, v18
	v_lshl_add_u32 v2, v2, 23, 0x3c000000
	v_and_b32_e32 v4, 0x700000, v4
	s_delay_alu instid0(VALU_DEP_3) | instskip(NEXT) | instid1(VALU_DEP_1)
	v_and_b32_e32 v5, 0x80000000, v5
	v_or3_b32 v2, v4, v5, v2
.LBB353_1406:                           ;   in Loop: Header=BB353_1069 Depth=1
	s_or_b32 exec_lo, exec_lo, s16
.LBB353_1407:                           ;   in Loop: Header=BB353_1069 Depth=1
	s_delay_alu instid0(SALU_CYCLE_1)
	s_or_b32 exec_lo, exec_lo, s15
.LBB353_1408:                           ;   in Loop: Header=BB353_1069 Depth=1
	s_delay_alu instid0(SALU_CYCLE_1) | instskip(SKIP_2) | instid1(VALU_DEP_1)
	s_or_b32 exec_lo, exec_lo, s14
	v_lshrrev_b16 v4, 8, v18
	s_mov_b32 s14, exec_lo
	v_cmpx_ne_u16_e32 0, v4
	s_cbranch_execz .LBB353_1416
; %bb.1409:                             ;   in Loop: Header=BB353_1069 Depth=1
	v_bfrev_b32_e32 v3, 1
	s_mov_b32 s15, exec_lo
	v_cmpx_ne_u16_e32 0x80, v4
	s_cbranch_execz .LBB353_1415
; %bb.1410:                             ;   in Loop: Header=BB353_1069 Depth=1
	v_and_b32_e32 v5, 0xffff, v4
	v_mov_b32_e32 v3, 0x7f800001
	s_mov_b32 s16, exec_lo
	s_delay_alu instid0(VALU_DEP_2) | instskip(NEXT) | instid1(VALU_DEP_1)
	v_and_b32_e32 v4, 0x7f, v5
	v_cmpx_ne_u32_e32 0x7f, v4
	s_cbranch_execz .LBB353_1414
; %bb.1411:                             ;   in Loop: Header=BB353_1069 Depth=1
	v_dual_lshrrev_b32 v3, 3, v4 :: v_dual_bitop2_b32 v26, 7, v5 bitop3:0x40
	s_mov_b32 s17, exec_lo
	s_delay_alu instid0(VALU_DEP_1)
	v_mov_b64_e32 v[22:23], v[26:27]
	v_cmpx_gt_u32_e32 8, v4
; %bb.1412:                             ;   in Loop: Header=BB353_1069 Depth=1
	v_clz_i32_u32_e32 v3, v26
	s_delay_alu instid0(VALU_DEP_1) | instskip(NEXT) | instid1(VALU_DEP_1)
	v_min_u32_e32 v3, 32, v3
	v_subrev_nc_u32_e32 v4, 28, v3
	s_delay_alu instid0(VALU_DEP_1) | instskip(NEXT) | instid1(VALU_DEP_1)
	v_lshlrev_b64_e32 v[4:5], v4, v[26:27]
	v_dual_sub_nc_u32 v3, 29, v3 :: v_dual_bitop2_b32 v22, 7, v4 bitop3:0x40
; %bb.1413:                             ;   in Loop: Header=BB353_1069 Depth=1
	s_or_b32 exec_lo, exec_lo, s17
	v_lshlrev_b32_e32 v4, 16, v18
	s_delay_alu instid0(VALU_DEP_2) | instskip(NEXT) | instid1(VALU_DEP_3)
	v_lshlrev_b32_e32 v5, 20, v22
	v_lshl_add_u32 v3, v3, 23, 0x3c000000
	s_delay_alu instid0(VALU_DEP_3) | instskip(NEXT) | instid1(VALU_DEP_1)
	v_and_b32_e32 v4, 0x80000000, v4
	v_or3_b32 v3, v5, v4, v3
.LBB353_1414:                           ;   in Loop: Header=BB353_1069 Depth=1
	s_or_b32 exec_lo, exec_lo, s16
.LBB353_1415:                           ;   in Loop: Header=BB353_1069 Depth=1
	s_delay_alu instid0(SALU_CYCLE_1)
	s_or_b32 exec_lo, exec_lo, s15
.LBB353_1416:                           ;   in Loop: Header=BB353_1069 Depth=1
	s_delay_alu instid0(SALU_CYCLE_1) | instskip(SKIP_3) | instid1(VALU_DEP_2)
	s_or_b32 exec_lo, exec_lo, s14
	v_dual_mov_b32 v5, 0 :: v_dual_lshrrev_b32 v6, 16, v18
	v_mov_b32_e32 v4, 0
	s_mov_b32 s14, exec_lo
	v_and_b32_e32 v7, 0xff, v6
	s_delay_alu instid0(VALU_DEP_1)
	v_cmpx_ne_u16_e32 0, v7
	s_cbranch_execz .LBB353_1424
; %bb.1417:                             ;   in Loop: Header=BB353_1069 Depth=1
	v_bfrev_b32_e32 v4, 1
	s_mov_b32 s15, exec_lo
	v_cmpx_ne_u16_e32 0x80, v7
	s_cbranch_execz .LBB353_1423
; %bb.1418:                             ;   in Loop: Header=BB353_1069 Depth=1
	v_bfe_u32 v7, v18, 16, 7
	v_mov_b32_e32 v4, 0x7f800001
	s_mov_b32 s16, exec_lo
	s_delay_alu instid0(VALU_DEP_2)
	v_cmpx_ne_u32_e32 0x7f, v7
	s_cbranch_execz .LBB353_1422
; %bb.1419:                             ;   in Loop: Header=BB353_1069 Depth=1
	v_dual_lshrrev_b32 v4, 3, v7 :: v_dual_bitop2_b32 v26, 7, v6 bitop3:0x40
	s_mov_b32 s17, exec_lo
	s_delay_alu instid0(VALU_DEP_1)
	v_mov_b64_e32 v[22:23], v[26:27]
	v_cmpx_gt_u32_e32 8, v7
; %bb.1420:                             ;   in Loop: Header=BB353_1069 Depth=1
	v_clz_i32_u32_e32 v4, v26
	s_delay_alu instid0(VALU_DEP_1) | instskip(NEXT) | instid1(VALU_DEP_1)
	v_min_u32_e32 v4, 32, v4
	v_subrev_nc_u32_e32 v7, 28, v4
	v_sub_nc_u32_e32 v4, 29, v4
	s_delay_alu instid0(VALU_DEP_2) | instskip(NEXT) | instid1(VALU_DEP_1)
	v_lshlrev_b64_e32 v[8:9], v7, v[26:27]
	v_and_b32_e32 v22, 7, v8
; %bb.1421:                             ;   in Loop: Header=BB353_1069 Depth=1
	s_or_b32 exec_lo, exec_lo, s17
	v_lshlrev_b32_e32 v6, 24, v6
	s_delay_alu instid0(VALU_DEP_2) | instskip(SKIP_1) | instid1(VALU_DEP_3)
	v_lshlrev_b32_e32 v7, 20, v22
	v_lshl_add_u32 v4, v4, 23, 0x3c000000
	v_and_b32_e32 v6, 0x80000000, v6
	s_delay_alu instid0(VALU_DEP_1)
	v_or3_b32 v4, v7, v6, v4
.LBB353_1422:                           ;   in Loop: Header=BB353_1069 Depth=1
	s_or_b32 exec_lo, exec_lo, s16
.LBB353_1423:                           ;   in Loop: Header=BB353_1069 Depth=1
	s_delay_alu instid0(SALU_CYCLE_1)
	s_or_b32 exec_lo, exec_lo, s15
.LBB353_1424:                           ;   in Loop: Header=BB353_1069 Depth=1
	s_delay_alu instid0(SALU_CYCLE_1) | instskip(NEXT) | instid1(SALU_CYCLE_1)
	s_or_b32 exec_lo, exec_lo, s14
	s_mov_b32 s14, exec_lo
	v_cmpx_lt_u32_e32 0xffffff, v18
	s_cbranch_execz .LBB353_1432
; %bb.1425:                             ;   in Loop: Header=BB353_1069 Depth=1
	v_lshrrev_b32_e32 v6, 24, v18
	v_bfrev_b32_e32 v5, 1
	s_mov_b32 s15, exec_lo
	s_delay_alu instid0(VALU_DEP_2)
	v_cmpx_ne_u32_e32 0x80, v6
	s_cbranch_execz .LBB353_1431
; %bb.1426:                             ;   in Loop: Header=BB353_1069 Depth=1
	v_bfe_u32 v7, v18, 24, 7
	v_mov_b32_e32 v5, 0x7f800001
	s_mov_b32 s16, exec_lo
	s_delay_alu instid0(VALU_DEP_2)
	v_cmpx_ne_u32_e32 0x7f, v7
	s_cbranch_execz .LBB353_1430
; %bb.1427:                             ;   in Loop: Header=BB353_1069 Depth=1
	v_dual_lshrrev_b32 v5, 3, v7 :: v_dual_bitop2_b32 v26, 7, v6 bitop3:0x40
	s_mov_b32 s17, exec_lo
	s_delay_alu instid0(VALU_DEP_1)
	v_mov_b64_e32 v[22:23], v[26:27]
	v_cmpx_gt_u32_e32 8, v7
; %bb.1428:                             ;   in Loop: Header=BB353_1069 Depth=1
	v_clz_i32_u32_e32 v5, v26
	s_delay_alu instid0(VALU_DEP_1) | instskip(NEXT) | instid1(VALU_DEP_1)
	v_min_u32_e32 v5, 32, v5
	v_subrev_nc_u32_e32 v7, 28, v5
	s_delay_alu instid0(VALU_DEP_1) | instskip(NEXT) | instid1(VALU_DEP_1)
	v_lshlrev_b64_e32 v[8:9], v7, v[26:27]
	v_dual_sub_nc_u32 v5, 29, v5 :: v_dual_bitop2_b32 v22, 7, v8 bitop3:0x40
; %bb.1429:                             ;   in Loop: Header=BB353_1069 Depth=1
	s_or_b32 exec_lo, exec_lo, s17
	v_lshlrev_b32_e32 v6, 24, v6
	s_delay_alu instid0(VALU_DEP_2) | instskip(NEXT) | instid1(VALU_DEP_3)
	v_lshlrev_b32_e32 v7, 20, v22
	v_lshl_add_u32 v5, v5, 23, 0x3c000000
	s_delay_alu instid0(VALU_DEP_3) | instskip(NEXT) | instid1(VALU_DEP_1)
	v_and_b32_e32 v6, 0x80000000, v6
	v_or3_b32 v5, v7, v6, v5
.LBB353_1430:                           ;   in Loop: Header=BB353_1069 Depth=1
	s_or_b32 exec_lo, exec_lo, s16
.LBB353_1431:                           ;   in Loop: Header=BB353_1069 Depth=1
	s_delay_alu instid0(SALU_CYCLE_1)
	s_or_b32 exec_lo, exec_lo, s15
.LBB353_1432:                           ;   in Loop: Header=BB353_1069 Depth=1
	s_delay_alu instid0(SALU_CYCLE_1) | instskip(SKIP_4) | instid1(VALU_DEP_3)
	s_or_b32 exec_lo, exec_lo, s14
	v_and_b32_e32 v8, 0xff, v19
	v_dual_mov_b32 v26, v19 :: v_dual_mov_b32 v7, 0
	v_mov_b32_e32 v6, 0
	s_mov_b32 s14, exec_lo
	v_cmpx_ne_u16_e32 0, v8
	s_cbranch_execz .LBB353_1440
; %bb.1433:                             ;   in Loop: Header=BB353_1069 Depth=1
	v_bfrev_b32_e32 v6, 1
	s_mov_b32 s15, exec_lo
	v_cmpx_ne_u16_e32 0x80, v8
	s_cbranch_execz .LBB353_1439
; %bb.1434:                             ;   in Loop: Header=BB353_1069 Depth=1
	v_and_b32_e32 v8, 0x7f, v19
	v_mov_b32_e32 v6, 0x7f800001
	s_mov_b32 s16, exec_lo
	s_delay_alu instid0(VALU_DEP_2)
	v_cmpx_ne_u32_e32 0x7f, v8
	s_cbranch_execz .LBB353_1438
; %bb.1435:                             ;   in Loop: Header=BB353_1069 Depth=1
	v_mov_b64_e32 v[22:23], v[26:27]
	v_lshrrev_b32_e32 v6, 3, v8
	s_mov_b32 s17, exec_lo
	v_cmpx_gt_u32_e32 8, v8
; %bb.1436:                             ;   in Loop: Header=BB353_1069 Depth=1
	v_and_b32_e32 v6, 7, v19
	s_delay_alu instid0(VALU_DEP_1) | instskip(NEXT) | instid1(VALU_DEP_1)
	v_clz_i32_u32_e32 v6, v6
	v_min_u32_e32 v6, 32, v6
	s_delay_alu instid0(VALU_DEP_1) | instskip(SKIP_1) | instid1(VALU_DEP_2)
	v_subrev_nc_u32_e32 v8, 28, v6
	v_sub_nc_u32_e32 v6, 29, v6
	v_lshlrev_b64_e32 v[22:23], v8, v[26:27]
; %bb.1437:                             ;   in Loop: Header=BB353_1069 Depth=1
	s_or_b32 exec_lo, exec_lo, s17
	s_delay_alu instid0(VALU_DEP_1) | instskip(SKIP_2) | instid1(VALU_DEP_3)
	v_lshlrev_b32_e32 v8, 20, v22
	v_lshlrev_b32_e32 v9, 24, v26
	v_lshl_add_u32 v6, v6, 23, 0x3c000000
	v_and_b32_e32 v8, 0x700000, v8
	s_delay_alu instid0(VALU_DEP_3) | instskip(NEXT) | instid1(VALU_DEP_1)
	v_and_b32_e32 v9, 0x80000000, v9
	v_or3_b32 v6, v8, v9, v6
.LBB353_1438:                           ;   in Loop: Header=BB353_1069 Depth=1
	s_or_b32 exec_lo, exec_lo, s16
.LBB353_1439:                           ;   in Loop: Header=BB353_1069 Depth=1
	s_delay_alu instid0(SALU_CYCLE_1)
	s_or_b32 exec_lo, exec_lo, s15
.LBB353_1440:                           ;   in Loop: Header=BB353_1069 Depth=1
	s_delay_alu instid0(SALU_CYCLE_1) | instskip(SKIP_2) | instid1(VALU_DEP_1)
	s_or_b32 exec_lo, exec_lo, s14
	v_lshrrev_b16 v8, 8, v26
	s_mov_b32 s14, exec_lo
	v_cmpx_ne_u16_e32 0, v8
	s_cbranch_execz .LBB353_1448
; %bb.1441:                             ;   in Loop: Header=BB353_1069 Depth=1
	v_bfrev_b32_e32 v7, 1
	s_mov_b32 s15, exec_lo
	v_cmpx_ne_u16_e32 0x80, v8
	s_cbranch_execz .LBB353_1447
; %bb.1442:                             ;   in Loop: Header=BB353_1069 Depth=1
	v_and_b32_e32 v9, 0xffff, v8
	v_mov_b32_e32 v7, 0x7f800001
	s_mov_b32 s16, exec_lo
	s_delay_alu instid0(VALU_DEP_2) | instskip(NEXT) | instid1(VALU_DEP_1)
	v_and_b32_e32 v8, 0x7f, v9
	v_cmpx_ne_u32_e32 0x7f, v8
	s_cbranch_execz .LBB353_1446
; %bb.1443:                             ;   in Loop: Header=BB353_1069 Depth=1
	v_dual_mov_b32 v23, v27 :: v_dual_bitop2_b32 v22, 7, v9 bitop3:0x40
	v_lshrrev_b32_e32 v7, 3, v8
	s_mov_b32 s17, exec_lo
	v_cmpx_gt_u32_e32 8, v8
; %bb.1444:                             ;   in Loop: Header=BB353_1069 Depth=1
	s_delay_alu instid0(VALU_DEP_3) | instskip(NEXT) | instid1(VALU_DEP_1)
	v_clz_i32_u32_e32 v7, v22
	v_min_u32_e32 v7, 32, v7
	s_delay_alu instid0(VALU_DEP_1) | instskip(NEXT) | instid1(VALU_DEP_1)
	v_subrev_nc_u32_e32 v8, 28, v7
	v_lshlrev_b64_e32 v[8:9], v8, v[22:23]
	s_delay_alu instid0(VALU_DEP_1)
	v_dual_sub_nc_u32 v7, 29, v7 :: v_dual_bitop2_b32 v22, 7, v8 bitop3:0x40
; %bb.1445:                             ;   in Loop: Header=BB353_1069 Depth=1
	s_or_b32 exec_lo, exec_lo, s17
	v_lshlrev_b32_e32 v8, 16, v26
	s_delay_alu instid0(VALU_DEP_2) | instskip(NEXT) | instid1(VALU_DEP_3)
	v_lshlrev_b32_e32 v9, 20, v22
	v_lshl_add_u32 v7, v7, 23, 0x3c000000
	s_delay_alu instid0(VALU_DEP_3) | instskip(NEXT) | instid1(VALU_DEP_1)
	v_and_b32_e32 v8, 0x80000000, v8
	v_or3_b32 v7, v9, v8, v7
.LBB353_1446:                           ;   in Loop: Header=BB353_1069 Depth=1
	s_or_b32 exec_lo, exec_lo, s16
.LBB353_1447:                           ;   in Loop: Header=BB353_1069 Depth=1
	s_delay_alu instid0(SALU_CYCLE_1)
	s_or_b32 exec_lo, exec_lo, s15
.LBB353_1448:                           ;   in Loop: Header=BB353_1069 Depth=1
	s_delay_alu instid0(SALU_CYCLE_1) | instskip(SKIP_3) | instid1(VALU_DEP_2)
	s_or_b32 exec_lo, exec_lo, s14
	v_dual_lshrrev_b32 v24, 16, v19 :: v_dual_mov_b32 v8, 0
	v_mov_b32_e32 v9, 0
	s_mov_b32 s14, exec_lo
	v_and_b32_e32 v22, 0xff, v24
	s_delay_alu instid0(VALU_DEP_1)
	v_cmpx_ne_u16_e32 0, v22
	s_cbranch_execz .LBB353_1456
; %bb.1449:                             ;   in Loop: Header=BB353_1069 Depth=1
	v_bfrev_b32_e32 v9, 1
	s_mov_b32 s15, exec_lo
	v_cmpx_ne_u16_e32 0x80, v22
	s_cbranch_execz .LBB353_1455
; %bb.1450:                             ;   in Loop: Header=BB353_1069 Depth=1
	v_bfe_u32 v22, v19, 16, 7
	v_mov_b32_e32 v9, 0x7f800001
	s_mov_b32 s16, exec_lo
	s_delay_alu instid0(VALU_DEP_2)
	v_cmpx_ne_u32_e32 0x7f, v22
	s_cbranch_execz .LBB353_1454
; %bb.1451:                             ;   in Loop: Header=BB353_1069 Depth=1
	v_dual_lshrrev_b32 v9, 3, v22 :: v_dual_bitop2_b32 v26, 7, v24 bitop3:0x40
	v_cmp_gt_u32_e64 s0, 8, v22
	s_delay_alu instid0(VALU_DEP_2)
	v_mov_b64_e32 v[22:23], v[26:27]
	s_and_saveexec_b32 s17, s0
; %bb.1452:                             ;   in Loop: Header=BB353_1069 Depth=1
	v_clz_i32_u32_e32 v9, v26
	s_delay_alu instid0(VALU_DEP_1) | instskip(NEXT) | instid1(VALU_DEP_1)
	v_min_u32_e32 v9, 32, v9
	v_subrev_nc_u32_e32 v22, 28, v9
	s_delay_alu instid0(VALU_DEP_1) | instskip(NEXT) | instid1(VALU_DEP_1)
	v_lshlrev_b64_e32 v[22:23], v22, v[26:27]
	v_dual_sub_nc_u32 v9, 29, v9 :: v_dual_bitop2_b32 v22, 7, v22 bitop3:0x40
; %bb.1453:                             ;   in Loop: Header=BB353_1069 Depth=1
	s_or_b32 exec_lo, exec_lo, s17
	s_delay_alu instid0(VALU_DEP_1) | instskip(NEXT) | instid1(VALU_DEP_2)
	v_dual_lshlrev_b32 v23, 24, v24 :: v_dual_lshlrev_b32 v22, 20, v22
	v_lshl_add_u32 v9, v9, 23, 0x3c000000
	s_delay_alu instid0(VALU_DEP_2) | instskip(NEXT) | instid1(VALU_DEP_1)
	v_and_b32_e32 v23, 0x80000000, v23
	v_or3_b32 v9, v22, v23, v9
.LBB353_1454:                           ;   in Loop: Header=BB353_1069 Depth=1
	s_or_b32 exec_lo, exec_lo, s16
.LBB353_1455:                           ;   in Loop: Header=BB353_1069 Depth=1
	s_delay_alu instid0(SALU_CYCLE_1)
	s_or_b32 exec_lo, exec_lo, s15
.LBB353_1456:                           ;   in Loop: Header=BB353_1069 Depth=1
	s_delay_alu instid0(SALU_CYCLE_1) | instskip(NEXT) | instid1(SALU_CYCLE_1)
	s_or_b32 exec_lo, exec_lo, s14
	s_mov_b32 s14, exec_lo
	v_cmpx_lt_u64_e64 s[2:3], v[18:19]
	s_cbranch_execz .LBB353_1464
; %bb.1457:                             ;   in Loop: Header=BB353_1069 Depth=1
	v_lshrrev_b32_e32 v22, 24, v19
	v_bfrev_b32_e32 v8, 1
	s_mov_b32 s15, exec_lo
	s_delay_alu instid0(VALU_DEP_2)
	v_cmpx_ne_u32_e32 0x80, v22
	s_cbranch_execz .LBB353_1463
; %bb.1458:                             ;   in Loop: Header=BB353_1069 Depth=1
	v_bfe_u32 v18, v19, 24, 7
	v_mov_b32_e32 v8, 0x7f800001
	s_mov_b32 s16, exec_lo
	s_delay_alu instid0(VALU_DEP_2)
	v_cmpx_ne_u32_e32 0x7f, v18
	s_cbranch_execz .LBB353_1462
; %bb.1459:                             ;   in Loop: Header=BB353_1069 Depth=1
	v_and_b32_e32 v26, 7, v22
	v_lshrrev_b32_e32 v8, 3, v18
	v_cmp_gt_u32_e64 s0, 8, v18
	s_delay_alu instid0(VALU_DEP_3)
	v_mov_b64_e32 v[18:19], v[26:27]
	s_and_saveexec_b32 s17, s0
; %bb.1460:                             ;   in Loop: Header=BB353_1069 Depth=1
	v_clz_i32_u32_e32 v8, v26
	s_delay_alu instid0(VALU_DEP_1) | instskip(NEXT) | instid1(VALU_DEP_1)
	v_min_u32_e32 v8, 32, v8
	v_subrev_nc_u32_e32 v18, 28, v8
	s_delay_alu instid0(VALU_DEP_1) | instskip(NEXT) | instid1(VALU_DEP_1)
	v_lshlrev_b64_e32 v[18:19], v18, v[26:27]
	v_dual_sub_nc_u32 v8, 29, v8 :: v_dual_bitop2_b32 v18, 7, v18 bitop3:0x40
; %bb.1461:                             ;   in Loop: Header=BB353_1069 Depth=1
	s_or_b32 exec_lo, exec_lo, s17
	v_lshlrev_b32_e32 v19, 24, v22
	s_delay_alu instid0(VALU_DEP_2) | instskip(NEXT) | instid1(VALU_DEP_3)
	v_lshlrev_b32_e32 v18, 20, v18
	v_lshl_add_u32 v8, v8, 23, 0x3c000000
	s_delay_alu instid0(VALU_DEP_3) | instskip(NEXT) | instid1(VALU_DEP_1)
	v_and_b32_e32 v19, 0x80000000, v19
	v_or3_b32 v8, v18, v19, v8
.LBB353_1462:                           ;   in Loop: Header=BB353_1069 Depth=1
	s_or_b32 exec_lo, exec_lo, s16
.LBB353_1463:                           ;   in Loop: Header=BB353_1069 Depth=1
	s_delay_alu instid0(SALU_CYCLE_1)
	s_or_b32 exec_lo, exec_lo, s15
.LBB353_1464:                           ;   in Loop: Header=BB353_1069 Depth=1
	s_delay_alu instid0(SALU_CYCLE_1)
	s_or_b32 exec_lo, exec_lo, s14
	v_fma_mixlo_bf16 v72, v86, v7, 0
	v_fma_mixlo_bf16 v73, v86, v6, 0
	;; [unrolled: 1-line block ×8, first 2 shown]
	s_and_saveexec_b32 s14, vcc_lo
	s_cbranch_execz .LBB353_1466
; %bb.1465:                             ;   in Loop: Header=BB353_1069 Depth=1
	scratch_load_b32 v2, off, s32 offset:192 ; 4-byte Folded Reload
	s_wait_loadcnt 0x0
	v_cmp_lt_i32_e64 s0, v115, v2
	s_delay_alu instid0(VALU_DEP_1) | instskip(SKIP_1) | instid1(VALU_DEP_1)
	v_cndmask_b32_e64 v79, 0, v79, s0
	v_cmp_lt_i32_e64 s0, v119, v2
	v_cndmask_b32_e64 v78, 0, v78, s0
	v_cmp_lt_i32_e64 s0, v118, v2
	s_delay_alu instid0(VALU_DEP_1) | instskip(SKIP_1) | instid1(VALU_DEP_1)
	v_cndmask_b32_e64 v77, 0, v77, s0
	v_cmp_lt_i32_e64 s0, v117, v2
	v_cndmask_b32_e64 v76, 0, v76, s0
	;; [unrolled: 5-line block ×4, first 2 shown]
.LBB353_1466:                           ;   in Loop: Header=BB353_1069 Depth=1
	s_wait_xcnt 0x0
	s_or_b32 exec_lo, exec_lo, s14
	flat_load_b64 v[18:19], v[0:1] offset:1536
	v_dual_mov_b32 v3, 0 :: v_dual_mov_b32 v2, 0
	s_mov_b32 s14, exec_lo
	s_wait_loadcnt_dscnt 0x0
	v_and_b32_e32 v4, 0xff, v18
	s_wait_xcnt 0x0
	s_delay_alu instid0(VALU_DEP_1)
	v_cmpx_ne_u16_e32 0, v4
	s_cbranch_execz .LBB353_1474
; %bb.1467:                             ;   in Loop: Header=BB353_1069 Depth=1
	v_bfrev_b32_e32 v2, 1
	s_mov_b32 s15, exec_lo
	v_cmpx_ne_u16_e32 0x80, v4
	s_cbranch_execz .LBB353_1473
; %bb.1468:                             ;   in Loop: Header=BB353_1069 Depth=1
	v_and_b32_e32 v4, 0x7f, v18
	v_mov_b32_e32 v2, 0x7f800001
	s_mov_b32 s16, exec_lo
	s_delay_alu instid0(VALU_DEP_2)
	v_cmpx_ne_u32_e32 0x7f, v4
	s_cbranch_execz .LBB353_1472
; %bb.1469:                             ;   in Loop: Header=BB353_1069 Depth=1
	v_mov_b64_e32 v[22:23], v[18:19]
	v_lshrrev_b32_e32 v2, 3, v4
	s_mov_b32 s17, exec_lo
	v_cmpx_gt_u32_e32 8, v4
; %bb.1470:                             ;   in Loop: Header=BB353_1069 Depth=1
	v_and_b32_e32 v2, 7, v18
	s_delay_alu instid0(VALU_DEP_1) | instskip(NEXT) | instid1(VALU_DEP_1)
	v_clz_i32_u32_e32 v2, v2
	v_min_u32_e32 v2, 32, v2
	s_delay_alu instid0(VALU_DEP_1) | instskip(SKIP_1) | instid1(VALU_DEP_2)
	v_subrev_nc_u32_e32 v4, 28, v2
	v_sub_nc_u32_e32 v2, 29, v2
	v_lshlrev_b64_e32 v[22:23], v4, v[18:19]
; %bb.1471:                             ;   in Loop: Header=BB353_1069 Depth=1
	s_or_b32 exec_lo, exec_lo, s17
	s_delay_alu instid0(VALU_DEP_1) | instskip(SKIP_2) | instid1(VALU_DEP_3)
	v_lshlrev_b32_e32 v4, 20, v22
	v_lshlrev_b32_e32 v5, 24, v18
	v_lshl_add_u32 v2, v2, 23, 0x3c000000
	v_and_b32_e32 v4, 0x700000, v4
	s_delay_alu instid0(VALU_DEP_3) | instskip(NEXT) | instid1(VALU_DEP_1)
	v_and_b32_e32 v5, 0x80000000, v5
	v_or3_b32 v2, v4, v5, v2
.LBB353_1472:                           ;   in Loop: Header=BB353_1069 Depth=1
	s_or_b32 exec_lo, exec_lo, s16
.LBB353_1473:                           ;   in Loop: Header=BB353_1069 Depth=1
	s_delay_alu instid0(SALU_CYCLE_1)
	s_or_b32 exec_lo, exec_lo, s15
.LBB353_1474:                           ;   in Loop: Header=BB353_1069 Depth=1
	s_delay_alu instid0(SALU_CYCLE_1) | instskip(SKIP_2) | instid1(VALU_DEP_1)
	s_or_b32 exec_lo, exec_lo, s14
	v_lshrrev_b16 v4, 8, v18
	s_mov_b32 s14, exec_lo
	v_cmpx_ne_u16_e32 0, v4
	s_cbranch_execz .LBB353_1482
; %bb.1475:                             ;   in Loop: Header=BB353_1069 Depth=1
	v_bfrev_b32_e32 v3, 1
	s_mov_b32 s15, exec_lo
	v_cmpx_ne_u16_e32 0x80, v4
	s_cbranch_execz .LBB353_1481
; %bb.1476:                             ;   in Loop: Header=BB353_1069 Depth=1
	v_and_b32_e32 v5, 0xffff, v4
	v_mov_b32_e32 v3, 0x7f800001
	s_mov_b32 s16, exec_lo
	s_delay_alu instid0(VALU_DEP_2) | instskip(NEXT) | instid1(VALU_DEP_1)
	v_and_b32_e32 v4, 0x7f, v5
	v_cmpx_ne_u32_e32 0x7f, v4
	s_cbranch_execz .LBB353_1480
; %bb.1477:                             ;   in Loop: Header=BB353_1069 Depth=1
	v_dual_lshrrev_b32 v3, 3, v4 :: v_dual_bitop2_b32 v26, 7, v5 bitop3:0x40
	s_mov_b32 s17, exec_lo
	s_delay_alu instid0(VALU_DEP_1)
	v_mov_b64_e32 v[22:23], v[26:27]
	v_cmpx_gt_u32_e32 8, v4
; %bb.1478:                             ;   in Loop: Header=BB353_1069 Depth=1
	v_clz_i32_u32_e32 v3, v26
	s_delay_alu instid0(VALU_DEP_1) | instskip(NEXT) | instid1(VALU_DEP_1)
	v_min_u32_e32 v3, 32, v3
	v_subrev_nc_u32_e32 v4, 28, v3
	s_delay_alu instid0(VALU_DEP_1) | instskip(NEXT) | instid1(VALU_DEP_1)
	v_lshlrev_b64_e32 v[4:5], v4, v[26:27]
	v_dual_sub_nc_u32 v3, 29, v3 :: v_dual_bitop2_b32 v22, 7, v4 bitop3:0x40
; %bb.1479:                             ;   in Loop: Header=BB353_1069 Depth=1
	s_or_b32 exec_lo, exec_lo, s17
	v_lshlrev_b32_e32 v4, 16, v18
	s_delay_alu instid0(VALU_DEP_2) | instskip(NEXT) | instid1(VALU_DEP_3)
	v_lshlrev_b32_e32 v5, 20, v22
	v_lshl_add_u32 v3, v3, 23, 0x3c000000
	s_delay_alu instid0(VALU_DEP_3) | instskip(NEXT) | instid1(VALU_DEP_1)
	v_and_b32_e32 v4, 0x80000000, v4
	v_or3_b32 v3, v5, v4, v3
.LBB353_1480:                           ;   in Loop: Header=BB353_1069 Depth=1
	s_or_b32 exec_lo, exec_lo, s16
.LBB353_1481:                           ;   in Loop: Header=BB353_1069 Depth=1
	s_delay_alu instid0(SALU_CYCLE_1)
	s_or_b32 exec_lo, exec_lo, s15
.LBB353_1482:                           ;   in Loop: Header=BB353_1069 Depth=1
	s_delay_alu instid0(SALU_CYCLE_1) | instskip(SKIP_3) | instid1(VALU_DEP_2)
	s_or_b32 exec_lo, exec_lo, s14
	v_dual_mov_b32 v5, 0 :: v_dual_lshrrev_b32 v6, 16, v18
	v_mov_b32_e32 v4, 0
	s_mov_b32 s14, exec_lo
	v_and_b32_e32 v7, 0xff, v6
	s_delay_alu instid0(VALU_DEP_1)
	v_cmpx_ne_u16_e32 0, v7
	s_cbranch_execz .LBB353_1490
; %bb.1483:                             ;   in Loop: Header=BB353_1069 Depth=1
	v_bfrev_b32_e32 v4, 1
	s_mov_b32 s15, exec_lo
	v_cmpx_ne_u16_e32 0x80, v7
	s_cbranch_execz .LBB353_1489
; %bb.1484:                             ;   in Loop: Header=BB353_1069 Depth=1
	v_bfe_u32 v7, v18, 16, 7
	v_mov_b32_e32 v4, 0x7f800001
	s_mov_b32 s16, exec_lo
	s_delay_alu instid0(VALU_DEP_2)
	v_cmpx_ne_u32_e32 0x7f, v7
	s_cbranch_execz .LBB353_1488
; %bb.1485:                             ;   in Loop: Header=BB353_1069 Depth=1
	v_dual_lshrrev_b32 v4, 3, v7 :: v_dual_bitop2_b32 v26, 7, v6 bitop3:0x40
	s_mov_b32 s17, exec_lo
	s_delay_alu instid0(VALU_DEP_1)
	v_mov_b64_e32 v[22:23], v[26:27]
	v_cmpx_gt_u32_e32 8, v7
; %bb.1486:                             ;   in Loop: Header=BB353_1069 Depth=1
	v_clz_i32_u32_e32 v4, v26
	s_delay_alu instid0(VALU_DEP_1) | instskip(NEXT) | instid1(VALU_DEP_1)
	v_min_u32_e32 v4, 32, v4
	v_subrev_nc_u32_e32 v7, 28, v4
	v_sub_nc_u32_e32 v4, 29, v4
	s_delay_alu instid0(VALU_DEP_2) | instskip(NEXT) | instid1(VALU_DEP_1)
	v_lshlrev_b64_e32 v[8:9], v7, v[26:27]
	v_and_b32_e32 v22, 7, v8
; %bb.1487:                             ;   in Loop: Header=BB353_1069 Depth=1
	s_or_b32 exec_lo, exec_lo, s17
	v_lshlrev_b32_e32 v6, 24, v6
	s_delay_alu instid0(VALU_DEP_2) | instskip(SKIP_1) | instid1(VALU_DEP_3)
	v_lshlrev_b32_e32 v7, 20, v22
	v_lshl_add_u32 v4, v4, 23, 0x3c000000
	v_and_b32_e32 v6, 0x80000000, v6
	s_delay_alu instid0(VALU_DEP_1)
	v_or3_b32 v4, v7, v6, v4
.LBB353_1488:                           ;   in Loop: Header=BB353_1069 Depth=1
	s_or_b32 exec_lo, exec_lo, s16
.LBB353_1489:                           ;   in Loop: Header=BB353_1069 Depth=1
	s_delay_alu instid0(SALU_CYCLE_1)
	s_or_b32 exec_lo, exec_lo, s15
.LBB353_1490:                           ;   in Loop: Header=BB353_1069 Depth=1
	s_delay_alu instid0(SALU_CYCLE_1) | instskip(NEXT) | instid1(SALU_CYCLE_1)
	s_or_b32 exec_lo, exec_lo, s14
	s_mov_b32 s14, exec_lo
	v_cmpx_lt_u32_e32 0xffffff, v18
	s_cbranch_execz .LBB353_1498
; %bb.1491:                             ;   in Loop: Header=BB353_1069 Depth=1
	v_lshrrev_b32_e32 v6, 24, v18
	v_bfrev_b32_e32 v5, 1
	s_mov_b32 s15, exec_lo
	s_delay_alu instid0(VALU_DEP_2)
	v_cmpx_ne_u32_e32 0x80, v6
	s_cbranch_execz .LBB353_1497
; %bb.1492:                             ;   in Loop: Header=BB353_1069 Depth=1
	v_bfe_u32 v7, v18, 24, 7
	v_mov_b32_e32 v5, 0x7f800001
	s_mov_b32 s16, exec_lo
	s_delay_alu instid0(VALU_DEP_2)
	v_cmpx_ne_u32_e32 0x7f, v7
	s_cbranch_execz .LBB353_1496
; %bb.1493:                             ;   in Loop: Header=BB353_1069 Depth=1
	v_dual_lshrrev_b32 v5, 3, v7 :: v_dual_bitop2_b32 v26, 7, v6 bitop3:0x40
	s_mov_b32 s17, exec_lo
	s_delay_alu instid0(VALU_DEP_1)
	v_mov_b64_e32 v[22:23], v[26:27]
	v_cmpx_gt_u32_e32 8, v7
; %bb.1494:                             ;   in Loop: Header=BB353_1069 Depth=1
	v_clz_i32_u32_e32 v5, v26
	s_delay_alu instid0(VALU_DEP_1) | instskip(NEXT) | instid1(VALU_DEP_1)
	v_min_u32_e32 v5, 32, v5
	v_subrev_nc_u32_e32 v7, 28, v5
	s_delay_alu instid0(VALU_DEP_1) | instskip(NEXT) | instid1(VALU_DEP_1)
	v_lshlrev_b64_e32 v[8:9], v7, v[26:27]
	v_dual_sub_nc_u32 v5, 29, v5 :: v_dual_bitop2_b32 v22, 7, v8 bitop3:0x40
; %bb.1495:                             ;   in Loop: Header=BB353_1069 Depth=1
	s_or_b32 exec_lo, exec_lo, s17
	v_lshlrev_b32_e32 v6, 24, v6
	s_delay_alu instid0(VALU_DEP_2) | instskip(NEXT) | instid1(VALU_DEP_3)
	v_lshlrev_b32_e32 v7, 20, v22
	v_lshl_add_u32 v5, v5, 23, 0x3c000000
	s_delay_alu instid0(VALU_DEP_3) | instskip(NEXT) | instid1(VALU_DEP_1)
	v_and_b32_e32 v6, 0x80000000, v6
	v_or3_b32 v5, v7, v6, v5
.LBB353_1496:                           ;   in Loop: Header=BB353_1069 Depth=1
	s_or_b32 exec_lo, exec_lo, s16
.LBB353_1497:                           ;   in Loop: Header=BB353_1069 Depth=1
	s_delay_alu instid0(SALU_CYCLE_1)
	s_or_b32 exec_lo, exec_lo, s15
.LBB353_1498:                           ;   in Loop: Header=BB353_1069 Depth=1
	s_delay_alu instid0(SALU_CYCLE_1) | instskip(SKIP_4) | instid1(VALU_DEP_3)
	s_or_b32 exec_lo, exec_lo, s14
	v_and_b32_e32 v8, 0xff, v19
	v_dual_mov_b32 v26, v19 :: v_dual_mov_b32 v7, 0
	v_mov_b32_e32 v6, 0
	s_mov_b32 s14, exec_lo
	v_cmpx_ne_u16_e32 0, v8
	s_cbranch_execz .LBB353_1506
; %bb.1499:                             ;   in Loop: Header=BB353_1069 Depth=1
	v_bfrev_b32_e32 v6, 1
	s_mov_b32 s15, exec_lo
	v_cmpx_ne_u16_e32 0x80, v8
	s_cbranch_execz .LBB353_1505
; %bb.1500:                             ;   in Loop: Header=BB353_1069 Depth=1
	v_and_b32_e32 v8, 0x7f, v19
	v_mov_b32_e32 v6, 0x7f800001
	s_mov_b32 s16, exec_lo
	s_delay_alu instid0(VALU_DEP_2)
	v_cmpx_ne_u32_e32 0x7f, v8
	s_cbranch_execz .LBB353_1504
; %bb.1501:                             ;   in Loop: Header=BB353_1069 Depth=1
	v_mov_b64_e32 v[22:23], v[26:27]
	v_lshrrev_b32_e32 v6, 3, v8
	s_mov_b32 s17, exec_lo
	v_cmpx_gt_u32_e32 8, v8
; %bb.1502:                             ;   in Loop: Header=BB353_1069 Depth=1
	v_and_b32_e32 v6, 7, v19
	s_delay_alu instid0(VALU_DEP_1) | instskip(NEXT) | instid1(VALU_DEP_1)
	v_clz_i32_u32_e32 v6, v6
	v_min_u32_e32 v6, 32, v6
	s_delay_alu instid0(VALU_DEP_1) | instskip(SKIP_1) | instid1(VALU_DEP_2)
	v_subrev_nc_u32_e32 v8, 28, v6
	v_sub_nc_u32_e32 v6, 29, v6
	v_lshlrev_b64_e32 v[22:23], v8, v[26:27]
; %bb.1503:                             ;   in Loop: Header=BB353_1069 Depth=1
	s_or_b32 exec_lo, exec_lo, s17
	s_delay_alu instid0(VALU_DEP_1) | instskip(SKIP_2) | instid1(VALU_DEP_3)
	v_lshlrev_b32_e32 v8, 20, v22
	v_lshlrev_b32_e32 v9, 24, v26
	v_lshl_add_u32 v6, v6, 23, 0x3c000000
	v_and_b32_e32 v8, 0x700000, v8
	s_delay_alu instid0(VALU_DEP_3) | instskip(NEXT) | instid1(VALU_DEP_1)
	v_and_b32_e32 v9, 0x80000000, v9
	v_or3_b32 v6, v8, v9, v6
.LBB353_1504:                           ;   in Loop: Header=BB353_1069 Depth=1
	s_or_b32 exec_lo, exec_lo, s16
.LBB353_1505:                           ;   in Loop: Header=BB353_1069 Depth=1
	s_delay_alu instid0(SALU_CYCLE_1)
	s_or_b32 exec_lo, exec_lo, s15
.LBB353_1506:                           ;   in Loop: Header=BB353_1069 Depth=1
	s_delay_alu instid0(SALU_CYCLE_1) | instskip(SKIP_2) | instid1(VALU_DEP_1)
	s_or_b32 exec_lo, exec_lo, s14
	v_lshrrev_b16 v8, 8, v26
	s_mov_b32 s14, exec_lo
	v_cmpx_ne_u16_e32 0, v8
	s_cbranch_execz .LBB353_1514
; %bb.1507:                             ;   in Loop: Header=BB353_1069 Depth=1
	v_bfrev_b32_e32 v7, 1
	s_mov_b32 s15, exec_lo
	v_cmpx_ne_u16_e32 0x80, v8
	s_cbranch_execz .LBB353_1513
; %bb.1508:                             ;   in Loop: Header=BB353_1069 Depth=1
	v_and_b32_e32 v9, 0xffff, v8
	v_mov_b32_e32 v7, 0x7f800001
	s_mov_b32 s16, exec_lo
	s_delay_alu instid0(VALU_DEP_2) | instskip(NEXT) | instid1(VALU_DEP_1)
	v_and_b32_e32 v8, 0x7f, v9
	v_cmpx_ne_u32_e32 0x7f, v8
	s_cbranch_execz .LBB353_1512
; %bb.1509:                             ;   in Loop: Header=BB353_1069 Depth=1
	v_dual_mov_b32 v23, v27 :: v_dual_bitop2_b32 v22, 7, v9 bitop3:0x40
	v_lshrrev_b32_e32 v7, 3, v8
	s_mov_b32 s17, exec_lo
	v_cmpx_gt_u32_e32 8, v8
; %bb.1510:                             ;   in Loop: Header=BB353_1069 Depth=1
	s_delay_alu instid0(VALU_DEP_3) | instskip(NEXT) | instid1(VALU_DEP_1)
	v_clz_i32_u32_e32 v7, v22
	v_min_u32_e32 v7, 32, v7
	s_delay_alu instid0(VALU_DEP_1) | instskip(NEXT) | instid1(VALU_DEP_1)
	v_subrev_nc_u32_e32 v8, 28, v7
	v_lshlrev_b64_e32 v[8:9], v8, v[22:23]
	s_delay_alu instid0(VALU_DEP_1)
	v_dual_sub_nc_u32 v7, 29, v7 :: v_dual_bitop2_b32 v22, 7, v8 bitop3:0x40
; %bb.1511:                             ;   in Loop: Header=BB353_1069 Depth=1
	s_or_b32 exec_lo, exec_lo, s17
	v_lshlrev_b32_e32 v8, 16, v26
	s_delay_alu instid0(VALU_DEP_2) | instskip(NEXT) | instid1(VALU_DEP_3)
	v_lshlrev_b32_e32 v9, 20, v22
	v_lshl_add_u32 v7, v7, 23, 0x3c000000
	s_delay_alu instid0(VALU_DEP_3) | instskip(NEXT) | instid1(VALU_DEP_1)
	v_and_b32_e32 v8, 0x80000000, v8
	v_or3_b32 v7, v9, v8, v7
.LBB353_1512:                           ;   in Loop: Header=BB353_1069 Depth=1
	s_or_b32 exec_lo, exec_lo, s16
.LBB353_1513:                           ;   in Loop: Header=BB353_1069 Depth=1
	s_delay_alu instid0(SALU_CYCLE_1)
	s_or_b32 exec_lo, exec_lo, s15
.LBB353_1514:                           ;   in Loop: Header=BB353_1069 Depth=1
	s_delay_alu instid0(SALU_CYCLE_1) | instskip(SKIP_3) | instid1(VALU_DEP_2)
	s_or_b32 exec_lo, exec_lo, s14
	v_dual_lshrrev_b32 v24, 16, v19 :: v_dual_mov_b32 v8, 0
	v_mov_b32_e32 v9, 0
	s_mov_b32 s14, exec_lo
	v_and_b32_e32 v22, 0xff, v24
	s_delay_alu instid0(VALU_DEP_1)
	v_cmpx_ne_u16_e32 0, v22
	s_cbranch_execz .LBB353_1522
; %bb.1515:                             ;   in Loop: Header=BB353_1069 Depth=1
	v_bfrev_b32_e32 v9, 1
	s_mov_b32 s15, exec_lo
	v_cmpx_ne_u16_e32 0x80, v22
	s_cbranch_execz .LBB353_1521
; %bb.1516:                             ;   in Loop: Header=BB353_1069 Depth=1
	v_bfe_u32 v22, v19, 16, 7
	v_mov_b32_e32 v9, 0x7f800001
	s_mov_b32 s16, exec_lo
	s_delay_alu instid0(VALU_DEP_2)
	v_cmpx_ne_u32_e32 0x7f, v22
	s_cbranch_execz .LBB353_1520
; %bb.1517:                             ;   in Loop: Header=BB353_1069 Depth=1
	v_dual_lshrrev_b32 v9, 3, v22 :: v_dual_bitop2_b32 v26, 7, v24 bitop3:0x40
	v_cmp_gt_u32_e64 s0, 8, v22
	s_delay_alu instid0(VALU_DEP_2)
	v_mov_b64_e32 v[22:23], v[26:27]
	s_and_saveexec_b32 s17, s0
; %bb.1518:                             ;   in Loop: Header=BB353_1069 Depth=1
	v_clz_i32_u32_e32 v9, v26
	s_delay_alu instid0(VALU_DEP_1) | instskip(NEXT) | instid1(VALU_DEP_1)
	v_min_u32_e32 v9, 32, v9
	v_subrev_nc_u32_e32 v22, 28, v9
	s_delay_alu instid0(VALU_DEP_1) | instskip(NEXT) | instid1(VALU_DEP_1)
	v_lshlrev_b64_e32 v[22:23], v22, v[26:27]
	v_dual_sub_nc_u32 v9, 29, v9 :: v_dual_bitop2_b32 v22, 7, v22 bitop3:0x40
; %bb.1519:                             ;   in Loop: Header=BB353_1069 Depth=1
	s_or_b32 exec_lo, exec_lo, s17
	s_delay_alu instid0(VALU_DEP_1) | instskip(NEXT) | instid1(VALU_DEP_2)
	v_dual_lshlrev_b32 v23, 24, v24 :: v_dual_lshlrev_b32 v22, 20, v22
	v_lshl_add_u32 v9, v9, 23, 0x3c000000
	s_delay_alu instid0(VALU_DEP_2) | instskip(NEXT) | instid1(VALU_DEP_1)
	v_and_b32_e32 v23, 0x80000000, v23
	v_or3_b32 v9, v22, v23, v9
.LBB353_1520:                           ;   in Loop: Header=BB353_1069 Depth=1
	s_or_b32 exec_lo, exec_lo, s16
.LBB353_1521:                           ;   in Loop: Header=BB353_1069 Depth=1
	s_delay_alu instid0(SALU_CYCLE_1)
	s_or_b32 exec_lo, exec_lo, s15
.LBB353_1522:                           ;   in Loop: Header=BB353_1069 Depth=1
	s_delay_alu instid0(SALU_CYCLE_1) | instskip(NEXT) | instid1(SALU_CYCLE_1)
	s_or_b32 exec_lo, exec_lo, s14
	s_mov_b32 s14, exec_lo
	v_cmpx_lt_u64_e64 s[2:3], v[18:19]
	s_cbranch_execz .LBB353_1530
; %bb.1523:                             ;   in Loop: Header=BB353_1069 Depth=1
	v_lshrrev_b32_e32 v22, 24, v19
	v_bfrev_b32_e32 v8, 1
	s_mov_b32 s15, exec_lo
	s_delay_alu instid0(VALU_DEP_2)
	v_cmpx_ne_u32_e32 0x80, v22
	s_cbranch_execz .LBB353_1529
; %bb.1524:                             ;   in Loop: Header=BB353_1069 Depth=1
	v_bfe_u32 v18, v19, 24, 7
	v_mov_b32_e32 v8, 0x7f800001
	s_mov_b32 s16, exec_lo
	s_delay_alu instid0(VALU_DEP_2)
	v_cmpx_ne_u32_e32 0x7f, v18
	s_cbranch_execz .LBB353_1528
; %bb.1525:                             ;   in Loop: Header=BB353_1069 Depth=1
	v_and_b32_e32 v26, 7, v22
	v_lshrrev_b32_e32 v8, 3, v18
	v_cmp_gt_u32_e64 s0, 8, v18
	s_delay_alu instid0(VALU_DEP_3)
	v_mov_b64_e32 v[18:19], v[26:27]
	s_and_saveexec_b32 s17, s0
; %bb.1526:                             ;   in Loop: Header=BB353_1069 Depth=1
	v_clz_i32_u32_e32 v8, v26
	s_delay_alu instid0(VALU_DEP_1) | instskip(NEXT) | instid1(VALU_DEP_1)
	v_min_u32_e32 v8, 32, v8
	v_subrev_nc_u32_e32 v18, 28, v8
	s_delay_alu instid0(VALU_DEP_1) | instskip(NEXT) | instid1(VALU_DEP_1)
	v_lshlrev_b64_e32 v[18:19], v18, v[26:27]
	v_dual_sub_nc_u32 v8, 29, v8 :: v_dual_bitop2_b32 v18, 7, v18 bitop3:0x40
; %bb.1527:                             ;   in Loop: Header=BB353_1069 Depth=1
	s_or_b32 exec_lo, exec_lo, s17
	v_lshlrev_b32_e32 v19, 24, v22
	s_delay_alu instid0(VALU_DEP_2) | instskip(NEXT) | instid1(VALU_DEP_3)
	v_lshlrev_b32_e32 v18, 20, v18
	v_lshl_add_u32 v8, v8, 23, 0x3c000000
	s_delay_alu instid0(VALU_DEP_3) | instskip(NEXT) | instid1(VALU_DEP_1)
	v_and_b32_e32 v19, 0x80000000, v19
	v_or3_b32 v8, v18, v19, v8
.LBB353_1528:                           ;   in Loop: Header=BB353_1069 Depth=1
	s_or_b32 exec_lo, exec_lo, s16
.LBB353_1529:                           ;   in Loop: Header=BB353_1069 Depth=1
	s_delay_alu instid0(SALU_CYCLE_1)
	s_or_b32 exec_lo, exec_lo, s15
.LBB353_1530:                           ;   in Loop: Header=BB353_1069 Depth=1
	s_delay_alu instid0(SALU_CYCLE_1)
	s_or_b32 exec_lo, exec_lo, s14
	v_fma_mixlo_bf16 v88, v86, v7, 0
	v_fma_mixlo_bf16 v89, v86, v6, 0
	;; [unrolled: 1-line block ×8, first 2 shown]
	s_and_saveexec_b32 s14, vcc_lo
	s_cbranch_execz .LBB353_1532
; %bb.1531:                             ;   in Loop: Header=BB353_1069 Depth=1
	scratch_load_b32 v2, off, s32 offset:192 ; 4-byte Folded Reload
	s_wait_loadcnt 0x0
	v_cmp_lt_i32_e64 s0, v115, v2
	s_delay_alu instid0(VALU_DEP_1) | instskip(SKIP_1) | instid1(VALU_DEP_1)
	v_cndmask_b32_e64 v95, 0, v95, s0
	v_cmp_lt_i32_e64 s0, v119, v2
	v_cndmask_b32_e64 v94, 0, v94, s0
	v_cmp_lt_i32_e64 s0, v118, v2
	s_delay_alu instid0(VALU_DEP_1) | instskip(SKIP_1) | instid1(VALU_DEP_1)
	v_cndmask_b32_e64 v93, 0, v93, s0
	v_cmp_lt_i32_e64 s0, v117, v2
	v_cndmask_b32_e64 v92, 0, v92, s0
	;; [unrolled: 5-line block ×4, first 2 shown]
.LBB353_1532:                           ;   in Loop: Header=BB353_1069 Depth=1
	s_wait_xcnt 0x0
	s_or_b32 exec_lo, exec_lo, s14
	flat_load_b64 v[18:19], v[0:1] offset:1792
	v_dual_mov_b32 v3, 0 :: v_dual_mov_b32 v2, 0
	s_mov_b32 s14, exec_lo
	s_wait_loadcnt_dscnt 0x0
	v_and_b32_e32 v4, 0xff, v18
	s_wait_xcnt 0x0
	s_delay_alu instid0(VALU_DEP_1)
	v_cmpx_ne_u16_e32 0, v4
	s_cbranch_execz .LBB353_1540
; %bb.1533:                             ;   in Loop: Header=BB353_1069 Depth=1
	v_bfrev_b32_e32 v2, 1
	s_mov_b32 s15, exec_lo
	v_cmpx_ne_u16_e32 0x80, v4
	s_cbranch_execz .LBB353_1539
; %bb.1534:                             ;   in Loop: Header=BB353_1069 Depth=1
	v_and_b32_e32 v4, 0x7f, v18
	v_mov_b32_e32 v2, 0x7f800001
	s_mov_b32 s16, exec_lo
	s_delay_alu instid0(VALU_DEP_2)
	v_cmpx_ne_u32_e32 0x7f, v4
	s_cbranch_execz .LBB353_1538
; %bb.1535:                             ;   in Loop: Header=BB353_1069 Depth=1
	v_mov_b64_e32 v[22:23], v[18:19]
	v_lshrrev_b32_e32 v2, 3, v4
	s_mov_b32 s17, exec_lo
	v_cmpx_gt_u32_e32 8, v4
; %bb.1536:                             ;   in Loop: Header=BB353_1069 Depth=1
	v_and_b32_e32 v2, 7, v18
	s_delay_alu instid0(VALU_DEP_1) | instskip(NEXT) | instid1(VALU_DEP_1)
	v_clz_i32_u32_e32 v2, v2
	v_min_u32_e32 v2, 32, v2
	s_delay_alu instid0(VALU_DEP_1) | instskip(SKIP_1) | instid1(VALU_DEP_2)
	v_subrev_nc_u32_e32 v4, 28, v2
	v_sub_nc_u32_e32 v2, 29, v2
	v_lshlrev_b64_e32 v[22:23], v4, v[18:19]
; %bb.1537:                             ;   in Loop: Header=BB353_1069 Depth=1
	s_or_b32 exec_lo, exec_lo, s17
	s_delay_alu instid0(VALU_DEP_1) | instskip(SKIP_2) | instid1(VALU_DEP_3)
	v_lshlrev_b32_e32 v4, 20, v22
	v_lshlrev_b32_e32 v5, 24, v18
	v_lshl_add_u32 v2, v2, 23, 0x3c000000
	v_and_b32_e32 v4, 0x700000, v4
	s_delay_alu instid0(VALU_DEP_3) | instskip(NEXT) | instid1(VALU_DEP_1)
	v_and_b32_e32 v5, 0x80000000, v5
	v_or3_b32 v2, v4, v5, v2
.LBB353_1538:                           ;   in Loop: Header=BB353_1069 Depth=1
	s_or_b32 exec_lo, exec_lo, s16
.LBB353_1539:                           ;   in Loop: Header=BB353_1069 Depth=1
	s_delay_alu instid0(SALU_CYCLE_1)
	s_or_b32 exec_lo, exec_lo, s15
.LBB353_1540:                           ;   in Loop: Header=BB353_1069 Depth=1
	s_delay_alu instid0(SALU_CYCLE_1) | instskip(SKIP_2) | instid1(VALU_DEP_1)
	s_or_b32 exec_lo, exec_lo, s14
	v_lshrrev_b16 v4, 8, v18
	s_mov_b32 s14, exec_lo
	v_cmpx_ne_u16_e32 0, v4
	s_cbranch_execz .LBB353_1548
; %bb.1541:                             ;   in Loop: Header=BB353_1069 Depth=1
	v_bfrev_b32_e32 v3, 1
	s_mov_b32 s15, exec_lo
	v_cmpx_ne_u16_e32 0x80, v4
	s_cbranch_execz .LBB353_1547
; %bb.1542:                             ;   in Loop: Header=BB353_1069 Depth=1
	v_and_b32_e32 v5, 0xffff, v4
	v_mov_b32_e32 v3, 0x7f800001
	s_mov_b32 s16, exec_lo
	s_delay_alu instid0(VALU_DEP_2) | instskip(NEXT) | instid1(VALU_DEP_1)
	v_and_b32_e32 v4, 0x7f, v5
	v_cmpx_ne_u32_e32 0x7f, v4
	s_cbranch_execz .LBB353_1546
; %bb.1543:                             ;   in Loop: Header=BB353_1069 Depth=1
	v_dual_lshrrev_b32 v3, 3, v4 :: v_dual_bitop2_b32 v26, 7, v5 bitop3:0x40
	s_mov_b32 s17, exec_lo
	s_delay_alu instid0(VALU_DEP_1)
	v_mov_b64_e32 v[22:23], v[26:27]
	v_cmpx_gt_u32_e32 8, v4
; %bb.1544:                             ;   in Loop: Header=BB353_1069 Depth=1
	v_clz_i32_u32_e32 v3, v26
	s_delay_alu instid0(VALU_DEP_1) | instskip(NEXT) | instid1(VALU_DEP_1)
	v_min_u32_e32 v3, 32, v3
	v_subrev_nc_u32_e32 v4, 28, v3
	s_delay_alu instid0(VALU_DEP_1) | instskip(NEXT) | instid1(VALU_DEP_1)
	v_lshlrev_b64_e32 v[4:5], v4, v[26:27]
	v_dual_sub_nc_u32 v3, 29, v3 :: v_dual_bitop2_b32 v22, 7, v4 bitop3:0x40
; %bb.1545:                             ;   in Loop: Header=BB353_1069 Depth=1
	s_or_b32 exec_lo, exec_lo, s17
	v_lshlrev_b32_e32 v4, 16, v18
	s_delay_alu instid0(VALU_DEP_2) | instskip(NEXT) | instid1(VALU_DEP_3)
	v_lshlrev_b32_e32 v5, 20, v22
	v_lshl_add_u32 v3, v3, 23, 0x3c000000
	s_delay_alu instid0(VALU_DEP_3) | instskip(NEXT) | instid1(VALU_DEP_1)
	v_and_b32_e32 v4, 0x80000000, v4
	v_or3_b32 v3, v5, v4, v3
.LBB353_1546:                           ;   in Loop: Header=BB353_1069 Depth=1
	s_or_b32 exec_lo, exec_lo, s16
.LBB353_1547:                           ;   in Loop: Header=BB353_1069 Depth=1
	s_delay_alu instid0(SALU_CYCLE_1)
	s_or_b32 exec_lo, exec_lo, s15
.LBB353_1548:                           ;   in Loop: Header=BB353_1069 Depth=1
	s_delay_alu instid0(SALU_CYCLE_1) | instskip(SKIP_3) | instid1(VALU_DEP_2)
	s_or_b32 exec_lo, exec_lo, s14
	v_dual_mov_b32 v5, 0 :: v_dual_lshrrev_b32 v6, 16, v18
	v_mov_b32_e32 v4, 0
	s_mov_b32 s14, exec_lo
	v_and_b32_e32 v7, 0xff, v6
	s_delay_alu instid0(VALU_DEP_1)
	v_cmpx_ne_u16_e32 0, v7
	s_cbranch_execz .LBB353_1556
; %bb.1549:                             ;   in Loop: Header=BB353_1069 Depth=1
	v_bfrev_b32_e32 v4, 1
	s_mov_b32 s15, exec_lo
	v_cmpx_ne_u16_e32 0x80, v7
	s_cbranch_execz .LBB353_1555
; %bb.1550:                             ;   in Loop: Header=BB353_1069 Depth=1
	v_bfe_u32 v7, v18, 16, 7
	v_mov_b32_e32 v4, 0x7f800001
	s_mov_b32 s16, exec_lo
	s_delay_alu instid0(VALU_DEP_2)
	v_cmpx_ne_u32_e32 0x7f, v7
	s_cbranch_execz .LBB353_1554
; %bb.1551:                             ;   in Loop: Header=BB353_1069 Depth=1
	v_dual_lshrrev_b32 v4, 3, v7 :: v_dual_bitop2_b32 v26, 7, v6 bitop3:0x40
	s_mov_b32 s17, exec_lo
	s_delay_alu instid0(VALU_DEP_1)
	v_mov_b64_e32 v[22:23], v[26:27]
	v_cmpx_gt_u32_e32 8, v7
; %bb.1552:                             ;   in Loop: Header=BB353_1069 Depth=1
	v_clz_i32_u32_e32 v4, v26
	s_delay_alu instid0(VALU_DEP_1) | instskip(NEXT) | instid1(VALU_DEP_1)
	v_min_u32_e32 v4, 32, v4
	v_subrev_nc_u32_e32 v7, 28, v4
	v_sub_nc_u32_e32 v4, 29, v4
	s_delay_alu instid0(VALU_DEP_2) | instskip(NEXT) | instid1(VALU_DEP_1)
	v_lshlrev_b64_e32 v[8:9], v7, v[26:27]
	v_and_b32_e32 v22, 7, v8
; %bb.1553:                             ;   in Loop: Header=BB353_1069 Depth=1
	s_or_b32 exec_lo, exec_lo, s17
	v_lshlrev_b32_e32 v6, 24, v6
	s_delay_alu instid0(VALU_DEP_2) | instskip(SKIP_1) | instid1(VALU_DEP_3)
	v_lshlrev_b32_e32 v7, 20, v22
	v_lshl_add_u32 v4, v4, 23, 0x3c000000
	v_and_b32_e32 v6, 0x80000000, v6
	s_delay_alu instid0(VALU_DEP_1)
	v_or3_b32 v4, v7, v6, v4
.LBB353_1554:                           ;   in Loop: Header=BB353_1069 Depth=1
	s_or_b32 exec_lo, exec_lo, s16
.LBB353_1555:                           ;   in Loop: Header=BB353_1069 Depth=1
	s_delay_alu instid0(SALU_CYCLE_1)
	s_or_b32 exec_lo, exec_lo, s15
.LBB353_1556:                           ;   in Loop: Header=BB353_1069 Depth=1
	s_delay_alu instid0(SALU_CYCLE_1) | instskip(NEXT) | instid1(SALU_CYCLE_1)
	s_or_b32 exec_lo, exec_lo, s14
	s_mov_b32 s14, exec_lo
	v_cmpx_lt_u32_e32 0xffffff, v18
	s_cbranch_execz .LBB353_1564
; %bb.1557:                             ;   in Loop: Header=BB353_1069 Depth=1
	v_lshrrev_b32_e32 v6, 24, v18
	v_bfrev_b32_e32 v5, 1
	s_mov_b32 s15, exec_lo
	s_delay_alu instid0(VALU_DEP_2)
	v_cmpx_ne_u32_e32 0x80, v6
	s_cbranch_execz .LBB353_1563
; %bb.1558:                             ;   in Loop: Header=BB353_1069 Depth=1
	v_bfe_u32 v7, v18, 24, 7
	v_mov_b32_e32 v5, 0x7f800001
	s_mov_b32 s16, exec_lo
	s_delay_alu instid0(VALU_DEP_2)
	v_cmpx_ne_u32_e32 0x7f, v7
	s_cbranch_execz .LBB353_1562
; %bb.1559:                             ;   in Loop: Header=BB353_1069 Depth=1
	v_dual_lshrrev_b32 v5, 3, v7 :: v_dual_bitop2_b32 v26, 7, v6 bitop3:0x40
	s_mov_b32 s17, exec_lo
	s_delay_alu instid0(VALU_DEP_1)
	v_mov_b64_e32 v[22:23], v[26:27]
	v_cmpx_gt_u32_e32 8, v7
; %bb.1560:                             ;   in Loop: Header=BB353_1069 Depth=1
	v_clz_i32_u32_e32 v5, v26
	s_delay_alu instid0(VALU_DEP_1) | instskip(NEXT) | instid1(VALU_DEP_1)
	v_min_u32_e32 v5, 32, v5
	v_subrev_nc_u32_e32 v7, 28, v5
	s_delay_alu instid0(VALU_DEP_1) | instskip(NEXT) | instid1(VALU_DEP_1)
	v_lshlrev_b64_e32 v[8:9], v7, v[26:27]
	v_dual_sub_nc_u32 v5, 29, v5 :: v_dual_bitop2_b32 v22, 7, v8 bitop3:0x40
; %bb.1561:                             ;   in Loop: Header=BB353_1069 Depth=1
	s_or_b32 exec_lo, exec_lo, s17
	v_lshlrev_b32_e32 v6, 24, v6
	s_delay_alu instid0(VALU_DEP_2) | instskip(NEXT) | instid1(VALU_DEP_3)
	v_lshlrev_b32_e32 v7, 20, v22
	v_lshl_add_u32 v5, v5, 23, 0x3c000000
	s_delay_alu instid0(VALU_DEP_3) | instskip(NEXT) | instid1(VALU_DEP_1)
	v_and_b32_e32 v6, 0x80000000, v6
	v_or3_b32 v5, v7, v6, v5
.LBB353_1562:                           ;   in Loop: Header=BB353_1069 Depth=1
	s_or_b32 exec_lo, exec_lo, s16
.LBB353_1563:                           ;   in Loop: Header=BB353_1069 Depth=1
	s_delay_alu instid0(SALU_CYCLE_1)
	s_or_b32 exec_lo, exec_lo, s15
.LBB353_1564:                           ;   in Loop: Header=BB353_1069 Depth=1
	s_delay_alu instid0(SALU_CYCLE_1) | instskip(SKIP_4) | instid1(VALU_DEP_3)
	s_or_b32 exec_lo, exec_lo, s14
	v_and_b32_e32 v8, 0xff, v19
	v_dual_mov_b32 v26, v19 :: v_dual_mov_b32 v7, 0
	v_mov_b32_e32 v6, 0
	s_mov_b32 s14, exec_lo
	v_cmpx_ne_u16_e32 0, v8
	s_cbranch_execz .LBB353_1572
; %bb.1565:                             ;   in Loop: Header=BB353_1069 Depth=1
	v_bfrev_b32_e32 v6, 1
	s_mov_b32 s15, exec_lo
	v_cmpx_ne_u16_e32 0x80, v8
	s_cbranch_execz .LBB353_1571
; %bb.1566:                             ;   in Loop: Header=BB353_1069 Depth=1
	v_and_b32_e32 v8, 0x7f, v19
	v_mov_b32_e32 v6, 0x7f800001
	s_mov_b32 s16, exec_lo
	s_delay_alu instid0(VALU_DEP_2)
	v_cmpx_ne_u32_e32 0x7f, v8
	s_cbranch_execz .LBB353_1570
; %bb.1567:                             ;   in Loop: Header=BB353_1069 Depth=1
	v_mov_b64_e32 v[22:23], v[26:27]
	v_lshrrev_b32_e32 v6, 3, v8
	s_mov_b32 s17, exec_lo
	v_cmpx_gt_u32_e32 8, v8
; %bb.1568:                             ;   in Loop: Header=BB353_1069 Depth=1
	v_and_b32_e32 v6, 7, v19
	s_delay_alu instid0(VALU_DEP_1) | instskip(NEXT) | instid1(VALU_DEP_1)
	v_clz_i32_u32_e32 v6, v6
	v_min_u32_e32 v6, 32, v6
	s_delay_alu instid0(VALU_DEP_1) | instskip(SKIP_1) | instid1(VALU_DEP_2)
	v_subrev_nc_u32_e32 v8, 28, v6
	v_sub_nc_u32_e32 v6, 29, v6
	v_lshlrev_b64_e32 v[22:23], v8, v[26:27]
; %bb.1569:                             ;   in Loop: Header=BB353_1069 Depth=1
	s_or_b32 exec_lo, exec_lo, s17
	s_delay_alu instid0(VALU_DEP_1) | instskip(SKIP_2) | instid1(VALU_DEP_3)
	v_lshlrev_b32_e32 v8, 20, v22
	v_lshlrev_b32_e32 v9, 24, v26
	v_lshl_add_u32 v6, v6, 23, 0x3c000000
	v_and_b32_e32 v8, 0x700000, v8
	s_delay_alu instid0(VALU_DEP_3) | instskip(NEXT) | instid1(VALU_DEP_1)
	v_and_b32_e32 v9, 0x80000000, v9
	v_or3_b32 v6, v8, v9, v6
.LBB353_1570:                           ;   in Loop: Header=BB353_1069 Depth=1
	s_or_b32 exec_lo, exec_lo, s16
.LBB353_1571:                           ;   in Loop: Header=BB353_1069 Depth=1
	s_delay_alu instid0(SALU_CYCLE_1)
	s_or_b32 exec_lo, exec_lo, s15
.LBB353_1572:                           ;   in Loop: Header=BB353_1069 Depth=1
	s_delay_alu instid0(SALU_CYCLE_1) | instskip(SKIP_2) | instid1(VALU_DEP_1)
	s_or_b32 exec_lo, exec_lo, s14
	v_lshrrev_b16 v8, 8, v26
	s_mov_b32 s14, exec_lo
	v_cmpx_ne_u16_e32 0, v8
	s_cbranch_execz .LBB353_1580
; %bb.1573:                             ;   in Loop: Header=BB353_1069 Depth=1
	v_bfrev_b32_e32 v7, 1
	s_mov_b32 s15, exec_lo
	v_cmpx_ne_u16_e32 0x80, v8
	s_cbranch_execz .LBB353_1579
; %bb.1574:                             ;   in Loop: Header=BB353_1069 Depth=1
	v_and_b32_e32 v9, 0xffff, v8
	v_mov_b32_e32 v7, 0x7f800001
	s_mov_b32 s16, exec_lo
	s_delay_alu instid0(VALU_DEP_2) | instskip(NEXT) | instid1(VALU_DEP_1)
	v_and_b32_e32 v8, 0x7f, v9
	v_cmpx_ne_u32_e32 0x7f, v8
	s_cbranch_execz .LBB353_1578
; %bb.1575:                             ;   in Loop: Header=BB353_1069 Depth=1
	v_dual_mov_b32 v23, v27 :: v_dual_bitop2_b32 v22, 7, v9 bitop3:0x40
	v_lshrrev_b32_e32 v7, 3, v8
	s_mov_b32 s17, exec_lo
	v_cmpx_gt_u32_e32 8, v8
; %bb.1576:                             ;   in Loop: Header=BB353_1069 Depth=1
	s_delay_alu instid0(VALU_DEP_3) | instskip(NEXT) | instid1(VALU_DEP_1)
	v_clz_i32_u32_e32 v7, v22
	v_min_u32_e32 v7, 32, v7
	s_delay_alu instid0(VALU_DEP_1) | instskip(NEXT) | instid1(VALU_DEP_1)
	v_subrev_nc_u32_e32 v8, 28, v7
	v_lshlrev_b64_e32 v[8:9], v8, v[22:23]
	s_delay_alu instid0(VALU_DEP_1)
	v_dual_sub_nc_u32 v7, 29, v7 :: v_dual_bitop2_b32 v22, 7, v8 bitop3:0x40
; %bb.1577:                             ;   in Loop: Header=BB353_1069 Depth=1
	s_or_b32 exec_lo, exec_lo, s17
	v_lshlrev_b32_e32 v8, 16, v26
	s_delay_alu instid0(VALU_DEP_2) | instskip(NEXT) | instid1(VALU_DEP_3)
	v_lshlrev_b32_e32 v9, 20, v22
	v_lshl_add_u32 v7, v7, 23, 0x3c000000
	s_delay_alu instid0(VALU_DEP_3) | instskip(NEXT) | instid1(VALU_DEP_1)
	v_and_b32_e32 v8, 0x80000000, v8
	v_or3_b32 v7, v9, v8, v7
.LBB353_1578:                           ;   in Loop: Header=BB353_1069 Depth=1
	s_or_b32 exec_lo, exec_lo, s16
.LBB353_1579:                           ;   in Loop: Header=BB353_1069 Depth=1
	s_delay_alu instid0(SALU_CYCLE_1)
	s_or_b32 exec_lo, exec_lo, s15
.LBB353_1580:                           ;   in Loop: Header=BB353_1069 Depth=1
	s_delay_alu instid0(SALU_CYCLE_1) | instskip(SKIP_3) | instid1(VALU_DEP_2)
	s_or_b32 exec_lo, exec_lo, s14
	v_dual_lshrrev_b32 v24, 16, v19 :: v_dual_mov_b32 v8, 0
	v_mov_b32_e32 v9, 0
	s_mov_b32 s14, exec_lo
	v_and_b32_e32 v22, 0xff, v24
	s_delay_alu instid0(VALU_DEP_1)
	v_cmpx_ne_u16_e32 0, v22
	s_cbranch_execz .LBB353_1588
; %bb.1581:                             ;   in Loop: Header=BB353_1069 Depth=1
	v_bfrev_b32_e32 v9, 1
	s_mov_b32 s15, exec_lo
	v_cmpx_ne_u16_e32 0x80, v22
	s_cbranch_execz .LBB353_1587
; %bb.1582:                             ;   in Loop: Header=BB353_1069 Depth=1
	v_bfe_u32 v22, v19, 16, 7
	v_mov_b32_e32 v9, 0x7f800001
	s_mov_b32 s16, exec_lo
	s_delay_alu instid0(VALU_DEP_2)
	v_cmpx_ne_u32_e32 0x7f, v22
	s_cbranch_execz .LBB353_1586
; %bb.1583:                             ;   in Loop: Header=BB353_1069 Depth=1
	v_dual_lshrrev_b32 v9, 3, v22 :: v_dual_bitop2_b32 v26, 7, v24 bitop3:0x40
	v_cmp_gt_u32_e64 s0, 8, v22
	s_delay_alu instid0(VALU_DEP_2)
	v_mov_b64_e32 v[22:23], v[26:27]
	s_and_saveexec_b32 s17, s0
; %bb.1584:                             ;   in Loop: Header=BB353_1069 Depth=1
	v_clz_i32_u32_e32 v9, v26
	s_delay_alu instid0(VALU_DEP_1) | instskip(NEXT) | instid1(VALU_DEP_1)
	v_min_u32_e32 v9, 32, v9
	v_subrev_nc_u32_e32 v22, 28, v9
	s_delay_alu instid0(VALU_DEP_1) | instskip(NEXT) | instid1(VALU_DEP_1)
	v_lshlrev_b64_e32 v[22:23], v22, v[26:27]
	v_dual_sub_nc_u32 v9, 29, v9 :: v_dual_bitop2_b32 v22, 7, v22 bitop3:0x40
; %bb.1585:                             ;   in Loop: Header=BB353_1069 Depth=1
	s_or_b32 exec_lo, exec_lo, s17
	s_delay_alu instid0(VALU_DEP_1) | instskip(NEXT) | instid1(VALU_DEP_2)
	v_dual_lshlrev_b32 v23, 24, v24 :: v_dual_lshlrev_b32 v22, 20, v22
	v_lshl_add_u32 v9, v9, 23, 0x3c000000
	s_delay_alu instid0(VALU_DEP_2) | instskip(NEXT) | instid1(VALU_DEP_1)
	v_and_b32_e32 v23, 0x80000000, v23
	v_or3_b32 v9, v22, v23, v9
.LBB353_1586:                           ;   in Loop: Header=BB353_1069 Depth=1
	s_or_b32 exec_lo, exec_lo, s16
.LBB353_1587:                           ;   in Loop: Header=BB353_1069 Depth=1
	s_delay_alu instid0(SALU_CYCLE_1)
	s_or_b32 exec_lo, exec_lo, s15
.LBB353_1588:                           ;   in Loop: Header=BB353_1069 Depth=1
	s_delay_alu instid0(SALU_CYCLE_1) | instskip(NEXT) | instid1(SALU_CYCLE_1)
	s_or_b32 exec_lo, exec_lo, s14
	s_mov_b32 s14, exec_lo
	v_cmpx_lt_u64_e64 s[2:3], v[18:19]
	s_cbranch_execz .LBB353_1596
; %bb.1589:                             ;   in Loop: Header=BB353_1069 Depth=1
	v_lshrrev_b32_e32 v22, 24, v19
	v_bfrev_b32_e32 v8, 1
	s_mov_b32 s15, exec_lo
	s_delay_alu instid0(VALU_DEP_2)
	v_cmpx_ne_u32_e32 0x80, v22
	s_cbranch_execz .LBB353_1595
; %bb.1590:                             ;   in Loop: Header=BB353_1069 Depth=1
	v_bfe_u32 v18, v19, 24, 7
	v_mov_b32_e32 v8, 0x7f800001
	s_mov_b32 s16, exec_lo
	s_delay_alu instid0(VALU_DEP_2)
	v_cmpx_ne_u32_e32 0x7f, v18
	s_cbranch_execz .LBB353_1594
; %bb.1591:                             ;   in Loop: Header=BB353_1069 Depth=1
	v_and_b32_e32 v26, 7, v22
	v_lshrrev_b32_e32 v8, 3, v18
	v_cmp_gt_u32_e64 s0, 8, v18
	s_delay_alu instid0(VALU_DEP_3)
	v_mov_b64_e32 v[18:19], v[26:27]
	s_and_saveexec_b32 s17, s0
; %bb.1592:                             ;   in Loop: Header=BB353_1069 Depth=1
	v_clz_i32_u32_e32 v8, v26
	s_delay_alu instid0(VALU_DEP_1) | instskip(NEXT) | instid1(VALU_DEP_1)
	v_min_u32_e32 v8, 32, v8
	v_subrev_nc_u32_e32 v18, 28, v8
	s_delay_alu instid0(VALU_DEP_1) | instskip(NEXT) | instid1(VALU_DEP_1)
	v_lshlrev_b64_e32 v[18:19], v18, v[26:27]
	v_dual_sub_nc_u32 v8, 29, v8 :: v_dual_bitop2_b32 v18, 7, v18 bitop3:0x40
; %bb.1593:                             ;   in Loop: Header=BB353_1069 Depth=1
	s_or_b32 exec_lo, exec_lo, s17
	v_lshlrev_b32_e32 v19, 24, v22
	s_delay_alu instid0(VALU_DEP_2) | instskip(NEXT) | instid1(VALU_DEP_3)
	v_lshlrev_b32_e32 v18, 20, v18
	v_lshl_add_u32 v8, v8, 23, 0x3c000000
	s_delay_alu instid0(VALU_DEP_3) | instskip(NEXT) | instid1(VALU_DEP_1)
	v_and_b32_e32 v19, 0x80000000, v19
	v_or3_b32 v8, v18, v19, v8
.LBB353_1594:                           ;   in Loop: Header=BB353_1069 Depth=1
	s_or_b32 exec_lo, exec_lo, s16
.LBB353_1595:                           ;   in Loop: Header=BB353_1069 Depth=1
	s_delay_alu instid0(SALU_CYCLE_1)
	s_or_b32 exec_lo, exec_lo, s15
.LBB353_1596:                           ;   in Loop: Header=BB353_1069 Depth=1
	s_delay_alu instid0(SALU_CYCLE_1)
	s_or_b32 exec_lo, exec_lo, s14
	v_fma_mixlo_bf16 v104, v86, v7, 0
	v_fma_mixlo_bf16 v105, v86, v6, 0
	;; [unrolled: 1-line block ×8, first 2 shown]
	s_and_saveexec_b32 s14, vcc_lo
	s_cbranch_execz .LBB353_1598
; %bb.1597:                             ;   in Loop: Header=BB353_1069 Depth=1
	scratch_load_b32 v2, off, s32 offset:192 ; 4-byte Folded Reload
	s_wait_loadcnt 0x0
	v_cmp_lt_i32_e64 s0, v115, v2
	s_delay_alu instid0(VALU_DEP_1) | instskip(SKIP_1) | instid1(VALU_DEP_1)
	v_cndmask_b32_e64 v111, 0, v111, s0
	v_cmp_lt_i32_e64 s0, v119, v2
	v_cndmask_b32_e64 v110, 0, v110, s0
	v_cmp_lt_i32_e64 s0, v118, v2
	s_delay_alu instid0(VALU_DEP_1) | instskip(SKIP_1) | instid1(VALU_DEP_1)
	v_cndmask_b32_e64 v109, 0, v109, s0
	v_cmp_lt_i32_e64 s0, v117, v2
	v_cndmask_b32_e64 v108, 0, v108, s0
	;; [unrolled: 5-line block ×4, first 2 shown]
.LBB353_1598:                           ;   in Loop: Header=BB353_1069 Depth=1
	s_wait_xcnt 0x0
	s_or_b32 exec_lo, exec_lo, s14
	flat_load_b64 v[18:19], v[0:1] offset:2048
	v_dual_mov_b32 v3, 0 :: v_dual_mov_b32 v2, 0
	s_mov_b32 s14, exec_lo
	s_wait_loadcnt_dscnt 0x0
	v_and_b32_e32 v4, 0xff, v18
	s_wait_xcnt 0x0
	s_delay_alu instid0(VALU_DEP_1)
	v_cmpx_ne_u16_e32 0, v4
	s_cbranch_execz .LBB353_1606
; %bb.1599:                             ;   in Loop: Header=BB353_1069 Depth=1
	v_bfrev_b32_e32 v2, 1
	s_mov_b32 s15, exec_lo
	v_cmpx_ne_u16_e32 0x80, v4
	s_cbranch_execz .LBB353_1605
; %bb.1600:                             ;   in Loop: Header=BB353_1069 Depth=1
	v_and_b32_e32 v4, 0x7f, v18
	v_mov_b32_e32 v2, 0x7f800001
	s_mov_b32 s16, exec_lo
	s_delay_alu instid0(VALU_DEP_2)
	v_cmpx_ne_u32_e32 0x7f, v4
	s_cbranch_execz .LBB353_1604
; %bb.1601:                             ;   in Loop: Header=BB353_1069 Depth=1
	v_mov_b64_e32 v[22:23], v[18:19]
	v_lshrrev_b32_e32 v2, 3, v4
	s_mov_b32 s17, exec_lo
	v_cmpx_gt_u32_e32 8, v4
; %bb.1602:                             ;   in Loop: Header=BB353_1069 Depth=1
	v_and_b32_e32 v2, 7, v18
	s_delay_alu instid0(VALU_DEP_1) | instskip(NEXT) | instid1(VALU_DEP_1)
	v_clz_i32_u32_e32 v2, v2
	v_min_u32_e32 v2, 32, v2
	s_delay_alu instid0(VALU_DEP_1) | instskip(SKIP_1) | instid1(VALU_DEP_2)
	v_subrev_nc_u32_e32 v4, 28, v2
	v_sub_nc_u32_e32 v2, 29, v2
	v_lshlrev_b64_e32 v[22:23], v4, v[18:19]
; %bb.1603:                             ;   in Loop: Header=BB353_1069 Depth=1
	s_or_b32 exec_lo, exec_lo, s17
	s_delay_alu instid0(VALU_DEP_1) | instskip(SKIP_2) | instid1(VALU_DEP_3)
	v_lshlrev_b32_e32 v4, 20, v22
	v_lshlrev_b32_e32 v5, 24, v18
	v_lshl_add_u32 v2, v2, 23, 0x3c000000
	v_and_b32_e32 v4, 0x700000, v4
	s_delay_alu instid0(VALU_DEP_3) | instskip(NEXT) | instid1(VALU_DEP_1)
	v_and_b32_e32 v5, 0x80000000, v5
	v_or3_b32 v2, v4, v5, v2
.LBB353_1604:                           ;   in Loop: Header=BB353_1069 Depth=1
	s_or_b32 exec_lo, exec_lo, s16
.LBB353_1605:                           ;   in Loop: Header=BB353_1069 Depth=1
	s_delay_alu instid0(SALU_CYCLE_1)
	s_or_b32 exec_lo, exec_lo, s15
.LBB353_1606:                           ;   in Loop: Header=BB353_1069 Depth=1
	s_delay_alu instid0(SALU_CYCLE_1) | instskip(SKIP_2) | instid1(VALU_DEP_1)
	s_or_b32 exec_lo, exec_lo, s14
	v_lshrrev_b16 v4, 8, v18
	s_mov_b32 s14, exec_lo
	v_cmpx_ne_u16_e32 0, v4
	s_cbranch_execz .LBB353_1614
; %bb.1607:                             ;   in Loop: Header=BB353_1069 Depth=1
	v_bfrev_b32_e32 v3, 1
	s_mov_b32 s15, exec_lo
	v_cmpx_ne_u16_e32 0x80, v4
	s_cbranch_execz .LBB353_1613
; %bb.1608:                             ;   in Loop: Header=BB353_1069 Depth=1
	v_and_b32_e32 v5, 0xffff, v4
	v_mov_b32_e32 v3, 0x7f800001
	s_mov_b32 s16, exec_lo
	s_delay_alu instid0(VALU_DEP_2) | instskip(NEXT) | instid1(VALU_DEP_1)
	v_and_b32_e32 v4, 0x7f, v5
	v_cmpx_ne_u32_e32 0x7f, v4
	s_cbranch_execz .LBB353_1612
; %bb.1609:                             ;   in Loop: Header=BB353_1069 Depth=1
	v_dual_lshrrev_b32 v3, 3, v4 :: v_dual_bitop2_b32 v26, 7, v5 bitop3:0x40
	s_mov_b32 s17, exec_lo
	s_delay_alu instid0(VALU_DEP_1)
	v_mov_b64_e32 v[22:23], v[26:27]
	v_cmpx_gt_u32_e32 8, v4
; %bb.1610:                             ;   in Loop: Header=BB353_1069 Depth=1
	v_clz_i32_u32_e32 v3, v26
	s_delay_alu instid0(VALU_DEP_1) | instskip(NEXT) | instid1(VALU_DEP_1)
	v_min_u32_e32 v3, 32, v3
	v_subrev_nc_u32_e32 v4, 28, v3
	s_delay_alu instid0(VALU_DEP_1) | instskip(NEXT) | instid1(VALU_DEP_1)
	v_lshlrev_b64_e32 v[4:5], v4, v[26:27]
	v_dual_sub_nc_u32 v3, 29, v3 :: v_dual_bitop2_b32 v22, 7, v4 bitop3:0x40
; %bb.1611:                             ;   in Loop: Header=BB353_1069 Depth=1
	s_or_b32 exec_lo, exec_lo, s17
	v_lshlrev_b32_e32 v4, 16, v18
	s_delay_alu instid0(VALU_DEP_2) | instskip(NEXT) | instid1(VALU_DEP_3)
	v_lshlrev_b32_e32 v5, 20, v22
	v_lshl_add_u32 v3, v3, 23, 0x3c000000
	s_delay_alu instid0(VALU_DEP_3) | instskip(NEXT) | instid1(VALU_DEP_1)
	v_and_b32_e32 v4, 0x80000000, v4
	v_or3_b32 v3, v5, v4, v3
.LBB353_1612:                           ;   in Loop: Header=BB353_1069 Depth=1
	s_or_b32 exec_lo, exec_lo, s16
.LBB353_1613:                           ;   in Loop: Header=BB353_1069 Depth=1
	s_delay_alu instid0(SALU_CYCLE_1)
	s_or_b32 exec_lo, exec_lo, s15
.LBB353_1614:                           ;   in Loop: Header=BB353_1069 Depth=1
	s_delay_alu instid0(SALU_CYCLE_1) | instskip(SKIP_3) | instid1(VALU_DEP_2)
	s_or_b32 exec_lo, exec_lo, s14
	v_dual_mov_b32 v5, 0 :: v_dual_lshrrev_b32 v6, 16, v18
	v_mov_b32_e32 v4, 0
	s_mov_b32 s14, exec_lo
	v_and_b32_e32 v7, 0xff, v6
	s_delay_alu instid0(VALU_DEP_1)
	v_cmpx_ne_u16_e32 0, v7
	s_cbranch_execz .LBB353_1622
; %bb.1615:                             ;   in Loop: Header=BB353_1069 Depth=1
	v_bfrev_b32_e32 v4, 1
	s_mov_b32 s15, exec_lo
	v_cmpx_ne_u16_e32 0x80, v7
	s_cbranch_execz .LBB353_1621
; %bb.1616:                             ;   in Loop: Header=BB353_1069 Depth=1
	v_bfe_u32 v7, v18, 16, 7
	v_mov_b32_e32 v4, 0x7f800001
	s_mov_b32 s16, exec_lo
	s_delay_alu instid0(VALU_DEP_2)
	v_cmpx_ne_u32_e32 0x7f, v7
	s_cbranch_execz .LBB353_1620
; %bb.1617:                             ;   in Loop: Header=BB353_1069 Depth=1
	v_dual_lshrrev_b32 v4, 3, v7 :: v_dual_bitop2_b32 v26, 7, v6 bitop3:0x40
	s_mov_b32 s17, exec_lo
	s_delay_alu instid0(VALU_DEP_1)
	v_mov_b64_e32 v[22:23], v[26:27]
	v_cmpx_gt_u32_e32 8, v7
; %bb.1618:                             ;   in Loop: Header=BB353_1069 Depth=1
	v_clz_i32_u32_e32 v4, v26
	s_delay_alu instid0(VALU_DEP_1) | instskip(NEXT) | instid1(VALU_DEP_1)
	v_min_u32_e32 v4, 32, v4
	v_subrev_nc_u32_e32 v7, 28, v4
	v_sub_nc_u32_e32 v4, 29, v4
	s_delay_alu instid0(VALU_DEP_2) | instskip(NEXT) | instid1(VALU_DEP_1)
	v_lshlrev_b64_e32 v[8:9], v7, v[26:27]
	v_and_b32_e32 v22, 7, v8
; %bb.1619:                             ;   in Loop: Header=BB353_1069 Depth=1
	s_or_b32 exec_lo, exec_lo, s17
	v_lshlrev_b32_e32 v6, 24, v6
	s_delay_alu instid0(VALU_DEP_2) | instskip(SKIP_1) | instid1(VALU_DEP_3)
	v_lshlrev_b32_e32 v7, 20, v22
	v_lshl_add_u32 v4, v4, 23, 0x3c000000
	v_and_b32_e32 v6, 0x80000000, v6
	s_delay_alu instid0(VALU_DEP_1)
	v_or3_b32 v4, v7, v6, v4
.LBB353_1620:                           ;   in Loop: Header=BB353_1069 Depth=1
	s_or_b32 exec_lo, exec_lo, s16
.LBB353_1621:                           ;   in Loop: Header=BB353_1069 Depth=1
	s_delay_alu instid0(SALU_CYCLE_1)
	s_or_b32 exec_lo, exec_lo, s15
.LBB353_1622:                           ;   in Loop: Header=BB353_1069 Depth=1
	s_delay_alu instid0(SALU_CYCLE_1) | instskip(NEXT) | instid1(SALU_CYCLE_1)
	s_or_b32 exec_lo, exec_lo, s14
	s_mov_b32 s14, exec_lo
	v_cmpx_lt_u32_e32 0xffffff, v18
	s_cbranch_execz .LBB353_1630
; %bb.1623:                             ;   in Loop: Header=BB353_1069 Depth=1
	v_lshrrev_b32_e32 v6, 24, v18
	v_bfrev_b32_e32 v5, 1
	s_mov_b32 s15, exec_lo
	s_delay_alu instid0(VALU_DEP_2)
	v_cmpx_ne_u32_e32 0x80, v6
	s_cbranch_execz .LBB353_1629
; %bb.1624:                             ;   in Loop: Header=BB353_1069 Depth=1
	v_bfe_u32 v7, v18, 24, 7
	v_mov_b32_e32 v5, 0x7f800001
	s_mov_b32 s16, exec_lo
	s_delay_alu instid0(VALU_DEP_2)
	v_cmpx_ne_u32_e32 0x7f, v7
	s_cbranch_execz .LBB353_1628
; %bb.1625:                             ;   in Loop: Header=BB353_1069 Depth=1
	v_dual_lshrrev_b32 v5, 3, v7 :: v_dual_bitop2_b32 v26, 7, v6 bitop3:0x40
	s_mov_b32 s17, exec_lo
	s_delay_alu instid0(VALU_DEP_1)
	v_mov_b64_e32 v[22:23], v[26:27]
	v_cmpx_gt_u32_e32 8, v7
; %bb.1626:                             ;   in Loop: Header=BB353_1069 Depth=1
	v_clz_i32_u32_e32 v5, v26
	s_delay_alu instid0(VALU_DEP_1) | instskip(NEXT) | instid1(VALU_DEP_1)
	v_min_u32_e32 v5, 32, v5
	v_subrev_nc_u32_e32 v7, 28, v5
	s_delay_alu instid0(VALU_DEP_1) | instskip(NEXT) | instid1(VALU_DEP_1)
	v_lshlrev_b64_e32 v[8:9], v7, v[26:27]
	v_dual_sub_nc_u32 v5, 29, v5 :: v_dual_bitop2_b32 v22, 7, v8 bitop3:0x40
; %bb.1627:                             ;   in Loop: Header=BB353_1069 Depth=1
	s_or_b32 exec_lo, exec_lo, s17
	v_lshlrev_b32_e32 v6, 24, v6
	s_delay_alu instid0(VALU_DEP_2) | instskip(NEXT) | instid1(VALU_DEP_3)
	v_lshlrev_b32_e32 v7, 20, v22
	v_lshl_add_u32 v5, v5, 23, 0x3c000000
	s_delay_alu instid0(VALU_DEP_3) | instskip(NEXT) | instid1(VALU_DEP_1)
	v_and_b32_e32 v6, 0x80000000, v6
	v_or3_b32 v5, v7, v6, v5
.LBB353_1628:                           ;   in Loop: Header=BB353_1069 Depth=1
	s_or_b32 exec_lo, exec_lo, s16
.LBB353_1629:                           ;   in Loop: Header=BB353_1069 Depth=1
	s_delay_alu instid0(SALU_CYCLE_1)
	s_or_b32 exec_lo, exec_lo, s15
.LBB353_1630:                           ;   in Loop: Header=BB353_1069 Depth=1
	s_delay_alu instid0(SALU_CYCLE_1) | instskip(SKIP_4) | instid1(VALU_DEP_3)
	s_or_b32 exec_lo, exec_lo, s14
	v_and_b32_e32 v8, 0xff, v19
	v_dual_mov_b32 v26, v19 :: v_dual_mov_b32 v7, 0
	v_mov_b32_e32 v6, 0
	s_mov_b32 s14, exec_lo
	v_cmpx_ne_u16_e32 0, v8
	s_cbranch_execz .LBB353_1638
; %bb.1631:                             ;   in Loop: Header=BB353_1069 Depth=1
	v_bfrev_b32_e32 v6, 1
	s_mov_b32 s15, exec_lo
	v_cmpx_ne_u16_e32 0x80, v8
	s_cbranch_execz .LBB353_1637
; %bb.1632:                             ;   in Loop: Header=BB353_1069 Depth=1
	v_and_b32_e32 v8, 0x7f, v19
	v_mov_b32_e32 v6, 0x7f800001
	s_mov_b32 s16, exec_lo
	s_delay_alu instid0(VALU_DEP_2)
	v_cmpx_ne_u32_e32 0x7f, v8
	s_cbranch_execz .LBB353_1636
; %bb.1633:                             ;   in Loop: Header=BB353_1069 Depth=1
	v_mov_b64_e32 v[22:23], v[26:27]
	v_lshrrev_b32_e32 v6, 3, v8
	s_mov_b32 s17, exec_lo
	v_cmpx_gt_u32_e32 8, v8
; %bb.1634:                             ;   in Loop: Header=BB353_1069 Depth=1
	v_and_b32_e32 v6, 7, v19
	s_delay_alu instid0(VALU_DEP_1) | instskip(NEXT) | instid1(VALU_DEP_1)
	v_clz_i32_u32_e32 v6, v6
	v_min_u32_e32 v6, 32, v6
	s_delay_alu instid0(VALU_DEP_1) | instskip(SKIP_1) | instid1(VALU_DEP_2)
	v_subrev_nc_u32_e32 v8, 28, v6
	v_sub_nc_u32_e32 v6, 29, v6
	v_lshlrev_b64_e32 v[22:23], v8, v[26:27]
; %bb.1635:                             ;   in Loop: Header=BB353_1069 Depth=1
	s_or_b32 exec_lo, exec_lo, s17
	s_delay_alu instid0(VALU_DEP_1) | instskip(SKIP_2) | instid1(VALU_DEP_3)
	v_lshlrev_b32_e32 v8, 20, v22
	v_lshlrev_b32_e32 v9, 24, v26
	v_lshl_add_u32 v6, v6, 23, 0x3c000000
	v_and_b32_e32 v8, 0x700000, v8
	s_delay_alu instid0(VALU_DEP_3) | instskip(NEXT) | instid1(VALU_DEP_1)
	v_and_b32_e32 v9, 0x80000000, v9
	v_or3_b32 v6, v8, v9, v6
.LBB353_1636:                           ;   in Loop: Header=BB353_1069 Depth=1
	s_or_b32 exec_lo, exec_lo, s16
.LBB353_1637:                           ;   in Loop: Header=BB353_1069 Depth=1
	s_delay_alu instid0(SALU_CYCLE_1)
	s_or_b32 exec_lo, exec_lo, s15
.LBB353_1638:                           ;   in Loop: Header=BB353_1069 Depth=1
	s_delay_alu instid0(SALU_CYCLE_1) | instskip(SKIP_2) | instid1(VALU_DEP_1)
	s_or_b32 exec_lo, exec_lo, s14
	v_lshrrev_b16 v8, 8, v26
	s_mov_b32 s14, exec_lo
	v_cmpx_ne_u16_e32 0, v8
	s_cbranch_execz .LBB353_1646
; %bb.1639:                             ;   in Loop: Header=BB353_1069 Depth=1
	v_bfrev_b32_e32 v7, 1
	s_mov_b32 s15, exec_lo
	v_cmpx_ne_u16_e32 0x80, v8
	s_cbranch_execz .LBB353_1645
; %bb.1640:                             ;   in Loop: Header=BB353_1069 Depth=1
	v_and_b32_e32 v9, 0xffff, v8
	v_mov_b32_e32 v7, 0x7f800001
	s_mov_b32 s16, exec_lo
	s_delay_alu instid0(VALU_DEP_2) | instskip(NEXT) | instid1(VALU_DEP_1)
	v_and_b32_e32 v8, 0x7f, v9
	v_cmpx_ne_u32_e32 0x7f, v8
	s_cbranch_execz .LBB353_1644
; %bb.1641:                             ;   in Loop: Header=BB353_1069 Depth=1
	v_dual_mov_b32 v23, v27 :: v_dual_bitop2_b32 v22, 7, v9 bitop3:0x40
	v_lshrrev_b32_e32 v7, 3, v8
	s_mov_b32 s17, exec_lo
	v_cmpx_gt_u32_e32 8, v8
; %bb.1642:                             ;   in Loop: Header=BB353_1069 Depth=1
	s_delay_alu instid0(VALU_DEP_3) | instskip(NEXT) | instid1(VALU_DEP_1)
	v_clz_i32_u32_e32 v7, v22
	v_min_u32_e32 v7, 32, v7
	s_delay_alu instid0(VALU_DEP_1) | instskip(NEXT) | instid1(VALU_DEP_1)
	v_subrev_nc_u32_e32 v8, 28, v7
	v_lshlrev_b64_e32 v[8:9], v8, v[22:23]
	s_delay_alu instid0(VALU_DEP_1)
	v_dual_sub_nc_u32 v7, 29, v7 :: v_dual_bitop2_b32 v22, 7, v8 bitop3:0x40
; %bb.1643:                             ;   in Loop: Header=BB353_1069 Depth=1
	s_or_b32 exec_lo, exec_lo, s17
	v_lshlrev_b32_e32 v8, 16, v26
	s_delay_alu instid0(VALU_DEP_2) | instskip(NEXT) | instid1(VALU_DEP_3)
	v_lshlrev_b32_e32 v9, 20, v22
	v_lshl_add_u32 v7, v7, 23, 0x3c000000
	s_delay_alu instid0(VALU_DEP_3) | instskip(NEXT) | instid1(VALU_DEP_1)
	v_and_b32_e32 v8, 0x80000000, v8
	v_or3_b32 v7, v9, v8, v7
.LBB353_1644:                           ;   in Loop: Header=BB353_1069 Depth=1
	s_or_b32 exec_lo, exec_lo, s16
.LBB353_1645:                           ;   in Loop: Header=BB353_1069 Depth=1
	s_delay_alu instid0(SALU_CYCLE_1)
	s_or_b32 exec_lo, exec_lo, s15
.LBB353_1646:                           ;   in Loop: Header=BB353_1069 Depth=1
	s_delay_alu instid0(SALU_CYCLE_1) | instskip(SKIP_3) | instid1(VALU_DEP_2)
	s_or_b32 exec_lo, exec_lo, s14
	v_dual_lshrrev_b32 v24, 16, v19 :: v_dual_mov_b32 v8, 0
	v_mov_b32_e32 v9, 0
	s_mov_b32 s14, exec_lo
	v_and_b32_e32 v22, 0xff, v24
	s_delay_alu instid0(VALU_DEP_1)
	v_cmpx_ne_u16_e32 0, v22
	s_cbranch_execz .LBB353_1654
; %bb.1647:                             ;   in Loop: Header=BB353_1069 Depth=1
	v_bfrev_b32_e32 v9, 1
	s_mov_b32 s15, exec_lo
	v_cmpx_ne_u16_e32 0x80, v22
	s_cbranch_execz .LBB353_1653
; %bb.1648:                             ;   in Loop: Header=BB353_1069 Depth=1
	v_bfe_u32 v22, v19, 16, 7
	v_mov_b32_e32 v9, 0x7f800001
	s_mov_b32 s16, exec_lo
	s_delay_alu instid0(VALU_DEP_2)
	v_cmpx_ne_u32_e32 0x7f, v22
	s_cbranch_execz .LBB353_1652
; %bb.1649:                             ;   in Loop: Header=BB353_1069 Depth=1
	v_dual_lshrrev_b32 v9, 3, v22 :: v_dual_bitop2_b32 v26, 7, v24 bitop3:0x40
	v_cmp_gt_u32_e64 s0, 8, v22
	s_delay_alu instid0(VALU_DEP_2)
	v_mov_b64_e32 v[22:23], v[26:27]
	s_and_saveexec_b32 s17, s0
; %bb.1650:                             ;   in Loop: Header=BB353_1069 Depth=1
	v_clz_i32_u32_e32 v9, v26
	s_delay_alu instid0(VALU_DEP_1) | instskip(NEXT) | instid1(VALU_DEP_1)
	v_min_u32_e32 v9, 32, v9
	v_subrev_nc_u32_e32 v22, 28, v9
	s_delay_alu instid0(VALU_DEP_1) | instskip(NEXT) | instid1(VALU_DEP_1)
	v_lshlrev_b64_e32 v[22:23], v22, v[26:27]
	v_dual_sub_nc_u32 v9, 29, v9 :: v_dual_bitop2_b32 v22, 7, v22 bitop3:0x40
; %bb.1651:                             ;   in Loop: Header=BB353_1069 Depth=1
	s_or_b32 exec_lo, exec_lo, s17
	s_delay_alu instid0(VALU_DEP_1) | instskip(NEXT) | instid1(VALU_DEP_2)
	v_dual_lshlrev_b32 v23, 24, v24 :: v_dual_lshlrev_b32 v22, 20, v22
	v_lshl_add_u32 v9, v9, 23, 0x3c000000
	s_delay_alu instid0(VALU_DEP_2) | instskip(NEXT) | instid1(VALU_DEP_1)
	v_and_b32_e32 v23, 0x80000000, v23
	v_or3_b32 v9, v22, v23, v9
.LBB353_1652:                           ;   in Loop: Header=BB353_1069 Depth=1
	s_or_b32 exec_lo, exec_lo, s16
.LBB353_1653:                           ;   in Loop: Header=BB353_1069 Depth=1
	s_delay_alu instid0(SALU_CYCLE_1)
	s_or_b32 exec_lo, exec_lo, s15
.LBB353_1654:                           ;   in Loop: Header=BB353_1069 Depth=1
	s_delay_alu instid0(SALU_CYCLE_1) | instskip(NEXT) | instid1(SALU_CYCLE_1)
	s_or_b32 exec_lo, exec_lo, s14
	s_mov_b32 s14, exec_lo
	v_cmpx_lt_u64_e64 s[2:3], v[18:19]
	s_cbranch_execz .LBB353_1662
; %bb.1655:                             ;   in Loop: Header=BB353_1069 Depth=1
	v_lshrrev_b32_e32 v22, 24, v19
	v_bfrev_b32_e32 v8, 1
	s_mov_b32 s15, exec_lo
	s_delay_alu instid0(VALU_DEP_2)
	v_cmpx_ne_u32_e32 0x80, v22
	s_cbranch_execz .LBB353_1661
; %bb.1656:                             ;   in Loop: Header=BB353_1069 Depth=1
	v_bfe_u32 v18, v19, 24, 7
	v_mov_b32_e32 v8, 0x7f800001
	s_mov_b32 s16, exec_lo
	s_delay_alu instid0(VALU_DEP_2)
	v_cmpx_ne_u32_e32 0x7f, v18
	s_cbranch_execz .LBB353_1660
; %bb.1657:                             ;   in Loop: Header=BB353_1069 Depth=1
	v_and_b32_e32 v26, 7, v22
	v_lshrrev_b32_e32 v8, 3, v18
	v_cmp_gt_u32_e64 s0, 8, v18
	s_delay_alu instid0(VALU_DEP_3)
	v_mov_b64_e32 v[18:19], v[26:27]
	s_and_saveexec_b32 s17, s0
; %bb.1658:                             ;   in Loop: Header=BB353_1069 Depth=1
	v_clz_i32_u32_e32 v8, v26
	s_delay_alu instid0(VALU_DEP_1) | instskip(NEXT) | instid1(VALU_DEP_1)
	v_min_u32_e32 v8, 32, v8
	v_subrev_nc_u32_e32 v18, 28, v8
	s_delay_alu instid0(VALU_DEP_1) | instskip(NEXT) | instid1(VALU_DEP_1)
	v_lshlrev_b64_e32 v[18:19], v18, v[26:27]
	v_dual_sub_nc_u32 v8, 29, v8 :: v_dual_bitop2_b32 v18, 7, v18 bitop3:0x40
; %bb.1659:                             ;   in Loop: Header=BB353_1069 Depth=1
	s_or_b32 exec_lo, exec_lo, s17
	v_lshlrev_b32_e32 v19, 24, v22
	s_delay_alu instid0(VALU_DEP_2) | instskip(NEXT) | instid1(VALU_DEP_3)
	v_lshlrev_b32_e32 v18, 20, v18
	v_lshl_add_u32 v8, v8, 23, 0x3c000000
	s_delay_alu instid0(VALU_DEP_3) | instskip(NEXT) | instid1(VALU_DEP_1)
	v_and_b32_e32 v19, 0x80000000, v19
	v_or3_b32 v8, v18, v19, v8
.LBB353_1660:                           ;   in Loop: Header=BB353_1069 Depth=1
	s_or_b32 exec_lo, exec_lo, s16
.LBB353_1661:                           ;   in Loop: Header=BB353_1069 Depth=1
	s_delay_alu instid0(SALU_CYCLE_1)
	s_or_b32 exec_lo, exec_lo, s15
.LBB353_1662:                           ;   in Loop: Header=BB353_1069 Depth=1
	s_delay_alu instid0(SALU_CYCLE_1)
	s_or_b32 exec_lo, exec_lo, s14
	v_fma_mixlo_bf16 v120, v86, v7, 0
	v_fma_mixlo_bf16 v121, v86, v6, 0
	;; [unrolled: 1-line block ×8, first 2 shown]
	s_and_saveexec_b32 s14, vcc_lo
	s_cbranch_execz .LBB353_1664
; %bb.1663:                             ;   in Loop: Header=BB353_1069 Depth=1
	scratch_load_b32 v2, off, s32 offset:192 ; 4-byte Folded Reload
	s_wait_loadcnt 0x0
	v_cmp_lt_i32_e64 s0, v115, v2
	s_delay_alu instid0(VALU_DEP_1) | instskip(SKIP_1) | instid1(VALU_DEP_1)
	v_cndmask_b32_e64 v127, 0, v127, s0
	v_cmp_lt_i32_e64 s0, v119, v2
	v_cndmask_b32_e64 v126, 0, v126, s0
	v_cmp_lt_i32_e64 s0, v118, v2
	s_delay_alu instid0(VALU_DEP_1) | instskip(SKIP_1) | instid1(VALU_DEP_1)
	v_cndmask_b32_e64 v125, 0, v125, s0
	v_cmp_lt_i32_e64 s0, v117, v2
	v_cndmask_b32_e64 v124, 0, v124, s0
	;; [unrolled: 5-line block ×4, first 2 shown]
.LBB353_1664:                           ;   in Loop: Header=BB353_1069 Depth=1
	s_wait_xcnt 0x0
	s_or_b32 exec_lo, exec_lo, s14
	flat_load_b64 v[18:19], v[0:1] offset:2304
	v_dual_mov_b32 v3, 0 :: v_dual_mov_b32 v2, 0
	s_mov_b32 s14, exec_lo
	s_wait_loadcnt_dscnt 0x0
	v_and_b32_e32 v4, 0xff, v18
	s_wait_xcnt 0x0
	s_delay_alu instid0(VALU_DEP_1)
	v_cmpx_ne_u16_e32 0, v4
	s_cbranch_execz .LBB353_1672
; %bb.1665:                             ;   in Loop: Header=BB353_1069 Depth=1
	v_bfrev_b32_e32 v2, 1
	s_mov_b32 s15, exec_lo
	v_cmpx_ne_u16_e32 0x80, v4
	s_cbranch_execz .LBB353_1671
; %bb.1666:                             ;   in Loop: Header=BB353_1069 Depth=1
	v_and_b32_e32 v4, 0x7f, v18
	v_mov_b32_e32 v2, 0x7f800001
	s_mov_b32 s16, exec_lo
	s_delay_alu instid0(VALU_DEP_2)
	v_cmpx_ne_u32_e32 0x7f, v4
	s_cbranch_execz .LBB353_1670
; %bb.1667:                             ;   in Loop: Header=BB353_1069 Depth=1
	v_mov_b64_e32 v[22:23], v[18:19]
	v_lshrrev_b32_e32 v2, 3, v4
	s_mov_b32 s17, exec_lo
	v_cmpx_gt_u32_e32 8, v4
; %bb.1668:                             ;   in Loop: Header=BB353_1069 Depth=1
	v_and_b32_e32 v2, 7, v18
	s_delay_alu instid0(VALU_DEP_1) | instskip(NEXT) | instid1(VALU_DEP_1)
	v_clz_i32_u32_e32 v2, v2
	v_min_u32_e32 v2, 32, v2
	s_delay_alu instid0(VALU_DEP_1) | instskip(SKIP_1) | instid1(VALU_DEP_2)
	v_subrev_nc_u32_e32 v4, 28, v2
	v_sub_nc_u32_e32 v2, 29, v2
	v_lshlrev_b64_e32 v[22:23], v4, v[18:19]
; %bb.1669:                             ;   in Loop: Header=BB353_1069 Depth=1
	s_or_b32 exec_lo, exec_lo, s17
	s_delay_alu instid0(VALU_DEP_1) | instskip(SKIP_2) | instid1(VALU_DEP_3)
	v_lshlrev_b32_e32 v4, 20, v22
	v_lshlrev_b32_e32 v5, 24, v18
	v_lshl_add_u32 v2, v2, 23, 0x3c000000
	v_and_b32_e32 v4, 0x700000, v4
	s_delay_alu instid0(VALU_DEP_3) | instskip(NEXT) | instid1(VALU_DEP_1)
	v_and_b32_e32 v5, 0x80000000, v5
	v_or3_b32 v2, v4, v5, v2
.LBB353_1670:                           ;   in Loop: Header=BB353_1069 Depth=1
	s_or_b32 exec_lo, exec_lo, s16
.LBB353_1671:                           ;   in Loop: Header=BB353_1069 Depth=1
	s_delay_alu instid0(SALU_CYCLE_1)
	s_or_b32 exec_lo, exec_lo, s15
.LBB353_1672:                           ;   in Loop: Header=BB353_1069 Depth=1
	s_delay_alu instid0(SALU_CYCLE_1) | instskip(SKIP_2) | instid1(VALU_DEP_1)
	s_or_b32 exec_lo, exec_lo, s14
	v_lshrrev_b16 v4, 8, v18
	s_mov_b32 s14, exec_lo
	v_cmpx_ne_u16_e32 0, v4
	s_cbranch_execz .LBB353_1680
; %bb.1673:                             ;   in Loop: Header=BB353_1069 Depth=1
	v_bfrev_b32_e32 v3, 1
	s_mov_b32 s15, exec_lo
	v_cmpx_ne_u16_e32 0x80, v4
	s_cbranch_execz .LBB353_1679
; %bb.1674:                             ;   in Loop: Header=BB353_1069 Depth=1
	v_and_b32_e32 v5, 0xffff, v4
	v_mov_b32_e32 v3, 0x7f800001
	s_mov_b32 s16, exec_lo
	s_delay_alu instid0(VALU_DEP_2) | instskip(NEXT) | instid1(VALU_DEP_1)
	v_and_b32_e32 v4, 0x7f, v5
	v_cmpx_ne_u32_e32 0x7f, v4
	s_cbranch_execz .LBB353_1678
; %bb.1675:                             ;   in Loop: Header=BB353_1069 Depth=1
	v_dual_lshrrev_b32 v3, 3, v4 :: v_dual_bitop2_b32 v26, 7, v5 bitop3:0x40
	s_mov_b32 s17, exec_lo
	s_delay_alu instid0(VALU_DEP_1)
	v_mov_b64_e32 v[22:23], v[26:27]
	v_cmpx_gt_u32_e32 8, v4
; %bb.1676:                             ;   in Loop: Header=BB353_1069 Depth=1
	v_clz_i32_u32_e32 v3, v26
	s_delay_alu instid0(VALU_DEP_1) | instskip(NEXT) | instid1(VALU_DEP_1)
	v_min_u32_e32 v3, 32, v3
	v_subrev_nc_u32_e32 v4, 28, v3
	s_delay_alu instid0(VALU_DEP_1) | instskip(NEXT) | instid1(VALU_DEP_1)
	v_lshlrev_b64_e32 v[4:5], v4, v[26:27]
	v_dual_sub_nc_u32 v3, 29, v3 :: v_dual_bitop2_b32 v22, 7, v4 bitop3:0x40
; %bb.1677:                             ;   in Loop: Header=BB353_1069 Depth=1
	s_or_b32 exec_lo, exec_lo, s17
	v_lshlrev_b32_e32 v4, 16, v18
	s_delay_alu instid0(VALU_DEP_2) | instskip(NEXT) | instid1(VALU_DEP_3)
	v_lshlrev_b32_e32 v5, 20, v22
	v_lshl_add_u32 v3, v3, 23, 0x3c000000
	s_delay_alu instid0(VALU_DEP_3) | instskip(NEXT) | instid1(VALU_DEP_1)
	v_and_b32_e32 v4, 0x80000000, v4
	v_or3_b32 v3, v5, v4, v3
.LBB353_1678:                           ;   in Loop: Header=BB353_1069 Depth=1
	s_or_b32 exec_lo, exec_lo, s16
.LBB353_1679:                           ;   in Loop: Header=BB353_1069 Depth=1
	s_delay_alu instid0(SALU_CYCLE_1)
	s_or_b32 exec_lo, exec_lo, s15
.LBB353_1680:                           ;   in Loop: Header=BB353_1069 Depth=1
	s_delay_alu instid0(SALU_CYCLE_1) | instskip(SKIP_3) | instid1(VALU_DEP_2)
	s_or_b32 exec_lo, exec_lo, s14
	v_dual_mov_b32 v5, 0 :: v_dual_lshrrev_b32 v6, 16, v18
	v_mov_b32_e32 v4, 0
	s_mov_b32 s14, exec_lo
	v_and_b32_e32 v7, 0xff, v6
	s_delay_alu instid0(VALU_DEP_1)
	v_cmpx_ne_u16_e32 0, v7
	s_cbranch_execz .LBB353_1688
; %bb.1681:                             ;   in Loop: Header=BB353_1069 Depth=1
	v_bfrev_b32_e32 v4, 1
	s_mov_b32 s15, exec_lo
	v_cmpx_ne_u16_e32 0x80, v7
	s_cbranch_execz .LBB353_1687
; %bb.1682:                             ;   in Loop: Header=BB353_1069 Depth=1
	v_bfe_u32 v7, v18, 16, 7
	v_mov_b32_e32 v4, 0x7f800001
	s_mov_b32 s16, exec_lo
	s_delay_alu instid0(VALU_DEP_2)
	v_cmpx_ne_u32_e32 0x7f, v7
	s_cbranch_execz .LBB353_1686
; %bb.1683:                             ;   in Loop: Header=BB353_1069 Depth=1
	v_dual_lshrrev_b32 v4, 3, v7 :: v_dual_bitop2_b32 v26, 7, v6 bitop3:0x40
	s_mov_b32 s17, exec_lo
	s_delay_alu instid0(VALU_DEP_1)
	v_mov_b64_e32 v[22:23], v[26:27]
	v_cmpx_gt_u32_e32 8, v7
; %bb.1684:                             ;   in Loop: Header=BB353_1069 Depth=1
	v_clz_i32_u32_e32 v4, v26
	s_delay_alu instid0(VALU_DEP_1) | instskip(NEXT) | instid1(VALU_DEP_1)
	v_min_u32_e32 v4, 32, v4
	v_subrev_nc_u32_e32 v7, 28, v4
	v_sub_nc_u32_e32 v4, 29, v4
	s_delay_alu instid0(VALU_DEP_2) | instskip(NEXT) | instid1(VALU_DEP_1)
	v_lshlrev_b64_e32 v[8:9], v7, v[26:27]
	v_and_b32_e32 v22, 7, v8
; %bb.1685:                             ;   in Loop: Header=BB353_1069 Depth=1
	s_or_b32 exec_lo, exec_lo, s17
	v_lshlrev_b32_e32 v6, 24, v6
	s_delay_alu instid0(VALU_DEP_2) | instskip(SKIP_1) | instid1(VALU_DEP_3)
	v_lshlrev_b32_e32 v7, 20, v22
	v_lshl_add_u32 v4, v4, 23, 0x3c000000
	v_and_b32_e32 v6, 0x80000000, v6
	s_delay_alu instid0(VALU_DEP_1)
	v_or3_b32 v4, v7, v6, v4
.LBB353_1686:                           ;   in Loop: Header=BB353_1069 Depth=1
	s_or_b32 exec_lo, exec_lo, s16
.LBB353_1687:                           ;   in Loop: Header=BB353_1069 Depth=1
	s_delay_alu instid0(SALU_CYCLE_1)
	s_or_b32 exec_lo, exec_lo, s15
.LBB353_1688:                           ;   in Loop: Header=BB353_1069 Depth=1
	s_delay_alu instid0(SALU_CYCLE_1) | instskip(NEXT) | instid1(SALU_CYCLE_1)
	s_or_b32 exec_lo, exec_lo, s14
	s_mov_b32 s14, exec_lo
	v_cmpx_lt_u32_e32 0xffffff, v18
	s_cbranch_execz .LBB353_1696
; %bb.1689:                             ;   in Loop: Header=BB353_1069 Depth=1
	v_lshrrev_b32_e32 v6, 24, v18
	v_bfrev_b32_e32 v5, 1
	s_mov_b32 s15, exec_lo
	s_delay_alu instid0(VALU_DEP_2)
	v_cmpx_ne_u32_e32 0x80, v6
	s_cbranch_execz .LBB353_1695
; %bb.1690:                             ;   in Loop: Header=BB353_1069 Depth=1
	v_bfe_u32 v7, v18, 24, 7
	v_mov_b32_e32 v5, 0x7f800001
	s_mov_b32 s16, exec_lo
	s_delay_alu instid0(VALU_DEP_2)
	v_cmpx_ne_u32_e32 0x7f, v7
	s_cbranch_execz .LBB353_1694
; %bb.1691:                             ;   in Loop: Header=BB353_1069 Depth=1
	v_dual_lshrrev_b32 v5, 3, v7 :: v_dual_bitop2_b32 v26, 7, v6 bitop3:0x40
	s_mov_b32 s17, exec_lo
	s_delay_alu instid0(VALU_DEP_1)
	v_mov_b64_e32 v[22:23], v[26:27]
	v_cmpx_gt_u32_e32 8, v7
; %bb.1692:                             ;   in Loop: Header=BB353_1069 Depth=1
	v_clz_i32_u32_e32 v5, v26
	s_delay_alu instid0(VALU_DEP_1) | instskip(NEXT) | instid1(VALU_DEP_1)
	v_min_u32_e32 v5, 32, v5
	v_subrev_nc_u32_e32 v7, 28, v5
	s_delay_alu instid0(VALU_DEP_1) | instskip(NEXT) | instid1(VALU_DEP_1)
	v_lshlrev_b64_e32 v[8:9], v7, v[26:27]
	v_dual_sub_nc_u32 v5, 29, v5 :: v_dual_bitop2_b32 v22, 7, v8 bitop3:0x40
; %bb.1693:                             ;   in Loop: Header=BB353_1069 Depth=1
	s_or_b32 exec_lo, exec_lo, s17
	v_lshlrev_b32_e32 v6, 24, v6
	s_delay_alu instid0(VALU_DEP_2) | instskip(NEXT) | instid1(VALU_DEP_3)
	v_lshlrev_b32_e32 v7, 20, v22
	v_lshl_add_u32 v5, v5, 23, 0x3c000000
	s_delay_alu instid0(VALU_DEP_3) | instskip(NEXT) | instid1(VALU_DEP_1)
	v_and_b32_e32 v6, 0x80000000, v6
	v_or3_b32 v5, v7, v6, v5
.LBB353_1694:                           ;   in Loop: Header=BB353_1069 Depth=1
	s_or_b32 exec_lo, exec_lo, s16
.LBB353_1695:                           ;   in Loop: Header=BB353_1069 Depth=1
	s_delay_alu instid0(SALU_CYCLE_1)
	s_or_b32 exec_lo, exec_lo, s15
.LBB353_1696:                           ;   in Loop: Header=BB353_1069 Depth=1
	s_delay_alu instid0(SALU_CYCLE_1) | instskip(SKIP_4) | instid1(VALU_DEP_3)
	s_or_b32 exec_lo, exec_lo, s14
	v_and_b32_e32 v8, 0xff, v19
	v_dual_mov_b32 v26, v19 :: v_dual_mov_b32 v7, 0
	v_mov_b32_e32 v6, 0
	s_mov_b32 s14, exec_lo
	v_cmpx_ne_u16_e32 0, v8
	s_cbranch_execz .LBB353_1704
; %bb.1697:                             ;   in Loop: Header=BB353_1069 Depth=1
	v_bfrev_b32_e32 v6, 1
	s_mov_b32 s15, exec_lo
	v_cmpx_ne_u16_e32 0x80, v8
	s_cbranch_execz .LBB353_1703
; %bb.1698:                             ;   in Loop: Header=BB353_1069 Depth=1
	v_and_b32_e32 v8, 0x7f, v19
	v_mov_b32_e32 v6, 0x7f800001
	s_mov_b32 s16, exec_lo
	s_delay_alu instid0(VALU_DEP_2)
	v_cmpx_ne_u32_e32 0x7f, v8
	s_cbranch_execz .LBB353_1702
; %bb.1699:                             ;   in Loop: Header=BB353_1069 Depth=1
	v_mov_b64_e32 v[22:23], v[26:27]
	v_lshrrev_b32_e32 v6, 3, v8
	s_mov_b32 s17, exec_lo
	v_cmpx_gt_u32_e32 8, v8
; %bb.1700:                             ;   in Loop: Header=BB353_1069 Depth=1
	v_and_b32_e32 v6, 7, v19
	s_delay_alu instid0(VALU_DEP_1) | instskip(NEXT) | instid1(VALU_DEP_1)
	v_clz_i32_u32_e32 v6, v6
	v_min_u32_e32 v6, 32, v6
	s_delay_alu instid0(VALU_DEP_1) | instskip(SKIP_1) | instid1(VALU_DEP_2)
	v_subrev_nc_u32_e32 v8, 28, v6
	v_sub_nc_u32_e32 v6, 29, v6
	v_lshlrev_b64_e32 v[22:23], v8, v[26:27]
; %bb.1701:                             ;   in Loop: Header=BB353_1069 Depth=1
	s_or_b32 exec_lo, exec_lo, s17
	s_delay_alu instid0(VALU_DEP_1) | instskip(SKIP_2) | instid1(VALU_DEP_3)
	v_lshlrev_b32_e32 v8, 20, v22
	v_lshlrev_b32_e32 v9, 24, v26
	v_lshl_add_u32 v6, v6, 23, 0x3c000000
	v_and_b32_e32 v8, 0x700000, v8
	s_delay_alu instid0(VALU_DEP_3) | instskip(NEXT) | instid1(VALU_DEP_1)
	v_and_b32_e32 v9, 0x80000000, v9
	v_or3_b32 v6, v8, v9, v6
.LBB353_1702:                           ;   in Loop: Header=BB353_1069 Depth=1
	s_or_b32 exec_lo, exec_lo, s16
.LBB353_1703:                           ;   in Loop: Header=BB353_1069 Depth=1
	s_delay_alu instid0(SALU_CYCLE_1)
	s_or_b32 exec_lo, exec_lo, s15
.LBB353_1704:                           ;   in Loop: Header=BB353_1069 Depth=1
	s_delay_alu instid0(SALU_CYCLE_1) | instskip(SKIP_2) | instid1(VALU_DEP_1)
	s_or_b32 exec_lo, exec_lo, s14
	v_lshrrev_b16 v8, 8, v26
	s_mov_b32 s14, exec_lo
	v_cmpx_ne_u16_e32 0, v8
	s_cbranch_execz .LBB353_1712
; %bb.1705:                             ;   in Loop: Header=BB353_1069 Depth=1
	v_bfrev_b32_e32 v7, 1
	s_mov_b32 s15, exec_lo
	v_cmpx_ne_u16_e32 0x80, v8
	s_cbranch_execz .LBB353_1711
; %bb.1706:                             ;   in Loop: Header=BB353_1069 Depth=1
	v_and_b32_e32 v9, 0xffff, v8
	v_mov_b32_e32 v7, 0x7f800001
	s_mov_b32 s16, exec_lo
	s_delay_alu instid0(VALU_DEP_2) | instskip(NEXT) | instid1(VALU_DEP_1)
	v_and_b32_e32 v8, 0x7f, v9
	v_cmpx_ne_u32_e32 0x7f, v8
	s_cbranch_execz .LBB353_1710
; %bb.1707:                             ;   in Loop: Header=BB353_1069 Depth=1
	v_dual_mov_b32 v23, v27 :: v_dual_bitop2_b32 v22, 7, v9 bitop3:0x40
	v_lshrrev_b32_e32 v7, 3, v8
	s_mov_b32 s17, exec_lo
	v_cmpx_gt_u32_e32 8, v8
; %bb.1708:                             ;   in Loop: Header=BB353_1069 Depth=1
	s_delay_alu instid0(VALU_DEP_3) | instskip(NEXT) | instid1(VALU_DEP_1)
	v_clz_i32_u32_e32 v7, v22
	v_min_u32_e32 v7, 32, v7
	s_delay_alu instid0(VALU_DEP_1) | instskip(NEXT) | instid1(VALU_DEP_1)
	v_subrev_nc_u32_e32 v8, 28, v7
	v_lshlrev_b64_e32 v[8:9], v8, v[22:23]
	s_delay_alu instid0(VALU_DEP_1)
	v_dual_sub_nc_u32 v7, 29, v7 :: v_dual_bitop2_b32 v22, 7, v8 bitop3:0x40
; %bb.1709:                             ;   in Loop: Header=BB353_1069 Depth=1
	s_or_b32 exec_lo, exec_lo, s17
	v_lshlrev_b32_e32 v8, 16, v26
	s_delay_alu instid0(VALU_DEP_2) | instskip(NEXT) | instid1(VALU_DEP_3)
	v_lshlrev_b32_e32 v9, 20, v22
	v_lshl_add_u32 v7, v7, 23, 0x3c000000
	s_delay_alu instid0(VALU_DEP_3) | instskip(NEXT) | instid1(VALU_DEP_1)
	v_and_b32_e32 v8, 0x80000000, v8
	v_or3_b32 v7, v9, v8, v7
.LBB353_1710:                           ;   in Loop: Header=BB353_1069 Depth=1
	s_or_b32 exec_lo, exec_lo, s16
.LBB353_1711:                           ;   in Loop: Header=BB353_1069 Depth=1
	s_delay_alu instid0(SALU_CYCLE_1)
	s_or_b32 exec_lo, exec_lo, s15
.LBB353_1712:                           ;   in Loop: Header=BB353_1069 Depth=1
	s_delay_alu instid0(SALU_CYCLE_1) | instskip(SKIP_3) | instid1(VALU_DEP_2)
	s_or_b32 exec_lo, exec_lo, s14
	v_dual_lshrrev_b32 v24, 16, v19 :: v_dual_mov_b32 v8, 0
	v_mov_b32_e32 v9, 0
	s_mov_b32 s14, exec_lo
	v_and_b32_e32 v22, 0xff, v24
	s_delay_alu instid0(VALU_DEP_1)
	v_cmpx_ne_u16_e32 0, v22
	s_cbranch_execz .LBB353_1720
; %bb.1713:                             ;   in Loop: Header=BB353_1069 Depth=1
	v_bfrev_b32_e32 v9, 1
	s_mov_b32 s15, exec_lo
	v_cmpx_ne_u16_e32 0x80, v22
	s_cbranch_execz .LBB353_1719
; %bb.1714:                             ;   in Loop: Header=BB353_1069 Depth=1
	v_bfe_u32 v22, v19, 16, 7
	v_mov_b32_e32 v9, 0x7f800001
	s_mov_b32 s16, exec_lo
	s_delay_alu instid0(VALU_DEP_2)
	v_cmpx_ne_u32_e32 0x7f, v22
	s_cbranch_execz .LBB353_1718
; %bb.1715:                             ;   in Loop: Header=BB353_1069 Depth=1
	v_dual_lshrrev_b32 v9, 3, v22 :: v_dual_bitop2_b32 v26, 7, v24 bitop3:0x40
	v_cmp_gt_u32_e64 s0, 8, v22
	s_delay_alu instid0(VALU_DEP_2)
	v_mov_b64_e32 v[22:23], v[26:27]
	s_and_saveexec_b32 s17, s0
; %bb.1716:                             ;   in Loop: Header=BB353_1069 Depth=1
	v_clz_i32_u32_e32 v9, v26
	s_delay_alu instid0(VALU_DEP_1) | instskip(NEXT) | instid1(VALU_DEP_1)
	v_min_u32_e32 v9, 32, v9
	v_subrev_nc_u32_e32 v22, 28, v9
	s_delay_alu instid0(VALU_DEP_1) | instskip(NEXT) | instid1(VALU_DEP_1)
	v_lshlrev_b64_e32 v[22:23], v22, v[26:27]
	v_dual_sub_nc_u32 v9, 29, v9 :: v_dual_bitop2_b32 v22, 7, v22 bitop3:0x40
; %bb.1717:                             ;   in Loop: Header=BB353_1069 Depth=1
	s_or_b32 exec_lo, exec_lo, s17
	s_delay_alu instid0(VALU_DEP_1) | instskip(NEXT) | instid1(VALU_DEP_2)
	v_dual_lshlrev_b32 v23, 24, v24 :: v_dual_lshlrev_b32 v22, 20, v22
	v_lshl_add_u32 v9, v9, 23, 0x3c000000
	s_delay_alu instid0(VALU_DEP_2) | instskip(NEXT) | instid1(VALU_DEP_1)
	v_and_b32_e32 v23, 0x80000000, v23
	v_or3_b32 v9, v22, v23, v9
.LBB353_1718:                           ;   in Loop: Header=BB353_1069 Depth=1
	s_or_b32 exec_lo, exec_lo, s16
.LBB353_1719:                           ;   in Loop: Header=BB353_1069 Depth=1
	s_delay_alu instid0(SALU_CYCLE_1)
	s_or_b32 exec_lo, exec_lo, s15
.LBB353_1720:                           ;   in Loop: Header=BB353_1069 Depth=1
	s_delay_alu instid0(SALU_CYCLE_1) | instskip(NEXT) | instid1(SALU_CYCLE_1)
	s_or_b32 exec_lo, exec_lo, s14
	s_mov_b32 s14, exec_lo
	v_cmpx_lt_u64_e64 s[2:3], v[18:19]
	s_cbranch_execz .LBB353_1728
; %bb.1721:                             ;   in Loop: Header=BB353_1069 Depth=1
	v_lshrrev_b32_e32 v22, 24, v19
	v_bfrev_b32_e32 v8, 1
	s_mov_b32 s15, exec_lo
	s_delay_alu instid0(VALU_DEP_2)
	v_cmpx_ne_u32_e32 0x80, v22
	s_cbranch_execz .LBB353_1727
; %bb.1722:                             ;   in Loop: Header=BB353_1069 Depth=1
	v_bfe_u32 v18, v19, 24, 7
	v_mov_b32_e32 v8, 0x7f800001
	s_mov_b32 s16, exec_lo
	s_delay_alu instid0(VALU_DEP_2)
	v_cmpx_ne_u32_e32 0x7f, v18
	s_cbranch_execz .LBB353_1726
; %bb.1723:                             ;   in Loop: Header=BB353_1069 Depth=1
	v_and_b32_e32 v26, 7, v22
	v_lshrrev_b32_e32 v8, 3, v18
	v_cmp_gt_u32_e64 s0, 8, v18
	s_delay_alu instid0(VALU_DEP_3)
	v_mov_b64_e32 v[18:19], v[26:27]
	s_and_saveexec_b32 s17, s0
; %bb.1724:                             ;   in Loop: Header=BB353_1069 Depth=1
	v_clz_i32_u32_e32 v8, v26
	s_delay_alu instid0(VALU_DEP_1) | instskip(NEXT) | instid1(VALU_DEP_1)
	v_min_u32_e32 v8, 32, v8
	v_subrev_nc_u32_e32 v18, 28, v8
	s_delay_alu instid0(VALU_DEP_1) | instskip(NEXT) | instid1(VALU_DEP_1)
	v_lshlrev_b64_e32 v[18:19], v18, v[26:27]
	v_dual_sub_nc_u32 v8, 29, v8 :: v_dual_bitop2_b32 v18, 7, v18 bitop3:0x40
; %bb.1725:                             ;   in Loop: Header=BB353_1069 Depth=1
	s_or_b32 exec_lo, exec_lo, s17
	v_lshlrev_b32_e32 v19, 24, v22
	s_delay_alu instid0(VALU_DEP_2) | instskip(NEXT) | instid1(VALU_DEP_3)
	v_lshlrev_b32_e32 v18, 20, v18
	v_lshl_add_u32 v8, v8, 23, 0x3c000000
	s_delay_alu instid0(VALU_DEP_3) | instskip(NEXT) | instid1(VALU_DEP_1)
	v_and_b32_e32 v19, 0x80000000, v19
	v_or3_b32 v8, v18, v19, v8
.LBB353_1726:                           ;   in Loop: Header=BB353_1069 Depth=1
	s_or_b32 exec_lo, exec_lo, s16
.LBB353_1727:                           ;   in Loop: Header=BB353_1069 Depth=1
	s_delay_alu instid0(SALU_CYCLE_1)
	s_or_b32 exec_lo, exec_lo, s15
.LBB353_1728:                           ;   in Loop: Header=BB353_1069 Depth=1
	s_delay_alu instid0(SALU_CYCLE_1)
	s_or_b32 exec_lo, exec_lo, s14
	v_fma_mixlo_bf16 v50, v86, v7, 0
	v_fma_mixlo_bf16 v53, v86, v6, 0
	;; [unrolled: 1-line block ×8, first 2 shown]
	s_and_saveexec_b32 s14, vcc_lo
	s_cbranch_execz .LBB353_1730
; %bb.1729:                             ;   in Loop: Header=BB353_1069 Depth=1
	scratch_load_b32 v2, off, s32 offset:192 ; 4-byte Folded Reload
	s_wait_loadcnt 0x0
	v_cmp_lt_i32_e64 s0, v115, v2
	s_delay_alu instid0(VALU_DEP_1) | instskip(SKIP_1) | instid1(VALU_DEP_1)
	v_cndmask_b32_e64 v49, 0, v49, s0
	v_cmp_lt_i32_e64 s0, v119, v2
	v_cndmask_b32_e64 v48, 0, v48, s0
	v_cmp_lt_i32_e64 s0, v118, v2
	s_delay_alu instid0(VALU_DEP_1) | instskip(SKIP_1) | instid1(VALU_DEP_1)
	v_cndmask_b32_e64 v37, 0, v37, s0
	v_cmp_lt_i32_e64 s0, v117, v2
	v_cndmask_b32_e64 v36, 0, v36, s0
	;; [unrolled: 5-line block ×4, first 2 shown]
.LBB353_1730:                           ;   in Loop: Header=BB353_1069 Depth=1
	s_wait_xcnt 0x0
	s_or_b32 exec_lo, exec_lo, s14
	flat_load_b64 v[18:19], v[0:1] offset:2560
	v_dual_mov_b32 v3, 0 :: v_dual_mov_b32 v2, 0
	s_mov_b32 s14, exec_lo
	s_wait_loadcnt_dscnt 0x0
	v_and_b32_e32 v4, 0xff, v18
	s_wait_xcnt 0x0
	s_delay_alu instid0(VALU_DEP_1)
	v_cmpx_ne_u16_e32 0, v4
	s_cbranch_execz .LBB353_1738
; %bb.1731:                             ;   in Loop: Header=BB353_1069 Depth=1
	v_bfrev_b32_e32 v2, 1
	s_mov_b32 s15, exec_lo
	v_cmpx_ne_u16_e32 0x80, v4
	s_cbranch_execz .LBB353_1737
; %bb.1732:                             ;   in Loop: Header=BB353_1069 Depth=1
	v_and_b32_e32 v4, 0x7f, v18
	v_mov_b32_e32 v2, 0x7f800001
	s_mov_b32 s16, exec_lo
	s_delay_alu instid0(VALU_DEP_2)
	v_cmpx_ne_u32_e32 0x7f, v4
	s_cbranch_execz .LBB353_1736
; %bb.1733:                             ;   in Loop: Header=BB353_1069 Depth=1
	v_mov_b64_e32 v[22:23], v[18:19]
	v_lshrrev_b32_e32 v2, 3, v4
	s_mov_b32 s17, exec_lo
	v_cmpx_gt_u32_e32 8, v4
; %bb.1734:                             ;   in Loop: Header=BB353_1069 Depth=1
	v_and_b32_e32 v2, 7, v18
	s_delay_alu instid0(VALU_DEP_1) | instskip(NEXT) | instid1(VALU_DEP_1)
	v_clz_i32_u32_e32 v2, v2
	v_min_u32_e32 v2, 32, v2
	s_delay_alu instid0(VALU_DEP_1) | instskip(SKIP_1) | instid1(VALU_DEP_2)
	v_subrev_nc_u32_e32 v4, 28, v2
	v_sub_nc_u32_e32 v2, 29, v2
	v_lshlrev_b64_e32 v[22:23], v4, v[18:19]
; %bb.1735:                             ;   in Loop: Header=BB353_1069 Depth=1
	s_or_b32 exec_lo, exec_lo, s17
	s_delay_alu instid0(VALU_DEP_1) | instskip(SKIP_2) | instid1(VALU_DEP_3)
	v_lshlrev_b32_e32 v4, 20, v22
	v_lshlrev_b32_e32 v5, 24, v18
	v_lshl_add_u32 v2, v2, 23, 0x3c000000
	v_and_b32_e32 v4, 0x700000, v4
	s_delay_alu instid0(VALU_DEP_3) | instskip(NEXT) | instid1(VALU_DEP_1)
	v_and_b32_e32 v5, 0x80000000, v5
	v_or3_b32 v2, v4, v5, v2
.LBB353_1736:                           ;   in Loop: Header=BB353_1069 Depth=1
	s_or_b32 exec_lo, exec_lo, s16
.LBB353_1737:                           ;   in Loop: Header=BB353_1069 Depth=1
	s_delay_alu instid0(SALU_CYCLE_1)
	s_or_b32 exec_lo, exec_lo, s15
.LBB353_1738:                           ;   in Loop: Header=BB353_1069 Depth=1
	s_delay_alu instid0(SALU_CYCLE_1) | instskip(SKIP_2) | instid1(VALU_DEP_1)
	s_or_b32 exec_lo, exec_lo, s14
	v_lshrrev_b16 v4, 8, v18
	s_mov_b32 s14, exec_lo
	v_cmpx_ne_u16_e32 0, v4
	s_cbranch_execz .LBB353_1746
; %bb.1739:                             ;   in Loop: Header=BB353_1069 Depth=1
	v_bfrev_b32_e32 v3, 1
	s_mov_b32 s15, exec_lo
	v_cmpx_ne_u16_e32 0x80, v4
	s_cbranch_execz .LBB353_1745
; %bb.1740:                             ;   in Loop: Header=BB353_1069 Depth=1
	v_and_b32_e32 v5, 0xffff, v4
	v_mov_b32_e32 v3, 0x7f800001
	s_mov_b32 s16, exec_lo
	s_delay_alu instid0(VALU_DEP_2) | instskip(NEXT) | instid1(VALU_DEP_1)
	v_and_b32_e32 v4, 0x7f, v5
	v_cmpx_ne_u32_e32 0x7f, v4
	s_cbranch_execz .LBB353_1744
; %bb.1741:                             ;   in Loop: Header=BB353_1069 Depth=1
	v_dual_lshrrev_b32 v3, 3, v4 :: v_dual_bitop2_b32 v26, 7, v5 bitop3:0x40
	s_mov_b32 s17, exec_lo
	s_delay_alu instid0(VALU_DEP_1)
	v_mov_b64_e32 v[22:23], v[26:27]
	v_cmpx_gt_u32_e32 8, v4
; %bb.1742:                             ;   in Loop: Header=BB353_1069 Depth=1
	v_clz_i32_u32_e32 v3, v26
	s_delay_alu instid0(VALU_DEP_1) | instskip(NEXT) | instid1(VALU_DEP_1)
	v_min_u32_e32 v3, 32, v3
	v_subrev_nc_u32_e32 v4, 28, v3
	s_delay_alu instid0(VALU_DEP_1) | instskip(NEXT) | instid1(VALU_DEP_1)
	v_lshlrev_b64_e32 v[4:5], v4, v[26:27]
	v_dual_sub_nc_u32 v3, 29, v3 :: v_dual_bitop2_b32 v22, 7, v4 bitop3:0x40
; %bb.1743:                             ;   in Loop: Header=BB353_1069 Depth=1
	s_or_b32 exec_lo, exec_lo, s17
	v_lshlrev_b32_e32 v4, 16, v18
	s_delay_alu instid0(VALU_DEP_2) | instskip(NEXT) | instid1(VALU_DEP_3)
	v_lshlrev_b32_e32 v5, 20, v22
	v_lshl_add_u32 v3, v3, 23, 0x3c000000
	s_delay_alu instid0(VALU_DEP_3) | instskip(NEXT) | instid1(VALU_DEP_1)
	v_and_b32_e32 v4, 0x80000000, v4
	v_or3_b32 v3, v5, v4, v3
.LBB353_1744:                           ;   in Loop: Header=BB353_1069 Depth=1
	s_or_b32 exec_lo, exec_lo, s16
.LBB353_1745:                           ;   in Loop: Header=BB353_1069 Depth=1
	s_delay_alu instid0(SALU_CYCLE_1)
	s_or_b32 exec_lo, exec_lo, s15
.LBB353_1746:                           ;   in Loop: Header=BB353_1069 Depth=1
	s_delay_alu instid0(SALU_CYCLE_1) | instskip(SKIP_3) | instid1(VALU_DEP_2)
	s_or_b32 exec_lo, exec_lo, s14
	v_dual_mov_b32 v5, 0 :: v_dual_lshrrev_b32 v6, 16, v18
	v_mov_b32_e32 v4, 0
	s_mov_b32 s14, exec_lo
	v_and_b32_e32 v7, 0xff, v6
	s_delay_alu instid0(VALU_DEP_1)
	v_cmpx_ne_u16_e32 0, v7
	s_cbranch_execz .LBB353_1754
; %bb.1747:                             ;   in Loop: Header=BB353_1069 Depth=1
	v_bfrev_b32_e32 v4, 1
	s_mov_b32 s15, exec_lo
	v_cmpx_ne_u16_e32 0x80, v7
	s_cbranch_execz .LBB353_1753
; %bb.1748:                             ;   in Loop: Header=BB353_1069 Depth=1
	v_bfe_u32 v7, v18, 16, 7
	v_mov_b32_e32 v4, 0x7f800001
	s_mov_b32 s16, exec_lo
	s_delay_alu instid0(VALU_DEP_2)
	v_cmpx_ne_u32_e32 0x7f, v7
	s_cbranch_execz .LBB353_1752
; %bb.1749:                             ;   in Loop: Header=BB353_1069 Depth=1
	v_dual_lshrrev_b32 v4, 3, v7 :: v_dual_bitop2_b32 v26, 7, v6 bitop3:0x40
	s_mov_b32 s17, exec_lo
	s_delay_alu instid0(VALU_DEP_1)
	v_mov_b64_e32 v[22:23], v[26:27]
	v_cmpx_gt_u32_e32 8, v7
; %bb.1750:                             ;   in Loop: Header=BB353_1069 Depth=1
	v_clz_i32_u32_e32 v4, v26
	s_delay_alu instid0(VALU_DEP_1) | instskip(NEXT) | instid1(VALU_DEP_1)
	v_min_u32_e32 v4, 32, v4
	v_subrev_nc_u32_e32 v7, 28, v4
	v_sub_nc_u32_e32 v4, 29, v4
	s_delay_alu instid0(VALU_DEP_2) | instskip(NEXT) | instid1(VALU_DEP_1)
	v_lshlrev_b64_e32 v[8:9], v7, v[26:27]
	v_and_b32_e32 v22, 7, v8
; %bb.1751:                             ;   in Loop: Header=BB353_1069 Depth=1
	s_or_b32 exec_lo, exec_lo, s17
	v_lshlrev_b32_e32 v6, 24, v6
	s_delay_alu instid0(VALU_DEP_2) | instskip(SKIP_1) | instid1(VALU_DEP_3)
	v_lshlrev_b32_e32 v7, 20, v22
	v_lshl_add_u32 v4, v4, 23, 0x3c000000
	v_and_b32_e32 v6, 0x80000000, v6
	s_delay_alu instid0(VALU_DEP_1)
	v_or3_b32 v4, v7, v6, v4
.LBB353_1752:                           ;   in Loop: Header=BB353_1069 Depth=1
	s_or_b32 exec_lo, exec_lo, s16
.LBB353_1753:                           ;   in Loop: Header=BB353_1069 Depth=1
	s_delay_alu instid0(SALU_CYCLE_1)
	s_or_b32 exec_lo, exec_lo, s15
.LBB353_1754:                           ;   in Loop: Header=BB353_1069 Depth=1
	s_delay_alu instid0(SALU_CYCLE_1) | instskip(NEXT) | instid1(SALU_CYCLE_1)
	s_or_b32 exec_lo, exec_lo, s14
	s_mov_b32 s14, exec_lo
	v_cmpx_lt_u32_e32 0xffffff, v18
	s_cbranch_execz .LBB353_1762
; %bb.1755:                             ;   in Loop: Header=BB353_1069 Depth=1
	v_lshrrev_b32_e32 v6, 24, v18
	v_bfrev_b32_e32 v5, 1
	s_mov_b32 s15, exec_lo
	s_delay_alu instid0(VALU_DEP_2)
	v_cmpx_ne_u32_e32 0x80, v6
	s_cbranch_execz .LBB353_1761
; %bb.1756:                             ;   in Loop: Header=BB353_1069 Depth=1
	v_bfe_u32 v7, v18, 24, 7
	v_mov_b32_e32 v5, 0x7f800001
	s_mov_b32 s16, exec_lo
	s_delay_alu instid0(VALU_DEP_2)
	v_cmpx_ne_u32_e32 0x7f, v7
	s_cbranch_execz .LBB353_1760
; %bb.1757:                             ;   in Loop: Header=BB353_1069 Depth=1
	v_dual_lshrrev_b32 v5, 3, v7 :: v_dual_bitop2_b32 v26, 7, v6 bitop3:0x40
	s_mov_b32 s17, exec_lo
	s_delay_alu instid0(VALU_DEP_1)
	v_mov_b64_e32 v[22:23], v[26:27]
	v_cmpx_gt_u32_e32 8, v7
; %bb.1758:                             ;   in Loop: Header=BB353_1069 Depth=1
	v_clz_i32_u32_e32 v5, v26
	s_delay_alu instid0(VALU_DEP_1) | instskip(NEXT) | instid1(VALU_DEP_1)
	v_min_u32_e32 v5, 32, v5
	v_subrev_nc_u32_e32 v7, 28, v5
	s_delay_alu instid0(VALU_DEP_1) | instskip(NEXT) | instid1(VALU_DEP_1)
	v_lshlrev_b64_e32 v[8:9], v7, v[26:27]
	v_dual_sub_nc_u32 v5, 29, v5 :: v_dual_bitop2_b32 v22, 7, v8 bitop3:0x40
; %bb.1759:                             ;   in Loop: Header=BB353_1069 Depth=1
	s_or_b32 exec_lo, exec_lo, s17
	v_lshlrev_b32_e32 v6, 24, v6
	s_delay_alu instid0(VALU_DEP_2) | instskip(NEXT) | instid1(VALU_DEP_3)
	v_lshlrev_b32_e32 v7, 20, v22
	v_lshl_add_u32 v5, v5, 23, 0x3c000000
	s_delay_alu instid0(VALU_DEP_3) | instskip(NEXT) | instid1(VALU_DEP_1)
	v_and_b32_e32 v6, 0x80000000, v6
	v_or3_b32 v5, v7, v6, v5
.LBB353_1760:                           ;   in Loop: Header=BB353_1069 Depth=1
	s_or_b32 exec_lo, exec_lo, s16
.LBB353_1761:                           ;   in Loop: Header=BB353_1069 Depth=1
	s_delay_alu instid0(SALU_CYCLE_1)
	s_or_b32 exec_lo, exec_lo, s15
.LBB353_1762:                           ;   in Loop: Header=BB353_1069 Depth=1
	s_delay_alu instid0(SALU_CYCLE_1) | instskip(SKIP_4) | instid1(VALU_DEP_3)
	s_or_b32 exec_lo, exec_lo, s14
	v_and_b32_e32 v8, 0xff, v19
	v_dual_mov_b32 v26, v19 :: v_dual_mov_b32 v7, 0
	v_mov_b32_e32 v6, 0
	s_mov_b32 s14, exec_lo
	v_cmpx_ne_u16_e32 0, v8
	s_cbranch_execz .LBB353_1770
; %bb.1763:                             ;   in Loop: Header=BB353_1069 Depth=1
	v_bfrev_b32_e32 v6, 1
	s_mov_b32 s15, exec_lo
	v_cmpx_ne_u16_e32 0x80, v8
	s_cbranch_execz .LBB353_1769
; %bb.1764:                             ;   in Loop: Header=BB353_1069 Depth=1
	v_and_b32_e32 v8, 0x7f, v19
	v_mov_b32_e32 v6, 0x7f800001
	s_mov_b32 s16, exec_lo
	s_delay_alu instid0(VALU_DEP_2)
	v_cmpx_ne_u32_e32 0x7f, v8
	s_cbranch_execz .LBB353_1768
; %bb.1765:                             ;   in Loop: Header=BB353_1069 Depth=1
	v_mov_b64_e32 v[22:23], v[26:27]
	v_lshrrev_b32_e32 v6, 3, v8
	s_mov_b32 s17, exec_lo
	v_cmpx_gt_u32_e32 8, v8
; %bb.1766:                             ;   in Loop: Header=BB353_1069 Depth=1
	v_and_b32_e32 v6, 7, v19
	s_delay_alu instid0(VALU_DEP_1) | instskip(NEXT) | instid1(VALU_DEP_1)
	v_clz_i32_u32_e32 v6, v6
	v_min_u32_e32 v6, 32, v6
	s_delay_alu instid0(VALU_DEP_1) | instskip(SKIP_1) | instid1(VALU_DEP_2)
	v_subrev_nc_u32_e32 v8, 28, v6
	v_sub_nc_u32_e32 v6, 29, v6
	v_lshlrev_b64_e32 v[22:23], v8, v[26:27]
; %bb.1767:                             ;   in Loop: Header=BB353_1069 Depth=1
	s_or_b32 exec_lo, exec_lo, s17
	s_delay_alu instid0(VALU_DEP_1) | instskip(SKIP_2) | instid1(VALU_DEP_3)
	v_lshlrev_b32_e32 v8, 20, v22
	v_lshlrev_b32_e32 v9, 24, v26
	v_lshl_add_u32 v6, v6, 23, 0x3c000000
	v_and_b32_e32 v8, 0x700000, v8
	s_delay_alu instid0(VALU_DEP_3) | instskip(NEXT) | instid1(VALU_DEP_1)
	v_and_b32_e32 v9, 0x80000000, v9
	v_or3_b32 v6, v8, v9, v6
.LBB353_1768:                           ;   in Loop: Header=BB353_1069 Depth=1
	s_or_b32 exec_lo, exec_lo, s16
.LBB353_1769:                           ;   in Loop: Header=BB353_1069 Depth=1
	s_delay_alu instid0(SALU_CYCLE_1)
	s_or_b32 exec_lo, exec_lo, s15
.LBB353_1770:                           ;   in Loop: Header=BB353_1069 Depth=1
	s_delay_alu instid0(SALU_CYCLE_1) | instskip(SKIP_2) | instid1(VALU_DEP_1)
	s_or_b32 exec_lo, exec_lo, s14
	v_lshrrev_b16 v8, 8, v26
	s_mov_b32 s14, exec_lo
	v_cmpx_ne_u16_e32 0, v8
	s_cbranch_execz .LBB353_1778
; %bb.1771:                             ;   in Loop: Header=BB353_1069 Depth=1
	v_bfrev_b32_e32 v7, 1
	s_mov_b32 s15, exec_lo
	v_cmpx_ne_u16_e32 0x80, v8
	s_cbranch_execz .LBB353_1777
; %bb.1772:                             ;   in Loop: Header=BB353_1069 Depth=1
	v_and_b32_e32 v9, 0xffff, v8
	v_mov_b32_e32 v7, 0x7f800001
	s_mov_b32 s16, exec_lo
	s_delay_alu instid0(VALU_DEP_2) | instskip(NEXT) | instid1(VALU_DEP_1)
	v_and_b32_e32 v8, 0x7f, v9
	v_cmpx_ne_u32_e32 0x7f, v8
	s_cbranch_execz .LBB353_1776
; %bb.1773:                             ;   in Loop: Header=BB353_1069 Depth=1
	v_dual_mov_b32 v23, v27 :: v_dual_bitop2_b32 v22, 7, v9 bitop3:0x40
	v_lshrrev_b32_e32 v7, 3, v8
	s_mov_b32 s17, exec_lo
	v_cmpx_gt_u32_e32 8, v8
; %bb.1774:                             ;   in Loop: Header=BB353_1069 Depth=1
	s_delay_alu instid0(VALU_DEP_3) | instskip(NEXT) | instid1(VALU_DEP_1)
	v_clz_i32_u32_e32 v7, v22
	v_min_u32_e32 v7, 32, v7
	s_delay_alu instid0(VALU_DEP_1) | instskip(NEXT) | instid1(VALU_DEP_1)
	v_subrev_nc_u32_e32 v8, 28, v7
	v_lshlrev_b64_e32 v[8:9], v8, v[22:23]
	s_delay_alu instid0(VALU_DEP_1)
	v_dual_sub_nc_u32 v7, 29, v7 :: v_dual_bitop2_b32 v22, 7, v8 bitop3:0x40
; %bb.1775:                             ;   in Loop: Header=BB353_1069 Depth=1
	s_or_b32 exec_lo, exec_lo, s17
	v_lshlrev_b32_e32 v8, 16, v26
	s_delay_alu instid0(VALU_DEP_2) | instskip(NEXT) | instid1(VALU_DEP_3)
	v_lshlrev_b32_e32 v9, 20, v22
	v_lshl_add_u32 v7, v7, 23, 0x3c000000
	s_delay_alu instid0(VALU_DEP_3) | instskip(NEXT) | instid1(VALU_DEP_1)
	v_and_b32_e32 v8, 0x80000000, v8
	v_or3_b32 v7, v9, v8, v7
.LBB353_1776:                           ;   in Loop: Header=BB353_1069 Depth=1
	s_or_b32 exec_lo, exec_lo, s16
.LBB353_1777:                           ;   in Loop: Header=BB353_1069 Depth=1
	s_delay_alu instid0(SALU_CYCLE_1)
	s_or_b32 exec_lo, exec_lo, s15
.LBB353_1778:                           ;   in Loop: Header=BB353_1069 Depth=1
	s_delay_alu instid0(SALU_CYCLE_1) | instskip(SKIP_3) | instid1(VALU_DEP_2)
	s_or_b32 exec_lo, exec_lo, s14
	v_dual_lshrrev_b32 v24, 16, v19 :: v_dual_mov_b32 v8, 0
	v_mov_b32_e32 v9, 0
	s_mov_b32 s14, exec_lo
	v_and_b32_e32 v22, 0xff, v24
	s_delay_alu instid0(VALU_DEP_1)
	v_cmpx_ne_u16_e32 0, v22
	s_cbranch_execz .LBB353_1786
; %bb.1779:                             ;   in Loop: Header=BB353_1069 Depth=1
	v_bfrev_b32_e32 v9, 1
	s_mov_b32 s15, exec_lo
	v_cmpx_ne_u16_e32 0x80, v22
	s_cbranch_execz .LBB353_1785
; %bb.1780:                             ;   in Loop: Header=BB353_1069 Depth=1
	v_bfe_u32 v22, v19, 16, 7
	v_mov_b32_e32 v9, 0x7f800001
	s_mov_b32 s16, exec_lo
	s_delay_alu instid0(VALU_DEP_2)
	v_cmpx_ne_u32_e32 0x7f, v22
	s_cbranch_execz .LBB353_1784
; %bb.1781:                             ;   in Loop: Header=BB353_1069 Depth=1
	v_dual_lshrrev_b32 v9, 3, v22 :: v_dual_bitop2_b32 v26, 7, v24 bitop3:0x40
	v_cmp_gt_u32_e64 s0, 8, v22
	s_delay_alu instid0(VALU_DEP_2)
	v_mov_b64_e32 v[22:23], v[26:27]
	s_and_saveexec_b32 s17, s0
; %bb.1782:                             ;   in Loop: Header=BB353_1069 Depth=1
	v_clz_i32_u32_e32 v9, v26
	s_delay_alu instid0(VALU_DEP_1) | instskip(NEXT) | instid1(VALU_DEP_1)
	v_min_u32_e32 v9, 32, v9
	v_subrev_nc_u32_e32 v22, 28, v9
	s_delay_alu instid0(VALU_DEP_1) | instskip(NEXT) | instid1(VALU_DEP_1)
	v_lshlrev_b64_e32 v[22:23], v22, v[26:27]
	v_dual_sub_nc_u32 v9, 29, v9 :: v_dual_bitop2_b32 v22, 7, v22 bitop3:0x40
; %bb.1783:                             ;   in Loop: Header=BB353_1069 Depth=1
	s_or_b32 exec_lo, exec_lo, s17
	s_delay_alu instid0(VALU_DEP_1) | instskip(NEXT) | instid1(VALU_DEP_2)
	v_dual_lshlrev_b32 v23, 24, v24 :: v_dual_lshlrev_b32 v22, 20, v22
	v_lshl_add_u32 v9, v9, 23, 0x3c000000
	s_delay_alu instid0(VALU_DEP_2) | instskip(NEXT) | instid1(VALU_DEP_1)
	v_and_b32_e32 v23, 0x80000000, v23
	v_or3_b32 v9, v22, v23, v9
.LBB353_1784:                           ;   in Loop: Header=BB353_1069 Depth=1
	s_or_b32 exec_lo, exec_lo, s16
.LBB353_1785:                           ;   in Loop: Header=BB353_1069 Depth=1
	s_delay_alu instid0(SALU_CYCLE_1)
	s_or_b32 exec_lo, exec_lo, s15
.LBB353_1786:                           ;   in Loop: Header=BB353_1069 Depth=1
	s_delay_alu instid0(SALU_CYCLE_1) | instskip(NEXT) | instid1(SALU_CYCLE_1)
	s_or_b32 exec_lo, exec_lo, s14
	s_mov_b32 s14, exec_lo
	v_cmpx_lt_u64_e64 s[2:3], v[18:19]
	s_cbranch_execz .LBB353_1794
; %bb.1787:                             ;   in Loop: Header=BB353_1069 Depth=1
	v_lshrrev_b32_e32 v22, 24, v19
	v_bfrev_b32_e32 v8, 1
	s_mov_b32 s15, exec_lo
	s_delay_alu instid0(VALU_DEP_2)
	v_cmpx_ne_u32_e32 0x80, v22
	s_cbranch_execz .LBB353_1793
; %bb.1788:                             ;   in Loop: Header=BB353_1069 Depth=1
	v_bfe_u32 v18, v19, 24, 7
	v_mov_b32_e32 v8, 0x7f800001
	s_mov_b32 s16, exec_lo
	s_delay_alu instid0(VALU_DEP_2)
	v_cmpx_ne_u32_e32 0x7f, v18
	s_cbranch_execz .LBB353_1792
; %bb.1789:                             ;   in Loop: Header=BB353_1069 Depth=1
	v_and_b32_e32 v26, 7, v22
	v_lshrrev_b32_e32 v8, 3, v18
	v_cmp_gt_u32_e64 s0, 8, v18
	s_delay_alu instid0(VALU_DEP_3)
	v_mov_b64_e32 v[18:19], v[26:27]
	s_and_saveexec_b32 s17, s0
; %bb.1790:                             ;   in Loop: Header=BB353_1069 Depth=1
	v_clz_i32_u32_e32 v8, v26
	s_delay_alu instid0(VALU_DEP_1) | instskip(NEXT) | instid1(VALU_DEP_1)
	v_min_u32_e32 v8, 32, v8
	v_subrev_nc_u32_e32 v18, 28, v8
	s_delay_alu instid0(VALU_DEP_1) | instskip(NEXT) | instid1(VALU_DEP_1)
	v_lshlrev_b64_e32 v[18:19], v18, v[26:27]
	v_dual_sub_nc_u32 v8, 29, v8 :: v_dual_bitop2_b32 v18, 7, v18 bitop3:0x40
; %bb.1791:                             ;   in Loop: Header=BB353_1069 Depth=1
	s_or_b32 exec_lo, exec_lo, s17
	v_lshlrev_b32_e32 v19, 24, v22
	s_delay_alu instid0(VALU_DEP_2) | instskip(NEXT) | instid1(VALU_DEP_3)
	v_lshlrev_b32_e32 v18, 20, v18
	v_lshl_add_u32 v8, v8, 23, 0x3c000000
	s_delay_alu instid0(VALU_DEP_3) | instskip(NEXT) | instid1(VALU_DEP_1)
	v_and_b32_e32 v19, 0x80000000, v19
	v_or3_b32 v8, v18, v19, v8
.LBB353_1792:                           ;   in Loop: Header=BB353_1069 Depth=1
	s_or_b32 exec_lo, exec_lo, s16
.LBB353_1793:                           ;   in Loop: Header=BB353_1069 Depth=1
	s_delay_alu instid0(SALU_CYCLE_1)
	s_or_b32 exec_lo, exec_lo, s15
.LBB353_1794:                           ;   in Loop: Header=BB353_1069 Depth=1
	s_delay_alu instid0(SALU_CYCLE_1)
	s_or_b32 exec_lo, exec_lo, s14
	v_fma_mixlo_bf16 v25, v86, v7, 0
	v_fma_mixlo_bf16 v55, v86, v6, 0
	;; [unrolled: 1-line block ×8, first 2 shown]
	s_and_saveexec_b32 s14, vcc_lo
	s_cbranch_execz .LBB353_1796
; %bb.1795:                             ;   in Loop: Header=BB353_1069 Depth=1
	scratch_load_b32 v2, off, s32 offset:192 ; 4-byte Folded Reload
	s_wait_loadcnt 0x0
	v_cmp_lt_i32_e64 s0, v115, v2
	s_delay_alu instid0(VALU_DEP_1) | instskip(SKIP_1) | instid1(VALU_DEP_1)
	v_cndmask_b32_e64 v69, 0, v69, s0
	v_cmp_lt_i32_e64 s0, v119, v2
	v_cndmask_b32_e64 v68, 0, v68, s0
	v_cmp_lt_i32_e64 s0, v118, v2
	s_delay_alu instid0(VALU_DEP_1) | instskip(SKIP_1) | instid1(VALU_DEP_1)
	v_cndmask_b32_e64 v67, 0, v67, s0
	v_cmp_lt_i32_e64 s0, v117, v2
	v_cndmask_b32_e64 v66, 0, v66, s0
	;; [unrolled: 5-line block ×4, first 2 shown]
.LBB353_1796:                           ;   in Loop: Header=BB353_1069 Depth=1
	s_wait_xcnt 0x0
	s_or_b32 exec_lo, exec_lo, s14
	flat_load_b64 v[18:19], v[0:1] offset:2816
	v_dual_mov_b32 v3, 0 :: v_dual_mov_b32 v2, 0
	s_mov_b32 s14, exec_lo
	s_wait_loadcnt_dscnt 0x0
	v_and_b32_e32 v4, 0xff, v18
	s_wait_xcnt 0x0
	s_delay_alu instid0(VALU_DEP_1)
	v_cmpx_ne_u16_e32 0, v4
	s_cbranch_execz .LBB353_1804
; %bb.1797:                             ;   in Loop: Header=BB353_1069 Depth=1
	v_bfrev_b32_e32 v2, 1
	s_mov_b32 s15, exec_lo
	v_cmpx_ne_u16_e32 0x80, v4
	s_cbranch_execz .LBB353_1803
; %bb.1798:                             ;   in Loop: Header=BB353_1069 Depth=1
	v_and_b32_e32 v4, 0x7f, v18
	v_mov_b32_e32 v2, 0x7f800001
	s_mov_b32 s16, exec_lo
	s_delay_alu instid0(VALU_DEP_2)
	v_cmpx_ne_u32_e32 0x7f, v4
	s_cbranch_execz .LBB353_1802
; %bb.1799:                             ;   in Loop: Header=BB353_1069 Depth=1
	v_mov_b64_e32 v[22:23], v[18:19]
	v_lshrrev_b32_e32 v2, 3, v4
	s_mov_b32 s17, exec_lo
	v_cmpx_gt_u32_e32 8, v4
; %bb.1800:                             ;   in Loop: Header=BB353_1069 Depth=1
	v_and_b32_e32 v2, 7, v18
	s_delay_alu instid0(VALU_DEP_1) | instskip(NEXT) | instid1(VALU_DEP_1)
	v_clz_i32_u32_e32 v2, v2
	v_min_u32_e32 v2, 32, v2
	s_delay_alu instid0(VALU_DEP_1) | instskip(SKIP_1) | instid1(VALU_DEP_2)
	v_subrev_nc_u32_e32 v4, 28, v2
	v_sub_nc_u32_e32 v2, 29, v2
	v_lshlrev_b64_e32 v[22:23], v4, v[18:19]
; %bb.1801:                             ;   in Loop: Header=BB353_1069 Depth=1
	s_or_b32 exec_lo, exec_lo, s17
	s_delay_alu instid0(VALU_DEP_1) | instskip(SKIP_2) | instid1(VALU_DEP_3)
	v_lshlrev_b32_e32 v4, 20, v22
	v_lshlrev_b32_e32 v5, 24, v18
	v_lshl_add_u32 v2, v2, 23, 0x3c000000
	v_and_b32_e32 v4, 0x700000, v4
	s_delay_alu instid0(VALU_DEP_3) | instskip(NEXT) | instid1(VALU_DEP_1)
	v_and_b32_e32 v5, 0x80000000, v5
	v_or3_b32 v2, v4, v5, v2
.LBB353_1802:                           ;   in Loop: Header=BB353_1069 Depth=1
	s_or_b32 exec_lo, exec_lo, s16
.LBB353_1803:                           ;   in Loop: Header=BB353_1069 Depth=1
	s_delay_alu instid0(SALU_CYCLE_1)
	s_or_b32 exec_lo, exec_lo, s15
.LBB353_1804:                           ;   in Loop: Header=BB353_1069 Depth=1
	s_delay_alu instid0(SALU_CYCLE_1) | instskip(SKIP_2) | instid1(VALU_DEP_1)
	s_or_b32 exec_lo, exec_lo, s14
	v_lshrrev_b16 v4, 8, v18
	s_mov_b32 s14, exec_lo
	v_cmpx_ne_u16_e32 0, v4
	s_cbranch_execz .LBB353_1812
; %bb.1805:                             ;   in Loop: Header=BB353_1069 Depth=1
	v_bfrev_b32_e32 v3, 1
	s_mov_b32 s15, exec_lo
	v_cmpx_ne_u16_e32 0x80, v4
	s_cbranch_execz .LBB353_1811
; %bb.1806:                             ;   in Loop: Header=BB353_1069 Depth=1
	v_and_b32_e32 v5, 0xffff, v4
	v_mov_b32_e32 v3, 0x7f800001
	s_mov_b32 s16, exec_lo
	s_delay_alu instid0(VALU_DEP_2) | instskip(NEXT) | instid1(VALU_DEP_1)
	v_and_b32_e32 v4, 0x7f, v5
	v_cmpx_ne_u32_e32 0x7f, v4
	s_cbranch_execz .LBB353_1810
; %bb.1807:                             ;   in Loop: Header=BB353_1069 Depth=1
	v_dual_lshrrev_b32 v3, 3, v4 :: v_dual_bitop2_b32 v26, 7, v5 bitop3:0x40
	s_mov_b32 s17, exec_lo
	s_delay_alu instid0(VALU_DEP_1)
	v_mov_b64_e32 v[22:23], v[26:27]
	v_cmpx_gt_u32_e32 8, v4
; %bb.1808:                             ;   in Loop: Header=BB353_1069 Depth=1
	v_clz_i32_u32_e32 v3, v26
	s_delay_alu instid0(VALU_DEP_1) | instskip(NEXT) | instid1(VALU_DEP_1)
	v_min_u32_e32 v3, 32, v3
	v_subrev_nc_u32_e32 v4, 28, v3
	s_delay_alu instid0(VALU_DEP_1) | instskip(NEXT) | instid1(VALU_DEP_1)
	v_lshlrev_b64_e32 v[4:5], v4, v[26:27]
	v_dual_sub_nc_u32 v3, 29, v3 :: v_dual_bitop2_b32 v22, 7, v4 bitop3:0x40
; %bb.1809:                             ;   in Loop: Header=BB353_1069 Depth=1
	s_or_b32 exec_lo, exec_lo, s17
	v_lshlrev_b32_e32 v4, 16, v18
	s_delay_alu instid0(VALU_DEP_2) | instskip(NEXT) | instid1(VALU_DEP_3)
	v_lshlrev_b32_e32 v5, 20, v22
	v_lshl_add_u32 v3, v3, 23, 0x3c000000
	s_delay_alu instid0(VALU_DEP_3) | instskip(NEXT) | instid1(VALU_DEP_1)
	v_and_b32_e32 v4, 0x80000000, v4
	v_or3_b32 v3, v5, v4, v3
.LBB353_1810:                           ;   in Loop: Header=BB353_1069 Depth=1
	s_or_b32 exec_lo, exec_lo, s16
.LBB353_1811:                           ;   in Loop: Header=BB353_1069 Depth=1
	s_delay_alu instid0(SALU_CYCLE_1)
	s_or_b32 exec_lo, exec_lo, s15
.LBB353_1812:                           ;   in Loop: Header=BB353_1069 Depth=1
	s_delay_alu instid0(SALU_CYCLE_1) | instskip(SKIP_3) | instid1(VALU_DEP_2)
	s_or_b32 exec_lo, exec_lo, s14
	v_dual_mov_b32 v5, 0 :: v_dual_lshrrev_b32 v6, 16, v18
	v_mov_b32_e32 v4, 0
	s_mov_b32 s14, exec_lo
	v_and_b32_e32 v7, 0xff, v6
	s_delay_alu instid0(VALU_DEP_1)
	v_cmpx_ne_u16_e32 0, v7
	s_cbranch_execz .LBB353_1820
; %bb.1813:                             ;   in Loop: Header=BB353_1069 Depth=1
	v_bfrev_b32_e32 v4, 1
	s_mov_b32 s15, exec_lo
	v_cmpx_ne_u16_e32 0x80, v7
	s_cbranch_execz .LBB353_1819
; %bb.1814:                             ;   in Loop: Header=BB353_1069 Depth=1
	v_bfe_u32 v7, v18, 16, 7
	v_mov_b32_e32 v4, 0x7f800001
	s_mov_b32 s16, exec_lo
	s_delay_alu instid0(VALU_DEP_2)
	v_cmpx_ne_u32_e32 0x7f, v7
	s_cbranch_execz .LBB353_1818
; %bb.1815:                             ;   in Loop: Header=BB353_1069 Depth=1
	v_dual_lshrrev_b32 v4, 3, v7 :: v_dual_bitop2_b32 v26, 7, v6 bitop3:0x40
	s_mov_b32 s17, exec_lo
	s_delay_alu instid0(VALU_DEP_1)
	v_mov_b64_e32 v[22:23], v[26:27]
	v_cmpx_gt_u32_e32 8, v7
; %bb.1816:                             ;   in Loop: Header=BB353_1069 Depth=1
	v_clz_i32_u32_e32 v4, v26
	s_delay_alu instid0(VALU_DEP_1) | instskip(NEXT) | instid1(VALU_DEP_1)
	v_min_u32_e32 v4, 32, v4
	v_subrev_nc_u32_e32 v7, 28, v4
	v_sub_nc_u32_e32 v4, 29, v4
	s_delay_alu instid0(VALU_DEP_2) | instskip(NEXT) | instid1(VALU_DEP_1)
	v_lshlrev_b64_e32 v[8:9], v7, v[26:27]
	v_and_b32_e32 v22, 7, v8
; %bb.1817:                             ;   in Loop: Header=BB353_1069 Depth=1
	s_or_b32 exec_lo, exec_lo, s17
	v_lshlrev_b32_e32 v6, 24, v6
	s_delay_alu instid0(VALU_DEP_2) | instskip(SKIP_1) | instid1(VALU_DEP_3)
	v_lshlrev_b32_e32 v7, 20, v22
	v_lshl_add_u32 v4, v4, 23, 0x3c000000
	v_and_b32_e32 v6, 0x80000000, v6
	s_delay_alu instid0(VALU_DEP_1)
	v_or3_b32 v4, v7, v6, v4
.LBB353_1818:                           ;   in Loop: Header=BB353_1069 Depth=1
	s_or_b32 exec_lo, exec_lo, s16
.LBB353_1819:                           ;   in Loop: Header=BB353_1069 Depth=1
	s_delay_alu instid0(SALU_CYCLE_1)
	s_or_b32 exec_lo, exec_lo, s15
.LBB353_1820:                           ;   in Loop: Header=BB353_1069 Depth=1
	s_delay_alu instid0(SALU_CYCLE_1) | instskip(NEXT) | instid1(SALU_CYCLE_1)
	s_or_b32 exec_lo, exec_lo, s14
	s_mov_b32 s14, exec_lo
	v_cmpx_lt_u32_e32 0xffffff, v18
	s_cbranch_execz .LBB353_1828
; %bb.1821:                             ;   in Loop: Header=BB353_1069 Depth=1
	v_lshrrev_b32_e32 v6, 24, v18
	v_bfrev_b32_e32 v5, 1
	s_mov_b32 s15, exec_lo
	s_delay_alu instid0(VALU_DEP_2)
	v_cmpx_ne_u32_e32 0x80, v6
	s_cbranch_execz .LBB353_1827
; %bb.1822:                             ;   in Loop: Header=BB353_1069 Depth=1
	v_bfe_u32 v7, v18, 24, 7
	v_mov_b32_e32 v5, 0x7f800001
	s_mov_b32 s16, exec_lo
	s_delay_alu instid0(VALU_DEP_2)
	v_cmpx_ne_u32_e32 0x7f, v7
	s_cbranch_execz .LBB353_1826
; %bb.1823:                             ;   in Loop: Header=BB353_1069 Depth=1
	v_dual_lshrrev_b32 v5, 3, v7 :: v_dual_bitop2_b32 v26, 7, v6 bitop3:0x40
	s_mov_b32 s17, exec_lo
	s_delay_alu instid0(VALU_DEP_1)
	v_mov_b64_e32 v[22:23], v[26:27]
	v_cmpx_gt_u32_e32 8, v7
; %bb.1824:                             ;   in Loop: Header=BB353_1069 Depth=1
	v_clz_i32_u32_e32 v5, v26
	s_delay_alu instid0(VALU_DEP_1) | instskip(NEXT) | instid1(VALU_DEP_1)
	v_min_u32_e32 v5, 32, v5
	v_subrev_nc_u32_e32 v7, 28, v5
	s_delay_alu instid0(VALU_DEP_1) | instskip(NEXT) | instid1(VALU_DEP_1)
	v_lshlrev_b64_e32 v[8:9], v7, v[26:27]
	v_dual_sub_nc_u32 v5, 29, v5 :: v_dual_bitop2_b32 v22, 7, v8 bitop3:0x40
; %bb.1825:                             ;   in Loop: Header=BB353_1069 Depth=1
	s_or_b32 exec_lo, exec_lo, s17
	v_lshlrev_b32_e32 v6, 24, v6
	s_delay_alu instid0(VALU_DEP_2) | instskip(NEXT) | instid1(VALU_DEP_3)
	v_lshlrev_b32_e32 v7, 20, v22
	v_lshl_add_u32 v5, v5, 23, 0x3c000000
	s_delay_alu instid0(VALU_DEP_3) | instskip(NEXT) | instid1(VALU_DEP_1)
	v_and_b32_e32 v6, 0x80000000, v6
	v_or3_b32 v5, v7, v6, v5
.LBB353_1826:                           ;   in Loop: Header=BB353_1069 Depth=1
	s_or_b32 exec_lo, exec_lo, s16
.LBB353_1827:                           ;   in Loop: Header=BB353_1069 Depth=1
	s_delay_alu instid0(SALU_CYCLE_1)
	s_or_b32 exec_lo, exec_lo, s15
.LBB353_1828:                           ;   in Loop: Header=BB353_1069 Depth=1
	s_delay_alu instid0(SALU_CYCLE_1) | instskip(SKIP_4) | instid1(VALU_DEP_3)
	s_or_b32 exec_lo, exec_lo, s14
	v_and_b32_e32 v8, 0xff, v19
	v_dual_mov_b32 v26, v19 :: v_dual_mov_b32 v7, 0
	v_mov_b32_e32 v6, 0
	s_mov_b32 s14, exec_lo
	v_cmpx_ne_u16_e32 0, v8
	s_cbranch_execz .LBB353_1836
; %bb.1829:                             ;   in Loop: Header=BB353_1069 Depth=1
	v_bfrev_b32_e32 v6, 1
	s_mov_b32 s15, exec_lo
	v_cmpx_ne_u16_e32 0x80, v8
	s_cbranch_execz .LBB353_1835
; %bb.1830:                             ;   in Loop: Header=BB353_1069 Depth=1
	v_and_b32_e32 v8, 0x7f, v19
	v_mov_b32_e32 v6, 0x7f800001
	s_mov_b32 s16, exec_lo
	s_delay_alu instid0(VALU_DEP_2)
	v_cmpx_ne_u32_e32 0x7f, v8
	s_cbranch_execz .LBB353_1834
; %bb.1831:                             ;   in Loop: Header=BB353_1069 Depth=1
	v_mov_b64_e32 v[22:23], v[26:27]
	v_lshrrev_b32_e32 v6, 3, v8
	s_mov_b32 s17, exec_lo
	v_cmpx_gt_u32_e32 8, v8
; %bb.1832:                             ;   in Loop: Header=BB353_1069 Depth=1
	v_and_b32_e32 v6, 7, v19
	s_delay_alu instid0(VALU_DEP_1) | instskip(NEXT) | instid1(VALU_DEP_1)
	v_clz_i32_u32_e32 v6, v6
	v_min_u32_e32 v6, 32, v6
	s_delay_alu instid0(VALU_DEP_1) | instskip(SKIP_1) | instid1(VALU_DEP_2)
	v_subrev_nc_u32_e32 v8, 28, v6
	v_sub_nc_u32_e32 v6, 29, v6
	v_lshlrev_b64_e32 v[22:23], v8, v[26:27]
; %bb.1833:                             ;   in Loop: Header=BB353_1069 Depth=1
	s_or_b32 exec_lo, exec_lo, s17
	s_delay_alu instid0(VALU_DEP_1) | instskip(SKIP_2) | instid1(VALU_DEP_3)
	v_lshlrev_b32_e32 v8, 20, v22
	v_lshlrev_b32_e32 v9, 24, v26
	v_lshl_add_u32 v6, v6, 23, 0x3c000000
	v_and_b32_e32 v8, 0x700000, v8
	s_delay_alu instid0(VALU_DEP_3) | instskip(NEXT) | instid1(VALU_DEP_1)
	v_and_b32_e32 v9, 0x80000000, v9
	v_or3_b32 v6, v8, v9, v6
.LBB353_1834:                           ;   in Loop: Header=BB353_1069 Depth=1
	s_or_b32 exec_lo, exec_lo, s16
.LBB353_1835:                           ;   in Loop: Header=BB353_1069 Depth=1
	s_delay_alu instid0(SALU_CYCLE_1)
	s_or_b32 exec_lo, exec_lo, s15
.LBB353_1836:                           ;   in Loop: Header=BB353_1069 Depth=1
	s_delay_alu instid0(SALU_CYCLE_1) | instskip(SKIP_2) | instid1(VALU_DEP_1)
	s_or_b32 exec_lo, exec_lo, s14
	v_lshrrev_b16 v8, 8, v26
	s_mov_b32 s14, exec_lo
	v_cmpx_ne_u16_e32 0, v8
	s_cbranch_execz .LBB353_1844
; %bb.1837:                             ;   in Loop: Header=BB353_1069 Depth=1
	v_bfrev_b32_e32 v7, 1
	s_mov_b32 s15, exec_lo
	v_cmpx_ne_u16_e32 0x80, v8
	s_cbranch_execz .LBB353_1843
; %bb.1838:                             ;   in Loop: Header=BB353_1069 Depth=1
	v_and_b32_e32 v9, 0xffff, v8
	v_mov_b32_e32 v7, 0x7f800001
	s_mov_b32 s16, exec_lo
	s_delay_alu instid0(VALU_DEP_2) | instskip(NEXT) | instid1(VALU_DEP_1)
	v_and_b32_e32 v8, 0x7f, v9
	v_cmpx_ne_u32_e32 0x7f, v8
	s_cbranch_execz .LBB353_1842
; %bb.1839:                             ;   in Loop: Header=BB353_1069 Depth=1
	v_dual_mov_b32 v23, v27 :: v_dual_bitop2_b32 v22, 7, v9 bitop3:0x40
	v_lshrrev_b32_e32 v7, 3, v8
	s_mov_b32 s17, exec_lo
	v_cmpx_gt_u32_e32 8, v8
; %bb.1840:                             ;   in Loop: Header=BB353_1069 Depth=1
	s_delay_alu instid0(VALU_DEP_3) | instskip(NEXT) | instid1(VALU_DEP_1)
	v_clz_i32_u32_e32 v7, v22
	v_min_u32_e32 v7, 32, v7
	s_delay_alu instid0(VALU_DEP_1) | instskip(NEXT) | instid1(VALU_DEP_1)
	v_subrev_nc_u32_e32 v8, 28, v7
	v_lshlrev_b64_e32 v[8:9], v8, v[22:23]
	s_delay_alu instid0(VALU_DEP_1)
	v_dual_sub_nc_u32 v7, 29, v7 :: v_dual_bitop2_b32 v22, 7, v8 bitop3:0x40
; %bb.1841:                             ;   in Loop: Header=BB353_1069 Depth=1
	s_or_b32 exec_lo, exec_lo, s17
	v_lshlrev_b32_e32 v8, 16, v26
	s_delay_alu instid0(VALU_DEP_2) | instskip(NEXT) | instid1(VALU_DEP_3)
	v_lshlrev_b32_e32 v9, 20, v22
	v_lshl_add_u32 v7, v7, 23, 0x3c000000
	s_delay_alu instid0(VALU_DEP_3) | instskip(NEXT) | instid1(VALU_DEP_1)
	v_and_b32_e32 v8, 0x80000000, v8
	v_or3_b32 v7, v9, v8, v7
.LBB353_1842:                           ;   in Loop: Header=BB353_1069 Depth=1
	s_or_b32 exec_lo, exec_lo, s16
.LBB353_1843:                           ;   in Loop: Header=BB353_1069 Depth=1
	s_delay_alu instid0(SALU_CYCLE_1)
	s_or_b32 exec_lo, exec_lo, s15
.LBB353_1844:                           ;   in Loop: Header=BB353_1069 Depth=1
	s_delay_alu instid0(SALU_CYCLE_1) | instskip(SKIP_3) | instid1(VALU_DEP_2)
	s_or_b32 exec_lo, exec_lo, s14
	v_dual_lshrrev_b32 v24, 16, v19 :: v_dual_mov_b32 v8, 0
	v_mov_b32_e32 v9, 0
	s_mov_b32 s14, exec_lo
	v_and_b32_e32 v22, 0xff, v24
	s_delay_alu instid0(VALU_DEP_1)
	v_cmpx_ne_u16_e32 0, v22
	s_cbranch_execz .LBB353_1852
; %bb.1845:                             ;   in Loop: Header=BB353_1069 Depth=1
	v_bfrev_b32_e32 v9, 1
	s_mov_b32 s15, exec_lo
	v_cmpx_ne_u16_e32 0x80, v22
	s_cbranch_execz .LBB353_1851
; %bb.1846:                             ;   in Loop: Header=BB353_1069 Depth=1
	v_bfe_u32 v22, v19, 16, 7
	v_mov_b32_e32 v9, 0x7f800001
	s_mov_b32 s16, exec_lo
	s_delay_alu instid0(VALU_DEP_2)
	v_cmpx_ne_u32_e32 0x7f, v22
	s_cbranch_execz .LBB353_1850
; %bb.1847:                             ;   in Loop: Header=BB353_1069 Depth=1
	v_dual_lshrrev_b32 v9, 3, v22 :: v_dual_bitop2_b32 v26, 7, v24 bitop3:0x40
	v_cmp_gt_u32_e64 s0, 8, v22
	s_delay_alu instid0(VALU_DEP_2)
	v_mov_b64_e32 v[22:23], v[26:27]
	s_and_saveexec_b32 s17, s0
; %bb.1848:                             ;   in Loop: Header=BB353_1069 Depth=1
	v_clz_i32_u32_e32 v9, v26
	s_delay_alu instid0(VALU_DEP_1) | instskip(NEXT) | instid1(VALU_DEP_1)
	v_min_u32_e32 v9, 32, v9
	v_subrev_nc_u32_e32 v22, 28, v9
	s_delay_alu instid0(VALU_DEP_1) | instskip(NEXT) | instid1(VALU_DEP_1)
	v_lshlrev_b64_e32 v[22:23], v22, v[26:27]
	v_dual_sub_nc_u32 v9, 29, v9 :: v_dual_bitop2_b32 v22, 7, v22 bitop3:0x40
; %bb.1849:                             ;   in Loop: Header=BB353_1069 Depth=1
	s_or_b32 exec_lo, exec_lo, s17
	s_delay_alu instid0(VALU_DEP_1) | instskip(NEXT) | instid1(VALU_DEP_2)
	v_dual_lshlrev_b32 v23, 24, v24 :: v_dual_lshlrev_b32 v22, 20, v22
	v_lshl_add_u32 v9, v9, 23, 0x3c000000
	s_delay_alu instid0(VALU_DEP_2) | instskip(NEXT) | instid1(VALU_DEP_1)
	v_and_b32_e32 v23, 0x80000000, v23
	v_or3_b32 v9, v22, v23, v9
.LBB353_1850:                           ;   in Loop: Header=BB353_1069 Depth=1
	s_or_b32 exec_lo, exec_lo, s16
.LBB353_1851:                           ;   in Loop: Header=BB353_1069 Depth=1
	s_delay_alu instid0(SALU_CYCLE_1)
	s_or_b32 exec_lo, exec_lo, s15
.LBB353_1852:                           ;   in Loop: Header=BB353_1069 Depth=1
	s_delay_alu instid0(SALU_CYCLE_1) | instskip(NEXT) | instid1(SALU_CYCLE_1)
	s_or_b32 exec_lo, exec_lo, s14
	s_mov_b32 s14, exec_lo
	v_cmpx_lt_u64_e64 s[2:3], v[18:19]
	s_cbranch_execz .LBB353_1860
; %bb.1853:                             ;   in Loop: Header=BB353_1069 Depth=1
	v_lshrrev_b32_e32 v22, 24, v19
	v_bfrev_b32_e32 v8, 1
	s_mov_b32 s15, exec_lo
	s_delay_alu instid0(VALU_DEP_2)
	v_cmpx_ne_u32_e32 0x80, v22
	s_cbranch_execz .LBB353_1859
; %bb.1854:                             ;   in Loop: Header=BB353_1069 Depth=1
	v_bfe_u32 v18, v19, 24, 7
	v_mov_b32_e32 v8, 0x7f800001
	s_mov_b32 s16, exec_lo
	s_delay_alu instid0(VALU_DEP_2)
	v_cmpx_ne_u32_e32 0x7f, v18
	s_cbranch_execz .LBB353_1858
; %bb.1855:                             ;   in Loop: Header=BB353_1069 Depth=1
	v_and_b32_e32 v26, 7, v22
	v_lshrrev_b32_e32 v8, 3, v18
	v_cmp_gt_u32_e64 s0, 8, v18
	s_delay_alu instid0(VALU_DEP_3)
	v_mov_b64_e32 v[18:19], v[26:27]
	s_and_saveexec_b32 s17, s0
; %bb.1856:                             ;   in Loop: Header=BB353_1069 Depth=1
	v_clz_i32_u32_e32 v8, v26
	s_delay_alu instid0(VALU_DEP_1) | instskip(NEXT) | instid1(VALU_DEP_1)
	v_min_u32_e32 v8, 32, v8
	v_subrev_nc_u32_e32 v18, 28, v8
	s_delay_alu instid0(VALU_DEP_1) | instskip(NEXT) | instid1(VALU_DEP_1)
	v_lshlrev_b64_e32 v[18:19], v18, v[26:27]
	v_dual_sub_nc_u32 v8, 29, v8 :: v_dual_bitop2_b32 v18, 7, v18 bitop3:0x40
; %bb.1857:                             ;   in Loop: Header=BB353_1069 Depth=1
	s_or_b32 exec_lo, exec_lo, s17
	v_lshlrev_b32_e32 v19, 24, v22
	s_delay_alu instid0(VALU_DEP_2) | instskip(NEXT) | instid1(VALU_DEP_3)
	v_lshlrev_b32_e32 v18, 20, v18
	v_lshl_add_u32 v8, v8, 23, 0x3c000000
	s_delay_alu instid0(VALU_DEP_3) | instskip(NEXT) | instid1(VALU_DEP_1)
	v_and_b32_e32 v19, 0x80000000, v19
	v_or3_b32 v8, v18, v19, v8
.LBB353_1858:                           ;   in Loop: Header=BB353_1069 Depth=1
	s_or_b32 exec_lo, exec_lo, s16
.LBB353_1859:                           ;   in Loop: Header=BB353_1069 Depth=1
	s_delay_alu instid0(SALU_CYCLE_1)
	s_or_b32 exec_lo, exec_lo, s15
.LBB353_1860:                           ;   in Loop: Header=BB353_1069 Depth=1
	s_delay_alu instid0(SALU_CYCLE_1)
	s_or_b32 exec_lo, exec_lo, s14
	v_fma_mixlo_bf16 v71, v86, v7, 0
	v_fma_mixlo_bf16 v81, v86, v6, 0
	v_fma_mixlo_bf16 v82, v86, v5, 0
	v_fma_mixlo_bf16 v83, v86, v4, 0
	v_fma_mixlo_bf16 v84, v86, v3, 0
	v_fma_mixlo_bf16 v85, v86, v2, 0
	v_fma_mixlo_bf16 v70, v86, v9, 0
	v_fma_mixlo_bf16 v80, v86, v8, 0
	s_and_saveexec_b32 s14, vcc_lo
	s_cbranch_execz .LBB353_1862
; %bb.1861:                             ;   in Loop: Header=BB353_1069 Depth=1
	scratch_load_b32 v2, off, s32 offset:192 ; 4-byte Folded Reload
	s_wait_loadcnt 0x0
	v_cmp_lt_i32_e64 s0, v115, v2
	s_delay_alu instid0(VALU_DEP_1) | instskip(SKIP_1) | instid1(VALU_DEP_1)
	v_cndmask_b32_e64 v85, 0, v85, s0
	v_cmp_lt_i32_e64 s0, v119, v2
	v_cndmask_b32_e64 v84, 0, v84, s0
	v_cmp_lt_i32_e64 s0, v118, v2
	s_delay_alu instid0(VALU_DEP_1) | instskip(SKIP_1) | instid1(VALU_DEP_1)
	v_cndmask_b32_e64 v83, 0, v83, s0
	v_cmp_lt_i32_e64 s0, v117, v2
	v_cndmask_b32_e64 v82, 0, v82, s0
	v_cmp_lt_i32_e64 s0, v116, v2
	s_delay_alu instid0(VALU_DEP_1) | instskip(SKIP_1) | instid1(VALU_DEP_1)
	v_cndmask_b32_e64 v81, 0, v81, s0
	v_cmp_lt_i32_e64 s0, v114, v2
	v_cndmask_b32_e64 v71, 0, v71, s0
	v_cmp_lt_i32_e64 s0, v113, v2
	s_delay_alu instid0(VALU_DEP_1) | instskip(SKIP_1) | instid1(VALU_DEP_1)
	v_cndmask_b32_e64 v70, 0, v70, s0
	v_cmp_lt_i32_e64 s0, v112, v2
	v_cndmask_b32_e64 v80, 0, v80, s0
.LBB353_1862:                           ;   in Loop: Header=BB353_1069 Depth=1
	s_wait_xcnt 0x0
	s_or_b32 exec_lo, exec_lo, s14
	flat_load_b64 v[18:19], v[0:1] offset:3072
	v_dual_mov_b32 v5, 0 :: v_dual_mov_b32 v4, 0
	s_mov_b32 s14, exec_lo
	s_wait_loadcnt_dscnt 0x0
	v_and_b32_e32 v2, 0xff, v18
	s_wait_xcnt 0x0
	s_delay_alu instid0(VALU_DEP_1)
	v_cmpx_ne_u16_e32 0, v2
	s_cbranch_execz .LBB353_1870
; %bb.1863:                             ;   in Loop: Header=BB353_1069 Depth=1
	v_bfrev_b32_e32 v4, 1
	s_mov_b32 s15, exec_lo
	v_cmpx_ne_u16_e32 0x80, v2
	s_cbranch_execz .LBB353_1869
; %bb.1864:                             ;   in Loop: Header=BB353_1069 Depth=1
	v_and_b32_e32 v3, 0x7f, v18
	v_mov_b32_e32 v4, 0x7f800001
	s_mov_b32 s16, exec_lo
	s_delay_alu instid0(VALU_DEP_2)
	v_cmpx_ne_u32_e32 0x7f, v3
	s_cbranch_execz .LBB353_1868
; %bb.1865:                             ;   in Loop: Header=BB353_1069 Depth=1
	v_mov_b64_e32 v[22:23], v[18:19]
	v_lshrrev_b32_e32 v2, 3, v3
	s_mov_b32 s17, exec_lo
	v_cmpx_gt_u32_e32 8, v3
; %bb.1866:                             ;   in Loop: Header=BB353_1069 Depth=1
	v_and_b32_e32 v2, 7, v18
	s_delay_alu instid0(VALU_DEP_1) | instskip(NEXT) | instid1(VALU_DEP_1)
	v_clz_i32_u32_e32 v2, v2
	v_min_u32_e32 v2, 32, v2
	s_delay_alu instid0(VALU_DEP_1) | instskip(SKIP_1) | instid1(VALU_DEP_2)
	v_subrev_nc_u32_e32 v3, 28, v2
	v_sub_nc_u32_e32 v2, 29, v2
	v_lshlrev_b64_e32 v[22:23], v3, v[18:19]
; %bb.1867:                             ;   in Loop: Header=BB353_1069 Depth=1
	s_or_b32 exec_lo, exec_lo, s17
	s_delay_alu instid0(VALU_DEP_1) | instskip(SKIP_2) | instid1(VALU_DEP_3)
	v_lshlrev_b32_e32 v3, 20, v22
	v_lshlrev_b32_e32 v4, 24, v18
	v_lshl_add_u32 v2, v2, 23, 0x3c000000
	v_and_b32_e32 v3, 0x700000, v3
	s_delay_alu instid0(VALU_DEP_3) | instskip(NEXT) | instid1(VALU_DEP_1)
	v_and_b32_e32 v4, 0x80000000, v4
	v_or3_b32 v4, v3, v4, v2
.LBB353_1868:                           ;   in Loop: Header=BB353_1069 Depth=1
	s_or_b32 exec_lo, exec_lo, s16
.LBB353_1869:                           ;   in Loop: Header=BB353_1069 Depth=1
	s_delay_alu instid0(SALU_CYCLE_1)
	s_or_b32 exec_lo, exec_lo, s15
.LBB353_1870:                           ;   in Loop: Header=BB353_1069 Depth=1
	s_delay_alu instid0(SALU_CYCLE_1) | instskip(SKIP_2) | instid1(VALU_DEP_1)
	s_or_b32 exec_lo, exec_lo, s14
	v_lshrrev_b16 v2, 8, v18
	s_mov_b32 s14, exec_lo
	v_cmpx_ne_u16_e32 0, v2
	s_cbranch_execz .LBB353_1878
; %bb.1871:                             ;   in Loop: Header=BB353_1069 Depth=1
	v_bfrev_b32_e32 v5, 1
	s_mov_b32 s15, exec_lo
	v_cmpx_ne_u16_e32 0x80, v2
	s_cbranch_execz .LBB353_1877
; %bb.1872:                             ;   in Loop: Header=BB353_1069 Depth=1
	v_and_b32_e32 v2, 0xffff, v2
	v_mov_b32_e32 v5, 0x7f800001
	s_mov_b32 s16, exec_lo
	s_delay_alu instid0(VALU_DEP_2) | instskip(NEXT) | instid1(VALU_DEP_1)
	v_and_b32_e32 v3, 0x7f, v2
	v_cmpx_ne_u32_e32 0x7f, v3
	s_cbranch_execz .LBB353_1876
; %bb.1873:                             ;   in Loop: Header=BB353_1069 Depth=1
	v_dual_lshrrev_b32 v2, 3, v3 :: v_dual_bitop2_b32 v26, 7, v2 bitop3:0x40
	s_mov_b32 s17, exec_lo
	s_delay_alu instid0(VALU_DEP_1)
	v_mov_b64_e32 v[22:23], v[26:27]
	v_cmpx_gt_u32_e32 8, v3
; %bb.1874:                             ;   in Loop: Header=BB353_1069 Depth=1
	v_clz_i32_u32_e32 v2, v26
	s_delay_alu instid0(VALU_DEP_1) | instskip(NEXT) | instid1(VALU_DEP_1)
	v_min_u32_e32 v2, 32, v2
	v_subrev_nc_u32_e32 v3, 28, v2
	v_sub_nc_u32_e32 v2, 29, v2
	s_delay_alu instid0(VALU_DEP_2) | instskip(NEXT) | instid1(VALU_DEP_1)
	v_lshlrev_b64_e32 v[6:7], v3, v[26:27]
	v_and_b32_e32 v22, 7, v6
; %bb.1875:                             ;   in Loop: Header=BB353_1069 Depth=1
	s_or_b32 exec_lo, exec_lo, s17
	v_lshlrev_b32_e32 v3, 16, v18
	s_delay_alu instid0(VALU_DEP_2) | instskip(SKIP_1) | instid1(VALU_DEP_3)
	v_lshlrev_b32_e32 v5, 20, v22
	v_lshl_add_u32 v2, v2, 23, 0x3c000000
	v_and_b32_e32 v3, 0x80000000, v3
	s_delay_alu instid0(VALU_DEP_1)
	v_or3_b32 v5, v5, v3, v2
.LBB353_1876:                           ;   in Loop: Header=BB353_1069 Depth=1
	s_or_b32 exec_lo, exec_lo, s16
.LBB353_1877:                           ;   in Loop: Header=BB353_1069 Depth=1
	s_delay_alu instid0(SALU_CYCLE_1)
	s_or_b32 exec_lo, exec_lo, s15
.LBB353_1878:                           ;   in Loop: Header=BB353_1069 Depth=1
	s_delay_alu instid0(SALU_CYCLE_1) | instskip(SKIP_3) | instid1(VALU_DEP_2)
	s_or_b32 exec_lo, exec_lo, s14
	v_dual_lshrrev_b32 v2, 16, v18 :: v_dual_mov_b32 v6, 0
	v_mov_b32_e32 v7, 0
	s_mov_b32 s14, exec_lo
	v_and_b32_e32 v3, 0xff, v2
	s_delay_alu instid0(VALU_DEP_1)
	v_cmpx_ne_u16_e32 0, v3
	s_cbranch_execz .LBB353_1886
; %bb.1879:                             ;   in Loop: Header=BB353_1069 Depth=1
	v_bfrev_b32_e32 v7, 1
	s_mov_b32 s15, exec_lo
	v_cmpx_ne_u16_e32 0x80, v3
	s_cbranch_execz .LBB353_1885
; %bb.1880:                             ;   in Loop: Header=BB353_1069 Depth=1
	v_bfe_u32 v8, v18, 16, 7
	v_mov_b32_e32 v7, 0x7f800001
	s_mov_b32 s16, exec_lo
	s_delay_alu instid0(VALU_DEP_2)
	v_cmpx_ne_u32_e32 0x7f, v8
	s_cbranch_execz .LBB353_1884
; %bb.1881:                             ;   in Loop: Header=BB353_1069 Depth=1
	v_dual_lshrrev_b32 v3, 3, v8 :: v_dual_bitop2_b32 v26, 7, v2 bitop3:0x40
	s_mov_b32 s17, exec_lo
	s_delay_alu instid0(VALU_DEP_1)
	v_mov_b64_e32 v[22:23], v[26:27]
	v_cmpx_gt_u32_e32 8, v8
; %bb.1882:                             ;   in Loop: Header=BB353_1069 Depth=1
	v_clz_i32_u32_e32 v3, v26
	s_delay_alu instid0(VALU_DEP_1) | instskip(NEXT) | instid1(VALU_DEP_1)
	v_min_u32_e32 v3, 32, v3
	v_subrev_nc_u32_e32 v7, 28, v3
	s_delay_alu instid0(VALU_DEP_1) | instskip(NEXT) | instid1(VALU_DEP_1)
	v_lshlrev_b64_e32 v[8:9], v7, v[26:27]
	v_dual_sub_nc_u32 v3, 29, v3 :: v_dual_bitop2_b32 v22, 7, v8 bitop3:0x40
; %bb.1883:                             ;   in Loop: Header=BB353_1069 Depth=1
	s_or_b32 exec_lo, exec_lo, s17
	v_lshlrev_b32_e32 v2, 24, v2
	s_delay_alu instid0(VALU_DEP_2) | instskip(NEXT) | instid1(VALU_DEP_3)
	v_lshlrev_b32_e32 v7, 20, v22
	v_lshl_add_u32 v3, v3, 23, 0x3c000000
	s_delay_alu instid0(VALU_DEP_3) | instskip(NEXT) | instid1(VALU_DEP_1)
	v_and_b32_e32 v2, 0x80000000, v2
	v_or3_b32 v7, v7, v2, v3
.LBB353_1884:                           ;   in Loop: Header=BB353_1069 Depth=1
	s_or_b32 exec_lo, exec_lo, s16
.LBB353_1885:                           ;   in Loop: Header=BB353_1069 Depth=1
	s_delay_alu instid0(SALU_CYCLE_1)
	s_or_b32 exec_lo, exec_lo, s15
.LBB353_1886:                           ;   in Loop: Header=BB353_1069 Depth=1
	s_delay_alu instid0(SALU_CYCLE_1) | instskip(NEXT) | instid1(SALU_CYCLE_1)
	s_or_b32 exec_lo, exec_lo, s14
	s_mov_b32 s14, exec_lo
	v_cmpx_lt_u32_e32 0xffffff, v18
	s_cbranch_execz .LBB353_1894
; %bb.1887:                             ;   in Loop: Header=BB353_1069 Depth=1
	v_lshrrev_b32_e32 v2, 24, v18
	v_bfrev_b32_e32 v6, 1
	s_mov_b32 s15, exec_lo
	s_delay_alu instid0(VALU_DEP_2)
	v_cmpx_ne_u32_e32 0x80, v2
	s_cbranch_execz .LBB353_1893
; %bb.1888:                             ;   in Loop: Header=BB353_1069 Depth=1
	v_bfe_u32 v8, v18, 24, 7
	v_mov_b32_e32 v6, 0x7f800001
	s_mov_b32 s16, exec_lo
	s_delay_alu instid0(VALU_DEP_2)
	v_cmpx_ne_u32_e32 0x7f, v8
	s_cbranch_execz .LBB353_1892
; %bb.1889:                             ;   in Loop: Header=BB353_1069 Depth=1
	v_dual_lshrrev_b32 v3, 3, v8 :: v_dual_bitop2_b32 v26, 7, v2 bitop3:0x40
	s_mov_b32 s17, exec_lo
	s_delay_alu instid0(VALU_DEP_1)
	v_mov_b64_e32 v[22:23], v[26:27]
	v_cmpx_gt_u32_e32 8, v8
; %bb.1890:                             ;   in Loop: Header=BB353_1069 Depth=1
	v_clz_i32_u32_e32 v3, v26
	s_delay_alu instid0(VALU_DEP_1) | instskip(NEXT) | instid1(VALU_DEP_1)
	v_min_u32_e32 v3, 32, v3
	v_subrev_nc_u32_e32 v6, 28, v3
	s_delay_alu instid0(VALU_DEP_1) | instskip(NEXT) | instid1(VALU_DEP_1)
	v_lshlrev_b64_e32 v[8:9], v6, v[26:27]
	v_dual_sub_nc_u32 v3, 29, v3 :: v_dual_bitop2_b32 v22, 7, v8 bitop3:0x40
; %bb.1891:                             ;   in Loop: Header=BB353_1069 Depth=1
	s_or_b32 exec_lo, exec_lo, s17
	v_lshlrev_b32_e32 v2, 24, v2
	s_delay_alu instid0(VALU_DEP_2) | instskip(NEXT) | instid1(VALU_DEP_3)
	v_lshlrev_b32_e32 v6, 20, v22
	v_lshl_add_u32 v3, v3, 23, 0x3c000000
	s_delay_alu instid0(VALU_DEP_3) | instskip(NEXT) | instid1(VALU_DEP_1)
	v_and_b32_e32 v2, 0x80000000, v2
	v_or3_b32 v6, v6, v2, v3
.LBB353_1892:                           ;   in Loop: Header=BB353_1069 Depth=1
	s_or_b32 exec_lo, exec_lo, s16
.LBB353_1893:                           ;   in Loop: Header=BB353_1069 Depth=1
	s_delay_alu instid0(SALU_CYCLE_1)
	s_or_b32 exec_lo, exec_lo, s15
.LBB353_1894:                           ;   in Loop: Header=BB353_1069 Depth=1
	s_delay_alu instid0(SALU_CYCLE_1) | instskip(SKIP_4) | instid1(VALU_DEP_3)
	s_or_b32 exec_lo, exec_lo, s14
	v_and_b32_e32 v8, 0xff, v19
	v_dual_mov_b32 v26, v19 :: v_dual_mov_b32 v2, 0
	v_mov_b32_e32 v3, 0
	s_mov_b32 s14, exec_lo
	v_cmpx_ne_u16_e32 0, v8
	s_cbranch_execz .LBB353_1902
; %bb.1895:                             ;   in Loop: Header=BB353_1069 Depth=1
	v_bfrev_b32_e32 v3, 1
	s_mov_b32 s15, exec_lo
	v_cmpx_ne_u16_e32 0x80, v8
	s_cbranch_execz .LBB353_1901
; %bb.1896:                             ;   in Loop: Header=BB353_1069 Depth=1
	v_and_b32_e32 v8, 0x7f, v19
	v_mov_b32_e32 v3, 0x7f800001
	s_mov_b32 s16, exec_lo
	s_delay_alu instid0(VALU_DEP_2)
	v_cmpx_ne_u32_e32 0x7f, v8
	s_cbranch_execz .LBB353_1900
; %bb.1897:                             ;   in Loop: Header=BB353_1069 Depth=1
	v_mov_b64_e32 v[22:23], v[26:27]
	v_lshrrev_b32_e32 v3, 3, v8
	s_mov_b32 s17, exec_lo
	v_cmpx_gt_u32_e32 8, v8
; %bb.1898:                             ;   in Loop: Header=BB353_1069 Depth=1
	v_and_b32_e32 v3, 7, v19
	s_delay_alu instid0(VALU_DEP_1) | instskip(NEXT) | instid1(VALU_DEP_1)
	v_clz_i32_u32_e32 v3, v3
	v_min_u32_e32 v3, 32, v3
	s_delay_alu instid0(VALU_DEP_1) | instskip(SKIP_1) | instid1(VALU_DEP_2)
	v_subrev_nc_u32_e32 v8, 28, v3
	v_sub_nc_u32_e32 v3, 29, v3
	v_lshlrev_b64_e32 v[22:23], v8, v[26:27]
; %bb.1899:                             ;   in Loop: Header=BB353_1069 Depth=1
	s_or_b32 exec_lo, exec_lo, s17
	s_delay_alu instid0(VALU_DEP_1) | instskip(SKIP_2) | instid1(VALU_DEP_3)
	v_lshlrev_b32_e32 v8, 20, v22
	v_lshlrev_b32_e32 v9, 24, v26
	v_lshl_add_u32 v3, v3, 23, 0x3c000000
	v_and_b32_e32 v8, 0x700000, v8
	s_delay_alu instid0(VALU_DEP_3) | instskip(NEXT) | instid1(VALU_DEP_1)
	v_and_b32_e32 v9, 0x80000000, v9
	v_or3_b32 v3, v8, v9, v3
.LBB353_1900:                           ;   in Loop: Header=BB353_1069 Depth=1
	s_or_b32 exec_lo, exec_lo, s16
.LBB353_1901:                           ;   in Loop: Header=BB353_1069 Depth=1
	s_delay_alu instid0(SALU_CYCLE_1)
	s_or_b32 exec_lo, exec_lo, s15
.LBB353_1902:                           ;   in Loop: Header=BB353_1069 Depth=1
	s_delay_alu instid0(SALU_CYCLE_1) | instskip(SKIP_2) | instid1(VALU_DEP_1)
	s_or_b32 exec_lo, exec_lo, s14
	v_lshrrev_b16 v8, 8, v26
	s_mov_b32 s14, exec_lo
	v_cmpx_ne_u16_e32 0, v8
	s_cbranch_execz .LBB353_1910
; %bb.1903:                             ;   in Loop: Header=BB353_1069 Depth=1
	v_bfrev_b32_e32 v2, 1
	s_mov_b32 s15, exec_lo
	v_cmpx_ne_u16_e32 0x80, v8
	s_cbranch_execz .LBB353_1909
; %bb.1904:                             ;   in Loop: Header=BB353_1069 Depth=1
	v_and_b32_e32 v9, 0xffff, v8
	v_mov_b32_e32 v2, 0x7f800001
	s_mov_b32 s16, exec_lo
	s_delay_alu instid0(VALU_DEP_2) | instskip(NEXT) | instid1(VALU_DEP_1)
	v_and_b32_e32 v8, 0x7f, v9
	v_cmpx_ne_u32_e32 0x7f, v8
	s_cbranch_execz .LBB353_1908
; %bb.1905:                             ;   in Loop: Header=BB353_1069 Depth=1
	v_dual_mov_b32 v23, v27 :: v_dual_bitop2_b32 v22, 7, v9 bitop3:0x40
	v_lshrrev_b32_e32 v2, 3, v8
	s_mov_b32 s17, exec_lo
	v_cmpx_gt_u32_e32 8, v8
; %bb.1906:                             ;   in Loop: Header=BB353_1069 Depth=1
	s_delay_alu instid0(VALU_DEP_3) | instskip(NEXT) | instid1(VALU_DEP_1)
	v_clz_i32_u32_e32 v2, v22
	v_min_u32_e32 v2, 32, v2
	s_delay_alu instid0(VALU_DEP_1) | instskip(NEXT) | instid1(VALU_DEP_1)
	v_subrev_nc_u32_e32 v8, 28, v2
	v_lshlrev_b64_e32 v[8:9], v8, v[22:23]
	s_delay_alu instid0(VALU_DEP_1)
	v_dual_sub_nc_u32 v2, 29, v2 :: v_dual_bitop2_b32 v22, 7, v8 bitop3:0x40
; %bb.1907:                             ;   in Loop: Header=BB353_1069 Depth=1
	s_or_b32 exec_lo, exec_lo, s17
	v_lshlrev_b32_e32 v8, 16, v26
	s_delay_alu instid0(VALU_DEP_2) | instskip(NEXT) | instid1(VALU_DEP_3)
	v_lshlrev_b32_e32 v9, 20, v22
	v_lshl_add_u32 v2, v2, 23, 0x3c000000
	s_delay_alu instid0(VALU_DEP_3) | instskip(NEXT) | instid1(VALU_DEP_1)
	v_and_b32_e32 v8, 0x80000000, v8
	v_or3_b32 v2, v9, v8, v2
.LBB353_1908:                           ;   in Loop: Header=BB353_1069 Depth=1
	s_or_b32 exec_lo, exec_lo, s16
.LBB353_1909:                           ;   in Loop: Header=BB353_1069 Depth=1
	s_delay_alu instid0(SALU_CYCLE_1)
	s_or_b32 exec_lo, exec_lo, s15
.LBB353_1910:                           ;   in Loop: Header=BB353_1069 Depth=1
	s_delay_alu instid0(SALU_CYCLE_1) | instskip(SKIP_3) | instid1(VALU_DEP_2)
	s_or_b32 exec_lo, exec_lo, s14
	v_dual_lshrrev_b32 v8, 16, v19 :: v_dual_mov_b32 v24, 0
	v_mov_b32_e32 v22, 0
	s_mov_b32 s14, exec_lo
	v_and_b32_e32 v9, 0xff, v8
	s_delay_alu instid0(VALU_DEP_1)
	v_cmpx_ne_u16_e32 0, v9
	s_cbranch_execz .LBB353_1918
; %bb.1911:                             ;   in Loop: Header=BB353_1069 Depth=1
	v_bfrev_b32_e32 v22, 1
	s_mov_b32 s15, exec_lo
	v_cmpx_ne_u16_e32 0x80, v9
	s_cbranch_execz .LBB353_1917
; %bb.1912:                             ;   in Loop: Header=BB353_1069 Depth=1
	v_bfe_u32 v23, v19, 16, 7
	v_mov_b32_e32 v22, 0x7f800001
	s_mov_b32 s16, exec_lo
	s_delay_alu instid0(VALU_DEP_2)
	v_cmpx_ne_u32_e32 0x7f, v23
	s_cbranch_execz .LBB353_1916
; %bb.1913:                             ;   in Loop: Header=BB353_1069 Depth=1
	v_dual_lshrrev_b32 v9, 3, v23 :: v_dual_bitop2_b32 v26, 7, v8 bitop3:0x40
	v_cmp_gt_u32_e64 s0, 8, v23
	s_delay_alu instid0(VALU_DEP_2)
	v_mov_b64_e32 v[22:23], v[26:27]
	s_and_saveexec_b32 s17, s0
; %bb.1914:                             ;   in Loop: Header=BB353_1069 Depth=1
	v_clz_i32_u32_e32 v9, v26
	s_delay_alu instid0(VALU_DEP_1) | instskip(NEXT) | instid1(VALU_DEP_1)
	v_min_u32_e32 v9, 32, v9
	v_subrev_nc_u32_e32 v22, 28, v9
	s_delay_alu instid0(VALU_DEP_1) | instskip(NEXT) | instid1(VALU_DEP_1)
	v_lshlrev_b64_e32 v[22:23], v22, v[26:27]
	v_dual_sub_nc_u32 v9, 29, v9 :: v_dual_bitop2_b32 v22, 7, v22 bitop3:0x40
; %bb.1915:                             ;   in Loop: Header=BB353_1069 Depth=1
	s_or_b32 exec_lo, exec_lo, s17
	s_delay_alu instid0(VALU_DEP_1) | instskip(NEXT) | instid1(VALU_DEP_2)
	v_dual_lshlrev_b32 v8, 24, v8 :: v_dual_lshlrev_b32 v22, 20, v22
	v_lshl_add_u32 v9, v9, 23, 0x3c000000
	s_delay_alu instid0(VALU_DEP_2) | instskip(NEXT) | instid1(VALU_DEP_1)
	v_and_b32_e32 v8, 0x80000000, v8
	v_or3_b32 v22, v22, v8, v9
.LBB353_1916:                           ;   in Loop: Header=BB353_1069 Depth=1
	s_or_b32 exec_lo, exec_lo, s16
.LBB353_1917:                           ;   in Loop: Header=BB353_1069 Depth=1
	s_delay_alu instid0(SALU_CYCLE_1)
	s_or_b32 exec_lo, exec_lo, s15
.LBB353_1918:                           ;   in Loop: Header=BB353_1069 Depth=1
	s_delay_alu instid0(SALU_CYCLE_1) | instskip(NEXT) | instid1(SALU_CYCLE_1)
	s_or_b32 exec_lo, exec_lo, s14
	s_mov_b32 s14, exec_lo
	v_cmpx_lt_u64_e64 s[2:3], v[18:19]
	s_cbranch_execz .LBB353_1926
; %bb.1919:                             ;   in Loop: Header=BB353_1069 Depth=1
	v_lshrrev_b32_e32 v8, 24, v19
	v_bfrev_b32_e32 v24, 1
	s_mov_b32 s15, exec_lo
	s_delay_alu instid0(VALU_DEP_2)
	v_cmpx_ne_u32_e32 0x80, v8
	s_cbranch_execz .LBB353_1925
; %bb.1920:                             ;   in Loop: Header=BB353_1069 Depth=1
	v_bfe_u32 v18, v19, 24, 7
	v_mov_b32_e32 v24, 0x7f800001
	s_mov_b32 s16, exec_lo
	s_delay_alu instid0(VALU_DEP_2)
	v_cmpx_ne_u32_e32 0x7f, v18
	s_cbranch_execz .LBB353_1924
; %bb.1921:                             ;   in Loop: Header=BB353_1069 Depth=1
	v_dual_lshrrev_b32 v9, 3, v18 :: v_dual_bitop2_b32 v26, 7, v8 bitop3:0x40
	v_cmp_gt_u32_e64 s0, 8, v18
	s_delay_alu instid0(VALU_DEP_2)
	v_mov_b64_e32 v[18:19], v[26:27]
	s_and_saveexec_b32 s17, s0
; %bb.1922:                             ;   in Loop: Header=BB353_1069 Depth=1
	v_clz_i32_u32_e32 v9, v26
	s_delay_alu instid0(VALU_DEP_1) | instskip(NEXT) | instid1(VALU_DEP_1)
	v_min_u32_e32 v9, 32, v9
	v_subrev_nc_u32_e32 v18, 28, v9
	s_delay_alu instid0(VALU_DEP_1) | instskip(NEXT) | instid1(VALU_DEP_1)
	v_lshlrev_b64_e32 v[18:19], v18, v[26:27]
	v_dual_sub_nc_u32 v9, 29, v9 :: v_dual_bitop2_b32 v18, 7, v18 bitop3:0x40
; %bb.1923:                             ;   in Loop: Header=BB353_1069 Depth=1
	s_or_b32 exec_lo, exec_lo, s17
	s_delay_alu instid0(VALU_DEP_1) | instskip(NEXT) | instid1(VALU_DEP_2)
	v_dual_lshlrev_b32 v8, 24, v8 :: v_dual_lshlrev_b32 v18, 20, v18
	v_lshl_add_u32 v9, v9, 23, 0x3c000000
	s_delay_alu instid0(VALU_DEP_2) | instskip(NEXT) | instid1(VALU_DEP_1)
	v_and_b32_e32 v8, 0x80000000, v8
	v_or3_b32 v24, v18, v8, v9
.LBB353_1924:                           ;   in Loop: Header=BB353_1069 Depth=1
	s_or_b32 exec_lo, exec_lo, s16
.LBB353_1925:                           ;   in Loop: Header=BB353_1069 Depth=1
	s_delay_alu instid0(SALU_CYCLE_1)
	s_or_b32 exec_lo, exec_lo, s15
.LBB353_1926:                           ;   in Loop: Header=BB353_1069 Depth=1
	s_delay_alu instid0(SALU_CYCLE_1)
	s_or_b32 exec_lo, exec_lo, s14
	v_fma_mixlo_bf16 v2, v86, v2, 0
	v_fma_mixlo_bf16 v3, v86, v3, 0
	;; [unrolled: 1-line block ×8, first 2 shown]
	s_and_saveexec_b32 s14, vcc_lo
	s_cbranch_execz .LBB353_1928
; %bb.1927:                             ;   in Loop: Header=BB353_1069 Depth=1
	scratch_load_b32 v18, off, s32 offset:192 ; 4-byte Folded Reload
	s_wait_loadcnt 0x0
	v_cmp_lt_i32_e64 s0, v115, v18
	s_delay_alu instid0(VALU_DEP_1) | instskip(SKIP_1) | instid1(VALU_DEP_1)
	v_cndmask_b32_e64 v9, 0, v9, s0
	v_cmp_lt_i32_e64 s0, v119, v18
	v_cndmask_b32_e64 v8, 0, v8, s0
	v_cmp_lt_i32_e64 s0, v118, v18
	s_delay_alu instid0(VALU_DEP_1) | instskip(SKIP_1) | instid1(VALU_DEP_1)
	v_cndmask_b32_e64 v7, 0, v7, s0
	v_cmp_lt_i32_e64 s0, v117, v18
	v_cndmask_b32_e64 v6, 0, v6, s0
	;; [unrolled: 5-line block ×4, first 2 shown]
.LBB353_1928:                           ;   in Loop: Header=BB353_1069 Depth=1
	s_wait_xcnt 0x0
	s_or_b32 exec_lo, exec_lo, s14
	flat_load_b64 v[18:19], v[0:1] offset:3328
	v_dual_mov_b32 v98, 0 :: v_dual_mov_b32 v87, 0
	s_mov_b32 s14, exec_lo
	s_wait_loadcnt_dscnt 0x0
	v_and_b32_e32 v22, 0xff, v18
	s_wait_xcnt 0x0
	s_delay_alu instid0(VALU_DEP_1)
	v_cmpx_ne_u16_e32 0, v22
	s_cbranch_execz .LBB353_1936
; %bb.1929:                             ;   in Loop: Header=BB353_1069 Depth=1
	v_bfrev_b32_e32 v87, 1
	s_mov_b32 s15, exec_lo
	v_cmpx_ne_u16_e32 0x80, v22
	s_cbranch_execz .LBB353_1935
; %bb.1930:                             ;   in Loop: Header=BB353_1069 Depth=1
	v_and_b32_e32 v22, 0x7f, v18
	v_mov_b32_e32 v87, 0x7f800001
	s_mov_b32 s16, exec_lo
	s_delay_alu instid0(VALU_DEP_2)
	v_cmpx_ne_u32_e32 0x7f, v22
	s_cbranch_execz .LBB353_1934
; %bb.1931:                             ;   in Loop: Header=BB353_1069 Depth=1
	v_lshrrev_b32_e32 v24, 3, v22
	v_cmp_gt_u32_e64 s0, 8, v22
	v_mov_b64_e32 v[22:23], v[18:19]
	s_and_saveexec_b32 s17, s0
; %bb.1932:                             ;   in Loop: Header=BB353_1069 Depth=1
	v_and_b32_e32 v22, 7, v18
	s_delay_alu instid0(VALU_DEP_1) | instskip(NEXT) | instid1(VALU_DEP_1)
	v_clz_i32_u32_e32 v22, v22
	v_min_u32_e32 v24, 32, v22
	s_delay_alu instid0(VALU_DEP_1) | instskip(SKIP_1) | instid1(VALU_DEP_2)
	v_subrev_nc_u32_e32 v22, 28, v24
	v_sub_nc_u32_e32 v24, 29, v24
	v_lshlrev_b64_e32 v[22:23], v22, v[18:19]
; %bb.1933:                             ;   in Loop: Header=BB353_1069 Depth=1
	s_or_b32 exec_lo, exec_lo, s17
	s_delay_alu instid0(VALU_DEP_1) | instskip(SKIP_2) | instid1(VALU_DEP_3)
	v_lshlrev_b32_e32 v22, 20, v22
	v_lshlrev_b32_e32 v23, 24, v18
	v_lshl_add_u32 v24, v24, 23, 0x3c000000
	v_and_b32_e32 v22, 0x700000, v22
	s_delay_alu instid0(VALU_DEP_3) | instskip(NEXT) | instid1(VALU_DEP_1)
	v_and_b32_e32 v23, 0x80000000, v23
	v_or3_b32 v87, v22, v23, v24
.LBB353_1934:                           ;   in Loop: Header=BB353_1069 Depth=1
	s_or_b32 exec_lo, exec_lo, s16
.LBB353_1935:                           ;   in Loop: Header=BB353_1069 Depth=1
	s_delay_alu instid0(SALU_CYCLE_1)
	s_or_b32 exec_lo, exec_lo, s15
.LBB353_1936:                           ;   in Loop: Header=BB353_1069 Depth=1
	s_delay_alu instid0(SALU_CYCLE_1) | instskip(SKIP_2) | instid1(VALU_DEP_1)
	s_or_b32 exec_lo, exec_lo, s14
	v_lshrrev_b16 v22, 8, v18
	s_mov_b32 s14, exec_lo
	v_cmpx_ne_u16_e32 0, v22
	s_cbranch_execz .LBB353_1944
; %bb.1937:                             ;   in Loop: Header=BB353_1069 Depth=1
	v_bfrev_b32_e32 v98, 1
	s_mov_b32 s15, exec_lo
	v_cmpx_ne_u16_e32 0x80, v22
	s_cbranch_execz .LBB353_1943
; %bb.1938:                             ;   in Loop: Header=BB353_1069 Depth=1
	v_and_b32_e32 v23, 0xffff, v22
	v_mov_b32_e32 v98, 0x7f800001
	s_mov_b32 s16, exec_lo
	s_delay_alu instid0(VALU_DEP_2) | instskip(NEXT) | instid1(VALU_DEP_1)
	v_and_b32_e32 v22, 0x7f, v23
	v_cmpx_ne_u32_e32 0x7f, v22
	s_cbranch_execz .LBB353_1942
; %bb.1939:                             ;   in Loop: Header=BB353_1069 Depth=1
	v_dual_lshrrev_b32 v24, 3, v22 :: v_dual_bitop2_b32 v26, 7, v23 bitop3:0x40
	v_cmp_gt_u32_e64 s0, 8, v22
	s_delay_alu instid0(VALU_DEP_2)
	v_mov_b64_e32 v[22:23], v[26:27]
	s_and_saveexec_b32 s17, s0
; %bb.1940:                             ;   in Loop: Header=BB353_1069 Depth=1
	v_clz_i32_u32_e32 v22, v26
	s_delay_alu instid0(VALU_DEP_1) | instskip(NEXT) | instid1(VALU_DEP_1)
	v_min_u32_e32 v24, 32, v22
	v_subrev_nc_u32_e32 v22, 28, v24
	s_delay_alu instid0(VALU_DEP_1) | instskip(NEXT) | instid1(VALU_DEP_1)
	v_lshlrev_b64_e32 v[22:23], v22, v[26:27]
	v_dual_sub_nc_u32 v24, 29, v24 :: v_dual_bitop2_b32 v22, 7, v22 bitop3:0x40
; %bb.1941:                             ;   in Loop: Header=BB353_1069 Depth=1
	s_or_b32 exec_lo, exec_lo, s17
	v_lshlrev_b32_e32 v23, 16, v18
	s_delay_alu instid0(VALU_DEP_2) | instskip(NEXT) | instid1(VALU_DEP_3)
	v_lshlrev_b32_e32 v22, 20, v22
	v_lshl_add_u32 v24, v24, 23, 0x3c000000
	s_delay_alu instid0(VALU_DEP_3) | instskip(NEXT) | instid1(VALU_DEP_1)
	v_and_b32_e32 v23, 0x80000000, v23
	v_or3_b32 v98, v22, v23, v24
.LBB353_1942:                           ;   in Loop: Header=BB353_1069 Depth=1
	s_or_b32 exec_lo, exec_lo, s16
.LBB353_1943:                           ;   in Loop: Header=BB353_1069 Depth=1
	s_delay_alu instid0(SALU_CYCLE_1)
	s_or_b32 exec_lo, exec_lo, s15
.LBB353_1944:                           ;   in Loop: Header=BB353_1069 Depth=1
	s_delay_alu instid0(SALU_CYCLE_1) | instskip(SKIP_3) | instid1(VALU_DEP_2)
	s_or_b32 exec_lo, exec_lo, s14
	v_dual_mov_b32 v99, 0 :: v_dual_lshrrev_b32 v96, 16, v18
	v_mov_b32_e32 v24, 0
	s_mov_b32 s14, exec_lo
	v_and_b32_e32 v22, 0xff, v96
	s_delay_alu instid0(VALU_DEP_1)
	v_cmpx_ne_u16_e32 0, v22
	s_cbranch_execz .LBB353_1952
; %bb.1945:                             ;   in Loop: Header=BB353_1069 Depth=1
	v_bfrev_b32_e32 v24, 1
	s_mov_b32 s15, exec_lo
	v_cmpx_ne_u16_e32 0x80, v22
	s_cbranch_execz .LBB353_1951
; %bb.1946:                             ;   in Loop: Header=BB353_1069 Depth=1
	v_bfe_u32 v22, v18, 16, 7
	v_mov_b32_e32 v24, 0x7f800001
	s_mov_b32 s16, exec_lo
	s_delay_alu instid0(VALU_DEP_2)
	v_cmpx_ne_u32_e32 0x7f, v22
	s_cbranch_execz .LBB353_1950
; %bb.1947:                             ;   in Loop: Header=BB353_1069 Depth=1
	v_dual_lshrrev_b32 v24, 3, v22 :: v_dual_bitop2_b32 v26, 7, v96 bitop3:0x40
	v_cmp_gt_u32_e64 s0, 8, v22
	s_delay_alu instid0(VALU_DEP_2)
	v_mov_b64_e32 v[22:23], v[26:27]
	s_and_saveexec_b32 s17, s0
; %bb.1948:                             ;   in Loop: Header=BB353_1069 Depth=1
	v_clz_i32_u32_e32 v22, v26
	s_delay_alu instid0(VALU_DEP_1) | instskip(NEXT) | instid1(VALU_DEP_1)
	v_min_u32_e32 v24, 32, v22
	v_subrev_nc_u32_e32 v22, 28, v24
	s_delay_alu instid0(VALU_DEP_1) | instskip(NEXT) | instid1(VALU_DEP_1)
	v_lshlrev_b64_e32 v[22:23], v22, v[26:27]
	v_dual_sub_nc_u32 v24, 29, v24 :: v_dual_bitop2_b32 v22, 7, v22 bitop3:0x40
; %bb.1949:                             ;   in Loop: Header=BB353_1069 Depth=1
	s_or_b32 exec_lo, exec_lo, s17
	s_delay_alu instid0(VALU_DEP_1) | instskip(NEXT) | instid1(VALU_DEP_2)
	v_dual_lshlrev_b32 v23, 24, v96 :: v_dual_lshlrev_b32 v22, 20, v22
	v_lshl_add_u32 v24, v24, 23, 0x3c000000
	s_delay_alu instid0(VALU_DEP_2) | instskip(NEXT) | instid1(VALU_DEP_1)
	v_and_b32_e32 v23, 0x80000000, v23
	v_or3_b32 v24, v22, v23, v24
.LBB353_1950:                           ;   in Loop: Header=BB353_1069 Depth=1
	s_or_b32 exec_lo, exec_lo, s16
.LBB353_1951:                           ;   in Loop: Header=BB353_1069 Depth=1
	s_delay_alu instid0(SALU_CYCLE_1)
	s_or_b32 exec_lo, exec_lo, s15
.LBB353_1952:                           ;   in Loop: Header=BB353_1069 Depth=1
	s_delay_alu instid0(SALU_CYCLE_1) | instskip(NEXT) | instid1(SALU_CYCLE_1)
	s_or_b32 exec_lo, exec_lo, s14
	s_mov_b32 s14, exec_lo
	v_cmpx_lt_u32_e32 0xffffff, v18
	s_cbranch_execz .LBB353_1960
; %bb.1953:                             ;   in Loop: Header=BB353_1069 Depth=1
	v_lshrrev_b32_e32 v96, 24, v18
	v_bfrev_b32_e32 v99, 1
	s_mov_b32 s15, exec_lo
	s_delay_alu instid0(VALU_DEP_2)
	v_cmpx_ne_u32_e32 0x80, v96
	s_cbranch_execz .LBB353_1959
; %bb.1954:                             ;   in Loop: Header=BB353_1069 Depth=1
	v_bfe_u32 v22, v18, 24, 7
	v_mov_b32_e32 v99, 0x7f800001
	s_mov_b32 s16, exec_lo
	s_delay_alu instid0(VALU_DEP_2)
	v_cmpx_ne_u32_e32 0x7f, v22
	s_cbranch_execz .LBB353_1958
; %bb.1955:                             ;   in Loop: Header=BB353_1069 Depth=1
	v_dual_lshrrev_b32 v97, 3, v22 :: v_dual_bitop2_b32 v26, 7, v96 bitop3:0x40
	v_cmp_gt_u32_e64 s0, 8, v22
	s_delay_alu instid0(VALU_DEP_2)
	v_mov_b64_e32 v[22:23], v[26:27]
	s_and_saveexec_b32 s17, s0
; %bb.1956:                             ;   in Loop: Header=BB353_1069 Depth=1
	v_clz_i32_u32_e32 v22, v26
	s_delay_alu instid0(VALU_DEP_1) | instskip(NEXT) | instid1(VALU_DEP_1)
	v_min_u32_e32 v97, 32, v22
	v_subrev_nc_u32_e32 v22, 28, v97
	s_delay_alu instid0(VALU_DEP_1) | instskip(NEXT) | instid1(VALU_DEP_1)
	v_lshlrev_b64_e32 v[22:23], v22, v[26:27]
	v_dual_sub_nc_u32 v97, 29, v97 :: v_dual_bitop2_b32 v22, 7, v22 bitop3:0x40
; %bb.1957:                             ;   in Loop: Header=BB353_1069 Depth=1
	s_or_b32 exec_lo, exec_lo, s17
	s_delay_alu instid0(VALU_DEP_1) | instskip(NEXT) | instid1(VALU_DEP_2)
	v_dual_lshlrev_b32 v23, 24, v96 :: v_dual_lshlrev_b32 v22, 20, v22
	v_lshl_add_u32 v26, v97, 23, 0x3c000000
	s_delay_alu instid0(VALU_DEP_2) | instskip(NEXT) | instid1(VALU_DEP_1)
	v_and_b32_e32 v23, 0x80000000, v23
	v_or3_b32 v99, v22, v23, v26
.LBB353_1958:                           ;   in Loop: Header=BB353_1069 Depth=1
	s_or_b32 exec_lo, exec_lo, s16
.LBB353_1959:                           ;   in Loop: Header=BB353_1069 Depth=1
	s_delay_alu instid0(SALU_CYCLE_1)
	s_or_b32 exec_lo, exec_lo, s15
.LBB353_1960:                           ;   in Loop: Header=BB353_1069 Depth=1
	s_delay_alu instid0(SALU_CYCLE_1) | instskip(SKIP_4) | instid1(VALU_DEP_3)
	s_or_b32 exec_lo, exec_lo, s14
	v_and_b32_e32 v22, 0xff, v19
	v_dual_mov_b32 v26, v19 :: v_dual_mov_b32 v96, 0
	v_mov_b32_e32 v97, 0
	s_mov_b32 s14, exec_lo
	v_cmpx_ne_u16_e32 0, v22
	s_cbranch_execz .LBB353_1968
; %bb.1961:                             ;   in Loop: Header=BB353_1069 Depth=1
	v_bfrev_b32_e32 v97, 1
	s_mov_b32 s15, exec_lo
	v_cmpx_ne_u16_e32 0x80, v22
	s_cbranch_execz .LBB353_1967
; %bb.1962:                             ;   in Loop: Header=BB353_1069 Depth=1
	v_and_b32_e32 v22, 0x7f, v19
	v_mov_b32_e32 v97, 0x7f800001
	s_mov_b32 s16, exec_lo
	s_delay_alu instid0(VALU_DEP_2)
	v_cmpx_ne_u32_e32 0x7f, v22
	s_cbranch_execz .LBB353_1966
; %bb.1963:                             ;   in Loop: Header=BB353_1069 Depth=1
	v_lshrrev_b32_e32 v97, 3, v22
	v_cmp_gt_u32_e64 s0, 8, v22
	v_mov_b64_e32 v[22:23], v[26:27]
	s_and_saveexec_b32 s17, s0
; %bb.1964:                             ;   in Loop: Header=BB353_1069 Depth=1
	v_and_b32_e32 v22, 7, v19
	s_delay_alu instid0(VALU_DEP_1) | instskip(NEXT) | instid1(VALU_DEP_1)
	v_clz_i32_u32_e32 v22, v22
	v_min_u32_e32 v97, 32, v22
	s_delay_alu instid0(VALU_DEP_1) | instskip(SKIP_1) | instid1(VALU_DEP_2)
	v_subrev_nc_u32_e32 v22, 28, v97
	v_sub_nc_u32_e32 v97, 29, v97
	v_lshlrev_b64_e32 v[22:23], v22, v[26:27]
; %bb.1965:                             ;   in Loop: Header=BB353_1069 Depth=1
	s_or_b32 exec_lo, exec_lo, s17
	s_delay_alu instid0(VALU_DEP_1) | instskip(SKIP_2) | instid1(VALU_DEP_3)
	v_lshlrev_b32_e32 v22, 20, v22
	v_lshlrev_b32_e32 v23, 24, v26
	v_lshl_add_u32 v97, v97, 23, 0x3c000000
	v_and_b32_e32 v22, 0x700000, v22
	s_delay_alu instid0(VALU_DEP_3) | instskip(NEXT) | instid1(VALU_DEP_1)
	v_and_b32_e32 v23, 0x80000000, v23
	v_or3_b32 v97, v22, v23, v97
.LBB353_1966:                           ;   in Loop: Header=BB353_1069 Depth=1
	s_or_b32 exec_lo, exec_lo, s16
.LBB353_1967:                           ;   in Loop: Header=BB353_1069 Depth=1
	s_delay_alu instid0(SALU_CYCLE_1)
	s_or_b32 exec_lo, exec_lo, s15
.LBB353_1968:                           ;   in Loop: Header=BB353_1069 Depth=1
	s_delay_alu instid0(SALU_CYCLE_1) | instskip(SKIP_2) | instid1(VALU_DEP_1)
	s_or_b32 exec_lo, exec_lo, s14
	v_lshrrev_b16 v22, 8, v26
	s_mov_b32 s14, exec_lo
	v_cmpx_ne_u16_e32 0, v22
	s_cbranch_execz .LBB353_1976
; %bb.1969:                             ;   in Loop: Header=BB353_1069 Depth=1
	v_bfrev_b32_e32 v96, 1
	s_mov_b32 s15, exec_lo
	v_cmpx_ne_u16_e32 0x80, v22
	s_cbranch_execz .LBB353_1975
; %bb.1970:                             ;   in Loop: Header=BB353_1069 Depth=1
	v_and_b32_e32 v22, 0xffff, v22
	v_mov_b32_e32 v96, 0x7f800001
	s_mov_b32 s16, exec_lo
	s_delay_alu instid0(VALU_DEP_2) | instskip(NEXT) | instid1(VALU_DEP_1)
	v_and_b32_e32 v101, 0x7f, v22
	v_cmpx_ne_u32_e32 0x7f, v101
	s_cbranch_execz .LBB353_1974
; %bb.1971:                             ;   in Loop: Header=BB353_1069 Depth=1
	v_dual_mov_b32 v23, v27 :: v_dual_bitop2_b32 v22, 7, v22 bitop3:0x40
	v_lshrrev_b32_e32 v96, 3, v101
	s_mov_b32 s17, exec_lo
	v_cmpx_gt_u32_e32 8, v101
; %bb.1972:                             ;   in Loop: Header=BB353_1069 Depth=1
	s_delay_alu instid0(VALU_DEP_3) | instskip(NEXT) | instid1(VALU_DEP_1)
	v_clz_i32_u32_e32 v96, v22
	v_min_u32_e32 v96, 32, v96
	s_delay_alu instid0(VALU_DEP_1) | instskip(NEXT) | instid1(VALU_DEP_1)
	v_subrev_nc_u32_e32 v100, 28, v96
	v_lshlrev_b64_e32 v[22:23], v100, v[22:23]
	s_delay_alu instid0(VALU_DEP_1)
	v_dual_sub_nc_u32 v96, 29, v96 :: v_dual_bitop2_b32 v22, 7, v22 bitop3:0x40
; %bb.1973:                             ;   in Loop: Header=BB353_1069 Depth=1
	s_or_b32 exec_lo, exec_lo, s17
	v_lshlrev_b32_e32 v23, 16, v26
	s_delay_alu instid0(VALU_DEP_2) | instskip(NEXT) | instid1(VALU_DEP_3)
	v_lshlrev_b32_e32 v22, 20, v22
	v_lshl_add_u32 v26, v96, 23, 0x3c000000
	s_delay_alu instid0(VALU_DEP_3) | instskip(NEXT) | instid1(VALU_DEP_1)
	v_and_b32_e32 v23, 0x80000000, v23
	v_or3_b32 v96, v22, v23, v26
.LBB353_1974:                           ;   in Loop: Header=BB353_1069 Depth=1
	s_or_b32 exec_lo, exec_lo, s16
.LBB353_1975:                           ;   in Loop: Header=BB353_1069 Depth=1
	s_delay_alu instid0(SALU_CYCLE_1)
	s_or_b32 exec_lo, exec_lo, s15
.LBB353_1976:                           ;   in Loop: Header=BB353_1069 Depth=1
	s_delay_alu instid0(SALU_CYCLE_1) | instskip(SKIP_3) | instid1(VALU_DEP_2)
	s_or_b32 exec_lo, exec_lo, s14
	v_dual_lshrrev_b32 v101, 16, v19 :: v_dual_mov_b32 v41, 0
	v_mov_b32_e32 v22, 0
	s_mov_b32 s14, exec_lo
	v_and_b32_e32 v23, 0xff, v101
	s_delay_alu instid0(VALU_DEP_1)
	v_cmpx_ne_u16_e32 0, v23
	s_cbranch_execz .LBB353_1984
; %bb.1977:                             ;   in Loop: Header=BB353_1069 Depth=1
	v_bfrev_b32_e32 v22, 1
	s_mov_b32 s15, exec_lo
	v_cmpx_ne_u16_e32 0x80, v23
	s_cbranch_execz .LBB353_1983
; %bb.1978:                             ;   in Loop: Header=BB353_1069 Depth=1
	v_bfe_u32 v23, v19, 16, 7
	v_mov_b32_e32 v22, 0x7f800001
	s_mov_b32 s16, exec_lo
	s_delay_alu instid0(VALU_DEP_2)
	v_cmpx_ne_u32_e32 0x7f, v23
	s_cbranch_execz .LBB353_1982
; %bb.1979:                             ;   in Loop: Header=BB353_1069 Depth=1
	v_dual_lshrrev_b32 v102, 3, v23 :: v_dual_bitop2_b32 v26, 7, v101 bitop3:0x40
	v_cmp_gt_u32_e64 s0, 8, v23
	s_delay_alu instid0(VALU_DEP_2)
	v_mov_b64_e32 v[22:23], v[26:27]
	s_and_saveexec_b32 s17, s0
; %bb.1980:                             ;   in Loop: Header=BB353_1069 Depth=1
	v_clz_i32_u32_e32 v22, v26
	s_delay_alu instid0(VALU_DEP_1) | instskip(NEXT) | instid1(VALU_DEP_1)
	v_min_u32_e32 v100, 32, v22
	v_subrev_nc_u32_e32 v22, 28, v100
	s_delay_alu instid0(VALU_DEP_1) | instskip(NEXT) | instid1(VALU_DEP_1)
	v_lshlrev_b64_e32 v[22:23], v22, v[26:27]
	v_dual_sub_nc_u32 v102, 29, v100 :: v_dual_bitop2_b32 v22, 7, v22 bitop3:0x40
; %bb.1981:                             ;   in Loop: Header=BB353_1069 Depth=1
	s_or_b32 exec_lo, exec_lo, s17
	s_delay_alu instid0(VALU_DEP_1) | instskip(NEXT) | instid1(VALU_DEP_2)
	v_dual_lshlrev_b32 v23, 24, v101 :: v_dual_lshlrev_b32 v22, 20, v22
	v_lshl_add_u32 v26, v102, 23, 0x3c000000
	s_delay_alu instid0(VALU_DEP_2) | instskip(NEXT) | instid1(VALU_DEP_1)
	v_and_b32_e32 v23, 0x80000000, v23
	v_or3_b32 v22, v22, v23, v26
.LBB353_1982:                           ;   in Loop: Header=BB353_1069 Depth=1
	s_or_b32 exec_lo, exec_lo, s16
.LBB353_1983:                           ;   in Loop: Header=BB353_1069 Depth=1
	s_delay_alu instid0(SALU_CYCLE_1)
	s_or_b32 exec_lo, exec_lo, s15
.LBB353_1984:                           ;   in Loop: Header=BB353_1069 Depth=1
	s_delay_alu instid0(SALU_CYCLE_1) | instskip(NEXT) | instid1(SALU_CYCLE_1)
	s_or_b32 exec_lo, exec_lo, s14
	s_mov_b32 s14, exec_lo
	v_cmpx_lt_u64_e64 s[2:3], v[18:19]
	s_cbranch_execz .LBB353_1992
; %bb.1985:                             ;   in Loop: Header=BB353_1069 Depth=1
	v_lshrrev_b32_e32 v23, 24, v19
	v_bfrev_b32_e32 v41, 1
	s_mov_b32 s15, exec_lo
	s_delay_alu instid0(VALU_DEP_2)
	v_cmpx_ne_u32_e32 0x80, v23
	s_cbranch_execz .LBB353_1991
; %bb.1986:                             ;   in Loop: Header=BB353_1069 Depth=1
	v_bfe_u32 v18, v19, 24, 7
	v_mov_b32_e32 v41, 0x7f800001
	s_mov_b32 s16, exec_lo
	s_delay_alu instid0(VALU_DEP_2)
	v_cmpx_ne_u32_e32 0x7f, v18
	s_cbranch_execz .LBB353_1990
; %bb.1987:                             ;   in Loop: Header=BB353_1069 Depth=1
	v_dual_lshrrev_b32 v101, 3, v18 :: v_dual_bitop2_b32 v26, 7, v23 bitop3:0x40
	v_cmp_gt_u32_e64 s0, 8, v18
	s_delay_alu instid0(VALU_DEP_2)
	v_mov_b64_e32 v[18:19], v[26:27]
	s_and_saveexec_b32 s17, s0
; %bb.1988:                             ;   in Loop: Header=BB353_1069 Depth=1
	v_clz_i32_u32_e32 v18, v26
	s_delay_alu instid0(VALU_DEP_1) | instskip(NEXT) | instid1(VALU_DEP_1)
	v_min_u32_e32 v100, 32, v18
	v_subrev_nc_u32_e32 v18, 28, v100
	s_delay_alu instid0(VALU_DEP_1) | instskip(NEXT) | instid1(VALU_DEP_1)
	v_lshlrev_b64_e32 v[18:19], v18, v[26:27]
	v_dual_sub_nc_u32 v101, 29, v100 :: v_dual_bitop2_b32 v18, 7, v18 bitop3:0x40
; %bb.1989:                             ;   in Loop: Header=BB353_1069 Depth=1
	s_or_b32 exec_lo, exec_lo, s17
	s_delay_alu instid0(VALU_DEP_1) | instskip(NEXT) | instid1(VALU_DEP_2)
	v_dual_lshlrev_b32 v19, 24, v23 :: v_dual_lshlrev_b32 v18, 20, v18
	v_lshl_add_u32 v23, v101, 23, 0x3c000000
	s_delay_alu instid0(VALU_DEP_2) | instskip(NEXT) | instid1(VALU_DEP_1)
	v_and_b32_e32 v19, 0x80000000, v19
	v_or3_b32 v41, v18, v19, v23
.LBB353_1990:                           ;   in Loop: Header=BB353_1069 Depth=1
	s_or_b32 exec_lo, exec_lo, s16
.LBB353_1991:                           ;   in Loop: Header=BB353_1069 Depth=1
	s_delay_alu instid0(SALU_CYCLE_1)
	s_or_b32 exec_lo, exec_lo, s15
.LBB353_1992:                           ;   in Loop: Header=BB353_1069 Depth=1
	s_delay_alu instid0(SALU_CYCLE_1)
	s_or_b32 exec_lo, exec_lo, s14
	v_fma_mixlo_bf16 v96, v86, v96, 0
	v_fma_mixlo_bf16 v97, v86, v97, 0
	v_fma_mixlo_bf16 v101, v86, v99, 0
	v_fma_mixlo_bf16 v102, v86, v24, 0
	v_fma_mixlo_bf16 v103, v86, v98, 0
	v_fma_mixlo_bf16 v40, v86, v87, 0
	v_fma_mixlo_bf16 v98, v86, v22, 0
	v_fma_mixlo_bf16 v99, v86, v41, 0
	s_and_saveexec_b32 s14, vcc_lo
	s_cbranch_execz .LBB353_1994
; %bb.1993:                             ;   in Loop: Header=BB353_1069 Depth=1
	scratch_load_b32 v18, off, s32 offset:192 ; 4-byte Folded Reload
	s_wait_loadcnt 0x0
	v_cmp_lt_i32_e64 s0, v115, v18
	s_delay_alu instid0(VALU_DEP_1) | instskip(SKIP_1) | instid1(VALU_DEP_1)
	v_cndmask_b32_e64 v40, 0, v40, s0
	v_cmp_lt_i32_e64 s0, v119, v18
	v_cndmask_b32_e64 v103, 0, v103, s0
	v_cmp_lt_i32_e64 s0, v118, v18
	s_delay_alu instid0(VALU_DEP_1) | instskip(SKIP_1) | instid1(VALU_DEP_1)
	v_cndmask_b32_e64 v102, 0, v102, s0
	v_cmp_lt_i32_e64 s0, v117, v18
	v_cndmask_b32_e64 v101, 0, v101, s0
	;; [unrolled: 5-line block ×4, first 2 shown]
.LBB353_1994:                           ;   in Loop: Header=BB353_1069 Depth=1
	s_wait_xcnt 0x0
	s_or_b32 exec_lo, exec_lo, s14
	flat_load_b64 v[18:19], v[0:1] offset:3584
	v_dual_mov_b32 v43, 0 :: v_dual_mov_b32 v87, 0
	s_mov_b32 s14, exec_lo
	s_wait_loadcnt_dscnt 0x0
	v_and_b32_e32 v22, 0xff, v18
	s_wait_xcnt 0x0
	s_delay_alu instid0(VALU_DEP_1)
	v_cmpx_ne_u16_e32 0, v22
	s_cbranch_execz .LBB353_2002
; %bb.1995:                             ;   in Loop: Header=BB353_1069 Depth=1
	v_bfrev_b32_e32 v87, 1
	s_mov_b32 s15, exec_lo
	v_cmpx_ne_u16_e32 0x80, v22
	s_cbranch_execz .LBB353_2001
; %bb.1996:                             ;   in Loop: Header=BB353_1069 Depth=1
	v_and_b32_e32 v22, 0x7f, v18
	v_mov_b32_e32 v87, 0x7f800001
	s_mov_b32 s16, exec_lo
	s_delay_alu instid0(VALU_DEP_2)
	v_cmpx_ne_u32_e32 0x7f, v22
	s_cbranch_execz .LBB353_2000
; %bb.1997:                             ;   in Loop: Header=BB353_1069 Depth=1
	v_lshrrev_b32_e32 v24, 3, v22
	v_cmp_gt_u32_e64 s0, 8, v22
	v_mov_b64_e32 v[22:23], v[18:19]
	s_and_saveexec_b32 s17, s0
; %bb.1998:                             ;   in Loop: Header=BB353_1069 Depth=1
	v_and_b32_e32 v22, 7, v18
	s_delay_alu instid0(VALU_DEP_1) | instskip(NEXT) | instid1(VALU_DEP_1)
	v_clz_i32_u32_e32 v22, v22
	v_min_u32_e32 v24, 32, v22
	s_delay_alu instid0(VALU_DEP_1) | instskip(SKIP_1) | instid1(VALU_DEP_2)
	v_subrev_nc_u32_e32 v22, 28, v24
	v_sub_nc_u32_e32 v24, 29, v24
	v_lshlrev_b64_e32 v[22:23], v22, v[18:19]
; %bb.1999:                             ;   in Loop: Header=BB353_1069 Depth=1
	s_or_b32 exec_lo, exec_lo, s17
	s_delay_alu instid0(VALU_DEP_1) | instskip(SKIP_2) | instid1(VALU_DEP_3)
	v_lshlrev_b32_e32 v22, 20, v22
	v_lshlrev_b32_e32 v23, 24, v18
	v_lshl_add_u32 v24, v24, 23, 0x3c000000
	v_and_b32_e32 v22, 0x700000, v22
	s_delay_alu instid0(VALU_DEP_3) | instskip(NEXT) | instid1(VALU_DEP_1)
	v_and_b32_e32 v23, 0x80000000, v23
	v_or3_b32 v87, v22, v23, v24
.LBB353_2000:                           ;   in Loop: Header=BB353_1069 Depth=1
	s_or_b32 exec_lo, exec_lo, s16
.LBB353_2001:                           ;   in Loop: Header=BB353_1069 Depth=1
	s_delay_alu instid0(SALU_CYCLE_1)
	s_or_b32 exec_lo, exec_lo, s15
.LBB353_2002:                           ;   in Loop: Header=BB353_1069 Depth=1
	s_delay_alu instid0(SALU_CYCLE_1) | instskip(SKIP_2) | instid1(VALU_DEP_1)
	s_or_b32 exec_lo, exec_lo, s14
	v_lshrrev_b16 v22, 8, v18
	s_mov_b32 s14, exec_lo
	v_cmpx_ne_u16_e32 0, v22
	s_cbranch_execz .LBB353_2010
; %bb.2003:                             ;   in Loop: Header=BB353_1069 Depth=1
	v_bfrev_b32_e32 v43, 1
	s_mov_b32 s15, exec_lo
	v_cmpx_ne_u16_e32 0x80, v22
	s_cbranch_execz .LBB353_2009
; %bb.2004:                             ;   in Loop: Header=BB353_1069 Depth=1
	v_and_b32_e32 v23, 0xffff, v22
	v_mov_b32_e32 v43, 0x7f800001
	s_mov_b32 s16, exec_lo
	s_delay_alu instid0(VALU_DEP_2) | instskip(NEXT) | instid1(VALU_DEP_1)
	v_and_b32_e32 v22, 0x7f, v23
	v_cmpx_ne_u32_e32 0x7f, v22
	s_cbranch_execz .LBB353_2008
; %bb.2005:                             ;   in Loop: Header=BB353_1069 Depth=1
	v_dual_lshrrev_b32 v24, 3, v22 :: v_dual_bitop2_b32 v26, 7, v23 bitop3:0x40
	v_cmp_gt_u32_e64 s0, 8, v22
	s_delay_alu instid0(VALU_DEP_2)
	v_mov_b64_e32 v[22:23], v[26:27]
	s_and_saveexec_b32 s17, s0
; %bb.2006:                             ;   in Loop: Header=BB353_1069 Depth=1
	v_clz_i32_u32_e32 v22, v26
	s_delay_alu instid0(VALU_DEP_1) | instskip(NEXT) | instid1(VALU_DEP_1)
	v_min_u32_e32 v24, 32, v22
	v_subrev_nc_u32_e32 v22, 28, v24
	s_delay_alu instid0(VALU_DEP_1) | instskip(NEXT) | instid1(VALU_DEP_1)
	v_lshlrev_b64_e32 v[22:23], v22, v[26:27]
	v_dual_sub_nc_u32 v24, 29, v24 :: v_dual_bitop2_b32 v22, 7, v22 bitop3:0x40
; %bb.2007:                             ;   in Loop: Header=BB353_1069 Depth=1
	s_or_b32 exec_lo, exec_lo, s17
	v_lshlrev_b32_e32 v23, 16, v18
	s_delay_alu instid0(VALU_DEP_2) | instskip(NEXT) | instid1(VALU_DEP_3)
	v_lshlrev_b32_e32 v22, 20, v22
	v_lshl_add_u32 v24, v24, 23, 0x3c000000
	s_delay_alu instid0(VALU_DEP_3) | instskip(NEXT) | instid1(VALU_DEP_1)
	v_and_b32_e32 v23, 0x80000000, v23
	v_or3_b32 v43, v22, v23, v24
.LBB353_2008:                           ;   in Loop: Header=BB353_1069 Depth=1
	s_or_b32 exec_lo, exec_lo, s16
.LBB353_2009:                           ;   in Loop: Header=BB353_1069 Depth=1
	s_delay_alu instid0(SALU_CYCLE_1)
	s_or_b32 exec_lo, exec_lo, s15
.LBB353_2010:                           ;   in Loop: Header=BB353_1069 Depth=1
	s_delay_alu instid0(SALU_CYCLE_1) | instskip(SKIP_3) | instid1(VALU_DEP_2)
	s_or_b32 exec_lo, exec_lo, s14
	v_dual_mov_b32 v44, 0 :: v_dual_lshrrev_b32 v41, 16, v18
	v_mov_b32_e32 v24, 0
	s_mov_b32 s14, exec_lo
	v_and_b32_e32 v22, 0xff, v41
	s_delay_alu instid0(VALU_DEP_1)
	v_cmpx_ne_u16_e32 0, v22
	s_cbranch_execz .LBB353_2018
; %bb.2011:                             ;   in Loop: Header=BB353_1069 Depth=1
	v_bfrev_b32_e32 v24, 1
	s_mov_b32 s15, exec_lo
	v_cmpx_ne_u16_e32 0x80, v22
	s_cbranch_execz .LBB353_2017
; %bb.2012:                             ;   in Loop: Header=BB353_1069 Depth=1
	v_bfe_u32 v22, v18, 16, 7
	v_mov_b32_e32 v24, 0x7f800001
	s_mov_b32 s16, exec_lo
	s_delay_alu instid0(VALU_DEP_2)
	v_cmpx_ne_u32_e32 0x7f, v22
	s_cbranch_execz .LBB353_2016
; %bb.2013:                             ;   in Loop: Header=BB353_1069 Depth=1
	v_dual_lshrrev_b32 v24, 3, v22 :: v_dual_bitop2_b32 v26, 7, v41 bitop3:0x40
	v_cmp_gt_u32_e64 s0, 8, v22
	s_delay_alu instid0(VALU_DEP_2)
	v_mov_b64_e32 v[22:23], v[26:27]
	s_and_saveexec_b32 s17, s0
; %bb.2014:                             ;   in Loop: Header=BB353_1069 Depth=1
	v_clz_i32_u32_e32 v22, v26
	s_delay_alu instid0(VALU_DEP_1) | instskip(NEXT) | instid1(VALU_DEP_1)
	v_min_u32_e32 v24, 32, v22
	v_subrev_nc_u32_e32 v22, 28, v24
	s_delay_alu instid0(VALU_DEP_1) | instskip(NEXT) | instid1(VALU_DEP_1)
	v_lshlrev_b64_e32 v[22:23], v22, v[26:27]
	v_dual_sub_nc_u32 v24, 29, v24 :: v_dual_bitop2_b32 v22, 7, v22 bitop3:0x40
; %bb.2015:                             ;   in Loop: Header=BB353_1069 Depth=1
	s_or_b32 exec_lo, exec_lo, s17
	s_delay_alu instid0(VALU_DEP_1) | instskip(NEXT) | instid1(VALU_DEP_2)
	v_dual_lshlrev_b32 v23, 24, v41 :: v_dual_lshlrev_b32 v22, 20, v22
	v_lshl_add_u32 v24, v24, 23, 0x3c000000
	s_delay_alu instid0(VALU_DEP_2) | instskip(NEXT) | instid1(VALU_DEP_1)
	v_and_b32_e32 v23, 0x80000000, v23
	v_or3_b32 v24, v22, v23, v24
.LBB353_2016:                           ;   in Loop: Header=BB353_1069 Depth=1
	s_or_b32 exec_lo, exec_lo, s16
.LBB353_2017:                           ;   in Loop: Header=BB353_1069 Depth=1
	s_delay_alu instid0(SALU_CYCLE_1)
	s_or_b32 exec_lo, exec_lo, s15
.LBB353_2018:                           ;   in Loop: Header=BB353_1069 Depth=1
	s_delay_alu instid0(SALU_CYCLE_1) | instskip(NEXT) | instid1(SALU_CYCLE_1)
	s_or_b32 exec_lo, exec_lo, s14
	s_mov_b32 s14, exec_lo
	v_cmpx_lt_u32_e32 0xffffff, v18
	s_cbranch_execz .LBB353_2026
; %bb.2019:                             ;   in Loop: Header=BB353_1069 Depth=1
	v_lshrrev_b32_e32 v41, 24, v18
	v_bfrev_b32_e32 v44, 1
	s_mov_b32 s15, exec_lo
	s_delay_alu instid0(VALU_DEP_2)
	v_cmpx_ne_u32_e32 0x80, v41
	s_cbranch_execz .LBB353_2025
; %bb.2020:                             ;   in Loop: Header=BB353_1069 Depth=1
	v_bfe_u32 v22, v18, 24, 7
	v_mov_b32_e32 v44, 0x7f800001
	s_mov_b32 s16, exec_lo
	s_delay_alu instid0(VALU_DEP_2)
	v_cmpx_ne_u32_e32 0x7f, v22
	s_cbranch_execz .LBB353_2024
; %bb.2021:                             ;   in Loop: Header=BB353_1069 Depth=1
	v_dual_lshrrev_b32 v42, 3, v22 :: v_dual_bitop2_b32 v26, 7, v41 bitop3:0x40
	v_cmp_gt_u32_e64 s0, 8, v22
	s_delay_alu instid0(VALU_DEP_2)
	v_mov_b64_e32 v[22:23], v[26:27]
	s_and_saveexec_b32 s17, s0
; %bb.2022:                             ;   in Loop: Header=BB353_1069 Depth=1
	v_clz_i32_u32_e32 v22, v26
	s_delay_alu instid0(VALU_DEP_1) | instskip(NEXT) | instid1(VALU_DEP_1)
	v_min_u32_e32 v100, 32, v22
	v_subrev_nc_u32_e32 v22, 28, v100
	s_delay_alu instid0(VALU_DEP_1) | instskip(NEXT) | instid1(VALU_DEP_1)
	v_lshlrev_b64_e32 v[22:23], v22, v[26:27]
	v_dual_sub_nc_u32 v42, 29, v100 :: v_dual_bitop2_b32 v22, 7, v22 bitop3:0x40
; %bb.2023:                             ;   in Loop: Header=BB353_1069 Depth=1
	s_or_b32 exec_lo, exec_lo, s17
	s_delay_alu instid0(VALU_DEP_1) | instskip(NEXT) | instid1(VALU_DEP_2)
	v_dual_lshlrev_b32 v23, 24, v41 :: v_dual_lshlrev_b32 v22, 20, v22
	v_lshl_add_u32 v26, v42, 23, 0x3c000000
	s_delay_alu instid0(VALU_DEP_2) | instskip(NEXT) | instid1(VALU_DEP_1)
	v_and_b32_e32 v23, 0x80000000, v23
	v_or3_b32 v44, v22, v23, v26
.LBB353_2024:                           ;   in Loop: Header=BB353_1069 Depth=1
	s_or_b32 exec_lo, exec_lo, s16
.LBB353_2025:                           ;   in Loop: Header=BB353_1069 Depth=1
	s_delay_alu instid0(SALU_CYCLE_1)
	s_or_b32 exec_lo, exec_lo, s15
.LBB353_2026:                           ;   in Loop: Header=BB353_1069 Depth=1
	s_delay_alu instid0(SALU_CYCLE_1) | instskip(SKIP_4) | instid1(VALU_DEP_3)
	s_or_b32 exec_lo, exec_lo, s14
	v_and_b32_e32 v22, 0xff, v19
	v_dual_mov_b32 v26, v19 :: v_dual_mov_b32 v41, 0
	v_mov_b32_e32 v42, 0
	s_mov_b32 s14, exec_lo
	v_cmpx_ne_u16_e32 0, v22
	s_cbranch_execz .LBB353_2034
; %bb.2027:                             ;   in Loop: Header=BB353_1069 Depth=1
	v_bfrev_b32_e32 v42, 1
	s_mov_b32 s15, exec_lo
	v_cmpx_ne_u16_e32 0x80, v22
	s_cbranch_execz .LBB353_2033
; %bb.2028:                             ;   in Loop: Header=BB353_1069 Depth=1
	v_and_b32_e32 v22, 0x7f, v19
	v_mov_b32_e32 v42, 0x7f800001
	s_mov_b32 s16, exec_lo
	s_delay_alu instid0(VALU_DEP_2)
	v_cmpx_ne_u32_e32 0x7f, v22
	s_cbranch_execz .LBB353_2032
; %bb.2029:                             ;   in Loop: Header=BB353_1069 Depth=1
	v_lshrrev_b32_e32 v42, 3, v22
	v_cmp_gt_u32_e64 s0, 8, v22
	v_mov_b64_e32 v[22:23], v[26:27]
	s_and_saveexec_b32 s17, s0
; %bb.2030:                             ;   in Loop: Header=BB353_1069 Depth=1
	v_and_b32_e32 v22, 7, v19
	s_delay_alu instid0(VALU_DEP_1) | instskip(NEXT) | instid1(VALU_DEP_1)
	v_clz_i32_u32_e32 v22, v22
	v_min_u32_e32 v100, 32, v22
	s_delay_alu instid0(VALU_DEP_1) | instskip(SKIP_1) | instid1(VALU_DEP_2)
	v_subrev_nc_u32_e32 v22, 28, v100
	v_sub_nc_u32_e32 v42, 29, v100
	v_lshlrev_b64_e32 v[22:23], v22, v[26:27]
; %bb.2031:                             ;   in Loop: Header=BB353_1069 Depth=1
	s_or_b32 exec_lo, exec_lo, s17
	s_delay_alu instid0(VALU_DEP_1) | instskip(SKIP_2) | instid1(VALU_DEP_3)
	v_lshlrev_b32_e32 v22, 20, v22
	v_lshlrev_b32_e32 v23, 24, v26
	v_lshl_add_u32 v100, v42, 23, 0x3c000000
	v_and_b32_e32 v22, 0x700000, v22
	s_delay_alu instid0(VALU_DEP_3) | instskip(NEXT) | instid1(VALU_DEP_1)
	v_and_b32_e32 v23, 0x80000000, v23
	v_or3_b32 v42, v22, v23, v100
.LBB353_2032:                           ;   in Loop: Header=BB353_1069 Depth=1
	s_or_b32 exec_lo, exec_lo, s16
.LBB353_2033:                           ;   in Loop: Header=BB353_1069 Depth=1
	s_delay_alu instid0(SALU_CYCLE_1)
	s_or_b32 exec_lo, exec_lo, s15
.LBB353_2034:                           ;   in Loop: Header=BB353_1069 Depth=1
	s_delay_alu instid0(SALU_CYCLE_1) | instskip(SKIP_2) | instid1(VALU_DEP_1)
	s_or_b32 exec_lo, exec_lo, s14
	v_lshrrev_b16 v22, 8, v26
	s_mov_b32 s14, exec_lo
	v_cmpx_ne_u16_e32 0, v22
	s_cbranch_execz .LBB353_2042
; %bb.2035:                             ;   in Loop: Header=BB353_1069 Depth=1
	v_bfrev_b32_e32 v41, 1
	s_mov_b32 s15, exec_lo
	v_cmpx_ne_u16_e32 0x80, v22
	s_cbranch_execz .LBB353_2041
; %bb.2036:                             ;   in Loop: Header=BB353_1069 Depth=1
	v_and_b32_e32 v22, 0xffff, v22
	v_mov_b32_e32 v41, 0x7f800001
	s_mov_b32 s16, exec_lo
	s_delay_alu instid0(VALU_DEP_2) | instskip(NEXT) | instid1(VALU_DEP_1)
	v_and_b32_e32 v45, 0x7f, v22
	v_cmpx_ne_u32_e32 0x7f, v45
	s_cbranch_execz .LBB353_2040
; %bb.2037:                             ;   in Loop: Header=BB353_1069 Depth=1
	v_dual_mov_b32 v23, v27 :: v_dual_bitop2_b32 v22, 7, v22 bitop3:0x40
	v_lshrrev_b32_e32 v41, 3, v45
	s_mov_b32 s17, exec_lo
	v_cmpx_gt_u32_e32 8, v45
; %bb.2038:                             ;   in Loop: Header=BB353_1069 Depth=1
	s_delay_alu instid0(VALU_DEP_3) | instskip(NEXT) | instid1(VALU_DEP_1)
	v_clz_i32_u32_e32 v100, v22
	v_min_u32_e32 v100, 32, v100
	s_delay_alu instid0(VALU_DEP_1) | instskip(NEXT) | instid1(VALU_DEP_1)
	v_subrev_nc_u32_e32 v41, 28, v100
	v_lshlrev_b64_e32 v[22:23], v41, v[22:23]
	s_delay_alu instid0(VALU_DEP_1)
	v_dual_sub_nc_u32 v41, 29, v100 :: v_dual_bitop2_b32 v22, 7, v22 bitop3:0x40
; %bb.2039:                             ;   in Loop: Header=BB353_1069 Depth=1
	s_or_b32 exec_lo, exec_lo, s17
	v_lshlrev_b32_e32 v23, 16, v26
	s_delay_alu instid0(VALU_DEP_2) | instskip(NEXT) | instid1(VALU_DEP_3)
	v_lshlrev_b32_e32 v22, 20, v22
	v_lshl_add_u32 v26, v41, 23, 0x3c000000
	s_delay_alu instid0(VALU_DEP_3) | instskip(NEXT) | instid1(VALU_DEP_1)
	v_and_b32_e32 v23, 0x80000000, v23
	v_or3_b32 v41, v22, v23, v26
.LBB353_2040:                           ;   in Loop: Header=BB353_1069 Depth=1
	s_or_b32 exec_lo, exec_lo, s16
.LBB353_2041:                           ;   in Loop: Header=BB353_1069 Depth=1
	s_delay_alu instid0(SALU_CYCLE_1)
	s_or_b32 exec_lo, exec_lo, s15
.LBB353_2042:                           ;   in Loop: Header=BB353_1069 Depth=1
	s_delay_alu instid0(SALU_CYCLE_1) | instskip(SKIP_3) | instid1(VALU_DEP_2)
	s_or_b32 exec_lo, exec_lo, s14
	v_dual_lshrrev_b32 v45, 16, v19 :: v_dual_mov_b32 v57, 0
	v_mov_b32_e32 v22, 0
	s_mov_b32 s14, exec_lo
	v_and_b32_e32 v23, 0xff, v45
	s_delay_alu instid0(VALU_DEP_1)
	v_cmpx_ne_u16_e32 0, v23
	s_cbranch_execz .LBB353_2050
; %bb.2043:                             ;   in Loop: Header=BB353_1069 Depth=1
	v_bfrev_b32_e32 v22, 1
	s_mov_b32 s15, exec_lo
	v_cmpx_ne_u16_e32 0x80, v23
	s_cbranch_execz .LBB353_2049
; %bb.2044:                             ;   in Loop: Header=BB353_1069 Depth=1
	v_bfe_u32 v23, v19, 16, 7
	v_mov_b32_e32 v22, 0x7f800001
	s_mov_b32 s16, exec_lo
	s_delay_alu instid0(VALU_DEP_2)
	v_cmpx_ne_u32_e32 0x7f, v23
	s_cbranch_execz .LBB353_2048
; %bb.2045:                             ;   in Loop: Header=BB353_1069 Depth=1
	v_dual_lshrrev_b32 v46, 3, v23 :: v_dual_bitop2_b32 v26, 7, v45 bitop3:0x40
	v_cmp_gt_u32_e64 s0, 8, v23
	s_delay_alu instid0(VALU_DEP_2)
	v_mov_b64_e32 v[22:23], v[26:27]
	s_and_saveexec_b32 s17, s0
; %bb.2046:                             ;   in Loop: Header=BB353_1069 Depth=1
	v_clz_i32_u32_e32 v22, v26
	s_delay_alu instid0(VALU_DEP_1) | instskip(NEXT) | instid1(VALU_DEP_1)
	v_min_u32_e32 v100, 32, v22
	v_subrev_nc_u32_e32 v22, 28, v100
	s_delay_alu instid0(VALU_DEP_1) | instskip(NEXT) | instid1(VALU_DEP_1)
	v_lshlrev_b64_e32 v[22:23], v22, v[26:27]
	v_dual_sub_nc_u32 v46, 29, v100 :: v_dual_bitop2_b32 v22, 7, v22 bitop3:0x40
; %bb.2047:                             ;   in Loop: Header=BB353_1069 Depth=1
	s_or_b32 exec_lo, exec_lo, s17
	s_delay_alu instid0(VALU_DEP_1) | instskip(NEXT) | instid1(VALU_DEP_2)
	v_dual_lshlrev_b32 v23, 24, v45 :: v_dual_lshlrev_b32 v22, 20, v22
	v_lshl_add_u32 v26, v46, 23, 0x3c000000
	s_delay_alu instid0(VALU_DEP_2) | instskip(NEXT) | instid1(VALU_DEP_1)
	v_and_b32_e32 v23, 0x80000000, v23
	v_or3_b32 v22, v22, v23, v26
.LBB353_2048:                           ;   in Loop: Header=BB353_1069 Depth=1
	s_or_b32 exec_lo, exec_lo, s16
.LBB353_2049:                           ;   in Loop: Header=BB353_1069 Depth=1
	s_delay_alu instid0(SALU_CYCLE_1)
	s_or_b32 exec_lo, exec_lo, s15
.LBB353_2050:                           ;   in Loop: Header=BB353_1069 Depth=1
	s_delay_alu instid0(SALU_CYCLE_1) | instskip(NEXT) | instid1(SALU_CYCLE_1)
	s_or_b32 exec_lo, exec_lo, s14
	s_mov_b32 s14, exec_lo
	v_cmpx_lt_u64_e64 s[2:3], v[18:19]
	s_cbranch_execz .LBB353_2058
; %bb.2051:                             ;   in Loop: Header=BB353_1069 Depth=1
	v_lshrrev_b32_e32 v23, 24, v19
	v_bfrev_b32_e32 v57, 1
	s_mov_b32 s15, exec_lo
	s_delay_alu instid0(VALU_DEP_2)
	v_cmpx_ne_u32_e32 0x80, v23
	s_cbranch_execz .LBB353_2057
; %bb.2052:                             ;   in Loop: Header=BB353_1069 Depth=1
	v_bfe_u32 v18, v19, 24, 7
	v_mov_b32_e32 v57, 0x7f800001
	s_mov_b32 s16, exec_lo
	s_delay_alu instid0(VALU_DEP_2)
	v_cmpx_ne_u32_e32 0x7f, v18
	s_cbranch_execz .LBB353_2056
; %bb.2053:                             ;   in Loop: Header=BB353_1069 Depth=1
	v_dual_lshrrev_b32 v45, 3, v18 :: v_dual_bitop2_b32 v26, 7, v23 bitop3:0x40
	v_cmp_gt_u32_e64 s0, 8, v18
	s_delay_alu instid0(VALU_DEP_2)
	v_mov_b64_e32 v[18:19], v[26:27]
	s_and_saveexec_b32 s17, s0
; %bb.2054:                             ;   in Loop: Header=BB353_1069 Depth=1
	v_clz_i32_u32_e32 v18, v26
	s_delay_alu instid0(VALU_DEP_1) | instskip(NEXT) | instid1(VALU_DEP_1)
	v_min_u32_e32 v100, 32, v18
	v_subrev_nc_u32_e32 v18, 28, v100
	s_delay_alu instid0(VALU_DEP_1) | instskip(NEXT) | instid1(VALU_DEP_1)
	v_lshlrev_b64_e32 v[18:19], v18, v[26:27]
	v_dual_sub_nc_u32 v45, 29, v100 :: v_dual_bitop2_b32 v18, 7, v18 bitop3:0x40
; %bb.2055:                             ;   in Loop: Header=BB353_1069 Depth=1
	s_or_b32 exec_lo, exec_lo, s17
	s_delay_alu instid0(VALU_DEP_1) | instskip(NEXT) | instid1(VALU_DEP_2)
	v_dual_lshlrev_b32 v19, 24, v23 :: v_dual_lshlrev_b32 v18, 20, v18
	v_lshl_add_u32 v23, v45, 23, 0x3c000000
	s_delay_alu instid0(VALU_DEP_2) | instskip(NEXT) | instid1(VALU_DEP_1)
	v_and_b32_e32 v19, 0x80000000, v19
	v_or3_b32 v57, v18, v19, v23
.LBB353_2056:                           ;   in Loop: Header=BB353_1069 Depth=1
	s_or_b32 exec_lo, exec_lo, s16
.LBB353_2057:                           ;   in Loop: Header=BB353_1069 Depth=1
	s_delay_alu instid0(SALU_CYCLE_1)
	s_or_b32 exec_lo, exec_lo, s15
.LBB353_2058:                           ;   in Loop: Header=BB353_1069 Depth=1
	s_delay_alu instid0(SALU_CYCLE_1)
	s_or_b32 exec_lo, exec_lo, s14
	v_fma_mixlo_bf16 v41, v86, v41, 0
	v_fma_mixlo_bf16 v42, v86, v42, 0
	;; [unrolled: 1-line block ×8, first 2 shown]
	s_and_saveexec_b32 s14, vcc_lo
	s_cbranch_execz .LBB353_2060
; %bb.2059:                             ;   in Loop: Header=BB353_1069 Depth=1
	scratch_load_b32 v18, off, s32 offset:192 ; 4-byte Folded Reload
	s_wait_loadcnt 0x0
	v_cmp_lt_i32_e64 s0, v115, v18
	s_delay_alu instid0(VALU_DEP_1) | instskip(SKIP_1) | instid1(VALU_DEP_1)
	v_cndmask_b32_e64 v56, 0, v56, s0
	v_cmp_lt_i32_e64 s0, v119, v18
	v_cndmask_b32_e64 v47, 0, v47, s0
	v_cmp_lt_i32_e64 s0, v118, v18
	s_delay_alu instid0(VALU_DEP_1) | instskip(SKIP_1) | instid1(VALU_DEP_1)
	v_cndmask_b32_e64 v46, 0, v46, s0
	v_cmp_lt_i32_e64 s0, v117, v18
	v_cndmask_b32_e64 v45, 0, v45, s0
	;; [unrolled: 5-line block ×4, first 2 shown]
.LBB353_2060:                           ;   in Loop: Header=BB353_1069 Depth=1
	s_wait_xcnt 0x0
	s_or_b32 exec_lo, exec_lo, s14
	flat_load_b64 v[0:1], v[0:1] offset:3840
	v_dual_mov_b32 v57, 0 :: v_dual_mov_b32 v87, 0
	s_mov_b32 s14, exec_lo
	s_wait_loadcnt_dscnt 0x0
	v_and_b32_e32 v18, 0xff, v0
	s_wait_xcnt 0x0
	s_delay_alu instid0(VALU_DEP_1)
	v_cmpx_ne_u16_e32 0, v18
	s_cbranch_execz .LBB353_2068
; %bb.2061:                             ;   in Loop: Header=BB353_1069 Depth=1
	v_bfrev_b32_e32 v87, 1
	s_mov_b32 s15, exec_lo
	v_cmpx_ne_u16_e32 0x80, v18
	s_cbranch_execz .LBB353_2067
; %bb.2062:                             ;   in Loop: Header=BB353_1069 Depth=1
	v_and_b32_e32 v18, 0x7f, v0
	v_mov_b32_e32 v87, 0x7f800001
	s_mov_b32 s16, exec_lo
	s_delay_alu instid0(VALU_DEP_2)
	v_cmpx_ne_u32_e32 0x7f, v18
	s_cbranch_execz .LBB353_2066
; %bb.2063:                             ;   in Loop: Header=BB353_1069 Depth=1
	v_lshrrev_b32_e32 v22, 3, v18
	v_cmp_gt_u32_e64 s0, 8, v18
	v_mov_b64_e32 v[18:19], v[0:1]
	s_and_saveexec_b32 s17, s0
; %bb.2064:                             ;   in Loop: Header=BB353_1069 Depth=1
	v_and_b32_e32 v18, 7, v0
	s_delay_alu instid0(VALU_DEP_1) | instskip(NEXT) | instid1(VALU_DEP_1)
	v_clz_i32_u32_e32 v18, v18
	v_min_u32_e32 v22, 32, v18
	s_delay_alu instid0(VALU_DEP_1) | instskip(SKIP_1) | instid1(VALU_DEP_2)
	v_subrev_nc_u32_e32 v18, 28, v22
	v_sub_nc_u32_e32 v22, 29, v22
	v_lshlrev_b64_e32 v[18:19], v18, v[0:1]
; %bb.2065:                             ;   in Loop: Header=BB353_1069 Depth=1
	s_or_b32 exec_lo, exec_lo, s17
	s_delay_alu instid0(VALU_DEP_1) | instskip(NEXT) | instid1(VALU_DEP_3)
	v_dual_lshlrev_b32 v18, 20, v18 :: v_dual_lshlrev_b32 v19, 24, v0
	v_lshl_add_u32 v22, v22, 23, 0x3c000000
	s_delay_alu instid0(VALU_DEP_2) | instskip(NEXT) | instid1(VALU_DEP_3)
	v_and_b32_e32 v18, 0x700000, v18
	v_and_b32_e32 v19, 0x80000000, v19
	s_delay_alu instid0(VALU_DEP_1)
	v_or3_b32 v87, v18, v19, v22
.LBB353_2066:                           ;   in Loop: Header=BB353_1069 Depth=1
	s_or_b32 exec_lo, exec_lo, s16
.LBB353_2067:                           ;   in Loop: Header=BB353_1069 Depth=1
	s_delay_alu instid0(SALU_CYCLE_1)
	s_or_b32 exec_lo, exec_lo, s15
.LBB353_2068:                           ;   in Loop: Header=BB353_1069 Depth=1
	s_delay_alu instid0(SALU_CYCLE_1) | instskip(SKIP_2) | instid1(VALU_DEP_1)
	s_or_b32 exec_lo, exec_lo, s14
	v_lshrrev_b16 v18, 8, v0
	s_mov_b32 s14, exec_lo
	v_cmpx_ne_u16_e32 0, v18
	s_cbranch_execz .LBB353_2076
; %bb.2069:                             ;   in Loop: Header=BB353_1069 Depth=1
	v_bfrev_b32_e32 v57, 1
	s_mov_b32 s15, exec_lo
	v_cmpx_ne_u16_e32 0x80, v18
	s_cbranch_execz .LBB353_2075
; %bb.2070:                             ;   in Loop: Header=BB353_1069 Depth=1
	v_and_b32_e32 v18, 0xffff, v18
	v_mov_b32_e32 v57, 0x7f800001
	s_mov_b32 s16, exec_lo
	s_delay_alu instid0(VALU_DEP_2) | instskip(NEXT) | instid1(VALU_DEP_1)
	v_and_b32_e32 v22, 0x7f, v18
	v_cmpx_ne_u32_e32 0x7f, v22
	s_cbranch_execz .LBB353_2074
; %bb.2071:                             ;   in Loop: Header=BB353_1069 Depth=1
	v_and_b32_e32 v26, 7, v18
	s_mov_b32 s17, exec_lo
	s_delay_alu instid0(VALU_DEP_1)
	v_mov_b64_e32 v[18:19], v[26:27]
	v_lshrrev_b32_e32 v19, 3, v22
	v_cmpx_gt_u32_e32 8, v22
; %bb.2072:                             ;   in Loop: Header=BB353_1069 Depth=1
	v_clz_i32_u32_e32 v18, v26
	s_delay_alu instid0(VALU_DEP_1) | instskip(NEXT) | instid1(VALU_DEP_1)
	v_min_u32_e32 v22, 32, v18
	v_subrev_nc_u32_e32 v18, 28, v22
	s_delay_alu instid0(VALU_DEP_1) | instskip(SKIP_1) | instid1(VALU_DEP_2)
	v_lshlrev_b64_e32 v[18:19], v18, v[26:27]
	v_sub_nc_u32_e32 v19, 29, v22
	v_and_b32_e32 v18, 7, v18
; %bb.2073:                             ;   in Loop: Header=BB353_1069 Depth=1
	s_or_b32 exec_lo, exec_lo, s17
	s_delay_alu instid0(VALU_DEP_1) | instskip(NEXT) | instid1(VALU_DEP_3)
	v_dual_lshlrev_b32 v22, 16, v0 :: v_dual_lshlrev_b32 v18, 20, v18
	v_lshl_add_u32 v19, v19, 23, 0x3c000000
	s_delay_alu instid0(VALU_DEP_2) | instskip(NEXT) | instid1(VALU_DEP_1)
	v_and_b32_e32 v22, 0x80000000, v22
	v_or3_b32 v57, v18, v22, v19
.LBB353_2074:                           ;   in Loop: Header=BB353_1069 Depth=1
	s_or_b32 exec_lo, exec_lo, s16
.LBB353_2075:                           ;   in Loop: Header=BB353_1069 Depth=1
	s_delay_alu instid0(SALU_CYCLE_1)
	s_or_b32 exec_lo, exec_lo, s15
.LBB353_2076:                           ;   in Loop: Header=BB353_1069 Depth=1
	s_delay_alu instid0(SALU_CYCLE_1) | instskip(SKIP_3) | instid1(VALU_DEP_2)
	s_or_b32 exec_lo, exec_lo, s14
	v_dual_lshrrev_b32 v24, 16, v0 :: v_dual_mov_b32 v22, 0
	v_mov_b32_e32 v23, 0
	s_mov_b32 s14, exec_lo
	v_and_b32_e32 v18, 0xff, v24
	s_delay_alu instid0(VALU_DEP_1)
	v_cmpx_ne_u16_e32 0, v18
	s_cbranch_execz .LBB353_2084
; %bb.2077:                             ;   in Loop: Header=BB353_1069 Depth=1
	v_bfrev_b32_e32 v23, 1
	s_mov_b32 s15, exec_lo
	v_cmpx_ne_u16_e32 0x80, v18
	s_cbranch_execz .LBB353_2083
; %bb.2078:                             ;   in Loop: Header=BB353_1069 Depth=1
	v_bfe_u32 v58, v0, 16, 7
	v_mov_b32_e32 v23, 0x7f800001
	s_mov_b32 s16, exec_lo
	s_delay_alu instid0(VALU_DEP_2)
	v_cmpx_ne_u32_e32 0x7f, v58
	s_cbranch_execz .LBB353_2082
; %bb.2079:                             ;   in Loop: Header=BB353_1069 Depth=1
	v_and_b32_e32 v26, 7, v24
	s_mov_b32 s17, exec_lo
	s_delay_alu instid0(VALU_DEP_1)
	v_mov_b64_e32 v[18:19], v[26:27]
	v_lshrrev_b32_e32 v19, 3, v58
	v_cmpx_gt_u32_e32 8, v58
; %bb.2080:                             ;   in Loop: Header=BB353_1069 Depth=1
	v_clz_i32_u32_e32 v18, v26
	s_delay_alu instid0(VALU_DEP_1) | instskip(NEXT) | instid1(VALU_DEP_1)
	v_min_u32_e32 v23, 32, v18
	v_subrev_nc_u32_e32 v18, 28, v23
	s_delay_alu instid0(VALU_DEP_1) | instskip(NEXT) | instid1(VALU_DEP_1)
	v_lshlrev_b64_e32 v[18:19], v18, v[26:27]
	v_dual_sub_nc_u32 v19, 29, v23 :: v_dual_bitop2_b32 v18, 7, v18 bitop3:0x40
; %bb.2081:                             ;   in Loop: Header=BB353_1069 Depth=1
	s_or_b32 exec_lo, exec_lo, s17
	s_delay_alu instid0(VALU_DEP_1) | instskip(NEXT) | instid1(VALU_DEP_2)
	v_dual_lshlrev_b32 v23, 24, v24 :: v_dual_lshlrev_b32 v18, 20, v18
	v_lshl_add_u32 v19, v19, 23, 0x3c000000
	s_delay_alu instid0(VALU_DEP_2) | instskip(NEXT) | instid1(VALU_DEP_1)
	v_and_b32_e32 v23, 0x80000000, v23
	v_or3_b32 v23, v18, v23, v19
.LBB353_2082:                           ;   in Loop: Header=BB353_1069 Depth=1
	s_or_b32 exec_lo, exec_lo, s16
.LBB353_2083:                           ;   in Loop: Header=BB353_1069 Depth=1
	s_delay_alu instid0(SALU_CYCLE_1)
	s_or_b32 exec_lo, exec_lo, s15
.LBB353_2084:                           ;   in Loop: Header=BB353_1069 Depth=1
	s_delay_alu instid0(SALU_CYCLE_1) | instskip(NEXT) | instid1(SALU_CYCLE_1)
	s_or_b32 exec_lo, exec_lo, s14
	s_mov_b32 s14, exec_lo
	v_cmpx_lt_u32_e32 0xffffff, v0
	s_cbranch_execz .LBB353_2092
; %bb.2085:                             ;   in Loop: Header=BB353_1069 Depth=1
	v_lshrrev_b32_e32 v24, 24, v0
	v_bfrev_b32_e32 v22, 1
	s_mov_b32 s15, exec_lo
	s_delay_alu instid0(VALU_DEP_2)
	v_cmpx_ne_u32_e32 0x80, v24
	s_cbranch_execz .LBB353_2091
; %bb.2086:                             ;   in Loop: Header=BB353_1069 Depth=1
	v_bfe_u32 v58, v0, 24, 7
	v_mov_b32_e32 v22, 0x7f800001
	s_mov_b32 s16, exec_lo
	s_delay_alu instid0(VALU_DEP_2)
	v_cmpx_ne_u32_e32 0x7f, v58
	s_cbranch_execz .LBB353_2090
; %bb.2087:                             ;   in Loop: Header=BB353_1069 Depth=1
	v_and_b32_e32 v26, 7, v24
	s_mov_b32 s17, exec_lo
	s_delay_alu instid0(VALU_DEP_1)
	v_mov_b64_e32 v[18:19], v[26:27]
	v_lshrrev_b32_e32 v19, 3, v58
	v_cmpx_gt_u32_e32 8, v58
; %bb.2088:                             ;   in Loop: Header=BB353_1069 Depth=1
	v_clz_i32_u32_e32 v18, v26
	s_delay_alu instid0(VALU_DEP_1) | instskip(NEXT) | instid1(VALU_DEP_1)
	v_min_u32_e32 v22, 32, v18
	v_subrev_nc_u32_e32 v18, 28, v22
	s_delay_alu instid0(VALU_DEP_1) | instskip(SKIP_1) | instid1(VALU_DEP_2)
	v_lshlrev_b64_e32 v[18:19], v18, v[26:27]
	v_sub_nc_u32_e32 v19, 29, v22
	v_and_b32_e32 v18, 7, v18
; %bb.2089:                             ;   in Loop: Header=BB353_1069 Depth=1
	s_or_b32 exec_lo, exec_lo, s17
	s_delay_alu instid0(VALU_DEP_1) | instskip(NEXT) | instid1(VALU_DEP_3)
	v_dual_lshlrev_b32 v22, 24, v24 :: v_dual_lshlrev_b32 v18, 20, v18
	v_lshl_add_u32 v19, v19, 23, 0x3c000000
	s_delay_alu instid0(VALU_DEP_2) | instskip(NEXT) | instid1(VALU_DEP_1)
	v_and_b32_e32 v22, 0x80000000, v22
	v_or3_b32 v22, v18, v22, v19
.LBB353_2090:                           ;   in Loop: Header=BB353_1069 Depth=1
	s_or_b32 exec_lo, exec_lo, s16
.LBB353_2091:                           ;   in Loop: Header=BB353_1069 Depth=1
	s_delay_alu instid0(SALU_CYCLE_1)
	s_or_b32 exec_lo, exec_lo, s15
.LBB353_2092:                           ;   in Loop: Header=BB353_1069 Depth=1
	s_delay_alu instid0(SALU_CYCLE_1) | instskip(SKIP_4) | instid1(VALU_DEP_3)
	s_or_b32 exec_lo, exec_lo, s14
	v_and_b32_e32 v18, 0xff, v1
	v_dual_mov_b32 v26, v1 :: v_dual_mov_b32 v58, 0
	v_mov_b32_e32 v24, 0
	s_mov_b32 s14, exec_lo
	v_cmpx_ne_u16_e32 0, v18
	s_cbranch_execz .LBB353_2100
; %bb.2093:                             ;   in Loop: Header=BB353_1069 Depth=1
	v_bfrev_b32_e32 v24, 1
	s_mov_b32 s15, exec_lo
	v_cmpx_ne_u16_e32 0x80, v18
	s_cbranch_execz .LBB353_2099
; %bb.2094:                             ;   in Loop: Header=BB353_1069 Depth=1
	v_and_b32_e32 v59, 0x7f, v1
	v_mov_b32_e32 v24, 0x7f800001
	s_mov_b32 s16, exec_lo
	s_delay_alu instid0(VALU_DEP_2)
	v_cmpx_ne_u32_e32 0x7f, v59
	s_cbranch_execz .LBB353_2098
; %bb.2095:                             ;   in Loop: Header=BB353_1069 Depth=1
	v_mov_b64_e32 v[18:19], v[26:27]
	v_lshrrev_b32_e32 v19, 3, v59
	s_mov_b32 s17, exec_lo
	v_cmpx_gt_u32_e32 8, v59
; %bb.2096:                             ;   in Loop: Header=BB353_1069 Depth=1
	v_and_b32_e32 v18, 7, v1
	s_delay_alu instid0(VALU_DEP_1) | instskip(NEXT) | instid1(VALU_DEP_1)
	v_clz_i32_u32_e32 v18, v18
	v_min_u32_e32 v24, 32, v18
	s_delay_alu instid0(VALU_DEP_1) | instskip(NEXT) | instid1(VALU_DEP_1)
	v_subrev_nc_u32_e32 v18, 28, v24
	v_lshlrev_b64_e32 v[18:19], v18, v[26:27]
	v_sub_nc_u32_e32 v19, 29, v24
; %bb.2097:                             ;   in Loop: Header=BB353_1069 Depth=1
	s_or_b32 exec_lo, exec_lo, s17
	s_delay_alu instid0(VALU_DEP_2) | instskip(SKIP_1) | instid1(VALU_DEP_3)
	v_lshlrev_b32_e32 v18, 20, v18
	v_lshlrev_b32_e32 v24, 24, v26
	v_lshl_add_u32 v19, v19, 23, 0x3c000000
	s_delay_alu instid0(VALU_DEP_3) | instskip(NEXT) | instid1(VALU_DEP_3)
	v_and_b32_e32 v18, 0x700000, v18
	v_and_b32_e32 v24, 0x80000000, v24
	s_delay_alu instid0(VALU_DEP_1)
	v_or3_b32 v24, v18, v24, v19
.LBB353_2098:                           ;   in Loop: Header=BB353_1069 Depth=1
	s_or_b32 exec_lo, exec_lo, s16
.LBB353_2099:                           ;   in Loop: Header=BB353_1069 Depth=1
	s_delay_alu instid0(SALU_CYCLE_1)
	s_or_b32 exec_lo, exec_lo, s15
.LBB353_2100:                           ;   in Loop: Header=BB353_1069 Depth=1
	s_delay_alu instid0(SALU_CYCLE_1) | instskip(SKIP_2) | instid1(VALU_DEP_1)
	s_or_b32 exec_lo, exec_lo, s14
	v_lshrrev_b16 v18, 8, v26
	s_mov_b32 s14, exec_lo
	v_cmpx_ne_u16_e32 0, v18
	s_cbranch_execz .LBB353_2108
; %bb.2101:                             ;   in Loop: Header=BB353_1069 Depth=1
	v_bfrev_b32_e32 v58, 1
	s_mov_b32 s15, exec_lo
	v_cmpx_ne_u16_e32 0x80, v18
	s_cbranch_execz .LBB353_2107
; %bb.2102:                             ;   in Loop: Header=BB353_1069 Depth=1
	v_and_b32_e32 v18, 0xffff, v18
	v_mov_b32_e32 v58, 0x7f800001
	s_mov_b32 s16, exec_lo
	s_delay_alu instid0(VALU_DEP_2) | instskip(NEXT) | instid1(VALU_DEP_1)
	v_and_b32_e32 v59, 0x7f, v18
	v_cmpx_ne_u32_e32 0x7f, v59
	s_cbranch_execz .LBB353_2106
; %bb.2103:                             ;   in Loop: Header=BB353_1069 Depth=1
	v_dual_mov_b32 v19, v27 :: v_dual_bitop2_b32 v18, 7, v18 bitop3:0x40
	v_lshrrev_b32_e32 v58, 3, v59
	s_mov_b32 s17, exec_lo
	v_cmpx_gt_u32_e32 8, v59
; %bb.2104:                             ;   in Loop: Header=BB353_1069 Depth=1
	s_delay_alu instid0(VALU_DEP_3) | instskip(NEXT) | instid1(VALU_DEP_1)
	v_clz_i32_u32_e32 v100, v18
	v_min_u32_e32 v100, 32, v100
	s_delay_alu instid0(VALU_DEP_1) | instskip(NEXT) | instid1(VALU_DEP_1)
	v_subrev_nc_u32_e32 v58, 28, v100
	v_lshlrev_b64_e32 v[18:19], v58, v[18:19]
	s_delay_alu instid0(VALU_DEP_1)
	v_dual_sub_nc_u32 v58, 29, v100 :: v_dual_bitop2_b32 v18, 7, v18 bitop3:0x40
; %bb.2105:                             ;   in Loop: Header=BB353_1069 Depth=1
	s_or_b32 exec_lo, exec_lo, s17
	v_lshlrev_b32_e32 v19, 16, v26
	s_delay_alu instid0(VALU_DEP_2) | instskip(NEXT) | instid1(VALU_DEP_3)
	v_lshlrev_b32_e32 v18, 20, v18
	v_lshl_add_u32 v26, v58, 23, 0x3c000000
	s_delay_alu instid0(VALU_DEP_3) | instskip(NEXT) | instid1(VALU_DEP_1)
	v_and_b32_e32 v19, 0x80000000, v19
	v_or3_b32 v58, v18, v19, v26
.LBB353_2106:                           ;   in Loop: Header=BB353_1069 Depth=1
	s_or_b32 exec_lo, exec_lo, s16
.LBB353_2107:                           ;   in Loop: Header=BB353_1069 Depth=1
	s_delay_alu instid0(SALU_CYCLE_1)
	s_or_b32 exec_lo, exec_lo, s15
.LBB353_2108:                           ;   in Loop: Header=BB353_1069 Depth=1
	s_delay_alu instid0(SALU_CYCLE_1) | instskip(SKIP_3) | instid1(VALU_DEP_2)
	s_or_b32 exec_lo, exec_lo, s14
	v_dual_mov_b32 v59, 0 :: v_dual_lshrrev_b32 v60, 16, v1
	v_mov_b32_e32 v18, 0
	s_mov_b32 s14, exec_lo
	v_and_b32_e32 v19, 0xff, v60
	s_delay_alu instid0(VALU_DEP_1)
	v_cmpx_ne_u16_e32 0, v19
	s_cbranch_execz .LBB353_2116
; %bb.2109:                             ;   in Loop: Header=BB353_1069 Depth=1
	v_bfrev_b32_e32 v18, 1
	s_mov_b32 s15, exec_lo
	v_cmpx_ne_u16_e32 0x80, v19
	s_cbranch_execz .LBB353_2115
; %bb.2110:                             ;   in Loop: Header=BB353_1069 Depth=1
	v_bfe_u32 v61, v1, 16, 7
	v_mov_b32_e32 v18, 0x7f800001
	s_mov_b32 s16, exec_lo
	s_delay_alu instid0(VALU_DEP_2)
	v_cmpx_ne_u32_e32 0x7f, v61
	s_cbranch_execz .LBB353_2114
; %bb.2111:                             ;   in Loop: Header=BB353_1069 Depth=1
	v_and_b32_e32 v26, 7, v60
	s_mov_b32 s17, exec_lo
	s_delay_alu instid0(VALU_DEP_1)
	v_mov_b64_e32 v[18:19], v[26:27]
	v_lshrrev_b32_e32 v19, 3, v61
	v_cmpx_gt_u32_e32 8, v61
; %bb.2112:                             ;   in Loop: Header=BB353_1069 Depth=1
	v_clz_i32_u32_e32 v18, v26
	s_delay_alu instid0(VALU_DEP_1) | instskip(NEXT) | instid1(VALU_DEP_1)
	v_min_u32_e32 v100, 32, v18
	v_subrev_nc_u32_e32 v18, 28, v100
	s_delay_alu instid0(VALU_DEP_1) | instskip(NEXT) | instid1(VALU_DEP_1)
	v_lshlrev_b64_e32 v[18:19], v18, v[26:27]
	v_dual_sub_nc_u32 v19, 29, v100 :: v_dual_bitop2_b32 v18, 7, v18 bitop3:0x40
; %bb.2113:                             ;   in Loop: Header=BB353_1069 Depth=1
	s_or_b32 exec_lo, exec_lo, s17
	s_delay_alu instid0(VALU_DEP_1) | instskip(NEXT) | instid1(VALU_DEP_2)
	v_dual_lshlrev_b32 v26, 24, v60 :: v_dual_lshlrev_b32 v18, 20, v18
	v_lshl_add_u32 v19, v19, 23, 0x3c000000
	s_delay_alu instid0(VALU_DEP_2) | instskip(NEXT) | instid1(VALU_DEP_1)
	v_and_b32_e32 v26, 0x80000000, v26
	v_or3_b32 v18, v18, v26, v19
.LBB353_2114:                           ;   in Loop: Header=BB353_1069 Depth=1
	s_or_b32 exec_lo, exec_lo, s16
.LBB353_2115:                           ;   in Loop: Header=BB353_1069 Depth=1
	s_delay_alu instid0(SALU_CYCLE_1)
	s_or_b32 exec_lo, exec_lo, s15
.LBB353_2116:                           ;   in Loop: Header=BB353_1069 Depth=1
	s_delay_alu instid0(SALU_CYCLE_1) | instskip(NEXT) | instid1(SALU_CYCLE_1)
	s_or_b32 exec_lo, exec_lo, s14
	s_mov_b32 s14, exec_lo
	v_cmpx_lt_u64_e64 s[2:3], v[0:1]
	s_cbranch_execz .LBB353_2124
; %bb.2117:                             ;   in Loop: Header=BB353_1069 Depth=1
	v_lshrrev_b32_e32 v19, 24, v1
	v_bfrev_b32_e32 v59, 1
	s_mov_b32 s15, exec_lo
	s_delay_alu instid0(VALU_DEP_2)
	v_cmpx_ne_u32_e32 0x80, v19
	s_cbranch_execz .LBB353_2123
; %bb.2118:                             ;   in Loop: Header=BB353_1069 Depth=1
	v_bfe_u32 v60, v1, 24, 7
	v_mov_b32_e32 v59, 0x7f800001
	s_mov_b32 s16, exec_lo
	s_delay_alu instid0(VALU_DEP_2)
	v_cmpx_ne_u32_e32 0x7f, v60
	s_cbranch_execz .LBB353_2122
; %bb.2119:                             ;   in Loop: Header=BB353_1069 Depth=1
	v_and_b32_e32 v26, 7, v19
	s_mov_b32 s17, exec_lo
	s_delay_alu instid0(VALU_DEP_1)
	v_mov_b64_e32 v[0:1], v[26:27]
	v_lshrrev_b32_e32 v1, 3, v60
	v_cmpx_gt_u32_e32 8, v60
; %bb.2120:                             ;   in Loop: Header=BB353_1069 Depth=1
	v_clz_i32_u32_e32 v0, v26
	s_delay_alu instid0(VALU_DEP_1) | instskip(NEXT) | instid1(VALU_DEP_1)
	v_min_u32_e32 v100, 32, v0
	v_subrev_nc_u32_e32 v0, 28, v100
	s_delay_alu instid0(VALU_DEP_1) | instskip(SKIP_1) | instid1(VALU_DEP_2)
	v_lshlrev_b64_e32 v[0:1], v0, v[26:27]
	v_sub_nc_u32_e32 v1, 29, v100
	v_and_b32_e32 v0, 7, v0
; %bb.2121:                             ;   in Loop: Header=BB353_1069 Depth=1
	s_or_b32 exec_lo, exec_lo, s17
	s_delay_alu instid0(VALU_DEP_1) | instskip(NEXT) | instid1(VALU_DEP_3)
	v_dual_lshlrev_b32 v19, 24, v19 :: v_dual_lshlrev_b32 v0, 20, v0
	v_lshl_add_u32 v1, v1, 23, 0x3c000000
	s_delay_alu instid0(VALU_DEP_2) | instskip(NEXT) | instid1(VALU_DEP_1)
	v_and_b32_e32 v19, 0x80000000, v19
	v_or3_b32 v59, v0, v19, v1
.LBB353_2122:                           ;   in Loop: Header=BB353_1069 Depth=1
	s_or_b32 exec_lo, exec_lo, s16
.LBB353_2123:                           ;   in Loop: Header=BB353_1069 Depth=1
	s_delay_alu instid0(SALU_CYCLE_1)
	s_or_b32 exec_lo, exec_lo, s15
.LBB353_2124:                           ;   in Loop: Header=BB353_1069 Depth=1
	s_delay_alu instid0(SALU_CYCLE_1)
	s_or_b32 exec_lo, exec_lo, s14
	v_fma_mixlo_bf16 v1, v86, v58, 0
	v_fma_mixlo_bf16 v19, v86, v24, 0
	;; [unrolled: 1-line block ×8, first 2 shown]
	s_and_saveexec_b32 s0, vcc_lo
	s_cbranch_execz .LBB353_1067
; %bb.2125:                             ;   in Loop: Header=BB353_1069 Depth=1
	scratch_load_b32 v24, off, s32 offset:192 ; 4-byte Folded Reload
	s_wait_loadcnt 0x0
	v_cmp_lt_i32_e32 vcc_lo, v115, v24
	v_cndmask_b32_e32 v87, 0, v87, vcc_lo
	v_cmp_lt_i32_e32 vcc_lo, v119, v24
	v_cndmask_b32_e32 v26, 0, v26, vcc_lo
	;; [unrolled: 2-line block ×8, first 2 shown]
	s_branch .LBB353_1067
.LBB353_2126:
	s_or_b32 exec_lo, exec_lo, s8
	s_clause 0x2
	scratch_load_b32 v36, off, s32 offset:544
	scratch_load_b32 v27, off, s32 offset:552
	;; [unrolled: 1-line block ×3, first 2 shown]
.LBB353_2127:
	s_wait_xcnt 0x0
	s_or_b32 exec_lo, exec_lo, s1
	s_wait_loadcnt 0x1
	ds_bpermute_b32 v0, v27, v34
	ds_bpermute_b32 v1, v27, v35
	;; [unrolled: 1-line block ×10, first 2 shown]
	s_wait_storecnt 0x0
	s_wait_loadcnt_dscnt 0x0
	s_barrier_signal -1
	s_barrier_wait -1
	ds_bpermute_b32 v2, v27, v30
	ds_bpermute_b32 v3, v27, v31
	;; [unrolled: 1-line block ×6, first 2 shown]
	s_load_b32 s0, s[6:7], 0x0
	v_pk_add_f32 v[0:1], v[34:35], v[0:1]
	s_mov_b32 s1, exec_lo
	v_pk_add_f32 v[6:7], v[28:29], v[6:7]
	v_pk_add_f32 v[18:19], v[14:15], v[18:19]
	;; [unrolled: 1-line block ×3, first 2 shown]
	ds_bpermute_b32 v8, v36, v0
	ds_bpermute_b32 v9, v36, v1
	;; [unrolled: 1-line block ×6, first 2 shown]
	v_pk_add_f32 v[14:15], v[12:13], v[22:23]
	s_wait_dscnt 0xa
	v_pk_add_f32 v[2:3], v[30:31], v[2:3]
	s_wait_dscnt 0x8
	v_pk_add_f32 v[4:5], v[32:33], v[4:5]
	ds_bpermute_b32 v32, v36, v20
	s_wait_dscnt 0x7
	v_pk_add_f32 v[30:31], v[16:17], v[10:11]
	ds_bpermute_b32 v24, v36, v2
	ds_bpermute_b32 v25, v36, v3
	ds_bpermute_b32 v26, v36, v4
	ds_bpermute_b32 v27, v36, v5
	ds_bpermute_b32 v33, v36, v21
	ds_bpermute_b32 v22, v36, v30
	ds_bpermute_b32 v23, v36, v31
	ds_bpermute_b32 v16, v36, v14
	ds_bpermute_b32 v17, v36, v15
	s_wait_dscnt 0xe
	v_pk_add_f32 v[12:13], v[0:1], v[8:9]
	s_wait_dscnt 0xc
	v_pk_add_f32 v[6:7], v[6:7], v[28:29]
	scratch_load_b32 v28, off, s32 offset:952 ; 4-byte Folded Reload
	s_wait_dscnt 0xa
	v_pk_add_f32 v[0:1], v[18:19], v[34:35]
	scratch_load_b32 v18, off, s32 offset:524 ; 4-byte Folded Reload
	s_wait_dscnt 0x7
	v_pk_add_f32 v[10:11], v[2:3], v[24:25]
	s_wait_dscnt 0x5
	v_pk_add_f32 v[8:9], v[4:5], v[26:27]
	;; [unrolled: 2-line block ×4, first 2 shown]
	s_wait_loadcnt 0x1
	v_and_b32_e32 v24, 0x3c3, v28
	s_wait_loadcnt 0x0
	v_and_b32_e32 v18, 28, v18
	s_delay_alu instid0(VALU_DEP_2) | instskip(SKIP_1) | instid1(SALU_CYCLE_1)
	v_cmpx_ne_u32_e32 64, v24
	s_xor_b32 s1, exec_lo, s1
	s_or_saveexec_b32 s1, s1
	s_wait_dscnt 0x0
	v_pk_add_f32 v[14:15], v[14:15], v[16:17]
	scratch_load_b32 v16, off, s32 offset:524 th:TH_LOAD_LU ; 4-byte Folded Reload
	s_wait_kmcnt 0x0
	v_add_nc_u32_e32 v17, s0, v18
	scratch_load_b32 v18, off, s32 offset:948 th:TH_LOAD_LU ; 4-byte Folded Reload
	s_wait_loadcnt 0x0
	v_dual_lshrrev_b32 v16, 2, v16 :: v_dual_lshlrev_b32 v18, 9, v18
	s_xor_b32 exec_lo, exec_lo, s1
	s_cbranch_execz .LBB353_2129
; %bb.2128:
	s_delay_alu instid0(VALU_DEP_1) | instskip(NEXT) | instid1(VALU_DEP_1)
	v_add_nc_u32_e32 v19, v17, v18
	v_add_nc_u32_e32 v20, 0xfffffc00, v19
	v_add_nc_u32_e32 v21, 0xfffffc20, v19
	v_add_nc_u32_e32 v22, 0xfffffc40, v19
	v_add_nc_u32_e32 v23, 0xfffffc60, v19
	v_add_nc_u32_e32 v24, 0xfffffc80, v19
	v_add_nc_u32_e32 v25, 0xfffffca0, v19
	v_add_nc_u32_e32 v26, 0xfffffcc0, v19
	v_add_nc_u32_e32 v27, 0xfffffce0, v19
	ds_store_b32 v20, v12
	ds_store_b32 v21, v13
	;; [unrolled: 1-line block ×8, first 2 shown]
	v_add_nc_u32_e32 v20, 0xfffffd00, v19
	v_add_nc_u32_e32 v21, 0xfffffd20, v19
	;; [unrolled: 1-line block ×8, first 2 shown]
	ds_store_b32 v20, v4
	ds_store_b32 v21, v5
	;; [unrolled: 1-line block ×8, first 2 shown]
.LBB353_2129:
	s_or_b32 exec_lo, exec_lo, s1
	s_delay_alu instid0(VALU_DEP_1)
	v_lshlrev_b32_e32 v16, 2, v16
	s_mov_b32 s1, exec_lo
	v_cmp_eq_u32_e32 vcc_lo, 0, v37
	s_wait_dscnt 0x0
	s_barrier_signal -1
	v_add3_u32 v16, s0, v18, v16
	s_barrier_wait -1
	v_cmpx_gt_u32_e32 64, v28
	s_cbranch_execz .LBB353_2148
; %bb.2130:
	s_and_saveexec_b32 s0, vcc_lo
	s_cbranch_execnz .LBB353_2172
; %bb.2131:
	s_or_b32 exec_lo, exec_lo, s0
	s_and_saveexec_b32 s0, vcc_lo
	s_cbranch_execnz .LBB353_2173
.LBB353_2132:
	s_or_b32 exec_lo, exec_lo, s0
	s_and_saveexec_b32 s0, vcc_lo
	s_cbranch_execnz .LBB353_2174
.LBB353_2133:
	s_or_b32 exec_lo, exec_lo, s0
	s_and_saveexec_b32 s0, vcc_lo
	s_cbranch_execnz .LBB353_2175
.LBB353_2134:
	s_or_b32 exec_lo, exec_lo, s0
	s_and_saveexec_b32 s0, vcc_lo
	s_cbranch_execnz .LBB353_2176
.LBB353_2135:
	s_or_b32 exec_lo, exec_lo, s0
	s_and_saveexec_b32 s0, vcc_lo
	s_cbranch_execnz .LBB353_2177
.LBB353_2136:
	s_or_b32 exec_lo, exec_lo, s0
	s_and_saveexec_b32 s0, vcc_lo
	s_cbranch_execnz .LBB353_2178
.LBB353_2137:
	s_or_b32 exec_lo, exec_lo, s0
	s_and_saveexec_b32 s0, vcc_lo
	s_cbranch_execnz .LBB353_2179
.LBB353_2138:
	s_or_b32 exec_lo, exec_lo, s0
	s_and_saveexec_b32 s0, vcc_lo
	s_cbranch_execnz .LBB353_2180
.LBB353_2139:
	s_or_b32 exec_lo, exec_lo, s0
	s_and_saveexec_b32 s0, vcc_lo
	s_cbranch_execnz .LBB353_2181
.LBB353_2140:
	s_or_b32 exec_lo, exec_lo, s0
	s_and_saveexec_b32 s0, vcc_lo
	s_cbranch_execnz .LBB353_2182
.LBB353_2141:
	s_or_b32 exec_lo, exec_lo, s0
	s_and_saveexec_b32 s0, vcc_lo
	s_cbranch_execnz .LBB353_2183
.LBB353_2142:
	s_or_b32 exec_lo, exec_lo, s0
	s_and_saveexec_b32 s0, vcc_lo
	s_cbranch_execnz .LBB353_2184
.LBB353_2143:
	s_or_b32 exec_lo, exec_lo, s0
	s_and_saveexec_b32 s0, vcc_lo
	s_cbranch_execnz .LBB353_2185
.LBB353_2144:
	s_or_b32 exec_lo, exec_lo, s0
	s_and_saveexec_b32 s0, vcc_lo
	s_cbranch_execnz .LBB353_2186
.LBB353_2145:
	s_or_b32 exec_lo, exec_lo, s0
	s_and_saveexec_b32 s0, vcc_lo
	s_cbranch_execz .LBB353_2147
.LBB353_2146:
	ds_load_b32 v18, v16 offset:480
	s_wait_dscnt 0x0
	v_add_f32_e32 v15, v18, v15
.LBB353_2147:
	s_or_b32 exec_lo, exec_lo, s0
.LBB353_2148:
	s_delay_alu instid0(SALU_CYCLE_1) | instskip(SKIP_4) | instid1(VALU_DEP_1)
	s_or_b32 exec_lo, exec_lo, s1
	v_and_b32_e32 v18, 0x3e3, v28
	s_mov_b32 s1, exec_lo
	s_barrier_signal -1
	s_barrier_wait -1
	v_cmpx_eq_u32_e32 32, v18
	s_cbranch_execz .LBB353_2150
; %bb.2149:
	ds_store_2addr_b32 v17, v12, v13 offset1:8
	ds_store_2addr_b32 v17, v10, v11 offset0:16 offset1:24
	ds_store_2addr_b32 v17, v8, v9 offset0:32 offset1:40
	;; [unrolled: 1-line block ×7, first 2 shown]
.LBB353_2150:
	s_or_b32 exec_lo, exec_lo, s1
	s_delay_alu instid0(SALU_CYCLE_1)
	s_mov_b32 s1, exec_lo
	s_wait_dscnt 0x0
	s_barrier_signal -1
	s_barrier_wait -1
	v_cmpx_gt_u32_e32 32, v28
	s_cbranch_execz .LBB353_2169
; %bb.2151:
	s_and_saveexec_b32 s0, vcc_lo
	s_cbranch_execnz .LBB353_2187
; %bb.2152:
	s_or_b32 exec_lo, exec_lo, s0
	s_and_saveexec_b32 s0, vcc_lo
	s_cbranch_execnz .LBB353_2188
.LBB353_2153:
	s_or_b32 exec_lo, exec_lo, s0
	s_and_saveexec_b32 s0, vcc_lo
	s_cbranch_execnz .LBB353_2189
.LBB353_2154:
	s_or_b32 exec_lo, exec_lo, s0
	s_and_saveexec_b32 s0, vcc_lo
	s_cbranch_execnz .LBB353_2190
.LBB353_2155:
	s_or_b32 exec_lo, exec_lo, s0
	s_and_saveexec_b32 s0, vcc_lo
	s_cbranch_execnz .LBB353_2191
.LBB353_2156:
	s_or_b32 exec_lo, exec_lo, s0
	s_and_saveexec_b32 s0, vcc_lo
	s_cbranch_execnz .LBB353_2192
.LBB353_2157:
	s_or_b32 exec_lo, exec_lo, s0
	s_and_saveexec_b32 s0, vcc_lo
	s_cbranch_execnz .LBB353_2193
.LBB353_2158:
	s_or_b32 exec_lo, exec_lo, s0
	s_and_saveexec_b32 s0, vcc_lo
	s_cbranch_execnz .LBB353_2194
.LBB353_2159:
	s_or_b32 exec_lo, exec_lo, s0
	s_and_saveexec_b32 s0, vcc_lo
	s_cbranch_execnz .LBB353_2195
.LBB353_2160:
	s_or_b32 exec_lo, exec_lo, s0
	s_and_saveexec_b32 s0, vcc_lo
	s_cbranch_execnz .LBB353_2196
.LBB353_2161:
	s_or_b32 exec_lo, exec_lo, s0
	s_and_saveexec_b32 s0, vcc_lo
	s_cbranch_execnz .LBB353_2197
.LBB353_2162:
	s_or_b32 exec_lo, exec_lo, s0
	s_and_saveexec_b32 s0, vcc_lo
	s_cbranch_execnz .LBB353_2198
.LBB353_2163:
	s_or_b32 exec_lo, exec_lo, s0
	s_and_saveexec_b32 s0, vcc_lo
	s_cbranch_execnz .LBB353_2199
.LBB353_2164:
	s_or_b32 exec_lo, exec_lo, s0
	s_and_saveexec_b32 s0, vcc_lo
	s_cbranch_execnz .LBB353_2200
.LBB353_2165:
	s_or_b32 exec_lo, exec_lo, s0
	s_and_saveexec_b32 s0, vcc_lo
	s_cbranch_execnz .LBB353_2201
.LBB353_2166:
	s_or_b32 exec_lo, exec_lo, s0
	s_and_saveexec_b32 s0, vcc_lo
	s_cbranch_execz .LBB353_2168
.LBB353_2167:
	ds_load_b32 v16, v16 offset:480
	s_wait_dscnt 0x0
	v_add_f32_e32 v15, v16, v15
.LBB353_2168:
	s_or_b32 exec_lo, exec_lo, s0
.LBB353_2169:
	s_delay_alu instid0(SALU_CYCLE_1)
	s_or_b32 exec_lo, exec_lo, s1
	s_mov_b32 s1, 0
	s_mov_b32 s2, exec_lo
	s_barrier_signal -1
	s_barrier_wait -1
	v_cmpx_eq_u32_e32 0, v18
	s_cbranch_execz .LBB353_2171
; %bb.2170:
	scratch_load_b64 v[16:17], off, s32 offset:988 th:TH_LOAD_LU ; 8-byte Folded Reload
	s_and_b32 s0, 0xffff, s13
	v_dual_mov_b32 v19, 0 :: v_dual_lshrrev_b32 v18, 1, v28
	s_cmp_lg_u32 s0, 0
	s_cselect_b32 s0, -1, 0
	s_delay_alu instid0(SALU_CYCLE_1)
	s_cmp_lg_u32 s0, 0
	s_add_co_ci_u32 s0, s5, 0
	s_bfe_u32 s8, ttmp6, 0x40014
	s_mul_i32 s5, s11, s0
	s_lshr_b32 s3, ttmp7, 16
	s_mul_i32 s5, s5, s12
	s_add_co_i32 s8, s8, 1
	s_lshl_b32 s6, s5, 7
	s_bfe_u32 s9, ttmp6, 0x40008
	s_ashr_i32 s7, s6, 31
	s_mul_i32 s4, s4, s0
	s_mul_i32 s0, s3, s8
	s_ashr_i32 s5, s4, 31
	s_add_co_i32 s9, s9, s0
	s_cmp_eq_u32 s10, 0
	s_cselect_b32 s0, s3, s9
	s_delay_alu instid0(SALU_CYCLE_1) | instskip(NEXT) | instid1(SALU_CYCLE_1)
	s_lshl_b32 s0, s0, 8
	v_cvt_pk_bf16_f32 v20, v12, s0
	v_cvt_pk_bf16_f32 v21, v13, s0
	;; [unrolled: 1-line block ×14, first 2 shown]
	s_wait_loadcnt 0x0
	v_lshl_add_u64 v[16:17], s[6:7], 1, v[16:17]
	s_delay_alu instid0(VALU_DEP_1) | instskip(NEXT) | instid1(VALU_DEP_1)
	v_lshl_add_u64 v[16:17], s[4:5], 1, v[16:17]
	v_add_nc_u64_e32 v[16:17], s[0:1], v[16:17]
	s_delay_alu instid0(VALU_DEP_1)
	v_add_nc_u64_e32 v[12:13], v[16:17], v[18:19]
	s_clause 0x7
	flat_store_b16 v[12:13], v20
	flat_store_b16 v[12:13], v21 offset:16
	flat_store_b16 v[12:13], v10 offset:32
	;; [unrolled: 1-line block ×7, first 2 shown]
	s_wait_xcnt 0x1
	v_cvt_pk_bf16_f32 v6, v14, s0
	s_wait_xcnt 0x0
	v_cvt_pk_bf16_f32 v7, v15, s0
	s_clause 0x7
	flat_store_b16 v[12:13], v4 offset:128
	flat_store_b16 v[12:13], v5 offset:144
	;; [unrolled: 1-line block ×8, first 2 shown]
.LBB353_2171:
	s_wait_xcnt 0x0
	s_or_b32 exec_lo, exec_lo, s2
	s_clause 0x2f
	scratch_load_b32 v127, off, s32
	scratch_load_b32 v126, off, s32 offset:4
	scratch_load_b32 v125, off, s32 offset:8
	;; [unrolled: 1-line block ×47, first 2 shown]
	s_wait_loadcnt_dscnt 0x0
	s_set_pc_i64 s[30:31]
.LBB353_2172:
	ds_load_b32 v18, v16
	s_wait_dscnt 0x0
	v_add_f32_e32 v12, v18, v12
	s_or_b32 exec_lo, exec_lo, s0
	s_and_saveexec_b32 s0, vcc_lo
	s_cbranch_execz .LBB353_2132
.LBB353_2173:
	ds_load_b32 v18, v16 offset:32
	s_wait_dscnt 0x0
	v_add_f32_e32 v13, v18, v13
	s_or_b32 exec_lo, exec_lo, s0
	s_and_saveexec_b32 s0, vcc_lo
	s_cbranch_execz .LBB353_2133
.LBB353_2174:
	ds_load_b32 v18, v16 offset:64
	s_wait_dscnt 0x0
	v_add_f32_e32 v10, v18, v10
	s_or_b32 exec_lo, exec_lo, s0
	s_and_saveexec_b32 s0, vcc_lo
	s_cbranch_execz .LBB353_2134
.LBB353_2175:
	ds_load_b32 v18, v16 offset:96
	s_wait_dscnt 0x0
	v_add_f32_e32 v11, v18, v11
	s_or_b32 exec_lo, exec_lo, s0
	s_and_saveexec_b32 s0, vcc_lo
	s_cbranch_execz .LBB353_2135
.LBB353_2176:
	ds_load_b32 v18, v16 offset:128
	s_wait_dscnt 0x0
	v_add_f32_e32 v8, v18, v8
	s_or_b32 exec_lo, exec_lo, s0
	s_and_saveexec_b32 s0, vcc_lo
	s_cbranch_execz .LBB353_2136
.LBB353_2177:
	ds_load_b32 v18, v16 offset:160
	s_wait_dscnt 0x0
	v_add_f32_e32 v9, v18, v9
	s_or_b32 exec_lo, exec_lo, s0
	s_and_saveexec_b32 s0, vcc_lo
	s_cbranch_execz .LBB353_2137
.LBB353_2178:
	ds_load_b32 v18, v16 offset:192
	s_wait_dscnt 0x0
	v_add_f32_e32 v6, v18, v6
	s_or_b32 exec_lo, exec_lo, s0
	s_and_saveexec_b32 s0, vcc_lo
	s_cbranch_execz .LBB353_2138
.LBB353_2179:
	ds_load_b32 v18, v16 offset:224
	s_wait_dscnt 0x0
	v_add_f32_e32 v7, v18, v7
	s_or_b32 exec_lo, exec_lo, s0
	s_and_saveexec_b32 s0, vcc_lo
	s_cbranch_execz .LBB353_2139
.LBB353_2180:
	ds_load_b32 v18, v16 offset:256
	s_wait_dscnt 0x0
	v_add_f32_e32 v4, v18, v4
	s_or_b32 exec_lo, exec_lo, s0
	s_and_saveexec_b32 s0, vcc_lo
	s_cbranch_execz .LBB353_2140
.LBB353_2181:
	ds_load_b32 v18, v16 offset:288
	s_wait_dscnt 0x0
	v_add_f32_e32 v5, v18, v5
	s_or_b32 exec_lo, exec_lo, s0
	s_and_saveexec_b32 s0, vcc_lo
	s_cbranch_execz .LBB353_2141
.LBB353_2182:
	ds_load_b32 v18, v16 offset:320
	s_wait_dscnt 0x0
	v_add_f32_e32 v2, v18, v2
	s_or_b32 exec_lo, exec_lo, s0
	s_and_saveexec_b32 s0, vcc_lo
	s_cbranch_execz .LBB353_2142
.LBB353_2183:
	ds_load_b32 v18, v16 offset:352
	s_wait_dscnt 0x0
	v_add_f32_e32 v3, v18, v3
	s_or_b32 exec_lo, exec_lo, s0
	s_and_saveexec_b32 s0, vcc_lo
	s_cbranch_execz .LBB353_2143
.LBB353_2184:
	ds_load_b32 v18, v16 offset:384
	s_wait_dscnt 0x0
	v_add_f32_e32 v0, v18, v0
	s_or_b32 exec_lo, exec_lo, s0
	s_and_saveexec_b32 s0, vcc_lo
	s_cbranch_execz .LBB353_2144
.LBB353_2185:
	ds_load_b32 v18, v16 offset:416
	s_wait_dscnt 0x0
	v_add_f32_e32 v1, v18, v1
	s_or_b32 exec_lo, exec_lo, s0
	s_and_saveexec_b32 s0, vcc_lo
	s_cbranch_execz .LBB353_2145
.LBB353_2186:
	ds_load_b32 v18, v16 offset:448
	s_wait_dscnt 0x0
	v_add_f32_e32 v14, v18, v14
	s_or_b32 exec_lo, exec_lo, s0
	s_and_saveexec_b32 s0, vcc_lo
	s_cbranch_execnz .LBB353_2146
	s_branch .LBB353_2147
.LBB353_2187:
	ds_load_b32 v17, v16
	s_wait_dscnt 0x0
	v_add_f32_e32 v12, v17, v12
	s_or_b32 exec_lo, exec_lo, s0
	s_and_saveexec_b32 s0, vcc_lo
	s_cbranch_execz .LBB353_2153
.LBB353_2188:
	ds_load_b32 v17, v16 offset:32
	s_wait_dscnt 0x0
	v_add_f32_e32 v13, v17, v13
	s_or_b32 exec_lo, exec_lo, s0
	s_and_saveexec_b32 s0, vcc_lo
	s_cbranch_execz .LBB353_2154
.LBB353_2189:
	ds_load_b32 v17, v16 offset:64
	s_wait_dscnt 0x0
	v_add_f32_e32 v10, v17, v10
	s_or_b32 exec_lo, exec_lo, s0
	s_and_saveexec_b32 s0, vcc_lo
	s_cbranch_execz .LBB353_2155
.LBB353_2190:
	ds_load_b32 v17, v16 offset:96
	s_wait_dscnt 0x0
	v_add_f32_e32 v11, v17, v11
	s_or_b32 exec_lo, exec_lo, s0
	s_and_saveexec_b32 s0, vcc_lo
	s_cbranch_execz .LBB353_2156
.LBB353_2191:
	ds_load_b32 v17, v16 offset:128
	s_wait_dscnt 0x0
	v_add_f32_e32 v8, v17, v8
	s_or_b32 exec_lo, exec_lo, s0
	s_and_saveexec_b32 s0, vcc_lo
	s_cbranch_execz .LBB353_2157
.LBB353_2192:
	ds_load_b32 v17, v16 offset:160
	s_wait_dscnt 0x0
	v_add_f32_e32 v9, v17, v9
	s_or_b32 exec_lo, exec_lo, s0
	s_and_saveexec_b32 s0, vcc_lo
	s_cbranch_execz .LBB353_2158
.LBB353_2193:
	ds_load_b32 v17, v16 offset:192
	s_wait_dscnt 0x0
	v_add_f32_e32 v6, v17, v6
	s_or_b32 exec_lo, exec_lo, s0
	s_and_saveexec_b32 s0, vcc_lo
	s_cbranch_execz .LBB353_2159
.LBB353_2194:
	ds_load_b32 v17, v16 offset:224
	s_wait_dscnt 0x0
	v_add_f32_e32 v7, v17, v7
	s_or_b32 exec_lo, exec_lo, s0
	s_and_saveexec_b32 s0, vcc_lo
	s_cbranch_execz .LBB353_2160
.LBB353_2195:
	ds_load_b32 v17, v16 offset:256
	s_wait_dscnt 0x0
	v_add_f32_e32 v4, v17, v4
	s_or_b32 exec_lo, exec_lo, s0
	s_and_saveexec_b32 s0, vcc_lo
	s_cbranch_execz .LBB353_2161
.LBB353_2196:
	ds_load_b32 v17, v16 offset:288
	s_wait_dscnt 0x0
	v_add_f32_e32 v5, v17, v5
	s_or_b32 exec_lo, exec_lo, s0
	s_and_saveexec_b32 s0, vcc_lo
	s_cbranch_execz .LBB353_2162
.LBB353_2197:
	ds_load_b32 v17, v16 offset:320
	s_wait_dscnt 0x0
	v_add_f32_e32 v2, v17, v2
	s_or_b32 exec_lo, exec_lo, s0
	s_and_saveexec_b32 s0, vcc_lo
	s_cbranch_execz .LBB353_2163
.LBB353_2198:
	ds_load_b32 v17, v16 offset:352
	s_wait_dscnt 0x0
	v_add_f32_e32 v3, v17, v3
	s_or_b32 exec_lo, exec_lo, s0
	s_and_saveexec_b32 s0, vcc_lo
	s_cbranch_execz .LBB353_2164
.LBB353_2199:
	ds_load_b32 v17, v16 offset:384
	s_wait_dscnt 0x0
	v_add_f32_e32 v0, v17, v0
	s_or_b32 exec_lo, exec_lo, s0
	s_and_saveexec_b32 s0, vcc_lo
	s_cbranch_execz .LBB353_2165
.LBB353_2200:
	ds_load_b32 v17, v16 offset:416
	s_wait_dscnt 0x0
	v_add_f32_e32 v1, v17, v1
	s_or_b32 exec_lo, exec_lo, s0
	s_and_saveexec_b32 s0, vcc_lo
	s_cbranch_execz .LBB353_2166
.LBB353_2201:
	ds_load_b32 v17, v16 offset:448
	s_wait_dscnt 0x0
	v_add_f32_e32 v14, v17, v14
	s_or_b32 exec_lo, exec_lo, s0
	s_and_saveexec_b32 s0, vcc_lo
	s_cbranch_execnz .LBB353_2167
	s_branch .LBB353_2168
.Lfunc_end353:
	.size	_ZN4vllm22paged_attention_kernelI14__hip_bfloat16hLi128ELi32ELi128ELNS_18Fp8KVCacheDataTypeE1ELb1ELi0EEEvPfS3_PT_PKS4_PKT0_SA_ifPKiSC_iPKfiiiSE_SE_iiiii, .Lfunc_end353-_ZN4vllm22paged_attention_kernelI14__hip_bfloat16hLi128ELi32ELi128ELNS_18Fp8KVCacheDataTypeE1ELb1ELi0EEEvPfS3_PT_PKS4_PKT0_SA_ifPKiSC_iPKfiiiSE_SE_iiiii
                                        ; -- End function
	.set .L_ZN4vllm22paged_attention_kernelI14__hip_bfloat16hLi128ELi32ELi128ELNS_18Fp8KVCacheDataTypeE1ELb1ELi0EEEvPfS3_PT_PKS4_PKT0_SA_ifPKiSC_iPKfiiiSE_SE_iiiii.num_vgpr, 128
	.set .L_ZN4vllm22paged_attention_kernelI14__hip_bfloat16hLi128ELi32ELi128ELNS_18Fp8KVCacheDataTypeE1ELb1ELi0EEEvPfS3_PT_PKS4_PKT0_SA_ifPKiSC_iPKfiiiSE_SE_iiiii.num_agpr, 0
	.set .L_ZN4vllm22paged_attention_kernelI14__hip_bfloat16hLi128ELi32ELi128ELNS_18Fp8KVCacheDataTypeE1ELb1ELi0EEEvPfS3_PT_PKS4_PKT0_SA_ifPKiSC_iPKfiiiSE_SE_iiiii.numbered_sgpr, 33
	.set .L_ZN4vllm22paged_attention_kernelI14__hip_bfloat16hLi128ELi32ELi128ELNS_18Fp8KVCacheDataTypeE1ELb1ELi0EEEvPfS3_PT_PKS4_PKT0_SA_ifPKiSC_iPKfiiiSE_SE_iiiii.num_named_barrier, 0
	.set .L_ZN4vllm22paged_attention_kernelI14__hip_bfloat16hLi128ELi32ELi128ELNS_18Fp8KVCacheDataTypeE1ELb1ELi0EEEvPfS3_PT_PKS4_PKT0_SA_ifPKiSC_iPKfiiiSE_SE_iiiii.private_seg_size, 1024
	.set .L_ZN4vllm22paged_attention_kernelI14__hip_bfloat16hLi128ELi32ELi128ELNS_18Fp8KVCacheDataTypeE1ELb1ELi0EEEvPfS3_PT_PKS4_PKT0_SA_ifPKiSC_iPKfiiiSE_SE_iiiii.uses_vcc, 1
	.set .L_ZN4vllm22paged_attention_kernelI14__hip_bfloat16hLi128ELi32ELi128ELNS_18Fp8KVCacheDataTypeE1ELb1ELi0EEEvPfS3_PT_PKS4_PKT0_SA_ifPKiSC_iPKfiiiSE_SE_iiiii.uses_flat_scratch, 1
	.set .L_ZN4vllm22paged_attention_kernelI14__hip_bfloat16hLi128ELi32ELi128ELNS_18Fp8KVCacheDataTypeE1ELb1ELi0EEEvPfS3_PT_PKS4_PKT0_SA_ifPKiSC_iPKfiiiSE_SE_iiiii.has_dyn_sized_stack, 0
	.set .L_ZN4vllm22paged_attention_kernelI14__hip_bfloat16hLi128ELi32ELi128ELNS_18Fp8KVCacheDataTypeE1ELb1ELi0EEEvPfS3_PT_PKS4_PKT0_SA_ifPKiSC_iPKfiiiSE_SE_iiiii.has_recursion, 0
	.set .L_ZN4vllm22paged_attention_kernelI14__hip_bfloat16hLi128ELi32ELi128ELNS_18Fp8KVCacheDataTypeE1ELb1ELi0EEEvPfS3_PT_PKS4_PKT0_SA_ifPKiSC_iPKfiiiSE_SE_iiiii.has_indirect_call, 0
	.section	.AMDGPU.csdata,"",@progbits
; Function info:
; codeLenInByte = 82704
; TotalNumSgprs: 35
; NumVgprs: 128
; ScratchSize: 1024
; MemoryBound: 0
	.section	.text._ZN4vllm25paged_attention_v1_kernelI14__hip_bfloat16hLi128ELi32ELi128ELNS_18Fp8KVCacheDataTypeE1ELb1EEEvPT_PKS3_PKT0_S9_ifPKiSB_iPKfiiiSD_SD_iiiii,"axG",@progbits,_ZN4vllm25paged_attention_v1_kernelI14__hip_bfloat16hLi128ELi32ELi128ELNS_18Fp8KVCacheDataTypeE1ELb1EEEvPT_PKS3_PKT0_S9_ifPKiSB_iPKfiiiSD_SD_iiiii,comdat
	.protected	_ZN4vllm25paged_attention_v1_kernelI14__hip_bfloat16hLi128ELi32ELi128ELNS_18Fp8KVCacheDataTypeE1ELb1EEEvPT_PKS3_PKT0_S9_ifPKiSB_iPKfiiiSD_SD_iiiii ; -- Begin function _ZN4vllm25paged_attention_v1_kernelI14__hip_bfloat16hLi128ELi32ELi128ELNS_18Fp8KVCacheDataTypeE1ELb1EEEvPT_PKS3_PKT0_S9_ifPKiSB_iPKfiiiSD_SD_iiiii
	.globl	_ZN4vllm25paged_attention_v1_kernelI14__hip_bfloat16hLi128ELi32ELi128ELNS_18Fp8KVCacheDataTypeE1ELb1EEEvPT_PKS3_PKT0_S9_ifPKiSB_iPKfiiiSD_SD_iiiii
	.p2align	8
	.type	_ZN4vllm25paged_attention_v1_kernelI14__hip_bfloat16hLi128ELi32ELi128ELNS_18Fp8KVCacheDataTypeE1ELb1EEEvPT_PKS3_PKT0_S9_ifPKiSB_iPKfiiiSD_SD_iiiii,@function
_ZN4vllm25paged_attention_v1_kernelI14__hip_bfloat16hLi128ELi32ELi128ELNS_18Fp8KVCacheDataTypeE1ELb1EEEvPT_PKS3_PKT0_S9_ifPKiSB_iPKfiiiSD_SD_iiiii: ; @_ZN4vllm25paged_attention_v1_kernelI14__hip_bfloat16hLi128ELi32ELi128ELNS_18Fp8KVCacheDataTypeE1ELb1EEEvPT_PKS3_PKT0_S9_ifPKiSB_iPKfiiiSD_SD_iiiii
; %bb.0:
	s_clause 0x6
	s_load_b256 s[12:19], s[0:1], 0x0
	s_load_b128 s[4:7], s[0:1], 0x20
	s_load_b96 s[28:30], s[0:1], 0x30
	s_load_b64 s[10:11], s[0:1], 0x40
	s_load_b96 s[36:38], s[0:1], 0x48
	s_load_b256 s[20:27], s[0:1], 0x58
	s_load_b32 s31, s[0:1], 0x78
	v_mov_b32_e32 v31, v0
	s_get_pc_i64 s[2:3]
	s_add_nc_u64 s[2:3], s[2:3], _ZN4vllm22paged_attention_kernelI14__hip_bfloat16hLi128ELi32ELi128ELNS_18Fp8KVCacheDataTypeE1ELb1ELi0EEEvPfS3_PT_PKS4_PKT0_SA_ifPKiSC_iPKfiiiSE_SE_iiiii@rel64+4
	s_add_nc_u64 s[8:9], s[0:1], 0x80
	s_mov_b32 s32, 0
	s_wait_kmcnt 0x0
	v_dual_mov_b32 v15, s10 :: v_dual_mov_b32 v16, s11
	v_dual_mov_b32 v0, s12 :: v_dual_mov_b32 v1, s13
	;; [unrolled: 1-line block ×14, first 2 shown]
	v_mov_b32_e32 v28, s31
	s_mov_b32 s15, 5
	s_swap_pc_i64 s[30:31], s[2:3]
	s_endpgm
	.section	.rodata,"a",@progbits
	.p2align	6, 0x0
	.amdhsa_kernel _ZN4vllm25paged_attention_v1_kernelI14__hip_bfloat16hLi128ELi32ELi128ELNS_18Fp8KVCacheDataTypeE1ELb1EEEvPT_PKS3_PKT0_S9_ifPKiSB_iPKfiiiSD_SD_iiiii
		.amdhsa_group_segment_fixed_size 288
		.amdhsa_private_segment_fixed_size 1024
		.amdhsa_kernarg_size 384
		.amdhsa_user_sgpr_count 2
		.amdhsa_user_sgpr_dispatch_ptr 0
		.amdhsa_user_sgpr_queue_ptr 0
		.amdhsa_user_sgpr_kernarg_segment_ptr 1
		.amdhsa_user_sgpr_dispatch_id 0
		.amdhsa_user_sgpr_kernarg_preload_length 0
		.amdhsa_user_sgpr_kernarg_preload_offset 0
		.amdhsa_user_sgpr_private_segment_size 0
		.amdhsa_wavefront_size32 1
		.amdhsa_uses_dynamic_stack 0
		.amdhsa_enable_private_segment 1
		.amdhsa_system_sgpr_workgroup_id_x 1
		.amdhsa_system_sgpr_workgroup_id_y 1
		.amdhsa_system_sgpr_workgroup_id_z 1
		.amdhsa_system_sgpr_workgroup_info 0
		.amdhsa_system_vgpr_workitem_id 0
		.amdhsa_next_free_vgpr 128
		.amdhsa_next_free_sgpr 39
		.amdhsa_named_barrier_count 0
		.amdhsa_reserve_vcc 1
		.amdhsa_float_round_mode_32 0
		.amdhsa_float_round_mode_16_64 0
		.amdhsa_float_denorm_mode_32 3
		.amdhsa_float_denorm_mode_16_64 3
		.amdhsa_fp16_overflow 0
		.amdhsa_memory_ordered 1
		.amdhsa_forward_progress 1
		.amdhsa_inst_pref_size 2
		.amdhsa_round_robin_scheduling 0
		.amdhsa_exception_fp_ieee_invalid_op 0
		.amdhsa_exception_fp_denorm_src 0
		.amdhsa_exception_fp_ieee_div_zero 0
		.amdhsa_exception_fp_ieee_overflow 0
		.amdhsa_exception_fp_ieee_underflow 0
		.amdhsa_exception_fp_ieee_inexact 0
		.amdhsa_exception_int_div_zero 0
	.end_amdhsa_kernel
	.section	.text._ZN4vllm25paged_attention_v1_kernelI14__hip_bfloat16hLi128ELi32ELi128ELNS_18Fp8KVCacheDataTypeE1ELb1EEEvPT_PKS3_PKT0_S9_ifPKiSB_iPKfiiiSD_SD_iiiii,"axG",@progbits,_ZN4vllm25paged_attention_v1_kernelI14__hip_bfloat16hLi128ELi32ELi128ELNS_18Fp8KVCacheDataTypeE1ELb1EEEvPT_PKS3_PKT0_S9_ifPKiSB_iPKfiiiSD_SD_iiiii,comdat
.Lfunc_end354:
	.size	_ZN4vllm25paged_attention_v1_kernelI14__hip_bfloat16hLi128ELi32ELi128ELNS_18Fp8KVCacheDataTypeE1ELb1EEEvPT_PKS3_PKT0_S9_ifPKiSB_iPKfiiiSD_SD_iiiii, .Lfunc_end354-_ZN4vllm25paged_attention_v1_kernelI14__hip_bfloat16hLi128ELi32ELi128ELNS_18Fp8KVCacheDataTypeE1ELb1EEEvPT_PKS3_PKT0_S9_ifPKiSB_iPKfiiiSD_SD_iiiii
                                        ; -- End function
	.set _ZN4vllm25paged_attention_v1_kernelI14__hip_bfloat16hLi128ELi32ELi128ELNS_18Fp8KVCacheDataTypeE1ELb1EEEvPT_PKS3_PKT0_S9_ifPKiSB_iPKfiiiSD_SD_iiiii.num_vgpr, max(32, .L_ZN4vllm22paged_attention_kernelI14__hip_bfloat16hLi128ELi32ELi128ELNS_18Fp8KVCacheDataTypeE1ELb1ELi0EEEvPfS3_PT_PKS4_PKT0_SA_ifPKiSC_iPKfiiiSE_SE_iiiii.num_vgpr)
	.set _ZN4vllm25paged_attention_v1_kernelI14__hip_bfloat16hLi128ELi32ELi128ELNS_18Fp8KVCacheDataTypeE1ELb1EEEvPT_PKS3_PKT0_S9_ifPKiSB_iPKfiiiSD_SD_iiiii.num_agpr, max(0, .L_ZN4vllm22paged_attention_kernelI14__hip_bfloat16hLi128ELi32ELi128ELNS_18Fp8KVCacheDataTypeE1ELb1ELi0EEEvPfS3_PT_PKS4_PKT0_SA_ifPKiSC_iPKfiiiSE_SE_iiiii.num_agpr)
	.set _ZN4vllm25paged_attention_v1_kernelI14__hip_bfloat16hLi128ELi32ELi128ELNS_18Fp8KVCacheDataTypeE1ELb1EEEvPT_PKS3_PKT0_S9_ifPKiSB_iPKfiiiSD_SD_iiiii.numbered_sgpr, max(39, .L_ZN4vllm22paged_attention_kernelI14__hip_bfloat16hLi128ELi32ELi128ELNS_18Fp8KVCacheDataTypeE1ELb1ELi0EEEvPfS3_PT_PKS4_PKT0_SA_ifPKiSC_iPKfiiiSE_SE_iiiii.numbered_sgpr)
	.set _ZN4vllm25paged_attention_v1_kernelI14__hip_bfloat16hLi128ELi32ELi128ELNS_18Fp8KVCacheDataTypeE1ELb1EEEvPT_PKS3_PKT0_S9_ifPKiSB_iPKfiiiSD_SD_iiiii.num_named_barrier, max(0, .L_ZN4vllm22paged_attention_kernelI14__hip_bfloat16hLi128ELi32ELi128ELNS_18Fp8KVCacheDataTypeE1ELb1ELi0EEEvPfS3_PT_PKS4_PKT0_SA_ifPKiSC_iPKfiiiSE_SE_iiiii.num_named_barrier)
	.set _ZN4vllm25paged_attention_v1_kernelI14__hip_bfloat16hLi128ELi32ELi128ELNS_18Fp8KVCacheDataTypeE1ELb1EEEvPT_PKS3_PKT0_S9_ifPKiSB_iPKfiiiSD_SD_iiiii.private_seg_size, 0+max(.L_ZN4vllm22paged_attention_kernelI14__hip_bfloat16hLi128ELi32ELi128ELNS_18Fp8KVCacheDataTypeE1ELb1ELi0EEEvPfS3_PT_PKS4_PKT0_SA_ifPKiSC_iPKfiiiSE_SE_iiiii.private_seg_size)
	.set _ZN4vllm25paged_attention_v1_kernelI14__hip_bfloat16hLi128ELi32ELi128ELNS_18Fp8KVCacheDataTypeE1ELb1EEEvPT_PKS3_PKT0_S9_ifPKiSB_iPKfiiiSD_SD_iiiii.uses_vcc, or(1, .L_ZN4vllm22paged_attention_kernelI14__hip_bfloat16hLi128ELi32ELi128ELNS_18Fp8KVCacheDataTypeE1ELb1ELi0EEEvPfS3_PT_PKS4_PKT0_SA_ifPKiSC_iPKfiiiSE_SE_iiiii.uses_vcc)
	.set _ZN4vllm25paged_attention_v1_kernelI14__hip_bfloat16hLi128ELi32ELi128ELNS_18Fp8KVCacheDataTypeE1ELb1EEEvPT_PKS3_PKT0_S9_ifPKiSB_iPKfiiiSD_SD_iiiii.uses_flat_scratch, or(0, .L_ZN4vllm22paged_attention_kernelI14__hip_bfloat16hLi128ELi32ELi128ELNS_18Fp8KVCacheDataTypeE1ELb1ELi0EEEvPfS3_PT_PKS4_PKT0_SA_ifPKiSC_iPKfiiiSE_SE_iiiii.uses_flat_scratch)
	.set _ZN4vllm25paged_attention_v1_kernelI14__hip_bfloat16hLi128ELi32ELi128ELNS_18Fp8KVCacheDataTypeE1ELb1EEEvPT_PKS3_PKT0_S9_ifPKiSB_iPKfiiiSD_SD_iiiii.has_dyn_sized_stack, or(0, .L_ZN4vllm22paged_attention_kernelI14__hip_bfloat16hLi128ELi32ELi128ELNS_18Fp8KVCacheDataTypeE1ELb1ELi0EEEvPfS3_PT_PKS4_PKT0_SA_ifPKiSC_iPKfiiiSE_SE_iiiii.has_dyn_sized_stack)
	.set _ZN4vllm25paged_attention_v1_kernelI14__hip_bfloat16hLi128ELi32ELi128ELNS_18Fp8KVCacheDataTypeE1ELb1EEEvPT_PKS3_PKT0_S9_ifPKiSB_iPKfiiiSD_SD_iiiii.has_recursion, or(0, .L_ZN4vllm22paged_attention_kernelI14__hip_bfloat16hLi128ELi32ELi128ELNS_18Fp8KVCacheDataTypeE1ELb1ELi0EEEvPfS3_PT_PKS4_PKT0_SA_ifPKiSC_iPKfiiiSE_SE_iiiii.has_recursion)
	.set _ZN4vllm25paged_attention_v1_kernelI14__hip_bfloat16hLi128ELi32ELi128ELNS_18Fp8KVCacheDataTypeE1ELb1EEEvPT_PKS3_PKT0_S9_ifPKiSB_iPKfiiiSD_SD_iiiii.has_indirect_call, or(0, .L_ZN4vllm22paged_attention_kernelI14__hip_bfloat16hLi128ELi32ELi128ELNS_18Fp8KVCacheDataTypeE1ELb1ELi0EEEvPfS3_PT_PKS4_PKT0_SA_ifPKiSC_iPKfiiiSE_SE_iiiii.has_indirect_call)
	.section	.AMDGPU.csdata,"",@progbits
; Kernel info:
; codeLenInByte = 224
; TotalNumSgprs: 41
; NumVgprs: 128
; ScratchSize: 1024
; MemoryBound: 0
; FloatMode: 240
; IeeeMode: 1
; LDSByteSize: 288 bytes/workgroup (compile time only)
; SGPRBlocks: 0
; VGPRBlocks: 7
; NumSGPRsForWavesPerEU: 41
; NumVGPRsForWavesPerEU: 128
; NamedBarCnt: 0
; Occupancy: 8
; WaveLimiterHint : 1
; COMPUTE_PGM_RSRC2:SCRATCH_EN: 1
; COMPUTE_PGM_RSRC2:USER_SGPR: 2
; COMPUTE_PGM_RSRC2:TRAP_HANDLER: 0
; COMPUTE_PGM_RSRC2:TGID_X_EN: 1
; COMPUTE_PGM_RSRC2:TGID_Y_EN: 1
; COMPUTE_PGM_RSRC2:TGID_Z_EN: 1
; COMPUTE_PGM_RSRC2:TIDIG_COMP_CNT: 0
	.text
	.p2align	2                               ; -- Begin function _ZN4vllm22paged_attention_kernelI14__hip_bfloat16hLi192ELi32ELi128ELNS_18Fp8KVCacheDataTypeE1ELb1ELi0EEEvPfS3_PT_PKS4_PKT0_SA_ifPKiSC_iPKfiiiSE_SE_iiiii
	.type	_ZN4vllm22paged_attention_kernelI14__hip_bfloat16hLi192ELi32ELi128ELNS_18Fp8KVCacheDataTypeE1ELb1ELi0EEEvPfS3_PT_PKS4_PKT0_SA_ifPKiSC_iPKfiiiSE_SE_iiiii,@function
_ZN4vllm22paged_attention_kernelI14__hip_bfloat16hLi192ELi32ELi128ELNS_18Fp8KVCacheDataTypeE1ELb1ELi0EEEvPfS3_PT_PKS4_PKT0_SA_ifPKiSC_iPKfiiiSE_SE_iiiii: ; @_ZN4vllm22paged_attention_kernelI14__hip_bfloat16hLi192ELi32ELi128ELNS_18Fp8KVCacheDataTypeE1ELb1ELi0EEEvPfS3_PT_PKS4_PKT0_SA_ifPKiSC_iPKfiiiSE_SE_iiiii
; %bb.0:
	s_wait_loadcnt_dscnt 0x0
	s_wait_kmcnt 0x0
	s_clause 0x2f
	scratch_store_b32 off, v40, s32 offset:188
	; meta instruction
	scratch_store_b32 off, v41, s32 offset:184
	; meta instruction
	;; [unrolled: 2-line block ×47, first 2 shown]
	scratch_store_b32 off, v127, s32
	s_bfe_u32 s0, ttmp6, 0x4000c
	s_bfe_u32 s3, ttmp6, 0x40010
	s_add_co_i32 s0, s0, 1
	s_and_b32 s1, ttmp6, 15
	s_mul_i32 s0, ttmp9, s0
	s_and_b32 s4, ttmp7, 0xffff
	s_add_co_i32 s3, s3, 1
	s_add_co_i32 s1, s1, s0
	s_mul_i32 s0, s4, s3
	s_bfe_u32 s3, ttmp6, 0x40004
	s_getreg_b32 s10, hwreg(HW_REG_IB_STS2, 6, 4)
	s_add_co_i32 s3, s3, s0
	s_cmp_eq_u32 s10, 0
	s_mov_b32 s7, 0
	s_cselect_b32 s11, s4, s3
	s_cselect_b32 s0, ttmp9, s1
	s_lshl_b32 s6, s11, 2
	v_dual_mov_b32 v35, v7 :: v_dual_mov_b32 v34, v6
	v_add_nc_u64_e32 v[6:7], s[6:7], v[12:13]
	s_clause 0x6
	scratch_store_b32 off, v26, s32 offset:1664
	scratch_store_b64 off, v[22:23], s32 offset:952
	scratch_store_b64 off, v[20:21], s32 offset:832
	;; [unrolled: 1-line block ×4, first 2 shown]
	scratch_store_b32 off, v9, s32 offset:840
	scratch_store_b64 off, v[0:1], s32 offset:1700
	s_wait_xcnt 0x0
	v_mov_b32_e32 v1, 0
	s_clause 0x1
	s_load_u16 s1, s[8:9], 0x12
	s_load_b32 s3, s[8:9], 0x0
	v_dual_mov_b32 v33, v16 :: v_dual_mov_b32 v32, v15
	flat_load_b32 v119, v[6:7]
	s_wait_xcnt 0x0
	v_sub_nc_u32_e32 v6, 0, v8
	global_load_u16 v0, v1, s[8:9] offset:22
	s_mov_b32 s2, s15
	v_max_i32_e32 v6, v8, v6
	s_delay_alu instid0(VALU_DEP_1) | instskip(NEXT) | instid1(VALU_DEP_1)
	v_cvt_f32_u32_e32 v7, v6
	v_rcp_iflag_f32_e32 v7, v7
	s_wait_kmcnt 0x0
	s_cmp_lg_u32 s1, 0
	s_cselect_b32 s1, -1, 0
	s_delay_alu instid0(SALU_CYCLE_1) | instskip(SKIP_1) | instid1(TRANS32_DEP_1)
	s_cmp_lg_u32 s1, 0
	v_nop
	v_mul_f32_e32 v7, 0x4f7ffffe, v7
	v_sub_nc_u32_e32 v9, 0, v6
	s_add_co_ci_u32 s12, s3, 0
	s_abs_i32 s6, s0
	s_abs_i32 s1, s12
	v_cvt_u32_f32_e32 v7, v7
	s_mov_b32 s3, exec_lo
	s_delay_alu instid0(VALU_DEP_1) | instskip(NEXT) | instid1(VALU_DEP_1)
	v_mul_lo_u32 v9, v9, v7
	v_mul_hi_u32 v9, v7, v9
	s_delay_alu instid0(VALU_DEP_1) | instskip(NEXT) | instid1(VALU_DEP_1)
	v_add_nc_u32_e32 v7, v7, v9
	v_mul_hi_u32 v7, s1, v7
	s_delay_alu instid0(VALU_DEP_1) | instskip(NEXT) | instid1(VALU_DEP_1)
	v_mul_lo_u32 v9, v7, v6
	v_dual_add_nc_u32 v10, 1, v7 :: v_dual_sub_nc_u32 v9, s1, v9
	s_delay_alu instid0(VALU_DEP_1) | instskip(SKIP_1) | instid1(VALU_DEP_3)
	v_sub_nc_u32_e32 v11, v9, v6
	v_cmp_ge_u32_e32 vcc_lo, v9, v6
	v_dual_cndmask_b32 v7, v7, v10, vcc_lo :: v_dual_bitop2_b32 v10, s12, v8 bitop3:0x14
	s_delay_alu instid0(VALU_DEP_3) | instskip(NEXT) | instid1(VALU_DEP_2)
	v_cndmask_b32_e32 v9, v9, v11, vcc_lo
	v_dual_add_nc_u32 v11, 1, v7 :: v_dual_ashrrev_i32 v10, 31, v10
	s_delay_alu instid0(VALU_DEP_2) | instskip(NEXT) | instid1(VALU_DEP_2)
	v_cmp_ge_u32_e32 vcc_lo, v9, v6
	v_cndmask_b32_e32 v6, v7, v11, vcc_lo
	s_delay_alu instid0(VALU_DEP_1) | instskip(NEXT) | instid1(VALU_DEP_1)
	v_xor_b32_e32 v6, v6, v10
	v_sub_nc_u32_e32 v7, v6, v10
	s_delay_alu instid0(VALU_DEP_1) | instskip(NEXT) | instid1(VALU_DEP_1)
	v_sub_nc_u32_e32 v6, 0, v7
	v_max_i32_e32 v6, v7, v6
	s_delay_alu instid0(VALU_DEP_1) | instskip(SKIP_1) | instid1(VALU_DEP_2)
	v_cvt_f32_u32_e32 v9, v6
	v_sub_nc_u32_e32 v10, 0, v6
	v_rcp_iflag_f32_e32 v9, v9
	v_nop
	s_delay_alu instid0(TRANS32_DEP_1) | instskip(NEXT) | instid1(VALU_DEP_1)
	v_mul_f32_e32 v9, 0x4f7ffffe, v9
	v_cvt_u32_f32_e32 v9, v9
	s_delay_alu instid0(VALU_DEP_1) | instskip(NEXT) | instid1(VALU_DEP_1)
	v_mul_lo_u32 v10, v10, v9
	v_mul_hi_u32 v10, v9, v10
	s_wait_loadcnt 0x0
	v_readfirstlane_b32 s13, v0
	s_delay_alu instid0(VALU_DEP_2)
	v_add_nc_u32_e32 v0, v9, v10
	v_mov_b32_e32 v9, v1
	scratch_store_b32 off, v9, s32 offset:816 ; 4-byte Folded Spill
	s_wait_xcnt 0x0
	v_cmpx_ne_u64_e32 0, v[32:33]
	s_cbranch_execz .LBB355_2
; %bb.1:
	s_ashr_i32 s1, s0, 31
	s_delay_alu instid0(SALU_CYCLE_1)
	v_lshl_add_u64 v[10:11], s[0:1], 2, v[32:33]
	flat_load_b32 v9, v[10:11]
	s_wait_loadcnt_dscnt 0x0
	scratch_store_b32 off, v9, s32 offset:816 ; 4-byte Folded Spill
.LBB355_2:
	s_wait_xcnt 0x0
	s_or_b32 exec_lo, exec_lo, s3
	v_mul_u64_e32 v[0:1], s[6:7], v[0:1]
	v_and_b32_e32 v9, 0x3ff, v31
	v_ashrrev_i32_e32 v0, 31, v7
	s_ashr_i32 s1, s0, 31
	s_mul_i32 s4, s0, 0xc0
	s_mov_b32 s3, exec_lo
	scratch_store_b32 off, v9, s32 offset:948 ; 4-byte Folded Spill
	s_wait_xcnt 0x0
	v_cmpx_gt_u32_e32 24, v9
	s_cbranch_execz .LBB355_4
; %bb.3:
	scratch_load_b32 v7, off, s32 offset:948 ; 4-byte Folded Reload
	v_mul_lo_u32 v10, v17, s11
	s_ashr_i32 s5, s4, 31
	s_delay_alu instid0(VALU_DEP_1) | instskip(SKIP_2) | instid1(VALU_DEP_2)
	v_dual_mov_b32 v17, 0 :: v_dual_ashrrev_i32 v11, 31, v10
	s_wait_loadcnt 0x0
	v_lshlrev_b32_e32 v16, 4, v7
	v_lshl_add_u64 v[2:3], v[10:11], 1, v[2:3]
	s_delay_alu instid0(VALU_DEP_1) | instskip(NEXT) | instid1(VALU_DEP_1)
	v_lshl_add_u64 v[2:3], s[4:5], 1, v[2:3]
	v_add_nc_u64_e32 v[2:3], v[2:3], v[16:17]
	flat_load_b128 v[10:13], v[2:3]
	s_wait_loadcnt_dscnt 0x0
	ds_store_b128 v16, v[10:13]
.LBB355_4:
	s_wait_xcnt 0x0
	s_or_b32 exec_lo, exec_lo, s3
	v_dual_sub_nc_u32 v2, 0, v27 :: v_dual_add_nc_u32 v9, 1, v1
	v_mul_lo_u32 v3, v1, v6
	v_xor_b32_e32 v11, s1, v0
	s_mov_b32 s1, exec_lo
	s_delay_alu instid0(VALU_DEP_3) | instskip(NEXT) | instid1(VALU_DEP_1)
	v_max_i32_e32 v7, v27, v2
	v_cvt_f32_u32_e32 v2, v7
	s_delay_alu instid0(VALU_DEP_4) | instskip(NEXT) | instid1(VALU_DEP_2)
	v_sub_nc_u32_e32 v3, s6, v3
	v_rcp_iflag_f32_e32 v2, v2
	s_delay_alu instid0(VALU_DEP_1) | instskip(NEXT) | instid1(TRANS32_DEP_1)
	v_cmp_ge_u32_e32 vcc_lo, v3, v6
	v_mul_f32_e32 v2, 0x4f7ffffe, v2
	scratch_store_b32 off, v7, s32 offset:420 ; 4-byte Folded Spill
	s_wait_xcnt 0x0
	v_dual_sub_nc_u32 v7, 0, v7 :: v_dual_cndmask_b32 v1, v1, v9, vcc_lo
	v_cvt_u32_f32_e32 v2, v2
	s_delay_alu instid0(VALU_DEP_2) | instskip(NEXT) | instid1(VALU_DEP_2)
	v_add_nc_u32_e32 v9, 1, v1
	v_mul_lo_u32 v10, v7, v2
	v_sub_nc_u32_e32 v7, v3, v6
	s_delay_alu instid0(VALU_DEP_1) | instskip(SKIP_2) | instid1(VALU_DEP_2)
	v_cndmask_b32_e32 v3, v3, v7, vcc_lo
	s_wait_dscnt 0x0
	v_add_nc_u32_e32 v7, -1, v119
	v_cmp_ge_u32_e32 vcc_lo, v3, v6
	v_mul_hi_u32 v10, v2, v10
	v_dual_cndmask_b32 v0, v1, v9 :: v_dual_mov_b32 v1, 0
	s_delay_alu instid0(VALU_DEP_4) | instskip(NEXT) | instid1(VALU_DEP_2)
	v_sub_nc_u32_e32 v3, 0, v7
	v_dual_mov_b32 v13, v1 :: v_dual_bitop2_b32 v6, v0, v11 bitop3:0x14
	s_delay_alu instid0(VALU_DEP_2) | instskip(NEXT) | instid1(VALU_DEP_2)
	v_dual_add_nc_u32 v12, v2, v10 :: v_dual_max_i32 v0, v7, v3
                                        ; implicit-def: $vgpr2
                                        ; kill: killed $vgpr2
	v_sub_nc_u32_e32 v6, v6, v11
	scratch_store_b64 off, v[12:13], s32 offset:424 ; 8-byte Folded Spill
	s_wait_storecnt 0x0
	s_barrier_signal -1
	s_barrier_wait -1
	s_wait_xcnt 0x0
	v_cmpx_gt_i32_e32 0, v28
	s_xor_b32 s1, exec_lo, s1
	s_cbranch_execz .LBB355_6
; %bb.5:
	v_mad_u32 v2, v24, v8, v6
                                        ; implicit-def: $vgpr24
	s_delay_alu instid0(VALU_DEP_1) | instskip(NEXT) | instid1(VALU_DEP_1)
	v_mul_lo_u32 v2, v2, v28
                                        ; implicit-def: $vgpr28
	v_sub_nc_u32_e32 v2, 1, v2
	scratch_store_b32 off, v2, s32 offset:436 ; 4-byte Folded Spill
.LBB355_6:
	s_wait_xcnt 0x0
	s_or_saveexec_b32 s1, s1
	scratch_load_b64 v[2:3], off, s32 offset:424 ; 8-byte Folded Reload
	s_wait_loadcnt 0x0
	v_mul_u64_e32 v[2:3], v[0:1], v[2:3]
	v_ashrrev_i32_e32 v1, 31, v7
	v_ashrrev_i32_e32 v2, 31, v27
	scratch_store_b32 off, v2, s32 offset:432 ; 4-byte Folded Spill
	s_wait_xcnt 0x0
	s_xor_b32 exec_lo, exec_lo, s1
	s_cbranch_execz .LBB355_8
; %bb.7:
	v_mad_u32 v2, s12, v24, s0
	s_delay_alu instid0(VALU_DEP_1)
	v_mad_u32 v2, v2, v28, 1
	scratch_store_b32 off, v2, s32 offset:436 ; 4-byte Folded Spill
.LBB355_8:
	s_wait_xcnt 0x0
	s_or_b32 exec_lo, exec_lo, s1
	s_clause 0x1
	scratch_load_b32 v9, off, s32 offset:420
	scratch_load_b32 v10, off, s32 offset:432
	v_mul_lo_u32 v12, v14, s11
	s_load_b32 s5, s[8:9], 0x8
	s_ashr_i32 s3, s2, 31
	s_get_pc_i64 s[6:7]
	s_add_nc_u64 s[6:7], s[6:7], llvm.amdgcn.dynlds.offset.table@rel64+4
	s_lshl_b64 s[2:3], s[2:3], 2
	s_delay_alu instid0(SALU_CYCLE_1) | instskip(SKIP_2) | instid1(VALU_DEP_1)
	s_add_nc_u64 s[6:7], s[6:7], s[2:3]
	s_wait_loadcnt 0x1
	v_mul_lo_u32 v2, v3, v9
	v_dual_sub_nc_u32 v0, v0, v2 :: v_dual_add_nc_u32 v2, 1, v3
	s_delay_alu instid0(VALU_DEP_1) | instskip(SKIP_1) | instid1(VALU_DEP_2)
	v_dual_add_nc_u32 v7, 31, v119 :: v_dual_sub_nc_u32 v8, v0, v9
	v_cmp_ge_u32_e32 vcc_lo, v0, v9
	v_dual_cndmask_b32 v2, v3, v2 :: v_dual_ashrrev_i32 v3, 31, v7
	s_wait_loadcnt 0x0
	s_delay_alu instid0(VALU_DEP_3) | instskip(SKIP_1) | instid1(VALU_DEP_3)
	v_dual_cndmask_b32 v0, v0, v8, vcc_lo :: v_dual_bitop2_b32 v1, v1, v10 bitop3:0x14
	v_mul_lo_u32 v10, v6, v19
	v_dual_add_nc_u32 v8, 1, v2 :: v_dual_lshrrev_b32 v3, 27, v3
	s_delay_alu instid0(VALU_DEP_3) | instskip(SKIP_1) | instid1(VALU_DEP_3)
	v_cmp_ge_u32_e32 vcc_lo, v0, v9
	v_ashrrev_i32_e32 v13, 31, v12
	v_cndmask_b32_e32 v0, v2, v8, vcc_lo
	scratch_load_b32 v2, off, s32 offset:948 ; 4-byte Folded Reload
	v_ashrrev_i32_e32 v11, 31, v10
	scratch_store_b64 off, v[12:13], s32 offset:1680 ; 8-byte Folded Spill
	v_xor_b32_e32 v0, v0, v1
	s_delay_alu instid0(VALU_DEP_1)
	v_sub_nc_u32_e32 v0, v0, v1
	scratch_load_b32 v1, off, s32 offset:1664 ; 4-byte Folded Reload
	s_wait_loadcnt 0x1
	v_dual_lshrrev_b32 v8, 5, v2 :: v_dual_bitop2_b32 v6, 31, v2 bitop3:0x40
	v_add_nc_u32_e32 v2, v7, v3
	s_wait_loadcnt 0x0
	s_delay_alu instid0(VALU_DEP_1) | instskip(SKIP_1) | instid1(VALU_DEP_2)
	v_dual_ashrrev_i32 v2, 5, v2 :: v_dual_sub_nc_u32 v1, 0, v1
	v_dual_mov_b32 v7, 0xff7fffff :: v_dual_sub_nc_u32 v0, v0, v25
	v_cmp_lt_i32_e64 s0, v8, v2
	s_clause 0x5
	scratch_store_b32 off, v1, s32 offset:1696
	scratch_store_b64 off, v[10:11], s32 offset:1688
	scratch_store_b32 off, v8, s32 offset:1660
	scratch_store_b32 off, v2, s32 offset:408
	;; [unrolled: 1-line block ×4, first 2 shown]
	s_wait_xcnt 0x1
	v_lshlrev_b32_e32 v0, 2, v6
	scratch_store_b32 off, v0, s32 offset:1668 ; 4-byte Folded Spill
	s_wait_xcnt 0x0
	s_and_saveexec_b32 s3, s0
	s_cbranch_execz .LBB355_1552
; %bb.9:
	v_mov_b32_e32 v25, 0
	scratch_store_b64 off, v[34:35], s32 offset:1708 ; 8-byte Folded Spill
	s_mov_b32 s15, 0
	s_mov_b64 s[8:9], 0xffffffffffffff
	ds_load_b128 v[0:3], v25
	ds_load_b128 v[6:9], v25 offset:16
	ds_load_b128 v[28:31], v25 offset:32
	;; [unrolled: 1-line block ×3, first 2 shown]
	s_wait_xcnt 0x0
	ds_load_b128 v[32:35], v25 offset:64
	s_wait_dscnt 0x4
	v_and_b32_e32 v11, 0xffff0000, v0
	v_dual_lshlrev_b32 v10, 16, v0 :: v_dual_lshlrev_b32 v0, 16, v2
	scratch_store_b64 off, v[10:11], s32 offset:848 ; 8-byte Folded Spill
	s_wait_xcnt 0x0
	v_and_b32_e32 v11, 0xffff0000, v1
	v_lshlrev_b32_e32 v10, 16, v1
	v_and_b32_e32 v1, 0xffff0000, v2
	scratch_store_b64 off, v[10:11], s32 offset:856 ; 8-byte Folded Spill
	s_wait_dscnt 0x1
	s_wait_xcnt 0x0
	v_and_b32_e32 v11, 0xffff0000, v15
	v_lshlrev_b32_e32 v10, 16, v15
	scratch_store_b64 off, v[0:1], s32 offset:864 ; 8-byte Folded Spill
	s_wait_xcnt 0x0
	v_and_b32_e32 v1, 0xffff0000, v3
	v_lshlrev_b32_e32 v0, 16, v3
	s_wait_dscnt 0x0
	v_and_b32_e32 v15, 0xffff0000, v35
	scratch_store_b64 off, v[10:11], s32 offset:1000 ; 8-byte Folded Spill
	s_wait_xcnt 0x0
	v_and_b32_e32 v11, 0xffff0000, v32
	v_lshlrev_b32_e32 v10, 16, v32
	scratch_store_b64 off, v[0:1], s32 offset:872 ; 8-byte Folded Spill
	s_wait_xcnt 0x0
	v_and_b32_e32 v1, 0xffff0000, v6
	v_dual_lshlrev_b32 v0, 16, v6 :: v_dual_lshlrev_b32 v6, 16, v31
	scratch_store_b64 off, v[10:11], s32 offset:1008 ; 8-byte Folded Spill
	s_wait_xcnt 0x0
	v_and_b32_e32 v11, 0xffff0000, v33
	v_lshlrev_b32_e32 v10, 16, v33
	scratch_store_b64 off, v[0:1], s32 offset:880 ; 8-byte Folded Spill
	s_wait_xcnt 0x0
	v_and_b32_e32 v1, 0xffff0000, v7
	v_lshlrev_b32_e32 v0, 16, v7
	v_and_b32_e32 v7, 0xffff0000, v31
	scratch_store_b64 off, v[10:11], s32 offset:1016 ; 8-byte Folded Spill
	s_wait_xcnt 0x0
	v_lshlrev_b32_e32 v10, 16, v34
	v_and_b32_e32 v11, 0xffff0000, v34
	s_clause 0x1
	scratch_store_b64 off, v[0:1], s32 offset:888
	scratch_store_b64 off, v[6:7], s32 offset:968
	s_wait_xcnt 0x1
	v_and_b32_e32 v1, 0xffff0000, v8
	v_lshlrev_b32_e32 v0, 16, v8
	s_wait_xcnt 0x0
	v_and_b32_e32 v7, 0xffff0000, v12
	v_lshlrev_b32_e32 v6, 16, v12
	scratch_store_b64 off, v[0:1], s32 offset:896 ; 8-byte Folded Spill
	s_wait_xcnt 0x0
	v_and_b32_e32 v1, 0xffff0000, v9
	v_lshlrev_b32_e32 v0, 16, v9
	scratch_store_b64 off, v[6:7], s32 offset:976 ; 8-byte Folded Spill
	;; [unrolled: 4-line block ×4, first 2 shown]
	s_wait_xcnt 0x0
	v_and_b32_e32 v7, 0xffff0000, v14
	v_dual_lshlrev_b32 v6, 16, v14 :: v_dual_lshlrev_b32 v14, 16, v35
	scratch_store_b64 off, v[0:1], s32 offset:912 ; 8-byte Folded Spill
	s_wait_xcnt 0x0
	v_and_b32_e32 v1, 0xffff0000, v29
	v_lshlrev_b32_e32 v0, 16, v29
	scratch_store_b64 off, v[6:7], s32 offset:992 ; 8-byte Folded Spill
	s_wait_xcnt 0x0
	ds_load_b128 v[6:9], v25 offset:96
	s_clause 0x1
	scratch_store_b64 off, v[14:15], s32 offset:1032
	scratch_store_b64 off, v[0:1], s32 offset:928
	s_wait_xcnt 0x0
	v_and_b32_e32 v1, 0xffff0000, v30
	v_lshlrev_b32_e32 v0, 16, v30
	scratch_store_b64 off, v[0:1], s32 offset:960 ; 8-byte Folded Spill
	s_wait_xcnt 0x0
	ds_load_b128 v[0:3], v25 offset:80
	s_wait_dscnt 0x0
	v_and_b32_e32 v15, 0xffff0000, v0
	v_lshlrev_b32_e32 v14, 16, v0
	scratch_store_b64 off, v[10:11], s32 offset:1024 ; 8-byte Folded Spill
	s_wait_xcnt 0x0
	ds_load_b128 v[10:13], v25 offset:112
	v_lshlrev_b32_e32 v0, 16, v2
	scratch_store_b64 off, v[14:15], s32 offset:1040 ; 8-byte Folded Spill
	s_wait_xcnt 0x0
	v_and_b32_e32 v15, 0xffff0000, v1
	v_lshlrev_b32_e32 v14, 16, v1
	v_and_b32_e32 v1, 0xffff0000, v2
	s_clause 0x1
	scratch_store_b64 off, v[14:15], s32 offset:1048
	scratch_store_b64 off, v[0:1], s32 offset:1056
	s_wait_xcnt 0x0
	v_and_b32_e32 v1, 0xffff0000, v3
	v_lshlrev_b32_e32 v0, 16, v3
	ds_load_b128 v[14:17], v25 offset:128
	scratch_store_b64 off, v[0:1], s32 offset:1064 ; 8-byte Folded Spill
	s_wait_xcnt 0x0
	v_and_b32_e32 v1, 0xffff0000, v6
	v_dual_lshlrev_b32 v0, 16, v6 :: v_dual_lshlrev_b32 v6, 16, v9
	scratch_store_b64 off, v[0:1], s32 offset:1072 ; 8-byte Folded Spill
	s_wait_xcnt 0x0
	v_and_b32_e32 v1, 0xffff0000, v7
	v_lshlrev_b32_e32 v0, 16, v7
	v_and_b32_e32 v7, 0xffff0000, v9
	s_clause 0x1
	scratch_store_b64 off, v[0:1], s32 offset:1080
	scratch_store_b64 off, v[6:7], s32 offset:1096
	s_wait_xcnt 0x1
	v_and_b32_e32 v1, 0xffff0000, v8
	v_lshlrev_b32_e32 v0, 16, v8
	s_wait_dscnt 0x1
	s_wait_xcnt 0x0
	v_and_b32_e32 v7, 0xffff0000, v10
	v_dual_lshlrev_b32 v6, 16, v10 :: v_dual_lshlrev_b32 v10, 16, v13
	scratch_store_b64 off, v[0:1], s32 offset:1088 ; 8-byte Folded Spill
	s_wait_xcnt 0x0
	ds_load_b128 v[0:3], v25 offset:144
	scratch_store_b64 off, v[6:7], s32 offset:1104 ; 8-byte Folded Spill
	s_wait_xcnt 0x0
	v_and_b32_e32 v7, 0xffff0000, v11
	v_lshlrev_b32_e32 v6, 16, v11
	v_and_b32_e32 v11, 0xffff0000, v13
	s_clause 0x1
	scratch_store_b64 off, v[6:7], s32 offset:1112
	scratch_store_b64 off, v[10:11], s32 offset:1128
	s_wait_xcnt 0x1
	v_and_b32_e32 v7, 0xffff0000, v12
	v_lshlrev_b32_e32 v6, 16, v12
	s_wait_dscnt 0x1
	s_wait_xcnt 0x0
	v_and_b32_e32 v11, 0xffff0000, v14
	v_dual_lshlrev_b32 v10, 16, v14 :: v_dual_lshlrev_b32 v14, 16, v16
	scratch_store_b64 off, v[6:7], s32 offset:1120 ; 8-byte Folded Spill
	s_wait_xcnt 0x0
	ds_load_b128 v[6:9], v25 offset:160
	scratch_store_b64 off, v[10:11], s32 offset:1136 ; 8-byte Folded Spill
	s_wait_xcnt 0x0
	v_and_b32_e32 v11, 0xffff0000, v15
	v_lshlrev_b32_e32 v10, 16, v15
	v_and_b32_e32 v15, 0xffff0000, v16
	s_clause 0x1
	scratch_store_b64 off, v[10:11], s32 offset:1144
	scratch_store_b64 off, v[14:15], s32 offset:1152
	s_wait_xcnt 0x0
	v_and_b32_e32 v15, 0xffff0000, v17
	v_lshlrev_b32_e32 v14, 16, v17
	ds_load_b128 v[10:13], v25 offset:176
	scratch_store_b64 off, v[14:15], s32 offset:1160 ; 8-byte Folded Spill
	s_wait_dscnt 0x2
	s_wait_xcnt 0x0
	v_and_b32_e32 v15, 0xffff0000, v0
	v_dual_lshlrev_b32 v14, 16, v0 :: v_dual_lshlrev_b32 v0, 16, v2
	scratch_store_b64 off, v[14:15], s32 offset:1168 ; 8-byte Folded Spill
	s_wait_xcnt 0x0
	v_and_b32_e32 v15, 0xffff0000, v1
	v_lshlrev_b32_e32 v14, 16, v1
	v_and_b32_e32 v1, 0xffff0000, v2
	s_clause 0x1
	scratch_store_b64 off, v[14:15], s32 offset:1176
	scratch_store_b64 off, v[0:1], s32 offset:1184
	s_wait_xcnt 0x0
	v_and_b32_e32 v1, 0xffff0000, v3
	v_lshlrev_b32_e32 v0, 16, v3
	scratch_store_b64 off, v[0:1], s32 offset:1192 ; 8-byte Folded Spill
	s_wait_dscnt 0x1
	s_wait_xcnt 0x0
	v_and_b32_e32 v1, 0xffff0000, v6
	v_lshlrev_b32_e32 v0, 16, v6
	scratch_store_b64 off, v[0:1], s32 offset:1200 ; 8-byte Folded Spill
	s_wait_xcnt 0x0
	v_and_b32_e32 v1, 0xffff0000, v7
	v_lshlrev_b32_e32 v0, 16, v7
	scratch_store_b64 off, v[0:1], s32 offset:1208 ; 8-byte Folded Spill
	;; [unrolled: 4-line block ×4, first 2 shown]
	s_wait_xcnt 0x0
	ds_load_b128 v[0:3], v25 offset:192
	s_wait_dscnt 0x1
	v_and_b32_e32 v7, 0xffff0000, v10
	v_lshlrev_b32_e32 v6, 16, v10
	scratch_store_b64 off, v[6:7], s32 offset:1232 ; 8-byte Folded Spill
	s_wait_xcnt 0x0
	v_and_b32_e32 v7, 0xffff0000, v11
	v_lshlrev_b32_e32 v6, 16, v11
	s_wait_dscnt 0x0
	v_and_b32_e32 v11, 0xffff0000, v0
	v_dual_lshlrev_b32 v10, 16, v0 :: v_dual_lshlrev_b32 v0, 16, v2
	scratch_store_b64 off, v[6:7], s32 offset:1240 ; 8-byte Folded Spill
	s_wait_xcnt 0x0
	v_and_b32_e32 v7, 0xffff0000, v12
	v_lshlrev_b32_e32 v6, 16, v12
	scratch_store_b64 off, v[10:11], s32 offset:1264 ; 8-byte Folded Spill
	s_wait_xcnt 0x0
	v_and_b32_e32 v11, 0xffff0000, v1
	v_lshlrev_b32_e32 v10, 16, v1
	v_and_b32_e32 v1, 0xffff0000, v2
	scratch_store_b64 off, v[6:7], s32 offset:1248 ; 8-byte Folded Spill
	s_wait_xcnt 0x0
	v_and_b32_e32 v7, 0xffff0000, v13
	v_lshlrev_b32_e32 v6, 16, v13
	scratch_store_b64 off, v[0:1], s32 offset:1280 ; 8-byte Folded Spill
	s_wait_xcnt 0x0
	v_and_b32_e32 v1, 0xffff0000, v3
	v_lshlrev_b32_e32 v0, 16, v3
	scratch_store_b64 off, v[6:7], s32 offset:1256 ; 8-byte Folded Spill
	s_wait_xcnt 0x0
	ds_load_b128 v[6:9], v25 offset:208
	s_clause 0x1
	scratch_store_b64 off, v[10:11], s32 offset:1272
	scratch_store_b64 off, v[0:1], s32 offset:1288
	s_wait_dscnt 0x0
	s_wait_xcnt 0x0
	v_and_b32_e32 v1, 0xffff0000, v6
	v_lshlrev_b32_e32 v0, 16, v6
	scratch_store_b64 off, v[0:1], s32 offset:1296 ; 8-byte Folded Spill
	s_wait_xcnt 0x0
	v_and_b32_e32 v1, 0xffff0000, v7
	v_lshlrev_b32_e32 v0, 16, v7
	scratch_store_b64 off, v[0:1], s32 offset:1304 ; 8-byte Folded Spill
	s_wait_xcnt 0x0
	v_and_b32_e32 v1, 0xffff0000, v8
	v_lshlrev_b32_e32 v0, 16, v8
	scratch_store_b64 off, v[0:1], s32 offset:1312 ; 8-byte Folded Spill
	s_wait_xcnt 0x0
	v_and_b32_e32 v1, 0xffff0000, v9
	v_lshlrev_b32_e32 v0, 16, v9
	scratch_store_b64 off, v[0:1], s32 offset:1320 ; 8-byte Folded Spill
	s_wait_xcnt 0x0
	ds_load_b128 v[0:3], v25 offset:224
	ds_load_b128 v[12:15], v25 offset:240
	s_wait_dscnt 0x1
	v_and_b32_e32 v7, 0xffff0000, v0
	v_dual_lshlrev_b32 v6, 16, v0 :: v_dual_lshlrev_b32 v0, 16, v2
	scratch_store_b64 off, v[6:7], s32 offset:1328 ; 8-byte Folded Spill
	s_wait_xcnt 0x0
	v_and_b32_e32 v7, 0xffff0000, v1
	v_lshlrev_b32_e32 v6, 16, v1
	v_and_b32_e32 v1, 0xffff0000, v2
	s_clause 0x1
	scratch_store_b64 off, v[6:7], s32 offset:1336
	scratch_store_b64 off, v[0:1], s32 offset:1344
	s_wait_xcnt 0x0
	v_and_b32_e32 v1, 0xffff0000, v3
	v_lshlrev_b32_e32 v0, 16, v3
	scratch_store_b64 off, v[0:1], s32 offset:1352 ; 8-byte Folded Spill
	s_wait_dscnt 0x0
	s_wait_xcnt 0x0
	v_and_b32_e32 v1, 0xffff0000, v12
	v_lshlrev_b32_e32 v0, 16, v12
	scratch_store_b64 off, v[0:1], s32 offset:1360 ; 8-byte Folded Spill
	s_wait_xcnt 0x0
	v_and_b32_e32 v1, 0xffff0000, v13
	v_lshlrev_b32_e32 v0, 16, v13
	scratch_store_b64 off, v[0:1], s32 offset:1368 ; 8-byte Folded Spill
	s_wait_xcnt 0x0
	v_and_b32_e32 v1, 0xffff0000, v14
	v_lshlrev_b32_e32 v0, 16, v14
	scratch_store_b64 off, v[0:1], s32 offset:1376 ; 8-byte Folded Spill
	s_wait_xcnt 0x0
	v_and_b32_e32 v1, 0xffff0000, v15
	v_lshlrev_b32_e32 v0, 16, v15
	scratch_store_b64 off, v[0:1], s32 offset:1384 ; 8-byte Folded Spill
	s_wait_xcnt 0x0
	ds_load_b128 v[0:3], v25 offset:256
	ds_load_b128 v[6:9], v25 offset:272
	s_wait_dscnt 0x1
	v_and_b32_e32 v11, 0xffff0000, v0
	v_dual_lshlrev_b32 v10, 16, v0 :: v_dual_lshlrev_b32 v0, 16, v2
	scratch_store_b64 off, v[10:11], s32 offset:1392 ; 8-byte Folded Spill
	s_wait_xcnt 0x0
	v_and_b32_e32 v11, 0xffff0000, v1
	v_lshlrev_b32_e32 v10, 16, v1
	v_and_b32_e32 v1, 0xffff0000, v2
	s_clause 0x1
	scratch_store_b64 off, v[10:11], s32 offset:1400
	scratch_store_b64 off, v[0:1], s32 offset:1408
	s_wait_xcnt 0x0
	v_and_b32_e32 v1, 0xffff0000, v3
	v_lshlrev_b32_e32 v0, 16, v3
	scratch_store_b64 off, v[0:1], s32 offset:1416 ; 8-byte Folded Spill
	;; [unrolled: 35-line block ×4, first 2 shown]
	s_wait_dscnt 0x0
	s_wait_xcnt 0x0
	v_and_b32_e32 v1, 0xffff0000, v6
	v_lshlrev_b32_e32 v0, 16, v6
	scratch_store_b64 off, v[0:1], s32 offset:1552 ; 8-byte Folded Spill
	s_wait_xcnt 0x0
	v_and_b32_e32 v1, 0xffff0000, v7
	v_lshlrev_b32_e32 v0, 16, v7
	scratch_store_b64 off, v[0:1], s32 offset:1560 ; 8-byte Folded Spill
	;; [unrolled: 4-line block ×4, first 2 shown]
	s_wait_xcnt 0x0
	ds_load_b128 v[0:3], v25 offset:352
	ds_load_b128 v[6:9], v25 offset:368
	s_wait_dscnt 0x1
	v_and_b32_e32 v11, 0xffff0000, v0
	v_dual_lshlrev_b32 v10, 16, v0 :: v_dual_lshlrev_b32 v0, 16, v2
	scratch_store_b64 off, v[10:11], s32 offset:1584 ; 8-byte Folded Spill
	s_wait_xcnt 0x0
	v_and_b32_e32 v11, 0xffff0000, v1
	v_lshlrev_b32_e32 v10, 16, v1
	v_and_b32_e32 v1, 0xffff0000, v2
	s_clause 0x1
	scratch_store_b64 off, v[10:11], s32 offset:1592
	scratch_store_b64 off, v[0:1], s32 offset:1600
	s_wait_xcnt 0x0
	v_and_b32_e32 v1, 0xffff0000, v3
	v_dual_mov_b32 v3, v25 :: v_dual_lshlrev_b32 v0, 16, v3
	scratch_store_b64 off, v[0:1], s32 offset:1608 ; 8-byte Folded Spill
	s_wait_dscnt 0x0
	s_wait_xcnt 0x0
	v_and_b32_e32 v1, 0xffff0000, v6
	v_lshlrev_b32_e32 v0, 16, v6
	scratch_store_b64 off, v[0:1], s32 offset:1616 ; 8-byte Folded Spill
	s_wait_xcnt 0x0
	v_and_b32_e32 v1, 0xffff0000, v7
	v_dual_mov_b32 v7, 0xff7fffff :: v_dual_lshlrev_b32 v0, 16, v7
	scratch_store_b64 off, v[0:1], s32 offset:1624 ; 8-byte Folded Spill
	s_wait_xcnt 0x0
	v_and_b32_e32 v1, 0xffff0000, v8
	v_lshlrev_b32_e32 v0, 16, v8
	scratch_store_b64 off, v[0:1], s32 offset:1632 ; 8-byte Folded Spill
	s_wait_xcnt 0x0
	v_and_b32_e32 v1, 0xffff0000, v9
	v_lshlrev_b32_e32 v0, 16, v9
	s_clause 0x1
	scratch_store_b64 off, v[0:1], s32 offset:1640
	scratch_load_b64 v[0:1], off, s32 offset:1688
	s_wait_loadcnt 0x0
	v_add_nc_u64_e32 v[0:1], v[4:5], v[0:1]
	scratch_load_b32 v4, off, s32 offset:944 ; 4-byte Folded Reload
	s_wait_loadcnt 0x0
	v_lshlrev_b32_e32 v2, 4, v4
	s_delay_alu instid0(VALU_DEP_1)
	v_add_nc_u64_e32 v[0:1], v[0:1], v[2:3]
	s_clause 0x2
	scratch_store_b64 off, v[0:1], s32 offset:1648
	scratch_load_b32 v0, off, s32 offset:1664
	scratch_load_b32 v1, off, s32 offset:1696
	s_load_b32 s14, s[6:7], 0x0
	s_wait_loadcnt 0x0
	v_max_i32_e32 v1, v0, v1
	s_delay_alu instid0(VALU_DEP_1) | instskip(NEXT) | instid1(VALU_DEP_1)
	v_cvt_f32_u32_e32 v0, v1
	v_rcp_iflag_f32_e32 v0, v0
	v_nop
	s_delay_alu instid0(TRANS32_DEP_1) | instskip(NEXT) | instid1(VALU_DEP_1)
	v_mul_f32_e32 v0, 0x4f7ffffe, v0
	v_cvt_u32_f32_e32 v2, v0
	v_sub_nc_u32_e32 v0, 0, v1
	s_delay_alu instid0(VALU_DEP_1) | instskip(NEXT) | instid1(VALU_DEP_1)
	v_mul_lo_u32 v0, v0, v2
	v_mul_hi_u32 v3, v2, v0
	scratch_load_b32 v0, off, s32 offset:948 ; 4-byte Folded Reload
	v_dual_mov_b32 v3, v25 :: v_dual_add_nc_u32 v2, v2, v3
	scratch_store_b32 off, v1, s32 offset:536 ; 4-byte Folded Spill
	s_wait_xcnt 0x0
	v_mov_b32_e32 v1, v25
	s_clause 0x2
	scratch_store_b64 off, v[2:3], s32 offset:540
	scratch_load_b64 v[2:3], off, s32 offset:1680
	scratch_load_b32 v5, off, s32 offset:816
	s_wait_loadcnt 0x2
	v_lshrrev_b32_e32 v0, 3, v0
	s_delay_alu instid0(VALU_DEP_1) | instskip(SKIP_1) | instid1(VALU_DEP_1)
	v_and_b32_e32 v0, 0x7c, v0
	s_wait_loadcnt 0x1
	v_lshl_add_u64 v[0:1], v[2:3], 2, v[0:1]
	v_sub_nc_u32_e32 v2, v4, v119
	s_wait_loadcnt 0x0
	v_cmp_neq_f32_e32 vcc_lo, 0, v5
	s_delay_alu instid0(VALU_DEP_2)
	v_add_nc_u32_e32 v2, 1, v2
	s_clause 0x1
	scratch_store_b32 off, v2, s32 offset:1656
	scratch_load_b64 v[2:3], off, s32 offset:1672
	s_wait_loadcnt 0x0
	v_add_nc_u64_e32 v[0:1], v[2:3], v[0:1]
	s_clause 0x2
	scratch_store_b64 off, v[0:1], s32 offset:412
	scratch_load_b32 v0, off, s32 offset:1660
	scratch_load_b32 v1, off, s32 offset:1668
	s_wait_loadcnt 0x1
	v_dual_mov_b32 v2, v0 :: v_dual_lshlrev_b32 v8, 5, v0
	s_wait_loadcnt 0x0
	v_lshl_or_b32 v5, v0, 7, v1
	s_branch .LBB355_15
.LBB355_10:                             ;   in Loop: Header=BB355_15 Depth=1
	s_or_b32 exec_lo, exec_lo, s19
	s_delay_alu instid0(VALU_DEP_1) | instskip(NEXT) | instid1(VALU_DEP_2)
	v_dual_lshlrev_b32 v13, 24, v43 :: v_dual_lshlrev_b32 v8, 20, v8
	v_lshl_add_u32 v9, v9, 23, 0x3c000000
	s_delay_alu instid0(VALU_DEP_2) | instskip(NEXT) | instid1(VALU_DEP_1)
	v_and_b32_e32 v13, 0x80000000, v13
	v_or3_b32 v13, v8, v13, v9
.LBB355_11:                             ;   in Loop: Header=BB355_15 Depth=1
	s_or_b32 exec_lo, exec_lo, s18
.LBB355_12:                             ;   in Loop: Header=BB355_15 Depth=1
	s_delay_alu instid0(SALU_CYCLE_1)
	s_or_b32 exec_lo, exec_lo, s17
.LBB355_13:                             ;   in Loop: Header=BB355_15 Depth=1
	s_delay_alu instid0(SALU_CYCLE_1)
	s_or_b32 exec_lo, exec_lo, s16
	v_pk_mul_f32 v[0:1], v[104:105], v[0:1] op_sel_hi:[0,1]
	v_pk_mul_f32 v[8:9], v[104:105], v[22:23] op_sel_hi:[0,1]
	;; [unrolled: 1-line block ×5, first 2 shown]
	scratch_store_b64 off, v[0:1], s32 offset:596 ; 8-byte Folded Spill
	s_wait_xcnt 0x0
	v_pk_mul_f32 v[0:1], v[104:105], v[26:27] op_sel_hi:[0,1]
	v_fma_mixlo_bf16 v43, v104, v77, 0
	v_pk_mul_f32 v[50:51], v[104:105], v[50:51] op_sel_hi:[0,1]
	v_pk_mul_f32 v[48:49], v[104:105], v[48:49] op_sel_hi:[0,1]
	;; [unrolled: 1-line block ×3, first 2 shown]
	scratch_store_b64 off, v[0:1], s32 offset:652 ; 8-byte Folded Spill
	s_wait_xcnt 0x0
	v_pk_mul_f32 v[0:1], v[104:105], v[2:3] op_sel_hi:[0,1]
	v_pk_mul_f32 v[12:13], v[104:105], v[12:13] op_sel_hi:[0,1]
	s_clause 0x1
	scratch_load_b64 v[26:27], off, s32 offset:208 th:TH_LOAD_LU
	scratch_store_b64 off, v[0:1], s32 offset:724
	s_wait_xcnt 0x0
	v_pk_mul_f32 v[0:1], v[104:105], v[6:7] op_sel_hi:[0,1]
	scratch_store_b64 off, v[0:1], s32 offset:572 ; 8-byte Folded Spill
	s_wait_xcnt 0x0
	v_pk_mul_f32 v[0:1], v[104:105], v[124:125] op_sel_hi:[0,1]
	v_pk_mul_f32 v[124:125], v[104:105], v[112:113] op_sel_hi:[0,1]
	;; [unrolled: 1-line block ×4, first 2 shown]
	scratch_store_b64 off, v[0:1], s32 offset:612 ; 8-byte Folded Spill
	s_wait_xcnt 0x0
	v_pk_mul_f32 v[0:1], v[104:105], v[120:121] op_sel_hi:[0,1]
	scratch_store_b64 off, v[0:1], s32 offset:676 ; 8-byte Folded Spill
	s_wait_xcnt 0x0
	v_pk_mul_f32 v[0:1], v[104:105], v[110:111] op_sel_hi:[0,1]
	;; [unrolled: 3-line block ×6, first 2 shown]
	v_fma_mixlo_bf16 v74, v104, v91, 0
	scratch_store_b64 off, v[0:1], s32 offset:768 ; 8-byte Folded Spill
	s_wait_xcnt 0x0
	v_pk_mul_f32 v[0:1], v[104:105], v[108:109] op_sel_hi:[0,1]
	v_fma_mixlo_bf16 v109, v104, v76, 0
	scratch_store_b64 off, v[0:1], s32 offset:604 ; 8-byte Folded Spill
	s_wait_xcnt 0x0
	v_pk_mul_f32 v[0:1], v[104:105], v[16:17] op_sel_hi:[0,1]
	scratch_store_b64 off, v[0:1], s32 offset:660 ; 8-byte Folded Spill
	s_wait_xcnt 0x0
	v_pk_mul_f32 v[0:1], v[104:105], v[4:5] op_sel_hi:[0,1]
	scratch_store_b64 off, v[0:1], s32 offset:732 ; 8-byte Folded Spill
	s_wait_xcnt 0x0
	v_pk_mul_f32 v[0:1], v[104:105], v[14:15] op_sel_hi:[0,1]
	scratch_store_b64 off, v[0:1], s32 offset:784 ; 8-byte Folded Spill
	s_wait_xcnt 0x0
	v_pk_mul_f32 v[0:1], v[104:105], v[92:93] op_sel_hi:[0,1]
	scratch_store_b64 off, v[0:1], s32 offset:620 ; 8-byte Folded Spill
	s_wait_xcnt 0x0
	v_pk_mul_f32 v[0:1], v[104:105], v[68:69] op_sel_hi:[0,1]
	scratch_store_b64 off, v[0:1], s32 offset:684 ; 8-byte Folded Spill
	s_wait_xcnt 0x0
	v_pk_mul_f32 v[0:1], v[104:105], v[72:73] op_sel_hi:[0,1]
	scratch_store_b64 off, v[0:1], s32 offset:756 ; 8-byte Folded Spill
	s_wait_xcnt 0x0
	v_pk_mul_f32 v[0:1], v[104:105], v[46:47] op_sel_hi:[0,1]
	v_fma_mixlo_bf16 v47, v104, v90, 0
	v_pk_mul_f32 v[90:91], v[104:105], v[62:63] op_sel_hi:[0,1]
	scratch_store_b64 off, v[0:1], s32 offset:800 ; 8-byte Folded Spill
	s_wait_xcnt 0x0
	v_pk_mul_f32 v[0:1], v[104:105], v[54:55] op_sel_hi:[0,1]
	v_cvt_pk_bf16_f32 v90, v90, v91
	scratch_store_b64 off, v[0:1], s32 offset:644 ; 8-byte Folded Spill
	s_wait_xcnt 0x0
	v_pk_mul_f32 v[0:1], v[104:105], v[94:95] op_sel_hi:[0,1]
	v_fma_mixlo_bf16 v94, v104, v61, 0
	v_fma_mixlo_bf16 v95, v104, v106, 0
	v_and_b32_e32 v91, 0xffff0000, v90
	v_lshlrev_b32_e32 v90, 16, v90
	scratch_store_b64 off, v[0:1], s32 offset:716 ; 8-byte Folded Spill
	s_wait_xcnt 0x0
	v_pk_mul_f32 v[0:1], v[104:105], v[40:41] op_sel_hi:[0,1]
	v_fma_mixlo_bf16 v41, v104, v122, 0
	scratch_store_b64 off, v[0:1], s32 offset:776 ; 8-byte Folded Spill
	s_wait_xcnt 0x0
	v_pk_mul_f32 v[0:1], v[104:105], v[38:39] op_sel_hi:[0,1]
	scratch_store_b64 off, v[0:1], s32 offset:808 ; 8-byte Folded Spill
	s_wait_xcnt 0x0
	v_pk_mul_f32 v[0:1], v[104:105], v[64:65] op_sel_hi:[0,1]
	;; [unrolled: 3-line block ×3, first 2 shown]
	v_fma_mixlo_bf16 v56, v104, v60, 0
	scratch_store_b64 off, v[0:1], s32 offset:740 ; 8-byte Folded Spill
	s_wait_xcnt 0x0
	v_pk_mul_f32 v[0:1], v[104:105], v[78:79] op_sel_hi:[0,1]
	v_pk_mul_f32 v[78:79], v[104:105], v[98:99] op_sel_hi:[0,1]
	;; [unrolled: 1-line block ×4, first 2 shown]
	scratch_store_b64 off, v[0:1], s32 offset:792 ; 8-byte Folded Spill
	s_wait_xcnt 0x0
	v_pk_mul_f32 v[0:1], v[104:105], v[44:45] op_sel_hi:[0,1]
	v_pk_mul_f32 v[44:45], v[104:105], v[34:35] op_sel_hi:[0,1]
	scratch_store_b64 off, v[0:1], s32 offset:692 ; 8-byte Folded Spill
	s_wait_xcnt 0x0
	v_fma_mixlo_bf16 v0, v104, v105, 0
	s_clause 0x1
	scratch_store_b32 off, v0, s32 offset:764
	scratch_load_b32 v0, off, s32 offset:524 th:TH_LOAD_LU
	s_wait_loadcnt 0x1
	v_pk_mul_f32 v[26:27], v[104:105], v[26:27] op_sel_hi:[0,1]
	s_wait_loadcnt 0x0
	v_fma_mixlo_bf16 v0, v104, v0, 0
	s_clause 0x1
	scratch_store_b32 off, v0, s32 offset:524
	scratch_load_b32 v0, off, s32 offset:520 th:TH_LOAD_LU
	s_wait_loadcnt 0x0
	v_fma_mixlo_bf16 v0, v104, v0, 0
	s_clause 0x1
	scratch_store_b32 off, v0, s32 offset:520
	scratch_load_b32 v0, off, s32 offset:516 th:TH_LOAD_LU
	;; [unrolled: 5-line block ×3, first 2 shown]
	s_wait_loadcnt 0x0
	v_fma_mixlo_bf16 v73, v104, v0, 0
	scratch_load_b32 v0, off, s32 offset:508 th:TH_LOAD_LU ; 4-byte Folded Reload
	s_wait_loadcnt 0x0
	v_fma_mixlo_bf16 v107, v104, v0, 0
	v_fma_mixlo_bf16 v0, v104, v123, 0
	;; [unrolled: 1-line block ×3, first 2 shown]
	scratch_store_b32 off, v0, s32 offset:508 ; 4-byte Folded Spill
	s_wait_xcnt 0x0
	v_fma_mixlo_bf16 v0, v104, v42, 0
	s_clause 0x1
	scratch_store_b32 off, v0, s32 offset:512
	scratch_load_b32 v0, off, s32 offset:500 th:TH_LOAD_LU
	s_wait_loadcnt 0x0
	v_fma_mixlo_bf16 v0, v104, v0, 0
	s_clause 0x1
	scratch_store_b32 off, v0, s32 offset:500
	scratch_load_b32 v0, off, s32 offset:496 th:TH_LOAD_LU
	s_wait_loadcnt 0x0
	v_fma_mixlo_bf16 v0, v104, v0, 0
	scratch_store_b64 off, v[8:9], s32 offset:580 ; 8-byte Folded Spill
	s_wait_xcnt 0x0
	v_pk_mul_f32 v[8:9], v[104:105], v[52:53] op_sel_hi:[0,1]
	v_pk_mul_f32 v[52:53], v[104:105], v[30:31] op_sel_hi:[0,1]
	s_clause 0x2
	scratch_store_b32 off, v0, s32 offset:496
	scratch_load_b32 v0, off, s32 offset:488 th:TH_LOAD_LU
	scratch_store_b64 off, v[8:9], s32 offset:628
	s_wait_xcnt 0x0
	v_pk_mul_f32 v[8:9], v[104:105], v[10:11] op_sel_hi:[0,1]
	scratch_store_b64 off, v[8:9], s32 offset:700 ; 8-byte Folded Spill
	s_wait_xcnt 0x0
	v_pk_mul_f32 v[8:9], v[104:105], v[18:19] op_sel_hi:[0,1]
	s_wait_loadcnt 0x0
	v_fma_mixlo_bf16 v110, v104, v0, 0
	scratch_load_b32 v0, off, s32 offset:480 th:TH_LOAD_LU ; 4-byte Folded Reload
	s_wait_loadcnt 0x0
	v_fma_mixlo_bf16 v108, v104, v0, 0
	scratch_load_b32 v0, off, s32 offset:476 th:TH_LOAD_LU ; 4-byte Folded Reload
	;; [unrolled: 3-line block ×4, first 2 shown]
	s_wait_loadcnt 0x0
	v_fma_mixlo_bf16 v0, v104, v0, 0
	s_clause 0x2
	scratch_store_b64 off, v[8:9], s32 offset:564
	scratch_store_b32 off, v0, s32 offset:472
	scratch_load_b32 v0, off, s32 offset:532 th:TH_LOAD_LU
	s_wait_loadcnt 0x0
	v_fma_mixlo_bf16 v0, v104, v0, 0
	scratch_store_b32 off, v0, s32 offset:476 ; 4-byte Folded Spill
	s_wait_xcnt 0x0
	v_pk_mul_f32 v[0:1], v[104:105], v[114:115] op_sel_hi:[0,1]
	v_pk_mul_f32 v[114:115], v[104:105], v[102:103] op_sel_hi:[0,1]
	;; [unrolled: 1-line block ×3, first 2 shown]
	scratch_store_b64 off, v[0:1], s32 offset:488 ; 8-byte Folded Spill
	s_wait_xcnt 0x0
	v_pk_mul_f32 v[0:1], v[104:105], v[116:117] op_sel_hi:[0,1]
	v_pk_mul_f32 v[116:117], v[104:105], v[32:33] op_sel_hi:[0,1]
	;; [unrolled: 1-line block ×3, first 2 shown]
	s_clause 0x1
	scratch_store_b64 off, v[0:1], s32 offset:480
	scratch_load_b64 v[0:1], off, s32 offset:392 th:TH_LOAD_LU
	s_wait_loadcnt 0x0
	v_pk_mul_f32 v[66:67], v[104:105], v[0:1] op_sel_hi:[0,1]
	scratch_load_b64 v[0:1], off, s32 offset:384 th:TH_LOAD_LU ; 8-byte Folded Reload
	s_wait_loadcnt 0x0
	v_pk_mul_f32 v[88:89], v[104:105], v[0:1] op_sel_hi:[0,1]
	scratch_load_b64 v[0:1], off, s32 offset:376 th:TH_LOAD_LU ; 8-byte Folded Reload
	;; [unrolled: 3-line block ×15, first 2 shown]
	v_cvt_pk_bf16_f32 v6, v6, v7
	s_delay_alu instid0(VALU_DEP_1)
	v_and_b32_e32 v7, 0xffff0000, v6
	v_lshlrev_b32_e32 v6, 16, v6
	s_wait_loadcnt 0x0
	v_pk_mul_f32 v[82:83], v[104:105], v[0:1] op_sel_hi:[0,1]
	scratch_load_b64 v[0:1], off, s32 offset:264 th:TH_LOAD_LU ; 8-byte Folded Reload
	s_wait_loadcnt 0x0
	v_pk_mul_f32 v[34:35], v[104:105], v[0:1] op_sel_hi:[0,1]
	scratch_load_b64 v[0:1], off, s32 offset:256 th:TH_LOAD_LU ; 8-byte Folded Reload
	;; [unrolled: 3-line block ×4, first 2 shown]
	v_cvt_pk_bf16_f32 v2, v2, v3
	s_delay_alu instid0(VALU_DEP_1)
	v_and_b32_e32 v3, 0xffff0000, v2
	s_wait_loadcnt 0x0
	v_pk_mul_f32 v[126:127], v[104:105], v[0:1] op_sel_hi:[0,1]
	scratch_load_b32 v0, off, s32 offset:464 th:TH_LOAD_LU ; 4-byte Folded Reload
	s_wait_loadcnt 0x0
	v_fma_mixlo_bf16 v72, v104, v0, 0
	scratch_load_b32 v0, off, s32 offset:460 th:TH_LOAD_LU ; 4-byte Folded Reload
	s_wait_loadcnt 0x0
	v_fma_mixlo_bf16 v111, v104, v0, 0
	;; [unrolled: 3-line block ×7, first 2 shown]
	scratch_load_b64 v[0:1], off, s32 offset:232 th:TH_LOAD_LU ; 8-byte Folded Reload
	s_wait_loadcnt 0x0
	v_pk_mul_f32 v[16:17], v[104:105], v[0:1] op_sel_hi:[0,1]
	scratch_load_b64 v[0:1], off, s32 offset:224 th:TH_LOAD_LU ; 8-byte Folded Reload
	s_wait_loadcnt 0x0
	v_pk_mul_f32 v[4:5], v[104:105], v[0:1] op_sel_hi:[0,1]
	scratch_load_b64 v[0:1], off, s32 offset:216 th:TH_LOAD_LU ; 8-byte Folded Reload
	v_cvt_pk_bf16_f32 v4, v4, v5
	v_lshlrev_b32_e32 v2, 16, v2
	s_wait_loadcnt 0x0
	v_pk_mul_f32 v[120:121], v[104:105], v[0:1] op_sel_hi:[0,1]
	scratch_load_b64 v[0:1], off, s32 offset:240 th:TH_LOAD_LU ; 8-byte Folded Reload
	v_cvt_pk_bf16_f32 v63, v120, v121
	scratch_load_b64 v[120:121], off, s32 offset:880 ; 8-byte Folded Reload
	s_wait_loadcnt 0x1
	v_pk_mul_f32 v[30:31], v[104:105], v[0:1] op_sel_hi:[0,1]
	scratch_load_b64 v[0:1], off, s32 offset:200 th:TH_LOAD_LU ; 8-byte Folded Reload
	s_wait_loadcnt 0x0
	v_pk_mul_f32 v[10:11], v[104:105], v[0:1] op_sel_hi:[0,1]
	scratch_load_b64 v[0:1], off, s32 offset:192 th:TH_LOAD_LU ; 8-byte Folded Reload
	s_wait_loadcnt 0x0
	v_pk_mul_f32 v[0:1], v[104:105], v[0:1] op_sel_hi:[0,1]
	v_and_b32_e32 v105, 0xffff0000, v63
	v_lshlrev_b32_e32 v104, 16, v63
	s_delay_alu instid0(VALU_DEP_1)
	v_pk_mul_f32 v[120:121], v[120:121], v[104:105]
	scratch_load_b64 v[104:105], off, s32 offset:848 ; 8-byte Folded Reload
	s_wait_loadcnt 0x0
	v_pk_fma_f32 v[90:91], v[104:105], v[90:91], v[120:121]
	scratch_load_b64 v[120:121], off, s32 offset:912 ; 8-byte Folded Reload
	v_dual_lshlrev_b32 v104, 16, v47 :: v_dual_lshlrev_b32 v105, 16, v109
	s_wait_loadcnt 0x0
	s_delay_alu instid0(VALU_DEP_1) | instskip(SKIP_3) | instid1(VALU_DEP_1)
	v_pk_fma_f32 v[90:91], v[104:105], v[120:121], v[90:91]
	scratch_load_b64 v[120:121], off, s32 offset:976 ; 8-byte Folded Reload
	v_dual_lshlrev_b32 v105, 16, v42 :: v_dual_lshlrev_b32 v104, 16, v41
	s_wait_loadcnt 0x0
	v_pk_fma_f32 v[90:91], v[120:121], v[104:105], v[90:91]
	scratch_load_b64 v[104:105], off, s32 offset:1008 ; 8-byte Folded Reload
	s_wait_loadcnt 0x0
	v_pk_fma_f32 v[2:3], v[104:105], v[2:3], v[90:91]
	scratch_load_b64 v[90:91], off, s32 offset:1040 ; 8-byte Folded Reload
	s_wait_loadcnt 0x0
	v_pk_fma_f32 v[2:3], v[90:91], v[6:7], v[2:3]
	v_cvt_pk_bf16_f32 v6, v8, v9
	scratch_load_b64 v[8:9], off, s32 offset:1072 ; 8-byte Folded Reload
	v_and_b32_e32 v7, 0xffff0000, v6
	v_lshlrev_b32_e32 v6, 16, v6
	s_wait_loadcnt 0x0
	s_delay_alu instid0(VALU_DEP_1) | instskip(SKIP_2) | instid1(VALU_DEP_1)
	v_pk_fma_f32 v[2:3], v[8:9], v[6:7], v[2:3]
	scratch_load_b64 v[8:9], off, s32 offset:1104 ; 8-byte Folded Reload
	v_cvt_pk_bf16_f32 v6, v18, v19
	v_and_b32_e32 v7, 0xffff0000, v6
	v_lshlrev_b32_e32 v6, 16, v6
	s_wait_loadcnt 0x0
	s_delay_alu instid0(VALU_DEP_1) | instskip(SKIP_2) | instid1(VALU_DEP_1)
	v_pk_fma_f32 v[2:3], v[8:9], v[6:7], v[2:3]
	scratch_load_b64 v[8:9], off, s32 offset:1136 ; 8-byte Folded Reload
	v_cvt_pk_bf16_f32 v6, v22, v23
	;; [unrolled: 7-line block ×5, first 2 shown]
	v_and_b32_e32 v7, 0xffff0000, v6
	v_lshlrev_b32_e32 v6, 16, v6
	s_wait_loadcnt 0x0
	s_delay_alu instid0(VALU_DEP_1)
	v_pk_fma_f32 v[2:3], v[8:9], v[6:7], v[2:3]
	v_cvt_pk_bf16_f32 v6, v0, v1
	v_and_b32_e32 v1, 0xffff0000, v4
	v_lshlrev_b32_e32 v0, 16, v4
	scratch_load_b64 v[8:9], off, s32 offset:896 ; 8-byte Folded Reload
	v_and_b32_e32 v5, 0xffff0000, v6
	v_lshlrev_b32_e32 v4, 16, v6
	scratch_load_b64 v[6:7], off, s32 offset:888 ; 8-byte Folded Reload
	s_wait_loadcnt 0x0
	v_pk_mul_f32 v[0:1], v[6:7], v[0:1]
	scratch_load_b64 v[6:7], off, s32 offset:856 ; 8-byte Folded Reload
	s_wait_loadcnt 0x0
	v_pk_fma_f32 v[0:1], v[6:7], v[4:5], v[0:1]
	scratch_load_b64 v[6:7], off, s32 offset:928 ; 8-byte Folded Reload
	v_dual_lshlrev_b32 v4, 16, v43 :: v_dual_lshlrev_b32 v5, 16, v56
	s_wait_loadcnt 0x0
	s_delay_alu instid0(VALU_DEP_1) | instskip(SKIP_3) | instid1(VALU_DEP_1)
	v_pk_fma_f32 v[0:1], v[4:5], v[6:7], v[0:1]
	scratch_load_b64 v[6:7], off, s32 offset:984 ; 8-byte Folded Reload
	v_dual_lshlrev_b32 v5, 16, v46 :: v_dual_lshlrev_b32 v4, 16, v57
	s_wait_loadcnt 0x0
	v_pk_fma_f32 v[0:1], v[6:7], v[4:5], v[0:1]
	scratch_load_b64 v[6:7], off, s32 offset:1016 ; 8-byte Folded Reload
	v_cvt_pk_bf16_f32 v4, v14, v15
	s_delay_alu instid0(VALU_DEP_1) | instskip(SKIP_2) | instid1(VALU_DEP_1)
	v_and_b32_e32 v5, 0xffff0000, v4
	v_lshlrev_b32_e32 v4, 16, v4
	s_wait_loadcnt 0x0
	v_pk_fma_f32 v[0:1], v[6:7], v[4:5], v[0:1]
	scratch_load_b64 v[6:7], off, s32 offset:1048 ; 8-byte Folded Reload
	v_cvt_pk_bf16_f32 v4, v20, v21
	s_delay_alu instid0(VALU_DEP_1) | instskip(SKIP_2) | instid1(VALU_DEP_1)
	v_and_b32_e32 v5, 0xffff0000, v4
	v_lshlrev_b32_e32 v4, 16, v4
	s_wait_loadcnt 0x0
	v_pk_fma_f32 v[0:1], v[6:7], v[4:5], v[0:1]
	scratch_load_b64 v[6:7], off, s32 offset:1080 ; 8-byte Folded Reload
	v_cvt_pk_bf16_f32 v4, v28, v29
	s_delay_alu instid0(VALU_DEP_1) | instskip(SKIP_2) | instid1(VALU_DEP_1)
	v_and_b32_e32 v5, 0xffff0000, v4
	v_lshlrev_b32_e32 v4, 16, v4
	s_wait_loadcnt 0x0
	v_pk_fma_f32 v[0:1], v[6:7], v[4:5], v[0:1]
	scratch_load_b64 v[6:7], off, s32 offset:1112 ; 8-byte Folded Reload
	v_cvt_pk_bf16_f32 v4, v38, v39
	s_delay_alu instid0(VALU_DEP_1) | instskip(SKIP_2) | instid1(VALU_DEP_1)
	v_and_b32_e32 v5, 0xffff0000, v4
	v_lshlrev_b32_e32 v4, 16, v4
	s_wait_loadcnt 0x0
	v_pk_fma_f32 v[0:1], v[6:7], v[4:5], v[0:1]
	scratch_load_b64 v[6:7], off, s32 offset:1144 ; 8-byte Folded Reload
	v_cvt_pk_bf16_f32 v4, v88, v89
	s_delay_alu instid0(VALU_DEP_1) | instskip(SKIP_2) | instid1(VALU_DEP_1)
	v_and_b32_e32 v5, 0xffff0000, v4
	v_lshlrev_b32_e32 v4, 16, v4
	s_wait_loadcnt 0x0
	v_pk_fma_f32 v[0:1], v[6:7], v[4:5], v[0:1]
	scratch_load_b64 v[6:7], off, s32 offset:1176 ; 8-byte Folded Reload
	v_cvt_pk_bf16_f32 v4, v102, v103
	s_delay_alu instid0(VALU_DEP_1) | instskip(SKIP_2) | instid1(VALU_DEP_1)
	v_and_b32_e32 v5, 0xffff0000, v4
	v_lshlrev_b32_e32 v4, 16, v4
	s_wait_loadcnt 0x0
	v_pk_fma_f32 v[0:1], v[6:7], v[4:5], v[0:1]
	scratch_load_b64 v[6:7], off, s32 offset:1208 ; 8-byte Folded Reload
	v_cvt_pk_bf16_f32 v4, v98, v99
	s_delay_alu instid0(VALU_DEP_1) | instskip(SKIP_2) | instid1(VALU_DEP_1)
	v_and_b32_e32 v5, 0xffff0000, v4
	v_lshlrev_b32_e32 v4, 16, v4
	s_wait_loadcnt 0x0
	v_pk_fma_f32 v[0:1], v[6:7], v[4:5], v[0:1]
	scratch_load_b64 v[6:7], off, s32 offset:1240 ; 8-byte Folded Reload
	v_cvt_pk_bf16_f32 v4, v100, v101
	s_delay_alu instid0(VALU_DEP_1) | instskip(SKIP_2) | instid1(VALU_DEP_1)
	v_and_b32_e32 v5, 0xffff0000, v4
	v_lshlrev_b32_e32 v4, 16, v4
	s_wait_loadcnt 0x0
	v_pk_fma_f32 v[0:1], v[6:7], v[4:5], v[0:1]
	v_cvt_pk_bf16_f32 v4, v16, v17
	v_cvt_pk_bf16_f32 v6, v10, v11
	scratch_load_b64 v[10:11], off, s32 offset:904 ; 8-byte Folded Reload
	v_and_b32_e32 v5, 0xffff0000, v4
	v_lshlrev_b32_e32 v4, 16, v4
	v_and_b32_e32 v7, 0xffff0000, v6
	v_lshlrev_b32_e32 v6, 16, v6
	s_delay_alu instid0(VALU_DEP_3)
	v_pk_mul_f32 v[4:5], v[8:9], v[4:5]
	scratch_load_b64 v[8:9], off, s32 offset:864 ; 8-byte Folded Reload
	s_wait_loadcnt 0x0
	v_pk_fma_f32 v[4:5], v[8:9], v[6:7], v[4:5]
	scratch_load_b64 v[8:9], off, s32 offset:960 ; 8-byte Folded Reload
	v_lshlrev_b32_e32 v6, 16, v94
	v_lshlrev_b32_e32 v7, 16, v74
	s_wait_loadcnt 0x0
	s_delay_alu instid0(VALU_DEP_1) | instskip(SKIP_3) | instid1(VALU_DEP_1)
	v_pk_fma_f32 v[4:5], v[6:7], v[8:9], v[4:5]
	scratch_load_b64 v[8:9], off, s32 offset:992 ; 8-byte Folded Reload
	v_dual_lshlrev_b32 v7, 16, v72 :: v_dual_lshlrev_b32 v6, 16, v111
	s_wait_loadcnt 0x0
	v_pk_fma_f32 v[4:5], v[8:9], v[6:7], v[4:5]
	scratch_load_b64 v[8:9], off, s32 offset:1024 ; 8-byte Folded Reload
	v_cvt_pk_bf16_f32 v6, v34, v35
	s_delay_alu instid0(VALU_DEP_1) | instskip(SKIP_2) | instid1(VALU_DEP_1)
	v_and_b32_e32 v7, 0xffff0000, v6
	v_lshlrev_b32_e32 v6, 16, v6
	s_wait_loadcnt 0x0
	v_pk_fma_f32 v[4:5], v[8:9], v[6:7], v[4:5]
	scratch_load_b64 v[8:9], off, s32 offset:1056 ; 8-byte Folded Reload
	v_cvt_pk_bf16_f32 v6, v54, v55
	s_delay_alu instid0(VALU_DEP_1) | instskip(SKIP_2) | instid1(VALU_DEP_1)
	v_and_b32_e32 v7, 0xffff0000, v6
	v_lshlrev_b32_e32 v6, 16, v6
	;; [unrolled: 7-line block ×8, first 2 shown]
	s_wait_loadcnt 0x0
	v_pk_fma_f32 v[6:7], v[8:9], v[6:7], v[4:5]
	v_cvt_pk_bf16_f32 v4, v30, v31
	v_cvt_pk_bf16_f32 v8, v26, v27
	s_delay_alu instid0(VALU_DEP_2) | instskip(SKIP_1) | instid1(VALU_DEP_3)
	v_and_b32_e32 v5, 0xffff0000, v4
	v_lshlrev_b32_e32 v4, 16, v4
	v_and_b32_e32 v9, 0xffff0000, v8
	v_lshlrev_b32_e32 v8, 16, v8
	s_delay_alu instid0(VALU_DEP_3)
	v_pk_mul_f32 v[4:5], v[10:11], v[4:5]
	scratch_load_b64 v[10:11], off, s32 offset:872 ; 8-byte Folded Reload
	s_wait_loadcnt 0x0
	v_pk_fma_f32 v[4:5], v[10:11], v[8:9], v[4:5]
	scratch_load_b64 v[10:11], off, s32 offset:968 ; 8-byte Folded Reload
	v_lshlrev_b32_e32 v8, 16, v123
	v_lshlrev_b32_e32 v9, 16, v95
	s_wait_loadcnt 0x0
	s_delay_alu instid0(VALU_DEP_1) | instskip(SKIP_3) | instid1(VALU_DEP_1)
	v_pk_fma_f32 v[4:5], v[8:9], v[10:11], v[4:5]
	scratch_load_b64 v[10:11], off, s32 offset:1000 ; 8-byte Folded Reload
	v_dual_lshlrev_b32 v9, 16, v122 :: v_dual_lshlrev_b32 v8, 16, v24
	s_wait_loadcnt 0x0
	v_pk_fma_f32 v[4:5], v[10:11], v[8:9], v[4:5]
	scratch_load_b64 v[10:11], off, s32 offset:1032 ; 8-byte Folded Reload
	v_cvt_pk_bf16_f32 v8, v126, v127
	s_delay_alu instid0(VALU_DEP_1) | instskip(SKIP_2) | instid1(VALU_DEP_1)
	v_and_b32_e32 v9, 0xffff0000, v8
	v_lshlrev_b32_e32 v8, 16, v8
	s_wait_loadcnt 0x0
	v_pk_fma_f32 v[4:5], v[10:11], v[8:9], v[4:5]
	scratch_load_b64 v[10:11], off, s32 offset:1064 ; 8-byte Folded Reload
	v_cvt_pk_bf16_f32 v8, v82, v83
	s_delay_alu instid0(VALU_DEP_1) | instskip(SKIP_2) | instid1(VALU_DEP_1)
	v_and_b32_e32 v9, 0xffff0000, v8
	v_lshlrev_b32_e32 v8, 16, v8
	;; [unrolled: 7-line block ×9, first 2 shown]
	s_wait_loadcnt 0x0
	v_pk_fma_f32 v[2:3], v[10:11], v[8:9], v[2:3]
	scratch_load_b64 v[10:11], off, s32 offset:1296 ; 8-byte Folded Reload
	v_dual_lshlrev_b32 v8, 16, v75 :: v_dual_lshlrev_b32 v9, 16, v40
	s_wait_loadcnt 0x0
	s_delay_alu instid0(VALU_DEP_1) | instskip(SKIP_3) | instid1(VALU_DEP_1)
	v_pk_fma_f32 v[2:3], v[8:9], v[10:11], v[2:3]
	scratch_load_b64 v[10:11], off, s32 offset:1328 ; 8-byte Folded Reload
	v_dual_lshlrev_b32 v9, 16, v73 :: v_dual_lshlrev_b32 v8, 16, v107
	s_wait_loadcnt 0x0
	v_pk_fma_f32 v[2:3], v[10:11], v[8:9], v[2:3]
	scratch_load_b64 v[10:11], off, s32 offset:1360 ; 8-byte Folded Reload
	v_cvt_pk_bf16_f32 v8, v58, v59
	s_delay_alu instid0(VALU_DEP_1) | instskip(SKIP_2) | instid1(VALU_DEP_1)
	v_and_b32_e32 v9, 0xffff0000, v8
	v_lshlrev_b32_e32 v8, 16, v8
	s_wait_loadcnt 0x0
	v_pk_fma_f32 v[2:3], v[10:11], v[8:9], v[2:3]
	s_clause 0x1
	scratch_load_b64 v[8:9], off, s32 offset:808 th:TH_LOAD_LU
	scratch_load_b64 v[10:11], off, s32 offset:1392
	s_wait_loadcnt 0x1
	v_cvt_pk_bf16_f32 v8, v8, v9
	s_delay_alu instid0(VALU_DEP_1) | instskip(SKIP_2) | instid1(VALU_DEP_1)
	v_and_b32_e32 v9, 0xffff0000, v8
	v_lshlrev_b32_e32 v8, 16, v8
	s_wait_loadcnt 0x0
	v_pk_fma_f32 v[2:3], v[10:11], v[8:9], v[2:3]
	s_clause 0x1
	scratch_load_b64 v[8:9], off, s32 offset:800 th:TH_LOAD_LU
	scratch_load_b64 v[10:11], off, s32 offset:1424
	s_wait_loadcnt 0x1
	;; [unrolled: 10-line block ×7, first 2 shown]
	v_cvt_pk_bf16_f32 v8, v8, v9
	s_delay_alu instid0(VALU_DEP_1) | instskip(SKIP_2) | instid1(VALU_DEP_1)
	v_and_b32_e32 v9, 0xffff0000, v8
	v_lshlrev_b32_e32 v8, 16, v8
	s_wait_loadcnt 0x0
	v_pk_fma_f32 v[2:3], v[10:11], v[8:9], v[2:3]
	scratch_load_b64 v[10:11], off, s32 offset:1616 ; 8-byte Folded Reload
	v_cvt_pk_bf16_f32 v8, v36, v37
	s_delay_alu instid0(VALU_DEP_1) | instskip(SKIP_2) | instid1(VALU_DEP_1)
	v_and_b32_e32 v9, 0xffff0000, v8
	v_lshlrev_b32_e32 v8, 16, v8
	s_wait_loadcnt 0x0
	v_pk_fma_f32 v[2:3], v[10:11], v[8:9], v[2:3]
	scratch_load_b64 v[10:11], off, s32 offset:1272 ; 8-byte Folded Reload
	v_cvt_pk_bf16_f32 v8, v124, v125
	v_add_f32_e32 v2, v2, v3
	s_delay_alu instid0(VALU_DEP_2) | instskip(SKIP_2) | instid1(VALU_DEP_1)
	v_and_b32_e32 v9, 0xffff0000, v8
	v_lshlrev_b32_e32 v8, 16, v8
	s_wait_loadcnt 0x0
	v_pk_fma_f32 v[0:1], v[10:11], v[8:9], v[0:1]
	scratch_load_b64 v[10:11], off, s32 offset:1304 ; 8-byte Folded Reload
	v_dual_lshlrev_b32 v8, 16, v108 :: v_dual_lshlrev_b32 v9, 16, v110
	s_wait_loadcnt 0x0
	s_delay_alu instid0(VALU_DEP_1)
	v_pk_fma_f32 v[0:1], v[8:9], v[10:11], v[0:1]
	s_clause 0x1
	scratch_load_b32 v8, off, s32 offset:520 th:TH_LOAD_LU
	scratch_load_b64 v[10:11], off, s32 offset:1336
	s_wait_loadcnt 0x1
	v_lshlrev_b32_e32 v9, 16, v8
	scratch_load_b32 v8, off, s32 offset:516 th:TH_LOAD_LU ; 4-byte Folded Reload
	s_wait_loadcnt 0x0
	v_lshlrev_b32_e32 v8, 16, v8
	s_delay_alu instid0(VALU_DEP_1)
	v_pk_fma_f32 v[0:1], v[10:11], v[8:9], v[0:1]
	s_clause 0x1
	scratch_load_b64 v[8:9], off, s32 offset:792 th:TH_LOAD_LU
	scratch_load_b64 v[10:11], off, s32 offset:1368
	s_wait_loadcnt 0x1
	v_cvt_pk_bf16_f32 v8, v8, v9
	s_delay_alu instid0(VALU_DEP_1) | instskip(SKIP_2) | instid1(VALU_DEP_1)
	v_and_b32_e32 v9, 0xffff0000, v8
	v_lshlrev_b32_e32 v8, 16, v8
	s_wait_loadcnt 0x0
	v_pk_fma_f32 v[0:1], v[10:11], v[8:9], v[0:1]
	s_clause 0x1
	scratch_load_b64 v[8:9], off, s32 offset:776 th:TH_LOAD_LU
	scratch_load_b64 v[10:11], off, s32 offset:1400
	s_wait_loadcnt 0x1
	v_cvt_pk_bf16_f32 v8, v8, v9
	s_delay_alu instid0(VALU_DEP_1) | instskip(SKIP_2) | instid1(VALU_DEP_1)
	v_and_b32_e32 v9, 0xffff0000, v8
	v_lshlrev_b32_e32 v8, 16, v8
	s_wait_loadcnt 0x0
	;; [unrolled: 10-line block ×8, first 2 shown]
	v_pk_fma_f32 v[0:1], v[10:11], v[8:9], v[0:1]
	scratch_load_b64 v[10:11], off, s32 offset:1624 ; 8-byte Folded Reload
	v_cvt_pk_bf16_f32 v8, v48, v49
	s_delay_alu instid0(VALU_DEP_1) | instskip(SKIP_2) | instid1(VALU_DEP_1)
	v_and_b32_e32 v9, 0xffff0000, v8
	v_lshlrev_b32_e32 v8, 16, v8
	s_wait_loadcnt 0x0
	v_pk_fma_f32 v[0:1], v[10:11], v[8:9], v[0:1]
	s_clause 0x1
	scratch_load_b64 v[8:9], off, s32 offset:488 th:TH_LOAD_LU
	scratch_load_b64 v[10:11], off, s32 offset:1280
	v_add_f32_e32 v0, v2, v0
	s_delay_alu instid0(VALU_DEP_1) | instskip(SKIP_1) | instid1(VALU_DEP_1)
	v_add_f32_e32 v2, v1, v0
	v_cvt_pk_bf16_f32 v0, v12, v13
	v_and_b32_e32 v1, 0xffff0000, v0
	v_lshlrev_b32_e32 v0, 16, v0
	s_wait_loadcnt 0x1
	v_cvt_pk_bf16_f32 v8, v8, v9
	s_delay_alu instid0(VALU_DEP_1) | instskip(SKIP_2) | instid1(VALU_DEP_1)
	v_and_b32_e32 v9, 0xffff0000, v8
	v_lshlrev_b32_e32 v8, 16, v8
	s_wait_loadcnt 0x0
	v_pk_fma_f32 v[6:7], v[10:11], v[8:9], v[6:7]
	s_clause 0x2
	scratch_load_b32 v8, off, s32 offset:496 th:TH_LOAD_LU
	scratch_load_b32 v9, off, s32 offset:500 th:TH_LOAD_LU
	scratch_load_b64 v[10:11], off, s32 offset:1312
	s_wait_loadcnt 0x1
	v_dual_lshlrev_b32 v8, 16, v8 :: v_dual_lshlrev_b32 v9, 16, v9
	s_wait_loadcnt 0x0
	s_delay_alu instid0(VALU_DEP_1)
	v_pk_fma_f32 v[6:7], v[8:9], v[10:11], v[6:7]
	s_clause 0x1
	scratch_load_b32 v8, off, s32 offset:764 th:TH_LOAD_LU
	scratch_load_b64 v[10:11], off, s32 offset:1344
	s_wait_loadcnt 0x1
	v_lshlrev_b32_e32 v9, 16, v8
	scratch_load_b32 v8, off, s32 offset:524 th:TH_LOAD_LU ; 4-byte Folded Reload
	s_wait_loadcnt 0x0
	v_lshlrev_b32_e32 v8, 16, v8
	s_delay_alu instid0(VALU_DEP_1)
	v_pk_fma_f32 v[6:7], v[10:11], v[8:9], v[6:7]
	s_clause 0x1
	scratch_load_b64 v[8:9], off, s32 offset:740 th:TH_LOAD_LU
	scratch_load_b64 v[10:11], off, s32 offset:1376
	s_wait_loadcnt 0x1
	v_cvt_pk_bf16_f32 v8, v8, v9
	s_delay_alu instid0(VALU_DEP_1) | instskip(SKIP_2) | instid1(VALU_DEP_1)
	v_and_b32_e32 v9, 0xffff0000, v8
	v_lshlrev_b32_e32 v8, 16, v8
	s_wait_loadcnt 0x0
	v_pk_fma_f32 v[6:7], v[10:11], v[8:9], v[6:7]
	s_clause 0x1
	scratch_load_b64 v[8:9], off, s32 offset:716 th:TH_LOAD_LU
	scratch_load_b64 v[10:11], off, s32 offset:1408
	s_wait_loadcnt 0x1
	v_cvt_pk_bf16_f32 v8, v8, v9
	s_delay_alu instid0(VALU_DEP_1) | instskip(SKIP_2) | instid1(VALU_DEP_1)
	v_and_b32_e32 v9, 0xffff0000, v8
	v_lshlrev_b32_e32 v8, 16, v8
	s_wait_loadcnt 0x0
	v_pk_fma_f32 v[6:7], v[10:11], v[8:9], v[6:7]
	s_clause 0x1
	scratch_load_b64 v[8:9], off, s32 offset:684 th:TH_LOAD_LU
	scratch_load_b64 v[10:11], off, s32 offset:1440
	s_wait_loadcnt 0x1
	v_cvt_pk_bf16_f32 v8, v8, v9
	s_delay_alu instid0(VALU_DEP_1) | instskip(SKIP_2) | instid1(VALU_DEP_1)
	v_and_b32_e32 v9, 0xffff0000, v8
	v_lshlrev_b32_e32 v8, 16, v8
	s_wait_loadcnt 0x0
	v_pk_fma_f32 v[6:7], v[10:11], v[8:9], v[6:7]
	s_clause 0x1
	scratch_load_b64 v[8:9], off, s32 offset:660 th:TH_LOAD_LU
	scratch_load_b64 v[10:11], off, s32 offset:1472
	s_wait_loadcnt 0x1
	v_cvt_pk_bf16_f32 v8, v8, v9
	s_delay_alu instid0(VALU_DEP_1) | instskip(SKIP_2) | instid1(VALU_DEP_1)
	v_and_b32_e32 v9, 0xffff0000, v8
	v_lshlrev_b32_e32 v8, 16, v8
	s_wait_loadcnt 0x0
	v_pk_fma_f32 v[6:7], v[10:11], v[8:9], v[6:7]
	s_clause 0x1
	scratch_load_b64 v[8:9], off, s32 offset:636 th:TH_LOAD_LU
	scratch_load_b64 v[10:11], off, s32 offset:1504
	s_wait_loadcnt 0x1
	v_cvt_pk_bf16_f32 v8, v8, v9
	s_delay_alu instid0(VALU_DEP_1) | instskip(SKIP_2) | instid1(VALU_DEP_1)
	v_and_b32_e32 v9, 0xffff0000, v8
	v_lshlrev_b32_e32 v8, 16, v8
	s_wait_loadcnt 0x0
	v_pk_fma_f32 v[6:7], v[10:11], v[8:9], v[6:7]
	s_clause 0x1
	scratch_load_b64 v[8:9], off, s32 offset:612 th:TH_LOAD_LU
	scratch_load_b64 v[10:11], off, s32 offset:1536
	s_wait_loadcnt 0x1
	v_cvt_pk_bf16_f32 v8, v8, v9
	s_delay_alu instid0(VALU_DEP_1) | instskip(SKIP_2) | instid1(VALU_DEP_1)
	v_and_b32_e32 v9, 0xffff0000, v8
	v_lshlrev_b32_e32 v8, 16, v8
	s_wait_loadcnt 0x0
	v_pk_fma_f32 v[6:7], v[10:11], v[8:9], v[6:7]
	s_clause 0x1
	scratch_load_b64 v[8:9], off, s32 offset:596 th:TH_LOAD_LU
	scratch_load_b64 v[10:11], off, s32 offset:1568
	s_wait_loadcnt 0x1
	v_cvt_pk_bf16_f32 v8, v8, v9
	s_delay_alu instid0(VALU_DEP_1) | instskip(SKIP_2) | instid1(VALU_DEP_1)
	v_and_b32_e32 v9, 0xffff0000, v8
	v_lshlrev_b32_e32 v8, 16, v8
	s_wait_loadcnt 0x0
	v_pk_fma_f32 v[6:7], v[10:11], v[8:9], v[6:7]
	s_clause 0x1
	scratch_load_b64 v[8:9], off, s32 offset:580 th:TH_LOAD_LU
	scratch_load_b64 v[10:11], off, s32 offset:1600
	s_wait_loadcnt 0x1
	v_cvt_pk_bf16_f32 v8, v8, v9
	s_delay_alu instid0(VALU_DEP_1) | instskip(SKIP_2) | instid1(VALU_DEP_1)
	v_and_b32_e32 v9, 0xffff0000, v8
	v_lshlrev_b32_e32 v8, 16, v8
	s_wait_loadcnt 0x0
	v_pk_fma_f32 v[6:7], v[10:11], v[8:9], v[6:7]
	scratch_load_b64 v[10:11], off, s32 offset:1632 ; 8-byte Folded Reload
	v_cvt_pk_bf16_f32 v8, v50, v51
	s_delay_alu instid0(VALU_DEP_1) | instskip(SKIP_2) | instid1(VALU_DEP_1)
	v_and_b32_e32 v9, 0xffff0000, v8
	v_lshlrev_b32_e32 v8, 16, v8
	s_wait_loadcnt 0x0
	v_pk_fma_f32 v[6:7], v[10:11], v[8:9], v[6:7]
	s_clause 0x1
	scratch_load_b64 v[8:9], off, s32 offset:480 th:TH_LOAD_LU
	scratch_load_b64 v[10:11], off, s32 offset:1288
	v_add_f32_e32 v2, v6, v2
	s_delay_alu instid0(VALU_DEP_1) | instskip(SKIP_2) | instid1(VALU_DEP_1)
	v_add_f32_e32 v2, v7, v2
	s_wait_loadcnt 0x1
	v_cvt_pk_bf16_f32 v8, v8, v9
	v_and_b32_e32 v9, 0xffff0000, v8
	v_lshlrev_b32_e32 v8, 16, v8
	s_wait_loadcnt 0x0
	s_delay_alu instid0(VALU_DEP_1)
	v_pk_fma_f32 v[4:5], v[10:11], v[8:9], v[4:5]
	s_clause 0x2
	scratch_load_b32 v8, off, s32 offset:472 th:TH_LOAD_LU
	scratch_load_b32 v9, off, s32 offset:476 th:TH_LOAD_LU
	scratch_load_b64 v[10:11], off, s32 offset:1320
	s_wait_loadcnt 0x1
	v_dual_lshlrev_b32 v8, 16, v8 :: v_dual_lshlrev_b32 v9, 16, v9
	s_wait_loadcnt 0x0
	s_delay_alu instid0(VALU_DEP_1)
	v_pk_fma_f32 v[4:5], v[8:9], v[10:11], v[4:5]
	s_clause 0x1
	scratch_load_b32 v8, off, s32 offset:512 th:TH_LOAD_LU
	scratch_load_b64 v[10:11], off, s32 offset:1352
	s_wait_loadcnt 0x1
	v_lshlrev_b32_e32 v9, 16, v8
	scratch_load_b32 v8, off, s32 offset:508 th:TH_LOAD_LU ; 4-byte Folded Reload
	s_wait_loadcnt 0x0
	v_lshlrev_b32_e32 v8, 16, v8
	s_delay_alu instid0(VALU_DEP_1)
	v_pk_fma_f32 v[4:5], v[10:11], v[8:9], v[4:5]
	s_clause 0x1
	scratch_load_b64 v[8:9], off, s32 offset:692 th:TH_LOAD_LU
	scratch_load_b64 v[10:11], off, s32 offset:1384
	s_wait_loadcnt 0x1
	v_cvt_pk_bf16_f32 v8, v8, v9
	s_delay_alu instid0(VALU_DEP_1) | instskip(SKIP_2) | instid1(VALU_DEP_1)
	v_and_b32_e32 v9, 0xffff0000, v8
	v_lshlrev_b32_e32 v8, 16, v8
	s_wait_loadcnt 0x0
	v_pk_fma_f32 v[4:5], v[10:11], v[8:9], v[4:5]
	s_clause 0x1
	scratch_load_b64 v[8:9], off, s32 offset:668 th:TH_LOAD_LU
	scratch_load_b64 v[10:11], off, s32 offset:1416
	s_wait_loadcnt 0x1
	v_cvt_pk_bf16_f32 v8, v8, v9
	s_delay_alu instid0(VALU_DEP_1) | instskip(SKIP_2) | instid1(VALU_DEP_1)
	v_and_b32_e32 v9, 0xffff0000, v8
	v_lshlrev_b32_e32 v8, 16, v8
	s_wait_loadcnt 0x0
	;; [unrolled: 10-line block ×8, first 2 shown]
	v_pk_fma_f32 v[4:5], v[10:11], v[8:9], v[4:5]
	scratch_load_b64 v[8:9], off, s32 offset:1640 ; 8-byte Folded Reload
	s_wait_loadcnt 0x0
	v_pk_fma_f32 v[0:1], v[8:9], v[0:1], v[4:5]
	s_delay_alu instid0(VALU_DEP_1) | instskip(NEXT) | instid1(VALU_DEP_1)
	v_add_f32_e32 v0, v0, v2
	v_add_f32_e32 v0, v1, v0
	s_clause 0x4
	scratch_load_b32 v1, off, s32 offset:1656
	scratch_load_b64 v[8:9], off, s32 offset:556
	scratch_load_b32 v2, off, s32 offset:816
	scratch_load_b32 v5, off, s32 offset:552
	scratch_load_b32 v7, off, s32 offset:548 th:TH_LOAD_LU
	s_load_b32 s16, s[6:7], 0x0
	s_wait_loadcnt 0x3
	v_add_nc_u32_e32 v1, v1, v8
	s_delay_alu instid0(VALU_DEP_1) | instskip(SKIP_1) | instid1(VALU_DEP_1)
	v_cvt_f32_i32_e32 v1, v1
	s_wait_loadcnt 0x2
	v_mul_f32_e32 v1, v2, v1
	scratch_load_b32 v2, off, s32 offset:840 ; 4-byte Folded Reload
	v_cndmask_b32_e32 v1, 0, v1, vcc_lo
	s_wait_loadcnt 0x0
	s_delay_alu instid0(VALU_DEP_1) | instskip(SKIP_3) | instid1(VALU_DEP_1)
	v_fmac_f32_e32 v1, v2, v0
	scratch_load_b32 v0, off, s32 offset:944 ; 4-byte Folded Reload
	s_wait_loadcnt 0x0
	v_add_nc_u32_e32 v0, v0, v8
	v_cmp_lt_i32_e64 s1, v0, v119
	s_wait_kmcnt 0x0
	v_add_nc_u32_e32 v0, s16, v5
	s_delay_alu instid0(VALU_DEP_2) | instskip(SKIP_2) | instid1(VALU_DEP_1)
	v_cndmask_b32_e64 v2, 0, v1, s1
	ds_store_b32 v0, v2
	v_max_num_f32_e32 v0, v7, v7
	v_max_num_f32_e32 v0, v0, v1
	s_delay_alu instid0(VALU_DEP_1)
	v_cndmask_b32_e64 v7, v7, v0, s1
.LBB355_14:                             ;   in Loop: Header=BB355_15 Depth=1
	s_wait_xcnt 0x0
	s_or_b32 exec_lo, exec_lo, s2
	s_clause 0x1
	scratch_load_b32 v2, off, s32 offset:444
	scratch_load_b32 v0, off, s32 offset:408
	v_add_nc_u32_e32 v8, 0x80, v8
	v_add_nc_u32_e32 v5, 0x200, v5
	s_wait_loadcnt 0x1
	v_add_nc_u32_e32 v2, 4, v2
	s_wait_loadcnt 0x0
	s_delay_alu instid0(VALU_DEP_1)
	v_cmp_ge_i32_e64 s1, v2, v0
	scratch_load_b64 v[0:1], off, s32 offset:412 ; 8-byte Folded Reload
	s_or_b32 s15, s1, s15
	s_wait_loadcnt 0x0
	v_add_nc_u64_e32 v[0:1], 16, v[0:1]
	scratch_store_b64 off, v[0:1], s32 offset:412 ; 8-byte Folded Spill
	s_wait_xcnt 0x0
	s_and_not1_b32 exec_lo, exec_lo, s15
	s_cbranch_execz .LBB355_1551
.LBB355_15:                             ; =>This Inner Loop Header: Depth=1
	s_clause 0x1
	scratch_load_b64 v[0:1], off, s32 offset:424
	scratch_load_b32 v4, off, s32 offset:420
	v_mov_b32_e32 v9, v25
	scratch_store_b32 off, v2, s32 offset:444 ; 4-byte Folded Spill
	s_wait_loadcnt 0x1
	v_mul_u64_e32 v[0:1], v[8:9], v[0:1]
	s_wait_loadcnt 0x0
	s_delay_alu instid0(VALU_DEP_1) | instskip(SKIP_1) | instid1(VALU_DEP_1)
	v_mul_lo_u32 v0, v1, v4
	s_wait_xcnt 0x0
	v_dual_sub_nc_u32 v0, v8, v0 :: v_dual_add_nc_u32 v2, 1, v1
	s_delay_alu instid0(VALU_DEP_1) | instskip(SKIP_1) | instid1(VALU_DEP_1)
	v_sub_nc_u32_e32 v3, v0, v4
	v_cmp_ge_u32_e64 s1, v0, v4
	v_dual_cndmask_b32 v1, v1, v2, s1 :: v_dual_cndmask_b32 v0, v0, v3, s1
	s_delay_alu instid0(VALU_DEP_1) | instskip(NEXT) | instid1(VALU_DEP_2)
	v_add_nc_u32_e32 v2, 1, v1
	v_cmp_ge_u32_e64 s1, v0, v4
	scratch_load_b32 v4, off, s32 offset:536 ; 4-byte Folded Reload
	v_cndmask_b32_e64 v0, v1, v2, s1
	scratch_load_b32 v1, off, s32 offset:432 ; 4-byte Folded Reload
	s_wait_loadcnt 0x0
	v_xor_b32_e32 v0, v0, v1
	s_delay_alu instid0(VALU_DEP_1) | instskip(SKIP_3) | instid1(VALU_DEP_1)
	v_sub_nc_u32_e32 v2, v0, v1
	scratch_load_b32 v0, off, s32 offset:436 ; 4-byte Folded Reload
	s_wait_loadcnt 0x0
	v_add_nc_u32_e32 v3, v2, v0
	v_sub_nc_u32_e32 v0, 0, v3
	s_delay_alu instid0(VALU_DEP_1) | instskip(SKIP_3) | instid1(VALU_DEP_1)
	v_max_i32_e32 v24, v3, v0
	scratch_load_b64 v[0:1], off, s32 offset:540 ; 8-byte Folded Reload
	s_wait_loadcnt 0x0
	v_mul_u64_e32 v[0:1], v[24:25], v[0:1]
	v_mul_lo_u32 v0, v1, v4
	s_delay_alu instid0(VALU_DEP_1) | instskip(NEXT) | instid1(VALU_DEP_1)
	v_dual_sub_nc_u32 v0, v24, v0 :: v_dual_ashrrev_i32 v3, 31, v3
	v_sub_nc_u32_e32 v1, v0, v4
	v_cmp_ge_u32_e64 s1, v0, v4
	s_delay_alu instid0(VALU_DEP_1) | instskip(NEXT) | instid1(VALU_DEP_1)
	v_cndmask_b32_e64 v0, v0, v1, s1
	v_sub_nc_u32_e32 v1, v0, v4
	v_cmp_ge_u32_e64 s1, v0, v4
	s_delay_alu instid0(VALU_DEP_1) | instskip(NEXT) | instid1(VALU_DEP_1)
	v_cndmask_b32_e64 v0, v0, v1, s1
	v_xor_b32_e32 v0, v0, v3
	s_delay_alu instid0(VALU_DEP_1) | instskip(NEXT) | instid1(VALU_DEP_1)
	v_sub_nc_u32_e32 v0, v0, v3
	v_cmp_ne_u32_e64 s1, 0, v0
	scratch_load_b32 v0, off, s32 offset:440 ; 4-byte Folded Reload
	s_wait_loadcnt 0x0
	v_cmp_le_i32_e64 s2, v2, v0
	s_and_b32 s1, s1, s2
	s_wait_xcnt 0x0
	s_and_saveexec_b32 s2, s1
	s_delay_alu instid0(SALU_CYCLE_1)
	s_xor_b32 s1, exec_lo, s2
	s_cbranch_execz .LBB355_17
; %bb.16:                               ;   in Loop: Header=BB355_15 Depth=1
	s_wait_kmcnt 0x0
	v_dual_mov_b32 v1, 0xff7fffff :: v_dual_add_nc_u32 v0, s14, v5
	ds_store_b32 v0, v1
.LBB355_17:                             ;   in Loop: Header=BB355_15 Depth=1
	s_and_not1_saveexec_b32 s2, s1
	s_cbranch_execz .LBB355_14
; %bb.18:                               ;   in Loop: Header=BB355_15 Depth=1
	s_clause 0x3
	scratch_store_b64 off, v[8:9], s32 offset:556
	scratch_store_b32 off, v5, s32 offset:552
	scratch_store_b32 off, v7, s32 offset:548
	scratch_load_b64 v[0:1], off, s32 offset:412
	v_dual_mov_b32 v59, 0 :: v_dual_mov_b32 v58, 0
	s_mov_b32 s16, exec_lo
	s_wait_loadcnt 0x0
	flat_load_b32 v0, v[0:1]
	s_clause 0x1
	scratch_load_b64 v[2:3], off, s32 offset:824
	scratch_load_b64 v[4:5], off, s32 offset:1648
	s_wait_loadcnt_dscnt 0x0
	v_mad_nc_i64_i32 v[36:37], v0, v2, v[4:5]
	flat_load_b64 v[0:1], v[36:37]
	scratch_load_b64 v[2:3], off, s32 offset:832 ; 8-byte Folded Reload
	s_wait_loadcnt 0x0
	flat_load_b32 v104, v[2:3]
	s_wait_dscnt 0x1
	s_wait_xcnt 0x0
	v_and_b32_e32 v2, 0xff, v0
	s_delay_alu instid0(VALU_DEP_1)
	v_cmpx_ne_u16_e32 0, v2
	s_cbranch_execz .LBB355_26
; %bb.19:                               ;   in Loop: Header=BB355_15 Depth=1
	v_bfrev_b32_e32 v58, 1
	s_mov_b32 s17, exec_lo
	v_cmpx_ne_u16_e32 0x80, v2
	s_cbranch_execz .LBB355_25
; %bb.20:                               ;   in Loop: Header=BB355_15 Depth=1
	v_and_b32_e32 v2, 0x7f, v0
	v_mov_b32_e32 v58, 0x7f800001
	s_mov_b32 s18, exec_lo
	s_delay_alu instid0(VALU_DEP_2)
	v_cmpx_ne_u32_e32 0x7f, v2
	s_cbranch_execz .LBB355_24
; %bb.21:                               ;   in Loop: Header=BB355_15 Depth=1
	v_lshrrev_b32_e32 v4, 3, v2
	v_cmp_gt_u32_e64 s1, 8, v2
	v_mov_b64_e32 v[2:3], v[0:1]
	s_and_saveexec_b32 s19, s1
; %bb.22:                               ;   in Loop: Header=BB355_15 Depth=1
	v_and_b32_e32 v2, 7, v0
	s_delay_alu instid0(VALU_DEP_1) | instskip(NEXT) | instid1(VALU_DEP_1)
	v_clz_i32_u32_e32 v2, v2
	v_min_u32_e32 v4, 32, v2
	s_delay_alu instid0(VALU_DEP_1) | instskip(SKIP_1) | instid1(VALU_DEP_2)
	v_subrev_nc_u32_e32 v2, 28, v4
	v_sub_nc_u32_e32 v4, 29, v4
	v_lshlrev_b64_e32 v[2:3], v2, v[0:1]
; %bb.23:                               ;   in Loop: Header=BB355_15 Depth=1
	s_or_b32 exec_lo, exec_lo, s19
	s_delay_alu instid0(VALU_DEP_1) | instskip(NEXT) | instid1(VALU_DEP_3)
	v_dual_lshlrev_b32 v2, 20, v2 :: v_dual_lshlrev_b32 v3, 24, v0
	v_lshl_add_u32 v4, v4, 23, 0x3c000000
	s_delay_alu instid0(VALU_DEP_2) | instskip(NEXT) | instid1(VALU_DEP_3)
	v_and_b32_e32 v2, 0x700000, v2
	v_and_b32_e32 v3, 0x80000000, v3
	s_delay_alu instid0(VALU_DEP_1)
	v_or3_b32 v58, v2, v3, v4
.LBB355_24:                             ;   in Loop: Header=BB355_15 Depth=1
	s_or_b32 exec_lo, exec_lo, s18
.LBB355_25:                             ;   in Loop: Header=BB355_15 Depth=1
	s_delay_alu instid0(SALU_CYCLE_1)
	s_or_b32 exec_lo, exec_lo, s17
.LBB355_26:                             ;   in Loop: Header=BB355_15 Depth=1
	s_delay_alu instid0(SALU_CYCLE_1) | instskip(SKIP_2) | instid1(VALU_DEP_1)
	s_or_b32 exec_lo, exec_lo, s16
	v_lshrrev_b16 v2, 8, v0
	s_mov_b32 s16, exec_lo
	v_cmpx_ne_u16_e32 0, v2
	s_cbranch_execz .LBB355_34
; %bb.27:                               ;   in Loop: Header=BB355_15 Depth=1
	v_bfrev_b32_e32 v59, 1
	s_mov_b32 s17, exec_lo
	v_cmpx_ne_u16_e32 0x80, v2
	s_cbranch_execz .LBB355_33
; %bb.28:                               ;   in Loop: Header=BB355_15 Depth=1
	v_and_b32_e32 v3, 0xffff, v2
	v_mov_b32_e32 v59, 0x7f800001
	s_mov_b32 s18, exec_lo
	s_delay_alu instid0(VALU_DEP_2) | instskip(NEXT) | instid1(VALU_DEP_1)
	v_and_b32_e32 v2, 0x7f, v3
	v_cmpx_ne_u32_e32 0x7f, v2
	s_cbranch_execz .LBB355_32
; %bb.29:                               ;   in Loop: Header=BB355_15 Depth=1
	v_dual_lshrrev_b32 v4, 3, v2 :: v_dual_bitop2_b32 v24, 7, v3 bitop3:0x40
	v_cmp_gt_u32_e64 s1, 8, v2
	s_delay_alu instid0(VALU_DEP_2)
	v_mov_b64_e32 v[2:3], v[24:25]
	s_and_saveexec_b32 s19, s1
; %bb.30:                               ;   in Loop: Header=BB355_15 Depth=1
	v_clz_i32_u32_e32 v2, v24
	s_delay_alu instid0(VALU_DEP_1) | instskip(NEXT) | instid1(VALU_DEP_1)
	v_min_u32_e32 v4, 32, v2
	v_subrev_nc_u32_e32 v2, 28, v4
	s_delay_alu instid0(VALU_DEP_1) | instskip(NEXT) | instid1(VALU_DEP_1)
	v_lshlrev_b64_e32 v[2:3], v2, v[24:25]
	v_dual_sub_nc_u32 v4, 29, v4 :: v_dual_bitop2_b32 v2, 7, v2 bitop3:0x40
; %bb.31:                               ;   in Loop: Header=BB355_15 Depth=1
	s_or_b32 exec_lo, exec_lo, s19
	s_delay_alu instid0(VALU_DEP_1) | instskip(NEXT) | instid1(VALU_DEP_2)
	v_dual_lshlrev_b32 v3, 16, v0 :: v_dual_lshlrev_b32 v2, 20, v2
	v_lshl_add_u32 v4, v4, 23, 0x3c000000
	s_delay_alu instid0(VALU_DEP_2) | instskip(NEXT) | instid1(VALU_DEP_1)
	v_and_b32_e32 v3, 0x80000000, v3
	v_or3_b32 v59, v2, v3, v4
.LBB355_32:                             ;   in Loop: Header=BB355_15 Depth=1
	s_or_b32 exec_lo, exec_lo, s18
.LBB355_33:                             ;   in Loop: Header=BB355_15 Depth=1
	s_delay_alu instid0(SALU_CYCLE_1)
	s_or_b32 exec_lo, exec_lo, s17
.LBB355_34:                             ;   in Loop: Header=BB355_15 Depth=1
	s_delay_alu instid0(SALU_CYCLE_1) | instskip(SKIP_3) | instid1(VALU_DEP_2)
	s_or_b32 exec_lo, exec_lo, s16
	v_dual_mov_b32 v7, 0 :: v_dual_lshrrev_b32 v4, 16, v0
	v_mov_b32_e32 v6, 0
	s_mov_b32 s16, exec_lo
	v_and_b32_e32 v2, 0xff, v4
	scratch_store_b64 off, v[6:7], s32 offset:192 ; 8-byte Folded Spill
	s_wait_xcnt 0x0
	v_cmpx_ne_u16_e32 0, v2
	s_cbranch_execz .LBB355_42
; %bb.35:                               ;   in Loop: Header=BB355_15 Depth=1
	v_cmp_ne_u16_e64 s1, 0x80, v2
	scratch_load_b64 v[2:3], off, s32 offset:192 ; 8-byte Folded Reload
	s_wait_loadcnt 0x0
	v_bfrev_b32_e32 v2, 1
	scratch_store_b64 off, v[2:3], s32 offset:192 ; 8-byte Folded Spill
	s_wait_xcnt 0x0
	s_and_saveexec_b32 s17, s1
	s_cbranch_execz .LBB355_41
; %bb.36:                               ;   in Loop: Header=BB355_15 Depth=1
	scratch_load_b64 v[6:7], off, s32 offset:192 ; 8-byte Folded Reload
	v_bfe_u32 v2, v0, 16, 7
	s_wait_loadcnt 0x0
	v_mov_b32_e32 v6, 0x7f800001
	s_mov_b32 s18, exec_lo
	scratch_store_b64 off, v[6:7], s32 offset:192 ; 8-byte Folded Spill
	s_wait_xcnt 0x0
	v_cmpx_ne_u32_e32 0x7f, v2
	s_cbranch_execz .LBB355_40
; %bb.37:                               ;   in Loop: Header=BB355_15 Depth=1
	v_dual_lshrrev_b32 v5, 3, v2 :: v_dual_bitop2_b32 v24, 7, v4 bitop3:0x40
	v_cmp_gt_u32_e64 s1, 8, v2
	s_delay_alu instid0(VALU_DEP_2)
	v_mov_b64_e32 v[2:3], v[24:25]
	s_and_saveexec_b32 s19, s1
; %bb.38:                               ;   in Loop: Header=BB355_15 Depth=1
	v_clz_i32_u32_e32 v2, v24
	s_delay_alu instid0(VALU_DEP_1) | instskip(NEXT) | instid1(VALU_DEP_1)
	v_min_u32_e32 v5, 32, v2
	v_subrev_nc_u32_e32 v2, 28, v5
	s_delay_alu instid0(VALU_DEP_1) | instskip(NEXT) | instid1(VALU_DEP_1)
	v_lshlrev_b64_e32 v[2:3], v2, v[24:25]
	v_dual_sub_nc_u32 v5, 29, v5 :: v_dual_bitop2_b32 v2, 7, v2 bitop3:0x40
; %bb.39:                               ;   in Loop: Header=BB355_15 Depth=1
	s_or_b32 exec_lo, exec_lo, s19
	scratch_load_b64 v[6:7], off, s32 offset:192 ; 8-byte Folded Reload
	v_dual_lshlrev_b32 v3, 24, v4 :: v_dual_lshlrev_b32 v2, 20, v2
	v_lshl_add_u32 v4, v5, 23, 0x3c000000
	s_delay_alu instid0(VALU_DEP_2) | instskip(SKIP_1) | instid1(VALU_DEP_1)
	v_and_b32_e32 v3, 0x80000000, v3
	s_wait_loadcnt 0x0
	v_or3_b32 v6, v2, v3, v4
	scratch_store_b64 off, v[6:7], s32 offset:192 ; 8-byte Folded Spill
.LBB355_40:                             ;   in Loop: Header=BB355_15 Depth=1
	s_wait_xcnt 0x0
	s_or_b32 exec_lo, exec_lo, s18
.LBB355_41:                             ;   in Loop: Header=BB355_15 Depth=1
	s_delay_alu instid0(SALU_CYCLE_1)
	s_or_b32 exec_lo, exec_lo, s17
.LBB355_42:                             ;   in Loop: Header=BB355_15 Depth=1
	s_delay_alu instid0(SALU_CYCLE_1) | instskip(NEXT) | instid1(SALU_CYCLE_1)
	s_or_b32 exec_lo, exec_lo, s16
	s_mov_b32 s16, exec_lo
	v_cmpx_lt_u32_e32 0xffffff, v0
	s_cbranch_execz .LBB355_50
; %bb.43:                               ;   in Loop: Header=BB355_15 Depth=1
	scratch_load_b64 v[2:3], off, s32 offset:192 ; 8-byte Folded Reload
	v_lshrrev_b32_e32 v4, 24, v0
	s_wait_loadcnt 0x0
	v_bfrev_b32_e32 v3, 1
	s_mov_b32 s17, exec_lo
	scratch_store_b64 off, v[2:3], s32 offset:192 ; 8-byte Folded Spill
	s_wait_xcnt 0x0
	v_cmpx_ne_u32_e32 0x80, v4
	s_cbranch_execz .LBB355_49
; %bb.44:                               ;   in Loop: Header=BB355_15 Depth=1
	scratch_load_b64 v[6:7], off, s32 offset:192 ; 8-byte Folded Reload
	v_bfe_u32 v2, v0, 24, 7
	s_wait_loadcnt 0x0
	v_mov_b32_e32 v7, 0x7f800001
	s_mov_b32 s18, exec_lo
	scratch_store_b64 off, v[6:7], s32 offset:192 ; 8-byte Folded Spill
	s_wait_xcnt 0x0
	v_cmpx_ne_u32_e32 0x7f, v2
	s_cbranch_execz .LBB355_48
; %bb.45:                               ;   in Loop: Header=BB355_15 Depth=1
	v_dual_lshrrev_b32 v5, 3, v2 :: v_dual_bitop2_b32 v24, 7, v4 bitop3:0x40
	v_cmp_gt_u32_e64 s1, 8, v2
	s_delay_alu instid0(VALU_DEP_2)
	v_mov_b64_e32 v[2:3], v[24:25]
	s_and_saveexec_b32 s19, s1
; %bb.46:                               ;   in Loop: Header=BB355_15 Depth=1
	v_clz_i32_u32_e32 v2, v24
	s_delay_alu instid0(VALU_DEP_1) | instskip(NEXT) | instid1(VALU_DEP_1)
	v_min_u32_e32 v5, 32, v2
	v_subrev_nc_u32_e32 v2, 28, v5
	s_delay_alu instid0(VALU_DEP_1) | instskip(NEXT) | instid1(VALU_DEP_1)
	v_lshlrev_b64_e32 v[2:3], v2, v[24:25]
	v_dual_sub_nc_u32 v5, 29, v5 :: v_dual_bitop2_b32 v2, 7, v2 bitop3:0x40
; %bb.47:                               ;   in Loop: Header=BB355_15 Depth=1
	s_or_b32 exec_lo, exec_lo, s19
	scratch_load_b64 v[6:7], off, s32 offset:192 ; 8-byte Folded Reload
	v_dual_lshlrev_b32 v3, 24, v4 :: v_dual_lshlrev_b32 v2, 20, v2
	v_lshl_add_u32 v4, v5, 23, 0x3c000000
	s_delay_alu instid0(VALU_DEP_2) | instskip(SKIP_1) | instid1(VALU_DEP_1)
	v_and_b32_e32 v3, 0x80000000, v3
	s_wait_loadcnt 0x0
	v_or3_b32 v7, v2, v3, v4
	scratch_store_b64 off, v[6:7], s32 offset:192 ; 8-byte Folded Spill
.LBB355_48:                             ;   in Loop: Header=BB355_15 Depth=1
	s_wait_xcnt 0x0
	s_or_b32 exec_lo, exec_lo, s18
.LBB355_49:                             ;   in Loop: Header=BB355_15 Depth=1
	s_delay_alu instid0(SALU_CYCLE_1)
	s_or_b32 exec_lo, exec_lo, s17
.LBB355_50:                             ;   in Loop: Header=BB355_15 Depth=1
	s_delay_alu instid0(SALU_CYCLE_1)
	s_or_b32 exec_lo, exec_lo, s16
	v_and_b32_e32 v2, 0xff, v1
	v_dual_mov_b32 v24, v1 :: v_dual_mov_b32 v5, 0
	v_mov_b32_e32 v4, 0
	s_mov_b32 s16, exec_lo
	scratch_store_b64 off, v[4:5], s32 offset:200 ; 8-byte Folded Spill
	s_wait_xcnt 0x0
	v_cmpx_ne_u16_e32 0, v2
	s_cbranch_execz .LBB355_58
; %bb.51:                               ;   in Loop: Header=BB355_15 Depth=1
	v_cmp_ne_u16_e64 s1, 0x80, v2
	scratch_load_b64 v[2:3], off, s32 offset:200 ; 8-byte Folded Reload
	s_wait_loadcnt 0x0
	v_bfrev_b32_e32 v2, 1
	scratch_store_b64 off, v[2:3], s32 offset:200 ; 8-byte Folded Spill
	s_wait_xcnt 0x0
	s_and_saveexec_b32 s17, s1
	s_cbranch_execz .LBB355_57
; %bb.52:                               ;   in Loop: Header=BB355_15 Depth=1
	scratch_load_b64 v[4:5], off, s32 offset:200 ; 8-byte Folded Reload
	v_and_b32_e32 v2, 0x7f, v1
	s_wait_loadcnt 0x0
	v_mov_b32_e32 v4, 0x7f800001
	s_mov_b32 s18, exec_lo
	scratch_store_b64 off, v[4:5], s32 offset:200 ; 8-byte Folded Spill
	s_wait_xcnt 0x0
	v_cmpx_ne_u32_e32 0x7f, v2
	s_cbranch_execz .LBB355_56
; %bb.53:                               ;   in Loop: Header=BB355_15 Depth=1
	v_lshrrev_b32_e32 v4, 3, v2
	v_cmp_gt_u32_e64 s1, 8, v2
	v_mov_b64_e32 v[2:3], v[24:25]
	s_and_saveexec_b32 s19, s1
; %bb.54:                               ;   in Loop: Header=BB355_15 Depth=1
	v_and_b32_e32 v2, 7, v1
	s_delay_alu instid0(VALU_DEP_1) | instskip(NEXT) | instid1(VALU_DEP_1)
	v_clz_i32_u32_e32 v2, v2
	v_min_u32_e32 v4, 32, v2
	s_delay_alu instid0(VALU_DEP_1) | instskip(SKIP_1) | instid1(VALU_DEP_2)
	v_subrev_nc_u32_e32 v2, 28, v4
	v_sub_nc_u32_e32 v4, 29, v4
	v_lshlrev_b64_e32 v[2:3], v2, v[24:25]
; %bb.55:                               ;   in Loop: Header=BB355_15 Depth=1
	s_or_b32 exec_lo, exec_lo, s19
	scratch_load_b64 v[6:7], off, s32 offset:200 ; 8-byte Folded Reload
	v_dual_lshlrev_b32 v2, 20, v2 :: v_dual_lshlrev_b32 v3, 24, v24
	v_lshl_add_u32 v4, v4, 23, 0x3c000000
	s_delay_alu instid0(VALU_DEP_2) | instskip(NEXT) | instid1(VALU_DEP_3)
	v_and_b32_e32 v2, 0x700000, v2
	v_and_b32_e32 v3, 0x80000000, v3
	s_wait_loadcnt 0x0
	s_delay_alu instid0(VALU_DEP_1)
	v_or3_b32 v6, v2, v3, v4
	scratch_store_b64 off, v[6:7], s32 offset:200 ; 8-byte Folded Spill
.LBB355_56:                             ;   in Loop: Header=BB355_15 Depth=1
	s_wait_xcnt 0x0
	s_or_b32 exec_lo, exec_lo, s18
.LBB355_57:                             ;   in Loop: Header=BB355_15 Depth=1
	s_delay_alu instid0(SALU_CYCLE_1)
	s_or_b32 exec_lo, exec_lo, s17
.LBB355_58:                             ;   in Loop: Header=BB355_15 Depth=1
	s_delay_alu instid0(SALU_CYCLE_1) | instskip(SKIP_2) | instid1(VALU_DEP_1)
	s_or_b32 exec_lo, exec_lo, s16
	v_lshrrev_b16 v2, 8, v24
	s_mov_b32 s16, exec_lo
	v_cmpx_ne_u16_e32 0, v2
	s_cbranch_execz .LBB355_66
; %bb.59:                               ;   in Loop: Header=BB355_15 Depth=1
	scratch_load_b64 v[4:5], off, s32 offset:200 ; 8-byte Folded Reload
	s_wait_loadcnt 0x0
	v_bfrev_b32_e32 v5, 1
	s_mov_b32 s17, exec_lo
	scratch_store_b64 off, v[4:5], s32 offset:200 ; 8-byte Folded Spill
	s_wait_xcnt 0x0
	v_cmpx_ne_u16_e32 0x80, v2
	s_cbranch_execz .LBB355_65
; %bb.60:                               ;   in Loop: Header=BB355_15 Depth=1
	scratch_load_b64 v[6:7], off, s32 offset:200 ; 8-byte Folded Reload
	v_and_b32_e32 v2, 0xffff, v2
	s_wait_loadcnt 0x0
	v_mov_b32_e32 v7, 0x7f800001
	s_mov_b32 s18, exec_lo
	s_delay_alu instid0(VALU_DEP_2)
	v_and_b32_e32 v5, 0x7f, v2
	scratch_store_b64 off, v[6:7], s32 offset:200 ; 8-byte Folded Spill
	s_wait_xcnt 0x0
	v_cmpx_ne_u32_e32 0x7f, v5
	s_cbranch_execz .LBB355_64
; %bb.61:                               ;   in Loop: Header=BB355_15 Depth=1
	v_dual_mov_b32 v3, v25 :: v_dual_bitop2_b32 v2, 7, v2 bitop3:0x40
	v_lshrrev_b32_e32 v4, 3, v5
	s_mov_b32 s19, exec_lo
	v_cmpx_gt_u32_e32 8, v5
; %bb.62:                               ;   in Loop: Header=BB355_15 Depth=1
	s_delay_alu instid0(VALU_DEP_3) | instskip(NEXT) | instid1(VALU_DEP_1)
	v_clz_i32_u32_e32 v4, v2
	v_min_u32_e32 v4, 32, v4
	s_delay_alu instid0(VALU_DEP_1) | instskip(NEXT) | instid1(VALU_DEP_1)
	v_subrev_nc_u32_e32 v5, 28, v4
	v_lshlrev_b64_e32 v[2:3], v5, v[2:3]
	s_delay_alu instid0(VALU_DEP_1)
	v_dual_sub_nc_u32 v4, 29, v4 :: v_dual_bitop2_b32 v2, 7, v2 bitop3:0x40
; %bb.63:                               ;   in Loop: Header=BB355_15 Depth=1
	s_or_b32 exec_lo, exec_lo, s19
	scratch_load_b64 v[6:7], off, s32 offset:200 ; 8-byte Folded Reload
	v_dual_lshlrev_b32 v3, 16, v24 :: v_dual_lshlrev_b32 v2, 20, v2
	v_lshl_add_u32 v4, v4, 23, 0x3c000000
	s_delay_alu instid0(VALU_DEP_2) | instskip(SKIP_1) | instid1(VALU_DEP_1)
	v_and_b32_e32 v3, 0x80000000, v3
	s_wait_loadcnt 0x0
	v_or3_b32 v7, v2, v3, v4
	scratch_store_b64 off, v[6:7], s32 offset:200 ; 8-byte Folded Spill
.LBB355_64:                             ;   in Loop: Header=BB355_15 Depth=1
	s_wait_xcnt 0x0
	s_or_b32 exec_lo, exec_lo, s18
.LBB355_65:                             ;   in Loop: Header=BB355_15 Depth=1
	s_delay_alu instid0(SALU_CYCLE_1)
	s_or_b32 exec_lo, exec_lo, s17
.LBB355_66:                             ;   in Loop: Header=BB355_15 Depth=1
	s_delay_alu instid0(SALU_CYCLE_1) | instskip(SKIP_3) | instid1(VALU_DEP_2)
	s_or_b32 exec_lo, exec_lo, s16
	v_dual_mov_b32 v7, 0 :: v_dual_lshrrev_b32 v4, 16, v1
	v_mov_b32_e32 v6, 0
	s_mov_b32 s16, exec_lo
	v_and_b32_e32 v2, 0xff, v4
	scratch_store_b64 off, v[6:7], s32 offset:208 ; 8-byte Folded Spill
	s_wait_xcnt 0x0
	v_cmpx_ne_u16_e32 0, v2
	s_cbranch_execz .LBB355_74
; %bb.67:                               ;   in Loop: Header=BB355_15 Depth=1
	v_cmp_ne_u16_e64 s1, 0x80, v2
	scratch_load_b64 v[2:3], off, s32 offset:208 ; 8-byte Folded Reload
	s_wait_loadcnt 0x0
	v_bfrev_b32_e32 v2, 1
	scratch_store_b64 off, v[2:3], s32 offset:208 ; 8-byte Folded Spill
	s_wait_xcnt 0x0
	s_and_saveexec_b32 s17, s1
	s_cbranch_execz .LBB355_73
; %bb.68:                               ;   in Loop: Header=BB355_15 Depth=1
	scratch_load_b64 v[6:7], off, s32 offset:208 ; 8-byte Folded Reload
	v_bfe_u32 v2, v1, 16, 7
	s_wait_loadcnt 0x0
	v_mov_b32_e32 v6, 0x7f800001
	s_mov_b32 s18, exec_lo
	scratch_store_b64 off, v[6:7], s32 offset:208 ; 8-byte Folded Spill
	s_wait_xcnt 0x0
	v_cmpx_ne_u32_e32 0x7f, v2
	s_cbranch_execz .LBB355_72
; %bb.69:                               ;   in Loop: Header=BB355_15 Depth=1
	v_dual_lshrrev_b32 v5, 3, v2 :: v_dual_bitop2_b32 v24, 7, v4 bitop3:0x40
	v_cmp_gt_u32_e64 s1, 8, v2
	s_delay_alu instid0(VALU_DEP_2)
	v_mov_b64_e32 v[2:3], v[24:25]
	s_and_saveexec_b32 s19, s1
; %bb.70:                               ;   in Loop: Header=BB355_15 Depth=1
	v_clz_i32_u32_e32 v2, v24
	s_delay_alu instid0(VALU_DEP_1) | instskip(NEXT) | instid1(VALU_DEP_1)
	v_min_u32_e32 v5, 32, v2
	v_subrev_nc_u32_e32 v2, 28, v5
	s_delay_alu instid0(VALU_DEP_1) | instskip(NEXT) | instid1(VALU_DEP_1)
	v_lshlrev_b64_e32 v[2:3], v2, v[24:25]
	v_dual_sub_nc_u32 v5, 29, v5 :: v_dual_bitop2_b32 v2, 7, v2 bitop3:0x40
; %bb.71:                               ;   in Loop: Header=BB355_15 Depth=1
	s_or_b32 exec_lo, exec_lo, s19
	scratch_load_b64 v[6:7], off, s32 offset:208 ; 8-byte Folded Reload
	v_dual_lshlrev_b32 v3, 24, v4 :: v_dual_lshlrev_b32 v2, 20, v2
	v_lshl_add_u32 v4, v5, 23, 0x3c000000
	s_delay_alu instid0(VALU_DEP_2) | instskip(SKIP_1) | instid1(VALU_DEP_1)
	v_and_b32_e32 v3, 0x80000000, v3
	s_wait_loadcnt 0x0
	v_or3_b32 v6, v2, v3, v4
	scratch_store_b64 off, v[6:7], s32 offset:208 ; 8-byte Folded Spill
.LBB355_72:                             ;   in Loop: Header=BB355_15 Depth=1
	s_wait_xcnt 0x0
	s_or_b32 exec_lo, exec_lo, s18
.LBB355_73:                             ;   in Loop: Header=BB355_15 Depth=1
	s_delay_alu instid0(SALU_CYCLE_1)
	s_or_b32 exec_lo, exec_lo, s17
.LBB355_74:                             ;   in Loop: Header=BB355_15 Depth=1
	s_delay_alu instid0(SALU_CYCLE_1) | instskip(NEXT) | instid1(SALU_CYCLE_1)
	s_or_b32 exec_lo, exec_lo, s16
	s_mov_b32 s16, exec_lo
	v_cmpx_lt_u64_e64 s[8:9], v[0:1]
	s_cbranch_execz .LBB355_82
; %bb.75:                               ;   in Loop: Header=BB355_15 Depth=1
	scratch_load_b64 v[4:5], off, s32 offset:208 ; 8-byte Folded Reload
	v_lshrrev_b32_e32 v2, 24, v1
	s_wait_loadcnt 0x0
	v_bfrev_b32_e32 v5, 1
	s_mov_b32 s17, exec_lo
	scratch_store_b64 off, v[4:5], s32 offset:208 ; 8-byte Folded Spill
	s_wait_xcnt 0x0
	v_cmpx_ne_u32_e32 0x80, v2
	s_cbranch_execz .LBB355_81
; %bb.76:                               ;   in Loop: Header=BB355_15 Depth=1
	scratch_load_b64 v[4:5], off, s32 offset:208 ; 8-byte Folded Reload
	v_bfe_u32 v0, v1, 24, 7
	s_wait_loadcnt 0x0
	v_mov_b32_e32 v5, 0x7f800001
	s_mov_b32 s18, exec_lo
	scratch_store_b64 off, v[4:5], s32 offset:208 ; 8-byte Folded Spill
	s_wait_xcnt 0x0
	v_cmpx_ne_u32_e32 0x7f, v0
	s_cbranch_execz .LBB355_80
; %bb.77:                               ;   in Loop: Header=BB355_15 Depth=1
	v_dual_lshrrev_b32 v3, 3, v0 :: v_dual_bitop2_b32 v24, 7, v2 bitop3:0x40
	v_cmp_gt_u32_e64 s1, 8, v0
	s_delay_alu instid0(VALU_DEP_2)
	v_mov_b64_e32 v[0:1], v[24:25]
	s_and_saveexec_b32 s19, s1
; %bb.78:                               ;   in Loop: Header=BB355_15 Depth=1
	v_clz_i32_u32_e32 v0, v24
	s_delay_alu instid0(VALU_DEP_1) | instskip(NEXT) | instid1(VALU_DEP_1)
	v_min_u32_e32 v3, 32, v0
	v_subrev_nc_u32_e32 v0, 28, v3
	s_delay_alu instid0(VALU_DEP_1) | instskip(NEXT) | instid1(VALU_DEP_1)
	v_lshlrev_b64_e32 v[0:1], v0, v[24:25]
	v_dual_sub_nc_u32 v3, 29, v3 :: v_dual_bitop2_b32 v0, 7, v0 bitop3:0x40
; %bb.79:                               ;   in Loop: Header=BB355_15 Depth=1
	s_or_b32 exec_lo, exec_lo, s19
	scratch_load_b64 v[4:5], off, s32 offset:208 ; 8-byte Folded Reload
	v_dual_lshlrev_b32 v1, 24, v2 :: v_dual_lshlrev_b32 v0, 20, v0
	v_lshl_add_u32 v2, v3, 23, 0x3c000000
	s_delay_alu instid0(VALU_DEP_2) | instskip(SKIP_1) | instid1(VALU_DEP_1)
	v_and_b32_e32 v1, 0x80000000, v1
	s_wait_loadcnt 0x0
	v_or3_b32 v5, v0, v1, v2
	scratch_store_b64 off, v[4:5], s32 offset:208 ; 8-byte Folded Spill
.LBB355_80:                             ;   in Loop: Header=BB355_15 Depth=1
	s_wait_xcnt 0x0
	s_or_b32 exec_lo, exec_lo, s18
.LBB355_81:                             ;   in Loop: Header=BB355_15 Depth=1
	s_delay_alu instid0(SALU_CYCLE_1)
	s_or_b32 exec_lo, exec_lo, s17
.LBB355_82:                             ;   in Loop: Header=BB355_15 Depth=1
	s_delay_alu instid0(SALU_CYCLE_1)
	s_or_b32 exec_lo, exec_lo, s16
	flat_load_b64 v[0:1], v[36:37] offset:8
	v_dual_mov_b32 v5, 0 :: v_dual_mov_b32 v4, 0
	s_mov_b32 s16, exec_lo
	scratch_store_b64 off, v[4:5], s32 offset:216 ; 8-byte Folded Spill
	s_wait_loadcnt_dscnt 0x0
	v_and_b32_e32 v2, 0xff, v0
	s_wait_xcnt 0x0
	s_delay_alu instid0(VALU_DEP_1)
	v_cmpx_ne_u16_e32 0, v2
	s_cbranch_execz .LBB355_90
; %bb.83:                               ;   in Loop: Header=BB355_15 Depth=1
	v_cmp_ne_u16_e64 s1, 0x80, v2
	scratch_load_b64 v[2:3], off, s32 offset:216 ; 8-byte Folded Reload
	s_wait_loadcnt 0x0
	v_bfrev_b32_e32 v2, 1
	scratch_store_b64 off, v[2:3], s32 offset:216 ; 8-byte Folded Spill
	s_wait_xcnt 0x0
	s_and_saveexec_b32 s17, s1
	s_cbranch_execz .LBB355_89
; %bb.84:                               ;   in Loop: Header=BB355_15 Depth=1
	scratch_load_b64 v[4:5], off, s32 offset:216 ; 8-byte Folded Reload
	v_and_b32_e32 v2, 0x7f, v0
	s_wait_loadcnt 0x0
	v_mov_b32_e32 v4, 0x7f800001
	s_mov_b32 s18, exec_lo
	scratch_store_b64 off, v[4:5], s32 offset:216 ; 8-byte Folded Spill
	s_wait_xcnt 0x0
	v_cmpx_ne_u32_e32 0x7f, v2
	s_cbranch_execz .LBB355_88
; %bb.85:                               ;   in Loop: Header=BB355_15 Depth=1
	v_lshrrev_b32_e32 v4, 3, v2
	v_cmp_gt_u32_e64 s1, 8, v2
	v_mov_b64_e32 v[2:3], v[0:1]
	s_and_saveexec_b32 s19, s1
; %bb.86:                               ;   in Loop: Header=BB355_15 Depth=1
	v_and_b32_e32 v2, 7, v0
	s_delay_alu instid0(VALU_DEP_1) | instskip(NEXT) | instid1(VALU_DEP_1)
	v_clz_i32_u32_e32 v2, v2
	v_min_u32_e32 v4, 32, v2
	s_delay_alu instid0(VALU_DEP_1) | instskip(SKIP_1) | instid1(VALU_DEP_2)
	v_subrev_nc_u32_e32 v2, 28, v4
	v_sub_nc_u32_e32 v4, 29, v4
	v_lshlrev_b64_e32 v[2:3], v2, v[0:1]
; %bb.87:                               ;   in Loop: Header=BB355_15 Depth=1
	s_or_b32 exec_lo, exec_lo, s19
	scratch_load_b64 v[6:7], off, s32 offset:216 ; 8-byte Folded Reload
	v_dual_lshlrev_b32 v2, 20, v2 :: v_dual_lshlrev_b32 v3, 24, v0
	v_lshl_add_u32 v4, v4, 23, 0x3c000000
	s_delay_alu instid0(VALU_DEP_2) | instskip(NEXT) | instid1(VALU_DEP_3)
	v_and_b32_e32 v2, 0x700000, v2
	v_and_b32_e32 v3, 0x80000000, v3
	s_wait_loadcnt 0x0
	s_delay_alu instid0(VALU_DEP_1)
	v_or3_b32 v6, v2, v3, v4
	scratch_store_b64 off, v[6:7], s32 offset:216 ; 8-byte Folded Spill
.LBB355_88:                             ;   in Loop: Header=BB355_15 Depth=1
	s_wait_xcnt 0x0
	s_or_b32 exec_lo, exec_lo, s18
.LBB355_89:                             ;   in Loop: Header=BB355_15 Depth=1
	s_delay_alu instid0(SALU_CYCLE_1)
	s_or_b32 exec_lo, exec_lo, s17
.LBB355_90:                             ;   in Loop: Header=BB355_15 Depth=1
	s_delay_alu instid0(SALU_CYCLE_1) | instskip(SKIP_2) | instid1(VALU_DEP_1)
	s_or_b32 exec_lo, exec_lo, s16
	v_lshrrev_b16 v2, 8, v0
	s_mov_b32 s16, exec_lo
	v_cmpx_ne_u16_e32 0, v2
	s_cbranch_execz .LBB355_98
; %bb.91:                               ;   in Loop: Header=BB355_15 Depth=1
	scratch_load_b64 v[4:5], off, s32 offset:216 ; 8-byte Folded Reload
	s_wait_loadcnt 0x0
	v_bfrev_b32_e32 v5, 1
	s_mov_b32 s17, exec_lo
	scratch_store_b64 off, v[4:5], s32 offset:216 ; 8-byte Folded Spill
	s_wait_xcnt 0x0
	v_cmpx_ne_u16_e32 0x80, v2
	s_cbranch_execz .LBB355_97
; %bb.92:                               ;   in Loop: Header=BB355_15 Depth=1
	scratch_load_b64 v[4:5], off, s32 offset:216 ; 8-byte Folded Reload
	v_and_b32_e32 v3, 0xffff, v2
	s_wait_loadcnt 0x0
	v_mov_b32_e32 v5, 0x7f800001
	s_mov_b32 s18, exec_lo
	s_delay_alu instid0(VALU_DEP_2)
	v_and_b32_e32 v2, 0x7f, v3
	scratch_store_b64 off, v[4:5], s32 offset:216 ; 8-byte Folded Spill
	s_wait_xcnt 0x0
	v_cmpx_ne_u32_e32 0x7f, v2
	s_cbranch_execz .LBB355_96
; %bb.93:                               ;   in Loop: Header=BB355_15 Depth=1
	v_dual_lshrrev_b32 v4, 3, v2 :: v_dual_bitop2_b32 v24, 7, v3 bitop3:0x40
	v_cmp_gt_u32_e64 s1, 8, v2
	s_delay_alu instid0(VALU_DEP_2)
	v_mov_b64_e32 v[2:3], v[24:25]
	s_and_saveexec_b32 s19, s1
; %bb.94:                               ;   in Loop: Header=BB355_15 Depth=1
	v_clz_i32_u32_e32 v2, v24
	s_delay_alu instid0(VALU_DEP_1) | instskip(NEXT) | instid1(VALU_DEP_1)
	v_min_u32_e32 v4, 32, v2
	v_subrev_nc_u32_e32 v2, 28, v4
	s_delay_alu instid0(VALU_DEP_1) | instskip(NEXT) | instid1(VALU_DEP_1)
	v_lshlrev_b64_e32 v[2:3], v2, v[24:25]
	v_dual_sub_nc_u32 v4, 29, v4 :: v_dual_bitop2_b32 v2, 7, v2 bitop3:0x40
; %bb.95:                               ;   in Loop: Header=BB355_15 Depth=1
	s_or_b32 exec_lo, exec_lo, s19
	scratch_load_b64 v[6:7], off, s32 offset:216 ; 8-byte Folded Reload
	v_dual_lshlrev_b32 v3, 16, v0 :: v_dual_lshlrev_b32 v2, 20, v2
	v_lshl_add_u32 v4, v4, 23, 0x3c000000
	s_delay_alu instid0(VALU_DEP_2) | instskip(SKIP_1) | instid1(VALU_DEP_1)
	v_and_b32_e32 v3, 0x80000000, v3
	s_wait_loadcnt 0x0
	v_or3_b32 v7, v2, v3, v4
	scratch_store_b64 off, v[6:7], s32 offset:216 ; 8-byte Folded Spill
.LBB355_96:                             ;   in Loop: Header=BB355_15 Depth=1
	s_wait_xcnt 0x0
	s_or_b32 exec_lo, exec_lo, s18
.LBB355_97:                             ;   in Loop: Header=BB355_15 Depth=1
	s_delay_alu instid0(SALU_CYCLE_1)
	s_or_b32 exec_lo, exec_lo, s17
.LBB355_98:                             ;   in Loop: Header=BB355_15 Depth=1
	s_delay_alu instid0(SALU_CYCLE_1) | instskip(SKIP_3) | instid1(VALU_DEP_2)
	s_or_b32 exec_lo, exec_lo, s16
	v_dual_mov_b32 v7, 0 :: v_dual_lshrrev_b32 v4, 16, v0
	v_mov_b32_e32 v6, 0
	s_mov_b32 s16, exec_lo
	v_and_b32_e32 v2, 0xff, v4
	scratch_store_b64 off, v[6:7], s32 offset:224 ; 8-byte Folded Spill
	s_wait_xcnt 0x0
	v_cmpx_ne_u16_e32 0, v2
	s_cbranch_execz .LBB355_106
; %bb.99:                               ;   in Loop: Header=BB355_15 Depth=1
	v_cmp_ne_u16_e64 s1, 0x80, v2
	scratch_load_b64 v[2:3], off, s32 offset:224 ; 8-byte Folded Reload
	s_wait_loadcnt 0x0
	v_bfrev_b32_e32 v2, 1
	scratch_store_b64 off, v[2:3], s32 offset:224 ; 8-byte Folded Spill
	s_wait_xcnt 0x0
	s_and_saveexec_b32 s17, s1
	s_cbranch_execz .LBB355_105
; %bb.100:                              ;   in Loop: Header=BB355_15 Depth=1
	scratch_load_b64 v[6:7], off, s32 offset:224 ; 8-byte Folded Reload
	v_bfe_u32 v2, v0, 16, 7
	s_wait_loadcnt 0x0
	v_mov_b32_e32 v6, 0x7f800001
	s_mov_b32 s18, exec_lo
	scratch_store_b64 off, v[6:7], s32 offset:224 ; 8-byte Folded Spill
	s_wait_xcnt 0x0
	v_cmpx_ne_u32_e32 0x7f, v2
	s_cbranch_execz .LBB355_104
; %bb.101:                              ;   in Loop: Header=BB355_15 Depth=1
	v_dual_lshrrev_b32 v5, 3, v2 :: v_dual_bitop2_b32 v24, 7, v4 bitop3:0x40
	v_cmp_gt_u32_e64 s1, 8, v2
	s_delay_alu instid0(VALU_DEP_2)
	v_mov_b64_e32 v[2:3], v[24:25]
	s_and_saveexec_b32 s19, s1
; %bb.102:                              ;   in Loop: Header=BB355_15 Depth=1
	v_clz_i32_u32_e32 v2, v24
	s_delay_alu instid0(VALU_DEP_1) | instskip(NEXT) | instid1(VALU_DEP_1)
	v_min_u32_e32 v5, 32, v2
	v_subrev_nc_u32_e32 v2, 28, v5
	s_delay_alu instid0(VALU_DEP_1) | instskip(NEXT) | instid1(VALU_DEP_1)
	v_lshlrev_b64_e32 v[2:3], v2, v[24:25]
	v_dual_sub_nc_u32 v5, 29, v5 :: v_dual_bitop2_b32 v2, 7, v2 bitop3:0x40
; %bb.103:                              ;   in Loop: Header=BB355_15 Depth=1
	s_or_b32 exec_lo, exec_lo, s19
	scratch_load_b64 v[6:7], off, s32 offset:224 ; 8-byte Folded Reload
	v_dual_lshlrev_b32 v3, 24, v4 :: v_dual_lshlrev_b32 v2, 20, v2
	v_lshl_add_u32 v4, v5, 23, 0x3c000000
	s_delay_alu instid0(VALU_DEP_2) | instskip(SKIP_1) | instid1(VALU_DEP_1)
	v_and_b32_e32 v3, 0x80000000, v3
	s_wait_loadcnt 0x0
	v_or3_b32 v6, v2, v3, v4
	scratch_store_b64 off, v[6:7], s32 offset:224 ; 8-byte Folded Spill
.LBB355_104:                            ;   in Loop: Header=BB355_15 Depth=1
	s_wait_xcnt 0x0
	s_or_b32 exec_lo, exec_lo, s18
.LBB355_105:                            ;   in Loop: Header=BB355_15 Depth=1
	s_delay_alu instid0(SALU_CYCLE_1)
	s_or_b32 exec_lo, exec_lo, s17
.LBB355_106:                            ;   in Loop: Header=BB355_15 Depth=1
	s_delay_alu instid0(SALU_CYCLE_1) | instskip(NEXT) | instid1(SALU_CYCLE_1)
	s_or_b32 exec_lo, exec_lo, s16
	s_mov_b32 s16, exec_lo
	v_cmpx_lt_u32_e32 0xffffff, v0
	s_cbranch_execz .LBB355_114
; %bb.107:                              ;   in Loop: Header=BB355_15 Depth=1
	scratch_load_b64 v[2:3], off, s32 offset:224 ; 8-byte Folded Reload
	v_lshrrev_b32_e32 v4, 24, v0
	s_wait_loadcnt 0x0
	v_bfrev_b32_e32 v3, 1
	s_mov_b32 s17, exec_lo
	scratch_store_b64 off, v[2:3], s32 offset:224 ; 8-byte Folded Spill
	s_wait_xcnt 0x0
	v_cmpx_ne_u32_e32 0x80, v4
	s_cbranch_execz .LBB355_113
; %bb.108:                              ;   in Loop: Header=BB355_15 Depth=1
	scratch_load_b64 v[6:7], off, s32 offset:224 ; 8-byte Folded Reload
	v_bfe_u32 v2, v0, 24, 7
	s_wait_loadcnt 0x0
	v_mov_b32_e32 v7, 0x7f800001
	s_mov_b32 s18, exec_lo
	scratch_store_b64 off, v[6:7], s32 offset:224 ; 8-byte Folded Spill
	s_wait_xcnt 0x0
	v_cmpx_ne_u32_e32 0x7f, v2
	s_cbranch_execz .LBB355_112
; %bb.109:                              ;   in Loop: Header=BB355_15 Depth=1
	v_dual_lshrrev_b32 v5, 3, v2 :: v_dual_bitop2_b32 v24, 7, v4 bitop3:0x40
	v_cmp_gt_u32_e64 s1, 8, v2
	s_delay_alu instid0(VALU_DEP_2)
	v_mov_b64_e32 v[2:3], v[24:25]
	s_and_saveexec_b32 s19, s1
; %bb.110:                              ;   in Loop: Header=BB355_15 Depth=1
	v_clz_i32_u32_e32 v2, v24
	s_delay_alu instid0(VALU_DEP_1) | instskip(NEXT) | instid1(VALU_DEP_1)
	v_min_u32_e32 v5, 32, v2
	v_subrev_nc_u32_e32 v2, 28, v5
	s_delay_alu instid0(VALU_DEP_1) | instskip(NEXT) | instid1(VALU_DEP_1)
	v_lshlrev_b64_e32 v[2:3], v2, v[24:25]
	v_dual_sub_nc_u32 v5, 29, v5 :: v_dual_bitop2_b32 v2, 7, v2 bitop3:0x40
; %bb.111:                              ;   in Loop: Header=BB355_15 Depth=1
	s_or_b32 exec_lo, exec_lo, s19
	scratch_load_b64 v[6:7], off, s32 offset:224 ; 8-byte Folded Reload
	v_dual_lshlrev_b32 v3, 24, v4 :: v_dual_lshlrev_b32 v2, 20, v2
	v_lshl_add_u32 v4, v5, 23, 0x3c000000
	s_delay_alu instid0(VALU_DEP_2) | instskip(SKIP_1) | instid1(VALU_DEP_1)
	v_and_b32_e32 v3, 0x80000000, v3
	s_wait_loadcnt 0x0
	v_or3_b32 v7, v2, v3, v4
	scratch_store_b64 off, v[6:7], s32 offset:224 ; 8-byte Folded Spill
.LBB355_112:                            ;   in Loop: Header=BB355_15 Depth=1
	s_wait_xcnt 0x0
	s_or_b32 exec_lo, exec_lo, s18
.LBB355_113:                            ;   in Loop: Header=BB355_15 Depth=1
	s_delay_alu instid0(SALU_CYCLE_1)
	s_or_b32 exec_lo, exec_lo, s17
.LBB355_114:                            ;   in Loop: Header=BB355_15 Depth=1
	s_delay_alu instid0(SALU_CYCLE_1)
	s_or_b32 exec_lo, exec_lo, s16
	v_and_b32_e32 v2, 0xff, v1
	v_dual_mov_b32 v24, v1 :: v_dual_mov_b32 v5, 0
	v_mov_b32_e32 v4, 0
	s_mov_b32 s16, exec_lo
	scratch_store_b64 off, v[4:5], s32 offset:232 ; 8-byte Folded Spill
	s_wait_xcnt 0x0
	v_cmpx_ne_u16_e32 0, v2
	s_cbranch_execz .LBB355_122
; %bb.115:                              ;   in Loop: Header=BB355_15 Depth=1
	v_cmp_ne_u16_e64 s1, 0x80, v2
	scratch_load_b64 v[2:3], off, s32 offset:232 ; 8-byte Folded Reload
	s_wait_loadcnt 0x0
	v_bfrev_b32_e32 v2, 1
	scratch_store_b64 off, v[2:3], s32 offset:232 ; 8-byte Folded Spill
	s_wait_xcnt 0x0
	s_and_saveexec_b32 s17, s1
	s_cbranch_execz .LBB355_121
; %bb.116:                              ;   in Loop: Header=BB355_15 Depth=1
	scratch_load_b64 v[4:5], off, s32 offset:232 ; 8-byte Folded Reload
	v_and_b32_e32 v2, 0x7f, v1
	s_wait_loadcnt 0x0
	v_mov_b32_e32 v4, 0x7f800001
	s_mov_b32 s18, exec_lo
	scratch_store_b64 off, v[4:5], s32 offset:232 ; 8-byte Folded Spill
	s_wait_xcnt 0x0
	v_cmpx_ne_u32_e32 0x7f, v2
	s_cbranch_execz .LBB355_120
; %bb.117:                              ;   in Loop: Header=BB355_15 Depth=1
	v_lshrrev_b32_e32 v4, 3, v2
	v_cmp_gt_u32_e64 s1, 8, v2
	v_mov_b64_e32 v[2:3], v[24:25]
	s_and_saveexec_b32 s19, s1
; %bb.118:                              ;   in Loop: Header=BB355_15 Depth=1
	v_and_b32_e32 v2, 7, v1
	s_delay_alu instid0(VALU_DEP_1) | instskip(NEXT) | instid1(VALU_DEP_1)
	v_clz_i32_u32_e32 v2, v2
	v_min_u32_e32 v4, 32, v2
	s_delay_alu instid0(VALU_DEP_1) | instskip(SKIP_1) | instid1(VALU_DEP_2)
	v_subrev_nc_u32_e32 v2, 28, v4
	v_sub_nc_u32_e32 v4, 29, v4
	v_lshlrev_b64_e32 v[2:3], v2, v[24:25]
; %bb.119:                              ;   in Loop: Header=BB355_15 Depth=1
	s_or_b32 exec_lo, exec_lo, s19
	scratch_load_b64 v[6:7], off, s32 offset:232 ; 8-byte Folded Reload
	v_dual_lshlrev_b32 v2, 20, v2 :: v_dual_lshlrev_b32 v3, 24, v24
	v_lshl_add_u32 v4, v4, 23, 0x3c000000
	s_delay_alu instid0(VALU_DEP_2) | instskip(NEXT) | instid1(VALU_DEP_3)
	v_and_b32_e32 v2, 0x700000, v2
	v_and_b32_e32 v3, 0x80000000, v3
	s_wait_loadcnt 0x0
	s_delay_alu instid0(VALU_DEP_1)
	v_or3_b32 v6, v2, v3, v4
	scratch_store_b64 off, v[6:7], s32 offset:232 ; 8-byte Folded Spill
.LBB355_120:                            ;   in Loop: Header=BB355_15 Depth=1
	s_wait_xcnt 0x0
	s_or_b32 exec_lo, exec_lo, s18
.LBB355_121:                            ;   in Loop: Header=BB355_15 Depth=1
	s_delay_alu instid0(SALU_CYCLE_1)
	s_or_b32 exec_lo, exec_lo, s17
.LBB355_122:                            ;   in Loop: Header=BB355_15 Depth=1
	s_delay_alu instid0(SALU_CYCLE_1) | instskip(SKIP_2) | instid1(VALU_DEP_1)
	s_or_b32 exec_lo, exec_lo, s16
	v_lshrrev_b16 v2, 8, v24
	s_mov_b32 s16, exec_lo
	v_cmpx_ne_u16_e32 0, v2
	s_cbranch_execz .LBB355_130
; %bb.123:                              ;   in Loop: Header=BB355_15 Depth=1
	scratch_load_b64 v[4:5], off, s32 offset:232 ; 8-byte Folded Reload
	s_wait_loadcnt 0x0
	v_bfrev_b32_e32 v5, 1
	s_mov_b32 s17, exec_lo
	scratch_store_b64 off, v[4:5], s32 offset:232 ; 8-byte Folded Spill
	s_wait_xcnt 0x0
	v_cmpx_ne_u16_e32 0x80, v2
	s_cbranch_execz .LBB355_129
; %bb.124:                              ;   in Loop: Header=BB355_15 Depth=1
	scratch_load_b64 v[6:7], off, s32 offset:232 ; 8-byte Folded Reload
	v_and_b32_e32 v2, 0xffff, v2
	s_wait_loadcnt 0x0
	v_mov_b32_e32 v7, 0x7f800001
	s_mov_b32 s18, exec_lo
	s_delay_alu instid0(VALU_DEP_2)
	v_and_b32_e32 v5, 0x7f, v2
	scratch_store_b64 off, v[6:7], s32 offset:232 ; 8-byte Folded Spill
	s_wait_xcnt 0x0
	v_cmpx_ne_u32_e32 0x7f, v5
	s_cbranch_execz .LBB355_128
; %bb.125:                              ;   in Loop: Header=BB355_15 Depth=1
	v_dual_mov_b32 v3, v25 :: v_dual_bitop2_b32 v2, 7, v2 bitop3:0x40
	v_lshrrev_b32_e32 v4, 3, v5
	s_mov_b32 s19, exec_lo
	v_cmpx_gt_u32_e32 8, v5
; %bb.126:                              ;   in Loop: Header=BB355_15 Depth=1
	s_delay_alu instid0(VALU_DEP_3) | instskip(NEXT) | instid1(VALU_DEP_1)
	v_clz_i32_u32_e32 v4, v2
	v_min_u32_e32 v4, 32, v4
	s_delay_alu instid0(VALU_DEP_1) | instskip(NEXT) | instid1(VALU_DEP_1)
	v_subrev_nc_u32_e32 v5, 28, v4
	v_lshlrev_b64_e32 v[2:3], v5, v[2:3]
	s_delay_alu instid0(VALU_DEP_1)
	v_dual_sub_nc_u32 v4, 29, v4 :: v_dual_bitop2_b32 v2, 7, v2 bitop3:0x40
; %bb.127:                              ;   in Loop: Header=BB355_15 Depth=1
	s_or_b32 exec_lo, exec_lo, s19
	scratch_load_b64 v[6:7], off, s32 offset:232 ; 8-byte Folded Reload
	v_dual_lshlrev_b32 v3, 16, v24 :: v_dual_lshlrev_b32 v2, 20, v2
	v_lshl_add_u32 v4, v4, 23, 0x3c000000
	s_delay_alu instid0(VALU_DEP_2) | instskip(SKIP_1) | instid1(VALU_DEP_1)
	v_and_b32_e32 v3, 0x80000000, v3
	s_wait_loadcnt 0x0
	v_or3_b32 v7, v2, v3, v4
	scratch_store_b64 off, v[6:7], s32 offset:232 ; 8-byte Folded Spill
.LBB355_128:                            ;   in Loop: Header=BB355_15 Depth=1
	s_wait_xcnt 0x0
	s_or_b32 exec_lo, exec_lo, s18
.LBB355_129:                            ;   in Loop: Header=BB355_15 Depth=1
	s_delay_alu instid0(SALU_CYCLE_1)
	s_or_b32 exec_lo, exec_lo, s17
.LBB355_130:                            ;   in Loop: Header=BB355_15 Depth=1
	s_delay_alu instid0(SALU_CYCLE_1) | instskip(SKIP_3) | instid1(VALU_DEP_2)
	s_or_b32 exec_lo, exec_lo, s16
	v_dual_mov_b32 v7, 0 :: v_dual_lshrrev_b32 v4, 16, v1
	v_mov_b32_e32 v6, 0
	s_mov_b32 s16, exec_lo
	v_and_b32_e32 v2, 0xff, v4
	scratch_store_b64 off, v[6:7], s32 offset:240 ; 8-byte Folded Spill
	s_wait_xcnt 0x0
	v_cmpx_ne_u16_e32 0, v2
	s_cbranch_execz .LBB355_138
; %bb.131:                              ;   in Loop: Header=BB355_15 Depth=1
	v_cmp_ne_u16_e64 s1, 0x80, v2
	scratch_load_b64 v[2:3], off, s32 offset:240 ; 8-byte Folded Reload
	s_wait_loadcnt 0x0
	v_bfrev_b32_e32 v2, 1
	scratch_store_b64 off, v[2:3], s32 offset:240 ; 8-byte Folded Spill
	s_wait_xcnt 0x0
	s_and_saveexec_b32 s17, s1
	s_cbranch_execz .LBB355_137
; %bb.132:                              ;   in Loop: Header=BB355_15 Depth=1
	scratch_load_b64 v[6:7], off, s32 offset:240 ; 8-byte Folded Reload
	v_bfe_u32 v2, v1, 16, 7
	s_wait_loadcnt 0x0
	v_mov_b32_e32 v6, 0x7f800001
	s_mov_b32 s18, exec_lo
	scratch_store_b64 off, v[6:7], s32 offset:240 ; 8-byte Folded Spill
	s_wait_xcnt 0x0
	v_cmpx_ne_u32_e32 0x7f, v2
	s_cbranch_execz .LBB355_136
; %bb.133:                              ;   in Loop: Header=BB355_15 Depth=1
	v_dual_lshrrev_b32 v5, 3, v2 :: v_dual_bitop2_b32 v24, 7, v4 bitop3:0x40
	v_cmp_gt_u32_e64 s1, 8, v2
	s_delay_alu instid0(VALU_DEP_2)
	v_mov_b64_e32 v[2:3], v[24:25]
	s_and_saveexec_b32 s19, s1
; %bb.134:                              ;   in Loop: Header=BB355_15 Depth=1
	v_clz_i32_u32_e32 v2, v24
	s_delay_alu instid0(VALU_DEP_1) | instskip(NEXT) | instid1(VALU_DEP_1)
	v_min_u32_e32 v5, 32, v2
	v_subrev_nc_u32_e32 v2, 28, v5
	s_delay_alu instid0(VALU_DEP_1) | instskip(NEXT) | instid1(VALU_DEP_1)
	v_lshlrev_b64_e32 v[2:3], v2, v[24:25]
	v_dual_sub_nc_u32 v5, 29, v5 :: v_dual_bitop2_b32 v2, 7, v2 bitop3:0x40
; %bb.135:                              ;   in Loop: Header=BB355_15 Depth=1
	s_or_b32 exec_lo, exec_lo, s19
	scratch_load_b64 v[6:7], off, s32 offset:240 ; 8-byte Folded Reload
	v_dual_lshlrev_b32 v3, 24, v4 :: v_dual_lshlrev_b32 v2, 20, v2
	v_lshl_add_u32 v4, v5, 23, 0x3c000000
	s_delay_alu instid0(VALU_DEP_2) | instskip(SKIP_1) | instid1(VALU_DEP_1)
	v_and_b32_e32 v3, 0x80000000, v3
	s_wait_loadcnt 0x0
	v_or3_b32 v6, v2, v3, v4
	scratch_store_b64 off, v[6:7], s32 offset:240 ; 8-byte Folded Spill
.LBB355_136:                            ;   in Loop: Header=BB355_15 Depth=1
	s_wait_xcnt 0x0
	s_or_b32 exec_lo, exec_lo, s18
.LBB355_137:                            ;   in Loop: Header=BB355_15 Depth=1
	s_delay_alu instid0(SALU_CYCLE_1)
	s_or_b32 exec_lo, exec_lo, s17
.LBB355_138:                            ;   in Loop: Header=BB355_15 Depth=1
	s_delay_alu instid0(SALU_CYCLE_1) | instskip(NEXT) | instid1(SALU_CYCLE_1)
	s_or_b32 exec_lo, exec_lo, s16
	s_mov_b32 s16, exec_lo
	v_cmpx_lt_u64_e64 s[8:9], v[0:1]
	s_cbranch_execz .LBB355_146
; %bb.139:                              ;   in Loop: Header=BB355_15 Depth=1
	scratch_load_b64 v[4:5], off, s32 offset:240 ; 8-byte Folded Reload
	v_lshrrev_b32_e32 v2, 24, v1
	s_wait_loadcnt 0x0
	v_bfrev_b32_e32 v5, 1
	s_mov_b32 s17, exec_lo
	scratch_store_b64 off, v[4:5], s32 offset:240 ; 8-byte Folded Spill
	s_wait_xcnt 0x0
	v_cmpx_ne_u32_e32 0x80, v2
	s_cbranch_execz .LBB355_145
; %bb.140:                              ;   in Loop: Header=BB355_15 Depth=1
	scratch_load_b64 v[4:5], off, s32 offset:240 ; 8-byte Folded Reload
	v_bfe_u32 v0, v1, 24, 7
	s_wait_loadcnt 0x0
	v_mov_b32_e32 v5, 0x7f800001
	s_mov_b32 s18, exec_lo
	scratch_store_b64 off, v[4:5], s32 offset:240 ; 8-byte Folded Spill
	s_wait_xcnt 0x0
	v_cmpx_ne_u32_e32 0x7f, v0
	s_cbranch_execz .LBB355_144
; %bb.141:                              ;   in Loop: Header=BB355_15 Depth=1
	v_dual_lshrrev_b32 v3, 3, v0 :: v_dual_bitop2_b32 v24, 7, v2 bitop3:0x40
	v_cmp_gt_u32_e64 s1, 8, v0
	s_delay_alu instid0(VALU_DEP_2)
	v_mov_b64_e32 v[0:1], v[24:25]
	s_and_saveexec_b32 s19, s1
; %bb.142:                              ;   in Loop: Header=BB355_15 Depth=1
	v_clz_i32_u32_e32 v0, v24
	s_delay_alu instid0(VALU_DEP_1) | instskip(NEXT) | instid1(VALU_DEP_1)
	v_min_u32_e32 v3, 32, v0
	v_subrev_nc_u32_e32 v0, 28, v3
	s_delay_alu instid0(VALU_DEP_1) | instskip(NEXT) | instid1(VALU_DEP_1)
	v_lshlrev_b64_e32 v[0:1], v0, v[24:25]
	v_dual_sub_nc_u32 v3, 29, v3 :: v_dual_bitop2_b32 v0, 7, v0 bitop3:0x40
; %bb.143:                              ;   in Loop: Header=BB355_15 Depth=1
	s_or_b32 exec_lo, exec_lo, s19
	scratch_load_b64 v[4:5], off, s32 offset:240 ; 8-byte Folded Reload
	v_dual_lshlrev_b32 v1, 24, v2 :: v_dual_lshlrev_b32 v0, 20, v0
	v_lshl_add_u32 v2, v3, 23, 0x3c000000
	s_delay_alu instid0(VALU_DEP_2) | instskip(SKIP_1) | instid1(VALU_DEP_1)
	v_and_b32_e32 v1, 0x80000000, v1
	s_wait_loadcnt 0x0
	v_or3_b32 v5, v0, v1, v2
	scratch_store_b64 off, v[4:5], s32 offset:240 ; 8-byte Folded Spill
.LBB355_144:                            ;   in Loop: Header=BB355_15 Depth=1
	s_wait_xcnt 0x0
	s_or_b32 exec_lo, exec_lo, s18
.LBB355_145:                            ;   in Loop: Header=BB355_15 Depth=1
	s_delay_alu instid0(SALU_CYCLE_1)
	s_or_b32 exec_lo, exec_lo, s17
.LBB355_146:                            ;   in Loop: Header=BB355_15 Depth=1
	s_delay_alu instid0(SALU_CYCLE_1)
	s_or_b32 exec_lo, exec_lo, s16
	flat_load_b64 v[0:1], v[36:37] offset:512
	v_dual_mov_b32 v76, 0 :: v_dual_mov_b32 v90, 0
	s_mov_b32 s16, exec_lo
	s_wait_loadcnt_dscnt 0x0
	v_and_b32_e32 v2, 0xff, v0
	s_wait_xcnt 0x0
	s_delay_alu instid0(VALU_DEP_1)
	v_cmpx_ne_u16_e32 0, v2
	s_cbranch_execz .LBB355_154
; %bb.147:                              ;   in Loop: Header=BB355_15 Depth=1
	v_bfrev_b32_e32 v90, 1
	s_mov_b32 s17, exec_lo
	v_cmpx_ne_u16_e32 0x80, v2
	s_cbranch_execz .LBB355_153
; %bb.148:                              ;   in Loop: Header=BB355_15 Depth=1
	v_and_b32_e32 v2, 0x7f, v0
	v_mov_b32_e32 v90, 0x7f800001
	s_mov_b32 s18, exec_lo
	s_delay_alu instid0(VALU_DEP_2)
	v_cmpx_ne_u32_e32 0x7f, v2
	s_cbranch_execz .LBB355_152
; %bb.149:                              ;   in Loop: Header=BB355_15 Depth=1
	v_lshrrev_b32_e32 v4, 3, v2
	v_cmp_gt_u32_e64 s1, 8, v2
	v_mov_b64_e32 v[2:3], v[0:1]
	s_and_saveexec_b32 s19, s1
; %bb.150:                              ;   in Loop: Header=BB355_15 Depth=1
	v_and_b32_e32 v2, 7, v0
	s_delay_alu instid0(VALU_DEP_1) | instskip(NEXT) | instid1(VALU_DEP_1)
	v_clz_i32_u32_e32 v2, v2
	v_min_u32_e32 v4, 32, v2
	s_delay_alu instid0(VALU_DEP_1) | instskip(SKIP_1) | instid1(VALU_DEP_2)
	v_subrev_nc_u32_e32 v2, 28, v4
	v_sub_nc_u32_e32 v4, 29, v4
	v_lshlrev_b64_e32 v[2:3], v2, v[0:1]
; %bb.151:                              ;   in Loop: Header=BB355_15 Depth=1
	s_or_b32 exec_lo, exec_lo, s19
	s_delay_alu instid0(VALU_DEP_1) | instskip(NEXT) | instid1(VALU_DEP_3)
	v_dual_lshlrev_b32 v2, 20, v2 :: v_dual_lshlrev_b32 v3, 24, v0
	v_lshl_add_u32 v4, v4, 23, 0x3c000000
	s_delay_alu instid0(VALU_DEP_2) | instskip(NEXT) | instid1(VALU_DEP_3)
	v_and_b32_e32 v2, 0x700000, v2
	v_and_b32_e32 v3, 0x80000000, v3
	s_delay_alu instid0(VALU_DEP_1)
	v_or3_b32 v90, v2, v3, v4
.LBB355_152:                            ;   in Loop: Header=BB355_15 Depth=1
	s_or_b32 exec_lo, exec_lo, s18
.LBB355_153:                            ;   in Loop: Header=BB355_15 Depth=1
	s_delay_alu instid0(SALU_CYCLE_1)
	s_or_b32 exec_lo, exec_lo, s17
.LBB355_154:                            ;   in Loop: Header=BB355_15 Depth=1
	s_delay_alu instid0(SALU_CYCLE_1) | instskip(SKIP_2) | instid1(VALU_DEP_1)
	s_or_b32 exec_lo, exec_lo, s16
	v_lshrrev_b16 v2, 8, v0
	s_mov_b32 s16, exec_lo
	v_cmpx_ne_u16_e32 0, v2
	s_cbranch_execz .LBB355_162
; %bb.155:                              ;   in Loop: Header=BB355_15 Depth=1
	v_bfrev_b32_e32 v76, 1
	s_mov_b32 s17, exec_lo
	v_cmpx_ne_u16_e32 0x80, v2
	s_cbranch_execz .LBB355_161
; %bb.156:                              ;   in Loop: Header=BB355_15 Depth=1
	v_and_b32_e32 v3, 0xffff, v2
	v_mov_b32_e32 v76, 0x7f800001
	s_mov_b32 s18, exec_lo
	s_delay_alu instid0(VALU_DEP_2) | instskip(NEXT) | instid1(VALU_DEP_1)
	v_and_b32_e32 v2, 0x7f, v3
	v_cmpx_ne_u32_e32 0x7f, v2
	s_cbranch_execz .LBB355_160
; %bb.157:                              ;   in Loop: Header=BB355_15 Depth=1
	v_dual_lshrrev_b32 v4, 3, v2 :: v_dual_bitop2_b32 v24, 7, v3 bitop3:0x40
	v_cmp_gt_u32_e64 s1, 8, v2
	s_delay_alu instid0(VALU_DEP_2)
	v_mov_b64_e32 v[2:3], v[24:25]
	s_and_saveexec_b32 s19, s1
; %bb.158:                              ;   in Loop: Header=BB355_15 Depth=1
	v_clz_i32_u32_e32 v2, v24
	s_delay_alu instid0(VALU_DEP_1) | instskip(NEXT) | instid1(VALU_DEP_1)
	v_min_u32_e32 v4, 32, v2
	v_subrev_nc_u32_e32 v2, 28, v4
	s_delay_alu instid0(VALU_DEP_1) | instskip(NEXT) | instid1(VALU_DEP_1)
	v_lshlrev_b64_e32 v[2:3], v2, v[24:25]
	v_dual_sub_nc_u32 v4, 29, v4 :: v_dual_bitop2_b32 v2, 7, v2 bitop3:0x40
; %bb.159:                              ;   in Loop: Header=BB355_15 Depth=1
	s_or_b32 exec_lo, exec_lo, s19
	s_delay_alu instid0(VALU_DEP_1) | instskip(NEXT) | instid1(VALU_DEP_2)
	v_dual_lshlrev_b32 v3, 16, v0 :: v_dual_lshlrev_b32 v2, 20, v2
	v_lshl_add_u32 v4, v4, 23, 0x3c000000
	s_delay_alu instid0(VALU_DEP_2) | instskip(NEXT) | instid1(VALU_DEP_1)
	v_and_b32_e32 v3, 0x80000000, v3
	v_or3_b32 v76, v2, v3, v4
.LBB355_160:                            ;   in Loop: Header=BB355_15 Depth=1
	s_or_b32 exec_lo, exec_lo, s18
.LBB355_161:                            ;   in Loop: Header=BB355_15 Depth=1
	s_delay_alu instid0(SALU_CYCLE_1)
	s_or_b32 exec_lo, exec_lo, s17
.LBB355_162:                            ;   in Loop: Header=BB355_15 Depth=1
	s_delay_alu instid0(SALU_CYCLE_1) | instskip(SKIP_3) | instid1(VALU_DEP_2)
	s_or_b32 exec_lo, exec_lo, s16
	v_dual_lshrrev_b32 v4, 16, v0 :: v_dual_mov_b32 v60, 0
	v_mov_b32_e32 v77, 0
	s_mov_b32 s16, exec_lo
	v_and_b32_e32 v2, 0xff, v4
	s_delay_alu instid0(VALU_DEP_1)
	v_cmpx_ne_u16_e32 0, v2
	s_cbranch_execz .LBB355_170
; %bb.163:                              ;   in Loop: Header=BB355_15 Depth=1
	v_bfrev_b32_e32 v77, 1
	s_mov_b32 s17, exec_lo
	v_cmpx_ne_u16_e32 0x80, v2
	s_cbranch_execz .LBB355_169
; %bb.164:                              ;   in Loop: Header=BB355_15 Depth=1
	v_bfe_u32 v2, v0, 16, 7
	v_mov_b32_e32 v77, 0x7f800001
	s_mov_b32 s18, exec_lo
	s_delay_alu instid0(VALU_DEP_2)
	v_cmpx_ne_u32_e32 0x7f, v2
	s_cbranch_execz .LBB355_168
; %bb.165:                              ;   in Loop: Header=BB355_15 Depth=1
	v_dual_lshrrev_b32 v5, 3, v2 :: v_dual_bitop2_b32 v24, 7, v4 bitop3:0x40
	v_cmp_gt_u32_e64 s1, 8, v2
	s_delay_alu instid0(VALU_DEP_2)
	v_mov_b64_e32 v[2:3], v[24:25]
	s_and_saveexec_b32 s19, s1
; %bb.166:                              ;   in Loop: Header=BB355_15 Depth=1
	v_clz_i32_u32_e32 v2, v24
	s_delay_alu instid0(VALU_DEP_1) | instskip(NEXT) | instid1(VALU_DEP_1)
	v_min_u32_e32 v5, 32, v2
	v_subrev_nc_u32_e32 v2, 28, v5
	s_delay_alu instid0(VALU_DEP_1) | instskip(NEXT) | instid1(VALU_DEP_1)
	v_lshlrev_b64_e32 v[2:3], v2, v[24:25]
	v_dual_sub_nc_u32 v5, 29, v5 :: v_dual_bitop2_b32 v2, 7, v2 bitop3:0x40
; %bb.167:                              ;   in Loop: Header=BB355_15 Depth=1
	s_or_b32 exec_lo, exec_lo, s19
	s_delay_alu instid0(VALU_DEP_1) | instskip(NEXT) | instid1(VALU_DEP_2)
	v_dual_lshlrev_b32 v3, 24, v4 :: v_dual_lshlrev_b32 v2, 20, v2
	v_lshl_add_u32 v4, v5, 23, 0x3c000000
	s_delay_alu instid0(VALU_DEP_2) | instskip(NEXT) | instid1(VALU_DEP_1)
	v_and_b32_e32 v3, 0x80000000, v3
	v_or3_b32 v77, v2, v3, v4
.LBB355_168:                            ;   in Loop: Header=BB355_15 Depth=1
	s_or_b32 exec_lo, exec_lo, s18
.LBB355_169:                            ;   in Loop: Header=BB355_15 Depth=1
	s_delay_alu instid0(SALU_CYCLE_1)
	s_or_b32 exec_lo, exec_lo, s17
.LBB355_170:                            ;   in Loop: Header=BB355_15 Depth=1
	s_delay_alu instid0(SALU_CYCLE_1) | instskip(NEXT) | instid1(SALU_CYCLE_1)
	s_or_b32 exec_lo, exec_lo, s16
	s_mov_b32 s16, exec_lo
	v_cmpx_lt_u32_e32 0xffffff, v0
	s_cbranch_execz .LBB355_178
; %bb.171:                              ;   in Loop: Header=BB355_15 Depth=1
	v_lshrrev_b32_e32 v4, 24, v0
	v_bfrev_b32_e32 v60, 1
	s_mov_b32 s17, exec_lo
	s_delay_alu instid0(VALU_DEP_2)
	v_cmpx_ne_u32_e32 0x80, v4
	s_cbranch_execz .LBB355_177
; %bb.172:                              ;   in Loop: Header=BB355_15 Depth=1
	v_bfe_u32 v2, v0, 24, 7
	v_mov_b32_e32 v60, 0x7f800001
	s_mov_b32 s18, exec_lo
	s_delay_alu instid0(VALU_DEP_2)
	v_cmpx_ne_u32_e32 0x7f, v2
	s_cbranch_execz .LBB355_176
; %bb.173:                              ;   in Loop: Header=BB355_15 Depth=1
	v_dual_lshrrev_b32 v5, 3, v2 :: v_dual_bitop2_b32 v24, 7, v4 bitop3:0x40
	v_cmp_gt_u32_e64 s1, 8, v2
	s_delay_alu instid0(VALU_DEP_2)
	v_mov_b64_e32 v[2:3], v[24:25]
	s_and_saveexec_b32 s19, s1
; %bb.174:                              ;   in Loop: Header=BB355_15 Depth=1
	v_clz_i32_u32_e32 v2, v24
	s_delay_alu instid0(VALU_DEP_1) | instskip(NEXT) | instid1(VALU_DEP_1)
	v_min_u32_e32 v5, 32, v2
	v_subrev_nc_u32_e32 v2, 28, v5
	s_delay_alu instid0(VALU_DEP_1) | instskip(NEXT) | instid1(VALU_DEP_1)
	v_lshlrev_b64_e32 v[2:3], v2, v[24:25]
	v_dual_sub_nc_u32 v5, 29, v5 :: v_dual_bitop2_b32 v2, 7, v2 bitop3:0x40
; %bb.175:                              ;   in Loop: Header=BB355_15 Depth=1
	s_or_b32 exec_lo, exec_lo, s19
	s_delay_alu instid0(VALU_DEP_1) | instskip(NEXT) | instid1(VALU_DEP_2)
	v_dual_lshlrev_b32 v3, 24, v4 :: v_dual_lshlrev_b32 v2, 20, v2
	v_lshl_add_u32 v4, v5, 23, 0x3c000000
	s_delay_alu instid0(VALU_DEP_2) | instskip(NEXT) | instid1(VALU_DEP_1)
	v_and_b32_e32 v3, 0x80000000, v3
	v_or3_b32 v60, v2, v3, v4
.LBB355_176:                            ;   in Loop: Header=BB355_15 Depth=1
	s_or_b32 exec_lo, exec_lo, s18
.LBB355_177:                            ;   in Loop: Header=BB355_15 Depth=1
	s_delay_alu instid0(SALU_CYCLE_1)
	s_or_b32 exec_lo, exec_lo, s17
.LBB355_178:                            ;   in Loop: Header=BB355_15 Depth=1
	s_delay_alu instid0(SALU_CYCLE_1) | instskip(SKIP_4) | instid1(VALU_DEP_3)
	s_or_b32 exec_lo, exec_lo, s16
	v_and_b32_e32 v2, 0xff, v1
	v_dual_mov_b32 v24, v1 :: v_dual_mov_b32 v91, 0
	v_mov_b32_e32 v61, 0
	s_mov_b32 s16, exec_lo
	v_cmpx_ne_u16_e32 0, v2
	s_cbranch_execz .LBB355_186
; %bb.179:                              ;   in Loop: Header=BB355_15 Depth=1
	v_bfrev_b32_e32 v61, 1
	s_mov_b32 s17, exec_lo
	v_cmpx_ne_u16_e32 0x80, v2
	s_cbranch_execz .LBB355_185
; %bb.180:                              ;   in Loop: Header=BB355_15 Depth=1
	v_and_b32_e32 v2, 0x7f, v1
	v_mov_b32_e32 v61, 0x7f800001
	s_mov_b32 s18, exec_lo
	s_delay_alu instid0(VALU_DEP_2)
	v_cmpx_ne_u32_e32 0x7f, v2
	s_cbranch_execz .LBB355_184
; %bb.181:                              ;   in Loop: Header=BB355_15 Depth=1
	v_lshrrev_b32_e32 v4, 3, v2
	v_cmp_gt_u32_e64 s1, 8, v2
	v_mov_b64_e32 v[2:3], v[24:25]
	s_and_saveexec_b32 s19, s1
; %bb.182:                              ;   in Loop: Header=BB355_15 Depth=1
	v_and_b32_e32 v2, 7, v1
	s_delay_alu instid0(VALU_DEP_1) | instskip(NEXT) | instid1(VALU_DEP_1)
	v_clz_i32_u32_e32 v2, v2
	v_min_u32_e32 v4, 32, v2
	s_delay_alu instid0(VALU_DEP_1) | instskip(SKIP_1) | instid1(VALU_DEP_2)
	v_subrev_nc_u32_e32 v2, 28, v4
	v_sub_nc_u32_e32 v4, 29, v4
	v_lshlrev_b64_e32 v[2:3], v2, v[24:25]
; %bb.183:                              ;   in Loop: Header=BB355_15 Depth=1
	s_or_b32 exec_lo, exec_lo, s19
	s_delay_alu instid0(VALU_DEP_1) | instskip(NEXT) | instid1(VALU_DEP_3)
	v_dual_lshlrev_b32 v2, 20, v2 :: v_dual_lshlrev_b32 v3, 24, v24
	v_lshl_add_u32 v4, v4, 23, 0x3c000000
	s_delay_alu instid0(VALU_DEP_2) | instskip(NEXT) | instid1(VALU_DEP_3)
	v_and_b32_e32 v2, 0x700000, v2
	v_and_b32_e32 v3, 0x80000000, v3
	s_delay_alu instid0(VALU_DEP_1)
	v_or3_b32 v61, v2, v3, v4
.LBB355_184:                            ;   in Loop: Header=BB355_15 Depth=1
	s_or_b32 exec_lo, exec_lo, s18
.LBB355_185:                            ;   in Loop: Header=BB355_15 Depth=1
	s_delay_alu instid0(SALU_CYCLE_1)
	s_or_b32 exec_lo, exec_lo, s17
.LBB355_186:                            ;   in Loop: Header=BB355_15 Depth=1
	s_delay_alu instid0(SALU_CYCLE_1) | instskip(SKIP_2) | instid1(VALU_DEP_1)
	s_or_b32 exec_lo, exec_lo, s16
	v_lshrrev_b16 v2, 8, v24
	s_mov_b32 s16, exec_lo
	v_cmpx_ne_u16_e32 0, v2
	s_cbranch_execz .LBB355_194
; %bb.187:                              ;   in Loop: Header=BB355_15 Depth=1
	v_bfrev_b32_e32 v91, 1
	s_mov_b32 s17, exec_lo
	v_cmpx_ne_u16_e32 0x80, v2
	s_cbranch_execz .LBB355_193
; %bb.188:                              ;   in Loop: Header=BB355_15 Depth=1
	v_and_b32_e32 v2, 0xffff, v2
	v_mov_b32_e32 v91, 0x7f800001
	s_mov_b32 s18, exec_lo
	s_delay_alu instid0(VALU_DEP_2) | instskip(NEXT) | instid1(VALU_DEP_1)
	v_and_b32_e32 v5, 0x7f, v2
	v_cmpx_ne_u32_e32 0x7f, v5
	s_cbranch_execz .LBB355_192
; %bb.189:                              ;   in Loop: Header=BB355_15 Depth=1
	v_dual_mov_b32 v3, v25 :: v_dual_bitop2_b32 v2, 7, v2 bitop3:0x40
	v_lshrrev_b32_e32 v4, 3, v5
	s_mov_b32 s19, exec_lo
	v_cmpx_gt_u32_e32 8, v5
; %bb.190:                              ;   in Loop: Header=BB355_15 Depth=1
	s_delay_alu instid0(VALU_DEP_3) | instskip(NEXT) | instid1(VALU_DEP_1)
	v_clz_i32_u32_e32 v4, v2
	v_min_u32_e32 v4, 32, v4
	s_delay_alu instid0(VALU_DEP_1) | instskip(NEXT) | instid1(VALU_DEP_1)
	v_subrev_nc_u32_e32 v5, 28, v4
	v_lshlrev_b64_e32 v[2:3], v5, v[2:3]
	s_delay_alu instid0(VALU_DEP_1)
	v_dual_sub_nc_u32 v4, 29, v4 :: v_dual_bitop2_b32 v2, 7, v2 bitop3:0x40
; %bb.191:                              ;   in Loop: Header=BB355_15 Depth=1
	s_or_b32 exec_lo, exec_lo, s19
	s_delay_alu instid0(VALU_DEP_1) | instskip(NEXT) | instid1(VALU_DEP_2)
	v_dual_lshlrev_b32 v3, 16, v24 :: v_dual_lshlrev_b32 v2, 20, v2
	v_lshl_add_u32 v4, v4, 23, 0x3c000000
	s_delay_alu instid0(VALU_DEP_2) | instskip(NEXT) | instid1(VALU_DEP_1)
	v_and_b32_e32 v3, 0x80000000, v3
	v_or3_b32 v91, v2, v3, v4
.LBB355_192:                            ;   in Loop: Header=BB355_15 Depth=1
	s_or_b32 exec_lo, exec_lo, s18
.LBB355_193:                            ;   in Loop: Header=BB355_15 Depth=1
	s_delay_alu instid0(SALU_CYCLE_1)
	s_or_b32 exec_lo, exec_lo, s17
.LBB355_194:                            ;   in Loop: Header=BB355_15 Depth=1
	s_delay_alu instid0(SALU_CYCLE_1) | instskip(SKIP_3) | instid1(VALU_DEP_2)
	s_or_b32 exec_lo, exec_lo, s16
	v_dual_lshrrev_b32 v4, 16, v1 :: v_dual_mov_b32 v106, 0
	v_mov_b32_e32 v118, 0
	s_mov_b32 s16, exec_lo
	v_and_b32_e32 v2, 0xff, v4
	s_delay_alu instid0(VALU_DEP_1)
	v_cmpx_ne_u16_e32 0, v2
	s_cbranch_execz .LBB355_202
; %bb.195:                              ;   in Loop: Header=BB355_15 Depth=1
	v_bfrev_b32_e32 v118, 1
	s_mov_b32 s17, exec_lo
	v_cmpx_ne_u16_e32 0x80, v2
	s_cbranch_execz .LBB355_201
; %bb.196:                              ;   in Loop: Header=BB355_15 Depth=1
	v_bfe_u32 v2, v1, 16, 7
	v_mov_b32_e32 v118, 0x7f800001
	s_mov_b32 s18, exec_lo
	s_delay_alu instid0(VALU_DEP_2)
	v_cmpx_ne_u32_e32 0x7f, v2
	s_cbranch_execz .LBB355_200
; %bb.197:                              ;   in Loop: Header=BB355_15 Depth=1
	v_dual_lshrrev_b32 v5, 3, v2 :: v_dual_bitop2_b32 v24, 7, v4 bitop3:0x40
	v_cmp_gt_u32_e64 s1, 8, v2
	s_delay_alu instid0(VALU_DEP_2)
	v_mov_b64_e32 v[2:3], v[24:25]
	s_and_saveexec_b32 s19, s1
; %bb.198:                              ;   in Loop: Header=BB355_15 Depth=1
	v_clz_i32_u32_e32 v2, v24
	s_delay_alu instid0(VALU_DEP_1) | instskip(NEXT) | instid1(VALU_DEP_1)
	v_min_u32_e32 v5, 32, v2
	v_subrev_nc_u32_e32 v2, 28, v5
	s_delay_alu instid0(VALU_DEP_1) | instskip(NEXT) | instid1(VALU_DEP_1)
	v_lshlrev_b64_e32 v[2:3], v2, v[24:25]
	v_dual_sub_nc_u32 v5, 29, v5 :: v_dual_bitop2_b32 v2, 7, v2 bitop3:0x40
; %bb.199:                              ;   in Loop: Header=BB355_15 Depth=1
	s_or_b32 exec_lo, exec_lo, s19
	s_delay_alu instid0(VALU_DEP_1) | instskip(NEXT) | instid1(VALU_DEP_2)
	v_dual_lshlrev_b32 v3, 24, v4 :: v_dual_lshlrev_b32 v2, 20, v2
	v_lshl_add_u32 v4, v5, 23, 0x3c000000
	s_delay_alu instid0(VALU_DEP_2) | instskip(NEXT) | instid1(VALU_DEP_1)
	v_and_b32_e32 v3, 0x80000000, v3
	v_or3_b32 v118, v2, v3, v4
.LBB355_200:                            ;   in Loop: Header=BB355_15 Depth=1
	s_or_b32 exec_lo, exec_lo, s18
.LBB355_201:                            ;   in Loop: Header=BB355_15 Depth=1
	s_delay_alu instid0(SALU_CYCLE_1)
	s_or_b32 exec_lo, exec_lo, s17
.LBB355_202:                            ;   in Loop: Header=BB355_15 Depth=1
	s_delay_alu instid0(SALU_CYCLE_1) | instskip(NEXT) | instid1(SALU_CYCLE_1)
	s_or_b32 exec_lo, exec_lo, s16
	s_mov_b32 s16, exec_lo
	v_cmpx_lt_u64_e64 s[8:9], v[0:1]
	s_cbranch_execz .LBB355_210
; %bb.203:                              ;   in Loop: Header=BB355_15 Depth=1
	v_lshrrev_b32_e32 v2, 24, v1
	v_bfrev_b32_e32 v106, 1
	s_mov_b32 s17, exec_lo
	s_delay_alu instid0(VALU_DEP_2)
	v_cmpx_ne_u32_e32 0x80, v2
	s_cbranch_execz .LBB355_209
; %bb.204:                              ;   in Loop: Header=BB355_15 Depth=1
	v_bfe_u32 v0, v1, 24, 7
	v_mov_b32_e32 v106, 0x7f800001
	s_mov_b32 s18, exec_lo
	s_delay_alu instid0(VALU_DEP_2)
	v_cmpx_ne_u32_e32 0x7f, v0
	s_cbranch_execz .LBB355_208
; %bb.205:                              ;   in Loop: Header=BB355_15 Depth=1
	v_dual_lshrrev_b32 v3, 3, v0 :: v_dual_bitop2_b32 v24, 7, v2 bitop3:0x40
	v_cmp_gt_u32_e64 s1, 8, v0
	s_delay_alu instid0(VALU_DEP_2)
	v_mov_b64_e32 v[0:1], v[24:25]
	s_and_saveexec_b32 s19, s1
; %bb.206:                              ;   in Loop: Header=BB355_15 Depth=1
	v_clz_i32_u32_e32 v0, v24
	s_delay_alu instid0(VALU_DEP_1) | instskip(NEXT) | instid1(VALU_DEP_1)
	v_min_u32_e32 v3, 32, v0
	v_subrev_nc_u32_e32 v0, 28, v3
	s_delay_alu instid0(VALU_DEP_1) | instskip(NEXT) | instid1(VALU_DEP_1)
	v_lshlrev_b64_e32 v[0:1], v0, v[24:25]
	v_dual_sub_nc_u32 v3, 29, v3 :: v_dual_bitop2_b32 v0, 7, v0 bitop3:0x40
; %bb.207:                              ;   in Loop: Header=BB355_15 Depth=1
	s_or_b32 exec_lo, exec_lo, s19
	s_delay_alu instid0(VALU_DEP_1) | instskip(NEXT) | instid1(VALU_DEP_2)
	v_dual_lshlrev_b32 v1, 24, v2 :: v_dual_lshlrev_b32 v0, 20, v0
	v_lshl_add_u32 v2, v3, 23, 0x3c000000
	s_delay_alu instid0(VALU_DEP_2) | instskip(NEXT) | instid1(VALU_DEP_1)
	v_and_b32_e32 v1, 0x80000000, v1
	v_or3_b32 v106, v0, v1, v2
.LBB355_208:                            ;   in Loop: Header=BB355_15 Depth=1
	s_or_b32 exec_lo, exec_lo, s18
.LBB355_209:                            ;   in Loop: Header=BB355_15 Depth=1
	s_delay_alu instid0(SALU_CYCLE_1)
	s_or_b32 exec_lo, exec_lo, s17
.LBB355_210:                            ;   in Loop: Header=BB355_15 Depth=1
	s_delay_alu instid0(SALU_CYCLE_1)
	s_or_b32 exec_lo, exec_lo, s16
	flat_load_b64 v[0:1], v[36:37] offset:520
	v_dual_mov_b32 v3, 0 :: v_dual_mov_b32 v122, 0
	s_mov_b32 s16, exec_lo
	scratch_store_b32 off, v3, s32 offset:448 ; 4-byte Folded Spill
	s_wait_loadcnt_dscnt 0x0
	v_and_b32_e32 v2, 0xff, v0
	s_wait_xcnt 0x0
	s_delay_alu instid0(VALU_DEP_1)
	v_cmpx_ne_u16_e32 0, v2
	s_cbranch_execz .LBB355_218
; %bb.211:                              ;   in Loop: Header=BB355_15 Depth=1
	v_bfrev_b32_e32 v122, 1
	s_mov_b32 s17, exec_lo
	v_cmpx_ne_u16_e32 0x80, v2
	s_cbranch_execz .LBB355_217
; %bb.212:                              ;   in Loop: Header=BB355_15 Depth=1
	v_and_b32_e32 v2, 0x7f, v0
	v_mov_b32_e32 v122, 0x7f800001
	s_mov_b32 s18, exec_lo
	s_delay_alu instid0(VALU_DEP_2)
	v_cmpx_ne_u32_e32 0x7f, v2
	s_cbranch_execz .LBB355_216
; %bb.213:                              ;   in Loop: Header=BB355_15 Depth=1
	v_lshrrev_b32_e32 v4, 3, v2
	v_cmp_gt_u32_e64 s1, 8, v2
	v_mov_b64_e32 v[2:3], v[0:1]
	s_and_saveexec_b32 s19, s1
; %bb.214:                              ;   in Loop: Header=BB355_15 Depth=1
	v_and_b32_e32 v2, 7, v0
	s_delay_alu instid0(VALU_DEP_1) | instskip(NEXT) | instid1(VALU_DEP_1)
	v_clz_i32_u32_e32 v2, v2
	v_min_u32_e32 v4, 32, v2
	s_delay_alu instid0(VALU_DEP_1) | instskip(SKIP_1) | instid1(VALU_DEP_2)
	v_subrev_nc_u32_e32 v2, 28, v4
	v_sub_nc_u32_e32 v4, 29, v4
	v_lshlrev_b64_e32 v[2:3], v2, v[0:1]
; %bb.215:                              ;   in Loop: Header=BB355_15 Depth=1
	s_or_b32 exec_lo, exec_lo, s19
	s_delay_alu instid0(VALU_DEP_1) | instskip(NEXT) | instid1(VALU_DEP_3)
	v_dual_lshlrev_b32 v2, 20, v2 :: v_dual_lshlrev_b32 v3, 24, v0
	v_lshl_add_u32 v4, v4, 23, 0x3c000000
	s_delay_alu instid0(VALU_DEP_2) | instskip(NEXT) | instid1(VALU_DEP_3)
	v_and_b32_e32 v2, 0x700000, v2
	v_and_b32_e32 v3, 0x80000000, v3
	s_delay_alu instid0(VALU_DEP_1)
	v_or3_b32 v122, v2, v3, v4
.LBB355_216:                            ;   in Loop: Header=BB355_15 Depth=1
	s_or_b32 exec_lo, exec_lo, s18
.LBB355_217:                            ;   in Loop: Header=BB355_15 Depth=1
	s_delay_alu instid0(SALU_CYCLE_1)
	s_or_b32 exec_lo, exec_lo, s17
.LBB355_218:                            ;   in Loop: Header=BB355_15 Depth=1
	s_delay_alu instid0(SALU_CYCLE_1) | instskip(SKIP_2) | instid1(VALU_DEP_1)
	s_or_b32 exec_lo, exec_lo, s16
	v_lshrrev_b16 v2, 8, v0
	s_mov_b32 s16, exec_lo
	v_cmpx_ne_u16_e32 0, v2
	s_cbranch_execz .LBB355_226
; %bb.219:                              ;   in Loop: Header=BB355_15 Depth=1
	v_bfrev_b32_e32 v3, 1
	s_mov_b32 s17, exec_lo
	scratch_store_b32 off, v3, s32 offset:448 ; 4-byte Folded Spill
	s_wait_xcnt 0x0
	v_cmpx_ne_u16_e32 0x80, v2
	s_cbranch_execz .LBB355_225
; %bb.220:                              ;   in Loop: Header=BB355_15 Depth=1
	v_and_b32_e32 v3, 0xffff, v2
	v_mov_b32_e32 v4, 0x7f800001
	s_mov_b32 s18, exec_lo
	s_delay_alu instid0(VALU_DEP_2)
	v_and_b32_e32 v2, 0x7f, v3
	scratch_store_b32 off, v4, s32 offset:448 ; 4-byte Folded Spill
	s_wait_xcnt 0x0
	v_cmpx_ne_u32_e32 0x7f, v2
	s_cbranch_execz .LBB355_224
; %bb.221:                              ;   in Loop: Header=BB355_15 Depth=1
	v_dual_lshrrev_b32 v4, 3, v2 :: v_dual_bitop2_b32 v24, 7, v3 bitop3:0x40
	v_cmp_gt_u32_e64 s1, 8, v2
	s_delay_alu instid0(VALU_DEP_2)
	v_mov_b64_e32 v[2:3], v[24:25]
	s_and_saveexec_b32 s19, s1
; %bb.222:                              ;   in Loop: Header=BB355_15 Depth=1
	v_clz_i32_u32_e32 v2, v24
	s_delay_alu instid0(VALU_DEP_1) | instskip(NEXT) | instid1(VALU_DEP_1)
	v_min_u32_e32 v4, 32, v2
	v_subrev_nc_u32_e32 v2, 28, v4
	s_delay_alu instid0(VALU_DEP_1) | instskip(NEXT) | instid1(VALU_DEP_1)
	v_lshlrev_b64_e32 v[2:3], v2, v[24:25]
	v_dual_sub_nc_u32 v4, 29, v4 :: v_dual_bitop2_b32 v2, 7, v2 bitop3:0x40
; %bb.223:                              ;   in Loop: Header=BB355_15 Depth=1
	s_or_b32 exec_lo, exec_lo, s19
	s_delay_alu instid0(VALU_DEP_1) | instskip(NEXT) | instid1(VALU_DEP_2)
	v_dual_lshlrev_b32 v3, 16, v0 :: v_dual_lshlrev_b32 v2, 20, v2
	v_lshl_add_u32 v4, v4, 23, 0x3c000000
	s_delay_alu instid0(VALU_DEP_2) | instskip(NEXT) | instid1(VALU_DEP_1)
	v_and_b32_e32 v3, 0x80000000, v3
	v_or3_b32 v2, v2, v3, v4
	scratch_store_b32 off, v2, s32 offset:448 ; 4-byte Folded Spill
.LBB355_224:                            ;   in Loop: Header=BB355_15 Depth=1
	s_wait_xcnt 0x0
	s_or_b32 exec_lo, exec_lo, s18
.LBB355_225:                            ;   in Loop: Header=BB355_15 Depth=1
	s_delay_alu instid0(SALU_CYCLE_1)
	s_or_b32 exec_lo, exec_lo, s17
.LBB355_226:                            ;   in Loop: Header=BB355_15 Depth=1
	s_delay_alu instid0(SALU_CYCLE_1) | instskip(SKIP_2) | instid1(VALU_DEP_1)
	s_or_b32 exec_lo, exec_lo, s16
	v_dual_mov_b32 v3, 0 :: v_dual_lshrrev_b32 v4, 16, v0
	s_mov_b32 s16, exec_lo
	v_and_b32_e32 v2, 0xff, v4
	scratch_store_b32 off, v3, s32 offset:456 ; 4-byte Folded Spill
	s_wait_xcnt 0x0
	v_mov_b32_e32 v3, 0
	scratch_store_b32 off, v3, s32 offset:452 ; 4-byte Folded Spill
	s_wait_xcnt 0x0
	v_cmpx_ne_u16_e32 0, v2
	s_cbranch_execz .LBB355_234
; %bb.227:                              ;   in Loop: Header=BB355_15 Depth=1
	v_cmp_ne_u16_e64 s1, 0x80, v2
	v_bfrev_b32_e32 v2, 1
	scratch_store_b32 off, v2, s32 offset:452 ; 4-byte Folded Spill
	s_wait_xcnt 0x0
	s_and_saveexec_b32 s17, s1
	s_cbranch_execz .LBB355_233
; %bb.228:                              ;   in Loop: Header=BB355_15 Depth=1
	v_bfe_u32 v2, v0, 16, 7
	v_mov_b32_e32 v3, 0x7f800001
	s_mov_b32 s18, exec_lo
	scratch_store_b32 off, v3, s32 offset:452 ; 4-byte Folded Spill
	s_wait_xcnt 0x0
	v_cmpx_ne_u32_e32 0x7f, v2
	s_cbranch_execz .LBB355_232
; %bb.229:                              ;   in Loop: Header=BB355_15 Depth=1
	v_dual_lshrrev_b32 v5, 3, v2 :: v_dual_bitop2_b32 v24, 7, v4 bitop3:0x40
	v_cmp_gt_u32_e64 s1, 8, v2
	s_delay_alu instid0(VALU_DEP_2)
	v_mov_b64_e32 v[2:3], v[24:25]
	s_and_saveexec_b32 s19, s1
; %bb.230:                              ;   in Loop: Header=BB355_15 Depth=1
	v_clz_i32_u32_e32 v2, v24
	s_delay_alu instid0(VALU_DEP_1) | instskip(NEXT) | instid1(VALU_DEP_1)
	v_min_u32_e32 v5, 32, v2
	v_subrev_nc_u32_e32 v2, 28, v5
	s_delay_alu instid0(VALU_DEP_1) | instskip(NEXT) | instid1(VALU_DEP_1)
	v_lshlrev_b64_e32 v[2:3], v2, v[24:25]
	v_dual_sub_nc_u32 v5, 29, v5 :: v_dual_bitop2_b32 v2, 7, v2 bitop3:0x40
; %bb.231:                              ;   in Loop: Header=BB355_15 Depth=1
	s_or_b32 exec_lo, exec_lo, s19
	s_delay_alu instid0(VALU_DEP_1) | instskip(NEXT) | instid1(VALU_DEP_2)
	v_dual_lshlrev_b32 v3, 24, v4 :: v_dual_lshlrev_b32 v2, 20, v2
	v_lshl_add_u32 v4, v5, 23, 0x3c000000
	s_delay_alu instid0(VALU_DEP_2) | instskip(NEXT) | instid1(VALU_DEP_1)
	v_and_b32_e32 v3, 0x80000000, v3
	v_or3_b32 v2, v2, v3, v4
	scratch_store_b32 off, v2, s32 offset:452 ; 4-byte Folded Spill
.LBB355_232:                            ;   in Loop: Header=BB355_15 Depth=1
	s_wait_xcnt 0x0
	s_or_b32 exec_lo, exec_lo, s18
.LBB355_233:                            ;   in Loop: Header=BB355_15 Depth=1
	s_delay_alu instid0(SALU_CYCLE_1)
	s_or_b32 exec_lo, exec_lo, s17
.LBB355_234:                            ;   in Loop: Header=BB355_15 Depth=1
	s_delay_alu instid0(SALU_CYCLE_1) | instskip(NEXT) | instid1(SALU_CYCLE_1)
	s_or_b32 exec_lo, exec_lo, s16
	s_mov_b32 s16, exec_lo
	v_cmpx_lt_u32_e32 0xffffff, v0
	s_cbranch_execz .LBB355_242
; %bb.235:                              ;   in Loop: Header=BB355_15 Depth=1
	v_lshrrev_b32_e32 v4, 24, v0
	v_bfrev_b32_e32 v2, 1
	s_mov_b32 s17, exec_lo
	scratch_store_b32 off, v2, s32 offset:456 ; 4-byte Folded Spill
	s_wait_xcnt 0x0
	v_cmpx_ne_u32_e32 0x80, v4
	s_cbranch_execz .LBB355_241
; %bb.236:                              ;   in Loop: Header=BB355_15 Depth=1
	v_bfe_u32 v2, v0, 24, 7
	v_mov_b32_e32 v3, 0x7f800001
	s_mov_b32 s18, exec_lo
	scratch_store_b32 off, v3, s32 offset:456 ; 4-byte Folded Spill
	s_wait_xcnt 0x0
	v_cmpx_ne_u32_e32 0x7f, v2
	s_cbranch_execz .LBB355_240
; %bb.237:                              ;   in Loop: Header=BB355_15 Depth=1
	v_dual_lshrrev_b32 v5, 3, v2 :: v_dual_bitop2_b32 v24, 7, v4 bitop3:0x40
	v_cmp_gt_u32_e64 s1, 8, v2
	s_delay_alu instid0(VALU_DEP_2)
	v_mov_b64_e32 v[2:3], v[24:25]
	s_and_saveexec_b32 s19, s1
; %bb.238:                              ;   in Loop: Header=BB355_15 Depth=1
	v_clz_i32_u32_e32 v2, v24
	s_delay_alu instid0(VALU_DEP_1) | instskip(NEXT) | instid1(VALU_DEP_1)
	v_min_u32_e32 v5, 32, v2
	v_subrev_nc_u32_e32 v2, 28, v5
	s_delay_alu instid0(VALU_DEP_1) | instskip(NEXT) | instid1(VALU_DEP_1)
	v_lshlrev_b64_e32 v[2:3], v2, v[24:25]
	v_dual_sub_nc_u32 v5, 29, v5 :: v_dual_bitop2_b32 v2, 7, v2 bitop3:0x40
; %bb.239:                              ;   in Loop: Header=BB355_15 Depth=1
	s_or_b32 exec_lo, exec_lo, s19
	s_delay_alu instid0(VALU_DEP_1) | instskip(NEXT) | instid1(VALU_DEP_2)
	v_dual_lshlrev_b32 v3, 24, v4 :: v_dual_lshlrev_b32 v2, 20, v2
	v_lshl_add_u32 v4, v5, 23, 0x3c000000
	s_delay_alu instid0(VALU_DEP_2) | instskip(NEXT) | instid1(VALU_DEP_1)
	v_and_b32_e32 v3, 0x80000000, v3
	v_or3_b32 v2, v2, v3, v4
	scratch_store_b32 off, v2, s32 offset:456 ; 4-byte Folded Spill
.LBB355_240:                            ;   in Loop: Header=BB355_15 Depth=1
	s_wait_xcnt 0x0
	s_or_b32 exec_lo, exec_lo, s18
.LBB355_241:                            ;   in Loop: Header=BB355_15 Depth=1
	s_delay_alu instid0(SALU_CYCLE_1)
	s_or_b32 exec_lo, exec_lo, s17
.LBB355_242:                            ;   in Loop: Header=BB355_15 Depth=1
	s_delay_alu instid0(SALU_CYCLE_1)
	s_or_b32 exec_lo, exec_lo, s16
	v_dual_mov_b32 v24, v1 :: v_dual_mov_b32 v3, 0
	v_and_b32_e32 v2, 0xff, v1
	s_mov_b32 s16, exec_lo
	scratch_store_b32 off, v3, s32 offset:464 ; 4-byte Folded Spill
	s_wait_xcnt 0x0
	v_mov_b32_e32 v3, 0
	scratch_store_b32 off, v3, s32 offset:460 ; 4-byte Folded Spill
	s_wait_xcnt 0x0
	v_cmpx_ne_u16_e32 0, v2
	s_cbranch_execz .LBB355_250
; %bb.243:                              ;   in Loop: Header=BB355_15 Depth=1
	v_cmp_ne_u16_e64 s1, 0x80, v2
	v_bfrev_b32_e32 v2, 1
	scratch_store_b32 off, v2, s32 offset:460 ; 4-byte Folded Spill
	s_wait_xcnt 0x0
	s_and_saveexec_b32 s17, s1
	s_cbranch_execz .LBB355_249
; %bb.244:                              ;   in Loop: Header=BB355_15 Depth=1
	v_and_b32_e32 v2, 0x7f, v1
	v_mov_b32_e32 v3, 0x7f800001
	s_mov_b32 s18, exec_lo
	scratch_store_b32 off, v3, s32 offset:460 ; 4-byte Folded Spill
	s_wait_xcnt 0x0
	v_cmpx_ne_u32_e32 0x7f, v2
	s_cbranch_execz .LBB355_248
; %bb.245:                              ;   in Loop: Header=BB355_15 Depth=1
	v_lshrrev_b32_e32 v4, 3, v2
	v_cmp_gt_u32_e64 s1, 8, v2
	v_mov_b64_e32 v[2:3], v[24:25]
	s_and_saveexec_b32 s19, s1
; %bb.246:                              ;   in Loop: Header=BB355_15 Depth=1
	v_and_b32_e32 v2, 7, v1
	s_delay_alu instid0(VALU_DEP_1) | instskip(NEXT) | instid1(VALU_DEP_1)
	v_clz_i32_u32_e32 v2, v2
	v_min_u32_e32 v4, 32, v2
	s_delay_alu instid0(VALU_DEP_1) | instskip(SKIP_1) | instid1(VALU_DEP_2)
	v_subrev_nc_u32_e32 v2, 28, v4
	v_sub_nc_u32_e32 v4, 29, v4
	v_lshlrev_b64_e32 v[2:3], v2, v[24:25]
; %bb.247:                              ;   in Loop: Header=BB355_15 Depth=1
	s_or_b32 exec_lo, exec_lo, s19
	s_delay_alu instid0(VALU_DEP_1) | instskip(NEXT) | instid1(VALU_DEP_3)
	v_dual_lshlrev_b32 v2, 20, v2 :: v_dual_lshlrev_b32 v3, 24, v24
	v_lshl_add_u32 v4, v4, 23, 0x3c000000
	s_delay_alu instid0(VALU_DEP_2) | instskip(NEXT) | instid1(VALU_DEP_3)
	v_and_b32_e32 v2, 0x700000, v2
	v_and_b32_e32 v3, 0x80000000, v3
	s_delay_alu instid0(VALU_DEP_1)
	v_or3_b32 v2, v2, v3, v4
	scratch_store_b32 off, v2, s32 offset:460 ; 4-byte Folded Spill
.LBB355_248:                            ;   in Loop: Header=BB355_15 Depth=1
	s_wait_xcnt 0x0
	s_or_b32 exec_lo, exec_lo, s18
.LBB355_249:                            ;   in Loop: Header=BB355_15 Depth=1
	s_delay_alu instid0(SALU_CYCLE_1)
	s_or_b32 exec_lo, exec_lo, s17
.LBB355_250:                            ;   in Loop: Header=BB355_15 Depth=1
	s_delay_alu instid0(SALU_CYCLE_1) | instskip(SKIP_2) | instid1(VALU_DEP_1)
	s_or_b32 exec_lo, exec_lo, s16
	v_lshrrev_b16 v2, 8, v24
	s_mov_b32 s16, exec_lo
	v_cmpx_ne_u16_e32 0, v2
	s_cbranch_execz .LBB355_258
; %bb.251:                              ;   in Loop: Header=BB355_15 Depth=1
	v_bfrev_b32_e32 v3, 1
	s_mov_b32 s17, exec_lo
	scratch_store_b32 off, v3, s32 offset:464 ; 4-byte Folded Spill
	s_wait_xcnt 0x0
	v_cmpx_ne_u16_e32 0x80, v2
	s_cbranch_execz .LBB355_257
; %bb.252:                              ;   in Loop: Header=BB355_15 Depth=1
	v_and_b32_e32 v2, 0xffff, v2
	v_mov_b32_e32 v3, 0x7f800001
	s_mov_b32 s18, exec_lo
	s_delay_alu instid0(VALU_DEP_2)
	v_and_b32_e32 v5, 0x7f, v2
	scratch_store_b32 off, v3, s32 offset:464 ; 4-byte Folded Spill
	s_wait_xcnt 0x0
	v_cmpx_ne_u32_e32 0x7f, v5
	s_cbranch_execz .LBB355_256
; %bb.253:                              ;   in Loop: Header=BB355_15 Depth=1
	v_dual_mov_b32 v3, v25 :: v_dual_bitop2_b32 v2, 7, v2 bitop3:0x40
	v_lshrrev_b32_e32 v4, 3, v5
	s_mov_b32 s19, exec_lo
	v_cmpx_gt_u32_e32 8, v5
; %bb.254:                              ;   in Loop: Header=BB355_15 Depth=1
	s_delay_alu instid0(VALU_DEP_3) | instskip(NEXT) | instid1(VALU_DEP_1)
	v_clz_i32_u32_e32 v4, v2
	v_min_u32_e32 v4, 32, v4
	s_delay_alu instid0(VALU_DEP_1) | instskip(NEXT) | instid1(VALU_DEP_1)
	v_subrev_nc_u32_e32 v5, 28, v4
	v_lshlrev_b64_e32 v[2:3], v5, v[2:3]
	s_delay_alu instid0(VALU_DEP_1)
	v_dual_sub_nc_u32 v4, 29, v4 :: v_dual_bitop2_b32 v2, 7, v2 bitop3:0x40
; %bb.255:                              ;   in Loop: Header=BB355_15 Depth=1
	s_or_b32 exec_lo, exec_lo, s19
	s_delay_alu instid0(VALU_DEP_1) | instskip(NEXT) | instid1(VALU_DEP_2)
	v_dual_lshlrev_b32 v3, 16, v24 :: v_dual_lshlrev_b32 v2, 20, v2
	v_lshl_add_u32 v4, v4, 23, 0x3c000000
	s_delay_alu instid0(VALU_DEP_2) | instskip(NEXT) | instid1(VALU_DEP_1)
	v_and_b32_e32 v3, 0x80000000, v3
	v_or3_b32 v2, v2, v3, v4
	scratch_store_b32 off, v2, s32 offset:464 ; 4-byte Folded Spill
.LBB355_256:                            ;   in Loop: Header=BB355_15 Depth=1
	s_wait_xcnt 0x0
	s_or_b32 exec_lo, exec_lo, s18
.LBB355_257:                            ;   in Loop: Header=BB355_15 Depth=1
	s_delay_alu instid0(SALU_CYCLE_1)
	s_or_b32 exec_lo, exec_lo, s17
.LBB355_258:                            ;   in Loop: Header=BB355_15 Depth=1
	s_delay_alu instid0(SALU_CYCLE_1) | instskip(SKIP_2) | instid1(VALU_DEP_1)
	s_or_b32 exec_lo, exec_lo, s16
	v_dual_mov_b32 v3, 0 :: v_dual_lshrrev_b32 v4, 16, v1
	s_mov_b32 s16, exec_lo
	v_and_b32_e32 v2, 0xff, v4
	scratch_store_b32 off, v3, s32 offset:528 ; 4-byte Folded Spill
	s_wait_xcnt 0x0
	v_mov_b32_e32 v3, 0
	scratch_store_b32 off, v3, s32 offset:468 ; 4-byte Folded Spill
	s_wait_xcnt 0x0
	v_cmpx_ne_u16_e32 0, v2
	s_cbranch_execz .LBB355_266
; %bb.259:                              ;   in Loop: Header=BB355_15 Depth=1
	v_cmp_ne_u16_e64 s1, 0x80, v2
	v_bfrev_b32_e32 v2, 1
	scratch_store_b32 off, v2, s32 offset:468 ; 4-byte Folded Spill
	s_wait_xcnt 0x0
	s_and_saveexec_b32 s17, s1
	s_cbranch_execz .LBB355_265
; %bb.260:                              ;   in Loop: Header=BB355_15 Depth=1
	v_bfe_u32 v2, v1, 16, 7
	v_mov_b32_e32 v3, 0x7f800001
	s_mov_b32 s18, exec_lo
	scratch_store_b32 off, v3, s32 offset:468 ; 4-byte Folded Spill
	s_wait_xcnt 0x0
	v_cmpx_ne_u32_e32 0x7f, v2
	s_cbranch_execz .LBB355_264
; %bb.261:                              ;   in Loop: Header=BB355_15 Depth=1
	v_dual_lshrrev_b32 v5, 3, v2 :: v_dual_bitop2_b32 v24, 7, v4 bitop3:0x40
	v_cmp_gt_u32_e64 s1, 8, v2
	s_delay_alu instid0(VALU_DEP_2)
	v_mov_b64_e32 v[2:3], v[24:25]
	s_and_saveexec_b32 s19, s1
; %bb.262:                              ;   in Loop: Header=BB355_15 Depth=1
	v_clz_i32_u32_e32 v2, v24
	s_delay_alu instid0(VALU_DEP_1) | instskip(NEXT) | instid1(VALU_DEP_1)
	v_min_u32_e32 v5, 32, v2
	v_subrev_nc_u32_e32 v2, 28, v5
	s_delay_alu instid0(VALU_DEP_1) | instskip(NEXT) | instid1(VALU_DEP_1)
	v_lshlrev_b64_e32 v[2:3], v2, v[24:25]
	v_dual_sub_nc_u32 v5, 29, v5 :: v_dual_bitop2_b32 v2, 7, v2 bitop3:0x40
; %bb.263:                              ;   in Loop: Header=BB355_15 Depth=1
	s_or_b32 exec_lo, exec_lo, s19
	s_delay_alu instid0(VALU_DEP_1) | instskip(NEXT) | instid1(VALU_DEP_2)
	v_dual_lshlrev_b32 v3, 24, v4 :: v_dual_lshlrev_b32 v2, 20, v2
	v_lshl_add_u32 v4, v5, 23, 0x3c000000
	s_delay_alu instid0(VALU_DEP_2) | instskip(NEXT) | instid1(VALU_DEP_1)
	v_and_b32_e32 v3, 0x80000000, v3
	v_or3_b32 v2, v2, v3, v4
	scratch_store_b32 off, v2, s32 offset:468 ; 4-byte Folded Spill
.LBB355_264:                            ;   in Loop: Header=BB355_15 Depth=1
	s_wait_xcnt 0x0
	s_or_b32 exec_lo, exec_lo, s18
.LBB355_265:                            ;   in Loop: Header=BB355_15 Depth=1
	s_delay_alu instid0(SALU_CYCLE_1)
	s_or_b32 exec_lo, exec_lo, s17
.LBB355_266:                            ;   in Loop: Header=BB355_15 Depth=1
	s_delay_alu instid0(SALU_CYCLE_1) | instskip(NEXT) | instid1(SALU_CYCLE_1)
	s_or_b32 exec_lo, exec_lo, s16
	s_mov_b32 s16, exec_lo
	v_cmpx_lt_u64_e64 s[8:9], v[0:1]
	s_cbranch_execz .LBB355_274
; %bb.267:                              ;   in Loop: Header=BB355_15 Depth=1
	v_lshrrev_b32_e32 v2, 24, v1
	v_bfrev_b32_e32 v0, 1
	s_mov_b32 s17, exec_lo
	scratch_store_b32 off, v0, s32 offset:528 ; 4-byte Folded Spill
	s_wait_xcnt 0x0
	v_cmpx_ne_u32_e32 0x80, v2
	s_cbranch_execz .LBB355_273
; %bb.268:                              ;   in Loop: Header=BB355_15 Depth=1
	v_bfe_u32 v0, v1, 24, 7
	v_mov_b32_e32 v1, 0x7f800001
	s_mov_b32 s18, exec_lo
	s_delay_alu instid0(VALU_DEP_2)
	v_cmpx_ne_u32_e32 0x7f, v0
	s_cbranch_execz .LBB355_272
; %bb.269:                              ;   in Loop: Header=BB355_15 Depth=1
	v_dual_lshrrev_b32 v3, 3, v0 :: v_dual_bitop2_b32 v24, 7, v2 bitop3:0x40
	v_cmp_gt_u32_e64 s1, 8, v0
	s_delay_alu instid0(VALU_DEP_2)
	v_mov_b64_e32 v[0:1], v[24:25]
	s_and_saveexec_b32 s19, s1
; %bb.270:                              ;   in Loop: Header=BB355_15 Depth=1
	v_clz_i32_u32_e32 v0, v24
	s_delay_alu instid0(VALU_DEP_1) | instskip(NEXT) | instid1(VALU_DEP_1)
	v_min_u32_e32 v3, 32, v0
	v_subrev_nc_u32_e32 v0, 28, v3
	s_delay_alu instid0(VALU_DEP_1) | instskip(NEXT) | instid1(VALU_DEP_1)
	v_lshlrev_b64_e32 v[0:1], v0, v[24:25]
	v_dual_sub_nc_u32 v3, 29, v3 :: v_dual_bitop2_b32 v0, 7, v0 bitop3:0x40
; %bb.271:                              ;   in Loop: Header=BB355_15 Depth=1
	s_or_b32 exec_lo, exec_lo, s19
	s_delay_alu instid0(VALU_DEP_1) | instskip(NEXT) | instid1(VALU_DEP_2)
	v_dual_lshlrev_b32 v1, 24, v2 :: v_dual_lshlrev_b32 v0, 20, v0
	v_lshl_add_u32 v2, v3, 23, 0x3c000000
	s_delay_alu instid0(VALU_DEP_2) | instskip(NEXT) | instid1(VALU_DEP_1)
	v_and_b32_e32 v1, 0x80000000, v1
	v_or3_b32 v1, v0, v1, v2
.LBB355_272:                            ;   in Loop: Header=BB355_15 Depth=1
	s_or_b32 exec_lo, exec_lo, s18
	scratch_store_b32 off, v1, s32 offset:528 ; 4-byte Folded Spill
.LBB355_273:                            ;   in Loop: Header=BB355_15 Depth=1
	s_wait_xcnt 0x0
	s_or_b32 exec_lo, exec_lo, s17
.LBB355_274:                            ;   in Loop: Header=BB355_15 Depth=1
	s_delay_alu instid0(SALU_CYCLE_1)
	s_or_b32 exec_lo, exec_lo, s16
	flat_load_b64 v[0:1], v[36:37] offset:1024
	v_dual_mov_b32 v5, 0 :: v_dual_mov_b32 v4, 0
	s_mov_b32 s16, exec_lo
	scratch_store_b64 off, v[4:5], s32 offset:248 ; 8-byte Folded Spill
	s_wait_loadcnt_dscnt 0x0
	v_and_b32_e32 v2, 0xff, v0
	s_wait_xcnt 0x0
	s_delay_alu instid0(VALU_DEP_1)
	v_cmpx_ne_u16_e32 0, v2
	s_cbranch_execz .LBB355_282
; %bb.275:                              ;   in Loop: Header=BB355_15 Depth=1
	v_cmp_ne_u16_e64 s1, 0x80, v2
	scratch_load_b64 v[2:3], off, s32 offset:248 ; 8-byte Folded Reload
	s_wait_loadcnt 0x0
	v_bfrev_b32_e32 v2, 1
	scratch_store_b64 off, v[2:3], s32 offset:248 ; 8-byte Folded Spill
	s_wait_xcnt 0x0
	s_and_saveexec_b32 s17, s1
	s_cbranch_execz .LBB355_281
; %bb.276:                              ;   in Loop: Header=BB355_15 Depth=1
	scratch_load_b64 v[4:5], off, s32 offset:248 ; 8-byte Folded Reload
	v_and_b32_e32 v2, 0x7f, v0
	s_wait_loadcnt 0x0
	v_mov_b32_e32 v4, 0x7f800001
	s_mov_b32 s18, exec_lo
	scratch_store_b64 off, v[4:5], s32 offset:248 ; 8-byte Folded Spill
	s_wait_xcnt 0x0
	v_cmpx_ne_u32_e32 0x7f, v2
	s_cbranch_execz .LBB355_280
; %bb.277:                              ;   in Loop: Header=BB355_15 Depth=1
	v_lshrrev_b32_e32 v4, 3, v2
	v_cmp_gt_u32_e64 s1, 8, v2
	v_mov_b64_e32 v[2:3], v[0:1]
	s_and_saveexec_b32 s19, s1
; %bb.278:                              ;   in Loop: Header=BB355_15 Depth=1
	v_and_b32_e32 v2, 7, v0
	s_delay_alu instid0(VALU_DEP_1) | instskip(NEXT) | instid1(VALU_DEP_1)
	v_clz_i32_u32_e32 v2, v2
	v_min_u32_e32 v4, 32, v2
	s_delay_alu instid0(VALU_DEP_1) | instskip(SKIP_1) | instid1(VALU_DEP_2)
	v_subrev_nc_u32_e32 v2, 28, v4
	v_sub_nc_u32_e32 v4, 29, v4
	v_lshlrev_b64_e32 v[2:3], v2, v[0:1]
; %bb.279:                              ;   in Loop: Header=BB355_15 Depth=1
	s_or_b32 exec_lo, exec_lo, s19
	scratch_load_b64 v[6:7], off, s32 offset:248 ; 8-byte Folded Reload
	v_dual_lshlrev_b32 v2, 20, v2 :: v_dual_lshlrev_b32 v3, 24, v0
	v_lshl_add_u32 v4, v4, 23, 0x3c000000
	s_delay_alu instid0(VALU_DEP_2) | instskip(NEXT) | instid1(VALU_DEP_3)
	v_and_b32_e32 v2, 0x700000, v2
	v_and_b32_e32 v3, 0x80000000, v3
	s_wait_loadcnt 0x0
	s_delay_alu instid0(VALU_DEP_1)
	v_or3_b32 v6, v2, v3, v4
	scratch_store_b64 off, v[6:7], s32 offset:248 ; 8-byte Folded Spill
.LBB355_280:                            ;   in Loop: Header=BB355_15 Depth=1
	s_wait_xcnt 0x0
	s_or_b32 exec_lo, exec_lo, s18
.LBB355_281:                            ;   in Loop: Header=BB355_15 Depth=1
	s_delay_alu instid0(SALU_CYCLE_1)
	s_or_b32 exec_lo, exec_lo, s17
.LBB355_282:                            ;   in Loop: Header=BB355_15 Depth=1
	s_delay_alu instid0(SALU_CYCLE_1) | instskip(SKIP_2) | instid1(VALU_DEP_1)
	s_or_b32 exec_lo, exec_lo, s16
	v_lshrrev_b16 v2, 8, v0
	s_mov_b32 s16, exec_lo
	v_cmpx_ne_u16_e32 0, v2
	s_cbranch_execz .LBB355_290
; %bb.283:                              ;   in Loop: Header=BB355_15 Depth=1
	scratch_load_b64 v[4:5], off, s32 offset:248 ; 8-byte Folded Reload
	s_wait_loadcnt 0x0
	v_bfrev_b32_e32 v5, 1
	s_mov_b32 s17, exec_lo
	scratch_store_b64 off, v[4:5], s32 offset:248 ; 8-byte Folded Spill
	s_wait_xcnt 0x0
	v_cmpx_ne_u16_e32 0x80, v2
	s_cbranch_execz .LBB355_289
; %bb.284:                              ;   in Loop: Header=BB355_15 Depth=1
	scratch_load_b64 v[4:5], off, s32 offset:248 ; 8-byte Folded Reload
	v_and_b32_e32 v3, 0xffff, v2
	s_wait_loadcnt 0x0
	v_mov_b32_e32 v5, 0x7f800001
	s_mov_b32 s18, exec_lo
	s_delay_alu instid0(VALU_DEP_2)
	v_and_b32_e32 v2, 0x7f, v3
	scratch_store_b64 off, v[4:5], s32 offset:248 ; 8-byte Folded Spill
	s_wait_xcnt 0x0
	v_cmpx_ne_u32_e32 0x7f, v2
	s_cbranch_execz .LBB355_288
; %bb.285:                              ;   in Loop: Header=BB355_15 Depth=1
	v_dual_lshrrev_b32 v4, 3, v2 :: v_dual_bitop2_b32 v24, 7, v3 bitop3:0x40
	v_cmp_gt_u32_e64 s1, 8, v2
	s_delay_alu instid0(VALU_DEP_2)
	v_mov_b64_e32 v[2:3], v[24:25]
	s_and_saveexec_b32 s19, s1
; %bb.286:                              ;   in Loop: Header=BB355_15 Depth=1
	v_clz_i32_u32_e32 v2, v24
	s_delay_alu instid0(VALU_DEP_1) | instskip(NEXT) | instid1(VALU_DEP_1)
	v_min_u32_e32 v4, 32, v2
	v_subrev_nc_u32_e32 v2, 28, v4
	s_delay_alu instid0(VALU_DEP_1) | instskip(NEXT) | instid1(VALU_DEP_1)
	v_lshlrev_b64_e32 v[2:3], v2, v[24:25]
	v_dual_sub_nc_u32 v4, 29, v4 :: v_dual_bitop2_b32 v2, 7, v2 bitop3:0x40
; %bb.287:                              ;   in Loop: Header=BB355_15 Depth=1
	s_or_b32 exec_lo, exec_lo, s19
	scratch_load_b64 v[6:7], off, s32 offset:248 ; 8-byte Folded Reload
	v_dual_lshlrev_b32 v3, 16, v0 :: v_dual_lshlrev_b32 v2, 20, v2
	v_lshl_add_u32 v4, v4, 23, 0x3c000000
	s_delay_alu instid0(VALU_DEP_2) | instskip(SKIP_1) | instid1(VALU_DEP_1)
	v_and_b32_e32 v3, 0x80000000, v3
	s_wait_loadcnt 0x0
	v_or3_b32 v7, v2, v3, v4
	scratch_store_b64 off, v[6:7], s32 offset:248 ; 8-byte Folded Spill
.LBB355_288:                            ;   in Loop: Header=BB355_15 Depth=1
	s_wait_xcnt 0x0
	s_or_b32 exec_lo, exec_lo, s18
.LBB355_289:                            ;   in Loop: Header=BB355_15 Depth=1
	s_delay_alu instid0(SALU_CYCLE_1)
	s_or_b32 exec_lo, exec_lo, s17
.LBB355_290:                            ;   in Loop: Header=BB355_15 Depth=1
	s_delay_alu instid0(SALU_CYCLE_1) | instskip(SKIP_3) | instid1(VALU_DEP_2)
	s_or_b32 exec_lo, exec_lo, s16
	v_dual_mov_b32 v7, 0 :: v_dual_lshrrev_b32 v4, 16, v0
	v_mov_b32_e32 v6, 0
	s_mov_b32 s16, exec_lo
	v_and_b32_e32 v2, 0xff, v4
	scratch_store_b64 off, v[6:7], s32 offset:256 ; 8-byte Folded Spill
	s_wait_xcnt 0x0
	v_cmpx_ne_u16_e32 0, v2
	s_cbranch_execz .LBB355_298
; %bb.291:                              ;   in Loop: Header=BB355_15 Depth=1
	v_cmp_ne_u16_e64 s1, 0x80, v2
	scratch_load_b64 v[2:3], off, s32 offset:256 ; 8-byte Folded Reload
	s_wait_loadcnt 0x0
	v_bfrev_b32_e32 v2, 1
	scratch_store_b64 off, v[2:3], s32 offset:256 ; 8-byte Folded Spill
	s_wait_xcnt 0x0
	s_and_saveexec_b32 s17, s1
	s_cbranch_execz .LBB355_297
; %bb.292:                              ;   in Loop: Header=BB355_15 Depth=1
	scratch_load_b64 v[6:7], off, s32 offset:256 ; 8-byte Folded Reload
	v_bfe_u32 v2, v0, 16, 7
	s_wait_loadcnt 0x0
	v_mov_b32_e32 v6, 0x7f800001
	s_mov_b32 s18, exec_lo
	scratch_store_b64 off, v[6:7], s32 offset:256 ; 8-byte Folded Spill
	s_wait_xcnt 0x0
	v_cmpx_ne_u32_e32 0x7f, v2
	s_cbranch_execz .LBB355_296
; %bb.293:                              ;   in Loop: Header=BB355_15 Depth=1
	v_dual_lshrrev_b32 v5, 3, v2 :: v_dual_bitop2_b32 v24, 7, v4 bitop3:0x40
	v_cmp_gt_u32_e64 s1, 8, v2
	s_delay_alu instid0(VALU_DEP_2)
	v_mov_b64_e32 v[2:3], v[24:25]
	s_and_saveexec_b32 s19, s1
; %bb.294:                              ;   in Loop: Header=BB355_15 Depth=1
	v_clz_i32_u32_e32 v2, v24
	s_delay_alu instid0(VALU_DEP_1) | instskip(NEXT) | instid1(VALU_DEP_1)
	v_min_u32_e32 v5, 32, v2
	v_subrev_nc_u32_e32 v2, 28, v5
	s_delay_alu instid0(VALU_DEP_1) | instskip(NEXT) | instid1(VALU_DEP_1)
	v_lshlrev_b64_e32 v[2:3], v2, v[24:25]
	v_dual_sub_nc_u32 v5, 29, v5 :: v_dual_bitop2_b32 v2, 7, v2 bitop3:0x40
; %bb.295:                              ;   in Loop: Header=BB355_15 Depth=1
	s_or_b32 exec_lo, exec_lo, s19
	scratch_load_b64 v[6:7], off, s32 offset:256 ; 8-byte Folded Reload
	v_dual_lshlrev_b32 v3, 24, v4 :: v_dual_lshlrev_b32 v2, 20, v2
	v_lshl_add_u32 v4, v5, 23, 0x3c000000
	s_delay_alu instid0(VALU_DEP_2) | instskip(SKIP_1) | instid1(VALU_DEP_1)
	v_and_b32_e32 v3, 0x80000000, v3
	s_wait_loadcnt 0x0
	v_or3_b32 v6, v2, v3, v4
	scratch_store_b64 off, v[6:7], s32 offset:256 ; 8-byte Folded Spill
.LBB355_296:                            ;   in Loop: Header=BB355_15 Depth=1
	s_wait_xcnt 0x0
	s_or_b32 exec_lo, exec_lo, s18
.LBB355_297:                            ;   in Loop: Header=BB355_15 Depth=1
	s_delay_alu instid0(SALU_CYCLE_1)
	s_or_b32 exec_lo, exec_lo, s17
.LBB355_298:                            ;   in Loop: Header=BB355_15 Depth=1
	s_delay_alu instid0(SALU_CYCLE_1) | instskip(NEXT) | instid1(SALU_CYCLE_1)
	s_or_b32 exec_lo, exec_lo, s16
	s_mov_b32 s16, exec_lo
	v_cmpx_lt_u32_e32 0xffffff, v0
	s_cbranch_execz .LBB355_306
; %bb.299:                              ;   in Loop: Header=BB355_15 Depth=1
	scratch_load_b64 v[2:3], off, s32 offset:256 ; 8-byte Folded Reload
	v_lshrrev_b32_e32 v4, 24, v0
	s_wait_loadcnt 0x0
	v_bfrev_b32_e32 v3, 1
	s_mov_b32 s17, exec_lo
	scratch_store_b64 off, v[2:3], s32 offset:256 ; 8-byte Folded Spill
	s_wait_xcnt 0x0
	v_cmpx_ne_u32_e32 0x80, v4
	s_cbranch_execz .LBB355_305
; %bb.300:                              ;   in Loop: Header=BB355_15 Depth=1
	scratch_load_b64 v[6:7], off, s32 offset:256 ; 8-byte Folded Reload
	v_bfe_u32 v2, v0, 24, 7
	s_wait_loadcnt 0x0
	v_mov_b32_e32 v7, 0x7f800001
	s_mov_b32 s18, exec_lo
	scratch_store_b64 off, v[6:7], s32 offset:256 ; 8-byte Folded Spill
	s_wait_xcnt 0x0
	v_cmpx_ne_u32_e32 0x7f, v2
	s_cbranch_execz .LBB355_304
; %bb.301:                              ;   in Loop: Header=BB355_15 Depth=1
	v_dual_lshrrev_b32 v5, 3, v2 :: v_dual_bitop2_b32 v24, 7, v4 bitop3:0x40
	v_cmp_gt_u32_e64 s1, 8, v2
	s_delay_alu instid0(VALU_DEP_2)
	v_mov_b64_e32 v[2:3], v[24:25]
	s_and_saveexec_b32 s19, s1
; %bb.302:                              ;   in Loop: Header=BB355_15 Depth=1
	v_clz_i32_u32_e32 v2, v24
	s_delay_alu instid0(VALU_DEP_1) | instskip(NEXT) | instid1(VALU_DEP_1)
	v_min_u32_e32 v5, 32, v2
	v_subrev_nc_u32_e32 v2, 28, v5
	s_delay_alu instid0(VALU_DEP_1) | instskip(NEXT) | instid1(VALU_DEP_1)
	v_lshlrev_b64_e32 v[2:3], v2, v[24:25]
	v_dual_sub_nc_u32 v5, 29, v5 :: v_dual_bitop2_b32 v2, 7, v2 bitop3:0x40
; %bb.303:                              ;   in Loop: Header=BB355_15 Depth=1
	s_or_b32 exec_lo, exec_lo, s19
	scratch_load_b64 v[6:7], off, s32 offset:256 ; 8-byte Folded Reload
	v_dual_lshlrev_b32 v3, 24, v4 :: v_dual_lshlrev_b32 v2, 20, v2
	v_lshl_add_u32 v4, v5, 23, 0x3c000000
	s_delay_alu instid0(VALU_DEP_2) | instskip(SKIP_1) | instid1(VALU_DEP_1)
	v_and_b32_e32 v3, 0x80000000, v3
	s_wait_loadcnt 0x0
	v_or3_b32 v7, v2, v3, v4
	scratch_store_b64 off, v[6:7], s32 offset:256 ; 8-byte Folded Spill
.LBB355_304:                            ;   in Loop: Header=BB355_15 Depth=1
	s_wait_xcnt 0x0
	s_or_b32 exec_lo, exec_lo, s18
.LBB355_305:                            ;   in Loop: Header=BB355_15 Depth=1
	s_delay_alu instid0(SALU_CYCLE_1)
	s_or_b32 exec_lo, exec_lo, s17
.LBB355_306:                            ;   in Loop: Header=BB355_15 Depth=1
	s_delay_alu instid0(SALU_CYCLE_1)
	s_or_b32 exec_lo, exec_lo, s16
	v_and_b32_e32 v2, 0xff, v1
	v_dual_mov_b32 v24, v1 :: v_dual_mov_b32 v5, 0
	v_mov_b32_e32 v4, 0
	s_mov_b32 s16, exec_lo
	scratch_store_b64 off, v[4:5], s32 offset:264 ; 8-byte Folded Spill
	s_wait_xcnt 0x0
	v_cmpx_ne_u16_e32 0, v2
	s_cbranch_execz .LBB355_314
; %bb.307:                              ;   in Loop: Header=BB355_15 Depth=1
	v_cmp_ne_u16_e64 s1, 0x80, v2
	scratch_load_b64 v[2:3], off, s32 offset:264 ; 8-byte Folded Reload
	s_wait_loadcnt 0x0
	v_bfrev_b32_e32 v2, 1
	scratch_store_b64 off, v[2:3], s32 offset:264 ; 8-byte Folded Spill
	s_wait_xcnt 0x0
	s_and_saveexec_b32 s17, s1
	s_cbranch_execz .LBB355_313
; %bb.308:                              ;   in Loop: Header=BB355_15 Depth=1
	scratch_load_b64 v[4:5], off, s32 offset:264 ; 8-byte Folded Reload
	v_and_b32_e32 v2, 0x7f, v1
	s_wait_loadcnt 0x0
	v_mov_b32_e32 v4, 0x7f800001
	s_mov_b32 s18, exec_lo
	scratch_store_b64 off, v[4:5], s32 offset:264 ; 8-byte Folded Spill
	s_wait_xcnt 0x0
	v_cmpx_ne_u32_e32 0x7f, v2
	s_cbranch_execz .LBB355_312
; %bb.309:                              ;   in Loop: Header=BB355_15 Depth=1
	v_lshrrev_b32_e32 v4, 3, v2
	v_cmp_gt_u32_e64 s1, 8, v2
	v_mov_b64_e32 v[2:3], v[24:25]
	s_and_saveexec_b32 s19, s1
; %bb.310:                              ;   in Loop: Header=BB355_15 Depth=1
	v_and_b32_e32 v2, 7, v1
	s_delay_alu instid0(VALU_DEP_1) | instskip(NEXT) | instid1(VALU_DEP_1)
	v_clz_i32_u32_e32 v2, v2
	v_min_u32_e32 v4, 32, v2
	s_delay_alu instid0(VALU_DEP_1) | instskip(SKIP_1) | instid1(VALU_DEP_2)
	v_subrev_nc_u32_e32 v2, 28, v4
	v_sub_nc_u32_e32 v4, 29, v4
	v_lshlrev_b64_e32 v[2:3], v2, v[24:25]
; %bb.311:                              ;   in Loop: Header=BB355_15 Depth=1
	s_or_b32 exec_lo, exec_lo, s19
	scratch_load_b64 v[6:7], off, s32 offset:264 ; 8-byte Folded Reload
	v_dual_lshlrev_b32 v2, 20, v2 :: v_dual_lshlrev_b32 v3, 24, v24
	v_lshl_add_u32 v4, v4, 23, 0x3c000000
	s_delay_alu instid0(VALU_DEP_2) | instskip(NEXT) | instid1(VALU_DEP_3)
	v_and_b32_e32 v2, 0x700000, v2
	v_and_b32_e32 v3, 0x80000000, v3
	s_wait_loadcnt 0x0
	s_delay_alu instid0(VALU_DEP_1)
	v_or3_b32 v6, v2, v3, v4
	scratch_store_b64 off, v[6:7], s32 offset:264 ; 8-byte Folded Spill
.LBB355_312:                            ;   in Loop: Header=BB355_15 Depth=1
	s_wait_xcnt 0x0
	s_or_b32 exec_lo, exec_lo, s18
.LBB355_313:                            ;   in Loop: Header=BB355_15 Depth=1
	s_delay_alu instid0(SALU_CYCLE_1)
	s_or_b32 exec_lo, exec_lo, s17
.LBB355_314:                            ;   in Loop: Header=BB355_15 Depth=1
	s_delay_alu instid0(SALU_CYCLE_1) | instskip(SKIP_2) | instid1(VALU_DEP_1)
	s_or_b32 exec_lo, exec_lo, s16
	v_lshrrev_b16 v2, 8, v24
	s_mov_b32 s16, exec_lo
	v_cmpx_ne_u16_e32 0, v2
	s_cbranch_execz .LBB355_322
; %bb.315:                              ;   in Loop: Header=BB355_15 Depth=1
	scratch_load_b64 v[4:5], off, s32 offset:264 ; 8-byte Folded Reload
	s_wait_loadcnt 0x0
	v_bfrev_b32_e32 v5, 1
	s_mov_b32 s17, exec_lo
	scratch_store_b64 off, v[4:5], s32 offset:264 ; 8-byte Folded Spill
	s_wait_xcnt 0x0
	v_cmpx_ne_u16_e32 0x80, v2
	s_cbranch_execz .LBB355_321
; %bb.316:                              ;   in Loop: Header=BB355_15 Depth=1
	scratch_load_b64 v[6:7], off, s32 offset:264 ; 8-byte Folded Reload
	v_and_b32_e32 v2, 0xffff, v2
	s_wait_loadcnt 0x0
	v_mov_b32_e32 v7, 0x7f800001
	s_mov_b32 s18, exec_lo
	s_delay_alu instid0(VALU_DEP_2)
	v_and_b32_e32 v5, 0x7f, v2
	scratch_store_b64 off, v[6:7], s32 offset:264 ; 8-byte Folded Spill
	s_wait_xcnt 0x0
	v_cmpx_ne_u32_e32 0x7f, v5
	s_cbranch_execz .LBB355_320
; %bb.317:                              ;   in Loop: Header=BB355_15 Depth=1
	v_dual_mov_b32 v3, v25 :: v_dual_bitop2_b32 v2, 7, v2 bitop3:0x40
	v_lshrrev_b32_e32 v4, 3, v5
	s_mov_b32 s19, exec_lo
	v_cmpx_gt_u32_e32 8, v5
; %bb.318:                              ;   in Loop: Header=BB355_15 Depth=1
	s_delay_alu instid0(VALU_DEP_3) | instskip(NEXT) | instid1(VALU_DEP_1)
	v_clz_i32_u32_e32 v4, v2
	v_min_u32_e32 v4, 32, v4
	s_delay_alu instid0(VALU_DEP_1) | instskip(NEXT) | instid1(VALU_DEP_1)
	v_subrev_nc_u32_e32 v5, 28, v4
	v_lshlrev_b64_e32 v[2:3], v5, v[2:3]
	s_delay_alu instid0(VALU_DEP_1)
	v_dual_sub_nc_u32 v4, 29, v4 :: v_dual_bitop2_b32 v2, 7, v2 bitop3:0x40
; %bb.319:                              ;   in Loop: Header=BB355_15 Depth=1
	s_or_b32 exec_lo, exec_lo, s19
	scratch_load_b64 v[6:7], off, s32 offset:264 ; 8-byte Folded Reload
	v_dual_lshlrev_b32 v3, 16, v24 :: v_dual_lshlrev_b32 v2, 20, v2
	v_lshl_add_u32 v4, v4, 23, 0x3c000000
	s_delay_alu instid0(VALU_DEP_2) | instskip(SKIP_1) | instid1(VALU_DEP_1)
	v_and_b32_e32 v3, 0x80000000, v3
	s_wait_loadcnt 0x0
	v_or3_b32 v7, v2, v3, v4
	scratch_store_b64 off, v[6:7], s32 offset:264 ; 8-byte Folded Spill
.LBB355_320:                            ;   in Loop: Header=BB355_15 Depth=1
	s_wait_xcnt 0x0
	s_or_b32 exec_lo, exec_lo, s18
.LBB355_321:                            ;   in Loop: Header=BB355_15 Depth=1
	s_delay_alu instid0(SALU_CYCLE_1)
	s_or_b32 exec_lo, exec_lo, s17
.LBB355_322:                            ;   in Loop: Header=BB355_15 Depth=1
	s_delay_alu instid0(SALU_CYCLE_1) | instskip(SKIP_3) | instid1(VALU_DEP_2)
	s_or_b32 exec_lo, exec_lo, s16
	v_dual_mov_b32 v7, 0 :: v_dual_lshrrev_b32 v4, 16, v1
	v_mov_b32_e32 v6, 0
	s_mov_b32 s16, exec_lo
	v_and_b32_e32 v2, 0xff, v4
	scratch_store_b64 off, v[6:7], s32 offset:272 ; 8-byte Folded Spill
	s_wait_xcnt 0x0
	v_cmpx_ne_u16_e32 0, v2
	s_cbranch_execz .LBB355_330
; %bb.323:                              ;   in Loop: Header=BB355_15 Depth=1
	v_cmp_ne_u16_e64 s1, 0x80, v2
	scratch_load_b64 v[2:3], off, s32 offset:272 ; 8-byte Folded Reload
	s_wait_loadcnt 0x0
	v_bfrev_b32_e32 v2, 1
	scratch_store_b64 off, v[2:3], s32 offset:272 ; 8-byte Folded Spill
	s_wait_xcnt 0x0
	s_and_saveexec_b32 s17, s1
	s_cbranch_execz .LBB355_329
; %bb.324:                              ;   in Loop: Header=BB355_15 Depth=1
	scratch_load_b64 v[6:7], off, s32 offset:272 ; 8-byte Folded Reload
	v_bfe_u32 v2, v1, 16, 7
	s_wait_loadcnt 0x0
	v_mov_b32_e32 v6, 0x7f800001
	s_mov_b32 s18, exec_lo
	scratch_store_b64 off, v[6:7], s32 offset:272 ; 8-byte Folded Spill
	s_wait_xcnt 0x0
	v_cmpx_ne_u32_e32 0x7f, v2
	s_cbranch_execz .LBB355_328
; %bb.325:                              ;   in Loop: Header=BB355_15 Depth=1
	v_dual_lshrrev_b32 v5, 3, v2 :: v_dual_bitop2_b32 v24, 7, v4 bitop3:0x40
	v_cmp_gt_u32_e64 s1, 8, v2
	s_delay_alu instid0(VALU_DEP_2)
	v_mov_b64_e32 v[2:3], v[24:25]
	s_and_saveexec_b32 s19, s1
; %bb.326:                              ;   in Loop: Header=BB355_15 Depth=1
	v_clz_i32_u32_e32 v2, v24
	s_delay_alu instid0(VALU_DEP_1) | instskip(NEXT) | instid1(VALU_DEP_1)
	v_min_u32_e32 v5, 32, v2
	v_subrev_nc_u32_e32 v2, 28, v5
	s_delay_alu instid0(VALU_DEP_1) | instskip(NEXT) | instid1(VALU_DEP_1)
	v_lshlrev_b64_e32 v[2:3], v2, v[24:25]
	v_dual_sub_nc_u32 v5, 29, v5 :: v_dual_bitop2_b32 v2, 7, v2 bitop3:0x40
; %bb.327:                              ;   in Loop: Header=BB355_15 Depth=1
	s_or_b32 exec_lo, exec_lo, s19
	scratch_load_b64 v[6:7], off, s32 offset:272 ; 8-byte Folded Reload
	v_dual_lshlrev_b32 v3, 24, v4 :: v_dual_lshlrev_b32 v2, 20, v2
	v_lshl_add_u32 v4, v5, 23, 0x3c000000
	s_delay_alu instid0(VALU_DEP_2) | instskip(SKIP_1) | instid1(VALU_DEP_1)
	v_and_b32_e32 v3, 0x80000000, v3
	s_wait_loadcnt 0x0
	v_or3_b32 v6, v2, v3, v4
	scratch_store_b64 off, v[6:7], s32 offset:272 ; 8-byte Folded Spill
.LBB355_328:                            ;   in Loop: Header=BB355_15 Depth=1
	s_wait_xcnt 0x0
	s_or_b32 exec_lo, exec_lo, s18
.LBB355_329:                            ;   in Loop: Header=BB355_15 Depth=1
	s_delay_alu instid0(SALU_CYCLE_1)
	s_or_b32 exec_lo, exec_lo, s17
.LBB355_330:                            ;   in Loop: Header=BB355_15 Depth=1
	s_delay_alu instid0(SALU_CYCLE_1) | instskip(NEXT) | instid1(SALU_CYCLE_1)
	s_or_b32 exec_lo, exec_lo, s16
	s_mov_b32 s16, exec_lo
	v_cmpx_lt_u64_e64 s[8:9], v[0:1]
	s_cbranch_execz .LBB355_338
; %bb.331:                              ;   in Loop: Header=BB355_15 Depth=1
	scratch_load_b64 v[4:5], off, s32 offset:272 ; 8-byte Folded Reload
	v_lshrrev_b32_e32 v2, 24, v1
	s_wait_loadcnt 0x0
	v_bfrev_b32_e32 v5, 1
	s_mov_b32 s17, exec_lo
	scratch_store_b64 off, v[4:5], s32 offset:272 ; 8-byte Folded Spill
	s_wait_xcnt 0x0
	v_cmpx_ne_u32_e32 0x80, v2
	s_cbranch_execz .LBB355_337
; %bb.332:                              ;   in Loop: Header=BB355_15 Depth=1
	scratch_load_b64 v[4:5], off, s32 offset:272 ; 8-byte Folded Reload
	v_bfe_u32 v0, v1, 24, 7
	s_wait_loadcnt 0x0
	v_mov_b32_e32 v5, 0x7f800001
	s_mov_b32 s18, exec_lo
	scratch_store_b64 off, v[4:5], s32 offset:272 ; 8-byte Folded Spill
	s_wait_xcnt 0x0
	v_cmpx_ne_u32_e32 0x7f, v0
	s_cbranch_execz .LBB355_336
; %bb.333:                              ;   in Loop: Header=BB355_15 Depth=1
	v_dual_lshrrev_b32 v3, 3, v0 :: v_dual_bitop2_b32 v24, 7, v2 bitop3:0x40
	v_cmp_gt_u32_e64 s1, 8, v0
	s_delay_alu instid0(VALU_DEP_2)
	v_mov_b64_e32 v[0:1], v[24:25]
	s_and_saveexec_b32 s19, s1
; %bb.334:                              ;   in Loop: Header=BB355_15 Depth=1
	v_clz_i32_u32_e32 v0, v24
	s_delay_alu instid0(VALU_DEP_1) | instskip(NEXT) | instid1(VALU_DEP_1)
	v_min_u32_e32 v3, 32, v0
	v_subrev_nc_u32_e32 v0, 28, v3
	s_delay_alu instid0(VALU_DEP_1) | instskip(NEXT) | instid1(VALU_DEP_1)
	v_lshlrev_b64_e32 v[0:1], v0, v[24:25]
	v_dual_sub_nc_u32 v3, 29, v3 :: v_dual_bitop2_b32 v0, 7, v0 bitop3:0x40
; %bb.335:                              ;   in Loop: Header=BB355_15 Depth=1
	s_or_b32 exec_lo, exec_lo, s19
	scratch_load_b64 v[4:5], off, s32 offset:272 ; 8-byte Folded Reload
	v_dual_lshlrev_b32 v1, 24, v2 :: v_dual_lshlrev_b32 v0, 20, v0
	v_lshl_add_u32 v2, v3, 23, 0x3c000000
	s_delay_alu instid0(VALU_DEP_2) | instskip(SKIP_1) | instid1(VALU_DEP_1)
	v_and_b32_e32 v1, 0x80000000, v1
	s_wait_loadcnt 0x0
	v_or3_b32 v5, v0, v1, v2
	scratch_store_b64 off, v[4:5], s32 offset:272 ; 8-byte Folded Spill
.LBB355_336:                            ;   in Loop: Header=BB355_15 Depth=1
	s_wait_xcnt 0x0
	s_or_b32 exec_lo, exec_lo, s18
.LBB355_337:                            ;   in Loop: Header=BB355_15 Depth=1
	s_delay_alu instid0(SALU_CYCLE_1)
	s_or_b32 exec_lo, exec_lo, s17
.LBB355_338:                            ;   in Loop: Header=BB355_15 Depth=1
	s_delay_alu instid0(SALU_CYCLE_1)
	s_or_b32 exec_lo, exec_lo, s16
	flat_load_b64 v[0:1], v[36:37] offset:1032
	v_dual_mov_b32 v5, 0 :: v_dual_mov_b32 v4, 0
	s_mov_b32 s16, exec_lo
	scratch_store_b64 off, v[4:5], s32 offset:280 ; 8-byte Folded Spill
	s_wait_loadcnt_dscnt 0x0
	v_and_b32_e32 v2, 0xff, v0
	s_wait_xcnt 0x0
	s_delay_alu instid0(VALU_DEP_1)
	v_cmpx_ne_u16_e32 0, v2
	s_cbranch_execz .LBB355_346
; %bb.339:                              ;   in Loop: Header=BB355_15 Depth=1
	v_cmp_ne_u16_e64 s1, 0x80, v2
	scratch_load_b64 v[2:3], off, s32 offset:280 ; 8-byte Folded Reload
	s_wait_loadcnt 0x0
	v_bfrev_b32_e32 v2, 1
	scratch_store_b64 off, v[2:3], s32 offset:280 ; 8-byte Folded Spill
	s_wait_xcnt 0x0
	s_and_saveexec_b32 s17, s1
	s_cbranch_execz .LBB355_345
; %bb.340:                              ;   in Loop: Header=BB355_15 Depth=1
	scratch_load_b64 v[4:5], off, s32 offset:280 ; 8-byte Folded Reload
	v_and_b32_e32 v2, 0x7f, v0
	s_wait_loadcnt 0x0
	v_mov_b32_e32 v4, 0x7f800001
	s_mov_b32 s18, exec_lo
	scratch_store_b64 off, v[4:5], s32 offset:280 ; 8-byte Folded Spill
	s_wait_xcnt 0x0
	v_cmpx_ne_u32_e32 0x7f, v2
	s_cbranch_execz .LBB355_344
; %bb.341:                              ;   in Loop: Header=BB355_15 Depth=1
	v_lshrrev_b32_e32 v4, 3, v2
	v_cmp_gt_u32_e64 s1, 8, v2
	v_mov_b64_e32 v[2:3], v[0:1]
	s_and_saveexec_b32 s19, s1
; %bb.342:                              ;   in Loop: Header=BB355_15 Depth=1
	v_and_b32_e32 v2, 7, v0
	s_delay_alu instid0(VALU_DEP_1) | instskip(NEXT) | instid1(VALU_DEP_1)
	v_clz_i32_u32_e32 v2, v2
	v_min_u32_e32 v4, 32, v2
	s_delay_alu instid0(VALU_DEP_1) | instskip(SKIP_1) | instid1(VALU_DEP_2)
	v_subrev_nc_u32_e32 v2, 28, v4
	v_sub_nc_u32_e32 v4, 29, v4
	v_lshlrev_b64_e32 v[2:3], v2, v[0:1]
; %bb.343:                              ;   in Loop: Header=BB355_15 Depth=1
	s_or_b32 exec_lo, exec_lo, s19
	scratch_load_b64 v[6:7], off, s32 offset:280 ; 8-byte Folded Reload
	v_dual_lshlrev_b32 v2, 20, v2 :: v_dual_lshlrev_b32 v3, 24, v0
	v_lshl_add_u32 v4, v4, 23, 0x3c000000
	s_delay_alu instid0(VALU_DEP_2) | instskip(NEXT) | instid1(VALU_DEP_3)
	v_and_b32_e32 v2, 0x700000, v2
	v_and_b32_e32 v3, 0x80000000, v3
	s_wait_loadcnt 0x0
	s_delay_alu instid0(VALU_DEP_1)
	v_or3_b32 v6, v2, v3, v4
	scratch_store_b64 off, v[6:7], s32 offset:280 ; 8-byte Folded Spill
.LBB355_344:                            ;   in Loop: Header=BB355_15 Depth=1
	s_wait_xcnt 0x0
	s_or_b32 exec_lo, exec_lo, s18
.LBB355_345:                            ;   in Loop: Header=BB355_15 Depth=1
	s_delay_alu instid0(SALU_CYCLE_1)
	s_or_b32 exec_lo, exec_lo, s17
.LBB355_346:                            ;   in Loop: Header=BB355_15 Depth=1
	s_delay_alu instid0(SALU_CYCLE_1) | instskip(SKIP_2) | instid1(VALU_DEP_1)
	s_or_b32 exec_lo, exec_lo, s16
	v_lshrrev_b16 v2, 8, v0
	s_mov_b32 s16, exec_lo
	v_cmpx_ne_u16_e32 0, v2
	s_cbranch_execz .LBB355_354
; %bb.347:                              ;   in Loop: Header=BB355_15 Depth=1
	scratch_load_b64 v[4:5], off, s32 offset:280 ; 8-byte Folded Reload
	s_wait_loadcnt 0x0
	v_bfrev_b32_e32 v5, 1
	s_mov_b32 s17, exec_lo
	scratch_store_b64 off, v[4:5], s32 offset:280 ; 8-byte Folded Spill
	s_wait_xcnt 0x0
	v_cmpx_ne_u16_e32 0x80, v2
	s_cbranch_execz .LBB355_353
; %bb.348:                              ;   in Loop: Header=BB355_15 Depth=1
	scratch_load_b64 v[4:5], off, s32 offset:280 ; 8-byte Folded Reload
	v_and_b32_e32 v3, 0xffff, v2
	s_wait_loadcnt 0x0
	v_mov_b32_e32 v5, 0x7f800001
	s_mov_b32 s18, exec_lo
	s_delay_alu instid0(VALU_DEP_2)
	v_and_b32_e32 v2, 0x7f, v3
	scratch_store_b64 off, v[4:5], s32 offset:280 ; 8-byte Folded Spill
	s_wait_xcnt 0x0
	v_cmpx_ne_u32_e32 0x7f, v2
	s_cbranch_execz .LBB355_352
; %bb.349:                              ;   in Loop: Header=BB355_15 Depth=1
	v_dual_lshrrev_b32 v4, 3, v2 :: v_dual_bitop2_b32 v24, 7, v3 bitop3:0x40
	v_cmp_gt_u32_e64 s1, 8, v2
	s_delay_alu instid0(VALU_DEP_2)
	v_mov_b64_e32 v[2:3], v[24:25]
	s_and_saveexec_b32 s19, s1
; %bb.350:                              ;   in Loop: Header=BB355_15 Depth=1
	v_clz_i32_u32_e32 v2, v24
	s_delay_alu instid0(VALU_DEP_1) | instskip(NEXT) | instid1(VALU_DEP_1)
	v_min_u32_e32 v4, 32, v2
	v_subrev_nc_u32_e32 v2, 28, v4
	s_delay_alu instid0(VALU_DEP_1) | instskip(NEXT) | instid1(VALU_DEP_1)
	v_lshlrev_b64_e32 v[2:3], v2, v[24:25]
	v_dual_sub_nc_u32 v4, 29, v4 :: v_dual_bitop2_b32 v2, 7, v2 bitop3:0x40
; %bb.351:                              ;   in Loop: Header=BB355_15 Depth=1
	s_or_b32 exec_lo, exec_lo, s19
	scratch_load_b64 v[6:7], off, s32 offset:280 ; 8-byte Folded Reload
	v_dual_lshlrev_b32 v3, 16, v0 :: v_dual_lshlrev_b32 v2, 20, v2
	v_lshl_add_u32 v4, v4, 23, 0x3c000000
	s_delay_alu instid0(VALU_DEP_2) | instskip(SKIP_1) | instid1(VALU_DEP_1)
	v_and_b32_e32 v3, 0x80000000, v3
	s_wait_loadcnt 0x0
	v_or3_b32 v7, v2, v3, v4
	scratch_store_b64 off, v[6:7], s32 offset:280 ; 8-byte Folded Spill
.LBB355_352:                            ;   in Loop: Header=BB355_15 Depth=1
	s_wait_xcnt 0x0
	s_or_b32 exec_lo, exec_lo, s18
.LBB355_353:                            ;   in Loop: Header=BB355_15 Depth=1
	s_delay_alu instid0(SALU_CYCLE_1)
	s_or_b32 exec_lo, exec_lo, s17
.LBB355_354:                            ;   in Loop: Header=BB355_15 Depth=1
	s_delay_alu instid0(SALU_CYCLE_1) | instskip(SKIP_3) | instid1(VALU_DEP_2)
	s_or_b32 exec_lo, exec_lo, s16
	v_dual_mov_b32 v7, 0 :: v_dual_lshrrev_b32 v4, 16, v0
	v_mov_b32_e32 v6, 0
	s_mov_b32 s16, exec_lo
	v_and_b32_e32 v2, 0xff, v4
	scratch_store_b64 off, v[6:7], s32 offset:288 ; 8-byte Folded Spill
	s_wait_xcnt 0x0
	v_cmpx_ne_u16_e32 0, v2
	s_cbranch_execz .LBB355_362
; %bb.355:                              ;   in Loop: Header=BB355_15 Depth=1
	v_cmp_ne_u16_e64 s1, 0x80, v2
	scratch_load_b64 v[2:3], off, s32 offset:288 ; 8-byte Folded Reload
	s_wait_loadcnt 0x0
	v_bfrev_b32_e32 v2, 1
	scratch_store_b64 off, v[2:3], s32 offset:288 ; 8-byte Folded Spill
	s_wait_xcnt 0x0
	s_and_saveexec_b32 s17, s1
	s_cbranch_execz .LBB355_361
; %bb.356:                              ;   in Loop: Header=BB355_15 Depth=1
	scratch_load_b64 v[6:7], off, s32 offset:288 ; 8-byte Folded Reload
	v_bfe_u32 v2, v0, 16, 7
	s_wait_loadcnt 0x0
	v_mov_b32_e32 v6, 0x7f800001
	s_mov_b32 s18, exec_lo
	scratch_store_b64 off, v[6:7], s32 offset:288 ; 8-byte Folded Spill
	s_wait_xcnt 0x0
	v_cmpx_ne_u32_e32 0x7f, v2
	s_cbranch_execz .LBB355_360
; %bb.357:                              ;   in Loop: Header=BB355_15 Depth=1
	v_dual_lshrrev_b32 v5, 3, v2 :: v_dual_bitop2_b32 v24, 7, v4 bitop3:0x40
	v_cmp_gt_u32_e64 s1, 8, v2
	s_delay_alu instid0(VALU_DEP_2)
	v_mov_b64_e32 v[2:3], v[24:25]
	s_and_saveexec_b32 s19, s1
; %bb.358:                              ;   in Loop: Header=BB355_15 Depth=1
	v_clz_i32_u32_e32 v2, v24
	s_delay_alu instid0(VALU_DEP_1) | instskip(NEXT) | instid1(VALU_DEP_1)
	v_min_u32_e32 v5, 32, v2
	v_subrev_nc_u32_e32 v2, 28, v5
	s_delay_alu instid0(VALU_DEP_1) | instskip(NEXT) | instid1(VALU_DEP_1)
	v_lshlrev_b64_e32 v[2:3], v2, v[24:25]
	v_dual_sub_nc_u32 v5, 29, v5 :: v_dual_bitop2_b32 v2, 7, v2 bitop3:0x40
; %bb.359:                              ;   in Loop: Header=BB355_15 Depth=1
	s_or_b32 exec_lo, exec_lo, s19
	scratch_load_b64 v[6:7], off, s32 offset:288 ; 8-byte Folded Reload
	v_dual_lshlrev_b32 v3, 24, v4 :: v_dual_lshlrev_b32 v2, 20, v2
	v_lshl_add_u32 v4, v5, 23, 0x3c000000
	s_delay_alu instid0(VALU_DEP_2) | instskip(SKIP_1) | instid1(VALU_DEP_1)
	v_and_b32_e32 v3, 0x80000000, v3
	s_wait_loadcnt 0x0
	v_or3_b32 v6, v2, v3, v4
	scratch_store_b64 off, v[6:7], s32 offset:288 ; 8-byte Folded Spill
.LBB355_360:                            ;   in Loop: Header=BB355_15 Depth=1
	s_wait_xcnt 0x0
	s_or_b32 exec_lo, exec_lo, s18
.LBB355_361:                            ;   in Loop: Header=BB355_15 Depth=1
	s_delay_alu instid0(SALU_CYCLE_1)
	s_or_b32 exec_lo, exec_lo, s17
.LBB355_362:                            ;   in Loop: Header=BB355_15 Depth=1
	s_delay_alu instid0(SALU_CYCLE_1) | instskip(NEXT) | instid1(SALU_CYCLE_1)
	s_or_b32 exec_lo, exec_lo, s16
	s_mov_b32 s16, exec_lo
	v_cmpx_lt_u32_e32 0xffffff, v0
	s_cbranch_execz .LBB355_370
; %bb.363:                              ;   in Loop: Header=BB355_15 Depth=1
	scratch_load_b64 v[2:3], off, s32 offset:288 ; 8-byte Folded Reload
	v_lshrrev_b32_e32 v4, 24, v0
	s_wait_loadcnt 0x0
	v_bfrev_b32_e32 v3, 1
	s_mov_b32 s17, exec_lo
	scratch_store_b64 off, v[2:3], s32 offset:288 ; 8-byte Folded Spill
	s_wait_xcnt 0x0
	v_cmpx_ne_u32_e32 0x80, v4
	s_cbranch_execz .LBB355_369
; %bb.364:                              ;   in Loop: Header=BB355_15 Depth=1
	scratch_load_b64 v[6:7], off, s32 offset:288 ; 8-byte Folded Reload
	v_bfe_u32 v2, v0, 24, 7
	s_wait_loadcnt 0x0
	v_mov_b32_e32 v7, 0x7f800001
	s_mov_b32 s18, exec_lo
	scratch_store_b64 off, v[6:7], s32 offset:288 ; 8-byte Folded Spill
	s_wait_xcnt 0x0
	v_cmpx_ne_u32_e32 0x7f, v2
	s_cbranch_execz .LBB355_368
; %bb.365:                              ;   in Loop: Header=BB355_15 Depth=1
	v_dual_lshrrev_b32 v5, 3, v2 :: v_dual_bitop2_b32 v24, 7, v4 bitop3:0x40
	v_cmp_gt_u32_e64 s1, 8, v2
	s_delay_alu instid0(VALU_DEP_2)
	v_mov_b64_e32 v[2:3], v[24:25]
	s_and_saveexec_b32 s19, s1
; %bb.366:                              ;   in Loop: Header=BB355_15 Depth=1
	v_clz_i32_u32_e32 v2, v24
	s_delay_alu instid0(VALU_DEP_1) | instskip(NEXT) | instid1(VALU_DEP_1)
	v_min_u32_e32 v5, 32, v2
	v_subrev_nc_u32_e32 v2, 28, v5
	s_delay_alu instid0(VALU_DEP_1) | instskip(NEXT) | instid1(VALU_DEP_1)
	v_lshlrev_b64_e32 v[2:3], v2, v[24:25]
	v_dual_sub_nc_u32 v5, 29, v5 :: v_dual_bitop2_b32 v2, 7, v2 bitop3:0x40
; %bb.367:                              ;   in Loop: Header=BB355_15 Depth=1
	s_or_b32 exec_lo, exec_lo, s19
	scratch_load_b64 v[6:7], off, s32 offset:288 ; 8-byte Folded Reload
	v_dual_lshlrev_b32 v3, 24, v4 :: v_dual_lshlrev_b32 v2, 20, v2
	v_lshl_add_u32 v4, v5, 23, 0x3c000000
	s_delay_alu instid0(VALU_DEP_2) | instskip(SKIP_1) | instid1(VALU_DEP_1)
	v_and_b32_e32 v3, 0x80000000, v3
	s_wait_loadcnt 0x0
	v_or3_b32 v7, v2, v3, v4
	scratch_store_b64 off, v[6:7], s32 offset:288 ; 8-byte Folded Spill
.LBB355_368:                            ;   in Loop: Header=BB355_15 Depth=1
	s_wait_xcnt 0x0
	s_or_b32 exec_lo, exec_lo, s18
.LBB355_369:                            ;   in Loop: Header=BB355_15 Depth=1
	s_delay_alu instid0(SALU_CYCLE_1)
	s_or_b32 exec_lo, exec_lo, s17
.LBB355_370:                            ;   in Loop: Header=BB355_15 Depth=1
	s_delay_alu instid0(SALU_CYCLE_1)
	s_or_b32 exec_lo, exec_lo, s16
	v_and_b32_e32 v2, 0xff, v1
	v_dual_mov_b32 v24, v1 :: v_dual_mov_b32 v5, 0
	v_mov_b32_e32 v4, 0
	s_mov_b32 s16, exec_lo
	scratch_store_b64 off, v[4:5], s32 offset:296 ; 8-byte Folded Spill
	s_wait_xcnt 0x0
	v_cmpx_ne_u16_e32 0, v2
	s_cbranch_execz .LBB355_378
; %bb.371:                              ;   in Loop: Header=BB355_15 Depth=1
	v_cmp_ne_u16_e64 s1, 0x80, v2
	scratch_load_b64 v[2:3], off, s32 offset:296 ; 8-byte Folded Reload
	s_wait_loadcnt 0x0
	v_bfrev_b32_e32 v2, 1
	scratch_store_b64 off, v[2:3], s32 offset:296 ; 8-byte Folded Spill
	s_wait_xcnt 0x0
	s_and_saveexec_b32 s17, s1
	s_cbranch_execz .LBB355_377
; %bb.372:                              ;   in Loop: Header=BB355_15 Depth=1
	scratch_load_b64 v[4:5], off, s32 offset:296 ; 8-byte Folded Reload
	v_and_b32_e32 v2, 0x7f, v1
	s_wait_loadcnt 0x0
	v_mov_b32_e32 v4, 0x7f800001
	s_mov_b32 s18, exec_lo
	scratch_store_b64 off, v[4:5], s32 offset:296 ; 8-byte Folded Spill
	s_wait_xcnt 0x0
	v_cmpx_ne_u32_e32 0x7f, v2
	s_cbranch_execz .LBB355_376
; %bb.373:                              ;   in Loop: Header=BB355_15 Depth=1
	v_lshrrev_b32_e32 v4, 3, v2
	v_cmp_gt_u32_e64 s1, 8, v2
	v_mov_b64_e32 v[2:3], v[24:25]
	s_and_saveexec_b32 s19, s1
; %bb.374:                              ;   in Loop: Header=BB355_15 Depth=1
	v_and_b32_e32 v2, 7, v1
	s_delay_alu instid0(VALU_DEP_1) | instskip(NEXT) | instid1(VALU_DEP_1)
	v_clz_i32_u32_e32 v2, v2
	v_min_u32_e32 v4, 32, v2
	s_delay_alu instid0(VALU_DEP_1) | instskip(SKIP_1) | instid1(VALU_DEP_2)
	v_subrev_nc_u32_e32 v2, 28, v4
	v_sub_nc_u32_e32 v4, 29, v4
	v_lshlrev_b64_e32 v[2:3], v2, v[24:25]
; %bb.375:                              ;   in Loop: Header=BB355_15 Depth=1
	s_or_b32 exec_lo, exec_lo, s19
	scratch_load_b64 v[6:7], off, s32 offset:296 ; 8-byte Folded Reload
	v_dual_lshlrev_b32 v2, 20, v2 :: v_dual_lshlrev_b32 v3, 24, v24
	v_lshl_add_u32 v4, v4, 23, 0x3c000000
	s_delay_alu instid0(VALU_DEP_2) | instskip(NEXT) | instid1(VALU_DEP_3)
	v_and_b32_e32 v2, 0x700000, v2
	v_and_b32_e32 v3, 0x80000000, v3
	s_wait_loadcnt 0x0
	s_delay_alu instid0(VALU_DEP_1)
	v_or3_b32 v6, v2, v3, v4
	scratch_store_b64 off, v[6:7], s32 offset:296 ; 8-byte Folded Spill
.LBB355_376:                            ;   in Loop: Header=BB355_15 Depth=1
	s_wait_xcnt 0x0
	s_or_b32 exec_lo, exec_lo, s18
.LBB355_377:                            ;   in Loop: Header=BB355_15 Depth=1
	s_delay_alu instid0(SALU_CYCLE_1)
	s_or_b32 exec_lo, exec_lo, s17
.LBB355_378:                            ;   in Loop: Header=BB355_15 Depth=1
	s_delay_alu instid0(SALU_CYCLE_1) | instskip(SKIP_2) | instid1(VALU_DEP_1)
	s_or_b32 exec_lo, exec_lo, s16
	v_lshrrev_b16 v2, 8, v24
	s_mov_b32 s16, exec_lo
	v_cmpx_ne_u16_e32 0, v2
	s_cbranch_execz .LBB355_386
; %bb.379:                              ;   in Loop: Header=BB355_15 Depth=1
	scratch_load_b64 v[4:5], off, s32 offset:296 ; 8-byte Folded Reload
	s_wait_loadcnt 0x0
	v_bfrev_b32_e32 v5, 1
	s_mov_b32 s17, exec_lo
	scratch_store_b64 off, v[4:5], s32 offset:296 ; 8-byte Folded Spill
	s_wait_xcnt 0x0
	v_cmpx_ne_u16_e32 0x80, v2
	s_cbranch_execz .LBB355_385
; %bb.380:                              ;   in Loop: Header=BB355_15 Depth=1
	scratch_load_b64 v[6:7], off, s32 offset:296 ; 8-byte Folded Reload
	v_and_b32_e32 v2, 0xffff, v2
	s_wait_loadcnt 0x0
	v_mov_b32_e32 v7, 0x7f800001
	s_mov_b32 s18, exec_lo
	s_delay_alu instid0(VALU_DEP_2)
	v_and_b32_e32 v5, 0x7f, v2
	scratch_store_b64 off, v[6:7], s32 offset:296 ; 8-byte Folded Spill
	s_wait_xcnt 0x0
	v_cmpx_ne_u32_e32 0x7f, v5
	s_cbranch_execz .LBB355_384
; %bb.381:                              ;   in Loop: Header=BB355_15 Depth=1
	v_dual_mov_b32 v3, v25 :: v_dual_bitop2_b32 v2, 7, v2 bitop3:0x40
	v_lshrrev_b32_e32 v4, 3, v5
	s_mov_b32 s19, exec_lo
	v_cmpx_gt_u32_e32 8, v5
; %bb.382:                              ;   in Loop: Header=BB355_15 Depth=1
	s_delay_alu instid0(VALU_DEP_3) | instskip(NEXT) | instid1(VALU_DEP_1)
	v_clz_i32_u32_e32 v4, v2
	v_min_u32_e32 v4, 32, v4
	s_delay_alu instid0(VALU_DEP_1) | instskip(NEXT) | instid1(VALU_DEP_1)
	v_subrev_nc_u32_e32 v5, 28, v4
	v_lshlrev_b64_e32 v[2:3], v5, v[2:3]
	s_delay_alu instid0(VALU_DEP_1)
	v_dual_sub_nc_u32 v4, 29, v4 :: v_dual_bitop2_b32 v2, 7, v2 bitop3:0x40
; %bb.383:                              ;   in Loop: Header=BB355_15 Depth=1
	s_or_b32 exec_lo, exec_lo, s19
	scratch_load_b64 v[6:7], off, s32 offset:296 ; 8-byte Folded Reload
	v_dual_lshlrev_b32 v3, 16, v24 :: v_dual_lshlrev_b32 v2, 20, v2
	v_lshl_add_u32 v4, v4, 23, 0x3c000000
	s_delay_alu instid0(VALU_DEP_2) | instskip(SKIP_1) | instid1(VALU_DEP_1)
	v_and_b32_e32 v3, 0x80000000, v3
	s_wait_loadcnt 0x0
	v_or3_b32 v7, v2, v3, v4
	scratch_store_b64 off, v[6:7], s32 offset:296 ; 8-byte Folded Spill
.LBB355_384:                            ;   in Loop: Header=BB355_15 Depth=1
	s_wait_xcnt 0x0
	s_or_b32 exec_lo, exec_lo, s18
.LBB355_385:                            ;   in Loop: Header=BB355_15 Depth=1
	s_delay_alu instid0(SALU_CYCLE_1)
	s_or_b32 exec_lo, exec_lo, s17
.LBB355_386:                            ;   in Loop: Header=BB355_15 Depth=1
	s_delay_alu instid0(SALU_CYCLE_1) | instskip(SKIP_3) | instid1(VALU_DEP_2)
	s_or_b32 exec_lo, exec_lo, s16
	v_dual_mov_b32 v7, 0 :: v_dual_lshrrev_b32 v4, 16, v1
	v_mov_b32_e32 v6, 0
	s_mov_b32 s16, exec_lo
	v_and_b32_e32 v2, 0xff, v4
	scratch_store_b64 off, v[6:7], s32 offset:304 ; 8-byte Folded Spill
	s_wait_xcnt 0x0
	v_cmpx_ne_u16_e32 0, v2
	s_cbranch_execz .LBB355_394
; %bb.387:                              ;   in Loop: Header=BB355_15 Depth=1
	v_cmp_ne_u16_e64 s1, 0x80, v2
	scratch_load_b64 v[2:3], off, s32 offset:304 ; 8-byte Folded Reload
	s_wait_loadcnt 0x0
	v_bfrev_b32_e32 v2, 1
	scratch_store_b64 off, v[2:3], s32 offset:304 ; 8-byte Folded Spill
	s_wait_xcnt 0x0
	s_and_saveexec_b32 s17, s1
	s_cbranch_execz .LBB355_393
; %bb.388:                              ;   in Loop: Header=BB355_15 Depth=1
	scratch_load_b64 v[6:7], off, s32 offset:304 ; 8-byte Folded Reload
	v_bfe_u32 v2, v1, 16, 7
	s_wait_loadcnt 0x0
	v_mov_b32_e32 v6, 0x7f800001
	s_mov_b32 s18, exec_lo
	scratch_store_b64 off, v[6:7], s32 offset:304 ; 8-byte Folded Spill
	s_wait_xcnt 0x0
	v_cmpx_ne_u32_e32 0x7f, v2
	s_cbranch_execz .LBB355_392
; %bb.389:                              ;   in Loop: Header=BB355_15 Depth=1
	v_dual_lshrrev_b32 v5, 3, v2 :: v_dual_bitop2_b32 v24, 7, v4 bitop3:0x40
	v_cmp_gt_u32_e64 s1, 8, v2
	s_delay_alu instid0(VALU_DEP_2)
	v_mov_b64_e32 v[2:3], v[24:25]
	s_and_saveexec_b32 s19, s1
; %bb.390:                              ;   in Loop: Header=BB355_15 Depth=1
	v_clz_i32_u32_e32 v2, v24
	s_delay_alu instid0(VALU_DEP_1) | instskip(NEXT) | instid1(VALU_DEP_1)
	v_min_u32_e32 v5, 32, v2
	v_subrev_nc_u32_e32 v2, 28, v5
	s_delay_alu instid0(VALU_DEP_1) | instskip(NEXT) | instid1(VALU_DEP_1)
	v_lshlrev_b64_e32 v[2:3], v2, v[24:25]
	v_dual_sub_nc_u32 v5, 29, v5 :: v_dual_bitop2_b32 v2, 7, v2 bitop3:0x40
; %bb.391:                              ;   in Loop: Header=BB355_15 Depth=1
	s_or_b32 exec_lo, exec_lo, s19
	scratch_load_b64 v[6:7], off, s32 offset:304 ; 8-byte Folded Reload
	v_dual_lshlrev_b32 v3, 24, v4 :: v_dual_lshlrev_b32 v2, 20, v2
	v_lshl_add_u32 v4, v5, 23, 0x3c000000
	s_delay_alu instid0(VALU_DEP_2) | instskip(SKIP_1) | instid1(VALU_DEP_1)
	v_and_b32_e32 v3, 0x80000000, v3
	s_wait_loadcnt 0x0
	v_or3_b32 v6, v2, v3, v4
	scratch_store_b64 off, v[6:7], s32 offset:304 ; 8-byte Folded Spill
.LBB355_392:                            ;   in Loop: Header=BB355_15 Depth=1
	s_wait_xcnt 0x0
	s_or_b32 exec_lo, exec_lo, s18
.LBB355_393:                            ;   in Loop: Header=BB355_15 Depth=1
	s_delay_alu instid0(SALU_CYCLE_1)
	s_or_b32 exec_lo, exec_lo, s17
.LBB355_394:                            ;   in Loop: Header=BB355_15 Depth=1
	s_delay_alu instid0(SALU_CYCLE_1) | instskip(NEXT) | instid1(SALU_CYCLE_1)
	s_or_b32 exec_lo, exec_lo, s16
	s_mov_b32 s16, exec_lo
	v_cmpx_lt_u64_e64 s[8:9], v[0:1]
	s_cbranch_execz .LBB355_402
; %bb.395:                              ;   in Loop: Header=BB355_15 Depth=1
	scratch_load_b64 v[4:5], off, s32 offset:304 ; 8-byte Folded Reload
	v_lshrrev_b32_e32 v2, 24, v1
	s_wait_loadcnt 0x0
	v_bfrev_b32_e32 v5, 1
	s_mov_b32 s17, exec_lo
	scratch_store_b64 off, v[4:5], s32 offset:304 ; 8-byte Folded Spill
	s_wait_xcnt 0x0
	v_cmpx_ne_u32_e32 0x80, v2
	s_cbranch_execz .LBB355_401
; %bb.396:                              ;   in Loop: Header=BB355_15 Depth=1
	scratch_load_b64 v[4:5], off, s32 offset:304 ; 8-byte Folded Reload
	v_bfe_u32 v0, v1, 24, 7
	s_wait_loadcnt 0x0
	v_mov_b32_e32 v5, 0x7f800001
	s_mov_b32 s18, exec_lo
	scratch_store_b64 off, v[4:5], s32 offset:304 ; 8-byte Folded Spill
	s_wait_xcnt 0x0
	v_cmpx_ne_u32_e32 0x7f, v0
	s_cbranch_execz .LBB355_400
; %bb.397:                              ;   in Loop: Header=BB355_15 Depth=1
	v_dual_lshrrev_b32 v3, 3, v0 :: v_dual_bitop2_b32 v24, 7, v2 bitop3:0x40
	v_cmp_gt_u32_e64 s1, 8, v0
	s_delay_alu instid0(VALU_DEP_2)
	v_mov_b64_e32 v[0:1], v[24:25]
	s_and_saveexec_b32 s19, s1
; %bb.398:                              ;   in Loop: Header=BB355_15 Depth=1
	v_clz_i32_u32_e32 v0, v24
	s_delay_alu instid0(VALU_DEP_1) | instskip(NEXT) | instid1(VALU_DEP_1)
	v_min_u32_e32 v3, 32, v0
	v_subrev_nc_u32_e32 v0, 28, v3
	s_delay_alu instid0(VALU_DEP_1) | instskip(NEXT) | instid1(VALU_DEP_1)
	v_lshlrev_b64_e32 v[0:1], v0, v[24:25]
	v_dual_sub_nc_u32 v3, 29, v3 :: v_dual_bitop2_b32 v0, 7, v0 bitop3:0x40
; %bb.399:                              ;   in Loop: Header=BB355_15 Depth=1
	s_or_b32 exec_lo, exec_lo, s19
	scratch_load_b64 v[4:5], off, s32 offset:304 ; 8-byte Folded Reload
	v_dual_lshlrev_b32 v1, 24, v2 :: v_dual_lshlrev_b32 v0, 20, v0
	v_lshl_add_u32 v2, v3, 23, 0x3c000000
	s_delay_alu instid0(VALU_DEP_2) | instskip(SKIP_1) | instid1(VALU_DEP_1)
	v_and_b32_e32 v1, 0x80000000, v1
	s_wait_loadcnt 0x0
	v_or3_b32 v5, v0, v1, v2
	scratch_store_b64 off, v[4:5], s32 offset:304 ; 8-byte Folded Spill
.LBB355_400:                            ;   in Loop: Header=BB355_15 Depth=1
	s_wait_xcnt 0x0
	s_or_b32 exec_lo, exec_lo, s18
.LBB355_401:                            ;   in Loop: Header=BB355_15 Depth=1
	s_delay_alu instid0(SALU_CYCLE_1)
	s_or_b32 exec_lo, exec_lo, s17
.LBB355_402:                            ;   in Loop: Header=BB355_15 Depth=1
	s_delay_alu instid0(SALU_CYCLE_1)
	s_or_b32 exec_lo, exec_lo, s16
	flat_load_b64 v[0:1], v[36:37] offset:1536
	v_dual_mov_b32 v5, 0 :: v_dual_mov_b32 v4, 0
	s_mov_b32 s16, exec_lo
	scratch_store_b64 off, v[4:5], s32 offset:312 ; 8-byte Folded Spill
	s_wait_loadcnt_dscnt 0x0
	v_and_b32_e32 v2, 0xff, v0
	s_wait_xcnt 0x0
	s_delay_alu instid0(VALU_DEP_1)
	v_cmpx_ne_u16_e32 0, v2
	s_cbranch_execz .LBB355_410
; %bb.403:                              ;   in Loop: Header=BB355_15 Depth=1
	v_cmp_ne_u16_e64 s1, 0x80, v2
	scratch_load_b64 v[2:3], off, s32 offset:312 ; 8-byte Folded Reload
	s_wait_loadcnt 0x0
	v_bfrev_b32_e32 v2, 1
	scratch_store_b64 off, v[2:3], s32 offset:312 ; 8-byte Folded Spill
	s_wait_xcnt 0x0
	s_and_saveexec_b32 s17, s1
	s_cbranch_execz .LBB355_409
; %bb.404:                              ;   in Loop: Header=BB355_15 Depth=1
	scratch_load_b64 v[4:5], off, s32 offset:312 ; 8-byte Folded Reload
	v_and_b32_e32 v2, 0x7f, v0
	s_wait_loadcnt 0x0
	v_mov_b32_e32 v4, 0x7f800001
	s_mov_b32 s18, exec_lo
	scratch_store_b64 off, v[4:5], s32 offset:312 ; 8-byte Folded Spill
	s_wait_xcnt 0x0
	v_cmpx_ne_u32_e32 0x7f, v2
	s_cbranch_execz .LBB355_408
; %bb.405:                              ;   in Loop: Header=BB355_15 Depth=1
	v_lshrrev_b32_e32 v4, 3, v2
	v_cmp_gt_u32_e64 s1, 8, v2
	v_mov_b64_e32 v[2:3], v[0:1]
	s_and_saveexec_b32 s19, s1
; %bb.406:                              ;   in Loop: Header=BB355_15 Depth=1
	v_and_b32_e32 v2, 7, v0
	s_delay_alu instid0(VALU_DEP_1) | instskip(NEXT) | instid1(VALU_DEP_1)
	v_clz_i32_u32_e32 v2, v2
	v_min_u32_e32 v4, 32, v2
	s_delay_alu instid0(VALU_DEP_1) | instskip(SKIP_1) | instid1(VALU_DEP_2)
	v_subrev_nc_u32_e32 v2, 28, v4
	v_sub_nc_u32_e32 v4, 29, v4
	v_lshlrev_b64_e32 v[2:3], v2, v[0:1]
; %bb.407:                              ;   in Loop: Header=BB355_15 Depth=1
	s_or_b32 exec_lo, exec_lo, s19
	scratch_load_b64 v[6:7], off, s32 offset:312 ; 8-byte Folded Reload
	v_dual_lshlrev_b32 v2, 20, v2 :: v_dual_lshlrev_b32 v3, 24, v0
	v_lshl_add_u32 v4, v4, 23, 0x3c000000
	s_delay_alu instid0(VALU_DEP_2) | instskip(NEXT) | instid1(VALU_DEP_3)
	v_and_b32_e32 v2, 0x700000, v2
	v_and_b32_e32 v3, 0x80000000, v3
	s_wait_loadcnt 0x0
	s_delay_alu instid0(VALU_DEP_1)
	v_or3_b32 v6, v2, v3, v4
	scratch_store_b64 off, v[6:7], s32 offset:312 ; 8-byte Folded Spill
.LBB355_408:                            ;   in Loop: Header=BB355_15 Depth=1
	s_wait_xcnt 0x0
	s_or_b32 exec_lo, exec_lo, s18
.LBB355_409:                            ;   in Loop: Header=BB355_15 Depth=1
	s_delay_alu instid0(SALU_CYCLE_1)
	s_or_b32 exec_lo, exec_lo, s17
.LBB355_410:                            ;   in Loop: Header=BB355_15 Depth=1
	s_delay_alu instid0(SALU_CYCLE_1) | instskip(SKIP_2) | instid1(VALU_DEP_1)
	s_or_b32 exec_lo, exec_lo, s16
	v_lshrrev_b16 v2, 8, v0
	s_mov_b32 s16, exec_lo
	v_cmpx_ne_u16_e32 0, v2
	s_cbranch_execz .LBB355_418
; %bb.411:                              ;   in Loop: Header=BB355_15 Depth=1
	scratch_load_b64 v[4:5], off, s32 offset:312 ; 8-byte Folded Reload
	s_wait_loadcnt 0x0
	v_bfrev_b32_e32 v5, 1
	s_mov_b32 s17, exec_lo
	scratch_store_b64 off, v[4:5], s32 offset:312 ; 8-byte Folded Spill
	s_wait_xcnt 0x0
	v_cmpx_ne_u16_e32 0x80, v2
	s_cbranch_execz .LBB355_417
; %bb.412:                              ;   in Loop: Header=BB355_15 Depth=1
	scratch_load_b64 v[4:5], off, s32 offset:312 ; 8-byte Folded Reload
	v_and_b32_e32 v3, 0xffff, v2
	s_wait_loadcnt 0x0
	v_mov_b32_e32 v5, 0x7f800001
	s_mov_b32 s18, exec_lo
	s_delay_alu instid0(VALU_DEP_2)
	v_and_b32_e32 v2, 0x7f, v3
	scratch_store_b64 off, v[4:5], s32 offset:312 ; 8-byte Folded Spill
	s_wait_xcnt 0x0
	v_cmpx_ne_u32_e32 0x7f, v2
	s_cbranch_execz .LBB355_416
; %bb.413:                              ;   in Loop: Header=BB355_15 Depth=1
	v_dual_lshrrev_b32 v4, 3, v2 :: v_dual_bitop2_b32 v24, 7, v3 bitop3:0x40
	v_cmp_gt_u32_e64 s1, 8, v2
	s_delay_alu instid0(VALU_DEP_2)
	v_mov_b64_e32 v[2:3], v[24:25]
	s_and_saveexec_b32 s19, s1
; %bb.414:                              ;   in Loop: Header=BB355_15 Depth=1
	v_clz_i32_u32_e32 v2, v24
	s_delay_alu instid0(VALU_DEP_1) | instskip(NEXT) | instid1(VALU_DEP_1)
	v_min_u32_e32 v4, 32, v2
	v_subrev_nc_u32_e32 v2, 28, v4
	s_delay_alu instid0(VALU_DEP_1) | instskip(NEXT) | instid1(VALU_DEP_1)
	v_lshlrev_b64_e32 v[2:3], v2, v[24:25]
	v_dual_sub_nc_u32 v4, 29, v4 :: v_dual_bitop2_b32 v2, 7, v2 bitop3:0x40
; %bb.415:                              ;   in Loop: Header=BB355_15 Depth=1
	s_or_b32 exec_lo, exec_lo, s19
	scratch_load_b64 v[6:7], off, s32 offset:312 ; 8-byte Folded Reload
	v_dual_lshlrev_b32 v3, 16, v0 :: v_dual_lshlrev_b32 v2, 20, v2
	v_lshl_add_u32 v4, v4, 23, 0x3c000000
	s_delay_alu instid0(VALU_DEP_2) | instskip(SKIP_1) | instid1(VALU_DEP_1)
	v_and_b32_e32 v3, 0x80000000, v3
	s_wait_loadcnt 0x0
	v_or3_b32 v7, v2, v3, v4
	scratch_store_b64 off, v[6:7], s32 offset:312 ; 8-byte Folded Spill
.LBB355_416:                            ;   in Loop: Header=BB355_15 Depth=1
	s_wait_xcnt 0x0
	s_or_b32 exec_lo, exec_lo, s18
.LBB355_417:                            ;   in Loop: Header=BB355_15 Depth=1
	s_delay_alu instid0(SALU_CYCLE_1)
	s_or_b32 exec_lo, exec_lo, s17
.LBB355_418:                            ;   in Loop: Header=BB355_15 Depth=1
	s_delay_alu instid0(SALU_CYCLE_1) | instskip(SKIP_3) | instid1(VALU_DEP_2)
	s_or_b32 exec_lo, exec_lo, s16
	v_dual_mov_b32 v7, 0 :: v_dual_lshrrev_b32 v4, 16, v0
	v_mov_b32_e32 v6, 0
	s_mov_b32 s16, exec_lo
	v_and_b32_e32 v2, 0xff, v4
	scratch_store_b64 off, v[6:7], s32 offset:320 ; 8-byte Folded Spill
	s_wait_xcnt 0x0
	v_cmpx_ne_u16_e32 0, v2
	s_cbranch_execz .LBB355_426
; %bb.419:                              ;   in Loop: Header=BB355_15 Depth=1
	v_cmp_ne_u16_e64 s1, 0x80, v2
	scratch_load_b64 v[2:3], off, s32 offset:320 ; 8-byte Folded Reload
	s_wait_loadcnt 0x0
	v_bfrev_b32_e32 v2, 1
	scratch_store_b64 off, v[2:3], s32 offset:320 ; 8-byte Folded Spill
	s_wait_xcnt 0x0
	s_and_saveexec_b32 s17, s1
	s_cbranch_execz .LBB355_425
; %bb.420:                              ;   in Loop: Header=BB355_15 Depth=1
	scratch_load_b64 v[6:7], off, s32 offset:320 ; 8-byte Folded Reload
	v_bfe_u32 v2, v0, 16, 7
	s_wait_loadcnt 0x0
	v_mov_b32_e32 v6, 0x7f800001
	s_mov_b32 s18, exec_lo
	scratch_store_b64 off, v[6:7], s32 offset:320 ; 8-byte Folded Spill
	s_wait_xcnt 0x0
	v_cmpx_ne_u32_e32 0x7f, v2
	s_cbranch_execz .LBB355_424
; %bb.421:                              ;   in Loop: Header=BB355_15 Depth=1
	v_dual_lshrrev_b32 v5, 3, v2 :: v_dual_bitop2_b32 v24, 7, v4 bitop3:0x40
	v_cmp_gt_u32_e64 s1, 8, v2
	s_delay_alu instid0(VALU_DEP_2)
	v_mov_b64_e32 v[2:3], v[24:25]
	s_and_saveexec_b32 s19, s1
; %bb.422:                              ;   in Loop: Header=BB355_15 Depth=1
	v_clz_i32_u32_e32 v2, v24
	s_delay_alu instid0(VALU_DEP_1) | instskip(NEXT) | instid1(VALU_DEP_1)
	v_min_u32_e32 v5, 32, v2
	v_subrev_nc_u32_e32 v2, 28, v5
	s_delay_alu instid0(VALU_DEP_1) | instskip(NEXT) | instid1(VALU_DEP_1)
	v_lshlrev_b64_e32 v[2:3], v2, v[24:25]
	v_dual_sub_nc_u32 v5, 29, v5 :: v_dual_bitop2_b32 v2, 7, v2 bitop3:0x40
; %bb.423:                              ;   in Loop: Header=BB355_15 Depth=1
	s_or_b32 exec_lo, exec_lo, s19
	scratch_load_b64 v[6:7], off, s32 offset:320 ; 8-byte Folded Reload
	v_dual_lshlrev_b32 v3, 24, v4 :: v_dual_lshlrev_b32 v2, 20, v2
	v_lshl_add_u32 v4, v5, 23, 0x3c000000
	s_delay_alu instid0(VALU_DEP_2) | instskip(SKIP_1) | instid1(VALU_DEP_1)
	v_and_b32_e32 v3, 0x80000000, v3
	s_wait_loadcnt 0x0
	v_or3_b32 v6, v2, v3, v4
	scratch_store_b64 off, v[6:7], s32 offset:320 ; 8-byte Folded Spill
.LBB355_424:                            ;   in Loop: Header=BB355_15 Depth=1
	s_wait_xcnt 0x0
	s_or_b32 exec_lo, exec_lo, s18
.LBB355_425:                            ;   in Loop: Header=BB355_15 Depth=1
	s_delay_alu instid0(SALU_CYCLE_1)
	s_or_b32 exec_lo, exec_lo, s17
.LBB355_426:                            ;   in Loop: Header=BB355_15 Depth=1
	s_delay_alu instid0(SALU_CYCLE_1) | instskip(NEXT) | instid1(SALU_CYCLE_1)
	s_or_b32 exec_lo, exec_lo, s16
	s_mov_b32 s16, exec_lo
	v_cmpx_lt_u32_e32 0xffffff, v0
	s_cbranch_execz .LBB355_434
; %bb.427:                              ;   in Loop: Header=BB355_15 Depth=1
	scratch_load_b64 v[2:3], off, s32 offset:320 ; 8-byte Folded Reload
	v_lshrrev_b32_e32 v4, 24, v0
	s_wait_loadcnt 0x0
	v_bfrev_b32_e32 v3, 1
	s_mov_b32 s17, exec_lo
	scratch_store_b64 off, v[2:3], s32 offset:320 ; 8-byte Folded Spill
	s_wait_xcnt 0x0
	v_cmpx_ne_u32_e32 0x80, v4
	s_cbranch_execz .LBB355_433
; %bb.428:                              ;   in Loop: Header=BB355_15 Depth=1
	scratch_load_b64 v[6:7], off, s32 offset:320 ; 8-byte Folded Reload
	v_bfe_u32 v2, v0, 24, 7
	s_wait_loadcnt 0x0
	v_mov_b32_e32 v7, 0x7f800001
	s_mov_b32 s18, exec_lo
	scratch_store_b64 off, v[6:7], s32 offset:320 ; 8-byte Folded Spill
	s_wait_xcnt 0x0
	v_cmpx_ne_u32_e32 0x7f, v2
	s_cbranch_execz .LBB355_432
; %bb.429:                              ;   in Loop: Header=BB355_15 Depth=1
	v_dual_lshrrev_b32 v5, 3, v2 :: v_dual_bitop2_b32 v24, 7, v4 bitop3:0x40
	v_cmp_gt_u32_e64 s1, 8, v2
	s_delay_alu instid0(VALU_DEP_2)
	v_mov_b64_e32 v[2:3], v[24:25]
	s_and_saveexec_b32 s19, s1
; %bb.430:                              ;   in Loop: Header=BB355_15 Depth=1
	v_clz_i32_u32_e32 v2, v24
	s_delay_alu instid0(VALU_DEP_1) | instskip(NEXT) | instid1(VALU_DEP_1)
	v_min_u32_e32 v5, 32, v2
	v_subrev_nc_u32_e32 v2, 28, v5
	s_delay_alu instid0(VALU_DEP_1) | instskip(NEXT) | instid1(VALU_DEP_1)
	v_lshlrev_b64_e32 v[2:3], v2, v[24:25]
	v_dual_sub_nc_u32 v5, 29, v5 :: v_dual_bitop2_b32 v2, 7, v2 bitop3:0x40
; %bb.431:                              ;   in Loop: Header=BB355_15 Depth=1
	s_or_b32 exec_lo, exec_lo, s19
	scratch_load_b64 v[6:7], off, s32 offset:320 ; 8-byte Folded Reload
	v_dual_lshlrev_b32 v3, 24, v4 :: v_dual_lshlrev_b32 v2, 20, v2
	v_lshl_add_u32 v4, v5, 23, 0x3c000000
	s_delay_alu instid0(VALU_DEP_2) | instskip(SKIP_1) | instid1(VALU_DEP_1)
	v_and_b32_e32 v3, 0x80000000, v3
	s_wait_loadcnt 0x0
	v_or3_b32 v7, v2, v3, v4
	scratch_store_b64 off, v[6:7], s32 offset:320 ; 8-byte Folded Spill
.LBB355_432:                            ;   in Loop: Header=BB355_15 Depth=1
	s_wait_xcnt 0x0
	s_or_b32 exec_lo, exec_lo, s18
.LBB355_433:                            ;   in Loop: Header=BB355_15 Depth=1
	s_delay_alu instid0(SALU_CYCLE_1)
	s_or_b32 exec_lo, exec_lo, s17
.LBB355_434:                            ;   in Loop: Header=BB355_15 Depth=1
	s_delay_alu instid0(SALU_CYCLE_1)
	s_or_b32 exec_lo, exec_lo, s16
	v_and_b32_e32 v2, 0xff, v1
	v_dual_mov_b32 v24, v1 :: v_dual_mov_b32 v5, 0
	v_mov_b32_e32 v4, 0
	s_mov_b32 s16, exec_lo
	scratch_store_b64 off, v[4:5], s32 offset:328 ; 8-byte Folded Spill
	s_wait_xcnt 0x0
	v_cmpx_ne_u16_e32 0, v2
	s_cbranch_execz .LBB355_442
; %bb.435:                              ;   in Loop: Header=BB355_15 Depth=1
	v_cmp_ne_u16_e64 s1, 0x80, v2
	scratch_load_b64 v[2:3], off, s32 offset:328 ; 8-byte Folded Reload
	s_wait_loadcnt 0x0
	v_bfrev_b32_e32 v2, 1
	scratch_store_b64 off, v[2:3], s32 offset:328 ; 8-byte Folded Spill
	s_wait_xcnt 0x0
	s_and_saveexec_b32 s17, s1
	s_cbranch_execz .LBB355_441
; %bb.436:                              ;   in Loop: Header=BB355_15 Depth=1
	scratch_load_b64 v[4:5], off, s32 offset:328 ; 8-byte Folded Reload
	v_and_b32_e32 v2, 0x7f, v1
	s_wait_loadcnt 0x0
	v_mov_b32_e32 v4, 0x7f800001
	s_mov_b32 s18, exec_lo
	scratch_store_b64 off, v[4:5], s32 offset:328 ; 8-byte Folded Spill
	s_wait_xcnt 0x0
	v_cmpx_ne_u32_e32 0x7f, v2
	s_cbranch_execz .LBB355_440
; %bb.437:                              ;   in Loop: Header=BB355_15 Depth=1
	v_lshrrev_b32_e32 v4, 3, v2
	v_cmp_gt_u32_e64 s1, 8, v2
	v_mov_b64_e32 v[2:3], v[24:25]
	s_and_saveexec_b32 s19, s1
; %bb.438:                              ;   in Loop: Header=BB355_15 Depth=1
	v_and_b32_e32 v2, 7, v1
	s_delay_alu instid0(VALU_DEP_1) | instskip(NEXT) | instid1(VALU_DEP_1)
	v_clz_i32_u32_e32 v2, v2
	v_min_u32_e32 v4, 32, v2
	s_delay_alu instid0(VALU_DEP_1) | instskip(SKIP_1) | instid1(VALU_DEP_2)
	v_subrev_nc_u32_e32 v2, 28, v4
	v_sub_nc_u32_e32 v4, 29, v4
	v_lshlrev_b64_e32 v[2:3], v2, v[24:25]
; %bb.439:                              ;   in Loop: Header=BB355_15 Depth=1
	s_or_b32 exec_lo, exec_lo, s19
	scratch_load_b64 v[6:7], off, s32 offset:328 ; 8-byte Folded Reload
	v_dual_lshlrev_b32 v2, 20, v2 :: v_dual_lshlrev_b32 v3, 24, v24
	v_lshl_add_u32 v4, v4, 23, 0x3c000000
	s_delay_alu instid0(VALU_DEP_2) | instskip(NEXT) | instid1(VALU_DEP_3)
	v_and_b32_e32 v2, 0x700000, v2
	v_and_b32_e32 v3, 0x80000000, v3
	s_wait_loadcnt 0x0
	s_delay_alu instid0(VALU_DEP_1)
	v_or3_b32 v6, v2, v3, v4
	scratch_store_b64 off, v[6:7], s32 offset:328 ; 8-byte Folded Spill
.LBB355_440:                            ;   in Loop: Header=BB355_15 Depth=1
	s_wait_xcnt 0x0
	s_or_b32 exec_lo, exec_lo, s18
.LBB355_441:                            ;   in Loop: Header=BB355_15 Depth=1
	s_delay_alu instid0(SALU_CYCLE_1)
	s_or_b32 exec_lo, exec_lo, s17
.LBB355_442:                            ;   in Loop: Header=BB355_15 Depth=1
	s_delay_alu instid0(SALU_CYCLE_1) | instskip(SKIP_2) | instid1(VALU_DEP_1)
	s_or_b32 exec_lo, exec_lo, s16
	v_lshrrev_b16 v2, 8, v24
	s_mov_b32 s16, exec_lo
	v_cmpx_ne_u16_e32 0, v2
	s_cbranch_execz .LBB355_450
; %bb.443:                              ;   in Loop: Header=BB355_15 Depth=1
	scratch_load_b64 v[4:5], off, s32 offset:328 ; 8-byte Folded Reload
	s_wait_loadcnt 0x0
	v_bfrev_b32_e32 v5, 1
	s_mov_b32 s17, exec_lo
	scratch_store_b64 off, v[4:5], s32 offset:328 ; 8-byte Folded Spill
	s_wait_xcnt 0x0
	v_cmpx_ne_u16_e32 0x80, v2
	s_cbranch_execz .LBB355_449
; %bb.444:                              ;   in Loop: Header=BB355_15 Depth=1
	scratch_load_b64 v[6:7], off, s32 offset:328 ; 8-byte Folded Reload
	v_and_b32_e32 v2, 0xffff, v2
	s_wait_loadcnt 0x0
	v_mov_b32_e32 v7, 0x7f800001
	s_mov_b32 s18, exec_lo
	s_delay_alu instid0(VALU_DEP_2)
	v_and_b32_e32 v5, 0x7f, v2
	scratch_store_b64 off, v[6:7], s32 offset:328 ; 8-byte Folded Spill
	s_wait_xcnt 0x0
	v_cmpx_ne_u32_e32 0x7f, v5
	s_cbranch_execz .LBB355_448
; %bb.445:                              ;   in Loop: Header=BB355_15 Depth=1
	v_dual_mov_b32 v3, v25 :: v_dual_bitop2_b32 v2, 7, v2 bitop3:0x40
	v_lshrrev_b32_e32 v4, 3, v5
	s_mov_b32 s19, exec_lo
	v_cmpx_gt_u32_e32 8, v5
; %bb.446:                              ;   in Loop: Header=BB355_15 Depth=1
	s_delay_alu instid0(VALU_DEP_3) | instskip(NEXT) | instid1(VALU_DEP_1)
	v_clz_i32_u32_e32 v4, v2
	v_min_u32_e32 v4, 32, v4
	s_delay_alu instid0(VALU_DEP_1) | instskip(NEXT) | instid1(VALU_DEP_1)
	v_subrev_nc_u32_e32 v5, 28, v4
	v_lshlrev_b64_e32 v[2:3], v5, v[2:3]
	s_delay_alu instid0(VALU_DEP_1)
	v_dual_sub_nc_u32 v4, 29, v4 :: v_dual_bitop2_b32 v2, 7, v2 bitop3:0x40
; %bb.447:                              ;   in Loop: Header=BB355_15 Depth=1
	s_or_b32 exec_lo, exec_lo, s19
	scratch_load_b64 v[6:7], off, s32 offset:328 ; 8-byte Folded Reload
	v_dual_lshlrev_b32 v3, 16, v24 :: v_dual_lshlrev_b32 v2, 20, v2
	v_lshl_add_u32 v4, v4, 23, 0x3c000000
	s_delay_alu instid0(VALU_DEP_2) | instskip(SKIP_1) | instid1(VALU_DEP_1)
	v_and_b32_e32 v3, 0x80000000, v3
	s_wait_loadcnt 0x0
	v_or3_b32 v7, v2, v3, v4
	scratch_store_b64 off, v[6:7], s32 offset:328 ; 8-byte Folded Spill
.LBB355_448:                            ;   in Loop: Header=BB355_15 Depth=1
	s_wait_xcnt 0x0
	s_or_b32 exec_lo, exec_lo, s18
.LBB355_449:                            ;   in Loop: Header=BB355_15 Depth=1
	s_delay_alu instid0(SALU_CYCLE_1)
	s_or_b32 exec_lo, exec_lo, s17
.LBB355_450:                            ;   in Loop: Header=BB355_15 Depth=1
	s_delay_alu instid0(SALU_CYCLE_1) | instskip(SKIP_3) | instid1(VALU_DEP_2)
	s_or_b32 exec_lo, exec_lo, s16
	v_dual_mov_b32 v7, 0 :: v_dual_lshrrev_b32 v4, 16, v1
	v_mov_b32_e32 v6, 0
	s_mov_b32 s16, exec_lo
	v_and_b32_e32 v2, 0xff, v4
	scratch_store_b64 off, v[6:7], s32 offset:336 ; 8-byte Folded Spill
	s_wait_xcnt 0x0
	v_cmpx_ne_u16_e32 0, v2
	s_cbranch_execz .LBB355_458
; %bb.451:                              ;   in Loop: Header=BB355_15 Depth=1
	v_cmp_ne_u16_e64 s1, 0x80, v2
	scratch_load_b64 v[2:3], off, s32 offset:336 ; 8-byte Folded Reload
	s_wait_loadcnt 0x0
	v_bfrev_b32_e32 v2, 1
	scratch_store_b64 off, v[2:3], s32 offset:336 ; 8-byte Folded Spill
	s_wait_xcnt 0x0
	s_and_saveexec_b32 s17, s1
	s_cbranch_execz .LBB355_457
; %bb.452:                              ;   in Loop: Header=BB355_15 Depth=1
	scratch_load_b64 v[6:7], off, s32 offset:336 ; 8-byte Folded Reload
	v_bfe_u32 v2, v1, 16, 7
	s_wait_loadcnt 0x0
	v_mov_b32_e32 v6, 0x7f800001
	s_mov_b32 s18, exec_lo
	scratch_store_b64 off, v[6:7], s32 offset:336 ; 8-byte Folded Spill
	s_wait_xcnt 0x0
	v_cmpx_ne_u32_e32 0x7f, v2
	s_cbranch_execz .LBB355_456
; %bb.453:                              ;   in Loop: Header=BB355_15 Depth=1
	v_dual_lshrrev_b32 v5, 3, v2 :: v_dual_bitop2_b32 v24, 7, v4 bitop3:0x40
	v_cmp_gt_u32_e64 s1, 8, v2
	s_delay_alu instid0(VALU_DEP_2)
	v_mov_b64_e32 v[2:3], v[24:25]
	s_and_saveexec_b32 s19, s1
; %bb.454:                              ;   in Loop: Header=BB355_15 Depth=1
	v_clz_i32_u32_e32 v2, v24
	s_delay_alu instid0(VALU_DEP_1) | instskip(NEXT) | instid1(VALU_DEP_1)
	v_min_u32_e32 v5, 32, v2
	v_subrev_nc_u32_e32 v2, 28, v5
	s_delay_alu instid0(VALU_DEP_1) | instskip(NEXT) | instid1(VALU_DEP_1)
	v_lshlrev_b64_e32 v[2:3], v2, v[24:25]
	v_dual_sub_nc_u32 v5, 29, v5 :: v_dual_bitop2_b32 v2, 7, v2 bitop3:0x40
; %bb.455:                              ;   in Loop: Header=BB355_15 Depth=1
	s_or_b32 exec_lo, exec_lo, s19
	scratch_load_b64 v[6:7], off, s32 offset:336 ; 8-byte Folded Reload
	v_dual_lshlrev_b32 v3, 24, v4 :: v_dual_lshlrev_b32 v2, 20, v2
	v_lshl_add_u32 v4, v5, 23, 0x3c000000
	s_delay_alu instid0(VALU_DEP_2) | instskip(SKIP_1) | instid1(VALU_DEP_1)
	v_and_b32_e32 v3, 0x80000000, v3
	s_wait_loadcnt 0x0
	v_or3_b32 v6, v2, v3, v4
	scratch_store_b64 off, v[6:7], s32 offset:336 ; 8-byte Folded Spill
.LBB355_456:                            ;   in Loop: Header=BB355_15 Depth=1
	s_wait_xcnt 0x0
	s_or_b32 exec_lo, exec_lo, s18
.LBB355_457:                            ;   in Loop: Header=BB355_15 Depth=1
	s_delay_alu instid0(SALU_CYCLE_1)
	s_or_b32 exec_lo, exec_lo, s17
.LBB355_458:                            ;   in Loop: Header=BB355_15 Depth=1
	s_delay_alu instid0(SALU_CYCLE_1) | instskip(NEXT) | instid1(SALU_CYCLE_1)
	s_or_b32 exec_lo, exec_lo, s16
	s_mov_b32 s16, exec_lo
	v_cmpx_lt_u64_e64 s[8:9], v[0:1]
	s_cbranch_execz .LBB355_466
; %bb.459:                              ;   in Loop: Header=BB355_15 Depth=1
	scratch_load_b64 v[4:5], off, s32 offset:336 ; 8-byte Folded Reload
	v_lshrrev_b32_e32 v2, 24, v1
	s_wait_loadcnt 0x0
	v_bfrev_b32_e32 v5, 1
	s_mov_b32 s17, exec_lo
	scratch_store_b64 off, v[4:5], s32 offset:336 ; 8-byte Folded Spill
	s_wait_xcnt 0x0
	v_cmpx_ne_u32_e32 0x80, v2
	s_cbranch_execz .LBB355_465
; %bb.460:                              ;   in Loop: Header=BB355_15 Depth=1
	scratch_load_b64 v[4:5], off, s32 offset:336 ; 8-byte Folded Reload
	v_bfe_u32 v0, v1, 24, 7
	s_wait_loadcnt 0x0
	v_mov_b32_e32 v5, 0x7f800001
	s_mov_b32 s18, exec_lo
	scratch_store_b64 off, v[4:5], s32 offset:336 ; 8-byte Folded Spill
	s_wait_xcnt 0x0
	v_cmpx_ne_u32_e32 0x7f, v0
	s_cbranch_execz .LBB355_464
; %bb.461:                              ;   in Loop: Header=BB355_15 Depth=1
	v_dual_lshrrev_b32 v3, 3, v0 :: v_dual_bitop2_b32 v24, 7, v2 bitop3:0x40
	v_cmp_gt_u32_e64 s1, 8, v0
	s_delay_alu instid0(VALU_DEP_2)
	v_mov_b64_e32 v[0:1], v[24:25]
	s_and_saveexec_b32 s19, s1
; %bb.462:                              ;   in Loop: Header=BB355_15 Depth=1
	v_clz_i32_u32_e32 v0, v24
	s_delay_alu instid0(VALU_DEP_1) | instskip(NEXT) | instid1(VALU_DEP_1)
	v_min_u32_e32 v3, 32, v0
	v_subrev_nc_u32_e32 v0, 28, v3
	s_delay_alu instid0(VALU_DEP_1) | instskip(NEXT) | instid1(VALU_DEP_1)
	v_lshlrev_b64_e32 v[0:1], v0, v[24:25]
	v_dual_sub_nc_u32 v3, 29, v3 :: v_dual_bitop2_b32 v0, 7, v0 bitop3:0x40
; %bb.463:                              ;   in Loop: Header=BB355_15 Depth=1
	s_or_b32 exec_lo, exec_lo, s19
	scratch_load_b64 v[4:5], off, s32 offset:336 ; 8-byte Folded Reload
	v_dual_lshlrev_b32 v1, 24, v2 :: v_dual_lshlrev_b32 v0, 20, v0
	v_lshl_add_u32 v2, v3, 23, 0x3c000000
	s_delay_alu instid0(VALU_DEP_2) | instskip(SKIP_1) | instid1(VALU_DEP_1)
	v_and_b32_e32 v1, 0x80000000, v1
	s_wait_loadcnt 0x0
	v_or3_b32 v5, v0, v1, v2
	scratch_store_b64 off, v[4:5], s32 offset:336 ; 8-byte Folded Spill
.LBB355_464:                            ;   in Loop: Header=BB355_15 Depth=1
	s_wait_xcnt 0x0
	s_or_b32 exec_lo, exec_lo, s18
.LBB355_465:                            ;   in Loop: Header=BB355_15 Depth=1
	s_delay_alu instid0(SALU_CYCLE_1)
	s_or_b32 exec_lo, exec_lo, s17
.LBB355_466:                            ;   in Loop: Header=BB355_15 Depth=1
	s_delay_alu instid0(SALU_CYCLE_1)
	s_or_b32 exec_lo, exec_lo, s16
	flat_load_b64 v[0:1], v[36:37] offset:1544
	v_dual_mov_b32 v5, 0 :: v_dual_mov_b32 v4, 0
	s_mov_b32 s16, exec_lo
	scratch_store_b64 off, v[4:5], s32 offset:344 ; 8-byte Folded Spill
	s_wait_loadcnt_dscnt 0x0
	v_and_b32_e32 v2, 0xff, v0
	s_wait_xcnt 0x0
	s_delay_alu instid0(VALU_DEP_1)
	v_cmpx_ne_u16_e32 0, v2
	s_cbranch_execz .LBB355_474
; %bb.467:                              ;   in Loop: Header=BB355_15 Depth=1
	v_cmp_ne_u16_e64 s1, 0x80, v2
	scratch_load_b64 v[2:3], off, s32 offset:344 ; 8-byte Folded Reload
	s_wait_loadcnt 0x0
	v_bfrev_b32_e32 v2, 1
	scratch_store_b64 off, v[2:3], s32 offset:344 ; 8-byte Folded Spill
	s_wait_xcnt 0x0
	s_and_saveexec_b32 s17, s1
	s_cbranch_execz .LBB355_473
; %bb.468:                              ;   in Loop: Header=BB355_15 Depth=1
	scratch_load_b64 v[4:5], off, s32 offset:344 ; 8-byte Folded Reload
	v_and_b32_e32 v2, 0x7f, v0
	s_wait_loadcnt 0x0
	v_mov_b32_e32 v4, 0x7f800001
	s_mov_b32 s18, exec_lo
	scratch_store_b64 off, v[4:5], s32 offset:344 ; 8-byte Folded Spill
	s_wait_xcnt 0x0
	v_cmpx_ne_u32_e32 0x7f, v2
	s_cbranch_execz .LBB355_472
; %bb.469:                              ;   in Loop: Header=BB355_15 Depth=1
	v_lshrrev_b32_e32 v4, 3, v2
	v_cmp_gt_u32_e64 s1, 8, v2
	v_mov_b64_e32 v[2:3], v[0:1]
	s_and_saveexec_b32 s19, s1
; %bb.470:                              ;   in Loop: Header=BB355_15 Depth=1
	v_and_b32_e32 v2, 7, v0
	s_delay_alu instid0(VALU_DEP_1) | instskip(NEXT) | instid1(VALU_DEP_1)
	v_clz_i32_u32_e32 v2, v2
	v_min_u32_e32 v4, 32, v2
	s_delay_alu instid0(VALU_DEP_1) | instskip(SKIP_1) | instid1(VALU_DEP_2)
	v_subrev_nc_u32_e32 v2, 28, v4
	v_sub_nc_u32_e32 v4, 29, v4
	v_lshlrev_b64_e32 v[2:3], v2, v[0:1]
; %bb.471:                              ;   in Loop: Header=BB355_15 Depth=1
	s_or_b32 exec_lo, exec_lo, s19
	scratch_load_b64 v[6:7], off, s32 offset:344 ; 8-byte Folded Reload
	v_dual_lshlrev_b32 v2, 20, v2 :: v_dual_lshlrev_b32 v3, 24, v0
	v_lshl_add_u32 v4, v4, 23, 0x3c000000
	s_delay_alu instid0(VALU_DEP_2) | instskip(NEXT) | instid1(VALU_DEP_3)
	v_and_b32_e32 v2, 0x700000, v2
	v_and_b32_e32 v3, 0x80000000, v3
	s_wait_loadcnt 0x0
	s_delay_alu instid0(VALU_DEP_1)
	v_or3_b32 v6, v2, v3, v4
	scratch_store_b64 off, v[6:7], s32 offset:344 ; 8-byte Folded Spill
.LBB355_472:                            ;   in Loop: Header=BB355_15 Depth=1
	s_wait_xcnt 0x0
	s_or_b32 exec_lo, exec_lo, s18
.LBB355_473:                            ;   in Loop: Header=BB355_15 Depth=1
	s_delay_alu instid0(SALU_CYCLE_1)
	s_or_b32 exec_lo, exec_lo, s17
.LBB355_474:                            ;   in Loop: Header=BB355_15 Depth=1
	s_delay_alu instid0(SALU_CYCLE_1) | instskip(SKIP_2) | instid1(VALU_DEP_1)
	s_or_b32 exec_lo, exec_lo, s16
	v_lshrrev_b16 v2, 8, v0
	s_mov_b32 s16, exec_lo
	v_cmpx_ne_u16_e32 0, v2
	s_cbranch_execz .LBB355_482
; %bb.475:                              ;   in Loop: Header=BB355_15 Depth=1
	scratch_load_b64 v[4:5], off, s32 offset:344 ; 8-byte Folded Reload
	s_wait_loadcnt 0x0
	v_bfrev_b32_e32 v5, 1
	s_mov_b32 s17, exec_lo
	scratch_store_b64 off, v[4:5], s32 offset:344 ; 8-byte Folded Spill
	s_wait_xcnt 0x0
	v_cmpx_ne_u16_e32 0x80, v2
	s_cbranch_execz .LBB355_481
; %bb.476:                              ;   in Loop: Header=BB355_15 Depth=1
	scratch_load_b64 v[4:5], off, s32 offset:344 ; 8-byte Folded Reload
	v_and_b32_e32 v3, 0xffff, v2
	s_wait_loadcnt 0x0
	v_mov_b32_e32 v5, 0x7f800001
	s_mov_b32 s18, exec_lo
	s_delay_alu instid0(VALU_DEP_2)
	v_and_b32_e32 v2, 0x7f, v3
	scratch_store_b64 off, v[4:5], s32 offset:344 ; 8-byte Folded Spill
	s_wait_xcnt 0x0
	v_cmpx_ne_u32_e32 0x7f, v2
	s_cbranch_execz .LBB355_480
; %bb.477:                              ;   in Loop: Header=BB355_15 Depth=1
	v_dual_lshrrev_b32 v4, 3, v2 :: v_dual_bitop2_b32 v24, 7, v3 bitop3:0x40
	v_cmp_gt_u32_e64 s1, 8, v2
	s_delay_alu instid0(VALU_DEP_2)
	v_mov_b64_e32 v[2:3], v[24:25]
	s_and_saveexec_b32 s19, s1
; %bb.478:                              ;   in Loop: Header=BB355_15 Depth=1
	v_clz_i32_u32_e32 v2, v24
	s_delay_alu instid0(VALU_DEP_1) | instskip(NEXT) | instid1(VALU_DEP_1)
	v_min_u32_e32 v4, 32, v2
	v_subrev_nc_u32_e32 v2, 28, v4
	s_delay_alu instid0(VALU_DEP_1) | instskip(NEXT) | instid1(VALU_DEP_1)
	v_lshlrev_b64_e32 v[2:3], v2, v[24:25]
	v_dual_sub_nc_u32 v4, 29, v4 :: v_dual_bitop2_b32 v2, 7, v2 bitop3:0x40
; %bb.479:                              ;   in Loop: Header=BB355_15 Depth=1
	s_or_b32 exec_lo, exec_lo, s19
	scratch_load_b64 v[6:7], off, s32 offset:344 ; 8-byte Folded Reload
	v_dual_lshlrev_b32 v3, 16, v0 :: v_dual_lshlrev_b32 v2, 20, v2
	v_lshl_add_u32 v4, v4, 23, 0x3c000000
	s_delay_alu instid0(VALU_DEP_2) | instskip(SKIP_1) | instid1(VALU_DEP_1)
	v_and_b32_e32 v3, 0x80000000, v3
	s_wait_loadcnt 0x0
	v_or3_b32 v7, v2, v3, v4
	scratch_store_b64 off, v[6:7], s32 offset:344 ; 8-byte Folded Spill
.LBB355_480:                            ;   in Loop: Header=BB355_15 Depth=1
	s_wait_xcnt 0x0
	s_or_b32 exec_lo, exec_lo, s18
.LBB355_481:                            ;   in Loop: Header=BB355_15 Depth=1
	s_delay_alu instid0(SALU_CYCLE_1)
	s_or_b32 exec_lo, exec_lo, s17
.LBB355_482:                            ;   in Loop: Header=BB355_15 Depth=1
	s_delay_alu instid0(SALU_CYCLE_1) | instskip(SKIP_3) | instid1(VALU_DEP_2)
	s_or_b32 exec_lo, exec_lo, s16
	v_dual_mov_b32 v7, 0 :: v_dual_lshrrev_b32 v4, 16, v0
	v_mov_b32_e32 v6, 0
	s_mov_b32 s16, exec_lo
	v_and_b32_e32 v2, 0xff, v4
	scratch_store_b64 off, v[6:7], s32 offset:352 ; 8-byte Folded Spill
	s_wait_xcnt 0x0
	v_cmpx_ne_u16_e32 0, v2
	s_cbranch_execz .LBB355_490
; %bb.483:                              ;   in Loop: Header=BB355_15 Depth=1
	v_cmp_ne_u16_e64 s1, 0x80, v2
	scratch_load_b64 v[2:3], off, s32 offset:352 ; 8-byte Folded Reload
	s_wait_loadcnt 0x0
	v_bfrev_b32_e32 v2, 1
	scratch_store_b64 off, v[2:3], s32 offset:352 ; 8-byte Folded Spill
	s_wait_xcnt 0x0
	s_and_saveexec_b32 s17, s1
	s_cbranch_execz .LBB355_489
; %bb.484:                              ;   in Loop: Header=BB355_15 Depth=1
	scratch_load_b64 v[6:7], off, s32 offset:352 ; 8-byte Folded Reload
	v_bfe_u32 v2, v0, 16, 7
	s_wait_loadcnt 0x0
	v_mov_b32_e32 v6, 0x7f800001
	s_mov_b32 s18, exec_lo
	scratch_store_b64 off, v[6:7], s32 offset:352 ; 8-byte Folded Spill
	s_wait_xcnt 0x0
	v_cmpx_ne_u32_e32 0x7f, v2
	s_cbranch_execz .LBB355_488
; %bb.485:                              ;   in Loop: Header=BB355_15 Depth=1
	v_dual_lshrrev_b32 v5, 3, v2 :: v_dual_bitop2_b32 v24, 7, v4 bitop3:0x40
	v_cmp_gt_u32_e64 s1, 8, v2
	s_delay_alu instid0(VALU_DEP_2)
	v_mov_b64_e32 v[2:3], v[24:25]
	s_and_saveexec_b32 s19, s1
; %bb.486:                              ;   in Loop: Header=BB355_15 Depth=1
	v_clz_i32_u32_e32 v2, v24
	s_delay_alu instid0(VALU_DEP_1) | instskip(NEXT) | instid1(VALU_DEP_1)
	v_min_u32_e32 v5, 32, v2
	v_subrev_nc_u32_e32 v2, 28, v5
	s_delay_alu instid0(VALU_DEP_1) | instskip(NEXT) | instid1(VALU_DEP_1)
	v_lshlrev_b64_e32 v[2:3], v2, v[24:25]
	v_dual_sub_nc_u32 v5, 29, v5 :: v_dual_bitop2_b32 v2, 7, v2 bitop3:0x40
; %bb.487:                              ;   in Loop: Header=BB355_15 Depth=1
	s_or_b32 exec_lo, exec_lo, s19
	scratch_load_b64 v[6:7], off, s32 offset:352 ; 8-byte Folded Reload
	v_dual_lshlrev_b32 v3, 24, v4 :: v_dual_lshlrev_b32 v2, 20, v2
	v_lshl_add_u32 v4, v5, 23, 0x3c000000
	s_delay_alu instid0(VALU_DEP_2) | instskip(SKIP_1) | instid1(VALU_DEP_1)
	v_and_b32_e32 v3, 0x80000000, v3
	s_wait_loadcnt 0x0
	v_or3_b32 v6, v2, v3, v4
	scratch_store_b64 off, v[6:7], s32 offset:352 ; 8-byte Folded Spill
.LBB355_488:                            ;   in Loop: Header=BB355_15 Depth=1
	s_wait_xcnt 0x0
	s_or_b32 exec_lo, exec_lo, s18
.LBB355_489:                            ;   in Loop: Header=BB355_15 Depth=1
	s_delay_alu instid0(SALU_CYCLE_1)
	s_or_b32 exec_lo, exec_lo, s17
.LBB355_490:                            ;   in Loop: Header=BB355_15 Depth=1
	s_delay_alu instid0(SALU_CYCLE_1) | instskip(NEXT) | instid1(SALU_CYCLE_1)
	s_or_b32 exec_lo, exec_lo, s16
	s_mov_b32 s16, exec_lo
	v_cmpx_lt_u32_e32 0xffffff, v0
	s_cbranch_execz .LBB355_498
; %bb.491:                              ;   in Loop: Header=BB355_15 Depth=1
	scratch_load_b64 v[2:3], off, s32 offset:352 ; 8-byte Folded Reload
	v_lshrrev_b32_e32 v4, 24, v0
	s_wait_loadcnt 0x0
	v_bfrev_b32_e32 v3, 1
	s_mov_b32 s17, exec_lo
	scratch_store_b64 off, v[2:3], s32 offset:352 ; 8-byte Folded Spill
	s_wait_xcnt 0x0
	v_cmpx_ne_u32_e32 0x80, v4
	s_cbranch_execz .LBB355_497
; %bb.492:                              ;   in Loop: Header=BB355_15 Depth=1
	scratch_load_b64 v[6:7], off, s32 offset:352 ; 8-byte Folded Reload
	v_bfe_u32 v2, v0, 24, 7
	s_wait_loadcnt 0x0
	v_mov_b32_e32 v7, 0x7f800001
	s_mov_b32 s18, exec_lo
	scratch_store_b64 off, v[6:7], s32 offset:352 ; 8-byte Folded Spill
	s_wait_xcnt 0x0
	v_cmpx_ne_u32_e32 0x7f, v2
	s_cbranch_execz .LBB355_496
; %bb.493:                              ;   in Loop: Header=BB355_15 Depth=1
	v_dual_lshrrev_b32 v5, 3, v2 :: v_dual_bitop2_b32 v24, 7, v4 bitop3:0x40
	v_cmp_gt_u32_e64 s1, 8, v2
	s_delay_alu instid0(VALU_DEP_2)
	v_mov_b64_e32 v[2:3], v[24:25]
	s_and_saveexec_b32 s19, s1
; %bb.494:                              ;   in Loop: Header=BB355_15 Depth=1
	v_clz_i32_u32_e32 v2, v24
	s_delay_alu instid0(VALU_DEP_1) | instskip(NEXT) | instid1(VALU_DEP_1)
	v_min_u32_e32 v5, 32, v2
	v_subrev_nc_u32_e32 v2, 28, v5
	s_delay_alu instid0(VALU_DEP_1) | instskip(NEXT) | instid1(VALU_DEP_1)
	v_lshlrev_b64_e32 v[2:3], v2, v[24:25]
	v_dual_sub_nc_u32 v5, 29, v5 :: v_dual_bitop2_b32 v2, 7, v2 bitop3:0x40
; %bb.495:                              ;   in Loop: Header=BB355_15 Depth=1
	s_or_b32 exec_lo, exec_lo, s19
	scratch_load_b64 v[6:7], off, s32 offset:352 ; 8-byte Folded Reload
	v_dual_lshlrev_b32 v3, 24, v4 :: v_dual_lshlrev_b32 v2, 20, v2
	v_lshl_add_u32 v4, v5, 23, 0x3c000000
	s_delay_alu instid0(VALU_DEP_2) | instskip(SKIP_1) | instid1(VALU_DEP_1)
	v_and_b32_e32 v3, 0x80000000, v3
	s_wait_loadcnt 0x0
	v_or3_b32 v7, v2, v3, v4
	scratch_store_b64 off, v[6:7], s32 offset:352 ; 8-byte Folded Spill
.LBB355_496:                            ;   in Loop: Header=BB355_15 Depth=1
	s_wait_xcnt 0x0
	s_or_b32 exec_lo, exec_lo, s18
.LBB355_497:                            ;   in Loop: Header=BB355_15 Depth=1
	s_delay_alu instid0(SALU_CYCLE_1)
	s_or_b32 exec_lo, exec_lo, s17
.LBB355_498:                            ;   in Loop: Header=BB355_15 Depth=1
	s_delay_alu instid0(SALU_CYCLE_1)
	s_or_b32 exec_lo, exec_lo, s16
	v_and_b32_e32 v2, 0xff, v1
	v_dual_mov_b32 v24, v1 :: v_dual_mov_b32 v5, 0
	v_mov_b32_e32 v4, 0
	s_mov_b32 s16, exec_lo
	scratch_store_b64 off, v[4:5], s32 offset:360 ; 8-byte Folded Spill
	s_wait_xcnt 0x0
	v_cmpx_ne_u16_e32 0, v2
	s_cbranch_execz .LBB355_506
; %bb.499:                              ;   in Loop: Header=BB355_15 Depth=1
	v_cmp_ne_u16_e64 s1, 0x80, v2
	scratch_load_b64 v[2:3], off, s32 offset:360 ; 8-byte Folded Reload
	s_wait_loadcnt 0x0
	v_bfrev_b32_e32 v2, 1
	scratch_store_b64 off, v[2:3], s32 offset:360 ; 8-byte Folded Spill
	s_wait_xcnt 0x0
	s_and_saveexec_b32 s17, s1
	s_cbranch_execz .LBB355_505
; %bb.500:                              ;   in Loop: Header=BB355_15 Depth=1
	scratch_load_b64 v[4:5], off, s32 offset:360 ; 8-byte Folded Reload
	v_and_b32_e32 v2, 0x7f, v1
	s_wait_loadcnt 0x0
	v_mov_b32_e32 v4, 0x7f800001
	s_mov_b32 s18, exec_lo
	scratch_store_b64 off, v[4:5], s32 offset:360 ; 8-byte Folded Spill
	s_wait_xcnt 0x0
	v_cmpx_ne_u32_e32 0x7f, v2
	s_cbranch_execz .LBB355_504
; %bb.501:                              ;   in Loop: Header=BB355_15 Depth=1
	v_lshrrev_b32_e32 v4, 3, v2
	v_cmp_gt_u32_e64 s1, 8, v2
	v_mov_b64_e32 v[2:3], v[24:25]
	s_and_saveexec_b32 s19, s1
; %bb.502:                              ;   in Loop: Header=BB355_15 Depth=1
	v_and_b32_e32 v2, 7, v1
	s_delay_alu instid0(VALU_DEP_1) | instskip(NEXT) | instid1(VALU_DEP_1)
	v_clz_i32_u32_e32 v2, v2
	v_min_u32_e32 v4, 32, v2
	s_delay_alu instid0(VALU_DEP_1) | instskip(SKIP_1) | instid1(VALU_DEP_2)
	v_subrev_nc_u32_e32 v2, 28, v4
	v_sub_nc_u32_e32 v4, 29, v4
	v_lshlrev_b64_e32 v[2:3], v2, v[24:25]
; %bb.503:                              ;   in Loop: Header=BB355_15 Depth=1
	s_or_b32 exec_lo, exec_lo, s19
	scratch_load_b64 v[6:7], off, s32 offset:360 ; 8-byte Folded Reload
	v_dual_lshlrev_b32 v2, 20, v2 :: v_dual_lshlrev_b32 v3, 24, v24
	v_lshl_add_u32 v4, v4, 23, 0x3c000000
	s_delay_alu instid0(VALU_DEP_2) | instskip(NEXT) | instid1(VALU_DEP_3)
	v_and_b32_e32 v2, 0x700000, v2
	v_and_b32_e32 v3, 0x80000000, v3
	s_wait_loadcnt 0x0
	s_delay_alu instid0(VALU_DEP_1)
	v_or3_b32 v6, v2, v3, v4
	scratch_store_b64 off, v[6:7], s32 offset:360 ; 8-byte Folded Spill
.LBB355_504:                            ;   in Loop: Header=BB355_15 Depth=1
	s_wait_xcnt 0x0
	s_or_b32 exec_lo, exec_lo, s18
.LBB355_505:                            ;   in Loop: Header=BB355_15 Depth=1
	s_delay_alu instid0(SALU_CYCLE_1)
	s_or_b32 exec_lo, exec_lo, s17
.LBB355_506:                            ;   in Loop: Header=BB355_15 Depth=1
	s_delay_alu instid0(SALU_CYCLE_1) | instskip(SKIP_2) | instid1(VALU_DEP_1)
	s_or_b32 exec_lo, exec_lo, s16
	v_lshrrev_b16 v2, 8, v24
	s_mov_b32 s16, exec_lo
	v_cmpx_ne_u16_e32 0, v2
	s_cbranch_execz .LBB355_514
; %bb.507:                              ;   in Loop: Header=BB355_15 Depth=1
	scratch_load_b64 v[4:5], off, s32 offset:360 ; 8-byte Folded Reload
	s_wait_loadcnt 0x0
	v_bfrev_b32_e32 v5, 1
	s_mov_b32 s17, exec_lo
	scratch_store_b64 off, v[4:5], s32 offset:360 ; 8-byte Folded Spill
	s_wait_xcnt 0x0
	v_cmpx_ne_u16_e32 0x80, v2
	s_cbranch_execz .LBB355_513
; %bb.508:                              ;   in Loop: Header=BB355_15 Depth=1
	scratch_load_b64 v[6:7], off, s32 offset:360 ; 8-byte Folded Reload
	v_and_b32_e32 v2, 0xffff, v2
	s_wait_loadcnt 0x0
	v_mov_b32_e32 v7, 0x7f800001
	s_mov_b32 s18, exec_lo
	s_delay_alu instid0(VALU_DEP_2)
	v_and_b32_e32 v5, 0x7f, v2
	scratch_store_b64 off, v[6:7], s32 offset:360 ; 8-byte Folded Spill
	s_wait_xcnt 0x0
	v_cmpx_ne_u32_e32 0x7f, v5
	s_cbranch_execz .LBB355_512
; %bb.509:                              ;   in Loop: Header=BB355_15 Depth=1
	v_dual_mov_b32 v3, v25 :: v_dual_bitop2_b32 v2, 7, v2 bitop3:0x40
	v_lshrrev_b32_e32 v4, 3, v5
	s_mov_b32 s19, exec_lo
	v_cmpx_gt_u32_e32 8, v5
; %bb.510:                              ;   in Loop: Header=BB355_15 Depth=1
	s_delay_alu instid0(VALU_DEP_3) | instskip(NEXT) | instid1(VALU_DEP_1)
	v_clz_i32_u32_e32 v4, v2
	v_min_u32_e32 v4, 32, v4
	s_delay_alu instid0(VALU_DEP_1) | instskip(NEXT) | instid1(VALU_DEP_1)
	v_subrev_nc_u32_e32 v5, 28, v4
	v_lshlrev_b64_e32 v[2:3], v5, v[2:3]
	s_delay_alu instid0(VALU_DEP_1)
	v_dual_sub_nc_u32 v4, 29, v4 :: v_dual_bitop2_b32 v2, 7, v2 bitop3:0x40
; %bb.511:                              ;   in Loop: Header=BB355_15 Depth=1
	s_or_b32 exec_lo, exec_lo, s19
	scratch_load_b64 v[6:7], off, s32 offset:360 ; 8-byte Folded Reload
	v_dual_lshlrev_b32 v3, 16, v24 :: v_dual_lshlrev_b32 v2, 20, v2
	v_lshl_add_u32 v4, v4, 23, 0x3c000000
	s_delay_alu instid0(VALU_DEP_2) | instskip(SKIP_1) | instid1(VALU_DEP_1)
	v_and_b32_e32 v3, 0x80000000, v3
	s_wait_loadcnt 0x0
	v_or3_b32 v7, v2, v3, v4
	scratch_store_b64 off, v[6:7], s32 offset:360 ; 8-byte Folded Spill
.LBB355_512:                            ;   in Loop: Header=BB355_15 Depth=1
	s_wait_xcnt 0x0
	s_or_b32 exec_lo, exec_lo, s18
.LBB355_513:                            ;   in Loop: Header=BB355_15 Depth=1
	s_delay_alu instid0(SALU_CYCLE_1)
	s_or_b32 exec_lo, exec_lo, s17
.LBB355_514:                            ;   in Loop: Header=BB355_15 Depth=1
	s_delay_alu instid0(SALU_CYCLE_1) | instskip(SKIP_3) | instid1(VALU_DEP_2)
	s_or_b32 exec_lo, exec_lo, s16
	v_dual_mov_b32 v7, 0 :: v_dual_lshrrev_b32 v4, 16, v1
	v_mov_b32_e32 v6, 0
	s_mov_b32 s16, exec_lo
	v_and_b32_e32 v2, 0xff, v4
	scratch_store_b64 off, v[6:7], s32 offset:368 ; 8-byte Folded Spill
	s_wait_xcnt 0x0
	v_cmpx_ne_u16_e32 0, v2
	s_cbranch_execz .LBB355_522
; %bb.515:                              ;   in Loop: Header=BB355_15 Depth=1
	v_cmp_ne_u16_e64 s1, 0x80, v2
	scratch_load_b64 v[2:3], off, s32 offset:368 ; 8-byte Folded Reload
	s_wait_loadcnt 0x0
	v_bfrev_b32_e32 v2, 1
	scratch_store_b64 off, v[2:3], s32 offset:368 ; 8-byte Folded Spill
	s_wait_xcnt 0x0
	s_and_saveexec_b32 s17, s1
	s_cbranch_execz .LBB355_521
; %bb.516:                              ;   in Loop: Header=BB355_15 Depth=1
	scratch_load_b64 v[6:7], off, s32 offset:368 ; 8-byte Folded Reload
	v_bfe_u32 v2, v1, 16, 7
	s_wait_loadcnt 0x0
	v_mov_b32_e32 v6, 0x7f800001
	s_mov_b32 s18, exec_lo
	scratch_store_b64 off, v[6:7], s32 offset:368 ; 8-byte Folded Spill
	s_wait_xcnt 0x0
	v_cmpx_ne_u32_e32 0x7f, v2
	s_cbranch_execz .LBB355_520
; %bb.517:                              ;   in Loop: Header=BB355_15 Depth=1
	v_dual_lshrrev_b32 v5, 3, v2 :: v_dual_bitop2_b32 v24, 7, v4 bitop3:0x40
	v_cmp_gt_u32_e64 s1, 8, v2
	s_delay_alu instid0(VALU_DEP_2)
	v_mov_b64_e32 v[2:3], v[24:25]
	s_and_saveexec_b32 s19, s1
; %bb.518:                              ;   in Loop: Header=BB355_15 Depth=1
	v_clz_i32_u32_e32 v2, v24
	s_delay_alu instid0(VALU_DEP_1) | instskip(NEXT) | instid1(VALU_DEP_1)
	v_min_u32_e32 v5, 32, v2
	v_subrev_nc_u32_e32 v2, 28, v5
	s_delay_alu instid0(VALU_DEP_1) | instskip(NEXT) | instid1(VALU_DEP_1)
	v_lshlrev_b64_e32 v[2:3], v2, v[24:25]
	v_dual_sub_nc_u32 v5, 29, v5 :: v_dual_bitop2_b32 v2, 7, v2 bitop3:0x40
; %bb.519:                              ;   in Loop: Header=BB355_15 Depth=1
	s_or_b32 exec_lo, exec_lo, s19
	scratch_load_b64 v[6:7], off, s32 offset:368 ; 8-byte Folded Reload
	v_dual_lshlrev_b32 v3, 24, v4 :: v_dual_lshlrev_b32 v2, 20, v2
	v_lshl_add_u32 v4, v5, 23, 0x3c000000
	s_delay_alu instid0(VALU_DEP_2) | instskip(SKIP_1) | instid1(VALU_DEP_1)
	v_and_b32_e32 v3, 0x80000000, v3
	s_wait_loadcnt 0x0
	v_or3_b32 v6, v2, v3, v4
	scratch_store_b64 off, v[6:7], s32 offset:368 ; 8-byte Folded Spill
.LBB355_520:                            ;   in Loop: Header=BB355_15 Depth=1
	s_wait_xcnt 0x0
	s_or_b32 exec_lo, exec_lo, s18
.LBB355_521:                            ;   in Loop: Header=BB355_15 Depth=1
	s_delay_alu instid0(SALU_CYCLE_1)
	s_or_b32 exec_lo, exec_lo, s17
.LBB355_522:                            ;   in Loop: Header=BB355_15 Depth=1
	s_delay_alu instid0(SALU_CYCLE_1) | instskip(NEXT) | instid1(SALU_CYCLE_1)
	s_or_b32 exec_lo, exec_lo, s16
	s_mov_b32 s16, exec_lo
	v_cmpx_lt_u64_e64 s[8:9], v[0:1]
	s_cbranch_execz .LBB355_530
; %bb.523:                              ;   in Loop: Header=BB355_15 Depth=1
	scratch_load_b64 v[4:5], off, s32 offset:368 ; 8-byte Folded Reload
	v_lshrrev_b32_e32 v2, 24, v1
	s_wait_loadcnt 0x0
	v_bfrev_b32_e32 v5, 1
	s_mov_b32 s17, exec_lo
	scratch_store_b64 off, v[4:5], s32 offset:368 ; 8-byte Folded Spill
	s_wait_xcnt 0x0
	v_cmpx_ne_u32_e32 0x80, v2
	s_cbranch_execz .LBB355_529
; %bb.524:                              ;   in Loop: Header=BB355_15 Depth=1
	scratch_load_b64 v[4:5], off, s32 offset:368 ; 8-byte Folded Reload
	v_bfe_u32 v0, v1, 24, 7
	s_wait_loadcnt 0x0
	v_mov_b32_e32 v5, 0x7f800001
	s_mov_b32 s18, exec_lo
	scratch_store_b64 off, v[4:5], s32 offset:368 ; 8-byte Folded Spill
	s_wait_xcnt 0x0
	v_cmpx_ne_u32_e32 0x7f, v0
	s_cbranch_execz .LBB355_528
; %bb.525:                              ;   in Loop: Header=BB355_15 Depth=1
	v_dual_lshrrev_b32 v3, 3, v0 :: v_dual_bitop2_b32 v24, 7, v2 bitop3:0x40
	v_cmp_gt_u32_e64 s1, 8, v0
	s_delay_alu instid0(VALU_DEP_2)
	v_mov_b64_e32 v[0:1], v[24:25]
	s_and_saveexec_b32 s19, s1
; %bb.526:                              ;   in Loop: Header=BB355_15 Depth=1
	v_clz_i32_u32_e32 v0, v24
	s_delay_alu instid0(VALU_DEP_1) | instskip(NEXT) | instid1(VALU_DEP_1)
	v_min_u32_e32 v3, 32, v0
	v_subrev_nc_u32_e32 v0, 28, v3
	s_delay_alu instid0(VALU_DEP_1) | instskip(NEXT) | instid1(VALU_DEP_1)
	v_lshlrev_b64_e32 v[0:1], v0, v[24:25]
	v_dual_sub_nc_u32 v3, 29, v3 :: v_dual_bitop2_b32 v0, 7, v0 bitop3:0x40
; %bb.527:                              ;   in Loop: Header=BB355_15 Depth=1
	s_or_b32 exec_lo, exec_lo, s19
	scratch_load_b64 v[4:5], off, s32 offset:368 ; 8-byte Folded Reload
	v_dual_lshlrev_b32 v1, 24, v2 :: v_dual_lshlrev_b32 v0, 20, v0
	v_lshl_add_u32 v2, v3, 23, 0x3c000000
	s_delay_alu instid0(VALU_DEP_2) | instskip(SKIP_1) | instid1(VALU_DEP_1)
	v_and_b32_e32 v1, 0x80000000, v1
	s_wait_loadcnt 0x0
	v_or3_b32 v5, v0, v1, v2
	scratch_store_b64 off, v[4:5], s32 offset:368 ; 8-byte Folded Spill
.LBB355_528:                            ;   in Loop: Header=BB355_15 Depth=1
	s_wait_xcnt 0x0
	s_or_b32 exec_lo, exec_lo, s18
.LBB355_529:                            ;   in Loop: Header=BB355_15 Depth=1
	s_delay_alu instid0(SALU_CYCLE_1)
	s_or_b32 exec_lo, exec_lo, s17
.LBB355_530:                            ;   in Loop: Header=BB355_15 Depth=1
	s_delay_alu instid0(SALU_CYCLE_1)
	s_or_b32 exec_lo, exec_lo, s16
	flat_load_b64 v[0:1], v[36:37] offset:2048
	v_dual_mov_b32 v5, 0 :: v_dual_mov_b32 v4, 0
	s_mov_b32 s16, exec_lo
	scratch_store_b64 off, v[4:5], s32 offset:376 ; 8-byte Folded Spill
	s_wait_loadcnt_dscnt 0x0
	v_and_b32_e32 v2, 0xff, v0
	s_wait_xcnt 0x0
	s_delay_alu instid0(VALU_DEP_1)
	v_cmpx_ne_u16_e32 0, v2
	s_cbranch_execz .LBB355_538
; %bb.531:                              ;   in Loop: Header=BB355_15 Depth=1
	v_cmp_ne_u16_e64 s1, 0x80, v2
	scratch_load_b64 v[2:3], off, s32 offset:376 ; 8-byte Folded Reload
	s_wait_loadcnt 0x0
	v_bfrev_b32_e32 v2, 1
	scratch_store_b64 off, v[2:3], s32 offset:376 ; 8-byte Folded Spill
	s_wait_xcnt 0x0
	s_and_saveexec_b32 s17, s1
	s_cbranch_execz .LBB355_537
; %bb.532:                              ;   in Loop: Header=BB355_15 Depth=1
	scratch_load_b64 v[4:5], off, s32 offset:376 ; 8-byte Folded Reload
	v_and_b32_e32 v2, 0x7f, v0
	s_wait_loadcnt 0x0
	v_mov_b32_e32 v4, 0x7f800001
	s_mov_b32 s18, exec_lo
	scratch_store_b64 off, v[4:5], s32 offset:376 ; 8-byte Folded Spill
	s_wait_xcnt 0x0
	v_cmpx_ne_u32_e32 0x7f, v2
	s_cbranch_execz .LBB355_536
; %bb.533:                              ;   in Loop: Header=BB355_15 Depth=1
	v_lshrrev_b32_e32 v4, 3, v2
	v_cmp_gt_u32_e64 s1, 8, v2
	v_mov_b64_e32 v[2:3], v[0:1]
	s_and_saveexec_b32 s19, s1
; %bb.534:                              ;   in Loop: Header=BB355_15 Depth=1
	v_and_b32_e32 v2, 7, v0
	s_delay_alu instid0(VALU_DEP_1) | instskip(NEXT) | instid1(VALU_DEP_1)
	v_clz_i32_u32_e32 v2, v2
	v_min_u32_e32 v4, 32, v2
	s_delay_alu instid0(VALU_DEP_1) | instskip(SKIP_1) | instid1(VALU_DEP_2)
	v_subrev_nc_u32_e32 v2, 28, v4
	v_sub_nc_u32_e32 v4, 29, v4
	v_lshlrev_b64_e32 v[2:3], v2, v[0:1]
; %bb.535:                              ;   in Loop: Header=BB355_15 Depth=1
	s_or_b32 exec_lo, exec_lo, s19
	scratch_load_b64 v[6:7], off, s32 offset:376 ; 8-byte Folded Reload
	v_dual_lshlrev_b32 v2, 20, v2 :: v_dual_lshlrev_b32 v3, 24, v0
	v_lshl_add_u32 v4, v4, 23, 0x3c000000
	s_delay_alu instid0(VALU_DEP_2) | instskip(NEXT) | instid1(VALU_DEP_3)
	v_and_b32_e32 v2, 0x700000, v2
	v_and_b32_e32 v3, 0x80000000, v3
	s_wait_loadcnt 0x0
	s_delay_alu instid0(VALU_DEP_1)
	v_or3_b32 v6, v2, v3, v4
	scratch_store_b64 off, v[6:7], s32 offset:376 ; 8-byte Folded Spill
.LBB355_536:                            ;   in Loop: Header=BB355_15 Depth=1
	s_wait_xcnt 0x0
	s_or_b32 exec_lo, exec_lo, s18
.LBB355_537:                            ;   in Loop: Header=BB355_15 Depth=1
	s_delay_alu instid0(SALU_CYCLE_1)
	s_or_b32 exec_lo, exec_lo, s17
.LBB355_538:                            ;   in Loop: Header=BB355_15 Depth=1
	s_delay_alu instid0(SALU_CYCLE_1) | instskip(SKIP_2) | instid1(VALU_DEP_1)
	s_or_b32 exec_lo, exec_lo, s16
	v_lshrrev_b16 v2, 8, v0
	s_mov_b32 s16, exec_lo
	v_cmpx_ne_u16_e32 0, v2
	s_cbranch_execz .LBB355_546
; %bb.539:                              ;   in Loop: Header=BB355_15 Depth=1
	scratch_load_b64 v[4:5], off, s32 offset:376 ; 8-byte Folded Reload
	s_wait_loadcnt 0x0
	v_bfrev_b32_e32 v5, 1
	s_mov_b32 s17, exec_lo
	scratch_store_b64 off, v[4:5], s32 offset:376 ; 8-byte Folded Spill
	s_wait_xcnt 0x0
	v_cmpx_ne_u16_e32 0x80, v2
	s_cbranch_execz .LBB355_545
; %bb.540:                              ;   in Loop: Header=BB355_15 Depth=1
	scratch_load_b64 v[4:5], off, s32 offset:376 ; 8-byte Folded Reload
	v_and_b32_e32 v3, 0xffff, v2
	s_wait_loadcnt 0x0
	v_mov_b32_e32 v5, 0x7f800001
	s_mov_b32 s18, exec_lo
	s_delay_alu instid0(VALU_DEP_2)
	v_and_b32_e32 v2, 0x7f, v3
	scratch_store_b64 off, v[4:5], s32 offset:376 ; 8-byte Folded Spill
	s_wait_xcnt 0x0
	v_cmpx_ne_u32_e32 0x7f, v2
	s_cbranch_execz .LBB355_544
; %bb.541:                              ;   in Loop: Header=BB355_15 Depth=1
	v_dual_lshrrev_b32 v4, 3, v2 :: v_dual_bitop2_b32 v24, 7, v3 bitop3:0x40
	v_cmp_gt_u32_e64 s1, 8, v2
	s_delay_alu instid0(VALU_DEP_2)
	v_mov_b64_e32 v[2:3], v[24:25]
	s_and_saveexec_b32 s19, s1
; %bb.542:                              ;   in Loop: Header=BB355_15 Depth=1
	v_clz_i32_u32_e32 v2, v24
	s_delay_alu instid0(VALU_DEP_1) | instskip(NEXT) | instid1(VALU_DEP_1)
	v_min_u32_e32 v4, 32, v2
	v_subrev_nc_u32_e32 v2, 28, v4
	s_delay_alu instid0(VALU_DEP_1) | instskip(NEXT) | instid1(VALU_DEP_1)
	v_lshlrev_b64_e32 v[2:3], v2, v[24:25]
	v_dual_sub_nc_u32 v4, 29, v4 :: v_dual_bitop2_b32 v2, 7, v2 bitop3:0x40
; %bb.543:                              ;   in Loop: Header=BB355_15 Depth=1
	s_or_b32 exec_lo, exec_lo, s19
	scratch_load_b64 v[6:7], off, s32 offset:376 ; 8-byte Folded Reload
	v_dual_lshlrev_b32 v3, 16, v0 :: v_dual_lshlrev_b32 v2, 20, v2
	v_lshl_add_u32 v4, v4, 23, 0x3c000000
	s_delay_alu instid0(VALU_DEP_2) | instskip(SKIP_1) | instid1(VALU_DEP_1)
	v_and_b32_e32 v3, 0x80000000, v3
	s_wait_loadcnt 0x0
	v_or3_b32 v7, v2, v3, v4
	scratch_store_b64 off, v[6:7], s32 offset:376 ; 8-byte Folded Spill
.LBB355_544:                            ;   in Loop: Header=BB355_15 Depth=1
	s_wait_xcnt 0x0
	s_or_b32 exec_lo, exec_lo, s18
.LBB355_545:                            ;   in Loop: Header=BB355_15 Depth=1
	s_delay_alu instid0(SALU_CYCLE_1)
	s_or_b32 exec_lo, exec_lo, s17
.LBB355_546:                            ;   in Loop: Header=BB355_15 Depth=1
	s_delay_alu instid0(SALU_CYCLE_1) | instskip(SKIP_3) | instid1(VALU_DEP_2)
	s_or_b32 exec_lo, exec_lo, s16
	v_dual_mov_b32 v7, 0 :: v_dual_lshrrev_b32 v4, 16, v0
	v_mov_b32_e32 v6, 0
	s_mov_b32 s16, exec_lo
	v_and_b32_e32 v2, 0xff, v4
	scratch_store_b64 off, v[6:7], s32 offset:384 ; 8-byte Folded Spill
	s_wait_xcnt 0x0
	v_cmpx_ne_u16_e32 0, v2
	s_cbranch_execz .LBB355_554
; %bb.547:                              ;   in Loop: Header=BB355_15 Depth=1
	v_cmp_ne_u16_e64 s1, 0x80, v2
	scratch_load_b64 v[2:3], off, s32 offset:384 ; 8-byte Folded Reload
	s_wait_loadcnt 0x0
	v_bfrev_b32_e32 v2, 1
	scratch_store_b64 off, v[2:3], s32 offset:384 ; 8-byte Folded Spill
	s_wait_xcnt 0x0
	s_and_saveexec_b32 s17, s1
	s_cbranch_execz .LBB355_553
; %bb.548:                              ;   in Loop: Header=BB355_15 Depth=1
	scratch_load_b64 v[6:7], off, s32 offset:384 ; 8-byte Folded Reload
	v_bfe_u32 v2, v0, 16, 7
	s_wait_loadcnt 0x0
	v_mov_b32_e32 v6, 0x7f800001
	s_mov_b32 s18, exec_lo
	scratch_store_b64 off, v[6:7], s32 offset:384 ; 8-byte Folded Spill
	s_wait_xcnt 0x0
	v_cmpx_ne_u32_e32 0x7f, v2
	s_cbranch_execz .LBB355_552
; %bb.549:                              ;   in Loop: Header=BB355_15 Depth=1
	v_dual_lshrrev_b32 v5, 3, v2 :: v_dual_bitop2_b32 v24, 7, v4 bitop3:0x40
	v_cmp_gt_u32_e64 s1, 8, v2
	s_delay_alu instid0(VALU_DEP_2)
	v_mov_b64_e32 v[2:3], v[24:25]
	s_and_saveexec_b32 s19, s1
; %bb.550:                              ;   in Loop: Header=BB355_15 Depth=1
	v_clz_i32_u32_e32 v2, v24
	s_delay_alu instid0(VALU_DEP_1) | instskip(NEXT) | instid1(VALU_DEP_1)
	v_min_u32_e32 v5, 32, v2
	v_subrev_nc_u32_e32 v2, 28, v5
	s_delay_alu instid0(VALU_DEP_1) | instskip(NEXT) | instid1(VALU_DEP_1)
	v_lshlrev_b64_e32 v[2:3], v2, v[24:25]
	v_dual_sub_nc_u32 v5, 29, v5 :: v_dual_bitop2_b32 v2, 7, v2 bitop3:0x40
; %bb.551:                              ;   in Loop: Header=BB355_15 Depth=1
	s_or_b32 exec_lo, exec_lo, s19
	scratch_load_b64 v[6:7], off, s32 offset:384 ; 8-byte Folded Reload
	v_dual_lshlrev_b32 v3, 24, v4 :: v_dual_lshlrev_b32 v2, 20, v2
	v_lshl_add_u32 v4, v5, 23, 0x3c000000
	s_delay_alu instid0(VALU_DEP_2) | instskip(SKIP_1) | instid1(VALU_DEP_1)
	v_and_b32_e32 v3, 0x80000000, v3
	s_wait_loadcnt 0x0
	v_or3_b32 v6, v2, v3, v4
	scratch_store_b64 off, v[6:7], s32 offset:384 ; 8-byte Folded Spill
.LBB355_552:                            ;   in Loop: Header=BB355_15 Depth=1
	s_wait_xcnt 0x0
	s_or_b32 exec_lo, exec_lo, s18
.LBB355_553:                            ;   in Loop: Header=BB355_15 Depth=1
	s_delay_alu instid0(SALU_CYCLE_1)
	s_or_b32 exec_lo, exec_lo, s17
.LBB355_554:                            ;   in Loop: Header=BB355_15 Depth=1
	s_delay_alu instid0(SALU_CYCLE_1) | instskip(NEXT) | instid1(SALU_CYCLE_1)
	s_or_b32 exec_lo, exec_lo, s16
	s_mov_b32 s16, exec_lo
	v_cmpx_lt_u32_e32 0xffffff, v0
	s_cbranch_execz .LBB355_562
; %bb.555:                              ;   in Loop: Header=BB355_15 Depth=1
	scratch_load_b64 v[2:3], off, s32 offset:384 ; 8-byte Folded Reload
	v_lshrrev_b32_e32 v4, 24, v0
	s_wait_loadcnt 0x0
	v_bfrev_b32_e32 v3, 1
	s_mov_b32 s17, exec_lo
	scratch_store_b64 off, v[2:3], s32 offset:384 ; 8-byte Folded Spill
	s_wait_xcnt 0x0
	v_cmpx_ne_u32_e32 0x80, v4
	s_cbranch_execz .LBB355_561
; %bb.556:                              ;   in Loop: Header=BB355_15 Depth=1
	scratch_load_b64 v[6:7], off, s32 offset:384 ; 8-byte Folded Reload
	v_bfe_u32 v2, v0, 24, 7
	s_wait_loadcnt 0x0
	v_mov_b32_e32 v7, 0x7f800001
	s_mov_b32 s18, exec_lo
	scratch_store_b64 off, v[6:7], s32 offset:384 ; 8-byte Folded Spill
	s_wait_xcnt 0x0
	v_cmpx_ne_u32_e32 0x7f, v2
	s_cbranch_execz .LBB355_560
; %bb.557:                              ;   in Loop: Header=BB355_15 Depth=1
	v_dual_lshrrev_b32 v5, 3, v2 :: v_dual_bitop2_b32 v24, 7, v4 bitop3:0x40
	v_cmp_gt_u32_e64 s1, 8, v2
	s_delay_alu instid0(VALU_DEP_2)
	v_mov_b64_e32 v[2:3], v[24:25]
	s_and_saveexec_b32 s19, s1
; %bb.558:                              ;   in Loop: Header=BB355_15 Depth=1
	v_clz_i32_u32_e32 v2, v24
	s_delay_alu instid0(VALU_DEP_1) | instskip(NEXT) | instid1(VALU_DEP_1)
	v_min_u32_e32 v5, 32, v2
	v_subrev_nc_u32_e32 v2, 28, v5
	s_delay_alu instid0(VALU_DEP_1) | instskip(NEXT) | instid1(VALU_DEP_1)
	v_lshlrev_b64_e32 v[2:3], v2, v[24:25]
	v_dual_sub_nc_u32 v5, 29, v5 :: v_dual_bitop2_b32 v2, 7, v2 bitop3:0x40
; %bb.559:                              ;   in Loop: Header=BB355_15 Depth=1
	s_or_b32 exec_lo, exec_lo, s19
	scratch_load_b64 v[6:7], off, s32 offset:384 ; 8-byte Folded Reload
	v_dual_lshlrev_b32 v3, 24, v4 :: v_dual_lshlrev_b32 v2, 20, v2
	v_lshl_add_u32 v4, v5, 23, 0x3c000000
	s_delay_alu instid0(VALU_DEP_2) | instskip(SKIP_1) | instid1(VALU_DEP_1)
	v_and_b32_e32 v3, 0x80000000, v3
	s_wait_loadcnt 0x0
	v_or3_b32 v7, v2, v3, v4
	scratch_store_b64 off, v[6:7], s32 offset:384 ; 8-byte Folded Spill
.LBB355_560:                            ;   in Loop: Header=BB355_15 Depth=1
	s_wait_xcnt 0x0
	s_or_b32 exec_lo, exec_lo, s18
.LBB355_561:                            ;   in Loop: Header=BB355_15 Depth=1
	s_delay_alu instid0(SALU_CYCLE_1)
	s_or_b32 exec_lo, exec_lo, s17
.LBB355_562:                            ;   in Loop: Header=BB355_15 Depth=1
	s_delay_alu instid0(SALU_CYCLE_1)
	s_or_b32 exec_lo, exec_lo, s16
	v_and_b32_e32 v2, 0xff, v1
	v_dual_mov_b32 v24, v1 :: v_dual_mov_b32 v5, 0
	v_mov_b32_e32 v4, 0
	s_mov_b32 s16, exec_lo
	scratch_store_b64 off, v[4:5], s32 offset:392 ; 8-byte Folded Spill
	s_wait_xcnt 0x0
	v_cmpx_ne_u16_e32 0, v2
	s_cbranch_execz .LBB355_570
; %bb.563:                              ;   in Loop: Header=BB355_15 Depth=1
	v_cmp_ne_u16_e64 s1, 0x80, v2
	scratch_load_b64 v[2:3], off, s32 offset:392 ; 8-byte Folded Reload
	s_wait_loadcnt 0x0
	v_bfrev_b32_e32 v2, 1
	scratch_store_b64 off, v[2:3], s32 offset:392 ; 8-byte Folded Spill
	s_wait_xcnt 0x0
	s_and_saveexec_b32 s17, s1
	s_cbranch_execz .LBB355_569
; %bb.564:                              ;   in Loop: Header=BB355_15 Depth=1
	scratch_load_b64 v[4:5], off, s32 offset:392 ; 8-byte Folded Reload
	v_and_b32_e32 v2, 0x7f, v1
	s_wait_loadcnt 0x0
	v_mov_b32_e32 v4, 0x7f800001
	s_mov_b32 s18, exec_lo
	scratch_store_b64 off, v[4:5], s32 offset:392 ; 8-byte Folded Spill
	s_wait_xcnt 0x0
	v_cmpx_ne_u32_e32 0x7f, v2
	s_cbranch_execz .LBB355_568
; %bb.565:                              ;   in Loop: Header=BB355_15 Depth=1
	v_lshrrev_b32_e32 v4, 3, v2
	v_cmp_gt_u32_e64 s1, 8, v2
	v_mov_b64_e32 v[2:3], v[24:25]
	s_and_saveexec_b32 s19, s1
; %bb.566:                              ;   in Loop: Header=BB355_15 Depth=1
	v_and_b32_e32 v2, 7, v1
	s_delay_alu instid0(VALU_DEP_1) | instskip(NEXT) | instid1(VALU_DEP_1)
	v_clz_i32_u32_e32 v2, v2
	v_min_u32_e32 v4, 32, v2
	s_delay_alu instid0(VALU_DEP_1) | instskip(SKIP_1) | instid1(VALU_DEP_2)
	v_subrev_nc_u32_e32 v2, 28, v4
	v_sub_nc_u32_e32 v4, 29, v4
	v_lshlrev_b64_e32 v[2:3], v2, v[24:25]
; %bb.567:                              ;   in Loop: Header=BB355_15 Depth=1
	s_or_b32 exec_lo, exec_lo, s19
	scratch_load_b64 v[6:7], off, s32 offset:392 ; 8-byte Folded Reload
	v_dual_lshlrev_b32 v2, 20, v2 :: v_dual_lshlrev_b32 v3, 24, v24
	v_lshl_add_u32 v4, v4, 23, 0x3c000000
	s_delay_alu instid0(VALU_DEP_2) | instskip(NEXT) | instid1(VALU_DEP_3)
	v_and_b32_e32 v2, 0x700000, v2
	v_and_b32_e32 v3, 0x80000000, v3
	s_wait_loadcnt 0x0
	s_delay_alu instid0(VALU_DEP_1)
	v_or3_b32 v6, v2, v3, v4
	scratch_store_b64 off, v[6:7], s32 offset:392 ; 8-byte Folded Spill
.LBB355_568:                            ;   in Loop: Header=BB355_15 Depth=1
	s_wait_xcnt 0x0
	s_or_b32 exec_lo, exec_lo, s18
.LBB355_569:                            ;   in Loop: Header=BB355_15 Depth=1
	s_delay_alu instid0(SALU_CYCLE_1)
	s_or_b32 exec_lo, exec_lo, s17
.LBB355_570:                            ;   in Loop: Header=BB355_15 Depth=1
	s_delay_alu instid0(SALU_CYCLE_1) | instskip(SKIP_2) | instid1(VALU_DEP_1)
	s_or_b32 exec_lo, exec_lo, s16
	v_lshrrev_b16 v2, 8, v24
	s_mov_b32 s16, exec_lo
	v_cmpx_ne_u16_e32 0, v2
	s_cbranch_execz .LBB355_578
; %bb.571:                              ;   in Loop: Header=BB355_15 Depth=1
	scratch_load_b64 v[4:5], off, s32 offset:392 ; 8-byte Folded Reload
	s_wait_loadcnt 0x0
	v_bfrev_b32_e32 v5, 1
	s_mov_b32 s17, exec_lo
	scratch_store_b64 off, v[4:5], s32 offset:392 ; 8-byte Folded Spill
	s_wait_xcnt 0x0
	v_cmpx_ne_u16_e32 0x80, v2
	s_cbranch_execz .LBB355_577
; %bb.572:                              ;   in Loop: Header=BB355_15 Depth=1
	scratch_load_b64 v[6:7], off, s32 offset:392 ; 8-byte Folded Reload
	v_and_b32_e32 v2, 0xffff, v2
	s_wait_loadcnt 0x0
	v_mov_b32_e32 v7, 0x7f800001
	s_mov_b32 s18, exec_lo
	s_delay_alu instid0(VALU_DEP_2)
	v_and_b32_e32 v5, 0x7f, v2
	scratch_store_b64 off, v[6:7], s32 offset:392 ; 8-byte Folded Spill
	s_wait_xcnt 0x0
	v_cmpx_ne_u32_e32 0x7f, v5
	s_cbranch_execz .LBB355_576
; %bb.573:                              ;   in Loop: Header=BB355_15 Depth=1
	v_dual_mov_b32 v3, v25 :: v_dual_bitop2_b32 v2, 7, v2 bitop3:0x40
	v_lshrrev_b32_e32 v4, 3, v5
	s_mov_b32 s19, exec_lo
	v_cmpx_gt_u32_e32 8, v5
; %bb.574:                              ;   in Loop: Header=BB355_15 Depth=1
	s_delay_alu instid0(VALU_DEP_3) | instskip(NEXT) | instid1(VALU_DEP_1)
	v_clz_i32_u32_e32 v4, v2
	v_min_u32_e32 v4, 32, v4
	s_delay_alu instid0(VALU_DEP_1) | instskip(NEXT) | instid1(VALU_DEP_1)
	v_subrev_nc_u32_e32 v5, 28, v4
	v_lshlrev_b64_e32 v[2:3], v5, v[2:3]
	s_delay_alu instid0(VALU_DEP_1)
	v_dual_sub_nc_u32 v4, 29, v4 :: v_dual_bitop2_b32 v2, 7, v2 bitop3:0x40
; %bb.575:                              ;   in Loop: Header=BB355_15 Depth=1
	s_or_b32 exec_lo, exec_lo, s19
	scratch_load_b64 v[6:7], off, s32 offset:392 ; 8-byte Folded Reload
	v_dual_lshlrev_b32 v3, 16, v24 :: v_dual_lshlrev_b32 v2, 20, v2
	v_lshl_add_u32 v4, v4, 23, 0x3c000000
	s_delay_alu instid0(VALU_DEP_2) | instskip(SKIP_1) | instid1(VALU_DEP_1)
	v_and_b32_e32 v3, 0x80000000, v3
	s_wait_loadcnt 0x0
	v_or3_b32 v7, v2, v3, v4
	scratch_store_b64 off, v[6:7], s32 offset:392 ; 8-byte Folded Spill
.LBB355_576:                            ;   in Loop: Header=BB355_15 Depth=1
	s_wait_xcnt 0x0
	s_or_b32 exec_lo, exec_lo, s18
.LBB355_577:                            ;   in Loop: Header=BB355_15 Depth=1
	s_delay_alu instid0(SALU_CYCLE_1)
	s_or_b32 exec_lo, exec_lo, s17
.LBB355_578:                            ;   in Loop: Header=BB355_15 Depth=1
	s_delay_alu instid0(SALU_CYCLE_1) | instskip(SKIP_3) | instid1(VALU_DEP_2)
	s_or_b32 exec_lo, exec_lo, s16
	v_dual_mov_b32 v7, 0 :: v_dual_lshrrev_b32 v4, 16, v1
	v_mov_b32_e32 v6, 0
	s_mov_b32 s16, exec_lo
	v_and_b32_e32 v2, 0xff, v4
	scratch_store_b64 off, v[6:7], s32 offset:400 ; 8-byte Folded Spill
	s_wait_xcnt 0x0
	v_cmpx_ne_u16_e32 0, v2
	s_cbranch_execz .LBB355_586
; %bb.579:                              ;   in Loop: Header=BB355_15 Depth=1
	v_cmp_ne_u16_e64 s1, 0x80, v2
	scratch_load_b64 v[2:3], off, s32 offset:400 ; 8-byte Folded Reload
	s_wait_loadcnt 0x0
	v_bfrev_b32_e32 v2, 1
	scratch_store_b64 off, v[2:3], s32 offset:400 ; 8-byte Folded Spill
	s_wait_xcnt 0x0
	s_and_saveexec_b32 s17, s1
	s_cbranch_execz .LBB355_585
; %bb.580:                              ;   in Loop: Header=BB355_15 Depth=1
	scratch_load_b64 v[6:7], off, s32 offset:400 ; 8-byte Folded Reload
	v_bfe_u32 v2, v1, 16, 7
	s_wait_loadcnt 0x0
	v_mov_b32_e32 v6, 0x7f800001
	s_mov_b32 s18, exec_lo
	scratch_store_b64 off, v[6:7], s32 offset:400 ; 8-byte Folded Spill
	s_wait_xcnt 0x0
	v_cmpx_ne_u32_e32 0x7f, v2
	s_cbranch_execz .LBB355_584
; %bb.581:                              ;   in Loop: Header=BB355_15 Depth=1
	v_dual_lshrrev_b32 v5, 3, v2 :: v_dual_bitop2_b32 v24, 7, v4 bitop3:0x40
	v_cmp_gt_u32_e64 s1, 8, v2
	s_delay_alu instid0(VALU_DEP_2)
	v_mov_b64_e32 v[2:3], v[24:25]
	s_and_saveexec_b32 s19, s1
; %bb.582:                              ;   in Loop: Header=BB355_15 Depth=1
	v_clz_i32_u32_e32 v2, v24
	s_delay_alu instid0(VALU_DEP_1) | instskip(NEXT) | instid1(VALU_DEP_1)
	v_min_u32_e32 v5, 32, v2
	v_subrev_nc_u32_e32 v2, 28, v5
	s_delay_alu instid0(VALU_DEP_1) | instskip(NEXT) | instid1(VALU_DEP_1)
	v_lshlrev_b64_e32 v[2:3], v2, v[24:25]
	v_dual_sub_nc_u32 v5, 29, v5 :: v_dual_bitop2_b32 v2, 7, v2 bitop3:0x40
; %bb.583:                              ;   in Loop: Header=BB355_15 Depth=1
	s_or_b32 exec_lo, exec_lo, s19
	scratch_load_b64 v[6:7], off, s32 offset:400 ; 8-byte Folded Reload
	v_dual_lshlrev_b32 v3, 24, v4 :: v_dual_lshlrev_b32 v2, 20, v2
	v_lshl_add_u32 v4, v5, 23, 0x3c000000
	s_delay_alu instid0(VALU_DEP_2) | instskip(SKIP_1) | instid1(VALU_DEP_1)
	v_and_b32_e32 v3, 0x80000000, v3
	s_wait_loadcnt 0x0
	v_or3_b32 v6, v2, v3, v4
	scratch_store_b64 off, v[6:7], s32 offset:400 ; 8-byte Folded Spill
.LBB355_584:                            ;   in Loop: Header=BB355_15 Depth=1
	s_wait_xcnt 0x0
	s_or_b32 exec_lo, exec_lo, s18
.LBB355_585:                            ;   in Loop: Header=BB355_15 Depth=1
	s_delay_alu instid0(SALU_CYCLE_1)
	s_or_b32 exec_lo, exec_lo, s17
.LBB355_586:                            ;   in Loop: Header=BB355_15 Depth=1
	s_delay_alu instid0(SALU_CYCLE_1) | instskip(NEXT) | instid1(SALU_CYCLE_1)
	s_or_b32 exec_lo, exec_lo, s16
	s_mov_b32 s16, exec_lo
	v_cmpx_lt_u64_e64 s[8:9], v[0:1]
	s_cbranch_execz .LBB355_594
; %bb.587:                              ;   in Loop: Header=BB355_15 Depth=1
	scratch_load_b64 v[4:5], off, s32 offset:400 ; 8-byte Folded Reload
	v_lshrrev_b32_e32 v2, 24, v1
	s_wait_loadcnt 0x0
	v_bfrev_b32_e32 v5, 1
	s_mov_b32 s17, exec_lo
	scratch_store_b64 off, v[4:5], s32 offset:400 ; 8-byte Folded Spill
	s_wait_xcnt 0x0
	v_cmpx_ne_u32_e32 0x80, v2
	s_cbranch_execz .LBB355_593
; %bb.588:                              ;   in Loop: Header=BB355_15 Depth=1
	scratch_load_b64 v[4:5], off, s32 offset:400 ; 8-byte Folded Reload
	v_bfe_u32 v0, v1, 24, 7
	s_wait_loadcnt 0x0
	v_mov_b32_e32 v5, 0x7f800001
	s_mov_b32 s18, exec_lo
	scratch_store_b64 off, v[4:5], s32 offset:400 ; 8-byte Folded Spill
	s_wait_xcnt 0x0
	v_cmpx_ne_u32_e32 0x7f, v0
	s_cbranch_execz .LBB355_592
; %bb.589:                              ;   in Loop: Header=BB355_15 Depth=1
	v_dual_lshrrev_b32 v3, 3, v0 :: v_dual_bitop2_b32 v24, 7, v2 bitop3:0x40
	v_cmp_gt_u32_e64 s1, 8, v0
	s_delay_alu instid0(VALU_DEP_2)
	v_mov_b64_e32 v[0:1], v[24:25]
	s_and_saveexec_b32 s19, s1
; %bb.590:                              ;   in Loop: Header=BB355_15 Depth=1
	v_clz_i32_u32_e32 v0, v24
	s_delay_alu instid0(VALU_DEP_1) | instskip(NEXT) | instid1(VALU_DEP_1)
	v_min_u32_e32 v3, 32, v0
	v_subrev_nc_u32_e32 v0, 28, v3
	s_delay_alu instid0(VALU_DEP_1) | instskip(NEXT) | instid1(VALU_DEP_1)
	v_lshlrev_b64_e32 v[0:1], v0, v[24:25]
	v_dual_sub_nc_u32 v3, 29, v3 :: v_dual_bitop2_b32 v0, 7, v0 bitop3:0x40
; %bb.591:                              ;   in Loop: Header=BB355_15 Depth=1
	s_or_b32 exec_lo, exec_lo, s19
	scratch_load_b64 v[4:5], off, s32 offset:400 ; 8-byte Folded Reload
	v_dual_lshlrev_b32 v1, 24, v2 :: v_dual_lshlrev_b32 v0, 20, v0
	v_lshl_add_u32 v2, v3, 23, 0x3c000000
	s_delay_alu instid0(VALU_DEP_2) | instskip(SKIP_1) | instid1(VALU_DEP_1)
	v_and_b32_e32 v1, 0x80000000, v1
	s_wait_loadcnt 0x0
	v_or3_b32 v5, v0, v1, v2
	scratch_store_b64 off, v[4:5], s32 offset:400 ; 8-byte Folded Spill
.LBB355_592:                            ;   in Loop: Header=BB355_15 Depth=1
	s_wait_xcnt 0x0
	s_or_b32 exec_lo, exec_lo, s18
.LBB355_593:                            ;   in Loop: Header=BB355_15 Depth=1
	s_delay_alu instid0(SALU_CYCLE_1)
	s_or_b32 exec_lo, exec_lo, s17
.LBB355_594:                            ;   in Loop: Header=BB355_15 Depth=1
	s_delay_alu instid0(SALU_CYCLE_1)
	s_or_b32 exec_lo, exec_lo, s16
	flat_load_b64 v[0:1], v[36:37] offset:2056
	v_dual_mov_b32 v71, 0 :: v_dual_mov_b32 v70, 0
	s_mov_b32 s16, exec_lo
	s_wait_loadcnt_dscnt 0x0
	v_and_b32_e32 v2, 0xff, v0
	s_wait_xcnt 0x0
	s_delay_alu instid0(VALU_DEP_1)
	v_cmpx_ne_u16_e32 0, v2
	s_cbranch_execz .LBB355_602
; %bb.595:                              ;   in Loop: Header=BB355_15 Depth=1
	v_bfrev_b32_e32 v70, 1
	s_mov_b32 s17, exec_lo
	v_cmpx_ne_u16_e32 0x80, v2
	s_cbranch_execz .LBB355_601
; %bb.596:                              ;   in Loop: Header=BB355_15 Depth=1
	v_and_b32_e32 v2, 0x7f, v0
	v_mov_b32_e32 v70, 0x7f800001
	s_mov_b32 s18, exec_lo
	s_delay_alu instid0(VALU_DEP_2)
	v_cmpx_ne_u32_e32 0x7f, v2
	s_cbranch_execz .LBB355_600
; %bb.597:                              ;   in Loop: Header=BB355_15 Depth=1
	v_lshrrev_b32_e32 v4, 3, v2
	v_cmp_gt_u32_e64 s1, 8, v2
	v_mov_b64_e32 v[2:3], v[0:1]
	s_and_saveexec_b32 s19, s1
; %bb.598:                              ;   in Loop: Header=BB355_15 Depth=1
	v_and_b32_e32 v2, 7, v0
	s_delay_alu instid0(VALU_DEP_1) | instskip(NEXT) | instid1(VALU_DEP_1)
	v_clz_i32_u32_e32 v2, v2
	v_min_u32_e32 v4, 32, v2
	s_delay_alu instid0(VALU_DEP_1) | instskip(SKIP_1) | instid1(VALU_DEP_2)
	v_subrev_nc_u32_e32 v2, 28, v4
	v_sub_nc_u32_e32 v4, 29, v4
	v_lshlrev_b64_e32 v[2:3], v2, v[0:1]
; %bb.599:                              ;   in Loop: Header=BB355_15 Depth=1
	s_or_b32 exec_lo, exec_lo, s19
	s_delay_alu instid0(VALU_DEP_1) | instskip(NEXT) | instid1(VALU_DEP_3)
	v_dual_lshlrev_b32 v2, 20, v2 :: v_dual_lshlrev_b32 v3, 24, v0
	v_lshl_add_u32 v4, v4, 23, 0x3c000000
	s_delay_alu instid0(VALU_DEP_2) | instskip(NEXT) | instid1(VALU_DEP_3)
	v_and_b32_e32 v2, 0x700000, v2
	v_and_b32_e32 v3, 0x80000000, v3
	s_delay_alu instid0(VALU_DEP_1)
	v_or3_b32 v70, v2, v3, v4
.LBB355_600:                            ;   in Loop: Header=BB355_15 Depth=1
	s_or_b32 exec_lo, exec_lo, s18
.LBB355_601:                            ;   in Loop: Header=BB355_15 Depth=1
	s_delay_alu instid0(SALU_CYCLE_1)
	s_or_b32 exec_lo, exec_lo, s17
.LBB355_602:                            ;   in Loop: Header=BB355_15 Depth=1
	s_delay_alu instid0(SALU_CYCLE_1) | instskip(SKIP_2) | instid1(VALU_DEP_1)
	s_or_b32 exec_lo, exec_lo, s16
	v_lshrrev_b16 v2, 8, v0
	s_mov_b32 s16, exec_lo
	v_cmpx_ne_u16_e32 0, v2
	s_cbranch_execz .LBB355_610
; %bb.603:                              ;   in Loop: Header=BB355_15 Depth=1
	v_bfrev_b32_e32 v71, 1
	s_mov_b32 s17, exec_lo
	v_cmpx_ne_u16_e32 0x80, v2
	s_cbranch_execz .LBB355_609
; %bb.604:                              ;   in Loop: Header=BB355_15 Depth=1
	v_and_b32_e32 v3, 0xffff, v2
	v_mov_b32_e32 v71, 0x7f800001
	s_mov_b32 s18, exec_lo
	s_delay_alu instid0(VALU_DEP_2) | instskip(NEXT) | instid1(VALU_DEP_1)
	v_and_b32_e32 v2, 0x7f, v3
	v_cmpx_ne_u32_e32 0x7f, v2
	s_cbranch_execz .LBB355_608
; %bb.605:                              ;   in Loop: Header=BB355_15 Depth=1
	v_dual_lshrrev_b32 v4, 3, v2 :: v_dual_bitop2_b32 v24, 7, v3 bitop3:0x40
	v_cmp_gt_u32_e64 s1, 8, v2
	s_delay_alu instid0(VALU_DEP_2)
	v_mov_b64_e32 v[2:3], v[24:25]
	s_and_saveexec_b32 s19, s1
; %bb.606:                              ;   in Loop: Header=BB355_15 Depth=1
	v_clz_i32_u32_e32 v2, v24
	s_delay_alu instid0(VALU_DEP_1) | instskip(NEXT) | instid1(VALU_DEP_1)
	v_min_u32_e32 v4, 32, v2
	v_subrev_nc_u32_e32 v2, 28, v4
	s_delay_alu instid0(VALU_DEP_1) | instskip(NEXT) | instid1(VALU_DEP_1)
	v_lshlrev_b64_e32 v[2:3], v2, v[24:25]
	v_dual_sub_nc_u32 v4, 29, v4 :: v_dual_bitop2_b32 v2, 7, v2 bitop3:0x40
; %bb.607:                              ;   in Loop: Header=BB355_15 Depth=1
	s_or_b32 exec_lo, exec_lo, s19
	s_delay_alu instid0(VALU_DEP_1) | instskip(NEXT) | instid1(VALU_DEP_2)
	v_dual_lshlrev_b32 v3, 16, v0 :: v_dual_lshlrev_b32 v2, 20, v2
	v_lshl_add_u32 v4, v4, 23, 0x3c000000
	s_delay_alu instid0(VALU_DEP_2) | instskip(NEXT) | instid1(VALU_DEP_1)
	v_and_b32_e32 v3, 0x80000000, v3
	v_or3_b32 v71, v2, v3, v4
.LBB355_608:                            ;   in Loop: Header=BB355_15 Depth=1
	s_or_b32 exec_lo, exec_lo, s18
.LBB355_609:                            ;   in Loop: Header=BB355_15 Depth=1
	s_delay_alu instid0(SALU_CYCLE_1)
	s_or_b32 exec_lo, exec_lo, s17
.LBB355_610:                            ;   in Loop: Header=BB355_15 Depth=1
	s_delay_alu instid0(SALU_CYCLE_1) | instskip(SKIP_3) | instid1(VALU_DEP_2)
	s_or_b32 exec_lo, exec_lo, s16
	v_dual_mov_b32 v81, 0 :: v_dual_lshrrev_b32 v4, 16, v0
	v_mov_b32_e32 v80, 0
	s_mov_b32 s16, exec_lo
	v_and_b32_e32 v2, 0xff, v4
	s_delay_alu instid0(VALU_DEP_1)
	v_cmpx_ne_u16_e32 0, v2
	s_cbranch_execz .LBB355_618
; %bb.611:                              ;   in Loop: Header=BB355_15 Depth=1
	v_bfrev_b32_e32 v80, 1
	s_mov_b32 s17, exec_lo
	v_cmpx_ne_u16_e32 0x80, v2
	s_cbranch_execz .LBB355_617
; %bb.612:                              ;   in Loop: Header=BB355_15 Depth=1
	v_bfe_u32 v2, v0, 16, 7
	v_mov_b32_e32 v80, 0x7f800001
	s_mov_b32 s18, exec_lo
	s_delay_alu instid0(VALU_DEP_2)
	v_cmpx_ne_u32_e32 0x7f, v2
	s_cbranch_execz .LBB355_616
; %bb.613:                              ;   in Loop: Header=BB355_15 Depth=1
	v_dual_lshrrev_b32 v5, 3, v2 :: v_dual_bitop2_b32 v24, 7, v4 bitop3:0x40
	v_cmp_gt_u32_e64 s1, 8, v2
	s_delay_alu instid0(VALU_DEP_2)
	v_mov_b64_e32 v[2:3], v[24:25]
	s_and_saveexec_b32 s19, s1
; %bb.614:                              ;   in Loop: Header=BB355_15 Depth=1
	v_clz_i32_u32_e32 v2, v24
	s_delay_alu instid0(VALU_DEP_1) | instskip(NEXT) | instid1(VALU_DEP_1)
	v_min_u32_e32 v5, 32, v2
	v_subrev_nc_u32_e32 v2, 28, v5
	s_delay_alu instid0(VALU_DEP_1) | instskip(NEXT) | instid1(VALU_DEP_1)
	v_lshlrev_b64_e32 v[2:3], v2, v[24:25]
	v_dual_sub_nc_u32 v5, 29, v5 :: v_dual_bitop2_b32 v2, 7, v2 bitop3:0x40
; %bb.615:                              ;   in Loop: Header=BB355_15 Depth=1
	s_or_b32 exec_lo, exec_lo, s19
	s_delay_alu instid0(VALU_DEP_1) | instskip(NEXT) | instid1(VALU_DEP_2)
	v_dual_lshlrev_b32 v3, 24, v4 :: v_dual_lshlrev_b32 v2, 20, v2
	v_lshl_add_u32 v4, v5, 23, 0x3c000000
	s_delay_alu instid0(VALU_DEP_2) | instskip(NEXT) | instid1(VALU_DEP_1)
	v_and_b32_e32 v3, 0x80000000, v3
	v_or3_b32 v80, v2, v3, v4
.LBB355_616:                            ;   in Loop: Header=BB355_15 Depth=1
	s_or_b32 exec_lo, exec_lo, s18
.LBB355_617:                            ;   in Loop: Header=BB355_15 Depth=1
	s_delay_alu instid0(SALU_CYCLE_1)
	s_or_b32 exec_lo, exec_lo, s17
.LBB355_618:                            ;   in Loop: Header=BB355_15 Depth=1
	s_delay_alu instid0(SALU_CYCLE_1) | instskip(NEXT) | instid1(SALU_CYCLE_1)
	s_or_b32 exec_lo, exec_lo, s16
	s_mov_b32 s16, exec_lo
	v_cmpx_lt_u32_e32 0xffffff, v0
	s_cbranch_execz .LBB355_626
; %bb.619:                              ;   in Loop: Header=BB355_15 Depth=1
	v_lshrrev_b32_e32 v4, 24, v0
	v_bfrev_b32_e32 v81, 1
	s_mov_b32 s17, exec_lo
	s_delay_alu instid0(VALU_DEP_2)
	v_cmpx_ne_u32_e32 0x80, v4
	s_cbranch_execz .LBB355_625
; %bb.620:                              ;   in Loop: Header=BB355_15 Depth=1
	v_bfe_u32 v2, v0, 24, 7
	v_mov_b32_e32 v81, 0x7f800001
	s_mov_b32 s18, exec_lo
	s_delay_alu instid0(VALU_DEP_2)
	v_cmpx_ne_u32_e32 0x7f, v2
	s_cbranch_execz .LBB355_624
; %bb.621:                              ;   in Loop: Header=BB355_15 Depth=1
	v_dual_lshrrev_b32 v5, 3, v2 :: v_dual_bitop2_b32 v24, 7, v4 bitop3:0x40
	v_cmp_gt_u32_e64 s1, 8, v2
	s_delay_alu instid0(VALU_DEP_2)
	v_mov_b64_e32 v[2:3], v[24:25]
	s_and_saveexec_b32 s19, s1
; %bb.622:                              ;   in Loop: Header=BB355_15 Depth=1
	v_clz_i32_u32_e32 v2, v24
	s_delay_alu instid0(VALU_DEP_1) | instskip(NEXT) | instid1(VALU_DEP_1)
	v_min_u32_e32 v5, 32, v2
	v_subrev_nc_u32_e32 v2, 28, v5
	s_delay_alu instid0(VALU_DEP_1) | instskip(NEXT) | instid1(VALU_DEP_1)
	v_lshlrev_b64_e32 v[2:3], v2, v[24:25]
	v_dual_sub_nc_u32 v5, 29, v5 :: v_dual_bitop2_b32 v2, 7, v2 bitop3:0x40
; %bb.623:                              ;   in Loop: Header=BB355_15 Depth=1
	s_or_b32 exec_lo, exec_lo, s19
	s_delay_alu instid0(VALU_DEP_1) | instskip(NEXT) | instid1(VALU_DEP_2)
	v_dual_lshlrev_b32 v3, 24, v4 :: v_dual_lshlrev_b32 v2, 20, v2
	v_lshl_add_u32 v4, v5, 23, 0x3c000000
	s_delay_alu instid0(VALU_DEP_2) | instskip(NEXT) | instid1(VALU_DEP_1)
	v_and_b32_e32 v3, 0x80000000, v3
	v_or3_b32 v81, v2, v3, v4
.LBB355_624:                            ;   in Loop: Header=BB355_15 Depth=1
	s_or_b32 exec_lo, exec_lo, s18
.LBB355_625:                            ;   in Loop: Header=BB355_15 Depth=1
	s_delay_alu instid0(SALU_CYCLE_1)
	s_or_b32 exec_lo, exec_lo, s17
.LBB355_626:                            ;   in Loop: Header=BB355_15 Depth=1
	s_delay_alu instid0(SALU_CYCLE_1) | instskip(SKIP_4) | instid1(VALU_DEP_3)
	s_or_b32 exec_lo, exec_lo, s16
	v_and_b32_e32 v2, 0xff, v1
	v_dual_mov_b32 v24, v1 :: v_dual_mov_b32 v29, 0
	v_mov_b32_e32 v28, 0
	s_mov_b32 s16, exec_lo
	v_cmpx_ne_u16_e32 0, v2
	s_cbranch_execz .LBB355_634
; %bb.627:                              ;   in Loop: Header=BB355_15 Depth=1
	v_bfrev_b32_e32 v28, 1
	s_mov_b32 s17, exec_lo
	v_cmpx_ne_u16_e32 0x80, v2
	s_cbranch_execz .LBB355_633
; %bb.628:                              ;   in Loop: Header=BB355_15 Depth=1
	v_and_b32_e32 v2, 0x7f, v1
	v_mov_b32_e32 v28, 0x7f800001
	s_mov_b32 s18, exec_lo
	s_delay_alu instid0(VALU_DEP_2)
	v_cmpx_ne_u32_e32 0x7f, v2
	s_cbranch_execz .LBB355_632
; %bb.629:                              ;   in Loop: Header=BB355_15 Depth=1
	v_lshrrev_b32_e32 v4, 3, v2
	v_cmp_gt_u32_e64 s1, 8, v2
	v_mov_b64_e32 v[2:3], v[24:25]
	s_and_saveexec_b32 s19, s1
; %bb.630:                              ;   in Loop: Header=BB355_15 Depth=1
	v_and_b32_e32 v2, 7, v1
	s_delay_alu instid0(VALU_DEP_1) | instskip(NEXT) | instid1(VALU_DEP_1)
	v_clz_i32_u32_e32 v2, v2
	v_min_u32_e32 v4, 32, v2
	s_delay_alu instid0(VALU_DEP_1) | instskip(SKIP_1) | instid1(VALU_DEP_2)
	v_subrev_nc_u32_e32 v2, 28, v4
	v_sub_nc_u32_e32 v4, 29, v4
	v_lshlrev_b64_e32 v[2:3], v2, v[24:25]
; %bb.631:                              ;   in Loop: Header=BB355_15 Depth=1
	s_or_b32 exec_lo, exec_lo, s19
	s_delay_alu instid0(VALU_DEP_1) | instskip(NEXT) | instid1(VALU_DEP_3)
	v_dual_lshlrev_b32 v2, 20, v2 :: v_dual_lshlrev_b32 v3, 24, v24
	v_lshl_add_u32 v4, v4, 23, 0x3c000000
	s_delay_alu instid0(VALU_DEP_2) | instskip(NEXT) | instid1(VALU_DEP_3)
	v_and_b32_e32 v2, 0x700000, v2
	v_and_b32_e32 v3, 0x80000000, v3
	s_delay_alu instid0(VALU_DEP_1)
	v_or3_b32 v28, v2, v3, v4
.LBB355_632:                            ;   in Loop: Header=BB355_15 Depth=1
	s_or_b32 exec_lo, exec_lo, s18
.LBB355_633:                            ;   in Loop: Header=BB355_15 Depth=1
	s_delay_alu instid0(SALU_CYCLE_1)
	s_or_b32 exec_lo, exec_lo, s17
.LBB355_634:                            ;   in Loop: Header=BB355_15 Depth=1
	s_delay_alu instid0(SALU_CYCLE_1) | instskip(SKIP_2) | instid1(VALU_DEP_1)
	s_or_b32 exec_lo, exec_lo, s16
	v_lshrrev_b16 v2, 8, v24
	s_mov_b32 s16, exec_lo
	v_cmpx_ne_u16_e32 0, v2
	s_cbranch_execz .LBB355_642
; %bb.635:                              ;   in Loop: Header=BB355_15 Depth=1
	v_bfrev_b32_e32 v29, 1
	s_mov_b32 s17, exec_lo
	v_cmpx_ne_u16_e32 0x80, v2
	s_cbranch_execz .LBB355_641
; %bb.636:                              ;   in Loop: Header=BB355_15 Depth=1
	v_and_b32_e32 v2, 0xffff, v2
	v_mov_b32_e32 v29, 0x7f800001
	s_mov_b32 s18, exec_lo
	s_delay_alu instid0(VALU_DEP_2) | instskip(NEXT) | instid1(VALU_DEP_1)
	v_and_b32_e32 v5, 0x7f, v2
	v_cmpx_ne_u32_e32 0x7f, v5
	s_cbranch_execz .LBB355_640
; %bb.637:                              ;   in Loop: Header=BB355_15 Depth=1
	v_dual_mov_b32 v3, v25 :: v_dual_bitop2_b32 v2, 7, v2 bitop3:0x40
	v_lshrrev_b32_e32 v4, 3, v5
	s_mov_b32 s19, exec_lo
	v_cmpx_gt_u32_e32 8, v5
; %bb.638:                              ;   in Loop: Header=BB355_15 Depth=1
	s_delay_alu instid0(VALU_DEP_3) | instskip(NEXT) | instid1(VALU_DEP_1)
	v_clz_i32_u32_e32 v4, v2
	v_min_u32_e32 v4, 32, v4
	s_delay_alu instid0(VALU_DEP_1) | instskip(NEXT) | instid1(VALU_DEP_1)
	v_subrev_nc_u32_e32 v5, 28, v4
	v_lshlrev_b64_e32 v[2:3], v5, v[2:3]
	s_delay_alu instid0(VALU_DEP_1)
	v_dual_sub_nc_u32 v4, 29, v4 :: v_dual_bitop2_b32 v2, 7, v2 bitop3:0x40
; %bb.639:                              ;   in Loop: Header=BB355_15 Depth=1
	s_or_b32 exec_lo, exec_lo, s19
	s_delay_alu instid0(VALU_DEP_1) | instskip(NEXT) | instid1(VALU_DEP_2)
	v_dual_lshlrev_b32 v3, 16, v24 :: v_dual_lshlrev_b32 v2, 20, v2
	v_lshl_add_u32 v4, v4, 23, 0x3c000000
	s_delay_alu instid0(VALU_DEP_2) | instskip(NEXT) | instid1(VALU_DEP_1)
	v_and_b32_e32 v3, 0x80000000, v3
	v_or3_b32 v29, v2, v3, v4
.LBB355_640:                            ;   in Loop: Header=BB355_15 Depth=1
	s_or_b32 exec_lo, exec_lo, s18
.LBB355_641:                            ;   in Loop: Header=BB355_15 Depth=1
	s_delay_alu instid0(SALU_CYCLE_1)
	s_or_b32 exec_lo, exec_lo, s17
.LBB355_642:                            ;   in Loop: Header=BB355_15 Depth=1
	s_delay_alu instid0(SALU_CYCLE_1) | instskip(SKIP_3) | instid1(VALU_DEP_2)
	s_or_b32 exec_lo, exec_lo, s16
	v_dual_mov_b32 v83, 0 :: v_dual_lshrrev_b32 v4, 16, v1
	v_mov_b32_e32 v82, 0
	s_mov_b32 s16, exec_lo
	v_and_b32_e32 v2, 0xff, v4
	s_delay_alu instid0(VALU_DEP_1)
	v_cmpx_ne_u16_e32 0, v2
	s_cbranch_execz .LBB355_650
; %bb.643:                              ;   in Loop: Header=BB355_15 Depth=1
	v_bfrev_b32_e32 v82, 1
	s_mov_b32 s17, exec_lo
	v_cmpx_ne_u16_e32 0x80, v2
	s_cbranch_execz .LBB355_649
; %bb.644:                              ;   in Loop: Header=BB355_15 Depth=1
	v_bfe_u32 v2, v1, 16, 7
	v_mov_b32_e32 v82, 0x7f800001
	s_mov_b32 s18, exec_lo
	s_delay_alu instid0(VALU_DEP_2)
	v_cmpx_ne_u32_e32 0x7f, v2
	s_cbranch_execz .LBB355_648
; %bb.645:                              ;   in Loop: Header=BB355_15 Depth=1
	v_dual_lshrrev_b32 v5, 3, v2 :: v_dual_bitop2_b32 v24, 7, v4 bitop3:0x40
	v_cmp_gt_u32_e64 s1, 8, v2
	s_delay_alu instid0(VALU_DEP_2)
	v_mov_b64_e32 v[2:3], v[24:25]
	s_and_saveexec_b32 s19, s1
; %bb.646:                              ;   in Loop: Header=BB355_15 Depth=1
	v_clz_i32_u32_e32 v2, v24
	s_delay_alu instid0(VALU_DEP_1) | instskip(NEXT) | instid1(VALU_DEP_1)
	v_min_u32_e32 v5, 32, v2
	v_subrev_nc_u32_e32 v2, 28, v5
	s_delay_alu instid0(VALU_DEP_1) | instskip(NEXT) | instid1(VALU_DEP_1)
	v_lshlrev_b64_e32 v[2:3], v2, v[24:25]
	v_dual_sub_nc_u32 v5, 29, v5 :: v_dual_bitop2_b32 v2, 7, v2 bitop3:0x40
; %bb.647:                              ;   in Loop: Header=BB355_15 Depth=1
	s_or_b32 exec_lo, exec_lo, s19
	s_delay_alu instid0(VALU_DEP_1) | instskip(NEXT) | instid1(VALU_DEP_2)
	v_dual_lshlrev_b32 v3, 24, v4 :: v_dual_lshlrev_b32 v2, 20, v2
	v_lshl_add_u32 v4, v5, 23, 0x3c000000
	s_delay_alu instid0(VALU_DEP_2) | instskip(NEXT) | instid1(VALU_DEP_1)
	v_and_b32_e32 v3, 0x80000000, v3
	v_or3_b32 v82, v2, v3, v4
.LBB355_648:                            ;   in Loop: Header=BB355_15 Depth=1
	s_or_b32 exec_lo, exec_lo, s18
.LBB355_649:                            ;   in Loop: Header=BB355_15 Depth=1
	s_delay_alu instid0(SALU_CYCLE_1)
	s_or_b32 exec_lo, exec_lo, s17
.LBB355_650:                            ;   in Loop: Header=BB355_15 Depth=1
	s_delay_alu instid0(SALU_CYCLE_1) | instskip(NEXT) | instid1(SALU_CYCLE_1)
	s_or_b32 exec_lo, exec_lo, s16
	s_mov_b32 s16, exec_lo
	v_cmpx_lt_u64_e64 s[8:9], v[0:1]
	s_cbranch_execz .LBB355_658
; %bb.651:                              ;   in Loop: Header=BB355_15 Depth=1
	v_lshrrev_b32_e32 v2, 24, v1
	v_bfrev_b32_e32 v83, 1
	s_mov_b32 s17, exec_lo
	s_delay_alu instid0(VALU_DEP_2)
	v_cmpx_ne_u32_e32 0x80, v2
	s_cbranch_execz .LBB355_657
; %bb.652:                              ;   in Loop: Header=BB355_15 Depth=1
	v_bfe_u32 v0, v1, 24, 7
	v_mov_b32_e32 v83, 0x7f800001
	s_mov_b32 s18, exec_lo
	s_delay_alu instid0(VALU_DEP_2)
	v_cmpx_ne_u32_e32 0x7f, v0
	s_cbranch_execz .LBB355_656
; %bb.653:                              ;   in Loop: Header=BB355_15 Depth=1
	v_dual_lshrrev_b32 v3, 3, v0 :: v_dual_bitop2_b32 v24, 7, v2 bitop3:0x40
	v_cmp_gt_u32_e64 s1, 8, v0
	s_delay_alu instid0(VALU_DEP_2)
	v_mov_b64_e32 v[0:1], v[24:25]
	s_and_saveexec_b32 s19, s1
; %bb.654:                              ;   in Loop: Header=BB355_15 Depth=1
	v_clz_i32_u32_e32 v0, v24
	s_delay_alu instid0(VALU_DEP_1) | instskip(NEXT) | instid1(VALU_DEP_1)
	v_min_u32_e32 v3, 32, v0
	v_subrev_nc_u32_e32 v0, 28, v3
	s_delay_alu instid0(VALU_DEP_1) | instskip(NEXT) | instid1(VALU_DEP_1)
	v_lshlrev_b64_e32 v[0:1], v0, v[24:25]
	v_dual_sub_nc_u32 v3, 29, v3 :: v_dual_bitop2_b32 v0, 7, v0 bitop3:0x40
; %bb.655:                              ;   in Loop: Header=BB355_15 Depth=1
	s_or_b32 exec_lo, exec_lo, s19
	s_delay_alu instid0(VALU_DEP_1) | instskip(NEXT) | instid1(VALU_DEP_2)
	v_dual_lshlrev_b32 v1, 24, v2 :: v_dual_lshlrev_b32 v0, 20, v0
	v_lshl_add_u32 v2, v3, 23, 0x3c000000
	s_delay_alu instid0(VALU_DEP_2) | instskip(NEXT) | instid1(VALU_DEP_1)
	v_and_b32_e32 v1, 0x80000000, v1
	v_or3_b32 v83, v0, v1, v2
.LBB355_656:                            ;   in Loop: Header=BB355_15 Depth=1
	s_or_b32 exec_lo, exec_lo, s18
.LBB355_657:                            ;   in Loop: Header=BB355_15 Depth=1
	s_delay_alu instid0(SALU_CYCLE_1)
	s_or_b32 exec_lo, exec_lo, s17
.LBB355_658:                            ;   in Loop: Header=BB355_15 Depth=1
	s_delay_alu instid0(SALU_CYCLE_1)
	s_or_b32 exec_lo, exec_lo, s16
	flat_load_b64 v[0:1], v[36:37] offset:2560
	v_dual_mov_b32 v31, 0 :: v_dual_mov_b32 v30, 0
	s_mov_b32 s16, exec_lo
	s_wait_loadcnt_dscnt 0x0
	v_and_b32_e32 v2, 0xff, v0
	s_wait_xcnt 0x0
	s_delay_alu instid0(VALU_DEP_1)
	v_cmpx_ne_u16_e32 0, v2
	s_cbranch_execz .LBB355_666
; %bb.659:                              ;   in Loop: Header=BB355_15 Depth=1
	v_bfrev_b32_e32 v30, 1
	s_mov_b32 s17, exec_lo
	v_cmpx_ne_u16_e32 0x80, v2
	s_cbranch_execz .LBB355_665
; %bb.660:                              ;   in Loop: Header=BB355_15 Depth=1
	v_and_b32_e32 v2, 0x7f, v0
	v_mov_b32_e32 v30, 0x7f800001
	s_mov_b32 s18, exec_lo
	s_delay_alu instid0(VALU_DEP_2)
	v_cmpx_ne_u32_e32 0x7f, v2
	s_cbranch_execz .LBB355_664
; %bb.661:                              ;   in Loop: Header=BB355_15 Depth=1
	v_lshrrev_b32_e32 v4, 3, v2
	v_cmp_gt_u32_e64 s1, 8, v2
	v_mov_b64_e32 v[2:3], v[0:1]
	s_and_saveexec_b32 s19, s1
; %bb.662:                              ;   in Loop: Header=BB355_15 Depth=1
	v_and_b32_e32 v2, 7, v0
	s_delay_alu instid0(VALU_DEP_1) | instskip(NEXT) | instid1(VALU_DEP_1)
	v_clz_i32_u32_e32 v2, v2
	v_min_u32_e32 v4, 32, v2
	s_delay_alu instid0(VALU_DEP_1) | instskip(SKIP_1) | instid1(VALU_DEP_2)
	v_subrev_nc_u32_e32 v2, 28, v4
	v_sub_nc_u32_e32 v4, 29, v4
	v_lshlrev_b64_e32 v[2:3], v2, v[0:1]
; %bb.663:                              ;   in Loop: Header=BB355_15 Depth=1
	s_or_b32 exec_lo, exec_lo, s19
	s_delay_alu instid0(VALU_DEP_1) | instskip(NEXT) | instid1(VALU_DEP_3)
	v_dual_lshlrev_b32 v2, 20, v2 :: v_dual_lshlrev_b32 v3, 24, v0
	v_lshl_add_u32 v4, v4, 23, 0x3c000000
	s_delay_alu instid0(VALU_DEP_2) | instskip(NEXT) | instid1(VALU_DEP_3)
	v_and_b32_e32 v2, 0x700000, v2
	v_and_b32_e32 v3, 0x80000000, v3
	s_delay_alu instid0(VALU_DEP_1)
	v_or3_b32 v30, v2, v3, v4
.LBB355_664:                            ;   in Loop: Header=BB355_15 Depth=1
	s_or_b32 exec_lo, exec_lo, s18
.LBB355_665:                            ;   in Loop: Header=BB355_15 Depth=1
	s_delay_alu instid0(SALU_CYCLE_1)
	s_or_b32 exec_lo, exec_lo, s17
.LBB355_666:                            ;   in Loop: Header=BB355_15 Depth=1
	s_delay_alu instid0(SALU_CYCLE_1) | instskip(SKIP_2) | instid1(VALU_DEP_1)
	s_or_b32 exec_lo, exec_lo, s16
	v_lshrrev_b16 v2, 8, v0
	s_mov_b32 s16, exec_lo
	v_cmpx_ne_u16_e32 0, v2
	s_cbranch_execz .LBB355_674
; %bb.667:                              ;   in Loop: Header=BB355_15 Depth=1
	v_bfrev_b32_e32 v31, 1
	s_mov_b32 s17, exec_lo
	v_cmpx_ne_u16_e32 0x80, v2
	s_cbranch_execz .LBB355_673
; %bb.668:                              ;   in Loop: Header=BB355_15 Depth=1
	v_and_b32_e32 v3, 0xffff, v2
	v_mov_b32_e32 v31, 0x7f800001
	s_mov_b32 s18, exec_lo
	s_delay_alu instid0(VALU_DEP_2) | instskip(NEXT) | instid1(VALU_DEP_1)
	v_and_b32_e32 v2, 0x7f, v3
	v_cmpx_ne_u32_e32 0x7f, v2
	s_cbranch_execz .LBB355_672
; %bb.669:                              ;   in Loop: Header=BB355_15 Depth=1
	v_dual_lshrrev_b32 v4, 3, v2 :: v_dual_bitop2_b32 v24, 7, v3 bitop3:0x40
	v_cmp_gt_u32_e64 s1, 8, v2
	s_delay_alu instid0(VALU_DEP_2)
	v_mov_b64_e32 v[2:3], v[24:25]
	s_and_saveexec_b32 s19, s1
; %bb.670:                              ;   in Loop: Header=BB355_15 Depth=1
	v_clz_i32_u32_e32 v2, v24
	s_delay_alu instid0(VALU_DEP_1) | instskip(NEXT) | instid1(VALU_DEP_1)
	v_min_u32_e32 v4, 32, v2
	v_subrev_nc_u32_e32 v2, 28, v4
	s_delay_alu instid0(VALU_DEP_1) | instskip(NEXT) | instid1(VALU_DEP_1)
	v_lshlrev_b64_e32 v[2:3], v2, v[24:25]
	v_dual_sub_nc_u32 v4, 29, v4 :: v_dual_bitop2_b32 v2, 7, v2 bitop3:0x40
; %bb.671:                              ;   in Loop: Header=BB355_15 Depth=1
	s_or_b32 exec_lo, exec_lo, s19
	s_delay_alu instid0(VALU_DEP_1) | instskip(NEXT) | instid1(VALU_DEP_2)
	v_dual_lshlrev_b32 v3, 16, v0 :: v_dual_lshlrev_b32 v2, 20, v2
	v_lshl_add_u32 v4, v4, 23, 0x3c000000
	s_delay_alu instid0(VALU_DEP_2) | instskip(NEXT) | instid1(VALU_DEP_1)
	v_and_b32_e32 v3, 0x80000000, v3
	v_or3_b32 v31, v2, v3, v4
.LBB355_672:                            ;   in Loop: Header=BB355_15 Depth=1
	s_or_b32 exec_lo, exec_lo, s18
.LBB355_673:                            ;   in Loop: Header=BB355_15 Depth=1
	s_delay_alu instid0(SALU_CYCLE_1)
	s_or_b32 exec_lo, exec_lo, s17
.LBB355_674:                            ;   in Loop: Header=BB355_15 Depth=1
	s_delay_alu instid0(SALU_CYCLE_1) | instskip(SKIP_3) | instid1(VALU_DEP_2)
	s_or_b32 exec_lo, exec_lo, s16
	v_dual_mov_b32 v85, 0 :: v_dual_lshrrev_b32 v4, 16, v0
	v_mov_b32_e32 v84, 0
	s_mov_b32 s16, exec_lo
	v_and_b32_e32 v2, 0xff, v4
	s_delay_alu instid0(VALU_DEP_1)
	v_cmpx_ne_u16_e32 0, v2
	s_cbranch_execz .LBB355_682
; %bb.675:                              ;   in Loop: Header=BB355_15 Depth=1
	v_bfrev_b32_e32 v84, 1
	s_mov_b32 s17, exec_lo
	v_cmpx_ne_u16_e32 0x80, v2
	s_cbranch_execz .LBB355_681
; %bb.676:                              ;   in Loop: Header=BB355_15 Depth=1
	v_bfe_u32 v2, v0, 16, 7
	v_mov_b32_e32 v84, 0x7f800001
	s_mov_b32 s18, exec_lo
	s_delay_alu instid0(VALU_DEP_2)
	v_cmpx_ne_u32_e32 0x7f, v2
	s_cbranch_execz .LBB355_680
; %bb.677:                              ;   in Loop: Header=BB355_15 Depth=1
	v_dual_lshrrev_b32 v5, 3, v2 :: v_dual_bitop2_b32 v24, 7, v4 bitop3:0x40
	v_cmp_gt_u32_e64 s1, 8, v2
	s_delay_alu instid0(VALU_DEP_2)
	v_mov_b64_e32 v[2:3], v[24:25]
	s_and_saveexec_b32 s19, s1
; %bb.678:                              ;   in Loop: Header=BB355_15 Depth=1
	v_clz_i32_u32_e32 v2, v24
	s_delay_alu instid0(VALU_DEP_1) | instskip(NEXT) | instid1(VALU_DEP_1)
	v_min_u32_e32 v5, 32, v2
	v_subrev_nc_u32_e32 v2, 28, v5
	s_delay_alu instid0(VALU_DEP_1) | instskip(NEXT) | instid1(VALU_DEP_1)
	v_lshlrev_b64_e32 v[2:3], v2, v[24:25]
	v_dual_sub_nc_u32 v5, 29, v5 :: v_dual_bitop2_b32 v2, 7, v2 bitop3:0x40
; %bb.679:                              ;   in Loop: Header=BB355_15 Depth=1
	s_or_b32 exec_lo, exec_lo, s19
	s_delay_alu instid0(VALU_DEP_1) | instskip(NEXT) | instid1(VALU_DEP_2)
	v_dual_lshlrev_b32 v3, 24, v4 :: v_dual_lshlrev_b32 v2, 20, v2
	v_lshl_add_u32 v4, v5, 23, 0x3c000000
	s_delay_alu instid0(VALU_DEP_2) | instskip(NEXT) | instid1(VALU_DEP_1)
	v_and_b32_e32 v3, 0x80000000, v3
	v_or3_b32 v84, v2, v3, v4
.LBB355_680:                            ;   in Loop: Header=BB355_15 Depth=1
	s_or_b32 exec_lo, exec_lo, s18
.LBB355_681:                            ;   in Loop: Header=BB355_15 Depth=1
	s_delay_alu instid0(SALU_CYCLE_1)
	s_or_b32 exec_lo, exec_lo, s17
.LBB355_682:                            ;   in Loop: Header=BB355_15 Depth=1
	s_delay_alu instid0(SALU_CYCLE_1) | instskip(NEXT) | instid1(SALU_CYCLE_1)
	s_or_b32 exec_lo, exec_lo, s16
	s_mov_b32 s16, exec_lo
	v_cmpx_lt_u32_e32 0xffffff, v0
	s_cbranch_execz .LBB355_690
; %bb.683:                              ;   in Loop: Header=BB355_15 Depth=1
	v_lshrrev_b32_e32 v4, 24, v0
	v_bfrev_b32_e32 v85, 1
	s_mov_b32 s17, exec_lo
	s_delay_alu instid0(VALU_DEP_2)
	v_cmpx_ne_u32_e32 0x80, v4
	s_cbranch_execz .LBB355_689
; %bb.684:                              ;   in Loop: Header=BB355_15 Depth=1
	v_bfe_u32 v2, v0, 24, 7
	v_mov_b32_e32 v85, 0x7f800001
	s_mov_b32 s18, exec_lo
	s_delay_alu instid0(VALU_DEP_2)
	v_cmpx_ne_u32_e32 0x7f, v2
	s_cbranch_execz .LBB355_688
; %bb.685:                              ;   in Loop: Header=BB355_15 Depth=1
	v_dual_lshrrev_b32 v5, 3, v2 :: v_dual_bitop2_b32 v24, 7, v4 bitop3:0x40
	v_cmp_gt_u32_e64 s1, 8, v2
	s_delay_alu instid0(VALU_DEP_2)
	v_mov_b64_e32 v[2:3], v[24:25]
	s_and_saveexec_b32 s19, s1
; %bb.686:                              ;   in Loop: Header=BB355_15 Depth=1
	v_clz_i32_u32_e32 v2, v24
	s_delay_alu instid0(VALU_DEP_1) | instskip(NEXT) | instid1(VALU_DEP_1)
	v_min_u32_e32 v5, 32, v2
	v_subrev_nc_u32_e32 v2, 28, v5
	s_delay_alu instid0(VALU_DEP_1) | instskip(NEXT) | instid1(VALU_DEP_1)
	v_lshlrev_b64_e32 v[2:3], v2, v[24:25]
	v_dual_sub_nc_u32 v5, 29, v5 :: v_dual_bitop2_b32 v2, 7, v2 bitop3:0x40
; %bb.687:                              ;   in Loop: Header=BB355_15 Depth=1
	s_or_b32 exec_lo, exec_lo, s19
	s_delay_alu instid0(VALU_DEP_1) | instskip(NEXT) | instid1(VALU_DEP_2)
	v_dual_lshlrev_b32 v3, 24, v4 :: v_dual_lshlrev_b32 v2, 20, v2
	v_lshl_add_u32 v4, v5, 23, 0x3c000000
	s_delay_alu instid0(VALU_DEP_2) | instskip(NEXT) | instid1(VALU_DEP_1)
	v_and_b32_e32 v3, 0x80000000, v3
	v_or3_b32 v85, v2, v3, v4
.LBB355_688:                            ;   in Loop: Header=BB355_15 Depth=1
	s_or_b32 exec_lo, exec_lo, s18
.LBB355_689:                            ;   in Loop: Header=BB355_15 Depth=1
	s_delay_alu instid0(SALU_CYCLE_1)
	s_or_b32 exec_lo, exec_lo, s17
.LBB355_690:                            ;   in Loop: Header=BB355_15 Depth=1
	s_delay_alu instid0(SALU_CYCLE_1) | instskip(SKIP_4) | instid1(VALU_DEP_3)
	s_or_b32 exec_lo, exec_lo, s16
	v_and_b32_e32 v2, 0xff, v1
	v_dual_mov_b32 v24, v1 :: v_dual_mov_b32 v87, 0
	v_mov_b32_e32 v86, 0
	s_mov_b32 s16, exec_lo
	v_cmpx_ne_u16_e32 0, v2
	s_cbranch_execz .LBB355_698
; %bb.691:                              ;   in Loop: Header=BB355_15 Depth=1
	v_bfrev_b32_e32 v86, 1
	s_mov_b32 s17, exec_lo
	v_cmpx_ne_u16_e32 0x80, v2
	s_cbranch_execz .LBB355_697
; %bb.692:                              ;   in Loop: Header=BB355_15 Depth=1
	v_and_b32_e32 v2, 0x7f, v1
	v_mov_b32_e32 v86, 0x7f800001
	s_mov_b32 s18, exec_lo
	s_delay_alu instid0(VALU_DEP_2)
	v_cmpx_ne_u32_e32 0x7f, v2
	s_cbranch_execz .LBB355_696
; %bb.693:                              ;   in Loop: Header=BB355_15 Depth=1
	v_lshrrev_b32_e32 v4, 3, v2
	v_cmp_gt_u32_e64 s1, 8, v2
	v_mov_b64_e32 v[2:3], v[24:25]
	s_and_saveexec_b32 s19, s1
; %bb.694:                              ;   in Loop: Header=BB355_15 Depth=1
	v_and_b32_e32 v2, 7, v1
	s_delay_alu instid0(VALU_DEP_1) | instskip(NEXT) | instid1(VALU_DEP_1)
	v_clz_i32_u32_e32 v2, v2
	v_min_u32_e32 v4, 32, v2
	s_delay_alu instid0(VALU_DEP_1) | instskip(SKIP_1) | instid1(VALU_DEP_2)
	v_subrev_nc_u32_e32 v2, 28, v4
	v_sub_nc_u32_e32 v4, 29, v4
	v_lshlrev_b64_e32 v[2:3], v2, v[24:25]
; %bb.695:                              ;   in Loop: Header=BB355_15 Depth=1
	s_or_b32 exec_lo, exec_lo, s19
	s_delay_alu instid0(VALU_DEP_1) | instskip(NEXT) | instid1(VALU_DEP_3)
	v_dual_lshlrev_b32 v2, 20, v2 :: v_dual_lshlrev_b32 v3, 24, v24
	v_lshl_add_u32 v4, v4, 23, 0x3c000000
	s_delay_alu instid0(VALU_DEP_2) | instskip(NEXT) | instid1(VALU_DEP_3)
	v_and_b32_e32 v2, 0x700000, v2
	v_and_b32_e32 v3, 0x80000000, v3
	s_delay_alu instid0(VALU_DEP_1)
	v_or3_b32 v86, v2, v3, v4
.LBB355_696:                            ;   in Loop: Header=BB355_15 Depth=1
	s_or_b32 exec_lo, exec_lo, s18
.LBB355_697:                            ;   in Loop: Header=BB355_15 Depth=1
	s_delay_alu instid0(SALU_CYCLE_1)
	s_or_b32 exec_lo, exec_lo, s17
.LBB355_698:                            ;   in Loop: Header=BB355_15 Depth=1
	s_delay_alu instid0(SALU_CYCLE_1) | instskip(SKIP_2) | instid1(VALU_DEP_1)
	s_or_b32 exec_lo, exec_lo, s16
	v_lshrrev_b16 v2, 8, v24
	s_mov_b32 s16, exec_lo
	v_cmpx_ne_u16_e32 0, v2
	s_cbranch_execz .LBB355_706
; %bb.699:                              ;   in Loop: Header=BB355_15 Depth=1
	v_bfrev_b32_e32 v87, 1
	s_mov_b32 s17, exec_lo
	v_cmpx_ne_u16_e32 0x80, v2
	s_cbranch_execz .LBB355_705
; %bb.700:                              ;   in Loop: Header=BB355_15 Depth=1
	v_and_b32_e32 v2, 0xffff, v2
	v_mov_b32_e32 v87, 0x7f800001
	s_mov_b32 s18, exec_lo
	s_delay_alu instid0(VALU_DEP_2) | instskip(NEXT) | instid1(VALU_DEP_1)
	v_and_b32_e32 v5, 0x7f, v2
	v_cmpx_ne_u32_e32 0x7f, v5
	s_cbranch_execz .LBB355_704
; %bb.701:                              ;   in Loop: Header=BB355_15 Depth=1
	v_dual_mov_b32 v3, v25 :: v_dual_bitop2_b32 v2, 7, v2 bitop3:0x40
	v_lshrrev_b32_e32 v4, 3, v5
	s_mov_b32 s19, exec_lo
	v_cmpx_gt_u32_e32 8, v5
; %bb.702:                              ;   in Loop: Header=BB355_15 Depth=1
	s_delay_alu instid0(VALU_DEP_3) | instskip(NEXT) | instid1(VALU_DEP_1)
	v_clz_i32_u32_e32 v4, v2
	v_min_u32_e32 v4, 32, v4
	s_delay_alu instid0(VALU_DEP_1) | instskip(NEXT) | instid1(VALU_DEP_1)
	v_subrev_nc_u32_e32 v5, 28, v4
	v_lshlrev_b64_e32 v[2:3], v5, v[2:3]
	s_delay_alu instid0(VALU_DEP_1)
	v_dual_sub_nc_u32 v4, 29, v4 :: v_dual_bitop2_b32 v2, 7, v2 bitop3:0x40
; %bb.703:                              ;   in Loop: Header=BB355_15 Depth=1
	s_or_b32 exec_lo, exec_lo, s19
	s_delay_alu instid0(VALU_DEP_1) | instskip(NEXT) | instid1(VALU_DEP_2)
	v_dual_lshlrev_b32 v3, 16, v24 :: v_dual_lshlrev_b32 v2, 20, v2
	v_lshl_add_u32 v4, v4, 23, 0x3c000000
	s_delay_alu instid0(VALU_DEP_2) | instskip(NEXT) | instid1(VALU_DEP_1)
	v_and_b32_e32 v3, 0x80000000, v3
	v_or3_b32 v87, v2, v3, v4
.LBB355_704:                            ;   in Loop: Header=BB355_15 Depth=1
	s_or_b32 exec_lo, exec_lo, s18
.LBB355_705:                            ;   in Loop: Header=BB355_15 Depth=1
	s_delay_alu instid0(SALU_CYCLE_1)
	s_or_b32 exec_lo, exec_lo, s17
.LBB355_706:                            ;   in Loop: Header=BB355_15 Depth=1
	s_delay_alu instid0(SALU_CYCLE_1) | instskip(SKIP_3) | instid1(VALU_DEP_2)
	s_or_b32 exec_lo, exec_lo, s16
	v_dual_mov_b32 v97, 0 :: v_dual_lshrrev_b32 v4, 16, v1
	v_mov_b32_e32 v96, 0
	s_mov_b32 s16, exec_lo
	v_and_b32_e32 v2, 0xff, v4
	s_delay_alu instid0(VALU_DEP_1)
	v_cmpx_ne_u16_e32 0, v2
	s_cbranch_execz .LBB355_714
; %bb.707:                              ;   in Loop: Header=BB355_15 Depth=1
	v_bfrev_b32_e32 v96, 1
	s_mov_b32 s17, exec_lo
	v_cmpx_ne_u16_e32 0x80, v2
	s_cbranch_execz .LBB355_713
; %bb.708:                              ;   in Loop: Header=BB355_15 Depth=1
	v_bfe_u32 v2, v1, 16, 7
	v_mov_b32_e32 v96, 0x7f800001
	s_mov_b32 s18, exec_lo
	s_delay_alu instid0(VALU_DEP_2)
	v_cmpx_ne_u32_e32 0x7f, v2
	s_cbranch_execz .LBB355_712
; %bb.709:                              ;   in Loop: Header=BB355_15 Depth=1
	v_dual_lshrrev_b32 v5, 3, v2 :: v_dual_bitop2_b32 v24, 7, v4 bitop3:0x40
	v_cmp_gt_u32_e64 s1, 8, v2
	s_delay_alu instid0(VALU_DEP_2)
	v_mov_b64_e32 v[2:3], v[24:25]
	s_and_saveexec_b32 s19, s1
; %bb.710:                              ;   in Loop: Header=BB355_15 Depth=1
	v_clz_i32_u32_e32 v2, v24
	s_delay_alu instid0(VALU_DEP_1) | instskip(NEXT) | instid1(VALU_DEP_1)
	v_min_u32_e32 v5, 32, v2
	v_subrev_nc_u32_e32 v2, 28, v5
	s_delay_alu instid0(VALU_DEP_1) | instskip(NEXT) | instid1(VALU_DEP_1)
	v_lshlrev_b64_e32 v[2:3], v2, v[24:25]
	v_dual_sub_nc_u32 v5, 29, v5 :: v_dual_bitop2_b32 v2, 7, v2 bitop3:0x40
; %bb.711:                              ;   in Loop: Header=BB355_15 Depth=1
	s_or_b32 exec_lo, exec_lo, s19
	s_delay_alu instid0(VALU_DEP_1) | instskip(NEXT) | instid1(VALU_DEP_2)
	v_dual_lshlrev_b32 v3, 24, v4 :: v_dual_lshlrev_b32 v2, 20, v2
	v_lshl_add_u32 v4, v5, 23, 0x3c000000
	s_delay_alu instid0(VALU_DEP_2) | instskip(NEXT) | instid1(VALU_DEP_1)
	v_and_b32_e32 v3, 0x80000000, v3
	v_or3_b32 v96, v2, v3, v4
.LBB355_712:                            ;   in Loop: Header=BB355_15 Depth=1
	s_or_b32 exec_lo, exec_lo, s18
.LBB355_713:                            ;   in Loop: Header=BB355_15 Depth=1
	s_delay_alu instid0(SALU_CYCLE_1)
	s_or_b32 exec_lo, exec_lo, s17
.LBB355_714:                            ;   in Loop: Header=BB355_15 Depth=1
	s_delay_alu instid0(SALU_CYCLE_1) | instskip(NEXT) | instid1(SALU_CYCLE_1)
	s_or_b32 exec_lo, exec_lo, s16
	s_mov_b32 s16, exec_lo
	v_cmpx_lt_u64_e64 s[8:9], v[0:1]
	s_cbranch_execz .LBB355_722
; %bb.715:                              ;   in Loop: Header=BB355_15 Depth=1
	v_lshrrev_b32_e32 v2, 24, v1
	v_bfrev_b32_e32 v97, 1
	s_mov_b32 s17, exec_lo
	s_delay_alu instid0(VALU_DEP_2)
	v_cmpx_ne_u32_e32 0x80, v2
	s_cbranch_execz .LBB355_721
; %bb.716:                              ;   in Loop: Header=BB355_15 Depth=1
	v_bfe_u32 v0, v1, 24, 7
	v_mov_b32_e32 v97, 0x7f800001
	s_mov_b32 s18, exec_lo
	s_delay_alu instid0(VALU_DEP_2)
	v_cmpx_ne_u32_e32 0x7f, v0
	s_cbranch_execz .LBB355_720
; %bb.717:                              ;   in Loop: Header=BB355_15 Depth=1
	v_dual_lshrrev_b32 v3, 3, v0 :: v_dual_bitop2_b32 v24, 7, v2 bitop3:0x40
	v_cmp_gt_u32_e64 s1, 8, v0
	s_delay_alu instid0(VALU_DEP_2)
	v_mov_b64_e32 v[0:1], v[24:25]
	s_and_saveexec_b32 s19, s1
; %bb.718:                              ;   in Loop: Header=BB355_15 Depth=1
	v_clz_i32_u32_e32 v0, v24
	s_delay_alu instid0(VALU_DEP_1) | instskip(NEXT) | instid1(VALU_DEP_1)
	v_min_u32_e32 v3, 32, v0
	v_subrev_nc_u32_e32 v0, 28, v3
	s_delay_alu instid0(VALU_DEP_1) | instskip(NEXT) | instid1(VALU_DEP_1)
	v_lshlrev_b64_e32 v[0:1], v0, v[24:25]
	v_dual_sub_nc_u32 v3, 29, v3 :: v_dual_bitop2_b32 v0, 7, v0 bitop3:0x40
; %bb.719:                              ;   in Loop: Header=BB355_15 Depth=1
	s_or_b32 exec_lo, exec_lo, s19
	s_delay_alu instid0(VALU_DEP_1) | instskip(NEXT) | instid1(VALU_DEP_2)
	v_dual_lshlrev_b32 v1, 24, v2 :: v_dual_lshlrev_b32 v0, 20, v0
	v_lshl_add_u32 v2, v3, 23, 0x3c000000
	s_delay_alu instid0(VALU_DEP_2) | instskip(NEXT) | instid1(VALU_DEP_1)
	v_and_b32_e32 v1, 0x80000000, v1
	v_or3_b32 v97, v0, v1, v2
.LBB355_720:                            ;   in Loop: Header=BB355_15 Depth=1
	s_or_b32 exec_lo, exec_lo, s18
.LBB355_721:                            ;   in Loop: Header=BB355_15 Depth=1
	s_delay_alu instid0(SALU_CYCLE_1)
	s_or_b32 exec_lo, exec_lo, s17
.LBB355_722:                            ;   in Loop: Header=BB355_15 Depth=1
	s_delay_alu instid0(SALU_CYCLE_1)
	s_or_b32 exec_lo, exec_lo, s16
	flat_load_b64 v[0:1], v[36:37] offset:2568
	v_dual_mov_b32 v99, 0 :: v_dual_mov_b32 v98, 0
	s_mov_b32 s16, exec_lo
	s_wait_loadcnt_dscnt 0x0
	v_and_b32_e32 v2, 0xff, v0
	s_wait_xcnt 0x0
	s_delay_alu instid0(VALU_DEP_1)
	v_cmpx_ne_u16_e32 0, v2
	s_cbranch_execz .LBB355_730
; %bb.723:                              ;   in Loop: Header=BB355_15 Depth=1
	v_bfrev_b32_e32 v98, 1
	s_mov_b32 s17, exec_lo
	v_cmpx_ne_u16_e32 0x80, v2
	s_cbranch_execz .LBB355_729
; %bb.724:                              ;   in Loop: Header=BB355_15 Depth=1
	v_and_b32_e32 v2, 0x7f, v0
	v_mov_b32_e32 v98, 0x7f800001
	s_mov_b32 s18, exec_lo
	s_delay_alu instid0(VALU_DEP_2)
	v_cmpx_ne_u32_e32 0x7f, v2
	s_cbranch_execz .LBB355_728
; %bb.725:                              ;   in Loop: Header=BB355_15 Depth=1
	v_lshrrev_b32_e32 v4, 3, v2
	v_cmp_gt_u32_e64 s1, 8, v2
	v_mov_b64_e32 v[2:3], v[0:1]
	s_and_saveexec_b32 s19, s1
; %bb.726:                              ;   in Loop: Header=BB355_15 Depth=1
	v_and_b32_e32 v2, 7, v0
	s_delay_alu instid0(VALU_DEP_1) | instskip(NEXT) | instid1(VALU_DEP_1)
	v_clz_i32_u32_e32 v2, v2
	v_min_u32_e32 v4, 32, v2
	s_delay_alu instid0(VALU_DEP_1) | instskip(SKIP_1) | instid1(VALU_DEP_2)
	v_subrev_nc_u32_e32 v2, 28, v4
	v_sub_nc_u32_e32 v4, 29, v4
	v_lshlrev_b64_e32 v[2:3], v2, v[0:1]
; %bb.727:                              ;   in Loop: Header=BB355_15 Depth=1
	s_or_b32 exec_lo, exec_lo, s19
	s_delay_alu instid0(VALU_DEP_1) | instskip(NEXT) | instid1(VALU_DEP_3)
	v_dual_lshlrev_b32 v2, 20, v2 :: v_dual_lshlrev_b32 v3, 24, v0
	v_lshl_add_u32 v4, v4, 23, 0x3c000000
	s_delay_alu instid0(VALU_DEP_2) | instskip(NEXT) | instid1(VALU_DEP_3)
	v_and_b32_e32 v2, 0x700000, v2
	v_and_b32_e32 v3, 0x80000000, v3
	s_delay_alu instid0(VALU_DEP_1)
	v_or3_b32 v98, v2, v3, v4
.LBB355_728:                            ;   in Loop: Header=BB355_15 Depth=1
	s_or_b32 exec_lo, exec_lo, s18
.LBB355_729:                            ;   in Loop: Header=BB355_15 Depth=1
	s_delay_alu instid0(SALU_CYCLE_1)
	s_or_b32 exec_lo, exec_lo, s17
.LBB355_730:                            ;   in Loop: Header=BB355_15 Depth=1
	s_delay_alu instid0(SALU_CYCLE_1) | instskip(SKIP_2) | instid1(VALU_DEP_1)
	s_or_b32 exec_lo, exec_lo, s16
	v_lshrrev_b16 v2, 8, v0
	s_mov_b32 s16, exec_lo
	v_cmpx_ne_u16_e32 0, v2
	s_cbranch_execz .LBB355_738
; %bb.731:                              ;   in Loop: Header=BB355_15 Depth=1
	v_bfrev_b32_e32 v99, 1
	s_mov_b32 s17, exec_lo
	v_cmpx_ne_u16_e32 0x80, v2
	s_cbranch_execz .LBB355_737
; %bb.732:                              ;   in Loop: Header=BB355_15 Depth=1
	v_and_b32_e32 v3, 0xffff, v2
	v_mov_b32_e32 v99, 0x7f800001
	s_mov_b32 s18, exec_lo
	s_delay_alu instid0(VALU_DEP_2) | instskip(NEXT) | instid1(VALU_DEP_1)
	v_and_b32_e32 v2, 0x7f, v3
	v_cmpx_ne_u32_e32 0x7f, v2
	s_cbranch_execz .LBB355_736
; %bb.733:                              ;   in Loop: Header=BB355_15 Depth=1
	v_dual_lshrrev_b32 v4, 3, v2 :: v_dual_bitop2_b32 v24, 7, v3 bitop3:0x40
	v_cmp_gt_u32_e64 s1, 8, v2
	s_delay_alu instid0(VALU_DEP_2)
	v_mov_b64_e32 v[2:3], v[24:25]
	s_and_saveexec_b32 s19, s1
; %bb.734:                              ;   in Loop: Header=BB355_15 Depth=1
	v_clz_i32_u32_e32 v2, v24
	s_delay_alu instid0(VALU_DEP_1) | instskip(NEXT) | instid1(VALU_DEP_1)
	v_min_u32_e32 v4, 32, v2
	v_subrev_nc_u32_e32 v2, 28, v4
	s_delay_alu instid0(VALU_DEP_1) | instskip(NEXT) | instid1(VALU_DEP_1)
	v_lshlrev_b64_e32 v[2:3], v2, v[24:25]
	v_dual_sub_nc_u32 v4, 29, v4 :: v_dual_bitop2_b32 v2, 7, v2 bitop3:0x40
; %bb.735:                              ;   in Loop: Header=BB355_15 Depth=1
	s_or_b32 exec_lo, exec_lo, s19
	s_delay_alu instid0(VALU_DEP_1) | instskip(NEXT) | instid1(VALU_DEP_2)
	v_dual_lshlrev_b32 v3, 16, v0 :: v_dual_lshlrev_b32 v2, 20, v2
	v_lshl_add_u32 v4, v4, 23, 0x3c000000
	s_delay_alu instid0(VALU_DEP_2) | instskip(NEXT) | instid1(VALU_DEP_1)
	v_and_b32_e32 v3, 0x80000000, v3
	v_or3_b32 v99, v2, v3, v4
.LBB355_736:                            ;   in Loop: Header=BB355_15 Depth=1
	s_or_b32 exec_lo, exec_lo, s18
.LBB355_737:                            ;   in Loop: Header=BB355_15 Depth=1
	s_delay_alu instid0(SALU_CYCLE_1)
	s_or_b32 exec_lo, exec_lo, s17
.LBB355_738:                            ;   in Loop: Header=BB355_15 Depth=1
	s_delay_alu instid0(SALU_CYCLE_1) | instskip(SKIP_3) | instid1(VALU_DEP_2)
	s_or_b32 exec_lo, exec_lo, s16
	v_dual_mov_b32 v101, 0 :: v_dual_lshrrev_b32 v4, 16, v0
	v_mov_b32_e32 v100, 0
	s_mov_b32 s16, exec_lo
	v_and_b32_e32 v2, 0xff, v4
	s_delay_alu instid0(VALU_DEP_1)
	v_cmpx_ne_u16_e32 0, v2
	s_cbranch_execz .LBB355_746
; %bb.739:                              ;   in Loop: Header=BB355_15 Depth=1
	v_bfrev_b32_e32 v100, 1
	s_mov_b32 s17, exec_lo
	v_cmpx_ne_u16_e32 0x80, v2
	s_cbranch_execz .LBB355_745
; %bb.740:                              ;   in Loop: Header=BB355_15 Depth=1
	v_bfe_u32 v2, v0, 16, 7
	v_mov_b32_e32 v100, 0x7f800001
	s_mov_b32 s18, exec_lo
	s_delay_alu instid0(VALU_DEP_2)
	v_cmpx_ne_u32_e32 0x7f, v2
	s_cbranch_execz .LBB355_744
; %bb.741:                              ;   in Loop: Header=BB355_15 Depth=1
	v_dual_lshrrev_b32 v5, 3, v2 :: v_dual_bitop2_b32 v24, 7, v4 bitop3:0x40
	v_cmp_gt_u32_e64 s1, 8, v2
	s_delay_alu instid0(VALU_DEP_2)
	v_mov_b64_e32 v[2:3], v[24:25]
	s_and_saveexec_b32 s19, s1
; %bb.742:                              ;   in Loop: Header=BB355_15 Depth=1
	v_clz_i32_u32_e32 v2, v24
	s_delay_alu instid0(VALU_DEP_1) | instskip(NEXT) | instid1(VALU_DEP_1)
	v_min_u32_e32 v5, 32, v2
	v_subrev_nc_u32_e32 v2, 28, v5
	s_delay_alu instid0(VALU_DEP_1) | instskip(NEXT) | instid1(VALU_DEP_1)
	v_lshlrev_b64_e32 v[2:3], v2, v[24:25]
	v_dual_sub_nc_u32 v5, 29, v5 :: v_dual_bitop2_b32 v2, 7, v2 bitop3:0x40
; %bb.743:                              ;   in Loop: Header=BB355_15 Depth=1
	s_or_b32 exec_lo, exec_lo, s19
	s_delay_alu instid0(VALU_DEP_1) | instskip(NEXT) | instid1(VALU_DEP_2)
	v_dual_lshlrev_b32 v3, 24, v4 :: v_dual_lshlrev_b32 v2, 20, v2
	v_lshl_add_u32 v4, v5, 23, 0x3c000000
	s_delay_alu instid0(VALU_DEP_2) | instskip(NEXT) | instid1(VALU_DEP_1)
	v_and_b32_e32 v3, 0x80000000, v3
	v_or3_b32 v100, v2, v3, v4
.LBB355_744:                            ;   in Loop: Header=BB355_15 Depth=1
	s_or_b32 exec_lo, exec_lo, s18
.LBB355_745:                            ;   in Loop: Header=BB355_15 Depth=1
	s_delay_alu instid0(SALU_CYCLE_1)
	s_or_b32 exec_lo, exec_lo, s17
.LBB355_746:                            ;   in Loop: Header=BB355_15 Depth=1
	s_delay_alu instid0(SALU_CYCLE_1) | instskip(NEXT) | instid1(SALU_CYCLE_1)
	s_or_b32 exec_lo, exec_lo, s16
	s_mov_b32 s16, exec_lo
	v_cmpx_lt_u32_e32 0xffffff, v0
	s_cbranch_execz .LBB355_754
; %bb.747:                              ;   in Loop: Header=BB355_15 Depth=1
	v_lshrrev_b32_e32 v4, 24, v0
	v_bfrev_b32_e32 v101, 1
	s_mov_b32 s17, exec_lo
	s_delay_alu instid0(VALU_DEP_2)
	v_cmpx_ne_u32_e32 0x80, v4
	s_cbranch_execz .LBB355_753
; %bb.748:                              ;   in Loop: Header=BB355_15 Depth=1
	v_bfe_u32 v2, v0, 24, 7
	v_mov_b32_e32 v101, 0x7f800001
	s_mov_b32 s18, exec_lo
	s_delay_alu instid0(VALU_DEP_2)
	v_cmpx_ne_u32_e32 0x7f, v2
	s_cbranch_execz .LBB355_752
; %bb.749:                              ;   in Loop: Header=BB355_15 Depth=1
	v_dual_lshrrev_b32 v5, 3, v2 :: v_dual_bitop2_b32 v24, 7, v4 bitop3:0x40
	v_cmp_gt_u32_e64 s1, 8, v2
	s_delay_alu instid0(VALU_DEP_2)
	v_mov_b64_e32 v[2:3], v[24:25]
	s_and_saveexec_b32 s19, s1
; %bb.750:                              ;   in Loop: Header=BB355_15 Depth=1
	v_clz_i32_u32_e32 v2, v24
	s_delay_alu instid0(VALU_DEP_1) | instskip(NEXT) | instid1(VALU_DEP_1)
	v_min_u32_e32 v5, 32, v2
	v_subrev_nc_u32_e32 v2, 28, v5
	s_delay_alu instid0(VALU_DEP_1) | instskip(NEXT) | instid1(VALU_DEP_1)
	v_lshlrev_b64_e32 v[2:3], v2, v[24:25]
	v_dual_sub_nc_u32 v5, 29, v5 :: v_dual_bitop2_b32 v2, 7, v2 bitop3:0x40
; %bb.751:                              ;   in Loop: Header=BB355_15 Depth=1
	s_or_b32 exec_lo, exec_lo, s19
	s_delay_alu instid0(VALU_DEP_1) | instskip(NEXT) | instid1(VALU_DEP_2)
	v_dual_lshlrev_b32 v3, 24, v4 :: v_dual_lshlrev_b32 v2, 20, v2
	v_lshl_add_u32 v4, v5, 23, 0x3c000000
	s_delay_alu instid0(VALU_DEP_2) | instskip(NEXT) | instid1(VALU_DEP_1)
	v_and_b32_e32 v3, 0x80000000, v3
	v_or3_b32 v101, v2, v3, v4
.LBB355_752:                            ;   in Loop: Header=BB355_15 Depth=1
	s_or_b32 exec_lo, exec_lo, s18
.LBB355_753:                            ;   in Loop: Header=BB355_15 Depth=1
	s_delay_alu instid0(SALU_CYCLE_1)
	s_or_b32 exec_lo, exec_lo, s17
.LBB355_754:                            ;   in Loop: Header=BB355_15 Depth=1
	s_delay_alu instid0(SALU_CYCLE_1) | instskip(SKIP_4) | instid1(VALU_DEP_3)
	s_or_b32 exec_lo, exec_lo, s16
	v_and_b32_e32 v2, 0xff, v1
	v_dual_mov_b32 v24, v1 :: v_dual_mov_b32 v33, 0
	v_mov_b32_e32 v32, 0
	s_mov_b32 s16, exec_lo
	v_cmpx_ne_u16_e32 0, v2
	s_cbranch_execz .LBB355_762
; %bb.755:                              ;   in Loop: Header=BB355_15 Depth=1
	v_bfrev_b32_e32 v32, 1
	s_mov_b32 s17, exec_lo
	v_cmpx_ne_u16_e32 0x80, v2
	s_cbranch_execz .LBB355_761
; %bb.756:                              ;   in Loop: Header=BB355_15 Depth=1
	v_and_b32_e32 v2, 0x7f, v1
	v_mov_b32_e32 v32, 0x7f800001
	s_mov_b32 s18, exec_lo
	s_delay_alu instid0(VALU_DEP_2)
	v_cmpx_ne_u32_e32 0x7f, v2
	s_cbranch_execz .LBB355_760
; %bb.757:                              ;   in Loop: Header=BB355_15 Depth=1
	v_lshrrev_b32_e32 v4, 3, v2
	v_cmp_gt_u32_e64 s1, 8, v2
	v_mov_b64_e32 v[2:3], v[24:25]
	s_and_saveexec_b32 s19, s1
; %bb.758:                              ;   in Loop: Header=BB355_15 Depth=1
	v_and_b32_e32 v2, 7, v1
	s_delay_alu instid0(VALU_DEP_1) | instskip(NEXT) | instid1(VALU_DEP_1)
	v_clz_i32_u32_e32 v2, v2
	v_min_u32_e32 v4, 32, v2
	s_delay_alu instid0(VALU_DEP_1) | instskip(SKIP_1) | instid1(VALU_DEP_2)
	v_subrev_nc_u32_e32 v2, 28, v4
	v_sub_nc_u32_e32 v4, 29, v4
	v_lshlrev_b64_e32 v[2:3], v2, v[24:25]
; %bb.759:                              ;   in Loop: Header=BB355_15 Depth=1
	s_or_b32 exec_lo, exec_lo, s19
	s_delay_alu instid0(VALU_DEP_1) | instskip(NEXT) | instid1(VALU_DEP_3)
	v_dual_lshlrev_b32 v2, 20, v2 :: v_dual_lshlrev_b32 v3, 24, v24
	v_lshl_add_u32 v4, v4, 23, 0x3c000000
	s_delay_alu instid0(VALU_DEP_2) | instskip(NEXT) | instid1(VALU_DEP_3)
	v_and_b32_e32 v2, 0x700000, v2
	v_and_b32_e32 v3, 0x80000000, v3
	s_delay_alu instid0(VALU_DEP_1)
	v_or3_b32 v32, v2, v3, v4
.LBB355_760:                            ;   in Loop: Header=BB355_15 Depth=1
	s_or_b32 exec_lo, exec_lo, s18
.LBB355_761:                            ;   in Loop: Header=BB355_15 Depth=1
	s_delay_alu instid0(SALU_CYCLE_1)
	s_or_b32 exec_lo, exec_lo, s17
.LBB355_762:                            ;   in Loop: Header=BB355_15 Depth=1
	s_delay_alu instid0(SALU_CYCLE_1) | instskip(SKIP_2) | instid1(VALU_DEP_1)
	s_or_b32 exec_lo, exec_lo, s16
	v_lshrrev_b16 v2, 8, v24
	s_mov_b32 s16, exec_lo
	v_cmpx_ne_u16_e32 0, v2
	s_cbranch_execz .LBB355_770
; %bb.763:                              ;   in Loop: Header=BB355_15 Depth=1
	v_bfrev_b32_e32 v33, 1
	s_mov_b32 s17, exec_lo
	v_cmpx_ne_u16_e32 0x80, v2
	s_cbranch_execz .LBB355_769
; %bb.764:                              ;   in Loop: Header=BB355_15 Depth=1
	v_and_b32_e32 v2, 0xffff, v2
	v_mov_b32_e32 v33, 0x7f800001
	s_mov_b32 s18, exec_lo
	s_delay_alu instid0(VALU_DEP_2) | instskip(NEXT) | instid1(VALU_DEP_1)
	v_and_b32_e32 v5, 0x7f, v2
	v_cmpx_ne_u32_e32 0x7f, v5
	s_cbranch_execz .LBB355_768
; %bb.765:                              ;   in Loop: Header=BB355_15 Depth=1
	v_dual_mov_b32 v3, v25 :: v_dual_bitop2_b32 v2, 7, v2 bitop3:0x40
	v_lshrrev_b32_e32 v4, 3, v5
	s_mov_b32 s19, exec_lo
	v_cmpx_gt_u32_e32 8, v5
; %bb.766:                              ;   in Loop: Header=BB355_15 Depth=1
	s_delay_alu instid0(VALU_DEP_3) | instskip(NEXT) | instid1(VALU_DEP_1)
	v_clz_i32_u32_e32 v4, v2
	v_min_u32_e32 v4, 32, v4
	s_delay_alu instid0(VALU_DEP_1) | instskip(NEXT) | instid1(VALU_DEP_1)
	v_subrev_nc_u32_e32 v5, 28, v4
	v_lshlrev_b64_e32 v[2:3], v5, v[2:3]
	s_delay_alu instid0(VALU_DEP_1)
	v_dual_sub_nc_u32 v4, 29, v4 :: v_dual_bitop2_b32 v2, 7, v2 bitop3:0x40
; %bb.767:                              ;   in Loop: Header=BB355_15 Depth=1
	s_or_b32 exec_lo, exec_lo, s19
	s_delay_alu instid0(VALU_DEP_1) | instskip(NEXT) | instid1(VALU_DEP_2)
	v_dual_lshlrev_b32 v3, 16, v24 :: v_dual_lshlrev_b32 v2, 20, v2
	v_lshl_add_u32 v4, v4, 23, 0x3c000000
	s_delay_alu instid0(VALU_DEP_2) | instskip(NEXT) | instid1(VALU_DEP_1)
	v_and_b32_e32 v3, 0x80000000, v3
	v_or3_b32 v33, v2, v3, v4
.LBB355_768:                            ;   in Loop: Header=BB355_15 Depth=1
	s_or_b32 exec_lo, exec_lo, s18
.LBB355_769:                            ;   in Loop: Header=BB355_15 Depth=1
	s_delay_alu instid0(SALU_CYCLE_1)
	s_or_b32 exec_lo, exec_lo, s17
.LBB355_770:                            ;   in Loop: Header=BB355_15 Depth=1
	s_delay_alu instid0(SALU_CYCLE_1) | instskip(SKIP_3) | instid1(VALU_DEP_2)
	s_or_b32 exec_lo, exec_lo, s16
	v_dual_mov_b32 v103, 0 :: v_dual_lshrrev_b32 v4, 16, v1
	v_mov_b32_e32 v102, 0
	s_mov_b32 s16, exec_lo
	v_and_b32_e32 v2, 0xff, v4
	s_delay_alu instid0(VALU_DEP_1)
	v_cmpx_ne_u16_e32 0, v2
	s_cbranch_execz .LBB355_778
; %bb.771:                              ;   in Loop: Header=BB355_15 Depth=1
	v_bfrev_b32_e32 v102, 1
	s_mov_b32 s17, exec_lo
	v_cmpx_ne_u16_e32 0x80, v2
	s_cbranch_execz .LBB355_777
; %bb.772:                              ;   in Loop: Header=BB355_15 Depth=1
	v_bfe_u32 v2, v1, 16, 7
	v_mov_b32_e32 v102, 0x7f800001
	s_mov_b32 s18, exec_lo
	s_delay_alu instid0(VALU_DEP_2)
	v_cmpx_ne_u32_e32 0x7f, v2
	s_cbranch_execz .LBB355_776
; %bb.773:                              ;   in Loop: Header=BB355_15 Depth=1
	v_dual_lshrrev_b32 v5, 3, v2 :: v_dual_bitop2_b32 v24, 7, v4 bitop3:0x40
	v_cmp_gt_u32_e64 s1, 8, v2
	s_delay_alu instid0(VALU_DEP_2)
	v_mov_b64_e32 v[2:3], v[24:25]
	s_and_saveexec_b32 s19, s1
; %bb.774:                              ;   in Loop: Header=BB355_15 Depth=1
	v_clz_i32_u32_e32 v2, v24
	s_delay_alu instid0(VALU_DEP_1) | instskip(NEXT) | instid1(VALU_DEP_1)
	v_min_u32_e32 v5, 32, v2
	v_subrev_nc_u32_e32 v2, 28, v5
	s_delay_alu instid0(VALU_DEP_1) | instskip(NEXT) | instid1(VALU_DEP_1)
	v_lshlrev_b64_e32 v[2:3], v2, v[24:25]
	v_dual_sub_nc_u32 v5, 29, v5 :: v_dual_bitop2_b32 v2, 7, v2 bitop3:0x40
; %bb.775:                              ;   in Loop: Header=BB355_15 Depth=1
	s_or_b32 exec_lo, exec_lo, s19
	s_delay_alu instid0(VALU_DEP_1) | instskip(NEXT) | instid1(VALU_DEP_2)
	v_dual_lshlrev_b32 v3, 24, v4 :: v_dual_lshlrev_b32 v2, 20, v2
	v_lshl_add_u32 v4, v5, 23, 0x3c000000
	s_delay_alu instid0(VALU_DEP_2) | instskip(NEXT) | instid1(VALU_DEP_1)
	v_and_b32_e32 v3, 0x80000000, v3
	v_or3_b32 v102, v2, v3, v4
.LBB355_776:                            ;   in Loop: Header=BB355_15 Depth=1
	s_or_b32 exec_lo, exec_lo, s18
.LBB355_777:                            ;   in Loop: Header=BB355_15 Depth=1
	s_delay_alu instid0(SALU_CYCLE_1)
	s_or_b32 exec_lo, exec_lo, s17
.LBB355_778:                            ;   in Loop: Header=BB355_15 Depth=1
	s_delay_alu instid0(SALU_CYCLE_1) | instskip(NEXT) | instid1(SALU_CYCLE_1)
	s_or_b32 exec_lo, exec_lo, s16
	s_mov_b32 s16, exec_lo
	v_cmpx_lt_u64_e64 s[8:9], v[0:1]
	s_cbranch_execz .LBB355_786
; %bb.779:                              ;   in Loop: Header=BB355_15 Depth=1
	v_lshrrev_b32_e32 v2, 24, v1
	v_bfrev_b32_e32 v103, 1
	s_mov_b32 s17, exec_lo
	s_delay_alu instid0(VALU_DEP_2)
	v_cmpx_ne_u32_e32 0x80, v2
	s_cbranch_execz .LBB355_785
; %bb.780:                              ;   in Loop: Header=BB355_15 Depth=1
	v_bfe_u32 v0, v1, 24, 7
	v_mov_b32_e32 v103, 0x7f800001
	s_mov_b32 s18, exec_lo
	s_delay_alu instid0(VALU_DEP_2)
	v_cmpx_ne_u32_e32 0x7f, v0
	s_cbranch_execz .LBB355_784
; %bb.781:                              ;   in Loop: Header=BB355_15 Depth=1
	v_dual_lshrrev_b32 v3, 3, v0 :: v_dual_bitop2_b32 v24, 7, v2 bitop3:0x40
	v_cmp_gt_u32_e64 s1, 8, v0
	s_delay_alu instid0(VALU_DEP_2)
	v_mov_b64_e32 v[0:1], v[24:25]
	s_and_saveexec_b32 s19, s1
; %bb.782:                              ;   in Loop: Header=BB355_15 Depth=1
	v_clz_i32_u32_e32 v0, v24
	s_delay_alu instid0(VALU_DEP_1) | instskip(NEXT) | instid1(VALU_DEP_1)
	v_min_u32_e32 v3, 32, v0
	v_subrev_nc_u32_e32 v0, 28, v3
	s_delay_alu instid0(VALU_DEP_1) | instskip(NEXT) | instid1(VALU_DEP_1)
	v_lshlrev_b64_e32 v[0:1], v0, v[24:25]
	v_dual_sub_nc_u32 v3, 29, v3 :: v_dual_bitop2_b32 v0, 7, v0 bitop3:0x40
; %bb.783:                              ;   in Loop: Header=BB355_15 Depth=1
	s_or_b32 exec_lo, exec_lo, s19
	s_delay_alu instid0(VALU_DEP_1) | instskip(NEXT) | instid1(VALU_DEP_2)
	v_dual_lshlrev_b32 v1, 24, v2 :: v_dual_lshlrev_b32 v0, 20, v0
	v_lshl_add_u32 v2, v3, 23, 0x3c000000
	s_delay_alu instid0(VALU_DEP_2) | instskip(NEXT) | instid1(VALU_DEP_1)
	v_and_b32_e32 v1, 0x80000000, v1
	v_or3_b32 v103, v0, v1, v2
.LBB355_784:                            ;   in Loop: Header=BB355_15 Depth=1
	s_or_b32 exec_lo, exec_lo, s18
.LBB355_785:                            ;   in Loop: Header=BB355_15 Depth=1
	s_delay_alu instid0(SALU_CYCLE_1)
	s_or_b32 exec_lo, exec_lo, s17
.LBB355_786:                            ;   in Loop: Header=BB355_15 Depth=1
	s_delay_alu instid0(SALU_CYCLE_1)
	s_or_b32 exec_lo, exec_lo, s16
	flat_load_b64 v[0:1], v[36:37] offset:3072
	v_dual_mov_b32 v35, 0 :: v_dual_mov_b32 v34, 0
	s_mov_b32 s16, exec_lo
	s_wait_loadcnt_dscnt 0x0
	v_and_b32_e32 v2, 0xff, v0
	s_wait_xcnt 0x0
	s_delay_alu instid0(VALU_DEP_1)
	v_cmpx_ne_u16_e32 0, v2
	s_cbranch_execz .LBB355_794
; %bb.787:                              ;   in Loop: Header=BB355_15 Depth=1
	v_bfrev_b32_e32 v34, 1
	s_mov_b32 s17, exec_lo
	v_cmpx_ne_u16_e32 0x80, v2
	s_cbranch_execz .LBB355_793
; %bb.788:                              ;   in Loop: Header=BB355_15 Depth=1
	v_and_b32_e32 v2, 0x7f, v0
	v_mov_b32_e32 v34, 0x7f800001
	s_mov_b32 s18, exec_lo
	s_delay_alu instid0(VALU_DEP_2)
	v_cmpx_ne_u32_e32 0x7f, v2
	s_cbranch_execz .LBB355_792
; %bb.789:                              ;   in Loop: Header=BB355_15 Depth=1
	v_lshrrev_b32_e32 v4, 3, v2
	v_cmp_gt_u32_e64 s1, 8, v2
	v_mov_b64_e32 v[2:3], v[0:1]
	s_and_saveexec_b32 s19, s1
; %bb.790:                              ;   in Loop: Header=BB355_15 Depth=1
	v_and_b32_e32 v2, 7, v0
	s_delay_alu instid0(VALU_DEP_1) | instskip(NEXT) | instid1(VALU_DEP_1)
	v_clz_i32_u32_e32 v2, v2
	v_min_u32_e32 v4, 32, v2
	s_delay_alu instid0(VALU_DEP_1) | instskip(SKIP_1) | instid1(VALU_DEP_2)
	v_subrev_nc_u32_e32 v2, 28, v4
	v_sub_nc_u32_e32 v4, 29, v4
	v_lshlrev_b64_e32 v[2:3], v2, v[0:1]
; %bb.791:                              ;   in Loop: Header=BB355_15 Depth=1
	s_or_b32 exec_lo, exec_lo, s19
	s_delay_alu instid0(VALU_DEP_1) | instskip(NEXT) | instid1(VALU_DEP_3)
	v_dual_lshlrev_b32 v2, 20, v2 :: v_dual_lshlrev_b32 v3, 24, v0
	v_lshl_add_u32 v4, v4, 23, 0x3c000000
	s_delay_alu instid0(VALU_DEP_2) | instskip(NEXT) | instid1(VALU_DEP_3)
	v_and_b32_e32 v2, 0x700000, v2
	v_and_b32_e32 v3, 0x80000000, v3
	s_delay_alu instid0(VALU_DEP_1)
	v_or3_b32 v34, v2, v3, v4
.LBB355_792:                            ;   in Loop: Header=BB355_15 Depth=1
	s_or_b32 exec_lo, exec_lo, s18
.LBB355_793:                            ;   in Loop: Header=BB355_15 Depth=1
	s_delay_alu instid0(SALU_CYCLE_1)
	s_or_b32 exec_lo, exec_lo, s17
.LBB355_794:                            ;   in Loop: Header=BB355_15 Depth=1
	s_delay_alu instid0(SALU_CYCLE_1) | instskip(SKIP_2) | instid1(VALU_DEP_1)
	s_or_b32 exec_lo, exec_lo, s16
	v_lshrrev_b16 v2, 8, v0
	s_mov_b32 s16, exec_lo
	v_cmpx_ne_u16_e32 0, v2
	s_cbranch_execz .LBB355_802
; %bb.795:                              ;   in Loop: Header=BB355_15 Depth=1
	v_bfrev_b32_e32 v35, 1
	s_mov_b32 s17, exec_lo
	v_cmpx_ne_u16_e32 0x80, v2
	s_cbranch_execz .LBB355_801
; %bb.796:                              ;   in Loop: Header=BB355_15 Depth=1
	v_and_b32_e32 v3, 0xffff, v2
	v_mov_b32_e32 v35, 0x7f800001
	s_mov_b32 s18, exec_lo
	s_delay_alu instid0(VALU_DEP_2) | instskip(NEXT) | instid1(VALU_DEP_1)
	v_and_b32_e32 v2, 0x7f, v3
	v_cmpx_ne_u32_e32 0x7f, v2
	s_cbranch_execz .LBB355_800
; %bb.797:                              ;   in Loop: Header=BB355_15 Depth=1
	v_dual_lshrrev_b32 v4, 3, v2 :: v_dual_bitop2_b32 v24, 7, v3 bitop3:0x40
	v_cmp_gt_u32_e64 s1, 8, v2
	s_delay_alu instid0(VALU_DEP_2)
	v_mov_b64_e32 v[2:3], v[24:25]
	s_and_saveexec_b32 s19, s1
; %bb.798:                              ;   in Loop: Header=BB355_15 Depth=1
	v_clz_i32_u32_e32 v2, v24
	s_delay_alu instid0(VALU_DEP_1) | instskip(NEXT) | instid1(VALU_DEP_1)
	v_min_u32_e32 v4, 32, v2
	v_subrev_nc_u32_e32 v2, 28, v4
	s_delay_alu instid0(VALU_DEP_1) | instskip(NEXT) | instid1(VALU_DEP_1)
	v_lshlrev_b64_e32 v[2:3], v2, v[24:25]
	v_dual_sub_nc_u32 v4, 29, v4 :: v_dual_bitop2_b32 v2, 7, v2 bitop3:0x40
; %bb.799:                              ;   in Loop: Header=BB355_15 Depth=1
	s_or_b32 exec_lo, exec_lo, s19
	s_delay_alu instid0(VALU_DEP_1) | instskip(NEXT) | instid1(VALU_DEP_2)
	v_dual_lshlrev_b32 v3, 16, v0 :: v_dual_lshlrev_b32 v2, 20, v2
	v_lshl_add_u32 v4, v4, 23, 0x3c000000
	s_delay_alu instid0(VALU_DEP_2) | instskip(NEXT) | instid1(VALU_DEP_1)
	v_and_b32_e32 v3, 0x80000000, v3
	v_or3_b32 v35, v2, v3, v4
.LBB355_800:                            ;   in Loop: Header=BB355_15 Depth=1
	s_or_b32 exec_lo, exec_lo, s18
.LBB355_801:                            ;   in Loop: Header=BB355_15 Depth=1
	s_delay_alu instid0(SALU_CYCLE_1)
	s_or_b32 exec_lo, exec_lo, s17
.LBB355_802:                            ;   in Loop: Header=BB355_15 Depth=1
	s_delay_alu instid0(SALU_CYCLE_1) | instskip(SKIP_3) | instid1(VALU_DEP_2)
	s_or_b32 exec_lo, exec_lo, s16
	v_dual_mov_b32 v113, 0 :: v_dual_lshrrev_b32 v4, 16, v0
	v_mov_b32_e32 v112, 0
	s_mov_b32 s16, exec_lo
	v_and_b32_e32 v2, 0xff, v4
	s_delay_alu instid0(VALU_DEP_1)
	v_cmpx_ne_u16_e32 0, v2
	s_cbranch_execz .LBB355_810
; %bb.803:                              ;   in Loop: Header=BB355_15 Depth=1
	v_bfrev_b32_e32 v112, 1
	s_mov_b32 s17, exec_lo
	v_cmpx_ne_u16_e32 0x80, v2
	s_cbranch_execz .LBB355_809
; %bb.804:                              ;   in Loop: Header=BB355_15 Depth=1
	v_bfe_u32 v2, v0, 16, 7
	v_mov_b32_e32 v112, 0x7f800001
	s_mov_b32 s18, exec_lo
	s_delay_alu instid0(VALU_DEP_2)
	v_cmpx_ne_u32_e32 0x7f, v2
	s_cbranch_execz .LBB355_808
; %bb.805:                              ;   in Loop: Header=BB355_15 Depth=1
	v_dual_lshrrev_b32 v5, 3, v2 :: v_dual_bitop2_b32 v24, 7, v4 bitop3:0x40
	v_cmp_gt_u32_e64 s1, 8, v2
	s_delay_alu instid0(VALU_DEP_2)
	v_mov_b64_e32 v[2:3], v[24:25]
	s_and_saveexec_b32 s19, s1
; %bb.806:                              ;   in Loop: Header=BB355_15 Depth=1
	v_clz_i32_u32_e32 v2, v24
	s_delay_alu instid0(VALU_DEP_1) | instskip(NEXT) | instid1(VALU_DEP_1)
	v_min_u32_e32 v5, 32, v2
	v_subrev_nc_u32_e32 v2, 28, v5
	s_delay_alu instid0(VALU_DEP_1) | instskip(NEXT) | instid1(VALU_DEP_1)
	v_lshlrev_b64_e32 v[2:3], v2, v[24:25]
	v_dual_sub_nc_u32 v5, 29, v5 :: v_dual_bitop2_b32 v2, 7, v2 bitop3:0x40
; %bb.807:                              ;   in Loop: Header=BB355_15 Depth=1
	s_or_b32 exec_lo, exec_lo, s19
	s_delay_alu instid0(VALU_DEP_1) | instskip(NEXT) | instid1(VALU_DEP_2)
	v_dual_lshlrev_b32 v3, 24, v4 :: v_dual_lshlrev_b32 v2, 20, v2
	v_lshl_add_u32 v4, v5, 23, 0x3c000000
	s_delay_alu instid0(VALU_DEP_2) | instskip(NEXT) | instid1(VALU_DEP_1)
	v_and_b32_e32 v3, 0x80000000, v3
	v_or3_b32 v112, v2, v3, v4
.LBB355_808:                            ;   in Loop: Header=BB355_15 Depth=1
	s_or_b32 exec_lo, exec_lo, s18
.LBB355_809:                            ;   in Loop: Header=BB355_15 Depth=1
	s_delay_alu instid0(SALU_CYCLE_1)
	s_or_b32 exec_lo, exec_lo, s17
.LBB355_810:                            ;   in Loop: Header=BB355_15 Depth=1
	s_delay_alu instid0(SALU_CYCLE_1) | instskip(NEXT) | instid1(SALU_CYCLE_1)
	s_or_b32 exec_lo, exec_lo, s16
	s_mov_b32 s16, exec_lo
	v_cmpx_lt_u32_e32 0xffffff, v0
	s_cbranch_execz .LBB355_818
; %bb.811:                              ;   in Loop: Header=BB355_15 Depth=1
	v_lshrrev_b32_e32 v4, 24, v0
	v_bfrev_b32_e32 v113, 1
	s_mov_b32 s17, exec_lo
	s_delay_alu instid0(VALU_DEP_2)
	v_cmpx_ne_u32_e32 0x80, v4
	s_cbranch_execz .LBB355_817
; %bb.812:                              ;   in Loop: Header=BB355_15 Depth=1
	v_bfe_u32 v2, v0, 24, 7
	v_mov_b32_e32 v113, 0x7f800001
	s_mov_b32 s18, exec_lo
	s_delay_alu instid0(VALU_DEP_2)
	v_cmpx_ne_u32_e32 0x7f, v2
	s_cbranch_execz .LBB355_816
; %bb.813:                              ;   in Loop: Header=BB355_15 Depth=1
	v_dual_lshrrev_b32 v5, 3, v2 :: v_dual_bitop2_b32 v24, 7, v4 bitop3:0x40
	v_cmp_gt_u32_e64 s1, 8, v2
	s_delay_alu instid0(VALU_DEP_2)
	v_mov_b64_e32 v[2:3], v[24:25]
	s_and_saveexec_b32 s19, s1
; %bb.814:                              ;   in Loop: Header=BB355_15 Depth=1
	v_clz_i32_u32_e32 v2, v24
	s_delay_alu instid0(VALU_DEP_1) | instskip(NEXT) | instid1(VALU_DEP_1)
	v_min_u32_e32 v5, 32, v2
	v_subrev_nc_u32_e32 v2, 28, v5
	s_delay_alu instid0(VALU_DEP_1) | instskip(NEXT) | instid1(VALU_DEP_1)
	v_lshlrev_b64_e32 v[2:3], v2, v[24:25]
	v_dual_sub_nc_u32 v5, 29, v5 :: v_dual_bitop2_b32 v2, 7, v2 bitop3:0x40
; %bb.815:                              ;   in Loop: Header=BB355_15 Depth=1
	s_or_b32 exec_lo, exec_lo, s19
	s_delay_alu instid0(VALU_DEP_1) | instskip(NEXT) | instid1(VALU_DEP_2)
	v_dual_lshlrev_b32 v3, 24, v4 :: v_dual_lshlrev_b32 v2, 20, v2
	v_lshl_add_u32 v4, v5, 23, 0x3c000000
	s_delay_alu instid0(VALU_DEP_2) | instskip(NEXT) | instid1(VALU_DEP_1)
	v_and_b32_e32 v3, 0x80000000, v3
	v_or3_b32 v113, v2, v3, v4
.LBB355_816:                            ;   in Loop: Header=BB355_15 Depth=1
	s_or_b32 exec_lo, exec_lo, s18
.LBB355_817:                            ;   in Loop: Header=BB355_15 Depth=1
	s_delay_alu instid0(SALU_CYCLE_1)
	s_or_b32 exec_lo, exec_lo, s17
.LBB355_818:                            ;   in Loop: Header=BB355_15 Depth=1
	s_delay_alu instid0(SALU_CYCLE_1) | instskip(SKIP_4) | instid1(VALU_DEP_3)
	s_or_b32 exec_lo, exec_lo, s16
	v_and_b32_e32 v2, 0xff, v1
	v_dual_mov_b32 v24, v1 :: v_dual_mov_b32 v115, 0
	v_mov_b32_e32 v114, 0
	s_mov_b32 s16, exec_lo
	v_cmpx_ne_u16_e32 0, v2
	s_cbranch_execz .LBB355_826
; %bb.819:                              ;   in Loop: Header=BB355_15 Depth=1
	v_bfrev_b32_e32 v114, 1
	s_mov_b32 s17, exec_lo
	v_cmpx_ne_u16_e32 0x80, v2
	s_cbranch_execz .LBB355_825
; %bb.820:                              ;   in Loop: Header=BB355_15 Depth=1
	v_and_b32_e32 v2, 0x7f, v1
	v_mov_b32_e32 v114, 0x7f800001
	s_mov_b32 s18, exec_lo
	s_delay_alu instid0(VALU_DEP_2)
	v_cmpx_ne_u32_e32 0x7f, v2
	s_cbranch_execz .LBB355_824
; %bb.821:                              ;   in Loop: Header=BB355_15 Depth=1
	v_lshrrev_b32_e32 v4, 3, v2
	v_cmp_gt_u32_e64 s1, 8, v2
	v_mov_b64_e32 v[2:3], v[24:25]
	s_and_saveexec_b32 s19, s1
; %bb.822:                              ;   in Loop: Header=BB355_15 Depth=1
	v_and_b32_e32 v2, 7, v1
	s_delay_alu instid0(VALU_DEP_1) | instskip(NEXT) | instid1(VALU_DEP_1)
	v_clz_i32_u32_e32 v2, v2
	v_min_u32_e32 v4, 32, v2
	s_delay_alu instid0(VALU_DEP_1) | instskip(SKIP_1) | instid1(VALU_DEP_2)
	v_subrev_nc_u32_e32 v2, 28, v4
	v_sub_nc_u32_e32 v4, 29, v4
	v_lshlrev_b64_e32 v[2:3], v2, v[24:25]
; %bb.823:                              ;   in Loop: Header=BB355_15 Depth=1
	s_or_b32 exec_lo, exec_lo, s19
	s_delay_alu instid0(VALU_DEP_1) | instskip(NEXT) | instid1(VALU_DEP_3)
	v_dual_lshlrev_b32 v2, 20, v2 :: v_dual_lshlrev_b32 v3, 24, v24
	v_lshl_add_u32 v4, v4, 23, 0x3c000000
	s_delay_alu instid0(VALU_DEP_2) | instskip(NEXT) | instid1(VALU_DEP_3)
	v_and_b32_e32 v2, 0x700000, v2
	v_and_b32_e32 v3, 0x80000000, v3
	s_delay_alu instid0(VALU_DEP_1)
	v_or3_b32 v114, v2, v3, v4
.LBB355_824:                            ;   in Loop: Header=BB355_15 Depth=1
	s_or_b32 exec_lo, exec_lo, s18
.LBB355_825:                            ;   in Loop: Header=BB355_15 Depth=1
	s_delay_alu instid0(SALU_CYCLE_1)
	s_or_b32 exec_lo, exec_lo, s17
.LBB355_826:                            ;   in Loop: Header=BB355_15 Depth=1
	s_delay_alu instid0(SALU_CYCLE_1) | instskip(SKIP_2) | instid1(VALU_DEP_1)
	s_or_b32 exec_lo, exec_lo, s16
	v_lshrrev_b16 v2, 8, v24
	s_mov_b32 s16, exec_lo
	v_cmpx_ne_u16_e32 0, v2
	s_cbranch_execz .LBB355_834
; %bb.827:                              ;   in Loop: Header=BB355_15 Depth=1
	v_bfrev_b32_e32 v115, 1
	s_mov_b32 s17, exec_lo
	v_cmpx_ne_u16_e32 0x80, v2
	s_cbranch_execz .LBB355_833
; %bb.828:                              ;   in Loop: Header=BB355_15 Depth=1
	v_and_b32_e32 v2, 0xffff, v2
	v_mov_b32_e32 v115, 0x7f800001
	s_mov_b32 s18, exec_lo
	s_delay_alu instid0(VALU_DEP_2) | instskip(NEXT) | instid1(VALU_DEP_1)
	v_and_b32_e32 v5, 0x7f, v2
	v_cmpx_ne_u32_e32 0x7f, v5
	s_cbranch_execz .LBB355_832
; %bb.829:                              ;   in Loop: Header=BB355_15 Depth=1
	v_dual_mov_b32 v3, v25 :: v_dual_bitop2_b32 v2, 7, v2 bitop3:0x40
	v_lshrrev_b32_e32 v4, 3, v5
	s_mov_b32 s19, exec_lo
	v_cmpx_gt_u32_e32 8, v5
; %bb.830:                              ;   in Loop: Header=BB355_15 Depth=1
	s_delay_alu instid0(VALU_DEP_3) | instskip(NEXT) | instid1(VALU_DEP_1)
	v_clz_i32_u32_e32 v4, v2
	v_min_u32_e32 v4, 32, v4
	s_delay_alu instid0(VALU_DEP_1) | instskip(NEXT) | instid1(VALU_DEP_1)
	v_subrev_nc_u32_e32 v5, 28, v4
	v_lshlrev_b64_e32 v[2:3], v5, v[2:3]
	s_delay_alu instid0(VALU_DEP_1)
	v_dual_sub_nc_u32 v4, 29, v4 :: v_dual_bitop2_b32 v2, 7, v2 bitop3:0x40
; %bb.831:                              ;   in Loop: Header=BB355_15 Depth=1
	s_or_b32 exec_lo, exec_lo, s19
	s_delay_alu instid0(VALU_DEP_1) | instskip(NEXT) | instid1(VALU_DEP_2)
	v_dual_lshlrev_b32 v3, 16, v24 :: v_dual_lshlrev_b32 v2, 20, v2
	v_lshl_add_u32 v4, v4, 23, 0x3c000000
	s_delay_alu instid0(VALU_DEP_2) | instskip(NEXT) | instid1(VALU_DEP_1)
	v_and_b32_e32 v3, 0x80000000, v3
	v_or3_b32 v115, v2, v3, v4
.LBB355_832:                            ;   in Loop: Header=BB355_15 Depth=1
	s_or_b32 exec_lo, exec_lo, s18
.LBB355_833:                            ;   in Loop: Header=BB355_15 Depth=1
	s_delay_alu instid0(SALU_CYCLE_1)
	s_or_b32 exec_lo, exec_lo, s17
.LBB355_834:                            ;   in Loop: Header=BB355_15 Depth=1
	s_delay_alu instid0(SALU_CYCLE_1) | instskip(SKIP_3) | instid1(VALU_DEP_2)
	s_or_b32 exec_lo, exec_lo, s16
	v_dual_mov_b32 v117, 0 :: v_dual_lshrrev_b32 v4, 16, v1
	v_mov_b32_e32 v116, 0
	s_mov_b32 s16, exec_lo
	v_and_b32_e32 v2, 0xff, v4
	s_delay_alu instid0(VALU_DEP_1)
	v_cmpx_ne_u16_e32 0, v2
	s_cbranch_execz .LBB355_842
; %bb.835:                              ;   in Loop: Header=BB355_15 Depth=1
	v_bfrev_b32_e32 v116, 1
	s_mov_b32 s17, exec_lo
	v_cmpx_ne_u16_e32 0x80, v2
	s_cbranch_execz .LBB355_841
; %bb.836:                              ;   in Loop: Header=BB355_15 Depth=1
	v_bfe_u32 v2, v1, 16, 7
	v_mov_b32_e32 v116, 0x7f800001
	s_mov_b32 s18, exec_lo
	s_delay_alu instid0(VALU_DEP_2)
	v_cmpx_ne_u32_e32 0x7f, v2
	s_cbranch_execz .LBB355_840
; %bb.837:                              ;   in Loop: Header=BB355_15 Depth=1
	v_dual_lshrrev_b32 v5, 3, v2 :: v_dual_bitop2_b32 v24, 7, v4 bitop3:0x40
	v_cmp_gt_u32_e64 s1, 8, v2
	s_delay_alu instid0(VALU_DEP_2)
	v_mov_b64_e32 v[2:3], v[24:25]
	s_and_saveexec_b32 s19, s1
; %bb.838:                              ;   in Loop: Header=BB355_15 Depth=1
	v_clz_i32_u32_e32 v2, v24
	s_delay_alu instid0(VALU_DEP_1) | instskip(NEXT) | instid1(VALU_DEP_1)
	v_min_u32_e32 v5, 32, v2
	v_subrev_nc_u32_e32 v2, 28, v5
	s_delay_alu instid0(VALU_DEP_1) | instskip(NEXT) | instid1(VALU_DEP_1)
	v_lshlrev_b64_e32 v[2:3], v2, v[24:25]
	v_dual_sub_nc_u32 v5, 29, v5 :: v_dual_bitop2_b32 v2, 7, v2 bitop3:0x40
; %bb.839:                              ;   in Loop: Header=BB355_15 Depth=1
	s_or_b32 exec_lo, exec_lo, s19
	s_delay_alu instid0(VALU_DEP_1) | instskip(NEXT) | instid1(VALU_DEP_2)
	v_dual_lshlrev_b32 v3, 24, v4 :: v_dual_lshlrev_b32 v2, 20, v2
	v_lshl_add_u32 v4, v5, 23, 0x3c000000
	s_delay_alu instid0(VALU_DEP_2) | instskip(NEXT) | instid1(VALU_DEP_1)
	v_and_b32_e32 v3, 0x80000000, v3
	v_or3_b32 v116, v2, v3, v4
.LBB355_840:                            ;   in Loop: Header=BB355_15 Depth=1
	s_or_b32 exec_lo, exec_lo, s18
.LBB355_841:                            ;   in Loop: Header=BB355_15 Depth=1
	s_delay_alu instid0(SALU_CYCLE_1)
	s_or_b32 exec_lo, exec_lo, s17
.LBB355_842:                            ;   in Loop: Header=BB355_15 Depth=1
	s_delay_alu instid0(SALU_CYCLE_1) | instskip(NEXT) | instid1(SALU_CYCLE_1)
	s_or_b32 exec_lo, exec_lo, s16
	s_mov_b32 s16, exec_lo
	v_cmpx_lt_u64_e64 s[8:9], v[0:1]
	s_cbranch_execz .LBB355_850
; %bb.843:                              ;   in Loop: Header=BB355_15 Depth=1
	v_lshrrev_b32_e32 v2, 24, v1
	v_bfrev_b32_e32 v117, 1
	s_mov_b32 s17, exec_lo
	s_delay_alu instid0(VALU_DEP_2)
	v_cmpx_ne_u32_e32 0x80, v2
	s_cbranch_execz .LBB355_849
; %bb.844:                              ;   in Loop: Header=BB355_15 Depth=1
	v_bfe_u32 v0, v1, 24, 7
	v_mov_b32_e32 v117, 0x7f800001
	s_mov_b32 s18, exec_lo
	s_delay_alu instid0(VALU_DEP_2)
	v_cmpx_ne_u32_e32 0x7f, v0
	s_cbranch_execz .LBB355_848
; %bb.845:                              ;   in Loop: Header=BB355_15 Depth=1
	v_dual_lshrrev_b32 v3, 3, v0 :: v_dual_bitop2_b32 v24, 7, v2 bitop3:0x40
	v_cmp_gt_u32_e64 s1, 8, v0
	s_delay_alu instid0(VALU_DEP_2)
	v_mov_b64_e32 v[0:1], v[24:25]
	s_and_saveexec_b32 s19, s1
; %bb.846:                              ;   in Loop: Header=BB355_15 Depth=1
	v_clz_i32_u32_e32 v0, v24
	s_delay_alu instid0(VALU_DEP_1) | instskip(NEXT) | instid1(VALU_DEP_1)
	v_min_u32_e32 v3, 32, v0
	v_subrev_nc_u32_e32 v0, 28, v3
	s_delay_alu instid0(VALU_DEP_1) | instskip(NEXT) | instid1(VALU_DEP_1)
	v_lshlrev_b64_e32 v[0:1], v0, v[24:25]
	v_dual_sub_nc_u32 v3, 29, v3 :: v_dual_bitop2_b32 v0, 7, v0 bitop3:0x40
; %bb.847:                              ;   in Loop: Header=BB355_15 Depth=1
	s_or_b32 exec_lo, exec_lo, s19
	s_delay_alu instid0(VALU_DEP_1) | instskip(NEXT) | instid1(VALU_DEP_2)
	v_dual_lshlrev_b32 v1, 24, v2 :: v_dual_lshlrev_b32 v0, 20, v0
	v_lshl_add_u32 v2, v3, 23, 0x3c000000
	s_delay_alu instid0(VALU_DEP_2) | instskip(NEXT) | instid1(VALU_DEP_1)
	v_and_b32_e32 v1, 0x80000000, v1
	v_or3_b32 v117, v0, v1, v2
.LBB355_848:                            ;   in Loop: Header=BB355_15 Depth=1
	s_or_b32 exec_lo, exec_lo, s18
.LBB355_849:                            ;   in Loop: Header=BB355_15 Depth=1
	s_delay_alu instid0(SALU_CYCLE_1)
	s_or_b32 exec_lo, exec_lo, s17
.LBB355_850:                            ;   in Loop: Header=BB355_15 Depth=1
	s_delay_alu instid0(SALU_CYCLE_1)
	s_or_b32 exec_lo, exec_lo, s16
	flat_load_b64 v[0:1], v[36:37] offset:3080
	v_mov_b32_e32 v3, 0
	s_mov_b32 s16, exec_lo
	scratch_store_b32 off, v3, s32 offset:476 ; 4-byte Folded Spill
	s_wait_xcnt 0x0
	v_mov_b32_e32 v3, 0
	scratch_store_b32 off, v3, s32 offset:472 ; 4-byte Folded Spill
	s_wait_loadcnt_dscnt 0x0
	v_and_b32_e32 v2, 0xff, v0
	s_wait_xcnt 0x0
	s_delay_alu instid0(VALU_DEP_1)
	v_cmpx_ne_u16_e32 0, v2
	s_cbranch_execz .LBB355_858
; %bb.851:                              ;   in Loop: Header=BB355_15 Depth=1
	v_cmp_ne_u16_e64 s1, 0x80, v2
	v_bfrev_b32_e32 v2, 1
	scratch_store_b32 off, v2, s32 offset:472 ; 4-byte Folded Spill
	s_wait_xcnt 0x0
	s_and_saveexec_b32 s17, s1
	s_cbranch_execz .LBB355_857
; %bb.852:                              ;   in Loop: Header=BB355_15 Depth=1
	v_and_b32_e32 v2, 0x7f, v0
	v_mov_b32_e32 v3, 0x7f800001
	s_mov_b32 s18, exec_lo
	scratch_store_b32 off, v3, s32 offset:472 ; 4-byte Folded Spill
	s_wait_xcnt 0x0
	v_cmpx_ne_u32_e32 0x7f, v2
	s_cbranch_execz .LBB355_856
; %bb.853:                              ;   in Loop: Header=BB355_15 Depth=1
	v_lshrrev_b32_e32 v4, 3, v2
	v_cmp_gt_u32_e64 s1, 8, v2
	v_mov_b64_e32 v[2:3], v[0:1]
	s_and_saveexec_b32 s19, s1
; %bb.854:                              ;   in Loop: Header=BB355_15 Depth=1
	v_and_b32_e32 v2, 7, v0
	s_delay_alu instid0(VALU_DEP_1) | instskip(NEXT) | instid1(VALU_DEP_1)
	v_clz_i32_u32_e32 v2, v2
	v_min_u32_e32 v4, 32, v2
	s_delay_alu instid0(VALU_DEP_1) | instskip(SKIP_1) | instid1(VALU_DEP_2)
	v_subrev_nc_u32_e32 v2, 28, v4
	v_sub_nc_u32_e32 v4, 29, v4
	v_lshlrev_b64_e32 v[2:3], v2, v[0:1]
; %bb.855:                              ;   in Loop: Header=BB355_15 Depth=1
	s_or_b32 exec_lo, exec_lo, s19
	s_delay_alu instid0(VALU_DEP_1) | instskip(NEXT) | instid1(VALU_DEP_3)
	v_dual_lshlrev_b32 v2, 20, v2 :: v_dual_lshlrev_b32 v3, 24, v0
	v_lshl_add_u32 v4, v4, 23, 0x3c000000
	s_delay_alu instid0(VALU_DEP_2) | instskip(NEXT) | instid1(VALU_DEP_3)
	v_and_b32_e32 v2, 0x700000, v2
	v_and_b32_e32 v3, 0x80000000, v3
	s_delay_alu instid0(VALU_DEP_1)
	v_or3_b32 v2, v2, v3, v4
	scratch_store_b32 off, v2, s32 offset:472 ; 4-byte Folded Spill
.LBB355_856:                            ;   in Loop: Header=BB355_15 Depth=1
	s_wait_xcnt 0x0
	s_or_b32 exec_lo, exec_lo, s18
.LBB355_857:                            ;   in Loop: Header=BB355_15 Depth=1
	s_delay_alu instid0(SALU_CYCLE_1)
	s_or_b32 exec_lo, exec_lo, s17
.LBB355_858:                            ;   in Loop: Header=BB355_15 Depth=1
	s_delay_alu instid0(SALU_CYCLE_1) | instskip(SKIP_2) | instid1(VALU_DEP_1)
	s_or_b32 exec_lo, exec_lo, s16
	v_lshrrev_b16 v2, 8, v0
	s_mov_b32 s16, exec_lo
	v_cmpx_ne_u16_e32 0, v2
	s_cbranch_execz .LBB355_866
; %bb.859:                              ;   in Loop: Header=BB355_15 Depth=1
	v_bfrev_b32_e32 v3, 1
	s_mov_b32 s17, exec_lo
	scratch_store_b32 off, v3, s32 offset:476 ; 4-byte Folded Spill
	s_wait_xcnt 0x0
	v_cmpx_ne_u16_e32 0x80, v2
	s_cbranch_execz .LBB355_865
; %bb.860:                              ;   in Loop: Header=BB355_15 Depth=1
	v_and_b32_e32 v3, 0xffff, v2
	v_mov_b32_e32 v4, 0x7f800001
	s_mov_b32 s18, exec_lo
	s_delay_alu instid0(VALU_DEP_2)
	v_and_b32_e32 v2, 0x7f, v3
	scratch_store_b32 off, v4, s32 offset:476 ; 4-byte Folded Spill
	s_wait_xcnt 0x0
	v_cmpx_ne_u32_e32 0x7f, v2
	s_cbranch_execz .LBB355_864
; %bb.861:                              ;   in Loop: Header=BB355_15 Depth=1
	v_dual_lshrrev_b32 v4, 3, v2 :: v_dual_bitop2_b32 v24, 7, v3 bitop3:0x40
	v_cmp_gt_u32_e64 s1, 8, v2
	s_delay_alu instid0(VALU_DEP_2)
	v_mov_b64_e32 v[2:3], v[24:25]
	s_and_saveexec_b32 s19, s1
; %bb.862:                              ;   in Loop: Header=BB355_15 Depth=1
	v_clz_i32_u32_e32 v2, v24
	s_delay_alu instid0(VALU_DEP_1) | instskip(NEXT) | instid1(VALU_DEP_1)
	v_min_u32_e32 v4, 32, v2
	v_subrev_nc_u32_e32 v2, 28, v4
	s_delay_alu instid0(VALU_DEP_1) | instskip(NEXT) | instid1(VALU_DEP_1)
	v_lshlrev_b64_e32 v[2:3], v2, v[24:25]
	v_dual_sub_nc_u32 v4, 29, v4 :: v_dual_bitop2_b32 v2, 7, v2 bitop3:0x40
; %bb.863:                              ;   in Loop: Header=BB355_15 Depth=1
	s_or_b32 exec_lo, exec_lo, s19
	s_delay_alu instid0(VALU_DEP_1) | instskip(NEXT) | instid1(VALU_DEP_2)
	v_dual_lshlrev_b32 v3, 16, v0 :: v_dual_lshlrev_b32 v2, 20, v2
	v_lshl_add_u32 v4, v4, 23, 0x3c000000
	s_delay_alu instid0(VALU_DEP_2) | instskip(NEXT) | instid1(VALU_DEP_1)
	v_and_b32_e32 v3, 0x80000000, v3
	v_or3_b32 v2, v2, v3, v4
	scratch_store_b32 off, v2, s32 offset:476 ; 4-byte Folded Spill
.LBB355_864:                            ;   in Loop: Header=BB355_15 Depth=1
	s_wait_xcnt 0x0
	s_or_b32 exec_lo, exec_lo, s18
.LBB355_865:                            ;   in Loop: Header=BB355_15 Depth=1
	s_delay_alu instid0(SALU_CYCLE_1)
	s_or_b32 exec_lo, exec_lo, s17
.LBB355_866:                            ;   in Loop: Header=BB355_15 Depth=1
	s_delay_alu instid0(SALU_CYCLE_1) | instskip(SKIP_2) | instid1(VALU_DEP_1)
	s_or_b32 exec_lo, exec_lo, s16
	v_dual_mov_b32 v3, 0 :: v_dual_lshrrev_b32 v4, 16, v0
	s_mov_b32 s16, exec_lo
	v_and_b32_e32 v2, 0xff, v4
	scratch_store_b32 off, v3, s32 offset:488 ; 4-byte Folded Spill
	s_wait_xcnt 0x0
	v_mov_b32_e32 v3, 0
	scratch_store_b32 off, v3, s32 offset:480 ; 4-byte Folded Spill
	s_wait_xcnt 0x0
	v_cmpx_ne_u16_e32 0, v2
	s_cbranch_execz .LBB355_874
; %bb.867:                              ;   in Loop: Header=BB355_15 Depth=1
	v_cmp_ne_u16_e64 s1, 0x80, v2
	v_bfrev_b32_e32 v2, 1
	scratch_store_b32 off, v2, s32 offset:480 ; 4-byte Folded Spill
	s_wait_xcnt 0x0
	s_and_saveexec_b32 s17, s1
	s_cbranch_execz .LBB355_873
; %bb.868:                              ;   in Loop: Header=BB355_15 Depth=1
	v_bfe_u32 v2, v0, 16, 7
	v_mov_b32_e32 v3, 0x7f800001
	s_mov_b32 s18, exec_lo
	scratch_store_b32 off, v3, s32 offset:480 ; 4-byte Folded Spill
	s_wait_xcnt 0x0
	v_cmpx_ne_u32_e32 0x7f, v2
	s_cbranch_execz .LBB355_872
; %bb.869:                              ;   in Loop: Header=BB355_15 Depth=1
	v_dual_lshrrev_b32 v5, 3, v2 :: v_dual_bitop2_b32 v24, 7, v4 bitop3:0x40
	v_cmp_gt_u32_e64 s1, 8, v2
	s_delay_alu instid0(VALU_DEP_2)
	v_mov_b64_e32 v[2:3], v[24:25]
	s_and_saveexec_b32 s19, s1
; %bb.870:                              ;   in Loop: Header=BB355_15 Depth=1
	v_clz_i32_u32_e32 v2, v24
	s_delay_alu instid0(VALU_DEP_1) | instskip(NEXT) | instid1(VALU_DEP_1)
	v_min_u32_e32 v5, 32, v2
	v_subrev_nc_u32_e32 v2, 28, v5
	s_delay_alu instid0(VALU_DEP_1) | instskip(NEXT) | instid1(VALU_DEP_1)
	v_lshlrev_b64_e32 v[2:3], v2, v[24:25]
	v_dual_sub_nc_u32 v5, 29, v5 :: v_dual_bitop2_b32 v2, 7, v2 bitop3:0x40
; %bb.871:                              ;   in Loop: Header=BB355_15 Depth=1
	s_or_b32 exec_lo, exec_lo, s19
	s_delay_alu instid0(VALU_DEP_1) | instskip(NEXT) | instid1(VALU_DEP_2)
	v_dual_lshlrev_b32 v3, 24, v4 :: v_dual_lshlrev_b32 v2, 20, v2
	v_lshl_add_u32 v4, v5, 23, 0x3c000000
	s_delay_alu instid0(VALU_DEP_2) | instskip(NEXT) | instid1(VALU_DEP_1)
	v_and_b32_e32 v3, 0x80000000, v3
	v_or3_b32 v2, v2, v3, v4
	scratch_store_b32 off, v2, s32 offset:480 ; 4-byte Folded Spill
.LBB355_872:                            ;   in Loop: Header=BB355_15 Depth=1
	s_wait_xcnt 0x0
	s_or_b32 exec_lo, exec_lo, s18
.LBB355_873:                            ;   in Loop: Header=BB355_15 Depth=1
	s_delay_alu instid0(SALU_CYCLE_1)
	s_or_b32 exec_lo, exec_lo, s17
.LBB355_874:                            ;   in Loop: Header=BB355_15 Depth=1
	s_delay_alu instid0(SALU_CYCLE_1) | instskip(NEXT) | instid1(SALU_CYCLE_1)
	s_or_b32 exec_lo, exec_lo, s16
	s_mov_b32 s16, exec_lo
	v_cmpx_lt_u32_e32 0xffffff, v0
	s_cbranch_execz .LBB355_882
; %bb.875:                              ;   in Loop: Header=BB355_15 Depth=1
	v_lshrrev_b32_e32 v4, 24, v0
	v_bfrev_b32_e32 v2, 1
	s_mov_b32 s17, exec_lo
	scratch_store_b32 off, v2, s32 offset:488 ; 4-byte Folded Spill
	s_wait_xcnt 0x0
	v_cmpx_ne_u32_e32 0x80, v4
	s_cbranch_execz .LBB355_881
; %bb.876:                              ;   in Loop: Header=BB355_15 Depth=1
	v_bfe_u32 v2, v0, 24, 7
	v_mov_b32_e32 v3, 0x7f800001
	s_mov_b32 s18, exec_lo
	scratch_store_b32 off, v3, s32 offset:488 ; 4-byte Folded Spill
	s_wait_xcnt 0x0
	v_cmpx_ne_u32_e32 0x7f, v2
	s_cbranch_execz .LBB355_880
; %bb.877:                              ;   in Loop: Header=BB355_15 Depth=1
	v_dual_lshrrev_b32 v5, 3, v2 :: v_dual_bitop2_b32 v24, 7, v4 bitop3:0x40
	v_cmp_gt_u32_e64 s1, 8, v2
	s_delay_alu instid0(VALU_DEP_2)
	v_mov_b64_e32 v[2:3], v[24:25]
	s_and_saveexec_b32 s19, s1
; %bb.878:                              ;   in Loop: Header=BB355_15 Depth=1
	v_clz_i32_u32_e32 v2, v24
	s_delay_alu instid0(VALU_DEP_1) | instskip(NEXT) | instid1(VALU_DEP_1)
	v_min_u32_e32 v5, 32, v2
	v_subrev_nc_u32_e32 v2, 28, v5
	s_delay_alu instid0(VALU_DEP_1) | instskip(NEXT) | instid1(VALU_DEP_1)
	v_lshlrev_b64_e32 v[2:3], v2, v[24:25]
	v_dual_sub_nc_u32 v5, 29, v5 :: v_dual_bitop2_b32 v2, 7, v2 bitop3:0x40
; %bb.879:                              ;   in Loop: Header=BB355_15 Depth=1
	s_or_b32 exec_lo, exec_lo, s19
	s_delay_alu instid0(VALU_DEP_1) | instskip(NEXT) | instid1(VALU_DEP_2)
	v_dual_lshlrev_b32 v3, 24, v4 :: v_dual_lshlrev_b32 v2, 20, v2
	v_lshl_add_u32 v4, v5, 23, 0x3c000000
	s_delay_alu instid0(VALU_DEP_2) | instskip(NEXT) | instid1(VALU_DEP_1)
	v_and_b32_e32 v3, 0x80000000, v3
	v_or3_b32 v2, v2, v3, v4
	scratch_store_b32 off, v2, s32 offset:488 ; 4-byte Folded Spill
.LBB355_880:                            ;   in Loop: Header=BB355_15 Depth=1
	s_wait_xcnt 0x0
	s_or_b32 exec_lo, exec_lo, s18
.LBB355_881:                            ;   in Loop: Header=BB355_15 Depth=1
	s_delay_alu instid0(SALU_CYCLE_1)
	s_or_b32 exec_lo, exec_lo, s17
.LBB355_882:                            ;   in Loop: Header=BB355_15 Depth=1
	s_delay_alu instid0(SALU_CYCLE_1)
	s_or_b32 exec_lo, exec_lo, s16
	v_dual_mov_b32 v24, v1 :: v_dual_mov_b32 v3, 0
	v_and_b32_e32 v2, 0xff, v1
	s_mov_b32 s16, exec_lo
	scratch_store_b32 off, v3, s32 offset:500 ; 4-byte Folded Spill
	s_wait_xcnt 0x0
	v_mov_b32_e32 v3, 0
	scratch_store_b32 off, v3, s32 offset:496 ; 4-byte Folded Spill
	s_wait_xcnt 0x0
	v_cmpx_ne_u16_e32 0, v2
	s_cbranch_execz .LBB355_890
; %bb.883:                              ;   in Loop: Header=BB355_15 Depth=1
	v_cmp_ne_u16_e64 s1, 0x80, v2
	v_bfrev_b32_e32 v2, 1
	scratch_store_b32 off, v2, s32 offset:496 ; 4-byte Folded Spill
	s_wait_xcnt 0x0
	s_and_saveexec_b32 s17, s1
	s_cbranch_execz .LBB355_889
; %bb.884:                              ;   in Loop: Header=BB355_15 Depth=1
	v_and_b32_e32 v2, 0x7f, v1
	v_mov_b32_e32 v3, 0x7f800001
	s_mov_b32 s18, exec_lo
	scratch_store_b32 off, v3, s32 offset:496 ; 4-byte Folded Spill
	s_wait_xcnt 0x0
	v_cmpx_ne_u32_e32 0x7f, v2
	s_cbranch_execz .LBB355_888
; %bb.885:                              ;   in Loop: Header=BB355_15 Depth=1
	v_lshrrev_b32_e32 v4, 3, v2
	v_cmp_gt_u32_e64 s1, 8, v2
	v_mov_b64_e32 v[2:3], v[24:25]
	s_and_saveexec_b32 s19, s1
; %bb.886:                              ;   in Loop: Header=BB355_15 Depth=1
	v_and_b32_e32 v2, 7, v1
	s_delay_alu instid0(VALU_DEP_1) | instskip(NEXT) | instid1(VALU_DEP_1)
	v_clz_i32_u32_e32 v2, v2
	v_min_u32_e32 v4, 32, v2
	s_delay_alu instid0(VALU_DEP_1) | instskip(SKIP_1) | instid1(VALU_DEP_2)
	v_subrev_nc_u32_e32 v2, 28, v4
	v_sub_nc_u32_e32 v4, 29, v4
	v_lshlrev_b64_e32 v[2:3], v2, v[24:25]
; %bb.887:                              ;   in Loop: Header=BB355_15 Depth=1
	s_or_b32 exec_lo, exec_lo, s19
	s_delay_alu instid0(VALU_DEP_1) | instskip(NEXT) | instid1(VALU_DEP_3)
	v_dual_lshlrev_b32 v2, 20, v2 :: v_dual_lshlrev_b32 v3, 24, v24
	v_lshl_add_u32 v4, v4, 23, 0x3c000000
	s_delay_alu instid0(VALU_DEP_2) | instskip(NEXT) | instid1(VALU_DEP_3)
	v_and_b32_e32 v2, 0x700000, v2
	v_and_b32_e32 v3, 0x80000000, v3
	s_delay_alu instid0(VALU_DEP_1)
	v_or3_b32 v2, v2, v3, v4
	scratch_store_b32 off, v2, s32 offset:496 ; 4-byte Folded Spill
.LBB355_888:                            ;   in Loop: Header=BB355_15 Depth=1
	s_wait_xcnt 0x0
	s_or_b32 exec_lo, exec_lo, s18
.LBB355_889:                            ;   in Loop: Header=BB355_15 Depth=1
	s_delay_alu instid0(SALU_CYCLE_1)
	s_or_b32 exec_lo, exec_lo, s17
.LBB355_890:                            ;   in Loop: Header=BB355_15 Depth=1
	s_delay_alu instid0(SALU_CYCLE_1) | instskip(SKIP_2) | instid1(VALU_DEP_1)
	s_or_b32 exec_lo, exec_lo, s16
	v_lshrrev_b16 v2, 8, v24
	s_mov_b32 s16, exec_lo
	v_cmpx_ne_u16_e32 0, v2
	s_cbranch_execz .LBB355_898
; %bb.891:                              ;   in Loop: Header=BB355_15 Depth=1
	v_bfrev_b32_e32 v3, 1
	s_mov_b32 s17, exec_lo
	scratch_store_b32 off, v3, s32 offset:500 ; 4-byte Folded Spill
	s_wait_xcnt 0x0
	v_cmpx_ne_u16_e32 0x80, v2
	s_cbranch_execz .LBB355_897
; %bb.892:                              ;   in Loop: Header=BB355_15 Depth=1
	v_and_b32_e32 v2, 0xffff, v2
	v_mov_b32_e32 v3, 0x7f800001
	s_mov_b32 s18, exec_lo
	s_delay_alu instid0(VALU_DEP_2)
	v_and_b32_e32 v5, 0x7f, v2
	scratch_store_b32 off, v3, s32 offset:500 ; 4-byte Folded Spill
	s_wait_xcnt 0x0
	v_cmpx_ne_u32_e32 0x7f, v5
	s_cbranch_execz .LBB355_896
; %bb.893:                              ;   in Loop: Header=BB355_15 Depth=1
	v_dual_mov_b32 v3, v25 :: v_dual_bitop2_b32 v2, 7, v2 bitop3:0x40
	v_lshrrev_b32_e32 v4, 3, v5
	s_mov_b32 s19, exec_lo
	v_cmpx_gt_u32_e32 8, v5
; %bb.894:                              ;   in Loop: Header=BB355_15 Depth=1
	s_delay_alu instid0(VALU_DEP_3) | instskip(NEXT) | instid1(VALU_DEP_1)
	v_clz_i32_u32_e32 v4, v2
	v_min_u32_e32 v4, 32, v4
	s_delay_alu instid0(VALU_DEP_1) | instskip(NEXT) | instid1(VALU_DEP_1)
	v_subrev_nc_u32_e32 v5, 28, v4
	v_lshlrev_b64_e32 v[2:3], v5, v[2:3]
	s_delay_alu instid0(VALU_DEP_1)
	v_dual_sub_nc_u32 v4, 29, v4 :: v_dual_bitop2_b32 v2, 7, v2 bitop3:0x40
; %bb.895:                              ;   in Loop: Header=BB355_15 Depth=1
	s_or_b32 exec_lo, exec_lo, s19
	s_delay_alu instid0(VALU_DEP_1) | instskip(NEXT) | instid1(VALU_DEP_2)
	v_dual_lshlrev_b32 v3, 16, v24 :: v_dual_lshlrev_b32 v2, 20, v2
	v_lshl_add_u32 v4, v4, 23, 0x3c000000
	s_delay_alu instid0(VALU_DEP_2) | instskip(NEXT) | instid1(VALU_DEP_1)
	v_and_b32_e32 v3, 0x80000000, v3
	v_or3_b32 v2, v2, v3, v4
	scratch_store_b32 off, v2, s32 offset:500 ; 4-byte Folded Spill
.LBB355_896:                            ;   in Loop: Header=BB355_15 Depth=1
	s_wait_xcnt 0x0
	s_or_b32 exec_lo, exec_lo, s18
.LBB355_897:                            ;   in Loop: Header=BB355_15 Depth=1
	s_delay_alu instid0(SALU_CYCLE_1)
	s_or_b32 exec_lo, exec_lo, s17
.LBB355_898:                            ;   in Loop: Header=BB355_15 Depth=1
	s_delay_alu instid0(SALU_CYCLE_1) | instskip(SKIP_2) | instid1(VALU_DEP_1)
	s_or_b32 exec_lo, exec_lo, s16
	v_dual_mov_b32 v3, 0 :: v_dual_lshrrev_b32 v4, 16, v1
	s_mov_b32 s16, exec_lo
	v_and_b32_e32 v2, 0xff, v4
	scratch_store_b32 off, v3, s32 offset:532 ; 4-byte Folded Spill
	s_wait_xcnt 0x0
	v_mov_b32_e32 v3, 0
	scratch_store_b32 off, v3, s32 offset:504 ; 4-byte Folded Spill
	s_wait_xcnt 0x0
	v_cmpx_ne_u16_e32 0, v2
	s_cbranch_execz .LBB355_906
; %bb.899:                              ;   in Loop: Header=BB355_15 Depth=1
	v_cmp_ne_u16_e64 s1, 0x80, v2
	v_bfrev_b32_e32 v2, 1
	scratch_store_b32 off, v2, s32 offset:504 ; 4-byte Folded Spill
	s_wait_xcnt 0x0
	s_and_saveexec_b32 s17, s1
	s_cbranch_execz .LBB355_905
; %bb.900:                              ;   in Loop: Header=BB355_15 Depth=1
	v_bfe_u32 v2, v1, 16, 7
	v_mov_b32_e32 v3, 0x7f800001
	s_mov_b32 s18, exec_lo
	scratch_store_b32 off, v3, s32 offset:504 ; 4-byte Folded Spill
	s_wait_xcnt 0x0
	v_cmpx_ne_u32_e32 0x7f, v2
	s_cbranch_execz .LBB355_904
; %bb.901:                              ;   in Loop: Header=BB355_15 Depth=1
	v_dual_lshrrev_b32 v5, 3, v2 :: v_dual_bitop2_b32 v24, 7, v4 bitop3:0x40
	v_cmp_gt_u32_e64 s1, 8, v2
	s_delay_alu instid0(VALU_DEP_2)
	v_mov_b64_e32 v[2:3], v[24:25]
	s_and_saveexec_b32 s19, s1
; %bb.902:                              ;   in Loop: Header=BB355_15 Depth=1
	v_clz_i32_u32_e32 v2, v24
	s_delay_alu instid0(VALU_DEP_1) | instskip(NEXT) | instid1(VALU_DEP_1)
	v_min_u32_e32 v5, 32, v2
	v_subrev_nc_u32_e32 v2, 28, v5
	s_delay_alu instid0(VALU_DEP_1) | instskip(NEXT) | instid1(VALU_DEP_1)
	v_lshlrev_b64_e32 v[2:3], v2, v[24:25]
	v_dual_sub_nc_u32 v5, 29, v5 :: v_dual_bitop2_b32 v2, 7, v2 bitop3:0x40
; %bb.903:                              ;   in Loop: Header=BB355_15 Depth=1
	s_or_b32 exec_lo, exec_lo, s19
	s_delay_alu instid0(VALU_DEP_1) | instskip(NEXT) | instid1(VALU_DEP_2)
	v_dual_lshlrev_b32 v3, 24, v4 :: v_dual_lshlrev_b32 v2, 20, v2
	v_lshl_add_u32 v4, v5, 23, 0x3c000000
	s_delay_alu instid0(VALU_DEP_2) | instskip(NEXT) | instid1(VALU_DEP_1)
	v_and_b32_e32 v3, 0x80000000, v3
	v_or3_b32 v2, v2, v3, v4
	scratch_store_b32 off, v2, s32 offset:504 ; 4-byte Folded Spill
.LBB355_904:                            ;   in Loop: Header=BB355_15 Depth=1
	s_wait_xcnt 0x0
	s_or_b32 exec_lo, exec_lo, s18
.LBB355_905:                            ;   in Loop: Header=BB355_15 Depth=1
	s_delay_alu instid0(SALU_CYCLE_1)
	s_or_b32 exec_lo, exec_lo, s17
.LBB355_906:                            ;   in Loop: Header=BB355_15 Depth=1
	s_delay_alu instid0(SALU_CYCLE_1) | instskip(NEXT) | instid1(SALU_CYCLE_1)
	s_or_b32 exec_lo, exec_lo, s16
	s_mov_b32 s16, exec_lo
	v_cmpx_lt_u64_e64 s[8:9], v[0:1]
	s_cbranch_execz .LBB355_914
; %bb.907:                              ;   in Loop: Header=BB355_15 Depth=1
	v_lshrrev_b32_e32 v2, 24, v1
	v_bfrev_b32_e32 v0, 1
	s_mov_b32 s17, exec_lo
	scratch_store_b32 off, v0, s32 offset:532 ; 4-byte Folded Spill
	s_wait_xcnt 0x0
	v_cmpx_ne_u32_e32 0x80, v2
	s_cbranch_execz .LBB355_913
; %bb.908:                              ;   in Loop: Header=BB355_15 Depth=1
	v_bfe_u32 v0, v1, 24, 7
	v_mov_b32_e32 v1, 0x7f800001
	s_mov_b32 s18, exec_lo
	s_delay_alu instid0(VALU_DEP_2)
	v_cmpx_ne_u32_e32 0x7f, v0
	s_cbranch_execz .LBB355_912
; %bb.909:                              ;   in Loop: Header=BB355_15 Depth=1
	v_dual_lshrrev_b32 v3, 3, v0 :: v_dual_bitop2_b32 v24, 7, v2 bitop3:0x40
	v_cmp_gt_u32_e64 s1, 8, v0
	s_delay_alu instid0(VALU_DEP_2)
	v_mov_b64_e32 v[0:1], v[24:25]
	s_and_saveexec_b32 s19, s1
; %bb.910:                              ;   in Loop: Header=BB355_15 Depth=1
	v_clz_i32_u32_e32 v0, v24
	s_delay_alu instid0(VALU_DEP_1) | instskip(NEXT) | instid1(VALU_DEP_1)
	v_min_u32_e32 v3, 32, v0
	v_subrev_nc_u32_e32 v0, 28, v3
	s_delay_alu instid0(VALU_DEP_1) | instskip(NEXT) | instid1(VALU_DEP_1)
	v_lshlrev_b64_e32 v[0:1], v0, v[24:25]
	v_dual_sub_nc_u32 v3, 29, v3 :: v_dual_bitop2_b32 v0, 7, v0 bitop3:0x40
; %bb.911:                              ;   in Loop: Header=BB355_15 Depth=1
	s_or_b32 exec_lo, exec_lo, s19
	s_delay_alu instid0(VALU_DEP_1) | instskip(NEXT) | instid1(VALU_DEP_2)
	v_dual_lshlrev_b32 v1, 24, v2 :: v_dual_lshlrev_b32 v0, 20, v0
	v_lshl_add_u32 v2, v3, 23, 0x3c000000
	s_delay_alu instid0(VALU_DEP_2) | instskip(NEXT) | instid1(VALU_DEP_1)
	v_and_b32_e32 v1, 0x80000000, v1
	v_or3_b32 v1, v0, v1, v2
.LBB355_912:                            ;   in Loop: Header=BB355_15 Depth=1
	s_or_b32 exec_lo, exec_lo, s18
	scratch_store_b32 off, v1, s32 offset:532 ; 4-byte Folded Spill
.LBB355_913:                            ;   in Loop: Header=BB355_15 Depth=1
	s_wait_xcnt 0x0
	s_or_b32 exec_lo, exec_lo, s17
.LBB355_914:                            ;   in Loop: Header=BB355_15 Depth=1
	s_delay_alu instid0(SALU_CYCLE_1)
	s_or_b32 exec_lo, exec_lo, s16
	flat_load_b64 v[0:1], v[36:37] offset:3584
	v_mov_b32_e32 v3, 0
	s_mov_b32 s16, exec_lo
	scratch_store_b32 off, v3, s32 offset:512 ; 4-byte Folded Spill
	s_wait_xcnt 0x0
	v_mov_b32_e32 v3, 0
	scratch_store_b32 off, v3, s32 offset:508 ; 4-byte Folded Spill
	s_wait_loadcnt_dscnt 0x0
	v_and_b32_e32 v2, 0xff, v0
	s_wait_xcnt 0x0
	s_delay_alu instid0(VALU_DEP_1)
	v_cmpx_ne_u16_e32 0, v2
	s_cbranch_execz .LBB355_922
; %bb.915:                              ;   in Loop: Header=BB355_15 Depth=1
	v_cmp_ne_u16_e64 s1, 0x80, v2
	v_bfrev_b32_e32 v2, 1
	scratch_store_b32 off, v2, s32 offset:508 ; 4-byte Folded Spill
	s_wait_xcnt 0x0
	s_and_saveexec_b32 s17, s1
	s_cbranch_execz .LBB355_921
; %bb.916:                              ;   in Loop: Header=BB355_15 Depth=1
	v_and_b32_e32 v2, 0x7f, v0
	v_mov_b32_e32 v3, 0x7f800001
	s_mov_b32 s18, exec_lo
	scratch_store_b32 off, v3, s32 offset:508 ; 4-byte Folded Spill
	s_wait_xcnt 0x0
	v_cmpx_ne_u32_e32 0x7f, v2
	s_cbranch_execz .LBB355_920
; %bb.917:                              ;   in Loop: Header=BB355_15 Depth=1
	v_lshrrev_b32_e32 v4, 3, v2
	v_cmp_gt_u32_e64 s1, 8, v2
	v_mov_b64_e32 v[2:3], v[0:1]
	s_and_saveexec_b32 s19, s1
; %bb.918:                              ;   in Loop: Header=BB355_15 Depth=1
	v_and_b32_e32 v2, 7, v0
	s_delay_alu instid0(VALU_DEP_1) | instskip(NEXT) | instid1(VALU_DEP_1)
	v_clz_i32_u32_e32 v2, v2
	v_min_u32_e32 v4, 32, v2
	s_delay_alu instid0(VALU_DEP_1) | instskip(SKIP_1) | instid1(VALU_DEP_2)
	v_subrev_nc_u32_e32 v2, 28, v4
	v_sub_nc_u32_e32 v4, 29, v4
	v_lshlrev_b64_e32 v[2:3], v2, v[0:1]
; %bb.919:                              ;   in Loop: Header=BB355_15 Depth=1
	s_or_b32 exec_lo, exec_lo, s19
	s_delay_alu instid0(VALU_DEP_1) | instskip(NEXT) | instid1(VALU_DEP_3)
	v_dual_lshlrev_b32 v2, 20, v2 :: v_dual_lshlrev_b32 v3, 24, v0
	v_lshl_add_u32 v4, v4, 23, 0x3c000000
	s_delay_alu instid0(VALU_DEP_2) | instskip(NEXT) | instid1(VALU_DEP_3)
	v_and_b32_e32 v2, 0x700000, v2
	v_and_b32_e32 v3, 0x80000000, v3
	s_delay_alu instid0(VALU_DEP_1)
	v_or3_b32 v2, v2, v3, v4
	scratch_store_b32 off, v2, s32 offset:508 ; 4-byte Folded Spill
.LBB355_920:                            ;   in Loop: Header=BB355_15 Depth=1
	s_wait_xcnt 0x0
	s_or_b32 exec_lo, exec_lo, s18
.LBB355_921:                            ;   in Loop: Header=BB355_15 Depth=1
	s_delay_alu instid0(SALU_CYCLE_1)
	s_or_b32 exec_lo, exec_lo, s17
.LBB355_922:                            ;   in Loop: Header=BB355_15 Depth=1
	s_delay_alu instid0(SALU_CYCLE_1) | instskip(SKIP_2) | instid1(VALU_DEP_1)
	s_or_b32 exec_lo, exec_lo, s16
	v_lshrrev_b16 v2, 8, v0
	s_mov_b32 s16, exec_lo
	v_cmpx_ne_u16_e32 0, v2
	s_cbranch_execz .LBB355_930
; %bb.923:                              ;   in Loop: Header=BB355_15 Depth=1
	v_bfrev_b32_e32 v3, 1
	s_mov_b32 s17, exec_lo
	scratch_store_b32 off, v3, s32 offset:512 ; 4-byte Folded Spill
	s_wait_xcnt 0x0
	v_cmpx_ne_u16_e32 0x80, v2
	s_cbranch_execz .LBB355_929
; %bb.924:                              ;   in Loop: Header=BB355_15 Depth=1
	v_and_b32_e32 v3, 0xffff, v2
	v_mov_b32_e32 v4, 0x7f800001
	s_mov_b32 s18, exec_lo
	s_delay_alu instid0(VALU_DEP_2)
	v_and_b32_e32 v2, 0x7f, v3
	scratch_store_b32 off, v4, s32 offset:512 ; 4-byte Folded Spill
	s_wait_xcnt 0x0
	v_cmpx_ne_u32_e32 0x7f, v2
	s_cbranch_execz .LBB355_928
; %bb.925:                              ;   in Loop: Header=BB355_15 Depth=1
	v_dual_lshrrev_b32 v4, 3, v2 :: v_dual_bitop2_b32 v24, 7, v3 bitop3:0x40
	v_cmp_gt_u32_e64 s1, 8, v2
	s_delay_alu instid0(VALU_DEP_2)
	v_mov_b64_e32 v[2:3], v[24:25]
	s_and_saveexec_b32 s19, s1
; %bb.926:                              ;   in Loop: Header=BB355_15 Depth=1
	v_clz_i32_u32_e32 v2, v24
	s_delay_alu instid0(VALU_DEP_1) | instskip(NEXT) | instid1(VALU_DEP_1)
	v_min_u32_e32 v4, 32, v2
	v_subrev_nc_u32_e32 v2, 28, v4
	s_delay_alu instid0(VALU_DEP_1) | instskip(NEXT) | instid1(VALU_DEP_1)
	v_lshlrev_b64_e32 v[2:3], v2, v[24:25]
	v_dual_sub_nc_u32 v4, 29, v4 :: v_dual_bitop2_b32 v2, 7, v2 bitop3:0x40
; %bb.927:                              ;   in Loop: Header=BB355_15 Depth=1
	s_or_b32 exec_lo, exec_lo, s19
	s_delay_alu instid0(VALU_DEP_1) | instskip(NEXT) | instid1(VALU_DEP_2)
	v_dual_lshlrev_b32 v3, 16, v0 :: v_dual_lshlrev_b32 v2, 20, v2
	v_lshl_add_u32 v4, v4, 23, 0x3c000000
	s_delay_alu instid0(VALU_DEP_2) | instskip(NEXT) | instid1(VALU_DEP_1)
	v_and_b32_e32 v3, 0x80000000, v3
	v_or3_b32 v2, v2, v3, v4
	scratch_store_b32 off, v2, s32 offset:512 ; 4-byte Folded Spill
.LBB355_928:                            ;   in Loop: Header=BB355_15 Depth=1
	s_wait_xcnt 0x0
	s_or_b32 exec_lo, exec_lo, s18
.LBB355_929:                            ;   in Loop: Header=BB355_15 Depth=1
	s_delay_alu instid0(SALU_CYCLE_1)
	s_or_b32 exec_lo, exec_lo, s17
.LBB355_930:                            ;   in Loop: Header=BB355_15 Depth=1
	s_delay_alu instid0(SALU_CYCLE_1) | instskip(SKIP_2) | instid1(VALU_DEP_1)
	s_or_b32 exec_lo, exec_lo, s16
	v_dual_mov_b32 v3, 0 :: v_dual_lshrrev_b32 v4, 16, v0
	s_mov_b32 s16, exec_lo
	v_and_b32_e32 v2, 0xff, v4
	scratch_store_b32 off, v3, s32 offset:520 ; 4-byte Folded Spill
	s_wait_xcnt 0x0
	v_mov_b32_e32 v3, 0
	scratch_store_b32 off, v3, s32 offset:516 ; 4-byte Folded Spill
	s_wait_xcnt 0x0
	v_cmpx_ne_u16_e32 0, v2
	s_cbranch_execz .LBB355_938
; %bb.931:                              ;   in Loop: Header=BB355_15 Depth=1
	v_cmp_ne_u16_e64 s1, 0x80, v2
	v_bfrev_b32_e32 v2, 1
	scratch_store_b32 off, v2, s32 offset:516 ; 4-byte Folded Spill
	s_wait_xcnt 0x0
	s_and_saveexec_b32 s17, s1
	s_cbranch_execz .LBB355_937
; %bb.932:                              ;   in Loop: Header=BB355_15 Depth=1
	v_bfe_u32 v2, v0, 16, 7
	v_mov_b32_e32 v3, 0x7f800001
	s_mov_b32 s18, exec_lo
	scratch_store_b32 off, v3, s32 offset:516 ; 4-byte Folded Spill
	s_wait_xcnt 0x0
	v_cmpx_ne_u32_e32 0x7f, v2
	s_cbranch_execz .LBB355_936
; %bb.933:                              ;   in Loop: Header=BB355_15 Depth=1
	v_dual_lshrrev_b32 v5, 3, v2 :: v_dual_bitop2_b32 v24, 7, v4 bitop3:0x40
	v_cmp_gt_u32_e64 s1, 8, v2
	s_delay_alu instid0(VALU_DEP_2)
	v_mov_b64_e32 v[2:3], v[24:25]
	s_and_saveexec_b32 s19, s1
; %bb.934:                              ;   in Loop: Header=BB355_15 Depth=1
	v_clz_i32_u32_e32 v2, v24
	s_delay_alu instid0(VALU_DEP_1) | instskip(NEXT) | instid1(VALU_DEP_1)
	v_min_u32_e32 v5, 32, v2
	v_subrev_nc_u32_e32 v2, 28, v5
	s_delay_alu instid0(VALU_DEP_1) | instskip(NEXT) | instid1(VALU_DEP_1)
	v_lshlrev_b64_e32 v[2:3], v2, v[24:25]
	v_dual_sub_nc_u32 v5, 29, v5 :: v_dual_bitop2_b32 v2, 7, v2 bitop3:0x40
; %bb.935:                              ;   in Loop: Header=BB355_15 Depth=1
	s_or_b32 exec_lo, exec_lo, s19
	s_delay_alu instid0(VALU_DEP_1) | instskip(NEXT) | instid1(VALU_DEP_2)
	v_dual_lshlrev_b32 v3, 24, v4 :: v_dual_lshlrev_b32 v2, 20, v2
	v_lshl_add_u32 v4, v5, 23, 0x3c000000
	s_delay_alu instid0(VALU_DEP_2) | instskip(NEXT) | instid1(VALU_DEP_1)
	v_and_b32_e32 v3, 0x80000000, v3
	v_or3_b32 v2, v2, v3, v4
	scratch_store_b32 off, v2, s32 offset:516 ; 4-byte Folded Spill
.LBB355_936:                            ;   in Loop: Header=BB355_15 Depth=1
	s_wait_xcnt 0x0
	s_or_b32 exec_lo, exec_lo, s18
.LBB355_937:                            ;   in Loop: Header=BB355_15 Depth=1
	s_delay_alu instid0(SALU_CYCLE_1)
	s_or_b32 exec_lo, exec_lo, s17
.LBB355_938:                            ;   in Loop: Header=BB355_15 Depth=1
	s_delay_alu instid0(SALU_CYCLE_1) | instskip(NEXT) | instid1(SALU_CYCLE_1)
	s_or_b32 exec_lo, exec_lo, s16
	s_mov_b32 s16, exec_lo
	v_cmpx_lt_u32_e32 0xffffff, v0
	s_cbranch_execz .LBB355_946
; %bb.939:                              ;   in Loop: Header=BB355_15 Depth=1
	v_lshrrev_b32_e32 v4, 24, v0
	v_bfrev_b32_e32 v2, 1
	s_mov_b32 s17, exec_lo
	scratch_store_b32 off, v2, s32 offset:520 ; 4-byte Folded Spill
	s_wait_xcnt 0x0
	v_cmpx_ne_u32_e32 0x80, v4
	s_cbranch_execz .LBB355_945
; %bb.940:                              ;   in Loop: Header=BB355_15 Depth=1
	v_bfe_u32 v2, v0, 24, 7
	v_mov_b32_e32 v3, 0x7f800001
	s_mov_b32 s18, exec_lo
	scratch_store_b32 off, v3, s32 offset:520 ; 4-byte Folded Spill
	s_wait_xcnt 0x0
	v_cmpx_ne_u32_e32 0x7f, v2
	s_cbranch_execz .LBB355_944
; %bb.941:                              ;   in Loop: Header=BB355_15 Depth=1
	v_dual_lshrrev_b32 v5, 3, v2 :: v_dual_bitop2_b32 v24, 7, v4 bitop3:0x40
	v_cmp_gt_u32_e64 s1, 8, v2
	s_delay_alu instid0(VALU_DEP_2)
	v_mov_b64_e32 v[2:3], v[24:25]
	s_and_saveexec_b32 s19, s1
; %bb.942:                              ;   in Loop: Header=BB355_15 Depth=1
	v_clz_i32_u32_e32 v2, v24
	s_delay_alu instid0(VALU_DEP_1) | instskip(NEXT) | instid1(VALU_DEP_1)
	v_min_u32_e32 v5, 32, v2
	v_subrev_nc_u32_e32 v2, 28, v5
	s_delay_alu instid0(VALU_DEP_1) | instskip(NEXT) | instid1(VALU_DEP_1)
	v_lshlrev_b64_e32 v[2:3], v2, v[24:25]
	v_dual_sub_nc_u32 v5, 29, v5 :: v_dual_bitop2_b32 v2, 7, v2 bitop3:0x40
; %bb.943:                              ;   in Loop: Header=BB355_15 Depth=1
	s_or_b32 exec_lo, exec_lo, s19
	s_delay_alu instid0(VALU_DEP_1) | instskip(NEXT) | instid1(VALU_DEP_2)
	v_dual_lshlrev_b32 v3, 24, v4 :: v_dual_lshlrev_b32 v2, 20, v2
	v_lshl_add_u32 v4, v5, 23, 0x3c000000
	s_delay_alu instid0(VALU_DEP_2) | instskip(NEXT) | instid1(VALU_DEP_1)
	v_and_b32_e32 v3, 0x80000000, v3
	v_or3_b32 v2, v2, v3, v4
	scratch_store_b32 off, v2, s32 offset:520 ; 4-byte Folded Spill
.LBB355_944:                            ;   in Loop: Header=BB355_15 Depth=1
	s_wait_xcnt 0x0
	s_or_b32 exec_lo, exec_lo, s18
.LBB355_945:                            ;   in Loop: Header=BB355_15 Depth=1
	s_delay_alu instid0(SALU_CYCLE_1)
	s_or_b32 exec_lo, exec_lo, s17
.LBB355_946:                            ;   in Loop: Header=BB355_15 Depth=1
	s_delay_alu instid0(SALU_CYCLE_1)
	s_or_b32 exec_lo, exec_lo, s16
	v_and_b32_e32 v2, 0xff, v1
	v_dual_mov_b32 v24, v1 :: v_dual_mov_b32 v105, 0
	v_mov_b32_e32 v3, 0
	s_mov_b32 s16, exec_lo
	scratch_store_b32 off, v3, s32 offset:524 ; 4-byte Folded Spill
	s_wait_xcnt 0x0
	v_cmpx_ne_u16_e32 0, v2
	s_cbranch_execz .LBB355_954
; %bb.947:                              ;   in Loop: Header=BB355_15 Depth=1
	v_cmp_ne_u16_e64 s1, 0x80, v2
	v_bfrev_b32_e32 v2, 1
	scratch_store_b32 off, v2, s32 offset:524 ; 4-byte Folded Spill
	s_wait_xcnt 0x0
	s_and_saveexec_b32 s17, s1
	s_cbranch_execz .LBB355_953
; %bb.948:                              ;   in Loop: Header=BB355_15 Depth=1
	v_and_b32_e32 v2, 0x7f, v1
	v_mov_b32_e32 v3, 0x7f800001
	s_mov_b32 s18, exec_lo
	scratch_store_b32 off, v3, s32 offset:524 ; 4-byte Folded Spill
	s_wait_xcnt 0x0
	v_cmpx_ne_u32_e32 0x7f, v2
	s_cbranch_execz .LBB355_952
; %bb.949:                              ;   in Loop: Header=BB355_15 Depth=1
	v_lshrrev_b32_e32 v4, 3, v2
	v_cmp_gt_u32_e64 s1, 8, v2
	v_mov_b64_e32 v[2:3], v[24:25]
	s_and_saveexec_b32 s19, s1
; %bb.950:                              ;   in Loop: Header=BB355_15 Depth=1
	v_and_b32_e32 v2, 7, v1
	s_delay_alu instid0(VALU_DEP_1) | instskip(NEXT) | instid1(VALU_DEP_1)
	v_clz_i32_u32_e32 v2, v2
	v_min_u32_e32 v4, 32, v2
	s_delay_alu instid0(VALU_DEP_1) | instskip(SKIP_1) | instid1(VALU_DEP_2)
	v_subrev_nc_u32_e32 v2, 28, v4
	v_sub_nc_u32_e32 v4, 29, v4
	v_lshlrev_b64_e32 v[2:3], v2, v[24:25]
; %bb.951:                              ;   in Loop: Header=BB355_15 Depth=1
	s_or_b32 exec_lo, exec_lo, s19
	s_delay_alu instid0(VALU_DEP_1) | instskip(NEXT) | instid1(VALU_DEP_3)
	v_dual_lshlrev_b32 v2, 20, v2 :: v_dual_lshlrev_b32 v3, 24, v24
	v_lshl_add_u32 v4, v4, 23, 0x3c000000
	s_delay_alu instid0(VALU_DEP_2) | instskip(NEXT) | instid1(VALU_DEP_3)
	v_and_b32_e32 v2, 0x700000, v2
	v_and_b32_e32 v3, 0x80000000, v3
	s_delay_alu instid0(VALU_DEP_1)
	v_or3_b32 v2, v2, v3, v4
	scratch_store_b32 off, v2, s32 offset:524 ; 4-byte Folded Spill
.LBB355_952:                            ;   in Loop: Header=BB355_15 Depth=1
	s_wait_xcnt 0x0
	s_or_b32 exec_lo, exec_lo, s18
.LBB355_953:                            ;   in Loop: Header=BB355_15 Depth=1
	s_delay_alu instid0(SALU_CYCLE_1)
	s_or_b32 exec_lo, exec_lo, s17
.LBB355_954:                            ;   in Loop: Header=BB355_15 Depth=1
	s_delay_alu instid0(SALU_CYCLE_1) | instskip(SKIP_2) | instid1(VALU_DEP_1)
	s_or_b32 exec_lo, exec_lo, s16
	v_lshrrev_b16 v2, 8, v24
	s_mov_b32 s16, exec_lo
	v_cmpx_ne_u16_e32 0, v2
	s_cbranch_execz .LBB355_962
; %bb.955:                              ;   in Loop: Header=BB355_15 Depth=1
	v_bfrev_b32_e32 v105, 1
	s_mov_b32 s17, exec_lo
	v_cmpx_ne_u16_e32 0x80, v2
	s_cbranch_execz .LBB355_961
; %bb.956:                              ;   in Loop: Header=BB355_15 Depth=1
	v_and_b32_e32 v2, 0xffff, v2
	v_mov_b32_e32 v105, 0x7f800001
	s_mov_b32 s18, exec_lo
	s_delay_alu instid0(VALU_DEP_2) | instskip(NEXT) | instid1(VALU_DEP_1)
	v_and_b32_e32 v5, 0x7f, v2
	v_cmpx_ne_u32_e32 0x7f, v5
	s_cbranch_execz .LBB355_960
; %bb.957:                              ;   in Loop: Header=BB355_15 Depth=1
	v_dual_mov_b32 v3, v25 :: v_dual_bitop2_b32 v2, 7, v2 bitop3:0x40
	v_lshrrev_b32_e32 v4, 3, v5
	s_mov_b32 s19, exec_lo
	v_cmpx_gt_u32_e32 8, v5
; %bb.958:                              ;   in Loop: Header=BB355_15 Depth=1
	s_delay_alu instid0(VALU_DEP_3) | instskip(NEXT) | instid1(VALU_DEP_1)
	v_clz_i32_u32_e32 v4, v2
	v_min_u32_e32 v4, 32, v4
	s_delay_alu instid0(VALU_DEP_1) | instskip(NEXT) | instid1(VALU_DEP_1)
	v_subrev_nc_u32_e32 v5, 28, v4
	v_lshlrev_b64_e32 v[2:3], v5, v[2:3]
	s_delay_alu instid0(VALU_DEP_1)
	v_dual_sub_nc_u32 v4, 29, v4 :: v_dual_bitop2_b32 v2, 7, v2 bitop3:0x40
; %bb.959:                              ;   in Loop: Header=BB355_15 Depth=1
	s_or_b32 exec_lo, exec_lo, s19
	s_delay_alu instid0(VALU_DEP_1) | instskip(NEXT) | instid1(VALU_DEP_2)
	v_dual_lshlrev_b32 v3, 16, v24 :: v_dual_lshlrev_b32 v2, 20, v2
	v_lshl_add_u32 v4, v4, 23, 0x3c000000
	s_delay_alu instid0(VALU_DEP_2) | instskip(NEXT) | instid1(VALU_DEP_1)
	v_and_b32_e32 v3, 0x80000000, v3
	v_or3_b32 v105, v2, v3, v4
.LBB355_960:                            ;   in Loop: Header=BB355_15 Depth=1
	s_or_b32 exec_lo, exec_lo, s18
.LBB355_961:                            ;   in Loop: Header=BB355_15 Depth=1
	s_delay_alu instid0(SALU_CYCLE_1)
	s_or_b32 exec_lo, exec_lo, s17
.LBB355_962:                            ;   in Loop: Header=BB355_15 Depth=1
	s_delay_alu instid0(SALU_CYCLE_1) | instskip(SKIP_3) | instid1(VALU_DEP_2)
	s_or_b32 exec_lo, exec_lo, s16
	v_dual_lshrrev_b32 v4, 16, v1 :: v_dual_mov_b32 v42, 0
	v_mov_b32_e32 v123, 0
	s_mov_b32 s16, exec_lo
	v_and_b32_e32 v2, 0xff, v4
	s_delay_alu instid0(VALU_DEP_1)
	v_cmpx_ne_u16_e32 0, v2
	s_cbranch_execz .LBB355_970
; %bb.963:                              ;   in Loop: Header=BB355_15 Depth=1
	v_bfrev_b32_e32 v123, 1
	s_mov_b32 s17, exec_lo
	v_cmpx_ne_u16_e32 0x80, v2
	s_cbranch_execz .LBB355_969
; %bb.964:                              ;   in Loop: Header=BB355_15 Depth=1
	v_bfe_u32 v2, v1, 16, 7
	v_mov_b32_e32 v123, 0x7f800001
	s_mov_b32 s18, exec_lo
	s_delay_alu instid0(VALU_DEP_2)
	v_cmpx_ne_u32_e32 0x7f, v2
	s_cbranch_execz .LBB355_968
; %bb.965:                              ;   in Loop: Header=BB355_15 Depth=1
	v_dual_lshrrev_b32 v5, 3, v2 :: v_dual_bitop2_b32 v24, 7, v4 bitop3:0x40
	v_cmp_gt_u32_e64 s1, 8, v2
	s_delay_alu instid0(VALU_DEP_2)
	v_mov_b64_e32 v[2:3], v[24:25]
	s_and_saveexec_b32 s19, s1
; %bb.966:                              ;   in Loop: Header=BB355_15 Depth=1
	v_clz_i32_u32_e32 v2, v24
	s_delay_alu instid0(VALU_DEP_1) | instskip(NEXT) | instid1(VALU_DEP_1)
	v_min_u32_e32 v5, 32, v2
	v_subrev_nc_u32_e32 v2, 28, v5
	s_delay_alu instid0(VALU_DEP_1) | instskip(NEXT) | instid1(VALU_DEP_1)
	v_lshlrev_b64_e32 v[2:3], v2, v[24:25]
	v_dual_sub_nc_u32 v5, 29, v5 :: v_dual_bitop2_b32 v2, 7, v2 bitop3:0x40
; %bb.967:                              ;   in Loop: Header=BB355_15 Depth=1
	s_or_b32 exec_lo, exec_lo, s19
	s_delay_alu instid0(VALU_DEP_1) | instskip(NEXT) | instid1(VALU_DEP_2)
	v_dual_lshlrev_b32 v3, 24, v4 :: v_dual_lshlrev_b32 v2, 20, v2
	v_lshl_add_u32 v4, v5, 23, 0x3c000000
	s_delay_alu instid0(VALU_DEP_2) | instskip(NEXT) | instid1(VALU_DEP_1)
	v_and_b32_e32 v3, 0x80000000, v3
	v_or3_b32 v123, v2, v3, v4
.LBB355_968:                            ;   in Loop: Header=BB355_15 Depth=1
	s_or_b32 exec_lo, exec_lo, s18
.LBB355_969:                            ;   in Loop: Header=BB355_15 Depth=1
	s_delay_alu instid0(SALU_CYCLE_1)
	s_or_b32 exec_lo, exec_lo, s17
.LBB355_970:                            ;   in Loop: Header=BB355_15 Depth=1
	s_delay_alu instid0(SALU_CYCLE_1) | instskip(NEXT) | instid1(SALU_CYCLE_1)
	s_or_b32 exec_lo, exec_lo, s16
	s_mov_b32 s16, exec_lo
	v_cmpx_lt_u64_e64 s[8:9], v[0:1]
	s_cbranch_execz .LBB355_978
; %bb.971:                              ;   in Loop: Header=BB355_15 Depth=1
	v_lshrrev_b32_e32 v2, 24, v1
	v_bfrev_b32_e32 v42, 1
	s_mov_b32 s17, exec_lo
	s_delay_alu instid0(VALU_DEP_2)
	v_cmpx_ne_u32_e32 0x80, v2
	s_cbranch_execz .LBB355_977
; %bb.972:                              ;   in Loop: Header=BB355_15 Depth=1
	v_bfe_u32 v0, v1, 24, 7
	v_mov_b32_e32 v42, 0x7f800001
	s_mov_b32 s18, exec_lo
	s_delay_alu instid0(VALU_DEP_2)
	v_cmpx_ne_u32_e32 0x7f, v0
	s_cbranch_execz .LBB355_976
; %bb.973:                              ;   in Loop: Header=BB355_15 Depth=1
	v_dual_lshrrev_b32 v3, 3, v0 :: v_dual_bitop2_b32 v24, 7, v2 bitop3:0x40
	v_cmp_gt_u32_e64 s1, 8, v0
	s_delay_alu instid0(VALU_DEP_2)
	v_mov_b64_e32 v[0:1], v[24:25]
	s_and_saveexec_b32 s19, s1
; %bb.974:                              ;   in Loop: Header=BB355_15 Depth=1
	v_clz_i32_u32_e32 v0, v24
	s_delay_alu instid0(VALU_DEP_1) | instskip(NEXT) | instid1(VALU_DEP_1)
	v_min_u32_e32 v3, 32, v0
	v_subrev_nc_u32_e32 v0, 28, v3
	s_delay_alu instid0(VALU_DEP_1) | instskip(NEXT) | instid1(VALU_DEP_1)
	v_lshlrev_b64_e32 v[0:1], v0, v[24:25]
	v_dual_sub_nc_u32 v3, 29, v3 :: v_dual_bitop2_b32 v0, 7, v0 bitop3:0x40
; %bb.975:                              ;   in Loop: Header=BB355_15 Depth=1
	s_or_b32 exec_lo, exec_lo, s19
	s_delay_alu instid0(VALU_DEP_1) | instskip(NEXT) | instid1(VALU_DEP_2)
	v_dual_lshlrev_b32 v1, 24, v2 :: v_dual_lshlrev_b32 v0, 20, v0
	v_lshl_add_u32 v2, v3, 23, 0x3c000000
	s_delay_alu instid0(VALU_DEP_2) | instskip(NEXT) | instid1(VALU_DEP_1)
	v_and_b32_e32 v1, 0x80000000, v1
	v_or3_b32 v42, v0, v1, v2
.LBB355_976:                            ;   in Loop: Header=BB355_15 Depth=1
	s_or_b32 exec_lo, exec_lo, s18
.LBB355_977:                            ;   in Loop: Header=BB355_15 Depth=1
	s_delay_alu instid0(SALU_CYCLE_1)
	s_or_b32 exec_lo, exec_lo, s17
.LBB355_978:                            ;   in Loop: Header=BB355_15 Depth=1
	s_delay_alu instid0(SALU_CYCLE_1)
	s_or_b32 exec_lo, exec_lo, s16
	flat_load_b64 v[0:1], v[36:37] offset:3592
	v_dual_mov_b32 v21, 0 :: v_dual_mov_b32 v20, 0
	s_mov_b32 s16, exec_lo
	s_wait_loadcnt_dscnt 0x0
	v_and_b32_e32 v2, 0xff, v0
	s_wait_xcnt 0x0
	s_delay_alu instid0(VALU_DEP_1)
	v_cmpx_ne_u16_e32 0, v2
	s_cbranch_execz .LBB355_986
; %bb.979:                              ;   in Loop: Header=BB355_15 Depth=1
	v_bfrev_b32_e32 v20, 1
	s_mov_b32 s17, exec_lo
	v_cmpx_ne_u16_e32 0x80, v2
	s_cbranch_execz .LBB355_985
; %bb.980:                              ;   in Loop: Header=BB355_15 Depth=1
	v_and_b32_e32 v2, 0x7f, v0
	v_mov_b32_e32 v20, 0x7f800001
	s_mov_b32 s18, exec_lo
	s_delay_alu instid0(VALU_DEP_2)
	v_cmpx_ne_u32_e32 0x7f, v2
	s_cbranch_execz .LBB355_984
; %bb.981:                              ;   in Loop: Header=BB355_15 Depth=1
	v_lshrrev_b32_e32 v4, 3, v2
	v_cmp_gt_u32_e64 s1, 8, v2
	v_mov_b64_e32 v[2:3], v[0:1]
	s_and_saveexec_b32 s19, s1
; %bb.982:                              ;   in Loop: Header=BB355_15 Depth=1
	v_and_b32_e32 v2, 7, v0
	s_delay_alu instid0(VALU_DEP_1) | instskip(NEXT) | instid1(VALU_DEP_1)
	v_clz_i32_u32_e32 v2, v2
	v_min_u32_e32 v4, 32, v2
	s_delay_alu instid0(VALU_DEP_1) | instskip(SKIP_1) | instid1(VALU_DEP_2)
	v_subrev_nc_u32_e32 v2, 28, v4
	v_sub_nc_u32_e32 v4, 29, v4
	v_lshlrev_b64_e32 v[2:3], v2, v[0:1]
; %bb.983:                              ;   in Loop: Header=BB355_15 Depth=1
	s_or_b32 exec_lo, exec_lo, s19
	s_delay_alu instid0(VALU_DEP_1) | instskip(NEXT) | instid1(VALU_DEP_3)
	v_dual_lshlrev_b32 v2, 20, v2 :: v_dual_lshlrev_b32 v3, 24, v0
	v_lshl_add_u32 v4, v4, 23, 0x3c000000
	s_delay_alu instid0(VALU_DEP_2) | instskip(NEXT) | instid1(VALU_DEP_3)
	v_and_b32_e32 v2, 0x700000, v2
	v_and_b32_e32 v3, 0x80000000, v3
	s_delay_alu instid0(VALU_DEP_1)
	v_or3_b32 v20, v2, v3, v4
.LBB355_984:                            ;   in Loop: Header=BB355_15 Depth=1
	s_or_b32 exec_lo, exec_lo, s18
.LBB355_985:                            ;   in Loop: Header=BB355_15 Depth=1
	s_delay_alu instid0(SALU_CYCLE_1)
	s_or_b32 exec_lo, exec_lo, s17
.LBB355_986:                            ;   in Loop: Header=BB355_15 Depth=1
	s_delay_alu instid0(SALU_CYCLE_1) | instskip(SKIP_2) | instid1(VALU_DEP_1)
	s_or_b32 exec_lo, exec_lo, s16
	v_lshrrev_b16 v2, 8, v0
	s_mov_b32 s16, exec_lo
	v_cmpx_ne_u16_e32 0, v2
	s_cbranch_execz .LBB355_994
; %bb.987:                              ;   in Loop: Header=BB355_15 Depth=1
	v_bfrev_b32_e32 v21, 1
	s_mov_b32 s17, exec_lo
	v_cmpx_ne_u16_e32 0x80, v2
	s_cbranch_execz .LBB355_993
; %bb.988:                              ;   in Loop: Header=BB355_15 Depth=1
	v_and_b32_e32 v2, 0xffff, v2
	v_mov_b32_e32 v21, 0x7f800001
	s_mov_b32 s18, exec_lo
	s_delay_alu instid0(VALU_DEP_2) | instskip(NEXT) | instid1(VALU_DEP_1)
	v_and_b32_e32 v4, 0x7f, v2
	v_cmpx_ne_u32_e32 0x7f, v4
	s_cbranch_execz .LBB355_992
; %bb.989:                              ;   in Loop: Header=BB355_15 Depth=1
	v_and_b32_e32 v24, 7, v2
	s_mov_b32 s19, exec_lo
	s_delay_alu instid0(VALU_DEP_1)
	v_mov_b64_e32 v[2:3], v[24:25]
	v_lshrrev_b32_e32 v3, 3, v4
	v_cmpx_gt_u32_e32 8, v4
; %bb.990:                              ;   in Loop: Header=BB355_15 Depth=1
	v_clz_i32_u32_e32 v2, v24
	s_delay_alu instid0(VALU_DEP_1) | instskip(NEXT) | instid1(VALU_DEP_1)
	v_min_u32_e32 v4, 32, v2
	v_subrev_nc_u32_e32 v2, 28, v4
	s_delay_alu instid0(VALU_DEP_1) | instskip(NEXT) | instid1(VALU_DEP_1)
	v_lshlrev_b64_e32 v[2:3], v2, v[24:25]
	v_dual_sub_nc_u32 v3, 29, v4 :: v_dual_bitop2_b32 v2, 7, v2 bitop3:0x40
; %bb.991:                              ;   in Loop: Header=BB355_15 Depth=1
	s_or_b32 exec_lo, exec_lo, s19
	s_delay_alu instid0(VALU_DEP_1) | instskip(NEXT) | instid1(VALU_DEP_2)
	v_dual_lshlrev_b32 v4, 16, v0 :: v_dual_lshlrev_b32 v2, 20, v2
	v_lshl_add_u32 v3, v3, 23, 0x3c000000
	s_delay_alu instid0(VALU_DEP_2) | instskip(NEXT) | instid1(VALU_DEP_1)
	v_and_b32_e32 v4, 0x80000000, v4
	v_or3_b32 v21, v2, v4, v3
.LBB355_992:                            ;   in Loop: Header=BB355_15 Depth=1
	s_or_b32 exec_lo, exec_lo, s18
.LBB355_993:                            ;   in Loop: Header=BB355_15 Depth=1
	s_delay_alu instid0(SALU_CYCLE_1)
	s_or_b32 exec_lo, exec_lo, s17
.LBB355_994:                            ;   in Loop: Header=BB355_15 Depth=1
	s_delay_alu instid0(SALU_CYCLE_1) | instskip(SKIP_3) | instid1(VALU_DEP_2)
	s_or_b32 exec_lo, exec_lo, s16
	v_dual_mov_b32 v79, 0 :: v_dual_lshrrev_b32 v4, 16, v0
	v_mov_b32_e32 v78, 0
	s_mov_b32 s16, exec_lo
	v_and_b32_e32 v2, 0xff, v4
	s_delay_alu instid0(VALU_DEP_1)
	v_cmpx_ne_u16_e32 0, v2
	s_cbranch_execz .LBB355_1002
; %bb.995:                              ;   in Loop: Header=BB355_15 Depth=1
	v_bfrev_b32_e32 v78, 1
	s_mov_b32 s17, exec_lo
	v_cmpx_ne_u16_e32 0x80, v2
	s_cbranch_execz .LBB355_1001
; %bb.996:                              ;   in Loop: Header=BB355_15 Depth=1
	v_bfe_u32 v5, v0, 16, 7
	v_mov_b32_e32 v78, 0x7f800001
	s_mov_b32 s18, exec_lo
	s_delay_alu instid0(VALU_DEP_2)
	v_cmpx_ne_u32_e32 0x7f, v5
	s_cbranch_execz .LBB355_1000
; %bb.997:                              ;   in Loop: Header=BB355_15 Depth=1
	v_and_b32_e32 v24, 7, v4
	s_mov_b32 s19, exec_lo
	s_delay_alu instid0(VALU_DEP_1)
	v_mov_b64_e32 v[2:3], v[24:25]
	v_lshrrev_b32_e32 v3, 3, v5
	v_cmpx_gt_u32_e32 8, v5
; %bb.998:                              ;   in Loop: Header=BB355_15 Depth=1
	v_clz_i32_u32_e32 v2, v24
	s_delay_alu instid0(VALU_DEP_1) | instskip(NEXT) | instid1(VALU_DEP_1)
	v_min_u32_e32 v5, 32, v2
	v_subrev_nc_u32_e32 v2, 28, v5
	s_delay_alu instid0(VALU_DEP_1) | instskip(NEXT) | instid1(VALU_DEP_1)
	v_lshlrev_b64_e32 v[2:3], v2, v[24:25]
	v_dual_sub_nc_u32 v3, 29, v5 :: v_dual_bitop2_b32 v2, 7, v2 bitop3:0x40
; %bb.999:                              ;   in Loop: Header=BB355_15 Depth=1
	s_or_b32 exec_lo, exec_lo, s19
	s_delay_alu instid0(VALU_DEP_1) | instskip(NEXT) | instid1(VALU_DEP_2)
	v_dual_lshlrev_b32 v4, 24, v4 :: v_dual_lshlrev_b32 v2, 20, v2
	v_lshl_add_u32 v3, v3, 23, 0x3c000000
	s_delay_alu instid0(VALU_DEP_2) | instskip(NEXT) | instid1(VALU_DEP_1)
	v_and_b32_e32 v4, 0x80000000, v4
	v_or3_b32 v78, v2, v4, v3
.LBB355_1000:                           ;   in Loop: Header=BB355_15 Depth=1
	s_or_b32 exec_lo, exec_lo, s18
.LBB355_1001:                           ;   in Loop: Header=BB355_15 Depth=1
	s_delay_alu instid0(SALU_CYCLE_1)
	s_or_b32 exec_lo, exec_lo, s17
.LBB355_1002:                           ;   in Loop: Header=BB355_15 Depth=1
	s_delay_alu instid0(SALU_CYCLE_1) | instskip(NEXT) | instid1(SALU_CYCLE_1)
	s_or_b32 exec_lo, exec_lo, s16
	s_mov_b32 s16, exec_lo
	v_cmpx_lt_u32_e32 0xffffff, v0
	s_cbranch_execz .LBB355_1010
; %bb.1003:                             ;   in Loop: Header=BB355_15 Depth=1
	v_lshrrev_b32_e32 v4, 24, v0
	v_bfrev_b32_e32 v79, 1
	s_mov_b32 s17, exec_lo
	s_delay_alu instid0(VALU_DEP_2)
	v_cmpx_ne_u32_e32 0x80, v4
	s_cbranch_execz .LBB355_1009
; %bb.1004:                             ;   in Loop: Header=BB355_15 Depth=1
	v_bfe_u32 v5, v0, 24, 7
	v_mov_b32_e32 v79, 0x7f800001
	s_mov_b32 s18, exec_lo
	s_delay_alu instid0(VALU_DEP_2)
	v_cmpx_ne_u32_e32 0x7f, v5
	s_cbranch_execz .LBB355_1008
; %bb.1005:                             ;   in Loop: Header=BB355_15 Depth=1
	v_and_b32_e32 v24, 7, v4
	s_mov_b32 s19, exec_lo
	s_delay_alu instid0(VALU_DEP_1)
	v_mov_b64_e32 v[2:3], v[24:25]
	v_lshrrev_b32_e32 v3, 3, v5
	v_cmpx_gt_u32_e32 8, v5
; %bb.1006:                             ;   in Loop: Header=BB355_15 Depth=1
	v_clz_i32_u32_e32 v2, v24
	s_delay_alu instid0(VALU_DEP_1) | instskip(NEXT) | instid1(VALU_DEP_1)
	v_min_u32_e32 v5, 32, v2
	v_subrev_nc_u32_e32 v2, 28, v5
	s_delay_alu instid0(VALU_DEP_1) | instskip(NEXT) | instid1(VALU_DEP_1)
	v_lshlrev_b64_e32 v[2:3], v2, v[24:25]
	v_dual_sub_nc_u32 v3, 29, v5 :: v_dual_bitop2_b32 v2, 7, v2 bitop3:0x40
; %bb.1007:                             ;   in Loop: Header=BB355_15 Depth=1
	s_or_b32 exec_lo, exec_lo, s19
	s_delay_alu instid0(VALU_DEP_1) | instskip(NEXT) | instid1(VALU_DEP_2)
	v_dual_lshlrev_b32 v4, 24, v4 :: v_dual_lshlrev_b32 v2, 20, v2
	v_lshl_add_u32 v3, v3, 23, 0x3c000000
	s_delay_alu instid0(VALU_DEP_2) | instskip(NEXT) | instid1(VALU_DEP_1)
	v_and_b32_e32 v4, 0x80000000, v4
	v_or3_b32 v79, v2, v4, v3
.LBB355_1008:                           ;   in Loop: Header=BB355_15 Depth=1
	s_or_b32 exec_lo, exec_lo, s18
.LBB355_1009:                           ;   in Loop: Header=BB355_15 Depth=1
	s_delay_alu instid0(SALU_CYCLE_1)
	s_or_b32 exec_lo, exec_lo, s17
.LBB355_1010:                           ;   in Loop: Header=BB355_15 Depth=1
	s_delay_alu instid0(SALU_CYCLE_1) | instskip(SKIP_4) | instid1(VALU_DEP_3)
	s_or_b32 exec_lo, exec_lo, s16
	v_and_b32_e32 v2, 0xff, v1
	v_dual_mov_b32 v24, v1 :: v_dual_mov_b32 v57, 0
	v_mov_b32_e32 v56, 0
	s_mov_b32 s16, exec_lo
	v_cmpx_ne_u16_e32 0, v2
	s_cbranch_execz .LBB355_1018
; %bb.1011:                             ;   in Loop: Header=BB355_15 Depth=1
	v_bfrev_b32_e32 v56, 1
	s_mov_b32 s17, exec_lo
	v_cmpx_ne_u16_e32 0x80, v2
	s_cbranch_execz .LBB355_1017
; %bb.1012:                             ;   in Loop: Header=BB355_15 Depth=1
	v_and_b32_e32 v4, 0x7f, v1
	v_mov_b32_e32 v56, 0x7f800001
	s_mov_b32 s18, exec_lo
	s_delay_alu instid0(VALU_DEP_2)
	v_cmpx_ne_u32_e32 0x7f, v4
	s_cbranch_execz .LBB355_1016
; %bb.1013:                             ;   in Loop: Header=BB355_15 Depth=1
	v_mov_b64_e32 v[2:3], v[24:25]
	v_lshrrev_b32_e32 v3, 3, v4
	s_mov_b32 s19, exec_lo
	v_cmpx_gt_u32_e32 8, v4
; %bb.1014:                             ;   in Loop: Header=BB355_15 Depth=1
	v_and_b32_e32 v2, 7, v1
	s_delay_alu instid0(VALU_DEP_1) | instskip(NEXT) | instid1(VALU_DEP_1)
	v_clz_i32_u32_e32 v2, v2
	v_min_u32_e32 v4, 32, v2
	s_delay_alu instid0(VALU_DEP_1) | instskip(NEXT) | instid1(VALU_DEP_1)
	v_subrev_nc_u32_e32 v2, 28, v4
	v_lshlrev_b64_e32 v[2:3], v2, v[24:25]
	v_sub_nc_u32_e32 v3, 29, v4
; %bb.1015:                             ;   in Loop: Header=BB355_15 Depth=1
	s_or_b32 exec_lo, exec_lo, s19
	s_delay_alu instid0(VALU_DEP_2) | instskip(NEXT) | instid1(VALU_DEP_2)
	v_dual_lshlrev_b32 v2, 20, v2 :: v_dual_lshlrev_b32 v4, 24, v24
	v_lshl_add_u32 v3, v3, 23, 0x3c000000
	s_delay_alu instid0(VALU_DEP_2) | instskip(NEXT) | instid1(VALU_DEP_3)
	v_and_b32_e32 v2, 0x700000, v2
	v_and_b32_e32 v4, 0x80000000, v4
	s_delay_alu instid0(VALU_DEP_1)
	v_or3_b32 v56, v2, v4, v3
.LBB355_1016:                           ;   in Loop: Header=BB355_15 Depth=1
	s_or_b32 exec_lo, exec_lo, s18
.LBB355_1017:                           ;   in Loop: Header=BB355_15 Depth=1
	s_delay_alu instid0(SALU_CYCLE_1)
	s_or_b32 exec_lo, exec_lo, s17
.LBB355_1018:                           ;   in Loop: Header=BB355_15 Depth=1
	s_delay_alu instid0(SALU_CYCLE_1) | instskip(SKIP_2) | instid1(VALU_DEP_1)
	s_or_b32 exec_lo, exec_lo, s16
	v_lshrrev_b16 v2, 8, v24
	s_mov_b32 s16, exec_lo
	v_cmpx_ne_u16_e32 0, v2
	s_cbranch_execz .LBB355_1026
; %bb.1019:                             ;   in Loop: Header=BB355_15 Depth=1
	v_bfrev_b32_e32 v57, 1
	s_mov_b32 s17, exec_lo
	v_cmpx_ne_u16_e32 0x80, v2
	s_cbranch_execz .LBB355_1025
; %bb.1020:                             ;   in Loop: Header=BB355_15 Depth=1
	v_and_b32_e32 v2, 0xffff, v2
	v_mov_b32_e32 v57, 0x7f800001
	s_mov_b32 s18, exec_lo
	s_delay_alu instid0(VALU_DEP_2) | instskip(NEXT) | instid1(VALU_DEP_1)
	v_and_b32_e32 v5, 0x7f, v2
	v_cmpx_ne_u32_e32 0x7f, v5
	s_cbranch_execz .LBB355_1024
; %bb.1021:                             ;   in Loop: Header=BB355_15 Depth=1
	v_dual_mov_b32 v3, v25 :: v_dual_bitop2_b32 v2, 7, v2 bitop3:0x40
	v_lshrrev_b32_e32 v4, 3, v5
	s_mov_b32 s19, exec_lo
	v_cmpx_gt_u32_e32 8, v5
; %bb.1022:                             ;   in Loop: Header=BB355_15 Depth=1
	s_delay_alu instid0(VALU_DEP_3) | instskip(NEXT) | instid1(VALU_DEP_1)
	v_clz_i32_u32_e32 v4, v2
	v_min_u32_e32 v4, 32, v4
	s_delay_alu instid0(VALU_DEP_1) | instskip(NEXT) | instid1(VALU_DEP_1)
	v_subrev_nc_u32_e32 v5, 28, v4
	v_lshlrev_b64_e32 v[2:3], v5, v[2:3]
	s_delay_alu instid0(VALU_DEP_1)
	v_dual_sub_nc_u32 v4, 29, v4 :: v_dual_bitop2_b32 v2, 7, v2 bitop3:0x40
; %bb.1023:                             ;   in Loop: Header=BB355_15 Depth=1
	s_or_b32 exec_lo, exec_lo, s19
	s_delay_alu instid0(VALU_DEP_1) | instskip(NEXT) | instid1(VALU_DEP_2)
	v_dual_lshlrev_b32 v3, 16, v24 :: v_dual_lshlrev_b32 v2, 20, v2
	v_lshl_add_u32 v4, v4, 23, 0x3c000000
	s_delay_alu instid0(VALU_DEP_2) | instskip(NEXT) | instid1(VALU_DEP_1)
	v_and_b32_e32 v3, 0x80000000, v3
	v_or3_b32 v57, v2, v3, v4
.LBB355_1024:                           ;   in Loop: Header=BB355_15 Depth=1
	s_or_b32 exec_lo, exec_lo, s18
.LBB355_1025:                           ;   in Loop: Header=BB355_15 Depth=1
	s_delay_alu instid0(SALU_CYCLE_1)
	s_or_b32 exec_lo, exec_lo, s17
.LBB355_1026:                           ;   in Loop: Header=BB355_15 Depth=1
	s_delay_alu instid0(SALU_CYCLE_1) | instskip(SKIP_3) | instid1(VALU_DEP_2)
	s_or_b32 exec_lo, exec_lo, s16
	v_dual_mov_b32 v45, 0 :: v_dual_lshrrev_b32 v4, 16, v1
	v_mov_b32_e32 v44, 0
	s_mov_b32 s16, exec_lo
	v_and_b32_e32 v2, 0xff, v4
	s_delay_alu instid0(VALU_DEP_1)
	v_cmpx_ne_u16_e32 0, v2
	s_cbranch_execz .LBB355_1034
; %bb.1027:                             ;   in Loop: Header=BB355_15 Depth=1
	v_bfrev_b32_e32 v44, 1
	s_mov_b32 s17, exec_lo
	v_cmpx_ne_u16_e32 0x80, v2
	s_cbranch_execz .LBB355_1033
; %bb.1028:                             ;   in Loop: Header=BB355_15 Depth=1
	v_bfe_u32 v5, v1, 16, 7
	v_mov_b32_e32 v44, 0x7f800001
	s_mov_b32 s18, exec_lo
	s_delay_alu instid0(VALU_DEP_2)
	v_cmpx_ne_u32_e32 0x7f, v5
	s_cbranch_execz .LBB355_1032
; %bb.1029:                             ;   in Loop: Header=BB355_15 Depth=1
	v_and_b32_e32 v24, 7, v4
	s_mov_b32 s19, exec_lo
	s_delay_alu instid0(VALU_DEP_1)
	v_mov_b64_e32 v[2:3], v[24:25]
	v_lshrrev_b32_e32 v3, 3, v5
	v_cmpx_gt_u32_e32 8, v5
; %bb.1030:                             ;   in Loop: Header=BB355_15 Depth=1
	v_clz_i32_u32_e32 v2, v24
	s_delay_alu instid0(VALU_DEP_1) | instskip(NEXT) | instid1(VALU_DEP_1)
	v_min_u32_e32 v5, 32, v2
	v_subrev_nc_u32_e32 v2, 28, v5
	s_delay_alu instid0(VALU_DEP_1) | instskip(NEXT) | instid1(VALU_DEP_1)
	v_lshlrev_b64_e32 v[2:3], v2, v[24:25]
	v_dual_sub_nc_u32 v3, 29, v5 :: v_dual_bitop2_b32 v2, 7, v2 bitop3:0x40
; %bb.1031:                             ;   in Loop: Header=BB355_15 Depth=1
	s_or_b32 exec_lo, exec_lo, s19
	s_delay_alu instid0(VALU_DEP_1) | instskip(NEXT) | instid1(VALU_DEP_2)
	v_dual_lshlrev_b32 v4, 24, v4 :: v_dual_lshlrev_b32 v2, 20, v2
	v_lshl_add_u32 v3, v3, 23, 0x3c000000
	s_delay_alu instid0(VALU_DEP_2) | instskip(NEXT) | instid1(VALU_DEP_1)
	v_and_b32_e32 v4, 0x80000000, v4
	v_or3_b32 v44, v2, v4, v3
.LBB355_1032:                           ;   in Loop: Header=BB355_15 Depth=1
	s_or_b32 exec_lo, exec_lo, s18
.LBB355_1033:                           ;   in Loop: Header=BB355_15 Depth=1
	s_delay_alu instid0(SALU_CYCLE_1)
	s_or_b32 exec_lo, exec_lo, s17
.LBB355_1034:                           ;   in Loop: Header=BB355_15 Depth=1
	s_delay_alu instid0(SALU_CYCLE_1) | instskip(NEXT) | instid1(SALU_CYCLE_1)
	s_or_b32 exec_lo, exec_lo, s16
	s_mov_b32 s16, exec_lo
	v_cmpx_lt_u64_e64 s[8:9], v[0:1]
	s_cbranch_execz .LBB355_1042
; %bb.1035:                             ;   in Loop: Header=BB355_15 Depth=1
	v_lshrrev_b32_e32 v2, 24, v1
	v_bfrev_b32_e32 v45, 1
	s_mov_b32 s17, exec_lo
	s_delay_alu instid0(VALU_DEP_2)
	v_cmpx_ne_u32_e32 0x80, v2
	s_cbranch_execz .LBB355_1041
; %bb.1036:                             ;   in Loop: Header=BB355_15 Depth=1
	v_bfe_u32 v3, v1, 24, 7
	v_mov_b32_e32 v45, 0x7f800001
	s_mov_b32 s18, exec_lo
	s_delay_alu instid0(VALU_DEP_2)
	v_cmpx_ne_u32_e32 0x7f, v3
	s_cbranch_execz .LBB355_1040
; %bb.1037:                             ;   in Loop: Header=BB355_15 Depth=1
	v_and_b32_e32 v24, 7, v2
	s_mov_b32 s19, exec_lo
	s_delay_alu instid0(VALU_DEP_1)
	v_mov_b64_e32 v[0:1], v[24:25]
	v_lshrrev_b32_e32 v1, 3, v3
	v_cmpx_gt_u32_e32 8, v3
; %bb.1038:                             ;   in Loop: Header=BB355_15 Depth=1
	v_clz_i32_u32_e32 v0, v24
	s_delay_alu instid0(VALU_DEP_1) | instskip(NEXT) | instid1(VALU_DEP_1)
	v_min_u32_e32 v3, 32, v0
	v_subrev_nc_u32_e32 v0, 28, v3
	s_delay_alu instid0(VALU_DEP_1) | instskip(NEXT) | instid1(VALU_DEP_1)
	v_lshlrev_b64_e32 v[0:1], v0, v[24:25]
	v_dual_sub_nc_u32 v1, 29, v3 :: v_dual_bitop2_b32 v0, 7, v0 bitop3:0x40
; %bb.1039:                             ;   in Loop: Header=BB355_15 Depth=1
	s_or_b32 exec_lo, exec_lo, s19
	s_delay_alu instid0(VALU_DEP_1) | instskip(NEXT) | instid1(VALU_DEP_2)
	v_dual_lshlrev_b32 v2, 24, v2 :: v_dual_lshlrev_b32 v0, 20, v0
	v_lshl_add_u32 v1, v1, 23, 0x3c000000
	s_delay_alu instid0(VALU_DEP_2) | instskip(NEXT) | instid1(VALU_DEP_1)
	v_and_b32_e32 v2, 0x80000000, v2
	v_or3_b32 v45, v0, v2, v1
.LBB355_1040:                           ;   in Loop: Header=BB355_15 Depth=1
	s_or_b32 exec_lo, exec_lo, s18
.LBB355_1041:                           ;   in Loop: Header=BB355_15 Depth=1
	s_delay_alu instid0(SALU_CYCLE_1)
	s_or_b32 exec_lo, exec_lo, s17
.LBB355_1042:                           ;   in Loop: Header=BB355_15 Depth=1
	s_delay_alu instid0(SALU_CYCLE_1)
	s_or_b32 exec_lo, exec_lo, s16
	flat_load_b64 v[0:1], v[36:37] offset:4096
	v_dual_mov_b32 v39, 0 :: v_dual_mov_b32 v38, 0
	s_mov_b32 s16, exec_lo
	s_wait_loadcnt_dscnt 0x0
	v_and_b32_e32 v2, 0xff, v0
	s_wait_xcnt 0x0
	s_delay_alu instid0(VALU_DEP_1)
	v_cmpx_ne_u16_e32 0, v2
	s_cbranch_execz .LBB355_1050
; %bb.1043:                             ;   in Loop: Header=BB355_15 Depth=1
	v_bfrev_b32_e32 v38, 1
	s_mov_b32 s17, exec_lo
	v_cmpx_ne_u16_e32 0x80, v2
	s_cbranch_execz .LBB355_1049
; %bb.1044:                             ;   in Loop: Header=BB355_15 Depth=1
	v_and_b32_e32 v2, 0x7f, v0
	v_mov_b32_e32 v38, 0x7f800001
	s_mov_b32 s18, exec_lo
	s_delay_alu instid0(VALU_DEP_2)
	v_cmpx_ne_u32_e32 0x7f, v2
	s_cbranch_execz .LBB355_1048
; %bb.1045:                             ;   in Loop: Header=BB355_15 Depth=1
	v_lshrrev_b32_e32 v4, 3, v2
	v_cmp_gt_u32_e64 s1, 8, v2
	v_mov_b64_e32 v[2:3], v[0:1]
	s_and_saveexec_b32 s19, s1
; %bb.1046:                             ;   in Loop: Header=BB355_15 Depth=1
	v_and_b32_e32 v2, 7, v0
	s_delay_alu instid0(VALU_DEP_1) | instskip(NEXT) | instid1(VALU_DEP_1)
	v_clz_i32_u32_e32 v2, v2
	v_min_u32_e32 v4, 32, v2
	s_delay_alu instid0(VALU_DEP_1) | instskip(SKIP_1) | instid1(VALU_DEP_2)
	v_subrev_nc_u32_e32 v2, 28, v4
	v_sub_nc_u32_e32 v4, 29, v4
	v_lshlrev_b64_e32 v[2:3], v2, v[0:1]
; %bb.1047:                             ;   in Loop: Header=BB355_15 Depth=1
	s_or_b32 exec_lo, exec_lo, s19
	s_delay_alu instid0(VALU_DEP_1) | instskip(NEXT) | instid1(VALU_DEP_3)
	v_dual_lshlrev_b32 v2, 20, v2 :: v_dual_lshlrev_b32 v3, 24, v0
	v_lshl_add_u32 v4, v4, 23, 0x3c000000
	s_delay_alu instid0(VALU_DEP_2) | instskip(NEXT) | instid1(VALU_DEP_3)
	v_and_b32_e32 v2, 0x700000, v2
	v_and_b32_e32 v3, 0x80000000, v3
	s_delay_alu instid0(VALU_DEP_1)
	v_or3_b32 v38, v2, v3, v4
.LBB355_1048:                           ;   in Loop: Header=BB355_15 Depth=1
	s_or_b32 exec_lo, exec_lo, s18
.LBB355_1049:                           ;   in Loop: Header=BB355_15 Depth=1
	s_delay_alu instid0(SALU_CYCLE_1)
	s_or_b32 exec_lo, exec_lo, s17
.LBB355_1050:                           ;   in Loop: Header=BB355_15 Depth=1
	s_delay_alu instid0(SALU_CYCLE_1) | instskip(SKIP_2) | instid1(VALU_DEP_1)
	s_or_b32 exec_lo, exec_lo, s16
	v_lshrrev_b16 v2, 8, v0
	s_mov_b32 s16, exec_lo
	v_cmpx_ne_u16_e32 0, v2
	s_cbranch_execz .LBB355_1058
; %bb.1051:                             ;   in Loop: Header=BB355_15 Depth=1
	v_bfrev_b32_e32 v39, 1
	s_mov_b32 s17, exec_lo
	v_cmpx_ne_u16_e32 0x80, v2
	s_cbranch_execz .LBB355_1057
; %bb.1052:                             ;   in Loop: Header=BB355_15 Depth=1
	v_and_b32_e32 v2, 0xffff, v2
	v_mov_b32_e32 v39, 0x7f800001
	s_mov_b32 s18, exec_lo
	s_delay_alu instid0(VALU_DEP_2) | instskip(NEXT) | instid1(VALU_DEP_1)
	v_and_b32_e32 v4, 0x7f, v2
	v_cmpx_ne_u32_e32 0x7f, v4
	s_cbranch_execz .LBB355_1056
; %bb.1053:                             ;   in Loop: Header=BB355_15 Depth=1
	v_and_b32_e32 v24, 7, v2
	s_mov_b32 s19, exec_lo
	s_delay_alu instid0(VALU_DEP_1)
	v_mov_b64_e32 v[2:3], v[24:25]
	v_lshrrev_b32_e32 v3, 3, v4
	v_cmpx_gt_u32_e32 8, v4
; %bb.1054:                             ;   in Loop: Header=BB355_15 Depth=1
	v_clz_i32_u32_e32 v2, v24
	s_delay_alu instid0(VALU_DEP_1) | instskip(NEXT) | instid1(VALU_DEP_1)
	v_min_u32_e32 v4, 32, v2
	v_subrev_nc_u32_e32 v2, 28, v4
	s_delay_alu instid0(VALU_DEP_1) | instskip(NEXT) | instid1(VALU_DEP_1)
	v_lshlrev_b64_e32 v[2:3], v2, v[24:25]
	v_dual_sub_nc_u32 v3, 29, v4 :: v_dual_bitop2_b32 v2, 7, v2 bitop3:0x40
; %bb.1055:                             ;   in Loop: Header=BB355_15 Depth=1
	s_or_b32 exec_lo, exec_lo, s19
	s_delay_alu instid0(VALU_DEP_1) | instskip(NEXT) | instid1(VALU_DEP_2)
	v_dual_lshlrev_b32 v4, 16, v0 :: v_dual_lshlrev_b32 v2, 20, v2
	v_lshl_add_u32 v3, v3, 23, 0x3c000000
	s_delay_alu instid0(VALU_DEP_2) | instskip(NEXT) | instid1(VALU_DEP_1)
	v_and_b32_e32 v4, 0x80000000, v4
	v_or3_b32 v39, v2, v4, v3
.LBB355_1056:                           ;   in Loop: Header=BB355_15 Depth=1
	s_or_b32 exec_lo, exec_lo, s18
.LBB355_1057:                           ;   in Loop: Header=BB355_15 Depth=1
	s_delay_alu instid0(SALU_CYCLE_1)
	s_or_b32 exec_lo, exec_lo, s17
.LBB355_1058:                           ;   in Loop: Header=BB355_15 Depth=1
	s_delay_alu instid0(SALU_CYCLE_1) | instskip(SKIP_3) | instid1(VALU_DEP_2)
	s_or_b32 exec_lo, exec_lo, s16
	v_dual_mov_b32 v41, 0 :: v_dual_lshrrev_b32 v4, 16, v0
	v_mov_b32_e32 v40, 0
	s_mov_b32 s16, exec_lo
	v_and_b32_e32 v2, 0xff, v4
	s_delay_alu instid0(VALU_DEP_1)
	v_cmpx_ne_u16_e32 0, v2
	s_cbranch_execz .LBB355_1066
; %bb.1059:                             ;   in Loop: Header=BB355_15 Depth=1
	v_bfrev_b32_e32 v40, 1
	s_mov_b32 s17, exec_lo
	v_cmpx_ne_u16_e32 0x80, v2
	s_cbranch_execz .LBB355_1065
; %bb.1060:                             ;   in Loop: Header=BB355_15 Depth=1
	v_bfe_u32 v5, v0, 16, 7
	v_mov_b32_e32 v40, 0x7f800001
	s_mov_b32 s18, exec_lo
	s_delay_alu instid0(VALU_DEP_2)
	v_cmpx_ne_u32_e32 0x7f, v5
	s_cbranch_execz .LBB355_1064
; %bb.1061:                             ;   in Loop: Header=BB355_15 Depth=1
	v_and_b32_e32 v24, 7, v4
	s_mov_b32 s19, exec_lo
	s_delay_alu instid0(VALU_DEP_1)
	v_mov_b64_e32 v[2:3], v[24:25]
	v_lshrrev_b32_e32 v3, 3, v5
	v_cmpx_gt_u32_e32 8, v5
; %bb.1062:                             ;   in Loop: Header=BB355_15 Depth=1
	v_clz_i32_u32_e32 v2, v24
	s_delay_alu instid0(VALU_DEP_1) | instskip(NEXT) | instid1(VALU_DEP_1)
	v_min_u32_e32 v5, 32, v2
	v_subrev_nc_u32_e32 v2, 28, v5
	s_delay_alu instid0(VALU_DEP_1) | instskip(NEXT) | instid1(VALU_DEP_1)
	v_lshlrev_b64_e32 v[2:3], v2, v[24:25]
	v_dual_sub_nc_u32 v3, 29, v5 :: v_dual_bitop2_b32 v2, 7, v2 bitop3:0x40
; %bb.1063:                             ;   in Loop: Header=BB355_15 Depth=1
	s_or_b32 exec_lo, exec_lo, s19
	s_delay_alu instid0(VALU_DEP_1) | instskip(NEXT) | instid1(VALU_DEP_2)
	v_dual_lshlrev_b32 v4, 24, v4 :: v_dual_lshlrev_b32 v2, 20, v2
	v_lshl_add_u32 v3, v3, 23, 0x3c000000
	s_delay_alu instid0(VALU_DEP_2) | instskip(NEXT) | instid1(VALU_DEP_1)
	v_and_b32_e32 v4, 0x80000000, v4
	v_or3_b32 v40, v2, v4, v3
.LBB355_1064:                           ;   in Loop: Header=BB355_15 Depth=1
	s_or_b32 exec_lo, exec_lo, s18
.LBB355_1065:                           ;   in Loop: Header=BB355_15 Depth=1
	s_delay_alu instid0(SALU_CYCLE_1)
	s_or_b32 exec_lo, exec_lo, s17
.LBB355_1066:                           ;   in Loop: Header=BB355_15 Depth=1
	s_delay_alu instid0(SALU_CYCLE_1) | instskip(NEXT) | instid1(SALU_CYCLE_1)
	s_or_b32 exec_lo, exec_lo, s16
	s_mov_b32 s16, exec_lo
	v_cmpx_lt_u32_e32 0xffffff, v0
	s_cbranch_execz .LBB355_1074
; %bb.1067:                             ;   in Loop: Header=BB355_15 Depth=1
	v_lshrrev_b32_e32 v4, 24, v0
	v_bfrev_b32_e32 v41, 1
	s_mov_b32 s17, exec_lo
	s_delay_alu instid0(VALU_DEP_2)
	v_cmpx_ne_u32_e32 0x80, v4
	s_cbranch_execz .LBB355_1073
; %bb.1068:                             ;   in Loop: Header=BB355_15 Depth=1
	v_bfe_u32 v5, v0, 24, 7
	v_mov_b32_e32 v41, 0x7f800001
	s_mov_b32 s18, exec_lo
	s_delay_alu instid0(VALU_DEP_2)
	v_cmpx_ne_u32_e32 0x7f, v5
	s_cbranch_execz .LBB355_1072
; %bb.1069:                             ;   in Loop: Header=BB355_15 Depth=1
	v_and_b32_e32 v24, 7, v4
	s_mov_b32 s19, exec_lo
	s_delay_alu instid0(VALU_DEP_1)
	v_mov_b64_e32 v[2:3], v[24:25]
	v_lshrrev_b32_e32 v3, 3, v5
	v_cmpx_gt_u32_e32 8, v5
; %bb.1070:                             ;   in Loop: Header=BB355_15 Depth=1
	v_clz_i32_u32_e32 v2, v24
	s_delay_alu instid0(VALU_DEP_1) | instskip(NEXT) | instid1(VALU_DEP_1)
	v_min_u32_e32 v5, 32, v2
	v_subrev_nc_u32_e32 v2, 28, v5
	s_delay_alu instid0(VALU_DEP_1) | instskip(NEXT) | instid1(VALU_DEP_1)
	v_lshlrev_b64_e32 v[2:3], v2, v[24:25]
	v_dual_sub_nc_u32 v3, 29, v5 :: v_dual_bitop2_b32 v2, 7, v2 bitop3:0x40
; %bb.1071:                             ;   in Loop: Header=BB355_15 Depth=1
	s_or_b32 exec_lo, exec_lo, s19
	s_delay_alu instid0(VALU_DEP_1) | instskip(NEXT) | instid1(VALU_DEP_2)
	v_dual_lshlrev_b32 v4, 24, v4 :: v_dual_lshlrev_b32 v2, 20, v2
	v_lshl_add_u32 v3, v3, 23, 0x3c000000
	s_delay_alu instid0(VALU_DEP_2) | instskip(NEXT) | instid1(VALU_DEP_1)
	v_and_b32_e32 v4, 0x80000000, v4
	v_or3_b32 v41, v2, v4, v3
.LBB355_1072:                           ;   in Loop: Header=BB355_15 Depth=1
	s_or_b32 exec_lo, exec_lo, s18
.LBB355_1073:                           ;   in Loop: Header=BB355_15 Depth=1
	s_delay_alu instid0(SALU_CYCLE_1)
	s_or_b32 exec_lo, exec_lo, s17
.LBB355_1074:                           ;   in Loop: Header=BB355_15 Depth=1
	s_delay_alu instid0(SALU_CYCLE_1) | instskip(SKIP_4) | instid1(VALU_DEP_3)
	s_or_b32 exec_lo, exec_lo, s16
	v_and_b32_e32 v2, 0xff, v1
	v_dual_mov_b32 v24, v1 :: v_dual_mov_b32 v95, 0
	v_mov_b32_e32 v94, 0
	s_mov_b32 s16, exec_lo
	v_cmpx_ne_u16_e32 0, v2
	s_cbranch_execz .LBB355_1082
; %bb.1075:                             ;   in Loop: Header=BB355_15 Depth=1
	v_bfrev_b32_e32 v94, 1
	s_mov_b32 s17, exec_lo
	v_cmpx_ne_u16_e32 0x80, v2
	s_cbranch_execz .LBB355_1081
; %bb.1076:                             ;   in Loop: Header=BB355_15 Depth=1
	v_and_b32_e32 v4, 0x7f, v1
	v_mov_b32_e32 v94, 0x7f800001
	s_mov_b32 s18, exec_lo
	s_delay_alu instid0(VALU_DEP_2)
	v_cmpx_ne_u32_e32 0x7f, v4
	s_cbranch_execz .LBB355_1080
; %bb.1077:                             ;   in Loop: Header=BB355_15 Depth=1
	v_mov_b64_e32 v[2:3], v[24:25]
	v_lshrrev_b32_e32 v3, 3, v4
	s_mov_b32 s19, exec_lo
	v_cmpx_gt_u32_e32 8, v4
; %bb.1078:                             ;   in Loop: Header=BB355_15 Depth=1
	v_and_b32_e32 v2, 7, v1
	s_delay_alu instid0(VALU_DEP_1) | instskip(NEXT) | instid1(VALU_DEP_1)
	v_clz_i32_u32_e32 v2, v2
	v_min_u32_e32 v4, 32, v2
	s_delay_alu instid0(VALU_DEP_1) | instskip(NEXT) | instid1(VALU_DEP_1)
	v_subrev_nc_u32_e32 v2, 28, v4
	v_lshlrev_b64_e32 v[2:3], v2, v[24:25]
	v_sub_nc_u32_e32 v3, 29, v4
; %bb.1079:                             ;   in Loop: Header=BB355_15 Depth=1
	s_or_b32 exec_lo, exec_lo, s19
	s_delay_alu instid0(VALU_DEP_2) | instskip(NEXT) | instid1(VALU_DEP_2)
	v_dual_lshlrev_b32 v2, 20, v2 :: v_dual_lshlrev_b32 v4, 24, v24
	v_lshl_add_u32 v3, v3, 23, 0x3c000000
	s_delay_alu instid0(VALU_DEP_2) | instskip(NEXT) | instid1(VALU_DEP_3)
	v_and_b32_e32 v2, 0x700000, v2
	v_and_b32_e32 v4, 0x80000000, v4
	s_delay_alu instid0(VALU_DEP_1)
	v_or3_b32 v94, v2, v4, v3
.LBB355_1080:                           ;   in Loop: Header=BB355_15 Depth=1
	s_or_b32 exec_lo, exec_lo, s18
.LBB355_1081:                           ;   in Loop: Header=BB355_15 Depth=1
	s_delay_alu instid0(SALU_CYCLE_1)
	s_or_b32 exec_lo, exec_lo, s17
.LBB355_1082:                           ;   in Loop: Header=BB355_15 Depth=1
	s_delay_alu instid0(SALU_CYCLE_1) | instskip(SKIP_2) | instid1(VALU_DEP_1)
	s_or_b32 exec_lo, exec_lo, s16
	v_lshrrev_b16 v2, 8, v24
	s_mov_b32 s16, exec_lo
	v_cmpx_ne_u16_e32 0, v2
	s_cbranch_execz .LBB355_1090
; %bb.1083:                             ;   in Loop: Header=BB355_15 Depth=1
	v_bfrev_b32_e32 v95, 1
	s_mov_b32 s17, exec_lo
	v_cmpx_ne_u16_e32 0x80, v2
	s_cbranch_execz .LBB355_1089
; %bb.1084:                             ;   in Loop: Header=BB355_15 Depth=1
	v_and_b32_e32 v2, 0xffff, v2
	v_mov_b32_e32 v95, 0x7f800001
	s_mov_b32 s18, exec_lo
	s_delay_alu instid0(VALU_DEP_2) | instskip(NEXT) | instid1(VALU_DEP_1)
	v_and_b32_e32 v5, 0x7f, v2
	v_cmpx_ne_u32_e32 0x7f, v5
	s_cbranch_execz .LBB355_1088
; %bb.1085:                             ;   in Loop: Header=BB355_15 Depth=1
	v_dual_mov_b32 v3, v25 :: v_dual_bitop2_b32 v2, 7, v2 bitop3:0x40
	v_lshrrev_b32_e32 v4, 3, v5
	s_mov_b32 s19, exec_lo
	v_cmpx_gt_u32_e32 8, v5
; %bb.1086:                             ;   in Loop: Header=BB355_15 Depth=1
	s_delay_alu instid0(VALU_DEP_3) | instskip(NEXT) | instid1(VALU_DEP_1)
	v_clz_i32_u32_e32 v4, v2
	v_min_u32_e32 v4, 32, v4
	s_delay_alu instid0(VALU_DEP_1) | instskip(NEXT) | instid1(VALU_DEP_1)
	v_subrev_nc_u32_e32 v5, 28, v4
	v_lshlrev_b64_e32 v[2:3], v5, v[2:3]
	s_delay_alu instid0(VALU_DEP_1)
	v_dual_sub_nc_u32 v4, 29, v4 :: v_dual_bitop2_b32 v2, 7, v2 bitop3:0x40
; %bb.1087:                             ;   in Loop: Header=BB355_15 Depth=1
	s_or_b32 exec_lo, exec_lo, s19
	s_delay_alu instid0(VALU_DEP_1) | instskip(NEXT) | instid1(VALU_DEP_2)
	v_dual_lshlrev_b32 v3, 16, v24 :: v_dual_lshlrev_b32 v2, 20, v2
	v_lshl_add_u32 v4, v4, 23, 0x3c000000
	s_delay_alu instid0(VALU_DEP_2) | instskip(NEXT) | instid1(VALU_DEP_1)
	v_and_b32_e32 v3, 0x80000000, v3
	v_or3_b32 v95, v2, v3, v4
.LBB355_1088:                           ;   in Loop: Header=BB355_15 Depth=1
	s_or_b32 exec_lo, exec_lo, s18
.LBB355_1089:                           ;   in Loop: Header=BB355_15 Depth=1
	s_delay_alu instid0(SALU_CYCLE_1)
	s_or_b32 exec_lo, exec_lo, s17
.LBB355_1090:                           ;   in Loop: Header=BB355_15 Depth=1
	s_delay_alu instid0(SALU_CYCLE_1) | instskip(SKIP_3) | instid1(VALU_DEP_2)
	s_or_b32 exec_lo, exec_lo, s16
	v_dual_mov_b32 v65, 0 :: v_dual_lshrrev_b32 v4, 16, v1
	v_mov_b32_e32 v64, 0
	s_mov_b32 s16, exec_lo
	v_and_b32_e32 v2, 0xff, v4
	s_delay_alu instid0(VALU_DEP_1)
	v_cmpx_ne_u16_e32 0, v2
	s_cbranch_execz .LBB355_1098
; %bb.1091:                             ;   in Loop: Header=BB355_15 Depth=1
	v_bfrev_b32_e32 v64, 1
	s_mov_b32 s17, exec_lo
	v_cmpx_ne_u16_e32 0x80, v2
	s_cbranch_execz .LBB355_1097
; %bb.1092:                             ;   in Loop: Header=BB355_15 Depth=1
	v_bfe_u32 v5, v1, 16, 7
	v_mov_b32_e32 v64, 0x7f800001
	s_mov_b32 s18, exec_lo
	s_delay_alu instid0(VALU_DEP_2)
	v_cmpx_ne_u32_e32 0x7f, v5
	s_cbranch_execz .LBB355_1096
; %bb.1093:                             ;   in Loop: Header=BB355_15 Depth=1
	v_and_b32_e32 v24, 7, v4
	s_mov_b32 s19, exec_lo
	s_delay_alu instid0(VALU_DEP_1)
	v_mov_b64_e32 v[2:3], v[24:25]
	v_lshrrev_b32_e32 v3, 3, v5
	v_cmpx_gt_u32_e32 8, v5
; %bb.1094:                             ;   in Loop: Header=BB355_15 Depth=1
	v_clz_i32_u32_e32 v2, v24
	s_delay_alu instid0(VALU_DEP_1) | instskip(NEXT) | instid1(VALU_DEP_1)
	v_min_u32_e32 v5, 32, v2
	v_subrev_nc_u32_e32 v2, 28, v5
	s_delay_alu instid0(VALU_DEP_1) | instskip(NEXT) | instid1(VALU_DEP_1)
	v_lshlrev_b64_e32 v[2:3], v2, v[24:25]
	v_dual_sub_nc_u32 v3, 29, v5 :: v_dual_bitop2_b32 v2, 7, v2 bitop3:0x40
; %bb.1095:                             ;   in Loop: Header=BB355_15 Depth=1
	s_or_b32 exec_lo, exec_lo, s19
	s_delay_alu instid0(VALU_DEP_1) | instskip(NEXT) | instid1(VALU_DEP_2)
	v_dual_lshlrev_b32 v4, 24, v4 :: v_dual_lshlrev_b32 v2, 20, v2
	v_lshl_add_u32 v3, v3, 23, 0x3c000000
	s_delay_alu instid0(VALU_DEP_2) | instskip(NEXT) | instid1(VALU_DEP_1)
	v_and_b32_e32 v4, 0x80000000, v4
	v_or3_b32 v64, v2, v4, v3
.LBB355_1096:                           ;   in Loop: Header=BB355_15 Depth=1
	s_or_b32 exec_lo, exec_lo, s18
.LBB355_1097:                           ;   in Loop: Header=BB355_15 Depth=1
	s_delay_alu instid0(SALU_CYCLE_1)
	s_or_b32 exec_lo, exec_lo, s17
.LBB355_1098:                           ;   in Loop: Header=BB355_15 Depth=1
	s_delay_alu instid0(SALU_CYCLE_1) | instskip(NEXT) | instid1(SALU_CYCLE_1)
	s_or_b32 exec_lo, exec_lo, s16
	s_mov_b32 s16, exec_lo
	v_cmpx_lt_u64_e64 s[8:9], v[0:1]
	s_cbranch_execz .LBB355_1106
; %bb.1099:                             ;   in Loop: Header=BB355_15 Depth=1
	v_lshrrev_b32_e32 v2, 24, v1
	v_bfrev_b32_e32 v65, 1
	s_mov_b32 s17, exec_lo
	s_delay_alu instid0(VALU_DEP_2)
	v_cmpx_ne_u32_e32 0x80, v2
	s_cbranch_execz .LBB355_1105
; %bb.1100:                             ;   in Loop: Header=BB355_15 Depth=1
	v_bfe_u32 v3, v1, 24, 7
	v_mov_b32_e32 v65, 0x7f800001
	s_mov_b32 s18, exec_lo
	s_delay_alu instid0(VALU_DEP_2)
	v_cmpx_ne_u32_e32 0x7f, v3
	s_cbranch_execz .LBB355_1104
; %bb.1101:                             ;   in Loop: Header=BB355_15 Depth=1
	v_and_b32_e32 v24, 7, v2
	s_mov_b32 s19, exec_lo
	s_delay_alu instid0(VALU_DEP_1)
	v_mov_b64_e32 v[0:1], v[24:25]
	v_lshrrev_b32_e32 v1, 3, v3
	v_cmpx_gt_u32_e32 8, v3
; %bb.1102:                             ;   in Loop: Header=BB355_15 Depth=1
	v_clz_i32_u32_e32 v0, v24
	s_delay_alu instid0(VALU_DEP_1) | instskip(NEXT) | instid1(VALU_DEP_1)
	v_min_u32_e32 v3, 32, v0
	v_subrev_nc_u32_e32 v0, 28, v3
	s_delay_alu instid0(VALU_DEP_1) | instskip(NEXT) | instid1(VALU_DEP_1)
	v_lshlrev_b64_e32 v[0:1], v0, v[24:25]
	v_dual_sub_nc_u32 v1, 29, v3 :: v_dual_bitop2_b32 v0, 7, v0 bitop3:0x40
; %bb.1103:                             ;   in Loop: Header=BB355_15 Depth=1
	s_or_b32 exec_lo, exec_lo, s19
	s_delay_alu instid0(VALU_DEP_1) | instskip(NEXT) | instid1(VALU_DEP_2)
	v_dual_lshlrev_b32 v2, 24, v2 :: v_dual_lshlrev_b32 v0, 20, v0
	v_lshl_add_u32 v1, v1, 23, 0x3c000000
	s_delay_alu instid0(VALU_DEP_2) | instskip(NEXT) | instid1(VALU_DEP_1)
	v_and_b32_e32 v2, 0x80000000, v2
	v_or3_b32 v65, v0, v2, v1
.LBB355_1104:                           ;   in Loop: Header=BB355_15 Depth=1
	s_or_b32 exec_lo, exec_lo, s18
.LBB355_1105:                           ;   in Loop: Header=BB355_15 Depth=1
	s_delay_alu instid0(SALU_CYCLE_1)
	s_or_b32 exec_lo, exec_lo, s17
.LBB355_1106:                           ;   in Loop: Header=BB355_15 Depth=1
	s_delay_alu instid0(SALU_CYCLE_1)
	s_or_b32 exec_lo, exec_lo, s16
	flat_load_b64 v[0:1], v[36:37] offset:4104
	v_dual_mov_b32 v47, 0 :: v_dual_mov_b32 v46, 0
	s_mov_b32 s16, exec_lo
	s_wait_loadcnt_dscnt 0x0
	v_and_b32_e32 v2, 0xff, v0
	s_wait_xcnt 0x0
	s_delay_alu instid0(VALU_DEP_1)
	v_cmpx_ne_u16_e32 0, v2
	s_cbranch_execz .LBB355_1114
; %bb.1107:                             ;   in Loop: Header=BB355_15 Depth=1
	v_bfrev_b32_e32 v46, 1
	s_mov_b32 s17, exec_lo
	v_cmpx_ne_u16_e32 0x80, v2
	s_cbranch_execz .LBB355_1113
; %bb.1108:                             ;   in Loop: Header=BB355_15 Depth=1
	v_and_b32_e32 v2, 0x7f, v0
	v_mov_b32_e32 v46, 0x7f800001
	s_mov_b32 s18, exec_lo
	s_delay_alu instid0(VALU_DEP_2)
	v_cmpx_ne_u32_e32 0x7f, v2
	s_cbranch_execz .LBB355_1112
; %bb.1109:                             ;   in Loop: Header=BB355_15 Depth=1
	v_lshrrev_b32_e32 v4, 3, v2
	v_cmp_gt_u32_e64 s1, 8, v2
	v_mov_b64_e32 v[2:3], v[0:1]
	s_and_saveexec_b32 s19, s1
; %bb.1110:                             ;   in Loop: Header=BB355_15 Depth=1
	v_and_b32_e32 v2, 7, v0
	s_delay_alu instid0(VALU_DEP_1) | instskip(NEXT) | instid1(VALU_DEP_1)
	v_clz_i32_u32_e32 v2, v2
	v_min_u32_e32 v4, 32, v2
	s_delay_alu instid0(VALU_DEP_1) | instskip(SKIP_1) | instid1(VALU_DEP_2)
	v_subrev_nc_u32_e32 v2, 28, v4
	v_sub_nc_u32_e32 v4, 29, v4
	v_lshlrev_b64_e32 v[2:3], v2, v[0:1]
; %bb.1111:                             ;   in Loop: Header=BB355_15 Depth=1
	s_or_b32 exec_lo, exec_lo, s19
	s_delay_alu instid0(VALU_DEP_1) | instskip(NEXT) | instid1(VALU_DEP_3)
	v_dual_lshlrev_b32 v2, 20, v2 :: v_dual_lshlrev_b32 v3, 24, v0
	v_lshl_add_u32 v4, v4, 23, 0x3c000000
	s_delay_alu instid0(VALU_DEP_2) | instskip(NEXT) | instid1(VALU_DEP_3)
	v_and_b32_e32 v2, 0x700000, v2
	v_and_b32_e32 v3, 0x80000000, v3
	s_delay_alu instid0(VALU_DEP_1)
	v_or3_b32 v46, v2, v3, v4
.LBB355_1112:                           ;   in Loop: Header=BB355_15 Depth=1
	s_or_b32 exec_lo, exec_lo, s18
.LBB355_1113:                           ;   in Loop: Header=BB355_15 Depth=1
	s_delay_alu instid0(SALU_CYCLE_1)
	s_or_b32 exec_lo, exec_lo, s17
.LBB355_1114:                           ;   in Loop: Header=BB355_15 Depth=1
	s_delay_alu instid0(SALU_CYCLE_1) | instskip(SKIP_2) | instid1(VALU_DEP_1)
	s_or_b32 exec_lo, exec_lo, s16
	v_lshrrev_b16 v2, 8, v0
	s_mov_b32 s16, exec_lo
	v_cmpx_ne_u16_e32 0, v2
	s_cbranch_execz .LBB355_1122
; %bb.1115:                             ;   in Loop: Header=BB355_15 Depth=1
	v_bfrev_b32_e32 v47, 1
	s_mov_b32 s17, exec_lo
	v_cmpx_ne_u16_e32 0x80, v2
	s_cbranch_execz .LBB355_1121
; %bb.1116:                             ;   in Loop: Header=BB355_15 Depth=1
	v_and_b32_e32 v2, 0xffff, v2
	v_mov_b32_e32 v47, 0x7f800001
	s_mov_b32 s18, exec_lo
	s_delay_alu instid0(VALU_DEP_2) | instskip(NEXT) | instid1(VALU_DEP_1)
	v_and_b32_e32 v4, 0x7f, v2
	v_cmpx_ne_u32_e32 0x7f, v4
	s_cbranch_execz .LBB355_1120
; %bb.1117:                             ;   in Loop: Header=BB355_15 Depth=1
	v_and_b32_e32 v24, 7, v2
	s_mov_b32 s19, exec_lo
	s_delay_alu instid0(VALU_DEP_1)
	v_mov_b64_e32 v[2:3], v[24:25]
	v_lshrrev_b32_e32 v3, 3, v4
	v_cmpx_gt_u32_e32 8, v4
; %bb.1118:                             ;   in Loop: Header=BB355_15 Depth=1
	v_clz_i32_u32_e32 v2, v24
	s_delay_alu instid0(VALU_DEP_1) | instskip(NEXT) | instid1(VALU_DEP_1)
	v_min_u32_e32 v4, 32, v2
	v_subrev_nc_u32_e32 v2, 28, v4
	s_delay_alu instid0(VALU_DEP_1) | instskip(NEXT) | instid1(VALU_DEP_1)
	v_lshlrev_b64_e32 v[2:3], v2, v[24:25]
	v_dual_sub_nc_u32 v3, 29, v4 :: v_dual_bitop2_b32 v2, 7, v2 bitop3:0x40
; %bb.1119:                             ;   in Loop: Header=BB355_15 Depth=1
	s_or_b32 exec_lo, exec_lo, s19
	s_delay_alu instid0(VALU_DEP_1) | instskip(NEXT) | instid1(VALU_DEP_2)
	v_dual_lshlrev_b32 v4, 16, v0 :: v_dual_lshlrev_b32 v2, 20, v2
	v_lshl_add_u32 v3, v3, 23, 0x3c000000
	s_delay_alu instid0(VALU_DEP_2) | instskip(NEXT) | instid1(VALU_DEP_1)
	v_and_b32_e32 v4, 0x80000000, v4
	v_or3_b32 v47, v2, v4, v3
.LBB355_1120:                           ;   in Loop: Header=BB355_15 Depth=1
	s_or_b32 exec_lo, exec_lo, s18
.LBB355_1121:                           ;   in Loop: Header=BB355_15 Depth=1
	s_delay_alu instid0(SALU_CYCLE_1)
	s_or_b32 exec_lo, exec_lo, s17
.LBB355_1122:                           ;   in Loop: Header=BB355_15 Depth=1
	s_delay_alu instid0(SALU_CYCLE_1) | instskip(SKIP_3) | instid1(VALU_DEP_2)
	s_or_b32 exec_lo, exec_lo, s16
	v_dual_mov_b32 v73, 0 :: v_dual_lshrrev_b32 v4, 16, v0
	v_mov_b32_e32 v72, 0
	s_mov_b32 s16, exec_lo
	v_and_b32_e32 v2, 0xff, v4
	s_delay_alu instid0(VALU_DEP_1)
	v_cmpx_ne_u16_e32 0, v2
	s_cbranch_execz .LBB355_1130
; %bb.1123:                             ;   in Loop: Header=BB355_15 Depth=1
	v_bfrev_b32_e32 v72, 1
	s_mov_b32 s17, exec_lo
	v_cmpx_ne_u16_e32 0x80, v2
	s_cbranch_execz .LBB355_1129
; %bb.1124:                             ;   in Loop: Header=BB355_15 Depth=1
	v_bfe_u32 v5, v0, 16, 7
	v_mov_b32_e32 v72, 0x7f800001
	s_mov_b32 s18, exec_lo
	s_delay_alu instid0(VALU_DEP_2)
	v_cmpx_ne_u32_e32 0x7f, v5
	s_cbranch_execz .LBB355_1128
; %bb.1125:                             ;   in Loop: Header=BB355_15 Depth=1
	v_and_b32_e32 v24, 7, v4
	s_mov_b32 s19, exec_lo
	s_delay_alu instid0(VALU_DEP_1)
	v_mov_b64_e32 v[2:3], v[24:25]
	v_lshrrev_b32_e32 v3, 3, v5
	v_cmpx_gt_u32_e32 8, v5
; %bb.1126:                             ;   in Loop: Header=BB355_15 Depth=1
	v_clz_i32_u32_e32 v2, v24
	s_delay_alu instid0(VALU_DEP_1) | instskip(NEXT) | instid1(VALU_DEP_1)
	v_min_u32_e32 v5, 32, v2
	v_subrev_nc_u32_e32 v2, 28, v5
	s_delay_alu instid0(VALU_DEP_1) | instskip(NEXT) | instid1(VALU_DEP_1)
	v_lshlrev_b64_e32 v[2:3], v2, v[24:25]
	v_dual_sub_nc_u32 v3, 29, v5 :: v_dual_bitop2_b32 v2, 7, v2 bitop3:0x40
; %bb.1127:                             ;   in Loop: Header=BB355_15 Depth=1
	s_or_b32 exec_lo, exec_lo, s19
	s_delay_alu instid0(VALU_DEP_1) | instskip(NEXT) | instid1(VALU_DEP_2)
	v_dual_lshlrev_b32 v4, 24, v4 :: v_dual_lshlrev_b32 v2, 20, v2
	v_lshl_add_u32 v3, v3, 23, 0x3c000000
	s_delay_alu instid0(VALU_DEP_2) | instskip(NEXT) | instid1(VALU_DEP_1)
	v_and_b32_e32 v4, 0x80000000, v4
	v_or3_b32 v72, v2, v4, v3
.LBB355_1128:                           ;   in Loop: Header=BB355_15 Depth=1
	s_or_b32 exec_lo, exec_lo, s18
.LBB355_1129:                           ;   in Loop: Header=BB355_15 Depth=1
	s_delay_alu instid0(SALU_CYCLE_1)
	s_or_b32 exec_lo, exec_lo, s17
.LBB355_1130:                           ;   in Loop: Header=BB355_15 Depth=1
	s_delay_alu instid0(SALU_CYCLE_1) | instskip(NEXT) | instid1(SALU_CYCLE_1)
	s_or_b32 exec_lo, exec_lo, s16
	s_mov_b32 s16, exec_lo
	v_cmpx_lt_u32_e32 0xffffff, v0
	s_cbranch_execz .LBB355_1138
; %bb.1131:                             ;   in Loop: Header=BB355_15 Depth=1
	v_lshrrev_b32_e32 v4, 24, v0
	v_bfrev_b32_e32 v73, 1
	s_mov_b32 s17, exec_lo
	s_delay_alu instid0(VALU_DEP_2)
	v_cmpx_ne_u32_e32 0x80, v4
	s_cbranch_execz .LBB355_1137
; %bb.1132:                             ;   in Loop: Header=BB355_15 Depth=1
	v_bfe_u32 v5, v0, 24, 7
	v_mov_b32_e32 v73, 0x7f800001
	s_mov_b32 s18, exec_lo
	s_delay_alu instid0(VALU_DEP_2)
	v_cmpx_ne_u32_e32 0x7f, v5
	s_cbranch_execz .LBB355_1136
; %bb.1133:                             ;   in Loop: Header=BB355_15 Depth=1
	v_and_b32_e32 v24, 7, v4
	s_mov_b32 s19, exec_lo
	s_delay_alu instid0(VALU_DEP_1)
	v_mov_b64_e32 v[2:3], v[24:25]
	v_lshrrev_b32_e32 v3, 3, v5
	v_cmpx_gt_u32_e32 8, v5
; %bb.1134:                             ;   in Loop: Header=BB355_15 Depth=1
	v_clz_i32_u32_e32 v2, v24
	s_delay_alu instid0(VALU_DEP_1) | instskip(NEXT) | instid1(VALU_DEP_1)
	v_min_u32_e32 v5, 32, v2
	v_subrev_nc_u32_e32 v2, 28, v5
	s_delay_alu instid0(VALU_DEP_1) | instskip(NEXT) | instid1(VALU_DEP_1)
	v_lshlrev_b64_e32 v[2:3], v2, v[24:25]
	v_dual_sub_nc_u32 v3, 29, v5 :: v_dual_bitop2_b32 v2, 7, v2 bitop3:0x40
; %bb.1135:                             ;   in Loop: Header=BB355_15 Depth=1
	s_or_b32 exec_lo, exec_lo, s19
	s_delay_alu instid0(VALU_DEP_1) | instskip(NEXT) | instid1(VALU_DEP_2)
	v_dual_lshlrev_b32 v4, 24, v4 :: v_dual_lshlrev_b32 v2, 20, v2
	v_lshl_add_u32 v3, v3, 23, 0x3c000000
	s_delay_alu instid0(VALU_DEP_2) | instskip(NEXT) | instid1(VALU_DEP_1)
	v_and_b32_e32 v4, 0x80000000, v4
	v_or3_b32 v73, v2, v4, v3
.LBB355_1136:                           ;   in Loop: Header=BB355_15 Depth=1
	s_or_b32 exec_lo, exec_lo, s18
.LBB355_1137:                           ;   in Loop: Header=BB355_15 Depth=1
	s_delay_alu instid0(SALU_CYCLE_1)
	s_or_b32 exec_lo, exec_lo, s17
.LBB355_1138:                           ;   in Loop: Header=BB355_15 Depth=1
	s_delay_alu instid0(SALU_CYCLE_1) | instskip(SKIP_4) | instid1(VALU_DEP_3)
	s_or_b32 exec_lo, exec_lo, s16
	v_and_b32_e32 v2, 0xff, v1
	v_dual_mov_b32 v24, v1 :: v_dual_mov_b32 v69, 0
	v_mov_b32_e32 v68, 0
	s_mov_b32 s16, exec_lo
	v_cmpx_ne_u16_e32 0, v2
	s_cbranch_execz .LBB355_1146
; %bb.1139:                             ;   in Loop: Header=BB355_15 Depth=1
	v_bfrev_b32_e32 v68, 1
	s_mov_b32 s17, exec_lo
	v_cmpx_ne_u16_e32 0x80, v2
	s_cbranch_execz .LBB355_1145
; %bb.1140:                             ;   in Loop: Header=BB355_15 Depth=1
	v_and_b32_e32 v4, 0x7f, v1
	v_mov_b32_e32 v68, 0x7f800001
	s_mov_b32 s18, exec_lo
	s_delay_alu instid0(VALU_DEP_2)
	v_cmpx_ne_u32_e32 0x7f, v4
	s_cbranch_execz .LBB355_1144
; %bb.1141:                             ;   in Loop: Header=BB355_15 Depth=1
	v_mov_b64_e32 v[2:3], v[24:25]
	v_lshrrev_b32_e32 v3, 3, v4
	s_mov_b32 s19, exec_lo
	v_cmpx_gt_u32_e32 8, v4
; %bb.1142:                             ;   in Loop: Header=BB355_15 Depth=1
	v_and_b32_e32 v2, 7, v1
	s_delay_alu instid0(VALU_DEP_1) | instskip(NEXT) | instid1(VALU_DEP_1)
	v_clz_i32_u32_e32 v2, v2
	v_min_u32_e32 v4, 32, v2
	s_delay_alu instid0(VALU_DEP_1) | instskip(NEXT) | instid1(VALU_DEP_1)
	v_subrev_nc_u32_e32 v2, 28, v4
	v_lshlrev_b64_e32 v[2:3], v2, v[24:25]
	v_sub_nc_u32_e32 v3, 29, v4
; %bb.1143:                             ;   in Loop: Header=BB355_15 Depth=1
	s_or_b32 exec_lo, exec_lo, s19
	s_delay_alu instid0(VALU_DEP_2) | instskip(NEXT) | instid1(VALU_DEP_2)
	v_dual_lshlrev_b32 v2, 20, v2 :: v_dual_lshlrev_b32 v4, 24, v24
	v_lshl_add_u32 v3, v3, 23, 0x3c000000
	s_delay_alu instid0(VALU_DEP_2) | instskip(NEXT) | instid1(VALU_DEP_3)
	v_and_b32_e32 v2, 0x700000, v2
	v_and_b32_e32 v4, 0x80000000, v4
	s_delay_alu instid0(VALU_DEP_1)
	v_or3_b32 v68, v2, v4, v3
.LBB355_1144:                           ;   in Loop: Header=BB355_15 Depth=1
	s_or_b32 exec_lo, exec_lo, s18
.LBB355_1145:                           ;   in Loop: Header=BB355_15 Depth=1
	s_delay_alu instid0(SALU_CYCLE_1)
	s_or_b32 exec_lo, exec_lo, s17
.LBB355_1146:                           ;   in Loop: Header=BB355_15 Depth=1
	s_delay_alu instid0(SALU_CYCLE_1) | instskip(SKIP_2) | instid1(VALU_DEP_1)
	s_or_b32 exec_lo, exec_lo, s16
	v_lshrrev_b16 v2, 8, v24
	s_mov_b32 s16, exec_lo
	v_cmpx_ne_u16_e32 0, v2
	s_cbranch_execz .LBB355_1154
; %bb.1147:                             ;   in Loop: Header=BB355_15 Depth=1
	v_bfrev_b32_e32 v69, 1
	s_mov_b32 s17, exec_lo
	v_cmpx_ne_u16_e32 0x80, v2
	s_cbranch_execz .LBB355_1153
; %bb.1148:                             ;   in Loop: Header=BB355_15 Depth=1
	v_and_b32_e32 v2, 0xffff, v2
	v_mov_b32_e32 v69, 0x7f800001
	s_mov_b32 s18, exec_lo
	s_delay_alu instid0(VALU_DEP_2) | instskip(NEXT) | instid1(VALU_DEP_1)
	v_and_b32_e32 v5, 0x7f, v2
	v_cmpx_ne_u32_e32 0x7f, v5
	s_cbranch_execz .LBB355_1152
; %bb.1149:                             ;   in Loop: Header=BB355_15 Depth=1
	v_dual_mov_b32 v3, v25 :: v_dual_bitop2_b32 v2, 7, v2 bitop3:0x40
	v_lshrrev_b32_e32 v4, 3, v5
	s_mov_b32 s19, exec_lo
	v_cmpx_gt_u32_e32 8, v5
; %bb.1150:                             ;   in Loop: Header=BB355_15 Depth=1
	s_delay_alu instid0(VALU_DEP_3) | instskip(NEXT) | instid1(VALU_DEP_1)
	v_clz_i32_u32_e32 v4, v2
	v_min_u32_e32 v4, 32, v4
	s_delay_alu instid0(VALU_DEP_1) | instskip(NEXT) | instid1(VALU_DEP_1)
	v_subrev_nc_u32_e32 v5, 28, v4
	v_lshlrev_b64_e32 v[2:3], v5, v[2:3]
	s_delay_alu instid0(VALU_DEP_1)
	v_dual_sub_nc_u32 v4, 29, v4 :: v_dual_bitop2_b32 v2, 7, v2 bitop3:0x40
; %bb.1151:                             ;   in Loop: Header=BB355_15 Depth=1
	s_or_b32 exec_lo, exec_lo, s19
	s_delay_alu instid0(VALU_DEP_1) | instskip(NEXT) | instid1(VALU_DEP_2)
	v_dual_lshlrev_b32 v3, 16, v24 :: v_dual_lshlrev_b32 v2, 20, v2
	v_lshl_add_u32 v4, v4, 23, 0x3c000000
	s_delay_alu instid0(VALU_DEP_2) | instskip(NEXT) | instid1(VALU_DEP_1)
	v_and_b32_e32 v3, 0x80000000, v3
	v_or3_b32 v69, v2, v3, v4
.LBB355_1152:                           ;   in Loop: Header=BB355_15 Depth=1
	s_or_b32 exec_lo, exec_lo, s18
.LBB355_1153:                           ;   in Loop: Header=BB355_15 Depth=1
	s_delay_alu instid0(SALU_CYCLE_1)
	s_or_b32 exec_lo, exec_lo, s17
.LBB355_1154:                           ;   in Loop: Header=BB355_15 Depth=1
	s_delay_alu instid0(SALU_CYCLE_1) | instskip(SKIP_3) | instid1(VALU_DEP_2)
	s_or_b32 exec_lo, exec_lo, s16
	v_dual_mov_b32 v55, 0 :: v_dual_lshrrev_b32 v4, 16, v1
	v_mov_b32_e32 v54, 0
	s_mov_b32 s16, exec_lo
	v_and_b32_e32 v2, 0xff, v4
	s_delay_alu instid0(VALU_DEP_1)
	v_cmpx_ne_u16_e32 0, v2
	s_cbranch_execz .LBB355_1162
; %bb.1155:                             ;   in Loop: Header=BB355_15 Depth=1
	v_bfrev_b32_e32 v54, 1
	s_mov_b32 s17, exec_lo
	v_cmpx_ne_u16_e32 0x80, v2
	s_cbranch_execz .LBB355_1161
; %bb.1156:                             ;   in Loop: Header=BB355_15 Depth=1
	v_bfe_u32 v5, v1, 16, 7
	v_mov_b32_e32 v54, 0x7f800001
	s_mov_b32 s18, exec_lo
	s_delay_alu instid0(VALU_DEP_2)
	v_cmpx_ne_u32_e32 0x7f, v5
	s_cbranch_execz .LBB355_1160
; %bb.1157:                             ;   in Loop: Header=BB355_15 Depth=1
	v_and_b32_e32 v24, 7, v4
	s_mov_b32 s19, exec_lo
	s_delay_alu instid0(VALU_DEP_1)
	v_mov_b64_e32 v[2:3], v[24:25]
	v_lshrrev_b32_e32 v3, 3, v5
	v_cmpx_gt_u32_e32 8, v5
; %bb.1158:                             ;   in Loop: Header=BB355_15 Depth=1
	v_clz_i32_u32_e32 v2, v24
	s_delay_alu instid0(VALU_DEP_1) | instskip(NEXT) | instid1(VALU_DEP_1)
	v_min_u32_e32 v5, 32, v2
	v_subrev_nc_u32_e32 v2, 28, v5
	s_delay_alu instid0(VALU_DEP_1) | instskip(NEXT) | instid1(VALU_DEP_1)
	v_lshlrev_b64_e32 v[2:3], v2, v[24:25]
	v_dual_sub_nc_u32 v3, 29, v5 :: v_dual_bitop2_b32 v2, 7, v2 bitop3:0x40
; %bb.1159:                             ;   in Loop: Header=BB355_15 Depth=1
	s_or_b32 exec_lo, exec_lo, s19
	s_delay_alu instid0(VALU_DEP_1) | instskip(NEXT) | instid1(VALU_DEP_2)
	v_dual_lshlrev_b32 v4, 24, v4 :: v_dual_lshlrev_b32 v2, 20, v2
	v_lshl_add_u32 v3, v3, 23, 0x3c000000
	s_delay_alu instid0(VALU_DEP_2) | instskip(NEXT) | instid1(VALU_DEP_1)
	v_and_b32_e32 v4, 0x80000000, v4
	v_or3_b32 v54, v2, v4, v3
.LBB355_1160:                           ;   in Loop: Header=BB355_15 Depth=1
	s_or_b32 exec_lo, exec_lo, s18
.LBB355_1161:                           ;   in Loop: Header=BB355_15 Depth=1
	s_delay_alu instid0(SALU_CYCLE_1)
	s_or_b32 exec_lo, exec_lo, s17
.LBB355_1162:                           ;   in Loop: Header=BB355_15 Depth=1
	s_delay_alu instid0(SALU_CYCLE_1) | instskip(NEXT) | instid1(SALU_CYCLE_1)
	s_or_b32 exec_lo, exec_lo, s16
	s_mov_b32 s16, exec_lo
	v_cmpx_lt_u64_e64 s[8:9], v[0:1]
	s_cbranch_execz .LBB355_1170
; %bb.1163:                             ;   in Loop: Header=BB355_15 Depth=1
	v_lshrrev_b32_e32 v2, 24, v1
	v_bfrev_b32_e32 v55, 1
	s_mov_b32 s17, exec_lo
	s_delay_alu instid0(VALU_DEP_2)
	v_cmpx_ne_u32_e32 0x80, v2
	s_cbranch_execz .LBB355_1169
; %bb.1164:                             ;   in Loop: Header=BB355_15 Depth=1
	v_bfe_u32 v3, v1, 24, 7
	v_mov_b32_e32 v55, 0x7f800001
	s_mov_b32 s18, exec_lo
	s_delay_alu instid0(VALU_DEP_2)
	v_cmpx_ne_u32_e32 0x7f, v3
	s_cbranch_execz .LBB355_1168
; %bb.1165:                             ;   in Loop: Header=BB355_15 Depth=1
	v_and_b32_e32 v24, 7, v2
	s_mov_b32 s19, exec_lo
	s_delay_alu instid0(VALU_DEP_1)
	v_mov_b64_e32 v[0:1], v[24:25]
	v_lshrrev_b32_e32 v1, 3, v3
	v_cmpx_gt_u32_e32 8, v3
; %bb.1166:                             ;   in Loop: Header=BB355_15 Depth=1
	v_clz_i32_u32_e32 v0, v24
	s_delay_alu instid0(VALU_DEP_1) | instskip(NEXT) | instid1(VALU_DEP_1)
	v_min_u32_e32 v3, 32, v0
	v_subrev_nc_u32_e32 v0, 28, v3
	s_delay_alu instid0(VALU_DEP_1) | instskip(NEXT) | instid1(VALU_DEP_1)
	v_lshlrev_b64_e32 v[0:1], v0, v[24:25]
	v_dual_sub_nc_u32 v1, 29, v3 :: v_dual_bitop2_b32 v0, 7, v0 bitop3:0x40
; %bb.1167:                             ;   in Loop: Header=BB355_15 Depth=1
	s_or_b32 exec_lo, exec_lo, s19
	s_delay_alu instid0(VALU_DEP_1) | instskip(NEXT) | instid1(VALU_DEP_2)
	v_dual_lshlrev_b32 v2, 24, v2 :: v_dual_lshlrev_b32 v0, 20, v0
	v_lshl_add_u32 v1, v1, 23, 0x3c000000
	s_delay_alu instid0(VALU_DEP_2) | instskip(NEXT) | instid1(VALU_DEP_1)
	v_and_b32_e32 v2, 0x80000000, v2
	v_or3_b32 v55, v0, v2, v1
.LBB355_1168:                           ;   in Loop: Header=BB355_15 Depth=1
	s_or_b32 exec_lo, exec_lo, s18
.LBB355_1169:                           ;   in Loop: Header=BB355_15 Depth=1
	s_delay_alu instid0(SALU_CYCLE_1)
	s_or_b32 exec_lo, exec_lo, s17
.LBB355_1170:                           ;   in Loop: Header=BB355_15 Depth=1
	s_delay_alu instid0(SALU_CYCLE_1)
	s_or_b32 exec_lo, exec_lo, s16
	flat_load_b64 v[0:1], v[36:37] offset:4608
	v_dual_mov_b32 v15, 0 :: v_dual_mov_b32 v14, 0
	s_mov_b32 s16, exec_lo
	s_wait_loadcnt_dscnt 0x0
	v_and_b32_e32 v2, 0xff, v0
	s_wait_xcnt 0x0
	s_delay_alu instid0(VALU_DEP_1)
	v_cmpx_ne_u16_e32 0, v2
	s_cbranch_execz .LBB355_1178
; %bb.1171:                             ;   in Loop: Header=BB355_15 Depth=1
	v_bfrev_b32_e32 v14, 1
	s_mov_b32 s17, exec_lo
	v_cmpx_ne_u16_e32 0x80, v2
	s_cbranch_execz .LBB355_1177
; %bb.1172:                             ;   in Loop: Header=BB355_15 Depth=1
	v_and_b32_e32 v2, 0x7f, v0
	v_mov_b32_e32 v14, 0x7f800001
	s_mov_b32 s18, exec_lo
	s_delay_alu instid0(VALU_DEP_2)
	v_cmpx_ne_u32_e32 0x7f, v2
	s_cbranch_execz .LBB355_1176
; %bb.1173:                             ;   in Loop: Header=BB355_15 Depth=1
	v_lshrrev_b32_e32 v4, 3, v2
	v_cmp_gt_u32_e64 s1, 8, v2
	v_mov_b64_e32 v[2:3], v[0:1]
	s_and_saveexec_b32 s19, s1
; %bb.1174:                             ;   in Loop: Header=BB355_15 Depth=1
	v_and_b32_e32 v2, 7, v0
	s_delay_alu instid0(VALU_DEP_1) | instskip(NEXT) | instid1(VALU_DEP_1)
	v_clz_i32_u32_e32 v2, v2
	v_min_u32_e32 v4, 32, v2
	s_delay_alu instid0(VALU_DEP_1) | instskip(SKIP_1) | instid1(VALU_DEP_2)
	v_subrev_nc_u32_e32 v2, 28, v4
	v_sub_nc_u32_e32 v4, 29, v4
	v_lshlrev_b64_e32 v[2:3], v2, v[0:1]
; %bb.1175:                             ;   in Loop: Header=BB355_15 Depth=1
	s_or_b32 exec_lo, exec_lo, s19
	s_delay_alu instid0(VALU_DEP_1) | instskip(NEXT) | instid1(VALU_DEP_3)
	v_dual_lshlrev_b32 v2, 20, v2 :: v_dual_lshlrev_b32 v3, 24, v0
	v_lshl_add_u32 v4, v4, 23, 0x3c000000
	s_delay_alu instid0(VALU_DEP_2) | instskip(NEXT) | instid1(VALU_DEP_3)
	v_and_b32_e32 v2, 0x700000, v2
	v_and_b32_e32 v3, 0x80000000, v3
	s_delay_alu instid0(VALU_DEP_1)
	v_or3_b32 v14, v2, v3, v4
.LBB355_1176:                           ;   in Loop: Header=BB355_15 Depth=1
	s_or_b32 exec_lo, exec_lo, s18
.LBB355_1177:                           ;   in Loop: Header=BB355_15 Depth=1
	s_delay_alu instid0(SALU_CYCLE_1)
	s_or_b32 exec_lo, exec_lo, s17
.LBB355_1178:                           ;   in Loop: Header=BB355_15 Depth=1
	s_delay_alu instid0(SALU_CYCLE_1) | instskip(SKIP_2) | instid1(VALU_DEP_1)
	s_or_b32 exec_lo, exec_lo, s16
	v_lshrrev_b16 v2, 8, v0
	s_mov_b32 s16, exec_lo
	v_cmpx_ne_u16_e32 0, v2
	s_cbranch_execz .LBB355_1186
; %bb.1179:                             ;   in Loop: Header=BB355_15 Depth=1
	v_bfrev_b32_e32 v15, 1
	s_mov_b32 s17, exec_lo
	v_cmpx_ne_u16_e32 0x80, v2
	s_cbranch_execz .LBB355_1185
; %bb.1180:                             ;   in Loop: Header=BB355_15 Depth=1
	v_and_b32_e32 v2, 0xffff, v2
	v_mov_b32_e32 v15, 0x7f800001
	s_mov_b32 s18, exec_lo
	s_delay_alu instid0(VALU_DEP_2) | instskip(NEXT) | instid1(VALU_DEP_1)
	v_and_b32_e32 v4, 0x7f, v2
	v_cmpx_ne_u32_e32 0x7f, v4
	s_cbranch_execz .LBB355_1184
; %bb.1181:                             ;   in Loop: Header=BB355_15 Depth=1
	v_and_b32_e32 v24, 7, v2
	s_mov_b32 s19, exec_lo
	s_delay_alu instid0(VALU_DEP_1)
	v_mov_b64_e32 v[2:3], v[24:25]
	v_lshrrev_b32_e32 v3, 3, v4
	v_cmpx_gt_u32_e32 8, v4
; %bb.1182:                             ;   in Loop: Header=BB355_15 Depth=1
	v_clz_i32_u32_e32 v2, v24
	s_delay_alu instid0(VALU_DEP_1) | instskip(NEXT) | instid1(VALU_DEP_1)
	v_min_u32_e32 v4, 32, v2
	v_subrev_nc_u32_e32 v2, 28, v4
	s_delay_alu instid0(VALU_DEP_1) | instskip(NEXT) | instid1(VALU_DEP_1)
	v_lshlrev_b64_e32 v[2:3], v2, v[24:25]
	v_dual_sub_nc_u32 v3, 29, v4 :: v_dual_bitop2_b32 v2, 7, v2 bitop3:0x40
; %bb.1183:                             ;   in Loop: Header=BB355_15 Depth=1
	s_or_b32 exec_lo, exec_lo, s19
	s_delay_alu instid0(VALU_DEP_1) | instskip(NEXT) | instid1(VALU_DEP_2)
	v_dual_lshlrev_b32 v4, 16, v0 :: v_dual_lshlrev_b32 v2, 20, v2
	v_lshl_add_u32 v3, v3, 23, 0x3c000000
	s_delay_alu instid0(VALU_DEP_2) | instskip(NEXT) | instid1(VALU_DEP_1)
	v_and_b32_e32 v4, 0x80000000, v4
	v_or3_b32 v15, v2, v4, v3
.LBB355_1184:                           ;   in Loop: Header=BB355_15 Depth=1
	s_or_b32 exec_lo, exec_lo, s18
.LBB355_1185:                           ;   in Loop: Header=BB355_15 Depth=1
	s_delay_alu instid0(SALU_CYCLE_1)
	s_or_b32 exec_lo, exec_lo, s17
.LBB355_1186:                           ;   in Loop: Header=BB355_15 Depth=1
	s_delay_alu instid0(SALU_CYCLE_1) | instskip(SKIP_3) | instid1(VALU_DEP_2)
	s_or_b32 exec_lo, exec_lo, s16
	v_dual_mov_b32 v5, 0 :: v_dual_lshrrev_b32 v6, 16, v0
	v_mov_b32_e32 v4, 0
	s_mov_b32 s16, exec_lo
	v_and_b32_e32 v2, 0xff, v6
	s_delay_alu instid0(VALU_DEP_1)
	v_cmpx_ne_u16_e32 0, v2
	s_cbranch_execz .LBB355_1194
; %bb.1187:                             ;   in Loop: Header=BB355_15 Depth=1
	v_bfrev_b32_e32 v4, 1
	s_mov_b32 s17, exec_lo
	v_cmpx_ne_u16_e32 0x80, v2
	s_cbranch_execz .LBB355_1193
; %bb.1188:                             ;   in Loop: Header=BB355_15 Depth=1
	v_bfe_u32 v7, v0, 16, 7
	v_mov_b32_e32 v4, 0x7f800001
	s_mov_b32 s18, exec_lo
	s_delay_alu instid0(VALU_DEP_2)
	v_cmpx_ne_u32_e32 0x7f, v7
	s_cbranch_execz .LBB355_1192
; %bb.1189:                             ;   in Loop: Header=BB355_15 Depth=1
	v_and_b32_e32 v24, 7, v6
	s_mov_b32 s19, exec_lo
	s_delay_alu instid0(VALU_DEP_1)
	v_mov_b64_e32 v[2:3], v[24:25]
	v_lshrrev_b32_e32 v3, 3, v7
	v_cmpx_gt_u32_e32 8, v7
; %bb.1190:                             ;   in Loop: Header=BB355_15 Depth=1
	v_clz_i32_u32_e32 v2, v24
	s_delay_alu instid0(VALU_DEP_1) | instskip(NEXT) | instid1(VALU_DEP_1)
	v_min_u32_e32 v4, 32, v2
	v_subrev_nc_u32_e32 v2, 28, v4
	s_delay_alu instid0(VALU_DEP_1) | instskip(NEXT) | instid1(VALU_DEP_1)
	v_lshlrev_b64_e32 v[2:3], v2, v[24:25]
	v_dual_sub_nc_u32 v3, 29, v4 :: v_dual_bitop2_b32 v2, 7, v2 bitop3:0x40
; %bb.1191:                             ;   in Loop: Header=BB355_15 Depth=1
	s_or_b32 exec_lo, exec_lo, s19
	v_lshlrev_b32_e32 v4, 24, v6
	s_delay_alu instid0(VALU_DEP_2) | instskip(NEXT) | instid1(VALU_DEP_3)
	v_lshlrev_b32_e32 v2, 20, v2
	v_lshl_add_u32 v3, v3, 23, 0x3c000000
	s_delay_alu instid0(VALU_DEP_3) | instskip(NEXT) | instid1(VALU_DEP_1)
	v_and_b32_e32 v4, 0x80000000, v4
	v_or3_b32 v4, v2, v4, v3
.LBB355_1192:                           ;   in Loop: Header=BB355_15 Depth=1
	s_or_b32 exec_lo, exec_lo, s18
.LBB355_1193:                           ;   in Loop: Header=BB355_15 Depth=1
	s_delay_alu instid0(SALU_CYCLE_1)
	s_or_b32 exec_lo, exec_lo, s17
.LBB355_1194:                           ;   in Loop: Header=BB355_15 Depth=1
	s_delay_alu instid0(SALU_CYCLE_1) | instskip(NEXT) | instid1(SALU_CYCLE_1)
	s_or_b32 exec_lo, exec_lo, s16
	s_mov_b32 s16, exec_lo
	v_cmpx_lt_u32_e32 0xffffff, v0
	s_cbranch_execz .LBB355_1202
; %bb.1195:                             ;   in Loop: Header=BB355_15 Depth=1
	v_lshrrev_b32_e32 v6, 24, v0
	v_bfrev_b32_e32 v5, 1
	s_mov_b32 s17, exec_lo
	s_delay_alu instid0(VALU_DEP_2)
	v_cmpx_ne_u32_e32 0x80, v6
	s_cbranch_execz .LBB355_1201
; %bb.1196:                             ;   in Loop: Header=BB355_15 Depth=1
	v_bfe_u32 v7, v0, 24, 7
	v_mov_b32_e32 v5, 0x7f800001
	s_mov_b32 s18, exec_lo
	s_delay_alu instid0(VALU_DEP_2)
	v_cmpx_ne_u32_e32 0x7f, v7
	s_cbranch_execz .LBB355_1200
; %bb.1197:                             ;   in Loop: Header=BB355_15 Depth=1
	v_and_b32_e32 v24, 7, v6
	s_mov_b32 s19, exec_lo
	s_delay_alu instid0(VALU_DEP_1)
	v_mov_b64_e32 v[2:3], v[24:25]
	v_lshrrev_b32_e32 v3, 3, v7
	v_cmpx_gt_u32_e32 8, v7
; %bb.1198:                             ;   in Loop: Header=BB355_15 Depth=1
	v_clz_i32_u32_e32 v2, v24
	s_delay_alu instid0(VALU_DEP_1) | instskip(NEXT) | instid1(VALU_DEP_1)
	v_min_u32_e32 v5, 32, v2
	v_subrev_nc_u32_e32 v2, 28, v5
	s_delay_alu instid0(VALU_DEP_1) | instskip(NEXT) | instid1(VALU_DEP_1)
	v_lshlrev_b64_e32 v[2:3], v2, v[24:25]
	v_dual_sub_nc_u32 v3, 29, v5 :: v_dual_bitop2_b32 v2, 7, v2 bitop3:0x40
; %bb.1199:                             ;   in Loop: Header=BB355_15 Depth=1
	s_or_b32 exec_lo, exec_lo, s19
	v_lshlrev_b32_e32 v5, 24, v6
	s_delay_alu instid0(VALU_DEP_2) | instskip(NEXT) | instid1(VALU_DEP_3)
	v_lshlrev_b32_e32 v2, 20, v2
	v_lshl_add_u32 v3, v3, 23, 0x3c000000
	s_delay_alu instid0(VALU_DEP_3) | instskip(NEXT) | instid1(VALU_DEP_1)
	v_and_b32_e32 v5, 0x80000000, v5
	v_or3_b32 v5, v2, v5, v3
.LBB355_1200:                           ;   in Loop: Header=BB355_15 Depth=1
	s_or_b32 exec_lo, exec_lo, s18
.LBB355_1201:                           ;   in Loop: Header=BB355_15 Depth=1
	s_delay_alu instid0(SALU_CYCLE_1)
	s_or_b32 exec_lo, exec_lo, s17
.LBB355_1202:                           ;   in Loop: Header=BB355_15 Depth=1
	s_delay_alu instid0(SALU_CYCLE_1) | instskip(SKIP_4) | instid1(VALU_DEP_3)
	s_or_b32 exec_lo, exec_lo, s16
	v_and_b32_e32 v2, 0xff, v1
	v_dual_mov_b32 v24, v1 :: v_dual_mov_b32 v17, 0
	v_mov_b32_e32 v16, 0
	s_mov_b32 s16, exec_lo
	v_cmpx_ne_u16_e32 0, v2
	s_cbranch_execz .LBB355_1210
; %bb.1203:                             ;   in Loop: Header=BB355_15 Depth=1
	v_bfrev_b32_e32 v16, 1
	s_mov_b32 s17, exec_lo
	v_cmpx_ne_u16_e32 0x80, v2
	s_cbranch_execz .LBB355_1209
; %bb.1204:                             ;   in Loop: Header=BB355_15 Depth=1
	v_and_b32_e32 v6, 0x7f, v1
	v_mov_b32_e32 v16, 0x7f800001
	s_mov_b32 s18, exec_lo
	s_delay_alu instid0(VALU_DEP_2)
	v_cmpx_ne_u32_e32 0x7f, v6
	s_cbranch_execz .LBB355_1208
; %bb.1205:                             ;   in Loop: Header=BB355_15 Depth=1
	v_mov_b64_e32 v[2:3], v[24:25]
	v_lshrrev_b32_e32 v3, 3, v6
	s_mov_b32 s19, exec_lo
	v_cmpx_gt_u32_e32 8, v6
; %bb.1206:                             ;   in Loop: Header=BB355_15 Depth=1
	v_and_b32_e32 v2, 7, v1
	s_delay_alu instid0(VALU_DEP_1) | instskip(NEXT) | instid1(VALU_DEP_1)
	v_clz_i32_u32_e32 v2, v2
	v_min_u32_e32 v6, 32, v2
	s_delay_alu instid0(VALU_DEP_1) | instskip(NEXT) | instid1(VALU_DEP_1)
	v_subrev_nc_u32_e32 v2, 28, v6
	v_lshlrev_b64_e32 v[2:3], v2, v[24:25]
	v_sub_nc_u32_e32 v3, 29, v6
; %bb.1207:                             ;   in Loop: Header=BB355_15 Depth=1
	s_or_b32 exec_lo, exec_lo, s19
	s_delay_alu instid0(VALU_DEP_2) | instskip(NEXT) | instid1(VALU_DEP_2)
	v_dual_lshlrev_b32 v2, 20, v2 :: v_dual_lshlrev_b32 v6, 24, v24
	v_lshl_add_u32 v3, v3, 23, 0x3c000000
	s_delay_alu instid0(VALU_DEP_2) | instskip(NEXT) | instid1(VALU_DEP_3)
	v_and_b32_e32 v2, 0x700000, v2
	v_and_b32_e32 v6, 0x80000000, v6
	s_delay_alu instid0(VALU_DEP_1)
	v_or3_b32 v16, v2, v6, v3
.LBB355_1208:                           ;   in Loop: Header=BB355_15 Depth=1
	s_or_b32 exec_lo, exec_lo, s18
.LBB355_1209:                           ;   in Loop: Header=BB355_15 Depth=1
	s_delay_alu instid0(SALU_CYCLE_1)
	s_or_b32 exec_lo, exec_lo, s17
.LBB355_1210:                           ;   in Loop: Header=BB355_15 Depth=1
	s_delay_alu instid0(SALU_CYCLE_1) | instskip(SKIP_2) | instid1(VALU_DEP_1)
	s_or_b32 exec_lo, exec_lo, s16
	v_lshrrev_b16 v2, 8, v24
	s_mov_b32 s16, exec_lo
	v_cmpx_ne_u16_e32 0, v2
	s_cbranch_execz .LBB355_1218
; %bb.1211:                             ;   in Loop: Header=BB355_15 Depth=1
	v_bfrev_b32_e32 v17, 1
	s_mov_b32 s17, exec_lo
	v_cmpx_ne_u16_e32 0x80, v2
	s_cbranch_execz .LBB355_1217
; %bb.1212:                             ;   in Loop: Header=BB355_15 Depth=1
	v_and_b32_e32 v2, 0xffff, v2
	v_mov_b32_e32 v17, 0x7f800001
	s_mov_b32 s18, exec_lo
	s_delay_alu instid0(VALU_DEP_2) | instskip(NEXT) | instid1(VALU_DEP_1)
	v_and_b32_e32 v7, 0x7f, v2
	v_cmpx_ne_u32_e32 0x7f, v7
	s_cbranch_execz .LBB355_1216
; %bb.1213:                             ;   in Loop: Header=BB355_15 Depth=1
	v_dual_mov_b32 v3, v25 :: v_dual_bitop2_b32 v2, 7, v2 bitop3:0x40
	v_lshrrev_b32_e32 v6, 3, v7
	s_mov_b32 s19, exec_lo
	v_cmpx_gt_u32_e32 8, v7
; %bb.1214:                             ;   in Loop: Header=BB355_15 Depth=1
	s_delay_alu instid0(VALU_DEP_3) | instskip(NEXT) | instid1(VALU_DEP_1)
	v_clz_i32_u32_e32 v6, v2
	v_min_u32_e32 v6, 32, v6
	s_delay_alu instid0(VALU_DEP_1) | instskip(SKIP_1) | instid1(VALU_DEP_2)
	v_subrev_nc_u32_e32 v7, 28, v6
	v_sub_nc_u32_e32 v6, 29, v6
	v_lshlrev_b64_e32 v[2:3], v7, v[2:3]
	s_delay_alu instid0(VALU_DEP_1)
	v_and_b32_e32 v2, 7, v2
; %bb.1215:                             ;   in Loop: Header=BB355_15 Depth=1
	s_or_b32 exec_lo, exec_lo, s19
	s_delay_alu instid0(VALU_DEP_1) | instskip(SKIP_1) | instid1(VALU_DEP_2)
	v_dual_lshlrev_b32 v3, 16, v24 :: v_dual_lshlrev_b32 v2, 20, v2
	v_lshl_add_u32 v6, v6, 23, 0x3c000000
	v_and_b32_e32 v3, 0x80000000, v3
	s_delay_alu instid0(VALU_DEP_1)
	v_or3_b32 v17, v2, v3, v6
.LBB355_1216:                           ;   in Loop: Header=BB355_15 Depth=1
	s_or_b32 exec_lo, exec_lo, s18
.LBB355_1217:                           ;   in Loop: Header=BB355_15 Depth=1
	s_delay_alu instid0(SALU_CYCLE_1)
	s_or_b32 exec_lo, exec_lo, s17
.LBB355_1218:                           ;   in Loop: Header=BB355_15 Depth=1
	s_delay_alu instid0(SALU_CYCLE_1) | instskip(SKIP_3) | instid1(VALU_DEP_2)
	s_or_b32 exec_lo, exec_lo, s16
	v_dual_mov_b32 v93, 0 :: v_dual_lshrrev_b32 v6, 16, v1
	v_mov_b32_e32 v92, 0
	s_mov_b32 s16, exec_lo
	v_and_b32_e32 v2, 0xff, v6
	s_delay_alu instid0(VALU_DEP_1)
	v_cmpx_ne_u16_e32 0, v2
	s_cbranch_execz .LBB355_1226
; %bb.1219:                             ;   in Loop: Header=BB355_15 Depth=1
	v_bfrev_b32_e32 v92, 1
	s_mov_b32 s17, exec_lo
	v_cmpx_ne_u16_e32 0x80, v2
	s_cbranch_execz .LBB355_1225
; %bb.1220:                             ;   in Loop: Header=BB355_15 Depth=1
	v_bfe_u32 v7, v1, 16, 7
	v_mov_b32_e32 v92, 0x7f800001
	s_mov_b32 s18, exec_lo
	s_delay_alu instid0(VALU_DEP_2)
	v_cmpx_ne_u32_e32 0x7f, v7
	s_cbranch_execz .LBB355_1224
; %bb.1221:                             ;   in Loop: Header=BB355_15 Depth=1
	v_and_b32_e32 v24, 7, v6
	s_mov_b32 s19, exec_lo
	s_delay_alu instid0(VALU_DEP_1)
	v_mov_b64_e32 v[2:3], v[24:25]
	v_lshrrev_b32_e32 v3, 3, v7
	v_cmpx_gt_u32_e32 8, v7
; %bb.1222:                             ;   in Loop: Header=BB355_15 Depth=1
	v_clz_i32_u32_e32 v2, v24
	s_delay_alu instid0(VALU_DEP_1) | instskip(NEXT) | instid1(VALU_DEP_1)
	v_min_u32_e32 v7, 32, v2
	v_subrev_nc_u32_e32 v2, 28, v7
	s_delay_alu instid0(VALU_DEP_1) | instskip(NEXT) | instid1(VALU_DEP_1)
	v_lshlrev_b64_e32 v[2:3], v2, v[24:25]
	v_dual_sub_nc_u32 v3, 29, v7 :: v_dual_bitop2_b32 v2, 7, v2 bitop3:0x40
; %bb.1223:                             ;   in Loop: Header=BB355_15 Depth=1
	s_or_b32 exec_lo, exec_lo, s19
	v_lshlrev_b32_e32 v6, 24, v6
	s_delay_alu instid0(VALU_DEP_2) | instskip(NEXT) | instid1(VALU_DEP_3)
	v_lshlrev_b32_e32 v2, 20, v2
	v_lshl_add_u32 v3, v3, 23, 0x3c000000
	s_delay_alu instid0(VALU_DEP_3) | instskip(NEXT) | instid1(VALU_DEP_1)
	v_and_b32_e32 v6, 0x80000000, v6
	v_or3_b32 v92, v2, v6, v3
.LBB355_1224:                           ;   in Loop: Header=BB355_15 Depth=1
	s_or_b32 exec_lo, exec_lo, s18
.LBB355_1225:                           ;   in Loop: Header=BB355_15 Depth=1
	s_delay_alu instid0(SALU_CYCLE_1)
	s_or_b32 exec_lo, exec_lo, s17
.LBB355_1226:                           ;   in Loop: Header=BB355_15 Depth=1
	s_delay_alu instid0(SALU_CYCLE_1) | instskip(NEXT) | instid1(SALU_CYCLE_1)
	s_or_b32 exec_lo, exec_lo, s16
	s_mov_b32 s16, exec_lo
	v_cmpx_lt_u64_e64 s[8:9], v[0:1]
	s_cbranch_execz .LBB355_1234
; %bb.1227:                             ;   in Loop: Header=BB355_15 Depth=1
	v_lshrrev_b32_e32 v2, 24, v1
	v_bfrev_b32_e32 v93, 1
	s_mov_b32 s17, exec_lo
	s_delay_alu instid0(VALU_DEP_2)
	v_cmpx_ne_u32_e32 0x80, v2
	s_cbranch_execz .LBB355_1233
; %bb.1228:                             ;   in Loop: Header=BB355_15 Depth=1
	v_bfe_u32 v3, v1, 24, 7
	v_mov_b32_e32 v93, 0x7f800001
	s_mov_b32 s18, exec_lo
	s_delay_alu instid0(VALU_DEP_2)
	v_cmpx_ne_u32_e32 0x7f, v3
	s_cbranch_execz .LBB355_1232
; %bb.1229:                             ;   in Loop: Header=BB355_15 Depth=1
	v_and_b32_e32 v24, 7, v2
	s_mov_b32 s19, exec_lo
	s_delay_alu instid0(VALU_DEP_1)
	v_mov_b64_e32 v[0:1], v[24:25]
	v_lshrrev_b32_e32 v1, 3, v3
	v_cmpx_gt_u32_e32 8, v3
; %bb.1230:                             ;   in Loop: Header=BB355_15 Depth=1
	v_clz_i32_u32_e32 v0, v24
	s_delay_alu instid0(VALU_DEP_1) | instskip(NEXT) | instid1(VALU_DEP_1)
	v_min_u32_e32 v3, 32, v0
	v_subrev_nc_u32_e32 v0, 28, v3
	s_delay_alu instid0(VALU_DEP_1) | instskip(NEXT) | instid1(VALU_DEP_1)
	v_lshlrev_b64_e32 v[0:1], v0, v[24:25]
	v_dual_sub_nc_u32 v1, 29, v3 :: v_dual_bitop2_b32 v0, 7, v0 bitop3:0x40
; %bb.1231:                             ;   in Loop: Header=BB355_15 Depth=1
	s_or_b32 exec_lo, exec_lo, s19
	s_delay_alu instid0(VALU_DEP_1) | instskip(NEXT) | instid1(VALU_DEP_2)
	v_dual_lshlrev_b32 v2, 24, v2 :: v_dual_lshlrev_b32 v0, 20, v0
	v_lshl_add_u32 v1, v1, 23, 0x3c000000
	s_delay_alu instid0(VALU_DEP_2) | instskip(NEXT) | instid1(VALU_DEP_1)
	v_and_b32_e32 v2, 0x80000000, v2
	v_or3_b32 v93, v0, v2, v1
.LBB355_1232:                           ;   in Loop: Header=BB355_15 Depth=1
	s_or_b32 exec_lo, exec_lo, s18
.LBB355_1233:                           ;   in Loop: Header=BB355_15 Depth=1
	s_delay_alu instid0(SALU_CYCLE_1)
	s_or_b32 exec_lo, exec_lo, s17
.LBB355_1234:                           ;   in Loop: Header=BB355_15 Depth=1
	s_delay_alu instid0(SALU_CYCLE_1)
	s_or_b32 exec_lo, exec_lo, s16
	flat_load_b64 v[0:1], v[36:37] offset:4616
	v_dual_mov_b32 v75, 0 :: v_dual_mov_b32 v74, 0
	s_mov_b32 s16, exec_lo
	s_wait_loadcnt_dscnt 0x0
	v_and_b32_e32 v2, 0xff, v0
	s_wait_xcnt 0x0
	s_delay_alu instid0(VALU_DEP_1)
	v_cmpx_ne_u16_e32 0, v2
	s_cbranch_execz .LBB355_1242
; %bb.1235:                             ;   in Loop: Header=BB355_15 Depth=1
	v_bfrev_b32_e32 v74, 1
	s_mov_b32 s17, exec_lo
	v_cmpx_ne_u16_e32 0x80, v2
	s_cbranch_execz .LBB355_1241
; %bb.1236:                             ;   in Loop: Header=BB355_15 Depth=1
	v_and_b32_e32 v2, 0x7f, v0
	v_mov_b32_e32 v74, 0x7f800001
	s_mov_b32 s18, exec_lo
	s_delay_alu instid0(VALU_DEP_2)
	v_cmpx_ne_u32_e32 0x7f, v2
	s_cbranch_execz .LBB355_1240
; %bb.1237:                             ;   in Loop: Header=BB355_15 Depth=1
	v_lshrrev_b32_e32 v6, 3, v2
	v_cmp_gt_u32_e64 s1, 8, v2
	v_mov_b64_e32 v[2:3], v[0:1]
	s_and_saveexec_b32 s19, s1
; %bb.1238:                             ;   in Loop: Header=BB355_15 Depth=1
	v_and_b32_e32 v2, 7, v0
	s_delay_alu instid0(VALU_DEP_1) | instskip(NEXT) | instid1(VALU_DEP_1)
	v_clz_i32_u32_e32 v2, v2
	v_min_u32_e32 v6, 32, v2
	s_delay_alu instid0(VALU_DEP_1) | instskip(SKIP_1) | instid1(VALU_DEP_2)
	v_subrev_nc_u32_e32 v2, 28, v6
	v_sub_nc_u32_e32 v6, 29, v6
	v_lshlrev_b64_e32 v[2:3], v2, v[0:1]
; %bb.1239:                             ;   in Loop: Header=BB355_15 Depth=1
	s_or_b32 exec_lo, exec_lo, s19
	s_delay_alu instid0(VALU_DEP_1) | instskip(NEXT) | instid1(VALU_DEP_3)
	v_dual_lshlrev_b32 v2, 20, v2 :: v_dual_lshlrev_b32 v3, 24, v0
	v_lshl_add_u32 v6, v6, 23, 0x3c000000
	s_delay_alu instid0(VALU_DEP_2) | instskip(NEXT) | instid1(VALU_DEP_3)
	v_and_b32_e32 v2, 0x700000, v2
	v_and_b32_e32 v3, 0x80000000, v3
	s_delay_alu instid0(VALU_DEP_1)
	v_or3_b32 v74, v2, v3, v6
.LBB355_1240:                           ;   in Loop: Header=BB355_15 Depth=1
	s_or_b32 exec_lo, exec_lo, s18
.LBB355_1241:                           ;   in Loop: Header=BB355_15 Depth=1
	s_delay_alu instid0(SALU_CYCLE_1)
	s_or_b32 exec_lo, exec_lo, s17
.LBB355_1242:                           ;   in Loop: Header=BB355_15 Depth=1
	s_delay_alu instid0(SALU_CYCLE_1) | instskip(SKIP_2) | instid1(VALU_DEP_1)
	s_or_b32 exec_lo, exec_lo, s16
	v_lshrrev_b16 v2, 8, v0
	s_mov_b32 s16, exec_lo
	v_cmpx_ne_u16_e32 0, v2
	s_cbranch_execz .LBB355_1250
; %bb.1243:                             ;   in Loop: Header=BB355_15 Depth=1
	v_bfrev_b32_e32 v75, 1
	s_mov_b32 s17, exec_lo
	v_cmpx_ne_u16_e32 0x80, v2
	s_cbranch_execz .LBB355_1249
; %bb.1244:                             ;   in Loop: Header=BB355_15 Depth=1
	v_and_b32_e32 v2, 0xffff, v2
	v_mov_b32_e32 v75, 0x7f800001
	s_mov_b32 s18, exec_lo
	s_delay_alu instid0(VALU_DEP_2) | instskip(NEXT) | instid1(VALU_DEP_1)
	v_and_b32_e32 v6, 0x7f, v2
	v_cmpx_ne_u32_e32 0x7f, v6
	s_cbranch_execz .LBB355_1248
; %bb.1245:                             ;   in Loop: Header=BB355_15 Depth=1
	v_and_b32_e32 v24, 7, v2
	s_mov_b32 s19, exec_lo
	s_delay_alu instid0(VALU_DEP_1)
	v_mov_b64_e32 v[2:3], v[24:25]
	v_lshrrev_b32_e32 v3, 3, v6
	v_cmpx_gt_u32_e32 8, v6
; %bb.1246:                             ;   in Loop: Header=BB355_15 Depth=1
	v_clz_i32_u32_e32 v2, v24
	s_delay_alu instid0(VALU_DEP_1) | instskip(NEXT) | instid1(VALU_DEP_1)
	v_min_u32_e32 v6, 32, v2
	v_subrev_nc_u32_e32 v2, 28, v6
	s_delay_alu instid0(VALU_DEP_1) | instskip(SKIP_1) | instid1(VALU_DEP_2)
	v_lshlrev_b64_e32 v[2:3], v2, v[24:25]
	v_sub_nc_u32_e32 v3, 29, v6
	v_and_b32_e32 v2, 7, v2
; %bb.1247:                             ;   in Loop: Header=BB355_15 Depth=1
	s_or_b32 exec_lo, exec_lo, s19
	s_delay_alu instid0(VALU_DEP_1) | instskip(NEXT) | instid1(VALU_DEP_3)
	v_dual_lshlrev_b32 v6, 16, v0 :: v_dual_lshlrev_b32 v2, 20, v2
	v_lshl_add_u32 v3, v3, 23, 0x3c000000
	s_delay_alu instid0(VALU_DEP_2) | instskip(NEXT) | instid1(VALU_DEP_1)
	v_and_b32_e32 v6, 0x80000000, v6
	v_or3_b32 v75, v2, v6, v3
.LBB355_1248:                           ;   in Loop: Header=BB355_15 Depth=1
	s_or_b32 exec_lo, exec_lo, s18
.LBB355_1249:                           ;   in Loop: Header=BB355_15 Depth=1
	s_delay_alu instid0(SALU_CYCLE_1)
	s_or_b32 exec_lo, exec_lo, s17
.LBB355_1250:                           ;   in Loop: Header=BB355_15 Depth=1
	s_delay_alu instid0(SALU_CYCLE_1) | instskip(SKIP_3) | instid1(VALU_DEP_2)
	s_or_b32 exec_lo, exec_lo, s16
	v_dual_mov_b32 v89, 0 :: v_dual_lshrrev_b32 v6, 16, v0
	v_mov_b32_e32 v88, 0
	s_mov_b32 s16, exec_lo
	v_and_b32_e32 v2, 0xff, v6
	s_delay_alu instid0(VALU_DEP_1)
	v_cmpx_ne_u16_e32 0, v2
	s_cbranch_execz .LBB355_1258
; %bb.1251:                             ;   in Loop: Header=BB355_15 Depth=1
	v_bfrev_b32_e32 v88, 1
	s_mov_b32 s17, exec_lo
	v_cmpx_ne_u16_e32 0x80, v2
	s_cbranch_execz .LBB355_1257
; %bb.1252:                             ;   in Loop: Header=BB355_15 Depth=1
	v_bfe_u32 v7, v0, 16, 7
	v_mov_b32_e32 v88, 0x7f800001
	s_mov_b32 s18, exec_lo
	s_delay_alu instid0(VALU_DEP_2)
	v_cmpx_ne_u32_e32 0x7f, v7
	s_cbranch_execz .LBB355_1256
; %bb.1253:                             ;   in Loop: Header=BB355_15 Depth=1
	v_and_b32_e32 v24, 7, v6
	s_mov_b32 s19, exec_lo
	s_delay_alu instid0(VALU_DEP_1)
	v_mov_b64_e32 v[2:3], v[24:25]
	v_lshrrev_b32_e32 v3, 3, v7
	v_cmpx_gt_u32_e32 8, v7
; %bb.1254:                             ;   in Loop: Header=BB355_15 Depth=1
	v_clz_i32_u32_e32 v2, v24
	s_delay_alu instid0(VALU_DEP_1) | instskip(NEXT) | instid1(VALU_DEP_1)
	v_min_u32_e32 v7, 32, v2
	v_subrev_nc_u32_e32 v2, 28, v7
	s_delay_alu instid0(VALU_DEP_1) | instskip(NEXT) | instid1(VALU_DEP_1)
	v_lshlrev_b64_e32 v[2:3], v2, v[24:25]
	v_dual_sub_nc_u32 v3, 29, v7 :: v_dual_bitop2_b32 v2, 7, v2 bitop3:0x40
; %bb.1255:                             ;   in Loop: Header=BB355_15 Depth=1
	s_or_b32 exec_lo, exec_lo, s19
	v_lshlrev_b32_e32 v6, 24, v6
	s_delay_alu instid0(VALU_DEP_2) | instskip(NEXT) | instid1(VALU_DEP_3)
	v_lshlrev_b32_e32 v2, 20, v2
	v_lshl_add_u32 v3, v3, 23, 0x3c000000
	s_delay_alu instid0(VALU_DEP_3) | instskip(NEXT) | instid1(VALU_DEP_1)
	v_and_b32_e32 v6, 0x80000000, v6
	v_or3_b32 v88, v2, v6, v3
.LBB355_1256:                           ;   in Loop: Header=BB355_15 Depth=1
	s_or_b32 exec_lo, exec_lo, s18
.LBB355_1257:                           ;   in Loop: Header=BB355_15 Depth=1
	s_delay_alu instid0(SALU_CYCLE_1)
	s_or_b32 exec_lo, exec_lo, s17
.LBB355_1258:                           ;   in Loop: Header=BB355_15 Depth=1
	s_delay_alu instid0(SALU_CYCLE_1) | instskip(NEXT) | instid1(SALU_CYCLE_1)
	s_or_b32 exec_lo, exec_lo, s16
	s_mov_b32 s16, exec_lo
	v_cmpx_lt_u32_e32 0xffffff, v0
	s_cbranch_execz .LBB355_1266
; %bb.1259:                             ;   in Loop: Header=BB355_15 Depth=1
	v_lshrrev_b32_e32 v6, 24, v0
	v_bfrev_b32_e32 v89, 1
	s_mov_b32 s17, exec_lo
	s_delay_alu instid0(VALU_DEP_2)
	v_cmpx_ne_u32_e32 0x80, v6
	s_cbranch_execz .LBB355_1265
; %bb.1260:                             ;   in Loop: Header=BB355_15 Depth=1
	v_bfe_u32 v7, v0, 24, 7
	v_mov_b32_e32 v89, 0x7f800001
	s_mov_b32 s18, exec_lo
	s_delay_alu instid0(VALU_DEP_2)
	v_cmpx_ne_u32_e32 0x7f, v7
	s_cbranch_execz .LBB355_1264
; %bb.1261:                             ;   in Loop: Header=BB355_15 Depth=1
	v_and_b32_e32 v24, 7, v6
	s_mov_b32 s19, exec_lo
	s_delay_alu instid0(VALU_DEP_1)
	v_mov_b64_e32 v[2:3], v[24:25]
	v_lshrrev_b32_e32 v3, 3, v7
	v_cmpx_gt_u32_e32 8, v7
; %bb.1262:                             ;   in Loop: Header=BB355_15 Depth=1
	v_clz_i32_u32_e32 v2, v24
	s_delay_alu instid0(VALU_DEP_1) | instskip(NEXT) | instid1(VALU_DEP_1)
	v_min_u32_e32 v7, 32, v2
	v_subrev_nc_u32_e32 v2, 28, v7
	s_delay_alu instid0(VALU_DEP_1) | instskip(NEXT) | instid1(VALU_DEP_1)
	v_lshlrev_b64_e32 v[2:3], v2, v[24:25]
	v_dual_sub_nc_u32 v3, 29, v7 :: v_dual_bitop2_b32 v2, 7, v2 bitop3:0x40
; %bb.1263:                             ;   in Loop: Header=BB355_15 Depth=1
	s_or_b32 exec_lo, exec_lo, s19
	v_lshlrev_b32_e32 v6, 24, v6
	s_delay_alu instid0(VALU_DEP_2) | instskip(NEXT) | instid1(VALU_DEP_3)
	v_lshlrev_b32_e32 v2, 20, v2
	v_lshl_add_u32 v3, v3, 23, 0x3c000000
	s_delay_alu instid0(VALU_DEP_3) | instskip(NEXT) | instid1(VALU_DEP_1)
	v_and_b32_e32 v6, 0x80000000, v6
	v_or3_b32 v89, v2, v6, v3
.LBB355_1264:                           ;   in Loop: Header=BB355_15 Depth=1
	s_or_b32 exec_lo, exec_lo, s18
.LBB355_1265:                           ;   in Loop: Header=BB355_15 Depth=1
	s_delay_alu instid0(SALU_CYCLE_1)
	s_or_b32 exec_lo, exec_lo, s17
.LBB355_1266:                           ;   in Loop: Header=BB355_15 Depth=1
	s_delay_alu instid0(SALU_CYCLE_1) | instskip(SKIP_4) | instid1(VALU_DEP_3)
	s_or_b32 exec_lo, exec_lo, s16
	v_and_b32_e32 v2, 0xff, v1
	v_dual_mov_b32 v24, v1 :: v_dual_mov_b32 v67, 0
	v_mov_b32_e32 v66, 0
	s_mov_b32 s16, exec_lo
	v_cmpx_ne_u16_e32 0, v2
	s_cbranch_execz .LBB355_1274
; %bb.1267:                             ;   in Loop: Header=BB355_15 Depth=1
	v_bfrev_b32_e32 v66, 1
	s_mov_b32 s17, exec_lo
	v_cmpx_ne_u16_e32 0x80, v2
	s_cbranch_execz .LBB355_1273
; %bb.1268:                             ;   in Loop: Header=BB355_15 Depth=1
	v_and_b32_e32 v6, 0x7f, v1
	v_mov_b32_e32 v66, 0x7f800001
	s_mov_b32 s18, exec_lo
	s_delay_alu instid0(VALU_DEP_2)
	v_cmpx_ne_u32_e32 0x7f, v6
	s_cbranch_execz .LBB355_1272
; %bb.1269:                             ;   in Loop: Header=BB355_15 Depth=1
	v_mov_b64_e32 v[2:3], v[24:25]
	v_lshrrev_b32_e32 v3, 3, v6
	s_mov_b32 s19, exec_lo
	v_cmpx_gt_u32_e32 8, v6
; %bb.1270:                             ;   in Loop: Header=BB355_15 Depth=1
	v_and_b32_e32 v2, 7, v1
	s_delay_alu instid0(VALU_DEP_1) | instskip(NEXT) | instid1(VALU_DEP_1)
	v_clz_i32_u32_e32 v2, v2
	v_min_u32_e32 v6, 32, v2
	s_delay_alu instid0(VALU_DEP_1) | instskip(NEXT) | instid1(VALU_DEP_1)
	v_subrev_nc_u32_e32 v2, 28, v6
	v_lshlrev_b64_e32 v[2:3], v2, v[24:25]
	v_sub_nc_u32_e32 v3, 29, v6
; %bb.1271:                             ;   in Loop: Header=BB355_15 Depth=1
	s_or_b32 exec_lo, exec_lo, s19
	s_delay_alu instid0(VALU_DEP_2) | instskip(NEXT) | instid1(VALU_DEP_2)
	v_dual_lshlrev_b32 v2, 20, v2 :: v_dual_lshlrev_b32 v6, 24, v24
	v_lshl_add_u32 v3, v3, 23, 0x3c000000
	s_delay_alu instid0(VALU_DEP_2) | instskip(NEXT) | instid1(VALU_DEP_3)
	v_and_b32_e32 v2, 0x700000, v2
	v_and_b32_e32 v6, 0x80000000, v6
	s_delay_alu instid0(VALU_DEP_1)
	v_or3_b32 v66, v2, v6, v3
.LBB355_1272:                           ;   in Loop: Header=BB355_15 Depth=1
	s_or_b32 exec_lo, exec_lo, s18
.LBB355_1273:                           ;   in Loop: Header=BB355_15 Depth=1
	s_delay_alu instid0(SALU_CYCLE_1)
	s_or_b32 exec_lo, exec_lo, s17
.LBB355_1274:                           ;   in Loop: Header=BB355_15 Depth=1
	s_delay_alu instid0(SALU_CYCLE_1) | instskip(SKIP_2) | instid1(VALU_DEP_1)
	s_or_b32 exec_lo, exec_lo, s16
	v_lshrrev_b16 v2, 8, v24
	s_mov_b32 s16, exec_lo
	v_cmpx_ne_u16_e32 0, v2
	s_cbranch_execz .LBB355_1282
; %bb.1275:                             ;   in Loop: Header=BB355_15 Depth=1
	v_bfrev_b32_e32 v67, 1
	s_mov_b32 s17, exec_lo
	v_cmpx_ne_u16_e32 0x80, v2
	s_cbranch_execz .LBB355_1281
; %bb.1276:                             ;   in Loop: Header=BB355_15 Depth=1
	v_and_b32_e32 v2, 0xffff, v2
	v_mov_b32_e32 v67, 0x7f800001
	s_mov_b32 s18, exec_lo
	s_delay_alu instid0(VALU_DEP_2) | instskip(NEXT) | instid1(VALU_DEP_1)
	v_and_b32_e32 v7, 0x7f, v2
	v_cmpx_ne_u32_e32 0x7f, v7
	s_cbranch_execz .LBB355_1280
; %bb.1277:                             ;   in Loop: Header=BB355_15 Depth=1
	v_dual_mov_b32 v3, v25 :: v_dual_bitop2_b32 v2, 7, v2 bitop3:0x40
	v_lshrrev_b32_e32 v6, 3, v7
	s_mov_b32 s19, exec_lo
	v_cmpx_gt_u32_e32 8, v7
; %bb.1278:                             ;   in Loop: Header=BB355_15 Depth=1
	s_delay_alu instid0(VALU_DEP_3) | instskip(NEXT) | instid1(VALU_DEP_1)
	v_clz_i32_u32_e32 v6, v2
	v_min_u32_e32 v6, 32, v6
	s_delay_alu instid0(VALU_DEP_1) | instskip(SKIP_1) | instid1(VALU_DEP_2)
	v_subrev_nc_u32_e32 v7, 28, v6
	v_sub_nc_u32_e32 v6, 29, v6
	v_lshlrev_b64_e32 v[2:3], v7, v[2:3]
	s_delay_alu instid0(VALU_DEP_1)
	v_and_b32_e32 v2, 7, v2
; %bb.1279:                             ;   in Loop: Header=BB355_15 Depth=1
	s_or_b32 exec_lo, exec_lo, s19
	s_delay_alu instid0(VALU_DEP_1) | instskip(SKIP_1) | instid1(VALU_DEP_2)
	v_dual_lshlrev_b32 v3, 16, v24 :: v_dual_lshlrev_b32 v2, 20, v2
	v_lshl_add_u32 v6, v6, 23, 0x3c000000
	v_and_b32_e32 v3, 0x80000000, v3
	s_delay_alu instid0(VALU_DEP_1)
	v_or3_b32 v67, v2, v3, v6
.LBB355_1280:                           ;   in Loop: Header=BB355_15 Depth=1
	s_or_b32 exec_lo, exec_lo, s18
.LBB355_1281:                           ;   in Loop: Header=BB355_15 Depth=1
	s_delay_alu instid0(SALU_CYCLE_1)
	s_or_b32 exec_lo, exec_lo, s17
.LBB355_1282:                           ;   in Loop: Header=BB355_15 Depth=1
	s_delay_alu instid0(SALU_CYCLE_1) | instskip(SKIP_3) | instid1(VALU_DEP_2)
	s_or_b32 exec_lo, exec_lo, s16
	v_dual_mov_b32 v109, 0 :: v_dual_lshrrev_b32 v6, 16, v1
	v_mov_b32_e32 v108, 0
	s_mov_b32 s16, exec_lo
	v_and_b32_e32 v2, 0xff, v6
	s_delay_alu instid0(VALU_DEP_1)
	v_cmpx_ne_u16_e32 0, v2
	s_cbranch_execz .LBB355_1290
; %bb.1283:                             ;   in Loop: Header=BB355_15 Depth=1
	v_bfrev_b32_e32 v108, 1
	s_mov_b32 s17, exec_lo
	v_cmpx_ne_u16_e32 0x80, v2
	s_cbranch_execz .LBB355_1289
; %bb.1284:                             ;   in Loop: Header=BB355_15 Depth=1
	v_bfe_u32 v7, v1, 16, 7
	v_mov_b32_e32 v108, 0x7f800001
	s_mov_b32 s18, exec_lo
	s_delay_alu instid0(VALU_DEP_2)
	v_cmpx_ne_u32_e32 0x7f, v7
	s_cbranch_execz .LBB355_1288
; %bb.1285:                             ;   in Loop: Header=BB355_15 Depth=1
	v_and_b32_e32 v24, 7, v6
	s_mov_b32 s19, exec_lo
	s_delay_alu instid0(VALU_DEP_1)
	v_mov_b64_e32 v[2:3], v[24:25]
	v_lshrrev_b32_e32 v3, 3, v7
	v_cmpx_gt_u32_e32 8, v7
; %bb.1286:                             ;   in Loop: Header=BB355_15 Depth=1
	v_clz_i32_u32_e32 v2, v24
	s_delay_alu instid0(VALU_DEP_1) | instskip(NEXT) | instid1(VALU_DEP_1)
	v_min_u32_e32 v7, 32, v2
	v_subrev_nc_u32_e32 v2, 28, v7
	s_delay_alu instid0(VALU_DEP_1) | instskip(NEXT) | instid1(VALU_DEP_1)
	v_lshlrev_b64_e32 v[2:3], v2, v[24:25]
	v_dual_sub_nc_u32 v3, 29, v7 :: v_dual_bitop2_b32 v2, 7, v2 bitop3:0x40
; %bb.1287:                             ;   in Loop: Header=BB355_15 Depth=1
	s_or_b32 exec_lo, exec_lo, s19
	v_lshlrev_b32_e32 v6, 24, v6
	s_delay_alu instid0(VALU_DEP_2) | instskip(NEXT) | instid1(VALU_DEP_3)
	v_lshlrev_b32_e32 v2, 20, v2
	v_lshl_add_u32 v3, v3, 23, 0x3c000000
	s_delay_alu instid0(VALU_DEP_3) | instskip(NEXT) | instid1(VALU_DEP_1)
	v_and_b32_e32 v6, 0x80000000, v6
	v_or3_b32 v108, v2, v6, v3
.LBB355_1288:                           ;   in Loop: Header=BB355_15 Depth=1
	s_or_b32 exec_lo, exec_lo, s18
.LBB355_1289:                           ;   in Loop: Header=BB355_15 Depth=1
	s_delay_alu instid0(SALU_CYCLE_1)
	s_or_b32 exec_lo, exec_lo, s17
.LBB355_1290:                           ;   in Loop: Header=BB355_15 Depth=1
	s_delay_alu instid0(SALU_CYCLE_1) | instskip(NEXT) | instid1(SALU_CYCLE_1)
	s_or_b32 exec_lo, exec_lo, s16
	s_mov_b32 s16, exec_lo
	v_cmpx_lt_u64_e64 s[8:9], v[0:1]
	s_cbranch_execz .LBB355_1298
; %bb.1291:                             ;   in Loop: Header=BB355_15 Depth=1
	v_lshrrev_b32_e32 v2, 24, v1
	v_bfrev_b32_e32 v109, 1
	s_mov_b32 s17, exec_lo
	s_delay_alu instid0(VALU_DEP_2)
	v_cmpx_ne_u32_e32 0x80, v2
	s_cbranch_execz .LBB355_1297
; %bb.1292:                             ;   in Loop: Header=BB355_15 Depth=1
	v_bfe_u32 v3, v1, 24, 7
	v_mov_b32_e32 v109, 0x7f800001
	s_mov_b32 s18, exec_lo
	s_delay_alu instid0(VALU_DEP_2)
	v_cmpx_ne_u32_e32 0x7f, v3
	s_cbranch_execz .LBB355_1296
; %bb.1293:                             ;   in Loop: Header=BB355_15 Depth=1
	v_and_b32_e32 v24, 7, v2
	s_mov_b32 s19, exec_lo
	s_delay_alu instid0(VALU_DEP_1)
	v_mov_b64_e32 v[0:1], v[24:25]
	v_lshrrev_b32_e32 v1, 3, v3
	v_cmpx_gt_u32_e32 8, v3
; %bb.1294:                             ;   in Loop: Header=BB355_15 Depth=1
	v_clz_i32_u32_e32 v0, v24
	s_delay_alu instid0(VALU_DEP_1) | instskip(NEXT) | instid1(VALU_DEP_1)
	v_min_u32_e32 v3, 32, v0
	v_subrev_nc_u32_e32 v0, 28, v3
	s_delay_alu instid0(VALU_DEP_1) | instskip(NEXT) | instid1(VALU_DEP_1)
	v_lshlrev_b64_e32 v[0:1], v0, v[24:25]
	v_dual_sub_nc_u32 v1, 29, v3 :: v_dual_bitop2_b32 v0, 7, v0 bitop3:0x40
; %bb.1295:                             ;   in Loop: Header=BB355_15 Depth=1
	s_or_b32 exec_lo, exec_lo, s19
	s_delay_alu instid0(VALU_DEP_1) | instskip(NEXT) | instid1(VALU_DEP_2)
	v_dual_lshlrev_b32 v2, 24, v2 :: v_dual_lshlrev_b32 v0, 20, v0
	v_lshl_add_u32 v1, v1, 23, 0x3c000000
	s_delay_alu instid0(VALU_DEP_2) | instskip(NEXT) | instid1(VALU_DEP_1)
	v_and_b32_e32 v2, 0x80000000, v2
	v_or3_b32 v109, v0, v2, v1
.LBB355_1296:                           ;   in Loop: Header=BB355_15 Depth=1
	s_or_b32 exec_lo, exec_lo, s18
.LBB355_1297:                           ;   in Loop: Header=BB355_15 Depth=1
	s_delay_alu instid0(SALU_CYCLE_1)
	s_or_b32 exec_lo, exec_lo, s17
.LBB355_1298:                           ;   in Loop: Header=BB355_15 Depth=1
	s_delay_alu instid0(SALU_CYCLE_1)
	s_or_b32 exec_lo, exec_lo, s16
	flat_load_b64 v[0:1], v[36:37] offset:5120
	v_dual_mov_b32 v111, 0 :: v_dual_mov_b32 v110, 0
	s_mov_b32 s16, exec_lo
	s_wait_loadcnt_dscnt 0x0
	v_and_b32_e32 v2, 0xff, v0
	s_wait_xcnt 0x0
	s_delay_alu instid0(VALU_DEP_1)
	v_cmpx_ne_u16_e32 0, v2
	s_cbranch_execz .LBB355_1306
; %bb.1299:                             ;   in Loop: Header=BB355_15 Depth=1
	v_bfrev_b32_e32 v110, 1
	s_mov_b32 s17, exec_lo
	v_cmpx_ne_u16_e32 0x80, v2
	s_cbranch_execz .LBB355_1305
; %bb.1300:                             ;   in Loop: Header=BB355_15 Depth=1
	v_and_b32_e32 v2, 0x7f, v0
	v_mov_b32_e32 v110, 0x7f800001
	s_mov_b32 s18, exec_lo
	s_delay_alu instid0(VALU_DEP_2)
	v_cmpx_ne_u32_e32 0x7f, v2
	s_cbranch_execz .LBB355_1304
; %bb.1301:                             ;   in Loop: Header=BB355_15 Depth=1
	v_lshrrev_b32_e32 v6, 3, v2
	v_cmp_gt_u32_e64 s1, 8, v2
	v_mov_b64_e32 v[2:3], v[0:1]
	s_and_saveexec_b32 s19, s1
; %bb.1302:                             ;   in Loop: Header=BB355_15 Depth=1
	v_and_b32_e32 v2, 7, v0
	s_delay_alu instid0(VALU_DEP_1) | instskip(NEXT) | instid1(VALU_DEP_1)
	v_clz_i32_u32_e32 v2, v2
	v_min_u32_e32 v6, 32, v2
	s_delay_alu instid0(VALU_DEP_1) | instskip(SKIP_1) | instid1(VALU_DEP_2)
	v_subrev_nc_u32_e32 v2, 28, v6
	v_sub_nc_u32_e32 v6, 29, v6
	v_lshlrev_b64_e32 v[2:3], v2, v[0:1]
; %bb.1303:                             ;   in Loop: Header=BB355_15 Depth=1
	s_or_b32 exec_lo, exec_lo, s19
	s_delay_alu instid0(VALU_DEP_1) | instskip(NEXT) | instid1(VALU_DEP_3)
	v_dual_lshlrev_b32 v2, 20, v2 :: v_dual_lshlrev_b32 v3, 24, v0
	v_lshl_add_u32 v6, v6, 23, 0x3c000000
	s_delay_alu instid0(VALU_DEP_2) | instskip(NEXT) | instid1(VALU_DEP_3)
	v_and_b32_e32 v2, 0x700000, v2
	v_and_b32_e32 v3, 0x80000000, v3
	s_delay_alu instid0(VALU_DEP_1)
	v_or3_b32 v110, v2, v3, v6
.LBB355_1304:                           ;   in Loop: Header=BB355_15 Depth=1
	s_or_b32 exec_lo, exec_lo, s18
.LBB355_1305:                           ;   in Loop: Header=BB355_15 Depth=1
	s_delay_alu instid0(SALU_CYCLE_1)
	s_or_b32 exec_lo, exec_lo, s17
.LBB355_1306:                           ;   in Loop: Header=BB355_15 Depth=1
	s_delay_alu instid0(SALU_CYCLE_1) | instskip(SKIP_2) | instid1(VALU_DEP_1)
	s_or_b32 exec_lo, exec_lo, s16
	v_lshrrev_b16 v2, 8, v0
	s_mov_b32 s16, exec_lo
	v_cmpx_ne_u16_e32 0, v2
	s_cbranch_execz .LBB355_1314
; %bb.1307:                             ;   in Loop: Header=BB355_15 Depth=1
	v_bfrev_b32_e32 v111, 1
	s_mov_b32 s17, exec_lo
	v_cmpx_ne_u16_e32 0x80, v2
	s_cbranch_execz .LBB355_1313
; %bb.1308:                             ;   in Loop: Header=BB355_15 Depth=1
	v_and_b32_e32 v2, 0xffff, v2
	v_mov_b32_e32 v111, 0x7f800001
	s_mov_b32 s18, exec_lo
	s_delay_alu instid0(VALU_DEP_2) | instskip(NEXT) | instid1(VALU_DEP_1)
	v_and_b32_e32 v6, 0x7f, v2
	v_cmpx_ne_u32_e32 0x7f, v6
	s_cbranch_execz .LBB355_1312
; %bb.1309:                             ;   in Loop: Header=BB355_15 Depth=1
	v_and_b32_e32 v24, 7, v2
	s_mov_b32 s19, exec_lo
	s_delay_alu instid0(VALU_DEP_1)
	v_mov_b64_e32 v[2:3], v[24:25]
	v_lshrrev_b32_e32 v3, 3, v6
	v_cmpx_gt_u32_e32 8, v6
; %bb.1310:                             ;   in Loop: Header=BB355_15 Depth=1
	v_clz_i32_u32_e32 v2, v24
	s_delay_alu instid0(VALU_DEP_1) | instskip(NEXT) | instid1(VALU_DEP_1)
	v_min_u32_e32 v6, 32, v2
	v_subrev_nc_u32_e32 v2, 28, v6
	s_delay_alu instid0(VALU_DEP_1) | instskip(SKIP_1) | instid1(VALU_DEP_2)
	v_lshlrev_b64_e32 v[2:3], v2, v[24:25]
	v_sub_nc_u32_e32 v3, 29, v6
	v_and_b32_e32 v2, 7, v2
; %bb.1311:                             ;   in Loop: Header=BB355_15 Depth=1
	s_or_b32 exec_lo, exec_lo, s19
	s_delay_alu instid0(VALU_DEP_1) | instskip(NEXT) | instid1(VALU_DEP_3)
	v_dual_lshlrev_b32 v6, 16, v0 :: v_dual_lshlrev_b32 v2, 20, v2
	v_lshl_add_u32 v3, v3, 23, 0x3c000000
	s_delay_alu instid0(VALU_DEP_2) | instskip(NEXT) | instid1(VALU_DEP_1)
	v_and_b32_e32 v6, 0x80000000, v6
	v_or3_b32 v111, v2, v6, v3
.LBB355_1312:                           ;   in Loop: Header=BB355_15 Depth=1
	s_or_b32 exec_lo, exec_lo, s18
.LBB355_1313:                           ;   in Loop: Header=BB355_15 Depth=1
	s_delay_alu instid0(SALU_CYCLE_1)
	s_or_b32 exec_lo, exec_lo, s17
.LBB355_1314:                           ;   in Loop: Header=BB355_15 Depth=1
	s_delay_alu instid0(SALU_CYCLE_1) | instskip(SKIP_3) | instid1(VALU_DEP_2)
	s_or_b32 exec_lo, exec_lo, s16
	v_dual_mov_b32 v121, 0 :: v_dual_lshrrev_b32 v6, 16, v0
	v_mov_b32_e32 v120, 0
	s_mov_b32 s16, exec_lo
	v_and_b32_e32 v2, 0xff, v6
	s_delay_alu instid0(VALU_DEP_1)
	v_cmpx_ne_u16_e32 0, v2
	s_cbranch_execz .LBB355_1322
; %bb.1315:                             ;   in Loop: Header=BB355_15 Depth=1
	v_bfrev_b32_e32 v120, 1
	s_mov_b32 s17, exec_lo
	v_cmpx_ne_u16_e32 0x80, v2
	s_cbranch_execz .LBB355_1321
; %bb.1316:                             ;   in Loop: Header=BB355_15 Depth=1
	v_bfe_u32 v7, v0, 16, 7
	v_mov_b32_e32 v120, 0x7f800001
	s_mov_b32 s18, exec_lo
	s_delay_alu instid0(VALU_DEP_2)
	v_cmpx_ne_u32_e32 0x7f, v7
	s_cbranch_execz .LBB355_1320
; %bb.1317:                             ;   in Loop: Header=BB355_15 Depth=1
	v_and_b32_e32 v24, 7, v6
	s_mov_b32 s19, exec_lo
	s_delay_alu instid0(VALU_DEP_1)
	v_mov_b64_e32 v[2:3], v[24:25]
	v_lshrrev_b32_e32 v3, 3, v7
	v_cmpx_gt_u32_e32 8, v7
; %bb.1318:                             ;   in Loop: Header=BB355_15 Depth=1
	v_clz_i32_u32_e32 v2, v24
	s_delay_alu instid0(VALU_DEP_1) | instskip(NEXT) | instid1(VALU_DEP_1)
	v_min_u32_e32 v7, 32, v2
	v_subrev_nc_u32_e32 v2, 28, v7
	s_delay_alu instid0(VALU_DEP_1) | instskip(NEXT) | instid1(VALU_DEP_1)
	v_lshlrev_b64_e32 v[2:3], v2, v[24:25]
	v_dual_sub_nc_u32 v3, 29, v7 :: v_dual_bitop2_b32 v2, 7, v2 bitop3:0x40
; %bb.1319:                             ;   in Loop: Header=BB355_15 Depth=1
	s_or_b32 exec_lo, exec_lo, s19
	v_lshlrev_b32_e32 v6, 24, v6
	s_delay_alu instid0(VALU_DEP_2) | instskip(NEXT) | instid1(VALU_DEP_3)
	v_lshlrev_b32_e32 v2, 20, v2
	v_lshl_add_u32 v3, v3, 23, 0x3c000000
	s_delay_alu instid0(VALU_DEP_3) | instskip(NEXT) | instid1(VALU_DEP_1)
	v_and_b32_e32 v6, 0x80000000, v6
	v_or3_b32 v120, v2, v6, v3
.LBB355_1320:                           ;   in Loop: Header=BB355_15 Depth=1
	s_or_b32 exec_lo, exec_lo, s18
.LBB355_1321:                           ;   in Loop: Header=BB355_15 Depth=1
	s_delay_alu instid0(SALU_CYCLE_1)
	s_or_b32 exec_lo, exec_lo, s17
.LBB355_1322:                           ;   in Loop: Header=BB355_15 Depth=1
	s_delay_alu instid0(SALU_CYCLE_1) | instskip(NEXT) | instid1(SALU_CYCLE_1)
	s_or_b32 exec_lo, exec_lo, s16
	s_mov_b32 s16, exec_lo
	v_cmpx_lt_u32_e32 0xffffff, v0
	s_cbranch_execz .LBB355_1330
; %bb.1323:                             ;   in Loop: Header=BB355_15 Depth=1
	v_lshrrev_b32_e32 v6, 24, v0
	v_bfrev_b32_e32 v121, 1
	s_mov_b32 s17, exec_lo
	s_delay_alu instid0(VALU_DEP_2)
	v_cmpx_ne_u32_e32 0x80, v6
	s_cbranch_execz .LBB355_1329
; %bb.1324:                             ;   in Loop: Header=BB355_15 Depth=1
	v_bfe_u32 v7, v0, 24, 7
	v_mov_b32_e32 v121, 0x7f800001
	s_mov_b32 s18, exec_lo
	s_delay_alu instid0(VALU_DEP_2)
	v_cmpx_ne_u32_e32 0x7f, v7
	s_cbranch_execz .LBB355_1328
; %bb.1325:                             ;   in Loop: Header=BB355_15 Depth=1
	v_and_b32_e32 v24, 7, v6
	s_mov_b32 s19, exec_lo
	s_delay_alu instid0(VALU_DEP_1)
	v_mov_b64_e32 v[2:3], v[24:25]
	v_lshrrev_b32_e32 v3, 3, v7
	v_cmpx_gt_u32_e32 8, v7
; %bb.1326:                             ;   in Loop: Header=BB355_15 Depth=1
	v_clz_i32_u32_e32 v2, v24
	s_delay_alu instid0(VALU_DEP_1) | instskip(NEXT) | instid1(VALU_DEP_1)
	v_min_u32_e32 v7, 32, v2
	v_subrev_nc_u32_e32 v2, 28, v7
	s_delay_alu instid0(VALU_DEP_1) | instskip(NEXT) | instid1(VALU_DEP_1)
	v_lshlrev_b64_e32 v[2:3], v2, v[24:25]
	v_dual_sub_nc_u32 v3, 29, v7 :: v_dual_bitop2_b32 v2, 7, v2 bitop3:0x40
; %bb.1327:                             ;   in Loop: Header=BB355_15 Depth=1
	s_or_b32 exec_lo, exec_lo, s19
	v_lshlrev_b32_e32 v6, 24, v6
	s_delay_alu instid0(VALU_DEP_2) | instskip(NEXT) | instid1(VALU_DEP_3)
	v_lshlrev_b32_e32 v2, 20, v2
	v_lshl_add_u32 v3, v3, 23, 0x3c000000
	s_delay_alu instid0(VALU_DEP_3) | instskip(NEXT) | instid1(VALU_DEP_1)
	v_and_b32_e32 v6, 0x80000000, v6
	v_or3_b32 v121, v2, v6, v3
.LBB355_1328:                           ;   in Loop: Header=BB355_15 Depth=1
	s_or_b32 exec_lo, exec_lo, s18
.LBB355_1329:                           ;   in Loop: Header=BB355_15 Depth=1
	s_delay_alu instid0(SALU_CYCLE_1)
	s_or_b32 exec_lo, exec_lo, s17
.LBB355_1330:                           ;   in Loop: Header=BB355_15 Depth=1
	s_delay_alu instid0(SALU_CYCLE_1) | instskip(SKIP_4) | instid1(VALU_DEP_3)
	s_or_b32 exec_lo, exec_lo, s16
	v_and_b32_e32 v2, 0xff, v1
	v_dual_mov_b32 v24, v1 :: v_dual_mov_b32 v125, 0
	v_mov_b32_e32 v124, 0
	s_mov_b32 s16, exec_lo
	v_cmpx_ne_u16_e32 0, v2
	s_cbranch_execz .LBB355_1338
; %bb.1331:                             ;   in Loop: Header=BB355_15 Depth=1
	v_bfrev_b32_e32 v124, 1
	s_mov_b32 s17, exec_lo
	v_cmpx_ne_u16_e32 0x80, v2
	s_cbranch_execz .LBB355_1337
; %bb.1332:                             ;   in Loop: Header=BB355_15 Depth=1
	v_and_b32_e32 v6, 0x7f, v1
	v_mov_b32_e32 v124, 0x7f800001
	s_mov_b32 s18, exec_lo
	s_delay_alu instid0(VALU_DEP_2)
	v_cmpx_ne_u32_e32 0x7f, v6
	s_cbranch_execz .LBB355_1336
; %bb.1333:                             ;   in Loop: Header=BB355_15 Depth=1
	v_mov_b64_e32 v[2:3], v[24:25]
	v_lshrrev_b32_e32 v3, 3, v6
	s_mov_b32 s19, exec_lo
	v_cmpx_gt_u32_e32 8, v6
; %bb.1334:                             ;   in Loop: Header=BB355_15 Depth=1
	v_and_b32_e32 v2, 7, v1
	s_delay_alu instid0(VALU_DEP_1) | instskip(NEXT) | instid1(VALU_DEP_1)
	v_clz_i32_u32_e32 v2, v2
	v_min_u32_e32 v6, 32, v2
	s_delay_alu instid0(VALU_DEP_1) | instskip(NEXT) | instid1(VALU_DEP_1)
	v_subrev_nc_u32_e32 v2, 28, v6
	v_lshlrev_b64_e32 v[2:3], v2, v[24:25]
	v_sub_nc_u32_e32 v3, 29, v6
; %bb.1335:                             ;   in Loop: Header=BB355_15 Depth=1
	s_or_b32 exec_lo, exec_lo, s19
	s_delay_alu instid0(VALU_DEP_2) | instskip(NEXT) | instid1(VALU_DEP_2)
	v_dual_lshlrev_b32 v2, 20, v2 :: v_dual_lshlrev_b32 v6, 24, v24
	v_lshl_add_u32 v3, v3, 23, 0x3c000000
	s_delay_alu instid0(VALU_DEP_2) | instskip(NEXT) | instid1(VALU_DEP_3)
	v_and_b32_e32 v2, 0x700000, v2
	v_and_b32_e32 v6, 0x80000000, v6
	s_delay_alu instid0(VALU_DEP_1)
	v_or3_b32 v124, v2, v6, v3
.LBB355_1336:                           ;   in Loop: Header=BB355_15 Depth=1
	s_or_b32 exec_lo, exec_lo, s18
.LBB355_1337:                           ;   in Loop: Header=BB355_15 Depth=1
	s_delay_alu instid0(SALU_CYCLE_1)
	s_or_b32 exec_lo, exec_lo, s17
.LBB355_1338:                           ;   in Loop: Header=BB355_15 Depth=1
	s_delay_alu instid0(SALU_CYCLE_1) | instskip(SKIP_2) | instid1(VALU_DEP_1)
	s_or_b32 exec_lo, exec_lo, s16
	v_lshrrev_b16 v2, 8, v24
	s_mov_b32 s16, exec_lo
	v_cmpx_ne_u16_e32 0, v2
	s_cbranch_execz .LBB355_1346
; %bb.1339:                             ;   in Loop: Header=BB355_15 Depth=1
	v_bfrev_b32_e32 v125, 1
	s_mov_b32 s17, exec_lo
	v_cmpx_ne_u16_e32 0x80, v2
	s_cbranch_execz .LBB355_1345
; %bb.1340:                             ;   in Loop: Header=BB355_15 Depth=1
	v_and_b32_e32 v2, 0xffff, v2
	v_mov_b32_e32 v125, 0x7f800001
	s_mov_b32 s18, exec_lo
	s_delay_alu instid0(VALU_DEP_2) | instskip(NEXT) | instid1(VALU_DEP_1)
	v_and_b32_e32 v7, 0x7f, v2
	v_cmpx_ne_u32_e32 0x7f, v7
	s_cbranch_execz .LBB355_1344
; %bb.1341:                             ;   in Loop: Header=BB355_15 Depth=1
	v_dual_mov_b32 v3, v25 :: v_dual_bitop2_b32 v2, 7, v2 bitop3:0x40
	v_lshrrev_b32_e32 v6, 3, v7
	s_mov_b32 s19, exec_lo
	v_cmpx_gt_u32_e32 8, v7
; %bb.1342:                             ;   in Loop: Header=BB355_15 Depth=1
	s_delay_alu instid0(VALU_DEP_3) | instskip(NEXT) | instid1(VALU_DEP_1)
	v_clz_i32_u32_e32 v6, v2
	v_min_u32_e32 v6, 32, v6
	s_delay_alu instid0(VALU_DEP_1) | instskip(SKIP_1) | instid1(VALU_DEP_2)
	v_subrev_nc_u32_e32 v7, 28, v6
	v_sub_nc_u32_e32 v6, 29, v6
	v_lshlrev_b64_e32 v[2:3], v7, v[2:3]
	s_delay_alu instid0(VALU_DEP_1)
	v_and_b32_e32 v2, 7, v2
; %bb.1343:                             ;   in Loop: Header=BB355_15 Depth=1
	s_or_b32 exec_lo, exec_lo, s19
	s_delay_alu instid0(VALU_DEP_1) | instskip(SKIP_1) | instid1(VALU_DEP_2)
	v_dual_lshlrev_b32 v3, 16, v24 :: v_dual_lshlrev_b32 v2, 20, v2
	v_lshl_add_u32 v6, v6, 23, 0x3c000000
	v_and_b32_e32 v3, 0x80000000, v3
	s_delay_alu instid0(VALU_DEP_1)
	v_or3_b32 v125, v2, v3, v6
.LBB355_1344:                           ;   in Loop: Header=BB355_15 Depth=1
	s_or_b32 exec_lo, exec_lo, s18
.LBB355_1345:                           ;   in Loop: Header=BB355_15 Depth=1
	s_delay_alu instid0(SALU_CYCLE_1)
	s_or_b32 exec_lo, exec_lo, s17
.LBB355_1346:                           ;   in Loop: Header=BB355_15 Depth=1
	s_delay_alu instid0(SALU_CYCLE_1) | instskip(SKIP_3) | instid1(VALU_DEP_2)
	s_or_b32 exec_lo, exec_lo, s16
	v_dual_mov_b32 v127, 0 :: v_dual_lshrrev_b32 v6, 16, v1
	v_mov_b32_e32 v126, 0
	s_mov_b32 s16, exec_lo
	v_and_b32_e32 v2, 0xff, v6
	s_delay_alu instid0(VALU_DEP_1)
	v_cmpx_ne_u16_e32 0, v2
	s_cbranch_execz .LBB355_1354
; %bb.1347:                             ;   in Loop: Header=BB355_15 Depth=1
	v_bfrev_b32_e32 v126, 1
	s_mov_b32 s17, exec_lo
	v_cmpx_ne_u16_e32 0x80, v2
	s_cbranch_execz .LBB355_1353
; %bb.1348:                             ;   in Loop: Header=BB355_15 Depth=1
	v_bfe_u32 v7, v1, 16, 7
	v_mov_b32_e32 v126, 0x7f800001
	s_mov_b32 s18, exec_lo
	s_delay_alu instid0(VALU_DEP_2)
	v_cmpx_ne_u32_e32 0x7f, v7
	s_cbranch_execz .LBB355_1352
; %bb.1349:                             ;   in Loop: Header=BB355_15 Depth=1
	v_and_b32_e32 v24, 7, v6
	s_mov_b32 s19, exec_lo
	s_delay_alu instid0(VALU_DEP_1)
	v_mov_b64_e32 v[2:3], v[24:25]
	v_lshrrev_b32_e32 v3, 3, v7
	v_cmpx_gt_u32_e32 8, v7
; %bb.1350:                             ;   in Loop: Header=BB355_15 Depth=1
	v_clz_i32_u32_e32 v2, v24
	s_delay_alu instid0(VALU_DEP_1) | instskip(NEXT) | instid1(VALU_DEP_1)
	v_min_u32_e32 v7, 32, v2
	v_subrev_nc_u32_e32 v2, 28, v7
	s_delay_alu instid0(VALU_DEP_1) | instskip(NEXT) | instid1(VALU_DEP_1)
	v_lshlrev_b64_e32 v[2:3], v2, v[24:25]
	v_dual_sub_nc_u32 v3, 29, v7 :: v_dual_bitop2_b32 v2, 7, v2 bitop3:0x40
; %bb.1351:                             ;   in Loop: Header=BB355_15 Depth=1
	s_or_b32 exec_lo, exec_lo, s19
	v_lshlrev_b32_e32 v6, 24, v6
	s_delay_alu instid0(VALU_DEP_2) | instskip(NEXT) | instid1(VALU_DEP_3)
	v_lshlrev_b32_e32 v2, 20, v2
	v_lshl_add_u32 v3, v3, 23, 0x3c000000
	s_delay_alu instid0(VALU_DEP_3) | instskip(NEXT) | instid1(VALU_DEP_1)
	v_and_b32_e32 v6, 0x80000000, v6
	v_or3_b32 v126, v2, v6, v3
.LBB355_1352:                           ;   in Loop: Header=BB355_15 Depth=1
	s_or_b32 exec_lo, exec_lo, s18
.LBB355_1353:                           ;   in Loop: Header=BB355_15 Depth=1
	s_delay_alu instid0(SALU_CYCLE_1)
	s_or_b32 exec_lo, exec_lo, s17
.LBB355_1354:                           ;   in Loop: Header=BB355_15 Depth=1
	s_delay_alu instid0(SALU_CYCLE_1) | instskip(NEXT) | instid1(SALU_CYCLE_1)
	s_or_b32 exec_lo, exec_lo, s16
	s_mov_b32 s16, exec_lo
	v_cmpx_lt_u64_e64 s[8:9], v[0:1]
	s_cbranch_execz .LBB355_1362
; %bb.1355:                             ;   in Loop: Header=BB355_15 Depth=1
	v_lshrrev_b32_e32 v2, 24, v1
	v_bfrev_b32_e32 v127, 1
	s_mov_b32 s17, exec_lo
	s_delay_alu instid0(VALU_DEP_2)
	v_cmpx_ne_u32_e32 0x80, v2
	s_cbranch_execz .LBB355_1361
; %bb.1356:                             ;   in Loop: Header=BB355_15 Depth=1
	v_bfe_u32 v3, v1, 24, 7
	v_mov_b32_e32 v127, 0x7f800001
	s_mov_b32 s18, exec_lo
	s_delay_alu instid0(VALU_DEP_2)
	v_cmpx_ne_u32_e32 0x7f, v3
	s_cbranch_execz .LBB355_1360
; %bb.1357:                             ;   in Loop: Header=BB355_15 Depth=1
	v_and_b32_e32 v24, 7, v2
	s_mov_b32 s19, exec_lo
	s_delay_alu instid0(VALU_DEP_1)
	v_mov_b64_e32 v[0:1], v[24:25]
	v_lshrrev_b32_e32 v1, 3, v3
	v_cmpx_gt_u32_e32 8, v3
; %bb.1358:                             ;   in Loop: Header=BB355_15 Depth=1
	v_clz_i32_u32_e32 v0, v24
	s_delay_alu instid0(VALU_DEP_1) | instskip(NEXT) | instid1(VALU_DEP_1)
	v_min_u32_e32 v3, 32, v0
	v_subrev_nc_u32_e32 v0, 28, v3
	s_delay_alu instid0(VALU_DEP_1) | instskip(NEXT) | instid1(VALU_DEP_1)
	v_lshlrev_b64_e32 v[0:1], v0, v[24:25]
	v_dual_sub_nc_u32 v1, 29, v3 :: v_dual_bitop2_b32 v0, 7, v0 bitop3:0x40
; %bb.1359:                             ;   in Loop: Header=BB355_15 Depth=1
	s_or_b32 exec_lo, exec_lo, s19
	s_delay_alu instid0(VALU_DEP_1) | instskip(NEXT) | instid1(VALU_DEP_2)
	v_dual_lshlrev_b32 v2, 24, v2 :: v_dual_lshlrev_b32 v0, 20, v0
	v_lshl_add_u32 v1, v1, 23, 0x3c000000
	s_delay_alu instid0(VALU_DEP_2) | instskip(NEXT) | instid1(VALU_DEP_1)
	v_and_b32_e32 v2, 0x80000000, v2
	v_or3_b32 v127, v0, v2, v1
.LBB355_1360:                           ;   in Loop: Header=BB355_15 Depth=1
	s_or_b32 exec_lo, exec_lo, s18
.LBB355_1361:                           ;   in Loop: Header=BB355_15 Depth=1
	s_delay_alu instid0(SALU_CYCLE_1)
	s_or_b32 exec_lo, exec_lo, s17
.LBB355_1362:                           ;   in Loop: Header=BB355_15 Depth=1
	s_delay_alu instid0(SALU_CYCLE_1)
	s_or_b32 exec_lo, exec_lo, s16
	flat_load_b64 v[8:9], v[36:37] offset:5128
	v_dual_mov_b32 v3, 0 :: v_dual_mov_b32 v2, 0
	s_mov_b32 s16, exec_lo
	s_wait_loadcnt_dscnt 0x0
	v_and_b32_e32 v0, 0xff, v8
	s_wait_xcnt 0x0
	s_delay_alu instid0(VALU_DEP_1)
	v_cmpx_ne_u16_e32 0, v0
	s_cbranch_execz .LBB355_1370
; %bb.1363:                             ;   in Loop: Header=BB355_15 Depth=1
	v_bfrev_b32_e32 v2, 1
	s_mov_b32 s17, exec_lo
	v_cmpx_ne_u16_e32 0x80, v0
	s_cbranch_execz .LBB355_1369
; %bb.1364:                             ;   in Loop: Header=BB355_15 Depth=1
	v_and_b32_e32 v0, 0x7f, v8
	v_mov_b32_e32 v2, 0x7f800001
	s_mov_b32 s18, exec_lo
	s_delay_alu instid0(VALU_DEP_2)
	v_cmpx_ne_u32_e32 0x7f, v0
	s_cbranch_execz .LBB355_1368
; %bb.1365:                             ;   in Loop: Header=BB355_15 Depth=1
	v_lshrrev_b32_e32 v2, 3, v0
	v_cmp_gt_u32_e64 s1, 8, v0
	v_mov_b64_e32 v[0:1], v[8:9]
	s_and_saveexec_b32 s19, s1
; %bb.1366:                             ;   in Loop: Header=BB355_15 Depth=1
	v_and_b32_e32 v0, 7, v8
	s_delay_alu instid0(VALU_DEP_1) | instskip(NEXT) | instid1(VALU_DEP_1)
	v_clz_i32_u32_e32 v0, v0
	v_min_u32_e32 v2, 32, v0
	s_delay_alu instid0(VALU_DEP_1) | instskip(SKIP_1) | instid1(VALU_DEP_2)
	v_subrev_nc_u32_e32 v0, 28, v2
	v_sub_nc_u32_e32 v2, 29, v2
	v_lshlrev_b64_e32 v[0:1], v0, v[8:9]
; %bb.1367:                             ;   in Loop: Header=BB355_15 Depth=1
	s_or_b32 exec_lo, exec_lo, s19
	s_delay_alu instid0(VALU_DEP_1) | instskip(SKIP_2) | instid1(VALU_DEP_3)
	v_lshlrev_b32_e32 v0, 20, v0
	v_lshlrev_b32_e32 v1, 24, v8
	v_lshl_add_u32 v2, v2, 23, 0x3c000000
	v_and_b32_e32 v0, 0x700000, v0
	s_delay_alu instid0(VALU_DEP_3) | instskip(NEXT) | instid1(VALU_DEP_1)
	v_and_b32_e32 v1, 0x80000000, v1
	v_or3_b32 v2, v0, v1, v2
.LBB355_1368:                           ;   in Loop: Header=BB355_15 Depth=1
	s_or_b32 exec_lo, exec_lo, s18
.LBB355_1369:                           ;   in Loop: Header=BB355_15 Depth=1
	s_delay_alu instid0(SALU_CYCLE_1)
	s_or_b32 exec_lo, exec_lo, s17
.LBB355_1370:                           ;   in Loop: Header=BB355_15 Depth=1
	s_delay_alu instid0(SALU_CYCLE_1) | instskip(SKIP_2) | instid1(VALU_DEP_1)
	s_or_b32 exec_lo, exec_lo, s16
	v_lshrrev_b16 v0, 8, v8
	s_mov_b32 s16, exec_lo
	v_cmpx_ne_u16_e32 0, v0
	s_cbranch_execz .LBB355_1378
; %bb.1371:                             ;   in Loop: Header=BB355_15 Depth=1
	v_bfrev_b32_e32 v3, 1
	s_mov_b32 s17, exec_lo
	v_cmpx_ne_u16_e32 0x80, v0
	s_cbranch_execz .LBB355_1377
; %bb.1372:                             ;   in Loop: Header=BB355_15 Depth=1
	v_and_b32_e32 v0, 0xffff, v0
	v_mov_b32_e32 v3, 0x7f800001
	s_mov_b32 s18, exec_lo
	s_delay_alu instid0(VALU_DEP_2) | instskip(NEXT) | instid1(VALU_DEP_1)
	v_and_b32_e32 v6, 0x7f, v0
	v_cmpx_ne_u32_e32 0x7f, v6
	s_cbranch_execz .LBB355_1376
; %bb.1373:                             ;   in Loop: Header=BB355_15 Depth=1
	v_and_b32_e32 v24, 7, v0
	s_mov_b32 s19, exec_lo
	s_delay_alu instid0(VALU_DEP_1)
	v_mov_b64_e32 v[0:1], v[24:25]
	v_lshrrev_b32_e32 v1, 3, v6
	v_cmpx_gt_u32_e32 8, v6
; %bb.1374:                             ;   in Loop: Header=BB355_15 Depth=1
	v_clz_i32_u32_e32 v0, v24
	s_delay_alu instid0(VALU_DEP_1) | instskip(NEXT) | instid1(VALU_DEP_1)
	v_min_u32_e32 v3, 32, v0
	v_subrev_nc_u32_e32 v0, 28, v3
	s_delay_alu instid0(VALU_DEP_1) | instskip(NEXT) | instid1(VALU_DEP_1)
	v_lshlrev_b64_e32 v[0:1], v0, v[24:25]
	v_dual_sub_nc_u32 v1, 29, v3 :: v_dual_bitop2_b32 v0, 7, v0 bitop3:0x40
; %bb.1375:                             ;   in Loop: Header=BB355_15 Depth=1
	s_or_b32 exec_lo, exec_lo, s19
	v_lshlrev_b32_e32 v3, 16, v8
	s_delay_alu instid0(VALU_DEP_2) | instskip(NEXT) | instid1(VALU_DEP_3)
	v_lshlrev_b32_e32 v0, 20, v0
	v_lshl_add_u32 v1, v1, 23, 0x3c000000
	s_delay_alu instid0(VALU_DEP_3) | instskip(NEXT) | instid1(VALU_DEP_1)
	v_and_b32_e32 v3, 0x80000000, v3
	v_or3_b32 v3, v0, v3, v1
.LBB355_1376:                           ;   in Loop: Header=BB355_15 Depth=1
	s_or_b32 exec_lo, exec_lo, s18
.LBB355_1377:                           ;   in Loop: Header=BB355_15 Depth=1
	s_delay_alu instid0(SALU_CYCLE_1)
	s_or_b32 exec_lo, exec_lo, s17
.LBB355_1378:                           ;   in Loop: Header=BB355_15 Depth=1
	s_delay_alu instid0(SALU_CYCLE_1) | instskip(SKIP_3) | instid1(VALU_DEP_2)
	s_or_b32 exec_lo, exec_lo, s16
	v_dual_mov_b32 v27, 0 :: v_dual_lshrrev_b32 v6, 16, v8
	v_mov_b32_e32 v26, 0
	s_mov_b32 s16, exec_lo
	v_and_b32_e32 v0, 0xff, v6
	s_delay_alu instid0(VALU_DEP_1)
	v_cmpx_ne_u16_e32 0, v0
	s_cbranch_execz .LBB355_1386
; %bb.1379:                             ;   in Loop: Header=BB355_15 Depth=1
	v_bfrev_b32_e32 v26, 1
	s_mov_b32 s17, exec_lo
	v_cmpx_ne_u16_e32 0x80, v0
	s_cbranch_execz .LBB355_1385
; %bb.1380:                             ;   in Loop: Header=BB355_15 Depth=1
	v_bfe_u32 v7, v8, 16, 7
	v_mov_b32_e32 v26, 0x7f800001
	s_mov_b32 s18, exec_lo
	s_delay_alu instid0(VALU_DEP_2)
	v_cmpx_ne_u32_e32 0x7f, v7
	s_cbranch_execz .LBB355_1384
; %bb.1381:                             ;   in Loop: Header=BB355_15 Depth=1
	v_and_b32_e32 v24, 7, v6
	s_mov_b32 s19, exec_lo
	s_delay_alu instid0(VALU_DEP_1)
	v_mov_b64_e32 v[0:1], v[24:25]
	v_lshrrev_b32_e32 v1, 3, v7
	v_cmpx_gt_u32_e32 8, v7
; %bb.1382:                             ;   in Loop: Header=BB355_15 Depth=1
	v_clz_i32_u32_e32 v0, v24
	s_delay_alu instid0(VALU_DEP_1) | instskip(NEXT) | instid1(VALU_DEP_1)
	v_min_u32_e32 v7, 32, v0
	v_subrev_nc_u32_e32 v0, 28, v7
	s_delay_alu instid0(VALU_DEP_1) | instskip(NEXT) | instid1(VALU_DEP_1)
	v_lshlrev_b64_e32 v[0:1], v0, v[24:25]
	v_dual_sub_nc_u32 v1, 29, v7 :: v_dual_bitop2_b32 v0, 7, v0 bitop3:0x40
; %bb.1383:                             ;   in Loop: Header=BB355_15 Depth=1
	s_or_b32 exec_lo, exec_lo, s19
	s_delay_alu instid0(VALU_DEP_1) | instskip(NEXT) | instid1(VALU_DEP_2)
	v_dual_lshlrev_b32 v6, 24, v6 :: v_dual_lshlrev_b32 v0, 20, v0
	v_lshl_add_u32 v1, v1, 23, 0x3c000000
	s_delay_alu instid0(VALU_DEP_2) | instskip(NEXT) | instid1(VALU_DEP_1)
	v_and_b32_e32 v6, 0x80000000, v6
	v_or3_b32 v26, v0, v6, v1
.LBB355_1384:                           ;   in Loop: Header=BB355_15 Depth=1
	s_or_b32 exec_lo, exec_lo, s18
.LBB355_1385:                           ;   in Loop: Header=BB355_15 Depth=1
	s_delay_alu instid0(SALU_CYCLE_1)
	s_or_b32 exec_lo, exec_lo, s17
.LBB355_1386:                           ;   in Loop: Header=BB355_15 Depth=1
	s_delay_alu instid0(SALU_CYCLE_1) | instskip(NEXT) | instid1(SALU_CYCLE_1)
	s_or_b32 exec_lo, exec_lo, s16
	s_mov_b32 s16, exec_lo
	v_cmpx_lt_u32_e32 0xffffff, v8
	s_cbranch_execz .LBB355_1394
; %bb.1387:                             ;   in Loop: Header=BB355_15 Depth=1
	v_lshrrev_b32_e32 v6, 24, v8
	v_bfrev_b32_e32 v27, 1
	s_mov_b32 s17, exec_lo
	s_delay_alu instid0(VALU_DEP_2)
	v_cmpx_ne_u32_e32 0x80, v6
	s_cbranch_execz .LBB355_1393
; %bb.1388:                             ;   in Loop: Header=BB355_15 Depth=1
	v_bfe_u32 v7, v8, 24, 7
	v_mov_b32_e32 v27, 0x7f800001
	s_mov_b32 s18, exec_lo
	s_delay_alu instid0(VALU_DEP_2)
	v_cmpx_ne_u32_e32 0x7f, v7
	s_cbranch_execz .LBB355_1392
; %bb.1389:                             ;   in Loop: Header=BB355_15 Depth=1
	v_and_b32_e32 v24, 7, v6
	s_mov_b32 s19, exec_lo
	s_delay_alu instid0(VALU_DEP_1)
	v_mov_b64_e32 v[0:1], v[24:25]
	v_lshrrev_b32_e32 v1, 3, v7
	v_cmpx_gt_u32_e32 8, v7
; %bb.1390:                             ;   in Loop: Header=BB355_15 Depth=1
	v_clz_i32_u32_e32 v0, v24
	s_delay_alu instid0(VALU_DEP_1) | instskip(NEXT) | instid1(VALU_DEP_1)
	v_min_u32_e32 v7, 32, v0
	v_subrev_nc_u32_e32 v0, 28, v7
	s_delay_alu instid0(VALU_DEP_1) | instskip(NEXT) | instid1(VALU_DEP_1)
	v_lshlrev_b64_e32 v[0:1], v0, v[24:25]
	v_dual_sub_nc_u32 v1, 29, v7 :: v_dual_bitop2_b32 v0, 7, v0 bitop3:0x40
; %bb.1391:                             ;   in Loop: Header=BB355_15 Depth=1
	s_or_b32 exec_lo, exec_lo, s19
	s_delay_alu instid0(VALU_DEP_1) | instskip(NEXT) | instid1(VALU_DEP_2)
	v_dual_lshlrev_b32 v6, 24, v6 :: v_dual_lshlrev_b32 v0, 20, v0
	v_lshl_add_u32 v1, v1, 23, 0x3c000000
	s_delay_alu instid0(VALU_DEP_2) | instskip(NEXT) | instid1(VALU_DEP_1)
	v_and_b32_e32 v6, 0x80000000, v6
	v_or3_b32 v27, v0, v6, v1
.LBB355_1392:                           ;   in Loop: Header=BB355_15 Depth=1
	s_or_b32 exec_lo, exec_lo, s18
.LBB355_1393:                           ;   in Loop: Header=BB355_15 Depth=1
	s_delay_alu instid0(SALU_CYCLE_1)
	s_or_b32 exec_lo, exec_lo, s17
.LBB355_1394:                           ;   in Loop: Header=BB355_15 Depth=1
	s_delay_alu instid0(SALU_CYCLE_1) | instskip(SKIP_4) | instid1(VALU_DEP_3)
	s_or_b32 exec_lo, exec_lo, s16
	v_and_b32_e32 v6, 0xff, v9
	v_dual_mov_b32 v24, v9 :: v_dual_mov_b32 v1, 0
	v_mov_b32_e32 v0, 0
	s_mov_b32 s16, exec_lo
	v_cmpx_ne_u16_e32 0, v6
	s_cbranch_execz .LBB355_1402
; %bb.1395:                             ;   in Loop: Header=BB355_15 Depth=1
	v_bfrev_b32_e32 v0, 1
	s_mov_b32 s17, exec_lo
	v_cmpx_ne_u16_e32 0x80, v6
	s_cbranch_execz .LBB355_1401
; %bb.1396:                             ;   in Loop: Header=BB355_15 Depth=1
	v_and_b32_e32 v10, 0x7f, v9
	v_mov_b32_e32 v0, 0x7f800001
	s_mov_b32 s18, exec_lo
	s_delay_alu instid0(VALU_DEP_2)
	v_cmpx_ne_u32_e32 0x7f, v10
	s_cbranch_execz .LBB355_1400
; %bb.1397:                             ;   in Loop: Header=BB355_15 Depth=1
	v_mov_b64_e32 v[6:7], v[24:25]
	v_lshrrev_b32_e32 v0, 3, v10
	s_mov_b32 s19, exec_lo
	v_cmpx_gt_u32_e32 8, v10
; %bb.1398:                             ;   in Loop: Header=BB355_15 Depth=1
	v_and_b32_e32 v0, 7, v9
	s_delay_alu instid0(VALU_DEP_1) | instskip(NEXT) | instid1(VALU_DEP_1)
	v_clz_i32_u32_e32 v0, v0
	v_min_u32_e32 v0, 32, v0
	s_delay_alu instid0(VALU_DEP_1) | instskip(SKIP_1) | instid1(VALU_DEP_2)
	v_subrev_nc_u32_e32 v6, 28, v0
	v_sub_nc_u32_e32 v0, 29, v0
	v_lshlrev_b64_e32 v[6:7], v6, v[24:25]
; %bb.1399:                             ;   in Loop: Header=BB355_15 Depth=1
	s_or_b32 exec_lo, exec_lo, s19
	s_delay_alu instid0(VALU_DEP_1) | instskip(NEXT) | instid1(VALU_DEP_3)
	v_dual_lshlrev_b32 v6, 20, v6 :: v_dual_lshlrev_b32 v7, 24, v24
	v_lshl_add_u32 v0, v0, 23, 0x3c000000
	s_delay_alu instid0(VALU_DEP_2) | instskip(NEXT) | instid1(VALU_DEP_3)
	v_and_b32_e32 v6, 0x700000, v6
	v_and_b32_e32 v7, 0x80000000, v7
	s_delay_alu instid0(VALU_DEP_1)
	v_or3_b32 v0, v6, v7, v0
.LBB355_1400:                           ;   in Loop: Header=BB355_15 Depth=1
	s_or_b32 exec_lo, exec_lo, s18
.LBB355_1401:                           ;   in Loop: Header=BB355_15 Depth=1
	s_delay_alu instid0(SALU_CYCLE_1)
	s_or_b32 exec_lo, exec_lo, s17
.LBB355_1402:                           ;   in Loop: Header=BB355_15 Depth=1
	s_delay_alu instid0(SALU_CYCLE_1) | instskip(SKIP_2) | instid1(VALU_DEP_1)
	s_or_b32 exec_lo, exec_lo, s16
	v_lshrrev_b16 v6, 8, v24
	s_mov_b32 s16, exec_lo
	v_cmpx_ne_u16_e32 0, v6
	s_cbranch_execz .LBB355_1410
; %bb.1403:                             ;   in Loop: Header=BB355_15 Depth=1
	v_bfrev_b32_e32 v1, 1
	s_mov_b32 s17, exec_lo
	v_cmpx_ne_u16_e32 0x80, v6
	s_cbranch_execz .LBB355_1409
; %bb.1404:                             ;   in Loop: Header=BB355_15 Depth=1
	v_and_b32_e32 v6, 0xffff, v6
	v_mov_b32_e32 v1, 0x7f800001
	s_mov_b32 s18, exec_lo
	s_delay_alu instid0(VALU_DEP_2) | instskip(NEXT) | instid1(VALU_DEP_1)
	v_and_b32_e32 v10, 0x7f, v6
	v_cmpx_ne_u32_e32 0x7f, v10
	s_cbranch_execz .LBB355_1408
; %bb.1405:                             ;   in Loop: Header=BB355_15 Depth=1
	v_dual_mov_b32 v7, v25 :: v_dual_bitop2_b32 v6, 7, v6 bitop3:0x40
	v_lshrrev_b32_e32 v1, 3, v10
	s_mov_b32 s19, exec_lo
	v_cmpx_gt_u32_e32 8, v10
; %bb.1406:                             ;   in Loop: Header=BB355_15 Depth=1
	s_delay_alu instid0(VALU_DEP_3) | instskip(NEXT) | instid1(VALU_DEP_1)
	v_clz_i32_u32_e32 v1, v6
	v_min_u32_e32 v1, 32, v1
	s_delay_alu instid0(VALU_DEP_1) | instskip(NEXT) | instid1(VALU_DEP_1)
	v_subrev_nc_u32_e32 v10, 28, v1
	v_lshlrev_b64_e32 v[6:7], v10, v[6:7]
	s_delay_alu instid0(VALU_DEP_1)
	v_dual_sub_nc_u32 v1, 29, v1 :: v_dual_bitop2_b32 v6, 7, v6 bitop3:0x40
; %bb.1407:                             ;   in Loop: Header=BB355_15 Depth=1
	s_or_b32 exec_lo, exec_lo, s19
	s_delay_alu instid0(VALU_DEP_1) | instskip(NEXT) | instid1(VALU_DEP_2)
	v_dual_lshlrev_b32 v7, 16, v24 :: v_dual_lshlrev_b32 v6, 20, v6
	v_lshl_add_u32 v1, v1, 23, 0x3c000000
	s_delay_alu instid0(VALU_DEP_2) | instskip(NEXT) | instid1(VALU_DEP_1)
	v_and_b32_e32 v7, 0x80000000, v7
	v_or3_b32 v1, v6, v7, v1
.LBB355_1408:                           ;   in Loop: Header=BB355_15 Depth=1
	s_or_b32 exec_lo, exec_lo, s18
.LBB355_1409:                           ;   in Loop: Header=BB355_15 Depth=1
	s_delay_alu instid0(SALU_CYCLE_1)
	s_or_b32 exec_lo, exec_lo, s17
.LBB355_1410:                           ;   in Loop: Header=BB355_15 Depth=1
	s_delay_alu instid0(SALU_CYCLE_1) | instskip(SKIP_3) | instid1(VALU_DEP_2)
	s_or_b32 exec_lo, exec_lo, s16
	v_dual_mov_b32 v7, 0 :: v_dual_lshrrev_b32 v12, 16, v9
	v_mov_b32_e32 v6, 0
	s_mov_b32 s16, exec_lo
	v_and_b32_e32 v10, 0xff, v12
	s_delay_alu instid0(VALU_DEP_1)
	v_cmpx_ne_u16_e32 0, v10
	s_cbranch_execz .LBB355_1418
; %bb.1411:                             ;   in Loop: Header=BB355_15 Depth=1
	v_bfrev_b32_e32 v6, 1
	s_mov_b32 s17, exec_lo
	v_cmpx_ne_u16_e32 0x80, v10
	s_cbranch_execz .LBB355_1417
; %bb.1412:                             ;   in Loop: Header=BB355_15 Depth=1
	v_bfe_u32 v13, v9, 16, 7
	v_mov_b32_e32 v6, 0x7f800001
	s_mov_b32 s18, exec_lo
	s_delay_alu instid0(VALU_DEP_2)
	v_cmpx_ne_u32_e32 0x7f, v13
	s_cbranch_execz .LBB355_1416
; %bb.1413:                             ;   in Loop: Header=BB355_15 Depth=1
	v_dual_lshrrev_b32 v6, 3, v13 :: v_dual_bitop2_b32 v24, 7, v12 bitop3:0x40
	s_mov_b32 s19, exec_lo
	s_delay_alu instid0(VALU_DEP_1)
	v_mov_b64_e32 v[10:11], v[24:25]
	v_cmpx_gt_u32_e32 8, v13
; %bb.1414:                             ;   in Loop: Header=BB355_15 Depth=1
	v_clz_i32_u32_e32 v6, v24
	s_delay_alu instid0(VALU_DEP_1) | instskip(NEXT) | instid1(VALU_DEP_1)
	v_min_u32_e32 v6, 32, v6
	v_subrev_nc_u32_e32 v10, 28, v6
	v_sub_nc_u32_e32 v6, 29, v6
	s_delay_alu instid0(VALU_DEP_2) | instskip(NEXT) | instid1(VALU_DEP_1)
	v_lshlrev_b64_e32 v[10:11], v10, v[24:25]
	v_and_b32_e32 v10, 7, v10
; %bb.1415:                             ;   in Loop: Header=BB355_15 Depth=1
	s_or_b32 exec_lo, exec_lo, s19
	s_delay_alu instid0(VALU_DEP_1) | instskip(SKIP_1) | instid1(VALU_DEP_2)
	v_dual_lshlrev_b32 v11, 24, v12 :: v_dual_lshlrev_b32 v10, 20, v10
	v_lshl_add_u32 v6, v6, 23, 0x3c000000
	v_and_b32_e32 v11, 0x80000000, v11
	s_delay_alu instid0(VALU_DEP_1)
	v_or3_b32 v6, v10, v11, v6
.LBB355_1416:                           ;   in Loop: Header=BB355_15 Depth=1
	s_or_b32 exec_lo, exec_lo, s18
.LBB355_1417:                           ;   in Loop: Header=BB355_15 Depth=1
	s_delay_alu instid0(SALU_CYCLE_1)
	s_or_b32 exec_lo, exec_lo, s17
.LBB355_1418:                           ;   in Loop: Header=BB355_15 Depth=1
	s_delay_alu instid0(SALU_CYCLE_1) | instskip(NEXT) | instid1(SALU_CYCLE_1)
	s_or_b32 exec_lo, exec_lo, s16
	s_mov_b32 s16, exec_lo
	v_cmpx_lt_u64_e64 s[8:9], v[8:9]
	s_cbranch_execz .LBB355_1426
; %bb.1419:                             ;   in Loop: Header=BB355_15 Depth=1
	v_lshrrev_b32_e32 v10, 24, v9
	v_bfrev_b32_e32 v7, 1
	s_mov_b32 s17, exec_lo
	s_delay_alu instid0(VALU_DEP_2)
	v_cmpx_ne_u32_e32 0x80, v10
	s_cbranch_execz .LBB355_1425
; %bb.1420:                             ;   in Loop: Header=BB355_15 Depth=1
	v_bfe_u32 v11, v9, 24, 7
	v_mov_b32_e32 v7, 0x7f800001
	s_mov_b32 s18, exec_lo
	s_delay_alu instid0(VALU_DEP_2)
	v_cmpx_ne_u32_e32 0x7f, v11
	s_cbranch_execz .LBB355_1424
; %bb.1421:                             ;   in Loop: Header=BB355_15 Depth=1
	v_dual_lshrrev_b32 v7, 3, v11 :: v_dual_bitop2_b32 v24, 7, v10 bitop3:0x40
	s_mov_b32 s19, exec_lo
	s_delay_alu instid0(VALU_DEP_1)
	v_mov_b64_e32 v[8:9], v[24:25]
	v_cmpx_gt_u32_e32 8, v11
; %bb.1422:                             ;   in Loop: Header=BB355_15 Depth=1
	v_clz_i32_u32_e32 v7, v24
	s_delay_alu instid0(VALU_DEP_1) | instskip(NEXT) | instid1(VALU_DEP_1)
	v_min_u32_e32 v7, 32, v7
	v_subrev_nc_u32_e32 v8, 28, v7
	s_delay_alu instid0(VALU_DEP_1) | instskip(NEXT) | instid1(VALU_DEP_1)
	v_lshlrev_b64_e32 v[8:9], v8, v[24:25]
	v_dual_sub_nc_u32 v7, 29, v7 :: v_dual_bitop2_b32 v8, 7, v8 bitop3:0x40
; %bb.1423:                             ;   in Loop: Header=BB355_15 Depth=1
	s_or_b32 exec_lo, exec_lo, s19
	s_delay_alu instid0(VALU_DEP_1) | instskip(NEXT) | instid1(VALU_DEP_2)
	v_dual_lshlrev_b32 v9, 24, v10 :: v_dual_lshlrev_b32 v8, 20, v8
	v_lshl_add_u32 v7, v7, 23, 0x3c000000
	s_delay_alu instid0(VALU_DEP_2) | instskip(NEXT) | instid1(VALU_DEP_1)
	v_and_b32_e32 v9, 0x80000000, v9
	v_or3_b32 v7, v8, v9, v7
.LBB355_1424:                           ;   in Loop: Header=BB355_15 Depth=1
	s_or_b32 exec_lo, exec_lo, s18
.LBB355_1425:                           ;   in Loop: Header=BB355_15 Depth=1
	s_delay_alu instid0(SALU_CYCLE_1)
	s_or_b32 exec_lo, exec_lo, s17
.LBB355_1426:                           ;   in Loop: Header=BB355_15 Depth=1
	s_delay_alu instid0(SALU_CYCLE_1)
	s_or_b32 exec_lo, exec_lo, s16
	flat_load_b64 v[8:9], v[36:37] offset:5632
	v_dual_mov_b32 v11, 0 :: v_dual_mov_b32 v10, 0
	s_mov_b32 s16, exec_lo
	s_wait_loadcnt_dscnt 0x0
	v_and_b32_e32 v12, 0xff, v8
	s_wait_xcnt 0x0
	s_delay_alu instid0(VALU_DEP_1)
	v_cmpx_ne_u16_e32 0, v12
	s_cbranch_execz .LBB355_1434
; %bb.1427:                             ;   in Loop: Header=BB355_15 Depth=1
	v_bfrev_b32_e32 v10, 1
	s_mov_b32 s17, exec_lo
	v_cmpx_ne_u16_e32 0x80, v12
	s_cbranch_execz .LBB355_1433
; %bb.1428:                             ;   in Loop: Header=BB355_15 Depth=1
	v_and_b32_e32 v12, 0x7f, v8
	v_mov_b32_e32 v10, 0x7f800001
	s_mov_b32 s18, exec_lo
	s_delay_alu instid0(VALU_DEP_2)
	v_cmpx_ne_u32_e32 0x7f, v12
	s_cbranch_execz .LBB355_1432
; %bb.1429:                             ;   in Loop: Header=BB355_15 Depth=1
	v_lshrrev_b32_e32 v10, 3, v12
	v_cmp_gt_u32_e64 s1, 8, v12
	v_mov_b64_e32 v[12:13], v[8:9]
	s_and_saveexec_b32 s19, s1
; %bb.1430:                             ;   in Loop: Header=BB355_15 Depth=1
	v_and_b32_e32 v10, 7, v8
	s_delay_alu instid0(VALU_DEP_1) | instskip(NEXT) | instid1(VALU_DEP_1)
	v_clz_i32_u32_e32 v10, v10
	v_min_u32_e32 v10, 32, v10
	s_delay_alu instid0(VALU_DEP_1) | instskip(SKIP_1) | instid1(VALU_DEP_2)
	v_subrev_nc_u32_e32 v12, 28, v10
	v_sub_nc_u32_e32 v10, 29, v10
	v_lshlrev_b64_e32 v[12:13], v12, v[8:9]
; %bb.1431:                             ;   in Loop: Header=BB355_15 Depth=1
	s_or_b32 exec_lo, exec_lo, s19
	s_delay_alu instid0(VALU_DEP_1) | instskip(SKIP_2) | instid1(VALU_DEP_3)
	v_lshlrev_b32_e32 v12, 20, v12
	v_lshlrev_b32_e32 v13, 24, v8
	v_lshl_add_u32 v10, v10, 23, 0x3c000000
	v_and_b32_e32 v12, 0x700000, v12
	s_delay_alu instid0(VALU_DEP_3) | instskip(NEXT) | instid1(VALU_DEP_1)
	v_and_b32_e32 v13, 0x80000000, v13
	v_or3_b32 v10, v12, v13, v10
.LBB355_1432:                           ;   in Loop: Header=BB355_15 Depth=1
	s_or_b32 exec_lo, exec_lo, s18
.LBB355_1433:                           ;   in Loop: Header=BB355_15 Depth=1
	s_delay_alu instid0(SALU_CYCLE_1)
	s_or_b32 exec_lo, exec_lo, s17
.LBB355_1434:                           ;   in Loop: Header=BB355_15 Depth=1
	s_delay_alu instid0(SALU_CYCLE_1) | instskip(SKIP_2) | instid1(VALU_DEP_1)
	s_or_b32 exec_lo, exec_lo, s16
	v_lshrrev_b16 v12, 8, v8
	s_mov_b32 s16, exec_lo
	v_cmpx_ne_u16_e32 0, v12
	s_cbranch_execz .LBB355_1442
; %bb.1435:                             ;   in Loop: Header=BB355_15 Depth=1
	v_bfrev_b32_e32 v11, 1
	s_mov_b32 s17, exec_lo
	v_cmpx_ne_u16_e32 0x80, v12
	s_cbranch_execz .LBB355_1441
; %bb.1436:                             ;   in Loop: Header=BB355_15 Depth=1
	v_and_b32_e32 v12, 0xffff, v12
	v_mov_b32_e32 v11, 0x7f800001
	s_mov_b32 s18, exec_lo
	s_delay_alu instid0(VALU_DEP_2) | instskip(NEXT) | instid1(VALU_DEP_1)
	v_and_b32_e32 v18, 0x7f, v12
	v_cmpx_ne_u32_e32 0x7f, v18
	s_cbranch_execz .LBB355_1440
; %bb.1437:                             ;   in Loop: Header=BB355_15 Depth=1
	v_dual_lshrrev_b32 v11, 3, v18 :: v_dual_bitop2_b32 v24, 7, v12 bitop3:0x40
	s_mov_b32 s19, exec_lo
	s_delay_alu instid0(VALU_DEP_1)
	v_mov_b64_e32 v[12:13], v[24:25]
	v_cmpx_gt_u32_e32 8, v18
; %bb.1438:                             ;   in Loop: Header=BB355_15 Depth=1
	v_clz_i32_u32_e32 v11, v24
	s_delay_alu instid0(VALU_DEP_1) | instskip(NEXT) | instid1(VALU_DEP_1)
	v_min_u32_e32 v11, 32, v11
	v_subrev_nc_u32_e32 v12, 28, v11
	s_delay_alu instid0(VALU_DEP_1) | instskip(NEXT) | instid1(VALU_DEP_1)
	v_lshlrev_b64_e32 v[12:13], v12, v[24:25]
	v_dual_sub_nc_u32 v11, 29, v11 :: v_dual_bitop2_b32 v12, 7, v12 bitop3:0x40
; %bb.1439:                             ;   in Loop: Header=BB355_15 Depth=1
	s_or_b32 exec_lo, exec_lo, s19
	v_lshlrev_b32_e32 v13, 16, v8
	s_delay_alu instid0(VALU_DEP_2) | instskip(NEXT) | instid1(VALU_DEP_3)
	v_lshlrev_b32_e32 v12, 20, v12
	v_lshl_add_u32 v11, v11, 23, 0x3c000000
	s_delay_alu instid0(VALU_DEP_3) | instskip(NEXT) | instid1(VALU_DEP_1)
	v_and_b32_e32 v13, 0x80000000, v13
	v_or3_b32 v11, v12, v13, v11
.LBB355_1440:                           ;   in Loop: Header=BB355_15 Depth=1
	s_or_b32 exec_lo, exec_lo, s18
.LBB355_1441:                           ;   in Loop: Header=BB355_15 Depth=1
	s_delay_alu instid0(SALU_CYCLE_1)
	s_or_b32 exec_lo, exec_lo, s17
.LBB355_1442:                           ;   in Loop: Header=BB355_15 Depth=1
	s_delay_alu instid0(SALU_CYCLE_1) | instskip(SKIP_3) | instid1(VALU_DEP_2)
	s_or_b32 exec_lo, exec_lo, s16
	v_dual_mov_b32 v53, 0 :: v_dual_lshrrev_b32 v18, 16, v8
	v_mov_b32_e32 v52, 0
	s_mov_b32 s16, exec_lo
	v_and_b32_e32 v12, 0xff, v18
	s_delay_alu instid0(VALU_DEP_1)
	v_cmpx_ne_u16_e32 0, v12
	s_cbranch_execz .LBB355_1450
; %bb.1443:                             ;   in Loop: Header=BB355_15 Depth=1
	v_bfrev_b32_e32 v52, 1
	s_mov_b32 s17, exec_lo
	v_cmpx_ne_u16_e32 0x80, v12
	s_cbranch_execz .LBB355_1449
; %bb.1444:                             ;   in Loop: Header=BB355_15 Depth=1
	v_bfe_u32 v19, v8, 16, 7
	v_mov_b32_e32 v52, 0x7f800001
	s_mov_b32 s18, exec_lo
	s_delay_alu instid0(VALU_DEP_2)
	v_cmpx_ne_u32_e32 0x7f, v19
	s_cbranch_execz .LBB355_1448
; %bb.1445:                             ;   in Loop: Header=BB355_15 Depth=1
	v_and_b32_e32 v24, 7, v18
	s_mov_b32 s19, exec_lo
	s_delay_alu instid0(VALU_DEP_1)
	v_mov_b64_e32 v[12:13], v[24:25]
	v_lshrrev_b32_e32 v13, 3, v19
	v_cmpx_gt_u32_e32 8, v19
; %bb.1446:                             ;   in Loop: Header=BB355_15 Depth=1
	v_clz_i32_u32_e32 v12, v24
	s_delay_alu instid0(VALU_DEP_1) | instskip(NEXT) | instid1(VALU_DEP_1)
	v_min_u32_e32 v19, 32, v12
	v_subrev_nc_u32_e32 v12, 28, v19
	s_delay_alu instid0(VALU_DEP_1) | instskip(NEXT) | instid1(VALU_DEP_1)
	v_lshlrev_b64_e32 v[12:13], v12, v[24:25]
	v_dual_sub_nc_u32 v13, 29, v19 :: v_dual_bitop2_b32 v12, 7, v12 bitop3:0x40
; %bb.1447:                             ;   in Loop: Header=BB355_15 Depth=1
	s_or_b32 exec_lo, exec_lo, s19
	s_delay_alu instid0(VALU_DEP_1) | instskip(NEXT) | instid1(VALU_DEP_2)
	v_dual_lshlrev_b32 v18, 24, v18 :: v_dual_lshlrev_b32 v12, 20, v12
	v_lshl_add_u32 v13, v13, 23, 0x3c000000
	s_delay_alu instid0(VALU_DEP_2) | instskip(NEXT) | instid1(VALU_DEP_1)
	v_and_b32_e32 v18, 0x80000000, v18
	v_or3_b32 v52, v12, v18, v13
.LBB355_1448:                           ;   in Loop: Header=BB355_15 Depth=1
	s_or_b32 exec_lo, exec_lo, s18
.LBB355_1449:                           ;   in Loop: Header=BB355_15 Depth=1
	s_delay_alu instid0(SALU_CYCLE_1)
	s_or_b32 exec_lo, exec_lo, s17
.LBB355_1450:                           ;   in Loop: Header=BB355_15 Depth=1
	s_delay_alu instid0(SALU_CYCLE_1) | instskip(NEXT) | instid1(SALU_CYCLE_1)
	s_or_b32 exec_lo, exec_lo, s16
	s_mov_b32 s16, exec_lo
	v_cmpx_lt_u32_e32 0xffffff, v8
	s_cbranch_execz .LBB355_1458
; %bb.1451:                             ;   in Loop: Header=BB355_15 Depth=1
	v_lshrrev_b32_e32 v18, 24, v8
	v_bfrev_b32_e32 v53, 1
	s_mov_b32 s17, exec_lo
	s_delay_alu instid0(VALU_DEP_2)
	v_cmpx_ne_u32_e32 0x80, v18
	s_cbranch_execz .LBB355_1457
; %bb.1452:                             ;   in Loop: Header=BB355_15 Depth=1
	v_bfe_u32 v19, v8, 24, 7
	v_mov_b32_e32 v53, 0x7f800001
	s_mov_b32 s18, exec_lo
	s_delay_alu instid0(VALU_DEP_2)
	v_cmpx_ne_u32_e32 0x7f, v19
	s_cbranch_execz .LBB355_1456
; %bb.1453:                             ;   in Loop: Header=BB355_15 Depth=1
	v_and_b32_e32 v24, 7, v18
	s_mov_b32 s19, exec_lo
	s_delay_alu instid0(VALU_DEP_1)
	v_mov_b64_e32 v[12:13], v[24:25]
	v_lshrrev_b32_e32 v13, 3, v19
	v_cmpx_gt_u32_e32 8, v19
; %bb.1454:                             ;   in Loop: Header=BB355_15 Depth=1
	v_clz_i32_u32_e32 v12, v24
	s_delay_alu instid0(VALU_DEP_1) | instskip(NEXT) | instid1(VALU_DEP_1)
	v_min_u32_e32 v19, 32, v12
	v_subrev_nc_u32_e32 v12, 28, v19
	s_delay_alu instid0(VALU_DEP_1) | instskip(NEXT) | instid1(VALU_DEP_1)
	v_lshlrev_b64_e32 v[12:13], v12, v[24:25]
	v_dual_sub_nc_u32 v13, 29, v19 :: v_dual_bitop2_b32 v12, 7, v12 bitop3:0x40
; %bb.1455:                             ;   in Loop: Header=BB355_15 Depth=1
	s_or_b32 exec_lo, exec_lo, s19
	s_delay_alu instid0(VALU_DEP_1) | instskip(NEXT) | instid1(VALU_DEP_2)
	v_dual_lshlrev_b32 v18, 24, v18 :: v_dual_lshlrev_b32 v12, 20, v12
	v_lshl_add_u32 v13, v13, 23, 0x3c000000
	s_delay_alu instid0(VALU_DEP_2) | instskip(NEXT) | instid1(VALU_DEP_1)
	v_and_b32_e32 v18, 0x80000000, v18
	v_or3_b32 v53, v12, v18, v13
.LBB355_1456:                           ;   in Loop: Header=BB355_15 Depth=1
	s_or_b32 exec_lo, exec_lo, s18
.LBB355_1457:                           ;   in Loop: Header=BB355_15 Depth=1
	s_delay_alu instid0(SALU_CYCLE_1)
	s_or_b32 exec_lo, exec_lo, s17
.LBB355_1458:                           ;   in Loop: Header=BB355_15 Depth=1
	s_delay_alu instid0(SALU_CYCLE_1) | instskip(SKIP_4) | instid1(VALU_DEP_3)
	s_or_b32 exec_lo, exec_lo, s16
	v_and_b32_e32 v12, 0xff, v9
	v_dual_mov_b32 v24, v9 :: v_dual_mov_b32 v23, 0
	v_mov_b32_e32 v22, 0
	s_mov_b32 s16, exec_lo
	v_cmpx_ne_u16_e32 0, v12
	s_cbranch_execz .LBB355_1466
; %bb.1459:                             ;   in Loop: Header=BB355_15 Depth=1
	v_bfrev_b32_e32 v22, 1
	s_mov_b32 s17, exec_lo
	v_cmpx_ne_u16_e32 0x80, v12
	s_cbranch_execz .LBB355_1465
; %bb.1460:                             ;   in Loop: Header=BB355_15 Depth=1
	v_and_b32_e32 v18, 0x7f, v9
	v_mov_b32_e32 v22, 0x7f800001
	s_mov_b32 s18, exec_lo
	s_delay_alu instid0(VALU_DEP_2)
	v_cmpx_ne_u32_e32 0x7f, v18
	s_cbranch_execz .LBB355_1464
; %bb.1461:                             ;   in Loop: Header=BB355_15 Depth=1
	v_mov_b64_e32 v[12:13], v[24:25]
	v_lshrrev_b32_e32 v13, 3, v18
	s_mov_b32 s19, exec_lo
	v_cmpx_gt_u32_e32 8, v18
; %bb.1462:                             ;   in Loop: Header=BB355_15 Depth=1
	v_and_b32_e32 v12, 7, v9
	s_delay_alu instid0(VALU_DEP_1) | instskip(NEXT) | instid1(VALU_DEP_1)
	v_clz_i32_u32_e32 v12, v12
	v_min_u32_e32 v18, 32, v12
	s_delay_alu instid0(VALU_DEP_1) | instskip(NEXT) | instid1(VALU_DEP_1)
	v_subrev_nc_u32_e32 v12, 28, v18
	v_lshlrev_b64_e32 v[12:13], v12, v[24:25]
	v_sub_nc_u32_e32 v13, 29, v18
; %bb.1463:                             ;   in Loop: Header=BB355_15 Depth=1
	s_or_b32 exec_lo, exec_lo, s19
	s_delay_alu instid0(VALU_DEP_2) | instskip(SKIP_1) | instid1(VALU_DEP_3)
	v_lshlrev_b32_e32 v12, 20, v12
	v_lshlrev_b32_e32 v18, 24, v24
	v_lshl_add_u32 v13, v13, 23, 0x3c000000
	s_delay_alu instid0(VALU_DEP_3) | instskip(NEXT) | instid1(VALU_DEP_3)
	v_and_b32_e32 v12, 0x700000, v12
	v_and_b32_e32 v18, 0x80000000, v18
	s_delay_alu instid0(VALU_DEP_1)
	v_or3_b32 v22, v12, v18, v13
.LBB355_1464:                           ;   in Loop: Header=BB355_15 Depth=1
	s_or_b32 exec_lo, exec_lo, s18
.LBB355_1465:                           ;   in Loop: Header=BB355_15 Depth=1
	s_delay_alu instid0(SALU_CYCLE_1)
	s_or_b32 exec_lo, exec_lo, s17
.LBB355_1466:                           ;   in Loop: Header=BB355_15 Depth=1
	s_delay_alu instid0(SALU_CYCLE_1) | instskip(SKIP_2) | instid1(VALU_DEP_1)
	s_or_b32 exec_lo, exec_lo, s16
	v_lshrrev_b16 v12, 8, v24
	s_mov_b32 s16, exec_lo
	v_cmpx_ne_u16_e32 0, v12
	s_cbranch_execz .LBB355_1474
; %bb.1467:                             ;   in Loop: Header=BB355_15 Depth=1
	v_bfrev_b32_e32 v23, 1
	s_mov_b32 s17, exec_lo
	v_cmpx_ne_u16_e32 0x80, v12
	s_cbranch_execz .LBB355_1473
; %bb.1468:                             ;   in Loop: Header=BB355_15 Depth=1
	v_and_b32_e32 v12, 0xffff, v12
	v_mov_b32_e32 v23, 0x7f800001
	s_mov_b32 s18, exec_lo
	s_delay_alu instid0(VALU_DEP_2) | instskip(NEXT) | instid1(VALU_DEP_1)
	v_and_b32_e32 v19, 0x7f, v12
	v_cmpx_ne_u32_e32 0x7f, v19
	s_cbranch_execz .LBB355_1472
; %bb.1469:                             ;   in Loop: Header=BB355_15 Depth=1
	v_dual_mov_b32 v13, v25 :: v_dual_bitop2_b32 v12, 7, v12 bitop3:0x40
	v_lshrrev_b32_e32 v18, 3, v19
	s_mov_b32 s19, exec_lo
	v_cmpx_gt_u32_e32 8, v19
; %bb.1470:                             ;   in Loop: Header=BB355_15 Depth=1
	s_delay_alu instid0(VALU_DEP_3) | instskip(NEXT) | instid1(VALU_DEP_1)
	v_clz_i32_u32_e32 v18, v12
	v_min_u32_e32 v18, 32, v18
	s_delay_alu instid0(VALU_DEP_1) | instskip(NEXT) | instid1(VALU_DEP_1)
	v_subrev_nc_u32_e32 v19, 28, v18
	v_lshlrev_b64_e32 v[12:13], v19, v[12:13]
	s_delay_alu instid0(VALU_DEP_1)
	v_dual_sub_nc_u32 v18, 29, v18 :: v_dual_bitop2_b32 v12, 7, v12 bitop3:0x40
; %bb.1471:                             ;   in Loop: Header=BB355_15 Depth=1
	s_or_b32 exec_lo, exec_lo, s19
	v_lshlrev_b32_e32 v13, 16, v24
	s_delay_alu instid0(VALU_DEP_2) | instskip(NEXT) | instid1(VALU_DEP_3)
	v_lshlrev_b32_e32 v12, 20, v12
	v_lshl_add_u32 v18, v18, 23, 0x3c000000
	s_delay_alu instid0(VALU_DEP_3) | instskip(NEXT) | instid1(VALU_DEP_1)
	v_and_b32_e32 v13, 0x80000000, v13
	v_or3_b32 v23, v12, v13, v18
.LBB355_1472:                           ;   in Loop: Header=BB355_15 Depth=1
	s_or_b32 exec_lo, exec_lo, s18
.LBB355_1473:                           ;   in Loop: Header=BB355_15 Depth=1
	s_delay_alu instid0(SALU_CYCLE_1)
	s_or_b32 exec_lo, exec_lo, s17
.LBB355_1474:                           ;   in Loop: Header=BB355_15 Depth=1
	s_delay_alu instid0(SALU_CYCLE_1) | instskip(SKIP_3) | instid1(VALU_DEP_2)
	s_or_b32 exec_lo, exec_lo, s16
	v_dual_mov_b32 v19, 0 :: v_dual_lshrrev_b32 v48, 16, v9
	v_mov_b32_e32 v18, 0
	s_mov_b32 s16, exec_lo
	v_and_b32_e32 v12, 0xff, v48
	s_delay_alu instid0(VALU_DEP_1)
	v_cmpx_ne_u16_e32 0, v12
	s_cbranch_execz .LBB355_1482
; %bb.1475:                             ;   in Loop: Header=BB355_15 Depth=1
	v_bfrev_b32_e32 v18, 1
	s_mov_b32 s17, exec_lo
	v_cmpx_ne_u16_e32 0x80, v12
	s_cbranch_execz .LBB355_1481
; %bb.1476:                             ;   in Loop: Header=BB355_15 Depth=1
	v_bfe_u32 v49, v9, 16, 7
	v_mov_b32_e32 v18, 0x7f800001
	s_mov_b32 s18, exec_lo
	s_delay_alu instid0(VALU_DEP_2)
	v_cmpx_ne_u32_e32 0x7f, v49
	s_cbranch_execz .LBB355_1480
; %bb.1477:                             ;   in Loop: Header=BB355_15 Depth=1
	v_and_b32_e32 v24, 7, v48
	s_mov_b32 s19, exec_lo
	s_delay_alu instid0(VALU_DEP_1)
	v_mov_b64_e32 v[12:13], v[24:25]
	v_lshrrev_b32_e32 v13, 3, v49
	v_cmpx_gt_u32_e32 8, v49
; %bb.1478:                             ;   in Loop: Header=BB355_15 Depth=1
	v_clz_i32_u32_e32 v12, v24
	s_delay_alu instid0(VALU_DEP_1) | instskip(NEXT) | instid1(VALU_DEP_1)
	v_min_u32_e32 v18, 32, v12
	v_subrev_nc_u32_e32 v12, 28, v18
	s_delay_alu instid0(VALU_DEP_1) | instskip(NEXT) | instid1(VALU_DEP_1)
	v_lshlrev_b64_e32 v[12:13], v12, v[24:25]
	v_dual_sub_nc_u32 v13, 29, v18 :: v_dual_bitop2_b32 v12, 7, v12 bitop3:0x40
; %bb.1479:                             ;   in Loop: Header=BB355_15 Depth=1
	s_or_b32 exec_lo, exec_lo, s19
	v_lshlrev_b32_e32 v18, 24, v48
	s_delay_alu instid0(VALU_DEP_2) | instskip(NEXT) | instid1(VALU_DEP_3)
	v_lshlrev_b32_e32 v12, 20, v12
	v_lshl_add_u32 v13, v13, 23, 0x3c000000
	s_delay_alu instid0(VALU_DEP_3) | instskip(NEXT) | instid1(VALU_DEP_1)
	v_and_b32_e32 v18, 0x80000000, v18
	v_or3_b32 v18, v12, v18, v13
.LBB355_1480:                           ;   in Loop: Header=BB355_15 Depth=1
	s_or_b32 exec_lo, exec_lo, s18
.LBB355_1481:                           ;   in Loop: Header=BB355_15 Depth=1
	s_delay_alu instid0(SALU_CYCLE_1)
	s_or_b32 exec_lo, exec_lo, s17
.LBB355_1482:                           ;   in Loop: Header=BB355_15 Depth=1
	s_delay_alu instid0(SALU_CYCLE_1) | instskip(NEXT) | instid1(SALU_CYCLE_1)
	s_or_b32 exec_lo, exec_lo, s16
	s_mov_b32 s16, exec_lo
	v_cmpx_lt_u64_e64 s[8:9], v[8:9]
	s_cbranch_execz .LBB355_1490
; %bb.1483:                             ;   in Loop: Header=BB355_15 Depth=1
	v_lshrrev_b32_e32 v12, 24, v9
	v_bfrev_b32_e32 v19, 1
	s_mov_b32 s17, exec_lo
	s_delay_alu instid0(VALU_DEP_2)
	v_cmpx_ne_u32_e32 0x80, v12
	s_cbranch_execz .LBB355_1489
; %bb.1484:                             ;   in Loop: Header=BB355_15 Depth=1
	v_bfe_u32 v13, v9, 24, 7
	v_mov_b32_e32 v19, 0x7f800001
	s_mov_b32 s18, exec_lo
	s_delay_alu instid0(VALU_DEP_2)
	v_cmpx_ne_u32_e32 0x7f, v13
	s_cbranch_execz .LBB355_1488
; %bb.1485:                             ;   in Loop: Header=BB355_15 Depth=1
	v_and_b32_e32 v24, 7, v12
	s_mov_b32 s19, exec_lo
	s_delay_alu instid0(VALU_DEP_1)
	v_mov_b64_e32 v[8:9], v[24:25]
	v_lshrrev_b32_e32 v9, 3, v13
	v_cmpx_gt_u32_e32 8, v13
; %bb.1486:                             ;   in Loop: Header=BB355_15 Depth=1
	v_clz_i32_u32_e32 v8, v24
	s_delay_alu instid0(VALU_DEP_1) | instskip(NEXT) | instid1(VALU_DEP_1)
	v_min_u32_e32 v13, 32, v8
	v_subrev_nc_u32_e32 v8, 28, v13
	s_delay_alu instid0(VALU_DEP_1) | instskip(NEXT) | instid1(VALU_DEP_1)
	v_lshlrev_b64_e32 v[8:9], v8, v[24:25]
	v_dual_sub_nc_u32 v9, 29, v13 :: v_dual_bitop2_b32 v8, 7, v8 bitop3:0x40
; %bb.1487:                             ;   in Loop: Header=BB355_15 Depth=1
	s_or_b32 exec_lo, exec_lo, s19
	v_lshlrev_b32_e32 v12, 24, v12
	s_delay_alu instid0(VALU_DEP_2) | instskip(NEXT) | instid1(VALU_DEP_3)
	v_lshlrev_b32_e32 v8, 20, v8
	v_lshl_add_u32 v9, v9, 23, 0x3c000000
	s_delay_alu instid0(VALU_DEP_3) | instskip(NEXT) | instid1(VALU_DEP_1)
	v_and_b32_e32 v12, 0x80000000, v12
	v_or3_b32 v19, v8, v12, v9
.LBB355_1488:                           ;   in Loop: Header=BB355_15 Depth=1
	s_or_b32 exec_lo, exec_lo, s18
.LBB355_1489:                           ;   in Loop: Header=BB355_15 Depth=1
	s_delay_alu instid0(SALU_CYCLE_1)
	s_or_b32 exec_lo, exec_lo, s17
.LBB355_1490:                           ;   in Loop: Header=BB355_15 Depth=1
	s_delay_alu instid0(SALU_CYCLE_1)
	s_or_b32 exec_lo, exec_lo, s16
	flat_load_b64 v[8:9], v[36:37] offset:5640
	s_wait_xcnt 0x0
	v_dual_mov_b32 v37, 0 :: v_dual_mov_b32 v36, 0
	s_mov_b32 s16, exec_lo
	s_wait_loadcnt_dscnt 0x0
	v_and_b32_e32 v12, 0xff, v8
	s_delay_alu instid0(VALU_DEP_1)
	v_cmpx_ne_u16_e32 0, v12
	s_cbranch_execz .LBB355_1498
; %bb.1491:                             ;   in Loop: Header=BB355_15 Depth=1
	v_bfrev_b32_e32 v36, 1
	s_mov_b32 s17, exec_lo
	v_cmpx_ne_u16_e32 0x80, v12
	s_cbranch_execz .LBB355_1497
; %bb.1492:                             ;   in Loop: Header=BB355_15 Depth=1
	v_and_b32_e32 v12, 0x7f, v8
	v_mov_b32_e32 v36, 0x7f800001
	s_mov_b32 s18, exec_lo
	s_delay_alu instid0(VALU_DEP_2)
	v_cmpx_ne_u32_e32 0x7f, v12
	s_cbranch_execz .LBB355_1496
; %bb.1493:                             ;   in Loop: Header=BB355_15 Depth=1
	v_lshrrev_b32_e32 v24, 3, v12
	v_cmp_gt_u32_e64 s1, 8, v12
	v_mov_b64_e32 v[12:13], v[8:9]
	s_and_saveexec_b32 s19, s1
; %bb.1494:                             ;   in Loop: Header=BB355_15 Depth=1
	v_and_b32_e32 v12, 7, v8
	s_delay_alu instid0(VALU_DEP_1) | instskip(NEXT) | instid1(VALU_DEP_1)
	v_clz_i32_u32_e32 v12, v12
	v_min_u32_e32 v24, 32, v12
	s_delay_alu instid0(VALU_DEP_1) | instskip(SKIP_1) | instid1(VALU_DEP_2)
	v_subrev_nc_u32_e32 v12, 28, v24
	v_sub_nc_u32_e32 v24, 29, v24
	v_lshlrev_b64_e32 v[12:13], v12, v[8:9]
; %bb.1495:                             ;   in Loop: Header=BB355_15 Depth=1
	s_or_b32 exec_lo, exec_lo, s19
	s_delay_alu instid0(VALU_DEP_1) | instskip(SKIP_2) | instid1(VALU_DEP_3)
	v_lshlrev_b32_e32 v12, 20, v12
	v_lshlrev_b32_e32 v13, 24, v8
	v_lshl_add_u32 v24, v24, 23, 0x3c000000
	v_and_b32_e32 v12, 0x700000, v12
	s_delay_alu instid0(VALU_DEP_3) | instskip(NEXT) | instid1(VALU_DEP_1)
	v_and_b32_e32 v13, 0x80000000, v13
	v_or3_b32 v36, v12, v13, v24
.LBB355_1496:                           ;   in Loop: Header=BB355_15 Depth=1
	s_or_b32 exec_lo, exec_lo, s18
.LBB355_1497:                           ;   in Loop: Header=BB355_15 Depth=1
	s_delay_alu instid0(SALU_CYCLE_1)
	s_or_b32 exec_lo, exec_lo, s17
.LBB355_1498:                           ;   in Loop: Header=BB355_15 Depth=1
	s_delay_alu instid0(SALU_CYCLE_1) | instskip(SKIP_2) | instid1(VALU_DEP_1)
	s_or_b32 exec_lo, exec_lo, s16
	v_lshrrev_b16 v12, 8, v8
	s_mov_b32 s16, exec_lo
	v_cmpx_ne_u16_e32 0, v12
	s_cbranch_execz .LBB355_1506
; %bb.1499:                             ;   in Loop: Header=BB355_15 Depth=1
	v_bfrev_b32_e32 v37, 1
	s_mov_b32 s17, exec_lo
	v_cmpx_ne_u16_e32 0x80, v12
	s_cbranch_execz .LBB355_1505
; %bb.1500:                             ;   in Loop: Header=BB355_15 Depth=1
	v_and_b32_e32 v12, 0xffff, v12
	v_mov_b32_e32 v37, 0x7f800001
	s_mov_b32 s18, exec_lo
	s_delay_alu instid0(VALU_DEP_2) | instskip(NEXT) | instid1(VALU_DEP_1)
	v_and_b32_e32 v48, 0x7f, v12
	v_cmpx_ne_u32_e32 0x7f, v48
	s_cbranch_execz .LBB355_1504
; %bb.1501:                             ;   in Loop: Header=BB355_15 Depth=1
	v_and_b32_e32 v24, 7, v12
	s_mov_b32 s19, exec_lo
	s_delay_alu instid0(VALU_DEP_1)
	v_mov_b64_e32 v[12:13], v[24:25]
	v_lshrrev_b32_e32 v13, 3, v48
	v_cmpx_gt_u32_e32 8, v48
; %bb.1502:                             ;   in Loop: Header=BB355_15 Depth=1
	v_clz_i32_u32_e32 v12, v24
	s_delay_alu instid0(VALU_DEP_1) | instskip(NEXT) | instid1(VALU_DEP_1)
	v_min_u32_e32 v37, 32, v12
	v_subrev_nc_u32_e32 v12, 28, v37
	s_delay_alu instid0(VALU_DEP_1) | instskip(NEXT) | instid1(VALU_DEP_1)
	v_lshlrev_b64_e32 v[12:13], v12, v[24:25]
	v_dual_sub_nc_u32 v13, 29, v37 :: v_dual_bitop2_b32 v12, 7, v12 bitop3:0x40
; %bb.1503:                             ;   in Loop: Header=BB355_15 Depth=1
	s_or_b32 exec_lo, exec_lo, s19
	v_lshlrev_b32_e32 v24, 16, v8
	s_delay_alu instid0(VALU_DEP_2) | instskip(NEXT) | instid1(VALU_DEP_3)
	v_lshlrev_b32_e32 v12, 20, v12
	v_lshl_add_u32 v13, v13, 23, 0x3c000000
	s_delay_alu instid0(VALU_DEP_3) | instskip(NEXT) | instid1(VALU_DEP_1)
	v_and_b32_e32 v24, 0x80000000, v24
	v_or3_b32 v37, v12, v24, v13
.LBB355_1504:                           ;   in Loop: Header=BB355_15 Depth=1
	s_or_b32 exec_lo, exec_lo, s18
.LBB355_1505:                           ;   in Loop: Header=BB355_15 Depth=1
	s_delay_alu instid0(SALU_CYCLE_1)
	s_or_b32 exec_lo, exec_lo, s17
.LBB355_1506:                           ;   in Loop: Header=BB355_15 Depth=1
	s_delay_alu instid0(SALU_CYCLE_1) | instskip(SKIP_3) | instid1(VALU_DEP_2)
	s_or_b32 exec_lo, exec_lo, s16
	v_dual_mov_b32 v49, 0 :: v_dual_lshrrev_b32 v50, 16, v8
	v_mov_b32_e32 v48, 0
	s_mov_b32 s16, exec_lo
	v_and_b32_e32 v12, 0xff, v50
	s_delay_alu instid0(VALU_DEP_1)
	v_cmpx_ne_u16_e32 0, v12
	s_cbranch_execz .LBB355_1514
; %bb.1507:                             ;   in Loop: Header=BB355_15 Depth=1
	v_bfrev_b32_e32 v48, 1
	s_mov_b32 s17, exec_lo
	v_cmpx_ne_u16_e32 0x80, v12
	s_cbranch_execz .LBB355_1513
; %bb.1508:                             ;   in Loop: Header=BB355_15 Depth=1
	v_bfe_u32 v51, v8, 16, 7
	v_mov_b32_e32 v48, 0x7f800001
	s_mov_b32 s18, exec_lo
	s_delay_alu instid0(VALU_DEP_2)
	v_cmpx_ne_u32_e32 0x7f, v51
	s_cbranch_execz .LBB355_1512
; %bb.1509:                             ;   in Loop: Header=BB355_15 Depth=1
	v_and_b32_e32 v24, 7, v50
	s_mov_b32 s19, exec_lo
	s_delay_alu instid0(VALU_DEP_1)
	v_mov_b64_e32 v[12:13], v[24:25]
	v_lshrrev_b32_e32 v13, 3, v51
	v_cmpx_gt_u32_e32 8, v51
; %bb.1510:                             ;   in Loop: Header=BB355_15 Depth=1
	v_clz_i32_u32_e32 v12, v24
	s_delay_alu instid0(VALU_DEP_1) | instskip(NEXT) | instid1(VALU_DEP_1)
	v_min_u32_e32 v48, 32, v12
	v_subrev_nc_u32_e32 v12, 28, v48
	s_delay_alu instid0(VALU_DEP_1) | instskip(SKIP_1) | instid1(VALU_DEP_2)
	v_lshlrev_b64_e32 v[12:13], v12, v[24:25]
	v_sub_nc_u32_e32 v13, 29, v48
	v_and_b32_e32 v12, 7, v12
; %bb.1511:                             ;   in Loop: Header=BB355_15 Depth=1
	s_or_b32 exec_lo, exec_lo, s19
	s_delay_alu instid0(VALU_DEP_1) | instskip(NEXT) | instid1(VALU_DEP_3)
	v_dual_lshlrev_b32 v24, 24, v50 :: v_dual_lshlrev_b32 v12, 20, v12
	v_lshl_add_u32 v13, v13, 23, 0x3c000000
	s_delay_alu instid0(VALU_DEP_2) | instskip(NEXT) | instid1(VALU_DEP_1)
	v_and_b32_e32 v24, 0x80000000, v24
	v_or3_b32 v48, v12, v24, v13
.LBB355_1512:                           ;   in Loop: Header=BB355_15 Depth=1
	s_or_b32 exec_lo, exec_lo, s18
.LBB355_1513:                           ;   in Loop: Header=BB355_15 Depth=1
	s_delay_alu instid0(SALU_CYCLE_1)
	s_or_b32 exec_lo, exec_lo, s17
.LBB355_1514:                           ;   in Loop: Header=BB355_15 Depth=1
	s_delay_alu instid0(SALU_CYCLE_1) | instskip(NEXT) | instid1(SALU_CYCLE_1)
	s_or_b32 exec_lo, exec_lo, s16
	s_mov_b32 s16, exec_lo
	v_cmpx_lt_u32_e32 0xffffff, v8
	s_cbranch_execz .LBB355_1522
; %bb.1515:                             ;   in Loop: Header=BB355_15 Depth=1
	v_lshrrev_b32_e32 v50, 24, v8
	v_bfrev_b32_e32 v49, 1
	s_mov_b32 s17, exec_lo
	s_delay_alu instid0(VALU_DEP_2)
	v_cmpx_ne_u32_e32 0x80, v50
	s_cbranch_execz .LBB355_1521
; %bb.1516:                             ;   in Loop: Header=BB355_15 Depth=1
	v_bfe_u32 v51, v8, 24, 7
	v_mov_b32_e32 v49, 0x7f800001
	s_mov_b32 s18, exec_lo
	s_delay_alu instid0(VALU_DEP_2)
	v_cmpx_ne_u32_e32 0x7f, v51
	s_cbranch_execz .LBB355_1520
; %bb.1517:                             ;   in Loop: Header=BB355_15 Depth=1
	v_and_b32_e32 v24, 7, v50
	s_mov_b32 s19, exec_lo
	s_delay_alu instid0(VALU_DEP_1)
	v_mov_b64_e32 v[12:13], v[24:25]
	v_lshrrev_b32_e32 v13, 3, v51
	v_cmpx_gt_u32_e32 8, v51
; %bb.1518:                             ;   in Loop: Header=BB355_15 Depth=1
	v_clz_i32_u32_e32 v12, v24
	s_delay_alu instid0(VALU_DEP_1) | instskip(NEXT) | instid1(VALU_DEP_1)
	v_min_u32_e32 v49, 32, v12
	v_subrev_nc_u32_e32 v12, 28, v49
	s_delay_alu instid0(VALU_DEP_1) | instskip(NEXT) | instid1(VALU_DEP_1)
	v_lshlrev_b64_e32 v[12:13], v12, v[24:25]
	v_dual_sub_nc_u32 v13, 29, v49 :: v_dual_bitop2_b32 v12, 7, v12 bitop3:0x40
; %bb.1519:                             ;   in Loop: Header=BB355_15 Depth=1
	s_or_b32 exec_lo, exec_lo, s19
	s_delay_alu instid0(VALU_DEP_1) | instskip(NEXT) | instid1(VALU_DEP_2)
	v_dual_lshlrev_b32 v24, 24, v50 :: v_dual_lshlrev_b32 v12, 20, v12
	v_lshl_add_u32 v13, v13, 23, 0x3c000000
	s_delay_alu instid0(VALU_DEP_2) | instskip(NEXT) | instid1(VALU_DEP_1)
	v_and_b32_e32 v24, 0x80000000, v24
	v_or3_b32 v49, v12, v24, v13
.LBB355_1520:                           ;   in Loop: Header=BB355_15 Depth=1
	s_or_b32 exec_lo, exec_lo, s18
.LBB355_1521:                           ;   in Loop: Header=BB355_15 Depth=1
	s_delay_alu instid0(SALU_CYCLE_1)
	s_or_b32 exec_lo, exec_lo, s17
.LBB355_1522:                           ;   in Loop: Header=BB355_15 Depth=1
	s_delay_alu instid0(SALU_CYCLE_1) | instskip(SKIP_4) | instid1(VALU_DEP_3)
	s_or_b32 exec_lo, exec_lo, s16
	v_and_b32_e32 v12, 0xff, v9
	v_dual_mov_b32 v24, v9 :: v_dual_mov_b32 v51, 0
	v_mov_b32_e32 v50, 0
	s_mov_b32 s16, exec_lo
	v_cmpx_ne_u16_e32 0, v12
	s_cbranch_execz .LBB355_1530
; %bb.1523:                             ;   in Loop: Header=BB355_15 Depth=1
	v_bfrev_b32_e32 v50, 1
	s_mov_b32 s17, exec_lo
	v_cmpx_ne_u16_e32 0x80, v12
	s_cbranch_execz .LBB355_1529
; %bb.1524:                             ;   in Loop: Header=BB355_15 Depth=1
	v_and_b32_e32 v43, 0x7f, v9
	v_mov_b32_e32 v50, 0x7f800001
	s_mov_b32 s18, exec_lo
	s_delay_alu instid0(VALU_DEP_2)
	v_cmpx_ne_u32_e32 0x7f, v43
	s_cbranch_execz .LBB355_1528
; %bb.1525:                             ;   in Loop: Header=BB355_15 Depth=1
	v_mov_b64_e32 v[12:13], v[24:25]
	v_lshrrev_b32_e32 v13, 3, v43
	s_mov_b32 s19, exec_lo
	v_cmpx_gt_u32_e32 8, v43
; %bb.1526:                             ;   in Loop: Header=BB355_15 Depth=1
	v_and_b32_e32 v12, 7, v9
	s_delay_alu instid0(VALU_DEP_1) | instskip(NEXT) | instid1(VALU_DEP_1)
	v_clz_i32_u32_e32 v12, v12
	v_min_u32_e32 v50, 32, v12
	s_delay_alu instid0(VALU_DEP_1) | instskip(NEXT) | instid1(VALU_DEP_1)
	v_subrev_nc_u32_e32 v12, 28, v50
	v_lshlrev_b64_e32 v[12:13], v12, v[24:25]
	v_sub_nc_u32_e32 v13, 29, v50
; %bb.1527:                             ;   in Loop: Header=BB355_15 Depth=1
	s_or_b32 exec_lo, exec_lo, s19
	s_delay_alu instid0(VALU_DEP_2) | instskip(SKIP_1) | instid1(VALU_DEP_3)
	v_lshlrev_b32_e32 v12, 20, v12
	v_lshlrev_b32_e32 v50, 24, v24
	v_lshl_add_u32 v13, v13, 23, 0x3c000000
	s_delay_alu instid0(VALU_DEP_3) | instskip(NEXT) | instid1(VALU_DEP_3)
	v_and_b32_e32 v12, 0x700000, v12
	v_and_b32_e32 v50, 0x80000000, v50
	s_delay_alu instid0(VALU_DEP_1)
	v_or3_b32 v50, v12, v50, v13
.LBB355_1528:                           ;   in Loop: Header=BB355_15 Depth=1
	s_or_b32 exec_lo, exec_lo, s18
.LBB355_1529:                           ;   in Loop: Header=BB355_15 Depth=1
	s_delay_alu instid0(SALU_CYCLE_1)
	s_or_b32 exec_lo, exec_lo, s17
.LBB355_1530:                           ;   in Loop: Header=BB355_15 Depth=1
	s_delay_alu instid0(SALU_CYCLE_1) | instskip(SKIP_2) | instid1(VALU_DEP_1)
	s_or_b32 exec_lo, exec_lo, s16
	v_lshrrev_b16 v12, 8, v24
	s_mov_b32 s16, exec_lo
	v_cmpx_ne_u16_e32 0, v12
	s_cbranch_execz .LBB355_1538
; %bb.1531:                             ;   in Loop: Header=BB355_15 Depth=1
	v_bfrev_b32_e32 v51, 1
	s_mov_b32 s17, exec_lo
	v_cmpx_ne_u16_e32 0x80, v12
	s_cbranch_execz .LBB355_1537
; %bb.1532:                             ;   in Loop: Header=BB355_15 Depth=1
	v_and_b32_e32 v12, 0xffff, v12
	v_mov_b32_e32 v51, 0x7f800001
	s_mov_b32 s18, exec_lo
	s_delay_alu instid0(VALU_DEP_2) | instskip(NEXT) | instid1(VALU_DEP_1)
	v_and_b32_e32 v43, 0x7f, v12
	v_cmpx_ne_u32_e32 0x7f, v43
	s_cbranch_execz .LBB355_1536
; %bb.1533:                             ;   in Loop: Header=BB355_15 Depth=1
	v_dual_mov_b32 v13, v25 :: v_dual_bitop2_b32 v12, 7, v12 bitop3:0x40
	v_lshrrev_b32_e32 v51, 3, v43
	s_mov_b32 s19, exec_lo
	v_cmpx_gt_u32_e32 8, v43
; %bb.1534:                             ;   in Loop: Header=BB355_15 Depth=1
	s_delay_alu instid0(VALU_DEP_3) | instskip(NEXT) | instid1(VALU_DEP_1)
	v_clz_i32_u32_e32 v51, v12
	v_min_u32_e32 v51, 32, v51
	s_delay_alu instid0(VALU_DEP_1) | instskip(NEXT) | instid1(VALU_DEP_1)
	v_subrev_nc_u32_e32 v43, 28, v51
	v_lshlrev_b64_e32 v[12:13], v43, v[12:13]
	s_delay_alu instid0(VALU_DEP_1)
	v_dual_sub_nc_u32 v51, 29, v51 :: v_dual_bitop2_b32 v12, 7, v12 bitop3:0x40
; %bb.1535:                             ;   in Loop: Header=BB355_15 Depth=1
	s_or_b32 exec_lo, exec_lo, s19
	v_lshlrev_b32_e32 v13, 16, v24
	s_delay_alu instid0(VALU_DEP_2) | instskip(NEXT) | instid1(VALU_DEP_3)
	v_lshlrev_b32_e32 v12, 20, v12
	v_lshl_add_u32 v24, v51, 23, 0x3c000000
	s_delay_alu instid0(VALU_DEP_3) | instskip(NEXT) | instid1(VALU_DEP_1)
	v_and_b32_e32 v13, 0x80000000, v13
	v_or3_b32 v51, v12, v13, v24
.LBB355_1536:                           ;   in Loop: Header=BB355_15 Depth=1
	s_or_b32 exec_lo, exec_lo, s18
.LBB355_1537:                           ;   in Loop: Header=BB355_15 Depth=1
	s_delay_alu instid0(SALU_CYCLE_1)
	s_or_b32 exec_lo, exec_lo, s17
.LBB355_1538:                           ;   in Loop: Header=BB355_15 Depth=1
	s_delay_alu instid0(SALU_CYCLE_1) | instskip(SKIP_3) | instid1(VALU_DEP_2)
	s_or_b32 exec_lo, exec_lo, s16
	v_dual_lshrrev_b32 v43, 16, v9 :: v_dual_mov_b32 v13, 0
	v_mov_b32_e32 v12, 0
	s_mov_b32 s16, exec_lo
	v_and_b32_e32 v24, 0xff, v43
	s_delay_alu instid0(VALU_DEP_1)
	v_cmpx_ne_u16_e32 0, v24
	s_cbranch_execz .LBB355_1546
; %bb.1539:                             ;   in Loop: Header=BB355_15 Depth=1
	v_bfrev_b32_e32 v12, 1
	s_mov_b32 s17, exec_lo
	v_cmpx_ne_u16_e32 0x80, v24
	s_cbranch_execz .LBB355_1545
; %bb.1540:                             ;   in Loop: Header=BB355_15 Depth=1
	v_dual_mov_b32 v63, v122 :: v_dual_mov_b32 v62, v118
	v_dual_mov_b32 v118, v106 :: v_dual_mov_b32 v107, v91
	;; [unrolled: 1-line block ×4, first 2 shown]
	v_mov_b32_e32 v76, v90
	v_mov_b64_e32 v[90:91], v[58:59]
	v_bfe_u32 v122, v9, 16, 7
	v_mov_b32_e32 v12, 0x7f800001
	s_mov_b32 s18, exec_lo
	s_delay_alu instid0(VALU_DEP_2)
	v_cmpx_ne_u32_e32 0x7f, v122
	s_cbranch_execz .LBB355_1544
; %bb.1541:                             ;   in Loop: Header=BB355_15 Depth=1
	v_dual_lshrrev_b32 v12, 3, v122 :: v_dual_bitop2_b32 v24, 7, v43 bitop3:0x40
	s_mov_b32 s19, exec_lo
	s_delay_alu instid0(VALU_DEP_1)
	v_mov_b64_e32 v[58:59], v[24:25]
	v_cmpx_gt_u32_e32 8, v122
; %bb.1542:                             ;   in Loop: Header=BB355_15 Depth=1
	v_clz_i32_u32_e32 v12, v24
	s_delay_alu instid0(VALU_DEP_1) | instskip(NEXT) | instid1(VALU_DEP_1)
	v_min_u32_e32 v12, 32, v12
	v_subrev_nc_u32_e32 v58, 28, v12
	s_delay_alu instid0(VALU_DEP_1) | instskip(NEXT) | instid1(VALU_DEP_1)
	v_lshlrev_b64_e32 v[58:59], v58, v[24:25]
	v_dual_sub_nc_u32 v12, 29, v12 :: v_dual_bitop2_b32 v58, 7, v58 bitop3:0x40
; %bb.1543:                             ;   in Loop: Header=BB355_15 Depth=1
	s_or_b32 exec_lo, exec_lo, s19
	s_delay_alu instid0(VALU_DEP_1) | instskip(NEXT) | instid1(VALU_DEP_2)
	v_dual_lshlrev_b32 v24, 24, v43 :: v_dual_lshlrev_b32 v43, 20, v58
	v_lshl_add_u32 v12, v12, 23, 0x3c000000
	s_delay_alu instid0(VALU_DEP_2) | instskip(NEXT) | instid1(VALU_DEP_1)
	v_and_b32_e32 v24, 0x80000000, v24
	v_or3_b32 v12, v43, v24, v12
.LBB355_1544:                           ;   in Loop: Header=BB355_15 Depth=1
	s_or_b32 exec_lo, exec_lo, s18
	v_mov_b64_e32 v[58:59], v[90:91]
	v_dual_mov_b32 v90, v76 :: v_dual_mov_b32 v76, v77
	v_dual_mov_b32 v77, v60 :: v_dual_mov_b32 v60, v61
	;; [unrolled: 1-line block ×4, first 2 shown]
	v_mov_b32_e32 v122, v63
.LBB355_1545:                           ;   in Loop: Header=BB355_15 Depth=1
	s_or_b32 exec_lo, exec_lo, s17
.LBB355_1546:                           ;   in Loop: Header=BB355_15 Depth=1
	s_delay_alu instid0(SALU_CYCLE_1)
	s_or_b32 exec_lo, exec_lo, s16
	v_mov_b64_e32 v[62:63], v[58:59]
	s_mov_b32 s16, exec_lo
	v_cmpx_lt_u64_e64 s[8:9], v[8:9]
	s_cbranch_execz .LBB355_13
; %bb.1547:                             ;   in Loop: Header=BB355_15 Depth=1
	v_lshrrev_b32_e32 v43, 24, v9
	v_bfrev_b32_e32 v13, 1
	s_mov_b32 s17, exec_lo
	s_delay_alu instid0(VALU_DEP_2)
	v_cmpx_ne_u32_e32 0x80, v43
	s_cbranch_execz .LBB355_12
; %bb.1548:                             ;   in Loop: Header=BB355_15 Depth=1
	v_bfe_u32 v58, v9, 24, 7
	v_mov_b32_e32 v13, 0x7f800001
	s_mov_b32 s18, exec_lo
	s_delay_alu instid0(VALU_DEP_2)
	v_cmpx_ne_u32_e32 0x7f, v58
	s_cbranch_execz .LBB355_11
; %bb.1549:                             ;   in Loop: Header=BB355_15 Depth=1
	v_and_b32_e32 v24, 7, v43
	s_mov_b32 s19, exec_lo
	s_delay_alu instid0(VALU_DEP_1)
	v_mov_b64_e32 v[8:9], v[24:25]
	v_lshrrev_b32_e32 v9, 3, v58
	v_cmpx_gt_u32_e32 8, v58
	s_cbranch_execz .LBB355_10
; %bb.1550:                             ;   in Loop: Header=BB355_15 Depth=1
	v_clz_i32_u32_e32 v8, v24
	s_delay_alu instid0(VALU_DEP_1) | instskip(NEXT) | instid1(VALU_DEP_1)
	v_min_u32_e32 v13, 32, v8
	v_subrev_nc_u32_e32 v8, 28, v13
	s_delay_alu instid0(VALU_DEP_1) | instskip(NEXT) | instid1(VALU_DEP_1)
	v_lshlrev_b64_e32 v[8:9], v8, v[24:25]
	v_dual_sub_nc_u32 v9, 29, v13 :: v_dual_bitop2_b32 v8, 7, v8 bitop3:0x40
	s_branch .LBB355_10
.LBB355_1551:
	s_or_b32 exec_lo, exec_lo, s15
	scratch_load_b64 v[34:35], off, s32 offset:1708 ; 8-byte Folded Reload
.LBB355_1552:
	s_wait_xcnt 0x0
	s_or_b32 exec_lo, exec_lo, s3
	v_mbcnt_lo_u32_b32 v2, -1, 0
	s_delay_alu instid0(VALU_DEP_1) | instskip(SKIP_1) | instid1(VALU_DEP_2)
	v_dual_max_num_f32 v4, v7, v7 :: v_dual_bitop2_b32 v0, 16, v2 bitop3:0x14
	v_xor_b32_e32 v3, 8, v2
	v_cmp_gt_i32_e32 vcc_lo, 32, v0
	v_cndmask_b32_e32 v0, v2, v0, vcc_lo
	s_delay_alu instid0(VALU_DEP_3) | instskip(NEXT) | instid1(VALU_DEP_2)
	v_cmp_gt_i32_e32 vcc_lo, 32, v3
	v_dual_cndmask_b32 v3, v2, v3 :: v_dual_lshlrev_b32 v0, 2, v0
	ds_bpermute_b32 v1, v0, v7
	s_wait_dscnt 0x0
	v_dual_max_num_f32 v5, v1, v1 :: v_dual_lshlrev_b32 v1, 2, v3
	s_delay_alu instid0(VALU_DEP_1) | instskip(SKIP_4) | instid1(VALU_DEP_1)
	v_dual_max_num_f32 v4, v4, v5 :: v_dual_bitop2_b32 v5, 4, v2 bitop3:0x14
	ds_bpermute_b32 v3, v1, v4
	v_cmp_gt_i32_e32 vcc_lo, 32, v5
	s_wait_dscnt 0x0
	v_dual_cndmask_b32 v5, v2, v5 :: v_dual_max_num_f32 v6, v3, v3
	v_dual_max_num_f32 v4, v4, v6 :: v_dual_lshlrev_b32 v3, 2, v5
	ds_bpermute_b32 v5, v3, v4
	s_wait_dscnt 0x0
	v_dual_max_num_f32 v5, v5, v5 :: v_dual_bitop2_b32 v6, 2, v2 bitop3:0x14
	s_delay_alu instid0(VALU_DEP_1) | instskip(NEXT) | instid1(VALU_DEP_2)
	v_cmp_gt_i32_e32 vcc_lo, 32, v6
	v_dual_max_num_f32 v4, v4, v5 :: v_dual_cndmask_b32 v6, v2, v6, vcc_lo
	s_delay_alu instid0(VALU_DEP_1) | instskip(SKIP_3) | instid1(VALU_DEP_1)
	v_lshlrev_b32_e32 v25, 2, v6
	ds_bpermute_b32 v5, v25, v4
	s_wait_dscnt 0x0
	v_dual_max_num_f32 v5, v5, v5 :: v_dual_bitop2_b32 v6, 1, v2 bitop3:0x14
	v_cmp_gt_i32_e32 vcc_lo, 32, v6
	s_delay_alu instid0(VALU_DEP_2)
	v_dual_cndmask_b32 v6, v2, v6, vcc_lo :: v_dual_max_num_f32 v2, v4, v5
	scratch_load_b32 v4, off, s32 offset:944 ; 4-byte Folded Reload
	s_wait_loadcnt 0x0
	v_cmp_eq_u32_e32 vcc_lo, 0, v4
	scratch_load_b32 v4, off, s32 offset:1660 ; 4-byte Folded Reload
	s_wait_loadcnt 0x0
	v_dual_lshlrev_b32 v4, 2, v4 :: v_dual_lshlrev_b32 v24, 2, v6
	ds_bpermute_b32 v5, v24, v2
	s_wait_xcnt 0x0
	s_and_saveexec_b32 s1, vcc_lo
	s_cbranch_execz .LBB355_1554
; %bb.1553:
	s_wait_dscnt 0x0
	v_dual_max_num_f32 v5, v5, v5 :: v_dual_max_num_f32 v2, v2, v2
	s_delay_alu instid0(VALU_DEP_1)
	v_max_num_f32_e32 v2, v2, v5
	ds_store_b32 v4, v2 offset:384
.LBB355_1554:
	s_or_b32 exec_lo, exec_lo, s1
	scratch_load_b32 v2, off, s32 offset:944 ; 4-byte Folded Reload
	s_wait_storecnt 0x0
	s_wait_loadcnt_dscnt 0x0
	s_barrier_signal -1
	s_barrier_wait -1
	v_cmp_gt_u32_e64 s1, 4, v2
	v_mov_b32_e32 v2, 0xff7fffff
	s_and_saveexec_b32 s2, s1
	s_cbranch_execz .LBB355_1556
; %bb.1555:
	scratch_load_b32 v2, off, s32 offset:1668 ; 4-byte Folded Reload
	s_wait_loadcnt 0x0
	ds_load_b32 v2, v2 offset:384
.LBB355_1556:
	s_or_b32 exec_lo, exec_lo, s2
	s_wait_dscnt 0x0
	ds_bpermute_b32 v5, v25, v2
	v_max_num_f32_e32 v2, v2, v2
	scratch_load_b32 v7, off, s32 offset:948 ; 4-byte Folded Reload
	s_wait_dscnt 0x0
	v_max_num_f32_e32 v5, v5, v5
	s_delay_alu instid0(VALU_DEP_1) | instskip(SKIP_3) | instid1(VALU_DEP_1)
	v_max_num_f32_e32 v2, v2, v5
	ds_bpermute_b32 v5, v24, v2
	s_wait_dscnt 0x0
	v_max_num_f32_e32 v5, v5, v5
	v_dual_max_num_f32 v2, v2, v5 :: v_dual_mov_b32 v5, 0
	ds_bpermute_b32 v6, v5, v2
	scratch_load_b32 v2, off, s32 offset:408 ; 4-byte Folded Reload
	s_wait_loadcnt 0x0
	v_lshlrev_b32_e32 v2, 5, v2
	s_delay_alu instid0(VALU_DEP_1) | instskip(NEXT) | instid1(VALU_DEP_1)
	v_min_i32_e32 v2, v2, v119
	v_cmp_lt_i32_e64 s2, v7, v2
	s_and_saveexec_b32 s8, s2
	s_cbranch_execz .LBB355_1560
; %bb.1557:
	scratch_load_b32 v8, off, s32 offset:948 ; 4-byte Folded Reload
	s_load_b32 s3, s[6:7], 0x0
	v_mov_b32_e32 v5, 0
	s_mov_b32 s9, 0
	s_wait_loadcnt 0x0
	s_wait_kmcnt 0x0
	v_lshl_add_u32 v7, v8, 2, s3
.LBB355_1558:                           ; =>This Inner Loop Header: Depth=1
	ds_load_b32 v9, v7
	v_add_nc_u32_e32 v8, 0x80, v8
	s_delay_alu instid0(VALU_DEP_1) | instskip(SKIP_3) | instid1(VALU_DEP_1)
	v_cmp_ge_i32_e64 s3, v8, v2
	s_or_b32 s9, s3, s9
	s_wait_dscnt 0x0
	v_sub_f32_e32 v9, v9, v6
	v_mul_f32_e32 v9, 0x3fb8aa3b, v9
	s_delay_alu instid0(VALU_DEP_1)
	v_exp_f32_e32 v9, v9
	ds_store_b32 v7, v9
	v_nop
	v_add_f32_e32 v5, v5, v9
	v_add_nc_u32_e32 v7, 0x200, v7
	s_and_not1_b32 exec_lo, exec_lo, s9
	s_cbranch_execnz .LBB355_1558
; %bb.1559:
	s_or_b32 exec_lo, exec_lo, s9
.LBB355_1560:
	s_delay_alu instid0(SALU_CYCLE_1)
	s_or_b32 exec_lo, exec_lo, s8
	ds_bpermute_b32 v0, v0, v5
	s_wait_dscnt 0x0
	v_add_f32_e32 v0, v5, v0
	ds_bpermute_b32 v1, v1, v0
	s_wait_dscnt 0x0
	v_add_f32_e32 v0, v0, v1
	;; [unrolled: 3-line block ×5, first 2 shown]
	s_and_saveexec_b32 s3, vcc_lo
; %bb.1561:
	ds_store_b32 v4, v0 offset:400
; %bb.1562:
	s_or_b32 exec_lo, exec_lo, s3
	s_wait_dscnt 0x0
	s_barrier_signal -1
	s_barrier_wait -1
	s_and_saveexec_b32 s3, s1
	s_cbranch_execz .LBB355_1564
; %bb.1563:
	scratch_load_b32 v0, off, s32 offset:1668 th:TH_LOAD_LU ; 4-byte Folded Reload
	s_wait_loadcnt 0x0
	ds_load_b32 v0, v0 offset:400
.LBB355_1564:
	s_or_b32 exec_lo, exec_lo, s3
	s_wait_dscnt 0x0
	ds_bpermute_b32 v1, v25, v0
	s_wait_dscnt 0x0
	v_dual_mov_b32 v53, 0 :: v_dual_add_f32 v0, v0, v1
	ds_bpermute_b32 v1, v24, v0
	s_wait_dscnt 0x0
	v_add_f32_e32 v0, v0, v1
	ds_bpermute_b32 v0, v53, v0
	s_and_saveexec_b32 s1, s2
	s_cbranch_execz .LBB355_1577
; %bb.1565:
	s_wait_dscnt 0x0
	v_add_f32_e32 v0, 0x358637bd, v0
	s_mov_b32 s3, -1
	s_mov_b32 s2, exec_lo
	s_delay_alu instid0(VALU_DEP_1) | instskip(SKIP_1) | instid1(VALU_DEP_2)
	v_div_scale_f32 v1, null, v0, v0, 1.0
	v_div_scale_f32 v5, vcc_lo, 1.0, v0, 1.0
	v_rcp_f32_e32 v4, v1
	v_nop
	s_delay_alu instid0(TRANS32_DEP_1) | instskip(NEXT) | instid1(VALU_DEP_1)
	v_fma_f32 v3, -v1, v4, 1.0
	v_fmac_f32_e32 v4, v3, v4
	s_delay_alu instid0(VALU_DEP_1) | instskip(NEXT) | instid1(VALU_DEP_1)
	v_mul_f32_e32 v6, v5, v4
	v_fma_f32 v3, -v1, v6, v5
	s_delay_alu instid0(VALU_DEP_1) | instskip(NEXT) | instid1(VALU_DEP_1)
	v_fmac_f32_e32 v6, v3, v4
	v_fma_f32 v1, -v1, v6, v5
	scratch_load_b32 v5, off, s32 offset:948 ; 4-byte Folded Reload
	v_div_fmas_f32 v1, v1, v4, v6
	s_delay_alu instid0(VALU_DEP_1) | instskip(SKIP_3) | instid1(VALU_DEP_2)
	v_div_fixup_f32 v0, v1, v0, 1.0
	s_wait_loadcnt 0x0
	v_xad_u32 v3, v5, -1, v2
	v_mov_b32_e32 v1, v5
	v_cmpx_lt_u32_e32 0x7f, v3
	s_cbranch_execz .LBB355_1574
; %bb.1566:
	v_dual_lshrrev_b32 v3, 7, v3 :: v_dual_mov_b32 v1, v0
	s_delay_alu instid0(VALU_DEP_1) | instskip(NEXT) | instid1(VALU_DEP_1)
	v_dual_mov_b32 v7, 0 :: v_dual_add_nc_u32 v4, -1, v3
	v_lshrrev_b32_e32 v5, 1, v4
	v_cmp_lt_u32_e32 vcc_lo, 13, v4
	s_delay_alu instid0(VALU_DEP_2)
	v_add_nc_u32_e32 v4, 1, v5
	s_and_saveexec_b32 s3, vcc_lo
	s_cbranch_execz .LBB355_1570
; %bb.1567:
	scratch_load_b32 v6, off, s32 offset:948 ; 4-byte Folded Reload
	s_load_b32 s8, s[6:7], 0x0
	v_and_b32_e32 v5, -8, v4
	s_mov_b32 s9, 0
	s_wait_loadcnt 0x0
	s_wait_kmcnt 0x0
	v_lshl_add_u32 v6, v6, 2, s8
	s_mov_b32 s8, 0
.LBB355_1568:                           ; =>This Inner Loop Header: Depth=1
	ds_load_2addr_stride64_b32 v[8:9], v6 offset1:2
	ds_load_2addr_stride64_b32 v[10:11], v6 offset0:4 offset1:6
	ds_load_2addr_stride64_b32 v[12:13], v6 offset0:8 offset1:10
	;; [unrolled: 1-line block ×7, first 2 shown]
	s_add_co_i32 s9, s9, 16
	s_delay_alu instid0(SALU_CYCLE_1) | instskip(NEXT) | instid1(VALU_DEP_1)
	v_dual_add_nc_u32 v5, -8, v5 :: v_dual_mov_b32 v7, s9
	v_cmp_eq_u32_e32 vcc_lo, 0, v5
	s_or_b32 s8, vcc_lo, s8
	s_wait_dscnt 0x7
	v_pk_mul_f32 v[8:9], v[0:1], v[8:9]
	s_wait_dscnt 0x6
	v_pk_mul_f32 v[10:11], v[0:1], v[10:11]
	;; [unrolled: 2-line block ×8, first 2 shown]
	ds_store_2addr_stride64_b32 v6, v8, v9 offset1:2
	ds_store_2addr_stride64_b32 v6, v10, v11 offset0:4 offset1:6
	ds_store_2addr_stride64_b32 v6, v12, v13 offset0:8 offset1:10
	;; [unrolled: 1-line block ×7, first 2 shown]
	v_add_nc_u32_e32 v6, 0x2000, v6
	s_and_not1_b32 exec_lo, exec_lo, s8
	s_cbranch_execnz .LBB355_1568
; %bb.1569:
	s_or_b32 exec_lo, exec_lo, s8
.LBB355_1570:
	s_delay_alu instid0(SALU_CYCLE_1) | instskip(NEXT) | instid1(VALU_DEP_1)
	s_or_b32 exec_lo, exec_lo, s3
	v_and_b32_e32 v4, 7, v4
	s_mov_b32 s8, 0
	s_mov_b32 s3, exec_lo
	s_delay_alu instid0(VALU_DEP_1)
	v_cmpx_ne_u32_e32 0, v4
	s_cbranch_execz .LBB355_1573
; %bb.1571:
	scratch_load_b32 v6, off, s32 offset:948 ; 4-byte Folded Reload
	s_load_b32 s9, s[6:7], 0x0
	s_wait_loadcnt 0x0
	v_dual_lshlrev_b32 v5, 9, v7 :: v_dual_lshlrev_b32 v6, 2, v6
	s_wait_kmcnt 0x0
	s_delay_alu instid0(VALU_DEP_1)
	v_add3_u32 v5, v5, v6, s9
.LBB355_1572:                           ; =>This Inner Loop Header: Depth=1
	ds_load_2addr_stride64_b32 v[6:7], v5 offset1:2
	v_add_nc_u32_e32 v4, -1, v4
	s_delay_alu instid0(VALU_DEP_1)
	v_cmp_eq_u32_e32 vcc_lo, 0, v4
	s_or_b32 s8, vcc_lo, s8
	s_wait_dscnt 0x0
	v_pk_mul_f32 v[6:7], v[0:1], v[6:7]
	ds_store_2addr_stride64_b32 v5, v6, v7 offset1:2
	v_add_nc_u32_e32 v5, 0x400, v5
	s_and_not1_b32 exec_lo, exec_lo, s8
	s_cbranch_execnz .LBB355_1572
.LBB355_1573:
	s_or_b32 exec_lo, exec_lo, s3
	v_add_nc_u32_e32 v1, 1, v3
	s_delay_alu instid0(VALU_DEP_1) | instskip(NEXT) | instid1(VALU_DEP_1)
	v_and_b32_e32 v3, 0x3fffffe, v1
	v_cmp_ne_u32_e32 vcc_lo, v1, v3
	scratch_load_b32 v1, off, s32 offset:948 ; 4-byte Folded Reload
	s_or_not1_b32 s3, vcc_lo, exec_lo
	s_wait_loadcnt 0x0
	v_lshl_add_u32 v1, v3, 7, v1
.LBB355_1574:
	s_or_b32 exec_lo, exec_lo, s2
	s_delay_alu instid0(SALU_CYCLE_1)
	s_and_b32 exec_lo, exec_lo, s3
	s_cbranch_execz .LBB355_1577
; %bb.1575:
	s_load_b32 s2, s[6:7], 0x0
	s_wait_kmcnt 0x0
	v_lshl_add_u32 v3, v1, 2, s2
	s_mov_b32 s2, 0
.LBB355_1576:                           ; =>This Inner Loop Header: Depth=1
	ds_load_b32 v4, v3
	s_wait_dscnt 0x0
	v_dual_mul_f32 v4, v0, v4 :: v_dual_add_nc_u32 v1, 0x80, v1
	s_delay_alu instid0(VALU_DEP_1) | instskip(SKIP_3) | instid1(SALU_CYCLE_1)
	v_cmp_ge_i32_e32 vcc_lo, v1, v2
	ds_store_b32 v3, v4
	v_add_nc_u32_e32 v3, 0x200, v3
	s_or_b32 s2, vcc_lo, s2
	s_and_not1_b32 exec_lo, exec_lo, s2
	s_cbranch_execnz .LBB355_1576
.LBB355_1577:
	s_or_b32 exec_lo, exec_lo, s1
	v_dual_mov_b32 v22, 0 :: v_dual_mov_b32 v1, 0
	s_wait_dscnt 0x0
	v_dual_mov_b32 v0, 0 :: v_dual_mov_b32 v21, 0
	v_dual_mov_b32 v26, 0 :: v_dual_mov_b32 v52, 0
	v_mov_b32_e32 v23, 0
	scratch_store_b64 off, v[0:1], s32 offset:800 ; 8-byte Folded Spill
	s_wait_xcnt 0x0
	v_dual_mov_b32 v1, 0 :: v_dual_mov_b32 v0, 0
	v_dual_mov_b32 v20, 0 :: v_dual_mov_b32 v27, 0
	;; [unrolled: 1-line block ×3, first 2 shown]
	v_mov_b32_e32 v7, 0
	scratch_store_b64 off, v[0:1], s32 offset:808 ; 8-byte Folded Spill
	s_wait_xcnt 0x0
	v_dual_mov_b32 v1, 0 :: v_dual_mov_b32 v0, 0
	v_dual_mov_b32 v6, 0 :: v_dual_mov_b32 v5, 0
	v_dual_mov_b32 v4, 0 :: v_dual_mov_b32 v3, 0
	scratch_store_b64 off, v[0:1], s32 offset:816 ; 8-byte Folded Spill
	s_wait_xcnt 0x0
	v_dual_mov_b32 v2, 0 :: v_dual_mov_b32 v1, 0
	v_mov_b32_e32 v0, 0
	s_wait_storecnt 0x0
	s_barrier_signal -1
	s_barrier_wait -1
	s_and_saveexec_b32 s1, s0
	s_cbranch_execz .LBB355_3167
; %bb.1578:
	s_clause 0x5
	scratch_store_b32 off, v25, s32 offset:984
	scratch_store_b32 off, v24, s32 offset:976
	scratch_load_b32 v0, off, s32 offset:1664 th:TH_LOAD_LU
	scratch_load_b32 v1, off, s32 offset:1696 th:TH_LOAD_LU
	scratch_load_b64 v[2:3], off, s32 offset:1672 th:TH_LOAD_LU
	scratch_load_b64 v[4:5], off, s32 offset:1680 th:TH_LOAD_LU
	v_dual_mov_b32 v27, 0 :: v_dual_mov_b32 v6, 0
	v_dual_mov_b32 v7, 0 :: v_dual_mov_b32 v9, 0
	s_mov_b64 s[2:3], 0xffffffffffffff
	s_mov_b32 s8, 0
	s_clause 0x1
	scratch_load_b32 v52, off, s32 offset:1660
	scratch_store_b64 off, v[6:7], s32 offset:896
	s_wait_xcnt 0x0
	v_dual_mov_b32 v6, 0 :: v_dual_mov_b32 v7, 0
	v_mov_b32_e32 v8, 0
	scratch_store_b64 off, v[6:7], s32 offset:880 ; 8-byte Folded Spill
	s_wait_xcnt 0x0
	v_dual_mov_b32 v6, 0 :: v_dual_mov_b32 v7, 0
	scratch_store_b64 off, v[8:9], s32 offset:840 ; 8-byte Folded Spill
	s_wait_xcnt 0x0
	v_dual_mov_b32 v8, 0 :: v_dual_mov_b32 v9, 0
	scratch_store_b64 off, v[6:7], s32 offset:888 ; 8-byte Folded Spill
	s_wait_xcnt 0x0
	v_dual_mov_b32 v6, 0 :: v_dual_mov_b32 v7, 0
	s_clause 0x1
	scratch_store_b64 off, v[8:9], s32 offset:832
	scratch_store_b64 off, v[6:7], s32 offset:864
	s_wait_xcnt 0x0
	v_dual_mov_b32 v6, 0 :: v_dual_mov_b32 v7, 0
	scratch_store_b64 off, v[6:7], s32 offset:872 ; 8-byte Folded Spill
	s_wait_xcnt 0x0
	v_dual_mov_b32 v6, 0 :: v_dual_mov_b32 v7, 0
	scratch_store_b64 off, v[6:7], s32 offset:816 ; 8-byte Folded Spill
	;; [unrolled: 3-line block ×5, first 2 shown]
	s_wait_loadcnt 0x3
	v_max_i32_e32 v23, v0, v1
	scratch_load_b32 v1, off, s32 offset:948 ; 4-byte Folded Reload
	s_wait_loadcnt 0x2
	v_lshl_add_u64 v[2:3], v[4:5], 2, v[2:3]
	scratch_store_b64 off, v[2:3], s32 offset:960 ; 8-byte Folded Spill
	s_wait_loadcnt 0x0
	v_lshlrev_b32_e32 v4, 3, v1
	v_cvt_f32_u32_e32 v0, v23
	s_wait_xcnt 0x0
	s_delay_alu instid0(VALU_DEP_2) | instskip(NEXT) | instid1(VALU_DEP_2)
	v_dual_sub_nc_u32 v3, 0, v23 :: v_dual_bitop2_b32 v84, 24, v4 bitop3:0x40
	v_rcp_iflag_f32_e32 v2, v0
	scratch_load_b64 v[0:1], off, s32 offset:1688 th:TH_LOAD_LU ; 8-byte Folded Reload
	v_nop
	v_mul_f32_e32 v2, 0x4f7ffffe, v2
	s_delay_alu instid0(VALU_DEP_1) | instskip(NEXT) | instid1(VALU_DEP_1)
	v_cvt_u32_f32_e32 v5, v2
	v_mul_lo_u32 v2, v3, v5
	v_mov_b32_e32 v3, 0
	s_delay_alu instid0(VALU_DEP_2)
	v_mul_hi_u32 v6, v5, v2
	v_dual_mov_b32 v2, 0 :: v_dual_mov_b32 v7, v27
	scratch_store_b64 off, v[2:3], s32 offset:800 ; 8-byte Folded Spill
	s_wait_xcnt 0x0
	v_and_b32_e32 v2, 0xf8, v4
	v_dual_mov_b32 v3, v27 :: v_dual_add_nc_u32 v6, v5, v6
	scratch_store_b64 off, v[6:7], s32 offset:904 ; 8-byte Folded Spill
	s_wait_loadcnt 0x0
	v_add_nc_u64_e32 v[0:1], v[34:35], v[0:1]
	s_delay_alu instid0(VALU_DEP_1)
	v_add_nc_u64_e32 v[0:1], v[0:1], v[2:3]
	scratch_store_b64 off, v[0:1], s32 offset:968 ; 8-byte Folded Spill
	s_branch .LBB355_1581
.LBB355_1579:                           ;   in Loop: Header=BB355_1581 Depth=1
	s_or_b32 exec_lo, exec_lo, s0
	scratch_load_b128 v[80:83], off, s32 offset:928 th:TH_LOAD_LU ; 16-byte Folded Reload
	v_perm_b32 v69, v69, v70, 0x5040100
	v_perm_b32 v53, v53, v68, 0x5040100
	;; [unrolled: 1-line block ×20, first 2 shown]
	s_wait_loadcnt 0x0
	v_cvt_pk_bf16_f32 v45, v80, v81
	v_cvt_pk_bf16_f32 v116, v82, v83
	scratch_load_b128 v[80:83], off, s32 offset:912 th:TH_LOAD_LU ; 16-byte Folded Reload
	v_pk_mul_bf16 v69, v45, v69
	v_pk_mul_bf16 v53, v116, v53
	;; [unrolled: 1-line block ×5, first 2 shown]
	v_lshlrev_b32_e32 v54, 16, v69
	v_and_b32_e32 v55, 0xffff0000, v69
	v_pk_mul_bf16 v2, v116, v2
	s_delay_alu instid0(VALU_DEP_2) | instskip(SKIP_4) | instid1(VALU_DEP_2)
	v_dual_add_f32 v54, v54, v55 :: v_dual_lshlrev_b32 v55, 16, v53
	v_and_b32_e32 v53, 0xffff0000, v53
	s_wait_loadcnt 0x0
	v_cvt_pk_bf16_f32 v115, v80, v81
	v_cvt_pk_bf16_f32 v25, v82, v83
	v_pk_mul_bf16 v12, v115, v12
	v_add_f32_e32 v53, v55, v53
	s_delay_alu instid0(VALU_DEP_3)
	v_pk_mul_bf16 v13, v25, v13
	v_pk_mul_bf16 v36, v115, v36
	;; [unrolled: 1-line block ×4, first 2 shown]
	v_dual_add_f32 v53, v54, v53 :: v_dual_lshlrev_b32 v54, 16, v12
	v_and_b32_e32 v12, 0xffff0000, v12
	v_pk_mul_bf16 v28, v115, v28
	v_pk_mul_bf16 v29, v25, v29
	;; [unrolled: 1-line block ×4, first 2 shown]
	v_add_f32_e32 v12, v54, v12
	scratch_load_b64 v[54:55], off, s32 offset:832 th:TH_LOAD_LU ; 8-byte Folded Reload
	v_pk_mul_bf16 v7, v25, v7
	v_pk_mul_bf16 v3, v115, v3
	;; [unrolled: 1-line block ×3, first 2 shown]
	v_dual_add_f32 v12, v53, v12 :: v_dual_lshlrev_b32 v53, 16, v13
	v_and_b32_e32 v13, 0xffff0000, v13
	s_delay_alu instid0(VALU_DEP_1) | instskip(NEXT) | instid1(VALU_DEP_1)
	v_add_f32_e32 v13, v53, v13
	v_add_f32_e32 v12, v12, v13
	v_perm_b32 v13, v48, v49, 0x5040100
	s_delay_alu instid0(VALU_DEP_1) | instskip(SKIP_1) | instid1(VALU_DEP_3)
	v_pk_mul_bf16 v13, v116, v13
	s_wait_loadcnt 0x0
	v_add_f32_e32 v54, v54, v12
	v_perm_b32 v12, v50, v51, 0x5040100
	s_delay_alu instid0(VALU_DEP_1) | instskip(NEXT) | instid1(VALU_DEP_1)
	v_pk_mul_bf16 v12, v45, v12
	v_lshlrev_b32_e32 v38, 16, v12
	v_and_b32_e32 v12, 0xffff0000, v12
	s_delay_alu instid0(VALU_DEP_1) | instskip(SKIP_1) | instid1(VALU_DEP_1)
	v_dual_add_f32 v12, v38, v12 :: v_dual_lshlrev_b32 v38, 16, v13
	v_and_b32_e32 v13, 0xffff0000, v13
	v_add_f32_e32 v13, v38, v13
	s_delay_alu instid0(VALU_DEP_1) | instskip(SKIP_1) | instid1(VALU_DEP_1)
	v_dual_add_f32 v12, v12, v13 :: v_dual_lshlrev_b32 v13, 16, v36
	v_and_b32_e32 v36, 0xffff0000, v36
	v_add_f32_e32 v13, v13, v36
	v_and_b32_e32 v36, 0xffff0000, v37
	s_delay_alu instid0(VALU_DEP_2) | instskip(SKIP_1) | instid1(VALU_DEP_1)
	v_add_f32_e32 v12, v12, v13
	v_lshlrev_b32_e32 v13, 16, v37
	v_add_f32_e32 v13, v13, v36
	scratch_load_b64 v[36:37], off, s32 offset:840 th:TH_LOAD_LU ; 8-byte Folded Reload
	v_add_f32_e32 v12, v12, v13
	v_perm_b32 v13, v31, v33, 0x5040100
	s_delay_alu instid0(VALU_DEP_1) | instskip(SKIP_1) | instid1(VALU_DEP_3)
	v_pk_mul_bf16 v13, v116, v13
	s_wait_loadcnt 0x0
	v_add_f32_e32 v37, v37, v12
	v_perm_b32 v12, v34, v35, 0x5040100
	s_delay_alu instid0(VALU_DEP_1) | instskip(NEXT) | instid1(VALU_DEP_1)
	v_pk_mul_bf16 v12, v45, v12
	v_lshlrev_b32_e32 v30, 16, v12
	v_and_b32_e32 v12, 0xffff0000, v12
	s_delay_alu instid0(VALU_DEP_1) | instskip(SKIP_1) | instid1(VALU_DEP_1)
	v_dual_add_f32 v12, v30, v12 :: v_dual_lshlrev_b32 v30, 16, v13
	v_and_b32_e32 v13, 0xffff0000, v13
	v_add_f32_e32 v13, v30, v13
	s_delay_alu instid0(VALU_DEP_1) | instskip(SKIP_1) | instid1(VALU_DEP_1)
	v_dual_add_f32 v12, v12, v13 :: v_dual_lshlrev_b32 v13, 16, v28
	v_and_b32_e32 v28, 0xffff0000, v28
	v_add_f32_e32 v13, v13, v28
	v_and_b32_e32 v28, 0xffff0000, v29
	s_delay_alu instid0(VALU_DEP_2) | instskip(SKIP_1) | instid1(VALU_DEP_1)
	v_add_f32_e32 v12, v12, v13
	v_lshlrev_b32_e32 v13, 16, v29
	v_add_f32_e32 v13, v13, v28
	s_delay_alu instid0(VALU_DEP_1) | instskip(SKIP_1) | instid1(VALU_DEP_2)
	v_add_f32_e32 v12, v12, v13
	v_perm_b32 v13, v65, v15, 0x5040100
	v_add_f32_e32 v36, v36, v12
	v_perm_b32 v12, v20, v21, 0x5040100
	scratch_load_b64 v[20:21], off, s32 offset:800 th:TH_LOAD_LU ; 8-byte Folded Reload
	v_pk_mul_bf16 v13, v116, v13
	v_pk_mul_bf16 v12, v45, v12
	s_delay_alu instid0(VALU_DEP_1) | instskip(SKIP_1) | instid1(VALU_DEP_1)
	v_lshlrev_b32_e32 v15, 16, v12
	v_and_b32_e32 v12, 0xffff0000, v12
	v_dual_add_f32 v12, v15, v12 :: v_dual_lshlrev_b32 v15, 16, v13
	v_and_b32_e32 v13, 0xffff0000, v13
	s_delay_alu instid0(VALU_DEP_1) | instskip(NEXT) | instid1(VALU_DEP_1)
	v_add_f32_e32 v13, v15, v13
	v_dual_add_f32 v12, v12, v13 :: v_dual_lshlrev_b32 v13, 16, v11
	v_and_b32_e32 v11, 0xffff0000, v11
	s_delay_alu instid0(VALU_DEP_1) | instskip(SKIP_1) | instid1(VALU_DEP_2)
	v_add_f32_e32 v11, v13, v11
	v_and_b32_e32 v13, 0xffff0000, v14
	v_dual_add_f32 v11, v12, v11 :: v_dual_lshlrev_b32 v12, 16, v14
	v_lshlrev_b32_e32 v14, 16, v10
	v_and_b32_e32 v10, 0xffff0000, v10
	s_delay_alu instid0(VALU_DEP_3) | instskip(SKIP_1) | instid1(VALU_DEP_2)
	v_add_f32_e32 v12, v12, v13
	v_perm_b32 v13, v125, v122, 0x5040100
	v_dual_add_f32 v10, v14, v10 :: v_dual_add_f32 v11, v11, v12
	v_perm_b32 v12, v120, v121, 0x5040100
	s_delay_alu instid0(VALU_DEP_3) | instskip(NEXT) | instid1(VALU_DEP_2)
	v_pk_mul_bf16 v13, v25, v13
	v_pk_mul_bf16 v12, v115, v12
	s_wait_loadcnt 0x0
	v_add_f32_e32 v21, v21, v11
	v_perm_b32 v11, v124, v126, 0x5040100
	s_delay_alu instid0(VALU_DEP_1) | instskip(NEXT) | instid1(VALU_DEP_1)
	v_pk_mul_bf16 v11, v116, v11
	v_lshlrev_b32_e32 v14, 16, v11
	v_and_b32_e32 v11, 0xffff0000, v11
	s_delay_alu instid0(VALU_DEP_1) | instskip(NEXT) | instid1(VALU_DEP_1)
	v_add_f32_e32 v11, v14, v11
	v_dual_add_f32 v10, v10, v11 :: v_dual_lshlrev_b32 v11, 16, v12
	v_and_b32_e32 v12, 0xffff0000, v12
	s_delay_alu instid0(VALU_DEP_1) | instskip(SKIP_1) | instid1(VALU_DEP_2)
	v_add_f32_e32 v11, v11, v12
	v_and_b32_e32 v12, 0xffff0000, v13
	v_dual_add_f32 v10, v10, v11 :: v_dual_lshlrev_b32 v11, 16, v13
	v_perm_b32 v13, v107, v106, 0x5040100
	s_delay_alu instid0(VALU_DEP_2) | instskip(SKIP_1) | instid1(VALU_DEP_3)
	v_add_f32_e32 v11, v11, v12
	v_perm_b32 v12, v104, v105, 0x5040100
	v_pk_mul_bf16 v13, v25, v13
	s_delay_alu instid0(VALU_DEP_3) | instskip(SKIP_1) | instid1(VALU_DEP_4)
	v_add_f32_e32 v10, v10, v11
	v_perm_b32 v11, v108, v109, 0x5040100
	v_pk_mul_bf16 v12, v115, v12
	s_delay_alu instid0(VALU_DEP_3)
	v_add_f32_e32 v20, v20, v10
	scratch_store_b64 off, v[36:37], s32 offset:840 ; 8-byte Folded Spill
	v_perm_b32 v10, v110, v111, 0x5040100
	v_pk_mul_bf16 v11, v116, v11
	s_clause 0x1
	scratch_store_b64 off, v[20:21], s32 offset:800
	scratch_load_b64 v[20:21], off, s32 offset:848 th:TH_LOAD_LU
	v_pk_mul_bf16 v10, v45, v10
	s_delay_alu instid0(VALU_DEP_1) | instskip(SKIP_1) | instid1(VALU_DEP_1)
	v_lshlrev_b32_e32 v14, 16, v10
	v_and_b32_e32 v10, 0xffff0000, v10
	v_dual_add_f32 v10, v14, v10 :: v_dual_lshlrev_b32 v14, 16, v11
	v_and_b32_e32 v11, 0xffff0000, v11
	s_delay_alu instid0(VALU_DEP_1) | instskip(NEXT) | instid1(VALU_DEP_1)
	v_add_f32_e32 v11, v14, v11
	v_dual_add_f32 v10, v10, v11 :: v_dual_lshlrev_b32 v11, 16, v12
	v_and_b32_e32 v12, 0xffff0000, v12
	s_delay_alu instid0(VALU_DEP_1) | instskip(SKIP_1) | instid1(VALU_DEP_2)
	v_add_f32_e32 v11, v11, v12
	v_and_b32_e32 v12, 0xffff0000, v13
	v_dual_add_f32 v10, v10, v11 :: v_dual_lshlrev_b32 v11, 16, v13
	v_perm_b32 v13, v92, v90, 0x5040100
	s_delay_alu instid0(VALU_DEP_2) | instskip(SKIP_1) | instid1(VALU_DEP_3)
	v_add_f32_e32 v11, v11, v12
	v_perm_b32 v12, v88, v89, 0x5040100
	v_pk_mul_bf16 v13, v25, v13
	s_delay_alu instid0(VALU_DEP_3) | instskip(SKIP_1) | instid1(VALU_DEP_4)
	v_add_f32_e32 v10, v10, v11
	v_perm_b32 v11, v91, v93, 0x5040100
	v_pk_mul_bf16 v12, v115, v12
	s_delay_alu instid0(VALU_DEP_2) | instskip(SKIP_3) | instid1(VALU_DEP_1)
	v_pk_mul_bf16 v11, v116, v11
	s_wait_loadcnt 0x0
	v_add_f32_e32 v21, v21, v10
	v_perm_b32 v10, v74, v95, 0x5040100
	v_pk_mul_bf16 v10, v45, v10
	s_delay_alu instid0(VALU_DEP_1) | instskip(SKIP_1) | instid1(VALU_DEP_1)
	v_lshlrev_b32_e32 v14, 16, v10
	v_and_b32_e32 v10, 0xffff0000, v10
	v_dual_add_f32 v10, v14, v10 :: v_dual_lshlrev_b32 v14, 16, v11
	v_and_b32_e32 v11, 0xffff0000, v11
	s_delay_alu instid0(VALU_DEP_1) | instskip(NEXT) | instid1(VALU_DEP_1)
	v_add_f32_e32 v11, v14, v11
	v_dual_add_f32 v10, v10, v11 :: v_dual_lshlrev_b32 v11, 16, v12
	v_and_b32_e32 v12, 0xffff0000, v12
	s_delay_alu instid0(VALU_DEP_1) | instskip(SKIP_1) | instid1(VALU_DEP_2)
	v_add_f32_e32 v11, v11, v12
	v_and_b32_e32 v12, 0xffff0000, v13
	v_dual_add_f32 v10, v10, v11 :: v_dual_lshlrev_b32 v11, 16, v13
	v_perm_b32 v13, v75, v72, 0x5040100
	s_delay_alu instid0(VALU_DEP_2) | instskip(SKIP_1) | instid1(VALU_DEP_3)
	v_add_f32_e32 v11, v11, v12
	v_perm_b32 v12, v123, v73, 0x5040100
	v_pk_mul_bf16 v13, v25, v13
	s_delay_alu instid0(VALU_DEP_3) | instskip(SKIP_1) | instid1(VALU_DEP_4)
	v_add_f32_e32 v10, v10, v11
	v_perm_b32 v11, v76, v77, 0x5040100
	v_pk_mul_bf16 v12, v115, v12
	s_delay_alu instid0(VALU_DEP_3) | instskip(SKIP_1) | instid1(VALU_DEP_4)
	v_add_f32_e32 v20, v20, v10
	v_perm_b32 v10, v78, v79, 0x5040100
	v_pk_mul_bf16 v11, v116, v11
	s_clause 0x1
	scratch_store_b64 off, v[20:21], s32 offset:848
	scratch_load_b64 v[20:21], off, s32 offset:856 th:TH_LOAD_LU
	v_pk_mul_bf16 v10, v45, v10
	s_delay_alu instid0(VALU_DEP_1) | instskip(SKIP_1) | instid1(VALU_DEP_1)
	v_lshlrev_b32_e32 v14, 16, v10
	v_and_b32_e32 v10, 0xffff0000, v10
	v_dual_add_f32 v10, v14, v10 :: v_dual_lshlrev_b32 v14, 16, v11
	v_and_b32_e32 v11, 0xffff0000, v11
	s_delay_alu instid0(VALU_DEP_1) | instskip(NEXT) | instid1(VALU_DEP_1)
	v_add_f32_e32 v11, v14, v11
	v_dual_add_f32 v10, v10, v11 :: v_dual_lshlrev_b32 v11, 16, v12
	v_and_b32_e32 v12, 0xffff0000, v12
	s_delay_alu instid0(VALU_DEP_1) | instskip(SKIP_1) | instid1(VALU_DEP_2)
	v_add_f32_e32 v11, v11, v12
	v_and_b32_e32 v12, 0xffff0000, v13
	v_dual_add_f32 v10, v10, v11 :: v_dual_lshlrev_b32 v11, 16, v13
	v_perm_b32 v13, v60, v43, 0x5040100
	s_delay_alu instid0(VALU_DEP_2) | instskip(SKIP_1) | instid1(VALU_DEP_3)
	v_add_f32_e32 v11, v11, v12
	v_perm_b32 v12, v42, v56, 0x5040100
	v_pk_mul_bf16 v13, v25, v13
	s_delay_alu instid0(VALU_DEP_3) | instskip(SKIP_1) | instid1(VALU_DEP_4)
	v_add_f32_e32 v10, v10, v11
	v_perm_b32 v11, v44, v61, 0x5040100
	v_pk_mul_bf16 v12, v115, v12
	s_delay_alu instid0(VALU_DEP_2) | instskip(SKIP_3) | instid1(VALU_DEP_1)
	v_pk_mul_bf16 v11, v116, v11
	s_wait_loadcnt 0x0
	v_add_f32_e32 v21, v21, v10
	v_perm_b32 v10, v47, v63, 0x5040100
	v_pk_mul_bf16 v10, v45, v10
	s_delay_alu instid0(VALU_DEP_1) | instskip(SKIP_1) | instid1(VALU_DEP_1)
	v_lshlrev_b32_e32 v14, 16, v10
	v_and_b32_e32 v10, 0xffff0000, v10
	v_dual_add_f32 v10, v14, v10 :: v_dual_lshlrev_b32 v14, 16, v11
	v_and_b32_e32 v11, 0xffff0000, v11
	s_delay_alu instid0(VALU_DEP_1) | instskip(NEXT) | instid1(VALU_DEP_1)
	v_add_f32_e32 v11, v14, v11
	v_dual_add_f32 v10, v10, v11 :: v_dual_lshlrev_b32 v11, 16, v12
	v_and_b32_e32 v12, 0xffff0000, v12
	s_delay_alu instid0(VALU_DEP_1) | instskip(SKIP_1) | instid1(VALU_DEP_2)
	v_add_f32_e32 v11, v11, v12
	v_and_b32_e32 v12, 0xffff0000, v13
	v_dual_add_f32 v10, v10, v11 :: v_dual_lshlrev_b32 v11, 16, v13
	s_delay_alu instid0(VALU_DEP_1) | instskip(NEXT) | instid1(VALU_DEP_1)
	v_add_f32_e32 v11, v11, v12
	v_add_f32_e32 v10, v10, v11
	s_delay_alu instid0(VALU_DEP_1) | instskip(SKIP_1) | instid1(VALU_DEP_1)
	v_add_f32_e32 v20, v20, v10
	v_perm_b32 v10, v62, v40, 0x5040100
	v_pk_mul_bf16 v10, v45, v10
	s_delay_alu instid0(VALU_DEP_1) | instskip(SKIP_1) | instid1(VALU_DEP_1)
	v_lshlrev_b32_e32 v8, 16, v10
	v_and_b32_e32 v10, 0xffff0000, v10
	v_dual_add_f32 v8, v8, v10 :: v_dual_lshlrev_b32 v10, 16, v9
	v_and_b32_e32 v9, 0xffff0000, v9
	s_delay_alu instid0(VALU_DEP_1) | instskip(NEXT) | instid1(VALU_DEP_1)
	v_add_f32_e32 v9, v10, v9
	v_dual_add_f32 v8, v8, v9 :: v_dual_lshlrev_b32 v9, 16, v6
	v_and_b32_e32 v6, 0xffff0000, v6
	s_delay_alu instid0(VALU_DEP_1) | instskip(NEXT) | instid1(VALU_DEP_1)
	v_add_f32_e32 v6, v9, v6
	v_dual_add_f32 v6, v8, v6 :: v_dual_lshlrev_b32 v8, 16, v7
	v_and_b32_e32 v7, 0xffff0000, v7
	s_delay_alu instid0(VALU_DEP_1) | instskip(SKIP_3) | instid1(VALU_DEP_1)
	v_add_f32_e32 v7, v8, v7
	scratch_load_b64 v[8:9], off, s32 offset:808 th:TH_LOAD_LU ; 8-byte Folded Reload
	v_add_f32_e32 v6, v6, v7
	s_wait_loadcnt 0x0
	v_dual_add_f32 v9, v9, v6 :: v_dual_lshlrev_b32 v6, 16, v4
	v_and_b32_e32 v4, 0xffff0000, v4
	s_delay_alu instid0(VALU_DEP_1) | instskip(SKIP_1) | instid1(VALU_DEP_1)
	v_dual_add_f32 v4, v6, v4 :: v_dual_lshlrev_b32 v6, 16, v2
	v_and_b32_e32 v2, 0xffff0000, v2
	v_add_f32_e32 v2, v6, v2
	s_delay_alu instid0(VALU_DEP_1) | instskip(SKIP_1) | instid1(VALU_DEP_1)
	v_dual_add_f32 v2, v4, v2 :: v_dual_lshlrev_b32 v4, 16, v3
	v_and_b32_e32 v3, 0xffff0000, v3
	v_add_f32_e32 v3, v4, v3
	v_and_b32_e32 v4, 0xffff0000, v5
	s_delay_alu instid0(VALU_DEP_2) | instskip(SKIP_1) | instid1(VALU_DEP_2)
	v_dual_add_f32 v2, v2, v3 :: v_dual_lshlrev_b32 v3, 16, v5
	v_perm_b32 v5, v100, v99, 0x5040100
	v_add_f32_e32 v3, v3, v4
	v_perm_b32 v4, v97, v98, 0x5040100
	s_delay_alu instid0(VALU_DEP_3) | instskip(NEXT) | instid1(VALU_DEP_3)
	v_pk_mul_bf16 v5, v25, v5
	v_add_f32_e32 v2, v2, v3
	v_perm_b32 v3, v101, v102, 0x5040100
	s_delay_alu instid0(VALU_DEP_4) | instskip(NEXT) | instid1(VALU_DEP_3)
	v_pk_mul_bf16 v4, v115, v4
	v_add_f32_e32 v8, v8, v2
	v_perm_b32 v2, v103, v112, 0x5040100
	s_delay_alu instid0(VALU_DEP_4)
	v_pk_mul_bf16 v3, v116, v3
	s_clause 0x1
	scratch_store_b64 off, v[20:21], s32 offset:856
	scratch_store_b64 off, v[8:9], s32 offset:808
	v_pk_mul_bf16 v2, v45, v2
	scratch_load_b64 v[8:9], off, s32 offset:816 th:TH_LOAD_LU ; 8-byte Folded Reload
	v_lshlrev_b32_e32 v6, 16, v2
	v_and_b32_e32 v2, 0xffff0000, v2
	s_delay_alu instid0(VALU_DEP_1) | instskip(SKIP_1) | instid1(VALU_DEP_1)
	v_dual_add_f32 v2, v6, v2 :: v_dual_lshlrev_b32 v6, 16, v3
	v_and_b32_e32 v3, 0xffff0000, v3
	v_add_f32_e32 v3, v6, v3
	s_delay_alu instid0(VALU_DEP_1) | instskip(SKIP_1) | instid1(VALU_DEP_1)
	v_dual_add_f32 v2, v2, v3 :: v_dual_lshlrev_b32 v3, 16, v4
	v_and_b32_e32 v4, 0xffff0000, v4
	v_add_f32_e32 v3, v3, v4
	v_and_b32_e32 v4, 0xffff0000, v5
	s_delay_alu instid0(VALU_DEP_2) | instskip(NEXT) | instid1(VALU_DEP_1)
	v_dual_add_f32 v2, v2, v3 :: v_dual_lshlrev_b32 v3, 16, v5
	v_add_f32_e32 v3, v3, v4
	s_delay_alu instid0(VALU_DEP_1)
	v_add_f32_e32 v2, v2, v3
	s_clause 0x2
	scratch_load_b32 v3, off, s32 offset:792 th:TH_LOAD_LU
	scratch_load_b32 v4, off, s32 offset:764 th:TH_LOAD_LU
	;; [unrolled: 1-line block ×3, first 2 shown]
	s_wait_loadcnt 0x3
	v_add_f32_e32 v9, v9, v2
	v_perm_b32 v2, v87, v96, 0x5040100
	s_delay_alu instid0(VALU_DEP_1)
	v_pk_mul_bf16 v2, v45, v2
	s_wait_loadcnt 0x2
	v_perm_b32 v3, v3, v86, 0x5040100
	s_wait_loadcnt 0x0
	v_perm_b32 v4, v4, v5, 0x5040100
	s_clause 0x1
	scratch_load_b32 v5, off, s32 offset:776 th:TH_LOAD_LU
	scratch_load_b32 v6, off, s32 offset:784 th:TH_LOAD_LU
	v_pk_mul_bf16 v3, v116, v3
	v_pk_mul_bf16 v4, v115, v4
	s_wait_loadcnt 0x0
	v_perm_b32 v5, v6, v5, 0x5040100
	v_lshlrev_b32_e32 v6, 16, v2
	v_and_b32_e32 v2, 0xffff0000, v2
	s_delay_alu instid0(VALU_DEP_3) | instskip(NEXT) | instid1(VALU_DEP_2)
	v_pk_mul_bf16 v5, v25, v5
	v_dual_add_f32 v2, v6, v2 :: v_dual_lshlrev_b32 v6, 16, v3
	v_and_b32_e32 v3, 0xffff0000, v3
	s_delay_alu instid0(VALU_DEP_1) | instskip(NEXT) | instid1(VALU_DEP_1)
	v_add_f32_e32 v3, v6, v3
	v_dual_add_f32 v2, v2, v3 :: v_dual_lshlrev_b32 v3, 16, v4
	v_and_b32_e32 v4, 0xffff0000, v4
	s_delay_alu instid0(VALU_DEP_1) | instskip(SKIP_1) | instid1(VALU_DEP_2)
	v_add_f32_e32 v3, v3, v4
	v_and_b32_e32 v4, 0xffff0000, v5
	v_dual_add_f32 v2, v2, v3 :: v_dual_lshlrev_b32 v3, 16, v5
	s_delay_alu instid0(VALU_DEP_1) | instskip(NEXT) | instid1(VALU_DEP_1)
	v_add_f32_e32 v3, v3, v4
	v_add_f32_e32 v2, v2, v3
	s_delay_alu instid0(VALU_DEP_1)
	v_add_f32_e32 v8, v8, v2
	s_clause 0x2
	scratch_store_b64 off, v[8:9], s32 offset:816
	scratch_load_b32 v2, off, s32 offset:748 th:TH_LOAD_LU
	scratch_load_b32 v3, off, s32 offset:756 th:TH_LOAD_LU
	s_wait_loadcnt 0x0
	v_perm_b32 v2, v2, v3, 0x5040100
	s_clause 0x1
	scratch_load_b32 v3, off, s32 offset:732 th:TH_LOAD_LU
	scratch_load_b32 v4, off, s32 offset:740 th:TH_LOAD_LU
	v_pk_mul_bf16 v2, v45, v2
	s_wait_loadcnt 0x0
	v_perm_b32 v3, v3, v4, 0x5040100
	s_clause 0x1
	scratch_load_b32 v4, off, s32 offset:700 th:TH_LOAD_LU
	scratch_load_b32 v5, off, s32 offset:708 th:TH_LOAD_LU
	v_pk_mul_bf16 v3, v116, v3
	s_wait_loadcnt 0x0
	v_perm_b32 v4, v4, v5, 0x5040100
	s_clause 0x2
	scratch_load_b32 v5, off, s32 offset:716 th:TH_LOAD_LU
	scratch_load_b32 v6, off, s32 offset:724 th:TH_LOAD_LU
	scratch_load_b64 v[8:9], off, s32 offset:872 th:TH_LOAD_LU
	v_pk_mul_bf16 v4, v115, v4
	s_wait_loadcnt 0x1
	v_perm_b32 v5, v6, v5, 0x5040100
	v_lshlrev_b32_e32 v6, 16, v2
	v_and_b32_e32 v2, 0xffff0000, v2
	s_delay_alu instid0(VALU_DEP_3) | instskip(NEXT) | instid1(VALU_DEP_2)
	v_pk_mul_bf16 v5, v25, v5
	v_dual_add_f32 v2, v6, v2 :: v_dual_lshlrev_b32 v6, 16, v3
	v_and_b32_e32 v3, 0xffff0000, v3
	s_delay_alu instid0(VALU_DEP_1) | instskip(NEXT) | instid1(VALU_DEP_1)
	v_add_f32_e32 v3, v6, v3
	v_dual_add_f32 v2, v2, v3 :: v_dual_lshlrev_b32 v3, 16, v4
	v_and_b32_e32 v4, 0xffff0000, v4
	s_delay_alu instid0(VALU_DEP_1) | instskip(SKIP_1) | instid1(VALU_DEP_2)
	v_add_f32_e32 v3, v3, v4
	v_and_b32_e32 v4, 0xffff0000, v5
	v_dual_add_f32 v2, v2, v3 :: v_dual_lshlrev_b32 v3, 16, v5
	s_delay_alu instid0(VALU_DEP_1) | instskip(NEXT) | instid1(VALU_DEP_1)
	v_add_f32_e32 v3, v3, v4
	v_add_f32_e32 v2, v2, v3
	s_wait_loadcnt 0x0
	s_delay_alu instid0(VALU_DEP_1)
	v_add_f32_e32 v9, v9, v2
	s_clause 0x1
	scratch_load_b32 v2, off, s32 offset:684 th:TH_LOAD_LU
	scratch_load_b32 v3, off, s32 offset:692 th:TH_LOAD_LU
	s_wait_loadcnt 0x0
	v_perm_b32 v2, v2, v3, 0x5040100
	s_clause 0x1
	scratch_load_b32 v3, off, s32 offset:668 th:TH_LOAD_LU
	scratch_load_b32 v4, off, s32 offset:676 th:TH_LOAD_LU
	v_pk_mul_bf16 v2, v45, v2
	s_wait_loadcnt 0x0
	v_perm_b32 v3, v3, v4, 0x5040100
	s_clause 0x1
	scratch_load_b32 v4, off, s32 offset:636 th:TH_LOAD_LU
	scratch_load_b32 v5, off, s32 offset:644 th:TH_LOAD_LU
	v_pk_mul_bf16 v3, v116, v3
	;; [unrolled: 6-line block ×3, first 2 shown]
	s_wait_loadcnt 0x0
	v_perm_b32 v5, v6, v5, 0x5040100
	v_lshlrev_b32_e32 v6, 16, v2
	v_and_b32_e32 v2, 0xffff0000, v2
	s_delay_alu instid0(VALU_DEP_3) | instskip(NEXT) | instid1(VALU_DEP_2)
	v_pk_mul_bf16 v5, v25, v5
	v_dual_add_f32 v2, v6, v2 :: v_dual_lshlrev_b32 v6, 16, v3
	v_and_b32_e32 v3, 0xffff0000, v3
	s_delay_alu instid0(VALU_DEP_1) | instskip(NEXT) | instid1(VALU_DEP_1)
	v_add_f32_e32 v3, v6, v3
	v_dual_add_f32 v2, v2, v3 :: v_dual_lshlrev_b32 v3, 16, v4
	v_and_b32_e32 v4, 0xffff0000, v4
	s_delay_alu instid0(VALU_DEP_1) | instskip(SKIP_1) | instid1(VALU_DEP_2)
	v_add_f32_e32 v3, v3, v4
	v_and_b32_e32 v4, 0xffff0000, v5
	v_dual_add_f32 v2, v2, v3 :: v_dual_lshlrev_b32 v3, 16, v5
	s_delay_alu instid0(VALU_DEP_1) | instskip(NEXT) | instid1(VALU_DEP_1)
	v_add_f32_e32 v3, v3, v4
	v_add_f32_e32 v2, v2, v3
	s_delay_alu instid0(VALU_DEP_1)
	v_add_f32_e32 v8, v8, v2
	s_clause 0x2
	scratch_store_b64 off, v[8:9], s32 offset:872
	scratch_load_b32 v2, off, s32 offset:620 th:TH_LOAD_LU
	scratch_load_b32 v3, off, s32 offset:628 th:TH_LOAD_LU
	s_wait_loadcnt 0x0
	v_perm_b32 v2, v2, v3, 0x5040100
	s_clause 0x1
	scratch_load_b32 v3, off, s32 offset:604 th:TH_LOAD_LU
	scratch_load_b32 v4, off, s32 offset:612 th:TH_LOAD_LU
	v_pk_mul_bf16 v2, v45, v2
	s_wait_loadcnt 0x0
	v_perm_b32 v3, v3, v4, 0x5040100
	s_clause 0x1
	scratch_load_b32 v4, off, s32 offset:572 th:TH_LOAD_LU
	scratch_load_b32 v5, off, s32 offset:580 th:TH_LOAD_LU
	v_pk_mul_bf16 v3, v116, v3
	s_wait_loadcnt 0x0
	v_perm_b32 v4, v4, v5, 0x5040100
	s_clause 0x2
	scratch_load_b32 v5, off, s32 offset:588 th:TH_LOAD_LU
	scratch_load_b32 v6, off, s32 offset:596 th:TH_LOAD_LU
	scratch_load_b64 v[8:9], off, s32 offset:864 th:TH_LOAD_LU
	v_pk_mul_bf16 v4, v115, v4
	s_wait_loadcnt 0x1
	v_perm_b32 v5, v6, v5, 0x5040100
	v_lshlrev_b32_e32 v6, 16, v2
	v_and_b32_e32 v2, 0xffff0000, v2
	s_delay_alu instid0(VALU_DEP_3) | instskip(NEXT) | instid1(VALU_DEP_2)
	v_pk_mul_bf16 v5, v25, v5
	v_dual_add_f32 v2, v6, v2 :: v_dual_lshlrev_b32 v6, 16, v3
	v_and_b32_e32 v3, 0xffff0000, v3
	s_delay_alu instid0(VALU_DEP_1) | instskip(NEXT) | instid1(VALU_DEP_1)
	v_add_f32_e32 v3, v6, v3
	v_dual_add_f32 v2, v2, v3 :: v_dual_lshlrev_b32 v3, 16, v4
	v_and_b32_e32 v4, 0xffff0000, v4
	s_delay_alu instid0(VALU_DEP_1) | instskip(SKIP_1) | instid1(VALU_DEP_2)
	v_add_f32_e32 v3, v3, v4
	v_and_b32_e32 v4, 0xffff0000, v5
	v_dual_add_f32 v2, v2, v3 :: v_dual_lshlrev_b32 v3, 16, v5
	s_delay_alu instid0(VALU_DEP_1) | instskip(NEXT) | instid1(VALU_DEP_1)
	v_add_f32_e32 v3, v3, v4
	v_add_f32_e32 v2, v2, v3
	s_wait_loadcnt 0x0
	s_delay_alu instid0(VALU_DEP_1)
	v_add_f32_e32 v9, v9, v2
	s_clause 0x1
	scratch_load_b32 v2, off, s32 offset:556 th:TH_LOAD_LU
	scratch_load_b32 v3, off, s32 offset:564 th:TH_LOAD_LU
	s_wait_loadcnt 0x0
	v_perm_b32 v2, v2, v3, 0x5040100
	s_clause 0x1
	scratch_load_b32 v3, off, s32 offset:548 th:TH_LOAD_LU
	scratch_load_b32 v4, off, s32 offset:552 th:TH_LOAD_LU
	v_pk_mul_bf16 v2, v45, v2
	s_wait_loadcnt 0x0
	v_perm_b32 v3, v3, v4, 0x5040100
	s_clause 0x1
	scratch_load_b32 v4, off, s32 offset:528 th:TH_LOAD_LU
	scratch_load_b32 v5, off, s32 offset:532 th:TH_LOAD_LU
	v_pk_mul_bf16 v3, v116, v3
	;; [unrolled: 6-line block ×3, first 2 shown]
	s_wait_loadcnt 0x0
	v_perm_b32 v5, v6, v5, 0x5040100
	v_lshlrev_b32_e32 v6, 16, v2
	v_and_b32_e32 v2, 0xffff0000, v2
	s_delay_alu instid0(VALU_DEP_3) | instskip(NEXT) | instid1(VALU_DEP_2)
	v_pk_mul_bf16 v5, v25, v5
	v_dual_add_f32 v2, v6, v2 :: v_dual_lshlrev_b32 v6, 16, v3
	v_and_b32_e32 v3, 0xffff0000, v3
	s_delay_alu instid0(VALU_DEP_1) | instskip(NEXT) | instid1(VALU_DEP_1)
	v_add_f32_e32 v3, v6, v3
	v_dual_add_f32 v2, v2, v3 :: v_dual_lshlrev_b32 v3, 16, v4
	v_and_b32_e32 v4, 0xffff0000, v4
	s_delay_alu instid0(VALU_DEP_1) | instskip(SKIP_1) | instid1(VALU_DEP_2)
	v_add_f32_e32 v3, v3, v4
	v_and_b32_e32 v4, 0xffff0000, v5
	v_dual_add_f32 v2, v2, v3 :: v_dual_lshlrev_b32 v3, 16, v5
	s_delay_alu instid0(VALU_DEP_1) | instskip(NEXT) | instid1(VALU_DEP_1)
	v_add_f32_e32 v3, v3, v4
	v_add_f32_e32 v2, v2, v3
	s_delay_alu instid0(VALU_DEP_1)
	v_add_f32_e32 v8, v8, v2
	s_clause 0x2
	scratch_store_b64 off, v[8:9], s32 offset:864
	scratch_load_b32 v2, off, s32 offset:520 th:TH_LOAD_LU
	scratch_load_b32 v3, off, s32 offset:524 th:TH_LOAD_LU
	s_wait_loadcnt 0x0
	v_perm_b32 v2, v2, v3, 0x5040100
	s_clause 0x1
	scratch_load_b32 v3, off, s32 offset:512 th:TH_LOAD_LU
	scratch_load_b32 v4, off, s32 offset:516 th:TH_LOAD_LU
	v_pk_mul_bf16 v2, v45, v2
	s_wait_loadcnt 0x0
	v_perm_b32 v3, v3, v4, 0x5040100
	s_clause 0x1
	scratch_load_b32 v4, off, s32 offset:496 th:TH_LOAD_LU
	scratch_load_b32 v5, off, s32 offset:500 th:TH_LOAD_LU
	v_pk_mul_bf16 v3, v116, v3
	s_wait_loadcnt 0x0
	v_perm_b32 v4, v4, v5, 0x5040100
	s_clause 0x2
	scratch_load_b32 v5, off, s32 offset:504 th:TH_LOAD_LU
	scratch_load_b32 v6, off, s32 offset:508 th:TH_LOAD_LU
	scratch_load_b64 v[8:9], off, s32 offset:888 th:TH_LOAD_LU
	v_pk_mul_bf16 v4, v115, v4
	s_wait_loadcnt 0x1
	v_perm_b32 v5, v6, v5, 0x5040100
	v_lshlrev_b32_e32 v6, 16, v2
	v_and_b32_e32 v2, 0xffff0000, v2
	s_delay_alu instid0(VALU_DEP_3) | instskip(NEXT) | instid1(VALU_DEP_2)
	v_pk_mul_bf16 v5, v25, v5
	v_dual_add_f32 v2, v6, v2 :: v_dual_lshlrev_b32 v6, 16, v3
	v_and_b32_e32 v3, 0xffff0000, v3
	s_delay_alu instid0(VALU_DEP_1) | instskip(NEXT) | instid1(VALU_DEP_1)
	v_add_f32_e32 v3, v6, v3
	v_dual_add_f32 v2, v2, v3 :: v_dual_lshlrev_b32 v3, 16, v4
	v_and_b32_e32 v4, 0xffff0000, v4
	s_delay_alu instid0(VALU_DEP_1) | instskip(SKIP_1) | instid1(VALU_DEP_2)
	v_add_f32_e32 v3, v3, v4
	v_and_b32_e32 v4, 0xffff0000, v5
	v_dual_add_f32 v2, v2, v3 :: v_dual_lshlrev_b32 v3, 16, v5
	s_delay_alu instid0(VALU_DEP_1) | instskip(NEXT) | instid1(VALU_DEP_1)
	v_add_f32_e32 v3, v3, v4
	v_add_f32_e32 v2, v2, v3
	s_wait_loadcnt 0x0
	s_delay_alu instid0(VALU_DEP_1)
	v_add_f32_e32 v9, v9, v2
	s_clause 0x1
	scratch_load_b32 v2, off, s32 offset:480 th:TH_LOAD_LU
	scratch_load_b32 v3, off, s32 offset:488 th:TH_LOAD_LU
	s_wait_loadcnt 0x0
	v_perm_b32 v2, v2, v3, 0x5040100
	s_clause 0x1
	scratch_load_b32 v3, off, s32 offset:472 th:TH_LOAD_LU
	scratch_load_b32 v4, off, s32 offset:476 th:TH_LOAD_LU
	v_pk_mul_bf16 v2, v45, v2
	s_wait_loadcnt 0x0
	v_perm_b32 v3, v3, v4, 0x5040100
	s_clause 0x1
	scratch_load_b32 v4, off, s32 offset:456 th:TH_LOAD_LU
	scratch_load_b32 v5, off, s32 offset:460 th:TH_LOAD_LU
	v_pk_mul_bf16 v3, v116, v3
	;; [unrolled: 6-line block ×3, first 2 shown]
	s_wait_loadcnt 0x0
	v_perm_b32 v5, v6, v5, 0x5040100
	v_lshlrev_b32_e32 v6, 16, v2
	v_and_b32_e32 v2, 0xffff0000, v2
	s_delay_alu instid0(VALU_DEP_3) | instskip(NEXT) | instid1(VALU_DEP_2)
	v_pk_mul_bf16 v5, v25, v5
	v_dual_add_f32 v2, v6, v2 :: v_dual_lshlrev_b32 v6, 16, v3
	v_and_b32_e32 v3, 0xffff0000, v3
	s_delay_alu instid0(VALU_DEP_1) | instskip(NEXT) | instid1(VALU_DEP_1)
	v_add_f32_e32 v3, v6, v3
	v_dual_add_f32 v2, v2, v3 :: v_dual_lshlrev_b32 v3, 16, v4
	v_and_b32_e32 v4, 0xffff0000, v4
	s_delay_alu instid0(VALU_DEP_1) | instskip(SKIP_1) | instid1(VALU_DEP_2)
	v_add_f32_e32 v3, v3, v4
	v_and_b32_e32 v4, 0xffff0000, v5
	v_dual_add_f32 v2, v2, v3 :: v_dual_lshlrev_b32 v3, 16, v5
	s_delay_alu instid0(VALU_DEP_1) | instskip(NEXT) | instid1(VALU_DEP_1)
	v_add_f32_e32 v3, v3, v4
	v_add_f32_e32 v2, v2, v3
	s_delay_alu instid0(VALU_DEP_1)
	v_add_f32_e32 v8, v8, v2
	s_clause 0x2
	scratch_store_b64 off, v[8:9], s32 offset:888
	scratch_load_b32 v2, off, s32 offset:448 th:TH_LOAD_LU
	scratch_load_b32 v3, off, s32 offset:452 th:TH_LOAD_LU
	s_wait_loadcnt 0x0
	v_perm_b32 v2, v2, v3, 0x5040100
	s_clause 0x1
	scratch_load_b32 v3, off, s32 offset:412 th:TH_LOAD_LU
	scratch_load_b32 v4, off, s32 offset:444 th:TH_LOAD_LU
	v_pk_mul_bf16 v2, v45, v2
	s_wait_loadcnt 0x0
	v_perm_b32 v3, v3, v4, 0x5040100
	s_clause 0x3
	scratch_load_b32 v4, off, s32 offset:384 th:TH_LOAD_LU
	scratch_load_b32 v5, off, s32 offset:392 th:TH_LOAD_LU
	;; [unrolled: 1-line block ×3, first 2 shown]
	scratch_load_b64 v[8:9], off, s32 offset:880 th:TH_LOAD_LU
	v_pk_mul_bf16 v3, v116, v3
	s_wait_loadcnt 0x3
	v_perm_b32 v4, v85, v4, 0x5040100
	s_wait_loadcnt 0x1
	v_perm_b32 v5, v6, v5, 0x5040100
	v_lshlrev_b32_e32 v6, 16, v2
	v_and_b32_e32 v2, 0xffff0000, v2
	v_pk_mul_bf16 v4, v115, v4
	s_delay_alu instid0(VALU_DEP_4) | instskip(NEXT) | instid1(VALU_DEP_3)
	v_pk_mul_bf16 v5, v25, v5
	v_dual_add_f32 v2, v6, v2 :: v_dual_lshlrev_b32 v6, 16, v3
	v_and_b32_e32 v3, 0xffff0000, v3
	s_delay_alu instid0(VALU_DEP_1) | instskip(NEXT) | instid1(VALU_DEP_1)
	v_add_f32_e32 v3, v6, v3
	v_dual_add_f32 v2, v2, v3 :: v_dual_lshlrev_b32 v3, 16, v4
	v_and_b32_e32 v4, 0xffff0000, v4
	s_delay_alu instid0(VALU_DEP_1) | instskip(SKIP_1) | instid1(VALU_DEP_2)
	v_add_f32_e32 v3, v3, v4
	v_and_b32_e32 v4, 0xffff0000, v5
	v_dual_add_f32 v2, v2, v3 :: v_dual_lshlrev_b32 v3, 16, v5
	s_delay_alu instid0(VALU_DEP_1) | instskip(NEXT) | instid1(VALU_DEP_1)
	v_add_f32_e32 v3, v3, v4
	v_add_f32_e32 v2, v2, v3
	s_wait_loadcnt 0x0
	s_delay_alu instid0(VALU_DEP_1)
	v_add_f32_e32 v9, v9, v2
	s_clause 0x1
	scratch_load_b32 v2, off, s32 offset:368 th:TH_LOAD_LU
	scratch_load_b32 v3, off, s32 offset:376 th:TH_LOAD_LU
	s_wait_loadcnt 0x0
	v_perm_b32 v2, v2, v3, 0x5040100
	s_clause 0x1
	scratch_load_b32 v3, off, s32 offset:352 th:TH_LOAD_LU
	scratch_load_b32 v4, off, s32 offset:360 th:TH_LOAD_LU
	v_pk_mul_bf16 v2, v45, v2
	s_wait_loadcnt 0x0
	v_perm_b32 v3, v3, v4, 0x5040100
	s_clause 0x1
	scratch_load_b32 v4, off, s32 offset:320 th:TH_LOAD_LU
	scratch_load_b32 v5, off, s32 offset:328 th:TH_LOAD_LU
	v_pk_mul_bf16 v3, v116, v3
	;; [unrolled: 6-line block ×3, first 2 shown]
	s_wait_loadcnt 0x0
	v_perm_b32 v5, v6, v5, 0x5040100
	v_lshlrev_b32_e32 v6, 16, v2
	v_and_b32_e32 v2, 0xffff0000, v2
	s_delay_alu instid0(VALU_DEP_3) | instskip(NEXT) | instid1(VALU_DEP_2)
	v_pk_mul_bf16 v5, v25, v5
	v_dual_add_f32 v2, v6, v2 :: v_dual_lshlrev_b32 v6, 16, v3
	v_and_b32_e32 v3, 0xffff0000, v3
	s_delay_alu instid0(VALU_DEP_1) | instskip(NEXT) | instid1(VALU_DEP_1)
	v_add_f32_e32 v3, v6, v3
	v_dual_add_f32 v2, v2, v3 :: v_dual_lshlrev_b32 v3, 16, v4
	v_and_b32_e32 v4, 0xffff0000, v4
	s_delay_alu instid0(VALU_DEP_1) | instskip(SKIP_1) | instid1(VALU_DEP_2)
	v_add_f32_e32 v3, v3, v4
	v_and_b32_e32 v4, 0xffff0000, v5
	v_dual_add_f32 v2, v2, v3 :: v_dual_lshlrev_b32 v3, 16, v5
	s_delay_alu instid0(VALU_DEP_1) | instskip(NEXT) | instid1(VALU_DEP_1)
	v_add_f32_e32 v3, v3, v4
	v_add_f32_e32 v2, v2, v3
	s_delay_alu instid0(VALU_DEP_1)
	v_add_f32_e32 v8, v8, v2
	s_clause 0x2
	scratch_store_b64 off, v[8:9], s32 offset:880
	scratch_load_b32 v2, off, s32 offset:304 th:TH_LOAD_LU
	scratch_load_b32 v3, off, s32 offset:312 th:TH_LOAD_LU
	s_wait_loadcnt 0x0
	v_perm_b32 v2, v2, v3, 0x5040100
	s_clause 0x1
	scratch_load_b32 v3, off, s32 offset:288 th:TH_LOAD_LU
	scratch_load_b32 v4, off, s32 offset:296 th:TH_LOAD_LU
	v_pk_mul_bf16 v2, v45, v2
	s_wait_loadcnt 0x0
	v_perm_b32 v3, v3, v4, 0x5040100
	s_clause 0x1
	scratch_load_b32 v4, off, s32 offset:256 th:TH_LOAD_LU
	scratch_load_b32 v5, off, s32 offset:264 th:TH_LOAD_LU
	v_pk_mul_bf16 v3, v116, v3
	s_wait_loadcnt 0x0
	v_perm_b32 v4, v4, v5, 0x5040100
	s_clause 0x2
	scratch_load_b32 v5, off, s32 offset:272 th:TH_LOAD_LU
	scratch_load_b32 v6, off, s32 offset:280 th:TH_LOAD_LU
	scratch_load_b64 v[8:9], off, s32 offset:896 th:TH_LOAD_LU
	v_pk_mul_bf16 v4, v115, v4
	s_wait_loadcnt 0x1
	v_perm_b32 v5, v6, v5, 0x5040100
	v_lshlrev_b32_e32 v6, 16, v2
	v_and_b32_e32 v2, 0xffff0000, v2
	s_delay_alu instid0(VALU_DEP_3) | instskip(NEXT) | instid1(VALU_DEP_2)
	v_pk_mul_bf16 v5, v25, v5
	v_dual_add_f32 v2, v6, v2 :: v_dual_lshlrev_b32 v6, 16, v3
	v_and_b32_e32 v3, 0xffff0000, v3
	s_delay_alu instid0(VALU_DEP_1) | instskip(NEXT) | instid1(VALU_DEP_1)
	v_add_f32_e32 v3, v6, v3
	v_dual_add_f32 v2, v2, v3 :: v_dual_lshlrev_b32 v3, 16, v4
	v_and_b32_e32 v4, 0xffff0000, v4
	s_delay_alu instid0(VALU_DEP_1) | instskip(SKIP_1) | instid1(VALU_DEP_2)
	v_add_f32_e32 v3, v3, v4
	v_and_b32_e32 v4, 0xffff0000, v5
	v_dual_add_f32 v2, v2, v3 :: v_dual_lshlrev_b32 v3, 16, v5
	s_delay_alu instid0(VALU_DEP_1) | instskip(NEXT) | instid1(VALU_DEP_1)
	v_add_f32_e32 v3, v3, v4
	v_add_f32_e32 v2, v2, v3
	s_wait_loadcnt 0x0
	s_delay_alu instid0(VALU_DEP_1)
	v_add_f32_e32 v9, v9, v2
	s_clause 0x1
	scratch_load_b32 v2, off, s32 offset:240 th:TH_LOAD_LU
	scratch_load_b32 v3, off, s32 offset:248 th:TH_LOAD_LU
	s_wait_loadcnt 0x0
	v_perm_b32 v2, v2, v3, 0x5040100
	s_clause 0x1
	scratch_load_b32 v3, off, s32 offset:224 th:TH_LOAD_LU
	scratch_load_b32 v4, off, s32 offset:232 th:TH_LOAD_LU
	v_pk_mul_bf16 v2, v45, v2
	s_wait_loadcnt 0x0
	v_perm_b32 v3, v3, v4, 0x5040100
	s_clause 0x1
	scratch_load_b32 v4, off, s32 offset:192 th:TH_LOAD_LU
	scratch_load_b32 v5, off, s32 offset:200 th:TH_LOAD_LU
	v_pk_mul_bf16 v3, v116, v3
	;; [unrolled: 6-line block ×3, first 2 shown]
	s_wait_loadcnt 0x0
	v_perm_b32 v5, v6, v5, 0x5040100
	v_lshlrev_b32_e32 v6, 16, v2
	v_and_b32_e32 v2, 0xffff0000, v2
	s_delay_alu instid0(VALU_DEP_3) | instskip(NEXT) | instid1(VALU_DEP_2)
	v_pk_mul_bf16 v5, v25, v5
	v_dual_add_f32 v2, v6, v2 :: v_dual_lshlrev_b32 v6, 16, v3
	v_and_b32_e32 v3, 0xffff0000, v3
	s_delay_alu instid0(VALU_DEP_1) | instskip(NEXT) | instid1(VALU_DEP_1)
	v_add_f32_e32 v3, v6, v3
	v_dual_add_f32 v2, v2, v3 :: v_dual_lshlrev_b32 v3, 16, v4
	v_and_b32_e32 v4, 0xffff0000, v4
	s_delay_alu instid0(VALU_DEP_1) | instskip(SKIP_1) | instid1(VALU_DEP_2)
	v_add_f32_e32 v3, v3, v4
	v_and_b32_e32 v4, 0xffff0000, v5
	v_dual_add_f32 v2, v2, v3 :: v_dual_lshlrev_b32 v3, 16, v5
	v_pk_mul_bf16 v5, v25, v0
	s_delay_alu instid0(VALU_DEP_2) | instskip(SKIP_1) | instid1(VALU_DEP_2)
	v_add_f32_e32 v3, v3, v4
	v_pk_mul_bf16 v4, v115, v1
	v_add_f32_e32 v2, v2, v3
	v_perm_b32 v3, v18, v19, 0x5040100
	s_delay_alu instid0(VALU_DEP_1) | instskip(NEXT) | instid1(VALU_DEP_1)
	v_pk_mul_bf16 v3, v116, v3
	v_and_b32_e32 v1, 0xffff0000, v3
	s_delay_alu instid0(VALU_DEP_4) | instskip(SKIP_1) | instid1(VALU_DEP_1)
	v_dual_add_f32 v8, v8, v2 :: v_dual_lshlrev_b32 v3, 16, v3
	v_perm_b32 v2, v26, v24, 0x5040100
	v_pk_mul_bf16 v2, v45, v2
	s_delay_alu instid0(VALU_DEP_1) | instskip(SKIP_1) | instid1(VALU_DEP_1)
	v_and_b32_e32 v0, 0xffff0000, v2
	v_lshlrev_b32_e32 v2, 16, v2
	v_pk_add_f32 v[0:1], v[2:3], v[0:1]
	v_and_b32_e32 v2, 0xffff0000, v4
	v_lshlrev_b32_e32 v4, 16, v4
	v_and_b32_e32 v3, 0xffff0000, v5
	v_lshlrev_b32_e32 v5, 16, v5
	v_add_f32_e32 v0, v0, v1
	s_delay_alu instid0(VALU_DEP_2) | instskip(NEXT) | instid1(VALU_DEP_1)
	v_pk_add_f32 v[2:3], v[4:5], v[2:3]
	v_add_f32_e32 v0, v0, v2
	s_delay_alu instid0(VALU_DEP_1) | instskip(NEXT) | instid1(VALU_DEP_1)
	v_add_f32_e32 v0, v0, v3
	v_add_f32_e32 v55, v55, v0
	s_clause 0x1
	scratch_store_b64 off, v[8:9], s32 offset:896
	scratch_store_b64 off, v[54:55], s32 offset:832
.LBB355_1580:                           ;   in Loop: Header=BB355_1581 Depth=1
	s_wait_xcnt 0x0
	s_or_b32 exec_lo, exec_lo, s9
	scratch_load_b32 v0, off, s32 offset:408 ; 4-byte Folded Reload
	v_add_nc_u32_e32 v52, 4, v52
	s_wait_loadcnt 0x0
	s_delay_alu instid0(VALU_DEP_1)
	v_cmp_ge_i32_e32 vcc_lo, v52, v0
	s_or_b32 s8, vcc_lo, s8
	s_wait_xcnt 0x0
	s_and_not1_b32 exec_lo, exec_lo, s8
	s_cbranch_execz .LBB355_3166
.LBB355_1581:                           ; =>This Inner Loop Header: Depth=1
	s_clause 0x1
	scratch_load_b64 v[0:1], off, s32 offset:424
	scratch_load_b32 v4, off, s32 offset:420
	v_lshlrev_b32_e32 v26, 5, v52
	s_wait_loadcnt 0x1
	s_delay_alu instid0(VALU_DEP_1) | instskip(SKIP_1) | instid1(VALU_DEP_1)
	v_mul_u64_e32 v[0:1], v[26:27], v[0:1]
	s_wait_loadcnt 0x0
	v_mul_lo_u32 v0, v1, v4
	s_delay_alu instid0(VALU_DEP_1) | instskip(NEXT) | instid1(VALU_DEP_1)
	v_dual_add_nc_u32 v2, 1, v1 :: v_dual_sub_nc_u32 v0, v26, v0
	v_cmp_ge_u32_e32 vcc_lo, v0, v4
	s_delay_alu instid0(VALU_DEP_2) | instskip(NEXT) | instid1(VALU_DEP_1)
	v_dual_cndmask_b32 v1, v1, v2, vcc_lo :: v_dual_sub_nc_u32 v3, v0, v4
	v_dual_add_nc_u32 v2, 1, v1 :: v_dual_cndmask_b32 v0, v0, v3, vcc_lo
	s_delay_alu instid0(VALU_DEP_1) | instskip(NEXT) | instid1(VALU_DEP_2)
	v_cmp_ge_u32_e32 vcc_lo, v0, v4
	v_cndmask_b32_e32 v0, v1, v2, vcc_lo
	s_clause 0x1
	scratch_load_b32 v1, off, s32 offset:432
	scratch_load_b64 v[2:3], off, s32 offset:904
	s_wait_loadcnt 0x1
	v_xor_b32_e32 v0, v0, v1
	s_delay_alu instid0(VALU_DEP_1) | instskip(SKIP_3) | instid1(VALU_DEP_1)
	v_sub_nc_u32_e32 v4, v0, v1
	scratch_load_b32 v0, off, s32 offset:436 ; 4-byte Folded Reload
	s_wait_loadcnt 0x0
	v_dual_mov_b32 v1, v27 :: v_dual_add_nc_u32 v5, v4, v0
	v_sub_nc_u32_e32 v0, 0, v5
	s_delay_alu instid0(VALU_DEP_1) | instskip(NEXT) | instid1(VALU_DEP_1)
	v_max_i32_e32 v0, v5, v0
	v_mul_u64_e32 v[2:3], v[0:1], v[2:3]
	v_ashrrev_i32_e32 v2, 31, v5
	s_delay_alu instid0(VALU_DEP_2) | instskip(NEXT) | instid1(VALU_DEP_1)
	v_mul_lo_u32 v1, v3, v23
	v_sub_nc_u32_e32 v0, v0, v1
	s_delay_alu instid0(VALU_DEP_1) | instskip(SKIP_1) | instid1(VALU_DEP_2)
	v_sub_nc_u32_e32 v1, v0, v23
	v_cmp_ge_u32_e32 vcc_lo, v0, v23
	v_cndmask_b32_e32 v0, v0, v1, vcc_lo
	s_delay_alu instid0(VALU_DEP_1) | instskip(SKIP_1) | instid1(VALU_DEP_2)
	v_sub_nc_u32_e32 v1, v0, v23
	v_cmp_ge_u32_e32 vcc_lo, v0, v23
	v_cndmask_b32_e32 v0, v0, v1, vcc_lo
	s_delay_alu instid0(VALU_DEP_1) | instskip(NEXT) | instid1(VALU_DEP_1)
	v_xor_b32_e32 v0, v0, v2
	v_sub_nc_u32_e32 v0, v0, v2
	s_delay_alu instid0(VALU_DEP_1)
	v_cmp_eq_u32_e32 vcc_lo, 0, v0
	scratch_load_b32 v0, off, s32 offset:440 ; 4-byte Folded Reload
	s_wait_loadcnt 0x0
	v_cmp_gt_i32_e64 s0, v4, v0
	s_or_b32 s0, vcc_lo, s0
	s_wait_xcnt 0x0
	s_and_saveexec_b32 s9, s0
	s_cbranch_execz .LBB355_1580
; %bb.1582:                             ;   in Loop: Header=BB355_1581 Depth=1
	scratch_load_b64 v[0:1], off, s32 offset:960 ; 8-byte Folded Reload
	v_dual_mov_b32 v53, v27 :: v_dual_bitop2_b32 v115, v26, v84 bitop3:0x54
	s_wait_loadcnt 0x0
	s_delay_alu instid0(VALU_DEP_1)
	v_lshl_add_u64 v[0:1], v[52:53], 2, v[0:1]
	flat_load_b32 v0, v[0:1]
	s_clause 0x1
	scratch_load_b64 v[2:3], off, s32 offset:824
	scratch_load_b64 v[4:5], off, s32 offset:968
	s_wait_loadcnt_dscnt 0x0
	s_wait_xcnt 0x2
	v_mad_nc_i64_i32 v[0:1], v0, v2, v[4:5]
	flat_load_b64 v[16:17], v[0:1]
	scratch_load_b64 v[2:3], off, s32 offset:952 ; 8-byte Folded Reload
	s_load_b32 s0, s[6:7], 0x0
	s_wait_loadcnt 0x0
	flat_load_b32 v116, v[2:3]
	s_wait_kmcnt 0x0
	v_lshl_add_u32 v2, v115, 2, s0
	s_mov_b32 s0, exec_lo
	ds_load_2addr_b64 v[4:7], v2 offset1:1
	s_wait_dscnt 0x0
	scratch_store_b128 off, v[4:7], s32 offset:928 ; 16-byte Folded Spill
	s_wait_xcnt 0x0
	ds_load_2addr_b64 v[2:5], v2 offset0:2 offset1:3
	s_wait_dscnt 0x0
	scratch_store_b128 off, v[2:5], s32 offset:912 ; 16-byte Folded Spill
	s_wait_xcnt 0x0
	v_and_b32_e32 v4, 0xff, v16
	v_dual_mov_b32 v3, 0 :: v_dual_mov_b32 v2, 0
	s_delay_alu instid0(VALU_DEP_2)
	v_cmpx_ne_u16_e32 0, v4
	s_cbranch_execz .LBB355_1590
; %bb.1583:                             ;   in Loop: Header=BB355_1581 Depth=1
	v_bfrev_b32_e32 v2, 1
	s_mov_b32 s14, exec_lo
	v_cmpx_ne_u16_e32 0x80, v4
	s_cbranch_execz .LBB355_1589
; %bb.1584:                             ;   in Loop: Header=BB355_1581 Depth=1
	v_and_b32_e32 v4, 0x7f, v16
	v_mov_b32_e32 v2, 0x7f800001
	s_mov_b32 s15, exec_lo
	s_delay_alu instid0(VALU_DEP_2)
	v_cmpx_ne_u32_e32 0x7f, v4
	s_cbranch_execz .LBB355_1588
; %bb.1585:                             ;   in Loop: Header=BB355_1581 Depth=1
	v_mov_b64_e32 v[18:19], v[16:17]
	v_lshrrev_b32_e32 v2, 3, v4
	s_mov_b32 s16, exec_lo
	v_cmpx_gt_u32_e32 8, v4
; %bb.1586:                             ;   in Loop: Header=BB355_1581 Depth=1
	v_and_b32_e32 v2, 7, v16
	s_delay_alu instid0(VALU_DEP_1) | instskip(NEXT) | instid1(VALU_DEP_1)
	v_clz_i32_u32_e32 v2, v2
	v_min_u32_e32 v2, 32, v2
	s_delay_alu instid0(VALU_DEP_1) | instskip(SKIP_1) | instid1(VALU_DEP_2)
	v_subrev_nc_u32_e32 v4, 28, v2
	v_sub_nc_u32_e32 v2, 29, v2
	v_lshlrev_b64_e32 v[18:19], v4, v[16:17]
; %bb.1587:                             ;   in Loop: Header=BB355_1581 Depth=1
	s_or_b32 exec_lo, exec_lo, s16
	s_delay_alu instid0(VALU_DEP_1) | instskip(NEXT) | instid1(VALU_DEP_3)
	v_dual_lshlrev_b32 v4, 20, v18 :: v_dual_lshlrev_b32 v5, 24, v16
	v_lshl_add_u32 v2, v2, 23, 0x3c000000
	s_delay_alu instid0(VALU_DEP_2) | instskip(NEXT) | instid1(VALU_DEP_3)
	v_and_b32_e32 v4, 0x700000, v4
	v_and_b32_e32 v5, 0x80000000, v5
	s_delay_alu instid0(VALU_DEP_1)
	v_or3_b32 v2, v4, v5, v2
.LBB355_1588:                           ;   in Loop: Header=BB355_1581 Depth=1
	s_or_b32 exec_lo, exec_lo, s15
.LBB355_1589:                           ;   in Loop: Header=BB355_1581 Depth=1
	s_delay_alu instid0(SALU_CYCLE_1)
	s_or_b32 exec_lo, exec_lo, s14
.LBB355_1590:                           ;   in Loop: Header=BB355_1581 Depth=1
	s_delay_alu instid0(SALU_CYCLE_1) | instskip(SKIP_2) | instid1(VALU_DEP_1)
	s_or_b32 exec_lo, exec_lo, s0
	v_lshrrev_b16 v4, 8, v16
	s_mov_b32 s0, exec_lo
	v_cmpx_ne_u16_e32 0, v4
	s_cbranch_execz .LBB355_1598
; %bb.1591:                             ;   in Loop: Header=BB355_1581 Depth=1
	v_bfrev_b32_e32 v3, 1
	s_mov_b32 s14, exec_lo
	v_cmpx_ne_u16_e32 0x80, v4
	s_cbranch_execz .LBB355_1597
; %bb.1592:                             ;   in Loop: Header=BB355_1581 Depth=1
	v_and_b32_e32 v5, 0xffff, v4
	v_mov_b32_e32 v3, 0x7f800001
	s_mov_b32 s15, exec_lo
	s_delay_alu instid0(VALU_DEP_2) | instskip(NEXT) | instid1(VALU_DEP_1)
	v_and_b32_e32 v4, 0x7f, v5
	v_cmpx_ne_u32_e32 0x7f, v4
	s_cbranch_execz .LBB355_1596
; %bb.1593:                             ;   in Loop: Header=BB355_1581 Depth=1
	v_dual_lshrrev_b32 v3, 3, v4 :: v_dual_bitop2_b32 v26, 7, v5 bitop3:0x40
	s_mov_b32 s16, exec_lo
	s_delay_alu instid0(VALU_DEP_1)
	v_mov_b64_e32 v[18:19], v[26:27]
	v_cmpx_gt_u32_e32 8, v4
; %bb.1594:                             ;   in Loop: Header=BB355_1581 Depth=1
	v_clz_i32_u32_e32 v3, v26
	s_delay_alu instid0(VALU_DEP_1) | instskip(NEXT) | instid1(VALU_DEP_1)
	v_min_u32_e32 v3, 32, v3
	v_subrev_nc_u32_e32 v4, 28, v3
	s_delay_alu instid0(VALU_DEP_1) | instskip(NEXT) | instid1(VALU_DEP_1)
	v_lshlrev_b64_e32 v[4:5], v4, v[26:27]
	v_dual_sub_nc_u32 v3, 29, v3 :: v_dual_bitop2_b32 v18, 7, v4 bitop3:0x40
; %bb.1595:                             ;   in Loop: Header=BB355_1581 Depth=1
	s_or_b32 exec_lo, exec_lo, s16
	s_delay_alu instid0(VALU_DEP_1) | instskip(NEXT) | instid1(VALU_DEP_2)
	v_dual_lshlrev_b32 v4, 16, v16 :: v_dual_lshlrev_b32 v5, 20, v18
	v_lshl_add_u32 v3, v3, 23, 0x3c000000
	s_delay_alu instid0(VALU_DEP_2) | instskip(NEXT) | instid1(VALU_DEP_1)
	v_and_b32_e32 v4, 0x80000000, v4
	v_or3_b32 v3, v5, v4, v3
.LBB355_1596:                           ;   in Loop: Header=BB355_1581 Depth=1
	s_or_b32 exec_lo, exec_lo, s15
.LBB355_1597:                           ;   in Loop: Header=BB355_1581 Depth=1
	s_delay_alu instid0(SALU_CYCLE_1)
	s_or_b32 exec_lo, exec_lo, s14
.LBB355_1598:                           ;   in Loop: Header=BB355_1581 Depth=1
	s_delay_alu instid0(SALU_CYCLE_1) | instskip(SKIP_3) | instid1(VALU_DEP_2)
	s_or_b32 exec_lo, exec_lo, s0
	v_dual_mov_b32 v5, 0 :: v_dual_lshrrev_b32 v6, 16, v16
	v_mov_b32_e32 v4, 0
	s_mov_b32 s0, exec_lo
	v_and_b32_e32 v7, 0xff, v6
	s_delay_alu instid0(VALU_DEP_1)
	v_cmpx_ne_u16_e32 0, v7
	s_cbranch_execz .LBB355_1606
; %bb.1599:                             ;   in Loop: Header=BB355_1581 Depth=1
	v_bfrev_b32_e32 v4, 1
	s_mov_b32 s14, exec_lo
	v_cmpx_ne_u16_e32 0x80, v7
	s_cbranch_execz .LBB355_1605
; %bb.1600:                             ;   in Loop: Header=BB355_1581 Depth=1
	v_bfe_u32 v7, v16, 16, 7
	v_mov_b32_e32 v4, 0x7f800001
	s_mov_b32 s15, exec_lo
	s_delay_alu instid0(VALU_DEP_2)
	v_cmpx_ne_u32_e32 0x7f, v7
	s_cbranch_execz .LBB355_1604
; %bb.1601:                             ;   in Loop: Header=BB355_1581 Depth=1
	v_dual_lshrrev_b32 v4, 3, v7 :: v_dual_bitop2_b32 v26, 7, v6 bitop3:0x40
	s_mov_b32 s16, exec_lo
	s_delay_alu instid0(VALU_DEP_1)
	v_mov_b64_e32 v[18:19], v[26:27]
	v_cmpx_gt_u32_e32 8, v7
; %bb.1602:                             ;   in Loop: Header=BB355_1581 Depth=1
	v_clz_i32_u32_e32 v4, v26
	s_delay_alu instid0(VALU_DEP_1) | instskip(NEXT) | instid1(VALU_DEP_1)
	v_min_u32_e32 v4, 32, v4
	v_subrev_nc_u32_e32 v7, 28, v4
	v_sub_nc_u32_e32 v4, 29, v4
	s_delay_alu instid0(VALU_DEP_2) | instskip(NEXT) | instid1(VALU_DEP_1)
	v_lshlrev_b64_e32 v[8:9], v7, v[26:27]
	v_and_b32_e32 v18, 7, v8
; %bb.1603:                             ;   in Loop: Header=BB355_1581 Depth=1
	s_or_b32 exec_lo, exec_lo, s16
	v_lshlrev_b32_e32 v6, 24, v6
	s_delay_alu instid0(VALU_DEP_2) | instskip(SKIP_1) | instid1(VALU_DEP_3)
	v_lshlrev_b32_e32 v7, 20, v18
	v_lshl_add_u32 v4, v4, 23, 0x3c000000
	v_and_b32_e32 v6, 0x80000000, v6
	s_delay_alu instid0(VALU_DEP_1)
	v_or3_b32 v4, v7, v6, v4
.LBB355_1604:                           ;   in Loop: Header=BB355_1581 Depth=1
	s_or_b32 exec_lo, exec_lo, s15
.LBB355_1605:                           ;   in Loop: Header=BB355_1581 Depth=1
	s_delay_alu instid0(SALU_CYCLE_1)
	s_or_b32 exec_lo, exec_lo, s14
.LBB355_1606:                           ;   in Loop: Header=BB355_1581 Depth=1
	s_delay_alu instid0(SALU_CYCLE_1) | instskip(NEXT) | instid1(SALU_CYCLE_1)
	s_or_b32 exec_lo, exec_lo, s0
	s_mov_b32 s0, exec_lo
	v_cmpx_lt_u32_e32 0xffffff, v16
	s_cbranch_execz .LBB355_1614
; %bb.1607:                             ;   in Loop: Header=BB355_1581 Depth=1
	v_lshrrev_b32_e32 v6, 24, v16
	v_bfrev_b32_e32 v5, 1
	s_mov_b32 s14, exec_lo
	s_delay_alu instid0(VALU_DEP_2)
	v_cmpx_ne_u32_e32 0x80, v6
	s_cbranch_execz .LBB355_1613
; %bb.1608:                             ;   in Loop: Header=BB355_1581 Depth=1
	v_bfe_u32 v7, v16, 24, 7
	v_mov_b32_e32 v5, 0x7f800001
	s_mov_b32 s15, exec_lo
	s_delay_alu instid0(VALU_DEP_2)
	v_cmpx_ne_u32_e32 0x7f, v7
	s_cbranch_execz .LBB355_1612
; %bb.1609:                             ;   in Loop: Header=BB355_1581 Depth=1
	v_dual_lshrrev_b32 v5, 3, v7 :: v_dual_bitop2_b32 v26, 7, v6 bitop3:0x40
	s_mov_b32 s16, exec_lo
	s_delay_alu instid0(VALU_DEP_1)
	v_mov_b64_e32 v[18:19], v[26:27]
	v_cmpx_gt_u32_e32 8, v7
; %bb.1610:                             ;   in Loop: Header=BB355_1581 Depth=1
	v_clz_i32_u32_e32 v5, v26
	s_delay_alu instid0(VALU_DEP_1) | instskip(NEXT) | instid1(VALU_DEP_1)
	v_min_u32_e32 v5, 32, v5
	v_subrev_nc_u32_e32 v7, 28, v5
	s_delay_alu instid0(VALU_DEP_1) | instskip(NEXT) | instid1(VALU_DEP_1)
	v_lshlrev_b64_e32 v[8:9], v7, v[26:27]
	v_dual_sub_nc_u32 v5, 29, v5 :: v_dual_bitop2_b32 v18, 7, v8 bitop3:0x40
; %bb.1611:                             ;   in Loop: Header=BB355_1581 Depth=1
	s_or_b32 exec_lo, exec_lo, s16
	v_lshlrev_b32_e32 v6, 24, v6
	s_delay_alu instid0(VALU_DEP_2) | instskip(NEXT) | instid1(VALU_DEP_3)
	v_lshlrev_b32_e32 v7, 20, v18
	v_lshl_add_u32 v5, v5, 23, 0x3c000000
	s_delay_alu instid0(VALU_DEP_3) | instskip(NEXT) | instid1(VALU_DEP_1)
	v_and_b32_e32 v6, 0x80000000, v6
	v_or3_b32 v5, v7, v6, v5
.LBB355_1612:                           ;   in Loop: Header=BB355_1581 Depth=1
	s_or_b32 exec_lo, exec_lo, s15
.LBB355_1613:                           ;   in Loop: Header=BB355_1581 Depth=1
	s_delay_alu instid0(SALU_CYCLE_1)
	s_or_b32 exec_lo, exec_lo, s14
.LBB355_1614:                           ;   in Loop: Header=BB355_1581 Depth=1
	s_delay_alu instid0(SALU_CYCLE_1) | instskip(SKIP_4) | instid1(VALU_DEP_3)
	s_or_b32 exec_lo, exec_lo, s0
	v_and_b32_e32 v8, 0xff, v17
	v_dual_mov_b32 v26, v17 :: v_dual_mov_b32 v7, 0
	v_mov_b32_e32 v6, 0
	s_mov_b32 s0, exec_lo
	v_cmpx_ne_u16_e32 0, v8
	s_cbranch_execz .LBB355_1622
; %bb.1615:                             ;   in Loop: Header=BB355_1581 Depth=1
	v_bfrev_b32_e32 v6, 1
	s_mov_b32 s14, exec_lo
	v_cmpx_ne_u16_e32 0x80, v8
	s_cbranch_execz .LBB355_1621
; %bb.1616:                             ;   in Loop: Header=BB355_1581 Depth=1
	v_and_b32_e32 v8, 0x7f, v17
	v_mov_b32_e32 v6, 0x7f800001
	s_mov_b32 s15, exec_lo
	s_delay_alu instid0(VALU_DEP_2)
	v_cmpx_ne_u32_e32 0x7f, v8
	s_cbranch_execz .LBB355_1620
; %bb.1617:                             ;   in Loop: Header=BB355_1581 Depth=1
	v_mov_b64_e32 v[18:19], v[26:27]
	v_lshrrev_b32_e32 v6, 3, v8
	s_mov_b32 s16, exec_lo
	v_cmpx_gt_u32_e32 8, v8
; %bb.1618:                             ;   in Loop: Header=BB355_1581 Depth=1
	v_and_b32_e32 v6, 7, v17
	s_delay_alu instid0(VALU_DEP_1) | instskip(NEXT) | instid1(VALU_DEP_1)
	v_clz_i32_u32_e32 v6, v6
	v_min_u32_e32 v6, 32, v6
	s_delay_alu instid0(VALU_DEP_1) | instskip(SKIP_1) | instid1(VALU_DEP_2)
	v_subrev_nc_u32_e32 v8, 28, v6
	v_sub_nc_u32_e32 v6, 29, v6
	v_lshlrev_b64_e32 v[18:19], v8, v[26:27]
; %bb.1619:                             ;   in Loop: Header=BB355_1581 Depth=1
	s_or_b32 exec_lo, exec_lo, s16
	s_delay_alu instid0(VALU_DEP_1) | instskip(SKIP_2) | instid1(VALU_DEP_3)
	v_lshlrev_b32_e32 v8, 20, v18
	v_lshlrev_b32_e32 v9, 24, v26
	v_lshl_add_u32 v6, v6, 23, 0x3c000000
	v_and_b32_e32 v8, 0x700000, v8
	s_delay_alu instid0(VALU_DEP_3) | instskip(NEXT) | instid1(VALU_DEP_1)
	v_and_b32_e32 v9, 0x80000000, v9
	v_or3_b32 v6, v8, v9, v6
.LBB355_1620:                           ;   in Loop: Header=BB355_1581 Depth=1
	s_or_b32 exec_lo, exec_lo, s15
.LBB355_1621:                           ;   in Loop: Header=BB355_1581 Depth=1
	s_delay_alu instid0(SALU_CYCLE_1)
	s_or_b32 exec_lo, exec_lo, s14
.LBB355_1622:                           ;   in Loop: Header=BB355_1581 Depth=1
	s_delay_alu instid0(SALU_CYCLE_1) | instskip(SKIP_2) | instid1(VALU_DEP_1)
	s_or_b32 exec_lo, exec_lo, s0
	v_lshrrev_b16 v8, 8, v26
	s_mov_b32 s0, exec_lo
	v_cmpx_ne_u16_e32 0, v8
	s_cbranch_execz .LBB355_1630
; %bb.1623:                             ;   in Loop: Header=BB355_1581 Depth=1
	v_bfrev_b32_e32 v7, 1
	s_mov_b32 s14, exec_lo
	v_cmpx_ne_u16_e32 0x80, v8
	s_cbranch_execz .LBB355_1629
; %bb.1624:                             ;   in Loop: Header=BB355_1581 Depth=1
	v_and_b32_e32 v9, 0xffff, v8
	v_mov_b32_e32 v7, 0x7f800001
	s_mov_b32 s15, exec_lo
	s_delay_alu instid0(VALU_DEP_2) | instskip(NEXT) | instid1(VALU_DEP_1)
	v_and_b32_e32 v8, 0x7f, v9
	v_cmpx_ne_u32_e32 0x7f, v8
	s_cbranch_execz .LBB355_1628
; %bb.1625:                             ;   in Loop: Header=BB355_1581 Depth=1
	v_dual_mov_b32 v19, v27 :: v_dual_bitop2_b32 v18, 7, v9 bitop3:0x40
	v_lshrrev_b32_e32 v7, 3, v8
	s_mov_b32 s16, exec_lo
	v_cmpx_gt_u32_e32 8, v8
; %bb.1626:                             ;   in Loop: Header=BB355_1581 Depth=1
	s_delay_alu instid0(VALU_DEP_3) | instskip(NEXT) | instid1(VALU_DEP_1)
	v_clz_i32_u32_e32 v7, v18
	v_min_u32_e32 v7, 32, v7
	s_delay_alu instid0(VALU_DEP_1) | instskip(NEXT) | instid1(VALU_DEP_1)
	v_subrev_nc_u32_e32 v8, 28, v7
	v_lshlrev_b64_e32 v[8:9], v8, v[18:19]
	s_delay_alu instid0(VALU_DEP_1)
	v_dual_sub_nc_u32 v7, 29, v7 :: v_dual_bitop2_b32 v18, 7, v8 bitop3:0x40
; %bb.1627:                             ;   in Loop: Header=BB355_1581 Depth=1
	s_or_b32 exec_lo, exec_lo, s16
	v_lshlrev_b32_e32 v8, 16, v26
	s_delay_alu instid0(VALU_DEP_2) | instskip(NEXT) | instid1(VALU_DEP_3)
	v_lshlrev_b32_e32 v9, 20, v18
	v_lshl_add_u32 v7, v7, 23, 0x3c000000
	s_delay_alu instid0(VALU_DEP_3) | instskip(NEXT) | instid1(VALU_DEP_1)
	v_and_b32_e32 v8, 0x80000000, v8
	v_or3_b32 v7, v9, v8, v7
.LBB355_1628:                           ;   in Loop: Header=BB355_1581 Depth=1
	s_or_b32 exec_lo, exec_lo, s15
.LBB355_1629:                           ;   in Loop: Header=BB355_1581 Depth=1
	s_delay_alu instid0(SALU_CYCLE_1)
	s_or_b32 exec_lo, exec_lo, s14
.LBB355_1630:                           ;   in Loop: Header=BB355_1581 Depth=1
	s_delay_alu instid0(SALU_CYCLE_1) | instskip(SKIP_3) | instid1(VALU_DEP_2)
	s_or_b32 exec_lo, exec_lo, s0
	v_dual_lshrrev_b32 v10, 16, v17 :: v_dual_mov_b32 v8, 0
	v_mov_b32_e32 v9, 0
	s_mov_b32 s0, exec_lo
	v_and_b32_e32 v11, 0xff, v10
	s_delay_alu instid0(VALU_DEP_1)
	v_cmpx_ne_u16_e32 0, v11
	s_cbranch_execz .LBB355_1638
; %bb.1631:                             ;   in Loop: Header=BB355_1581 Depth=1
	v_bfrev_b32_e32 v9, 1
	s_mov_b32 s14, exec_lo
	v_cmpx_ne_u16_e32 0x80, v11
	s_cbranch_execz .LBB355_1637
; %bb.1632:                             ;   in Loop: Header=BB355_1581 Depth=1
	v_bfe_u32 v11, v17, 16, 7
	v_mov_b32_e32 v9, 0x7f800001
	s_mov_b32 s15, exec_lo
	s_delay_alu instid0(VALU_DEP_2)
	v_cmpx_ne_u32_e32 0x7f, v11
	s_cbranch_execz .LBB355_1636
; %bb.1633:                             ;   in Loop: Header=BB355_1581 Depth=1
	v_dual_lshrrev_b32 v9, 3, v11 :: v_dual_bitop2_b32 v26, 7, v10 bitop3:0x40
	s_mov_b32 s16, exec_lo
	s_delay_alu instid0(VALU_DEP_1)
	v_mov_b64_e32 v[18:19], v[26:27]
	v_cmpx_gt_u32_e32 8, v11
; %bb.1634:                             ;   in Loop: Header=BB355_1581 Depth=1
	v_clz_i32_u32_e32 v9, v26
	s_delay_alu instid0(VALU_DEP_1) | instskip(NEXT) | instid1(VALU_DEP_1)
	v_min_u32_e32 v9, 32, v9
	v_subrev_nc_u32_e32 v11, 28, v9
	s_delay_alu instid0(VALU_DEP_1) | instskip(NEXT) | instid1(VALU_DEP_1)
	v_lshlrev_b64_e32 v[12:13], v11, v[26:27]
	v_dual_sub_nc_u32 v9, 29, v9 :: v_dual_bitop2_b32 v18, 7, v12 bitop3:0x40
; %bb.1635:                             ;   in Loop: Header=BB355_1581 Depth=1
	s_or_b32 exec_lo, exec_lo, s16
	v_lshlrev_b32_e32 v10, 24, v10
	s_delay_alu instid0(VALU_DEP_2) | instskip(NEXT) | instid1(VALU_DEP_3)
	v_lshlrev_b32_e32 v11, 20, v18
	v_lshl_add_u32 v9, v9, 23, 0x3c000000
	s_delay_alu instid0(VALU_DEP_3) | instskip(NEXT) | instid1(VALU_DEP_1)
	v_and_b32_e32 v10, 0x80000000, v10
	v_or3_b32 v9, v11, v10, v9
.LBB355_1636:                           ;   in Loop: Header=BB355_1581 Depth=1
	s_or_b32 exec_lo, exec_lo, s15
.LBB355_1637:                           ;   in Loop: Header=BB355_1581 Depth=1
	s_delay_alu instid0(SALU_CYCLE_1)
	s_or_b32 exec_lo, exec_lo, s14
.LBB355_1638:                           ;   in Loop: Header=BB355_1581 Depth=1
	s_delay_alu instid0(SALU_CYCLE_1) | instskip(NEXT) | instid1(SALU_CYCLE_1)
	s_or_b32 exec_lo, exec_lo, s0
	s_mov_b32 s0, exec_lo
	v_cmpx_lt_u64_e64 s[2:3], v[16:17]
	s_cbranch_execz .LBB355_1646
; %bb.1639:                             ;   in Loop: Header=BB355_1581 Depth=1
	v_lshrrev_b32_e32 v10, 24, v17
	v_bfrev_b32_e32 v8, 1
	s_mov_b32 s14, exec_lo
	s_delay_alu instid0(VALU_DEP_2)
	v_cmpx_ne_u32_e32 0x80, v10
	s_cbranch_execz .LBB355_1645
; %bb.1640:                             ;   in Loop: Header=BB355_1581 Depth=1
	v_bfe_u32 v11, v17, 24, 7
	v_mov_b32_e32 v8, 0x7f800001
	s_mov_b32 s15, exec_lo
	s_delay_alu instid0(VALU_DEP_2)
	v_cmpx_ne_u32_e32 0x7f, v11
	s_cbranch_execz .LBB355_1644
; %bb.1641:                             ;   in Loop: Header=BB355_1581 Depth=1
	v_dual_lshrrev_b32 v8, 3, v11 :: v_dual_bitop2_b32 v26, 7, v10 bitop3:0x40
	s_mov_b32 s16, exec_lo
	s_delay_alu instid0(VALU_DEP_1)
	v_mov_b64_e32 v[16:17], v[26:27]
	v_cmpx_gt_u32_e32 8, v11
; %bb.1642:                             ;   in Loop: Header=BB355_1581 Depth=1
	v_clz_i32_u32_e32 v8, v26
	s_delay_alu instid0(VALU_DEP_1) | instskip(NEXT) | instid1(VALU_DEP_1)
	v_min_u32_e32 v8, 32, v8
	v_subrev_nc_u32_e32 v11, 28, v8
	v_sub_nc_u32_e32 v8, 29, v8
	s_delay_alu instid0(VALU_DEP_2) | instskip(NEXT) | instid1(VALU_DEP_1)
	v_lshlrev_b64_e32 v[12:13], v11, v[26:27]
	v_and_b32_e32 v16, 7, v12
; %bb.1643:                             ;   in Loop: Header=BB355_1581 Depth=1
	s_or_b32 exec_lo, exec_lo, s16
	s_delay_alu instid0(VALU_DEP_1) | instskip(SKIP_1) | instid1(VALU_DEP_2)
	v_dual_lshlrev_b32 v10, 24, v10 :: v_dual_lshlrev_b32 v11, 20, v16
	v_lshl_add_u32 v8, v8, 23, 0x3c000000
	v_and_b32_e32 v10, 0x80000000, v10
	s_delay_alu instid0(VALU_DEP_1)
	v_or3_b32 v8, v11, v10, v8
.LBB355_1644:                           ;   in Loop: Header=BB355_1581 Depth=1
	s_or_b32 exec_lo, exec_lo, s15
.LBB355_1645:                           ;   in Loop: Header=BB355_1581 Depth=1
	s_delay_alu instid0(SALU_CYCLE_1)
	s_or_b32 exec_lo, exec_lo, s14
.LBB355_1646:                           ;   in Loop: Header=BB355_1581 Depth=1
	s_delay_alu instid0(SALU_CYCLE_1)
	s_or_b32 exec_lo, exec_lo, s0
	scratch_load_b32 v10, off, s32 offset:408 ; 4-byte Folded Reload
	s_wait_loadcnt 0x1
	v_fma_mixlo_bf16 v2, v116, v2, 0
	v_fma_mixlo_bf16 v7, v116, v7, 0
	;; [unrolled: 1-line block ×5, first 2 shown]
	scratch_store_b32 off, v2, s32 offset:248 ; 4-byte Folded Spill
	s_wait_xcnt 0x0
	v_fma_mixlo_bf16 v2, v116, v9, 0
	s_clause 0x1
	scratch_store_b32 off, v7, s32 offset:192
	scratch_store_b32 off, v6, s32 offset:200
	v_fma_mixlo_bf16 v3, v116, v3, 0
	s_clause 0x1
	scratch_store_b32 off, v5, s32 offset:224
	scratch_store_b32 off, v2, s32 offset:208
	s_wait_xcnt 0x0
	v_fma_mixlo_bf16 v2, v116, v8, 0
	v_or_b32_e32 v58, 2, v115
	v_or_b32_e32 v57, 3, v115
	;; [unrolled: 1-line block ×6, first 2 shown]
	s_clause 0x2
	scratch_store_b32 off, v4, s32 offset:232
	scratch_store_b32 off, v2, s32 offset:216
	;; [unrolled: 1-line block ×3, first 2 shown]
	s_wait_loadcnt 0x0
	v_dual_add_nc_u32 v10, -1, v10 :: v_dual_bitop2_b32 v59, 1, v115 bitop3:0x54
	s_delay_alu instid0(VALU_DEP_1)
	v_cmp_eq_u32_e32 vcc_lo, v52, v10
	s_wait_xcnt 0x0
	s_and_saveexec_b32 s14, vcc_lo
	s_cbranch_execz .LBB355_1648
; %bb.1647:                             ;   in Loop: Header=BB355_1581 Depth=1
	scratch_load_b32 v2, off, s32 offset:248 ; 4-byte Folded Reload
	v_cmp_lt_i32_e64 s0, v115, v119
	s_wait_loadcnt 0x0
	s_delay_alu instid0(VALU_DEP_1)
	v_cndmask_b32_e64 v2, 0, v2, s0
	v_cmp_lt_i32_e64 s0, v59, v119
	s_clause 0x1
	scratch_store_b32 off, v2, s32 offset:248
	scratch_load_b32 v2, off, s32 offset:240
	s_wait_loadcnt 0x0
	v_cndmask_b32_e64 v2, 0, v2, s0
	v_cmp_lt_i32_e64 s0, v58, v119
	s_clause 0x1
	scratch_store_b32 off, v2, s32 offset:240
	scratch_load_b32 v2, off, s32 offset:232
	s_wait_loadcnt 0x0
	;; [unrolled: 6-line block ×7, first 2 shown]
	v_cndmask_b32_e64 v2, 0, v2, s0
	scratch_store_b32 off, v2, s32 offset:216 ; 4-byte Folded Spill
.LBB355_1648:                           ;   in Loop: Header=BB355_1581 Depth=1
	s_wait_xcnt 0x0
	s_or_b32 exec_lo, exec_lo, s14
	flat_load_b64 v[16:17], v[0:1] offset:256
	v_dual_mov_b32 v3, 0 :: v_dual_mov_b32 v2, 0
	s_mov_b32 s14, exec_lo
	s_wait_loadcnt_dscnt 0x0
	v_and_b32_e32 v4, 0xff, v16
	s_wait_xcnt 0x0
	s_delay_alu instid0(VALU_DEP_1)
	v_cmpx_ne_u16_e32 0, v4
	s_cbranch_execz .LBB355_1656
; %bb.1649:                             ;   in Loop: Header=BB355_1581 Depth=1
	v_bfrev_b32_e32 v2, 1
	s_mov_b32 s15, exec_lo
	v_cmpx_ne_u16_e32 0x80, v4
	s_cbranch_execz .LBB355_1655
; %bb.1650:                             ;   in Loop: Header=BB355_1581 Depth=1
	v_and_b32_e32 v4, 0x7f, v16
	v_mov_b32_e32 v2, 0x7f800001
	s_mov_b32 s16, exec_lo
	s_delay_alu instid0(VALU_DEP_2)
	v_cmpx_ne_u32_e32 0x7f, v4
	s_cbranch_execz .LBB355_1654
; %bb.1651:                             ;   in Loop: Header=BB355_1581 Depth=1
	v_mov_b64_e32 v[18:19], v[16:17]
	v_lshrrev_b32_e32 v2, 3, v4
	s_mov_b32 s17, exec_lo
	v_cmpx_gt_u32_e32 8, v4
; %bb.1652:                             ;   in Loop: Header=BB355_1581 Depth=1
	v_and_b32_e32 v2, 7, v16
	s_delay_alu instid0(VALU_DEP_1) | instskip(NEXT) | instid1(VALU_DEP_1)
	v_clz_i32_u32_e32 v2, v2
	v_min_u32_e32 v2, 32, v2
	s_delay_alu instid0(VALU_DEP_1) | instskip(SKIP_1) | instid1(VALU_DEP_2)
	v_subrev_nc_u32_e32 v4, 28, v2
	v_sub_nc_u32_e32 v2, 29, v2
	v_lshlrev_b64_e32 v[18:19], v4, v[16:17]
; %bb.1653:                             ;   in Loop: Header=BB355_1581 Depth=1
	s_or_b32 exec_lo, exec_lo, s17
	s_delay_alu instid0(VALU_DEP_1) | instskip(NEXT) | instid1(VALU_DEP_3)
	v_dual_lshlrev_b32 v4, 20, v18 :: v_dual_lshlrev_b32 v5, 24, v16
	v_lshl_add_u32 v2, v2, 23, 0x3c000000
	s_delay_alu instid0(VALU_DEP_2) | instskip(NEXT) | instid1(VALU_DEP_3)
	v_and_b32_e32 v4, 0x700000, v4
	v_and_b32_e32 v5, 0x80000000, v5
	s_delay_alu instid0(VALU_DEP_1)
	v_or3_b32 v2, v4, v5, v2
.LBB355_1654:                           ;   in Loop: Header=BB355_1581 Depth=1
	s_or_b32 exec_lo, exec_lo, s16
.LBB355_1655:                           ;   in Loop: Header=BB355_1581 Depth=1
	s_delay_alu instid0(SALU_CYCLE_1)
	s_or_b32 exec_lo, exec_lo, s15
.LBB355_1656:                           ;   in Loop: Header=BB355_1581 Depth=1
	s_delay_alu instid0(SALU_CYCLE_1) | instskip(SKIP_2) | instid1(VALU_DEP_1)
	s_or_b32 exec_lo, exec_lo, s14
	v_lshrrev_b16 v4, 8, v16
	s_mov_b32 s14, exec_lo
	v_cmpx_ne_u16_e32 0, v4
	s_cbranch_execz .LBB355_1664
; %bb.1657:                             ;   in Loop: Header=BB355_1581 Depth=1
	v_bfrev_b32_e32 v3, 1
	s_mov_b32 s15, exec_lo
	v_cmpx_ne_u16_e32 0x80, v4
	s_cbranch_execz .LBB355_1663
; %bb.1658:                             ;   in Loop: Header=BB355_1581 Depth=1
	v_and_b32_e32 v5, 0xffff, v4
	v_mov_b32_e32 v3, 0x7f800001
	s_mov_b32 s16, exec_lo
	s_delay_alu instid0(VALU_DEP_2) | instskip(NEXT) | instid1(VALU_DEP_1)
	v_and_b32_e32 v4, 0x7f, v5
	v_cmpx_ne_u32_e32 0x7f, v4
	s_cbranch_execz .LBB355_1662
; %bb.1659:                             ;   in Loop: Header=BB355_1581 Depth=1
	v_dual_lshrrev_b32 v3, 3, v4 :: v_dual_bitop2_b32 v26, 7, v5 bitop3:0x40
	s_mov_b32 s17, exec_lo
	s_delay_alu instid0(VALU_DEP_1)
	v_mov_b64_e32 v[18:19], v[26:27]
	v_cmpx_gt_u32_e32 8, v4
; %bb.1660:                             ;   in Loop: Header=BB355_1581 Depth=1
	v_clz_i32_u32_e32 v3, v26
	s_delay_alu instid0(VALU_DEP_1) | instskip(NEXT) | instid1(VALU_DEP_1)
	v_min_u32_e32 v3, 32, v3
	v_subrev_nc_u32_e32 v4, 28, v3
	s_delay_alu instid0(VALU_DEP_1) | instskip(NEXT) | instid1(VALU_DEP_1)
	v_lshlrev_b64_e32 v[4:5], v4, v[26:27]
	v_dual_sub_nc_u32 v3, 29, v3 :: v_dual_bitop2_b32 v18, 7, v4 bitop3:0x40
; %bb.1661:                             ;   in Loop: Header=BB355_1581 Depth=1
	s_or_b32 exec_lo, exec_lo, s17
	s_delay_alu instid0(VALU_DEP_1) | instskip(NEXT) | instid1(VALU_DEP_2)
	v_dual_lshlrev_b32 v4, 16, v16 :: v_dual_lshlrev_b32 v5, 20, v18
	v_lshl_add_u32 v3, v3, 23, 0x3c000000
	s_delay_alu instid0(VALU_DEP_2) | instskip(NEXT) | instid1(VALU_DEP_1)
	v_and_b32_e32 v4, 0x80000000, v4
	v_or3_b32 v3, v5, v4, v3
.LBB355_1662:                           ;   in Loop: Header=BB355_1581 Depth=1
	s_or_b32 exec_lo, exec_lo, s16
.LBB355_1663:                           ;   in Loop: Header=BB355_1581 Depth=1
	s_delay_alu instid0(SALU_CYCLE_1)
	s_or_b32 exec_lo, exec_lo, s15
.LBB355_1664:                           ;   in Loop: Header=BB355_1581 Depth=1
	s_delay_alu instid0(SALU_CYCLE_1) | instskip(SKIP_3) | instid1(VALU_DEP_2)
	s_or_b32 exec_lo, exec_lo, s14
	v_dual_mov_b32 v5, 0 :: v_dual_lshrrev_b32 v6, 16, v16
	v_mov_b32_e32 v4, 0
	s_mov_b32 s14, exec_lo
	v_and_b32_e32 v7, 0xff, v6
	s_delay_alu instid0(VALU_DEP_1)
	v_cmpx_ne_u16_e32 0, v7
	s_cbranch_execz .LBB355_1672
; %bb.1665:                             ;   in Loop: Header=BB355_1581 Depth=1
	v_bfrev_b32_e32 v4, 1
	s_mov_b32 s15, exec_lo
	v_cmpx_ne_u16_e32 0x80, v7
	s_cbranch_execz .LBB355_1671
; %bb.1666:                             ;   in Loop: Header=BB355_1581 Depth=1
	v_bfe_u32 v7, v16, 16, 7
	v_mov_b32_e32 v4, 0x7f800001
	s_mov_b32 s16, exec_lo
	s_delay_alu instid0(VALU_DEP_2)
	v_cmpx_ne_u32_e32 0x7f, v7
	s_cbranch_execz .LBB355_1670
; %bb.1667:                             ;   in Loop: Header=BB355_1581 Depth=1
	v_dual_lshrrev_b32 v4, 3, v7 :: v_dual_bitop2_b32 v26, 7, v6 bitop3:0x40
	s_mov_b32 s17, exec_lo
	s_delay_alu instid0(VALU_DEP_1)
	v_mov_b64_e32 v[18:19], v[26:27]
	v_cmpx_gt_u32_e32 8, v7
; %bb.1668:                             ;   in Loop: Header=BB355_1581 Depth=1
	v_clz_i32_u32_e32 v4, v26
	s_delay_alu instid0(VALU_DEP_1) | instskip(NEXT) | instid1(VALU_DEP_1)
	v_min_u32_e32 v4, 32, v4
	v_subrev_nc_u32_e32 v7, 28, v4
	v_sub_nc_u32_e32 v4, 29, v4
	s_delay_alu instid0(VALU_DEP_2) | instskip(NEXT) | instid1(VALU_DEP_1)
	v_lshlrev_b64_e32 v[8:9], v7, v[26:27]
	v_and_b32_e32 v18, 7, v8
; %bb.1669:                             ;   in Loop: Header=BB355_1581 Depth=1
	s_or_b32 exec_lo, exec_lo, s17
	v_lshlrev_b32_e32 v6, 24, v6
	s_delay_alu instid0(VALU_DEP_2) | instskip(SKIP_1) | instid1(VALU_DEP_3)
	v_lshlrev_b32_e32 v7, 20, v18
	v_lshl_add_u32 v4, v4, 23, 0x3c000000
	v_and_b32_e32 v6, 0x80000000, v6
	s_delay_alu instid0(VALU_DEP_1)
	v_or3_b32 v4, v7, v6, v4
.LBB355_1670:                           ;   in Loop: Header=BB355_1581 Depth=1
	s_or_b32 exec_lo, exec_lo, s16
.LBB355_1671:                           ;   in Loop: Header=BB355_1581 Depth=1
	s_delay_alu instid0(SALU_CYCLE_1)
	s_or_b32 exec_lo, exec_lo, s15
.LBB355_1672:                           ;   in Loop: Header=BB355_1581 Depth=1
	s_delay_alu instid0(SALU_CYCLE_1) | instskip(NEXT) | instid1(SALU_CYCLE_1)
	s_or_b32 exec_lo, exec_lo, s14
	s_mov_b32 s14, exec_lo
	v_cmpx_lt_u32_e32 0xffffff, v16
	s_cbranch_execz .LBB355_1680
; %bb.1673:                             ;   in Loop: Header=BB355_1581 Depth=1
	v_lshrrev_b32_e32 v6, 24, v16
	v_bfrev_b32_e32 v5, 1
	s_mov_b32 s15, exec_lo
	s_delay_alu instid0(VALU_DEP_2)
	v_cmpx_ne_u32_e32 0x80, v6
	s_cbranch_execz .LBB355_1679
; %bb.1674:                             ;   in Loop: Header=BB355_1581 Depth=1
	v_bfe_u32 v7, v16, 24, 7
	v_mov_b32_e32 v5, 0x7f800001
	s_mov_b32 s16, exec_lo
	s_delay_alu instid0(VALU_DEP_2)
	v_cmpx_ne_u32_e32 0x7f, v7
	s_cbranch_execz .LBB355_1678
; %bb.1675:                             ;   in Loop: Header=BB355_1581 Depth=1
	v_dual_lshrrev_b32 v5, 3, v7 :: v_dual_bitop2_b32 v26, 7, v6 bitop3:0x40
	s_mov_b32 s17, exec_lo
	s_delay_alu instid0(VALU_DEP_1)
	v_mov_b64_e32 v[18:19], v[26:27]
	v_cmpx_gt_u32_e32 8, v7
; %bb.1676:                             ;   in Loop: Header=BB355_1581 Depth=1
	v_clz_i32_u32_e32 v5, v26
	s_delay_alu instid0(VALU_DEP_1) | instskip(NEXT) | instid1(VALU_DEP_1)
	v_min_u32_e32 v5, 32, v5
	v_subrev_nc_u32_e32 v7, 28, v5
	s_delay_alu instid0(VALU_DEP_1) | instskip(NEXT) | instid1(VALU_DEP_1)
	v_lshlrev_b64_e32 v[8:9], v7, v[26:27]
	v_dual_sub_nc_u32 v5, 29, v5 :: v_dual_bitop2_b32 v18, 7, v8 bitop3:0x40
; %bb.1677:                             ;   in Loop: Header=BB355_1581 Depth=1
	s_or_b32 exec_lo, exec_lo, s17
	v_lshlrev_b32_e32 v6, 24, v6
	s_delay_alu instid0(VALU_DEP_2) | instskip(NEXT) | instid1(VALU_DEP_3)
	v_lshlrev_b32_e32 v7, 20, v18
	v_lshl_add_u32 v5, v5, 23, 0x3c000000
	s_delay_alu instid0(VALU_DEP_3) | instskip(NEXT) | instid1(VALU_DEP_1)
	v_and_b32_e32 v6, 0x80000000, v6
	v_or3_b32 v5, v7, v6, v5
.LBB355_1678:                           ;   in Loop: Header=BB355_1581 Depth=1
	s_or_b32 exec_lo, exec_lo, s16
.LBB355_1679:                           ;   in Loop: Header=BB355_1581 Depth=1
	s_delay_alu instid0(SALU_CYCLE_1)
	s_or_b32 exec_lo, exec_lo, s15
.LBB355_1680:                           ;   in Loop: Header=BB355_1581 Depth=1
	s_delay_alu instid0(SALU_CYCLE_1) | instskip(SKIP_4) | instid1(VALU_DEP_3)
	s_or_b32 exec_lo, exec_lo, s14
	v_and_b32_e32 v8, 0xff, v17
	v_dual_mov_b32 v26, v17 :: v_dual_mov_b32 v7, 0
	v_mov_b32_e32 v6, 0
	s_mov_b32 s14, exec_lo
	v_cmpx_ne_u16_e32 0, v8
	s_cbranch_execz .LBB355_1688
; %bb.1681:                             ;   in Loop: Header=BB355_1581 Depth=1
	v_bfrev_b32_e32 v6, 1
	s_mov_b32 s15, exec_lo
	v_cmpx_ne_u16_e32 0x80, v8
	s_cbranch_execz .LBB355_1687
; %bb.1682:                             ;   in Loop: Header=BB355_1581 Depth=1
	v_and_b32_e32 v8, 0x7f, v17
	v_mov_b32_e32 v6, 0x7f800001
	s_mov_b32 s16, exec_lo
	s_delay_alu instid0(VALU_DEP_2)
	v_cmpx_ne_u32_e32 0x7f, v8
	s_cbranch_execz .LBB355_1686
; %bb.1683:                             ;   in Loop: Header=BB355_1581 Depth=1
	v_mov_b64_e32 v[18:19], v[26:27]
	v_lshrrev_b32_e32 v6, 3, v8
	s_mov_b32 s17, exec_lo
	v_cmpx_gt_u32_e32 8, v8
; %bb.1684:                             ;   in Loop: Header=BB355_1581 Depth=1
	v_and_b32_e32 v6, 7, v17
	s_delay_alu instid0(VALU_DEP_1) | instskip(NEXT) | instid1(VALU_DEP_1)
	v_clz_i32_u32_e32 v6, v6
	v_min_u32_e32 v6, 32, v6
	s_delay_alu instid0(VALU_DEP_1) | instskip(SKIP_1) | instid1(VALU_DEP_2)
	v_subrev_nc_u32_e32 v8, 28, v6
	v_sub_nc_u32_e32 v6, 29, v6
	v_lshlrev_b64_e32 v[18:19], v8, v[26:27]
; %bb.1685:                             ;   in Loop: Header=BB355_1581 Depth=1
	s_or_b32 exec_lo, exec_lo, s17
	s_delay_alu instid0(VALU_DEP_1) | instskip(SKIP_2) | instid1(VALU_DEP_3)
	v_lshlrev_b32_e32 v8, 20, v18
	v_lshlrev_b32_e32 v9, 24, v26
	v_lshl_add_u32 v6, v6, 23, 0x3c000000
	v_and_b32_e32 v8, 0x700000, v8
	s_delay_alu instid0(VALU_DEP_3) | instskip(NEXT) | instid1(VALU_DEP_1)
	v_and_b32_e32 v9, 0x80000000, v9
	v_or3_b32 v6, v8, v9, v6
.LBB355_1686:                           ;   in Loop: Header=BB355_1581 Depth=1
	s_or_b32 exec_lo, exec_lo, s16
.LBB355_1687:                           ;   in Loop: Header=BB355_1581 Depth=1
	s_delay_alu instid0(SALU_CYCLE_1)
	s_or_b32 exec_lo, exec_lo, s15
.LBB355_1688:                           ;   in Loop: Header=BB355_1581 Depth=1
	s_delay_alu instid0(SALU_CYCLE_1) | instskip(SKIP_2) | instid1(VALU_DEP_1)
	s_or_b32 exec_lo, exec_lo, s14
	v_lshrrev_b16 v8, 8, v26
	s_mov_b32 s14, exec_lo
	v_cmpx_ne_u16_e32 0, v8
	s_cbranch_execz .LBB355_1696
; %bb.1689:                             ;   in Loop: Header=BB355_1581 Depth=1
	v_bfrev_b32_e32 v7, 1
	s_mov_b32 s15, exec_lo
	v_cmpx_ne_u16_e32 0x80, v8
	s_cbranch_execz .LBB355_1695
; %bb.1690:                             ;   in Loop: Header=BB355_1581 Depth=1
	v_and_b32_e32 v9, 0xffff, v8
	v_mov_b32_e32 v7, 0x7f800001
	s_mov_b32 s16, exec_lo
	s_delay_alu instid0(VALU_DEP_2) | instskip(NEXT) | instid1(VALU_DEP_1)
	v_and_b32_e32 v8, 0x7f, v9
	v_cmpx_ne_u32_e32 0x7f, v8
	s_cbranch_execz .LBB355_1694
; %bb.1691:                             ;   in Loop: Header=BB355_1581 Depth=1
	v_dual_mov_b32 v19, v27 :: v_dual_bitop2_b32 v18, 7, v9 bitop3:0x40
	v_lshrrev_b32_e32 v7, 3, v8
	s_mov_b32 s17, exec_lo
	v_cmpx_gt_u32_e32 8, v8
; %bb.1692:                             ;   in Loop: Header=BB355_1581 Depth=1
	s_delay_alu instid0(VALU_DEP_3) | instskip(NEXT) | instid1(VALU_DEP_1)
	v_clz_i32_u32_e32 v7, v18
	v_min_u32_e32 v7, 32, v7
	s_delay_alu instid0(VALU_DEP_1) | instskip(NEXT) | instid1(VALU_DEP_1)
	v_subrev_nc_u32_e32 v8, 28, v7
	v_lshlrev_b64_e32 v[8:9], v8, v[18:19]
	s_delay_alu instid0(VALU_DEP_1)
	v_dual_sub_nc_u32 v7, 29, v7 :: v_dual_bitop2_b32 v18, 7, v8 bitop3:0x40
; %bb.1693:                             ;   in Loop: Header=BB355_1581 Depth=1
	s_or_b32 exec_lo, exec_lo, s17
	v_lshlrev_b32_e32 v8, 16, v26
	s_delay_alu instid0(VALU_DEP_2) | instskip(NEXT) | instid1(VALU_DEP_3)
	v_lshlrev_b32_e32 v9, 20, v18
	v_lshl_add_u32 v7, v7, 23, 0x3c000000
	s_delay_alu instid0(VALU_DEP_3) | instskip(NEXT) | instid1(VALU_DEP_1)
	v_and_b32_e32 v8, 0x80000000, v8
	v_or3_b32 v7, v9, v8, v7
.LBB355_1694:                           ;   in Loop: Header=BB355_1581 Depth=1
	s_or_b32 exec_lo, exec_lo, s16
.LBB355_1695:                           ;   in Loop: Header=BB355_1581 Depth=1
	s_delay_alu instid0(SALU_CYCLE_1)
	s_or_b32 exec_lo, exec_lo, s15
.LBB355_1696:                           ;   in Loop: Header=BB355_1581 Depth=1
	s_delay_alu instid0(SALU_CYCLE_1) | instskip(SKIP_3) | instid1(VALU_DEP_2)
	s_or_b32 exec_lo, exec_lo, s14
	v_dual_lshrrev_b32 v10, 16, v17 :: v_dual_mov_b32 v8, 0
	v_mov_b32_e32 v9, 0
	s_mov_b32 s14, exec_lo
	v_and_b32_e32 v11, 0xff, v10
	s_delay_alu instid0(VALU_DEP_1)
	v_cmpx_ne_u16_e32 0, v11
	s_cbranch_execz .LBB355_1704
; %bb.1697:                             ;   in Loop: Header=BB355_1581 Depth=1
	v_bfrev_b32_e32 v9, 1
	s_mov_b32 s15, exec_lo
	v_cmpx_ne_u16_e32 0x80, v11
	s_cbranch_execz .LBB355_1703
; %bb.1698:                             ;   in Loop: Header=BB355_1581 Depth=1
	v_bfe_u32 v11, v17, 16, 7
	v_mov_b32_e32 v9, 0x7f800001
	s_mov_b32 s16, exec_lo
	s_delay_alu instid0(VALU_DEP_2)
	v_cmpx_ne_u32_e32 0x7f, v11
	s_cbranch_execz .LBB355_1702
; %bb.1699:                             ;   in Loop: Header=BB355_1581 Depth=1
	v_dual_lshrrev_b32 v9, 3, v11 :: v_dual_bitop2_b32 v26, 7, v10 bitop3:0x40
	s_mov_b32 s17, exec_lo
	s_delay_alu instid0(VALU_DEP_1)
	v_mov_b64_e32 v[18:19], v[26:27]
	v_cmpx_gt_u32_e32 8, v11
; %bb.1700:                             ;   in Loop: Header=BB355_1581 Depth=1
	v_clz_i32_u32_e32 v9, v26
	s_delay_alu instid0(VALU_DEP_1) | instskip(NEXT) | instid1(VALU_DEP_1)
	v_min_u32_e32 v9, 32, v9
	v_subrev_nc_u32_e32 v11, 28, v9
	s_delay_alu instid0(VALU_DEP_1) | instskip(NEXT) | instid1(VALU_DEP_1)
	v_lshlrev_b64_e32 v[12:13], v11, v[26:27]
	v_dual_sub_nc_u32 v9, 29, v9 :: v_dual_bitop2_b32 v18, 7, v12 bitop3:0x40
; %bb.1701:                             ;   in Loop: Header=BB355_1581 Depth=1
	s_or_b32 exec_lo, exec_lo, s17
	v_lshlrev_b32_e32 v10, 24, v10
	s_delay_alu instid0(VALU_DEP_2) | instskip(NEXT) | instid1(VALU_DEP_3)
	v_lshlrev_b32_e32 v11, 20, v18
	v_lshl_add_u32 v9, v9, 23, 0x3c000000
	s_delay_alu instid0(VALU_DEP_3) | instskip(NEXT) | instid1(VALU_DEP_1)
	v_and_b32_e32 v10, 0x80000000, v10
	v_or3_b32 v9, v11, v10, v9
.LBB355_1702:                           ;   in Loop: Header=BB355_1581 Depth=1
	s_or_b32 exec_lo, exec_lo, s16
.LBB355_1703:                           ;   in Loop: Header=BB355_1581 Depth=1
	s_delay_alu instid0(SALU_CYCLE_1)
	s_or_b32 exec_lo, exec_lo, s15
.LBB355_1704:                           ;   in Loop: Header=BB355_1581 Depth=1
	s_delay_alu instid0(SALU_CYCLE_1) | instskip(NEXT) | instid1(SALU_CYCLE_1)
	s_or_b32 exec_lo, exec_lo, s14
	s_mov_b32 s14, exec_lo
	v_cmpx_lt_u64_e64 s[2:3], v[16:17]
	s_cbranch_execz .LBB355_1712
; %bb.1705:                             ;   in Loop: Header=BB355_1581 Depth=1
	v_lshrrev_b32_e32 v10, 24, v17
	v_bfrev_b32_e32 v8, 1
	s_mov_b32 s15, exec_lo
	s_delay_alu instid0(VALU_DEP_2)
	v_cmpx_ne_u32_e32 0x80, v10
	s_cbranch_execz .LBB355_1711
; %bb.1706:                             ;   in Loop: Header=BB355_1581 Depth=1
	v_bfe_u32 v11, v17, 24, 7
	v_mov_b32_e32 v8, 0x7f800001
	s_mov_b32 s16, exec_lo
	s_delay_alu instid0(VALU_DEP_2)
	v_cmpx_ne_u32_e32 0x7f, v11
	s_cbranch_execz .LBB355_1710
; %bb.1707:                             ;   in Loop: Header=BB355_1581 Depth=1
	v_dual_lshrrev_b32 v8, 3, v11 :: v_dual_bitop2_b32 v26, 7, v10 bitop3:0x40
	s_mov_b32 s17, exec_lo
	s_delay_alu instid0(VALU_DEP_1)
	v_mov_b64_e32 v[16:17], v[26:27]
	v_cmpx_gt_u32_e32 8, v11
; %bb.1708:                             ;   in Loop: Header=BB355_1581 Depth=1
	v_clz_i32_u32_e32 v8, v26
	s_delay_alu instid0(VALU_DEP_1) | instskip(NEXT) | instid1(VALU_DEP_1)
	v_min_u32_e32 v8, 32, v8
	v_subrev_nc_u32_e32 v11, 28, v8
	v_sub_nc_u32_e32 v8, 29, v8
	s_delay_alu instid0(VALU_DEP_2) | instskip(NEXT) | instid1(VALU_DEP_1)
	v_lshlrev_b64_e32 v[12:13], v11, v[26:27]
	v_and_b32_e32 v16, 7, v12
; %bb.1709:                             ;   in Loop: Header=BB355_1581 Depth=1
	s_or_b32 exec_lo, exec_lo, s17
	s_delay_alu instid0(VALU_DEP_1) | instskip(SKIP_1) | instid1(VALU_DEP_2)
	v_dual_lshlrev_b32 v10, 24, v10 :: v_dual_lshlrev_b32 v11, 20, v16
	v_lshl_add_u32 v8, v8, 23, 0x3c000000
	v_and_b32_e32 v10, 0x80000000, v10
	s_delay_alu instid0(VALU_DEP_1)
	v_or3_b32 v8, v11, v10, v8
.LBB355_1710:                           ;   in Loop: Header=BB355_1581 Depth=1
	s_or_b32 exec_lo, exec_lo, s16
.LBB355_1711:                           ;   in Loop: Header=BB355_1581 Depth=1
	s_delay_alu instid0(SALU_CYCLE_1)
	s_or_b32 exec_lo, exec_lo, s15
.LBB355_1712:                           ;   in Loop: Header=BB355_1581 Depth=1
	s_delay_alu instid0(SALU_CYCLE_1)
	s_or_b32 exec_lo, exec_lo, s14
	v_fma_mixlo_bf16 v2, v116, v2, 0
	v_fma_mixlo_bf16 v7, v116, v7, 0
	v_fma_mixlo_bf16 v6, v116, v6, 0
	v_fma_mixlo_bf16 v5, v116, v5, 0
	v_fma_mixlo_bf16 v4, v116, v4, 0
	scratch_store_b32 off, v2, s32 offset:312 ; 4-byte Folded Spill
	s_wait_xcnt 0x0
	v_fma_mixlo_bf16 v2, v116, v9, 0
	s_clause 0x1
	scratch_store_b32 off, v7, s32 offset:256
	scratch_store_b32 off, v6, s32 offset:264
	v_fma_mixlo_bf16 v3, v116, v3, 0
	s_clause 0x1
	scratch_store_b32 off, v5, s32 offset:288
	scratch_store_b32 off, v2, s32 offset:272
	s_wait_xcnt 0x0
	v_fma_mixlo_bf16 v2, v116, v8, 0
	s_clause 0x2
	scratch_store_b32 off, v4, s32 offset:296
	scratch_store_b32 off, v3, s32 offset:304
	;; [unrolled: 1-line block ×3, first 2 shown]
	s_wait_xcnt 0x0
	s_and_saveexec_b32 s14, vcc_lo
	s_cbranch_execz .LBB355_1714
; %bb.1713:                             ;   in Loop: Header=BB355_1581 Depth=1
	scratch_load_b32 v2, off, s32 offset:312 ; 4-byte Folded Reload
	v_cmp_lt_i32_e64 s0, v115, v119
	s_wait_loadcnt 0x0
	s_delay_alu instid0(VALU_DEP_1)
	v_cndmask_b32_e64 v2, 0, v2, s0
	v_cmp_lt_i32_e64 s0, v59, v119
	s_clause 0x1
	scratch_store_b32 off, v2, s32 offset:312
	scratch_load_b32 v2, off, s32 offset:304
	s_wait_loadcnt 0x0
	v_cndmask_b32_e64 v2, 0, v2, s0
	v_cmp_lt_i32_e64 s0, v58, v119
	s_clause 0x1
	scratch_store_b32 off, v2, s32 offset:304
	scratch_load_b32 v2, off, s32 offset:296
	s_wait_loadcnt 0x0
	;; [unrolled: 6-line block ×7, first 2 shown]
	v_cndmask_b32_e64 v2, 0, v2, s0
	scratch_store_b32 off, v2, s32 offset:280 ; 4-byte Folded Spill
.LBB355_1714:                           ;   in Loop: Header=BB355_1581 Depth=1
	s_wait_xcnt 0x0
	s_or_b32 exec_lo, exec_lo, s14
	flat_load_b64 v[16:17], v[0:1] offset:512
	v_dual_mov_b32 v3, 0 :: v_dual_mov_b32 v2, 0
	s_mov_b32 s14, exec_lo
	s_wait_loadcnt_dscnt 0x0
	v_and_b32_e32 v4, 0xff, v16
	s_wait_xcnt 0x0
	s_delay_alu instid0(VALU_DEP_1)
	v_cmpx_ne_u16_e32 0, v4
	s_cbranch_execz .LBB355_1722
; %bb.1715:                             ;   in Loop: Header=BB355_1581 Depth=1
	v_bfrev_b32_e32 v2, 1
	s_mov_b32 s15, exec_lo
	v_cmpx_ne_u16_e32 0x80, v4
	s_cbranch_execz .LBB355_1721
; %bb.1716:                             ;   in Loop: Header=BB355_1581 Depth=1
	v_and_b32_e32 v4, 0x7f, v16
	v_mov_b32_e32 v2, 0x7f800001
	s_mov_b32 s16, exec_lo
	s_delay_alu instid0(VALU_DEP_2)
	v_cmpx_ne_u32_e32 0x7f, v4
	s_cbranch_execz .LBB355_1720
; %bb.1717:                             ;   in Loop: Header=BB355_1581 Depth=1
	v_mov_b64_e32 v[18:19], v[16:17]
	v_lshrrev_b32_e32 v2, 3, v4
	s_mov_b32 s17, exec_lo
	v_cmpx_gt_u32_e32 8, v4
; %bb.1718:                             ;   in Loop: Header=BB355_1581 Depth=1
	v_and_b32_e32 v2, 7, v16
	s_delay_alu instid0(VALU_DEP_1) | instskip(NEXT) | instid1(VALU_DEP_1)
	v_clz_i32_u32_e32 v2, v2
	v_min_u32_e32 v2, 32, v2
	s_delay_alu instid0(VALU_DEP_1) | instskip(SKIP_1) | instid1(VALU_DEP_2)
	v_subrev_nc_u32_e32 v4, 28, v2
	v_sub_nc_u32_e32 v2, 29, v2
	v_lshlrev_b64_e32 v[18:19], v4, v[16:17]
; %bb.1719:                             ;   in Loop: Header=BB355_1581 Depth=1
	s_or_b32 exec_lo, exec_lo, s17
	s_delay_alu instid0(VALU_DEP_1) | instskip(NEXT) | instid1(VALU_DEP_3)
	v_dual_lshlrev_b32 v4, 20, v18 :: v_dual_lshlrev_b32 v5, 24, v16
	v_lshl_add_u32 v2, v2, 23, 0x3c000000
	s_delay_alu instid0(VALU_DEP_2) | instskip(NEXT) | instid1(VALU_DEP_3)
	v_and_b32_e32 v4, 0x700000, v4
	v_and_b32_e32 v5, 0x80000000, v5
	s_delay_alu instid0(VALU_DEP_1)
	v_or3_b32 v2, v4, v5, v2
.LBB355_1720:                           ;   in Loop: Header=BB355_1581 Depth=1
	s_or_b32 exec_lo, exec_lo, s16
.LBB355_1721:                           ;   in Loop: Header=BB355_1581 Depth=1
	s_delay_alu instid0(SALU_CYCLE_1)
	s_or_b32 exec_lo, exec_lo, s15
.LBB355_1722:                           ;   in Loop: Header=BB355_1581 Depth=1
	s_delay_alu instid0(SALU_CYCLE_1) | instskip(SKIP_2) | instid1(VALU_DEP_1)
	s_or_b32 exec_lo, exec_lo, s14
	v_lshrrev_b16 v4, 8, v16
	s_mov_b32 s14, exec_lo
	v_cmpx_ne_u16_e32 0, v4
	s_cbranch_execz .LBB355_1730
; %bb.1723:                             ;   in Loop: Header=BB355_1581 Depth=1
	v_bfrev_b32_e32 v3, 1
	s_mov_b32 s15, exec_lo
	v_cmpx_ne_u16_e32 0x80, v4
	s_cbranch_execz .LBB355_1729
; %bb.1724:                             ;   in Loop: Header=BB355_1581 Depth=1
	v_and_b32_e32 v5, 0xffff, v4
	v_mov_b32_e32 v3, 0x7f800001
	s_mov_b32 s16, exec_lo
	s_delay_alu instid0(VALU_DEP_2) | instskip(NEXT) | instid1(VALU_DEP_1)
	v_and_b32_e32 v4, 0x7f, v5
	v_cmpx_ne_u32_e32 0x7f, v4
	s_cbranch_execz .LBB355_1728
; %bb.1725:                             ;   in Loop: Header=BB355_1581 Depth=1
	v_dual_lshrrev_b32 v3, 3, v4 :: v_dual_bitop2_b32 v26, 7, v5 bitop3:0x40
	s_mov_b32 s17, exec_lo
	s_delay_alu instid0(VALU_DEP_1)
	v_mov_b64_e32 v[18:19], v[26:27]
	v_cmpx_gt_u32_e32 8, v4
; %bb.1726:                             ;   in Loop: Header=BB355_1581 Depth=1
	v_clz_i32_u32_e32 v3, v26
	s_delay_alu instid0(VALU_DEP_1) | instskip(NEXT) | instid1(VALU_DEP_1)
	v_min_u32_e32 v3, 32, v3
	v_subrev_nc_u32_e32 v4, 28, v3
	s_delay_alu instid0(VALU_DEP_1) | instskip(NEXT) | instid1(VALU_DEP_1)
	v_lshlrev_b64_e32 v[4:5], v4, v[26:27]
	v_dual_sub_nc_u32 v3, 29, v3 :: v_dual_bitop2_b32 v18, 7, v4 bitop3:0x40
; %bb.1727:                             ;   in Loop: Header=BB355_1581 Depth=1
	s_or_b32 exec_lo, exec_lo, s17
	s_delay_alu instid0(VALU_DEP_1) | instskip(NEXT) | instid1(VALU_DEP_2)
	v_dual_lshlrev_b32 v4, 16, v16 :: v_dual_lshlrev_b32 v5, 20, v18
	v_lshl_add_u32 v3, v3, 23, 0x3c000000
	s_delay_alu instid0(VALU_DEP_2) | instskip(NEXT) | instid1(VALU_DEP_1)
	v_and_b32_e32 v4, 0x80000000, v4
	v_or3_b32 v3, v5, v4, v3
.LBB355_1728:                           ;   in Loop: Header=BB355_1581 Depth=1
	s_or_b32 exec_lo, exec_lo, s16
.LBB355_1729:                           ;   in Loop: Header=BB355_1581 Depth=1
	s_delay_alu instid0(SALU_CYCLE_1)
	s_or_b32 exec_lo, exec_lo, s15
.LBB355_1730:                           ;   in Loop: Header=BB355_1581 Depth=1
	s_delay_alu instid0(SALU_CYCLE_1) | instskip(SKIP_3) | instid1(VALU_DEP_2)
	s_or_b32 exec_lo, exec_lo, s14
	v_dual_mov_b32 v5, 0 :: v_dual_lshrrev_b32 v6, 16, v16
	v_mov_b32_e32 v4, 0
	s_mov_b32 s14, exec_lo
	v_and_b32_e32 v7, 0xff, v6
	s_delay_alu instid0(VALU_DEP_1)
	v_cmpx_ne_u16_e32 0, v7
	s_cbranch_execz .LBB355_1738
; %bb.1731:                             ;   in Loop: Header=BB355_1581 Depth=1
	v_bfrev_b32_e32 v4, 1
	s_mov_b32 s15, exec_lo
	v_cmpx_ne_u16_e32 0x80, v7
	s_cbranch_execz .LBB355_1737
; %bb.1732:                             ;   in Loop: Header=BB355_1581 Depth=1
	v_bfe_u32 v7, v16, 16, 7
	v_mov_b32_e32 v4, 0x7f800001
	s_mov_b32 s16, exec_lo
	s_delay_alu instid0(VALU_DEP_2)
	v_cmpx_ne_u32_e32 0x7f, v7
	s_cbranch_execz .LBB355_1736
; %bb.1733:                             ;   in Loop: Header=BB355_1581 Depth=1
	v_dual_lshrrev_b32 v4, 3, v7 :: v_dual_bitop2_b32 v26, 7, v6 bitop3:0x40
	s_mov_b32 s17, exec_lo
	s_delay_alu instid0(VALU_DEP_1)
	v_mov_b64_e32 v[18:19], v[26:27]
	v_cmpx_gt_u32_e32 8, v7
; %bb.1734:                             ;   in Loop: Header=BB355_1581 Depth=1
	v_clz_i32_u32_e32 v4, v26
	s_delay_alu instid0(VALU_DEP_1) | instskip(NEXT) | instid1(VALU_DEP_1)
	v_min_u32_e32 v4, 32, v4
	v_subrev_nc_u32_e32 v7, 28, v4
	v_sub_nc_u32_e32 v4, 29, v4
	s_delay_alu instid0(VALU_DEP_2) | instskip(NEXT) | instid1(VALU_DEP_1)
	v_lshlrev_b64_e32 v[8:9], v7, v[26:27]
	v_and_b32_e32 v18, 7, v8
; %bb.1735:                             ;   in Loop: Header=BB355_1581 Depth=1
	s_or_b32 exec_lo, exec_lo, s17
	v_lshlrev_b32_e32 v6, 24, v6
	s_delay_alu instid0(VALU_DEP_2) | instskip(SKIP_1) | instid1(VALU_DEP_3)
	v_lshlrev_b32_e32 v7, 20, v18
	v_lshl_add_u32 v4, v4, 23, 0x3c000000
	v_and_b32_e32 v6, 0x80000000, v6
	s_delay_alu instid0(VALU_DEP_1)
	v_or3_b32 v4, v7, v6, v4
.LBB355_1736:                           ;   in Loop: Header=BB355_1581 Depth=1
	s_or_b32 exec_lo, exec_lo, s16
.LBB355_1737:                           ;   in Loop: Header=BB355_1581 Depth=1
	s_delay_alu instid0(SALU_CYCLE_1)
	s_or_b32 exec_lo, exec_lo, s15
.LBB355_1738:                           ;   in Loop: Header=BB355_1581 Depth=1
	s_delay_alu instid0(SALU_CYCLE_1) | instskip(NEXT) | instid1(SALU_CYCLE_1)
	s_or_b32 exec_lo, exec_lo, s14
	s_mov_b32 s14, exec_lo
	v_cmpx_lt_u32_e32 0xffffff, v16
	s_cbranch_execz .LBB355_1746
; %bb.1739:                             ;   in Loop: Header=BB355_1581 Depth=1
	v_lshrrev_b32_e32 v6, 24, v16
	v_bfrev_b32_e32 v5, 1
	s_mov_b32 s15, exec_lo
	s_delay_alu instid0(VALU_DEP_2)
	v_cmpx_ne_u32_e32 0x80, v6
	s_cbranch_execz .LBB355_1745
; %bb.1740:                             ;   in Loop: Header=BB355_1581 Depth=1
	v_bfe_u32 v7, v16, 24, 7
	v_mov_b32_e32 v5, 0x7f800001
	s_mov_b32 s16, exec_lo
	s_delay_alu instid0(VALU_DEP_2)
	v_cmpx_ne_u32_e32 0x7f, v7
	s_cbranch_execz .LBB355_1744
; %bb.1741:                             ;   in Loop: Header=BB355_1581 Depth=1
	v_dual_lshrrev_b32 v5, 3, v7 :: v_dual_bitop2_b32 v26, 7, v6 bitop3:0x40
	s_mov_b32 s17, exec_lo
	s_delay_alu instid0(VALU_DEP_1)
	v_mov_b64_e32 v[18:19], v[26:27]
	v_cmpx_gt_u32_e32 8, v7
; %bb.1742:                             ;   in Loop: Header=BB355_1581 Depth=1
	v_clz_i32_u32_e32 v5, v26
	s_delay_alu instid0(VALU_DEP_1) | instskip(NEXT) | instid1(VALU_DEP_1)
	v_min_u32_e32 v5, 32, v5
	v_subrev_nc_u32_e32 v7, 28, v5
	s_delay_alu instid0(VALU_DEP_1) | instskip(NEXT) | instid1(VALU_DEP_1)
	v_lshlrev_b64_e32 v[8:9], v7, v[26:27]
	v_dual_sub_nc_u32 v5, 29, v5 :: v_dual_bitop2_b32 v18, 7, v8 bitop3:0x40
; %bb.1743:                             ;   in Loop: Header=BB355_1581 Depth=1
	s_or_b32 exec_lo, exec_lo, s17
	v_lshlrev_b32_e32 v6, 24, v6
	s_delay_alu instid0(VALU_DEP_2) | instskip(NEXT) | instid1(VALU_DEP_3)
	v_lshlrev_b32_e32 v7, 20, v18
	v_lshl_add_u32 v5, v5, 23, 0x3c000000
	s_delay_alu instid0(VALU_DEP_3) | instskip(NEXT) | instid1(VALU_DEP_1)
	v_and_b32_e32 v6, 0x80000000, v6
	v_or3_b32 v5, v7, v6, v5
.LBB355_1744:                           ;   in Loop: Header=BB355_1581 Depth=1
	s_or_b32 exec_lo, exec_lo, s16
.LBB355_1745:                           ;   in Loop: Header=BB355_1581 Depth=1
	s_delay_alu instid0(SALU_CYCLE_1)
	s_or_b32 exec_lo, exec_lo, s15
.LBB355_1746:                           ;   in Loop: Header=BB355_1581 Depth=1
	s_delay_alu instid0(SALU_CYCLE_1) | instskip(SKIP_4) | instid1(VALU_DEP_3)
	s_or_b32 exec_lo, exec_lo, s14
	v_and_b32_e32 v8, 0xff, v17
	v_dual_mov_b32 v26, v17 :: v_dual_mov_b32 v7, 0
	v_mov_b32_e32 v6, 0
	s_mov_b32 s14, exec_lo
	v_cmpx_ne_u16_e32 0, v8
	s_cbranch_execz .LBB355_1754
; %bb.1747:                             ;   in Loop: Header=BB355_1581 Depth=1
	v_bfrev_b32_e32 v6, 1
	s_mov_b32 s15, exec_lo
	v_cmpx_ne_u16_e32 0x80, v8
	s_cbranch_execz .LBB355_1753
; %bb.1748:                             ;   in Loop: Header=BB355_1581 Depth=1
	v_and_b32_e32 v8, 0x7f, v17
	v_mov_b32_e32 v6, 0x7f800001
	s_mov_b32 s16, exec_lo
	s_delay_alu instid0(VALU_DEP_2)
	v_cmpx_ne_u32_e32 0x7f, v8
	s_cbranch_execz .LBB355_1752
; %bb.1749:                             ;   in Loop: Header=BB355_1581 Depth=1
	v_mov_b64_e32 v[18:19], v[26:27]
	v_lshrrev_b32_e32 v6, 3, v8
	s_mov_b32 s17, exec_lo
	v_cmpx_gt_u32_e32 8, v8
; %bb.1750:                             ;   in Loop: Header=BB355_1581 Depth=1
	v_and_b32_e32 v6, 7, v17
	s_delay_alu instid0(VALU_DEP_1) | instskip(NEXT) | instid1(VALU_DEP_1)
	v_clz_i32_u32_e32 v6, v6
	v_min_u32_e32 v6, 32, v6
	s_delay_alu instid0(VALU_DEP_1) | instskip(SKIP_1) | instid1(VALU_DEP_2)
	v_subrev_nc_u32_e32 v8, 28, v6
	v_sub_nc_u32_e32 v6, 29, v6
	v_lshlrev_b64_e32 v[18:19], v8, v[26:27]
; %bb.1751:                             ;   in Loop: Header=BB355_1581 Depth=1
	s_or_b32 exec_lo, exec_lo, s17
	s_delay_alu instid0(VALU_DEP_1) | instskip(SKIP_2) | instid1(VALU_DEP_3)
	v_lshlrev_b32_e32 v8, 20, v18
	v_lshlrev_b32_e32 v9, 24, v26
	v_lshl_add_u32 v6, v6, 23, 0x3c000000
	v_and_b32_e32 v8, 0x700000, v8
	s_delay_alu instid0(VALU_DEP_3) | instskip(NEXT) | instid1(VALU_DEP_1)
	v_and_b32_e32 v9, 0x80000000, v9
	v_or3_b32 v6, v8, v9, v6
.LBB355_1752:                           ;   in Loop: Header=BB355_1581 Depth=1
	s_or_b32 exec_lo, exec_lo, s16
.LBB355_1753:                           ;   in Loop: Header=BB355_1581 Depth=1
	s_delay_alu instid0(SALU_CYCLE_1)
	s_or_b32 exec_lo, exec_lo, s15
.LBB355_1754:                           ;   in Loop: Header=BB355_1581 Depth=1
	s_delay_alu instid0(SALU_CYCLE_1) | instskip(SKIP_2) | instid1(VALU_DEP_1)
	s_or_b32 exec_lo, exec_lo, s14
	v_lshrrev_b16 v8, 8, v26
	s_mov_b32 s14, exec_lo
	v_cmpx_ne_u16_e32 0, v8
	s_cbranch_execz .LBB355_1762
; %bb.1755:                             ;   in Loop: Header=BB355_1581 Depth=1
	v_bfrev_b32_e32 v7, 1
	s_mov_b32 s15, exec_lo
	v_cmpx_ne_u16_e32 0x80, v8
	s_cbranch_execz .LBB355_1761
; %bb.1756:                             ;   in Loop: Header=BB355_1581 Depth=1
	v_and_b32_e32 v9, 0xffff, v8
	v_mov_b32_e32 v7, 0x7f800001
	s_mov_b32 s16, exec_lo
	s_delay_alu instid0(VALU_DEP_2) | instskip(NEXT) | instid1(VALU_DEP_1)
	v_and_b32_e32 v8, 0x7f, v9
	v_cmpx_ne_u32_e32 0x7f, v8
	s_cbranch_execz .LBB355_1760
; %bb.1757:                             ;   in Loop: Header=BB355_1581 Depth=1
	v_dual_mov_b32 v19, v27 :: v_dual_bitop2_b32 v18, 7, v9 bitop3:0x40
	v_lshrrev_b32_e32 v7, 3, v8
	s_mov_b32 s17, exec_lo
	v_cmpx_gt_u32_e32 8, v8
; %bb.1758:                             ;   in Loop: Header=BB355_1581 Depth=1
	s_delay_alu instid0(VALU_DEP_3) | instskip(NEXT) | instid1(VALU_DEP_1)
	v_clz_i32_u32_e32 v7, v18
	v_min_u32_e32 v7, 32, v7
	s_delay_alu instid0(VALU_DEP_1) | instskip(NEXT) | instid1(VALU_DEP_1)
	v_subrev_nc_u32_e32 v8, 28, v7
	v_lshlrev_b64_e32 v[8:9], v8, v[18:19]
	s_delay_alu instid0(VALU_DEP_1)
	v_dual_sub_nc_u32 v7, 29, v7 :: v_dual_bitop2_b32 v18, 7, v8 bitop3:0x40
; %bb.1759:                             ;   in Loop: Header=BB355_1581 Depth=1
	s_or_b32 exec_lo, exec_lo, s17
	v_lshlrev_b32_e32 v8, 16, v26
	s_delay_alu instid0(VALU_DEP_2) | instskip(NEXT) | instid1(VALU_DEP_3)
	v_lshlrev_b32_e32 v9, 20, v18
	v_lshl_add_u32 v7, v7, 23, 0x3c000000
	s_delay_alu instid0(VALU_DEP_3) | instskip(NEXT) | instid1(VALU_DEP_1)
	v_and_b32_e32 v8, 0x80000000, v8
	v_or3_b32 v7, v9, v8, v7
.LBB355_1760:                           ;   in Loop: Header=BB355_1581 Depth=1
	s_or_b32 exec_lo, exec_lo, s16
.LBB355_1761:                           ;   in Loop: Header=BB355_1581 Depth=1
	s_delay_alu instid0(SALU_CYCLE_1)
	s_or_b32 exec_lo, exec_lo, s15
.LBB355_1762:                           ;   in Loop: Header=BB355_1581 Depth=1
	s_delay_alu instid0(SALU_CYCLE_1) | instskip(SKIP_3) | instid1(VALU_DEP_2)
	s_or_b32 exec_lo, exec_lo, s14
	v_dual_lshrrev_b32 v10, 16, v17 :: v_dual_mov_b32 v8, 0
	v_mov_b32_e32 v9, 0
	s_mov_b32 s14, exec_lo
	v_and_b32_e32 v11, 0xff, v10
	s_delay_alu instid0(VALU_DEP_1)
	v_cmpx_ne_u16_e32 0, v11
	s_cbranch_execz .LBB355_1770
; %bb.1763:                             ;   in Loop: Header=BB355_1581 Depth=1
	v_bfrev_b32_e32 v9, 1
	s_mov_b32 s15, exec_lo
	v_cmpx_ne_u16_e32 0x80, v11
	s_cbranch_execz .LBB355_1769
; %bb.1764:                             ;   in Loop: Header=BB355_1581 Depth=1
	v_bfe_u32 v11, v17, 16, 7
	v_mov_b32_e32 v9, 0x7f800001
	s_mov_b32 s16, exec_lo
	s_delay_alu instid0(VALU_DEP_2)
	v_cmpx_ne_u32_e32 0x7f, v11
	s_cbranch_execz .LBB355_1768
; %bb.1765:                             ;   in Loop: Header=BB355_1581 Depth=1
	v_dual_lshrrev_b32 v9, 3, v11 :: v_dual_bitop2_b32 v26, 7, v10 bitop3:0x40
	s_mov_b32 s17, exec_lo
	s_delay_alu instid0(VALU_DEP_1)
	v_mov_b64_e32 v[18:19], v[26:27]
	v_cmpx_gt_u32_e32 8, v11
; %bb.1766:                             ;   in Loop: Header=BB355_1581 Depth=1
	v_clz_i32_u32_e32 v9, v26
	s_delay_alu instid0(VALU_DEP_1) | instskip(NEXT) | instid1(VALU_DEP_1)
	v_min_u32_e32 v9, 32, v9
	v_subrev_nc_u32_e32 v11, 28, v9
	s_delay_alu instid0(VALU_DEP_1) | instskip(NEXT) | instid1(VALU_DEP_1)
	v_lshlrev_b64_e32 v[12:13], v11, v[26:27]
	v_dual_sub_nc_u32 v9, 29, v9 :: v_dual_bitop2_b32 v18, 7, v12 bitop3:0x40
; %bb.1767:                             ;   in Loop: Header=BB355_1581 Depth=1
	s_or_b32 exec_lo, exec_lo, s17
	v_lshlrev_b32_e32 v10, 24, v10
	s_delay_alu instid0(VALU_DEP_2) | instskip(NEXT) | instid1(VALU_DEP_3)
	v_lshlrev_b32_e32 v11, 20, v18
	v_lshl_add_u32 v9, v9, 23, 0x3c000000
	s_delay_alu instid0(VALU_DEP_3) | instskip(NEXT) | instid1(VALU_DEP_1)
	v_and_b32_e32 v10, 0x80000000, v10
	v_or3_b32 v9, v11, v10, v9
.LBB355_1768:                           ;   in Loop: Header=BB355_1581 Depth=1
	s_or_b32 exec_lo, exec_lo, s16
.LBB355_1769:                           ;   in Loop: Header=BB355_1581 Depth=1
	s_delay_alu instid0(SALU_CYCLE_1)
	s_or_b32 exec_lo, exec_lo, s15
.LBB355_1770:                           ;   in Loop: Header=BB355_1581 Depth=1
	s_delay_alu instid0(SALU_CYCLE_1) | instskip(NEXT) | instid1(SALU_CYCLE_1)
	s_or_b32 exec_lo, exec_lo, s14
	s_mov_b32 s14, exec_lo
	v_cmpx_lt_u64_e64 s[2:3], v[16:17]
	s_cbranch_execz .LBB355_1778
; %bb.1771:                             ;   in Loop: Header=BB355_1581 Depth=1
	v_lshrrev_b32_e32 v10, 24, v17
	v_bfrev_b32_e32 v8, 1
	s_mov_b32 s15, exec_lo
	s_delay_alu instid0(VALU_DEP_2)
	v_cmpx_ne_u32_e32 0x80, v10
	s_cbranch_execz .LBB355_1777
; %bb.1772:                             ;   in Loop: Header=BB355_1581 Depth=1
	v_bfe_u32 v11, v17, 24, 7
	v_mov_b32_e32 v8, 0x7f800001
	s_mov_b32 s16, exec_lo
	s_delay_alu instid0(VALU_DEP_2)
	v_cmpx_ne_u32_e32 0x7f, v11
	s_cbranch_execz .LBB355_1776
; %bb.1773:                             ;   in Loop: Header=BB355_1581 Depth=1
	v_dual_lshrrev_b32 v8, 3, v11 :: v_dual_bitop2_b32 v26, 7, v10 bitop3:0x40
	s_mov_b32 s17, exec_lo
	s_delay_alu instid0(VALU_DEP_1)
	v_mov_b64_e32 v[16:17], v[26:27]
	v_cmpx_gt_u32_e32 8, v11
; %bb.1774:                             ;   in Loop: Header=BB355_1581 Depth=1
	v_clz_i32_u32_e32 v8, v26
	s_delay_alu instid0(VALU_DEP_1) | instskip(NEXT) | instid1(VALU_DEP_1)
	v_min_u32_e32 v8, 32, v8
	v_subrev_nc_u32_e32 v11, 28, v8
	v_sub_nc_u32_e32 v8, 29, v8
	s_delay_alu instid0(VALU_DEP_2) | instskip(NEXT) | instid1(VALU_DEP_1)
	v_lshlrev_b64_e32 v[12:13], v11, v[26:27]
	v_and_b32_e32 v16, 7, v12
; %bb.1775:                             ;   in Loop: Header=BB355_1581 Depth=1
	s_or_b32 exec_lo, exec_lo, s17
	s_delay_alu instid0(VALU_DEP_1) | instskip(SKIP_1) | instid1(VALU_DEP_2)
	v_dual_lshlrev_b32 v10, 24, v10 :: v_dual_lshlrev_b32 v11, 20, v16
	v_lshl_add_u32 v8, v8, 23, 0x3c000000
	v_and_b32_e32 v10, 0x80000000, v10
	s_delay_alu instid0(VALU_DEP_1)
	v_or3_b32 v8, v11, v10, v8
.LBB355_1776:                           ;   in Loop: Header=BB355_1581 Depth=1
	s_or_b32 exec_lo, exec_lo, s16
.LBB355_1777:                           ;   in Loop: Header=BB355_1581 Depth=1
	s_delay_alu instid0(SALU_CYCLE_1)
	s_or_b32 exec_lo, exec_lo, s15
.LBB355_1778:                           ;   in Loop: Header=BB355_1581 Depth=1
	s_delay_alu instid0(SALU_CYCLE_1)
	s_or_b32 exec_lo, exec_lo, s14
	v_fma_mixlo_bf16 v2, v116, v2, 0
	v_fma_mixlo_bf16 v7, v116, v7, 0
	v_fma_mixlo_bf16 v6, v116, v6, 0
	v_fma_mixlo_bf16 v5, v116, v5, 0
	v_fma_mixlo_bf16 v4, v116, v4, 0
	scratch_store_b32 off, v2, s32 offset:376 ; 4-byte Folded Spill
	s_wait_xcnt 0x0
	v_fma_mixlo_bf16 v2, v116, v9, 0
	s_clause 0x1
	scratch_store_b32 off, v7, s32 offset:320
	scratch_store_b32 off, v6, s32 offset:328
	v_fma_mixlo_bf16 v3, v116, v3, 0
	s_clause 0x1
	scratch_store_b32 off, v5, s32 offset:352
	scratch_store_b32 off, v2, s32 offset:336
	s_wait_xcnt 0x0
	v_fma_mixlo_bf16 v2, v116, v8, 0
	s_clause 0x2
	scratch_store_b32 off, v4, s32 offset:360
	scratch_store_b32 off, v3, s32 offset:368
	;; [unrolled: 1-line block ×3, first 2 shown]
	s_wait_xcnt 0x0
	s_and_saveexec_b32 s14, vcc_lo
	s_cbranch_execz .LBB355_1780
; %bb.1779:                             ;   in Loop: Header=BB355_1581 Depth=1
	scratch_load_b32 v2, off, s32 offset:376 ; 4-byte Folded Reload
	v_cmp_lt_i32_e64 s0, v115, v119
	s_wait_loadcnt 0x0
	s_delay_alu instid0(VALU_DEP_1)
	v_cndmask_b32_e64 v2, 0, v2, s0
	v_cmp_lt_i32_e64 s0, v59, v119
	s_clause 0x1
	scratch_store_b32 off, v2, s32 offset:376
	scratch_load_b32 v2, off, s32 offset:368
	s_wait_loadcnt 0x0
	v_cndmask_b32_e64 v2, 0, v2, s0
	v_cmp_lt_i32_e64 s0, v58, v119
	s_clause 0x1
	scratch_store_b32 off, v2, s32 offset:368
	scratch_load_b32 v2, off, s32 offset:360
	s_wait_loadcnt 0x0
	;; [unrolled: 6-line block ×7, first 2 shown]
	v_cndmask_b32_e64 v2, 0, v2, s0
	scratch_store_b32 off, v2, s32 offset:344 ; 4-byte Folded Spill
.LBB355_1780:                           ;   in Loop: Header=BB355_1581 Depth=1
	s_wait_xcnt 0x0
	s_or_b32 exec_lo, exec_lo, s14
	flat_load_b64 v[16:17], v[0:1] offset:768
	v_dual_mov_b32 v3, 0 :: v_dual_mov_b32 v2, 0
	s_mov_b32 s14, exec_lo
	s_wait_loadcnt_dscnt 0x0
	v_and_b32_e32 v4, 0xff, v16
	s_wait_xcnt 0x0
	s_delay_alu instid0(VALU_DEP_1)
	v_cmpx_ne_u16_e32 0, v4
	s_cbranch_execz .LBB355_1788
; %bb.1781:                             ;   in Loop: Header=BB355_1581 Depth=1
	v_bfrev_b32_e32 v2, 1
	s_mov_b32 s15, exec_lo
	v_cmpx_ne_u16_e32 0x80, v4
	s_cbranch_execz .LBB355_1787
; %bb.1782:                             ;   in Loop: Header=BB355_1581 Depth=1
	v_and_b32_e32 v4, 0x7f, v16
	v_mov_b32_e32 v2, 0x7f800001
	s_mov_b32 s16, exec_lo
	s_delay_alu instid0(VALU_DEP_2)
	v_cmpx_ne_u32_e32 0x7f, v4
	s_cbranch_execz .LBB355_1786
; %bb.1783:                             ;   in Loop: Header=BB355_1581 Depth=1
	v_mov_b64_e32 v[18:19], v[16:17]
	v_lshrrev_b32_e32 v2, 3, v4
	s_mov_b32 s17, exec_lo
	v_cmpx_gt_u32_e32 8, v4
; %bb.1784:                             ;   in Loop: Header=BB355_1581 Depth=1
	v_and_b32_e32 v2, 7, v16
	s_delay_alu instid0(VALU_DEP_1) | instskip(NEXT) | instid1(VALU_DEP_1)
	v_clz_i32_u32_e32 v2, v2
	v_min_u32_e32 v2, 32, v2
	s_delay_alu instid0(VALU_DEP_1) | instskip(SKIP_1) | instid1(VALU_DEP_2)
	v_subrev_nc_u32_e32 v4, 28, v2
	v_sub_nc_u32_e32 v2, 29, v2
	v_lshlrev_b64_e32 v[18:19], v4, v[16:17]
; %bb.1785:                             ;   in Loop: Header=BB355_1581 Depth=1
	s_or_b32 exec_lo, exec_lo, s17
	s_delay_alu instid0(VALU_DEP_1) | instskip(NEXT) | instid1(VALU_DEP_3)
	v_dual_lshlrev_b32 v4, 20, v18 :: v_dual_lshlrev_b32 v5, 24, v16
	v_lshl_add_u32 v2, v2, 23, 0x3c000000
	s_delay_alu instid0(VALU_DEP_2) | instskip(NEXT) | instid1(VALU_DEP_3)
	v_and_b32_e32 v4, 0x700000, v4
	v_and_b32_e32 v5, 0x80000000, v5
	s_delay_alu instid0(VALU_DEP_1)
	v_or3_b32 v2, v4, v5, v2
.LBB355_1786:                           ;   in Loop: Header=BB355_1581 Depth=1
	s_or_b32 exec_lo, exec_lo, s16
.LBB355_1787:                           ;   in Loop: Header=BB355_1581 Depth=1
	s_delay_alu instid0(SALU_CYCLE_1)
	s_or_b32 exec_lo, exec_lo, s15
.LBB355_1788:                           ;   in Loop: Header=BB355_1581 Depth=1
	s_delay_alu instid0(SALU_CYCLE_1) | instskip(SKIP_2) | instid1(VALU_DEP_1)
	s_or_b32 exec_lo, exec_lo, s14
	v_lshrrev_b16 v4, 8, v16
	s_mov_b32 s14, exec_lo
	v_cmpx_ne_u16_e32 0, v4
	s_cbranch_execz .LBB355_1796
; %bb.1789:                             ;   in Loop: Header=BB355_1581 Depth=1
	v_bfrev_b32_e32 v3, 1
	s_mov_b32 s15, exec_lo
	v_cmpx_ne_u16_e32 0x80, v4
	s_cbranch_execz .LBB355_1795
; %bb.1790:                             ;   in Loop: Header=BB355_1581 Depth=1
	v_and_b32_e32 v5, 0xffff, v4
	v_mov_b32_e32 v3, 0x7f800001
	s_mov_b32 s16, exec_lo
	s_delay_alu instid0(VALU_DEP_2) | instskip(NEXT) | instid1(VALU_DEP_1)
	v_and_b32_e32 v4, 0x7f, v5
	v_cmpx_ne_u32_e32 0x7f, v4
	s_cbranch_execz .LBB355_1794
; %bb.1791:                             ;   in Loop: Header=BB355_1581 Depth=1
	v_dual_lshrrev_b32 v3, 3, v4 :: v_dual_bitop2_b32 v26, 7, v5 bitop3:0x40
	s_mov_b32 s17, exec_lo
	s_delay_alu instid0(VALU_DEP_1)
	v_mov_b64_e32 v[18:19], v[26:27]
	v_cmpx_gt_u32_e32 8, v4
; %bb.1792:                             ;   in Loop: Header=BB355_1581 Depth=1
	v_clz_i32_u32_e32 v3, v26
	s_delay_alu instid0(VALU_DEP_1) | instskip(NEXT) | instid1(VALU_DEP_1)
	v_min_u32_e32 v3, 32, v3
	v_subrev_nc_u32_e32 v4, 28, v3
	s_delay_alu instid0(VALU_DEP_1) | instskip(NEXT) | instid1(VALU_DEP_1)
	v_lshlrev_b64_e32 v[4:5], v4, v[26:27]
	v_dual_sub_nc_u32 v3, 29, v3 :: v_dual_bitop2_b32 v18, 7, v4 bitop3:0x40
; %bb.1793:                             ;   in Loop: Header=BB355_1581 Depth=1
	s_or_b32 exec_lo, exec_lo, s17
	s_delay_alu instid0(VALU_DEP_1) | instskip(NEXT) | instid1(VALU_DEP_2)
	v_dual_lshlrev_b32 v4, 16, v16 :: v_dual_lshlrev_b32 v5, 20, v18
	v_lshl_add_u32 v3, v3, 23, 0x3c000000
	s_delay_alu instid0(VALU_DEP_2) | instskip(NEXT) | instid1(VALU_DEP_1)
	v_and_b32_e32 v4, 0x80000000, v4
	v_or3_b32 v3, v5, v4, v3
.LBB355_1794:                           ;   in Loop: Header=BB355_1581 Depth=1
	s_or_b32 exec_lo, exec_lo, s16
.LBB355_1795:                           ;   in Loop: Header=BB355_1581 Depth=1
	s_delay_alu instid0(SALU_CYCLE_1)
	s_or_b32 exec_lo, exec_lo, s15
.LBB355_1796:                           ;   in Loop: Header=BB355_1581 Depth=1
	s_delay_alu instid0(SALU_CYCLE_1) | instskip(SKIP_3) | instid1(VALU_DEP_2)
	s_or_b32 exec_lo, exec_lo, s14
	v_dual_mov_b32 v5, 0 :: v_dual_lshrrev_b32 v6, 16, v16
	v_mov_b32_e32 v4, 0
	s_mov_b32 s14, exec_lo
	v_and_b32_e32 v7, 0xff, v6
	s_delay_alu instid0(VALU_DEP_1)
	v_cmpx_ne_u16_e32 0, v7
	s_cbranch_execz .LBB355_1804
; %bb.1797:                             ;   in Loop: Header=BB355_1581 Depth=1
	v_bfrev_b32_e32 v4, 1
	s_mov_b32 s15, exec_lo
	v_cmpx_ne_u16_e32 0x80, v7
	s_cbranch_execz .LBB355_1803
; %bb.1798:                             ;   in Loop: Header=BB355_1581 Depth=1
	v_bfe_u32 v7, v16, 16, 7
	v_mov_b32_e32 v4, 0x7f800001
	s_mov_b32 s16, exec_lo
	s_delay_alu instid0(VALU_DEP_2)
	v_cmpx_ne_u32_e32 0x7f, v7
	s_cbranch_execz .LBB355_1802
; %bb.1799:                             ;   in Loop: Header=BB355_1581 Depth=1
	v_dual_lshrrev_b32 v4, 3, v7 :: v_dual_bitop2_b32 v26, 7, v6 bitop3:0x40
	s_mov_b32 s17, exec_lo
	s_delay_alu instid0(VALU_DEP_1)
	v_mov_b64_e32 v[18:19], v[26:27]
	v_cmpx_gt_u32_e32 8, v7
; %bb.1800:                             ;   in Loop: Header=BB355_1581 Depth=1
	v_clz_i32_u32_e32 v4, v26
	s_delay_alu instid0(VALU_DEP_1) | instskip(NEXT) | instid1(VALU_DEP_1)
	v_min_u32_e32 v4, 32, v4
	v_subrev_nc_u32_e32 v7, 28, v4
	v_sub_nc_u32_e32 v4, 29, v4
	s_delay_alu instid0(VALU_DEP_2) | instskip(NEXT) | instid1(VALU_DEP_1)
	v_lshlrev_b64_e32 v[8:9], v7, v[26:27]
	v_and_b32_e32 v18, 7, v8
; %bb.1801:                             ;   in Loop: Header=BB355_1581 Depth=1
	s_or_b32 exec_lo, exec_lo, s17
	v_lshlrev_b32_e32 v6, 24, v6
	s_delay_alu instid0(VALU_DEP_2) | instskip(SKIP_1) | instid1(VALU_DEP_3)
	v_lshlrev_b32_e32 v7, 20, v18
	v_lshl_add_u32 v4, v4, 23, 0x3c000000
	v_and_b32_e32 v6, 0x80000000, v6
	s_delay_alu instid0(VALU_DEP_1)
	v_or3_b32 v4, v7, v6, v4
.LBB355_1802:                           ;   in Loop: Header=BB355_1581 Depth=1
	s_or_b32 exec_lo, exec_lo, s16
.LBB355_1803:                           ;   in Loop: Header=BB355_1581 Depth=1
	s_delay_alu instid0(SALU_CYCLE_1)
	s_or_b32 exec_lo, exec_lo, s15
.LBB355_1804:                           ;   in Loop: Header=BB355_1581 Depth=1
	s_delay_alu instid0(SALU_CYCLE_1) | instskip(NEXT) | instid1(SALU_CYCLE_1)
	s_or_b32 exec_lo, exec_lo, s14
	s_mov_b32 s14, exec_lo
	v_cmpx_lt_u32_e32 0xffffff, v16
	s_cbranch_execz .LBB355_1812
; %bb.1805:                             ;   in Loop: Header=BB355_1581 Depth=1
	v_lshrrev_b32_e32 v6, 24, v16
	v_bfrev_b32_e32 v5, 1
	s_mov_b32 s15, exec_lo
	s_delay_alu instid0(VALU_DEP_2)
	v_cmpx_ne_u32_e32 0x80, v6
	s_cbranch_execz .LBB355_1811
; %bb.1806:                             ;   in Loop: Header=BB355_1581 Depth=1
	v_bfe_u32 v7, v16, 24, 7
	v_mov_b32_e32 v5, 0x7f800001
	s_mov_b32 s16, exec_lo
	s_delay_alu instid0(VALU_DEP_2)
	v_cmpx_ne_u32_e32 0x7f, v7
	s_cbranch_execz .LBB355_1810
; %bb.1807:                             ;   in Loop: Header=BB355_1581 Depth=1
	v_dual_lshrrev_b32 v5, 3, v7 :: v_dual_bitop2_b32 v26, 7, v6 bitop3:0x40
	s_mov_b32 s17, exec_lo
	s_delay_alu instid0(VALU_DEP_1)
	v_mov_b64_e32 v[18:19], v[26:27]
	v_cmpx_gt_u32_e32 8, v7
; %bb.1808:                             ;   in Loop: Header=BB355_1581 Depth=1
	v_clz_i32_u32_e32 v5, v26
	s_delay_alu instid0(VALU_DEP_1) | instskip(NEXT) | instid1(VALU_DEP_1)
	v_min_u32_e32 v5, 32, v5
	v_subrev_nc_u32_e32 v7, 28, v5
	s_delay_alu instid0(VALU_DEP_1) | instskip(NEXT) | instid1(VALU_DEP_1)
	v_lshlrev_b64_e32 v[8:9], v7, v[26:27]
	v_dual_sub_nc_u32 v5, 29, v5 :: v_dual_bitop2_b32 v18, 7, v8 bitop3:0x40
; %bb.1809:                             ;   in Loop: Header=BB355_1581 Depth=1
	s_or_b32 exec_lo, exec_lo, s17
	v_lshlrev_b32_e32 v6, 24, v6
	s_delay_alu instid0(VALU_DEP_2) | instskip(NEXT) | instid1(VALU_DEP_3)
	v_lshlrev_b32_e32 v7, 20, v18
	v_lshl_add_u32 v5, v5, 23, 0x3c000000
	s_delay_alu instid0(VALU_DEP_3) | instskip(NEXT) | instid1(VALU_DEP_1)
	v_and_b32_e32 v6, 0x80000000, v6
	v_or3_b32 v5, v7, v6, v5
.LBB355_1810:                           ;   in Loop: Header=BB355_1581 Depth=1
	s_or_b32 exec_lo, exec_lo, s16
.LBB355_1811:                           ;   in Loop: Header=BB355_1581 Depth=1
	s_delay_alu instid0(SALU_CYCLE_1)
	s_or_b32 exec_lo, exec_lo, s15
.LBB355_1812:                           ;   in Loop: Header=BB355_1581 Depth=1
	s_delay_alu instid0(SALU_CYCLE_1) | instskip(SKIP_4) | instid1(VALU_DEP_3)
	s_or_b32 exec_lo, exec_lo, s14
	v_and_b32_e32 v8, 0xff, v17
	v_dual_mov_b32 v26, v17 :: v_dual_mov_b32 v7, 0
	v_mov_b32_e32 v6, 0
	s_mov_b32 s14, exec_lo
	v_cmpx_ne_u16_e32 0, v8
	s_cbranch_execz .LBB355_1820
; %bb.1813:                             ;   in Loop: Header=BB355_1581 Depth=1
	v_bfrev_b32_e32 v6, 1
	s_mov_b32 s15, exec_lo
	v_cmpx_ne_u16_e32 0x80, v8
	s_cbranch_execz .LBB355_1819
; %bb.1814:                             ;   in Loop: Header=BB355_1581 Depth=1
	v_and_b32_e32 v8, 0x7f, v17
	v_mov_b32_e32 v6, 0x7f800001
	s_mov_b32 s16, exec_lo
	s_delay_alu instid0(VALU_DEP_2)
	v_cmpx_ne_u32_e32 0x7f, v8
	s_cbranch_execz .LBB355_1818
; %bb.1815:                             ;   in Loop: Header=BB355_1581 Depth=1
	v_mov_b64_e32 v[18:19], v[26:27]
	v_lshrrev_b32_e32 v6, 3, v8
	s_mov_b32 s17, exec_lo
	v_cmpx_gt_u32_e32 8, v8
; %bb.1816:                             ;   in Loop: Header=BB355_1581 Depth=1
	v_and_b32_e32 v6, 7, v17
	s_delay_alu instid0(VALU_DEP_1) | instskip(NEXT) | instid1(VALU_DEP_1)
	v_clz_i32_u32_e32 v6, v6
	v_min_u32_e32 v6, 32, v6
	s_delay_alu instid0(VALU_DEP_1) | instskip(SKIP_1) | instid1(VALU_DEP_2)
	v_subrev_nc_u32_e32 v8, 28, v6
	v_sub_nc_u32_e32 v6, 29, v6
	v_lshlrev_b64_e32 v[18:19], v8, v[26:27]
; %bb.1817:                             ;   in Loop: Header=BB355_1581 Depth=1
	s_or_b32 exec_lo, exec_lo, s17
	s_delay_alu instid0(VALU_DEP_1) | instskip(SKIP_2) | instid1(VALU_DEP_3)
	v_lshlrev_b32_e32 v8, 20, v18
	v_lshlrev_b32_e32 v9, 24, v26
	v_lshl_add_u32 v6, v6, 23, 0x3c000000
	v_and_b32_e32 v8, 0x700000, v8
	s_delay_alu instid0(VALU_DEP_3) | instskip(NEXT) | instid1(VALU_DEP_1)
	v_and_b32_e32 v9, 0x80000000, v9
	v_or3_b32 v6, v8, v9, v6
.LBB355_1818:                           ;   in Loop: Header=BB355_1581 Depth=1
	s_or_b32 exec_lo, exec_lo, s16
.LBB355_1819:                           ;   in Loop: Header=BB355_1581 Depth=1
	s_delay_alu instid0(SALU_CYCLE_1)
	s_or_b32 exec_lo, exec_lo, s15
.LBB355_1820:                           ;   in Loop: Header=BB355_1581 Depth=1
	s_delay_alu instid0(SALU_CYCLE_1) | instskip(SKIP_2) | instid1(VALU_DEP_1)
	s_or_b32 exec_lo, exec_lo, s14
	v_lshrrev_b16 v8, 8, v26
	s_mov_b32 s14, exec_lo
	v_cmpx_ne_u16_e32 0, v8
	s_cbranch_execz .LBB355_1828
; %bb.1821:                             ;   in Loop: Header=BB355_1581 Depth=1
	v_bfrev_b32_e32 v7, 1
	s_mov_b32 s15, exec_lo
	v_cmpx_ne_u16_e32 0x80, v8
	s_cbranch_execz .LBB355_1827
; %bb.1822:                             ;   in Loop: Header=BB355_1581 Depth=1
	v_and_b32_e32 v9, 0xffff, v8
	v_mov_b32_e32 v7, 0x7f800001
	s_mov_b32 s16, exec_lo
	s_delay_alu instid0(VALU_DEP_2) | instskip(NEXT) | instid1(VALU_DEP_1)
	v_and_b32_e32 v8, 0x7f, v9
	v_cmpx_ne_u32_e32 0x7f, v8
	s_cbranch_execz .LBB355_1826
; %bb.1823:                             ;   in Loop: Header=BB355_1581 Depth=1
	v_dual_mov_b32 v19, v27 :: v_dual_bitop2_b32 v18, 7, v9 bitop3:0x40
	v_lshrrev_b32_e32 v7, 3, v8
	s_mov_b32 s17, exec_lo
	v_cmpx_gt_u32_e32 8, v8
; %bb.1824:                             ;   in Loop: Header=BB355_1581 Depth=1
	s_delay_alu instid0(VALU_DEP_3) | instskip(NEXT) | instid1(VALU_DEP_1)
	v_clz_i32_u32_e32 v7, v18
	v_min_u32_e32 v7, 32, v7
	s_delay_alu instid0(VALU_DEP_1) | instskip(NEXT) | instid1(VALU_DEP_1)
	v_subrev_nc_u32_e32 v8, 28, v7
	v_lshlrev_b64_e32 v[8:9], v8, v[18:19]
	s_delay_alu instid0(VALU_DEP_1)
	v_dual_sub_nc_u32 v7, 29, v7 :: v_dual_bitop2_b32 v18, 7, v8 bitop3:0x40
; %bb.1825:                             ;   in Loop: Header=BB355_1581 Depth=1
	s_or_b32 exec_lo, exec_lo, s17
	v_lshlrev_b32_e32 v8, 16, v26
	s_delay_alu instid0(VALU_DEP_2) | instskip(NEXT) | instid1(VALU_DEP_3)
	v_lshlrev_b32_e32 v9, 20, v18
	v_lshl_add_u32 v7, v7, 23, 0x3c000000
	s_delay_alu instid0(VALU_DEP_3) | instskip(NEXT) | instid1(VALU_DEP_1)
	v_and_b32_e32 v8, 0x80000000, v8
	v_or3_b32 v7, v9, v8, v7
.LBB355_1826:                           ;   in Loop: Header=BB355_1581 Depth=1
	s_or_b32 exec_lo, exec_lo, s16
.LBB355_1827:                           ;   in Loop: Header=BB355_1581 Depth=1
	s_delay_alu instid0(SALU_CYCLE_1)
	s_or_b32 exec_lo, exec_lo, s15
.LBB355_1828:                           ;   in Loop: Header=BB355_1581 Depth=1
	s_delay_alu instid0(SALU_CYCLE_1) | instskip(SKIP_3) | instid1(VALU_DEP_2)
	s_or_b32 exec_lo, exec_lo, s14
	v_dual_lshrrev_b32 v10, 16, v17 :: v_dual_mov_b32 v8, 0
	v_mov_b32_e32 v9, 0
	s_mov_b32 s14, exec_lo
	v_and_b32_e32 v11, 0xff, v10
	s_delay_alu instid0(VALU_DEP_1)
	v_cmpx_ne_u16_e32 0, v11
	s_cbranch_execz .LBB355_1836
; %bb.1829:                             ;   in Loop: Header=BB355_1581 Depth=1
	v_bfrev_b32_e32 v9, 1
	s_mov_b32 s15, exec_lo
	v_cmpx_ne_u16_e32 0x80, v11
	s_cbranch_execz .LBB355_1835
; %bb.1830:                             ;   in Loop: Header=BB355_1581 Depth=1
	v_bfe_u32 v11, v17, 16, 7
	v_mov_b32_e32 v9, 0x7f800001
	s_mov_b32 s16, exec_lo
	s_delay_alu instid0(VALU_DEP_2)
	v_cmpx_ne_u32_e32 0x7f, v11
	s_cbranch_execz .LBB355_1834
; %bb.1831:                             ;   in Loop: Header=BB355_1581 Depth=1
	v_dual_lshrrev_b32 v9, 3, v11 :: v_dual_bitop2_b32 v26, 7, v10 bitop3:0x40
	s_mov_b32 s17, exec_lo
	s_delay_alu instid0(VALU_DEP_1)
	v_mov_b64_e32 v[18:19], v[26:27]
	v_cmpx_gt_u32_e32 8, v11
; %bb.1832:                             ;   in Loop: Header=BB355_1581 Depth=1
	v_clz_i32_u32_e32 v9, v26
	s_delay_alu instid0(VALU_DEP_1) | instskip(NEXT) | instid1(VALU_DEP_1)
	v_min_u32_e32 v9, 32, v9
	v_subrev_nc_u32_e32 v11, 28, v9
	s_delay_alu instid0(VALU_DEP_1) | instskip(NEXT) | instid1(VALU_DEP_1)
	v_lshlrev_b64_e32 v[12:13], v11, v[26:27]
	v_dual_sub_nc_u32 v9, 29, v9 :: v_dual_bitop2_b32 v18, 7, v12 bitop3:0x40
; %bb.1833:                             ;   in Loop: Header=BB355_1581 Depth=1
	s_or_b32 exec_lo, exec_lo, s17
	v_lshlrev_b32_e32 v10, 24, v10
	s_delay_alu instid0(VALU_DEP_2) | instskip(NEXT) | instid1(VALU_DEP_3)
	v_lshlrev_b32_e32 v11, 20, v18
	v_lshl_add_u32 v9, v9, 23, 0x3c000000
	s_delay_alu instid0(VALU_DEP_3) | instskip(NEXT) | instid1(VALU_DEP_1)
	v_and_b32_e32 v10, 0x80000000, v10
	v_or3_b32 v9, v11, v10, v9
.LBB355_1834:                           ;   in Loop: Header=BB355_1581 Depth=1
	s_or_b32 exec_lo, exec_lo, s16
.LBB355_1835:                           ;   in Loop: Header=BB355_1581 Depth=1
	s_delay_alu instid0(SALU_CYCLE_1)
	s_or_b32 exec_lo, exec_lo, s15
.LBB355_1836:                           ;   in Loop: Header=BB355_1581 Depth=1
	s_delay_alu instid0(SALU_CYCLE_1) | instskip(NEXT) | instid1(SALU_CYCLE_1)
	s_or_b32 exec_lo, exec_lo, s14
	s_mov_b32 s14, exec_lo
	v_cmpx_lt_u64_e64 s[2:3], v[16:17]
	s_cbranch_execz .LBB355_1844
; %bb.1837:                             ;   in Loop: Header=BB355_1581 Depth=1
	v_lshrrev_b32_e32 v10, 24, v17
	v_bfrev_b32_e32 v8, 1
	s_mov_b32 s15, exec_lo
	s_delay_alu instid0(VALU_DEP_2)
	v_cmpx_ne_u32_e32 0x80, v10
	s_cbranch_execz .LBB355_1843
; %bb.1838:                             ;   in Loop: Header=BB355_1581 Depth=1
	v_bfe_u32 v11, v17, 24, 7
	v_mov_b32_e32 v8, 0x7f800001
	s_mov_b32 s16, exec_lo
	s_delay_alu instid0(VALU_DEP_2)
	v_cmpx_ne_u32_e32 0x7f, v11
	s_cbranch_execz .LBB355_1842
; %bb.1839:                             ;   in Loop: Header=BB355_1581 Depth=1
	v_dual_lshrrev_b32 v8, 3, v11 :: v_dual_bitop2_b32 v26, 7, v10 bitop3:0x40
	s_mov_b32 s17, exec_lo
	s_delay_alu instid0(VALU_DEP_1)
	v_mov_b64_e32 v[16:17], v[26:27]
	v_cmpx_gt_u32_e32 8, v11
; %bb.1840:                             ;   in Loop: Header=BB355_1581 Depth=1
	v_clz_i32_u32_e32 v8, v26
	s_delay_alu instid0(VALU_DEP_1) | instskip(NEXT) | instid1(VALU_DEP_1)
	v_min_u32_e32 v8, 32, v8
	v_subrev_nc_u32_e32 v11, 28, v8
	v_sub_nc_u32_e32 v8, 29, v8
	s_delay_alu instid0(VALU_DEP_2) | instskip(NEXT) | instid1(VALU_DEP_1)
	v_lshlrev_b64_e32 v[12:13], v11, v[26:27]
	v_and_b32_e32 v16, 7, v12
; %bb.1841:                             ;   in Loop: Header=BB355_1581 Depth=1
	s_or_b32 exec_lo, exec_lo, s17
	s_delay_alu instid0(VALU_DEP_1) | instskip(SKIP_1) | instid1(VALU_DEP_2)
	v_dual_lshlrev_b32 v10, 24, v10 :: v_dual_lshlrev_b32 v11, 20, v16
	v_lshl_add_u32 v8, v8, 23, 0x3c000000
	v_and_b32_e32 v10, 0x80000000, v10
	s_delay_alu instid0(VALU_DEP_1)
	v_or3_b32 v8, v11, v10, v8
.LBB355_1842:                           ;   in Loop: Header=BB355_1581 Depth=1
	s_or_b32 exec_lo, exec_lo, s16
.LBB355_1843:                           ;   in Loop: Header=BB355_1581 Depth=1
	s_delay_alu instid0(SALU_CYCLE_1)
	s_or_b32 exec_lo, exec_lo, s15
.LBB355_1844:                           ;   in Loop: Header=BB355_1581 Depth=1
	s_delay_alu instid0(SALU_CYCLE_1)
	s_or_b32 exec_lo, exec_lo, s14
	v_fma_mixlo_bf16 v2, v116, v2, 0
	v_fma_mixlo_bf16 v6, v116, v6, 0
	;; [unrolled: 1-line block ×5, first 2 shown]
	scratch_store_b32 off, v2, s32 offset:452 ; 4-byte Folded Spill
	s_wait_xcnt 0x0
	v_fma_mixlo_bf16 v2, v116, v9, 0
	scratch_store_b32 off, v6, s32 offset:384 ; 4-byte Folded Spill
	v_fma_mixlo_bf16 v3, v116, v3, 0
	s_clause 0x1
	scratch_store_b32 off, v5, s32 offset:412
	scratch_store_b32 off, v2, s32 offset:392
	s_wait_xcnt 0x0
	v_fma_mixlo_bf16 v2, v116, v8, 0
	s_clause 0x2
	scratch_store_b32 off, v4, s32 offset:444
	scratch_store_b32 off, v3, s32 offset:448
	;; [unrolled: 1-line block ×3, first 2 shown]
	s_wait_xcnt 0x0
	s_and_saveexec_b32 s14, vcc_lo
	s_cbranch_execz .LBB355_1846
; %bb.1845:                             ;   in Loop: Header=BB355_1581 Depth=1
	scratch_load_b32 v2, off, s32 offset:452 ; 4-byte Folded Reload
	v_cmp_lt_i32_e64 s0, v115, v119
	s_wait_loadcnt 0x0
	s_delay_alu instid0(VALU_DEP_1)
	v_cndmask_b32_e64 v2, 0, v2, s0
	v_cmp_lt_i32_e64 s0, v59, v119
	s_clause 0x1
	scratch_store_b32 off, v2, s32 offset:452
	scratch_load_b32 v2, off, s32 offset:448
	s_wait_loadcnt 0x0
	v_cndmask_b32_e64 v2, 0, v2, s0
	v_cmp_lt_i32_e64 s0, v58, v119
	s_clause 0x1
	scratch_store_b32 off, v2, s32 offset:448
	scratch_load_b32 v2, off, s32 offset:444
	s_wait_loadcnt 0x0
	;; [unrolled: 6-line block ×4, first 2 shown]
	v_cndmask_b32_e64 v2, 0, v2, s0
	v_cmp_lt_i32_e64 s0, v41, v119
	s_clause 0x1
	scratch_store_b32 off, v2, s32 offset:384
	scratch_load_b32 v2, off, s32 offset:392
	v_cndmask_b32_e64 v85, 0, v85, s0
	v_cmp_lt_i32_e64 s0, v94, v119
	s_wait_loadcnt 0x0
	s_delay_alu instid0(VALU_DEP_1)
	v_cndmask_b32_e64 v2, 0, v2, s0
	v_cmp_lt_i32_e64 s0, v45, v119
	s_clause 0x1
	scratch_store_b32 off, v2, s32 offset:392
	scratch_load_b32 v2, off, s32 offset:400
	s_wait_loadcnt 0x0
	v_cndmask_b32_e64 v2, 0, v2, s0
	scratch_store_b32 off, v2, s32 offset:400 ; 4-byte Folded Spill
.LBB355_1846:                           ;   in Loop: Header=BB355_1581 Depth=1
	s_wait_xcnt 0x0
	s_or_b32 exec_lo, exec_lo, s14
	flat_load_b64 v[16:17], v[0:1] offset:1024
	v_dual_mov_b32 v3, 0 :: v_dual_mov_b32 v2, 0
	s_mov_b32 s14, exec_lo
	s_wait_loadcnt_dscnt 0x0
	v_and_b32_e32 v4, 0xff, v16
	s_wait_xcnt 0x0
	s_delay_alu instid0(VALU_DEP_1)
	v_cmpx_ne_u16_e32 0, v4
	s_cbranch_execz .LBB355_1854
; %bb.1847:                             ;   in Loop: Header=BB355_1581 Depth=1
	v_bfrev_b32_e32 v2, 1
	s_mov_b32 s15, exec_lo
	v_cmpx_ne_u16_e32 0x80, v4
	s_cbranch_execz .LBB355_1853
; %bb.1848:                             ;   in Loop: Header=BB355_1581 Depth=1
	v_and_b32_e32 v4, 0x7f, v16
	v_mov_b32_e32 v2, 0x7f800001
	s_mov_b32 s16, exec_lo
	s_delay_alu instid0(VALU_DEP_2)
	v_cmpx_ne_u32_e32 0x7f, v4
	s_cbranch_execz .LBB355_1852
; %bb.1849:                             ;   in Loop: Header=BB355_1581 Depth=1
	v_mov_b64_e32 v[18:19], v[16:17]
	v_lshrrev_b32_e32 v2, 3, v4
	s_mov_b32 s17, exec_lo
	v_cmpx_gt_u32_e32 8, v4
; %bb.1850:                             ;   in Loop: Header=BB355_1581 Depth=1
	v_and_b32_e32 v2, 7, v16
	s_delay_alu instid0(VALU_DEP_1) | instskip(NEXT) | instid1(VALU_DEP_1)
	v_clz_i32_u32_e32 v2, v2
	v_min_u32_e32 v2, 32, v2
	s_delay_alu instid0(VALU_DEP_1) | instskip(SKIP_1) | instid1(VALU_DEP_2)
	v_subrev_nc_u32_e32 v4, 28, v2
	v_sub_nc_u32_e32 v2, 29, v2
	v_lshlrev_b64_e32 v[18:19], v4, v[16:17]
; %bb.1851:                             ;   in Loop: Header=BB355_1581 Depth=1
	s_or_b32 exec_lo, exec_lo, s17
	s_delay_alu instid0(VALU_DEP_1) | instskip(NEXT) | instid1(VALU_DEP_3)
	v_dual_lshlrev_b32 v4, 20, v18 :: v_dual_lshlrev_b32 v5, 24, v16
	v_lshl_add_u32 v2, v2, 23, 0x3c000000
	s_delay_alu instid0(VALU_DEP_2) | instskip(NEXT) | instid1(VALU_DEP_3)
	v_and_b32_e32 v4, 0x700000, v4
	v_and_b32_e32 v5, 0x80000000, v5
	s_delay_alu instid0(VALU_DEP_1)
	v_or3_b32 v2, v4, v5, v2
.LBB355_1852:                           ;   in Loop: Header=BB355_1581 Depth=1
	s_or_b32 exec_lo, exec_lo, s16
.LBB355_1853:                           ;   in Loop: Header=BB355_1581 Depth=1
	s_delay_alu instid0(SALU_CYCLE_1)
	s_or_b32 exec_lo, exec_lo, s15
.LBB355_1854:                           ;   in Loop: Header=BB355_1581 Depth=1
	s_delay_alu instid0(SALU_CYCLE_1) | instskip(SKIP_2) | instid1(VALU_DEP_1)
	s_or_b32 exec_lo, exec_lo, s14
	v_lshrrev_b16 v4, 8, v16
	s_mov_b32 s14, exec_lo
	v_cmpx_ne_u16_e32 0, v4
	s_cbranch_execz .LBB355_1862
; %bb.1855:                             ;   in Loop: Header=BB355_1581 Depth=1
	v_bfrev_b32_e32 v3, 1
	s_mov_b32 s15, exec_lo
	v_cmpx_ne_u16_e32 0x80, v4
	s_cbranch_execz .LBB355_1861
; %bb.1856:                             ;   in Loop: Header=BB355_1581 Depth=1
	v_and_b32_e32 v5, 0xffff, v4
	v_mov_b32_e32 v3, 0x7f800001
	s_mov_b32 s16, exec_lo
	s_delay_alu instid0(VALU_DEP_2) | instskip(NEXT) | instid1(VALU_DEP_1)
	v_and_b32_e32 v4, 0x7f, v5
	v_cmpx_ne_u32_e32 0x7f, v4
	s_cbranch_execz .LBB355_1860
; %bb.1857:                             ;   in Loop: Header=BB355_1581 Depth=1
	v_dual_lshrrev_b32 v3, 3, v4 :: v_dual_bitop2_b32 v26, 7, v5 bitop3:0x40
	s_mov_b32 s17, exec_lo
	s_delay_alu instid0(VALU_DEP_1)
	v_mov_b64_e32 v[18:19], v[26:27]
	v_cmpx_gt_u32_e32 8, v4
; %bb.1858:                             ;   in Loop: Header=BB355_1581 Depth=1
	v_clz_i32_u32_e32 v3, v26
	s_delay_alu instid0(VALU_DEP_1) | instskip(NEXT) | instid1(VALU_DEP_1)
	v_min_u32_e32 v3, 32, v3
	v_subrev_nc_u32_e32 v4, 28, v3
	s_delay_alu instid0(VALU_DEP_1) | instskip(NEXT) | instid1(VALU_DEP_1)
	v_lshlrev_b64_e32 v[4:5], v4, v[26:27]
	v_dual_sub_nc_u32 v3, 29, v3 :: v_dual_bitop2_b32 v18, 7, v4 bitop3:0x40
; %bb.1859:                             ;   in Loop: Header=BB355_1581 Depth=1
	s_or_b32 exec_lo, exec_lo, s17
	s_delay_alu instid0(VALU_DEP_1) | instskip(NEXT) | instid1(VALU_DEP_2)
	v_dual_lshlrev_b32 v4, 16, v16 :: v_dual_lshlrev_b32 v5, 20, v18
	v_lshl_add_u32 v3, v3, 23, 0x3c000000
	s_delay_alu instid0(VALU_DEP_2) | instskip(NEXT) | instid1(VALU_DEP_1)
	v_and_b32_e32 v4, 0x80000000, v4
	v_or3_b32 v3, v5, v4, v3
.LBB355_1860:                           ;   in Loop: Header=BB355_1581 Depth=1
	s_or_b32 exec_lo, exec_lo, s16
.LBB355_1861:                           ;   in Loop: Header=BB355_1581 Depth=1
	s_delay_alu instid0(SALU_CYCLE_1)
	s_or_b32 exec_lo, exec_lo, s15
.LBB355_1862:                           ;   in Loop: Header=BB355_1581 Depth=1
	s_delay_alu instid0(SALU_CYCLE_1) | instskip(SKIP_3) | instid1(VALU_DEP_2)
	s_or_b32 exec_lo, exec_lo, s14
	v_dual_mov_b32 v5, 0 :: v_dual_lshrrev_b32 v6, 16, v16
	v_mov_b32_e32 v4, 0
	s_mov_b32 s14, exec_lo
	v_and_b32_e32 v7, 0xff, v6
	s_delay_alu instid0(VALU_DEP_1)
	v_cmpx_ne_u16_e32 0, v7
	s_cbranch_execz .LBB355_1870
; %bb.1863:                             ;   in Loop: Header=BB355_1581 Depth=1
	v_bfrev_b32_e32 v4, 1
	s_mov_b32 s15, exec_lo
	v_cmpx_ne_u16_e32 0x80, v7
	s_cbranch_execz .LBB355_1869
; %bb.1864:                             ;   in Loop: Header=BB355_1581 Depth=1
	v_bfe_u32 v7, v16, 16, 7
	v_mov_b32_e32 v4, 0x7f800001
	s_mov_b32 s16, exec_lo
	s_delay_alu instid0(VALU_DEP_2)
	v_cmpx_ne_u32_e32 0x7f, v7
	s_cbranch_execz .LBB355_1868
; %bb.1865:                             ;   in Loop: Header=BB355_1581 Depth=1
	v_dual_lshrrev_b32 v4, 3, v7 :: v_dual_bitop2_b32 v26, 7, v6 bitop3:0x40
	s_mov_b32 s17, exec_lo
	s_delay_alu instid0(VALU_DEP_1)
	v_mov_b64_e32 v[18:19], v[26:27]
	v_cmpx_gt_u32_e32 8, v7
; %bb.1866:                             ;   in Loop: Header=BB355_1581 Depth=1
	v_clz_i32_u32_e32 v4, v26
	s_delay_alu instid0(VALU_DEP_1) | instskip(NEXT) | instid1(VALU_DEP_1)
	v_min_u32_e32 v4, 32, v4
	v_subrev_nc_u32_e32 v7, 28, v4
	v_sub_nc_u32_e32 v4, 29, v4
	s_delay_alu instid0(VALU_DEP_2) | instskip(NEXT) | instid1(VALU_DEP_1)
	v_lshlrev_b64_e32 v[8:9], v7, v[26:27]
	v_and_b32_e32 v18, 7, v8
; %bb.1867:                             ;   in Loop: Header=BB355_1581 Depth=1
	s_or_b32 exec_lo, exec_lo, s17
	v_lshlrev_b32_e32 v6, 24, v6
	s_delay_alu instid0(VALU_DEP_2) | instskip(SKIP_1) | instid1(VALU_DEP_3)
	v_lshlrev_b32_e32 v7, 20, v18
	v_lshl_add_u32 v4, v4, 23, 0x3c000000
	v_and_b32_e32 v6, 0x80000000, v6
	s_delay_alu instid0(VALU_DEP_1)
	v_or3_b32 v4, v7, v6, v4
.LBB355_1868:                           ;   in Loop: Header=BB355_1581 Depth=1
	s_or_b32 exec_lo, exec_lo, s16
.LBB355_1869:                           ;   in Loop: Header=BB355_1581 Depth=1
	s_delay_alu instid0(SALU_CYCLE_1)
	s_or_b32 exec_lo, exec_lo, s15
.LBB355_1870:                           ;   in Loop: Header=BB355_1581 Depth=1
	s_delay_alu instid0(SALU_CYCLE_1) | instskip(NEXT) | instid1(SALU_CYCLE_1)
	s_or_b32 exec_lo, exec_lo, s14
	s_mov_b32 s14, exec_lo
	v_cmpx_lt_u32_e32 0xffffff, v16
	s_cbranch_execz .LBB355_1878
; %bb.1871:                             ;   in Loop: Header=BB355_1581 Depth=1
	v_lshrrev_b32_e32 v6, 24, v16
	v_bfrev_b32_e32 v5, 1
	s_mov_b32 s15, exec_lo
	s_delay_alu instid0(VALU_DEP_2)
	v_cmpx_ne_u32_e32 0x80, v6
	s_cbranch_execz .LBB355_1877
; %bb.1872:                             ;   in Loop: Header=BB355_1581 Depth=1
	v_bfe_u32 v7, v16, 24, 7
	v_mov_b32_e32 v5, 0x7f800001
	s_mov_b32 s16, exec_lo
	s_delay_alu instid0(VALU_DEP_2)
	v_cmpx_ne_u32_e32 0x7f, v7
	s_cbranch_execz .LBB355_1876
; %bb.1873:                             ;   in Loop: Header=BB355_1581 Depth=1
	v_dual_lshrrev_b32 v5, 3, v7 :: v_dual_bitop2_b32 v26, 7, v6 bitop3:0x40
	s_mov_b32 s17, exec_lo
	s_delay_alu instid0(VALU_DEP_1)
	v_mov_b64_e32 v[18:19], v[26:27]
	v_cmpx_gt_u32_e32 8, v7
; %bb.1874:                             ;   in Loop: Header=BB355_1581 Depth=1
	v_clz_i32_u32_e32 v5, v26
	s_delay_alu instid0(VALU_DEP_1) | instskip(NEXT) | instid1(VALU_DEP_1)
	v_min_u32_e32 v5, 32, v5
	v_subrev_nc_u32_e32 v7, 28, v5
	s_delay_alu instid0(VALU_DEP_1) | instskip(NEXT) | instid1(VALU_DEP_1)
	v_lshlrev_b64_e32 v[8:9], v7, v[26:27]
	v_dual_sub_nc_u32 v5, 29, v5 :: v_dual_bitop2_b32 v18, 7, v8 bitop3:0x40
; %bb.1875:                             ;   in Loop: Header=BB355_1581 Depth=1
	s_or_b32 exec_lo, exec_lo, s17
	v_lshlrev_b32_e32 v6, 24, v6
	s_delay_alu instid0(VALU_DEP_2) | instskip(NEXT) | instid1(VALU_DEP_3)
	v_lshlrev_b32_e32 v7, 20, v18
	v_lshl_add_u32 v5, v5, 23, 0x3c000000
	s_delay_alu instid0(VALU_DEP_3) | instskip(NEXT) | instid1(VALU_DEP_1)
	v_and_b32_e32 v6, 0x80000000, v6
	v_or3_b32 v5, v7, v6, v5
.LBB355_1876:                           ;   in Loop: Header=BB355_1581 Depth=1
	s_or_b32 exec_lo, exec_lo, s16
.LBB355_1877:                           ;   in Loop: Header=BB355_1581 Depth=1
	s_delay_alu instid0(SALU_CYCLE_1)
	s_or_b32 exec_lo, exec_lo, s15
.LBB355_1878:                           ;   in Loop: Header=BB355_1581 Depth=1
	s_delay_alu instid0(SALU_CYCLE_1) | instskip(SKIP_4) | instid1(VALU_DEP_3)
	s_or_b32 exec_lo, exec_lo, s14
	v_and_b32_e32 v8, 0xff, v17
	v_dual_mov_b32 v26, v17 :: v_dual_mov_b32 v7, 0
	v_mov_b32_e32 v6, 0
	s_mov_b32 s14, exec_lo
	v_cmpx_ne_u16_e32 0, v8
	s_cbranch_execz .LBB355_1886
; %bb.1879:                             ;   in Loop: Header=BB355_1581 Depth=1
	v_bfrev_b32_e32 v6, 1
	s_mov_b32 s15, exec_lo
	v_cmpx_ne_u16_e32 0x80, v8
	s_cbranch_execz .LBB355_1885
; %bb.1880:                             ;   in Loop: Header=BB355_1581 Depth=1
	v_and_b32_e32 v8, 0x7f, v17
	v_mov_b32_e32 v6, 0x7f800001
	s_mov_b32 s16, exec_lo
	s_delay_alu instid0(VALU_DEP_2)
	v_cmpx_ne_u32_e32 0x7f, v8
	s_cbranch_execz .LBB355_1884
; %bb.1881:                             ;   in Loop: Header=BB355_1581 Depth=1
	v_mov_b64_e32 v[18:19], v[26:27]
	v_lshrrev_b32_e32 v6, 3, v8
	s_mov_b32 s17, exec_lo
	v_cmpx_gt_u32_e32 8, v8
; %bb.1882:                             ;   in Loop: Header=BB355_1581 Depth=1
	v_and_b32_e32 v6, 7, v17
	s_delay_alu instid0(VALU_DEP_1) | instskip(NEXT) | instid1(VALU_DEP_1)
	v_clz_i32_u32_e32 v6, v6
	v_min_u32_e32 v6, 32, v6
	s_delay_alu instid0(VALU_DEP_1) | instskip(SKIP_1) | instid1(VALU_DEP_2)
	v_subrev_nc_u32_e32 v8, 28, v6
	v_sub_nc_u32_e32 v6, 29, v6
	v_lshlrev_b64_e32 v[18:19], v8, v[26:27]
; %bb.1883:                             ;   in Loop: Header=BB355_1581 Depth=1
	s_or_b32 exec_lo, exec_lo, s17
	s_delay_alu instid0(VALU_DEP_1) | instskip(SKIP_2) | instid1(VALU_DEP_3)
	v_lshlrev_b32_e32 v8, 20, v18
	v_lshlrev_b32_e32 v9, 24, v26
	v_lshl_add_u32 v6, v6, 23, 0x3c000000
	v_and_b32_e32 v8, 0x700000, v8
	s_delay_alu instid0(VALU_DEP_3) | instskip(NEXT) | instid1(VALU_DEP_1)
	v_and_b32_e32 v9, 0x80000000, v9
	v_or3_b32 v6, v8, v9, v6
.LBB355_1884:                           ;   in Loop: Header=BB355_1581 Depth=1
	s_or_b32 exec_lo, exec_lo, s16
.LBB355_1885:                           ;   in Loop: Header=BB355_1581 Depth=1
	s_delay_alu instid0(SALU_CYCLE_1)
	s_or_b32 exec_lo, exec_lo, s15
.LBB355_1886:                           ;   in Loop: Header=BB355_1581 Depth=1
	s_delay_alu instid0(SALU_CYCLE_1) | instskip(SKIP_2) | instid1(VALU_DEP_1)
	s_or_b32 exec_lo, exec_lo, s14
	v_lshrrev_b16 v8, 8, v26
	s_mov_b32 s14, exec_lo
	v_cmpx_ne_u16_e32 0, v8
	s_cbranch_execz .LBB355_1894
; %bb.1887:                             ;   in Loop: Header=BB355_1581 Depth=1
	v_bfrev_b32_e32 v7, 1
	s_mov_b32 s15, exec_lo
	v_cmpx_ne_u16_e32 0x80, v8
	s_cbranch_execz .LBB355_1893
; %bb.1888:                             ;   in Loop: Header=BB355_1581 Depth=1
	v_and_b32_e32 v9, 0xffff, v8
	v_mov_b32_e32 v7, 0x7f800001
	s_mov_b32 s16, exec_lo
	s_delay_alu instid0(VALU_DEP_2) | instskip(NEXT) | instid1(VALU_DEP_1)
	v_and_b32_e32 v8, 0x7f, v9
	v_cmpx_ne_u32_e32 0x7f, v8
	s_cbranch_execz .LBB355_1892
; %bb.1889:                             ;   in Loop: Header=BB355_1581 Depth=1
	v_dual_mov_b32 v19, v27 :: v_dual_bitop2_b32 v18, 7, v9 bitop3:0x40
	v_lshrrev_b32_e32 v7, 3, v8
	s_mov_b32 s17, exec_lo
	v_cmpx_gt_u32_e32 8, v8
; %bb.1890:                             ;   in Loop: Header=BB355_1581 Depth=1
	s_delay_alu instid0(VALU_DEP_3) | instskip(NEXT) | instid1(VALU_DEP_1)
	v_clz_i32_u32_e32 v7, v18
	v_min_u32_e32 v7, 32, v7
	s_delay_alu instid0(VALU_DEP_1) | instskip(NEXT) | instid1(VALU_DEP_1)
	v_subrev_nc_u32_e32 v8, 28, v7
	v_lshlrev_b64_e32 v[8:9], v8, v[18:19]
	s_delay_alu instid0(VALU_DEP_1)
	v_dual_sub_nc_u32 v7, 29, v7 :: v_dual_bitop2_b32 v18, 7, v8 bitop3:0x40
; %bb.1891:                             ;   in Loop: Header=BB355_1581 Depth=1
	s_or_b32 exec_lo, exec_lo, s17
	v_lshlrev_b32_e32 v8, 16, v26
	s_delay_alu instid0(VALU_DEP_2) | instskip(NEXT) | instid1(VALU_DEP_3)
	v_lshlrev_b32_e32 v9, 20, v18
	v_lshl_add_u32 v7, v7, 23, 0x3c000000
	s_delay_alu instid0(VALU_DEP_3) | instskip(NEXT) | instid1(VALU_DEP_1)
	v_and_b32_e32 v8, 0x80000000, v8
	v_or3_b32 v7, v9, v8, v7
.LBB355_1892:                           ;   in Loop: Header=BB355_1581 Depth=1
	s_or_b32 exec_lo, exec_lo, s16
.LBB355_1893:                           ;   in Loop: Header=BB355_1581 Depth=1
	s_delay_alu instid0(SALU_CYCLE_1)
	s_or_b32 exec_lo, exec_lo, s15
.LBB355_1894:                           ;   in Loop: Header=BB355_1581 Depth=1
	s_delay_alu instid0(SALU_CYCLE_1) | instskip(SKIP_3) | instid1(VALU_DEP_2)
	s_or_b32 exec_lo, exec_lo, s14
	v_dual_lshrrev_b32 v10, 16, v17 :: v_dual_mov_b32 v8, 0
	v_mov_b32_e32 v9, 0
	s_mov_b32 s14, exec_lo
	v_and_b32_e32 v11, 0xff, v10
	s_delay_alu instid0(VALU_DEP_1)
	v_cmpx_ne_u16_e32 0, v11
	s_cbranch_execz .LBB355_1902
; %bb.1895:                             ;   in Loop: Header=BB355_1581 Depth=1
	v_bfrev_b32_e32 v9, 1
	s_mov_b32 s15, exec_lo
	v_cmpx_ne_u16_e32 0x80, v11
	s_cbranch_execz .LBB355_1901
; %bb.1896:                             ;   in Loop: Header=BB355_1581 Depth=1
	v_bfe_u32 v11, v17, 16, 7
	v_mov_b32_e32 v9, 0x7f800001
	s_mov_b32 s16, exec_lo
	s_delay_alu instid0(VALU_DEP_2)
	v_cmpx_ne_u32_e32 0x7f, v11
	s_cbranch_execz .LBB355_1900
; %bb.1897:                             ;   in Loop: Header=BB355_1581 Depth=1
	v_dual_lshrrev_b32 v9, 3, v11 :: v_dual_bitop2_b32 v26, 7, v10 bitop3:0x40
	s_mov_b32 s17, exec_lo
	s_delay_alu instid0(VALU_DEP_1)
	v_mov_b64_e32 v[18:19], v[26:27]
	v_cmpx_gt_u32_e32 8, v11
; %bb.1898:                             ;   in Loop: Header=BB355_1581 Depth=1
	v_clz_i32_u32_e32 v9, v26
	s_delay_alu instid0(VALU_DEP_1) | instskip(NEXT) | instid1(VALU_DEP_1)
	v_min_u32_e32 v9, 32, v9
	v_subrev_nc_u32_e32 v11, 28, v9
	s_delay_alu instid0(VALU_DEP_1) | instskip(NEXT) | instid1(VALU_DEP_1)
	v_lshlrev_b64_e32 v[12:13], v11, v[26:27]
	v_dual_sub_nc_u32 v9, 29, v9 :: v_dual_bitop2_b32 v18, 7, v12 bitop3:0x40
; %bb.1899:                             ;   in Loop: Header=BB355_1581 Depth=1
	s_or_b32 exec_lo, exec_lo, s17
	v_lshlrev_b32_e32 v10, 24, v10
	s_delay_alu instid0(VALU_DEP_2) | instskip(NEXT) | instid1(VALU_DEP_3)
	v_lshlrev_b32_e32 v11, 20, v18
	v_lshl_add_u32 v9, v9, 23, 0x3c000000
	s_delay_alu instid0(VALU_DEP_3) | instskip(NEXT) | instid1(VALU_DEP_1)
	v_and_b32_e32 v10, 0x80000000, v10
	v_or3_b32 v9, v11, v10, v9
.LBB355_1900:                           ;   in Loop: Header=BB355_1581 Depth=1
	s_or_b32 exec_lo, exec_lo, s16
.LBB355_1901:                           ;   in Loop: Header=BB355_1581 Depth=1
	s_delay_alu instid0(SALU_CYCLE_1)
	s_or_b32 exec_lo, exec_lo, s15
.LBB355_1902:                           ;   in Loop: Header=BB355_1581 Depth=1
	s_delay_alu instid0(SALU_CYCLE_1) | instskip(NEXT) | instid1(SALU_CYCLE_1)
	s_or_b32 exec_lo, exec_lo, s14
	s_mov_b32 s14, exec_lo
	v_cmpx_lt_u64_e64 s[2:3], v[16:17]
	s_cbranch_execz .LBB355_1910
; %bb.1903:                             ;   in Loop: Header=BB355_1581 Depth=1
	v_lshrrev_b32_e32 v10, 24, v17
	v_bfrev_b32_e32 v8, 1
	s_mov_b32 s15, exec_lo
	s_delay_alu instid0(VALU_DEP_2)
	v_cmpx_ne_u32_e32 0x80, v10
	s_cbranch_execz .LBB355_1909
; %bb.1904:                             ;   in Loop: Header=BB355_1581 Depth=1
	v_bfe_u32 v11, v17, 24, 7
	v_mov_b32_e32 v8, 0x7f800001
	s_mov_b32 s16, exec_lo
	s_delay_alu instid0(VALU_DEP_2)
	v_cmpx_ne_u32_e32 0x7f, v11
	s_cbranch_execz .LBB355_1908
; %bb.1905:                             ;   in Loop: Header=BB355_1581 Depth=1
	v_dual_lshrrev_b32 v8, 3, v11 :: v_dual_bitop2_b32 v26, 7, v10 bitop3:0x40
	s_mov_b32 s17, exec_lo
	s_delay_alu instid0(VALU_DEP_1)
	v_mov_b64_e32 v[16:17], v[26:27]
	v_cmpx_gt_u32_e32 8, v11
; %bb.1906:                             ;   in Loop: Header=BB355_1581 Depth=1
	v_clz_i32_u32_e32 v8, v26
	s_delay_alu instid0(VALU_DEP_1) | instskip(NEXT) | instid1(VALU_DEP_1)
	v_min_u32_e32 v8, 32, v8
	v_subrev_nc_u32_e32 v11, 28, v8
	v_sub_nc_u32_e32 v8, 29, v8
	s_delay_alu instid0(VALU_DEP_2) | instskip(NEXT) | instid1(VALU_DEP_1)
	v_lshlrev_b64_e32 v[12:13], v11, v[26:27]
	v_and_b32_e32 v16, 7, v12
; %bb.1907:                             ;   in Loop: Header=BB355_1581 Depth=1
	s_or_b32 exec_lo, exec_lo, s17
	s_delay_alu instid0(VALU_DEP_1) | instskip(SKIP_1) | instid1(VALU_DEP_2)
	v_dual_lshlrev_b32 v10, 24, v10 :: v_dual_lshlrev_b32 v11, 20, v16
	v_lshl_add_u32 v8, v8, 23, 0x3c000000
	v_and_b32_e32 v10, 0x80000000, v10
	s_delay_alu instid0(VALU_DEP_1)
	v_or3_b32 v8, v11, v10, v8
.LBB355_1908:                           ;   in Loop: Header=BB355_1581 Depth=1
	s_or_b32 exec_lo, exec_lo, s16
.LBB355_1909:                           ;   in Loop: Header=BB355_1581 Depth=1
	s_delay_alu instid0(SALU_CYCLE_1)
	s_or_b32 exec_lo, exec_lo, s15
.LBB355_1910:                           ;   in Loop: Header=BB355_1581 Depth=1
	s_delay_alu instid0(SALU_CYCLE_1)
	s_or_b32 exec_lo, exec_lo, s14
	v_fma_mixlo_bf16 v2, v116, v2, 0
	v_fma_mixlo_bf16 v7, v116, v7, 0
	;; [unrolled: 1-line block ×5, first 2 shown]
	scratch_store_b32 off, v2, s32 offset:488 ; 4-byte Folded Spill
	s_wait_xcnt 0x0
	v_fma_mixlo_bf16 v2, v116, v9, 0
	s_clause 0x1
	scratch_store_b32 off, v7, s32 offset:456
	scratch_store_b32 off, v6, s32 offset:460
	v_fma_mixlo_bf16 v3, v116, v3, 0
	s_clause 0x1
	scratch_store_b32 off, v5, s32 offset:472
	scratch_store_b32 off, v2, s32 offset:464
	s_wait_xcnt 0x0
	v_fma_mixlo_bf16 v2, v116, v8, 0
	s_clause 0x2
	scratch_store_b32 off, v4, s32 offset:476
	scratch_store_b32 off, v3, s32 offset:480
	;; [unrolled: 1-line block ×3, first 2 shown]
	s_wait_xcnt 0x0
	s_and_saveexec_b32 s14, vcc_lo
	s_cbranch_execz .LBB355_1912
; %bb.1911:                             ;   in Loop: Header=BB355_1581 Depth=1
	scratch_load_b32 v2, off, s32 offset:488 ; 4-byte Folded Reload
	v_cmp_lt_i32_e64 s0, v115, v119
	s_wait_loadcnt 0x0
	s_delay_alu instid0(VALU_DEP_1)
	v_cndmask_b32_e64 v2, 0, v2, s0
	v_cmp_lt_i32_e64 s0, v59, v119
	s_clause 0x1
	scratch_store_b32 off, v2, s32 offset:488
	scratch_load_b32 v2, off, s32 offset:480
	s_wait_loadcnt 0x0
	v_cndmask_b32_e64 v2, 0, v2, s0
	v_cmp_lt_i32_e64 s0, v58, v119
	s_clause 0x1
	scratch_store_b32 off, v2, s32 offset:480
	scratch_load_b32 v2, off, s32 offset:476
	s_wait_loadcnt 0x0
	;; [unrolled: 6-line block ×7, first 2 shown]
	v_cndmask_b32_e64 v2, 0, v2, s0
	scratch_store_b32 off, v2, s32 offset:468 ; 4-byte Folded Spill
.LBB355_1912:                           ;   in Loop: Header=BB355_1581 Depth=1
	s_wait_xcnt 0x0
	s_or_b32 exec_lo, exec_lo, s14
	flat_load_b64 v[16:17], v[0:1] offset:1280
	v_dual_mov_b32 v3, 0 :: v_dual_mov_b32 v2, 0
	s_mov_b32 s14, exec_lo
	s_wait_loadcnt_dscnt 0x0
	v_and_b32_e32 v4, 0xff, v16
	s_wait_xcnt 0x0
	s_delay_alu instid0(VALU_DEP_1)
	v_cmpx_ne_u16_e32 0, v4
	s_cbranch_execz .LBB355_1920
; %bb.1913:                             ;   in Loop: Header=BB355_1581 Depth=1
	v_bfrev_b32_e32 v2, 1
	s_mov_b32 s15, exec_lo
	v_cmpx_ne_u16_e32 0x80, v4
	s_cbranch_execz .LBB355_1919
; %bb.1914:                             ;   in Loop: Header=BB355_1581 Depth=1
	v_and_b32_e32 v4, 0x7f, v16
	v_mov_b32_e32 v2, 0x7f800001
	s_mov_b32 s16, exec_lo
	s_delay_alu instid0(VALU_DEP_2)
	v_cmpx_ne_u32_e32 0x7f, v4
	s_cbranch_execz .LBB355_1918
; %bb.1915:                             ;   in Loop: Header=BB355_1581 Depth=1
	v_mov_b64_e32 v[18:19], v[16:17]
	v_lshrrev_b32_e32 v2, 3, v4
	s_mov_b32 s17, exec_lo
	v_cmpx_gt_u32_e32 8, v4
; %bb.1916:                             ;   in Loop: Header=BB355_1581 Depth=1
	v_and_b32_e32 v2, 7, v16
	s_delay_alu instid0(VALU_DEP_1) | instskip(NEXT) | instid1(VALU_DEP_1)
	v_clz_i32_u32_e32 v2, v2
	v_min_u32_e32 v2, 32, v2
	s_delay_alu instid0(VALU_DEP_1) | instskip(SKIP_1) | instid1(VALU_DEP_2)
	v_subrev_nc_u32_e32 v4, 28, v2
	v_sub_nc_u32_e32 v2, 29, v2
	v_lshlrev_b64_e32 v[18:19], v4, v[16:17]
; %bb.1917:                             ;   in Loop: Header=BB355_1581 Depth=1
	s_or_b32 exec_lo, exec_lo, s17
	s_delay_alu instid0(VALU_DEP_1) | instskip(NEXT) | instid1(VALU_DEP_3)
	v_dual_lshlrev_b32 v4, 20, v18 :: v_dual_lshlrev_b32 v5, 24, v16
	v_lshl_add_u32 v2, v2, 23, 0x3c000000
	s_delay_alu instid0(VALU_DEP_2) | instskip(NEXT) | instid1(VALU_DEP_3)
	v_and_b32_e32 v4, 0x700000, v4
	v_and_b32_e32 v5, 0x80000000, v5
	s_delay_alu instid0(VALU_DEP_1)
	v_or3_b32 v2, v4, v5, v2
.LBB355_1918:                           ;   in Loop: Header=BB355_1581 Depth=1
	s_or_b32 exec_lo, exec_lo, s16
.LBB355_1919:                           ;   in Loop: Header=BB355_1581 Depth=1
	s_delay_alu instid0(SALU_CYCLE_1)
	s_or_b32 exec_lo, exec_lo, s15
.LBB355_1920:                           ;   in Loop: Header=BB355_1581 Depth=1
	s_delay_alu instid0(SALU_CYCLE_1) | instskip(SKIP_2) | instid1(VALU_DEP_1)
	s_or_b32 exec_lo, exec_lo, s14
	v_lshrrev_b16 v4, 8, v16
	s_mov_b32 s14, exec_lo
	v_cmpx_ne_u16_e32 0, v4
	s_cbranch_execz .LBB355_1928
; %bb.1921:                             ;   in Loop: Header=BB355_1581 Depth=1
	v_bfrev_b32_e32 v3, 1
	s_mov_b32 s15, exec_lo
	v_cmpx_ne_u16_e32 0x80, v4
	s_cbranch_execz .LBB355_1927
; %bb.1922:                             ;   in Loop: Header=BB355_1581 Depth=1
	v_and_b32_e32 v5, 0xffff, v4
	v_mov_b32_e32 v3, 0x7f800001
	s_mov_b32 s16, exec_lo
	s_delay_alu instid0(VALU_DEP_2) | instskip(NEXT) | instid1(VALU_DEP_1)
	v_and_b32_e32 v4, 0x7f, v5
	v_cmpx_ne_u32_e32 0x7f, v4
	s_cbranch_execz .LBB355_1926
; %bb.1923:                             ;   in Loop: Header=BB355_1581 Depth=1
	v_dual_lshrrev_b32 v3, 3, v4 :: v_dual_bitop2_b32 v26, 7, v5 bitop3:0x40
	s_mov_b32 s17, exec_lo
	s_delay_alu instid0(VALU_DEP_1)
	v_mov_b64_e32 v[18:19], v[26:27]
	v_cmpx_gt_u32_e32 8, v4
; %bb.1924:                             ;   in Loop: Header=BB355_1581 Depth=1
	v_clz_i32_u32_e32 v3, v26
	s_delay_alu instid0(VALU_DEP_1) | instskip(NEXT) | instid1(VALU_DEP_1)
	v_min_u32_e32 v3, 32, v3
	v_subrev_nc_u32_e32 v4, 28, v3
	s_delay_alu instid0(VALU_DEP_1) | instskip(NEXT) | instid1(VALU_DEP_1)
	v_lshlrev_b64_e32 v[4:5], v4, v[26:27]
	v_dual_sub_nc_u32 v3, 29, v3 :: v_dual_bitop2_b32 v18, 7, v4 bitop3:0x40
; %bb.1925:                             ;   in Loop: Header=BB355_1581 Depth=1
	s_or_b32 exec_lo, exec_lo, s17
	s_delay_alu instid0(VALU_DEP_1) | instskip(NEXT) | instid1(VALU_DEP_2)
	v_dual_lshlrev_b32 v4, 16, v16 :: v_dual_lshlrev_b32 v5, 20, v18
	v_lshl_add_u32 v3, v3, 23, 0x3c000000
	s_delay_alu instid0(VALU_DEP_2) | instskip(NEXT) | instid1(VALU_DEP_1)
	v_and_b32_e32 v4, 0x80000000, v4
	v_or3_b32 v3, v5, v4, v3
.LBB355_1926:                           ;   in Loop: Header=BB355_1581 Depth=1
	s_or_b32 exec_lo, exec_lo, s16
.LBB355_1927:                           ;   in Loop: Header=BB355_1581 Depth=1
	s_delay_alu instid0(SALU_CYCLE_1)
	s_or_b32 exec_lo, exec_lo, s15
.LBB355_1928:                           ;   in Loop: Header=BB355_1581 Depth=1
	s_delay_alu instid0(SALU_CYCLE_1) | instskip(SKIP_3) | instid1(VALU_DEP_2)
	s_or_b32 exec_lo, exec_lo, s14
	v_dual_mov_b32 v5, 0 :: v_dual_lshrrev_b32 v6, 16, v16
	v_mov_b32_e32 v4, 0
	s_mov_b32 s14, exec_lo
	v_and_b32_e32 v7, 0xff, v6
	s_delay_alu instid0(VALU_DEP_1)
	v_cmpx_ne_u16_e32 0, v7
	s_cbranch_execz .LBB355_1936
; %bb.1929:                             ;   in Loop: Header=BB355_1581 Depth=1
	v_bfrev_b32_e32 v4, 1
	s_mov_b32 s15, exec_lo
	v_cmpx_ne_u16_e32 0x80, v7
	s_cbranch_execz .LBB355_1935
; %bb.1930:                             ;   in Loop: Header=BB355_1581 Depth=1
	v_bfe_u32 v7, v16, 16, 7
	v_mov_b32_e32 v4, 0x7f800001
	s_mov_b32 s16, exec_lo
	s_delay_alu instid0(VALU_DEP_2)
	v_cmpx_ne_u32_e32 0x7f, v7
	s_cbranch_execz .LBB355_1934
; %bb.1931:                             ;   in Loop: Header=BB355_1581 Depth=1
	v_dual_lshrrev_b32 v4, 3, v7 :: v_dual_bitop2_b32 v26, 7, v6 bitop3:0x40
	s_mov_b32 s17, exec_lo
	s_delay_alu instid0(VALU_DEP_1)
	v_mov_b64_e32 v[18:19], v[26:27]
	v_cmpx_gt_u32_e32 8, v7
; %bb.1932:                             ;   in Loop: Header=BB355_1581 Depth=1
	v_clz_i32_u32_e32 v4, v26
	s_delay_alu instid0(VALU_DEP_1) | instskip(NEXT) | instid1(VALU_DEP_1)
	v_min_u32_e32 v4, 32, v4
	v_subrev_nc_u32_e32 v7, 28, v4
	v_sub_nc_u32_e32 v4, 29, v4
	s_delay_alu instid0(VALU_DEP_2) | instskip(NEXT) | instid1(VALU_DEP_1)
	v_lshlrev_b64_e32 v[8:9], v7, v[26:27]
	v_and_b32_e32 v18, 7, v8
; %bb.1933:                             ;   in Loop: Header=BB355_1581 Depth=1
	s_or_b32 exec_lo, exec_lo, s17
	v_lshlrev_b32_e32 v6, 24, v6
	s_delay_alu instid0(VALU_DEP_2) | instskip(SKIP_1) | instid1(VALU_DEP_3)
	v_lshlrev_b32_e32 v7, 20, v18
	v_lshl_add_u32 v4, v4, 23, 0x3c000000
	v_and_b32_e32 v6, 0x80000000, v6
	s_delay_alu instid0(VALU_DEP_1)
	v_or3_b32 v4, v7, v6, v4
.LBB355_1934:                           ;   in Loop: Header=BB355_1581 Depth=1
	s_or_b32 exec_lo, exec_lo, s16
.LBB355_1935:                           ;   in Loop: Header=BB355_1581 Depth=1
	s_delay_alu instid0(SALU_CYCLE_1)
	s_or_b32 exec_lo, exec_lo, s15
.LBB355_1936:                           ;   in Loop: Header=BB355_1581 Depth=1
	s_delay_alu instid0(SALU_CYCLE_1) | instskip(NEXT) | instid1(SALU_CYCLE_1)
	s_or_b32 exec_lo, exec_lo, s14
	s_mov_b32 s14, exec_lo
	v_cmpx_lt_u32_e32 0xffffff, v16
	s_cbranch_execz .LBB355_1944
; %bb.1937:                             ;   in Loop: Header=BB355_1581 Depth=1
	v_lshrrev_b32_e32 v6, 24, v16
	v_bfrev_b32_e32 v5, 1
	s_mov_b32 s15, exec_lo
	s_delay_alu instid0(VALU_DEP_2)
	v_cmpx_ne_u32_e32 0x80, v6
	s_cbranch_execz .LBB355_1943
; %bb.1938:                             ;   in Loop: Header=BB355_1581 Depth=1
	v_bfe_u32 v7, v16, 24, 7
	v_mov_b32_e32 v5, 0x7f800001
	s_mov_b32 s16, exec_lo
	s_delay_alu instid0(VALU_DEP_2)
	v_cmpx_ne_u32_e32 0x7f, v7
	s_cbranch_execz .LBB355_1942
; %bb.1939:                             ;   in Loop: Header=BB355_1581 Depth=1
	v_dual_lshrrev_b32 v5, 3, v7 :: v_dual_bitop2_b32 v26, 7, v6 bitop3:0x40
	s_mov_b32 s17, exec_lo
	s_delay_alu instid0(VALU_DEP_1)
	v_mov_b64_e32 v[18:19], v[26:27]
	v_cmpx_gt_u32_e32 8, v7
; %bb.1940:                             ;   in Loop: Header=BB355_1581 Depth=1
	v_clz_i32_u32_e32 v5, v26
	s_delay_alu instid0(VALU_DEP_1) | instskip(NEXT) | instid1(VALU_DEP_1)
	v_min_u32_e32 v5, 32, v5
	v_subrev_nc_u32_e32 v7, 28, v5
	s_delay_alu instid0(VALU_DEP_1) | instskip(NEXT) | instid1(VALU_DEP_1)
	v_lshlrev_b64_e32 v[8:9], v7, v[26:27]
	v_dual_sub_nc_u32 v5, 29, v5 :: v_dual_bitop2_b32 v18, 7, v8 bitop3:0x40
; %bb.1941:                             ;   in Loop: Header=BB355_1581 Depth=1
	s_or_b32 exec_lo, exec_lo, s17
	v_lshlrev_b32_e32 v6, 24, v6
	s_delay_alu instid0(VALU_DEP_2) | instskip(NEXT) | instid1(VALU_DEP_3)
	v_lshlrev_b32_e32 v7, 20, v18
	v_lshl_add_u32 v5, v5, 23, 0x3c000000
	s_delay_alu instid0(VALU_DEP_3) | instskip(NEXT) | instid1(VALU_DEP_1)
	v_and_b32_e32 v6, 0x80000000, v6
	v_or3_b32 v5, v7, v6, v5
.LBB355_1942:                           ;   in Loop: Header=BB355_1581 Depth=1
	s_or_b32 exec_lo, exec_lo, s16
.LBB355_1943:                           ;   in Loop: Header=BB355_1581 Depth=1
	s_delay_alu instid0(SALU_CYCLE_1)
	s_or_b32 exec_lo, exec_lo, s15
.LBB355_1944:                           ;   in Loop: Header=BB355_1581 Depth=1
	s_delay_alu instid0(SALU_CYCLE_1) | instskip(SKIP_4) | instid1(VALU_DEP_3)
	s_or_b32 exec_lo, exec_lo, s14
	v_and_b32_e32 v8, 0xff, v17
	v_dual_mov_b32 v26, v17 :: v_dual_mov_b32 v7, 0
	v_mov_b32_e32 v6, 0
	s_mov_b32 s14, exec_lo
	v_cmpx_ne_u16_e32 0, v8
	s_cbranch_execz .LBB355_1952
; %bb.1945:                             ;   in Loop: Header=BB355_1581 Depth=1
	v_bfrev_b32_e32 v6, 1
	s_mov_b32 s15, exec_lo
	v_cmpx_ne_u16_e32 0x80, v8
	s_cbranch_execz .LBB355_1951
; %bb.1946:                             ;   in Loop: Header=BB355_1581 Depth=1
	v_and_b32_e32 v8, 0x7f, v17
	v_mov_b32_e32 v6, 0x7f800001
	s_mov_b32 s16, exec_lo
	s_delay_alu instid0(VALU_DEP_2)
	v_cmpx_ne_u32_e32 0x7f, v8
	s_cbranch_execz .LBB355_1950
; %bb.1947:                             ;   in Loop: Header=BB355_1581 Depth=1
	v_mov_b64_e32 v[18:19], v[26:27]
	v_lshrrev_b32_e32 v6, 3, v8
	s_mov_b32 s17, exec_lo
	v_cmpx_gt_u32_e32 8, v8
; %bb.1948:                             ;   in Loop: Header=BB355_1581 Depth=1
	v_and_b32_e32 v6, 7, v17
	s_delay_alu instid0(VALU_DEP_1) | instskip(NEXT) | instid1(VALU_DEP_1)
	v_clz_i32_u32_e32 v6, v6
	v_min_u32_e32 v6, 32, v6
	s_delay_alu instid0(VALU_DEP_1) | instskip(SKIP_1) | instid1(VALU_DEP_2)
	v_subrev_nc_u32_e32 v8, 28, v6
	v_sub_nc_u32_e32 v6, 29, v6
	v_lshlrev_b64_e32 v[18:19], v8, v[26:27]
; %bb.1949:                             ;   in Loop: Header=BB355_1581 Depth=1
	s_or_b32 exec_lo, exec_lo, s17
	s_delay_alu instid0(VALU_DEP_1) | instskip(SKIP_2) | instid1(VALU_DEP_3)
	v_lshlrev_b32_e32 v8, 20, v18
	v_lshlrev_b32_e32 v9, 24, v26
	v_lshl_add_u32 v6, v6, 23, 0x3c000000
	v_and_b32_e32 v8, 0x700000, v8
	s_delay_alu instid0(VALU_DEP_3) | instskip(NEXT) | instid1(VALU_DEP_1)
	v_and_b32_e32 v9, 0x80000000, v9
	v_or3_b32 v6, v8, v9, v6
.LBB355_1950:                           ;   in Loop: Header=BB355_1581 Depth=1
	s_or_b32 exec_lo, exec_lo, s16
.LBB355_1951:                           ;   in Loop: Header=BB355_1581 Depth=1
	s_delay_alu instid0(SALU_CYCLE_1)
	s_or_b32 exec_lo, exec_lo, s15
.LBB355_1952:                           ;   in Loop: Header=BB355_1581 Depth=1
	s_delay_alu instid0(SALU_CYCLE_1) | instskip(SKIP_2) | instid1(VALU_DEP_1)
	s_or_b32 exec_lo, exec_lo, s14
	v_lshrrev_b16 v8, 8, v26
	s_mov_b32 s14, exec_lo
	v_cmpx_ne_u16_e32 0, v8
	s_cbranch_execz .LBB355_1960
; %bb.1953:                             ;   in Loop: Header=BB355_1581 Depth=1
	v_bfrev_b32_e32 v7, 1
	s_mov_b32 s15, exec_lo
	v_cmpx_ne_u16_e32 0x80, v8
	s_cbranch_execz .LBB355_1959
; %bb.1954:                             ;   in Loop: Header=BB355_1581 Depth=1
	v_and_b32_e32 v9, 0xffff, v8
	v_mov_b32_e32 v7, 0x7f800001
	s_mov_b32 s16, exec_lo
	s_delay_alu instid0(VALU_DEP_2) | instskip(NEXT) | instid1(VALU_DEP_1)
	v_and_b32_e32 v8, 0x7f, v9
	v_cmpx_ne_u32_e32 0x7f, v8
	s_cbranch_execz .LBB355_1958
; %bb.1955:                             ;   in Loop: Header=BB355_1581 Depth=1
	v_dual_mov_b32 v19, v27 :: v_dual_bitop2_b32 v18, 7, v9 bitop3:0x40
	v_lshrrev_b32_e32 v7, 3, v8
	s_mov_b32 s17, exec_lo
	v_cmpx_gt_u32_e32 8, v8
; %bb.1956:                             ;   in Loop: Header=BB355_1581 Depth=1
	s_delay_alu instid0(VALU_DEP_3) | instskip(NEXT) | instid1(VALU_DEP_1)
	v_clz_i32_u32_e32 v7, v18
	v_min_u32_e32 v7, 32, v7
	s_delay_alu instid0(VALU_DEP_1) | instskip(NEXT) | instid1(VALU_DEP_1)
	v_subrev_nc_u32_e32 v8, 28, v7
	v_lshlrev_b64_e32 v[8:9], v8, v[18:19]
	s_delay_alu instid0(VALU_DEP_1)
	v_dual_sub_nc_u32 v7, 29, v7 :: v_dual_bitop2_b32 v18, 7, v8 bitop3:0x40
; %bb.1957:                             ;   in Loop: Header=BB355_1581 Depth=1
	s_or_b32 exec_lo, exec_lo, s17
	v_lshlrev_b32_e32 v8, 16, v26
	s_delay_alu instid0(VALU_DEP_2) | instskip(NEXT) | instid1(VALU_DEP_3)
	v_lshlrev_b32_e32 v9, 20, v18
	v_lshl_add_u32 v7, v7, 23, 0x3c000000
	s_delay_alu instid0(VALU_DEP_3) | instskip(NEXT) | instid1(VALU_DEP_1)
	v_and_b32_e32 v8, 0x80000000, v8
	v_or3_b32 v7, v9, v8, v7
.LBB355_1958:                           ;   in Loop: Header=BB355_1581 Depth=1
	s_or_b32 exec_lo, exec_lo, s16
.LBB355_1959:                           ;   in Loop: Header=BB355_1581 Depth=1
	s_delay_alu instid0(SALU_CYCLE_1)
	s_or_b32 exec_lo, exec_lo, s15
.LBB355_1960:                           ;   in Loop: Header=BB355_1581 Depth=1
	s_delay_alu instid0(SALU_CYCLE_1) | instskip(SKIP_3) | instid1(VALU_DEP_2)
	s_or_b32 exec_lo, exec_lo, s14
	v_dual_lshrrev_b32 v10, 16, v17 :: v_dual_mov_b32 v8, 0
	v_mov_b32_e32 v9, 0
	s_mov_b32 s14, exec_lo
	v_and_b32_e32 v11, 0xff, v10
	s_delay_alu instid0(VALU_DEP_1)
	v_cmpx_ne_u16_e32 0, v11
	s_cbranch_execz .LBB355_1968
; %bb.1961:                             ;   in Loop: Header=BB355_1581 Depth=1
	v_bfrev_b32_e32 v9, 1
	s_mov_b32 s15, exec_lo
	v_cmpx_ne_u16_e32 0x80, v11
	s_cbranch_execz .LBB355_1967
; %bb.1962:                             ;   in Loop: Header=BB355_1581 Depth=1
	v_bfe_u32 v11, v17, 16, 7
	v_mov_b32_e32 v9, 0x7f800001
	s_mov_b32 s16, exec_lo
	s_delay_alu instid0(VALU_DEP_2)
	v_cmpx_ne_u32_e32 0x7f, v11
	s_cbranch_execz .LBB355_1966
; %bb.1963:                             ;   in Loop: Header=BB355_1581 Depth=1
	v_dual_lshrrev_b32 v9, 3, v11 :: v_dual_bitop2_b32 v26, 7, v10 bitop3:0x40
	s_mov_b32 s17, exec_lo
	s_delay_alu instid0(VALU_DEP_1)
	v_mov_b64_e32 v[18:19], v[26:27]
	v_cmpx_gt_u32_e32 8, v11
; %bb.1964:                             ;   in Loop: Header=BB355_1581 Depth=1
	v_clz_i32_u32_e32 v9, v26
	s_delay_alu instid0(VALU_DEP_1) | instskip(NEXT) | instid1(VALU_DEP_1)
	v_min_u32_e32 v9, 32, v9
	v_subrev_nc_u32_e32 v11, 28, v9
	s_delay_alu instid0(VALU_DEP_1) | instskip(NEXT) | instid1(VALU_DEP_1)
	v_lshlrev_b64_e32 v[12:13], v11, v[26:27]
	v_dual_sub_nc_u32 v9, 29, v9 :: v_dual_bitop2_b32 v18, 7, v12 bitop3:0x40
; %bb.1965:                             ;   in Loop: Header=BB355_1581 Depth=1
	s_or_b32 exec_lo, exec_lo, s17
	v_lshlrev_b32_e32 v10, 24, v10
	s_delay_alu instid0(VALU_DEP_2) | instskip(NEXT) | instid1(VALU_DEP_3)
	v_lshlrev_b32_e32 v11, 20, v18
	v_lshl_add_u32 v9, v9, 23, 0x3c000000
	s_delay_alu instid0(VALU_DEP_3) | instskip(NEXT) | instid1(VALU_DEP_1)
	v_and_b32_e32 v10, 0x80000000, v10
	v_or3_b32 v9, v11, v10, v9
.LBB355_1966:                           ;   in Loop: Header=BB355_1581 Depth=1
	s_or_b32 exec_lo, exec_lo, s16
.LBB355_1967:                           ;   in Loop: Header=BB355_1581 Depth=1
	s_delay_alu instid0(SALU_CYCLE_1)
	s_or_b32 exec_lo, exec_lo, s15
.LBB355_1968:                           ;   in Loop: Header=BB355_1581 Depth=1
	s_delay_alu instid0(SALU_CYCLE_1) | instskip(NEXT) | instid1(SALU_CYCLE_1)
	s_or_b32 exec_lo, exec_lo, s14
	s_mov_b32 s14, exec_lo
	v_cmpx_lt_u64_e64 s[2:3], v[16:17]
	s_cbranch_execz .LBB355_1976
; %bb.1969:                             ;   in Loop: Header=BB355_1581 Depth=1
	v_lshrrev_b32_e32 v10, 24, v17
	v_bfrev_b32_e32 v8, 1
	s_mov_b32 s15, exec_lo
	s_delay_alu instid0(VALU_DEP_2)
	v_cmpx_ne_u32_e32 0x80, v10
	s_cbranch_execz .LBB355_1975
; %bb.1970:                             ;   in Loop: Header=BB355_1581 Depth=1
	v_bfe_u32 v11, v17, 24, 7
	v_mov_b32_e32 v8, 0x7f800001
	s_mov_b32 s16, exec_lo
	s_delay_alu instid0(VALU_DEP_2)
	v_cmpx_ne_u32_e32 0x7f, v11
	s_cbranch_execz .LBB355_1974
; %bb.1971:                             ;   in Loop: Header=BB355_1581 Depth=1
	v_dual_lshrrev_b32 v8, 3, v11 :: v_dual_bitop2_b32 v26, 7, v10 bitop3:0x40
	s_mov_b32 s17, exec_lo
	s_delay_alu instid0(VALU_DEP_1)
	v_mov_b64_e32 v[16:17], v[26:27]
	v_cmpx_gt_u32_e32 8, v11
; %bb.1972:                             ;   in Loop: Header=BB355_1581 Depth=1
	v_clz_i32_u32_e32 v8, v26
	s_delay_alu instid0(VALU_DEP_1) | instskip(NEXT) | instid1(VALU_DEP_1)
	v_min_u32_e32 v8, 32, v8
	v_subrev_nc_u32_e32 v11, 28, v8
	v_sub_nc_u32_e32 v8, 29, v8
	s_delay_alu instid0(VALU_DEP_2) | instskip(NEXT) | instid1(VALU_DEP_1)
	v_lshlrev_b64_e32 v[12:13], v11, v[26:27]
	v_and_b32_e32 v16, 7, v12
; %bb.1973:                             ;   in Loop: Header=BB355_1581 Depth=1
	s_or_b32 exec_lo, exec_lo, s17
	s_delay_alu instid0(VALU_DEP_1) | instskip(SKIP_1) | instid1(VALU_DEP_2)
	v_dual_lshlrev_b32 v10, 24, v10 :: v_dual_lshlrev_b32 v11, 20, v16
	v_lshl_add_u32 v8, v8, 23, 0x3c000000
	v_and_b32_e32 v10, 0x80000000, v10
	s_delay_alu instid0(VALU_DEP_1)
	v_or3_b32 v8, v11, v10, v8
.LBB355_1974:                           ;   in Loop: Header=BB355_1581 Depth=1
	s_or_b32 exec_lo, exec_lo, s16
.LBB355_1975:                           ;   in Loop: Header=BB355_1581 Depth=1
	s_delay_alu instid0(SALU_CYCLE_1)
	s_or_b32 exec_lo, exec_lo, s15
.LBB355_1976:                           ;   in Loop: Header=BB355_1581 Depth=1
	s_delay_alu instid0(SALU_CYCLE_1)
	s_or_b32 exec_lo, exec_lo, s14
	v_fma_mixlo_bf16 v2, v116, v2, 0
	v_fma_mixlo_bf16 v7, v116, v7, 0
	;; [unrolled: 1-line block ×5, first 2 shown]
	scratch_store_b32 off, v2, s32 offset:524 ; 4-byte Folded Spill
	s_wait_xcnt 0x0
	v_fma_mixlo_bf16 v2, v116, v9, 0
	s_clause 0x1
	scratch_store_b32 off, v7, s32 offset:496
	scratch_store_b32 off, v6, s32 offset:500
	v_fma_mixlo_bf16 v3, v116, v3, 0
	s_clause 0x1
	scratch_store_b32 off, v5, s32 offset:512
	scratch_store_b32 off, v2, s32 offset:504
	s_wait_xcnt 0x0
	v_fma_mixlo_bf16 v2, v116, v8, 0
	s_clause 0x2
	scratch_store_b32 off, v4, s32 offset:516
	scratch_store_b32 off, v3, s32 offset:520
	;; [unrolled: 1-line block ×3, first 2 shown]
	s_wait_xcnt 0x0
	s_and_saveexec_b32 s14, vcc_lo
	s_cbranch_execz .LBB355_1978
; %bb.1977:                             ;   in Loop: Header=BB355_1581 Depth=1
	scratch_load_b32 v2, off, s32 offset:524 ; 4-byte Folded Reload
	v_cmp_lt_i32_e64 s0, v115, v119
	s_wait_loadcnt 0x0
	s_delay_alu instid0(VALU_DEP_1)
	v_cndmask_b32_e64 v2, 0, v2, s0
	v_cmp_lt_i32_e64 s0, v59, v119
	s_clause 0x1
	scratch_store_b32 off, v2, s32 offset:524
	scratch_load_b32 v2, off, s32 offset:520
	s_wait_loadcnt 0x0
	v_cndmask_b32_e64 v2, 0, v2, s0
	v_cmp_lt_i32_e64 s0, v58, v119
	s_clause 0x1
	scratch_store_b32 off, v2, s32 offset:520
	scratch_load_b32 v2, off, s32 offset:516
	s_wait_loadcnt 0x0
	;; [unrolled: 6-line block ×7, first 2 shown]
	v_cndmask_b32_e64 v2, 0, v2, s0
	scratch_store_b32 off, v2, s32 offset:508 ; 4-byte Folded Spill
.LBB355_1978:                           ;   in Loop: Header=BB355_1581 Depth=1
	s_wait_xcnt 0x0
	s_or_b32 exec_lo, exec_lo, s14
	flat_load_b64 v[16:17], v[0:1] offset:1536
	v_dual_mov_b32 v3, 0 :: v_dual_mov_b32 v2, 0
	s_mov_b32 s14, exec_lo
	s_wait_loadcnt_dscnt 0x0
	v_and_b32_e32 v4, 0xff, v16
	s_wait_xcnt 0x0
	s_delay_alu instid0(VALU_DEP_1)
	v_cmpx_ne_u16_e32 0, v4
	s_cbranch_execz .LBB355_1986
; %bb.1979:                             ;   in Loop: Header=BB355_1581 Depth=1
	v_bfrev_b32_e32 v2, 1
	s_mov_b32 s15, exec_lo
	v_cmpx_ne_u16_e32 0x80, v4
	s_cbranch_execz .LBB355_1985
; %bb.1980:                             ;   in Loop: Header=BB355_1581 Depth=1
	v_and_b32_e32 v4, 0x7f, v16
	v_mov_b32_e32 v2, 0x7f800001
	s_mov_b32 s16, exec_lo
	s_delay_alu instid0(VALU_DEP_2)
	v_cmpx_ne_u32_e32 0x7f, v4
	s_cbranch_execz .LBB355_1984
; %bb.1981:                             ;   in Loop: Header=BB355_1581 Depth=1
	v_mov_b64_e32 v[18:19], v[16:17]
	v_lshrrev_b32_e32 v2, 3, v4
	s_mov_b32 s17, exec_lo
	v_cmpx_gt_u32_e32 8, v4
; %bb.1982:                             ;   in Loop: Header=BB355_1581 Depth=1
	v_and_b32_e32 v2, 7, v16
	s_delay_alu instid0(VALU_DEP_1) | instskip(NEXT) | instid1(VALU_DEP_1)
	v_clz_i32_u32_e32 v2, v2
	v_min_u32_e32 v2, 32, v2
	s_delay_alu instid0(VALU_DEP_1) | instskip(SKIP_1) | instid1(VALU_DEP_2)
	v_subrev_nc_u32_e32 v4, 28, v2
	v_sub_nc_u32_e32 v2, 29, v2
	v_lshlrev_b64_e32 v[18:19], v4, v[16:17]
; %bb.1983:                             ;   in Loop: Header=BB355_1581 Depth=1
	s_or_b32 exec_lo, exec_lo, s17
	s_delay_alu instid0(VALU_DEP_1) | instskip(NEXT) | instid1(VALU_DEP_3)
	v_dual_lshlrev_b32 v4, 20, v18 :: v_dual_lshlrev_b32 v5, 24, v16
	v_lshl_add_u32 v2, v2, 23, 0x3c000000
	s_delay_alu instid0(VALU_DEP_2) | instskip(NEXT) | instid1(VALU_DEP_3)
	v_and_b32_e32 v4, 0x700000, v4
	v_and_b32_e32 v5, 0x80000000, v5
	s_delay_alu instid0(VALU_DEP_1)
	v_or3_b32 v2, v4, v5, v2
.LBB355_1984:                           ;   in Loop: Header=BB355_1581 Depth=1
	s_or_b32 exec_lo, exec_lo, s16
.LBB355_1985:                           ;   in Loop: Header=BB355_1581 Depth=1
	s_delay_alu instid0(SALU_CYCLE_1)
	s_or_b32 exec_lo, exec_lo, s15
.LBB355_1986:                           ;   in Loop: Header=BB355_1581 Depth=1
	s_delay_alu instid0(SALU_CYCLE_1) | instskip(SKIP_2) | instid1(VALU_DEP_1)
	s_or_b32 exec_lo, exec_lo, s14
	v_lshrrev_b16 v4, 8, v16
	s_mov_b32 s14, exec_lo
	v_cmpx_ne_u16_e32 0, v4
	s_cbranch_execz .LBB355_1994
; %bb.1987:                             ;   in Loop: Header=BB355_1581 Depth=1
	v_bfrev_b32_e32 v3, 1
	s_mov_b32 s15, exec_lo
	v_cmpx_ne_u16_e32 0x80, v4
	s_cbranch_execz .LBB355_1993
; %bb.1988:                             ;   in Loop: Header=BB355_1581 Depth=1
	v_and_b32_e32 v5, 0xffff, v4
	v_mov_b32_e32 v3, 0x7f800001
	s_mov_b32 s16, exec_lo
	s_delay_alu instid0(VALU_DEP_2) | instskip(NEXT) | instid1(VALU_DEP_1)
	v_and_b32_e32 v4, 0x7f, v5
	v_cmpx_ne_u32_e32 0x7f, v4
	s_cbranch_execz .LBB355_1992
; %bb.1989:                             ;   in Loop: Header=BB355_1581 Depth=1
	v_dual_lshrrev_b32 v3, 3, v4 :: v_dual_bitop2_b32 v26, 7, v5 bitop3:0x40
	s_mov_b32 s17, exec_lo
	s_delay_alu instid0(VALU_DEP_1)
	v_mov_b64_e32 v[18:19], v[26:27]
	v_cmpx_gt_u32_e32 8, v4
; %bb.1990:                             ;   in Loop: Header=BB355_1581 Depth=1
	v_clz_i32_u32_e32 v3, v26
	s_delay_alu instid0(VALU_DEP_1) | instskip(NEXT) | instid1(VALU_DEP_1)
	v_min_u32_e32 v3, 32, v3
	v_subrev_nc_u32_e32 v4, 28, v3
	s_delay_alu instid0(VALU_DEP_1) | instskip(NEXT) | instid1(VALU_DEP_1)
	v_lshlrev_b64_e32 v[4:5], v4, v[26:27]
	v_dual_sub_nc_u32 v3, 29, v3 :: v_dual_bitop2_b32 v18, 7, v4 bitop3:0x40
; %bb.1991:                             ;   in Loop: Header=BB355_1581 Depth=1
	s_or_b32 exec_lo, exec_lo, s17
	s_delay_alu instid0(VALU_DEP_1) | instskip(NEXT) | instid1(VALU_DEP_2)
	v_dual_lshlrev_b32 v4, 16, v16 :: v_dual_lshlrev_b32 v5, 20, v18
	v_lshl_add_u32 v3, v3, 23, 0x3c000000
	s_delay_alu instid0(VALU_DEP_2) | instskip(NEXT) | instid1(VALU_DEP_1)
	v_and_b32_e32 v4, 0x80000000, v4
	v_or3_b32 v3, v5, v4, v3
.LBB355_1992:                           ;   in Loop: Header=BB355_1581 Depth=1
	s_or_b32 exec_lo, exec_lo, s16
.LBB355_1993:                           ;   in Loop: Header=BB355_1581 Depth=1
	s_delay_alu instid0(SALU_CYCLE_1)
	s_or_b32 exec_lo, exec_lo, s15
.LBB355_1994:                           ;   in Loop: Header=BB355_1581 Depth=1
	s_delay_alu instid0(SALU_CYCLE_1) | instskip(SKIP_3) | instid1(VALU_DEP_2)
	s_or_b32 exec_lo, exec_lo, s14
	v_dual_mov_b32 v5, 0 :: v_dual_lshrrev_b32 v6, 16, v16
	v_mov_b32_e32 v4, 0
	s_mov_b32 s14, exec_lo
	v_and_b32_e32 v7, 0xff, v6
	s_delay_alu instid0(VALU_DEP_1)
	v_cmpx_ne_u16_e32 0, v7
	s_cbranch_execz .LBB355_2002
; %bb.1995:                             ;   in Loop: Header=BB355_1581 Depth=1
	v_bfrev_b32_e32 v4, 1
	s_mov_b32 s15, exec_lo
	v_cmpx_ne_u16_e32 0x80, v7
	s_cbranch_execz .LBB355_2001
; %bb.1996:                             ;   in Loop: Header=BB355_1581 Depth=1
	v_bfe_u32 v7, v16, 16, 7
	v_mov_b32_e32 v4, 0x7f800001
	s_mov_b32 s16, exec_lo
	s_delay_alu instid0(VALU_DEP_2)
	v_cmpx_ne_u32_e32 0x7f, v7
	s_cbranch_execz .LBB355_2000
; %bb.1997:                             ;   in Loop: Header=BB355_1581 Depth=1
	v_dual_lshrrev_b32 v4, 3, v7 :: v_dual_bitop2_b32 v26, 7, v6 bitop3:0x40
	s_mov_b32 s17, exec_lo
	s_delay_alu instid0(VALU_DEP_1)
	v_mov_b64_e32 v[18:19], v[26:27]
	v_cmpx_gt_u32_e32 8, v7
; %bb.1998:                             ;   in Loop: Header=BB355_1581 Depth=1
	v_clz_i32_u32_e32 v4, v26
	s_delay_alu instid0(VALU_DEP_1) | instskip(NEXT) | instid1(VALU_DEP_1)
	v_min_u32_e32 v4, 32, v4
	v_subrev_nc_u32_e32 v7, 28, v4
	v_sub_nc_u32_e32 v4, 29, v4
	s_delay_alu instid0(VALU_DEP_2) | instskip(NEXT) | instid1(VALU_DEP_1)
	v_lshlrev_b64_e32 v[8:9], v7, v[26:27]
	v_and_b32_e32 v18, 7, v8
; %bb.1999:                             ;   in Loop: Header=BB355_1581 Depth=1
	s_or_b32 exec_lo, exec_lo, s17
	v_lshlrev_b32_e32 v6, 24, v6
	s_delay_alu instid0(VALU_DEP_2) | instskip(SKIP_1) | instid1(VALU_DEP_3)
	v_lshlrev_b32_e32 v7, 20, v18
	v_lshl_add_u32 v4, v4, 23, 0x3c000000
	v_and_b32_e32 v6, 0x80000000, v6
	s_delay_alu instid0(VALU_DEP_1)
	v_or3_b32 v4, v7, v6, v4
.LBB355_2000:                           ;   in Loop: Header=BB355_1581 Depth=1
	s_or_b32 exec_lo, exec_lo, s16
.LBB355_2001:                           ;   in Loop: Header=BB355_1581 Depth=1
	s_delay_alu instid0(SALU_CYCLE_1)
	s_or_b32 exec_lo, exec_lo, s15
.LBB355_2002:                           ;   in Loop: Header=BB355_1581 Depth=1
	s_delay_alu instid0(SALU_CYCLE_1) | instskip(NEXT) | instid1(SALU_CYCLE_1)
	s_or_b32 exec_lo, exec_lo, s14
	s_mov_b32 s14, exec_lo
	v_cmpx_lt_u32_e32 0xffffff, v16
	s_cbranch_execz .LBB355_2010
; %bb.2003:                             ;   in Loop: Header=BB355_1581 Depth=1
	v_lshrrev_b32_e32 v6, 24, v16
	v_bfrev_b32_e32 v5, 1
	s_mov_b32 s15, exec_lo
	s_delay_alu instid0(VALU_DEP_2)
	v_cmpx_ne_u32_e32 0x80, v6
	s_cbranch_execz .LBB355_2009
; %bb.2004:                             ;   in Loop: Header=BB355_1581 Depth=1
	v_bfe_u32 v7, v16, 24, 7
	v_mov_b32_e32 v5, 0x7f800001
	s_mov_b32 s16, exec_lo
	s_delay_alu instid0(VALU_DEP_2)
	v_cmpx_ne_u32_e32 0x7f, v7
	s_cbranch_execz .LBB355_2008
; %bb.2005:                             ;   in Loop: Header=BB355_1581 Depth=1
	v_dual_lshrrev_b32 v5, 3, v7 :: v_dual_bitop2_b32 v26, 7, v6 bitop3:0x40
	s_mov_b32 s17, exec_lo
	s_delay_alu instid0(VALU_DEP_1)
	v_mov_b64_e32 v[18:19], v[26:27]
	v_cmpx_gt_u32_e32 8, v7
; %bb.2006:                             ;   in Loop: Header=BB355_1581 Depth=1
	v_clz_i32_u32_e32 v5, v26
	s_delay_alu instid0(VALU_DEP_1) | instskip(NEXT) | instid1(VALU_DEP_1)
	v_min_u32_e32 v5, 32, v5
	v_subrev_nc_u32_e32 v7, 28, v5
	s_delay_alu instid0(VALU_DEP_1) | instskip(NEXT) | instid1(VALU_DEP_1)
	v_lshlrev_b64_e32 v[8:9], v7, v[26:27]
	v_dual_sub_nc_u32 v5, 29, v5 :: v_dual_bitop2_b32 v18, 7, v8 bitop3:0x40
; %bb.2007:                             ;   in Loop: Header=BB355_1581 Depth=1
	s_or_b32 exec_lo, exec_lo, s17
	v_lshlrev_b32_e32 v6, 24, v6
	s_delay_alu instid0(VALU_DEP_2) | instskip(NEXT) | instid1(VALU_DEP_3)
	v_lshlrev_b32_e32 v7, 20, v18
	v_lshl_add_u32 v5, v5, 23, 0x3c000000
	s_delay_alu instid0(VALU_DEP_3) | instskip(NEXT) | instid1(VALU_DEP_1)
	v_and_b32_e32 v6, 0x80000000, v6
	v_or3_b32 v5, v7, v6, v5
.LBB355_2008:                           ;   in Loop: Header=BB355_1581 Depth=1
	s_or_b32 exec_lo, exec_lo, s16
.LBB355_2009:                           ;   in Loop: Header=BB355_1581 Depth=1
	s_delay_alu instid0(SALU_CYCLE_1)
	s_or_b32 exec_lo, exec_lo, s15
.LBB355_2010:                           ;   in Loop: Header=BB355_1581 Depth=1
	s_delay_alu instid0(SALU_CYCLE_1) | instskip(SKIP_4) | instid1(VALU_DEP_3)
	s_or_b32 exec_lo, exec_lo, s14
	v_and_b32_e32 v8, 0xff, v17
	v_dual_mov_b32 v26, v17 :: v_dual_mov_b32 v7, 0
	v_mov_b32_e32 v6, 0
	s_mov_b32 s14, exec_lo
	v_cmpx_ne_u16_e32 0, v8
	s_cbranch_execz .LBB355_2018
; %bb.2011:                             ;   in Loop: Header=BB355_1581 Depth=1
	v_bfrev_b32_e32 v6, 1
	s_mov_b32 s15, exec_lo
	v_cmpx_ne_u16_e32 0x80, v8
	s_cbranch_execz .LBB355_2017
; %bb.2012:                             ;   in Loop: Header=BB355_1581 Depth=1
	v_and_b32_e32 v8, 0x7f, v17
	v_mov_b32_e32 v6, 0x7f800001
	s_mov_b32 s16, exec_lo
	s_delay_alu instid0(VALU_DEP_2)
	v_cmpx_ne_u32_e32 0x7f, v8
	s_cbranch_execz .LBB355_2016
; %bb.2013:                             ;   in Loop: Header=BB355_1581 Depth=1
	v_mov_b64_e32 v[18:19], v[26:27]
	v_lshrrev_b32_e32 v6, 3, v8
	s_mov_b32 s17, exec_lo
	v_cmpx_gt_u32_e32 8, v8
; %bb.2014:                             ;   in Loop: Header=BB355_1581 Depth=1
	v_and_b32_e32 v6, 7, v17
	s_delay_alu instid0(VALU_DEP_1) | instskip(NEXT) | instid1(VALU_DEP_1)
	v_clz_i32_u32_e32 v6, v6
	v_min_u32_e32 v6, 32, v6
	s_delay_alu instid0(VALU_DEP_1) | instskip(SKIP_1) | instid1(VALU_DEP_2)
	v_subrev_nc_u32_e32 v8, 28, v6
	v_sub_nc_u32_e32 v6, 29, v6
	v_lshlrev_b64_e32 v[18:19], v8, v[26:27]
; %bb.2015:                             ;   in Loop: Header=BB355_1581 Depth=1
	s_or_b32 exec_lo, exec_lo, s17
	s_delay_alu instid0(VALU_DEP_1) | instskip(SKIP_2) | instid1(VALU_DEP_3)
	v_lshlrev_b32_e32 v8, 20, v18
	v_lshlrev_b32_e32 v9, 24, v26
	v_lshl_add_u32 v6, v6, 23, 0x3c000000
	v_and_b32_e32 v8, 0x700000, v8
	s_delay_alu instid0(VALU_DEP_3) | instskip(NEXT) | instid1(VALU_DEP_1)
	v_and_b32_e32 v9, 0x80000000, v9
	v_or3_b32 v6, v8, v9, v6
.LBB355_2016:                           ;   in Loop: Header=BB355_1581 Depth=1
	s_or_b32 exec_lo, exec_lo, s16
.LBB355_2017:                           ;   in Loop: Header=BB355_1581 Depth=1
	s_delay_alu instid0(SALU_CYCLE_1)
	s_or_b32 exec_lo, exec_lo, s15
.LBB355_2018:                           ;   in Loop: Header=BB355_1581 Depth=1
	s_delay_alu instid0(SALU_CYCLE_1) | instskip(SKIP_2) | instid1(VALU_DEP_1)
	s_or_b32 exec_lo, exec_lo, s14
	v_lshrrev_b16 v8, 8, v26
	s_mov_b32 s14, exec_lo
	v_cmpx_ne_u16_e32 0, v8
	s_cbranch_execz .LBB355_2026
; %bb.2019:                             ;   in Loop: Header=BB355_1581 Depth=1
	v_bfrev_b32_e32 v7, 1
	s_mov_b32 s15, exec_lo
	v_cmpx_ne_u16_e32 0x80, v8
	s_cbranch_execz .LBB355_2025
; %bb.2020:                             ;   in Loop: Header=BB355_1581 Depth=1
	v_and_b32_e32 v9, 0xffff, v8
	v_mov_b32_e32 v7, 0x7f800001
	s_mov_b32 s16, exec_lo
	s_delay_alu instid0(VALU_DEP_2) | instskip(NEXT) | instid1(VALU_DEP_1)
	v_and_b32_e32 v8, 0x7f, v9
	v_cmpx_ne_u32_e32 0x7f, v8
	s_cbranch_execz .LBB355_2024
; %bb.2021:                             ;   in Loop: Header=BB355_1581 Depth=1
	v_dual_mov_b32 v19, v27 :: v_dual_bitop2_b32 v18, 7, v9 bitop3:0x40
	v_lshrrev_b32_e32 v7, 3, v8
	s_mov_b32 s17, exec_lo
	v_cmpx_gt_u32_e32 8, v8
; %bb.2022:                             ;   in Loop: Header=BB355_1581 Depth=1
	s_delay_alu instid0(VALU_DEP_3) | instskip(NEXT) | instid1(VALU_DEP_1)
	v_clz_i32_u32_e32 v7, v18
	v_min_u32_e32 v7, 32, v7
	s_delay_alu instid0(VALU_DEP_1) | instskip(NEXT) | instid1(VALU_DEP_1)
	v_subrev_nc_u32_e32 v8, 28, v7
	v_lshlrev_b64_e32 v[8:9], v8, v[18:19]
	s_delay_alu instid0(VALU_DEP_1)
	v_dual_sub_nc_u32 v7, 29, v7 :: v_dual_bitop2_b32 v18, 7, v8 bitop3:0x40
; %bb.2023:                             ;   in Loop: Header=BB355_1581 Depth=1
	s_or_b32 exec_lo, exec_lo, s17
	v_lshlrev_b32_e32 v8, 16, v26
	s_delay_alu instid0(VALU_DEP_2) | instskip(NEXT) | instid1(VALU_DEP_3)
	v_lshlrev_b32_e32 v9, 20, v18
	v_lshl_add_u32 v7, v7, 23, 0x3c000000
	s_delay_alu instid0(VALU_DEP_3) | instskip(NEXT) | instid1(VALU_DEP_1)
	v_and_b32_e32 v8, 0x80000000, v8
	v_or3_b32 v7, v9, v8, v7
.LBB355_2024:                           ;   in Loop: Header=BB355_1581 Depth=1
	s_or_b32 exec_lo, exec_lo, s16
.LBB355_2025:                           ;   in Loop: Header=BB355_1581 Depth=1
	s_delay_alu instid0(SALU_CYCLE_1)
	s_or_b32 exec_lo, exec_lo, s15
.LBB355_2026:                           ;   in Loop: Header=BB355_1581 Depth=1
	s_delay_alu instid0(SALU_CYCLE_1) | instskip(SKIP_3) | instid1(VALU_DEP_2)
	s_or_b32 exec_lo, exec_lo, s14
	v_dual_lshrrev_b32 v10, 16, v17 :: v_dual_mov_b32 v8, 0
	v_mov_b32_e32 v9, 0
	s_mov_b32 s14, exec_lo
	v_and_b32_e32 v11, 0xff, v10
	s_delay_alu instid0(VALU_DEP_1)
	v_cmpx_ne_u16_e32 0, v11
	s_cbranch_execz .LBB355_2034
; %bb.2027:                             ;   in Loop: Header=BB355_1581 Depth=1
	v_bfrev_b32_e32 v9, 1
	s_mov_b32 s15, exec_lo
	v_cmpx_ne_u16_e32 0x80, v11
	s_cbranch_execz .LBB355_2033
; %bb.2028:                             ;   in Loop: Header=BB355_1581 Depth=1
	v_bfe_u32 v11, v17, 16, 7
	v_mov_b32_e32 v9, 0x7f800001
	s_mov_b32 s16, exec_lo
	s_delay_alu instid0(VALU_DEP_2)
	v_cmpx_ne_u32_e32 0x7f, v11
	s_cbranch_execz .LBB355_2032
; %bb.2029:                             ;   in Loop: Header=BB355_1581 Depth=1
	v_dual_lshrrev_b32 v9, 3, v11 :: v_dual_bitop2_b32 v26, 7, v10 bitop3:0x40
	s_mov_b32 s17, exec_lo
	s_delay_alu instid0(VALU_DEP_1)
	v_mov_b64_e32 v[18:19], v[26:27]
	v_cmpx_gt_u32_e32 8, v11
; %bb.2030:                             ;   in Loop: Header=BB355_1581 Depth=1
	v_clz_i32_u32_e32 v9, v26
	s_delay_alu instid0(VALU_DEP_1) | instskip(NEXT) | instid1(VALU_DEP_1)
	v_min_u32_e32 v9, 32, v9
	v_subrev_nc_u32_e32 v11, 28, v9
	s_delay_alu instid0(VALU_DEP_1) | instskip(NEXT) | instid1(VALU_DEP_1)
	v_lshlrev_b64_e32 v[12:13], v11, v[26:27]
	v_dual_sub_nc_u32 v9, 29, v9 :: v_dual_bitop2_b32 v18, 7, v12 bitop3:0x40
; %bb.2031:                             ;   in Loop: Header=BB355_1581 Depth=1
	s_or_b32 exec_lo, exec_lo, s17
	v_lshlrev_b32_e32 v10, 24, v10
	s_delay_alu instid0(VALU_DEP_2) | instskip(NEXT) | instid1(VALU_DEP_3)
	v_lshlrev_b32_e32 v11, 20, v18
	v_lshl_add_u32 v9, v9, 23, 0x3c000000
	s_delay_alu instid0(VALU_DEP_3) | instskip(NEXT) | instid1(VALU_DEP_1)
	v_and_b32_e32 v10, 0x80000000, v10
	v_or3_b32 v9, v11, v10, v9
.LBB355_2032:                           ;   in Loop: Header=BB355_1581 Depth=1
	s_or_b32 exec_lo, exec_lo, s16
.LBB355_2033:                           ;   in Loop: Header=BB355_1581 Depth=1
	s_delay_alu instid0(SALU_CYCLE_1)
	s_or_b32 exec_lo, exec_lo, s15
.LBB355_2034:                           ;   in Loop: Header=BB355_1581 Depth=1
	s_delay_alu instid0(SALU_CYCLE_1) | instskip(NEXT) | instid1(SALU_CYCLE_1)
	s_or_b32 exec_lo, exec_lo, s14
	s_mov_b32 s14, exec_lo
	v_cmpx_lt_u64_e64 s[2:3], v[16:17]
	s_cbranch_execz .LBB355_2042
; %bb.2035:                             ;   in Loop: Header=BB355_1581 Depth=1
	v_lshrrev_b32_e32 v10, 24, v17
	v_bfrev_b32_e32 v8, 1
	s_mov_b32 s15, exec_lo
	s_delay_alu instid0(VALU_DEP_2)
	v_cmpx_ne_u32_e32 0x80, v10
	s_cbranch_execz .LBB355_2041
; %bb.2036:                             ;   in Loop: Header=BB355_1581 Depth=1
	v_bfe_u32 v11, v17, 24, 7
	v_mov_b32_e32 v8, 0x7f800001
	s_mov_b32 s16, exec_lo
	s_delay_alu instid0(VALU_DEP_2)
	v_cmpx_ne_u32_e32 0x7f, v11
	s_cbranch_execz .LBB355_2040
; %bb.2037:                             ;   in Loop: Header=BB355_1581 Depth=1
	v_dual_lshrrev_b32 v8, 3, v11 :: v_dual_bitop2_b32 v26, 7, v10 bitop3:0x40
	s_mov_b32 s17, exec_lo
	s_delay_alu instid0(VALU_DEP_1)
	v_mov_b64_e32 v[16:17], v[26:27]
	v_cmpx_gt_u32_e32 8, v11
; %bb.2038:                             ;   in Loop: Header=BB355_1581 Depth=1
	v_clz_i32_u32_e32 v8, v26
	s_delay_alu instid0(VALU_DEP_1) | instskip(NEXT) | instid1(VALU_DEP_1)
	v_min_u32_e32 v8, 32, v8
	v_subrev_nc_u32_e32 v11, 28, v8
	v_sub_nc_u32_e32 v8, 29, v8
	s_delay_alu instid0(VALU_DEP_2) | instskip(NEXT) | instid1(VALU_DEP_1)
	v_lshlrev_b64_e32 v[12:13], v11, v[26:27]
	v_and_b32_e32 v16, 7, v12
; %bb.2039:                             ;   in Loop: Header=BB355_1581 Depth=1
	s_or_b32 exec_lo, exec_lo, s17
	s_delay_alu instid0(VALU_DEP_1) | instskip(SKIP_1) | instid1(VALU_DEP_2)
	v_dual_lshlrev_b32 v10, 24, v10 :: v_dual_lshlrev_b32 v11, 20, v16
	v_lshl_add_u32 v8, v8, 23, 0x3c000000
	v_and_b32_e32 v10, 0x80000000, v10
	s_delay_alu instid0(VALU_DEP_1)
	v_or3_b32 v8, v11, v10, v8
.LBB355_2040:                           ;   in Loop: Header=BB355_1581 Depth=1
	s_or_b32 exec_lo, exec_lo, s16
.LBB355_2041:                           ;   in Loop: Header=BB355_1581 Depth=1
	s_delay_alu instid0(SALU_CYCLE_1)
	s_or_b32 exec_lo, exec_lo, s15
.LBB355_2042:                           ;   in Loop: Header=BB355_1581 Depth=1
	s_delay_alu instid0(SALU_CYCLE_1)
	s_or_b32 exec_lo, exec_lo, s14
	v_fma_mixlo_bf16 v2, v116, v2, 0
	v_fma_mixlo_bf16 v7, v116, v7, 0
	v_fma_mixlo_bf16 v6, v116, v6, 0
	v_fma_mixlo_bf16 v5, v116, v5, 0
	v_fma_mixlo_bf16 v4, v116, v4, 0
	scratch_store_b32 off, v2, s32 offset:564 ; 4-byte Folded Spill
	s_wait_xcnt 0x0
	v_fma_mixlo_bf16 v2, v116, v9, 0
	s_clause 0x1
	scratch_store_b32 off, v7, s32 offset:528
	scratch_store_b32 off, v6, s32 offset:532
	v_fma_mixlo_bf16 v3, v116, v3, 0
	s_clause 0x1
	scratch_store_b32 off, v5, s32 offset:548
	scratch_store_b32 off, v2, s32 offset:536
	s_wait_xcnt 0x0
	v_fma_mixlo_bf16 v2, v116, v8, 0
	s_clause 0x2
	scratch_store_b32 off, v4, s32 offset:552
	scratch_store_b32 off, v3, s32 offset:556
	;; [unrolled: 1-line block ×3, first 2 shown]
	s_wait_xcnt 0x0
	s_and_saveexec_b32 s14, vcc_lo
	s_cbranch_execz .LBB355_2044
; %bb.2043:                             ;   in Loop: Header=BB355_1581 Depth=1
	scratch_load_b32 v2, off, s32 offset:564 ; 4-byte Folded Reload
	v_cmp_lt_i32_e64 s0, v115, v119
	s_wait_loadcnt 0x0
	s_delay_alu instid0(VALU_DEP_1)
	v_cndmask_b32_e64 v2, 0, v2, s0
	v_cmp_lt_i32_e64 s0, v59, v119
	s_clause 0x1
	scratch_store_b32 off, v2, s32 offset:564
	scratch_load_b32 v2, off, s32 offset:556
	s_wait_loadcnt 0x0
	v_cndmask_b32_e64 v2, 0, v2, s0
	v_cmp_lt_i32_e64 s0, v58, v119
	s_clause 0x1
	scratch_store_b32 off, v2, s32 offset:556
	scratch_load_b32 v2, off, s32 offset:552
	s_wait_loadcnt 0x0
	;; [unrolled: 6-line block ×7, first 2 shown]
	v_cndmask_b32_e64 v2, 0, v2, s0
	scratch_store_b32 off, v2, s32 offset:540 ; 4-byte Folded Spill
.LBB355_2044:                           ;   in Loop: Header=BB355_1581 Depth=1
	s_wait_xcnt 0x0
	s_or_b32 exec_lo, exec_lo, s14
	flat_load_b64 v[16:17], v[0:1] offset:1792
	v_dual_mov_b32 v3, 0 :: v_dual_mov_b32 v2, 0
	s_mov_b32 s14, exec_lo
	s_wait_loadcnt_dscnt 0x0
	v_and_b32_e32 v4, 0xff, v16
	s_wait_xcnt 0x0
	s_delay_alu instid0(VALU_DEP_1)
	v_cmpx_ne_u16_e32 0, v4
	s_cbranch_execz .LBB355_2052
; %bb.2045:                             ;   in Loop: Header=BB355_1581 Depth=1
	v_bfrev_b32_e32 v2, 1
	s_mov_b32 s15, exec_lo
	v_cmpx_ne_u16_e32 0x80, v4
	s_cbranch_execz .LBB355_2051
; %bb.2046:                             ;   in Loop: Header=BB355_1581 Depth=1
	v_and_b32_e32 v4, 0x7f, v16
	v_mov_b32_e32 v2, 0x7f800001
	s_mov_b32 s16, exec_lo
	s_delay_alu instid0(VALU_DEP_2)
	v_cmpx_ne_u32_e32 0x7f, v4
	s_cbranch_execz .LBB355_2050
; %bb.2047:                             ;   in Loop: Header=BB355_1581 Depth=1
	v_mov_b64_e32 v[18:19], v[16:17]
	v_lshrrev_b32_e32 v2, 3, v4
	s_mov_b32 s17, exec_lo
	v_cmpx_gt_u32_e32 8, v4
; %bb.2048:                             ;   in Loop: Header=BB355_1581 Depth=1
	v_and_b32_e32 v2, 7, v16
	s_delay_alu instid0(VALU_DEP_1) | instskip(NEXT) | instid1(VALU_DEP_1)
	v_clz_i32_u32_e32 v2, v2
	v_min_u32_e32 v2, 32, v2
	s_delay_alu instid0(VALU_DEP_1) | instskip(SKIP_1) | instid1(VALU_DEP_2)
	v_subrev_nc_u32_e32 v4, 28, v2
	v_sub_nc_u32_e32 v2, 29, v2
	v_lshlrev_b64_e32 v[18:19], v4, v[16:17]
; %bb.2049:                             ;   in Loop: Header=BB355_1581 Depth=1
	s_or_b32 exec_lo, exec_lo, s17
	s_delay_alu instid0(VALU_DEP_1) | instskip(NEXT) | instid1(VALU_DEP_3)
	v_dual_lshlrev_b32 v4, 20, v18 :: v_dual_lshlrev_b32 v5, 24, v16
	v_lshl_add_u32 v2, v2, 23, 0x3c000000
	s_delay_alu instid0(VALU_DEP_2) | instskip(NEXT) | instid1(VALU_DEP_3)
	v_and_b32_e32 v4, 0x700000, v4
	v_and_b32_e32 v5, 0x80000000, v5
	s_delay_alu instid0(VALU_DEP_1)
	v_or3_b32 v2, v4, v5, v2
.LBB355_2050:                           ;   in Loop: Header=BB355_1581 Depth=1
	s_or_b32 exec_lo, exec_lo, s16
.LBB355_2051:                           ;   in Loop: Header=BB355_1581 Depth=1
	s_delay_alu instid0(SALU_CYCLE_1)
	s_or_b32 exec_lo, exec_lo, s15
.LBB355_2052:                           ;   in Loop: Header=BB355_1581 Depth=1
	s_delay_alu instid0(SALU_CYCLE_1) | instskip(SKIP_2) | instid1(VALU_DEP_1)
	s_or_b32 exec_lo, exec_lo, s14
	v_lshrrev_b16 v4, 8, v16
	s_mov_b32 s14, exec_lo
	v_cmpx_ne_u16_e32 0, v4
	s_cbranch_execz .LBB355_2060
; %bb.2053:                             ;   in Loop: Header=BB355_1581 Depth=1
	v_bfrev_b32_e32 v3, 1
	s_mov_b32 s15, exec_lo
	v_cmpx_ne_u16_e32 0x80, v4
	s_cbranch_execz .LBB355_2059
; %bb.2054:                             ;   in Loop: Header=BB355_1581 Depth=1
	v_and_b32_e32 v5, 0xffff, v4
	v_mov_b32_e32 v3, 0x7f800001
	s_mov_b32 s16, exec_lo
	s_delay_alu instid0(VALU_DEP_2) | instskip(NEXT) | instid1(VALU_DEP_1)
	v_and_b32_e32 v4, 0x7f, v5
	v_cmpx_ne_u32_e32 0x7f, v4
	s_cbranch_execz .LBB355_2058
; %bb.2055:                             ;   in Loop: Header=BB355_1581 Depth=1
	v_dual_lshrrev_b32 v3, 3, v4 :: v_dual_bitop2_b32 v26, 7, v5 bitop3:0x40
	s_mov_b32 s17, exec_lo
	s_delay_alu instid0(VALU_DEP_1)
	v_mov_b64_e32 v[18:19], v[26:27]
	v_cmpx_gt_u32_e32 8, v4
; %bb.2056:                             ;   in Loop: Header=BB355_1581 Depth=1
	v_clz_i32_u32_e32 v3, v26
	s_delay_alu instid0(VALU_DEP_1) | instskip(NEXT) | instid1(VALU_DEP_1)
	v_min_u32_e32 v3, 32, v3
	v_subrev_nc_u32_e32 v4, 28, v3
	s_delay_alu instid0(VALU_DEP_1) | instskip(NEXT) | instid1(VALU_DEP_1)
	v_lshlrev_b64_e32 v[4:5], v4, v[26:27]
	v_dual_sub_nc_u32 v3, 29, v3 :: v_dual_bitop2_b32 v18, 7, v4 bitop3:0x40
; %bb.2057:                             ;   in Loop: Header=BB355_1581 Depth=1
	s_or_b32 exec_lo, exec_lo, s17
	s_delay_alu instid0(VALU_DEP_1) | instskip(NEXT) | instid1(VALU_DEP_2)
	v_dual_lshlrev_b32 v4, 16, v16 :: v_dual_lshlrev_b32 v5, 20, v18
	v_lshl_add_u32 v3, v3, 23, 0x3c000000
	s_delay_alu instid0(VALU_DEP_2) | instskip(NEXT) | instid1(VALU_DEP_1)
	v_and_b32_e32 v4, 0x80000000, v4
	v_or3_b32 v3, v5, v4, v3
.LBB355_2058:                           ;   in Loop: Header=BB355_1581 Depth=1
	s_or_b32 exec_lo, exec_lo, s16
.LBB355_2059:                           ;   in Loop: Header=BB355_1581 Depth=1
	s_delay_alu instid0(SALU_CYCLE_1)
	s_or_b32 exec_lo, exec_lo, s15
.LBB355_2060:                           ;   in Loop: Header=BB355_1581 Depth=1
	s_delay_alu instid0(SALU_CYCLE_1) | instskip(SKIP_3) | instid1(VALU_DEP_2)
	s_or_b32 exec_lo, exec_lo, s14
	v_dual_mov_b32 v5, 0 :: v_dual_lshrrev_b32 v6, 16, v16
	v_mov_b32_e32 v4, 0
	s_mov_b32 s14, exec_lo
	v_and_b32_e32 v7, 0xff, v6
	s_delay_alu instid0(VALU_DEP_1)
	v_cmpx_ne_u16_e32 0, v7
	s_cbranch_execz .LBB355_2068
; %bb.2061:                             ;   in Loop: Header=BB355_1581 Depth=1
	v_bfrev_b32_e32 v4, 1
	s_mov_b32 s15, exec_lo
	v_cmpx_ne_u16_e32 0x80, v7
	s_cbranch_execz .LBB355_2067
; %bb.2062:                             ;   in Loop: Header=BB355_1581 Depth=1
	v_bfe_u32 v7, v16, 16, 7
	v_mov_b32_e32 v4, 0x7f800001
	s_mov_b32 s16, exec_lo
	s_delay_alu instid0(VALU_DEP_2)
	v_cmpx_ne_u32_e32 0x7f, v7
	s_cbranch_execz .LBB355_2066
; %bb.2063:                             ;   in Loop: Header=BB355_1581 Depth=1
	v_dual_lshrrev_b32 v4, 3, v7 :: v_dual_bitop2_b32 v26, 7, v6 bitop3:0x40
	s_mov_b32 s17, exec_lo
	s_delay_alu instid0(VALU_DEP_1)
	v_mov_b64_e32 v[18:19], v[26:27]
	v_cmpx_gt_u32_e32 8, v7
; %bb.2064:                             ;   in Loop: Header=BB355_1581 Depth=1
	v_clz_i32_u32_e32 v4, v26
	s_delay_alu instid0(VALU_DEP_1) | instskip(NEXT) | instid1(VALU_DEP_1)
	v_min_u32_e32 v4, 32, v4
	v_subrev_nc_u32_e32 v7, 28, v4
	v_sub_nc_u32_e32 v4, 29, v4
	s_delay_alu instid0(VALU_DEP_2) | instskip(NEXT) | instid1(VALU_DEP_1)
	v_lshlrev_b64_e32 v[8:9], v7, v[26:27]
	v_and_b32_e32 v18, 7, v8
; %bb.2065:                             ;   in Loop: Header=BB355_1581 Depth=1
	s_or_b32 exec_lo, exec_lo, s17
	v_lshlrev_b32_e32 v6, 24, v6
	s_delay_alu instid0(VALU_DEP_2) | instskip(SKIP_1) | instid1(VALU_DEP_3)
	v_lshlrev_b32_e32 v7, 20, v18
	v_lshl_add_u32 v4, v4, 23, 0x3c000000
	v_and_b32_e32 v6, 0x80000000, v6
	s_delay_alu instid0(VALU_DEP_1)
	v_or3_b32 v4, v7, v6, v4
.LBB355_2066:                           ;   in Loop: Header=BB355_1581 Depth=1
	s_or_b32 exec_lo, exec_lo, s16
.LBB355_2067:                           ;   in Loop: Header=BB355_1581 Depth=1
	s_delay_alu instid0(SALU_CYCLE_1)
	s_or_b32 exec_lo, exec_lo, s15
.LBB355_2068:                           ;   in Loop: Header=BB355_1581 Depth=1
	s_delay_alu instid0(SALU_CYCLE_1) | instskip(NEXT) | instid1(SALU_CYCLE_1)
	s_or_b32 exec_lo, exec_lo, s14
	s_mov_b32 s14, exec_lo
	v_cmpx_lt_u32_e32 0xffffff, v16
	s_cbranch_execz .LBB355_2076
; %bb.2069:                             ;   in Loop: Header=BB355_1581 Depth=1
	v_lshrrev_b32_e32 v6, 24, v16
	v_bfrev_b32_e32 v5, 1
	s_mov_b32 s15, exec_lo
	s_delay_alu instid0(VALU_DEP_2)
	v_cmpx_ne_u32_e32 0x80, v6
	s_cbranch_execz .LBB355_2075
; %bb.2070:                             ;   in Loop: Header=BB355_1581 Depth=1
	v_bfe_u32 v7, v16, 24, 7
	v_mov_b32_e32 v5, 0x7f800001
	s_mov_b32 s16, exec_lo
	s_delay_alu instid0(VALU_DEP_2)
	v_cmpx_ne_u32_e32 0x7f, v7
	s_cbranch_execz .LBB355_2074
; %bb.2071:                             ;   in Loop: Header=BB355_1581 Depth=1
	v_dual_lshrrev_b32 v5, 3, v7 :: v_dual_bitop2_b32 v26, 7, v6 bitop3:0x40
	s_mov_b32 s17, exec_lo
	s_delay_alu instid0(VALU_DEP_1)
	v_mov_b64_e32 v[18:19], v[26:27]
	v_cmpx_gt_u32_e32 8, v7
; %bb.2072:                             ;   in Loop: Header=BB355_1581 Depth=1
	v_clz_i32_u32_e32 v5, v26
	s_delay_alu instid0(VALU_DEP_1) | instskip(NEXT) | instid1(VALU_DEP_1)
	v_min_u32_e32 v5, 32, v5
	v_subrev_nc_u32_e32 v7, 28, v5
	s_delay_alu instid0(VALU_DEP_1) | instskip(NEXT) | instid1(VALU_DEP_1)
	v_lshlrev_b64_e32 v[8:9], v7, v[26:27]
	v_dual_sub_nc_u32 v5, 29, v5 :: v_dual_bitop2_b32 v18, 7, v8 bitop3:0x40
; %bb.2073:                             ;   in Loop: Header=BB355_1581 Depth=1
	s_or_b32 exec_lo, exec_lo, s17
	v_lshlrev_b32_e32 v6, 24, v6
	s_delay_alu instid0(VALU_DEP_2) | instskip(NEXT) | instid1(VALU_DEP_3)
	v_lshlrev_b32_e32 v7, 20, v18
	v_lshl_add_u32 v5, v5, 23, 0x3c000000
	s_delay_alu instid0(VALU_DEP_3) | instskip(NEXT) | instid1(VALU_DEP_1)
	v_and_b32_e32 v6, 0x80000000, v6
	v_or3_b32 v5, v7, v6, v5
.LBB355_2074:                           ;   in Loop: Header=BB355_1581 Depth=1
	s_or_b32 exec_lo, exec_lo, s16
.LBB355_2075:                           ;   in Loop: Header=BB355_1581 Depth=1
	s_delay_alu instid0(SALU_CYCLE_1)
	s_or_b32 exec_lo, exec_lo, s15
.LBB355_2076:                           ;   in Loop: Header=BB355_1581 Depth=1
	s_delay_alu instid0(SALU_CYCLE_1) | instskip(SKIP_4) | instid1(VALU_DEP_3)
	s_or_b32 exec_lo, exec_lo, s14
	v_and_b32_e32 v8, 0xff, v17
	v_dual_mov_b32 v26, v17 :: v_dual_mov_b32 v7, 0
	v_mov_b32_e32 v6, 0
	s_mov_b32 s14, exec_lo
	v_cmpx_ne_u16_e32 0, v8
	s_cbranch_execz .LBB355_2084
; %bb.2077:                             ;   in Loop: Header=BB355_1581 Depth=1
	v_bfrev_b32_e32 v6, 1
	s_mov_b32 s15, exec_lo
	v_cmpx_ne_u16_e32 0x80, v8
	s_cbranch_execz .LBB355_2083
; %bb.2078:                             ;   in Loop: Header=BB355_1581 Depth=1
	v_and_b32_e32 v8, 0x7f, v17
	v_mov_b32_e32 v6, 0x7f800001
	s_mov_b32 s16, exec_lo
	s_delay_alu instid0(VALU_DEP_2)
	v_cmpx_ne_u32_e32 0x7f, v8
	s_cbranch_execz .LBB355_2082
; %bb.2079:                             ;   in Loop: Header=BB355_1581 Depth=1
	v_mov_b64_e32 v[18:19], v[26:27]
	v_lshrrev_b32_e32 v6, 3, v8
	s_mov_b32 s17, exec_lo
	v_cmpx_gt_u32_e32 8, v8
; %bb.2080:                             ;   in Loop: Header=BB355_1581 Depth=1
	v_and_b32_e32 v6, 7, v17
	s_delay_alu instid0(VALU_DEP_1) | instskip(NEXT) | instid1(VALU_DEP_1)
	v_clz_i32_u32_e32 v6, v6
	v_min_u32_e32 v6, 32, v6
	s_delay_alu instid0(VALU_DEP_1) | instskip(SKIP_1) | instid1(VALU_DEP_2)
	v_subrev_nc_u32_e32 v8, 28, v6
	v_sub_nc_u32_e32 v6, 29, v6
	v_lshlrev_b64_e32 v[18:19], v8, v[26:27]
; %bb.2081:                             ;   in Loop: Header=BB355_1581 Depth=1
	s_or_b32 exec_lo, exec_lo, s17
	s_delay_alu instid0(VALU_DEP_1) | instskip(SKIP_2) | instid1(VALU_DEP_3)
	v_lshlrev_b32_e32 v8, 20, v18
	v_lshlrev_b32_e32 v9, 24, v26
	v_lshl_add_u32 v6, v6, 23, 0x3c000000
	v_and_b32_e32 v8, 0x700000, v8
	s_delay_alu instid0(VALU_DEP_3) | instskip(NEXT) | instid1(VALU_DEP_1)
	v_and_b32_e32 v9, 0x80000000, v9
	v_or3_b32 v6, v8, v9, v6
.LBB355_2082:                           ;   in Loop: Header=BB355_1581 Depth=1
	s_or_b32 exec_lo, exec_lo, s16
.LBB355_2083:                           ;   in Loop: Header=BB355_1581 Depth=1
	s_delay_alu instid0(SALU_CYCLE_1)
	s_or_b32 exec_lo, exec_lo, s15
.LBB355_2084:                           ;   in Loop: Header=BB355_1581 Depth=1
	s_delay_alu instid0(SALU_CYCLE_1) | instskip(SKIP_2) | instid1(VALU_DEP_1)
	s_or_b32 exec_lo, exec_lo, s14
	v_lshrrev_b16 v8, 8, v26
	s_mov_b32 s14, exec_lo
	v_cmpx_ne_u16_e32 0, v8
	s_cbranch_execz .LBB355_2092
; %bb.2085:                             ;   in Loop: Header=BB355_1581 Depth=1
	v_bfrev_b32_e32 v7, 1
	s_mov_b32 s15, exec_lo
	v_cmpx_ne_u16_e32 0x80, v8
	s_cbranch_execz .LBB355_2091
; %bb.2086:                             ;   in Loop: Header=BB355_1581 Depth=1
	v_and_b32_e32 v9, 0xffff, v8
	v_mov_b32_e32 v7, 0x7f800001
	s_mov_b32 s16, exec_lo
	s_delay_alu instid0(VALU_DEP_2) | instskip(NEXT) | instid1(VALU_DEP_1)
	v_and_b32_e32 v8, 0x7f, v9
	v_cmpx_ne_u32_e32 0x7f, v8
	s_cbranch_execz .LBB355_2090
; %bb.2087:                             ;   in Loop: Header=BB355_1581 Depth=1
	v_dual_mov_b32 v19, v27 :: v_dual_bitop2_b32 v18, 7, v9 bitop3:0x40
	v_lshrrev_b32_e32 v7, 3, v8
	s_mov_b32 s17, exec_lo
	v_cmpx_gt_u32_e32 8, v8
; %bb.2088:                             ;   in Loop: Header=BB355_1581 Depth=1
	s_delay_alu instid0(VALU_DEP_3) | instskip(NEXT) | instid1(VALU_DEP_1)
	v_clz_i32_u32_e32 v7, v18
	v_min_u32_e32 v7, 32, v7
	s_delay_alu instid0(VALU_DEP_1) | instskip(NEXT) | instid1(VALU_DEP_1)
	v_subrev_nc_u32_e32 v8, 28, v7
	v_lshlrev_b64_e32 v[8:9], v8, v[18:19]
	s_delay_alu instid0(VALU_DEP_1)
	v_dual_sub_nc_u32 v7, 29, v7 :: v_dual_bitop2_b32 v18, 7, v8 bitop3:0x40
; %bb.2089:                             ;   in Loop: Header=BB355_1581 Depth=1
	s_or_b32 exec_lo, exec_lo, s17
	v_lshlrev_b32_e32 v8, 16, v26
	s_delay_alu instid0(VALU_DEP_2) | instskip(NEXT) | instid1(VALU_DEP_3)
	v_lshlrev_b32_e32 v9, 20, v18
	v_lshl_add_u32 v7, v7, 23, 0x3c000000
	s_delay_alu instid0(VALU_DEP_3) | instskip(NEXT) | instid1(VALU_DEP_1)
	v_and_b32_e32 v8, 0x80000000, v8
	v_or3_b32 v7, v9, v8, v7
.LBB355_2090:                           ;   in Loop: Header=BB355_1581 Depth=1
	s_or_b32 exec_lo, exec_lo, s16
.LBB355_2091:                           ;   in Loop: Header=BB355_1581 Depth=1
	s_delay_alu instid0(SALU_CYCLE_1)
	s_or_b32 exec_lo, exec_lo, s15
.LBB355_2092:                           ;   in Loop: Header=BB355_1581 Depth=1
	s_delay_alu instid0(SALU_CYCLE_1) | instskip(SKIP_3) | instid1(VALU_DEP_2)
	s_or_b32 exec_lo, exec_lo, s14
	v_dual_lshrrev_b32 v10, 16, v17 :: v_dual_mov_b32 v8, 0
	v_mov_b32_e32 v9, 0
	s_mov_b32 s14, exec_lo
	v_and_b32_e32 v11, 0xff, v10
	s_delay_alu instid0(VALU_DEP_1)
	v_cmpx_ne_u16_e32 0, v11
	s_cbranch_execz .LBB355_2100
; %bb.2093:                             ;   in Loop: Header=BB355_1581 Depth=1
	v_bfrev_b32_e32 v9, 1
	s_mov_b32 s15, exec_lo
	v_cmpx_ne_u16_e32 0x80, v11
	s_cbranch_execz .LBB355_2099
; %bb.2094:                             ;   in Loop: Header=BB355_1581 Depth=1
	v_bfe_u32 v11, v17, 16, 7
	v_mov_b32_e32 v9, 0x7f800001
	s_mov_b32 s16, exec_lo
	s_delay_alu instid0(VALU_DEP_2)
	v_cmpx_ne_u32_e32 0x7f, v11
	s_cbranch_execz .LBB355_2098
; %bb.2095:                             ;   in Loop: Header=BB355_1581 Depth=1
	v_dual_lshrrev_b32 v9, 3, v11 :: v_dual_bitop2_b32 v26, 7, v10 bitop3:0x40
	s_mov_b32 s17, exec_lo
	s_delay_alu instid0(VALU_DEP_1)
	v_mov_b64_e32 v[18:19], v[26:27]
	v_cmpx_gt_u32_e32 8, v11
; %bb.2096:                             ;   in Loop: Header=BB355_1581 Depth=1
	v_clz_i32_u32_e32 v9, v26
	s_delay_alu instid0(VALU_DEP_1) | instskip(NEXT) | instid1(VALU_DEP_1)
	v_min_u32_e32 v9, 32, v9
	v_subrev_nc_u32_e32 v11, 28, v9
	s_delay_alu instid0(VALU_DEP_1) | instskip(NEXT) | instid1(VALU_DEP_1)
	v_lshlrev_b64_e32 v[12:13], v11, v[26:27]
	v_dual_sub_nc_u32 v9, 29, v9 :: v_dual_bitop2_b32 v18, 7, v12 bitop3:0x40
; %bb.2097:                             ;   in Loop: Header=BB355_1581 Depth=1
	s_or_b32 exec_lo, exec_lo, s17
	v_lshlrev_b32_e32 v10, 24, v10
	s_delay_alu instid0(VALU_DEP_2) | instskip(NEXT) | instid1(VALU_DEP_3)
	v_lshlrev_b32_e32 v11, 20, v18
	v_lshl_add_u32 v9, v9, 23, 0x3c000000
	s_delay_alu instid0(VALU_DEP_3) | instskip(NEXT) | instid1(VALU_DEP_1)
	v_and_b32_e32 v10, 0x80000000, v10
	v_or3_b32 v9, v11, v10, v9
.LBB355_2098:                           ;   in Loop: Header=BB355_1581 Depth=1
	s_or_b32 exec_lo, exec_lo, s16
.LBB355_2099:                           ;   in Loop: Header=BB355_1581 Depth=1
	s_delay_alu instid0(SALU_CYCLE_1)
	s_or_b32 exec_lo, exec_lo, s15
.LBB355_2100:                           ;   in Loop: Header=BB355_1581 Depth=1
	s_delay_alu instid0(SALU_CYCLE_1) | instskip(NEXT) | instid1(SALU_CYCLE_1)
	s_or_b32 exec_lo, exec_lo, s14
	s_mov_b32 s14, exec_lo
	v_cmpx_lt_u64_e64 s[2:3], v[16:17]
	s_cbranch_execz .LBB355_2108
; %bb.2101:                             ;   in Loop: Header=BB355_1581 Depth=1
	v_lshrrev_b32_e32 v10, 24, v17
	v_bfrev_b32_e32 v8, 1
	s_mov_b32 s15, exec_lo
	s_delay_alu instid0(VALU_DEP_2)
	v_cmpx_ne_u32_e32 0x80, v10
	s_cbranch_execz .LBB355_2107
; %bb.2102:                             ;   in Loop: Header=BB355_1581 Depth=1
	v_bfe_u32 v11, v17, 24, 7
	v_mov_b32_e32 v8, 0x7f800001
	s_mov_b32 s16, exec_lo
	s_delay_alu instid0(VALU_DEP_2)
	v_cmpx_ne_u32_e32 0x7f, v11
	s_cbranch_execz .LBB355_2106
; %bb.2103:                             ;   in Loop: Header=BB355_1581 Depth=1
	v_dual_lshrrev_b32 v8, 3, v11 :: v_dual_bitop2_b32 v26, 7, v10 bitop3:0x40
	s_mov_b32 s17, exec_lo
	s_delay_alu instid0(VALU_DEP_1)
	v_mov_b64_e32 v[16:17], v[26:27]
	v_cmpx_gt_u32_e32 8, v11
; %bb.2104:                             ;   in Loop: Header=BB355_1581 Depth=1
	v_clz_i32_u32_e32 v8, v26
	s_delay_alu instid0(VALU_DEP_1) | instskip(NEXT) | instid1(VALU_DEP_1)
	v_min_u32_e32 v8, 32, v8
	v_subrev_nc_u32_e32 v11, 28, v8
	v_sub_nc_u32_e32 v8, 29, v8
	s_delay_alu instid0(VALU_DEP_2) | instskip(NEXT) | instid1(VALU_DEP_1)
	v_lshlrev_b64_e32 v[12:13], v11, v[26:27]
	v_and_b32_e32 v16, 7, v12
; %bb.2105:                             ;   in Loop: Header=BB355_1581 Depth=1
	s_or_b32 exec_lo, exec_lo, s17
	s_delay_alu instid0(VALU_DEP_1) | instskip(SKIP_1) | instid1(VALU_DEP_2)
	v_dual_lshlrev_b32 v10, 24, v10 :: v_dual_lshlrev_b32 v11, 20, v16
	v_lshl_add_u32 v8, v8, 23, 0x3c000000
	v_and_b32_e32 v10, 0x80000000, v10
	s_delay_alu instid0(VALU_DEP_1)
	v_or3_b32 v8, v11, v10, v8
.LBB355_2106:                           ;   in Loop: Header=BB355_1581 Depth=1
	s_or_b32 exec_lo, exec_lo, s16
.LBB355_2107:                           ;   in Loop: Header=BB355_1581 Depth=1
	s_delay_alu instid0(SALU_CYCLE_1)
	s_or_b32 exec_lo, exec_lo, s15
.LBB355_2108:                           ;   in Loop: Header=BB355_1581 Depth=1
	s_delay_alu instid0(SALU_CYCLE_1)
	s_or_b32 exec_lo, exec_lo, s14
	v_fma_mixlo_bf16 v2, v116, v2, 0
	v_fma_mixlo_bf16 v7, v116, v7, 0
	;; [unrolled: 1-line block ×5, first 2 shown]
	scratch_store_b32 off, v2, s32 offset:628 ; 4-byte Folded Spill
	s_wait_xcnt 0x0
	v_fma_mixlo_bf16 v2, v116, v9, 0
	s_clause 0x1
	scratch_store_b32 off, v7, s32 offset:572
	scratch_store_b32 off, v6, s32 offset:580
	v_fma_mixlo_bf16 v3, v116, v3, 0
	s_clause 0x1
	scratch_store_b32 off, v5, s32 offset:604
	scratch_store_b32 off, v2, s32 offset:588
	s_wait_xcnt 0x0
	v_fma_mixlo_bf16 v2, v116, v8, 0
	s_clause 0x2
	scratch_store_b32 off, v4, s32 offset:612
	scratch_store_b32 off, v3, s32 offset:620
	;; [unrolled: 1-line block ×3, first 2 shown]
	s_wait_xcnt 0x0
	s_and_saveexec_b32 s14, vcc_lo
	s_cbranch_execz .LBB355_2110
; %bb.2109:                             ;   in Loop: Header=BB355_1581 Depth=1
	scratch_load_b32 v2, off, s32 offset:628 ; 4-byte Folded Reload
	v_cmp_lt_i32_e64 s0, v115, v119
	s_wait_loadcnt 0x0
	s_delay_alu instid0(VALU_DEP_1)
	v_cndmask_b32_e64 v2, 0, v2, s0
	v_cmp_lt_i32_e64 s0, v59, v119
	s_clause 0x1
	scratch_store_b32 off, v2, s32 offset:628
	scratch_load_b32 v2, off, s32 offset:620
	s_wait_loadcnt 0x0
	v_cndmask_b32_e64 v2, 0, v2, s0
	v_cmp_lt_i32_e64 s0, v58, v119
	s_clause 0x1
	scratch_store_b32 off, v2, s32 offset:620
	scratch_load_b32 v2, off, s32 offset:612
	s_wait_loadcnt 0x0
	;; [unrolled: 6-line block ×7, first 2 shown]
	v_cndmask_b32_e64 v2, 0, v2, s0
	scratch_store_b32 off, v2, s32 offset:596 ; 4-byte Folded Spill
.LBB355_2110:                           ;   in Loop: Header=BB355_1581 Depth=1
	s_wait_xcnt 0x0
	s_or_b32 exec_lo, exec_lo, s14
	flat_load_b64 v[16:17], v[0:1] offset:2048
	v_dual_mov_b32 v3, 0 :: v_dual_mov_b32 v2, 0
	s_mov_b32 s14, exec_lo
	s_wait_loadcnt_dscnt 0x0
	v_and_b32_e32 v4, 0xff, v16
	s_wait_xcnt 0x0
	s_delay_alu instid0(VALU_DEP_1)
	v_cmpx_ne_u16_e32 0, v4
	s_cbranch_execz .LBB355_2118
; %bb.2111:                             ;   in Loop: Header=BB355_1581 Depth=1
	v_bfrev_b32_e32 v2, 1
	s_mov_b32 s15, exec_lo
	v_cmpx_ne_u16_e32 0x80, v4
	s_cbranch_execz .LBB355_2117
; %bb.2112:                             ;   in Loop: Header=BB355_1581 Depth=1
	v_and_b32_e32 v4, 0x7f, v16
	v_mov_b32_e32 v2, 0x7f800001
	s_mov_b32 s16, exec_lo
	s_delay_alu instid0(VALU_DEP_2)
	v_cmpx_ne_u32_e32 0x7f, v4
	s_cbranch_execz .LBB355_2116
; %bb.2113:                             ;   in Loop: Header=BB355_1581 Depth=1
	v_mov_b64_e32 v[18:19], v[16:17]
	v_lshrrev_b32_e32 v2, 3, v4
	s_mov_b32 s17, exec_lo
	v_cmpx_gt_u32_e32 8, v4
; %bb.2114:                             ;   in Loop: Header=BB355_1581 Depth=1
	v_and_b32_e32 v2, 7, v16
	s_delay_alu instid0(VALU_DEP_1) | instskip(NEXT) | instid1(VALU_DEP_1)
	v_clz_i32_u32_e32 v2, v2
	v_min_u32_e32 v2, 32, v2
	s_delay_alu instid0(VALU_DEP_1) | instskip(SKIP_1) | instid1(VALU_DEP_2)
	v_subrev_nc_u32_e32 v4, 28, v2
	v_sub_nc_u32_e32 v2, 29, v2
	v_lshlrev_b64_e32 v[18:19], v4, v[16:17]
; %bb.2115:                             ;   in Loop: Header=BB355_1581 Depth=1
	s_or_b32 exec_lo, exec_lo, s17
	s_delay_alu instid0(VALU_DEP_1) | instskip(NEXT) | instid1(VALU_DEP_3)
	v_dual_lshlrev_b32 v4, 20, v18 :: v_dual_lshlrev_b32 v5, 24, v16
	v_lshl_add_u32 v2, v2, 23, 0x3c000000
	s_delay_alu instid0(VALU_DEP_2) | instskip(NEXT) | instid1(VALU_DEP_3)
	v_and_b32_e32 v4, 0x700000, v4
	v_and_b32_e32 v5, 0x80000000, v5
	s_delay_alu instid0(VALU_DEP_1)
	v_or3_b32 v2, v4, v5, v2
.LBB355_2116:                           ;   in Loop: Header=BB355_1581 Depth=1
	s_or_b32 exec_lo, exec_lo, s16
.LBB355_2117:                           ;   in Loop: Header=BB355_1581 Depth=1
	s_delay_alu instid0(SALU_CYCLE_1)
	s_or_b32 exec_lo, exec_lo, s15
.LBB355_2118:                           ;   in Loop: Header=BB355_1581 Depth=1
	s_delay_alu instid0(SALU_CYCLE_1) | instskip(SKIP_2) | instid1(VALU_DEP_1)
	s_or_b32 exec_lo, exec_lo, s14
	v_lshrrev_b16 v4, 8, v16
	s_mov_b32 s14, exec_lo
	v_cmpx_ne_u16_e32 0, v4
	s_cbranch_execz .LBB355_2126
; %bb.2119:                             ;   in Loop: Header=BB355_1581 Depth=1
	v_bfrev_b32_e32 v3, 1
	s_mov_b32 s15, exec_lo
	v_cmpx_ne_u16_e32 0x80, v4
	s_cbranch_execz .LBB355_2125
; %bb.2120:                             ;   in Loop: Header=BB355_1581 Depth=1
	v_and_b32_e32 v5, 0xffff, v4
	v_mov_b32_e32 v3, 0x7f800001
	s_mov_b32 s16, exec_lo
	s_delay_alu instid0(VALU_DEP_2) | instskip(NEXT) | instid1(VALU_DEP_1)
	v_and_b32_e32 v4, 0x7f, v5
	v_cmpx_ne_u32_e32 0x7f, v4
	s_cbranch_execz .LBB355_2124
; %bb.2121:                             ;   in Loop: Header=BB355_1581 Depth=1
	v_dual_lshrrev_b32 v3, 3, v4 :: v_dual_bitop2_b32 v26, 7, v5 bitop3:0x40
	s_mov_b32 s17, exec_lo
	s_delay_alu instid0(VALU_DEP_1)
	v_mov_b64_e32 v[18:19], v[26:27]
	v_cmpx_gt_u32_e32 8, v4
; %bb.2122:                             ;   in Loop: Header=BB355_1581 Depth=1
	v_clz_i32_u32_e32 v3, v26
	s_delay_alu instid0(VALU_DEP_1) | instskip(NEXT) | instid1(VALU_DEP_1)
	v_min_u32_e32 v3, 32, v3
	v_subrev_nc_u32_e32 v4, 28, v3
	s_delay_alu instid0(VALU_DEP_1) | instskip(NEXT) | instid1(VALU_DEP_1)
	v_lshlrev_b64_e32 v[4:5], v4, v[26:27]
	v_dual_sub_nc_u32 v3, 29, v3 :: v_dual_bitop2_b32 v18, 7, v4 bitop3:0x40
; %bb.2123:                             ;   in Loop: Header=BB355_1581 Depth=1
	s_or_b32 exec_lo, exec_lo, s17
	s_delay_alu instid0(VALU_DEP_1) | instskip(NEXT) | instid1(VALU_DEP_2)
	v_dual_lshlrev_b32 v4, 16, v16 :: v_dual_lshlrev_b32 v5, 20, v18
	v_lshl_add_u32 v3, v3, 23, 0x3c000000
	s_delay_alu instid0(VALU_DEP_2) | instskip(NEXT) | instid1(VALU_DEP_1)
	v_and_b32_e32 v4, 0x80000000, v4
	v_or3_b32 v3, v5, v4, v3
.LBB355_2124:                           ;   in Loop: Header=BB355_1581 Depth=1
	s_or_b32 exec_lo, exec_lo, s16
.LBB355_2125:                           ;   in Loop: Header=BB355_1581 Depth=1
	s_delay_alu instid0(SALU_CYCLE_1)
	s_or_b32 exec_lo, exec_lo, s15
.LBB355_2126:                           ;   in Loop: Header=BB355_1581 Depth=1
	s_delay_alu instid0(SALU_CYCLE_1) | instskip(SKIP_3) | instid1(VALU_DEP_2)
	s_or_b32 exec_lo, exec_lo, s14
	v_dual_mov_b32 v5, 0 :: v_dual_lshrrev_b32 v6, 16, v16
	v_mov_b32_e32 v4, 0
	s_mov_b32 s14, exec_lo
	v_and_b32_e32 v7, 0xff, v6
	s_delay_alu instid0(VALU_DEP_1)
	v_cmpx_ne_u16_e32 0, v7
	s_cbranch_execz .LBB355_2134
; %bb.2127:                             ;   in Loop: Header=BB355_1581 Depth=1
	v_bfrev_b32_e32 v4, 1
	s_mov_b32 s15, exec_lo
	v_cmpx_ne_u16_e32 0x80, v7
	s_cbranch_execz .LBB355_2133
; %bb.2128:                             ;   in Loop: Header=BB355_1581 Depth=1
	v_bfe_u32 v7, v16, 16, 7
	v_mov_b32_e32 v4, 0x7f800001
	s_mov_b32 s16, exec_lo
	s_delay_alu instid0(VALU_DEP_2)
	v_cmpx_ne_u32_e32 0x7f, v7
	s_cbranch_execz .LBB355_2132
; %bb.2129:                             ;   in Loop: Header=BB355_1581 Depth=1
	v_dual_lshrrev_b32 v4, 3, v7 :: v_dual_bitop2_b32 v26, 7, v6 bitop3:0x40
	s_mov_b32 s17, exec_lo
	s_delay_alu instid0(VALU_DEP_1)
	v_mov_b64_e32 v[18:19], v[26:27]
	v_cmpx_gt_u32_e32 8, v7
; %bb.2130:                             ;   in Loop: Header=BB355_1581 Depth=1
	v_clz_i32_u32_e32 v4, v26
	s_delay_alu instid0(VALU_DEP_1) | instskip(NEXT) | instid1(VALU_DEP_1)
	v_min_u32_e32 v4, 32, v4
	v_subrev_nc_u32_e32 v7, 28, v4
	v_sub_nc_u32_e32 v4, 29, v4
	s_delay_alu instid0(VALU_DEP_2) | instskip(NEXT) | instid1(VALU_DEP_1)
	v_lshlrev_b64_e32 v[8:9], v7, v[26:27]
	v_and_b32_e32 v18, 7, v8
; %bb.2131:                             ;   in Loop: Header=BB355_1581 Depth=1
	s_or_b32 exec_lo, exec_lo, s17
	v_lshlrev_b32_e32 v6, 24, v6
	s_delay_alu instid0(VALU_DEP_2) | instskip(SKIP_1) | instid1(VALU_DEP_3)
	v_lshlrev_b32_e32 v7, 20, v18
	v_lshl_add_u32 v4, v4, 23, 0x3c000000
	v_and_b32_e32 v6, 0x80000000, v6
	s_delay_alu instid0(VALU_DEP_1)
	v_or3_b32 v4, v7, v6, v4
.LBB355_2132:                           ;   in Loop: Header=BB355_1581 Depth=1
	s_or_b32 exec_lo, exec_lo, s16
.LBB355_2133:                           ;   in Loop: Header=BB355_1581 Depth=1
	s_delay_alu instid0(SALU_CYCLE_1)
	s_or_b32 exec_lo, exec_lo, s15
.LBB355_2134:                           ;   in Loop: Header=BB355_1581 Depth=1
	s_delay_alu instid0(SALU_CYCLE_1) | instskip(NEXT) | instid1(SALU_CYCLE_1)
	s_or_b32 exec_lo, exec_lo, s14
	s_mov_b32 s14, exec_lo
	v_cmpx_lt_u32_e32 0xffffff, v16
	s_cbranch_execz .LBB355_2142
; %bb.2135:                             ;   in Loop: Header=BB355_1581 Depth=1
	v_lshrrev_b32_e32 v6, 24, v16
	v_bfrev_b32_e32 v5, 1
	s_mov_b32 s15, exec_lo
	s_delay_alu instid0(VALU_DEP_2)
	v_cmpx_ne_u32_e32 0x80, v6
	s_cbranch_execz .LBB355_2141
; %bb.2136:                             ;   in Loop: Header=BB355_1581 Depth=1
	v_bfe_u32 v7, v16, 24, 7
	v_mov_b32_e32 v5, 0x7f800001
	s_mov_b32 s16, exec_lo
	s_delay_alu instid0(VALU_DEP_2)
	v_cmpx_ne_u32_e32 0x7f, v7
	s_cbranch_execz .LBB355_2140
; %bb.2137:                             ;   in Loop: Header=BB355_1581 Depth=1
	v_dual_lshrrev_b32 v5, 3, v7 :: v_dual_bitop2_b32 v26, 7, v6 bitop3:0x40
	s_mov_b32 s17, exec_lo
	s_delay_alu instid0(VALU_DEP_1)
	v_mov_b64_e32 v[18:19], v[26:27]
	v_cmpx_gt_u32_e32 8, v7
; %bb.2138:                             ;   in Loop: Header=BB355_1581 Depth=1
	v_clz_i32_u32_e32 v5, v26
	s_delay_alu instid0(VALU_DEP_1) | instskip(NEXT) | instid1(VALU_DEP_1)
	v_min_u32_e32 v5, 32, v5
	v_subrev_nc_u32_e32 v7, 28, v5
	s_delay_alu instid0(VALU_DEP_1) | instskip(NEXT) | instid1(VALU_DEP_1)
	v_lshlrev_b64_e32 v[8:9], v7, v[26:27]
	v_dual_sub_nc_u32 v5, 29, v5 :: v_dual_bitop2_b32 v18, 7, v8 bitop3:0x40
; %bb.2139:                             ;   in Loop: Header=BB355_1581 Depth=1
	s_or_b32 exec_lo, exec_lo, s17
	v_lshlrev_b32_e32 v6, 24, v6
	s_delay_alu instid0(VALU_DEP_2) | instskip(NEXT) | instid1(VALU_DEP_3)
	v_lshlrev_b32_e32 v7, 20, v18
	v_lshl_add_u32 v5, v5, 23, 0x3c000000
	s_delay_alu instid0(VALU_DEP_3) | instskip(NEXT) | instid1(VALU_DEP_1)
	v_and_b32_e32 v6, 0x80000000, v6
	v_or3_b32 v5, v7, v6, v5
.LBB355_2140:                           ;   in Loop: Header=BB355_1581 Depth=1
	s_or_b32 exec_lo, exec_lo, s16
.LBB355_2141:                           ;   in Loop: Header=BB355_1581 Depth=1
	s_delay_alu instid0(SALU_CYCLE_1)
	s_or_b32 exec_lo, exec_lo, s15
.LBB355_2142:                           ;   in Loop: Header=BB355_1581 Depth=1
	s_delay_alu instid0(SALU_CYCLE_1) | instskip(SKIP_4) | instid1(VALU_DEP_3)
	s_or_b32 exec_lo, exec_lo, s14
	v_and_b32_e32 v8, 0xff, v17
	v_dual_mov_b32 v26, v17 :: v_dual_mov_b32 v7, 0
	v_mov_b32_e32 v6, 0
	s_mov_b32 s14, exec_lo
	v_cmpx_ne_u16_e32 0, v8
	s_cbranch_execz .LBB355_2150
; %bb.2143:                             ;   in Loop: Header=BB355_1581 Depth=1
	v_bfrev_b32_e32 v6, 1
	s_mov_b32 s15, exec_lo
	v_cmpx_ne_u16_e32 0x80, v8
	s_cbranch_execz .LBB355_2149
; %bb.2144:                             ;   in Loop: Header=BB355_1581 Depth=1
	v_and_b32_e32 v8, 0x7f, v17
	v_mov_b32_e32 v6, 0x7f800001
	s_mov_b32 s16, exec_lo
	s_delay_alu instid0(VALU_DEP_2)
	v_cmpx_ne_u32_e32 0x7f, v8
	s_cbranch_execz .LBB355_2148
; %bb.2145:                             ;   in Loop: Header=BB355_1581 Depth=1
	v_mov_b64_e32 v[18:19], v[26:27]
	v_lshrrev_b32_e32 v6, 3, v8
	s_mov_b32 s17, exec_lo
	v_cmpx_gt_u32_e32 8, v8
; %bb.2146:                             ;   in Loop: Header=BB355_1581 Depth=1
	v_and_b32_e32 v6, 7, v17
	s_delay_alu instid0(VALU_DEP_1) | instskip(NEXT) | instid1(VALU_DEP_1)
	v_clz_i32_u32_e32 v6, v6
	v_min_u32_e32 v6, 32, v6
	s_delay_alu instid0(VALU_DEP_1) | instskip(SKIP_1) | instid1(VALU_DEP_2)
	v_subrev_nc_u32_e32 v8, 28, v6
	v_sub_nc_u32_e32 v6, 29, v6
	v_lshlrev_b64_e32 v[18:19], v8, v[26:27]
; %bb.2147:                             ;   in Loop: Header=BB355_1581 Depth=1
	s_or_b32 exec_lo, exec_lo, s17
	s_delay_alu instid0(VALU_DEP_1) | instskip(SKIP_2) | instid1(VALU_DEP_3)
	v_lshlrev_b32_e32 v8, 20, v18
	v_lshlrev_b32_e32 v9, 24, v26
	v_lshl_add_u32 v6, v6, 23, 0x3c000000
	v_and_b32_e32 v8, 0x700000, v8
	s_delay_alu instid0(VALU_DEP_3) | instskip(NEXT) | instid1(VALU_DEP_1)
	v_and_b32_e32 v9, 0x80000000, v9
	v_or3_b32 v6, v8, v9, v6
.LBB355_2148:                           ;   in Loop: Header=BB355_1581 Depth=1
	s_or_b32 exec_lo, exec_lo, s16
.LBB355_2149:                           ;   in Loop: Header=BB355_1581 Depth=1
	s_delay_alu instid0(SALU_CYCLE_1)
	s_or_b32 exec_lo, exec_lo, s15
.LBB355_2150:                           ;   in Loop: Header=BB355_1581 Depth=1
	s_delay_alu instid0(SALU_CYCLE_1) | instskip(SKIP_2) | instid1(VALU_DEP_1)
	s_or_b32 exec_lo, exec_lo, s14
	v_lshrrev_b16 v8, 8, v26
	s_mov_b32 s14, exec_lo
	v_cmpx_ne_u16_e32 0, v8
	s_cbranch_execz .LBB355_2158
; %bb.2151:                             ;   in Loop: Header=BB355_1581 Depth=1
	v_bfrev_b32_e32 v7, 1
	s_mov_b32 s15, exec_lo
	v_cmpx_ne_u16_e32 0x80, v8
	s_cbranch_execz .LBB355_2157
; %bb.2152:                             ;   in Loop: Header=BB355_1581 Depth=1
	v_and_b32_e32 v9, 0xffff, v8
	v_mov_b32_e32 v7, 0x7f800001
	s_mov_b32 s16, exec_lo
	s_delay_alu instid0(VALU_DEP_2) | instskip(NEXT) | instid1(VALU_DEP_1)
	v_and_b32_e32 v8, 0x7f, v9
	v_cmpx_ne_u32_e32 0x7f, v8
	s_cbranch_execz .LBB355_2156
; %bb.2153:                             ;   in Loop: Header=BB355_1581 Depth=1
	v_dual_mov_b32 v19, v27 :: v_dual_bitop2_b32 v18, 7, v9 bitop3:0x40
	v_lshrrev_b32_e32 v7, 3, v8
	s_mov_b32 s17, exec_lo
	v_cmpx_gt_u32_e32 8, v8
; %bb.2154:                             ;   in Loop: Header=BB355_1581 Depth=1
	s_delay_alu instid0(VALU_DEP_3) | instskip(NEXT) | instid1(VALU_DEP_1)
	v_clz_i32_u32_e32 v7, v18
	v_min_u32_e32 v7, 32, v7
	s_delay_alu instid0(VALU_DEP_1) | instskip(NEXT) | instid1(VALU_DEP_1)
	v_subrev_nc_u32_e32 v8, 28, v7
	v_lshlrev_b64_e32 v[8:9], v8, v[18:19]
	s_delay_alu instid0(VALU_DEP_1)
	v_dual_sub_nc_u32 v7, 29, v7 :: v_dual_bitop2_b32 v18, 7, v8 bitop3:0x40
; %bb.2155:                             ;   in Loop: Header=BB355_1581 Depth=1
	s_or_b32 exec_lo, exec_lo, s17
	v_lshlrev_b32_e32 v8, 16, v26
	s_delay_alu instid0(VALU_DEP_2) | instskip(NEXT) | instid1(VALU_DEP_3)
	v_lshlrev_b32_e32 v9, 20, v18
	v_lshl_add_u32 v7, v7, 23, 0x3c000000
	s_delay_alu instid0(VALU_DEP_3) | instskip(NEXT) | instid1(VALU_DEP_1)
	v_and_b32_e32 v8, 0x80000000, v8
	v_or3_b32 v7, v9, v8, v7
.LBB355_2156:                           ;   in Loop: Header=BB355_1581 Depth=1
	s_or_b32 exec_lo, exec_lo, s16
.LBB355_2157:                           ;   in Loop: Header=BB355_1581 Depth=1
	s_delay_alu instid0(SALU_CYCLE_1)
	s_or_b32 exec_lo, exec_lo, s15
.LBB355_2158:                           ;   in Loop: Header=BB355_1581 Depth=1
	s_delay_alu instid0(SALU_CYCLE_1) | instskip(SKIP_3) | instid1(VALU_DEP_2)
	s_or_b32 exec_lo, exec_lo, s14
	v_dual_lshrrev_b32 v10, 16, v17 :: v_dual_mov_b32 v8, 0
	v_mov_b32_e32 v9, 0
	s_mov_b32 s14, exec_lo
	v_and_b32_e32 v11, 0xff, v10
	s_delay_alu instid0(VALU_DEP_1)
	v_cmpx_ne_u16_e32 0, v11
	s_cbranch_execz .LBB355_2166
; %bb.2159:                             ;   in Loop: Header=BB355_1581 Depth=1
	v_bfrev_b32_e32 v9, 1
	s_mov_b32 s15, exec_lo
	v_cmpx_ne_u16_e32 0x80, v11
	s_cbranch_execz .LBB355_2165
; %bb.2160:                             ;   in Loop: Header=BB355_1581 Depth=1
	v_bfe_u32 v11, v17, 16, 7
	v_mov_b32_e32 v9, 0x7f800001
	s_mov_b32 s16, exec_lo
	s_delay_alu instid0(VALU_DEP_2)
	v_cmpx_ne_u32_e32 0x7f, v11
	s_cbranch_execz .LBB355_2164
; %bb.2161:                             ;   in Loop: Header=BB355_1581 Depth=1
	v_dual_lshrrev_b32 v9, 3, v11 :: v_dual_bitop2_b32 v26, 7, v10 bitop3:0x40
	s_mov_b32 s17, exec_lo
	s_delay_alu instid0(VALU_DEP_1)
	v_mov_b64_e32 v[18:19], v[26:27]
	v_cmpx_gt_u32_e32 8, v11
; %bb.2162:                             ;   in Loop: Header=BB355_1581 Depth=1
	v_clz_i32_u32_e32 v9, v26
	s_delay_alu instid0(VALU_DEP_1) | instskip(NEXT) | instid1(VALU_DEP_1)
	v_min_u32_e32 v9, 32, v9
	v_subrev_nc_u32_e32 v11, 28, v9
	s_delay_alu instid0(VALU_DEP_1) | instskip(NEXT) | instid1(VALU_DEP_1)
	v_lshlrev_b64_e32 v[12:13], v11, v[26:27]
	v_dual_sub_nc_u32 v9, 29, v9 :: v_dual_bitop2_b32 v18, 7, v12 bitop3:0x40
; %bb.2163:                             ;   in Loop: Header=BB355_1581 Depth=1
	s_or_b32 exec_lo, exec_lo, s17
	v_lshlrev_b32_e32 v10, 24, v10
	s_delay_alu instid0(VALU_DEP_2) | instskip(NEXT) | instid1(VALU_DEP_3)
	v_lshlrev_b32_e32 v11, 20, v18
	v_lshl_add_u32 v9, v9, 23, 0x3c000000
	s_delay_alu instid0(VALU_DEP_3) | instskip(NEXT) | instid1(VALU_DEP_1)
	v_and_b32_e32 v10, 0x80000000, v10
	v_or3_b32 v9, v11, v10, v9
.LBB355_2164:                           ;   in Loop: Header=BB355_1581 Depth=1
	s_or_b32 exec_lo, exec_lo, s16
.LBB355_2165:                           ;   in Loop: Header=BB355_1581 Depth=1
	s_delay_alu instid0(SALU_CYCLE_1)
	s_or_b32 exec_lo, exec_lo, s15
.LBB355_2166:                           ;   in Loop: Header=BB355_1581 Depth=1
	s_delay_alu instid0(SALU_CYCLE_1) | instskip(NEXT) | instid1(SALU_CYCLE_1)
	s_or_b32 exec_lo, exec_lo, s14
	s_mov_b32 s14, exec_lo
	v_cmpx_lt_u64_e64 s[2:3], v[16:17]
	s_cbranch_execz .LBB355_2174
; %bb.2167:                             ;   in Loop: Header=BB355_1581 Depth=1
	v_lshrrev_b32_e32 v10, 24, v17
	v_bfrev_b32_e32 v8, 1
	s_mov_b32 s15, exec_lo
	s_delay_alu instid0(VALU_DEP_2)
	v_cmpx_ne_u32_e32 0x80, v10
	s_cbranch_execz .LBB355_2173
; %bb.2168:                             ;   in Loop: Header=BB355_1581 Depth=1
	v_bfe_u32 v11, v17, 24, 7
	v_mov_b32_e32 v8, 0x7f800001
	s_mov_b32 s16, exec_lo
	s_delay_alu instid0(VALU_DEP_2)
	v_cmpx_ne_u32_e32 0x7f, v11
	s_cbranch_execz .LBB355_2172
; %bb.2169:                             ;   in Loop: Header=BB355_1581 Depth=1
	v_dual_lshrrev_b32 v8, 3, v11 :: v_dual_bitop2_b32 v26, 7, v10 bitop3:0x40
	s_mov_b32 s17, exec_lo
	s_delay_alu instid0(VALU_DEP_1)
	v_mov_b64_e32 v[16:17], v[26:27]
	v_cmpx_gt_u32_e32 8, v11
; %bb.2170:                             ;   in Loop: Header=BB355_1581 Depth=1
	v_clz_i32_u32_e32 v8, v26
	s_delay_alu instid0(VALU_DEP_1) | instskip(NEXT) | instid1(VALU_DEP_1)
	v_min_u32_e32 v8, 32, v8
	v_subrev_nc_u32_e32 v11, 28, v8
	v_sub_nc_u32_e32 v8, 29, v8
	s_delay_alu instid0(VALU_DEP_2) | instskip(NEXT) | instid1(VALU_DEP_1)
	v_lshlrev_b64_e32 v[12:13], v11, v[26:27]
	v_and_b32_e32 v16, 7, v12
; %bb.2171:                             ;   in Loop: Header=BB355_1581 Depth=1
	s_or_b32 exec_lo, exec_lo, s17
	s_delay_alu instid0(VALU_DEP_1) | instskip(SKIP_1) | instid1(VALU_DEP_2)
	v_dual_lshlrev_b32 v10, 24, v10 :: v_dual_lshlrev_b32 v11, 20, v16
	v_lshl_add_u32 v8, v8, 23, 0x3c000000
	v_and_b32_e32 v10, 0x80000000, v10
	s_delay_alu instid0(VALU_DEP_1)
	v_or3_b32 v8, v11, v10, v8
.LBB355_2172:                           ;   in Loop: Header=BB355_1581 Depth=1
	s_or_b32 exec_lo, exec_lo, s16
.LBB355_2173:                           ;   in Loop: Header=BB355_1581 Depth=1
	s_delay_alu instid0(SALU_CYCLE_1)
	s_or_b32 exec_lo, exec_lo, s15
.LBB355_2174:                           ;   in Loop: Header=BB355_1581 Depth=1
	s_delay_alu instid0(SALU_CYCLE_1)
	s_or_b32 exec_lo, exec_lo, s14
	v_fma_mixlo_bf16 v2, v116, v2, 0
	v_fma_mixlo_bf16 v7, v116, v7, 0
	;; [unrolled: 1-line block ×5, first 2 shown]
	scratch_store_b32 off, v2, s32 offset:692 ; 4-byte Folded Spill
	s_wait_xcnt 0x0
	v_fma_mixlo_bf16 v2, v116, v9, 0
	s_clause 0x1
	scratch_store_b32 off, v7, s32 offset:636
	scratch_store_b32 off, v6, s32 offset:644
	v_fma_mixlo_bf16 v3, v116, v3, 0
	s_clause 0x1
	scratch_store_b32 off, v5, s32 offset:668
	scratch_store_b32 off, v2, s32 offset:652
	s_wait_xcnt 0x0
	v_fma_mixlo_bf16 v2, v116, v8, 0
	s_clause 0x2
	scratch_store_b32 off, v4, s32 offset:676
	scratch_store_b32 off, v3, s32 offset:684
	;; [unrolled: 1-line block ×3, first 2 shown]
	s_wait_xcnt 0x0
	s_and_saveexec_b32 s14, vcc_lo
	s_cbranch_execz .LBB355_2176
; %bb.2175:                             ;   in Loop: Header=BB355_1581 Depth=1
	scratch_load_b32 v2, off, s32 offset:692 ; 4-byte Folded Reload
	v_cmp_lt_i32_e64 s0, v115, v119
	s_wait_loadcnt 0x0
	s_delay_alu instid0(VALU_DEP_1)
	v_cndmask_b32_e64 v2, 0, v2, s0
	v_cmp_lt_i32_e64 s0, v59, v119
	s_clause 0x1
	scratch_store_b32 off, v2, s32 offset:692
	scratch_load_b32 v2, off, s32 offset:684
	s_wait_loadcnt 0x0
	v_cndmask_b32_e64 v2, 0, v2, s0
	v_cmp_lt_i32_e64 s0, v58, v119
	s_clause 0x1
	scratch_store_b32 off, v2, s32 offset:684
	scratch_load_b32 v2, off, s32 offset:676
	s_wait_loadcnt 0x0
	;; [unrolled: 6-line block ×7, first 2 shown]
	v_cndmask_b32_e64 v2, 0, v2, s0
	scratch_store_b32 off, v2, s32 offset:660 ; 4-byte Folded Spill
.LBB355_2176:                           ;   in Loop: Header=BB355_1581 Depth=1
	s_wait_xcnt 0x0
	s_or_b32 exec_lo, exec_lo, s14
	flat_load_b64 v[16:17], v[0:1] offset:2304
	v_dual_mov_b32 v3, 0 :: v_dual_mov_b32 v2, 0
	s_mov_b32 s14, exec_lo
	s_wait_loadcnt_dscnt 0x0
	v_and_b32_e32 v4, 0xff, v16
	s_wait_xcnt 0x0
	s_delay_alu instid0(VALU_DEP_1)
	v_cmpx_ne_u16_e32 0, v4
	s_cbranch_execz .LBB355_2184
; %bb.2177:                             ;   in Loop: Header=BB355_1581 Depth=1
	v_bfrev_b32_e32 v2, 1
	s_mov_b32 s15, exec_lo
	v_cmpx_ne_u16_e32 0x80, v4
	s_cbranch_execz .LBB355_2183
; %bb.2178:                             ;   in Loop: Header=BB355_1581 Depth=1
	v_and_b32_e32 v4, 0x7f, v16
	v_mov_b32_e32 v2, 0x7f800001
	s_mov_b32 s16, exec_lo
	s_delay_alu instid0(VALU_DEP_2)
	v_cmpx_ne_u32_e32 0x7f, v4
	s_cbranch_execz .LBB355_2182
; %bb.2179:                             ;   in Loop: Header=BB355_1581 Depth=1
	v_mov_b64_e32 v[18:19], v[16:17]
	v_lshrrev_b32_e32 v2, 3, v4
	s_mov_b32 s17, exec_lo
	v_cmpx_gt_u32_e32 8, v4
; %bb.2180:                             ;   in Loop: Header=BB355_1581 Depth=1
	v_and_b32_e32 v2, 7, v16
	s_delay_alu instid0(VALU_DEP_1) | instskip(NEXT) | instid1(VALU_DEP_1)
	v_clz_i32_u32_e32 v2, v2
	v_min_u32_e32 v2, 32, v2
	s_delay_alu instid0(VALU_DEP_1) | instskip(SKIP_1) | instid1(VALU_DEP_2)
	v_subrev_nc_u32_e32 v4, 28, v2
	v_sub_nc_u32_e32 v2, 29, v2
	v_lshlrev_b64_e32 v[18:19], v4, v[16:17]
; %bb.2181:                             ;   in Loop: Header=BB355_1581 Depth=1
	s_or_b32 exec_lo, exec_lo, s17
	s_delay_alu instid0(VALU_DEP_1) | instskip(NEXT) | instid1(VALU_DEP_3)
	v_dual_lshlrev_b32 v4, 20, v18 :: v_dual_lshlrev_b32 v5, 24, v16
	v_lshl_add_u32 v2, v2, 23, 0x3c000000
	s_delay_alu instid0(VALU_DEP_2) | instskip(NEXT) | instid1(VALU_DEP_3)
	v_and_b32_e32 v4, 0x700000, v4
	v_and_b32_e32 v5, 0x80000000, v5
	s_delay_alu instid0(VALU_DEP_1)
	v_or3_b32 v2, v4, v5, v2
.LBB355_2182:                           ;   in Loop: Header=BB355_1581 Depth=1
	s_or_b32 exec_lo, exec_lo, s16
.LBB355_2183:                           ;   in Loop: Header=BB355_1581 Depth=1
	s_delay_alu instid0(SALU_CYCLE_1)
	s_or_b32 exec_lo, exec_lo, s15
.LBB355_2184:                           ;   in Loop: Header=BB355_1581 Depth=1
	s_delay_alu instid0(SALU_CYCLE_1) | instskip(SKIP_2) | instid1(VALU_DEP_1)
	s_or_b32 exec_lo, exec_lo, s14
	v_lshrrev_b16 v4, 8, v16
	s_mov_b32 s14, exec_lo
	v_cmpx_ne_u16_e32 0, v4
	s_cbranch_execz .LBB355_2192
; %bb.2185:                             ;   in Loop: Header=BB355_1581 Depth=1
	v_bfrev_b32_e32 v3, 1
	s_mov_b32 s15, exec_lo
	v_cmpx_ne_u16_e32 0x80, v4
	s_cbranch_execz .LBB355_2191
; %bb.2186:                             ;   in Loop: Header=BB355_1581 Depth=1
	v_and_b32_e32 v5, 0xffff, v4
	v_mov_b32_e32 v3, 0x7f800001
	s_mov_b32 s16, exec_lo
	s_delay_alu instid0(VALU_DEP_2) | instskip(NEXT) | instid1(VALU_DEP_1)
	v_and_b32_e32 v4, 0x7f, v5
	v_cmpx_ne_u32_e32 0x7f, v4
	s_cbranch_execz .LBB355_2190
; %bb.2187:                             ;   in Loop: Header=BB355_1581 Depth=1
	v_dual_lshrrev_b32 v3, 3, v4 :: v_dual_bitop2_b32 v26, 7, v5 bitop3:0x40
	s_mov_b32 s17, exec_lo
	s_delay_alu instid0(VALU_DEP_1)
	v_mov_b64_e32 v[18:19], v[26:27]
	v_cmpx_gt_u32_e32 8, v4
; %bb.2188:                             ;   in Loop: Header=BB355_1581 Depth=1
	v_clz_i32_u32_e32 v3, v26
	s_delay_alu instid0(VALU_DEP_1) | instskip(NEXT) | instid1(VALU_DEP_1)
	v_min_u32_e32 v3, 32, v3
	v_subrev_nc_u32_e32 v4, 28, v3
	s_delay_alu instid0(VALU_DEP_1) | instskip(NEXT) | instid1(VALU_DEP_1)
	v_lshlrev_b64_e32 v[4:5], v4, v[26:27]
	v_dual_sub_nc_u32 v3, 29, v3 :: v_dual_bitop2_b32 v18, 7, v4 bitop3:0x40
; %bb.2189:                             ;   in Loop: Header=BB355_1581 Depth=1
	s_or_b32 exec_lo, exec_lo, s17
	s_delay_alu instid0(VALU_DEP_1) | instskip(NEXT) | instid1(VALU_DEP_2)
	v_dual_lshlrev_b32 v4, 16, v16 :: v_dual_lshlrev_b32 v5, 20, v18
	v_lshl_add_u32 v3, v3, 23, 0x3c000000
	s_delay_alu instid0(VALU_DEP_2) | instskip(NEXT) | instid1(VALU_DEP_1)
	v_and_b32_e32 v4, 0x80000000, v4
	v_or3_b32 v3, v5, v4, v3
.LBB355_2190:                           ;   in Loop: Header=BB355_1581 Depth=1
	s_or_b32 exec_lo, exec_lo, s16
.LBB355_2191:                           ;   in Loop: Header=BB355_1581 Depth=1
	s_delay_alu instid0(SALU_CYCLE_1)
	s_or_b32 exec_lo, exec_lo, s15
.LBB355_2192:                           ;   in Loop: Header=BB355_1581 Depth=1
	s_delay_alu instid0(SALU_CYCLE_1) | instskip(SKIP_3) | instid1(VALU_DEP_2)
	s_or_b32 exec_lo, exec_lo, s14
	v_dual_mov_b32 v5, 0 :: v_dual_lshrrev_b32 v6, 16, v16
	v_mov_b32_e32 v4, 0
	s_mov_b32 s14, exec_lo
	v_and_b32_e32 v7, 0xff, v6
	s_delay_alu instid0(VALU_DEP_1)
	v_cmpx_ne_u16_e32 0, v7
	s_cbranch_execz .LBB355_2200
; %bb.2193:                             ;   in Loop: Header=BB355_1581 Depth=1
	v_bfrev_b32_e32 v4, 1
	s_mov_b32 s15, exec_lo
	v_cmpx_ne_u16_e32 0x80, v7
	s_cbranch_execz .LBB355_2199
; %bb.2194:                             ;   in Loop: Header=BB355_1581 Depth=1
	v_bfe_u32 v7, v16, 16, 7
	v_mov_b32_e32 v4, 0x7f800001
	s_mov_b32 s16, exec_lo
	s_delay_alu instid0(VALU_DEP_2)
	v_cmpx_ne_u32_e32 0x7f, v7
	s_cbranch_execz .LBB355_2198
; %bb.2195:                             ;   in Loop: Header=BB355_1581 Depth=1
	v_dual_lshrrev_b32 v4, 3, v7 :: v_dual_bitop2_b32 v26, 7, v6 bitop3:0x40
	s_mov_b32 s17, exec_lo
	s_delay_alu instid0(VALU_DEP_1)
	v_mov_b64_e32 v[18:19], v[26:27]
	v_cmpx_gt_u32_e32 8, v7
; %bb.2196:                             ;   in Loop: Header=BB355_1581 Depth=1
	v_clz_i32_u32_e32 v4, v26
	s_delay_alu instid0(VALU_DEP_1) | instskip(NEXT) | instid1(VALU_DEP_1)
	v_min_u32_e32 v4, 32, v4
	v_subrev_nc_u32_e32 v7, 28, v4
	v_sub_nc_u32_e32 v4, 29, v4
	s_delay_alu instid0(VALU_DEP_2) | instskip(NEXT) | instid1(VALU_DEP_1)
	v_lshlrev_b64_e32 v[8:9], v7, v[26:27]
	v_and_b32_e32 v18, 7, v8
; %bb.2197:                             ;   in Loop: Header=BB355_1581 Depth=1
	s_or_b32 exec_lo, exec_lo, s17
	v_lshlrev_b32_e32 v6, 24, v6
	s_delay_alu instid0(VALU_DEP_2) | instskip(SKIP_1) | instid1(VALU_DEP_3)
	v_lshlrev_b32_e32 v7, 20, v18
	v_lshl_add_u32 v4, v4, 23, 0x3c000000
	v_and_b32_e32 v6, 0x80000000, v6
	s_delay_alu instid0(VALU_DEP_1)
	v_or3_b32 v4, v7, v6, v4
.LBB355_2198:                           ;   in Loop: Header=BB355_1581 Depth=1
	s_or_b32 exec_lo, exec_lo, s16
.LBB355_2199:                           ;   in Loop: Header=BB355_1581 Depth=1
	s_delay_alu instid0(SALU_CYCLE_1)
	s_or_b32 exec_lo, exec_lo, s15
.LBB355_2200:                           ;   in Loop: Header=BB355_1581 Depth=1
	s_delay_alu instid0(SALU_CYCLE_1) | instskip(NEXT) | instid1(SALU_CYCLE_1)
	s_or_b32 exec_lo, exec_lo, s14
	s_mov_b32 s14, exec_lo
	v_cmpx_lt_u32_e32 0xffffff, v16
	s_cbranch_execz .LBB355_2208
; %bb.2201:                             ;   in Loop: Header=BB355_1581 Depth=1
	v_lshrrev_b32_e32 v6, 24, v16
	v_bfrev_b32_e32 v5, 1
	s_mov_b32 s15, exec_lo
	s_delay_alu instid0(VALU_DEP_2)
	v_cmpx_ne_u32_e32 0x80, v6
	s_cbranch_execz .LBB355_2207
; %bb.2202:                             ;   in Loop: Header=BB355_1581 Depth=1
	v_bfe_u32 v7, v16, 24, 7
	v_mov_b32_e32 v5, 0x7f800001
	s_mov_b32 s16, exec_lo
	s_delay_alu instid0(VALU_DEP_2)
	v_cmpx_ne_u32_e32 0x7f, v7
	s_cbranch_execz .LBB355_2206
; %bb.2203:                             ;   in Loop: Header=BB355_1581 Depth=1
	v_dual_lshrrev_b32 v5, 3, v7 :: v_dual_bitop2_b32 v26, 7, v6 bitop3:0x40
	s_mov_b32 s17, exec_lo
	s_delay_alu instid0(VALU_DEP_1)
	v_mov_b64_e32 v[18:19], v[26:27]
	v_cmpx_gt_u32_e32 8, v7
; %bb.2204:                             ;   in Loop: Header=BB355_1581 Depth=1
	v_clz_i32_u32_e32 v5, v26
	s_delay_alu instid0(VALU_DEP_1) | instskip(NEXT) | instid1(VALU_DEP_1)
	v_min_u32_e32 v5, 32, v5
	v_subrev_nc_u32_e32 v7, 28, v5
	s_delay_alu instid0(VALU_DEP_1) | instskip(NEXT) | instid1(VALU_DEP_1)
	v_lshlrev_b64_e32 v[8:9], v7, v[26:27]
	v_dual_sub_nc_u32 v5, 29, v5 :: v_dual_bitop2_b32 v18, 7, v8 bitop3:0x40
; %bb.2205:                             ;   in Loop: Header=BB355_1581 Depth=1
	s_or_b32 exec_lo, exec_lo, s17
	v_lshlrev_b32_e32 v6, 24, v6
	s_delay_alu instid0(VALU_DEP_2) | instskip(NEXT) | instid1(VALU_DEP_3)
	v_lshlrev_b32_e32 v7, 20, v18
	v_lshl_add_u32 v5, v5, 23, 0x3c000000
	s_delay_alu instid0(VALU_DEP_3) | instskip(NEXT) | instid1(VALU_DEP_1)
	v_and_b32_e32 v6, 0x80000000, v6
	v_or3_b32 v5, v7, v6, v5
.LBB355_2206:                           ;   in Loop: Header=BB355_1581 Depth=1
	s_or_b32 exec_lo, exec_lo, s16
.LBB355_2207:                           ;   in Loop: Header=BB355_1581 Depth=1
	s_delay_alu instid0(SALU_CYCLE_1)
	s_or_b32 exec_lo, exec_lo, s15
.LBB355_2208:                           ;   in Loop: Header=BB355_1581 Depth=1
	s_delay_alu instid0(SALU_CYCLE_1) | instskip(SKIP_4) | instid1(VALU_DEP_3)
	s_or_b32 exec_lo, exec_lo, s14
	v_and_b32_e32 v8, 0xff, v17
	v_dual_mov_b32 v26, v17 :: v_dual_mov_b32 v7, 0
	v_mov_b32_e32 v6, 0
	s_mov_b32 s14, exec_lo
	v_cmpx_ne_u16_e32 0, v8
	s_cbranch_execz .LBB355_2216
; %bb.2209:                             ;   in Loop: Header=BB355_1581 Depth=1
	v_bfrev_b32_e32 v6, 1
	s_mov_b32 s15, exec_lo
	v_cmpx_ne_u16_e32 0x80, v8
	s_cbranch_execz .LBB355_2215
; %bb.2210:                             ;   in Loop: Header=BB355_1581 Depth=1
	v_and_b32_e32 v8, 0x7f, v17
	v_mov_b32_e32 v6, 0x7f800001
	s_mov_b32 s16, exec_lo
	s_delay_alu instid0(VALU_DEP_2)
	v_cmpx_ne_u32_e32 0x7f, v8
	s_cbranch_execz .LBB355_2214
; %bb.2211:                             ;   in Loop: Header=BB355_1581 Depth=1
	v_mov_b64_e32 v[18:19], v[26:27]
	v_lshrrev_b32_e32 v6, 3, v8
	s_mov_b32 s17, exec_lo
	v_cmpx_gt_u32_e32 8, v8
; %bb.2212:                             ;   in Loop: Header=BB355_1581 Depth=1
	v_and_b32_e32 v6, 7, v17
	s_delay_alu instid0(VALU_DEP_1) | instskip(NEXT) | instid1(VALU_DEP_1)
	v_clz_i32_u32_e32 v6, v6
	v_min_u32_e32 v6, 32, v6
	s_delay_alu instid0(VALU_DEP_1) | instskip(SKIP_1) | instid1(VALU_DEP_2)
	v_subrev_nc_u32_e32 v8, 28, v6
	v_sub_nc_u32_e32 v6, 29, v6
	v_lshlrev_b64_e32 v[18:19], v8, v[26:27]
; %bb.2213:                             ;   in Loop: Header=BB355_1581 Depth=1
	s_or_b32 exec_lo, exec_lo, s17
	s_delay_alu instid0(VALU_DEP_1) | instskip(SKIP_2) | instid1(VALU_DEP_3)
	v_lshlrev_b32_e32 v8, 20, v18
	v_lshlrev_b32_e32 v9, 24, v26
	v_lshl_add_u32 v6, v6, 23, 0x3c000000
	v_and_b32_e32 v8, 0x700000, v8
	s_delay_alu instid0(VALU_DEP_3) | instskip(NEXT) | instid1(VALU_DEP_1)
	v_and_b32_e32 v9, 0x80000000, v9
	v_or3_b32 v6, v8, v9, v6
.LBB355_2214:                           ;   in Loop: Header=BB355_1581 Depth=1
	s_or_b32 exec_lo, exec_lo, s16
.LBB355_2215:                           ;   in Loop: Header=BB355_1581 Depth=1
	s_delay_alu instid0(SALU_CYCLE_1)
	s_or_b32 exec_lo, exec_lo, s15
.LBB355_2216:                           ;   in Loop: Header=BB355_1581 Depth=1
	s_delay_alu instid0(SALU_CYCLE_1) | instskip(SKIP_2) | instid1(VALU_DEP_1)
	s_or_b32 exec_lo, exec_lo, s14
	v_lshrrev_b16 v8, 8, v26
	s_mov_b32 s14, exec_lo
	v_cmpx_ne_u16_e32 0, v8
	s_cbranch_execz .LBB355_2224
; %bb.2217:                             ;   in Loop: Header=BB355_1581 Depth=1
	v_bfrev_b32_e32 v7, 1
	s_mov_b32 s15, exec_lo
	v_cmpx_ne_u16_e32 0x80, v8
	s_cbranch_execz .LBB355_2223
; %bb.2218:                             ;   in Loop: Header=BB355_1581 Depth=1
	v_and_b32_e32 v9, 0xffff, v8
	v_mov_b32_e32 v7, 0x7f800001
	s_mov_b32 s16, exec_lo
	s_delay_alu instid0(VALU_DEP_2) | instskip(NEXT) | instid1(VALU_DEP_1)
	v_and_b32_e32 v8, 0x7f, v9
	v_cmpx_ne_u32_e32 0x7f, v8
	s_cbranch_execz .LBB355_2222
; %bb.2219:                             ;   in Loop: Header=BB355_1581 Depth=1
	v_dual_mov_b32 v19, v27 :: v_dual_bitop2_b32 v18, 7, v9 bitop3:0x40
	v_lshrrev_b32_e32 v7, 3, v8
	s_mov_b32 s17, exec_lo
	v_cmpx_gt_u32_e32 8, v8
; %bb.2220:                             ;   in Loop: Header=BB355_1581 Depth=1
	s_delay_alu instid0(VALU_DEP_3) | instskip(NEXT) | instid1(VALU_DEP_1)
	v_clz_i32_u32_e32 v7, v18
	v_min_u32_e32 v7, 32, v7
	s_delay_alu instid0(VALU_DEP_1) | instskip(NEXT) | instid1(VALU_DEP_1)
	v_subrev_nc_u32_e32 v8, 28, v7
	v_lshlrev_b64_e32 v[8:9], v8, v[18:19]
	s_delay_alu instid0(VALU_DEP_1)
	v_dual_sub_nc_u32 v7, 29, v7 :: v_dual_bitop2_b32 v18, 7, v8 bitop3:0x40
; %bb.2221:                             ;   in Loop: Header=BB355_1581 Depth=1
	s_or_b32 exec_lo, exec_lo, s17
	v_lshlrev_b32_e32 v8, 16, v26
	s_delay_alu instid0(VALU_DEP_2) | instskip(NEXT) | instid1(VALU_DEP_3)
	v_lshlrev_b32_e32 v9, 20, v18
	v_lshl_add_u32 v7, v7, 23, 0x3c000000
	s_delay_alu instid0(VALU_DEP_3) | instskip(NEXT) | instid1(VALU_DEP_1)
	v_and_b32_e32 v8, 0x80000000, v8
	v_or3_b32 v7, v9, v8, v7
.LBB355_2222:                           ;   in Loop: Header=BB355_1581 Depth=1
	s_or_b32 exec_lo, exec_lo, s16
.LBB355_2223:                           ;   in Loop: Header=BB355_1581 Depth=1
	s_delay_alu instid0(SALU_CYCLE_1)
	s_or_b32 exec_lo, exec_lo, s15
.LBB355_2224:                           ;   in Loop: Header=BB355_1581 Depth=1
	s_delay_alu instid0(SALU_CYCLE_1) | instskip(SKIP_3) | instid1(VALU_DEP_2)
	s_or_b32 exec_lo, exec_lo, s14
	v_dual_lshrrev_b32 v10, 16, v17 :: v_dual_mov_b32 v8, 0
	v_mov_b32_e32 v9, 0
	s_mov_b32 s14, exec_lo
	v_and_b32_e32 v11, 0xff, v10
	s_delay_alu instid0(VALU_DEP_1)
	v_cmpx_ne_u16_e32 0, v11
	s_cbranch_execz .LBB355_2232
; %bb.2225:                             ;   in Loop: Header=BB355_1581 Depth=1
	v_bfrev_b32_e32 v9, 1
	s_mov_b32 s15, exec_lo
	v_cmpx_ne_u16_e32 0x80, v11
	s_cbranch_execz .LBB355_2231
; %bb.2226:                             ;   in Loop: Header=BB355_1581 Depth=1
	v_bfe_u32 v11, v17, 16, 7
	v_mov_b32_e32 v9, 0x7f800001
	s_mov_b32 s16, exec_lo
	s_delay_alu instid0(VALU_DEP_2)
	v_cmpx_ne_u32_e32 0x7f, v11
	s_cbranch_execz .LBB355_2230
; %bb.2227:                             ;   in Loop: Header=BB355_1581 Depth=1
	v_dual_lshrrev_b32 v9, 3, v11 :: v_dual_bitop2_b32 v26, 7, v10 bitop3:0x40
	s_mov_b32 s17, exec_lo
	s_delay_alu instid0(VALU_DEP_1)
	v_mov_b64_e32 v[18:19], v[26:27]
	v_cmpx_gt_u32_e32 8, v11
; %bb.2228:                             ;   in Loop: Header=BB355_1581 Depth=1
	v_clz_i32_u32_e32 v9, v26
	s_delay_alu instid0(VALU_DEP_1) | instskip(NEXT) | instid1(VALU_DEP_1)
	v_min_u32_e32 v9, 32, v9
	v_subrev_nc_u32_e32 v11, 28, v9
	s_delay_alu instid0(VALU_DEP_1) | instskip(NEXT) | instid1(VALU_DEP_1)
	v_lshlrev_b64_e32 v[12:13], v11, v[26:27]
	v_dual_sub_nc_u32 v9, 29, v9 :: v_dual_bitop2_b32 v18, 7, v12 bitop3:0x40
; %bb.2229:                             ;   in Loop: Header=BB355_1581 Depth=1
	s_or_b32 exec_lo, exec_lo, s17
	v_lshlrev_b32_e32 v10, 24, v10
	s_delay_alu instid0(VALU_DEP_2) | instskip(NEXT) | instid1(VALU_DEP_3)
	v_lshlrev_b32_e32 v11, 20, v18
	v_lshl_add_u32 v9, v9, 23, 0x3c000000
	s_delay_alu instid0(VALU_DEP_3) | instskip(NEXT) | instid1(VALU_DEP_1)
	v_and_b32_e32 v10, 0x80000000, v10
	v_or3_b32 v9, v11, v10, v9
.LBB355_2230:                           ;   in Loop: Header=BB355_1581 Depth=1
	s_or_b32 exec_lo, exec_lo, s16
.LBB355_2231:                           ;   in Loop: Header=BB355_1581 Depth=1
	s_delay_alu instid0(SALU_CYCLE_1)
	s_or_b32 exec_lo, exec_lo, s15
.LBB355_2232:                           ;   in Loop: Header=BB355_1581 Depth=1
	s_delay_alu instid0(SALU_CYCLE_1) | instskip(NEXT) | instid1(SALU_CYCLE_1)
	s_or_b32 exec_lo, exec_lo, s14
	s_mov_b32 s14, exec_lo
	v_cmpx_lt_u64_e64 s[2:3], v[16:17]
	s_cbranch_execz .LBB355_2240
; %bb.2233:                             ;   in Loop: Header=BB355_1581 Depth=1
	v_lshrrev_b32_e32 v10, 24, v17
	v_bfrev_b32_e32 v8, 1
	s_mov_b32 s15, exec_lo
	s_delay_alu instid0(VALU_DEP_2)
	v_cmpx_ne_u32_e32 0x80, v10
	s_cbranch_execz .LBB355_2239
; %bb.2234:                             ;   in Loop: Header=BB355_1581 Depth=1
	v_bfe_u32 v11, v17, 24, 7
	v_mov_b32_e32 v8, 0x7f800001
	s_mov_b32 s16, exec_lo
	s_delay_alu instid0(VALU_DEP_2)
	v_cmpx_ne_u32_e32 0x7f, v11
	s_cbranch_execz .LBB355_2238
; %bb.2235:                             ;   in Loop: Header=BB355_1581 Depth=1
	v_dual_lshrrev_b32 v8, 3, v11 :: v_dual_bitop2_b32 v26, 7, v10 bitop3:0x40
	s_mov_b32 s17, exec_lo
	s_delay_alu instid0(VALU_DEP_1)
	v_mov_b64_e32 v[16:17], v[26:27]
	v_cmpx_gt_u32_e32 8, v11
; %bb.2236:                             ;   in Loop: Header=BB355_1581 Depth=1
	v_clz_i32_u32_e32 v8, v26
	s_delay_alu instid0(VALU_DEP_1) | instskip(NEXT) | instid1(VALU_DEP_1)
	v_min_u32_e32 v8, 32, v8
	v_subrev_nc_u32_e32 v11, 28, v8
	v_sub_nc_u32_e32 v8, 29, v8
	s_delay_alu instid0(VALU_DEP_2) | instskip(NEXT) | instid1(VALU_DEP_1)
	v_lshlrev_b64_e32 v[12:13], v11, v[26:27]
	v_and_b32_e32 v16, 7, v12
; %bb.2237:                             ;   in Loop: Header=BB355_1581 Depth=1
	s_or_b32 exec_lo, exec_lo, s17
	s_delay_alu instid0(VALU_DEP_1) | instskip(SKIP_1) | instid1(VALU_DEP_2)
	v_dual_lshlrev_b32 v10, 24, v10 :: v_dual_lshlrev_b32 v11, 20, v16
	v_lshl_add_u32 v8, v8, 23, 0x3c000000
	v_and_b32_e32 v10, 0x80000000, v10
	s_delay_alu instid0(VALU_DEP_1)
	v_or3_b32 v8, v11, v10, v8
.LBB355_2238:                           ;   in Loop: Header=BB355_1581 Depth=1
	s_or_b32 exec_lo, exec_lo, s16
.LBB355_2239:                           ;   in Loop: Header=BB355_1581 Depth=1
	s_delay_alu instid0(SALU_CYCLE_1)
	s_or_b32 exec_lo, exec_lo, s15
.LBB355_2240:                           ;   in Loop: Header=BB355_1581 Depth=1
	s_delay_alu instid0(SALU_CYCLE_1)
	s_or_b32 exec_lo, exec_lo, s14
	v_fma_mixlo_bf16 v2, v116, v2, 0
	v_fma_mixlo_bf16 v7, v116, v7, 0
	;; [unrolled: 1-line block ×5, first 2 shown]
	scratch_store_b32 off, v2, s32 offset:756 ; 4-byte Folded Spill
	s_wait_xcnt 0x0
	v_fma_mixlo_bf16 v2, v116, v9, 0
	s_clause 0x1
	scratch_store_b32 off, v7, s32 offset:700
	scratch_store_b32 off, v6, s32 offset:708
	v_fma_mixlo_bf16 v3, v116, v3, 0
	s_clause 0x1
	scratch_store_b32 off, v5, s32 offset:732
	scratch_store_b32 off, v2, s32 offset:716
	s_wait_xcnt 0x0
	v_fma_mixlo_bf16 v2, v116, v8, 0
	s_clause 0x2
	scratch_store_b32 off, v4, s32 offset:740
	scratch_store_b32 off, v3, s32 offset:748
	;; [unrolled: 1-line block ×3, first 2 shown]
	s_wait_xcnt 0x0
	s_and_saveexec_b32 s14, vcc_lo
	s_cbranch_execz .LBB355_2242
; %bb.2241:                             ;   in Loop: Header=BB355_1581 Depth=1
	scratch_load_b32 v2, off, s32 offset:756 ; 4-byte Folded Reload
	v_cmp_lt_i32_e64 s0, v115, v119
	s_wait_loadcnt 0x0
	s_delay_alu instid0(VALU_DEP_1)
	v_cndmask_b32_e64 v2, 0, v2, s0
	v_cmp_lt_i32_e64 s0, v59, v119
	s_clause 0x1
	scratch_store_b32 off, v2, s32 offset:756
	scratch_load_b32 v2, off, s32 offset:748
	s_wait_loadcnt 0x0
	v_cndmask_b32_e64 v2, 0, v2, s0
	v_cmp_lt_i32_e64 s0, v58, v119
	s_clause 0x1
	scratch_store_b32 off, v2, s32 offset:748
	scratch_load_b32 v2, off, s32 offset:740
	s_wait_loadcnt 0x0
	;; [unrolled: 6-line block ×7, first 2 shown]
	v_cndmask_b32_e64 v2, 0, v2, s0
	scratch_store_b32 off, v2, s32 offset:724 ; 4-byte Folded Spill
.LBB355_2242:                           ;   in Loop: Header=BB355_1581 Depth=1
	s_wait_xcnt 0x0
	s_or_b32 exec_lo, exec_lo, s14
	flat_load_b64 v[16:17], v[0:1] offset:2560
	v_dual_mov_b32 v3, 0 :: v_dual_mov_b32 v2, 0
	s_mov_b32 s14, exec_lo
	s_wait_loadcnt_dscnt 0x0
	v_and_b32_e32 v4, 0xff, v16
	s_wait_xcnt 0x0
	s_delay_alu instid0(VALU_DEP_1)
	v_cmpx_ne_u16_e32 0, v4
	s_cbranch_execz .LBB355_2250
; %bb.2243:                             ;   in Loop: Header=BB355_1581 Depth=1
	v_bfrev_b32_e32 v2, 1
	s_mov_b32 s15, exec_lo
	v_cmpx_ne_u16_e32 0x80, v4
	s_cbranch_execz .LBB355_2249
; %bb.2244:                             ;   in Loop: Header=BB355_1581 Depth=1
	v_and_b32_e32 v4, 0x7f, v16
	v_mov_b32_e32 v2, 0x7f800001
	s_mov_b32 s16, exec_lo
	s_delay_alu instid0(VALU_DEP_2)
	v_cmpx_ne_u32_e32 0x7f, v4
	s_cbranch_execz .LBB355_2248
; %bb.2245:                             ;   in Loop: Header=BB355_1581 Depth=1
	v_mov_b64_e32 v[18:19], v[16:17]
	v_lshrrev_b32_e32 v2, 3, v4
	s_mov_b32 s17, exec_lo
	v_cmpx_gt_u32_e32 8, v4
; %bb.2246:                             ;   in Loop: Header=BB355_1581 Depth=1
	v_and_b32_e32 v2, 7, v16
	s_delay_alu instid0(VALU_DEP_1) | instskip(NEXT) | instid1(VALU_DEP_1)
	v_clz_i32_u32_e32 v2, v2
	v_min_u32_e32 v2, 32, v2
	s_delay_alu instid0(VALU_DEP_1) | instskip(SKIP_1) | instid1(VALU_DEP_2)
	v_subrev_nc_u32_e32 v4, 28, v2
	v_sub_nc_u32_e32 v2, 29, v2
	v_lshlrev_b64_e32 v[18:19], v4, v[16:17]
; %bb.2247:                             ;   in Loop: Header=BB355_1581 Depth=1
	s_or_b32 exec_lo, exec_lo, s17
	s_delay_alu instid0(VALU_DEP_1) | instskip(NEXT) | instid1(VALU_DEP_3)
	v_dual_lshlrev_b32 v4, 20, v18 :: v_dual_lshlrev_b32 v5, 24, v16
	v_lshl_add_u32 v2, v2, 23, 0x3c000000
	s_delay_alu instid0(VALU_DEP_2) | instskip(NEXT) | instid1(VALU_DEP_3)
	v_and_b32_e32 v4, 0x700000, v4
	v_and_b32_e32 v5, 0x80000000, v5
	s_delay_alu instid0(VALU_DEP_1)
	v_or3_b32 v2, v4, v5, v2
.LBB355_2248:                           ;   in Loop: Header=BB355_1581 Depth=1
	s_or_b32 exec_lo, exec_lo, s16
.LBB355_2249:                           ;   in Loop: Header=BB355_1581 Depth=1
	s_delay_alu instid0(SALU_CYCLE_1)
	s_or_b32 exec_lo, exec_lo, s15
.LBB355_2250:                           ;   in Loop: Header=BB355_1581 Depth=1
	s_delay_alu instid0(SALU_CYCLE_1) | instskip(SKIP_2) | instid1(VALU_DEP_1)
	s_or_b32 exec_lo, exec_lo, s14
	v_lshrrev_b16 v4, 8, v16
	s_mov_b32 s14, exec_lo
	v_cmpx_ne_u16_e32 0, v4
	s_cbranch_execz .LBB355_2258
; %bb.2251:                             ;   in Loop: Header=BB355_1581 Depth=1
	v_bfrev_b32_e32 v3, 1
	s_mov_b32 s15, exec_lo
	v_cmpx_ne_u16_e32 0x80, v4
	s_cbranch_execz .LBB355_2257
; %bb.2252:                             ;   in Loop: Header=BB355_1581 Depth=1
	v_and_b32_e32 v5, 0xffff, v4
	v_mov_b32_e32 v3, 0x7f800001
	s_mov_b32 s16, exec_lo
	s_delay_alu instid0(VALU_DEP_2) | instskip(NEXT) | instid1(VALU_DEP_1)
	v_and_b32_e32 v4, 0x7f, v5
	v_cmpx_ne_u32_e32 0x7f, v4
	s_cbranch_execz .LBB355_2256
; %bb.2253:                             ;   in Loop: Header=BB355_1581 Depth=1
	v_dual_lshrrev_b32 v3, 3, v4 :: v_dual_bitop2_b32 v26, 7, v5 bitop3:0x40
	s_mov_b32 s17, exec_lo
	s_delay_alu instid0(VALU_DEP_1)
	v_mov_b64_e32 v[18:19], v[26:27]
	v_cmpx_gt_u32_e32 8, v4
; %bb.2254:                             ;   in Loop: Header=BB355_1581 Depth=1
	v_clz_i32_u32_e32 v3, v26
	s_delay_alu instid0(VALU_DEP_1) | instskip(NEXT) | instid1(VALU_DEP_1)
	v_min_u32_e32 v3, 32, v3
	v_subrev_nc_u32_e32 v4, 28, v3
	s_delay_alu instid0(VALU_DEP_1) | instskip(NEXT) | instid1(VALU_DEP_1)
	v_lshlrev_b64_e32 v[4:5], v4, v[26:27]
	v_dual_sub_nc_u32 v3, 29, v3 :: v_dual_bitop2_b32 v18, 7, v4 bitop3:0x40
; %bb.2255:                             ;   in Loop: Header=BB355_1581 Depth=1
	s_or_b32 exec_lo, exec_lo, s17
	s_delay_alu instid0(VALU_DEP_1) | instskip(NEXT) | instid1(VALU_DEP_2)
	v_dual_lshlrev_b32 v4, 16, v16 :: v_dual_lshlrev_b32 v5, 20, v18
	v_lshl_add_u32 v3, v3, 23, 0x3c000000
	s_delay_alu instid0(VALU_DEP_2) | instskip(NEXT) | instid1(VALU_DEP_1)
	v_and_b32_e32 v4, 0x80000000, v4
	v_or3_b32 v3, v5, v4, v3
.LBB355_2256:                           ;   in Loop: Header=BB355_1581 Depth=1
	s_or_b32 exec_lo, exec_lo, s16
.LBB355_2257:                           ;   in Loop: Header=BB355_1581 Depth=1
	s_delay_alu instid0(SALU_CYCLE_1)
	s_or_b32 exec_lo, exec_lo, s15
.LBB355_2258:                           ;   in Loop: Header=BB355_1581 Depth=1
	s_delay_alu instid0(SALU_CYCLE_1) | instskip(SKIP_3) | instid1(VALU_DEP_2)
	s_or_b32 exec_lo, exec_lo, s14
	v_dual_mov_b32 v5, 0 :: v_dual_lshrrev_b32 v6, 16, v16
	v_mov_b32_e32 v4, 0
	s_mov_b32 s14, exec_lo
	v_and_b32_e32 v7, 0xff, v6
	s_delay_alu instid0(VALU_DEP_1)
	v_cmpx_ne_u16_e32 0, v7
	s_cbranch_execz .LBB355_2266
; %bb.2259:                             ;   in Loop: Header=BB355_1581 Depth=1
	v_bfrev_b32_e32 v4, 1
	s_mov_b32 s15, exec_lo
	v_cmpx_ne_u16_e32 0x80, v7
	s_cbranch_execz .LBB355_2265
; %bb.2260:                             ;   in Loop: Header=BB355_1581 Depth=1
	v_bfe_u32 v7, v16, 16, 7
	v_mov_b32_e32 v4, 0x7f800001
	s_mov_b32 s16, exec_lo
	s_delay_alu instid0(VALU_DEP_2)
	v_cmpx_ne_u32_e32 0x7f, v7
	s_cbranch_execz .LBB355_2264
; %bb.2261:                             ;   in Loop: Header=BB355_1581 Depth=1
	v_dual_lshrrev_b32 v4, 3, v7 :: v_dual_bitop2_b32 v26, 7, v6 bitop3:0x40
	s_mov_b32 s17, exec_lo
	s_delay_alu instid0(VALU_DEP_1)
	v_mov_b64_e32 v[18:19], v[26:27]
	v_cmpx_gt_u32_e32 8, v7
; %bb.2262:                             ;   in Loop: Header=BB355_1581 Depth=1
	v_clz_i32_u32_e32 v4, v26
	s_delay_alu instid0(VALU_DEP_1) | instskip(NEXT) | instid1(VALU_DEP_1)
	v_min_u32_e32 v4, 32, v4
	v_subrev_nc_u32_e32 v7, 28, v4
	v_sub_nc_u32_e32 v4, 29, v4
	s_delay_alu instid0(VALU_DEP_2) | instskip(NEXT) | instid1(VALU_DEP_1)
	v_lshlrev_b64_e32 v[8:9], v7, v[26:27]
	v_and_b32_e32 v18, 7, v8
; %bb.2263:                             ;   in Loop: Header=BB355_1581 Depth=1
	s_or_b32 exec_lo, exec_lo, s17
	v_lshlrev_b32_e32 v6, 24, v6
	s_delay_alu instid0(VALU_DEP_2) | instskip(SKIP_1) | instid1(VALU_DEP_3)
	v_lshlrev_b32_e32 v7, 20, v18
	v_lshl_add_u32 v4, v4, 23, 0x3c000000
	v_and_b32_e32 v6, 0x80000000, v6
	s_delay_alu instid0(VALU_DEP_1)
	v_or3_b32 v4, v7, v6, v4
.LBB355_2264:                           ;   in Loop: Header=BB355_1581 Depth=1
	s_or_b32 exec_lo, exec_lo, s16
.LBB355_2265:                           ;   in Loop: Header=BB355_1581 Depth=1
	s_delay_alu instid0(SALU_CYCLE_1)
	s_or_b32 exec_lo, exec_lo, s15
.LBB355_2266:                           ;   in Loop: Header=BB355_1581 Depth=1
	s_delay_alu instid0(SALU_CYCLE_1) | instskip(NEXT) | instid1(SALU_CYCLE_1)
	s_or_b32 exec_lo, exec_lo, s14
	s_mov_b32 s14, exec_lo
	v_cmpx_lt_u32_e32 0xffffff, v16
	s_cbranch_execz .LBB355_2274
; %bb.2267:                             ;   in Loop: Header=BB355_1581 Depth=1
	v_lshrrev_b32_e32 v6, 24, v16
	v_bfrev_b32_e32 v5, 1
	s_mov_b32 s15, exec_lo
	s_delay_alu instid0(VALU_DEP_2)
	v_cmpx_ne_u32_e32 0x80, v6
	s_cbranch_execz .LBB355_2273
; %bb.2268:                             ;   in Loop: Header=BB355_1581 Depth=1
	v_bfe_u32 v7, v16, 24, 7
	v_mov_b32_e32 v5, 0x7f800001
	s_mov_b32 s16, exec_lo
	s_delay_alu instid0(VALU_DEP_2)
	v_cmpx_ne_u32_e32 0x7f, v7
	s_cbranch_execz .LBB355_2272
; %bb.2269:                             ;   in Loop: Header=BB355_1581 Depth=1
	v_dual_lshrrev_b32 v5, 3, v7 :: v_dual_bitop2_b32 v26, 7, v6 bitop3:0x40
	s_mov_b32 s17, exec_lo
	s_delay_alu instid0(VALU_DEP_1)
	v_mov_b64_e32 v[18:19], v[26:27]
	v_cmpx_gt_u32_e32 8, v7
; %bb.2270:                             ;   in Loop: Header=BB355_1581 Depth=1
	v_clz_i32_u32_e32 v5, v26
	s_delay_alu instid0(VALU_DEP_1) | instskip(NEXT) | instid1(VALU_DEP_1)
	v_min_u32_e32 v5, 32, v5
	v_subrev_nc_u32_e32 v7, 28, v5
	s_delay_alu instid0(VALU_DEP_1) | instskip(NEXT) | instid1(VALU_DEP_1)
	v_lshlrev_b64_e32 v[8:9], v7, v[26:27]
	v_dual_sub_nc_u32 v5, 29, v5 :: v_dual_bitop2_b32 v18, 7, v8 bitop3:0x40
; %bb.2271:                             ;   in Loop: Header=BB355_1581 Depth=1
	s_or_b32 exec_lo, exec_lo, s17
	v_lshlrev_b32_e32 v6, 24, v6
	s_delay_alu instid0(VALU_DEP_2) | instskip(NEXT) | instid1(VALU_DEP_3)
	v_lshlrev_b32_e32 v7, 20, v18
	v_lshl_add_u32 v5, v5, 23, 0x3c000000
	s_delay_alu instid0(VALU_DEP_3) | instskip(NEXT) | instid1(VALU_DEP_1)
	v_and_b32_e32 v6, 0x80000000, v6
	v_or3_b32 v5, v7, v6, v5
.LBB355_2272:                           ;   in Loop: Header=BB355_1581 Depth=1
	s_or_b32 exec_lo, exec_lo, s16
.LBB355_2273:                           ;   in Loop: Header=BB355_1581 Depth=1
	s_delay_alu instid0(SALU_CYCLE_1)
	s_or_b32 exec_lo, exec_lo, s15
.LBB355_2274:                           ;   in Loop: Header=BB355_1581 Depth=1
	s_delay_alu instid0(SALU_CYCLE_1) | instskip(SKIP_4) | instid1(VALU_DEP_3)
	s_or_b32 exec_lo, exec_lo, s14
	v_and_b32_e32 v8, 0xff, v17
	v_dual_mov_b32 v26, v17 :: v_dual_mov_b32 v7, 0
	v_mov_b32_e32 v6, 0
	s_mov_b32 s14, exec_lo
	v_cmpx_ne_u16_e32 0, v8
	s_cbranch_execz .LBB355_2282
; %bb.2275:                             ;   in Loop: Header=BB355_1581 Depth=1
	v_bfrev_b32_e32 v6, 1
	s_mov_b32 s15, exec_lo
	v_cmpx_ne_u16_e32 0x80, v8
	s_cbranch_execz .LBB355_2281
; %bb.2276:                             ;   in Loop: Header=BB355_1581 Depth=1
	v_and_b32_e32 v8, 0x7f, v17
	v_mov_b32_e32 v6, 0x7f800001
	s_mov_b32 s16, exec_lo
	s_delay_alu instid0(VALU_DEP_2)
	v_cmpx_ne_u32_e32 0x7f, v8
	s_cbranch_execz .LBB355_2280
; %bb.2277:                             ;   in Loop: Header=BB355_1581 Depth=1
	v_mov_b64_e32 v[18:19], v[26:27]
	v_lshrrev_b32_e32 v6, 3, v8
	s_mov_b32 s17, exec_lo
	v_cmpx_gt_u32_e32 8, v8
; %bb.2278:                             ;   in Loop: Header=BB355_1581 Depth=1
	v_and_b32_e32 v6, 7, v17
	s_delay_alu instid0(VALU_DEP_1) | instskip(NEXT) | instid1(VALU_DEP_1)
	v_clz_i32_u32_e32 v6, v6
	v_min_u32_e32 v6, 32, v6
	s_delay_alu instid0(VALU_DEP_1) | instskip(SKIP_1) | instid1(VALU_DEP_2)
	v_subrev_nc_u32_e32 v8, 28, v6
	v_sub_nc_u32_e32 v6, 29, v6
	v_lshlrev_b64_e32 v[18:19], v8, v[26:27]
; %bb.2279:                             ;   in Loop: Header=BB355_1581 Depth=1
	s_or_b32 exec_lo, exec_lo, s17
	s_delay_alu instid0(VALU_DEP_1) | instskip(SKIP_2) | instid1(VALU_DEP_3)
	v_lshlrev_b32_e32 v8, 20, v18
	v_lshlrev_b32_e32 v9, 24, v26
	v_lshl_add_u32 v6, v6, 23, 0x3c000000
	v_and_b32_e32 v8, 0x700000, v8
	s_delay_alu instid0(VALU_DEP_3) | instskip(NEXT) | instid1(VALU_DEP_1)
	v_and_b32_e32 v9, 0x80000000, v9
	v_or3_b32 v6, v8, v9, v6
.LBB355_2280:                           ;   in Loop: Header=BB355_1581 Depth=1
	s_or_b32 exec_lo, exec_lo, s16
.LBB355_2281:                           ;   in Loop: Header=BB355_1581 Depth=1
	s_delay_alu instid0(SALU_CYCLE_1)
	s_or_b32 exec_lo, exec_lo, s15
.LBB355_2282:                           ;   in Loop: Header=BB355_1581 Depth=1
	s_delay_alu instid0(SALU_CYCLE_1) | instskip(SKIP_2) | instid1(VALU_DEP_1)
	s_or_b32 exec_lo, exec_lo, s14
	v_lshrrev_b16 v8, 8, v26
	s_mov_b32 s14, exec_lo
	v_cmpx_ne_u16_e32 0, v8
	s_cbranch_execz .LBB355_2290
; %bb.2283:                             ;   in Loop: Header=BB355_1581 Depth=1
	v_bfrev_b32_e32 v7, 1
	s_mov_b32 s15, exec_lo
	v_cmpx_ne_u16_e32 0x80, v8
	s_cbranch_execz .LBB355_2289
; %bb.2284:                             ;   in Loop: Header=BB355_1581 Depth=1
	v_and_b32_e32 v9, 0xffff, v8
	v_mov_b32_e32 v7, 0x7f800001
	s_mov_b32 s16, exec_lo
	s_delay_alu instid0(VALU_DEP_2) | instskip(NEXT) | instid1(VALU_DEP_1)
	v_and_b32_e32 v8, 0x7f, v9
	v_cmpx_ne_u32_e32 0x7f, v8
	s_cbranch_execz .LBB355_2288
; %bb.2285:                             ;   in Loop: Header=BB355_1581 Depth=1
	v_dual_mov_b32 v19, v27 :: v_dual_bitop2_b32 v18, 7, v9 bitop3:0x40
	v_lshrrev_b32_e32 v7, 3, v8
	s_mov_b32 s17, exec_lo
	v_cmpx_gt_u32_e32 8, v8
; %bb.2286:                             ;   in Loop: Header=BB355_1581 Depth=1
	s_delay_alu instid0(VALU_DEP_3) | instskip(NEXT) | instid1(VALU_DEP_1)
	v_clz_i32_u32_e32 v7, v18
	v_min_u32_e32 v7, 32, v7
	s_delay_alu instid0(VALU_DEP_1) | instskip(NEXT) | instid1(VALU_DEP_1)
	v_subrev_nc_u32_e32 v8, 28, v7
	v_lshlrev_b64_e32 v[8:9], v8, v[18:19]
	s_delay_alu instid0(VALU_DEP_1)
	v_dual_sub_nc_u32 v7, 29, v7 :: v_dual_bitop2_b32 v18, 7, v8 bitop3:0x40
; %bb.2287:                             ;   in Loop: Header=BB355_1581 Depth=1
	s_or_b32 exec_lo, exec_lo, s17
	v_lshlrev_b32_e32 v8, 16, v26
	s_delay_alu instid0(VALU_DEP_2) | instskip(NEXT) | instid1(VALU_DEP_3)
	v_lshlrev_b32_e32 v9, 20, v18
	v_lshl_add_u32 v7, v7, 23, 0x3c000000
	s_delay_alu instid0(VALU_DEP_3) | instskip(NEXT) | instid1(VALU_DEP_1)
	v_and_b32_e32 v8, 0x80000000, v8
	v_or3_b32 v7, v9, v8, v7
.LBB355_2288:                           ;   in Loop: Header=BB355_1581 Depth=1
	s_or_b32 exec_lo, exec_lo, s16
.LBB355_2289:                           ;   in Loop: Header=BB355_1581 Depth=1
	s_delay_alu instid0(SALU_CYCLE_1)
	s_or_b32 exec_lo, exec_lo, s15
.LBB355_2290:                           ;   in Loop: Header=BB355_1581 Depth=1
	s_delay_alu instid0(SALU_CYCLE_1) | instskip(SKIP_3) | instid1(VALU_DEP_2)
	s_or_b32 exec_lo, exec_lo, s14
	v_dual_lshrrev_b32 v10, 16, v17 :: v_dual_mov_b32 v8, 0
	v_mov_b32_e32 v9, 0
	s_mov_b32 s14, exec_lo
	v_and_b32_e32 v11, 0xff, v10
	s_delay_alu instid0(VALU_DEP_1)
	v_cmpx_ne_u16_e32 0, v11
	s_cbranch_execz .LBB355_2298
; %bb.2291:                             ;   in Loop: Header=BB355_1581 Depth=1
	v_bfrev_b32_e32 v9, 1
	s_mov_b32 s15, exec_lo
	v_cmpx_ne_u16_e32 0x80, v11
	s_cbranch_execz .LBB355_2297
; %bb.2292:                             ;   in Loop: Header=BB355_1581 Depth=1
	v_bfe_u32 v11, v17, 16, 7
	v_mov_b32_e32 v9, 0x7f800001
	s_mov_b32 s16, exec_lo
	s_delay_alu instid0(VALU_DEP_2)
	v_cmpx_ne_u32_e32 0x7f, v11
	s_cbranch_execz .LBB355_2296
; %bb.2293:                             ;   in Loop: Header=BB355_1581 Depth=1
	v_dual_lshrrev_b32 v9, 3, v11 :: v_dual_bitop2_b32 v26, 7, v10 bitop3:0x40
	s_mov_b32 s17, exec_lo
	s_delay_alu instid0(VALU_DEP_1)
	v_mov_b64_e32 v[18:19], v[26:27]
	v_cmpx_gt_u32_e32 8, v11
; %bb.2294:                             ;   in Loop: Header=BB355_1581 Depth=1
	v_clz_i32_u32_e32 v9, v26
	s_delay_alu instid0(VALU_DEP_1) | instskip(NEXT) | instid1(VALU_DEP_1)
	v_min_u32_e32 v9, 32, v9
	v_subrev_nc_u32_e32 v11, 28, v9
	s_delay_alu instid0(VALU_DEP_1) | instskip(NEXT) | instid1(VALU_DEP_1)
	v_lshlrev_b64_e32 v[12:13], v11, v[26:27]
	v_dual_sub_nc_u32 v9, 29, v9 :: v_dual_bitop2_b32 v18, 7, v12 bitop3:0x40
; %bb.2295:                             ;   in Loop: Header=BB355_1581 Depth=1
	s_or_b32 exec_lo, exec_lo, s17
	v_lshlrev_b32_e32 v10, 24, v10
	s_delay_alu instid0(VALU_DEP_2) | instskip(NEXT) | instid1(VALU_DEP_3)
	v_lshlrev_b32_e32 v11, 20, v18
	v_lshl_add_u32 v9, v9, 23, 0x3c000000
	s_delay_alu instid0(VALU_DEP_3) | instskip(NEXT) | instid1(VALU_DEP_1)
	v_and_b32_e32 v10, 0x80000000, v10
	v_or3_b32 v9, v11, v10, v9
.LBB355_2296:                           ;   in Loop: Header=BB355_1581 Depth=1
	s_or_b32 exec_lo, exec_lo, s16
.LBB355_2297:                           ;   in Loop: Header=BB355_1581 Depth=1
	s_delay_alu instid0(SALU_CYCLE_1)
	s_or_b32 exec_lo, exec_lo, s15
.LBB355_2298:                           ;   in Loop: Header=BB355_1581 Depth=1
	s_delay_alu instid0(SALU_CYCLE_1) | instskip(NEXT) | instid1(SALU_CYCLE_1)
	s_or_b32 exec_lo, exec_lo, s14
	s_mov_b32 s14, exec_lo
	v_cmpx_lt_u64_e64 s[2:3], v[16:17]
	s_cbranch_execz .LBB355_2306
; %bb.2299:                             ;   in Loop: Header=BB355_1581 Depth=1
	v_lshrrev_b32_e32 v10, 24, v17
	v_bfrev_b32_e32 v8, 1
	s_mov_b32 s15, exec_lo
	s_delay_alu instid0(VALU_DEP_2)
	v_cmpx_ne_u32_e32 0x80, v10
	s_cbranch_execz .LBB355_2305
; %bb.2300:                             ;   in Loop: Header=BB355_1581 Depth=1
	v_bfe_u32 v11, v17, 24, 7
	v_mov_b32_e32 v8, 0x7f800001
	s_mov_b32 s16, exec_lo
	s_delay_alu instid0(VALU_DEP_2)
	v_cmpx_ne_u32_e32 0x7f, v11
	s_cbranch_execz .LBB355_2304
; %bb.2301:                             ;   in Loop: Header=BB355_1581 Depth=1
	v_dual_lshrrev_b32 v8, 3, v11 :: v_dual_bitop2_b32 v26, 7, v10 bitop3:0x40
	s_mov_b32 s17, exec_lo
	s_delay_alu instid0(VALU_DEP_1)
	v_mov_b64_e32 v[16:17], v[26:27]
	v_cmpx_gt_u32_e32 8, v11
; %bb.2302:                             ;   in Loop: Header=BB355_1581 Depth=1
	v_clz_i32_u32_e32 v8, v26
	s_delay_alu instid0(VALU_DEP_1) | instskip(NEXT) | instid1(VALU_DEP_1)
	v_min_u32_e32 v8, 32, v8
	v_subrev_nc_u32_e32 v11, 28, v8
	v_sub_nc_u32_e32 v8, 29, v8
	s_delay_alu instid0(VALU_DEP_2) | instskip(NEXT) | instid1(VALU_DEP_1)
	v_lshlrev_b64_e32 v[12:13], v11, v[26:27]
	v_and_b32_e32 v16, 7, v12
; %bb.2303:                             ;   in Loop: Header=BB355_1581 Depth=1
	s_or_b32 exec_lo, exec_lo, s17
	s_delay_alu instid0(VALU_DEP_1) | instskip(SKIP_1) | instid1(VALU_DEP_2)
	v_dual_lshlrev_b32 v10, 24, v10 :: v_dual_lshlrev_b32 v11, 20, v16
	v_lshl_add_u32 v8, v8, 23, 0x3c000000
	v_and_b32_e32 v10, 0x80000000, v10
	s_delay_alu instid0(VALU_DEP_1)
	v_or3_b32 v8, v11, v10, v8
.LBB355_2304:                           ;   in Loop: Header=BB355_1581 Depth=1
	s_or_b32 exec_lo, exec_lo, s16
.LBB355_2305:                           ;   in Loop: Header=BB355_1581 Depth=1
	s_delay_alu instid0(SALU_CYCLE_1)
	s_or_b32 exec_lo, exec_lo, s15
.LBB355_2306:                           ;   in Loop: Header=BB355_1581 Depth=1
	s_delay_alu instid0(SALU_CYCLE_1)
	s_or_b32 exec_lo, exec_lo, s14
	v_fma_mixlo_bf16 v7, v116, v7, 0
	v_fma_mixlo_bf16 v6, v116, v6, 0
	;; [unrolled: 1-line block ×5, first 2 shown]
	s_clause 0x2
	scratch_store_b32 off, v7, s32 offset:764
	scratch_store_b32 off, v6, s32 offset:768
	;; [unrolled: 1-line block ×3, first 2 shown]
	v_fma_mixlo_bf16 v86, v116, v4, 0
	v_fma_mixlo_bf16 v87, v116, v3, 0
	scratch_store_b32 off, v2, s32 offset:776 ; 4-byte Folded Spill
	s_wait_xcnt 0x0
	v_fma_mixlo_bf16 v2, v116, v8, 0
	scratch_store_b32 off, v2, s32 offset:784 ; 4-byte Folded Spill
	s_wait_xcnt 0x0
	s_and_saveexec_b32 s14, vcc_lo
	s_cbranch_execz .LBB355_2308
; %bb.2307:                             ;   in Loop: Header=BB355_1581 Depth=1
	scratch_load_b32 v2, off, s32 offset:792 ; 4-byte Folded Reload
	v_cmp_lt_i32_e64 s0, v115, v119
	s_delay_alu instid0(VALU_DEP_1) | instskip(SKIP_1) | instid1(VALU_DEP_1)
	v_cndmask_b32_e64 v96, 0, v96, s0
	v_cmp_lt_i32_e64 s0, v59, v119
	v_cndmask_b32_e64 v87, 0, v87, s0
	v_cmp_lt_i32_e64 s0, v58, v119
	s_delay_alu instid0(VALU_DEP_1) | instskip(SKIP_2) | instid1(VALU_DEP_1)
	v_cndmask_b32_e64 v86, 0, v86, s0
	v_cmp_lt_i32_e64 s0, v57, v119
	s_wait_loadcnt 0x0
	v_cndmask_b32_e64 v2, 0, v2, s0
	v_cmp_lt_i32_e64 s0, v46, v119
	s_clause 0x1
	scratch_store_b32 off, v2, s32 offset:792
	scratch_load_b32 v2, off, s32 offset:768
	s_wait_loadcnt 0x0
	v_cndmask_b32_e64 v2, 0, v2, s0
	v_cmp_lt_i32_e64 s0, v41, v119
	s_clause 0x1
	scratch_store_b32 off, v2, s32 offset:768
	scratch_load_b32 v2, off, s32 offset:764
	s_wait_loadcnt 0x0
	v_cndmask_b32_e64 v2, 0, v2, s0
	v_cmp_lt_i32_e64 s0, v94, v119
	s_clause 0x1
	scratch_store_b32 off, v2, s32 offset:764
	scratch_load_b32 v2, off, s32 offset:776
	s_wait_loadcnt 0x0
	v_cndmask_b32_e64 v2, 0, v2, s0
	v_cmp_lt_i32_e64 s0, v45, v119
	s_clause 0x1
	scratch_store_b32 off, v2, s32 offset:776
	scratch_load_b32 v2, off, s32 offset:784
	s_wait_loadcnt 0x0
	v_cndmask_b32_e64 v2, 0, v2, s0
	scratch_store_b32 off, v2, s32 offset:784 ; 4-byte Folded Spill
.LBB355_2308:                           ;   in Loop: Header=BB355_1581 Depth=1
	s_wait_xcnt 0x0
	s_or_b32 exec_lo, exec_lo, s14
	flat_load_b64 v[16:17], v[0:1] offset:2816
	v_dual_mov_b32 v3, 0 :: v_dual_mov_b32 v2, 0
	s_mov_b32 s14, exec_lo
	s_wait_loadcnt_dscnt 0x0
	v_and_b32_e32 v4, 0xff, v16
	s_wait_xcnt 0x0
	s_delay_alu instid0(VALU_DEP_1)
	v_cmpx_ne_u16_e32 0, v4
	s_cbranch_execz .LBB355_2316
; %bb.2309:                             ;   in Loop: Header=BB355_1581 Depth=1
	v_bfrev_b32_e32 v2, 1
	s_mov_b32 s15, exec_lo
	v_cmpx_ne_u16_e32 0x80, v4
	s_cbranch_execz .LBB355_2315
; %bb.2310:                             ;   in Loop: Header=BB355_1581 Depth=1
	v_and_b32_e32 v4, 0x7f, v16
	v_mov_b32_e32 v2, 0x7f800001
	s_mov_b32 s16, exec_lo
	s_delay_alu instid0(VALU_DEP_2)
	v_cmpx_ne_u32_e32 0x7f, v4
	s_cbranch_execz .LBB355_2314
; %bb.2311:                             ;   in Loop: Header=BB355_1581 Depth=1
	v_mov_b64_e32 v[18:19], v[16:17]
	v_lshrrev_b32_e32 v2, 3, v4
	s_mov_b32 s17, exec_lo
	v_cmpx_gt_u32_e32 8, v4
; %bb.2312:                             ;   in Loop: Header=BB355_1581 Depth=1
	v_and_b32_e32 v2, 7, v16
	s_delay_alu instid0(VALU_DEP_1) | instskip(NEXT) | instid1(VALU_DEP_1)
	v_clz_i32_u32_e32 v2, v2
	v_min_u32_e32 v2, 32, v2
	s_delay_alu instid0(VALU_DEP_1) | instskip(SKIP_1) | instid1(VALU_DEP_2)
	v_subrev_nc_u32_e32 v4, 28, v2
	v_sub_nc_u32_e32 v2, 29, v2
	v_lshlrev_b64_e32 v[18:19], v4, v[16:17]
; %bb.2313:                             ;   in Loop: Header=BB355_1581 Depth=1
	s_or_b32 exec_lo, exec_lo, s17
	s_delay_alu instid0(VALU_DEP_1) | instskip(NEXT) | instid1(VALU_DEP_3)
	v_dual_lshlrev_b32 v4, 20, v18 :: v_dual_lshlrev_b32 v5, 24, v16
	v_lshl_add_u32 v2, v2, 23, 0x3c000000
	s_delay_alu instid0(VALU_DEP_2) | instskip(NEXT) | instid1(VALU_DEP_3)
	v_and_b32_e32 v4, 0x700000, v4
	v_and_b32_e32 v5, 0x80000000, v5
	s_delay_alu instid0(VALU_DEP_1)
	v_or3_b32 v2, v4, v5, v2
.LBB355_2314:                           ;   in Loop: Header=BB355_1581 Depth=1
	s_or_b32 exec_lo, exec_lo, s16
.LBB355_2315:                           ;   in Loop: Header=BB355_1581 Depth=1
	s_delay_alu instid0(SALU_CYCLE_1)
	s_or_b32 exec_lo, exec_lo, s15
.LBB355_2316:                           ;   in Loop: Header=BB355_1581 Depth=1
	s_delay_alu instid0(SALU_CYCLE_1) | instskip(SKIP_2) | instid1(VALU_DEP_1)
	s_or_b32 exec_lo, exec_lo, s14
	v_lshrrev_b16 v4, 8, v16
	s_mov_b32 s14, exec_lo
	v_cmpx_ne_u16_e32 0, v4
	s_cbranch_execz .LBB355_2324
; %bb.2317:                             ;   in Loop: Header=BB355_1581 Depth=1
	v_bfrev_b32_e32 v3, 1
	s_mov_b32 s15, exec_lo
	v_cmpx_ne_u16_e32 0x80, v4
	s_cbranch_execz .LBB355_2323
; %bb.2318:                             ;   in Loop: Header=BB355_1581 Depth=1
	v_and_b32_e32 v5, 0xffff, v4
	v_mov_b32_e32 v3, 0x7f800001
	s_mov_b32 s16, exec_lo
	s_delay_alu instid0(VALU_DEP_2) | instskip(NEXT) | instid1(VALU_DEP_1)
	v_and_b32_e32 v4, 0x7f, v5
	v_cmpx_ne_u32_e32 0x7f, v4
	s_cbranch_execz .LBB355_2322
; %bb.2319:                             ;   in Loop: Header=BB355_1581 Depth=1
	v_dual_lshrrev_b32 v3, 3, v4 :: v_dual_bitop2_b32 v26, 7, v5 bitop3:0x40
	s_mov_b32 s17, exec_lo
	s_delay_alu instid0(VALU_DEP_1)
	v_mov_b64_e32 v[18:19], v[26:27]
	v_cmpx_gt_u32_e32 8, v4
; %bb.2320:                             ;   in Loop: Header=BB355_1581 Depth=1
	v_clz_i32_u32_e32 v3, v26
	s_delay_alu instid0(VALU_DEP_1) | instskip(NEXT) | instid1(VALU_DEP_1)
	v_min_u32_e32 v3, 32, v3
	v_subrev_nc_u32_e32 v4, 28, v3
	s_delay_alu instid0(VALU_DEP_1) | instskip(NEXT) | instid1(VALU_DEP_1)
	v_lshlrev_b64_e32 v[4:5], v4, v[26:27]
	v_dual_sub_nc_u32 v3, 29, v3 :: v_dual_bitop2_b32 v18, 7, v4 bitop3:0x40
; %bb.2321:                             ;   in Loop: Header=BB355_1581 Depth=1
	s_or_b32 exec_lo, exec_lo, s17
	s_delay_alu instid0(VALU_DEP_1) | instskip(NEXT) | instid1(VALU_DEP_2)
	v_dual_lshlrev_b32 v4, 16, v16 :: v_dual_lshlrev_b32 v5, 20, v18
	v_lshl_add_u32 v3, v3, 23, 0x3c000000
	s_delay_alu instid0(VALU_DEP_2) | instskip(NEXT) | instid1(VALU_DEP_1)
	v_and_b32_e32 v4, 0x80000000, v4
	v_or3_b32 v3, v5, v4, v3
.LBB355_2322:                           ;   in Loop: Header=BB355_1581 Depth=1
	s_or_b32 exec_lo, exec_lo, s16
.LBB355_2323:                           ;   in Loop: Header=BB355_1581 Depth=1
	s_delay_alu instid0(SALU_CYCLE_1)
	s_or_b32 exec_lo, exec_lo, s15
.LBB355_2324:                           ;   in Loop: Header=BB355_1581 Depth=1
	s_delay_alu instid0(SALU_CYCLE_1) | instskip(SKIP_3) | instid1(VALU_DEP_2)
	s_or_b32 exec_lo, exec_lo, s14
	v_dual_mov_b32 v5, 0 :: v_dual_lshrrev_b32 v6, 16, v16
	v_mov_b32_e32 v4, 0
	s_mov_b32 s14, exec_lo
	v_and_b32_e32 v7, 0xff, v6
	s_delay_alu instid0(VALU_DEP_1)
	v_cmpx_ne_u16_e32 0, v7
	s_cbranch_execz .LBB355_2332
; %bb.2325:                             ;   in Loop: Header=BB355_1581 Depth=1
	v_bfrev_b32_e32 v4, 1
	s_mov_b32 s15, exec_lo
	v_cmpx_ne_u16_e32 0x80, v7
	s_cbranch_execz .LBB355_2331
; %bb.2326:                             ;   in Loop: Header=BB355_1581 Depth=1
	v_bfe_u32 v7, v16, 16, 7
	v_mov_b32_e32 v4, 0x7f800001
	s_mov_b32 s16, exec_lo
	s_delay_alu instid0(VALU_DEP_2)
	v_cmpx_ne_u32_e32 0x7f, v7
	s_cbranch_execz .LBB355_2330
; %bb.2327:                             ;   in Loop: Header=BB355_1581 Depth=1
	v_dual_lshrrev_b32 v4, 3, v7 :: v_dual_bitop2_b32 v26, 7, v6 bitop3:0x40
	s_mov_b32 s17, exec_lo
	s_delay_alu instid0(VALU_DEP_1)
	v_mov_b64_e32 v[18:19], v[26:27]
	v_cmpx_gt_u32_e32 8, v7
; %bb.2328:                             ;   in Loop: Header=BB355_1581 Depth=1
	v_clz_i32_u32_e32 v4, v26
	s_delay_alu instid0(VALU_DEP_1) | instskip(NEXT) | instid1(VALU_DEP_1)
	v_min_u32_e32 v4, 32, v4
	v_subrev_nc_u32_e32 v7, 28, v4
	v_sub_nc_u32_e32 v4, 29, v4
	s_delay_alu instid0(VALU_DEP_2) | instskip(NEXT) | instid1(VALU_DEP_1)
	v_lshlrev_b64_e32 v[8:9], v7, v[26:27]
	v_and_b32_e32 v18, 7, v8
; %bb.2329:                             ;   in Loop: Header=BB355_1581 Depth=1
	s_or_b32 exec_lo, exec_lo, s17
	v_lshlrev_b32_e32 v6, 24, v6
	s_delay_alu instid0(VALU_DEP_2) | instskip(SKIP_1) | instid1(VALU_DEP_3)
	v_lshlrev_b32_e32 v7, 20, v18
	v_lshl_add_u32 v4, v4, 23, 0x3c000000
	v_and_b32_e32 v6, 0x80000000, v6
	s_delay_alu instid0(VALU_DEP_1)
	v_or3_b32 v4, v7, v6, v4
.LBB355_2330:                           ;   in Loop: Header=BB355_1581 Depth=1
	s_or_b32 exec_lo, exec_lo, s16
.LBB355_2331:                           ;   in Loop: Header=BB355_1581 Depth=1
	s_delay_alu instid0(SALU_CYCLE_1)
	s_or_b32 exec_lo, exec_lo, s15
.LBB355_2332:                           ;   in Loop: Header=BB355_1581 Depth=1
	s_delay_alu instid0(SALU_CYCLE_1) | instskip(NEXT) | instid1(SALU_CYCLE_1)
	s_or_b32 exec_lo, exec_lo, s14
	s_mov_b32 s14, exec_lo
	v_cmpx_lt_u32_e32 0xffffff, v16
	s_cbranch_execz .LBB355_2340
; %bb.2333:                             ;   in Loop: Header=BB355_1581 Depth=1
	v_lshrrev_b32_e32 v6, 24, v16
	v_bfrev_b32_e32 v5, 1
	s_mov_b32 s15, exec_lo
	s_delay_alu instid0(VALU_DEP_2)
	v_cmpx_ne_u32_e32 0x80, v6
	s_cbranch_execz .LBB355_2339
; %bb.2334:                             ;   in Loop: Header=BB355_1581 Depth=1
	v_bfe_u32 v7, v16, 24, 7
	v_mov_b32_e32 v5, 0x7f800001
	s_mov_b32 s16, exec_lo
	s_delay_alu instid0(VALU_DEP_2)
	v_cmpx_ne_u32_e32 0x7f, v7
	s_cbranch_execz .LBB355_2338
; %bb.2335:                             ;   in Loop: Header=BB355_1581 Depth=1
	v_dual_lshrrev_b32 v5, 3, v7 :: v_dual_bitop2_b32 v26, 7, v6 bitop3:0x40
	s_mov_b32 s17, exec_lo
	s_delay_alu instid0(VALU_DEP_1)
	v_mov_b64_e32 v[18:19], v[26:27]
	v_cmpx_gt_u32_e32 8, v7
; %bb.2336:                             ;   in Loop: Header=BB355_1581 Depth=1
	v_clz_i32_u32_e32 v5, v26
	s_delay_alu instid0(VALU_DEP_1) | instskip(NEXT) | instid1(VALU_DEP_1)
	v_min_u32_e32 v5, 32, v5
	v_subrev_nc_u32_e32 v7, 28, v5
	s_delay_alu instid0(VALU_DEP_1) | instskip(NEXT) | instid1(VALU_DEP_1)
	v_lshlrev_b64_e32 v[8:9], v7, v[26:27]
	v_dual_sub_nc_u32 v5, 29, v5 :: v_dual_bitop2_b32 v18, 7, v8 bitop3:0x40
; %bb.2337:                             ;   in Loop: Header=BB355_1581 Depth=1
	s_or_b32 exec_lo, exec_lo, s17
	v_lshlrev_b32_e32 v6, 24, v6
	s_delay_alu instid0(VALU_DEP_2) | instskip(NEXT) | instid1(VALU_DEP_3)
	v_lshlrev_b32_e32 v7, 20, v18
	v_lshl_add_u32 v5, v5, 23, 0x3c000000
	s_delay_alu instid0(VALU_DEP_3) | instskip(NEXT) | instid1(VALU_DEP_1)
	v_and_b32_e32 v6, 0x80000000, v6
	v_or3_b32 v5, v7, v6, v5
.LBB355_2338:                           ;   in Loop: Header=BB355_1581 Depth=1
	s_or_b32 exec_lo, exec_lo, s16
.LBB355_2339:                           ;   in Loop: Header=BB355_1581 Depth=1
	s_delay_alu instid0(SALU_CYCLE_1)
	s_or_b32 exec_lo, exec_lo, s15
.LBB355_2340:                           ;   in Loop: Header=BB355_1581 Depth=1
	s_delay_alu instid0(SALU_CYCLE_1) | instskip(SKIP_4) | instid1(VALU_DEP_3)
	s_or_b32 exec_lo, exec_lo, s14
	v_and_b32_e32 v8, 0xff, v17
	v_dual_mov_b32 v26, v17 :: v_dual_mov_b32 v7, 0
	v_mov_b32_e32 v6, 0
	s_mov_b32 s14, exec_lo
	v_cmpx_ne_u16_e32 0, v8
	s_cbranch_execz .LBB355_2348
; %bb.2341:                             ;   in Loop: Header=BB355_1581 Depth=1
	v_bfrev_b32_e32 v6, 1
	s_mov_b32 s15, exec_lo
	v_cmpx_ne_u16_e32 0x80, v8
	s_cbranch_execz .LBB355_2347
; %bb.2342:                             ;   in Loop: Header=BB355_1581 Depth=1
	v_and_b32_e32 v8, 0x7f, v17
	v_mov_b32_e32 v6, 0x7f800001
	s_mov_b32 s16, exec_lo
	s_delay_alu instid0(VALU_DEP_2)
	v_cmpx_ne_u32_e32 0x7f, v8
	s_cbranch_execz .LBB355_2346
; %bb.2343:                             ;   in Loop: Header=BB355_1581 Depth=1
	v_mov_b64_e32 v[18:19], v[26:27]
	v_lshrrev_b32_e32 v6, 3, v8
	s_mov_b32 s17, exec_lo
	v_cmpx_gt_u32_e32 8, v8
; %bb.2344:                             ;   in Loop: Header=BB355_1581 Depth=1
	v_and_b32_e32 v6, 7, v17
	s_delay_alu instid0(VALU_DEP_1) | instskip(NEXT) | instid1(VALU_DEP_1)
	v_clz_i32_u32_e32 v6, v6
	v_min_u32_e32 v6, 32, v6
	s_delay_alu instid0(VALU_DEP_1) | instskip(SKIP_1) | instid1(VALU_DEP_2)
	v_subrev_nc_u32_e32 v8, 28, v6
	v_sub_nc_u32_e32 v6, 29, v6
	v_lshlrev_b64_e32 v[18:19], v8, v[26:27]
; %bb.2345:                             ;   in Loop: Header=BB355_1581 Depth=1
	s_or_b32 exec_lo, exec_lo, s17
	s_delay_alu instid0(VALU_DEP_1) | instskip(SKIP_2) | instid1(VALU_DEP_3)
	v_lshlrev_b32_e32 v8, 20, v18
	v_lshlrev_b32_e32 v9, 24, v26
	v_lshl_add_u32 v6, v6, 23, 0x3c000000
	v_and_b32_e32 v8, 0x700000, v8
	s_delay_alu instid0(VALU_DEP_3) | instskip(NEXT) | instid1(VALU_DEP_1)
	v_and_b32_e32 v9, 0x80000000, v9
	v_or3_b32 v6, v8, v9, v6
.LBB355_2346:                           ;   in Loop: Header=BB355_1581 Depth=1
	s_or_b32 exec_lo, exec_lo, s16
.LBB355_2347:                           ;   in Loop: Header=BB355_1581 Depth=1
	s_delay_alu instid0(SALU_CYCLE_1)
	s_or_b32 exec_lo, exec_lo, s15
.LBB355_2348:                           ;   in Loop: Header=BB355_1581 Depth=1
	s_delay_alu instid0(SALU_CYCLE_1) | instskip(SKIP_2) | instid1(VALU_DEP_1)
	s_or_b32 exec_lo, exec_lo, s14
	v_lshrrev_b16 v8, 8, v26
	s_mov_b32 s14, exec_lo
	v_cmpx_ne_u16_e32 0, v8
	s_cbranch_execz .LBB355_2356
; %bb.2349:                             ;   in Loop: Header=BB355_1581 Depth=1
	v_bfrev_b32_e32 v7, 1
	s_mov_b32 s15, exec_lo
	v_cmpx_ne_u16_e32 0x80, v8
	s_cbranch_execz .LBB355_2355
; %bb.2350:                             ;   in Loop: Header=BB355_1581 Depth=1
	v_and_b32_e32 v9, 0xffff, v8
	v_mov_b32_e32 v7, 0x7f800001
	s_mov_b32 s16, exec_lo
	s_delay_alu instid0(VALU_DEP_2) | instskip(NEXT) | instid1(VALU_DEP_1)
	v_and_b32_e32 v8, 0x7f, v9
	v_cmpx_ne_u32_e32 0x7f, v8
	s_cbranch_execz .LBB355_2354
; %bb.2351:                             ;   in Loop: Header=BB355_1581 Depth=1
	v_dual_mov_b32 v19, v27 :: v_dual_bitop2_b32 v18, 7, v9 bitop3:0x40
	v_lshrrev_b32_e32 v7, 3, v8
	s_mov_b32 s17, exec_lo
	v_cmpx_gt_u32_e32 8, v8
; %bb.2352:                             ;   in Loop: Header=BB355_1581 Depth=1
	s_delay_alu instid0(VALU_DEP_3) | instskip(NEXT) | instid1(VALU_DEP_1)
	v_clz_i32_u32_e32 v7, v18
	v_min_u32_e32 v7, 32, v7
	s_delay_alu instid0(VALU_DEP_1) | instskip(NEXT) | instid1(VALU_DEP_1)
	v_subrev_nc_u32_e32 v8, 28, v7
	v_lshlrev_b64_e32 v[8:9], v8, v[18:19]
	s_delay_alu instid0(VALU_DEP_1)
	v_dual_sub_nc_u32 v7, 29, v7 :: v_dual_bitop2_b32 v18, 7, v8 bitop3:0x40
; %bb.2353:                             ;   in Loop: Header=BB355_1581 Depth=1
	s_or_b32 exec_lo, exec_lo, s17
	v_lshlrev_b32_e32 v8, 16, v26
	s_delay_alu instid0(VALU_DEP_2) | instskip(NEXT) | instid1(VALU_DEP_3)
	v_lshlrev_b32_e32 v9, 20, v18
	v_lshl_add_u32 v7, v7, 23, 0x3c000000
	s_delay_alu instid0(VALU_DEP_3) | instskip(NEXT) | instid1(VALU_DEP_1)
	v_and_b32_e32 v8, 0x80000000, v8
	v_or3_b32 v7, v9, v8, v7
.LBB355_2354:                           ;   in Loop: Header=BB355_1581 Depth=1
	s_or_b32 exec_lo, exec_lo, s16
.LBB355_2355:                           ;   in Loop: Header=BB355_1581 Depth=1
	s_delay_alu instid0(SALU_CYCLE_1)
	s_or_b32 exec_lo, exec_lo, s15
.LBB355_2356:                           ;   in Loop: Header=BB355_1581 Depth=1
	s_delay_alu instid0(SALU_CYCLE_1) | instskip(SKIP_3) | instid1(VALU_DEP_2)
	s_or_b32 exec_lo, exec_lo, s14
	v_dual_lshrrev_b32 v10, 16, v17 :: v_dual_mov_b32 v8, 0
	v_mov_b32_e32 v9, 0
	s_mov_b32 s14, exec_lo
	v_and_b32_e32 v11, 0xff, v10
	s_delay_alu instid0(VALU_DEP_1)
	v_cmpx_ne_u16_e32 0, v11
	s_cbranch_execz .LBB355_2364
; %bb.2357:                             ;   in Loop: Header=BB355_1581 Depth=1
	v_bfrev_b32_e32 v9, 1
	s_mov_b32 s15, exec_lo
	v_cmpx_ne_u16_e32 0x80, v11
	s_cbranch_execz .LBB355_2363
; %bb.2358:                             ;   in Loop: Header=BB355_1581 Depth=1
	v_bfe_u32 v11, v17, 16, 7
	v_mov_b32_e32 v9, 0x7f800001
	s_mov_b32 s16, exec_lo
	s_delay_alu instid0(VALU_DEP_2)
	v_cmpx_ne_u32_e32 0x7f, v11
	s_cbranch_execz .LBB355_2362
; %bb.2359:                             ;   in Loop: Header=BB355_1581 Depth=1
	v_dual_lshrrev_b32 v9, 3, v11 :: v_dual_bitop2_b32 v26, 7, v10 bitop3:0x40
	s_mov_b32 s17, exec_lo
	s_delay_alu instid0(VALU_DEP_1)
	v_mov_b64_e32 v[18:19], v[26:27]
	v_cmpx_gt_u32_e32 8, v11
; %bb.2360:                             ;   in Loop: Header=BB355_1581 Depth=1
	v_clz_i32_u32_e32 v9, v26
	s_delay_alu instid0(VALU_DEP_1) | instskip(NEXT) | instid1(VALU_DEP_1)
	v_min_u32_e32 v9, 32, v9
	v_subrev_nc_u32_e32 v11, 28, v9
	s_delay_alu instid0(VALU_DEP_1) | instskip(NEXT) | instid1(VALU_DEP_1)
	v_lshlrev_b64_e32 v[12:13], v11, v[26:27]
	v_dual_sub_nc_u32 v9, 29, v9 :: v_dual_bitop2_b32 v18, 7, v12 bitop3:0x40
; %bb.2361:                             ;   in Loop: Header=BB355_1581 Depth=1
	s_or_b32 exec_lo, exec_lo, s17
	v_lshlrev_b32_e32 v10, 24, v10
	s_delay_alu instid0(VALU_DEP_2) | instskip(NEXT) | instid1(VALU_DEP_3)
	v_lshlrev_b32_e32 v11, 20, v18
	v_lshl_add_u32 v9, v9, 23, 0x3c000000
	s_delay_alu instid0(VALU_DEP_3) | instskip(NEXT) | instid1(VALU_DEP_1)
	v_and_b32_e32 v10, 0x80000000, v10
	v_or3_b32 v9, v11, v10, v9
.LBB355_2362:                           ;   in Loop: Header=BB355_1581 Depth=1
	s_or_b32 exec_lo, exec_lo, s16
.LBB355_2363:                           ;   in Loop: Header=BB355_1581 Depth=1
	s_delay_alu instid0(SALU_CYCLE_1)
	s_or_b32 exec_lo, exec_lo, s15
.LBB355_2364:                           ;   in Loop: Header=BB355_1581 Depth=1
	s_delay_alu instid0(SALU_CYCLE_1) | instskip(NEXT) | instid1(SALU_CYCLE_1)
	s_or_b32 exec_lo, exec_lo, s14
	s_mov_b32 s14, exec_lo
	v_cmpx_lt_u64_e64 s[2:3], v[16:17]
	s_cbranch_execz .LBB355_2372
; %bb.2365:                             ;   in Loop: Header=BB355_1581 Depth=1
	v_lshrrev_b32_e32 v10, 24, v17
	v_bfrev_b32_e32 v8, 1
	s_mov_b32 s15, exec_lo
	s_delay_alu instid0(VALU_DEP_2)
	v_cmpx_ne_u32_e32 0x80, v10
	s_cbranch_execz .LBB355_2371
; %bb.2366:                             ;   in Loop: Header=BB355_1581 Depth=1
	v_bfe_u32 v11, v17, 24, 7
	v_mov_b32_e32 v8, 0x7f800001
	s_mov_b32 s16, exec_lo
	s_delay_alu instid0(VALU_DEP_2)
	v_cmpx_ne_u32_e32 0x7f, v11
	s_cbranch_execz .LBB355_2370
; %bb.2367:                             ;   in Loop: Header=BB355_1581 Depth=1
	v_dual_lshrrev_b32 v8, 3, v11 :: v_dual_bitop2_b32 v26, 7, v10 bitop3:0x40
	s_mov_b32 s17, exec_lo
	s_delay_alu instid0(VALU_DEP_1)
	v_mov_b64_e32 v[16:17], v[26:27]
	v_cmpx_gt_u32_e32 8, v11
; %bb.2368:                             ;   in Loop: Header=BB355_1581 Depth=1
	v_clz_i32_u32_e32 v8, v26
	s_delay_alu instid0(VALU_DEP_1) | instskip(NEXT) | instid1(VALU_DEP_1)
	v_min_u32_e32 v8, 32, v8
	v_subrev_nc_u32_e32 v11, 28, v8
	v_sub_nc_u32_e32 v8, 29, v8
	s_delay_alu instid0(VALU_DEP_2) | instskip(NEXT) | instid1(VALU_DEP_1)
	v_lshlrev_b64_e32 v[12:13], v11, v[26:27]
	v_and_b32_e32 v16, 7, v12
; %bb.2369:                             ;   in Loop: Header=BB355_1581 Depth=1
	s_or_b32 exec_lo, exec_lo, s17
	s_delay_alu instid0(VALU_DEP_1) | instskip(SKIP_1) | instid1(VALU_DEP_2)
	v_dual_lshlrev_b32 v10, 24, v10 :: v_dual_lshlrev_b32 v11, 20, v16
	v_lshl_add_u32 v8, v8, 23, 0x3c000000
	v_and_b32_e32 v10, 0x80000000, v10
	s_delay_alu instid0(VALU_DEP_1)
	v_or3_b32 v8, v11, v10, v8
.LBB355_2370:                           ;   in Loop: Header=BB355_1581 Depth=1
	s_or_b32 exec_lo, exec_lo, s16
.LBB355_2371:                           ;   in Loop: Header=BB355_1581 Depth=1
	s_delay_alu instid0(SALU_CYCLE_1)
	s_or_b32 exec_lo, exec_lo, s15
.LBB355_2372:                           ;   in Loop: Header=BB355_1581 Depth=1
	s_delay_alu instid0(SALU_CYCLE_1)
	s_or_b32 exec_lo, exec_lo, s14
	v_fma_mixlo_bf16 v97, v116, v7, 0
	v_fma_mixlo_bf16 v98, v116, v6, 0
	;; [unrolled: 1-line block ×8, first 2 shown]
	s_and_saveexec_b32 s14, vcc_lo
	s_cbranch_execz .LBB355_2374
; %bb.2373:                             ;   in Loop: Header=BB355_1581 Depth=1
	v_cmp_lt_i32_e64 s0, v115, v119
	s_delay_alu instid0(VALU_DEP_1) | instskip(SKIP_1) | instid1(VALU_DEP_1)
	v_cndmask_b32_e64 v112, 0, v112, s0
	v_cmp_lt_i32_e64 s0, v59, v119
	v_cndmask_b32_e64 v103, 0, v103, s0
	v_cmp_lt_i32_e64 s0, v58, v119
	s_delay_alu instid0(VALU_DEP_1) | instskip(SKIP_1) | instid1(VALU_DEP_1)
	v_cndmask_b32_e64 v102, 0, v102, s0
	v_cmp_lt_i32_e64 s0, v57, v119
	v_cndmask_b32_e64 v101, 0, v101, s0
	;; [unrolled: 5-line block ×4, first 2 shown]
.LBB355_2374:                           ;   in Loop: Header=BB355_1581 Depth=1
	s_or_b32 exec_lo, exec_lo, s14
	flat_load_b64 v[16:17], v[0:1] offset:3072
	v_dual_mov_b32 v4, 0 :: v_dual_mov_b32 v5, 0
	s_mov_b32 s14, exec_lo
	s_wait_loadcnt_dscnt 0x0
	v_and_b32_e32 v2, 0xff, v16
	s_wait_xcnt 0x0
	s_delay_alu instid0(VALU_DEP_1)
	v_cmpx_ne_u16_e32 0, v2
	s_cbranch_execz .LBB355_2382
; %bb.2375:                             ;   in Loop: Header=BB355_1581 Depth=1
	v_bfrev_b32_e32 v5, 1
	s_mov_b32 s15, exec_lo
	v_cmpx_ne_u16_e32 0x80, v2
	s_cbranch_execz .LBB355_2381
; %bb.2376:                             ;   in Loop: Header=BB355_1581 Depth=1
	v_and_b32_e32 v3, 0x7f, v16
	v_mov_b32_e32 v5, 0x7f800001
	s_mov_b32 s16, exec_lo
	s_delay_alu instid0(VALU_DEP_2)
	v_cmpx_ne_u32_e32 0x7f, v3
	s_cbranch_execz .LBB355_2380
; %bb.2377:                             ;   in Loop: Header=BB355_1581 Depth=1
	v_mov_b64_e32 v[18:19], v[16:17]
	v_lshrrev_b32_e32 v2, 3, v3
	s_mov_b32 s17, exec_lo
	v_cmpx_gt_u32_e32 8, v3
; %bb.2378:                             ;   in Loop: Header=BB355_1581 Depth=1
	v_and_b32_e32 v2, 7, v16
	s_delay_alu instid0(VALU_DEP_1) | instskip(NEXT) | instid1(VALU_DEP_1)
	v_clz_i32_u32_e32 v2, v2
	v_min_u32_e32 v2, 32, v2
	s_delay_alu instid0(VALU_DEP_1) | instskip(SKIP_1) | instid1(VALU_DEP_2)
	v_subrev_nc_u32_e32 v3, 28, v2
	v_sub_nc_u32_e32 v2, 29, v2
	v_lshlrev_b64_e32 v[18:19], v3, v[16:17]
; %bb.2379:                             ;   in Loop: Header=BB355_1581 Depth=1
	s_or_b32 exec_lo, exec_lo, s17
	s_delay_alu instid0(VALU_DEP_1) | instskip(NEXT) | instid1(VALU_DEP_3)
	v_dual_lshlrev_b32 v3, 20, v18 :: v_dual_lshlrev_b32 v5, 24, v16
	v_lshl_add_u32 v2, v2, 23, 0x3c000000
	s_delay_alu instid0(VALU_DEP_2) | instskip(NEXT) | instid1(VALU_DEP_3)
	v_and_b32_e32 v3, 0x700000, v3
	v_and_b32_e32 v5, 0x80000000, v5
	s_delay_alu instid0(VALU_DEP_1)
	v_or3_b32 v5, v3, v5, v2
.LBB355_2380:                           ;   in Loop: Header=BB355_1581 Depth=1
	s_or_b32 exec_lo, exec_lo, s16
.LBB355_2381:                           ;   in Loop: Header=BB355_1581 Depth=1
	s_delay_alu instid0(SALU_CYCLE_1)
	s_or_b32 exec_lo, exec_lo, s15
.LBB355_2382:                           ;   in Loop: Header=BB355_1581 Depth=1
	s_delay_alu instid0(SALU_CYCLE_1) | instskip(SKIP_2) | instid1(VALU_DEP_1)
	s_or_b32 exec_lo, exec_lo, s14
	v_lshrrev_b16 v2, 8, v16
	s_mov_b32 s14, exec_lo
	v_cmpx_ne_u16_e32 0, v2
	s_cbranch_execz .LBB355_2390
; %bb.2383:                             ;   in Loop: Header=BB355_1581 Depth=1
	v_bfrev_b32_e32 v4, 1
	s_mov_b32 s15, exec_lo
	v_cmpx_ne_u16_e32 0x80, v2
	s_cbranch_execz .LBB355_2389
; %bb.2384:                             ;   in Loop: Header=BB355_1581 Depth=1
	v_and_b32_e32 v2, 0xffff, v2
	v_mov_b32_e32 v4, 0x7f800001
	s_mov_b32 s16, exec_lo
	s_delay_alu instid0(VALU_DEP_2) | instskip(NEXT) | instid1(VALU_DEP_1)
	v_and_b32_e32 v3, 0x7f, v2
	v_cmpx_ne_u32_e32 0x7f, v3
	s_cbranch_execz .LBB355_2388
; %bb.2385:                             ;   in Loop: Header=BB355_1581 Depth=1
	v_dual_lshrrev_b32 v2, 3, v3 :: v_dual_bitop2_b32 v26, 7, v2 bitop3:0x40
	s_mov_b32 s17, exec_lo
	s_delay_alu instid0(VALU_DEP_1)
	v_mov_b64_e32 v[18:19], v[26:27]
	v_cmpx_gt_u32_e32 8, v3
; %bb.2386:                             ;   in Loop: Header=BB355_1581 Depth=1
	v_clz_i32_u32_e32 v2, v26
	s_delay_alu instid0(VALU_DEP_1) | instskip(NEXT) | instid1(VALU_DEP_1)
	v_min_u32_e32 v2, 32, v2
	v_subrev_nc_u32_e32 v3, 28, v2
	v_sub_nc_u32_e32 v2, 29, v2
	s_delay_alu instid0(VALU_DEP_2) | instskip(NEXT) | instid1(VALU_DEP_1)
	v_lshlrev_b64_e32 v[6:7], v3, v[26:27]
	v_and_b32_e32 v18, 7, v6
; %bb.2387:                             ;   in Loop: Header=BB355_1581 Depth=1
	s_or_b32 exec_lo, exec_lo, s17
	s_delay_alu instid0(VALU_DEP_1) | instskip(SKIP_1) | instid1(VALU_DEP_2)
	v_dual_lshlrev_b32 v3, 16, v16 :: v_dual_lshlrev_b32 v4, 20, v18
	v_lshl_add_u32 v2, v2, 23, 0x3c000000
	v_and_b32_e32 v3, 0x80000000, v3
	s_delay_alu instid0(VALU_DEP_1)
	v_or3_b32 v4, v4, v3, v2
.LBB355_2388:                           ;   in Loop: Header=BB355_1581 Depth=1
	s_or_b32 exec_lo, exec_lo, s16
.LBB355_2389:                           ;   in Loop: Header=BB355_1581 Depth=1
	s_delay_alu instid0(SALU_CYCLE_1)
	s_or_b32 exec_lo, exec_lo, s15
.LBB355_2390:                           ;   in Loop: Header=BB355_1581 Depth=1
	s_delay_alu instid0(SALU_CYCLE_1) | instskip(SKIP_3) | instid1(VALU_DEP_2)
	s_or_b32 exec_lo, exec_lo, s14
	v_dual_lshrrev_b32 v6, 16, v16 :: v_dual_mov_b32 v2, 0
	v_mov_b32_e32 v3, 0
	s_mov_b32 s14, exec_lo
	v_and_b32_e32 v7, 0xff, v6
	s_delay_alu instid0(VALU_DEP_1)
	v_cmpx_ne_u16_e32 0, v7
	s_cbranch_execz .LBB355_2398
; %bb.2391:                             ;   in Loop: Header=BB355_1581 Depth=1
	v_bfrev_b32_e32 v3, 1
	s_mov_b32 s15, exec_lo
	v_cmpx_ne_u16_e32 0x80, v7
	s_cbranch_execz .LBB355_2397
; %bb.2392:                             ;   in Loop: Header=BB355_1581 Depth=1
	v_bfe_u32 v7, v16, 16, 7
	v_mov_b32_e32 v3, 0x7f800001
	s_mov_b32 s16, exec_lo
	s_delay_alu instid0(VALU_DEP_2)
	v_cmpx_ne_u32_e32 0x7f, v7
	s_cbranch_execz .LBB355_2396
; %bb.2393:                             ;   in Loop: Header=BB355_1581 Depth=1
	v_dual_lshrrev_b32 v3, 3, v7 :: v_dual_bitop2_b32 v26, 7, v6 bitop3:0x40
	s_mov_b32 s17, exec_lo
	s_delay_alu instid0(VALU_DEP_1)
	v_mov_b64_e32 v[18:19], v[26:27]
	v_cmpx_gt_u32_e32 8, v7
; %bb.2394:                             ;   in Loop: Header=BB355_1581 Depth=1
	v_clz_i32_u32_e32 v3, v26
	s_delay_alu instid0(VALU_DEP_1) | instskip(NEXT) | instid1(VALU_DEP_1)
	v_min_u32_e32 v3, 32, v3
	v_subrev_nc_u32_e32 v7, 28, v3
	s_delay_alu instid0(VALU_DEP_1) | instskip(NEXT) | instid1(VALU_DEP_1)
	v_lshlrev_b64_e32 v[8:9], v7, v[26:27]
	v_dual_sub_nc_u32 v3, 29, v3 :: v_dual_bitop2_b32 v18, 7, v8 bitop3:0x40
; %bb.2395:                             ;   in Loop: Header=BB355_1581 Depth=1
	s_or_b32 exec_lo, exec_lo, s17
	v_lshlrev_b32_e32 v6, 24, v6
	s_delay_alu instid0(VALU_DEP_2) | instskip(NEXT) | instid1(VALU_DEP_3)
	v_lshlrev_b32_e32 v7, 20, v18
	v_lshl_add_u32 v3, v3, 23, 0x3c000000
	s_delay_alu instid0(VALU_DEP_3) | instskip(NEXT) | instid1(VALU_DEP_1)
	v_and_b32_e32 v6, 0x80000000, v6
	v_or3_b32 v3, v7, v6, v3
.LBB355_2396:                           ;   in Loop: Header=BB355_1581 Depth=1
	s_or_b32 exec_lo, exec_lo, s16
.LBB355_2397:                           ;   in Loop: Header=BB355_1581 Depth=1
	s_delay_alu instid0(SALU_CYCLE_1)
	s_or_b32 exec_lo, exec_lo, s15
.LBB355_2398:                           ;   in Loop: Header=BB355_1581 Depth=1
	s_delay_alu instid0(SALU_CYCLE_1) | instskip(NEXT) | instid1(SALU_CYCLE_1)
	s_or_b32 exec_lo, exec_lo, s14
	s_mov_b32 s14, exec_lo
	v_cmpx_lt_u32_e32 0xffffff, v16
	s_cbranch_execz .LBB355_2406
; %bb.2399:                             ;   in Loop: Header=BB355_1581 Depth=1
	v_lshrrev_b32_e32 v6, 24, v16
	v_bfrev_b32_e32 v2, 1
	s_mov_b32 s15, exec_lo
	s_delay_alu instid0(VALU_DEP_2)
	v_cmpx_ne_u32_e32 0x80, v6
	s_cbranch_execz .LBB355_2405
; %bb.2400:                             ;   in Loop: Header=BB355_1581 Depth=1
	v_bfe_u32 v7, v16, 24, 7
	v_mov_b32_e32 v2, 0x7f800001
	s_mov_b32 s16, exec_lo
	s_delay_alu instid0(VALU_DEP_2)
	v_cmpx_ne_u32_e32 0x7f, v7
	s_cbranch_execz .LBB355_2404
; %bb.2401:                             ;   in Loop: Header=BB355_1581 Depth=1
	v_dual_lshrrev_b32 v2, 3, v7 :: v_dual_bitop2_b32 v26, 7, v6 bitop3:0x40
	s_mov_b32 s17, exec_lo
	s_delay_alu instid0(VALU_DEP_1)
	v_mov_b64_e32 v[18:19], v[26:27]
	v_cmpx_gt_u32_e32 8, v7
; %bb.2402:                             ;   in Loop: Header=BB355_1581 Depth=1
	v_clz_i32_u32_e32 v2, v26
	s_delay_alu instid0(VALU_DEP_1) | instskip(NEXT) | instid1(VALU_DEP_1)
	v_min_u32_e32 v2, 32, v2
	v_subrev_nc_u32_e32 v7, 28, v2
	s_delay_alu instid0(VALU_DEP_1) | instskip(NEXT) | instid1(VALU_DEP_1)
	v_lshlrev_b64_e32 v[8:9], v7, v[26:27]
	v_dual_sub_nc_u32 v2, 29, v2 :: v_dual_bitop2_b32 v18, 7, v8 bitop3:0x40
; %bb.2403:                             ;   in Loop: Header=BB355_1581 Depth=1
	s_or_b32 exec_lo, exec_lo, s17
	v_lshlrev_b32_e32 v6, 24, v6
	s_delay_alu instid0(VALU_DEP_2) | instskip(NEXT) | instid1(VALU_DEP_3)
	v_lshlrev_b32_e32 v7, 20, v18
	v_lshl_add_u32 v2, v2, 23, 0x3c000000
	s_delay_alu instid0(VALU_DEP_3) | instskip(NEXT) | instid1(VALU_DEP_1)
	v_and_b32_e32 v6, 0x80000000, v6
	v_or3_b32 v2, v7, v6, v2
.LBB355_2404:                           ;   in Loop: Header=BB355_1581 Depth=1
	s_or_b32 exec_lo, exec_lo, s16
.LBB355_2405:                           ;   in Loop: Header=BB355_1581 Depth=1
	s_delay_alu instid0(SALU_CYCLE_1)
	s_or_b32 exec_lo, exec_lo, s15
.LBB355_2406:                           ;   in Loop: Header=BB355_1581 Depth=1
	s_delay_alu instid0(SALU_CYCLE_1) | instskip(SKIP_4) | instid1(VALU_DEP_3)
	s_or_b32 exec_lo, exec_lo, s14
	v_and_b32_e32 v8, 0xff, v17
	v_dual_mov_b32 v26, v17 :: v_dual_mov_b32 v7, 0
	v_mov_b32_e32 v6, 0
	s_mov_b32 s14, exec_lo
	v_cmpx_ne_u16_e32 0, v8
	s_cbranch_execz .LBB355_2414
; %bb.2407:                             ;   in Loop: Header=BB355_1581 Depth=1
	v_bfrev_b32_e32 v6, 1
	s_mov_b32 s15, exec_lo
	v_cmpx_ne_u16_e32 0x80, v8
	s_cbranch_execz .LBB355_2413
; %bb.2408:                             ;   in Loop: Header=BB355_1581 Depth=1
	v_and_b32_e32 v8, 0x7f, v17
	v_mov_b32_e32 v6, 0x7f800001
	s_mov_b32 s16, exec_lo
	s_delay_alu instid0(VALU_DEP_2)
	v_cmpx_ne_u32_e32 0x7f, v8
	s_cbranch_execz .LBB355_2412
; %bb.2409:                             ;   in Loop: Header=BB355_1581 Depth=1
	v_mov_b64_e32 v[18:19], v[26:27]
	v_lshrrev_b32_e32 v6, 3, v8
	s_mov_b32 s17, exec_lo
	v_cmpx_gt_u32_e32 8, v8
; %bb.2410:                             ;   in Loop: Header=BB355_1581 Depth=1
	v_and_b32_e32 v6, 7, v17
	s_delay_alu instid0(VALU_DEP_1) | instskip(NEXT) | instid1(VALU_DEP_1)
	v_clz_i32_u32_e32 v6, v6
	v_min_u32_e32 v6, 32, v6
	s_delay_alu instid0(VALU_DEP_1) | instskip(SKIP_1) | instid1(VALU_DEP_2)
	v_subrev_nc_u32_e32 v8, 28, v6
	v_sub_nc_u32_e32 v6, 29, v6
	v_lshlrev_b64_e32 v[18:19], v8, v[26:27]
; %bb.2411:                             ;   in Loop: Header=BB355_1581 Depth=1
	s_or_b32 exec_lo, exec_lo, s17
	s_delay_alu instid0(VALU_DEP_1) | instskip(SKIP_2) | instid1(VALU_DEP_3)
	v_lshlrev_b32_e32 v8, 20, v18
	v_lshlrev_b32_e32 v9, 24, v26
	v_lshl_add_u32 v6, v6, 23, 0x3c000000
	v_and_b32_e32 v8, 0x700000, v8
	s_delay_alu instid0(VALU_DEP_3) | instskip(NEXT) | instid1(VALU_DEP_1)
	v_and_b32_e32 v9, 0x80000000, v9
	v_or3_b32 v6, v8, v9, v6
.LBB355_2412:                           ;   in Loop: Header=BB355_1581 Depth=1
	s_or_b32 exec_lo, exec_lo, s16
.LBB355_2413:                           ;   in Loop: Header=BB355_1581 Depth=1
	s_delay_alu instid0(SALU_CYCLE_1)
	s_or_b32 exec_lo, exec_lo, s15
.LBB355_2414:                           ;   in Loop: Header=BB355_1581 Depth=1
	s_delay_alu instid0(SALU_CYCLE_1) | instskip(SKIP_2) | instid1(VALU_DEP_1)
	s_or_b32 exec_lo, exec_lo, s14
	v_lshrrev_b16 v8, 8, v26
	s_mov_b32 s14, exec_lo
	v_cmpx_ne_u16_e32 0, v8
	s_cbranch_execz .LBB355_2422
; %bb.2415:                             ;   in Loop: Header=BB355_1581 Depth=1
	v_bfrev_b32_e32 v7, 1
	s_mov_b32 s15, exec_lo
	v_cmpx_ne_u16_e32 0x80, v8
	s_cbranch_execz .LBB355_2421
; %bb.2416:                             ;   in Loop: Header=BB355_1581 Depth=1
	v_and_b32_e32 v9, 0xffff, v8
	v_mov_b32_e32 v7, 0x7f800001
	s_mov_b32 s16, exec_lo
	s_delay_alu instid0(VALU_DEP_2) | instskip(NEXT) | instid1(VALU_DEP_1)
	v_and_b32_e32 v8, 0x7f, v9
	v_cmpx_ne_u32_e32 0x7f, v8
	s_cbranch_execz .LBB355_2420
; %bb.2417:                             ;   in Loop: Header=BB355_1581 Depth=1
	v_dual_mov_b32 v19, v27 :: v_dual_bitop2_b32 v18, 7, v9 bitop3:0x40
	v_lshrrev_b32_e32 v7, 3, v8
	s_mov_b32 s17, exec_lo
	v_cmpx_gt_u32_e32 8, v8
; %bb.2418:                             ;   in Loop: Header=BB355_1581 Depth=1
	s_delay_alu instid0(VALU_DEP_3) | instskip(NEXT) | instid1(VALU_DEP_1)
	v_clz_i32_u32_e32 v7, v18
	v_min_u32_e32 v7, 32, v7
	s_delay_alu instid0(VALU_DEP_1) | instskip(NEXT) | instid1(VALU_DEP_1)
	v_subrev_nc_u32_e32 v8, 28, v7
	v_lshlrev_b64_e32 v[8:9], v8, v[18:19]
	s_delay_alu instid0(VALU_DEP_1)
	v_dual_sub_nc_u32 v7, 29, v7 :: v_dual_bitop2_b32 v18, 7, v8 bitop3:0x40
; %bb.2419:                             ;   in Loop: Header=BB355_1581 Depth=1
	s_or_b32 exec_lo, exec_lo, s17
	v_lshlrev_b32_e32 v8, 16, v26
	s_delay_alu instid0(VALU_DEP_2) | instskip(NEXT) | instid1(VALU_DEP_3)
	v_lshlrev_b32_e32 v9, 20, v18
	v_lshl_add_u32 v7, v7, 23, 0x3c000000
	s_delay_alu instid0(VALU_DEP_3) | instskip(NEXT) | instid1(VALU_DEP_1)
	v_and_b32_e32 v8, 0x80000000, v8
	v_or3_b32 v7, v9, v8, v7
.LBB355_2420:                           ;   in Loop: Header=BB355_1581 Depth=1
	s_or_b32 exec_lo, exec_lo, s16
.LBB355_2421:                           ;   in Loop: Header=BB355_1581 Depth=1
	s_delay_alu instid0(SALU_CYCLE_1)
	s_or_b32 exec_lo, exec_lo, s15
.LBB355_2422:                           ;   in Loop: Header=BB355_1581 Depth=1
	s_delay_alu instid0(SALU_CYCLE_1) | instskip(SKIP_3) | instid1(VALU_DEP_2)
	s_or_b32 exec_lo, exec_lo, s14
	v_dual_lshrrev_b32 v10, 16, v17 :: v_dual_mov_b32 v8, 0
	v_mov_b32_e32 v9, 0
	s_mov_b32 s14, exec_lo
	v_and_b32_e32 v11, 0xff, v10
	s_delay_alu instid0(VALU_DEP_1)
	v_cmpx_ne_u16_e32 0, v11
	s_cbranch_execz .LBB355_2430
; %bb.2423:                             ;   in Loop: Header=BB355_1581 Depth=1
	v_bfrev_b32_e32 v9, 1
	s_mov_b32 s15, exec_lo
	v_cmpx_ne_u16_e32 0x80, v11
	s_cbranch_execz .LBB355_2429
; %bb.2424:                             ;   in Loop: Header=BB355_1581 Depth=1
	v_bfe_u32 v11, v17, 16, 7
	v_mov_b32_e32 v9, 0x7f800001
	s_mov_b32 s16, exec_lo
	s_delay_alu instid0(VALU_DEP_2)
	v_cmpx_ne_u32_e32 0x7f, v11
	s_cbranch_execz .LBB355_2428
; %bb.2425:                             ;   in Loop: Header=BB355_1581 Depth=1
	v_dual_lshrrev_b32 v9, 3, v11 :: v_dual_bitop2_b32 v26, 7, v10 bitop3:0x40
	s_mov_b32 s17, exec_lo
	s_delay_alu instid0(VALU_DEP_1)
	v_mov_b64_e32 v[18:19], v[26:27]
	v_cmpx_gt_u32_e32 8, v11
; %bb.2426:                             ;   in Loop: Header=BB355_1581 Depth=1
	v_clz_i32_u32_e32 v9, v26
	s_delay_alu instid0(VALU_DEP_1) | instskip(NEXT) | instid1(VALU_DEP_1)
	v_min_u32_e32 v9, 32, v9
	v_subrev_nc_u32_e32 v11, 28, v9
	s_delay_alu instid0(VALU_DEP_1) | instskip(NEXT) | instid1(VALU_DEP_1)
	v_lshlrev_b64_e32 v[12:13], v11, v[26:27]
	v_dual_sub_nc_u32 v9, 29, v9 :: v_dual_bitop2_b32 v18, 7, v12 bitop3:0x40
; %bb.2427:                             ;   in Loop: Header=BB355_1581 Depth=1
	s_or_b32 exec_lo, exec_lo, s17
	v_lshlrev_b32_e32 v10, 24, v10
	s_delay_alu instid0(VALU_DEP_2) | instskip(NEXT) | instid1(VALU_DEP_3)
	v_lshlrev_b32_e32 v11, 20, v18
	v_lshl_add_u32 v9, v9, 23, 0x3c000000
	s_delay_alu instid0(VALU_DEP_3) | instskip(NEXT) | instid1(VALU_DEP_1)
	v_and_b32_e32 v10, 0x80000000, v10
	v_or3_b32 v9, v11, v10, v9
.LBB355_2428:                           ;   in Loop: Header=BB355_1581 Depth=1
	s_or_b32 exec_lo, exec_lo, s16
.LBB355_2429:                           ;   in Loop: Header=BB355_1581 Depth=1
	s_delay_alu instid0(SALU_CYCLE_1)
	s_or_b32 exec_lo, exec_lo, s15
.LBB355_2430:                           ;   in Loop: Header=BB355_1581 Depth=1
	s_delay_alu instid0(SALU_CYCLE_1) | instskip(NEXT) | instid1(SALU_CYCLE_1)
	s_or_b32 exec_lo, exec_lo, s14
	s_mov_b32 s14, exec_lo
	v_cmpx_lt_u64_e64 s[2:3], v[16:17]
	s_cbranch_execz .LBB355_2438
; %bb.2431:                             ;   in Loop: Header=BB355_1581 Depth=1
	v_lshrrev_b32_e32 v10, 24, v17
	v_bfrev_b32_e32 v8, 1
	s_mov_b32 s15, exec_lo
	s_delay_alu instid0(VALU_DEP_2)
	v_cmpx_ne_u32_e32 0x80, v10
	s_cbranch_execz .LBB355_2437
; %bb.2432:                             ;   in Loop: Header=BB355_1581 Depth=1
	v_bfe_u32 v11, v17, 24, 7
	v_mov_b32_e32 v8, 0x7f800001
	s_mov_b32 s16, exec_lo
	s_delay_alu instid0(VALU_DEP_2)
	v_cmpx_ne_u32_e32 0x7f, v11
	s_cbranch_execz .LBB355_2436
; %bb.2433:                             ;   in Loop: Header=BB355_1581 Depth=1
	v_dual_lshrrev_b32 v8, 3, v11 :: v_dual_bitop2_b32 v26, 7, v10 bitop3:0x40
	s_mov_b32 s17, exec_lo
	s_delay_alu instid0(VALU_DEP_1)
	v_mov_b64_e32 v[16:17], v[26:27]
	v_cmpx_gt_u32_e32 8, v11
; %bb.2434:                             ;   in Loop: Header=BB355_1581 Depth=1
	v_clz_i32_u32_e32 v8, v26
	s_delay_alu instid0(VALU_DEP_1) | instskip(NEXT) | instid1(VALU_DEP_1)
	v_min_u32_e32 v8, 32, v8
	v_subrev_nc_u32_e32 v11, 28, v8
	v_sub_nc_u32_e32 v8, 29, v8
	s_delay_alu instid0(VALU_DEP_2) | instskip(NEXT) | instid1(VALU_DEP_1)
	v_lshlrev_b64_e32 v[12:13], v11, v[26:27]
	v_and_b32_e32 v16, 7, v12
; %bb.2435:                             ;   in Loop: Header=BB355_1581 Depth=1
	s_or_b32 exec_lo, exec_lo, s17
	s_delay_alu instid0(VALU_DEP_1) | instskip(SKIP_1) | instid1(VALU_DEP_2)
	v_dual_lshlrev_b32 v10, 24, v10 :: v_dual_lshlrev_b32 v11, 20, v16
	v_lshl_add_u32 v8, v8, 23, 0x3c000000
	v_and_b32_e32 v10, 0x80000000, v10
	s_delay_alu instid0(VALU_DEP_1)
	v_or3_b32 v8, v11, v10, v8
.LBB355_2436:                           ;   in Loop: Header=BB355_1581 Depth=1
	s_or_b32 exec_lo, exec_lo, s16
.LBB355_2437:                           ;   in Loop: Header=BB355_1581 Depth=1
	s_delay_alu instid0(SALU_CYCLE_1)
	s_or_b32 exec_lo, exec_lo, s15
.LBB355_2438:                           ;   in Loop: Header=BB355_1581 Depth=1
	s_delay_alu instid0(SALU_CYCLE_1)
	s_or_b32 exec_lo, exec_lo, s14
	v_fma_mixlo_bf16 v113, v116, v7, 0
	v_fma_mixlo_bf16 v114, v116, v6, 0
	;; [unrolled: 1-line block ×8, first 2 shown]
	s_and_saveexec_b32 s14, vcc_lo
	s_cbranch_execz .LBB355_2440
; %bb.2439:                             ;   in Loop: Header=BB355_1581 Depth=1
	v_cmp_lt_i32_e64 s0, v115, v119
	s_delay_alu instid0(VALU_DEP_1) | instskip(SKIP_1) | instid1(VALU_DEP_1)
	v_cndmask_b32_e64 v5, 0, v5, s0
	v_cmp_lt_i32_e64 s0, v59, v119
	v_cndmask_b32_e64 v4, 0, v4, s0
	v_cmp_lt_i32_e64 s0, v58, v119
	s_delay_alu instid0(VALU_DEP_1) | instskip(SKIP_1) | instid1(VALU_DEP_1)
	v_cndmask_b32_e64 v3, 0, v3, s0
	v_cmp_lt_i32_e64 s0, v57, v119
	v_cndmask_b32_e64 v2, 0, v2, s0
	;; [unrolled: 5-line block ×4, first 2 shown]
.LBB355_2440:                           ;   in Loop: Header=BB355_1581 Depth=1
	s_or_b32 exec_lo, exec_lo, s14
	flat_load_b64 v[16:17], v[0:1] offset:3328
	v_dual_mov_b32 v10, 0 :: v_dual_mov_b32 v8, 0
	s_mov_b32 s14, exec_lo
	s_wait_loadcnt_dscnt 0x0
	v_and_b32_e32 v6, 0xff, v16
	s_wait_xcnt 0x0
	s_delay_alu instid0(VALU_DEP_1)
	v_cmpx_ne_u16_e32 0, v6
	s_cbranch_execz .LBB355_2448
; %bb.2441:                             ;   in Loop: Header=BB355_1581 Depth=1
	v_bfrev_b32_e32 v8, 1
	s_mov_b32 s15, exec_lo
	v_cmpx_ne_u16_e32 0x80, v6
	s_cbranch_execz .LBB355_2447
; %bb.2442:                             ;   in Loop: Header=BB355_1581 Depth=1
	v_and_b32_e32 v7, 0x7f, v16
	v_mov_b32_e32 v8, 0x7f800001
	s_mov_b32 s16, exec_lo
	s_delay_alu instid0(VALU_DEP_2)
	v_cmpx_ne_u32_e32 0x7f, v7
	s_cbranch_execz .LBB355_2446
; %bb.2443:                             ;   in Loop: Header=BB355_1581 Depth=1
	v_mov_b64_e32 v[18:19], v[16:17]
	v_lshrrev_b32_e32 v6, 3, v7
	s_mov_b32 s17, exec_lo
	v_cmpx_gt_u32_e32 8, v7
; %bb.2444:                             ;   in Loop: Header=BB355_1581 Depth=1
	v_and_b32_e32 v6, 7, v16
	s_delay_alu instid0(VALU_DEP_1) | instskip(NEXT) | instid1(VALU_DEP_1)
	v_clz_i32_u32_e32 v6, v6
	v_min_u32_e32 v6, 32, v6
	s_delay_alu instid0(VALU_DEP_1) | instskip(SKIP_1) | instid1(VALU_DEP_2)
	v_subrev_nc_u32_e32 v7, 28, v6
	v_sub_nc_u32_e32 v6, 29, v6
	v_lshlrev_b64_e32 v[18:19], v7, v[16:17]
; %bb.2445:                             ;   in Loop: Header=BB355_1581 Depth=1
	s_or_b32 exec_lo, exec_lo, s17
	s_delay_alu instid0(VALU_DEP_1) | instskip(NEXT) | instid1(VALU_DEP_3)
	v_dual_lshlrev_b32 v7, 20, v18 :: v_dual_lshlrev_b32 v8, 24, v16
	v_lshl_add_u32 v6, v6, 23, 0x3c000000
	s_delay_alu instid0(VALU_DEP_2) | instskip(NEXT) | instid1(VALU_DEP_3)
	v_and_b32_e32 v7, 0x700000, v7
	v_and_b32_e32 v8, 0x80000000, v8
	s_delay_alu instid0(VALU_DEP_1)
	v_or3_b32 v8, v7, v8, v6
.LBB355_2446:                           ;   in Loop: Header=BB355_1581 Depth=1
	s_or_b32 exec_lo, exec_lo, s16
.LBB355_2447:                           ;   in Loop: Header=BB355_1581 Depth=1
	s_delay_alu instid0(SALU_CYCLE_1)
	s_or_b32 exec_lo, exec_lo, s15
.LBB355_2448:                           ;   in Loop: Header=BB355_1581 Depth=1
	s_delay_alu instid0(SALU_CYCLE_1) | instskip(SKIP_2) | instid1(VALU_DEP_1)
	s_or_b32 exec_lo, exec_lo, s14
	v_lshrrev_b16 v6, 8, v16
	s_mov_b32 s14, exec_lo
	v_cmpx_ne_u16_e32 0, v6
	s_cbranch_execz .LBB355_2456
; %bb.2449:                             ;   in Loop: Header=BB355_1581 Depth=1
	v_bfrev_b32_e32 v10, 1
	s_mov_b32 s15, exec_lo
	v_cmpx_ne_u16_e32 0x80, v6
	s_cbranch_execz .LBB355_2455
; %bb.2450:                             ;   in Loop: Header=BB355_1581 Depth=1
	v_and_b32_e32 v6, 0xffff, v6
	v_mov_b32_e32 v10, 0x7f800001
	s_mov_b32 s16, exec_lo
	s_delay_alu instid0(VALU_DEP_2) | instskip(NEXT) | instid1(VALU_DEP_1)
	v_and_b32_e32 v7, 0x7f, v6
	v_cmpx_ne_u32_e32 0x7f, v7
	s_cbranch_execz .LBB355_2454
; %bb.2451:                             ;   in Loop: Header=BB355_1581 Depth=1
	v_dual_lshrrev_b32 v6, 3, v7 :: v_dual_bitop2_b32 v26, 7, v6 bitop3:0x40
	s_mov_b32 s17, exec_lo
	s_delay_alu instid0(VALU_DEP_1)
	v_mov_b64_e32 v[18:19], v[26:27]
	v_cmpx_gt_u32_e32 8, v7
; %bb.2452:                             ;   in Loop: Header=BB355_1581 Depth=1
	v_clz_i32_u32_e32 v6, v26
	s_delay_alu instid0(VALU_DEP_1) | instskip(NEXT) | instid1(VALU_DEP_1)
	v_min_u32_e32 v6, 32, v6
	v_subrev_nc_u32_e32 v7, 28, v6
	v_sub_nc_u32_e32 v6, 29, v6
	s_delay_alu instid0(VALU_DEP_2) | instskip(NEXT) | instid1(VALU_DEP_1)
	v_lshlrev_b64_e32 v[10:11], v7, v[26:27]
	v_and_b32_e32 v18, 7, v10
; %bb.2453:                             ;   in Loop: Header=BB355_1581 Depth=1
	s_or_b32 exec_lo, exec_lo, s17
	s_delay_alu instid0(VALU_DEP_1) | instskip(SKIP_1) | instid1(VALU_DEP_2)
	v_dual_lshlrev_b32 v7, 16, v16 :: v_dual_lshlrev_b32 v9, 20, v18
	v_lshl_add_u32 v6, v6, 23, 0x3c000000
	v_and_b32_e32 v7, 0x80000000, v7
	s_delay_alu instid0(VALU_DEP_1)
	v_or3_b32 v10, v9, v7, v6
.LBB355_2454:                           ;   in Loop: Header=BB355_1581 Depth=1
	s_or_b32 exec_lo, exec_lo, s16
.LBB355_2455:                           ;   in Loop: Header=BB355_1581 Depth=1
	s_delay_alu instid0(SALU_CYCLE_1)
	s_or_b32 exec_lo, exec_lo, s15
.LBB355_2456:                           ;   in Loop: Header=BB355_1581 Depth=1
	s_delay_alu instid0(SALU_CYCLE_1) | instskip(SKIP_3) | instid1(VALU_DEP_2)
	s_or_b32 exec_lo, exec_lo, s14
	v_dual_mov_b32 v9, 0 :: v_dual_lshrrev_b32 v6, 16, v16
	v_mov_b32_e32 v11, 0
	s_mov_b32 s14, exec_lo
	v_and_b32_e32 v7, 0xff, v6
	s_delay_alu instid0(VALU_DEP_1)
	v_cmpx_ne_u16_e32 0, v7
	s_cbranch_execz .LBB355_2464
; %bb.2457:                             ;   in Loop: Header=BB355_1581 Depth=1
	v_bfrev_b32_e32 v11, 1
	s_mov_b32 s15, exec_lo
	v_cmpx_ne_u16_e32 0x80, v7
	s_cbranch_execz .LBB355_2463
; %bb.2458:                             ;   in Loop: Header=BB355_1581 Depth=1
	v_bfe_u32 v12, v16, 16, 7
	v_mov_b32_e32 v11, 0x7f800001
	s_mov_b32 s16, exec_lo
	s_delay_alu instid0(VALU_DEP_2)
	v_cmpx_ne_u32_e32 0x7f, v12
	s_cbranch_execz .LBB355_2462
; %bb.2459:                             ;   in Loop: Header=BB355_1581 Depth=1
	v_dual_lshrrev_b32 v7, 3, v12 :: v_dual_bitop2_b32 v26, 7, v6 bitop3:0x40
	s_mov_b32 s17, exec_lo
	s_delay_alu instid0(VALU_DEP_1)
	v_mov_b64_e32 v[18:19], v[26:27]
	v_cmpx_gt_u32_e32 8, v12
; %bb.2460:                             ;   in Loop: Header=BB355_1581 Depth=1
	v_clz_i32_u32_e32 v7, v26
	s_delay_alu instid0(VALU_DEP_1) | instskip(NEXT) | instid1(VALU_DEP_1)
	v_min_u32_e32 v7, 32, v7
	v_subrev_nc_u32_e32 v11, 28, v7
	s_delay_alu instid0(VALU_DEP_1) | instskip(NEXT) | instid1(VALU_DEP_1)
	v_lshlrev_b64_e32 v[12:13], v11, v[26:27]
	v_dual_sub_nc_u32 v7, 29, v7 :: v_dual_bitop2_b32 v18, 7, v12 bitop3:0x40
; %bb.2461:                             ;   in Loop: Header=BB355_1581 Depth=1
	s_or_b32 exec_lo, exec_lo, s17
	v_lshlrev_b32_e32 v6, 24, v6
	s_delay_alu instid0(VALU_DEP_2) | instskip(NEXT) | instid1(VALU_DEP_3)
	v_lshlrev_b32_e32 v11, 20, v18
	v_lshl_add_u32 v7, v7, 23, 0x3c000000
	s_delay_alu instid0(VALU_DEP_3) | instskip(NEXT) | instid1(VALU_DEP_1)
	v_and_b32_e32 v6, 0x80000000, v6
	v_or3_b32 v11, v11, v6, v7
.LBB355_2462:                           ;   in Loop: Header=BB355_1581 Depth=1
	s_or_b32 exec_lo, exec_lo, s16
.LBB355_2463:                           ;   in Loop: Header=BB355_1581 Depth=1
	s_delay_alu instid0(SALU_CYCLE_1)
	s_or_b32 exec_lo, exec_lo, s15
.LBB355_2464:                           ;   in Loop: Header=BB355_1581 Depth=1
	s_delay_alu instid0(SALU_CYCLE_1) | instskip(NEXT) | instid1(SALU_CYCLE_1)
	s_or_b32 exec_lo, exec_lo, s14
	s_mov_b32 s14, exec_lo
	v_cmpx_lt_u32_e32 0xffffff, v16
	s_cbranch_execz .LBB355_2472
; %bb.2465:                             ;   in Loop: Header=BB355_1581 Depth=1
	v_lshrrev_b32_e32 v6, 24, v16
	v_bfrev_b32_e32 v9, 1
	s_mov_b32 s15, exec_lo
	s_delay_alu instid0(VALU_DEP_2)
	v_cmpx_ne_u32_e32 0x80, v6
	s_cbranch_execz .LBB355_2471
; %bb.2466:                             ;   in Loop: Header=BB355_1581 Depth=1
	v_bfe_u32 v12, v16, 24, 7
	v_mov_b32_e32 v9, 0x7f800001
	s_mov_b32 s16, exec_lo
	s_delay_alu instid0(VALU_DEP_2)
	v_cmpx_ne_u32_e32 0x7f, v12
	s_cbranch_execz .LBB355_2470
; %bb.2467:                             ;   in Loop: Header=BB355_1581 Depth=1
	v_dual_lshrrev_b32 v7, 3, v12 :: v_dual_bitop2_b32 v26, 7, v6 bitop3:0x40
	s_mov_b32 s17, exec_lo
	s_delay_alu instid0(VALU_DEP_1)
	v_mov_b64_e32 v[18:19], v[26:27]
	v_cmpx_gt_u32_e32 8, v12
; %bb.2468:                             ;   in Loop: Header=BB355_1581 Depth=1
	v_clz_i32_u32_e32 v7, v26
	s_delay_alu instid0(VALU_DEP_1) | instskip(NEXT) | instid1(VALU_DEP_1)
	v_min_u32_e32 v7, 32, v7
	v_subrev_nc_u32_e32 v9, 28, v7
	s_delay_alu instid0(VALU_DEP_1) | instskip(NEXT) | instid1(VALU_DEP_1)
	v_lshlrev_b64_e32 v[12:13], v9, v[26:27]
	v_dual_sub_nc_u32 v7, 29, v7 :: v_dual_bitop2_b32 v18, 7, v12 bitop3:0x40
; %bb.2469:                             ;   in Loop: Header=BB355_1581 Depth=1
	s_or_b32 exec_lo, exec_lo, s17
	v_lshlrev_b32_e32 v6, 24, v6
	s_delay_alu instid0(VALU_DEP_2) | instskip(NEXT) | instid1(VALU_DEP_3)
	v_lshlrev_b32_e32 v9, 20, v18
	v_lshl_add_u32 v7, v7, 23, 0x3c000000
	s_delay_alu instid0(VALU_DEP_3) | instskip(NEXT) | instid1(VALU_DEP_1)
	v_and_b32_e32 v6, 0x80000000, v6
	v_or3_b32 v9, v9, v6, v7
.LBB355_2470:                           ;   in Loop: Header=BB355_1581 Depth=1
	s_or_b32 exec_lo, exec_lo, s16
.LBB355_2471:                           ;   in Loop: Header=BB355_1581 Depth=1
	s_delay_alu instid0(SALU_CYCLE_1)
	s_or_b32 exec_lo, exec_lo, s15
.LBB355_2472:                           ;   in Loop: Header=BB355_1581 Depth=1
	s_delay_alu instid0(SALU_CYCLE_1) | instskip(SKIP_4) | instid1(VALU_DEP_3)
	s_or_b32 exec_lo, exec_lo, s14
	v_and_b32_e32 v12, 0xff, v17
	v_dual_mov_b32 v26, v17 :: v_dual_mov_b32 v6, 0
	v_mov_b32_e32 v7, 0
	s_mov_b32 s14, exec_lo
	v_cmpx_ne_u16_e32 0, v12
	s_cbranch_execz .LBB355_2480
; %bb.2473:                             ;   in Loop: Header=BB355_1581 Depth=1
	v_bfrev_b32_e32 v7, 1
	s_mov_b32 s15, exec_lo
	v_cmpx_ne_u16_e32 0x80, v12
	s_cbranch_execz .LBB355_2479
; %bb.2474:                             ;   in Loop: Header=BB355_1581 Depth=1
	v_and_b32_e32 v12, 0x7f, v17
	v_mov_b32_e32 v7, 0x7f800001
	s_mov_b32 s16, exec_lo
	s_delay_alu instid0(VALU_DEP_2)
	v_cmpx_ne_u32_e32 0x7f, v12
	s_cbranch_execz .LBB355_2478
; %bb.2475:                             ;   in Loop: Header=BB355_1581 Depth=1
	v_mov_b64_e32 v[18:19], v[26:27]
	v_lshrrev_b32_e32 v7, 3, v12
	s_mov_b32 s17, exec_lo
	v_cmpx_gt_u32_e32 8, v12
; %bb.2476:                             ;   in Loop: Header=BB355_1581 Depth=1
	v_and_b32_e32 v7, 7, v17
	s_delay_alu instid0(VALU_DEP_1) | instskip(NEXT) | instid1(VALU_DEP_1)
	v_clz_i32_u32_e32 v7, v7
	v_min_u32_e32 v7, 32, v7
	s_delay_alu instid0(VALU_DEP_1) | instskip(SKIP_1) | instid1(VALU_DEP_2)
	v_subrev_nc_u32_e32 v12, 28, v7
	v_sub_nc_u32_e32 v7, 29, v7
	v_lshlrev_b64_e32 v[18:19], v12, v[26:27]
; %bb.2477:                             ;   in Loop: Header=BB355_1581 Depth=1
	s_or_b32 exec_lo, exec_lo, s17
	s_delay_alu instid0(VALU_DEP_1) | instskip(SKIP_2) | instid1(VALU_DEP_3)
	v_lshlrev_b32_e32 v12, 20, v18
	v_lshlrev_b32_e32 v13, 24, v26
	v_lshl_add_u32 v7, v7, 23, 0x3c000000
	v_and_b32_e32 v12, 0x700000, v12
	s_delay_alu instid0(VALU_DEP_3) | instskip(NEXT) | instid1(VALU_DEP_1)
	v_and_b32_e32 v13, 0x80000000, v13
	v_or3_b32 v7, v12, v13, v7
.LBB355_2478:                           ;   in Loop: Header=BB355_1581 Depth=1
	s_or_b32 exec_lo, exec_lo, s16
.LBB355_2479:                           ;   in Loop: Header=BB355_1581 Depth=1
	s_delay_alu instid0(SALU_CYCLE_1)
	s_or_b32 exec_lo, exec_lo, s15
.LBB355_2480:                           ;   in Loop: Header=BB355_1581 Depth=1
	s_delay_alu instid0(SALU_CYCLE_1) | instskip(SKIP_2) | instid1(VALU_DEP_1)
	s_or_b32 exec_lo, exec_lo, s14
	v_lshrrev_b16 v12, 8, v26
	s_mov_b32 s14, exec_lo
	v_cmpx_ne_u16_e32 0, v12
	s_cbranch_execz .LBB355_2488
; %bb.2481:                             ;   in Loop: Header=BB355_1581 Depth=1
	v_bfrev_b32_e32 v6, 1
	s_mov_b32 s15, exec_lo
	v_cmpx_ne_u16_e32 0x80, v12
	s_cbranch_execz .LBB355_2487
; %bb.2482:                             ;   in Loop: Header=BB355_1581 Depth=1
	v_and_b32_e32 v13, 0xffff, v12
	v_mov_b32_e32 v6, 0x7f800001
	s_mov_b32 s16, exec_lo
	s_delay_alu instid0(VALU_DEP_2) | instskip(NEXT) | instid1(VALU_DEP_1)
	v_and_b32_e32 v12, 0x7f, v13
	v_cmpx_ne_u32_e32 0x7f, v12
	s_cbranch_execz .LBB355_2486
; %bb.2483:                             ;   in Loop: Header=BB355_1581 Depth=1
	v_dual_mov_b32 v19, v27 :: v_dual_bitop2_b32 v18, 7, v13 bitop3:0x40
	v_lshrrev_b32_e32 v6, 3, v12
	s_mov_b32 s17, exec_lo
	v_cmpx_gt_u32_e32 8, v12
; %bb.2484:                             ;   in Loop: Header=BB355_1581 Depth=1
	s_delay_alu instid0(VALU_DEP_3) | instskip(NEXT) | instid1(VALU_DEP_1)
	v_clz_i32_u32_e32 v6, v18
	v_min_u32_e32 v6, 32, v6
	s_delay_alu instid0(VALU_DEP_1) | instskip(NEXT) | instid1(VALU_DEP_1)
	v_subrev_nc_u32_e32 v12, 28, v6
	v_lshlrev_b64_e32 v[12:13], v12, v[18:19]
	s_delay_alu instid0(VALU_DEP_1)
	v_dual_sub_nc_u32 v6, 29, v6 :: v_dual_bitop2_b32 v18, 7, v12 bitop3:0x40
; %bb.2485:                             ;   in Loop: Header=BB355_1581 Depth=1
	s_or_b32 exec_lo, exec_lo, s17
	v_lshlrev_b32_e32 v12, 16, v26
	s_delay_alu instid0(VALU_DEP_2) | instskip(NEXT) | instid1(VALU_DEP_3)
	v_lshlrev_b32_e32 v13, 20, v18
	v_lshl_add_u32 v6, v6, 23, 0x3c000000
	s_delay_alu instid0(VALU_DEP_3) | instskip(NEXT) | instid1(VALU_DEP_1)
	v_and_b32_e32 v12, 0x80000000, v12
	v_or3_b32 v6, v13, v12, v6
.LBB355_2486:                           ;   in Loop: Header=BB355_1581 Depth=1
	s_or_b32 exec_lo, exec_lo, s16
.LBB355_2487:                           ;   in Loop: Header=BB355_1581 Depth=1
	s_delay_alu instid0(SALU_CYCLE_1)
	s_or_b32 exec_lo, exec_lo, s15
.LBB355_2488:                           ;   in Loop: Header=BB355_1581 Depth=1
	s_delay_alu instid0(SALU_CYCLE_1) | instskip(SKIP_3) | instid1(VALU_DEP_2)
	s_or_b32 exec_lo, exec_lo, s14
	v_dual_lshrrev_b32 v14, 16, v17 :: v_dual_mov_b32 v12, 0
	v_mov_b32_e32 v13, 0
	s_mov_b32 s14, exec_lo
	v_and_b32_e32 v15, 0xff, v14
	s_delay_alu instid0(VALU_DEP_1)
	v_cmpx_ne_u16_e32 0, v15
	s_cbranch_execz .LBB355_2496
; %bb.2489:                             ;   in Loop: Header=BB355_1581 Depth=1
	v_bfrev_b32_e32 v13, 1
	s_mov_b32 s15, exec_lo
	v_cmpx_ne_u16_e32 0x80, v15
	s_cbranch_execz .LBB355_2495
; %bb.2490:                             ;   in Loop: Header=BB355_1581 Depth=1
	v_bfe_u32 v15, v17, 16, 7
	v_mov_b32_e32 v13, 0x7f800001
	s_mov_b32 s16, exec_lo
	s_delay_alu instid0(VALU_DEP_2)
	v_cmpx_ne_u32_e32 0x7f, v15
	s_cbranch_execz .LBB355_2494
; %bb.2491:                             ;   in Loop: Header=BB355_1581 Depth=1
	v_dual_lshrrev_b32 v13, 3, v15 :: v_dual_bitop2_b32 v26, 7, v14 bitop3:0x40
	s_mov_b32 s17, exec_lo
	s_delay_alu instid0(VALU_DEP_1)
	v_mov_b64_e32 v[18:19], v[26:27]
	v_cmpx_gt_u32_e32 8, v15
; %bb.2492:                             ;   in Loop: Header=BB355_1581 Depth=1
	v_clz_i32_u32_e32 v13, v26
	s_delay_alu instid0(VALU_DEP_1) | instskip(NEXT) | instid1(VALU_DEP_1)
	v_min_u32_e32 v13, 32, v13
	v_subrev_nc_u32_e32 v15, 28, v13
	s_delay_alu instid0(VALU_DEP_1) | instskip(NEXT) | instid1(VALU_DEP_1)
	v_lshlrev_b64_e32 v[18:19], v15, v[26:27]
	v_dual_sub_nc_u32 v13, 29, v13 :: v_dual_bitop2_b32 v18, 7, v18 bitop3:0x40
; %bb.2493:                             ;   in Loop: Header=BB355_1581 Depth=1
	s_or_b32 exec_lo, exec_lo, s17
	v_lshlrev_b32_e32 v14, 24, v14
	s_delay_alu instid0(VALU_DEP_2) | instskip(NEXT) | instid1(VALU_DEP_3)
	v_lshlrev_b32_e32 v15, 20, v18
	v_lshl_add_u32 v13, v13, 23, 0x3c000000
	s_delay_alu instid0(VALU_DEP_3) | instskip(NEXT) | instid1(VALU_DEP_1)
	v_and_b32_e32 v14, 0x80000000, v14
	v_or3_b32 v13, v15, v14, v13
.LBB355_2494:                           ;   in Loop: Header=BB355_1581 Depth=1
	s_or_b32 exec_lo, exec_lo, s16
.LBB355_2495:                           ;   in Loop: Header=BB355_1581 Depth=1
	s_delay_alu instid0(SALU_CYCLE_1)
	s_or_b32 exec_lo, exec_lo, s15
.LBB355_2496:                           ;   in Loop: Header=BB355_1581 Depth=1
	s_delay_alu instid0(SALU_CYCLE_1) | instskip(NEXT) | instid1(SALU_CYCLE_1)
	s_or_b32 exec_lo, exec_lo, s14
	s_mov_b32 s14, exec_lo
	v_cmpx_lt_u64_e64 s[2:3], v[16:17]
	s_cbranch_execz .LBB355_2504
; %bb.2497:                             ;   in Loop: Header=BB355_1581 Depth=1
	v_lshrrev_b32_e32 v14, 24, v17
	v_bfrev_b32_e32 v12, 1
	s_mov_b32 s15, exec_lo
	s_delay_alu instid0(VALU_DEP_2)
	v_cmpx_ne_u32_e32 0x80, v14
	s_cbranch_execz .LBB355_2503
; %bb.2498:                             ;   in Loop: Header=BB355_1581 Depth=1
	v_bfe_u32 v15, v17, 24, 7
	v_mov_b32_e32 v12, 0x7f800001
	s_mov_b32 s16, exec_lo
	s_delay_alu instid0(VALU_DEP_2)
	v_cmpx_ne_u32_e32 0x7f, v15
	s_cbranch_execz .LBB355_2502
; %bb.2499:                             ;   in Loop: Header=BB355_1581 Depth=1
	v_dual_lshrrev_b32 v12, 3, v15 :: v_dual_bitop2_b32 v26, 7, v14 bitop3:0x40
	s_mov_b32 s17, exec_lo
	s_delay_alu instid0(VALU_DEP_1)
	v_mov_b64_e32 v[16:17], v[26:27]
	v_cmpx_gt_u32_e32 8, v15
; %bb.2500:                             ;   in Loop: Header=BB355_1581 Depth=1
	v_clz_i32_u32_e32 v12, v26
	s_delay_alu instid0(VALU_DEP_1) | instskip(NEXT) | instid1(VALU_DEP_1)
	v_min_u32_e32 v12, 32, v12
	v_subrev_nc_u32_e32 v15, 28, v12
	v_sub_nc_u32_e32 v12, 29, v12
	s_delay_alu instid0(VALU_DEP_2) | instskip(NEXT) | instid1(VALU_DEP_1)
	v_lshlrev_b64_e32 v[16:17], v15, v[26:27]
	v_and_b32_e32 v16, 7, v16
; %bb.2501:                             ;   in Loop: Header=BB355_1581 Depth=1
	s_or_b32 exec_lo, exec_lo, s17
	s_delay_alu instid0(VALU_DEP_1) | instskip(SKIP_1) | instid1(VALU_DEP_2)
	v_dual_lshlrev_b32 v14, 24, v14 :: v_dual_lshlrev_b32 v15, 20, v16
	v_lshl_add_u32 v12, v12, 23, 0x3c000000
	v_and_b32_e32 v14, 0x80000000, v14
	s_delay_alu instid0(VALU_DEP_1)
	v_or3_b32 v12, v15, v14, v12
.LBB355_2502:                           ;   in Loop: Header=BB355_1581 Depth=1
	s_or_b32 exec_lo, exec_lo, s16
.LBB355_2503:                           ;   in Loop: Header=BB355_1581 Depth=1
	s_delay_alu instid0(SALU_CYCLE_1)
	s_or_b32 exec_lo, exec_lo, s15
.LBB355_2504:                           ;   in Loop: Header=BB355_1581 Depth=1
	s_delay_alu instid0(SALU_CYCLE_1)
	s_or_b32 exec_lo, exec_lo, s14
	v_fma_mixlo_bf16 v6, v116, v6, 0
	v_fma_mixlo_bf16 v7, v116, v7, 0
	;; [unrolled: 1-line block ×8, first 2 shown]
	s_and_saveexec_b32 s14, vcc_lo
	s_cbranch_execz .LBB355_2506
; %bb.2505:                             ;   in Loop: Header=BB355_1581 Depth=1
	v_cmp_lt_i32_e64 s0, v115, v119
	s_delay_alu instid0(VALU_DEP_1) | instskip(SKIP_1) | instid1(VALU_DEP_1)
	v_cndmask_b32_e64 v40, 0, v40, s0
	v_cmp_lt_i32_e64 s0, v59, v119
	v_cndmask_b32_e64 v62, 0, v62, s0
	v_cmp_lt_i32_e64 s0, v58, v119
	s_delay_alu instid0(VALU_DEP_1) | instskip(SKIP_1) | instid1(VALU_DEP_1)
	v_cndmask_b32_e64 v118, 0, v118, s0
	v_cmp_lt_i32_e64 s0, v57, v119
	v_cndmask_b32_e64 v9, 0, v9, s0
	;; [unrolled: 5-line block ×4, first 2 shown]
.LBB355_2506:                           ;   in Loop: Header=BB355_1581 Depth=1
	s_or_b32 exec_lo, exec_lo, s14
	flat_load_b64 v[16:17], v[0:1] offset:3584
	v_dual_mov_b32 v11, 0 :: v_dual_mov_b32 v10, 0
	s_mov_b32 s14, exec_lo
	s_wait_loadcnt_dscnt 0x0
	v_and_b32_e32 v12, 0xff, v16
	s_wait_xcnt 0x0
	s_delay_alu instid0(VALU_DEP_1)
	v_cmpx_ne_u16_e32 0, v12
	s_cbranch_execz .LBB355_2514
; %bb.2507:                             ;   in Loop: Header=BB355_1581 Depth=1
	v_bfrev_b32_e32 v10, 1
	s_mov_b32 s15, exec_lo
	v_cmpx_ne_u16_e32 0x80, v12
	s_cbranch_execz .LBB355_2513
; %bb.2508:                             ;   in Loop: Header=BB355_1581 Depth=1
	v_and_b32_e32 v12, 0x7f, v16
	v_mov_b32_e32 v10, 0x7f800001
	s_mov_b32 s16, exec_lo
	s_delay_alu instid0(VALU_DEP_2)
	v_cmpx_ne_u32_e32 0x7f, v12
	s_cbranch_execz .LBB355_2512
; %bb.2509:                             ;   in Loop: Header=BB355_1581 Depth=1
	v_mov_b64_e32 v[18:19], v[16:17]
	v_lshrrev_b32_e32 v10, 3, v12
	s_mov_b32 s17, exec_lo
	v_cmpx_gt_u32_e32 8, v12
; %bb.2510:                             ;   in Loop: Header=BB355_1581 Depth=1
	v_and_b32_e32 v10, 7, v16
	s_delay_alu instid0(VALU_DEP_1) | instskip(NEXT) | instid1(VALU_DEP_1)
	v_clz_i32_u32_e32 v10, v10
	v_min_u32_e32 v10, 32, v10
	s_delay_alu instid0(VALU_DEP_1) | instskip(SKIP_1) | instid1(VALU_DEP_2)
	v_subrev_nc_u32_e32 v12, 28, v10
	v_sub_nc_u32_e32 v10, 29, v10
	v_lshlrev_b64_e32 v[18:19], v12, v[16:17]
; %bb.2511:                             ;   in Loop: Header=BB355_1581 Depth=1
	s_or_b32 exec_lo, exec_lo, s17
	s_delay_alu instid0(VALU_DEP_1) | instskip(NEXT) | instid1(VALU_DEP_3)
	v_dual_lshlrev_b32 v12, 20, v18 :: v_dual_lshlrev_b32 v13, 24, v16
	v_lshl_add_u32 v10, v10, 23, 0x3c000000
	s_delay_alu instid0(VALU_DEP_2) | instskip(NEXT) | instid1(VALU_DEP_3)
	v_and_b32_e32 v12, 0x700000, v12
	v_and_b32_e32 v13, 0x80000000, v13
	s_delay_alu instid0(VALU_DEP_1)
	v_or3_b32 v10, v12, v13, v10
.LBB355_2512:                           ;   in Loop: Header=BB355_1581 Depth=1
	s_or_b32 exec_lo, exec_lo, s16
.LBB355_2513:                           ;   in Loop: Header=BB355_1581 Depth=1
	s_delay_alu instid0(SALU_CYCLE_1)
	s_or_b32 exec_lo, exec_lo, s15
.LBB355_2514:                           ;   in Loop: Header=BB355_1581 Depth=1
	s_delay_alu instid0(SALU_CYCLE_1) | instskip(SKIP_2) | instid1(VALU_DEP_1)
	s_or_b32 exec_lo, exec_lo, s14
	v_lshrrev_b16 v12, 8, v16
	s_mov_b32 s14, exec_lo
	v_cmpx_ne_u16_e32 0, v12
	s_cbranch_execz .LBB355_2522
; %bb.2515:                             ;   in Loop: Header=BB355_1581 Depth=1
	v_bfrev_b32_e32 v11, 1
	s_mov_b32 s15, exec_lo
	v_cmpx_ne_u16_e32 0x80, v12
	s_cbranch_execz .LBB355_2521
; %bb.2516:                             ;   in Loop: Header=BB355_1581 Depth=1
	v_and_b32_e32 v13, 0xffff, v12
	v_mov_b32_e32 v11, 0x7f800001
	s_mov_b32 s16, exec_lo
	s_delay_alu instid0(VALU_DEP_2) | instskip(NEXT) | instid1(VALU_DEP_1)
	v_and_b32_e32 v12, 0x7f, v13
	v_cmpx_ne_u32_e32 0x7f, v12
	s_cbranch_execz .LBB355_2520
; %bb.2517:                             ;   in Loop: Header=BB355_1581 Depth=1
	v_dual_lshrrev_b32 v11, 3, v12 :: v_dual_bitop2_b32 v26, 7, v13 bitop3:0x40
	s_mov_b32 s17, exec_lo
	s_delay_alu instid0(VALU_DEP_1)
	v_mov_b64_e32 v[18:19], v[26:27]
	v_cmpx_gt_u32_e32 8, v12
; %bb.2518:                             ;   in Loop: Header=BB355_1581 Depth=1
	v_clz_i32_u32_e32 v11, v26
	s_delay_alu instid0(VALU_DEP_1) | instskip(NEXT) | instid1(VALU_DEP_1)
	v_min_u32_e32 v11, 32, v11
	v_subrev_nc_u32_e32 v12, 28, v11
	s_delay_alu instid0(VALU_DEP_1) | instskip(NEXT) | instid1(VALU_DEP_1)
	v_lshlrev_b64_e32 v[12:13], v12, v[26:27]
	v_dual_sub_nc_u32 v11, 29, v11 :: v_dual_bitop2_b32 v18, 7, v12 bitop3:0x40
; %bb.2519:                             ;   in Loop: Header=BB355_1581 Depth=1
	s_or_b32 exec_lo, exec_lo, s17
	s_delay_alu instid0(VALU_DEP_1) | instskip(NEXT) | instid1(VALU_DEP_2)
	v_dual_lshlrev_b32 v12, 16, v16 :: v_dual_lshlrev_b32 v13, 20, v18
	v_lshl_add_u32 v11, v11, 23, 0x3c000000
	s_delay_alu instid0(VALU_DEP_2) | instskip(NEXT) | instid1(VALU_DEP_1)
	v_and_b32_e32 v12, 0x80000000, v12
	v_or3_b32 v11, v13, v12, v11
.LBB355_2520:                           ;   in Loop: Header=BB355_1581 Depth=1
	s_or_b32 exec_lo, exec_lo, s16
.LBB355_2521:                           ;   in Loop: Header=BB355_1581 Depth=1
	s_delay_alu instid0(SALU_CYCLE_1)
	s_or_b32 exec_lo, exec_lo, s15
.LBB355_2522:                           ;   in Loop: Header=BB355_1581 Depth=1
	s_delay_alu instid0(SALU_CYCLE_1) | instskip(SKIP_3) | instid1(VALU_DEP_2)
	s_or_b32 exec_lo, exec_lo, s14
	v_dual_mov_b32 v13, 0 :: v_dual_lshrrev_b32 v14, 16, v16
	v_mov_b32_e32 v12, 0
	s_mov_b32 s14, exec_lo
	v_and_b32_e32 v15, 0xff, v14
	s_delay_alu instid0(VALU_DEP_1)
	v_cmpx_ne_u16_e32 0, v15
	s_cbranch_execz .LBB355_2530
; %bb.2523:                             ;   in Loop: Header=BB355_1581 Depth=1
	v_bfrev_b32_e32 v12, 1
	s_mov_b32 s15, exec_lo
	v_cmpx_ne_u16_e32 0x80, v15
	s_cbranch_execz .LBB355_2529
; %bb.2524:                             ;   in Loop: Header=BB355_1581 Depth=1
	v_bfe_u32 v15, v16, 16, 7
	v_mov_b32_e32 v12, 0x7f800001
	s_mov_b32 s16, exec_lo
	s_delay_alu instid0(VALU_DEP_2)
	v_cmpx_ne_u32_e32 0x7f, v15
	s_cbranch_execz .LBB355_2528
; %bb.2525:                             ;   in Loop: Header=BB355_1581 Depth=1
	v_dual_lshrrev_b32 v12, 3, v15 :: v_dual_bitop2_b32 v26, 7, v14 bitop3:0x40
	s_mov_b32 s17, exec_lo
	s_delay_alu instid0(VALU_DEP_1)
	v_mov_b64_e32 v[18:19], v[26:27]
	v_cmpx_gt_u32_e32 8, v15
; %bb.2526:                             ;   in Loop: Header=BB355_1581 Depth=1
	v_clz_i32_u32_e32 v12, v26
	s_delay_alu instid0(VALU_DEP_1) | instskip(NEXT) | instid1(VALU_DEP_1)
	v_min_u32_e32 v12, 32, v12
	v_subrev_nc_u32_e32 v15, 28, v12
	s_delay_alu instid0(VALU_DEP_1) | instskip(NEXT) | instid1(VALU_DEP_1)
	v_lshlrev_b64_e32 v[18:19], v15, v[26:27]
	v_dual_sub_nc_u32 v12, 29, v12 :: v_dual_bitop2_b32 v18, 7, v18 bitop3:0x40
; %bb.2527:                             ;   in Loop: Header=BB355_1581 Depth=1
	s_or_b32 exec_lo, exec_lo, s17
	v_lshlrev_b32_e32 v14, 24, v14
	s_delay_alu instid0(VALU_DEP_2) | instskip(NEXT) | instid1(VALU_DEP_3)
	v_lshlrev_b32_e32 v15, 20, v18
	v_lshl_add_u32 v12, v12, 23, 0x3c000000
	s_delay_alu instid0(VALU_DEP_3) | instskip(NEXT) | instid1(VALU_DEP_1)
	v_and_b32_e32 v14, 0x80000000, v14
	v_or3_b32 v12, v15, v14, v12
.LBB355_2528:                           ;   in Loop: Header=BB355_1581 Depth=1
	s_or_b32 exec_lo, exec_lo, s16
.LBB355_2529:                           ;   in Loop: Header=BB355_1581 Depth=1
	s_delay_alu instid0(SALU_CYCLE_1)
	s_or_b32 exec_lo, exec_lo, s15
.LBB355_2530:                           ;   in Loop: Header=BB355_1581 Depth=1
	s_delay_alu instid0(SALU_CYCLE_1) | instskip(NEXT) | instid1(SALU_CYCLE_1)
	s_or_b32 exec_lo, exec_lo, s14
	s_mov_b32 s14, exec_lo
	v_cmpx_lt_u32_e32 0xffffff, v16
	s_cbranch_execz .LBB355_2538
; %bb.2531:                             ;   in Loop: Header=BB355_1581 Depth=1
	v_lshrrev_b32_e32 v14, 24, v16
	v_bfrev_b32_e32 v13, 1
	s_mov_b32 s15, exec_lo
	s_delay_alu instid0(VALU_DEP_2)
	v_cmpx_ne_u32_e32 0x80, v14
	s_cbranch_execz .LBB355_2537
; %bb.2532:                             ;   in Loop: Header=BB355_1581 Depth=1
	v_bfe_u32 v15, v16, 24, 7
	v_mov_b32_e32 v13, 0x7f800001
	s_mov_b32 s16, exec_lo
	s_delay_alu instid0(VALU_DEP_2)
	v_cmpx_ne_u32_e32 0x7f, v15
	s_cbranch_execz .LBB355_2536
; %bb.2533:                             ;   in Loop: Header=BB355_1581 Depth=1
	v_dual_lshrrev_b32 v13, 3, v15 :: v_dual_bitop2_b32 v26, 7, v14 bitop3:0x40
	s_mov_b32 s17, exec_lo
	s_delay_alu instid0(VALU_DEP_1)
	v_mov_b64_e32 v[18:19], v[26:27]
	v_cmpx_gt_u32_e32 8, v15
; %bb.2534:                             ;   in Loop: Header=BB355_1581 Depth=1
	v_clz_i32_u32_e32 v13, v26
	s_delay_alu instid0(VALU_DEP_1) | instskip(NEXT) | instid1(VALU_DEP_1)
	v_min_u32_e32 v13, 32, v13
	v_subrev_nc_u32_e32 v15, 28, v13
	s_delay_alu instid0(VALU_DEP_1) | instskip(NEXT) | instid1(VALU_DEP_1)
	v_lshlrev_b64_e32 v[18:19], v15, v[26:27]
	v_dual_sub_nc_u32 v13, 29, v13 :: v_dual_bitop2_b32 v18, 7, v18 bitop3:0x40
; %bb.2535:                             ;   in Loop: Header=BB355_1581 Depth=1
	s_or_b32 exec_lo, exec_lo, s17
	v_lshlrev_b32_e32 v14, 24, v14
	s_delay_alu instid0(VALU_DEP_2) | instskip(NEXT) | instid1(VALU_DEP_3)
	v_lshlrev_b32_e32 v15, 20, v18
	v_lshl_add_u32 v13, v13, 23, 0x3c000000
	s_delay_alu instid0(VALU_DEP_3) | instskip(NEXT) | instid1(VALU_DEP_1)
	v_and_b32_e32 v14, 0x80000000, v14
	v_or3_b32 v13, v15, v14, v13
.LBB355_2536:                           ;   in Loop: Header=BB355_1581 Depth=1
	s_or_b32 exec_lo, exec_lo, s16
.LBB355_2537:                           ;   in Loop: Header=BB355_1581 Depth=1
	s_delay_alu instid0(SALU_CYCLE_1)
	s_or_b32 exec_lo, exec_lo, s15
.LBB355_2538:                           ;   in Loop: Header=BB355_1581 Depth=1
	s_delay_alu instid0(SALU_CYCLE_1) | instskip(SKIP_4) | instid1(VALU_DEP_3)
	s_or_b32 exec_lo, exec_lo, s14
	v_and_b32_e32 v18, 0xff, v17
	v_dual_mov_b32 v26, v17 :: v_dual_mov_b32 v15, 0
	v_mov_b32_e32 v14, 0
	s_mov_b32 s14, exec_lo
	v_cmpx_ne_u16_e32 0, v18
	s_cbranch_execz .LBB355_2546
; %bb.2539:                             ;   in Loop: Header=BB355_1581 Depth=1
	v_bfrev_b32_e32 v14, 1
	s_mov_b32 s15, exec_lo
	v_cmpx_ne_u16_e32 0x80, v18
	s_cbranch_execz .LBB355_2545
; %bb.2540:                             ;   in Loop: Header=BB355_1581 Depth=1
	v_and_b32_e32 v18, 0x7f, v17
	v_mov_b32_e32 v14, 0x7f800001
	s_mov_b32 s16, exec_lo
	s_delay_alu instid0(VALU_DEP_2)
	v_cmpx_ne_u32_e32 0x7f, v18
	s_cbranch_execz .LBB355_2544
; %bb.2541:                             ;   in Loop: Header=BB355_1581 Depth=1
	v_lshrrev_b32_e32 v14, 3, v18
	v_cmp_gt_u32_e64 s0, 8, v18
	v_mov_b64_e32 v[18:19], v[26:27]
	s_and_saveexec_b32 s17, s0
; %bb.2542:                             ;   in Loop: Header=BB355_1581 Depth=1
	v_and_b32_e32 v14, 7, v17
	s_delay_alu instid0(VALU_DEP_1) | instskip(NEXT) | instid1(VALU_DEP_1)
	v_clz_i32_u32_e32 v14, v14
	v_min_u32_e32 v14, 32, v14
	s_delay_alu instid0(VALU_DEP_1) | instskip(SKIP_1) | instid1(VALU_DEP_2)
	v_subrev_nc_u32_e32 v18, 28, v14
	v_sub_nc_u32_e32 v14, 29, v14
	v_lshlrev_b64_e32 v[18:19], v18, v[26:27]
; %bb.2543:                             ;   in Loop: Header=BB355_1581 Depth=1
	s_or_b32 exec_lo, exec_lo, s17
	s_delay_alu instid0(VALU_DEP_1) | instskip(SKIP_2) | instid1(VALU_DEP_3)
	v_lshlrev_b32_e32 v18, 20, v18
	v_lshlrev_b32_e32 v19, 24, v26
	v_lshl_add_u32 v14, v14, 23, 0x3c000000
	v_and_b32_e32 v18, 0x700000, v18
	s_delay_alu instid0(VALU_DEP_3) | instskip(NEXT) | instid1(VALU_DEP_1)
	v_and_b32_e32 v19, 0x80000000, v19
	v_or3_b32 v14, v18, v19, v14
.LBB355_2544:                           ;   in Loop: Header=BB355_1581 Depth=1
	s_or_b32 exec_lo, exec_lo, s16
.LBB355_2545:                           ;   in Loop: Header=BB355_1581 Depth=1
	s_delay_alu instid0(SALU_CYCLE_1)
	s_or_b32 exec_lo, exec_lo, s15
.LBB355_2546:                           ;   in Loop: Header=BB355_1581 Depth=1
	s_delay_alu instid0(SALU_CYCLE_1) | instskip(SKIP_2) | instid1(VALU_DEP_1)
	s_or_b32 exec_lo, exec_lo, s14
	v_lshrrev_b16 v18, 8, v26
	s_mov_b32 s14, exec_lo
	v_cmpx_ne_u16_e32 0, v18
	s_cbranch_execz .LBB355_2554
; %bb.2547:                             ;   in Loop: Header=BB355_1581 Depth=1
	v_bfrev_b32_e32 v15, 1
	s_mov_b32 s15, exec_lo
	v_cmpx_ne_u16_e32 0x80, v18
	s_cbranch_execz .LBB355_2553
; %bb.2548:                             ;   in Loop: Header=BB355_1581 Depth=1
	v_and_b32_e32 v18, 0xffff, v18
	v_mov_b32_e32 v15, 0x7f800001
	s_mov_b32 s16, exec_lo
	s_delay_alu instid0(VALU_DEP_2) | instskip(NEXT) | instid1(VALU_DEP_1)
	v_and_b32_e32 v20, 0x7f, v18
	v_cmpx_ne_u32_e32 0x7f, v20
	s_cbranch_execz .LBB355_2552
; %bb.2549:                             ;   in Loop: Header=BB355_1581 Depth=1
	v_dual_mov_b32 v19, v27 :: v_dual_bitop2_b32 v18, 7, v18 bitop3:0x40
	v_lshrrev_b32_e32 v15, 3, v20
	s_mov_b32 s17, exec_lo
	v_cmpx_gt_u32_e32 8, v20
; %bb.2550:                             ;   in Loop: Header=BB355_1581 Depth=1
	s_delay_alu instid0(VALU_DEP_3) | instskip(NEXT) | instid1(VALU_DEP_1)
	v_clz_i32_u32_e32 v15, v18
	v_min_u32_e32 v15, 32, v15
	s_delay_alu instid0(VALU_DEP_1) | instskip(NEXT) | instid1(VALU_DEP_1)
	v_subrev_nc_u32_e32 v20, 28, v15
	v_lshlrev_b64_e32 v[18:19], v20, v[18:19]
	s_delay_alu instid0(VALU_DEP_1)
	v_dual_sub_nc_u32 v15, 29, v15 :: v_dual_bitop2_b32 v18, 7, v18 bitop3:0x40
; %bb.2551:                             ;   in Loop: Header=BB355_1581 Depth=1
	s_or_b32 exec_lo, exec_lo, s17
	v_lshlrev_b32_e32 v19, 16, v26
	s_delay_alu instid0(VALU_DEP_2) | instskip(NEXT) | instid1(VALU_DEP_3)
	v_lshlrev_b32_e32 v18, 20, v18
	v_lshl_add_u32 v15, v15, 23, 0x3c000000
	s_delay_alu instid0(VALU_DEP_3) | instskip(NEXT) | instid1(VALU_DEP_1)
	v_and_b32_e32 v19, 0x80000000, v19
	v_or3_b32 v15, v18, v19, v15
.LBB355_2552:                           ;   in Loop: Header=BB355_1581 Depth=1
	s_or_b32 exec_lo, exec_lo, s16
.LBB355_2553:                           ;   in Loop: Header=BB355_1581 Depth=1
	s_delay_alu instid0(SALU_CYCLE_1)
	s_or_b32 exec_lo, exec_lo, s15
.LBB355_2554:                           ;   in Loop: Header=BB355_1581 Depth=1
	s_delay_alu instid0(SALU_CYCLE_1) | instskip(SKIP_3) | instid1(VALU_DEP_2)
	s_or_b32 exec_lo, exec_lo, s14
	v_dual_mov_b32 v20, 0 :: v_dual_lshrrev_b32 v21, 16, v17
	v_mov_b32_e32 v18, 0
	s_mov_b32 s14, exec_lo
	v_and_b32_e32 v19, 0xff, v21
	s_delay_alu instid0(VALU_DEP_1)
	v_cmpx_ne_u16_e32 0, v19
	s_cbranch_execz .LBB355_2562
; %bb.2555:                             ;   in Loop: Header=BB355_1581 Depth=1
	v_bfrev_b32_e32 v18, 1
	s_mov_b32 s15, exec_lo
	v_cmpx_ne_u16_e32 0x80, v19
	s_cbranch_execz .LBB355_2561
; %bb.2556:                             ;   in Loop: Header=BB355_1581 Depth=1
	v_bfe_u32 v19, v17, 16, 7
	v_mov_b32_e32 v18, 0x7f800001
	s_mov_b32 s16, exec_lo
	s_delay_alu instid0(VALU_DEP_2)
	v_cmpx_ne_u32_e32 0x7f, v19
	s_cbranch_execz .LBB355_2560
; %bb.2557:                             ;   in Loop: Header=BB355_1581 Depth=1
	v_dual_lshrrev_b32 v24, 3, v19 :: v_dual_bitop2_b32 v26, 7, v21 bitop3:0x40
	v_cmp_gt_u32_e64 s0, 8, v19
	s_delay_alu instid0(VALU_DEP_2)
	v_mov_b64_e32 v[18:19], v[26:27]
	s_and_saveexec_b32 s17, s0
; %bb.2558:                             ;   in Loop: Header=BB355_1581 Depth=1
	v_clz_i32_u32_e32 v18, v26
	s_delay_alu instid0(VALU_DEP_1) | instskip(NEXT) | instid1(VALU_DEP_1)
	v_min_u32_e32 v24, 32, v18
	v_subrev_nc_u32_e32 v18, 28, v24
	s_delay_alu instid0(VALU_DEP_1) | instskip(NEXT) | instid1(VALU_DEP_1)
	v_lshlrev_b64_e32 v[18:19], v18, v[26:27]
	v_dual_sub_nc_u32 v24, 29, v24 :: v_dual_bitop2_b32 v18, 7, v18 bitop3:0x40
; %bb.2559:                             ;   in Loop: Header=BB355_1581 Depth=1
	s_or_b32 exec_lo, exec_lo, s17
	s_delay_alu instid0(VALU_DEP_1) | instskip(NEXT) | instid1(VALU_DEP_2)
	v_dual_lshlrev_b32 v19, 24, v21 :: v_dual_lshlrev_b32 v18, 20, v18
	v_lshl_add_u32 v21, v24, 23, 0x3c000000
	s_delay_alu instid0(VALU_DEP_2) | instskip(NEXT) | instid1(VALU_DEP_1)
	v_and_b32_e32 v19, 0x80000000, v19
	v_or3_b32 v18, v18, v19, v21
.LBB355_2560:                           ;   in Loop: Header=BB355_1581 Depth=1
	s_or_b32 exec_lo, exec_lo, s16
.LBB355_2561:                           ;   in Loop: Header=BB355_1581 Depth=1
	s_delay_alu instid0(SALU_CYCLE_1)
	s_or_b32 exec_lo, exec_lo, s15
.LBB355_2562:                           ;   in Loop: Header=BB355_1581 Depth=1
	s_delay_alu instid0(SALU_CYCLE_1) | instskip(NEXT) | instid1(SALU_CYCLE_1)
	s_or_b32 exec_lo, exec_lo, s14
	s_mov_b32 s14, exec_lo
	v_cmpx_lt_u64_e64 s[2:3], v[16:17]
	s_cbranch_execz .LBB355_2570
; %bb.2563:                             ;   in Loop: Header=BB355_1581 Depth=1
	v_lshrrev_b32_e32 v19, 24, v17
	v_bfrev_b32_e32 v20, 1
	s_mov_b32 s15, exec_lo
	s_delay_alu instid0(VALU_DEP_2)
	v_cmpx_ne_u32_e32 0x80, v19
	s_cbranch_execz .LBB355_2569
; %bb.2564:                             ;   in Loop: Header=BB355_1581 Depth=1
	v_bfe_u32 v16, v17, 24, 7
	v_mov_b32_e32 v20, 0x7f800001
	s_mov_b32 s16, exec_lo
	s_delay_alu instid0(VALU_DEP_2)
	v_cmpx_ne_u32_e32 0x7f, v16
	s_cbranch_execz .LBB355_2568
; %bb.2565:                             ;   in Loop: Header=BB355_1581 Depth=1
	v_dual_lshrrev_b32 v20, 3, v16 :: v_dual_bitop2_b32 v26, 7, v19 bitop3:0x40
	v_cmp_gt_u32_e64 s0, 8, v16
	s_delay_alu instid0(VALU_DEP_2)
	v_mov_b64_e32 v[16:17], v[26:27]
	s_and_saveexec_b32 s17, s0
; %bb.2566:                             ;   in Loop: Header=BB355_1581 Depth=1
	v_clz_i32_u32_e32 v16, v26
	s_delay_alu instid0(VALU_DEP_1) | instskip(NEXT) | instid1(VALU_DEP_1)
	v_min_u32_e32 v20, 32, v16
	v_subrev_nc_u32_e32 v16, 28, v20
	v_sub_nc_u32_e32 v20, 29, v20
	s_delay_alu instid0(VALU_DEP_2) | instskip(NEXT) | instid1(VALU_DEP_1)
	v_lshlrev_b64_e32 v[16:17], v16, v[26:27]
	v_and_b32_e32 v16, 7, v16
; %bb.2567:                             ;   in Loop: Header=BB355_1581 Depth=1
	s_or_b32 exec_lo, exec_lo, s17
	s_delay_alu instid0(VALU_DEP_1) | instskip(SKIP_1) | instid1(VALU_DEP_2)
	v_dual_lshlrev_b32 v17, 24, v19 :: v_dual_lshlrev_b32 v16, 20, v16
	v_lshl_add_u32 v19, v20, 23, 0x3c000000
	v_and_b32_e32 v17, 0x80000000, v17
	s_delay_alu instid0(VALU_DEP_1)
	v_or3_b32 v20, v16, v17, v19
.LBB355_2568:                           ;   in Loop: Header=BB355_1581 Depth=1
	s_or_b32 exec_lo, exec_lo, s16
.LBB355_2569:                           ;   in Loop: Header=BB355_1581 Depth=1
	s_delay_alu instid0(SALU_CYCLE_1)
	s_or_b32 exec_lo, exec_lo, s15
.LBB355_2570:                           ;   in Loop: Header=BB355_1581 Depth=1
	s_delay_alu instid0(SALU_CYCLE_1)
	s_or_b32 exec_lo, exec_lo, s14
	v_fma_mixlo_bf16 v42, v116, v15, 0
	v_fma_mixlo_bf16 v56, v116, v14, 0
	;; [unrolled: 1-line block ×8, first 2 shown]
	s_and_saveexec_b32 s14, vcc_lo
	s_cbranch_execz .LBB355_2572
; %bb.2571:                             ;   in Loop: Header=BB355_1581 Depth=1
	v_cmp_lt_i32_e64 s0, v115, v119
	s_delay_alu instid0(VALU_DEP_1) | instskip(SKIP_1) | instid1(VALU_DEP_1)
	v_cndmask_b32_e64 v63, 0, v63, s0
	v_cmp_lt_i32_e64 s0, v59, v119
	v_cndmask_b32_e64 v47, 0, v47, s0
	v_cmp_lt_i32_e64 s0, v58, v119
	s_delay_alu instid0(VALU_DEP_1) | instskip(SKIP_1) | instid1(VALU_DEP_1)
	v_cndmask_b32_e64 v61, 0, v61, s0
	v_cmp_lt_i32_e64 s0, v57, v119
	v_cndmask_b32_e64 v44, 0, v44, s0
	;; [unrolled: 5-line block ×4, first 2 shown]
.LBB355_2572:                           ;   in Loop: Header=BB355_1581 Depth=1
	s_or_b32 exec_lo, exec_lo, s14
	flat_load_b64 v[16:17], v[0:1] offset:3840
	v_dual_mov_b32 v11, 0 :: v_dual_mov_b32 v10, 0
	s_mov_b32 s14, exec_lo
	s_wait_loadcnt_dscnt 0x0
	v_and_b32_e32 v12, 0xff, v16
	s_wait_xcnt 0x0
	s_delay_alu instid0(VALU_DEP_1)
	v_cmpx_ne_u16_e32 0, v12
	s_cbranch_execz .LBB355_2580
; %bb.2573:                             ;   in Loop: Header=BB355_1581 Depth=1
	v_bfrev_b32_e32 v10, 1
	s_mov_b32 s15, exec_lo
	v_cmpx_ne_u16_e32 0x80, v12
	s_cbranch_execz .LBB355_2579
; %bb.2574:                             ;   in Loop: Header=BB355_1581 Depth=1
	v_and_b32_e32 v12, 0x7f, v16
	v_mov_b32_e32 v10, 0x7f800001
	s_mov_b32 s16, exec_lo
	s_delay_alu instid0(VALU_DEP_2)
	v_cmpx_ne_u32_e32 0x7f, v12
	s_cbranch_execz .LBB355_2578
; %bb.2575:                             ;   in Loop: Header=BB355_1581 Depth=1
	v_mov_b64_e32 v[18:19], v[16:17]
	v_lshrrev_b32_e32 v10, 3, v12
	s_mov_b32 s17, exec_lo
	v_cmpx_gt_u32_e32 8, v12
; %bb.2576:                             ;   in Loop: Header=BB355_1581 Depth=1
	v_and_b32_e32 v10, 7, v16
	s_delay_alu instid0(VALU_DEP_1) | instskip(NEXT) | instid1(VALU_DEP_1)
	v_clz_i32_u32_e32 v10, v10
	v_min_u32_e32 v10, 32, v10
	s_delay_alu instid0(VALU_DEP_1) | instskip(SKIP_1) | instid1(VALU_DEP_2)
	v_subrev_nc_u32_e32 v12, 28, v10
	v_sub_nc_u32_e32 v10, 29, v10
	v_lshlrev_b64_e32 v[18:19], v12, v[16:17]
; %bb.2577:                             ;   in Loop: Header=BB355_1581 Depth=1
	s_or_b32 exec_lo, exec_lo, s17
	s_delay_alu instid0(VALU_DEP_1) | instskip(NEXT) | instid1(VALU_DEP_3)
	v_dual_lshlrev_b32 v12, 20, v18 :: v_dual_lshlrev_b32 v13, 24, v16
	v_lshl_add_u32 v10, v10, 23, 0x3c000000
	s_delay_alu instid0(VALU_DEP_2) | instskip(NEXT) | instid1(VALU_DEP_3)
	v_and_b32_e32 v12, 0x700000, v12
	v_and_b32_e32 v13, 0x80000000, v13
	s_delay_alu instid0(VALU_DEP_1)
	v_or3_b32 v10, v12, v13, v10
.LBB355_2578:                           ;   in Loop: Header=BB355_1581 Depth=1
	s_or_b32 exec_lo, exec_lo, s16
.LBB355_2579:                           ;   in Loop: Header=BB355_1581 Depth=1
	s_delay_alu instid0(SALU_CYCLE_1)
	s_or_b32 exec_lo, exec_lo, s15
.LBB355_2580:                           ;   in Loop: Header=BB355_1581 Depth=1
	s_delay_alu instid0(SALU_CYCLE_1) | instskip(SKIP_2) | instid1(VALU_DEP_1)
	s_or_b32 exec_lo, exec_lo, s14
	v_lshrrev_b16 v12, 8, v16
	s_mov_b32 s14, exec_lo
	v_cmpx_ne_u16_e32 0, v12
	s_cbranch_execz .LBB355_2588
; %bb.2581:                             ;   in Loop: Header=BB355_1581 Depth=1
	v_bfrev_b32_e32 v11, 1
	s_mov_b32 s15, exec_lo
	v_cmpx_ne_u16_e32 0x80, v12
	s_cbranch_execz .LBB355_2587
; %bb.2582:                             ;   in Loop: Header=BB355_1581 Depth=1
	v_and_b32_e32 v13, 0xffff, v12
	v_mov_b32_e32 v11, 0x7f800001
	s_mov_b32 s16, exec_lo
	s_delay_alu instid0(VALU_DEP_2) | instskip(NEXT) | instid1(VALU_DEP_1)
	v_and_b32_e32 v12, 0x7f, v13
	v_cmpx_ne_u32_e32 0x7f, v12
	s_cbranch_execz .LBB355_2586
; %bb.2583:                             ;   in Loop: Header=BB355_1581 Depth=1
	v_dual_lshrrev_b32 v11, 3, v12 :: v_dual_bitop2_b32 v26, 7, v13 bitop3:0x40
	s_mov_b32 s17, exec_lo
	s_delay_alu instid0(VALU_DEP_1)
	v_mov_b64_e32 v[18:19], v[26:27]
	v_cmpx_gt_u32_e32 8, v12
; %bb.2584:                             ;   in Loop: Header=BB355_1581 Depth=1
	v_clz_i32_u32_e32 v11, v26
	s_delay_alu instid0(VALU_DEP_1) | instskip(NEXT) | instid1(VALU_DEP_1)
	v_min_u32_e32 v11, 32, v11
	v_subrev_nc_u32_e32 v12, 28, v11
	s_delay_alu instid0(VALU_DEP_1) | instskip(NEXT) | instid1(VALU_DEP_1)
	v_lshlrev_b64_e32 v[12:13], v12, v[26:27]
	v_dual_sub_nc_u32 v11, 29, v11 :: v_dual_bitop2_b32 v18, 7, v12 bitop3:0x40
; %bb.2585:                             ;   in Loop: Header=BB355_1581 Depth=1
	s_or_b32 exec_lo, exec_lo, s17
	s_delay_alu instid0(VALU_DEP_1) | instskip(NEXT) | instid1(VALU_DEP_2)
	v_dual_lshlrev_b32 v12, 16, v16 :: v_dual_lshlrev_b32 v13, 20, v18
	v_lshl_add_u32 v11, v11, 23, 0x3c000000
	s_delay_alu instid0(VALU_DEP_2) | instskip(NEXT) | instid1(VALU_DEP_1)
	v_and_b32_e32 v12, 0x80000000, v12
	v_or3_b32 v11, v13, v12, v11
.LBB355_2586:                           ;   in Loop: Header=BB355_1581 Depth=1
	s_or_b32 exec_lo, exec_lo, s16
.LBB355_2587:                           ;   in Loop: Header=BB355_1581 Depth=1
	s_delay_alu instid0(SALU_CYCLE_1)
	s_or_b32 exec_lo, exec_lo, s15
.LBB355_2588:                           ;   in Loop: Header=BB355_1581 Depth=1
	s_delay_alu instid0(SALU_CYCLE_1) | instskip(SKIP_3) | instid1(VALU_DEP_2)
	s_or_b32 exec_lo, exec_lo, s14
	v_dual_mov_b32 v13, 0 :: v_dual_lshrrev_b32 v14, 16, v16
	v_mov_b32_e32 v12, 0
	s_mov_b32 s14, exec_lo
	v_and_b32_e32 v15, 0xff, v14
	s_delay_alu instid0(VALU_DEP_1)
	v_cmpx_ne_u16_e32 0, v15
	s_cbranch_execz .LBB355_2596
; %bb.2589:                             ;   in Loop: Header=BB355_1581 Depth=1
	v_bfrev_b32_e32 v12, 1
	s_mov_b32 s15, exec_lo
	v_cmpx_ne_u16_e32 0x80, v15
	s_cbranch_execz .LBB355_2595
; %bb.2590:                             ;   in Loop: Header=BB355_1581 Depth=1
	v_bfe_u32 v15, v16, 16, 7
	v_mov_b32_e32 v12, 0x7f800001
	s_mov_b32 s16, exec_lo
	s_delay_alu instid0(VALU_DEP_2)
	v_cmpx_ne_u32_e32 0x7f, v15
	s_cbranch_execz .LBB355_2594
; %bb.2591:                             ;   in Loop: Header=BB355_1581 Depth=1
	v_dual_lshrrev_b32 v12, 3, v15 :: v_dual_bitop2_b32 v26, 7, v14 bitop3:0x40
	s_mov_b32 s17, exec_lo
	s_delay_alu instid0(VALU_DEP_1)
	v_mov_b64_e32 v[18:19], v[26:27]
	v_cmpx_gt_u32_e32 8, v15
; %bb.2592:                             ;   in Loop: Header=BB355_1581 Depth=1
	v_clz_i32_u32_e32 v12, v26
	s_delay_alu instid0(VALU_DEP_1) | instskip(NEXT) | instid1(VALU_DEP_1)
	v_min_u32_e32 v12, 32, v12
	v_subrev_nc_u32_e32 v15, 28, v12
	s_delay_alu instid0(VALU_DEP_1) | instskip(NEXT) | instid1(VALU_DEP_1)
	v_lshlrev_b64_e32 v[18:19], v15, v[26:27]
	v_dual_sub_nc_u32 v12, 29, v12 :: v_dual_bitop2_b32 v18, 7, v18 bitop3:0x40
; %bb.2593:                             ;   in Loop: Header=BB355_1581 Depth=1
	s_or_b32 exec_lo, exec_lo, s17
	v_lshlrev_b32_e32 v14, 24, v14
	s_delay_alu instid0(VALU_DEP_2) | instskip(NEXT) | instid1(VALU_DEP_3)
	v_lshlrev_b32_e32 v15, 20, v18
	v_lshl_add_u32 v12, v12, 23, 0x3c000000
	s_delay_alu instid0(VALU_DEP_3) | instskip(NEXT) | instid1(VALU_DEP_1)
	v_and_b32_e32 v14, 0x80000000, v14
	v_or3_b32 v12, v15, v14, v12
.LBB355_2594:                           ;   in Loop: Header=BB355_1581 Depth=1
	s_or_b32 exec_lo, exec_lo, s16
.LBB355_2595:                           ;   in Loop: Header=BB355_1581 Depth=1
	s_delay_alu instid0(SALU_CYCLE_1)
	s_or_b32 exec_lo, exec_lo, s15
.LBB355_2596:                           ;   in Loop: Header=BB355_1581 Depth=1
	s_delay_alu instid0(SALU_CYCLE_1) | instskip(NEXT) | instid1(SALU_CYCLE_1)
	s_or_b32 exec_lo, exec_lo, s14
	s_mov_b32 s14, exec_lo
	v_cmpx_lt_u32_e32 0xffffff, v16
	s_cbranch_execz .LBB355_2604
; %bb.2597:                             ;   in Loop: Header=BB355_1581 Depth=1
	v_lshrrev_b32_e32 v14, 24, v16
	v_bfrev_b32_e32 v13, 1
	s_mov_b32 s15, exec_lo
	s_delay_alu instid0(VALU_DEP_2)
	v_cmpx_ne_u32_e32 0x80, v14
	s_cbranch_execz .LBB355_2603
; %bb.2598:                             ;   in Loop: Header=BB355_1581 Depth=1
	v_bfe_u32 v15, v16, 24, 7
	v_mov_b32_e32 v13, 0x7f800001
	s_mov_b32 s16, exec_lo
	s_delay_alu instid0(VALU_DEP_2)
	v_cmpx_ne_u32_e32 0x7f, v15
	s_cbranch_execz .LBB355_2602
; %bb.2599:                             ;   in Loop: Header=BB355_1581 Depth=1
	v_dual_lshrrev_b32 v13, 3, v15 :: v_dual_bitop2_b32 v26, 7, v14 bitop3:0x40
	s_mov_b32 s17, exec_lo
	s_delay_alu instid0(VALU_DEP_1)
	v_mov_b64_e32 v[18:19], v[26:27]
	v_cmpx_gt_u32_e32 8, v15
; %bb.2600:                             ;   in Loop: Header=BB355_1581 Depth=1
	v_clz_i32_u32_e32 v13, v26
	s_delay_alu instid0(VALU_DEP_1) | instskip(NEXT) | instid1(VALU_DEP_1)
	v_min_u32_e32 v13, 32, v13
	v_subrev_nc_u32_e32 v15, 28, v13
	s_delay_alu instid0(VALU_DEP_1) | instskip(NEXT) | instid1(VALU_DEP_1)
	v_lshlrev_b64_e32 v[18:19], v15, v[26:27]
	v_dual_sub_nc_u32 v13, 29, v13 :: v_dual_bitop2_b32 v18, 7, v18 bitop3:0x40
; %bb.2601:                             ;   in Loop: Header=BB355_1581 Depth=1
	s_or_b32 exec_lo, exec_lo, s17
	v_lshlrev_b32_e32 v14, 24, v14
	s_delay_alu instid0(VALU_DEP_2) | instskip(NEXT) | instid1(VALU_DEP_3)
	v_lshlrev_b32_e32 v15, 20, v18
	v_lshl_add_u32 v13, v13, 23, 0x3c000000
	s_delay_alu instid0(VALU_DEP_3) | instskip(NEXT) | instid1(VALU_DEP_1)
	v_and_b32_e32 v14, 0x80000000, v14
	v_or3_b32 v13, v15, v14, v13
.LBB355_2602:                           ;   in Loop: Header=BB355_1581 Depth=1
	s_or_b32 exec_lo, exec_lo, s16
.LBB355_2603:                           ;   in Loop: Header=BB355_1581 Depth=1
	s_delay_alu instid0(SALU_CYCLE_1)
	s_or_b32 exec_lo, exec_lo, s15
.LBB355_2604:                           ;   in Loop: Header=BB355_1581 Depth=1
	s_delay_alu instid0(SALU_CYCLE_1) | instskip(SKIP_4) | instid1(VALU_DEP_3)
	s_or_b32 exec_lo, exec_lo, s14
	v_and_b32_e32 v18, 0xff, v17
	v_dual_mov_b32 v26, v17 :: v_dual_mov_b32 v15, 0
	v_mov_b32_e32 v14, 0
	s_mov_b32 s14, exec_lo
	v_cmpx_ne_u16_e32 0, v18
	s_cbranch_execz .LBB355_2612
; %bb.2605:                             ;   in Loop: Header=BB355_1581 Depth=1
	v_bfrev_b32_e32 v14, 1
	s_mov_b32 s15, exec_lo
	v_cmpx_ne_u16_e32 0x80, v18
	s_cbranch_execz .LBB355_2611
; %bb.2606:                             ;   in Loop: Header=BB355_1581 Depth=1
	v_and_b32_e32 v20, 0x7f, v17
	v_mov_b32_e32 v14, 0x7f800001
	s_mov_b32 s16, exec_lo
	s_delay_alu instid0(VALU_DEP_2)
	v_cmpx_ne_u32_e32 0x7f, v20
	s_cbranch_execz .LBB355_2610
; %bb.2607:                             ;   in Loop: Header=BB355_1581 Depth=1
	v_mov_b64_e32 v[18:19], v[26:27]
	v_lshrrev_b32_e32 v14, 3, v20
	s_mov_b32 s17, exec_lo
	v_cmpx_gt_u32_e32 8, v20
; %bb.2608:                             ;   in Loop: Header=BB355_1581 Depth=1
	v_and_b32_e32 v14, 7, v17
	s_delay_alu instid0(VALU_DEP_1) | instskip(NEXT) | instid1(VALU_DEP_1)
	v_clz_i32_u32_e32 v14, v14
	v_min_u32_e32 v14, 32, v14
	s_delay_alu instid0(VALU_DEP_1) | instskip(SKIP_1) | instid1(VALU_DEP_2)
	v_subrev_nc_u32_e32 v18, 28, v14
	v_sub_nc_u32_e32 v14, 29, v14
	v_lshlrev_b64_e32 v[18:19], v18, v[26:27]
; %bb.2609:                             ;   in Loop: Header=BB355_1581 Depth=1
	s_or_b32 exec_lo, exec_lo, s17
	s_delay_alu instid0(VALU_DEP_1) | instskip(SKIP_2) | instid1(VALU_DEP_3)
	v_lshlrev_b32_e32 v18, 20, v18
	v_lshlrev_b32_e32 v19, 24, v26
	v_lshl_add_u32 v14, v14, 23, 0x3c000000
	v_and_b32_e32 v18, 0x700000, v18
	s_delay_alu instid0(VALU_DEP_3) | instskip(NEXT) | instid1(VALU_DEP_1)
	v_and_b32_e32 v19, 0x80000000, v19
	v_or3_b32 v14, v18, v19, v14
.LBB355_2610:                           ;   in Loop: Header=BB355_1581 Depth=1
	s_or_b32 exec_lo, exec_lo, s16
.LBB355_2611:                           ;   in Loop: Header=BB355_1581 Depth=1
	s_delay_alu instid0(SALU_CYCLE_1)
	s_or_b32 exec_lo, exec_lo, s15
.LBB355_2612:                           ;   in Loop: Header=BB355_1581 Depth=1
	s_delay_alu instid0(SALU_CYCLE_1) | instskip(SKIP_2) | instid1(VALU_DEP_1)
	s_or_b32 exec_lo, exec_lo, s14
	v_lshrrev_b16 v18, 8, v26
	s_mov_b32 s14, exec_lo
	v_cmpx_ne_u16_e32 0, v18
	s_cbranch_execz .LBB355_2620
; %bb.2613:                             ;   in Loop: Header=BB355_1581 Depth=1
	v_bfrev_b32_e32 v15, 1
	s_mov_b32 s15, exec_lo
	v_cmpx_ne_u16_e32 0x80, v18
	s_cbranch_execz .LBB355_2619
; %bb.2614:                             ;   in Loop: Header=BB355_1581 Depth=1
	v_and_b32_e32 v18, 0xffff, v18
	v_mov_b32_e32 v15, 0x7f800001
	s_mov_b32 s16, exec_lo
	s_delay_alu instid0(VALU_DEP_2) | instskip(NEXT) | instid1(VALU_DEP_1)
	v_and_b32_e32 v20, 0x7f, v18
	v_cmpx_ne_u32_e32 0x7f, v20
	s_cbranch_execz .LBB355_2618
; %bb.2615:                             ;   in Loop: Header=BB355_1581 Depth=1
	v_dual_mov_b32 v19, v27 :: v_dual_bitop2_b32 v18, 7, v18 bitop3:0x40
	v_lshrrev_b32_e32 v15, 3, v20
	s_mov_b32 s17, exec_lo
	v_cmpx_gt_u32_e32 8, v20
; %bb.2616:                             ;   in Loop: Header=BB355_1581 Depth=1
	s_delay_alu instid0(VALU_DEP_3) | instskip(NEXT) | instid1(VALU_DEP_1)
	v_clz_i32_u32_e32 v15, v18
	v_min_u32_e32 v15, 32, v15
	s_delay_alu instid0(VALU_DEP_1) | instskip(NEXT) | instid1(VALU_DEP_1)
	v_subrev_nc_u32_e32 v20, 28, v15
	v_lshlrev_b64_e32 v[18:19], v20, v[18:19]
	s_delay_alu instid0(VALU_DEP_1)
	v_dual_sub_nc_u32 v15, 29, v15 :: v_dual_bitop2_b32 v18, 7, v18 bitop3:0x40
; %bb.2617:                             ;   in Loop: Header=BB355_1581 Depth=1
	s_or_b32 exec_lo, exec_lo, s17
	v_lshlrev_b32_e32 v19, 16, v26
	s_delay_alu instid0(VALU_DEP_2) | instskip(NEXT) | instid1(VALU_DEP_3)
	v_lshlrev_b32_e32 v18, 20, v18
	v_lshl_add_u32 v15, v15, 23, 0x3c000000
	s_delay_alu instid0(VALU_DEP_3) | instskip(NEXT) | instid1(VALU_DEP_1)
	v_and_b32_e32 v19, 0x80000000, v19
	v_or3_b32 v15, v18, v19, v15
.LBB355_2618:                           ;   in Loop: Header=BB355_1581 Depth=1
	s_or_b32 exec_lo, exec_lo, s16
.LBB355_2619:                           ;   in Loop: Header=BB355_1581 Depth=1
	s_delay_alu instid0(SALU_CYCLE_1)
	s_or_b32 exec_lo, exec_lo, s15
.LBB355_2620:                           ;   in Loop: Header=BB355_1581 Depth=1
	s_delay_alu instid0(SALU_CYCLE_1) | instskip(SKIP_3) | instid1(VALU_DEP_2)
	s_or_b32 exec_lo, exec_lo, s14
	v_dual_mov_b32 v20, 0 :: v_dual_lshrrev_b32 v21, 16, v17
	v_mov_b32_e32 v18, 0
	s_mov_b32 s14, exec_lo
	v_and_b32_e32 v19, 0xff, v21
	s_delay_alu instid0(VALU_DEP_1)
	v_cmpx_ne_u16_e32 0, v19
	s_cbranch_execz .LBB355_2628
; %bb.2621:                             ;   in Loop: Header=BB355_1581 Depth=1
	v_bfrev_b32_e32 v18, 1
	s_mov_b32 s15, exec_lo
	v_cmpx_ne_u16_e32 0x80, v19
	s_cbranch_execz .LBB355_2627
; %bb.2622:                             ;   in Loop: Header=BB355_1581 Depth=1
	v_bfe_u32 v24, v17, 16, 7
	v_mov_b32_e32 v18, 0x7f800001
	s_mov_b32 s16, exec_lo
	s_delay_alu instid0(VALU_DEP_2)
	v_cmpx_ne_u32_e32 0x7f, v24
	s_cbranch_execz .LBB355_2626
; %bb.2623:                             ;   in Loop: Header=BB355_1581 Depth=1
	v_and_b32_e32 v26, 7, v21
	s_mov_b32 s17, exec_lo
	s_delay_alu instid0(VALU_DEP_1)
	v_mov_b64_e32 v[18:19], v[26:27]
	v_lshrrev_b32_e32 v19, 3, v24
	v_cmpx_gt_u32_e32 8, v24
; %bb.2624:                             ;   in Loop: Header=BB355_1581 Depth=1
	v_clz_i32_u32_e32 v18, v26
	s_delay_alu instid0(VALU_DEP_1) | instskip(NEXT) | instid1(VALU_DEP_1)
	v_min_u32_e32 v24, 32, v18
	v_subrev_nc_u32_e32 v18, 28, v24
	s_delay_alu instid0(VALU_DEP_1) | instskip(NEXT) | instid1(VALU_DEP_1)
	v_lshlrev_b64_e32 v[18:19], v18, v[26:27]
	v_dual_sub_nc_u32 v19, 29, v24 :: v_dual_bitop2_b32 v18, 7, v18 bitop3:0x40
; %bb.2625:                             ;   in Loop: Header=BB355_1581 Depth=1
	s_or_b32 exec_lo, exec_lo, s17
	s_delay_alu instid0(VALU_DEP_1) | instskip(NEXT) | instid1(VALU_DEP_2)
	v_dual_lshlrev_b32 v21, 24, v21 :: v_dual_lshlrev_b32 v18, 20, v18
	v_lshl_add_u32 v19, v19, 23, 0x3c000000
	s_delay_alu instid0(VALU_DEP_2) | instskip(NEXT) | instid1(VALU_DEP_1)
	v_and_b32_e32 v21, 0x80000000, v21
	v_or3_b32 v18, v18, v21, v19
.LBB355_2626:                           ;   in Loop: Header=BB355_1581 Depth=1
	s_or_b32 exec_lo, exec_lo, s16
.LBB355_2627:                           ;   in Loop: Header=BB355_1581 Depth=1
	s_delay_alu instid0(SALU_CYCLE_1)
	s_or_b32 exec_lo, exec_lo, s15
.LBB355_2628:                           ;   in Loop: Header=BB355_1581 Depth=1
	s_delay_alu instid0(SALU_CYCLE_1) | instskip(NEXT) | instid1(SALU_CYCLE_1)
	s_or_b32 exec_lo, exec_lo, s14
	s_mov_b32 s14, exec_lo
	v_cmpx_lt_u64_e64 s[2:3], v[16:17]
	s_cbranch_execz .LBB355_2636
; %bb.2629:                             ;   in Loop: Header=BB355_1581 Depth=1
	v_lshrrev_b32_e32 v19, 24, v17
	v_bfrev_b32_e32 v20, 1
	s_mov_b32 s15, exec_lo
	s_delay_alu instid0(VALU_DEP_2)
	v_cmpx_ne_u32_e32 0x80, v19
	s_cbranch_execz .LBB355_2635
; %bb.2630:                             ;   in Loop: Header=BB355_1581 Depth=1
	v_bfe_u32 v21, v17, 24, 7
	v_mov_b32_e32 v20, 0x7f800001
	s_mov_b32 s16, exec_lo
	s_delay_alu instid0(VALU_DEP_2)
	v_cmpx_ne_u32_e32 0x7f, v21
	s_cbranch_execz .LBB355_2634
; %bb.2631:                             ;   in Loop: Header=BB355_1581 Depth=1
	v_and_b32_e32 v26, 7, v19
	s_mov_b32 s17, exec_lo
	s_delay_alu instid0(VALU_DEP_1)
	v_mov_b64_e32 v[16:17], v[26:27]
	v_lshrrev_b32_e32 v17, 3, v21
	v_cmpx_gt_u32_e32 8, v21
; %bb.2632:                             ;   in Loop: Header=BB355_1581 Depth=1
	v_clz_i32_u32_e32 v16, v26
	s_delay_alu instid0(VALU_DEP_1) | instskip(NEXT) | instid1(VALU_DEP_1)
	v_min_u32_e32 v20, 32, v16
	v_subrev_nc_u32_e32 v16, 28, v20
	s_delay_alu instid0(VALU_DEP_1) | instskip(SKIP_1) | instid1(VALU_DEP_2)
	v_lshlrev_b64_e32 v[16:17], v16, v[26:27]
	v_sub_nc_u32_e32 v17, 29, v20
	v_and_b32_e32 v16, 7, v16
; %bb.2633:                             ;   in Loop: Header=BB355_1581 Depth=1
	s_or_b32 exec_lo, exec_lo, s17
	s_delay_alu instid0(VALU_DEP_1) | instskip(NEXT) | instid1(VALU_DEP_3)
	v_dual_lshlrev_b32 v19, 24, v19 :: v_dual_lshlrev_b32 v16, 20, v16
	v_lshl_add_u32 v17, v17, 23, 0x3c000000
	s_delay_alu instid0(VALU_DEP_2) | instskip(NEXT) | instid1(VALU_DEP_1)
	v_and_b32_e32 v19, 0x80000000, v19
	v_or3_b32 v20, v16, v19, v17
.LBB355_2634:                           ;   in Loop: Header=BB355_1581 Depth=1
	s_or_b32 exec_lo, exec_lo, s16
.LBB355_2635:                           ;   in Loop: Header=BB355_1581 Depth=1
	s_delay_alu instid0(SALU_CYCLE_1)
	s_or_b32 exec_lo, exec_lo, s15
.LBB355_2636:                           ;   in Loop: Header=BB355_1581 Depth=1
	s_delay_alu instid0(SALU_CYCLE_1)
	s_or_b32 exec_lo, exec_lo, s14
	v_fma_mixlo_bf16 v123, v116, v15, 0
	v_fma_mixlo_bf16 v73, v116, v14, 0
	;; [unrolled: 1-line block ×8, first 2 shown]
	s_and_saveexec_b32 s14, vcc_lo
	s_cbranch_execz .LBB355_2638
; %bb.2637:                             ;   in Loop: Header=BB355_1581 Depth=1
	v_cmp_lt_i32_e64 s0, v115, v119
	s_delay_alu instid0(VALU_DEP_1) | instskip(SKIP_1) | instid1(VALU_DEP_1)
	v_cndmask_b32_e64 v79, 0, v79, s0
	v_cmp_lt_i32_e64 s0, v59, v119
	v_cndmask_b32_e64 v78, 0, v78, s0
	v_cmp_lt_i32_e64 s0, v58, v119
	s_delay_alu instid0(VALU_DEP_1) | instskip(SKIP_1) | instid1(VALU_DEP_1)
	v_cndmask_b32_e64 v77, 0, v77, s0
	v_cmp_lt_i32_e64 s0, v57, v119
	v_cndmask_b32_e64 v76, 0, v76, s0
	;; [unrolled: 5-line block ×4, first 2 shown]
.LBB355_2638:                           ;   in Loop: Header=BB355_1581 Depth=1
	s_or_b32 exec_lo, exec_lo, s14
	flat_load_b64 v[16:17], v[0:1] offset:4096
	v_dual_mov_b32 v11, 0 :: v_dual_mov_b32 v10, 0
	s_mov_b32 s14, exec_lo
	s_wait_loadcnt_dscnt 0x0
	v_and_b32_e32 v12, 0xff, v16
	s_wait_xcnt 0x0
	s_delay_alu instid0(VALU_DEP_1)
	v_cmpx_ne_u16_e32 0, v12
	s_cbranch_execz .LBB355_2646
; %bb.2639:                             ;   in Loop: Header=BB355_1581 Depth=1
	v_bfrev_b32_e32 v10, 1
	s_mov_b32 s15, exec_lo
	v_cmpx_ne_u16_e32 0x80, v12
	s_cbranch_execz .LBB355_2645
; %bb.2640:                             ;   in Loop: Header=BB355_1581 Depth=1
	v_and_b32_e32 v12, 0x7f, v16
	v_mov_b32_e32 v10, 0x7f800001
	s_mov_b32 s16, exec_lo
	s_delay_alu instid0(VALU_DEP_2)
	v_cmpx_ne_u32_e32 0x7f, v12
	s_cbranch_execz .LBB355_2644
; %bb.2641:                             ;   in Loop: Header=BB355_1581 Depth=1
	v_mov_b64_e32 v[18:19], v[16:17]
	v_lshrrev_b32_e32 v10, 3, v12
	s_mov_b32 s17, exec_lo
	v_cmpx_gt_u32_e32 8, v12
; %bb.2642:                             ;   in Loop: Header=BB355_1581 Depth=1
	v_and_b32_e32 v10, 7, v16
	s_delay_alu instid0(VALU_DEP_1) | instskip(NEXT) | instid1(VALU_DEP_1)
	v_clz_i32_u32_e32 v10, v10
	v_min_u32_e32 v10, 32, v10
	s_delay_alu instid0(VALU_DEP_1) | instskip(SKIP_1) | instid1(VALU_DEP_2)
	v_subrev_nc_u32_e32 v12, 28, v10
	v_sub_nc_u32_e32 v10, 29, v10
	v_lshlrev_b64_e32 v[18:19], v12, v[16:17]
; %bb.2643:                             ;   in Loop: Header=BB355_1581 Depth=1
	s_or_b32 exec_lo, exec_lo, s17
	s_delay_alu instid0(VALU_DEP_1) | instskip(NEXT) | instid1(VALU_DEP_3)
	v_dual_lshlrev_b32 v12, 20, v18 :: v_dual_lshlrev_b32 v13, 24, v16
	v_lshl_add_u32 v10, v10, 23, 0x3c000000
	s_delay_alu instid0(VALU_DEP_2) | instskip(NEXT) | instid1(VALU_DEP_3)
	v_and_b32_e32 v12, 0x700000, v12
	v_and_b32_e32 v13, 0x80000000, v13
	s_delay_alu instid0(VALU_DEP_1)
	v_or3_b32 v10, v12, v13, v10
.LBB355_2644:                           ;   in Loop: Header=BB355_1581 Depth=1
	s_or_b32 exec_lo, exec_lo, s16
.LBB355_2645:                           ;   in Loop: Header=BB355_1581 Depth=1
	s_delay_alu instid0(SALU_CYCLE_1)
	s_or_b32 exec_lo, exec_lo, s15
.LBB355_2646:                           ;   in Loop: Header=BB355_1581 Depth=1
	s_delay_alu instid0(SALU_CYCLE_1) | instskip(SKIP_2) | instid1(VALU_DEP_1)
	s_or_b32 exec_lo, exec_lo, s14
	v_lshrrev_b16 v12, 8, v16
	s_mov_b32 s14, exec_lo
	v_cmpx_ne_u16_e32 0, v12
	s_cbranch_execz .LBB355_2654
; %bb.2647:                             ;   in Loop: Header=BB355_1581 Depth=1
	v_bfrev_b32_e32 v11, 1
	s_mov_b32 s15, exec_lo
	v_cmpx_ne_u16_e32 0x80, v12
	s_cbranch_execz .LBB355_2653
; %bb.2648:                             ;   in Loop: Header=BB355_1581 Depth=1
	v_and_b32_e32 v13, 0xffff, v12
	v_mov_b32_e32 v11, 0x7f800001
	s_mov_b32 s16, exec_lo
	s_delay_alu instid0(VALU_DEP_2) | instskip(NEXT) | instid1(VALU_DEP_1)
	v_and_b32_e32 v12, 0x7f, v13
	v_cmpx_ne_u32_e32 0x7f, v12
	s_cbranch_execz .LBB355_2652
; %bb.2649:                             ;   in Loop: Header=BB355_1581 Depth=1
	v_dual_lshrrev_b32 v11, 3, v12 :: v_dual_bitop2_b32 v26, 7, v13 bitop3:0x40
	s_mov_b32 s17, exec_lo
	s_delay_alu instid0(VALU_DEP_1)
	v_mov_b64_e32 v[18:19], v[26:27]
	v_cmpx_gt_u32_e32 8, v12
; %bb.2650:                             ;   in Loop: Header=BB355_1581 Depth=1
	v_clz_i32_u32_e32 v11, v26
	s_delay_alu instid0(VALU_DEP_1) | instskip(NEXT) | instid1(VALU_DEP_1)
	v_min_u32_e32 v11, 32, v11
	v_subrev_nc_u32_e32 v12, 28, v11
	s_delay_alu instid0(VALU_DEP_1) | instskip(NEXT) | instid1(VALU_DEP_1)
	v_lshlrev_b64_e32 v[12:13], v12, v[26:27]
	v_dual_sub_nc_u32 v11, 29, v11 :: v_dual_bitop2_b32 v18, 7, v12 bitop3:0x40
; %bb.2651:                             ;   in Loop: Header=BB355_1581 Depth=1
	s_or_b32 exec_lo, exec_lo, s17
	s_delay_alu instid0(VALU_DEP_1) | instskip(NEXT) | instid1(VALU_DEP_2)
	v_dual_lshlrev_b32 v12, 16, v16 :: v_dual_lshlrev_b32 v13, 20, v18
	v_lshl_add_u32 v11, v11, 23, 0x3c000000
	s_delay_alu instid0(VALU_DEP_2) | instskip(NEXT) | instid1(VALU_DEP_1)
	v_and_b32_e32 v12, 0x80000000, v12
	v_or3_b32 v11, v13, v12, v11
.LBB355_2652:                           ;   in Loop: Header=BB355_1581 Depth=1
	s_or_b32 exec_lo, exec_lo, s16
.LBB355_2653:                           ;   in Loop: Header=BB355_1581 Depth=1
	s_delay_alu instid0(SALU_CYCLE_1)
	s_or_b32 exec_lo, exec_lo, s15
.LBB355_2654:                           ;   in Loop: Header=BB355_1581 Depth=1
	s_delay_alu instid0(SALU_CYCLE_1) | instskip(SKIP_3) | instid1(VALU_DEP_2)
	s_or_b32 exec_lo, exec_lo, s14
	v_dual_mov_b32 v13, 0 :: v_dual_lshrrev_b32 v14, 16, v16
	v_mov_b32_e32 v12, 0
	s_mov_b32 s14, exec_lo
	v_and_b32_e32 v15, 0xff, v14
	s_delay_alu instid0(VALU_DEP_1)
	v_cmpx_ne_u16_e32 0, v15
	s_cbranch_execz .LBB355_2662
; %bb.2655:                             ;   in Loop: Header=BB355_1581 Depth=1
	v_bfrev_b32_e32 v12, 1
	s_mov_b32 s15, exec_lo
	v_cmpx_ne_u16_e32 0x80, v15
	s_cbranch_execz .LBB355_2661
; %bb.2656:                             ;   in Loop: Header=BB355_1581 Depth=1
	v_bfe_u32 v15, v16, 16, 7
	v_mov_b32_e32 v12, 0x7f800001
	s_mov_b32 s16, exec_lo
	s_delay_alu instid0(VALU_DEP_2)
	v_cmpx_ne_u32_e32 0x7f, v15
	s_cbranch_execz .LBB355_2660
; %bb.2657:                             ;   in Loop: Header=BB355_1581 Depth=1
	v_dual_lshrrev_b32 v12, 3, v15 :: v_dual_bitop2_b32 v26, 7, v14 bitop3:0x40
	s_mov_b32 s17, exec_lo
	s_delay_alu instid0(VALU_DEP_1)
	v_mov_b64_e32 v[18:19], v[26:27]
	v_cmpx_gt_u32_e32 8, v15
; %bb.2658:                             ;   in Loop: Header=BB355_1581 Depth=1
	v_clz_i32_u32_e32 v12, v26
	s_delay_alu instid0(VALU_DEP_1) | instskip(NEXT) | instid1(VALU_DEP_1)
	v_min_u32_e32 v12, 32, v12
	v_subrev_nc_u32_e32 v15, 28, v12
	s_delay_alu instid0(VALU_DEP_1) | instskip(NEXT) | instid1(VALU_DEP_1)
	v_lshlrev_b64_e32 v[18:19], v15, v[26:27]
	v_dual_sub_nc_u32 v12, 29, v12 :: v_dual_bitop2_b32 v18, 7, v18 bitop3:0x40
; %bb.2659:                             ;   in Loop: Header=BB355_1581 Depth=1
	s_or_b32 exec_lo, exec_lo, s17
	v_lshlrev_b32_e32 v14, 24, v14
	s_delay_alu instid0(VALU_DEP_2) | instskip(NEXT) | instid1(VALU_DEP_3)
	v_lshlrev_b32_e32 v15, 20, v18
	v_lshl_add_u32 v12, v12, 23, 0x3c000000
	s_delay_alu instid0(VALU_DEP_3) | instskip(NEXT) | instid1(VALU_DEP_1)
	v_and_b32_e32 v14, 0x80000000, v14
	v_or3_b32 v12, v15, v14, v12
.LBB355_2660:                           ;   in Loop: Header=BB355_1581 Depth=1
	s_or_b32 exec_lo, exec_lo, s16
.LBB355_2661:                           ;   in Loop: Header=BB355_1581 Depth=1
	s_delay_alu instid0(SALU_CYCLE_1)
	s_or_b32 exec_lo, exec_lo, s15
.LBB355_2662:                           ;   in Loop: Header=BB355_1581 Depth=1
	s_delay_alu instid0(SALU_CYCLE_1) | instskip(NEXT) | instid1(SALU_CYCLE_1)
	s_or_b32 exec_lo, exec_lo, s14
	s_mov_b32 s14, exec_lo
	v_cmpx_lt_u32_e32 0xffffff, v16
	s_cbranch_execz .LBB355_2670
; %bb.2663:                             ;   in Loop: Header=BB355_1581 Depth=1
	v_lshrrev_b32_e32 v14, 24, v16
	v_bfrev_b32_e32 v13, 1
	s_mov_b32 s15, exec_lo
	s_delay_alu instid0(VALU_DEP_2)
	v_cmpx_ne_u32_e32 0x80, v14
	s_cbranch_execz .LBB355_2669
; %bb.2664:                             ;   in Loop: Header=BB355_1581 Depth=1
	v_bfe_u32 v15, v16, 24, 7
	v_mov_b32_e32 v13, 0x7f800001
	s_mov_b32 s16, exec_lo
	s_delay_alu instid0(VALU_DEP_2)
	v_cmpx_ne_u32_e32 0x7f, v15
	s_cbranch_execz .LBB355_2668
; %bb.2665:                             ;   in Loop: Header=BB355_1581 Depth=1
	v_dual_lshrrev_b32 v13, 3, v15 :: v_dual_bitop2_b32 v26, 7, v14 bitop3:0x40
	s_mov_b32 s17, exec_lo
	s_delay_alu instid0(VALU_DEP_1)
	v_mov_b64_e32 v[18:19], v[26:27]
	v_cmpx_gt_u32_e32 8, v15
; %bb.2666:                             ;   in Loop: Header=BB355_1581 Depth=1
	v_clz_i32_u32_e32 v13, v26
	s_delay_alu instid0(VALU_DEP_1) | instskip(NEXT) | instid1(VALU_DEP_1)
	v_min_u32_e32 v13, 32, v13
	v_subrev_nc_u32_e32 v15, 28, v13
	s_delay_alu instid0(VALU_DEP_1) | instskip(NEXT) | instid1(VALU_DEP_1)
	v_lshlrev_b64_e32 v[18:19], v15, v[26:27]
	v_dual_sub_nc_u32 v13, 29, v13 :: v_dual_bitop2_b32 v18, 7, v18 bitop3:0x40
; %bb.2667:                             ;   in Loop: Header=BB355_1581 Depth=1
	s_or_b32 exec_lo, exec_lo, s17
	v_lshlrev_b32_e32 v14, 24, v14
	s_delay_alu instid0(VALU_DEP_2) | instskip(NEXT) | instid1(VALU_DEP_3)
	v_lshlrev_b32_e32 v15, 20, v18
	v_lshl_add_u32 v13, v13, 23, 0x3c000000
	s_delay_alu instid0(VALU_DEP_3) | instskip(NEXT) | instid1(VALU_DEP_1)
	v_and_b32_e32 v14, 0x80000000, v14
	v_or3_b32 v13, v15, v14, v13
.LBB355_2668:                           ;   in Loop: Header=BB355_1581 Depth=1
	s_or_b32 exec_lo, exec_lo, s16
.LBB355_2669:                           ;   in Loop: Header=BB355_1581 Depth=1
	s_delay_alu instid0(SALU_CYCLE_1)
	s_or_b32 exec_lo, exec_lo, s15
.LBB355_2670:                           ;   in Loop: Header=BB355_1581 Depth=1
	s_delay_alu instid0(SALU_CYCLE_1) | instskip(SKIP_4) | instid1(VALU_DEP_3)
	s_or_b32 exec_lo, exec_lo, s14
	v_and_b32_e32 v18, 0xff, v17
	v_dual_mov_b32 v26, v17 :: v_dual_mov_b32 v15, 0
	v_mov_b32_e32 v14, 0
	s_mov_b32 s14, exec_lo
	v_cmpx_ne_u16_e32 0, v18
	s_cbranch_execz .LBB355_2678
; %bb.2671:                             ;   in Loop: Header=BB355_1581 Depth=1
	v_bfrev_b32_e32 v14, 1
	s_mov_b32 s15, exec_lo
	v_cmpx_ne_u16_e32 0x80, v18
	s_cbranch_execz .LBB355_2677
; %bb.2672:                             ;   in Loop: Header=BB355_1581 Depth=1
	v_and_b32_e32 v20, 0x7f, v17
	v_mov_b32_e32 v14, 0x7f800001
	s_mov_b32 s16, exec_lo
	s_delay_alu instid0(VALU_DEP_2)
	v_cmpx_ne_u32_e32 0x7f, v20
	s_cbranch_execz .LBB355_2676
; %bb.2673:                             ;   in Loop: Header=BB355_1581 Depth=1
	v_mov_b64_e32 v[18:19], v[26:27]
	v_lshrrev_b32_e32 v14, 3, v20
	s_mov_b32 s17, exec_lo
	v_cmpx_gt_u32_e32 8, v20
; %bb.2674:                             ;   in Loop: Header=BB355_1581 Depth=1
	v_and_b32_e32 v14, 7, v17
	s_delay_alu instid0(VALU_DEP_1) | instskip(NEXT) | instid1(VALU_DEP_1)
	v_clz_i32_u32_e32 v14, v14
	v_min_u32_e32 v14, 32, v14
	s_delay_alu instid0(VALU_DEP_1) | instskip(SKIP_1) | instid1(VALU_DEP_2)
	v_subrev_nc_u32_e32 v18, 28, v14
	v_sub_nc_u32_e32 v14, 29, v14
	v_lshlrev_b64_e32 v[18:19], v18, v[26:27]
; %bb.2675:                             ;   in Loop: Header=BB355_1581 Depth=1
	s_or_b32 exec_lo, exec_lo, s17
	s_delay_alu instid0(VALU_DEP_1) | instskip(SKIP_2) | instid1(VALU_DEP_3)
	v_lshlrev_b32_e32 v18, 20, v18
	v_lshlrev_b32_e32 v19, 24, v26
	v_lshl_add_u32 v14, v14, 23, 0x3c000000
	v_and_b32_e32 v18, 0x700000, v18
	s_delay_alu instid0(VALU_DEP_3) | instskip(NEXT) | instid1(VALU_DEP_1)
	v_and_b32_e32 v19, 0x80000000, v19
	v_or3_b32 v14, v18, v19, v14
.LBB355_2676:                           ;   in Loop: Header=BB355_1581 Depth=1
	s_or_b32 exec_lo, exec_lo, s16
.LBB355_2677:                           ;   in Loop: Header=BB355_1581 Depth=1
	s_delay_alu instid0(SALU_CYCLE_1)
	s_or_b32 exec_lo, exec_lo, s15
.LBB355_2678:                           ;   in Loop: Header=BB355_1581 Depth=1
	s_delay_alu instid0(SALU_CYCLE_1) | instskip(SKIP_2) | instid1(VALU_DEP_1)
	s_or_b32 exec_lo, exec_lo, s14
	v_lshrrev_b16 v18, 8, v26
	s_mov_b32 s14, exec_lo
	v_cmpx_ne_u16_e32 0, v18
	s_cbranch_execz .LBB355_2686
; %bb.2679:                             ;   in Loop: Header=BB355_1581 Depth=1
	v_bfrev_b32_e32 v15, 1
	s_mov_b32 s15, exec_lo
	v_cmpx_ne_u16_e32 0x80, v18
	s_cbranch_execz .LBB355_2685
; %bb.2680:                             ;   in Loop: Header=BB355_1581 Depth=1
	v_and_b32_e32 v18, 0xffff, v18
	v_mov_b32_e32 v15, 0x7f800001
	s_mov_b32 s16, exec_lo
	s_delay_alu instid0(VALU_DEP_2) | instskip(NEXT) | instid1(VALU_DEP_1)
	v_and_b32_e32 v20, 0x7f, v18
	v_cmpx_ne_u32_e32 0x7f, v20
	s_cbranch_execz .LBB355_2684
; %bb.2681:                             ;   in Loop: Header=BB355_1581 Depth=1
	v_dual_mov_b32 v19, v27 :: v_dual_bitop2_b32 v18, 7, v18 bitop3:0x40
	v_lshrrev_b32_e32 v15, 3, v20
	s_mov_b32 s17, exec_lo
	v_cmpx_gt_u32_e32 8, v20
; %bb.2682:                             ;   in Loop: Header=BB355_1581 Depth=1
	s_delay_alu instid0(VALU_DEP_3) | instskip(NEXT) | instid1(VALU_DEP_1)
	v_clz_i32_u32_e32 v15, v18
	v_min_u32_e32 v15, 32, v15
	s_delay_alu instid0(VALU_DEP_1) | instskip(NEXT) | instid1(VALU_DEP_1)
	v_subrev_nc_u32_e32 v20, 28, v15
	v_lshlrev_b64_e32 v[18:19], v20, v[18:19]
	s_delay_alu instid0(VALU_DEP_1)
	v_dual_sub_nc_u32 v15, 29, v15 :: v_dual_bitop2_b32 v18, 7, v18 bitop3:0x40
; %bb.2683:                             ;   in Loop: Header=BB355_1581 Depth=1
	s_or_b32 exec_lo, exec_lo, s17
	v_lshlrev_b32_e32 v19, 16, v26
	s_delay_alu instid0(VALU_DEP_2) | instskip(NEXT) | instid1(VALU_DEP_3)
	v_lshlrev_b32_e32 v18, 20, v18
	v_lshl_add_u32 v15, v15, 23, 0x3c000000
	s_delay_alu instid0(VALU_DEP_3) | instskip(NEXT) | instid1(VALU_DEP_1)
	v_and_b32_e32 v19, 0x80000000, v19
	v_or3_b32 v15, v18, v19, v15
.LBB355_2684:                           ;   in Loop: Header=BB355_1581 Depth=1
	s_or_b32 exec_lo, exec_lo, s16
.LBB355_2685:                           ;   in Loop: Header=BB355_1581 Depth=1
	s_delay_alu instid0(SALU_CYCLE_1)
	s_or_b32 exec_lo, exec_lo, s15
.LBB355_2686:                           ;   in Loop: Header=BB355_1581 Depth=1
	s_delay_alu instid0(SALU_CYCLE_1) | instskip(SKIP_3) | instid1(VALU_DEP_2)
	s_or_b32 exec_lo, exec_lo, s14
	v_dual_mov_b32 v20, 0 :: v_dual_lshrrev_b32 v21, 16, v17
	v_mov_b32_e32 v18, 0
	s_mov_b32 s14, exec_lo
	v_and_b32_e32 v19, 0xff, v21
	s_delay_alu instid0(VALU_DEP_1)
	v_cmpx_ne_u16_e32 0, v19
	s_cbranch_execz .LBB355_2694
; %bb.2687:                             ;   in Loop: Header=BB355_1581 Depth=1
	v_bfrev_b32_e32 v18, 1
	s_mov_b32 s15, exec_lo
	v_cmpx_ne_u16_e32 0x80, v19
	s_cbranch_execz .LBB355_2693
; %bb.2688:                             ;   in Loop: Header=BB355_1581 Depth=1
	v_bfe_u32 v24, v17, 16, 7
	v_mov_b32_e32 v18, 0x7f800001
	s_mov_b32 s16, exec_lo
	s_delay_alu instid0(VALU_DEP_2)
	v_cmpx_ne_u32_e32 0x7f, v24
	s_cbranch_execz .LBB355_2692
; %bb.2689:                             ;   in Loop: Header=BB355_1581 Depth=1
	v_and_b32_e32 v26, 7, v21
	s_mov_b32 s17, exec_lo
	s_delay_alu instid0(VALU_DEP_1)
	v_mov_b64_e32 v[18:19], v[26:27]
	v_lshrrev_b32_e32 v19, 3, v24
	v_cmpx_gt_u32_e32 8, v24
; %bb.2690:                             ;   in Loop: Header=BB355_1581 Depth=1
	v_clz_i32_u32_e32 v18, v26
	s_delay_alu instid0(VALU_DEP_1) | instskip(NEXT) | instid1(VALU_DEP_1)
	v_min_u32_e32 v24, 32, v18
	v_subrev_nc_u32_e32 v18, 28, v24
	s_delay_alu instid0(VALU_DEP_1) | instskip(NEXT) | instid1(VALU_DEP_1)
	v_lshlrev_b64_e32 v[18:19], v18, v[26:27]
	v_dual_sub_nc_u32 v19, 29, v24 :: v_dual_bitop2_b32 v18, 7, v18 bitop3:0x40
; %bb.2691:                             ;   in Loop: Header=BB355_1581 Depth=1
	s_or_b32 exec_lo, exec_lo, s17
	s_delay_alu instid0(VALU_DEP_1) | instskip(NEXT) | instid1(VALU_DEP_2)
	v_dual_lshlrev_b32 v21, 24, v21 :: v_dual_lshlrev_b32 v18, 20, v18
	v_lshl_add_u32 v19, v19, 23, 0x3c000000
	s_delay_alu instid0(VALU_DEP_2) | instskip(NEXT) | instid1(VALU_DEP_1)
	v_and_b32_e32 v21, 0x80000000, v21
	v_or3_b32 v18, v18, v21, v19
.LBB355_2692:                           ;   in Loop: Header=BB355_1581 Depth=1
	s_or_b32 exec_lo, exec_lo, s16
.LBB355_2693:                           ;   in Loop: Header=BB355_1581 Depth=1
	s_delay_alu instid0(SALU_CYCLE_1)
	s_or_b32 exec_lo, exec_lo, s15
.LBB355_2694:                           ;   in Loop: Header=BB355_1581 Depth=1
	s_delay_alu instid0(SALU_CYCLE_1) | instskip(NEXT) | instid1(SALU_CYCLE_1)
	s_or_b32 exec_lo, exec_lo, s14
	s_mov_b32 s14, exec_lo
	v_cmpx_lt_u64_e64 s[2:3], v[16:17]
	s_cbranch_execz .LBB355_2702
; %bb.2695:                             ;   in Loop: Header=BB355_1581 Depth=1
	v_lshrrev_b32_e32 v19, 24, v17
	v_bfrev_b32_e32 v20, 1
	s_mov_b32 s15, exec_lo
	s_delay_alu instid0(VALU_DEP_2)
	v_cmpx_ne_u32_e32 0x80, v19
	s_cbranch_execz .LBB355_2701
; %bb.2696:                             ;   in Loop: Header=BB355_1581 Depth=1
	v_bfe_u32 v21, v17, 24, 7
	v_mov_b32_e32 v20, 0x7f800001
	s_mov_b32 s16, exec_lo
	s_delay_alu instid0(VALU_DEP_2)
	v_cmpx_ne_u32_e32 0x7f, v21
	s_cbranch_execz .LBB355_2700
; %bb.2697:                             ;   in Loop: Header=BB355_1581 Depth=1
	v_and_b32_e32 v26, 7, v19
	s_mov_b32 s17, exec_lo
	s_delay_alu instid0(VALU_DEP_1)
	v_mov_b64_e32 v[16:17], v[26:27]
	v_lshrrev_b32_e32 v17, 3, v21
	v_cmpx_gt_u32_e32 8, v21
; %bb.2698:                             ;   in Loop: Header=BB355_1581 Depth=1
	v_clz_i32_u32_e32 v16, v26
	s_delay_alu instid0(VALU_DEP_1) | instskip(NEXT) | instid1(VALU_DEP_1)
	v_min_u32_e32 v20, 32, v16
	v_subrev_nc_u32_e32 v16, 28, v20
	s_delay_alu instid0(VALU_DEP_1) | instskip(SKIP_1) | instid1(VALU_DEP_2)
	v_lshlrev_b64_e32 v[16:17], v16, v[26:27]
	v_sub_nc_u32_e32 v17, 29, v20
	v_and_b32_e32 v16, 7, v16
; %bb.2699:                             ;   in Loop: Header=BB355_1581 Depth=1
	s_or_b32 exec_lo, exec_lo, s17
	s_delay_alu instid0(VALU_DEP_1) | instskip(NEXT) | instid1(VALU_DEP_3)
	v_dual_lshlrev_b32 v19, 24, v19 :: v_dual_lshlrev_b32 v16, 20, v16
	v_lshl_add_u32 v17, v17, 23, 0x3c000000
	s_delay_alu instid0(VALU_DEP_2) | instskip(NEXT) | instid1(VALU_DEP_1)
	v_and_b32_e32 v19, 0x80000000, v19
	v_or3_b32 v20, v16, v19, v17
.LBB355_2700:                           ;   in Loop: Header=BB355_1581 Depth=1
	s_or_b32 exec_lo, exec_lo, s16
.LBB355_2701:                           ;   in Loop: Header=BB355_1581 Depth=1
	s_delay_alu instid0(SALU_CYCLE_1)
	s_or_b32 exec_lo, exec_lo, s15
.LBB355_2702:                           ;   in Loop: Header=BB355_1581 Depth=1
	s_delay_alu instid0(SALU_CYCLE_1)
	s_or_b32 exec_lo, exec_lo, s14
	v_fma_mixlo_bf16 v88, v116, v15, 0
	v_fma_mixlo_bf16 v89, v116, v14, 0
	;; [unrolled: 1-line block ×8, first 2 shown]
	s_and_saveexec_b32 s14, vcc_lo
	s_cbranch_execz .LBB355_2704
; %bb.2703:                             ;   in Loop: Header=BB355_1581 Depth=1
	v_cmp_lt_i32_e64 s0, v115, v119
	s_delay_alu instid0(VALU_DEP_1) | instskip(SKIP_1) | instid1(VALU_DEP_1)
	v_cndmask_b32_e64 v95, 0, v95, s0
	v_cmp_lt_i32_e64 s0, v59, v119
	v_cndmask_b32_e64 v74, 0, v74, s0
	v_cmp_lt_i32_e64 s0, v58, v119
	s_delay_alu instid0(VALU_DEP_1) | instskip(SKIP_1) | instid1(VALU_DEP_1)
	v_cndmask_b32_e64 v93, 0, v93, s0
	v_cmp_lt_i32_e64 s0, v57, v119
	v_cndmask_b32_e64 v91, 0, v91, s0
	;; [unrolled: 5-line block ×4, first 2 shown]
.LBB355_2704:                           ;   in Loop: Header=BB355_1581 Depth=1
	s_or_b32 exec_lo, exec_lo, s14
	flat_load_b64 v[16:17], v[0:1] offset:4352
	v_dual_mov_b32 v11, 0 :: v_dual_mov_b32 v10, 0
	s_mov_b32 s14, exec_lo
	s_wait_loadcnt_dscnt 0x0
	v_and_b32_e32 v12, 0xff, v16
	s_wait_xcnt 0x0
	s_delay_alu instid0(VALU_DEP_1)
	v_cmpx_ne_u16_e32 0, v12
	s_cbranch_execz .LBB355_2712
; %bb.2705:                             ;   in Loop: Header=BB355_1581 Depth=1
	v_bfrev_b32_e32 v10, 1
	s_mov_b32 s15, exec_lo
	v_cmpx_ne_u16_e32 0x80, v12
	s_cbranch_execz .LBB355_2711
; %bb.2706:                             ;   in Loop: Header=BB355_1581 Depth=1
	v_and_b32_e32 v12, 0x7f, v16
	v_mov_b32_e32 v10, 0x7f800001
	s_mov_b32 s16, exec_lo
	s_delay_alu instid0(VALU_DEP_2)
	v_cmpx_ne_u32_e32 0x7f, v12
	s_cbranch_execz .LBB355_2710
; %bb.2707:                             ;   in Loop: Header=BB355_1581 Depth=1
	v_mov_b64_e32 v[18:19], v[16:17]
	v_lshrrev_b32_e32 v10, 3, v12
	s_mov_b32 s17, exec_lo
	v_cmpx_gt_u32_e32 8, v12
; %bb.2708:                             ;   in Loop: Header=BB355_1581 Depth=1
	v_and_b32_e32 v10, 7, v16
	s_delay_alu instid0(VALU_DEP_1) | instskip(NEXT) | instid1(VALU_DEP_1)
	v_clz_i32_u32_e32 v10, v10
	v_min_u32_e32 v10, 32, v10
	s_delay_alu instid0(VALU_DEP_1) | instskip(SKIP_1) | instid1(VALU_DEP_2)
	v_subrev_nc_u32_e32 v12, 28, v10
	v_sub_nc_u32_e32 v10, 29, v10
	v_lshlrev_b64_e32 v[18:19], v12, v[16:17]
; %bb.2709:                             ;   in Loop: Header=BB355_1581 Depth=1
	s_or_b32 exec_lo, exec_lo, s17
	s_delay_alu instid0(VALU_DEP_1) | instskip(NEXT) | instid1(VALU_DEP_3)
	v_dual_lshlrev_b32 v12, 20, v18 :: v_dual_lshlrev_b32 v13, 24, v16
	v_lshl_add_u32 v10, v10, 23, 0x3c000000
	s_delay_alu instid0(VALU_DEP_2) | instskip(NEXT) | instid1(VALU_DEP_3)
	v_and_b32_e32 v12, 0x700000, v12
	v_and_b32_e32 v13, 0x80000000, v13
	s_delay_alu instid0(VALU_DEP_1)
	v_or3_b32 v10, v12, v13, v10
.LBB355_2710:                           ;   in Loop: Header=BB355_1581 Depth=1
	s_or_b32 exec_lo, exec_lo, s16
.LBB355_2711:                           ;   in Loop: Header=BB355_1581 Depth=1
	s_delay_alu instid0(SALU_CYCLE_1)
	s_or_b32 exec_lo, exec_lo, s15
.LBB355_2712:                           ;   in Loop: Header=BB355_1581 Depth=1
	s_delay_alu instid0(SALU_CYCLE_1) | instskip(SKIP_2) | instid1(VALU_DEP_1)
	s_or_b32 exec_lo, exec_lo, s14
	v_lshrrev_b16 v12, 8, v16
	s_mov_b32 s14, exec_lo
	v_cmpx_ne_u16_e32 0, v12
	s_cbranch_execz .LBB355_2720
; %bb.2713:                             ;   in Loop: Header=BB355_1581 Depth=1
	v_bfrev_b32_e32 v11, 1
	s_mov_b32 s15, exec_lo
	v_cmpx_ne_u16_e32 0x80, v12
	s_cbranch_execz .LBB355_2719
; %bb.2714:                             ;   in Loop: Header=BB355_1581 Depth=1
	v_and_b32_e32 v13, 0xffff, v12
	v_mov_b32_e32 v11, 0x7f800001
	s_mov_b32 s16, exec_lo
	s_delay_alu instid0(VALU_DEP_2) | instskip(NEXT) | instid1(VALU_DEP_1)
	v_and_b32_e32 v12, 0x7f, v13
	v_cmpx_ne_u32_e32 0x7f, v12
	s_cbranch_execz .LBB355_2718
; %bb.2715:                             ;   in Loop: Header=BB355_1581 Depth=1
	v_dual_lshrrev_b32 v11, 3, v12 :: v_dual_bitop2_b32 v26, 7, v13 bitop3:0x40
	s_mov_b32 s17, exec_lo
	s_delay_alu instid0(VALU_DEP_1)
	v_mov_b64_e32 v[18:19], v[26:27]
	v_cmpx_gt_u32_e32 8, v12
; %bb.2716:                             ;   in Loop: Header=BB355_1581 Depth=1
	v_clz_i32_u32_e32 v11, v26
	s_delay_alu instid0(VALU_DEP_1) | instskip(NEXT) | instid1(VALU_DEP_1)
	v_min_u32_e32 v11, 32, v11
	v_subrev_nc_u32_e32 v12, 28, v11
	s_delay_alu instid0(VALU_DEP_1) | instskip(NEXT) | instid1(VALU_DEP_1)
	v_lshlrev_b64_e32 v[12:13], v12, v[26:27]
	v_dual_sub_nc_u32 v11, 29, v11 :: v_dual_bitop2_b32 v18, 7, v12 bitop3:0x40
; %bb.2717:                             ;   in Loop: Header=BB355_1581 Depth=1
	s_or_b32 exec_lo, exec_lo, s17
	s_delay_alu instid0(VALU_DEP_1) | instskip(NEXT) | instid1(VALU_DEP_2)
	v_dual_lshlrev_b32 v12, 16, v16 :: v_dual_lshlrev_b32 v13, 20, v18
	v_lshl_add_u32 v11, v11, 23, 0x3c000000
	s_delay_alu instid0(VALU_DEP_2) | instskip(NEXT) | instid1(VALU_DEP_1)
	v_and_b32_e32 v12, 0x80000000, v12
	v_or3_b32 v11, v13, v12, v11
.LBB355_2718:                           ;   in Loop: Header=BB355_1581 Depth=1
	s_or_b32 exec_lo, exec_lo, s16
.LBB355_2719:                           ;   in Loop: Header=BB355_1581 Depth=1
	s_delay_alu instid0(SALU_CYCLE_1)
	s_or_b32 exec_lo, exec_lo, s15
.LBB355_2720:                           ;   in Loop: Header=BB355_1581 Depth=1
	s_delay_alu instid0(SALU_CYCLE_1) | instskip(SKIP_3) | instid1(VALU_DEP_2)
	s_or_b32 exec_lo, exec_lo, s14
	v_dual_mov_b32 v13, 0 :: v_dual_lshrrev_b32 v14, 16, v16
	v_mov_b32_e32 v12, 0
	s_mov_b32 s14, exec_lo
	v_and_b32_e32 v15, 0xff, v14
	s_delay_alu instid0(VALU_DEP_1)
	v_cmpx_ne_u16_e32 0, v15
	s_cbranch_execz .LBB355_2728
; %bb.2721:                             ;   in Loop: Header=BB355_1581 Depth=1
	v_bfrev_b32_e32 v12, 1
	s_mov_b32 s15, exec_lo
	v_cmpx_ne_u16_e32 0x80, v15
	s_cbranch_execz .LBB355_2727
; %bb.2722:                             ;   in Loop: Header=BB355_1581 Depth=1
	v_bfe_u32 v15, v16, 16, 7
	v_mov_b32_e32 v12, 0x7f800001
	s_mov_b32 s16, exec_lo
	s_delay_alu instid0(VALU_DEP_2)
	v_cmpx_ne_u32_e32 0x7f, v15
	s_cbranch_execz .LBB355_2726
; %bb.2723:                             ;   in Loop: Header=BB355_1581 Depth=1
	v_dual_lshrrev_b32 v12, 3, v15 :: v_dual_bitop2_b32 v26, 7, v14 bitop3:0x40
	s_mov_b32 s17, exec_lo
	s_delay_alu instid0(VALU_DEP_1)
	v_mov_b64_e32 v[18:19], v[26:27]
	v_cmpx_gt_u32_e32 8, v15
; %bb.2724:                             ;   in Loop: Header=BB355_1581 Depth=1
	v_clz_i32_u32_e32 v12, v26
	s_delay_alu instid0(VALU_DEP_1) | instskip(NEXT) | instid1(VALU_DEP_1)
	v_min_u32_e32 v12, 32, v12
	v_subrev_nc_u32_e32 v15, 28, v12
	s_delay_alu instid0(VALU_DEP_1) | instskip(NEXT) | instid1(VALU_DEP_1)
	v_lshlrev_b64_e32 v[18:19], v15, v[26:27]
	v_dual_sub_nc_u32 v12, 29, v12 :: v_dual_bitop2_b32 v18, 7, v18 bitop3:0x40
; %bb.2725:                             ;   in Loop: Header=BB355_1581 Depth=1
	s_or_b32 exec_lo, exec_lo, s17
	v_lshlrev_b32_e32 v14, 24, v14
	s_delay_alu instid0(VALU_DEP_2) | instskip(NEXT) | instid1(VALU_DEP_3)
	v_lshlrev_b32_e32 v15, 20, v18
	v_lshl_add_u32 v12, v12, 23, 0x3c000000
	s_delay_alu instid0(VALU_DEP_3) | instskip(NEXT) | instid1(VALU_DEP_1)
	v_and_b32_e32 v14, 0x80000000, v14
	v_or3_b32 v12, v15, v14, v12
.LBB355_2726:                           ;   in Loop: Header=BB355_1581 Depth=1
	s_or_b32 exec_lo, exec_lo, s16
.LBB355_2727:                           ;   in Loop: Header=BB355_1581 Depth=1
	s_delay_alu instid0(SALU_CYCLE_1)
	s_or_b32 exec_lo, exec_lo, s15
.LBB355_2728:                           ;   in Loop: Header=BB355_1581 Depth=1
	s_delay_alu instid0(SALU_CYCLE_1) | instskip(NEXT) | instid1(SALU_CYCLE_1)
	s_or_b32 exec_lo, exec_lo, s14
	s_mov_b32 s14, exec_lo
	v_cmpx_lt_u32_e32 0xffffff, v16
	s_cbranch_execz .LBB355_2736
; %bb.2729:                             ;   in Loop: Header=BB355_1581 Depth=1
	v_lshrrev_b32_e32 v14, 24, v16
	v_bfrev_b32_e32 v13, 1
	s_mov_b32 s15, exec_lo
	s_delay_alu instid0(VALU_DEP_2)
	v_cmpx_ne_u32_e32 0x80, v14
	s_cbranch_execz .LBB355_2735
; %bb.2730:                             ;   in Loop: Header=BB355_1581 Depth=1
	v_bfe_u32 v15, v16, 24, 7
	v_mov_b32_e32 v13, 0x7f800001
	s_mov_b32 s16, exec_lo
	s_delay_alu instid0(VALU_DEP_2)
	v_cmpx_ne_u32_e32 0x7f, v15
	s_cbranch_execz .LBB355_2734
; %bb.2731:                             ;   in Loop: Header=BB355_1581 Depth=1
	v_dual_lshrrev_b32 v13, 3, v15 :: v_dual_bitop2_b32 v26, 7, v14 bitop3:0x40
	s_mov_b32 s17, exec_lo
	s_delay_alu instid0(VALU_DEP_1)
	v_mov_b64_e32 v[18:19], v[26:27]
	v_cmpx_gt_u32_e32 8, v15
; %bb.2732:                             ;   in Loop: Header=BB355_1581 Depth=1
	v_clz_i32_u32_e32 v13, v26
	s_delay_alu instid0(VALU_DEP_1) | instskip(NEXT) | instid1(VALU_DEP_1)
	v_min_u32_e32 v13, 32, v13
	v_subrev_nc_u32_e32 v15, 28, v13
	s_delay_alu instid0(VALU_DEP_1) | instskip(NEXT) | instid1(VALU_DEP_1)
	v_lshlrev_b64_e32 v[18:19], v15, v[26:27]
	v_dual_sub_nc_u32 v13, 29, v13 :: v_dual_bitop2_b32 v18, 7, v18 bitop3:0x40
; %bb.2733:                             ;   in Loop: Header=BB355_1581 Depth=1
	s_or_b32 exec_lo, exec_lo, s17
	v_lshlrev_b32_e32 v14, 24, v14
	s_delay_alu instid0(VALU_DEP_2) | instskip(NEXT) | instid1(VALU_DEP_3)
	v_lshlrev_b32_e32 v15, 20, v18
	v_lshl_add_u32 v13, v13, 23, 0x3c000000
	s_delay_alu instid0(VALU_DEP_3) | instskip(NEXT) | instid1(VALU_DEP_1)
	v_and_b32_e32 v14, 0x80000000, v14
	v_or3_b32 v13, v15, v14, v13
.LBB355_2734:                           ;   in Loop: Header=BB355_1581 Depth=1
	s_or_b32 exec_lo, exec_lo, s16
.LBB355_2735:                           ;   in Loop: Header=BB355_1581 Depth=1
	s_delay_alu instid0(SALU_CYCLE_1)
	s_or_b32 exec_lo, exec_lo, s15
.LBB355_2736:                           ;   in Loop: Header=BB355_1581 Depth=1
	s_delay_alu instid0(SALU_CYCLE_1) | instskip(SKIP_4) | instid1(VALU_DEP_3)
	s_or_b32 exec_lo, exec_lo, s14
	v_and_b32_e32 v18, 0xff, v17
	v_dual_mov_b32 v26, v17 :: v_dual_mov_b32 v15, 0
	v_mov_b32_e32 v14, 0
	s_mov_b32 s14, exec_lo
	v_cmpx_ne_u16_e32 0, v18
	s_cbranch_execz .LBB355_2744
; %bb.2737:                             ;   in Loop: Header=BB355_1581 Depth=1
	v_bfrev_b32_e32 v14, 1
	s_mov_b32 s15, exec_lo
	v_cmpx_ne_u16_e32 0x80, v18
	s_cbranch_execz .LBB355_2743
; %bb.2738:                             ;   in Loop: Header=BB355_1581 Depth=1
	v_and_b32_e32 v20, 0x7f, v17
	v_mov_b32_e32 v14, 0x7f800001
	s_mov_b32 s16, exec_lo
	s_delay_alu instid0(VALU_DEP_2)
	v_cmpx_ne_u32_e32 0x7f, v20
	s_cbranch_execz .LBB355_2742
; %bb.2739:                             ;   in Loop: Header=BB355_1581 Depth=1
	v_mov_b64_e32 v[18:19], v[26:27]
	v_lshrrev_b32_e32 v14, 3, v20
	s_mov_b32 s17, exec_lo
	v_cmpx_gt_u32_e32 8, v20
; %bb.2740:                             ;   in Loop: Header=BB355_1581 Depth=1
	v_and_b32_e32 v14, 7, v17
	s_delay_alu instid0(VALU_DEP_1) | instskip(NEXT) | instid1(VALU_DEP_1)
	v_clz_i32_u32_e32 v14, v14
	v_min_u32_e32 v14, 32, v14
	s_delay_alu instid0(VALU_DEP_1) | instskip(SKIP_1) | instid1(VALU_DEP_2)
	v_subrev_nc_u32_e32 v18, 28, v14
	v_sub_nc_u32_e32 v14, 29, v14
	v_lshlrev_b64_e32 v[18:19], v18, v[26:27]
; %bb.2741:                             ;   in Loop: Header=BB355_1581 Depth=1
	s_or_b32 exec_lo, exec_lo, s17
	s_delay_alu instid0(VALU_DEP_1) | instskip(SKIP_2) | instid1(VALU_DEP_3)
	v_lshlrev_b32_e32 v18, 20, v18
	v_lshlrev_b32_e32 v19, 24, v26
	v_lshl_add_u32 v14, v14, 23, 0x3c000000
	v_and_b32_e32 v18, 0x700000, v18
	s_delay_alu instid0(VALU_DEP_3) | instskip(NEXT) | instid1(VALU_DEP_1)
	v_and_b32_e32 v19, 0x80000000, v19
	v_or3_b32 v14, v18, v19, v14
.LBB355_2742:                           ;   in Loop: Header=BB355_1581 Depth=1
	s_or_b32 exec_lo, exec_lo, s16
.LBB355_2743:                           ;   in Loop: Header=BB355_1581 Depth=1
	s_delay_alu instid0(SALU_CYCLE_1)
	s_or_b32 exec_lo, exec_lo, s15
.LBB355_2744:                           ;   in Loop: Header=BB355_1581 Depth=1
	s_delay_alu instid0(SALU_CYCLE_1) | instskip(SKIP_2) | instid1(VALU_DEP_1)
	s_or_b32 exec_lo, exec_lo, s14
	v_lshrrev_b16 v18, 8, v26
	s_mov_b32 s14, exec_lo
	v_cmpx_ne_u16_e32 0, v18
	s_cbranch_execz .LBB355_2752
; %bb.2745:                             ;   in Loop: Header=BB355_1581 Depth=1
	v_bfrev_b32_e32 v15, 1
	s_mov_b32 s15, exec_lo
	v_cmpx_ne_u16_e32 0x80, v18
	s_cbranch_execz .LBB355_2751
; %bb.2746:                             ;   in Loop: Header=BB355_1581 Depth=1
	v_and_b32_e32 v18, 0xffff, v18
	v_mov_b32_e32 v15, 0x7f800001
	s_mov_b32 s16, exec_lo
	s_delay_alu instid0(VALU_DEP_2) | instskip(NEXT) | instid1(VALU_DEP_1)
	v_and_b32_e32 v20, 0x7f, v18
	v_cmpx_ne_u32_e32 0x7f, v20
	s_cbranch_execz .LBB355_2750
; %bb.2747:                             ;   in Loop: Header=BB355_1581 Depth=1
	v_dual_mov_b32 v19, v27 :: v_dual_bitop2_b32 v18, 7, v18 bitop3:0x40
	v_lshrrev_b32_e32 v15, 3, v20
	s_mov_b32 s17, exec_lo
	v_cmpx_gt_u32_e32 8, v20
; %bb.2748:                             ;   in Loop: Header=BB355_1581 Depth=1
	s_delay_alu instid0(VALU_DEP_3) | instskip(NEXT) | instid1(VALU_DEP_1)
	v_clz_i32_u32_e32 v15, v18
	v_min_u32_e32 v15, 32, v15
	s_delay_alu instid0(VALU_DEP_1) | instskip(NEXT) | instid1(VALU_DEP_1)
	v_subrev_nc_u32_e32 v20, 28, v15
	v_lshlrev_b64_e32 v[18:19], v20, v[18:19]
	s_delay_alu instid0(VALU_DEP_1)
	v_dual_sub_nc_u32 v15, 29, v15 :: v_dual_bitop2_b32 v18, 7, v18 bitop3:0x40
; %bb.2749:                             ;   in Loop: Header=BB355_1581 Depth=1
	s_or_b32 exec_lo, exec_lo, s17
	v_lshlrev_b32_e32 v19, 16, v26
	s_delay_alu instid0(VALU_DEP_2) | instskip(NEXT) | instid1(VALU_DEP_3)
	v_lshlrev_b32_e32 v18, 20, v18
	v_lshl_add_u32 v15, v15, 23, 0x3c000000
	s_delay_alu instid0(VALU_DEP_3) | instskip(NEXT) | instid1(VALU_DEP_1)
	v_and_b32_e32 v19, 0x80000000, v19
	v_or3_b32 v15, v18, v19, v15
.LBB355_2750:                           ;   in Loop: Header=BB355_1581 Depth=1
	s_or_b32 exec_lo, exec_lo, s16
.LBB355_2751:                           ;   in Loop: Header=BB355_1581 Depth=1
	s_delay_alu instid0(SALU_CYCLE_1)
	s_or_b32 exec_lo, exec_lo, s15
.LBB355_2752:                           ;   in Loop: Header=BB355_1581 Depth=1
	s_delay_alu instid0(SALU_CYCLE_1) | instskip(SKIP_3) | instid1(VALU_DEP_2)
	s_or_b32 exec_lo, exec_lo, s14
	v_dual_mov_b32 v20, 0 :: v_dual_lshrrev_b32 v21, 16, v17
	v_mov_b32_e32 v18, 0
	s_mov_b32 s14, exec_lo
	v_and_b32_e32 v19, 0xff, v21
	s_delay_alu instid0(VALU_DEP_1)
	v_cmpx_ne_u16_e32 0, v19
	s_cbranch_execz .LBB355_2760
; %bb.2753:                             ;   in Loop: Header=BB355_1581 Depth=1
	v_bfrev_b32_e32 v18, 1
	s_mov_b32 s15, exec_lo
	v_cmpx_ne_u16_e32 0x80, v19
	s_cbranch_execz .LBB355_2759
; %bb.2754:                             ;   in Loop: Header=BB355_1581 Depth=1
	v_bfe_u32 v24, v17, 16, 7
	v_mov_b32_e32 v18, 0x7f800001
	s_mov_b32 s16, exec_lo
	s_delay_alu instid0(VALU_DEP_2)
	v_cmpx_ne_u32_e32 0x7f, v24
	s_cbranch_execz .LBB355_2758
; %bb.2755:                             ;   in Loop: Header=BB355_1581 Depth=1
	v_and_b32_e32 v26, 7, v21
	s_mov_b32 s17, exec_lo
	s_delay_alu instid0(VALU_DEP_1)
	v_mov_b64_e32 v[18:19], v[26:27]
	v_lshrrev_b32_e32 v19, 3, v24
	v_cmpx_gt_u32_e32 8, v24
; %bb.2756:                             ;   in Loop: Header=BB355_1581 Depth=1
	v_clz_i32_u32_e32 v18, v26
	s_delay_alu instid0(VALU_DEP_1) | instskip(NEXT) | instid1(VALU_DEP_1)
	v_min_u32_e32 v24, 32, v18
	v_subrev_nc_u32_e32 v18, 28, v24
	s_delay_alu instid0(VALU_DEP_1) | instskip(NEXT) | instid1(VALU_DEP_1)
	v_lshlrev_b64_e32 v[18:19], v18, v[26:27]
	v_dual_sub_nc_u32 v19, 29, v24 :: v_dual_bitop2_b32 v18, 7, v18 bitop3:0x40
; %bb.2757:                             ;   in Loop: Header=BB355_1581 Depth=1
	s_or_b32 exec_lo, exec_lo, s17
	s_delay_alu instid0(VALU_DEP_1) | instskip(NEXT) | instid1(VALU_DEP_2)
	v_dual_lshlrev_b32 v21, 24, v21 :: v_dual_lshlrev_b32 v18, 20, v18
	v_lshl_add_u32 v19, v19, 23, 0x3c000000
	s_delay_alu instid0(VALU_DEP_2) | instskip(NEXT) | instid1(VALU_DEP_1)
	v_and_b32_e32 v21, 0x80000000, v21
	v_or3_b32 v18, v18, v21, v19
.LBB355_2758:                           ;   in Loop: Header=BB355_1581 Depth=1
	s_or_b32 exec_lo, exec_lo, s16
.LBB355_2759:                           ;   in Loop: Header=BB355_1581 Depth=1
	s_delay_alu instid0(SALU_CYCLE_1)
	s_or_b32 exec_lo, exec_lo, s15
.LBB355_2760:                           ;   in Loop: Header=BB355_1581 Depth=1
	s_delay_alu instid0(SALU_CYCLE_1) | instskip(NEXT) | instid1(SALU_CYCLE_1)
	s_or_b32 exec_lo, exec_lo, s14
	s_mov_b32 s14, exec_lo
	v_cmpx_lt_u64_e64 s[2:3], v[16:17]
	s_cbranch_execz .LBB355_2768
; %bb.2761:                             ;   in Loop: Header=BB355_1581 Depth=1
	v_lshrrev_b32_e32 v19, 24, v17
	v_bfrev_b32_e32 v20, 1
	s_mov_b32 s15, exec_lo
	s_delay_alu instid0(VALU_DEP_2)
	v_cmpx_ne_u32_e32 0x80, v19
	s_cbranch_execz .LBB355_2767
; %bb.2762:                             ;   in Loop: Header=BB355_1581 Depth=1
	v_bfe_u32 v21, v17, 24, 7
	v_mov_b32_e32 v20, 0x7f800001
	s_mov_b32 s16, exec_lo
	s_delay_alu instid0(VALU_DEP_2)
	v_cmpx_ne_u32_e32 0x7f, v21
	s_cbranch_execz .LBB355_2766
; %bb.2763:                             ;   in Loop: Header=BB355_1581 Depth=1
	v_and_b32_e32 v26, 7, v19
	s_mov_b32 s17, exec_lo
	s_delay_alu instid0(VALU_DEP_1)
	v_mov_b64_e32 v[16:17], v[26:27]
	v_lshrrev_b32_e32 v17, 3, v21
	v_cmpx_gt_u32_e32 8, v21
; %bb.2764:                             ;   in Loop: Header=BB355_1581 Depth=1
	v_clz_i32_u32_e32 v16, v26
	s_delay_alu instid0(VALU_DEP_1) | instskip(NEXT) | instid1(VALU_DEP_1)
	v_min_u32_e32 v20, 32, v16
	v_subrev_nc_u32_e32 v16, 28, v20
	s_delay_alu instid0(VALU_DEP_1) | instskip(SKIP_1) | instid1(VALU_DEP_2)
	v_lshlrev_b64_e32 v[16:17], v16, v[26:27]
	v_sub_nc_u32_e32 v17, 29, v20
	v_and_b32_e32 v16, 7, v16
; %bb.2765:                             ;   in Loop: Header=BB355_1581 Depth=1
	s_or_b32 exec_lo, exec_lo, s17
	s_delay_alu instid0(VALU_DEP_1) | instskip(NEXT) | instid1(VALU_DEP_3)
	v_dual_lshlrev_b32 v19, 24, v19 :: v_dual_lshlrev_b32 v16, 20, v16
	v_lshl_add_u32 v17, v17, 23, 0x3c000000
	s_delay_alu instid0(VALU_DEP_2) | instskip(NEXT) | instid1(VALU_DEP_1)
	v_and_b32_e32 v19, 0x80000000, v19
	v_or3_b32 v20, v16, v19, v17
.LBB355_2766:                           ;   in Loop: Header=BB355_1581 Depth=1
	s_or_b32 exec_lo, exec_lo, s16
.LBB355_2767:                           ;   in Loop: Header=BB355_1581 Depth=1
	s_delay_alu instid0(SALU_CYCLE_1)
	s_or_b32 exec_lo, exec_lo, s15
.LBB355_2768:                           ;   in Loop: Header=BB355_1581 Depth=1
	s_delay_alu instid0(SALU_CYCLE_1)
	s_or_b32 exec_lo, exec_lo, s14
	v_fma_mixlo_bf16 v104, v116, v15, 0
	v_fma_mixlo_bf16 v105, v116, v14, 0
	;; [unrolled: 1-line block ×8, first 2 shown]
	s_and_saveexec_b32 s14, vcc_lo
	s_cbranch_execz .LBB355_2770
; %bb.2769:                             ;   in Loop: Header=BB355_1581 Depth=1
	v_cmp_lt_i32_e64 s0, v115, v119
	s_delay_alu instid0(VALU_DEP_1) | instskip(SKIP_1) | instid1(VALU_DEP_1)
	v_cndmask_b32_e64 v111, 0, v111, s0
	v_cmp_lt_i32_e64 s0, v59, v119
	v_cndmask_b32_e64 v110, 0, v110, s0
	v_cmp_lt_i32_e64 s0, v58, v119
	s_delay_alu instid0(VALU_DEP_1) | instskip(SKIP_1) | instid1(VALU_DEP_1)
	v_cndmask_b32_e64 v109, 0, v109, s0
	v_cmp_lt_i32_e64 s0, v57, v119
	v_cndmask_b32_e64 v108, 0, v108, s0
	;; [unrolled: 5-line block ×4, first 2 shown]
.LBB355_2770:                           ;   in Loop: Header=BB355_1581 Depth=1
	s_or_b32 exec_lo, exec_lo, s14
	flat_load_b64 v[16:17], v[0:1] offset:4608
	v_dual_mov_b32 v11, 0 :: v_dual_mov_b32 v10, 0
	s_mov_b32 s14, exec_lo
	s_wait_loadcnt_dscnt 0x0
	v_and_b32_e32 v12, 0xff, v16
	s_wait_xcnt 0x0
	s_delay_alu instid0(VALU_DEP_1)
	v_cmpx_ne_u16_e32 0, v12
	s_cbranch_execz .LBB355_2778
; %bb.2771:                             ;   in Loop: Header=BB355_1581 Depth=1
	v_bfrev_b32_e32 v10, 1
	s_mov_b32 s15, exec_lo
	v_cmpx_ne_u16_e32 0x80, v12
	s_cbranch_execz .LBB355_2777
; %bb.2772:                             ;   in Loop: Header=BB355_1581 Depth=1
	v_and_b32_e32 v12, 0x7f, v16
	v_mov_b32_e32 v10, 0x7f800001
	s_mov_b32 s16, exec_lo
	s_delay_alu instid0(VALU_DEP_2)
	v_cmpx_ne_u32_e32 0x7f, v12
	s_cbranch_execz .LBB355_2776
; %bb.2773:                             ;   in Loop: Header=BB355_1581 Depth=1
	v_mov_b64_e32 v[18:19], v[16:17]
	v_lshrrev_b32_e32 v10, 3, v12
	s_mov_b32 s17, exec_lo
	v_cmpx_gt_u32_e32 8, v12
; %bb.2774:                             ;   in Loop: Header=BB355_1581 Depth=1
	v_and_b32_e32 v10, 7, v16
	s_delay_alu instid0(VALU_DEP_1) | instskip(NEXT) | instid1(VALU_DEP_1)
	v_clz_i32_u32_e32 v10, v10
	v_min_u32_e32 v10, 32, v10
	s_delay_alu instid0(VALU_DEP_1) | instskip(SKIP_1) | instid1(VALU_DEP_2)
	v_subrev_nc_u32_e32 v12, 28, v10
	v_sub_nc_u32_e32 v10, 29, v10
	v_lshlrev_b64_e32 v[18:19], v12, v[16:17]
; %bb.2775:                             ;   in Loop: Header=BB355_1581 Depth=1
	s_or_b32 exec_lo, exec_lo, s17
	s_delay_alu instid0(VALU_DEP_1) | instskip(NEXT) | instid1(VALU_DEP_3)
	v_dual_lshlrev_b32 v12, 20, v18 :: v_dual_lshlrev_b32 v13, 24, v16
	v_lshl_add_u32 v10, v10, 23, 0x3c000000
	s_delay_alu instid0(VALU_DEP_2) | instskip(NEXT) | instid1(VALU_DEP_3)
	v_and_b32_e32 v12, 0x700000, v12
	v_and_b32_e32 v13, 0x80000000, v13
	s_delay_alu instid0(VALU_DEP_1)
	v_or3_b32 v10, v12, v13, v10
.LBB355_2776:                           ;   in Loop: Header=BB355_1581 Depth=1
	s_or_b32 exec_lo, exec_lo, s16
.LBB355_2777:                           ;   in Loop: Header=BB355_1581 Depth=1
	s_delay_alu instid0(SALU_CYCLE_1)
	s_or_b32 exec_lo, exec_lo, s15
.LBB355_2778:                           ;   in Loop: Header=BB355_1581 Depth=1
	s_delay_alu instid0(SALU_CYCLE_1) | instskip(SKIP_2) | instid1(VALU_DEP_1)
	s_or_b32 exec_lo, exec_lo, s14
	v_lshrrev_b16 v12, 8, v16
	s_mov_b32 s14, exec_lo
	v_cmpx_ne_u16_e32 0, v12
	s_cbranch_execz .LBB355_2786
; %bb.2779:                             ;   in Loop: Header=BB355_1581 Depth=1
	v_bfrev_b32_e32 v11, 1
	s_mov_b32 s15, exec_lo
	v_cmpx_ne_u16_e32 0x80, v12
	s_cbranch_execz .LBB355_2785
; %bb.2780:                             ;   in Loop: Header=BB355_1581 Depth=1
	v_and_b32_e32 v13, 0xffff, v12
	v_mov_b32_e32 v11, 0x7f800001
	s_mov_b32 s16, exec_lo
	s_delay_alu instid0(VALU_DEP_2) | instskip(NEXT) | instid1(VALU_DEP_1)
	v_and_b32_e32 v12, 0x7f, v13
	v_cmpx_ne_u32_e32 0x7f, v12
	s_cbranch_execz .LBB355_2784
; %bb.2781:                             ;   in Loop: Header=BB355_1581 Depth=1
	v_dual_lshrrev_b32 v11, 3, v12 :: v_dual_bitop2_b32 v26, 7, v13 bitop3:0x40
	s_mov_b32 s17, exec_lo
	s_delay_alu instid0(VALU_DEP_1)
	v_mov_b64_e32 v[18:19], v[26:27]
	v_cmpx_gt_u32_e32 8, v12
; %bb.2782:                             ;   in Loop: Header=BB355_1581 Depth=1
	v_clz_i32_u32_e32 v11, v26
	s_delay_alu instid0(VALU_DEP_1) | instskip(NEXT) | instid1(VALU_DEP_1)
	v_min_u32_e32 v11, 32, v11
	v_subrev_nc_u32_e32 v12, 28, v11
	s_delay_alu instid0(VALU_DEP_1) | instskip(NEXT) | instid1(VALU_DEP_1)
	v_lshlrev_b64_e32 v[12:13], v12, v[26:27]
	v_dual_sub_nc_u32 v11, 29, v11 :: v_dual_bitop2_b32 v18, 7, v12 bitop3:0x40
; %bb.2783:                             ;   in Loop: Header=BB355_1581 Depth=1
	s_or_b32 exec_lo, exec_lo, s17
	s_delay_alu instid0(VALU_DEP_1) | instskip(NEXT) | instid1(VALU_DEP_2)
	v_dual_lshlrev_b32 v12, 16, v16 :: v_dual_lshlrev_b32 v13, 20, v18
	v_lshl_add_u32 v11, v11, 23, 0x3c000000
	s_delay_alu instid0(VALU_DEP_2) | instskip(NEXT) | instid1(VALU_DEP_1)
	v_and_b32_e32 v12, 0x80000000, v12
	v_or3_b32 v11, v13, v12, v11
.LBB355_2784:                           ;   in Loop: Header=BB355_1581 Depth=1
	s_or_b32 exec_lo, exec_lo, s16
.LBB355_2785:                           ;   in Loop: Header=BB355_1581 Depth=1
	s_delay_alu instid0(SALU_CYCLE_1)
	s_or_b32 exec_lo, exec_lo, s15
.LBB355_2786:                           ;   in Loop: Header=BB355_1581 Depth=1
	s_delay_alu instid0(SALU_CYCLE_1) | instskip(SKIP_3) | instid1(VALU_DEP_2)
	s_or_b32 exec_lo, exec_lo, s14
	v_dual_mov_b32 v13, 0 :: v_dual_lshrrev_b32 v14, 16, v16
	v_mov_b32_e32 v12, 0
	s_mov_b32 s14, exec_lo
	v_and_b32_e32 v15, 0xff, v14
	s_delay_alu instid0(VALU_DEP_1)
	v_cmpx_ne_u16_e32 0, v15
	s_cbranch_execz .LBB355_2794
; %bb.2787:                             ;   in Loop: Header=BB355_1581 Depth=1
	v_bfrev_b32_e32 v12, 1
	s_mov_b32 s15, exec_lo
	v_cmpx_ne_u16_e32 0x80, v15
	s_cbranch_execz .LBB355_2793
; %bb.2788:                             ;   in Loop: Header=BB355_1581 Depth=1
	v_bfe_u32 v15, v16, 16, 7
	v_mov_b32_e32 v12, 0x7f800001
	s_mov_b32 s16, exec_lo
	s_delay_alu instid0(VALU_DEP_2)
	v_cmpx_ne_u32_e32 0x7f, v15
	s_cbranch_execz .LBB355_2792
; %bb.2789:                             ;   in Loop: Header=BB355_1581 Depth=1
	v_dual_lshrrev_b32 v12, 3, v15 :: v_dual_bitop2_b32 v26, 7, v14 bitop3:0x40
	s_mov_b32 s17, exec_lo
	s_delay_alu instid0(VALU_DEP_1)
	v_mov_b64_e32 v[18:19], v[26:27]
	v_cmpx_gt_u32_e32 8, v15
; %bb.2790:                             ;   in Loop: Header=BB355_1581 Depth=1
	v_clz_i32_u32_e32 v12, v26
	s_delay_alu instid0(VALU_DEP_1) | instskip(NEXT) | instid1(VALU_DEP_1)
	v_min_u32_e32 v12, 32, v12
	v_subrev_nc_u32_e32 v15, 28, v12
	s_delay_alu instid0(VALU_DEP_1) | instskip(NEXT) | instid1(VALU_DEP_1)
	v_lshlrev_b64_e32 v[18:19], v15, v[26:27]
	v_dual_sub_nc_u32 v12, 29, v12 :: v_dual_bitop2_b32 v18, 7, v18 bitop3:0x40
; %bb.2791:                             ;   in Loop: Header=BB355_1581 Depth=1
	s_or_b32 exec_lo, exec_lo, s17
	v_lshlrev_b32_e32 v14, 24, v14
	s_delay_alu instid0(VALU_DEP_2) | instskip(NEXT) | instid1(VALU_DEP_3)
	v_lshlrev_b32_e32 v15, 20, v18
	v_lshl_add_u32 v12, v12, 23, 0x3c000000
	s_delay_alu instid0(VALU_DEP_3) | instskip(NEXT) | instid1(VALU_DEP_1)
	v_and_b32_e32 v14, 0x80000000, v14
	v_or3_b32 v12, v15, v14, v12
.LBB355_2792:                           ;   in Loop: Header=BB355_1581 Depth=1
	s_or_b32 exec_lo, exec_lo, s16
.LBB355_2793:                           ;   in Loop: Header=BB355_1581 Depth=1
	s_delay_alu instid0(SALU_CYCLE_1)
	s_or_b32 exec_lo, exec_lo, s15
.LBB355_2794:                           ;   in Loop: Header=BB355_1581 Depth=1
	s_delay_alu instid0(SALU_CYCLE_1) | instskip(NEXT) | instid1(SALU_CYCLE_1)
	s_or_b32 exec_lo, exec_lo, s14
	s_mov_b32 s14, exec_lo
	v_cmpx_lt_u32_e32 0xffffff, v16
	s_cbranch_execz .LBB355_2802
; %bb.2795:                             ;   in Loop: Header=BB355_1581 Depth=1
	v_lshrrev_b32_e32 v14, 24, v16
	v_bfrev_b32_e32 v13, 1
	s_mov_b32 s15, exec_lo
	s_delay_alu instid0(VALU_DEP_2)
	v_cmpx_ne_u32_e32 0x80, v14
	s_cbranch_execz .LBB355_2801
; %bb.2796:                             ;   in Loop: Header=BB355_1581 Depth=1
	v_bfe_u32 v15, v16, 24, 7
	v_mov_b32_e32 v13, 0x7f800001
	s_mov_b32 s16, exec_lo
	s_delay_alu instid0(VALU_DEP_2)
	v_cmpx_ne_u32_e32 0x7f, v15
	s_cbranch_execz .LBB355_2800
; %bb.2797:                             ;   in Loop: Header=BB355_1581 Depth=1
	v_dual_lshrrev_b32 v13, 3, v15 :: v_dual_bitop2_b32 v26, 7, v14 bitop3:0x40
	s_mov_b32 s17, exec_lo
	s_delay_alu instid0(VALU_DEP_1)
	v_mov_b64_e32 v[18:19], v[26:27]
	v_cmpx_gt_u32_e32 8, v15
; %bb.2798:                             ;   in Loop: Header=BB355_1581 Depth=1
	v_clz_i32_u32_e32 v13, v26
	s_delay_alu instid0(VALU_DEP_1) | instskip(NEXT) | instid1(VALU_DEP_1)
	v_min_u32_e32 v13, 32, v13
	v_subrev_nc_u32_e32 v15, 28, v13
	s_delay_alu instid0(VALU_DEP_1) | instskip(NEXT) | instid1(VALU_DEP_1)
	v_lshlrev_b64_e32 v[18:19], v15, v[26:27]
	v_dual_sub_nc_u32 v13, 29, v13 :: v_dual_bitop2_b32 v18, 7, v18 bitop3:0x40
; %bb.2799:                             ;   in Loop: Header=BB355_1581 Depth=1
	s_or_b32 exec_lo, exec_lo, s17
	v_lshlrev_b32_e32 v14, 24, v14
	s_delay_alu instid0(VALU_DEP_2) | instskip(NEXT) | instid1(VALU_DEP_3)
	v_lshlrev_b32_e32 v15, 20, v18
	v_lshl_add_u32 v13, v13, 23, 0x3c000000
	s_delay_alu instid0(VALU_DEP_3) | instskip(NEXT) | instid1(VALU_DEP_1)
	v_and_b32_e32 v14, 0x80000000, v14
	v_or3_b32 v13, v15, v14, v13
.LBB355_2800:                           ;   in Loop: Header=BB355_1581 Depth=1
	s_or_b32 exec_lo, exec_lo, s16
.LBB355_2801:                           ;   in Loop: Header=BB355_1581 Depth=1
	s_delay_alu instid0(SALU_CYCLE_1)
	s_or_b32 exec_lo, exec_lo, s15
.LBB355_2802:                           ;   in Loop: Header=BB355_1581 Depth=1
	s_delay_alu instid0(SALU_CYCLE_1) | instskip(SKIP_4) | instid1(VALU_DEP_3)
	s_or_b32 exec_lo, exec_lo, s14
	v_and_b32_e32 v18, 0xff, v17
	v_dual_mov_b32 v26, v17 :: v_dual_mov_b32 v15, 0
	v_mov_b32_e32 v14, 0
	s_mov_b32 s14, exec_lo
	v_cmpx_ne_u16_e32 0, v18
	s_cbranch_execz .LBB355_2810
; %bb.2803:                             ;   in Loop: Header=BB355_1581 Depth=1
	v_bfrev_b32_e32 v14, 1
	s_mov_b32 s15, exec_lo
	v_cmpx_ne_u16_e32 0x80, v18
	s_cbranch_execz .LBB355_2809
; %bb.2804:                             ;   in Loop: Header=BB355_1581 Depth=1
	v_and_b32_e32 v20, 0x7f, v17
	v_mov_b32_e32 v14, 0x7f800001
	s_mov_b32 s16, exec_lo
	s_delay_alu instid0(VALU_DEP_2)
	v_cmpx_ne_u32_e32 0x7f, v20
	s_cbranch_execz .LBB355_2808
; %bb.2805:                             ;   in Loop: Header=BB355_1581 Depth=1
	v_mov_b64_e32 v[18:19], v[26:27]
	v_lshrrev_b32_e32 v14, 3, v20
	s_mov_b32 s17, exec_lo
	v_cmpx_gt_u32_e32 8, v20
; %bb.2806:                             ;   in Loop: Header=BB355_1581 Depth=1
	v_and_b32_e32 v14, 7, v17
	s_delay_alu instid0(VALU_DEP_1) | instskip(NEXT) | instid1(VALU_DEP_1)
	v_clz_i32_u32_e32 v14, v14
	v_min_u32_e32 v14, 32, v14
	s_delay_alu instid0(VALU_DEP_1) | instskip(SKIP_1) | instid1(VALU_DEP_2)
	v_subrev_nc_u32_e32 v18, 28, v14
	v_sub_nc_u32_e32 v14, 29, v14
	v_lshlrev_b64_e32 v[18:19], v18, v[26:27]
; %bb.2807:                             ;   in Loop: Header=BB355_1581 Depth=1
	s_or_b32 exec_lo, exec_lo, s17
	s_delay_alu instid0(VALU_DEP_1) | instskip(SKIP_2) | instid1(VALU_DEP_3)
	v_lshlrev_b32_e32 v18, 20, v18
	v_lshlrev_b32_e32 v19, 24, v26
	v_lshl_add_u32 v14, v14, 23, 0x3c000000
	v_and_b32_e32 v18, 0x700000, v18
	s_delay_alu instid0(VALU_DEP_3) | instskip(NEXT) | instid1(VALU_DEP_1)
	v_and_b32_e32 v19, 0x80000000, v19
	v_or3_b32 v14, v18, v19, v14
.LBB355_2808:                           ;   in Loop: Header=BB355_1581 Depth=1
	s_or_b32 exec_lo, exec_lo, s16
.LBB355_2809:                           ;   in Loop: Header=BB355_1581 Depth=1
	s_delay_alu instid0(SALU_CYCLE_1)
	s_or_b32 exec_lo, exec_lo, s15
.LBB355_2810:                           ;   in Loop: Header=BB355_1581 Depth=1
	s_delay_alu instid0(SALU_CYCLE_1) | instskip(SKIP_2) | instid1(VALU_DEP_1)
	s_or_b32 exec_lo, exec_lo, s14
	v_lshrrev_b16 v18, 8, v26
	s_mov_b32 s14, exec_lo
	v_cmpx_ne_u16_e32 0, v18
	s_cbranch_execz .LBB355_2818
; %bb.2811:                             ;   in Loop: Header=BB355_1581 Depth=1
	v_bfrev_b32_e32 v15, 1
	s_mov_b32 s15, exec_lo
	v_cmpx_ne_u16_e32 0x80, v18
	s_cbranch_execz .LBB355_2817
; %bb.2812:                             ;   in Loop: Header=BB355_1581 Depth=1
	v_and_b32_e32 v18, 0xffff, v18
	v_mov_b32_e32 v15, 0x7f800001
	s_mov_b32 s16, exec_lo
	s_delay_alu instid0(VALU_DEP_2) | instskip(NEXT) | instid1(VALU_DEP_1)
	v_and_b32_e32 v20, 0x7f, v18
	v_cmpx_ne_u32_e32 0x7f, v20
	s_cbranch_execz .LBB355_2816
; %bb.2813:                             ;   in Loop: Header=BB355_1581 Depth=1
	v_dual_mov_b32 v19, v27 :: v_dual_bitop2_b32 v18, 7, v18 bitop3:0x40
	v_lshrrev_b32_e32 v15, 3, v20
	s_mov_b32 s17, exec_lo
	v_cmpx_gt_u32_e32 8, v20
; %bb.2814:                             ;   in Loop: Header=BB355_1581 Depth=1
	s_delay_alu instid0(VALU_DEP_3) | instskip(NEXT) | instid1(VALU_DEP_1)
	v_clz_i32_u32_e32 v15, v18
	v_min_u32_e32 v15, 32, v15
	s_delay_alu instid0(VALU_DEP_1) | instskip(NEXT) | instid1(VALU_DEP_1)
	v_subrev_nc_u32_e32 v20, 28, v15
	v_lshlrev_b64_e32 v[18:19], v20, v[18:19]
	s_delay_alu instid0(VALU_DEP_1)
	v_dual_sub_nc_u32 v15, 29, v15 :: v_dual_bitop2_b32 v18, 7, v18 bitop3:0x40
; %bb.2815:                             ;   in Loop: Header=BB355_1581 Depth=1
	s_or_b32 exec_lo, exec_lo, s17
	v_lshlrev_b32_e32 v19, 16, v26
	s_delay_alu instid0(VALU_DEP_2) | instskip(NEXT) | instid1(VALU_DEP_3)
	v_lshlrev_b32_e32 v18, 20, v18
	v_lshl_add_u32 v15, v15, 23, 0x3c000000
	s_delay_alu instid0(VALU_DEP_3) | instskip(NEXT) | instid1(VALU_DEP_1)
	v_and_b32_e32 v19, 0x80000000, v19
	v_or3_b32 v15, v18, v19, v15
.LBB355_2816:                           ;   in Loop: Header=BB355_1581 Depth=1
	s_or_b32 exec_lo, exec_lo, s16
.LBB355_2817:                           ;   in Loop: Header=BB355_1581 Depth=1
	s_delay_alu instid0(SALU_CYCLE_1)
	s_or_b32 exec_lo, exec_lo, s15
.LBB355_2818:                           ;   in Loop: Header=BB355_1581 Depth=1
	s_delay_alu instid0(SALU_CYCLE_1) | instskip(SKIP_3) | instid1(VALU_DEP_2)
	s_or_b32 exec_lo, exec_lo, s14
	v_dual_mov_b32 v20, 0 :: v_dual_lshrrev_b32 v21, 16, v17
	v_mov_b32_e32 v18, 0
	s_mov_b32 s14, exec_lo
	v_and_b32_e32 v19, 0xff, v21
	s_delay_alu instid0(VALU_DEP_1)
	v_cmpx_ne_u16_e32 0, v19
	s_cbranch_execz .LBB355_2826
; %bb.2819:                             ;   in Loop: Header=BB355_1581 Depth=1
	v_bfrev_b32_e32 v18, 1
	s_mov_b32 s15, exec_lo
	v_cmpx_ne_u16_e32 0x80, v19
	s_cbranch_execz .LBB355_2825
; %bb.2820:                             ;   in Loop: Header=BB355_1581 Depth=1
	v_bfe_u32 v24, v17, 16, 7
	v_mov_b32_e32 v18, 0x7f800001
	s_mov_b32 s16, exec_lo
	s_delay_alu instid0(VALU_DEP_2)
	v_cmpx_ne_u32_e32 0x7f, v24
	s_cbranch_execz .LBB355_2824
; %bb.2821:                             ;   in Loop: Header=BB355_1581 Depth=1
	v_and_b32_e32 v26, 7, v21
	s_mov_b32 s17, exec_lo
	s_delay_alu instid0(VALU_DEP_1)
	v_mov_b64_e32 v[18:19], v[26:27]
	v_lshrrev_b32_e32 v19, 3, v24
	v_cmpx_gt_u32_e32 8, v24
; %bb.2822:                             ;   in Loop: Header=BB355_1581 Depth=1
	v_clz_i32_u32_e32 v18, v26
	s_delay_alu instid0(VALU_DEP_1) | instskip(NEXT) | instid1(VALU_DEP_1)
	v_min_u32_e32 v24, 32, v18
	v_subrev_nc_u32_e32 v18, 28, v24
	s_delay_alu instid0(VALU_DEP_1) | instskip(NEXT) | instid1(VALU_DEP_1)
	v_lshlrev_b64_e32 v[18:19], v18, v[26:27]
	v_dual_sub_nc_u32 v19, 29, v24 :: v_dual_bitop2_b32 v18, 7, v18 bitop3:0x40
; %bb.2823:                             ;   in Loop: Header=BB355_1581 Depth=1
	s_or_b32 exec_lo, exec_lo, s17
	s_delay_alu instid0(VALU_DEP_1) | instskip(NEXT) | instid1(VALU_DEP_2)
	v_dual_lshlrev_b32 v21, 24, v21 :: v_dual_lshlrev_b32 v18, 20, v18
	v_lshl_add_u32 v19, v19, 23, 0x3c000000
	s_delay_alu instid0(VALU_DEP_2) | instskip(NEXT) | instid1(VALU_DEP_1)
	v_and_b32_e32 v21, 0x80000000, v21
	v_or3_b32 v18, v18, v21, v19
.LBB355_2824:                           ;   in Loop: Header=BB355_1581 Depth=1
	s_or_b32 exec_lo, exec_lo, s16
.LBB355_2825:                           ;   in Loop: Header=BB355_1581 Depth=1
	s_delay_alu instid0(SALU_CYCLE_1)
	s_or_b32 exec_lo, exec_lo, s15
.LBB355_2826:                           ;   in Loop: Header=BB355_1581 Depth=1
	s_delay_alu instid0(SALU_CYCLE_1) | instskip(NEXT) | instid1(SALU_CYCLE_1)
	s_or_b32 exec_lo, exec_lo, s14
	s_mov_b32 s14, exec_lo
	v_cmpx_lt_u64_e64 s[2:3], v[16:17]
	s_cbranch_execz .LBB355_2834
; %bb.2827:                             ;   in Loop: Header=BB355_1581 Depth=1
	v_lshrrev_b32_e32 v19, 24, v17
	v_bfrev_b32_e32 v20, 1
	s_mov_b32 s15, exec_lo
	s_delay_alu instid0(VALU_DEP_2)
	v_cmpx_ne_u32_e32 0x80, v19
	s_cbranch_execz .LBB355_2833
; %bb.2828:                             ;   in Loop: Header=BB355_1581 Depth=1
	v_bfe_u32 v21, v17, 24, 7
	v_mov_b32_e32 v20, 0x7f800001
	s_mov_b32 s16, exec_lo
	s_delay_alu instid0(VALU_DEP_2)
	v_cmpx_ne_u32_e32 0x7f, v21
	s_cbranch_execz .LBB355_2832
; %bb.2829:                             ;   in Loop: Header=BB355_1581 Depth=1
	v_and_b32_e32 v26, 7, v19
	s_mov_b32 s17, exec_lo
	s_delay_alu instid0(VALU_DEP_1)
	v_mov_b64_e32 v[16:17], v[26:27]
	v_lshrrev_b32_e32 v17, 3, v21
	v_cmpx_gt_u32_e32 8, v21
; %bb.2830:                             ;   in Loop: Header=BB355_1581 Depth=1
	v_clz_i32_u32_e32 v16, v26
	s_delay_alu instid0(VALU_DEP_1) | instskip(NEXT) | instid1(VALU_DEP_1)
	v_min_u32_e32 v20, 32, v16
	v_subrev_nc_u32_e32 v16, 28, v20
	s_delay_alu instid0(VALU_DEP_1) | instskip(SKIP_1) | instid1(VALU_DEP_2)
	v_lshlrev_b64_e32 v[16:17], v16, v[26:27]
	v_sub_nc_u32_e32 v17, 29, v20
	v_and_b32_e32 v16, 7, v16
; %bb.2831:                             ;   in Loop: Header=BB355_1581 Depth=1
	s_or_b32 exec_lo, exec_lo, s17
	s_delay_alu instid0(VALU_DEP_1) | instskip(NEXT) | instid1(VALU_DEP_3)
	v_dual_lshlrev_b32 v19, 24, v19 :: v_dual_lshlrev_b32 v16, 20, v16
	v_lshl_add_u32 v17, v17, 23, 0x3c000000
	s_delay_alu instid0(VALU_DEP_2) | instskip(NEXT) | instid1(VALU_DEP_1)
	v_and_b32_e32 v19, 0x80000000, v19
	v_or3_b32 v20, v16, v19, v17
.LBB355_2832:                           ;   in Loop: Header=BB355_1581 Depth=1
	s_or_b32 exec_lo, exec_lo, s16
.LBB355_2833:                           ;   in Loop: Header=BB355_1581 Depth=1
	s_delay_alu instid0(SALU_CYCLE_1)
	s_or_b32 exec_lo, exec_lo, s15
.LBB355_2834:                           ;   in Loop: Header=BB355_1581 Depth=1
	s_delay_alu instid0(SALU_CYCLE_1)
	s_or_b32 exec_lo, exec_lo, s14
	v_fma_mixlo_bf16 v120, v116, v15, 0
	v_fma_mixlo_bf16 v121, v116, v14, 0
	;; [unrolled: 1-line block ×8, first 2 shown]
	s_and_saveexec_b32 s14, vcc_lo
	s_cbranch_execz .LBB355_2836
; %bb.2835:                             ;   in Loop: Header=BB355_1581 Depth=1
	v_cmp_lt_i32_e64 s0, v115, v119
	s_delay_alu instid0(VALU_DEP_1) | instskip(SKIP_1) | instid1(VALU_DEP_1)
	v_cndmask_b32_e64 v10, 0, v10, s0
	v_cmp_lt_i32_e64 s0, v59, v119
	v_cndmask_b32_e64 v127, 0, v127, s0
	v_cmp_lt_i32_e64 s0, v58, v119
	s_delay_alu instid0(VALU_DEP_1) | instskip(SKIP_1) | instid1(VALU_DEP_1)
	v_cndmask_b32_e64 v126, 0, v126, s0
	v_cmp_lt_i32_e64 s0, v57, v119
	v_cndmask_b32_e64 v124, 0, v124, s0
	;; [unrolled: 5-line block ×4, first 2 shown]
.LBB355_2836:                           ;   in Loop: Header=BB355_1581 Depth=1
	s_or_b32 exec_lo, exec_lo, s14
	flat_load_b64 v[16:17], v[0:1] offset:4864
	v_dual_mov_b32 v13, 0 :: v_dual_mov_b32 v12, 0
	s_mov_b32 s14, exec_lo
	s_wait_loadcnt_dscnt 0x0
	v_and_b32_e32 v11, 0xff, v16
	s_wait_xcnt 0x0
	s_delay_alu instid0(VALU_DEP_1)
	v_cmpx_ne_u16_e32 0, v11
	s_cbranch_execz .LBB355_2844
; %bb.2837:                             ;   in Loop: Header=BB355_1581 Depth=1
	v_bfrev_b32_e32 v12, 1
	s_mov_b32 s15, exec_lo
	v_cmpx_ne_u16_e32 0x80, v11
	s_cbranch_execz .LBB355_2843
; %bb.2838:                             ;   in Loop: Header=BB355_1581 Depth=1
	v_and_b32_e32 v14, 0x7f, v16
	v_mov_b32_e32 v12, 0x7f800001
	s_mov_b32 s16, exec_lo
	s_delay_alu instid0(VALU_DEP_2)
	v_cmpx_ne_u32_e32 0x7f, v14
	s_cbranch_execz .LBB355_2842
; %bb.2839:                             ;   in Loop: Header=BB355_1581 Depth=1
	v_mov_b64_e32 v[18:19], v[16:17]
	v_lshrrev_b32_e32 v11, 3, v14
	s_mov_b32 s17, exec_lo
	v_cmpx_gt_u32_e32 8, v14
; %bb.2840:                             ;   in Loop: Header=BB355_1581 Depth=1
	v_and_b32_e32 v11, 7, v16
	s_delay_alu instid0(VALU_DEP_1) | instskip(NEXT) | instid1(VALU_DEP_1)
	v_clz_i32_u32_e32 v11, v11
	v_min_u32_e32 v11, 32, v11
	s_delay_alu instid0(VALU_DEP_1) | instskip(SKIP_1) | instid1(VALU_DEP_2)
	v_subrev_nc_u32_e32 v12, 28, v11
	v_sub_nc_u32_e32 v11, 29, v11
	v_lshlrev_b64_e32 v[18:19], v12, v[16:17]
; %bb.2841:                             ;   in Loop: Header=BB355_1581 Depth=1
	s_or_b32 exec_lo, exec_lo, s17
	s_delay_alu instid0(VALU_DEP_1) | instskip(NEXT) | instid1(VALU_DEP_3)
	v_dual_lshlrev_b32 v12, 20, v18 :: v_dual_lshlrev_b32 v14, 24, v16
	v_lshl_add_u32 v11, v11, 23, 0x3c000000
	s_delay_alu instid0(VALU_DEP_2) | instskip(NEXT) | instid1(VALU_DEP_3)
	v_and_b32_e32 v12, 0x700000, v12
	v_and_b32_e32 v14, 0x80000000, v14
	s_delay_alu instid0(VALU_DEP_1)
	v_or3_b32 v12, v12, v14, v11
.LBB355_2842:                           ;   in Loop: Header=BB355_1581 Depth=1
	s_or_b32 exec_lo, exec_lo, s16
.LBB355_2843:                           ;   in Loop: Header=BB355_1581 Depth=1
	s_delay_alu instid0(SALU_CYCLE_1)
	s_or_b32 exec_lo, exec_lo, s15
.LBB355_2844:                           ;   in Loop: Header=BB355_1581 Depth=1
	s_delay_alu instid0(SALU_CYCLE_1) | instskip(SKIP_2) | instid1(VALU_DEP_1)
	s_or_b32 exec_lo, exec_lo, s14
	v_lshrrev_b16 v11, 8, v16
	s_mov_b32 s14, exec_lo
	v_cmpx_ne_u16_e32 0, v11
	s_cbranch_execz .LBB355_2852
; %bb.2845:                             ;   in Loop: Header=BB355_1581 Depth=1
	v_bfrev_b32_e32 v13, 1
	s_mov_b32 s15, exec_lo
	v_cmpx_ne_u16_e32 0x80, v11
	s_cbranch_execz .LBB355_2851
; %bb.2846:                             ;   in Loop: Header=BB355_1581 Depth=1
	v_and_b32_e32 v11, 0xffff, v11
	v_mov_b32_e32 v13, 0x7f800001
	s_mov_b32 s16, exec_lo
	s_delay_alu instid0(VALU_DEP_2) | instskip(NEXT) | instid1(VALU_DEP_1)
	v_and_b32_e32 v14, 0x7f, v11
	v_cmpx_ne_u32_e32 0x7f, v14
	s_cbranch_execz .LBB355_2850
; %bb.2847:                             ;   in Loop: Header=BB355_1581 Depth=1
	v_dual_lshrrev_b32 v11, 3, v14 :: v_dual_bitop2_b32 v26, 7, v11 bitop3:0x40
	s_mov_b32 s17, exec_lo
	s_delay_alu instid0(VALU_DEP_1)
	v_mov_b64_e32 v[18:19], v[26:27]
	v_cmpx_gt_u32_e32 8, v14
; %bb.2848:                             ;   in Loop: Header=BB355_1581 Depth=1
	v_clz_i32_u32_e32 v11, v26
	s_delay_alu instid0(VALU_DEP_1) | instskip(NEXT) | instid1(VALU_DEP_1)
	v_min_u32_e32 v11, 32, v11
	v_subrev_nc_u32_e32 v13, 28, v11
	s_delay_alu instid0(VALU_DEP_1) | instskip(NEXT) | instid1(VALU_DEP_1)
	v_lshlrev_b64_e32 v[14:15], v13, v[26:27]
	v_dual_sub_nc_u32 v11, 29, v11 :: v_dual_bitop2_b32 v18, 7, v14 bitop3:0x40
; %bb.2849:                             ;   in Loop: Header=BB355_1581 Depth=1
	s_or_b32 exec_lo, exec_lo, s17
	s_delay_alu instid0(VALU_DEP_1) | instskip(NEXT) | instid1(VALU_DEP_2)
	v_dual_lshlrev_b32 v13, 16, v16 :: v_dual_lshlrev_b32 v14, 20, v18
	v_lshl_add_u32 v11, v11, 23, 0x3c000000
	s_delay_alu instid0(VALU_DEP_2) | instskip(NEXT) | instid1(VALU_DEP_1)
	v_and_b32_e32 v13, 0x80000000, v13
	v_or3_b32 v13, v14, v13, v11
.LBB355_2850:                           ;   in Loop: Header=BB355_1581 Depth=1
	s_or_b32 exec_lo, exec_lo, s16
.LBB355_2851:                           ;   in Loop: Header=BB355_1581 Depth=1
	s_delay_alu instid0(SALU_CYCLE_1)
	s_or_b32 exec_lo, exec_lo, s15
.LBB355_2852:                           ;   in Loop: Header=BB355_1581 Depth=1
	s_delay_alu instid0(SALU_CYCLE_1) | instskip(SKIP_3) | instid1(VALU_DEP_2)
	s_or_b32 exec_lo, exec_lo, s14
	v_dual_lshrrev_b32 v11, 16, v16 :: v_dual_mov_b32 v15, 0
	v_mov_b32_e32 v14, 0
	s_mov_b32 s14, exec_lo
	v_and_b32_e32 v18, 0xff, v11
	s_delay_alu instid0(VALU_DEP_1)
	v_cmpx_ne_u16_e32 0, v18
	s_cbranch_execz .LBB355_2860
; %bb.2853:                             ;   in Loop: Header=BB355_1581 Depth=1
	v_bfrev_b32_e32 v14, 1
	s_mov_b32 s15, exec_lo
	v_cmpx_ne_u16_e32 0x80, v18
	s_cbranch_execz .LBB355_2859
; %bb.2854:                             ;   in Loop: Header=BB355_1581 Depth=1
	v_bfe_u32 v20, v16, 16, 7
	v_mov_b32_e32 v14, 0x7f800001
	s_mov_b32 s16, exec_lo
	s_delay_alu instid0(VALU_DEP_2)
	v_cmpx_ne_u32_e32 0x7f, v20
	s_cbranch_execz .LBB355_2858
; %bb.2855:                             ;   in Loop: Header=BB355_1581 Depth=1
	v_dual_lshrrev_b32 v14, 3, v20 :: v_dual_bitop2_b32 v26, 7, v11 bitop3:0x40
	s_mov_b32 s17, exec_lo
	s_delay_alu instid0(VALU_DEP_1)
	v_mov_b64_e32 v[18:19], v[26:27]
	v_cmpx_gt_u32_e32 8, v20
; %bb.2856:                             ;   in Loop: Header=BB355_1581 Depth=1
	v_clz_i32_u32_e32 v14, v26
	s_delay_alu instid0(VALU_DEP_1) | instskip(NEXT) | instid1(VALU_DEP_1)
	v_min_u32_e32 v14, 32, v14
	v_subrev_nc_u32_e32 v18, 28, v14
	v_sub_nc_u32_e32 v14, 29, v14
	s_delay_alu instid0(VALU_DEP_2) | instskip(NEXT) | instid1(VALU_DEP_1)
	v_lshlrev_b64_e32 v[18:19], v18, v[26:27]
	v_and_b32_e32 v18, 7, v18
; %bb.2857:                             ;   in Loop: Header=BB355_1581 Depth=1
	s_or_b32 exec_lo, exec_lo, s17
	s_delay_alu instid0(VALU_DEP_1) | instskip(SKIP_1) | instid1(VALU_DEP_2)
	v_dual_lshlrev_b32 v11, 24, v11 :: v_dual_lshlrev_b32 v18, 20, v18
	v_lshl_add_u32 v14, v14, 23, 0x3c000000
	v_and_b32_e32 v11, 0x80000000, v11
	s_delay_alu instid0(VALU_DEP_1)
	v_or3_b32 v14, v18, v11, v14
.LBB355_2858:                           ;   in Loop: Header=BB355_1581 Depth=1
	s_or_b32 exec_lo, exec_lo, s16
.LBB355_2859:                           ;   in Loop: Header=BB355_1581 Depth=1
	s_delay_alu instid0(SALU_CYCLE_1)
	s_or_b32 exec_lo, exec_lo, s15
.LBB355_2860:                           ;   in Loop: Header=BB355_1581 Depth=1
	s_delay_alu instid0(SALU_CYCLE_1) | instskip(NEXT) | instid1(SALU_CYCLE_1)
	s_or_b32 exec_lo, exec_lo, s14
	s_mov_b32 s14, exec_lo
	v_cmpx_lt_u32_e32 0xffffff, v16
	s_cbranch_execz .LBB355_2868
; %bb.2861:                             ;   in Loop: Header=BB355_1581 Depth=1
	v_lshrrev_b32_e32 v11, 24, v16
	v_bfrev_b32_e32 v15, 1
	s_mov_b32 s15, exec_lo
	s_delay_alu instid0(VALU_DEP_2)
	v_cmpx_ne_u32_e32 0x80, v11
	s_cbranch_execz .LBB355_2867
; %bb.2862:                             ;   in Loop: Header=BB355_1581 Depth=1
	v_bfe_u32 v20, v16, 24, 7
	v_mov_b32_e32 v15, 0x7f800001
	s_mov_b32 s16, exec_lo
	s_delay_alu instid0(VALU_DEP_2)
	v_cmpx_ne_u32_e32 0x7f, v20
	s_cbranch_execz .LBB355_2866
; %bb.2863:                             ;   in Loop: Header=BB355_1581 Depth=1
	v_dual_lshrrev_b32 v15, 3, v20 :: v_dual_bitop2_b32 v26, 7, v11 bitop3:0x40
	s_mov_b32 s17, exec_lo
	s_delay_alu instid0(VALU_DEP_1)
	v_mov_b64_e32 v[18:19], v[26:27]
	v_cmpx_gt_u32_e32 8, v20
; %bb.2864:                             ;   in Loop: Header=BB355_1581 Depth=1
	v_clz_i32_u32_e32 v15, v26
	s_delay_alu instid0(VALU_DEP_1) | instskip(NEXT) | instid1(VALU_DEP_1)
	v_min_u32_e32 v15, 32, v15
	v_subrev_nc_u32_e32 v18, 28, v15
	s_delay_alu instid0(VALU_DEP_1) | instskip(NEXT) | instid1(VALU_DEP_1)
	v_lshlrev_b64_e32 v[18:19], v18, v[26:27]
	v_dual_sub_nc_u32 v15, 29, v15 :: v_dual_bitop2_b32 v18, 7, v18 bitop3:0x40
; %bb.2865:                             ;   in Loop: Header=BB355_1581 Depth=1
	s_or_b32 exec_lo, exec_lo, s17
	s_delay_alu instid0(VALU_DEP_1) | instskip(NEXT) | instid1(VALU_DEP_2)
	v_dual_lshlrev_b32 v11, 24, v11 :: v_dual_lshlrev_b32 v18, 20, v18
	v_lshl_add_u32 v15, v15, 23, 0x3c000000
	s_delay_alu instid0(VALU_DEP_2) | instskip(NEXT) | instid1(VALU_DEP_1)
	v_and_b32_e32 v11, 0x80000000, v11
	v_or3_b32 v15, v18, v11, v15
.LBB355_2866:                           ;   in Loop: Header=BB355_1581 Depth=1
	s_or_b32 exec_lo, exec_lo, s16
.LBB355_2867:                           ;   in Loop: Header=BB355_1581 Depth=1
	s_delay_alu instid0(SALU_CYCLE_1)
	s_or_b32 exec_lo, exec_lo, s15
.LBB355_2868:                           ;   in Loop: Header=BB355_1581 Depth=1
	s_delay_alu instid0(SALU_CYCLE_1) | instskip(SKIP_4) | instid1(VALU_DEP_3)
	s_or_b32 exec_lo, exec_lo, s14
	v_and_b32_e32 v18, 0xff, v17
	v_dual_mov_b32 v26, v17 :: v_dual_mov_b32 v11, 0
	v_mov_b32_e32 v20, 0
	s_mov_b32 s14, exec_lo
	v_cmpx_ne_u16_e32 0, v18
	s_cbranch_execz .LBB355_2876
; %bb.2869:                             ;   in Loop: Header=BB355_1581 Depth=1
	v_bfrev_b32_e32 v20, 1
	s_mov_b32 s15, exec_lo
	v_cmpx_ne_u16_e32 0x80, v18
	s_cbranch_execz .LBB355_2875
; %bb.2870:                             ;   in Loop: Header=BB355_1581 Depth=1
	v_and_b32_e32 v21, 0x7f, v17
	v_mov_b32_e32 v20, 0x7f800001
	s_mov_b32 s16, exec_lo
	s_delay_alu instid0(VALU_DEP_2)
	v_cmpx_ne_u32_e32 0x7f, v21
	s_cbranch_execz .LBB355_2874
; %bb.2871:                             ;   in Loop: Header=BB355_1581 Depth=1
	v_mov_b64_e32 v[18:19], v[26:27]
	v_lshrrev_b32_e32 v19, 3, v21
	s_mov_b32 s17, exec_lo
	v_cmpx_gt_u32_e32 8, v21
; %bb.2872:                             ;   in Loop: Header=BB355_1581 Depth=1
	v_and_b32_e32 v18, 7, v17
	s_delay_alu instid0(VALU_DEP_1) | instskip(NEXT) | instid1(VALU_DEP_1)
	v_clz_i32_u32_e32 v18, v18
	v_min_u32_e32 v20, 32, v18
	s_delay_alu instid0(VALU_DEP_1) | instskip(NEXT) | instid1(VALU_DEP_1)
	v_subrev_nc_u32_e32 v18, 28, v20
	v_lshlrev_b64_e32 v[18:19], v18, v[26:27]
	v_sub_nc_u32_e32 v19, 29, v20
; %bb.2873:                             ;   in Loop: Header=BB355_1581 Depth=1
	s_or_b32 exec_lo, exec_lo, s17
	s_delay_alu instid0(VALU_DEP_2) | instskip(SKIP_1) | instid1(VALU_DEP_3)
	v_lshlrev_b32_e32 v18, 20, v18
	v_lshlrev_b32_e32 v20, 24, v26
	v_lshl_add_u32 v19, v19, 23, 0x3c000000
	s_delay_alu instid0(VALU_DEP_3) | instskip(NEXT) | instid1(VALU_DEP_3)
	v_and_b32_e32 v18, 0x700000, v18
	v_and_b32_e32 v20, 0x80000000, v20
	s_delay_alu instid0(VALU_DEP_1)
	v_or3_b32 v20, v18, v20, v19
.LBB355_2874:                           ;   in Loop: Header=BB355_1581 Depth=1
	s_or_b32 exec_lo, exec_lo, s16
.LBB355_2875:                           ;   in Loop: Header=BB355_1581 Depth=1
	s_delay_alu instid0(SALU_CYCLE_1)
	s_or_b32 exec_lo, exec_lo, s15
.LBB355_2876:                           ;   in Loop: Header=BB355_1581 Depth=1
	s_delay_alu instid0(SALU_CYCLE_1) | instskip(SKIP_2) | instid1(VALU_DEP_1)
	s_or_b32 exec_lo, exec_lo, s14
	v_lshrrev_b16 v18, 8, v26
	s_mov_b32 s14, exec_lo
	v_cmpx_ne_u16_e32 0, v18
	s_cbranch_execz .LBB355_2884
; %bb.2877:                             ;   in Loop: Header=BB355_1581 Depth=1
	v_bfrev_b32_e32 v11, 1
	s_mov_b32 s15, exec_lo
	v_cmpx_ne_u16_e32 0x80, v18
	s_cbranch_execz .LBB355_2883
; %bb.2878:                             ;   in Loop: Header=BB355_1581 Depth=1
	v_and_b32_e32 v18, 0xffff, v18
	v_mov_b32_e32 v11, 0x7f800001
	s_mov_b32 s16, exec_lo
	s_delay_alu instid0(VALU_DEP_2) | instskip(NEXT) | instid1(VALU_DEP_1)
	v_and_b32_e32 v21, 0x7f, v18
	v_cmpx_ne_u32_e32 0x7f, v21
	s_cbranch_execz .LBB355_2882
; %bb.2879:                             ;   in Loop: Header=BB355_1581 Depth=1
	v_dual_mov_b32 v19, v27 :: v_dual_bitop2_b32 v18, 7, v18 bitop3:0x40
	v_lshrrev_b32_e32 v11, 3, v21
	s_mov_b32 s17, exec_lo
	v_cmpx_gt_u32_e32 8, v21
; %bb.2880:                             ;   in Loop: Header=BB355_1581 Depth=1
	s_delay_alu instid0(VALU_DEP_3) | instskip(NEXT) | instid1(VALU_DEP_1)
	v_clz_i32_u32_e32 v11, v18
	v_min_u32_e32 v11, 32, v11
	s_delay_alu instid0(VALU_DEP_1) | instskip(NEXT) | instid1(VALU_DEP_1)
	v_subrev_nc_u32_e32 v21, 28, v11
	v_lshlrev_b64_e32 v[18:19], v21, v[18:19]
	s_delay_alu instid0(VALU_DEP_1)
	v_dual_sub_nc_u32 v11, 29, v11 :: v_dual_bitop2_b32 v18, 7, v18 bitop3:0x40
; %bb.2881:                             ;   in Loop: Header=BB355_1581 Depth=1
	s_or_b32 exec_lo, exec_lo, s17
	v_lshlrev_b32_e32 v19, 16, v26
	s_delay_alu instid0(VALU_DEP_2) | instskip(NEXT) | instid1(VALU_DEP_3)
	v_lshlrev_b32_e32 v18, 20, v18
	v_lshl_add_u32 v11, v11, 23, 0x3c000000
	s_delay_alu instid0(VALU_DEP_3) | instskip(NEXT) | instid1(VALU_DEP_1)
	v_and_b32_e32 v19, 0x80000000, v19
	v_or3_b32 v11, v18, v19, v11
.LBB355_2882:                           ;   in Loop: Header=BB355_1581 Depth=1
	s_or_b32 exec_lo, exec_lo, s16
.LBB355_2883:                           ;   in Loop: Header=BB355_1581 Depth=1
	s_delay_alu instid0(SALU_CYCLE_1)
	s_or_b32 exec_lo, exec_lo, s15
.LBB355_2884:                           ;   in Loop: Header=BB355_1581 Depth=1
	s_delay_alu instid0(SALU_CYCLE_1) | instskip(SKIP_3) | instid1(VALU_DEP_2)
	s_or_b32 exec_lo, exec_lo, s14
	v_dual_mov_b32 v24, 0 :: v_dual_lshrrev_b32 v21, 16, v17
	v_mov_b32_e32 v18, 0
	s_mov_b32 s14, exec_lo
	v_and_b32_e32 v19, 0xff, v21
	s_delay_alu instid0(VALU_DEP_1)
	v_cmpx_ne_u16_e32 0, v19
	s_cbranch_execz .LBB355_2892
; %bb.2885:                             ;   in Loop: Header=BB355_1581 Depth=1
	v_bfrev_b32_e32 v18, 1
	s_mov_b32 s15, exec_lo
	v_cmpx_ne_u16_e32 0x80, v19
	s_cbranch_execz .LBB355_2891
; %bb.2886:                             ;   in Loop: Header=BB355_1581 Depth=1
	v_bfe_u32 v25, v17, 16, 7
	v_mov_b32_e32 v18, 0x7f800001
	s_mov_b32 s16, exec_lo
	s_delay_alu instid0(VALU_DEP_2)
	v_cmpx_ne_u32_e32 0x7f, v25
	s_cbranch_execz .LBB355_2890
; %bb.2887:                             ;   in Loop: Header=BB355_1581 Depth=1
	v_and_b32_e32 v26, 7, v21
	s_mov_b32 s17, exec_lo
	s_delay_alu instid0(VALU_DEP_1)
	v_mov_b64_e32 v[18:19], v[26:27]
	v_lshrrev_b32_e32 v19, 3, v25
	v_cmpx_gt_u32_e32 8, v25
; %bb.2888:                             ;   in Loop: Header=BB355_1581 Depth=1
	v_clz_i32_u32_e32 v18, v26
	s_delay_alu instid0(VALU_DEP_1) | instskip(NEXT) | instid1(VALU_DEP_1)
	v_min_u32_e32 v25, 32, v18
	v_subrev_nc_u32_e32 v18, 28, v25
	s_delay_alu instid0(VALU_DEP_1) | instskip(NEXT) | instid1(VALU_DEP_1)
	v_lshlrev_b64_e32 v[18:19], v18, v[26:27]
	v_dual_sub_nc_u32 v19, 29, v25 :: v_dual_bitop2_b32 v18, 7, v18 bitop3:0x40
; %bb.2889:                             ;   in Loop: Header=BB355_1581 Depth=1
	s_or_b32 exec_lo, exec_lo, s17
	s_delay_alu instid0(VALU_DEP_1) | instskip(NEXT) | instid1(VALU_DEP_2)
	v_dual_lshlrev_b32 v21, 24, v21 :: v_dual_lshlrev_b32 v18, 20, v18
	v_lshl_add_u32 v19, v19, 23, 0x3c000000
	s_delay_alu instid0(VALU_DEP_2) | instskip(NEXT) | instid1(VALU_DEP_1)
	v_and_b32_e32 v21, 0x80000000, v21
	v_or3_b32 v18, v18, v21, v19
.LBB355_2890:                           ;   in Loop: Header=BB355_1581 Depth=1
	s_or_b32 exec_lo, exec_lo, s16
.LBB355_2891:                           ;   in Loop: Header=BB355_1581 Depth=1
	s_delay_alu instid0(SALU_CYCLE_1)
	s_or_b32 exec_lo, exec_lo, s15
.LBB355_2892:                           ;   in Loop: Header=BB355_1581 Depth=1
	s_delay_alu instid0(SALU_CYCLE_1) | instskip(NEXT) | instid1(SALU_CYCLE_1)
	s_or_b32 exec_lo, exec_lo, s14
	s_mov_b32 s14, exec_lo
	v_cmpx_lt_u64_e64 s[2:3], v[16:17]
	s_cbranch_execz .LBB355_2900
; %bb.2893:                             ;   in Loop: Header=BB355_1581 Depth=1
	v_lshrrev_b32_e32 v19, 24, v17
	v_bfrev_b32_e32 v24, 1
	s_mov_b32 s15, exec_lo
	s_delay_alu instid0(VALU_DEP_2)
	v_cmpx_ne_u32_e32 0x80, v19
	s_cbranch_execz .LBB355_2899
; %bb.2894:                             ;   in Loop: Header=BB355_1581 Depth=1
	v_bfe_u32 v21, v17, 24, 7
	v_mov_b32_e32 v24, 0x7f800001
	s_mov_b32 s16, exec_lo
	s_delay_alu instid0(VALU_DEP_2)
	v_cmpx_ne_u32_e32 0x7f, v21
	s_cbranch_execz .LBB355_2898
; %bb.2895:                             ;   in Loop: Header=BB355_1581 Depth=1
	v_and_b32_e32 v26, 7, v19
	s_mov_b32 s17, exec_lo
	s_delay_alu instid0(VALU_DEP_1)
	v_mov_b64_e32 v[16:17], v[26:27]
	v_lshrrev_b32_e32 v17, 3, v21
	v_cmpx_gt_u32_e32 8, v21
; %bb.2896:                             ;   in Loop: Header=BB355_1581 Depth=1
	v_clz_i32_u32_e32 v16, v26
	s_delay_alu instid0(VALU_DEP_1) | instskip(NEXT) | instid1(VALU_DEP_1)
	v_min_u32_e32 v21, 32, v16
	v_subrev_nc_u32_e32 v16, 28, v21
	s_delay_alu instid0(VALU_DEP_1) | instskip(NEXT) | instid1(VALU_DEP_1)
	v_lshlrev_b64_e32 v[16:17], v16, v[26:27]
	v_dual_sub_nc_u32 v17, 29, v21 :: v_dual_bitop2_b32 v16, 7, v16 bitop3:0x40
; %bb.2897:                             ;   in Loop: Header=BB355_1581 Depth=1
	s_or_b32 exec_lo, exec_lo, s17
	s_delay_alu instid0(VALU_DEP_1) | instskip(NEXT) | instid1(VALU_DEP_2)
	v_dual_lshlrev_b32 v19, 24, v19 :: v_dual_lshlrev_b32 v16, 20, v16
	v_lshl_add_u32 v17, v17, 23, 0x3c000000
	s_delay_alu instid0(VALU_DEP_2) | instskip(NEXT) | instid1(VALU_DEP_1)
	v_and_b32_e32 v19, 0x80000000, v19
	v_or3_b32 v24, v16, v19, v17
.LBB355_2898:                           ;   in Loop: Header=BB355_1581 Depth=1
	s_or_b32 exec_lo, exec_lo, s16
.LBB355_2899:                           ;   in Loop: Header=BB355_1581 Depth=1
	s_delay_alu instid0(SALU_CYCLE_1)
	s_or_b32 exec_lo, exec_lo, s15
.LBB355_2900:                           ;   in Loop: Header=BB355_1581 Depth=1
	s_delay_alu instid0(SALU_CYCLE_1)
	s_or_b32 exec_lo, exec_lo, s14
	v_fma_mixlo_bf16 v11, v116, v11, 0
	v_fma_mixlo_bf16 v67, v116, v20, 0
	v_fma_mixlo_bf16 v65, v116, v15, 0
	v_fma_mixlo_bf16 v15, v116, v14, 0
	v_fma_mixlo_bf16 v20, v116, v13, 0
	v_fma_mixlo_bf16 v21, v116, v12, 0
	v_fma_mixlo_bf16 v64, v116, v18, 0
	v_fma_mixlo_bf16 v14, v116, v24, 0
	s_and_saveexec_b32 s14, vcc_lo
	s_cbranch_execz .LBB355_2902
; %bb.2901:                             ;   in Loop: Header=BB355_1581 Depth=1
	v_cmp_lt_i32_e64 s0, v115, v119
	s_delay_alu instid0(VALU_DEP_1) | instskip(SKIP_1) | instid1(VALU_DEP_1)
	v_cndmask_b32_e64 v21, 0, v21, s0
	v_cmp_lt_i32_e64 s0, v59, v119
	v_cndmask_b32_e64 v20, 0, v20, s0
	v_cmp_lt_i32_e64 s0, v58, v119
	s_delay_alu instid0(VALU_DEP_1) | instskip(SKIP_1) | instid1(VALU_DEP_1)
	v_cndmask_b32_e64 v15, 0, v15, s0
	v_cmp_lt_i32_e64 s0, v57, v119
	v_cndmask_b32_e64 v65, 0, v65, s0
	;; [unrolled: 5-line block ×4, first 2 shown]
.LBB355_2902:                           ;   in Loop: Header=BB355_1581 Depth=1
	s_or_b32 exec_lo, exec_lo, s14
	flat_load_b64 v[16:17], v[0:1] offset:5120
	v_dual_mov_b32 v13, 0 :: v_dual_mov_b32 v12, 0
	s_mov_b32 s14, exec_lo
	s_wait_loadcnt_dscnt 0x0
	v_and_b32_e32 v18, 0xff, v16
	s_wait_xcnt 0x0
	s_delay_alu instid0(VALU_DEP_1)
	v_cmpx_ne_u16_e32 0, v18
	s_cbranch_execz .LBB355_2910
; %bb.2903:                             ;   in Loop: Header=BB355_1581 Depth=1
	v_bfrev_b32_e32 v12, 1
	s_mov_b32 s15, exec_lo
	v_cmpx_ne_u16_e32 0x80, v18
	s_cbranch_execz .LBB355_2909
; %bb.2904:                             ;   in Loop: Header=BB355_1581 Depth=1
	v_and_b32_e32 v18, 0x7f, v16
	v_mov_b32_e32 v12, 0x7f800001
	s_mov_b32 s16, exec_lo
	s_delay_alu instid0(VALU_DEP_2)
	v_cmpx_ne_u32_e32 0x7f, v18
	s_cbranch_execz .LBB355_2908
; %bb.2905:                             ;   in Loop: Header=BB355_1581 Depth=1
	v_lshrrev_b32_e32 v12, 3, v18
	v_cmp_gt_u32_e64 s0, 8, v18
	v_mov_b64_e32 v[18:19], v[16:17]
	s_and_saveexec_b32 s17, s0
; %bb.2906:                             ;   in Loop: Header=BB355_1581 Depth=1
	v_and_b32_e32 v12, 7, v16
	s_delay_alu instid0(VALU_DEP_1) | instskip(NEXT) | instid1(VALU_DEP_1)
	v_clz_i32_u32_e32 v12, v12
	v_min_u32_e32 v12, 32, v12
	s_delay_alu instid0(VALU_DEP_1) | instskip(SKIP_1) | instid1(VALU_DEP_2)
	v_subrev_nc_u32_e32 v18, 28, v12
	v_sub_nc_u32_e32 v12, 29, v12
	v_lshlrev_b64_e32 v[18:19], v18, v[16:17]
; %bb.2907:                             ;   in Loop: Header=BB355_1581 Depth=1
	s_or_b32 exec_lo, exec_lo, s17
	s_delay_alu instid0(VALU_DEP_1) | instskip(NEXT) | instid1(VALU_DEP_3)
	v_dual_lshlrev_b32 v18, 20, v18 :: v_dual_lshlrev_b32 v19, 24, v16
	v_lshl_add_u32 v12, v12, 23, 0x3c000000
	s_delay_alu instid0(VALU_DEP_2) | instskip(NEXT) | instid1(VALU_DEP_3)
	v_and_b32_e32 v18, 0x700000, v18
	v_and_b32_e32 v19, 0x80000000, v19
	s_delay_alu instid0(VALU_DEP_1)
	v_or3_b32 v12, v18, v19, v12
.LBB355_2908:                           ;   in Loop: Header=BB355_1581 Depth=1
	s_or_b32 exec_lo, exec_lo, s16
.LBB355_2909:                           ;   in Loop: Header=BB355_1581 Depth=1
	s_delay_alu instid0(SALU_CYCLE_1)
	s_or_b32 exec_lo, exec_lo, s15
.LBB355_2910:                           ;   in Loop: Header=BB355_1581 Depth=1
	s_delay_alu instid0(SALU_CYCLE_1) | instskip(SKIP_2) | instid1(VALU_DEP_1)
	s_or_b32 exec_lo, exec_lo, s14
	v_lshrrev_b16 v18, 8, v16
	s_mov_b32 s14, exec_lo
	v_cmpx_ne_u16_e32 0, v18
	s_cbranch_execz .LBB355_2918
; %bb.2911:                             ;   in Loop: Header=BB355_1581 Depth=1
	v_bfrev_b32_e32 v13, 1
	s_mov_b32 s15, exec_lo
	v_cmpx_ne_u16_e32 0x80, v18
	s_cbranch_execz .LBB355_2917
; %bb.2912:                             ;   in Loop: Header=BB355_1581 Depth=1
	v_and_b32_e32 v18, 0xffff, v18
	v_mov_b32_e32 v13, 0x7f800001
	s_mov_b32 s16, exec_lo
	s_delay_alu instid0(VALU_DEP_2) | instskip(NEXT) | instid1(VALU_DEP_1)
	v_and_b32_e32 v24, 0x7f, v18
	v_cmpx_ne_u32_e32 0x7f, v24
	s_cbranch_execz .LBB355_2916
; %bb.2913:                             ;   in Loop: Header=BB355_1581 Depth=1
	v_dual_lshrrev_b32 v13, 3, v24 :: v_dual_bitop2_b32 v26, 7, v18 bitop3:0x40
	s_mov_b32 s17, exec_lo
	s_delay_alu instid0(VALU_DEP_1)
	v_mov_b64_e32 v[18:19], v[26:27]
	v_cmpx_gt_u32_e32 8, v24
; %bb.2914:                             ;   in Loop: Header=BB355_1581 Depth=1
	v_clz_i32_u32_e32 v13, v26
	s_delay_alu instid0(VALU_DEP_1) | instskip(NEXT) | instid1(VALU_DEP_1)
	v_min_u32_e32 v13, 32, v13
	v_subrev_nc_u32_e32 v18, 28, v13
	s_delay_alu instid0(VALU_DEP_1) | instskip(NEXT) | instid1(VALU_DEP_1)
	v_lshlrev_b64_e32 v[18:19], v18, v[26:27]
	v_dual_sub_nc_u32 v13, 29, v13 :: v_dual_bitop2_b32 v18, 7, v18 bitop3:0x40
; %bb.2915:                             ;   in Loop: Header=BB355_1581 Depth=1
	s_or_b32 exec_lo, exec_lo, s17
	s_delay_alu instid0(VALU_DEP_1) | instskip(NEXT) | instid1(VALU_DEP_2)
	v_dual_lshlrev_b32 v19, 16, v16 :: v_dual_lshlrev_b32 v18, 20, v18
	v_lshl_add_u32 v13, v13, 23, 0x3c000000
	s_delay_alu instid0(VALU_DEP_2) | instskip(NEXT) | instid1(VALU_DEP_1)
	v_and_b32_e32 v19, 0x80000000, v19
	v_or3_b32 v13, v18, v19, v13
.LBB355_2916:                           ;   in Loop: Header=BB355_1581 Depth=1
	s_or_b32 exec_lo, exec_lo, s16
.LBB355_2917:                           ;   in Loop: Header=BB355_1581 Depth=1
	s_delay_alu instid0(SALU_CYCLE_1)
	s_or_b32 exec_lo, exec_lo, s15
.LBB355_2918:                           ;   in Loop: Header=BB355_1581 Depth=1
	s_delay_alu instid0(SALU_CYCLE_1) | instskip(SKIP_3) | instid1(VALU_DEP_2)
	s_or_b32 exec_lo, exec_lo, s14
	v_dual_mov_b32 v25, 0 :: v_dual_lshrrev_b32 v28, 16, v16
	v_mov_b32_e32 v24, 0
	s_mov_b32 s14, exec_lo
	v_and_b32_e32 v18, 0xff, v28
	s_delay_alu instid0(VALU_DEP_1)
	v_cmpx_ne_u16_e32 0, v18
	s_cbranch_execz .LBB355_2926
; %bb.2919:                             ;   in Loop: Header=BB355_1581 Depth=1
	v_bfrev_b32_e32 v24, 1
	s_mov_b32 s15, exec_lo
	v_cmpx_ne_u16_e32 0x80, v18
	s_cbranch_execz .LBB355_2925
; %bb.2920:                             ;   in Loop: Header=BB355_1581 Depth=1
	v_bfe_u32 v29, v16, 16, 7
	v_mov_b32_e32 v24, 0x7f800001
	s_mov_b32 s16, exec_lo
	s_delay_alu instid0(VALU_DEP_2)
	v_cmpx_ne_u32_e32 0x7f, v29
	s_cbranch_execz .LBB355_2924
; %bb.2921:                             ;   in Loop: Header=BB355_1581 Depth=1
	v_and_b32_e32 v26, 7, v28
	s_mov_b32 s17, exec_lo
	s_delay_alu instid0(VALU_DEP_1)
	v_mov_b64_e32 v[18:19], v[26:27]
	v_lshrrev_b32_e32 v19, 3, v29
	v_cmpx_gt_u32_e32 8, v29
; %bb.2922:                             ;   in Loop: Header=BB355_1581 Depth=1
	v_clz_i32_u32_e32 v18, v26
	s_delay_alu instid0(VALU_DEP_1) | instskip(NEXT) | instid1(VALU_DEP_1)
	v_min_u32_e32 v24, 32, v18
	v_subrev_nc_u32_e32 v18, 28, v24
	s_delay_alu instid0(VALU_DEP_1) | instskip(NEXT) | instid1(VALU_DEP_1)
	v_lshlrev_b64_e32 v[18:19], v18, v[26:27]
	v_dual_sub_nc_u32 v19, 29, v24 :: v_dual_bitop2_b32 v18, 7, v18 bitop3:0x40
; %bb.2923:                             ;   in Loop: Header=BB355_1581 Depth=1
	s_or_b32 exec_lo, exec_lo, s17
	s_delay_alu instid0(VALU_DEP_1) | instskip(NEXT) | instid1(VALU_DEP_2)
	v_dual_lshlrev_b32 v24, 24, v28 :: v_dual_lshlrev_b32 v18, 20, v18
	v_lshl_add_u32 v19, v19, 23, 0x3c000000
	s_delay_alu instid0(VALU_DEP_2) | instskip(NEXT) | instid1(VALU_DEP_1)
	v_and_b32_e32 v24, 0x80000000, v24
	v_or3_b32 v24, v18, v24, v19
.LBB355_2924:                           ;   in Loop: Header=BB355_1581 Depth=1
	s_or_b32 exec_lo, exec_lo, s16
.LBB355_2925:                           ;   in Loop: Header=BB355_1581 Depth=1
	s_delay_alu instid0(SALU_CYCLE_1)
	s_or_b32 exec_lo, exec_lo, s15
.LBB355_2926:                           ;   in Loop: Header=BB355_1581 Depth=1
	s_delay_alu instid0(SALU_CYCLE_1) | instskip(NEXT) | instid1(SALU_CYCLE_1)
	s_or_b32 exec_lo, exec_lo, s14
	s_mov_b32 s14, exec_lo
	v_cmpx_lt_u32_e32 0xffffff, v16
	s_cbranch_execz .LBB355_2934
; %bb.2927:                             ;   in Loop: Header=BB355_1581 Depth=1
	v_lshrrev_b32_e32 v28, 24, v16
	v_bfrev_b32_e32 v25, 1
	s_mov_b32 s15, exec_lo
	s_delay_alu instid0(VALU_DEP_2)
	v_cmpx_ne_u32_e32 0x80, v28
	s_cbranch_execz .LBB355_2933
; %bb.2928:                             ;   in Loop: Header=BB355_1581 Depth=1
	v_bfe_u32 v29, v16, 24, 7
	v_mov_b32_e32 v25, 0x7f800001
	s_mov_b32 s16, exec_lo
	s_delay_alu instid0(VALU_DEP_2)
	v_cmpx_ne_u32_e32 0x7f, v29
	s_cbranch_execz .LBB355_2932
; %bb.2929:                             ;   in Loop: Header=BB355_1581 Depth=1
	v_and_b32_e32 v26, 7, v28
	s_mov_b32 s17, exec_lo
	s_delay_alu instid0(VALU_DEP_1)
	v_mov_b64_e32 v[18:19], v[26:27]
	v_lshrrev_b32_e32 v19, 3, v29
	v_cmpx_gt_u32_e32 8, v29
; %bb.2930:                             ;   in Loop: Header=BB355_1581 Depth=1
	v_clz_i32_u32_e32 v18, v26
	s_delay_alu instid0(VALU_DEP_1) | instskip(NEXT) | instid1(VALU_DEP_1)
	v_min_u32_e32 v25, 32, v18
	v_subrev_nc_u32_e32 v18, 28, v25
	s_delay_alu instid0(VALU_DEP_1) | instskip(NEXT) | instid1(VALU_DEP_1)
	v_lshlrev_b64_e32 v[18:19], v18, v[26:27]
	v_dual_sub_nc_u32 v19, 29, v25 :: v_dual_bitop2_b32 v18, 7, v18 bitop3:0x40
; %bb.2931:                             ;   in Loop: Header=BB355_1581 Depth=1
	s_or_b32 exec_lo, exec_lo, s17
	s_delay_alu instid0(VALU_DEP_1) | instskip(NEXT) | instid1(VALU_DEP_2)
	v_dual_lshlrev_b32 v25, 24, v28 :: v_dual_lshlrev_b32 v18, 20, v18
	v_lshl_add_u32 v19, v19, 23, 0x3c000000
	s_delay_alu instid0(VALU_DEP_2) | instskip(NEXT) | instid1(VALU_DEP_1)
	v_and_b32_e32 v25, 0x80000000, v25
	v_or3_b32 v25, v18, v25, v19
.LBB355_2932:                           ;   in Loop: Header=BB355_1581 Depth=1
	s_or_b32 exec_lo, exec_lo, s16
.LBB355_2933:                           ;   in Loop: Header=BB355_1581 Depth=1
	s_delay_alu instid0(SALU_CYCLE_1)
	s_or_b32 exec_lo, exec_lo, s15
.LBB355_2934:                           ;   in Loop: Header=BB355_1581 Depth=1
	s_delay_alu instid0(SALU_CYCLE_1) | instskip(SKIP_4) | instid1(VALU_DEP_3)
	s_or_b32 exec_lo, exec_lo, s14
	v_and_b32_e32 v18, 0xff, v17
	v_dual_mov_b32 v26, v17 :: v_dual_mov_b32 v28, 0
	v_mov_b32_e32 v29, 0
	s_mov_b32 s14, exec_lo
	v_cmpx_ne_u16_e32 0, v18
	s_cbranch_execz .LBB355_2942
; %bb.2935:                             ;   in Loop: Header=BB355_1581 Depth=1
	v_bfrev_b32_e32 v29, 1
	s_mov_b32 s15, exec_lo
	v_cmpx_ne_u16_e32 0x80, v18
	s_cbranch_execz .LBB355_2941
; %bb.2936:                             ;   in Loop: Header=BB355_1581 Depth=1
	v_and_b32_e32 v30, 0x7f, v17
	v_mov_b32_e32 v29, 0x7f800001
	s_mov_b32 s16, exec_lo
	s_delay_alu instid0(VALU_DEP_2)
	v_cmpx_ne_u32_e32 0x7f, v30
	s_cbranch_execz .LBB355_2940
; %bb.2937:                             ;   in Loop: Header=BB355_1581 Depth=1
	v_mov_b64_e32 v[18:19], v[26:27]
	v_lshrrev_b32_e32 v19, 3, v30
	s_mov_b32 s17, exec_lo
	v_cmpx_gt_u32_e32 8, v30
; %bb.2938:                             ;   in Loop: Header=BB355_1581 Depth=1
	v_and_b32_e32 v18, 7, v17
	s_delay_alu instid0(VALU_DEP_1) | instskip(NEXT) | instid1(VALU_DEP_1)
	v_clz_i32_u32_e32 v18, v18
	v_min_u32_e32 v29, 32, v18
	s_delay_alu instid0(VALU_DEP_1) | instskip(NEXT) | instid1(VALU_DEP_1)
	v_subrev_nc_u32_e32 v18, 28, v29
	v_lshlrev_b64_e32 v[18:19], v18, v[26:27]
	v_sub_nc_u32_e32 v19, 29, v29
; %bb.2939:                             ;   in Loop: Header=BB355_1581 Depth=1
	s_or_b32 exec_lo, exec_lo, s17
	s_delay_alu instid0(VALU_DEP_2) | instskip(SKIP_1) | instid1(VALU_DEP_3)
	v_lshlrev_b32_e32 v18, 20, v18
	v_lshlrev_b32_e32 v29, 24, v26
	v_lshl_add_u32 v19, v19, 23, 0x3c000000
	s_delay_alu instid0(VALU_DEP_3) | instskip(NEXT) | instid1(VALU_DEP_3)
	v_and_b32_e32 v18, 0x700000, v18
	v_and_b32_e32 v29, 0x80000000, v29
	s_delay_alu instid0(VALU_DEP_1)
	v_or3_b32 v29, v18, v29, v19
.LBB355_2940:                           ;   in Loop: Header=BB355_1581 Depth=1
	s_or_b32 exec_lo, exec_lo, s16
.LBB355_2941:                           ;   in Loop: Header=BB355_1581 Depth=1
	s_delay_alu instid0(SALU_CYCLE_1)
	s_or_b32 exec_lo, exec_lo, s15
.LBB355_2942:                           ;   in Loop: Header=BB355_1581 Depth=1
	s_delay_alu instid0(SALU_CYCLE_1) | instskip(SKIP_2) | instid1(VALU_DEP_1)
	s_or_b32 exec_lo, exec_lo, s14
	v_lshrrev_b16 v18, 8, v26
	s_mov_b32 s14, exec_lo
	v_cmpx_ne_u16_e32 0, v18
	s_cbranch_execz .LBB355_2950
; %bb.2943:                             ;   in Loop: Header=BB355_1581 Depth=1
	v_bfrev_b32_e32 v28, 1
	s_mov_b32 s15, exec_lo
	v_cmpx_ne_u16_e32 0x80, v18
	s_cbranch_execz .LBB355_2949
; %bb.2944:                             ;   in Loop: Header=BB355_1581 Depth=1
	v_and_b32_e32 v18, 0xffff, v18
	v_mov_b32_e32 v28, 0x7f800001
	s_mov_b32 s16, exec_lo
	s_delay_alu instid0(VALU_DEP_2) | instskip(NEXT) | instid1(VALU_DEP_1)
	v_and_b32_e32 v30, 0x7f, v18
	v_cmpx_ne_u32_e32 0x7f, v30
	s_cbranch_execz .LBB355_2948
; %bb.2945:                             ;   in Loop: Header=BB355_1581 Depth=1
	v_dual_mov_b32 v19, v27 :: v_dual_bitop2_b32 v18, 7, v18 bitop3:0x40
	v_lshrrev_b32_e32 v28, 3, v30
	s_mov_b32 s17, exec_lo
	v_cmpx_gt_u32_e32 8, v30
; %bb.2946:                             ;   in Loop: Header=BB355_1581 Depth=1
	s_delay_alu instid0(VALU_DEP_3) | instskip(NEXT) | instid1(VALU_DEP_1)
	v_clz_i32_u32_e32 v28, v18
	v_min_u32_e32 v28, 32, v28
	s_delay_alu instid0(VALU_DEP_1) | instskip(NEXT) | instid1(VALU_DEP_1)
	v_subrev_nc_u32_e32 v30, 28, v28
	v_lshlrev_b64_e32 v[18:19], v30, v[18:19]
	s_delay_alu instid0(VALU_DEP_1)
	v_dual_sub_nc_u32 v28, 29, v28 :: v_dual_bitop2_b32 v18, 7, v18 bitop3:0x40
; %bb.2947:                             ;   in Loop: Header=BB355_1581 Depth=1
	s_or_b32 exec_lo, exec_lo, s17
	v_lshlrev_b32_e32 v19, 16, v26
	s_delay_alu instid0(VALU_DEP_2) | instskip(NEXT) | instid1(VALU_DEP_3)
	v_lshlrev_b32_e32 v18, 20, v18
	v_lshl_add_u32 v26, v28, 23, 0x3c000000
	s_delay_alu instid0(VALU_DEP_3) | instskip(NEXT) | instid1(VALU_DEP_1)
	v_and_b32_e32 v19, 0x80000000, v19
	v_or3_b32 v28, v18, v19, v26
.LBB355_2948:                           ;   in Loop: Header=BB355_1581 Depth=1
	s_or_b32 exec_lo, exec_lo, s16
.LBB355_2949:                           ;   in Loop: Header=BB355_1581 Depth=1
	s_delay_alu instid0(SALU_CYCLE_1)
	s_or_b32 exec_lo, exec_lo, s15
.LBB355_2950:                           ;   in Loop: Header=BB355_1581 Depth=1
	s_delay_alu instid0(SALU_CYCLE_1) | instskip(SKIP_3) | instid1(VALU_DEP_2)
	s_or_b32 exec_lo, exec_lo, s14
	v_dual_lshrrev_b32 v30, 16, v17 :: v_dual_mov_b32 v32, 0
	v_mov_b32_e32 v18, 0
	s_mov_b32 s14, exec_lo
	v_and_b32_e32 v19, 0xff, v30
	s_delay_alu instid0(VALU_DEP_1)
	v_cmpx_ne_u16_e32 0, v19
	s_cbranch_execz .LBB355_2958
; %bb.2951:                             ;   in Loop: Header=BB355_1581 Depth=1
	v_bfrev_b32_e32 v18, 1
	s_mov_b32 s15, exec_lo
	v_cmpx_ne_u16_e32 0x80, v19
	s_cbranch_execz .LBB355_2957
; %bb.2952:                             ;   in Loop: Header=BB355_1581 Depth=1
	v_bfe_u32 v31, v17, 16, 7
	v_mov_b32_e32 v18, 0x7f800001
	s_mov_b32 s16, exec_lo
	s_delay_alu instid0(VALU_DEP_2)
	v_cmpx_ne_u32_e32 0x7f, v31
	s_cbranch_execz .LBB355_2956
; %bb.2953:                             ;   in Loop: Header=BB355_1581 Depth=1
	v_and_b32_e32 v26, 7, v30
	s_mov_b32 s17, exec_lo
	s_delay_alu instid0(VALU_DEP_1)
	v_mov_b64_e32 v[18:19], v[26:27]
	v_lshrrev_b32_e32 v19, 3, v31
	v_cmpx_gt_u32_e32 8, v31
; %bb.2954:                             ;   in Loop: Header=BB355_1581 Depth=1
	v_clz_i32_u32_e32 v18, v26
	s_delay_alu instid0(VALU_DEP_1) | instskip(NEXT) | instid1(VALU_DEP_1)
	v_min_u32_e32 v31, 32, v18
	v_subrev_nc_u32_e32 v18, 28, v31
	s_delay_alu instid0(VALU_DEP_1) | instskip(NEXT) | instid1(VALU_DEP_1)
	v_lshlrev_b64_e32 v[18:19], v18, v[26:27]
	v_dual_sub_nc_u32 v19, 29, v31 :: v_dual_bitop2_b32 v18, 7, v18 bitop3:0x40
; %bb.2955:                             ;   in Loop: Header=BB355_1581 Depth=1
	s_or_b32 exec_lo, exec_lo, s17
	v_lshlrev_b32_e32 v26, 24, v30
	s_delay_alu instid0(VALU_DEP_2) | instskip(NEXT) | instid1(VALU_DEP_3)
	v_lshlrev_b32_e32 v18, 20, v18
	v_lshl_add_u32 v19, v19, 23, 0x3c000000
	s_delay_alu instid0(VALU_DEP_3) | instskip(NEXT) | instid1(VALU_DEP_1)
	v_and_b32_e32 v26, 0x80000000, v26
	v_or3_b32 v18, v18, v26, v19
.LBB355_2956:                           ;   in Loop: Header=BB355_1581 Depth=1
	s_or_b32 exec_lo, exec_lo, s16
.LBB355_2957:                           ;   in Loop: Header=BB355_1581 Depth=1
	s_delay_alu instid0(SALU_CYCLE_1)
	s_or_b32 exec_lo, exec_lo, s15
.LBB355_2958:                           ;   in Loop: Header=BB355_1581 Depth=1
	s_delay_alu instid0(SALU_CYCLE_1) | instskip(NEXT) | instid1(SALU_CYCLE_1)
	s_or_b32 exec_lo, exec_lo, s14
	s_mov_b32 s14, exec_lo
	v_cmpx_lt_u64_e64 s[2:3], v[16:17]
	s_cbranch_execz .LBB355_2966
; %bb.2959:                             ;   in Loop: Header=BB355_1581 Depth=1
	v_lshrrev_b32_e32 v19, 24, v17
	v_bfrev_b32_e32 v32, 1
	s_mov_b32 s15, exec_lo
	s_delay_alu instid0(VALU_DEP_2)
	v_cmpx_ne_u32_e32 0x80, v19
	s_cbranch_execz .LBB355_2965
; %bb.2960:                             ;   in Loop: Header=BB355_1581 Depth=1
	v_bfe_u32 v30, v17, 24, 7
	v_mov_b32_e32 v32, 0x7f800001
	s_mov_b32 s16, exec_lo
	s_delay_alu instid0(VALU_DEP_2)
	v_cmpx_ne_u32_e32 0x7f, v30
	s_cbranch_execz .LBB355_2964
; %bb.2961:                             ;   in Loop: Header=BB355_1581 Depth=1
	v_and_b32_e32 v26, 7, v19
	s_mov_b32 s17, exec_lo
	s_delay_alu instid0(VALU_DEP_1)
	v_mov_b64_e32 v[16:17], v[26:27]
	v_lshrrev_b32_e32 v17, 3, v30
	v_cmpx_gt_u32_e32 8, v30
; %bb.2962:                             ;   in Loop: Header=BB355_1581 Depth=1
	v_clz_i32_u32_e32 v16, v26
	s_delay_alu instid0(VALU_DEP_1) | instskip(NEXT) | instid1(VALU_DEP_1)
	v_min_u32_e32 v30, 32, v16
	v_subrev_nc_u32_e32 v16, 28, v30
	s_delay_alu instid0(VALU_DEP_1) | instskip(NEXT) | instid1(VALU_DEP_1)
	v_lshlrev_b64_e32 v[16:17], v16, v[26:27]
	v_dual_sub_nc_u32 v17, 29, v30 :: v_dual_bitop2_b32 v16, 7, v16 bitop3:0x40
; %bb.2963:                             ;   in Loop: Header=BB355_1581 Depth=1
	s_or_b32 exec_lo, exec_lo, s17
	s_delay_alu instid0(VALU_DEP_1) | instskip(NEXT) | instid1(VALU_DEP_2)
	v_dual_lshlrev_b32 v19, 24, v19 :: v_dual_lshlrev_b32 v16, 20, v16
	v_lshl_add_u32 v17, v17, 23, 0x3c000000
	s_delay_alu instid0(VALU_DEP_2) | instskip(NEXT) | instid1(VALU_DEP_1)
	v_and_b32_e32 v19, 0x80000000, v19
	v_or3_b32 v32, v16, v19, v17
.LBB355_2964:                           ;   in Loop: Header=BB355_1581 Depth=1
	s_or_b32 exec_lo, exec_lo, s16
.LBB355_2965:                           ;   in Loop: Header=BB355_1581 Depth=1
	s_delay_alu instid0(SALU_CYCLE_1)
	s_or_b32 exec_lo, exec_lo, s15
.LBB355_2966:                           ;   in Loop: Header=BB355_1581 Depth=1
	s_delay_alu instid0(SALU_CYCLE_1)
	s_or_b32 exec_lo, exec_lo, s14
	v_fma_mixlo_bf16 v28, v116, v28, 0
	v_fma_mixlo_bf16 v29, v116, v29, 0
	;; [unrolled: 1-line block ×8, first 2 shown]
	s_and_saveexec_b32 s14, vcc_lo
	s_cbranch_execz .LBB355_2968
; %bb.2967:                             ;   in Loop: Header=BB355_1581 Depth=1
	v_cmp_lt_i32_e64 s0, v115, v119
	s_delay_alu instid0(VALU_DEP_1) | instskip(SKIP_1) | instid1(VALU_DEP_1)
	v_cndmask_b32_e64 v35, 0, v35, s0
	v_cmp_lt_i32_e64 s0, v59, v119
	v_cndmask_b32_e64 v34, 0, v34, s0
	v_cmp_lt_i32_e64 s0, v58, v119
	s_delay_alu instid0(VALU_DEP_1) | instskip(SKIP_1) | instid1(VALU_DEP_1)
	v_cndmask_b32_e64 v33, 0, v33, s0
	v_cmp_lt_i32_e64 s0, v57, v119
	v_cndmask_b32_e64 v31, 0, v31, s0
	;; [unrolled: 5-line block ×4, first 2 shown]
.LBB355_2968:                           ;   in Loop: Header=BB355_1581 Depth=1
	s_or_b32 exec_lo, exec_lo, s14
	flat_load_b64 v[16:17], v[0:1] offset:5376
	v_dual_mov_b32 v13, 0 :: v_dual_mov_b32 v12, 0
	s_mov_b32 s14, exec_lo
	s_wait_loadcnt_dscnt 0x0
	v_and_b32_e32 v18, 0xff, v16
	s_wait_xcnt 0x0
	s_delay_alu instid0(VALU_DEP_1)
	v_cmpx_ne_u16_e32 0, v18
	s_cbranch_execz .LBB355_2976
; %bb.2969:                             ;   in Loop: Header=BB355_1581 Depth=1
	v_bfrev_b32_e32 v12, 1
	s_mov_b32 s15, exec_lo
	v_cmpx_ne_u16_e32 0x80, v18
	s_cbranch_execz .LBB355_2975
; %bb.2970:                             ;   in Loop: Header=BB355_1581 Depth=1
	v_and_b32_e32 v18, 0x7f, v16
	v_mov_b32_e32 v12, 0x7f800001
	s_mov_b32 s16, exec_lo
	s_delay_alu instid0(VALU_DEP_2)
	v_cmpx_ne_u32_e32 0x7f, v18
	s_cbranch_execz .LBB355_2974
; %bb.2971:                             ;   in Loop: Header=BB355_1581 Depth=1
	v_lshrrev_b32_e32 v12, 3, v18
	v_cmp_gt_u32_e64 s0, 8, v18
	v_mov_b64_e32 v[18:19], v[16:17]
	s_and_saveexec_b32 s17, s0
; %bb.2972:                             ;   in Loop: Header=BB355_1581 Depth=1
	v_and_b32_e32 v12, 7, v16
	s_delay_alu instid0(VALU_DEP_1) | instskip(NEXT) | instid1(VALU_DEP_1)
	v_clz_i32_u32_e32 v12, v12
	v_min_u32_e32 v12, 32, v12
	s_delay_alu instid0(VALU_DEP_1) | instskip(SKIP_1) | instid1(VALU_DEP_2)
	v_subrev_nc_u32_e32 v18, 28, v12
	v_sub_nc_u32_e32 v12, 29, v12
	v_lshlrev_b64_e32 v[18:19], v18, v[16:17]
; %bb.2973:                             ;   in Loop: Header=BB355_1581 Depth=1
	s_or_b32 exec_lo, exec_lo, s17
	s_delay_alu instid0(VALU_DEP_1) | instskip(NEXT) | instid1(VALU_DEP_3)
	v_dual_lshlrev_b32 v18, 20, v18 :: v_dual_lshlrev_b32 v19, 24, v16
	v_lshl_add_u32 v12, v12, 23, 0x3c000000
	s_delay_alu instid0(VALU_DEP_2) | instskip(NEXT) | instid1(VALU_DEP_3)
	v_and_b32_e32 v18, 0x700000, v18
	v_and_b32_e32 v19, 0x80000000, v19
	s_delay_alu instid0(VALU_DEP_1)
	v_or3_b32 v12, v18, v19, v12
.LBB355_2974:                           ;   in Loop: Header=BB355_1581 Depth=1
	s_or_b32 exec_lo, exec_lo, s16
.LBB355_2975:                           ;   in Loop: Header=BB355_1581 Depth=1
	s_delay_alu instid0(SALU_CYCLE_1)
	s_or_b32 exec_lo, exec_lo, s15
.LBB355_2976:                           ;   in Loop: Header=BB355_1581 Depth=1
	s_delay_alu instid0(SALU_CYCLE_1) | instskip(SKIP_2) | instid1(VALU_DEP_1)
	s_or_b32 exec_lo, exec_lo, s14
	v_lshrrev_b16 v18, 8, v16
	s_mov_b32 s14, exec_lo
	v_cmpx_ne_u16_e32 0, v18
	s_cbranch_execz .LBB355_2984
; %bb.2977:                             ;   in Loop: Header=BB355_1581 Depth=1
	v_bfrev_b32_e32 v13, 1
	s_mov_b32 s15, exec_lo
	v_cmpx_ne_u16_e32 0x80, v18
	s_cbranch_execz .LBB355_2983
; %bb.2978:                             ;   in Loop: Header=BB355_1581 Depth=1
	v_and_b32_e32 v18, 0xffff, v18
	v_mov_b32_e32 v13, 0x7f800001
	s_mov_b32 s16, exec_lo
	s_delay_alu instid0(VALU_DEP_2) | instskip(NEXT) | instid1(VALU_DEP_1)
	v_and_b32_e32 v24, 0x7f, v18
	v_cmpx_ne_u32_e32 0x7f, v24
	s_cbranch_execz .LBB355_2982
; %bb.2979:                             ;   in Loop: Header=BB355_1581 Depth=1
	v_dual_lshrrev_b32 v13, 3, v24 :: v_dual_bitop2_b32 v26, 7, v18 bitop3:0x40
	s_mov_b32 s17, exec_lo
	s_delay_alu instid0(VALU_DEP_1)
	v_mov_b64_e32 v[18:19], v[26:27]
	v_cmpx_gt_u32_e32 8, v24
; %bb.2980:                             ;   in Loop: Header=BB355_1581 Depth=1
	v_clz_i32_u32_e32 v13, v26
	s_delay_alu instid0(VALU_DEP_1) | instskip(NEXT) | instid1(VALU_DEP_1)
	v_min_u32_e32 v13, 32, v13
	v_subrev_nc_u32_e32 v18, 28, v13
	s_delay_alu instid0(VALU_DEP_1) | instskip(NEXT) | instid1(VALU_DEP_1)
	v_lshlrev_b64_e32 v[18:19], v18, v[26:27]
	v_dual_sub_nc_u32 v13, 29, v13 :: v_dual_bitop2_b32 v18, 7, v18 bitop3:0x40
; %bb.2981:                             ;   in Loop: Header=BB355_1581 Depth=1
	s_or_b32 exec_lo, exec_lo, s17
	s_delay_alu instid0(VALU_DEP_1) | instskip(NEXT) | instid1(VALU_DEP_2)
	v_dual_lshlrev_b32 v19, 16, v16 :: v_dual_lshlrev_b32 v18, 20, v18
	v_lshl_add_u32 v13, v13, 23, 0x3c000000
	s_delay_alu instid0(VALU_DEP_2) | instskip(NEXT) | instid1(VALU_DEP_1)
	v_and_b32_e32 v19, 0x80000000, v19
	v_or3_b32 v13, v18, v19, v13
.LBB355_2982:                           ;   in Loop: Header=BB355_1581 Depth=1
	s_or_b32 exec_lo, exec_lo, s16
.LBB355_2983:                           ;   in Loop: Header=BB355_1581 Depth=1
	s_delay_alu instid0(SALU_CYCLE_1)
	s_or_b32 exec_lo, exec_lo, s15
.LBB355_2984:                           ;   in Loop: Header=BB355_1581 Depth=1
	s_delay_alu instid0(SALU_CYCLE_1) | instskip(SKIP_3) | instid1(VALU_DEP_2)
	s_or_b32 exec_lo, exec_lo, s14
	v_dual_mov_b32 v25, 0 :: v_dual_lshrrev_b32 v36, 16, v16
	v_mov_b32_e32 v24, 0
	s_mov_b32 s14, exec_lo
	v_and_b32_e32 v18, 0xff, v36
	s_delay_alu instid0(VALU_DEP_1)
	v_cmpx_ne_u16_e32 0, v18
	s_cbranch_execz .LBB355_2992
; %bb.2985:                             ;   in Loop: Header=BB355_1581 Depth=1
	v_bfrev_b32_e32 v24, 1
	s_mov_b32 s15, exec_lo
	v_cmpx_ne_u16_e32 0x80, v18
	s_cbranch_execz .LBB355_2991
; %bb.2986:                             ;   in Loop: Header=BB355_1581 Depth=1
	v_bfe_u32 v37, v16, 16, 7
	v_mov_b32_e32 v24, 0x7f800001
	s_mov_b32 s16, exec_lo
	s_delay_alu instid0(VALU_DEP_2)
	v_cmpx_ne_u32_e32 0x7f, v37
	s_cbranch_execz .LBB355_2990
; %bb.2987:                             ;   in Loop: Header=BB355_1581 Depth=1
	v_and_b32_e32 v26, 7, v36
	s_mov_b32 s17, exec_lo
	s_delay_alu instid0(VALU_DEP_1)
	v_mov_b64_e32 v[18:19], v[26:27]
	v_lshrrev_b32_e32 v19, 3, v37
	v_cmpx_gt_u32_e32 8, v37
; %bb.2988:                             ;   in Loop: Header=BB355_1581 Depth=1
	v_clz_i32_u32_e32 v18, v26
	s_delay_alu instid0(VALU_DEP_1) | instskip(NEXT) | instid1(VALU_DEP_1)
	v_min_u32_e32 v24, 32, v18
	v_subrev_nc_u32_e32 v18, 28, v24
	s_delay_alu instid0(VALU_DEP_1) | instskip(NEXT) | instid1(VALU_DEP_1)
	v_lshlrev_b64_e32 v[18:19], v18, v[26:27]
	v_dual_sub_nc_u32 v19, 29, v24 :: v_dual_bitop2_b32 v18, 7, v18 bitop3:0x40
; %bb.2989:                             ;   in Loop: Header=BB355_1581 Depth=1
	s_or_b32 exec_lo, exec_lo, s17
	s_delay_alu instid0(VALU_DEP_1) | instskip(NEXT) | instid1(VALU_DEP_2)
	v_dual_lshlrev_b32 v24, 24, v36 :: v_dual_lshlrev_b32 v18, 20, v18
	v_lshl_add_u32 v19, v19, 23, 0x3c000000
	s_delay_alu instid0(VALU_DEP_2) | instskip(NEXT) | instid1(VALU_DEP_1)
	v_and_b32_e32 v24, 0x80000000, v24
	v_or3_b32 v24, v18, v24, v19
.LBB355_2990:                           ;   in Loop: Header=BB355_1581 Depth=1
	s_or_b32 exec_lo, exec_lo, s16
.LBB355_2991:                           ;   in Loop: Header=BB355_1581 Depth=1
	s_delay_alu instid0(SALU_CYCLE_1)
	s_or_b32 exec_lo, exec_lo, s15
.LBB355_2992:                           ;   in Loop: Header=BB355_1581 Depth=1
	s_delay_alu instid0(SALU_CYCLE_1) | instskip(NEXT) | instid1(SALU_CYCLE_1)
	s_or_b32 exec_lo, exec_lo, s14
	s_mov_b32 s14, exec_lo
	v_cmpx_lt_u32_e32 0xffffff, v16
	s_cbranch_execz .LBB355_3000
; %bb.2993:                             ;   in Loop: Header=BB355_1581 Depth=1
	v_lshrrev_b32_e32 v36, 24, v16
	v_bfrev_b32_e32 v25, 1
	s_mov_b32 s15, exec_lo
	s_delay_alu instid0(VALU_DEP_2)
	v_cmpx_ne_u32_e32 0x80, v36
	s_cbranch_execz .LBB355_2999
; %bb.2994:                             ;   in Loop: Header=BB355_1581 Depth=1
	v_bfe_u32 v37, v16, 24, 7
	v_mov_b32_e32 v25, 0x7f800001
	s_mov_b32 s16, exec_lo
	s_delay_alu instid0(VALU_DEP_2)
	v_cmpx_ne_u32_e32 0x7f, v37
	s_cbranch_execz .LBB355_2998
; %bb.2995:                             ;   in Loop: Header=BB355_1581 Depth=1
	v_and_b32_e32 v26, 7, v36
	s_mov_b32 s17, exec_lo
	s_delay_alu instid0(VALU_DEP_1)
	v_mov_b64_e32 v[18:19], v[26:27]
	v_lshrrev_b32_e32 v19, 3, v37
	v_cmpx_gt_u32_e32 8, v37
; %bb.2996:                             ;   in Loop: Header=BB355_1581 Depth=1
	v_clz_i32_u32_e32 v18, v26
	s_delay_alu instid0(VALU_DEP_1) | instskip(NEXT) | instid1(VALU_DEP_1)
	v_min_u32_e32 v25, 32, v18
	v_subrev_nc_u32_e32 v18, 28, v25
	s_delay_alu instid0(VALU_DEP_1) | instskip(NEXT) | instid1(VALU_DEP_1)
	v_lshlrev_b64_e32 v[18:19], v18, v[26:27]
	v_dual_sub_nc_u32 v19, 29, v25 :: v_dual_bitop2_b32 v18, 7, v18 bitop3:0x40
; %bb.2997:                             ;   in Loop: Header=BB355_1581 Depth=1
	s_or_b32 exec_lo, exec_lo, s17
	s_delay_alu instid0(VALU_DEP_1) | instskip(NEXT) | instid1(VALU_DEP_2)
	v_dual_lshlrev_b32 v25, 24, v36 :: v_dual_lshlrev_b32 v18, 20, v18
	v_lshl_add_u32 v19, v19, 23, 0x3c000000
	s_delay_alu instid0(VALU_DEP_2) | instskip(NEXT) | instid1(VALU_DEP_1)
	v_and_b32_e32 v25, 0x80000000, v25
	v_or3_b32 v25, v18, v25, v19
.LBB355_2998:                           ;   in Loop: Header=BB355_1581 Depth=1
	s_or_b32 exec_lo, exec_lo, s16
.LBB355_2999:                           ;   in Loop: Header=BB355_1581 Depth=1
	s_delay_alu instid0(SALU_CYCLE_1)
	s_or_b32 exec_lo, exec_lo, s15
.LBB355_3000:                           ;   in Loop: Header=BB355_1581 Depth=1
	s_delay_alu instid0(SALU_CYCLE_1) | instskip(SKIP_4) | instid1(VALU_DEP_3)
	s_or_b32 exec_lo, exec_lo, s14
	v_and_b32_e32 v18, 0xff, v17
	v_dual_mov_b32 v26, v17 :: v_dual_mov_b32 v36, 0
	v_mov_b32_e32 v37, 0
	s_mov_b32 s14, exec_lo
	v_cmpx_ne_u16_e32 0, v18
	s_cbranch_execz .LBB355_3008
; %bb.3001:                             ;   in Loop: Header=BB355_1581 Depth=1
	v_bfrev_b32_e32 v37, 1
	s_mov_b32 s15, exec_lo
	v_cmpx_ne_u16_e32 0x80, v18
	s_cbranch_execz .LBB355_3007
; %bb.3002:                             ;   in Loop: Header=BB355_1581 Depth=1
	v_and_b32_e32 v38, 0x7f, v17
	v_mov_b32_e32 v37, 0x7f800001
	s_mov_b32 s16, exec_lo
	s_delay_alu instid0(VALU_DEP_2)
	v_cmpx_ne_u32_e32 0x7f, v38
	s_cbranch_execz .LBB355_3006
; %bb.3003:                             ;   in Loop: Header=BB355_1581 Depth=1
	v_mov_b64_e32 v[18:19], v[26:27]
	v_lshrrev_b32_e32 v19, 3, v38
	s_mov_b32 s17, exec_lo
	v_cmpx_gt_u32_e32 8, v38
; %bb.3004:                             ;   in Loop: Header=BB355_1581 Depth=1
	v_and_b32_e32 v18, 7, v17
	s_delay_alu instid0(VALU_DEP_1) | instskip(NEXT) | instid1(VALU_DEP_1)
	v_clz_i32_u32_e32 v18, v18
	v_min_u32_e32 v37, 32, v18
	s_delay_alu instid0(VALU_DEP_1) | instskip(NEXT) | instid1(VALU_DEP_1)
	v_subrev_nc_u32_e32 v18, 28, v37
	v_lshlrev_b64_e32 v[18:19], v18, v[26:27]
	v_sub_nc_u32_e32 v19, 29, v37
; %bb.3005:                             ;   in Loop: Header=BB355_1581 Depth=1
	s_or_b32 exec_lo, exec_lo, s17
	s_delay_alu instid0(VALU_DEP_2) | instskip(SKIP_1) | instid1(VALU_DEP_3)
	v_lshlrev_b32_e32 v18, 20, v18
	v_lshlrev_b32_e32 v37, 24, v26
	v_lshl_add_u32 v19, v19, 23, 0x3c000000
	s_delay_alu instid0(VALU_DEP_3) | instskip(NEXT) | instid1(VALU_DEP_3)
	v_and_b32_e32 v18, 0x700000, v18
	v_and_b32_e32 v37, 0x80000000, v37
	s_delay_alu instid0(VALU_DEP_1)
	v_or3_b32 v37, v18, v37, v19
.LBB355_3006:                           ;   in Loop: Header=BB355_1581 Depth=1
	s_or_b32 exec_lo, exec_lo, s16
.LBB355_3007:                           ;   in Loop: Header=BB355_1581 Depth=1
	s_delay_alu instid0(SALU_CYCLE_1)
	s_or_b32 exec_lo, exec_lo, s15
.LBB355_3008:                           ;   in Loop: Header=BB355_1581 Depth=1
	s_delay_alu instid0(SALU_CYCLE_1) | instskip(SKIP_2) | instid1(VALU_DEP_1)
	s_or_b32 exec_lo, exec_lo, s14
	v_lshrrev_b16 v18, 8, v26
	s_mov_b32 s14, exec_lo
	v_cmpx_ne_u16_e32 0, v18
	s_cbranch_execz .LBB355_3016
; %bb.3009:                             ;   in Loop: Header=BB355_1581 Depth=1
	v_bfrev_b32_e32 v36, 1
	s_mov_b32 s15, exec_lo
	v_cmpx_ne_u16_e32 0x80, v18
	s_cbranch_execz .LBB355_3015
; %bb.3010:                             ;   in Loop: Header=BB355_1581 Depth=1
	v_and_b32_e32 v18, 0xffff, v18
	v_mov_b32_e32 v36, 0x7f800001
	s_mov_b32 s16, exec_lo
	s_delay_alu instid0(VALU_DEP_2) | instskip(NEXT) | instid1(VALU_DEP_1)
	v_and_b32_e32 v38, 0x7f, v18
	v_cmpx_ne_u32_e32 0x7f, v38
	s_cbranch_execz .LBB355_3014
; %bb.3011:                             ;   in Loop: Header=BB355_1581 Depth=1
	v_dual_mov_b32 v19, v27 :: v_dual_bitop2_b32 v18, 7, v18 bitop3:0x40
	v_lshrrev_b32_e32 v36, 3, v38
	s_mov_b32 s17, exec_lo
	v_cmpx_gt_u32_e32 8, v38
; %bb.3012:                             ;   in Loop: Header=BB355_1581 Depth=1
	s_delay_alu instid0(VALU_DEP_3) | instskip(NEXT) | instid1(VALU_DEP_1)
	v_clz_i32_u32_e32 v36, v18
	v_min_u32_e32 v36, 32, v36
	s_delay_alu instid0(VALU_DEP_1) | instskip(NEXT) | instid1(VALU_DEP_1)
	v_subrev_nc_u32_e32 v38, 28, v36
	v_lshlrev_b64_e32 v[18:19], v38, v[18:19]
	s_delay_alu instid0(VALU_DEP_1)
	v_dual_sub_nc_u32 v36, 29, v36 :: v_dual_bitop2_b32 v18, 7, v18 bitop3:0x40
; %bb.3013:                             ;   in Loop: Header=BB355_1581 Depth=1
	s_or_b32 exec_lo, exec_lo, s17
	v_lshlrev_b32_e32 v19, 16, v26
	s_delay_alu instid0(VALU_DEP_2) | instskip(NEXT) | instid1(VALU_DEP_3)
	v_lshlrev_b32_e32 v18, 20, v18
	v_lshl_add_u32 v26, v36, 23, 0x3c000000
	s_delay_alu instid0(VALU_DEP_3) | instskip(NEXT) | instid1(VALU_DEP_1)
	v_and_b32_e32 v19, 0x80000000, v19
	v_or3_b32 v36, v18, v19, v26
.LBB355_3014:                           ;   in Loop: Header=BB355_1581 Depth=1
	s_or_b32 exec_lo, exec_lo, s16
.LBB355_3015:                           ;   in Loop: Header=BB355_1581 Depth=1
	s_delay_alu instid0(SALU_CYCLE_1)
	s_or_b32 exec_lo, exec_lo, s15
.LBB355_3016:                           ;   in Loop: Header=BB355_1581 Depth=1
	s_delay_alu instid0(SALU_CYCLE_1) | instskip(SKIP_3) | instid1(VALU_DEP_2)
	s_or_b32 exec_lo, exec_lo, s14
	v_dual_mov_b32 v39, 0 :: v_dual_lshrrev_b32 v38, 16, v17
	v_mov_b32_e32 v18, 0
	s_mov_b32 s14, exec_lo
	v_and_b32_e32 v19, 0xff, v38
	s_delay_alu instid0(VALU_DEP_1)
	v_cmpx_ne_u16_e32 0, v19
	s_cbranch_execz .LBB355_3024
; %bb.3017:                             ;   in Loop: Header=BB355_1581 Depth=1
	v_bfrev_b32_e32 v18, 1
	s_mov_b32 s15, exec_lo
	v_cmpx_ne_u16_e32 0x80, v19
	s_cbranch_execz .LBB355_3023
; %bb.3018:                             ;   in Loop: Header=BB355_1581 Depth=1
	v_bfe_u32 v48, v17, 16, 7
	v_mov_b32_e32 v18, 0x7f800001
	s_mov_b32 s16, exec_lo
	s_delay_alu instid0(VALU_DEP_2)
	v_cmpx_ne_u32_e32 0x7f, v48
	s_cbranch_execz .LBB355_3022
; %bb.3019:                             ;   in Loop: Header=BB355_1581 Depth=1
	v_and_b32_e32 v26, 7, v38
	s_mov_b32 s17, exec_lo
	s_delay_alu instid0(VALU_DEP_1)
	v_mov_b64_e32 v[18:19], v[26:27]
	v_lshrrev_b32_e32 v19, 3, v48
	v_cmpx_gt_u32_e32 8, v48
; %bb.3020:                             ;   in Loop: Header=BB355_1581 Depth=1
	v_clz_i32_u32_e32 v18, v26
	s_delay_alu instid0(VALU_DEP_1) | instskip(NEXT) | instid1(VALU_DEP_1)
	v_min_u32_e32 v48, 32, v18
	v_subrev_nc_u32_e32 v18, 28, v48
	s_delay_alu instid0(VALU_DEP_1) | instskip(NEXT) | instid1(VALU_DEP_1)
	v_lshlrev_b64_e32 v[18:19], v18, v[26:27]
	v_dual_sub_nc_u32 v19, 29, v48 :: v_dual_bitop2_b32 v18, 7, v18 bitop3:0x40
; %bb.3021:                             ;   in Loop: Header=BB355_1581 Depth=1
	s_or_b32 exec_lo, exec_lo, s17
	v_lshlrev_b32_e32 v26, 24, v38
	s_delay_alu instid0(VALU_DEP_2) | instskip(NEXT) | instid1(VALU_DEP_3)
	v_lshlrev_b32_e32 v18, 20, v18
	v_lshl_add_u32 v19, v19, 23, 0x3c000000
	s_delay_alu instid0(VALU_DEP_3) | instskip(NEXT) | instid1(VALU_DEP_1)
	v_and_b32_e32 v26, 0x80000000, v26
	v_or3_b32 v18, v18, v26, v19
.LBB355_3022:                           ;   in Loop: Header=BB355_1581 Depth=1
	s_or_b32 exec_lo, exec_lo, s16
.LBB355_3023:                           ;   in Loop: Header=BB355_1581 Depth=1
	s_delay_alu instid0(SALU_CYCLE_1)
	s_or_b32 exec_lo, exec_lo, s15
.LBB355_3024:                           ;   in Loop: Header=BB355_1581 Depth=1
	s_delay_alu instid0(SALU_CYCLE_1) | instskip(NEXT) | instid1(SALU_CYCLE_1)
	s_or_b32 exec_lo, exec_lo, s14
	s_mov_b32 s14, exec_lo
	v_cmpx_lt_u64_e64 s[2:3], v[16:17]
	s_cbranch_execz .LBB355_3032
; %bb.3025:                             ;   in Loop: Header=BB355_1581 Depth=1
	v_lshrrev_b32_e32 v19, 24, v17
	v_bfrev_b32_e32 v39, 1
	s_mov_b32 s15, exec_lo
	s_delay_alu instid0(VALU_DEP_2)
	v_cmpx_ne_u32_e32 0x80, v19
	s_cbranch_execz .LBB355_3031
; %bb.3026:                             ;   in Loop: Header=BB355_1581 Depth=1
	v_bfe_u32 v38, v17, 24, 7
	v_mov_b32_e32 v39, 0x7f800001
	s_mov_b32 s16, exec_lo
	s_delay_alu instid0(VALU_DEP_2)
	v_cmpx_ne_u32_e32 0x7f, v38
	s_cbranch_execz .LBB355_3030
; %bb.3027:                             ;   in Loop: Header=BB355_1581 Depth=1
	v_and_b32_e32 v26, 7, v19
	s_mov_b32 s17, exec_lo
	s_delay_alu instid0(VALU_DEP_1)
	v_mov_b64_e32 v[16:17], v[26:27]
	v_lshrrev_b32_e32 v17, 3, v38
	v_cmpx_gt_u32_e32 8, v38
; %bb.3028:                             ;   in Loop: Header=BB355_1581 Depth=1
	v_clz_i32_u32_e32 v16, v26
	s_delay_alu instid0(VALU_DEP_1) | instskip(NEXT) | instid1(VALU_DEP_1)
	v_min_u32_e32 v38, 32, v16
	v_subrev_nc_u32_e32 v16, 28, v38
	s_delay_alu instid0(VALU_DEP_1) | instskip(NEXT) | instid1(VALU_DEP_1)
	v_lshlrev_b64_e32 v[16:17], v16, v[26:27]
	v_dual_sub_nc_u32 v17, 29, v38 :: v_dual_bitop2_b32 v16, 7, v16 bitop3:0x40
; %bb.3029:                             ;   in Loop: Header=BB355_1581 Depth=1
	s_or_b32 exec_lo, exec_lo, s17
	s_delay_alu instid0(VALU_DEP_1) | instskip(NEXT) | instid1(VALU_DEP_2)
	v_dual_lshlrev_b32 v19, 24, v19 :: v_dual_lshlrev_b32 v16, 20, v16
	v_lshl_add_u32 v17, v17, 23, 0x3c000000
	s_delay_alu instid0(VALU_DEP_2) | instskip(NEXT) | instid1(VALU_DEP_1)
	v_and_b32_e32 v19, 0x80000000, v19
	v_or3_b32 v39, v16, v19, v17
.LBB355_3030:                           ;   in Loop: Header=BB355_1581 Depth=1
	s_or_b32 exec_lo, exec_lo, s16
.LBB355_3031:                           ;   in Loop: Header=BB355_1581 Depth=1
	s_delay_alu instid0(SALU_CYCLE_1)
	s_or_b32 exec_lo, exec_lo, s15
.LBB355_3032:                           ;   in Loop: Header=BB355_1581 Depth=1
	s_delay_alu instid0(SALU_CYCLE_1)
	s_or_b32 exec_lo, exec_lo, s14
	v_fma_mixlo_bf16 v36, v116, v36, 0
	v_fma_mixlo_bf16 v37, v116, v37, 0
	;; [unrolled: 1-line block ×8, first 2 shown]
	s_and_saveexec_b32 s14, vcc_lo
	s_cbranch_execz .LBB355_3034
; %bb.3033:                             ;   in Loop: Header=BB355_1581 Depth=1
	v_cmp_lt_i32_e64 s0, v115, v119
	s_delay_alu instid0(VALU_DEP_1) | instskip(SKIP_1) | instid1(VALU_DEP_1)
	v_cndmask_b32_e64 v51, 0, v51, s0
	v_cmp_lt_i32_e64 s0, v59, v119
	v_cndmask_b32_e64 v50, 0, v50, s0
	v_cmp_lt_i32_e64 s0, v58, v119
	s_delay_alu instid0(VALU_DEP_1) | instskip(SKIP_1) | instid1(VALU_DEP_1)
	v_cndmask_b32_e64 v49, 0, v49, s0
	v_cmp_lt_i32_e64 s0, v57, v119
	v_cndmask_b32_e64 v48, 0, v48, s0
	;; [unrolled: 5-line block ×4, first 2 shown]
.LBB355_3034:                           ;   in Loop: Header=BB355_1581 Depth=1
	s_or_b32 exec_lo, exec_lo, s14
	flat_load_b64 v[16:17], v[0:1] offset:5632
	v_dual_mov_b32 v25, 0 :: v_dual_mov_b32 v24, 0
	s_mov_b32 s14, exec_lo
	s_wait_loadcnt_dscnt 0x0
	v_and_b32_e32 v12, 0xff, v16
	s_wait_xcnt 0x0
	s_delay_alu instid0(VALU_DEP_1)
	v_cmpx_ne_u16_e32 0, v12
	s_cbranch_execz .LBB355_3042
; %bb.3035:                             ;   in Loop: Header=BB355_1581 Depth=1
	v_bfrev_b32_e32 v24, 1
	s_mov_b32 s15, exec_lo
	v_cmpx_ne_u16_e32 0x80, v12
	s_cbranch_execz .LBB355_3041
; %bb.3036:                             ;   in Loop: Header=BB355_1581 Depth=1
	v_and_b32_e32 v13, 0x7f, v16
	v_mov_b32_e32 v24, 0x7f800001
	s_mov_b32 s16, exec_lo
	s_delay_alu instid0(VALU_DEP_2)
	v_cmpx_ne_u32_e32 0x7f, v13
	s_cbranch_execz .LBB355_3040
; %bb.3037:                             ;   in Loop: Header=BB355_1581 Depth=1
	v_mov_b64_e32 v[18:19], v[16:17]
	v_lshrrev_b32_e32 v12, 3, v13
	s_mov_b32 s17, exec_lo
	v_cmpx_gt_u32_e32 8, v13
; %bb.3038:                             ;   in Loop: Header=BB355_1581 Depth=1
	v_and_b32_e32 v12, 7, v16
	s_delay_alu instid0(VALU_DEP_1) | instskip(NEXT) | instid1(VALU_DEP_1)
	v_clz_i32_u32_e32 v12, v12
	v_min_u32_e32 v12, 32, v12
	s_delay_alu instid0(VALU_DEP_1) | instskip(SKIP_1) | instid1(VALU_DEP_2)
	v_subrev_nc_u32_e32 v13, 28, v12
	v_sub_nc_u32_e32 v12, 29, v12
	v_lshlrev_b64_e32 v[18:19], v13, v[16:17]
; %bb.3039:                             ;   in Loop: Header=BB355_1581 Depth=1
	s_or_b32 exec_lo, exec_lo, s17
	s_delay_alu instid0(VALU_DEP_1) | instskip(NEXT) | instid1(VALU_DEP_3)
	v_dual_lshlrev_b32 v13, 20, v18 :: v_dual_lshlrev_b32 v18, 24, v16
	v_lshl_add_u32 v12, v12, 23, 0x3c000000
	s_delay_alu instid0(VALU_DEP_2) | instskip(NEXT) | instid1(VALU_DEP_3)
	v_and_b32_e32 v13, 0x700000, v13
	v_and_b32_e32 v18, 0x80000000, v18
	s_delay_alu instid0(VALU_DEP_1)
	v_or3_b32 v24, v13, v18, v12
.LBB355_3040:                           ;   in Loop: Header=BB355_1581 Depth=1
	s_or_b32 exec_lo, exec_lo, s16
.LBB355_3041:                           ;   in Loop: Header=BB355_1581 Depth=1
	s_delay_alu instid0(SALU_CYCLE_1)
	s_or_b32 exec_lo, exec_lo, s15
.LBB355_3042:                           ;   in Loop: Header=BB355_1581 Depth=1
	s_delay_alu instid0(SALU_CYCLE_1) | instskip(SKIP_2) | instid1(VALU_DEP_1)
	s_or_b32 exec_lo, exec_lo, s14
	v_lshrrev_b16 v12, 8, v16
	s_mov_b32 s14, exec_lo
	v_cmpx_ne_u16_e32 0, v12
	s_cbranch_execz .LBB355_3050
; %bb.3043:                             ;   in Loop: Header=BB355_1581 Depth=1
	v_bfrev_b32_e32 v25, 1
	s_mov_b32 s15, exec_lo
	v_cmpx_ne_u16_e32 0x80, v12
	s_cbranch_execz .LBB355_3049
; %bb.3044:                             ;   in Loop: Header=BB355_1581 Depth=1
	v_and_b32_e32 v12, 0xffff, v12
	v_mov_b32_e32 v25, 0x7f800001
	s_mov_b32 s16, exec_lo
	s_delay_alu instid0(VALU_DEP_2) | instskip(NEXT) | instid1(VALU_DEP_1)
	v_and_b32_e32 v13, 0x7f, v12
	v_cmpx_ne_u32_e32 0x7f, v13
	s_cbranch_execz .LBB355_3048
; %bb.3045:                             ;   in Loop: Header=BB355_1581 Depth=1
	v_dual_lshrrev_b32 v12, 3, v13 :: v_dual_bitop2_b32 v26, 7, v12 bitop3:0x40
	s_mov_b32 s17, exec_lo
	s_delay_alu instid0(VALU_DEP_1)
	v_mov_b64_e32 v[18:19], v[26:27]
	v_cmpx_gt_u32_e32 8, v13
; %bb.3046:                             ;   in Loop: Header=BB355_1581 Depth=1
	v_clz_i32_u32_e32 v12, v26
	s_delay_alu instid0(VALU_DEP_1) | instskip(NEXT) | instid1(VALU_DEP_1)
	v_min_u32_e32 v12, 32, v12
	v_subrev_nc_u32_e32 v13, 28, v12
	s_delay_alu instid0(VALU_DEP_1) | instskip(NEXT) | instid1(VALU_DEP_1)
	v_lshlrev_b64_e32 v[18:19], v13, v[26:27]
	v_dual_sub_nc_u32 v12, 29, v12 :: v_dual_bitop2_b32 v18, 7, v18 bitop3:0x40
; %bb.3047:                             ;   in Loop: Header=BB355_1581 Depth=1
	s_or_b32 exec_lo, exec_lo, s17
	s_delay_alu instid0(VALU_DEP_1) | instskip(NEXT) | instid1(VALU_DEP_2)
	v_dual_lshlrev_b32 v13, 16, v16 :: v_dual_lshlrev_b32 v18, 20, v18
	v_lshl_add_u32 v12, v12, 23, 0x3c000000
	s_delay_alu instid0(VALU_DEP_2) | instskip(NEXT) | instid1(VALU_DEP_1)
	v_and_b32_e32 v13, 0x80000000, v13
	v_or3_b32 v25, v18, v13, v12
.LBB355_3048:                           ;   in Loop: Header=BB355_1581 Depth=1
	s_or_b32 exec_lo, exec_lo, s16
.LBB355_3049:                           ;   in Loop: Header=BB355_1581 Depth=1
	s_delay_alu instid0(SALU_CYCLE_1)
	s_or_b32 exec_lo, exec_lo, s15
.LBB355_3050:                           ;   in Loop: Header=BB355_1581 Depth=1
	s_delay_alu instid0(SALU_CYCLE_1) | instskip(SKIP_3) | instid1(VALU_DEP_2)
	s_or_b32 exec_lo, exec_lo, s14
	v_dual_mov_b32 v53, 0 :: v_dual_lshrrev_b32 v12, 16, v16
	v_mov_b32_e32 v54, 0
	s_mov_b32 s14, exec_lo
	v_and_b32_e32 v13, 0xff, v12
	s_delay_alu instid0(VALU_DEP_1)
	v_cmpx_ne_u16_e32 0, v13
	s_cbranch_execz .LBB355_3058
; %bb.3051:                             ;   in Loop: Header=BB355_1581 Depth=1
	v_bfrev_b32_e32 v54, 1
	s_mov_b32 s15, exec_lo
	v_cmpx_ne_u16_e32 0x80, v13
	s_cbranch_execz .LBB355_3057
; %bb.3052:                             ;   in Loop: Header=BB355_1581 Depth=1
	v_bfe_u32 v55, v16, 16, 7
	v_mov_b32_e32 v54, 0x7f800001
	s_mov_b32 s16, exec_lo
	s_delay_alu instid0(VALU_DEP_2)
	v_cmpx_ne_u32_e32 0x7f, v55
	s_cbranch_execz .LBB355_3056
; %bb.3053:                             ;   in Loop: Header=BB355_1581 Depth=1
	v_dual_lshrrev_b32 v13, 3, v55 :: v_dual_bitop2_b32 v26, 7, v12 bitop3:0x40
	s_mov_b32 s17, exec_lo
	s_delay_alu instid0(VALU_DEP_1)
	v_mov_b64_e32 v[18:19], v[26:27]
	v_cmpx_gt_u32_e32 8, v55
; %bb.3054:                             ;   in Loop: Header=BB355_1581 Depth=1
	v_clz_i32_u32_e32 v13, v26
	s_delay_alu instid0(VALU_DEP_1) | instskip(NEXT) | instid1(VALU_DEP_1)
	v_min_u32_e32 v13, 32, v13
	v_subrev_nc_u32_e32 v18, 28, v13
	s_delay_alu instid0(VALU_DEP_1) | instskip(NEXT) | instid1(VALU_DEP_1)
	v_lshlrev_b64_e32 v[18:19], v18, v[26:27]
	v_dual_sub_nc_u32 v13, 29, v13 :: v_dual_bitop2_b32 v18, 7, v18 bitop3:0x40
; %bb.3055:                             ;   in Loop: Header=BB355_1581 Depth=1
	s_or_b32 exec_lo, exec_lo, s17
	s_delay_alu instid0(VALU_DEP_1) | instskip(NEXT) | instid1(VALU_DEP_2)
	v_dual_lshlrev_b32 v12, 24, v12 :: v_dual_lshlrev_b32 v18, 20, v18
	v_lshl_add_u32 v13, v13, 23, 0x3c000000
	s_delay_alu instid0(VALU_DEP_2) | instskip(NEXT) | instid1(VALU_DEP_1)
	v_and_b32_e32 v12, 0x80000000, v12
	v_or3_b32 v54, v18, v12, v13
.LBB355_3056:                           ;   in Loop: Header=BB355_1581 Depth=1
	s_or_b32 exec_lo, exec_lo, s16
.LBB355_3057:                           ;   in Loop: Header=BB355_1581 Depth=1
	s_delay_alu instid0(SALU_CYCLE_1)
	s_or_b32 exec_lo, exec_lo, s15
.LBB355_3058:                           ;   in Loop: Header=BB355_1581 Depth=1
	s_delay_alu instid0(SALU_CYCLE_1) | instskip(NEXT) | instid1(SALU_CYCLE_1)
	s_or_b32 exec_lo, exec_lo, s14
	s_mov_b32 s14, exec_lo
	v_cmpx_lt_u32_e32 0xffffff, v16
	s_cbranch_execz .LBB355_3066
; %bb.3059:                             ;   in Loop: Header=BB355_1581 Depth=1
	v_lshrrev_b32_e32 v12, 24, v16
	v_bfrev_b32_e32 v53, 1
	s_mov_b32 s15, exec_lo
	s_delay_alu instid0(VALU_DEP_2)
	v_cmpx_ne_u32_e32 0x80, v12
	s_cbranch_execz .LBB355_3065
; %bb.3060:                             ;   in Loop: Header=BB355_1581 Depth=1
	v_bfe_u32 v55, v16, 24, 7
	v_mov_b32_e32 v53, 0x7f800001
	s_mov_b32 s16, exec_lo
	s_delay_alu instid0(VALU_DEP_2)
	v_cmpx_ne_u32_e32 0x7f, v55
	s_cbranch_execz .LBB355_3064
; %bb.3061:                             ;   in Loop: Header=BB355_1581 Depth=1
	v_dual_lshrrev_b32 v13, 3, v55 :: v_dual_bitop2_b32 v26, 7, v12 bitop3:0x40
	s_mov_b32 s17, exec_lo
	s_delay_alu instid0(VALU_DEP_1)
	v_mov_b64_e32 v[18:19], v[26:27]
	v_cmpx_gt_u32_e32 8, v55
; %bb.3062:                             ;   in Loop: Header=BB355_1581 Depth=1
	v_clz_i32_u32_e32 v13, v26
	s_delay_alu instid0(VALU_DEP_1) | instskip(NEXT) | instid1(VALU_DEP_1)
	v_min_u32_e32 v13, 32, v13
	v_subrev_nc_u32_e32 v18, 28, v13
	s_delay_alu instid0(VALU_DEP_1) | instskip(NEXT) | instid1(VALU_DEP_1)
	v_lshlrev_b64_e32 v[18:19], v18, v[26:27]
	v_dual_sub_nc_u32 v13, 29, v13 :: v_dual_bitop2_b32 v18, 7, v18 bitop3:0x40
; %bb.3063:                             ;   in Loop: Header=BB355_1581 Depth=1
	s_or_b32 exec_lo, exec_lo, s17
	s_delay_alu instid0(VALU_DEP_1) | instskip(NEXT) | instid1(VALU_DEP_2)
	v_dual_lshlrev_b32 v12, 24, v12 :: v_dual_lshlrev_b32 v18, 20, v18
	v_lshl_add_u32 v13, v13, 23, 0x3c000000
	s_delay_alu instid0(VALU_DEP_2) | instskip(NEXT) | instid1(VALU_DEP_1)
	v_and_b32_e32 v12, 0x80000000, v12
	v_or3_b32 v53, v18, v12, v13
.LBB355_3064:                           ;   in Loop: Header=BB355_1581 Depth=1
	s_or_b32 exec_lo, exec_lo, s16
.LBB355_3065:                           ;   in Loop: Header=BB355_1581 Depth=1
	s_delay_alu instid0(SALU_CYCLE_1)
	s_or_b32 exec_lo, exec_lo, s15
.LBB355_3066:                           ;   in Loop: Header=BB355_1581 Depth=1
	s_delay_alu instid0(SALU_CYCLE_1) | instskip(SKIP_4) | instid1(VALU_DEP_3)
	s_or_b32 exec_lo, exec_lo, s14
	v_and_b32_e32 v18, 0xff, v17
	v_dual_mov_b32 v26, v17 :: v_dual_mov_b32 v12, 0
	v_mov_b32_e32 v13, 0
	s_mov_b32 s14, exec_lo
	v_cmpx_ne_u16_e32 0, v18
	s_cbranch_execz .LBB355_3074
; %bb.3067:                             ;   in Loop: Header=BB355_1581 Depth=1
	v_bfrev_b32_e32 v13, 1
	s_mov_b32 s15, exec_lo
	v_cmpx_ne_u16_e32 0x80, v18
	s_cbranch_execz .LBB355_3073
; %bb.3068:                             ;   in Loop: Header=BB355_1581 Depth=1
	v_and_b32_e32 v55, 0x7f, v17
	v_mov_b32_e32 v13, 0x7f800001
	s_mov_b32 s16, exec_lo
	s_delay_alu instid0(VALU_DEP_2)
	v_cmpx_ne_u32_e32 0x7f, v55
	s_cbranch_execz .LBB355_3072
; %bb.3069:                             ;   in Loop: Header=BB355_1581 Depth=1
	v_mov_b64_e32 v[18:19], v[26:27]
	v_lshrrev_b32_e32 v13, 3, v55
	s_mov_b32 s17, exec_lo
	v_cmpx_gt_u32_e32 8, v55
; %bb.3070:                             ;   in Loop: Header=BB355_1581 Depth=1
	v_and_b32_e32 v13, 7, v17
	s_delay_alu instid0(VALU_DEP_1) | instskip(NEXT) | instid1(VALU_DEP_1)
	v_clz_i32_u32_e32 v13, v13
	v_min_u32_e32 v13, 32, v13
	s_delay_alu instid0(VALU_DEP_1) | instskip(SKIP_1) | instid1(VALU_DEP_2)
	v_subrev_nc_u32_e32 v18, 28, v13
	v_sub_nc_u32_e32 v13, 29, v13
	v_lshlrev_b64_e32 v[18:19], v18, v[26:27]
; %bb.3071:                             ;   in Loop: Header=BB355_1581 Depth=1
	s_or_b32 exec_lo, exec_lo, s17
	s_delay_alu instid0(VALU_DEP_1) | instskip(SKIP_2) | instid1(VALU_DEP_3)
	v_lshlrev_b32_e32 v18, 20, v18
	v_lshlrev_b32_e32 v19, 24, v26
	v_lshl_add_u32 v13, v13, 23, 0x3c000000
	v_and_b32_e32 v18, 0x700000, v18
	s_delay_alu instid0(VALU_DEP_3) | instskip(NEXT) | instid1(VALU_DEP_1)
	v_and_b32_e32 v19, 0x80000000, v19
	v_or3_b32 v13, v18, v19, v13
.LBB355_3072:                           ;   in Loop: Header=BB355_1581 Depth=1
	s_or_b32 exec_lo, exec_lo, s16
.LBB355_3073:                           ;   in Loop: Header=BB355_1581 Depth=1
	s_delay_alu instid0(SALU_CYCLE_1)
	s_or_b32 exec_lo, exec_lo, s15
.LBB355_3074:                           ;   in Loop: Header=BB355_1581 Depth=1
	s_delay_alu instid0(SALU_CYCLE_1) | instskip(SKIP_2) | instid1(VALU_DEP_1)
	s_or_b32 exec_lo, exec_lo, s14
	v_lshrrev_b16 v18, 8, v26
	s_mov_b32 s14, exec_lo
	v_cmpx_ne_u16_e32 0, v18
	s_cbranch_execz .LBB355_3082
; %bb.3075:                             ;   in Loop: Header=BB355_1581 Depth=1
	v_bfrev_b32_e32 v12, 1
	s_mov_b32 s15, exec_lo
	v_cmpx_ne_u16_e32 0x80, v18
	s_cbranch_execz .LBB355_3081
; %bb.3076:                             ;   in Loop: Header=BB355_1581 Depth=1
	v_and_b32_e32 v18, 0xffff, v18
	v_mov_b32_e32 v12, 0x7f800001
	s_mov_b32 s16, exec_lo
	s_delay_alu instid0(VALU_DEP_2) | instskip(NEXT) | instid1(VALU_DEP_1)
	v_and_b32_e32 v55, 0x7f, v18
	v_cmpx_ne_u32_e32 0x7f, v55
	s_cbranch_execz .LBB355_3080
; %bb.3077:                             ;   in Loop: Header=BB355_1581 Depth=1
	v_dual_mov_b32 v19, v27 :: v_dual_bitop2_b32 v18, 7, v18 bitop3:0x40
	v_lshrrev_b32_e32 v12, 3, v55
	s_mov_b32 s17, exec_lo
	v_cmpx_gt_u32_e32 8, v55
; %bb.3078:                             ;   in Loop: Header=BB355_1581 Depth=1
	s_delay_alu instid0(VALU_DEP_3) | instskip(NEXT) | instid1(VALU_DEP_1)
	v_clz_i32_u32_e32 v12, v18
	v_min_u32_e32 v12, 32, v12
	s_delay_alu instid0(VALU_DEP_1) | instskip(NEXT) | instid1(VALU_DEP_1)
	v_subrev_nc_u32_e32 v55, 28, v12
	v_lshlrev_b64_e32 v[18:19], v55, v[18:19]
	s_delay_alu instid0(VALU_DEP_1)
	v_dual_sub_nc_u32 v12, 29, v12 :: v_dual_bitop2_b32 v18, 7, v18 bitop3:0x40
; %bb.3079:                             ;   in Loop: Header=BB355_1581 Depth=1
	s_or_b32 exec_lo, exec_lo, s17
	v_lshlrev_b32_e32 v19, 16, v26
	s_delay_alu instid0(VALU_DEP_2) | instskip(NEXT) | instid1(VALU_DEP_3)
	v_lshlrev_b32_e32 v18, 20, v18
	v_lshl_add_u32 v12, v12, 23, 0x3c000000
	s_delay_alu instid0(VALU_DEP_3) | instskip(NEXT) | instid1(VALU_DEP_1)
	v_and_b32_e32 v19, 0x80000000, v19
	v_or3_b32 v12, v18, v19, v12
.LBB355_3080:                           ;   in Loop: Header=BB355_1581 Depth=1
	s_or_b32 exec_lo, exec_lo, s16
.LBB355_3081:                           ;   in Loop: Header=BB355_1581 Depth=1
	s_delay_alu instid0(SALU_CYCLE_1)
	s_or_b32 exec_lo, exec_lo, s15
.LBB355_3082:                           ;   in Loop: Header=BB355_1581 Depth=1
	s_delay_alu instid0(SALU_CYCLE_1) | instskip(SKIP_3) | instid1(VALU_DEP_2)
	s_or_b32 exec_lo, exec_lo, s14
	v_dual_mov_b32 v55, 0 :: v_dual_lshrrev_b32 v68, 16, v17
	v_mov_b32_e32 v18, 0
	s_mov_b32 s14, exec_lo
	v_and_b32_e32 v19, 0xff, v68
	s_delay_alu instid0(VALU_DEP_1)
	v_cmpx_ne_u16_e32 0, v19
	s_cbranch_execz .LBB355_3090
; %bb.3083:                             ;   in Loop: Header=BB355_1581 Depth=1
	v_bfrev_b32_e32 v18, 1
	s_mov_b32 s15, exec_lo
	v_cmpx_ne_u16_e32 0x80, v19
	s_cbranch_execz .LBB355_3089
; %bb.3084:                             ;   in Loop: Header=BB355_1581 Depth=1
	v_bfe_u32 v69, v17, 16, 7
	v_mov_b32_e32 v18, 0x7f800001
	s_mov_b32 s16, exec_lo
	s_delay_alu instid0(VALU_DEP_2)
	v_cmpx_ne_u32_e32 0x7f, v69
	s_cbranch_execz .LBB355_3088
; %bb.3085:                             ;   in Loop: Header=BB355_1581 Depth=1
	v_and_b32_e32 v26, 7, v68
	s_mov_b32 s17, exec_lo
	s_delay_alu instid0(VALU_DEP_1)
	v_mov_b64_e32 v[18:19], v[26:27]
	v_lshrrev_b32_e32 v19, 3, v69
	v_cmpx_gt_u32_e32 8, v69
; %bb.3086:                             ;   in Loop: Header=BB355_1581 Depth=1
	v_clz_i32_u32_e32 v18, v26
	s_delay_alu instid0(VALU_DEP_1) | instskip(NEXT) | instid1(VALU_DEP_1)
	v_min_u32_e32 v69, 32, v18
	v_subrev_nc_u32_e32 v18, 28, v69
	s_delay_alu instid0(VALU_DEP_1) | instskip(NEXT) | instid1(VALU_DEP_1)
	v_lshlrev_b64_e32 v[18:19], v18, v[26:27]
	v_dual_sub_nc_u32 v19, 29, v69 :: v_dual_bitop2_b32 v18, 7, v18 bitop3:0x40
; %bb.3087:                             ;   in Loop: Header=BB355_1581 Depth=1
	s_or_b32 exec_lo, exec_lo, s17
	s_delay_alu instid0(VALU_DEP_1) | instskip(NEXT) | instid1(VALU_DEP_2)
	v_dual_lshlrev_b32 v26, 24, v68 :: v_dual_lshlrev_b32 v18, 20, v18
	v_lshl_add_u32 v19, v19, 23, 0x3c000000
	s_delay_alu instid0(VALU_DEP_2) | instskip(NEXT) | instid1(VALU_DEP_1)
	v_and_b32_e32 v26, 0x80000000, v26
	v_or3_b32 v18, v18, v26, v19
.LBB355_3088:                           ;   in Loop: Header=BB355_1581 Depth=1
	s_or_b32 exec_lo, exec_lo, s16
.LBB355_3089:                           ;   in Loop: Header=BB355_1581 Depth=1
	s_delay_alu instid0(SALU_CYCLE_1)
	s_or_b32 exec_lo, exec_lo, s15
.LBB355_3090:                           ;   in Loop: Header=BB355_1581 Depth=1
	s_delay_alu instid0(SALU_CYCLE_1) | instskip(NEXT) | instid1(SALU_CYCLE_1)
	s_or_b32 exec_lo, exec_lo, s14
	s_mov_b32 s14, exec_lo
	v_cmpx_lt_u64_e64 s[2:3], v[16:17]
	s_cbranch_execz .LBB355_3098
; %bb.3091:                             ;   in Loop: Header=BB355_1581 Depth=1
	v_lshrrev_b32_e32 v19, 24, v17
	v_bfrev_b32_e32 v55, 1
	s_mov_b32 s15, exec_lo
	s_delay_alu instid0(VALU_DEP_2)
	v_cmpx_ne_u32_e32 0x80, v19
	s_cbranch_execz .LBB355_3097
; %bb.3092:                             ;   in Loop: Header=BB355_1581 Depth=1
	v_bfe_u32 v68, v17, 24, 7
	v_mov_b32_e32 v55, 0x7f800001
	s_mov_b32 s16, exec_lo
	s_delay_alu instid0(VALU_DEP_2)
	v_cmpx_ne_u32_e32 0x7f, v68
	s_cbranch_execz .LBB355_3096
; %bb.3093:                             ;   in Loop: Header=BB355_1581 Depth=1
	v_and_b32_e32 v26, 7, v19
	s_mov_b32 s17, exec_lo
	s_delay_alu instid0(VALU_DEP_1)
	v_mov_b64_e32 v[16:17], v[26:27]
	v_lshrrev_b32_e32 v17, 3, v68
	v_cmpx_gt_u32_e32 8, v68
; %bb.3094:                             ;   in Loop: Header=BB355_1581 Depth=1
	v_clz_i32_u32_e32 v16, v26
	s_delay_alu instid0(VALU_DEP_1) | instskip(NEXT) | instid1(VALU_DEP_1)
	v_min_u32_e32 v55, 32, v16
	v_subrev_nc_u32_e32 v16, 28, v55
	s_delay_alu instid0(VALU_DEP_1) | instskip(NEXT) | instid1(VALU_DEP_1)
	v_lshlrev_b64_e32 v[16:17], v16, v[26:27]
	v_dual_sub_nc_u32 v17, 29, v55 :: v_dual_bitop2_b32 v16, 7, v16 bitop3:0x40
; %bb.3095:                             ;   in Loop: Header=BB355_1581 Depth=1
	s_or_b32 exec_lo, exec_lo, s17
	s_delay_alu instid0(VALU_DEP_1) | instskip(NEXT) | instid1(VALU_DEP_2)
	v_dual_lshlrev_b32 v19, 24, v19 :: v_dual_lshlrev_b32 v16, 20, v16
	v_lshl_add_u32 v17, v17, 23, 0x3c000000
	s_delay_alu instid0(VALU_DEP_2) | instskip(NEXT) | instid1(VALU_DEP_1)
	v_and_b32_e32 v19, 0x80000000, v19
	v_or3_b32 v55, v16, v19, v17
.LBB355_3096:                           ;   in Loop: Header=BB355_1581 Depth=1
	s_or_b32 exec_lo, exec_lo, s16
.LBB355_3097:                           ;   in Loop: Header=BB355_1581 Depth=1
	s_delay_alu instid0(SALU_CYCLE_1)
	s_or_b32 exec_lo, exec_lo, s15
.LBB355_3098:                           ;   in Loop: Header=BB355_1581 Depth=1
	s_delay_alu instid0(SALU_CYCLE_1)
	s_or_b32 exec_lo, exec_lo, s14
	v_fma_mixlo_bf16 v12, v116, v12, 0
	v_fma_mixlo_bf16 v13, v116, v13, 0
	;; [unrolled: 1-line block ×8, first 2 shown]
	s_and_saveexec_b32 s14, vcc_lo
	s_cbranch_execz .LBB355_3100
; %bb.3099:                             ;   in Loop: Header=BB355_1581 Depth=1
	v_cmp_lt_i32_e64 s0, v115, v119
	s_delay_alu instid0(VALU_DEP_1) | instskip(SKIP_1) | instid1(VALU_DEP_1)
	v_cndmask_b32_e64 v70, 0, v70, s0
	v_cmp_lt_i32_e64 s0, v59, v119
	v_cndmask_b32_e64 v69, 0, v69, s0
	v_cmp_lt_i32_e64 s0, v58, v119
	s_delay_alu instid0(VALU_DEP_1) | instskip(SKIP_1) | instid1(VALU_DEP_1)
	v_cndmask_b32_e64 v68, 0, v68, s0
	v_cmp_lt_i32_e64 s0, v57, v119
	v_cndmask_b32_e64 v53, 0, v53, s0
	;; [unrolled: 5-line block ×4, first 2 shown]
.LBB355_3100:                           ;   in Loop: Header=BB355_1581 Depth=1
	s_or_b32 exec_lo, exec_lo, s14
	flat_load_b64 v[0:1], v[0:1] offset:5888
	v_dual_mov_b32 v25, 0 :: v_dual_mov_b32 v24, 0
	s_mov_b32 s14, exec_lo
	s_wait_loadcnt_dscnt 0x0
	v_and_b32_e32 v16, 0xff, v0
	s_wait_xcnt 0x0
	s_delay_alu instid0(VALU_DEP_1)
	v_cmpx_ne_u16_e32 0, v16
	s_cbranch_execz .LBB355_3108
; %bb.3101:                             ;   in Loop: Header=BB355_1581 Depth=1
	v_bfrev_b32_e32 v24, 1
	s_mov_b32 s15, exec_lo
	v_cmpx_ne_u16_e32 0x80, v16
	s_cbranch_execz .LBB355_3107
; %bb.3102:                             ;   in Loop: Header=BB355_1581 Depth=1
	v_and_b32_e32 v16, 0x7f, v0
	v_mov_b32_e32 v24, 0x7f800001
	s_mov_b32 s16, exec_lo
	s_delay_alu instid0(VALU_DEP_2)
	v_cmpx_ne_u32_e32 0x7f, v16
	s_cbranch_execz .LBB355_3106
; %bb.3103:                             ;   in Loop: Header=BB355_1581 Depth=1
	v_lshrrev_b32_e32 v18, 3, v16
	v_cmp_gt_u32_e64 s0, 8, v16
	v_mov_b64_e32 v[16:17], v[0:1]
	s_and_saveexec_b32 s17, s0
; %bb.3104:                             ;   in Loop: Header=BB355_1581 Depth=1
	v_and_b32_e32 v16, 7, v0
	s_delay_alu instid0(VALU_DEP_1) | instskip(NEXT) | instid1(VALU_DEP_1)
	v_clz_i32_u32_e32 v16, v16
	v_min_u32_e32 v18, 32, v16
	s_delay_alu instid0(VALU_DEP_1) | instskip(SKIP_1) | instid1(VALU_DEP_2)
	v_subrev_nc_u32_e32 v16, 28, v18
	v_sub_nc_u32_e32 v18, 29, v18
	v_lshlrev_b64_e32 v[16:17], v16, v[0:1]
; %bb.3105:                             ;   in Loop: Header=BB355_1581 Depth=1
	s_or_b32 exec_lo, exec_lo, s17
	s_delay_alu instid0(VALU_DEP_1) | instskip(SKIP_2) | instid1(VALU_DEP_3)
	v_lshlrev_b32_e32 v16, 20, v16
	v_lshlrev_b32_e32 v17, 24, v0
	v_lshl_add_u32 v18, v18, 23, 0x3c000000
	v_and_b32_e32 v16, 0x700000, v16
	s_delay_alu instid0(VALU_DEP_3) | instskip(NEXT) | instid1(VALU_DEP_1)
	v_and_b32_e32 v17, 0x80000000, v17
	v_or3_b32 v24, v16, v17, v18
.LBB355_3106:                           ;   in Loop: Header=BB355_1581 Depth=1
	s_or_b32 exec_lo, exec_lo, s16
.LBB355_3107:                           ;   in Loop: Header=BB355_1581 Depth=1
	s_delay_alu instid0(SALU_CYCLE_1)
	s_or_b32 exec_lo, exec_lo, s15
.LBB355_3108:                           ;   in Loop: Header=BB355_1581 Depth=1
	s_delay_alu instid0(SALU_CYCLE_1) | instskip(SKIP_2) | instid1(VALU_DEP_1)
	s_or_b32 exec_lo, exec_lo, s14
	v_lshrrev_b16 v16, 8, v0
	s_mov_b32 s14, exec_lo
	v_cmpx_ne_u16_e32 0, v16
	s_cbranch_execz .LBB355_3116
; %bb.3109:                             ;   in Loop: Header=BB355_1581 Depth=1
	v_bfrev_b32_e32 v25, 1
	s_mov_b32 s15, exec_lo
	v_cmpx_ne_u16_e32 0x80, v16
	s_cbranch_execz .LBB355_3115
; %bb.3110:                             ;   in Loop: Header=BB355_1581 Depth=1
	v_and_b32_e32 v16, 0xffff, v16
	v_mov_b32_e32 v25, 0x7f800001
	s_mov_b32 s16, exec_lo
	s_delay_alu instid0(VALU_DEP_2) | instskip(NEXT) | instid1(VALU_DEP_1)
	v_and_b32_e32 v18, 0x7f, v16
	v_cmpx_ne_u32_e32 0x7f, v18
	s_cbranch_execz .LBB355_3114
; %bb.3111:                             ;   in Loop: Header=BB355_1581 Depth=1
	v_and_b32_e32 v26, 7, v16
	s_mov_b32 s17, exec_lo
	s_delay_alu instid0(VALU_DEP_1)
	v_mov_b64_e32 v[16:17], v[26:27]
	v_lshrrev_b32_e32 v17, 3, v18
	v_cmpx_gt_u32_e32 8, v18
; %bb.3112:                             ;   in Loop: Header=BB355_1581 Depth=1
	v_clz_i32_u32_e32 v16, v26
	s_delay_alu instid0(VALU_DEP_1) | instskip(NEXT) | instid1(VALU_DEP_1)
	v_min_u32_e32 v18, 32, v16
	v_subrev_nc_u32_e32 v16, 28, v18
	s_delay_alu instid0(VALU_DEP_1) | instskip(NEXT) | instid1(VALU_DEP_1)
	v_lshlrev_b64_e32 v[16:17], v16, v[26:27]
	v_dual_sub_nc_u32 v17, 29, v18 :: v_dual_bitop2_b32 v16, 7, v16 bitop3:0x40
; %bb.3113:                             ;   in Loop: Header=BB355_1581 Depth=1
	s_or_b32 exec_lo, exec_lo, s17
	v_lshlrev_b32_e32 v18, 16, v0
	s_delay_alu instid0(VALU_DEP_2) | instskip(NEXT) | instid1(VALU_DEP_3)
	v_lshlrev_b32_e32 v16, 20, v16
	v_lshl_add_u32 v17, v17, 23, 0x3c000000
	s_delay_alu instid0(VALU_DEP_3) | instskip(NEXT) | instid1(VALU_DEP_1)
	v_and_b32_e32 v18, 0x80000000, v18
	v_or3_b32 v25, v16, v18, v17
.LBB355_3114:                           ;   in Loop: Header=BB355_1581 Depth=1
	s_or_b32 exec_lo, exec_lo, s16
.LBB355_3115:                           ;   in Loop: Header=BB355_1581 Depth=1
	s_delay_alu instid0(SALU_CYCLE_1)
	s_or_b32 exec_lo, exec_lo, s15
.LBB355_3116:                           ;   in Loop: Header=BB355_1581 Depth=1
	s_delay_alu instid0(SALU_CYCLE_1) | instskip(SKIP_3) | instid1(VALU_DEP_2)
	s_or_b32 exec_lo, exec_lo, s14
	v_dual_mov_b32 v18, 0 :: v_dual_lshrrev_b32 v71, 16, v0
	v_mov_b32_e32 v19, 0
	s_mov_b32 s14, exec_lo
	v_and_b32_e32 v16, 0xff, v71
	s_delay_alu instid0(VALU_DEP_1)
	v_cmpx_ne_u16_e32 0, v16
	s_cbranch_execz .LBB355_3124
; %bb.3117:                             ;   in Loop: Header=BB355_1581 Depth=1
	v_bfrev_b32_e32 v19, 1
	s_mov_b32 s15, exec_lo
	v_cmpx_ne_u16_e32 0x80, v16
	s_cbranch_execz .LBB355_3123
; %bb.3118:                             ;   in Loop: Header=BB355_1581 Depth=1
	v_bfe_u32 v80, v0, 16, 7
	v_mov_b32_e32 v19, 0x7f800001
	s_mov_b32 s16, exec_lo
	s_delay_alu instid0(VALU_DEP_2)
	v_cmpx_ne_u32_e32 0x7f, v80
	s_cbranch_execz .LBB355_3122
; %bb.3119:                             ;   in Loop: Header=BB355_1581 Depth=1
	v_and_b32_e32 v26, 7, v71
	s_mov_b32 s17, exec_lo
	s_delay_alu instid0(VALU_DEP_1)
	v_mov_b64_e32 v[16:17], v[26:27]
	v_lshrrev_b32_e32 v17, 3, v80
	v_cmpx_gt_u32_e32 8, v80
; %bb.3120:                             ;   in Loop: Header=BB355_1581 Depth=1
	v_clz_i32_u32_e32 v16, v26
	s_delay_alu instid0(VALU_DEP_1) | instskip(NEXT) | instid1(VALU_DEP_1)
	v_min_u32_e32 v19, 32, v16
	v_subrev_nc_u32_e32 v16, 28, v19
	s_delay_alu instid0(VALU_DEP_1) | instskip(NEXT) | instid1(VALU_DEP_1)
	v_lshlrev_b64_e32 v[16:17], v16, v[26:27]
	v_dual_sub_nc_u32 v17, 29, v19 :: v_dual_bitop2_b32 v16, 7, v16 bitop3:0x40
; %bb.3121:                             ;   in Loop: Header=BB355_1581 Depth=1
	s_or_b32 exec_lo, exec_lo, s17
	s_delay_alu instid0(VALU_DEP_1) | instskip(NEXT) | instid1(VALU_DEP_2)
	v_dual_lshlrev_b32 v19, 24, v71 :: v_dual_lshlrev_b32 v16, 20, v16
	v_lshl_add_u32 v17, v17, 23, 0x3c000000
	s_delay_alu instid0(VALU_DEP_2) | instskip(NEXT) | instid1(VALU_DEP_1)
	v_and_b32_e32 v19, 0x80000000, v19
	v_or3_b32 v19, v16, v19, v17
.LBB355_3122:                           ;   in Loop: Header=BB355_1581 Depth=1
	s_or_b32 exec_lo, exec_lo, s16
.LBB355_3123:                           ;   in Loop: Header=BB355_1581 Depth=1
	s_delay_alu instid0(SALU_CYCLE_1)
	s_or_b32 exec_lo, exec_lo, s15
.LBB355_3124:                           ;   in Loop: Header=BB355_1581 Depth=1
	s_delay_alu instid0(SALU_CYCLE_1) | instskip(NEXT) | instid1(SALU_CYCLE_1)
	s_or_b32 exec_lo, exec_lo, s14
	s_mov_b32 s14, exec_lo
	v_cmpx_lt_u32_e32 0xffffff, v0
	s_cbranch_execz .LBB355_3132
; %bb.3125:                             ;   in Loop: Header=BB355_1581 Depth=1
	v_lshrrev_b32_e32 v71, 24, v0
	v_bfrev_b32_e32 v18, 1
	s_mov_b32 s15, exec_lo
	s_delay_alu instid0(VALU_DEP_2)
	v_cmpx_ne_u32_e32 0x80, v71
	s_cbranch_execz .LBB355_3131
; %bb.3126:                             ;   in Loop: Header=BB355_1581 Depth=1
	v_bfe_u32 v80, v0, 24, 7
	v_mov_b32_e32 v18, 0x7f800001
	s_mov_b32 s16, exec_lo
	s_delay_alu instid0(VALU_DEP_2)
	v_cmpx_ne_u32_e32 0x7f, v80
	s_cbranch_execz .LBB355_3130
; %bb.3127:                             ;   in Loop: Header=BB355_1581 Depth=1
	v_and_b32_e32 v26, 7, v71
	s_mov_b32 s17, exec_lo
	s_delay_alu instid0(VALU_DEP_1)
	v_mov_b64_e32 v[16:17], v[26:27]
	v_lshrrev_b32_e32 v17, 3, v80
	v_cmpx_gt_u32_e32 8, v80
; %bb.3128:                             ;   in Loop: Header=BB355_1581 Depth=1
	v_clz_i32_u32_e32 v16, v26
	s_delay_alu instid0(VALU_DEP_1) | instskip(NEXT) | instid1(VALU_DEP_1)
	v_min_u32_e32 v18, 32, v16
	v_subrev_nc_u32_e32 v16, 28, v18
	s_delay_alu instid0(VALU_DEP_1) | instskip(NEXT) | instid1(VALU_DEP_1)
	v_lshlrev_b64_e32 v[16:17], v16, v[26:27]
	v_dual_sub_nc_u32 v17, 29, v18 :: v_dual_bitop2_b32 v16, 7, v16 bitop3:0x40
; %bb.3129:                             ;   in Loop: Header=BB355_1581 Depth=1
	s_or_b32 exec_lo, exec_lo, s17
	s_delay_alu instid0(VALU_DEP_1) | instskip(NEXT) | instid1(VALU_DEP_2)
	v_dual_lshlrev_b32 v18, 24, v71 :: v_dual_lshlrev_b32 v16, 20, v16
	v_lshl_add_u32 v17, v17, 23, 0x3c000000
	s_delay_alu instid0(VALU_DEP_2) | instskip(NEXT) | instid1(VALU_DEP_1)
	v_and_b32_e32 v18, 0x80000000, v18
	v_or3_b32 v18, v16, v18, v17
.LBB355_3130:                           ;   in Loop: Header=BB355_1581 Depth=1
	s_or_b32 exec_lo, exec_lo, s16
.LBB355_3131:                           ;   in Loop: Header=BB355_1581 Depth=1
	s_delay_alu instid0(SALU_CYCLE_1)
	s_or_b32 exec_lo, exec_lo, s15
.LBB355_3132:                           ;   in Loop: Header=BB355_1581 Depth=1
	s_delay_alu instid0(SALU_CYCLE_1) | instskip(SKIP_4) | instid1(VALU_DEP_3)
	s_or_b32 exec_lo, exec_lo, s14
	v_and_b32_e32 v16, 0xff, v1
	v_dual_mov_b32 v26, v1 :: v_dual_mov_b32 v80, 0
	v_mov_b32_e32 v71, 0
	s_mov_b32 s14, exec_lo
	v_cmpx_ne_u16_e32 0, v16
	s_cbranch_execz .LBB355_3140
; %bb.3133:                             ;   in Loop: Header=BB355_1581 Depth=1
	v_bfrev_b32_e32 v71, 1
	s_mov_b32 s15, exec_lo
	v_cmpx_ne_u16_e32 0x80, v16
	s_cbranch_execz .LBB355_3139
; %bb.3134:                             ;   in Loop: Header=BB355_1581 Depth=1
	v_and_b32_e32 v81, 0x7f, v1
	v_mov_b32_e32 v71, 0x7f800001
	s_mov_b32 s16, exec_lo
	s_delay_alu instid0(VALU_DEP_2)
	v_cmpx_ne_u32_e32 0x7f, v81
	s_cbranch_execz .LBB355_3138
; %bb.3135:                             ;   in Loop: Header=BB355_1581 Depth=1
	v_mov_b64_e32 v[16:17], v[26:27]
	v_lshrrev_b32_e32 v17, 3, v81
	s_mov_b32 s17, exec_lo
	v_cmpx_gt_u32_e32 8, v81
; %bb.3136:                             ;   in Loop: Header=BB355_1581 Depth=1
	v_and_b32_e32 v16, 7, v1
	s_delay_alu instid0(VALU_DEP_1) | instskip(NEXT) | instid1(VALU_DEP_1)
	v_clz_i32_u32_e32 v16, v16
	v_min_u32_e32 v71, 32, v16
	s_delay_alu instid0(VALU_DEP_1) | instskip(NEXT) | instid1(VALU_DEP_1)
	v_subrev_nc_u32_e32 v16, 28, v71
	v_lshlrev_b64_e32 v[16:17], v16, v[26:27]
	v_sub_nc_u32_e32 v17, 29, v71
; %bb.3137:                             ;   in Loop: Header=BB355_1581 Depth=1
	s_or_b32 exec_lo, exec_lo, s17
	s_delay_alu instid0(VALU_DEP_2) | instskip(NEXT) | instid1(VALU_DEP_2)
	v_dual_lshlrev_b32 v16, 20, v16 :: v_dual_lshlrev_b32 v71, 24, v26
	v_lshl_add_u32 v17, v17, 23, 0x3c000000
	s_delay_alu instid0(VALU_DEP_2) | instskip(NEXT) | instid1(VALU_DEP_3)
	v_and_b32_e32 v16, 0x700000, v16
	v_and_b32_e32 v71, 0x80000000, v71
	s_delay_alu instid0(VALU_DEP_1)
	v_or3_b32 v71, v16, v71, v17
.LBB355_3138:                           ;   in Loop: Header=BB355_1581 Depth=1
	s_or_b32 exec_lo, exec_lo, s16
.LBB355_3139:                           ;   in Loop: Header=BB355_1581 Depth=1
	s_delay_alu instid0(SALU_CYCLE_1)
	s_or_b32 exec_lo, exec_lo, s15
.LBB355_3140:                           ;   in Loop: Header=BB355_1581 Depth=1
	s_delay_alu instid0(SALU_CYCLE_1) | instskip(SKIP_2) | instid1(VALU_DEP_1)
	s_or_b32 exec_lo, exec_lo, s14
	v_lshrrev_b16 v16, 8, v26
	s_mov_b32 s14, exec_lo
	v_cmpx_ne_u16_e32 0, v16
	s_cbranch_execz .LBB355_3148
; %bb.3141:                             ;   in Loop: Header=BB355_1581 Depth=1
	v_bfrev_b32_e32 v80, 1
	s_mov_b32 s15, exec_lo
	v_cmpx_ne_u16_e32 0x80, v16
	s_cbranch_execz .LBB355_3147
; %bb.3142:                             ;   in Loop: Header=BB355_1581 Depth=1
	v_and_b32_e32 v16, 0xffff, v16
	v_mov_b32_e32 v80, 0x7f800001
	s_mov_b32 s16, exec_lo
	s_delay_alu instid0(VALU_DEP_2) | instskip(NEXT) | instid1(VALU_DEP_1)
	v_and_b32_e32 v81, 0x7f, v16
	v_cmpx_ne_u32_e32 0x7f, v81
	s_cbranch_execz .LBB355_3146
; %bb.3143:                             ;   in Loop: Header=BB355_1581 Depth=1
	v_dual_mov_b32 v17, v27 :: v_dual_bitop2_b32 v16, 7, v16 bitop3:0x40
	v_lshrrev_b32_e32 v80, 3, v81
	s_mov_b32 s17, exec_lo
	v_cmpx_gt_u32_e32 8, v81
; %bb.3144:                             ;   in Loop: Header=BB355_1581 Depth=1
	s_delay_alu instid0(VALU_DEP_3) | instskip(NEXT) | instid1(VALU_DEP_1)
	v_clz_i32_u32_e32 v80, v16
	v_min_u32_e32 v80, 32, v80
	s_delay_alu instid0(VALU_DEP_1) | instskip(SKIP_1) | instid1(VALU_DEP_2)
	v_subrev_nc_u32_e32 v81, 28, v80
	v_sub_nc_u32_e32 v80, 29, v80
	v_lshlrev_b64_e32 v[16:17], v81, v[16:17]
	s_delay_alu instid0(VALU_DEP_1)
	v_and_b32_e32 v16, 7, v16
; %bb.3145:                             ;   in Loop: Header=BB355_1581 Depth=1
	s_or_b32 exec_lo, exec_lo, s17
	s_delay_alu instid0(VALU_DEP_1) | instskip(SKIP_1) | instid1(VALU_DEP_2)
	v_dual_lshlrev_b32 v17, 16, v26 :: v_dual_lshlrev_b32 v16, 20, v16
	v_lshl_add_u32 v26, v80, 23, 0x3c000000
	v_and_b32_e32 v17, 0x80000000, v17
	s_delay_alu instid0(VALU_DEP_1)
	v_or3_b32 v80, v16, v17, v26
.LBB355_3146:                           ;   in Loop: Header=BB355_1581 Depth=1
	s_or_b32 exec_lo, exec_lo, s16
.LBB355_3147:                           ;   in Loop: Header=BB355_1581 Depth=1
	s_delay_alu instid0(SALU_CYCLE_1)
	s_or_b32 exec_lo, exec_lo, s15
.LBB355_3148:                           ;   in Loop: Header=BB355_1581 Depth=1
	s_delay_alu instid0(SALU_CYCLE_1) | instskip(SKIP_3) | instid1(VALU_DEP_2)
	s_or_b32 exec_lo, exec_lo, s14
	v_dual_mov_b32 v81, 0 :: v_dual_lshrrev_b32 v82, 16, v1
	v_mov_b32_e32 v16, 0
	s_mov_b32 s14, exec_lo
	v_and_b32_e32 v17, 0xff, v82
	s_delay_alu instid0(VALU_DEP_1)
	v_cmpx_ne_u16_e32 0, v17
	s_cbranch_execz .LBB355_3156
; %bb.3149:                             ;   in Loop: Header=BB355_1581 Depth=1
	v_bfrev_b32_e32 v16, 1
	s_mov_b32 s15, exec_lo
	v_cmpx_ne_u16_e32 0x80, v17
	s_cbranch_execz .LBB355_3155
; %bb.3150:                             ;   in Loop: Header=BB355_1581 Depth=1
	v_bfe_u32 v83, v1, 16, 7
	v_mov_b32_e32 v16, 0x7f800001
	s_mov_b32 s16, exec_lo
	s_delay_alu instid0(VALU_DEP_2)
	v_cmpx_ne_u32_e32 0x7f, v83
	s_cbranch_execz .LBB355_3154
; %bb.3151:                             ;   in Loop: Header=BB355_1581 Depth=1
	v_and_b32_e32 v26, 7, v82
	s_mov_b32 s17, exec_lo
	s_delay_alu instid0(VALU_DEP_1)
	v_mov_b64_e32 v[16:17], v[26:27]
	v_lshrrev_b32_e32 v17, 3, v83
	v_cmpx_gt_u32_e32 8, v83
; %bb.3152:                             ;   in Loop: Header=BB355_1581 Depth=1
	v_clz_i32_u32_e32 v16, v26
	s_delay_alu instid0(VALU_DEP_1) | instskip(NEXT) | instid1(VALU_DEP_1)
	v_min_u32_e32 v83, 32, v16
	v_subrev_nc_u32_e32 v16, 28, v83
	s_delay_alu instid0(VALU_DEP_1) | instskip(NEXT) | instid1(VALU_DEP_1)
	v_lshlrev_b64_e32 v[16:17], v16, v[26:27]
	v_dual_sub_nc_u32 v17, 29, v83 :: v_dual_bitop2_b32 v16, 7, v16 bitop3:0x40
; %bb.3153:                             ;   in Loop: Header=BB355_1581 Depth=1
	s_or_b32 exec_lo, exec_lo, s17
	s_delay_alu instid0(VALU_DEP_1) | instskip(NEXT) | instid1(VALU_DEP_2)
	v_dual_lshlrev_b32 v26, 24, v82 :: v_dual_lshlrev_b32 v16, 20, v16
	v_lshl_add_u32 v17, v17, 23, 0x3c000000
	s_delay_alu instid0(VALU_DEP_2) | instskip(NEXT) | instid1(VALU_DEP_1)
	v_and_b32_e32 v26, 0x80000000, v26
	v_or3_b32 v16, v16, v26, v17
.LBB355_3154:                           ;   in Loop: Header=BB355_1581 Depth=1
	s_or_b32 exec_lo, exec_lo, s16
.LBB355_3155:                           ;   in Loop: Header=BB355_1581 Depth=1
	s_delay_alu instid0(SALU_CYCLE_1)
	s_or_b32 exec_lo, exec_lo, s15
.LBB355_3156:                           ;   in Loop: Header=BB355_1581 Depth=1
	s_delay_alu instid0(SALU_CYCLE_1) | instskip(NEXT) | instid1(SALU_CYCLE_1)
	s_or_b32 exec_lo, exec_lo, s14
	s_mov_b32 s14, exec_lo
	v_cmpx_lt_u64_e64 s[2:3], v[0:1]
	s_cbranch_execz .LBB355_3164
; %bb.3157:                             ;   in Loop: Header=BB355_1581 Depth=1
	v_lshrrev_b32_e32 v17, 24, v1
	v_bfrev_b32_e32 v81, 1
	s_mov_b32 s15, exec_lo
	s_delay_alu instid0(VALU_DEP_2)
	v_cmpx_ne_u32_e32 0x80, v17
	s_cbranch_execz .LBB355_3163
; %bb.3158:                             ;   in Loop: Header=BB355_1581 Depth=1
	v_bfe_u32 v82, v1, 24, 7
	v_mov_b32_e32 v81, 0x7f800001
	s_mov_b32 s16, exec_lo
	s_delay_alu instid0(VALU_DEP_2)
	v_cmpx_ne_u32_e32 0x7f, v82
	s_cbranch_execz .LBB355_3162
; %bb.3159:                             ;   in Loop: Header=BB355_1581 Depth=1
	v_and_b32_e32 v26, 7, v17
	s_mov_b32 s17, exec_lo
	s_delay_alu instid0(VALU_DEP_1)
	v_mov_b64_e32 v[0:1], v[26:27]
	v_lshrrev_b32_e32 v1, 3, v82
	v_cmpx_gt_u32_e32 8, v82
; %bb.3160:                             ;   in Loop: Header=BB355_1581 Depth=1
	v_clz_i32_u32_e32 v0, v26
	s_delay_alu instid0(VALU_DEP_1) | instskip(NEXT) | instid1(VALU_DEP_1)
	v_min_u32_e32 v81, 32, v0
	v_subrev_nc_u32_e32 v0, 28, v81
	s_delay_alu instid0(VALU_DEP_1) | instskip(NEXT) | instid1(VALU_DEP_1)
	v_lshlrev_b64_e32 v[0:1], v0, v[26:27]
	v_dual_sub_nc_u32 v1, 29, v81 :: v_dual_bitop2_b32 v0, 7, v0 bitop3:0x40
; %bb.3161:                             ;   in Loop: Header=BB355_1581 Depth=1
	s_or_b32 exec_lo, exec_lo, s17
	s_delay_alu instid0(VALU_DEP_1) | instskip(NEXT) | instid1(VALU_DEP_2)
	v_dual_lshlrev_b32 v17, 24, v17 :: v_dual_lshlrev_b32 v0, 20, v0
	v_lshl_add_u32 v1, v1, 23, 0x3c000000
	s_delay_alu instid0(VALU_DEP_2) | instskip(NEXT) | instid1(VALU_DEP_1)
	v_and_b32_e32 v17, 0x80000000, v17
	v_or3_b32 v81, v0, v17, v1
.LBB355_3162:                           ;   in Loop: Header=BB355_1581 Depth=1
	s_or_b32 exec_lo, exec_lo, s16
.LBB355_3163:                           ;   in Loop: Header=BB355_1581 Depth=1
	s_delay_alu instid0(SALU_CYCLE_1)
	s_or_b32 exec_lo, exec_lo, s15
.LBB355_3164:                           ;   in Loop: Header=BB355_1581 Depth=1
	s_delay_alu instid0(SALU_CYCLE_1)
	s_or_b32 exec_lo, exec_lo, s14
	v_fma_mixlo_bf16 v1, v116, v80, 0
	v_fma_mixlo_bf16 v17, v116, v71, 0
	;; [unrolled: 1-line block ×8, first 2 shown]
	s_and_saveexec_b32 s0, vcc_lo
	s_cbranch_execz .LBB355_1579
; %bb.3165:                             ;   in Loop: Header=BB355_1581 Depth=1
	v_cmp_lt_i32_e32 vcc_lo, v115, v119
	v_cndmask_b32_e32 v24, 0, v24, vcc_lo
	v_cmp_lt_i32_e32 vcc_lo, v59, v119
	v_cndmask_b32_e32 v26, 0, v26, vcc_lo
	;; [unrolled: 2-line block ×8, first 2 shown]
	s_branch .LBB355_1579
.LBB355_3166:
	s_or_b32 exec_lo, exec_lo, s8
	s_clause 0xa
	scratch_load_b32 v24, off, s32 offset:976
	scratch_load_b32 v25, off, s32 offset:984
	scratch_load_b64 v[52:53], off, s32 offset:832
	scratch_load_b64 v[22:23], off, s32 offset:840
	;; [unrolled: 1-line block ×9, first 2 shown]
.LBB355_3167:
	s_wait_xcnt 0x0
	s_or_b32 exec_lo, exec_lo, s1
	s_clause 0x2
	scratch_load_b64 v[32:33], off, s32 offset:816 th:TH_LOAD_LU
	scratch_load_b64 v[34:35], off, s32 offset:808 th:TH_LOAD_LU
	;; [unrolled: 1-line block ×3, first 2 shown]
	s_wait_loadcnt 0x3
	v_mov_b64_e32 v[16:17], v[0:1]
	v_mov_b64_e32 v[18:19], v[2:3]
	ds_bpermute_b32 v14, v25, v26
	ds_bpermute_b32 v15, v25, v27
	v_mov_b64_e32 v[50:51], v[20:21]
	v_mov_b64_e32 v[38:39], v[26:27]
	s_wait_storecnt 0x0
	s_wait_loadcnt_dscnt 0x0
	ds_bpermute_b32 v0, v25, v16
	ds_bpermute_b32 v1, v25, v17
	;; [unrolled: 1-line block ×4, first 2 shown]
	s_barrier_signal -1
	s_barrier_wait -1
	s_wait_dscnt 0x0
	v_mov_b64_e32 v[28:29], v[4:5]
	v_mov_b64_e32 v[30:31], v[6:7]
	;; [unrolled: 1-line block ×4, first 2 shown]
	s_load_b32 s0, s[6:7], 0x0
	s_mov_b32 s1, exec_lo
	ds_bpermute_b32 v4, v25, v28
	ds_bpermute_b32 v5, v25, v29
	;; [unrolled: 1-line block ×7, first 2 shown]
	v_pk_add_f32 v[0:1], v[16:17], v[0:1]
	ds_bpermute_b32 v16, v25, v20
	v_pk_add_f32 v[2:3], v[18:19], v[2:3]
	ds_bpermute_b32 v17, v25, v21
	ds_bpermute_b32 v23, v25, v67
	;; [unrolled: 1-line block ×6, first 2 shown]
	v_pk_add_f32 v[38:39], v[38:39], v[14:15]
	s_wait_dscnt 0xc
	v_pk_add_f32 v[4:5], v[28:29], v[4:5]
	s_wait_dscnt 0xa
	v_pk_add_f32 v[6:7], v[30:31], v[6:7]
	s_wait_dscnt 0x8
	v_pk_add_f32 v[8:9], v[36:37], v[8:9]
	ds_bpermute_b32 v28, v24, v4
	s_wait_dscnt 0x6
	v_pk_add_f32 v[50:51], v[50:51], v[16:17]
	s_wait_dscnt 0x5
	v_pk_add_f32 v[66:67], v[66:67], v[22:23]
	ds_bpermute_b32 v10, v25, v32
	ds_bpermute_b32 v12, v25, v34
	;; [unrolled: 1-line block ×6, first 2 shown]
	s_wait_dscnt 0x2
	v_pk_add_f32 v[54:55], v[54:55], v[20:21]
	v_pk_add_f32 v[20:21], v[0:1], v[18:19]
	;; [unrolled: 1-line block ×3, first 2 shown]
	s_clause 0x1
	scratch_load_b32 v0, off, s32 offset:948
	scratch_load_b32 v26, off, s32 offset:944
	v_mov_b32_e32 v80, v24
	ds_bpermute_b32 v24, v25, v52
	ds_bpermute_b32 v25, v25, v53
	s_wait_dscnt 0x3
	v_pk_add_f32 v[34:35], v[34:35], v[12:13]
	v_mov_b64_e32 v[12:13], v[52:53]
	s_wait_dscnt 0x2
	v_pk_add_f32 v[10:11], v[32:33], v[10:11]
	s_wait_dscnt 0x0
	s_delay_alu instid0(VALU_DEP_2)
	v_pk_add_f32 v[22:23], v[12:13], v[24:25]
	s_wait_loadcnt 0x1
	v_and_b32_e32 v27, 0x3c3, v0
	s_wait_loadcnt 0x0
	v_and_b32_e32 v26, 28, v26
	ds_bpermute_b32 v29, v80, v5
	ds_bpermute_b32 v30, v80, v6
	;; [unrolled: 1-line block ×19, first 2 shown]
	s_wait_dscnt 0x12
	v_pk_add_f32 v[16:17], v[4:5], v[28:29]
	s_wait_dscnt 0x10
	v_pk_add_f32 v[14:15], v[6:7], v[30:31]
	;; [unrolled: 2-line block ×9, first 2 shown]
	v_cmpx_ne_u32_e32 64, v27
	s_xor_b32 s1, exec_lo, s1
	s_delay_alu instid0(SALU_CYCLE_1)
	s_or_saveexec_b32 s1, s1
	s_wait_dscnt 0x0
	v_pk_add_f32 v[22:23], v[22:23], v[24:25]
	scratch_load_b32 v24, off, s32 offset:944 th:TH_LOAD_LU ; 4-byte Folded Reload
	s_wait_kmcnt 0x0
	v_add_nc_u32_e32 v25, s0, v26
	scratch_load_b32 v26, off, s32 offset:1660 th:TH_LOAD_LU ; 4-byte Folded Reload
	s_wait_loadcnt 0x1
	v_lshrrev_b32_e32 v24, 2, v24
	s_wait_loadcnt 0x0
	v_mul_u32_u24_e32 v26, 0x300, v26
	s_xor_b32 exec_lo, exec_lo, s1
	s_cbranch_execz .LBB355_3169
; %bb.3168:
	s_delay_alu instid0(VALU_DEP_1) | instskip(NEXT) | instid1(VALU_DEP_1)
	v_add_nc_u32_e32 v27, v25, v26
	v_add_nc_u32_e32 v28, 0xfffffa00, v27
	;; [unrolled: 1-line block ×9, first 2 shown]
	ds_store_b32 v28, v20
	ds_store_b32 v29, v21
	;; [unrolled: 1-line block ×8, first 2 shown]
	v_add_nc_u32_e32 v28, 0xfffffb00, v27
	v_add_nc_u32_e32 v29, 0xfffffb20, v27
	v_add_nc_u32_e32 v30, 0xfffffb40, v27
	v_add_nc_u32_e32 v31, 0xfffffb60, v27
	v_add_nc_u32_e32 v32, 0xfffffb80, v27
	v_add_nc_u32_e32 v33, 0xfffffba0, v27
	v_add_nc_u32_e32 v34, 0xfffffbc0, v27
	v_add_nc_u32_e32 v35, 0xfffffbe0, v27
	ds_store_b32 v28, v12
	ds_store_b32 v29, v13
	;; [unrolled: 1-line block ×8, first 2 shown]
	v_add_nc_u32_e32 v28, 0xfffffc00, v27
	v_add_nc_u32_e32 v29, 0xfffffc20, v27
	;; [unrolled: 1-line block ×8, first 2 shown]
	ds_store_b32 v28, v4
	ds_store_b32 v29, v5
	;; [unrolled: 1-line block ×8, first 2 shown]
.LBB355_3169:
	s_or_b32 exec_lo, exec_lo, s1
	scratch_load_b32 v28, off, s32 offset:948 ; 4-byte Folded Reload
	v_lshlrev_b32_e32 v24, 2, v24
	s_mov_b32 s1, exec_lo
	s_wait_loadcnt_dscnt 0x0
	s_barrier_signal -1
	s_barrier_wait -1
	v_add3_u32 v24, s0, v26, v24
	v_and_b32_e32 v27, 3, v28
	s_delay_alu instid0(VALU_DEP_1)
	v_cmp_eq_u32_e32 vcc_lo, 0, v27
	v_cmpx_gt_u32_e32 64, v28
	s_cbranch_execz .LBB355_3196
; %bb.3170:
	s_and_saveexec_b32 s0, vcc_lo
	s_cbranch_execnz .LBB355_3228
; %bb.3171:
	s_or_b32 exec_lo, exec_lo, s0
	s_and_saveexec_b32 s0, vcc_lo
	s_cbranch_execnz .LBB355_3229
.LBB355_3172:
	s_or_b32 exec_lo, exec_lo, s0
	s_and_saveexec_b32 s0, vcc_lo
	s_cbranch_execnz .LBB355_3230
.LBB355_3173:
	s_or_b32 exec_lo, exec_lo, s0
	s_and_saveexec_b32 s0, vcc_lo
	s_cbranch_execnz .LBB355_3231
.LBB355_3174:
	s_or_b32 exec_lo, exec_lo, s0
	s_and_saveexec_b32 s0, vcc_lo
	s_cbranch_execnz .LBB355_3232
.LBB355_3175:
	s_or_b32 exec_lo, exec_lo, s0
	s_and_saveexec_b32 s0, vcc_lo
	s_cbranch_execnz .LBB355_3233
.LBB355_3176:
	s_or_b32 exec_lo, exec_lo, s0
	s_and_saveexec_b32 s0, vcc_lo
	s_cbranch_execnz .LBB355_3234
.LBB355_3177:
	s_or_b32 exec_lo, exec_lo, s0
	s_and_saveexec_b32 s0, vcc_lo
	s_cbranch_execnz .LBB355_3235
.LBB355_3178:
	s_or_b32 exec_lo, exec_lo, s0
	s_and_saveexec_b32 s0, vcc_lo
	s_cbranch_execnz .LBB355_3236
.LBB355_3179:
	s_or_b32 exec_lo, exec_lo, s0
	s_and_saveexec_b32 s0, vcc_lo
	s_cbranch_execnz .LBB355_3237
.LBB355_3180:
	s_or_b32 exec_lo, exec_lo, s0
	s_and_saveexec_b32 s0, vcc_lo
	s_cbranch_execnz .LBB355_3238
.LBB355_3181:
	s_or_b32 exec_lo, exec_lo, s0
	s_and_saveexec_b32 s0, vcc_lo
	s_cbranch_execnz .LBB355_3239
.LBB355_3182:
	s_or_b32 exec_lo, exec_lo, s0
	s_and_saveexec_b32 s0, vcc_lo
	s_cbranch_execnz .LBB355_3240
.LBB355_3183:
	s_or_b32 exec_lo, exec_lo, s0
	s_and_saveexec_b32 s0, vcc_lo
	s_cbranch_execnz .LBB355_3241
.LBB355_3184:
	s_or_b32 exec_lo, exec_lo, s0
	s_and_saveexec_b32 s0, vcc_lo
	s_cbranch_execnz .LBB355_3242
.LBB355_3185:
	s_or_b32 exec_lo, exec_lo, s0
	s_and_saveexec_b32 s0, vcc_lo
	s_cbranch_execnz .LBB355_3243
.LBB355_3186:
	s_or_b32 exec_lo, exec_lo, s0
	s_and_saveexec_b32 s0, vcc_lo
	s_cbranch_execnz .LBB355_3244
.LBB355_3187:
	s_or_b32 exec_lo, exec_lo, s0
	s_and_saveexec_b32 s0, vcc_lo
	s_cbranch_execnz .LBB355_3245
.LBB355_3188:
	s_or_b32 exec_lo, exec_lo, s0
	s_and_saveexec_b32 s0, vcc_lo
	s_cbranch_execnz .LBB355_3246
.LBB355_3189:
	s_or_b32 exec_lo, exec_lo, s0
	s_and_saveexec_b32 s0, vcc_lo
	s_cbranch_execnz .LBB355_3247
.LBB355_3190:
	s_or_b32 exec_lo, exec_lo, s0
	s_and_saveexec_b32 s0, vcc_lo
	s_cbranch_execnz .LBB355_3248
.LBB355_3191:
	s_or_b32 exec_lo, exec_lo, s0
	s_and_saveexec_b32 s0, vcc_lo
	s_cbranch_execnz .LBB355_3249
.LBB355_3192:
	s_or_b32 exec_lo, exec_lo, s0
	s_and_saveexec_b32 s0, vcc_lo
	s_cbranch_execnz .LBB355_3250
.LBB355_3193:
	s_or_b32 exec_lo, exec_lo, s0
	s_and_saveexec_b32 s0, vcc_lo
	s_cbranch_execz .LBB355_3195
.LBB355_3194:
	ds_load_b32 v26, v24 offset:736
	s_wait_dscnt 0x0
	v_add_f32_e32 v23, v26, v23
.LBB355_3195:
	s_or_b32 exec_lo, exec_lo, s0
.LBB355_3196:
	s_delay_alu instid0(SALU_CYCLE_1)
	s_or_b32 exec_lo, exec_lo, s1
	scratch_load_b32 v26, off, s32 offset:948 ; 4-byte Folded Reload
	s_mov_b32 s1, exec_lo
	s_wait_loadcnt 0x0
	s_barrier_signal -1
	s_barrier_wait -1
	v_and_b32_e32 v26, 0x3e3, v26
	s_wait_xcnt 0x0
	s_delay_alu instid0(VALU_DEP_1)
	v_cmpx_eq_u32_e32 32, v26
	s_cbranch_execz .LBB355_3198
; %bb.3197:
	ds_store_2addr_b32 v25, v20, v21 offset1:8
	ds_store_2addr_b32 v25, v18, v19 offset0:16 offset1:24
	ds_store_2addr_b32 v25, v16, v17 offset0:32 offset1:40
	;; [unrolled: 1-line block ×11, first 2 shown]
.LBB355_3198:
	s_or_b32 exec_lo, exec_lo, s1
	scratch_load_b32 v25, off, s32 offset:948 ; 4-byte Folded Reload
	s_mov_b32 s1, exec_lo
	s_wait_loadcnt_dscnt 0x0
	s_barrier_signal -1
	s_barrier_wait -1
	v_cmpx_gt_u32_e32 32, v25
	s_cbranch_execz .LBB355_3225
; %bb.3199:
	s_and_saveexec_b32 s0, vcc_lo
	s_cbranch_execnz .LBB355_3251
; %bb.3200:
	s_or_b32 exec_lo, exec_lo, s0
	s_and_saveexec_b32 s0, vcc_lo
	s_cbranch_execnz .LBB355_3252
.LBB355_3201:
	s_or_b32 exec_lo, exec_lo, s0
	s_and_saveexec_b32 s0, vcc_lo
	s_cbranch_execnz .LBB355_3253
.LBB355_3202:
	s_or_b32 exec_lo, exec_lo, s0
	s_and_saveexec_b32 s0, vcc_lo
	s_cbranch_execnz .LBB355_3254
.LBB355_3203:
	s_or_b32 exec_lo, exec_lo, s0
	s_and_saveexec_b32 s0, vcc_lo
	s_cbranch_execnz .LBB355_3255
.LBB355_3204:
	s_or_b32 exec_lo, exec_lo, s0
	s_and_saveexec_b32 s0, vcc_lo
	s_cbranch_execnz .LBB355_3256
.LBB355_3205:
	s_or_b32 exec_lo, exec_lo, s0
	s_and_saveexec_b32 s0, vcc_lo
	s_cbranch_execnz .LBB355_3257
.LBB355_3206:
	s_or_b32 exec_lo, exec_lo, s0
	s_and_saveexec_b32 s0, vcc_lo
	s_cbranch_execnz .LBB355_3258
.LBB355_3207:
	s_or_b32 exec_lo, exec_lo, s0
	s_and_saveexec_b32 s0, vcc_lo
	s_cbranch_execnz .LBB355_3259
.LBB355_3208:
	s_or_b32 exec_lo, exec_lo, s0
	s_and_saveexec_b32 s0, vcc_lo
	s_cbranch_execnz .LBB355_3260
.LBB355_3209:
	s_or_b32 exec_lo, exec_lo, s0
	s_and_saveexec_b32 s0, vcc_lo
	s_cbranch_execnz .LBB355_3261
.LBB355_3210:
	s_or_b32 exec_lo, exec_lo, s0
	s_and_saveexec_b32 s0, vcc_lo
	s_cbranch_execnz .LBB355_3262
.LBB355_3211:
	s_or_b32 exec_lo, exec_lo, s0
	s_and_saveexec_b32 s0, vcc_lo
	s_cbranch_execnz .LBB355_3263
.LBB355_3212:
	s_or_b32 exec_lo, exec_lo, s0
	s_and_saveexec_b32 s0, vcc_lo
	s_cbranch_execnz .LBB355_3264
.LBB355_3213:
	s_or_b32 exec_lo, exec_lo, s0
	s_and_saveexec_b32 s0, vcc_lo
	s_cbranch_execnz .LBB355_3265
.LBB355_3214:
	s_or_b32 exec_lo, exec_lo, s0
	s_and_saveexec_b32 s0, vcc_lo
	s_cbranch_execnz .LBB355_3266
.LBB355_3215:
	s_or_b32 exec_lo, exec_lo, s0
	s_and_saveexec_b32 s0, vcc_lo
	s_cbranch_execnz .LBB355_3267
.LBB355_3216:
	s_or_b32 exec_lo, exec_lo, s0
	s_and_saveexec_b32 s0, vcc_lo
	s_cbranch_execnz .LBB355_3268
.LBB355_3217:
	s_or_b32 exec_lo, exec_lo, s0
	s_and_saveexec_b32 s0, vcc_lo
	s_cbranch_execnz .LBB355_3269
.LBB355_3218:
	s_or_b32 exec_lo, exec_lo, s0
	s_and_saveexec_b32 s0, vcc_lo
	s_cbranch_execnz .LBB355_3270
.LBB355_3219:
	s_or_b32 exec_lo, exec_lo, s0
	s_and_saveexec_b32 s0, vcc_lo
	s_cbranch_execnz .LBB355_3271
.LBB355_3220:
	s_or_b32 exec_lo, exec_lo, s0
	s_and_saveexec_b32 s0, vcc_lo
	s_cbranch_execnz .LBB355_3272
.LBB355_3221:
	s_or_b32 exec_lo, exec_lo, s0
	s_and_saveexec_b32 s0, vcc_lo
	s_cbranch_execnz .LBB355_3273
.LBB355_3222:
	s_or_b32 exec_lo, exec_lo, s0
	s_and_saveexec_b32 s0, vcc_lo
	s_cbranch_execz .LBB355_3224
.LBB355_3223:
	ds_load_b32 v24, v24 offset:736
	s_wait_dscnt 0x0
	v_add_f32_e32 v23, v24, v23
.LBB355_3224:
	s_or_b32 exec_lo, exec_lo, s0
.LBB355_3225:
	s_delay_alu instid0(SALU_CYCLE_1)
	s_or_b32 exec_lo, exec_lo, s1
	s_mov_b32 s1, 0
	s_mov_b32 s2, exec_lo
	s_barrier_signal -1
	s_barrier_wait -1
	v_cmpx_eq_u32_e32 0, v26
	s_cbranch_execz .LBB355_3227
; %bb.3226:
	s_clause 0x1
	scratch_load_b64 v[24:25], off, s32 offset:1700 th:TH_LOAD_LU
	scratch_load_b32 v26, off, s32 offset:948 th:TH_LOAD_LU
	s_and_b32 s0, 0xffff, s13
	v_mov_b32_e32 v27, 0
	s_cmp_lg_u32 s0, 0
	s_cselect_b32 s0, -1, 0
	s_delay_alu instid0(SALU_CYCLE_1)
	s_cmp_lg_u32 s0, 0
	s_add_co_ci_u32 s0, s5, 0
	s_bfe_u32 s8, ttmp6, 0x40014
	s_mul_i32 s5, s0, s11
	s_lshr_b32 s3, ttmp7, 16
	s_mul_i32 s5, s5, s12
	s_add_co_i32 s8, s8, 1
	s_mul_i32 s6, s5, 0xc0
	s_bfe_u32 s9, ttmp6, 0x40008
	s_ashr_i32 s7, s6, 31
	s_mul_i32 s4, s4, s0
	s_mul_i32 s0, s3, s8
	s_ashr_i32 s5, s4, 31
	s_add_co_i32 s9, s9, s0
	s_cmp_eq_u32 s10, 0
	s_cselect_b32 s0, s3, s9
	s_delay_alu instid0(SALU_CYCLE_1) | instskip(NEXT) | instid1(SALU_CYCLE_1)
	s_mulk_i32 s0, 0x180
	v_cvt_pk_bf16_f32 v28, v20, s0
	v_cvt_pk_bf16_f32 v29, v21, s0
	;; [unrolled: 1-line block ×22, first 2 shown]
	s_wait_loadcnt 0x1
	v_lshl_add_u64 v[24:25], s[6:7], 1, v[24:25]
	s_wait_loadcnt 0x0
	v_lshrrev_b32_e32 v26, 1, v26
	s_delay_alu instid0(VALU_DEP_2) | instskip(NEXT) | instid1(VALU_DEP_1)
	v_lshl_add_u64 v[24:25], s[4:5], 1, v[24:25]
	v_add_nc_u64_e32 v[24:25], s[0:1], v[24:25]
	s_delay_alu instid0(VALU_DEP_1)
	v_add_nc_u64_e32 v[20:21], v[24:25], v[26:27]
	s_clause 0xf
	flat_store_b16 v[20:21], v28
	flat_store_b16 v[20:21], v29 offset:16
	flat_store_b16 v[20:21], v18 offset:32
	;; [unrolled: 1-line block ×15, first 2 shown]
	s_wait_xcnt 0x1
	v_cvt_pk_bf16_f32 v6, v22, s0
	s_wait_xcnt 0x0
	v_cvt_pk_bf16_f32 v7, v23, s0
	s_clause 0x7
	flat_store_b16 v[20:21], v4 offset:256
	flat_store_b16 v[20:21], v5 offset:272
	;; [unrolled: 1-line block ×8, first 2 shown]
.LBB355_3227:
	s_wait_xcnt 0x0
	s_or_b32 exec_lo, exec_lo, s2
	s_clause 0x2f
	scratch_load_b32 v127, off, s32
	scratch_load_b32 v126, off, s32 offset:4
	scratch_load_b32 v125, off, s32 offset:8
	;; [unrolled: 1-line block ×47, first 2 shown]
	s_wait_loadcnt_dscnt 0x0
	s_set_pc_i64 s[30:31]
.LBB355_3228:
	ds_load_b32 v26, v24
	s_wait_dscnt 0x0
	v_add_f32_e32 v20, v26, v20
	s_or_b32 exec_lo, exec_lo, s0
	s_and_saveexec_b32 s0, vcc_lo
	s_cbranch_execz .LBB355_3172
.LBB355_3229:
	ds_load_b32 v26, v24 offset:32
	s_wait_dscnt 0x0
	v_add_f32_e32 v21, v26, v21
	s_or_b32 exec_lo, exec_lo, s0
	s_and_saveexec_b32 s0, vcc_lo
	s_cbranch_execz .LBB355_3173
.LBB355_3230:
	ds_load_b32 v26, v24 offset:64
	s_wait_dscnt 0x0
	v_add_f32_e32 v18, v26, v18
	s_or_b32 exec_lo, exec_lo, s0
	s_and_saveexec_b32 s0, vcc_lo
	s_cbranch_execz .LBB355_3174
.LBB355_3231:
	ds_load_b32 v26, v24 offset:96
	s_wait_dscnt 0x0
	v_add_f32_e32 v19, v26, v19
	s_or_b32 exec_lo, exec_lo, s0
	s_and_saveexec_b32 s0, vcc_lo
	s_cbranch_execz .LBB355_3175
.LBB355_3232:
	ds_load_b32 v26, v24 offset:128
	s_wait_dscnt 0x0
	v_add_f32_e32 v16, v26, v16
	s_or_b32 exec_lo, exec_lo, s0
	s_and_saveexec_b32 s0, vcc_lo
	s_cbranch_execz .LBB355_3176
.LBB355_3233:
	ds_load_b32 v26, v24 offset:160
	s_wait_dscnt 0x0
	v_add_f32_e32 v17, v26, v17
	s_or_b32 exec_lo, exec_lo, s0
	s_and_saveexec_b32 s0, vcc_lo
	s_cbranch_execz .LBB355_3177
.LBB355_3234:
	ds_load_b32 v26, v24 offset:192
	s_wait_dscnt 0x0
	v_add_f32_e32 v14, v26, v14
	s_or_b32 exec_lo, exec_lo, s0
	s_and_saveexec_b32 s0, vcc_lo
	s_cbranch_execz .LBB355_3178
.LBB355_3235:
	ds_load_b32 v26, v24 offset:224
	s_wait_dscnt 0x0
	v_add_f32_e32 v15, v26, v15
	s_or_b32 exec_lo, exec_lo, s0
	s_and_saveexec_b32 s0, vcc_lo
	s_cbranch_execz .LBB355_3179
.LBB355_3236:
	ds_load_b32 v26, v24 offset:256
	s_wait_dscnt 0x0
	v_add_f32_e32 v12, v26, v12
	s_or_b32 exec_lo, exec_lo, s0
	s_and_saveexec_b32 s0, vcc_lo
	s_cbranch_execz .LBB355_3180
.LBB355_3237:
	ds_load_b32 v26, v24 offset:288
	s_wait_dscnt 0x0
	v_add_f32_e32 v13, v26, v13
	s_or_b32 exec_lo, exec_lo, s0
	s_and_saveexec_b32 s0, vcc_lo
	s_cbranch_execz .LBB355_3181
.LBB355_3238:
	ds_load_b32 v26, v24 offset:320
	s_wait_dscnt 0x0
	v_add_f32_e32 v10, v26, v10
	s_or_b32 exec_lo, exec_lo, s0
	s_and_saveexec_b32 s0, vcc_lo
	s_cbranch_execz .LBB355_3182
.LBB355_3239:
	ds_load_b32 v26, v24 offset:352
	s_wait_dscnt 0x0
	v_add_f32_e32 v11, v26, v11
	s_or_b32 exec_lo, exec_lo, s0
	s_and_saveexec_b32 s0, vcc_lo
	s_cbranch_execz .LBB355_3183
.LBB355_3240:
	ds_load_b32 v26, v24 offset:384
	s_wait_dscnt 0x0
	v_add_f32_e32 v8, v26, v8
	s_or_b32 exec_lo, exec_lo, s0
	s_and_saveexec_b32 s0, vcc_lo
	s_cbranch_execz .LBB355_3184
.LBB355_3241:
	ds_load_b32 v26, v24 offset:416
	s_wait_dscnt 0x0
	v_add_f32_e32 v9, v26, v9
	s_or_b32 exec_lo, exec_lo, s0
	s_and_saveexec_b32 s0, vcc_lo
	s_cbranch_execz .LBB355_3185
.LBB355_3242:
	ds_load_b32 v26, v24 offset:448
	s_wait_dscnt 0x0
	v_add_f32_e32 v6, v26, v6
	s_or_b32 exec_lo, exec_lo, s0
	s_and_saveexec_b32 s0, vcc_lo
	s_cbranch_execz .LBB355_3186
.LBB355_3243:
	ds_load_b32 v26, v24 offset:480
	s_wait_dscnt 0x0
	v_add_f32_e32 v7, v26, v7
	s_or_b32 exec_lo, exec_lo, s0
	s_and_saveexec_b32 s0, vcc_lo
	s_cbranch_execz .LBB355_3187
.LBB355_3244:
	ds_load_b32 v26, v24 offset:512
	s_wait_dscnt 0x0
	v_add_f32_e32 v4, v26, v4
	s_or_b32 exec_lo, exec_lo, s0
	s_and_saveexec_b32 s0, vcc_lo
	s_cbranch_execz .LBB355_3188
.LBB355_3245:
	ds_load_b32 v26, v24 offset:544
	s_wait_dscnt 0x0
	v_add_f32_e32 v5, v26, v5
	s_or_b32 exec_lo, exec_lo, s0
	s_and_saveexec_b32 s0, vcc_lo
	s_cbranch_execz .LBB355_3189
.LBB355_3246:
	ds_load_b32 v26, v24 offset:576
	s_wait_dscnt 0x0
	v_add_f32_e32 v2, v26, v2
	s_or_b32 exec_lo, exec_lo, s0
	s_and_saveexec_b32 s0, vcc_lo
	s_cbranch_execz .LBB355_3190
.LBB355_3247:
	ds_load_b32 v26, v24 offset:608
	s_wait_dscnt 0x0
	v_add_f32_e32 v3, v26, v3
	s_or_b32 exec_lo, exec_lo, s0
	s_and_saveexec_b32 s0, vcc_lo
	s_cbranch_execz .LBB355_3191
.LBB355_3248:
	ds_load_b32 v26, v24 offset:640
	s_wait_dscnt 0x0
	v_add_f32_e32 v0, v26, v0
	s_or_b32 exec_lo, exec_lo, s0
	s_and_saveexec_b32 s0, vcc_lo
	s_cbranch_execz .LBB355_3192
.LBB355_3249:
	ds_load_b32 v26, v24 offset:672
	s_wait_dscnt 0x0
	v_add_f32_e32 v1, v26, v1
	s_or_b32 exec_lo, exec_lo, s0
	s_and_saveexec_b32 s0, vcc_lo
	s_cbranch_execz .LBB355_3193
.LBB355_3250:
	ds_load_b32 v26, v24 offset:704
	s_wait_dscnt 0x0
	v_add_f32_e32 v22, v26, v22
	s_or_b32 exec_lo, exec_lo, s0
	s_and_saveexec_b32 s0, vcc_lo
	s_cbranch_execnz .LBB355_3194
	s_branch .LBB355_3195
.LBB355_3251:
	ds_load_b32 v25, v24
	s_wait_dscnt 0x0
	v_add_f32_e32 v20, v25, v20
	s_or_b32 exec_lo, exec_lo, s0
	s_and_saveexec_b32 s0, vcc_lo
	s_cbranch_execz .LBB355_3201
.LBB355_3252:
	ds_load_b32 v25, v24 offset:32
	s_wait_dscnt 0x0
	v_add_f32_e32 v21, v25, v21
	s_or_b32 exec_lo, exec_lo, s0
	s_and_saveexec_b32 s0, vcc_lo
	s_cbranch_execz .LBB355_3202
.LBB355_3253:
	ds_load_b32 v25, v24 offset:64
	s_wait_dscnt 0x0
	v_add_f32_e32 v18, v25, v18
	s_or_b32 exec_lo, exec_lo, s0
	s_and_saveexec_b32 s0, vcc_lo
	s_cbranch_execz .LBB355_3203
.LBB355_3254:
	ds_load_b32 v25, v24 offset:96
	s_wait_dscnt 0x0
	v_add_f32_e32 v19, v25, v19
	s_or_b32 exec_lo, exec_lo, s0
	s_and_saveexec_b32 s0, vcc_lo
	s_cbranch_execz .LBB355_3204
.LBB355_3255:
	ds_load_b32 v25, v24 offset:128
	s_wait_dscnt 0x0
	v_add_f32_e32 v16, v25, v16
	s_or_b32 exec_lo, exec_lo, s0
	s_and_saveexec_b32 s0, vcc_lo
	s_cbranch_execz .LBB355_3205
.LBB355_3256:
	ds_load_b32 v25, v24 offset:160
	s_wait_dscnt 0x0
	v_add_f32_e32 v17, v25, v17
	s_or_b32 exec_lo, exec_lo, s0
	s_and_saveexec_b32 s0, vcc_lo
	s_cbranch_execz .LBB355_3206
.LBB355_3257:
	ds_load_b32 v25, v24 offset:192
	s_wait_dscnt 0x0
	v_add_f32_e32 v14, v25, v14
	s_or_b32 exec_lo, exec_lo, s0
	s_and_saveexec_b32 s0, vcc_lo
	s_cbranch_execz .LBB355_3207
.LBB355_3258:
	ds_load_b32 v25, v24 offset:224
	s_wait_dscnt 0x0
	v_add_f32_e32 v15, v25, v15
	s_or_b32 exec_lo, exec_lo, s0
	s_and_saveexec_b32 s0, vcc_lo
	s_cbranch_execz .LBB355_3208
.LBB355_3259:
	ds_load_b32 v25, v24 offset:256
	s_wait_dscnt 0x0
	v_add_f32_e32 v12, v25, v12
	s_or_b32 exec_lo, exec_lo, s0
	s_and_saveexec_b32 s0, vcc_lo
	s_cbranch_execz .LBB355_3209
.LBB355_3260:
	ds_load_b32 v25, v24 offset:288
	s_wait_dscnt 0x0
	v_add_f32_e32 v13, v25, v13
	s_or_b32 exec_lo, exec_lo, s0
	s_and_saveexec_b32 s0, vcc_lo
	s_cbranch_execz .LBB355_3210
.LBB355_3261:
	ds_load_b32 v25, v24 offset:320
	s_wait_dscnt 0x0
	v_add_f32_e32 v10, v25, v10
	s_or_b32 exec_lo, exec_lo, s0
	s_and_saveexec_b32 s0, vcc_lo
	s_cbranch_execz .LBB355_3211
.LBB355_3262:
	ds_load_b32 v25, v24 offset:352
	s_wait_dscnt 0x0
	v_add_f32_e32 v11, v25, v11
	s_or_b32 exec_lo, exec_lo, s0
	s_and_saveexec_b32 s0, vcc_lo
	s_cbranch_execz .LBB355_3212
.LBB355_3263:
	ds_load_b32 v25, v24 offset:384
	s_wait_dscnt 0x0
	v_add_f32_e32 v8, v25, v8
	s_or_b32 exec_lo, exec_lo, s0
	s_and_saveexec_b32 s0, vcc_lo
	s_cbranch_execz .LBB355_3213
.LBB355_3264:
	ds_load_b32 v25, v24 offset:416
	s_wait_dscnt 0x0
	v_add_f32_e32 v9, v25, v9
	s_or_b32 exec_lo, exec_lo, s0
	s_and_saveexec_b32 s0, vcc_lo
	s_cbranch_execz .LBB355_3214
.LBB355_3265:
	ds_load_b32 v25, v24 offset:448
	s_wait_dscnt 0x0
	v_add_f32_e32 v6, v25, v6
	s_or_b32 exec_lo, exec_lo, s0
	s_and_saveexec_b32 s0, vcc_lo
	s_cbranch_execz .LBB355_3215
.LBB355_3266:
	ds_load_b32 v25, v24 offset:480
	s_wait_dscnt 0x0
	v_add_f32_e32 v7, v25, v7
	s_or_b32 exec_lo, exec_lo, s0
	s_and_saveexec_b32 s0, vcc_lo
	s_cbranch_execz .LBB355_3216
.LBB355_3267:
	ds_load_b32 v25, v24 offset:512
	s_wait_dscnt 0x0
	v_add_f32_e32 v4, v25, v4
	s_or_b32 exec_lo, exec_lo, s0
	s_and_saveexec_b32 s0, vcc_lo
	s_cbranch_execz .LBB355_3217
.LBB355_3268:
	ds_load_b32 v25, v24 offset:544
	s_wait_dscnt 0x0
	v_add_f32_e32 v5, v25, v5
	s_or_b32 exec_lo, exec_lo, s0
	s_and_saveexec_b32 s0, vcc_lo
	s_cbranch_execz .LBB355_3218
.LBB355_3269:
	ds_load_b32 v25, v24 offset:576
	s_wait_dscnt 0x0
	v_add_f32_e32 v2, v25, v2
	s_or_b32 exec_lo, exec_lo, s0
	s_and_saveexec_b32 s0, vcc_lo
	s_cbranch_execz .LBB355_3219
.LBB355_3270:
	ds_load_b32 v25, v24 offset:608
	s_wait_dscnt 0x0
	v_add_f32_e32 v3, v25, v3
	s_or_b32 exec_lo, exec_lo, s0
	s_and_saveexec_b32 s0, vcc_lo
	s_cbranch_execz .LBB355_3220
.LBB355_3271:
	ds_load_b32 v25, v24 offset:640
	s_wait_dscnt 0x0
	v_add_f32_e32 v0, v25, v0
	s_or_b32 exec_lo, exec_lo, s0
	s_and_saveexec_b32 s0, vcc_lo
	s_cbranch_execz .LBB355_3221
.LBB355_3272:
	ds_load_b32 v25, v24 offset:672
	s_wait_dscnt 0x0
	v_add_f32_e32 v1, v25, v1
	s_or_b32 exec_lo, exec_lo, s0
	s_and_saveexec_b32 s0, vcc_lo
	s_cbranch_execz .LBB355_3222
.LBB355_3273:
	ds_load_b32 v25, v24 offset:704
	s_wait_dscnt 0x0
	v_add_f32_e32 v22, v25, v22
	s_or_b32 exec_lo, exec_lo, s0
	s_and_saveexec_b32 s0, vcc_lo
	s_cbranch_execnz .LBB355_3223
	s_branch .LBB355_3224
.Lfunc_end355:
	.size	_ZN4vllm22paged_attention_kernelI14__hip_bfloat16hLi192ELi32ELi128ELNS_18Fp8KVCacheDataTypeE1ELb1ELi0EEEvPfS3_PT_PKS4_PKT0_SA_ifPKiSC_iPKfiiiSE_SE_iiiii, .Lfunc_end355-_ZN4vllm22paged_attention_kernelI14__hip_bfloat16hLi192ELi32ELi128ELNS_18Fp8KVCacheDataTypeE1ELb1ELi0EEEvPfS3_PT_PKS4_PKT0_SA_ifPKiSC_iPKfiiiSE_SE_iiiii
                                        ; -- End function
	.set .L_ZN4vllm22paged_attention_kernelI14__hip_bfloat16hLi192ELi32ELi128ELNS_18Fp8KVCacheDataTypeE1ELb1ELi0EEEvPfS3_PT_PKS4_PKT0_SA_ifPKiSC_iPKfiiiSE_SE_iiiii.num_vgpr, 128
	.set .L_ZN4vllm22paged_attention_kernelI14__hip_bfloat16hLi192ELi32ELi128ELNS_18Fp8KVCacheDataTypeE1ELb1ELi0EEEvPfS3_PT_PKS4_PKT0_SA_ifPKiSC_iPKfiiiSE_SE_iiiii.num_agpr, 0
	.set .L_ZN4vllm22paged_attention_kernelI14__hip_bfloat16hLi192ELi32ELi128ELNS_18Fp8KVCacheDataTypeE1ELb1ELi0EEEvPfS3_PT_PKS4_PKT0_SA_ifPKiSC_iPKfiiiSE_SE_iiiii.numbered_sgpr, 33
	.set .L_ZN4vllm22paged_attention_kernelI14__hip_bfloat16hLi192ELi32ELi128ELNS_18Fp8KVCacheDataTypeE1ELb1ELi0EEEvPfS3_PT_PKS4_PKT0_SA_ifPKiSC_iPKfiiiSE_SE_iiiii.num_named_barrier, 0
	.set .L_ZN4vllm22paged_attention_kernelI14__hip_bfloat16hLi192ELi32ELi128ELNS_18Fp8KVCacheDataTypeE1ELb1ELi0EEEvPfS3_PT_PKS4_PKT0_SA_ifPKiSC_iPKfiiiSE_SE_iiiii.private_seg_size, 1720
	.set .L_ZN4vllm22paged_attention_kernelI14__hip_bfloat16hLi192ELi32ELi128ELNS_18Fp8KVCacheDataTypeE1ELb1ELi0EEEvPfS3_PT_PKS4_PKT0_SA_ifPKiSC_iPKfiiiSE_SE_iiiii.uses_vcc, 1
	.set .L_ZN4vllm22paged_attention_kernelI14__hip_bfloat16hLi192ELi32ELi128ELNS_18Fp8KVCacheDataTypeE1ELb1ELi0EEEvPfS3_PT_PKS4_PKT0_SA_ifPKiSC_iPKfiiiSE_SE_iiiii.uses_flat_scratch, 1
	.set .L_ZN4vllm22paged_attention_kernelI14__hip_bfloat16hLi192ELi32ELi128ELNS_18Fp8KVCacheDataTypeE1ELb1ELi0EEEvPfS3_PT_PKS4_PKT0_SA_ifPKiSC_iPKfiiiSE_SE_iiiii.has_dyn_sized_stack, 0
	.set .L_ZN4vllm22paged_attention_kernelI14__hip_bfloat16hLi192ELi32ELi128ELNS_18Fp8KVCacheDataTypeE1ELb1ELi0EEEvPfS3_PT_PKS4_PKT0_SA_ifPKiSC_iPKfiiiSE_SE_iiiii.has_recursion, 0
	.set .L_ZN4vllm22paged_attention_kernelI14__hip_bfloat16hLi192ELi32ELi128ELNS_18Fp8KVCacheDataTypeE1ELb1ELi0EEEvPfS3_PT_PKS4_PKT0_SA_ifPKiSC_iPKfiiiSE_SE_iiiii.has_indirect_call, 0
	.section	.AMDGPU.csdata,"",@progbits
; Function info:
; codeLenInByte = 129168
; TotalNumSgprs: 35
; NumVgprs: 128
; ScratchSize: 1720
; MemoryBound: 0
	.section	.text._ZN4vllm25paged_attention_v1_kernelI14__hip_bfloat16hLi192ELi32ELi128ELNS_18Fp8KVCacheDataTypeE1ELb1EEEvPT_PKS3_PKT0_S9_ifPKiSB_iPKfiiiSD_SD_iiiii,"axG",@progbits,_ZN4vllm25paged_attention_v1_kernelI14__hip_bfloat16hLi192ELi32ELi128ELNS_18Fp8KVCacheDataTypeE1ELb1EEEvPT_PKS3_PKT0_S9_ifPKiSB_iPKfiiiSD_SD_iiiii,comdat
	.protected	_ZN4vllm25paged_attention_v1_kernelI14__hip_bfloat16hLi192ELi32ELi128ELNS_18Fp8KVCacheDataTypeE1ELb1EEEvPT_PKS3_PKT0_S9_ifPKiSB_iPKfiiiSD_SD_iiiii ; -- Begin function _ZN4vllm25paged_attention_v1_kernelI14__hip_bfloat16hLi192ELi32ELi128ELNS_18Fp8KVCacheDataTypeE1ELb1EEEvPT_PKS3_PKT0_S9_ifPKiSB_iPKfiiiSD_SD_iiiii
	.globl	_ZN4vllm25paged_attention_v1_kernelI14__hip_bfloat16hLi192ELi32ELi128ELNS_18Fp8KVCacheDataTypeE1ELb1EEEvPT_PKS3_PKT0_S9_ifPKiSB_iPKfiiiSD_SD_iiiii
	.p2align	8
	.type	_ZN4vllm25paged_attention_v1_kernelI14__hip_bfloat16hLi192ELi32ELi128ELNS_18Fp8KVCacheDataTypeE1ELb1EEEvPT_PKS3_PKT0_S9_ifPKiSB_iPKfiiiSD_SD_iiiii,@function
_ZN4vllm25paged_attention_v1_kernelI14__hip_bfloat16hLi192ELi32ELi128ELNS_18Fp8KVCacheDataTypeE1ELb1EEEvPT_PKS3_PKT0_S9_ifPKiSB_iPKfiiiSD_SD_iiiii: ; @_ZN4vllm25paged_attention_v1_kernelI14__hip_bfloat16hLi192ELi32ELi128ELNS_18Fp8KVCacheDataTypeE1ELb1EEEvPT_PKS3_PKT0_S9_ifPKiSB_iPKfiiiSD_SD_iiiii
; %bb.0:
	s_clause 0x6
	s_load_b256 s[12:19], s[0:1], 0x0
	s_load_b128 s[4:7], s[0:1], 0x20
	s_load_b96 s[28:30], s[0:1], 0x30
	s_load_b64 s[10:11], s[0:1], 0x40
	s_load_b96 s[36:38], s[0:1], 0x48
	s_load_b256 s[20:27], s[0:1], 0x58
	s_load_b32 s31, s[0:1], 0x78
	v_mov_b32_e32 v31, v0
	s_get_pc_i64 s[2:3]
	s_add_nc_u64 s[2:3], s[2:3], _ZN4vllm22paged_attention_kernelI14__hip_bfloat16hLi192ELi32ELi128ELNS_18Fp8KVCacheDataTypeE1ELb1ELi0EEEvPfS3_PT_PKS4_PKT0_SA_ifPKiSC_iPKfiiiSE_SE_iiiii@rel64+4
	s_add_nc_u64 s[8:9], s[0:1], 0x80
	s_mov_b32 s32, 0
	s_wait_kmcnt 0x0
	v_dual_mov_b32 v15, s10 :: v_dual_mov_b32 v16, s11
	v_dual_mov_b32 v0, s12 :: v_dual_mov_b32 v1, s13
	;; [unrolled: 1-line block ×14, first 2 shown]
	v_mov_b32_e32 v28, s31
	s_mov_b32 s15, 9
	s_swap_pc_i64 s[30:31], s[2:3]
	s_endpgm
	.section	.rodata,"a",@progbits
	.p2align	6, 0x0
	.amdhsa_kernel _ZN4vllm25paged_attention_v1_kernelI14__hip_bfloat16hLi192ELi32ELi128ELNS_18Fp8KVCacheDataTypeE1ELb1EEEvPT_PKS3_PKT0_S9_ifPKiSB_iPKfiiiSD_SD_iiiii
		.amdhsa_group_segment_fixed_size 416
		.amdhsa_private_segment_fixed_size 1720
		.amdhsa_kernarg_size 384
		.amdhsa_user_sgpr_count 2
		.amdhsa_user_sgpr_dispatch_ptr 0
		.amdhsa_user_sgpr_queue_ptr 0
		.amdhsa_user_sgpr_kernarg_segment_ptr 1
		.amdhsa_user_sgpr_dispatch_id 0
		.amdhsa_user_sgpr_kernarg_preload_length 0
		.amdhsa_user_sgpr_kernarg_preload_offset 0
		.amdhsa_user_sgpr_private_segment_size 0
		.amdhsa_wavefront_size32 1
		.amdhsa_uses_dynamic_stack 0
		.amdhsa_enable_private_segment 1
		.amdhsa_system_sgpr_workgroup_id_x 1
		.amdhsa_system_sgpr_workgroup_id_y 1
		.amdhsa_system_sgpr_workgroup_id_z 1
		.amdhsa_system_sgpr_workgroup_info 0
		.amdhsa_system_vgpr_workitem_id 0
		.amdhsa_next_free_vgpr 128
		.amdhsa_next_free_sgpr 39
		.amdhsa_named_barrier_count 0
		.amdhsa_reserve_vcc 1
		.amdhsa_float_round_mode_32 0
		.amdhsa_float_round_mode_16_64 0
		.amdhsa_float_denorm_mode_32 3
		.amdhsa_float_denorm_mode_16_64 3
		.amdhsa_fp16_overflow 0
		.amdhsa_memory_ordered 1
		.amdhsa_forward_progress 1
		.amdhsa_inst_pref_size 2
		.amdhsa_round_robin_scheduling 0
		.amdhsa_exception_fp_ieee_invalid_op 0
		.amdhsa_exception_fp_denorm_src 0
		.amdhsa_exception_fp_ieee_div_zero 0
		.amdhsa_exception_fp_ieee_overflow 0
		.amdhsa_exception_fp_ieee_underflow 0
		.amdhsa_exception_fp_ieee_inexact 0
		.amdhsa_exception_int_div_zero 0
	.end_amdhsa_kernel
	.section	.text._ZN4vllm25paged_attention_v1_kernelI14__hip_bfloat16hLi192ELi32ELi128ELNS_18Fp8KVCacheDataTypeE1ELb1EEEvPT_PKS3_PKT0_S9_ifPKiSB_iPKfiiiSD_SD_iiiii,"axG",@progbits,_ZN4vllm25paged_attention_v1_kernelI14__hip_bfloat16hLi192ELi32ELi128ELNS_18Fp8KVCacheDataTypeE1ELb1EEEvPT_PKS3_PKT0_S9_ifPKiSB_iPKfiiiSD_SD_iiiii,comdat
.Lfunc_end356:
	.size	_ZN4vllm25paged_attention_v1_kernelI14__hip_bfloat16hLi192ELi32ELi128ELNS_18Fp8KVCacheDataTypeE1ELb1EEEvPT_PKS3_PKT0_S9_ifPKiSB_iPKfiiiSD_SD_iiiii, .Lfunc_end356-_ZN4vllm25paged_attention_v1_kernelI14__hip_bfloat16hLi192ELi32ELi128ELNS_18Fp8KVCacheDataTypeE1ELb1EEEvPT_PKS3_PKT0_S9_ifPKiSB_iPKfiiiSD_SD_iiiii
                                        ; -- End function
	.set _ZN4vllm25paged_attention_v1_kernelI14__hip_bfloat16hLi192ELi32ELi128ELNS_18Fp8KVCacheDataTypeE1ELb1EEEvPT_PKS3_PKT0_S9_ifPKiSB_iPKfiiiSD_SD_iiiii.num_vgpr, max(32, .L_ZN4vllm22paged_attention_kernelI14__hip_bfloat16hLi192ELi32ELi128ELNS_18Fp8KVCacheDataTypeE1ELb1ELi0EEEvPfS3_PT_PKS4_PKT0_SA_ifPKiSC_iPKfiiiSE_SE_iiiii.num_vgpr)
	.set _ZN4vllm25paged_attention_v1_kernelI14__hip_bfloat16hLi192ELi32ELi128ELNS_18Fp8KVCacheDataTypeE1ELb1EEEvPT_PKS3_PKT0_S9_ifPKiSB_iPKfiiiSD_SD_iiiii.num_agpr, max(0, .L_ZN4vllm22paged_attention_kernelI14__hip_bfloat16hLi192ELi32ELi128ELNS_18Fp8KVCacheDataTypeE1ELb1ELi0EEEvPfS3_PT_PKS4_PKT0_SA_ifPKiSC_iPKfiiiSE_SE_iiiii.num_agpr)
	.set _ZN4vllm25paged_attention_v1_kernelI14__hip_bfloat16hLi192ELi32ELi128ELNS_18Fp8KVCacheDataTypeE1ELb1EEEvPT_PKS3_PKT0_S9_ifPKiSB_iPKfiiiSD_SD_iiiii.numbered_sgpr, max(39, .L_ZN4vllm22paged_attention_kernelI14__hip_bfloat16hLi192ELi32ELi128ELNS_18Fp8KVCacheDataTypeE1ELb1ELi0EEEvPfS3_PT_PKS4_PKT0_SA_ifPKiSC_iPKfiiiSE_SE_iiiii.numbered_sgpr)
	.set _ZN4vllm25paged_attention_v1_kernelI14__hip_bfloat16hLi192ELi32ELi128ELNS_18Fp8KVCacheDataTypeE1ELb1EEEvPT_PKS3_PKT0_S9_ifPKiSB_iPKfiiiSD_SD_iiiii.num_named_barrier, max(0, .L_ZN4vllm22paged_attention_kernelI14__hip_bfloat16hLi192ELi32ELi128ELNS_18Fp8KVCacheDataTypeE1ELb1ELi0EEEvPfS3_PT_PKS4_PKT0_SA_ifPKiSC_iPKfiiiSE_SE_iiiii.num_named_barrier)
	.set _ZN4vllm25paged_attention_v1_kernelI14__hip_bfloat16hLi192ELi32ELi128ELNS_18Fp8KVCacheDataTypeE1ELb1EEEvPT_PKS3_PKT0_S9_ifPKiSB_iPKfiiiSD_SD_iiiii.private_seg_size, 0+max(.L_ZN4vllm22paged_attention_kernelI14__hip_bfloat16hLi192ELi32ELi128ELNS_18Fp8KVCacheDataTypeE1ELb1ELi0EEEvPfS3_PT_PKS4_PKT0_SA_ifPKiSC_iPKfiiiSE_SE_iiiii.private_seg_size)
	.set _ZN4vllm25paged_attention_v1_kernelI14__hip_bfloat16hLi192ELi32ELi128ELNS_18Fp8KVCacheDataTypeE1ELb1EEEvPT_PKS3_PKT0_S9_ifPKiSB_iPKfiiiSD_SD_iiiii.uses_vcc, or(1, .L_ZN4vllm22paged_attention_kernelI14__hip_bfloat16hLi192ELi32ELi128ELNS_18Fp8KVCacheDataTypeE1ELb1ELi0EEEvPfS3_PT_PKS4_PKT0_SA_ifPKiSC_iPKfiiiSE_SE_iiiii.uses_vcc)
	.set _ZN4vllm25paged_attention_v1_kernelI14__hip_bfloat16hLi192ELi32ELi128ELNS_18Fp8KVCacheDataTypeE1ELb1EEEvPT_PKS3_PKT0_S9_ifPKiSB_iPKfiiiSD_SD_iiiii.uses_flat_scratch, or(0, .L_ZN4vllm22paged_attention_kernelI14__hip_bfloat16hLi192ELi32ELi128ELNS_18Fp8KVCacheDataTypeE1ELb1ELi0EEEvPfS3_PT_PKS4_PKT0_SA_ifPKiSC_iPKfiiiSE_SE_iiiii.uses_flat_scratch)
	.set _ZN4vllm25paged_attention_v1_kernelI14__hip_bfloat16hLi192ELi32ELi128ELNS_18Fp8KVCacheDataTypeE1ELb1EEEvPT_PKS3_PKT0_S9_ifPKiSB_iPKfiiiSD_SD_iiiii.has_dyn_sized_stack, or(0, .L_ZN4vllm22paged_attention_kernelI14__hip_bfloat16hLi192ELi32ELi128ELNS_18Fp8KVCacheDataTypeE1ELb1ELi0EEEvPfS3_PT_PKS4_PKT0_SA_ifPKiSC_iPKfiiiSE_SE_iiiii.has_dyn_sized_stack)
	.set _ZN4vllm25paged_attention_v1_kernelI14__hip_bfloat16hLi192ELi32ELi128ELNS_18Fp8KVCacheDataTypeE1ELb1EEEvPT_PKS3_PKT0_S9_ifPKiSB_iPKfiiiSD_SD_iiiii.has_recursion, or(0, .L_ZN4vllm22paged_attention_kernelI14__hip_bfloat16hLi192ELi32ELi128ELNS_18Fp8KVCacheDataTypeE1ELb1ELi0EEEvPfS3_PT_PKS4_PKT0_SA_ifPKiSC_iPKfiiiSE_SE_iiiii.has_recursion)
	.set _ZN4vllm25paged_attention_v1_kernelI14__hip_bfloat16hLi192ELi32ELi128ELNS_18Fp8KVCacheDataTypeE1ELb1EEEvPT_PKS3_PKT0_S9_ifPKiSB_iPKfiiiSD_SD_iiiii.has_indirect_call, or(0, .L_ZN4vllm22paged_attention_kernelI14__hip_bfloat16hLi192ELi32ELi128ELNS_18Fp8KVCacheDataTypeE1ELb1ELi0EEEvPfS3_PT_PKS4_PKT0_SA_ifPKiSC_iPKfiiiSE_SE_iiiii.has_indirect_call)
	.section	.AMDGPU.csdata,"",@progbits
; Kernel info:
; codeLenInByte = 224
; TotalNumSgprs: 41
; NumVgprs: 128
; ScratchSize: 1720
; MemoryBound: 0
; FloatMode: 240
; IeeeMode: 1
; LDSByteSize: 416 bytes/workgroup (compile time only)
; SGPRBlocks: 0
; VGPRBlocks: 7
; NumSGPRsForWavesPerEU: 41
; NumVGPRsForWavesPerEU: 128
; NamedBarCnt: 0
; Occupancy: 8
; WaveLimiterHint : 1
; COMPUTE_PGM_RSRC2:SCRATCH_EN: 1
; COMPUTE_PGM_RSRC2:USER_SGPR: 2
; COMPUTE_PGM_RSRC2:TRAP_HANDLER: 0
; COMPUTE_PGM_RSRC2:TGID_X_EN: 1
; COMPUTE_PGM_RSRC2:TGID_Y_EN: 1
; COMPUTE_PGM_RSRC2:TGID_Z_EN: 1
; COMPUTE_PGM_RSRC2:TIDIG_COMP_CNT: 0
	.text
	.p2align	2                               ; -- Begin function _ZN4vllm22paged_attention_kernelI14__hip_bfloat16hLi256ELi32ELi128ELNS_18Fp8KVCacheDataTypeE1ELb1ELi0EEEvPfS3_PT_PKS4_PKT0_SA_ifPKiSC_iPKfiiiSE_SE_iiiii
	.type	_ZN4vllm22paged_attention_kernelI14__hip_bfloat16hLi256ELi32ELi128ELNS_18Fp8KVCacheDataTypeE1ELb1ELi0EEEvPfS3_PT_PKS4_PKT0_SA_ifPKiSC_iPKfiiiSE_SE_iiiii,@function
_ZN4vllm22paged_attention_kernelI14__hip_bfloat16hLi256ELi32ELi128ELNS_18Fp8KVCacheDataTypeE1ELb1ELi0EEEvPfS3_PT_PKS4_PKT0_SA_ifPKiSC_iPKfiiiSE_SE_iiiii: ; @_ZN4vllm22paged_attention_kernelI14__hip_bfloat16hLi256ELi32ELi128ELNS_18Fp8KVCacheDataTypeE1ELb1ELi0EEEvPfS3_PT_PKS4_PKT0_SA_ifPKiSC_iPKfiiiSE_SE_iiiii
; %bb.0:
	s_wait_loadcnt_dscnt 0x0
	s_wait_kmcnt 0x0
	s_clause 0x2f
	scratch_store_b32 off, v40, s32 offset:188
	; meta instruction
	scratch_store_b32 off, v41, s32 offset:184
	; meta instruction
	;; [unrolled: 2-line block ×47, first 2 shown]
	scratch_store_b32 off, v127, s32
	s_bfe_u32 s0, ttmp6, 0x4000c
	s_bfe_u32 s3, ttmp6, 0x40010
	s_add_co_i32 s0, s0, 1
	s_and_b32 s1, ttmp6, 15
	s_mul_i32 s0, ttmp9, s0
	s_and_b32 s4, ttmp7, 0xffff
	s_add_co_i32 s3, s3, 1
	s_add_co_i32 s1, s1, s0
	s_mul_i32 s0, s4, s3
	s_bfe_u32 s3, ttmp6, 0x40004
	s_getreg_b32 s10, hwreg(HW_REG_IB_STS2, 6, 4)
	s_add_co_i32 s3, s3, s0
	s_cmp_eq_u32 s10, 0
	s_mov_b32 s7, 0
	s_cselect_b32 s11, s4, s3
	s_cselect_b32 s0, ttmp9, s1
	s_lshl_b32 s6, s11, 2
	v_dual_mov_b32 v35, v7 :: v_dual_mov_b32 v34, v6
	v_add_nc_u64_e32 v[6:7], s[6:7], v[12:13]
	s_clause 0x6
	scratch_store_b32 off, v26, s32 offset:2320
	scratch_store_b64 off, v[22:23], s32 offset:1440
	scratch_store_b64 off, v[20:21], s32 offset:1228
	;; [unrolled: 1-line block ×4, first 2 shown]
	scratch_store_b32 off, v9, s32 offset:1236
	scratch_store_b64 off, v[0:1], s32 offset:2352
	s_wait_xcnt 0x0
	v_mov_b32_e32 v1, 0
	s_clause 0x1
	s_load_u16 s1, s[8:9], 0x12
	s_load_b32 s3, s[8:9], 0x0
	v_dual_mov_b32 v33, v16 :: v_dual_mov_b32 v32, v15
	flat_load_b32 v42, v[6:7]
	s_wait_xcnt 0x0
	v_sub_nc_u32_e32 v6, 0, v8
	global_load_u16 v0, v1, s[8:9] offset:22
	s_mov_b32 s2, s15
	v_max_i32_e32 v6, v8, v6
	s_delay_alu instid0(VALU_DEP_1) | instskip(NEXT) | instid1(VALU_DEP_1)
	v_cvt_f32_u32_e32 v7, v6
	v_rcp_iflag_f32_e32 v7, v7
	s_wait_kmcnt 0x0
	s_cmp_lg_u32 s1, 0
	s_cselect_b32 s1, -1, 0
	s_delay_alu instid0(SALU_CYCLE_1) | instskip(SKIP_1) | instid1(TRANS32_DEP_1)
	s_cmp_lg_u32 s1, 0
	v_nop
	v_mul_f32_e32 v7, 0x4f7ffffe, v7
	v_sub_nc_u32_e32 v9, 0, v6
	s_add_co_ci_u32 s12, s3, 0
	s_abs_i32 s6, s0
	s_abs_i32 s1, s12
	v_cvt_u32_f32_e32 v7, v7
	s_mov_b32 s3, exec_lo
	s_delay_alu instid0(VALU_DEP_1) | instskip(NEXT) | instid1(VALU_DEP_1)
	v_mul_lo_u32 v9, v9, v7
	v_mul_hi_u32 v9, v7, v9
	s_delay_alu instid0(VALU_DEP_1) | instskip(NEXT) | instid1(VALU_DEP_1)
	v_add_nc_u32_e32 v7, v7, v9
	v_mul_hi_u32 v7, s1, v7
	s_delay_alu instid0(VALU_DEP_1) | instskip(NEXT) | instid1(VALU_DEP_1)
	v_mul_lo_u32 v9, v7, v6
	v_dual_add_nc_u32 v10, 1, v7 :: v_dual_sub_nc_u32 v9, s1, v9
	s_delay_alu instid0(VALU_DEP_1) | instskip(SKIP_1) | instid1(VALU_DEP_3)
	v_sub_nc_u32_e32 v11, v9, v6
	v_cmp_ge_u32_e32 vcc_lo, v9, v6
	v_dual_cndmask_b32 v7, v7, v10, vcc_lo :: v_dual_bitop2_b32 v10, s12, v8 bitop3:0x14
	s_delay_alu instid0(VALU_DEP_3) | instskip(NEXT) | instid1(VALU_DEP_2)
	v_cndmask_b32_e32 v9, v9, v11, vcc_lo
	v_dual_add_nc_u32 v11, 1, v7 :: v_dual_ashrrev_i32 v10, 31, v10
	s_delay_alu instid0(VALU_DEP_2) | instskip(NEXT) | instid1(VALU_DEP_2)
	v_cmp_ge_u32_e32 vcc_lo, v9, v6
	v_cndmask_b32_e32 v6, v7, v11, vcc_lo
	s_delay_alu instid0(VALU_DEP_1) | instskip(NEXT) | instid1(VALU_DEP_1)
	v_xor_b32_e32 v6, v6, v10
	v_sub_nc_u32_e32 v7, v6, v10
	s_delay_alu instid0(VALU_DEP_1) | instskip(NEXT) | instid1(VALU_DEP_1)
	v_sub_nc_u32_e32 v6, 0, v7
	v_max_i32_e32 v6, v7, v6
	s_delay_alu instid0(VALU_DEP_1) | instskip(SKIP_1) | instid1(VALU_DEP_2)
	v_cvt_f32_u32_e32 v9, v6
	v_sub_nc_u32_e32 v10, 0, v6
	v_rcp_iflag_f32_e32 v9, v9
	v_nop
	s_delay_alu instid0(TRANS32_DEP_1) | instskip(NEXT) | instid1(VALU_DEP_1)
	v_mul_f32_e32 v9, 0x4f7ffffe, v9
	v_cvt_u32_f32_e32 v9, v9
	s_delay_alu instid0(VALU_DEP_1) | instskip(NEXT) | instid1(VALU_DEP_1)
	v_mul_lo_u32 v10, v10, v9
	v_mul_hi_u32 v10, v9, v10
	s_wait_loadcnt 0x0
	v_readfirstlane_b32 s13, v0
	s_delay_alu instid0(VALU_DEP_2)
	v_add_nc_u32_e32 v0, v9, v10
	v_mov_b32_e32 v9, v1
	scratch_store_b32 off, v9, s32 offset:1224 ; 4-byte Folded Spill
	s_wait_xcnt 0x0
	v_cmpx_ne_u64_e32 0, v[32:33]
	s_cbranch_execz .LBB357_2
; %bb.1:
	s_ashr_i32 s1, s0, 31
	s_delay_alu instid0(SALU_CYCLE_1)
	v_lshl_add_u64 v[10:11], s[0:1], 2, v[32:33]
	flat_load_b32 v9, v[10:11]
	s_wait_loadcnt_dscnt 0x0
	scratch_store_b32 off, v9, s32 offset:1224 ; 4-byte Folded Spill
.LBB357_2:
	s_wait_xcnt 0x0
	s_or_b32 exec_lo, exec_lo, s3
	v_mul_u64_e32 v[0:1], s[6:7], v[0:1]
	v_and_b32_e32 v9, 0x3ff, v31
	v_ashrrev_i32_e32 v0, 31, v7
	s_ashr_i32 s1, s0, 31
	s_lshl_b32 s4, s0, 8
	s_mov_b32 s3, exec_lo
	scratch_store_b32 off, v9, s32 offset:1436 ; 4-byte Folded Spill
	s_wait_xcnt 0x0
	v_cmpx_gt_u32_e32 32, v9
	s_cbranch_execz .LBB357_4
; %bb.3:
	scratch_load_b32 v7, off, s32 offset:1436 ; 4-byte Folded Reload
	v_mul_lo_u32 v10, v17, s11
	s_ashr_i32 s5, s4, 31
	s_delay_alu instid0(VALU_DEP_1) | instskip(SKIP_2) | instid1(VALU_DEP_2)
	v_dual_mov_b32 v17, 0 :: v_dual_ashrrev_i32 v11, 31, v10
	s_wait_loadcnt 0x0
	v_lshlrev_b32_e32 v16, 4, v7
	v_lshl_add_u64 v[2:3], v[10:11], 1, v[2:3]
	s_delay_alu instid0(VALU_DEP_1) | instskip(NEXT) | instid1(VALU_DEP_1)
	v_lshl_add_u64 v[2:3], s[4:5], 1, v[2:3]
	v_add_nc_u64_e32 v[2:3], v[2:3], v[16:17]
	flat_load_b128 v[10:13], v[2:3]
	s_wait_loadcnt_dscnt 0x0
	ds_store_b128 v16, v[10:13]
.LBB357_4:
	s_wait_xcnt 0x0
	s_or_b32 exec_lo, exec_lo, s3
	v_dual_sub_nc_u32 v2, 0, v27 :: v_dual_add_nc_u32 v9, 1, v1
	v_mul_lo_u32 v3, v1, v6
	v_xor_b32_e32 v11, s1, v0
	s_mov_b32 s1, exec_lo
	s_delay_alu instid0(VALU_DEP_3) | instskip(NEXT) | instid1(VALU_DEP_1)
	v_max_i32_e32 v7, v27, v2
	v_cvt_f32_u32_e32 v2, v7
	s_delay_alu instid0(VALU_DEP_4) | instskip(NEXT) | instid1(VALU_DEP_2)
	v_sub_nc_u32_e32 v3, s6, v3
	v_rcp_iflag_f32_e32 v2, v2
	s_delay_alu instid0(VALU_DEP_1) | instskip(NEXT) | instid1(TRANS32_DEP_1)
	v_cmp_ge_u32_e32 vcc_lo, v3, v6
	v_mul_f32_e32 v2, 0x4f7ffffe, v2
	scratch_store_b32 off, v7, s32 offset:636 ; 4-byte Folded Spill
	s_wait_xcnt 0x0
	v_dual_sub_nc_u32 v7, 0, v7 :: v_dual_cndmask_b32 v1, v1, v9, vcc_lo
	v_cvt_u32_f32_e32 v2, v2
	s_delay_alu instid0(VALU_DEP_2) | instskip(NEXT) | instid1(VALU_DEP_2)
	v_add_nc_u32_e32 v9, 1, v1
	v_mul_lo_u32 v10, v7, v2
	v_sub_nc_u32_e32 v7, v3, v6
	s_wait_dscnt 0x0
	s_delay_alu instid0(VALU_DEP_1) | instskip(NEXT) | instid1(VALU_DEP_1)
	v_dual_cndmask_b32 v3, v3, v7, vcc_lo :: v_dual_add_nc_u32 v7, -1, v42
	v_cmp_ge_u32_e32 vcc_lo, v3, v6
	s_delay_alu instid0(VALU_DEP_4) | instskip(SKIP_1) | instid1(VALU_DEP_4)
	v_mul_hi_u32 v10, v2, v10
	v_dual_cndmask_b32 v0, v1, v9 :: v_dual_mov_b32 v1, 0
	v_sub_nc_u32_e32 v3, 0, v7
	s_delay_alu instid0(VALU_DEP_2) | instskip(NEXT) | instid1(VALU_DEP_2)
	v_dual_mov_b32 v13, v1 :: v_dual_bitop2_b32 v6, v0, v11 bitop3:0x14
	v_dual_add_nc_u32 v12, v2, v10 :: v_dual_max_i32 v0, v7, v3
                                        ; implicit-def: $vgpr2
                                        ; kill: killed $vgpr2
	s_delay_alu instid0(VALU_DEP_2)
	v_sub_nc_u32_e32 v6, v6, v11
	scratch_store_b64 off, v[12:13], s32 offset:640 ; 8-byte Folded Spill
	s_wait_storecnt 0x0
	s_barrier_signal -1
	s_barrier_wait -1
	s_wait_xcnt 0x0
	v_cmpx_gt_i32_e32 0, v28
	s_xor_b32 s1, exec_lo, s1
	s_cbranch_execz .LBB357_6
; %bb.5:
	v_mad_u32 v2, v24, v8, v6
                                        ; implicit-def: $vgpr24
	s_delay_alu instid0(VALU_DEP_1) | instskip(NEXT) | instid1(VALU_DEP_1)
	v_mul_lo_u32 v2, v2, v28
                                        ; implicit-def: $vgpr28
	v_sub_nc_u32_e32 v2, 1, v2
	scratch_store_b32 off, v2, s32 offset:652 ; 4-byte Folded Spill
.LBB357_6:
	s_wait_xcnt 0x0
	s_or_saveexec_b32 s1, s1
	scratch_load_b64 v[2:3], off, s32 offset:640 ; 8-byte Folded Reload
	s_wait_loadcnt 0x0
	v_mul_u64_e32 v[2:3], v[0:1], v[2:3]
	v_ashrrev_i32_e32 v1, 31, v7
	v_ashrrev_i32_e32 v2, 31, v27
	scratch_store_b32 off, v2, s32 offset:648 ; 4-byte Folded Spill
	s_wait_xcnt 0x0
	s_xor_b32 exec_lo, exec_lo, s1
	s_cbranch_execz .LBB357_8
; %bb.7:
	v_mad_u32 v2, s12, v24, s0
	s_delay_alu instid0(VALU_DEP_1)
	v_mad_u32 v2, v2, v28, 1
	scratch_store_b32 off, v2, s32 offset:652 ; 4-byte Folded Spill
.LBB357_8:
	s_wait_xcnt 0x0
	s_or_b32 exec_lo, exec_lo, s1
	s_clause 0x1
	scratch_load_b32 v9, off, s32 offset:636
	scratch_load_b32 v10, off, s32 offset:648
	v_mul_lo_u32 v12, v14, s11
	s_load_b32 s5, s[8:9], 0x8
	s_ashr_i32 s3, s2, 31
	s_get_pc_i64 s[6:7]
	s_add_nc_u64 s[6:7], s[6:7], llvm.amdgcn.dynlds.offset.table@rel64+4
	s_lshl_b64 s[2:3], s[2:3], 2
	s_delay_alu instid0(SALU_CYCLE_1) | instskip(SKIP_2) | instid1(VALU_DEP_1)
	s_add_nc_u64 s[6:7], s[6:7], s[2:3]
	s_wait_loadcnt 0x1
	v_mul_lo_u32 v2, v3, v9
	v_dual_sub_nc_u32 v0, v0, v2 :: v_dual_add_nc_u32 v2, 1, v3
	s_delay_alu instid0(VALU_DEP_1) | instskip(SKIP_1) | instid1(VALU_DEP_2)
	v_dual_add_nc_u32 v7, 31, v42 :: v_dual_sub_nc_u32 v8, v0, v9
	v_cmp_ge_u32_e32 vcc_lo, v0, v9
	v_dual_cndmask_b32 v2, v3, v2 :: v_dual_ashrrev_i32 v3, 31, v7
	s_wait_loadcnt 0x0
	s_delay_alu instid0(VALU_DEP_3) | instskip(SKIP_1) | instid1(VALU_DEP_3)
	v_dual_cndmask_b32 v0, v0, v8, vcc_lo :: v_dual_bitop2_b32 v1, v1, v10 bitop3:0x14
	v_mul_lo_u32 v10, v6, v19
	v_dual_add_nc_u32 v8, 1, v2 :: v_dual_lshrrev_b32 v3, 27, v3
	s_delay_alu instid0(VALU_DEP_3) | instskip(SKIP_1) | instid1(VALU_DEP_3)
	v_cmp_ge_u32_e32 vcc_lo, v0, v9
	v_ashrrev_i32_e32 v13, 31, v12
	v_cndmask_b32_e32 v0, v2, v8, vcc_lo
	scratch_load_b32 v2, off, s32 offset:1436 ; 4-byte Folded Reload
	v_ashrrev_i32_e32 v11, 31, v10
	scratch_store_b64 off, v[12:13], s32 offset:2332 ; 8-byte Folded Spill
	v_xor_b32_e32 v0, v0, v1
	s_delay_alu instid0(VALU_DEP_1)
	v_sub_nc_u32_e32 v0, v0, v1
	scratch_load_b32 v1, off, s32 offset:2320 ; 4-byte Folded Reload
	s_wait_loadcnt 0x1
	v_dual_lshrrev_b32 v8, 5, v2 :: v_dual_bitop2_b32 v6, 31, v2 bitop3:0x40
	v_add_nc_u32_e32 v2, v7, v3
	s_wait_loadcnt 0x0
	s_delay_alu instid0(VALU_DEP_1) | instskip(SKIP_1) | instid1(VALU_DEP_2)
	v_dual_ashrrev_i32 v2, 5, v2 :: v_dual_sub_nc_u32 v1, 0, v1
	v_dual_mov_b32 v7, 0xff7fffff :: v_dual_sub_nc_u32 v0, v0, v25
	v_cmp_lt_i32_e64 s0, v8, v2
	s_clause 0x3
	scratch_store_b32 off, v1, s32 offset:2348
	scratch_store_b64 off, v[10:11], s32 offset:2340
	scratch_store_b32 off, v8, s32 offset:2316
	scratch_store_b32 off, v2, s32 offset:608
	s_wait_xcnt 0x2
	v_lshlrev_b32_e32 v10, 2, v6
	s_clause 0x1
	scratch_store_b32 off, v0, s32 offset:656
	scratch_store_b32 off, v6, s32 offset:1432
	s_wait_xcnt 0x0
	s_and_saveexec_b32 s3, s0
	s_cbranch_execz .LBB357_2064
; %bb.9:
	v_mov_b32_e32 v25, 0
	scratch_store_b64 off, v[34:35], s32 offset:2360 ; 8-byte Folded Spill
	s_mov_b32 s15, 0
	s_mov_b64 s[8:9], 0xffffffffffffff
	ds_load_b128 v[0:3], v25
	ds_load_b128 v[36:39], v25 offset:16
	s_wait_xcnt 0x0
	ds_load_b128 v[32:35], v25 offset:32
	ds_load_b128 v[12:15], v25 offset:48
	;; [unrolled: 1-line block ×3, first 2 shown]
	s_wait_dscnt 0x4
	v_and_b32_e32 v7, 0xffff0000, v0
	s_wait_dscnt 0x3
	v_dual_lshlrev_b32 v6, 16, v0 :: v_dual_lshlrev_b32 v0, 16, v37
	s_wait_dscnt 0x0
	v_and_b32_e32 v17, 0xffff0000, v31
	v_lshlrev_b32_e32 v16, 16, v31
	scratch_store_b64 off, v[6:7], s32 offset:1240 ; 8-byte Folded Spill
	s_wait_xcnt 0x0
	v_and_b32_e32 v7, 0xffff0000, v36
	v_lshlrev_b32_e32 v6, 16, v36
	s_clause 0x1
	scratch_store_b64 off, v[16:17], s32 offset:1400
	scratch_store_b64 off, v[6:7], s32 offset:1248
	s_wait_xcnt 0x0
	v_and_b32_e32 v7, 0xffff0000, v32
	v_lshlrev_b32_e32 v6, 16, v32
	scratch_store_b64 off, v[6:7], s32 offset:1256 ; 8-byte Folded Spill
	s_wait_xcnt 0x0
	v_and_b32_e32 v7, 0xffff0000, v12
	v_dual_lshlrev_b32 v6, 16, v12 :: v_dual_lshlrev_b32 v12, 16, v15
	scratch_store_b64 off, v[6:7], s32 offset:1264 ; 8-byte Folded Spill
	s_wait_xcnt 0x0
	v_and_b32_e32 v7, 0xffff0000, v1
	v_lshlrev_b32_e32 v6, 16, v1
	v_and_b32_e32 v1, 0xffff0000, v37
	scratch_store_b64 off, v[6:7], s32 offset:1272 ; 8-byte Folded Spill
	s_wait_xcnt 0x0
	v_and_b32_e32 v7, 0xffff0000, v34
	v_lshlrev_b32_e32 v6, 16, v34
	scratch_store_b64 off, v[0:1], s32 offset:1280 ; 8-byte Folded Spill
	s_wait_xcnt 0x0
	v_and_b32_e32 v1, 0xffff0000, v33
	v_lshlrev_b32_e32 v0, 16, v33
	;; [unrolled: 4-line block ×4, first 2 shown]
	v_and_b32_e32 v13, 0xffff0000, v15
	scratch_store_b64 off, v[6:7], s32 offset:1336 ; 8-byte Folded Spill
	s_wait_xcnt 0x0
	v_and_b32_e32 v7, 0xffff0000, v14
	v_lshlrev_b32_e32 v6, 16, v14
	scratch_store_b64 off, v[0:1], s32 offset:1296 ; 8-byte Folded Spill
	s_wait_xcnt 0x0
	v_and_b32_e32 v1, 0xffff0000, v2
	v_lshlrev_b32_e32 v0, 16, v2
	s_clause 0x1
	scratch_store_b64 off, v[12:13], s32 offset:1368
	scratch_store_b64 off, v[6:7], s32 offset:1352
	s_wait_xcnt 0x0
	v_and_b32_e32 v7, 0xffff0000, v35
	v_lshlrev_b32_e32 v6, 16, v35
	scratch_store_b64 off, v[0:1], s32 offset:1304 ; 8-byte Folded Spill
	s_wait_xcnt 0x0
	v_and_b32_e32 v1, 0xffff0000, v38
	v_lshlrev_b32_e32 v0, 16, v38
	v_and_b32_e32 v13, 0xffff0000, v28
	v_lshlrev_b32_e32 v12, 16, v28
	scratch_store_b64 off, v[0:1], s32 offset:1312 ; 8-byte Folded Spill
	s_wait_xcnt 0x0
	v_and_b32_e32 v1, 0xffff0000, v3
	v_lshlrev_b32_e32 v0, 16, v3
	scratch_store_b64 off, v[12:13], s32 offset:1376 ; 8-byte Folded Spill
	s_wait_xcnt 0x0
	v_and_b32_e32 v13, 0xffff0000, v29
	v_lshlrev_b32_e32 v12, 16, v29
	s_clause 0x1
	scratch_store_b64 off, v[6:7], s32 offset:1360
	scratch_store_b64 off, v[0:1], s32 offset:1320
	s_wait_xcnt 0x0
	ds_load_b128 v[0:3], v25 offset:80
	ds_load_b128 v[6:9], v25 offset:96
	s_wait_dscnt 0x1
	v_and_b32_e32 v17, 0xffff0000, v0
	v_lshlrev_b32_e32 v16, 16, v0
	scratch_store_b64 off, v[12:13], s32 offset:1384 ; 8-byte Folded Spill
	s_wait_xcnt 0x0
	v_and_b32_e32 v13, 0xffff0000, v30
	v_lshlrev_b32_e32 v12, 16, v30
	v_lshlrev_b32_e32 v0, 16, v2
	scratch_store_b64 off, v[16:17], s32 offset:1416 ; 8-byte Folded Spill
	s_wait_xcnt 0x0
	v_and_b32_e32 v17, 0xffff0000, v1
	v_lshlrev_b32_e32 v16, 16, v1
	scratch_store_b64 off, v[12:13], s32 offset:1392 ; 8-byte Folded Spill
	s_wait_xcnt 0x0
	ds_load_b128 v[12:15], v25 offset:112
	v_and_b32_e32 v1, 0xffff0000, v2
	scratch_store_b64 off, v[16:17], s32 offset:1448 ; 8-byte Folded Spill
	s_wait_xcnt 0x0
	ds_load_b128 v[16:19], v25 offset:128
	scratch_store_b64 off, v[0:1], s32 offset:1456 ; 8-byte Folded Spill
	s_wait_xcnt 0x0
	v_and_b32_e32 v1, 0xffff0000, v3
	v_lshlrev_b32_e32 v0, 16, v3
	scratch_store_b64 off, v[0:1], s32 offset:1464 ; 8-byte Folded Spill
	s_wait_dscnt 0x2
	s_wait_xcnt 0x0
	v_and_b32_e32 v1, 0xffff0000, v6
	v_dual_lshlrev_b32 v0, 16, v6 :: v_dual_lshlrev_b32 v6, 16, v9
	scratch_store_b64 off, v[0:1], s32 offset:1472 ; 8-byte Folded Spill
	s_wait_xcnt 0x0
	v_and_b32_e32 v1, 0xffff0000, v7
	v_lshlrev_b32_e32 v0, 16, v7
	v_and_b32_e32 v7, 0xffff0000, v9
	s_clause 0x1
	scratch_store_b64 off, v[0:1], s32 offset:1480
	scratch_store_b64 off, v[6:7], s32 offset:1496
	s_wait_xcnt 0x1
	v_and_b32_e32 v1, 0xffff0000, v8
	v_lshlrev_b32_e32 v0, 16, v8
	s_wait_dscnt 0x1
	s_wait_xcnt 0x0
	v_and_b32_e32 v7, 0xffff0000, v12
	v_dual_lshlrev_b32 v6, 16, v12 :: v_dual_lshlrev_b32 v12, 16, v15
	scratch_store_b64 off, v[0:1], s32 offset:1488 ; 8-byte Folded Spill
	s_wait_xcnt 0x0
	ds_load_b128 v[0:3], v25 offset:144
	scratch_store_b64 off, v[6:7], s32 offset:1504 ; 8-byte Folded Spill
	s_wait_xcnt 0x0
	v_and_b32_e32 v7, 0xffff0000, v13
	v_lshlrev_b32_e32 v6, 16, v13
	v_and_b32_e32 v13, 0xffff0000, v15
	s_clause 0x1
	scratch_store_b64 off, v[6:7], s32 offset:1512
	scratch_store_b64 off, v[12:13], s32 offset:1528
	s_wait_xcnt 0x1
	v_and_b32_e32 v7, 0xffff0000, v14
	v_lshlrev_b32_e32 v6, 16, v14
	s_wait_dscnt 0x1
	s_wait_xcnt 0x0
	v_and_b32_e32 v13, 0xffff0000, v16
	v_dual_lshlrev_b32 v12, 16, v16 :: v_dual_lshlrev_b32 v16, 16, v18
	scratch_store_b64 off, v[6:7], s32 offset:1520 ; 8-byte Folded Spill
	s_wait_xcnt 0x0
	ds_load_b128 v[6:9], v25 offset:160
	scratch_store_b64 off, v[12:13], s32 offset:1536 ; 8-byte Folded Spill
	s_wait_xcnt 0x0
	v_and_b32_e32 v13, 0xffff0000, v17
	v_lshlrev_b32_e32 v12, 16, v17
	v_and_b32_e32 v17, 0xffff0000, v18
	s_clause 0x1
	scratch_store_b64 off, v[12:13], s32 offset:1544
	scratch_store_b64 off, v[16:17], s32 offset:1552
	s_wait_xcnt 0x0
	v_and_b32_e32 v17, 0xffff0000, v19
	v_lshlrev_b32_e32 v16, 16, v19
	ds_load_b128 v[12:15], v25 offset:176
	scratch_store_b64 off, v[16:17], s32 offset:1560 ; 8-byte Folded Spill
	s_wait_dscnt 0x2
	s_wait_xcnt 0x0
	v_and_b32_e32 v17, 0xffff0000, v0
	v_dual_lshlrev_b32 v16, 16, v0 :: v_dual_lshlrev_b32 v0, 16, v2
	scratch_store_b64 off, v[16:17], s32 offset:1568 ; 8-byte Folded Spill
	s_wait_xcnt 0x0
	v_and_b32_e32 v17, 0xffff0000, v1
	v_lshlrev_b32_e32 v16, 16, v1
	v_and_b32_e32 v1, 0xffff0000, v2
	s_clause 0x1
	scratch_store_b64 off, v[16:17], s32 offset:1576
	scratch_store_b64 off, v[0:1], s32 offset:1584
	s_wait_xcnt 0x0
	v_and_b32_e32 v1, 0xffff0000, v3
	v_lshlrev_b32_e32 v0, 16, v3
	scratch_store_b64 off, v[0:1], s32 offset:1592 ; 8-byte Folded Spill
	s_wait_dscnt 0x1
	s_wait_xcnt 0x0
	v_and_b32_e32 v1, 0xffff0000, v6
	v_lshlrev_b32_e32 v0, 16, v6
	scratch_store_b64 off, v[0:1], s32 offset:1600 ; 8-byte Folded Spill
	s_wait_xcnt 0x0
	v_and_b32_e32 v1, 0xffff0000, v7
	v_lshlrev_b32_e32 v0, 16, v7
	scratch_store_b64 off, v[0:1], s32 offset:1608 ; 8-byte Folded Spill
	;; [unrolled: 4-line block ×4, first 2 shown]
	s_wait_xcnt 0x0
	ds_load_b128 v[0:3], v25 offset:192
	s_wait_dscnt 0x1
	v_and_b32_e32 v7, 0xffff0000, v12
	v_lshlrev_b32_e32 v6, 16, v12
	scratch_store_b64 off, v[6:7], s32 offset:1632 ; 8-byte Folded Spill
	s_wait_xcnt 0x0
	v_and_b32_e32 v7, 0xffff0000, v13
	v_lshlrev_b32_e32 v6, 16, v13
	s_wait_dscnt 0x0
	v_and_b32_e32 v13, 0xffff0000, v0
	v_dual_lshlrev_b32 v12, 16, v0 :: v_dual_lshlrev_b32 v0, 16, v2
	scratch_store_b64 off, v[6:7], s32 offset:1640 ; 8-byte Folded Spill
	s_wait_xcnt 0x0
	v_and_b32_e32 v7, 0xffff0000, v14
	v_lshlrev_b32_e32 v6, 16, v14
	scratch_store_b64 off, v[12:13], s32 offset:1664 ; 8-byte Folded Spill
	s_wait_xcnt 0x0
	v_and_b32_e32 v13, 0xffff0000, v1
	v_lshlrev_b32_e32 v12, 16, v1
	v_and_b32_e32 v1, 0xffff0000, v2
	scratch_store_b64 off, v[6:7], s32 offset:1648 ; 8-byte Folded Spill
	s_wait_xcnt 0x0
	v_and_b32_e32 v7, 0xffff0000, v15
	v_lshlrev_b32_e32 v6, 16, v15
	scratch_store_b64 off, v[0:1], s32 offset:1680 ; 8-byte Folded Spill
	s_wait_xcnt 0x0
	v_and_b32_e32 v1, 0xffff0000, v3
	v_lshlrev_b32_e32 v0, 16, v3
	scratch_store_b64 off, v[6:7], s32 offset:1656 ; 8-byte Folded Spill
	s_wait_xcnt 0x0
	ds_load_b128 v[6:9], v25 offset:208
	s_clause 0x1
	scratch_store_b64 off, v[12:13], s32 offset:1672
	scratch_store_b64 off, v[0:1], s32 offset:1688
	s_wait_dscnt 0x0
	s_wait_xcnt 0x0
	v_and_b32_e32 v1, 0xffff0000, v6
	v_lshlrev_b32_e32 v0, 16, v6
	scratch_store_b64 off, v[0:1], s32 offset:1696 ; 8-byte Folded Spill
	s_wait_xcnt 0x0
	v_and_b32_e32 v1, 0xffff0000, v7
	v_lshlrev_b32_e32 v0, 16, v7
	scratch_store_b64 off, v[0:1], s32 offset:1704 ; 8-byte Folded Spill
	s_wait_xcnt 0x0
	v_and_b32_e32 v1, 0xffff0000, v8
	v_lshlrev_b32_e32 v0, 16, v8
	scratch_store_b64 off, v[0:1], s32 offset:1712 ; 8-byte Folded Spill
	s_wait_xcnt 0x0
	v_and_b32_e32 v1, 0xffff0000, v9
	v_lshlrev_b32_e32 v0, 16, v9
	scratch_store_b64 off, v[0:1], s32 offset:1720 ; 8-byte Folded Spill
	s_wait_xcnt 0x0
	ds_load_b128 v[0:3], v25 offset:224
	ds_load_b128 v[6:9], v25 offset:240
	s_wait_dscnt 0x1
	v_and_b32_e32 v13, 0xffff0000, v0
	v_dual_lshlrev_b32 v12, 16, v0 :: v_dual_lshlrev_b32 v0, 16, v2
	scratch_store_b64 off, v[12:13], s32 offset:1728 ; 8-byte Folded Spill
	s_wait_xcnt 0x0
	v_and_b32_e32 v13, 0xffff0000, v1
	v_lshlrev_b32_e32 v12, 16, v1
	v_and_b32_e32 v1, 0xffff0000, v2
	s_clause 0x1
	scratch_store_b64 off, v[12:13], s32 offset:1736
	scratch_store_b64 off, v[0:1], s32 offset:1744
	s_wait_xcnt 0x0
	v_and_b32_e32 v1, 0xffff0000, v3
	v_lshlrev_b32_e32 v0, 16, v3
	scratch_store_b64 off, v[0:1], s32 offset:1752 ; 8-byte Folded Spill
	s_wait_dscnt 0x0
	s_wait_xcnt 0x0
	v_and_b32_e32 v1, 0xffff0000, v6
	v_lshlrev_b32_e32 v0, 16, v6
	scratch_store_b64 off, v[0:1], s32 offset:1760 ; 8-byte Folded Spill
	s_wait_xcnt 0x0
	v_and_b32_e32 v1, 0xffff0000, v7
	v_lshlrev_b32_e32 v0, 16, v7
	scratch_store_b64 off, v[0:1], s32 offset:1768 ; 8-byte Folded Spill
	s_wait_xcnt 0x0
	v_and_b32_e32 v1, 0xffff0000, v8
	v_lshlrev_b32_e32 v0, 16, v8
	scratch_store_b64 off, v[0:1], s32 offset:1776 ; 8-byte Folded Spill
	s_wait_xcnt 0x0
	v_and_b32_e32 v1, 0xffff0000, v9
	v_lshlrev_b32_e32 v0, 16, v9
	scratch_store_b64 off, v[0:1], s32 offset:1784 ; 8-byte Folded Spill
	s_wait_xcnt 0x0
	ds_load_b128 v[0:3], v25 offset:256
	ds_load_b128 v[6:9], v25 offset:272
	s_wait_dscnt 0x1
	v_and_b32_e32 v13, 0xffff0000, v0
	v_dual_lshlrev_b32 v12, 16, v0 :: v_dual_lshlrev_b32 v0, 16, v2
	scratch_store_b64 off, v[12:13], s32 offset:1792 ; 8-byte Folded Spill
	s_wait_xcnt 0x0
	v_and_b32_e32 v13, 0xffff0000, v1
	v_lshlrev_b32_e32 v12, 16, v1
	v_and_b32_e32 v1, 0xffff0000, v2
	s_clause 0x1
	scratch_store_b64 off, v[12:13], s32 offset:1800
	scratch_store_b64 off, v[0:1], s32 offset:1808
	s_wait_xcnt 0x0
	v_and_b32_e32 v1, 0xffff0000, v3
	v_lshlrev_b32_e32 v0, 16, v3
	scratch_store_b64 off, v[0:1], s32 offset:1816 ; 8-byte Folded Spill
	;; [unrolled: 35-line block ×4, first 2 shown]
	s_wait_dscnt 0x0
	s_wait_xcnt 0x0
	v_and_b32_e32 v1, 0xffff0000, v6
	v_lshlrev_b32_e32 v0, 16, v6
	scratch_store_b64 off, v[0:1], s32 offset:1952 ; 8-byte Folded Spill
	s_wait_xcnt 0x0
	v_and_b32_e32 v1, 0xffff0000, v7
	v_lshlrev_b32_e32 v0, 16, v7
	scratch_store_b64 off, v[0:1], s32 offset:1960 ; 8-byte Folded Spill
	;; [unrolled: 4-line block ×4, first 2 shown]
	s_wait_xcnt 0x0
	ds_load_b128 v[0:3], v25 offset:352
	ds_load_b128 v[6:9], v25 offset:368
	s_wait_dscnt 0x1
	v_and_b32_e32 v13, 0xffff0000, v2
	v_dual_lshlrev_b32 v12, 16, v2 :: v_dual_lshlrev_b32 v2, 16, v0
	scratch_store_b64 off, v[12:13], s32 offset:1984 ; 8-byte Folded Spill
	s_wait_xcnt 0x0
	v_and_b32_e32 v13, 0xffff0000, v3
	v_lshlrev_b32_e32 v12, 16, v3
	v_and_b32_e32 v3, 0xffff0000, v0
	s_wait_dscnt 0x0
	v_lshlrev_b32_e32 v0, 16, v8
	s_clause 0x1
	scratch_store_b64 off, v[12:13], s32 offset:1992
	scratch_store_b64 off, v[2:3], s32 offset:2000
	s_wait_xcnt 0x0
	v_and_b32_e32 v3, 0xffff0000, v1
	v_lshlrev_b32_e32 v2, 16, v1
	v_and_b32_e32 v1, 0xffff0000, v8
	s_clause 0x1
	scratch_store_b64 off, v[2:3], s32 offset:2008
	scratch_store_b64 off, v[0:1], s32 offset:2016
	s_wait_xcnt 0x0
	v_and_b32_e32 v1, 0xffff0000, v9
	v_lshlrev_b32_e32 v0, 16, v9
	scratch_store_b64 off, v[0:1], s32 offset:2024 ; 8-byte Folded Spill
	s_wait_xcnt 0x0
	v_and_b32_e32 v1, 0xffff0000, v6
	v_lshlrev_b32_e32 v0, 16, v6
	scratch_store_b64 off, v[0:1], s32 offset:2032 ; 8-byte Folded Spill
	s_wait_xcnt 0x0
	v_and_b32_e32 v1, 0xffff0000, v7
	v_lshlrev_b32_e32 v0, 16, v7
	scratch_store_b64 off, v[0:1], s32 offset:2040 ; 8-byte Folded Spill
	s_wait_xcnt 0x0
	ds_load_b128 v[0:3], v25 offset:384
	ds_load_b128 v[6:9], v25 offset:400
	s_wait_dscnt 0x1
	v_and_b32_e32 v13, 0xffff0000, v0
	v_dual_lshlrev_b32 v12, 16, v0 :: v_dual_lshlrev_b32 v0, 16, v2
	scratch_store_b64 off, v[12:13], s32 offset:2048 ; 8-byte Folded Spill
	s_wait_xcnt 0x0
	v_and_b32_e32 v13, 0xffff0000, v1
	v_lshlrev_b32_e32 v12, 16, v1
	v_and_b32_e32 v1, 0xffff0000, v2
	s_clause 0x1
	scratch_store_b64 off, v[12:13], s32 offset:2056
	scratch_store_b64 off, v[0:1], s32 offset:2064
	s_wait_xcnt 0x0
	v_and_b32_e32 v1, 0xffff0000, v3
	v_lshlrev_b32_e32 v0, 16, v3
	scratch_store_b64 off, v[0:1], s32 offset:2072 ; 8-byte Folded Spill
	s_wait_dscnt 0x0
	s_wait_xcnt 0x0
	v_and_b32_e32 v1, 0xffff0000, v6
	v_lshlrev_b32_e32 v0, 16, v6
	scratch_store_b64 off, v[0:1], s32 offset:2080 ; 8-byte Folded Spill
	s_wait_xcnt 0x0
	v_and_b32_e32 v1, 0xffff0000, v7
	v_lshlrev_b32_e32 v0, 16, v7
	scratch_store_b64 off, v[0:1], s32 offset:2088 ; 8-byte Folded Spill
	s_wait_xcnt 0x0
	v_and_b32_e32 v1, 0xffff0000, v8
	v_lshlrev_b32_e32 v0, 16, v8
	scratch_store_b64 off, v[0:1], s32 offset:2096 ; 8-byte Folded Spill
	s_wait_xcnt 0x0
	v_and_b32_e32 v1, 0xffff0000, v9
	v_lshlrev_b32_e32 v0, 16, v9
	scratch_store_b64 off, v[0:1], s32 offset:2104 ; 8-byte Folded Spill
	s_wait_xcnt 0x0
	ds_load_b128 v[0:3], v25 offset:416
	ds_load_b128 v[6:9], v25 offset:432
	s_wait_dscnt 0x1
	v_and_b32_e32 v13, 0xffff0000, v0
	v_dual_lshlrev_b32 v12, 16, v0 :: v_dual_lshlrev_b32 v0, 16, v2
	scratch_store_b64 off, v[12:13], s32 offset:2112 ; 8-byte Folded Spill
	s_wait_xcnt 0x0
	v_and_b32_e32 v13, 0xffff0000, v1
	v_lshlrev_b32_e32 v12, 16, v1
	v_and_b32_e32 v1, 0xffff0000, v2
	s_clause 0x1
	scratch_store_b64 off, v[12:13], s32 offset:2120
	scratch_store_b64 off, v[0:1], s32 offset:2128
	s_wait_xcnt 0x0
	v_and_b32_e32 v1, 0xffff0000, v3
	v_lshlrev_b32_e32 v0, 16, v3
	scratch_store_b64 off, v[0:1], s32 offset:2136 ; 8-byte Folded Spill
	s_wait_dscnt 0x0
	s_wait_xcnt 0x0
	v_and_b32_e32 v1, 0xffff0000, v6
	v_lshlrev_b32_e32 v0, 16, v6
	scratch_store_b64 off, v[0:1], s32 offset:2144 ; 8-byte Folded Spill
	;; [unrolled: 35-line block ×4, first 2 shown]
	s_wait_xcnt 0x0
	v_and_b32_e32 v1, 0xffff0000, v7
	v_dual_mov_b32 v7, 0xff7fffff :: v_dual_lshlrev_b32 v0, 16, v7
	scratch_store_b64 off, v[0:1], s32 offset:2280 ; 8-byte Folded Spill
	s_wait_xcnt 0x0
	v_and_b32_e32 v1, 0xffff0000, v8
	v_lshlrev_b32_e32 v0, 16, v8
	scratch_store_b64 off, v[0:1], s32 offset:2288 ; 8-byte Folded Spill
	s_wait_xcnt 0x0
	v_and_b32_e32 v1, 0xffff0000, v9
	v_lshlrev_b32_e32 v0, 16, v9
	s_clause 0x1
	scratch_store_b64 off, v[0:1], s32 offset:2296
	scratch_load_b64 v[0:1], off, s32 offset:2340
	s_wait_loadcnt 0x0
	v_add_nc_u64_e32 v[0:1], v[4:5], v[0:1]
	s_clause 0x2
	scratch_load_b32 v5, off, s32 offset:1432
	scratch_load_b32 v3, off, s32 offset:2320
	;; [unrolled: 1-line block ×3, first 2 shown]
	s_wait_loadcnt 0x0
	v_dual_lshlrev_b32 v2, 4, v5 :: v_dual_max_i32 v6, v3, v4
	s_delay_alu instid0(VALU_DEP_1) | instskip(NEXT) | instid1(VALU_DEP_1)
	v_dual_mov_b32 v3, v25 :: v_dual_sub_nc_u32 v4, 0, v6
	v_add_nc_u64_e32 v[0:1], v[0:1], v[2:3]
	s_clause 0x1
	scratch_store_b64 off, v[0:1], s32 offset:2304
	scratch_store_b32 off, v6, s32 offset:800
	s_wait_xcnt 0x1
	v_cvt_f32_u32_e32 v0, v6
	v_mov_b32_e32 v1, v25
	s_load_b32 s14, s[6:7], 0x0
	scratch_store_b32 off, v10, s32 offset:2368 ; 4-byte Folded Spill
	v_rcp_iflag_f32_e32 v0, v0
	v_nop
	s_delay_alu instid0(TRANS32_DEP_1) | instskip(NEXT) | instid1(VALU_DEP_1)
	v_mul_f32_e32 v0, 0x4f7ffffe, v0
	v_cvt_u32_f32_e32 v2, v0
	s_delay_alu instid0(VALU_DEP_1) | instskip(NEXT) | instid1(VALU_DEP_1)
	v_mul_lo_u32 v0, v4, v2
	v_mul_hi_u32 v3, v2, v0
	scratch_load_b32 v0, off, s32 offset:1436 ; 4-byte Folded Reload
	v_dual_mov_b32 v3, v25 :: v_dual_add_nc_u32 v2, v2, v3
	s_clause 0x2
	scratch_store_b64 off, v[2:3], s32 offset:804
	scratch_load_b64 v[2:3], off, s32 offset:2332
	scratch_load_b32 v4, off, s32 offset:1224
	s_wait_loadcnt 0x2
	v_lshrrev_b32_e32 v0, 3, v0
	s_delay_alu instid0(VALU_DEP_1) | instskip(SKIP_1) | instid1(VALU_DEP_1)
	v_and_b32_e32 v0, 0x7c, v0
	s_wait_loadcnt 0x1
	v_lshl_add_u64 v[0:1], v[2:3], 2, v[0:1]
	v_sub_nc_u32_e32 v2, v5, v42
	s_wait_loadcnt 0x0
	v_cmp_neq_f32_e32 vcc_lo, 0, v4
	s_delay_alu instid0(VALU_DEP_2)
	v_add_nc_u32_e32 v2, 1, v2
	s_clause 0x1
	scratch_store_b32 off, v2, s32 offset:2312
	scratch_load_b64 v[2:3], off, s32 offset:2324
	s_wait_loadcnt 0x0
	v_add_nc_u64_e32 v[0:1], v[2:3], v[0:1]
	s_clause 0x1
	scratch_store_b64 off, v[0:1], s32 offset:612
	scratch_load_b32 v0, off, s32 offset:2316
	s_wait_loadcnt 0x0
	v_lshl_or_b32 v5, v0, 7, v10
	v_dual_mov_b32 v2, v0 :: v_dual_lshlrev_b32 v8, 5, v0
	s_branch .LBB357_15
.LBB357_10:                             ;   in Loop: Header=BB357_15 Depth=1
	s_or_b32 exec_lo, exec_lo, s19
	s_delay_alu instid0(VALU_DEP_1) | instskip(SKIP_1) | instid1(VALU_DEP_2)
	v_dual_lshlrev_b32 v24, 24, v83 :: v_dual_lshlrev_b32 v70, 20, v70
	v_lshl_add_u32 v71, v71, 23, 0x3c000000
	v_and_b32_e32 v24, 0x80000000, v24
	s_delay_alu instid0(VALU_DEP_1)
	v_or3_b32 v73, v70, v24, v71
.LBB357_11:                             ;   in Loop: Header=BB357_15 Depth=1
	s_or_b32 exec_lo, exec_lo, s18
.LBB357_12:                             ;   in Loop: Header=BB357_15 Depth=1
	s_delay_alu instid0(SALU_CYCLE_1)
	s_or_b32 exec_lo, exec_lo, s17
.LBB357_13:                             ;   in Loop: Header=BB357_15 Depth=1
	s_delay_alu instid0(SALU_CYCLE_1)
	s_or_b32 exec_lo, exec_lo, s16
	v_pk_mul_f32 v[0:1], v[82:83], v[0:1] op_sel_hi:[0,1]
	v_pk_mul_f32 v[6:7], v[82:83], v[6:7] op_sel_hi:[0,1]
	;; [unrolled: 1-line block ×5, first 2 shown]
	scratch_store_b64 off, v[0:1], s32 offset:988 ; 8-byte Folded Spill
	s_wait_xcnt 0x0
	v_pk_mul_f32 v[0:1], v[82:83], v[68:69] op_sel_hi:[0,1]
	scratch_store_b64 off, v[0:1], s32 offset:836 ; 8-byte Folded Spill
	s_wait_xcnt 0x0
	v_pk_mul_f32 v[0:1], v[82:83], v[2:3] op_sel_hi:[0,1]
	s_clause 0x1
	scratch_load_b64 v[2:3], off, s32 offset:264 th:TH_LOAD_LU
	scratch_store_b64 off, v[0:1], s32 offset:876
	s_wait_xcnt 0x0
	v_pk_mul_f32 v[0:1], v[82:83], v[126:127] op_sel_hi:[0,1]
	scratch_store_b64 off, v[0:1], s32 offset:940 ; 8-byte Folded Spill
	s_wait_xcnt 0x0
	v_pk_mul_f32 v[0:1], v[82:83], v[124:125] op_sel_hi:[0,1]
	scratch_store_b64 off, v[0:1], s32 offset:1012 ; 8-byte Folded Spill
	s_wait_xcnt 0x0
	v_pk_mul_f32 v[0:1], v[82:83], v[26:27] op_sel_hi:[0,1]
	scratch_store_b64 off, v[0:1], s32 offset:852 ; 8-byte Folded Spill
	s_wait_xcnt 0x0
	v_pk_mul_f32 v[0:1], v[82:83], v[104:105] op_sel_hi:[0,1]
	scratch_store_b64 off, v[0:1], s32 offset:900 ; 8-byte Folded Spill
	s_wait_xcnt 0x0
	v_pk_mul_f32 v[0:1], v[82:83], v[12:13] op_sel_hi:[0,1]
	scratch_store_b64 off, v[0:1], s32 offset:972 ; 8-byte Folded Spill
	s_wait_xcnt 0x0
	v_pk_mul_f32 v[0:1], v[82:83], v[96:97] op_sel_hi:[0,1]
	scratch_store_b64 off, v[0:1], s32 offset:1028 ; 8-byte Folded Spill
	s_wait_xcnt 0x0
	v_pk_mul_f32 v[0:1], v[82:83], v[14:15] op_sel_hi:[0,1]
	scratch_store_b64 off, v[0:1], s32 offset:868 ; 8-byte Folded Spill
	s_wait_xcnt 0x0
	v_pk_mul_f32 v[0:1], v[82:83], v[50:51] op_sel_hi:[0,1]
	scratch_store_b64 off, v[0:1], s32 offset:924 ; 8-byte Folded Spill
	s_wait_xcnt 0x0
	v_pk_mul_f32 v[0:1], v[82:83], v[112:113] op_sel_hi:[0,1]
	scratch_store_b64 off, v[0:1], s32 offset:996 ; 8-byte Folded Spill
	s_wait_xcnt 0x0
	v_pk_mul_f32 v[0:1], v[82:83], v[110:111] op_sel_hi:[0,1]
	scratch_store_b64 off, v[0:1], s32 offset:1044 ; 8-byte Folded Spill
	s_wait_xcnt 0x0
	v_pk_mul_f32 v[0:1], v[82:83], v[122:123] op_sel_hi:[0,1]
	scratch_store_b64 off, v[0:1], s32 offset:884 ; 8-byte Folded Spill
	s_wait_xcnt 0x0
	v_pk_mul_f32 v[0:1], v[82:83], v[94:95] op_sel_hi:[0,1]
	scratch_store_b64 off, v[0:1], s32 offset:948 ; 8-byte Folded Spill
	s_wait_xcnt 0x0
	v_pk_mul_f32 v[0:1], v[82:83], v[92:93] op_sel_hi:[0,1]
	scratch_store_b64 off, v[0:1], s32 offset:1020 ; 8-byte Folded Spill
	s_wait_xcnt 0x0
	v_pk_mul_f32 v[0:1], v[82:83], v[90:91] op_sel_hi:[0,1]
	scratch_store_b64 off, v[0:1], s32 offset:1060 ; 8-byte Folded Spill
	s_wait_xcnt 0x0
	v_pk_mul_f32 v[0:1], v[82:83], v[78:79] op_sel_hi:[0,1]
	scratch_store_b64 off, v[0:1], s32 offset:908 ; 8-byte Folded Spill
	s_wait_xcnt 0x0
	v_pk_mul_f32 v[0:1], v[82:83], v[34:35] op_sel_hi:[0,1]
	scratch_store_b64 off, v[0:1], s32 offset:980 ; 8-byte Folded Spill
	s_wait_xcnt 0x0
	v_pk_mul_f32 v[0:1], v[82:83], v[76:77] op_sel_hi:[0,1]
	scratch_store_b64 off, v[0:1], s32 offset:1036 ; 8-byte Folded Spill
	s_wait_xcnt 0x0
	v_pk_mul_f32 v[0:1], v[82:83], v[48:49] op_sel_hi:[0,1]
	scratch_store_b64 off, v[0:1], s32 offset:1072 ; 8-byte Folded Spill
	s_wait_xcnt 0x0
	v_pk_mul_f32 v[0:1], v[82:83], v[88:89] op_sel_hi:[0,1]
	scratch_store_b64 off, v[0:1], s32 offset:932 ; 8-byte Folded Spill
	s_wait_xcnt 0x0
	v_pk_mul_f32 v[0:1], v[82:83], v[62:63] op_sel_hi:[0,1]
	scratch_store_b64 off, v[0:1], s32 offset:1004 ; 8-byte Folded Spill
	s_wait_xcnt 0x0
	v_pk_mul_f32 v[0:1], v[82:83], v[46:47] op_sel_hi:[0,1]
	v_fma_mixlo_bf16 v46, v82, v59, 0
	scratch_store_b64 off, v[0:1], s32 offset:1052 ; 8-byte Folded Spill
	s_wait_xcnt 0x0
	v_pk_mul_f32 v[0:1], v[82:83], v[30:31] op_sel_hi:[0,1]
	scratch_store_b64 off, v[0:1], s32 offset:1080 ; 8-byte Folded Spill
	s_wait_xcnt 0x0
	v_pk_mul_f32 v[0:1], v[82:83], v[74:75] op_sel_hi:[0,1]
	s_clause 0x1
	scratch_store_b64 off, v[0:1], s32 offset:956
	scratch_load_b32 v0, off, s32 offset:748 th:TH_LOAD_LU
	s_wait_loadcnt 0x0
	v_fma_mixlo_bf16 v0, v82, v0, 0
	s_clause 0x1
	scratch_store_b32 off, v0, s32 offset:748
	scratch_load_b32 v0, off, s32 offset:796 th:TH_LOAD_LU
	s_wait_loadcnt 0x0
	v_fma_mixlo_bf16 v0, v82, v0, 0
	s_clause 0x1
	scratch_store_b32 off, v0, s32 offset:796
	;; [unrolled: 5-line block ×5, first 2 shown]
	scratch_load_b32 v0, off, s32 offset:736 th:TH_LOAD_LU
	s_wait_loadcnt 0x0
	v_fma_mixlo_bf16 v0, v82, v0, 0
	scratch_store_b32 off, v0, s32 offset:1092 ; 4-byte Folded Spill
	s_wait_xcnt 0x0
	v_fma_mixlo_bf16 v0, v82, v58, 0
	s_clause 0x1
	scratch_store_b32 off, v0, s32 offset:736
	scratch_load_b32 v0, off, s32 offset:768 th:TH_LOAD_LU
	s_wait_loadcnt 0x0
	v_fma_mixlo_bf16 v0, v82, v0, 0
	s_clause 0x1
	scratch_store_b32 off, v0, s32 offset:740
	scratch_load_b32 v0, off, s32 offset:732 th:TH_LOAD_LU
	s_wait_loadcnt 0x0
	;; [unrolled: 5-line block ×9, first 2 shown]
	v_fma_mixlo_bf16 v0, v82, v0, 0
	scratch_store_b32 off, v0, s32 offset:720 ; 4-byte Folded Spill
	s_wait_xcnt 0x0
	v_pk_mul_f32 v[0:1], v[82:83], v[106:107] op_sel_hi:[0,1]
	scratch_store_b64 off, v[0:1], s32 offset:760 ; 8-byte Folded Spill
	s_wait_xcnt 0x0
	v_pk_mul_f32 v[0:1], v[82:83], v[44:45] op_sel_hi:[0,1]
	s_clause 0x1
	scratch_load_b64 v[44:45], off, s32 offset:208 th:TH_LOAD_LU
	scratch_store_b64 off, v[0:1], s32 offset:776
	s_wait_xcnt 0x0
	v_pk_mul_f32 v[0:1], v[82:83], v[40:41] op_sel_hi:[0,1]
	v_pk_mul_f32 v[40:41], v[82:83], v[98:99] op_sel_hi:[0,1]
	;; [unrolled: 1-line block ×3, first 2 shown]
	scratch_store_b64 off, v[0:1], s32 offset:784 ; 8-byte Folded Spill
	s_wait_xcnt 0x0
	v_pk_mul_f32 v[0:1], v[82:83], v[56:57] op_sel_hi:[0,1]
	scratch_store_b64 off, v[0:1], s32 offset:724 ; 8-byte Folded Spill
	s_wait_xcnt 0x0
	v_pk_mul_f32 v[0:1], v[82:83], v[116:117] op_sel_hi:[0,1]
	;; [unrolled: 3-line block ×5, first 2 shown]
	v_pk_mul_f32 v[118:119], v[82:83], v[84:85] op_sel_hi:[0,1]
	scratch_store_b64 off, v[0:1], s32 offset:1104 ; 8-byte Folded Spill
	s_wait_xcnt 0x0
	v_pk_mul_f32 v[0:1], v[82:83], v[28:29] op_sel_hi:[0,1]
	scratch_store_b64 off, v[0:1], s32 offset:1136 ; 8-byte Folded Spill
	s_wait_xcnt 0x0
	;; [unrolled: 3-line block ×9, first 2 shown]
	v_pk_mul_f32 v[0:1], v[82:83], v[86:87] op_sel_hi:[0,1]
	s_clause 0x1
	scratch_store_b64 off, v[0:1], s32 offset:1144
	scratch_load_b64 v[0:1], off, s32 offset:620 th:TH_LOAD_LU
	s_wait_loadcnt 0x0
	v_pk_mul_f32 v[0:1], v[82:83], v[0:1] op_sel_hi:[0,1]
	scratch_store_b64 off, v[0:1], s32 offset:1184 ; 8-byte Folded Spill
	s_wait_xcnt 0x0
	v_pk_mul_f32 v[0:1], v[82:83], v[120:121] op_sel_hi:[0,1]
	s_clause 0x2
	scratch_load_b64 v[120:121], off, s32 offset:216 th:TH_LOAD_LU
	scratch_store_b64 off, v[0:1], s32 offset:1216
	scratch_load_b64 v[0:1], off, s32 offset:628 th:TH_LOAD_LU
	s_wait_loadcnt 0x0
	v_pk_mul_f32 v[0:1], v[82:83], v[0:1] op_sel_hi:[0,1]
	s_clause 0x1
	scratch_store_b64 off, v[0:1], s32 offset:620
	scratch_load_b64 v[0:1], off, s32 offset:592 th:TH_LOAD_LU
	s_wait_loadcnt 0x0
	v_pk_mul_f32 v[0:1], v[82:83], v[0:1] op_sel_hi:[0,1]
	s_clause 0x1
	scratch_store_b64 off, v[0:1], s32 offset:592
	scratch_load_b64 v[0:1], off, s32 offset:584 th:TH_LOAD_LU
	s_wait_loadcnt 0x0
	v_pk_mul_f32 v[114:115], v[82:83], v[0:1] op_sel_hi:[0,1]
	scratch_load_b64 v[0:1], off, s32 offset:576 th:TH_LOAD_LU ; 8-byte Folded Reload
	s_wait_loadcnt 0x0
	v_pk_mul_f32 v[84:85], v[82:83], v[0:1] op_sel_hi:[0,1]
	scratch_load_b64 v[0:1], off, s32 offset:600 th:TH_LOAD_LU ; 8-byte Folded Reload
	s_wait_loadcnt 0x0
	v_pk_mul_f32 v[0:1], v[82:83], v[0:1] op_sel_hi:[0,1]
	s_clause 0x1
	scratch_store_b64 off, v[0:1], s32 offset:576
	scratch_load_b64 v[0:1], off, s32 offset:560 th:TH_LOAD_LU
	s_wait_loadcnt 0x0
	v_pk_mul_f32 v[0:1], v[82:83], v[0:1] op_sel_hi:[0,1]
	s_clause 0x2
	scratch_store_b64 off, v[6:7], s32 offset:916
	scratch_store_b64 off, v[0:1], s32 offset:560
	scratch_load_b64 v[0:1], off, s32 offset:552 th:TH_LOAD_LU
	s_wait_loadcnt 0x0
	v_pk_mul_f32 v[100:101], v[82:83], v[0:1] op_sel_hi:[0,1]
	scratch_load_b64 v[0:1], off, s32 offset:544 th:TH_LOAD_LU ; 8-byte Folded Reload
	s_wait_loadcnt 0x0
	v_pk_mul_f32 v[80:81], v[82:83], v[0:1] op_sel_hi:[0,1]
	scratch_load_b64 v[0:1], off, s32 offset:568 th:TH_LOAD_LU ; 8-byte Folded Reload
	s_wait_loadcnt 0x0
	v_pk_mul_f32 v[0:1], v[82:83], v[0:1] op_sel_hi:[0,1]
	scratch_store_b64 off, v[8:9], s32 offset:892 ; 8-byte Folded Spill
	s_wait_xcnt 0x0
	v_pk_mul_f32 v[8:9], v[82:83], v[22:23] op_sel_hi:[0,1]
	s_clause 0x2
	scratch_store_b64 off, v[0:1], s32 offset:544
	scratch_load_b64 v[0:1], off, s32 offset:528 th:TH_LOAD_LU
	scratch_store_b64 off, v[8:9], s32 offset:964
	s_wait_xcnt 0x0
	v_pk_mul_f32 v[8:9], v[82:83], v[54:55] op_sel_hi:[0,1]
	s_wait_loadcnt 0x0
	v_pk_mul_f32 v[116:117], v[82:83], v[0:1] op_sel_hi:[0,1]
	scratch_load_b64 v[0:1], off, s32 offset:520 th:TH_LOAD_LU ; 8-byte Folded Reload
	s_wait_loadcnt 0x0
	v_pk_mul_f32 v[86:87], v[82:83], v[0:1] op_sel_hi:[0,1]
	scratch_load_b64 v[0:1], off, s32 offset:512 th:TH_LOAD_LU ; 8-byte Folded Reload
	;; [unrolled: 3-line block ×3, first 2 shown]
	s_wait_loadcnt 0x0
	v_pk_mul_f32 v[0:1], v[82:83], v[0:1] op_sel_hi:[0,1]
	scratch_store_b64 off, v[8:9], s32 offset:828 ; 8-byte Folded Spill
	s_wait_xcnt 0x0
	v_pk_mul_f32 v[8:9], v[82:83], v[10:11] op_sel_hi:[0,1]
	s_clause 0x2
	scratch_store_b64 off, v[0:1], s32 offset:512
	scratch_load_b32 v0, off, s32 offset:708 th:TH_LOAD_LU
	scratch_store_b64 off, v[8:9], s32 offset:860
	s_wait_loadcnt 0x0
	v_fma_mixlo_bf16 v57, v82, v0, 0
	scratch_load_b32 v0, off, s32 offset:704 th:TH_LOAD_LU ; 4-byte Folded Reload
	s_wait_loadcnt 0x0
	v_fma_mixlo_bf16 v24, v82, v0, 0
	scratch_load_b32 v0, off, s32 offset:700 th:TH_LOAD_LU ; 4-byte Folded Reload
	;; [unrolled: 3-line block ×6, first 2 shown]
	s_wait_loadcnt 0x0
	v_fma_mixlo_bf16 v0, v82, v0, 0
	s_clause 0x2
	scratch_store_b64 off, v[18:19], s32 offset:844
	scratch_store_b32 off, v0, s32 offset:520
	scratch_load_b32 v0, off, s32 offset:756 th:TH_LOAD_LU
	s_wait_loadcnt 0x0
	v_fma_mixlo_bf16 v126, v82, v0, 0
	scratch_load_b32 v0, off, s32 offset:680 th:TH_LOAD_LU ; 4-byte Folded Reload
	s_wait_loadcnt 0x0
	v_fma_mixlo_bf16 v43, v82, v0, 0
	scratch_load_b32 v0, off, s32 offset:676 th:TH_LOAD_LU ; 4-byte Folded Reload
	s_wait_loadcnt 0x0
	v_fma_mixlo_bf16 v83, v82, v0, 0
	scratch_load_b32 v0, off, s32 offset:672 th:TH_LOAD_LU ; 4-byte Folded Reload
	v_pk_mul_f32 v[90:91], v[82:83], v[2:3] op_sel_hi:[0,1]
	scratch_load_b64 v[2:3], off, s32 offset:256 th:TH_LOAD_LU ; 8-byte Folded Reload
	v_pk_mul_f32 v[92:93], v[82:83], v[44:45] op_sel_hi:[0,1]
	scratch_load_b64 v[44:45], off, s32 offset:200 th:TH_LOAD_LU ; 8-byte Folded Reload
	v_pk_mul_f32 v[36:37], v[82:83], v[36:37] op_sel_hi:[0,1]
	v_pk_mul_f32 v[52:53], v[82:83], v[52:53] op_sel_hi:[0,1]
	;; [unrolled: 1-line block ×3, first 2 shown]
	s_wait_loadcnt 0x2
	v_fma_mixlo_bf16 v111, v82, v0, 0
	scratch_load_b32 v0, off, s32 offset:668 th:TH_LOAD_LU ; 4-byte Folded Reload
	s_wait_loadcnt 0x2
	v_pk_mul_f32 v[62:63], v[82:83], v[2:3] op_sel_hi:[0,1]
	scratch_load_b64 v[2:3], off, s32 offset:280 th:TH_LOAD_LU ; 8-byte Folded Reload
	s_wait_loadcnt 0x2
	v_pk_mul_f32 v[74:75], v[82:83], v[44:45] op_sel_hi:[0,1]
	s_clause 0x1
	scratch_load_b64 v[44:45], off, s32 offset:192 th:TH_LOAD_LU
	scratch_store_b64 off, v[36:37], s32 offset:192
	s_wait_xcnt 0x0
	v_pk_mul_f32 v[36:37], v[82:83], v[60:61] op_sel_hi:[0,1]
	v_pk_mul_f32 v[60:61], v[82:83], v[72:73] op_sel_hi:[0,1]
	scratch_load_b64 v[72:73], off, s32 offset:1248 ; 8-byte Folded Reload
	s_wait_loadcnt 0x3
	v_fma_mixlo_bf16 v110, v82, v0, 0
	scratch_load_b32 v0, off, s32 offset:664 th:TH_LOAD_LU ; 4-byte Folded Reload
	s_wait_loadcnt 0x3
	v_pk_mul_f32 v[12:13], v[82:83], v[2:3] op_sel_hi:[0,1]
	scratch_load_b64 v[2:3], off, s32 offset:240 th:TH_LOAD_LU ; 8-byte Folded Reload
	s_wait_loadcnt 0x3
	v_pk_mul_f32 v[44:45], v[82:83], v[44:45] op_sel_hi:[0,1]
	s_wait_loadcnt 0x1
	v_fma_mixlo_bf16 v127, v82, v0, 0
	scratch_load_b32 v0, off, s32 offset:684 th:TH_LOAD_LU ; 4-byte Folded Reload
	s_wait_loadcnt 0x1
	v_pk_mul_f32 v[94:95], v[82:83], v[2:3] op_sel_hi:[0,1]
	scratch_load_b64 v[2:3], off, s32 offset:232 th:TH_LOAD_LU ; 8-byte Folded Reload
	s_wait_loadcnt 0x1
	v_fma_mixlo_bf16 v47, v82, v0, 0
	scratch_load_b32 v0, off, s32 offset:752 th:TH_LOAD_LU ; 4-byte Folded Reload
	s_wait_loadcnt 0x1
	v_pk_mul_f32 v[76:77], v[82:83], v[2:3] op_sel_hi:[0,1]
	scratch_load_b64 v[2:3], off, s32 offset:224 th:TH_LOAD_LU ; 8-byte Folded Reload
	s_wait_loadcnt 0x1
	v_fma_mixlo_bf16 v124, v82, v0, 0
	scratch_load_b64 v[0:1], off, s32 offset:496 th:TH_LOAD_LU ; 8-byte Folded Reload
	s_wait_loadcnt 0x1
	v_pk_mul_f32 v[58:59], v[82:83], v[2:3] op_sel_hi:[0,1]
	scratch_load_b64 v[2:3], off, s32 offset:248 th:TH_LOAD_LU ; 8-byte Folded Reload
	s_wait_loadcnt 0x1
	v_pk_mul_f32 v[96:97], v[82:83], v[0:1] op_sel_hi:[0,1]
	;; [unrolled: 3-line block ×3, first 2 shown]
	s_wait_loadcnt 0x0
	v_pk_mul_f32 v[70:71], v[82:83], v[0:1] op_sel_hi:[0,1]
	scratch_load_b64 v[0:1], off, s32 offset:480 th:TH_LOAD_LU ; 8-byte Folded Reload
	s_wait_loadcnt 0x0
	v_pk_mul_f32 v[66:67], v[82:83], v[0:1] op_sel_hi:[0,1]
	scratch_load_b64 v[0:1], off, s32 offset:504 th:TH_LOAD_LU ; 8-byte Folded Reload
	;; [unrolled: 3-line block ×6, first 2 shown]
	v_cvt_pk_bf16_f32 v8, v8, v9
	s_delay_alu instid0(VALU_DEP_1)
	v_and_b32_e32 v9, 0xffff0000, v8
	v_lshlrev_b32_e32 v8, 16, v8
	s_wait_loadcnt 0x0
	v_pk_mul_f32 v[64:65], v[82:83], v[0:1] op_sel_hi:[0,1]
	scratch_load_b64 v[0:1], off, s32 offset:432 th:TH_LOAD_LU ; 8-byte Folded Reload
	s_wait_loadcnt 0x0
	v_pk_mul_f32 v[34:35], v[82:83], v[0:1] op_sel_hi:[0,1]
	scratch_load_b64 v[0:1], off, s32 offset:424 th:TH_LOAD_LU ; 8-byte Folded Reload
	;; [unrolled: 3-line block ×4, first 2 shown]
	v_cvt_pk_bf16_f32 v4, v4, v5
	s_delay_alu instid0(VALU_DEP_1)
	v_and_b32_e32 v5, 0xffff0000, v4
	v_lshlrev_b32_e32 v4, 16, v4
	s_wait_loadcnt 0x0
	v_pk_mul_f32 v[54:55], v[82:83], v[0:1] op_sel_hi:[0,1]
	scratch_load_b64 v[0:1], off, s32 offset:400 th:TH_LOAD_LU ; 8-byte Folded Reload
	s_wait_loadcnt 0x0
	v_pk_mul_f32 v[30:31], v[82:83], v[0:1] op_sel_hi:[0,1]
	scratch_load_b64 v[0:1], off, s32 offset:392 th:TH_LOAD_LU ; 8-byte Folded Reload
	;; [unrolled: 3-line block ×7, first 2 shown]
	v_cvt_pk_bf16_f32 v6, v6, v7
	s_delay_alu instid0(VALU_DEP_1)
	v_and_b32_e32 v7, 0xffff0000, v6
	v_lshlrev_b32_e32 v6, 16, v6
	s_wait_loadcnt 0x0
	v_pk_mul_f32 v[104:105], v[82:83], v[0:1] op_sel_hi:[0,1]
	scratch_load_b64 v[0:1], off, s32 offset:376 th:TH_LOAD_LU ; 8-byte Folded Reload
	s_wait_loadcnt 0x0
	v_pk_mul_f32 v[32:33], v[82:83], v[0:1] op_sel_hi:[0,1]
	scratch_load_b64 v[0:1], off, s32 offset:336 th:TH_LOAD_LU ; 8-byte Folded Reload
	;; [unrolled: 3-line block ×4, first 2 shown]
	v_cvt_pk_bf16_f32 v50, v50, v51
	s_delay_alu instid0(VALU_DEP_1)
	v_and_b32_e32 v51, 0xffff0000, v50
	v_lshlrev_b32_e32 v50, 16, v50
	s_wait_loadcnt 0x0
	v_pk_mul_f32 v[88:89], v[82:83], v[0:1] op_sel_hi:[0,1]
	scratch_load_b64 v[0:1], off, s32 offset:344 th:TH_LOAD_LU ; 8-byte Folded Reload
	s_wait_loadcnt 0x0
	v_pk_mul_f32 v[26:27], v[82:83], v[0:1] op_sel_hi:[0,1]
	scratch_load_b64 v[0:1], off, s32 offset:304 th:TH_LOAD_LU ; 8-byte Folded Reload
	;; [unrolled: 3-line block ×6, first 2 shown]
	s_wait_loadcnt 0x0
	v_pk_mul_f32 v[0:1], v[82:83], v[0:1] op_sel_hi:[0,1]
	v_cvt_pk_bf16_f32 v82, v58, v59
	v_cvt_pk_bf16_f32 v58, v44, v45
	s_delay_alu instid0(VALU_DEP_3) | instskip(NEXT) | instid1(VALU_DEP_3)
	v_cvt_pk_bf16_f32 v0, v0, v1
	v_and_b32_e32 v45, 0xffff0000, v82
	v_lshlrev_b32_e32 v44, 16, v82
	v_cvt_pk_bf16_f32 v82, v62, v63
	scratch_load_b64 v[62:63], off, s32 offset:1256 ; 8-byte Folded Reload
	v_and_b32_e32 v59, 0xffff0000, v58
	v_lshlrev_b32_e32 v58, 16, v58
	v_pk_mul_f32 v[44:45], v[72:73], v[44:45]
	scratch_load_b64 v[72:73], off, s32 offset:1240 ; 8-byte Folded Reload
	v_and_b32_e32 v1, 0xffff0000, v0
	v_lshlrev_b32_e32 v0, 16, v0
	s_wait_loadcnt 0x0
	v_pk_fma_f32 v[44:45], v[72:73], v[58:59], v[44:45]
	v_and_b32_e32 v59, 0xffff0000, v82
	v_lshlrev_b32_e32 v58, 16, v82
	v_cvt_pk_bf16_f32 v82, v78, v79
	s_delay_alu instid0(VALU_DEP_2)
	v_pk_fma_f32 v[44:45], v[62:63], v[58:59], v[44:45]
	scratch_load_b64 v[62:63], off, s32 offset:1264 ; 8-byte Folded Reload
	v_and_b32_e32 v59, 0xffff0000, v82
	v_lshlrev_b32_e32 v58, 16, v82
	v_cvt_pk_bf16_f32 v82, v88, v89
	s_wait_loadcnt 0x0
	s_delay_alu instid0(VALU_DEP_2)
	v_pk_fma_f32 v[44:45], v[62:63], v[58:59], v[44:45]
	scratch_load_b64 v[62:63], off, s32 offset:1376 ; 8-byte Folded Reload
	v_and_b32_e32 v59, 0xffff0000, v82
	v_lshlrev_b32_e32 v58, 16, v82
	v_cvt_pk_bf16_f32 v82, v104, v105
	s_wait_loadcnt 0x0
	;; [unrolled: 7-line block ×4, first 2 shown]
	s_delay_alu instid0(VALU_DEP_2)
	v_pk_fma_f32 v[44:45], v[62:63], v[58:59], v[44:45]
	scratch_load_b64 v[58:59], off, s32 offset:1504 ; 8-byte Folded Reload
	s_wait_loadcnt 0x0
	v_pk_fma_f32 v[4:5], v[58:59], v[4:5], v[44:45]
	s_clause 0x1
	scratch_load_b64 v[44:45], off, s32 offset:1536
	scratch_load_b64 v[58:59], off, s32 offset:1280
	s_wait_loadcnt 0x1
	v_pk_fma_f32 v[4:5], v[44:45], v[8:9], v[4:5]
	v_cvt_pk_bf16_f32 v8, v76, v77
	v_and_b32_e32 v45, 0xffff0000, v82
	v_lshlrev_b32_e32 v44, 16, v82
	v_cvt_pk_bf16_f32 v82, v90, v91
	s_delay_alu instid0(VALU_DEP_4) | instskip(SKIP_2) | instid1(VALU_DEP_1)
	v_and_b32_e32 v9, 0xffff0000, v8
	v_lshlrev_b32_e32 v8, 16, v8
	s_wait_loadcnt 0x0
	v_pk_mul_f32 v[8:9], v[58:59], v[8:9]
	scratch_load_b64 v[58:59], off, s32 offset:1272 ; 8-byte Folded Reload
	s_wait_loadcnt 0x0
	v_pk_fma_f32 v[8:9], v[58:59], v[44:45], v[8:9]
	scratch_load_b64 v[58:59], off, s32 offset:1288 ; 8-byte Folded Reload
	v_and_b32_e32 v45, 0xffff0000, v82
	v_lshlrev_b32_e32 v44, 16, v82
	v_cvt_pk_bf16_f32 v82, v106, v107
	s_wait_loadcnt 0x0
	s_delay_alu instid0(VALU_DEP_2) | instskip(SKIP_4) | instid1(VALU_DEP_1)
	v_pk_fma_f32 v[8:9], v[58:59], v[44:45], v[8:9]
	scratch_load_b64 v[58:59], off, s32 offset:1296 ; 8-byte Folded Reload
	v_and_b32_e32 v45, 0xffff0000, v82
	v_lshlrev_b32_e32 v44, 16, v82
	s_wait_loadcnt 0x0
	v_pk_fma_f32 v[8:9], v[58:59], v[44:45], v[8:9]
	scratch_load_b64 v[44:45], off, s32 offset:1384 ; 8-byte Folded Reload
	s_wait_loadcnt 0x0
	v_pk_fma_f32 v[8:9], v[44:45], v[50:51], v[8:9]
	scratch_load_b64 v[50:51], off, s32 offset:1448 ; 8-byte Folded Reload
	s_wait_loadcnt 0x0
	v_pk_fma_f32 v[6:7], v[50:51], v[6:7], v[8:9]
	v_cvt_pk_bf16_f32 v8, v14, v15
	scratch_load_b64 v[14:15], off, s32 offset:1480 ; 8-byte Folded Reload
	v_and_b32_e32 v9, 0xffff0000, v8
	v_lshlrev_b32_e32 v8, 16, v8
	s_wait_loadcnt 0x0
	s_delay_alu instid0(VALU_DEP_1)
	v_pk_fma_f32 v[6:7], v[14:15], v[8:9], v[6:7]
	scratch_load_b64 v[14:15], off, s32 offset:1512 ; 8-byte Folded Reload
	v_cvt_pk_bf16_f32 v8, v20, v21
	scratch_load_b64 v[20:21], off, s32 offset:1312 ; 8-byte Folded Reload
	v_and_b32_e32 v9, 0xffff0000, v8
	v_lshlrev_b32_e32 v8, 16, v8
	s_wait_loadcnt 0x1
	s_delay_alu instid0(VALU_DEP_1) | instskip(SKIP_2) | instid1(VALU_DEP_1)
	v_pk_fma_f32 v[6:7], v[14:15], v[8:9], v[6:7]
	scratch_load_b64 v[14:15], off, s32 offset:1544 ; 8-byte Folded Reload
	v_cvt_pk_bf16_f32 v8, v28, v29
	v_and_b32_e32 v9, 0xffff0000, v8
	v_lshlrev_b32_e32 v8, 16, v8
	s_wait_loadcnt 0x0
	s_delay_alu instid0(VALU_DEP_1) | instskip(SKIP_2) | instid1(VALU_DEP_2)
	v_pk_fma_f32 v[8:9], v[14:15], v[8:9], v[6:7]
	v_cvt_pk_bf16_f32 v6, v94, v95
	v_cvt_pk_bf16_f32 v14, v92, v93
	v_and_b32_e32 v7, 0xffff0000, v6
	v_lshlrev_b32_e32 v6, 16, v6
	s_delay_alu instid0(VALU_DEP_3) | instskip(SKIP_1) | instid1(VALU_DEP_3)
	v_and_b32_e32 v15, 0xffff0000, v14
	v_lshlrev_b32_e32 v14, 16, v14
	v_pk_mul_f32 v[6:7], v[20:21], v[6:7]
	scratch_load_b64 v[20:21], off, s32 offset:1304 ; 8-byte Folded Reload
	s_wait_loadcnt 0x0
	v_pk_fma_f32 v[6:7], v[20:21], v[14:15], v[6:7]
	scratch_load_b64 v[14:15], off, s32 offset:1328 ; 8-byte Folded Reload
	s_wait_loadcnt 0x0
	v_pk_fma_f32 v[0:1], v[14:15], v[0:1], v[6:7]
	v_cvt_pk_bf16_f32 v6, v10, v11
	scratch_load_b64 v[10:11], off, s32 offset:1352 ; 8-byte Folded Reload
	v_and_b32_e32 v7, 0xffff0000, v6
	v_lshlrev_b32_e32 v6, 16, v6
	s_wait_loadcnt 0x0
	s_delay_alu instid0(VALU_DEP_1) | instskip(SKIP_2) | instid1(VALU_DEP_1)
	v_pk_fma_f32 v[0:1], v[10:11], v[6:7], v[0:1]
	scratch_load_b64 v[10:11], off, s32 offset:1392 ; 8-byte Folded Reload
	v_cvt_pk_bf16_f32 v6, v16, v17
	v_and_b32_e32 v7, 0xffff0000, v6
	v_lshlrev_b32_e32 v6, 16, v6
	s_wait_loadcnt 0x0
	s_delay_alu instid0(VALU_DEP_1) | instskip(SKIP_2) | instid1(VALU_DEP_1)
	v_pk_fma_f32 v[0:1], v[10:11], v[6:7], v[0:1]
	scratch_load_b64 v[10:11], off, s32 offset:1456 ; 8-byte Folded Reload
	v_cvt_pk_bf16_f32 v6, v22, v23
	;; [unrolled: 7-line block ×5, first 2 shown]
	v_and_b32_e32 v7, 0xffff0000, v6
	v_lshlrev_b32_e32 v6, 16, v6
	s_wait_loadcnt 0x0
	s_delay_alu instid0(VALU_DEP_1) | instskip(SKIP_3) | instid1(VALU_DEP_2)
	v_pk_fma_f32 v[10:11], v[10:11], v[6:7], v[0:1]
	scratch_load_b64 v[6:7], off, s32 offset:1336 ; 8-byte Folded Reload
	v_cvt_pk_bf16_f32 v0, v2, v3
	v_cvt_pk_bf16_f32 v2, v120, v121
	v_and_b32_e32 v1, 0xffff0000, v0
	v_lshlrev_b32_e32 v0, 16, v0
	s_delay_alu instid0(VALU_DEP_3) | instskip(SKIP_2) | instid1(VALU_DEP_3)
	v_and_b32_e32 v3, 0xffff0000, v2
	v_lshlrev_b32_e32 v2, 16, v2
	s_wait_loadcnt 0x0
	v_pk_mul_f32 v[0:1], v[6:7], v[0:1]
	scratch_load_b64 v[6:7], off, s32 offset:1320 ; 8-byte Folded Reload
	s_wait_loadcnt 0x0
	v_pk_fma_f32 v[0:1], v[6:7], v[2:3], v[0:1]
	scratch_load_b64 v[6:7], off, s32 offset:1360 ; 8-byte Folded Reload
	v_cvt_pk_bf16_f32 v2, v12, v13
	s_delay_alu instid0(VALU_DEP_1) | instskip(SKIP_2) | instid1(VALU_DEP_1)
	v_and_b32_e32 v3, 0xffff0000, v2
	v_lshlrev_b32_e32 v2, 16, v2
	s_wait_loadcnt 0x0
	v_pk_fma_f32 v[0:1], v[6:7], v[2:3], v[0:1]
	scratch_load_b64 v[6:7], off, s32 offset:1368 ; 8-byte Folded Reload
	v_cvt_pk_bf16_f32 v2, v18, v19
	s_delay_alu instid0(VALU_DEP_1) | instskip(SKIP_2) | instid1(VALU_DEP_1)
	v_and_b32_e32 v3, 0xffff0000, v2
	v_lshlrev_b32_e32 v2, 16, v2
	;; [unrolled: 7-line block ×8, first 2 shown]
	s_wait_loadcnt 0x0
	v_pk_fma_f32 v[2:3], v[6:7], v[2:3], v[4:5]
	scratch_load_b64 v[6:7], off, s32 offset:1600 ; 8-byte Folded Reload
	v_dual_lshlrev_b32 v4, 16, v46 :: v_dual_lshlrev_b32 v5, 16, v127
	s_wait_loadcnt 0x0
	s_delay_alu instid0(VALU_DEP_1) | instskip(SKIP_3) | instid1(VALU_DEP_1)
	v_pk_fma_f32 v[2:3], v[4:5], v[6:7], v[2:3]
	scratch_load_b64 v[6:7], off, s32 offset:1632 ; 8-byte Folded Reload
	v_dual_lshlrev_b32 v5, 16, v125 :: v_dual_lshlrev_b32 v4, 16, v56
	s_wait_loadcnt 0x0
	v_pk_fma_f32 v[2:3], v[6:7], v[4:5], v[2:3]
	scratch_load_b64 v[6:7], off, s32 offset:1664 ; 8-byte Folded Reload
	v_cvt_pk_bf16_f32 v4, v68, v69
	s_delay_alu instid0(VALU_DEP_1) | instskip(SKIP_2) | instid1(VALU_DEP_1)
	v_and_b32_e32 v5, 0xffff0000, v4
	v_lshlrev_b32_e32 v4, 16, v4
	s_wait_loadcnt 0x0
	v_pk_fma_f32 v[2:3], v[6:7], v[4:5], v[2:3]
	scratch_load_b64 v[6:7], off, s32 offset:1696 ; 8-byte Folded Reload
	v_cvt_pk_bf16_f32 v4, v80, v81
	s_delay_alu instid0(VALU_DEP_1) | instskip(SKIP_2) | instid1(VALU_DEP_1)
	v_and_b32_e32 v5, 0xffff0000, v4
	v_lshlrev_b32_e32 v4, 16, v4
	;; [unrolled: 7-line block ×7, first 2 shown]
	s_wait_loadcnt 0x0
	v_pk_fma_f32 v[2:3], v[6:7], v[4:5], v[2:3]
	s_clause 0x1
	scratch_load_b64 v[4:5], off, s32 offset:1200 th:TH_LOAD_LU
	scratch_load_b64 v[6:7], off, s32 offset:1888
	s_wait_loadcnt 0x1
	v_cvt_pk_bf16_f32 v4, v4, v5
	s_delay_alu instid0(VALU_DEP_1) | instskip(SKIP_2) | instid1(VALU_DEP_1)
	v_and_b32_e32 v5, 0xffff0000, v4
	v_lshlrev_b32_e32 v4, 16, v4
	s_wait_loadcnt 0x0
	v_pk_fma_f32 v[6:7], v[6:7], v[4:5], v[2:3]
	scratch_load_b64 v[4:5], off, s32 offset:1576 ; 8-byte Folded Reload
	v_cvt_pk_bf16_f32 v2, v70, v71
	s_delay_alu instid0(VALU_DEP_1) | instskip(SKIP_2) | instid1(VALU_DEP_1)
	v_and_b32_e32 v3, 0xffff0000, v2
	v_lshlrev_b32_e32 v2, 16, v2
	s_wait_loadcnt 0x0
	v_pk_fma_f32 v[2:3], v[4:5], v[2:3], v[8:9]
	scratch_load_b64 v[8:9], off, s32 offset:1608 ; 8-byte Folded Reload
	v_dual_lshlrev_b32 v4, 16, v110 :: v_dual_lshlrev_b32 v5, 16, v111
	s_wait_loadcnt 0x0
	s_delay_alu instid0(VALU_DEP_1) | instskip(SKIP_3) | instid1(VALU_DEP_1)
	v_pk_fma_f32 v[2:3], v[4:5], v[8:9], v[2:3]
	scratch_load_b64 v[8:9], off, s32 offset:1640 ; 8-byte Folded Reload
	v_dual_lshlrev_b32 v5, 16, v123 :: v_dual_lshlrev_b32 v4, 16, v122
	s_wait_loadcnt 0x0
	v_pk_fma_f32 v[2:3], v[8:9], v[4:5], v[2:3]
	scratch_load_b64 v[8:9], off, s32 offset:1672 ; 8-byte Folded Reload
	v_cvt_pk_bf16_f32 v4, v86, v87
	s_delay_alu instid0(VALU_DEP_1) | instskip(SKIP_2) | instid1(VALU_DEP_1)
	v_and_b32_e32 v5, 0xffff0000, v4
	v_lshlrev_b32_e32 v4, 16, v4
	s_wait_loadcnt 0x0
	v_pk_fma_f32 v[2:3], v[8:9], v[4:5], v[2:3]
	scratch_load_b64 v[8:9], off, s32 offset:1704 ; 8-byte Folded Reload
	v_cvt_pk_bf16_f32 v4, v100, v101
	s_delay_alu instid0(VALU_DEP_1) | instskip(SKIP_2) | instid1(VALU_DEP_1)
	v_and_b32_e32 v5, 0xffff0000, v4
	v_lshlrev_b32_e32 v4, 16, v4
	;; [unrolled: 7-line block ×3, first 2 shown]
	s_wait_loadcnt 0x0
	v_pk_fma_f32 v[2:3], v[8:9], v[4:5], v[2:3]
	s_clause 0x1
	scratch_load_b64 v[4:5], off, s32 offset:1216 th:TH_LOAD_LU
	scratch_load_b64 v[8:9], off, s32 offset:1768
	s_wait_loadcnt 0x1
	v_cvt_pk_bf16_f32 v4, v4, v5
	s_delay_alu instid0(VALU_DEP_1) | instskip(SKIP_2) | instid1(VALU_DEP_1)
	v_and_b32_e32 v5, 0xffff0000, v4
	v_lshlrev_b32_e32 v4, 16, v4
	s_wait_loadcnt 0x0
	v_pk_fma_f32 v[2:3], v[8:9], v[4:5], v[2:3]
	s_clause 0x1
	scratch_load_b64 v[4:5], off, s32 offset:1208 th:TH_LOAD_LU
	scratch_load_b64 v[8:9], off, s32 offset:1800
	s_wait_loadcnt 0x1
	v_cvt_pk_bf16_f32 v4, v4, v5
	s_delay_alu instid0(VALU_DEP_1) | instskip(SKIP_2) | instid1(VALU_DEP_1)
	v_and_b32_e32 v5, 0xffff0000, v4
	v_lshlrev_b32_e32 v4, 16, v4
	;; [unrolled: 10-line block ×5, first 2 shown]
	s_wait_loadcnt 0x0
	v_pk_fma_f32 v[4:5], v[8:9], v[4:5], v[2:3]
	scratch_load_b64 v[8:9], off, s32 offset:1584 ; 8-byte Folded Reload
	v_cvt_pk_bf16_f32 v2, v96, v97
	s_delay_alu instid0(VALU_DEP_1) | instskip(SKIP_2) | instid1(VALU_DEP_1)
	v_and_b32_e32 v3, 0xffff0000, v2
	v_lshlrev_b32_e32 v2, 16, v2
	s_wait_loadcnt 0x0
	v_pk_fma_f32 v[2:3], v[8:9], v[2:3], v[10:11]
	scratch_load_b64 v[10:11], off, s32 offset:1616 ; 8-byte Folded Reload
	v_lshlrev_b32_e32 v8, 16, v83
	v_lshlrev_b32_e32 v9, 16, v43
	s_wait_loadcnt 0x0
	s_delay_alu instid0(VALU_DEP_1) | instskip(SKIP_3) | instid1(VALU_DEP_1)
	v_pk_fma_f32 v[2:3], v[8:9], v[10:11], v[2:3]
	scratch_load_b64 v[10:11], off, s32 offset:1648 ; 8-byte Folded Reload
	v_dual_lshlrev_b32 v9, 16, v57 :: v_dual_lshlrev_b32 v8, 16, v24
	s_wait_loadcnt 0x0
	v_pk_fma_f32 v[2:3], v[10:11], v[8:9], v[2:3]
	scratch_load_b64 v[10:11], off, s32 offset:1680 ; 8-byte Folded Reload
	v_cvt_pk_bf16_f32 v8, v116, v117
	s_delay_alu instid0(VALU_DEP_1) | instskip(SKIP_2) | instid1(VALU_DEP_1)
	v_and_b32_e32 v9, 0xffff0000, v8
	v_lshlrev_b32_e32 v8, 16, v8
	s_wait_loadcnt 0x0
	v_pk_fma_f32 v[2:3], v[10:11], v[8:9], v[2:3]
	s_clause 0x1
	scratch_load_b64 v[8:9], off, s32 offset:560 th:TH_LOAD_LU
	scratch_load_b64 v[10:11], off, s32 offset:1712
	s_wait_loadcnt 0x1
	v_cvt_pk_bf16_f32 v8, v8, v9
	s_delay_alu instid0(VALU_DEP_1) | instskip(SKIP_2) | instid1(VALU_DEP_1)
	v_and_b32_e32 v9, 0xffff0000, v8
	v_lshlrev_b32_e32 v8, 16, v8
	s_wait_loadcnt 0x0
	v_pk_fma_f32 v[2:3], v[10:11], v[8:9], v[2:3]
	s_clause 0x1
	scratch_load_b64 v[8:9], off, s32 offset:592 th:TH_LOAD_LU
	scratch_load_b64 v[10:11], off, s32 offset:1744
	s_wait_loadcnt 0x1
	;; [unrolled: 10-line block ×7, first 2 shown]
	v_cvt_pk_bf16_f32 v8, v8, v9
	s_delay_alu instid0(VALU_DEP_1) | instskip(SKIP_2) | instid1(VALU_DEP_1)
	v_and_b32_e32 v9, 0xffff0000, v8
	v_lshlrev_b32_e32 v8, 16, v8
	s_wait_loadcnt 0x0
	v_pk_fma_f32 v[2:3], v[10:11], v[8:9], v[2:3]
	scratch_load_b64 v[10:11], off, s32 offset:1592 ; 8-byte Folded Reload
	v_cvt_pk_bf16_f32 v8, v112, v113
	s_delay_alu instid0(VALU_DEP_1) | instskip(SKIP_2) | instid1(VALU_DEP_1)
	v_and_b32_e32 v9, 0xffff0000, v8
	v_lshlrev_b32_e32 v8, 16, v8
	s_wait_loadcnt 0x0
	v_pk_fma_f32 v[0:1], v[10:11], v[8:9], v[0:1]
	scratch_load_b64 v[10:11], off, s32 offset:1624 ; 8-byte Folded Reload
	v_dual_lshlrev_b32 v8, 16, v47 :: v_dual_lshlrev_b32 v9, 16, v124
	s_wait_loadcnt 0x0
	s_delay_alu instid0(VALU_DEP_1)
	v_pk_fma_f32 v[0:1], v[8:9], v[10:11], v[0:1]
	s_clause 0x1
	scratch_load_b32 v8, off, s32 offset:520 th:TH_LOAD_LU
	scratch_load_b64 v[10:11], off, s32 offset:1656
	s_wait_loadcnt 0x1
	v_dual_lshlrev_b32 v9, 16, v126 :: v_dual_lshlrev_b32 v8, 16, v8
	s_wait_loadcnt 0x0
	s_delay_alu instid0(VALU_DEP_1)
	v_pk_fma_f32 v[0:1], v[10:11], v[8:9], v[0:1]
	s_clause 0x1
	scratch_load_b64 v[8:9], off, s32 offset:512 th:TH_LOAD_LU
	scratch_load_b64 v[10:11], off, s32 offset:1688
	s_wait_loadcnt 0x1
	v_cvt_pk_bf16_f32 v8, v8, v9
	s_delay_alu instid0(VALU_DEP_1) | instskip(SKIP_2) | instid1(VALU_DEP_1)
	v_and_b32_e32 v9, 0xffff0000, v8
	v_lshlrev_b32_e32 v8, 16, v8
	s_wait_loadcnt 0x0
	v_pk_fma_f32 v[0:1], v[10:11], v[8:9], v[0:1]
	s_clause 0x1
	scratch_load_b64 v[8:9], off, s32 offset:544 th:TH_LOAD_LU
	scratch_load_b64 v[10:11], off, s32 offset:1720
	s_wait_loadcnt 0x1
	v_cvt_pk_bf16_f32 v8, v8, v9
	s_delay_alu instid0(VALU_DEP_1) | instskip(SKIP_2) | instid1(VALU_DEP_1)
	v_and_b32_e32 v9, 0xffff0000, v8
	v_lshlrev_b32_e32 v8, 16, v8
	s_wait_loadcnt 0x0
	;; [unrolled: 10-line block ×9, first 2 shown]
	v_pk_fma_f32 v[6:7], v[10:11], v[8:9], v[6:7]
	s_clause 0x2
	scratch_load_b32 v8, off, s32 offset:1100 th:TH_LOAD_LU
	scratch_load_b64 v[10:11], off, s32 offset:1952
	scratch_load_b32 v9, off, s32 offset:1096 th:TH_LOAD_LU
	s_wait_loadcnt 0x0
	v_dual_lshlrev_b32 v8, 16, v8 :: v_dual_lshlrev_b32 v9, 16, v9
	s_delay_alu instid0(VALU_DEP_1)
	v_pk_fma_f32 v[6:7], v[8:9], v[10:11], v[6:7]
	s_clause 0x1
	scratch_load_b32 v8, off, s32 offset:1088 th:TH_LOAD_LU
	scratch_load_b64 v[10:11], off, s32 offset:2000
	s_wait_loadcnt 0x1
	v_lshlrev_b32_e32 v9, 16, v8
	scratch_load_b32 v8, off, s32 offset:1092 th:TH_LOAD_LU ; 4-byte Folded Reload
	s_wait_loadcnt 0x0
	v_lshlrev_b32_e32 v8, 16, v8
	s_delay_alu instid0(VALU_DEP_1)
	v_pk_fma_f32 v[6:7], v[10:11], v[8:9], v[6:7]
	s_clause 0x1
	scratch_load_b64 v[8:9], off, s32 offset:1080 th:TH_LOAD_LU
	scratch_load_b64 v[10:11], off, s32 offset:2032
	s_wait_loadcnt 0x1
	v_cvt_pk_bf16_f32 v8, v8, v9
	s_delay_alu instid0(VALU_DEP_1) | instskip(SKIP_2) | instid1(VALU_DEP_1)
	v_and_b32_e32 v9, 0xffff0000, v8
	v_lshlrev_b32_e32 v8, 16, v8
	s_wait_loadcnt 0x0
	v_pk_fma_f32 v[6:7], v[10:11], v[8:9], v[6:7]
	s_clause 0x1
	scratch_load_b64 v[8:9], off, s32 offset:1072 th:TH_LOAD_LU
	scratch_load_b64 v[10:11], off, s32 offset:2048
	s_wait_loadcnt 0x1
	v_cvt_pk_bf16_f32 v8, v8, v9
	s_delay_alu instid0(VALU_DEP_1) | instskip(SKIP_2) | instid1(VALU_DEP_1)
	v_and_b32_e32 v9, 0xffff0000, v8
	v_lshlrev_b32_e32 v8, 16, v8
	s_wait_loadcnt 0x0
	;; [unrolled: 10-line block ×8, first 2 shown]
	v_pk_fma_f32 v[6:7], v[10:11], v[8:9], v[6:7]
	scratch_load_b64 v[10:11], off, s32 offset:2272 ; 8-byte Folded Reload
	v_cvt_pk_bf16_f32 v8, v36, v37
	s_delay_alu instid0(VALU_DEP_1) | instskip(SKIP_2) | instid1(VALU_DEP_1)
	v_and_b32_e32 v9, 0xffff0000, v8
	v_lshlrev_b32_e32 v8, 16, v8
	s_wait_loadcnt 0x0
	v_pk_fma_f32 v[6:7], v[10:11], v[8:9], v[6:7]
	s_clause 0x1
	scratch_load_b64 v[8:9], off, s32 offset:776 th:TH_LOAD_LU
	scratch_load_b64 v[10:11], off, s32 offset:1928
	v_add_f32_e32 v6, v6, v7
	s_wait_loadcnt 0x1
	v_cvt_pk_bf16_f32 v8, v8, v9
	s_delay_alu instid0(VALU_DEP_1) | instskip(SKIP_2) | instid1(VALU_DEP_1)
	v_and_b32_e32 v9, 0xffff0000, v8
	v_lshlrev_b32_e32 v8, 16, v8
	s_wait_loadcnt 0x0
	v_pk_fma_f32 v[4:5], v[10:11], v[8:9], v[4:5]
	s_clause 0x2
	scratch_load_b32 v8, off, s32 offset:772 th:TH_LOAD_LU
	scratch_load_b64 v[10:11], off, s32 offset:1960
	scratch_load_b32 v9, off, s32 offset:768 th:TH_LOAD_LU
	s_wait_loadcnt 0x0
	v_dual_lshlrev_b32 v8, 16, v8 :: v_dual_lshlrev_b32 v9, 16, v9
	s_delay_alu instid0(VALU_DEP_1)
	v_pk_fma_f32 v[4:5], v[8:9], v[10:11], v[4:5]
	s_clause 0x1
	scratch_load_b32 v8, off, s32 offset:1068 th:TH_LOAD_LU
	scratch_load_b64 v[10:11], off, s32 offset:2008
	s_wait_loadcnt 0x1
	v_lshlrev_b32_e32 v9, 16, v8
	scratch_load_b32 v8, off, s32 offset:792 th:TH_LOAD_LU ; 4-byte Folded Reload
	s_wait_loadcnt 0x0
	v_lshlrev_b32_e32 v8, 16, v8
	s_delay_alu instid0(VALU_DEP_1)
	v_pk_fma_f32 v[4:5], v[10:11], v[8:9], v[4:5]
	s_clause 0x1
	scratch_load_b64 v[8:9], off, s32 offset:1052 th:TH_LOAD_LU
	scratch_load_b64 v[10:11], off, s32 offset:2040
	s_wait_loadcnt 0x1
	v_cvt_pk_bf16_f32 v8, v8, v9
	s_delay_alu instid0(VALU_DEP_1) | instskip(SKIP_2) | instid1(VALU_DEP_1)
	v_and_b32_e32 v9, 0xffff0000, v8
	v_lshlrev_b32_e32 v8, 16, v8
	s_wait_loadcnt 0x0
	v_pk_fma_f32 v[4:5], v[10:11], v[8:9], v[4:5]
	s_clause 0x1
	scratch_load_b64 v[8:9], off, s32 offset:1036 th:TH_LOAD_LU
	scratch_load_b64 v[10:11], off, s32 offset:2056
	s_wait_loadcnt 0x1
	v_cvt_pk_bf16_f32 v8, v8, v9
	s_delay_alu instid0(VALU_DEP_1) | instskip(SKIP_2) | instid1(VALU_DEP_1)
	v_and_b32_e32 v9, 0xffff0000, v8
	v_lshlrev_b32_e32 v8, 16, v8
	s_wait_loadcnt 0x0
	;; [unrolled: 10-line block ×8, first 2 shown]
	v_pk_fma_f32 v[4:5], v[10:11], v[8:9], v[4:5]
	scratch_load_b64 v[10:11], off, s32 offset:2280 ; 8-byte Folded Reload
	v_cvt_pk_bf16_f32 v8, v52, v53
	s_delay_alu instid0(VALU_DEP_1) | instskip(SKIP_2) | instid1(VALU_DEP_1)
	v_and_b32_e32 v9, 0xffff0000, v8
	v_lshlrev_b32_e32 v8, 16, v8
	s_wait_loadcnt 0x0
	v_pk_fma_f32 v[4:5], v[10:11], v[8:9], v[4:5]
	s_clause 0x1
	scratch_load_b64 v[8:9], off, s32 offset:760 th:TH_LOAD_LU
	scratch_load_b64 v[10:11], off, s32 offset:1936
	v_add_f32_e32 v4, v6, v4
	s_delay_alu instid0(VALU_DEP_1) | instskip(SKIP_1) | instid1(VALU_DEP_1)
	v_add_f32_e32 v6, v5, v4
	v_cvt_pk_bf16_f32 v4, v60, v61
	v_and_b32_e32 v5, 0xffff0000, v4
	v_lshlrev_b32_e32 v4, 16, v4
	s_wait_loadcnt 0x1
	v_cvt_pk_bf16_f32 v8, v8, v9
	s_delay_alu instid0(VALU_DEP_1) | instskip(SKIP_2) | instid1(VALU_DEP_1)
	v_and_b32_e32 v9, 0xffff0000, v8
	v_lshlrev_b32_e32 v8, 16, v8
	s_wait_loadcnt 0x0
	v_pk_fma_f32 v[2:3], v[10:11], v[8:9], v[2:3]
	s_clause 0x2
	scratch_load_b32 v8, off, s32 offset:744 th:TH_LOAD_LU
	scratch_load_b64 v[10:11], off, s32 offset:1968
	scratch_load_b32 v9, off, s32 offset:732 th:TH_LOAD_LU
	s_wait_loadcnt 0x0
	v_dual_lshlrev_b32 v8, 16, v8 :: v_dual_lshlrev_b32 v9, 16, v9
	s_delay_alu instid0(VALU_DEP_1)
	v_pk_fma_f32 v[2:3], v[8:9], v[10:11], v[2:3]
	s_clause 0x1
	scratch_load_b32 v8, off, s32 offset:748 th:TH_LOAD_LU
	scratch_load_b64 v[10:11], off, s32 offset:1984
	s_wait_loadcnt 0x1
	v_lshlrev_b32_e32 v9, 16, v8
	scratch_load_b32 v8, off, s32 offset:796 th:TH_LOAD_LU ; 4-byte Folded Reload
	s_wait_loadcnt 0x0
	v_lshlrev_b32_e32 v8, 16, v8
	s_delay_alu instid0(VALU_DEP_1)
	v_pk_fma_f32 v[2:3], v[10:11], v[8:9], v[2:3]
	s_clause 0x1
	scratch_load_b64 v[8:9], off, s32 offset:1004 th:TH_LOAD_LU
	scratch_load_b64 v[10:11], off, s32 offset:2016
	s_wait_loadcnt 0x1
	v_cvt_pk_bf16_f32 v8, v8, v9
	s_delay_alu instid0(VALU_DEP_1) | instskip(SKIP_2) | instid1(VALU_DEP_1)
	v_and_b32_e32 v9, 0xffff0000, v8
	v_lshlrev_b32_e32 v8, 16, v8
	s_wait_loadcnt 0x0
	v_pk_fma_f32 v[2:3], v[10:11], v[8:9], v[2:3]
	s_clause 0x1
	scratch_load_b64 v[8:9], off, s32 offset:980 th:TH_LOAD_LU
	scratch_load_b64 v[10:11], off, s32 offset:2064
	s_wait_loadcnt 0x1
	v_cvt_pk_bf16_f32 v8, v8, v9
	s_delay_alu instid0(VALU_DEP_1) | instskip(SKIP_2) | instid1(VALU_DEP_1)
	v_and_b32_e32 v9, 0xffff0000, v8
	v_lshlrev_b32_e32 v8, 16, v8
	s_wait_loadcnt 0x0
	;; [unrolled: 10-line block ×9, first 2 shown]
	v_pk_fma_f32 v[2:3], v[10:11], v[8:9], v[2:3]
	s_clause 0x1
	scratch_load_b64 v[8:9], off, s32 offset:724 th:TH_LOAD_LU
	scratch_load_b64 v[10:11], off, s32 offset:1944
	v_add_f32_e32 v2, v2, v6
	s_delay_alu instid0(VALU_DEP_1) | instskip(SKIP_2) | instid1(VALU_DEP_1)
	v_add_f32_e32 v2, v3, v2
	s_wait_loadcnt 0x1
	v_cvt_pk_bf16_f32 v8, v8, v9
	v_and_b32_e32 v9, 0xffff0000, v8
	v_lshlrev_b32_e32 v8, 16, v8
	s_wait_loadcnt 0x0
	s_delay_alu instid0(VALU_DEP_1)
	v_pk_fma_f32 v[0:1], v[10:11], v[8:9], v[0:1]
	s_clause 0x2
	scratch_load_b32 v8, off, s32 offset:716 th:TH_LOAD_LU
	scratch_load_b32 v9, off, s32 offset:720 th:TH_LOAD_LU
	scratch_load_b64 v[10:11], off, s32 offset:1976
	s_wait_loadcnt 0x1
	v_dual_lshlrev_b32 v8, 16, v8 :: v_dual_lshlrev_b32 v9, 16, v9
	s_wait_loadcnt 0x0
	s_delay_alu instid0(VALU_DEP_1)
	v_pk_fma_f32 v[0:1], v[8:9], v[10:11], v[0:1]
	s_clause 0x1
	scratch_load_b32 v8, off, s32 offset:740 th:TH_LOAD_LU
	scratch_load_b64 v[10:11], off, s32 offset:1992
	s_wait_loadcnt 0x1
	v_lshlrev_b32_e32 v9, 16, v8
	scratch_load_b32 v8, off, s32 offset:736 th:TH_LOAD_LU ; 4-byte Folded Reload
	s_wait_loadcnt 0x0
	v_lshlrev_b32_e32 v8, 16, v8
	s_delay_alu instid0(VALU_DEP_1)
	v_pk_fma_f32 v[0:1], v[10:11], v[8:9], v[0:1]
	s_clause 0x1
	scratch_load_b64 v[8:9], off, s32 offset:956 th:TH_LOAD_LU
	scratch_load_b64 v[10:11], off, s32 offset:2024
	s_wait_loadcnt 0x1
	v_cvt_pk_bf16_f32 v8, v8, v9
	s_delay_alu instid0(VALU_DEP_1) | instskip(SKIP_2) | instid1(VALU_DEP_1)
	v_and_b32_e32 v9, 0xffff0000, v8
	v_lshlrev_b32_e32 v8, 16, v8
	s_wait_loadcnt 0x0
	v_pk_fma_f32 v[0:1], v[10:11], v[8:9], v[0:1]
	s_clause 0x1
	scratch_load_b64 v[8:9], off, s32 offset:932 th:TH_LOAD_LU
	scratch_load_b64 v[10:11], off, s32 offset:2072
	s_wait_loadcnt 0x1
	v_cvt_pk_bf16_f32 v8, v8, v9
	s_delay_alu instid0(VALU_DEP_1) | instskip(SKIP_2) | instid1(VALU_DEP_1)
	v_and_b32_e32 v9, 0xffff0000, v8
	v_lshlrev_b32_e32 v8, 16, v8
	s_wait_loadcnt 0x0
	;; [unrolled: 10-line block ×8, first 2 shown]
	v_pk_fma_f32 v[0:1], v[10:11], v[8:9], v[0:1]
	scratch_load_b64 v[8:9], off, s32 offset:2296 ; 8-byte Folded Reload
	s_wait_loadcnt 0x0
	v_pk_fma_f32 v[0:1], v[8:9], v[4:5], v[0:1]
	s_delay_alu instid0(VALU_DEP_1) | instskip(NEXT) | instid1(VALU_DEP_1)
	v_add_f32_e32 v0, v0, v2
	v_add_f32_e32 v0, v1, v0
	s_clause 0x4
	scratch_load_b32 v1, off, s32 offset:2312
	scratch_load_b64 v[8:9], off, s32 offset:820
	scratch_load_b32 v2, off, s32 offset:1224
	scratch_load_b32 v5, off, s32 offset:816
	scratch_load_b32 v7, off, s32 offset:812 th:TH_LOAD_LU
	s_load_b32 s16, s[6:7], 0x0
	s_wait_loadcnt 0x3
	v_add_nc_u32_e32 v1, v1, v8
	s_delay_alu instid0(VALU_DEP_1) | instskip(SKIP_1) | instid1(VALU_DEP_1)
	v_cvt_f32_i32_e32 v1, v1
	s_wait_loadcnt 0x2
	v_mul_f32_e32 v1, v2, v1
	scratch_load_b32 v2, off, s32 offset:1236 ; 4-byte Folded Reload
	v_cndmask_b32_e32 v1, 0, v1, vcc_lo
	s_wait_loadcnt 0x0
	s_delay_alu instid0(VALU_DEP_1) | instskip(SKIP_3) | instid1(VALU_DEP_1)
	v_fmac_f32_e32 v1, v2, v0
	scratch_load_b32 v0, off, s32 offset:1432 ; 4-byte Folded Reload
	s_wait_loadcnt 0x0
	v_add_nc_u32_e32 v0, v0, v8
	v_cmp_lt_i32_e64 s1, v0, v42
	s_wait_kmcnt 0x0
	v_add_nc_u32_e32 v0, s16, v5
	s_delay_alu instid0(VALU_DEP_2) | instskip(SKIP_2) | instid1(VALU_DEP_1)
	v_cndmask_b32_e64 v2, 0, v1, s1
	ds_store_b32 v0, v2
	v_max_num_f32_e32 v0, v7, v7
	v_max_num_f32_e32 v0, v0, v1
	s_delay_alu instid0(VALU_DEP_1)
	v_cndmask_b32_e64 v7, v7, v0, s1
.LBB357_14:                             ;   in Loop: Header=BB357_15 Depth=1
	s_wait_xcnt 0x0
	s_or_b32 exec_lo, exec_lo, s2
	s_clause 0x1
	scratch_load_b32 v2, off, s32 offset:660
	scratch_load_b32 v0, off, s32 offset:608
	v_add_nc_u32_e32 v8, 0x80, v8
	v_add_nc_u32_e32 v5, 0x200, v5
	s_wait_loadcnt 0x1
	v_add_nc_u32_e32 v2, 4, v2
	s_wait_loadcnt 0x0
	s_delay_alu instid0(VALU_DEP_1)
	v_cmp_ge_i32_e64 s1, v2, v0
	scratch_load_b64 v[0:1], off, s32 offset:612 ; 8-byte Folded Reload
	s_or_b32 s15, s1, s15
	s_wait_loadcnt 0x0
	v_add_nc_u64_e32 v[0:1], 16, v[0:1]
	scratch_store_b64 off, v[0:1], s32 offset:612 ; 8-byte Folded Spill
	s_wait_xcnt 0x0
	s_and_not1_b32 exec_lo, exec_lo, s15
	s_cbranch_execz .LBB357_2063
.LBB357_15:                             ; =>This Inner Loop Header: Depth=1
	s_clause 0x1
	scratch_load_b64 v[0:1], off, s32 offset:640
	scratch_load_b32 v4, off, s32 offset:636
	v_mov_b32_e32 v9, v25
	scratch_store_b32 off, v2, s32 offset:660 ; 4-byte Folded Spill
	s_wait_loadcnt 0x1
	v_mul_u64_e32 v[0:1], v[8:9], v[0:1]
	s_wait_loadcnt 0x0
	s_delay_alu instid0(VALU_DEP_1) | instskip(SKIP_1) | instid1(VALU_DEP_1)
	v_mul_lo_u32 v0, v1, v4
	s_wait_xcnt 0x0
	v_dual_sub_nc_u32 v0, v8, v0 :: v_dual_add_nc_u32 v2, 1, v1
	s_delay_alu instid0(VALU_DEP_1) | instskip(SKIP_1) | instid1(VALU_DEP_1)
	v_sub_nc_u32_e32 v3, v0, v4
	v_cmp_ge_u32_e64 s1, v0, v4
	v_dual_cndmask_b32 v1, v1, v2, s1 :: v_dual_cndmask_b32 v0, v0, v3, s1
	s_delay_alu instid0(VALU_DEP_1) | instskip(NEXT) | instid1(VALU_DEP_2)
	v_add_nc_u32_e32 v2, 1, v1
	v_cmp_ge_u32_e64 s1, v0, v4
	scratch_load_b32 v4, off, s32 offset:800 ; 4-byte Folded Reload
	v_cndmask_b32_e64 v0, v1, v2, s1
	scratch_load_b32 v1, off, s32 offset:648 ; 4-byte Folded Reload
	s_wait_loadcnt 0x0
	v_xor_b32_e32 v0, v0, v1
	s_delay_alu instid0(VALU_DEP_1) | instskip(SKIP_3) | instid1(VALU_DEP_1)
	v_sub_nc_u32_e32 v2, v0, v1
	scratch_load_b32 v0, off, s32 offset:652 ; 4-byte Folded Reload
	s_wait_loadcnt 0x0
	v_add_nc_u32_e32 v3, v2, v0
	v_sub_nc_u32_e32 v0, 0, v3
	s_delay_alu instid0(VALU_DEP_1) | instskip(SKIP_3) | instid1(VALU_DEP_1)
	v_max_i32_e32 v24, v3, v0
	scratch_load_b64 v[0:1], off, s32 offset:804 ; 8-byte Folded Reload
	s_wait_loadcnt 0x0
	v_mul_u64_e32 v[0:1], v[24:25], v[0:1]
	v_mul_lo_u32 v0, v1, v4
	s_delay_alu instid0(VALU_DEP_1) | instskip(NEXT) | instid1(VALU_DEP_1)
	v_dual_sub_nc_u32 v0, v24, v0 :: v_dual_ashrrev_i32 v3, 31, v3
	v_sub_nc_u32_e32 v1, v0, v4
	v_cmp_ge_u32_e64 s1, v0, v4
	s_delay_alu instid0(VALU_DEP_1) | instskip(NEXT) | instid1(VALU_DEP_1)
	v_cndmask_b32_e64 v0, v0, v1, s1
	v_sub_nc_u32_e32 v1, v0, v4
	v_cmp_ge_u32_e64 s1, v0, v4
	s_delay_alu instid0(VALU_DEP_1) | instskip(NEXT) | instid1(VALU_DEP_1)
	v_cndmask_b32_e64 v0, v0, v1, s1
	v_xor_b32_e32 v0, v0, v3
	s_delay_alu instid0(VALU_DEP_1) | instskip(NEXT) | instid1(VALU_DEP_1)
	v_sub_nc_u32_e32 v0, v0, v3
	v_cmp_ne_u32_e64 s1, 0, v0
	scratch_load_b32 v0, off, s32 offset:656 ; 4-byte Folded Reload
	s_wait_loadcnt 0x0
	v_cmp_le_i32_e64 s2, v2, v0
	s_and_b32 s1, s1, s2
	s_wait_xcnt 0x0
	s_and_saveexec_b32 s2, s1
	s_delay_alu instid0(SALU_CYCLE_1)
	s_xor_b32 s1, exec_lo, s2
	s_cbranch_execz .LBB357_17
; %bb.16:                               ;   in Loop: Header=BB357_15 Depth=1
	s_wait_kmcnt 0x0
	v_dual_mov_b32 v1, 0xff7fffff :: v_dual_add_nc_u32 v0, s14, v5
	ds_store_b32 v0, v1
.LBB357_17:                             ;   in Loop: Header=BB357_15 Depth=1
	s_and_not1_saveexec_b32 s2, s1
	s_cbranch_execz .LBB357_14
; %bb.18:                               ;   in Loop: Header=BB357_15 Depth=1
	s_clause 0x3
	scratch_store_b64 off, v[8:9], s32 offset:820
	scratch_store_b32 off, v5, s32 offset:816
	scratch_store_b32 off, v7, s32 offset:812
	scratch_load_b64 v[0:1], off, s32 offset:612
	s_mov_b32 s16, exec_lo
	s_wait_loadcnt 0x0
	flat_load_b32 v0, v[0:1]
	s_clause 0x1
	scratch_load_b64 v[2:3], off, s32 offset:1344
	scratch_load_b64 v[4:5], off, s32 offset:2304
	s_wait_loadcnt_dscnt 0x0
	v_mad_nc_i64_i32 v[102:103], v0, v2, v[4:5]
	v_dual_mov_b32 v5, 0 :: v_dual_mov_b32 v4, 0
	flat_load_b64 v[0:1], v[102:103]
	s_clause 0x1
	scratch_load_b64 v[2:3], off, s32 offset:1228
	scratch_store_b64 off, v[4:5], s32 offset:192
	s_wait_loadcnt 0x0
	flat_load_b32 v82, v[2:3]
	s_wait_dscnt 0x1
	s_wait_xcnt 0x0
	v_and_b32_e32 v2, 0xff, v0
	s_delay_alu instid0(VALU_DEP_1)
	v_cmpx_ne_u16_e32 0, v2
	s_cbranch_execz .LBB357_26
; %bb.19:                               ;   in Loop: Header=BB357_15 Depth=1
	v_cmp_ne_u16_e64 s1, 0x80, v2
	scratch_load_b64 v[2:3], off, s32 offset:192 ; 8-byte Folded Reload
	s_wait_loadcnt 0x0
	v_bfrev_b32_e32 v2, 1
	scratch_store_b64 off, v[2:3], s32 offset:192 ; 8-byte Folded Spill
	s_wait_xcnt 0x0
	s_and_saveexec_b32 s17, s1
	s_cbranch_execz .LBB357_25
; %bb.20:                               ;   in Loop: Header=BB357_15 Depth=1
	scratch_load_b64 v[4:5], off, s32 offset:192 ; 8-byte Folded Reload
	v_and_b32_e32 v2, 0x7f, v0
	s_wait_loadcnt 0x0
	v_mov_b32_e32 v4, 0x7f800001
	s_mov_b32 s18, exec_lo
	scratch_store_b64 off, v[4:5], s32 offset:192 ; 8-byte Folded Spill
	s_wait_xcnt 0x0
	v_cmpx_ne_u32_e32 0x7f, v2
	s_cbranch_execz .LBB357_24
; %bb.21:                               ;   in Loop: Header=BB357_15 Depth=1
	v_lshrrev_b32_e32 v4, 3, v2
	v_cmp_gt_u32_e64 s1, 8, v2
	v_mov_b64_e32 v[2:3], v[0:1]
	s_and_saveexec_b32 s19, s1
; %bb.22:                               ;   in Loop: Header=BB357_15 Depth=1
	v_and_b32_e32 v2, 7, v0
	s_delay_alu instid0(VALU_DEP_1) | instskip(NEXT) | instid1(VALU_DEP_1)
	v_clz_i32_u32_e32 v2, v2
	v_min_u32_e32 v4, 32, v2
	s_delay_alu instid0(VALU_DEP_1) | instskip(SKIP_1) | instid1(VALU_DEP_2)
	v_subrev_nc_u32_e32 v2, 28, v4
	v_sub_nc_u32_e32 v4, 29, v4
	v_lshlrev_b64_e32 v[2:3], v2, v[0:1]
; %bb.23:                               ;   in Loop: Header=BB357_15 Depth=1
	s_or_b32 exec_lo, exec_lo, s19
	scratch_load_b64 v[6:7], off, s32 offset:192 ; 8-byte Folded Reload
	v_dual_lshlrev_b32 v2, 20, v2 :: v_dual_lshlrev_b32 v3, 24, v0
	v_lshl_add_u32 v4, v4, 23, 0x3c000000
	s_delay_alu instid0(VALU_DEP_2) | instskip(NEXT) | instid1(VALU_DEP_3)
	v_and_b32_e32 v2, 0x700000, v2
	v_and_b32_e32 v3, 0x80000000, v3
	s_wait_loadcnt 0x0
	s_delay_alu instid0(VALU_DEP_1)
	v_or3_b32 v6, v2, v3, v4
	scratch_store_b64 off, v[6:7], s32 offset:192 ; 8-byte Folded Spill
.LBB357_24:                             ;   in Loop: Header=BB357_15 Depth=1
	s_wait_xcnt 0x0
	s_or_b32 exec_lo, exec_lo, s18
.LBB357_25:                             ;   in Loop: Header=BB357_15 Depth=1
	s_delay_alu instid0(SALU_CYCLE_1)
	s_or_b32 exec_lo, exec_lo, s17
.LBB357_26:                             ;   in Loop: Header=BB357_15 Depth=1
	s_delay_alu instid0(SALU_CYCLE_1) | instskip(SKIP_2) | instid1(VALU_DEP_1)
	s_or_b32 exec_lo, exec_lo, s16
	v_lshrrev_b16 v2, 8, v0
	s_mov_b32 s16, exec_lo
	v_cmpx_ne_u16_e32 0, v2
	s_cbranch_execz .LBB357_34
; %bb.27:                               ;   in Loop: Header=BB357_15 Depth=1
	scratch_load_b64 v[4:5], off, s32 offset:192 ; 8-byte Folded Reload
	s_wait_loadcnt 0x0
	v_bfrev_b32_e32 v5, 1
	s_mov_b32 s17, exec_lo
	scratch_store_b64 off, v[4:5], s32 offset:192 ; 8-byte Folded Spill
	s_wait_xcnt 0x0
	v_cmpx_ne_u16_e32 0x80, v2
	s_cbranch_execz .LBB357_33
; %bb.28:                               ;   in Loop: Header=BB357_15 Depth=1
	scratch_load_b64 v[4:5], off, s32 offset:192 ; 8-byte Folded Reload
	v_and_b32_e32 v3, 0xffff, v2
	s_wait_loadcnt 0x0
	v_mov_b32_e32 v5, 0x7f800001
	s_mov_b32 s18, exec_lo
	s_delay_alu instid0(VALU_DEP_2)
	v_and_b32_e32 v2, 0x7f, v3
	scratch_store_b64 off, v[4:5], s32 offset:192 ; 8-byte Folded Spill
	s_wait_xcnt 0x0
	v_cmpx_ne_u32_e32 0x7f, v2
	s_cbranch_execz .LBB357_32
; %bb.29:                               ;   in Loop: Header=BB357_15 Depth=1
	v_dual_lshrrev_b32 v4, 3, v2 :: v_dual_bitop2_b32 v24, 7, v3 bitop3:0x40
	v_cmp_gt_u32_e64 s1, 8, v2
	s_delay_alu instid0(VALU_DEP_2)
	v_mov_b64_e32 v[2:3], v[24:25]
	s_and_saveexec_b32 s19, s1
; %bb.30:                               ;   in Loop: Header=BB357_15 Depth=1
	v_clz_i32_u32_e32 v2, v24
	s_delay_alu instid0(VALU_DEP_1) | instskip(NEXT) | instid1(VALU_DEP_1)
	v_min_u32_e32 v4, 32, v2
	v_subrev_nc_u32_e32 v2, 28, v4
	s_delay_alu instid0(VALU_DEP_1) | instskip(NEXT) | instid1(VALU_DEP_1)
	v_lshlrev_b64_e32 v[2:3], v2, v[24:25]
	v_dual_sub_nc_u32 v4, 29, v4 :: v_dual_bitop2_b32 v2, 7, v2 bitop3:0x40
; %bb.31:                               ;   in Loop: Header=BB357_15 Depth=1
	s_or_b32 exec_lo, exec_lo, s19
	scratch_load_b64 v[6:7], off, s32 offset:192 ; 8-byte Folded Reload
	v_dual_lshlrev_b32 v3, 16, v0 :: v_dual_lshlrev_b32 v2, 20, v2
	v_lshl_add_u32 v4, v4, 23, 0x3c000000
	s_delay_alu instid0(VALU_DEP_2) | instskip(SKIP_1) | instid1(VALU_DEP_1)
	v_and_b32_e32 v3, 0x80000000, v3
	s_wait_loadcnt 0x0
	v_or3_b32 v7, v2, v3, v4
	scratch_store_b64 off, v[6:7], s32 offset:192 ; 8-byte Folded Spill
.LBB357_32:                             ;   in Loop: Header=BB357_15 Depth=1
	s_wait_xcnt 0x0
	s_or_b32 exec_lo, exec_lo, s18
.LBB357_33:                             ;   in Loop: Header=BB357_15 Depth=1
	s_delay_alu instid0(SALU_CYCLE_1)
	s_or_b32 exec_lo, exec_lo, s17
.LBB357_34:                             ;   in Loop: Header=BB357_15 Depth=1
	s_delay_alu instid0(SALU_CYCLE_1) | instskip(SKIP_3) | instid1(VALU_DEP_2)
	s_or_b32 exec_lo, exec_lo, s16
	v_dual_mov_b32 v7, 0 :: v_dual_lshrrev_b32 v4, 16, v0
	v_mov_b32_e32 v6, 0
	s_mov_b32 s16, exec_lo
	v_and_b32_e32 v2, 0xff, v4
	scratch_store_b64 off, v[6:7], s32 offset:200 ; 8-byte Folded Spill
	s_wait_xcnt 0x0
	v_cmpx_ne_u16_e32 0, v2
	s_cbranch_execz .LBB357_42
; %bb.35:                               ;   in Loop: Header=BB357_15 Depth=1
	v_cmp_ne_u16_e64 s1, 0x80, v2
	scratch_load_b64 v[2:3], off, s32 offset:200 ; 8-byte Folded Reload
	s_wait_loadcnt 0x0
	v_bfrev_b32_e32 v2, 1
	scratch_store_b64 off, v[2:3], s32 offset:200 ; 8-byte Folded Spill
	s_wait_xcnt 0x0
	s_and_saveexec_b32 s17, s1
	s_cbranch_execz .LBB357_41
; %bb.36:                               ;   in Loop: Header=BB357_15 Depth=1
	scratch_load_b64 v[6:7], off, s32 offset:200 ; 8-byte Folded Reload
	v_bfe_u32 v2, v0, 16, 7
	s_wait_loadcnt 0x0
	v_mov_b32_e32 v6, 0x7f800001
	s_mov_b32 s18, exec_lo
	scratch_store_b64 off, v[6:7], s32 offset:200 ; 8-byte Folded Spill
	s_wait_xcnt 0x0
	v_cmpx_ne_u32_e32 0x7f, v2
	s_cbranch_execz .LBB357_40
; %bb.37:                               ;   in Loop: Header=BB357_15 Depth=1
	v_dual_lshrrev_b32 v5, 3, v2 :: v_dual_bitop2_b32 v24, 7, v4 bitop3:0x40
	v_cmp_gt_u32_e64 s1, 8, v2
	s_delay_alu instid0(VALU_DEP_2)
	v_mov_b64_e32 v[2:3], v[24:25]
	s_and_saveexec_b32 s19, s1
; %bb.38:                               ;   in Loop: Header=BB357_15 Depth=1
	v_clz_i32_u32_e32 v2, v24
	s_delay_alu instid0(VALU_DEP_1) | instskip(NEXT) | instid1(VALU_DEP_1)
	v_min_u32_e32 v5, 32, v2
	v_subrev_nc_u32_e32 v2, 28, v5
	s_delay_alu instid0(VALU_DEP_1) | instskip(NEXT) | instid1(VALU_DEP_1)
	v_lshlrev_b64_e32 v[2:3], v2, v[24:25]
	v_dual_sub_nc_u32 v5, 29, v5 :: v_dual_bitop2_b32 v2, 7, v2 bitop3:0x40
; %bb.39:                               ;   in Loop: Header=BB357_15 Depth=1
	s_or_b32 exec_lo, exec_lo, s19
	scratch_load_b64 v[6:7], off, s32 offset:200 ; 8-byte Folded Reload
	v_dual_lshlrev_b32 v3, 24, v4 :: v_dual_lshlrev_b32 v2, 20, v2
	v_lshl_add_u32 v4, v5, 23, 0x3c000000
	s_delay_alu instid0(VALU_DEP_2) | instskip(SKIP_1) | instid1(VALU_DEP_1)
	v_and_b32_e32 v3, 0x80000000, v3
	s_wait_loadcnt 0x0
	v_or3_b32 v6, v2, v3, v4
	scratch_store_b64 off, v[6:7], s32 offset:200 ; 8-byte Folded Spill
.LBB357_40:                             ;   in Loop: Header=BB357_15 Depth=1
	s_wait_xcnt 0x0
	s_or_b32 exec_lo, exec_lo, s18
.LBB357_41:                             ;   in Loop: Header=BB357_15 Depth=1
	s_delay_alu instid0(SALU_CYCLE_1)
	s_or_b32 exec_lo, exec_lo, s17
.LBB357_42:                             ;   in Loop: Header=BB357_15 Depth=1
	s_delay_alu instid0(SALU_CYCLE_1) | instskip(NEXT) | instid1(SALU_CYCLE_1)
	s_or_b32 exec_lo, exec_lo, s16
	s_mov_b32 s16, exec_lo
	v_cmpx_lt_u32_e32 0xffffff, v0
	s_cbranch_execz .LBB357_50
; %bb.43:                               ;   in Loop: Header=BB357_15 Depth=1
	scratch_load_b64 v[2:3], off, s32 offset:200 ; 8-byte Folded Reload
	v_lshrrev_b32_e32 v4, 24, v0
	s_wait_loadcnt 0x0
	v_bfrev_b32_e32 v3, 1
	s_mov_b32 s17, exec_lo
	scratch_store_b64 off, v[2:3], s32 offset:200 ; 8-byte Folded Spill
	s_wait_xcnt 0x0
	v_cmpx_ne_u32_e32 0x80, v4
	s_cbranch_execz .LBB357_49
; %bb.44:                               ;   in Loop: Header=BB357_15 Depth=1
	scratch_load_b64 v[6:7], off, s32 offset:200 ; 8-byte Folded Reload
	v_bfe_u32 v2, v0, 24, 7
	s_wait_loadcnt 0x0
	v_mov_b32_e32 v7, 0x7f800001
	s_mov_b32 s18, exec_lo
	scratch_store_b64 off, v[6:7], s32 offset:200 ; 8-byte Folded Spill
	s_wait_xcnt 0x0
	v_cmpx_ne_u32_e32 0x7f, v2
	s_cbranch_execz .LBB357_48
; %bb.45:                               ;   in Loop: Header=BB357_15 Depth=1
	v_dual_lshrrev_b32 v5, 3, v2 :: v_dual_bitop2_b32 v24, 7, v4 bitop3:0x40
	v_cmp_gt_u32_e64 s1, 8, v2
	s_delay_alu instid0(VALU_DEP_2)
	v_mov_b64_e32 v[2:3], v[24:25]
	s_and_saveexec_b32 s19, s1
; %bb.46:                               ;   in Loop: Header=BB357_15 Depth=1
	v_clz_i32_u32_e32 v2, v24
	s_delay_alu instid0(VALU_DEP_1) | instskip(NEXT) | instid1(VALU_DEP_1)
	v_min_u32_e32 v5, 32, v2
	v_subrev_nc_u32_e32 v2, 28, v5
	s_delay_alu instid0(VALU_DEP_1) | instskip(NEXT) | instid1(VALU_DEP_1)
	v_lshlrev_b64_e32 v[2:3], v2, v[24:25]
	v_dual_sub_nc_u32 v5, 29, v5 :: v_dual_bitop2_b32 v2, 7, v2 bitop3:0x40
; %bb.47:                               ;   in Loop: Header=BB357_15 Depth=1
	s_or_b32 exec_lo, exec_lo, s19
	scratch_load_b64 v[6:7], off, s32 offset:200 ; 8-byte Folded Reload
	v_dual_lshlrev_b32 v3, 24, v4 :: v_dual_lshlrev_b32 v2, 20, v2
	v_lshl_add_u32 v4, v5, 23, 0x3c000000
	s_delay_alu instid0(VALU_DEP_2) | instskip(SKIP_1) | instid1(VALU_DEP_1)
	v_and_b32_e32 v3, 0x80000000, v3
	s_wait_loadcnt 0x0
	v_or3_b32 v7, v2, v3, v4
	scratch_store_b64 off, v[6:7], s32 offset:200 ; 8-byte Folded Spill
.LBB357_48:                             ;   in Loop: Header=BB357_15 Depth=1
	s_wait_xcnt 0x0
	s_or_b32 exec_lo, exec_lo, s18
.LBB357_49:                             ;   in Loop: Header=BB357_15 Depth=1
	s_delay_alu instid0(SALU_CYCLE_1)
	s_or_b32 exec_lo, exec_lo, s17
.LBB357_50:                             ;   in Loop: Header=BB357_15 Depth=1
	s_delay_alu instid0(SALU_CYCLE_1)
	s_or_b32 exec_lo, exec_lo, s16
	v_and_b32_e32 v2, 0xff, v1
	v_dual_mov_b32 v24, v1 :: v_dual_mov_b32 v5, 0
	v_mov_b32_e32 v4, 0
	s_mov_b32 s16, exec_lo
	scratch_store_b64 off, v[4:5], s32 offset:208 ; 8-byte Folded Spill
	s_wait_xcnt 0x0
	v_cmpx_ne_u16_e32 0, v2
	s_cbranch_execz .LBB357_58
; %bb.51:                               ;   in Loop: Header=BB357_15 Depth=1
	v_cmp_ne_u16_e64 s1, 0x80, v2
	scratch_load_b64 v[2:3], off, s32 offset:208 ; 8-byte Folded Reload
	s_wait_loadcnt 0x0
	v_bfrev_b32_e32 v2, 1
	scratch_store_b64 off, v[2:3], s32 offset:208 ; 8-byte Folded Spill
	s_wait_xcnt 0x0
	s_and_saveexec_b32 s17, s1
	s_cbranch_execz .LBB357_57
; %bb.52:                               ;   in Loop: Header=BB357_15 Depth=1
	scratch_load_b64 v[4:5], off, s32 offset:208 ; 8-byte Folded Reload
	v_and_b32_e32 v2, 0x7f, v1
	s_wait_loadcnt 0x0
	v_mov_b32_e32 v4, 0x7f800001
	s_mov_b32 s18, exec_lo
	scratch_store_b64 off, v[4:5], s32 offset:208 ; 8-byte Folded Spill
	s_wait_xcnt 0x0
	v_cmpx_ne_u32_e32 0x7f, v2
	s_cbranch_execz .LBB357_56
; %bb.53:                               ;   in Loop: Header=BB357_15 Depth=1
	v_lshrrev_b32_e32 v4, 3, v2
	v_cmp_gt_u32_e64 s1, 8, v2
	v_mov_b64_e32 v[2:3], v[24:25]
	s_and_saveexec_b32 s19, s1
; %bb.54:                               ;   in Loop: Header=BB357_15 Depth=1
	v_and_b32_e32 v2, 7, v1
	s_delay_alu instid0(VALU_DEP_1) | instskip(NEXT) | instid1(VALU_DEP_1)
	v_clz_i32_u32_e32 v2, v2
	v_min_u32_e32 v4, 32, v2
	s_delay_alu instid0(VALU_DEP_1) | instskip(SKIP_1) | instid1(VALU_DEP_2)
	v_subrev_nc_u32_e32 v2, 28, v4
	v_sub_nc_u32_e32 v4, 29, v4
	v_lshlrev_b64_e32 v[2:3], v2, v[24:25]
; %bb.55:                               ;   in Loop: Header=BB357_15 Depth=1
	s_or_b32 exec_lo, exec_lo, s19
	scratch_load_b64 v[6:7], off, s32 offset:208 ; 8-byte Folded Reload
	v_dual_lshlrev_b32 v2, 20, v2 :: v_dual_lshlrev_b32 v3, 24, v24
	v_lshl_add_u32 v4, v4, 23, 0x3c000000
	s_delay_alu instid0(VALU_DEP_2) | instskip(NEXT) | instid1(VALU_DEP_3)
	v_and_b32_e32 v2, 0x700000, v2
	v_and_b32_e32 v3, 0x80000000, v3
	s_wait_loadcnt 0x0
	s_delay_alu instid0(VALU_DEP_1)
	v_or3_b32 v6, v2, v3, v4
	scratch_store_b64 off, v[6:7], s32 offset:208 ; 8-byte Folded Spill
.LBB357_56:                             ;   in Loop: Header=BB357_15 Depth=1
	s_wait_xcnt 0x0
	s_or_b32 exec_lo, exec_lo, s18
.LBB357_57:                             ;   in Loop: Header=BB357_15 Depth=1
	s_delay_alu instid0(SALU_CYCLE_1)
	s_or_b32 exec_lo, exec_lo, s17
.LBB357_58:                             ;   in Loop: Header=BB357_15 Depth=1
	s_delay_alu instid0(SALU_CYCLE_1) | instskip(SKIP_2) | instid1(VALU_DEP_1)
	s_or_b32 exec_lo, exec_lo, s16
	v_lshrrev_b16 v2, 8, v24
	s_mov_b32 s16, exec_lo
	v_cmpx_ne_u16_e32 0, v2
	s_cbranch_execz .LBB357_66
; %bb.59:                               ;   in Loop: Header=BB357_15 Depth=1
	scratch_load_b64 v[4:5], off, s32 offset:208 ; 8-byte Folded Reload
	s_wait_loadcnt 0x0
	v_bfrev_b32_e32 v5, 1
	s_mov_b32 s17, exec_lo
	scratch_store_b64 off, v[4:5], s32 offset:208 ; 8-byte Folded Spill
	s_wait_xcnt 0x0
	v_cmpx_ne_u16_e32 0x80, v2
	s_cbranch_execz .LBB357_65
; %bb.60:                               ;   in Loop: Header=BB357_15 Depth=1
	scratch_load_b64 v[6:7], off, s32 offset:208 ; 8-byte Folded Reload
	v_and_b32_e32 v2, 0xffff, v2
	s_wait_loadcnt 0x0
	v_mov_b32_e32 v7, 0x7f800001
	s_mov_b32 s18, exec_lo
	s_delay_alu instid0(VALU_DEP_2)
	v_and_b32_e32 v5, 0x7f, v2
	scratch_store_b64 off, v[6:7], s32 offset:208 ; 8-byte Folded Spill
	s_wait_xcnt 0x0
	v_cmpx_ne_u32_e32 0x7f, v5
	s_cbranch_execz .LBB357_64
; %bb.61:                               ;   in Loop: Header=BB357_15 Depth=1
	v_dual_mov_b32 v3, v25 :: v_dual_bitop2_b32 v2, 7, v2 bitop3:0x40
	v_lshrrev_b32_e32 v4, 3, v5
	s_mov_b32 s19, exec_lo
	v_cmpx_gt_u32_e32 8, v5
; %bb.62:                               ;   in Loop: Header=BB357_15 Depth=1
	s_delay_alu instid0(VALU_DEP_3) | instskip(NEXT) | instid1(VALU_DEP_1)
	v_clz_i32_u32_e32 v4, v2
	v_min_u32_e32 v4, 32, v4
	s_delay_alu instid0(VALU_DEP_1) | instskip(NEXT) | instid1(VALU_DEP_1)
	v_subrev_nc_u32_e32 v5, 28, v4
	v_lshlrev_b64_e32 v[2:3], v5, v[2:3]
	s_delay_alu instid0(VALU_DEP_1)
	v_dual_sub_nc_u32 v4, 29, v4 :: v_dual_bitop2_b32 v2, 7, v2 bitop3:0x40
; %bb.63:                               ;   in Loop: Header=BB357_15 Depth=1
	s_or_b32 exec_lo, exec_lo, s19
	scratch_load_b64 v[6:7], off, s32 offset:208 ; 8-byte Folded Reload
	v_dual_lshlrev_b32 v3, 16, v24 :: v_dual_lshlrev_b32 v2, 20, v2
	v_lshl_add_u32 v4, v4, 23, 0x3c000000
	s_delay_alu instid0(VALU_DEP_2) | instskip(SKIP_1) | instid1(VALU_DEP_1)
	v_and_b32_e32 v3, 0x80000000, v3
	s_wait_loadcnt 0x0
	v_or3_b32 v7, v2, v3, v4
	scratch_store_b64 off, v[6:7], s32 offset:208 ; 8-byte Folded Spill
.LBB357_64:                             ;   in Loop: Header=BB357_15 Depth=1
	s_wait_xcnt 0x0
	s_or_b32 exec_lo, exec_lo, s18
.LBB357_65:                             ;   in Loop: Header=BB357_15 Depth=1
	s_delay_alu instid0(SALU_CYCLE_1)
	s_or_b32 exec_lo, exec_lo, s17
.LBB357_66:                             ;   in Loop: Header=BB357_15 Depth=1
	s_delay_alu instid0(SALU_CYCLE_1) | instskip(SKIP_3) | instid1(VALU_DEP_2)
	s_or_b32 exec_lo, exec_lo, s16
	v_dual_mov_b32 v7, 0 :: v_dual_lshrrev_b32 v4, 16, v1
	v_mov_b32_e32 v6, 0
	s_mov_b32 s16, exec_lo
	v_and_b32_e32 v2, 0xff, v4
	scratch_store_b64 off, v[6:7], s32 offset:216 ; 8-byte Folded Spill
	s_wait_xcnt 0x0
	v_cmpx_ne_u16_e32 0, v2
	s_cbranch_execz .LBB357_74
; %bb.67:                               ;   in Loop: Header=BB357_15 Depth=1
	v_cmp_ne_u16_e64 s1, 0x80, v2
	scratch_load_b64 v[2:3], off, s32 offset:216 ; 8-byte Folded Reload
	s_wait_loadcnt 0x0
	v_bfrev_b32_e32 v2, 1
	scratch_store_b64 off, v[2:3], s32 offset:216 ; 8-byte Folded Spill
	s_wait_xcnt 0x0
	s_and_saveexec_b32 s17, s1
	s_cbranch_execz .LBB357_73
; %bb.68:                               ;   in Loop: Header=BB357_15 Depth=1
	scratch_load_b64 v[6:7], off, s32 offset:216 ; 8-byte Folded Reload
	v_bfe_u32 v2, v1, 16, 7
	s_wait_loadcnt 0x0
	v_mov_b32_e32 v6, 0x7f800001
	s_mov_b32 s18, exec_lo
	scratch_store_b64 off, v[6:7], s32 offset:216 ; 8-byte Folded Spill
	s_wait_xcnt 0x0
	v_cmpx_ne_u32_e32 0x7f, v2
	s_cbranch_execz .LBB357_72
; %bb.69:                               ;   in Loop: Header=BB357_15 Depth=1
	v_dual_lshrrev_b32 v5, 3, v2 :: v_dual_bitop2_b32 v24, 7, v4 bitop3:0x40
	v_cmp_gt_u32_e64 s1, 8, v2
	s_delay_alu instid0(VALU_DEP_2)
	v_mov_b64_e32 v[2:3], v[24:25]
	s_and_saveexec_b32 s19, s1
; %bb.70:                               ;   in Loop: Header=BB357_15 Depth=1
	v_clz_i32_u32_e32 v2, v24
	s_delay_alu instid0(VALU_DEP_1) | instskip(NEXT) | instid1(VALU_DEP_1)
	v_min_u32_e32 v5, 32, v2
	v_subrev_nc_u32_e32 v2, 28, v5
	s_delay_alu instid0(VALU_DEP_1) | instskip(NEXT) | instid1(VALU_DEP_1)
	v_lshlrev_b64_e32 v[2:3], v2, v[24:25]
	v_dual_sub_nc_u32 v5, 29, v5 :: v_dual_bitop2_b32 v2, 7, v2 bitop3:0x40
; %bb.71:                               ;   in Loop: Header=BB357_15 Depth=1
	s_or_b32 exec_lo, exec_lo, s19
	scratch_load_b64 v[6:7], off, s32 offset:216 ; 8-byte Folded Reload
	v_dual_lshlrev_b32 v3, 24, v4 :: v_dual_lshlrev_b32 v2, 20, v2
	v_lshl_add_u32 v4, v5, 23, 0x3c000000
	s_delay_alu instid0(VALU_DEP_2) | instskip(SKIP_1) | instid1(VALU_DEP_1)
	v_and_b32_e32 v3, 0x80000000, v3
	s_wait_loadcnt 0x0
	v_or3_b32 v6, v2, v3, v4
	scratch_store_b64 off, v[6:7], s32 offset:216 ; 8-byte Folded Spill
.LBB357_72:                             ;   in Loop: Header=BB357_15 Depth=1
	s_wait_xcnt 0x0
	s_or_b32 exec_lo, exec_lo, s18
.LBB357_73:                             ;   in Loop: Header=BB357_15 Depth=1
	s_delay_alu instid0(SALU_CYCLE_1)
	s_or_b32 exec_lo, exec_lo, s17
.LBB357_74:                             ;   in Loop: Header=BB357_15 Depth=1
	s_delay_alu instid0(SALU_CYCLE_1) | instskip(NEXT) | instid1(SALU_CYCLE_1)
	s_or_b32 exec_lo, exec_lo, s16
	s_mov_b32 s16, exec_lo
	v_cmpx_lt_u64_e64 s[8:9], v[0:1]
	s_cbranch_execz .LBB357_82
; %bb.75:                               ;   in Loop: Header=BB357_15 Depth=1
	scratch_load_b64 v[4:5], off, s32 offset:216 ; 8-byte Folded Reload
	v_lshrrev_b32_e32 v2, 24, v1
	s_wait_loadcnt 0x0
	v_bfrev_b32_e32 v5, 1
	s_mov_b32 s17, exec_lo
	scratch_store_b64 off, v[4:5], s32 offset:216 ; 8-byte Folded Spill
	s_wait_xcnt 0x0
	v_cmpx_ne_u32_e32 0x80, v2
	s_cbranch_execz .LBB357_81
; %bb.76:                               ;   in Loop: Header=BB357_15 Depth=1
	scratch_load_b64 v[4:5], off, s32 offset:216 ; 8-byte Folded Reload
	v_bfe_u32 v0, v1, 24, 7
	s_wait_loadcnt 0x0
	v_mov_b32_e32 v5, 0x7f800001
	s_mov_b32 s18, exec_lo
	scratch_store_b64 off, v[4:5], s32 offset:216 ; 8-byte Folded Spill
	s_wait_xcnt 0x0
	v_cmpx_ne_u32_e32 0x7f, v0
	s_cbranch_execz .LBB357_80
; %bb.77:                               ;   in Loop: Header=BB357_15 Depth=1
	v_dual_lshrrev_b32 v3, 3, v0 :: v_dual_bitop2_b32 v24, 7, v2 bitop3:0x40
	v_cmp_gt_u32_e64 s1, 8, v0
	s_delay_alu instid0(VALU_DEP_2)
	v_mov_b64_e32 v[0:1], v[24:25]
	s_and_saveexec_b32 s19, s1
; %bb.78:                               ;   in Loop: Header=BB357_15 Depth=1
	v_clz_i32_u32_e32 v0, v24
	s_delay_alu instid0(VALU_DEP_1) | instskip(NEXT) | instid1(VALU_DEP_1)
	v_min_u32_e32 v3, 32, v0
	v_subrev_nc_u32_e32 v0, 28, v3
	s_delay_alu instid0(VALU_DEP_1) | instskip(NEXT) | instid1(VALU_DEP_1)
	v_lshlrev_b64_e32 v[0:1], v0, v[24:25]
	v_dual_sub_nc_u32 v3, 29, v3 :: v_dual_bitop2_b32 v0, 7, v0 bitop3:0x40
; %bb.79:                               ;   in Loop: Header=BB357_15 Depth=1
	s_or_b32 exec_lo, exec_lo, s19
	scratch_load_b64 v[4:5], off, s32 offset:216 ; 8-byte Folded Reload
	v_dual_lshlrev_b32 v1, 24, v2 :: v_dual_lshlrev_b32 v0, 20, v0
	v_lshl_add_u32 v2, v3, 23, 0x3c000000
	s_delay_alu instid0(VALU_DEP_2) | instskip(SKIP_1) | instid1(VALU_DEP_1)
	v_and_b32_e32 v1, 0x80000000, v1
	s_wait_loadcnt 0x0
	v_or3_b32 v5, v0, v1, v2
	scratch_store_b64 off, v[4:5], s32 offset:216 ; 8-byte Folded Spill
.LBB357_80:                             ;   in Loop: Header=BB357_15 Depth=1
	s_wait_xcnt 0x0
	s_or_b32 exec_lo, exec_lo, s18
.LBB357_81:                             ;   in Loop: Header=BB357_15 Depth=1
	s_delay_alu instid0(SALU_CYCLE_1)
	s_or_b32 exec_lo, exec_lo, s17
.LBB357_82:                             ;   in Loop: Header=BB357_15 Depth=1
	s_delay_alu instid0(SALU_CYCLE_1)
	s_or_b32 exec_lo, exec_lo, s16
	flat_load_b64 v[0:1], v[102:103] offset:8
	v_dual_mov_b32 v5, 0 :: v_dual_mov_b32 v4, 0
	s_mov_b32 s16, exec_lo
	scratch_store_b64 off, v[4:5], s32 offset:224 ; 8-byte Folded Spill
	s_wait_loadcnt_dscnt 0x0
	v_and_b32_e32 v2, 0xff, v0
	s_wait_xcnt 0x0
	s_delay_alu instid0(VALU_DEP_1)
	v_cmpx_ne_u16_e32 0, v2
	s_cbranch_execz .LBB357_90
; %bb.83:                               ;   in Loop: Header=BB357_15 Depth=1
	v_cmp_ne_u16_e64 s1, 0x80, v2
	scratch_load_b64 v[2:3], off, s32 offset:224 ; 8-byte Folded Reload
	s_wait_loadcnt 0x0
	v_bfrev_b32_e32 v2, 1
	scratch_store_b64 off, v[2:3], s32 offset:224 ; 8-byte Folded Spill
	s_wait_xcnt 0x0
	s_and_saveexec_b32 s17, s1
	s_cbranch_execz .LBB357_89
; %bb.84:                               ;   in Loop: Header=BB357_15 Depth=1
	scratch_load_b64 v[4:5], off, s32 offset:224 ; 8-byte Folded Reload
	v_and_b32_e32 v2, 0x7f, v0
	s_wait_loadcnt 0x0
	v_mov_b32_e32 v4, 0x7f800001
	s_mov_b32 s18, exec_lo
	scratch_store_b64 off, v[4:5], s32 offset:224 ; 8-byte Folded Spill
	s_wait_xcnt 0x0
	v_cmpx_ne_u32_e32 0x7f, v2
	s_cbranch_execz .LBB357_88
; %bb.85:                               ;   in Loop: Header=BB357_15 Depth=1
	v_lshrrev_b32_e32 v4, 3, v2
	v_cmp_gt_u32_e64 s1, 8, v2
	v_mov_b64_e32 v[2:3], v[0:1]
	s_and_saveexec_b32 s19, s1
; %bb.86:                               ;   in Loop: Header=BB357_15 Depth=1
	v_and_b32_e32 v2, 7, v0
	s_delay_alu instid0(VALU_DEP_1) | instskip(NEXT) | instid1(VALU_DEP_1)
	v_clz_i32_u32_e32 v2, v2
	v_min_u32_e32 v4, 32, v2
	s_delay_alu instid0(VALU_DEP_1) | instskip(SKIP_1) | instid1(VALU_DEP_2)
	v_subrev_nc_u32_e32 v2, 28, v4
	v_sub_nc_u32_e32 v4, 29, v4
	v_lshlrev_b64_e32 v[2:3], v2, v[0:1]
; %bb.87:                               ;   in Loop: Header=BB357_15 Depth=1
	s_or_b32 exec_lo, exec_lo, s19
	scratch_load_b64 v[6:7], off, s32 offset:224 ; 8-byte Folded Reload
	v_dual_lshlrev_b32 v2, 20, v2 :: v_dual_lshlrev_b32 v3, 24, v0
	v_lshl_add_u32 v4, v4, 23, 0x3c000000
	s_delay_alu instid0(VALU_DEP_2) | instskip(NEXT) | instid1(VALU_DEP_3)
	v_and_b32_e32 v2, 0x700000, v2
	v_and_b32_e32 v3, 0x80000000, v3
	s_wait_loadcnt 0x0
	s_delay_alu instid0(VALU_DEP_1)
	v_or3_b32 v6, v2, v3, v4
	scratch_store_b64 off, v[6:7], s32 offset:224 ; 8-byte Folded Spill
.LBB357_88:                             ;   in Loop: Header=BB357_15 Depth=1
	s_wait_xcnt 0x0
	s_or_b32 exec_lo, exec_lo, s18
.LBB357_89:                             ;   in Loop: Header=BB357_15 Depth=1
	s_delay_alu instid0(SALU_CYCLE_1)
	s_or_b32 exec_lo, exec_lo, s17
.LBB357_90:                             ;   in Loop: Header=BB357_15 Depth=1
	s_delay_alu instid0(SALU_CYCLE_1) | instskip(SKIP_2) | instid1(VALU_DEP_1)
	s_or_b32 exec_lo, exec_lo, s16
	v_lshrrev_b16 v2, 8, v0
	s_mov_b32 s16, exec_lo
	v_cmpx_ne_u16_e32 0, v2
	s_cbranch_execz .LBB357_98
; %bb.91:                               ;   in Loop: Header=BB357_15 Depth=1
	scratch_load_b64 v[4:5], off, s32 offset:224 ; 8-byte Folded Reload
	s_wait_loadcnt 0x0
	v_bfrev_b32_e32 v5, 1
	s_mov_b32 s17, exec_lo
	scratch_store_b64 off, v[4:5], s32 offset:224 ; 8-byte Folded Spill
	s_wait_xcnt 0x0
	v_cmpx_ne_u16_e32 0x80, v2
	s_cbranch_execz .LBB357_97
; %bb.92:                               ;   in Loop: Header=BB357_15 Depth=1
	scratch_load_b64 v[4:5], off, s32 offset:224 ; 8-byte Folded Reload
	v_and_b32_e32 v3, 0xffff, v2
	s_wait_loadcnt 0x0
	v_mov_b32_e32 v5, 0x7f800001
	s_mov_b32 s18, exec_lo
	s_delay_alu instid0(VALU_DEP_2)
	v_and_b32_e32 v2, 0x7f, v3
	scratch_store_b64 off, v[4:5], s32 offset:224 ; 8-byte Folded Spill
	s_wait_xcnt 0x0
	v_cmpx_ne_u32_e32 0x7f, v2
	s_cbranch_execz .LBB357_96
; %bb.93:                               ;   in Loop: Header=BB357_15 Depth=1
	v_dual_lshrrev_b32 v4, 3, v2 :: v_dual_bitop2_b32 v24, 7, v3 bitop3:0x40
	v_cmp_gt_u32_e64 s1, 8, v2
	s_delay_alu instid0(VALU_DEP_2)
	v_mov_b64_e32 v[2:3], v[24:25]
	s_and_saveexec_b32 s19, s1
; %bb.94:                               ;   in Loop: Header=BB357_15 Depth=1
	v_clz_i32_u32_e32 v2, v24
	s_delay_alu instid0(VALU_DEP_1) | instskip(NEXT) | instid1(VALU_DEP_1)
	v_min_u32_e32 v4, 32, v2
	v_subrev_nc_u32_e32 v2, 28, v4
	s_delay_alu instid0(VALU_DEP_1) | instskip(NEXT) | instid1(VALU_DEP_1)
	v_lshlrev_b64_e32 v[2:3], v2, v[24:25]
	v_dual_sub_nc_u32 v4, 29, v4 :: v_dual_bitop2_b32 v2, 7, v2 bitop3:0x40
; %bb.95:                               ;   in Loop: Header=BB357_15 Depth=1
	s_or_b32 exec_lo, exec_lo, s19
	scratch_load_b64 v[6:7], off, s32 offset:224 ; 8-byte Folded Reload
	v_dual_lshlrev_b32 v3, 16, v0 :: v_dual_lshlrev_b32 v2, 20, v2
	v_lshl_add_u32 v4, v4, 23, 0x3c000000
	s_delay_alu instid0(VALU_DEP_2) | instskip(SKIP_1) | instid1(VALU_DEP_1)
	v_and_b32_e32 v3, 0x80000000, v3
	s_wait_loadcnt 0x0
	v_or3_b32 v7, v2, v3, v4
	scratch_store_b64 off, v[6:7], s32 offset:224 ; 8-byte Folded Spill
.LBB357_96:                             ;   in Loop: Header=BB357_15 Depth=1
	s_wait_xcnt 0x0
	s_or_b32 exec_lo, exec_lo, s18
.LBB357_97:                             ;   in Loop: Header=BB357_15 Depth=1
	s_delay_alu instid0(SALU_CYCLE_1)
	s_or_b32 exec_lo, exec_lo, s17
.LBB357_98:                             ;   in Loop: Header=BB357_15 Depth=1
	s_delay_alu instid0(SALU_CYCLE_1) | instskip(SKIP_3) | instid1(VALU_DEP_2)
	s_or_b32 exec_lo, exec_lo, s16
	v_dual_mov_b32 v7, 0 :: v_dual_lshrrev_b32 v4, 16, v0
	v_mov_b32_e32 v6, 0
	s_mov_b32 s16, exec_lo
	v_and_b32_e32 v2, 0xff, v4
	scratch_store_b64 off, v[6:7], s32 offset:232 ; 8-byte Folded Spill
	s_wait_xcnt 0x0
	v_cmpx_ne_u16_e32 0, v2
	s_cbranch_execz .LBB357_106
; %bb.99:                               ;   in Loop: Header=BB357_15 Depth=1
	v_cmp_ne_u16_e64 s1, 0x80, v2
	scratch_load_b64 v[2:3], off, s32 offset:232 ; 8-byte Folded Reload
	s_wait_loadcnt 0x0
	v_bfrev_b32_e32 v2, 1
	scratch_store_b64 off, v[2:3], s32 offset:232 ; 8-byte Folded Spill
	s_wait_xcnt 0x0
	s_and_saveexec_b32 s17, s1
	s_cbranch_execz .LBB357_105
; %bb.100:                              ;   in Loop: Header=BB357_15 Depth=1
	scratch_load_b64 v[6:7], off, s32 offset:232 ; 8-byte Folded Reload
	v_bfe_u32 v2, v0, 16, 7
	s_wait_loadcnt 0x0
	v_mov_b32_e32 v6, 0x7f800001
	s_mov_b32 s18, exec_lo
	scratch_store_b64 off, v[6:7], s32 offset:232 ; 8-byte Folded Spill
	s_wait_xcnt 0x0
	v_cmpx_ne_u32_e32 0x7f, v2
	s_cbranch_execz .LBB357_104
; %bb.101:                              ;   in Loop: Header=BB357_15 Depth=1
	v_dual_lshrrev_b32 v5, 3, v2 :: v_dual_bitop2_b32 v24, 7, v4 bitop3:0x40
	v_cmp_gt_u32_e64 s1, 8, v2
	s_delay_alu instid0(VALU_DEP_2)
	v_mov_b64_e32 v[2:3], v[24:25]
	s_and_saveexec_b32 s19, s1
; %bb.102:                              ;   in Loop: Header=BB357_15 Depth=1
	v_clz_i32_u32_e32 v2, v24
	s_delay_alu instid0(VALU_DEP_1) | instskip(NEXT) | instid1(VALU_DEP_1)
	v_min_u32_e32 v5, 32, v2
	v_subrev_nc_u32_e32 v2, 28, v5
	s_delay_alu instid0(VALU_DEP_1) | instskip(NEXT) | instid1(VALU_DEP_1)
	v_lshlrev_b64_e32 v[2:3], v2, v[24:25]
	v_dual_sub_nc_u32 v5, 29, v5 :: v_dual_bitop2_b32 v2, 7, v2 bitop3:0x40
; %bb.103:                              ;   in Loop: Header=BB357_15 Depth=1
	s_or_b32 exec_lo, exec_lo, s19
	scratch_load_b64 v[6:7], off, s32 offset:232 ; 8-byte Folded Reload
	v_dual_lshlrev_b32 v3, 24, v4 :: v_dual_lshlrev_b32 v2, 20, v2
	v_lshl_add_u32 v4, v5, 23, 0x3c000000
	s_delay_alu instid0(VALU_DEP_2) | instskip(SKIP_1) | instid1(VALU_DEP_1)
	v_and_b32_e32 v3, 0x80000000, v3
	s_wait_loadcnt 0x0
	v_or3_b32 v6, v2, v3, v4
	scratch_store_b64 off, v[6:7], s32 offset:232 ; 8-byte Folded Spill
.LBB357_104:                            ;   in Loop: Header=BB357_15 Depth=1
	s_wait_xcnt 0x0
	s_or_b32 exec_lo, exec_lo, s18
.LBB357_105:                            ;   in Loop: Header=BB357_15 Depth=1
	s_delay_alu instid0(SALU_CYCLE_1)
	s_or_b32 exec_lo, exec_lo, s17
.LBB357_106:                            ;   in Loop: Header=BB357_15 Depth=1
	s_delay_alu instid0(SALU_CYCLE_1) | instskip(NEXT) | instid1(SALU_CYCLE_1)
	s_or_b32 exec_lo, exec_lo, s16
	s_mov_b32 s16, exec_lo
	v_cmpx_lt_u32_e32 0xffffff, v0
	s_cbranch_execz .LBB357_114
; %bb.107:                              ;   in Loop: Header=BB357_15 Depth=1
	scratch_load_b64 v[2:3], off, s32 offset:232 ; 8-byte Folded Reload
	v_lshrrev_b32_e32 v4, 24, v0
	s_wait_loadcnt 0x0
	v_bfrev_b32_e32 v3, 1
	s_mov_b32 s17, exec_lo
	scratch_store_b64 off, v[2:3], s32 offset:232 ; 8-byte Folded Spill
	s_wait_xcnt 0x0
	v_cmpx_ne_u32_e32 0x80, v4
	s_cbranch_execz .LBB357_113
; %bb.108:                              ;   in Loop: Header=BB357_15 Depth=1
	scratch_load_b64 v[6:7], off, s32 offset:232 ; 8-byte Folded Reload
	v_bfe_u32 v2, v0, 24, 7
	s_wait_loadcnt 0x0
	v_mov_b32_e32 v7, 0x7f800001
	s_mov_b32 s18, exec_lo
	scratch_store_b64 off, v[6:7], s32 offset:232 ; 8-byte Folded Spill
	s_wait_xcnt 0x0
	v_cmpx_ne_u32_e32 0x7f, v2
	s_cbranch_execz .LBB357_112
; %bb.109:                              ;   in Loop: Header=BB357_15 Depth=1
	v_dual_lshrrev_b32 v5, 3, v2 :: v_dual_bitop2_b32 v24, 7, v4 bitop3:0x40
	v_cmp_gt_u32_e64 s1, 8, v2
	s_delay_alu instid0(VALU_DEP_2)
	v_mov_b64_e32 v[2:3], v[24:25]
	s_and_saveexec_b32 s19, s1
; %bb.110:                              ;   in Loop: Header=BB357_15 Depth=1
	v_clz_i32_u32_e32 v2, v24
	s_delay_alu instid0(VALU_DEP_1) | instskip(NEXT) | instid1(VALU_DEP_1)
	v_min_u32_e32 v5, 32, v2
	v_subrev_nc_u32_e32 v2, 28, v5
	s_delay_alu instid0(VALU_DEP_1) | instskip(NEXT) | instid1(VALU_DEP_1)
	v_lshlrev_b64_e32 v[2:3], v2, v[24:25]
	v_dual_sub_nc_u32 v5, 29, v5 :: v_dual_bitop2_b32 v2, 7, v2 bitop3:0x40
; %bb.111:                              ;   in Loop: Header=BB357_15 Depth=1
	s_or_b32 exec_lo, exec_lo, s19
	scratch_load_b64 v[6:7], off, s32 offset:232 ; 8-byte Folded Reload
	v_dual_lshlrev_b32 v3, 24, v4 :: v_dual_lshlrev_b32 v2, 20, v2
	v_lshl_add_u32 v4, v5, 23, 0x3c000000
	s_delay_alu instid0(VALU_DEP_2) | instskip(SKIP_1) | instid1(VALU_DEP_1)
	v_and_b32_e32 v3, 0x80000000, v3
	s_wait_loadcnt 0x0
	v_or3_b32 v7, v2, v3, v4
	scratch_store_b64 off, v[6:7], s32 offset:232 ; 8-byte Folded Spill
.LBB357_112:                            ;   in Loop: Header=BB357_15 Depth=1
	s_wait_xcnt 0x0
	s_or_b32 exec_lo, exec_lo, s18
.LBB357_113:                            ;   in Loop: Header=BB357_15 Depth=1
	s_delay_alu instid0(SALU_CYCLE_1)
	s_or_b32 exec_lo, exec_lo, s17
.LBB357_114:                            ;   in Loop: Header=BB357_15 Depth=1
	s_delay_alu instid0(SALU_CYCLE_1)
	s_or_b32 exec_lo, exec_lo, s16
	v_and_b32_e32 v2, 0xff, v1
	v_dual_mov_b32 v24, v1 :: v_dual_mov_b32 v5, 0
	v_mov_b32_e32 v4, 0
	s_mov_b32 s16, exec_lo
	scratch_store_b64 off, v[4:5], s32 offset:240 ; 8-byte Folded Spill
	s_wait_xcnt 0x0
	v_cmpx_ne_u16_e32 0, v2
	s_cbranch_execz .LBB357_122
; %bb.115:                              ;   in Loop: Header=BB357_15 Depth=1
	v_cmp_ne_u16_e64 s1, 0x80, v2
	scratch_load_b64 v[2:3], off, s32 offset:240 ; 8-byte Folded Reload
	s_wait_loadcnt 0x0
	v_bfrev_b32_e32 v2, 1
	scratch_store_b64 off, v[2:3], s32 offset:240 ; 8-byte Folded Spill
	s_wait_xcnt 0x0
	s_and_saveexec_b32 s17, s1
	s_cbranch_execz .LBB357_121
; %bb.116:                              ;   in Loop: Header=BB357_15 Depth=1
	scratch_load_b64 v[4:5], off, s32 offset:240 ; 8-byte Folded Reload
	v_and_b32_e32 v2, 0x7f, v1
	s_wait_loadcnt 0x0
	v_mov_b32_e32 v4, 0x7f800001
	s_mov_b32 s18, exec_lo
	scratch_store_b64 off, v[4:5], s32 offset:240 ; 8-byte Folded Spill
	s_wait_xcnt 0x0
	v_cmpx_ne_u32_e32 0x7f, v2
	s_cbranch_execz .LBB357_120
; %bb.117:                              ;   in Loop: Header=BB357_15 Depth=1
	v_lshrrev_b32_e32 v4, 3, v2
	v_cmp_gt_u32_e64 s1, 8, v2
	v_mov_b64_e32 v[2:3], v[24:25]
	s_and_saveexec_b32 s19, s1
; %bb.118:                              ;   in Loop: Header=BB357_15 Depth=1
	v_and_b32_e32 v2, 7, v1
	s_delay_alu instid0(VALU_DEP_1) | instskip(NEXT) | instid1(VALU_DEP_1)
	v_clz_i32_u32_e32 v2, v2
	v_min_u32_e32 v4, 32, v2
	s_delay_alu instid0(VALU_DEP_1) | instskip(SKIP_1) | instid1(VALU_DEP_2)
	v_subrev_nc_u32_e32 v2, 28, v4
	v_sub_nc_u32_e32 v4, 29, v4
	v_lshlrev_b64_e32 v[2:3], v2, v[24:25]
; %bb.119:                              ;   in Loop: Header=BB357_15 Depth=1
	s_or_b32 exec_lo, exec_lo, s19
	scratch_load_b64 v[6:7], off, s32 offset:240 ; 8-byte Folded Reload
	v_dual_lshlrev_b32 v2, 20, v2 :: v_dual_lshlrev_b32 v3, 24, v24
	v_lshl_add_u32 v4, v4, 23, 0x3c000000
	s_delay_alu instid0(VALU_DEP_2) | instskip(NEXT) | instid1(VALU_DEP_3)
	v_and_b32_e32 v2, 0x700000, v2
	v_and_b32_e32 v3, 0x80000000, v3
	s_wait_loadcnt 0x0
	s_delay_alu instid0(VALU_DEP_1)
	v_or3_b32 v6, v2, v3, v4
	scratch_store_b64 off, v[6:7], s32 offset:240 ; 8-byte Folded Spill
.LBB357_120:                            ;   in Loop: Header=BB357_15 Depth=1
	s_wait_xcnt 0x0
	s_or_b32 exec_lo, exec_lo, s18
.LBB357_121:                            ;   in Loop: Header=BB357_15 Depth=1
	s_delay_alu instid0(SALU_CYCLE_1)
	s_or_b32 exec_lo, exec_lo, s17
.LBB357_122:                            ;   in Loop: Header=BB357_15 Depth=1
	s_delay_alu instid0(SALU_CYCLE_1) | instskip(SKIP_2) | instid1(VALU_DEP_1)
	s_or_b32 exec_lo, exec_lo, s16
	v_lshrrev_b16 v2, 8, v24
	s_mov_b32 s16, exec_lo
	v_cmpx_ne_u16_e32 0, v2
	s_cbranch_execz .LBB357_130
; %bb.123:                              ;   in Loop: Header=BB357_15 Depth=1
	scratch_load_b64 v[4:5], off, s32 offset:240 ; 8-byte Folded Reload
	s_wait_loadcnt 0x0
	v_bfrev_b32_e32 v5, 1
	s_mov_b32 s17, exec_lo
	scratch_store_b64 off, v[4:5], s32 offset:240 ; 8-byte Folded Spill
	s_wait_xcnt 0x0
	v_cmpx_ne_u16_e32 0x80, v2
	s_cbranch_execz .LBB357_129
; %bb.124:                              ;   in Loop: Header=BB357_15 Depth=1
	scratch_load_b64 v[6:7], off, s32 offset:240 ; 8-byte Folded Reload
	v_and_b32_e32 v2, 0xffff, v2
	s_wait_loadcnt 0x0
	v_mov_b32_e32 v7, 0x7f800001
	s_mov_b32 s18, exec_lo
	s_delay_alu instid0(VALU_DEP_2)
	v_and_b32_e32 v5, 0x7f, v2
	scratch_store_b64 off, v[6:7], s32 offset:240 ; 8-byte Folded Spill
	s_wait_xcnt 0x0
	v_cmpx_ne_u32_e32 0x7f, v5
	s_cbranch_execz .LBB357_128
; %bb.125:                              ;   in Loop: Header=BB357_15 Depth=1
	v_dual_mov_b32 v3, v25 :: v_dual_bitop2_b32 v2, 7, v2 bitop3:0x40
	v_lshrrev_b32_e32 v4, 3, v5
	s_mov_b32 s19, exec_lo
	v_cmpx_gt_u32_e32 8, v5
; %bb.126:                              ;   in Loop: Header=BB357_15 Depth=1
	s_delay_alu instid0(VALU_DEP_3) | instskip(NEXT) | instid1(VALU_DEP_1)
	v_clz_i32_u32_e32 v4, v2
	v_min_u32_e32 v4, 32, v4
	s_delay_alu instid0(VALU_DEP_1) | instskip(NEXT) | instid1(VALU_DEP_1)
	v_subrev_nc_u32_e32 v5, 28, v4
	v_lshlrev_b64_e32 v[2:3], v5, v[2:3]
	s_delay_alu instid0(VALU_DEP_1)
	v_dual_sub_nc_u32 v4, 29, v4 :: v_dual_bitop2_b32 v2, 7, v2 bitop3:0x40
; %bb.127:                              ;   in Loop: Header=BB357_15 Depth=1
	s_or_b32 exec_lo, exec_lo, s19
	scratch_load_b64 v[6:7], off, s32 offset:240 ; 8-byte Folded Reload
	v_dual_lshlrev_b32 v3, 16, v24 :: v_dual_lshlrev_b32 v2, 20, v2
	v_lshl_add_u32 v4, v4, 23, 0x3c000000
	s_delay_alu instid0(VALU_DEP_2) | instskip(SKIP_1) | instid1(VALU_DEP_1)
	v_and_b32_e32 v3, 0x80000000, v3
	s_wait_loadcnt 0x0
	v_or3_b32 v7, v2, v3, v4
	scratch_store_b64 off, v[6:7], s32 offset:240 ; 8-byte Folded Spill
.LBB357_128:                            ;   in Loop: Header=BB357_15 Depth=1
	s_wait_xcnt 0x0
	s_or_b32 exec_lo, exec_lo, s18
.LBB357_129:                            ;   in Loop: Header=BB357_15 Depth=1
	s_delay_alu instid0(SALU_CYCLE_1)
	s_or_b32 exec_lo, exec_lo, s17
.LBB357_130:                            ;   in Loop: Header=BB357_15 Depth=1
	s_delay_alu instid0(SALU_CYCLE_1) | instskip(SKIP_3) | instid1(VALU_DEP_2)
	s_or_b32 exec_lo, exec_lo, s16
	v_dual_mov_b32 v7, 0 :: v_dual_lshrrev_b32 v4, 16, v1
	v_mov_b32_e32 v6, 0
	s_mov_b32 s16, exec_lo
	v_and_b32_e32 v2, 0xff, v4
	scratch_store_b64 off, v[6:7], s32 offset:248 ; 8-byte Folded Spill
	s_wait_xcnt 0x0
	v_cmpx_ne_u16_e32 0, v2
	s_cbranch_execz .LBB357_138
; %bb.131:                              ;   in Loop: Header=BB357_15 Depth=1
	v_cmp_ne_u16_e64 s1, 0x80, v2
	scratch_load_b64 v[2:3], off, s32 offset:248 ; 8-byte Folded Reload
	s_wait_loadcnt 0x0
	v_bfrev_b32_e32 v2, 1
	scratch_store_b64 off, v[2:3], s32 offset:248 ; 8-byte Folded Spill
	s_wait_xcnt 0x0
	s_and_saveexec_b32 s17, s1
	s_cbranch_execz .LBB357_137
; %bb.132:                              ;   in Loop: Header=BB357_15 Depth=1
	scratch_load_b64 v[6:7], off, s32 offset:248 ; 8-byte Folded Reload
	v_bfe_u32 v2, v1, 16, 7
	s_wait_loadcnt 0x0
	v_mov_b32_e32 v6, 0x7f800001
	s_mov_b32 s18, exec_lo
	scratch_store_b64 off, v[6:7], s32 offset:248 ; 8-byte Folded Spill
	s_wait_xcnt 0x0
	v_cmpx_ne_u32_e32 0x7f, v2
	s_cbranch_execz .LBB357_136
; %bb.133:                              ;   in Loop: Header=BB357_15 Depth=1
	v_dual_lshrrev_b32 v5, 3, v2 :: v_dual_bitop2_b32 v24, 7, v4 bitop3:0x40
	v_cmp_gt_u32_e64 s1, 8, v2
	s_delay_alu instid0(VALU_DEP_2)
	v_mov_b64_e32 v[2:3], v[24:25]
	s_and_saveexec_b32 s19, s1
; %bb.134:                              ;   in Loop: Header=BB357_15 Depth=1
	v_clz_i32_u32_e32 v2, v24
	s_delay_alu instid0(VALU_DEP_1) | instskip(NEXT) | instid1(VALU_DEP_1)
	v_min_u32_e32 v5, 32, v2
	v_subrev_nc_u32_e32 v2, 28, v5
	s_delay_alu instid0(VALU_DEP_1) | instskip(NEXT) | instid1(VALU_DEP_1)
	v_lshlrev_b64_e32 v[2:3], v2, v[24:25]
	v_dual_sub_nc_u32 v5, 29, v5 :: v_dual_bitop2_b32 v2, 7, v2 bitop3:0x40
; %bb.135:                              ;   in Loop: Header=BB357_15 Depth=1
	s_or_b32 exec_lo, exec_lo, s19
	scratch_load_b64 v[6:7], off, s32 offset:248 ; 8-byte Folded Reload
	v_dual_lshlrev_b32 v3, 24, v4 :: v_dual_lshlrev_b32 v2, 20, v2
	v_lshl_add_u32 v4, v5, 23, 0x3c000000
	s_delay_alu instid0(VALU_DEP_2) | instskip(SKIP_1) | instid1(VALU_DEP_1)
	v_and_b32_e32 v3, 0x80000000, v3
	s_wait_loadcnt 0x0
	v_or3_b32 v6, v2, v3, v4
	scratch_store_b64 off, v[6:7], s32 offset:248 ; 8-byte Folded Spill
.LBB357_136:                            ;   in Loop: Header=BB357_15 Depth=1
	s_wait_xcnt 0x0
	s_or_b32 exec_lo, exec_lo, s18
.LBB357_137:                            ;   in Loop: Header=BB357_15 Depth=1
	s_delay_alu instid0(SALU_CYCLE_1)
	s_or_b32 exec_lo, exec_lo, s17
.LBB357_138:                            ;   in Loop: Header=BB357_15 Depth=1
	s_delay_alu instid0(SALU_CYCLE_1) | instskip(NEXT) | instid1(SALU_CYCLE_1)
	s_or_b32 exec_lo, exec_lo, s16
	s_mov_b32 s16, exec_lo
	v_cmpx_lt_u64_e64 s[8:9], v[0:1]
	s_cbranch_execz .LBB357_146
; %bb.139:                              ;   in Loop: Header=BB357_15 Depth=1
	scratch_load_b64 v[4:5], off, s32 offset:248 ; 8-byte Folded Reload
	v_lshrrev_b32_e32 v2, 24, v1
	s_wait_loadcnt 0x0
	v_bfrev_b32_e32 v5, 1
	s_mov_b32 s17, exec_lo
	scratch_store_b64 off, v[4:5], s32 offset:248 ; 8-byte Folded Spill
	s_wait_xcnt 0x0
	v_cmpx_ne_u32_e32 0x80, v2
	s_cbranch_execz .LBB357_145
; %bb.140:                              ;   in Loop: Header=BB357_15 Depth=1
	scratch_load_b64 v[4:5], off, s32 offset:248 ; 8-byte Folded Reload
	v_bfe_u32 v0, v1, 24, 7
	s_wait_loadcnt 0x0
	v_mov_b32_e32 v5, 0x7f800001
	s_mov_b32 s18, exec_lo
	scratch_store_b64 off, v[4:5], s32 offset:248 ; 8-byte Folded Spill
	s_wait_xcnt 0x0
	v_cmpx_ne_u32_e32 0x7f, v0
	s_cbranch_execz .LBB357_144
; %bb.141:                              ;   in Loop: Header=BB357_15 Depth=1
	v_dual_lshrrev_b32 v3, 3, v0 :: v_dual_bitop2_b32 v24, 7, v2 bitop3:0x40
	v_cmp_gt_u32_e64 s1, 8, v0
	s_delay_alu instid0(VALU_DEP_2)
	v_mov_b64_e32 v[0:1], v[24:25]
	s_and_saveexec_b32 s19, s1
; %bb.142:                              ;   in Loop: Header=BB357_15 Depth=1
	v_clz_i32_u32_e32 v0, v24
	s_delay_alu instid0(VALU_DEP_1) | instskip(NEXT) | instid1(VALU_DEP_1)
	v_min_u32_e32 v3, 32, v0
	v_subrev_nc_u32_e32 v0, 28, v3
	s_delay_alu instid0(VALU_DEP_1) | instskip(NEXT) | instid1(VALU_DEP_1)
	v_lshlrev_b64_e32 v[0:1], v0, v[24:25]
	v_dual_sub_nc_u32 v3, 29, v3 :: v_dual_bitop2_b32 v0, 7, v0 bitop3:0x40
; %bb.143:                              ;   in Loop: Header=BB357_15 Depth=1
	s_or_b32 exec_lo, exec_lo, s19
	scratch_load_b64 v[4:5], off, s32 offset:248 ; 8-byte Folded Reload
	v_dual_lshlrev_b32 v1, 24, v2 :: v_dual_lshlrev_b32 v0, 20, v0
	v_lshl_add_u32 v2, v3, 23, 0x3c000000
	s_delay_alu instid0(VALU_DEP_2) | instskip(SKIP_1) | instid1(VALU_DEP_1)
	v_and_b32_e32 v1, 0x80000000, v1
	s_wait_loadcnt 0x0
	v_or3_b32 v5, v0, v1, v2
	scratch_store_b64 off, v[4:5], s32 offset:248 ; 8-byte Folded Spill
.LBB357_144:                            ;   in Loop: Header=BB357_15 Depth=1
	s_wait_xcnt 0x0
	s_or_b32 exec_lo, exec_lo, s18
.LBB357_145:                            ;   in Loop: Header=BB357_15 Depth=1
	s_delay_alu instid0(SALU_CYCLE_1)
	s_or_b32 exec_lo, exec_lo, s17
.LBB357_146:                            ;   in Loop: Header=BB357_15 Depth=1
	s_delay_alu instid0(SALU_CYCLE_1)
	s_or_b32 exec_lo, exec_lo, s16
	flat_load_b64 v[0:1], v[102:103] offset:512
	v_dual_mov_b32 v5, 0 :: v_dual_mov_b32 v4, 0
	s_mov_b32 s16, exec_lo
	scratch_store_b64 off, v[4:5], s32 offset:256 ; 8-byte Folded Spill
	s_wait_loadcnt_dscnt 0x0
	v_and_b32_e32 v2, 0xff, v0
	s_wait_xcnt 0x0
	s_delay_alu instid0(VALU_DEP_1)
	v_cmpx_ne_u16_e32 0, v2
	s_cbranch_execz .LBB357_154
; %bb.147:                              ;   in Loop: Header=BB357_15 Depth=1
	v_cmp_ne_u16_e64 s1, 0x80, v2
	scratch_load_b64 v[2:3], off, s32 offset:256 ; 8-byte Folded Reload
	s_wait_loadcnt 0x0
	v_bfrev_b32_e32 v2, 1
	scratch_store_b64 off, v[2:3], s32 offset:256 ; 8-byte Folded Spill
	s_wait_xcnt 0x0
	s_and_saveexec_b32 s17, s1
	s_cbranch_execz .LBB357_153
; %bb.148:                              ;   in Loop: Header=BB357_15 Depth=1
	scratch_load_b64 v[4:5], off, s32 offset:256 ; 8-byte Folded Reload
	v_and_b32_e32 v2, 0x7f, v0
	s_wait_loadcnt 0x0
	v_mov_b32_e32 v4, 0x7f800001
	s_mov_b32 s18, exec_lo
	scratch_store_b64 off, v[4:5], s32 offset:256 ; 8-byte Folded Spill
	s_wait_xcnt 0x0
	v_cmpx_ne_u32_e32 0x7f, v2
	s_cbranch_execz .LBB357_152
; %bb.149:                              ;   in Loop: Header=BB357_15 Depth=1
	v_lshrrev_b32_e32 v4, 3, v2
	v_cmp_gt_u32_e64 s1, 8, v2
	v_mov_b64_e32 v[2:3], v[0:1]
	s_and_saveexec_b32 s19, s1
; %bb.150:                              ;   in Loop: Header=BB357_15 Depth=1
	v_and_b32_e32 v2, 7, v0
	s_delay_alu instid0(VALU_DEP_1) | instskip(NEXT) | instid1(VALU_DEP_1)
	v_clz_i32_u32_e32 v2, v2
	v_min_u32_e32 v4, 32, v2
	s_delay_alu instid0(VALU_DEP_1) | instskip(SKIP_1) | instid1(VALU_DEP_2)
	v_subrev_nc_u32_e32 v2, 28, v4
	v_sub_nc_u32_e32 v4, 29, v4
	v_lshlrev_b64_e32 v[2:3], v2, v[0:1]
; %bb.151:                              ;   in Loop: Header=BB357_15 Depth=1
	s_or_b32 exec_lo, exec_lo, s19
	scratch_load_b64 v[6:7], off, s32 offset:256 ; 8-byte Folded Reload
	v_dual_lshlrev_b32 v2, 20, v2 :: v_dual_lshlrev_b32 v3, 24, v0
	v_lshl_add_u32 v4, v4, 23, 0x3c000000
	s_delay_alu instid0(VALU_DEP_2) | instskip(NEXT) | instid1(VALU_DEP_3)
	v_and_b32_e32 v2, 0x700000, v2
	v_and_b32_e32 v3, 0x80000000, v3
	s_wait_loadcnt 0x0
	s_delay_alu instid0(VALU_DEP_1)
	v_or3_b32 v6, v2, v3, v4
	scratch_store_b64 off, v[6:7], s32 offset:256 ; 8-byte Folded Spill
.LBB357_152:                            ;   in Loop: Header=BB357_15 Depth=1
	s_wait_xcnt 0x0
	s_or_b32 exec_lo, exec_lo, s18
.LBB357_153:                            ;   in Loop: Header=BB357_15 Depth=1
	s_delay_alu instid0(SALU_CYCLE_1)
	s_or_b32 exec_lo, exec_lo, s17
.LBB357_154:                            ;   in Loop: Header=BB357_15 Depth=1
	s_delay_alu instid0(SALU_CYCLE_1) | instskip(SKIP_2) | instid1(VALU_DEP_1)
	s_or_b32 exec_lo, exec_lo, s16
	v_lshrrev_b16 v2, 8, v0
	s_mov_b32 s16, exec_lo
	v_cmpx_ne_u16_e32 0, v2
	s_cbranch_execz .LBB357_162
; %bb.155:                              ;   in Loop: Header=BB357_15 Depth=1
	scratch_load_b64 v[4:5], off, s32 offset:256 ; 8-byte Folded Reload
	s_wait_loadcnt 0x0
	v_bfrev_b32_e32 v5, 1
	s_mov_b32 s17, exec_lo
	scratch_store_b64 off, v[4:5], s32 offset:256 ; 8-byte Folded Spill
	s_wait_xcnt 0x0
	v_cmpx_ne_u16_e32 0x80, v2
	s_cbranch_execz .LBB357_161
; %bb.156:                              ;   in Loop: Header=BB357_15 Depth=1
	scratch_load_b64 v[4:5], off, s32 offset:256 ; 8-byte Folded Reload
	v_and_b32_e32 v3, 0xffff, v2
	s_wait_loadcnt 0x0
	v_mov_b32_e32 v5, 0x7f800001
	s_mov_b32 s18, exec_lo
	s_delay_alu instid0(VALU_DEP_2)
	v_and_b32_e32 v2, 0x7f, v3
	scratch_store_b64 off, v[4:5], s32 offset:256 ; 8-byte Folded Spill
	s_wait_xcnt 0x0
	v_cmpx_ne_u32_e32 0x7f, v2
	s_cbranch_execz .LBB357_160
; %bb.157:                              ;   in Loop: Header=BB357_15 Depth=1
	v_dual_lshrrev_b32 v4, 3, v2 :: v_dual_bitop2_b32 v24, 7, v3 bitop3:0x40
	v_cmp_gt_u32_e64 s1, 8, v2
	s_delay_alu instid0(VALU_DEP_2)
	v_mov_b64_e32 v[2:3], v[24:25]
	s_and_saveexec_b32 s19, s1
; %bb.158:                              ;   in Loop: Header=BB357_15 Depth=1
	v_clz_i32_u32_e32 v2, v24
	s_delay_alu instid0(VALU_DEP_1) | instskip(NEXT) | instid1(VALU_DEP_1)
	v_min_u32_e32 v4, 32, v2
	v_subrev_nc_u32_e32 v2, 28, v4
	s_delay_alu instid0(VALU_DEP_1) | instskip(NEXT) | instid1(VALU_DEP_1)
	v_lshlrev_b64_e32 v[2:3], v2, v[24:25]
	v_dual_sub_nc_u32 v4, 29, v4 :: v_dual_bitop2_b32 v2, 7, v2 bitop3:0x40
; %bb.159:                              ;   in Loop: Header=BB357_15 Depth=1
	s_or_b32 exec_lo, exec_lo, s19
	scratch_load_b64 v[6:7], off, s32 offset:256 ; 8-byte Folded Reload
	v_dual_lshlrev_b32 v3, 16, v0 :: v_dual_lshlrev_b32 v2, 20, v2
	v_lshl_add_u32 v4, v4, 23, 0x3c000000
	s_delay_alu instid0(VALU_DEP_2) | instskip(SKIP_1) | instid1(VALU_DEP_1)
	v_and_b32_e32 v3, 0x80000000, v3
	s_wait_loadcnt 0x0
	v_or3_b32 v7, v2, v3, v4
	scratch_store_b64 off, v[6:7], s32 offset:256 ; 8-byte Folded Spill
.LBB357_160:                            ;   in Loop: Header=BB357_15 Depth=1
	s_wait_xcnt 0x0
	s_or_b32 exec_lo, exec_lo, s18
.LBB357_161:                            ;   in Loop: Header=BB357_15 Depth=1
	s_delay_alu instid0(SALU_CYCLE_1)
	s_or_b32 exec_lo, exec_lo, s17
.LBB357_162:                            ;   in Loop: Header=BB357_15 Depth=1
	s_delay_alu instid0(SALU_CYCLE_1) | instskip(SKIP_3) | instid1(VALU_DEP_2)
	s_or_b32 exec_lo, exec_lo, s16
	v_dual_mov_b32 v7, 0 :: v_dual_lshrrev_b32 v4, 16, v0
	v_mov_b32_e32 v6, 0
	s_mov_b32 s16, exec_lo
	v_and_b32_e32 v2, 0xff, v4
	scratch_store_b64 off, v[6:7], s32 offset:264 ; 8-byte Folded Spill
	s_wait_xcnt 0x0
	v_cmpx_ne_u16_e32 0, v2
	s_cbranch_execz .LBB357_170
; %bb.163:                              ;   in Loop: Header=BB357_15 Depth=1
	v_cmp_ne_u16_e64 s1, 0x80, v2
	scratch_load_b64 v[2:3], off, s32 offset:264 ; 8-byte Folded Reload
	s_wait_loadcnt 0x0
	v_bfrev_b32_e32 v2, 1
	scratch_store_b64 off, v[2:3], s32 offset:264 ; 8-byte Folded Spill
	s_wait_xcnt 0x0
	s_and_saveexec_b32 s17, s1
	s_cbranch_execz .LBB357_169
; %bb.164:                              ;   in Loop: Header=BB357_15 Depth=1
	scratch_load_b64 v[6:7], off, s32 offset:264 ; 8-byte Folded Reload
	v_bfe_u32 v2, v0, 16, 7
	s_wait_loadcnt 0x0
	v_mov_b32_e32 v6, 0x7f800001
	s_mov_b32 s18, exec_lo
	scratch_store_b64 off, v[6:7], s32 offset:264 ; 8-byte Folded Spill
	s_wait_xcnt 0x0
	v_cmpx_ne_u32_e32 0x7f, v2
	s_cbranch_execz .LBB357_168
; %bb.165:                              ;   in Loop: Header=BB357_15 Depth=1
	v_dual_lshrrev_b32 v5, 3, v2 :: v_dual_bitop2_b32 v24, 7, v4 bitop3:0x40
	v_cmp_gt_u32_e64 s1, 8, v2
	s_delay_alu instid0(VALU_DEP_2)
	v_mov_b64_e32 v[2:3], v[24:25]
	s_and_saveexec_b32 s19, s1
; %bb.166:                              ;   in Loop: Header=BB357_15 Depth=1
	v_clz_i32_u32_e32 v2, v24
	s_delay_alu instid0(VALU_DEP_1) | instskip(NEXT) | instid1(VALU_DEP_1)
	v_min_u32_e32 v5, 32, v2
	v_subrev_nc_u32_e32 v2, 28, v5
	s_delay_alu instid0(VALU_DEP_1) | instskip(NEXT) | instid1(VALU_DEP_1)
	v_lshlrev_b64_e32 v[2:3], v2, v[24:25]
	v_dual_sub_nc_u32 v5, 29, v5 :: v_dual_bitop2_b32 v2, 7, v2 bitop3:0x40
; %bb.167:                              ;   in Loop: Header=BB357_15 Depth=1
	s_or_b32 exec_lo, exec_lo, s19
	scratch_load_b64 v[6:7], off, s32 offset:264 ; 8-byte Folded Reload
	v_dual_lshlrev_b32 v3, 24, v4 :: v_dual_lshlrev_b32 v2, 20, v2
	v_lshl_add_u32 v4, v5, 23, 0x3c000000
	s_delay_alu instid0(VALU_DEP_2) | instskip(SKIP_1) | instid1(VALU_DEP_1)
	v_and_b32_e32 v3, 0x80000000, v3
	s_wait_loadcnt 0x0
	v_or3_b32 v6, v2, v3, v4
	scratch_store_b64 off, v[6:7], s32 offset:264 ; 8-byte Folded Spill
.LBB357_168:                            ;   in Loop: Header=BB357_15 Depth=1
	s_wait_xcnt 0x0
	s_or_b32 exec_lo, exec_lo, s18
.LBB357_169:                            ;   in Loop: Header=BB357_15 Depth=1
	s_delay_alu instid0(SALU_CYCLE_1)
	s_or_b32 exec_lo, exec_lo, s17
.LBB357_170:                            ;   in Loop: Header=BB357_15 Depth=1
	s_delay_alu instid0(SALU_CYCLE_1) | instskip(NEXT) | instid1(SALU_CYCLE_1)
	s_or_b32 exec_lo, exec_lo, s16
	s_mov_b32 s16, exec_lo
	v_cmpx_lt_u32_e32 0xffffff, v0
	s_cbranch_execz .LBB357_178
; %bb.171:                              ;   in Loop: Header=BB357_15 Depth=1
	scratch_load_b64 v[2:3], off, s32 offset:264 ; 8-byte Folded Reload
	v_lshrrev_b32_e32 v4, 24, v0
	s_wait_loadcnt 0x0
	v_bfrev_b32_e32 v3, 1
	s_mov_b32 s17, exec_lo
	scratch_store_b64 off, v[2:3], s32 offset:264 ; 8-byte Folded Spill
	s_wait_xcnt 0x0
	v_cmpx_ne_u32_e32 0x80, v4
	s_cbranch_execz .LBB357_177
; %bb.172:                              ;   in Loop: Header=BB357_15 Depth=1
	scratch_load_b64 v[6:7], off, s32 offset:264 ; 8-byte Folded Reload
	v_bfe_u32 v2, v0, 24, 7
	s_wait_loadcnt 0x0
	v_mov_b32_e32 v7, 0x7f800001
	s_mov_b32 s18, exec_lo
	scratch_store_b64 off, v[6:7], s32 offset:264 ; 8-byte Folded Spill
	s_wait_xcnt 0x0
	v_cmpx_ne_u32_e32 0x7f, v2
	s_cbranch_execz .LBB357_176
; %bb.173:                              ;   in Loop: Header=BB357_15 Depth=1
	v_dual_lshrrev_b32 v5, 3, v2 :: v_dual_bitop2_b32 v24, 7, v4 bitop3:0x40
	v_cmp_gt_u32_e64 s1, 8, v2
	s_delay_alu instid0(VALU_DEP_2)
	v_mov_b64_e32 v[2:3], v[24:25]
	s_and_saveexec_b32 s19, s1
; %bb.174:                              ;   in Loop: Header=BB357_15 Depth=1
	v_clz_i32_u32_e32 v2, v24
	s_delay_alu instid0(VALU_DEP_1) | instskip(NEXT) | instid1(VALU_DEP_1)
	v_min_u32_e32 v5, 32, v2
	v_subrev_nc_u32_e32 v2, 28, v5
	s_delay_alu instid0(VALU_DEP_1) | instskip(NEXT) | instid1(VALU_DEP_1)
	v_lshlrev_b64_e32 v[2:3], v2, v[24:25]
	v_dual_sub_nc_u32 v5, 29, v5 :: v_dual_bitop2_b32 v2, 7, v2 bitop3:0x40
; %bb.175:                              ;   in Loop: Header=BB357_15 Depth=1
	s_or_b32 exec_lo, exec_lo, s19
	scratch_load_b64 v[6:7], off, s32 offset:264 ; 8-byte Folded Reload
	v_dual_lshlrev_b32 v3, 24, v4 :: v_dual_lshlrev_b32 v2, 20, v2
	v_lshl_add_u32 v4, v5, 23, 0x3c000000
	s_delay_alu instid0(VALU_DEP_2) | instskip(SKIP_1) | instid1(VALU_DEP_1)
	v_and_b32_e32 v3, 0x80000000, v3
	s_wait_loadcnt 0x0
	v_or3_b32 v7, v2, v3, v4
	scratch_store_b64 off, v[6:7], s32 offset:264 ; 8-byte Folded Spill
.LBB357_176:                            ;   in Loop: Header=BB357_15 Depth=1
	s_wait_xcnt 0x0
	s_or_b32 exec_lo, exec_lo, s18
.LBB357_177:                            ;   in Loop: Header=BB357_15 Depth=1
	s_delay_alu instid0(SALU_CYCLE_1)
	s_or_b32 exec_lo, exec_lo, s17
.LBB357_178:                            ;   in Loop: Header=BB357_15 Depth=1
	s_delay_alu instid0(SALU_CYCLE_1)
	s_or_b32 exec_lo, exec_lo, s16
	v_and_b32_e32 v2, 0xff, v1
	v_dual_mov_b32 v24, v1 :: v_dual_mov_b32 v5, 0
	v_mov_b32_e32 v4, 0
	s_mov_b32 s16, exec_lo
	scratch_store_b64 off, v[4:5], s32 offset:272 ; 8-byte Folded Spill
	s_wait_xcnt 0x0
	v_cmpx_ne_u16_e32 0, v2
	s_cbranch_execz .LBB357_186
; %bb.179:                              ;   in Loop: Header=BB357_15 Depth=1
	v_cmp_ne_u16_e64 s1, 0x80, v2
	scratch_load_b64 v[2:3], off, s32 offset:272 ; 8-byte Folded Reload
	s_wait_loadcnt 0x0
	v_bfrev_b32_e32 v2, 1
	scratch_store_b64 off, v[2:3], s32 offset:272 ; 8-byte Folded Spill
	s_wait_xcnt 0x0
	s_and_saveexec_b32 s17, s1
	s_cbranch_execz .LBB357_185
; %bb.180:                              ;   in Loop: Header=BB357_15 Depth=1
	scratch_load_b64 v[4:5], off, s32 offset:272 ; 8-byte Folded Reload
	v_and_b32_e32 v2, 0x7f, v1
	s_wait_loadcnt 0x0
	v_mov_b32_e32 v4, 0x7f800001
	s_mov_b32 s18, exec_lo
	scratch_store_b64 off, v[4:5], s32 offset:272 ; 8-byte Folded Spill
	s_wait_xcnt 0x0
	v_cmpx_ne_u32_e32 0x7f, v2
	s_cbranch_execz .LBB357_184
; %bb.181:                              ;   in Loop: Header=BB357_15 Depth=1
	v_lshrrev_b32_e32 v4, 3, v2
	v_cmp_gt_u32_e64 s1, 8, v2
	v_mov_b64_e32 v[2:3], v[24:25]
	s_and_saveexec_b32 s19, s1
; %bb.182:                              ;   in Loop: Header=BB357_15 Depth=1
	v_and_b32_e32 v2, 7, v1
	s_delay_alu instid0(VALU_DEP_1) | instskip(NEXT) | instid1(VALU_DEP_1)
	v_clz_i32_u32_e32 v2, v2
	v_min_u32_e32 v4, 32, v2
	s_delay_alu instid0(VALU_DEP_1) | instskip(SKIP_1) | instid1(VALU_DEP_2)
	v_subrev_nc_u32_e32 v2, 28, v4
	v_sub_nc_u32_e32 v4, 29, v4
	v_lshlrev_b64_e32 v[2:3], v2, v[24:25]
; %bb.183:                              ;   in Loop: Header=BB357_15 Depth=1
	s_or_b32 exec_lo, exec_lo, s19
	scratch_load_b64 v[6:7], off, s32 offset:272 ; 8-byte Folded Reload
	v_dual_lshlrev_b32 v2, 20, v2 :: v_dual_lshlrev_b32 v3, 24, v24
	v_lshl_add_u32 v4, v4, 23, 0x3c000000
	s_delay_alu instid0(VALU_DEP_2) | instskip(NEXT) | instid1(VALU_DEP_3)
	v_and_b32_e32 v2, 0x700000, v2
	v_and_b32_e32 v3, 0x80000000, v3
	s_wait_loadcnt 0x0
	s_delay_alu instid0(VALU_DEP_1)
	v_or3_b32 v6, v2, v3, v4
	scratch_store_b64 off, v[6:7], s32 offset:272 ; 8-byte Folded Spill
.LBB357_184:                            ;   in Loop: Header=BB357_15 Depth=1
	s_wait_xcnt 0x0
	s_or_b32 exec_lo, exec_lo, s18
.LBB357_185:                            ;   in Loop: Header=BB357_15 Depth=1
	s_delay_alu instid0(SALU_CYCLE_1)
	s_or_b32 exec_lo, exec_lo, s17
.LBB357_186:                            ;   in Loop: Header=BB357_15 Depth=1
	s_delay_alu instid0(SALU_CYCLE_1) | instskip(SKIP_2) | instid1(VALU_DEP_1)
	s_or_b32 exec_lo, exec_lo, s16
	v_lshrrev_b16 v2, 8, v24
	s_mov_b32 s16, exec_lo
	v_cmpx_ne_u16_e32 0, v2
	s_cbranch_execz .LBB357_194
; %bb.187:                              ;   in Loop: Header=BB357_15 Depth=1
	scratch_load_b64 v[4:5], off, s32 offset:272 ; 8-byte Folded Reload
	s_wait_loadcnt 0x0
	v_bfrev_b32_e32 v5, 1
	s_mov_b32 s17, exec_lo
	scratch_store_b64 off, v[4:5], s32 offset:272 ; 8-byte Folded Spill
	s_wait_xcnt 0x0
	v_cmpx_ne_u16_e32 0x80, v2
	s_cbranch_execz .LBB357_193
; %bb.188:                              ;   in Loop: Header=BB357_15 Depth=1
	scratch_load_b64 v[6:7], off, s32 offset:272 ; 8-byte Folded Reload
	v_and_b32_e32 v2, 0xffff, v2
	s_wait_loadcnt 0x0
	v_mov_b32_e32 v7, 0x7f800001
	s_mov_b32 s18, exec_lo
	s_delay_alu instid0(VALU_DEP_2)
	v_and_b32_e32 v5, 0x7f, v2
	scratch_store_b64 off, v[6:7], s32 offset:272 ; 8-byte Folded Spill
	s_wait_xcnt 0x0
	v_cmpx_ne_u32_e32 0x7f, v5
	s_cbranch_execz .LBB357_192
; %bb.189:                              ;   in Loop: Header=BB357_15 Depth=1
	v_dual_mov_b32 v3, v25 :: v_dual_bitop2_b32 v2, 7, v2 bitop3:0x40
	v_lshrrev_b32_e32 v4, 3, v5
	s_mov_b32 s19, exec_lo
	v_cmpx_gt_u32_e32 8, v5
; %bb.190:                              ;   in Loop: Header=BB357_15 Depth=1
	s_delay_alu instid0(VALU_DEP_3) | instskip(NEXT) | instid1(VALU_DEP_1)
	v_clz_i32_u32_e32 v4, v2
	v_min_u32_e32 v4, 32, v4
	s_delay_alu instid0(VALU_DEP_1) | instskip(NEXT) | instid1(VALU_DEP_1)
	v_subrev_nc_u32_e32 v5, 28, v4
	v_lshlrev_b64_e32 v[2:3], v5, v[2:3]
	s_delay_alu instid0(VALU_DEP_1)
	v_dual_sub_nc_u32 v4, 29, v4 :: v_dual_bitop2_b32 v2, 7, v2 bitop3:0x40
; %bb.191:                              ;   in Loop: Header=BB357_15 Depth=1
	s_or_b32 exec_lo, exec_lo, s19
	scratch_load_b64 v[6:7], off, s32 offset:272 ; 8-byte Folded Reload
	v_dual_lshlrev_b32 v3, 16, v24 :: v_dual_lshlrev_b32 v2, 20, v2
	v_lshl_add_u32 v4, v4, 23, 0x3c000000
	s_delay_alu instid0(VALU_DEP_2) | instskip(SKIP_1) | instid1(VALU_DEP_1)
	v_and_b32_e32 v3, 0x80000000, v3
	s_wait_loadcnt 0x0
	v_or3_b32 v7, v2, v3, v4
	scratch_store_b64 off, v[6:7], s32 offset:272 ; 8-byte Folded Spill
.LBB357_192:                            ;   in Loop: Header=BB357_15 Depth=1
	s_wait_xcnt 0x0
	s_or_b32 exec_lo, exec_lo, s18
.LBB357_193:                            ;   in Loop: Header=BB357_15 Depth=1
	s_delay_alu instid0(SALU_CYCLE_1)
	s_or_b32 exec_lo, exec_lo, s17
.LBB357_194:                            ;   in Loop: Header=BB357_15 Depth=1
	s_delay_alu instid0(SALU_CYCLE_1) | instskip(SKIP_3) | instid1(VALU_DEP_2)
	s_or_b32 exec_lo, exec_lo, s16
	v_dual_mov_b32 v7, 0 :: v_dual_lshrrev_b32 v4, 16, v1
	v_mov_b32_e32 v6, 0
	s_mov_b32 s16, exec_lo
	v_and_b32_e32 v2, 0xff, v4
	scratch_store_b64 off, v[6:7], s32 offset:280 ; 8-byte Folded Spill
	s_wait_xcnt 0x0
	v_cmpx_ne_u16_e32 0, v2
	s_cbranch_execz .LBB357_202
; %bb.195:                              ;   in Loop: Header=BB357_15 Depth=1
	v_cmp_ne_u16_e64 s1, 0x80, v2
	scratch_load_b64 v[2:3], off, s32 offset:280 ; 8-byte Folded Reload
	s_wait_loadcnt 0x0
	v_bfrev_b32_e32 v2, 1
	scratch_store_b64 off, v[2:3], s32 offset:280 ; 8-byte Folded Spill
	s_wait_xcnt 0x0
	s_and_saveexec_b32 s17, s1
	s_cbranch_execz .LBB357_201
; %bb.196:                              ;   in Loop: Header=BB357_15 Depth=1
	scratch_load_b64 v[6:7], off, s32 offset:280 ; 8-byte Folded Reload
	v_bfe_u32 v2, v1, 16, 7
	s_wait_loadcnt 0x0
	v_mov_b32_e32 v6, 0x7f800001
	s_mov_b32 s18, exec_lo
	scratch_store_b64 off, v[6:7], s32 offset:280 ; 8-byte Folded Spill
	s_wait_xcnt 0x0
	v_cmpx_ne_u32_e32 0x7f, v2
	s_cbranch_execz .LBB357_200
; %bb.197:                              ;   in Loop: Header=BB357_15 Depth=1
	v_dual_lshrrev_b32 v5, 3, v2 :: v_dual_bitop2_b32 v24, 7, v4 bitop3:0x40
	v_cmp_gt_u32_e64 s1, 8, v2
	s_delay_alu instid0(VALU_DEP_2)
	v_mov_b64_e32 v[2:3], v[24:25]
	s_and_saveexec_b32 s19, s1
; %bb.198:                              ;   in Loop: Header=BB357_15 Depth=1
	v_clz_i32_u32_e32 v2, v24
	s_delay_alu instid0(VALU_DEP_1) | instskip(NEXT) | instid1(VALU_DEP_1)
	v_min_u32_e32 v5, 32, v2
	v_subrev_nc_u32_e32 v2, 28, v5
	s_delay_alu instid0(VALU_DEP_1) | instskip(NEXT) | instid1(VALU_DEP_1)
	v_lshlrev_b64_e32 v[2:3], v2, v[24:25]
	v_dual_sub_nc_u32 v5, 29, v5 :: v_dual_bitop2_b32 v2, 7, v2 bitop3:0x40
; %bb.199:                              ;   in Loop: Header=BB357_15 Depth=1
	s_or_b32 exec_lo, exec_lo, s19
	scratch_load_b64 v[6:7], off, s32 offset:280 ; 8-byte Folded Reload
	v_dual_lshlrev_b32 v3, 24, v4 :: v_dual_lshlrev_b32 v2, 20, v2
	v_lshl_add_u32 v4, v5, 23, 0x3c000000
	s_delay_alu instid0(VALU_DEP_2) | instskip(SKIP_1) | instid1(VALU_DEP_1)
	v_and_b32_e32 v3, 0x80000000, v3
	s_wait_loadcnt 0x0
	v_or3_b32 v6, v2, v3, v4
	scratch_store_b64 off, v[6:7], s32 offset:280 ; 8-byte Folded Spill
.LBB357_200:                            ;   in Loop: Header=BB357_15 Depth=1
	s_wait_xcnt 0x0
	s_or_b32 exec_lo, exec_lo, s18
.LBB357_201:                            ;   in Loop: Header=BB357_15 Depth=1
	s_delay_alu instid0(SALU_CYCLE_1)
	s_or_b32 exec_lo, exec_lo, s17
.LBB357_202:                            ;   in Loop: Header=BB357_15 Depth=1
	s_delay_alu instid0(SALU_CYCLE_1) | instskip(NEXT) | instid1(SALU_CYCLE_1)
	s_or_b32 exec_lo, exec_lo, s16
	s_mov_b32 s16, exec_lo
	v_cmpx_lt_u64_e64 s[8:9], v[0:1]
	s_cbranch_execz .LBB357_210
; %bb.203:                              ;   in Loop: Header=BB357_15 Depth=1
	scratch_load_b64 v[4:5], off, s32 offset:280 ; 8-byte Folded Reload
	v_lshrrev_b32_e32 v2, 24, v1
	s_wait_loadcnt 0x0
	v_bfrev_b32_e32 v5, 1
	s_mov_b32 s17, exec_lo
	scratch_store_b64 off, v[4:5], s32 offset:280 ; 8-byte Folded Spill
	s_wait_xcnt 0x0
	v_cmpx_ne_u32_e32 0x80, v2
	s_cbranch_execz .LBB357_209
; %bb.204:                              ;   in Loop: Header=BB357_15 Depth=1
	scratch_load_b64 v[4:5], off, s32 offset:280 ; 8-byte Folded Reload
	v_bfe_u32 v0, v1, 24, 7
	s_wait_loadcnt 0x0
	v_mov_b32_e32 v5, 0x7f800001
	s_mov_b32 s18, exec_lo
	scratch_store_b64 off, v[4:5], s32 offset:280 ; 8-byte Folded Spill
	s_wait_xcnt 0x0
	v_cmpx_ne_u32_e32 0x7f, v0
	s_cbranch_execz .LBB357_208
; %bb.205:                              ;   in Loop: Header=BB357_15 Depth=1
	v_dual_lshrrev_b32 v3, 3, v0 :: v_dual_bitop2_b32 v24, 7, v2 bitop3:0x40
	v_cmp_gt_u32_e64 s1, 8, v0
	s_delay_alu instid0(VALU_DEP_2)
	v_mov_b64_e32 v[0:1], v[24:25]
	s_and_saveexec_b32 s19, s1
; %bb.206:                              ;   in Loop: Header=BB357_15 Depth=1
	v_clz_i32_u32_e32 v0, v24
	s_delay_alu instid0(VALU_DEP_1) | instskip(NEXT) | instid1(VALU_DEP_1)
	v_min_u32_e32 v3, 32, v0
	v_subrev_nc_u32_e32 v0, 28, v3
	s_delay_alu instid0(VALU_DEP_1) | instskip(NEXT) | instid1(VALU_DEP_1)
	v_lshlrev_b64_e32 v[0:1], v0, v[24:25]
	v_dual_sub_nc_u32 v3, 29, v3 :: v_dual_bitop2_b32 v0, 7, v0 bitop3:0x40
; %bb.207:                              ;   in Loop: Header=BB357_15 Depth=1
	s_or_b32 exec_lo, exec_lo, s19
	scratch_load_b64 v[4:5], off, s32 offset:280 ; 8-byte Folded Reload
	v_dual_lshlrev_b32 v1, 24, v2 :: v_dual_lshlrev_b32 v0, 20, v0
	v_lshl_add_u32 v2, v3, 23, 0x3c000000
	s_delay_alu instid0(VALU_DEP_2) | instskip(SKIP_1) | instid1(VALU_DEP_1)
	v_and_b32_e32 v1, 0x80000000, v1
	s_wait_loadcnt 0x0
	v_or3_b32 v5, v0, v1, v2
	scratch_store_b64 off, v[4:5], s32 offset:280 ; 8-byte Folded Spill
.LBB357_208:                            ;   in Loop: Header=BB357_15 Depth=1
	s_wait_xcnt 0x0
	s_or_b32 exec_lo, exec_lo, s18
.LBB357_209:                            ;   in Loop: Header=BB357_15 Depth=1
	s_delay_alu instid0(SALU_CYCLE_1)
	s_or_b32 exec_lo, exec_lo, s17
.LBB357_210:                            ;   in Loop: Header=BB357_15 Depth=1
	s_delay_alu instid0(SALU_CYCLE_1)
	s_or_b32 exec_lo, exec_lo, s16
	flat_load_b64 v[0:1], v[102:103] offset:520
	v_dual_mov_b32 v5, 0 :: v_dual_mov_b32 v4, 0
	s_mov_b32 s16, exec_lo
	scratch_store_b64 off, v[4:5], s32 offset:288 ; 8-byte Folded Spill
	s_wait_loadcnt_dscnt 0x0
	v_and_b32_e32 v2, 0xff, v0
	s_wait_xcnt 0x0
	s_delay_alu instid0(VALU_DEP_1)
	v_cmpx_ne_u16_e32 0, v2
	s_cbranch_execz .LBB357_218
; %bb.211:                              ;   in Loop: Header=BB357_15 Depth=1
	v_cmp_ne_u16_e64 s1, 0x80, v2
	scratch_load_b64 v[2:3], off, s32 offset:288 ; 8-byte Folded Reload
	s_wait_loadcnt 0x0
	v_bfrev_b32_e32 v2, 1
	scratch_store_b64 off, v[2:3], s32 offset:288 ; 8-byte Folded Spill
	s_wait_xcnt 0x0
	s_and_saveexec_b32 s17, s1
	s_cbranch_execz .LBB357_217
; %bb.212:                              ;   in Loop: Header=BB357_15 Depth=1
	scratch_load_b64 v[4:5], off, s32 offset:288 ; 8-byte Folded Reload
	v_and_b32_e32 v2, 0x7f, v0
	s_wait_loadcnt 0x0
	v_mov_b32_e32 v4, 0x7f800001
	s_mov_b32 s18, exec_lo
	scratch_store_b64 off, v[4:5], s32 offset:288 ; 8-byte Folded Spill
	s_wait_xcnt 0x0
	v_cmpx_ne_u32_e32 0x7f, v2
	s_cbranch_execz .LBB357_216
; %bb.213:                              ;   in Loop: Header=BB357_15 Depth=1
	v_lshrrev_b32_e32 v4, 3, v2
	v_cmp_gt_u32_e64 s1, 8, v2
	v_mov_b64_e32 v[2:3], v[0:1]
	s_and_saveexec_b32 s19, s1
; %bb.214:                              ;   in Loop: Header=BB357_15 Depth=1
	v_and_b32_e32 v2, 7, v0
	s_delay_alu instid0(VALU_DEP_1) | instskip(NEXT) | instid1(VALU_DEP_1)
	v_clz_i32_u32_e32 v2, v2
	v_min_u32_e32 v4, 32, v2
	s_delay_alu instid0(VALU_DEP_1) | instskip(SKIP_1) | instid1(VALU_DEP_2)
	v_subrev_nc_u32_e32 v2, 28, v4
	v_sub_nc_u32_e32 v4, 29, v4
	v_lshlrev_b64_e32 v[2:3], v2, v[0:1]
; %bb.215:                              ;   in Loop: Header=BB357_15 Depth=1
	s_or_b32 exec_lo, exec_lo, s19
	scratch_load_b64 v[6:7], off, s32 offset:288 ; 8-byte Folded Reload
	v_dual_lshlrev_b32 v2, 20, v2 :: v_dual_lshlrev_b32 v3, 24, v0
	v_lshl_add_u32 v4, v4, 23, 0x3c000000
	s_delay_alu instid0(VALU_DEP_2) | instskip(NEXT) | instid1(VALU_DEP_3)
	v_and_b32_e32 v2, 0x700000, v2
	v_and_b32_e32 v3, 0x80000000, v3
	s_wait_loadcnt 0x0
	s_delay_alu instid0(VALU_DEP_1)
	v_or3_b32 v6, v2, v3, v4
	scratch_store_b64 off, v[6:7], s32 offset:288 ; 8-byte Folded Spill
.LBB357_216:                            ;   in Loop: Header=BB357_15 Depth=1
	s_wait_xcnt 0x0
	s_or_b32 exec_lo, exec_lo, s18
.LBB357_217:                            ;   in Loop: Header=BB357_15 Depth=1
	s_delay_alu instid0(SALU_CYCLE_1)
	s_or_b32 exec_lo, exec_lo, s17
.LBB357_218:                            ;   in Loop: Header=BB357_15 Depth=1
	s_delay_alu instid0(SALU_CYCLE_1) | instskip(SKIP_2) | instid1(VALU_DEP_1)
	s_or_b32 exec_lo, exec_lo, s16
	v_lshrrev_b16 v2, 8, v0
	s_mov_b32 s16, exec_lo
	v_cmpx_ne_u16_e32 0, v2
	s_cbranch_execz .LBB357_226
; %bb.219:                              ;   in Loop: Header=BB357_15 Depth=1
	scratch_load_b64 v[4:5], off, s32 offset:288 ; 8-byte Folded Reload
	s_wait_loadcnt 0x0
	v_bfrev_b32_e32 v5, 1
	s_mov_b32 s17, exec_lo
	scratch_store_b64 off, v[4:5], s32 offset:288 ; 8-byte Folded Spill
	s_wait_xcnt 0x0
	v_cmpx_ne_u16_e32 0x80, v2
	s_cbranch_execz .LBB357_225
; %bb.220:                              ;   in Loop: Header=BB357_15 Depth=1
	scratch_load_b64 v[4:5], off, s32 offset:288 ; 8-byte Folded Reload
	v_and_b32_e32 v3, 0xffff, v2
	s_wait_loadcnt 0x0
	v_mov_b32_e32 v5, 0x7f800001
	s_mov_b32 s18, exec_lo
	s_delay_alu instid0(VALU_DEP_2)
	v_and_b32_e32 v2, 0x7f, v3
	scratch_store_b64 off, v[4:5], s32 offset:288 ; 8-byte Folded Spill
	s_wait_xcnt 0x0
	v_cmpx_ne_u32_e32 0x7f, v2
	s_cbranch_execz .LBB357_224
; %bb.221:                              ;   in Loop: Header=BB357_15 Depth=1
	v_dual_lshrrev_b32 v4, 3, v2 :: v_dual_bitop2_b32 v24, 7, v3 bitop3:0x40
	v_cmp_gt_u32_e64 s1, 8, v2
	s_delay_alu instid0(VALU_DEP_2)
	v_mov_b64_e32 v[2:3], v[24:25]
	s_and_saveexec_b32 s19, s1
; %bb.222:                              ;   in Loop: Header=BB357_15 Depth=1
	v_clz_i32_u32_e32 v2, v24
	s_delay_alu instid0(VALU_DEP_1) | instskip(NEXT) | instid1(VALU_DEP_1)
	v_min_u32_e32 v4, 32, v2
	v_subrev_nc_u32_e32 v2, 28, v4
	s_delay_alu instid0(VALU_DEP_1) | instskip(NEXT) | instid1(VALU_DEP_1)
	v_lshlrev_b64_e32 v[2:3], v2, v[24:25]
	v_dual_sub_nc_u32 v4, 29, v4 :: v_dual_bitop2_b32 v2, 7, v2 bitop3:0x40
; %bb.223:                              ;   in Loop: Header=BB357_15 Depth=1
	s_or_b32 exec_lo, exec_lo, s19
	scratch_load_b64 v[6:7], off, s32 offset:288 ; 8-byte Folded Reload
	v_dual_lshlrev_b32 v3, 16, v0 :: v_dual_lshlrev_b32 v2, 20, v2
	v_lshl_add_u32 v4, v4, 23, 0x3c000000
	s_delay_alu instid0(VALU_DEP_2) | instskip(SKIP_1) | instid1(VALU_DEP_1)
	v_and_b32_e32 v3, 0x80000000, v3
	s_wait_loadcnt 0x0
	v_or3_b32 v7, v2, v3, v4
	scratch_store_b64 off, v[6:7], s32 offset:288 ; 8-byte Folded Spill
.LBB357_224:                            ;   in Loop: Header=BB357_15 Depth=1
	s_wait_xcnt 0x0
	s_or_b32 exec_lo, exec_lo, s18
.LBB357_225:                            ;   in Loop: Header=BB357_15 Depth=1
	s_delay_alu instid0(SALU_CYCLE_1)
	s_or_b32 exec_lo, exec_lo, s17
.LBB357_226:                            ;   in Loop: Header=BB357_15 Depth=1
	s_delay_alu instid0(SALU_CYCLE_1) | instskip(SKIP_3) | instid1(VALU_DEP_2)
	s_or_b32 exec_lo, exec_lo, s16
	v_dual_mov_b32 v7, 0 :: v_dual_lshrrev_b32 v4, 16, v0
	v_mov_b32_e32 v6, 0
	s_mov_b32 s16, exec_lo
	v_and_b32_e32 v2, 0xff, v4
	scratch_store_b64 off, v[6:7], s32 offset:296 ; 8-byte Folded Spill
	s_wait_xcnt 0x0
	v_cmpx_ne_u16_e32 0, v2
	s_cbranch_execz .LBB357_234
; %bb.227:                              ;   in Loop: Header=BB357_15 Depth=1
	v_cmp_ne_u16_e64 s1, 0x80, v2
	scratch_load_b64 v[2:3], off, s32 offset:296 ; 8-byte Folded Reload
	s_wait_loadcnt 0x0
	v_bfrev_b32_e32 v2, 1
	scratch_store_b64 off, v[2:3], s32 offset:296 ; 8-byte Folded Spill
	s_wait_xcnt 0x0
	s_and_saveexec_b32 s17, s1
	s_cbranch_execz .LBB357_233
; %bb.228:                              ;   in Loop: Header=BB357_15 Depth=1
	scratch_load_b64 v[6:7], off, s32 offset:296 ; 8-byte Folded Reload
	v_bfe_u32 v2, v0, 16, 7
	s_wait_loadcnt 0x0
	v_mov_b32_e32 v6, 0x7f800001
	s_mov_b32 s18, exec_lo
	scratch_store_b64 off, v[6:7], s32 offset:296 ; 8-byte Folded Spill
	s_wait_xcnt 0x0
	v_cmpx_ne_u32_e32 0x7f, v2
	s_cbranch_execz .LBB357_232
; %bb.229:                              ;   in Loop: Header=BB357_15 Depth=1
	v_dual_lshrrev_b32 v5, 3, v2 :: v_dual_bitop2_b32 v24, 7, v4 bitop3:0x40
	v_cmp_gt_u32_e64 s1, 8, v2
	s_delay_alu instid0(VALU_DEP_2)
	v_mov_b64_e32 v[2:3], v[24:25]
	s_and_saveexec_b32 s19, s1
; %bb.230:                              ;   in Loop: Header=BB357_15 Depth=1
	v_clz_i32_u32_e32 v2, v24
	s_delay_alu instid0(VALU_DEP_1) | instskip(NEXT) | instid1(VALU_DEP_1)
	v_min_u32_e32 v5, 32, v2
	v_subrev_nc_u32_e32 v2, 28, v5
	s_delay_alu instid0(VALU_DEP_1) | instskip(NEXT) | instid1(VALU_DEP_1)
	v_lshlrev_b64_e32 v[2:3], v2, v[24:25]
	v_dual_sub_nc_u32 v5, 29, v5 :: v_dual_bitop2_b32 v2, 7, v2 bitop3:0x40
; %bb.231:                              ;   in Loop: Header=BB357_15 Depth=1
	s_or_b32 exec_lo, exec_lo, s19
	scratch_load_b64 v[6:7], off, s32 offset:296 ; 8-byte Folded Reload
	v_dual_lshlrev_b32 v3, 24, v4 :: v_dual_lshlrev_b32 v2, 20, v2
	v_lshl_add_u32 v4, v5, 23, 0x3c000000
	s_delay_alu instid0(VALU_DEP_2) | instskip(SKIP_1) | instid1(VALU_DEP_1)
	v_and_b32_e32 v3, 0x80000000, v3
	s_wait_loadcnt 0x0
	v_or3_b32 v6, v2, v3, v4
	scratch_store_b64 off, v[6:7], s32 offset:296 ; 8-byte Folded Spill
.LBB357_232:                            ;   in Loop: Header=BB357_15 Depth=1
	s_wait_xcnt 0x0
	s_or_b32 exec_lo, exec_lo, s18
.LBB357_233:                            ;   in Loop: Header=BB357_15 Depth=1
	s_delay_alu instid0(SALU_CYCLE_1)
	s_or_b32 exec_lo, exec_lo, s17
.LBB357_234:                            ;   in Loop: Header=BB357_15 Depth=1
	s_delay_alu instid0(SALU_CYCLE_1) | instskip(NEXT) | instid1(SALU_CYCLE_1)
	s_or_b32 exec_lo, exec_lo, s16
	s_mov_b32 s16, exec_lo
	v_cmpx_lt_u32_e32 0xffffff, v0
	s_cbranch_execz .LBB357_242
; %bb.235:                              ;   in Loop: Header=BB357_15 Depth=1
	scratch_load_b64 v[2:3], off, s32 offset:296 ; 8-byte Folded Reload
	v_lshrrev_b32_e32 v4, 24, v0
	s_wait_loadcnt 0x0
	v_bfrev_b32_e32 v3, 1
	s_mov_b32 s17, exec_lo
	scratch_store_b64 off, v[2:3], s32 offset:296 ; 8-byte Folded Spill
	s_wait_xcnt 0x0
	v_cmpx_ne_u32_e32 0x80, v4
	s_cbranch_execz .LBB357_241
; %bb.236:                              ;   in Loop: Header=BB357_15 Depth=1
	scratch_load_b64 v[6:7], off, s32 offset:296 ; 8-byte Folded Reload
	v_bfe_u32 v2, v0, 24, 7
	s_wait_loadcnt 0x0
	v_mov_b32_e32 v7, 0x7f800001
	s_mov_b32 s18, exec_lo
	scratch_store_b64 off, v[6:7], s32 offset:296 ; 8-byte Folded Spill
	s_wait_xcnt 0x0
	v_cmpx_ne_u32_e32 0x7f, v2
	s_cbranch_execz .LBB357_240
; %bb.237:                              ;   in Loop: Header=BB357_15 Depth=1
	v_dual_lshrrev_b32 v5, 3, v2 :: v_dual_bitop2_b32 v24, 7, v4 bitop3:0x40
	v_cmp_gt_u32_e64 s1, 8, v2
	s_delay_alu instid0(VALU_DEP_2)
	v_mov_b64_e32 v[2:3], v[24:25]
	s_and_saveexec_b32 s19, s1
; %bb.238:                              ;   in Loop: Header=BB357_15 Depth=1
	v_clz_i32_u32_e32 v2, v24
	s_delay_alu instid0(VALU_DEP_1) | instskip(NEXT) | instid1(VALU_DEP_1)
	v_min_u32_e32 v5, 32, v2
	v_subrev_nc_u32_e32 v2, 28, v5
	s_delay_alu instid0(VALU_DEP_1) | instskip(NEXT) | instid1(VALU_DEP_1)
	v_lshlrev_b64_e32 v[2:3], v2, v[24:25]
	v_dual_sub_nc_u32 v5, 29, v5 :: v_dual_bitop2_b32 v2, 7, v2 bitop3:0x40
; %bb.239:                              ;   in Loop: Header=BB357_15 Depth=1
	s_or_b32 exec_lo, exec_lo, s19
	scratch_load_b64 v[6:7], off, s32 offset:296 ; 8-byte Folded Reload
	v_dual_lshlrev_b32 v3, 24, v4 :: v_dual_lshlrev_b32 v2, 20, v2
	v_lshl_add_u32 v4, v5, 23, 0x3c000000
	s_delay_alu instid0(VALU_DEP_2) | instskip(SKIP_1) | instid1(VALU_DEP_1)
	v_and_b32_e32 v3, 0x80000000, v3
	s_wait_loadcnt 0x0
	v_or3_b32 v7, v2, v3, v4
	scratch_store_b64 off, v[6:7], s32 offset:296 ; 8-byte Folded Spill
.LBB357_240:                            ;   in Loop: Header=BB357_15 Depth=1
	s_wait_xcnt 0x0
	s_or_b32 exec_lo, exec_lo, s18
.LBB357_241:                            ;   in Loop: Header=BB357_15 Depth=1
	s_delay_alu instid0(SALU_CYCLE_1)
	s_or_b32 exec_lo, exec_lo, s17
.LBB357_242:                            ;   in Loop: Header=BB357_15 Depth=1
	s_delay_alu instid0(SALU_CYCLE_1)
	s_or_b32 exec_lo, exec_lo, s16
	v_and_b32_e32 v2, 0xff, v1
	v_dual_mov_b32 v24, v1 :: v_dual_mov_b32 v5, 0
	v_mov_b32_e32 v4, 0
	s_mov_b32 s16, exec_lo
	scratch_store_b64 off, v[4:5], s32 offset:304 ; 8-byte Folded Spill
	s_wait_xcnt 0x0
	v_cmpx_ne_u16_e32 0, v2
	s_cbranch_execz .LBB357_250
; %bb.243:                              ;   in Loop: Header=BB357_15 Depth=1
	v_cmp_ne_u16_e64 s1, 0x80, v2
	scratch_load_b64 v[2:3], off, s32 offset:304 ; 8-byte Folded Reload
	s_wait_loadcnt 0x0
	v_bfrev_b32_e32 v2, 1
	scratch_store_b64 off, v[2:3], s32 offset:304 ; 8-byte Folded Spill
	s_wait_xcnt 0x0
	s_and_saveexec_b32 s17, s1
	s_cbranch_execz .LBB357_249
; %bb.244:                              ;   in Loop: Header=BB357_15 Depth=1
	scratch_load_b64 v[4:5], off, s32 offset:304 ; 8-byte Folded Reload
	v_and_b32_e32 v2, 0x7f, v1
	s_wait_loadcnt 0x0
	v_mov_b32_e32 v4, 0x7f800001
	s_mov_b32 s18, exec_lo
	scratch_store_b64 off, v[4:5], s32 offset:304 ; 8-byte Folded Spill
	s_wait_xcnt 0x0
	v_cmpx_ne_u32_e32 0x7f, v2
	s_cbranch_execz .LBB357_248
; %bb.245:                              ;   in Loop: Header=BB357_15 Depth=1
	v_lshrrev_b32_e32 v4, 3, v2
	v_cmp_gt_u32_e64 s1, 8, v2
	v_mov_b64_e32 v[2:3], v[24:25]
	s_and_saveexec_b32 s19, s1
; %bb.246:                              ;   in Loop: Header=BB357_15 Depth=1
	v_and_b32_e32 v2, 7, v1
	s_delay_alu instid0(VALU_DEP_1) | instskip(NEXT) | instid1(VALU_DEP_1)
	v_clz_i32_u32_e32 v2, v2
	v_min_u32_e32 v4, 32, v2
	s_delay_alu instid0(VALU_DEP_1) | instskip(SKIP_1) | instid1(VALU_DEP_2)
	v_subrev_nc_u32_e32 v2, 28, v4
	v_sub_nc_u32_e32 v4, 29, v4
	v_lshlrev_b64_e32 v[2:3], v2, v[24:25]
; %bb.247:                              ;   in Loop: Header=BB357_15 Depth=1
	s_or_b32 exec_lo, exec_lo, s19
	scratch_load_b64 v[6:7], off, s32 offset:304 ; 8-byte Folded Reload
	v_dual_lshlrev_b32 v2, 20, v2 :: v_dual_lshlrev_b32 v3, 24, v24
	v_lshl_add_u32 v4, v4, 23, 0x3c000000
	s_delay_alu instid0(VALU_DEP_2) | instskip(NEXT) | instid1(VALU_DEP_3)
	v_and_b32_e32 v2, 0x700000, v2
	v_and_b32_e32 v3, 0x80000000, v3
	s_wait_loadcnt 0x0
	s_delay_alu instid0(VALU_DEP_1)
	v_or3_b32 v6, v2, v3, v4
	scratch_store_b64 off, v[6:7], s32 offset:304 ; 8-byte Folded Spill
.LBB357_248:                            ;   in Loop: Header=BB357_15 Depth=1
	s_wait_xcnt 0x0
	s_or_b32 exec_lo, exec_lo, s18
.LBB357_249:                            ;   in Loop: Header=BB357_15 Depth=1
	s_delay_alu instid0(SALU_CYCLE_1)
	s_or_b32 exec_lo, exec_lo, s17
.LBB357_250:                            ;   in Loop: Header=BB357_15 Depth=1
	s_delay_alu instid0(SALU_CYCLE_1) | instskip(SKIP_2) | instid1(VALU_DEP_1)
	s_or_b32 exec_lo, exec_lo, s16
	v_lshrrev_b16 v2, 8, v24
	s_mov_b32 s16, exec_lo
	v_cmpx_ne_u16_e32 0, v2
	s_cbranch_execz .LBB357_258
; %bb.251:                              ;   in Loop: Header=BB357_15 Depth=1
	scratch_load_b64 v[4:5], off, s32 offset:304 ; 8-byte Folded Reload
	s_wait_loadcnt 0x0
	v_bfrev_b32_e32 v5, 1
	s_mov_b32 s17, exec_lo
	scratch_store_b64 off, v[4:5], s32 offset:304 ; 8-byte Folded Spill
	s_wait_xcnt 0x0
	v_cmpx_ne_u16_e32 0x80, v2
	s_cbranch_execz .LBB357_257
; %bb.252:                              ;   in Loop: Header=BB357_15 Depth=1
	scratch_load_b64 v[6:7], off, s32 offset:304 ; 8-byte Folded Reload
	v_and_b32_e32 v2, 0xffff, v2
	s_wait_loadcnt 0x0
	v_mov_b32_e32 v7, 0x7f800001
	s_mov_b32 s18, exec_lo
	s_delay_alu instid0(VALU_DEP_2)
	v_and_b32_e32 v5, 0x7f, v2
	scratch_store_b64 off, v[6:7], s32 offset:304 ; 8-byte Folded Spill
	s_wait_xcnt 0x0
	v_cmpx_ne_u32_e32 0x7f, v5
	s_cbranch_execz .LBB357_256
; %bb.253:                              ;   in Loop: Header=BB357_15 Depth=1
	v_dual_mov_b32 v3, v25 :: v_dual_bitop2_b32 v2, 7, v2 bitop3:0x40
	v_lshrrev_b32_e32 v4, 3, v5
	s_mov_b32 s19, exec_lo
	v_cmpx_gt_u32_e32 8, v5
; %bb.254:                              ;   in Loop: Header=BB357_15 Depth=1
	s_delay_alu instid0(VALU_DEP_3) | instskip(NEXT) | instid1(VALU_DEP_1)
	v_clz_i32_u32_e32 v4, v2
	v_min_u32_e32 v4, 32, v4
	s_delay_alu instid0(VALU_DEP_1) | instskip(NEXT) | instid1(VALU_DEP_1)
	v_subrev_nc_u32_e32 v5, 28, v4
	v_lshlrev_b64_e32 v[2:3], v5, v[2:3]
	s_delay_alu instid0(VALU_DEP_1)
	v_dual_sub_nc_u32 v4, 29, v4 :: v_dual_bitop2_b32 v2, 7, v2 bitop3:0x40
; %bb.255:                              ;   in Loop: Header=BB357_15 Depth=1
	s_or_b32 exec_lo, exec_lo, s19
	scratch_load_b64 v[6:7], off, s32 offset:304 ; 8-byte Folded Reload
	v_dual_lshlrev_b32 v3, 16, v24 :: v_dual_lshlrev_b32 v2, 20, v2
	v_lshl_add_u32 v4, v4, 23, 0x3c000000
	s_delay_alu instid0(VALU_DEP_2) | instskip(SKIP_1) | instid1(VALU_DEP_1)
	v_and_b32_e32 v3, 0x80000000, v3
	s_wait_loadcnt 0x0
	v_or3_b32 v7, v2, v3, v4
	scratch_store_b64 off, v[6:7], s32 offset:304 ; 8-byte Folded Spill
.LBB357_256:                            ;   in Loop: Header=BB357_15 Depth=1
	s_wait_xcnt 0x0
	s_or_b32 exec_lo, exec_lo, s18
.LBB357_257:                            ;   in Loop: Header=BB357_15 Depth=1
	s_delay_alu instid0(SALU_CYCLE_1)
	s_or_b32 exec_lo, exec_lo, s17
.LBB357_258:                            ;   in Loop: Header=BB357_15 Depth=1
	s_delay_alu instid0(SALU_CYCLE_1) | instskip(SKIP_3) | instid1(VALU_DEP_2)
	s_or_b32 exec_lo, exec_lo, s16
	v_dual_mov_b32 v7, 0 :: v_dual_lshrrev_b32 v4, 16, v1
	v_mov_b32_e32 v6, 0
	s_mov_b32 s16, exec_lo
	v_and_b32_e32 v2, 0xff, v4
	scratch_store_b64 off, v[6:7], s32 offset:312 ; 8-byte Folded Spill
	s_wait_xcnt 0x0
	v_cmpx_ne_u16_e32 0, v2
	s_cbranch_execz .LBB357_266
; %bb.259:                              ;   in Loop: Header=BB357_15 Depth=1
	v_cmp_ne_u16_e64 s1, 0x80, v2
	scratch_load_b64 v[2:3], off, s32 offset:312 ; 8-byte Folded Reload
	s_wait_loadcnt 0x0
	v_bfrev_b32_e32 v2, 1
	scratch_store_b64 off, v[2:3], s32 offset:312 ; 8-byte Folded Spill
	s_wait_xcnt 0x0
	s_and_saveexec_b32 s17, s1
	s_cbranch_execz .LBB357_265
; %bb.260:                              ;   in Loop: Header=BB357_15 Depth=1
	scratch_load_b64 v[6:7], off, s32 offset:312 ; 8-byte Folded Reload
	v_bfe_u32 v2, v1, 16, 7
	s_wait_loadcnt 0x0
	v_mov_b32_e32 v6, 0x7f800001
	s_mov_b32 s18, exec_lo
	scratch_store_b64 off, v[6:7], s32 offset:312 ; 8-byte Folded Spill
	s_wait_xcnt 0x0
	v_cmpx_ne_u32_e32 0x7f, v2
	s_cbranch_execz .LBB357_264
; %bb.261:                              ;   in Loop: Header=BB357_15 Depth=1
	v_dual_lshrrev_b32 v5, 3, v2 :: v_dual_bitop2_b32 v24, 7, v4 bitop3:0x40
	v_cmp_gt_u32_e64 s1, 8, v2
	s_delay_alu instid0(VALU_DEP_2)
	v_mov_b64_e32 v[2:3], v[24:25]
	s_and_saveexec_b32 s19, s1
; %bb.262:                              ;   in Loop: Header=BB357_15 Depth=1
	v_clz_i32_u32_e32 v2, v24
	s_delay_alu instid0(VALU_DEP_1) | instskip(NEXT) | instid1(VALU_DEP_1)
	v_min_u32_e32 v5, 32, v2
	v_subrev_nc_u32_e32 v2, 28, v5
	s_delay_alu instid0(VALU_DEP_1) | instskip(NEXT) | instid1(VALU_DEP_1)
	v_lshlrev_b64_e32 v[2:3], v2, v[24:25]
	v_dual_sub_nc_u32 v5, 29, v5 :: v_dual_bitop2_b32 v2, 7, v2 bitop3:0x40
; %bb.263:                              ;   in Loop: Header=BB357_15 Depth=1
	s_or_b32 exec_lo, exec_lo, s19
	scratch_load_b64 v[6:7], off, s32 offset:312 ; 8-byte Folded Reload
	v_dual_lshlrev_b32 v3, 24, v4 :: v_dual_lshlrev_b32 v2, 20, v2
	v_lshl_add_u32 v4, v5, 23, 0x3c000000
	s_delay_alu instid0(VALU_DEP_2) | instskip(SKIP_1) | instid1(VALU_DEP_1)
	v_and_b32_e32 v3, 0x80000000, v3
	s_wait_loadcnt 0x0
	v_or3_b32 v6, v2, v3, v4
	scratch_store_b64 off, v[6:7], s32 offset:312 ; 8-byte Folded Spill
.LBB357_264:                            ;   in Loop: Header=BB357_15 Depth=1
	s_wait_xcnt 0x0
	s_or_b32 exec_lo, exec_lo, s18
.LBB357_265:                            ;   in Loop: Header=BB357_15 Depth=1
	s_delay_alu instid0(SALU_CYCLE_1)
	s_or_b32 exec_lo, exec_lo, s17
.LBB357_266:                            ;   in Loop: Header=BB357_15 Depth=1
	s_delay_alu instid0(SALU_CYCLE_1) | instskip(NEXT) | instid1(SALU_CYCLE_1)
	s_or_b32 exec_lo, exec_lo, s16
	s_mov_b32 s16, exec_lo
	v_cmpx_lt_u64_e64 s[8:9], v[0:1]
	s_cbranch_execz .LBB357_274
; %bb.267:                              ;   in Loop: Header=BB357_15 Depth=1
	scratch_load_b64 v[4:5], off, s32 offset:312 ; 8-byte Folded Reload
	v_lshrrev_b32_e32 v2, 24, v1
	s_wait_loadcnt 0x0
	v_bfrev_b32_e32 v5, 1
	s_mov_b32 s17, exec_lo
	scratch_store_b64 off, v[4:5], s32 offset:312 ; 8-byte Folded Spill
	s_wait_xcnt 0x0
	v_cmpx_ne_u32_e32 0x80, v2
	s_cbranch_execz .LBB357_273
; %bb.268:                              ;   in Loop: Header=BB357_15 Depth=1
	scratch_load_b64 v[4:5], off, s32 offset:312 ; 8-byte Folded Reload
	v_bfe_u32 v0, v1, 24, 7
	s_wait_loadcnt 0x0
	v_mov_b32_e32 v5, 0x7f800001
	s_mov_b32 s18, exec_lo
	scratch_store_b64 off, v[4:5], s32 offset:312 ; 8-byte Folded Spill
	s_wait_xcnt 0x0
	v_cmpx_ne_u32_e32 0x7f, v0
	s_cbranch_execz .LBB357_272
; %bb.269:                              ;   in Loop: Header=BB357_15 Depth=1
	v_dual_lshrrev_b32 v3, 3, v0 :: v_dual_bitop2_b32 v24, 7, v2 bitop3:0x40
	v_cmp_gt_u32_e64 s1, 8, v0
	s_delay_alu instid0(VALU_DEP_2)
	v_mov_b64_e32 v[0:1], v[24:25]
	s_and_saveexec_b32 s19, s1
; %bb.270:                              ;   in Loop: Header=BB357_15 Depth=1
	v_clz_i32_u32_e32 v0, v24
	s_delay_alu instid0(VALU_DEP_1) | instskip(NEXT) | instid1(VALU_DEP_1)
	v_min_u32_e32 v3, 32, v0
	v_subrev_nc_u32_e32 v0, 28, v3
	s_delay_alu instid0(VALU_DEP_1) | instskip(NEXT) | instid1(VALU_DEP_1)
	v_lshlrev_b64_e32 v[0:1], v0, v[24:25]
	v_dual_sub_nc_u32 v3, 29, v3 :: v_dual_bitop2_b32 v0, 7, v0 bitop3:0x40
; %bb.271:                              ;   in Loop: Header=BB357_15 Depth=1
	s_or_b32 exec_lo, exec_lo, s19
	scratch_load_b64 v[4:5], off, s32 offset:312 ; 8-byte Folded Reload
	v_dual_lshlrev_b32 v1, 24, v2 :: v_dual_lshlrev_b32 v0, 20, v0
	v_lshl_add_u32 v2, v3, 23, 0x3c000000
	s_delay_alu instid0(VALU_DEP_2) | instskip(SKIP_1) | instid1(VALU_DEP_1)
	v_and_b32_e32 v1, 0x80000000, v1
	s_wait_loadcnt 0x0
	v_or3_b32 v5, v0, v1, v2
	scratch_store_b64 off, v[4:5], s32 offset:312 ; 8-byte Folded Spill
.LBB357_272:                            ;   in Loop: Header=BB357_15 Depth=1
	s_wait_xcnt 0x0
	s_or_b32 exec_lo, exec_lo, s18
.LBB357_273:                            ;   in Loop: Header=BB357_15 Depth=1
	s_delay_alu instid0(SALU_CYCLE_1)
	s_or_b32 exec_lo, exec_lo, s17
.LBB357_274:                            ;   in Loop: Header=BB357_15 Depth=1
	s_delay_alu instid0(SALU_CYCLE_1)
	s_or_b32 exec_lo, exec_lo, s16
	flat_load_b64 v[0:1], v[102:103] offset:1024
	v_dual_mov_b32 v5, 0 :: v_dual_mov_b32 v4, 0
	s_mov_b32 s16, exec_lo
	scratch_store_b64 off, v[4:5], s32 offset:320 ; 8-byte Folded Spill
	s_wait_loadcnt_dscnt 0x0
	v_and_b32_e32 v2, 0xff, v0
	s_wait_xcnt 0x0
	s_delay_alu instid0(VALU_DEP_1)
	v_cmpx_ne_u16_e32 0, v2
	s_cbranch_execz .LBB357_282
; %bb.275:                              ;   in Loop: Header=BB357_15 Depth=1
	v_cmp_ne_u16_e64 s1, 0x80, v2
	scratch_load_b64 v[2:3], off, s32 offset:320 ; 8-byte Folded Reload
	s_wait_loadcnt 0x0
	v_bfrev_b32_e32 v2, 1
	scratch_store_b64 off, v[2:3], s32 offset:320 ; 8-byte Folded Spill
	s_wait_xcnt 0x0
	s_and_saveexec_b32 s17, s1
	s_cbranch_execz .LBB357_281
; %bb.276:                              ;   in Loop: Header=BB357_15 Depth=1
	scratch_load_b64 v[4:5], off, s32 offset:320 ; 8-byte Folded Reload
	v_and_b32_e32 v2, 0x7f, v0
	s_wait_loadcnt 0x0
	v_mov_b32_e32 v4, 0x7f800001
	s_mov_b32 s18, exec_lo
	scratch_store_b64 off, v[4:5], s32 offset:320 ; 8-byte Folded Spill
	s_wait_xcnt 0x0
	v_cmpx_ne_u32_e32 0x7f, v2
	s_cbranch_execz .LBB357_280
; %bb.277:                              ;   in Loop: Header=BB357_15 Depth=1
	v_lshrrev_b32_e32 v4, 3, v2
	v_cmp_gt_u32_e64 s1, 8, v2
	v_mov_b64_e32 v[2:3], v[0:1]
	s_and_saveexec_b32 s19, s1
; %bb.278:                              ;   in Loop: Header=BB357_15 Depth=1
	v_and_b32_e32 v2, 7, v0
	s_delay_alu instid0(VALU_DEP_1) | instskip(NEXT) | instid1(VALU_DEP_1)
	v_clz_i32_u32_e32 v2, v2
	v_min_u32_e32 v4, 32, v2
	s_delay_alu instid0(VALU_DEP_1) | instskip(SKIP_1) | instid1(VALU_DEP_2)
	v_subrev_nc_u32_e32 v2, 28, v4
	v_sub_nc_u32_e32 v4, 29, v4
	v_lshlrev_b64_e32 v[2:3], v2, v[0:1]
; %bb.279:                              ;   in Loop: Header=BB357_15 Depth=1
	s_or_b32 exec_lo, exec_lo, s19
	scratch_load_b64 v[6:7], off, s32 offset:320 ; 8-byte Folded Reload
	v_dual_lshlrev_b32 v2, 20, v2 :: v_dual_lshlrev_b32 v3, 24, v0
	v_lshl_add_u32 v4, v4, 23, 0x3c000000
	s_delay_alu instid0(VALU_DEP_2) | instskip(NEXT) | instid1(VALU_DEP_3)
	v_and_b32_e32 v2, 0x700000, v2
	v_and_b32_e32 v3, 0x80000000, v3
	s_wait_loadcnt 0x0
	s_delay_alu instid0(VALU_DEP_1)
	v_or3_b32 v6, v2, v3, v4
	scratch_store_b64 off, v[6:7], s32 offset:320 ; 8-byte Folded Spill
.LBB357_280:                            ;   in Loop: Header=BB357_15 Depth=1
	s_wait_xcnt 0x0
	s_or_b32 exec_lo, exec_lo, s18
.LBB357_281:                            ;   in Loop: Header=BB357_15 Depth=1
	s_delay_alu instid0(SALU_CYCLE_1)
	s_or_b32 exec_lo, exec_lo, s17
.LBB357_282:                            ;   in Loop: Header=BB357_15 Depth=1
	s_delay_alu instid0(SALU_CYCLE_1) | instskip(SKIP_2) | instid1(VALU_DEP_1)
	s_or_b32 exec_lo, exec_lo, s16
	v_lshrrev_b16 v2, 8, v0
	s_mov_b32 s16, exec_lo
	v_cmpx_ne_u16_e32 0, v2
	s_cbranch_execz .LBB357_290
; %bb.283:                              ;   in Loop: Header=BB357_15 Depth=1
	scratch_load_b64 v[4:5], off, s32 offset:320 ; 8-byte Folded Reload
	s_wait_loadcnt 0x0
	v_bfrev_b32_e32 v5, 1
	s_mov_b32 s17, exec_lo
	scratch_store_b64 off, v[4:5], s32 offset:320 ; 8-byte Folded Spill
	s_wait_xcnt 0x0
	v_cmpx_ne_u16_e32 0x80, v2
	s_cbranch_execz .LBB357_289
; %bb.284:                              ;   in Loop: Header=BB357_15 Depth=1
	scratch_load_b64 v[4:5], off, s32 offset:320 ; 8-byte Folded Reload
	v_and_b32_e32 v3, 0xffff, v2
	s_wait_loadcnt 0x0
	v_mov_b32_e32 v5, 0x7f800001
	s_mov_b32 s18, exec_lo
	s_delay_alu instid0(VALU_DEP_2)
	v_and_b32_e32 v2, 0x7f, v3
	scratch_store_b64 off, v[4:5], s32 offset:320 ; 8-byte Folded Spill
	s_wait_xcnt 0x0
	v_cmpx_ne_u32_e32 0x7f, v2
	s_cbranch_execz .LBB357_288
; %bb.285:                              ;   in Loop: Header=BB357_15 Depth=1
	v_dual_lshrrev_b32 v4, 3, v2 :: v_dual_bitop2_b32 v24, 7, v3 bitop3:0x40
	v_cmp_gt_u32_e64 s1, 8, v2
	s_delay_alu instid0(VALU_DEP_2)
	v_mov_b64_e32 v[2:3], v[24:25]
	s_and_saveexec_b32 s19, s1
; %bb.286:                              ;   in Loop: Header=BB357_15 Depth=1
	v_clz_i32_u32_e32 v2, v24
	s_delay_alu instid0(VALU_DEP_1) | instskip(NEXT) | instid1(VALU_DEP_1)
	v_min_u32_e32 v4, 32, v2
	v_subrev_nc_u32_e32 v2, 28, v4
	s_delay_alu instid0(VALU_DEP_1) | instskip(NEXT) | instid1(VALU_DEP_1)
	v_lshlrev_b64_e32 v[2:3], v2, v[24:25]
	v_dual_sub_nc_u32 v4, 29, v4 :: v_dual_bitop2_b32 v2, 7, v2 bitop3:0x40
; %bb.287:                              ;   in Loop: Header=BB357_15 Depth=1
	s_or_b32 exec_lo, exec_lo, s19
	scratch_load_b64 v[6:7], off, s32 offset:320 ; 8-byte Folded Reload
	v_dual_lshlrev_b32 v3, 16, v0 :: v_dual_lshlrev_b32 v2, 20, v2
	v_lshl_add_u32 v4, v4, 23, 0x3c000000
	s_delay_alu instid0(VALU_DEP_2) | instskip(SKIP_1) | instid1(VALU_DEP_1)
	v_and_b32_e32 v3, 0x80000000, v3
	s_wait_loadcnt 0x0
	v_or3_b32 v7, v2, v3, v4
	scratch_store_b64 off, v[6:7], s32 offset:320 ; 8-byte Folded Spill
.LBB357_288:                            ;   in Loop: Header=BB357_15 Depth=1
	s_wait_xcnt 0x0
	s_or_b32 exec_lo, exec_lo, s18
.LBB357_289:                            ;   in Loop: Header=BB357_15 Depth=1
	s_delay_alu instid0(SALU_CYCLE_1)
	s_or_b32 exec_lo, exec_lo, s17
.LBB357_290:                            ;   in Loop: Header=BB357_15 Depth=1
	s_delay_alu instid0(SALU_CYCLE_1) | instskip(SKIP_3) | instid1(VALU_DEP_2)
	s_or_b32 exec_lo, exec_lo, s16
	v_dual_mov_b32 v7, 0 :: v_dual_lshrrev_b32 v4, 16, v0
	v_mov_b32_e32 v6, 0
	s_mov_b32 s16, exec_lo
	v_and_b32_e32 v2, 0xff, v4
	scratch_store_b64 off, v[6:7], s32 offset:328 ; 8-byte Folded Spill
	s_wait_xcnt 0x0
	v_cmpx_ne_u16_e32 0, v2
	s_cbranch_execz .LBB357_298
; %bb.291:                              ;   in Loop: Header=BB357_15 Depth=1
	v_cmp_ne_u16_e64 s1, 0x80, v2
	scratch_load_b64 v[2:3], off, s32 offset:328 ; 8-byte Folded Reload
	s_wait_loadcnt 0x0
	v_bfrev_b32_e32 v2, 1
	scratch_store_b64 off, v[2:3], s32 offset:328 ; 8-byte Folded Spill
	s_wait_xcnt 0x0
	s_and_saveexec_b32 s17, s1
	s_cbranch_execz .LBB357_297
; %bb.292:                              ;   in Loop: Header=BB357_15 Depth=1
	scratch_load_b64 v[6:7], off, s32 offset:328 ; 8-byte Folded Reload
	v_bfe_u32 v2, v0, 16, 7
	s_wait_loadcnt 0x0
	v_mov_b32_e32 v6, 0x7f800001
	s_mov_b32 s18, exec_lo
	scratch_store_b64 off, v[6:7], s32 offset:328 ; 8-byte Folded Spill
	s_wait_xcnt 0x0
	v_cmpx_ne_u32_e32 0x7f, v2
	s_cbranch_execz .LBB357_296
; %bb.293:                              ;   in Loop: Header=BB357_15 Depth=1
	v_dual_lshrrev_b32 v5, 3, v2 :: v_dual_bitop2_b32 v24, 7, v4 bitop3:0x40
	v_cmp_gt_u32_e64 s1, 8, v2
	s_delay_alu instid0(VALU_DEP_2)
	v_mov_b64_e32 v[2:3], v[24:25]
	s_and_saveexec_b32 s19, s1
; %bb.294:                              ;   in Loop: Header=BB357_15 Depth=1
	v_clz_i32_u32_e32 v2, v24
	s_delay_alu instid0(VALU_DEP_1) | instskip(NEXT) | instid1(VALU_DEP_1)
	v_min_u32_e32 v5, 32, v2
	v_subrev_nc_u32_e32 v2, 28, v5
	s_delay_alu instid0(VALU_DEP_1) | instskip(NEXT) | instid1(VALU_DEP_1)
	v_lshlrev_b64_e32 v[2:3], v2, v[24:25]
	v_dual_sub_nc_u32 v5, 29, v5 :: v_dual_bitop2_b32 v2, 7, v2 bitop3:0x40
; %bb.295:                              ;   in Loop: Header=BB357_15 Depth=1
	s_or_b32 exec_lo, exec_lo, s19
	scratch_load_b64 v[6:7], off, s32 offset:328 ; 8-byte Folded Reload
	v_dual_lshlrev_b32 v3, 24, v4 :: v_dual_lshlrev_b32 v2, 20, v2
	v_lshl_add_u32 v4, v5, 23, 0x3c000000
	s_delay_alu instid0(VALU_DEP_2) | instskip(SKIP_1) | instid1(VALU_DEP_1)
	v_and_b32_e32 v3, 0x80000000, v3
	s_wait_loadcnt 0x0
	v_or3_b32 v6, v2, v3, v4
	scratch_store_b64 off, v[6:7], s32 offset:328 ; 8-byte Folded Spill
.LBB357_296:                            ;   in Loop: Header=BB357_15 Depth=1
	s_wait_xcnt 0x0
	s_or_b32 exec_lo, exec_lo, s18
.LBB357_297:                            ;   in Loop: Header=BB357_15 Depth=1
	s_delay_alu instid0(SALU_CYCLE_1)
	s_or_b32 exec_lo, exec_lo, s17
.LBB357_298:                            ;   in Loop: Header=BB357_15 Depth=1
	s_delay_alu instid0(SALU_CYCLE_1) | instskip(NEXT) | instid1(SALU_CYCLE_1)
	s_or_b32 exec_lo, exec_lo, s16
	s_mov_b32 s16, exec_lo
	v_cmpx_lt_u32_e32 0xffffff, v0
	s_cbranch_execz .LBB357_306
; %bb.299:                              ;   in Loop: Header=BB357_15 Depth=1
	scratch_load_b64 v[2:3], off, s32 offset:328 ; 8-byte Folded Reload
	v_lshrrev_b32_e32 v4, 24, v0
	s_wait_loadcnt 0x0
	v_bfrev_b32_e32 v3, 1
	s_mov_b32 s17, exec_lo
	scratch_store_b64 off, v[2:3], s32 offset:328 ; 8-byte Folded Spill
	s_wait_xcnt 0x0
	v_cmpx_ne_u32_e32 0x80, v4
	s_cbranch_execz .LBB357_305
; %bb.300:                              ;   in Loop: Header=BB357_15 Depth=1
	scratch_load_b64 v[6:7], off, s32 offset:328 ; 8-byte Folded Reload
	v_bfe_u32 v2, v0, 24, 7
	s_wait_loadcnt 0x0
	v_mov_b32_e32 v7, 0x7f800001
	s_mov_b32 s18, exec_lo
	scratch_store_b64 off, v[6:7], s32 offset:328 ; 8-byte Folded Spill
	s_wait_xcnt 0x0
	v_cmpx_ne_u32_e32 0x7f, v2
	s_cbranch_execz .LBB357_304
; %bb.301:                              ;   in Loop: Header=BB357_15 Depth=1
	v_dual_lshrrev_b32 v5, 3, v2 :: v_dual_bitop2_b32 v24, 7, v4 bitop3:0x40
	v_cmp_gt_u32_e64 s1, 8, v2
	s_delay_alu instid0(VALU_DEP_2)
	v_mov_b64_e32 v[2:3], v[24:25]
	s_and_saveexec_b32 s19, s1
; %bb.302:                              ;   in Loop: Header=BB357_15 Depth=1
	v_clz_i32_u32_e32 v2, v24
	s_delay_alu instid0(VALU_DEP_1) | instskip(NEXT) | instid1(VALU_DEP_1)
	v_min_u32_e32 v5, 32, v2
	v_subrev_nc_u32_e32 v2, 28, v5
	s_delay_alu instid0(VALU_DEP_1) | instskip(NEXT) | instid1(VALU_DEP_1)
	v_lshlrev_b64_e32 v[2:3], v2, v[24:25]
	v_dual_sub_nc_u32 v5, 29, v5 :: v_dual_bitop2_b32 v2, 7, v2 bitop3:0x40
; %bb.303:                              ;   in Loop: Header=BB357_15 Depth=1
	s_or_b32 exec_lo, exec_lo, s19
	scratch_load_b64 v[6:7], off, s32 offset:328 ; 8-byte Folded Reload
	v_dual_lshlrev_b32 v3, 24, v4 :: v_dual_lshlrev_b32 v2, 20, v2
	v_lshl_add_u32 v4, v5, 23, 0x3c000000
	s_delay_alu instid0(VALU_DEP_2) | instskip(SKIP_1) | instid1(VALU_DEP_1)
	v_and_b32_e32 v3, 0x80000000, v3
	s_wait_loadcnt 0x0
	v_or3_b32 v7, v2, v3, v4
	scratch_store_b64 off, v[6:7], s32 offset:328 ; 8-byte Folded Spill
.LBB357_304:                            ;   in Loop: Header=BB357_15 Depth=1
	s_wait_xcnt 0x0
	s_or_b32 exec_lo, exec_lo, s18
.LBB357_305:                            ;   in Loop: Header=BB357_15 Depth=1
	s_delay_alu instid0(SALU_CYCLE_1)
	s_or_b32 exec_lo, exec_lo, s17
.LBB357_306:                            ;   in Loop: Header=BB357_15 Depth=1
	s_delay_alu instid0(SALU_CYCLE_1)
	s_or_b32 exec_lo, exec_lo, s16
	v_and_b32_e32 v2, 0xff, v1
	v_dual_mov_b32 v24, v1 :: v_dual_mov_b32 v5, 0
	v_mov_b32_e32 v4, 0
	s_mov_b32 s16, exec_lo
	scratch_store_b64 off, v[4:5], s32 offset:336 ; 8-byte Folded Spill
	s_wait_xcnt 0x0
	v_cmpx_ne_u16_e32 0, v2
	s_cbranch_execz .LBB357_314
; %bb.307:                              ;   in Loop: Header=BB357_15 Depth=1
	v_cmp_ne_u16_e64 s1, 0x80, v2
	scratch_load_b64 v[2:3], off, s32 offset:336 ; 8-byte Folded Reload
	s_wait_loadcnt 0x0
	v_bfrev_b32_e32 v2, 1
	scratch_store_b64 off, v[2:3], s32 offset:336 ; 8-byte Folded Spill
	s_wait_xcnt 0x0
	s_and_saveexec_b32 s17, s1
	s_cbranch_execz .LBB357_313
; %bb.308:                              ;   in Loop: Header=BB357_15 Depth=1
	scratch_load_b64 v[4:5], off, s32 offset:336 ; 8-byte Folded Reload
	v_and_b32_e32 v2, 0x7f, v1
	s_wait_loadcnt 0x0
	v_mov_b32_e32 v4, 0x7f800001
	s_mov_b32 s18, exec_lo
	scratch_store_b64 off, v[4:5], s32 offset:336 ; 8-byte Folded Spill
	s_wait_xcnt 0x0
	v_cmpx_ne_u32_e32 0x7f, v2
	s_cbranch_execz .LBB357_312
; %bb.309:                              ;   in Loop: Header=BB357_15 Depth=1
	v_lshrrev_b32_e32 v4, 3, v2
	v_cmp_gt_u32_e64 s1, 8, v2
	v_mov_b64_e32 v[2:3], v[24:25]
	s_and_saveexec_b32 s19, s1
; %bb.310:                              ;   in Loop: Header=BB357_15 Depth=1
	v_and_b32_e32 v2, 7, v1
	s_delay_alu instid0(VALU_DEP_1) | instskip(NEXT) | instid1(VALU_DEP_1)
	v_clz_i32_u32_e32 v2, v2
	v_min_u32_e32 v4, 32, v2
	s_delay_alu instid0(VALU_DEP_1) | instskip(SKIP_1) | instid1(VALU_DEP_2)
	v_subrev_nc_u32_e32 v2, 28, v4
	v_sub_nc_u32_e32 v4, 29, v4
	v_lshlrev_b64_e32 v[2:3], v2, v[24:25]
; %bb.311:                              ;   in Loop: Header=BB357_15 Depth=1
	s_or_b32 exec_lo, exec_lo, s19
	scratch_load_b64 v[6:7], off, s32 offset:336 ; 8-byte Folded Reload
	v_dual_lshlrev_b32 v2, 20, v2 :: v_dual_lshlrev_b32 v3, 24, v24
	v_lshl_add_u32 v4, v4, 23, 0x3c000000
	s_delay_alu instid0(VALU_DEP_2) | instskip(NEXT) | instid1(VALU_DEP_3)
	v_and_b32_e32 v2, 0x700000, v2
	v_and_b32_e32 v3, 0x80000000, v3
	s_wait_loadcnt 0x0
	s_delay_alu instid0(VALU_DEP_1)
	v_or3_b32 v6, v2, v3, v4
	scratch_store_b64 off, v[6:7], s32 offset:336 ; 8-byte Folded Spill
.LBB357_312:                            ;   in Loop: Header=BB357_15 Depth=1
	s_wait_xcnt 0x0
	s_or_b32 exec_lo, exec_lo, s18
.LBB357_313:                            ;   in Loop: Header=BB357_15 Depth=1
	s_delay_alu instid0(SALU_CYCLE_1)
	s_or_b32 exec_lo, exec_lo, s17
.LBB357_314:                            ;   in Loop: Header=BB357_15 Depth=1
	s_delay_alu instid0(SALU_CYCLE_1) | instskip(SKIP_2) | instid1(VALU_DEP_1)
	s_or_b32 exec_lo, exec_lo, s16
	v_lshrrev_b16 v2, 8, v24
	s_mov_b32 s16, exec_lo
	v_cmpx_ne_u16_e32 0, v2
	s_cbranch_execz .LBB357_322
; %bb.315:                              ;   in Loop: Header=BB357_15 Depth=1
	scratch_load_b64 v[4:5], off, s32 offset:336 ; 8-byte Folded Reload
	s_wait_loadcnt 0x0
	v_bfrev_b32_e32 v5, 1
	s_mov_b32 s17, exec_lo
	scratch_store_b64 off, v[4:5], s32 offset:336 ; 8-byte Folded Spill
	s_wait_xcnt 0x0
	v_cmpx_ne_u16_e32 0x80, v2
	s_cbranch_execz .LBB357_321
; %bb.316:                              ;   in Loop: Header=BB357_15 Depth=1
	scratch_load_b64 v[6:7], off, s32 offset:336 ; 8-byte Folded Reload
	v_and_b32_e32 v2, 0xffff, v2
	s_wait_loadcnt 0x0
	v_mov_b32_e32 v7, 0x7f800001
	s_mov_b32 s18, exec_lo
	s_delay_alu instid0(VALU_DEP_2)
	v_and_b32_e32 v5, 0x7f, v2
	scratch_store_b64 off, v[6:7], s32 offset:336 ; 8-byte Folded Spill
	s_wait_xcnt 0x0
	v_cmpx_ne_u32_e32 0x7f, v5
	s_cbranch_execz .LBB357_320
; %bb.317:                              ;   in Loop: Header=BB357_15 Depth=1
	v_dual_mov_b32 v3, v25 :: v_dual_bitop2_b32 v2, 7, v2 bitop3:0x40
	v_lshrrev_b32_e32 v4, 3, v5
	s_mov_b32 s19, exec_lo
	v_cmpx_gt_u32_e32 8, v5
; %bb.318:                              ;   in Loop: Header=BB357_15 Depth=1
	s_delay_alu instid0(VALU_DEP_3) | instskip(NEXT) | instid1(VALU_DEP_1)
	v_clz_i32_u32_e32 v4, v2
	v_min_u32_e32 v4, 32, v4
	s_delay_alu instid0(VALU_DEP_1) | instskip(NEXT) | instid1(VALU_DEP_1)
	v_subrev_nc_u32_e32 v5, 28, v4
	v_lshlrev_b64_e32 v[2:3], v5, v[2:3]
	s_delay_alu instid0(VALU_DEP_1)
	v_dual_sub_nc_u32 v4, 29, v4 :: v_dual_bitop2_b32 v2, 7, v2 bitop3:0x40
; %bb.319:                              ;   in Loop: Header=BB357_15 Depth=1
	s_or_b32 exec_lo, exec_lo, s19
	scratch_load_b64 v[6:7], off, s32 offset:336 ; 8-byte Folded Reload
	v_dual_lshlrev_b32 v3, 16, v24 :: v_dual_lshlrev_b32 v2, 20, v2
	v_lshl_add_u32 v4, v4, 23, 0x3c000000
	s_delay_alu instid0(VALU_DEP_2) | instskip(SKIP_1) | instid1(VALU_DEP_1)
	v_and_b32_e32 v3, 0x80000000, v3
	s_wait_loadcnt 0x0
	v_or3_b32 v7, v2, v3, v4
	scratch_store_b64 off, v[6:7], s32 offset:336 ; 8-byte Folded Spill
.LBB357_320:                            ;   in Loop: Header=BB357_15 Depth=1
	s_wait_xcnt 0x0
	s_or_b32 exec_lo, exec_lo, s18
.LBB357_321:                            ;   in Loop: Header=BB357_15 Depth=1
	s_delay_alu instid0(SALU_CYCLE_1)
	s_or_b32 exec_lo, exec_lo, s17
.LBB357_322:                            ;   in Loop: Header=BB357_15 Depth=1
	s_delay_alu instid0(SALU_CYCLE_1) | instskip(SKIP_3) | instid1(VALU_DEP_2)
	s_or_b32 exec_lo, exec_lo, s16
	v_dual_mov_b32 v7, 0 :: v_dual_lshrrev_b32 v4, 16, v1
	v_mov_b32_e32 v6, 0
	s_mov_b32 s16, exec_lo
	v_and_b32_e32 v2, 0xff, v4
	scratch_store_b64 off, v[6:7], s32 offset:344 ; 8-byte Folded Spill
	s_wait_xcnt 0x0
	v_cmpx_ne_u16_e32 0, v2
	s_cbranch_execz .LBB357_330
; %bb.323:                              ;   in Loop: Header=BB357_15 Depth=1
	v_cmp_ne_u16_e64 s1, 0x80, v2
	scratch_load_b64 v[2:3], off, s32 offset:344 ; 8-byte Folded Reload
	s_wait_loadcnt 0x0
	v_bfrev_b32_e32 v2, 1
	scratch_store_b64 off, v[2:3], s32 offset:344 ; 8-byte Folded Spill
	s_wait_xcnt 0x0
	s_and_saveexec_b32 s17, s1
	s_cbranch_execz .LBB357_329
; %bb.324:                              ;   in Loop: Header=BB357_15 Depth=1
	scratch_load_b64 v[6:7], off, s32 offset:344 ; 8-byte Folded Reload
	v_bfe_u32 v2, v1, 16, 7
	s_wait_loadcnt 0x0
	v_mov_b32_e32 v6, 0x7f800001
	s_mov_b32 s18, exec_lo
	scratch_store_b64 off, v[6:7], s32 offset:344 ; 8-byte Folded Spill
	s_wait_xcnt 0x0
	v_cmpx_ne_u32_e32 0x7f, v2
	s_cbranch_execz .LBB357_328
; %bb.325:                              ;   in Loop: Header=BB357_15 Depth=1
	v_dual_lshrrev_b32 v5, 3, v2 :: v_dual_bitop2_b32 v24, 7, v4 bitop3:0x40
	v_cmp_gt_u32_e64 s1, 8, v2
	s_delay_alu instid0(VALU_DEP_2)
	v_mov_b64_e32 v[2:3], v[24:25]
	s_and_saveexec_b32 s19, s1
; %bb.326:                              ;   in Loop: Header=BB357_15 Depth=1
	v_clz_i32_u32_e32 v2, v24
	s_delay_alu instid0(VALU_DEP_1) | instskip(NEXT) | instid1(VALU_DEP_1)
	v_min_u32_e32 v5, 32, v2
	v_subrev_nc_u32_e32 v2, 28, v5
	s_delay_alu instid0(VALU_DEP_1) | instskip(NEXT) | instid1(VALU_DEP_1)
	v_lshlrev_b64_e32 v[2:3], v2, v[24:25]
	v_dual_sub_nc_u32 v5, 29, v5 :: v_dual_bitop2_b32 v2, 7, v2 bitop3:0x40
; %bb.327:                              ;   in Loop: Header=BB357_15 Depth=1
	s_or_b32 exec_lo, exec_lo, s19
	scratch_load_b64 v[6:7], off, s32 offset:344 ; 8-byte Folded Reload
	v_dual_lshlrev_b32 v3, 24, v4 :: v_dual_lshlrev_b32 v2, 20, v2
	v_lshl_add_u32 v4, v5, 23, 0x3c000000
	s_delay_alu instid0(VALU_DEP_2) | instskip(SKIP_1) | instid1(VALU_DEP_1)
	v_and_b32_e32 v3, 0x80000000, v3
	s_wait_loadcnt 0x0
	v_or3_b32 v6, v2, v3, v4
	scratch_store_b64 off, v[6:7], s32 offset:344 ; 8-byte Folded Spill
.LBB357_328:                            ;   in Loop: Header=BB357_15 Depth=1
	s_wait_xcnt 0x0
	s_or_b32 exec_lo, exec_lo, s18
.LBB357_329:                            ;   in Loop: Header=BB357_15 Depth=1
	s_delay_alu instid0(SALU_CYCLE_1)
	s_or_b32 exec_lo, exec_lo, s17
.LBB357_330:                            ;   in Loop: Header=BB357_15 Depth=1
	s_delay_alu instid0(SALU_CYCLE_1) | instskip(NEXT) | instid1(SALU_CYCLE_1)
	s_or_b32 exec_lo, exec_lo, s16
	s_mov_b32 s16, exec_lo
	v_cmpx_lt_u64_e64 s[8:9], v[0:1]
	s_cbranch_execz .LBB357_338
; %bb.331:                              ;   in Loop: Header=BB357_15 Depth=1
	scratch_load_b64 v[4:5], off, s32 offset:344 ; 8-byte Folded Reload
	v_lshrrev_b32_e32 v2, 24, v1
	s_wait_loadcnt 0x0
	v_bfrev_b32_e32 v5, 1
	s_mov_b32 s17, exec_lo
	scratch_store_b64 off, v[4:5], s32 offset:344 ; 8-byte Folded Spill
	s_wait_xcnt 0x0
	v_cmpx_ne_u32_e32 0x80, v2
	s_cbranch_execz .LBB357_337
; %bb.332:                              ;   in Loop: Header=BB357_15 Depth=1
	scratch_load_b64 v[4:5], off, s32 offset:344 ; 8-byte Folded Reload
	v_bfe_u32 v0, v1, 24, 7
	s_wait_loadcnt 0x0
	v_mov_b32_e32 v5, 0x7f800001
	s_mov_b32 s18, exec_lo
	scratch_store_b64 off, v[4:5], s32 offset:344 ; 8-byte Folded Spill
	s_wait_xcnt 0x0
	v_cmpx_ne_u32_e32 0x7f, v0
	s_cbranch_execz .LBB357_336
; %bb.333:                              ;   in Loop: Header=BB357_15 Depth=1
	v_dual_lshrrev_b32 v3, 3, v0 :: v_dual_bitop2_b32 v24, 7, v2 bitop3:0x40
	v_cmp_gt_u32_e64 s1, 8, v0
	s_delay_alu instid0(VALU_DEP_2)
	v_mov_b64_e32 v[0:1], v[24:25]
	s_and_saveexec_b32 s19, s1
; %bb.334:                              ;   in Loop: Header=BB357_15 Depth=1
	v_clz_i32_u32_e32 v0, v24
	s_delay_alu instid0(VALU_DEP_1) | instskip(NEXT) | instid1(VALU_DEP_1)
	v_min_u32_e32 v3, 32, v0
	v_subrev_nc_u32_e32 v0, 28, v3
	s_delay_alu instid0(VALU_DEP_1) | instskip(NEXT) | instid1(VALU_DEP_1)
	v_lshlrev_b64_e32 v[0:1], v0, v[24:25]
	v_dual_sub_nc_u32 v3, 29, v3 :: v_dual_bitop2_b32 v0, 7, v0 bitop3:0x40
; %bb.335:                              ;   in Loop: Header=BB357_15 Depth=1
	s_or_b32 exec_lo, exec_lo, s19
	scratch_load_b64 v[4:5], off, s32 offset:344 ; 8-byte Folded Reload
	v_dual_lshlrev_b32 v1, 24, v2 :: v_dual_lshlrev_b32 v0, 20, v0
	v_lshl_add_u32 v2, v3, 23, 0x3c000000
	s_delay_alu instid0(VALU_DEP_2) | instskip(SKIP_1) | instid1(VALU_DEP_1)
	v_and_b32_e32 v1, 0x80000000, v1
	s_wait_loadcnt 0x0
	v_or3_b32 v5, v0, v1, v2
	scratch_store_b64 off, v[4:5], s32 offset:344 ; 8-byte Folded Spill
.LBB357_336:                            ;   in Loop: Header=BB357_15 Depth=1
	s_wait_xcnt 0x0
	s_or_b32 exec_lo, exec_lo, s18
.LBB357_337:                            ;   in Loop: Header=BB357_15 Depth=1
	s_delay_alu instid0(SALU_CYCLE_1)
	s_or_b32 exec_lo, exec_lo, s17
.LBB357_338:                            ;   in Loop: Header=BB357_15 Depth=1
	s_delay_alu instid0(SALU_CYCLE_1)
	s_or_b32 exec_lo, exec_lo, s16
	flat_load_b64 v[0:1], v[102:103] offset:1032
	v_dual_mov_b32 v5, 0 :: v_dual_mov_b32 v4, 0
	s_mov_b32 s16, exec_lo
	scratch_store_b64 off, v[4:5], s32 offset:352 ; 8-byte Folded Spill
	s_wait_loadcnt_dscnt 0x0
	v_and_b32_e32 v2, 0xff, v0
	s_wait_xcnt 0x0
	s_delay_alu instid0(VALU_DEP_1)
	v_cmpx_ne_u16_e32 0, v2
	s_cbranch_execz .LBB357_346
; %bb.339:                              ;   in Loop: Header=BB357_15 Depth=1
	v_cmp_ne_u16_e64 s1, 0x80, v2
	scratch_load_b64 v[2:3], off, s32 offset:352 ; 8-byte Folded Reload
	s_wait_loadcnt 0x0
	v_bfrev_b32_e32 v2, 1
	scratch_store_b64 off, v[2:3], s32 offset:352 ; 8-byte Folded Spill
	s_wait_xcnt 0x0
	s_and_saveexec_b32 s17, s1
	s_cbranch_execz .LBB357_345
; %bb.340:                              ;   in Loop: Header=BB357_15 Depth=1
	scratch_load_b64 v[4:5], off, s32 offset:352 ; 8-byte Folded Reload
	v_and_b32_e32 v2, 0x7f, v0
	s_wait_loadcnt 0x0
	v_mov_b32_e32 v4, 0x7f800001
	s_mov_b32 s18, exec_lo
	scratch_store_b64 off, v[4:5], s32 offset:352 ; 8-byte Folded Spill
	s_wait_xcnt 0x0
	v_cmpx_ne_u32_e32 0x7f, v2
	s_cbranch_execz .LBB357_344
; %bb.341:                              ;   in Loop: Header=BB357_15 Depth=1
	v_lshrrev_b32_e32 v4, 3, v2
	v_cmp_gt_u32_e64 s1, 8, v2
	v_mov_b64_e32 v[2:3], v[0:1]
	s_and_saveexec_b32 s19, s1
; %bb.342:                              ;   in Loop: Header=BB357_15 Depth=1
	v_and_b32_e32 v2, 7, v0
	s_delay_alu instid0(VALU_DEP_1) | instskip(NEXT) | instid1(VALU_DEP_1)
	v_clz_i32_u32_e32 v2, v2
	v_min_u32_e32 v4, 32, v2
	s_delay_alu instid0(VALU_DEP_1) | instskip(SKIP_1) | instid1(VALU_DEP_2)
	v_subrev_nc_u32_e32 v2, 28, v4
	v_sub_nc_u32_e32 v4, 29, v4
	v_lshlrev_b64_e32 v[2:3], v2, v[0:1]
; %bb.343:                              ;   in Loop: Header=BB357_15 Depth=1
	s_or_b32 exec_lo, exec_lo, s19
	scratch_load_b64 v[6:7], off, s32 offset:352 ; 8-byte Folded Reload
	v_dual_lshlrev_b32 v2, 20, v2 :: v_dual_lshlrev_b32 v3, 24, v0
	v_lshl_add_u32 v4, v4, 23, 0x3c000000
	s_delay_alu instid0(VALU_DEP_2) | instskip(NEXT) | instid1(VALU_DEP_3)
	v_and_b32_e32 v2, 0x700000, v2
	v_and_b32_e32 v3, 0x80000000, v3
	s_wait_loadcnt 0x0
	s_delay_alu instid0(VALU_DEP_1)
	v_or3_b32 v6, v2, v3, v4
	scratch_store_b64 off, v[6:7], s32 offset:352 ; 8-byte Folded Spill
.LBB357_344:                            ;   in Loop: Header=BB357_15 Depth=1
	s_wait_xcnt 0x0
	s_or_b32 exec_lo, exec_lo, s18
.LBB357_345:                            ;   in Loop: Header=BB357_15 Depth=1
	s_delay_alu instid0(SALU_CYCLE_1)
	s_or_b32 exec_lo, exec_lo, s17
.LBB357_346:                            ;   in Loop: Header=BB357_15 Depth=1
	s_delay_alu instid0(SALU_CYCLE_1) | instskip(SKIP_2) | instid1(VALU_DEP_1)
	s_or_b32 exec_lo, exec_lo, s16
	v_lshrrev_b16 v2, 8, v0
	s_mov_b32 s16, exec_lo
	v_cmpx_ne_u16_e32 0, v2
	s_cbranch_execz .LBB357_354
; %bb.347:                              ;   in Loop: Header=BB357_15 Depth=1
	scratch_load_b64 v[4:5], off, s32 offset:352 ; 8-byte Folded Reload
	s_wait_loadcnt 0x0
	v_bfrev_b32_e32 v5, 1
	s_mov_b32 s17, exec_lo
	scratch_store_b64 off, v[4:5], s32 offset:352 ; 8-byte Folded Spill
	s_wait_xcnt 0x0
	v_cmpx_ne_u16_e32 0x80, v2
	s_cbranch_execz .LBB357_353
; %bb.348:                              ;   in Loop: Header=BB357_15 Depth=1
	scratch_load_b64 v[4:5], off, s32 offset:352 ; 8-byte Folded Reload
	v_and_b32_e32 v3, 0xffff, v2
	s_wait_loadcnt 0x0
	v_mov_b32_e32 v5, 0x7f800001
	s_mov_b32 s18, exec_lo
	s_delay_alu instid0(VALU_DEP_2)
	v_and_b32_e32 v2, 0x7f, v3
	scratch_store_b64 off, v[4:5], s32 offset:352 ; 8-byte Folded Spill
	s_wait_xcnt 0x0
	v_cmpx_ne_u32_e32 0x7f, v2
	s_cbranch_execz .LBB357_352
; %bb.349:                              ;   in Loop: Header=BB357_15 Depth=1
	v_dual_lshrrev_b32 v4, 3, v2 :: v_dual_bitop2_b32 v24, 7, v3 bitop3:0x40
	v_cmp_gt_u32_e64 s1, 8, v2
	s_delay_alu instid0(VALU_DEP_2)
	v_mov_b64_e32 v[2:3], v[24:25]
	s_and_saveexec_b32 s19, s1
; %bb.350:                              ;   in Loop: Header=BB357_15 Depth=1
	v_clz_i32_u32_e32 v2, v24
	s_delay_alu instid0(VALU_DEP_1) | instskip(NEXT) | instid1(VALU_DEP_1)
	v_min_u32_e32 v4, 32, v2
	v_subrev_nc_u32_e32 v2, 28, v4
	s_delay_alu instid0(VALU_DEP_1) | instskip(NEXT) | instid1(VALU_DEP_1)
	v_lshlrev_b64_e32 v[2:3], v2, v[24:25]
	v_dual_sub_nc_u32 v4, 29, v4 :: v_dual_bitop2_b32 v2, 7, v2 bitop3:0x40
; %bb.351:                              ;   in Loop: Header=BB357_15 Depth=1
	s_or_b32 exec_lo, exec_lo, s19
	scratch_load_b64 v[6:7], off, s32 offset:352 ; 8-byte Folded Reload
	v_dual_lshlrev_b32 v3, 16, v0 :: v_dual_lshlrev_b32 v2, 20, v2
	v_lshl_add_u32 v4, v4, 23, 0x3c000000
	s_delay_alu instid0(VALU_DEP_2) | instskip(SKIP_1) | instid1(VALU_DEP_1)
	v_and_b32_e32 v3, 0x80000000, v3
	s_wait_loadcnt 0x0
	v_or3_b32 v7, v2, v3, v4
	scratch_store_b64 off, v[6:7], s32 offset:352 ; 8-byte Folded Spill
.LBB357_352:                            ;   in Loop: Header=BB357_15 Depth=1
	s_wait_xcnt 0x0
	s_or_b32 exec_lo, exec_lo, s18
.LBB357_353:                            ;   in Loop: Header=BB357_15 Depth=1
	s_delay_alu instid0(SALU_CYCLE_1)
	s_or_b32 exec_lo, exec_lo, s17
.LBB357_354:                            ;   in Loop: Header=BB357_15 Depth=1
	s_delay_alu instid0(SALU_CYCLE_1) | instskip(SKIP_3) | instid1(VALU_DEP_2)
	s_or_b32 exec_lo, exec_lo, s16
	v_dual_mov_b32 v7, 0 :: v_dual_lshrrev_b32 v4, 16, v0
	v_mov_b32_e32 v6, 0
	s_mov_b32 s16, exec_lo
	v_and_b32_e32 v2, 0xff, v4
	scratch_store_b64 off, v[6:7], s32 offset:360 ; 8-byte Folded Spill
	s_wait_xcnt 0x0
	v_cmpx_ne_u16_e32 0, v2
	s_cbranch_execz .LBB357_362
; %bb.355:                              ;   in Loop: Header=BB357_15 Depth=1
	v_cmp_ne_u16_e64 s1, 0x80, v2
	scratch_load_b64 v[2:3], off, s32 offset:360 ; 8-byte Folded Reload
	s_wait_loadcnt 0x0
	v_bfrev_b32_e32 v2, 1
	scratch_store_b64 off, v[2:3], s32 offset:360 ; 8-byte Folded Spill
	s_wait_xcnt 0x0
	s_and_saveexec_b32 s17, s1
	s_cbranch_execz .LBB357_361
; %bb.356:                              ;   in Loop: Header=BB357_15 Depth=1
	scratch_load_b64 v[6:7], off, s32 offset:360 ; 8-byte Folded Reload
	v_bfe_u32 v2, v0, 16, 7
	s_wait_loadcnt 0x0
	v_mov_b32_e32 v6, 0x7f800001
	s_mov_b32 s18, exec_lo
	scratch_store_b64 off, v[6:7], s32 offset:360 ; 8-byte Folded Spill
	s_wait_xcnt 0x0
	v_cmpx_ne_u32_e32 0x7f, v2
	s_cbranch_execz .LBB357_360
; %bb.357:                              ;   in Loop: Header=BB357_15 Depth=1
	v_dual_lshrrev_b32 v5, 3, v2 :: v_dual_bitop2_b32 v24, 7, v4 bitop3:0x40
	v_cmp_gt_u32_e64 s1, 8, v2
	s_delay_alu instid0(VALU_DEP_2)
	v_mov_b64_e32 v[2:3], v[24:25]
	s_and_saveexec_b32 s19, s1
; %bb.358:                              ;   in Loop: Header=BB357_15 Depth=1
	v_clz_i32_u32_e32 v2, v24
	s_delay_alu instid0(VALU_DEP_1) | instskip(NEXT) | instid1(VALU_DEP_1)
	v_min_u32_e32 v5, 32, v2
	v_subrev_nc_u32_e32 v2, 28, v5
	s_delay_alu instid0(VALU_DEP_1) | instskip(NEXT) | instid1(VALU_DEP_1)
	v_lshlrev_b64_e32 v[2:3], v2, v[24:25]
	v_dual_sub_nc_u32 v5, 29, v5 :: v_dual_bitop2_b32 v2, 7, v2 bitop3:0x40
; %bb.359:                              ;   in Loop: Header=BB357_15 Depth=1
	s_or_b32 exec_lo, exec_lo, s19
	scratch_load_b64 v[6:7], off, s32 offset:360 ; 8-byte Folded Reload
	v_dual_lshlrev_b32 v3, 24, v4 :: v_dual_lshlrev_b32 v2, 20, v2
	v_lshl_add_u32 v4, v5, 23, 0x3c000000
	s_delay_alu instid0(VALU_DEP_2) | instskip(SKIP_1) | instid1(VALU_DEP_1)
	v_and_b32_e32 v3, 0x80000000, v3
	s_wait_loadcnt 0x0
	v_or3_b32 v6, v2, v3, v4
	scratch_store_b64 off, v[6:7], s32 offset:360 ; 8-byte Folded Spill
.LBB357_360:                            ;   in Loop: Header=BB357_15 Depth=1
	s_wait_xcnt 0x0
	s_or_b32 exec_lo, exec_lo, s18
.LBB357_361:                            ;   in Loop: Header=BB357_15 Depth=1
	s_delay_alu instid0(SALU_CYCLE_1)
	s_or_b32 exec_lo, exec_lo, s17
.LBB357_362:                            ;   in Loop: Header=BB357_15 Depth=1
	s_delay_alu instid0(SALU_CYCLE_1) | instskip(NEXT) | instid1(SALU_CYCLE_1)
	s_or_b32 exec_lo, exec_lo, s16
	s_mov_b32 s16, exec_lo
	v_cmpx_lt_u32_e32 0xffffff, v0
	s_cbranch_execz .LBB357_370
; %bb.363:                              ;   in Loop: Header=BB357_15 Depth=1
	scratch_load_b64 v[2:3], off, s32 offset:360 ; 8-byte Folded Reload
	v_lshrrev_b32_e32 v4, 24, v0
	s_wait_loadcnt 0x0
	v_bfrev_b32_e32 v3, 1
	s_mov_b32 s17, exec_lo
	scratch_store_b64 off, v[2:3], s32 offset:360 ; 8-byte Folded Spill
	s_wait_xcnt 0x0
	v_cmpx_ne_u32_e32 0x80, v4
	s_cbranch_execz .LBB357_369
; %bb.364:                              ;   in Loop: Header=BB357_15 Depth=1
	scratch_load_b64 v[6:7], off, s32 offset:360 ; 8-byte Folded Reload
	v_bfe_u32 v2, v0, 24, 7
	s_wait_loadcnt 0x0
	v_mov_b32_e32 v7, 0x7f800001
	s_mov_b32 s18, exec_lo
	scratch_store_b64 off, v[6:7], s32 offset:360 ; 8-byte Folded Spill
	s_wait_xcnt 0x0
	v_cmpx_ne_u32_e32 0x7f, v2
	s_cbranch_execz .LBB357_368
; %bb.365:                              ;   in Loop: Header=BB357_15 Depth=1
	v_dual_lshrrev_b32 v5, 3, v2 :: v_dual_bitop2_b32 v24, 7, v4 bitop3:0x40
	v_cmp_gt_u32_e64 s1, 8, v2
	s_delay_alu instid0(VALU_DEP_2)
	v_mov_b64_e32 v[2:3], v[24:25]
	s_and_saveexec_b32 s19, s1
; %bb.366:                              ;   in Loop: Header=BB357_15 Depth=1
	v_clz_i32_u32_e32 v2, v24
	s_delay_alu instid0(VALU_DEP_1) | instskip(NEXT) | instid1(VALU_DEP_1)
	v_min_u32_e32 v5, 32, v2
	v_subrev_nc_u32_e32 v2, 28, v5
	s_delay_alu instid0(VALU_DEP_1) | instskip(NEXT) | instid1(VALU_DEP_1)
	v_lshlrev_b64_e32 v[2:3], v2, v[24:25]
	v_dual_sub_nc_u32 v5, 29, v5 :: v_dual_bitop2_b32 v2, 7, v2 bitop3:0x40
; %bb.367:                              ;   in Loop: Header=BB357_15 Depth=1
	s_or_b32 exec_lo, exec_lo, s19
	scratch_load_b64 v[6:7], off, s32 offset:360 ; 8-byte Folded Reload
	v_dual_lshlrev_b32 v3, 24, v4 :: v_dual_lshlrev_b32 v2, 20, v2
	v_lshl_add_u32 v4, v5, 23, 0x3c000000
	s_delay_alu instid0(VALU_DEP_2) | instskip(SKIP_1) | instid1(VALU_DEP_1)
	v_and_b32_e32 v3, 0x80000000, v3
	s_wait_loadcnt 0x0
	v_or3_b32 v7, v2, v3, v4
	scratch_store_b64 off, v[6:7], s32 offset:360 ; 8-byte Folded Spill
.LBB357_368:                            ;   in Loop: Header=BB357_15 Depth=1
	s_wait_xcnt 0x0
	s_or_b32 exec_lo, exec_lo, s18
.LBB357_369:                            ;   in Loop: Header=BB357_15 Depth=1
	s_delay_alu instid0(SALU_CYCLE_1)
	s_or_b32 exec_lo, exec_lo, s17
.LBB357_370:                            ;   in Loop: Header=BB357_15 Depth=1
	s_delay_alu instid0(SALU_CYCLE_1)
	s_or_b32 exec_lo, exec_lo, s16
	v_and_b32_e32 v2, 0xff, v1
	v_dual_mov_b32 v24, v1 :: v_dual_mov_b32 v5, 0
	v_mov_b32_e32 v4, 0
	s_mov_b32 s16, exec_lo
	scratch_store_b64 off, v[4:5], s32 offset:368 ; 8-byte Folded Spill
	s_wait_xcnt 0x0
	v_cmpx_ne_u16_e32 0, v2
	s_cbranch_execz .LBB357_378
; %bb.371:                              ;   in Loop: Header=BB357_15 Depth=1
	v_cmp_ne_u16_e64 s1, 0x80, v2
	scratch_load_b64 v[2:3], off, s32 offset:368 ; 8-byte Folded Reload
	s_wait_loadcnt 0x0
	v_bfrev_b32_e32 v2, 1
	scratch_store_b64 off, v[2:3], s32 offset:368 ; 8-byte Folded Spill
	s_wait_xcnt 0x0
	s_and_saveexec_b32 s17, s1
	s_cbranch_execz .LBB357_377
; %bb.372:                              ;   in Loop: Header=BB357_15 Depth=1
	scratch_load_b64 v[4:5], off, s32 offset:368 ; 8-byte Folded Reload
	v_and_b32_e32 v2, 0x7f, v1
	s_wait_loadcnt 0x0
	v_mov_b32_e32 v4, 0x7f800001
	s_mov_b32 s18, exec_lo
	scratch_store_b64 off, v[4:5], s32 offset:368 ; 8-byte Folded Spill
	s_wait_xcnt 0x0
	v_cmpx_ne_u32_e32 0x7f, v2
	s_cbranch_execz .LBB357_376
; %bb.373:                              ;   in Loop: Header=BB357_15 Depth=1
	v_lshrrev_b32_e32 v4, 3, v2
	v_cmp_gt_u32_e64 s1, 8, v2
	v_mov_b64_e32 v[2:3], v[24:25]
	s_and_saveexec_b32 s19, s1
; %bb.374:                              ;   in Loop: Header=BB357_15 Depth=1
	v_and_b32_e32 v2, 7, v1
	s_delay_alu instid0(VALU_DEP_1) | instskip(NEXT) | instid1(VALU_DEP_1)
	v_clz_i32_u32_e32 v2, v2
	v_min_u32_e32 v4, 32, v2
	s_delay_alu instid0(VALU_DEP_1) | instskip(SKIP_1) | instid1(VALU_DEP_2)
	v_subrev_nc_u32_e32 v2, 28, v4
	v_sub_nc_u32_e32 v4, 29, v4
	v_lshlrev_b64_e32 v[2:3], v2, v[24:25]
; %bb.375:                              ;   in Loop: Header=BB357_15 Depth=1
	s_or_b32 exec_lo, exec_lo, s19
	scratch_load_b64 v[6:7], off, s32 offset:368 ; 8-byte Folded Reload
	v_dual_lshlrev_b32 v2, 20, v2 :: v_dual_lshlrev_b32 v3, 24, v24
	v_lshl_add_u32 v4, v4, 23, 0x3c000000
	s_delay_alu instid0(VALU_DEP_2) | instskip(NEXT) | instid1(VALU_DEP_3)
	v_and_b32_e32 v2, 0x700000, v2
	v_and_b32_e32 v3, 0x80000000, v3
	s_wait_loadcnt 0x0
	s_delay_alu instid0(VALU_DEP_1)
	v_or3_b32 v6, v2, v3, v4
	scratch_store_b64 off, v[6:7], s32 offset:368 ; 8-byte Folded Spill
.LBB357_376:                            ;   in Loop: Header=BB357_15 Depth=1
	s_wait_xcnt 0x0
	s_or_b32 exec_lo, exec_lo, s18
.LBB357_377:                            ;   in Loop: Header=BB357_15 Depth=1
	s_delay_alu instid0(SALU_CYCLE_1)
	s_or_b32 exec_lo, exec_lo, s17
.LBB357_378:                            ;   in Loop: Header=BB357_15 Depth=1
	s_delay_alu instid0(SALU_CYCLE_1) | instskip(SKIP_2) | instid1(VALU_DEP_1)
	s_or_b32 exec_lo, exec_lo, s16
	v_lshrrev_b16 v2, 8, v24
	s_mov_b32 s16, exec_lo
	v_cmpx_ne_u16_e32 0, v2
	s_cbranch_execz .LBB357_386
; %bb.379:                              ;   in Loop: Header=BB357_15 Depth=1
	scratch_load_b64 v[4:5], off, s32 offset:368 ; 8-byte Folded Reload
	s_wait_loadcnt 0x0
	v_bfrev_b32_e32 v5, 1
	s_mov_b32 s17, exec_lo
	scratch_store_b64 off, v[4:5], s32 offset:368 ; 8-byte Folded Spill
	s_wait_xcnt 0x0
	v_cmpx_ne_u16_e32 0x80, v2
	s_cbranch_execz .LBB357_385
; %bb.380:                              ;   in Loop: Header=BB357_15 Depth=1
	scratch_load_b64 v[6:7], off, s32 offset:368 ; 8-byte Folded Reload
	v_and_b32_e32 v2, 0xffff, v2
	s_wait_loadcnt 0x0
	v_mov_b32_e32 v7, 0x7f800001
	s_mov_b32 s18, exec_lo
	s_delay_alu instid0(VALU_DEP_2)
	v_and_b32_e32 v5, 0x7f, v2
	scratch_store_b64 off, v[6:7], s32 offset:368 ; 8-byte Folded Spill
	s_wait_xcnt 0x0
	v_cmpx_ne_u32_e32 0x7f, v5
	s_cbranch_execz .LBB357_384
; %bb.381:                              ;   in Loop: Header=BB357_15 Depth=1
	v_dual_mov_b32 v3, v25 :: v_dual_bitop2_b32 v2, 7, v2 bitop3:0x40
	v_lshrrev_b32_e32 v4, 3, v5
	s_mov_b32 s19, exec_lo
	v_cmpx_gt_u32_e32 8, v5
; %bb.382:                              ;   in Loop: Header=BB357_15 Depth=1
	s_delay_alu instid0(VALU_DEP_3) | instskip(NEXT) | instid1(VALU_DEP_1)
	v_clz_i32_u32_e32 v4, v2
	v_min_u32_e32 v4, 32, v4
	s_delay_alu instid0(VALU_DEP_1) | instskip(NEXT) | instid1(VALU_DEP_1)
	v_subrev_nc_u32_e32 v5, 28, v4
	v_lshlrev_b64_e32 v[2:3], v5, v[2:3]
	s_delay_alu instid0(VALU_DEP_1)
	v_dual_sub_nc_u32 v4, 29, v4 :: v_dual_bitop2_b32 v2, 7, v2 bitop3:0x40
; %bb.383:                              ;   in Loop: Header=BB357_15 Depth=1
	s_or_b32 exec_lo, exec_lo, s19
	scratch_load_b64 v[6:7], off, s32 offset:368 ; 8-byte Folded Reload
	v_dual_lshlrev_b32 v3, 16, v24 :: v_dual_lshlrev_b32 v2, 20, v2
	v_lshl_add_u32 v4, v4, 23, 0x3c000000
	s_delay_alu instid0(VALU_DEP_2) | instskip(SKIP_1) | instid1(VALU_DEP_1)
	v_and_b32_e32 v3, 0x80000000, v3
	s_wait_loadcnt 0x0
	v_or3_b32 v7, v2, v3, v4
	scratch_store_b64 off, v[6:7], s32 offset:368 ; 8-byte Folded Spill
.LBB357_384:                            ;   in Loop: Header=BB357_15 Depth=1
	s_wait_xcnt 0x0
	s_or_b32 exec_lo, exec_lo, s18
.LBB357_385:                            ;   in Loop: Header=BB357_15 Depth=1
	s_delay_alu instid0(SALU_CYCLE_1)
	s_or_b32 exec_lo, exec_lo, s17
.LBB357_386:                            ;   in Loop: Header=BB357_15 Depth=1
	s_delay_alu instid0(SALU_CYCLE_1) | instskip(SKIP_3) | instid1(VALU_DEP_2)
	s_or_b32 exec_lo, exec_lo, s16
	v_dual_mov_b32 v7, 0 :: v_dual_lshrrev_b32 v4, 16, v1
	v_mov_b32_e32 v6, 0
	s_mov_b32 s16, exec_lo
	v_and_b32_e32 v2, 0xff, v4
	scratch_store_b64 off, v[6:7], s32 offset:376 ; 8-byte Folded Spill
	s_wait_xcnt 0x0
	v_cmpx_ne_u16_e32 0, v2
	s_cbranch_execz .LBB357_394
; %bb.387:                              ;   in Loop: Header=BB357_15 Depth=1
	v_cmp_ne_u16_e64 s1, 0x80, v2
	scratch_load_b64 v[2:3], off, s32 offset:376 ; 8-byte Folded Reload
	s_wait_loadcnt 0x0
	v_bfrev_b32_e32 v2, 1
	scratch_store_b64 off, v[2:3], s32 offset:376 ; 8-byte Folded Spill
	s_wait_xcnt 0x0
	s_and_saveexec_b32 s17, s1
	s_cbranch_execz .LBB357_393
; %bb.388:                              ;   in Loop: Header=BB357_15 Depth=1
	scratch_load_b64 v[6:7], off, s32 offset:376 ; 8-byte Folded Reload
	v_bfe_u32 v2, v1, 16, 7
	s_wait_loadcnt 0x0
	v_mov_b32_e32 v6, 0x7f800001
	s_mov_b32 s18, exec_lo
	scratch_store_b64 off, v[6:7], s32 offset:376 ; 8-byte Folded Spill
	s_wait_xcnt 0x0
	v_cmpx_ne_u32_e32 0x7f, v2
	s_cbranch_execz .LBB357_392
; %bb.389:                              ;   in Loop: Header=BB357_15 Depth=1
	v_dual_lshrrev_b32 v5, 3, v2 :: v_dual_bitop2_b32 v24, 7, v4 bitop3:0x40
	v_cmp_gt_u32_e64 s1, 8, v2
	s_delay_alu instid0(VALU_DEP_2)
	v_mov_b64_e32 v[2:3], v[24:25]
	s_and_saveexec_b32 s19, s1
; %bb.390:                              ;   in Loop: Header=BB357_15 Depth=1
	v_clz_i32_u32_e32 v2, v24
	s_delay_alu instid0(VALU_DEP_1) | instskip(NEXT) | instid1(VALU_DEP_1)
	v_min_u32_e32 v5, 32, v2
	v_subrev_nc_u32_e32 v2, 28, v5
	s_delay_alu instid0(VALU_DEP_1) | instskip(NEXT) | instid1(VALU_DEP_1)
	v_lshlrev_b64_e32 v[2:3], v2, v[24:25]
	v_dual_sub_nc_u32 v5, 29, v5 :: v_dual_bitop2_b32 v2, 7, v2 bitop3:0x40
; %bb.391:                              ;   in Loop: Header=BB357_15 Depth=1
	s_or_b32 exec_lo, exec_lo, s19
	scratch_load_b64 v[6:7], off, s32 offset:376 ; 8-byte Folded Reload
	v_dual_lshlrev_b32 v3, 24, v4 :: v_dual_lshlrev_b32 v2, 20, v2
	v_lshl_add_u32 v4, v5, 23, 0x3c000000
	s_delay_alu instid0(VALU_DEP_2) | instskip(SKIP_1) | instid1(VALU_DEP_1)
	v_and_b32_e32 v3, 0x80000000, v3
	s_wait_loadcnt 0x0
	v_or3_b32 v6, v2, v3, v4
	scratch_store_b64 off, v[6:7], s32 offset:376 ; 8-byte Folded Spill
.LBB357_392:                            ;   in Loop: Header=BB357_15 Depth=1
	s_wait_xcnt 0x0
	s_or_b32 exec_lo, exec_lo, s18
.LBB357_393:                            ;   in Loop: Header=BB357_15 Depth=1
	s_delay_alu instid0(SALU_CYCLE_1)
	s_or_b32 exec_lo, exec_lo, s17
.LBB357_394:                            ;   in Loop: Header=BB357_15 Depth=1
	s_delay_alu instid0(SALU_CYCLE_1) | instskip(NEXT) | instid1(SALU_CYCLE_1)
	s_or_b32 exec_lo, exec_lo, s16
	s_mov_b32 s16, exec_lo
	v_cmpx_lt_u64_e64 s[8:9], v[0:1]
	s_cbranch_execz .LBB357_402
; %bb.395:                              ;   in Loop: Header=BB357_15 Depth=1
	scratch_load_b64 v[4:5], off, s32 offset:376 ; 8-byte Folded Reload
	v_lshrrev_b32_e32 v2, 24, v1
	s_wait_loadcnt 0x0
	v_bfrev_b32_e32 v5, 1
	s_mov_b32 s17, exec_lo
	scratch_store_b64 off, v[4:5], s32 offset:376 ; 8-byte Folded Spill
	s_wait_xcnt 0x0
	v_cmpx_ne_u32_e32 0x80, v2
	s_cbranch_execz .LBB357_401
; %bb.396:                              ;   in Loop: Header=BB357_15 Depth=1
	scratch_load_b64 v[4:5], off, s32 offset:376 ; 8-byte Folded Reload
	v_bfe_u32 v0, v1, 24, 7
	s_wait_loadcnt 0x0
	v_mov_b32_e32 v5, 0x7f800001
	s_mov_b32 s18, exec_lo
	scratch_store_b64 off, v[4:5], s32 offset:376 ; 8-byte Folded Spill
	s_wait_xcnt 0x0
	v_cmpx_ne_u32_e32 0x7f, v0
	s_cbranch_execz .LBB357_400
; %bb.397:                              ;   in Loop: Header=BB357_15 Depth=1
	v_dual_lshrrev_b32 v3, 3, v0 :: v_dual_bitop2_b32 v24, 7, v2 bitop3:0x40
	v_cmp_gt_u32_e64 s1, 8, v0
	s_delay_alu instid0(VALU_DEP_2)
	v_mov_b64_e32 v[0:1], v[24:25]
	s_and_saveexec_b32 s19, s1
; %bb.398:                              ;   in Loop: Header=BB357_15 Depth=1
	v_clz_i32_u32_e32 v0, v24
	s_delay_alu instid0(VALU_DEP_1) | instskip(NEXT) | instid1(VALU_DEP_1)
	v_min_u32_e32 v3, 32, v0
	v_subrev_nc_u32_e32 v0, 28, v3
	s_delay_alu instid0(VALU_DEP_1) | instskip(NEXT) | instid1(VALU_DEP_1)
	v_lshlrev_b64_e32 v[0:1], v0, v[24:25]
	v_dual_sub_nc_u32 v3, 29, v3 :: v_dual_bitop2_b32 v0, 7, v0 bitop3:0x40
; %bb.399:                              ;   in Loop: Header=BB357_15 Depth=1
	s_or_b32 exec_lo, exec_lo, s19
	scratch_load_b64 v[4:5], off, s32 offset:376 ; 8-byte Folded Reload
	v_dual_lshlrev_b32 v1, 24, v2 :: v_dual_lshlrev_b32 v0, 20, v0
	v_lshl_add_u32 v2, v3, 23, 0x3c000000
	s_delay_alu instid0(VALU_DEP_2) | instskip(SKIP_1) | instid1(VALU_DEP_1)
	v_and_b32_e32 v1, 0x80000000, v1
	s_wait_loadcnt 0x0
	v_or3_b32 v5, v0, v1, v2
	scratch_store_b64 off, v[4:5], s32 offset:376 ; 8-byte Folded Spill
.LBB357_400:                            ;   in Loop: Header=BB357_15 Depth=1
	s_wait_xcnt 0x0
	s_or_b32 exec_lo, exec_lo, s18
.LBB357_401:                            ;   in Loop: Header=BB357_15 Depth=1
	s_delay_alu instid0(SALU_CYCLE_1)
	s_or_b32 exec_lo, exec_lo, s17
.LBB357_402:                            ;   in Loop: Header=BB357_15 Depth=1
	s_delay_alu instid0(SALU_CYCLE_1)
	s_or_b32 exec_lo, exec_lo, s16
	flat_load_b64 v[0:1], v[102:103] offset:1536
	v_dual_mov_b32 v5, 0 :: v_dual_mov_b32 v4, 0
	s_mov_b32 s16, exec_lo
	scratch_store_b64 off, v[4:5], s32 offset:384 ; 8-byte Folded Spill
	s_wait_loadcnt_dscnt 0x0
	v_and_b32_e32 v2, 0xff, v0
	s_wait_xcnt 0x0
	s_delay_alu instid0(VALU_DEP_1)
	v_cmpx_ne_u16_e32 0, v2
	s_cbranch_execz .LBB357_410
; %bb.403:                              ;   in Loop: Header=BB357_15 Depth=1
	v_cmp_ne_u16_e64 s1, 0x80, v2
	scratch_load_b64 v[2:3], off, s32 offset:384 ; 8-byte Folded Reload
	s_wait_loadcnt 0x0
	v_bfrev_b32_e32 v2, 1
	scratch_store_b64 off, v[2:3], s32 offset:384 ; 8-byte Folded Spill
	s_wait_xcnt 0x0
	s_and_saveexec_b32 s17, s1
	s_cbranch_execz .LBB357_409
; %bb.404:                              ;   in Loop: Header=BB357_15 Depth=1
	scratch_load_b64 v[4:5], off, s32 offset:384 ; 8-byte Folded Reload
	v_and_b32_e32 v2, 0x7f, v0
	s_wait_loadcnt 0x0
	v_mov_b32_e32 v4, 0x7f800001
	s_mov_b32 s18, exec_lo
	scratch_store_b64 off, v[4:5], s32 offset:384 ; 8-byte Folded Spill
	s_wait_xcnt 0x0
	v_cmpx_ne_u32_e32 0x7f, v2
	s_cbranch_execz .LBB357_408
; %bb.405:                              ;   in Loop: Header=BB357_15 Depth=1
	v_lshrrev_b32_e32 v4, 3, v2
	v_cmp_gt_u32_e64 s1, 8, v2
	v_mov_b64_e32 v[2:3], v[0:1]
	s_and_saveexec_b32 s19, s1
; %bb.406:                              ;   in Loop: Header=BB357_15 Depth=1
	v_and_b32_e32 v2, 7, v0
	s_delay_alu instid0(VALU_DEP_1) | instskip(NEXT) | instid1(VALU_DEP_1)
	v_clz_i32_u32_e32 v2, v2
	v_min_u32_e32 v4, 32, v2
	s_delay_alu instid0(VALU_DEP_1) | instskip(SKIP_1) | instid1(VALU_DEP_2)
	v_subrev_nc_u32_e32 v2, 28, v4
	v_sub_nc_u32_e32 v4, 29, v4
	v_lshlrev_b64_e32 v[2:3], v2, v[0:1]
; %bb.407:                              ;   in Loop: Header=BB357_15 Depth=1
	s_or_b32 exec_lo, exec_lo, s19
	scratch_load_b64 v[6:7], off, s32 offset:384 ; 8-byte Folded Reload
	v_dual_lshlrev_b32 v2, 20, v2 :: v_dual_lshlrev_b32 v3, 24, v0
	v_lshl_add_u32 v4, v4, 23, 0x3c000000
	s_delay_alu instid0(VALU_DEP_2) | instskip(NEXT) | instid1(VALU_DEP_3)
	v_and_b32_e32 v2, 0x700000, v2
	v_and_b32_e32 v3, 0x80000000, v3
	s_wait_loadcnt 0x0
	s_delay_alu instid0(VALU_DEP_1)
	v_or3_b32 v6, v2, v3, v4
	scratch_store_b64 off, v[6:7], s32 offset:384 ; 8-byte Folded Spill
.LBB357_408:                            ;   in Loop: Header=BB357_15 Depth=1
	s_wait_xcnt 0x0
	s_or_b32 exec_lo, exec_lo, s18
.LBB357_409:                            ;   in Loop: Header=BB357_15 Depth=1
	s_delay_alu instid0(SALU_CYCLE_1)
	s_or_b32 exec_lo, exec_lo, s17
.LBB357_410:                            ;   in Loop: Header=BB357_15 Depth=1
	s_delay_alu instid0(SALU_CYCLE_1) | instskip(SKIP_2) | instid1(VALU_DEP_1)
	s_or_b32 exec_lo, exec_lo, s16
	v_lshrrev_b16 v2, 8, v0
	s_mov_b32 s16, exec_lo
	v_cmpx_ne_u16_e32 0, v2
	s_cbranch_execz .LBB357_418
; %bb.411:                              ;   in Loop: Header=BB357_15 Depth=1
	scratch_load_b64 v[4:5], off, s32 offset:384 ; 8-byte Folded Reload
	s_wait_loadcnt 0x0
	v_bfrev_b32_e32 v5, 1
	s_mov_b32 s17, exec_lo
	scratch_store_b64 off, v[4:5], s32 offset:384 ; 8-byte Folded Spill
	s_wait_xcnt 0x0
	v_cmpx_ne_u16_e32 0x80, v2
	s_cbranch_execz .LBB357_417
; %bb.412:                              ;   in Loop: Header=BB357_15 Depth=1
	scratch_load_b64 v[4:5], off, s32 offset:384 ; 8-byte Folded Reload
	v_and_b32_e32 v3, 0xffff, v2
	s_wait_loadcnt 0x0
	v_mov_b32_e32 v5, 0x7f800001
	s_mov_b32 s18, exec_lo
	s_delay_alu instid0(VALU_DEP_2)
	v_and_b32_e32 v2, 0x7f, v3
	scratch_store_b64 off, v[4:5], s32 offset:384 ; 8-byte Folded Spill
	s_wait_xcnt 0x0
	v_cmpx_ne_u32_e32 0x7f, v2
	s_cbranch_execz .LBB357_416
; %bb.413:                              ;   in Loop: Header=BB357_15 Depth=1
	v_dual_lshrrev_b32 v4, 3, v2 :: v_dual_bitop2_b32 v24, 7, v3 bitop3:0x40
	v_cmp_gt_u32_e64 s1, 8, v2
	s_delay_alu instid0(VALU_DEP_2)
	v_mov_b64_e32 v[2:3], v[24:25]
	s_and_saveexec_b32 s19, s1
; %bb.414:                              ;   in Loop: Header=BB357_15 Depth=1
	v_clz_i32_u32_e32 v2, v24
	s_delay_alu instid0(VALU_DEP_1) | instskip(NEXT) | instid1(VALU_DEP_1)
	v_min_u32_e32 v4, 32, v2
	v_subrev_nc_u32_e32 v2, 28, v4
	s_delay_alu instid0(VALU_DEP_1) | instskip(NEXT) | instid1(VALU_DEP_1)
	v_lshlrev_b64_e32 v[2:3], v2, v[24:25]
	v_dual_sub_nc_u32 v4, 29, v4 :: v_dual_bitop2_b32 v2, 7, v2 bitop3:0x40
; %bb.415:                              ;   in Loop: Header=BB357_15 Depth=1
	s_or_b32 exec_lo, exec_lo, s19
	scratch_load_b64 v[6:7], off, s32 offset:384 ; 8-byte Folded Reload
	v_dual_lshlrev_b32 v3, 16, v0 :: v_dual_lshlrev_b32 v2, 20, v2
	v_lshl_add_u32 v4, v4, 23, 0x3c000000
	s_delay_alu instid0(VALU_DEP_2) | instskip(SKIP_1) | instid1(VALU_DEP_1)
	v_and_b32_e32 v3, 0x80000000, v3
	s_wait_loadcnt 0x0
	v_or3_b32 v7, v2, v3, v4
	scratch_store_b64 off, v[6:7], s32 offset:384 ; 8-byte Folded Spill
.LBB357_416:                            ;   in Loop: Header=BB357_15 Depth=1
	s_wait_xcnt 0x0
	s_or_b32 exec_lo, exec_lo, s18
.LBB357_417:                            ;   in Loop: Header=BB357_15 Depth=1
	s_delay_alu instid0(SALU_CYCLE_1)
	s_or_b32 exec_lo, exec_lo, s17
.LBB357_418:                            ;   in Loop: Header=BB357_15 Depth=1
	s_delay_alu instid0(SALU_CYCLE_1) | instskip(SKIP_3) | instid1(VALU_DEP_2)
	s_or_b32 exec_lo, exec_lo, s16
	v_dual_mov_b32 v7, 0 :: v_dual_lshrrev_b32 v4, 16, v0
	v_mov_b32_e32 v6, 0
	s_mov_b32 s16, exec_lo
	v_and_b32_e32 v2, 0xff, v4
	scratch_store_b64 off, v[6:7], s32 offset:392 ; 8-byte Folded Spill
	s_wait_xcnt 0x0
	v_cmpx_ne_u16_e32 0, v2
	s_cbranch_execz .LBB357_426
; %bb.419:                              ;   in Loop: Header=BB357_15 Depth=1
	v_cmp_ne_u16_e64 s1, 0x80, v2
	scratch_load_b64 v[2:3], off, s32 offset:392 ; 8-byte Folded Reload
	s_wait_loadcnt 0x0
	v_bfrev_b32_e32 v2, 1
	scratch_store_b64 off, v[2:3], s32 offset:392 ; 8-byte Folded Spill
	s_wait_xcnt 0x0
	s_and_saveexec_b32 s17, s1
	s_cbranch_execz .LBB357_425
; %bb.420:                              ;   in Loop: Header=BB357_15 Depth=1
	scratch_load_b64 v[6:7], off, s32 offset:392 ; 8-byte Folded Reload
	v_bfe_u32 v2, v0, 16, 7
	s_wait_loadcnt 0x0
	v_mov_b32_e32 v6, 0x7f800001
	s_mov_b32 s18, exec_lo
	scratch_store_b64 off, v[6:7], s32 offset:392 ; 8-byte Folded Spill
	s_wait_xcnt 0x0
	v_cmpx_ne_u32_e32 0x7f, v2
	s_cbranch_execz .LBB357_424
; %bb.421:                              ;   in Loop: Header=BB357_15 Depth=1
	v_dual_lshrrev_b32 v5, 3, v2 :: v_dual_bitop2_b32 v24, 7, v4 bitop3:0x40
	v_cmp_gt_u32_e64 s1, 8, v2
	s_delay_alu instid0(VALU_DEP_2)
	v_mov_b64_e32 v[2:3], v[24:25]
	s_and_saveexec_b32 s19, s1
; %bb.422:                              ;   in Loop: Header=BB357_15 Depth=1
	v_clz_i32_u32_e32 v2, v24
	s_delay_alu instid0(VALU_DEP_1) | instskip(NEXT) | instid1(VALU_DEP_1)
	v_min_u32_e32 v5, 32, v2
	v_subrev_nc_u32_e32 v2, 28, v5
	s_delay_alu instid0(VALU_DEP_1) | instskip(NEXT) | instid1(VALU_DEP_1)
	v_lshlrev_b64_e32 v[2:3], v2, v[24:25]
	v_dual_sub_nc_u32 v5, 29, v5 :: v_dual_bitop2_b32 v2, 7, v2 bitop3:0x40
; %bb.423:                              ;   in Loop: Header=BB357_15 Depth=1
	s_or_b32 exec_lo, exec_lo, s19
	scratch_load_b64 v[6:7], off, s32 offset:392 ; 8-byte Folded Reload
	v_dual_lshlrev_b32 v3, 24, v4 :: v_dual_lshlrev_b32 v2, 20, v2
	v_lshl_add_u32 v4, v5, 23, 0x3c000000
	s_delay_alu instid0(VALU_DEP_2) | instskip(SKIP_1) | instid1(VALU_DEP_1)
	v_and_b32_e32 v3, 0x80000000, v3
	s_wait_loadcnt 0x0
	v_or3_b32 v6, v2, v3, v4
	scratch_store_b64 off, v[6:7], s32 offset:392 ; 8-byte Folded Spill
.LBB357_424:                            ;   in Loop: Header=BB357_15 Depth=1
	s_wait_xcnt 0x0
	s_or_b32 exec_lo, exec_lo, s18
.LBB357_425:                            ;   in Loop: Header=BB357_15 Depth=1
	s_delay_alu instid0(SALU_CYCLE_1)
	s_or_b32 exec_lo, exec_lo, s17
.LBB357_426:                            ;   in Loop: Header=BB357_15 Depth=1
	s_delay_alu instid0(SALU_CYCLE_1) | instskip(NEXT) | instid1(SALU_CYCLE_1)
	s_or_b32 exec_lo, exec_lo, s16
	s_mov_b32 s16, exec_lo
	v_cmpx_lt_u32_e32 0xffffff, v0
	s_cbranch_execz .LBB357_434
; %bb.427:                              ;   in Loop: Header=BB357_15 Depth=1
	scratch_load_b64 v[2:3], off, s32 offset:392 ; 8-byte Folded Reload
	v_lshrrev_b32_e32 v4, 24, v0
	s_wait_loadcnt 0x0
	v_bfrev_b32_e32 v3, 1
	s_mov_b32 s17, exec_lo
	scratch_store_b64 off, v[2:3], s32 offset:392 ; 8-byte Folded Spill
	s_wait_xcnt 0x0
	v_cmpx_ne_u32_e32 0x80, v4
	s_cbranch_execz .LBB357_433
; %bb.428:                              ;   in Loop: Header=BB357_15 Depth=1
	scratch_load_b64 v[6:7], off, s32 offset:392 ; 8-byte Folded Reload
	v_bfe_u32 v2, v0, 24, 7
	s_wait_loadcnt 0x0
	v_mov_b32_e32 v7, 0x7f800001
	s_mov_b32 s18, exec_lo
	scratch_store_b64 off, v[6:7], s32 offset:392 ; 8-byte Folded Spill
	s_wait_xcnt 0x0
	v_cmpx_ne_u32_e32 0x7f, v2
	s_cbranch_execz .LBB357_432
; %bb.429:                              ;   in Loop: Header=BB357_15 Depth=1
	v_dual_lshrrev_b32 v5, 3, v2 :: v_dual_bitop2_b32 v24, 7, v4 bitop3:0x40
	v_cmp_gt_u32_e64 s1, 8, v2
	s_delay_alu instid0(VALU_DEP_2)
	v_mov_b64_e32 v[2:3], v[24:25]
	s_and_saveexec_b32 s19, s1
; %bb.430:                              ;   in Loop: Header=BB357_15 Depth=1
	v_clz_i32_u32_e32 v2, v24
	s_delay_alu instid0(VALU_DEP_1) | instskip(NEXT) | instid1(VALU_DEP_1)
	v_min_u32_e32 v5, 32, v2
	v_subrev_nc_u32_e32 v2, 28, v5
	s_delay_alu instid0(VALU_DEP_1) | instskip(NEXT) | instid1(VALU_DEP_1)
	v_lshlrev_b64_e32 v[2:3], v2, v[24:25]
	v_dual_sub_nc_u32 v5, 29, v5 :: v_dual_bitop2_b32 v2, 7, v2 bitop3:0x40
; %bb.431:                              ;   in Loop: Header=BB357_15 Depth=1
	s_or_b32 exec_lo, exec_lo, s19
	scratch_load_b64 v[6:7], off, s32 offset:392 ; 8-byte Folded Reload
	v_dual_lshlrev_b32 v3, 24, v4 :: v_dual_lshlrev_b32 v2, 20, v2
	v_lshl_add_u32 v4, v5, 23, 0x3c000000
	s_delay_alu instid0(VALU_DEP_2) | instskip(SKIP_1) | instid1(VALU_DEP_1)
	v_and_b32_e32 v3, 0x80000000, v3
	s_wait_loadcnt 0x0
	v_or3_b32 v7, v2, v3, v4
	scratch_store_b64 off, v[6:7], s32 offset:392 ; 8-byte Folded Spill
.LBB357_432:                            ;   in Loop: Header=BB357_15 Depth=1
	s_wait_xcnt 0x0
	s_or_b32 exec_lo, exec_lo, s18
.LBB357_433:                            ;   in Loop: Header=BB357_15 Depth=1
	s_delay_alu instid0(SALU_CYCLE_1)
	s_or_b32 exec_lo, exec_lo, s17
.LBB357_434:                            ;   in Loop: Header=BB357_15 Depth=1
	s_delay_alu instid0(SALU_CYCLE_1)
	s_or_b32 exec_lo, exec_lo, s16
	v_and_b32_e32 v2, 0xff, v1
	v_dual_mov_b32 v24, v1 :: v_dual_mov_b32 v5, 0
	v_mov_b32_e32 v4, 0
	s_mov_b32 s16, exec_lo
	scratch_store_b64 off, v[4:5], s32 offset:400 ; 8-byte Folded Spill
	s_wait_xcnt 0x0
	v_cmpx_ne_u16_e32 0, v2
	s_cbranch_execz .LBB357_442
; %bb.435:                              ;   in Loop: Header=BB357_15 Depth=1
	v_cmp_ne_u16_e64 s1, 0x80, v2
	scratch_load_b64 v[2:3], off, s32 offset:400 ; 8-byte Folded Reload
	s_wait_loadcnt 0x0
	v_bfrev_b32_e32 v2, 1
	scratch_store_b64 off, v[2:3], s32 offset:400 ; 8-byte Folded Spill
	s_wait_xcnt 0x0
	s_and_saveexec_b32 s17, s1
	s_cbranch_execz .LBB357_441
; %bb.436:                              ;   in Loop: Header=BB357_15 Depth=1
	scratch_load_b64 v[4:5], off, s32 offset:400 ; 8-byte Folded Reload
	v_and_b32_e32 v2, 0x7f, v1
	s_wait_loadcnt 0x0
	v_mov_b32_e32 v4, 0x7f800001
	s_mov_b32 s18, exec_lo
	scratch_store_b64 off, v[4:5], s32 offset:400 ; 8-byte Folded Spill
	s_wait_xcnt 0x0
	v_cmpx_ne_u32_e32 0x7f, v2
	s_cbranch_execz .LBB357_440
; %bb.437:                              ;   in Loop: Header=BB357_15 Depth=1
	v_lshrrev_b32_e32 v4, 3, v2
	v_cmp_gt_u32_e64 s1, 8, v2
	v_mov_b64_e32 v[2:3], v[24:25]
	s_and_saveexec_b32 s19, s1
; %bb.438:                              ;   in Loop: Header=BB357_15 Depth=1
	v_and_b32_e32 v2, 7, v1
	s_delay_alu instid0(VALU_DEP_1) | instskip(NEXT) | instid1(VALU_DEP_1)
	v_clz_i32_u32_e32 v2, v2
	v_min_u32_e32 v4, 32, v2
	s_delay_alu instid0(VALU_DEP_1) | instskip(SKIP_1) | instid1(VALU_DEP_2)
	v_subrev_nc_u32_e32 v2, 28, v4
	v_sub_nc_u32_e32 v4, 29, v4
	v_lshlrev_b64_e32 v[2:3], v2, v[24:25]
; %bb.439:                              ;   in Loop: Header=BB357_15 Depth=1
	s_or_b32 exec_lo, exec_lo, s19
	scratch_load_b64 v[6:7], off, s32 offset:400 ; 8-byte Folded Reload
	v_dual_lshlrev_b32 v2, 20, v2 :: v_dual_lshlrev_b32 v3, 24, v24
	v_lshl_add_u32 v4, v4, 23, 0x3c000000
	s_delay_alu instid0(VALU_DEP_2) | instskip(NEXT) | instid1(VALU_DEP_3)
	v_and_b32_e32 v2, 0x700000, v2
	v_and_b32_e32 v3, 0x80000000, v3
	s_wait_loadcnt 0x0
	s_delay_alu instid0(VALU_DEP_1)
	v_or3_b32 v6, v2, v3, v4
	scratch_store_b64 off, v[6:7], s32 offset:400 ; 8-byte Folded Spill
.LBB357_440:                            ;   in Loop: Header=BB357_15 Depth=1
	s_wait_xcnt 0x0
	s_or_b32 exec_lo, exec_lo, s18
.LBB357_441:                            ;   in Loop: Header=BB357_15 Depth=1
	s_delay_alu instid0(SALU_CYCLE_1)
	s_or_b32 exec_lo, exec_lo, s17
.LBB357_442:                            ;   in Loop: Header=BB357_15 Depth=1
	s_delay_alu instid0(SALU_CYCLE_1) | instskip(SKIP_2) | instid1(VALU_DEP_1)
	s_or_b32 exec_lo, exec_lo, s16
	v_lshrrev_b16 v2, 8, v24
	s_mov_b32 s16, exec_lo
	v_cmpx_ne_u16_e32 0, v2
	s_cbranch_execz .LBB357_450
; %bb.443:                              ;   in Loop: Header=BB357_15 Depth=1
	scratch_load_b64 v[4:5], off, s32 offset:400 ; 8-byte Folded Reload
	s_wait_loadcnt 0x0
	v_bfrev_b32_e32 v5, 1
	s_mov_b32 s17, exec_lo
	scratch_store_b64 off, v[4:5], s32 offset:400 ; 8-byte Folded Spill
	s_wait_xcnt 0x0
	v_cmpx_ne_u16_e32 0x80, v2
	s_cbranch_execz .LBB357_449
; %bb.444:                              ;   in Loop: Header=BB357_15 Depth=1
	scratch_load_b64 v[6:7], off, s32 offset:400 ; 8-byte Folded Reload
	v_and_b32_e32 v2, 0xffff, v2
	s_wait_loadcnt 0x0
	v_mov_b32_e32 v7, 0x7f800001
	s_mov_b32 s18, exec_lo
	s_delay_alu instid0(VALU_DEP_2)
	v_and_b32_e32 v5, 0x7f, v2
	scratch_store_b64 off, v[6:7], s32 offset:400 ; 8-byte Folded Spill
	s_wait_xcnt 0x0
	v_cmpx_ne_u32_e32 0x7f, v5
	s_cbranch_execz .LBB357_448
; %bb.445:                              ;   in Loop: Header=BB357_15 Depth=1
	v_dual_mov_b32 v3, v25 :: v_dual_bitop2_b32 v2, 7, v2 bitop3:0x40
	v_lshrrev_b32_e32 v4, 3, v5
	s_mov_b32 s19, exec_lo
	v_cmpx_gt_u32_e32 8, v5
; %bb.446:                              ;   in Loop: Header=BB357_15 Depth=1
	s_delay_alu instid0(VALU_DEP_3) | instskip(NEXT) | instid1(VALU_DEP_1)
	v_clz_i32_u32_e32 v4, v2
	v_min_u32_e32 v4, 32, v4
	s_delay_alu instid0(VALU_DEP_1) | instskip(NEXT) | instid1(VALU_DEP_1)
	v_subrev_nc_u32_e32 v5, 28, v4
	v_lshlrev_b64_e32 v[2:3], v5, v[2:3]
	s_delay_alu instid0(VALU_DEP_1)
	v_dual_sub_nc_u32 v4, 29, v4 :: v_dual_bitop2_b32 v2, 7, v2 bitop3:0x40
; %bb.447:                              ;   in Loop: Header=BB357_15 Depth=1
	s_or_b32 exec_lo, exec_lo, s19
	scratch_load_b64 v[6:7], off, s32 offset:400 ; 8-byte Folded Reload
	v_dual_lshlrev_b32 v3, 16, v24 :: v_dual_lshlrev_b32 v2, 20, v2
	v_lshl_add_u32 v4, v4, 23, 0x3c000000
	s_delay_alu instid0(VALU_DEP_2) | instskip(SKIP_1) | instid1(VALU_DEP_1)
	v_and_b32_e32 v3, 0x80000000, v3
	s_wait_loadcnt 0x0
	v_or3_b32 v7, v2, v3, v4
	scratch_store_b64 off, v[6:7], s32 offset:400 ; 8-byte Folded Spill
.LBB357_448:                            ;   in Loop: Header=BB357_15 Depth=1
	s_wait_xcnt 0x0
	s_or_b32 exec_lo, exec_lo, s18
.LBB357_449:                            ;   in Loop: Header=BB357_15 Depth=1
	s_delay_alu instid0(SALU_CYCLE_1)
	s_or_b32 exec_lo, exec_lo, s17
.LBB357_450:                            ;   in Loop: Header=BB357_15 Depth=1
	s_delay_alu instid0(SALU_CYCLE_1) | instskip(SKIP_3) | instid1(VALU_DEP_2)
	s_or_b32 exec_lo, exec_lo, s16
	v_dual_mov_b32 v7, 0 :: v_dual_lshrrev_b32 v4, 16, v1
	v_mov_b32_e32 v6, 0
	s_mov_b32 s16, exec_lo
	v_and_b32_e32 v2, 0xff, v4
	scratch_store_b64 off, v[6:7], s32 offset:408 ; 8-byte Folded Spill
	s_wait_xcnt 0x0
	v_cmpx_ne_u16_e32 0, v2
	s_cbranch_execz .LBB357_458
; %bb.451:                              ;   in Loop: Header=BB357_15 Depth=1
	v_cmp_ne_u16_e64 s1, 0x80, v2
	scratch_load_b64 v[2:3], off, s32 offset:408 ; 8-byte Folded Reload
	s_wait_loadcnt 0x0
	v_bfrev_b32_e32 v2, 1
	scratch_store_b64 off, v[2:3], s32 offset:408 ; 8-byte Folded Spill
	s_wait_xcnt 0x0
	s_and_saveexec_b32 s17, s1
	s_cbranch_execz .LBB357_457
; %bb.452:                              ;   in Loop: Header=BB357_15 Depth=1
	scratch_load_b64 v[6:7], off, s32 offset:408 ; 8-byte Folded Reload
	v_bfe_u32 v2, v1, 16, 7
	s_wait_loadcnt 0x0
	v_mov_b32_e32 v6, 0x7f800001
	s_mov_b32 s18, exec_lo
	scratch_store_b64 off, v[6:7], s32 offset:408 ; 8-byte Folded Spill
	s_wait_xcnt 0x0
	v_cmpx_ne_u32_e32 0x7f, v2
	s_cbranch_execz .LBB357_456
; %bb.453:                              ;   in Loop: Header=BB357_15 Depth=1
	v_dual_lshrrev_b32 v5, 3, v2 :: v_dual_bitop2_b32 v24, 7, v4 bitop3:0x40
	v_cmp_gt_u32_e64 s1, 8, v2
	s_delay_alu instid0(VALU_DEP_2)
	v_mov_b64_e32 v[2:3], v[24:25]
	s_and_saveexec_b32 s19, s1
; %bb.454:                              ;   in Loop: Header=BB357_15 Depth=1
	v_clz_i32_u32_e32 v2, v24
	s_delay_alu instid0(VALU_DEP_1) | instskip(NEXT) | instid1(VALU_DEP_1)
	v_min_u32_e32 v5, 32, v2
	v_subrev_nc_u32_e32 v2, 28, v5
	s_delay_alu instid0(VALU_DEP_1) | instskip(NEXT) | instid1(VALU_DEP_1)
	v_lshlrev_b64_e32 v[2:3], v2, v[24:25]
	v_dual_sub_nc_u32 v5, 29, v5 :: v_dual_bitop2_b32 v2, 7, v2 bitop3:0x40
; %bb.455:                              ;   in Loop: Header=BB357_15 Depth=1
	s_or_b32 exec_lo, exec_lo, s19
	scratch_load_b64 v[6:7], off, s32 offset:408 ; 8-byte Folded Reload
	v_dual_lshlrev_b32 v3, 24, v4 :: v_dual_lshlrev_b32 v2, 20, v2
	v_lshl_add_u32 v4, v5, 23, 0x3c000000
	s_delay_alu instid0(VALU_DEP_2) | instskip(SKIP_1) | instid1(VALU_DEP_1)
	v_and_b32_e32 v3, 0x80000000, v3
	s_wait_loadcnt 0x0
	v_or3_b32 v6, v2, v3, v4
	scratch_store_b64 off, v[6:7], s32 offset:408 ; 8-byte Folded Spill
.LBB357_456:                            ;   in Loop: Header=BB357_15 Depth=1
	s_wait_xcnt 0x0
	s_or_b32 exec_lo, exec_lo, s18
.LBB357_457:                            ;   in Loop: Header=BB357_15 Depth=1
	s_delay_alu instid0(SALU_CYCLE_1)
	s_or_b32 exec_lo, exec_lo, s17
.LBB357_458:                            ;   in Loop: Header=BB357_15 Depth=1
	s_delay_alu instid0(SALU_CYCLE_1) | instskip(NEXT) | instid1(SALU_CYCLE_1)
	s_or_b32 exec_lo, exec_lo, s16
	s_mov_b32 s16, exec_lo
	v_cmpx_lt_u64_e64 s[8:9], v[0:1]
	s_cbranch_execz .LBB357_466
; %bb.459:                              ;   in Loop: Header=BB357_15 Depth=1
	scratch_load_b64 v[4:5], off, s32 offset:408 ; 8-byte Folded Reload
	v_lshrrev_b32_e32 v2, 24, v1
	s_wait_loadcnt 0x0
	v_bfrev_b32_e32 v5, 1
	s_mov_b32 s17, exec_lo
	scratch_store_b64 off, v[4:5], s32 offset:408 ; 8-byte Folded Spill
	s_wait_xcnt 0x0
	v_cmpx_ne_u32_e32 0x80, v2
	s_cbranch_execz .LBB357_465
; %bb.460:                              ;   in Loop: Header=BB357_15 Depth=1
	scratch_load_b64 v[4:5], off, s32 offset:408 ; 8-byte Folded Reload
	v_bfe_u32 v0, v1, 24, 7
	s_wait_loadcnt 0x0
	v_mov_b32_e32 v5, 0x7f800001
	s_mov_b32 s18, exec_lo
	scratch_store_b64 off, v[4:5], s32 offset:408 ; 8-byte Folded Spill
	s_wait_xcnt 0x0
	v_cmpx_ne_u32_e32 0x7f, v0
	s_cbranch_execz .LBB357_464
; %bb.461:                              ;   in Loop: Header=BB357_15 Depth=1
	v_dual_lshrrev_b32 v3, 3, v0 :: v_dual_bitop2_b32 v24, 7, v2 bitop3:0x40
	v_cmp_gt_u32_e64 s1, 8, v0
	s_delay_alu instid0(VALU_DEP_2)
	v_mov_b64_e32 v[0:1], v[24:25]
	s_and_saveexec_b32 s19, s1
; %bb.462:                              ;   in Loop: Header=BB357_15 Depth=1
	v_clz_i32_u32_e32 v0, v24
	s_delay_alu instid0(VALU_DEP_1) | instskip(NEXT) | instid1(VALU_DEP_1)
	v_min_u32_e32 v3, 32, v0
	v_subrev_nc_u32_e32 v0, 28, v3
	s_delay_alu instid0(VALU_DEP_1) | instskip(NEXT) | instid1(VALU_DEP_1)
	v_lshlrev_b64_e32 v[0:1], v0, v[24:25]
	v_dual_sub_nc_u32 v3, 29, v3 :: v_dual_bitop2_b32 v0, 7, v0 bitop3:0x40
; %bb.463:                              ;   in Loop: Header=BB357_15 Depth=1
	s_or_b32 exec_lo, exec_lo, s19
	scratch_load_b64 v[4:5], off, s32 offset:408 ; 8-byte Folded Reload
	v_dual_lshlrev_b32 v1, 24, v2 :: v_dual_lshlrev_b32 v0, 20, v0
	v_lshl_add_u32 v2, v3, 23, 0x3c000000
	s_delay_alu instid0(VALU_DEP_2) | instskip(SKIP_1) | instid1(VALU_DEP_1)
	v_and_b32_e32 v1, 0x80000000, v1
	s_wait_loadcnt 0x0
	v_or3_b32 v5, v0, v1, v2
	scratch_store_b64 off, v[4:5], s32 offset:408 ; 8-byte Folded Spill
.LBB357_464:                            ;   in Loop: Header=BB357_15 Depth=1
	s_wait_xcnt 0x0
	s_or_b32 exec_lo, exec_lo, s18
.LBB357_465:                            ;   in Loop: Header=BB357_15 Depth=1
	s_delay_alu instid0(SALU_CYCLE_1)
	s_or_b32 exec_lo, exec_lo, s17
.LBB357_466:                            ;   in Loop: Header=BB357_15 Depth=1
	s_delay_alu instid0(SALU_CYCLE_1)
	s_or_b32 exec_lo, exec_lo, s16
	flat_load_b64 v[0:1], v[102:103] offset:1544
	v_dual_mov_b32 v5, 0 :: v_dual_mov_b32 v4, 0
	s_mov_b32 s16, exec_lo
	scratch_store_b64 off, v[4:5], s32 offset:416 ; 8-byte Folded Spill
	s_wait_loadcnt_dscnt 0x0
	v_and_b32_e32 v2, 0xff, v0
	s_wait_xcnt 0x0
	s_delay_alu instid0(VALU_DEP_1)
	v_cmpx_ne_u16_e32 0, v2
	s_cbranch_execz .LBB357_474
; %bb.467:                              ;   in Loop: Header=BB357_15 Depth=1
	v_cmp_ne_u16_e64 s1, 0x80, v2
	scratch_load_b64 v[2:3], off, s32 offset:416 ; 8-byte Folded Reload
	s_wait_loadcnt 0x0
	v_bfrev_b32_e32 v2, 1
	scratch_store_b64 off, v[2:3], s32 offset:416 ; 8-byte Folded Spill
	s_wait_xcnt 0x0
	s_and_saveexec_b32 s17, s1
	s_cbranch_execz .LBB357_473
; %bb.468:                              ;   in Loop: Header=BB357_15 Depth=1
	scratch_load_b64 v[4:5], off, s32 offset:416 ; 8-byte Folded Reload
	v_and_b32_e32 v2, 0x7f, v0
	s_wait_loadcnt 0x0
	v_mov_b32_e32 v4, 0x7f800001
	s_mov_b32 s18, exec_lo
	scratch_store_b64 off, v[4:5], s32 offset:416 ; 8-byte Folded Spill
	s_wait_xcnt 0x0
	v_cmpx_ne_u32_e32 0x7f, v2
	s_cbranch_execz .LBB357_472
; %bb.469:                              ;   in Loop: Header=BB357_15 Depth=1
	v_lshrrev_b32_e32 v4, 3, v2
	v_cmp_gt_u32_e64 s1, 8, v2
	v_mov_b64_e32 v[2:3], v[0:1]
	s_and_saveexec_b32 s19, s1
; %bb.470:                              ;   in Loop: Header=BB357_15 Depth=1
	v_and_b32_e32 v2, 7, v0
	s_delay_alu instid0(VALU_DEP_1) | instskip(NEXT) | instid1(VALU_DEP_1)
	v_clz_i32_u32_e32 v2, v2
	v_min_u32_e32 v4, 32, v2
	s_delay_alu instid0(VALU_DEP_1) | instskip(SKIP_1) | instid1(VALU_DEP_2)
	v_subrev_nc_u32_e32 v2, 28, v4
	v_sub_nc_u32_e32 v4, 29, v4
	v_lshlrev_b64_e32 v[2:3], v2, v[0:1]
; %bb.471:                              ;   in Loop: Header=BB357_15 Depth=1
	s_or_b32 exec_lo, exec_lo, s19
	scratch_load_b64 v[6:7], off, s32 offset:416 ; 8-byte Folded Reload
	v_dual_lshlrev_b32 v2, 20, v2 :: v_dual_lshlrev_b32 v3, 24, v0
	v_lshl_add_u32 v4, v4, 23, 0x3c000000
	s_delay_alu instid0(VALU_DEP_2) | instskip(NEXT) | instid1(VALU_DEP_3)
	v_and_b32_e32 v2, 0x700000, v2
	v_and_b32_e32 v3, 0x80000000, v3
	s_wait_loadcnt 0x0
	s_delay_alu instid0(VALU_DEP_1)
	v_or3_b32 v6, v2, v3, v4
	scratch_store_b64 off, v[6:7], s32 offset:416 ; 8-byte Folded Spill
.LBB357_472:                            ;   in Loop: Header=BB357_15 Depth=1
	s_wait_xcnt 0x0
	s_or_b32 exec_lo, exec_lo, s18
.LBB357_473:                            ;   in Loop: Header=BB357_15 Depth=1
	s_delay_alu instid0(SALU_CYCLE_1)
	s_or_b32 exec_lo, exec_lo, s17
.LBB357_474:                            ;   in Loop: Header=BB357_15 Depth=1
	s_delay_alu instid0(SALU_CYCLE_1) | instskip(SKIP_2) | instid1(VALU_DEP_1)
	s_or_b32 exec_lo, exec_lo, s16
	v_lshrrev_b16 v2, 8, v0
	s_mov_b32 s16, exec_lo
	v_cmpx_ne_u16_e32 0, v2
	s_cbranch_execz .LBB357_482
; %bb.475:                              ;   in Loop: Header=BB357_15 Depth=1
	scratch_load_b64 v[4:5], off, s32 offset:416 ; 8-byte Folded Reload
	s_wait_loadcnt 0x0
	v_bfrev_b32_e32 v5, 1
	s_mov_b32 s17, exec_lo
	scratch_store_b64 off, v[4:5], s32 offset:416 ; 8-byte Folded Spill
	s_wait_xcnt 0x0
	v_cmpx_ne_u16_e32 0x80, v2
	s_cbranch_execz .LBB357_481
; %bb.476:                              ;   in Loop: Header=BB357_15 Depth=1
	scratch_load_b64 v[4:5], off, s32 offset:416 ; 8-byte Folded Reload
	v_and_b32_e32 v3, 0xffff, v2
	s_wait_loadcnt 0x0
	v_mov_b32_e32 v5, 0x7f800001
	s_mov_b32 s18, exec_lo
	s_delay_alu instid0(VALU_DEP_2)
	v_and_b32_e32 v2, 0x7f, v3
	scratch_store_b64 off, v[4:5], s32 offset:416 ; 8-byte Folded Spill
	s_wait_xcnt 0x0
	v_cmpx_ne_u32_e32 0x7f, v2
	s_cbranch_execz .LBB357_480
; %bb.477:                              ;   in Loop: Header=BB357_15 Depth=1
	v_dual_lshrrev_b32 v4, 3, v2 :: v_dual_bitop2_b32 v24, 7, v3 bitop3:0x40
	v_cmp_gt_u32_e64 s1, 8, v2
	s_delay_alu instid0(VALU_DEP_2)
	v_mov_b64_e32 v[2:3], v[24:25]
	s_and_saveexec_b32 s19, s1
; %bb.478:                              ;   in Loop: Header=BB357_15 Depth=1
	v_clz_i32_u32_e32 v2, v24
	s_delay_alu instid0(VALU_DEP_1) | instskip(NEXT) | instid1(VALU_DEP_1)
	v_min_u32_e32 v4, 32, v2
	v_subrev_nc_u32_e32 v2, 28, v4
	s_delay_alu instid0(VALU_DEP_1) | instskip(NEXT) | instid1(VALU_DEP_1)
	v_lshlrev_b64_e32 v[2:3], v2, v[24:25]
	v_dual_sub_nc_u32 v4, 29, v4 :: v_dual_bitop2_b32 v2, 7, v2 bitop3:0x40
; %bb.479:                              ;   in Loop: Header=BB357_15 Depth=1
	s_or_b32 exec_lo, exec_lo, s19
	scratch_load_b64 v[6:7], off, s32 offset:416 ; 8-byte Folded Reload
	v_dual_lshlrev_b32 v3, 16, v0 :: v_dual_lshlrev_b32 v2, 20, v2
	v_lshl_add_u32 v4, v4, 23, 0x3c000000
	s_delay_alu instid0(VALU_DEP_2) | instskip(SKIP_1) | instid1(VALU_DEP_1)
	v_and_b32_e32 v3, 0x80000000, v3
	s_wait_loadcnt 0x0
	v_or3_b32 v7, v2, v3, v4
	scratch_store_b64 off, v[6:7], s32 offset:416 ; 8-byte Folded Spill
.LBB357_480:                            ;   in Loop: Header=BB357_15 Depth=1
	s_wait_xcnt 0x0
	s_or_b32 exec_lo, exec_lo, s18
.LBB357_481:                            ;   in Loop: Header=BB357_15 Depth=1
	s_delay_alu instid0(SALU_CYCLE_1)
	s_or_b32 exec_lo, exec_lo, s17
.LBB357_482:                            ;   in Loop: Header=BB357_15 Depth=1
	s_delay_alu instid0(SALU_CYCLE_1) | instskip(SKIP_3) | instid1(VALU_DEP_2)
	s_or_b32 exec_lo, exec_lo, s16
	v_dual_mov_b32 v7, 0 :: v_dual_lshrrev_b32 v4, 16, v0
	v_mov_b32_e32 v6, 0
	s_mov_b32 s16, exec_lo
	v_and_b32_e32 v2, 0xff, v4
	scratch_store_b64 off, v[6:7], s32 offset:424 ; 8-byte Folded Spill
	s_wait_xcnt 0x0
	v_cmpx_ne_u16_e32 0, v2
	s_cbranch_execz .LBB357_490
; %bb.483:                              ;   in Loop: Header=BB357_15 Depth=1
	v_cmp_ne_u16_e64 s1, 0x80, v2
	scratch_load_b64 v[2:3], off, s32 offset:424 ; 8-byte Folded Reload
	s_wait_loadcnt 0x0
	v_bfrev_b32_e32 v2, 1
	scratch_store_b64 off, v[2:3], s32 offset:424 ; 8-byte Folded Spill
	s_wait_xcnt 0x0
	s_and_saveexec_b32 s17, s1
	s_cbranch_execz .LBB357_489
; %bb.484:                              ;   in Loop: Header=BB357_15 Depth=1
	scratch_load_b64 v[6:7], off, s32 offset:424 ; 8-byte Folded Reload
	v_bfe_u32 v2, v0, 16, 7
	s_wait_loadcnt 0x0
	v_mov_b32_e32 v6, 0x7f800001
	s_mov_b32 s18, exec_lo
	scratch_store_b64 off, v[6:7], s32 offset:424 ; 8-byte Folded Spill
	s_wait_xcnt 0x0
	v_cmpx_ne_u32_e32 0x7f, v2
	s_cbranch_execz .LBB357_488
; %bb.485:                              ;   in Loop: Header=BB357_15 Depth=1
	v_dual_lshrrev_b32 v5, 3, v2 :: v_dual_bitop2_b32 v24, 7, v4 bitop3:0x40
	v_cmp_gt_u32_e64 s1, 8, v2
	s_delay_alu instid0(VALU_DEP_2)
	v_mov_b64_e32 v[2:3], v[24:25]
	s_and_saveexec_b32 s19, s1
; %bb.486:                              ;   in Loop: Header=BB357_15 Depth=1
	v_clz_i32_u32_e32 v2, v24
	s_delay_alu instid0(VALU_DEP_1) | instskip(NEXT) | instid1(VALU_DEP_1)
	v_min_u32_e32 v5, 32, v2
	v_subrev_nc_u32_e32 v2, 28, v5
	s_delay_alu instid0(VALU_DEP_1) | instskip(NEXT) | instid1(VALU_DEP_1)
	v_lshlrev_b64_e32 v[2:3], v2, v[24:25]
	v_dual_sub_nc_u32 v5, 29, v5 :: v_dual_bitop2_b32 v2, 7, v2 bitop3:0x40
; %bb.487:                              ;   in Loop: Header=BB357_15 Depth=1
	s_or_b32 exec_lo, exec_lo, s19
	scratch_load_b64 v[6:7], off, s32 offset:424 ; 8-byte Folded Reload
	v_dual_lshlrev_b32 v3, 24, v4 :: v_dual_lshlrev_b32 v2, 20, v2
	v_lshl_add_u32 v4, v5, 23, 0x3c000000
	s_delay_alu instid0(VALU_DEP_2) | instskip(SKIP_1) | instid1(VALU_DEP_1)
	v_and_b32_e32 v3, 0x80000000, v3
	s_wait_loadcnt 0x0
	v_or3_b32 v6, v2, v3, v4
	scratch_store_b64 off, v[6:7], s32 offset:424 ; 8-byte Folded Spill
.LBB357_488:                            ;   in Loop: Header=BB357_15 Depth=1
	s_wait_xcnt 0x0
	s_or_b32 exec_lo, exec_lo, s18
.LBB357_489:                            ;   in Loop: Header=BB357_15 Depth=1
	s_delay_alu instid0(SALU_CYCLE_1)
	s_or_b32 exec_lo, exec_lo, s17
.LBB357_490:                            ;   in Loop: Header=BB357_15 Depth=1
	s_delay_alu instid0(SALU_CYCLE_1) | instskip(NEXT) | instid1(SALU_CYCLE_1)
	s_or_b32 exec_lo, exec_lo, s16
	s_mov_b32 s16, exec_lo
	v_cmpx_lt_u32_e32 0xffffff, v0
	s_cbranch_execz .LBB357_498
; %bb.491:                              ;   in Loop: Header=BB357_15 Depth=1
	scratch_load_b64 v[2:3], off, s32 offset:424 ; 8-byte Folded Reload
	v_lshrrev_b32_e32 v4, 24, v0
	s_wait_loadcnt 0x0
	v_bfrev_b32_e32 v3, 1
	s_mov_b32 s17, exec_lo
	scratch_store_b64 off, v[2:3], s32 offset:424 ; 8-byte Folded Spill
	s_wait_xcnt 0x0
	v_cmpx_ne_u32_e32 0x80, v4
	s_cbranch_execz .LBB357_497
; %bb.492:                              ;   in Loop: Header=BB357_15 Depth=1
	scratch_load_b64 v[6:7], off, s32 offset:424 ; 8-byte Folded Reload
	v_bfe_u32 v2, v0, 24, 7
	s_wait_loadcnt 0x0
	v_mov_b32_e32 v7, 0x7f800001
	s_mov_b32 s18, exec_lo
	scratch_store_b64 off, v[6:7], s32 offset:424 ; 8-byte Folded Spill
	s_wait_xcnt 0x0
	v_cmpx_ne_u32_e32 0x7f, v2
	s_cbranch_execz .LBB357_496
; %bb.493:                              ;   in Loop: Header=BB357_15 Depth=1
	v_dual_lshrrev_b32 v5, 3, v2 :: v_dual_bitop2_b32 v24, 7, v4 bitop3:0x40
	v_cmp_gt_u32_e64 s1, 8, v2
	s_delay_alu instid0(VALU_DEP_2)
	v_mov_b64_e32 v[2:3], v[24:25]
	s_and_saveexec_b32 s19, s1
; %bb.494:                              ;   in Loop: Header=BB357_15 Depth=1
	v_clz_i32_u32_e32 v2, v24
	s_delay_alu instid0(VALU_DEP_1) | instskip(NEXT) | instid1(VALU_DEP_1)
	v_min_u32_e32 v5, 32, v2
	v_subrev_nc_u32_e32 v2, 28, v5
	s_delay_alu instid0(VALU_DEP_1) | instskip(NEXT) | instid1(VALU_DEP_1)
	v_lshlrev_b64_e32 v[2:3], v2, v[24:25]
	v_dual_sub_nc_u32 v5, 29, v5 :: v_dual_bitop2_b32 v2, 7, v2 bitop3:0x40
; %bb.495:                              ;   in Loop: Header=BB357_15 Depth=1
	s_or_b32 exec_lo, exec_lo, s19
	scratch_load_b64 v[6:7], off, s32 offset:424 ; 8-byte Folded Reload
	v_dual_lshlrev_b32 v3, 24, v4 :: v_dual_lshlrev_b32 v2, 20, v2
	v_lshl_add_u32 v4, v5, 23, 0x3c000000
	s_delay_alu instid0(VALU_DEP_2) | instskip(SKIP_1) | instid1(VALU_DEP_1)
	v_and_b32_e32 v3, 0x80000000, v3
	s_wait_loadcnt 0x0
	v_or3_b32 v7, v2, v3, v4
	scratch_store_b64 off, v[6:7], s32 offset:424 ; 8-byte Folded Spill
.LBB357_496:                            ;   in Loop: Header=BB357_15 Depth=1
	s_wait_xcnt 0x0
	s_or_b32 exec_lo, exec_lo, s18
.LBB357_497:                            ;   in Loop: Header=BB357_15 Depth=1
	s_delay_alu instid0(SALU_CYCLE_1)
	s_or_b32 exec_lo, exec_lo, s17
.LBB357_498:                            ;   in Loop: Header=BB357_15 Depth=1
	s_delay_alu instid0(SALU_CYCLE_1)
	s_or_b32 exec_lo, exec_lo, s16
	v_and_b32_e32 v2, 0xff, v1
	v_dual_mov_b32 v24, v1 :: v_dual_mov_b32 v5, 0
	v_mov_b32_e32 v4, 0
	s_mov_b32 s16, exec_lo
	scratch_store_b64 off, v[4:5], s32 offset:432 ; 8-byte Folded Spill
	s_wait_xcnt 0x0
	v_cmpx_ne_u16_e32 0, v2
	s_cbranch_execz .LBB357_506
; %bb.499:                              ;   in Loop: Header=BB357_15 Depth=1
	v_cmp_ne_u16_e64 s1, 0x80, v2
	scratch_load_b64 v[2:3], off, s32 offset:432 ; 8-byte Folded Reload
	s_wait_loadcnt 0x0
	v_bfrev_b32_e32 v2, 1
	scratch_store_b64 off, v[2:3], s32 offset:432 ; 8-byte Folded Spill
	s_wait_xcnt 0x0
	s_and_saveexec_b32 s17, s1
	s_cbranch_execz .LBB357_505
; %bb.500:                              ;   in Loop: Header=BB357_15 Depth=1
	scratch_load_b64 v[4:5], off, s32 offset:432 ; 8-byte Folded Reload
	v_and_b32_e32 v2, 0x7f, v1
	s_wait_loadcnt 0x0
	v_mov_b32_e32 v4, 0x7f800001
	s_mov_b32 s18, exec_lo
	scratch_store_b64 off, v[4:5], s32 offset:432 ; 8-byte Folded Spill
	s_wait_xcnt 0x0
	v_cmpx_ne_u32_e32 0x7f, v2
	s_cbranch_execz .LBB357_504
; %bb.501:                              ;   in Loop: Header=BB357_15 Depth=1
	v_lshrrev_b32_e32 v4, 3, v2
	v_cmp_gt_u32_e64 s1, 8, v2
	v_mov_b64_e32 v[2:3], v[24:25]
	s_and_saveexec_b32 s19, s1
; %bb.502:                              ;   in Loop: Header=BB357_15 Depth=1
	v_and_b32_e32 v2, 7, v1
	s_delay_alu instid0(VALU_DEP_1) | instskip(NEXT) | instid1(VALU_DEP_1)
	v_clz_i32_u32_e32 v2, v2
	v_min_u32_e32 v4, 32, v2
	s_delay_alu instid0(VALU_DEP_1) | instskip(SKIP_1) | instid1(VALU_DEP_2)
	v_subrev_nc_u32_e32 v2, 28, v4
	v_sub_nc_u32_e32 v4, 29, v4
	v_lshlrev_b64_e32 v[2:3], v2, v[24:25]
; %bb.503:                              ;   in Loop: Header=BB357_15 Depth=1
	s_or_b32 exec_lo, exec_lo, s19
	scratch_load_b64 v[6:7], off, s32 offset:432 ; 8-byte Folded Reload
	v_dual_lshlrev_b32 v2, 20, v2 :: v_dual_lshlrev_b32 v3, 24, v24
	v_lshl_add_u32 v4, v4, 23, 0x3c000000
	s_delay_alu instid0(VALU_DEP_2) | instskip(NEXT) | instid1(VALU_DEP_3)
	v_and_b32_e32 v2, 0x700000, v2
	v_and_b32_e32 v3, 0x80000000, v3
	s_wait_loadcnt 0x0
	s_delay_alu instid0(VALU_DEP_1)
	v_or3_b32 v6, v2, v3, v4
	scratch_store_b64 off, v[6:7], s32 offset:432 ; 8-byte Folded Spill
.LBB357_504:                            ;   in Loop: Header=BB357_15 Depth=1
	s_wait_xcnt 0x0
	s_or_b32 exec_lo, exec_lo, s18
.LBB357_505:                            ;   in Loop: Header=BB357_15 Depth=1
	s_delay_alu instid0(SALU_CYCLE_1)
	s_or_b32 exec_lo, exec_lo, s17
.LBB357_506:                            ;   in Loop: Header=BB357_15 Depth=1
	s_delay_alu instid0(SALU_CYCLE_1) | instskip(SKIP_2) | instid1(VALU_DEP_1)
	s_or_b32 exec_lo, exec_lo, s16
	v_lshrrev_b16 v2, 8, v24
	s_mov_b32 s16, exec_lo
	v_cmpx_ne_u16_e32 0, v2
	s_cbranch_execz .LBB357_514
; %bb.507:                              ;   in Loop: Header=BB357_15 Depth=1
	scratch_load_b64 v[4:5], off, s32 offset:432 ; 8-byte Folded Reload
	s_wait_loadcnt 0x0
	v_bfrev_b32_e32 v5, 1
	s_mov_b32 s17, exec_lo
	scratch_store_b64 off, v[4:5], s32 offset:432 ; 8-byte Folded Spill
	s_wait_xcnt 0x0
	v_cmpx_ne_u16_e32 0x80, v2
	s_cbranch_execz .LBB357_513
; %bb.508:                              ;   in Loop: Header=BB357_15 Depth=1
	scratch_load_b64 v[6:7], off, s32 offset:432 ; 8-byte Folded Reload
	v_and_b32_e32 v2, 0xffff, v2
	s_wait_loadcnt 0x0
	v_mov_b32_e32 v7, 0x7f800001
	s_mov_b32 s18, exec_lo
	s_delay_alu instid0(VALU_DEP_2)
	v_and_b32_e32 v5, 0x7f, v2
	scratch_store_b64 off, v[6:7], s32 offset:432 ; 8-byte Folded Spill
	s_wait_xcnt 0x0
	v_cmpx_ne_u32_e32 0x7f, v5
	s_cbranch_execz .LBB357_512
; %bb.509:                              ;   in Loop: Header=BB357_15 Depth=1
	v_dual_mov_b32 v3, v25 :: v_dual_bitop2_b32 v2, 7, v2 bitop3:0x40
	v_lshrrev_b32_e32 v4, 3, v5
	s_mov_b32 s19, exec_lo
	v_cmpx_gt_u32_e32 8, v5
; %bb.510:                              ;   in Loop: Header=BB357_15 Depth=1
	s_delay_alu instid0(VALU_DEP_3) | instskip(NEXT) | instid1(VALU_DEP_1)
	v_clz_i32_u32_e32 v4, v2
	v_min_u32_e32 v4, 32, v4
	s_delay_alu instid0(VALU_DEP_1) | instskip(NEXT) | instid1(VALU_DEP_1)
	v_subrev_nc_u32_e32 v5, 28, v4
	v_lshlrev_b64_e32 v[2:3], v5, v[2:3]
	s_delay_alu instid0(VALU_DEP_1)
	v_dual_sub_nc_u32 v4, 29, v4 :: v_dual_bitop2_b32 v2, 7, v2 bitop3:0x40
; %bb.511:                              ;   in Loop: Header=BB357_15 Depth=1
	s_or_b32 exec_lo, exec_lo, s19
	scratch_load_b64 v[6:7], off, s32 offset:432 ; 8-byte Folded Reload
	v_dual_lshlrev_b32 v3, 16, v24 :: v_dual_lshlrev_b32 v2, 20, v2
	v_lshl_add_u32 v4, v4, 23, 0x3c000000
	s_delay_alu instid0(VALU_DEP_2) | instskip(SKIP_1) | instid1(VALU_DEP_1)
	v_and_b32_e32 v3, 0x80000000, v3
	s_wait_loadcnt 0x0
	v_or3_b32 v7, v2, v3, v4
	scratch_store_b64 off, v[6:7], s32 offset:432 ; 8-byte Folded Spill
.LBB357_512:                            ;   in Loop: Header=BB357_15 Depth=1
	s_wait_xcnt 0x0
	s_or_b32 exec_lo, exec_lo, s18
.LBB357_513:                            ;   in Loop: Header=BB357_15 Depth=1
	s_delay_alu instid0(SALU_CYCLE_1)
	s_or_b32 exec_lo, exec_lo, s17
.LBB357_514:                            ;   in Loop: Header=BB357_15 Depth=1
	s_delay_alu instid0(SALU_CYCLE_1) | instskip(SKIP_3) | instid1(VALU_DEP_2)
	s_or_b32 exec_lo, exec_lo, s16
	v_dual_mov_b32 v7, 0 :: v_dual_lshrrev_b32 v4, 16, v1
	v_mov_b32_e32 v6, 0
	s_mov_b32 s16, exec_lo
	v_and_b32_e32 v2, 0xff, v4
	scratch_store_b64 off, v[6:7], s32 offset:440 ; 8-byte Folded Spill
	s_wait_xcnt 0x0
	v_cmpx_ne_u16_e32 0, v2
	s_cbranch_execz .LBB357_522
; %bb.515:                              ;   in Loop: Header=BB357_15 Depth=1
	v_cmp_ne_u16_e64 s1, 0x80, v2
	scratch_load_b64 v[2:3], off, s32 offset:440 ; 8-byte Folded Reload
	s_wait_loadcnt 0x0
	v_bfrev_b32_e32 v2, 1
	scratch_store_b64 off, v[2:3], s32 offset:440 ; 8-byte Folded Spill
	s_wait_xcnt 0x0
	s_and_saveexec_b32 s17, s1
	s_cbranch_execz .LBB357_521
; %bb.516:                              ;   in Loop: Header=BB357_15 Depth=1
	scratch_load_b64 v[6:7], off, s32 offset:440 ; 8-byte Folded Reload
	v_bfe_u32 v2, v1, 16, 7
	s_wait_loadcnt 0x0
	v_mov_b32_e32 v6, 0x7f800001
	s_mov_b32 s18, exec_lo
	scratch_store_b64 off, v[6:7], s32 offset:440 ; 8-byte Folded Spill
	s_wait_xcnt 0x0
	v_cmpx_ne_u32_e32 0x7f, v2
	s_cbranch_execz .LBB357_520
; %bb.517:                              ;   in Loop: Header=BB357_15 Depth=1
	v_dual_lshrrev_b32 v5, 3, v2 :: v_dual_bitop2_b32 v24, 7, v4 bitop3:0x40
	v_cmp_gt_u32_e64 s1, 8, v2
	s_delay_alu instid0(VALU_DEP_2)
	v_mov_b64_e32 v[2:3], v[24:25]
	s_and_saveexec_b32 s19, s1
; %bb.518:                              ;   in Loop: Header=BB357_15 Depth=1
	v_clz_i32_u32_e32 v2, v24
	s_delay_alu instid0(VALU_DEP_1) | instskip(NEXT) | instid1(VALU_DEP_1)
	v_min_u32_e32 v5, 32, v2
	v_subrev_nc_u32_e32 v2, 28, v5
	s_delay_alu instid0(VALU_DEP_1) | instskip(NEXT) | instid1(VALU_DEP_1)
	v_lshlrev_b64_e32 v[2:3], v2, v[24:25]
	v_dual_sub_nc_u32 v5, 29, v5 :: v_dual_bitop2_b32 v2, 7, v2 bitop3:0x40
; %bb.519:                              ;   in Loop: Header=BB357_15 Depth=1
	s_or_b32 exec_lo, exec_lo, s19
	scratch_load_b64 v[6:7], off, s32 offset:440 ; 8-byte Folded Reload
	v_dual_lshlrev_b32 v3, 24, v4 :: v_dual_lshlrev_b32 v2, 20, v2
	v_lshl_add_u32 v4, v5, 23, 0x3c000000
	s_delay_alu instid0(VALU_DEP_2) | instskip(SKIP_1) | instid1(VALU_DEP_1)
	v_and_b32_e32 v3, 0x80000000, v3
	s_wait_loadcnt 0x0
	v_or3_b32 v6, v2, v3, v4
	scratch_store_b64 off, v[6:7], s32 offset:440 ; 8-byte Folded Spill
.LBB357_520:                            ;   in Loop: Header=BB357_15 Depth=1
	s_wait_xcnt 0x0
	s_or_b32 exec_lo, exec_lo, s18
.LBB357_521:                            ;   in Loop: Header=BB357_15 Depth=1
	s_delay_alu instid0(SALU_CYCLE_1)
	s_or_b32 exec_lo, exec_lo, s17
.LBB357_522:                            ;   in Loop: Header=BB357_15 Depth=1
	s_delay_alu instid0(SALU_CYCLE_1) | instskip(NEXT) | instid1(SALU_CYCLE_1)
	s_or_b32 exec_lo, exec_lo, s16
	s_mov_b32 s16, exec_lo
	v_cmpx_lt_u64_e64 s[8:9], v[0:1]
	s_cbranch_execz .LBB357_530
; %bb.523:                              ;   in Loop: Header=BB357_15 Depth=1
	scratch_load_b64 v[4:5], off, s32 offset:440 ; 8-byte Folded Reload
	v_lshrrev_b32_e32 v2, 24, v1
	s_wait_loadcnt 0x0
	v_bfrev_b32_e32 v5, 1
	s_mov_b32 s17, exec_lo
	scratch_store_b64 off, v[4:5], s32 offset:440 ; 8-byte Folded Spill
	s_wait_xcnt 0x0
	v_cmpx_ne_u32_e32 0x80, v2
	s_cbranch_execz .LBB357_529
; %bb.524:                              ;   in Loop: Header=BB357_15 Depth=1
	scratch_load_b64 v[4:5], off, s32 offset:440 ; 8-byte Folded Reload
	v_bfe_u32 v0, v1, 24, 7
	s_wait_loadcnt 0x0
	v_mov_b32_e32 v5, 0x7f800001
	s_mov_b32 s18, exec_lo
	scratch_store_b64 off, v[4:5], s32 offset:440 ; 8-byte Folded Spill
	s_wait_xcnt 0x0
	v_cmpx_ne_u32_e32 0x7f, v0
	s_cbranch_execz .LBB357_528
; %bb.525:                              ;   in Loop: Header=BB357_15 Depth=1
	v_dual_lshrrev_b32 v3, 3, v0 :: v_dual_bitop2_b32 v24, 7, v2 bitop3:0x40
	v_cmp_gt_u32_e64 s1, 8, v0
	s_delay_alu instid0(VALU_DEP_2)
	v_mov_b64_e32 v[0:1], v[24:25]
	s_and_saveexec_b32 s19, s1
; %bb.526:                              ;   in Loop: Header=BB357_15 Depth=1
	v_clz_i32_u32_e32 v0, v24
	s_delay_alu instid0(VALU_DEP_1) | instskip(NEXT) | instid1(VALU_DEP_1)
	v_min_u32_e32 v3, 32, v0
	v_subrev_nc_u32_e32 v0, 28, v3
	s_delay_alu instid0(VALU_DEP_1) | instskip(NEXT) | instid1(VALU_DEP_1)
	v_lshlrev_b64_e32 v[0:1], v0, v[24:25]
	v_dual_sub_nc_u32 v3, 29, v3 :: v_dual_bitop2_b32 v0, 7, v0 bitop3:0x40
; %bb.527:                              ;   in Loop: Header=BB357_15 Depth=1
	s_or_b32 exec_lo, exec_lo, s19
	scratch_load_b64 v[4:5], off, s32 offset:440 ; 8-byte Folded Reload
	v_dual_lshlrev_b32 v1, 24, v2 :: v_dual_lshlrev_b32 v0, 20, v0
	v_lshl_add_u32 v2, v3, 23, 0x3c000000
	s_delay_alu instid0(VALU_DEP_2) | instskip(SKIP_1) | instid1(VALU_DEP_1)
	v_and_b32_e32 v1, 0x80000000, v1
	s_wait_loadcnt 0x0
	v_or3_b32 v5, v0, v1, v2
	scratch_store_b64 off, v[4:5], s32 offset:440 ; 8-byte Folded Spill
.LBB357_528:                            ;   in Loop: Header=BB357_15 Depth=1
	s_wait_xcnt 0x0
	s_or_b32 exec_lo, exec_lo, s18
.LBB357_529:                            ;   in Loop: Header=BB357_15 Depth=1
	s_delay_alu instid0(SALU_CYCLE_1)
	s_or_b32 exec_lo, exec_lo, s17
.LBB357_530:                            ;   in Loop: Header=BB357_15 Depth=1
	s_delay_alu instid0(SALU_CYCLE_1)
	s_or_b32 exec_lo, exec_lo, s16
	flat_load_b64 v[0:1], v[102:103] offset:2048
	v_dual_mov_b32 v5, 0 :: v_dual_mov_b32 v4, 0
	s_mov_b32 s16, exec_lo
	scratch_store_b64 off, v[4:5], s32 offset:448 ; 8-byte Folded Spill
	s_wait_loadcnt_dscnt 0x0
	v_and_b32_e32 v2, 0xff, v0
	s_wait_xcnt 0x0
	s_delay_alu instid0(VALU_DEP_1)
	v_cmpx_ne_u16_e32 0, v2
	s_cbranch_execz .LBB357_538
; %bb.531:                              ;   in Loop: Header=BB357_15 Depth=1
	v_cmp_ne_u16_e64 s1, 0x80, v2
	scratch_load_b64 v[2:3], off, s32 offset:448 ; 8-byte Folded Reload
	s_wait_loadcnt 0x0
	v_bfrev_b32_e32 v2, 1
	scratch_store_b64 off, v[2:3], s32 offset:448 ; 8-byte Folded Spill
	s_wait_xcnt 0x0
	s_and_saveexec_b32 s17, s1
	s_cbranch_execz .LBB357_537
; %bb.532:                              ;   in Loop: Header=BB357_15 Depth=1
	scratch_load_b64 v[4:5], off, s32 offset:448 ; 8-byte Folded Reload
	v_and_b32_e32 v2, 0x7f, v0
	s_wait_loadcnt 0x0
	v_mov_b32_e32 v4, 0x7f800001
	s_mov_b32 s18, exec_lo
	scratch_store_b64 off, v[4:5], s32 offset:448 ; 8-byte Folded Spill
	s_wait_xcnt 0x0
	v_cmpx_ne_u32_e32 0x7f, v2
	s_cbranch_execz .LBB357_536
; %bb.533:                              ;   in Loop: Header=BB357_15 Depth=1
	v_lshrrev_b32_e32 v4, 3, v2
	v_cmp_gt_u32_e64 s1, 8, v2
	v_mov_b64_e32 v[2:3], v[0:1]
	s_and_saveexec_b32 s19, s1
; %bb.534:                              ;   in Loop: Header=BB357_15 Depth=1
	v_and_b32_e32 v2, 7, v0
	s_delay_alu instid0(VALU_DEP_1) | instskip(NEXT) | instid1(VALU_DEP_1)
	v_clz_i32_u32_e32 v2, v2
	v_min_u32_e32 v4, 32, v2
	s_delay_alu instid0(VALU_DEP_1) | instskip(SKIP_1) | instid1(VALU_DEP_2)
	v_subrev_nc_u32_e32 v2, 28, v4
	v_sub_nc_u32_e32 v4, 29, v4
	v_lshlrev_b64_e32 v[2:3], v2, v[0:1]
; %bb.535:                              ;   in Loop: Header=BB357_15 Depth=1
	s_or_b32 exec_lo, exec_lo, s19
	scratch_load_b64 v[6:7], off, s32 offset:448 ; 8-byte Folded Reload
	v_dual_lshlrev_b32 v2, 20, v2 :: v_dual_lshlrev_b32 v3, 24, v0
	v_lshl_add_u32 v4, v4, 23, 0x3c000000
	s_delay_alu instid0(VALU_DEP_2) | instskip(NEXT) | instid1(VALU_DEP_3)
	v_and_b32_e32 v2, 0x700000, v2
	v_and_b32_e32 v3, 0x80000000, v3
	s_wait_loadcnt 0x0
	s_delay_alu instid0(VALU_DEP_1)
	v_or3_b32 v6, v2, v3, v4
	scratch_store_b64 off, v[6:7], s32 offset:448 ; 8-byte Folded Spill
.LBB357_536:                            ;   in Loop: Header=BB357_15 Depth=1
	s_wait_xcnt 0x0
	s_or_b32 exec_lo, exec_lo, s18
.LBB357_537:                            ;   in Loop: Header=BB357_15 Depth=1
	s_delay_alu instid0(SALU_CYCLE_1)
	s_or_b32 exec_lo, exec_lo, s17
.LBB357_538:                            ;   in Loop: Header=BB357_15 Depth=1
	s_delay_alu instid0(SALU_CYCLE_1) | instskip(SKIP_2) | instid1(VALU_DEP_1)
	s_or_b32 exec_lo, exec_lo, s16
	v_lshrrev_b16 v2, 8, v0
	s_mov_b32 s16, exec_lo
	v_cmpx_ne_u16_e32 0, v2
	s_cbranch_execz .LBB357_546
; %bb.539:                              ;   in Loop: Header=BB357_15 Depth=1
	scratch_load_b64 v[4:5], off, s32 offset:448 ; 8-byte Folded Reload
	s_wait_loadcnt 0x0
	v_bfrev_b32_e32 v5, 1
	s_mov_b32 s17, exec_lo
	scratch_store_b64 off, v[4:5], s32 offset:448 ; 8-byte Folded Spill
	s_wait_xcnt 0x0
	v_cmpx_ne_u16_e32 0x80, v2
	s_cbranch_execz .LBB357_545
; %bb.540:                              ;   in Loop: Header=BB357_15 Depth=1
	scratch_load_b64 v[4:5], off, s32 offset:448 ; 8-byte Folded Reload
	v_and_b32_e32 v3, 0xffff, v2
	s_wait_loadcnt 0x0
	v_mov_b32_e32 v5, 0x7f800001
	s_mov_b32 s18, exec_lo
	s_delay_alu instid0(VALU_DEP_2)
	v_and_b32_e32 v2, 0x7f, v3
	scratch_store_b64 off, v[4:5], s32 offset:448 ; 8-byte Folded Spill
	s_wait_xcnt 0x0
	v_cmpx_ne_u32_e32 0x7f, v2
	s_cbranch_execz .LBB357_544
; %bb.541:                              ;   in Loop: Header=BB357_15 Depth=1
	v_dual_lshrrev_b32 v4, 3, v2 :: v_dual_bitop2_b32 v24, 7, v3 bitop3:0x40
	v_cmp_gt_u32_e64 s1, 8, v2
	s_delay_alu instid0(VALU_DEP_2)
	v_mov_b64_e32 v[2:3], v[24:25]
	s_and_saveexec_b32 s19, s1
; %bb.542:                              ;   in Loop: Header=BB357_15 Depth=1
	v_clz_i32_u32_e32 v2, v24
	s_delay_alu instid0(VALU_DEP_1) | instskip(NEXT) | instid1(VALU_DEP_1)
	v_min_u32_e32 v4, 32, v2
	v_subrev_nc_u32_e32 v2, 28, v4
	s_delay_alu instid0(VALU_DEP_1) | instskip(NEXT) | instid1(VALU_DEP_1)
	v_lshlrev_b64_e32 v[2:3], v2, v[24:25]
	v_dual_sub_nc_u32 v4, 29, v4 :: v_dual_bitop2_b32 v2, 7, v2 bitop3:0x40
; %bb.543:                              ;   in Loop: Header=BB357_15 Depth=1
	s_or_b32 exec_lo, exec_lo, s19
	scratch_load_b64 v[6:7], off, s32 offset:448 ; 8-byte Folded Reload
	v_dual_lshlrev_b32 v3, 16, v0 :: v_dual_lshlrev_b32 v2, 20, v2
	v_lshl_add_u32 v4, v4, 23, 0x3c000000
	s_delay_alu instid0(VALU_DEP_2) | instskip(SKIP_1) | instid1(VALU_DEP_1)
	v_and_b32_e32 v3, 0x80000000, v3
	s_wait_loadcnt 0x0
	v_or3_b32 v7, v2, v3, v4
	scratch_store_b64 off, v[6:7], s32 offset:448 ; 8-byte Folded Spill
.LBB357_544:                            ;   in Loop: Header=BB357_15 Depth=1
	s_wait_xcnt 0x0
	s_or_b32 exec_lo, exec_lo, s18
.LBB357_545:                            ;   in Loop: Header=BB357_15 Depth=1
	s_delay_alu instid0(SALU_CYCLE_1)
	s_or_b32 exec_lo, exec_lo, s17
.LBB357_546:                            ;   in Loop: Header=BB357_15 Depth=1
	s_delay_alu instid0(SALU_CYCLE_1) | instskip(SKIP_3) | instid1(VALU_DEP_2)
	s_or_b32 exec_lo, exec_lo, s16
	v_dual_mov_b32 v7, 0 :: v_dual_lshrrev_b32 v4, 16, v0
	v_mov_b32_e32 v6, 0
	s_mov_b32 s16, exec_lo
	v_and_b32_e32 v2, 0xff, v4
	scratch_store_b64 off, v[6:7], s32 offset:456 ; 8-byte Folded Spill
	s_wait_xcnt 0x0
	v_cmpx_ne_u16_e32 0, v2
	s_cbranch_execz .LBB357_554
; %bb.547:                              ;   in Loop: Header=BB357_15 Depth=1
	v_cmp_ne_u16_e64 s1, 0x80, v2
	scratch_load_b64 v[2:3], off, s32 offset:456 ; 8-byte Folded Reload
	s_wait_loadcnt 0x0
	v_bfrev_b32_e32 v2, 1
	scratch_store_b64 off, v[2:3], s32 offset:456 ; 8-byte Folded Spill
	s_wait_xcnt 0x0
	s_and_saveexec_b32 s17, s1
	s_cbranch_execz .LBB357_553
; %bb.548:                              ;   in Loop: Header=BB357_15 Depth=1
	scratch_load_b64 v[6:7], off, s32 offset:456 ; 8-byte Folded Reload
	v_bfe_u32 v2, v0, 16, 7
	s_wait_loadcnt 0x0
	v_mov_b32_e32 v6, 0x7f800001
	s_mov_b32 s18, exec_lo
	scratch_store_b64 off, v[6:7], s32 offset:456 ; 8-byte Folded Spill
	s_wait_xcnt 0x0
	v_cmpx_ne_u32_e32 0x7f, v2
	s_cbranch_execz .LBB357_552
; %bb.549:                              ;   in Loop: Header=BB357_15 Depth=1
	v_dual_lshrrev_b32 v5, 3, v2 :: v_dual_bitop2_b32 v24, 7, v4 bitop3:0x40
	v_cmp_gt_u32_e64 s1, 8, v2
	s_delay_alu instid0(VALU_DEP_2)
	v_mov_b64_e32 v[2:3], v[24:25]
	s_and_saveexec_b32 s19, s1
; %bb.550:                              ;   in Loop: Header=BB357_15 Depth=1
	v_clz_i32_u32_e32 v2, v24
	s_delay_alu instid0(VALU_DEP_1) | instskip(NEXT) | instid1(VALU_DEP_1)
	v_min_u32_e32 v5, 32, v2
	v_subrev_nc_u32_e32 v2, 28, v5
	s_delay_alu instid0(VALU_DEP_1) | instskip(NEXT) | instid1(VALU_DEP_1)
	v_lshlrev_b64_e32 v[2:3], v2, v[24:25]
	v_dual_sub_nc_u32 v5, 29, v5 :: v_dual_bitop2_b32 v2, 7, v2 bitop3:0x40
; %bb.551:                              ;   in Loop: Header=BB357_15 Depth=1
	s_or_b32 exec_lo, exec_lo, s19
	scratch_load_b64 v[6:7], off, s32 offset:456 ; 8-byte Folded Reload
	v_dual_lshlrev_b32 v3, 24, v4 :: v_dual_lshlrev_b32 v2, 20, v2
	v_lshl_add_u32 v4, v5, 23, 0x3c000000
	s_delay_alu instid0(VALU_DEP_2) | instskip(SKIP_1) | instid1(VALU_DEP_1)
	v_and_b32_e32 v3, 0x80000000, v3
	s_wait_loadcnt 0x0
	v_or3_b32 v6, v2, v3, v4
	scratch_store_b64 off, v[6:7], s32 offset:456 ; 8-byte Folded Spill
.LBB357_552:                            ;   in Loop: Header=BB357_15 Depth=1
	s_wait_xcnt 0x0
	s_or_b32 exec_lo, exec_lo, s18
.LBB357_553:                            ;   in Loop: Header=BB357_15 Depth=1
	s_delay_alu instid0(SALU_CYCLE_1)
	s_or_b32 exec_lo, exec_lo, s17
.LBB357_554:                            ;   in Loop: Header=BB357_15 Depth=1
	s_delay_alu instid0(SALU_CYCLE_1) | instskip(NEXT) | instid1(SALU_CYCLE_1)
	s_or_b32 exec_lo, exec_lo, s16
	s_mov_b32 s16, exec_lo
	v_cmpx_lt_u32_e32 0xffffff, v0
	s_cbranch_execz .LBB357_562
; %bb.555:                              ;   in Loop: Header=BB357_15 Depth=1
	scratch_load_b64 v[2:3], off, s32 offset:456 ; 8-byte Folded Reload
	v_lshrrev_b32_e32 v4, 24, v0
	s_wait_loadcnt 0x0
	v_bfrev_b32_e32 v3, 1
	s_mov_b32 s17, exec_lo
	scratch_store_b64 off, v[2:3], s32 offset:456 ; 8-byte Folded Spill
	s_wait_xcnt 0x0
	v_cmpx_ne_u32_e32 0x80, v4
	s_cbranch_execz .LBB357_561
; %bb.556:                              ;   in Loop: Header=BB357_15 Depth=1
	scratch_load_b64 v[6:7], off, s32 offset:456 ; 8-byte Folded Reload
	v_bfe_u32 v2, v0, 24, 7
	s_wait_loadcnt 0x0
	v_mov_b32_e32 v7, 0x7f800001
	s_mov_b32 s18, exec_lo
	scratch_store_b64 off, v[6:7], s32 offset:456 ; 8-byte Folded Spill
	s_wait_xcnt 0x0
	v_cmpx_ne_u32_e32 0x7f, v2
	s_cbranch_execz .LBB357_560
; %bb.557:                              ;   in Loop: Header=BB357_15 Depth=1
	v_dual_lshrrev_b32 v5, 3, v2 :: v_dual_bitop2_b32 v24, 7, v4 bitop3:0x40
	v_cmp_gt_u32_e64 s1, 8, v2
	s_delay_alu instid0(VALU_DEP_2)
	v_mov_b64_e32 v[2:3], v[24:25]
	s_and_saveexec_b32 s19, s1
; %bb.558:                              ;   in Loop: Header=BB357_15 Depth=1
	v_clz_i32_u32_e32 v2, v24
	s_delay_alu instid0(VALU_DEP_1) | instskip(NEXT) | instid1(VALU_DEP_1)
	v_min_u32_e32 v5, 32, v2
	v_subrev_nc_u32_e32 v2, 28, v5
	s_delay_alu instid0(VALU_DEP_1) | instskip(NEXT) | instid1(VALU_DEP_1)
	v_lshlrev_b64_e32 v[2:3], v2, v[24:25]
	v_dual_sub_nc_u32 v5, 29, v5 :: v_dual_bitop2_b32 v2, 7, v2 bitop3:0x40
; %bb.559:                              ;   in Loop: Header=BB357_15 Depth=1
	s_or_b32 exec_lo, exec_lo, s19
	scratch_load_b64 v[6:7], off, s32 offset:456 ; 8-byte Folded Reload
	v_dual_lshlrev_b32 v3, 24, v4 :: v_dual_lshlrev_b32 v2, 20, v2
	v_lshl_add_u32 v4, v5, 23, 0x3c000000
	s_delay_alu instid0(VALU_DEP_2) | instskip(SKIP_1) | instid1(VALU_DEP_1)
	v_and_b32_e32 v3, 0x80000000, v3
	s_wait_loadcnt 0x0
	v_or3_b32 v7, v2, v3, v4
	scratch_store_b64 off, v[6:7], s32 offset:456 ; 8-byte Folded Spill
.LBB357_560:                            ;   in Loop: Header=BB357_15 Depth=1
	s_wait_xcnt 0x0
	s_or_b32 exec_lo, exec_lo, s18
.LBB357_561:                            ;   in Loop: Header=BB357_15 Depth=1
	s_delay_alu instid0(SALU_CYCLE_1)
	s_or_b32 exec_lo, exec_lo, s17
.LBB357_562:                            ;   in Loop: Header=BB357_15 Depth=1
	s_delay_alu instid0(SALU_CYCLE_1)
	s_or_b32 exec_lo, exec_lo, s16
	v_and_b32_e32 v2, 0xff, v1
	v_dual_mov_b32 v24, v1 :: v_dual_mov_b32 v5, 0
	v_mov_b32_e32 v4, 0
	s_mov_b32 s16, exec_lo
	scratch_store_b64 off, v[4:5], s32 offset:464 ; 8-byte Folded Spill
	s_wait_xcnt 0x0
	v_cmpx_ne_u16_e32 0, v2
	s_cbranch_execz .LBB357_570
; %bb.563:                              ;   in Loop: Header=BB357_15 Depth=1
	v_cmp_ne_u16_e64 s1, 0x80, v2
	scratch_load_b64 v[2:3], off, s32 offset:464 ; 8-byte Folded Reload
	s_wait_loadcnt 0x0
	v_bfrev_b32_e32 v2, 1
	scratch_store_b64 off, v[2:3], s32 offset:464 ; 8-byte Folded Spill
	s_wait_xcnt 0x0
	s_and_saveexec_b32 s17, s1
	s_cbranch_execz .LBB357_569
; %bb.564:                              ;   in Loop: Header=BB357_15 Depth=1
	scratch_load_b64 v[4:5], off, s32 offset:464 ; 8-byte Folded Reload
	v_and_b32_e32 v2, 0x7f, v1
	s_wait_loadcnt 0x0
	v_mov_b32_e32 v4, 0x7f800001
	s_mov_b32 s18, exec_lo
	scratch_store_b64 off, v[4:5], s32 offset:464 ; 8-byte Folded Spill
	s_wait_xcnt 0x0
	v_cmpx_ne_u32_e32 0x7f, v2
	s_cbranch_execz .LBB357_568
; %bb.565:                              ;   in Loop: Header=BB357_15 Depth=1
	v_lshrrev_b32_e32 v4, 3, v2
	v_cmp_gt_u32_e64 s1, 8, v2
	v_mov_b64_e32 v[2:3], v[24:25]
	s_and_saveexec_b32 s19, s1
; %bb.566:                              ;   in Loop: Header=BB357_15 Depth=1
	v_and_b32_e32 v2, 7, v1
	s_delay_alu instid0(VALU_DEP_1) | instskip(NEXT) | instid1(VALU_DEP_1)
	v_clz_i32_u32_e32 v2, v2
	v_min_u32_e32 v4, 32, v2
	s_delay_alu instid0(VALU_DEP_1) | instskip(SKIP_1) | instid1(VALU_DEP_2)
	v_subrev_nc_u32_e32 v2, 28, v4
	v_sub_nc_u32_e32 v4, 29, v4
	v_lshlrev_b64_e32 v[2:3], v2, v[24:25]
; %bb.567:                              ;   in Loop: Header=BB357_15 Depth=1
	s_or_b32 exec_lo, exec_lo, s19
	scratch_load_b64 v[6:7], off, s32 offset:464 ; 8-byte Folded Reload
	v_dual_lshlrev_b32 v2, 20, v2 :: v_dual_lshlrev_b32 v3, 24, v24
	v_lshl_add_u32 v4, v4, 23, 0x3c000000
	s_delay_alu instid0(VALU_DEP_2) | instskip(NEXT) | instid1(VALU_DEP_3)
	v_and_b32_e32 v2, 0x700000, v2
	v_and_b32_e32 v3, 0x80000000, v3
	s_wait_loadcnt 0x0
	s_delay_alu instid0(VALU_DEP_1)
	v_or3_b32 v6, v2, v3, v4
	scratch_store_b64 off, v[6:7], s32 offset:464 ; 8-byte Folded Spill
.LBB357_568:                            ;   in Loop: Header=BB357_15 Depth=1
	s_wait_xcnt 0x0
	s_or_b32 exec_lo, exec_lo, s18
.LBB357_569:                            ;   in Loop: Header=BB357_15 Depth=1
	s_delay_alu instid0(SALU_CYCLE_1)
	s_or_b32 exec_lo, exec_lo, s17
.LBB357_570:                            ;   in Loop: Header=BB357_15 Depth=1
	s_delay_alu instid0(SALU_CYCLE_1) | instskip(SKIP_2) | instid1(VALU_DEP_1)
	s_or_b32 exec_lo, exec_lo, s16
	v_lshrrev_b16 v2, 8, v24
	s_mov_b32 s16, exec_lo
	v_cmpx_ne_u16_e32 0, v2
	s_cbranch_execz .LBB357_578
; %bb.571:                              ;   in Loop: Header=BB357_15 Depth=1
	scratch_load_b64 v[4:5], off, s32 offset:464 ; 8-byte Folded Reload
	s_wait_loadcnt 0x0
	v_bfrev_b32_e32 v5, 1
	s_mov_b32 s17, exec_lo
	scratch_store_b64 off, v[4:5], s32 offset:464 ; 8-byte Folded Spill
	s_wait_xcnt 0x0
	v_cmpx_ne_u16_e32 0x80, v2
	s_cbranch_execz .LBB357_577
; %bb.572:                              ;   in Loop: Header=BB357_15 Depth=1
	scratch_load_b64 v[6:7], off, s32 offset:464 ; 8-byte Folded Reload
	v_and_b32_e32 v2, 0xffff, v2
	s_wait_loadcnt 0x0
	v_mov_b32_e32 v7, 0x7f800001
	s_mov_b32 s18, exec_lo
	s_delay_alu instid0(VALU_DEP_2)
	v_and_b32_e32 v5, 0x7f, v2
	scratch_store_b64 off, v[6:7], s32 offset:464 ; 8-byte Folded Spill
	s_wait_xcnt 0x0
	v_cmpx_ne_u32_e32 0x7f, v5
	s_cbranch_execz .LBB357_576
; %bb.573:                              ;   in Loop: Header=BB357_15 Depth=1
	v_dual_mov_b32 v3, v25 :: v_dual_bitop2_b32 v2, 7, v2 bitop3:0x40
	v_lshrrev_b32_e32 v4, 3, v5
	s_mov_b32 s19, exec_lo
	v_cmpx_gt_u32_e32 8, v5
; %bb.574:                              ;   in Loop: Header=BB357_15 Depth=1
	s_delay_alu instid0(VALU_DEP_3) | instskip(NEXT) | instid1(VALU_DEP_1)
	v_clz_i32_u32_e32 v4, v2
	v_min_u32_e32 v4, 32, v4
	s_delay_alu instid0(VALU_DEP_1) | instskip(NEXT) | instid1(VALU_DEP_1)
	v_subrev_nc_u32_e32 v5, 28, v4
	v_lshlrev_b64_e32 v[2:3], v5, v[2:3]
	s_delay_alu instid0(VALU_DEP_1)
	v_dual_sub_nc_u32 v4, 29, v4 :: v_dual_bitop2_b32 v2, 7, v2 bitop3:0x40
; %bb.575:                              ;   in Loop: Header=BB357_15 Depth=1
	s_or_b32 exec_lo, exec_lo, s19
	scratch_load_b64 v[6:7], off, s32 offset:464 ; 8-byte Folded Reload
	v_dual_lshlrev_b32 v3, 16, v24 :: v_dual_lshlrev_b32 v2, 20, v2
	v_lshl_add_u32 v4, v4, 23, 0x3c000000
	s_delay_alu instid0(VALU_DEP_2) | instskip(SKIP_1) | instid1(VALU_DEP_1)
	v_and_b32_e32 v3, 0x80000000, v3
	s_wait_loadcnt 0x0
	v_or3_b32 v7, v2, v3, v4
	scratch_store_b64 off, v[6:7], s32 offset:464 ; 8-byte Folded Spill
.LBB357_576:                            ;   in Loop: Header=BB357_15 Depth=1
	s_wait_xcnt 0x0
	s_or_b32 exec_lo, exec_lo, s18
.LBB357_577:                            ;   in Loop: Header=BB357_15 Depth=1
	s_delay_alu instid0(SALU_CYCLE_1)
	s_or_b32 exec_lo, exec_lo, s17
.LBB357_578:                            ;   in Loop: Header=BB357_15 Depth=1
	s_delay_alu instid0(SALU_CYCLE_1) | instskip(SKIP_3) | instid1(VALU_DEP_2)
	s_or_b32 exec_lo, exec_lo, s16
	v_dual_mov_b32 v7, 0 :: v_dual_lshrrev_b32 v4, 16, v1
	v_mov_b32_e32 v6, 0
	s_mov_b32 s16, exec_lo
	v_and_b32_e32 v2, 0xff, v4
	scratch_store_b64 off, v[6:7], s32 offset:472 ; 8-byte Folded Spill
	s_wait_xcnt 0x0
	v_cmpx_ne_u16_e32 0, v2
	s_cbranch_execz .LBB357_586
; %bb.579:                              ;   in Loop: Header=BB357_15 Depth=1
	v_cmp_ne_u16_e64 s1, 0x80, v2
	scratch_load_b64 v[2:3], off, s32 offset:472 ; 8-byte Folded Reload
	s_wait_loadcnt 0x0
	v_bfrev_b32_e32 v2, 1
	scratch_store_b64 off, v[2:3], s32 offset:472 ; 8-byte Folded Spill
	s_wait_xcnt 0x0
	s_and_saveexec_b32 s17, s1
	s_cbranch_execz .LBB357_585
; %bb.580:                              ;   in Loop: Header=BB357_15 Depth=1
	scratch_load_b64 v[6:7], off, s32 offset:472 ; 8-byte Folded Reload
	v_bfe_u32 v2, v1, 16, 7
	s_wait_loadcnt 0x0
	v_mov_b32_e32 v6, 0x7f800001
	s_mov_b32 s18, exec_lo
	scratch_store_b64 off, v[6:7], s32 offset:472 ; 8-byte Folded Spill
	s_wait_xcnt 0x0
	v_cmpx_ne_u32_e32 0x7f, v2
	s_cbranch_execz .LBB357_584
; %bb.581:                              ;   in Loop: Header=BB357_15 Depth=1
	v_dual_lshrrev_b32 v5, 3, v2 :: v_dual_bitop2_b32 v24, 7, v4 bitop3:0x40
	v_cmp_gt_u32_e64 s1, 8, v2
	s_delay_alu instid0(VALU_DEP_2)
	v_mov_b64_e32 v[2:3], v[24:25]
	s_and_saveexec_b32 s19, s1
; %bb.582:                              ;   in Loop: Header=BB357_15 Depth=1
	v_clz_i32_u32_e32 v2, v24
	s_delay_alu instid0(VALU_DEP_1) | instskip(NEXT) | instid1(VALU_DEP_1)
	v_min_u32_e32 v5, 32, v2
	v_subrev_nc_u32_e32 v2, 28, v5
	s_delay_alu instid0(VALU_DEP_1) | instskip(NEXT) | instid1(VALU_DEP_1)
	v_lshlrev_b64_e32 v[2:3], v2, v[24:25]
	v_dual_sub_nc_u32 v5, 29, v5 :: v_dual_bitop2_b32 v2, 7, v2 bitop3:0x40
; %bb.583:                              ;   in Loop: Header=BB357_15 Depth=1
	s_or_b32 exec_lo, exec_lo, s19
	scratch_load_b64 v[6:7], off, s32 offset:472 ; 8-byte Folded Reload
	v_dual_lshlrev_b32 v3, 24, v4 :: v_dual_lshlrev_b32 v2, 20, v2
	v_lshl_add_u32 v4, v5, 23, 0x3c000000
	s_delay_alu instid0(VALU_DEP_2) | instskip(SKIP_1) | instid1(VALU_DEP_1)
	v_and_b32_e32 v3, 0x80000000, v3
	s_wait_loadcnt 0x0
	v_or3_b32 v6, v2, v3, v4
	scratch_store_b64 off, v[6:7], s32 offset:472 ; 8-byte Folded Spill
.LBB357_584:                            ;   in Loop: Header=BB357_15 Depth=1
	s_wait_xcnt 0x0
	s_or_b32 exec_lo, exec_lo, s18
.LBB357_585:                            ;   in Loop: Header=BB357_15 Depth=1
	s_delay_alu instid0(SALU_CYCLE_1)
	s_or_b32 exec_lo, exec_lo, s17
.LBB357_586:                            ;   in Loop: Header=BB357_15 Depth=1
	s_delay_alu instid0(SALU_CYCLE_1) | instskip(NEXT) | instid1(SALU_CYCLE_1)
	s_or_b32 exec_lo, exec_lo, s16
	s_mov_b32 s16, exec_lo
	v_cmpx_lt_u64_e64 s[8:9], v[0:1]
	s_cbranch_execz .LBB357_594
; %bb.587:                              ;   in Loop: Header=BB357_15 Depth=1
	scratch_load_b64 v[4:5], off, s32 offset:472 ; 8-byte Folded Reload
	v_lshrrev_b32_e32 v2, 24, v1
	s_wait_loadcnt 0x0
	v_bfrev_b32_e32 v5, 1
	s_mov_b32 s17, exec_lo
	scratch_store_b64 off, v[4:5], s32 offset:472 ; 8-byte Folded Spill
	s_wait_xcnt 0x0
	v_cmpx_ne_u32_e32 0x80, v2
	s_cbranch_execz .LBB357_593
; %bb.588:                              ;   in Loop: Header=BB357_15 Depth=1
	scratch_load_b64 v[4:5], off, s32 offset:472 ; 8-byte Folded Reload
	v_bfe_u32 v0, v1, 24, 7
	s_wait_loadcnt 0x0
	v_mov_b32_e32 v5, 0x7f800001
	s_mov_b32 s18, exec_lo
	scratch_store_b64 off, v[4:5], s32 offset:472 ; 8-byte Folded Spill
	s_wait_xcnt 0x0
	v_cmpx_ne_u32_e32 0x7f, v0
	s_cbranch_execz .LBB357_592
; %bb.589:                              ;   in Loop: Header=BB357_15 Depth=1
	v_dual_lshrrev_b32 v3, 3, v0 :: v_dual_bitop2_b32 v24, 7, v2 bitop3:0x40
	v_cmp_gt_u32_e64 s1, 8, v0
	s_delay_alu instid0(VALU_DEP_2)
	v_mov_b64_e32 v[0:1], v[24:25]
	s_and_saveexec_b32 s19, s1
; %bb.590:                              ;   in Loop: Header=BB357_15 Depth=1
	v_clz_i32_u32_e32 v0, v24
	s_delay_alu instid0(VALU_DEP_1) | instskip(NEXT) | instid1(VALU_DEP_1)
	v_min_u32_e32 v3, 32, v0
	v_subrev_nc_u32_e32 v0, 28, v3
	s_delay_alu instid0(VALU_DEP_1) | instskip(NEXT) | instid1(VALU_DEP_1)
	v_lshlrev_b64_e32 v[0:1], v0, v[24:25]
	v_dual_sub_nc_u32 v3, 29, v3 :: v_dual_bitop2_b32 v0, 7, v0 bitop3:0x40
; %bb.591:                              ;   in Loop: Header=BB357_15 Depth=1
	s_or_b32 exec_lo, exec_lo, s19
	scratch_load_b64 v[4:5], off, s32 offset:472 ; 8-byte Folded Reload
	v_dual_lshlrev_b32 v1, 24, v2 :: v_dual_lshlrev_b32 v0, 20, v0
	v_lshl_add_u32 v2, v3, 23, 0x3c000000
	s_delay_alu instid0(VALU_DEP_2) | instskip(SKIP_1) | instid1(VALU_DEP_1)
	v_and_b32_e32 v1, 0x80000000, v1
	s_wait_loadcnt 0x0
	v_or3_b32 v5, v0, v1, v2
	scratch_store_b64 off, v[4:5], s32 offset:472 ; 8-byte Folded Spill
.LBB357_592:                            ;   in Loop: Header=BB357_15 Depth=1
	s_wait_xcnt 0x0
	s_or_b32 exec_lo, exec_lo, s18
.LBB357_593:                            ;   in Loop: Header=BB357_15 Depth=1
	s_delay_alu instid0(SALU_CYCLE_1)
	s_or_b32 exec_lo, exec_lo, s17
.LBB357_594:                            ;   in Loop: Header=BB357_15 Depth=1
	s_delay_alu instid0(SALU_CYCLE_1)
	s_or_b32 exec_lo, exec_lo, s16
	flat_load_b64 v[0:1], v[102:103] offset:2056
	v_dual_mov_b32 v5, 0 :: v_dual_mov_b32 v4, 0
	s_mov_b32 s16, exec_lo
	scratch_store_b64 off, v[4:5], s32 offset:480 ; 8-byte Folded Spill
	s_wait_loadcnt_dscnt 0x0
	v_and_b32_e32 v2, 0xff, v0
	s_wait_xcnt 0x0
	s_delay_alu instid0(VALU_DEP_1)
	v_cmpx_ne_u16_e32 0, v2
	s_cbranch_execz .LBB357_602
; %bb.595:                              ;   in Loop: Header=BB357_15 Depth=1
	v_cmp_ne_u16_e64 s1, 0x80, v2
	scratch_load_b64 v[2:3], off, s32 offset:480 ; 8-byte Folded Reload
	s_wait_loadcnt 0x0
	v_bfrev_b32_e32 v2, 1
	scratch_store_b64 off, v[2:3], s32 offset:480 ; 8-byte Folded Spill
	s_wait_xcnt 0x0
	s_and_saveexec_b32 s17, s1
	s_cbranch_execz .LBB357_601
; %bb.596:                              ;   in Loop: Header=BB357_15 Depth=1
	scratch_load_b64 v[4:5], off, s32 offset:480 ; 8-byte Folded Reload
	v_and_b32_e32 v2, 0x7f, v0
	s_wait_loadcnt 0x0
	v_mov_b32_e32 v4, 0x7f800001
	s_mov_b32 s18, exec_lo
	scratch_store_b64 off, v[4:5], s32 offset:480 ; 8-byte Folded Spill
	s_wait_xcnt 0x0
	v_cmpx_ne_u32_e32 0x7f, v2
	s_cbranch_execz .LBB357_600
; %bb.597:                              ;   in Loop: Header=BB357_15 Depth=1
	v_lshrrev_b32_e32 v4, 3, v2
	v_cmp_gt_u32_e64 s1, 8, v2
	v_mov_b64_e32 v[2:3], v[0:1]
	s_and_saveexec_b32 s19, s1
; %bb.598:                              ;   in Loop: Header=BB357_15 Depth=1
	v_and_b32_e32 v2, 7, v0
	s_delay_alu instid0(VALU_DEP_1) | instskip(NEXT) | instid1(VALU_DEP_1)
	v_clz_i32_u32_e32 v2, v2
	v_min_u32_e32 v4, 32, v2
	s_delay_alu instid0(VALU_DEP_1) | instskip(SKIP_1) | instid1(VALU_DEP_2)
	v_subrev_nc_u32_e32 v2, 28, v4
	v_sub_nc_u32_e32 v4, 29, v4
	v_lshlrev_b64_e32 v[2:3], v2, v[0:1]
; %bb.599:                              ;   in Loop: Header=BB357_15 Depth=1
	s_or_b32 exec_lo, exec_lo, s19
	scratch_load_b64 v[6:7], off, s32 offset:480 ; 8-byte Folded Reload
	v_dual_lshlrev_b32 v2, 20, v2 :: v_dual_lshlrev_b32 v3, 24, v0
	v_lshl_add_u32 v4, v4, 23, 0x3c000000
	s_delay_alu instid0(VALU_DEP_2) | instskip(NEXT) | instid1(VALU_DEP_3)
	v_and_b32_e32 v2, 0x700000, v2
	v_and_b32_e32 v3, 0x80000000, v3
	s_wait_loadcnt 0x0
	s_delay_alu instid0(VALU_DEP_1)
	v_or3_b32 v6, v2, v3, v4
	scratch_store_b64 off, v[6:7], s32 offset:480 ; 8-byte Folded Spill
.LBB357_600:                            ;   in Loop: Header=BB357_15 Depth=1
	s_wait_xcnt 0x0
	s_or_b32 exec_lo, exec_lo, s18
.LBB357_601:                            ;   in Loop: Header=BB357_15 Depth=1
	s_delay_alu instid0(SALU_CYCLE_1)
	s_or_b32 exec_lo, exec_lo, s17
.LBB357_602:                            ;   in Loop: Header=BB357_15 Depth=1
	s_delay_alu instid0(SALU_CYCLE_1) | instskip(SKIP_2) | instid1(VALU_DEP_1)
	s_or_b32 exec_lo, exec_lo, s16
	v_lshrrev_b16 v2, 8, v0
	s_mov_b32 s16, exec_lo
	v_cmpx_ne_u16_e32 0, v2
	s_cbranch_execz .LBB357_610
; %bb.603:                              ;   in Loop: Header=BB357_15 Depth=1
	scratch_load_b64 v[4:5], off, s32 offset:480 ; 8-byte Folded Reload
	s_wait_loadcnt 0x0
	v_bfrev_b32_e32 v5, 1
	s_mov_b32 s17, exec_lo
	scratch_store_b64 off, v[4:5], s32 offset:480 ; 8-byte Folded Spill
	s_wait_xcnt 0x0
	v_cmpx_ne_u16_e32 0x80, v2
	s_cbranch_execz .LBB357_609
; %bb.604:                              ;   in Loop: Header=BB357_15 Depth=1
	scratch_load_b64 v[4:5], off, s32 offset:480 ; 8-byte Folded Reload
	v_and_b32_e32 v3, 0xffff, v2
	s_wait_loadcnt 0x0
	v_mov_b32_e32 v5, 0x7f800001
	s_mov_b32 s18, exec_lo
	s_delay_alu instid0(VALU_DEP_2)
	v_and_b32_e32 v2, 0x7f, v3
	scratch_store_b64 off, v[4:5], s32 offset:480 ; 8-byte Folded Spill
	s_wait_xcnt 0x0
	v_cmpx_ne_u32_e32 0x7f, v2
	s_cbranch_execz .LBB357_608
; %bb.605:                              ;   in Loop: Header=BB357_15 Depth=1
	v_dual_lshrrev_b32 v4, 3, v2 :: v_dual_bitop2_b32 v24, 7, v3 bitop3:0x40
	v_cmp_gt_u32_e64 s1, 8, v2
	s_delay_alu instid0(VALU_DEP_2)
	v_mov_b64_e32 v[2:3], v[24:25]
	s_and_saveexec_b32 s19, s1
; %bb.606:                              ;   in Loop: Header=BB357_15 Depth=1
	v_clz_i32_u32_e32 v2, v24
	s_delay_alu instid0(VALU_DEP_1) | instskip(NEXT) | instid1(VALU_DEP_1)
	v_min_u32_e32 v4, 32, v2
	v_subrev_nc_u32_e32 v2, 28, v4
	s_delay_alu instid0(VALU_DEP_1) | instskip(NEXT) | instid1(VALU_DEP_1)
	v_lshlrev_b64_e32 v[2:3], v2, v[24:25]
	v_dual_sub_nc_u32 v4, 29, v4 :: v_dual_bitop2_b32 v2, 7, v2 bitop3:0x40
; %bb.607:                              ;   in Loop: Header=BB357_15 Depth=1
	s_or_b32 exec_lo, exec_lo, s19
	scratch_load_b64 v[6:7], off, s32 offset:480 ; 8-byte Folded Reload
	v_dual_lshlrev_b32 v3, 16, v0 :: v_dual_lshlrev_b32 v2, 20, v2
	v_lshl_add_u32 v4, v4, 23, 0x3c000000
	s_delay_alu instid0(VALU_DEP_2) | instskip(SKIP_1) | instid1(VALU_DEP_1)
	v_and_b32_e32 v3, 0x80000000, v3
	s_wait_loadcnt 0x0
	v_or3_b32 v7, v2, v3, v4
	scratch_store_b64 off, v[6:7], s32 offset:480 ; 8-byte Folded Spill
.LBB357_608:                            ;   in Loop: Header=BB357_15 Depth=1
	s_wait_xcnt 0x0
	s_or_b32 exec_lo, exec_lo, s18
.LBB357_609:                            ;   in Loop: Header=BB357_15 Depth=1
	s_delay_alu instid0(SALU_CYCLE_1)
	s_or_b32 exec_lo, exec_lo, s17
.LBB357_610:                            ;   in Loop: Header=BB357_15 Depth=1
	s_delay_alu instid0(SALU_CYCLE_1) | instskip(SKIP_3) | instid1(VALU_DEP_2)
	s_or_b32 exec_lo, exec_lo, s16
	v_dual_mov_b32 v7, 0 :: v_dual_lshrrev_b32 v4, 16, v0
	v_mov_b32_e32 v6, 0
	s_mov_b32 s16, exec_lo
	v_and_b32_e32 v2, 0xff, v4
	scratch_store_b64 off, v[6:7], s32 offset:488 ; 8-byte Folded Spill
	s_wait_xcnt 0x0
	v_cmpx_ne_u16_e32 0, v2
	s_cbranch_execz .LBB357_618
; %bb.611:                              ;   in Loop: Header=BB357_15 Depth=1
	v_cmp_ne_u16_e64 s1, 0x80, v2
	scratch_load_b64 v[2:3], off, s32 offset:488 ; 8-byte Folded Reload
	s_wait_loadcnt 0x0
	v_bfrev_b32_e32 v2, 1
	scratch_store_b64 off, v[2:3], s32 offset:488 ; 8-byte Folded Spill
	s_wait_xcnt 0x0
	s_and_saveexec_b32 s17, s1
	s_cbranch_execz .LBB357_617
; %bb.612:                              ;   in Loop: Header=BB357_15 Depth=1
	scratch_load_b64 v[6:7], off, s32 offset:488 ; 8-byte Folded Reload
	v_bfe_u32 v2, v0, 16, 7
	s_wait_loadcnt 0x0
	v_mov_b32_e32 v6, 0x7f800001
	s_mov_b32 s18, exec_lo
	scratch_store_b64 off, v[6:7], s32 offset:488 ; 8-byte Folded Spill
	s_wait_xcnt 0x0
	v_cmpx_ne_u32_e32 0x7f, v2
	s_cbranch_execz .LBB357_616
; %bb.613:                              ;   in Loop: Header=BB357_15 Depth=1
	v_dual_lshrrev_b32 v5, 3, v2 :: v_dual_bitop2_b32 v24, 7, v4 bitop3:0x40
	v_cmp_gt_u32_e64 s1, 8, v2
	s_delay_alu instid0(VALU_DEP_2)
	v_mov_b64_e32 v[2:3], v[24:25]
	s_and_saveexec_b32 s19, s1
; %bb.614:                              ;   in Loop: Header=BB357_15 Depth=1
	v_clz_i32_u32_e32 v2, v24
	s_delay_alu instid0(VALU_DEP_1) | instskip(NEXT) | instid1(VALU_DEP_1)
	v_min_u32_e32 v5, 32, v2
	v_subrev_nc_u32_e32 v2, 28, v5
	s_delay_alu instid0(VALU_DEP_1) | instskip(NEXT) | instid1(VALU_DEP_1)
	v_lshlrev_b64_e32 v[2:3], v2, v[24:25]
	v_dual_sub_nc_u32 v5, 29, v5 :: v_dual_bitop2_b32 v2, 7, v2 bitop3:0x40
; %bb.615:                              ;   in Loop: Header=BB357_15 Depth=1
	s_or_b32 exec_lo, exec_lo, s19
	scratch_load_b64 v[6:7], off, s32 offset:488 ; 8-byte Folded Reload
	v_dual_lshlrev_b32 v3, 24, v4 :: v_dual_lshlrev_b32 v2, 20, v2
	v_lshl_add_u32 v4, v5, 23, 0x3c000000
	s_delay_alu instid0(VALU_DEP_2) | instskip(SKIP_1) | instid1(VALU_DEP_1)
	v_and_b32_e32 v3, 0x80000000, v3
	s_wait_loadcnt 0x0
	v_or3_b32 v6, v2, v3, v4
	scratch_store_b64 off, v[6:7], s32 offset:488 ; 8-byte Folded Spill
.LBB357_616:                            ;   in Loop: Header=BB357_15 Depth=1
	s_wait_xcnt 0x0
	s_or_b32 exec_lo, exec_lo, s18
.LBB357_617:                            ;   in Loop: Header=BB357_15 Depth=1
	s_delay_alu instid0(SALU_CYCLE_1)
	s_or_b32 exec_lo, exec_lo, s17
.LBB357_618:                            ;   in Loop: Header=BB357_15 Depth=1
	s_delay_alu instid0(SALU_CYCLE_1) | instskip(NEXT) | instid1(SALU_CYCLE_1)
	s_or_b32 exec_lo, exec_lo, s16
	s_mov_b32 s16, exec_lo
	v_cmpx_lt_u32_e32 0xffffff, v0
	s_cbranch_execz .LBB357_626
; %bb.619:                              ;   in Loop: Header=BB357_15 Depth=1
	scratch_load_b64 v[2:3], off, s32 offset:488 ; 8-byte Folded Reload
	v_lshrrev_b32_e32 v4, 24, v0
	s_wait_loadcnt 0x0
	v_bfrev_b32_e32 v3, 1
	s_mov_b32 s17, exec_lo
	scratch_store_b64 off, v[2:3], s32 offset:488 ; 8-byte Folded Spill
	s_wait_xcnt 0x0
	v_cmpx_ne_u32_e32 0x80, v4
	s_cbranch_execz .LBB357_625
; %bb.620:                              ;   in Loop: Header=BB357_15 Depth=1
	scratch_load_b64 v[6:7], off, s32 offset:488 ; 8-byte Folded Reload
	v_bfe_u32 v2, v0, 24, 7
	s_wait_loadcnt 0x0
	v_mov_b32_e32 v7, 0x7f800001
	s_mov_b32 s18, exec_lo
	scratch_store_b64 off, v[6:7], s32 offset:488 ; 8-byte Folded Spill
	s_wait_xcnt 0x0
	v_cmpx_ne_u32_e32 0x7f, v2
	s_cbranch_execz .LBB357_624
; %bb.621:                              ;   in Loop: Header=BB357_15 Depth=1
	v_dual_lshrrev_b32 v5, 3, v2 :: v_dual_bitop2_b32 v24, 7, v4 bitop3:0x40
	v_cmp_gt_u32_e64 s1, 8, v2
	s_delay_alu instid0(VALU_DEP_2)
	v_mov_b64_e32 v[2:3], v[24:25]
	s_and_saveexec_b32 s19, s1
; %bb.622:                              ;   in Loop: Header=BB357_15 Depth=1
	v_clz_i32_u32_e32 v2, v24
	s_delay_alu instid0(VALU_DEP_1) | instskip(NEXT) | instid1(VALU_DEP_1)
	v_min_u32_e32 v5, 32, v2
	v_subrev_nc_u32_e32 v2, 28, v5
	s_delay_alu instid0(VALU_DEP_1) | instskip(NEXT) | instid1(VALU_DEP_1)
	v_lshlrev_b64_e32 v[2:3], v2, v[24:25]
	v_dual_sub_nc_u32 v5, 29, v5 :: v_dual_bitop2_b32 v2, 7, v2 bitop3:0x40
; %bb.623:                              ;   in Loop: Header=BB357_15 Depth=1
	s_or_b32 exec_lo, exec_lo, s19
	scratch_load_b64 v[6:7], off, s32 offset:488 ; 8-byte Folded Reload
	v_dual_lshlrev_b32 v3, 24, v4 :: v_dual_lshlrev_b32 v2, 20, v2
	v_lshl_add_u32 v4, v5, 23, 0x3c000000
	s_delay_alu instid0(VALU_DEP_2) | instskip(SKIP_1) | instid1(VALU_DEP_1)
	v_and_b32_e32 v3, 0x80000000, v3
	s_wait_loadcnt 0x0
	v_or3_b32 v7, v2, v3, v4
	scratch_store_b64 off, v[6:7], s32 offset:488 ; 8-byte Folded Spill
.LBB357_624:                            ;   in Loop: Header=BB357_15 Depth=1
	s_wait_xcnt 0x0
	s_or_b32 exec_lo, exec_lo, s18
.LBB357_625:                            ;   in Loop: Header=BB357_15 Depth=1
	s_delay_alu instid0(SALU_CYCLE_1)
	s_or_b32 exec_lo, exec_lo, s17
.LBB357_626:                            ;   in Loop: Header=BB357_15 Depth=1
	s_delay_alu instid0(SALU_CYCLE_1)
	s_or_b32 exec_lo, exec_lo, s16
	v_and_b32_e32 v2, 0xff, v1
	v_dual_mov_b32 v24, v1 :: v_dual_mov_b32 v5, 0
	v_mov_b32_e32 v4, 0
	s_mov_b32 s16, exec_lo
	scratch_store_b64 off, v[4:5], s32 offset:496 ; 8-byte Folded Spill
	s_wait_xcnt 0x0
	v_cmpx_ne_u16_e32 0, v2
	s_cbranch_execz .LBB357_634
; %bb.627:                              ;   in Loop: Header=BB357_15 Depth=1
	v_cmp_ne_u16_e64 s1, 0x80, v2
	scratch_load_b64 v[2:3], off, s32 offset:496 ; 8-byte Folded Reload
	s_wait_loadcnt 0x0
	v_bfrev_b32_e32 v2, 1
	scratch_store_b64 off, v[2:3], s32 offset:496 ; 8-byte Folded Spill
	s_wait_xcnt 0x0
	s_and_saveexec_b32 s17, s1
	s_cbranch_execz .LBB357_633
; %bb.628:                              ;   in Loop: Header=BB357_15 Depth=1
	scratch_load_b64 v[4:5], off, s32 offset:496 ; 8-byte Folded Reload
	v_and_b32_e32 v2, 0x7f, v1
	s_wait_loadcnt 0x0
	v_mov_b32_e32 v4, 0x7f800001
	s_mov_b32 s18, exec_lo
	scratch_store_b64 off, v[4:5], s32 offset:496 ; 8-byte Folded Spill
	s_wait_xcnt 0x0
	v_cmpx_ne_u32_e32 0x7f, v2
	s_cbranch_execz .LBB357_632
; %bb.629:                              ;   in Loop: Header=BB357_15 Depth=1
	v_lshrrev_b32_e32 v4, 3, v2
	v_cmp_gt_u32_e64 s1, 8, v2
	v_mov_b64_e32 v[2:3], v[24:25]
	s_and_saveexec_b32 s19, s1
; %bb.630:                              ;   in Loop: Header=BB357_15 Depth=1
	v_and_b32_e32 v2, 7, v1
	s_delay_alu instid0(VALU_DEP_1) | instskip(NEXT) | instid1(VALU_DEP_1)
	v_clz_i32_u32_e32 v2, v2
	v_min_u32_e32 v4, 32, v2
	s_delay_alu instid0(VALU_DEP_1) | instskip(SKIP_1) | instid1(VALU_DEP_2)
	v_subrev_nc_u32_e32 v2, 28, v4
	v_sub_nc_u32_e32 v4, 29, v4
	v_lshlrev_b64_e32 v[2:3], v2, v[24:25]
; %bb.631:                              ;   in Loop: Header=BB357_15 Depth=1
	s_or_b32 exec_lo, exec_lo, s19
	scratch_load_b64 v[6:7], off, s32 offset:496 ; 8-byte Folded Reload
	v_dual_lshlrev_b32 v2, 20, v2 :: v_dual_lshlrev_b32 v3, 24, v24
	v_lshl_add_u32 v4, v4, 23, 0x3c000000
	s_delay_alu instid0(VALU_DEP_2) | instskip(NEXT) | instid1(VALU_DEP_3)
	v_and_b32_e32 v2, 0x700000, v2
	v_and_b32_e32 v3, 0x80000000, v3
	s_wait_loadcnt 0x0
	s_delay_alu instid0(VALU_DEP_1)
	v_or3_b32 v6, v2, v3, v4
	scratch_store_b64 off, v[6:7], s32 offset:496 ; 8-byte Folded Spill
.LBB357_632:                            ;   in Loop: Header=BB357_15 Depth=1
	s_wait_xcnt 0x0
	s_or_b32 exec_lo, exec_lo, s18
.LBB357_633:                            ;   in Loop: Header=BB357_15 Depth=1
	s_delay_alu instid0(SALU_CYCLE_1)
	s_or_b32 exec_lo, exec_lo, s17
.LBB357_634:                            ;   in Loop: Header=BB357_15 Depth=1
	s_delay_alu instid0(SALU_CYCLE_1) | instskip(SKIP_2) | instid1(VALU_DEP_1)
	s_or_b32 exec_lo, exec_lo, s16
	v_lshrrev_b16 v2, 8, v24
	s_mov_b32 s16, exec_lo
	v_cmpx_ne_u16_e32 0, v2
	s_cbranch_execz .LBB357_642
; %bb.635:                              ;   in Loop: Header=BB357_15 Depth=1
	scratch_load_b64 v[4:5], off, s32 offset:496 ; 8-byte Folded Reload
	s_wait_loadcnt 0x0
	v_bfrev_b32_e32 v5, 1
	s_mov_b32 s17, exec_lo
	scratch_store_b64 off, v[4:5], s32 offset:496 ; 8-byte Folded Spill
	s_wait_xcnt 0x0
	v_cmpx_ne_u16_e32 0x80, v2
	s_cbranch_execz .LBB357_641
; %bb.636:                              ;   in Loop: Header=BB357_15 Depth=1
	scratch_load_b64 v[6:7], off, s32 offset:496 ; 8-byte Folded Reload
	v_and_b32_e32 v2, 0xffff, v2
	s_wait_loadcnt 0x0
	v_mov_b32_e32 v7, 0x7f800001
	s_mov_b32 s18, exec_lo
	s_delay_alu instid0(VALU_DEP_2)
	v_and_b32_e32 v5, 0x7f, v2
	scratch_store_b64 off, v[6:7], s32 offset:496 ; 8-byte Folded Spill
	s_wait_xcnt 0x0
	v_cmpx_ne_u32_e32 0x7f, v5
	s_cbranch_execz .LBB357_640
; %bb.637:                              ;   in Loop: Header=BB357_15 Depth=1
	v_dual_mov_b32 v3, v25 :: v_dual_bitop2_b32 v2, 7, v2 bitop3:0x40
	v_lshrrev_b32_e32 v4, 3, v5
	s_mov_b32 s19, exec_lo
	v_cmpx_gt_u32_e32 8, v5
; %bb.638:                              ;   in Loop: Header=BB357_15 Depth=1
	s_delay_alu instid0(VALU_DEP_3) | instskip(NEXT) | instid1(VALU_DEP_1)
	v_clz_i32_u32_e32 v4, v2
	v_min_u32_e32 v4, 32, v4
	s_delay_alu instid0(VALU_DEP_1) | instskip(NEXT) | instid1(VALU_DEP_1)
	v_subrev_nc_u32_e32 v5, 28, v4
	v_lshlrev_b64_e32 v[2:3], v5, v[2:3]
	s_delay_alu instid0(VALU_DEP_1)
	v_dual_sub_nc_u32 v4, 29, v4 :: v_dual_bitop2_b32 v2, 7, v2 bitop3:0x40
; %bb.639:                              ;   in Loop: Header=BB357_15 Depth=1
	s_or_b32 exec_lo, exec_lo, s19
	scratch_load_b64 v[6:7], off, s32 offset:496 ; 8-byte Folded Reload
	v_dual_lshlrev_b32 v3, 16, v24 :: v_dual_lshlrev_b32 v2, 20, v2
	v_lshl_add_u32 v4, v4, 23, 0x3c000000
	s_delay_alu instid0(VALU_DEP_2) | instskip(SKIP_1) | instid1(VALU_DEP_1)
	v_and_b32_e32 v3, 0x80000000, v3
	s_wait_loadcnt 0x0
	v_or3_b32 v7, v2, v3, v4
	scratch_store_b64 off, v[6:7], s32 offset:496 ; 8-byte Folded Spill
.LBB357_640:                            ;   in Loop: Header=BB357_15 Depth=1
	s_wait_xcnt 0x0
	s_or_b32 exec_lo, exec_lo, s18
.LBB357_641:                            ;   in Loop: Header=BB357_15 Depth=1
	s_delay_alu instid0(SALU_CYCLE_1)
	s_or_b32 exec_lo, exec_lo, s17
.LBB357_642:                            ;   in Loop: Header=BB357_15 Depth=1
	s_delay_alu instid0(SALU_CYCLE_1) | instskip(SKIP_3) | instid1(VALU_DEP_2)
	s_or_b32 exec_lo, exec_lo, s16
	v_dual_mov_b32 v7, 0 :: v_dual_lshrrev_b32 v4, 16, v1
	v_mov_b32_e32 v6, 0
	s_mov_b32 s16, exec_lo
	v_and_b32_e32 v2, 0xff, v4
	scratch_store_b64 off, v[6:7], s32 offset:504 ; 8-byte Folded Spill
	s_wait_xcnt 0x0
	v_cmpx_ne_u16_e32 0, v2
	s_cbranch_execz .LBB357_650
; %bb.643:                              ;   in Loop: Header=BB357_15 Depth=1
	v_cmp_ne_u16_e64 s1, 0x80, v2
	scratch_load_b64 v[2:3], off, s32 offset:504 ; 8-byte Folded Reload
	s_wait_loadcnt 0x0
	v_bfrev_b32_e32 v2, 1
	scratch_store_b64 off, v[2:3], s32 offset:504 ; 8-byte Folded Spill
	s_wait_xcnt 0x0
	s_and_saveexec_b32 s17, s1
	s_cbranch_execz .LBB357_649
; %bb.644:                              ;   in Loop: Header=BB357_15 Depth=1
	scratch_load_b64 v[6:7], off, s32 offset:504 ; 8-byte Folded Reload
	v_bfe_u32 v2, v1, 16, 7
	s_wait_loadcnt 0x0
	v_mov_b32_e32 v6, 0x7f800001
	s_mov_b32 s18, exec_lo
	scratch_store_b64 off, v[6:7], s32 offset:504 ; 8-byte Folded Spill
	s_wait_xcnt 0x0
	v_cmpx_ne_u32_e32 0x7f, v2
	s_cbranch_execz .LBB357_648
; %bb.645:                              ;   in Loop: Header=BB357_15 Depth=1
	v_dual_lshrrev_b32 v5, 3, v2 :: v_dual_bitop2_b32 v24, 7, v4 bitop3:0x40
	v_cmp_gt_u32_e64 s1, 8, v2
	s_delay_alu instid0(VALU_DEP_2)
	v_mov_b64_e32 v[2:3], v[24:25]
	s_and_saveexec_b32 s19, s1
; %bb.646:                              ;   in Loop: Header=BB357_15 Depth=1
	v_clz_i32_u32_e32 v2, v24
	s_delay_alu instid0(VALU_DEP_1) | instskip(NEXT) | instid1(VALU_DEP_1)
	v_min_u32_e32 v5, 32, v2
	v_subrev_nc_u32_e32 v2, 28, v5
	s_delay_alu instid0(VALU_DEP_1) | instskip(NEXT) | instid1(VALU_DEP_1)
	v_lshlrev_b64_e32 v[2:3], v2, v[24:25]
	v_dual_sub_nc_u32 v5, 29, v5 :: v_dual_bitop2_b32 v2, 7, v2 bitop3:0x40
; %bb.647:                              ;   in Loop: Header=BB357_15 Depth=1
	s_or_b32 exec_lo, exec_lo, s19
	scratch_load_b64 v[6:7], off, s32 offset:504 ; 8-byte Folded Reload
	v_dual_lshlrev_b32 v3, 24, v4 :: v_dual_lshlrev_b32 v2, 20, v2
	v_lshl_add_u32 v4, v5, 23, 0x3c000000
	s_delay_alu instid0(VALU_DEP_2) | instskip(SKIP_1) | instid1(VALU_DEP_1)
	v_and_b32_e32 v3, 0x80000000, v3
	s_wait_loadcnt 0x0
	v_or3_b32 v6, v2, v3, v4
	scratch_store_b64 off, v[6:7], s32 offset:504 ; 8-byte Folded Spill
.LBB357_648:                            ;   in Loop: Header=BB357_15 Depth=1
	s_wait_xcnt 0x0
	s_or_b32 exec_lo, exec_lo, s18
.LBB357_649:                            ;   in Loop: Header=BB357_15 Depth=1
	s_delay_alu instid0(SALU_CYCLE_1)
	s_or_b32 exec_lo, exec_lo, s17
.LBB357_650:                            ;   in Loop: Header=BB357_15 Depth=1
	s_delay_alu instid0(SALU_CYCLE_1) | instskip(NEXT) | instid1(SALU_CYCLE_1)
	s_or_b32 exec_lo, exec_lo, s16
	s_mov_b32 s16, exec_lo
	v_cmpx_lt_u64_e64 s[8:9], v[0:1]
	s_cbranch_execz .LBB357_658
; %bb.651:                              ;   in Loop: Header=BB357_15 Depth=1
	scratch_load_b64 v[4:5], off, s32 offset:504 ; 8-byte Folded Reload
	v_lshrrev_b32_e32 v2, 24, v1
	s_wait_loadcnt 0x0
	v_bfrev_b32_e32 v5, 1
	s_mov_b32 s17, exec_lo
	scratch_store_b64 off, v[4:5], s32 offset:504 ; 8-byte Folded Spill
	s_wait_xcnt 0x0
	v_cmpx_ne_u32_e32 0x80, v2
	s_cbranch_execz .LBB357_657
; %bb.652:                              ;   in Loop: Header=BB357_15 Depth=1
	scratch_load_b64 v[4:5], off, s32 offset:504 ; 8-byte Folded Reload
	v_bfe_u32 v0, v1, 24, 7
	s_wait_loadcnt 0x0
	v_mov_b32_e32 v5, 0x7f800001
	s_mov_b32 s18, exec_lo
	scratch_store_b64 off, v[4:5], s32 offset:504 ; 8-byte Folded Spill
	s_wait_xcnt 0x0
	v_cmpx_ne_u32_e32 0x7f, v0
	s_cbranch_execz .LBB357_656
; %bb.653:                              ;   in Loop: Header=BB357_15 Depth=1
	v_dual_lshrrev_b32 v3, 3, v0 :: v_dual_bitop2_b32 v24, 7, v2 bitop3:0x40
	v_cmp_gt_u32_e64 s1, 8, v0
	s_delay_alu instid0(VALU_DEP_2)
	v_mov_b64_e32 v[0:1], v[24:25]
	s_and_saveexec_b32 s19, s1
; %bb.654:                              ;   in Loop: Header=BB357_15 Depth=1
	v_clz_i32_u32_e32 v0, v24
	s_delay_alu instid0(VALU_DEP_1) | instskip(NEXT) | instid1(VALU_DEP_1)
	v_min_u32_e32 v3, 32, v0
	v_subrev_nc_u32_e32 v0, 28, v3
	s_delay_alu instid0(VALU_DEP_1) | instskip(NEXT) | instid1(VALU_DEP_1)
	v_lshlrev_b64_e32 v[0:1], v0, v[24:25]
	v_dual_sub_nc_u32 v3, 29, v3 :: v_dual_bitop2_b32 v0, 7, v0 bitop3:0x40
; %bb.655:                              ;   in Loop: Header=BB357_15 Depth=1
	s_or_b32 exec_lo, exec_lo, s19
	scratch_load_b64 v[4:5], off, s32 offset:504 ; 8-byte Folded Reload
	v_dual_lshlrev_b32 v1, 24, v2 :: v_dual_lshlrev_b32 v0, 20, v0
	v_lshl_add_u32 v2, v3, 23, 0x3c000000
	s_delay_alu instid0(VALU_DEP_2) | instskip(SKIP_1) | instid1(VALU_DEP_1)
	v_and_b32_e32 v1, 0x80000000, v1
	s_wait_loadcnt 0x0
	v_or3_b32 v5, v0, v1, v2
	scratch_store_b64 off, v[4:5], s32 offset:504 ; 8-byte Folded Spill
.LBB357_656:                            ;   in Loop: Header=BB357_15 Depth=1
	s_wait_xcnt 0x0
	s_or_b32 exec_lo, exec_lo, s18
.LBB357_657:                            ;   in Loop: Header=BB357_15 Depth=1
	s_delay_alu instid0(SALU_CYCLE_1)
	s_or_b32 exec_lo, exec_lo, s17
.LBB357_658:                            ;   in Loop: Header=BB357_15 Depth=1
	s_delay_alu instid0(SALU_CYCLE_1)
	s_or_b32 exec_lo, exec_lo, s16
	flat_load_b64 v[0:1], v[102:103] offset:2560
	v_dual_mov_b32 v3, 0 :: v_dual_mov_b32 v59, 0
	s_mov_b32 s16, exec_lo
	scratch_store_b32 off, v3, s32 offset:664 ; 4-byte Folded Spill
	s_wait_loadcnt_dscnt 0x0
	v_and_b32_e32 v2, 0xff, v0
	s_wait_xcnt 0x0
	s_delay_alu instid0(VALU_DEP_1)
	v_cmpx_ne_u16_e32 0, v2
	s_cbranch_execz .LBB357_666
; %bb.659:                              ;   in Loop: Header=BB357_15 Depth=1
	v_bfrev_b32_e32 v59, 1
	s_mov_b32 s17, exec_lo
	v_cmpx_ne_u16_e32 0x80, v2
	s_cbranch_execz .LBB357_665
; %bb.660:                              ;   in Loop: Header=BB357_15 Depth=1
	v_and_b32_e32 v2, 0x7f, v0
	v_mov_b32_e32 v59, 0x7f800001
	s_mov_b32 s18, exec_lo
	s_delay_alu instid0(VALU_DEP_2)
	v_cmpx_ne_u32_e32 0x7f, v2
	s_cbranch_execz .LBB357_664
; %bb.661:                              ;   in Loop: Header=BB357_15 Depth=1
	v_lshrrev_b32_e32 v4, 3, v2
	v_cmp_gt_u32_e64 s1, 8, v2
	v_mov_b64_e32 v[2:3], v[0:1]
	s_and_saveexec_b32 s19, s1
; %bb.662:                              ;   in Loop: Header=BB357_15 Depth=1
	v_and_b32_e32 v2, 7, v0
	s_delay_alu instid0(VALU_DEP_1) | instskip(NEXT) | instid1(VALU_DEP_1)
	v_clz_i32_u32_e32 v2, v2
	v_min_u32_e32 v4, 32, v2
	s_delay_alu instid0(VALU_DEP_1) | instskip(SKIP_1) | instid1(VALU_DEP_2)
	v_subrev_nc_u32_e32 v2, 28, v4
	v_sub_nc_u32_e32 v4, 29, v4
	v_lshlrev_b64_e32 v[2:3], v2, v[0:1]
; %bb.663:                              ;   in Loop: Header=BB357_15 Depth=1
	s_or_b32 exec_lo, exec_lo, s19
	s_delay_alu instid0(VALU_DEP_1) | instskip(NEXT) | instid1(VALU_DEP_3)
	v_dual_lshlrev_b32 v2, 20, v2 :: v_dual_lshlrev_b32 v3, 24, v0
	v_lshl_add_u32 v4, v4, 23, 0x3c000000
	s_delay_alu instid0(VALU_DEP_2) | instskip(NEXT) | instid1(VALU_DEP_3)
	v_and_b32_e32 v2, 0x700000, v2
	v_and_b32_e32 v3, 0x80000000, v3
	s_delay_alu instid0(VALU_DEP_1)
	v_or3_b32 v59, v2, v3, v4
.LBB357_664:                            ;   in Loop: Header=BB357_15 Depth=1
	s_or_b32 exec_lo, exec_lo, s18
.LBB357_665:                            ;   in Loop: Header=BB357_15 Depth=1
	s_delay_alu instid0(SALU_CYCLE_1)
	s_or_b32 exec_lo, exec_lo, s17
.LBB357_666:                            ;   in Loop: Header=BB357_15 Depth=1
	s_delay_alu instid0(SALU_CYCLE_1) | instskip(SKIP_2) | instid1(VALU_DEP_1)
	s_or_b32 exec_lo, exec_lo, s16
	v_lshrrev_b16 v2, 8, v0
	s_mov_b32 s16, exec_lo
	v_cmpx_ne_u16_e32 0, v2
	s_cbranch_execz .LBB357_674
; %bb.667:                              ;   in Loop: Header=BB357_15 Depth=1
	v_bfrev_b32_e32 v3, 1
	s_mov_b32 s17, exec_lo
	scratch_store_b32 off, v3, s32 offset:664 ; 4-byte Folded Spill
	s_wait_xcnt 0x0
	v_cmpx_ne_u16_e32 0x80, v2
	s_cbranch_execz .LBB357_673
; %bb.668:                              ;   in Loop: Header=BB357_15 Depth=1
	v_and_b32_e32 v3, 0xffff, v2
	v_mov_b32_e32 v4, 0x7f800001
	s_mov_b32 s18, exec_lo
	s_delay_alu instid0(VALU_DEP_2)
	v_and_b32_e32 v2, 0x7f, v3
	scratch_store_b32 off, v4, s32 offset:664 ; 4-byte Folded Spill
	s_wait_xcnt 0x0
	v_cmpx_ne_u32_e32 0x7f, v2
	s_cbranch_execz .LBB357_672
; %bb.669:                              ;   in Loop: Header=BB357_15 Depth=1
	v_dual_lshrrev_b32 v4, 3, v2 :: v_dual_bitop2_b32 v24, 7, v3 bitop3:0x40
	v_cmp_gt_u32_e64 s1, 8, v2
	s_delay_alu instid0(VALU_DEP_2)
	v_mov_b64_e32 v[2:3], v[24:25]
	s_and_saveexec_b32 s19, s1
; %bb.670:                              ;   in Loop: Header=BB357_15 Depth=1
	v_clz_i32_u32_e32 v2, v24
	s_delay_alu instid0(VALU_DEP_1) | instskip(NEXT) | instid1(VALU_DEP_1)
	v_min_u32_e32 v4, 32, v2
	v_subrev_nc_u32_e32 v2, 28, v4
	s_delay_alu instid0(VALU_DEP_1) | instskip(NEXT) | instid1(VALU_DEP_1)
	v_lshlrev_b64_e32 v[2:3], v2, v[24:25]
	v_dual_sub_nc_u32 v4, 29, v4 :: v_dual_bitop2_b32 v2, 7, v2 bitop3:0x40
; %bb.671:                              ;   in Loop: Header=BB357_15 Depth=1
	s_or_b32 exec_lo, exec_lo, s19
	s_delay_alu instid0(VALU_DEP_1) | instskip(NEXT) | instid1(VALU_DEP_2)
	v_dual_lshlrev_b32 v3, 16, v0 :: v_dual_lshlrev_b32 v2, 20, v2
	v_lshl_add_u32 v4, v4, 23, 0x3c000000
	s_delay_alu instid0(VALU_DEP_2) | instskip(NEXT) | instid1(VALU_DEP_1)
	v_and_b32_e32 v3, 0x80000000, v3
	v_or3_b32 v2, v2, v3, v4
	scratch_store_b32 off, v2, s32 offset:664 ; 4-byte Folded Spill
.LBB357_672:                            ;   in Loop: Header=BB357_15 Depth=1
	s_wait_xcnt 0x0
	s_or_b32 exec_lo, exec_lo, s18
.LBB357_673:                            ;   in Loop: Header=BB357_15 Depth=1
	s_delay_alu instid0(SALU_CYCLE_1)
	s_or_b32 exec_lo, exec_lo, s17
.LBB357_674:                            ;   in Loop: Header=BB357_15 Depth=1
	s_delay_alu instid0(SALU_CYCLE_1) | instskip(SKIP_2) | instid1(VALU_DEP_1)
	s_or_b32 exec_lo, exec_lo, s16
	v_dual_mov_b32 v3, 0 :: v_dual_lshrrev_b32 v4, 16, v0
	s_mov_b32 s16, exec_lo
	v_and_b32_e32 v2, 0xff, v4
	scratch_store_b32 off, v3, s32 offset:672 ; 4-byte Folded Spill
	s_wait_xcnt 0x0
	v_mov_b32_e32 v3, 0
	scratch_store_b32 off, v3, s32 offset:668 ; 4-byte Folded Spill
	s_wait_xcnt 0x0
	v_cmpx_ne_u16_e32 0, v2
	s_cbranch_execz .LBB357_682
; %bb.675:                              ;   in Loop: Header=BB357_15 Depth=1
	v_cmp_ne_u16_e64 s1, 0x80, v2
	v_bfrev_b32_e32 v2, 1
	scratch_store_b32 off, v2, s32 offset:668 ; 4-byte Folded Spill
	s_wait_xcnt 0x0
	s_and_saveexec_b32 s17, s1
	s_cbranch_execz .LBB357_681
; %bb.676:                              ;   in Loop: Header=BB357_15 Depth=1
	v_bfe_u32 v2, v0, 16, 7
	v_mov_b32_e32 v3, 0x7f800001
	s_mov_b32 s18, exec_lo
	scratch_store_b32 off, v3, s32 offset:668 ; 4-byte Folded Spill
	s_wait_xcnt 0x0
	v_cmpx_ne_u32_e32 0x7f, v2
	s_cbranch_execz .LBB357_680
; %bb.677:                              ;   in Loop: Header=BB357_15 Depth=1
	v_dual_lshrrev_b32 v5, 3, v2 :: v_dual_bitop2_b32 v24, 7, v4 bitop3:0x40
	v_cmp_gt_u32_e64 s1, 8, v2
	s_delay_alu instid0(VALU_DEP_2)
	v_mov_b64_e32 v[2:3], v[24:25]
	s_and_saveexec_b32 s19, s1
; %bb.678:                              ;   in Loop: Header=BB357_15 Depth=1
	v_clz_i32_u32_e32 v2, v24
	s_delay_alu instid0(VALU_DEP_1) | instskip(NEXT) | instid1(VALU_DEP_1)
	v_min_u32_e32 v5, 32, v2
	v_subrev_nc_u32_e32 v2, 28, v5
	s_delay_alu instid0(VALU_DEP_1) | instskip(NEXT) | instid1(VALU_DEP_1)
	v_lshlrev_b64_e32 v[2:3], v2, v[24:25]
	v_dual_sub_nc_u32 v5, 29, v5 :: v_dual_bitop2_b32 v2, 7, v2 bitop3:0x40
; %bb.679:                              ;   in Loop: Header=BB357_15 Depth=1
	s_or_b32 exec_lo, exec_lo, s19
	s_delay_alu instid0(VALU_DEP_1) | instskip(NEXT) | instid1(VALU_DEP_2)
	v_dual_lshlrev_b32 v3, 24, v4 :: v_dual_lshlrev_b32 v2, 20, v2
	v_lshl_add_u32 v4, v5, 23, 0x3c000000
	s_delay_alu instid0(VALU_DEP_2) | instskip(NEXT) | instid1(VALU_DEP_1)
	v_and_b32_e32 v3, 0x80000000, v3
	v_or3_b32 v2, v2, v3, v4
	scratch_store_b32 off, v2, s32 offset:668 ; 4-byte Folded Spill
.LBB357_680:                            ;   in Loop: Header=BB357_15 Depth=1
	s_wait_xcnt 0x0
	s_or_b32 exec_lo, exec_lo, s18
.LBB357_681:                            ;   in Loop: Header=BB357_15 Depth=1
	s_delay_alu instid0(SALU_CYCLE_1)
	s_or_b32 exec_lo, exec_lo, s17
.LBB357_682:                            ;   in Loop: Header=BB357_15 Depth=1
	s_delay_alu instid0(SALU_CYCLE_1) | instskip(NEXT) | instid1(SALU_CYCLE_1)
	s_or_b32 exec_lo, exec_lo, s16
	s_mov_b32 s16, exec_lo
	v_cmpx_lt_u32_e32 0xffffff, v0
	s_cbranch_execz .LBB357_690
; %bb.683:                              ;   in Loop: Header=BB357_15 Depth=1
	v_lshrrev_b32_e32 v4, 24, v0
	v_bfrev_b32_e32 v2, 1
	s_mov_b32 s17, exec_lo
	scratch_store_b32 off, v2, s32 offset:672 ; 4-byte Folded Spill
	s_wait_xcnt 0x0
	v_cmpx_ne_u32_e32 0x80, v4
	s_cbranch_execz .LBB357_689
; %bb.684:                              ;   in Loop: Header=BB357_15 Depth=1
	v_bfe_u32 v2, v0, 24, 7
	v_mov_b32_e32 v3, 0x7f800001
	s_mov_b32 s18, exec_lo
	scratch_store_b32 off, v3, s32 offset:672 ; 4-byte Folded Spill
	s_wait_xcnt 0x0
	v_cmpx_ne_u32_e32 0x7f, v2
	s_cbranch_execz .LBB357_688
; %bb.685:                              ;   in Loop: Header=BB357_15 Depth=1
	v_dual_lshrrev_b32 v5, 3, v2 :: v_dual_bitop2_b32 v24, 7, v4 bitop3:0x40
	v_cmp_gt_u32_e64 s1, 8, v2
	s_delay_alu instid0(VALU_DEP_2)
	v_mov_b64_e32 v[2:3], v[24:25]
	s_and_saveexec_b32 s19, s1
; %bb.686:                              ;   in Loop: Header=BB357_15 Depth=1
	v_clz_i32_u32_e32 v2, v24
	s_delay_alu instid0(VALU_DEP_1) | instskip(NEXT) | instid1(VALU_DEP_1)
	v_min_u32_e32 v5, 32, v2
	v_subrev_nc_u32_e32 v2, 28, v5
	s_delay_alu instid0(VALU_DEP_1) | instskip(NEXT) | instid1(VALU_DEP_1)
	v_lshlrev_b64_e32 v[2:3], v2, v[24:25]
	v_dual_sub_nc_u32 v5, 29, v5 :: v_dual_bitop2_b32 v2, 7, v2 bitop3:0x40
; %bb.687:                              ;   in Loop: Header=BB357_15 Depth=1
	s_or_b32 exec_lo, exec_lo, s19
	s_delay_alu instid0(VALU_DEP_1) | instskip(NEXT) | instid1(VALU_DEP_2)
	v_dual_lshlrev_b32 v3, 24, v4 :: v_dual_lshlrev_b32 v2, 20, v2
	v_lshl_add_u32 v4, v5, 23, 0x3c000000
	s_delay_alu instid0(VALU_DEP_2) | instskip(NEXT) | instid1(VALU_DEP_1)
	v_and_b32_e32 v3, 0x80000000, v3
	v_or3_b32 v2, v2, v3, v4
	scratch_store_b32 off, v2, s32 offset:672 ; 4-byte Folded Spill
.LBB357_688:                            ;   in Loop: Header=BB357_15 Depth=1
	s_wait_xcnt 0x0
	s_or_b32 exec_lo, exec_lo, s18
.LBB357_689:                            ;   in Loop: Header=BB357_15 Depth=1
	s_delay_alu instid0(SALU_CYCLE_1)
	s_or_b32 exec_lo, exec_lo, s17
.LBB357_690:                            ;   in Loop: Header=BB357_15 Depth=1
	s_delay_alu instid0(SALU_CYCLE_1)
	s_or_b32 exec_lo, exec_lo, s16
	v_dual_mov_b32 v24, v1 :: v_dual_mov_b32 v3, 0
	v_and_b32_e32 v2, 0xff, v1
	s_mov_b32 s16, exec_lo
	scratch_store_b32 off, v3, s32 offset:680 ; 4-byte Folded Spill
	s_wait_xcnt 0x0
	v_mov_b32_e32 v3, 0
	scratch_store_b32 off, v3, s32 offset:676 ; 4-byte Folded Spill
	s_wait_xcnt 0x0
	v_cmpx_ne_u16_e32 0, v2
	s_cbranch_execz .LBB357_698
; %bb.691:                              ;   in Loop: Header=BB357_15 Depth=1
	v_cmp_ne_u16_e64 s1, 0x80, v2
	v_bfrev_b32_e32 v2, 1
	scratch_store_b32 off, v2, s32 offset:676 ; 4-byte Folded Spill
	s_wait_xcnt 0x0
	s_and_saveexec_b32 s17, s1
	s_cbranch_execz .LBB357_697
; %bb.692:                              ;   in Loop: Header=BB357_15 Depth=1
	v_and_b32_e32 v2, 0x7f, v1
	v_mov_b32_e32 v3, 0x7f800001
	s_mov_b32 s18, exec_lo
	scratch_store_b32 off, v3, s32 offset:676 ; 4-byte Folded Spill
	s_wait_xcnt 0x0
	v_cmpx_ne_u32_e32 0x7f, v2
	s_cbranch_execz .LBB357_696
; %bb.693:                              ;   in Loop: Header=BB357_15 Depth=1
	v_lshrrev_b32_e32 v4, 3, v2
	v_cmp_gt_u32_e64 s1, 8, v2
	v_mov_b64_e32 v[2:3], v[24:25]
	s_and_saveexec_b32 s19, s1
; %bb.694:                              ;   in Loop: Header=BB357_15 Depth=1
	v_and_b32_e32 v2, 7, v1
	s_delay_alu instid0(VALU_DEP_1) | instskip(NEXT) | instid1(VALU_DEP_1)
	v_clz_i32_u32_e32 v2, v2
	v_min_u32_e32 v4, 32, v2
	s_delay_alu instid0(VALU_DEP_1) | instskip(SKIP_1) | instid1(VALU_DEP_2)
	v_subrev_nc_u32_e32 v2, 28, v4
	v_sub_nc_u32_e32 v4, 29, v4
	v_lshlrev_b64_e32 v[2:3], v2, v[24:25]
; %bb.695:                              ;   in Loop: Header=BB357_15 Depth=1
	s_or_b32 exec_lo, exec_lo, s19
	s_delay_alu instid0(VALU_DEP_1) | instskip(NEXT) | instid1(VALU_DEP_3)
	v_dual_lshlrev_b32 v2, 20, v2 :: v_dual_lshlrev_b32 v3, 24, v24
	v_lshl_add_u32 v4, v4, 23, 0x3c000000
	s_delay_alu instid0(VALU_DEP_2) | instskip(NEXT) | instid1(VALU_DEP_3)
	v_and_b32_e32 v2, 0x700000, v2
	v_and_b32_e32 v3, 0x80000000, v3
	s_delay_alu instid0(VALU_DEP_1)
	v_or3_b32 v2, v2, v3, v4
	scratch_store_b32 off, v2, s32 offset:676 ; 4-byte Folded Spill
.LBB357_696:                            ;   in Loop: Header=BB357_15 Depth=1
	s_wait_xcnt 0x0
	s_or_b32 exec_lo, exec_lo, s18
.LBB357_697:                            ;   in Loop: Header=BB357_15 Depth=1
	s_delay_alu instid0(SALU_CYCLE_1)
	s_or_b32 exec_lo, exec_lo, s17
.LBB357_698:                            ;   in Loop: Header=BB357_15 Depth=1
	s_delay_alu instid0(SALU_CYCLE_1) | instskip(SKIP_2) | instid1(VALU_DEP_1)
	s_or_b32 exec_lo, exec_lo, s16
	v_lshrrev_b16 v2, 8, v24
	s_mov_b32 s16, exec_lo
	v_cmpx_ne_u16_e32 0, v2
	s_cbranch_execz .LBB357_706
; %bb.699:                              ;   in Loop: Header=BB357_15 Depth=1
	v_bfrev_b32_e32 v3, 1
	s_mov_b32 s17, exec_lo
	scratch_store_b32 off, v3, s32 offset:680 ; 4-byte Folded Spill
	s_wait_xcnt 0x0
	v_cmpx_ne_u16_e32 0x80, v2
	s_cbranch_execz .LBB357_705
; %bb.700:                              ;   in Loop: Header=BB357_15 Depth=1
	v_and_b32_e32 v2, 0xffff, v2
	v_mov_b32_e32 v3, 0x7f800001
	s_mov_b32 s18, exec_lo
	s_delay_alu instid0(VALU_DEP_2)
	v_and_b32_e32 v5, 0x7f, v2
	scratch_store_b32 off, v3, s32 offset:680 ; 4-byte Folded Spill
	s_wait_xcnt 0x0
	v_cmpx_ne_u32_e32 0x7f, v5
	s_cbranch_execz .LBB357_704
; %bb.701:                              ;   in Loop: Header=BB357_15 Depth=1
	v_dual_mov_b32 v3, v25 :: v_dual_bitop2_b32 v2, 7, v2 bitop3:0x40
	v_lshrrev_b32_e32 v4, 3, v5
	s_mov_b32 s19, exec_lo
	v_cmpx_gt_u32_e32 8, v5
; %bb.702:                              ;   in Loop: Header=BB357_15 Depth=1
	s_delay_alu instid0(VALU_DEP_3) | instskip(NEXT) | instid1(VALU_DEP_1)
	v_clz_i32_u32_e32 v4, v2
	v_min_u32_e32 v4, 32, v4
	s_delay_alu instid0(VALU_DEP_1) | instskip(NEXT) | instid1(VALU_DEP_1)
	v_subrev_nc_u32_e32 v5, 28, v4
	v_lshlrev_b64_e32 v[2:3], v5, v[2:3]
	s_delay_alu instid0(VALU_DEP_1)
	v_dual_sub_nc_u32 v4, 29, v4 :: v_dual_bitop2_b32 v2, 7, v2 bitop3:0x40
; %bb.703:                              ;   in Loop: Header=BB357_15 Depth=1
	s_or_b32 exec_lo, exec_lo, s19
	s_delay_alu instid0(VALU_DEP_1) | instskip(NEXT) | instid1(VALU_DEP_2)
	v_dual_lshlrev_b32 v3, 16, v24 :: v_dual_lshlrev_b32 v2, 20, v2
	v_lshl_add_u32 v4, v4, 23, 0x3c000000
	s_delay_alu instid0(VALU_DEP_2) | instskip(NEXT) | instid1(VALU_DEP_1)
	v_and_b32_e32 v3, 0x80000000, v3
	v_or3_b32 v2, v2, v3, v4
	scratch_store_b32 off, v2, s32 offset:680 ; 4-byte Folded Spill
.LBB357_704:                            ;   in Loop: Header=BB357_15 Depth=1
	s_wait_xcnt 0x0
	s_or_b32 exec_lo, exec_lo, s18
.LBB357_705:                            ;   in Loop: Header=BB357_15 Depth=1
	s_delay_alu instid0(SALU_CYCLE_1)
	s_or_b32 exec_lo, exec_lo, s17
.LBB357_706:                            ;   in Loop: Header=BB357_15 Depth=1
	s_delay_alu instid0(SALU_CYCLE_1) | instskip(SKIP_2) | instid1(VALU_DEP_1)
	s_or_b32 exec_lo, exec_lo, s16
	v_dual_mov_b32 v3, 0 :: v_dual_lshrrev_b32 v4, 16, v1
	s_mov_b32 s16, exec_lo
	v_and_b32_e32 v2, 0xff, v4
	scratch_store_b32 off, v3, s32 offset:752 ; 4-byte Folded Spill
	s_wait_xcnt 0x0
	v_mov_b32_e32 v3, 0
	scratch_store_b32 off, v3, s32 offset:684 ; 4-byte Folded Spill
	s_wait_xcnt 0x0
	v_cmpx_ne_u16_e32 0, v2
	s_cbranch_execz .LBB357_714
; %bb.707:                              ;   in Loop: Header=BB357_15 Depth=1
	v_cmp_ne_u16_e64 s1, 0x80, v2
	v_bfrev_b32_e32 v2, 1
	scratch_store_b32 off, v2, s32 offset:684 ; 4-byte Folded Spill
	s_wait_xcnt 0x0
	s_and_saveexec_b32 s17, s1
	s_cbranch_execz .LBB357_713
; %bb.708:                              ;   in Loop: Header=BB357_15 Depth=1
	v_bfe_u32 v2, v1, 16, 7
	v_mov_b32_e32 v3, 0x7f800001
	s_mov_b32 s18, exec_lo
	scratch_store_b32 off, v3, s32 offset:684 ; 4-byte Folded Spill
	s_wait_xcnt 0x0
	v_cmpx_ne_u32_e32 0x7f, v2
	s_cbranch_execz .LBB357_712
; %bb.709:                              ;   in Loop: Header=BB357_15 Depth=1
	v_dual_lshrrev_b32 v5, 3, v2 :: v_dual_bitop2_b32 v24, 7, v4 bitop3:0x40
	v_cmp_gt_u32_e64 s1, 8, v2
	s_delay_alu instid0(VALU_DEP_2)
	v_mov_b64_e32 v[2:3], v[24:25]
	s_and_saveexec_b32 s19, s1
; %bb.710:                              ;   in Loop: Header=BB357_15 Depth=1
	v_clz_i32_u32_e32 v2, v24
	s_delay_alu instid0(VALU_DEP_1) | instskip(NEXT) | instid1(VALU_DEP_1)
	v_min_u32_e32 v5, 32, v2
	v_subrev_nc_u32_e32 v2, 28, v5
	s_delay_alu instid0(VALU_DEP_1) | instskip(NEXT) | instid1(VALU_DEP_1)
	v_lshlrev_b64_e32 v[2:3], v2, v[24:25]
	v_dual_sub_nc_u32 v5, 29, v5 :: v_dual_bitop2_b32 v2, 7, v2 bitop3:0x40
; %bb.711:                              ;   in Loop: Header=BB357_15 Depth=1
	s_or_b32 exec_lo, exec_lo, s19
	s_delay_alu instid0(VALU_DEP_1) | instskip(NEXT) | instid1(VALU_DEP_2)
	v_dual_lshlrev_b32 v3, 24, v4 :: v_dual_lshlrev_b32 v2, 20, v2
	v_lshl_add_u32 v4, v5, 23, 0x3c000000
	s_delay_alu instid0(VALU_DEP_2) | instskip(NEXT) | instid1(VALU_DEP_1)
	v_and_b32_e32 v3, 0x80000000, v3
	v_or3_b32 v2, v2, v3, v4
	scratch_store_b32 off, v2, s32 offset:684 ; 4-byte Folded Spill
.LBB357_712:                            ;   in Loop: Header=BB357_15 Depth=1
	s_wait_xcnt 0x0
	s_or_b32 exec_lo, exec_lo, s18
.LBB357_713:                            ;   in Loop: Header=BB357_15 Depth=1
	s_delay_alu instid0(SALU_CYCLE_1)
	s_or_b32 exec_lo, exec_lo, s17
.LBB357_714:                            ;   in Loop: Header=BB357_15 Depth=1
	s_delay_alu instid0(SALU_CYCLE_1) | instskip(NEXT) | instid1(SALU_CYCLE_1)
	s_or_b32 exec_lo, exec_lo, s16
	s_mov_b32 s16, exec_lo
	v_cmpx_lt_u64_e64 s[8:9], v[0:1]
	s_cbranch_execz .LBB357_722
; %bb.715:                              ;   in Loop: Header=BB357_15 Depth=1
	v_lshrrev_b32_e32 v2, 24, v1
	v_bfrev_b32_e32 v0, 1
	s_mov_b32 s17, exec_lo
	scratch_store_b32 off, v0, s32 offset:752 ; 4-byte Folded Spill
	s_wait_xcnt 0x0
	v_cmpx_ne_u32_e32 0x80, v2
	s_cbranch_execz .LBB357_721
; %bb.716:                              ;   in Loop: Header=BB357_15 Depth=1
	v_bfe_u32 v0, v1, 24, 7
	v_mov_b32_e32 v1, 0x7f800001
	s_mov_b32 s18, exec_lo
	s_delay_alu instid0(VALU_DEP_2)
	v_cmpx_ne_u32_e32 0x7f, v0
	s_cbranch_execz .LBB357_720
; %bb.717:                              ;   in Loop: Header=BB357_15 Depth=1
	v_dual_lshrrev_b32 v3, 3, v0 :: v_dual_bitop2_b32 v24, 7, v2 bitop3:0x40
	v_cmp_gt_u32_e64 s1, 8, v0
	s_delay_alu instid0(VALU_DEP_2)
	v_mov_b64_e32 v[0:1], v[24:25]
	s_and_saveexec_b32 s19, s1
; %bb.718:                              ;   in Loop: Header=BB357_15 Depth=1
	v_clz_i32_u32_e32 v0, v24
	s_delay_alu instid0(VALU_DEP_1) | instskip(NEXT) | instid1(VALU_DEP_1)
	v_min_u32_e32 v3, 32, v0
	v_subrev_nc_u32_e32 v0, 28, v3
	s_delay_alu instid0(VALU_DEP_1) | instskip(NEXT) | instid1(VALU_DEP_1)
	v_lshlrev_b64_e32 v[0:1], v0, v[24:25]
	v_dual_sub_nc_u32 v3, 29, v3 :: v_dual_bitop2_b32 v0, 7, v0 bitop3:0x40
; %bb.719:                              ;   in Loop: Header=BB357_15 Depth=1
	s_or_b32 exec_lo, exec_lo, s19
	s_delay_alu instid0(VALU_DEP_1) | instskip(NEXT) | instid1(VALU_DEP_2)
	v_dual_lshlrev_b32 v1, 24, v2 :: v_dual_lshlrev_b32 v0, 20, v0
	v_lshl_add_u32 v2, v3, 23, 0x3c000000
	s_delay_alu instid0(VALU_DEP_2) | instskip(NEXT) | instid1(VALU_DEP_1)
	v_and_b32_e32 v1, 0x80000000, v1
	v_or3_b32 v1, v0, v1, v2
.LBB357_720:                            ;   in Loop: Header=BB357_15 Depth=1
	s_or_b32 exec_lo, exec_lo, s18
	scratch_store_b32 off, v1, s32 offset:752 ; 4-byte Folded Spill
.LBB357_721:                            ;   in Loop: Header=BB357_15 Depth=1
	s_wait_xcnt 0x0
	s_or_b32 exec_lo, exec_lo, s17
.LBB357_722:                            ;   in Loop: Header=BB357_15 Depth=1
	s_delay_alu instid0(SALU_CYCLE_1)
	s_or_b32 exec_lo, exec_lo, s16
	flat_load_b64 v[0:1], v[102:103] offset:2568
	v_mov_b32_e32 v3, 0
	s_mov_b32 s16, exec_lo
	scratch_store_b32 off, v3, s32 offset:692 ; 4-byte Folded Spill
	s_wait_xcnt 0x0
	v_mov_b32_e32 v3, 0
	scratch_store_b32 off, v3, s32 offset:688 ; 4-byte Folded Spill
	s_wait_loadcnt_dscnt 0x0
	v_and_b32_e32 v2, 0xff, v0
	s_wait_xcnt 0x0
	s_delay_alu instid0(VALU_DEP_1)
	v_cmpx_ne_u16_e32 0, v2
	s_cbranch_execz .LBB357_730
; %bb.723:                              ;   in Loop: Header=BB357_15 Depth=1
	v_cmp_ne_u16_e64 s1, 0x80, v2
	v_bfrev_b32_e32 v2, 1
	scratch_store_b32 off, v2, s32 offset:688 ; 4-byte Folded Spill
	s_wait_xcnt 0x0
	s_and_saveexec_b32 s17, s1
	s_cbranch_execz .LBB357_729
; %bb.724:                              ;   in Loop: Header=BB357_15 Depth=1
	v_and_b32_e32 v2, 0x7f, v0
	v_mov_b32_e32 v3, 0x7f800001
	s_mov_b32 s18, exec_lo
	scratch_store_b32 off, v3, s32 offset:688 ; 4-byte Folded Spill
	s_wait_xcnt 0x0
	v_cmpx_ne_u32_e32 0x7f, v2
	s_cbranch_execz .LBB357_728
; %bb.725:                              ;   in Loop: Header=BB357_15 Depth=1
	v_lshrrev_b32_e32 v4, 3, v2
	v_cmp_gt_u32_e64 s1, 8, v2
	v_mov_b64_e32 v[2:3], v[0:1]
	s_and_saveexec_b32 s19, s1
; %bb.726:                              ;   in Loop: Header=BB357_15 Depth=1
	v_and_b32_e32 v2, 7, v0
	s_delay_alu instid0(VALU_DEP_1) | instskip(NEXT) | instid1(VALU_DEP_1)
	v_clz_i32_u32_e32 v2, v2
	v_min_u32_e32 v4, 32, v2
	s_delay_alu instid0(VALU_DEP_1) | instskip(SKIP_1) | instid1(VALU_DEP_2)
	v_subrev_nc_u32_e32 v2, 28, v4
	v_sub_nc_u32_e32 v4, 29, v4
	v_lshlrev_b64_e32 v[2:3], v2, v[0:1]
; %bb.727:                              ;   in Loop: Header=BB357_15 Depth=1
	s_or_b32 exec_lo, exec_lo, s19
	s_delay_alu instid0(VALU_DEP_1) | instskip(NEXT) | instid1(VALU_DEP_3)
	v_dual_lshlrev_b32 v2, 20, v2 :: v_dual_lshlrev_b32 v3, 24, v0
	v_lshl_add_u32 v4, v4, 23, 0x3c000000
	s_delay_alu instid0(VALU_DEP_2) | instskip(NEXT) | instid1(VALU_DEP_3)
	v_and_b32_e32 v2, 0x700000, v2
	v_and_b32_e32 v3, 0x80000000, v3
	s_delay_alu instid0(VALU_DEP_1)
	v_or3_b32 v2, v2, v3, v4
	scratch_store_b32 off, v2, s32 offset:688 ; 4-byte Folded Spill
.LBB357_728:                            ;   in Loop: Header=BB357_15 Depth=1
	s_wait_xcnt 0x0
	s_or_b32 exec_lo, exec_lo, s18
.LBB357_729:                            ;   in Loop: Header=BB357_15 Depth=1
	s_delay_alu instid0(SALU_CYCLE_1)
	s_or_b32 exec_lo, exec_lo, s17
.LBB357_730:                            ;   in Loop: Header=BB357_15 Depth=1
	s_delay_alu instid0(SALU_CYCLE_1) | instskip(SKIP_2) | instid1(VALU_DEP_1)
	s_or_b32 exec_lo, exec_lo, s16
	v_lshrrev_b16 v2, 8, v0
	s_mov_b32 s16, exec_lo
	v_cmpx_ne_u16_e32 0, v2
	s_cbranch_execz .LBB357_738
; %bb.731:                              ;   in Loop: Header=BB357_15 Depth=1
	v_bfrev_b32_e32 v3, 1
	s_mov_b32 s17, exec_lo
	scratch_store_b32 off, v3, s32 offset:692 ; 4-byte Folded Spill
	s_wait_xcnt 0x0
	v_cmpx_ne_u16_e32 0x80, v2
	s_cbranch_execz .LBB357_737
; %bb.732:                              ;   in Loop: Header=BB357_15 Depth=1
	v_and_b32_e32 v3, 0xffff, v2
	v_mov_b32_e32 v4, 0x7f800001
	s_mov_b32 s18, exec_lo
	s_delay_alu instid0(VALU_DEP_2)
	v_and_b32_e32 v2, 0x7f, v3
	scratch_store_b32 off, v4, s32 offset:692 ; 4-byte Folded Spill
	s_wait_xcnt 0x0
	v_cmpx_ne_u32_e32 0x7f, v2
	s_cbranch_execz .LBB357_736
; %bb.733:                              ;   in Loop: Header=BB357_15 Depth=1
	v_dual_lshrrev_b32 v4, 3, v2 :: v_dual_bitop2_b32 v24, 7, v3 bitop3:0x40
	v_cmp_gt_u32_e64 s1, 8, v2
	s_delay_alu instid0(VALU_DEP_2)
	v_mov_b64_e32 v[2:3], v[24:25]
	s_and_saveexec_b32 s19, s1
; %bb.734:                              ;   in Loop: Header=BB357_15 Depth=1
	v_clz_i32_u32_e32 v2, v24
	s_delay_alu instid0(VALU_DEP_1) | instskip(NEXT) | instid1(VALU_DEP_1)
	v_min_u32_e32 v4, 32, v2
	v_subrev_nc_u32_e32 v2, 28, v4
	s_delay_alu instid0(VALU_DEP_1) | instskip(NEXT) | instid1(VALU_DEP_1)
	v_lshlrev_b64_e32 v[2:3], v2, v[24:25]
	v_dual_sub_nc_u32 v4, 29, v4 :: v_dual_bitop2_b32 v2, 7, v2 bitop3:0x40
; %bb.735:                              ;   in Loop: Header=BB357_15 Depth=1
	s_or_b32 exec_lo, exec_lo, s19
	s_delay_alu instid0(VALU_DEP_1) | instskip(NEXT) | instid1(VALU_DEP_2)
	v_dual_lshlrev_b32 v3, 16, v0 :: v_dual_lshlrev_b32 v2, 20, v2
	v_lshl_add_u32 v4, v4, 23, 0x3c000000
	s_delay_alu instid0(VALU_DEP_2) | instskip(NEXT) | instid1(VALU_DEP_1)
	v_and_b32_e32 v3, 0x80000000, v3
	v_or3_b32 v2, v2, v3, v4
	scratch_store_b32 off, v2, s32 offset:692 ; 4-byte Folded Spill
.LBB357_736:                            ;   in Loop: Header=BB357_15 Depth=1
	s_wait_xcnt 0x0
	s_or_b32 exec_lo, exec_lo, s18
.LBB357_737:                            ;   in Loop: Header=BB357_15 Depth=1
	s_delay_alu instid0(SALU_CYCLE_1)
	s_or_b32 exec_lo, exec_lo, s17
.LBB357_738:                            ;   in Loop: Header=BB357_15 Depth=1
	s_delay_alu instid0(SALU_CYCLE_1) | instskip(SKIP_2) | instid1(VALU_DEP_1)
	s_or_b32 exec_lo, exec_lo, s16
	v_dual_mov_b32 v3, 0 :: v_dual_lshrrev_b32 v4, 16, v0
	s_mov_b32 s16, exec_lo
	v_and_b32_e32 v2, 0xff, v4
	scratch_store_b32 off, v3, s32 offset:700 ; 4-byte Folded Spill
	s_wait_xcnt 0x0
	v_mov_b32_e32 v3, 0
	scratch_store_b32 off, v3, s32 offset:696 ; 4-byte Folded Spill
	s_wait_xcnt 0x0
	v_cmpx_ne_u16_e32 0, v2
	s_cbranch_execz .LBB357_746
; %bb.739:                              ;   in Loop: Header=BB357_15 Depth=1
	v_cmp_ne_u16_e64 s1, 0x80, v2
	v_bfrev_b32_e32 v2, 1
	scratch_store_b32 off, v2, s32 offset:696 ; 4-byte Folded Spill
	s_wait_xcnt 0x0
	s_and_saveexec_b32 s17, s1
	s_cbranch_execz .LBB357_745
; %bb.740:                              ;   in Loop: Header=BB357_15 Depth=1
	v_bfe_u32 v2, v0, 16, 7
	v_mov_b32_e32 v3, 0x7f800001
	s_mov_b32 s18, exec_lo
	scratch_store_b32 off, v3, s32 offset:696 ; 4-byte Folded Spill
	s_wait_xcnt 0x0
	v_cmpx_ne_u32_e32 0x7f, v2
	s_cbranch_execz .LBB357_744
; %bb.741:                              ;   in Loop: Header=BB357_15 Depth=1
	v_dual_lshrrev_b32 v5, 3, v2 :: v_dual_bitop2_b32 v24, 7, v4 bitop3:0x40
	v_cmp_gt_u32_e64 s1, 8, v2
	s_delay_alu instid0(VALU_DEP_2)
	v_mov_b64_e32 v[2:3], v[24:25]
	s_and_saveexec_b32 s19, s1
; %bb.742:                              ;   in Loop: Header=BB357_15 Depth=1
	v_clz_i32_u32_e32 v2, v24
	s_delay_alu instid0(VALU_DEP_1) | instskip(NEXT) | instid1(VALU_DEP_1)
	v_min_u32_e32 v5, 32, v2
	v_subrev_nc_u32_e32 v2, 28, v5
	s_delay_alu instid0(VALU_DEP_1) | instskip(NEXT) | instid1(VALU_DEP_1)
	v_lshlrev_b64_e32 v[2:3], v2, v[24:25]
	v_dual_sub_nc_u32 v5, 29, v5 :: v_dual_bitop2_b32 v2, 7, v2 bitop3:0x40
; %bb.743:                              ;   in Loop: Header=BB357_15 Depth=1
	s_or_b32 exec_lo, exec_lo, s19
	s_delay_alu instid0(VALU_DEP_1) | instskip(NEXT) | instid1(VALU_DEP_2)
	v_dual_lshlrev_b32 v3, 24, v4 :: v_dual_lshlrev_b32 v2, 20, v2
	v_lshl_add_u32 v4, v5, 23, 0x3c000000
	s_delay_alu instid0(VALU_DEP_2) | instskip(NEXT) | instid1(VALU_DEP_1)
	v_and_b32_e32 v3, 0x80000000, v3
	v_or3_b32 v2, v2, v3, v4
	scratch_store_b32 off, v2, s32 offset:696 ; 4-byte Folded Spill
.LBB357_744:                            ;   in Loop: Header=BB357_15 Depth=1
	s_wait_xcnt 0x0
	s_or_b32 exec_lo, exec_lo, s18
.LBB357_745:                            ;   in Loop: Header=BB357_15 Depth=1
	s_delay_alu instid0(SALU_CYCLE_1)
	s_or_b32 exec_lo, exec_lo, s17
.LBB357_746:                            ;   in Loop: Header=BB357_15 Depth=1
	s_delay_alu instid0(SALU_CYCLE_1) | instskip(NEXT) | instid1(SALU_CYCLE_1)
	s_or_b32 exec_lo, exec_lo, s16
	s_mov_b32 s16, exec_lo
	v_cmpx_lt_u32_e32 0xffffff, v0
	s_cbranch_execz .LBB357_754
; %bb.747:                              ;   in Loop: Header=BB357_15 Depth=1
	v_lshrrev_b32_e32 v4, 24, v0
	v_bfrev_b32_e32 v2, 1
	s_mov_b32 s17, exec_lo
	scratch_store_b32 off, v2, s32 offset:700 ; 4-byte Folded Spill
	s_wait_xcnt 0x0
	v_cmpx_ne_u32_e32 0x80, v4
	s_cbranch_execz .LBB357_753
; %bb.748:                              ;   in Loop: Header=BB357_15 Depth=1
	v_bfe_u32 v2, v0, 24, 7
	v_mov_b32_e32 v3, 0x7f800001
	s_mov_b32 s18, exec_lo
	scratch_store_b32 off, v3, s32 offset:700 ; 4-byte Folded Spill
	s_wait_xcnt 0x0
	v_cmpx_ne_u32_e32 0x7f, v2
	s_cbranch_execz .LBB357_752
; %bb.749:                              ;   in Loop: Header=BB357_15 Depth=1
	v_dual_lshrrev_b32 v5, 3, v2 :: v_dual_bitop2_b32 v24, 7, v4 bitop3:0x40
	v_cmp_gt_u32_e64 s1, 8, v2
	s_delay_alu instid0(VALU_DEP_2)
	v_mov_b64_e32 v[2:3], v[24:25]
	s_and_saveexec_b32 s19, s1
; %bb.750:                              ;   in Loop: Header=BB357_15 Depth=1
	v_clz_i32_u32_e32 v2, v24
	s_delay_alu instid0(VALU_DEP_1) | instskip(NEXT) | instid1(VALU_DEP_1)
	v_min_u32_e32 v5, 32, v2
	v_subrev_nc_u32_e32 v2, 28, v5
	s_delay_alu instid0(VALU_DEP_1) | instskip(NEXT) | instid1(VALU_DEP_1)
	v_lshlrev_b64_e32 v[2:3], v2, v[24:25]
	v_dual_sub_nc_u32 v5, 29, v5 :: v_dual_bitop2_b32 v2, 7, v2 bitop3:0x40
; %bb.751:                              ;   in Loop: Header=BB357_15 Depth=1
	s_or_b32 exec_lo, exec_lo, s19
	s_delay_alu instid0(VALU_DEP_1) | instskip(NEXT) | instid1(VALU_DEP_2)
	v_dual_lshlrev_b32 v3, 24, v4 :: v_dual_lshlrev_b32 v2, 20, v2
	v_lshl_add_u32 v4, v5, 23, 0x3c000000
	s_delay_alu instid0(VALU_DEP_2) | instskip(NEXT) | instid1(VALU_DEP_1)
	v_and_b32_e32 v3, 0x80000000, v3
	v_or3_b32 v2, v2, v3, v4
	scratch_store_b32 off, v2, s32 offset:700 ; 4-byte Folded Spill
.LBB357_752:                            ;   in Loop: Header=BB357_15 Depth=1
	s_wait_xcnt 0x0
	s_or_b32 exec_lo, exec_lo, s18
.LBB357_753:                            ;   in Loop: Header=BB357_15 Depth=1
	s_delay_alu instid0(SALU_CYCLE_1)
	s_or_b32 exec_lo, exec_lo, s17
.LBB357_754:                            ;   in Loop: Header=BB357_15 Depth=1
	s_delay_alu instid0(SALU_CYCLE_1)
	s_or_b32 exec_lo, exec_lo, s16
	v_dual_mov_b32 v24, v1 :: v_dual_mov_b32 v3, 0
	v_and_b32_e32 v2, 0xff, v1
	s_mov_b32 s16, exec_lo
	scratch_store_b32 off, v3, s32 offset:708 ; 4-byte Folded Spill
	s_wait_xcnt 0x0
	v_mov_b32_e32 v3, 0
	scratch_store_b32 off, v3, s32 offset:704 ; 4-byte Folded Spill
	s_wait_xcnt 0x0
	v_cmpx_ne_u16_e32 0, v2
	s_cbranch_execz .LBB357_762
; %bb.755:                              ;   in Loop: Header=BB357_15 Depth=1
	v_cmp_ne_u16_e64 s1, 0x80, v2
	v_bfrev_b32_e32 v2, 1
	scratch_store_b32 off, v2, s32 offset:704 ; 4-byte Folded Spill
	s_wait_xcnt 0x0
	s_and_saveexec_b32 s17, s1
	s_cbranch_execz .LBB357_761
; %bb.756:                              ;   in Loop: Header=BB357_15 Depth=1
	v_and_b32_e32 v2, 0x7f, v1
	v_mov_b32_e32 v3, 0x7f800001
	s_mov_b32 s18, exec_lo
	scratch_store_b32 off, v3, s32 offset:704 ; 4-byte Folded Spill
	s_wait_xcnt 0x0
	v_cmpx_ne_u32_e32 0x7f, v2
	s_cbranch_execz .LBB357_760
; %bb.757:                              ;   in Loop: Header=BB357_15 Depth=1
	v_lshrrev_b32_e32 v4, 3, v2
	v_cmp_gt_u32_e64 s1, 8, v2
	v_mov_b64_e32 v[2:3], v[24:25]
	s_and_saveexec_b32 s19, s1
; %bb.758:                              ;   in Loop: Header=BB357_15 Depth=1
	v_and_b32_e32 v2, 7, v1
	s_delay_alu instid0(VALU_DEP_1) | instskip(NEXT) | instid1(VALU_DEP_1)
	v_clz_i32_u32_e32 v2, v2
	v_min_u32_e32 v4, 32, v2
	s_delay_alu instid0(VALU_DEP_1) | instskip(SKIP_1) | instid1(VALU_DEP_2)
	v_subrev_nc_u32_e32 v2, 28, v4
	v_sub_nc_u32_e32 v4, 29, v4
	v_lshlrev_b64_e32 v[2:3], v2, v[24:25]
; %bb.759:                              ;   in Loop: Header=BB357_15 Depth=1
	s_or_b32 exec_lo, exec_lo, s19
	s_delay_alu instid0(VALU_DEP_1) | instskip(NEXT) | instid1(VALU_DEP_3)
	v_dual_lshlrev_b32 v2, 20, v2 :: v_dual_lshlrev_b32 v3, 24, v24
	v_lshl_add_u32 v4, v4, 23, 0x3c000000
	s_delay_alu instid0(VALU_DEP_2) | instskip(NEXT) | instid1(VALU_DEP_3)
	v_and_b32_e32 v2, 0x700000, v2
	v_and_b32_e32 v3, 0x80000000, v3
	s_delay_alu instid0(VALU_DEP_1)
	v_or3_b32 v2, v2, v3, v4
	scratch_store_b32 off, v2, s32 offset:704 ; 4-byte Folded Spill
.LBB357_760:                            ;   in Loop: Header=BB357_15 Depth=1
	s_wait_xcnt 0x0
	s_or_b32 exec_lo, exec_lo, s18
.LBB357_761:                            ;   in Loop: Header=BB357_15 Depth=1
	s_delay_alu instid0(SALU_CYCLE_1)
	s_or_b32 exec_lo, exec_lo, s17
.LBB357_762:                            ;   in Loop: Header=BB357_15 Depth=1
	s_delay_alu instid0(SALU_CYCLE_1) | instskip(SKIP_2) | instid1(VALU_DEP_1)
	s_or_b32 exec_lo, exec_lo, s16
	v_lshrrev_b16 v2, 8, v24
	s_mov_b32 s16, exec_lo
	v_cmpx_ne_u16_e32 0, v2
	s_cbranch_execz .LBB357_770
; %bb.763:                              ;   in Loop: Header=BB357_15 Depth=1
	v_bfrev_b32_e32 v3, 1
	s_mov_b32 s17, exec_lo
	scratch_store_b32 off, v3, s32 offset:708 ; 4-byte Folded Spill
	s_wait_xcnt 0x0
	v_cmpx_ne_u16_e32 0x80, v2
	s_cbranch_execz .LBB357_769
; %bb.764:                              ;   in Loop: Header=BB357_15 Depth=1
	v_and_b32_e32 v2, 0xffff, v2
	v_mov_b32_e32 v3, 0x7f800001
	s_mov_b32 s18, exec_lo
	s_delay_alu instid0(VALU_DEP_2)
	v_and_b32_e32 v5, 0x7f, v2
	scratch_store_b32 off, v3, s32 offset:708 ; 4-byte Folded Spill
	s_wait_xcnt 0x0
	v_cmpx_ne_u32_e32 0x7f, v5
	s_cbranch_execz .LBB357_768
; %bb.765:                              ;   in Loop: Header=BB357_15 Depth=1
	v_dual_mov_b32 v3, v25 :: v_dual_bitop2_b32 v2, 7, v2 bitop3:0x40
	v_lshrrev_b32_e32 v4, 3, v5
	s_mov_b32 s19, exec_lo
	v_cmpx_gt_u32_e32 8, v5
; %bb.766:                              ;   in Loop: Header=BB357_15 Depth=1
	s_delay_alu instid0(VALU_DEP_3) | instskip(NEXT) | instid1(VALU_DEP_1)
	v_clz_i32_u32_e32 v4, v2
	v_min_u32_e32 v4, 32, v4
	s_delay_alu instid0(VALU_DEP_1) | instskip(NEXT) | instid1(VALU_DEP_1)
	v_subrev_nc_u32_e32 v5, 28, v4
	v_lshlrev_b64_e32 v[2:3], v5, v[2:3]
	s_delay_alu instid0(VALU_DEP_1)
	v_dual_sub_nc_u32 v4, 29, v4 :: v_dual_bitop2_b32 v2, 7, v2 bitop3:0x40
; %bb.767:                              ;   in Loop: Header=BB357_15 Depth=1
	s_or_b32 exec_lo, exec_lo, s19
	s_delay_alu instid0(VALU_DEP_1) | instskip(NEXT) | instid1(VALU_DEP_2)
	v_dual_lshlrev_b32 v3, 16, v24 :: v_dual_lshlrev_b32 v2, 20, v2
	v_lshl_add_u32 v4, v4, 23, 0x3c000000
	s_delay_alu instid0(VALU_DEP_2) | instskip(NEXT) | instid1(VALU_DEP_1)
	v_and_b32_e32 v3, 0x80000000, v3
	v_or3_b32 v2, v2, v3, v4
	scratch_store_b32 off, v2, s32 offset:708 ; 4-byte Folded Spill
.LBB357_768:                            ;   in Loop: Header=BB357_15 Depth=1
	s_wait_xcnt 0x0
	s_or_b32 exec_lo, exec_lo, s18
.LBB357_769:                            ;   in Loop: Header=BB357_15 Depth=1
	s_delay_alu instid0(SALU_CYCLE_1)
	s_or_b32 exec_lo, exec_lo, s17
.LBB357_770:                            ;   in Loop: Header=BB357_15 Depth=1
	s_delay_alu instid0(SALU_CYCLE_1) | instskip(SKIP_2) | instid1(VALU_DEP_1)
	s_or_b32 exec_lo, exec_lo, s16
	v_dual_mov_b32 v3, 0 :: v_dual_lshrrev_b32 v4, 16, v1
	s_mov_b32 s16, exec_lo
	v_and_b32_e32 v2, 0xff, v4
	scratch_store_b32 off, v3, s32 offset:756 ; 4-byte Folded Spill
	s_wait_xcnt 0x0
	v_mov_b32_e32 v3, 0
	scratch_store_b32 off, v3, s32 offset:712 ; 4-byte Folded Spill
	s_wait_xcnt 0x0
	v_cmpx_ne_u16_e32 0, v2
	s_cbranch_execz .LBB357_778
; %bb.771:                              ;   in Loop: Header=BB357_15 Depth=1
	v_cmp_ne_u16_e64 s1, 0x80, v2
	v_bfrev_b32_e32 v2, 1
	scratch_store_b32 off, v2, s32 offset:712 ; 4-byte Folded Spill
	s_wait_xcnt 0x0
	s_and_saveexec_b32 s17, s1
	s_cbranch_execz .LBB357_777
; %bb.772:                              ;   in Loop: Header=BB357_15 Depth=1
	v_bfe_u32 v2, v1, 16, 7
	v_mov_b32_e32 v3, 0x7f800001
	s_mov_b32 s18, exec_lo
	scratch_store_b32 off, v3, s32 offset:712 ; 4-byte Folded Spill
	s_wait_xcnt 0x0
	v_cmpx_ne_u32_e32 0x7f, v2
	s_cbranch_execz .LBB357_776
; %bb.773:                              ;   in Loop: Header=BB357_15 Depth=1
	v_dual_lshrrev_b32 v5, 3, v2 :: v_dual_bitop2_b32 v24, 7, v4 bitop3:0x40
	v_cmp_gt_u32_e64 s1, 8, v2
	s_delay_alu instid0(VALU_DEP_2)
	v_mov_b64_e32 v[2:3], v[24:25]
	s_and_saveexec_b32 s19, s1
; %bb.774:                              ;   in Loop: Header=BB357_15 Depth=1
	v_clz_i32_u32_e32 v2, v24
	s_delay_alu instid0(VALU_DEP_1) | instskip(NEXT) | instid1(VALU_DEP_1)
	v_min_u32_e32 v5, 32, v2
	v_subrev_nc_u32_e32 v2, 28, v5
	s_delay_alu instid0(VALU_DEP_1) | instskip(NEXT) | instid1(VALU_DEP_1)
	v_lshlrev_b64_e32 v[2:3], v2, v[24:25]
	v_dual_sub_nc_u32 v5, 29, v5 :: v_dual_bitop2_b32 v2, 7, v2 bitop3:0x40
; %bb.775:                              ;   in Loop: Header=BB357_15 Depth=1
	s_or_b32 exec_lo, exec_lo, s19
	s_delay_alu instid0(VALU_DEP_1) | instskip(NEXT) | instid1(VALU_DEP_2)
	v_dual_lshlrev_b32 v3, 24, v4 :: v_dual_lshlrev_b32 v2, 20, v2
	v_lshl_add_u32 v4, v5, 23, 0x3c000000
	s_delay_alu instid0(VALU_DEP_2) | instskip(NEXT) | instid1(VALU_DEP_1)
	v_and_b32_e32 v3, 0x80000000, v3
	v_or3_b32 v2, v2, v3, v4
	scratch_store_b32 off, v2, s32 offset:712 ; 4-byte Folded Spill
.LBB357_776:                            ;   in Loop: Header=BB357_15 Depth=1
	s_wait_xcnt 0x0
	s_or_b32 exec_lo, exec_lo, s18
.LBB357_777:                            ;   in Loop: Header=BB357_15 Depth=1
	s_delay_alu instid0(SALU_CYCLE_1)
	s_or_b32 exec_lo, exec_lo, s17
.LBB357_778:                            ;   in Loop: Header=BB357_15 Depth=1
	s_delay_alu instid0(SALU_CYCLE_1) | instskip(NEXT) | instid1(SALU_CYCLE_1)
	s_or_b32 exec_lo, exec_lo, s16
	s_mov_b32 s16, exec_lo
	v_cmpx_lt_u64_e64 s[8:9], v[0:1]
	s_cbranch_execz .LBB357_786
; %bb.779:                              ;   in Loop: Header=BB357_15 Depth=1
	v_lshrrev_b32_e32 v2, 24, v1
	v_bfrev_b32_e32 v0, 1
	s_mov_b32 s17, exec_lo
	scratch_store_b32 off, v0, s32 offset:756 ; 4-byte Folded Spill
	s_wait_xcnt 0x0
	v_cmpx_ne_u32_e32 0x80, v2
	s_cbranch_execz .LBB357_785
; %bb.780:                              ;   in Loop: Header=BB357_15 Depth=1
	v_bfe_u32 v0, v1, 24, 7
	v_mov_b32_e32 v1, 0x7f800001
	s_mov_b32 s18, exec_lo
	s_delay_alu instid0(VALU_DEP_2)
	v_cmpx_ne_u32_e32 0x7f, v0
	s_cbranch_execz .LBB357_784
; %bb.781:                              ;   in Loop: Header=BB357_15 Depth=1
	v_dual_lshrrev_b32 v3, 3, v0 :: v_dual_bitop2_b32 v24, 7, v2 bitop3:0x40
	v_cmp_gt_u32_e64 s1, 8, v0
	s_delay_alu instid0(VALU_DEP_2)
	v_mov_b64_e32 v[0:1], v[24:25]
	s_and_saveexec_b32 s19, s1
; %bb.782:                              ;   in Loop: Header=BB357_15 Depth=1
	v_clz_i32_u32_e32 v0, v24
	s_delay_alu instid0(VALU_DEP_1) | instskip(NEXT) | instid1(VALU_DEP_1)
	v_min_u32_e32 v3, 32, v0
	v_subrev_nc_u32_e32 v0, 28, v3
	s_delay_alu instid0(VALU_DEP_1) | instskip(NEXT) | instid1(VALU_DEP_1)
	v_lshlrev_b64_e32 v[0:1], v0, v[24:25]
	v_dual_sub_nc_u32 v3, 29, v3 :: v_dual_bitop2_b32 v0, 7, v0 bitop3:0x40
; %bb.783:                              ;   in Loop: Header=BB357_15 Depth=1
	s_or_b32 exec_lo, exec_lo, s19
	s_delay_alu instid0(VALU_DEP_1) | instskip(NEXT) | instid1(VALU_DEP_2)
	v_dual_lshlrev_b32 v1, 24, v2 :: v_dual_lshlrev_b32 v0, 20, v0
	v_lshl_add_u32 v2, v3, 23, 0x3c000000
	s_delay_alu instid0(VALU_DEP_2) | instskip(NEXT) | instid1(VALU_DEP_1)
	v_and_b32_e32 v1, 0x80000000, v1
	v_or3_b32 v1, v0, v1, v2
.LBB357_784:                            ;   in Loop: Header=BB357_15 Depth=1
	s_or_b32 exec_lo, exec_lo, s18
	scratch_store_b32 off, v1, s32 offset:756 ; 4-byte Folded Spill
.LBB357_785:                            ;   in Loop: Header=BB357_15 Depth=1
	s_wait_xcnt 0x0
	s_or_b32 exec_lo, exec_lo, s17
.LBB357_786:                            ;   in Loop: Header=BB357_15 Depth=1
	s_delay_alu instid0(SALU_CYCLE_1)
	s_or_b32 exec_lo, exec_lo, s16
	flat_load_b64 v[0:1], v[102:103] offset:3072
	v_dual_mov_b32 v5, 0 :: v_dual_mov_b32 v4, 0
	s_mov_b32 s16, exec_lo
	scratch_store_b64 off, v[4:5], s32 offset:512 ; 8-byte Folded Spill
	s_wait_loadcnt_dscnt 0x0
	v_and_b32_e32 v2, 0xff, v0
	s_wait_xcnt 0x0
	s_delay_alu instid0(VALU_DEP_1)
	v_cmpx_ne_u16_e32 0, v2
	s_cbranch_execz .LBB357_794
; %bb.787:                              ;   in Loop: Header=BB357_15 Depth=1
	v_cmp_ne_u16_e64 s1, 0x80, v2
	scratch_load_b64 v[2:3], off, s32 offset:512 ; 8-byte Folded Reload
	s_wait_loadcnt 0x0
	v_bfrev_b32_e32 v2, 1
	scratch_store_b64 off, v[2:3], s32 offset:512 ; 8-byte Folded Spill
	s_wait_xcnt 0x0
	s_and_saveexec_b32 s17, s1
	s_cbranch_execz .LBB357_793
; %bb.788:                              ;   in Loop: Header=BB357_15 Depth=1
	scratch_load_b64 v[4:5], off, s32 offset:512 ; 8-byte Folded Reload
	v_and_b32_e32 v2, 0x7f, v0
	s_wait_loadcnt 0x0
	v_mov_b32_e32 v4, 0x7f800001
	s_mov_b32 s18, exec_lo
	scratch_store_b64 off, v[4:5], s32 offset:512 ; 8-byte Folded Spill
	s_wait_xcnt 0x0
	v_cmpx_ne_u32_e32 0x7f, v2
	s_cbranch_execz .LBB357_792
; %bb.789:                              ;   in Loop: Header=BB357_15 Depth=1
	v_lshrrev_b32_e32 v4, 3, v2
	v_cmp_gt_u32_e64 s1, 8, v2
	v_mov_b64_e32 v[2:3], v[0:1]
	s_and_saveexec_b32 s19, s1
; %bb.790:                              ;   in Loop: Header=BB357_15 Depth=1
	v_and_b32_e32 v2, 7, v0
	s_delay_alu instid0(VALU_DEP_1) | instskip(NEXT) | instid1(VALU_DEP_1)
	v_clz_i32_u32_e32 v2, v2
	v_min_u32_e32 v4, 32, v2
	s_delay_alu instid0(VALU_DEP_1) | instskip(SKIP_1) | instid1(VALU_DEP_2)
	v_subrev_nc_u32_e32 v2, 28, v4
	v_sub_nc_u32_e32 v4, 29, v4
	v_lshlrev_b64_e32 v[2:3], v2, v[0:1]
; %bb.791:                              ;   in Loop: Header=BB357_15 Depth=1
	s_or_b32 exec_lo, exec_lo, s19
	scratch_load_b64 v[6:7], off, s32 offset:512 ; 8-byte Folded Reload
	v_dual_lshlrev_b32 v2, 20, v2 :: v_dual_lshlrev_b32 v3, 24, v0
	v_lshl_add_u32 v4, v4, 23, 0x3c000000
	s_delay_alu instid0(VALU_DEP_2) | instskip(NEXT) | instid1(VALU_DEP_3)
	v_and_b32_e32 v2, 0x700000, v2
	v_and_b32_e32 v3, 0x80000000, v3
	s_wait_loadcnt 0x0
	s_delay_alu instid0(VALU_DEP_1)
	v_or3_b32 v6, v2, v3, v4
	scratch_store_b64 off, v[6:7], s32 offset:512 ; 8-byte Folded Spill
.LBB357_792:                            ;   in Loop: Header=BB357_15 Depth=1
	s_wait_xcnt 0x0
	s_or_b32 exec_lo, exec_lo, s18
.LBB357_793:                            ;   in Loop: Header=BB357_15 Depth=1
	s_delay_alu instid0(SALU_CYCLE_1)
	s_or_b32 exec_lo, exec_lo, s17
.LBB357_794:                            ;   in Loop: Header=BB357_15 Depth=1
	s_delay_alu instid0(SALU_CYCLE_1) | instskip(SKIP_2) | instid1(VALU_DEP_1)
	s_or_b32 exec_lo, exec_lo, s16
	v_lshrrev_b16 v2, 8, v0
	s_mov_b32 s16, exec_lo
	v_cmpx_ne_u16_e32 0, v2
	s_cbranch_execz .LBB357_802
; %bb.795:                              ;   in Loop: Header=BB357_15 Depth=1
	scratch_load_b64 v[4:5], off, s32 offset:512 ; 8-byte Folded Reload
	s_wait_loadcnt 0x0
	v_bfrev_b32_e32 v5, 1
	s_mov_b32 s17, exec_lo
	scratch_store_b64 off, v[4:5], s32 offset:512 ; 8-byte Folded Spill
	s_wait_xcnt 0x0
	v_cmpx_ne_u16_e32 0x80, v2
	s_cbranch_execz .LBB357_801
; %bb.796:                              ;   in Loop: Header=BB357_15 Depth=1
	scratch_load_b64 v[4:5], off, s32 offset:512 ; 8-byte Folded Reload
	v_and_b32_e32 v3, 0xffff, v2
	s_wait_loadcnt 0x0
	v_mov_b32_e32 v5, 0x7f800001
	s_mov_b32 s18, exec_lo
	s_delay_alu instid0(VALU_DEP_2)
	v_and_b32_e32 v2, 0x7f, v3
	scratch_store_b64 off, v[4:5], s32 offset:512 ; 8-byte Folded Spill
	s_wait_xcnt 0x0
	v_cmpx_ne_u32_e32 0x7f, v2
	s_cbranch_execz .LBB357_800
; %bb.797:                              ;   in Loop: Header=BB357_15 Depth=1
	v_dual_lshrrev_b32 v4, 3, v2 :: v_dual_bitop2_b32 v24, 7, v3 bitop3:0x40
	v_cmp_gt_u32_e64 s1, 8, v2
	s_delay_alu instid0(VALU_DEP_2)
	v_mov_b64_e32 v[2:3], v[24:25]
	s_and_saveexec_b32 s19, s1
; %bb.798:                              ;   in Loop: Header=BB357_15 Depth=1
	v_clz_i32_u32_e32 v2, v24
	s_delay_alu instid0(VALU_DEP_1) | instskip(NEXT) | instid1(VALU_DEP_1)
	v_min_u32_e32 v4, 32, v2
	v_subrev_nc_u32_e32 v2, 28, v4
	s_delay_alu instid0(VALU_DEP_1) | instskip(NEXT) | instid1(VALU_DEP_1)
	v_lshlrev_b64_e32 v[2:3], v2, v[24:25]
	v_dual_sub_nc_u32 v4, 29, v4 :: v_dual_bitop2_b32 v2, 7, v2 bitop3:0x40
; %bb.799:                              ;   in Loop: Header=BB357_15 Depth=1
	s_or_b32 exec_lo, exec_lo, s19
	scratch_load_b64 v[6:7], off, s32 offset:512 ; 8-byte Folded Reload
	v_dual_lshlrev_b32 v3, 16, v0 :: v_dual_lshlrev_b32 v2, 20, v2
	v_lshl_add_u32 v4, v4, 23, 0x3c000000
	s_delay_alu instid0(VALU_DEP_2) | instskip(SKIP_1) | instid1(VALU_DEP_1)
	v_and_b32_e32 v3, 0x80000000, v3
	s_wait_loadcnt 0x0
	v_or3_b32 v7, v2, v3, v4
	scratch_store_b64 off, v[6:7], s32 offset:512 ; 8-byte Folded Spill
.LBB357_800:                            ;   in Loop: Header=BB357_15 Depth=1
	s_wait_xcnt 0x0
	s_or_b32 exec_lo, exec_lo, s18
.LBB357_801:                            ;   in Loop: Header=BB357_15 Depth=1
	s_delay_alu instid0(SALU_CYCLE_1)
	s_or_b32 exec_lo, exec_lo, s17
.LBB357_802:                            ;   in Loop: Header=BB357_15 Depth=1
	s_delay_alu instid0(SALU_CYCLE_1) | instskip(SKIP_3) | instid1(VALU_DEP_2)
	s_or_b32 exec_lo, exec_lo, s16
	v_dual_mov_b32 v7, 0 :: v_dual_lshrrev_b32 v4, 16, v0
	v_mov_b32_e32 v6, 0
	s_mov_b32 s16, exec_lo
	v_and_b32_e32 v2, 0xff, v4
	scratch_store_b64 off, v[6:7], s32 offset:520 ; 8-byte Folded Spill
	s_wait_xcnt 0x0
	v_cmpx_ne_u16_e32 0, v2
	s_cbranch_execz .LBB357_810
; %bb.803:                              ;   in Loop: Header=BB357_15 Depth=1
	v_cmp_ne_u16_e64 s1, 0x80, v2
	scratch_load_b64 v[2:3], off, s32 offset:520 ; 8-byte Folded Reload
	s_wait_loadcnt 0x0
	v_bfrev_b32_e32 v2, 1
	scratch_store_b64 off, v[2:3], s32 offset:520 ; 8-byte Folded Spill
	s_wait_xcnt 0x0
	s_and_saveexec_b32 s17, s1
	s_cbranch_execz .LBB357_809
; %bb.804:                              ;   in Loop: Header=BB357_15 Depth=1
	scratch_load_b64 v[6:7], off, s32 offset:520 ; 8-byte Folded Reload
	v_bfe_u32 v2, v0, 16, 7
	s_wait_loadcnt 0x0
	v_mov_b32_e32 v6, 0x7f800001
	s_mov_b32 s18, exec_lo
	scratch_store_b64 off, v[6:7], s32 offset:520 ; 8-byte Folded Spill
	s_wait_xcnt 0x0
	v_cmpx_ne_u32_e32 0x7f, v2
	s_cbranch_execz .LBB357_808
; %bb.805:                              ;   in Loop: Header=BB357_15 Depth=1
	v_dual_lshrrev_b32 v5, 3, v2 :: v_dual_bitop2_b32 v24, 7, v4 bitop3:0x40
	v_cmp_gt_u32_e64 s1, 8, v2
	s_delay_alu instid0(VALU_DEP_2)
	v_mov_b64_e32 v[2:3], v[24:25]
	s_and_saveexec_b32 s19, s1
; %bb.806:                              ;   in Loop: Header=BB357_15 Depth=1
	v_clz_i32_u32_e32 v2, v24
	s_delay_alu instid0(VALU_DEP_1) | instskip(NEXT) | instid1(VALU_DEP_1)
	v_min_u32_e32 v5, 32, v2
	v_subrev_nc_u32_e32 v2, 28, v5
	s_delay_alu instid0(VALU_DEP_1) | instskip(NEXT) | instid1(VALU_DEP_1)
	v_lshlrev_b64_e32 v[2:3], v2, v[24:25]
	v_dual_sub_nc_u32 v5, 29, v5 :: v_dual_bitop2_b32 v2, 7, v2 bitop3:0x40
; %bb.807:                              ;   in Loop: Header=BB357_15 Depth=1
	s_or_b32 exec_lo, exec_lo, s19
	scratch_load_b64 v[6:7], off, s32 offset:520 ; 8-byte Folded Reload
	v_dual_lshlrev_b32 v3, 24, v4 :: v_dual_lshlrev_b32 v2, 20, v2
	v_lshl_add_u32 v4, v5, 23, 0x3c000000
	s_delay_alu instid0(VALU_DEP_2) | instskip(SKIP_1) | instid1(VALU_DEP_1)
	v_and_b32_e32 v3, 0x80000000, v3
	s_wait_loadcnt 0x0
	v_or3_b32 v6, v2, v3, v4
	scratch_store_b64 off, v[6:7], s32 offset:520 ; 8-byte Folded Spill
.LBB357_808:                            ;   in Loop: Header=BB357_15 Depth=1
	s_wait_xcnt 0x0
	s_or_b32 exec_lo, exec_lo, s18
.LBB357_809:                            ;   in Loop: Header=BB357_15 Depth=1
	s_delay_alu instid0(SALU_CYCLE_1)
	s_or_b32 exec_lo, exec_lo, s17
.LBB357_810:                            ;   in Loop: Header=BB357_15 Depth=1
	s_delay_alu instid0(SALU_CYCLE_1) | instskip(NEXT) | instid1(SALU_CYCLE_1)
	s_or_b32 exec_lo, exec_lo, s16
	s_mov_b32 s16, exec_lo
	v_cmpx_lt_u32_e32 0xffffff, v0
	s_cbranch_execz .LBB357_818
; %bb.811:                              ;   in Loop: Header=BB357_15 Depth=1
	scratch_load_b64 v[2:3], off, s32 offset:520 ; 8-byte Folded Reload
	v_lshrrev_b32_e32 v4, 24, v0
	s_wait_loadcnt 0x0
	v_bfrev_b32_e32 v3, 1
	s_mov_b32 s17, exec_lo
	scratch_store_b64 off, v[2:3], s32 offset:520 ; 8-byte Folded Spill
	s_wait_xcnt 0x0
	v_cmpx_ne_u32_e32 0x80, v4
	s_cbranch_execz .LBB357_817
; %bb.812:                              ;   in Loop: Header=BB357_15 Depth=1
	scratch_load_b64 v[6:7], off, s32 offset:520 ; 8-byte Folded Reload
	v_bfe_u32 v2, v0, 24, 7
	s_wait_loadcnt 0x0
	v_mov_b32_e32 v7, 0x7f800001
	s_mov_b32 s18, exec_lo
	scratch_store_b64 off, v[6:7], s32 offset:520 ; 8-byte Folded Spill
	s_wait_xcnt 0x0
	v_cmpx_ne_u32_e32 0x7f, v2
	s_cbranch_execz .LBB357_816
; %bb.813:                              ;   in Loop: Header=BB357_15 Depth=1
	v_dual_lshrrev_b32 v5, 3, v2 :: v_dual_bitop2_b32 v24, 7, v4 bitop3:0x40
	v_cmp_gt_u32_e64 s1, 8, v2
	s_delay_alu instid0(VALU_DEP_2)
	v_mov_b64_e32 v[2:3], v[24:25]
	s_and_saveexec_b32 s19, s1
; %bb.814:                              ;   in Loop: Header=BB357_15 Depth=1
	v_clz_i32_u32_e32 v2, v24
	s_delay_alu instid0(VALU_DEP_1) | instskip(NEXT) | instid1(VALU_DEP_1)
	v_min_u32_e32 v5, 32, v2
	v_subrev_nc_u32_e32 v2, 28, v5
	s_delay_alu instid0(VALU_DEP_1) | instskip(NEXT) | instid1(VALU_DEP_1)
	v_lshlrev_b64_e32 v[2:3], v2, v[24:25]
	v_dual_sub_nc_u32 v5, 29, v5 :: v_dual_bitop2_b32 v2, 7, v2 bitop3:0x40
; %bb.815:                              ;   in Loop: Header=BB357_15 Depth=1
	s_or_b32 exec_lo, exec_lo, s19
	scratch_load_b64 v[6:7], off, s32 offset:520 ; 8-byte Folded Reload
	v_dual_lshlrev_b32 v3, 24, v4 :: v_dual_lshlrev_b32 v2, 20, v2
	v_lshl_add_u32 v4, v5, 23, 0x3c000000
	s_delay_alu instid0(VALU_DEP_2) | instskip(SKIP_1) | instid1(VALU_DEP_1)
	v_and_b32_e32 v3, 0x80000000, v3
	s_wait_loadcnt 0x0
	v_or3_b32 v7, v2, v3, v4
	scratch_store_b64 off, v[6:7], s32 offset:520 ; 8-byte Folded Spill
.LBB357_816:                            ;   in Loop: Header=BB357_15 Depth=1
	s_wait_xcnt 0x0
	s_or_b32 exec_lo, exec_lo, s18
.LBB357_817:                            ;   in Loop: Header=BB357_15 Depth=1
	s_delay_alu instid0(SALU_CYCLE_1)
	s_or_b32 exec_lo, exec_lo, s17
.LBB357_818:                            ;   in Loop: Header=BB357_15 Depth=1
	s_delay_alu instid0(SALU_CYCLE_1)
	s_or_b32 exec_lo, exec_lo, s16
	v_and_b32_e32 v2, 0xff, v1
	v_dual_mov_b32 v24, v1 :: v_dual_mov_b32 v5, 0
	v_mov_b32_e32 v4, 0
	s_mov_b32 s16, exec_lo
	scratch_store_b64 off, v[4:5], s32 offset:528 ; 8-byte Folded Spill
	s_wait_xcnt 0x0
	v_cmpx_ne_u16_e32 0, v2
	s_cbranch_execz .LBB357_826
; %bb.819:                              ;   in Loop: Header=BB357_15 Depth=1
	v_cmp_ne_u16_e64 s1, 0x80, v2
	scratch_load_b64 v[2:3], off, s32 offset:528 ; 8-byte Folded Reload
	s_wait_loadcnt 0x0
	v_bfrev_b32_e32 v2, 1
	scratch_store_b64 off, v[2:3], s32 offset:528 ; 8-byte Folded Spill
	s_wait_xcnt 0x0
	s_and_saveexec_b32 s17, s1
	s_cbranch_execz .LBB357_825
; %bb.820:                              ;   in Loop: Header=BB357_15 Depth=1
	scratch_load_b64 v[4:5], off, s32 offset:528 ; 8-byte Folded Reload
	v_and_b32_e32 v2, 0x7f, v1
	s_wait_loadcnt 0x0
	v_mov_b32_e32 v4, 0x7f800001
	s_mov_b32 s18, exec_lo
	scratch_store_b64 off, v[4:5], s32 offset:528 ; 8-byte Folded Spill
	s_wait_xcnt 0x0
	v_cmpx_ne_u32_e32 0x7f, v2
	s_cbranch_execz .LBB357_824
; %bb.821:                              ;   in Loop: Header=BB357_15 Depth=1
	v_lshrrev_b32_e32 v4, 3, v2
	v_cmp_gt_u32_e64 s1, 8, v2
	v_mov_b64_e32 v[2:3], v[24:25]
	s_and_saveexec_b32 s19, s1
; %bb.822:                              ;   in Loop: Header=BB357_15 Depth=1
	v_and_b32_e32 v2, 7, v1
	s_delay_alu instid0(VALU_DEP_1) | instskip(NEXT) | instid1(VALU_DEP_1)
	v_clz_i32_u32_e32 v2, v2
	v_min_u32_e32 v4, 32, v2
	s_delay_alu instid0(VALU_DEP_1) | instskip(SKIP_1) | instid1(VALU_DEP_2)
	v_subrev_nc_u32_e32 v2, 28, v4
	v_sub_nc_u32_e32 v4, 29, v4
	v_lshlrev_b64_e32 v[2:3], v2, v[24:25]
; %bb.823:                              ;   in Loop: Header=BB357_15 Depth=1
	s_or_b32 exec_lo, exec_lo, s19
	scratch_load_b64 v[6:7], off, s32 offset:528 ; 8-byte Folded Reload
	v_dual_lshlrev_b32 v2, 20, v2 :: v_dual_lshlrev_b32 v3, 24, v24
	v_lshl_add_u32 v4, v4, 23, 0x3c000000
	s_delay_alu instid0(VALU_DEP_2) | instskip(NEXT) | instid1(VALU_DEP_3)
	v_and_b32_e32 v2, 0x700000, v2
	v_and_b32_e32 v3, 0x80000000, v3
	s_wait_loadcnt 0x0
	s_delay_alu instid0(VALU_DEP_1)
	v_or3_b32 v6, v2, v3, v4
	scratch_store_b64 off, v[6:7], s32 offset:528 ; 8-byte Folded Spill
.LBB357_824:                            ;   in Loop: Header=BB357_15 Depth=1
	s_wait_xcnt 0x0
	s_or_b32 exec_lo, exec_lo, s18
.LBB357_825:                            ;   in Loop: Header=BB357_15 Depth=1
	s_delay_alu instid0(SALU_CYCLE_1)
	s_or_b32 exec_lo, exec_lo, s17
.LBB357_826:                            ;   in Loop: Header=BB357_15 Depth=1
	s_delay_alu instid0(SALU_CYCLE_1) | instskip(SKIP_2) | instid1(VALU_DEP_1)
	s_or_b32 exec_lo, exec_lo, s16
	v_lshrrev_b16 v2, 8, v24
	s_mov_b32 s16, exec_lo
	v_cmpx_ne_u16_e32 0, v2
	s_cbranch_execz .LBB357_834
; %bb.827:                              ;   in Loop: Header=BB357_15 Depth=1
	scratch_load_b64 v[4:5], off, s32 offset:528 ; 8-byte Folded Reload
	s_wait_loadcnt 0x0
	v_bfrev_b32_e32 v5, 1
	s_mov_b32 s17, exec_lo
	scratch_store_b64 off, v[4:5], s32 offset:528 ; 8-byte Folded Spill
	s_wait_xcnt 0x0
	v_cmpx_ne_u16_e32 0x80, v2
	s_cbranch_execz .LBB357_833
; %bb.828:                              ;   in Loop: Header=BB357_15 Depth=1
	scratch_load_b64 v[6:7], off, s32 offset:528 ; 8-byte Folded Reload
	v_and_b32_e32 v2, 0xffff, v2
	s_wait_loadcnt 0x0
	v_mov_b32_e32 v7, 0x7f800001
	s_mov_b32 s18, exec_lo
	s_delay_alu instid0(VALU_DEP_2)
	v_and_b32_e32 v5, 0x7f, v2
	scratch_store_b64 off, v[6:7], s32 offset:528 ; 8-byte Folded Spill
	s_wait_xcnt 0x0
	v_cmpx_ne_u32_e32 0x7f, v5
	s_cbranch_execz .LBB357_832
; %bb.829:                              ;   in Loop: Header=BB357_15 Depth=1
	v_dual_mov_b32 v3, v25 :: v_dual_bitop2_b32 v2, 7, v2 bitop3:0x40
	v_lshrrev_b32_e32 v4, 3, v5
	s_mov_b32 s19, exec_lo
	v_cmpx_gt_u32_e32 8, v5
; %bb.830:                              ;   in Loop: Header=BB357_15 Depth=1
	s_delay_alu instid0(VALU_DEP_3) | instskip(NEXT) | instid1(VALU_DEP_1)
	v_clz_i32_u32_e32 v4, v2
	v_min_u32_e32 v4, 32, v4
	s_delay_alu instid0(VALU_DEP_1) | instskip(NEXT) | instid1(VALU_DEP_1)
	v_subrev_nc_u32_e32 v5, 28, v4
	v_lshlrev_b64_e32 v[2:3], v5, v[2:3]
	s_delay_alu instid0(VALU_DEP_1)
	v_dual_sub_nc_u32 v4, 29, v4 :: v_dual_bitop2_b32 v2, 7, v2 bitop3:0x40
; %bb.831:                              ;   in Loop: Header=BB357_15 Depth=1
	s_or_b32 exec_lo, exec_lo, s19
	scratch_load_b64 v[6:7], off, s32 offset:528 ; 8-byte Folded Reload
	v_dual_lshlrev_b32 v3, 16, v24 :: v_dual_lshlrev_b32 v2, 20, v2
	v_lshl_add_u32 v4, v4, 23, 0x3c000000
	s_delay_alu instid0(VALU_DEP_2) | instskip(SKIP_1) | instid1(VALU_DEP_1)
	v_and_b32_e32 v3, 0x80000000, v3
	s_wait_loadcnt 0x0
	v_or3_b32 v7, v2, v3, v4
	scratch_store_b64 off, v[6:7], s32 offset:528 ; 8-byte Folded Spill
.LBB357_832:                            ;   in Loop: Header=BB357_15 Depth=1
	s_wait_xcnt 0x0
	s_or_b32 exec_lo, exec_lo, s18
.LBB357_833:                            ;   in Loop: Header=BB357_15 Depth=1
	s_delay_alu instid0(SALU_CYCLE_1)
	s_or_b32 exec_lo, exec_lo, s17
.LBB357_834:                            ;   in Loop: Header=BB357_15 Depth=1
	s_delay_alu instid0(SALU_CYCLE_1) | instskip(SKIP_3) | instid1(VALU_DEP_2)
	s_or_b32 exec_lo, exec_lo, s16
	v_dual_mov_b32 v7, 0 :: v_dual_lshrrev_b32 v4, 16, v1
	v_mov_b32_e32 v6, 0
	s_mov_b32 s16, exec_lo
	v_and_b32_e32 v2, 0xff, v4
	scratch_store_b64 off, v[6:7], s32 offset:536 ; 8-byte Folded Spill
	s_wait_xcnt 0x0
	v_cmpx_ne_u16_e32 0, v2
	s_cbranch_execz .LBB357_842
; %bb.835:                              ;   in Loop: Header=BB357_15 Depth=1
	v_cmp_ne_u16_e64 s1, 0x80, v2
	scratch_load_b64 v[2:3], off, s32 offset:536 ; 8-byte Folded Reload
	s_wait_loadcnt 0x0
	v_bfrev_b32_e32 v2, 1
	scratch_store_b64 off, v[2:3], s32 offset:536 ; 8-byte Folded Spill
	s_wait_xcnt 0x0
	s_and_saveexec_b32 s17, s1
	s_cbranch_execz .LBB357_841
; %bb.836:                              ;   in Loop: Header=BB357_15 Depth=1
	scratch_load_b64 v[6:7], off, s32 offset:536 ; 8-byte Folded Reload
	v_bfe_u32 v2, v1, 16, 7
	s_wait_loadcnt 0x0
	v_mov_b32_e32 v6, 0x7f800001
	s_mov_b32 s18, exec_lo
	scratch_store_b64 off, v[6:7], s32 offset:536 ; 8-byte Folded Spill
	s_wait_xcnt 0x0
	v_cmpx_ne_u32_e32 0x7f, v2
	s_cbranch_execz .LBB357_840
; %bb.837:                              ;   in Loop: Header=BB357_15 Depth=1
	v_dual_lshrrev_b32 v5, 3, v2 :: v_dual_bitop2_b32 v24, 7, v4 bitop3:0x40
	v_cmp_gt_u32_e64 s1, 8, v2
	s_delay_alu instid0(VALU_DEP_2)
	v_mov_b64_e32 v[2:3], v[24:25]
	s_and_saveexec_b32 s19, s1
; %bb.838:                              ;   in Loop: Header=BB357_15 Depth=1
	v_clz_i32_u32_e32 v2, v24
	s_delay_alu instid0(VALU_DEP_1) | instskip(NEXT) | instid1(VALU_DEP_1)
	v_min_u32_e32 v5, 32, v2
	v_subrev_nc_u32_e32 v2, 28, v5
	s_delay_alu instid0(VALU_DEP_1) | instskip(NEXT) | instid1(VALU_DEP_1)
	v_lshlrev_b64_e32 v[2:3], v2, v[24:25]
	v_dual_sub_nc_u32 v5, 29, v5 :: v_dual_bitop2_b32 v2, 7, v2 bitop3:0x40
; %bb.839:                              ;   in Loop: Header=BB357_15 Depth=1
	s_or_b32 exec_lo, exec_lo, s19
	scratch_load_b64 v[6:7], off, s32 offset:536 ; 8-byte Folded Reload
	v_dual_lshlrev_b32 v3, 24, v4 :: v_dual_lshlrev_b32 v2, 20, v2
	v_lshl_add_u32 v4, v5, 23, 0x3c000000
	s_delay_alu instid0(VALU_DEP_2) | instskip(SKIP_1) | instid1(VALU_DEP_1)
	v_and_b32_e32 v3, 0x80000000, v3
	s_wait_loadcnt 0x0
	v_or3_b32 v6, v2, v3, v4
	scratch_store_b64 off, v[6:7], s32 offset:536 ; 8-byte Folded Spill
.LBB357_840:                            ;   in Loop: Header=BB357_15 Depth=1
	s_wait_xcnt 0x0
	s_or_b32 exec_lo, exec_lo, s18
.LBB357_841:                            ;   in Loop: Header=BB357_15 Depth=1
	s_delay_alu instid0(SALU_CYCLE_1)
	s_or_b32 exec_lo, exec_lo, s17
.LBB357_842:                            ;   in Loop: Header=BB357_15 Depth=1
	s_delay_alu instid0(SALU_CYCLE_1) | instskip(NEXT) | instid1(SALU_CYCLE_1)
	s_or_b32 exec_lo, exec_lo, s16
	s_mov_b32 s16, exec_lo
	v_cmpx_lt_u64_e64 s[8:9], v[0:1]
	s_cbranch_execz .LBB357_850
; %bb.843:                              ;   in Loop: Header=BB357_15 Depth=1
	scratch_load_b64 v[4:5], off, s32 offset:536 ; 8-byte Folded Reload
	v_lshrrev_b32_e32 v2, 24, v1
	s_wait_loadcnt 0x0
	v_bfrev_b32_e32 v5, 1
	s_mov_b32 s17, exec_lo
	scratch_store_b64 off, v[4:5], s32 offset:536 ; 8-byte Folded Spill
	s_wait_xcnt 0x0
	v_cmpx_ne_u32_e32 0x80, v2
	s_cbranch_execz .LBB357_849
; %bb.844:                              ;   in Loop: Header=BB357_15 Depth=1
	scratch_load_b64 v[4:5], off, s32 offset:536 ; 8-byte Folded Reload
	v_bfe_u32 v0, v1, 24, 7
	s_wait_loadcnt 0x0
	v_mov_b32_e32 v5, 0x7f800001
	s_mov_b32 s18, exec_lo
	scratch_store_b64 off, v[4:5], s32 offset:536 ; 8-byte Folded Spill
	s_wait_xcnt 0x0
	v_cmpx_ne_u32_e32 0x7f, v0
	s_cbranch_execz .LBB357_848
; %bb.845:                              ;   in Loop: Header=BB357_15 Depth=1
	v_dual_lshrrev_b32 v3, 3, v0 :: v_dual_bitop2_b32 v24, 7, v2 bitop3:0x40
	v_cmp_gt_u32_e64 s1, 8, v0
	s_delay_alu instid0(VALU_DEP_2)
	v_mov_b64_e32 v[0:1], v[24:25]
	s_and_saveexec_b32 s19, s1
; %bb.846:                              ;   in Loop: Header=BB357_15 Depth=1
	v_clz_i32_u32_e32 v0, v24
	s_delay_alu instid0(VALU_DEP_1) | instskip(NEXT) | instid1(VALU_DEP_1)
	v_min_u32_e32 v3, 32, v0
	v_subrev_nc_u32_e32 v0, 28, v3
	s_delay_alu instid0(VALU_DEP_1) | instskip(NEXT) | instid1(VALU_DEP_1)
	v_lshlrev_b64_e32 v[0:1], v0, v[24:25]
	v_dual_sub_nc_u32 v3, 29, v3 :: v_dual_bitop2_b32 v0, 7, v0 bitop3:0x40
; %bb.847:                              ;   in Loop: Header=BB357_15 Depth=1
	s_or_b32 exec_lo, exec_lo, s19
	scratch_load_b64 v[4:5], off, s32 offset:536 ; 8-byte Folded Reload
	v_dual_lshlrev_b32 v1, 24, v2 :: v_dual_lshlrev_b32 v0, 20, v0
	v_lshl_add_u32 v2, v3, 23, 0x3c000000
	s_delay_alu instid0(VALU_DEP_2) | instskip(SKIP_1) | instid1(VALU_DEP_1)
	v_and_b32_e32 v1, 0x80000000, v1
	s_wait_loadcnt 0x0
	v_or3_b32 v5, v0, v1, v2
	scratch_store_b64 off, v[4:5], s32 offset:536 ; 8-byte Folded Spill
.LBB357_848:                            ;   in Loop: Header=BB357_15 Depth=1
	s_wait_xcnt 0x0
	s_or_b32 exec_lo, exec_lo, s18
.LBB357_849:                            ;   in Loop: Header=BB357_15 Depth=1
	s_delay_alu instid0(SALU_CYCLE_1)
	s_or_b32 exec_lo, exec_lo, s17
.LBB357_850:                            ;   in Loop: Header=BB357_15 Depth=1
	s_delay_alu instid0(SALU_CYCLE_1)
	s_or_b32 exec_lo, exec_lo, s16
	flat_load_b64 v[0:1], v[102:103] offset:3080
	v_dual_mov_b32 v5, 0 :: v_dual_mov_b32 v4, 0
	s_mov_b32 s16, exec_lo
	scratch_store_b64 off, v[4:5], s32 offset:544 ; 8-byte Folded Spill
	s_wait_loadcnt_dscnt 0x0
	v_and_b32_e32 v2, 0xff, v0
	s_wait_xcnt 0x0
	s_delay_alu instid0(VALU_DEP_1)
	v_cmpx_ne_u16_e32 0, v2
	s_cbranch_execz .LBB357_858
; %bb.851:                              ;   in Loop: Header=BB357_15 Depth=1
	v_cmp_ne_u16_e64 s1, 0x80, v2
	scratch_load_b64 v[2:3], off, s32 offset:544 ; 8-byte Folded Reload
	s_wait_loadcnt 0x0
	v_bfrev_b32_e32 v2, 1
	scratch_store_b64 off, v[2:3], s32 offset:544 ; 8-byte Folded Spill
	s_wait_xcnt 0x0
	s_and_saveexec_b32 s17, s1
	s_cbranch_execz .LBB357_857
; %bb.852:                              ;   in Loop: Header=BB357_15 Depth=1
	scratch_load_b64 v[4:5], off, s32 offset:544 ; 8-byte Folded Reload
	v_and_b32_e32 v2, 0x7f, v0
	s_wait_loadcnt 0x0
	v_mov_b32_e32 v4, 0x7f800001
	s_mov_b32 s18, exec_lo
	scratch_store_b64 off, v[4:5], s32 offset:544 ; 8-byte Folded Spill
	s_wait_xcnt 0x0
	v_cmpx_ne_u32_e32 0x7f, v2
	s_cbranch_execz .LBB357_856
; %bb.853:                              ;   in Loop: Header=BB357_15 Depth=1
	v_lshrrev_b32_e32 v4, 3, v2
	v_cmp_gt_u32_e64 s1, 8, v2
	v_mov_b64_e32 v[2:3], v[0:1]
	s_and_saveexec_b32 s19, s1
; %bb.854:                              ;   in Loop: Header=BB357_15 Depth=1
	v_and_b32_e32 v2, 7, v0
	s_delay_alu instid0(VALU_DEP_1) | instskip(NEXT) | instid1(VALU_DEP_1)
	v_clz_i32_u32_e32 v2, v2
	v_min_u32_e32 v4, 32, v2
	s_delay_alu instid0(VALU_DEP_1) | instskip(SKIP_1) | instid1(VALU_DEP_2)
	v_subrev_nc_u32_e32 v2, 28, v4
	v_sub_nc_u32_e32 v4, 29, v4
	v_lshlrev_b64_e32 v[2:3], v2, v[0:1]
; %bb.855:                              ;   in Loop: Header=BB357_15 Depth=1
	s_or_b32 exec_lo, exec_lo, s19
	scratch_load_b64 v[6:7], off, s32 offset:544 ; 8-byte Folded Reload
	v_dual_lshlrev_b32 v2, 20, v2 :: v_dual_lshlrev_b32 v3, 24, v0
	v_lshl_add_u32 v4, v4, 23, 0x3c000000
	s_delay_alu instid0(VALU_DEP_2) | instskip(NEXT) | instid1(VALU_DEP_3)
	v_and_b32_e32 v2, 0x700000, v2
	v_and_b32_e32 v3, 0x80000000, v3
	s_wait_loadcnt 0x0
	s_delay_alu instid0(VALU_DEP_1)
	v_or3_b32 v6, v2, v3, v4
	scratch_store_b64 off, v[6:7], s32 offset:544 ; 8-byte Folded Spill
.LBB357_856:                            ;   in Loop: Header=BB357_15 Depth=1
	s_wait_xcnt 0x0
	s_or_b32 exec_lo, exec_lo, s18
.LBB357_857:                            ;   in Loop: Header=BB357_15 Depth=1
	s_delay_alu instid0(SALU_CYCLE_1)
	s_or_b32 exec_lo, exec_lo, s17
.LBB357_858:                            ;   in Loop: Header=BB357_15 Depth=1
	s_delay_alu instid0(SALU_CYCLE_1) | instskip(SKIP_2) | instid1(VALU_DEP_1)
	s_or_b32 exec_lo, exec_lo, s16
	v_lshrrev_b16 v2, 8, v0
	s_mov_b32 s16, exec_lo
	v_cmpx_ne_u16_e32 0, v2
	s_cbranch_execz .LBB357_866
; %bb.859:                              ;   in Loop: Header=BB357_15 Depth=1
	scratch_load_b64 v[4:5], off, s32 offset:544 ; 8-byte Folded Reload
	s_wait_loadcnt 0x0
	v_bfrev_b32_e32 v5, 1
	s_mov_b32 s17, exec_lo
	scratch_store_b64 off, v[4:5], s32 offset:544 ; 8-byte Folded Spill
	s_wait_xcnt 0x0
	v_cmpx_ne_u16_e32 0x80, v2
	s_cbranch_execz .LBB357_865
; %bb.860:                              ;   in Loop: Header=BB357_15 Depth=1
	scratch_load_b64 v[4:5], off, s32 offset:544 ; 8-byte Folded Reload
	v_and_b32_e32 v3, 0xffff, v2
	s_wait_loadcnt 0x0
	v_mov_b32_e32 v5, 0x7f800001
	s_mov_b32 s18, exec_lo
	s_delay_alu instid0(VALU_DEP_2)
	v_and_b32_e32 v2, 0x7f, v3
	scratch_store_b64 off, v[4:5], s32 offset:544 ; 8-byte Folded Spill
	s_wait_xcnt 0x0
	v_cmpx_ne_u32_e32 0x7f, v2
	s_cbranch_execz .LBB357_864
; %bb.861:                              ;   in Loop: Header=BB357_15 Depth=1
	v_dual_lshrrev_b32 v4, 3, v2 :: v_dual_bitop2_b32 v24, 7, v3 bitop3:0x40
	v_cmp_gt_u32_e64 s1, 8, v2
	s_delay_alu instid0(VALU_DEP_2)
	v_mov_b64_e32 v[2:3], v[24:25]
	s_and_saveexec_b32 s19, s1
; %bb.862:                              ;   in Loop: Header=BB357_15 Depth=1
	v_clz_i32_u32_e32 v2, v24
	s_delay_alu instid0(VALU_DEP_1) | instskip(NEXT) | instid1(VALU_DEP_1)
	v_min_u32_e32 v4, 32, v2
	v_subrev_nc_u32_e32 v2, 28, v4
	s_delay_alu instid0(VALU_DEP_1) | instskip(NEXT) | instid1(VALU_DEP_1)
	v_lshlrev_b64_e32 v[2:3], v2, v[24:25]
	v_dual_sub_nc_u32 v4, 29, v4 :: v_dual_bitop2_b32 v2, 7, v2 bitop3:0x40
; %bb.863:                              ;   in Loop: Header=BB357_15 Depth=1
	s_or_b32 exec_lo, exec_lo, s19
	scratch_load_b64 v[6:7], off, s32 offset:544 ; 8-byte Folded Reload
	v_dual_lshlrev_b32 v3, 16, v0 :: v_dual_lshlrev_b32 v2, 20, v2
	v_lshl_add_u32 v4, v4, 23, 0x3c000000
	s_delay_alu instid0(VALU_DEP_2) | instskip(SKIP_1) | instid1(VALU_DEP_1)
	v_and_b32_e32 v3, 0x80000000, v3
	s_wait_loadcnt 0x0
	v_or3_b32 v7, v2, v3, v4
	scratch_store_b64 off, v[6:7], s32 offset:544 ; 8-byte Folded Spill
.LBB357_864:                            ;   in Loop: Header=BB357_15 Depth=1
	s_wait_xcnt 0x0
	s_or_b32 exec_lo, exec_lo, s18
.LBB357_865:                            ;   in Loop: Header=BB357_15 Depth=1
	s_delay_alu instid0(SALU_CYCLE_1)
	s_or_b32 exec_lo, exec_lo, s17
.LBB357_866:                            ;   in Loop: Header=BB357_15 Depth=1
	s_delay_alu instid0(SALU_CYCLE_1) | instskip(SKIP_3) | instid1(VALU_DEP_2)
	s_or_b32 exec_lo, exec_lo, s16
	v_dual_mov_b32 v7, 0 :: v_dual_lshrrev_b32 v4, 16, v0
	v_mov_b32_e32 v6, 0
	s_mov_b32 s16, exec_lo
	v_and_b32_e32 v2, 0xff, v4
	scratch_store_b64 off, v[6:7], s32 offset:552 ; 8-byte Folded Spill
	s_wait_xcnt 0x0
	v_cmpx_ne_u16_e32 0, v2
	s_cbranch_execz .LBB357_874
; %bb.867:                              ;   in Loop: Header=BB357_15 Depth=1
	v_cmp_ne_u16_e64 s1, 0x80, v2
	scratch_load_b64 v[2:3], off, s32 offset:552 ; 8-byte Folded Reload
	s_wait_loadcnt 0x0
	v_bfrev_b32_e32 v2, 1
	scratch_store_b64 off, v[2:3], s32 offset:552 ; 8-byte Folded Spill
	s_wait_xcnt 0x0
	s_and_saveexec_b32 s17, s1
	s_cbranch_execz .LBB357_873
; %bb.868:                              ;   in Loop: Header=BB357_15 Depth=1
	scratch_load_b64 v[6:7], off, s32 offset:552 ; 8-byte Folded Reload
	v_bfe_u32 v2, v0, 16, 7
	s_wait_loadcnt 0x0
	v_mov_b32_e32 v6, 0x7f800001
	s_mov_b32 s18, exec_lo
	scratch_store_b64 off, v[6:7], s32 offset:552 ; 8-byte Folded Spill
	s_wait_xcnt 0x0
	v_cmpx_ne_u32_e32 0x7f, v2
	s_cbranch_execz .LBB357_872
; %bb.869:                              ;   in Loop: Header=BB357_15 Depth=1
	v_dual_lshrrev_b32 v5, 3, v2 :: v_dual_bitop2_b32 v24, 7, v4 bitop3:0x40
	v_cmp_gt_u32_e64 s1, 8, v2
	s_delay_alu instid0(VALU_DEP_2)
	v_mov_b64_e32 v[2:3], v[24:25]
	s_and_saveexec_b32 s19, s1
; %bb.870:                              ;   in Loop: Header=BB357_15 Depth=1
	v_clz_i32_u32_e32 v2, v24
	s_delay_alu instid0(VALU_DEP_1) | instskip(NEXT) | instid1(VALU_DEP_1)
	v_min_u32_e32 v5, 32, v2
	v_subrev_nc_u32_e32 v2, 28, v5
	s_delay_alu instid0(VALU_DEP_1) | instskip(NEXT) | instid1(VALU_DEP_1)
	v_lshlrev_b64_e32 v[2:3], v2, v[24:25]
	v_dual_sub_nc_u32 v5, 29, v5 :: v_dual_bitop2_b32 v2, 7, v2 bitop3:0x40
; %bb.871:                              ;   in Loop: Header=BB357_15 Depth=1
	s_or_b32 exec_lo, exec_lo, s19
	scratch_load_b64 v[6:7], off, s32 offset:552 ; 8-byte Folded Reload
	v_dual_lshlrev_b32 v3, 24, v4 :: v_dual_lshlrev_b32 v2, 20, v2
	v_lshl_add_u32 v4, v5, 23, 0x3c000000
	s_delay_alu instid0(VALU_DEP_2) | instskip(SKIP_1) | instid1(VALU_DEP_1)
	v_and_b32_e32 v3, 0x80000000, v3
	s_wait_loadcnt 0x0
	v_or3_b32 v6, v2, v3, v4
	scratch_store_b64 off, v[6:7], s32 offset:552 ; 8-byte Folded Spill
.LBB357_872:                            ;   in Loop: Header=BB357_15 Depth=1
	s_wait_xcnt 0x0
	s_or_b32 exec_lo, exec_lo, s18
.LBB357_873:                            ;   in Loop: Header=BB357_15 Depth=1
	s_delay_alu instid0(SALU_CYCLE_1)
	s_or_b32 exec_lo, exec_lo, s17
.LBB357_874:                            ;   in Loop: Header=BB357_15 Depth=1
	s_delay_alu instid0(SALU_CYCLE_1) | instskip(NEXT) | instid1(SALU_CYCLE_1)
	s_or_b32 exec_lo, exec_lo, s16
	s_mov_b32 s16, exec_lo
	v_cmpx_lt_u32_e32 0xffffff, v0
	s_cbranch_execz .LBB357_882
; %bb.875:                              ;   in Loop: Header=BB357_15 Depth=1
	scratch_load_b64 v[2:3], off, s32 offset:552 ; 8-byte Folded Reload
	v_lshrrev_b32_e32 v4, 24, v0
	s_wait_loadcnt 0x0
	v_bfrev_b32_e32 v3, 1
	s_mov_b32 s17, exec_lo
	scratch_store_b64 off, v[2:3], s32 offset:552 ; 8-byte Folded Spill
	s_wait_xcnt 0x0
	v_cmpx_ne_u32_e32 0x80, v4
	s_cbranch_execz .LBB357_881
; %bb.876:                              ;   in Loop: Header=BB357_15 Depth=1
	scratch_load_b64 v[6:7], off, s32 offset:552 ; 8-byte Folded Reload
	v_bfe_u32 v2, v0, 24, 7
	s_wait_loadcnt 0x0
	v_mov_b32_e32 v7, 0x7f800001
	s_mov_b32 s18, exec_lo
	scratch_store_b64 off, v[6:7], s32 offset:552 ; 8-byte Folded Spill
	s_wait_xcnt 0x0
	v_cmpx_ne_u32_e32 0x7f, v2
	s_cbranch_execz .LBB357_880
; %bb.877:                              ;   in Loop: Header=BB357_15 Depth=1
	v_dual_lshrrev_b32 v5, 3, v2 :: v_dual_bitop2_b32 v24, 7, v4 bitop3:0x40
	v_cmp_gt_u32_e64 s1, 8, v2
	s_delay_alu instid0(VALU_DEP_2)
	v_mov_b64_e32 v[2:3], v[24:25]
	s_and_saveexec_b32 s19, s1
; %bb.878:                              ;   in Loop: Header=BB357_15 Depth=1
	v_clz_i32_u32_e32 v2, v24
	s_delay_alu instid0(VALU_DEP_1) | instskip(NEXT) | instid1(VALU_DEP_1)
	v_min_u32_e32 v5, 32, v2
	v_subrev_nc_u32_e32 v2, 28, v5
	s_delay_alu instid0(VALU_DEP_1) | instskip(NEXT) | instid1(VALU_DEP_1)
	v_lshlrev_b64_e32 v[2:3], v2, v[24:25]
	v_dual_sub_nc_u32 v5, 29, v5 :: v_dual_bitop2_b32 v2, 7, v2 bitop3:0x40
; %bb.879:                              ;   in Loop: Header=BB357_15 Depth=1
	s_or_b32 exec_lo, exec_lo, s19
	scratch_load_b64 v[6:7], off, s32 offset:552 ; 8-byte Folded Reload
	v_dual_lshlrev_b32 v3, 24, v4 :: v_dual_lshlrev_b32 v2, 20, v2
	v_lshl_add_u32 v4, v5, 23, 0x3c000000
	s_delay_alu instid0(VALU_DEP_2) | instskip(SKIP_1) | instid1(VALU_DEP_1)
	v_and_b32_e32 v3, 0x80000000, v3
	s_wait_loadcnt 0x0
	v_or3_b32 v7, v2, v3, v4
	scratch_store_b64 off, v[6:7], s32 offset:552 ; 8-byte Folded Spill
.LBB357_880:                            ;   in Loop: Header=BB357_15 Depth=1
	s_wait_xcnt 0x0
	s_or_b32 exec_lo, exec_lo, s18
.LBB357_881:                            ;   in Loop: Header=BB357_15 Depth=1
	s_delay_alu instid0(SALU_CYCLE_1)
	s_or_b32 exec_lo, exec_lo, s17
.LBB357_882:                            ;   in Loop: Header=BB357_15 Depth=1
	s_delay_alu instid0(SALU_CYCLE_1)
	s_or_b32 exec_lo, exec_lo, s16
	v_and_b32_e32 v2, 0xff, v1
	v_dual_mov_b32 v24, v1 :: v_dual_mov_b32 v5, 0
	v_mov_b32_e32 v4, 0
	s_mov_b32 s16, exec_lo
	scratch_store_b64 off, v[4:5], s32 offset:560 ; 8-byte Folded Spill
	s_wait_xcnt 0x0
	v_cmpx_ne_u16_e32 0, v2
	s_cbranch_execz .LBB357_890
; %bb.883:                              ;   in Loop: Header=BB357_15 Depth=1
	v_cmp_ne_u16_e64 s1, 0x80, v2
	scratch_load_b64 v[2:3], off, s32 offset:560 ; 8-byte Folded Reload
	s_wait_loadcnt 0x0
	v_bfrev_b32_e32 v2, 1
	scratch_store_b64 off, v[2:3], s32 offset:560 ; 8-byte Folded Spill
	s_wait_xcnt 0x0
	s_and_saveexec_b32 s17, s1
	s_cbranch_execz .LBB357_889
; %bb.884:                              ;   in Loop: Header=BB357_15 Depth=1
	scratch_load_b64 v[4:5], off, s32 offset:560 ; 8-byte Folded Reload
	v_and_b32_e32 v2, 0x7f, v1
	s_wait_loadcnt 0x0
	v_mov_b32_e32 v4, 0x7f800001
	s_mov_b32 s18, exec_lo
	scratch_store_b64 off, v[4:5], s32 offset:560 ; 8-byte Folded Spill
	s_wait_xcnt 0x0
	v_cmpx_ne_u32_e32 0x7f, v2
	s_cbranch_execz .LBB357_888
; %bb.885:                              ;   in Loop: Header=BB357_15 Depth=1
	v_lshrrev_b32_e32 v4, 3, v2
	v_cmp_gt_u32_e64 s1, 8, v2
	v_mov_b64_e32 v[2:3], v[24:25]
	s_and_saveexec_b32 s19, s1
; %bb.886:                              ;   in Loop: Header=BB357_15 Depth=1
	v_and_b32_e32 v2, 7, v1
	s_delay_alu instid0(VALU_DEP_1) | instskip(NEXT) | instid1(VALU_DEP_1)
	v_clz_i32_u32_e32 v2, v2
	v_min_u32_e32 v4, 32, v2
	s_delay_alu instid0(VALU_DEP_1) | instskip(SKIP_1) | instid1(VALU_DEP_2)
	v_subrev_nc_u32_e32 v2, 28, v4
	v_sub_nc_u32_e32 v4, 29, v4
	v_lshlrev_b64_e32 v[2:3], v2, v[24:25]
; %bb.887:                              ;   in Loop: Header=BB357_15 Depth=1
	s_or_b32 exec_lo, exec_lo, s19
	scratch_load_b64 v[6:7], off, s32 offset:560 ; 8-byte Folded Reload
	v_dual_lshlrev_b32 v2, 20, v2 :: v_dual_lshlrev_b32 v3, 24, v24
	v_lshl_add_u32 v4, v4, 23, 0x3c000000
	s_delay_alu instid0(VALU_DEP_2) | instskip(NEXT) | instid1(VALU_DEP_3)
	v_and_b32_e32 v2, 0x700000, v2
	v_and_b32_e32 v3, 0x80000000, v3
	s_wait_loadcnt 0x0
	s_delay_alu instid0(VALU_DEP_1)
	v_or3_b32 v6, v2, v3, v4
	scratch_store_b64 off, v[6:7], s32 offset:560 ; 8-byte Folded Spill
.LBB357_888:                            ;   in Loop: Header=BB357_15 Depth=1
	s_wait_xcnt 0x0
	s_or_b32 exec_lo, exec_lo, s18
.LBB357_889:                            ;   in Loop: Header=BB357_15 Depth=1
	s_delay_alu instid0(SALU_CYCLE_1)
	s_or_b32 exec_lo, exec_lo, s17
.LBB357_890:                            ;   in Loop: Header=BB357_15 Depth=1
	s_delay_alu instid0(SALU_CYCLE_1) | instskip(SKIP_2) | instid1(VALU_DEP_1)
	s_or_b32 exec_lo, exec_lo, s16
	v_lshrrev_b16 v2, 8, v24
	s_mov_b32 s16, exec_lo
	v_cmpx_ne_u16_e32 0, v2
	s_cbranch_execz .LBB357_898
; %bb.891:                              ;   in Loop: Header=BB357_15 Depth=1
	scratch_load_b64 v[4:5], off, s32 offset:560 ; 8-byte Folded Reload
	s_wait_loadcnt 0x0
	v_bfrev_b32_e32 v5, 1
	s_mov_b32 s17, exec_lo
	scratch_store_b64 off, v[4:5], s32 offset:560 ; 8-byte Folded Spill
	s_wait_xcnt 0x0
	v_cmpx_ne_u16_e32 0x80, v2
	s_cbranch_execz .LBB357_897
; %bb.892:                              ;   in Loop: Header=BB357_15 Depth=1
	scratch_load_b64 v[6:7], off, s32 offset:560 ; 8-byte Folded Reload
	v_and_b32_e32 v2, 0xffff, v2
	s_wait_loadcnt 0x0
	v_mov_b32_e32 v7, 0x7f800001
	s_mov_b32 s18, exec_lo
	s_delay_alu instid0(VALU_DEP_2)
	v_and_b32_e32 v5, 0x7f, v2
	scratch_store_b64 off, v[6:7], s32 offset:560 ; 8-byte Folded Spill
	s_wait_xcnt 0x0
	v_cmpx_ne_u32_e32 0x7f, v5
	s_cbranch_execz .LBB357_896
; %bb.893:                              ;   in Loop: Header=BB357_15 Depth=1
	v_dual_mov_b32 v3, v25 :: v_dual_bitop2_b32 v2, 7, v2 bitop3:0x40
	v_lshrrev_b32_e32 v4, 3, v5
	s_mov_b32 s19, exec_lo
	v_cmpx_gt_u32_e32 8, v5
; %bb.894:                              ;   in Loop: Header=BB357_15 Depth=1
	s_delay_alu instid0(VALU_DEP_3) | instskip(NEXT) | instid1(VALU_DEP_1)
	v_clz_i32_u32_e32 v4, v2
	v_min_u32_e32 v4, 32, v4
	s_delay_alu instid0(VALU_DEP_1) | instskip(NEXT) | instid1(VALU_DEP_1)
	v_subrev_nc_u32_e32 v5, 28, v4
	v_lshlrev_b64_e32 v[2:3], v5, v[2:3]
	s_delay_alu instid0(VALU_DEP_1)
	v_dual_sub_nc_u32 v4, 29, v4 :: v_dual_bitop2_b32 v2, 7, v2 bitop3:0x40
; %bb.895:                              ;   in Loop: Header=BB357_15 Depth=1
	s_or_b32 exec_lo, exec_lo, s19
	scratch_load_b64 v[6:7], off, s32 offset:560 ; 8-byte Folded Reload
	v_dual_lshlrev_b32 v3, 16, v24 :: v_dual_lshlrev_b32 v2, 20, v2
	v_lshl_add_u32 v4, v4, 23, 0x3c000000
	s_delay_alu instid0(VALU_DEP_2) | instskip(SKIP_1) | instid1(VALU_DEP_1)
	v_and_b32_e32 v3, 0x80000000, v3
	s_wait_loadcnt 0x0
	v_or3_b32 v7, v2, v3, v4
	scratch_store_b64 off, v[6:7], s32 offset:560 ; 8-byte Folded Spill
.LBB357_896:                            ;   in Loop: Header=BB357_15 Depth=1
	s_wait_xcnt 0x0
	s_or_b32 exec_lo, exec_lo, s18
.LBB357_897:                            ;   in Loop: Header=BB357_15 Depth=1
	s_delay_alu instid0(SALU_CYCLE_1)
	s_or_b32 exec_lo, exec_lo, s17
.LBB357_898:                            ;   in Loop: Header=BB357_15 Depth=1
	s_delay_alu instid0(SALU_CYCLE_1) | instskip(SKIP_3) | instid1(VALU_DEP_2)
	s_or_b32 exec_lo, exec_lo, s16
	v_dual_mov_b32 v7, 0 :: v_dual_lshrrev_b32 v4, 16, v1
	v_mov_b32_e32 v6, 0
	s_mov_b32 s16, exec_lo
	v_and_b32_e32 v2, 0xff, v4
	scratch_store_b64 off, v[6:7], s32 offset:568 ; 8-byte Folded Spill
	s_wait_xcnt 0x0
	v_cmpx_ne_u16_e32 0, v2
	s_cbranch_execz .LBB357_906
; %bb.899:                              ;   in Loop: Header=BB357_15 Depth=1
	v_cmp_ne_u16_e64 s1, 0x80, v2
	scratch_load_b64 v[2:3], off, s32 offset:568 ; 8-byte Folded Reload
	s_wait_loadcnt 0x0
	v_bfrev_b32_e32 v2, 1
	scratch_store_b64 off, v[2:3], s32 offset:568 ; 8-byte Folded Spill
	s_wait_xcnt 0x0
	s_and_saveexec_b32 s17, s1
	s_cbranch_execz .LBB357_905
; %bb.900:                              ;   in Loop: Header=BB357_15 Depth=1
	scratch_load_b64 v[6:7], off, s32 offset:568 ; 8-byte Folded Reload
	v_bfe_u32 v2, v1, 16, 7
	s_wait_loadcnt 0x0
	v_mov_b32_e32 v6, 0x7f800001
	s_mov_b32 s18, exec_lo
	scratch_store_b64 off, v[6:7], s32 offset:568 ; 8-byte Folded Spill
	s_wait_xcnt 0x0
	v_cmpx_ne_u32_e32 0x7f, v2
	s_cbranch_execz .LBB357_904
; %bb.901:                              ;   in Loop: Header=BB357_15 Depth=1
	v_dual_lshrrev_b32 v5, 3, v2 :: v_dual_bitop2_b32 v24, 7, v4 bitop3:0x40
	v_cmp_gt_u32_e64 s1, 8, v2
	s_delay_alu instid0(VALU_DEP_2)
	v_mov_b64_e32 v[2:3], v[24:25]
	s_and_saveexec_b32 s19, s1
; %bb.902:                              ;   in Loop: Header=BB357_15 Depth=1
	v_clz_i32_u32_e32 v2, v24
	s_delay_alu instid0(VALU_DEP_1) | instskip(NEXT) | instid1(VALU_DEP_1)
	v_min_u32_e32 v5, 32, v2
	v_subrev_nc_u32_e32 v2, 28, v5
	s_delay_alu instid0(VALU_DEP_1) | instskip(NEXT) | instid1(VALU_DEP_1)
	v_lshlrev_b64_e32 v[2:3], v2, v[24:25]
	v_dual_sub_nc_u32 v5, 29, v5 :: v_dual_bitop2_b32 v2, 7, v2 bitop3:0x40
; %bb.903:                              ;   in Loop: Header=BB357_15 Depth=1
	s_or_b32 exec_lo, exec_lo, s19
	scratch_load_b64 v[6:7], off, s32 offset:568 ; 8-byte Folded Reload
	v_dual_lshlrev_b32 v3, 24, v4 :: v_dual_lshlrev_b32 v2, 20, v2
	v_lshl_add_u32 v4, v5, 23, 0x3c000000
	s_delay_alu instid0(VALU_DEP_2) | instskip(SKIP_1) | instid1(VALU_DEP_1)
	v_and_b32_e32 v3, 0x80000000, v3
	s_wait_loadcnt 0x0
	v_or3_b32 v6, v2, v3, v4
	scratch_store_b64 off, v[6:7], s32 offset:568 ; 8-byte Folded Spill
.LBB357_904:                            ;   in Loop: Header=BB357_15 Depth=1
	s_wait_xcnt 0x0
	s_or_b32 exec_lo, exec_lo, s18
.LBB357_905:                            ;   in Loop: Header=BB357_15 Depth=1
	s_delay_alu instid0(SALU_CYCLE_1)
	s_or_b32 exec_lo, exec_lo, s17
.LBB357_906:                            ;   in Loop: Header=BB357_15 Depth=1
	s_delay_alu instid0(SALU_CYCLE_1) | instskip(NEXT) | instid1(SALU_CYCLE_1)
	s_or_b32 exec_lo, exec_lo, s16
	s_mov_b32 s16, exec_lo
	v_cmpx_lt_u64_e64 s[8:9], v[0:1]
	s_cbranch_execz .LBB357_914
; %bb.907:                              ;   in Loop: Header=BB357_15 Depth=1
	scratch_load_b64 v[4:5], off, s32 offset:568 ; 8-byte Folded Reload
	v_lshrrev_b32_e32 v2, 24, v1
	s_wait_loadcnt 0x0
	v_bfrev_b32_e32 v5, 1
	s_mov_b32 s17, exec_lo
	scratch_store_b64 off, v[4:5], s32 offset:568 ; 8-byte Folded Spill
	s_wait_xcnt 0x0
	v_cmpx_ne_u32_e32 0x80, v2
	s_cbranch_execz .LBB357_913
; %bb.908:                              ;   in Loop: Header=BB357_15 Depth=1
	scratch_load_b64 v[4:5], off, s32 offset:568 ; 8-byte Folded Reload
	v_bfe_u32 v0, v1, 24, 7
	s_wait_loadcnt 0x0
	v_mov_b32_e32 v5, 0x7f800001
	s_mov_b32 s18, exec_lo
	scratch_store_b64 off, v[4:5], s32 offset:568 ; 8-byte Folded Spill
	s_wait_xcnt 0x0
	v_cmpx_ne_u32_e32 0x7f, v0
	s_cbranch_execz .LBB357_912
; %bb.909:                              ;   in Loop: Header=BB357_15 Depth=1
	v_dual_lshrrev_b32 v3, 3, v0 :: v_dual_bitop2_b32 v24, 7, v2 bitop3:0x40
	v_cmp_gt_u32_e64 s1, 8, v0
	s_delay_alu instid0(VALU_DEP_2)
	v_mov_b64_e32 v[0:1], v[24:25]
	s_and_saveexec_b32 s19, s1
; %bb.910:                              ;   in Loop: Header=BB357_15 Depth=1
	v_clz_i32_u32_e32 v0, v24
	s_delay_alu instid0(VALU_DEP_1) | instskip(NEXT) | instid1(VALU_DEP_1)
	v_min_u32_e32 v3, 32, v0
	v_subrev_nc_u32_e32 v0, 28, v3
	s_delay_alu instid0(VALU_DEP_1) | instskip(NEXT) | instid1(VALU_DEP_1)
	v_lshlrev_b64_e32 v[0:1], v0, v[24:25]
	v_dual_sub_nc_u32 v3, 29, v3 :: v_dual_bitop2_b32 v0, 7, v0 bitop3:0x40
; %bb.911:                              ;   in Loop: Header=BB357_15 Depth=1
	s_or_b32 exec_lo, exec_lo, s19
	scratch_load_b64 v[4:5], off, s32 offset:568 ; 8-byte Folded Reload
	v_dual_lshlrev_b32 v1, 24, v2 :: v_dual_lshlrev_b32 v0, 20, v0
	v_lshl_add_u32 v2, v3, 23, 0x3c000000
	s_delay_alu instid0(VALU_DEP_2) | instskip(SKIP_1) | instid1(VALU_DEP_1)
	v_and_b32_e32 v1, 0x80000000, v1
	s_wait_loadcnt 0x0
	v_or3_b32 v5, v0, v1, v2
	scratch_store_b64 off, v[4:5], s32 offset:568 ; 8-byte Folded Spill
.LBB357_912:                            ;   in Loop: Header=BB357_15 Depth=1
	s_wait_xcnt 0x0
	s_or_b32 exec_lo, exec_lo, s18
.LBB357_913:                            ;   in Loop: Header=BB357_15 Depth=1
	s_delay_alu instid0(SALU_CYCLE_1)
	s_or_b32 exec_lo, exec_lo, s17
.LBB357_914:                            ;   in Loop: Header=BB357_15 Depth=1
	s_delay_alu instid0(SALU_CYCLE_1)
	s_or_b32 exec_lo, exec_lo, s16
	flat_load_b64 v[0:1], v[102:103] offset:3584
	v_dual_mov_b32 v5, 0 :: v_dual_mov_b32 v4, 0
	s_mov_b32 s16, exec_lo
	scratch_store_b64 off, v[4:5], s32 offset:576 ; 8-byte Folded Spill
	s_wait_loadcnt_dscnt 0x0
	v_and_b32_e32 v2, 0xff, v0
	s_wait_xcnt 0x0
	s_delay_alu instid0(VALU_DEP_1)
	v_cmpx_ne_u16_e32 0, v2
	s_cbranch_execz .LBB357_922
; %bb.915:                              ;   in Loop: Header=BB357_15 Depth=1
	v_cmp_ne_u16_e64 s1, 0x80, v2
	scratch_load_b64 v[2:3], off, s32 offset:576 ; 8-byte Folded Reload
	s_wait_loadcnt 0x0
	v_bfrev_b32_e32 v2, 1
	scratch_store_b64 off, v[2:3], s32 offset:576 ; 8-byte Folded Spill
	s_wait_xcnt 0x0
	s_and_saveexec_b32 s17, s1
	s_cbranch_execz .LBB357_921
; %bb.916:                              ;   in Loop: Header=BB357_15 Depth=1
	scratch_load_b64 v[4:5], off, s32 offset:576 ; 8-byte Folded Reload
	v_and_b32_e32 v2, 0x7f, v0
	s_wait_loadcnt 0x0
	v_mov_b32_e32 v4, 0x7f800001
	s_mov_b32 s18, exec_lo
	scratch_store_b64 off, v[4:5], s32 offset:576 ; 8-byte Folded Spill
	s_wait_xcnt 0x0
	v_cmpx_ne_u32_e32 0x7f, v2
	s_cbranch_execz .LBB357_920
; %bb.917:                              ;   in Loop: Header=BB357_15 Depth=1
	v_lshrrev_b32_e32 v4, 3, v2
	v_cmp_gt_u32_e64 s1, 8, v2
	v_mov_b64_e32 v[2:3], v[0:1]
	s_and_saveexec_b32 s19, s1
; %bb.918:                              ;   in Loop: Header=BB357_15 Depth=1
	v_and_b32_e32 v2, 7, v0
	s_delay_alu instid0(VALU_DEP_1) | instskip(NEXT) | instid1(VALU_DEP_1)
	v_clz_i32_u32_e32 v2, v2
	v_min_u32_e32 v4, 32, v2
	s_delay_alu instid0(VALU_DEP_1) | instskip(SKIP_1) | instid1(VALU_DEP_2)
	v_subrev_nc_u32_e32 v2, 28, v4
	v_sub_nc_u32_e32 v4, 29, v4
	v_lshlrev_b64_e32 v[2:3], v2, v[0:1]
; %bb.919:                              ;   in Loop: Header=BB357_15 Depth=1
	s_or_b32 exec_lo, exec_lo, s19
	scratch_load_b64 v[6:7], off, s32 offset:576 ; 8-byte Folded Reload
	v_dual_lshlrev_b32 v2, 20, v2 :: v_dual_lshlrev_b32 v3, 24, v0
	v_lshl_add_u32 v4, v4, 23, 0x3c000000
	s_delay_alu instid0(VALU_DEP_2) | instskip(NEXT) | instid1(VALU_DEP_3)
	v_and_b32_e32 v2, 0x700000, v2
	v_and_b32_e32 v3, 0x80000000, v3
	s_wait_loadcnt 0x0
	s_delay_alu instid0(VALU_DEP_1)
	v_or3_b32 v6, v2, v3, v4
	scratch_store_b64 off, v[6:7], s32 offset:576 ; 8-byte Folded Spill
.LBB357_920:                            ;   in Loop: Header=BB357_15 Depth=1
	s_wait_xcnt 0x0
	s_or_b32 exec_lo, exec_lo, s18
.LBB357_921:                            ;   in Loop: Header=BB357_15 Depth=1
	s_delay_alu instid0(SALU_CYCLE_1)
	s_or_b32 exec_lo, exec_lo, s17
.LBB357_922:                            ;   in Loop: Header=BB357_15 Depth=1
	s_delay_alu instid0(SALU_CYCLE_1) | instskip(SKIP_2) | instid1(VALU_DEP_1)
	s_or_b32 exec_lo, exec_lo, s16
	v_lshrrev_b16 v2, 8, v0
	s_mov_b32 s16, exec_lo
	v_cmpx_ne_u16_e32 0, v2
	s_cbranch_execz .LBB357_930
; %bb.923:                              ;   in Loop: Header=BB357_15 Depth=1
	scratch_load_b64 v[4:5], off, s32 offset:576 ; 8-byte Folded Reload
	s_wait_loadcnt 0x0
	v_bfrev_b32_e32 v5, 1
	s_mov_b32 s17, exec_lo
	scratch_store_b64 off, v[4:5], s32 offset:576 ; 8-byte Folded Spill
	s_wait_xcnt 0x0
	v_cmpx_ne_u16_e32 0x80, v2
	s_cbranch_execz .LBB357_929
; %bb.924:                              ;   in Loop: Header=BB357_15 Depth=1
	scratch_load_b64 v[4:5], off, s32 offset:576 ; 8-byte Folded Reload
	v_and_b32_e32 v3, 0xffff, v2
	s_wait_loadcnt 0x0
	v_mov_b32_e32 v5, 0x7f800001
	s_mov_b32 s18, exec_lo
	s_delay_alu instid0(VALU_DEP_2)
	v_and_b32_e32 v2, 0x7f, v3
	scratch_store_b64 off, v[4:5], s32 offset:576 ; 8-byte Folded Spill
	s_wait_xcnt 0x0
	v_cmpx_ne_u32_e32 0x7f, v2
	s_cbranch_execz .LBB357_928
; %bb.925:                              ;   in Loop: Header=BB357_15 Depth=1
	v_dual_lshrrev_b32 v4, 3, v2 :: v_dual_bitop2_b32 v24, 7, v3 bitop3:0x40
	v_cmp_gt_u32_e64 s1, 8, v2
	s_delay_alu instid0(VALU_DEP_2)
	v_mov_b64_e32 v[2:3], v[24:25]
	s_and_saveexec_b32 s19, s1
; %bb.926:                              ;   in Loop: Header=BB357_15 Depth=1
	v_clz_i32_u32_e32 v2, v24
	s_delay_alu instid0(VALU_DEP_1) | instskip(NEXT) | instid1(VALU_DEP_1)
	v_min_u32_e32 v4, 32, v2
	v_subrev_nc_u32_e32 v2, 28, v4
	s_delay_alu instid0(VALU_DEP_1) | instskip(NEXT) | instid1(VALU_DEP_1)
	v_lshlrev_b64_e32 v[2:3], v2, v[24:25]
	v_dual_sub_nc_u32 v4, 29, v4 :: v_dual_bitop2_b32 v2, 7, v2 bitop3:0x40
; %bb.927:                              ;   in Loop: Header=BB357_15 Depth=1
	s_or_b32 exec_lo, exec_lo, s19
	scratch_load_b64 v[6:7], off, s32 offset:576 ; 8-byte Folded Reload
	v_dual_lshlrev_b32 v3, 16, v0 :: v_dual_lshlrev_b32 v2, 20, v2
	v_lshl_add_u32 v4, v4, 23, 0x3c000000
	s_delay_alu instid0(VALU_DEP_2) | instskip(SKIP_1) | instid1(VALU_DEP_1)
	v_and_b32_e32 v3, 0x80000000, v3
	s_wait_loadcnt 0x0
	v_or3_b32 v7, v2, v3, v4
	scratch_store_b64 off, v[6:7], s32 offset:576 ; 8-byte Folded Spill
.LBB357_928:                            ;   in Loop: Header=BB357_15 Depth=1
	s_wait_xcnt 0x0
	s_or_b32 exec_lo, exec_lo, s18
.LBB357_929:                            ;   in Loop: Header=BB357_15 Depth=1
	s_delay_alu instid0(SALU_CYCLE_1)
	s_or_b32 exec_lo, exec_lo, s17
.LBB357_930:                            ;   in Loop: Header=BB357_15 Depth=1
	s_delay_alu instid0(SALU_CYCLE_1) | instskip(SKIP_3) | instid1(VALU_DEP_2)
	s_or_b32 exec_lo, exec_lo, s16
	v_dual_mov_b32 v7, 0 :: v_dual_lshrrev_b32 v4, 16, v0
	v_mov_b32_e32 v6, 0
	s_mov_b32 s16, exec_lo
	v_and_b32_e32 v2, 0xff, v4
	scratch_store_b64 off, v[6:7], s32 offset:584 ; 8-byte Folded Spill
	s_wait_xcnt 0x0
	v_cmpx_ne_u16_e32 0, v2
	s_cbranch_execz .LBB357_938
; %bb.931:                              ;   in Loop: Header=BB357_15 Depth=1
	v_cmp_ne_u16_e64 s1, 0x80, v2
	scratch_load_b64 v[2:3], off, s32 offset:584 ; 8-byte Folded Reload
	s_wait_loadcnt 0x0
	v_bfrev_b32_e32 v2, 1
	scratch_store_b64 off, v[2:3], s32 offset:584 ; 8-byte Folded Spill
	s_wait_xcnt 0x0
	s_and_saveexec_b32 s17, s1
	s_cbranch_execz .LBB357_937
; %bb.932:                              ;   in Loop: Header=BB357_15 Depth=1
	scratch_load_b64 v[6:7], off, s32 offset:584 ; 8-byte Folded Reload
	v_bfe_u32 v2, v0, 16, 7
	s_wait_loadcnt 0x0
	v_mov_b32_e32 v6, 0x7f800001
	s_mov_b32 s18, exec_lo
	scratch_store_b64 off, v[6:7], s32 offset:584 ; 8-byte Folded Spill
	s_wait_xcnt 0x0
	v_cmpx_ne_u32_e32 0x7f, v2
	s_cbranch_execz .LBB357_936
; %bb.933:                              ;   in Loop: Header=BB357_15 Depth=1
	v_dual_lshrrev_b32 v5, 3, v2 :: v_dual_bitop2_b32 v24, 7, v4 bitop3:0x40
	v_cmp_gt_u32_e64 s1, 8, v2
	s_delay_alu instid0(VALU_DEP_2)
	v_mov_b64_e32 v[2:3], v[24:25]
	s_and_saveexec_b32 s19, s1
; %bb.934:                              ;   in Loop: Header=BB357_15 Depth=1
	v_clz_i32_u32_e32 v2, v24
	s_delay_alu instid0(VALU_DEP_1) | instskip(NEXT) | instid1(VALU_DEP_1)
	v_min_u32_e32 v5, 32, v2
	v_subrev_nc_u32_e32 v2, 28, v5
	s_delay_alu instid0(VALU_DEP_1) | instskip(NEXT) | instid1(VALU_DEP_1)
	v_lshlrev_b64_e32 v[2:3], v2, v[24:25]
	v_dual_sub_nc_u32 v5, 29, v5 :: v_dual_bitop2_b32 v2, 7, v2 bitop3:0x40
; %bb.935:                              ;   in Loop: Header=BB357_15 Depth=1
	s_or_b32 exec_lo, exec_lo, s19
	scratch_load_b64 v[6:7], off, s32 offset:584 ; 8-byte Folded Reload
	v_dual_lshlrev_b32 v3, 24, v4 :: v_dual_lshlrev_b32 v2, 20, v2
	v_lshl_add_u32 v4, v5, 23, 0x3c000000
	s_delay_alu instid0(VALU_DEP_2) | instskip(SKIP_1) | instid1(VALU_DEP_1)
	v_and_b32_e32 v3, 0x80000000, v3
	s_wait_loadcnt 0x0
	v_or3_b32 v6, v2, v3, v4
	scratch_store_b64 off, v[6:7], s32 offset:584 ; 8-byte Folded Spill
.LBB357_936:                            ;   in Loop: Header=BB357_15 Depth=1
	s_wait_xcnt 0x0
	s_or_b32 exec_lo, exec_lo, s18
.LBB357_937:                            ;   in Loop: Header=BB357_15 Depth=1
	s_delay_alu instid0(SALU_CYCLE_1)
	s_or_b32 exec_lo, exec_lo, s17
.LBB357_938:                            ;   in Loop: Header=BB357_15 Depth=1
	s_delay_alu instid0(SALU_CYCLE_1) | instskip(NEXT) | instid1(SALU_CYCLE_1)
	s_or_b32 exec_lo, exec_lo, s16
	s_mov_b32 s16, exec_lo
	v_cmpx_lt_u32_e32 0xffffff, v0
	s_cbranch_execz .LBB357_946
; %bb.939:                              ;   in Loop: Header=BB357_15 Depth=1
	scratch_load_b64 v[2:3], off, s32 offset:584 ; 8-byte Folded Reload
	v_lshrrev_b32_e32 v4, 24, v0
	s_wait_loadcnt 0x0
	v_bfrev_b32_e32 v3, 1
	s_mov_b32 s17, exec_lo
	scratch_store_b64 off, v[2:3], s32 offset:584 ; 8-byte Folded Spill
	s_wait_xcnt 0x0
	v_cmpx_ne_u32_e32 0x80, v4
	s_cbranch_execz .LBB357_945
; %bb.940:                              ;   in Loop: Header=BB357_15 Depth=1
	scratch_load_b64 v[6:7], off, s32 offset:584 ; 8-byte Folded Reload
	v_bfe_u32 v2, v0, 24, 7
	s_wait_loadcnt 0x0
	v_mov_b32_e32 v7, 0x7f800001
	s_mov_b32 s18, exec_lo
	scratch_store_b64 off, v[6:7], s32 offset:584 ; 8-byte Folded Spill
	s_wait_xcnt 0x0
	v_cmpx_ne_u32_e32 0x7f, v2
	s_cbranch_execz .LBB357_944
; %bb.941:                              ;   in Loop: Header=BB357_15 Depth=1
	v_dual_lshrrev_b32 v5, 3, v2 :: v_dual_bitop2_b32 v24, 7, v4 bitop3:0x40
	v_cmp_gt_u32_e64 s1, 8, v2
	s_delay_alu instid0(VALU_DEP_2)
	v_mov_b64_e32 v[2:3], v[24:25]
	s_and_saveexec_b32 s19, s1
; %bb.942:                              ;   in Loop: Header=BB357_15 Depth=1
	v_clz_i32_u32_e32 v2, v24
	s_delay_alu instid0(VALU_DEP_1) | instskip(NEXT) | instid1(VALU_DEP_1)
	v_min_u32_e32 v5, 32, v2
	v_subrev_nc_u32_e32 v2, 28, v5
	s_delay_alu instid0(VALU_DEP_1) | instskip(NEXT) | instid1(VALU_DEP_1)
	v_lshlrev_b64_e32 v[2:3], v2, v[24:25]
	v_dual_sub_nc_u32 v5, 29, v5 :: v_dual_bitop2_b32 v2, 7, v2 bitop3:0x40
; %bb.943:                              ;   in Loop: Header=BB357_15 Depth=1
	s_or_b32 exec_lo, exec_lo, s19
	scratch_load_b64 v[6:7], off, s32 offset:584 ; 8-byte Folded Reload
	v_dual_lshlrev_b32 v3, 24, v4 :: v_dual_lshlrev_b32 v2, 20, v2
	v_lshl_add_u32 v4, v5, 23, 0x3c000000
	s_delay_alu instid0(VALU_DEP_2) | instskip(SKIP_1) | instid1(VALU_DEP_1)
	v_and_b32_e32 v3, 0x80000000, v3
	s_wait_loadcnt 0x0
	v_or3_b32 v7, v2, v3, v4
	scratch_store_b64 off, v[6:7], s32 offset:584 ; 8-byte Folded Spill
.LBB357_944:                            ;   in Loop: Header=BB357_15 Depth=1
	s_wait_xcnt 0x0
	s_or_b32 exec_lo, exec_lo, s18
.LBB357_945:                            ;   in Loop: Header=BB357_15 Depth=1
	s_delay_alu instid0(SALU_CYCLE_1)
	s_or_b32 exec_lo, exec_lo, s17
.LBB357_946:                            ;   in Loop: Header=BB357_15 Depth=1
	s_delay_alu instid0(SALU_CYCLE_1)
	s_or_b32 exec_lo, exec_lo, s16
	v_and_b32_e32 v2, 0xff, v1
	v_dual_mov_b32 v24, v1 :: v_dual_mov_b32 v5, 0
	v_mov_b32_e32 v4, 0
	s_mov_b32 s16, exec_lo
	scratch_store_b64 off, v[4:5], s32 offset:592 ; 8-byte Folded Spill
	s_wait_xcnt 0x0
	v_cmpx_ne_u16_e32 0, v2
	s_cbranch_execz .LBB357_954
; %bb.947:                              ;   in Loop: Header=BB357_15 Depth=1
	v_cmp_ne_u16_e64 s1, 0x80, v2
	scratch_load_b64 v[2:3], off, s32 offset:592 ; 8-byte Folded Reload
	s_wait_loadcnt 0x0
	v_bfrev_b32_e32 v2, 1
	scratch_store_b64 off, v[2:3], s32 offset:592 ; 8-byte Folded Spill
	s_wait_xcnt 0x0
	s_and_saveexec_b32 s17, s1
	s_cbranch_execz .LBB357_953
; %bb.948:                              ;   in Loop: Header=BB357_15 Depth=1
	scratch_load_b64 v[4:5], off, s32 offset:592 ; 8-byte Folded Reload
	v_and_b32_e32 v2, 0x7f, v1
	s_wait_loadcnt 0x0
	v_mov_b32_e32 v4, 0x7f800001
	s_mov_b32 s18, exec_lo
	scratch_store_b64 off, v[4:5], s32 offset:592 ; 8-byte Folded Spill
	s_wait_xcnt 0x0
	v_cmpx_ne_u32_e32 0x7f, v2
	s_cbranch_execz .LBB357_952
; %bb.949:                              ;   in Loop: Header=BB357_15 Depth=1
	v_lshrrev_b32_e32 v4, 3, v2
	v_cmp_gt_u32_e64 s1, 8, v2
	v_mov_b64_e32 v[2:3], v[24:25]
	s_and_saveexec_b32 s19, s1
; %bb.950:                              ;   in Loop: Header=BB357_15 Depth=1
	v_and_b32_e32 v2, 7, v1
	s_delay_alu instid0(VALU_DEP_1) | instskip(NEXT) | instid1(VALU_DEP_1)
	v_clz_i32_u32_e32 v2, v2
	v_min_u32_e32 v4, 32, v2
	s_delay_alu instid0(VALU_DEP_1) | instskip(SKIP_1) | instid1(VALU_DEP_2)
	v_subrev_nc_u32_e32 v2, 28, v4
	v_sub_nc_u32_e32 v4, 29, v4
	v_lshlrev_b64_e32 v[2:3], v2, v[24:25]
; %bb.951:                              ;   in Loop: Header=BB357_15 Depth=1
	s_or_b32 exec_lo, exec_lo, s19
	scratch_load_b64 v[6:7], off, s32 offset:592 ; 8-byte Folded Reload
	v_dual_lshlrev_b32 v2, 20, v2 :: v_dual_lshlrev_b32 v3, 24, v24
	v_lshl_add_u32 v4, v4, 23, 0x3c000000
	s_delay_alu instid0(VALU_DEP_2) | instskip(NEXT) | instid1(VALU_DEP_3)
	v_and_b32_e32 v2, 0x700000, v2
	v_and_b32_e32 v3, 0x80000000, v3
	s_wait_loadcnt 0x0
	s_delay_alu instid0(VALU_DEP_1)
	v_or3_b32 v6, v2, v3, v4
	scratch_store_b64 off, v[6:7], s32 offset:592 ; 8-byte Folded Spill
.LBB357_952:                            ;   in Loop: Header=BB357_15 Depth=1
	s_wait_xcnt 0x0
	s_or_b32 exec_lo, exec_lo, s18
.LBB357_953:                            ;   in Loop: Header=BB357_15 Depth=1
	s_delay_alu instid0(SALU_CYCLE_1)
	s_or_b32 exec_lo, exec_lo, s17
.LBB357_954:                            ;   in Loop: Header=BB357_15 Depth=1
	s_delay_alu instid0(SALU_CYCLE_1) | instskip(SKIP_2) | instid1(VALU_DEP_1)
	s_or_b32 exec_lo, exec_lo, s16
	v_lshrrev_b16 v2, 8, v24
	s_mov_b32 s16, exec_lo
	v_cmpx_ne_u16_e32 0, v2
	s_cbranch_execz .LBB357_962
; %bb.955:                              ;   in Loop: Header=BB357_15 Depth=1
	scratch_load_b64 v[4:5], off, s32 offset:592 ; 8-byte Folded Reload
	s_wait_loadcnt 0x0
	v_bfrev_b32_e32 v5, 1
	s_mov_b32 s17, exec_lo
	scratch_store_b64 off, v[4:5], s32 offset:592 ; 8-byte Folded Spill
	s_wait_xcnt 0x0
	v_cmpx_ne_u16_e32 0x80, v2
	s_cbranch_execz .LBB357_961
; %bb.956:                              ;   in Loop: Header=BB357_15 Depth=1
	scratch_load_b64 v[6:7], off, s32 offset:592 ; 8-byte Folded Reload
	v_and_b32_e32 v2, 0xffff, v2
	s_wait_loadcnt 0x0
	v_mov_b32_e32 v7, 0x7f800001
	s_mov_b32 s18, exec_lo
	s_delay_alu instid0(VALU_DEP_2)
	v_and_b32_e32 v5, 0x7f, v2
	scratch_store_b64 off, v[6:7], s32 offset:592 ; 8-byte Folded Spill
	s_wait_xcnt 0x0
	v_cmpx_ne_u32_e32 0x7f, v5
	s_cbranch_execz .LBB357_960
; %bb.957:                              ;   in Loop: Header=BB357_15 Depth=1
	v_dual_mov_b32 v3, v25 :: v_dual_bitop2_b32 v2, 7, v2 bitop3:0x40
	v_lshrrev_b32_e32 v4, 3, v5
	s_mov_b32 s19, exec_lo
	v_cmpx_gt_u32_e32 8, v5
; %bb.958:                              ;   in Loop: Header=BB357_15 Depth=1
	s_delay_alu instid0(VALU_DEP_3) | instskip(NEXT) | instid1(VALU_DEP_1)
	v_clz_i32_u32_e32 v4, v2
	v_min_u32_e32 v4, 32, v4
	s_delay_alu instid0(VALU_DEP_1) | instskip(NEXT) | instid1(VALU_DEP_1)
	v_subrev_nc_u32_e32 v5, 28, v4
	v_lshlrev_b64_e32 v[2:3], v5, v[2:3]
	s_delay_alu instid0(VALU_DEP_1)
	v_dual_sub_nc_u32 v4, 29, v4 :: v_dual_bitop2_b32 v2, 7, v2 bitop3:0x40
; %bb.959:                              ;   in Loop: Header=BB357_15 Depth=1
	s_or_b32 exec_lo, exec_lo, s19
	scratch_load_b64 v[6:7], off, s32 offset:592 ; 8-byte Folded Reload
	v_dual_lshlrev_b32 v3, 16, v24 :: v_dual_lshlrev_b32 v2, 20, v2
	v_lshl_add_u32 v4, v4, 23, 0x3c000000
	s_delay_alu instid0(VALU_DEP_2) | instskip(SKIP_1) | instid1(VALU_DEP_1)
	v_and_b32_e32 v3, 0x80000000, v3
	s_wait_loadcnt 0x0
	v_or3_b32 v7, v2, v3, v4
	scratch_store_b64 off, v[6:7], s32 offset:592 ; 8-byte Folded Spill
.LBB357_960:                            ;   in Loop: Header=BB357_15 Depth=1
	s_wait_xcnt 0x0
	s_or_b32 exec_lo, exec_lo, s18
.LBB357_961:                            ;   in Loop: Header=BB357_15 Depth=1
	s_delay_alu instid0(SALU_CYCLE_1)
	s_or_b32 exec_lo, exec_lo, s17
.LBB357_962:                            ;   in Loop: Header=BB357_15 Depth=1
	s_delay_alu instid0(SALU_CYCLE_1) | instskip(SKIP_3) | instid1(VALU_DEP_2)
	s_or_b32 exec_lo, exec_lo, s16
	v_dual_mov_b32 v7, 0 :: v_dual_lshrrev_b32 v4, 16, v1
	v_mov_b32_e32 v6, 0
	s_mov_b32 s16, exec_lo
	v_and_b32_e32 v2, 0xff, v4
	scratch_store_b64 off, v[6:7], s32 offset:600 ; 8-byte Folded Spill
	s_wait_xcnt 0x0
	v_cmpx_ne_u16_e32 0, v2
	s_cbranch_execz .LBB357_970
; %bb.963:                              ;   in Loop: Header=BB357_15 Depth=1
	v_cmp_ne_u16_e64 s1, 0x80, v2
	scratch_load_b64 v[2:3], off, s32 offset:600 ; 8-byte Folded Reload
	s_wait_loadcnt 0x0
	v_bfrev_b32_e32 v2, 1
	scratch_store_b64 off, v[2:3], s32 offset:600 ; 8-byte Folded Spill
	s_wait_xcnt 0x0
	s_and_saveexec_b32 s17, s1
	s_cbranch_execz .LBB357_969
; %bb.964:                              ;   in Loop: Header=BB357_15 Depth=1
	scratch_load_b64 v[6:7], off, s32 offset:600 ; 8-byte Folded Reload
	v_bfe_u32 v2, v1, 16, 7
	s_wait_loadcnt 0x0
	v_mov_b32_e32 v6, 0x7f800001
	s_mov_b32 s18, exec_lo
	scratch_store_b64 off, v[6:7], s32 offset:600 ; 8-byte Folded Spill
	s_wait_xcnt 0x0
	v_cmpx_ne_u32_e32 0x7f, v2
	s_cbranch_execz .LBB357_968
; %bb.965:                              ;   in Loop: Header=BB357_15 Depth=1
	v_dual_lshrrev_b32 v5, 3, v2 :: v_dual_bitop2_b32 v24, 7, v4 bitop3:0x40
	v_cmp_gt_u32_e64 s1, 8, v2
	s_delay_alu instid0(VALU_DEP_2)
	v_mov_b64_e32 v[2:3], v[24:25]
	s_and_saveexec_b32 s19, s1
; %bb.966:                              ;   in Loop: Header=BB357_15 Depth=1
	v_clz_i32_u32_e32 v2, v24
	s_delay_alu instid0(VALU_DEP_1) | instskip(NEXT) | instid1(VALU_DEP_1)
	v_min_u32_e32 v5, 32, v2
	v_subrev_nc_u32_e32 v2, 28, v5
	s_delay_alu instid0(VALU_DEP_1) | instskip(NEXT) | instid1(VALU_DEP_1)
	v_lshlrev_b64_e32 v[2:3], v2, v[24:25]
	v_dual_sub_nc_u32 v5, 29, v5 :: v_dual_bitop2_b32 v2, 7, v2 bitop3:0x40
; %bb.967:                              ;   in Loop: Header=BB357_15 Depth=1
	s_or_b32 exec_lo, exec_lo, s19
	scratch_load_b64 v[6:7], off, s32 offset:600 ; 8-byte Folded Reload
	v_dual_lshlrev_b32 v3, 24, v4 :: v_dual_lshlrev_b32 v2, 20, v2
	v_lshl_add_u32 v4, v5, 23, 0x3c000000
	s_delay_alu instid0(VALU_DEP_2) | instskip(SKIP_1) | instid1(VALU_DEP_1)
	v_and_b32_e32 v3, 0x80000000, v3
	s_wait_loadcnt 0x0
	v_or3_b32 v6, v2, v3, v4
	scratch_store_b64 off, v[6:7], s32 offset:600 ; 8-byte Folded Spill
.LBB357_968:                            ;   in Loop: Header=BB357_15 Depth=1
	s_wait_xcnt 0x0
	s_or_b32 exec_lo, exec_lo, s18
.LBB357_969:                            ;   in Loop: Header=BB357_15 Depth=1
	s_delay_alu instid0(SALU_CYCLE_1)
	s_or_b32 exec_lo, exec_lo, s17
.LBB357_970:                            ;   in Loop: Header=BB357_15 Depth=1
	s_delay_alu instid0(SALU_CYCLE_1) | instskip(NEXT) | instid1(SALU_CYCLE_1)
	s_or_b32 exec_lo, exec_lo, s16
	s_mov_b32 s16, exec_lo
	v_cmpx_lt_u64_e64 s[8:9], v[0:1]
	s_cbranch_execz .LBB357_978
; %bb.971:                              ;   in Loop: Header=BB357_15 Depth=1
	scratch_load_b64 v[4:5], off, s32 offset:600 ; 8-byte Folded Reload
	v_lshrrev_b32_e32 v2, 24, v1
	s_wait_loadcnt 0x0
	v_bfrev_b32_e32 v5, 1
	s_mov_b32 s17, exec_lo
	scratch_store_b64 off, v[4:5], s32 offset:600 ; 8-byte Folded Spill
	s_wait_xcnt 0x0
	v_cmpx_ne_u32_e32 0x80, v2
	s_cbranch_execz .LBB357_977
; %bb.972:                              ;   in Loop: Header=BB357_15 Depth=1
	scratch_load_b64 v[4:5], off, s32 offset:600 ; 8-byte Folded Reload
	v_bfe_u32 v0, v1, 24, 7
	s_wait_loadcnt 0x0
	v_mov_b32_e32 v5, 0x7f800001
	s_mov_b32 s18, exec_lo
	scratch_store_b64 off, v[4:5], s32 offset:600 ; 8-byte Folded Spill
	s_wait_xcnt 0x0
	v_cmpx_ne_u32_e32 0x7f, v0
	s_cbranch_execz .LBB357_976
; %bb.973:                              ;   in Loop: Header=BB357_15 Depth=1
	v_dual_lshrrev_b32 v3, 3, v0 :: v_dual_bitop2_b32 v24, 7, v2 bitop3:0x40
	v_cmp_gt_u32_e64 s1, 8, v0
	s_delay_alu instid0(VALU_DEP_2)
	v_mov_b64_e32 v[0:1], v[24:25]
	s_and_saveexec_b32 s19, s1
; %bb.974:                              ;   in Loop: Header=BB357_15 Depth=1
	v_clz_i32_u32_e32 v0, v24
	s_delay_alu instid0(VALU_DEP_1) | instskip(NEXT) | instid1(VALU_DEP_1)
	v_min_u32_e32 v3, 32, v0
	v_subrev_nc_u32_e32 v0, 28, v3
	s_delay_alu instid0(VALU_DEP_1) | instskip(NEXT) | instid1(VALU_DEP_1)
	v_lshlrev_b64_e32 v[0:1], v0, v[24:25]
	v_dual_sub_nc_u32 v3, 29, v3 :: v_dual_bitop2_b32 v0, 7, v0 bitop3:0x40
; %bb.975:                              ;   in Loop: Header=BB357_15 Depth=1
	s_or_b32 exec_lo, exec_lo, s19
	scratch_load_b64 v[4:5], off, s32 offset:600 ; 8-byte Folded Reload
	v_dual_lshlrev_b32 v1, 24, v2 :: v_dual_lshlrev_b32 v0, 20, v0
	v_lshl_add_u32 v2, v3, 23, 0x3c000000
	s_delay_alu instid0(VALU_DEP_2) | instskip(SKIP_1) | instid1(VALU_DEP_1)
	v_and_b32_e32 v1, 0x80000000, v1
	s_wait_loadcnt 0x0
	v_or3_b32 v5, v0, v1, v2
	scratch_store_b64 off, v[4:5], s32 offset:600 ; 8-byte Folded Spill
.LBB357_976:                            ;   in Loop: Header=BB357_15 Depth=1
	s_wait_xcnt 0x0
	s_or_b32 exec_lo, exec_lo, s18
.LBB357_977:                            ;   in Loop: Header=BB357_15 Depth=1
	s_delay_alu instid0(SALU_CYCLE_1)
	s_or_b32 exec_lo, exec_lo, s17
.LBB357_978:                            ;   in Loop: Header=BB357_15 Depth=1
	s_delay_alu instid0(SALU_CYCLE_1)
	s_or_b32 exec_lo, exec_lo, s16
	flat_load_b64 v[0:1], v[102:103] offset:3592
	v_dual_mov_b32 v109, 0 :: v_dual_mov_b32 v108, 0
	s_mov_b32 s16, exec_lo
	s_wait_loadcnt_dscnt 0x0
	v_and_b32_e32 v2, 0xff, v0
	s_wait_xcnt 0x0
	s_delay_alu instid0(VALU_DEP_1)
	v_cmpx_ne_u16_e32 0, v2
	s_cbranch_execz .LBB357_986
; %bb.979:                              ;   in Loop: Header=BB357_15 Depth=1
	v_bfrev_b32_e32 v108, 1
	s_mov_b32 s17, exec_lo
	v_cmpx_ne_u16_e32 0x80, v2
	s_cbranch_execz .LBB357_985
; %bb.980:                              ;   in Loop: Header=BB357_15 Depth=1
	v_and_b32_e32 v2, 0x7f, v0
	v_mov_b32_e32 v108, 0x7f800001
	s_mov_b32 s18, exec_lo
	s_delay_alu instid0(VALU_DEP_2)
	v_cmpx_ne_u32_e32 0x7f, v2
	s_cbranch_execz .LBB357_984
; %bb.981:                              ;   in Loop: Header=BB357_15 Depth=1
	v_lshrrev_b32_e32 v4, 3, v2
	v_cmp_gt_u32_e64 s1, 8, v2
	v_mov_b64_e32 v[2:3], v[0:1]
	s_and_saveexec_b32 s19, s1
; %bb.982:                              ;   in Loop: Header=BB357_15 Depth=1
	v_and_b32_e32 v2, 7, v0
	s_delay_alu instid0(VALU_DEP_1) | instskip(NEXT) | instid1(VALU_DEP_1)
	v_clz_i32_u32_e32 v2, v2
	v_min_u32_e32 v4, 32, v2
	s_delay_alu instid0(VALU_DEP_1) | instskip(SKIP_1) | instid1(VALU_DEP_2)
	v_subrev_nc_u32_e32 v2, 28, v4
	v_sub_nc_u32_e32 v4, 29, v4
	v_lshlrev_b64_e32 v[2:3], v2, v[0:1]
; %bb.983:                              ;   in Loop: Header=BB357_15 Depth=1
	s_or_b32 exec_lo, exec_lo, s19
	s_delay_alu instid0(VALU_DEP_1) | instskip(NEXT) | instid1(VALU_DEP_3)
	v_dual_lshlrev_b32 v2, 20, v2 :: v_dual_lshlrev_b32 v3, 24, v0
	v_lshl_add_u32 v4, v4, 23, 0x3c000000
	s_delay_alu instid0(VALU_DEP_2) | instskip(NEXT) | instid1(VALU_DEP_3)
	v_and_b32_e32 v2, 0x700000, v2
	v_and_b32_e32 v3, 0x80000000, v3
	s_delay_alu instid0(VALU_DEP_1)
	v_or3_b32 v108, v2, v3, v4
.LBB357_984:                            ;   in Loop: Header=BB357_15 Depth=1
	s_or_b32 exec_lo, exec_lo, s18
.LBB357_985:                            ;   in Loop: Header=BB357_15 Depth=1
	s_delay_alu instid0(SALU_CYCLE_1)
	s_or_b32 exec_lo, exec_lo, s17
.LBB357_986:                            ;   in Loop: Header=BB357_15 Depth=1
	s_delay_alu instid0(SALU_CYCLE_1) | instskip(SKIP_2) | instid1(VALU_DEP_1)
	s_or_b32 exec_lo, exec_lo, s16
	v_lshrrev_b16 v2, 8, v0
	s_mov_b32 s16, exec_lo
	v_cmpx_ne_u16_e32 0, v2
	s_cbranch_execz .LBB357_994
; %bb.987:                              ;   in Loop: Header=BB357_15 Depth=1
	v_bfrev_b32_e32 v109, 1
	s_mov_b32 s17, exec_lo
	v_cmpx_ne_u16_e32 0x80, v2
	s_cbranch_execz .LBB357_993
; %bb.988:                              ;   in Loop: Header=BB357_15 Depth=1
	v_and_b32_e32 v2, 0xffff, v2
	v_mov_b32_e32 v109, 0x7f800001
	s_mov_b32 s18, exec_lo
	s_delay_alu instid0(VALU_DEP_2) | instskip(NEXT) | instid1(VALU_DEP_1)
	v_and_b32_e32 v4, 0x7f, v2
	v_cmpx_ne_u32_e32 0x7f, v4
	s_cbranch_execz .LBB357_992
; %bb.989:                              ;   in Loop: Header=BB357_15 Depth=1
	v_and_b32_e32 v24, 7, v2
	s_mov_b32 s19, exec_lo
	s_delay_alu instid0(VALU_DEP_1)
	v_mov_b64_e32 v[2:3], v[24:25]
	v_lshrrev_b32_e32 v3, 3, v4
	v_cmpx_gt_u32_e32 8, v4
; %bb.990:                              ;   in Loop: Header=BB357_15 Depth=1
	v_clz_i32_u32_e32 v2, v24
	s_delay_alu instid0(VALU_DEP_1) | instskip(NEXT) | instid1(VALU_DEP_1)
	v_min_u32_e32 v4, 32, v2
	v_subrev_nc_u32_e32 v2, 28, v4
	s_delay_alu instid0(VALU_DEP_1) | instskip(NEXT) | instid1(VALU_DEP_1)
	v_lshlrev_b64_e32 v[2:3], v2, v[24:25]
	v_dual_sub_nc_u32 v3, 29, v4 :: v_dual_bitop2_b32 v2, 7, v2 bitop3:0x40
; %bb.991:                              ;   in Loop: Header=BB357_15 Depth=1
	s_or_b32 exec_lo, exec_lo, s19
	s_delay_alu instid0(VALU_DEP_1) | instskip(NEXT) | instid1(VALU_DEP_2)
	v_dual_lshlrev_b32 v4, 16, v0 :: v_dual_lshlrev_b32 v2, 20, v2
	v_lshl_add_u32 v3, v3, 23, 0x3c000000
	s_delay_alu instid0(VALU_DEP_2) | instskip(NEXT) | instid1(VALU_DEP_1)
	v_and_b32_e32 v4, 0x80000000, v4
	v_or3_b32 v109, v2, v4, v3
.LBB357_992:                            ;   in Loop: Header=BB357_15 Depth=1
	s_or_b32 exec_lo, exec_lo, s18
.LBB357_993:                            ;   in Loop: Header=BB357_15 Depth=1
	s_delay_alu instid0(SALU_CYCLE_1)
	s_or_b32 exec_lo, exec_lo, s17
.LBB357_994:                            ;   in Loop: Header=BB357_15 Depth=1
	s_delay_alu instid0(SALU_CYCLE_1) | instskip(SKIP_3) | instid1(VALU_DEP_2)
	s_or_b32 exec_lo, exec_lo, s16
	v_dual_mov_b32 v121, 0 :: v_dual_lshrrev_b32 v4, 16, v0
	v_mov_b32_e32 v120, 0
	s_mov_b32 s16, exec_lo
	v_and_b32_e32 v2, 0xff, v4
	s_delay_alu instid0(VALU_DEP_1)
	v_cmpx_ne_u16_e32 0, v2
	s_cbranch_execz .LBB357_1002
; %bb.995:                              ;   in Loop: Header=BB357_15 Depth=1
	v_bfrev_b32_e32 v120, 1
	s_mov_b32 s17, exec_lo
	v_cmpx_ne_u16_e32 0x80, v2
	s_cbranch_execz .LBB357_1001
; %bb.996:                              ;   in Loop: Header=BB357_15 Depth=1
	v_bfe_u32 v5, v0, 16, 7
	v_mov_b32_e32 v120, 0x7f800001
	s_mov_b32 s18, exec_lo
	s_delay_alu instid0(VALU_DEP_2)
	v_cmpx_ne_u32_e32 0x7f, v5
	s_cbranch_execz .LBB357_1000
; %bb.997:                              ;   in Loop: Header=BB357_15 Depth=1
	v_and_b32_e32 v24, 7, v4
	s_mov_b32 s19, exec_lo
	s_delay_alu instid0(VALU_DEP_1)
	v_mov_b64_e32 v[2:3], v[24:25]
	v_lshrrev_b32_e32 v3, 3, v5
	v_cmpx_gt_u32_e32 8, v5
; %bb.998:                              ;   in Loop: Header=BB357_15 Depth=1
	v_clz_i32_u32_e32 v2, v24
	s_delay_alu instid0(VALU_DEP_1) | instskip(NEXT) | instid1(VALU_DEP_1)
	v_min_u32_e32 v5, 32, v2
	v_subrev_nc_u32_e32 v2, 28, v5
	s_delay_alu instid0(VALU_DEP_1) | instskip(NEXT) | instid1(VALU_DEP_1)
	v_lshlrev_b64_e32 v[2:3], v2, v[24:25]
	v_dual_sub_nc_u32 v3, 29, v5 :: v_dual_bitop2_b32 v2, 7, v2 bitop3:0x40
; %bb.999:                              ;   in Loop: Header=BB357_15 Depth=1
	s_or_b32 exec_lo, exec_lo, s19
	s_delay_alu instid0(VALU_DEP_1) | instskip(NEXT) | instid1(VALU_DEP_2)
	v_dual_lshlrev_b32 v4, 24, v4 :: v_dual_lshlrev_b32 v2, 20, v2
	v_lshl_add_u32 v3, v3, 23, 0x3c000000
	s_delay_alu instid0(VALU_DEP_2) | instskip(NEXT) | instid1(VALU_DEP_1)
	v_and_b32_e32 v4, 0x80000000, v4
	v_or3_b32 v120, v2, v4, v3
.LBB357_1000:                           ;   in Loop: Header=BB357_15 Depth=1
	s_or_b32 exec_lo, exec_lo, s18
.LBB357_1001:                           ;   in Loop: Header=BB357_15 Depth=1
	s_delay_alu instid0(SALU_CYCLE_1)
	s_or_b32 exec_lo, exec_lo, s17
.LBB357_1002:                           ;   in Loop: Header=BB357_15 Depth=1
	s_delay_alu instid0(SALU_CYCLE_1) | instskip(NEXT) | instid1(SALU_CYCLE_1)
	s_or_b32 exec_lo, exec_lo, s16
	s_mov_b32 s16, exec_lo
	v_cmpx_lt_u32_e32 0xffffff, v0
	s_cbranch_execz .LBB357_1010
; %bb.1003:                             ;   in Loop: Header=BB357_15 Depth=1
	v_lshrrev_b32_e32 v4, 24, v0
	v_bfrev_b32_e32 v121, 1
	s_mov_b32 s17, exec_lo
	s_delay_alu instid0(VALU_DEP_2)
	v_cmpx_ne_u32_e32 0x80, v4
	s_cbranch_execz .LBB357_1009
; %bb.1004:                             ;   in Loop: Header=BB357_15 Depth=1
	v_bfe_u32 v5, v0, 24, 7
	v_mov_b32_e32 v121, 0x7f800001
	s_mov_b32 s18, exec_lo
	s_delay_alu instid0(VALU_DEP_2)
	v_cmpx_ne_u32_e32 0x7f, v5
	s_cbranch_execz .LBB357_1008
; %bb.1005:                             ;   in Loop: Header=BB357_15 Depth=1
	v_and_b32_e32 v24, 7, v4
	s_mov_b32 s19, exec_lo
	s_delay_alu instid0(VALU_DEP_1)
	v_mov_b64_e32 v[2:3], v[24:25]
	v_lshrrev_b32_e32 v3, 3, v5
	v_cmpx_gt_u32_e32 8, v5
; %bb.1006:                             ;   in Loop: Header=BB357_15 Depth=1
	v_clz_i32_u32_e32 v2, v24
	s_delay_alu instid0(VALU_DEP_1) | instskip(NEXT) | instid1(VALU_DEP_1)
	v_min_u32_e32 v5, 32, v2
	v_subrev_nc_u32_e32 v2, 28, v5
	s_delay_alu instid0(VALU_DEP_1) | instskip(NEXT) | instid1(VALU_DEP_1)
	v_lshlrev_b64_e32 v[2:3], v2, v[24:25]
	v_dual_sub_nc_u32 v3, 29, v5 :: v_dual_bitop2_b32 v2, 7, v2 bitop3:0x40
; %bb.1007:                             ;   in Loop: Header=BB357_15 Depth=1
	s_or_b32 exec_lo, exec_lo, s19
	s_delay_alu instid0(VALU_DEP_1) | instskip(NEXT) | instid1(VALU_DEP_2)
	v_dual_lshlrev_b32 v4, 24, v4 :: v_dual_lshlrev_b32 v2, 20, v2
	v_lshl_add_u32 v3, v3, 23, 0x3c000000
	s_delay_alu instid0(VALU_DEP_2) | instskip(NEXT) | instid1(VALU_DEP_1)
	v_and_b32_e32 v4, 0x80000000, v4
	v_or3_b32 v121, v2, v4, v3
.LBB357_1008:                           ;   in Loop: Header=BB357_15 Depth=1
	s_or_b32 exec_lo, exec_lo, s18
.LBB357_1009:                           ;   in Loop: Header=BB357_15 Depth=1
	s_delay_alu instid0(SALU_CYCLE_1)
	s_or_b32 exec_lo, exec_lo, s17
.LBB357_1010:                           ;   in Loop: Header=BB357_15 Depth=1
	s_delay_alu instid0(SALU_CYCLE_1)
	s_or_b32 exec_lo, exec_lo, s16
	v_and_b32_e32 v2, 0xff, v1
	v_dual_mov_b32 v24, v1 :: v_dual_mov_b32 v5, 0
	v_mov_b32_e32 v4, 0
	s_mov_b32 s16, exec_lo
	scratch_store_b64 off, v[4:5], s32 offset:620 ; 8-byte Folded Spill
	s_wait_xcnt 0x0
	v_cmpx_ne_u16_e32 0, v2
	s_cbranch_execz .LBB357_1018
; %bb.1011:                             ;   in Loop: Header=BB357_15 Depth=1
	v_cmp_ne_u16_e64 s1, 0x80, v2
	scratch_load_b64 v[2:3], off, s32 offset:620 th:TH_LOAD_LU ; 8-byte Folded Reload
	s_wait_loadcnt 0x0
	v_bfrev_b32_e32 v2, 1
	s_wait_xcnt 0x0
	s_and_saveexec_b32 s17, s1
	s_cbranch_execz .LBB357_1017
; %bb.1012:                             ;   in Loop: Header=BB357_15 Depth=1
	v_and_b32_e32 v4, 0x7f, v1
	v_mov_b32_e32 v2, 0x7f800001
	s_mov_b32 s18, exec_lo
	s_delay_alu instid0(VALU_DEP_2)
	v_cmpx_ne_u32_e32 0x7f, v4
	s_cbranch_execz .LBB357_1016
; %bb.1013:                             ;   in Loop: Header=BB357_15 Depth=1
	v_mov_b32_e32 v5, v3
	v_mov_b64_e32 v[2:3], v[24:25]
	v_lshrrev_b32_e32 v3, 3, v4
	s_mov_b32 s19, exec_lo
	v_cmpx_gt_u32_e32 8, v4
; %bb.1014:                             ;   in Loop: Header=BB357_15 Depth=1
	v_and_b32_e32 v2, 7, v1
	s_delay_alu instid0(VALU_DEP_1) | instskip(NEXT) | instid1(VALU_DEP_1)
	v_clz_i32_u32_e32 v2, v2
	v_min_u32_e32 v4, 32, v2
	s_delay_alu instid0(VALU_DEP_1) | instskip(NEXT) | instid1(VALU_DEP_1)
	v_subrev_nc_u32_e32 v2, 28, v4
	v_lshlrev_b64_e32 v[2:3], v2, v[24:25]
	v_sub_nc_u32_e32 v3, 29, v4
; %bb.1015:                             ;   in Loop: Header=BB357_15 Depth=1
	s_or_b32 exec_lo, exec_lo, s19
	s_delay_alu instid0(VALU_DEP_2) | instskip(NEXT) | instid1(VALU_DEP_2)
	v_dual_lshlrev_b32 v2, 20, v2 :: v_dual_lshlrev_b32 v4, 24, v24
	v_lshl_add_u32 v3, v3, 23, 0x3c000000
	s_delay_alu instid0(VALU_DEP_2) | instskip(NEXT) | instid1(VALU_DEP_3)
	v_and_b32_e32 v2, 0x700000, v2
	v_and_b32_e32 v4, 0x80000000, v4
	s_delay_alu instid0(VALU_DEP_1) | instskip(NEXT) | instid1(VALU_DEP_1)
	v_or3_b32 v4, v2, v4, v3
	v_mov_b64_e32 v[2:3], v[4:5]
.LBB357_1016:                           ;   in Loop: Header=BB357_15 Depth=1
	s_or_b32 exec_lo, exec_lo, s18
.LBB357_1017:                           ;   in Loop: Header=BB357_15 Depth=1
	s_delay_alu instid0(SALU_CYCLE_1)
	s_or_b32 exec_lo, exec_lo, s17
	scratch_store_b64 off, v[2:3], s32 offset:620 ; 8-byte Folded Spill
.LBB357_1018:                           ;   in Loop: Header=BB357_15 Depth=1
	s_wait_xcnt 0x0
	s_or_b32 exec_lo, exec_lo, s16
	v_lshrrev_b16 v2, 8, v24
	s_mov_b32 s16, exec_lo
	s_delay_alu instid0(VALU_DEP_1)
	v_cmpx_ne_u16_e32 0, v2
	s_cbranch_execz .LBB357_1026
; %bb.1019:                             ;   in Loop: Header=BB357_15 Depth=1
	scratch_load_b64 v[4:5], off, s32 offset:620 ; 8-byte Folded Reload
	s_wait_loadcnt 0x0
	v_bfrev_b32_e32 v5, 1
	s_mov_b32 s17, exec_lo
	scratch_store_b64 off, v[4:5], s32 offset:620 ; 8-byte Folded Spill
	s_wait_xcnt 0x0
	v_cmpx_ne_u16_e32 0x80, v2
	s_cbranch_execz .LBB357_1025
; %bb.1020:                             ;   in Loop: Header=BB357_15 Depth=1
	scratch_load_b64 v[6:7], off, s32 offset:620 ; 8-byte Folded Reload
	v_and_b32_e32 v2, 0xffff, v2
	s_wait_loadcnt 0x0
	v_mov_b32_e32 v7, 0x7f800001
	s_mov_b32 s18, exec_lo
	s_delay_alu instid0(VALU_DEP_2)
	v_and_b32_e32 v5, 0x7f, v2
	scratch_store_b64 off, v[6:7], s32 offset:620 ; 8-byte Folded Spill
	s_wait_xcnt 0x0
	v_cmpx_ne_u32_e32 0x7f, v5
	s_cbranch_execz .LBB357_1024
; %bb.1021:                             ;   in Loop: Header=BB357_15 Depth=1
	v_dual_mov_b32 v3, v25 :: v_dual_bitop2_b32 v2, 7, v2 bitop3:0x40
	v_lshrrev_b32_e32 v4, 3, v5
	s_mov_b32 s19, exec_lo
	v_cmpx_gt_u32_e32 8, v5
; %bb.1022:                             ;   in Loop: Header=BB357_15 Depth=1
	s_delay_alu instid0(VALU_DEP_3) | instskip(NEXT) | instid1(VALU_DEP_1)
	v_clz_i32_u32_e32 v4, v2
	v_min_u32_e32 v4, 32, v4
	s_delay_alu instid0(VALU_DEP_1) | instskip(NEXT) | instid1(VALU_DEP_1)
	v_subrev_nc_u32_e32 v5, 28, v4
	v_lshlrev_b64_e32 v[2:3], v5, v[2:3]
	s_delay_alu instid0(VALU_DEP_1)
	v_dual_sub_nc_u32 v4, 29, v4 :: v_dual_bitop2_b32 v2, 7, v2 bitop3:0x40
; %bb.1023:                             ;   in Loop: Header=BB357_15 Depth=1
	s_or_b32 exec_lo, exec_lo, s19
	scratch_load_b64 v[6:7], off, s32 offset:620 ; 8-byte Folded Reload
	v_dual_lshlrev_b32 v3, 16, v24 :: v_dual_lshlrev_b32 v2, 20, v2
	v_lshl_add_u32 v4, v4, 23, 0x3c000000
	s_delay_alu instid0(VALU_DEP_2) | instskip(SKIP_1) | instid1(VALU_DEP_1)
	v_and_b32_e32 v3, 0x80000000, v3
	s_wait_loadcnt 0x0
	v_or3_b32 v7, v2, v3, v4
	scratch_store_b64 off, v[6:7], s32 offset:620 ; 8-byte Folded Spill
.LBB357_1024:                           ;   in Loop: Header=BB357_15 Depth=1
	s_wait_xcnt 0x0
	s_or_b32 exec_lo, exec_lo, s18
.LBB357_1025:                           ;   in Loop: Header=BB357_15 Depth=1
	s_delay_alu instid0(SALU_CYCLE_1)
	s_or_b32 exec_lo, exec_lo, s17
.LBB357_1026:                           ;   in Loop: Header=BB357_15 Depth=1
	s_delay_alu instid0(SALU_CYCLE_1) | instskip(SKIP_3) | instid1(VALU_DEP_2)
	s_or_b32 exec_lo, exec_lo, s16
	v_dual_mov_b32 v7, 0 :: v_dual_lshrrev_b32 v4, 16, v1
	v_mov_b32_e32 v6, 0
	s_mov_b32 s16, exec_lo
	v_and_b32_e32 v2, 0xff, v4
	scratch_store_b64 off, v[6:7], s32 offset:628 ; 8-byte Folded Spill
	s_wait_xcnt 0x0
	v_cmpx_ne_u16_e32 0, v2
	s_cbranch_execz .LBB357_1034
; %bb.1027:                             ;   in Loop: Header=BB357_15 Depth=1
	scratch_load_b64 v[6:7], off, s32 offset:628 th:TH_LOAD_LU ; 8-byte Folded Reload
	s_wait_loadcnt 0x0
	v_bfrev_b32_e32 v6, 1
	s_mov_b32 s17, exec_lo
	s_wait_xcnt 0x0
	v_cmpx_ne_u16_e32 0x80, v2
	s_cbranch_execz .LBB357_1033
; %bb.1028:                             ;   in Loop: Header=BB357_15 Depth=1
	v_bfe_u32 v5, v1, 16, 7
	v_mov_b32_e32 v6, 0x7f800001
	s_mov_b32 s18, exec_lo
	s_delay_alu instid0(VALU_DEP_2)
	v_cmpx_ne_u32_e32 0x7f, v5
	s_cbranch_execz .LBB357_1032
; %bb.1029:                             ;   in Loop: Header=BB357_15 Depth=1
	v_and_b32_e32 v24, 7, v4
	s_mov_b32 s19, exec_lo
	s_delay_alu instid0(VALU_DEP_1)
	v_mov_b64_e32 v[2:3], v[24:25]
	v_lshrrev_b32_e32 v3, 3, v5
	v_cmpx_gt_u32_e32 8, v5
; %bb.1030:                             ;   in Loop: Header=BB357_15 Depth=1
	v_clz_i32_u32_e32 v2, v24
	s_delay_alu instid0(VALU_DEP_1) | instskip(NEXT) | instid1(VALU_DEP_1)
	v_min_u32_e32 v5, 32, v2
	v_subrev_nc_u32_e32 v2, 28, v5
	s_delay_alu instid0(VALU_DEP_1) | instskip(NEXT) | instid1(VALU_DEP_1)
	v_lshlrev_b64_e32 v[2:3], v2, v[24:25]
	v_dual_sub_nc_u32 v3, 29, v5 :: v_dual_bitop2_b32 v2, 7, v2 bitop3:0x40
; %bb.1031:                             ;   in Loop: Header=BB357_15 Depth=1
	s_or_b32 exec_lo, exec_lo, s19
	s_delay_alu instid0(VALU_DEP_1) | instskip(NEXT) | instid1(VALU_DEP_2)
	v_dual_lshlrev_b32 v4, 24, v4 :: v_dual_lshlrev_b32 v2, 20, v2
	v_lshl_add_u32 v3, v3, 23, 0x3c000000
	s_delay_alu instid0(VALU_DEP_2) | instskip(NEXT) | instid1(VALU_DEP_1)
	v_and_b32_e32 v4, 0x80000000, v4
	v_or3_b32 v6, v2, v4, v3
.LBB357_1032:                           ;   in Loop: Header=BB357_15 Depth=1
	s_or_b32 exec_lo, exec_lo, s18
.LBB357_1033:                           ;   in Loop: Header=BB357_15 Depth=1
	s_delay_alu instid0(SALU_CYCLE_1)
	s_or_b32 exec_lo, exec_lo, s17
	scratch_store_b64 off, v[6:7], s32 offset:628 ; 8-byte Folded Spill
.LBB357_1034:                           ;   in Loop: Header=BB357_15 Depth=1
	s_wait_xcnt 0x0
	s_or_b32 exec_lo, exec_lo, s16
	s_delay_alu instid0(SALU_CYCLE_1)
	s_mov_b32 s16, exec_lo
	v_cmpx_lt_u64_e64 s[8:9], v[0:1]
	s_cbranch_execz .LBB357_1042
; %bb.1035:                             ;   in Loop: Header=BB357_15 Depth=1
	scratch_load_b64 v[4:5], off, s32 offset:628 ; 8-byte Folded Reload
	v_lshrrev_b32_e32 v2, 24, v1
	s_wait_loadcnt 0x0
	v_bfrev_b32_e32 v5, 1
	s_mov_b32 s17, exec_lo
	scratch_store_b64 off, v[4:5], s32 offset:628 ; 8-byte Folded Spill
	s_wait_xcnt 0x0
	v_cmpx_ne_u32_e32 0x80, v2
	s_cbranch_execz .LBB357_1041
; %bb.1036:                             ;   in Loop: Header=BB357_15 Depth=1
	v_bfe_u32 v3, v1, 24, 7
	scratch_load_b64 v[0:1], off, s32 offset:628 ; 8-byte Folded Reload
	s_wait_loadcnt 0x0
	v_mov_b32_e32 v1, 0x7f800001
	s_mov_b32 s18, exec_lo
	scratch_store_b64 off, v[0:1], s32 offset:628 ; 8-byte Folded Spill
	s_wait_xcnt 0x0
	v_cmpx_ne_u32_e32 0x7f, v3
	s_cbranch_execz .LBB357_1040
; %bb.1037:                             ;   in Loop: Header=BB357_15 Depth=1
	v_and_b32_e32 v24, 7, v2
	s_mov_b32 s19, exec_lo
	s_delay_alu instid0(VALU_DEP_1)
	v_mov_b64_e32 v[0:1], v[24:25]
	v_lshrrev_b32_e32 v1, 3, v3
	v_cmpx_gt_u32_e32 8, v3
; %bb.1038:                             ;   in Loop: Header=BB357_15 Depth=1
	v_clz_i32_u32_e32 v0, v24
	s_delay_alu instid0(VALU_DEP_1) | instskip(NEXT) | instid1(VALU_DEP_1)
	v_min_u32_e32 v3, 32, v0
	v_subrev_nc_u32_e32 v0, 28, v3
	s_delay_alu instid0(VALU_DEP_1) | instskip(NEXT) | instid1(VALU_DEP_1)
	v_lshlrev_b64_e32 v[0:1], v0, v[24:25]
	v_dual_sub_nc_u32 v1, 29, v3 :: v_dual_bitop2_b32 v0, 7, v0 bitop3:0x40
; %bb.1039:                             ;   in Loop: Header=BB357_15 Depth=1
	s_or_b32 exec_lo, exec_lo, s19
	scratch_load_b64 v[4:5], off, s32 offset:628 ; 8-byte Folded Reload
	v_dual_lshlrev_b32 v2, 24, v2 :: v_dual_lshlrev_b32 v0, 20, v0
	v_lshl_add_u32 v1, v1, 23, 0x3c000000
	s_delay_alu instid0(VALU_DEP_2) | instskip(SKIP_1) | instid1(VALU_DEP_1)
	v_and_b32_e32 v2, 0x80000000, v2
	s_wait_loadcnt 0x0
	v_or3_b32 v5, v0, v2, v1
	scratch_store_b64 off, v[4:5], s32 offset:628 ; 8-byte Folded Spill
.LBB357_1040:                           ;   in Loop: Header=BB357_15 Depth=1
	s_wait_xcnt 0x0
	s_or_b32 exec_lo, exec_lo, s18
.LBB357_1041:                           ;   in Loop: Header=BB357_15 Depth=1
	s_delay_alu instid0(SALU_CYCLE_1)
	s_or_b32 exec_lo, exec_lo, s17
.LBB357_1042:                           ;   in Loop: Header=BB357_15 Depth=1
	s_delay_alu instid0(SALU_CYCLE_1)
	s_or_b32 exec_lo, exec_lo, s16
	flat_load_b64 v[0:1], v[102:103] offset:4096
	v_dual_mov_b32 v5, 0 :: v_dual_mov_b32 v4, 0
	s_mov_b32 s16, exec_lo
	s_wait_loadcnt_dscnt 0x0
	v_and_b32_e32 v2, 0xff, v0
	s_wait_xcnt 0x0
	s_delay_alu instid0(VALU_DEP_1)
	v_cmpx_ne_u16_e32 0, v2
	s_cbranch_execz .LBB357_1050
; %bb.1043:                             ;   in Loop: Header=BB357_15 Depth=1
	v_bfrev_b32_e32 v4, 1
	s_mov_b32 s17, exec_lo
	v_cmpx_ne_u16_e32 0x80, v2
	s_cbranch_execz .LBB357_1049
; %bb.1044:                             ;   in Loop: Header=BB357_15 Depth=1
	v_and_b32_e32 v2, 0x7f, v0
	v_mov_b32_e32 v4, 0x7f800001
	s_mov_b32 s18, exec_lo
	s_delay_alu instid0(VALU_DEP_2)
	v_cmpx_ne_u32_e32 0x7f, v2
	s_cbranch_execz .LBB357_1048
; %bb.1045:                             ;   in Loop: Header=BB357_15 Depth=1
	v_lshrrev_b32_e32 v4, 3, v2
	v_cmp_gt_u32_e64 s1, 8, v2
	v_mov_b64_e32 v[2:3], v[0:1]
	s_and_saveexec_b32 s19, s1
; %bb.1046:                             ;   in Loop: Header=BB357_15 Depth=1
	v_and_b32_e32 v2, 7, v0
	s_delay_alu instid0(VALU_DEP_1) | instskip(NEXT) | instid1(VALU_DEP_1)
	v_clz_i32_u32_e32 v2, v2
	v_min_u32_e32 v4, 32, v2
	s_delay_alu instid0(VALU_DEP_1) | instskip(SKIP_1) | instid1(VALU_DEP_2)
	v_subrev_nc_u32_e32 v2, 28, v4
	v_sub_nc_u32_e32 v4, 29, v4
	v_lshlrev_b64_e32 v[2:3], v2, v[0:1]
; %bb.1047:                             ;   in Loop: Header=BB357_15 Depth=1
	s_or_b32 exec_lo, exec_lo, s19
	s_delay_alu instid0(VALU_DEP_1) | instskip(NEXT) | instid1(VALU_DEP_3)
	v_dual_lshlrev_b32 v2, 20, v2 :: v_dual_lshlrev_b32 v3, 24, v0
	v_lshl_add_u32 v4, v4, 23, 0x3c000000
	s_delay_alu instid0(VALU_DEP_2) | instskip(NEXT) | instid1(VALU_DEP_3)
	v_and_b32_e32 v2, 0x700000, v2
	v_and_b32_e32 v3, 0x80000000, v3
	s_delay_alu instid0(VALU_DEP_1)
	v_or3_b32 v4, v2, v3, v4
.LBB357_1048:                           ;   in Loop: Header=BB357_15 Depth=1
	s_or_b32 exec_lo, exec_lo, s18
.LBB357_1049:                           ;   in Loop: Header=BB357_15 Depth=1
	s_delay_alu instid0(SALU_CYCLE_1)
	s_or_b32 exec_lo, exec_lo, s17
.LBB357_1050:                           ;   in Loop: Header=BB357_15 Depth=1
	s_delay_alu instid0(SALU_CYCLE_1) | instskip(SKIP_2) | instid1(VALU_DEP_1)
	s_or_b32 exec_lo, exec_lo, s16
	v_lshrrev_b16 v2, 8, v0
	s_mov_b32 s16, exec_lo
	v_cmpx_ne_u16_e32 0, v2
	s_cbranch_execz .LBB357_1058
; %bb.1051:                             ;   in Loop: Header=BB357_15 Depth=1
	v_bfrev_b32_e32 v5, 1
	s_mov_b32 s17, exec_lo
	v_cmpx_ne_u16_e32 0x80, v2
	s_cbranch_execz .LBB357_1057
; %bb.1052:                             ;   in Loop: Header=BB357_15 Depth=1
	v_and_b32_e32 v2, 0xffff, v2
	v_mov_b32_e32 v5, 0x7f800001
	s_mov_b32 s18, exec_lo
	s_delay_alu instid0(VALU_DEP_2) | instskip(NEXT) | instid1(VALU_DEP_1)
	v_and_b32_e32 v6, 0x7f, v2
	v_cmpx_ne_u32_e32 0x7f, v6
	s_cbranch_execz .LBB357_1056
; %bb.1053:                             ;   in Loop: Header=BB357_15 Depth=1
	v_and_b32_e32 v24, 7, v2
	s_mov_b32 s19, exec_lo
	s_delay_alu instid0(VALU_DEP_1)
	v_mov_b64_e32 v[2:3], v[24:25]
	v_lshrrev_b32_e32 v3, 3, v6
	v_cmpx_gt_u32_e32 8, v6
; %bb.1054:                             ;   in Loop: Header=BB357_15 Depth=1
	v_clz_i32_u32_e32 v2, v24
	s_delay_alu instid0(VALU_DEP_1) | instskip(NEXT) | instid1(VALU_DEP_1)
	v_min_u32_e32 v5, 32, v2
	v_subrev_nc_u32_e32 v2, 28, v5
	s_delay_alu instid0(VALU_DEP_1) | instskip(NEXT) | instid1(VALU_DEP_1)
	v_lshlrev_b64_e32 v[2:3], v2, v[24:25]
	v_dual_sub_nc_u32 v3, 29, v5 :: v_dual_bitop2_b32 v2, 7, v2 bitop3:0x40
; %bb.1055:                             ;   in Loop: Header=BB357_15 Depth=1
	s_or_b32 exec_lo, exec_lo, s19
	s_delay_alu instid0(VALU_DEP_1) | instskip(NEXT) | instid1(VALU_DEP_2)
	v_dual_lshlrev_b32 v5, 16, v0 :: v_dual_lshlrev_b32 v2, 20, v2
	v_lshl_add_u32 v3, v3, 23, 0x3c000000
	s_delay_alu instid0(VALU_DEP_2) | instskip(NEXT) | instid1(VALU_DEP_1)
	v_and_b32_e32 v5, 0x80000000, v5
	v_or3_b32 v5, v2, v5, v3
.LBB357_1056:                           ;   in Loop: Header=BB357_15 Depth=1
	s_or_b32 exec_lo, exec_lo, s18
.LBB357_1057:                           ;   in Loop: Header=BB357_15 Depth=1
	s_delay_alu instid0(SALU_CYCLE_1)
	s_or_b32 exec_lo, exec_lo, s17
.LBB357_1058:                           ;   in Loop: Header=BB357_15 Depth=1
	s_delay_alu instid0(SALU_CYCLE_1) | instskip(SKIP_3) | instid1(VALU_DEP_2)
	s_or_b32 exec_lo, exec_lo, s16
	v_dual_mov_b32 v65, 0 :: v_dual_lshrrev_b32 v6, 16, v0
	v_mov_b32_e32 v64, 0
	s_mov_b32 s16, exec_lo
	v_and_b32_e32 v2, 0xff, v6
	s_delay_alu instid0(VALU_DEP_1)
	v_cmpx_ne_u16_e32 0, v2
	s_cbranch_execz .LBB357_1066
; %bb.1059:                             ;   in Loop: Header=BB357_15 Depth=1
	v_bfrev_b32_e32 v64, 1
	s_mov_b32 s17, exec_lo
	v_cmpx_ne_u16_e32 0x80, v2
	s_cbranch_execz .LBB357_1065
; %bb.1060:                             ;   in Loop: Header=BB357_15 Depth=1
	v_bfe_u32 v7, v0, 16, 7
	v_mov_b32_e32 v64, 0x7f800001
	s_mov_b32 s18, exec_lo
	s_delay_alu instid0(VALU_DEP_2)
	v_cmpx_ne_u32_e32 0x7f, v7
	s_cbranch_execz .LBB357_1064
; %bb.1061:                             ;   in Loop: Header=BB357_15 Depth=1
	v_and_b32_e32 v24, 7, v6
	s_mov_b32 s19, exec_lo
	s_delay_alu instid0(VALU_DEP_1)
	v_mov_b64_e32 v[2:3], v[24:25]
	v_lshrrev_b32_e32 v3, 3, v7
	v_cmpx_gt_u32_e32 8, v7
; %bb.1062:                             ;   in Loop: Header=BB357_15 Depth=1
	v_clz_i32_u32_e32 v2, v24
	s_delay_alu instid0(VALU_DEP_1) | instskip(NEXT) | instid1(VALU_DEP_1)
	v_min_u32_e32 v7, 32, v2
	v_subrev_nc_u32_e32 v2, 28, v7
	s_delay_alu instid0(VALU_DEP_1) | instskip(NEXT) | instid1(VALU_DEP_1)
	v_lshlrev_b64_e32 v[2:3], v2, v[24:25]
	v_dual_sub_nc_u32 v3, 29, v7 :: v_dual_bitop2_b32 v2, 7, v2 bitop3:0x40
; %bb.1063:                             ;   in Loop: Header=BB357_15 Depth=1
	s_or_b32 exec_lo, exec_lo, s19
	v_lshlrev_b32_e32 v6, 24, v6
	s_delay_alu instid0(VALU_DEP_2) | instskip(NEXT) | instid1(VALU_DEP_3)
	v_lshlrev_b32_e32 v2, 20, v2
	v_lshl_add_u32 v3, v3, 23, 0x3c000000
	s_delay_alu instid0(VALU_DEP_3) | instskip(NEXT) | instid1(VALU_DEP_1)
	v_and_b32_e32 v6, 0x80000000, v6
	v_or3_b32 v64, v2, v6, v3
.LBB357_1064:                           ;   in Loop: Header=BB357_15 Depth=1
	s_or_b32 exec_lo, exec_lo, s18
.LBB357_1065:                           ;   in Loop: Header=BB357_15 Depth=1
	s_delay_alu instid0(SALU_CYCLE_1)
	s_or_b32 exec_lo, exec_lo, s17
.LBB357_1066:                           ;   in Loop: Header=BB357_15 Depth=1
	s_delay_alu instid0(SALU_CYCLE_1) | instskip(NEXT) | instid1(SALU_CYCLE_1)
	s_or_b32 exec_lo, exec_lo, s16
	s_mov_b32 s16, exec_lo
	v_cmpx_lt_u32_e32 0xffffff, v0
	s_cbranch_execz .LBB357_1074
; %bb.1067:                             ;   in Loop: Header=BB357_15 Depth=1
	v_lshrrev_b32_e32 v6, 24, v0
	v_bfrev_b32_e32 v65, 1
	s_mov_b32 s17, exec_lo
	s_delay_alu instid0(VALU_DEP_2)
	v_cmpx_ne_u32_e32 0x80, v6
	s_cbranch_execz .LBB357_1073
; %bb.1068:                             ;   in Loop: Header=BB357_15 Depth=1
	v_bfe_u32 v7, v0, 24, 7
	v_mov_b32_e32 v65, 0x7f800001
	s_mov_b32 s18, exec_lo
	s_delay_alu instid0(VALU_DEP_2)
	v_cmpx_ne_u32_e32 0x7f, v7
	s_cbranch_execz .LBB357_1072
; %bb.1069:                             ;   in Loop: Header=BB357_15 Depth=1
	v_and_b32_e32 v24, 7, v6
	s_mov_b32 s19, exec_lo
	s_delay_alu instid0(VALU_DEP_1)
	v_mov_b64_e32 v[2:3], v[24:25]
	v_lshrrev_b32_e32 v3, 3, v7
	v_cmpx_gt_u32_e32 8, v7
; %bb.1070:                             ;   in Loop: Header=BB357_15 Depth=1
	v_clz_i32_u32_e32 v2, v24
	s_delay_alu instid0(VALU_DEP_1) | instskip(NEXT) | instid1(VALU_DEP_1)
	v_min_u32_e32 v7, 32, v2
	v_subrev_nc_u32_e32 v2, 28, v7
	s_delay_alu instid0(VALU_DEP_1) | instskip(NEXT) | instid1(VALU_DEP_1)
	v_lshlrev_b64_e32 v[2:3], v2, v[24:25]
	v_dual_sub_nc_u32 v3, 29, v7 :: v_dual_bitop2_b32 v2, 7, v2 bitop3:0x40
; %bb.1071:                             ;   in Loop: Header=BB357_15 Depth=1
	s_or_b32 exec_lo, exec_lo, s19
	v_lshlrev_b32_e32 v6, 24, v6
	s_delay_alu instid0(VALU_DEP_2) | instskip(NEXT) | instid1(VALU_DEP_3)
	v_lshlrev_b32_e32 v2, 20, v2
	v_lshl_add_u32 v3, v3, 23, 0x3c000000
	s_delay_alu instid0(VALU_DEP_3) | instskip(NEXT) | instid1(VALU_DEP_1)
	v_and_b32_e32 v6, 0x80000000, v6
	v_or3_b32 v65, v2, v6, v3
.LBB357_1072:                           ;   in Loop: Header=BB357_15 Depth=1
	s_or_b32 exec_lo, exec_lo, s18
.LBB357_1073:                           ;   in Loop: Header=BB357_15 Depth=1
	s_delay_alu instid0(SALU_CYCLE_1)
	s_or_b32 exec_lo, exec_lo, s17
.LBB357_1074:                           ;   in Loop: Header=BB357_15 Depth=1
	s_delay_alu instid0(SALU_CYCLE_1) | instskip(SKIP_4) | instid1(VALU_DEP_3)
	s_or_b32 exec_lo, exec_lo, s16
	v_and_b32_e32 v2, 0xff, v1
	v_dual_mov_b32 v24, v1 :: v_dual_mov_b32 v17, 0
	v_mov_b32_e32 v16, 0
	s_mov_b32 s16, exec_lo
	v_cmpx_ne_u16_e32 0, v2
	s_cbranch_execz .LBB357_1082
; %bb.1075:                             ;   in Loop: Header=BB357_15 Depth=1
	v_bfrev_b32_e32 v16, 1
	s_mov_b32 s17, exec_lo
	v_cmpx_ne_u16_e32 0x80, v2
	s_cbranch_execz .LBB357_1081
; %bb.1076:                             ;   in Loop: Header=BB357_15 Depth=1
	v_and_b32_e32 v6, 0x7f, v1
	v_mov_b32_e32 v16, 0x7f800001
	s_mov_b32 s18, exec_lo
	s_delay_alu instid0(VALU_DEP_2)
	v_cmpx_ne_u32_e32 0x7f, v6
	s_cbranch_execz .LBB357_1080
; %bb.1077:                             ;   in Loop: Header=BB357_15 Depth=1
	v_mov_b64_e32 v[2:3], v[24:25]
	v_lshrrev_b32_e32 v3, 3, v6
	s_mov_b32 s19, exec_lo
	v_cmpx_gt_u32_e32 8, v6
; %bb.1078:                             ;   in Loop: Header=BB357_15 Depth=1
	v_and_b32_e32 v2, 7, v1
	s_delay_alu instid0(VALU_DEP_1) | instskip(NEXT) | instid1(VALU_DEP_1)
	v_clz_i32_u32_e32 v2, v2
	v_min_u32_e32 v6, 32, v2
	s_delay_alu instid0(VALU_DEP_1) | instskip(NEXT) | instid1(VALU_DEP_1)
	v_subrev_nc_u32_e32 v2, 28, v6
	v_lshlrev_b64_e32 v[2:3], v2, v[24:25]
	v_sub_nc_u32_e32 v3, 29, v6
; %bb.1079:                             ;   in Loop: Header=BB357_15 Depth=1
	s_or_b32 exec_lo, exec_lo, s19
	s_delay_alu instid0(VALU_DEP_2) | instskip(NEXT) | instid1(VALU_DEP_2)
	v_dual_lshlrev_b32 v2, 20, v2 :: v_dual_lshlrev_b32 v6, 24, v24
	v_lshl_add_u32 v3, v3, 23, 0x3c000000
	s_delay_alu instid0(VALU_DEP_2) | instskip(NEXT) | instid1(VALU_DEP_3)
	v_and_b32_e32 v2, 0x700000, v2
	v_and_b32_e32 v6, 0x80000000, v6
	s_delay_alu instid0(VALU_DEP_1)
	v_or3_b32 v16, v2, v6, v3
.LBB357_1080:                           ;   in Loop: Header=BB357_15 Depth=1
	s_or_b32 exec_lo, exec_lo, s18
.LBB357_1081:                           ;   in Loop: Header=BB357_15 Depth=1
	s_delay_alu instid0(SALU_CYCLE_1)
	s_or_b32 exec_lo, exec_lo, s17
.LBB357_1082:                           ;   in Loop: Header=BB357_15 Depth=1
	s_delay_alu instid0(SALU_CYCLE_1) | instskip(SKIP_2) | instid1(VALU_DEP_1)
	s_or_b32 exec_lo, exec_lo, s16
	v_lshrrev_b16 v2, 8, v24
	s_mov_b32 s16, exec_lo
	v_cmpx_ne_u16_e32 0, v2
	s_cbranch_execz .LBB357_1090
; %bb.1083:                             ;   in Loop: Header=BB357_15 Depth=1
	v_bfrev_b32_e32 v17, 1
	s_mov_b32 s17, exec_lo
	v_cmpx_ne_u16_e32 0x80, v2
	s_cbranch_execz .LBB357_1089
; %bb.1084:                             ;   in Loop: Header=BB357_15 Depth=1
	v_and_b32_e32 v2, 0xffff, v2
	v_mov_b32_e32 v17, 0x7f800001
	s_mov_b32 s18, exec_lo
	s_delay_alu instid0(VALU_DEP_2) | instskip(NEXT) | instid1(VALU_DEP_1)
	v_and_b32_e32 v7, 0x7f, v2
	v_cmpx_ne_u32_e32 0x7f, v7
	s_cbranch_execz .LBB357_1088
; %bb.1085:                             ;   in Loop: Header=BB357_15 Depth=1
	v_dual_mov_b32 v3, v25 :: v_dual_bitop2_b32 v2, 7, v2 bitop3:0x40
	v_lshrrev_b32_e32 v6, 3, v7
	s_mov_b32 s19, exec_lo
	v_cmpx_gt_u32_e32 8, v7
; %bb.1086:                             ;   in Loop: Header=BB357_15 Depth=1
	s_delay_alu instid0(VALU_DEP_3) | instskip(NEXT) | instid1(VALU_DEP_1)
	v_clz_i32_u32_e32 v6, v2
	v_min_u32_e32 v6, 32, v6
	s_delay_alu instid0(VALU_DEP_1) | instskip(SKIP_1) | instid1(VALU_DEP_2)
	v_subrev_nc_u32_e32 v7, 28, v6
	v_sub_nc_u32_e32 v6, 29, v6
	v_lshlrev_b64_e32 v[2:3], v7, v[2:3]
	s_delay_alu instid0(VALU_DEP_1)
	v_and_b32_e32 v2, 7, v2
; %bb.1087:                             ;   in Loop: Header=BB357_15 Depth=1
	s_or_b32 exec_lo, exec_lo, s19
	s_delay_alu instid0(VALU_DEP_1) | instskip(SKIP_1) | instid1(VALU_DEP_2)
	v_dual_lshlrev_b32 v3, 16, v24 :: v_dual_lshlrev_b32 v2, 20, v2
	v_lshl_add_u32 v6, v6, 23, 0x3c000000
	v_and_b32_e32 v3, 0x80000000, v3
	s_delay_alu instid0(VALU_DEP_1)
	v_or3_b32 v17, v2, v3, v6
.LBB357_1088:                           ;   in Loop: Header=BB357_15 Depth=1
	s_or_b32 exec_lo, exec_lo, s18
.LBB357_1089:                           ;   in Loop: Header=BB357_15 Depth=1
	s_delay_alu instid0(SALU_CYCLE_1)
	s_or_b32 exec_lo, exec_lo, s17
.LBB357_1090:                           ;   in Loop: Header=BB357_15 Depth=1
	s_delay_alu instid0(SALU_CYCLE_1) | instskip(SKIP_3) | instid1(VALU_DEP_2)
	s_or_b32 exec_lo, exec_lo, s16
	v_dual_mov_b32 v87, 0 :: v_dual_lshrrev_b32 v6, 16, v1
	v_mov_b32_e32 v86, 0
	s_mov_b32 s16, exec_lo
	v_and_b32_e32 v2, 0xff, v6
	s_delay_alu instid0(VALU_DEP_1)
	v_cmpx_ne_u16_e32 0, v2
	s_cbranch_execz .LBB357_1098
; %bb.1091:                             ;   in Loop: Header=BB357_15 Depth=1
	v_bfrev_b32_e32 v86, 1
	s_mov_b32 s17, exec_lo
	v_cmpx_ne_u16_e32 0x80, v2
	s_cbranch_execz .LBB357_1097
; %bb.1092:                             ;   in Loop: Header=BB357_15 Depth=1
	v_bfe_u32 v7, v1, 16, 7
	v_mov_b32_e32 v86, 0x7f800001
	s_mov_b32 s18, exec_lo
	s_delay_alu instid0(VALU_DEP_2)
	v_cmpx_ne_u32_e32 0x7f, v7
	s_cbranch_execz .LBB357_1096
; %bb.1093:                             ;   in Loop: Header=BB357_15 Depth=1
	v_and_b32_e32 v24, 7, v6
	s_mov_b32 s19, exec_lo
	s_delay_alu instid0(VALU_DEP_1)
	v_mov_b64_e32 v[2:3], v[24:25]
	v_lshrrev_b32_e32 v3, 3, v7
	v_cmpx_gt_u32_e32 8, v7
; %bb.1094:                             ;   in Loop: Header=BB357_15 Depth=1
	v_clz_i32_u32_e32 v2, v24
	s_delay_alu instid0(VALU_DEP_1) | instskip(NEXT) | instid1(VALU_DEP_1)
	v_min_u32_e32 v7, 32, v2
	v_subrev_nc_u32_e32 v2, 28, v7
	s_delay_alu instid0(VALU_DEP_1) | instskip(NEXT) | instid1(VALU_DEP_1)
	v_lshlrev_b64_e32 v[2:3], v2, v[24:25]
	v_dual_sub_nc_u32 v3, 29, v7 :: v_dual_bitop2_b32 v2, 7, v2 bitop3:0x40
; %bb.1095:                             ;   in Loop: Header=BB357_15 Depth=1
	s_or_b32 exec_lo, exec_lo, s19
	v_lshlrev_b32_e32 v6, 24, v6
	s_delay_alu instid0(VALU_DEP_2) | instskip(NEXT) | instid1(VALU_DEP_3)
	v_lshlrev_b32_e32 v2, 20, v2
	v_lshl_add_u32 v3, v3, 23, 0x3c000000
	s_delay_alu instid0(VALU_DEP_3) | instskip(NEXT) | instid1(VALU_DEP_1)
	v_and_b32_e32 v6, 0x80000000, v6
	v_or3_b32 v86, v2, v6, v3
.LBB357_1096:                           ;   in Loop: Header=BB357_15 Depth=1
	s_or_b32 exec_lo, exec_lo, s18
.LBB357_1097:                           ;   in Loop: Header=BB357_15 Depth=1
	s_delay_alu instid0(SALU_CYCLE_1)
	s_or_b32 exec_lo, exec_lo, s17
.LBB357_1098:                           ;   in Loop: Header=BB357_15 Depth=1
	s_delay_alu instid0(SALU_CYCLE_1) | instskip(NEXT) | instid1(SALU_CYCLE_1)
	s_or_b32 exec_lo, exec_lo, s16
	s_mov_b32 s16, exec_lo
	v_cmpx_lt_u64_e64 s[8:9], v[0:1]
	s_cbranch_execz .LBB357_1106
; %bb.1099:                             ;   in Loop: Header=BB357_15 Depth=1
	v_lshrrev_b32_e32 v2, 24, v1
	v_bfrev_b32_e32 v87, 1
	s_mov_b32 s17, exec_lo
	s_delay_alu instid0(VALU_DEP_2)
	v_cmpx_ne_u32_e32 0x80, v2
	s_cbranch_execz .LBB357_1105
; %bb.1100:                             ;   in Loop: Header=BB357_15 Depth=1
	v_bfe_u32 v3, v1, 24, 7
	v_mov_b32_e32 v87, 0x7f800001
	s_mov_b32 s18, exec_lo
	s_delay_alu instid0(VALU_DEP_2)
	v_cmpx_ne_u32_e32 0x7f, v3
	s_cbranch_execz .LBB357_1104
; %bb.1101:                             ;   in Loop: Header=BB357_15 Depth=1
	v_and_b32_e32 v24, 7, v2
	s_mov_b32 s19, exec_lo
	s_delay_alu instid0(VALU_DEP_1)
	v_mov_b64_e32 v[0:1], v[24:25]
	v_lshrrev_b32_e32 v1, 3, v3
	v_cmpx_gt_u32_e32 8, v3
; %bb.1102:                             ;   in Loop: Header=BB357_15 Depth=1
	v_clz_i32_u32_e32 v0, v24
	s_delay_alu instid0(VALU_DEP_1) | instskip(NEXT) | instid1(VALU_DEP_1)
	v_min_u32_e32 v3, 32, v0
	v_subrev_nc_u32_e32 v0, 28, v3
	s_delay_alu instid0(VALU_DEP_1) | instskip(NEXT) | instid1(VALU_DEP_1)
	v_lshlrev_b64_e32 v[0:1], v0, v[24:25]
	v_dual_sub_nc_u32 v1, 29, v3 :: v_dual_bitop2_b32 v0, 7, v0 bitop3:0x40
; %bb.1103:                             ;   in Loop: Header=BB357_15 Depth=1
	s_or_b32 exec_lo, exec_lo, s19
	s_delay_alu instid0(VALU_DEP_1) | instskip(NEXT) | instid1(VALU_DEP_2)
	v_dual_lshlrev_b32 v2, 24, v2 :: v_dual_lshlrev_b32 v0, 20, v0
	v_lshl_add_u32 v1, v1, 23, 0x3c000000
	s_delay_alu instid0(VALU_DEP_2) | instskip(NEXT) | instid1(VALU_DEP_1)
	v_and_b32_e32 v2, 0x80000000, v2
	v_or3_b32 v87, v0, v2, v1
.LBB357_1104:                           ;   in Loop: Header=BB357_15 Depth=1
	s_or_b32 exec_lo, exec_lo, s18
.LBB357_1105:                           ;   in Loop: Header=BB357_15 Depth=1
	s_delay_alu instid0(SALU_CYCLE_1)
	s_or_b32 exec_lo, exec_lo, s17
.LBB357_1106:                           ;   in Loop: Header=BB357_15 Depth=1
	s_delay_alu instid0(SALU_CYCLE_1)
	s_or_b32 exec_lo, exec_lo, s16
	flat_load_b64 v[0:1], v[102:103] offset:4104
	v_dual_mov_b32 v85, 0 :: v_dual_mov_b32 v84, 0
	s_mov_b32 s16, exec_lo
	s_wait_loadcnt_dscnt 0x0
	v_and_b32_e32 v2, 0xff, v0
	s_wait_xcnt 0x0
	s_delay_alu instid0(VALU_DEP_1)
	v_cmpx_ne_u16_e32 0, v2
	s_cbranch_execz .LBB357_1114
; %bb.1107:                             ;   in Loop: Header=BB357_15 Depth=1
	v_bfrev_b32_e32 v84, 1
	s_mov_b32 s17, exec_lo
	v_cmpx_ne_u16_e32 0x80, v2
	s_cbranch_execz .LBB357_1113
; %bb.1108:                             ;   in Loop: Header=BB357_15 Depth=1
	v_and_b32_e32 v2, 0x7f, v0
	v_mov_b32_e32 v84, 0x7f800001
	s_mov_b32 s18, exec_lo
	s_delay_alu instid0(VALU_DEP_2)
	v_cmpx_ne_u32_e32 0x7f, v2
	s_cbranch_execz .LBB357_1112
; %bb.1109:                             ;   in Loop: Header=BB357_15 Depth=1
	v_lshrrev_b32_e32 v6, 3, v2
	v_cmp_gt_u32_e64 s1, 8, v2
	v_mov_b64_e32 v[2:3], v[0:1]
	s_and_saveexec_b32 s19, s1
; %bb.1110:                             ;   in Loop: Header=BB357_15 Depth=1
	v_and_b32_e32 v2, 7, v0
	s_delay_alu instid0(VALU_DEP_1) | instskip(NEXT) | instid1(VALU_DEP_1)
	v_clz_i32_u32_e32 v2, v2
	v_min_u32_e32 v6, 32, v2
	s_delay_alu instid0(VALU_DEP_1) | instskip(SKIP_1) | instid1(VALU_DEP_2)
	v_subrev_nc_u32_e32 v2, 28, v6
	v_sub_nc_u32_e32 v6, 29, v6
	v_lshlrev_b64_e32 v[2:3], v2, v[0:1]
; %bb.1111:                             ;   in Loop: Header=BB357_15 Depth=1
	s_or_b32 exec_lo, exec_lo, s19
	s_delay_alu instid0(VALU_DEP_1) | instskip(NEXT) | instid1(VALU_DEP_3)
	v_dual_lshlrev_b32 v2, 20, v2 :: v_dual_lshlrev_b32 v3, 24, v0
	v_lshl_add_u32 v6, v6, 23, 0x3c000000
	s_delay_alu instid0(VALU_DEP_2) | instskip(NEXT) | instid1(VALU_DEP_3)
	v_and_b32_e32 v2, 0x700000, v2
	v_and_b32_e32 v3, 0x80000000, v3
	s_delay_alu instid0(VALU_DEP_1)
	v_or3_b32 v84, v2, v3, v6
.LBB357_1112:                           ;   in Loop: Header=BB357_15 Depth=1
	s_or_b32 exec_lo, exec_lo, s18
.LBB357_1113:                           ;   in Loop: Header=BB357_15 Depth=1
	s_delay_alu instid0(SALU_CYCLE_1)
	s_or_b32 exec_lo, exec_lo, s17
.LBB357_1114:                           ;   in Loop: Header=BB357_15 Depth=1
	s_delay_alu instid0(SALU_CYCLE_1) | instskip(SKIP_2) | instid1(VALU_DEP_1)
	s_or_b32 exec_lo, exec_lo, s16
	v_lshrrev_b16 v2, 8, v0
	s_mov_b32 s16, exec_lo
	v_cmpx_ne_u16_e32 0, v2
	s_cbranch_execz .LBB357_1122
; %bb.1115:                             ;   in Loop: Header=BB357_15 Depth=1
	v_bfrev_b32_e32 v85, 1
	s_mov_b32 s17, exec_lo
	v_cmpx_ne_u16_e32 0x80, v2
	s_cbranch_execz .LBB357_1121
; %bb.1116:                             ;   in Loop: Header=BB357_15 Depth=1
	v_and_b32_e32 v2, 0xffff, v2
	v_mov_b32_e32 v85, 0x7f800001
	s_mov_b32 s18, exec_lo
	s_delay_alu instid0(VALU_DEP_2) | instskip(NEXT) | instid1(VALU_DEP_1)
	v_and_b32_e32 v6, 0x7f, v2
	v_cmpx_ne_u32_e32 0x7f, v6
	s_cbranch_execz .LBB357_1120
; %bb.1117:                             ;   in Loop: Header=BB357_15 Depth=1
	v_and_b32_e32 v24, 7, v2
	s_mov_b32 s19, exec_lo
	s_delay_alu instid0(VALU_DEP_1)
	v_mov_b64_e32 v[2:3], v[24:25]
	v_lshrrev_b32_e32 v3, 3, v6
	v_cmpx_gt_u32_e32 8, v6
; %bb.1118:                             ;   in Loop: Header=BB357_15 Depth=1
	v_clz_i32_u32_e32 v2, v24
	s_delay_alu instid0(VALU_DEP_1) | instskip(NEXT) | instid1(VALU_DEP_1)
	v_min_u32_e32 v6, 32, v2
	v_subrev_nc_u32_e32 v2, 28, v6
	s_delay_alu instid0(VALU_DEP_1) | instskip(SKIP_1) | instid1(VALU_DEP_2)
	v_lshlrev_b64_e32 v[2:3], v2, v[24:25]
	v_sub_nc_u32_e32 v3, 29, v6
	v_and_b32_e32 v2, 7, v2
; %bb.1119:                             ;   in Loop: Header=BB357_15 Depth=1
	s_or_b32 exec_lo, exec_lo, s19
	s_delay_alu instid0(VALU_DEP_1) | instskip(NEXT) | instid1(VALU_DEP_3)
	v_dual_lshlrev_b32 v6, 16, v0 :: v_dual_lshlrev_b32 v2, 20, v2
	v_lshl_add_u32 v3, v3, 23, 0x3c000000
	s_delay_alu instid0(VALU_DEP_2) | instskip(NEXT) | instid1(VALU_DEP_1)
	v_and_b32_e32 v6, 0x80000000, v6
	v_or3_b32 v85, v2, v6, v3
.LBB357_1120:                           ;   in Loop: Header=BB357_15 Depth=1
	s_or_b32 exec_lo, exec_lo, s18
.LBB357_1121:                           ;   in Loop: Header=BB357_15 Depth=1
	s_delay_alu instid0(SALU_CYCLE_1)
	s_or_b32 exec_lo, exec_lo, s17
.LBB357_1122:                           ;   in Loop: Header=BB357_15 Depth=1
	s_delay_alu instid0(SALU_CYCLE_1) | instskip(SKIP_3) | instid1(VALU_DEP_2)
	s_or_b32 exec_lo, exec_lo, s16
	v_dual_mov_b32 v33, 0 :: v_dual_lshrrev_b32 v6, 16, v0
	v_mov_b32_e32 v32, 0
	s_mov_b32 s16, exec_lo
	v_and_b32_e32 v2, 0xff, v6
	s_delay_alu instid0(VALU_DEP_1)
	v_cmpx_ne_u16_e32 0, v2
	s_cbranch_execz .LBB357_1130
; %bb.1123:                             ;   in Loop: Header=BB357_15 Depth=1
	v_bfrev_b32_e32 v32, 1
	s_mov_b32 s17, exec_lo
	v_cmpx_ne_u16_e32 0x80, v2
	s_cbranch_execz .LBB357_1129
; %bb.1124:                             ;   in Loop: Header=BB357_15 Depth=1
	v_bfe_u32 v7, v0, 16, 7
	v_mov_b32_e32 v32, 0x7f800001
	s_mov_b32 s18, exec_lo
	s_delay_alu instid0(VALU_DEP_2)
	v_cmpx_ne_u32_e32 0x7f, v7
	s_cbranch_execz .LBB357_1128
; %bb.1125:                             ;   in Loop: Header=BB357_15 Depth=1
	v_and_b32_e32 v24, 7, v6
	s_mov_b32 s19, exec_lo
	s_delay_alu instid0(VALU_DEP_1)
	v_mov_b64_e32 v[2:3], v[24:25]
	v_lshrrev_b32_e32 v3, 3, v7
	v_cmpx_gt_u32_e32 8, v7
; %bb.1126:                             ;   in Loop: Header=BB357_15 Depth=1
	v_clz_i32_u32_e32 v2, v24
	s_delay_alu instid0(VALU_DEP_1) | instskip(NEXT) | instid1(VALU_DEP_1)
	v_min_u32_e32 v7, 32, v2
	v_subrev_nc_u32_e32 v2, 28, v7
	s_delay_alu instid0(VALU_DEP_1) | instskip(NEXT) | instid1(VALU_DEP_1)
	v_lshlrev_b64_e32 v[2:3], v2, v[24:25]
	v_dual_sub_nc_u32 v3, 29, v7 :: v_dual_bitop2_b32 v2, 7, v2 bitop3:0x40
; %bb.1127:                             ;   in Loop: Header=BB357_15 Depth=1
	s_or_b32 exec_lo, exec_lo, s19
	v_lshlrev_b32_e32 v6, 24, v6
	s_delay_alu instid0(VALU_DEP_2) | instskip(NEXT) | instid1(VALU_DEP_3)
	v_lshlrev_b32_e32 v2, 20, v2
	v_lshl_add_u32 v3, v3, 23, 0x3c000000
	s_delay_alu instid0(VALU_DEP_3) | instskip(NEXT) | instid1(VALU_DEP_1)
	v_and_b32_e32 v6, 0x80000000, v6
	v_or3_b32 v32, v2, v6, v3
.LBB357_1128:                           ;   in Loop: Header=BB357_15 Depth=1
	s_or_b32 exec_lo, exec_lo, s18
.LBB357_1129:                           ;   in Loop: Header=BB357_15 Depth=1
	s_delay_alu instid0(SALU_CYCLE_1)
	s_or_b32 exec_lo, exec_lo, s17
.LBB357_1130:                           ;   in Loop: Header=BB357_15 Depth=1
	s_delay_alu instid0(SALU_CYCLE_1) | instskip(NEXT) | instid1(SALU_CYCLE_1)
	s_or_b32 exec_lo, exec_lo, s16
	s_mov_b32 s16, exec_lo
	v_cmpx_lt_u32_e32 0xffffff, v0
	s_cbranch_execz .LBB357_1138
; %bb.1131:                             ;   in Loop: Header=BB357_15 Depth=1
	v_lshrrev_b32_e32 v6, 24, v0
	v_bfrev_b32_e32 v33, 1
	s_mov_b32 s17, exec_lo
	s_delay_alu instid0(VALU_DEP_2)
	v_cmpx_ne_u32_e32 0x80, v6
	s_cbranch_execz .LBB357_1137
; %bb.1132:                             ;   in Loop: Header=BB357_15 Depth=1
	v_bfe_u32 v7, v0, 24, 7
	v_mov_b32_e32 v33, 0x7f800001
	s_mov_b32 s18, exec_lo
	s_delay_alu instid0(VALU_DEP_2)
	v_cmpx_ne_u32_e32 0x7f, v7
	s_cbranch_execz .LBB357_1136
; %bb.1133:                             ;   in Loop: Header=BB357_15 Depth=1
	v_and_b32_e32 v24, 7, v6
	s_mov_b32 s19, exec_lo
	s_delay_alu instid0(VALU_DEP_1)
	v_mov_b64_e32 v[2:3], v[24:25]
	v_lshrrev_b32_e32 v3, 3, v7
	v_cmpx_gt_u32_e32 8, v7
; %bb.1134:                             ;   in Loop: Header=BB357_15 Depth=1
	v_clz_i32_u32_e32 v2, v24
	s_delay_alu instid0(VALU_DEP_1) | instskip(NEXT) | instid1(VALU_DEP_1)
	v_min_u32_e32 v7, 32, v2
	v_subrev_nc_u32_e32 v2, 28, v7
	s_delay_alu instid0(VALU_DEP_1) | instskip(NEXT) | instid1(VALU_DEP_1)
	v_lshlrev_b64_e32 v[2:3], v2, v[24:25]
	v_dual_sub_nc_u32 v3, 29, v7 :: v_dual_bitop2_b32 v2, 7, v2 bitop3:0x40
; %bb.1135:                             ;   in Loop: Header=BB357_15 Depth=1
	s_or_b32 exec_lo, exec_lo, s19
	v_lshlrev_b32_e32 v6, 24, v6
	s_delay_alu instid0(VALU_DEP_2) | instskip(NEXT) | instid1(VALU_DEP_3)
	v_lshlrev_b32_e32 v2, 20, v2
	v_lshl_add_u32 v3, v3, 23, 0x3c000000
	s_delay_alu instid0(VALU_DEP_3) | instskip(NEXT) | instid1(VALU_DEP_1)
	v_and_b32_e32 v6, 0x80000000, v6
	v_or3_b32 v33, v2, v6, v3
.LBB357_1136:                           ;   in Loop: Header=BB357_15 Depth=1
	s_or_b32 exec_lo, exec_lo, s18
.LBB357_1137:                           ;   in Loop: Header=BB357_15 Depth=1
	s_delay_alu instid0(SALU_CYCLE_1)
	s_or_b32 exec_lo, exec_lo, s17
.LBB357_1138:                           ;   in Loop: Header=BB357_15 Depth=1
	s_delay_alu instid0(SALU_CYCLE_1) | instskip(SKIP_4) | instid1(VALU_DEP_3)
	s_or_b32 exec_lo, exec_lo, s16
	v_and_b32_e32 v2, 0xff, v1
	v_dual_mov_b32 v24, v1 :: v_dual_mov_b32 v39, 0
	v_mov_b32_e32 v38, 0
	s_mov_b32 s16, exec_lo
	v_cmpx_ne_u16_e32 0, v2
	s_cbranch_execz .LBB357_1146
; %bb.1139:                             ;   in Loop: Header=BB357_15 Depth=1
	v_bfrev_b32_e32 v38, 1
	s_mov_b32 s17, exec_lo
	v_cmpx_ne_u16_e32 0x80, v2
	s_cbranch_execz .LBB357_1145
; %bb.1140:                             ;   in Loop: Header=BB357_15 Depth=1
	v_and_b32_e32 v6, 0x7f, v1
	v_mov_b32_e32 v38, 0x7f800001
	s_mov_b32 s18, exec_lo
	s_delay_alu instid0(VALU_DEP_2)
	v_cmpx_ne_u32_e32 0x7f, v6
	s_cbranch_execz .LBB357_1144
; %bb.1141:                             ;   in Loop: Header=BB357_15 Depth=1
	v_mov_b64_e32 v[2:3], v[24:25]
	v_lshrrev_b32_e32 v3, 3, v6
	s_mov_b32 s19, exec_lo
	v_cmpx_gt_u32_e32 8, v6
; %bb.1142:                             ;   in Loop: Header=BB357_15 Depth=1
	v_and_b32_e32 v2, 7, v1
	s_delay_alu instid0(VALU_DEP_1) | instskip(NEXT) | instid1(VALU_DEP_1)
	v_clz_i32_u32_e32 v2, v2
	v_min_u32_e32 v6, 32, v2
	s_delay_alu instid0(VALU_DEP_1) | instskip(NEXT) | instid1(VALU_DEP_1)
	v_subrev_nc_u32_e32 v2, 28, v6
	v_lshlrev_b64_e32 v[2:3], v2, v[24:25]
	v_sub_nc_u32_e32 v3, 29, v6
; %bb.1143:                             ;   in Loop: Header=BB357_15 Depth=1
	s_or_b32 exec_lo, exec_lo, s19
	s_delay_alu instid0(VALU_DEP_2) | instskip(NEXT) | instid1(VALU_DEP_2)
	v_dual_lshlrev_b32 v2, 20, v2 :: v_dual_lshlrev_b32 v6, 24, v24
	v_lshl_add_u32 v3, v3, 23, 0x3c000000
	s_delay_alu instid0(VALU_DEP_2) | instskip(NEXT) | instid1(VALU_DEP_3)
	v_and_b32_e32 v2, 0x700000, v2
	v_and_b32_e32 v6, 0x80000000, v6
	s_delay_alu instid0(VALU_DEP_1)
	v_or3_b32 v38, v2, v6, v3
.LBB357_1144:                           ;   in Loop: Header=BB357_15 Depth=1
	s_or_b32 exec_lo, exec_lo, s18
.LBB357_1145:                           ;   in Loop: Header=BB357_15 Depth=1
	s_delay_alu instid0(SALU_CYCLE_1)
	s_or_b32 exec_lo, exec_lo, s17
.LBB357_1146:                           ;   in Loop: Header=BB357_15 Depth=1
	s_delay_alu instid0(SALU_CYCLE_1) | instskip(SKIP_2) | instid1(VALU_DEP_1)
	s_or_b32 exec_lo, exec_lo, s16
	v_lshrrev_b16 v2, 8, v24
	s_mov_b32 s16, exec_lo
	v_cmpx_ne_u16_e32 0, v2
	s_cbranch_execz .LBB357_1154
; %bb.1147:                             ;   in Loop: Header=BB357_15 Depth=1
	v_bfrev_b32_e32 v39, 1
	s_mov_b32 s17, exec_lo
	v_cmpx_ne_u16_e32 0x80, v2
	s_cbranch_execz .LBB357_1153
; %bb.1148:                             ;   in Loop: Header=BB357_15 Depth=1
	v_and_b32_e32 v2, 0xffff, v2
	v_mov_b32_e32 v39, 0x7f800001
	s_mov_b32 s18, exec_lo
	s_delay_alu instid0(VALU_DEP_2) | instskip(NEXT) | instid1(VALU_DEP_1)
	v_and_b32_e32 v7, 0x7f, v2
	v_cmpx_ne_u32_e32 0x7f, v7
	s_cbranch_execz .LBB357_1152
; %bb.1149:                             ;   in Loop: Header=BB357_15 Depth=1
	v_dual_mov_b32 v3, v25 :: v_dual_bitop2_b32 v2, 7, v2 bitop3:0x40
	v_lshrrev_b32_e32 v6, 3, v7
	s_mov_b32 s19, exec_lo
	v_cmpx_gt_u32_e32 8, v7
; %bb.1150:                             ;   in Loop: Header=BB357_15 Depth=1
	s_delay_alu instid0(VALU_DEP_3) | instskip(NEXT) | instid1(VALU_DEP_1)
	v_clz_i32_u32_e32 v6, v2
	v_min_u32_e32 v6, 32, v6
	s_delay_alu instid0(VALU_DEP_1) | instskip(SKIP_1) | instid1(VALU_DEP_2)
	v_subrev_nc_u32_e32 v7, 28, v6
	v_sub_nc_u32_e32 v6, 29, v6
	v_lshlrev_b64_e32 v[2:3], v7, v[2:3]
	s_delay_alu instid0(VALU_DEP_1)
	v_and_b32_e32 v2, 7, v2
; %bb.1151:                             ;   in Loop: Header=BB357_15 Depth=1
	s_or_b32 exec_lo, exec_lo, s19
	s_delay_alu instid0(VALU_DEP_1) | instskip(SKIP_1) | instid1(VALU_DEP_2)
	v_dual_lshlrev_b32 v3, 16, v24 :: v_dual_lshlrev_b32 v2, 20, v2
	v_lshl_add_u32 v6, v6, 23, 0x3c000000
	v_and_b32_e32 v3, 0x80000000, v3
	s_delay_alu instid0(VALU_DEP_1)
	v_or3_b32 v39, v2, v3, v6
.LBB357_1152:                           ;   in Loop: Header=BB357_15 Depth=1
	s_or_b32 exec_lo, exec_lo, s18
.LBB357_1153:                           ;   in Loop: Header=BB357_15 Depth=1
	s_delay_alu instid0(SALU_CYCLE_1)
	s_or_b32 exec_lo, exec_lo, s17
.LBB357_1154:                           ;   in Loop: Header=BB357_15 Depth=1
	s_delay_alu instid0(SALU_CYCLE_1) | instskip(SKIP_3) | instid1(VALU_DEP_2)
	s_or_b32 exec_lo, exec_lo, s16
	v_dual_mov_b32 v81, 0 :: v_dual_lshrrev_b32 v6, 16, v1
	v_mov_b32_e32 v80, 0
	s_mov_b32 s16, exec_lo
	v_and_b32_e32 v2, 0xff, v6
	s_delay_alu instid0(VALU_DEP_1)
	v_cmpx_ne_u16_e32 0, v2
	s_cbranch_execz .LBB357_1162
; %bb.1155:                             ;   in Loop: Header=BB357_15 Depth=1
	v_bfrev_b32_e32 v80, 1
	s_mov_b32 s17, exec_lo
	v_cmpx_ne_u16_e32 0x80, v2
	s_cbranch_execz .LBB357_1161
; %bb.1156:                             ;   in Loop: Header=BB357_15 Depth=1
	v_bfe_u32 v7, v1, 16, 7
	v_mov_b32_e32 v80, 0x7f800001
	s_mov_b32 s18, exec_lo
	s_delay_alu instid0(VALU_DEP_2)
	v_cmpx_ne_u32_e32 0x7f, v7
	s_cbranch_execz .LBB357_1160
; %bb.1157:                             ;   in Loop: Header=BB357_15 Depth=1
	v_and_b32_e32 v24, 7, v6
	s_mov_b32 s19, exec_lo
	s_delay_alu instid0(VALU_DEP_1)
	v_mov_b64_e32 v[2:3], v[24:25]
	v_lshrrev_b32_e32 v3, 3, v7
	v_cmpx_gt_u32_e32 8, v7
; %bb.1158:                             ;   in Loop: Header=BB357_15 Depth=1
	v_clz_i32_u32_e32 v2, v24
	s_delay_alu instid0(VALU_DEP_1) | instskip(NEXT) | instid1(VALU_DEP_1)
	v_min_u32_e32 v7, 32, v2
	v_subrev_nc_u32_e32 v2, 28, v7
	s_delay_alu instid0(VALU_DEP_1) | instskip(NEXT) | instid1(VALU_DEP_1)
	v_lshlrev_b64_e32 v[2:3], v2, v[24:25]
	v_dual_sub_nc_u32 v3, 29, v7 :: v_dual_bitop2_b32 v2, 7, v2 bitop3:0x40
; %bb.1159:                             ;   in Loop: Header=BB357_15 Depth=1
	s_or_b32 exec_lo, exec_lo, s19
	v_lshlrev_b32_e32 v6, 24, v6
	s_delay_alu instid0(VALU_DEP_2) | instskip(NEXT) | instid1(VALU_DEP_3)
	v_lshlrev_b32_e32 v2, 20, v2
	v_lshl_add_u32 v3, v3, 23, 0x3c000000
	s_delay_alu instid0(VALU_DEP_3) | instskip(NEXT) | instid1(VALU_DEP_1)
	v_and_b32_e32 v6, 0x80000000, v6
	v_or3_b32 v80, v2, v6, v3
.LBB357_1160:                           ;   in Loop: Header=BB357_15 Depth=1
	s_or_b32 exec_lo, exec_lo, s18
.LBB357_1161:                           ;   in Loop: Header=BB357_15 Depth=1
	s_delay_alu instid0(SALU_CYCLE_1)
	s_or_b32 exec_lo, exec_lo, s17
.LBB357_1162:                           ;   in Loop: Header=BB357_15 Depth=1
	s_delay_alu instid0(SALU_CYCLE_1) | instskip(NEXT) | instid1(SALU_CYCLE_1)
	s_or_b32 exec_lo, exec_lo, s16
	s_mov_b32 s16, exec_lo
	v_cmpx_lt_u64_e64 s[8:9], v[0:1]
	s_cbranch_execz .LBB357_1170
; %bb.1163:                             ;   in Loop: Header=BB357_15 Depth=1
	v_lshrrev_b32_e32 v2, 24, v1
	v_bfrev_b32_e32 v81, 1
	s_mov_b32 s17, exec_lo
	s_delay_alu instid0(VALU_DEP_2)
	v_cmpx_ne_u32_e32 0x80, v2
	s_cbranch_execz .LBB357_1169
; %bb.1164:                             ;   in Loop: Header=BB357_15 Depth=1
	v_bfe_u32 v3, v1, 24, 7
	v_mov_b32_e32 v81, 0x7f800001
	s_mov_b32 s18, exec_lo
	s_delay_alu instid0(VALU_DEP_2)
	v_cmpx_ne_u32_e32 0x7f, v3
	s_cbranch_execz .LBB357_1168
; %bb.1165:                             ;   in Loop: Header=BB357_15 Depth=1
	v_and_b32_e32 v24, 7, v2
	s_mov_b32 s19, exec_lo
	s_delay_alu instid0(VALU_DEP_1)
	v_mov_b64_e32 v[0:1], v[24:25]
	v_lshrrev_b32_e32 v1, 3, v3
	v_cmpx_gt_u32_e32 8, v3
; %bb.1166:                             ;   in Loop: Header=BB357_15 Depth=1
	v_clz_i32_u32_e32 v0, v24
	s_delay_alu instid0(VALU_DEP_1) | instskip(NEXT) | instid1(VALU_DEP_1)
	v_min_u32_e32 v3, 32, v0
	v_subrev_nc_u32_e32 v0, 28, v3
	s_delay_alu instid0(VALU_DEP_1) | instskip(NEXT) | instid1(VALU_DEP_1)
	v_lshlrev_b64_e32 v[0:1], v0, v[24:25]
	v_dual_sub_nc_u32 v1, 29, v3 :: v_dual_bitop2_b32 v0, 7, v0 bitop3:0x40
; %bb.1167:                             ;   in Loop: Header=BB357_15 Depth=1
	s_or_b32 exec_lo, exec_lo, s19
	s_delay_alu instid0(VALU_DEP_1) | instskip(NEXT) | instid1(VALU_DEP_2)
	v_dual_lshlrev_b32 v2, 24, v2 :: v_dual_lshlrev_b32 v0, 20, v0
	v_lshl_add_u32 v1, v1, 23, 0x3c000000
	s_delay_alu instid0(VALU_DEP_2) | instskip(NEXT) | instid1(VALU_DEP_1)
	v_and_b32_e32 v2, 0x80000000, v2
	v_or3_b32 v81, v0, v2, v1
.LBB357_1168:                           ;   in Loop: Header=BB357_15 Depth=1
	s_or_b32 exec_lo, exec_lo, s18
.LBB357_1169:                           ;   in Loop: Header=BB357_15 Depth=1
	s_delay_alu instid0(SALU_CYCLE_1)
	s_or_b32 exec_lo, exec_lo, s17
.LBB357_1170:                           ;   in Loop: Header=BB357_15 Depth=1
	s_delay_alu instid0(SALU_CYCLE_1)
	s_or_b32 exec_lo, exec_lo, s16
	flat_load_b64 v[0:1], v[102:103] offset:4608
	v_dual_mov_b32 v99, 0 :: v_dual_mov_b32 v98, 0
	s_mov_b32 s16, exec_lo
	s_wait_loadcnt_dscnt 0x0
	v_and_b32_e32 v2, 0xff, v0
	s_wait_xcnt 0x0
	s_delay_alu instid0(VALU_DEP_1)
	v_cmpx_ne_u16_e32 0, v2
	s_cbranch_execz .LBB357_1178
; %bb.1171:                             ;   in Loop: Header=BB357_15 Depth=1
	v_bfrev_b32_e32 v98, 1
	s_mov_b32 s17, exec_lo
	v_cmpx_ne_u16_e32 0x80, v2
	s_cbranch_execz .LBB357_1177
; %bb.1172:                             ;   in Loop: Header=BB357_15 Depth=1
	v_and_b32_e32 v2, 0x7f, v0
	v_mov_b32_e32 v98, 0x7f800001
	s_mov_b32 s18, exec_lo
	s_delay_alu instid0(VALU_DEP_2)
	v_cmpx_ne_u32_e32 0x7f, v2
	s_cbranch_execz .LBB357_1176
; %bb.1173:                             ;   in Loop: Header=BB357_15 Depth=1
	v_lshrrev_b32_e32 v6, 3, v2
	v_cmp_gt_u32_e64 s1, 8, v2
	v_mov_b64_e32 v[2:3], v[0:1]
	s_and_saveexec_b32 s19, s1
; %bb.1174:                             ;   in Loop: Header=BB357_15 Depth=1
	v_and_b32_e32 v2, 7, v0
	s_delay_alu instid0(VALU_DEP_1) | instskip(NEXT) | instid1(VALU_DEP_1)
	v_clz_i32_u32_e32 v2, v2
	v_min_u32_e32 v6, 32, v2
	s_delay_alu instid0(VALU_DEP_1) | instskip(SKIP_1) | instid1(VALU_DEP_2)
	v_subrev_nc_u32_e32 v2, 28, v6
	v_sub_nc_u32_e32 v6, 29, v6
	v_lshlrev_b64_e32 v[2:3], v2, v[0:1]
; %bb.1175:                             ;   in Loop: Header=BB357_15 Depth=1
	s_or_b32 exec_lo, exec_lo, s19
	s_delay_alu instid0(VALU_DEP_1) | instskip(NEXT) | instid1(VALU_DEP_3)
	v_dual_lshlrev_b32 v2, 20, v2 :: v_dual_lshlrev_b32 v3, 24, v0
	v_lshl_add_u32 v6, v6, 23, 0x3c000000
	s_delay_alu instid0(VALU_DEP_2) | instskip(NEXT) | instid1(VALU_DEP_3)
	v_and_b32_e32 v2, 0x700000, v2
	v_and_b32_e32 v3, 0x80000000, v3
	s_delay_alu instid0(VALU_DEP_1)
	v_or3_b32 v98, v2, v3, v6
.LBB357_1176:                           ;   in Loop: Header=BB357_15 Depth=1
	s_or_b32 exec_lo, exec_lo, s18
.LBB357_1177:                           ;   in Loop: Header=BB357_15 Depth=1
	s_delay_alu instid0(SALU_CYCLE_1)
	s_or_b32 exec_lo, exec_lo, s17
.LBB357_1178:                           ;   in Loop: Header=BB357_15 Depth=1
	s_delay_alu instid0(SALU_CYCLE_1) | instskip(SKIP_2) | instid1(VALU_DEP_1)
	s_or_b32 exec_lo, exec_lo, s16
	v_lshrrev_b16 v2, 8, v0
	s_mov_b32 s16, exec_lo
	v_cmpx_ne_u16_e32 0, v2
	s_cbranch_execz .LBB357_1186
; %bb.1179:                             ;   in Loop: Header=BB357_15 Depth=1
	v_bfrev_b32_e32 v99, 1
	s_mov_b32 s17, exec_lo
	v_cmpx_ne_u16_e32 0x80, v2
	s_cbranch_execz .LBB357_1185
; %bb.1180:                             ;   in Loop: Header=BB357_15 Depth=1
	v_and_b32_e32 v2, 0xffff, v2
	v_mov_b32_e32 v99, 0x7f800001
	s_mov_b32 s18, exec_lo
	s_delay_alu instid0(VALU_DEP_2) | instskip(NEXT) | instid1(VALU_DEP_1)
	v_and_b32_e32 v6, 0x7f, v2
	v_cmpx_ne_u32_e32 0x7f, v6
	s_cbranch_execz .LBB357_1184
; %bb.1181:                             ;   in Loop: Header=BB357_15 Depth=1
	v_and_b32_e32 v24, 7, v2
	s_mov_b32 s19, exec_lo
	s_delay_alu instid0(VALU_DEP_1)
	v_mov_b64_e32 v[2:3], v[24:25]
	v_lshrrev_b32_e32 v3, 3, v6
	v_cmpx_gt_u32_e32 8, v6
; %bb.1182:                             ;   in Loop: Header=BB357_15 Depth=1
	v_clz_i32_u32_e32 v2, v24
	s_delay_alu instid0(VALU_DEP_1) | instskip(NEXT) | instid1(VALU_DEP_1)
	v_min_u32_e32 v6, 32, v2
	v_subrev_nc_u32_e32 v2, 28, v6
	s_delay_alu instid0(VALU_DEP_1) | instskip(SKIP_1) | instid1(VALU_DEP_2)
	v_lshlrev_b64_e32 v[2:3], v2, v[24:25]
	v_sub_nc_u32_e32 v3, 29, v6
	v_and_b32_e32 v2, 7, v2
; %bb.1183:                             ;   in Loop: Header=BB357_15 Depth=1
	s_or_b32 exec_lo, exec_lo, s19
	s_delay_alu instid0(VALU_DEP_1) | instskip(NEXT) | instid1(VALU_DEP_3)
	v_dual_lshlrev_b32 v6, 16, v0 :: v_dual_lshlrev_b32 v2, 20, v2
	v_lshl_add_u32 v3, v3, 23, 0x3c000000
	s_delay_alu instid0(VALU_DEP_2) | instskip(NEXT) | instid1(VALU_DEP_1)
	v_and_b32_e32 v6, 0x80000000, v6
	v_or3_b32 v99, v2, v6, v3
.LBB357_1184:                           ;   in Loop: Header=BB357_15 Depth=1
	s_or_b32 exec_lo, exec_lo, s18
.LBB357_1185:                           ;   in Loop: Header=BB357_15 Depth=1
	s_delay_alu instid0(SALU_CYCLE_1)
	s_or_b32 exec_lo, exec_lo, s17
.LBB357_1186:                           ;   in Loop: Header=BB357_15 Depth=1
	s_delay_alu instid0(SALU_CYCLE_1) | instskip(SKIP_3) | instid1(VALU_DEP_2)
	s_or_b32 exec_lo, exec_lo, s16
	v_dual_mov_b32 v101, 0 :: v_dual_lshrrev_b32 v6, 16, v0
	v_mov_b32_e32 v100, 0
	s_mov_b32 s16, exec_lo
	v_and_b32_e32 v2, 0xff, v6
	s_delay_alu instid0(VALU_DEP_1)
	v_cmpx_ne_u16_e32 0, v2
	s_cbranch_execz .LBB357_1194
; %bb.1187:                             ;   in Loop: Header=BB357_15 Depth=1
	v_bfrev_b32_e32 v100, 1
	s_mov_b32 s17, exec_lo
	v_cmpx_ne_u16_e32 0x80, v2
	s_cbranch_execz .LBB357_1193
; %bb.1188:                             ;   in Loop: Header=BB357_15 Depth=1
	v_bfe_u32 v7, v0, 16, 7
	v_mov_b32_e32 v100, 0x7f800001
	s_mov_b32 s18, exec_lo
	s_delay_alu instid0(VALU_DEP_2)
	v_cmpx_ne_u32_e32 0x7f, v7
	s_cbranch_execz .LBB357_1192
; %bb.1189:                             ;   in Loop: Header=BB357_15 Depth=1
	v_and_b32_e32 v24, 7, v6
	s_mov_b32 s19, exec_lo
	s_delay_alu instid0(VALU_DEP_1)
	v_mov_b64_e32 v[2:3], v[24:25]
	v_lshrrev_b32_e32 v3, 3, v7
	v_cmpx_gt_u32_e32 8, v7
; %bb.1190:                             ;   in Loop: Header=BB357_15 Depth=1
	v_clz_i32_u32_e32 v2, v24
	s_delay_alu instid0(VALU_DEP_1) | instskip(NEXT) | instid1(VALU_DEP_1)
	v_min_u32_e32 v7, 32, v2
	v_subrev_nc_u32_e32 v2, 28, v7
	s_delay_alu instid0(VALU_DEP_1) | instskip(NEXT) | instid1(VALU_DEP_1)
	v_lshlrev_b64_e32 v[2:3], v2, v[24:25]
	v_dual_sub_nc_u32 v3, 29, v7 :: v_dual_bitop2_b32 v2, 7, v2 bitop3:0x40
; %bb.1191:                             ;   in Loop: Header=BB357_15 Depth=1
	s_or_b32 exec_lo, exec_lo, s19
	v_lshlrev_b32_e32 v6, 24, v6
	s_delay_alu instid0(VALU_DEP_2) | instskip(NEXT) | instid1(VALU_DEP_3)
	v_lshlrev_b32_e32 v2, 20, v2
	v_lshl_add_u32 v3, v3, 23, 0x3c000000
	s_delay_alu instid0(VALU_DEP_3) | instskip(NEXT) | instid1(VALU_DEP_1)
	v_and_b32_e32 v6, 0x80000000, v6
	v_or3_b32 v100, v2, v6, v3
.LBB357_1192:                           ;   in Loop: Header=BB357_15 Depth=1
	s_or_b32 exec_lo, exec_lo, s18
.LBB357_1193:                           ;   in Loop: Header=BB357_15 Depth=1
	s_delay_alu instid0(SALU_CYCLE_1)
	s_or_b32 exec_lo, exec_lo, s17
.LBB357_1194:                           ;   in Loop: Header=BB357_15 Depth=1
	s_delay_alu instid0(SALU_CYCLE_1) | instskip(NEXT) | instid1(SALU_CYCLE_1)
	s_or_b32 exec_lo, exec_lo, s16
	s_mov_b32 s16, exec_lo
	v_cmpx_lt_u32_e32 0xffffff, v0
	s_cbranch_execz .LBB357_1202
; %bb.1195:                             ;   in Loop: Header=BB357_15 Depth=1
	v_lshrrev_b32_e32 v6, 24, v0
	v_bfrev_b32_e32 v101, 1
	s_mov_b32 s17, exec_lo
	s_delay_alu instid0(VALU_DEP_2)
	v_cmpx_ne_u32_e32 0x80, v6
	s_cbranch_execz .LBB357_1201
; %bb.1196:                             ;   in Loop: Header=BB357_15 Depth=1
	v_bfe_u32 v7, v0, 24, 7
	v_mov_b32_e32 v101, 0x7f800001
	s_mov_b32 s18, exec_lo
	s_delay_alu instid0(VALU_DEP_2)
	v_cmpx_ne_u32_e32 0x7f, v7
	s_cbranch_execz .LBB357_1200
; %bb.1197:                             ;   in Loop: Header=BB357_15 Depth=1
	v_and_b32_e32 v24, 7, v6
	s_mov_b32 s19, exec_lo
	s_delay_alu instid0(VALU_DEP_1)
	v_mov_b64_e32 v[2:3], v[24:25]
	v_lshrrev_b32_e32 v3, 3, v7
	v_cmpx_gt_u32_e32 8, v7
; %bb.1198:                             ;   in Loop: Header=BB357_15 Depth=1
	v_clz_i32_u32_e32 v2, v24
	s_delay_alu instid0(VALU_DEP_1) | instskip(NEXT) | instid1(VALU_DEP_1)
	v_min_u32_e32 v7, 32, v2
	v_subrev_nc_u32_e32 v2, 28, v7
	s_delay_alu instid0(VALU_DEP_1) | instskip(NEXT) | instid1(VALU_DEP_1)
	v_lshlrev_b64_e32 v[2:3], v2, v[24:25]
	v_dual_sub_nc_u32 v3, 29, v7 :: v_dual_bitop2_b32 v2, 7, v2 bitop3:0x40
; %bb.1199:                             ;   in Loop: Header=BB357_15 Depth=1
	s_or_b32 exec_lo, exec_lo, s19
	v_lshlrev_b32_e32 v6, 24, v6
	s_delay_alu instid0(VALU_DEP_2) | instskip(NEXT) | instid1(VALU_DEP_3)
	v_lshlrev_b32_e32 v2, 20, v2
	v_lshl_add_u32 v3, v3, 23, 0x3c000000
	s_delay_alu instid0(VALU_DEP_3) | instskip(NEXT) | instid1(VALU_DEP_1)
	v_and_b32_e32 v6, 0x80000000, v6
	v_or3_b32 v101, v2, v6, v3
.LBB357_1200:                           ;   in Loop: Header=BB357_15 Depth=1
	s_or_b32 exec_lo, exec_lo, s18
.LBB357_1201:                           ;   in Loop: Header=BB357_15 Depth=1
	s_delay_alu instid0(SALU_CYCLE_1)
	s_or_b32 exec_lo, exec_lo, s17
.LBB357_1202:                           ;   in Loop: Header=BB357_15 Depth=1
	s_delay_alu instid0(SALU_CYCLE_1) | instskip(SKIP_4) | instid1(VALU_DEP_3)
	s_or_b32 exec_lo, exec_lo, s16
	v_and_b32_e32 v2, 0xff, v1
	v_dual_mov_b32 v24, v1 :: v_dual_mov_b32 v29, 0
	v_mov_b32_e32 v28, 0
	s_mov_b32 s16, exec_lo
	v_cmpx_ne_u16_e32 0, v2
	s_cbranch_execz .LBB357_1210
; %bb.1203:                             ;   in Loop: Header=BB357_15 Depth=1
	v_bfrev_b32_e32 v28, 1
	s_mov_b32 s17, exec_lo
	v_cmpx_ne_u16_e32 0x80, v2
	s_cbranch_execz .LBB357_1209
; %bb.1204:                             ;   in Loop: Header=BB357_15 Depth=1
	v_and_b32_e32 v6, 0x7f, v1
	v_mov_b32_e32 v28, 0x7f800001
	s_mov_b32 s18, exec_lo
	s_delay_alu instid0(VALU_DEP_2)
	v_cmpx_ne_u32_e32 0x7f, v6
	s_cbranch_execz .LBB357_1208
; %bb.1205:                             ;   in Loop: Header=BB357_15 Depth=1
	v_mov_b64_e32 v[2:3], v[24:25]
	v_lshrrev_b32_e32 v3, 3, v6
	s_mov_b32 s19, exec_lo
	v_cmpx_gt_u32_e32 8, v6
; %bb.1206:                             ;   in Loop: Header=BB357_15 Depth=1
	v_and_b32_e32 v2, 7, v1
	s_delay_alu instid0(VALU_DEP_1) | instskip(NEXT) | instid1(VALU_DEP_1)
	v_clz_i32_u32_e32 v2, v2
	v_min_u32_e32 v6, 32, v2
	s_delay_alu instid0(VALU_DEP_1) | instskip(NEXT) | instid1(VALU_DEP_1)
	v_subrev_nc_u32_e32 v2, 28, v6
	v_lshlrev_b64_e32 v[2:3], v2, v[24:25]
	v_sub_nc_u32_e32 v3, 29, v6
; %bb.1207:                             ;   in Loop: Header=BB357_15 Depth=1
	s_or_b32 exec_lo, exec_lo, s19
	s_delay_alu instid0(VALU_DEP_2) | instskip(NEXT) | instid1(VALU_DEP_2)
	v_dual_lshlrev_b32 v2, 20, v2 :: v_dual_lshlrev_b32 v6, 24, v24
	v_lshl_add_u32 v3, v3, 23, 0x3c000000
	s_delay_alu instid0(VALU_DEP_2) | instskip(NEXT) | instid1(VALU_DEP_3)
	v_and_b32_e32 v2, 0x700000, v2
	v_and_b32_e32 v6, 0x80000000, v6
	s_delay_alu instid0(VALU_DEP_1)
	v_or3_b32 v28, v2, v6, v3
.LBB357_1208:                           ;   in Loop: Header=BB357_15 Depth=1
	s_or_b32 exec_lo, exec_lo, s18
.LBB357_1209:                           ;   in Loop: Header=BB357_15 Depth=1
	s_delay_alu instid0(SALU_CYCLE_1)
	s_or_b32 exec_lo, exec_lo, s17
.LBB357_1210:                           ;   in Loop: Header=BB357_15 Depth=1
	s_delay_alu instid0(SALU_CYCLE_1) | instskip(SKIP_2) | instid1(VALU_DEP_1)
	s_or_b32 exec_lo, exec_lo, s16
	v_lshrrev_b16 v2, 8, v24
	s_mov_b32 s16, exec_lo
	v_cmpx_ne_u16_e32 0, v2
	s_cbranch_execz .LBB357_1218
; %bb.1211:                             ;   in Loop: Header=BB357_15 Depth=1
	v_bfrev_b32_e32 v29, 1
	s_mov_b32 s17, exec_lo
	v_cmpx_ne_u16_e32 0x80, v2
	s_cbranch_execz .LBB357_1217
; %bb.1212:                             ;   in Loop: Header=BB357_15 Depth=1
	v_and_b32_e32 v2, 0xffff, v2
	v_mov_b32_e32 v29, 0x7f800001
	s_mov_b32 s18, exec_lo
	s_delay_alu instid0(VALU_DEP_2) | instskip(NEXT) | instid1(VALU_DEP_1)
	v_and_b32_e32 v7, 0x7f, v2
	v_cmpx_ne_u32_e32 0x7f, v7
	s_cbranch_execz .LBB357_1216
; %bb.1213:                             ;   in Loop: Header=BB357_15 Depth=1
	v_dual_mov_b32 v3, v25 :: v_dual_bitop2_b32 v2, 7, v2 bitop3:0x40
	v_lshrrev_b32_e32 v6, 3, v7
	s_mov_b32 s19, exec_lo
	v_cmpx_gt_u32_e32 8, v7
; %bb.1214:                             ;   in Loop: Header=BB357_15 Depth=1
	s_delay_alu instid0(VALU_DEP_3) | instskip(NEXT) | instid1(VALU_DEP_1)
	v_clz_i32_u32_e32 v6, v2
	v_min_u32_e32 v6, 32, v6
	s_delay_alu instid0(VALU_DEP_1) | instskip(SKIP_1) | instid1(VALU_DEP_2)
	v_subrev_nc_u32_e32 v7, 28, v6
	v_sub_nc_u32_e32 v6, 29, v6
	v_lshlrev_b64_e32 v[2:3], v7, v[2:3]
	s_delay_alu instid0(VALU_DEP_1)
	v_and_b32_e32 v2, 7, v2
; %bb.1215:                             ;   in Loop: Header=BB357_15 Depth=1
	s_or_b32 exec_lo, exec_lo, s19
	s_delay_alu instid0(VALU_DEP_1) | instskip(SKIP_1) | instid1(VALU_DEP_2)
	v_dual_lshlrev_b32 v3, 16, v24 :: v_dual_lshlrev_b32 v2, 20, v2
	v_lshl_add_u32 v6, v6, 23, 0x3c000000
	v_and_b32_e32 v3, 0x80000000, v3
	s_delay_alu instid0(VALU_DEP_1)
	v_or3_b32 v29, v2, v3, v6
.LBB357_1216:                           ;   in Loop: Header=BB357_15 Depth=1
	s_or_b32 exec_lo, exec_lo, s18
.LBB357_1217:                           ;   in Loop: Header=BB357_15 Depth=1
	s_delay_alu instid0(SALU_CYCLE_1)
	s_or_b32 exec_lo, exec_lo, s17
.LBB357_1218:                           ;   in Loop: Header=BB357_15 Depth=1
	s_delay_alu instid0(SALU_CYCLE_1) | instskip(SKIP_3) | instid1(VALU_DEP_2)
	s_or_b32 exec_lo, exec_lo, s16
	v_dual_mov_b32 v21, 0 :: v_dual_lshrrev_b32 v6, 16, v1
	v_mov_b32_e32 v20, 0
	s_mov_b32 s16, exec_lo
	v_and_b32_e32 v2, 0xff, v6
	s_delay_alu instid0(VALU_DEP_1)
	v_cmpx_ne_u16_e32 0, v2
	s_cbranch_execz .LBB357_1226
; %bb.1219:                             ;   in Loop: Header=BB357_15 Depth=1
	v_bfrev_b32_e32 v20, 1
	s_mov_b32 s17, exec_lo
	v_cmpx_ne_u16_e32 0x80, v2
	s_cbranch_execz .LBB357_1225
; %bb.1220:                             ;   in Loop: Header=BB357_15 Depth=1
	v_bfe_u32 v7, v1, 16, 7
	v_mov_b32_e32 v20, 0x7f800001
	s_mov_b32 s18, exec_lo
	s_delay_alu instid0(VALU_DEP_2)
	v_cmpx_ne_u32_e32 0x7f, v7
	s_cbranch_execz .LBB357_1224
; %bb.1221:                             ;   in Loop: Header=BB357_15 Depth=1
	v_and_b32_e32 v24, 7, v6
	s_mov_b32 s19, exec_lo
	s_delay_alu instid0(VALU_DEP_1)
	v_mov_b64_e32 v[2:3], v[24:25]
	v_lshrrev_b32_e32 v3, 3, v7
	v_cmpx_gt_u32_e32 8, v7
; %bb.1222:                             ;   in Loop: Header=BB357_15 Depth=1
	v_clz_i32_u32_e32 v2, v24
	s_delay_alu instid0(VALU_DEP_1) | instskip(NEXT) | instid1(VALU_DEP_1)
	v_min_u32_e32 v7, 32, v2
	v_subrev_nc_u32_e32 v2, 28, v7
	s_delay_alu instid0(VALU_DEP_1) | instskip(NEXT) | instid1(VALU_DEP_1)
	v_lshlrev_b64_e32 v[2:3], v2, v[24:25]
	v_dual_sub_nc_u32 v3, 29, v7 :: v_dual_bitop2_b32 v2, 7, v2 bitop3:0x40
; %bb.1223:                             ;   in Loop: Header=BB357_15 Depth=1
	s_or_b32 exec_lo, exec_lo, s19
	v_lshlrev_b32_e32 v6, 24, v6
	s_delay_alu instid0(VALU_DEP_2) | instskip(NEXT) | instid1(VALU_DEP_3)
	v_lshlrev_b32_e32 v2, 20, v2
	v_lshl_add_u32 v3, v3, 23, 0x3c000000
	s_delay_alu instid0(VALU_DEP_3) | instskip(NEXT) | instid1(VALU_DEP_1)
	v_and_b32_e32 v6, 0x80000000, v6
	v_or3_b32 v20, v2, v6, v3
.LBB357_1224:                           ;   in Loop: Header=BB357_15 Depth=1
	s_or_b32 exec_lo, exec_lo, s18
.LBB357_1225:                           ;   in Loop: Header=BB357_15 Depth=1
	s_delay_alu instid0(SALU_CYCLE_1)
	s_or_b32 exec_lo, exec_lo, s17
.LBB357_1226:                           ;   in Loop: Header=BB357_15 Depth=1
	s_delay_alu instid0(SALU_CYCLE_1) | instskip(NEXT) | instid1(SALU_CYCLE_1)
	s_or_b32 exec_lo, exec_lo, s16
	s_mov_b32 s16, exec_lo
	v_cmpx_lt_u64_e64 s[8:9], v[0:1]
	s_cbranch_execz .LBB357_1234
; %bb.1227:                             ;   in Loop: Header=BB357_15 Depth=1
	v_lshrrev_b32_e32 v2, 24, v1
	v_bfrev_b32_e32 v21, 1
	s_mov_b32 s17, exec_lo
	s_delay_alu instid0(VALU_DEP_2)
	v_cmpx_ne_u32_e32 0x80, v2
	s_cbranch_execz .LBB357_1233
; %bb.1228:                             ;   in Loop: Header=BB357_15 Depth=1
	v_bfe_u32 v3, v1, 24, 7
	v_mov_b32_e32 v21, 0x7f800001
	s_mov_b32 s18, exec_lo
	s_delay_alu instid0(VALU_DEP_2)
	v_cmpx_ne_u32_e32 0x7f, v3
	s_cbranch_execz .LBB357_1232
; %bb.1229:                             ;   in Loop: Header=BB357_15 Depth=1
	v_and_b32_e32 v24, 7, v2
	s_mov_b32 s19, exec_lo
	s_delay_alu instid0(VALU_DEP_1)
	v_mov_b64_e32 v[0:1], v[24:25]
	v_lshrrev_b32_e32 v1, 3, v3
	v_cmpx_gt_u32_e32 8, v3
; %bb.1230:                             ;   in Loop: Header=BB357_15 Depth=1
	v_clz_i32_u32_e32 v0, v24
	s_delay_alu instid0(VALU_DEP_1) | instskip(NEXT) | instid1(VALU_DEP_1)
	v_min_u32_e32 v3, 32, v0
	v_subrev_nc_u32_e32 v0, 28, v3
	s_delay_alu instid0(VALU_DEP_1) | instskip(NEXT) | instid1(VALU_DEP_1)
	v_lshlrev_b64_e32 v[0:1], v0, v[24:25]
	v_dual_sub_nc_u32 v1, 29, v3 :: v_dual_bitop2_b32 v0, 7, v0 bitop3:0x40
; %bb.1231:                             ;   in Loop: Header=BB357_15 Depth=1
	s_or_b32 exec_lo, exec_lo, s19
	s_delay_alu instid0(VALU_DEP_1) | instskip(NEXT) | instid1(VALU_DEP_2)
	v_dual_lshlrev_b32 v2, 24, v2 :: v_dual_lshlrev_b32 v0, 20, v0
	v_lshl_add_u32 v1, v1, 23, 0x3c000000
	s_delay_alu instid0(VALU_DEP_2) | instskip(NEXT) | instid1(VALU_DEP_1)
	v_and_b32_e32 v2, 0x80000000, v2
	v_or3_b32 v21, v0, v2, v1
.LBB357_1232:                           ;   in Loop: Header=BB357_15 Depth=1
	s_or_b32 exec_lo, exec_lo, s18
.LBB357_1233:                           ;   in Loop: Header=BB357_15 Depth=1
	s_delay_alu instid0(SALU_CYCLE_1)
	s_or_b32 exec_lo, exec_lo, s17
.LBB357_1234:                           ;   in Loop: Header=BB357_15 Depth=1
	s_delay_alu instid0(SALU_CYCLE_1)
	s_or_b32 exec_lo, exec_lo, s16
	flat_load_b64 v[0:1], v[102:103] offset:4616
	v_dual_mov_b32 v67, 0 :: v_dual_mov_b32 v66, 0
	s_mov_b32 s16, exec_lo
	s_wait_loadcnt_dscnt 0x0
	v_and_b32_e32 v2, 0xff, v0
	s_wait_xcnt 0x0
	s_delay_alu instid0(VALU_DEP_1)
	v_cmpx_ne_u16_e32 0, v2
	s_cbranch_execz .LBB357_1242
; %bb.1235:                             ;   in Loop: Header=BB357_15 Depth=1
	v_bfrev_b32_e32 v66, 1
	s_mov_b32 s17, exec_lo
	v_cmpx_ne_u16_e32 0x80, v2
	s_cbranch_execz .LBB357_1241
; %bb.1236:                             ;   in Loop: Header=BB357_15 Depth=1
	v_and_b32_e32 v2, 0x7f, v0
	v_mov_b32_e32 v66, 0x7f800001
	s_mov_b32 s18, exec_lo
	s_delay_alu instid0(VALU_DEP_2)
	v_cmpx_ne_u32_e32 0x7f, v2
	s_cbranch_execz .LBB357_1240
; %bb.1237:                             ;   in Loop: Header=BB357_15 Depth=1
	v_lshrrev_b32_e32 v6, 3, v2
	v_cmp_gt_u32_e64 s1, 8, v2
	v_mov_b64_e32 v[2:3], v[0:1]
	s_and_saveexec_b32 s19, s1
; %bb.1238:                             ;   in Loop: Header=BB357_15 Depth=1
	v_and_b32_e32 v2, 7, v0
	s_delay_alu instid0(VALU_DEP_1) | instskip(NEXT) | instid1(VALU_DEP_1)
	v_clz_i32_u32_e32 v2, v2
	v_min_u32_e32 v6, 32, v2
	s_delay_alu instid0(VALU_DEP_1) | instskip(SKIP_1) | instid1(VALU_DEP_2)
	v_subrev_nc_u32_e32 v2, 28, v6
	v_sub_nc_u32_e32 v6, 29, v6
	v_lshlrev_b64_e32 v[2:3], v2, v[0:1]
; %bb.1239:                             ;   in Loop: Header=BB357_15 Depth=1
	s_or_b32 exec_lo, exec_lo, s19
	s_delay_alu instid0(VALU_DEP_1) | instskip(NEXT) | instid1(VALU_DEP_3)
	v_dual_lshlrev_b32 v2, 20, v2 :: v_dual_lshlrev_b32 v3, 24, v0
	v_lshl_add_u32 v6, v6, 23, 0x3c000000
	s_delay_alu instid0(VALU_DEP_2) | instskip(NEXT) | instid1(VALU_DEP_3)
	v_and_b32_e32 v2, 0x700000, v2
	v_and_b32_e32 v3, 0x80000000, v3
	s_delay_alu instid0(VALU_DEP_1)
	v_or3_b32 v66, v2, v3, v6
.LBB357_1240:                           ;   in Loop: Header=BB357_15 Depth=1
	s_or_b32 exec_lo, exec_lo, s18
.LBB357_1241:                           ;   in Loop: Header=BB357_15 Depth=1
	s_delay_alu instid0(SALU_CYCLE_1)
	s_or_b32 exec_lo, exec_lo, s17
.LBB357_1242:                           ;   in Loop: Header=BB357_15 Depth=1
	s_delay_alu instid0(SALU_CYCLE_1) | instskip(SKIP_2) | instid1(VALU_DEP_1)
	s_or_b32 exec_lo, exec_lo, s16
	v_lshrrev_b16 v2, 8, v0
	s_mov_b32 s16, exec_lo
	v_cmpx_ne_u16_e32 0, v2
	s_cbranch_execz .LBB357_1250
; %bb.1243:                             ;   in Loop: Header=BB357_15 Depth=1
	v_bfrev_b32_e32 v67, 1
	s_mov_b32 s17, exec_lo
	v_cmpx_ne_u16_e32 0x80, v2
	s_cbranch_execz .LBB357_1249
; %bb.1244:                             ;   in Loop: Header=BB357_15 Depth=1
	v_and_b32_e32 v2, 0xffff, v2
	v_mov_b32_e32 v67, 0x7f800001
	s_mov_b32 s18, exec_lo
	s_delay_alu instid0(VALU_DEP_2) | instskip(NEXT) | instid1(VALU_DEP_1)
	v_and_b32_e32 v6, 0x7f, v2
	v_cmpx_ne_u32_e32 0x7f, v6
	s_cbranch_execz .LBB357_1248
; %bb.1245:                             ;   in Loop: Header=BB357_15 Depth=1
	v_and_b32_e32 v24, 7, v2
	s_mov_b32 s19, exec_lo
	s_delay_alu instid0(VALU_DEP_1)
	v_mov_b64_e32 v[2:3], v[24:25]
	v_lshrrev_b32_e32 v3, 3, v6
	v_cmpx_gt_u32_e32 8, v6
; %bb.1246:                             ;   in Loop: Header=BB357_15 Depth=1
	v_clz_i32_u32_e32 v2, v24
	s_delay_alu instid0(VALU_DEP_1) | instskip(NEXT) | instid1(VALU_DEP_1)
	v_min_u32_e32 v6, 32, v2
	v_subrev_nc_u32_e32 v2, 28, v6
	s_delay_alu instid0(VALU_DEP_1) | instskip(SKIP_1) | instid1(VALU_DEP_2)
	v_lshlrev_b64_e32 v[2:3], v2, v[24:25]
	v_sub_nc_u32_e32 v3, 29, v6
	v_and_b32_e32 v2, 7, v2
; %bb.1247:                             ;   in Loop: Header=BB357_15 Depth=1
	s_or_b32 exec_lo, exec_lo, s19
	s_delay_alu instid0(VALU_DEP_1) | instskip(NEXT) | instid1(VALU_DEP_3)
	v_dual_lshlrev_b32 v6, 16, v0 :: v_dual_lshlrev_b32 v2, 20, v2
	v_lshl_add_u32 v3, v3, 23, 0x3c000000
	s_delay_alu instid0(VALU_DEP_2) | instskip(NEXT) | instid1(VALU_DEP_1)
	v_and_b32_e32 v6, 0x80000000, v6
	v_or3_b32 v67, v2, v6, v3
.LBB357_1248:                           ;   in Loop: Header=BB357_15 Depth=1
	s_or_b32 exec_lo, exec_lo, s18
.LBB357_1249:                           ;   in Loop: Header=BB357_15 Depth=1
	s_delay_alu instid0(SALU_CYCLE_1)
	s_or_b32 exec_lo, exec_lo, s17
.LBB357_1250:                           ;   in Loop: Header=BB357_15 Depth=1
	s_delay_alu instid0(SALU_CYCLE_1) | instskip(SKIP_3) | instid1(VALU_DEP_2)
	s_or_b32 exec_lo, exec_lo, s16
	v_dual_mov_b32 v115, 0 :: v_dual_lshrrev_b32 v6, 16, v0
	v_mov_b32_e32 v114, 0
	s_mov_b32 s16, exec_lo
	v_and_b32_e32 v2, 0xff, v6
	s_delay_alu instid0(VALU_DEP_1)
	v_cmpx_ne_u16_e32 0, v2
	s_cbranch_execz .LBB357_1258
; %bb.1251:                             ;   in Loop: Header=BB357_15 Depth=1
	v_bfrev_b32_e32 v114, 1
	s_mov_b32 s17, exec_lo
	v_cmpx_ne_u16_e32 0x80, v2
	s_cbranch_execz .LBB357_1257
; %bb.1252:                             ;   in Loop: Header=BB357_15 Depth=1
	v_bfe_u32 v7, v0, 16, 7
	v_mov_b32_e32 v114, 0x7f800001
	s_mov_b32 s18, exec_lo
	s_delay_alu instid0(VALU_DEP_2)
	v_cmpx_ne_u32_e32 0x7f, v7
	s_cbranch_execz .LBB357_1256
; %bb.1253:                             ;   in Loop: Header=BB357_15 Depth=1
	v_and_b32_e32 v24, 7, v6
	s_mov_b32 s19, exec_lo
	s_delay_alu instid0(VALU_DEP_1)
	v_mov_b64_e32 v[2:3], v[24:25]
	v_lshrrev_b32_e32 v3, 3, v7
	v_cmpx_gt_u32_e32 8, v7
; %bb.1254:                             ;   in Loop: Header=BB357_15 Depth=1
	v_clz_i32_u32_e32 v2, v24
	s_delay_alu instid0(VALU_DEP_1) | instskip(NEXT) | instid1(VALU_DEP_1)
	v_min_u32_e32 v7, 32, v2
	v_subrev_nc_u32_e32 v2, 28, v7
	s_delay_alu instid0(VALU_DEP_1) | instskip(NEXT) | instid1(VALU_DEP_1)
	v_lshlrev_b64_e32 v[2:3], v2, v[24:25]
	v_dual_sub_nc_u32 v3, 29, v7 :: v_dual_bitop2_b32 v2, 7, v2 bitop3:0x40
; %bb.1255:                             ;   in Loop: Header=BB357_15 Depth=1
	s_or_b32 exec_lo, exec_lo, s19
	v_lshlrev_b32_e32 v6, 24, v6
	s_delay_alu instid0(VALU_DEP_2) | instskip(NEXT) | instid1(VALU_DEP_3)
	v_lshlrev_b32_e32 v2, 20, v2
	v_lshl_add_u32 v3, v3, 23, 0x3c000000
	s_delay_alu instid0(VALU_DEP_3) | instskip(NEXT) | instid1(VALU_DEP_1)
	v_and_b32_e32 v6, 0x80000000, v6
	v_or3_b32 v114, v2, v6, v3
.LBB357_1256:                           ;   in Loop: Header=BB357_15 Depth=1
	s_or_b32 exec_lo, exec_lo, s18
.LBB357_1257:                           ;   in Loop: Header=BB357_15 Depth=1
	s_delay_alu instid0(SALU_CYCLE_1)
	s_or_b32 exec_lo, exec_lo, s17
.LBB357_1258:                           ;   in Loop: Header=BB357_15 Depth=1
	s_delay_alu instid0(SALU_CYCLE_1) | instskip(NEXT) | instid1(SALU_CYCLE_1)
	s_or_b32 exec_lo, exec_lo, s16
	s_mov_b32 s16, exec_lo
	v_cmpx_lt_u32_e32 0xffffff, v0
	s_cbranch_execz .LBB357_1266
; %bb.1259:                             ;   in Loop: Header=BB357_15 Depth=1
	v_lshrrev_b32_e32 v6, 24, v0
	v_bfrev_b32_e32 v115, 1
	s_mov_b32 s17, exec_lo
	s_delay_alu instid0(VALU_DEP_2)
	v_cmpx_ne_u32_e32 0x80, v6
	s_cbranch_execz .LBB357_1265
; %bb.1260:                             ;   in Loop: Header=BB357_15 Depth=1
	v_bfe_u32 v7, v0, 24, 7
	v_mov_b32_e32 v115, 0x7f800001
	s_mov_b32 s18, exec_lo
	s_delay_alu instid0(VALU_DEP_2)
	v_cmpx_ne_u32_e32 0x7f, v7
	s_cbranch_execz .LBB357_1264
; %bb.1261:                             ;   in Loop: Header=BB357_15 Depth=1
	v_and_b32_e32 v24, 7, v6
	s_mov_b32 s19, exec_lo
	s_delay_alu instid0(VALU_DEP_1)
	v_mov_b64_e32 v[2:3], v[24:25]
	v_lshrrev_b32_e32 v3, 3, v7
	v_cmpx_gt_u32_e32 8, v7
; %bb.1262:                             ;   in Loop: Header=BB357_15 Depth=1
	v_clz_i32_u32_e32 v2, v24
	s_delay_alu instid0(VALU_DEP_1) | instskip(NEXT) | instid1(VALU_DEP_1)
	v_min_u32_e32 v7, 32, v2
	v_subrev_nc_u32_e32 v2, 28, v7
	s_delay_alu instid0(VALU_DEP_1) | instskip(NEXT) | instid1(VALU_DEP_1)
	v_lshlrev_b64_e32 v[2:3], v2, v[24:25]
	v_dual_sub_nc_u32 v3, 29, v7 :: v_dual_bitop2_b32 v2, 7, v2 bitop3:0x40
; %bb.1263:                             ;   in Loop: Header=BB357_15 Depth=1
	s_or_b32 exec_lo, exec_lo, s19
	v_lshlrev_b32_e32 v6, 24, v6
	s_delay_alu instid0(VALU_DEP_2) | instskip(NEXT) | instid1(VALU_DEP_3)
	v_lshlrev_b32_e32 v2, 20, v2
	v_lshl_add_u32 v3, v3, 23, 0x3c000000
	s_delay_alu instid0(VALU_DEP_3) | instskip(NEXT) | instid1(VALU_DEP_1)
	v_and_b32_e32 v6, 0x80000000, v6
	v_or3_b32 v115, v2, v6, v3
.LBB357_1264:                           ;   in Loop: Header=BB357_15 Depth=1
	s_or_b32 exec_lo, exec_lo, s18
.LBB357_1265:                           ;   in Loop: Header=BB357_15 Depth=1
	s_delay_alu instid0(SALU_CYCLE_1)
	s_or_b32 exec_lo, exec_lo, s17
.LBB357_1266:                           ;   in Loop: Header=BB357_15 Depth=1
	s_delay_alu instid0(SALU_CYCLE_1) | instskip(SKIP_4) | instid1(VALU_DEP_3)
	s_or_b32 exec_lo, exec_lo, s16
	v_and_b32_e32 v2, 0xff, v1
	v_dual_mov_b32 v24, v1 :: v_dual_mov_b32 v117, 0
	v_mov_b32_e32 v116, 0
	s_mov_b32 s16, exec_lo
	v_cmpx_ne_u16_e32 0, v2
	s_cbranch_execz .LBB357_1274
; %bb.1267:                             ;   in Loop: Header=BB357_15 Depth=1
	v_bfrev_b32_e32 v116, 1
	s_mov_b32 s17, exec_lo
	v_cmpx_ne_u16_e32 0x80, v2
	s_cbranch_execz .LBB357_1273
; %bb.1268:                             ;   in Loop: Header=BB357_15 Depth=1
	v_and_b32_e32 v6, 0x7f, v1
	v_mov_b32_e32 v116, 0x7f800001
	s_mov_b32 s18, exec_lo
	s_delay_alu instid0(VALU_DEP_2)
	v_cmpx_ne_u32_e32 0x7f, v6
	s_cbranch_execz .LBB357_1272
; %bb.1269:                             ;   in Loop: Header=BB357_15 Depth=1
	v_mov_b64_e32 v[2:3], v[24:25]
	v_lshrrev_b32_e32 v3, 3, v6
	s_mov_b32 s19, exec_lo
	v_cmpx_gt_u32_e32 8, v6
; %bb.1270:                             ;   in Loop: Header=BB357_15 Depth=1
	v_and_b32_e32 v2, 7, v1
	s_delay_alu instid0(VALU_DEP_1) | instskip(NEXT) | instid1(VALU_DEP_1)
	v_clz_i32_u32_e32 v2, v2
	v_min_u32_e32 v6, 32, v2
	s_delay_alu instid0(VALU_DEP_1) | instskip(NEXT) | instid1(VALU_DEP_1)
	v_subrev_nc_u32_e32 v2, 28, v6
	v_lshlrev_b64_e32 v[2:3], v2, v[24:25]
	v_sub_nc_u32_e32 v3, 29, v6
; %bb.1271:                             ;   in Loop: Header=BB357_15 Depth=1
	s_or_b32 exec_lo, exec_lo, s19
	s_delay_alu instid0(VALU_DEP_2) | instskip(NEXT) | instid1(VALU_DEP_2)
	v_dual_lshlrev_b32 v2, 20, v2 :: v_dual_lshlrev_b32 v6, 24, v24
	v_lshl_add_u32 v3, v3, 23, 0x3c000000
	s_delay_alu instid0(VALU_DEP_2) | instskip(NEXT) | instid1(VALU_DEP_3)
	v_and_b32_e32 v2, 0x700000, v2
	v_and_b32_e32 v6, 0x80000000, v6
	s_delay_alu instid0(VALU_DEP_1)
	v_or3_b32 v116, v2, v6, v3
.LBB357_1272:                           ;   in Loop: Header=BB357_15 Depth=1
	s_or_b32 exec_lo, exec_lo, s18
.LBB357_1273:                           ;   in Loop: Header=BB357_15 Depth=1
	s_delay_alu instid0(SALU_CYCLE_1)
	s_or_b32 exec_lo, exec_lo, s17
.LBB357_1274:                           ;   in Loop: Header=BB357_15 Depth=1
	s_delay_alu instid0(SALU_CYCLE_1) | instskip(SKIP_2) | instid1(VALU_DEP_1)
	s_or_b32 exec_lo, exec_lo, s16
	v_lshrrev_b16 v2, 8, v24
	s_mov_b32 s16, exec_lo
	v_cmpx_ne_u16_e32 0, v2
	s_cbranch_execz .LBB357_1282
; %bb.1275:                             ;   in Loop: Header=BB357_15 Depth=1
	v_bfrev_b32_e32 v117, 1
	s_mov_b32 s17, exec_lo
	v_cmpx_ne_u16_e32 0x80, v2
	s_cbranch_execz .LBB357_1281
; %bb.1276:                             ;   in Loop: Header=BB357_15 Depth=1
	v_and_b32_e32 v2, 0xffff, v2
	v_mov_b32_e32 v117, 0x7f800001
	s_mov_b32 s18, exec_lo
	s_delay_alu instid0(VALU_DEP_2) | instskip(NEXT) | instid1(VALU_DEP_1)
	v_and_b32_e32 v7, 0x7f, v2
	v_cmpx_ne_u32_e32 0x7f, v7
	s_cbranch_execz .LBB357_1280
; %bb.1277:                             ;   in Loop: Header=BB357_15 Depth=1
	v_dual_mov_b32 v3, v25 :: v_dual_bitop2_b32 v2, 7, v2 bitop3:0x40
	v_lshrrev_b32_e32 v6, 3, v7
	s_mov_b32 s19, exec_lo
	v_cmpx_gt_u32_e32 8, v7
; %bb.1278:                             ;   in Loop: Header=BB357_15 Depth=1
	s_delay_alu instid0(VALU_DEP_3) | instskip(NEXT) | instid1(VALU_DEP_1)
	v_clz_i32_u32_e32 v6, v2
	v_min_u32_e32 v6, 32, v6
	s_delay_alu instid0(VALU_DEP_1) | instskip(SKIP_1) | instid1(VALU_DEP_2)
	v_subrev_nc_u32_e32 v7, 28, v6
	v_sub_nc_u32_e32 v6, 29, v6
	v_lshlrev_b64_e32 v[2:3], v7, v[2:3]
	s_delay_alu instid0(VALU_DEP_1)
	v_and_b32_e32 v2, 7, v2
; %bb.1279:                             ;   in Loop: Header=BB357_15 Depth=1
	s_or_b32 exec_lo, exec_lo, s19
	s_delay_alu instid0(VALU_DEP_1) | instskip(SKIP_1) | instid1(VALU_DEP_2)
	v_dual_lshlrev_b32 v3, 16, v24 :: v_dual_lshlrev_b32 v2, 20, v2
	v_lshl_add_u32 v6, v6, 23, 0x3c000000
	v_and_b32_e32 v3, 0x80000000, v3
	s_delay_alu instid0(VALU_DEP_1)
	v_or3_b32 v117, v2, v3, v6
.LBB357_1280:                           ;   in Loop: Header=BB357_15 Depth=1
	s_or_b32 exec_lo, exec_lo, s18
.LBB357_1281:                           ;   in Loop: Header=BB357_15 Depth=1
	s_delay_alu instid0(SALU_CYCLE_1)
	s_or_b32 exec_lo, exec_lo, s17
.LBB357_1282:                           ;   in Loop: Header=BB357_15 Depth=1
	s_delay_alu instid0(SALU_CYCLE_1) | instskip(SKIP_3) | instid1(VALU_DEP_2)
	s_or_b32 exec_lo, exec_lo, s16
	v_dual_mov_b32 v119, 0 :: v_dual_lshrrev_b32 v6, 16, v1
	v_mov_b32_e32 v118, 0
	s_mov_b32 s16, exec_lo
	v_and_b32_e32 v2, 0xff, v6
	s_delay_alu instid0(VALU_DEP_1)
	v_cmpx_ne_u16_e32 0, v2
	s_cbranch_execz .LBB357_1290
; %bb.1283:                             ;   in Loop: Header=BB357_15 Depth=1
	v_bfrev_b32_e32 v118, 1
	s_mov_b32 s17, exec_lo
	v_cmpx_ne_u16_e32 0x80, v2
	s_cbranch_execz .LBB357_1289
; %bb.1284:                             ;   in Loop: Header=BB357_15 Depth=1
	v_bfe_u32 v7, v1, 16, 7
	v_mov_b32_e32 v118, 0x7f800001
	s_mov_b32 s18, exec_lo
	s_delay_alu instid0(VALU_DEP_2)
	v_cmpx_ne_u32_e32 0x7f, v7
	s_cbranch_execz .LBB357_1288
; %bb.1285:                             ;   in Loop: Header=BB357_15 Depth=1
	v_and_b32_e32 v24, 7, v6
	s_mov_b32 s19, exec_lo
	s_delay_alu instid0(VALU_DEP_1)
	v_mov_b64_e32 v[2:3], v[24:25]
	v_lshrrev_b32_e32 v3, 3, v7
	v_cmpx_gt_u32_e32 8, v7
; %bb.1286:                             ;   in Loop: Header=BB357_15 Depth=1
	v_clz_i32_u32_e32 v2, v24
	s_delay_alu instid0(VALU_DEP_1) | instskip(NEXT) | instid1(VALU_DEP_1)
	v_min_u32_e32 v7, 32, v2
	v_subrev_nc_u32_e32 v2, 28, v7
	s_delay_alu instid0(VALU_DEP_1) | instskip(NEXT) | instid1(VALU_DEP_1)
	v_lshlrev_b64_e32 v[2:3], v2, v[24:25]
	v_dual_sub_nc_u32 v3, 29, v7 :: v_dual_bitop2_b32 v2, 7, v2 bitop3:0x40
; %bb.1287:                             ;   in Loop: Header=BB357_15 Depth=1
	s_or_b32 exec_lo, exec_lo, s19
	v_lshlrev_b32_e32 v6, 24, v6
	s_delay_alu instid0(VALU_DEP_2) | instskip(NEXT) | instid1(VALU_DEP_3)
	v_lshlrev_b32_e32 v2, 20, v2
	v_lshl_add_u32 v3, v3, 23, 0x3c000000
	s_delay_alu instid0(VALU_DEP_3) | instskip(NEXT) | instid1(VALU_DEP_1)
	v_and_b32_e32 v6, 0x80000000, v6
	v_or3_b32 v118, v2, v6, v3
.LBB357_1288:                           ;   in Loop: Header=BB357_15 Depth=1
	s_or_b32 exec_lo, exec_lo, s18
.LBB357_1289:                           ;   in Loop: Header=BB357_15 Depth=1
	s_delay_alu instid0(SALU_CYCLE_1)
	s_or_b32 exec_lo, exec_lo, s17
.LBB357_1290:                           ;   in Loop: Header=BB357_15 Depth=1
	s_delay_alu instid0(SALU_CYCLE_1) | instskip(NEXT) | instid1(SALU_CYCLE_1)
	s_or_b32 exec_lo, exec_lo, s16
	s_mov_b32 s16, exec_lo
	v_cmpx_lt_u64_e64 s[8:9], v[0:1]
	s_cbranch_execz .LBB357_1298
; %bb.1291:                             ;   in Loop: Header=BB357_15 Depth=1
	v_lshrrev_b32_e32 v2, 24, v1
	v_bfrev_b32_e32 v119, 1
	s_mov_b32 s17, exec_lo
	s_delay_alu instid0(VALU_DEP_2)
	v_cmpx_ne_u32_e32 0x80, v2
	s_cbranch_execz .LBB357_1297
; %bb.1292:                             ;   in Loop: Header=BB357_15 Depth=1
	v_bfe_u32 v3, v1, 24, 7
	v_mov_b32_e32 v119, 0x7f800001
	s_mov_b32 s18, exec_lo
	s_delay_alu instid0(VALU_DEP_2)
	v_cmpx_ne_u32_e32 0x7f, v3
	s_cbranch_execz .LBB357_1296
; %bb.1293:                             ;   in Loop: Header=BB357_15 Depth=1
	v_and_b32_e32 v24, 7, v2
	s_mov_b32 s19, exec_lo
	s_delay_alu instid0(VALU_DEP_1)
	v_mov_b64_e32 v[0:1], v[24:25]
	v_lshrrev_b32_e32 v1, 3, v3
	v_cmpx_gt_u32_e32 8, v3
; %bb.1294:                             ;   in Loop: Header=BB357_15 Depth=1
	v_clz_i32_u32_e32 v0, v24
	s_delay_alu instid0(VALU_DEP_1) | instskip(NEXT) | instid1(VALU_DEP_1)
	v_min_u32_e32 v3, 32, v0
	v_subrev_nc_u32_e32 v0, 28, v3
	s_delay_alu instid0(VALU_DEP_1) | instskip(NEXT) | instid1(VALU_DEP_1)
	v_lshlrev_b64_e32 v[0:1], v0, v[24:25]
	v_dual_sub_nc_u32 v1, 29, v3 :: v_dual_bitop2_b32 v0, 7, v0 bitop3:0x40
; %bb.1295:                             ;   in Loop: Header=BB357_15 Depth=1
	s_or_b32 exec_lo, exec_lo, s19
	s_delay_alu instid0(VALU_DEP_1) | instskip(NEXT) | instid1(VALU_DEP_2)
	v_dual_lshlrev_b32 v2, 24, v2 :: v_dual_lshlrev_b32 v0, 20, v0
	v_lshl_add_u32 v1, v1, 23, 0x3c000000
	s_delay_alu instid0(VALU_DEP_2) | instskip(NEXT) | instid1(VALU_DEP_1)
	v_and_b32_e32 v2, 0x80000000, v2
	v_or3_b32 v119, v0, v2, v1
.LBB357_1296:                           ;   in Loop: Header=BB357_15 Depth=1
	s_or_b32 exec_lo, exec_lo, s18
.LBB357_1297:                           ;   in Loop: Header=BB357_15 Depth=1
	s_delay_alu instid0(SALU_CYCLE_1)
	s_or_b32 exec_lo, exec_lo, s17
.LBB357_1298:                           ;   in Loop: Header=BB357_15 Depth=1
	s_delay_alu instid0(SALU_CYCLE_1)
	s_or_b32 exec_lo, exec_lo, s16
	flat_load_b64 v[0:1], v[102:103] offset:5120
	v_dual_mov_b32 v41, 0 :: v_dual_mov_b32 v40, 0
	s_mov_b32 s16, exec_lo
	s_wait_loadcnt_dscnt 0x0
	v_and_b32_e32 v2, 0xff, v0
	s_wait_xcnt 0x0
	s_delay_alu instid0(VALU_DEP_1)
	v_cmpx_ne_u16_e32 0, v2
	s_cbranch_execz .LBB357_1306
; %bb.1299:                             ;   in Loop: Header=BB357_15 Depth=1
	v_bfrev_b32_e32 v40, 1
	s_mov_b32 s17, exec_lo
	v_cmpx_ne_u16_e32 0x80, v2
	s_cbranch_execz .LBB357_1305
; %bb.1300:                             ;   in Loop: Header=BB357_15 Depth=1
	v_and_b32_e32 v2, 0x7f, v0
	v_mov_b32_e32 v40, 0x7f800001
	s_mov_b32 s18, exec_lo
	s_delay_alu instid0(VALU_DEP_2)
	v_cmpx_ne_u32_e32 0x7f, v2
	s_cbranch_execz .LBB357_1304
; %bb.1301:                             ;   in Loop: Header=BB357_15 Depth=1
	v_lshrrev_b32_e32 v6, 3, v2
	v_cmp_gt_u32_e64 s1, 8, v2
	v_mov_b64_e32 v[2:3], v[0:1]
	s_and_saveexec_b32 s19, s1
; %bb.1302:                             ;   in Loop: Header=BB357_15 Depth=1
	v_and_b32_e32 v2, 7, v0
	s_delay_alu instid0(VALU_DEP_1) | instskip(NEXT) | instid1(VALU_DEP_1)
	v_clz_i32_u32_e32 v2, v2
	v_min_u32_e32 v6, 32, v2
	s_delay_alu instid0(VALU_DEP_1) | instskip(SKIP_1) | instid1(VALU_DEP_2)
	v_subrev_nc_u32_e32 v2, 28, v6
	v_sub_nc_u32_e32 v6, 29, v6
	v_lshlrev_b64_e32 v[2:3], v2, v[0:1]
; %bb.1303:                             ;   in Loop: Header=BB357_15 Depth=1
	s_or_b32 exec_lo, exec_lo, s19
	s_delay_alu instid0(VALU_DEP_1) | instskip(NEXT) | instid1(VALU_DEP_3)
	v_dual_lshlrev_b32 v2, 20, v2 :: v_dual_lshlrev_b32 v3, 24, v0
	v_lshl_add_u32 v6, v6, 23, 0x3c000000
	s_delay_alu instid0(VALU_DEP_2) | instskip(NEXT) | instid1(VALU_DEP_3)
	v_and_b32_e32 v2, 0x700000, v2
	v_and_b32_e32 v3, 0x80000000, v3
	s_delay_alu instid0(VALU_DEP_1)
	v_or3_b32 v40, v2, v3, v6
.LBB357_1304:                           ;   in Loop: Header=BB357_15 Depth=1
	s_or_b32 exec_lo, exec_lo, s18
.LBB357_1305:                           ;   in Loop: Header=BB357_15 Depth=1
	s_delay_alu instid0(SALU_CYCLE_1)
	s_or_b32 exec_lo, exec_lo, s17
.LBB357_1306:                           ;   in Loop: Header=BB357_15 Depth=1
	s_delay_alu instid0(SALU_CYCLE_1) | instskip(SKIP_2) | instid1(VALU_DEP_1)
	s_or_b32 exec_lo, exec_lo, s16
	v_lshrrev_b16 v2, 8, v0
	s_mov_b32 s16, exec_lo
	v_cmpx_ne_u16_e32 0, v2
	s_cbranch_execz .LBB357_1314
; %bb.1307:                             ;   in Loop: Header=BB357_15 Depth=1
	v_bfrev_b32_e32 v41, 1
	s_mov_b32 s17, exec_lo
	v_cmpx_ne_u16_e32 0x80, v2
	s_cbranch_execz .LBB357_1313
; %bb.1308:                             ;   in Loop: Header=BB357_15 Depth=1
	v_and_b32_e32 v2, 0xffff, v2
	v_mov_b32_e32 v41, 0x7f800001
	s_mov_b32 s18, exec_lo
	s_delay_alu instid0(VALU_DEP_2) | instskip(NEXT) | instid1(VALU_DEP_1)
	v_and_b32_e32 v6, 0x7f, v2
	v_cmpx_ne_u32_e32 0x7f, v6
	s_cbranch_execz .LBB357_1312
; %bb.1309:                             ;   in Loop: Header=BB357_15 Depth=1
	v_and_b32_e32 v24, 7, v2
	s_mov_b32 s19, exec_lo
	s_delay_alu instid0(VALU_DEP_1)
	v_mov_b64_e32 v[2:3], v[24:25]
	v_lshrrev_b32_e32 v3, 3, v6
	v_cmpx_gt_u32_e32 8, v6
; %bb.1310:                             ;   in Loop: Header=BB357_15 Depth=1
	v_clz_i32_u32_e32 v2, v24
	s_delay_alu instid0(VALU_DEP_1) | instskip(NEXT) | instid1(VALU_DEP_1)
	v_min_u32_e32 v6, 32, v2
	v_subrev_nc_u32_e32 v2, 28, v6
	s_delay_alu instid0(VALU_DEP_1) | instskip(SKIP_1) | instid1(VALU_DEP_2)
	v_lshlrev_b64_e32 v[2:3], v2, v[24:25]
	v_sub_nc_u32_e32 v3, 29, v6
	v_and_b32_e32 v2, 7, v2
; %bb.1311:                             ;   in Loop: Header=BB357_15 Depth=1
	s_or_b32 exec_lo, exec_lo, s19
	s_delay_alu instid0(VALU_DEP_1) | instskip(NEXT) | instid1(VALU_DEP_3)
	v_dual_lshlrev_b32 v6, 16, v0 :: v_dual_lshlrev_b32 v2, 20, v2
	v_lshl_add_u32 v3, v3, 23, 0x3c000000
	s_delay_alu instid0(VALU_DEP_2) | instskip(NEXT) | instid1(VALU_DEP_1)
	v_and_b32_e32 v6, 0x80000000, v6
	v_or3_b32 v41, v2, v6, v3
.LBB357_1312:                           ;   in Loop: Header=BB357_15 Depth=1
	s_or_b32 exec_lo, exec_lo, s18
.LBB357_1313:                           ;   in Loop: Header=BB357_15 Depth=1
	s_delay_alu instid0(SALU_CYCLE_1)
	s_or_b32 exec_lo, exec_lo, s17
.LBB357_1314:                           ;   in Loop: Header=BB357_15 Depth=1
	s_delay_alu instid0(SALU_CYCLE_1) | instskip(SKIP_3) | instid1(VALU_DEP_2)
	s_or_b32 exec_lo, exec_lo, s16
	v_dual_mov_b32 v45, 0 :: v_dual_lshrrev_b32 v6, 16, v0
	v_mov_b32_e32 v44, 0
	s_mov_b32 s16, exec_lo
	v_and_b32_e32 v2, 0xff, v6
	s_delay_alu instid0(VALU_DEP_1)
	v_cmpx_ne_u16_e32 0, v2
	s_cbranch_execz .LBB357_1322
; %bb.1315:                             ;   in Loop: Header=BB357_15 Depth=1
	v_bfrev_b32_e32 v44, 1
	s_mov_b32 s17, exec_lo
	v_cmpx_ne_u16_e32 0x80, v2
	s_cbranch_execz .LBB357_1321
; %bb.1316:                             ;   in Loop: Header=BB357_15 Depth=1
	v_bfe_u32 v7, v0, 16, 7
	v_mov_b32_e32 v44, 0x7f800001
	s_mov_b32 s18, exec_lo
	s_delay_alu instid0(VALU_DEP_2)
	v_cmpx_ne_u32_e32 0x7f, v7
	s_cbranch_execz .LBB357_1320
; %bb.1317:                             ;   in Loop: Header=BB357_15 Depth=1
	v_and_b32_e32 v24, 7, v6
	s_mov_b32 s19, exec_lo
	s_delay_alu instid0(VALU_DEP_1)
	v_mov_b64_e32 v[2:3], v[24:25]
	v_lshrrev_b32_e32 v3, 3, v7
	v_cmpx_gt_u32_e32 8, v7
; %bb.1318:                             ;   in Loop: Header=BB357_15 Depth=1
	v_clz_i32_u32_e32 v2, v24
	s_delay_alu instid0(VALU_DEP_1) | instskip(NEXT) | instid1(VALU_DEP_1)
	v_min_u32_e32 v7, 32, v2
	v_subrev_nc_u32_e32 v2, 28, v7
	s_delay_alu instid0(VALU_DEP_1) | instskip(NEXT) | instid1(VALU_DEP_1)
	v_lshlrev_b64_e32 v[2:3], v2, v[24:25]
	v_dual_sub_nc_u32 v3, 29, v7 :: v_dual_bitop2_b32 v2, 7, v2 bitop3:0x40
; %bb.1319:                             ;   in Loop: Header=BB357_15 Depth=1
	s_or_b32 exec_lo, exec_lo, s19
	v_lshlrev_b32_e32 v6, 24, v6
	s_delay_alu instid0(VALU_DEP_2) | instskip(NEXT) | instid1(VALU_DEP_3)
	v_lshlrev_b32_e32 v2, 20, v2
	v_lshl_add_u32 v3, v3, 23, 0x3c000000
	s_delay_alu instid0(VALU_DEP_3) | instskip(NEXT) | instid1(VALU_DEP_1)
	v_and_b32_e32 v6, 0x80000000, v6
	v_or3_b32 v44, v2, v6, v3
.LBB357_1320:                           ;   in Loop: Header=BB357_15 Depth=1
	s_or_b32 exec_lo, exec_lo, s18
.LBB357_1321:                           ;   in Loop: Header=BB357_15 Depth=1
	s_delay_alu instid0(SALU_CYCLE_1)
	s_or_b32 exec_lo, exec_lo, s17
.LBB357_1322:                           ;   in Loop: Header=BB357_15 Depth=1
	s_delay_alu instid0(SALU_CYCLE_1) | instskip(NEXT) | instid1(SALU_CYCLE_1)
	s_or_b32 exec_lo, exec_lo, s16
	s_mov_b32 s16, exec_lo
	v_cmpx_lt_u32_e32 0xffffff, v0
	s_cbranch_execz .LBB357_1330
; %bb.1323:                             ;   in Loop: Header=BB357_15 Depth=1
	v_lshrrev_b32_e32 v6, 24, v0
	v_bfrev_b32_e32 v45, 1
	s_mov_b32 s17, exec_lo
	s_delay_alu instid0(VALU_DEP_2)
	v_cmpx_ne_u32_e32 0x80, v6
	s_cbranch_execz .LBB357_1329
; %bb.1324:                             ;   in Loop: Header=BB357_15 Depth=1
	v_bfe_u32 v7, v0, 24, 7
	v_mov_b32_e32 v45, 0x7f800001
	s_mov_b32 s18, exec_lo
	s_delay_alu instid0(VALU_DEP_2)
	v_cmpx_ne_u32_e32 0x7f, v7
	s_cbranch_execz .LBB357_1328
; %bb.1325:                             ;   in Loop: Header=BB357_15 Depth=1
	v_and_b32_e32 v24, 7, v6
	s_mov_b32 s19, exec_lo
	s_delay_alu instid0(VALU_DEP_1)
	v_mov_b64_e32 v[2:3], v[24:25]
	v_lshrrev_b32_e32 v3, 3, v7
	v_cmpx_gt_u32_e32 8, v7
; %bb.1326:                             ;   in Loop: Header=BB357_15 Depth=1
	v_clz_i32_u32_e32 v2, v24
	s_delay_alu instid0(VALU_DEP_1) | instskip(NEXT) | instid1(VALU_DEP_1)
	v_min_u32_e32 v7, 32, v2
	v_subrev_nc_u32_e32 v2, 28, v7
	s_delay_alu instid0(VALU_DEP_1) | instskip(NEXT) | instid1(VALU_DEP_1)
	v_lshlrev_b64_e32 v[2:3], v2, v[24:25]
	v_dual_sub_nc_u32 v3, 29, v7 :: v_dual_bitop2_b32 v2, 7, v2 bitop3:0x40
; %bb.1327:                             ;   in Loop: Header=BB357_15 Depth=1
	s_or_b32 exec_lo, exec_lo, s19
	v_lshlrev_b32_e32 v6, 24, v6
	s_delay_alu instid0(VALU_DEP_2) | instskip(NEXT) | instid1(VALU_DEP_3)
	v_lshlrev_b32_e32 v2, 20, v2
	v_lshl_add_u32 v3, v3, 23, 0x3c000000
	s_delay_alu instid0(VALU_DEP_3) | instskip(NEXT) | instid1(VALU_DEP_1)
	v_and_b32_e32 v6, 0x80000000, v6
	v_or3_b32 v45, v2, v6, v3
.LBB357_1328:                           ;   in Loop: Header=BB357_15 Depth=1
	s_or_b32 exec_lo, exec_lo, s18
.LBB357_1329:                           ;   in Loop: Header=BB357_15 Depth=1
	s_delay_alu instid0(SALU_CYCLE_1)
	s_or_b32 exec_lo, exec_lo, s17
.LBB357_1330:                           ;   in Loop: Header=BB357_15 Depth=1
	s_delay_alu instid0(SALU_CYCLE_1) | instskip(SKIP_4) | instid1(VALU_DEP_3)
	s_or_b32 exec_lo, exec_lo, s16
	v_and_b32_e32 v2, 0xff, v1
	v_dual_mov_b32 v24, v1 :: v_dual_mov_b32 v107, 0
	v_mov_b32_e32 v106, 0
	s_mov_b32 s16, exec_lo
	v_cmpx_ne_u16_e32 0, v2
	s_cbranch_execz .LBB357_1338
; %bb.1331:                             ;   in Loop: Header=BB357_15 Depth=1
	v_bfrev_b32_e32 v106, 1
	s_mov_b32 s17, exec_lo
	v_cmpx_ne_u16_e32 0x80, v2
	s_cbranch_execz .LBB357_1337
; %bb.1332:                             ;   in Loop: Header=BB357_15 Depth=1
	v_and_b32_e32 v6, 0x7f, v1
	v_mov_b32_e32 v106, 0x7f800001
	s_mov_b32 s18, exec_lo
	s_delay_alu instid0(VALU_DEP_2)
	v_cmpx_ne_u32_e32 0x7f, v6
	s_cbranch_execz .LBB357_1336
; %bb.1333:                             ;   in Loop: Header=BB357_15 Depth=1
	v_mov_b64_e32 v[2:3], v[24:25]
	v_lshrrev_b32_e32 v3, 3, v6
	s_mov_b32 s19, exec_lo
	v_cmpx_gt_u32_e32 8, v6
; %bb.1334:                             ;   in Loop: Header=BB357_15 Depth=1
	v_and_b32_e32 v2, 7, v1
	s_delay_alu instid0(VALU_DEP_1) | instskip(NEXT) | instid1(VALU_DEP_1)
	v_clz_i32_u32_e32 v2, v2
	v_min_u32_e32 v6, 32, v2
	s_delay_alu instid0(VALU_DEP_1) | instskip(NEXT) | instid1(VALU_DEP_1)
	v_subrev_nc_u32_e32 v2, 28, v6
	v_lshlrev_b64_e32 v[2:3], v2, v[24:25]
	v_sub_nc_u32_e32 v3, 29, v6
; %bb.1335:                             ;   in Loop: Header=BB357_15 Depth=1
	s_or_b32 exec_lo, exec_lo, s19
	s_delay_alu instid0(VALU_DEP_2) | instskip(NEXT) | instid1(VALU_DEP_2)
	v_dual_lshlrev_b32 v2, 20, v2 :: v_dual_lshlrev_b32 v6, 24, v24
	v_lshl_add_u32 v3, v3, 23, 0x3c000000
	s_delay_alu instid0(VALU_DEP_2) | instskip(NEXT) | instid1(VALU_DEP_3)
	v_and_b32_e32 v2, 0x700000, v2
	v_and_b32_e32 v6, 0x80000000, v6
	s_delay_alu instid0(VALU_DEP_1)
	v_or3_b32 v106, v2, v6, v3
.LBB357_1336:                           ;   in Loop: Header=BB357_15 Depth=1
	s_or_b32 exec_lo, exec_lo, s18
.LBB357_1337:                           ;   in Loop: Header=BB357_15 Depth=1
	s_delay_alu instid0(SALU_CYCLE_1)
	s_or_b32 exec_lo, exec_lo, s17
.LBB357_1338:                           ;   in Loop: Header=BB357_15 Depth=1
	s_delay_alu instid0(SALU_CYCLE_1) | instskip(SKIP_2) | instid1(VALU_DEP_1)
	s_or_b32 exec_lo, exec_lo, s16
	v_lshrrev_b16 v2, 8, v24
	s_mov_b32 s16, exec_lo
	v_cmpx_ne_u16_e32 0, v2
	s_cbranch_execz .LBB357_1346
; %bb.1339:                             ;   in Loop: Header=BB357_15 Depth=1
	v_bfrev_b32_e32 v107, 1
	s_mov_b32 s17, exec_lo
	v_cmpx_ne_u16_e32 0x80, v2
	s_cbranch_execz .LBB357_1345
; %bb.1340:                             ;   in Loop: Header=BB357_15 Depth=1
	v_and_b32_e32 v2, 0xffff, v2
	v_mov_b32_e32 v107, 0x7f800001
	s_mov_b32 s18, exec_lo
	s_delay_alu instid0(VALU_DEP_2) | instskip(NEXT) | instid1(VALU_DEP_1)
	v_and_b32_e32 v7, 0x7f, v2
	v_cmpx_ne_u32_e32 0x7f, v7
	s_cbranch_execz .LBB357_1344
; %bb.1341:                             ;   in Loop: Header=BB357_15 Depth=1
	v_dual_mov_b32 v3, v25 :: v_dual_bitop2_b32 v2, 7, v2 bitop3:0x40
	v_lshrrev_b32_e32 v6, 3, v7
	s_mov_b32 s19, exec_lo
	v_cmpx_gt_u32_e32 8, v7
; %bb.1342:                             ;   in Loop: Header=BB357_15 Depth=1
	s_delay_alu instid0(VALU_DEP_3) | instskip(NEXT) | instid1(VALU_DEP_1)
	v_clz_i32_u32_e32 v6, v2
	v_min_u32_e32 v6, 32, v6
	s_delay_alu instid0(VALU_DEP_1) | instskip(SKIP_1) | instid1(VALU_DEP_2)
	v_subrev_nc_u32_e32 v7, 28, v6
	v_sub_nc_u32_e32 v6, 29, v6
	v_lshlrev_b64_e32 v[2:3], v7, v[2:3]
	s_delay_alu instid0(VALU_DEP_1)
	v_and_b32_e32 v2, 7, v2
; %bb.1343:                             ;   in Loop: Header=BB357_15 Depth=1
	s_or_b32 exec_lo, exec_lo, s19
	s_delay_alu instid0(VALU_DEP_1) | instskip(SKIP_1) | instid1(VALU_DEP_2)
	v_dual_lshlrev_b32 v3, 16, v24 :: v_dual_lshlrev_b32 v2, 20, v2
	v_lshl_add_u32 v6, v6, 23, 0x3c000000
	v_and_b32_e32 v3, 0x80000000, v3
	s_delay_alu instid0(VALU_DEP_1)
	v_or3_b32 v107, v2, v3, v6
.LBB357_1344:                           ;   in Loop: Header=BB357_15 Depth=1
	s_or_b32 exec_lo, exec_lo, s18
.LBB357_1345:                           ;   in Loop: Header=BB357_15 Depth=1
	s_delay_alu instid0(SALU_CYCLE_1)
	s_or_b32 exec_lo, exec_lo, s17
.LBB357_1346:                           ;   in Loop: Header=BB357_15 Depth=1
	s_delay_alu instid0(SALU_CYCLE_1) | instskip(SKIP_3) | instid1(VALU_DEP_2)
	s_or_b32 exec_lo, exec_lo, s16
	v_dual_mov_b32 v57, 0 :: v_dual_lshrrev_b32 v6, 16, v1
	v_mov_b32_e32 v56, 0
	s_mov_b32 s16, exec_lo
	v_and_b32_e32 v2, 0xff, v6
	s_delay_alu instid0(VALU_DEP_1)
	v_cmpx_ne_u16_e32 0, v2
	s_cbranch_execz .LBB357_1354
; %bb.1347:                             ;   in Loop: Header=BB357_15 Depth=1
	v_bfrev_b32_e32 v56, 1
	s_mov_b32 s17, exec_lo
	v_cmpx_ne_u16_e32 0x80, v2
	s_cbranch_execz .LBB357_1353
; %bb.1348:                             ;   in Loop: Header=BB357_15 Depth=1
	v_bfe_u32 v7, v1, 16, 7
	v_mov_b32_e32 v56, 0x7f800001
	s_mov_b32 s18, exec_lo
	s_delay_alu instid0(VALU_DEP_2)
	v_cmpx_ne_u32_e32 0x7f, v7
	s_cbranch_execz .LBB357_1352
; %bb.1349:                             ;   in Loop: Header=BB357_15 Depth=1
	v_and_b32_e32 v24, 7, v6
	s_mov_b32 s19, exec_lo
	s_delay_alu instid0(VALU_DEP_1)
	v_mov_b64_e32 v[2:3], v[24:25]
	v_lshrrev_b32_e32 v3, 3, v7
	v_cmpx_gt_u32_e32 8, v7
; %bb.1350:                             ;   in Loop: Header=BB357_15 Depth=1
	v_clz_i32_u32_e32 v2, v24
	s_delay_alu instid0(VALU_DEP_1) | instskip(NEXT) | instid1(VALU_DEP_1)
	v_min_u32_e32 v7, 32, v2
	v_subrev_nc_u32_e32 v2, 28, v7
	s_delay_alu instid0(VALU_DEP_1) | instskip(NEXT) | instid1(VALU_DEP_1)
	v_lshlrev_b64_e32 v[2:3], v2, v[24:25]
	v_dual_sub_nc_u32 v3, 29, v7 :: v_dual_bitop2_b32 v2, 7, v2 bitop3:0x40
; %bb.1351:                             ;   in Loop: Header=BB357_15 Depth=1
	s_or_b32 exec_lo, exec_lo, s19
	v_lshlrev_b32_e32 v6, 24, v6
	s_delay_alu instid0(VALU_DEP_2) | instskip(NEXT) | instid1(VALU_DEP_3)
	v_lshlrev_b32_e32 v2, 20, v2
	v_lshl_add_u32 v3, v3, 23, 0x3c000000
	s_delay_alu instid0(VALU_DEP_3) | instskip(NEXT) | instid1(VALU_DEP_1)
	v_and_b32_e32 v6, 0x80000000, v6
	v_or3_b32 v56, v2, v6, v3
.LBB357_1352:                           ;   in Loop: Header=BB357_15 Depth=1
	s_or_b32 exec_lo, exec_lo, s18
.LBB357_1353:                           ;   in Loop: Header=BB357_15 Depth=1
	s_delay_alu instid0(SALU_CYCLE_1)
	s_or_b32 exec_lo, exec_lo, s17
.LBB357_1354:                           ;   in Loop: Header=BB357_15 Depth=1
	s_delay_alu instid0(SALU_CYCLE_1) | instskip(NEXT) | instid1(SALU_CYCLE_1)
	s_or_b32 exec_lo, exec_lo, s16
	s_mov_b32 s16, exec_lo
	v_cmpx_lt_u64_e64 s[8:9], v[0:1]
	s_cbranch_execz .LBB357_1362
; %bb.1355:                             ;   in Loop: Header=BB357_15 Depth=1
	v_lshrrev_b32_e32 v2, 24, v1
	v_bfrev_b32_e32 v57, 1
	s_mov_b32 s17, exec_lo
	s_delay_alu instid0(VALU_DEP_2)
	v_cmpx_ne_u32_e32 0x80, v2
	s_cbranch_execz .LBB357_1361
; %bb.1356:                             ;   in Loop: Header=BB357_15 Depth=1
	v_bfe_u32 v3, v1, 24, 7
	v_mov_b32_e32 v57, 0x7f800001
	s_mov_b32 s18, exec_lo
	s_delay_alu instid0(VALU_DEP_2)
	v_cmpx_ne_u32_e32 0x7f, v3
	s_cbranch_execz .LBB357_1360
; %bb.1357:                             ;   in Loop: Header=BB357_15 Depth=1
	v_and_b32_e32 v24, 7, v2
	s_mov_b32 s19, exec_lo
	s_delay_alu instid0(VALU_DEP_1)
	v_mov_b64_e32 v[0:1], v[24:25]
	v_lshrrev_b32_e32 v1, 3, v3
	v_cmpx_gt_u32_e32 8, v3
; %bb.1358:                             ;   in Loop: Header=BB357_15 Depth=1
	v_clz_i32_u32_e32 v0, v24
	s_delay_alu instid0(VALU_DEP_1) | instskip(NEXT) | instid1(VALU_DEP_1)
	v_min_u32_e32 v3, 32, v0
	v_subrev_nc_u32_e32 v0, 28, v3
	s_delay_alu instid0(VALU_DEP_1) | instskip(NEXT) | instid1(VALU_DEP_1)
	v_lshlrev_b64_e32 v[0:1], v0, v[24:25]
	v_dual_sub_nc_u32 v1, 29, v3 :: v_dual_bitop2_b32 v0, 7, v0 bitop3:0x40
; %bb.1359:                             ;   in Loop: Header=BB357_15 Depth=1
	s_or_b32 exec_lo, exec_lo, s19
	s_delay_alu instid0(VALU_DEP_1) | instskip(NEXT) | instid1(VALU_DEP_2)
	v_dual_lshlrev_b32 v2, 24, v2 :: v_dual_lshlrev_b32 v0, 20, v0
	v_lshl_add_u32 v1, v1, 23, 0x3c000000
	s_delay_alu instid0(VALU_DEP_2) | instskip(NEXT) | instid1(VALU_DEP_1)
	v_and_b32_e32 v2, 0x80000000, v2
	v_or3_b32 v57, v0, v2, v1
.LBB357_1360:                           ;   in Loop: Header=BB357_15 Depth=1
	s_or_b32 exec_lo, exec_lo, s18
.LBB357_1361:                           ;   in Loop: Header=BB357_15 Depth=1
	s_delay_alu instid0(SALU_CYCLE_1)
	s_or_b32 exec_lo, exec_lo, s17
.LBB357_1362:                           ;   in Loop: Header=BB357_15 Depth=1
	s_delay_alu instid0(SALU_CYCLE_1)
	s_or_b32 exec_lo, exec_lo, s16
	flat_load_b64 v[0:1], v[102:103] offset:5128
	v_mov_b32_e32 v3, 0
	s_mov_b32 s16, exec_lo
	scratch_store_b32 off, v3, s32 offset:720 ; 4-byte Folded Spill
	s_wait_xcnt 0x0
	v_mov_b32_e32 v3, 0
	scratch_store_b32 off, v3, s32 offset:716 ; 4-byte Folded Spill
	s_wait_loadcnt_dscnt 0x0
	v_and_b32_e32 v2, 0xff, v0
	s_wait_xcnt 0x0
	s_delay_alu instid0(VALU_DEP_1)
	v_cmpx_ne_u16_e32 0, v2
	s_cbranch_execz .LBB357_1370
; %bb.1363:                             ;   in Loop: Header=BB357_15 Depth=1
	v_cmp_ne_u16_e64 s1, 0x80, v2
	v_bfrev_b32_e32 v2, 1
	scratch_store_b32 off, v2, s32 offset:716 ; 4-byte Folded Spill
	s_wait_xcnt 0x0
	s_and_saveexec_b32 s17, s1
	s_cbranch_execz .LBB357_1369
; %bb.1364:                             ;   in Loop: Header=BB357_15 Depth=1
	v_and_b32_e32 v2, 0x7f, v0
	v_mov_b32_e32 v3, 0x7f800001
	s_mov_b32 s18, exec_lo
	scratch_store_b32 off, v3, s32 offset:716 ; 4-byte Folded Spill
	s_wait_xcnt 0x0
	v_cmpx_ne_u32_e32 0x7f, v2
	s_cbranch_execz .LBB357_1368
; %bb.1365:                             ;   in Loop: Header=BB357_15 Depth=1
	v_lshrrev_b32_e32 v6, 3, v2
	v_cmp_gt_u32_e64 s1, 8, v2
	v_mov_b64_e32 v[2:3], v[0:1]
	s_and_saveexec_b32 s19, s1
; %bb.1366:                             ;   in Loop: Header=BB357_15 Depth=1
	v_and_b32_e32 v2, 7, v0
	s_delay_alu instid0(VALU_DEP_1) | instskip(NEXT) | instid1(VALU_DEP_1)
	v_clz_i32_u32_e32 v2, v2
	v_min_u32_e32 v6, 32, v2
	s_delay_alu instid0(VALU_DEP_1) | instskip(SKIP_1) | instid1(VALU_DEP_2)
	v_subrev_nc_u32_e32 v2, 28, v6
	v_sub_nc_u32_e32 v6, 29, v6
	v_lshlrev_b64_e32 v[2:3], v2, v[0:1]
; %bb.1367:                             ;   in Loop: Header=BB357_15 Depth=1
	s_or_b32 exec_lo, exec_lo, s19
	s_delay_alu instid0(VALU_DEP_1) | instskip(NEXT) | instid1(VALU_DEP_3)
	v_dual_lshlrev_b32 v2, 20, v2 :: v_dual_lshlrev_b32 v3, 24, v0
	v_lshl_add_u32 v6, v6, 23, 0x3c000000
	s_delay_alu instid0(VALU_DEP_2) | instskip(NEXT) | instid1(VALU_DEP_3)
	v_and_b32_e32 v2, 0x700000, v2
	v_and_b32_e32 v3, 0x80000000, v3
	s_delay_alu instid0(VALU_DEP_1)
	v_or3_b32 v2, v2, v3, v6
	scratch_store_b32 off, v2, s32 offset:716 ; 4-byte Folded Spill
.LBB357_1368:                           ;   in Loop: Header=BB357_15 Depth=1
	s_wait_xcnt 0x0
	s_or_b32 exec_lo, exec_lo, s18
.LBB357_1369:                           ;   in Loop: Header=BB357_15 Depth=1
	s_delay_alu instid0(SALU_CYCLE_1)
	s_or_b32 exec_lo, exec_lo, s17
.LBB357_1370:                           ;   in Loop: Header=BB357_15 Depth=1
	s_delay_alu instid0(SALU_CYCLE_1) | instskip(SKIP_2) | instid1(VALU_DEP_1)
	s_or_b32 exec_lo, exec_lo, s16
	v_lshrrev_b16 v2, 8, v0
	s_mov_b32 s16, exec_lo
	v_cmpx_ne_u16_e32 0, v2
	s_cbranch_execz .LBB357_1378
; %bb.1371:                             ;   in Loop: Header=BB357_15 Depth=1
	v_bfrev_b32_e32 v3, 1
	s_mov_b32 s17, exec_lo
	scratch_store_b32 off, v3, s32 offset:720 ; 4-byte Folded Spill
	s_wait_xcnt 0x0
	v_cmpx_ne_u16_e32 0x80, v2
	s_cbranch_execz .LBB357_1377
; %bb.1372:                             ;   in Loop: Header=BB357_15 Depth=1
	v_and_b32_e32 v2, 0xffff, v2
	v_mov_b32_e32 v3, 0x7f800001
	s_mov_b32 s18, exec_lo
	s_delay_alu instid0(VALU_DEP_2)
	v_and_b32_e32 v6, 0x7f, v2
	scratch_store_b32 off, v3, s32 offset:720 ; 4-byte Folded Spill
	s_wait_xcnt 0x0
	v_cmpx_ne_u32_e32 0x7f, v6
	s_cbranch_execz .LBB357_1376
; %bb.1373:                             ;   in Loop: Header=BB357_15 Depth=1
	v_and_b32_e32 v24, 7, v2
	s_mov_b32 s19, exec_lo
	s_delay_alu instid0(VALU_DEP_1)
	v_mov_b64_e32 v[2:3], v[24:25]
	v_lshrrev_b32_e32 v3, 3, v6
	v_cmpx_gt_u32_e32 8, v6
; %bb.1374:                             ;   in Loop: Header=BB357_15 Depth=1
	v_clz_i32_u32_e32 v2, v24
	s_delay_alu instid0(VALU_DEP_1) | instskip(NEXT) | instid1(VALU_DEP_1)
	v_min_u32_e32 v6, 32, v2
	v_subrev_nc_u32_e32 v2, 28, v6
	s_delay_alu instid0(VALU_DEP_1) | instskip(SKIP_1) | instid1(VALU_DEP_2)
	v_lshlrev_b64_e32 v[2:3], v2, v[24:25]
	v_sub_nc_u32_e32 v3, 29, v6
	v_and_b32_e32 v2, 7, v2
; %bb.1375:                             ;   in Loop: Header=BB357_15 Depth=1
	s_or_b32 exec_lo, exec_lo, s19
	s_delay_alu instid0(VALU_DEP_1) | instskip(NEXT) | instid1(VALU_DEP_3)
	v_dual_lshlrev_b32 v6, 16, v0 :: v_dual_lshlrev_b32 v2, 20, v2
	v_lshl_add_u32 v3, v3, 23, 0x3c000000
	s_delay_alu instid0(VALU_DEP_2) | instskip(NEXT) | instid1(VALU_DEP_1)
	v_and_b32_e32 v6, 0x80000000, v6
	v_or3_b32 v2, v2, v6, v3
	scratch_store_b32 off, v2, s32 offset:720 ; 4-byte Folded Spill
.LBB357_1376:                           ;   in Loop: Header=BB357_15 Depth=1
	s_wait_xcnt 0x0
	s_or_b32 exec_lo, exec_lo, s18
.LBB357_1377:                           ;   in Loop: Header=BB357_15 Depth=1
	s_delay_alu instid0(SALU_CYCLE_1)
	s_or_b32 exec_lo, exec_lo, s17
.LBB357_1378:                           ;   in Loop: Header=BB357_15 Depth=1
	s_delay_alu instid0(SALU_CYCLE_1) | instskip(SKIP_2) | instid1(VALU_DEP_1)
	s_or_b32 exec_lo, exec_lo, s16
	v_dual_mov_b32 v3, 0 :: v_dual_lshrrev_b32 v6, 16, v0
	s_mov_b32 s16, exec_lo
	v_and_b32_e32 v2, 0xff, v6
	scratch_store_b32 off, v3, s32 offset:724 ; 4-byte Folded Spill
	s_wait_xcnt 0x0
	v_mov_b32_e32 v3, 0
	scratch_store_b32 off, v3, s32 offset:772 ; 4-byte Folded Spill
	s_wait_xcnt 0x0
	v_cmpx_ne_u16_e32 0, v2
	s_cbranch_execz .LBB357_1386
; %bb.1379:                             ;   in Loop: Header=BB357_15 Depth=1
	v_cmp_ne_u16_e64 s1, 0x80, v2
	v_bfrev_b32_e32 v2, 1
	s_and_saveexec_b32 s17, s1
	s_cbranch_execz .LBB357_1385
; %bb.1380:                             ;   in Loop: Header=BB357_15 Depth=1
	v_bfe_u32 v7, v0, 16, 7
	v_mov_b32_e32 v2, 0x7f800001
	s_mov_b32 s18, exec_lo
	s_delay_alu instid0(VALU_DEP_2)
	v_cmpx_ne_u32_e32 0x7f, v7
	s_cbranch_execz .LBB357_1384
; %bb.1381:                             ;   in Loop: Header=BB357_15 Depth=1
	v_and_b32_e32 v24, 7, v6
	s_mov_b32 s19, exec_lo
	s_delay_alu instid0(VALU_DEP_1)
	v_mov_b64_e32 v[2:3], v[24:25]
	v_lshrrev_b32_e32 v3, 3, v7
	v_cmpx_gt_u32_e32 8, v7
; %bb.1382:                             ;   in Loop: Header=BB357_15 Depth=1
	v_clz_i32_u32_e32 v2, v24
	s_delay_alu instid0(VALU_DEP_1) | instskip(NEXT) | instid1(VALU_DEP_1)
	v_min_u32_e32 v7, 32, v2
	v_subrev_nc_u32_e32 v2, 28, v7
	s_delay_alu instid0(VALU_DEP_1) | instskip(NEXT) | instid1(VALU_DEP_1)
	v_lshlrev_b64_e32 v[2:3], v2, v[24:25]
	v_dual_sub_nc_u32 v3, 29, v7 :: v_dual_bitop2_b32 v2, 7, v2 bitop3:0x40
; %bb.1383:                             ;   in Loop: Header=BB357_15 Depth=1
	s_or_b32 exec_lo, exec_lo, s19
	v_lshlrev_b32_e32 v6, 24, v6
	s_delay_alu instid0(VALU_DEP_2) | instskip(NEXT) | instid1(VALU_DEP_3)
	v_lshlrev_b32_e32 v2, 20, v2
	v_lshl_add_u32 v3, v3, 23, 0x3c000000
	s_delay_alu instid0(VALU_DEP_3) | instskip(NEXT) | instid1(VALU_DEP_1)
	v_and_b32_e32 v6, 0x80000000, v6
	v_or3_b32 v2, v2, v6, v3
.LBB357_1384:                           ;   in Loop: Header=BB357_15 Depth=1
	s_or_b32 exec_lo, exec_lo, s18
.LBB357_1385:                           ;   in Loop: Header=BB357_15 Depth=1
	s_delay_alu instid0(SALU_CYCLE_1)
	s_or_b32 exec_lo, exec_lo, s17
	scratch_store_b32 off, v2, s32 offset:772 ; 4-byte Folded Spill
.LBB357_1386:                           ;   in Loop: Header=BB357_15 Depth=1
	s_wait_xcnt 0x0
	s_or_b32 exec_lo, exec_lo, s16
	s_delay_alu instid0(SALU_CYCLE_1)
	s_mov_b32 s16, exec_lo
	v_cmpx_lt_u32_e32 0xffffff, v0
	s_cbranch_execz .LBB357_1394
; %bb.1387:                             ;   in Loop: Header=BB357_15 Depth=1
	v_lshrrev_b32_e32 v6, 24, v0
	v_bfrev_b32_e32 v2, 1
	s_mov_b32 s17, exec_lo
	scratch_store_b32 off, v2, s32 offset:724 ; 4-byte Folded Spill
	s_wait_xcnt 0x0
	v_cmpx_ne_u32_e32 0x80, v6
	s_cbranch_execz .LBB357_1393
; %bb.1388:                             ;   in Loop: Header=BB357_15 Depth=1
	v_bfe_u32 v7, v0, 24, 7
	v_mov_b32_e32 v2, 0x7f800001
	s_mov_b32 s18, exec_lo
	scratch_store_b32 off, v2, s32 offset:724 ; 4-byte Folded Spill
	s_wait_xcnt 0x0
	v_cmpx_ne_u32_e32 0x7f, v7
	s_cbranch_execz .LBB357_1392
; %bb.1389:                             ;   in Loop: Header=BB357_15 Depth=1
	v_and_b32_e32 v24, 7, v6
	s_mov_b32 s19, exec_lo
	s_delay_alu instid0(VALU_DEP_1)
	v_mov_b64_e32 v[2:3], v[24:25]
	v_lshrrev_b32_e32 v3, 3, v7
	v_cmpx_gt_u32_e32 8, v7
; %bb.1390:                             ;   in Loop: Header=BB357_15 Depth=1
	v_clz_i32_u32_e32 v2, v24
	s_delay_alu instid0(VALU_DEP_1) | instskip(NEXT) | instid1(VALU_DEP_1)
	v_min_u32_e32 v7, 32, v2
	v_subrev_nc_u32_e32 v2, 28, v7
	s_delay_alu instid0(VALU_DEP_1) | instskip(NEXT) | instid1(VALU_DEP_1)
	v_lshlrev_b64_e32 v[2:3], v2, v[24:25]
	v_dual_sub_nc_u32 v3, 29, v7 :: v_dual_bitop2_b32 v2, 7, v2 bitop3:0x40
; %bb.1391:                             ;   in Loop: Header=BB357_15 Depth=1
	s_or_b32 exec_lo, exec_lo, s19
	v_lshlrev_b32_e32 v6, 24, v6
	s_delay_alu instid0(VALU_DEP_2) | instskip(NEXT) | instid1(VALU_DEP_3)
	v_lshlrev_b32_e32 v2, 20, v2
	v_lshl_add_u32 v3, v3, 23, 0x3c000000
	s_delay_alu instid0(VALU_DEP_3) | instskip(NEXT) | instid1(VALU_DEP_1)
	v_and_b32_e32 v6, 0x80000000, v6
	v_or3_b32 v2, v2, v6, v3
	scratch_store_b32 off, v2, s32 offset:724 ; 4-byte Folded Spill
.LBB357_1392:                           ;   in Loop: Header=BB357_15 Depth=1
	s_wait_xcnt 0x0
	s_or_b32 exec_lo, exec_lo, s18
.LBB357_1393:                           ;   in Loop: Header=BB357_15 Depth=1
	s_delay_alu instid0(SALU_CYCLE_1)
	s_or_b32 exec_lo, exec_lo, s17
.LBB357_1394:                           ;   in Loop: Header=BB357_15 Depth=1
	s_delay_alu instid0(SALU_CYCLE_1)
	s_or_b32 exec_lo, exec_lo, s16
	v_dual_mov_b32 v24, v1 :: v_dual_mov_b32 v3, 0
	v_and_b32_e32 v2, 0xff, v1
	s_mov_b32 s16, exec_lo
	scratch_store_b32 off, v3, s32 offset:732 ; 4-byte Folded Spill
	s_wait_xcnt 0x0
	v_mov_b32_e32 v3, 0
	scratch_store_b32 off, v3, s32 offset:776 ; 4-byte Folded Spill
	s_wait_xcnt 0x0
	v_cmpx_ne_u16_e32 0, v2
	s_cbranch_execz .LBB357_1402
; %bb.1395:                             ;   in Loop: Header=BB357_15 Depth=1
	v_cmp_ne_u16_e64 s1, 0x80, v2
	v_bfrev_b32_e32 v2, 1
	s_and_saveexec_b32 s17, s1
	s_cbranch_execz .LBB357_1401
; %bb.1396:                             ;   in Loop: Header=BB357_15 Depth=1
	v_and_b32_e32 v6, 0x7f, v1
	v_mov_b32_e32 v2, 0x7f800001
	s_mov_b32 s18, exec_lo
	s_delay_alu instid0(VALU_DEP_2)
	v_cmpx_ne_u32_e32 0x7f, v6
	s_cbranch_execz .LBB357_1400
; %bb.1397:                             ;   in Loop: Header=BB357_15 Depth=1
	v_mov_b64_e32 v[2:3], v[24:25]
	v_lshrrev_b32_e32 v3, 3, v6
	s_mov_b32 s19, exec_lo
	v_cmpx_gt_u32_e32 8, v6
; %bb.1398:                             ;   in Loop: Header=BB357_15 Depth=1
	v_and_b32_e32 v2, 7, v1
	s_delay_alu instid0(VALU_DEP_1) | instskip(NEXT) | instid1(VALU_DEP_1)
	v_clz_i32_u32_e32 v2, v2
	v_min_u32_e32 v6, 32, v2
	s_delay_alu instid0(VALU_DEP_1) | instskip(NEXT) | instid1(VALU_DEP_1)
	v_subrev_nc_u32_e32 v2, 28, v6
	v_lshlrev_b64_e32 v[2:3], v2, v[24:25]
	v_sub_nc_u32_e32 v3, 29, v6
; %bb.1399:                             ;   in Loop: Header=BB357_15 Depth=1
	s_or_b32 exec_lo, exec_lo, s19
	s_delay_alu instid0(VALU_DEP_2) | instskip(NEXT) | instid1(VALU_DEP_2)
	v_dual_lshlrev_b32 v2, 20, v2 :: v_dual_lshlrev_b32 v6, 24, v24
	v_lshl_add_u32 v3, v3, 23, 0x3c000000
	s_delay_alu instid0(VALU_DEP_2) | instskip(NEXT) | instid1(VALU_DEP_3)
	v_and_b32_e32 v2, 0x700000, v2
	v_and_b32_e32 v6, 0x80000000, v6
	s_delay_alu instid0(VALU_DEP_1)
	v_or3_b32 v2, v2, v6, v3
.LBB357_1400:                           ;   in Loop: Header=BB357_15 Depth=1
	s_or_b32 exec_lo, exec_lo, s18
.LBB357_1401:                           ;   in Loop: Header=BB357_15 Depth=1
	s_delay_alu instid0(SALU_CYCLE_1)
	s_or_b32 exec_lo, exec_lo, s17
	scratch_store_b32 off, v2, s32 offset:776 ; 4-byte Folded Spill
.LBB357_1402:                           ;   in Loop: Header=BB357_15 Depth=1
	s_wait_xcnt 0x0
	s_or_b32 exec_lo, exec_lo, s16
	v_lshrrev_b16 v2, 8, v24
	s_mov_b32 s16, exec_lo
	s_delay_alu instid0(VALU_DEP_1)
	v_cmpx_ne_u16_e32 0, v2
	s_cbranch_execz .LBB357_1410
; %bb.1403:                             ;   in Loop: Header=BB357_15 Depth=1
	v_bfrev_b32_e32 v3, 1
	s_mov_b32 s17, exec_lo
	scratch_store_b32 off, v3, s32 offset:732 ; 4-byte Folded Spill
	s_wait_xcnt 0x0
	v_cmpx_ne_u16_e32 0x80, v2
	s_cbranch_execz .LBB357_1409
; %bb.1404:                             ;   in Loop: Header=BB357_15 Depth=1
	v_and_b32_e32 v2, 0xffff, v2
	v_mov_b32_e32 v3, 0x7f800001
	s_mov_b32 s18, exec_lo
	s_delay_alu instid0(VALU_DEP_2)
	v_and_b32_e32 v7, 0x7f, v2
	scratch_store_b32 off, v3, s32 offset:732 ; 4-byte Folded Spill
	s_wait_xcnt 0x0
	v_cmpx_ne_u32_e32 0x7f, v7
	s_cbranch_execz .LBB357_1408
; %bb.1405:                             ;   in Loop: Header=BB357_15 Depth=1
	v_dual_mov_b32 v3, v25 :: v_dual_bitop2_b32 v2, 7, v2 bitop3:0x40
	v_lshrrev_b32_e32 v6, 3, v7
	s_mov_b32 s19, exec_lo
	v_cmpx_gt_u32_e32 8, v7
; %bb.1406:                             ;   in Loop: Header=BB357_15 Depth=1
	s_delay_alu instid0(VALU_DEP_3) | instskip(NEXT) | instid1(VALU_DEP_1)
	v_clz_i32_u32_e32 v6, v2
	v_min_u32_e32 v6, 32, v6
	s_delay_alu instid0(VALU_DEP_1) | instskip(SKIP_1) | instid1(VALU_DEP_2)
	v_subrev_nc_u32_e32 v7, 28, v6
	v_sub_nc_u32_e32 v6, 29, v6
	v_lshlrev_b64_e32 v[2:3], v7, v[2:3]
	s_delay_alu instid0(VALU_DEP_1)
	v_and_b32_e32 v2, 7, v2
; %bb.1407:                             ;   in Loop: Header=BB357_15 Depth=1
	s_or_b32 exec_lo, exec_lo, s19
	s_delay_alu instid0(VALU_DEP_1) | instskip(SKIP_1) | instid1(VALU_DEP_2)
	v_dual_lshlrev_b32 v3, 16, v24 :: v_dual_lshlrev_b32 v2, 20, v2
	v_lshl_add_u32 v6, v6, 23, 0x3c000000
	v_and_b32_e32 v3, 0x80000000, v3
	s_delay_alu instid0(VALU_DEP_1)
	v_or3_b32 v2, v2, v3, v6
	scratch_store_b32 off, v2, s32 offset:732 ; 4-byte Folded Spill
.LBB357_1408:                           ;   in Loop: Header=BB357_15 Depth=1
	s_wait_xcnt 0x0
	s_or_b32 exec_lo, exec_lo, s18
.LBB357_1409:                           ;   in Loop: Header=BB357_15 Depth=1
	s_delay_alu instid0(SALU_CYCLE_1)
	s_or_b32 exec_lo, exec_lo, s17
.LBB357_1410:                           ;   in Loop: Header=BB357_15 Depth=1
	s_delay_alu instid0(SALU_CYCLE_1) | instskip(SKIP_2) | instid1(VALU_DEP_1)
	s_or_b32 exec_lo, exec_lo, s16
	v_dual_mov_b32 v3, 0 :: v_dual_lshrrev_b32 v6, 16, v1
	s_mov_b32 s16, exec_lo
	v_and_b32_e32 v2, 0xff, v6
	scratch_store_b32 off, v3, s32 offset:760 ; 4-byte Folded Spill
	s_wait_xcnt 0x0
	v_mov_b32_e32 v3, 0
	scratch_store_b32 off, v3, s32 offset:784 ; 4-byte Folded Spill
	s_wait_xcnt 0x0
	v_cmpx_ne_u16_e32 0, v2
	s_cbranch_execz .LBB357_1418
; %bb.1411:                             ;   in Loop: Header=BB357_15 Depth=1
	v_cmp_ne_u16_e64 s1, 0x80, v2
	v_bfrev_b32_e32 v2, 1
	s_and_saveexec_b32 s17, s1
	s_cbranch_execz .LBB357_1417
; %bb.1412:                             ;   in Loop: Header=BB357_15 Depth=1
	v_bfe_u32 v7, v1, 16, 7
	v_mov_b32_e32 v2, 0x7f800001
	s_mov_b32 s18, exec_lo
	s_delay_alu instid0(VALU_DEP_2)
	v_cmpx_ne_u32_e32 0x7f, v7
	s_cbranch_execz .LBB357_1416
; %bb.1413:                             ;   in Loop: Header=BB357_15 Depth=1
	v_and_b32_e32 v24, 7, v6
	s_mov_b32 s19, exec_lo
	s_delay_alu instid0(VALU_DEP_1)
	v_mov_b64_e32 v[2:3], v[24:25]
	v_lshrrev_b32_e32 v3, 3, v7
	v_cmpx_gt_u32_e32 8, v7
; %bb.1414:                             ;   in Loop: Header=BB357_15 Depth=1
	v_clz_i32_u32_e32 v2, v24
	s_delay_alu instid0(VALU_DEP_1) | instskip(NEXT) | instid1(VALU_DEP_1)
	v_min_u32_e32 v7, 32, v2
	v_subrev_nc_u32_e32 v2, 28, v7
	s_delay_alu instid0(VALU_DEP_1) | instskip(NEXT) | instid1(VALU_DEP_1)
	v_lshlrev_b64_e32 v[2:3], v2, v[24:25]
	v_dual_sub_nc_u32 v3, 29, v7 :: v_dual_bitop2_b32 v2, 7, v2 bitop3:0x40
; %bb.1415:                             ;   in Loop: Header=BB357_15 Depth=1
	s_or_b32 exec_lo, exec_lo, s19
	v_lshlrev_b32_e32 v6, 24, v6
	s_delay_alu instid0(VALU_DEP_2) | instskip(NEXT) | instid1(VALU_DEP_3)
	v_lshlrev_b32_e32 v2, 20, v2
	v_lshl_add_u32 v3, v3, 23, 0x3c000000
	s_delay_alu instid0(VALU_DEP_3) | instskip(NEXT) | instid1(VALU_DEP_1)
	v_and_b32_e32 v6, 0x80000000, v6
	v_or3_b32 v2, v2, v6, v3
.LBB357_1416:                           ;   in Loop: Header=BB357_15 Depth=1
	s_or_b32 exec_lo, exec_lo, s18
.LBB357_1417:                           ;   in Loop: Header=BB357_15 Depth=1
	s_delay_alu instid0(SALU_CYCLE_1)
	s_or_b32 exec_lo, exec_lo, s17
	scratch_store_b32 off, v2, s32 offset:784 ; 4-byte Folded Spill
.LBB357_1418:                           ;   in Loop: Header=BB357_15 Depth=1
	s_wait_xcnt 0x0
	s_or_b32 exec_lo, exec_lo, s16
	s_delay_alu instid0(SALU_CYCLE_1)
	s_mov_b32 s16, exec_lo
	v_cmpx_lt_u64_e64 s[8:9], v[0:1]
	s_cbranch_execz .LBB357_1426
; %bb.1419:                             ;   in Loop: Header=BB357_15 Depth=1
	v_lshrrev_b32_e32 v2, 24, v1
	v_bfrev_b32_e32 v0, 1
	s_mov_b32 s17, exec_lo
	scratch_store_b32 off, v0, s32 offset:760 ; 4-byte Folded Spill
	s_wait_xcnt 0x0
	v_cmpx_ne_u32_e32 0x80, v2
	s_cbranch_execz .LBB357_1425
; %bb.1420:                             ;   in Loop: Header=BB357_15 Depth=1
	v_bfe_u32 v3, v1, 24, 7
	v_mov_b32_e32 v0, 0x7f800001
	s_mov_b32 s18, exec_lo
	s_delay_alu instid0(VALU_DEP_2)
	v_cmpx_ne_u32_e32 0x7f, v3
	s_cbranch_execz .LBB357_1424
; %bb.1421:                             ;   in Loop: Header=BB357_15 Depth=1
	v_and_b32_e32 v24, 7, v2
	s_mov_b32 s19, exec_lo
	s_delay_alu instid0(VALU_DEP_1)
	v_mov_b64_e32 v[0:1], v[24:25]
	v_lshrrev_b32_e32 v1, 3, v3
	v_cmpx_gt_u32_e32 8, v3
; %bb.1422:                             ;   in Loop: Header=BB357_15 Depth=1
	v_clz_i32_u32_e32 v0, v24
	s_delay_alu instid0(VALU_DEP_1) | instskip(NEXT) | instid1(VALU_DEP_1)
	v_min_u32_e32 v3, 32, v0
	v_subrev_nc_u32_e32 v0, 28, v3
	s_delay_alu instid0(VALU_DEP_1) | instskip(NEXT) | instid1(VALU_DEP_1)
	v_lshlrev_b64_e32 v[0:1], v0, v[24:25]
	v_dual_sub_nc_u32 v1, 29, v3 :: v_dual_bitop2_b32 v0, 7, v0 bitop3:0x40
; %bb.1423:                             ;   in Loop: Header=BB357_15 Depth=1
	s_or_b32 exec_lo, exec_lo, s19
	s_delay_alu instid0(VALU_DEP_1) | instskip(NEXT) | instid1(VALU_DEP_2)
	v_dual_lshlrev_b32 v2, 24, v2 :: v_dual_lshlrev_b32 v0, 20, v0
	v_lshl_add_u32 v1, v1, 23, 0x3c000000
	s_delay_alu instid0(VALU_DEP_2) | instskip(NEXT) | instid1(VALU_DEP_1)
	v_and_b32_e32 v2, 0x80000000, v2
	v_or3_b32 v0, v0, v2, v1
.LBB357_1424:                           ;   in Loop: Header=BB357_15 Depth=1
	s_or_b32 exec_lo, exec_lo, s18
	scratch_store_b32 off, v0, s32 offset:760 ; 4-byte Folded Spill
.LBB357_1425:                           ;   in Loop: Header=BB357_15 Depth=1
	s_wait_xcnt 0x0
	s_or_b32 exec_lo, exec_lo, s17
.LBB357_1426:                           ;   in Loop: Header=BB357_15 Depth=1
	s_delay_alu instid0(SALU_CYCLE_1)
	s_or_b32 exec_lo, exec_lo, s16
	flat_load_b64 v[0:1], v[102:103] offset:5632
	v_mov_b32_e32 v3, 0
	s_mov_b32 s16, exec_lo
	scratch_store_b32 off, v3, s32 offset:740 ; 4-byte Folded Spill
	s_wait_xcnt 0x0
	v_mov_b32_e32 v3, 0
	scratch_store_b32 off, v3, s32 offset:736 ; 4-byte Folded Spill
	s_wait_loadcnt_dscnt 0x0
	v_and_b32_e32 v2, 0xff, v0
	s_wait_xcnt 0x0
	s_delay_alu instid0(VALU_DEP_1)
	v_cmpx_ne_u16_e32 0, v2
	s_cbranch_execz .LBB357_1434
; %bb.1427:                             ;   in Loop: Header=BB357_15 Depth=1
	v_cmp_ne_u16_e64 s1, 0x80, v2
	v_bfrev_b32_e32 v2, 1
	scratch_store_b32 off, v2, s32 offset:736 ; 4-byte Folded Spill
	s_wait_xcnt 0x0
	s_and_saveexec_b32 s17, s1
	s_cbranch_execz .LBB357_1433
; %bb.1428:                             ;   in Loop: Header=BB357_15 Depth=1
	v_and_b32_e32 v2, 0x7f, v0
	v_mov_b32_e32 v3, 0x7f800001
	s_mov_b32 s18, exec_lo
	scratch_store_b32 off, v3, s32 offset:736 ; 4-byte Folded Spill
	s_wait_xcnt 0x0
	v_cmpx_ne_u32_e32 0x7f, v2
	s_cbranch_execz .LBB357_1432
; %bb.1429:                             ;   in Loop: Header=BB357_15 Depth=1
	v_lshrrev_b32_e32 v6, 3, v2
	v_cmp_gt_u32_e64 s1, 8, v2
	v_mov_b64_e32 v[2:3], v[0:1]
	s_and_saveexec_b32 s19, s1
; %bb.1430:                             ;   in Loop: Header=BB357_15 Depth=1
	v_and_b32_e32 v2, 7, v0
	s_delay_alu instid0(VALU_DEP_1) | instskip(NEXT) | instid1(VALU_DEP_1)
	v_clz_i32_u32_e32 v2, v2
	v_min_u32_e32 v6, 32, v2
	s_delay_alu instid0(VALU_DEP_1) | instskip(SKIP_1) | instid1(VALU_DEP_2)
	v_subrev_nc_u32_e32 v2, 28, v6
	v_sub_nc_u32_e32 v6, 29, v6
	v_lshlrev_b64_e32 v[2:3], v2, v[0:1]
; %bb.1431:                             ;   in Loop: Header=BB357_15 Depth=1
	s_or_b32 exec_lo, exec_lo, s19
	s_delay_alu instid0(VALU_DEP_1) | instskip(NEXT) | instid1(VALU_DEP_3)
	v_dual_lshlrev_b32 v2, 20, v2 :: v_dual_lshlrev_b32 v3, 24, v0
	v_lshl_add_u32 v6, v6, 23, 0x3c000000
	s_delay_alu instid0(VALU_DEP_2) | instskip(NEXT) | instid1(VALU_DEP_3)
	v_and_b32_e32 v2, 0x700000, v2
	v_and_b32_e32 v3, 0x80000000, v3
	s_delay_alu instid0(VALU_DEP_1)
	v_or3_b32 v2, v2, v3, v6
	scratch_store_b32 off, v2, s32 offset:736 ; 4-byte Folded Spill
.LBB357_1432:                           ;   in Loop: Header=BB357_15 Depth=1
	s_wait_xcnt 0x0
	s_or_b32 exec_lo, exec_lo, s18
.LBB357_1433:                           ;   in Loop: Header=BB357_15 Depth=1
	s_delay_alu instid0(SALU_CYCLE_1)
	s_or_b32 exec_lo, exec_lo, s17
.LBB357_1434:                           ;   in Loop: Header=BB357_15 Depth=1
	s_delay_alu instid0(SALU_CYCLE_1) | instskip(SKIP_2) | instid1(VALU_DEP_1)
	s_or_b32 exec_lo, exec_lo, s16
	v_lshrrev_b16 v2, 8, v0
	s_mov_b32 s16, exec_lo
	v_cmpx_ne_u16_e32 0, v2
	s_cbranch_execz .LBB357_1442
; %bb.1435:                             ;   in Loop: Header=BB357_15 Depth=1
	v_bfrev_b32_e32 v3, 1
	s_mov_b32 s17, exec_lo
	scratch_store_b32 off, v3, s32 offset:740 ; 4-byte Folded Spill
	s_wait_xcnt 0x0
	v_cmpx_ne_u16_e32 0x80, v2
	s_cbranch_execz .LBB357_1441
; %bb.1436:                             ;   in Loop: Header=BB357_15 Depth=1
	v_and_b32_e32 v2, 0xffff, v2
	v_mov_b32_e32 v3, 0x7f800001
	s_mov_b32 s18, exec_lo
	s_delay_alu instid0(VALU_DEP_2)
	v_and_b32_e32 v6, 0x7f, v2
	scratch_store_b32 off, v3, s32 offset:740 ; 4-byte Folded Spill
	s_wait_xcnt 0x0
	v_cmpx_ne_u32_e32 0x7f, v6
	s_cbranch_execz .LBB357_1440
; %bb.1437:                             ;   in Loop: Header=BB357_15 Depth=1
	v_and_b32_e32 v24, 7, v2
	s_mov_b32 s19, exec_lo
	s_delay_alu instid0(VALU_DEP_1)
	v_mov_b64_e32 v[2:3], v[24:25]
	v_lshrrev_b32_e32 v3, 3, v6
	v_cmpx_gt_u32_e32 8, v6
; %bb.1438:                             ;   in Loop: Header=BB357_15 Depth=1
	v_clz_i32_u32_e32 v2, v24
	s_delay_alu instid0(VALU_DEP_1) | instskip(NEXT) | instid1(VALU_DEP_1)
	v_min_u32_e32 v6, 32, v2
	v_subrev_nc_u32_e32 v2, 28, v6
	s_delay_alu instid0(VALU_DEP_1) | instskip(SKIP_1) | instid1(VALU_DEP_2)
	v_lshlrev_b64_e32 v[2:3], v2, v[24:25]
	v_sub_nc_u32_e32 v3, 29, v6
	v_and_b32_e32 v2, 7, v2
; %bb.1439:                             ;   in Loop: Header=BB357_15 Depth=1
	s_or_b32 exec_lo, exec_lo, s19
	s_delay_alu instid0(VALU_DEP_1) | instskip(NEXT) | instid1(VALU_DEP_3)
	v_dual_lshlrev_b32 v6, 16, v0 :: v_dual_lshlrev_b32 v2, 20, v2
	v_lshl_add_u32 v3, v3, 23, 0x3c000000
	s_delay_alu instid0(VALU_DEP_2) | instskip(NEXT) | instid1(VALU_DEP_1)
	v_and_b32_e32 v6, 0x80000000, v6
	v_or3_b32 v2, v2, v6, v3
	scratch_store_b32 off, v2, s32 offset:740 ; 4-byte Folded Spill
.LBB357_1440:                           ;   in Loop: Header=BB357_15 Depth=1
	s_wait_xcnt 0x0
	s_or_b32 exec_lo, exec_lo, s18
.LBB357_1441:                           ;   in Loop: Header=BB357_15 Depth=1
	s_delay_alu instid0(SALU_CYCLE_1)
	s_or_b32 exec_lo, exec_lo, s17
.LBB357_1442:                           ;   in Loop: Header=BB357_15 Depth=1
	s_delay_alu instid0(SALU_CYCLE_1) | instskip(SKIP_2) | instid1(VALU_DEP_1)
	s_or_b32 exec_lo, exec_lo, s16
	v_dual_mov_b32 v3, 0 :: v_dual_lshrrev_b32 v6, 16, v0
	s_mov_b32 s16, exec_lo
	v_and_b32_e32 v2, 0xff, v6
	scratch_store_b32 off, v3, s32 offset:744 ; 4-byte Folded Spill
	s_wait_xcnt 0x0
	v_mov_b32_e32 v3, 0
	scratch_store_b32 off, v3, s32 offset:792 ; 4-byte Folded Spill
	s_wait_xcnt 0x0
	v_cmpx_ne_u16_e32 0, v2
	s_cbranch_execz .LBB357_1450
; %bb.1443:                             ;   in Loop: Header=BB357_15 Depth=1
	v_cmp_ne_u16_e64 s1, 0x80, v2
	v_bfrev_b32_e32 v2, 1
	s_and_saveexec_b32 s17, s1
	s_cbranch_execz .LBB357_1449
; %bb.1444:                             ;   in Loop: Header=BB357_15 Depth=1
	v_bfe_u32 v7, v0, 16, 7
	v_mov_b32_e32 v2, 0x7f800001
	s_mov_b32 s18, exec_lo
	s_delay_alu instid0(VALU_DEP_2)
	v_cmpx_ne_u32_e32 0x7f, v7
	s_cbranch_execz .LBB357_1448
; %bb.1445:                             ;   in Loop: Header=BB357_15 Depth=1
	v_and_b32_e32 v24, 7, v6
	s_mov_b32 s19, exec_lo
	s_delay_alu instid0(VALU_DEP_1)
	v_mov_b64_e32 v[2:3], v[24:25]
	v_lshrrev_b32_e32 v3, 3, v7
	v_cmpx_gt_u32_e32 8, v7
; %bb.1446:                             ;   in Loop: Header=BB357_15 Depth=1
	v_clz_i32_u32_e32 v2, v24
	s_delay_alu instid0(VALU_DEP_1) | instskip(NEXT) | instid1(VALU_DEP_1)
	v_min_u32_e32 v7, 32, v2
	v_subrev_nc_u32_e32 v2, 28, v7
	s_delay_alu instid0(VALU_DEP_1) | instskip(NEXT) | instid1(VALU_DEP_1)
	v_lshlrev_b64_e32 v[2:3], v2, v[24:25]
	v_dual_sub_nc_u32 v3, 29, v7 :: v_dual_bitop2_b32 v2, 7, v2 bitop3:0x40
; %bb.1447:                             ;   in Loop: Header=BB357_15 Depth=1
	s_or_b32 exec_lo, exec_lo, s19
	v_lshlrev_b32_e32 v6, 24, v6
	s_delay_alu instid0(VALU_DEP_2) | instskip(NEXT) | instid1(VALU_DEP_3)
	v_lshlrev_b32_e32 v2, 20, v2
	v_lshl_add_u32 v3, v3, 23, 0x3c000000
	s_delay_alu instid0(VALU_DEP_3) | instskip(NEXT) | instid1(VALU_DEP_1)
	v_and_b32_e32 v6, 0x80000000, v6
	v_or3_b32 v2, v2, v6, v3
.LBB357_1448:                           ;   in Loop: Header=BB357_15 Depth=1
	s_or_b32 exec_lo, exec_lo, s18
.LBB357_1449:                           ;   in Loop: Header=BB357_15 Depth=1
	s_delay_alu instid0(SALU_CYCLE_1)
	s_or_b32 exec_lo, exec_lo, s17
	scratch_store_b32 off, v2, s32 offset:792 ; 4-byte Folded Spill
.LBB357_1450:                           ;   in Loop: Header=BB357_15 Depth=1
	s_wait_xcnt 0x0
	s_or_b32 exec_lo, exec_lo, s16
	s_delay_alu instid0(SALU_CYCLE_1)
	s_mov_b32 s16, exec_lo
	v_cmpx_lt_u32_e32 0xffffff, v0
	s_cbranch_execz .LBB357_1458
; %bb.1451:                             ;   in Loop: Header=BB357_15 Depth=1
	v_lshrrev_b32_e32 v6, 24, v0
	v_bfrev_b32_e32 v2, 1
	s_mov_b32 s17, exec_lo
	scratch_store_b32 off, v2, s32 offset:744 ; 4-byte Folded Spill
	s_wait_xcnt 0x0
	v_cmpx_ne_u32_e32 0x80, v6
	s_cbranch_execz .LBB357_1457
; %bb.1452:                             ;   in Loop: Header=BB357_15 Depth=1
	v_bfe_u32 v7, v0, 24, 7
	v_mov_b32_e32 v2, 0x7f800001
	s_mov_b32 s18, exec_lo
	scratch_store_b32 off, v2, s32 offset:744 ; 4-byte Folded Spill
	s_wait_xcnt 0x0
	v_cmpx_ne_u32_e32 0x7f, v7
	s_cbranch_execz .LBB357_1456
; %bb.1453:                             ;   in Loop: Header=BB357_15 Depth=1
	v_and_b32_e32 v24, 7, v6
	s_mov_b32 s19, exec_lo
	s_delay_alu instid0(VALU_DEP_1)
	v_mov_b64_e32 v[2:3], v[24:25]
	v_lshrrev_b32_e32 v3, 3, v7
	v_cmpx_gt_u32_e32 8, v7
; %bb.1454:                             ;   in Loop: Header=BB357_15 Depth=1
	v_clz_i32_u32_e32 v2, v24
	s_delay_alu instid0(VALU_DEP_1) | instskip(NEXT) | instid1(VALU_DEP_1)
	v_min_u32_e32 v7, 32, v2
	v_subrev_nc_u32_e32 v2, 28, v7
	s_delay_alu instid0(VALU_DEP_1) | instskip(NEXT) | instid1(VALU_DEP_1)
	v_lshlrev_b64_e32 v[2:3], v2, v[24:25]
	v_dual_sub_nc_u32 v3, 29, v7 :: v_dual_bitop2_b32 v2, 7, v2 bitop3:0x40
; %bb.1455:                             ;   in Loop: Header=BB357_15 Depth=1
	s_or_b32 exec_lo, exec_lo, s19
	v_lshlrev_b32_e32 v6, 24, v6
	s_delay_alu instid0(VALU_DEP_2) | instskip(NEXT) | instid1(VALU_DEP_3)
	v_lshlrev_b32_e32 v2, 20, v2
	v_lshl_add_u32 v3, v3, 23, 0x3c000000
	s_delay_alu instid0(VALU_DEP_3) | instskip(NEXT) | instid1(VALU_DEP_1)
	v_and_b32_e32 v6, 0x80000000, v6
	v_or3_b32 v2, v2, v6, v3
	scratch_store_b32 off, v2, s32 offset:744 ; 4-byte Folded Spill
.LBB357_1456:                           ;   in Loop: Header=BB357_15 Depth=1
	s_wait_xcnt 0x0
	s_or_b32 exec_lo, exec_lo, s18
.LBB357_1457:                           ;   in Loop: Header=BB357_15 Depth=1
	s_delay_alu instid0(SALU_CYCLE_1)
	s_or_b32 exec_lo, exec_lo, s17
.LBB357_1458:                           ;   in Loop: Header=BB357_15 Depth=1
	s_delay_alu instid0(SALU_CYCLE_1)
	s_or_b32 exec_lo, exec_lo, s16
	v_dual_mov_b32 v24, v1 :: v_dual_mov_b32 v3, 0
	v_and_b32_e32 v2, 0xff, v1
	s_mov_b32 s16, exec_lo
	scratch_store_b32 off, v3, s32 offset:748 ; 4-byte Folded Spill
	s_wait_xcnt 0x0
	v_mov_b32_e32 v3, 0
	scratch_store_b32 off, v3, s32 offset:796 ; 4-byte Folded Spill
	s_wait_xcnt 0x0
	v_cmpx_ne_u16_e32 0, v2
	s_cbranch_execz .LBB357_1466
; %bb.1459:                             ;   in Loop: Header=BB357_15 Depth=1
	v_cmp_ne_u16_e64 s1, 0x80, v2
	v_bfrev_b32_e32 v2, 1
	s_and_saveexec_b32 s17, s1
	s_cbranch_execz .LBB357_1465
; %bb.1460:                             ;   in Loop: Header=BB357_15 Depth=1
	v_and_b32_e32 v6, 0x7f, v1
	v_mov_b32_e32 v2, 0x7f800001
	s_mov_b32 s18, exec_lo
	s_delay_alu instid0(VALU_DEP_2)
	v_cmpx_ne_u32_e32 0x7f, v6
	s_cbranch_execz .LBB357_1464
; %bb.1461:                             ;   in Loop: Header=BB357_15 Depth=1
	v_mov_b64_e32 v[2:3], v[24:25]
	v_lshrrev_b32_e32 v3, 3, v6
	s_mov_b32 s19, exec_lo
	v_cmpx_gt_u32_e32 8, v6
; %bb.1462:                             ;   in Loop: Header=BB357_15 Depth=1
	v_and_b32_e32 v2, 7, v1
	s_delay_alu instid0(VALU_DEP_1) | instskip(NEXT) | instid1(VALU_DEP_1)
	v_clz_i32_u32_e32 v2, v2
	v_min_u32_e32 v6, 32, v2
	s_delay_alu instid0(VALU_DEP_1) | instskip(NEXT) | instid1(VALU_DEP_1)
	v_subrev_nc_u32_e32 v2, 28, v6
	v_lshlrev_b64_e32 v[2:3], v2, v[24:25]
	v_sub_nc_u32_e32 v3, 29, v6
; %bb.1463:                             ;   in Loop: Header=BB357_15 Depth=1
	s_or_b32 exec_lo, exec_lo, s19
	s_delay_alu instid0(VALU_DEP_2) | instskip(NEXT) | instid1(VALU_DEP_2)
	v_dual_lshlrev_b32 v2, 20, v2 :: v_dual_lshlrev_b32 v6, 24, v24
	v_lshl_add_u32 v3, v3, 23, 0x3c000000
	s_delay_alu instid0(VALU_DEP_2) | instskip(NEXT) | instid1(VALU_DEP_3)
	v_and_b32_e32 v2, 0x700000, v2
	v_and_b32_e32 v6, 0x80000000, v6
	s_delay_alu instid0(VALU_DEP_1)
	v_or3_b32 v2, v2, v6, v3
.LBB357_1464:                           ;   in Loop: Header=BB357_15 Depth=1
	s_or_b32 exec_lo, exec_lo, s18
.LBB357_1465:                           ;   in Loop: Header=BB357_15 Depth=1
	s_delay_alu instid0(SALU_CYCLE_1)
	s_or_b32 exec_lo, exec_lo, s17
	scratch_store_b32 off, v2, s32 offset:796 ; 4-byte Folded Spill
.LBB357_1466:                           ;   in Loop: Header=BB357_15 Depth=1
	s_wait_xcnt 0x0
	s_or_b32 exec_lo, exec_lo, s16
	v_lshrrev_b16 v2, 8, v24
	s_mov_b32 s16, exec_lo
	s_delay_alu instid0(VALU_DEP_1)
	v_cmpx_ne_u16_e32 0, v2
	s_cbranch_execz .LBB357_1474
; %bb.1467:                             ;   in Loop: Header=BB357_15 Depth=1
	v_bfrev_b32_e32 v3, 1
	s_mov_b32 s17, exec_lo
	scratch_store_b32 off, v3, s32 offset:748 ; 4-byte Folded Spill
	s_wait_xcnt 0x0
	v_cmpx_ne_u16_e32 0x80, v2
	s_cbranch_execz .LBB357_1473
; %bb.1468:                             ;   in Loop: Header=BB357_15 Depth=1
	v_and_b32_e32 v2, 0xffff, v2
	v_mov_b32_e32 v3, 0x7f800001
	s_mov_b32 s18, exec_lo
	s_delay_alu instid0(VALU_DEP_2)
	v_and_b32_e32 v7, 0x7f, v2
	scratch_store_b32 off, v3, s32 offset:748 ; 4-byte Folded Spill
	s_wait_xcnt 0x0
	v_cmpx_ne_u32_e32 0x7f, v7
	s_cbranch_execz .LBB357_1472
; %bb.1469:                             ;   in Loop: Header=BB357_15 Depth=1
	v_dual_mov_b32 v3, v25 :: v_dual_bitop2_b32 v2, 7, v2 bitop3:0x40
	v_lshrrev_b32_e32 v6, 3, v7
	s_mov_b32 s19, exec_lo
	v_cmpx_gt_u32_e32 8, v7
; %bb.1470:                             ;   in Loop: Header=BB357_15 Depth=1
	s_delay_alu instid0(VALU_DEP_3) | instskip(NEXT) | instid1(VALU_DEP_1)
	v_clz_i32_u32_e32 v6, v2
	v_min_u32_e32 v6, 32, v6
	s_delay_alu instid0(VALU_DEP_1) | instskip(SKIP_1) | instid1(VALU_DEP_2)
	v_subrev_nc_u32_e32 v7, 28, v6
	v_sub_nc_u32_e32 v6, 29, v6
	v_lshlrev_b64_e32 v[2:3], v7, v[2:3]
	s_delay_alu instid0(VALU_DEP_1)
	v_and_b32_e32 v2, 7, v2
; %bb.1471:                             ;   in Loop: Header=BB357_15 Depth=1
	s_or_b32 exec_lo, exec_lo, s19
	s_delay_alu instid0(VALU_DEP_1) | instskip(SKIP_1) | instid1(VALU_DEP_2)
	v_dual_lshlrev_b32 v3, 16, v24 :: v_dual_lshlrev_b32 v2, 20, v2
	v_lshl_add_u32 v6, v6, 23, 0x3c000000
	v_and_b32_e32 v3, 0x80000000, v3
	s_delay_alu instid0(VALU_DEP_1)
	v_or3_b32 v2, v2, v3, v6
	scratch_store_b32 off, v2, s32 offset:748 ; 4-byte Folded Spill
.LBB357_1472:                           ;   in Loop: Header=BB357_15 Depth=1
	s_wait_xcnt 0x0
	s_or_b32 exec_lo, exec_lo, s18
.LBB357_1473:                           ;   in Loop: Header=BB357_15 Depth=1
	s_delay_alu instid0(SALU_CYCLE_1)
	s_or_b32 exec_lo, exec_lo, s17
.LBB357_1474:                           ;   in Loop: Header=BB357_15 Depth=1
	s_delay_alu instid0(SALU_CYCLE_1) | instskip(SKIP_3) | instid1(VALU_DEP_2)
	s_or_b32 exec_lo, exec_lo, s16
	v_dual_mov_b32 v3, 0 :: v_dual_lshrrev_b32 v6, 16, v1
	v_mov_b32_e32 v58, 0
	s_mov_b32 s16, exec_lo
	v_and_b32_e32 v2, 0xff, v6
	scratch_store_b32 off, v3, s32 offset:768 ; 4-byte Folded Spill
	s_wait_xcnt 0x0
	v_cmpx_ne_u16_e32 0, v2
	s_cbranch_execz .LBB357_1482
; %bb.1475:                             ;   in Loop: Header=BB357_15 Depth=1
	v_bfrev_b32_e32 v58, 1
	s_mov_b32 s17, exec_lo
	v_cmpx_ne_u16_e32 0x80, v2
	s_cbranch_execz .LBB357_1481
; %bb.1476:                             ;   in Loop: Header=BB357_15 Depth=1
	v_bfe_u32 v7, v1, 16, 7
	v_mov_b32_e32 v58, 0x7f800001
	s_mov_b32 s18, exec_lo
	s_delay_alu instid0(VALU_DEP_2)
	v_cmpx_ne_u32_e32 0x7f, v7
	s_cbranch_execz .LBB357_1480
; %bb.1477:                             ;   in Loop: Header=BB357_15 Depth=1
	v_and_b32_e32 v24, 7, v6
	s_mov_b32 s19, exec_lo
	s_delay_alu instid0(VALU_DEP_1)
	v_mov_b64_e32 v[2:3], v[24:25]
	v_lshrrev_b32_e32 v3, 3, v7
	v_cmpx_gt_u32_e32 8, v7
; %bb.1478:                             ;   in Loop: Header=BB357_15 Depth=1
	v_clz_i32_u32_e32 v2, v24
	s_delay_alu instid0(VALU_DEP_1) | instskip(NEXT) | instid1(VALU_DEP_1)
	v_min_u32_e32 v7, 32, v2
	v_subrev_nc_u32_e32 v2, 28, v7
	s_delay_alu instid0(VALU_DEP_1) | instskip(NEXT) | instid1(VALU_DEP_1)
	v_lshlrev_b64_e32 v[2:3], v2, v[24:25]
	v_dual_sub_nc_u32 v3, 29, v7 :: v_dual_bitop2_b32 v2, 7, v2 bitop3:0x40
; %bb.1479:                             ;   in Loop: Header=BB357_15 Depth=1
	s_or_b32 exec_lo, exec_lo, s19
	v_lshlrev_b32_e32 v6, 24, v6
	s_delay_alu instid0(VALU_DEP_2) | instskip(NEXT) | instid1(VALU_DEP_3)
	v_lshlrev_b32_e32 v2, 20, v2
	v_lshl_add_u32 v3, v3, 23, 0x3c000000
	s_delay_alu instid0(VALU_DEP_3) | instskip(NEXT) | instid1(VALU_DEP_1)
	v_and_b32_e32 v6, 0x80000000, v6
	v_or3_b32 v58, v2, v6, v3
.LBB357_1480:                           ;   in Loop: Header=BB357_15 Depth=1
	s_or_b32 exec_lo, exec_lo, s18
.LBB357_1481:                           ;   in Loop: Header=BB357_15 Depth=1
	s_delay_alu instid0(SALU_CYCLE_1)
	s_or_b32 exec_lo, exec_lo, s17
.LBB357_1482:                           ;   in Loop: Header=BB357_15 Depth=1
	s_delay_alu instid0(SALU_CYCLE_1) | instskip(NEXT) | instid1(SALU_CYCLE_1)
	s_or_b32 exec_lo, exec_lo, s16
	s_mov_b32 s16, exec_lo
	v_cmpx_lt_u64_e64 s[8:9], v[0:1]
	s_cbranch_execz .LBB357_1490
; %bb.1483:                             ;   in Loop: Header=BB357_15 Depth=1
	v_lshrrev_b32_e32 v2, 24, v1
	v_bfrev_b32_e32 v0, 1
	s_mov_b32 s17, exec_lo
	scratch_store_b32 off, v0, s32 offset:768 ; 4-byte Folded Spill
	s_wait_xcnt 0x0
	v_cmpx_ne_u32_e32 0x80, v2
	s_cbranch_execz .LBB357_1489
; %bb.1484:                             ;   in Loop: Header=BB357_15 Depth=1
	v_bfe_u32 v3, v1, 24, 7
	v_mov_b32_e32 v0, 0x7f800001
	s_mov_b32 s18, exec_lo
	s_delay_alu instid0(VALU_DEP_2)
	v_cmpx_ne_u32_e32 0x7f, v3
	s_cbranch_execz .LBB357_1488
; %bb.1485:                             ;   in Loop: Header=BB357_15 Depth=1
	v_and_b32_e32 v24, 7, v2
	s_mov_b32 s19, exec_lo
	s_delay_alu instid0(VALU_DEP_1)
	v_mov_b64_e32 v[0:1], v[24:25]
	v_lshrrev_b32_e32 v1, 3, v3
	v_cmpx_gt_u32_e32 8, v3
; %bb.1486:                             ;   in Loop: Header=BB357_15 Depth=1
	v_clz_i32_u32_e32 v0, v24
	s_delay_alu instid0(VALU_DEP_1) | instskip(NEXT) | instid1(VALU_DEP_1)
	v_min_u32_e32 v3, 32, v0
	v_subrev_nc_u32_e32 v0, 28, v3
	s_delay_alu instid0(VALU_DEP_1) | instskip(NEXT) | instid1(VALU_DEP_1)
	v_lshlrev_b64_e32 v[0:1], v0, v[24:25]
	v_dual_sub_nc_u32 v1, 29, v3 :: v_dual_bitop2_b32 v0, 7, v0 bitop3:0x40
; %bb.1487:                             ;   in Loop: Header=BB357_15 Depth=1
	s_or_b32 exec_lo, exec_lo, s19
	s_delay_alu instid0(VALU_DEP_1) | instskip(NEXT) | instid1(VALU_DEP_2)
	v_dual_lshlrev_b32 v2, 24, v2 :: v_dual_lshlrev_b32 v0, 20, v0
	v_lshl_add_u32 v1, v1, 23, 0x3c000000
	s_delay_alu instid0(VALU_DEP_2) | instskip(NEXT) | instid1(VALU_DEP_1)
	v_and_b32_e32 v2, 0x80000000, v2
	v_or3_b32 v0, v0, v2, v1
.LBB357_1488:                           ;   in Loop: Header=BB357_15 Depth=1
	s_or_b32 exec_lo, exec_lo, s18
	scratch_store_b32 off, v0, s32 offset:768 ; 4-byte Folded Spill
.LBB357_1489:                           ;   in Loop: Header=BB357_15 Depth=1
	s_wait_xcnt 0x0
	s_or_b32 exec_lo, exec_lo, s17
.LBB357_1490:                           ;   in Loop: Header=BB357_15 Depth=1
	s_delay_alu instid0(SALU_CYCLE_1)
	s_or_b32 exec_lo, exec_lo, s16
	flat_load_b64 v[0:1], v[102:103] offset:5640
	v_dual_mov_b32 v31, 0 :: v_dual_mov_b32 v30, 0
	s_mov_b32 s16, exec_lo
	s_wait_loadcnt_dscnt 0x0
	v_and_b32_e32 v2, 0xff, v0
	s_wait_xcnt 0x0
	s_delay_alu instid0(VALU_DEP_1)
	v_cmpx_ne_u16_e32 0, v2
	s_cbranch_execz .LBB357_1498
; %bb.1491:                             ;   in Loop: Header=BB357_15 Depth=1
	v_bfrev_b32_e32 v30, 1
	s_mov_b32 s17, exec_lo
	v_cmpx_ne_u16_e32 0x80, v2
	s_cbranch_execz .LBB357_1497
; %bb.1492:                             ;   in Loop: Header=BB357_15 Depth=1
	v_and_b32_e32 v2, 0x7f, v0
	v_mov_b32_e32 v30, 0x7f800001
	s_mov_b32 s18, exec_lo
	s_delay_alu instid0(VALU_DEP_2)
	v_cmpx_ne_u32_e32 0x7f, v2
	s_cbranch_execz .LBB357_1496
; %bb.1493:                             ;   in Loop: Header=BB357_15 Depth=1
	v_lshrrev_b32_e32 v6, 3, v2
	v_cmp_gt_u32_e64 s1, 8, v2
	v_mov_b64_e32 v[2:3], v[0:1]
	s_and_saveexec_b32 s19, s1
; %bb.1494:                             ;   in Loop: Header=BB357_15 Depth=1
	v_and_b32_e32 v2, 7, v0
	s_delay_alu instid0(VALU_DEP_1) | instskip(NEXT) | instid1(VALU_DEP_1)
	v_clz_i32_u32_e32 v2, v2
	v_min_u32_e32 v6, 32, v2
	s_delay_alu instid0(VALU_DEP_1) | instskip(SKIP_1) | instid1(VALU_DEP_2)
	v_subrev_nc_u32_e32 v2, 28, v6
	v_sub_nc_u32_e32 v6, 29, v6
	v_lshlrev_b64_e32 v[2:3], v2, v[0:1]
; %bb.1495:                             ;   in Loop: Header=BB357_15 Depth=1
	s_or_b32 exec_lo, exec_lo, s19
	s_delay_alu instid0(VALU_DEP_1) | instskip(NEXT) | instid1(VALU_DEP_3)
	v_dual_lshlrev_b32 v2, 20, v2 :: v_dual_lshlrev_b32 v3, 24, v0
	v_lshl_add_u32 v6, v6, 23, 0x3c000000
	s_delay_alu instid0(VALU_DEP_2) | instskip(NEXT) | instid1(VALU_DEP_3)
	v_and_b32_e32 v2, 0x700000, v2
	v_and_b32_e32 v3, 0x80000000, v3
	s_delay_alu instid0(VALU_DEP_1)
	v_or3_b32 v30, v2, v3, v6
.LBB357_1496:                           ;   in Loop: Header=BB357_15 Depth=1
	s_or_b32 exec_lo, exec_lo, s18
.LBB357_1497:                           ;   in Loop: Header=BB357_15 Depth=1
	s_delay_alu instid0(SALU_CYCLE_1)
	s_or_b32 exec_lo, exec_lo, s17
.LBB357_1498:                           ;   in Loop: Header=BB357_15 Depth=1
	s_delay_alu instid0(SALU_CYCLE_1) | instskip(SKIP_2) | instid1(VALU_DEP_1)
	s_or_b32 exec_lo, exec_lo, s16
	v_lshrrev_b16 v2, 8, v0
	s_mov_b32 s16, exec_lo
	v_cmpx_ne_u16_e32 0, v2
	s_cbranch_execz .LBB357_1506
; %bb.1499:                             ;   in Loop: Header=BB357_15 Depth=1
	v_bfrev_b32_e32 v31, 1
	s_mov_b32 s17, exec_lo
	v_cmpx_ne_u16_e32 0x80, v2
	s_cbranch_execz .LBB357_1505
; %bb.1500:                             ;   in Loop: Header=BB357_15 Depth=1
	v_and_b32_e32 v2, 0xffff, v2
	v_mov_b32_e32 v31, 0x7f800001
	s_mov_b32 s18, exec_lo
	s_delay_alu instid0(VALU_DEP_2) | instskip(NEXT) | instid1(VALU_DEP_1)
	v_and_b32_e32 v6, 0x7f, v2
	v_cmpx_ne_u32_e32 0x7f, v6
	s_cbranch_execz .LBB357_1504
; %bb.1501:                             ;   in Loop: Header=BB357_15 Depth=1
	v_and_b32_e32 v24, 7, v2
	s_mov_b32 s19, exec_lo
	s_delay_alu instid0(VALU_DEP_1)
	v_mov_b64_e32 v[2:3], v[24:25]
	v_lshrrev_b32_e32 v3, 3, v6
	v_cmpx_gt_u32_e32 8, v6
; %bb.1502:                             ;   in Loop: Header=BB357_15 Depth=1
	v_clz_i32_u32_e32 v2, v24
	s_delay_alu instid0(VALU_DEP_1) | instskip(NEXT) | instid1(VALU_DEP_1)
	v_min_u32_e32 v6, 32, v2
	v_subrev_nc_u32_e32 v2, 28, v6
	s_delay_alu instid0(VALU_DEP_1) | instskip(SKIP_1) | instid1(VALU_DEP_2)
	v_lshlrev_b64_e32 v[2:3], v2, v[24:25]
	v_sub_nc_u32_e32 v3, 29, v6
	v_and_b32_e32 v2, 7, v2
; %bb.1503:                             ;   in Loop: Header=BB357_15 Depth=1
	s_or_b32 exec_lo, exec_lo, s19
	s_delay_alu instid0(VALU_DEP_1) | instskip(NEXT) | instid1(VALU_DEP_3)
	v_dual_lshlrev_b32 v6, 16, v0 :: v_dual_lshlrev_b32 v2, 20, v2
	v_lshl_add_u32 v3, v3, 23, 0x3c000000
	s_delay_alu instid0(VALU_DEP_2) | instskip(NEXT) | instid1(VALU_DEP_1)
	v_and_b32_e32 v6, 0x80000000, v6
	v_or3_b32 v31, v2, v6, v3
.LBB357_1504:                           ;   in Loop: Header=BB357_15 Depth=1
	s_or_b32 exec_lo, exec_lo, s18
.LBB357_1505:                           ;   in Loop: Header=BB357_15 Depth=1
	s_delay_alu instid0(SALU_CYCLE_1)
	s_or_b32 exec_lo, exec_lo, s17
.LBB357_1506:                           ;   in Loop: Header=BB357_15 Depth=1
	s_delay_alu instid0(SALU_CYCLE_1) | instskip(SKIP_3) | instid1(VALU_DEP_2)
	s_or_b32 exec_lo, exec_lo, s16
	v_dual_mov_b32 v47, 0 :: v_dual_lshrrev_b32 v6, 16, v0
	v_mov_b32_e32 v46, 0
	s_mov_b32 s16, exec_lo
	v_and_b32_e32 v2, 0xff, v6
	s_delay_alu instid0(VALU_DEP_1)
	v_cmpx_ne_u16_e32 0, v2
	s_cbranch_execz .LBB357_1514
; %bb.1507:                             ;   in Loop: Header=BB357_15 Depth=1
	v_bfrev_b32_e32 v46, 1
	s_mov_b32 s17, exec_lo
	v_cmpx_ne_u16_e32 0x80, v2
	s_cbranch_execz .LBB357_1513
; %bb.1508:                             ;   in Loop: Header=BB357_15 Depth=1
	v_bfe_u32 v7, v0, 16, 7
	v_mov_b32_e32 v46, 0x7f800001
	s_mov_b32 s18, exec_lo
	s_delay_alu instid0(VALU_DEP_2)
	v_cmpx_ne_u32_e32 0x7f, v7
	s_cbranch_execz .LBB357_1512
; %bb.1509:                             ;   in Loop: Header=BB357_15 Depth=1
	v_and_b32_e32 v24, 7, v6
	s_mov_b32 s19, exec_lo
	s_delay_alu instid0(VALU_DEP_1)
	v_mov_b64_e32 v[2:3], v[24:25]
	v_lshrrev_b32_e32 v3, 3, v7
	v_cmpx_gt_u32_e32 8, v7
; %bb.1510:                             ;   in Loop: Header=BB357_15 Depth=1
	v_clz_i32_u32_e32 v2, v24
	s_delay_alu instid0(VALU_DEP_1) | instskip(NEXT) | instid1(VALU_DEP_1)
	v_min_u32_e32 v7, 32, v2
	v_subrev_nc_u32_e32 v2, 28, v7
	s_delay_alu instid0(VALU_DEP_1) | instskip(NEXT) | instid1(VALU_DEP_1)
	v_lshlrev_b64_e32 v[2:3], v2, v[24:25]
	v_dual_sub_nc_u32 v3, 29, v7 :: v_dual_bitop2_b32 v2, 7, v2 bitop3:0x40
; %bb.1511:                             ;   in Loop: Header=BB357_15 Depth=1
	s_or_b32 exec_lo, exec_lo, s19
	v_lshlrev_b32_e32 v6, 24, v6
	s_delay_alu instid0(VALU_DEP_2) | instskip(NEXT) | instid1(VALU_DEP_3)
	v_lshlrev_b32_e32 v2, 20, v2
	v_lshl_add_u32 v3, v3, 23, 0x3c000000
	s_delay_alu instid0(VALU_DEP_3) | instskip(NEXT) | instid1(VALU_DEP_1)
	v_and_b32_e32 v6, 0x80000000, v6
	v_or3_b32 v46, v2, v6, v3
.LBB357_1512:                           ;   in Loop: Header=BB357_15 Depth=1
	s_or_b32 exec_lo, exec_lo, s18
.LBB357_1513:                           ;   in Loop: Header=BB357_15 Depth=1
	s_delay_alu instid0(SALU_CYCLE_1)
	s_or_b32 exec_lo, exec_lo, s17
.LBB357_1514:                           ;   in Loop: Header=BB357_15 Depth=1
	s_delay_alu instid0(SALU_CYCLE_1) | instskip(NEXT) | instid1(SALU_CYCLE_1)
	s_or_b32 exec_lo, exec_lo, s16
	s_mov_b32 s16, exec_lo
	v_cmpx_lt_u32_e32 0xffffff, v0
	s_cbranch_execz .LBB357_1522
; %bb.1515:                             ;   in Loop: Header=BB357_15 Depth=1
	v_lshrrev_b32_e32 v6, 24, v0
	v_bfrev_b32_e32 v47, 1
	s_mov_b32 s17, exec_lo
	s_delay_alu instid0(VALU_DEP_2)
	v_cmpx_ne_u32_e32 0x80, v6
	s_cbranch_execz .LBB357_1521
; %bb.1516:                             ;   in Loop: Header=BB357_15 Depth=1
	v_bfe_u32 v7, v0, 24, 7
	v_mov_b32_e32 v47, 0x7f800001
	s_mov_b32 s18, exec_lo
	s_delay_alu instid0(VALU_DEP_2)
	v_cmpx_ne_u32_e32 0x7f, v7
	s_cbranch_execz .LBB357_1520
; %bb.1517:                             ;   in Loop: Header=BB357_15 Depth=1
	v_and_b32_e32 v24, 7, v6
	s_mov_b32 s19, exec_lo
	s_delay_alu instid0(VALU_DEP_1)
	v_mov_b64_e32 v[2:3], v[24:25]
	v_lshrrev_b32_e32 v3, 3, v7
	v_cmpx_gt_u32_e32 8, v7
; %bb.1518:                             ;   in Loop: Header=BB357_15 Depth=1
	v_clz_i32_u32_e32 v2, v24
	s_delay_alu instid0(VALU_DEP_1) | instskip(NEXT) | instid1(VALU_DEP_1)
	v_min_u32_e32 v7, 32, v2
	v_subrev_nc_u32_e32 v2, 28, v7
	s_delay_alu instid0(VALU_DEP_1) | instskip(NEXT) | instid1(VALU_DEP_1)
	v_lshlrev_b64_e32 v[2:3], v2, v[24:25]
	v_dual_sub_nc_u32 v3, 29, v7 :: v_dual_bitop2_b32 v2, 7, v2 bitop3:0x40
; %bb.1519:                             ;   in Loop: Header=BB357_15 Depth=1
	s_or_b32 exec_lo, exec_lo, s19
	v_lshlrev_b32_e32 v6, 24, v6
	s_delay_alu instid0(VALU_DEP_2) | instskip(NEXT) | instid1(VALU_DEP_3)
	v_lshlrev_b32_e32 v2, 20, v2
	v_lshl_add_u32 v3, v3, 23, 0x3c000000
	s_delay_alu instid0(VALU_DEP_3) | instskip(NEXT) | instid1(VALU_DEP_1)
	v_and_b32_e32 v6, 0x80000000, v6
	v_or3_b32 v47, v2, v6, v3
.LBB357_1520:                           ;   in Loop: Header=BB357_15 Depth=1
	s_or_b32 exec_lo, exec_lo, s18
.LBB357_1521:                           ;   in Loop: Header=BB357_15 Depth=1
	s_delay_alu instid0(SALU_CYCLE_1)
	s_or_b32 exec_lo, exec_lo, s17
.LBB357_1522:                           ;   in Loop: Header=BB357_15 Depth=1
	s_delay_alu instid0(SALU_CYCLE_1) | instskip(SKIP_4) | instid1(VALU_DEP_3)
	s_or_b32 exec_lo, exec_lo, s16
	v_and_b32_e32 v2, 0xff, v1
	v_dual_mov_b32 v24, v1 :: v_dual_mov_b32 v63, 0
	v_mov_b32_e32 v62, 0
	s_mov_b32 s16, exec_lo
	v_cmpx_ne_u16_e32 0, v2
	s_cbranch_execz .LBB357_1530
; %bb.1523:                             ;   in Loop: Header=BB357_15 Depth=1
	v_bfrev_b32_e32 v62, 1
	s_mov_b32 s17, exec_lo
	v_cmpx_ne_u16_e32 0x80, v2
	s_cbranch_execz .LBB357_1529
; %bb.1524:                             ;   in Loop: Header=BB357_15 Depth=1
	v_and_b32_e32 v6, 0x7f, v1
	v_mov_b32_e32 v62, 0x7f800001
	s_mov_b32 s18, exec_lo
	s_delay_alu instid0(VALU_DEP_2)
	v_cmpx_ne_u32_e32 0x7f, v6
	s_cbranch_execz .LBB357_1528
; %bb.1525:                             ;   in Loop: Header=BB357_15 Depth=1
	v_mov_b64_e32 v[2:3], v[24:25]
	v_lshrrev_b32_e32 v3, 3, v6
	s_mov_b32 s19, exec_lo
	v_cmpx_gt_u32_e32 8, v6
; %bb.1526:                             ;   in Loop: Header=BB357_15 Depth=1
	v_and_b32_e32 v2, 7, v1
	s_delay_alu instid0(VALU_DEP_1) | instskip(NEXT) | instid1(VALU_DEP_1)
	v_clz_i32_u32_e32 v2, v2
	v_min_u32_e32 v6, 32, v2
	s_delay_alu instid0(VALU_DEP_1) | instskip(NEXT) | instid1(VALU_DEP_1)
	v_subrev_nc_u32_e32 v2, 28, v6
	v_lshlrev_b64_e32 v[2:3], v2, v[24:25]
	v_sub_nc_u32_e32 v3, 29, v6
; %bb.1527:                             ;   in Loop: Header=BB357_15 Depth=1
	s_or_b32 exec_lo, exec_lo, s19
	s_delay_alu instid0(VALU_DEP_2) | instskip(NEXT) | instid1(VALU_DEP_2)
	v_dual_lshlrev_b32 v2, 20, v2 :: v_dual_lshlrev_b32 v6, 24, v24
	v_lshl_add_u32 v3, v3, 23, 0x3c000000
	s_delay_alu instid0(VALU_DEP_2) | instskip(NEXT) | instid1(VALU_DEP_3)
	v_and_b32_e32 v2, 0x700000, v2
	v_and_b32_e32 v6, 0x80000000, v6
	s_delay_alu instid0(VALU_DEP_1)
	v_or3_b32 v62, v2, v6, v3
.LBB357_1528:                           ;   in Loop: Header=BB357_15 Depth=1
	s_or_b32 exec_lo, exec_lo, s18
.LBB357_1529:                           ;   in Loop: Header=BB357_15 Depth=1
	s_delay_alu instid0(SALU_CYCLE_1)
	s_or_b32 exec_lo, exec_lo, s17
.LBB357_1530:                           ;   in Loop: Header=BB357_15 Depth=1
	s_delay_alu instid0(SALU_CYCLE_1) | instskip(SKIP_2) | instid1(VALU_DEP_1)
	s_or_b32 exec_lo, exec_lo, s16
	v_lshrrev_b16 v2, 8, v24
	s_mov_b32 s16, exec_lo
	v_cmpx_ne_u16_e32 0, v2
	s_cbranch_execz .LBB357_1538
; %bb.1531:                             ;   in Loop: Header=BB357_15 Depth=1
	v_bfrev_b32_e32 v63, 1
	s_mov_b32 s17, exec_lo
	v_cmpx_ne_u16_e32 0x80, v2
	s_cbranch_execz .LBB357_1537
; %bb.1532:                             ;   in Loop: Header=BB357_15 Depth=1
	v_and_b32_e32 v2, 0xffff, v2
	v_mov_b32_e32 v63, 0x7f800001
	s_mov_b32 s18, exec_lo
	s_delay_alu instid0(VALU_DEP_2) | instskip(NEXT) | instid1(VALU_DEP_1)
	v_and_b32_e32 v7, 0x7f, v2
	v_cmpx_ne_u32_e32 0x7f, v7
	s_cbranch_execz .LBB357_1536
; %bb.1533:                             ;   in Loop: Header=BB357_15 Depth=1
	v_dual_mov_b32 v3, v25 :: v_dual_bitop2_b32 v2, 7, v2 bitop3:0x40
	v_lshrrev_b32_e32 v6, 3, v7
	s_mov_b32 s19, exec_lo
	v_cmpx_gt_u32_e32 8, v7
; %bb.1534:                             ;   in Loop: Header=BB357_15 Depth=1
	s_delay_alu instid0(VALU_DEP_3) | instskip(NEXT) | instid1(VALU_DEP_1)
	v_clz_i32_u32_e32 v6, v2
	v_min_u32_e32 v6, 32, v6
	s_delay_alu instid0(VALU_DEP_1) | instskip(SKIP_1) | instid1(VALU_DEP_2)
	v_subrev_nc_u32_e32 v7, 28, v6
	v_sub_nc_u32_e32 v6, 29, v6
	v_lshlrev_b64_e32 v[2:3], v7, v[2:3]
	s_delay_alu instid0(VALU_DEP_1)
	v_and_b32_e32 v2, 7, v2
; %bb.1535:                             ;   in Loop: Header=BB357_15 Depth=1
	s_or_b32 exec_lo, exec_lo, s19
	s_delay_alu instid0(VALU_DEP_1) | instskip(SKIP_1) | instid1(VALU_DEP_2)
	v_dual_lshlrev_b32 v3, 16, v24 :: v_dual_lshlrev_b32 v2, 20, v2
	v_lshl_add_u32 v6, v6, 23, 0x3c000000
	v_and_b32_e32 v3, 0x80000000, v3
	s_delay_alu instid0(VALU_DEP_1)
	v_or3_b32 v63, v2, v3, v6
.LBB357_1536:                           ;   in Loop: Header=BB357_15 Depth=1
	s_or_b32 exec_lo, exec_lo, s18
.LBB357_1537:                           ;   in Loop: Header=BB357_15 Depth=1
	s_delay_alu instid0(SALU_CYCLE_1)
	s_or_b32 exec_lo, exec_lo, s17
.LBB357_1538:                           ;   in Loop: Header=BB357_15 Depth=1
	s_delay_alu instid0(SALU_CYCLE_1) | instskip(SKIP_3) | instid1(VALU_DEP_2)
	s_or_b32 exec_lo, exec_lo, s16
	v_dual_mov_b32 v75, 0 :: v_dual_lshrrev_b32 v6, 16, v1
	v_mov_b32_e32 v74, 0
	s_mov_b32 s16, exec_lo
	v_and_b32_e32 v2, 0xff, v6
	s_delay_alu instid0(VALU_DEP_1)
	v_cmpx_ne_u16_e32 0, v2
	s_cbranch_execz .LBB357_1546
; %bb.1539:                             ;   in Loop: Header=BB357_15 Depth=1
	v_bfrev_b32_e32 v74, 1
	s_mov_b32 s17, exec_lo
	v_cmpx_ne_u16_e32 0x80, v2
	s_cbranch_execz .LBB357_1545
; %bb.1540:                             ;   in Loop: Header=BB357_15 Depth=1
	v_bfe_u32 v7, v1, 16, 7
	v_mov_b32_e32 v74, 0x7f800001
	s_mov_b32 s18, exec_lo
	s_delay_alu instid0(VALU_DEP_2)
	v_cmpx_ne_u32_e32 0x7f, v7
	s_cbranch_execz .LBB357_1544
; %bb.1541:                             ;   in Loop: Header=BB357_15 Depth=1
	v_and_b32_e32 v24, 7, v6
	s_mov_b32 s19, exec_lo
	s_delay_alu instid0(VALU_DEP_1)
	v_mov_b64_e32 v[2:3], v[24:25]
	v_lshrrev_b32_e32 v3, 3, v7
	v_cmpx_gt_u32_e32 8, v7
; %bb.1542:                             ;   in Loop: Header=BB357_15 Depth=1
	v_clz_i32_u32_e32 v2, v24
	s_delay_alu instid0(VALU_DEP_1) | instskip(NEXT) | instid1(VALU_DEP_1)
	v_min_u32_e32 v7, 32, v2
	v_subrev_nc_u32_e32 v2, 28, v7
	s_delay_alu instid0(VALU_DEP_1) | instskip(NEXT) | instid1(VALU_DEP_1)
	v_lshlrev_b64_e32 v[2:3], v2, v[24:25]
	v_dual_sub_nc_u32 v3, 29, v7 :: v_dual_bitop2_b32 v2, 7, v2 bitop3:0x40
; %bb.1543:                             ;   in Loop: Header=BB357_15 Depth=1
	s_or_b32 exec_lo, exec_lo, s19
	v_lshlrev_b32_e32 v6, 24, v6
	s_delay_alu instid0(VALU_DEP_2) | instskip(NEXT) | instid1(VALU_DEP_3)
	v_lshlrev_b32_e32 v2, 20, v2
	v_lshl_add_u32 v3, v3, 23, 0x3c000000
	s_delay_alu instid0(VALU_DEP_3) | instskip(NEXT) | instid1(VALU_DEP_1)
	v_and_b32_e32 v6, 0x80000000, v6
	v_or3_b32 v74, v2, v6, v3
.LBB357_1544:                           ;   in Loop: Header=BB357_15 Depth=1
	s_or_b32 exec_lo, exec_lo, s18
.LBB357_1545:                           ;   in Loop: Header=BB357_15 Depth=1
	s_delay_alu instid0(SALU_CYCLE_1)
	s_or_b32 exec_lo, exec_lo, s17
.LBB357_1546:                           ;   in Loop: Header=BB357_15 Depth=1
	s_delay_alu instid0(SALU_CYCLE_1) | instskip(NEXT) | instid1(SALU_CYCLE_1)
	s_or_b32 exec_lo, exec_lo, s16
	s_mov_b32 s16, exec_lo
	v_cmpx_lt_u64_e64 s[8:9], v[0:1]
	s_cbranch_execz .LBB357_1554
; %bb.1547:                             ;   in Loop: Header=BB357_15 Depth=1
	v_lshrrev_b32_e32 v2, 24, v1
	v_bfrev_b32_e32 v75, 1
	s_mov_b32 s17, exec_lo
	s_delay_alu instid0(VALU_DEP_2)
	v_cmpx_ne_u32_e32 0x80, v2
	s_cbranch_execz .LBB357_1553
; %bb.1548:                             ;   in Loop: Header=BB357_15 Depth=1
	v_bfe_u32 v3, v1, 24, 7
	v_mov_b32_e32 v75, 0x7f800001
	s_mov_b32 s18, exec_lo
	s_delay_alu instid0(VALU_DEP_2)
	v_cmpx_ne_u32_e32 0x7f, v3
	s_cbranch_execz .LBB357_1552
; %bb.1549:                             ;   in Loop: Header=BB357_15 Depth=1
	v_and_b32_e32 v24, 7, v2
	s_mov_b32 s19, exec_lo
	s_delay_alu instid0(VALU_DEP_1)
	v_mov_b64_e32 v[0:1], v[24:25]
	v_lshrrev_b32_e32 v1, 3, v3
	v_cmpx_gt_u32_e32 8, v3
; %bb.1550:                             ;   in Loop: Header=BB357_15 Depth=1
	v_clz_i32_u32_e32 v0, v24
	s_delay_alu instid0(VALU_DEP_1) | instskip(NEXT) | instid1(VALU_DEP_1)
	v_min_u32_e32 v3, 32, v0
	v_subrev_nc_u32_e32 v0, 28, v3
	s_delay_alu instid0(VALU_DEP_1) | instskip(NEXT) | instid1(VALU_DEP_1)
	v_lshlrev_b64_e32 v[0:1], v0, v[24:25]
	v_dual_sub_nc_u32 v1, 29, v3 :: v_dual_bitop2_b32 v0, 7, v0 bitop3:0x40
; %bb.1551:                             ;   in Loop: Header=BB357_15 Depth=1
	s_or_b32 exec_lo, exec_lo, s19
	s_delay_alu instid0(VALU_DEP_1) | instskip(NEXT) | instid1(VALU_DEP_2)
	v_dual_lshlrev_b32 v2, 24, v2 :: v_dual_lshlrev_b32 v0, 20, v0
	v_lshl_add_u32 v1, v1, 23, 0x3c000000
	s_delay_alu instid0(VALU_DEP_2) | instskip(NEXT) | instid1(VALU_DEP_1)
	v_and_b32_e32 v2, 0x80000000, v2
	v_or3_b32 v75, v0, v2, v1
.LBB357_1552:                           ;   in Loop: Header=BB357_15 Depth=1
	s_or_b32 exec_lo, exec_lo, s18
.LBB357_1553:                           ;   in Loop: Header=BB357_15 Depth=1
	s_delay_alu instid0(SALU_CYCLE_1)
	s_or_b32 exec_lo, exec_lo, s17
.LBB357_1554:                           ;   in Loop: Header=BB357_15 Depth=1
	s_delay_alu instid0(SALU_CYCLE_1)
	s_or_b32 exec_lo, exec_lo, s16
	flat_load_b64 v[0:1], v[102:103] offset:6144
	v_dual_mov_b32 v49, 0 :: v_dual_mov_b32 v48, 0
	s_mov_b32 s16, exec_lo
	s_wait_loadcnt_dscnt 0x0
	v_and_b32_e32 v2, 0xff, v0
	s_wait_xcnt 0x0
	s_delay_alu instid0(VALU_DEP_1)
	v_cmpx_ne_u16_e32 0, v2
	s_cbranch_execz .LBB357_1562
; %bb.1555:                             ;   in Loop: Header=BB357_15 Depth=1
	v_bfrev_b32_e32 v48, 1
	s_mov_b32 s17, exec_lo
	v_cmpx_ne_u16_e32 0x80, v2
	s_cbranch_execz .LBB357_1561
; %bb.1556:                             ;   in Loop: Header=BB357_15 Depth=1
	v_and_b32_e32 v2, 0x7f, v0
	v_mov_b32_e32 v48, 0x7f800001
	s_mov_b32 s18, exec_lo
	s_delay_alu instid0(VALU_DEP_2)
	v_cmpx_ne_u32_e32 0x7f, v2
	s_cbranch_execz .LBB357_1560
; %bb.1557:                             ;   in Loop: Header=BB357_15 Depth=1
	v_lshrrev_b32_e32 v6, 3, v2
	v_cmp_gt_u32_e64 s1, 8, v2
	v_mov_b64_e32 v[2:3], v[0:1]
	s_and_saveexec_b32 s19, s1
; %bb.1558:                             ;   in Loop: Header=BB357_15 Depth=1
	v_and_b32_e32 v2, 7, v0
	s_delay_alu instid0(VALU_DEP_1) | instskip(NEXT) | instid1(VALU_DEP_1)
	v_clz_i32_u32_e32 v2, v2
	v_min_u32_e32 v6, 32, v2
	s_delay_alu instid0(VALU_DEP_1) | instskip(SKIP_1) | instid1(VALU_DEP_2)
	v_subrev_nc_u32_e32 v2, 28, v6
	v_sub_nc_u32_e32 v6, 29, v6
	v_lshlrev_b64_e32 v[2:3], v2, v[0:1]
; %bb.1559:                             ;   in Loop: Header=BB357_15 Depth=1
	s_or_b32 exec_lo, exec_lo, s19
	s_delay_alu instid0(VALU_DEP_1) | instskip(NEXT) | instid1(VALU_DEP_3)
	v_dual_lshlrev_b32 v2, 20, v2 :: v_dual_lshlrev_b32 v3, 24, v0
	v_lshl_add_u32 v6, v6, 23, 0x3c000000
	s_delay_alu instid0(VALU_DEP_2) | instskip(NEXT) | instid1(VALU_DEP_3)
	v_and_b32_e32 v2, 0x700000, v2
	v_and_b32_e32 v3, 0x80000000, v3
	s_delay_alu instid0(VALU_DEP_1)
	v_or3_b32 v48, v2, v3, v6
.LBB357_1560:                           ;   in Loop: Header=BB357_15 Depth=1
	s_or_b32 exec_lo, exec_lo, s18
.LBB357_1561:                           ;   in Loop: Header=BB357_15 Depth=1
	s_delay_alu instid0(SALU_CYCLE_1)
	s_or_b32 exec_lo, exec_lo, s17
.LBB357_1562:                           ;   in Loop: Header=BB357_15 Depth=1
	s_delay_alu instid0(SALU_CYCLE_1) | instskip(SKIP_2) | instid1(VALU_DEP_1)
	s_or_b32 exec_lo, exec_lo, s16
	v_lshrrev_b16 v2, 8, v0
	s_mov_b32 s16, exec_lo
	v_cmpx_ne_u16_e32 0, v2
	s_cbranch_execz .LBB357_1570
; %bb.1563:                             ;   in Loop: Header=BB357_15 Depth=1
	v_bfrev_b32_e32 v49, 1
	s_mov_b32 s17, exec_lo
	v_cmpx_ne_u16_e32 0x80, v2
	s_cbranch_execz .LBB357_1569
; %bb.1564:                             ;   in Loop: Header=BB357_15 Depth=1
	v_and_b32_e32 v2, 0xffff, v2
	v_mov_b32_e32 v49, 0x7f800001
	s_mov_b32 s18, exec_lo
	s_delay_alu instid0(VALU_DEP_2) | instskip(NEXT) | instid1(VALU_DEP_1)
	v_and_b32_e32 v6, 0x7f, v2
	v_cmpx_ne_u32_e32 0x7f, v6
	s_cbranch_execz .LBB357_1568
; %bb.1565:                             ;   in Loop: Header=BB357_15 Depth=1
	v_and_b32_e32 v24, 7, v2
	s_mov_b32 s19, exec_lo
	s_delay_alu instid0(VALU_DEP_1)
	v_mov_b64_e32 v[2:3], v[24:25]
	v_lshrrev_b32_e32 v3, 3, v6
	v_cmpx_gt_u32_e32 8, v6
; %bb.1566:                             ;   in Loop: Header=BB357_15 Depth=1
	v_clz_i32_u32_e32 v2, v24
	s_delay_alu instid0(VALU_DEP_1) | instskip(NEXT) | instid1(VALU_DEP_1)
	v_min_u32_e32 v6, 32, v2
	v_subrev_nc_u32_e32 v2, 28, v6
	s_delay_alu instid0(VALU_DEP_1) | instskip(SKIP_1) | instid1(VALU_DEP_2)
	v_lshlrev_b64_e32 v[2:3], v2, v[24:25]
	v_sub_nc_u32_e32 v3, 29, v6
	v_and_b32_e32 v2, 7, v2
; %bb.1567:                             ;   in Loop: Header=BB357_15 Depth=1
	s_or_b32 exec_lo, exec_lo, s19
	s_delay_alu instid0(VALU_DEP_1) | instskip(NEXT) | instid1(VALU_DEP_3)
	v_dual_lshlrev_b32 v6, 16, v0 :: v_dual_lshlrev_b32 v2, 20, v2
	v_lshl_add_u32 v3, v3, 23, 0x3c000000
	s_delay_alu instid0(VALU_DEP_2) | instskip(NEXT) | instid1(VALU_DEP_1)
	v_and_b32_e32 v6, 0x80000000, v6
	v_or3_b32 v49, v2, v6, v3
.LBB357_1568:                           ;   in Loop: Header=BB357_15 Depth=1
	s_or_b32 exec_lo, exec_lo, s18
.LBB357_1569:                           ;   in Loop: Header=BB357_15 Depth=1
	s_delay_alu instid0(SALU_CYCLE_1)
	s_or_b32 exec_lo, exec_lo, s17
.LBB357_1570:                           ;   in Loop: Header=BB357_15 Depth=1
	s_delay_alu instid0(SALU_CYCLE_1) | instskip(SKIP_3) | instid1(VALU_DEP_2)
	s_or_b32 exec_lo, exec_lo, s16
	v_dual_mov_b32 v77, 0 :: v_dual_lshrrev_b32 v6, 16, v0
	v_mov_b32_e32 v76, 0
	s_mov_b32 s16, exec_lo
	v_and_b32_e32 v2, 0xff, v6
	s_delay_alu instid0(VALU_DEP_1)
	v_cmpx_ne_u16_e32 0, v2
	s_cbranch_execz .LBB357_1578
; %bb.1571:                             ;   in Loop: Header=BB357_15 Depth=1
	v_bfrev_b32_e32 v76, 1
	s_mov_b32 s17, exec_lo
	v_cmpx_ne_u16_e32 0x80, v2
	s_cbranch_execz .LBB357_1577
; %bb.1572:                             ;   in Loop: Header=BB357_15 Depth=1
	v_bfe_u32 v7, v0, 16, 7
	v_mov_b32_e32 v76, 0x7f800001
	s_mov_b32 s18, exec_lo
	s_delay_alu instid0(VALU_DEP_2)
	v_cmpx_ne_u32_e32 0x7f, v7
	s_cbranch_execz .LBB357_1576
; %bb.1573:                             ;   in Loop: Header=BB357_15 Depth=1
	v_and_b32_e32 v24, 7, v6
	s_mov_b32 s19, exec_lo
	s_delay_alu instid0(VALU_DEP_1)
	v_mov_b64_e32 v[2:3], v[24:25]
	v_lshrrev_b32_e32 v3, 3, v7
	v_cmpx_gt_u32_e32 8, v7
; %bb.1574:                             ;   in Loop: Header=BB357_15 Depth=1
	v_clz_i32_u32_e32 v2, v24
	s_delay_alu instid0(VALU_DEP_1) | instskip(NEXT) | instid1(VALU_DEP_1)
	v_min_u32_e32 v7, 32, v2
	v_subrev_nc_u32_e32 v2, 28, v7
	s_delay_alu instid0(VALU_DEP_1) | instskip(NEXT) | instid1(VALU_DEP_1)
	v_lshlrev_b64_e32 v[2:3], v2, v[24:25]
	v_dual_sub_nc_u32 v3, 29, v7 :: v_dual_bitop2_b32 v2, 7, v2 bitop3:0x40
; %bb.1575:                             ;   in Loop: Header=BB357_15 Depth=1
	s_or_b32 exec_lo, exec_lo, s19
	v_lshlrev_b32_e32 v6, 24, v6
	s_delay_alu instid0(VALU_DEP_2) | instskip(NEXT) | instid1(VALU_DEP_3)
	v_lshlrev_b32_e32 v2, 20, v2
	v_lshl_add_u32 v3, v3, 23, 0x3c000000
	s_delay_alu instid0(VALU_DEP_3) | instskip(NEXT) | instid1(VALU_DEP_1)
	v_and_b32_e32 v6, 0x80000000, v6
	v_or3_b32 v76, v2, v6, v3
.LBB357_1576:                           ;   in Loop: Header=BB357_15 Depth=1
	s_or_b32 exec_lo, exec_lo, s18
.LBB357_1577:                           ;   in Loop: Header=BB357_15 Depth=1
	s_delay_alu instid0(SALU_CYCLE_1)
	s_or_b32 exec_lo, exec_lo, s17
.LBB357_1578:                           ;   in Loop: Header=BB357_15 Depth=1
	s_delay_alu instid0(SALU_CYCLE_1) | instskip(NEXT) | instid1(SALU_CYCLE_1)
	s_or_b32 exec_lo, exec_lo, s16
	s_mov_b32 s16, exec_lo
	v_cmpx_lt_u32_e32 0xffffff, v0
	s_cbranch_execz .LBB357_1586
; %bb.1579:                             ;   in Loop: Header=BB357_15 Depth=1
	v_lshrrev_b32_e32 v6, 24, v0
	v_bfrev_b32_e32 v77, 1
	s_mov_b32 s17, exec_lo
	s_delay_alu instid0(VALU_DEP_2)
	v_cmpx_ne_u32_e32 0x80, v6
	s_cbranch_execz .LBB357_1585
; %bb.1580:                             ;   in Loop: Header=BB357_15 Depth=1
	v_bfe_u32 v7, v0, 24, 7
	v_mov_b32_e32 v77, 0x7f800001
	s_mov_b32 s18, exec_lo
	s_delay_alu instid0(VALU_DEP_2)
	v_cmpx_ne_u32_e32 0x7f, v7
	s_cbranch_execz .LBB357_1584
; %bb.1581:                             ;   in Loop: Header=BB357_15 Depth=1
	v_and_b32_e32 v24, 7, v6
	s_mov_b32 s19, exec_lo
	s_delay_alu instid0(VALU_DEP_1)
	v_mov_b64_e32 v[2:3], v[24:25]
	v_lshrrev_b32_e32 v3, 3, v7
	v_cmpx_gt_u32_e32 8, v7
; %bb.1582:                             ;   in Loop: Header=BB357_15 Depth=1
	v_clz_i32_u32_e32 v2, v24
	s_delay_alu instid0(VALU_DEP_1) | instskip(NEXT) | instid1(VALU_DEP_1)
	v_min_u32_e32 v7, 32, v2
	v_subrev_nc_u32_e32 v2, 28, v7
	s_delay_alu instid0(VALU_DEP_1) | instskip(NEXT) | instid1(VALU_DEP_1)
	v_lshlrev_b64_e32 v[2:3], v2, v[24:25]
	v_dual_sub_nc_u32 v3, 29, v7 :: v_dual_bitop2_b32 v2, 7, v2 bitop3:0x40
; %bb.1583:                             ;   in Loop: Header=BB357_15 Depth=1
	s_or_b32 exec_lo, exec_lo, s19
	v_lshlrev_b32_e32 v6, 24, v6
	s_delay_alu instid0(VALU_DEP_2) | instskip(NEXT) | instid1(VALU_DEP_3)
	v_lshlrev_b32_e32 v2, 20, v2
	v_lshl_add_u32 v3, v3, 23, 0x3c000000
	s_delay_alu instid0(VALU_DEP_3) | instskip(NEXT) | instid1(VALU_DEP_1)
	v_and_b32_e32 v6, 0x80000000, v6
	v_or3_b32 v77, v2, v6, v3
.LBB357_1584:                           ;   in Loop: Header=BB357_15 Depth=1
	s_or_b32 exec_lo, exec_lo, s18
.LBB357_1585:                           ;   in Loop: Header=BB357_15 Depth=1
	s_delay_alu instid0(SALU_CYCLE_1)
	s_or_b32 exec_lo, exec_lo, s17
.LBB357_1586:                           ;   in Loop: Header=BB357_15 Depth=1
	s_delay_alu instid0(SALU_CYCLE_1) | instskip(SKIP_4) | instid1(VALU_DEP_3)
	s_or_b32 exec_lo, exec_lo, s16
	v_and_b32_e32 v2, 0xff, v1
	v_dual_mov_b32 v24, v1 :: v_dual_mov_b32 v35, 0
	v_mov_b32_e32 v34, 0
	s_mov_b32 s16, exec_lo
	v_cmpx_ne_u16_e32 0, v2
	s_cbranch_execz .LBB357_1594
; %bb.1587:                             ;   in Loop: Header=BB357_15 Depth=1
	v_bfrev_b32_e32 v34, 1
	s_mov_b32 s17, exec_lo
	v_cmpx_ne_u16_e32 0x80, v2
	s_cbranch_execz .LBB357_1593
; %bb.1588:                             ;   in Loop: Header=BB357_15 Depth=1
	v_and_b32_e32 v6, 0x7f, v1
	v_mov_b32_e32 v34, 0x7f800001
	s_mov_b32 s18, exec_lo
	s_delay_alu instid0(VALU_DEP_2)
	v_cmpx_ne_u32_e32 0x7f, v6
	s_cbranch_execz .LBB357_1592
; %bb.1589:                             ;   in Loop: Header=BB357_15 Depth=1
	v_mov_b64_e32 v[2:3], v[24:25]
	v_lshrrev_b32_e32 v3, 3, v6
	s_mov_b32 s19, exec_lo
	v_cmpx_gt_u32_e32 8, v6
; %bb.1590:                             ;   in Loop: Header=BB357_15 Depth=1
	v_and_b32_e32 v2, 7, v1
	s_delay_alu instid0(VALU_DEP_1) | instskip(NEXT) | instid1(VALU_DEP_1)
	v_clz_i32_u32_e32 v2, v2
	v_min_u32_e32 v6, 32, v2
	s_delay_alu instid0(VALU_DEP_1) | instskip(NEXT) | instid1(VALU_DEP_1)
	v_subrev_nc_u32_e32 v2, 28, v6
	v_lshlrev_b64_e32 v[2:3], v2, v[24:25]
	v_sub_nc_u32_e32 v3, 29, v6
; %bb.1591:                             ;   in Loop: Header=BB357_15 Depth=1
	s_or_b32 exec_lo, exec_lo, s19
	s_delay_alu instid0(VALU_DEP_2) | instskip(NEXT) | instid1(VALU_DEP_2)
	v_dual_lshlrev_b32 v2, 20, v2 :: v_dual_lshlrev_b32 v6, 24, v24
	v_lshl_add_u32 v3, v3, 23, 0x3c000000
	s_delay_alu instid0(VALU_DEP_2) | instskip(NEXT) | instid1(VALU_DEP_3)
	v_and_b32_e32 v2, 0x700000, v2
	v_and_b32_e32 v6, 0x80000000, v6
	s_delay_alu instid0(VALU_DEP_1)
	v_or3_b32 v34, v2, v6, v3
.LBB357_1592:                           ;   in Loop: Header=BB357_15 Depth=1
	s_or_b32 exec_lo, exec_lo, s18
.LBB357_1593:                           ;   in Loop: Header=BB357_15 Depth=1
	s_delay_alu instid0(SALU_CYCLE_1)
	s_or_b32 exec_lo, exec_lo, s17
.LBB357_1594:                           ;   in Loop: Header=BB357_15 Depth=1
	s_delay_alu instid0(SALU_CYCLE_1) | instskip(SKIP_2) | instid1(VALU_DEP_1)
	s_or_b32 exec_lo, exec_lo, s16
	v_lshrrev_b16 v2, 8, v24
	s_mov_b32 s16, exec_lo
	v_cmpx_ne_u16_e32 0, v2
	s_cbranch_execz .LBB357_1602
; %bb.1595:                             ;   in Loop: Header=BB357_15 Depth=1
	v_bfrev_b32_e32 v35, 1
	s_mov_b32 s17, exec_lo
	v_cmpx_ne_u16_e32 0x80, v2
	s_cbranch_execz .LBB357_1601
; %bb.1596:                             ;   in Loop: Header=BB357_15 Depth=1
	v_and_b32_e32 v2, 0xffff, v2
	v_mov_b32_e32 v35, 0x7f800001
	s_mov_b32 s18, exec_lo
	s_delay_alu instid0(VALU_DEP_2) | instskip(NEXT) | instid1(VALU_DEP_1)
	v_and_b32_e32 v7, 0x7f, v2
	v_cmpx_ne_u32_e32 0x7f, v7
	s_cbranch_execz .LBB357_1600
; %bb.1597:                             ;   in Loop: Header=BB357_15 Depth=1
	v_dual_mov_b32 v3, v25 :: v_dual_bitop2_b32 v2, 7, v2 bitop3:0x40
	v_lshrrev_b32_e32 v6, 3, v7
	s_mov_b32 s19, exec_lo
	v_cmpx_gt_u32_e32 8, v7
; %bb.1598:                             ;   in Loop: Header=BB357_15 Depth=1
	s_delay_alu instid0(VALU_DEP_3) | instskip(NEXT) | instid1(VALU_DEP_1)
	v_clz_i32_u32_e32 v6, v2
	v_min_u32_e32 v6, 32, v6
	s_delay_alu instid0(VALU_DEP_1) | instskip(SKIP_1) | instid1(VALU_DEP_2)
	v_subrev_nc_u32_e32 v7, 28, v6
	v_sub_nc_u32_e32 v6, 29, v6
	v_lshlrev_b64_e32 v[2:3], v7, v[2:3]
	s_delay_alu instid0(VALU_DEP_1)
	v_and_b32_e32 v2, 7, v2
; %bb.1599:                             ;   in Loop: Header=BB357_15 Depth=1
	s_or_b32 exec_lo, exec_lo, s19
	s_delay_alu instid0(VALU_DEP_1) | instskip(SKIP_1) | instid1(VALU_DEP_2)
	v_dual_lshlrev_b32 v3, 16, v24 :: v_dual_lshlrev_b32 v2, 20, v2
	v_lshl_add_u32 v6, v6, 23, 0x3c000000
	v_and_b32_e32 v3, 0x80000000, v3
	s_delay_alu instid0(VALU_DEP_1)
	v_or3_b32 v35, v2, v3, v6
.LBB357_1600:                           ;   in Loop: Header=BB357_15 Depth=1
	s_or_b32 exec_lo, exec_lo, s18
.LBB357_1601:                           ;   in Loop: Header=BB357_15 Depth=1
	s_delay_alu instid0(SALU_CYCLE_1)
	s_or_b32 exec_lo, exec_lo, s17
.LBB357_1602:                           ;   in Loop: Header=BB357_15 Depth=1
	s_delay_alu instid0(SALU_CYCLE_1) | instskip(SKIP_3) | instid1(VALU_DEP_2)
	s_or_b32 exec_lo, exec_lo, s16
	v_dual_mov_b32 v89, 0 :: v_dual_lshrrev_b32 v6, 16, v1
	v_mov_b32_e32 v88, 0
	s_mov_b32 s16, exec_lo
	v_and_b32_e32 v2, 0xff, v6
	s_delay_alu instid0(VALU_DEP_1)
	v_cmpx_ne_u16_e32 0, v2
	s_cbranch_execz .LBB357_1610
; %bb.1603:                             ;   in Loop: Header=BB357_15 Depth=1
	v_bfrev_b32_e32 v88, 1
	s_mov_b32 s17, exec_lo
	v_cmpx_ne_u16_e32 0x80, v2
	s_cbranch_execz .LBB357_1609
; %bb.1604:                             ;   in Loop: Header=BB357_15 Depth=1
	v_bfe_u32 v7, v1, 16, 7
	v_mov_b32_e32 v88, 0x7f800001
	s_mov_b32 s18, exec_lo
	s_delay_alu instid0(VALU_DEP_2)
	v_cmpx_ne_u32_e32 0x7f, v7
	s_cbranch_execz .LBB357_1608
; %bb.1605:                             ;   in Loop: Header=BB357_15 Depth=1
	v_and_b32_e32 v24, 7, v6
	s_mov_b32 s19, exec_lo
	s_delay_alu instid0(VALU_DEP_1)
	v_mov_b64_e32 v[2:3], v[24:25]
	v_lshrrev_b32_e32 v3, 3, v7
	v_cmpx_gt_u32_e32 8, v7
; %bb.1606:                             ;   in Loop: Header=BB357_15 Depth=1
	v_clz_i32_u32_e32 v2, v24
	s_delay_alu instid0(VALU_DEP_1) | instskip(NEXT) | instid1(VALU_DEP_1)
	v_min_u32_e32 v7, 32, v2
	v_subrev_nc_u32_e32 v2, 28, v7
	s_delay_alu instid0(VALU_DEP_1) | instskip(NEXT) | instid1(VALU_DEP_1)
	v_lshlrev_b64_e32 v[2:3], v2, v[24:25]
	v_dual_sub_nc_u32 v3, 29, v7 :: v_dual_bitop2_b32 v2, 7, v2 bitop3:0x40
; %bb.1607:                             ;   in Loop: Header=BB357_15 Depth=1
	s_or_b32 exec_lo, exec_lo, s19
	v_lshlrev_b32_e32 v6, 24, v6
	s_delay_alu instid0(VALU_DEP_2) | instskip(NEXT) | instid1(VALU_DEP_3)
	v_lshlrev_b32_e32 v2, 20, v2
	v_lshl_add_u32 v3, v3, 23, 0x3c000000
	s_delay_alu instid0(VALU_DEP_3) | instskip(NEXT) | instid1(VALU_DEP_1)
	v_and_b32_e32 v6, 0x80000000, v6
	v_or3_b32 v88, v2, v6, v3
.LBB357_1608:                           ;   in Loop: Header=BB357_15 Depth=1
	s_or_b32 exec_lo, exec_lo, s18
.LBB357_1609:                           ;   in Loop: Header=BB357_15 Depth=1
	s_delay_alu instid0(SALU_CYCLE_1)
	s_or_b32 exec_lo, exec_lo, s17
.LBB357_1610:                           ;   in Loop: Header=BB357_15 Depth=1
	s_delay_alu instid0(SALU_CYCLE_1) | instskip(NEXT) | instid1(SALU_CYCLE_1)
	s_or_b32 exec_lo, exec_lo, s16
	s_mov_b32 s16, exec_lo
	v_cmpx_lt_u64_e64 s[8:9], v[0:1]
	s_cbranch_execz .LBB357_1618
; %bb.1611:                             ;   in Loop: Header=BB357_15 Depth=1
	v_lshrrev_b32_e32 v2, 24, v1
	v_bfrev_b32_e32 v89, 1
	s_mov_b32 s17, exec_lo
	s_delay_alu instid0(VALU_DEP_2)
	v_cmpx_ne_u32_e32 0x80, v2
	s_cbranch_execz .LBB357_1617
; %bb.1612:                             ;   in Loop: Header=BB357_15 Depth=1
	v_bfe_u32 v3, v1, 24, 7
	v_mov_b32_e32 v89, 0x7f800001
	s_mov_b32 s18, exec_lo
	s_delay_alu instid0(VALU_DEP_2)
	v_cmpx_ne_u32_e32 0x7f, v3
	s_cbranch_execz .LBB357_1616
; %bb.1613:                             ;   in Loop: Header=BB357_15 Depth=1
	v_and_b32_e32 v24, 7, v2
	s_mov_b32 s19, exec_lo
	s_delay_alu instid0(VALU_DEP_1)
	v_mov_b64_e32 v[0:1], v[24:25]
	v_lshrrev_b32_e32 v1, 3, v3
	v_cmpx_gt_u32_e32 8, v3
; %bb.1614:                             ;   in Loop: Header=BB357_15 Depth=1
	v_clz_i32_u32_e32 v0, v24
	s_delay_alu instid0(VALU_DEP_1) | instskip(NEXT) | instid1(VALU_DEP_1)
	v_min_u32_e32 v3, 32, v0
	v_subrev_nc_u32_e32 v0, 28, v3
	s_delay_alu instid0(VALU_DEP_1) | instskip(NEXT) | instid1(VALU_DEP_1)
	v_lshlrev_b64_e32 v[0:1], v0, v[24:25]
	v_dual_sub_nc_u32 v1, 29, v3 :: v_dual_bitop2_b32 v0, 7, v0 bitop3:0x40
; %bb.1615:                             ;   in Loop: Header=BB357_15 Depth=1
	s_or_b32 exec_lo, exec_lo, s19
	s_delay_alu instid0(VALU_DEP_1) | instskip(NEXT) | instid1(VALU_DEP_2)
	v_dual_lshlrev_b32 v2, 24, v2 :: v_dual_lshlrev_b32 v0, 20, v0
	v_lshl_add_u32 v1, v1, 23, 0x3c000000
	s_delay_alu instid0(VALU_DEP_2) | instskip(NEXT) | instid1(VALU_DEP_1)
	v_and_b32_e32 v2, 0x80000000, v2
	v_or3_b32 v89, v0, v2, v1
.LBB357_1616:                           ;   in Loop: Header=BB357_15 Depth=1
	s_or_b32 exec_lo, exec_lo, s18
.LBB357_1617:                           ;   in Loop: Header=BB357_15 Depth=1
	s_delay_alu instid0(SALU_CYCLE_1)
	s_or_b32 exec_lo, exec_lo, s17
.LBB357_1618:                           ;   in Loop: Header=BB357_15 Depth=1
	s_delay_alu instid0(SALU_CYCLE_1)
	s_or_b32 exec_lo, exec_lo, s16
	flat_load_b64 v[0:1], v[102:103] offset:6152
	v_dual_mov_b32 v91, 0 :: v_dual_mov_b32 v90, 0
	s_mov_b32 s16, exec_lo
	s_wait_loadcnt_dscnt 0x0
	v_and_b32_e32 v2, 0xff, v0
	s_wait_xcnt 0x0
	s_delay_alu instid0(VALU_DEP_1)
	v_cmpx_ne_u16_e32 0, v2
	s_cbranch_execz .LBB357_1626
; %bb.1619:                             ;   in Loop: Header=BB357_15 Depth=1
	v_bfrev_b32_e32 v90, 1
	s_mov_b32 s17, exec_lo
	v_cmpx_ne_u16_e32 0x80, v2
	s_cbranch_execz .LBB357_1625
; %bb.1620:                             ;   in Loop: Header=BB357_15 Depth=1
	v_and_b32_e32 v2, 0x7f, v0
	v_mov_b32_e32 v90, 0x7f800001
	s_mov_b32 s18, exec_lo
	s_delay_alu instid0(VALU_DEP_2)
	v_cmpx_ne_u32_e32 0x7f, v2
	s_cbranch_execz .LBB357_1624
; %bb.1621:                             ;   in Loop: Header=BB357_15 Depth=1
	v_lshrrev_b32_e32 v6, 3, v2
	v_cmp_gt_u32_e64 s1, 8, v2
	v_mov_b64_e32 v[2:3], v[0:1]
	s_and_saveexec_b32 s19, s1
; %bb.1622:                             ;   in Loop: Header=BB357_15 Depth=1
	v_and_b32_e32 v2, 7, v0
	s_delay_alu instid0(VALU_DEP_1) | instskip(NEXT) | instid1(VALU_DEP_1)
	v_clz_i32_u32_e32 v2, v2
	v_min_u32_e32 v6, 32, v2
	s_delay_alu instid0(VALU_DEP_1) | instskip(SKIP_1) | instid1(VALU_DEP_2)
	v_subrev_nc_u32_e32 v2, 28, v6
	v_sub_nc_u32_e32 v6, 29, v6
	v_lshlrev_b64_e32 v[2:3], v2, v[0:1]
; %bb.1623:                             ;   in Loop: Header=BB357_15 Depth=1
	s_or_b32 exec_lo, exec_lo, s19
	s_delay_alu instid0(VALU_DEP_1) | instskip(NEXT) | instid1(VALU_DEP_3)
	v_dual_lshlrev_b32 v2, 20, v2 :: v_dual_lshlrev_b32 v3, 24, v0
	v_lshl_add_u32 v6, v6, 23, 0x3c000000
	s_delay_alu instid0(VALU_DEP_2) | instskip(NEXT) | instid1(VALU_DEP_3)
	v_and_b32_e32 v2, 0x700000, v2
	v_and_b32_e32 v3, 0x80000000, v3
	s_delay_alu instid0(VALU_DEP_1)
	v_or3_b32 v90, v2, v3, v6
.LBB357_1624:                           ;   in Loop: Header=BB357_15 Depth=1
	s_or_b32 exec_lo, exec_lo, s18
.LBB357_1625:                           ;   in Loop: Header=BB357_15 Depth=1
	s_delay_alu instid0(SALU_CYCLE_1)
	s_or_b32 exec_lo, exec_lo, s17
.LBB357_1626:                           ;   in Loop: Header=BB357_15 Depth=1
	s_delay_alu instid0(SALU_CYCLE_1) | instskip(SKIP_2) | instid1(VALU_DEP_1)
	s_or_b32 exec_lo, exec_lo, s16
	v_lshrrev_b16 v2, 8, v0
	s_mov_b32 s16, exec_lo
	v_cmpx_ne_u16_e32 0, v2
	s_cbranch_execz .LBB357_1634
; %bb.1627:                             ;   in Loop: Header=BB357_15 Depth=1
	v_bfrev_b32_e32 v91, 1
	s_mov_b32 s17, exec_lo
	v_cmpx_ne_u16_e32 0x80, v2
	s_cbranch_execz .LBB357_1633
; %bb.1628:                             ;   in Loop: Header=BB357_15 Depth=1
	v_and_b32_e32 v2, 0xffff, v2
	v_mov_b32_e32 v91, 0x7f800001
	s_mov_b32 s18, exec_lo
	s_delay_alu instid0(VALU_DEP_2) | instskip(NEXT) | instid1(VALU_DEP_1)
	v_and_b32_e32 v6, 0x7f, v2
	v_cmpx_ne_u32_e32 0x7f, v6
	s_cbranch_execz .LBB357_1632
; %bb.1629:                             ;   in Loop: Header=BB357_15 Depth=1
	v_and_b32_e32 v24, 7, v2
	s_mov_b32 s19, exec_lo
	s_delay_alu instid0(VALU_DEP_1)
	v_mov_b64_e32 v[2:3], v[24:25]
	v_lshrrev_b32_e32 v3, 3, v6
	v_cmpx_gt_u32_e32 8, v6
; %bb.1630:                             ;   in Loop: Header=BB357_15 Depth=1
	v_clz_i32_u32_e32 v2, v24
	s_delay_alu instid0(VALU_DEP_1) | instskip(NEXT) | instid1(VALU_DEP_1)
	v_min_u32_e32 v6, 32, v2
	v_subrev_nc_u32_e32 v2, 28, v6
	s_delay_alu instid0(VALU_DEP_1) | instskip(SKIP_1) | instid1(VALU_DEP_2)
	v_lshlrev_b64_e32 v[2:3], v2, v[24:25]
	v_sub_nc_u32_e32 v3, 29, v6
	v_and_b32_e32 v2, 7, v2
; %bb.1631:                             ;   in Loop: Header=BB357_15 Depth=1
	s_or_b32 exec_lo, exec_lo, s19
	s_delay_alu instid0(VALU_DEP_1) | instskip(NEXT) | instid1(VALU_DEP_3)
	v_dual_lshlrev_b32 v6, 16, v0 :: v_dual_lshlrev_b32 v2, 20, v2
	v_lshl_add_u32 v3, v3, 23, 0x3c000000
	s_delay_alu instid0(VALU_DEP_2) | instskip(NEXT) | instid1(VALU_DEP_1)
	v_and_b32_e32 v6, 0x80000000, v6
	v_or3_b32 v91, v2, v6, v3
.LBB357_1632:                           ;   in Loop: Header=BB357_15 Depth=1
	s_or_b32 exec_lo, exec_lo, s18
.LBB357_1633:                           ;   in Loop: Header=BB357_15 Depth=1
	s_delay_alu instid0(SALU_CYCLE_1)
	s_or_b32 exec_lo, exec_lo, s17
.LBB357_1634:                           ;   in Loop: Header=BB357_15 Depth=1
	s_delay_alu instid0(SALU_CYCLE_1) | instskip(SKIP_3) | instid1(VALU_DEP_2)
	s_or_b32 exec_lo, exec_lo, s16
	v_dual_mov_b32 v93, 0 :: v_dual_lshrrev_b32 v6, 16, v0
	v_mov_b32_e32 v92, 0
	s_mov_b32 s16, exec_lo
	v_and_b32_e32 v2, 0xff, v6
	s_delay_alu instid0(VALU_DEP_1)
	v_cmpx_ne_u16_e32 0, v2
	s_cbranch_execz .LBB357_1642
; %bb.1635:                             ;   in Loop: Header=BB357_15 Depth=1
	v_bfrev_b32_e32 v92, 1
	s_mov_b32 s17, exec_lo
	v_cmpx_ne_u16_e32 0x80, v2
	s_cbranch_execz .LBB357_1641
; %bb.1636:                             ;   in Loop: Header=BB357_15 Depth=1
	v_bfe_u32 v7, v0, 16, 7
	v_mov_b32_e32 v92, 0x7f800001
	s_mov_b32 s18, exec_lo
	s_delay_alu instid0(VALU_DEP_2)
	v_cmpx_ne_u32_e32 0x7f, v7
	s_cbranch_execz .LBB357_1640
; %bb.1637:                             ;   in Loop: Header=BB357_15 Depth=1
	v_and_b32_e32 v24, 7, v6
	s_mov_b32 s19, exec_lo
	s_delay_alu instid0(VALU_DEP_1)
	v_mov_b64_e32 v[2:3], v[24:25]
	v_lshrrev_b32_e32 v3, 3, v7
	v_cmpx_gt_u32_e32 8, v7
; %bb.1638:                             ;   in Loop: Header=BB357_15 Depth=1
	v_clz_i32_u32_e32 v2, v24
	s_delay_alu instid0(VALU_DEP_1) | instskip(NEXT) | instid1(VALU_DEP_1)
	v_min_u32_e32 v7, 32, v2
	v_subrev_nc_u32_e32 v2, 28, v7
	s_delay_alu instid0(VALU_DEP_1) | instskip(NEXT) | instid1(VALU_DEP_1)
	v_lshlrev_b64_e32 v[2:3], v2, v[24:25]
	v_dual_sub_nc_u32 v3, 29, v7 :: v_dual_bitop2_b32 v2, 7, v2 bitop3:0x40
; %bb.1639:                             ;   in Loop: Header=BB357_15 Depth=1
	s_or_b32 exec_lo, exec_lo, s19
	v_lshlrev_b32_e32 v6, 24, v6
	s_delay_alu instid0(VALU_DEP_2) | instskip(NEXT) | instid1(VALU_DEP_3)
	v_lshlrev_b32_e32 v2, 20, v2
	v_lshl_add_u32 v3, v3, 23, 0x3c000000
	s_delay_alu instid0(VALU_DEP_3) | instskip(NEXT) | instid1(VALU_DEP_1)
	v_and_b32_e32 v6, 0x80000000, v6
	v_or3_b32 v92, v2, v6, v3
.LBB357_1640:                           ;   in Loop: Header=BB357_15 Depth=1
	s_or_b32 exec_lo, exec_lo, s18
.LBB357_1641:                           ;   in Loop: Header=BB357_15 Depth=1
	s_delay_alu instid0(SALU_CYCLE_1)
	s_or_b32 exec_lo, exec_lo, s17
.LBB357_1642:                           ;   in Loop: Header=BB357_15 Depth=1
	s_delay_alu instid0(SALU_CYCLE_1) | instskip(NEXT) | instid1(SALU_CYCLE_1)
	s_or_b32 exec_lo, exec_lo, s16
	s_mov_b32 s16, exec_lo
	v_cmpx_lt_u32_e32 0xffffff, v0
	s_cbranch_execz .LBB357_1650
; %bb.1643:                             ;   in Loop: Header=BB357_15 Depth=1
	v_lshrrev_b32_e32 v6, 24, v0
	v_bfrev_b32_e32 v93, 1
	s_mov_b32 s17, exec_lo
	s_delay_alu instid0(VALU_DEP_2)
	v_cmpx_ne_u32_e32 0x80, v6
	s_cbranch_execz .LBB357_1649
; %bb.1644:                             ;   in Loop: Header=BB357_15 Depth=1
	v_bfe_u32 v7, v0, 24, 7
	v_mov_b32_e32 v93, 0x7f800001
	s_mov_b32 s18, exec_lo
	s_delay_alu instid0(VALU_DEP_2)
	v_cmpx_ne_u32_e32 0x7f, v7
	s_cbranch_execz .LBB357_1648
; %bb.1645:                             ;   in Loop: Header=BB357_15 Depth=1
	v_and_b32_e32 v24, 7, v6
	s_mov_b32 s19, exec_lo
	s_delay_alu instid0(VALU_DEP_1)
	v_mov_b64_e32 v[2:3], v[24:25]
	v_lshrrev_b32_e32 v3, 3, v7
	v_cmpx_gt_u32_e32 8, v7
; %bb.1646:                             ;   in Loop: Header=BB357_15 Depth=1
	v_clz_i32_u32_e32 v2, v24
	s_delay_alu instid0(VALU_DEP_1) | instskip(NEXT) | instid1(VALU_DEP_1)
	v_min_u32_e32 v7, 32, v2
	v_subrev_nc_u32_e32 v2, 28, v7
	s_delay_alu instid0(VALU_DEP_1) | instskip(NEXT) | instid1(VALU_DEP_1)
	v_lshlrev_b64_e32 v[2:3], v2, v[24:25]
	v_dual_sub_nc_u32 v3, 29, v7 :: v_dual_bitop2_b32 v2, 7, v2 bitop3:0x40
; %bb.1647:                             ;   in Loop: Header=BB357_15 Depth=1
	s_or_b32 exec_lo, exec_lo, s19
	v_lshlrev_b32_e32 v6, 24, v6
	s_delay_alu instid0(VALU_DEP_2) | instskip(NEXT) | instid1(VALU_DEP_3)
	v_lshlrev_b32_e32 v2, 20, v2
	v_lshl_add_u32 v3, v3, 23, 0x3c000000
	s_delay_alu instid0(VALU_DEP_3) | instskip(NEXT) | instid1(VALU_DEP_1)
	v_and_b32_e32 v6, 0x80000000, v6
	v_or3_b32 v93, v2, v6, v3
.LBB357_1648:                           ;   in Loop: Header=BB357_15 Depth=1
	s_or_b32 exec_lo, exec_lo, s18
.LBB357_1649:                           ;   in Loop: Header=BB357_15 Depth=1
	s_delay_alu instid0(SALU_CYCLE_1)
	s_or_b32 exec_lo, exec_lo, s17
.LBB357_1650:                           ;   in Loop: Header=BB357_15 Depth=1
	s_delay_alu instid0(SALU_CYCLE_1) | instskip(SKIP_4) | instid1(VALU_DEP_3)
	s_or_b32 exec_lo, exec_lo, s16
	v_and_b32_e32 v2, 0xff, v1
	v_dual_mov_b32 v24, v1 :: v_dual_mov_b32 v95, 0
	v_mov_b32_e32 v94, 0
	s_mov_b32 s16, exec_lo
	v_cmpx_ne_u16_e32 0, v2
	s_cbranch_execz .LBB357_1658
; %bb.1651:                             ;   in Loop: Header=BB357_15 Depth=1
	v_bfrev_b32_e32 v94, 1
	s_mov_b32 s17, exec_lo
	v_cmpx_ne_u16_e32 0x80, v2
	s_cbranch_execz .LBB357_1657
; %bb.1652:                             ;   in Loop: Header=BB357_15 Depth=1
	v_and_b32_e32 v6, 0x7f, v1
	v_mov_b32_e32 v94, 0x7f800001
	s_mov_b32 s18, exec_lo
	s_delay_alu instid0(VALU_DEP_2)
	v_cmpx_ne_u32_e32 0x7f, v6
	s_cbranch_execz .LBB357_1656
; %bb.1653:                             ;   in Loop: Header=BB357_15 Depth=1
	v_mov_b64_e32 v[2:3], v[24:25]
	v_lshrrev_b32_e32 v3, 3, v6
	s_mov_b32 s19, exec_lo
	v_cmpx_gt_u32_e32 8, v6
; %bb.1654:                             ;   in Loop: Header=BB357_15 Depth=1
	v_and_b32_e32 v2, 7, v1
	s_delay_alu instid0(VALU_DEP_1) | instskip(NEXT) | instid1(VALU_DEP_1)
	v_clz_i32_u32_e32 v2, v2
	v_min_u32_e32 v6, 32, v2
	s_delay_alu instid0(VALU_DEP_1) | instskip(NEXT) | instid1(VALU_DEP_1)
	v_subrev_nc_u32_e32 v2, 28, v6
	v_lshlrev_b64_e32 v[2:3], v2, v[24:25]
	v_sub_nc_u32_e32 v3, 29, v6
; %bb.1655:                             ;   in Loop: Header=BB357_15 Depth=1
	s_or_b32 exec_lo, exec_lo, s19
	s_delay_alu instid0(VALU_DEP_2) | instskip(NEXT) | instid1(VALU_DEP_2)
	v_dual_lshlrev_b32 v2, 20, v2 :: v_dual_lshlrev_b32 v6, 24, v24
	v_lshl_add_u32 v3, v3, 23, 0x3c000000
	s_delay_alu instid0(VALU_DEP_2) | instskip(NEXT) | instid1(VALU_DEP_3)
	v_and_b32_e32 v2, 0x700000, v2
	v_and_b32_e32 v6, 0x80000000, v6
	s_delay_alu instid0(VALU_DEP_1)
	v_or3_b32 v94, v2, v6, v3
.LBB357_1656:                           ;   in Loop: Header=BB357_15 Depth=1
	s_or_b32 exec_lo, exec_lo, s18
.LBB357_1657:                           ;   in Loop: Header=BB357_15 Depth=1
	s_delay_alu instid0(SALU_CYCLE_1)
	s_or_b32 exec_lo, exec_lo, s17
.LBB357_1658:                           ;   in Loop: Header=BB357_15 Depth=1
	s_delay_alu instid0(SALU_CYCLE_1) | instskip(SKIP_2) | instid1(VALU_DEP_1)
	s_or_b32 exec_lo, exec_lo, s16
	v_lshrrev_b16 v2, 8, v24
	s_mov_b32 s16, exec_lo
	v_cmpx_ne_u16_e32 0, v2
	s_cbranch_execz .LBB357_1666
; %bb.1659:                             ;   in Loop: Header=BB357_15 Depth=1
	v_bfrev_b32_e32 v95, 1
	s_mov_b32 s17, exec_lo
	v_cmpx_ne_u16_e32 0x80, v2
	s_cbranch_execz .LBB357_1665
; %bb.1660:                             ;   in Loop: Header=BB357_15 Depth=1
	v_and_b32_e32 v2, 0xffff, v2
	v_mov_b32_e32 v95, 0x7f800001
	s_mov_b32 s18, exec_lo
	s_delay_alu instid0(VALU_DEP_2) | instskip(NEXT) | instid1(VALU_DEP_1)
	v_and_b32_e32 v7, 0x7f, v2
	v_cmpx_ne_u32_e32 0x7f, v7
	s_cbranch_execz .LBB357_1664
; %bb.1661:                             ;   in Loop: Header=BB357_15 Depth=1
	v_dual_mov_b32 v3, v25 :: v_dual_bitop2_b32 v2, 7, v2 bitop3:0x40
	v_lshrrev_b32_e32 v6, 3, v7
	s_mov_b32 s19, exec_lo
	v_cmpx_gt_u32_e32 8, v7
; %bb.1662:                             ;   in Loop: Header=BB357_15 Depth=1
	s_delay_alu instid0(VALU_DEP_3) | instskip(NEXT) | instid1(VALU_DEP_1)
	v_clz_i32_u32_e32 v6, v2
	v_min_u32_e32 v6, 32, v6
	s_delay_alu instid0(VALU_DEP_1) | instskip(SKIP_1) | instid1(VALU_DEP_2)
	v_subrev_nc_u32_e32 v7, 28, v6
	v_sub_nc_u32_e32 v6, 29, v6
	v_lshlrev_b64_e32 v[2:3], v7, v[2:3]
	s_delay_alu instid0(VALU_DEP_1)
	v_and_b32_e32 v2, 7, v2
; %bb.1663:                             ;   in Loop: Header=BB357_15 Depth=1
	s_or_b32 exec_lo, exec_lo, s19
	s_delay_alu instid0(VALU_DEP_1) | instskip(SKIP_1) | instid1(VALU_DEP_2)
	v_dual_lshlrev_b32 v3, 16, v24 :: v_dual_lshlrev_b32 v2, 20, v2
	v_lshl_add_u32 v6, v6, 23, 0x3c000000
	v_and_b32_e32 v3, 0x80000000, v3
	s_delay_alu instid0(VALU_DEP_1)
	v_or3_b32 v95, v2, v3, v6
.LBB357_1664:                           ;   in Loop: Header=BB357_15 Depth=1
	s_or_b32 exec_lo, exec_lo, s18
.LBB357_1665:                           ;   in Loop: Header=BB357_15 Depth=1
	s_delay_alu instid0(SALU_CYCLE_1)
	s_or_b32 exec_lo, exec_lo, s17
.LBB357_1666:                           ;   in Loop: Header=BB357_15 Depth=1
	s_delay_alu instid0(SALU_CYCLE_1) | instskip(SKIP_3) | instid1(VALU_DEP_2)
	s_or_b32 exec_lo, exec_lo, s16
	v_dual_mov_b32 v79, 0 :: v_dual_lshrrev_b32 v6, 16, v1
	v_mov_b32_e32 v78, 0
	s_mov_b32 s16, exec_lo
	v_and_b32_e32 v2, 0xff, v6
	s_delay_alu instid0(VALU_DEP_1)
	v_cmpx_ne_u16_e32 0, v2
	s_cbranch_execz .LBB357_1674
; %bb.1667:                             ;   in Loop: Header=BB357_15 Depth=1
	v_bfrev_b32_e32 v78, 1
	s_mov_b32 s17, exec_lo
	v_cmpx_ne_u16_e32 0x80, v2
	s_cbranch_execz .LBB357_1673
; %bb.1668:                             ;   in Loop: Header=BB357_15 Depth=1
	v_bfe_u32 v7, v1, 16, 7
	v_mov_b32_e32 v78, 0x7f800001
	s_mov_b32 s18, exec_lo
	s_delay_alu instid0(VALU_DEP_2)
	v_cmpx_ne_u32_e32 0x7f, v7
	s_cbranch_execz .LBB357_1672
; %bb.1669:                             ;   in Loop: Header=BB357_15 Depth=1
	v_and_b32_e32 v24, 7, v6
	s_mov_b32 s19, exec_lo
	s_delay_alu instid0(VALU_DEP_1)
	v_mov_b64_e32 v[2:3], v[24:25]
	v_lshrrev_b32_e32 v3, 3, v7
	v_cmpx_gt_u32_e32 8, v7
; %bb.1670:                             ;   in Loop: Header=BB357_15 Depth=1
	v_clz_i32_u32_e32 v2, v24
	s_delay_alu instid0(VALU_DEP_1) | instskip(NEXT) | instid1(VALU_DEP_1)
	v_min_u32_e32 v7, 32, v2
	v_subrev_nc_u32_e32 v2, 28, v7
	s_delay_alu instid0(VALU_DEP_1) | instskip(NEXT) | instid1(VALU_DEP_1)
	v_lshlrev_b64_e32 v[2:3], v2, v[24:25]
	v_dual_sub_nc_u32 v3, 29, v7 :: v_dual_bitop2_b32 v2, 7, v2 bitop3:0x40
; %bb.1671:                             ;   in Loop: Header=BB357_15 Depth=1
	s_or_b32 exec_lo, exec_lo, s19
	v_lshlrev_b32_e32 v6, 24, v6
	s_delay_alu instid0(VALU_DEP_2) | instskip(NEXT) | instid1(VALU_DEP_3)
	v_lshlrev_b32_e32 v2, 20, v2
	v_lshl_add_u32 v3, v3, 23, 0x3c000000
	s_delay_alu instid0(VALU_DEP_3) | instskip(NEXT) | instid1(VALU_DEP_1)
	v_and_b32_e32 v6, 0x80000000, v6
	v_or3_b32 v78, v2, v6, v3
.LBB357_1672:                           ;   in Loop: Header=BB357_15 Depth=1
	s_or_b32 exec_lo, exec_lo, s18
.LBB357_1673:                           ;   in Loop: Header=BB357_15 Depth=1
	s_delay_alu instid0(SALU_CYCLE_1)
	s_or_b32 exec_lo, exec_lo, s17
.LBB357_1674:                           ;   in Loop: Header=BB357_15 Depth=1
	s_delay_alu instid0(SALU_CYCLE_1) | instskip(NEXT) | instid1(SALU_CYCLE_1)
	s_or_b32 exec_lo, exec_lo, s16
	s_mov_b32 s16, exec_lo
	v_cmpx_lt_u64_e64 s[8:9], v[0:1]
	s_cbranch_execz .LBB357_1682
; %bb.1675:                             ;   in Loop: Header=BB357_15 Depth=1
	v_lshrrev_b32_e32 v2, 24, v1
	v_bfrev_b32_e32 v79, 1
	s_mov_b32 s17, exec_lo
	s_delay_alu instid0(VALU_DEP_2)
	v_cmpx_ne_u32_e32 0x80, v2
	s_cbranch_execz .LBB357_1681
; %bb.1676:                             ;   in Loop: Header=BB357_15 Depth=1
	v_bfe_u32 v3, v1, 24, 7
	v_mov_b32_e32 v79, 0x7f800001
	s_mov_b32 s18, exec_lo
	s_delay_alu instid0(VALU_DEP_2)
	v_cmpx_ne_u32_e32 0x7f, v3
	s_cbranch_execz .LBB357_1680
; %bb.1677:                             ;   in Loop: Header=BB357_15 Depth=1
	v_and_b32_e32 v24, 7, v2
	s_mov_b32 s19, exec_lo
	s_delay_alu instid0(VALU_DEP_1)
	v_mov_b64_e32 v[0:1], v[24:25]
	v_lshrrev_b32_e32 v1, 3, v3
	v_cmpx_gt_u32_e32 8, v3
; %bb.1678:                             ;   in Loop: Header=BB357_15 Depth=1
	v_clz_i32_u32_e32 v0, v24
	s_delay_alu instid0(VALU_DEP_1) | instskip(NEXT) | instid1(VALU_DEP_1)
	v_min_u32_e32 v3, 32, v0
	v_subrev_nc_u32_e32 v0, 28, v3
	s_delay_alu instid0(VALU_DEP_1) | instskip(NEXT) | instid1(VALU_DEP_1)
	v_lshlrev_b64_e32 v[0:1], v0, v[24:25]
	v_dual_sub_nc_u32 v1, 29, v3 :: v_dual_bitop2_b32 v0, 7, v0 bitop3:0x40
; %bb.1679:                             ;   in Loop: Header=BB357_15 Depth=1
	s_or_b32 exec_lo, exec_lo, s19
	s_delay_alu instid0(VALU_DEP_1) | instskip(NEXT) | instid1(VALU_DEP_2)
	v_dual_lshlrev_b32 v2, 24, v2 :: v_dual_lshlrev_b32 v0, 20, v0
	v_lshl_add_u32 v1, v1, 23, 0x3c000000
	s_delay_alu instid0(VALU_DEP_2) | instskip(NEXT) | instid1(VALU_DEP_1)
	v_and_b32_e32 v2, 0x80000000, v2
	v_or3_b32 v79, v0, v2, v1
.LBB357_1680:                           ;   in Loop: Header=BB357_15 Depth=1
	s_or_b32 exec_lo, exec_lo, s18
.LBB357_1681:                           ;   in Loop: Header=BB357_15 Depth=1
	s_delay_alu instid0(SALU_CYCLE_1)
	s_or_b32 exec_lo, exec_lo, s17
.LBB357_1682:                           ;   in Loop: Header=BB357_15 Depth=1
	s_delay_alu instid0(SALU_CYCLE_1)
	s_or_b32 exec_lo, exec_lo, s16
	flat_load_b64 v[0:1], v[102:103] offset:6656
	v_dual_mov_b32 v111, 0 :: v_dual_mov_b32 v110, 0
	s_mov_b32 s16, exec_lo
	s_wait_loadcnt_dscnt 0x0
	v_and_b32_e32 v2, 0xff, v0
	s_wait_xcnt 0x0
	s_delay_alu instid0(VALU_DEP_1)
	v_cmpx_ne_u16_e32 0, v2
	s_cbranch_execz .LBB357_1690
; %bb.1683:                             ;   in Loop: Header=BB357_15 Depth=1
	v_bfrev_b32_e32 v110, 1
	s_mov_b32 s17, exec_lo
	v_cmpx_ne_u16_e32 0x80, v2
	s_cbranch_execz .LBB357_1689
; %bb.1684:                             ;   in Loop: Header=BB357_15 Depth=1
	v_and_b32_e32 v2, 0x7f, v0
	v_mov_b32_e32 v110, 0x7f800001
	s_mov_b32 s18, exec_lo
	s_delay_alu instid0(VALU_DEP_2)
	v_cmpx_ne_u32_e32 0x7f, v2
	s_cbranch_execz .LBB357_1688
; %bb.1685:                             ;   in Loop: Header=BB357_15 Depth=1
	v_lshrrev_b32_e32 v6, 3, v2
	v_cmp_gt_u32_e64 s1, 8, v2
	v_mov_b64_e32 v[2:3], v[0:1]
	s_and_saveexec_b32 s19, s1
; %bb.1686:                             ;   in Loop: Header=BB357_15 Depth=1
	v_and_b32_e32 v2, 7, v0
	s_delay_alu instid0(VALU_DEP_1) | instskip(NEXT) | instid1(VALU_DEP_1)
	v_clz_i32_u32_e32 v2, v2
	v_min_u32_e32 v6, 32, v2
	s_delay_alu instid0(VALU_DEP_1) | instskip(SKIP_1) | instid1(VALU_DEP_2)
	v_subrev_nc_u32_e32 v2, 28, v6
	v_sub_nc_u32_e32 v6, 29, v6
	v_lshlrev_b64_e32 v[2:3], v2, v[0:1]
; %bb.1687:                             ;   in Loop: Header=BB357_15 Depth=1
	s_or_b32 exec_lo, exec_lo, s19
	s_delay_alu instid0(VALU_DEP_1) | instskip(NEXT) | instid1(VALU_DEP_3)
	v_dual_lshlrev_b32 v2, 20, v2 :: v_dual_lshlrev_b32 v3, 24, v0
	v_lshl_add_u32 v6, v6, 23, 0x3c000000
	s_delay_alu instid0(VALU_DEP_2) | instskip(NEXT) | instid1(VALU_DEP_3)
	v_and_b32_e32 v2, 0x700000, v2
	v_and_b32_e32 v3, 0x80000000, v3
	s_delay_alu instid0(VALU_DEP_1)
	v_or3_b32 v110, v2, v3, v6
.LBB357_1688:                           ;   in Loop: Header=BB357_15 Depth=1
	s_or_b32 exec_lo, exec_lo, s18
.LBB357_1689:                           ;   in Loop: Header=BB357_15 Depth=1
	s_delay_alu instid0(SALU_CYCLE_1)
	s_or_b32 exec_lo, exec_lo, s17
.LBB357_1690:                           ;   in Loop: Header=BB357_15 Depth=1
	s_delay_alu instid0(SALU_CYCLE_1) | instskip(SKIP_2) | instid1(VALU_DEP_1)
	s_or_b32 exec_lo, exec_lo, s16
	v_lshrrev_b16 v2, 8, v0
	s_mov_b32 s16, exec_lo
	v_cmpx_ne_u16_e32 0, v2
	s_cbranch_execz .LBB357_1698
; %bb.1691:                             ;   in Loop: Header=BB357_15 Depth=1
	v_bfrev_b32_e32 v111, 1
	s_mov_b32 s17, exec_lo
	v_cmpx_ne_u16_e32 0x80, v2
	s_cbranch_execz .LBB357_1697
; %bb.1692:                             ;   in Loop: Header=BB357_15 Depth=1
	v_and_b32_e32 v2, 0xffff, v2
	v_mov_b32_e32 v111, 0x7f800001
	s_mov_b32 s18, exec_lo
	s_delay_alu instid0(VALU_DEP_2) | instskip(NEXT) | instid1(VALU_DEP_1)
	v_and_b32_e32 v6, 0x7f, v2
	v_cmpx_ne_u32_e32 0x7f, v6
	s_cbranch_execz .LBB357_1696
; %bb.1693:                             ;   in Loop: Header=BB357_15 Depth=1
	v_and_b32_e32 v24, 7, v2
	s_mov_b32 s19, exec_lo
	s_delay_alu instid0(VALU_DEP_1)
	v_mov_b64_e32 v[2:3], v[24:25]
	v_lshrrev_b32_e32 v3, 3, v6
	v_cmpx_gt_u32_e32 8, v6
; %bb.1694:                             ;   in Loop: Header=BB357_15 Depth=1
	v_clz_i32_u32_e32 v2, v24
	s_delay_alu instid0(VALU_DEP_1) | instskip(NEXT) | instid1(VALU_DEP_1)
	v_min_u32_e32 v6, 32, v2
	v_subrev_nc_u32_e32 v2, 28, v6
	s_delay_alu instid0(VALU_DEP_1) | instskip(SKIP_1) | instid1(VALU_DEP_2)
	v_lshlrev_b64_e32 v[2:3], v2, v[24:25]
	v_sub_nc_u32_e32 v3, 29, v6
	v_and_b32_e32 v2, 7, v2
; %bb.1695:                             ;   in Loop: Header=BB357_15 Depth=1
	s_or_b32 exec_lo, exec_lo, s19
	s_delay_alu instid0(VALU_DEP_1) | instskip(NEXT) | instid1(VALU_DEP_3)
	v_dual_lshlrev_b32 v6, 16, v0 :: v_dual_lshlrev_b32 v2, 20, v2
	v_lshl_add_u32 v3, v3, 23, 0x3c000000
	s_delay_alu instid0(VALU_DEP_2) | instskip(NEXT) | instid1(VALU_DEP_1)
	v_and_b32_e32 v6, 0x80000000, v6
	v_or3_b32 v111, v2, v6, v3
.LBB357_1696:                           ;   in Loop: Header=BB357_15 Depth=1
	s_or_b32 exec_lo, exec_lo, s18
.LBB357_1697:                           ;   in Loop: Header=BB357_15 Depth=1
	s_delay_alu instid0(SALU_CYCLE_1)
	s_or_b32 exec_lo, exec_lo, s17
.LBB357_1698:                           ;   in Loop: Header=BB357_15 Depth=1
	s_delay_alu instid0(SALU_CYCLE_1) | instskip(SKIP_3) | instid1(VALU_DEP_2)
	s_or_b32 exec_lo, exec_lo, s16
	v_dual_mov_b32 v113, 0 :: v_dual_lshrrev_b32 v6, 16, v0
	v_mov_b32_e32 v112, 0
	s_mov_b32 s16, exec_lo
	v_and_b32_e32 v2, 0xff, v6
	s_delay_alu instid0(VALU_DEP_1)
	v_cmpx_ne_u16_e32 0, v2
	s_cbranch_execz .LBB357_1706
; %bb.1699:                             ;   in Loop: Header=BB357_15 Depth=1
	v_bfrev_b32_e32 v112, 1
	s_mov_b32 s17, exec_lo
	v_cmpx_ne_u16_e32 0x80, v2
	s_cbranch_execz .LBB357_1705
; %bb.1700:                             ;   in Loop: Header=BB357_15 Depth=1
	v_bfe_u32 v7, v0, 16, 7
	v_mov_b32_e32 v112, 0x7f800001
	s_mov_b32 s18, exec_lo
	s_delay_alu instid0(VALU_DEP_2)
	v_cmpx_ne_u32_e32 0x7f, v7
	s_cbranch_execz .LBB357_1704
; %bb.1701:                             ;   in Loop: Header=BB357_15 Depth=1
	v_and_b32_e32 v24, 7, v6
	s_mov_b32 s19, exec_lo
	s_delay_alu instid0(VALU_DEP_1)
	v_mov_b64_e32 v[2:3], v[24:25]
	v_lshrrev_b32_e32 v3, 3, v7
	v_cmpx_gt_u32_e32 8, v7
; %bb.1702:                             ;   in Loop: Header=BB357_15 Depth=1
	v_clz_i32_u32_e32 v2, v24
	s_delay_alu instid0(VALU_DEP_1) | instskip(NEXT) | instid1(VALU_DEP_1)
	v_min_u32_e32 v7, 32, v2
	v_subrev_nc_u32_e32 v2, 28, v7
	s_delay_alu instid0(VALU_DEP_1) | instskip(NEXT) | instid1(VALU_DEP_1)
	v_lshlrev_b64_e32 v[2:3], v2, v[24:25]
	v_dual_sub_nc_u32 v3, 29, v7 :: v_dual_bitop2_b32 v2, 7, v2 bitop3:0x40
; %bb.1703:                             ;   in Loop: Header=BB357_15 Depth=1
	s_or_b32 exec_lo, exec_lo, s19
	v_lshlrev_b32_e32 v6, 24, v6
	s_delay_alu instid0(VALU_DEP_2) | instskip(NEXT) | instid1(VALU_DEP_3)
	v_lshlrev_b32_e32 v2, 20, v2
	v_lshl_add_u32 v3, v3, 23, 0x3c000000
	s_delay_alu instid0(VALU_DEP_3) | instskip(NEXT) | instid1(VALU_DEP_1)
	v_and_b32_e32 v6, 0x80000000, v6
	v_or3_b32 v112, v2, v6, v3
.LBB357_1704:                           ;   in Loop: Header=BB357_15 Depth=1
	s_or_b32 exec_lo, exec_lo, s18
.LBB357_1705:                           ;   in Loop: Header=BB357_15 Depth=1
	s_delay_alu instid0(SALU_CYCLE_1)
	s_or_b32 exec_lo, exec_lo, s17
.LBB357_1706:                           ;   in Loop: Header=BB357_15 Depth=1
	s_delay_alu instid0(SALU_CYCLE_1) | instskip(NEXT) | instid1(SALU_CYCLE_1)
	s_or_b32 exec_lo, exec_lo, s16
	s_mov_b32 s16, exec_lo
	v_cmpx_lt_u32_e32 0xffffff, v0
	s_cbranch_execz .LBB357_1714
; %bb.1707:                             ;   in Loop: Header=BB357_15 Depth=1
	v_lshrrev_b32_e32 v6, 24, v0
	v_bfrev_b32_e32 v113, 1
	s_mov_b32 s17, exec_lo
	s_delay_alu instid0(VALU_DEP_2)
	v_cmpx_ne_u32_e32 0x80, v6
	s_cbranch_execz .LBB357_1713
; %bb.1708:                             ;   in Loop: Header=BB357_15 Depth=1
	v_bfe_u32 v7, v0, 24, 7
	v_mov_b32_e32 v113, 0x7f800001
	s_mov_b32 s18, exec_lo
	s_delay_alu instid0(VALU_DEP_2)
	v_cmpx_ne_u32_e32 0x7f, v7
	s_cbranch_execz .LBB357_1712
; %bb.1709:                             ;   in Loop: Header=BB357_15 Depth=1
	v_and_b32_e32 v24, 7, v6
	s_mov_b32 s19, exec_lo
	s_delay_alu instid0(VALU_DEP_1)
	v_mov_b64_e32 v[2:3], v[24:25]
	v_lshrrev_b32_e32 v3, 3, v7
	v_cmpx_gt_u32_e32 8, v7
; %bb.1710:                             ;   in Loop: Header=BB357_15 Depth=1
	v_clz_i32_u32_e32 v2, v24
	s_delay_alu instid0(VALU_DEP_1) | instskip(NEXT) | instid1(VALU_DEP_1)
	v_min_u32_e32 v7, 32, v2
	v_subrev_nc_u32_e32 v2, 28, v7
	s_delay_alu instid0(VALU_DEP_1) | instskip(NEXT) | instid1(VALU_DEP_1)
	v_lshlrev_b64_e32 v[2:3], v2, v[24:25]
	v_dual_sub_nc_u32 v3, 29, v7 :: v_dual_bitop2_b32 v2, 7, v2 bitop3:0x40
; %bb.1711:                             ;   in Loop: Header=BB357_15 Depth=1
	s_or_b32 exec_lo, exec_lo, s19
	v_lshlrev_b32_e32 v6, 24, v6
	s_delay_alu instid0(VALU_DEP_2) | instskip(NEXT) | instid1(VALU_DEP_3)
	v_lshlrev_b32_e32 v2, 20, v2
	v_lshl_add_u32 v3, v3, 23, 0x3c000000
	s_delay_alu instid0(VALU_DEP_3) | instskip(NEXT) | instid1(VALU_DEP_1)
	v_and_b32_e32 v6, 0x80000000, v6
	v_or3_b32 v113, v2, v6, v3
.LBB357_1712:                           ;   in Loop: Header=BB357_15 Depth=1
	s_or_b32 exec_lo, exec_lo, s18
.LBB357_1713:                           ;   in Loop: Header=BB357_15 Depth=1
	s_delay_alu instid0(SALU_CYCLE_1)
	s_or_b32 exec_lo, exec_lo, s17
.LBB357_1714:                           ;   in Loop: Header=BB357_15 Depth=1
	s_delay_alu instid0(SALU_CYCLE_1) | instskip(SKIP_4) | instid1(VALU_DEP_3)
	s_or_b32 exec_lo, exec_lo, s16
	v_and_b32_e32 v2, 0xff, v1
	v_dual_mov_b32 v24, v1 :: v_dual_mov_b32 v51, 0
	v_mov_b32_e32 v50, 0
	s_mov_b32 s16, exec_lo
	v_cmpx_ne_u16_e32 0, v2
	s_cbranch_execz .LBB357_1722
; %bb.1715:                             ;   in Loop: Header=BB357_15 Depth=1
	v_bfrev_b32_e32 v50, 1
	s_mov_b32 s17, exec_lo
	v_cmpx_ne_u16_e32 0x80, v2
	s_cbranch_execz .LBB357_1721
; %bb.1716:                             ;   in Loop: Header=BB357_15 Depth=1
	v_and_b32_e32 v6, 0x7f, v1
	v_mov_b32_e32 v50, 0x7f800001
	s_mov_b32 s18, exec_lo
	s_delay_alu instid0(VALU_DEP_2)
	v_cmpx_ne_u32_e32 0x7f, v6
	s_cbranch_execz .LBB357_1720
; %bb.1717:                             ;   in Loop: Header=BB357_15 Depth=1
	v_mov_b64_e32 v[2:3], v[24:25]
	v_lshrrev_b32_e32 v3, 3, v6
	s_mov_b32 s19, exec_lo
	v_cmpx_gt_u32_e32 8, v6
; %bb.1718:                             ;   in Loop: Header=BB357_15 Depth=1
	v_and_b32_e32 v2, 7, v1
	s_delay_alu instid0(VALU_DEP_1) | instskip(NEXT) | instid1(VALU_DEP_1)
	v_clz_i32_u32_e32 v2, v2
	v_min_u32_e32 v6, 32, v2
	s_delay_alu instid0(VALU_DEP_1) | instskip(NEXT) | instid1(VALU_DEP_1)
	v_subrev_nc_u32_e32 v2, 28, v6
	v_lshlrev_b64_e32 v[2:3], v2, v[24:25]
	v_sub_nc_u32_e32 v3, 29, v6
; %bb.1719:                             ;   in Loop: Header=BB357_15 Depth=1
	s_or_b32 exec_lo, exec_lo, s19
	s_delay_alu instid0(VALU_DEP_2) | instskip(NEXT) | instid1(VALU_DEP_2)
	v_dual_lshlrev_b32 v2, 20, v2 :: v_dual_lshlrev_b32 v6, 24, v24
	v_lshl_add_u32 v3, v3, 23, 0x3c000000
	s_delay_alu instid0(VALU_DEP_2) | instskip(NEXT) | instid1(VALU_DEP_3)
	v_and_b32_e32 v2, 0x700000, v2
	v_and_b32_e32 v6, 0x80000000, v6
	s_delay_alu instid0(VALU_DEP_1)
	v_or3_b32 v50, v2, v6, v3
.LBB357_1720:                           ;   in Loop: Header=BB357_15 Depth=1
	s_or_b32 exec_lo, exec_lo, s18
.LBB357_1721:                           ;   in Loop: Header=BB357_15 Depth=1
	s_delay_alu instid0(SALU_CYCLE_1)
	s_or_b32 exec_lo, exec_lo, s17
.LBB357_1722:                           ;   in Loop: Header=BB357_15 Depth=1
	s_delay_alu instid0(SALU_CYCLE_1) | instskip(SKIP_2) | instid1(VALU_DEP_1)
	s_or_b32 exec_lo, exec_lo, s16
	v_lshrrev_b16 v2, 8, v24
	s_mov_b32 s16, exec_lo
	v_cmpx_ne_u16_e32 0, v2
	s_cbranch_execz .LBB357_1730
; %bb.1723:                             ;   in Loop: Header=BB357_15 Depth=1
	v_bfrev_b32_e32 v51, 1
	s_mov_b32 s17, exec_lo
	v_cmpx_ne_u16_e32 0x80, v2
	s_cbranch_execz .LBB357_1729
; %bb.1724:                             ;   in Loop: Header=BB357_15 Depth=1
	v_and_b32_e32 v2, 0xffff, v2
	v_mov_b32_e32 v51, 0x7f800001
	s_mov_b32 s18, exec_lo
	s_delay_alu instid0(VALU_DEP_2) | instskip(NEXT) | instid1(VALU_DEP_1)
	v_and_b32_e32 v7, 0x7f, v2
	v_cmpx_ne_u32_e32 0x7f, v7
	s_cbranch_execz .LBB357_1728
; %bb.1725:                             ;   in Loop: Header=BB357_15 Depth=1
	v_dual_mov_b32 v3, v25 :: v_dual_bitop2_b32 v2, 7, v2 bitop3:0x40
	v_lshrrev_b32_e32 v6, 3, v7
	s_mov_b32 s19, exec_lo
	v_cmpx_gt_u32_e32 8, v7
; %bb.1726:                             ;   in Loop: Header=BB357_15 Depth=1
	s_delay_alu instid0(VALU_DEP_3) | instskip(NEXT) | instid1(VALU_DEP_1)
	v_clz_i32_u32_e32 v6, v2
	v_min_u32_e32 v6, 32, v6
	s_delay_alu instid0(VALU_DEP_1) | instskip(SKIP_1) | instid1(VALU_DEP_2)
	v_subrev_nc_u32_e32 v7, 28, v6
	v_sub_nc_u32_e32 v6, 29, v6
	v_lshlrev_b64_e32 v[2:3], v7, v[2:3]
	s_delay_alu instid0(VALU_DEP_1)
	v_and_b32_e32 v2, 7, v2
; %bb.1727:                             ;   in Loop: Header=BB357_15 Depth=1
	s_or_b32 exec_lo, exec_lo, s19
	s_delay_alu instid0(VALU_DEP_1) | instskip(SKIP_1) | instid1(VALU_DEP_2)
	v_dual_lshlrev_b32 v3, 16, v24 :: v_dual_lshlrev_b32 v2, 20, v2
	v_lshl_add_u32 v6, v6, 23, 0x3c000000
	v_and_b32_e32 v3, 0x80000000, v3
	s_delay_alu instid0(VALU_DEP_1)
	v_or3_b32 v51, v2, v3, v6
.LBB357_1728:                           ;   in Loop: Header=BB357_15 Depth=1
	s_or_b32 exec_lo, exec_lo, s18
.LBB357_1729:                           ;   in Loop: Header=BB357_15 Depth=1
	s_delay_alu instid0(SALU_CYCLE_1)
	s_or_b32 exec_lo, exec_lo, s17
.LBB357_1730:                           ;   in Loop: Header=BB357_15 Depth=1
	s_delay_alu instid0(SALU_CYCLE_1) | instskip(SKIP_3) | instid1(VALU_DEP_2)
	s_or_b32 exec_lo, exec_lo, s16
	v_dual_mov_b32 v123, 0 :: v_dual_lshrrev_b32 v6, 16, v1
	v_mov_b32_e32 v122, 0
	s_mov_b32 s16, exec_lo
	v_and_b32_e32 v2, 0xff, v6
	s_delay_alu instid0(VALU_DEP_1)
	v_cmpx_ne_u16_e32 0, v2
	s_cbranch_execz .LBB357_1738
; %bb.1731:                             ;   in Loop: Header=BB357_15 Depth=1
	v_bfrev_b32_e32 v122, 1
	s_mov_b32 s17, exec_lo
	v_cmpx_ne_u16_e32 0x80, v2
	s_cbranch_execz .LBB357_1737
; %bb.1732:                             ;   in Loop: Header=BB357_15 Depth=1
	v_bfe_u32 v7, v1, 16, 7
	v_mov_b32_e32 v122, 0x7f800001
	s_mov_b32 s18, exec_lo
	s_delay_alu instid0(VALU_DEP_2)
	v_cmpx_ne_u32_e32 0x7f, v7
	s_cbranch_execz .LBB357_1736
; %bb.1733:                             ;   in Loop: Header=BB357_15 Depth=1
	v_and_b32_e32 v24, 7, v6
	s_mov_b32 s19, exec_lo
	s_delay_alu instid0(VALU_DEP_1)
	v_mov_b64_e32 v[2:3], v[24:25]
	v_lshrrev_b32_e32 v3, 3, v7
	v_cmpx_gt_u32_e32 8, v7
; %bb.1734:                             ;   in Loop: Header=BB357_15 Depth=1
	v_clz_i32_u32_e32 v2, v24
	s_delay_alu instid0(VALU_DEP_1) | instskip(NEXT) | instid1(VALU_DEP_1)
	v_min_u32_e32 v7, 32, v2
	v_subrev_nc_u32_e32 v2, 28, v7
	s_delay_alu instid0(VALU_DEP_1) | instskip(NEXT) | instid1(VALU_DEP_1)
	v_lshlrev_b64_e32 v[2:3], v2, v[24:25]
	v_dual_sub_nc_u32 v3, 29, v7 :: v_dual_bitop2_b32 v2, 7, v2 bitop3:0x40
; %bb.1735:                             ;   in Loop: Header=BB357_15 Depth=1
	s_or_b32 exec_lo, exec_lo, s19
	v_lshlrev_b32_e32 v6, 24, v6
	s_delay_alu instid0(VALU_DEP_2) | instskip(NEXT) | instid1(VALU_DEP_3)
	v_lshlrev_b32_e32 v2, 20, v2
	v_lshl_add_u32 v3, v3, 23, 0x3c000000
	s_delay_alu instid0(VALU_DEP_3) | instskip(NEXT) | instid1(VALU_DEP_1)
	v_and_b32_e32 v6, 0x80000000, v6
	v_or3_b32 v122, v2, v6, v3
.LBB357_1736:                           ;   in Loop: Header=BB357_15 Depth=1
	s_or_b32 exec_lo, exec_lo, s18
.LBB357_1737:                           ;   in Loop: Header=BB357_15 Depth=1
	s_delay_alu instid0(SALU_CYCLE_1)
	s_or_b32 exec_lo, exec_lo, s17
.LBB357_1738:                           ;   in Loop: Header=BB357_15 Depth=1
	s_delay_alu instid0(SALU_CYCLE_1) | instskip(NEXT) | instid1(SALU_CYCLE_1)
	s_or_b32 exec_lo, exec_lo, s16
	s_mov_b32 s16, exec_lo
	v_cmpx_lt_u64_e64 s[8:9], v[0:1]
	s_cbranch_execz .LBB357_1746
; %bb.1739:                             ;   in Loop: Header=BB357_15 Depth=1
	v_lshrrev_b32_e32 v2, 24, v1
	v_bfrev_b32_e32 v123, 1
	s_mov_b32 s17, exec_lo
	s_delay_alu instid0(VALU_DEP_2)
	v_cmpx_ne_u32_e32 0x80, v2
	s_cbranch_execz .LBB357_1745
; %bb.1740:                             ;   in Loop: Header=BB357_15 Depth=1
	v_bfe_u32 v3, v1, 24, 7
	v_mov_b32_e32 v123, 0x7f800001
	s_mov_b32 s18, exec_lo
	s_delay_alu instid0(VALU_DEP_2)
	v_cmpx_ne_u32_e32 0x7f, v3
	s_cbranch_execz .LBB357_1744
; %bb.1741:                             ;   in Loop: Header=BB357_15 Depth=1
	v_and_b32_e32 v24, 7, v2
	s_mov_b32 s19, exec_lo
	s_delay_alu instid0(VALU_DEP_1)
	v_mov_b64_e32 v[0:1], v[24:25]
	v_lshrrev_b32_e32 v1, 3, v3
	v_cmpx_gt_u32_e32 8, v3
; %bb.1742:                             ;   in Loop: Header=BB357_15 Depth=1
	v_clz_i32_u32_e32 v0, v24
	s_delay_alu instid0(VALU_DEP_1) | instskip(NEXT) | instid1(VALU_DEP_1)
	v_min_u32_e32 v3, 32, v0
	v_subrev_nc_u32_e32 v0, 28, v3
	s_delay_alu instid0(VALU_DEP_1) | instskip(NEXT) | instid1(VALU_DEP_1)
	v_lshlrev_b64_e32 v[0:1], v0, v[24:25]
	v_dual_sub_nc_u32 v1, 29, v3 :: v_dual_bitop2_b32 v0, 7, v0 bitop3:0x40
; %bb.1743:                             ;   in Loop: Header=BB357_15 Depth=1
	s_or_b32 exec_lo, exec_lo, s19
	s_delay_alu instid0(VALU_DEP_1) | instskip(NEXT) | instid1(VALU_DEP_2)
	v_dual_lshlrev_b32 v2, 24, v2 :: v_dual_lshlrev_b32 v0, 20, v0
	v_lshl_add_u32 v1, v1, 23, 0x3c000000
	s_delay_alu instid0(VALU_DEP_2) | instskip(NEXT) | instid1(VALU_DEP_1)
	v_and_b32_e32 v2, 0x80000000, v2
	v_or3_b32 v123, v0, v2, v1
.LBB357_1744:                           ;   in Loop: Header=BB357_15 Depth=1
	s_or_b32 exec_lo, exec_lo, s18
.LBB357_1745:                           ;   in Loop: Header=BB357_15 Depth=1
	s_delay_alu instid0(SALU_CYCLE_1)
	s_or_b32 exec_lo, exec_lo, s17
.LBB357_1746:                           ;   in Loop: Header=BB357_15 Depth=1
	s_delay_alu instid0(SALU_CYCLE_1)
	s_or_b32 exec_lo, exec_lo, s16
	flat_load_b64 v[0:1], v[102:103] offset:6664
	v_dual_mov_b32 v97, 0 :: v_dual_mov_b32 v96, 0
	s_mov_b32 s16, exec_lo
	s_wait_loadcnt_dscnt 0x0
	v_and_b32_e32 v2, 0xff, v0
	s_wait_xcnt 0x0
	s_delay_alu instid0(VALU_DEP_1)
	v_cmpx_ne_u16_e32 0, v2
	s_cbranch_execz .LBB357_1754
; %bb.1747:                             ;   in Loop: Header=BB357_15 Depth=1
	v_bfrev_b32_e32 v96, 1
	s_mov_b32 s17, exec_lo
	v_cmpx_ne_u16_e32 0x80, v2
	s_cbranch_execz .LBB357_1753
; %bb.1748:                             ;   in Loop: Header=BB357_15 Depth=1
	v_and_b32_e32 v2, 0x7f, v0
	v_mov_b32_e32 v96, 0x7f800001
	s_mov_b32 s18, exec_lo
	s_delay_alu instid0(VALU_DEP_2)
	v_cmpx_ne_u32_e32 0x7f, v2
	s_cbranch_execz .LBB357_1752
; %bb.1749:                             ;   in Loop: Header=BB357_15 Depth=1
	v_lshrrev_b32_e32 v6, 3, v2
	v_cmp_gt_u32_e64 s1, 8, v2
	v_mov_b64_e32 v[2:3], v[0:1]
	s_and_saveexec_b32 s19, s1
; %bb.1750:                             ;   in Loop: Header=BB357_15 Depth=1
	v_and_b32_e32 v2, 7, v0
	s_delay_alu instid0(VALU_DEP_1) | instskip(NEXT) | instid1(VALU_DEP_1)
	v_clz_i32_u32_e32 v2, v2
	v_min_u32_e32 v6, 32, v2
	s_delay_alu instid0(VALU_DEP_1) | instskip(SKIP_1) | instid1(VALU_DEP_2)
	v_subrev_nc_u32_e32 v2, 28, v6
	v_sub_nc_u32_e32 v6, 29, v6
	v_lshlrev_b64_e32 v[2:3], v2, v[0:1]
; %bb.1751:                             ;   in Loop: Header=BB357_15 Depth=1
	s_or_b32 exec_lo, exec_lo, s19
	s_delay_alu instid0(VALU_DEP_1) | instskip(NEXT) | instid1(VALU_DEP_3)
	v_dual_lshlrev_b32 v2, 20, v2 :: v_dual_lshlrev_b32 v3, 24, v0
	v_lshl_add_u32 v6, v6, 23, 0x3c000000
	s_delay_alu instid0(VALU_DEP_2) | instskip(NEXT) | instid1(VALU_DEP_3)
	v_and_b32_e32 v2, 0x700000, v2
	v_and_b32_e32 v3, 0x80000000, v3
	s_delay_alu instid0(VALU_DEP_1)
	v_or3_b32 v96, v2, v3, v6
.LBB357_1752:                           ;   in Loop: Header=BB357_15 Depth=1
	s_or_b32 exec_lo, exec_lo, s18
.LBB357_1753:                           ;   in Loop: Header=BB357_15 Depth=1
	s_delay_alu instid0(SALU_CYCLE_1)
	s_or_b32 exec_lo, exec_lo, s17
.LBB357_1754:                           ;   in Loop: Header=BB357_15 Depth=1
	s_delay_alu instid0(SALU_CYCLE_1) | instskip(SKIP_2) | instid1(VALU_DEP_1)
	s_or_b32 exec_lo, exec_lo, s16
	v_lshrrev_b16 v2, 8, v0
	s_mov_b32 s16, exec_lo
	v_cmpx_ne_u16_e32 0, v2
	s_cbranch_execz .LBB357_1762
; %bb.1755:                             ;   in Loop: Header=BB357_15 Depth=1
	v_bfrev_b32_e32 v97, 1
	s_mov_b32 s17, exec_lo
	v_cmpx_ne_u16_e32 0x80, v2
	s_cbranch_execz .LBB357_1761
; %bb.1756:                             ;   in Loop: Header=BB357_15 Depth=1
	v_and_b32_e32 v2, 0xffff, v2
	v_mov_b32_e32 v97, 0x7f800001
	s_mov_b32 s18, exec_lo
	s_delay_alu instid0(VALU_DEP_2) | instskip(NEXT) | instid1(VALU_DEP_1)
	v_and_b32_e32 v6, 0x7f, v2
	v_cmpx_ne_u32_e32 0x7f, v6
	s_cbranch_execz .LBB357_1760
; %bb.1757:                             ;   in Loop: Header=BB357_15 Depth=1
	v_and_b32_e32 v24, 7, v2
	s_mov_b32 s19, exec_lo
	s_delay_alu instid0(VALU_DEP_1)
	v_mov_b64_e32 v[2:3], v[24:25]
	v_lshrrev_b32_e32 v3, 3, v6
	v_cmpx_gt_u32_e32 8, v6
; %bb.1758:                             ;   in Loop: Header=BB357_15 Depth=1
	v_clz_i32_u32_e32 v2, v24
	s_delay_alu instid0(VALU_DEP_1) | instskip(NEXT) | instid1(VALU_DEP_1)
	v_min_u32_e32 v6, 32, v2
	v_subrev_nc_u32_e32 v2, 28, v6
	s_delay_alu instid0(VALU_DEP_1) | instskip(SKIP_1) | instid1(VALU_DEP_2)
	v_lshlrev_b64_e32 v[2:3], v2, v[24:25]
	v_sub_nc_u32_e32 v3, 29, v6
	v_and_b32_e32 v2, 7, v2
; %bb.1759:                             ;   in Loop: Header=BB357_15 Depth=1
	s_or_b32 exec_lo, exec_lo, s19
	s_delay_alu instid0(VALU_DEP_1) | instskip(NEXT) | instid1(VALU_DEP_3)
	v_dual_lshlrev_b32 v6, 16, v0 :: v_dual_lshlrev_b32 v2, 20, v2
	v_lshl_add_u32 v3, v3, 23, 0x3c000000
	s_delay_alu instid0(VALU_DEP_2) | instskip(NEXT) | instid1(VALU_DEP_1)
	v_and_b32_e32 v6, 0x80000000, v6
	v_or3_b32 v97, v2, v6, v3
.LBB357_1760:                           ;   in Loop: Header=BB357_15 Depth=1
	s_or_b32 exec_lo, exec_lo, s18
.LBB357_1761:                           ;   in Loop: Header=BB357_15 Depth=1
	s_delay_alu instid0(SALU_CYCLE_1)
	s_or_b32 exec_lo, exec_lo, s17
.LBB357_1762:                           ;   in Loop: Header=BB357_15 Depth=1
	s_delay_alu instid0(SALU_CYCLE_1) | instskip(SKIP_3) | instid1(VALU_DEP_2)
	s_or_b32 exec_lo, exec_lo, s16
	v_dual_mov_b32 v13, 0 :: v_dual_lshrrev_b32 v6, 16, v0
	v_mov_b32_e32 v12, 0
	s_mov_b32 s16, exec_lo
	v_and_b32_e32 v2, 0xff, v6
	s_delay_alu instid0(VALU_DEP_1)
	v_cmpx_ne_u16_e32 0, v2
	s_cbranch_execz .LBB357_1770
; %bb.1763:                             ;   in Loop: Header=BB357_15 Depth=1
	v_bfrev_b32_e32 v12, 1
	s_mov_b32 s17, exec_lo
	v_cmpx_ne_u16_e32 0x80, v2
	s_cbranch_execz .LBB357_1769
; %bb.1764:                             ;   in Loop: Header=BB357_15 Depth=1
	v_bfe_u32 v7, v0, 16, 7
	v_mov_b32_e32 v12, 0x7f800001
	s_mov_b32 s18, exec_lo
	s_delay_alu instid0(VALU_DEP_2)
	v_cmpx_ne_u32_e32 0x7f, v7
	s_cbranch_execz .LBB357_1768
; %bb.1765:                             ;   in Loop: Header=BB357_15 Depth=1
	v_and_b32_e32 v24, 7, v6
	s_mov_b32 s19, exec_lo
	s_delay_alu instid0(VALU_DEP_1)
	v_mov_b64_e32 v[2:3], v[24:25]
	v_lshrrev_b32_e32 v3, 3, v7
	v_cmpx_gt_u32_e32 8, v7
; %bb.1766:                             ;   in Loop: Header=BB357_15 Depth=1
	v_clz_i32_u32_e32 v2, v24
	s_delay_alu instid0(VALU_DEP_1) | instskip(NEXT) | instid1(VALU_DEP_1)
	v_min_u32_e32 v7, 32, v2
	v_subrev_nc_u32_e32 v2, 28, v7
	s_delay_alu instid0(VALU_DEP_1) | instskip(NEXT) | instid1(VALU_DEP_1)
	v_lshlrev_b64_e32 v[2:3], v2, v[24:25]
	v_dual_sub_nc_u32 v3, 29, v7 :: v_dual_bitop2_b32 v2, 7, v2 bitop3:0x40
; %bb.1767:                             ;   in Loop: Header=BB357_15 Depth=1
	s_or_b32 exec_lo, exec_lo, s19
	v_lshlrev_b32_e32 v6, 24, v6
	s_delay_alu instid0(VALU_DEP_2) | instskip(NEXT) | instid1(VALU_DEP_3)
	v_lshlrev_b32_e32 v2, 20, v2
	v_lshl_add_u32 v3, v3, 23, 0x3c000000
	s_delay_alu instid0(VALU_DEP_3) | instskip(NEXT) | instid1(VALU_DEP_1)
	v_and_b32_e32 v6, 0x80000000, v6
	v_or3_b32 v12, v2, v6, v3
.LBB357_1768:                           ;   in Loop: Header=BB357_15 Depth=1
	s_or_b32 exec_lo, exec_lo, s18
.LBB357_1769:                           ;   in Loop: Header=BB357_15 Depth=1
	s_delay_alu instid0(SALU_CYCLE_1)
	s_or_b32 exec_lo, exec_lo, s17
.LBB357_1770:                           ;   in Loop: Header=BB357_15 Depth=1
	s_delay_alu instid0(SALU_CYCLE_1) | instskip(NEXT) | instid1(SALU_CYCLE_1)
	s_or_b32 exec_lo, exec_lo, s16
	s_mov_b32 s16, exec_lo
	v_cmpx_lt_u32_e32 0xffffff, v0
	s_cbranch_execz .LBB357_1778
; %bb.1771:                             ;   in Loop: Header=BB357_15 Depth=1
	v_lshrrev_b32_e32 v6, 24, v0
	v_bfrev_b32_e32 v13, 1
	s_mov_b32 s17, exec_lo
	s_delay_alu instid0(VALU_DEP_2)
	v_cmpx_ne_u32_e32 0x80, v6
	s_cbranch_execz .LBB357_1777
; %bb.1772:                             ;   in Loop: Header=BB357_15 Depth=1
	v_bfe_u32 v7, v0, 24, 7
	v_mov_b32_e32 v13, 0x7f800001
	s_mov_b32 s18, exec_lo
	s_delay_alu instid0(VALU_DEP_2)
	v_cmpx_ne_u32_e32 0x7f, v7
	s_cbranch_execz .LBB357_1776
; %bb.1773:                             ;   in Loop: Header=BB357_15 Depth=1
	v_and_b32_e32 v24, 7, v6
	s_mov_b32 s19, exec_lo
	s_delay_alu instid0(VALU_DEP_1)
	v_mov_b64_e32 v[2:3], v[24:25]
	v_lshrrev_b32_e32 v3, 3, v7
	v_cmpx_gt_u32_e32 8, v7
; %bb.1774:                             ;   in Loop: Header=BB357_15 Depth=1
	v_clz_i32_u32_e32 v2, v24
	s_delay_alu instid0(VALU_DEP_1) | instskip(NEXT) | instid1(VALU_DEP_1)
	v_min_u32_e32 v7, 32, v2
	v_subrev_nc_u32_e32 v2, 28, v7
	s_delay_alu instid0(VALU_DEP_1) | instskip(NEXT) | instid1(VALU_DEP_1)
	v_lshlrev_b64_e32 v[2:3], v2, v[24:25]
	v_dual_sub_nc_u32 v3, 29, v7 :: v_dual_bitop2_b32 v2, 7, v2 bitop3:0x40
; %bb.1775:                             ;   in Loop: Header=BB357_15 Depth=1
	s_or_b32 exec_lo, exec_lo, s19
	v_lshlrev_b32_e32 v6, 24, v6
	s_delay_alu instid0(VALU_DEP_2) | instskip(NEXT) | instid1(VALU_DEP_3)
	v_lshlrev_b32_e32 v2, 20, v2
	v_lshl_add_u32 v3, v3, 23, 0x3c000000
	s_delay_alu instid0(VALU_DEP_3) | instskip(NEXT) | instid1(VALU_DEP_1)
	v_and_b32_e32 v6, 0x80000000, v6
	v_or3_b32 v13, v2, v6, v3
.LBB357_1776:                           ;   in Loop: Header=BB357_15 Depth=1
	s_or_b32 exec_lo, exec_lo, s18
.LBB357_1777:                           ;   in Loop: Header=BB357_15 Depth=1
	s_delay_alu instid0(SALU_CYCLE_1)
	s_or_b32 exec_lo, exec_lo, s17
.LBB357_1778:                           ;   in Loop: Header=BB357_15 Depth=1
	s_delay_alu instid0(SALU_CYCLE_1) | instskip(SKIP_4) | instid1(VALU_DEP_3)
	s_or_b32 exec_lo, exec_lo, s16
	v_and_b32_e32 v2, 0xff, v1
	v_dual_mov_b32 v24, v1 :: v_dual_mov_b32 v105, 0
	v_mov_b32_e32 v104, 0
	s_mov_b32 s16, exec_lo
	v_cmpx_ne_u16_e32 0, v2
	s_cbranch_execz .LBB357_1786
; %bb.1779:                             ;   in Loop: Header=BB357_15 Depth=1
	v_bfrev_b32_e32 v104, 1
	s_mov_b32 s17, exec_lo
	v_cmpx_ne_u16_e32 0x80, v2
	s_cbranch_execz .LBB357_1785
; %bb.1780:                             ;   in Loop: Header=BB357_15 Depth=1
	v_and_b32_e32 v6, 0x7f, v1
	v_mov_b32_e32 v104, 0x7f800001
	s_mov_b32 s18, exec_lo
	s_delay_alu instid0(VALU_DEP_2)
	v_cmpx_ne_u32_e32 0x7f, v6
	s_cbranch_execz .LBB357_1784
; %bb.1781:                             ;   in Loop: Header=BB357_15 Depth=1
	v_mov_b64_e32 v[2:3], v[24:25]
	v_lshrrev_b32_e32 v3, 3, v6
	s_mov_b32 s19, exec_lo
	v_cmpx_gt_u32_e32 8, v6
; %bb.1782:                             ;   in Loop: Header=BB357_15 Depth=1
	v_and_b32_e32 v2, 7, v1
	s_delay_alu instid0(VALU_DEP_1) | instskip(NEXT) | instid1(VALU_DEP_1)
	v_clz_i32_u32_e32 v2, v2
	v_min_u32_e32 v6, 32, v2
	s_delay_alu instid0(VALU_DEP_1) | instskip(NEXT) | instid1(VALU_DEP_1)
	v_subrev_nc_u32_e32 v2, 28, v6
	v_lshlrev_b64_e32 v[2:3], v2, v[24:25]
	v_sub_nc_u32_e32 v3, 29, v6
; %bb.1783:                             ;   in Loop: Header=BB357_15 Depth=1
	s_or_b32 exec_lo, exec_lo, s19
	s_delay_alu instid0(VALU_DEP_2) | instskip(NEXT) | instid1(VALU_DEP_2)
	v_dual_lshlrev_b32 v2, 20, v2 :: v_dual_lshlrev_b32 v6, 24, v24
	v_lshl_add_u32 v3, v3, 23, 0x3c000000
	s_delay_alu instid0(VALU_DEP_2) | instskip(NEXT) | instid1(VALU_DEP_3)
	v_and_b32_e32 v2, 0x700000, v2
	v_and_b32_e32 v6, 0x80000000, v6
	s_delay_alu instid0(VALU_DEP_1)
	v_or3_b32 v104, v2, v6, v3
.LBB357_1784:                           ;   in Loop: Header=BB357_15 Depth=1
	s_or_b32 exec_lo, exec_lo, s18
.LBB357_1785:                           ;   in Loop: Header=BB357_15 Depth=1
	s_delay_alu instid0(SALU_CYCLE_1)
	s_or_b32 exec_lo, exec_lo, s17
.LBB357_1786:                           ;   in Loop: Header=BB357_15 Depth=1
	s_delay_alu instid0(SALU_CYCLE_1) | instskip(SKIP_2) | instid1(VALU_DEP_1)
	s_or_b32 exec_lo, exec_lo, s16
	v_lshrrev_b16 v2, 8, v24
	s_mov_b32 s16, exec_lo
	v_cmpx_ne_u16_e32 0, v2
	s_cbranch_execz .LBB357_1794
; %bb.1787:                             ;   in Loop: Header=BB357_15 Depth=1
	v_bfrev_b32_e32 v105, 1
	s_mov_b32 s17, exec_lo
	v_cmpx_ne_u16_e32 0x80, v2
	s_cbranch_execz .LBB357_1793
; %bb.1788:                             ;   in Loop: Header=BB357_15 Depth=1
	v_and_b32_e32 v2, 0xffff, v2
	v_mov_b32_e32 v105, 0x7f800001
	s_mov_b32 s18, exec_lo
	s_delay_alu instid0(VALU_DEP_2) | instskip(NEXT) | instid1(VALU_DEP_1)
	v_and_b32_e32 v7, 0x7f, v2
	v_cmpx_ne_u32_e32 0x7f, v7
	s_cbranch_execz .LBB357_1792
; %bb.1789:                             ;   in Loop: Header=BB357_15 Depth=1
	v_dual_mov_b32 v3, v25 :: v_dual_bitop2_b32 v2, 7, v2 bitop3:0x40
	v_lshrrev_b32_e32 v6, 3, v7
	s_mov_b32 s19, exec_lo
	v_cmpx_gt_u32_e32 8, v7
; %bb.1790:                             ;   in Loop: Header=BB357_15 Depth=1
	s_delay_alu instid0(VALU_DEP_3) | instskip(NEXT) | instid1(VALU_DEP_1)
	v_clz_i32_u32_e32 v6, v2
	v_min_u32_e32 v6, 32, v6
	s_delay_alu instid0(VALU_DEP_1) | instskip(SKIP_1) | instid1(VALU_DEP_2)
	v_subrev_nc_u32_e32 v7, 28, v6
	v_sub_nc_u32_e32 v6, 29, v6
	v_lshlrev_b64_e32 v[2:3], v7, v[2:3]
	s_delay_alu instid0(VALU_DEP_1)
	v_and_b32_e32 v2, 7, v2
; %bb.1791:                             ;   in Loop: Header=BB357_15 Depth=1
	s_or_b32 exec_lo, exec_lo, s19
	s_delay_alu instid0(VALU_DEP_1) | instskip(SKIP_1) | instid1(VALU_DEP_2)
	v_dual_lshlrev_b32 v3, 16, v24 :: v_dual_lshlrev_b32 v2, 20, v2
	v_lshl_add_u32 v6, v6, 23, 0x3c000000
	v_and_b32_e32 v3, 0x80000000, v3
	s_delay_alu instid0(VALU_DEP_1)
	v_or3_b32 v105, v2, v3, v6
.LBB357_1792:                           ;   in Loop: Header=BB357_15 Depth=1
	s_or_b32 exec_lo, exec_lo, s18
.LBB357_1793:                           ;   in Loop: Header=BB357_15 Depth=1
	s_delay_alu instid0(SALU_CYCLE_1)
	s_or_b32 exec_lo, exec_lo, s17
.LBB357_1794:                           ;   in Loop: Header=BB357_15 Depth=1
	s_delay_alu instid0(SALU_CYCLE_1) | instskip(SKIP_3) | instid1(VALU_DEP_2)
	s_or_b32 exec_lo, exec_lo, s16
	v_dual_mov_b32 v15, 0 :: v_dual_lshrrev_b32 v6, 16, v1
	v_mov_b32_e32 v14, 0
	s_mov_b32 s16, exec_lo
	v_and_b32_e32 v2, 0xff, v6
	s_delay_alu instid0(VALU_DEP_1)
	v_cmpx_ne_u16_e32 0, v2
	s_cbranch_execz .LBB357_1802
; %bb.1795:                             ;   in Loop: Header=BB357_15 Depth=1
	v_bfrev_b32_e32 v14, 1
	s_mov_b32 s17, exec_lo
	v_cmpx_ne_u16_e32 0x80, v2
	s_cbranch_execz .LBB357_1801
; %bb.1796:                             ;   in Loop: Header=BB357_15 Depth=1
	v_bfe_u32 v7, v1, 16, 7
	v_mov_b32_e32 v14, 0x7f800001
	s_mov_b32 s18, exec_lo
	s_delay_alu instid0(VALU_DEP_2)
	v_cmpx_ne_u32_e32 0x7f, v7
	s_cbranch_execz .LBB357_1800
; %bb.1797:                             ;   in Loop: Header=BB357_15 Depth=1
	v_and_b32_e32 v24, 7, v6
	s_mov_b32 s19, exec_lo
	s_delay_alu instid0(VALU_DEP_1)
	v_mov_b64_e32 v[2:3], v[24:25]
	v_lshrrev_b32_e32 v3, 3, v7
	v_cmpx_gt_u32_e32 8, v7
; %bb.1798:                             ;   in Loop: Header=BB357_15 Depth=1
	v_clz_i32_u32_e32 v2, v24
	s_delay_alu instid0(VALU_DEP_1) | instskip(NEXT) | instid1(VALU_DEP_1)
	v_min_u32_e32 v7, 32, v2
	v_subrev_nc_u32_e32 v2, 28, v7
	s_delay_alu instid0(VALU_DEP_1) | instskip(NEXT) | instid1(VALU_DEP_1)
	v_lshlrev_b64_e32 v[2:3], v2, v[24:25]
	v_dual_sub_nc_u32 v3, 29, v7 :: v_dual_bitop2_b32 v2, 7, v2 bitop3:0x40
; %bb.1799:                             ;   in Loop: Header=BB357_15 Depth=1
	s_or_b32 exec_lo, exec_lo, s19
	v_lshlrev_b32_e32 v6, 24, v6
	s_delay_alu instid0(VALU_DEP_2) | instskip(NEXT) | instid1(VALU_DEP_3)
	v_lshlrev_b32_e32 v2, 20, v2
	v_lshl_add_u32 v3, v3, 23, 0x3c000000
	s_delay_alu instid0(VALU_DEP_3) | instskip(NEXT) | instid1(VALU_DEP_1)
	v_and_b32_e32 v6, 0x80000000, v6
	v_or3_b32 v14, v2, v6, v3
.LBB357_1800:                           ;   in Loop: Header=BB357_15 Depth=1
	s_or_b32 exec_lo, exec_lo, s18
.LBB357_1801:                           ;   in Loop: Header=BB357_15 Depth=1
	s_delay_alu instid0(SALU_CYCLE_1)
	s_or_b32 exec_lo, exec_lo, s17
.LBB357_1802:                           ;   in Loop: Header=BB357_15 Depth=1
	s_delay_alu instid0(SALU_CYCLE_1) | instskip(NEXT) | instid1(SALU_CYCLE_1)
	s_or_b32 exec_lo, exec_lo, s16
	s_mov_b32 s16, exec_lo
	v_cmpx_lt_u64_e64 s[8:9], v[0:1]
	s_cbranch_execz .LBB357_1810
; %bb.1803:                             ;   in Loop: Header=BB357_15 Depth=1
	v_lshrrev_b32_e32 v2, 24, v1
	v_bfrev_b32_e32 v15, 1
	s_mov_b32 s17, exec_lo
	s_delay_alu instid0(VALU_DEP_2)
	v_cmpx_ne_u32_e32 0x80, v2
	s_cbranch_execz .LBB357_1809
; %bb.1804:                             ;   in Loop: Header=BB357_15 Depth=1
	v_bfe_u32 v3, v1, 24, 7
	v_mov_b32_e32 v15, 0x7f800001
	s_mov_b32 s18, exec_lo
	s_delay_alu instid0(VALU_DEP_2)
	v_cmpx_ne_u32_e32 0x7f, v3
	s_cbranch_execz .LBB357_1808
; %bb.1805:                             ;   in Loop: Header=BB357_15 Depth=1
	v_and_b32_e32 v24, 7, v2
	s_mov_b32 s19, exec_lo
	s_delay_alu instid0(VALU_DEP_1)
	v_mov_b64_e32 v[0:1], v[24:25]
	v_lshrrev_b32_e32 v1, 3, v3
	v_cmpx_gt_u32_e32 8, v3
; %bb.1806:                             ;   in Loop: Header=BB357_15 Depth=1
	v_clz_i32_u32_e32 v0, v24
	s_delay_alu instid0(VALU_DEP_1) | instskip(NEXT) | instid1(VALU_DEP_1)
	v_min_u32_e32 v3, 32, v0
	v_subrev_nc_u32_e32 v0, 28, v3
	s_delay_alu instid0(VALU_DEP_1) | instskip(NEXT) | instid1(VALU_DEP_1)
	v_lshlrev_b64_e32 v[0:1], v0, v[24:25]
	v_dual_sub_nc_u32 v1, 29, v3 :: v_dual_bitop2_b32 v0, 7, v0 bitop3:0x40
; %bb.1807:                             ;   in Loop: Header=BB357_15 Depth=1
	s_or_b32 exec_lo, exec_lo, s19
	s_delay_alu instid0(VALU_DEP_1) | instskip(NEXT) | instid1(VALU_DEP_2)
	v_dual_lshlrev_b32 v2, 24, v2 :: v_dual_lshlrev_b32 v0, 20, v0
	v_lshl_add_u32 v1, v1, 23, 0x3c000000
	s_delay_alu instid0(VALU_DEP_2) | instskip(NEXT) | instid1(VALU_DEP_1)
	v_and_b32_e32 v2, 0x80000000, v2
	v_or3_b32 v15, v0, v2, v1
.LBB357_1808:                           ;   in Loop: Header=BB357_15 Depth=1
	s_or_b32 exec_lo, exec_lo, s18
.LBB357_1809:                           ;   in Loop: Header=BB357_15 Depth=1
	s_delay_alu instid0(SALU_CYCLE_1)
	s_or_b32 exec_lo, exec_lo, s17
.LBB357_1810:                           ;   in Loop: Header=BB357_15 Depth=1
	s_delay_alu instid0(SALU_CYCLE_1)
	s_or_b32 exec_lo, exec_lo, s16
	flat_load_b64 v[0:1], v[102:103] offset:7168
	v_dual_mov_b32 v125, 0 :: v_dual_mov_b32 v124, 0
	s_mov_b32 s16, exec_lo
	s_wait_loadcnt_dscnt 0x0
	v_and_b32_e32 v2, 0xff, v0
	s_wait_xcnt 0x0
	s_delay_alu instid0(VALU_DEP_1)
	v_cmpx_ne_u16_e32 0, v2
	s_cbranch_execz .LBB357_1818
; %bb.1811:                             ;   in Loop: Header=BB357_15 Depth=1
	v_bfrev_b32_e32 v124, 1
	s_mov_b32 s17, exec_lo
	v_cmpx_ne_u16_e32 0x80, v2
	s_cbranch_execz .LBB357_1817
; %bb.1812:                             ;   in Loop: Header=BB357_15 Depth=1
	v_and_b32_e32 v2, 0x7f, v0
	v_mov_b32_e32 v124, 0x7f800001
	s_mov_b32 s18, exec_lo
	s_delay_alu instid0(VALU_DEP_2)
	v_cmpx_ne_u32_e32 0x7f, v2
	s_cbranch_execz .LBB357_1816
; %bb.1813:                             ;   in Loop: Header=BB357_15 Depth=1
	v_lshrrev_b32_e32 v6, 3, v2
	v_cmp_gt_u32_e64 s1, 8, v2
	v_mov_b64_e32 v[2:3], v[0:1]
	s_and_saveexec_b32 s19, s1
; %bb.1814:                             ;   in Loop: Header=BB357_15 Depth=1
	v_and_b32_e32 v2, 7, v0
	s_delay_alu instid0(VALU_DEP_1) | instskip(NEXT) | instid1(VALU_DEP_1)
	v_clz_i32_u32_e32 v2, v2
	v_min_u32_e32 v6, 32, v2
	s_delay_alu instid0(VALU_DEP_1) | instskip(SKIP_1) | instid1(VALU_DEP_2)
	v_subrev_nc_u32_e32 v2, 28, v6
	v_sub_nc_u32_e32 v6, 29, v6
	v_lshlrev_b64_e32 v[2:3], v2, v[0:1]
; %bb.1815:                             ;   in Loop: Header=BB357_15 Depth=1
	s_or_b32 exec_lo, exec_lo, s19
	s_delay_alu instid0(VALU_DEP_1) | instskip(NEXT) | instid1(VALU_DEP_3)
	v_dual_lshlrev_b32 v2, 20, v2 :: v_dual_lshlrev_b32 v3, 24, v0
	v_lshl_add_u32 v6, v6, 23, 0x3c000000
	s_delay_alu instid0(VALU_DEP_2) | instskip(NEXT) | instid1(VALU_DEP_3)
	v_and_b32_e32 v2, 0x700000, v2
	v_and_b32_e32 v3, 0x80000000, v3
	s_delay_alu instid0(VALU_DEP_1)
	v_or3_b32 v124, v2, v3, v6
.LBB357_1816:                           ;   in Loop: Header=BB357_15 Depth=1
	s_or_b32 exec_lo, exec_lo, s18
.LBB357_1817:                           ;   in Loop: Header=BB357_15 Depth=1
	s_delay_alu instid0(SALU_CYCLE_1)
	s_or_b32 exec_lo, exec_lo, s17
.LBB357_1818:                           ;   in Loop: Header=BB357_15 Depth=1
	s_delay_alu instid0(SALU_CYCLE_1) | instskip(SKIP_2) | instid1(VALU_DEP_1)
	s_or_b32 exec_lo, exec_lo, s16
	v_lshrrev_b16 v2, 8, v0
	s_mov_b32 s16, exec_lo
	v_cmpx_ne_u16_e32 0, v2
	s_cbranch_execz .LBB357_1826
; %bb.1819:                             ;   in Loop: Header=BB357_15 Depth=1
	v_bfrev_b32_e32 v125, 1
	s_mov_b32 s17, exec_lo
	v_cmpx_ne_u16_e32 0x80, v2
	s_cbranch_execz .LBB357_1825
; %bb.1820:                             ;   in Loop: Header=BB357_15 Depth=1
	v_and_b32_e32 v2, 0xffff, v2
	v_mov_b32_e32 v125, 0x7f800001
	s_mov_b32 s18, exec_lo
	s_delay_alu instid0(VALU_DEP_2) | instskip(NEXT) | instid1(VALU_DEP_1)
	v_and_b32_e32 v6, 0x7f, v2
	v_cmpx_ne_u32_e32 0x7f, v6
	s_cbranch_execz .LBB357_1824
; %bb.1821:                             ;   in Loop: Header=BB357_15 Depth=1
	v_and_b32_e32 v24, 7, v2
	s_mov_b32 s19, exec_lo
	s_delay_alu instid0(VALU_DEP_1)
	v_mov_b64_e32 v[2:3], v[24:25]
	v_lshrrev_b32_e32 v3, 3, v6
	v_cmpx_gt_u32_e32 8, v6
; %bb.1822:                             ;   in Loop: Header=BB357_15 Depth=1
	v_clz_i32_u32_e32 v2, v24
	s_delay_alu instid0(VALU_DEP_1) | instskip(NEXT) | instid1(VALU_DEP_1)
	v_min_u32_e32 v6, 32, v2
	v_subrev_nc_u32_e32 v2, 28, v6
	s_delay_alu instid0(VALU_DEP_1) | instskip(SKIP_1) | instid1(VALU_DEP_2)
	v_lshlrev_b64_e32 v[2:3], v2, v[24:25]
	v_sub_nc_u32_e32 v3, 29, v6
	v_and_b32_e32 v2, 7, v2
; %bb.1823:                             ;   in Loop: Header=BB357_15 Depth=1
	s_or_b32 exec_lo, exec_lo, s19
	s_delay_alu instid0(VALU_DEP_1) | instskip(NEXT) | instid1(VALU_DEP_3)
	v_dual_lshlrev_b32 v6, 16, v0 :: v_dual_lshlrev_b32 v2, 20, v2
	v_lshl_add_u32 v3, v3, 23, 0x3c000000
	s_delay_alu instid0(VALU_DEP_2) | instskip(NEXT) | instid1(VALU_DEP_1)
	v_and_b32_e32 v6, 0x80000000, v6
	v_or3_b32 v125, v2, v6, v3
.LBB357_1824:                           ;   in Loop: Header=BB357_15 Depth=1
	s_or_b32 exec_lo, exec_lo, s18
.LBB357_1825:                           ;   in Loop: Header=BB357_15 Depth=1
	s_delay_alu instid0(SALU_CYCLE_1)
	s_or_b32 exec_lo, exec_lo, s17
.LBB357_1826:                           ;   in Loop: Header=BB357_15 Depth=1
	s_delay_alu instid0(SALU_CYCLE_1) | instskip(SKIP_3) | instid1(VALU_DEP_2)
	s_or_b32 exec_lo, exec_lo, s16
	v_dual_mov_b32 v127, 0 :: v_dual_lshrrev_b32 v6, 16, v0
	v_mov_b32_e32 v126, 0
	s_mov_b32 s16, exec_lo
	v_and_b32_e32 v2, 0xff, v6
	s_delay_alu instid0(VALU_DEP_1)
	v_cmpx_ne_u16_e32 0, v2
	s_cbranch_execz .LBB357_1834
; %bb.1827:                             ;   in Loop: Header=BB357_15 Depth=1
	v_bfrev_b32_e32 v126, 1
	s_mov_b32 s17, exec_lo
	v_cmpx_ne_u16_e32 0x80, v2
	s_cbranch_execz .LBB357_1833
; %bb.1828:                             ;   in Loop: Header=BB357_15 Depth=1
	v_bfe_u32 v7, v0, 16, 7
	v_mov_b32_e32 v126, 0x7f800001
	s_mov_b32 s18, exec_lo
	s_delay_alu instid0(VALU_DEP_2)
	v_cmpx_ne_u32_e32 0x7f, v7
	s_cbranch_execz .LBB357_1832
; %bb.1829:                             ;   in Loop: Header=BB357_15 Depth=1
	v_and_b32_e32 v24, 7, v6
	s_mov_b32 s19, exec_lo
	s_delay_alu instid0(VALU_DEP_1)
	v_mov_b64_e32 v[2:3], v[24:25]
	v_lshrrev_b32_e32 v3, 3, v7
	v_cmpx_gt_u32_e32 8, v7
; %bb.1830:                             ;   in Loop: Header=BB357_15 Depth=1
	v_clz_i32_u32_e32 v2, v24
	s_delay_alu instid0(VALU_DEP_1) | instskip(NEXT) | instid1(VALU_DEP_1)
	v_min_u32_e32 v7, 32, v2
	v_subrev_nc_u32_e32 v2, 28, v7
	s_delay_alu instid0(VALU_DEP_1) | instskip(NEXT) | instid1(VALU_DEP_1)
	v_lshlrev_b64_e32 v[2:3], v2, v[24:25]
	v_dual_sub_nc_u32 v3, 29, v7 :: v_dual_bitop2_b32 v2, 7, v2 bitop3:0x40
; %bb.1831:                             ;   in Loop: Header=BB357_15 Depth=1
	s_or_b32 exec_lo, exec_lo, s19
	v_lshlrev_b32_e32 v6, 24, v6
	s_delay_alu instid0(VALU_DEP_2) | instskip(NEXT) | instid1(VALU_DEP_3)
	v_lshlrev_b32_e32 v2, 20, v2
	v_lshl_add_u32 v3, v3, 23, 0x3c000000
	s_delay_alu instid0(VALU_DEP_3) | instskip(NEXT) | instid1(VALU_DEP_1)
	v_and_b32_e32 v6, 0x80000000, v6
	v_or3_b32 v126, v2, v6, v3
.LBB357_1832:                           ;   in Loop: Header=BB357_15 Depth=1
	s_or_b32 exec_lo, exec_lo, s18
.LBB357_1833:                           ;   in Loop: Header=BB357_15 Depth=1
	s_delay_alu instid0(SALU_CYCLE_1)
	s_or_b32 exec_lo, exec_lo, s17
.LBB357_1834:                           ;   in Loop: Header=BB357_15 Depth=1
	s_delay_alu instid0(SALU_CYCLE_1) | instskip(NEXT) | instid1(SALU_CYCLE_1)
	s_or_b32 exec_lo, exec_lo, s16
	s_mov_b32 s16, exec_lo
	v_cmpx_lt_u32_e32 0xffffff, v0
	s_cbranch_execz .LBB357_1842
; %bb.1835:                             ;   in Loop: Header=BB357_15 Depth=1
	v_lshrrev_b32_e32 v6, 24, v0
	v_bfrev_b32_e32 v127, 1
	s_mov_b32 s17, exec_lo
	s_delay_alu instid0(VALU_DEP_2)
	v_cmpx_ne_u32_e32 0x80, v6
	s_cbranch_execz .LBB357_1841
; %bb.1836:                             ;   in Loop: Header=BB357_15 Depth=1
	v_bfe_u32 v7, v0, 24, 7
	v_mov_b32_e32 v127, 0x7f800001
	s_mov_b32 s18, exec_lo
	s_delay_alu instid0(VALU_DEP_2)
	v_cmpx_ne_u32_e32 0x7f, v7
	s_cbranch_execz .LBB357_1840
; %bb.1837:                             ;   in Loop: Header=BB357_15 Depth=1
	v_and_b32_e32 v24, 7, v6
	s_mov_b32 s19, exec_lo
	s_delay_alu instid0(VALU_DEP_1)
	v_mov_b64_e32 v[2:3], v[24:25]
	v_lshrrev_b32_e32 v3, 3, v7
	v_cmpx_gt_u32_e32 8, v7
; %bb.1838:                             ;   in Loop: Header=BB357_15 Depth=1
	v_clz_i32_u32_e32 v2, v24
	s_delay_alu instid0(VALU_DEP_1) | instskip(NEXT) | instid1(VALU_DEP_1)
	v_min_u32_e32 v7, 32, v2
	v_subrev_nc_u32_e32 v2, 28, v7
	s_delay_alu instid0(VALU_DEP_1) | instskip(NEXT) | instid1(VALU_DEP_1)
	v_lshlrev_b64_e32 v[2:3], v2, v[24:25]
	v_dual_sub_nc_u32 v3, 29, v7 :: v_dual_bitop2_b32 v2, 7, v2 bitop3:0x40
; %bb.1839:                             ;   in Loop: Header=BB357_15 Depth=1
	s_or_b32 exec_lo, exec_lo, s19
	v_lshlrev_b32_e32 v6, 24, v6
	s_delay_alu instid0(VALU_DEP_2) | instskip(NEXT) | instid1(VALU_DEP_3)
	v_lshlrev_b32_e32 v2, 20, v2
	v_lshl_add_u32 v3, v3, 23, 0x3c000000
	s_delay_alu instid0(VALU_DEP_3) | instskip(NEXT) | instid1(VALU_DEP_1)
	v_and_b32_e32 v6, 0x80000000, v6
	v_or3_b32 v127, v2, v6, v3
.LBB357_1840:                           ;   in Loop: Header=BB357_15 Depth=1
	s_or_b32 exec_lo, exec_lo, s18
.LBB357_1841:                           ;   in Loop: Header=BB357_15 Depth=1
	s_delay_alu instid0(SALU_CYCLE_1)
	s_or_b32 exec_lo, exec_lo, s17
.LBB357_1842:                           ;   in Loop: Header=BB357_15 Depth=1
	s_delay_alu instid0(SALU_CYCLE_1) | instskip(SKIP_4) | instid1(VALU_DEP_3)
	s_or_b32 exec_lo, exec_lo, s16
	v_and_b32_e32 v6, 0xff, v1
	v_dual_mov_b32 v24, v1 :: v_dual_mov_b32 v3, 0
	v_mov_b32_e32 v2, 0
	s_mov_b32 s16, exec_lo
	v_cmpx_ne_u16_e32 0, v6
	s_cbranch_execz .LBB357_1850
; %bb.1843:                             ;   in Loop: Header=BB357_15 Depth=1
	v_bfrev_b32_e32 v2, 1
	s_mov_b32 s17, exec_lo
	v_cmpx_ne_u16_e32 0x80, v6
	s_cbranch_execz .LBB357_1849
; %bb.1844:                             ;   in Loop: Header=BB357_15 Depth=1
	v_and_b32_e32 v8, 0x7f, v1
	v_mov_b32_e32 v2, 0x7f800001
	s_mov_b32 s18, exec_lo
	s_delay_alu instid0(VALU_DEP_2)
	v_cmpx_ne_u32_e32 0x7f, v8
	s_cbranch_execz .LBB357_1848
; %bb.1845:                             ;   in Loop: Header=BB357_15 Depth=1
	v_mov_b64_e32 v[6:7], v[24:25]
	v_lshrrev_b32_e32 v2, 3, v8
	s_mov_b32 s19, exec_lo
	v_cmpx_gt_u32_e32 8, v8
; %bb.1846:                             ;   in Loop: Header=BB357_15 Depth=1
	v_and_b32_e32 v2, 7, v1
	s_delay_alu instid0(VALU_DEP_1) | instskip(NEXT) | instid1(VALU_DEP_1)
	v_clz_i32_u32_e32 v2, v2
	v_min_u32_e32 v2, 32, v2
	s_delay_alu instid0(VALU_DEP_1) | instskip(SKIP_1) | instid1(VALU_DEP_2)
	v_subrev_nc_u32_e32 v6, 28, v2
	v_sub_nc_u32_e32 v2, 29, v2
	v_lshlrev_b64_e32 v[6:7], v6, v[24:25]
; %bb.1847:                             ;   in Loop: Header=BB357_15 Depth=1
	s_or_b32 exec_lo, exec_lo, s19
	s_delay_alu instid0(VALU_DEP_1) | instskip(NEXT) | instid1(VALU_DEP_3)
	v_dual_lshlrev_b32 v6, 20, v6 :: v_dual_lshlrev_b32 v7, 24, v24
	v_lshl_add_u32 v2, v2, 23, 0x3c000000
	s_delay_alu instid0(VALU_DEP_2) | instskip(NEXT) | instid1(VALU_DEP_3)
	v_and_b32_e32 v6, 0x700000, v6
	v_and_b32_e32 v7, 0x80000000, v7
	s_delay_alu instid0(VALU_DEP_1)
	v_or3_b32 v2, v6, v7, v2
.LBB357_1848:                           ;   in Loop: Header=BB357_15 Depth=1
	s_or_b32 exec_lo, exec_lo, s18
.LBB357_1849:                           ;   in Loop: Header=BB357_15 Depth=1
	s_delay_alu instid0(SALU_CYCLE_1)
	s_or_b32 exec_lo, exec_lo, s17
.LBB357_1850:                           ;   in Loop: Header=BB357_15 Depth=1
	s_delay_alu instid0(SALU_CYCLE_1) | instskip(SKIP_2) | instid1(VALU_DEP_1)
	s_or_b32 exec_lo, exec_lo, s16
	v_lshrrev_b16 v6, 8, v24
	s_mov_b32 s16, exec_lo
	v_cmpx_ne_u16_e32 0, v6
	s_cbranch_execz .LBB357_1858
; %bb.1851:                             ;   in Loop: Header=BB357_15 Depth=1
	v_bfrev_b32_e32 v3, 1
	s_mov_b32 s17, exec_lo
	v_cmpx_ne_u16_e32 0x80, v6
	s_cbranch_execz .LBB357_1857
; %bb.1852:                             ;   in Loop: Header=BB357_15 Depth=1
	v_and_b32_e32 v6, 0xffff, v6
	v_mov_b32_e32 v3, 0x7f800001
	s_mov_b32 s18, exec_lo
	s_delay_alu instid0(VALU_DEP_2) | instskip(NEXT) | instid1(VALU_DEP_1)
	v_and_b32_e32 v8, 0x7f, v6
	v_cmpx_ne_u32_e32 0x7f, v8
	s_cbranch_execz .LBB357_1856
; %bb.1853:                             ;   in Loop: Header=BB357_15 Depth=1
	v_dual_mov_b32 v7, v25 :: v_dual_bitop2_b32 v6, 7, v6 bitop3:0x40
	v_lshrrev_b32_e32 v3, 3, v8
	s_mov_b32 s19, exec_lo
	v_cmpx_gt_u32_e32 8, v8
; %bb.1854:                             ;   in Loop: Header=BB357_15 Depth=1
	s_delay_alu instid0(VALU_DEP_3) | instskip(NEXT) | instid1(VALU_DEP_1)
	v_clz_i32_u32_e32 v3, v6
	v_min_u32_e32 v3, 32, v3
	s_delay_alu instid0(VALU_DEP_1) | instskip(NEXT) | instid1(VALU_DEP_1)
	v_subrev_nc_u32_e32 v8, 28, v3
	v_lshlrev_b64_e32 v[6:7], v8, v[6:7]
	s_delay_alu instid0(VALU_DEP_1)
	v_dual_sub_nc_u32 v3, 29, v3 :: v_dual_bitop2_b32 v6, 7, v6 bitop3:0x40
; %bb.1855:                             ;   in Loop: Header=BB357_15 Depth=1
	s_or_b32 exec_lo, exec_lo, s19
	s_delay_alu instid0(VALU_DEP_1) | instskip(NEXT) | instid1(VALU_DEP_2)
	v_dual_lshlrev_b32 v7, 16, v24 :: v_dual_lshlrev_b32 v6, 20, v6
	v_lshl_add_u32 v3, v3, 23, 0x3c000000
	s_delay_alu instid0(VALU_DEP_2) | instskip(NEXT) | instid1(VALU_DEP_1)
	v_and_b32_e32 v7, 0x80000000, v7
	v_or3_b32 v3, v6, v7, v3
.LBB357_1856:                           ;   in Loop: Header=BB357_15 Depth=1
	s_or_b32 exec_lo, exec_lo, s18
.LBB357_1857:                           ;   in Loop: Header=BB357_15 Depth=1
	s_delay_alu instid0(SALU_CYCLE_1)
	s_or_b32 exec_lo, exec_lo, s17
.LBB357_1858:                           ;   in Loop: Header=BB357_15 Depth=1
	s_delay_alu instid0(SALU_CYCLE_1) | instskip(SKIP_3) | instid1(VALU_DEP_2)
	s_or_b32 exec_lo, exec_lo, s16
	v_dual_mov_b32 v27, 0 :: v_dual_lshrrev_b32 v8, 16, v1
	v_mov_b32_e32 v26, 0
	s_mov_b32 s16, exec_lo
	v_and_b32_e32 v6, 0xff, v8
	s_delay_alu instid0(VALU_DEP_1)
	v_cmpx_ne_u16_e32 0, v6
	s_cbranch_execz .LBB357_1866
; %bb.1859:                             ;   in Loop: Header=BB357_15 Depth=1
	v_bfrev_b32_e32 v26, 1
	s_mov_b32 s17, exec_lo
	v_cmpx_ne_u16_e32 0x80, v6
	s_cbranch_execz .LBB357_1865
; %bb.1860:                             ;   in Loop: Header=BB357_15 Depth=1
	v_bfe_u32 v9, v1, 16, 7
	v_mov_b32_e32 v26, 0x7f800001
	s_mov_b32 s18, exec_lo
	s_delay_alu instid0(VALU_DEP_2)
	v_cmpx_ne_u32_e32 0x7f, v9
	s_cbranch_execz .LBB357_1864
; %bb.1861:                             ;   in Loop: Header=BB357_15 Depth=1
	v_and_b32_e32 v24, 7, v8
	s_mov_b32 s19, exec_lo
	s_delay_alu instid0(VALU_DEP_1)
	v_mov_b64_e32 v[6:7], v[24:25]
	v_lshrrev_b32_e32 v7, 3, v9
	v_cmpx_gt_u32_e32 8, v9
; %bb.1862:                             ;   in Loop: Header=BB357_15 Depth=1
	v_clz_i32_u32_e32 v6, v24
	s_delay_alu instid0(VALU_DEP_1) | instskip(NEXT) | instid1(VALU_DEP_1)
	v_min_u32_e32 v9, 32, v6
	v_subrev_nc_u32_e32 v6, 28, v9
	s_delay_alu instid0(VALU_DEP_1) | instskip(NEXT) | instid1(VALU_DEP_1)
	v_lshlrev_b64_e32 v[6:7], v6, v[24:25]
	v_dual_sub_nc_u32 v7, 29, v9 :: v_dual_bitop2_b32 v6, 7, v6 bitop3:0x40
; %bb.1863:                             ;   in Loop: Header=BB357_15 Depth=1
	s_or_b32 exec_lo, exec_lo, s19
	s_delay_alu instid0(VALU_DEP_1) | instskip(NEXT) | instid1(VALU_DEP_2)
	v_dual_lshlrev_b32 v8, 24, v8 :: v_dual_lshlrev_b32 v6, 20, v6
	v_lshl_add_u32 v7, v7, 23, 0x3c000000
	s_delay_alu instid0(VALU_DEP_2) | instskip(NEXT) | instid1(VALU_DEP_1)
	v_and_b32_e32 v8, 0x80000000, v8
	v_or3_b32 v26, v6, v8, v7
.LBB357_1864:                           ;   in Loop: Header=BB357_15 Depth=1
	s_or_b32 exec_lo, exec_lo, s18
.LBB357_1865:                           ;   in Loop: Header=BB357_15 Depth=1
	s_delay_alu instid0(SALU_CYCLE_1)
	s_or_b32 exec_lo, exec_lo, s17
.LBB357_1866:                           ;   in Loop: Header=BB357_15 Depth=1
	s_delay_alu instid0(SALU_CYCLE_1) | instskip(NEXT) | instid1(SALU_CYCLE_1)
	s_or_b32 exec_lo, exec_lo, s16
	s_mov_b32 s16, exec_lo
	v_cmpx_lt_u64_e64 s[8:9], v[0:1]
	s_cbranch_execz .LBB357_1874
; %bb.1867:                             ;   in Loop: Header=BB357_15 Depth=1
	v_lshrrev_b32_e32 v6, 24, v1
	v_bfrev_b32_e32 v27, 1
	s_mov_b32 s17, exec_lo
	s_delay_alu instid0(VALU_DEP_2)
	v_cmpx_ne_u32_e32 0x80, v6
	s_cbranch_execz .LBB357_1873
; %bb.1868:                             ;   in Loop: Header=BB357_15 Depth=1
	v_bfe_u32 v7, v1, 24, 7
	v_mov_b32_e32 v27, 0x7f800001
	s_mov_b32 s18, exec_lo
	s_delay_alu instid0(VALU_DEP_2)
	v_cmpx_ne_u32_e32 0x7f, v7
	s_cbranch_execz .LBB357_1872
; %bb.1869:                             ;   in Loop: Header=BB357_15 Depth=1
	v_and_b32_e32 v24, 7, v6
	s_mov_b32 s19, exec_lo
	s_delay_alu instid0(VALU_DEP_1)
	v_mov_b64_e32 v[0:1], v[24:25]
	v_lshrrev_b32_e32 v1, 3, v7
	v_cmpx_gt_u32_e32 8, v7
; %bb.1870:                             ;   in Loop: Header=BB357_15 Depth=1
	v_clz_i32_u32_e32 v0, v24
	s_delay_alu instid0(VALU_DEP_1) | instskip(NEXT) | instid1(VALU_DEP_1)
	v_min_u32_e32 v7, 32, v0
	v_subrev_nc_u32_e32 v0, 28, v7
	s_delay_alu instid0(VALU_DEP_1) | instskip(NEXT) | instid1(VALU_DEP_1)
	v_lshlrev_b64_e32 v[0:1], v0, v[24:25]
	v_dual_sub_nc_u32 v1, 29, v7 :: v_dual_bitop2_b32 v0, 7, v0 bitop3:0x40
; %bb.1871:                             ;   in Loop: Header=BB357_15 Depth=1
	s_or_b32 exec_lo, exec_lo, s19
	s_delay_alu instid0(VALU_DEP_1) | instskip(NEXT) | instid1(VALU_DEP_2)
	v_dual_lshlrev_b32 v6, 24, v6 :: v_dual_lshlrev_b32 v0, 20, v0
	v_lshl_add_u32 v1, v1, 23, 0x3c000000
	s_delay_alu instid0(VALU_DEP_2) | instskip(NEXT) | instid1(VALU_DEP_1)
	v_and_b32_e32 v6, 0x80000000, v6
	v_or3_b32 v27, v0, v6, v1
.LBB357_1872:                           ;   in Loop: Header=BB357_15 Depth=1
	s_or_b32 exec_lo, exec_lo, s18
.LBB357_1873:                           ;   in Loop: Header=BB357_15 Depth=1
	s_delay_alu instid0(SALU_CYCLE_1)
	s_or_b32 exec_lo, exec_lo, s17
.LBB357_1874:                           ;   in Loop: Header=BB357_15 Depth=1
	s_delay_alu instid0(SALU_CYCLE_1)
	s_or_b32 exec_lo, exec_lo, s16
	flat_load_b64 v[8:9], v[102:103] offset:7176
	v_dual_mov_b32 v1, 0 :: v_dual_mov_b32 v0, 0
	s_mov_b32 s16, exec_lo
	s_wait_loadcnt_dscnt 0x0
	v_and_b32_e32 v6, 0xff, v8
	s_wait_xcnt 0x0
	s_delay_alu instid0(VALU_DEP_1)
	v_cmpx_ne_u16_e32 0, v6
	s_cbranch_execz .LBB357_1882
; %bb.1875:                             ;   in Loop: Header=BB357_15 Depth=1
	v_bfrev_b32_e32 v0, 1
	s_mov_b32 s17, exec_lo
	v_cmpx_ne_u16_e32 0x80, v6
	s_cbranch_execz .LBB357_1881
; %bb.1876:                             ;   in Loop: Header=BB357_15 Depth=1
	v_and_b32_e32 v6, 0x7f, v8
	v_mov_b32_e32 v0, 0x7f800001
	s_mov_b32 s18, exec_lo
	s_delay_alu instid0(VALU_DEP_2)
	v_cmpx_ne_u32_e32 0x7f, v6
	s_cbranch_execz .LBB357_1880
; %bb.1877:                             ;   in Loop: Header=BB357_15 Depth=1
	v_lshrrev_b32_e32 v0, 3, v6
	v_cmp_gt_u32_e64 s1, 8, v6
	v_mov_b64_e32 v[6:7], v[8:9]
	s_and_saveexec_b32 s19, s1
; %bb.1878:                             ;   in Loop: Header=BB357_15 Depth=1
	v_and_b32_e32 v0, 7, v8
	s_delay_alu instid0(VALU_DEP_1) | instskip(NEXT) | instid1(VALU_DEP_1)
	v_clz_i32_u32_e32 v0, v0
	v_min_u32_e32 v0, 32, v0
	s_delay_alu instid0(VALU_DEP_1) | instskip(SKIP_1) | instid1(VALU_DEP_2)
	v_subrev_nc_u32_e32 v6, 28, v0
	v_sub_nc_u32_e32 v0, 29, v0
	v_lshlrev_b64_e32 v[6:7], v6, v[8:9]
; %bb.1879:                             ;   in Loop: Header=BB357_15 Depth=1
	s_or_b32 exec_lo, exec_lo, s19
	s_delay_alu instid0(VALU_DEP_1) | instskip(NEXT) | instid1(VALU_DEP_3)
	v_dual_lshlrev_b32 v6, 20, v6 :: v_dual_lshlrev_b32 v7, 24, v8
	v_lshl_add_u32 v0, v0, 23, 0x3c000000
	s_delay_alu instid0(VALU_DEP_2) | instskip(NEXT) | instid1(VALU_DEP_3)
	v_and_b32_e32 v6, 0x700000, v6
	v_and_b32_e32 v7, 0x80000000, v7
	s_delay_alu instid0(VALU_DEP_1)
	v_or3_b32 v0, v6, v7, v0
.LBB357_1880:                           ;   in Loop: Header=BB357_15 Depth=1
	s_or_b32 exec_lo, exec_lo, s18
.LBB357_1881:                           ;   in Loop: Header=BB357_15 Depth=1
	s_delay_alu instid0(SALU_CYCLE_1)
	s_or_b32 exec_lo, exec_lo, s17
.LBB357_1882:                           ;   in Loop: Header=BB357_15 Depth=1
	s_delay_alu instid0(SALU_CYCLE_1) | instskip(SKIP_2) | instid1(VALU_DEP_1)
	s_or_b32 exec_lo, exec_lo, s16
	v_lshrrev_b16 v6, 8, v8
	s_mov_b32 s16, exec_lo
	v_cmpx_ne_u16_e32 0, v6
	s_cbranch_execz .LBB357_1890
; %bb.1883:                             ;   in Loop: Header=BB357_15 Depth=1
	v_bfrev_b32_e32 v1, 1
	s_mov_b32 s17, exec_lo
	v_cmpx_ne_u16_e32 0x80, v6
	s_cbranch_execz .LBB357_1889
; %bb.1884:                             ;   in Loop: Header=BB357_15 Depth=1
	v_and_b32_e32 v6, 0xffff, v6
	v_mov_b32_e32 v1, 0x7f800001
	s_mov_b32 s18, exec_lo
	s_delay_alu instid0(VALU_DEP_2) | instskip(NEXT) | instid1(VALU_DEP_1)
	v_and_b32_e32 v10, 0x7f, v6
	v_cmpx_ne_u32_e32 0x7f, v10
	s_cbranch_execz .LBB357_1888
; %bb.1885:                             ;   in Loop: Header=BB357_15 Depth=1
	v_and_b32_e32 v24, 7, v6
	v_lshrrev_b32_e32 v1, 3, v10
	s_mov_b32 s19, exec_lo
	s_delay_alu instid0(VALU_DEP_2)
	v_mov_b64_e32 v[6:7], v[24:25]
	v_cmpx_gt_u32_e32 8, v10
; %bb.1886:                             ;   in Loop: Header=BB357_15 Depth=1
	v_clz_i32_u32_e32 v1, v24
	s_delay_alu instid0(VALU_DEP_1) | instskip(NEXT) | instid1(VALU_DEP_1)
	v_min_u32_e32 v1, 32, v1
	v_subrev_nc_u32_e32 v6, 28, v1
	s_delay_alu instid0(VALU_DEP_1) | instskip(NEXT) | instid1(VALU_DEP_1)
	v_lshlrev_b64_e32 v[6:7], v6, v[24:25]
	v_dual_sub_nc_u32 v1, 29, v1 :: v_dual_bitop2_b32 v6, 7, v6 bitop3:0x40
; %bb.1887:                             ;   in Loop: Header=BB357_15 Depth=1
	s_or_b32 exec_lo, exec_lo, s19
	s_delay_alu instid0(VALU_DEP_1) | instskip(NEXT) | instid1(VALU_DEP_2)
	v_dual_lshlrev_b32 v7, 16, v8 :: v_dual_lshlrev_b32 v6, 20, v6
	v_lshl_add_u32 v1, v1, 23, 0x3c000000
	s_delay_alu instid0(VALU_DEP_2) | instskip(NEXT) | instid1(VALU_DEP_1)
	v_and_b32_e32 v7, 0x80000000, v7
	v_or3_b32 v1, v6, v7, v1
.LBB357_1888:                           ;   in Loop: Header=BB357_15 Depth=1
	s_or_b32 exec_lo, exec_lo, s18
.LBB357_1889:                           ;   in Loop: Header=BB357_15 Depth=1
	s_delay_alu instid0(SALU_CYCLE_1)
	s_or_b32 exec_lo, exec_lo, s17
.LBB357_1890:                           ;   in Loop: Header=BB357_15 Depth=1
	s_delay_alu instid0(SALU_CYCLE_1) | instskip(SKIP_3) | instid1(VALU_DEP_2)
	s_or_b32 exec_lo, exec_lo, s16
	v_dual_mov_b32 v7, 0 :: v_dual_lshrrev_b32 v18, 16, v8
	v_mov_b32_e32 v6, 0
	s_mov_b32 s16, exec_lo
	v_and_b32_e32 v10, 0xff, v18
	s_delay_alu instid0(VALU_DEP_1)
	v_cmpx_ne_u16_e32 0, v10
	s_cbranch_execz .LBB357_1898
; %bb.1891:                             ;   in Loop: Header=BB357_15 Depth=1
	v_bfrev_b32_e32 v6, 1
	s_mov_b32 s17, exec_lo
	v_cmpx_ne_u16_e32 0x80, v10
	s_cbranch_execz .LBB357_1897
; %bb.1892:                             ;   in Loop: Header=BB357_15 Depth=1
	v_bfe_u32 v19, v8, 16, 7
	v_mov_b32_e32 v6, 0x7f800001
	s_mov_b32 s18, exec_lo
	s_delay_alu instid0(VALU_DEP_2)
	v_cmpx_ne_u32_e32 0x7f, v19
	s_cbranch_execz .LBB357_1896
; %bb.1893:                             ;   in Loop: Header=BB357_15 Depth=1
	v_dual_lshrrev_b32 v6, 3, v19 :: v_dual_bitop2_b32 v24, 7, v18 bitop3:0x40
	s_mov_b32 s19, exec_lo
	s_delay_alu instid0(VALU_DEP_1)
	v_mov_b64_e32 v[10:11], v[24:25]
	v_cmpx_gt_u32_e32 8, v19
; %bb.1894:                             ;   in Loop: Header=BB357_15 Depth=1
	v_clz_i32_u32_e32 v6, v24
	s_delay_alu instid0(VALU_DEP_1) | instskip(NEXT) | instid1(VALU_DEP_1)
	v_min_u32_e32 v6, 32, v6
	v_subrev_nc_u32_e32 v10, 28, v6
	v_sub_nc_u32_e32 v6, 29, v6
	s_delay_alu instid0(VALU_DEP_2) | instskip(NEXT) | instid1(VALU_DEP_1)
	v_lshlrev_b64_e32 v[10:11], v10, v[24:25]
	v_and_b32_e32 v10, 7, v10
; %bb.1895:                             ;   in Loop: Header=BB357_15 Depth=1
	s_or_b32 exec_lo, exec_lo, s19
	v_lshlrev_b32_e32 v11, 24, v18
	s_delay_alu instid0(VALU_DEP_2) | instskip(SKIP_1) | instid1(VALU_DEP_3)
	v_lshlrev_b32_e32 v10, 20, v10
	v_lshl_add_u32 v6, v6, 23, 0x3c000000
	v_and_b32_e32 v11, 0x80000000, v11
	s_delay_alu instid0(VALU_DEP_1)
	v_or3_b32 v6, v10, v11, v6
.LBB357_1896:                           ;   in Loop: Header=BB357_15 Depth=1
	s_or_b32 exec_lo, exec_lo, s18
.LBB357_1897:                           ;   in Loop: Header=BB357_15 Depth=1
	s_delay_alu instid0(SALU_CYCLE_1)
	s_or_b32 exec_lo, exec_lo, s17
.LBB357_1898:                           ;   in Loop: Header=BB357_15 Depth=1
	s_delay_alu instid0(SALU_CYCLE_1) | instskip(NEXT) | instid1(SALU_CYCLE_1)
	s_or_b32 exec_lo, exec_lo, s16
	s_mov_b32 s16, exec_lo
	v_cmpx_lt_u32_e32 0xffffff, v8
	s_cbranch_execz .LBB357_1906
; %bb.1899:                             ;   in Loop: Header=BB357_15 Depth=1
	v_lshrrev_b32_e32 v18, 24, v8
	v_bfrev_b32_e32 v7, 1
	s_mov_b32 s17, exec_lo
	s_delay_alu instid0(VALU_DEP_2)
	v_cmpx_ne_u32_e32 0x80, v18
	s_cbranch_execz .LBB357_1905
; %bb.1900:                             ;   in Loop: Header=BB357_15 Depth=1
	v_bfe_u32 v19, v8, 24, 7
	v_mov_b32_e32 v7, 0x7f800001
	s_mov_b32 s18, exec_lo
	s_delay_alu instid0(VALU_DEP_2)
	v_cmpx_ne_u32_e32 0x7f, v19
	s_cbranch_execz .LBB357_1904
; %bb.1901:                             ;   in Loop: Header=BB357_15 Depth=1
	v_dual_lshrrev_b32 v7, 3, v19 :: v_dual_bitop2_b32 v24, 7, v18 bitop3:0x40
	s_mov_b32 s19, exec_lo
	s_delay_alu instid0(VALU_DEP_1)
	v_mov_b64_e32 v[10:11], v[24:25]
	v_cmpx_gt_u32_e32 8, v19
; %bb.1902:                             ;   in Loop: Header=BB357_15 Depth=1
	v_clz_i32_u32_e32 v7, v24
	s_delay_alu instid0(VALU_DEP_1) | instskip(NEXT) | instid1(VALU_DEP_1)
	v_min_u32_e32 v7, 32, v7
	v_subrev_nc_u32_e32 v10, 28, v7
	s_delay_alu instid0(VALU_DEP_1) | instskip(NEXT) | instid1(VALU_DEP_1)
	v_lshlrev_b64_e32 v[10:11], v10, v[24:25]
	v_dual_sub_nc_u32 v7, 29, v7 :: v_dual_bitop2_b32 v10, 7, v10 bitop3:0x40
; %bb.1903:                             ;   in Loop: Header=BB357_15 Depth=1
	s_or_b32 exec_lo, exec_lo, s19
	v_lshlrev_b32_e32 v11, 24, v18
	s_delay_alu instid0(VALU_DEP_2) | instskip(NEXT) | instid1(VALU_DEP_3)
	v_lshlrev_b32_e32 v10, 20, v10
	v_lshl_add_u32 v7, v7, 23, 0x3c000000
	s_delay_alu instid0(VALU_DEP_3) | instskip(NEXT) | instid1(VALU_DEP_1)
	v_and_b32_e32 v11, 0x80000000, v11
	v_or3_b32 v7, v10, v11, v7
.LBB357_1904:                           ;   in Loop: Header=BB357_15 Depth=1
	s_or_b32 exec_lo, exec_lo, s18
.LBB357_1905:                           ;   in Loop: Header=BB357_15 Depth=1
	s_delay_alu instid0(SALU_CYCLE_1)
	s_or_b32 exec_lo, exec_lo, s17
.LBB357_1906:                           ;   in Loop: Header=BB357_15 Depth=1
	s_delay_alu instid0(SALU_CYCLE_1) | instskip(SKIP_4) | instid1(VALU_DEP_3)
	s_or_b32 exec_lo, exec_lo, s16
	v_and_b32_e32 v18, 0xff, v9
	v_dual_mov_b32 v24, v9 :: v_dual_mov_b32 v11, 0
	v_mov_b32_e32 v10, 0
	s_mov_b32 s16, exec_lo
	v_cmpx_ne_u16_e32 0, v18
	s_cbranch_execz .LBB357_1914
; %bb.1907:                             ;   in Loop: Header=BB357_15 Depth=1
	v_bfrev_b32_e32 v10, 1
	s_mov_b32 s17, exec_lo
	v_cmpx_ne_u16_e32 0x80, v18
	s_cbranch_execz .LBB357_1913
; %bb.1908:                             ;   in Loop: Header=BB357_15 Depth=1
	v_and_b32_e32 v22, 0x7f, v9
	v_mov_b32_e32 v10, 0x7f800001
	s_mov_b32 s18, exec_lo
	s_delay_alu instid0(VALU_DEP_2)
	v_cmpx_ne_u32_e32 0x7f, v22
	s_cbranch_execz .LBB357_1912
; %bb.1909:                             ;   in Loop: Header=BB357_15 Depth=1
	v_mov_b64_e32 v[18:19], v[24:25]
	v_lshrrev_b32_e32 v10, 3, v22
	s_mov_b32 s19, exec_lo
	v_cmpx_gt_u32_e32 8, v22
; %bb.1910:                             ;   in Loop: Header=BB357_15 Depth=1
	v_and_b32_e32 v10, 7, v9
	s_delay_alu instid0(VALU_DEP_1) | instskip(NEXT) | instid1(VALU_DEP_1)
	v_clz_i32_u32_e32 v10, v10
	v_min_u32_e32 v10, 32, v10
	s_delay_alu instid0(VALU_DEP_1) | instskip(SKIP_1) | instid1(VALU_DEP_2)
	v_subrev_nc_u32_e32 v18, 28, v10
	v_sub_nc_u32_e32 v10, 29, v10
	v_lshlrev_b64_e32 v[18:19], v18, v[24:25]
; %bb.1911:                             ;   in Loop: Header=BB357_15 Depth=1
	s_or_b32 exec_lo, exec_lo, s19
	s_delay_alu instid0(VALU_DEP_1) | instskip(NEXT) | instid1(VALU_DEP_3)
	v_dual_lshlrev_b32 v18, 20, v18 :: v_dual_lshlrev_b32 v19, 24, v24
	v_lshl_add_u32 v10, v10, 23, 0x3c000000
	s_delay_alu instid0(VALU_DEP_2) | instskip(NEXT) | instid1(VALU_DEP_3)
	v_and_b32_e32 v18, 0x700000, v18
	v_and_b32_e32 v19, 0x80000000, v19
	s_delay_alu instid0(VALU_DEP_1)
	v_or3_b32 v10, v18, v19, v10
.LBB357_1912:                           ;   in Loop: Header=BB357_15 Depth=1
	s_or_b32 exec_lo, exec_lo, s18
.LBB357_1913:                           ;   in Loop: Header=BB357_15 Depth=1
	s_delay_alu instid0(SALU_CYCLE_1)
	s_or_b32 exec_lo, exec_lo, s17
.LBB357_1914:                           ;   in Loop: Header=BB357_15 Depth=1
	s_delay_alu instid0(SALU_CYCLE_1) | instskip(SKIP_2) | instid1(VALU_DEP_1)
	s_or_b32 exec_lo, exec_lo, s16
	v_lshrrev_b16 v18, 8, v24
	s_mov_b32 s16, exec_lo
	v_cmpx_ne_u16_e32 0, v18
	s_cbranch_execz .LBB357_1922
; %bb.1915:                             ;   in Loop: Header=BB357_15 Depth=1
	v_bfrev_b32_e32 v11, 1
	s_mov_b32 s17, exec_lo
	v_cmpx_ne_u16_e32 0x80, v18
	s_cbranch_execz .LBB357_1921
; %bb.1916:                             ;   in Loop: Header=BB357_15 Depth=1
	v_and_b32_e32 v18, 0xffff, v18
	v_mov_b32_e32 v11, 0x7f800001
	s_mov_b32 s18, exec_lo
	s_delay_alu instid0(VALU_DEP_2) | instskip(NEXT) | instid1(VALU_DEP_1)
	v_and_b32_e32 v22, 0x7f, v18
	v_cmpx_ne_u32_e32 0x7f, v22
	s_cbranch_execz .LBB357_1920
; %bb.1917:                             ;   in Loop: Header=BB357_15 Depth=1
	v_dual_mov_b32 v19, v25 :: v_dual_bitop2_b32 v18, 7, v18 bitop3:0x40
	v_lshrrev_b32_e32 v11, 3, v22
	s_mov_b32 s19, exec_lo
	v_cmpx_gt_u32_e32 8, v22
; %bb.1918:                             ;   in Loop: Header=BB357_15 Depth=1
	s_delay_alu instid0(VALU_DEP_3) | instskip(NEXT) | instid1(VALU_DEP_1)
	v_clz_i32_u32_e32 v11, v18
	v_min_u32_e32 v11, 32, v11
	s_delay_alu instid0(VALU_DEP_1) | instskip(NEXT) | instid1(VALU_DEP_1)
	v_subrev_nc_u32_e32 v22, 28, v11
	v_lshlrev_b64_e32 v[18:19], v22, v[18:19]
	s_delay_alu instid0(VALU_DEP_1)
	v_dual_sub_nc_u32 v11, 29, v11 :: v_dual_bitop2_b32 v18, 7, v18 bitop3:0x40
; %bb.1919:                             ;   in Loop: Header=BB357_15 Depth=1
	s_or_b32 exec_lo, exec_lo, s19
	s_delay_alu instid0(VALU_DEP_1) | instskip(NEXT) | instid1(VALU_DEP_2)
	v_dual_lshlrev_b32 v19, 16, v24 :: v_dual_lshlrev_b32 v18, 20, v18
	v_lshl_add_u32 v11, v11, 23, 0x3c000000
	s_delay_alu instid0(VALU_DEP_2) | instskip(NEXT) | instid1(VALU_DEP_1)
	v_and_b32_e32 v19, 0x80000000, v19
	v_or3_b32 v11, v18, v19, v11
.LBB357_1920:                           ;   in Loop: Header=BB357_15 Depth=1
	s_or_b32 exec_lo, exec_lo, s18
.LBB357_1921:                           ;   in Loop: Header=BB357_15 Depth=1
	s_delay_alu instid0(SALU_CYCLE_1)
	s_or_b32 exec_lo, exec_lo, s17
.LBB357_1922:                           ;   in Loop: Header=BB357_15 Depth=1
	s_delay_alu instid0(SALU_CYCLE_1) | instskip(SKIP_3) | instid1(VALU_DEP_2)
	s_or_b32 exec_lo, exec_lo, s16
	v_dual_mov_b32 v69, 0 :: v_dual_lshrrev_b32 v22, 16, v9
	v_mov_b32_e32 v68, 0
	s_mov_b32 s16, exec_lo
	v_and_b32_e32 v18, 0xff, v22
	s_delay_alu instid0(VALU_DEP_1)
	v_cmpx_ne_u16_e32 0, v18
	s_cbranch_execz .LBB357_1930
; %bb.1923:                             ;   in Loop: Header=BB357_15 Depth=1
	v_bfrev_b32_e32 v68, 1
	s_mov_b32 s17, exec_lo
	v_cmpx_ne_u16_e32 0x80, v18
	s_cbranch_execz .LBB357_1929
; %bb.1924:                             ;   in Loop: Header=BB357_15 Depth=1
	v_bfe_u32 v23, v9, 16, 7
	v_mov_b32_e32 v68, 0x7f800001
	s_mov_b32 s18, exec_lo
	s_delay_alu instid0(VALU_DEP_2)
	v_cmpx_ne_u32_e32 0x7f, v23
	s_cbranch_execz .LBB357_1928
; %bb.1925:                             ;   in Loop: Header=BB357_15 Depth=1
	v_and_b32_e32 v24, 7, v22
	s_mov_b32 s19, exec_lo
	s_delay_alu instid0(VALU_DEP_1)
	v_mov_b64_e32 v[18:19], v[24:25]
	v_lshrrev_b32_e32 v19, 3, v23
	v_cmpx_gt_u32_e32 8, v23
; %bb.1926:                             ;   in Loop: Header=BB357_15 Depth=1
	v_clz_i32_u32_e32 v18, v24
	s_delay_alu instid0(VALU_DEP_1) | instskip(NEXT) | instid1(VALU_DEP_1)
	v_min_u32_e32 v23, 32, v18
	v_subrev_nc_u32_e32 v18, 28, v23
	s_delay_alu instid0(VALU_DEP_1) | instskip(NEXT) | instid1(VALU_DEP_1)
	v_lshlrev_b64_e32 v[18:19], v18, v[24:25]
	v_dual_sub_nc_u32 v19, 29, v23 :: v_dual_bitop2_b32 v18, 7, v18 bitop3:0x40
; %bb.1927:                             ;   in Loop: Header=BB357_15 Depth=1
	s_or_b32 exec_lo, exec_lo, s19
	v_lshlrev_b32_e32 v22, 24, v22
	s_delay_alu instid0(VALU_DEP_2) | instskip(NEXT) | instid1(VALU_DEP_3)
	v_lshlrev_b32_e32 v18, 20, v18
	v_lshl_add_u32 v19, v19, 23, 0x3c000000
	s_delay_alu instid0(VALU_DEP_3) | instskip(NEXT) | instid1(VALU_DEP_1)
	v_and_b32_e32 v22, 0x80000000, v22
	v_or3_b32 v68, v18, v22, v19
.LBB357_1928:                           ;   in Loop: Header=BB357_15 Depth=1
	s_or_b32 exec_lo, exec_lo, s18
.LBB357_1929:                           ;   in Loop: Header=BB357_15 Depth=1
	s_delay_alu instid0(SALU_CYCLE_1)
	s_or_b32 exec_lo, exec_lo, s17
.LBB357_1930:                           ;   in Loop: Header=BB357_15 Depth=1
	s_delay_alu instid0(SALU_CYCLE_1) | instskip(NEXT) | instid1(SALU_CYCLE_1)
	s_or_b32 exec_lo, exec_lo, s16
	s_mov_b32 s16, exec_lo
	v_cmpx_lt_u64_e64 s[8:9], v[8:9]
	s_cbranch_execz .LBB357_1938
; %bb.1931:                             ;   in Loop: Header=BB357_15 Depth=1
	v_lshrrev_b32_e32 v18, 24, v9
	v_bfrev_b32_e32 v69, 1
	s_mov_b32 s17, exec_lo
	s_delay_alu instid0(VALU_DEP_2)
	v_cmpx_ne_u32_e32 0x80, v18
	s_cbranch_execz .LBB357_1937
; %bb.1932:                             ;   in Loop: Header=BB357_15 Depth=1
	v_bfe_u32 v19, v9, 24, 7
	v_mov_b32_e32 v69, 0x7f800001
	s_mov_b32 s18, exec_lo
	s_delay_alu instid0(VALU_DEP_2)
	v_cmpx_ne_u32_e32 0x7f, v19
	s_cbranch_execz .LBB357_1936
; %bb.1933:                             ;   in Loop: Header=BB357_15 Depth=1
	v_and_b32_e32 v24, 7, v18
	s_mov_b32 s19, exec_lo
	s_delay_alu instid0(VALU_DEP_1)
	v_mov_b64_e32 v[8:9], v[24:25]
	v_lshrrev_b32_e32 v9, 3, v19
	v_cmpx_gt_u32_e32 8, v19
; %bb.1934:                             ;   in Loop: Header=BB357_15 Depth=1
	v_clz_i32_u32_e32 v8, v24
	s_delay_alu instid0(VALU_DEP_1) | instskip(NEXT) | instid1(VALU_DEP_1)
	v_min_u32_e32 v19, 32, v8
	v_subrev_nc_u32_e32 v8, 28, v19
	s_delay_alu instid0(VALU_DEP_1) | instskip(NEXT) | instid1(VALU_DEP_1)
	v_lshlrev_b64_e32 v[8:9], v8, v[24:25]
	v_dual_sub_nc_u32 v9, 29, v19 :: v_dual_bitop2_b32 v8, 7, v8 bitop3:0x40
; %bb.1935:                             ;   in Loop: Header=BB357_15 Depth=1
	s_or_b32 exec_lo, exec_lo, s19
	s_delay_alu instid0(VALU_DEP_1) | instskip(NEXT) | instid1(VALU_DEP_2)
	v_dual_lshlrev_b32 v18, 24, v18 :: v_dual_lshlrev_b32 v8, 20, v8
	v_lshl_add_u32 v9, v9, 23, 0x3c000000
	s_delay_alu instid0(VALU_DEP_2) | instskip(NEXT) | instid1(VALU_DEP_1)
	v_and_b32_e32 v18, 0x80000000, v18
	v_or3_b32 v69, v8, v18, v9
.LBB357_1936:                           ;   in Loop: Header=BB357_15 Depth=1
	s_or_b32 exec_lo, exec_lo, s18
.LBB357_1937:                           ;   in Loop: Header=BB357_15 Depth=1
	s_delay_alu instid0(SALU_CYCLE_1)
	s_or_b32 exec_lo, exec_lo, s17
.LBB357_1938:                           ;   in Loop: Header=BB357_15 Depth=1
	s_delay_alu instid0(SALU_CYCLE_1)
	s_or_b32 exec_lo, exec_lo, s16
	flat_load_b64 v[36:37], v[102:103] offset:7680
	v_dual_mov_b32 v23, 0 :: v_dual_mov_b32 v22, 0
	s_mov_b32 s16, exec_lo
	s_wait_loadcnt_dscnt 0x0
	v_and_b32_e32 v8, 0xff, v36
	s_wait_xcnt 0x0
	s_delay_alu instid0(VALU_DEP_1)
	v_cmpx_ne_u16_e32 0, v8
	s_cbranch_execz .LBB357_1946
; %bb.1939:                             ;   in Loop: Header=BB357_15 Depth=1
	v_bfrev_b32_e32 v22, 1
	s_mov_b32 s17, exec_lo
	v_cmpx_ne_u16_e32 0x80, v8
	s_cbranch_execz .LBB357_1945
; %bb.1940:                             ;   in Loop: Header=BB357_15 Depth=1
	v_and_b32_e32 v8, 0x7f, v36
	v_mov_b32_e32 v22, 0x7f800001
	s_mov_b32 s18, exec_lo
	s_delay_alu instid0(VALU_DEP_2)
	v_cmpx_ne_u32_e32 0x7f, v8
	s_cbranch_execz .LBB357_1944
; %bb.1941:                             ;   in Loop: Header=BB357_15 Depth=1
	v_lshrrev_b32_e32 v18, 3, v8
	v_cmp_gt_u32_e64 s1, 8, v8
	v_mov_b64_e32 v[8:9], v[36:37]
	s_and_saveexec_b32 s19, s1
; %bb.1942:                             ;   in Loop: Header=BB357_15 Depth=1
	v_and_b32_e32 v8, 7, v36
	s_delay_alu instid0(VALU_DEP_1) | instskip(NEXT) | instid1(VALU_DEP_1)
	v_clz_i32_u32_e32 v8, v8
	v_min_u32_e32 v18, 32, v8
	s_delay_alu instid0(VALU_DEP_1) | instskip(SKIP_1) | instid1(VALU_DEP_2)
	v_subrev_nc_u32_e32 v8, 28, v18
	v_sub_nc_u32_e32 v18, 29, v18
	v_lshlrev_b64_e32 v[8:9], v8, v[36:37]
; %bb.1943:                             ;   in Loop: Header=BB357_15 Depth=1
	s_or_b32 exec_lo, exec_lo, s19
	s_delay_alu instid0(VALU_DEP_1) | instskip(SKIP_2) | instid1(VALU_DEP_3)
	v_lshlrev_b32_e32 v8, 20, v8
	v_lshlrev_b32_e32 v9, 24, v36
	v_lshl_add_u32 v18, v18, 23, 0x3c000000
	v_and_b32_e32 v8, 0x700000, v8
	s_delay_alu instid0(VALU_DEP_3) | instskip(NEXT) | instid1(VALU_DEP_1)
	v_and_b32_e32 v9, 0x80000000, v9
	v_or3_b32 v22, v8, v9, v18
.LBB357_1944:                           ;   in Loop: Header=BB357_15 Depth=1
	s_or_b32 exec_lo, exec_lo, s18
.LBB357_1945:                           ;   in Loop: Header=BB357_15 Depth=1
	s_delay_alu instid0(SALU_CYCLE_1)
	s_or_b32 exec_lo, exec_lo, s17
.LBB357_1946:                           ;   in Loop: Header=BB357_15 Depth=1
	s_delay_alu instid0(SALU_CYCLE_1) | instskip(SKIP_2) | instid1(VALU_DEP_1)
	s_or_b32 exec_lo, exec_lo, s16
	v_lshrrev_b16 v8, 8, v36
	s_mov_b32 s16, exec_lo
	v_cmpx_ne_u16_e32 0, v8
	s_cbranch_execz .LBB357_1954
; %bb.1947:                             ;   in Loop: Header=BB357_15 Depth=1
	v_bfrev_b32_e32 v23, 1
	s_mov_b32 s17, exec_lo
	v_cmpx_ne_u16_e32 0x80, v8
	s_cbranch_execz .LBB357_1953
; %bb.1948:                             ;   in Loop: Header=BB357_15 Depth=1
	v_and_b32_e32 v8, 0xffff, v8
	v_mov_b32_e32 v23, 0x7f800001
	s_mov_b32 s18, exec_lo
	s_delay_alu instid0(VALU_DEP_2) | instskip(NEXT) | instid1(VALU_DEP_1)
	v_and_b32_e32 v18, 0x7f, v8
	v_cmpx_ne_u32_e32 0x7f, v18
	s_cbranch_execz .LBB357_1952
; %bb.1949:                             ;   in Loop: Header=BB357_15 Depth=1
	v_and_b32_e32 v24, 7, v8
	s_mov_b32 s19, exec_lo
	s_delay_alu instid0(VALU_DEP_1)
	v_mov_b64_e32 v[8:9], v[24:25]
	v_lshrrev_b32_e32 v9, 3, v18
	v_cmpx_gt_u32_e32 8, v18
; %bb.1950:                             ;   in Loop: Header=BB357_15 Depth=1
	v_clz_i32_u32_e32 v8, v24
	s_delay_alu instid0(VALU_DEP_1) | instskip(NEXT) | instid1(VALU_DEP_1)
	v_min_u32_e32 v18, 32, v8
	v_subrev_nc_u32_e32 v8, 28, v18
	s_delay_alu instid0(VALU_DEP_1) | instskip(NEXT) | instid1(VALU_DEP_1)
	v_lshlrev_b64_e32 v[8:9], v8, v[24:25]
	v_dual_sub_nc_u32 v9, 29, v18 :: v_dual_bitop2_b32 v8, 7, v8 bitop3:0x40
; %bb.1951:                             ;   in Loop: Header=BB357_15 Depth=1
	s_or_b32 exec_lo, exec_lo, s19
	v_lshlrev_b32_e32 v18, 16, v36
	s_delay_alu instid0(VALU_DEP_2) | instskip(NEXT) | instid1(VALU_DEP_3)
	v_lshlrev_b32_e32 v8, 20, v8
	v_lshl_add_u32 v9, v9, 23, 0x3c000000
	s_delay_alu instid0(VALU_DEP_3) | instskip(NEXT) | instid1(VALU_DEP_1)
	v_and_b32_e32 v18, 0x80000000, v18
	v_or3_b32 v23, v8, v18, v9
.LBB357_1952:                           ;   in Loop: Header=BB357_15 Depth=1
	s_or_b32 exec_lo, exec_lo, s18
.LBB357_1953:                           ;   in Loop: Header=BB357_15 Depth=1
	s_delay_alu instid0(SALU_CYCLE_1)
	s_or_b32 exec_lo, exec_lo, s17
.LBB357_1954:                           ;   in Loop: Header=BB357_15 Depth=1
	s_delay_alu instid0(SALU_CYCLE_1) | instskip(SKIP_3) | instid1(VALU_DEP_2)
	s_or_b32 exec_lo, exec_lo, s16
	v_dual_mov_b32 v9, 0 :: v_dual_lshrrev_b32 v52, 16, v36
	v_mov_b32_e32 v8, 0
	s_mov_b32 s16, exec_lo
	v_and_b32_e32 v18, 0xff, v52
	s_delay_alu instid0(VALU_DEP_1)
	v_cmpx_ne_u16_e32 0, v18
	s_cbranch_execz .LBB357_1962
; %bb.1955:                             ;   in Loop: Header=BB357_15 Depth=1
	v_bfrev_b32_e32 v8, 1
	s_mov_b32 s17, exec_lo
	v_cmpx_ne_u16_e32 0x80, v18
	s_cbranch_execz .LBB357_1961
; %bb.1956:                             ;   in Loop: Header=BB357_15 Depth=1
	v_bfe_u32 v53, v36, 16, 7
	v_mov_b32_e32 v8, 0x7f800001
	s_mov_b32 s18, exec_lo
	s_delay_alu instid0(VALU_DEP_2)
	v_cmpx_ne_u32_e32 0x7f, v53
	s_cbranch_execz .LBB357_1960
; %bb.1957:                             ;   in Loop: Header=BB357_15 Depth=1
	v_dual_lshrrev_b32 v8, 3, v53 :: v_dual_bitop2_b32 v24, 7, v52 bitop3:0x40
	s_mov_b32 s19, exec_lo
	s_delay_alu instid0(VALU_DEP_1)
	v_mov_b64_e32 v[18:19], v[24:25]
	v_cmpx_gt_u32_e32 8, v53
; %bb.1958:                             ;   in Loop: Header=BB357_15 Depth=1
	v_clz_i32_u32_e32 v8, v24
	s_delay_alu instid0(VALU_DEP_1) | instskip(NEXT) | instid1(VALU_DEP_1)
	v_min_u32_e32 v8, 32, v8
	v_subrev_nc_u32_e32 v18, 28, v8
	s_delay_alu instid0(VALU_DEP_1) | instskip(NEXT) | instid1(VALU_DEP_1)
	v_lshlrev_b64_e32 v[18:19], v18, v[24:25]
	v_dual_sub_nc_u32 v8, 29, v8 :: v_dual_bitop2_b32 v18, 7, v18 bitop3:0x40
; %bb.1959:                             ;   in Loop: Header=BB357_15 Depth=1
	s_or_b32 exec_lo, exec_lo, s19
	s_delay_alu instid0(VALU_DEP_1) | instskip(NEXT) | instid1(VALU_DEP_2)
	v_dual_lshlrev_b32 v19, 24, v52 :: v_dual_lshlrev_b32 v18, 20, v18
	v_lshl_add_u32 v8, v8, 23, 0x3c000000
	s_delay_alu instid0(VALU_DEP_2) | instskip(NEXT) | instid1(VALU_DEP_1)
	v_and_b32_e32 v19, 0x80000000, v19
	v_or3_b32 v8, v18, v19, v8
.LBB357_1960:                           ;   in Loop: Header=BB357_15 Depth=1
	s_or_b32 exec_lo, exec_lo, s18
.LBB357_1961:                           ;   in Loop: Header=BB357_15 Depth=1
	s_delay_alu instid0(SALU_CYCLE_1)
	s_or_b32 exec_lo, exec_lo, s17
.LBB357_1962:                           ;   in Loop: Header=BB357_15 Depth=1
	s_delay_alu instid0(SALU_CYCLE_1) | instskip(NEXT) | instid1(SALU_CYCLE_1)
	s_or_b32 exec_lo, exec_lo, s16
	s_mov_b32 s16, exec_lo
	v_cmpx_lt_u32_e32 0xffffff, v36
	s_cbranch_execz .LBB357_1970
; %bb.1963:                             ;   in Loop: Header=BB357_15 Depth=1
	v_lshrrev_b32_e32 v52, 24, v36
	v_bfrev_b32_e32 v9, 1
	s_mov_b32 s17, exec_lo
	s_delay_alu instid0(VALU_DEP_2)
	v_cmpx_ne_u32_e32 0x80, v52
	s_cbranch_execz .LBB357_1969
; %bb.1964:                             ;   in Loop: Header=BB357_15 Depth=1
	v_bfe_u32 v53, v36, 24, 7
	v_mov_b32_e32 v9, 0x7f800001
	s_mov_b32 s18, exec_lo
	s_delay_alu instid0(VALU_DEP_2)
	v_cmpx_ne_u32_e32 0x7f, v53
	s_cbranch_execz .LBB357_1968
; %bb.1965:                             ;   in Loop: Header=BB357_15 Depth=1
	v_dual_lshrrev_b32 v9, 3, v53 :: v_dual_bitop2_b32 v24, 7, v52 bitop3:0x40
	s_mov_b32 s19, exec_lo
	s_delay_alu instid0(VALU_DEP_1)
	v_mov_b64_e32 v[18:19], v[24:25]
	v_cmpx_gt_u32_e32 8, v53
; %bb.1966:                             ;   in Loop: Header=BB357_15 Depth=1
	v_clz_i32_u32_e32 v9, v24
	s_delay_alu instid0(VALU_DEP_1) | instskip(NEXT) | instid1(VALU_DEP_1)
	v_min_u32_e32 v9, 32, v9
	v_subrev_nc_u32_e32 v18, 28, v9
	s_delay_alu instid0(VALU_DEP_1) | instskip(NEXT) | instid1(VALU_DEP_1)
	v_lshlrev_b64_e32 v[18:19], v18, v[24:25]
	v_dual_sub_nc_u32 v9, 29, v9 :: v_dual_bitop2_b32 v18, 7, v18 bitop3:0x40
; %bb.1967:                             ;   in Loop: Header=BB357_15 Depth=1
	s_or_b32 exec_lo, exec_lo, s19
	s_delay_alu instid0(VALU_DEP_1) | instskip(NEXT) | instid1(VALU_DEP_2)
	v_dual_lshlrev_b32 v19, 24, v52 :: v_dual_lshlrev_b32 v18, 20, v18
	v_lshl_add_u32 v9, v9, 23, 0x3c000000
	s_delay_alu instid0(VALU_DEP_2) | instskip(NEXT) | instid1(VALU_DEP_1)
	v_and_b32_e32 v19, 0x80000000, v19
	v_or3_b32 v9, v18, v19, v9
.LBB357_1968:                           ;   in Loop: Header=BB357_15 Depth=1
	s_or_b32 exec_lo, exec_lo, s18
.LBB357_1969:                           ;   in Loop: Header=BB357_15 Depth=1
	s_delay_alu instid0(SALU_CYCLE_1)
	s_or_b32 exec_lo, exec_lo, s17
.LBB357_1970:                           ;   in Loop: Header=BB357_15 Depth=1
	s_delay_alu instid0(SALU_CYCLE_1) | instskip(SKIP_4) | instid1(VALU_DEP_3)
	s_or_b32 exec_lo, exec_lo, s16
	v_and_b32_e32 v52, 0xff, v37
	v_dual_mov_b32 v24, v37 :: v_dual_mov_b32 v19, 0
	v_mov_b32_e32 v18, 0
	s_mov_b32 s16, exec_lo
	v_cmpx_ne_u16_e32 0, v52
	s_cbranch_execz .LBB357_1978
; %bb.1971:                             ;   in Loop: Header=BB357_15 Depth=1
	v_bfrev_b32_e32 v18, 1
	s_mov_b32 s17, exec_lo
	v_cmpx_ne_u16_e32 0x80, v52
	s_cbranch_execz .LBB357_1977
; %bb.1972:                             ;   in Loop: Header=BB357_15 Depth=1
	v_and_b32_e32 v54, 0x7f, v37
	v_mov_b32_e32 v18, 0x7f800001
	s_mov_b32 s18, exec_lo
	s_delay_alu instid0(VALU_DEP_2)
	v_cmpx_ne_u32_e32 0x7f, v54
	s_cbranch_execz .LBB357_1976
; %bb.1973:                             ;   in Loop: Header=BB357_15 Depth=1
	v_mov_b64_e32 v[52:53], v[24:25]
	v_lshrrev_b32_e32 v18, 3, v54
	s_mov_b32 s19, exec_lo
	v_cmpx_gt_u32_e32 8, v54
; %bb.1974:                             ;   in Loop: Header=BB357_15 Depth=1
	v_and_b32_e32 v18, 7, v37
	s_delay_alu instid0(VALU_DEP_1) | instskip(NEXT) | instid1(VALU_DEP_1)
	v_clz_i32_u32_e32 v18, v18
	v_min_u32_e32 v18, 32, v18
	s_delay_alu instid0(VALU_DEP_1) | instskip(SKIP_1) | instid1(VALU_DEP_2)
	v_subrev_nc_u32_e32 v52, 28, v18
	v_sub_nc_u32_e32 v18, 29, v18
	v_lshlrev_b64_e32 v[52:53], v52, v[24:25]
; %bb.1975:                             ;   in Loop: Header=BB357_15 Depth=1
	s_or_b32 exec_lo, exec_lo, s19
	s_delay_alu instid0(VALU_DEP_1) | instskip(SKIP_2) | instid1(VALU_DEP_3)
	v_lshlrev_b32_e32 v52, 20, v52
	v_lshlrev_b32_e32 v53, 24, v24
	v_lshl_add_u32 v18, v18, 23, 0x3c000000
	v_and_b32_e32 v52, 0x700000, v52
	s_delay_alu instid0(VALU_DEP_3) | instskip(NEXT) | instid1(VALU_DEP_1)
	v_and_b32_e32 v53, 0x80000000, v53
	v_or3_b32 v18, v52, v53, v18
.LBB357_1976:                           ;   in Loop: Header=BB357_15 Depth=1
	s_or_b32 exec_lo, exec_lo, s18
.LBB357_1977:                           ;   in Loop: Header=BB357_15 Depth=1
	s_delay_alu instid0(SALU_CYCLE_1)
	s_or_b32 exec_lo, exec_lo, s17
.LBB357_1978:                           ;   in Loop: Header=BB357_15 Depth=1
	s_delay_alu instid0(SALU_CYCLE_1) | instskip(SKIP_2) | instid1(VALU_DEP_1)
	s_or_b32 exec_lo, exec_lo, s16
	v_lshrrev_b16 v52, 8, v24
	s_mov_b32 s16, exec_lo
	v_cmpx_ne_u16_e32 0, v52
	s_cbranch_execz .LBB357_1986
; %bb.1979:                             ;   in Loop: Header=BB357_15 Depth=1
	v_bfrev_b32_e32 v19, 1
	s_mov_b32 s17, exec_lo
	v_cmpx_ne_u16_e32 0x80, v52
	s_cbranch_execz .LBB357_1985
; %bb.1980:                             ;   in Loop: Header=BB357_15 Depth=1
	v_and_b32_e32 v52, 0xffff, v52
	v_mov_b32_e32 v19, 0x7f800001
	s_mov_b32 s18, exec_lo
	s_delay_alu instid0(VALU_DEP_2) | instskip(NEXT) | instid1(VALU_DEP_1)
	v_and_b32_e32 v54, 0x7f, v52
	v_cmpx_ne_u32_e32 0x7f, v54
	s_cbranch_execz .LBB357_1984
; %bb.1981:                             ;   in Loop: Header=BB357_15 Depth=1
	v_dual_mov_b32 v53, v25 :: v_dual_bitop2_b32 v52, 7, v52 bitop3:0x40
	v_lshrrev_b32_e32 v19, 3, v54
	s_mov_b32 s19, exec_lo
	v_cmpx_gt_u32_e32 8, v54
; %bb.1982:                             ;   in Loop: Header=BB357_15 Depth=1
	s_delay_alu instid0(VALU_DEP_3) | instskip(NEXT) | instid1(VALU_DEP_1)
	v_clz_i32_u32_e32 v19, v52
	v_min_u32_e32 v19, 32, v19
	s_delay_alu instid0(VALU_DEP_1) | instskip(NEXT) | instid1(VALU_DEP_1)
	v_subrev_nc_u32_e32 v54, 28, v19
	v_lshlrev_b64_e32 v[52:53], v54, v[52:53]
	s_delay_alu instid0(VALU_DEP_1)
	v_dual_sub_nc_u32 v19, 29, v19 :: v_dual_bitop2_b32 v52, 7, v52 bitop3:0x40
; %bb.1983:                             ;   in Loop: Header=BB357_15 Depth=1
	s_or_b32 exec_lo, exec_lo, s19
	v_lshlrev_b32_e32 v24, 16, v24
	s_delay_alu instid0(VALU_DEP_2) | instskip(NEXT) | instid1(VALU_DEP_3)
	v_lshlrev_b32_e32 v52, 20, v52
	v_lshl_add_u32 v19, v19, 23, 0x3c000000
	s_delay_alu instid0(VALU_DEP_3) | instskip(NEXT) | instid1(VALU_DEP_1)
	v_and_b32_e32 v24, 0x80000000, v24
	v_or3_b32 v19, v52, v24, v19
.LBB357_1984:                           ;   in Loop: Header=BB357_15 Depth=1
	s_or_b32 exec_lo, exec_lo, s18
.LBB357_1985:                           ;   in Loop: Header=BB357_15 Depth=1
	s_delay_alu instid0(SALU_CYCLE_1)
	s_or_b32 exec_lo, exec_lo, s17
.LBB357_1986:                           ;   in Loop: Header=BB357_15 Depth=1
	s_delay_alu instid0(SALU_CYCLE_1) | instskip(SKIP_3) | instid1(VALU_DEP_2)
	s_or_b32 exec_lo, exec_lo, s16
	v_dual_mov_b32 v55, 0 :: v_dual_lshrrev_b32 v70, 16, v37
	v_mov_b32_e32 v54, 0
	s_mov_b32 s16, exec_lo
	v_and_b32_e32 v24, 0xff, v70
	s_delay_alu instid0(VALU_DEP_1)
	v_cmpx_ne_u16_e32 0, v24
	s_cbranch_execz .LBB357_1994
; %bb.1987:                             ;   in Loop: Header=BB357_15 Depth=1
	v_bfrev_b32_e32 v54, 1
	s_mov_b32 s17, exec_lo
	v_cmpx_ne_u16_e32 0x80, v24
	s_cbranch_execz .LBB357_1993
; %bb.1988:                             ;   in Loop: Header=BB357_15 Depth=1
	v_bfe_u32 v71, v37, 16, 7
	v_mov_b32_e32 v54, 0x7f800001
	s_mov_b32 s18, exec_lo
	s_delay_alu instid0(VALU_DEP_2)
	v_cmpx_ne_u32_e32 0x7f, v71
	s_cbranch_execz .LBB357_1992
; %bb.1989:                             ;   in Loop: Header=BB357_15 Depth=1
	v_and_b32_e32 v24, 7, v70
	s_mov_b32 s19, exec_lo
	s_delay_alu instid0(VALU_DEP_1)
	v_mov_b64_e32 v[52:53], v[24:25]
	v_lshrrev_b32_e32 v53, 3, v71
	v_cmpx_gt_u32_e32 8, v71
; %bb.1990:                             ;   in Loop: Header=BB357_15 Depth=1
	v_clz_i32_u32_e32 v52, v24
	s_delay_alu instid0(VALU_DEP_1) | instskip(NEXT) | instid1(VALU_DEP_1)
	v_min_u32_e32 v54, 32, v52
	v_subrev_nc_u32_e32 v52, 28, v54
	s_delay_alu instid0(VALU_DEP_1) | instskip(NEXT) | instid1(VALU_DEP_1)
	v_lshlrev_b64_e32 v[52:53], v52, v[24:25]
	v_dual_sub_nc_u32 v53, 29, v54 :: v_dual_bitop2_b32 v52, 7, v52 bitop3:0x40
; %bb.1991:                             ;   in Loop: Header=BB357_15 Depth=1
	s_or_b32 exec_lo, exec_lo, s19
	s_delay_alu instid0(VALU_DEP_1) | instskip(NEXT) | instid1(VALU_DEP_2)
	v_dual_lshlrev_b32 v24, 24, v70 :: v_dual_lshlrev_b32 v52, 20, v52
	v_lshl_add_u32 v53, v53, 23, 0x3c000000
	s_delay_alu instid0(VALU_DEP_2) | instskip(NEXT) | instid1(VALU_DEP_1)
	v_and_b32_e32 v24, 0x80000000, v24
	v_or3_b32 v54, v52, v24, v53
.LBB357_1992:                           ;   in Loop: Header=BB357_15 Depth=1
	s_or_b32 exec_lo, exec_lo, s18
.LBB357_1993:                           ;   in Loop: Header=BB357_15 Depth=1
	s_delay_alu instid0(SALU_CYCLE_1)
	s_or_b32 exec_lo, exec_lo, s17
.LBB357_1994:                           ;   in Loop: Header=BB357_15 Depth=1
	s_delay_alu instid0(SALU_CYCLE_1) | instskip(NEXT) | instid1(SALU_CYCLE_1)
	s_or_b32 exec_lo, exec_lo, s16
	s_mov_b32 s16, exec_lo
	v_cmpx_lt_u64_e64 s[8:9], v[36:37]
	s_cbranch_execz .LBB357_2002
; %bb.1995:                             ;   in Loop: Header=BB357_15 Depth=1
	v_lshrrev_b32_e32 v52, 24, v37
	v_bfrev_b32_e32 v55, 1
	s_mov_b32 s17, exec_lo
	s_delay_alu instid0(VALU_DEP_2)
	v_cmpx_ne_u32_e32 0x80, v52
	s_cbranch_execz .LBB357_2001
; %bb.1996:                             ;   in Loop: Header=BB357_15 Depth=1
	v_bfe_u32 v53, v37, 24, 7
	v_mov_b32_e32 v55, 0x7f800001
	s_mov_b32 s18, exec_lo
	s_delay_alu instid0(VALU_DEP_2)
	v_cmpx_ne_u32_e32 0x7f, v53
	s_cbranch_execz .LBB357_2000
; %bb.1997:                             ;   in Loop: Header=BB357_15 Depth=1
	v_and_b32_e32 v24, 7, v52
	s_mov_b32 s19, exec_lo
	s_delay_alu instid0(VALU_DEP_1)
	v_mov_b64_e32 v[36:37], v[24:25]
	v_lshrrev_b32_e32 v37, 3, v53
	v_cmpx_gt_u32_e32 8, v53
; %bb.1998:                             ;   in Loop: Header=BB357_15 Depth=1
	v_clz_i32_u32_e32 v36, v24
	s_delay_alu instid0(VALU_DEP_1) | instskip(NEXT) | instid1(VALU_DEP_1)
	v_min_u32_e32 v53, 32, v36
	v_subrev_nc_u32_e32 v36, 28, v53
	s_delay_alu instid0(VALU_DEP_1) | instskip(NEXT) | instid1(VALU_DEP_1)
	v_lshlrev_b64_e32 v[36:37], v36, v[24:25]
	v_dual_sub_nc_u32 v37, 29, v53 :: v_dual_bitop2_b32 v36, 7, v36 bitop3:0x40
; %bb.1999:                             ;   in Loop: Header=BB357_15 Depth=1
	s_or_b32 exec_lo, exec_lo, s19
	v_lshlrev_b32_e32 v24, 24, v52
	s_delay_alu instid0(VALU_DEP_2) | instskip(NEXT) | instid1(VALU_DEP_3)
	v_lshlrev_b32_e32 v36, 20, v36
	v_lshl_add_u32 v37, v37, 23, 0x3c000000
	s_delay_alu instid0(VALU_DEP_3) | instskip(NEXT) | instid1(VALU_DEP_1)
	v_and_b32_e32 v24, 0x80000000, v24
	v_or3_b32 v55, v36, v24, v37
.LBB357_2000:                           ;   in Loop: Header=BB357_15 Depth=1
	s_or_b32 exec_lo, exec_lo, s18
.LBB357_2001:                           ;   in Loop: Header=BB357_15 Depth=1
	s_delay_alu instid0(SALU_CYCLE_1)
	s_or_b32 exec_lo, exec_lo, s17
.LBB357_2002:                           ;   in Loop: Header=BB357_15 Depth=1
	s_delay_alu instid0(SALU_CYCLE_1)
	s_or_b32 exec_lo, exec_lo, s16
	flat_load_b64 v[70:71], v[102:103] offset:7688
	v_dual_mov_b32 v61, 0 :: v_dual_mov_b32 v60, 0
	s_mov_b32 s16, exec_lo
	s_wait_loadcnt_dscnt 0x0
	v_and_b32_e32 v24, 0xff, v70
	s_wait_xcnt 0x0
	s_delay_alu instid0(VALU_DEP_1)
	v_cmpx_ne_u16_e32 0, v24
	s_cbranch_execz .LBB357_2010
; %bb.2003:                             ;   in Loop: Header=BB357_15 Depth=1
	v_bfrev_b32_e32 v60, 1
	s_mov_b32 s17, exec_lo
	v_cmpx_ne_u16_e32 0x80, v24
	s_cbranch_execz .LBB357_2009
; %bb.2004:                             ;   in Loop: Header=BB357_15 Depth=1
	v_and_b32_e32 v36, 0x7f, v70
	v_mov_b32_e32 v60, 0x7f800001
	s_mov_b32 s18, exec_lo
	s_delay_alu instid0(VALU_DEP_2)
	v_cmpx_ne_u32_e32 0x7f, v36
	s_cbranch_execz .LBB357_2008
; %bb.2005:                             ;   in Loop: Header=BB357_15 Depth=1
	v_lshrrev_b32_e32 v24, 3, v36
	v_cmp_gt_u32_e64 s1, 8, v36
	v_mov_b64_e32 v[36:37], v[70:71]
	s_and_saveexec_b32 s19, s1
; %bb.2006:                             ;   in Loop: Header=BB357_15 Depth=1
	v_and_b32_e32 v24, 7, v70
	s_delay_alu instid0(VALU_DEP_1) | instskip(NEXT) | instid1(VALU_DEP_1)
	v_clz_i32_u32_e32 v24, v24
	v_min_u32_e32 v24, 32, v24
	s_delay_alu instid0(VALU_DEP_1) | instskip(SKIP_1) | instid1(VALU_DEP_2)
	v_subrev_nc_u32_e32 v36, 28, v24
	v_sub_nc_u32_e32 v24, 29, v24
	v_lshlrev_b64_e32 v[36:37], v36, v[70:71]
; %bb.2007:                             ;   in Loop: Header=BB357_15 Depth=1
	s_or_b32 exec_lo, exec_lo, s19
	s_delay_alu instid0(VALU_DEP_1) | instskip(NEXT) | instid1(VALU_DEP_3)
	v_dual_lshlrev_b32 v36, 20, v36 :: v_dual_lshlrev_b32 v37, 24, v70
	v_lshl_add_u32 v24, v24, 23, 0x3c000000
	s_delay_alu instid0(VALU_DEP_2) | instskip(NEXT) | instid1(VALU_DEP_3)
	v_and_b32_e32 v36, 0x700000, v36
	v_and_b32_e32 v37, 0x80000000, v37
	s_delay_alu instid0(VALU_DEP_1)
	v_or3_b32 v60, v36, v37, v24
.LBB357_2008:                           ;   in Loop: Header=BB357_15 Depth=1
	s_or_b32 exec_lo, exec_lo, s18
.LBB357_2009:                           ;   in Loop: Header=BB357_15 Depth=1
	s_delay_alu instid0(SALU_CYCLE_1)
	s_or_b32 exec_lo, exec_lo, s17
.LBB357_2010:                           ;   in Loop: Header=BB357_15 Depth=1
	s_delay_alu instid0(SALU_CYCLE_1) | instskip(SKIP_2) | instid1(VALU_DEP_1)
	s_or_b32 exec_lo, exec_lo, s16
	v_lshrrev_b16 v24, 8, v70
	s_mov_b32 s16, exec_lo
	v_cmpx_ne_u16_e32 0, v24
	s_cbranch_execz .LBB357_2018
; %bb.2011:                             ;   in Loop: Header=BB357_15 Depth=1
	v_bfrev_b32_e32 v61, 1
	s_mov_b32 s17, exec_lo
	v_cmpx_ne_u16_e32 0x80, v24
	s_cbranch_execz .LBB357_2017
; %bb.2012:                             ;   in Loop: Header=BB357_15 Depth=1
	v_and_b32_e32 v24, 0xffff, v24
	v_mov_b32_e32 v61, 0x7f800001
	s_mov_b32 s18, exec_lo
	s_delay_alu instid0(VALU_DEP_2) | instskip(NEXT) | instid1(VALU_DEP_1)
	v_and_b32_e32 v52, 0x7f, v24
	v_cmpx_ne_u32_e32 0x7f, v52
	s_cbranch_execz .LBB357_2016
; %bb.2013:                             ;   in Loop: Header=BB357_15 Depth=1
	v_and_b32_e32 v24, 7, v24
	s_mov_b32 s19, exec_lo
	s_delay_alu instid0(VALU_DEP_1)
	v_mov_b64_e32 v[36:37], v[24:25]
	v_lshrrev_b32_e32 v37, 3, v52
	v_cmpx_gt_u32_e32 8, v52
; %bb.2014:                             ;   in Loop: Header=BB357_15 Depth=1
	v_clz_i32_u32_e32 v36, v24
	s_delay_alu instid0(VALU_DEP_1) | instskip(NEXT) | instid1(VALU_DEP_1)
	v_min_u32_e32 v52, 32, v36
	v_subrev_nc_u32_e32 v36, 28, v52
	s_delay_alu instid0(VALU_DEP_1) | instskip(SKIP_1) | instid1(VALU_DEP_2)
	v_lshlrev_b64_e32 v[36:37], v36, v[24:25]
	v_sub_nc_u32_e32 v37, 29, v52
	v_and_b32_e32 v36, 7, v36
; %bb.2015:                             ;   in Loop: Header=BB357_15 Depth=1
	s_or_b32 exec_lo, exec_lo, s19
	s_delay_alu instid0(VALU_DEP_1) | instskip(NEXT) | instid1(VALU_DEP_3)
	v_dual_lshlrev_b32 v24, 16, v70 :: v_dual_lshlrev_b32 v36, 20, v36
	v_lshl_add_u32 v37, v37, 23, 0x3c000000
	s_delay_alu instid0(VALU_DEP_2) | instskip(NEXT) | instid1(VALU_DEP_1)
	v_and_b32_e32 v24, 0x80000000, v24
	v_or3_b32 v61, v36, v24, v37
.LBB357_2016:                           ;   in Loop: Header=BB357_15 Depth=1
	s_or_b32 exec_lo, exec_lo, s18
.LBB357_2017:                           ;   in Loop: Header=BB357_15 Depth=1
	s_delay_alu instid0(SALU_CYCLE_1)
	s_or_b32 exec_lo, exec_lo, s17
.LBB357_2018:                           ;   in Loop: Header=BB357_15 Depth=1
	s_delay_alu instid0(SALU_CYCLE_1) | instskip(SKIP_3) | instid1(VALU_DEP_2)
	s_or_b32 exec_lo, exec_lo, s16
	v_dual_mov_b32 v53, 0 :: v_dual_lshrrev_b32 v102, 16, v70
	v_mov_b32_e32 v52, 0
	s_mov_b32 s16, exec_lo
	v_and_b32_e32 v24, 0xff, v102
	s_delay_alu instid0(VALU_DEP_1)
	v_cmpx_ne_u16_e32 0, v24
	s_cbranch_execz .LBB357_2026
; %bb.2019:                             ;   in Loop: Header=BB357_15 Depth=1
	v_bfrev_b32_e32 v52, 1
	s_mov_b32 s17, exec_lo
	v_cmpx_ne_u16_e32 0x80, v24
	s_cbranch_execz .LBB357_2025
; %bb.2020:                             ;   in Loop: Header=BB357_15 Depth=1
	v_bfe_u32 v83, v70, 16, 7
	v_mov_b32_e32 v52, 0x7f800001
	s_mov_b32 s18, exec_lo
	s_delay_alu instid0(VALU_DEP_2)
	v_cmpx_ne_u32_e32 0x7f, v83
	s_cbranch_execz .LBB357_2024
; %bb.2021:                             ;   in Loop: Header=BB357_15 Depth=1
	v_and_b32_e32 v24, 7, v102
	s_mov_b32 s19, exec_lo
	s_delay_alu instid0(VALU_DEP_1)
	v_mov_b64_e32 v[36:37], v[24:25]
	v_lshrrev_b32_e32 v37, 3, v83
	v_cmpx_gt_u32_e32 8, v83
; %bb.2022:                             ;   in Loop: Header=BB357_15 Depth=1
	v_clz_i32_u32_e32 v36, v24
	s_delay_alu instid0(VALU_DEP_1) | instskip(NEXT) | instid1(VALU_DEP_1)
	v_min_u32_e32 v52, 32, v36
	v_subrev_nc_u32_e32 v36, 28, v52
	s_delay_alu instid0(VALU_DEP_1) | instskip(SKIP_1) | instid1(VALU_DEP_2)
	v_lshlrev_b64_e32 v[36:37], v36, v[24:25]
	v_sub_nc_u32_e32 v37, 29, v52
	v_and_b32_e32 v36, 7, v36
; %bb.2023:                             ;   in Loop: Header=BB357_15 Depth=1
	s_or_b32 exec_lo, exec_lo, s19
	s_delay_alu instid0(VALU_DEP_1) | instskip(NEXT) | instid1(VALU_DEP_3)
	v_dual_lshlrev_b32 v24, 24, v102 :: v_dual_lshlrev_b32 v36, 20, v36
	v_lshl_add_u32 v37, v37, 23, 0x3c000000
	s_delay_alu instid0(VALU_DEP_2) | instskip(NEXT) | instid1(VALU_DEP_1)
	v_and_b32_e32 v24, 0x80000000, v24
	v_or3_b32 v52, v36, v24, v37
.LBB357_2024:                           ;   in Loop: Header=BB357_15 Depth=1
	s_or_b32 exec_lo, exec_lo, s18
.LBB357_2025:                           ;   in Loop: Header=BB357_15 Depth=1
	s_delay_alu instid0(SALU_CYCLE_1)
	s_or_b32 exec_lo, exec_lo, s17
.LBB357_2026:                           ;   in Loop: Header=BB357_15 Depth=1
	s_delay_alu instid0(SALU_CYCLE_1) | instskip(NEXT) | instid1(SALU_CYCLE_1)
	s_or_b32 exec_lo, exec_lo, s16
	s_mov_b32 s16, exec_lo
	v_cmpx_lt_u32_e32 0xffffff, v70
	s_cbranch_execz .LBB357_2034
; %bb.2027:                             ;   in Loop: Header=BB357_15 Depth=1
	v_lshrrev_b32_e32 v83, 24, v70
	v_bfrev_b32_e32 v53, 1
	s_mov_b32 s17, exec_lo
	s_delay_alu instid0(VALU_DEP_2)
	v_cmpx_ne_u32_e32 0x80, v83
	s_cbranch_execz .LBB357_2033
; %bb.2028:                             ;   in Loop: Header=BB357_15 Depth=1
	v_bfe_u32 v102, v70, 24, 7
	v_mov_b32_e32 v53, 0x7f800001
	s_mov_b32 s18, exec_lo
	s_delay_alu instid0(VALU_DEP_2)
	v_cmpx_ne_u32_e32 0x7f, v102
	s_cbranch_execz .LBB357_2032
; %bb.2029:                             ;   in Loop: Header=BB357_15 Depth=1
	v_and_b32_e32 v24, 7, v83
	s_mov_b32 s19, exec_lo
	s_delay_alu instid0(VALU_DEP_1)
	v_mov_b64_e32 v[36:37], v[24:25]
	v_lshrrev_b32_e32 v37, 3, v102
	v_cmpx_gt_u32_e32 8, v102
; %bb.2030:                             ;   in Loop: Header=BB357_15 Depth=1
	v_clz_i32_u32_e32 v36, v24
	s_delay_alu instid0(VALU_DEP_1) | instskip(NEXT) | instid1(VALU_DEP_1)
	v_min_u32_e32 v53, 32, v36
	v_subrev_nc_u32_e32 v36, 28, v53
	s_delay_alu instid0(VALU_DEP_1) | instskip(NEXT) | instid1(VALU_DEP_1)
	v_lshlrev_b64_e32 v[36:37], v36, v[24:25]
	v_dual_sub_nc_u32 v37, 29, v53 :: v_dual_bitop2_b32 v36, 7, v36 bitop3:0x40
; %bb.2031:                             ;   in Loop: Header=BB357_15 Depth=1
	s_or_b32 exec_lo, exec_lo, s19
	s_delay_alu instid0(VALU_DEP_1) | instskip(NEXT) | instid1(VALU_DEP_2)
	v_dual_lshlrev_b32 v24, 24, v83 :: v_dual_lshlrev_b32 v36, 20, v36
	v_lshl_add_u32 v37, v37, 23, 0x3c000000
	s_delay_alu instid0(VALU_DEP_2) | instskip(NEXT) | instid1(VALU_DEP_1)
	v_and_b32_e32 v24, 0x80000000, v24
	v_or3_b32 v53, v36, v24, v37
.LBB357_2032:                           ;   in Loop: Header=BB357_15 Depth=1
	s_or_b32 exec_lo, exec_lo, s18
.LBB357_2033:                           ;   in Loop: Header=BB357_15 Depth=1
	s_delay_alu instid0(SALU_CYCLE_1)
	s_or_b32 exec_lo, exec_lo, s17
.LBB357_2034:                           ;   in Loop: Header=BB357_15 Depth=1
	s_delay_alu instid0(SALU_CYCLE_1) | instskip(SKIP_4) | instid1(VALU_DEP_3)
	s_or_b32 exec_lo, exec_lo, s16
	v_and_b32_e32 v83, 0xff, v71
	v_dual_mov_b32 v24, v71 :: v_dual_mov_b32 v37, 0
	v_mov_b32_e32 v36, 0
	s_mov_b32 s16, exec_lo
	v_cmpx_ne_u16_e32 0, v83
	s_cbranch_execz .LBB357_2042
; %bb.2035:                             ;   in Loop: Header=BB357_15 Depth=1
	v_bfrev_b32_e32 v36, 1
	s_mov_b32 s17, exec_lo
	v_cmpx_ne_u16_e32 0x80, v83
	s_cbranch_execz .LBB357_2041
; %bb.2036:                             ;   in Loop: Header=BB357_15 Depth=1
	v_and_b32_e32 v83, 0x7f, v71
	v_mov_b32_e32 v36, 0x7f800001
	s_mov_b32 s18, exec_lo
	s_delay_alu instid0(VALU_DEP_2)
	v_cmpx_ne_u32_e32 0x7f, v83
	s_cbranch_execz .LBB357_2040
; %bb.2037:                             ;   in Loop: Header=BB357_15 Depth=1
	v_mov_b64_e32 v[102:103], v[24:25]
	v_lshrrev_b32_e32 v36, 3, v83
	s_mov_b32 s19, exec_lo
	v_cmpx_gt_u32_e32 8, v83
; %bb.2038:                             ;   in Loop: Header=BB357_15 Depth=1
	v_and_b32_e32 v36, 7, v71
	s_delay_alu instid0(VALU_DEP_1) | instskip(NEXT) | instid1(VALU_DEP_1)
	v_clz_i32_u32_e32 v36, v36
	v_min_u32_e32 v36, 32, v36
	s_delay_alu instid0(VALU_DEP_1) | instskip(SKIP_1) | instid1(VALU_DEP_2)
	v_subrev_nc_u32_e32 v83, 28, v36
	v_sub_nc_u32_e32 v36, 29, v36
	v_lshlrev_b64_e32 v[102:103], v83, v[24:25]
; %bb.2039:                             ;   in Loop: Header=BB357_15 Depth=1
	s_or_b32 exec_lo, exec_lo, s19
	s_delay_alu instid0(VALU_DEP_1) | instskip(NEXT) | instid1(VALU_DEP_3)
	v_dual_lshlrev_b32 v83, 20, v102 :: v_dual_lshlrev_b32 v102, 24, v24
	v_lshl_add_u32 v36, v36, 23, 0x3c000000
	s_delay_alu instid0(VALU_DEP_2) | instskip(NEXT) | instid1(VALU_DEP_3)
	v_and_b32_e32 v83, 0x700000, v83
	v_and_b32_e32 v102, 0x80000000, v102
	s_delay_alu instid0(VALU_DEP_1)
	v_or3_b32 v36, v83, v102, v36
.LBB357_2040:                           ;   in Loop: Header=BB357_15 Depth=1
	s_or_b32 exec_lo, exec_lo, s18
.LBB357_2041:                           ;   in Loop: Header=BB357_15 Depth=1
	s_delay_alu instid0(SALU_CYCLE_1)
	s_or_b32 exec_lo, exec_lo, s17
.LBB357_2042:                           ;   in Loop: Header=BB357_15 Depth=1
	s_delay_alu instid0(SALU_CYCLE_1) | instskip(SKIP_2) | instid1(VALU_DEP_1)
	s_or_b32 exec_lo, exec_lo, s16
	v_lshrrev_b16 v83, 8, v24
	s_mov_b32 s16, exec_lo
	v_cmpx_ne_u16_e32 0, v83
	s_cbranch_execz .LBB357_2050
; %bb.2043:                             ;   in Loop: Header=BB357_15 Depth=1
	v_bfrev_b32_e32 v37, 1
	s_mov_b32 s17, exec_lo
	v_cmpx_ne_u16_e32 0x80, v83
	s_cbranch_execz .LBB357_2049
; %bb.2044:                             ;   in Loop: Header=BB357_15 Depth=1
	v_and_b32_e32 v102, 0xffff, v83
	v_mov_b32_e32 v37, 0x7f800001
	s_mov_b32 s18, exec_lo
	s_delay_alu instid0(VALU_DEP_2) | instskip(NEXT) | instid1(VALU_DEP_1)
	v_and_b32_e32 v83, 0x7f, v102
	v_cmpx_ne_u32_e32 0x7f, v83
	s_cbranch_execz .LBB357_2048
; %bb.2045:                             ;   in Loop: Header=BB357_15 Depth=1
	v_dual_mov_b32 v103, v25 :: v_dual_bitop2_b32 v102, 7, v102 bitop3:0x40
	v_lshrrev_b32_e32 v37, 3, v83
	s_mov_b32 s19, exec_lo
	v_cmpx_gt_u32_e32 8, v83
; %bb.2046:                             ;   in Loop: Header=BB357_15 Depth=1
	s_delay_alu instid0(VALU_DEP_3) | instskip(NEXT) | instid1(VALU_DEP_1)
	v_clz_i32_u32_e32 v37, v102
	v_min_u32_e32 v37, 32, v37
	s_delay_alu instid0(VALU_DEP_1) | instskip(NEXT) | instid1(VALU_DEP_1)
	v_subrev_nc_u32_e32 v83, 28, v37
	v_lshlrev_b64_e32 v[102:103], v83, v[102:103]
	s_delay_alu instid0(VALU_DEP_1)
	v_dual_sub_nc_u32 v37, 29, v37 :: v_dual_bitop2_b32 v102, 7, v102 bitop3:0x40
; %bb.2047:                             ;   in Loop: Header=BB357_15 Depth=1
	s_or_b32 exec_lo, exec_lo, s19
	s_delay_alu instid0(VALU_DEP_1) | instskip(NEXT) | instid1(VALU_DEP_2)
	v_dual_lshlrev_b32 v24, 16, v24 :: v_dual_lshlrev_b32 v83, 20, v102
	v_lshl_add_u32 v37, v37, 23, 0x3c000000
	s_delay_alu instid0(VALU_DEP_2) | instskip(NEXT) | instid1(VALU_DEP_1)
	v_and_b32_e32 v24, 0x80000000, v24
	v_or3_b32 v37, v83, v24, v37
.LBB357_2048:                           ;   in Loop: Header=BB357_15 Depth=1
	s_or_b32 exec_lo, exec_lo, s18
.LBB357_2049:                           ;   in Loop: Header=BB357_15 Depth=1
	s_delay_alu instid0(SALU_CYCLE_1)
	s_or_b32 exec_lo, exec_lo, s17
.LBB357_2050:                           ;   in Loop: Header=BB357_15 Depth=1
	s_delay_alu instid0(SALU_CYCLE_1) | instskip(SKIP_3) | instid1(VALU_DEP_2)
	s_or_b32 exec_lo, exec_lo, s16
	v_dual_lshrrev_b32 v83, 16, v71 :: v_dual_mov_b32 v73, 0
	v_mov_b32_e32 v72, 0
	s_mov_b32 s16, exec_lo
	v_and_b32_e32 v24, 0xff, v83
	s_delay_alu instid0(VALU_DEP_1)
	v_cmpx_ne_u16_e32 0, v24
	s_cbranch_execz .LBB357_2058
; %bb.2051:                             ;   in Loop: Header=BB357_15 Depth=1
	v_bfrev_b32_e32 v72, 1
	s_mov_b32 s17, exec_lo
	v_cmpx_ne_u16_e32 0x80, v24
	s_cbranch_execz .LBB357_2057
; %bb.2052:                             ;   in Loop: Header=BB357_15 Depth=1
	v_dual_mov_b32 v43, v59 :: v_dual_mov_b32 v72, 0x7f800001
	v_bfe_u32 v59, v71, 16, 7
	s_mov_b32 s18, exec_lo
	s_delay_alu instid0(VALU_DEP_1)
	v_cmpx_ne_u32_e32 0x7f, v59
	s_cbranch_execz .LBB357_2056
; %bb.2053:                             ;   in Loop: Header=BB357_15 Depth=1
	v_and_b32_e32 v24, 7, v83
	s_mov_b32 s19, exec_lo
	s_delay_alu instid0(VALU_DEP_1)
	v_mov_b64_e32 v[102:103], v[24:25]
	v_lshrrev_b32_e32 v103, 3, v59
	v_cmpx_gt_u32_e32 8, v59
; %bb.2054:                             ;   in Loop: Header=BB357_15 Depth=1
	v_clz_i32_u32_e32 v102, v24
	s_delay_alu instid0(VALU_DEP_1) | instskip(NEXT) | instid1(VALU_DEP_1)
	v_min_u32_e32 v59, 32, v102
	v_subrev_nc_u32_e32 v102, 28, v59
	s_delay_alu instid0(VALU_DEP_1) | instskip(NEXT) | instid1(VALU_DEP_1)
	v_lshlrev_b64_e32 v[102:103], v102, v[24:25]
	v_dual_sub_nc_u32 v103, 29, v59 :: v_dual_bitop2_b32 v102, 7, v102 bitop3:0x40
; %bb.2055:                             ;   in Loop: Header=BB357_15 Depth=1
	s_or_b32 exec_lo, exec_lo, s19
	s_delay_alu instid0(VALU_DEP_1) | instskip(NEXT) | instid1(VALU_DEP_2)
	v_dual_lshlrev_b32 v24, 24, v83 :: v_dual_lshlrev_b32 v83, 20, v102
	v_lshl_add_u32 v102, v103, 23, 0x3c000000
	s_delay_alu instid0(VALU_DEP_2) | instskip(NEXT) | instid1(VALU_DEP_1)
	v_and_b32_e32 v24, 0x80000000, v24
	v_or3_b32 v72, v83, v24, v102
.LBB357_2056:                           ;   in Loop: Header=BB357_15 Depth=1
	s_or_b32 exec_lo, exec_lo, s18
	v_mov_b32_e32 v59, v43
.LBB357_2057:                           ;   in Loop: Header=BB357_15 Depth=1
	s_or_b32 exec_lo, exec_lo, s17
.LBB357_2058:                           ;   in Loop: Header=BB357_15 Depth=1
	s_delay_alu instid0(SALU_CYCLE_1) | instskip(NEXT) | instid1(SALU_CYCLE_1)
	s_or_b32 exec_lo, exec_lo, s16
	s_mov_b32 s16, exec_lo
	v_cmpx_lt_u64_e64 s[8:9], v[70:71]
	s_cbranch_execz .LBB357_13
; %bb.2059:                             ;   in Loop: Header=BB357_15 Depth=1
	v_lshrrev_b32_e32 v83, 24, v71
	v_bfrev_b32_e32 v73, 1
	s_mov_b32 s17, exec_lo
	s_delay_alu instid0(VALU_DEP_2)
	v_cmpx_ne_u32_e32 0x80, v83
	s_cbranch_execz .LBB357_12
; %bb.2060:                             ;   in Loop: Header=BB357_15 Depth=1
	v_bfe_u32 v102, v71, 24, 7
	v_mov_b32_e32 v73, 0x7f800001
	s_mov_b32 s18, exec_lo
	s_delay_alu instid0(VALU_DEP_2)
	v_cmpx_ne_u32_e32 0x7f, v102
	s_cbranch_execz .LBB357_11
; %bb.2061:                             ;   in Loop: Header=BB357_15 Depth=1
	v_and_b32_e32 v24, 7, v83
	s_mov_b32 s19, exec_lo
	s_delay_alu instid0(VALU_DEP_1)
	v_mov_b64_e32 v[70:71], v[24:25]
	v_lshrrev_b32_e32 v71, 3, v102
	v_cmpx_gt_u32_e32 8, v102
	s_cbranch_execz .LBB357_10
; %bb.2062:                             ;   in Loop: Header=BB357_15 Depth=1
	v_clz_i32_u32_e32 v70, v24
	s_delay_alu instid0(VALU_DEP_1) | instskip(NEXT) | instid1(VALU_DEP_1)
	v_min_u32_e32 v102, 32, v70
	v_subrev_nc_u32_e32 v70, 28, v102
	s_delay_alu instid0(VALU_DEP_1) | instskip(SKIP_1) | instid1(VALU_DEP_2)
	v_lshlrev_b64_e32 v[70:71], v70, v[24:25]
	v_sub_nc_u32_e32 v71, 29, v102
	v_and_b32_e32 v70, 7, v70
	s_branch .LBB357_10
.LBB357_2063:
	s_or_b32 exec_lo, exec_lo, s15
	s_clause 0x1
	scratch_load_b64 v[34:35], off, s32 offset:2360
	scratch_load_b32 v10, off, s32 offset:2368
.LBB357_2064:
	s_wait_xcnt 0x0
	s_or_b32 exec_lo, exec_lo, s3
	v_mbcnt_lo_u32_b32 v2, -1, 0
	s_delay_alu instid0(VALU_DEP_1) | instskip(SKIP_1) | instid1(VALU_DEP_2)
	v_dual_max_num_f32 v4, v7, v7 :: v_dual_bitop2_b32 v0, 16, v2 bitop3:0x14
	v_xor_b32_e32 v3, 8, v2
	v_cmp_gt_i32_e32 vcc_lo, 32, v0
	v_cndmask_b32_e32 v0, v2, v0, vcc_lo
	s_delay_alu instid0(VALU_DEP_3) | instskip(NEXT) | instid1(VALU_DEP_2)
	v_cmp_gt_i32_e32 vcc_lo, 32, v3
	v_dual_cndmask_b32 v3, v2, v3 :: v_dual_lshlrev_b32 v0, 2, v0
	ds_bpermute_b32 v1, v0, v7
	s_wait_dscnt 0x0
	v_dual_max_num_f32 v5, v1, v1 :: v_dual_lshlrev_b32 v1, 2, v3
	s_delay_alu instid0(VALU_DEP_1) | instskip(SKIP_4) | instid1(VALU_DEP_1)
	v_dual_max_num_f32 v4, v4, v5 :: v_dual_bitop2_b32 v5, 4, v2 bitop3:0x14
	ds_bpermute_b32 v3, v1, v4
	v_cmp_gt_i32_e32 vcc_lo, 32, v5
	s_wait_dscnt 0x0
	v_dual_cndmask_b32 v5, v2, v5 :: v_dual_max_num_f32 v6, v3, v3
	v_dual_max_num_f32 v4, v4, v6 :: v_dual_lshlrev_b32 v3, 2, v5
	ds_bpermute_b32 v5, v3, v4
	s_wait_dscnt 0x0
	v_dual_max_num_f32 v5, v5, v5 :: v_dual_bitop2_b32 v6, 2, v2 bitop3:0x14
	s_delay_alu instid0(VALU_DEP_1) | instskip(NEXT) | instid1(VALU_DEP_2)
	v_cmp_gt_i32_e32 vcc_lo, 32, v6
	v_dual_max_num_f32 v4, v4, v5 :: v_dual_cndmask_b32 v6, v2, v6, vcc_lo
	s_delay_alu instid0(VALU_DEP_1) | instskip(SKIP_3) | instid1(VALU_DEP_1)
	v_lshlrev_b32_e32 v33, 2, v6
	ds_bpermute_b32 v5, v33, v4
	s_wait_dscnt 0x0
	v_dual_max_num_f32 v5, v5, v5 :: v_dual_bitop2_b32 v6, 1, v2 bitop3:0x14
	v_cmp_gt_i32_e32 vcc_lo, 32, v6
	s_delay_alu instid0(VALU_DEP_2)
	v_dual_cndmask_b32 v6, v2, v6, vcc_lo :: v_dual_max_num_f32 v2, v4, v5
	scratch_load_b32 v4, off, s32 offset:1432 ; 4-byte Folded Reload
	s_wait_loadcnt 0x0
	v_cmp_eq_u32_e32 vcc_lo, 0, v4
	scratch_load_b32 v4, off, s32 offset:2316 ; 4-byte Folded Reload
	s_wait_loadcnt 0x0
	v_dual_lshlrev_b32 v4, 2, v4 :: v_dual_lshlrev_b32 v68, 2, v6
	ds_bpermute_b32 v5, v68, v2
	s_wait_xcnt 0x0
	s_and_saveexec_b32 s1, vcc_lo
	s_cbranch_execz .LBB357_2066
; %bb.2065:
	s_wait_dscnt 0x0
	v_dual_max_num_f32 v5, v5, v5 :: v_dual_max_num_f32 v2, v2, v2
	s_delay_alu instid0(VALU_DEP_1)
	v_max_num_f32_e32 v2, v2, v5
	ds_store_b32 v4, v2 offset:512
.LBB357_2066:
	s_or_b32 exec_lo, exec_lo, s1
	scratch_load_b32 v2, off, s32 offset:1432 ; 4-byte Folded Reload
	s_wait_storecnt 0x0
	s_wait_loadcnt_dscnt 0x0
	s_barrier_signal -1
	s_barrier_wait -1
	v_cmp_gt_u32_e64 s1, 4, v2
	v_mov_b32_e32 v2, 0xff7fffff
	s_and_saveexec_b32 s2, s1
; %bb.2067:
	ds_load_b32 v2, v10 offset:512
; %bb.2068:
	s_or_b32 exec_lo, exec_lo, s2
	s_wait_dscnt 0x0
	ds_bpermute_b32 v5, v33, v2
	v_max_num_f32_e32 v2, v2, v2
	scratch_load_b32 v7, off, s32 offset:1436 ; 4-byte Folded Reload
	s_wait_dscnt 0x0
	v_max_num_f32_e32 v5, v5, v5
	s_delay_alu instid0(VALU_DEP_1) | instskip(SKIP_3) | instid1(VALU_DEP_1)
	v_max_num_f32_e32 v2, v2, v5
	ds_bpermute_b32 v5, v68, v2
	s_wait_dscnt 0x0
	v_max_num_f32_e32 v5, v5, v5
	v_dual_max_num_f32 v2, v2, v5 :: v_dual_mov_b32 v5, 0
	ds_bpermute_b32 v6, v5, v2
	scratch_load_b32 v2, off, s32 offset:608 ; 4-byte Folded Reload
	s_wait_loadcnt 0x0
	v_lshlrev_b32_e32 v2, 5, v2
	s_delay_alu instid0(VALU_DEP_1) | instskip(NEXT) | instid1(VALU_DEP_1)
	v_min_i32_e32 v2, v2, v42
	v_cmp_lt_i32_e64 s2, v7, v2
	s_and_saveexec_b32 s8, s2
	s_cbranch_execz .LBB357_2072
; %bb.2069:
	scratch_load_b32 v8, off, s32 offset:1436 ; 4-byte Folded Reload
	s_load_b32 s3, s[6:7], 0x0
	v_mov_b32_e32 v5, 0
	s_mov_b32 s9, 0
	s_wait_loadcnt 0x0
	s_wait_kmcnt 0x0
	v_lshl_add_u32 v7, v8, 2, s3
.LBB357_2070:                           ; =>This Inner Loop Header: Depth=1
	ds_load_b32 v9, v7
	v_add_nc_u32_e32 v8, 0x80, v8
	s_delay_alu instid0(VALU_DEP_1) | instskip(SKIP_3) | instid1(VALU_DEP_1)
	v_cmp_ge_i32_e64 s3, v8, v2
	s_or_b32 s9, s3, s9
	s_wait_dscnt 0x0
	v_sub_f32_e32 v9, v9, v6
	v_mul_f32_e32 v9, 0x3fb8aa3b, v9
	s_delay_alu instid0(VALU_DEP_1)
	v_exp_f32_e32 v9, v9
	ds_store_b32 v7, v9
	v_nop
	v_add_f32_e32 v5, v5, v9
	v_add_nc_u32_e32 v7, 0x200, v7
	s_and_not1_b32 exec_lo, exec_lo, s9
	s_cbranch_execnz .LBB357_2070
; %bb.2071:
	s_or_b32 exec_lo, exec_lo, s9
.LBB357_2072:
	s_delay_alu instid0(SALU_CYCLE_1)
	s_or_b32 exec_lo, exec_lo, s8
	ds_bpermute_b32 v0, v0, v5
	s_wait_dscnt 0x0
	v_add_f32_e32 v0, v5, v0
	ds_bpermute_b32 v1, v1, v0
	s_wait_dscnt 0x0
	v_add_f32_e32 v0, v0, v1
	;; [unrolled: 3-line block ×5, first 2 shown]
	s_and_saveexec_b32 s3, vcc_lo
; %bb.2073:
	ds_store_b32 v4, v0 offset:528
; %bb.2074:
	s_or_b32 exec_lo, exec_lo, s3
	s_wait_dscnt 0x0
	s_barrier_signal -1
	s_barrier_wait -1
	s_and_saveexec_b32 s3, s1
; %bb.2075:
	ds_load_b32 v0, v10 offset:528
; %bb.2076:
	s_or_b32 exec_lo, exec_lo, s3
	s_wait_dscnt 0x0
	ds_bpermute_b32 v1, v33, v0
	s_wait_dscnt 0x0
	v_dual_mov_b32 v97, 0 :: v_dual_add_f32 v0, v0, v1
	ds_bpermute_b32 v1, v68, v0
	s_wait_dscnt 0x0
	v_add_f32_e32 v0, v0, v1
	ds_bpermute_b32 v0, v97, v0
	s_and_saveexec_b32 s1, s2
	s_cbranch_execz .LBB357_2089
; %bb.2077:
	s_wait_dscnt 0x0
	v_add_f32_e32 v0, 0x358637bd, v0
	s_mov_b32 s3, -1
	s_mov_b32 s2, exec_lo
	s_delay_alu instid0(VALU_DEP_1) | instskip(SKIP_1) | instid1(VALU_DEP_2)
	v_div_scale_f32 v1, null, v0, v0, 1.0
	v_div_scale_f32 v5, vcc_lo, 1.0, v0, 1.0
	v_rcp_f32_e32 v4, v1
	v_nop
	s_delay_alu instid0(TRANS32_DEP_1) | instskip(NEXT) | instid1(VALU_DEP_1)
	v_fma_f32 v3, -v1, v4, 1.0
	v_fmac_f32_e32 v4, v3, v4
	s_delay_alu instid0(VALU_DEP_1) | instskip(NEXT) | instid1(VALU_DEP_1)
	v_mul_f32_e32 v6, v5, v4
	v_fma_f32 v3, -v1, v6, v5
	s_delay_alu instid0(VALU_DEP_1) | instskip(NEXT) | instid1(VALU_DEP_1)
	v_fmac_f32_e32 v6, v3, v4
	v_fma_f32 v1, -v1, v6, v5
	scratch_load_b32 v5, off, s32 offset:1436 ; 4-byte Folded Reload
	v_div_fmas_f32 v1, v1, v4, v6
	s_delay_alu instid0(VALU_DEP_1) | instskip(SKIP_3) | instid1(VALU_DEP_2)
	v_div_fixup_f32 v0, v1, v0, 1.0
	s_wait_loadcnt 0x0
	v_xad_u32 v3, v5, -1, v2
	v_mov_b32_e32 v1, v5
	v_cmpx_lt_u32_e32 0x7f, v3
	s_cbranch_execz .LBB357_2086
; %bb.2078:
	v_dual_lshrrev_b32 v3, 7, v3 :: v_dual_mov_b32 v1, v0
	s_delay_alu instid0(VALU_DEP_1) | instskip(NEXT) | instid1(VALU_DEP_1)
	v_dual_mov_b32 v7, 0 :: v_dual_add_nc_u32 v4, -1, v3
	v_lshrrev_b32_e32 v5, 1, v4
	v_cmp_lt_u32_e32 vcc_lo, 13, v4
	s_delay_alu instid0(VALU_DEP_2)
	v_add_nc_u32_e32 v4, 1, v5
	s_and_saveexec_b32 s3, vcc_lo
	s_cbranch_execz .LBB357_2082
; %bb.2079:
	scratch_load_b32 v6, off, s32 offset:1436 ; 4-byte Folded Reload
	s_load_b32 s8, s[6:7], 0x0
	v_and_b32_e32 v5, -8, v4
	s_mov_b32 s9, 0
	s_wait_loadcnt 0x0
	s_wait_kmcnt 0x0
	v_lshl_add_u32 v6, v6, 2, s8
	s_mov_b32 s8, 0
.LBB357_2080:                           ; =>This Inner Loop Header: Depth=1
	ds_load_2addr_stride64_b32 v[8:9], v6 offset1:2
	ds_load_2addr_stride64_b32 v[10:11], v6 offset0:4 offset1:6
	ds_load_2addr_stride64_b32 v[12:13], v6 offset0:8 offset1:10
	;; [unrolled: 1-line block ×7, first 2 shown]
	s_add_co_i32 s9, s9, 16
	s_delay_alu instid0(SALU_CYCLE_1) | instskip(NEXT) | instid1(VALU_DEP_1)
	v_dual_add_nc_u32 v5, -8, v5 :: v_dual_mov_b32 v7, s9
	v_cmp_eq_u32_e32 vcc_lo, 0, v5
	s_or_b32 s8, vcc_lo, s8
	s_wait_dscnt 0x7
	v_pk_mul_f32 v[8:9], v[0:1], v[8:9]
	s_wait_dscnt 0x6
	v_pk_mul_f32 v[10:11], v[0:1], v[10:11]
	;; [unrolled: 2-line block ×8, first 2 shown]
	ds_store_2addr_stride64_b32 v6, v8, v9 offset1:2
	ds_store_2addr_stride64_b32 v6, v10, v11 offset0:4 offset1:6
	ds_store_2addr_stride64_b32 v6, v12, v13 offset0:8 offset1:10
	;; [unrolled: 1-line block ×7, first 2 shown]
	v_add_nc_u32_e32 v6, 0x2000, v6
	s_and_not1_b32 exec_lo, exec_lo, s8
	s_cbranch_execnz .LBB357_2080
; %bb.2081:
	s_or_b32 exec_lo, exec_lo, s8
.LBB357_2082:
	s_delay_alu instid0(SALU_CYCLE_1) | instskip(NEXT) | instid1(VALU_DEP_1)
	s_or_b32 exec_lo, exec_lo, s3
	v_and_b32_e32 v4, 7, v4
	s_mov_b32 s8, 0
	s_mov_b32 s3, exec_lo
	s_delay_alu instid0(VALU_DEP_1)
	v_cmpx_ne_u32_e32 0, v4
	s_cbranch_execz .LBB357_2085
; %bb.2083:
	scratch_load_b32 v6, off, s32 offset:1436 ; 4-byte Folded Reload
	s_load_b32 s9, s[6:7], 0x0
	s_wait_loadcnt 0x0
	v_dual_lshlrev_b32 v5, 9, v7 :: v_dual_lshlrev_b32 v6, 2, v6
	s_wait_kmcnt 0x0
	s_delay_alu instid0(VALU_DEP_1)
	v_add3_u32 v5, v5, v6, s9
.LBB357_2084:                           ; =>This Inner Loop Header: Depth=1
	ds_load_2addr_stride64_b32 v[6:7], v5 offset1:2
	v_add_nc_u32_e32 v4, -1, v4
	s_delay_alu instid0(VALU_DEP_1)
	v_cmp_eq_u32_e32 vcc_lo, 0, v4
	s_or_b32 s8, vcc_lo, s8
	s_wait_dscnt 0x0
	v_pk_mul_f32 v[6:7], v[0:1], v[6:7]
	ds_store_2addr_stride64_b32 v5, v6, v7 offset1:2
	v_add_nc_u32_e32 v5, 0x400, v5
	s_and_not1_b32 exec_lo, exec_lo, s8
	s_cbranch_execnz .LBB357_2084
.LBB357_2085:
	s_or_b32 exec_lo, exec_lo, s3
	v_add_nc_u32_e32 v1, 1, v3
	s_delay_alu instid0(VALU_DEP_1) | instskip(NEXT) | instid1(VALU_DEP_1)
	v_and_b32_e32 v3, 0x3fffffe, v1
	v_cmp_ne_u32_e32 vcc_lo, v1, v3
	scratch_load_b32 v1, off, s32 offset:1436 ; 4-byte Folded Reload
	s_or_not1_b32 s3, vcc_lo, exec_lo
	s_wait_loadcnt 0x0
	v_lshl_add_u32 v1, v3, 7, v1
.LBB357_2086:
	s_or_b32 exec_lo, exec_lo, s2
	s_delay_alu instid0(SALU_CYCLE_1)
	s_and_b32 exec_lo, exec_lo, s3
	s_cbranch_execz .LBB357_2089
; %bb.2087:
	s_load_b32 s2, s[6:7], 0x0
	s_wait_kmcnt 0x0
	v_lshl_add_u32 v3, v1, 2, s2
	s_mov_b32 s2, 0
.LBB357_2088:                           ; =>This Inner Loop Header: Depth=1
	ds_load_b32 v4, v3
	s_wait_dscnt 0x0
	v_dual_mul_f32 v4, v0, v4 :: v_dual_add_nc_u32 v1, 0x80, v1
	s_delay_alu instid0(VALU_DEP_1) | instskip(SKIP_3) | instid1(SALU_CYCLE_1)
	v_cmp_ge_i32_e32 vcc_lo, v1, v2
	ds_store_b32 v3, v4
	v_add_nc_u32_e32 v3, 0x200, v3
	s_or_b32 s2, vcc_lo, s2
	s_and_not1_b32 exec_lo, exec_lo, s2
	s_cbranch_execnz .LBB357_2088
.LBB357_2089:
	s_or_b32 exec_lo, exec_lo, s1
	v_dual_mov_b32 v96, 0 :: v_dual_mov_b32 v1, 0
	s_wait_dscnt 0x0
	v_dual_mov_b32 v0, 0 :: v_dual_mov_b32 v71, 0
	v_dual_mov_b32 v70, 0 :: v_dual_mov_b32 v4, 0
	v_mov_b32_e32 v3, 0
	scratch_store_b64 off, v[0:1], s32 offset:1288 ; 8-byte Folded Spill
	s_wait_xcnt 0x0
	v_dual_mov_b32 v1, 0 :: v_dual_mov_b32 v0, 0
	v_dual_mov_b32 v2, 0 :: v_dual_mov_b32 v5, 0
	scratch_store_b64 off, v[0:1], s32 offset:1256 ; 8-byte Folded Spill
	s_wait_xcnt 0x0
	v_dual_mov_b32 v1, 0 :: v_dual_mov_b32 v0, 0
	scratch_store_b64 off, v[0:1], s32 offset:1264 ; 8-byte Folded Spill
	s_wait_xcnt 0x0
	;; [unrolled: 3-line block ×10, first 2 shown]
	v_dual_mov_b32 v1, 0 :: v_dual_mov_b32 v0, 0
	s_wait_storecnt 0x0
	s_barrier_signal -1
	s_barrier_wait -1
	s_and_saveexec_b32 s1, s0
	s_cbranch_execz .LBB357_4207
; %bb.2090:
	s_clause 0x3
	scratch_store_b32 off, v33, s32 offset:1488
	scratch_store_b32 off, v68, s32 offset:1480
	scratch_load_b32 v0, off, s32 offset:2320 th:TH_LOAD_LU
	scratch_load_b32 v1, off, s32 offset:2348 th:TH_LOAD_LU
	v_dual_mov_b32 v4, 0 :: v_dual_mov_b32 v5, 0
	v_mov_b32_e32 v69, 0
	s_mov_b64 s[2:3], 0xffffffffffffff
	s_mov_b32 s8, 0
	s_wait_loadcnt 0x0
	v_max_i32_e32 v97, v0, v1
	s_clause 0x2
	scratch_load_b64 v[0:1], off, s32 offset:2324 th:TH_LOAD_LU
	scratch_load_b64 v[2:3], off, s32 offset:2332 th:TH_LOAD_LU
	scratch_store_b64 off, v[4:5], s32 offset:1336
	s_wait_xcnt 0x0
	v_dual_mov_b32 v4, 0 :: v_dual_mov_b32 v5, 0
	s_clause 0x1
	scratch_load_b32 v70, off, s32 offset:2316
	scratch_store_b64 off, v[4:5], s32 offset:1328
	s_wait_xcnt 0x0
	v_dual_mov_b32 v4, 0 :: v_dual_mov_b32 v5, 0
	scratch_store_b64 off, v[4:5], s32 offset:1304 ; 8-byte Folded Spill
	s_wait_xcnt 0x0
	v_dual_mov_b32 v4, 0 :: v_dual_mov_b32 v5, 0
	scratch_store_b64 off, v[4:5], s32 offset:1296 ; 8-byte Folded Spill
	;; [unrolled: 3-line block ×6, first 2 shown]
	s_wait_xcnt 0x0
	v_mov_b32_e32 v4, 0
	s_wait_loadcnt 0x1
	v_lshl_add_u64 v[0:1], v[2:3], 2, v[0:1]
	s_clause 0x2
	scratch_load_b64 v[2:3], off, s32 offset:2340 th:TH_LOAD_LU
	scratch_store_b64 off, v[0:1], s32 offset:1448
	scratch_load_b32 v0, off, s32 offset:1436
	s_wait_loadcnt 0x1
	v_add_nc_u64_e32 v[2:3], v[34:35], v[2:3]
	s_wait_loadcnt 0x0
	v_lshlrev_b32_e32 v0, 3, v0
	v_cvt_f32_u32_e32 v1, v97
	scratch_store_b64 off, v[2:3], s32 offset:1456 ; 8-byte Folded Spill
	s_wait_xcnt 0x0
	v_dual_mov_b32 v2, 0 :: v_dual_mov_b32 v3, 0
	v_dual_mov_b32 v5, 0 :: v_dual_bitop2_b32 v117, 24, v0 bitop3:0x40
	v_rcp_iflag_f32_e32 v1, v1
	scratch_store_b64 off, v[2:3], s32 offset:1384 ; 8-byte Folded Spill
	s_wait_xcnt 0x0
	v_dual_mov_b32 v2, 0 :: v_dual_mov_b32 v3, 0
	scratch_store_b64 off, v[4:5], s32 offset:1360 ; 8-byte Folded Spill
	s_wait_xcnt 0x0
	v_and_b32_e32 v4, 0xf8, v0
	v_mul_f32_e32 v1, 0x4f7ffffe, v1
	v_mov_b32_e32 v5, v69
	scratch_store_b64 off, v[2:3], s32 offset:1376 ; 8-byte Folded Spill
	s_wait_xcnt 0x0
	v_dual_mov_b32 v2, 0 :: v_dual_mov_b32 v3, 0
	scratch_store_b64 off, v[2:3], s32 offset:1368 ; 8-byte Folded Spill
	s_wait_xcnt 0x0
	v_dual_mov_b32 v2, 0 :: v_dual_mov_b32 v3, 0
	;; [unrolled: 3-line block ×3, first 2 shown]
	v_cvt_u32_f32_e32 v1, v1
	scratch_store_b64 off, v[2:3], s32 offset:1312 ; 8-byte Folded Spill
	s_wait_xcnt 0x0
	v_dual_mov_b32 v3, v69 :: v_dual_sub_nc_u32 v2, 0, v97
	scratch_store_b64 off, v[4:5], s32 offset:1464 ; 8-byte Folded Spill
	s_wait_xcnt 0x0
	v_or_b32_e32 v4, 0x1f00, v0
	v_mov_b32_e32 v0, 0
	v_mul_lo_u32 v2, v2, v1
	s_delay_alu instid0(VALU_DEP_1) | instskip(NEXT) | instid1(VALU_DEP_1)
	v_mul_hi_u32 v2, v1, v2
	v_dual_mov_b32 v1, 0 :: v_dual_add_nc_u32 v2, v1, v2
	s_clause 0x1
	scratch_store_b64 off, v[2:3], s32 offset:1392
	scratch_store_b64 off, v[0:1], s32 offset:1288
	s_wait_xcnt 0x0
	v_dual_mov_b32 v0, 0 :: v_dual_mov_b32 v1, 0
	s_clause 0x1
	scratch_store_b64 off, v[4:5], s32 offset:1472
	scratch_store_b64 off, v[0:1], s32 offset:1352
	s_branch .LBB357_2093
.LBB357_2091:                           ;   in Loop: Header=BB357_2093 Depth=1
	s_or_b32 exec_lo, exec_lo, s0
	scratch_load_b128 v[112:115], off, s32 offset:1416 th:TH_LOAD_LU ; 16-byte Folded Reload
	v_perm_b32 v102, v102, v103, 0x5040100
	v_perm_b32 v100, v100, v101, 0x5040100
	v_perm_b32 v84, v84, v85, 0x5040100
	v_perm_b32 v71, v99, v71, 0x5040100
	v_perm_b32 v11, v11, v26, 0x5040100
	v_perm_b32 v26, v98, v27, 0x5040100
	v_perm_b32 v80, v80, v81, 0x5040100
	v_perm_b32 v10, v10, v127, 0x5040100
	v_perm_b32 v8, v8, v9, 0x5040100
	v_perm_b32 v9, v78, v76, 0x5040100
	v_perm_b32 v6, v6, v7, 0x5040100
	v_perm_b32 v2, v3, v2, 0x5040100
	v_perm_b32 v4, v4, v5, 0x5040100
	v_perm_b32 v5, v12, v13, 0x5040100
	v_perm_b32 v1, v1, v17, 0x5040100
	v_perm_b32 v0, v16, v0, 0x5040100
	s_wait_loadcnt 0x0
	v_cvt_pk_bf16_f32 v92, v112, v113
	v_cvt_pk_bf16_f32 v75, v114, v115
	scratch_load_b128 v[112:115], off, s32 offset:1400 th:TH_LOAD_LU ; 16-byte Folded Reload
	v_pk_mul_bf16 v102, v92, v102
	v_pk_mul_bf16 v100, v75, v100
	;; [unrolled: 1-line block ×5, first 2 shown]
	v_lshlrev_b32_e32 v85, 16, v102
	v_and_b32_e32 v99, 0xffff0000, v102
	v_pk_mul_bf16 v4, v75, v4
	s_delay_alu instid0(VALU_DEP_4) | instskip(SKIP_1) | instid1(VALU_DEP_4)
	v_lshlrev_b32_e32 v3, 16, v6
	v_and_b32_e32 v6, 0xffff0000, v6
	v_dual_add_f32 v85, v85, v99 :: v_dual_lshlrev_b32 v99, 16, v100
	v_and_b32_e32 v100, 0xffff0000, v100
	s_delay_alu instid0(VALU_DEP_3) | instskip(SKIP_1) | instid1(VALU_DEP_3)
	v_dual_add_f32 v3, v3, v6 :: v_dual_lshlrev_b32 v6, 16, v4
	v_and_b32_e32 v4, 0xffff0000, v4
	v_add_f32_e32 v99, v99, v100
	s_delay_alu instid0(VALU_DEP_2) | instskip(NEXT) | instid1(VALU_DEP_1)
	v_add_f32_e32 v4, v6, v4
	v_add_f32_e32 v3, v3, v4
	s_wait_loadcnt 0x0
	v_cvt_pk_bf16_f32 v74, v112, v113
	v_cvt_pk_bf16_f32 v68, v114, v115
	s_delay_alu instid0(VALU_DEP_2) | instskip(SKIP_1) | instid1(VALU_DEP_3)
	v_pk_mul_bf16 v84, v74, v84
	v_add_f32_e32 v85, v85, v99
	v_pk_mul_bf16 v71, v68, v71
	v_pk_mul_bf16 v26, v68, v26
	;; [unrolled: 1-line block ×3, first 2 shown]
	v_lshlrev_b32_e32 v99, 16, v84
	v_and_b32_e32 v84, 0xffff0000, v84
	v_pk_mul_bf16 v9, v68, v9
	v_pk_mul_bf16 v8, v74, v8
	;; [unrolled: 1-line block ×4, first 2 shown]
	v_add_f32_e32 v84, v99, v84
	s_delay_alu instid0(VALU_DEP_1) | instskip(SKIP_1) | instid1(VALU_DEP_1)
	v_dual_add_f32 v84, v85, v84 :: v_dual_lshlrev_b32 v85, 16, v71
	v_and_b32_e32 v71, 0xffff0000, v71
	v_add_f32_e32 v71, v85, v71
	s_delay_alu instid0(VALU_DEP_1) | instskip(SKIP_4) | instid1(VALU_DEP_1)
	v_add_f32_e32 v71, v84, v71
	scratch_load_b64 v[84:85], off, s32 offset:1352 th:TH_LOAD_LU ; 8-byte Folded Reload
	s_wait_loadcnt 0x0
	v_add_f32_e32 v84, v84, v71
	v_perm_b32 v71, v86, v87, 0x5040100
	v_pk_mul_bf16 v71, v92, v71
	s_delay_alu instid0(VALU_DEP_1) | instskip(SKIP_1) | instid1(VALU_DEP_1)
	v_lshlrev_b32_e32 v27, 16, v71
	v_and_b32_e32 v71, 0xffff0000, v71
	v_dual_add_f32 v27, v27, v71 :: v_dual_lshlrev_b32 v71, 16, v80
	v_and_b32_e32 v80, 0xffff0000, v80
	s_delay_alu instid0(VALU_DEP_1) | instskip(SKIP_4) | instid1(VALU_DEP_1)
	v_add_f32_e32 v71, v71, v80
	scratch_load_b64 v[80:81], off, s32 offset:1288 th:TH_LOAD_LU ; 8-byte Folded Reload
	v_add_f32_e32 v27, v27, v71
	v_lshlrev_b32_e32 v71, 16, v11
	v_and_b32_e32 v11, 0xffff0000, v11
	v_dual_add_f32 v11, v71, v11 :: v_dual_lshlrev_b32 v71, 16, v10
	v_and_b32_e32 v10, 0xffff0000, v10
	s_delay_alu instid0(VALU_DEP_1) | instskip(NEXT) | instid1(VALU_DEP_3)
	v_add_f32_e32 v10, v71, v10
	v_dual_add_f32 v11, v27, v11 :: v_dual_lshlrev_b32 v27, 16, v26
	v_and_b32_e32 v26, 0xffff0000, v26
	s_delay_alu instid0(VALU_DEP_1) | instskip(SKIP_1) | instid1(VALU_DEP_2)
	v_add_f32_e32 v26, v27, v26
	v_perm_b32 v27, v125, v123, 0x5040100
	v_add_f32_e32 v11, v11, v26
	v_perm_b32 v26, v121, v83, 0x5040100
	s_delay_alu instid0(VALU_DEP_3) | instskip(NEXT) | instid1(VALU_DEP_2)
	v_pk_mul_bf16 v27, v68, v27
	v_pk_mul_bf16 v26, v74, v26
	s_wait_loadcnt 0x0
	v_add_f32_e32 v81, v81, v11
	v_perm_b32 v11, v124, v126, 0x5040100
	s_delay_alu instid0(VALU_DEP_1) | instskip(NEXT) | instid1(VALU_DEP_1)
	v_pk_mul_bf16 v11, v75, v11
	v_lshlrev_b32_e32 v71, 16, v11
	v_and_b32_e32 v11, 0xffff0000, v11
	s_delay_alu instid0(VALU_DEP_1) | instskip(NEXT) | instid1(VALU_DEP_1)
	v_add_f32_e32 v11, v71, v11
	v_dual_add_f32 v10, v10, v11 :: v_dual_lshlrev_b32 v11, 16, v26
	v_and_b32_e32 v26, 0xffff0000, v26
	s_delay_alu instid0(VALU_DEP_1) | instskip(SKIP_1) | instid1(VALU_DEP_2)
	v_add_f32_e32 v11, v11, v26
	v_and_b32_e32 v26, 0xffff0000, v27
	v_add_f32_e32 v10, v10, v11
	v_lshlrev_b32_e32 v11, 16, v27
	v_perm_b32 v27, v109, v107, 0x5040100
	s_delay_alu instid0(VALU_DEP_2) | instskip(SKIP_1) | instid1(VALU_DEP_3)
	v_add_f32_e32 v11, v11, v26
	v_perm_b32 v26, v90, v91, 0x5040100
	v_pk_mul_bf16 v27, v68, v27
	s_delay_alu instid0(VALU_DEP_3) | instskip(SKIP_1) | instid1(VALU_DEP_4)
	v_add_f32_e32 v10, v10, v11
	v_perm_b32 v11, v108, v122, 0x5040100
	v_pk_mul_bf16 v26, v74, v26
	s_delay_alu instid0(VALU_DEP_3) | instskip(SKIP_1) | instid1(VALU_DEP_4)
	v_add_f32_e32 v80, v80, v10
	v_perm_b32 v10, v111, v120, 0x5040100
	v_pk_mul_bf16 v11, v75, v11
	s_clause 0x1
	scratch_store_b64 off, v[80:81], s32 offset:1288
	scratch_load_b64 v[80:81], off, s32 offset:1360 th:TH_LOAD_LU
	v_pk_mul_bf16 v10, v92, v10
	s_delay_alu instid0(VALU_DEP_1) | instskip(SKIP_1) | instid1(VALU_DEP_1)
	v_lshlrev_b32_e32 v71, 16, v10
	v_and_b32_e32 v10, 0xffff0000, v10
	v_dual_add_f32 v10, v71, v10 :: v_dual_lshlrev_b32 v71, 16, v11
	v_and_b32_e32 v11, 0xffff0000, v11
	s_delay_alu instid0(VALU_DEP_1) | instskip(NEXT) | instid1(VALU_DEP_1)
	v_add_f32_e32 v11, v71, v11
	v_dual_add_f32 v10, v10, v11 :: v_dual_lshlrev_b32 v11, 16, v26
	v_and_b32_e32 v26, 0xffff0000, v26
	s_delay_alu instid0(VALU_DEP_1) | instskip(SKIP_1) | instid1(VALU_DEP_2)
	v_add_f32_e32 v11, v11, v26
	v_and_b32_e32 v26, 0xffff0000, v27
	v_add_f32_e32 v10, v10, v11
	v_lshlrev_b32_e32 v11, 16, v27
	s_delay_alu instid0(VALU_DEP_1) | instskip(NEXT) | instid1(VALU_DEP_1)
	v_add_f32_e32 v11, v11, v26
	v_add_f32_e32 v10, v10, v11
	v_perm_b32 v11, v77, v79, 0x5040100
	s_delay_alu instid0(VALU_DEP_1) | instskip(SKIP_1) | instid1(VALU_DEP_3)
	v_pk_mul_bf16 v11, v75, v11
	s_wait_loadcnt 0x0
	v_add_f32_e32 v81, v81, v10
	v_perm_b32 v10, v88, v89, 0x5040100
	s_delay_alu instid0(VALU_DEP_1) | instskip(NEXT) | instid1(VALU_DEP_1)
	v_pk_mul_bf16 v10, v92, v10
	v_lshlrev_b32_e32 v26, 16, v10
	v_and_b32_e32 v10, 0xffff0000, v10
	s_delay_alu instid0(VALU_DEP_1) | instskip(SKIP_1) | instid1(VALU_DEP_1)
	v_dual_add_f32 v10, v26, v10 :: v_dual_lshlrev_b32 v26, 16, v11
	v_and_b32_e32 v11, 0xffff0000, v11
	v_add_f32_e32 v11, v26, v11
	s_delay_alu instid0(VALU_DEP_1) | instskip(SKIP_1) | instid1(VALU_DEP_1)
	v_dual_add_f32 v10, v10, v11 :: v_dual_lshlrev_b32 v11, 16, v8
	v_and_b32_e32 v8, 0xffff0000, v8
	v_add_f32_e32 v8, v11, v8
	;; [unrolled: 4-line block ×3, first 2 shown]
	s_delay_alu instid0(VALU_DEP_1) | instskip(NEXT) | instid1(VALU_DEP_1)
	v_add_f32_e32 v8, v8, v9
	v_add_f32_e32 v80, v80, v8
	scratch_load_b64 v[8:9], off, s32 offset:1256 th:TH_LOAD_LU ; 8-byte Folded Reload
	v_lshlrev_b32_e32 v4, 16, v5
	v_and_b32_e32 v5, 0xffff0000, v5
	s_delay_alu instid0(VALU_DEP_1) | instskip(SKIP_1) | instid1(VALU_DEP_2)
	v_add_f32_e32 v4, v4, v5
	v_perm_b32 v5, v64, v54, 0x5040100
	v_dual_add_f32 v3, v3, v4 :: v_dual_lshlrev_b32 v4, 16, v2
	v_and_b32_e32 v2, 0xffff0000, v2
	s_delay_alu instid0(VALU_DEP_3) | instskip(NEXT) | instid1(VALU_DEP_2)
	v_pk_mul_bf16 v5, v68, v5
	v_add_f32_e32 v2, v4, v2
	v_perm_b32 v4, v52, v53, 0x5040100
	s_delay_alu instid0(VALU_DEP_2) | instskip(SKIP_1) | instid1(VALU_DEP_3)
	v_add_f32_e32 v2, v3, v2
	v_perm_b32 v3, v55, v65, 0x5040100
	v_pk_mul_bf16 v4, v74, v4
	s_delay_alu instid0(VALU_DEP_2) | instskip(SKIP_3) | instid1(VALU_DEP_1)
	v_pk_mul_bf16 v3, v75, v3
	s_wait_loadcnt 0x0
	v_add_f32_e32 v9, v9, v2
	v_perm_b32 v2, v66, v67, 0x5040100
	v_pk_mul_bf16 v2, v92, v2
	s_delay_alu instid0(VALU_DEP_1) | instskip(SKIP_1) | instid1(VALU_DEP_1)
	v_lshlrev_b32_e32 v6, 16, v2
	v_and_b32_e32 v2, 0xffff0000, v2
	v_dual_add_f32 v2, v6, v2 :: v_dual_lshlrev_b32 v6, 16, v3
	v_and_b32_e32 v3, 0xffff0000, v3
	s_delay_alu instid0(VALU_DEP_1) | instskip(NEXT) | instid1(VALU_DEP_1)
	v_add_f32_e32 v3, v6, v3
	v_dual_add_f32 v2, v2, v3 :: v_dual_lshlrev_b32 v3, 16, v4
	v_and_b32_e32 v4, 0xffff0000, v4
	s_delay_alu instid0(VALU_DEP_1) | instskip(SKIP_1) | instid1(VALU_DEP_2)
	v_add_f32_e32 v3, v3, v4
	v_and_b32_e32 v4, 0xffff0000, v5
	v_dual_add_f32 v2, v2, v3 :: v_dual_lshlrev_b32 v3, 16, v5
	v_perm_b32 v5, v39, v38, 0x5040100
	s_delay_alu instid0(VALU_DEP_2) | instskip(SKIP_1) | instid1(VALU_DEP_3)
	v_add_f32_e32 v3, v3, v4
	v_perm_b32 v4, v36, v37, 0x5040100
	v_pk_mul_bf16 v5, v68, v5
	s_delay_alu instid0(VALU_DEP_3) | instskip(SKIP_1) | instid1(VALU_DEP_4)
	v_add_f32_e32 v2, v2, v3
	v_perm_b32 v3, v48, v49, 0x5040100
	v_pk_mul_bf16 v4, v74, v4
	s_delay_alu instid0(VALU_DEP_3)
	v_add_f32_e32 v8, v8, v2
	scratch_store_b64 off, v[80:81], s32 offset:1360 ; 8-byte Folded Spill
	v_perm_b32 v2, v50, v51, 0x5040100
	v_pk_mul_bf16 v3, v75, v3
	s_clause 0x1
	scratch_store_b64 off, v[8:9], s32 offset:1256
	scratch_load_b64 v[8:9], off, s32 offset:1264 th:TH_LOAD_LU
	v_pk_mul_bf16 v2, v92, v2
	s_delay_alu instid0(VALU_DEP_1) | instskip(SKIP_1) | instid1(VALU_DEP_1)
	v_lshlrev_b32_e32 v6, 16, v2
	v_and_b32_e32 v2, 0xffff0000, v2
	v_dual_add_f32 v2, v6, v2 :: v_dual_lshlrev_b32 v6, 16, v3
	v_and_b32_e32 v3, 0xffff0000, v3
	s_delay_alu instid0(VALU_DEP_1) | instskip(NEXT) | instid1(VALU_DEP_1)
	v_add_f32_e32 v3, v6, v3
	v_dual_add_f32 v2, v2, v3 :: v_dual_lshlrev_b32 v3, 16, v4
	v_and_b32_e32 v4, 0xffff0000, v4
	s_delay_alu instid0(VALU_DEP_1) | instskip(SKIP_1) | instid1(VALU_DEP_2)
	v_add_f32_e32 v3, v3, v4
	v_and_b32_e32 v4, 0xffff0000, v5
	v_dual_add_f32 v2, v2, v3 :: v_dual_lshlrev_b32 v3, 16, v5
	v_perm_b32 v5, v32, v30, 0x5040100
	s_delay_alu instid0(VALU_DEP_2) | instskip(SKIP_1) | instid1(VALU_DEP_3)
	v_add_f32_e32 v3, v3, v4
	v_perm_b32 v4, v28, v29, 0x5040100
	v_pk_mul_bf16 v5, v68, v5
	s_delay_alu instid0(VALU_DEP_3) | instskip(SKIP_1) | instid1(VALU_DEP_4)
	v_add_f32_e32 v2, v2, v3
	v_perm_b32 v3, v31, v33, 0x5040100
	v_pk_mul_bf16 v4, v74, v4
	s_delay_alu instid0(VALU_DEP_2) | instskip(SKIP_3) | instid1(VALU_DEP_1)
	v_pk_mul_bf16 v3, v75, v3
	s_wait_loadcnt 0x0
	v_add_f32_e32 v9, v9, v2
	v_perm_b32 v2, v34, v35, 0x5040100
	v_pk_mul_bf16 v2, v92, v2
	s_delay_alu instid0(VALU_DEP_1) | instskip(SKIP_1) | instid1(VALU_DEP_1)
	v_lshlrev_b32_e32 v6, 16, v2
	v_and_b32_e32 v2, 0xffff0000, v2
	v_dual_add_f32 v2, v6, v2 :: v_dual_lshlrev_b32 v6, 16, v3
	v_and_b32_e32 v3, 0xffff0000, v3
	s_delay_alu instid0(VALU_DEP_1) | instskip(NEXT) | instid1(VALU_DEP_1)
	v_add_f32_e32 v3, v6, v3
	v_dual_add_f32 v2, v2, v3 :: v_dual_lshlrev_b32 v3, 16, v4
	v_and_b32_e32 v4, 0xffff0000, v4
	s_delay_alu instid0(VALU_DEP_1) | instskip(SKIP_1) | instid1(VALU_DEP_2)
	v_add_f32_e32 v3, v3, v4
	v_and_b32_e32 v4, 0xffff0000, v5
	v_dual_add_f32 v2, v2, v3 :: v_dual_lshlrev_b32 v3, 16, v5
	v_perm_b32 v5, v20, v14, 0x5040100
	s_delay_alu instid0(VALU_DEP_2) | instskip(SKIP_1) | instid1(VALU_DEP_3)
	v_add_f32_e32 v3, v3, v4
	v_perm_b32 v4, v72, v73, 0x5040100
	v_pk_mul_bf16 v5, v68, v5
	s_delay_alu instid0(VALU_DEP_3) | instskip(SKIP_1) | instid1(VALU_DEP_4)
	v_add_f32_e32 v2, v2, v3
	v_perm_b32 v3, v15, v21, 0x5040100
	v_pk_mul_bf16 v4, v74, v4
	s_delay_alu instid0(VALU_DEP_3) | instskip(SKIP_1) | instid1(VALU_DEP_4)
	v_add_f32_e32 v8, v8, v2
	v_perm_b32 v2, v24, v25, 0x5040100
	v_pk_mul_bf16 v3, v75, v3
	s_clause 0x1
	scratch_store_b64 off, v[8:9], s32 offset:1264
	scratch_load_b64 v[8:9], off, s32 offset:1272 th:TH_LOAD_LU
	v_pk_mul_bf16 v2, v92, v2
	s_delay_alu instid0(VALU_DEP_1) | instskip(SKIP_1) | instid1(VALU_DEP_1)
	v_lshlrev_b32_e32 v6, 16, v2
	v_and_b32_e32 v2, 0xffff0000, v2
	v_dual_add_f32 v2, v6, v2 :: v_dual_lshlrev_b32 v6, 16, v3
	v_and_b32_e32 v3, 0xffff0000, v3
	s_delay_alu instid0(VALU_DEP_1) | instskip(NEXT) | instid1(VALU_DEP_1)
	v_add_f32_e32 v3, v6, v3
	v_dual_add_f32 v2, v2, v3 :: v_dual_lshlrev_b32 v3, 16, v4
	v_and_b32_e32 v4, 0xffff0000, v4
	s_delay_alu instid0(VALU_DEP_1) | instskip(SKIP_1) | instid1(VALU_DEP_2)
	v_add_f32_e32 v3, v3, v4
	v_and_b32_e32 v4, 0xffff0000, v5
	v_dual_add_f32 v2, v2, v3 :: v_dual_lshlrev_b32 v3, 16, v5
	v_perm_b32 v5, v60, v46, 0x5040100
	s_delay_alu instid0(VALU_DEP_2) | instskip(SKIP_1) | instid1(VALU_DEP_3)
	v_add_f32_e32 v3, v3, v4
	v_perm_b32 v4, v110, v57, 0x5040100
	v_pk_mul_bf16 v5, v68, v5
	s_delay_alu instid0(VALU_DEP_3) | instskip(SKIP_1) | instid1(VALU_DEP_4)
	v_add_f32_e32 v2, v2, v3
	v_perm_b32 v3, v59, v61, 0x5040100
	v_pk_mul_bf16 v4, v74, v4
	s_delay_alu instid0(VALU_DEP_2) | instskip(SKIP_3) | instid1(VALU_DEP_1)
	v_pk_mul_bf16 v3, v75, v3
	s_wait_loadcnt 0x0
	v_add_f32_e32 v9, v9, v2
	v_perm_b32 v2, v62, v63, 0x5040100
	v_pk_mul_bf16 v2, v92, v2
	s_delay_alu instid0(VALU_DEP_1) | instskip(SKIP_1) | instid1(VALU_DEP_1)
	v_lshlrev_b32_e32 v6, 16, v2
	v_and_b32_e32 v2, 0xffff0000, v2
	v_dual_add_f32 v2, v6, v2 :: v_dual_lshlrev_b32 v6, 16, v3
	v_and_b32_e32 v3, 0xffff0000, v3
	s_delay_alu instid0(VALU_DEP_1) | instskip(NEXT) | instid1(VALU_DEP_1)
	v_add_f32_e32 v3, v6, v3
	v_dual_add_f32 v2, v2, v3 :: v_dual_lshlrev_b32 v3, 16, v4
	v_and_b32_e32 v4, 0xffff0000, v4
	s_delay_alu instid0(VALU_DEP_1) | instskip(SKIP_1) | instid1(VALU_DEP_2)
	v_add_f32_e32 v3, v3, v4
	v_and_b32_e32 v4, 0xffff0000, v5
	v_dual_add_f32 v2, v2, v3 :: v_dual_lshlrev_b32 v3, 16, v5
	v_perm_b32 v5, v43, v44, 0x5040100
	s_delay_alu instid0(VALU_DEP_2) | instskip(SKIP_1) | instid1(VALU_DEP_3)
	v_add_f32_e32 v3, v3, v4
	v_perm_b32 v4, v82, v96, 0x5040100
	v_pk_mul_bf16 v5, v68, v5
	s_delay_alu instid0(VALU_DEP_3) | instskip(SKIP_1) | instid1(VALU_DEP_4)
	v_add_f32_e32 v2, v2, v3
	v_perm_b32 v3, v58, v45, 0x5040100
	v_pk_mul_bf16 v4, v74, v4
	s_delay_alu instid0(VALU_DEP_3) | instskip(SKIP_1) | instid1(VALU_DEP_4)
	v_add_f32_e32 v8, v8, v2
	v_perm_b32 v2, v56, v47, 0x5040100
	v_pk_mul_bf16 v3, v75, v3
	scratch_store_b64 off, v[8:9], s32 offset:1272 ; 8-byte Folded Spill
	v_pk_mul_bf16 v2, v92, v2
	scratch_load_b64 v[8:9], off, s32 offset:1280 th:TH_LOAD_LU ; 8-byte Folded Reload
	v_lshlrev_b32_e32 v6, 16, v2
	v_and_b32_e32 v2, 0xffff0000, v2
	s_delay_alu instid0(VALU_DEP_1) | instskip(SKIP_1) | instid1(VALU_DEP_1)
	v_dual_add_f32 v2, v6, v2 :: v_dual_lshlrev_b32 v6, 16, v3
	v_and_b32_e32 v3, 0xffff0000, v3
	v_add_f32_e32 v3, v6, v3
	s_delay_alu instid0(VALU_DEP_1) | instskip(SKIP_1) | instid1(VALU_DEP_1)
	v_dual_add_f32 v2, v2, v3 :: v_dual_lshlrev_b32 v3, 16, v4
	v_and_b32_e32 v4, 0xffff0000, v4
	v_add_f32_e32 v3, v3, v4
	v_and_b32_e32 v4, 0xffff0000, v5
	s_delay_alu instid0(VALU_DEP_2) | instskip(NEXT) | instid1(VALU_DEP_1)
	v_dual_add_f32 v2, v2, v3 :: v_dual_lshlrev_b32 v3, 16, v5
	v_add_f32_e32 v3, v3, v4
	s_delay_alu instid0(VALU_DEP_1)
	v_add_f32_e32 v2, v2, v3
	s_clause 0x2
	scratch_load_b32 v3, off, s32 offset:1248 th:TH_LOAD_LU
	scratch_load_b32 v4, off, s32 offset:1228 th:TH_LOAD_LU
	;; [unrolled: 1-line block ×3, first 2 shown]
	s_wait_loadcnt 0x3
	v_add_f32_e32 v9, v9, v2
	v_perm_b32 v2, v40, v41, 0x5040100
	s_delay_alu instid0(VALU_DEP_1) | instskip(NEXT) | instid1(VALU_DEP_1)
	v_pk_mul_bf16 v2, v92, v2
	v_lshlrev_b32_e32 v6, 16, v2
	v_and_b32_e32 v2, 0xffff0000, v2
	s_delay_alu instid0(VALU_DEP_1)
	v_add_f32_e32 v2, v6, v2
	s_wait_loadcnt 0x2
	v_perm_b32 v3, v3, v119, 0x5040100
	s_wait_loadcnt 0x0
	v_perm_b32 v4, v4, v5, 0x5040100
	scratch_load_b32 v5, off, s32 offset:1240 th:TH_LOAD_LU ; 4-byte Folded Reload
	v_pk_mul_bf16 v3, v75, v3
	v_pk_mul_bf16 v4, v74, v4
	s_delay_alu instid0(VALU_DEP_2) | instskip(SKIP_1) | instid1(VALU_DEP_1)
	v_lshlrev_b32_e32 v6, 16, v3
	v_and_b32_e32 v3, 0xffff0000, v3
	v_add_f32_e32 v3, v6, v3
	s_delay_alu instid0(VALU_DEP_1) | instskip(SKIP_1) | instid1(VALU_DEP_1)
	v_dual_add_f32 v2, v2, v3 :: v_dual_lshlrev_b32 v3, 16, v4
	v_and_b32_e32 v4, 0xffff0000, v4
	v_add_f32_e32 v3, v3, v4
	s_wait_loadcnt 0x0
	v_perm_b32 v5, v118, v5, 0x5040100
	s_delay_alu instid0(VALU_DEP_1) | instskip(NEXT) | instid1(VALU_DEP_1)
	v_pk_mul_bf16 v5, v68, v5
	v_dual_add_f32 v2, v2, v3 :: v_dual_lshlrev_b32 v3, 16, v5
	v_and_b32_e32 v4, 0xffff0000, v5
	s_delay_alu instid0(VALU_DEP_1) | instskip(NEXT) | instid1(VALU_DEP_1)
	v_add_f32_e32 v3, v3, v4
	v_add_f32_e32 v2, v2, v3
	s_delay_alu instid0(VALU_DEP_1)
	v_add_f32_e32 v8, v8, v2
	s_clause 0x2
	scratch_store_b64 off, v[8:9], s32 offset:1280
	scratch_load_b32 v2, off, s32 offset:1216 th:TH_LOAD_LU
	scratch_load_b32 v3, off, s32 offset:1224 th:TH_LOAD_LU
	s_wait_loadcnt 0x0
	v_perm_b32 v2, v2, v3, 0x5040100
	s_clause 0x1
	scratch_load_b32 v3, off, s32 offset:1200 th:TH_LOAD_LU
	scratch_load_b32 v4, off, s32 offset:1208 th:TH_LOAD_LU
	v_pk_mul_bf16 v2, v92, v2
	s_wait_loadcnt 0x0
	v_perm_b32 v3, v3, v4, 0x5040100
	s_clause 0x1
	scratch_load_b32 v4, off, s32 offset:1168 th:TH_LOAD_LU
	scratch_load_b32 v5, off, s32 offset:1176 th:TH_LOAD_LU
	v_pk_mul_bf16 v3, v75, v3
	s_wait_loadcnt 0x0
	v_perm_b32 v4, v4, v5, 0x5040100
	s_clause 0x2
	scratch_load_b32 v5, off, s32 offset:1184 th:TH_LOAD_LU
	scratch_load_b32 v6, off, s32 offset:1192 th:TH_LOAD_LU
	scratch_load_b64 v[8:9], off, s32 offset:1296 th:TH_LOAD_LU
	v_pk_mul_bf16 v4, v74, v4
	s_wait_loadcnt 0x1
	v_perm_b32 v5, v6, v5, 0x5040100
	v_lshlrev_b32_e32 v6, 16, v2
	v_and_b32_e32 v2, 0xffff0000, v2
	s_delay_alu instid0(VALU_DEP_3) | instskip(NEXT) | instid1(VALU_DEP_2)
	v_pk_mul_bf16 v5, v68, v5
	v_dual_add_f32 v2, v6, v2 :: v_dual_lshlrev_b32 v6, 16, v3
	v_and_b32_e32 v3, 0xffff0000, v3
	s_delay_alu instid0(VALU_DEP_1) | instskip(NEXT) | instid1(VALU_DEP_1)
	v_add_f32_e32 v3, v6, v3
	v_dual_add_f32 v2, v2, v3 :: v_dual_lshlrev_b32 v3, 16, v4
	v_and_b32_e32 v4, 0xffff0000, v4
	s_delay_alu instid0(VALU_DEP_1) | instskip(SKIP_1) | instid1(VALU_DEP_2)
	v_add_f32_e32 v3, v3, v4
	v_and_b32_e32 v4, 0xffff0000, v5
	v_dual_add_f32 v2, v2, v3 :: v_dual_lshlrev_b32 v3, 16, v5
	s_delay_alu instid0(VALU_DEP_1) | instskip(NEXT) | instid1(VALU_DEP_1)
	v_add_f32_e32 v3, v3, v4
	v_add_f32_e32 v2, v2, v3
	s_wait_loadcnt 0x0
	s_delay_alu instid0(VALU_DEP_1)
	v_add_f32_e32 v9, v9, v2
	s_clause 0x1
	scratch_load_b32 v2, off, s32 offset:1152 th:TH_LOAD_LU
	scratch_load_b32 v3, off, s32 offset:1160 th:TH_LOAD_LU
	s_wait_loadcnt 0x0
	v_perm_b32 v2, v2, v3, 0x5040100
	s_clause 0x1
	scratch_load_b32 v3, off, s32 offset:1128 th:TH_LOAD_LU
	scratch_load_b32 v4, off, s32 offset:1144 th:TH_LOAD_LU
	v_pk_mul_bf16 v2, v92, v2
	s_wait_loadcnt 0x0
	v_perm_b32 v3, v3, v4, 0x5040100
	s_clause 0x1
	scratch_load_b32 v4, off, s32 offset:1104 th:TH_LOAD_LU
	scratch_load_b32 v5, off, s32 offset:1112 th:TH_LOAD_LU
	v_pk_mul_bf16 v3, v75, v3
	;; [unrolled: 6-line block ×3, first 2 shown]
	s_wait_loadcnt 0x0
	v_perm_b32 v5, v6, v5, 0x5040100
	v_lshlrev_b32_e32 v6, 16, v2
	v_and_b32_e32 v2, 0xffff0000, v2
	s_delay_alu instid0(VALU_DEP_3) | instskip(NEXT) | instid1(VALU_DEP_2)
	v_pk_mul_bf16 v5, v68, v5
	v_dual_add_f32 v2, v6, v2 :: v_dual_lshlrev_b32 v6, 16, v3
	v_and_b32_e32 v3, 0xffff0000, v3
	s_delay_alu instid0(VALU_DEP_1) | instskip(NEXT) | instid1(VALU_DEP_1)
	v_add_f32_e32 v3, v6, v3
	v_dual_add_f32 v2, v2, v3 :: v_dual_lshlrev_b32 v3, 16, v4
	v_and_b32_e32 v4, 0xffff0000, v4
	s_delay_alu instid0(VALU_DEP_1) | instskip(SKIP_1) | instid1(VALU_DEP_2)
	v_add_f32_e32 v3, v3, v4
	v_and_b32_e32 v4, 0xffff0000, v5
	v_dual_add_f32 v2, v2, v3 :: v_dual_lshlrev_b32 v3, 16, v5
	s_delay_alu instid0(VALU_DEP_1) | instskip(NEXT) | instid1(VALU_DEP_1)
	v_add_f32_e32 v3, v3, v4
	v_add_f32_e32 v2, v2, v3
	s_delay_alu instid0(VALU_DEP_1)
	v_add_f32_e32 v8, v8, v2
	s_clause 0x2
	scratch_store_b64 off, v[8:9], s32 offset:1296
	scratch_load_b32 v2, off, s32 offset:1096 th:TH_LOAD_LU
	scratch_load_b32 v3, off, s32 offset:1100 th:TH_LOAD_LU
	s_wait_loadcnt 0x0
	v_perm_b32 v2, v2, v3, 0x5040100
	s_clause 0x1
	scratch_load_b32 v3, off, s32 offset:1080 th:TH_LOAD_LU
	scratch_load_b32 v4, off, s32 offset:1092 th:TH_LOAD_LU
	v_pk_mul_bf16 v2, v92, v2
	s_wait_loadcnt 0x0
	v_perm_b32 v3, v3, v4, 0x5040100
	s_clause 0x1
	scratch_load_b32 v4, off, s32 offset:1060 th:TH_LOAD_LU
	scratch_load_b32 v5, off, s32 offset:1068 th:TH_LOAD_LU
	v_pk_mul_bf16 v3, v75, v3
	s_wait_loadcnt 0x0
	v_perm_b32 v4, v4, v5, 0x5040100
	s_clause 0x2
	scratch_load_b32 v5, off, s32 offset:1072 th:TH_LOAD_LU
	scratch_load_b32 v6, off, s32 offset:1088 th:TH_LOAD_LU
	scratch_load_b64 v[8:9], off, s32 offset:1304 th:TH_LOAD_LU
	v_pk_mul_bf16 v4, v74, v4
	s_wait_loadcnt 0x1
	v_perm_b32 v5, v6, v5, 0x5040100
	v_lshlrev_b32_e32 v6, 16, v2
	v_and_b32_e32 v2, 0xffff0000, v2
	s_delay_alu instid0(VALU_DEP_3) | instskip(NEXT) | instid1(VALU_DEP_2)
	v_pk_mul_bf16 v5, v68, v5
	v_dual_add_f32 v2, v6, v2 :: v_dual_lshlrev_b32 v6, 16, v3
	v_and_b32_e32 v3, 0xffff0000, v3
	s_delay_alu instid0(VALU_DEP_1) | instskip(NEXT) | instid1(VALU_DEP_1)
	v_add_f32_e32 v3, v6, v3
	v_dual_add_f32 v2, v2, v3 :: v_dual_lshlrev_b32 v3, 16, v4
	v_and_b32_e32 v4, 0xffff0000, v4
	s_delay_alu instid0(VALU_DEP_1) | instskip(SKIP_1) | instid1(VALU_DEP_2)
	v_add_f32_e32 v3, v3, v4
	v_and_b32_e32 v4, 0xffff0000, v5
	v_dual_add_f32 v2, v2, v3 :: v_dual_lshlrev_b32 v3, 16, v5
	s_delay_alu instid0(VALU_DEP_1) | instskip(NEXT) | instid1(VALU_DEP_1)
	v_add_f32_e32 v3, v3, v4
	v_add_f32_e32 v2, v2, v3
	s_wait_loadcnt 0x0
	s_delay_alu instid0(VALU_DEP_1)
	v_add_f32_e32 v9, v9, v2
	s_clause 0x1
	scratch_load_b32 v2, off, s32 offset:1044 th:TH_LOAD_LU
	scratch_load_b32 v3, off, s32 offset:1052 th:TH_LOAD_LU
	s_wait_loadcnt 0x0
	v_perm_b32 v2, v2, v3, 0x5040100
	s_clause 0x1
	scratch_load_b32 v3, off, s32 offset:1020 th:TH_LOAD_LU
	scratch_load_b32 v4, off, s32 offset:1036 th:TH_LOAD_LU
	v_pk_mul_bf16 v2, v92, v2
	s_wait_loadcnt 0x0
	v_perm_b32 v3, v3, v4, 0x5040100
	s_clause 0x1
	scratch_load_b32 v4, off, s32 offset:996 th:TH_LOAD_LU
	scratch_load_b32 v5, off, s32 offset:1004 th:TH_LOAD_LU
	v_pk_mul_bf16 v3, v75, v3
	;; [unrolled: 6-line block ×3, first 2 shown]
	s_wait_loadcnt 0x0
	v_perm_b32 v5, v6, v5, 0x5040100
	v_lshlrev_b32_e32 v6, 16, v2
	v_and_b32_e32 v2, 0xffff0000, v2
	s_delay_alu instid0(VALU_DEP_3) | instskip(NEXT) | instid1(VALU_DEP_2)
	v_pk_mul_bf16 v5, v68, v5
	v_dual_add_f32 v2, v6, v2 :: v_dual_lshlrev_b32 v6, 16, v3
	v_and_b32_e32 v3, 0xffff0000, v3
	s_delay_alu instid0(VALU_DEP_1) | instskip(NEXT) | instid1(VALU_DEP_1)
	v_add_f32_e32 v3, v6, v3
	v_dual_add_f32 v2, v2, v3 :: v_dual_lshlrev_b32 v3, 16, v4
	v_and_b32_e32 v4, 0xffff0000, v4
	s_delay_alu instid0(VALU_DEP_1) | instskip(SKIP_1) | instid1(VALU_DEP_2)
	v_add_f32_e32 v3, v3, v4
	v_and_b32_e32 v4, 0xffff0000, v5
	v_dual_add_f32 v2, v2, v3 :: v_dual_lshlrev_b32 v3, 16, v5
	s_delay_alu instid0(VALU_DEP_1) | instskip(NEXT) | instid1(VALU_DEP_1)
	v_add_f32_e32 v3, v3, v4
	v_add_f32_e32 v2, v2, v3
	s_delay_alu instid0(VALU_DEP_1)
	v_add_f32_e32 v8, v8, v2
	s_clause 0x2
	scratch_store_b64 off, v[8:9], s32 offset:1304
	scratch_load_b32 v2, off, s32 offset:980 th:TH_LOAD_LU
	scratch_load_b32 v3, off, s32 offset:988 th:TH_LOAD_LU
	s_wait_loadcnt 0x0
	v_perm_b32 v2, v2, v3, 0x5040100
	s_clause 0x1
	scratch_load_b32 v3, off, s32 offset:964 th:TH_LOAD_LU
	scratch_load_b32 v4, off, s32 offset:972 th:TH_LOAD_LU
	v_pk_mul_bf16 v2, v92, v2
	s_wait_loadcnt 0x0
	v_perm_b32 v3, v3, v4, 0x5040100
	s_clause 0x1
	scratch_load_b32 v4, off, s32 offset:932 th:TH_LOAD_LU
	scratch_load_b32 v5, off, s32 offset:940 th:TH_LOAD_LU
	v_pk_mul_bf16 v3, v75, v3
	s_wait_loadcnt 0x0
	v_perm_b32 v4, v4, v5, 0x5040100
	s_clause 0x2
	scratch_load_b32 v5, off, s32 offset:948 th:TH_LOAD_LU
	scratch_load_b32 v6, off, s32 offset:956 th:TH_LOAD_LU
	scratch_load_b64 v[8:9], off, s32 offset:1328 th:TH_LOAD_LU
	v_pk_mul_bf16 v4, v74, v4
	s_wait_loadcnt 0x1
	v_perm_b32 v5, v6, v5, 0x5040100
	v_lshlrev_b32_e32 v6, 16, v2
	v_and_b32_e32 v2, 0xffff0000, v2
	s_delay_alu instid0(VALU_DEP_3) | instskip(NEXT) | instid1(VALU_DEP_2)
	v_pk_mul_bf16 v5, v68, v5
	v_dual_add_f32 v2, v6, v2 :: v_dual_lshlrev_b32 v6, 16, v3
	v_and_b32_e32 v3, 0xffff0000, v3
	s_delay_alu instid0(VALU_DEP_1) | instskip(NEXT) | instid1(VALU_DEP_1)
	v_add_f32_e32 v3, v6, v3
	v_dual_add_f32 v2, v2, v3 :: v_dual_lshlrev_b32 v3, 16, v4
	v_and_b32_e32 v4, 0xffff0000, v4
	s_delay_alu instid0(VALU_DEP_1) | instskip(SKIP_1) | instid1(VALU_DEP_2)
	v_add_f32_e32 v3, v3, v4
	v_and_b32_e32 v4, 0xffff0000, v5
	v_dual_add_f32 v2, v2, v3 :: v_dual_lshlrev_b32 v3, 16, v5
	s_delay_alu instid0(VALU_DEP_1) | instskip(NEXT) | instid1(VALU_DEP_1)
	v_add_f32_e32 v3, v3, v4
	v_add_f32_e32 v2, v2, v3
	s_wait_loadcnt 0x0
	s_delay_alu instid0(VALU_DEP_1)
	v_add_f32_e32 v9, v9, v2
	s_clause 0x1
	scratch_load_b32 v2, off, s32 offset:916 th:TH_LOAD_LU
	scratch_load_b32 v3, off, s32 offset:924 th:TH_LOAD_LU
	s_wait_loadcnt 0x0
	v_perm_b32 v2, v2, v3, 0x5040100
	s_clause 0x1
	scratch_load_b32 v3, off, s32 offset:892 th:TH_LOAD_LU
	scratch_load_b32 v4, off, s32 offset:908 th:TH_LOAD_LU
	v_pk_mul_bf16 v2, v92, v2
	s_wait_loadcnt 0x0
	v_perm_b32 v3, v3, v4, 0x5040100
	s_clause 0x1
	scratch_load_b32 v4, off, s32 offset:868 th:TH_LOAD_LU
	scratch_load_b32 v5, off, s32 offset:876 th:TH_LOAD_LU
	v_pk_mul_bf16 v3, v75, v3
	;; [unrolled: 6-line block ×3, first 2 shown]
	s_wait_loadcnt 0x0
	v_perm_b32 v5, v6, v5, 0x5040100
	v_lshlrev_b32_e32 v6, 16, v2
	v_and_b32_e32 v2, 0xffff0000, v2
	s_delay_alu instid0(VALU_DEP_3) | instskip(NEXT) | instid1(VALU_DEP_2)
	v_pk_mul_bf16 v5, v68, v5
	v_dual_add_f32 v2, v6, v2 :: v_dual_lshlrev_b32 v6, 16, v3
	v_and_b32_e32 v3, 0xffff0000, v3
	s_delay_alu instid0(VALU_DEP_1) | instskip(NEXT) | instid1(VALU_DEP_1)
	v_add_f32_e32 v3, v6, v3
	v_dual_add_f32 v2, v2, v3 :: v_dual_lshlrev_b32 v3, 16, v4
	v_and_b32_e32 v4, 0xffff0000, v4
	s_delay_alu instid0(VALU_DEP_1) | instskip(SKIP_1) | instid1(VALU_DEP_2)
	v_add_f32_e32 v3, v3, v4
	v_and_b32_e32 v4, 0xffff0000, v5
	v_dual_add_f32 v2, v2, v3 :: v_dual_lshlrev_b32 v3, 16, v5
	s_delay_alu instid0(VALU_DEP_1) | instskip(NEXT) | instid1(VALU_DEP_1)
	v_add_f32_e32 v3, v3, v4
	v_add_f32_e32 v2, v2, v3
	s_delay_alu instid0(VALU_DEP_1)
	v_add_f32_e32 v8, v8, v2
	s_clause 0x2
	scratch_store_b64 off, v[8:9], s32 offset:1328
	scratch_load_b32 v2, off, s32 offset:852 th:TH_LOAD_LU
	scratch_load_b32 v3, off, s32 offset:860 th:TH_LOAD_LU
	s_wait_loadcnt 0x0
	v_perm_b32 v2, v2, v3, 0x5040100
	s_clause 0x1
	scratch_load_b32 v3, off, s32 offset:836 th:TH_LOAD_LU
	scratch_load_b32 v4, off, s32 offset:844 th:TH_LOAD_LU
	v_pk_mul_bf16 v2, v92, v2
	s_wait_loadcnt 0x0
	v_perm_b32 v3, v3, v4, 0x5040100
	s_clause 0x1
	scratch_load_b32 v4, off, s32 offset:812 th:TH_LOAD_LU
	scratch_load_b32 v5, off, s32 offset:816 th:TH_LOAD_LU
	v_pk_mul_bf16 v3, v75, v3
	s_wait_loadcnt 0x0
	v_perm_b32 v4, v4, v5, 0x5040100
	s_clause 0x2
	scratch_load_b32 v5, off, s32 offset:820 th:TH_LOAD_LU
	scratch_load_b32 v6, off, s32 offset:828 th:TH_LOAD_LU
	scratch_load_b64 v[8:9], off, s32 offset:1336 th:TH_LOAD_LU
	v_pk_mul_bf16 v4, v74, v4
	s_wait_loadcnt 0x1
	v_perm_b32 v5, v6, v5, 0x5040100
	v_lshlrev_b32_e32 v6, 16, v2
	v_and_b32_e32 v2, 0xffff0000, v2
	s_delay_alu instid0(VALU_DEP_3) | instskip(NEXT) | instid1(VALU_DEP_2)
	v_pk_mul_bf16 v5, v68, v5
	v_dual_add_f32 v2, v6, v2 :: v_dual_lshlrev_b32 v6, 16, v3
	v_and_b32_e32 v3, 0xffff0000, v3
	s_delay_alu instid0(VALU_DEP_1) | instskip(NEXT) | instid1(VALU_DEP_1)
	v_add_f32_e32 v3, v6, v3
	v_dual_add_f32 v2, v2, v3 :: v_dual_lshlrev_b32 v3, 16, v4
	v_and_b32_e32 v4, 0xffff0000, v4
	s_delay_alu instid0(VALU_DEP_1) | instskip(SKIP_1) | instid1(VALU_DEP_2)
	v_add_f32_e32 v3, v3, v4
	v_and_b32_e32 v4, 0xffff0000, v5
	v_dual_add_f32 v2, v2, v3 :: v_dual_lshlrev_b32 v3, 16, v5
	s_delay_alu instid0(VALU_DEP_1) | instskip(NEXT) | instid1(VALU_DEP_1)
	v_add_f32_e32 v3, v3, v4
	v_add_f32_e32 v2, v2, v3
	s_wait_loadcnt 0x0
	s_delay_alu instid0(VALU_DEP_1)
	v_add_f32_e32 v9, v9, v2
	s_clause 0x1
	scratch_load_b32 v2, off, s32 offset:800 th:TH_LOAD_LU
	scratch_load_b32 v3, off, s32 offset:804 th:TH_LOAD_LU
	s_wait_loadcnt 0x0
	v_perm_b32 v2, v2, v3, 0x5040100
	s_clause 0x1
	scratch_load_b32 v3, off, s32 offset:784 th:TH_LOAD_LU
	scratch_load_b32 v4, off, s32 offset:796 th:TH_LOAD_LU
	v_pk_mul_bf16 v2, v92, v2
	s_wait_loadcnt 0x0
	v_perm_b32 v3, v3, v4, 0x5040100
	s_clause 0x1
	scratch_load_b32 v4, off, s32 offset:768 th:TH_LOAD_LU
	scratch_load_b32 v5, off, s32 offset:772 th:TH_LOAD_LU
	v_pk_mul_bf16 v3, v75, v3
	;; [unrolled: 6-line block ×3, first 2 shown]
	s_wait_loadcnt 0x0
	v_perm_b32 v5, v6, v5, 0x5040100
	v_lshlrev_b32_e32 v6, 16, v2
	v_and_b32_e32 v2, 0xffff0000, v2
	s_delay_alu instid0(VALU_DEP_3) | instskip(NEXT) | instid1(VALU_DEP_2)
	v_pk_mul_bf16 v5, v68, v5
	v_dual_add_f32 v2, v6, v2 :: v_dual_lshlrev_b32 v6, 16, v3
	v_and_b32_e32 v3, 0xffff0000, v3
	s_delay_alu instid0(VALU_DEP_1) | instskip(NEXT) | instid1(VALU_DEP_1)
	v_add_f32_e32 v3, v6, v3
	v_dual_add_f32 v2, v2, v3 :: v_dual_lshlrev_b32 v3, 16, v4
	v_and_b32_e32 v4, 0xffff0000, v4
	s_delay_alu instid0(VALU_DEP_1) | instskip(SKIP_1) | instid1(VALU_DEP_2)
	v_add_f32_e32 v3, v3, v4
	v_and_b32_e32 v4, 0xffff0000, v5
	v_dual_add_f32 v2, v2, v3 :: v_dual_lshlrev_b32 v3, 16, v5
	s_delay_alu instid0(VALU_DEP_1) | instskip(NEXT) | instid1(VALU_DEP_1)
	v_add_f32_e32 v3, v3, v4
	v_add_f32_e32 v2, v2, v3
	s_delay_alu instid0(VALU_DEP_1)
	v_add_f32_e32 v8, v8, v2
	s_clause 0x2
	scratch_store_b64 off, v[8:9], s32 offset:1336
	scratch_load_b32 v2, off, s32 offset:756 th:TH_LOAD_LU
	scratch_load_b32 v3, off, s32 offset:760 th:TH_LOAD_LU
	s_wait_loadcnt 0x0
	v_perm_b32 v2, v2, v3, 0x5040100
	s_clause 0x1
	scratch_load_b32 v3, off, s32 offset:748 th:TH_LOAD_LU
	scratch_load_b32 v4, off, s32 offset:752 th:TH_LOAD_LU
	v_pk_mul_bf16 v2, v92, v2
	s_wait_loadcnt 0x0
	v_perm_b32 v3, v3, v4, 0x5040100
	s_clause 0x1
	scratch_load_b32 v4, off, s32 offset:732 th:TH_LOAD_LU
	scratch_load_b32 v5, off, s32 offset:736 th:TH_LOAD_LU
	v_pk_mul_bf16 v3, v75, v3
	s_wait_loadcnt 0x0
	v_perm_b32 v4, v4, v5, 0x5040100
	s_clause 0x2
	scratch_load_b32 v5, off, s32 offset:740 th:TH_LOAD_LU
	scratch_load_b32 v6, off, s32 offset:744 th:TH_LOAD_LU
	scratch_load_b64 v[8:9], off, s32 offset:1312 th:TH_LOAD_LU
	v_pk_mul_bf16 v4, v74, v4
	s_wait_loadcnt 0x1
	v_perm_b32 v5, v6, v5, 0x5040100
	v_lshlrev_b32_e32 v6, 16, v2
	v_and_b32_e32 v2, 0xffff0000, v2
	s_delay_alu instid0(VALU_DEP_3) | instskip(NEXT) | instid1(VALU_DEP_2)
	v_pk_mul_bf16 v5, v68, v5
	v_dual_add_f32 v2, v6, v2 :: v_dual_lshlrev_b32 v6, 16, v3
	v_and_b32_e32 v3, 0xffff0000, v3
	s_delay_alu instid0(VALU_DEP_1) | instskip(NEXT) | instid1(VALU_DEP_1)
	v_add_f32_e32 v3, v6, v3
	v_dual_add_f32 v2, v2, v3 :: v_dual_lshlrev_b32 v3, 16, v4
	v_and_b32_e32 v4, 0xffff0000, v4
	s_delay_alu instid0(VALU_DEP_1) | instskip(SKIP_1) | instid1(VALU_DEP_2)
	v_add_f32_e32 v3, v3, v4
	v_and_b32_e32 v4, 0xffff0000, v5
	v_dual_add_f32 v2, v2, v3 :: v_dual_lshlrev_b32 v3, 16, v5
	s_delay_alu instid0(VALU_DEP_1) | instskip(NEXT) | instid1(VALU_DEP_1)
	v_add_f32_e32 v3, v3, v4
	v_add_f32_e32 v2, v2, v3
	s_wait_loadcnt 0x0
	s_delay_alu instid0(VALU_DEP_1)
	v_add_f32_e32 v9, v9, v2
	s_clause 0x1
	scratch_load_b32 v2, off, s32 offset:720 th:TH_LOAD_LU
	scratch_load_b32 v3, off, s32 offset:724 th:TH_LOAD_LU
	s_wait_loadcnt 0x0
	v_perm_b32 v2, v2, v3, 0x5040100
	s_clause 0x1
	scratch_load_b32 v3, off, s32 offset:712 th:TH_LOAD_LU
	scratch_load_b32 v4, off, s32 offset:716 th:TH_LOAD_LU
	v_pk_mul_bf16 v2, v92, v2
	s_wait_loadcnt 0x0
	v_perm_b32 v3, v3, v4, 0x5040100
	s_clause 0x1
	scratch_load_b32 v4, off, s32 offset:696 th:TH_LOAD_LU
	scratch_load_b32 v5, off, s32 offset:700 th:TH_LOAD_LU
	v_pk_mul_bf16 v3, v75, v3
	;; [unrolled: 6-line block ×3, first 2 shown]
	s_wait_loadcnt 0x0
	v_perm_b32 v5, v6, v5, 0x5040100
	v_lshlrev_b32_e32 v6, 16, v2
	v_and_b32_e32 v2, 0xffff0000, v2
	s_delay_alu instid0(VALU_DEP_3) | instskip(NEXT) | instid1(VALU_DEP_2)
	v_pk_mul_bf16 v5, v68, v5
	v_dual_add_f32 v2, v6, v2 :: v_dual_lshlrev_b32 v6, 16, v3
	v_and_b32_e32 v3, 0xffff0000, v3
	s_delay_alu instid0(VALU_DEP_1) | instskip(NEXT) | instid1(VALU_DEP_1)
	v_add_f32_e32 v3, v6, v3
	v_dual_add_f32 v2, v2, v3 :: v_dual_lshlrev_b32 v3, 16, v4
	v_and_b32_e32 v4, 0xffff0000, v4
	s_delay_alu instid0(VALU_DEP_1) | instskip(SKIP_1) | instid1(VALU_DEP_2)
	v_add_f32_e32 v3, v3, v4
	v_and_b32_e32 v4, 0xffff0000, v5
	v_dual_add_f32 v2, v2, v3 :: v_dual_lshlrev_b32 v3, 16, v5
	s_delay_alu instid0(VALU_DEP_1) | instskip(NEXT) | instid1(VALU_DEP_1)
	v_add_f32_e32 v3, v3, v4
	v_add_f32_e32 v2, v2, v3
	s_delay_alu instid0(VALU_DEP_1)
	v_add_f32_e32 v8, v8, v2
	s_clause 0x2
	scratch_store_b64 off, v[8:9], s32 offset:1312
	scratch_load_b32 v2, off, s32 offset:688 th:TH_LOAD_LU
	scratch_load_b32 v3, off, s32 offset:692 th:TH_LOAD_LU
	s_wait_loadcnt 0x0
	v_perm_b32 v2, v2, v3, 0x5040100
	s_clause 0x1
	scratch_load_b32 v3, off, s32 offset:680 th:TH_LOAD_LU
	scratch_load_b32 v4, off, s32 offset:684 th:TH_LOAD_LU
	v_pk_mul_bf16 v2, v92, v2
	s_wait_loadcnt 0x0
	v_perm_b32 v3, v3, v4, 0x5040100
	s_clause 0x1
	scratch_load_b32 v4, off, s32 offset:664 th:TH_LOAD_LU
	scratch_load_b32 v5, off, s32 offset:668 th:TH_LOAD_LU
	v_pk_mul_bf16 v3, v75, v3
	s_wait_loadcnt 0x0
	v_perm_b32 v4, v4, v5, 0x5040100
	s_clause 0x2
	scratch_load_b32 v5, off, s32 offset:672 th:TH_LOAD_LU
	scratch_load_b32 v6, off, s32 offset:676 th:TH_LOAD_LU
	scratch_load_b64 v[8:9], off, s32 offset:1320 th:TH_LOAD_LU
	v_pk_mul_bf16 v4, v74, v4
	s_wait_loadcnt 0x1
	v_perm_b32 v5, v6, v5, 0x5040100
	v_lshlrev_b32_e32 v6, 16, v2
	v_and_b32_e32 v2, 0xffff0000, v2
	s_delay_alu instid0(VALU_DEP_3) | instskip(NEXT) | instid1(VALU_DEP_2)
	v_pk_mul_bf16 v5, v68, v5
	v_dual_add_f32 v2, v6, v2 :: v_dual_lshlrev_b32 v6, 16, v3
	v_and_b32_e32 v3, 0xffff0000, v3
	s_delay_alu instid0(VALU_DEP_1) | instskip(NEXT) | instid1(VALU_DEP_1)
	v_add_f32_e32 v3, v6, v3
	v_dual_add_f32 v2, v2, v3 :: v_dual_lshlrev_b32 v3, 16, v4
	v_and_b32_e32 v4, 0xffff0000, v4
	s_delay_alu instid0(VALU_DEP_1) | instskip(SKIP_1) | instid1(VALU_DEP_2)
	v_add_f32_e32 v3, v3, v4
	v_and_b32_e32 v4, 0xffff0000, v5
	v_dual_add_f32 v2, v2, v3 :: v_dual_lshlrev_b32 v3, 16, v5
	s_delay_alu instid0(VALU_DEP_1) | instskip(NEXT) | instid1(VALU_DEP_1)
	v_add_f32_e32 v3, v3, v4
	v_add_f32_e32 v2, v2, v3
	s_wait_loadcnt 0x0
	s_delay_alu instid0(VALU_DEP_1)
	v_add_f32_e32 v9, v9, v2
	s_clause 0x1
	scratch_load_b32 v2, off, s32 offset:628 th:TH_LOAD_LU
	scratch_load_b32 v3, off, s32 offset:660 th:TH_LOAD_LU
	s_wait_loadcnt 0x0
	v_perm_b32 v2, v2, v3, 0x5040100
	s_clause 0x1
	scratch_load_b32 v3, off, s32 offset:612 th:TH_LOAD_LU
	scratch_load_b32 v4, off, s32 offset:620 th:TH_LOAD_LU
	v_pk_mul_bf16 v2, v92, v2
	s_wait_loadcnt 0x0
	v_perm_b32 v3, v3, v4, 0x5040100
	s_clause 0x1
	scratch_load_b32 v4, off, s32 offset:576 th:TH_LOAD_LU
	scratch_load_b32 v5, off, s32 offset:584 th:TH_LOAD_LU
	v_pk_mul_bf16 v3, v75, v3
	;; [unrolled: 6-line block ×3, first 2 shown]
	s_wait_loadcnt 0x0
	v_perm_b32 v5, v6, v5, 0x5040100
	v_lshlrev_b32_e32 v6, 16, v2
	v_and_b32_e32 v2, 0xffff0000, v2
	s_delay_alu instid0(VALU_DEP_3) | instskip(NEXT) | instid1(VALU_DEP_2)
	v_pk_mul_bf16 v5, v68, v5
	v_dual_add_f32 v2, v6, v2 :: v_dual_lshlrev_b32 v6, 16, v3
	v_and_b32_e32 v3, 0xffff0000, v3
	s_delay_alu instid0(VALU_DEP_1) | instskip(NEXT) | instid1(VALU_DEP_1)
	v_add_f32_e32 v3, v6, v3
	v_dual_add_f32 v2, v2, v3 :: v_dual_lshlrev_b32 v3, 16, v4
	v_and_b32_e32 v4, 0xffff0000, v4
	s_delay_alu instid0(VALU_DEP_1) | instskip(SKIP_1) | instid1(VALU_DEP_2)
	v_add_f32_e32 v3, v3, v4
	v_and_b32_e32 v4, 0xffff0000, v5
	v_dual_add_f32 v2, v2, v3 :: v_dual_lshlrev_b32 v3, 16, v5
	s_delay_alu instid0(VALU_DEP_1) | instskip(NEXT) | instid1(VALU_DEP_1)
	v_add_f32_e32 v3, v3, v4
	v_add_f32_e32 v2, v2, v3
	s_delay_alu instid0(VALU_DEP_1)
	v_add_f32_e32 v8, v8, v2
	s_clause 0x2
	scratch_store_b64 off, v[8:9], s32 offset:1320
	scratch_load_b32 v2, off, s32 offset:560 th:TH_LOAD_LU
	scratch_load_b32 v3, off, s32 offset:568 th:TH_LOAD_LU
	s_wait_loadcnt 0x0
	v_perm_b32 v2, v2, v3, 0x5040100
	s_clause 0x1
	scratch_load_b32 v3, off, s32 offset:544 th:TH_LOAD_LU
	scratch_load_b32 v4, off, s32 offset:552 th:TH_LOAD_LU
	v_pk_mul_bf16 v2, v92, v2
	s_wait_loadcnt 0x0
	v_perm_b32 v3, v3, v4, 0x5040100
	s_clause 0x1
	scratch_load_b32 v4, off, s32 offset:512 th:TH_LOAD_LU
	scratch_load_b32 v5, off, s32 offset:520 th:TH_LOAD_LU
	v_pk_mul_bf16 v3, v75, v3
	s_wait_loadcnt 0x0
	v_perm_b32 v4, v4, v5, 0x5040100
	s_clause 0x2
	scratch_load_b32 v5, off, s32 offset:528 th:TH_LOAD_LU
	scratch_load_b32 v6, off, s32 offset:536 th:TH_LOAD_LU
	scratch_load_b64 v[8:9], off, s32 offset:1368 th:TH_LOAD_LU
	v_pk_mul_bf16 v4, v74, v4
	s_wait_loadcnt 0x1
	v_perm_b32 v5, v6, v5, 0x5040100
	v_lshlrev_b32_e32 v6, 16, v2
	v_and_b32_e32 v2, 0xffff0000, v2
	s_delay_alu instid0(VALU_DEP_3) | instskip(NEXT) | instid1(VALU_DEP_2)
	v_pk_mul_bf16 v5, v68, v5
	v_dual_add_f32 v2, v6, v2 :: v_dual_lshlrev_b32 v6, 16, v3
	v_and_b32_e32 v3, 0xffff0000, v3
	s_delay_alu instid0(VALU_DEP_1) | instskip(NEXT) | instid1(VALU_DEP_1)
	v_add_f32_e32 v3, v6, v3
	v_dual_add_f32 v2, v2, v3 :: v_dual_lshlrev_b32 v3, 16, v4
	v_and_b32_e32 v4, 0xffff0000, v4
	s_delay_alu instid0(VALU_DEP_1) | instskip(SKIP_1) | instid1(VALU_DEP_2)
	v_add_f32_e32 v3, v3, v4
	v_and_b32_e32 v4, 0xffff0000, v5
	v_dual_add_f32 v2, v2, v3 :: v_dual_lshlrev_b32 v3, 16, v5
	s_delay_alu instid0(VALU_DEP_1) | instskip(NEXT) | instid1(VALU_DEP_1)
	v_add_f32_e32 v3, v3, v4
	v_add_f32_e32 v2, v2, v3
	s_wait_loadcnt 0x0
	s_delay_alu instid0(VALU_DEP_1)
	v_add_f32_e32 v9, v9, v2
	s_clause 0x1
	scratch_load_b32 v2, off, s32 offset:496 th:TH_LOAD_LU
	scratch_load_b32 v3, off, s32 offset:504 th:TH_LOAD_LU
	s_wait_loadcnt 0x0
	v_perm_b32 v2, v2, v3, 0x5040100
	s_clause 0x1
	scratch_load_b32 v3, off, s32 offset:480 th:TH_LOAD_LU
	scratch_load_b32 v4, off, s32 offset:488 th:TH_LOAD_LU
	v_pk_mul_bf16 v2, v92, v2
	s_wait_loadcnt 0x0
	v_perm_b32 v3, v3, v4, 0x5040100
	s_clause 0x1
	scratch_load_b32 v4, off, s32 offset:448 th:TH_LOAD_LU
	scratch_load_b32 v5, off, s32 offset:456 th:TH_LOAD_LU
	v_pk_mul_bf16 v3, v75, v3
	;; [unrolled: 6-line block ×3, first 2 shown]
	s_wait_loadcnt 0x0
	v_perm_b32 v5, v6, v5, 0x5040100
	v_lshlrev_b32_e32 v6, 16, v2
	v_and_b32_e32 v2, 0xffff0000, v2
	s_delay_alu instid0(VALU_DEP_3) | instskip(NEXT) | instid1(VALU_DEP_2)
	v_pk_mul_bf16 v5, v68, v5
	v_dual_add_f32 v2, v6, v2 :: v_dual_lshlrev_b32 v6, 16, v3
	v_and_b32_e32 v3, 0xffff0000, v3
	s_delay_alu instid0(VALU_DEP_1) | instskip(NEXT) | instid1(VALU_DEP_1)
	v_add_f32_e32 v3, v6, v3
	v_dual_add_f32 v2, v2, v3 :: v_dual_lshlrev_b32 v3, 16, v4
	v_and_b32_e32 v4, 0xffff0000, v4
	s_delay_alu instid0(VALU_DEP_1) | instskip(SKIP_1) | instid1(VALU_DEP_2)
	v_add_f32_e32 v3, v3, v4
	v_and_b32_e32 v4, 0xffff0000, v5
	v_dual_add_f32 v2, v2, v3 :: v_dual_lshlrev_b32 v3, 16, v5
	s_delay_alu instid0(VALU_DEP_1) | instskip(NEXT) | instid1(VALU_DEP_1)
	v_add_f32_e32 v3, v3, v4
	v_add_f32_e32 v2, v2, v3
	s_delay_alu instid0(VALU_DEP_1)
	v_add_f32_e32 v8, v8, v2
	s_clause 0x2
	scratch_store_b64 off, v[8:9], s32 offset:1368
	scratch_load_b32 v2, off, s32 offset:432 th:TH_LOAD_LU
	scratch_load_b32 v3, off, s32 offset:440 th:TH_LOAD_LU
	s_wait_loadcnt 0x0
	v_perm_b32 v2, v2, v3, 0x5040100
	s_clause 0x1
	scratch_load_b32 v3, off, s32 offset:416 th:TH_LOAD_LU
	scratch_load_b32 v4, off, s32 offset:424 th:TH_LOAD_LU
	v_pk_mul_bf16 v2, v92, v2
	s_wait_loadcnt 0x0
	v_perm_b32 v3, v3, v4, 0x5040100
	s_clause 0x1
	scratch_load_b32 v4, off, s32 offset:384 th:TH_LOAD_LU
	scratch_load_b32 v5, off, s32 offset:392 th:TH_LOAD_LU
	v_pk_mul_bf16 v3, v75, v3
	s_wait_loadcnt 0x0
	v_perm_b32 v4, v4, v5, 0x5040100
	s_clause 0x2
	scratch_load_b32 v5, off, s32 offset:400 th:TH_LOAD_LU
	scratch_load_b32 v6, off, s32 offset:408 th:TH_LOAD_LU
	scratch_load_b64 v[8:9], off, s32 offset:1376 th:TH_LOAD_LU
	v_pk_mul_bf16 v4, v74, v4
	s_wait_loadcnt 0x1
	v_perm_b32 v5, v6, v5, 0x5040100
	v_lshlrev_b32_e32 v6, 16, v2
	v_and_b32_e32 v2, 0xffff0000, v2
	s_delay_alu instid0(VALU_DEP_3) | instskip(NEXT) | instid1(VALU_DEP_2)
	v_pk_mul_bf16 v5, v68, v5
	v_dual_add_f32 v2, v6, v2 :: v_dual_lshlrev_b32 v6, 16, v3
	v_and_b32_e32 v3, 0xffff0000, v3
	s_delay_alu instid0(VALU_DEP_1) | instskip(NEXT) | instid1(VALU_DEP_1)
	v_add_f32_e32 v3, v6, v3
	v_dual_add_f32 v2, v2, v3 :: v_dual_lshlrev_b32 v3, 16, v4
	v_and_b32_e32 v4, 0xffff0000, v4
	s_delay_alu instid0(VALU_DEP_1) | instskip(SKIP_1) | instid1(VALU_DEP_2)
	v_add_f32_e32 v3, v3, v4
	v_and_b32_e32 v4, 0xffff0000, v5
	v_dual_add_f32 v2, v2, v3 :: v_dual_lshlrev_b32 v3, 16, v5
	s_delay_alu instid0(VALU_DEP_1) | instskip(NEXT) | instid1(VALU_DEP_1)
	v_add_f32_e32 v3, v3, v4
	v_add_f32_e32 v2, v2, v3
	s_wait_loadcnt 0x0
	s_delay_alu instid0(VALU_DEP_1)
	v_add_f32_e32 v9, v9, v2
	s_clause 0x1
	scratch_load_b32 v2, off, s32 offset:368 th:TH_LOAD_LU
	scratch_load_b32 v3, off, s32 offset:376 th:TH_LOAD_LU
	s_wait_loadcnt 0x0
	v_perm_b32 v2, v2, v3, 0x5040100
	s_clause 0x1
	scratch_load_b32 v3, off, s32 offset:352 th:TH_LOAD_LU
	scratch_load_b32 v4, off, s32 offset:360 th:TH_LOAD_LU
	v_pk_mul_bf16 v2, v92, v2
	s_wait_loadcnt 0x0
	v_perm_b32 v3, v3, v4, 0x5040100
	s_clause 0x1
	scratch_load_b32 v4, off, s32 offset:320 th:TH_LOAD_LU
	scratch_load_b32 v5, off, s32 offset:328 th:TH_LOAD_LU
	v_pk_mul_bf16 v3, v75, v3
	;; [unrolled: 6-line block ×3, first 2 shown]
	s_wait_loadcnt 0x0
	v_perm_b32 v5, v6, v5, 0x5040100
	v_lshlrev_b32_e32 v6, 16, v2
	v_and_b32_e32 v2, 0xffff0000, v2
	s_delay_alu instid0(VALU_DEP_3) | instskip(NEXT) | instid1(VALU_DEP_2)
	v_pk_mul_bf16 v5, v68, v5
	v_dual_add_f32 v2, v6, v2 :: v_dual_lshlrev_b32 v6, 16, v3
	v_and_b32_e32 v3, 0xffff0000, v3
	s_delay_alu instid0(VALU_DEP_1) | instskip(NEXT) | instid1(VALU_DEP_1)
	v_add_f32_e32 v3, v6, v3
	v_dual_add_f32 v2, v2, v3 :: v_dual_lshlrev_b32 v3, 16, v4
	v_and_b32_e32 v4, 0xffff0000, v4
	s_delay_alu instid0(VALU_DEP_1) | instskip(SKIP_1) | instid1(VALU_DEP_2)
	v_add_f32_e32 v3, v3, v4
	v_and_b32_e32 v4, 0xffff0000, v5
	v_dual_add_f32 v2, v2, v3 :: v_dual_lshlrev_b32 v3, 16, v5
	s_delay_alu instid0(VALU_DEP_1) | instskip(NEXT) | instid1(VALU_DEP_1)
	v_add_f32_e32 v3, v3, v4
	v_add_f32_e32 v2, v2, v3
	s_delay_alu instid0(VALU_DEP_1)
	v_add_f32_e32 v8, v8, v2
	s_clause 0x2
	scratch_store_b64 off, v[8:9], s32 offset:1376
	scratch_load_b32 v2, off, s32 offset:304 th:TH_LOAD_LU
	scratch_load_b32 v3, off, s32 offset:312 th:TH_LOAD_LU
	s_wait_loadcnt 0x0
	v_perm_b32 v2, v2, v3, 0x5040100
	s_clause 0x1
	scratch_load_b32 v3, off, s32 offset:288 th:TH_LOAD_LU
	scratch_load_b32 v4, off, s32 offset:296 th:TH_LOAD_LU
	v_pk_mul_bf16 v2, v92, v2
	s_wait_loadcnt 0x0
	v_perm_b32 v3, v3, v4, 0x5040100
	s_clause 0x1
	scratch_load_b32 v4, off, s32 offset:256 th:TH_LOAD_LU
	scratch_load_b32 v5, off, s32 offset:264 th:TH_LOAD_LU
	v_pk_mul_bf16 v3, v75, v3
	s_wait_loadcnt 0x0
	v_perm_b32 v4, v4, v5, 0x5040100
	s_clause 0x2
	scratch_load_b32 v5, off, s32 offset:272 th:TH_LOAD_LU
	scratch_load_b32 v6, off, s32 offset:280 th:TH_LOAD_LU
	scratch_load_b64 v[8:9], off, s32 offset:1384 th:TH_LOAD_LU
	v_pk_mul_bf16 v4, v74, v4
	s_wait_loadcnt 0x1
	v_perm_b32 v5, v6, v5, 0x5040100
	v_lshlrev_b32_e32 v6, 16, v2
	v_and_b32_e32 v2, 0xffff0000, v2
	s_delay_alu instid0(VALU_DEP_3) | instskip(NEXT) | instid1(VALU_DEP_2)
	v_pk_mul_bf16 v5, v68, v5
	v_dual_add_f32 v2, v6, v2 :: v_dual_lshlrev_b32 v6, 16, v3
	v_and_b32_e32 v3, 0xffff0000, v3
	s_delay_alu instid0(VALU_DEP_1) | instskip(NEXT) | instid1(VALU_DEP_1)
	v_add_f32_e32 v3, v6, v3
	v_dual_add_f32 v2, v2, v3 :: v_dual_lshlrev_b32 v3, 16, v4
	v_and_b32_e32 v4, 0xffff0000, v4
	s_delay_alu instid0(VALU_DEP_1) | instskip(SKIP_1) | instid1(VALU_DEP_2)
	v_add_f32_e32 v3, v3, v4
	v_and_b32_e32 v4, 0xffff0000, v5
	v_dual_add_f32 v2, v2, v3 :: v_dual_lshlrev_b32 v3, 16, v5
	s_delay_alu instid0(VALU_DEP_1) | instskip(NEXT) | instid1(VALU_DEP_1)
	v_add_f32_e32 v3, v3, v4
	v_add_f32_e32 v2, v2, v3
	s_wait_loadcnt 0x0
	s_delay_alu instid0(VALU_DEP_1)
	v_add_f32_e32 v9, v9, v2
	s_clause 0x1
	scratch_load_b32 v2, off, s32 offset:240 th:TH_LOAD_LU
	scratch_load_b32 v3, off, s32 offset:248 th:TH_LOAD_LU
	s_wait_loadcnt 0x0
	v_perm_b32 v2, v2, v3, 0x5040100
	s_clause 0x1
	scratch_load_b32 v3, off, s32 offset:224 th:TH_LOAD_LU
	scratch_load_b32 v4, off, s32 offset:232 th:TH_LOAD_LU
	v_pk_mul_bf16 v2, v92, v2
	s_wait_loadcnt 0x0
	v_perm_b32 v3, v3, v4, 0x5040100
	s_clause 0x1
	scratch_load_b32 v4, off, s32 offset:192 th:TH_LOAD_LU
	scratch_load_b32 v5, off, s32 offset:200 th:TH_LOAD_LU
	v_pk_mul_bf16 v3, v75, v3
	;; [unrolled: 6-line block ×3, first 2 shown]
	s_wait_loadcnt 0x0
	v_perm_b32 v5, v6, v5, 0x5040100
	v_lshlrev_b32_e32 v6, 16, v2
	v_and_b32_e32 v2, 0xffff0000, v2
	s_delay_alu instid0(VALU_DEP_3) | instskip(NEXT) | instid1(VALU_DEP_2)
	v_pk_mul_bf16 v5, v68, v5
	v_dual_add_f32 v2, v6, v2 :: v_dual_lshlrev_b32 v6, 16, v3
	v_and_b32_e32 v3, 0xffff0000, v3
	s_delay_alu instid0(VALU_DEP_1) | instskip(NEXT) | instid1(VALU_DEP_1)
	v_add_f32_e32 v3, v6, v3
	v_dual_add_f32 v2, v2, v3 :: v_dual_lshlrev_b32 v3, 16, v4
	v_and_b32_e32 v4, 0xffff0000, v4
	s_delay_alu instid0(VALU_DEP_1) | instskip(SKIP_1) | instid1(VALU_DEP_2)
	v_add_f32_e32 v3, v3, v4
	v_and_b32_e32 v4, 0xffff0000, v5
	v_dual_add_f32 v2, v2, v3 :: v_dual_lshlrev_b32 v3, 16, v5
	v_pk_mul_bf16 v5, v68, v0
	s_delay_alu instid0(VALU_DEP_2) | instskip(SKIP_1) | instid1(VALU_DEP_2)
	v_add_f32_e32 v3, v3, v4
	v_pk_mul_bf16 v4, v74, v1
	v_add_f32_e32 v2, v2, v3
	v_perm_b32 v3, v18, v19, 0x5040100
	s_delay_alu instid0(VALU_DEP_1) | instskip(NEXT) | instid1(VALU_DEP_1)
	v_pk_mul_bf16 v3, v75, v3
	v_and_b32_e32 v1, 0xffff0000, v3
	s_delay_alu instid0(VALU_DEP_4) | instskip(SKIP_1) | instid1(VALU_DEP_1)
	v_dual_add_f32 v8, v8, v2 :: v_dual_lshlrev_b32 v3, 16, v3
	v_perm_b32 v2, v22, v23, 0x5040100
	v_pk_mul_bf16 v2, v92, v2
	s_delay_alu instid0(VALU_DEP_1) | instskip(SKIP_1) | instid1(VALU_DEP_1)
	v_and_b32_e32 v0, 0xffff0000, v2
	v_lshlrev_b32_e32 v2, 16, v2
	v_pk_add_f32 v[0:1], v[2:3], v[0:1]
	v_and_b32_e32 v2, 0xffff0000, v4
	v_lshlrev_b32_e32 v4, 16, v4
	v_and_b32_e32 v3, 0xffff0000, v5
	v_lshlrev_b32_e32 v5, 16, v5
	v_add_f32_e32 v0, v0, v1
	s_delay_alu instid0(VALU_DEP_2) | instskip(NEXT) | instid1(VALU_DEP_1)
	v_pk_add_f32 v[2:3], v[4:5], v[2:3]
	v_add_f32_e32 v0, v0, v2
	s_delay_alu instid0(VALU_DEP_1) | instskip(NEXT) | instid1(VALU_DEP_1)
	v_add_f32_e32 v0, v0, v3
	v_add_f32_e32 v85, v85, v0
	s_clause 0x1
	scratch_store_b64 off, v[8:9], s32 offset:1384
	scratch_store_b64 off, v[84:85], s32 offset:1352
.LBB357_2092:                           ;   in Loop: Header=BB357_2093 Depth=1
	s_wait_xcnt 0x0
	s_or_b32 exec_lo, exec_lo, s9
	scratch_load_b32 v0, off, s32 offset:608 ; 4-byte Folded Reload
	v_add_nc_u32_e32 v70, 4, v70
	s_wait_loadcnt 0x0
	s_delay_alu instid0(VALU_DEP_1)
	v_cmp_ge_i32_e32 vcc_lo, v70, v0
	s_or_b32 s8, vcc_lo, s8
	s_wait_xcnt 0x0
	s_and_not1_b32 exec_lo, exec_lo, s8
	s_cbranch_execz .LBB357_4206
.LBB357_2093:                           ; =>This Inner Loop Header: Depth=1
	s_clause 0x1
	scratch_load_b64 v[0:1], off, s32 offset:640
	scratch_load_b32 v4, off, s32 offset:636
	v_lshlrev_b32_e32 v68, 5, v70
	s_wait_loadcnt 0x1
	s_delay_alu instid0(VALU_DEP_1) | instskip(SKIP_1) | instid1(VALU_DEP_1)
	v_mul_u64_e32 v[0:1], v[68:69], v[0:1]
	s_wait_loadcnt 0x0
	v_mul_lo_u32 v0, v1, v4
	s_delay_alu instid0(VALU_DEP_1) | instskip(NEXT) | instid1(VALU_DEP_1)
	v_dual_add_nc_u32 v2, 1, v1 :: v_dual_sub_nc_u32 v0, v68, v0
	v_cmp_ge_u32_e32 vcc_lo, v0, v4
	s_delay_alu instid0(VALU_DEP_2) | instskip(NEXT) | instid1(VALU_DEP_1)
	v_dual_cndmask_b32 v1, v1, v2, vcc_lo :: v_dual_sub_nc_u32 v3, v0, v4
	v_dual_add_nc_u32 v2, 1, v1 :: v_dual_cndmask_b32 v0, v0, v3, vcc_lo
	s_delay_alu instid0(VALU_DEP_1) | instskip(NEXT) | instid1(VALU_DEP_2)
	v_cmp_ge_u32_e32 vcc_lo, v0, v4
	v_cndmask_b32_e32 v0, v1, v2, vcc_lo
	s_clause 0x1
	scratch_load_b32 v1, off, s32 offset:648
	scratch_load_b64 v[2:3], off, s32 offset:1392
	s_wait_loadcnt 0x1
	v_xor_b32_e32 v0, v0, v1
	s_delay_alu instid0(VALU_DEP_1) | instskip(SKIP_3) | instid1(VALU_DEP_1)
	v_sub_nc_u32_e32 v4, v0, v1
	scratch_load_b32 v0, off, s32 offset:652 ; 4-byte Folded Reload
	s_wait_loadcnt 0x0
	v_dual_mov_b32 v1, v69 :: v_dual_add_nc_u32 v5, v4, v0
	v_sub_nc_u32_e32 v0, 0, v5
	s_delay_alu instid0(VALU_DEP_1) | instskip(NEXT) | instid1(VALU_DEP_1)
	v_max_i32_e32 v0, v5, v0
	v_mul_u64_e32 v[2:3], v[0:1], v[2:3]
	v_ashrrev_i32_e32 v2, 31, v5
	s_delay_alu instid0(VALU_DEP_2) | instskip(NEXT) | instid1(VALU_DEP_1)
	v_mul_lo_u32 v1, v3, v97
	v_sub_nc_u32_e32 v0, v0, v1
	s_delay_alu instid0(VALU_DEP_1) | instskip(SKIP_1) | instid1(VALU_DEP_2)
	v_sub_nc_u32_e32 v1, v0, v97
	v_cmp_ge_u32_e32 vcc_lo, v0, v97
	v_cndmask_b32_e32 v0, v0, v1, vcc_lo
	s_delay_alu instid0(VALU_DEP_1) | instskip(SKIP_1) | instid1(VALU_DEP_2)
	v_sub_nc_u32_e32 v1, v0, v97
	v_cmp_ge_u32_e32 vcc_lo, v0, v97
	v_cndmask_b32_e32 v0, v0, v1, vcc_lo
	s_delay_alu instid0(VALU_DEP_1) | instskip(NEXT) | instid1(VALU_DEP_1)
	v_xor_b32_e32 v0, v0, v2
	v_sub_nc_u32_e32 v0, v0, v2
	s_delay_alu instid0(VALU_DEP_1)
	v_cmp_eq_u32_e32 vcc_lo, 0, v0
	scratch_load_b32 v0, off, s32 offset:656 ; 4-byte Folded Reload
	s_wait_loadcnt 0x0
	v_cmp_gt_i32_e64 s0, v4, v0
	s_or_b32 s0, vcc_lo, s0
	s_wait_xcnt 0x0
	s_and_saveexec_b32 s9, s0
	s_cbranch_execz .LBB357_2092
; %bb.2094:                             ;   in Loop: Header=BB357_2093 Depth=1
	scratch_load_b64 v[0:1], off, s32 offset:1448 ; 8-byte Folded Reload
	v_dual_mov_b32 v71, v69 :: v_dual_bitop2_b32 v74, v68, v117 bitop3:0x54
	s_wait_loadcnt 0x0
	s_delay_alu instid0(VALU_DEP_1)
	v_lshl_add_u64 v[0:1], v[70:71], 2, v[0:1]
	flat_load_b32 v0, v[0:1]
	s_clause 0x1
	scratch_load_b64 v[2:3], off, s32 offset:1344
	scratch_load_b64 v[4:5], off, s32 offset:1456
	s_wait_loadcnt_dscnt 0x0
	s_wait_xcnt 0x2
	v_mad_nc_i64_i32 v[0:1], v0, v2, v[4:5]
	scratch_load_b64 v[2:3], off, s32 offset:1464 ; 8-byte Folded Reload
	s_wait_loadcnt 0x0
	v_add_nc_u64_e32 v[18:19], v[0:1], v[2:3]
	flat_load_b64 v[16:17], v[18:19]
	scratch_load_b64 v[2:3], off, s32 offset:1440 ; 8-byte Folded Reload
	s_load_b32 s0, s[6:7], 0x0
	s_wait_loadcnt 0x0
	flat_load_b32 v75, v[2:3]
	s_wait_kmcnt 0x0
	v_lshl_add_u32 v2, v74, 2, s0
	s_mov_b32 s0, exec_lo
	ds_load_2addr_b64 v[4:7], v2 offset1:1
	s_wait_dscnt 0x0
	scratch_store_b128 off, v[4:7], s32 offset:1416 ; 16-byte Folded Spill
	s_wait_xcnt 0x0
	ds_load_2addr_b64 v[2:5], v2 offset0:2 offset1:3
	s_wait_dscnt 0x0
	scratch_store_b128 off, v[2:5], s32 offset:1400 ; 16-byte Folded Spill
	s_wait_xcnt 0x0
	v_and_b32_e32 v4, 0xff, v16
	v_dual_mov_b32 v3, 0 :: v_dual_mov_b32 v2, 0
	s_delay_alu instid0(VALU_DEP_2)
	v_cmpx_ne_u16_e32 0, v4
	s_cbranch_execz .LBB357_2102
; %bb.2095:                             ;   in Loop: Header=BB357_2093 Depth=1
	v_bfrev_b32_e32 v2, 1
	s_mov_b32 s14, exec_lo
	v_cmpx_ne_u16_e32 0x80, v4
	s_cbranch_execz .LBB357_2101
; %bb.2096:                             ;   in Loop: Header=BB357_2093 Depth=1
	v_and_b32_e32 v4, 0x7f, v16
	v_mov_b32_e32 v2, 0x7f800001
	s_mov_b32 s15, exec_lo
	s_delay_alu instid0(VALU_DEP_2)
	v_cmpx_ne_u32_e32 0x7f, v4
	s_cbranch_execz .LBB357_2100
; %bb.2097:                             ;   in Loop: Header=BB357_2093 Depth=1
	v_mov_b64_e32 v[22:23], v[16:17]
	v_lshrrev_b32_e32 v2, 3, v4
	s_mov_b32 s16, exec_lo
	v_cmpx_gt_u32_e32 8, v4
; %bb.2098:                             ;   in Loop: Header=BB357_2093 Depth=1
	v_and_b32_e32 v2, 7, v16
	s_delay_alu instid0(VALU_DEP_1) | instskip(NEXT) | instid1(VALU_DEP_1)
	v_clz_i32_u32_e32 v2, v2
	v_min_u32_e32 v2, 32, v2
	s_delay_alu instid0(VALU_DEP_1) | instskip(SKIP_1) | instid1(VALU_DEP_2)
	v_subrev_nc_u32_e32 v4, 28, v2
	v_sub_nc_u32_e32 v2, 29, v2
	v_lshlrev_b64_e32 v[22:23], v4, v[16:17]
; %bb.2099:                             ;   in Loop: Header=BB357_2093 Depth=1
	s_or_b32 exec_lo, exec_lo, s16
	s_delay_alu instid0(VALU_DEP_1) | instskip(NEXT) | instid1(VALU_DEP_3)
	v_dual_lshlrev_b32 v4, 20, v22 :: v_dual_lshlrev_b32 v5, 24, v16
	v_lshl_add_u32 v2, v2, 23, 0x3c000000
	s_delay_alu instid0(VALU_DEP_2) | instskip(NEXT) | instid1(VALU_DEP_3)
	v_and_b32_e32 v4, 0x700000, v4
	v_and_b32_e32 v5, 0x80000000, v5
	s_delay_alu instid0(VALU_DEP_1)
	v_or3_b32 v2, v4, v5, v2
.LBB357_2100:                           ;   in Loop: Header=BB357_2093 Depth=1
	s_or_b32 exec_lo, exec_lo, s15
.LBB357_2101:                           ;   in Loop: Header=BB357_2093 Depth=1
	s_delay_alu instid0(SALU_CYCLE_1)
	s_or_b32 exec_lo, exec_lo, s14
.LBB357_2102:                           ;   in Loop: Header=BB357_2093 Depth=1
	s_delay_alu instid0(SALU_CYCLE_1) | instskip(SKIP_2) | instid1(VALU_DEP_1)
	s_or_b32 exec_lo, exec_lo, s0
	v_lshrrev_b16 v4, 8, v16
	s_mov_b32 s0, exec_lo
	v_cmpx_ne_u16_e32 0, v4
	s_cbranch_execz .LBB357_2110
; %bb.2103:                             ;   in Loop: Header=BB357_2093 Depth=1
	v_bfrev_b32_e32 v3, 1
	s_mov_b32 s14, exec_lo
	v_cmpx_ne_u16_e32 0x80, v4
	s_cbranch_execz .LBB357_2109
; %bb.2104:                             ;   in Loop: Header=BB357_2093 Depth=1
	v_and_b32_e32 v5, 0xffff, v4
	v_mov_b32_e32 v3, 0x7f800001
	s_mov_b32 s15, exec_lo
	s_delay_alu instid0(VALU_DEP_2) | instskip(NEXT) | instid1(VALU_DEP_1)
	v_and_b32_e32 v4, 0x7f, v5
	v_cmpx_ne_u32_e32 0x7f, v4
	s_cbranch_execz .LBB357_2108
; %bb.2105:                             ;   in Loop: Header=BB357_2093 Depth=1
	v_dual_lshrrev_b32 v3, 3, v4 :: v_dual_bitop2_b32 v68, 7, v5 bitop3:0x40
	s_mov_b32 s16, exec_lo
	s_delay_alu instid0(VALU_DEP_1)
	v_mov_b64_e32 v[22:23], v[68:69]
	v_cmpx_gt_u32_e32 8, v4
; %bb.2106:                             ;   in Loop: Header=BB357_2093 Depth=1
	v_clz_i32_u32_e32 v3, v68
	s_delay_alu instid0(VALU_DEP_1) | instskip(NEXT) | instid1(VALU_DEP_1)
	v_min_u32_e32 v3, 32, v3
	v_subrev_nc_u32_e32 v4, 28, v3
	s_delay_alu instid0(VALU_DEP_1) | instskip(NEXT) | instid1(VALU_DEP_1)
	v_lshlrev_b64_e32 v[4:5], v4, v[68:69]
	v_dual_sub_nc_u32 v3, 29, v3 :: v_dual_bitop2_b32 v22, 7, v4 bitop3:0x40
; %bb.2107:                             ;   in Loop: Header=BB357_2093 Depth=1
	s_or_b32 exec_lo, exec_lo, s16
	s_delay_alu instid0(VALU_DEP_1) | instskip(NEXT) | instid1(VALU_DEP_2)
	v_dual_lshlrev_b32 v4, 16, v16 :: v_dual_lshlrev_b32 v5, 20, v22
	v_lshl_add_u32 v3, v3, 23, 0x3c000000
	s_delay_alu instid0(VALU_DEP_2) | instskip(NEXT) | instid1(VALU_DEP_1)
	v_and_b32_e32 v4, 0x80000000, v4
	v_or3_b32 v3, v5, v4, v3
.LBB357_2108:                           ;   in Loop: Header=BB357_2093 Depth=1
	s_or_b32 exec_lo, exec_lo, s15
.LBB357_2109:                           ;   in Loop: Header=BB357_2093 Depth=1
	s_delay_alu instid0(SALU_CYCLE_1)
	s_or_b32 exec_lo, exec_lo, s14
.LBB357_2110:                           ;   in Loop: Header=BB357_2093 Depth=1
	s_delay_alu instid0(SALU_CYCLE_1) | instskip(SKIP_3) | instid1(VALU_DEP_2)
	s_or_b32 exec_lo, exec_lo, s0
	v_dual_mov_b32 v5, 0 :: v_dual_lshrrev_b32 v6, 16, v16
	v_mov_b32_e32 v4, 0
	s_mov_b32 s0, exec_lo
	v_and_b32_e32 v7, 0xff, v6
	s_delay_alu instid0(VALU_DEP_1)
	v_cmpx_ne_u16_e32 0, v7
	s_cbranch_execz .LBB357_2118
; %bb.2111:                             ;   in Loop: Header=BB357_2093 Depth=1
	v_bfrev_b32_e32 v4, 1
	s_mov_b32 s14, exec_lo
	v_cmpx_ne_u16_e32 0x80, v7
	s_cbranch_execz .LBB357_2117
; %bb.2112:                             ;   in Loop: Header=BB357_2093 Depth=1
	v_bfe_u32 v7, v16, 16, 7
	v_mov_b32_e32 v4, 0x7f800001
	s_mov_b32 s15, exec_lo
	s_delay_alu instid0(VALU_DEP_2)
	v_cmpx_ne_u32_e32 0x7f, v7
	s_cbranch_execz .LBB357_2116
; %bb.2113:                             ;   in Loop: Header=BB357_2093 Depth=1
	v_dual_lshrrev_b32 v4, 3, v7 :: v_dual_bitop2_b32 v68, 7, v6 bitop3:0x40
	s_mov_b32 s16, exec_lo
	s_delay_alu instid0(VALU_DEP_1)
	v_mov_b64_e32 v[22:23], v[68:69]
	v_cmpx_gt_u32_e32 8, v7
; %bb.2114:                             ;   in Loop: Header=BB357_2093 Depth=1
	v_clz_i32_u32_e32 v4, v68
	s_delay_alu instid0(VALU_DEP_1) | instskip(NEXT) | instid1(VALU_DEP_1)
	v_min_u32_e32 v4, 32, v4
	v_subrev_nc_u32_e32 v7, 28, v4
	v_sub_nc_u32_e32 v4, 29, v4
	s_delay_alu instid0(VALU_DEP_2) | instskip(NEXT) | instid1(VALU_DEP_1)
	v_lshlrev_b64_e32 v[8:9], v7, v[68:69]
	v_and_b32_e32 v22, 7, v8
; %bb.2115:                             ;   in Loop: Header=BB357_2093 Depth=1
	s_or_b32 exec_lo, exec_lo, s16
	v_lshlrev_b32_e32 v6, 24, v6
	s_delay_alu instid0(VALU_DEP_2) | instskip(SKIP_1) | instid1(VALU_DEP_3)
	v_lshlrev_b32_e32 v7, 20, v22
	v_lshl_add_u32 v4, v4, 23, 0x3c000000
	v_and_b32_e32 v6, 0x80000000, v6
	s_delay_alu instid0(VALU_DEP_1)
	v_or3_b32 v4, v7, v6, v4
.LBB357_2116:                           ;   in Loop: Header=BB357_2093 Depth=1
	s_or_b32 exec_lo, exec_lo, s15
.LBB357_2117:                           ;   in Loop: Header=BB357_2093 Depth=1
	s_delay_alu instid0(SALU_CYCLE_1)
	s_or_b32 exec_lo, exec_lo, s14
.LBB357_2118:                           ;   in Loop: Header=BB357_2093 Depth=1
	s_delay_alu instid0(SALU_CYCLE_1) | instskip(NEXT) | instid1(SALU_CYCLE_1)
	s_or_b32 exec_lo, exec_lo, s0
	s_mov_b32 s0, exec_lo
	v_cmpx_lt_u32_e32 0xffffff, v16
	s_cbranch_execz .LBB357_2126
; %bb.2119:                             ;   in Loop: Header=BB357_2093 Depth=1
	v_lshrrev_b32_e32 v6, 24, v16
	v_bfrev_b32_e32 v5, 1
	s_mov_b32 s14, exec_lo
	s_delay_alu instid0(VALU_DEP_2)
	v_cmpx_ne_u32_e32 0x80, v6
	s_cbranch_execz .LBB357_2125
; %bb.2120:                             ;   in Loop: Header=BB357_2093 Depth=1
	v_bfe_u32 v7, v16, 24, 7
	v_mov_b32_e32 v5, 0x7f800001
	s_mov_b32 s15, exec_lo
	s_delay_alu instid0(VALU_DEP_2)
	v_cmpx_ne_u32_e32 0x7f, v7
	s_cbranch_execz .LBB357_2124
; %bb.2121:                             ;   in Loop: Header=BB357_2093 Depth=1
	v_dual_lshrrev_b32 v5, 3, v7 :: v_dual_bitop2_b32 v68, 7, v6 bitop3:0x40
	s_mov_b32 s16, exec_lo
	s_delay_alu instid0(VALU_DEP_1)
	v_mov_b64_e32 v[22:23], v[68:69]
	v_cmpx_gt_u32_e32 8, v7
; %bb.2122:                             ;   in Loop: Header=BB357_2093 Depth=1
	v_clz_i32_u32_e32 v5, v68
	s_delay_alu instid0(VALU_DEP_1) | instskip(NEXT) | instid1(VALU_DEP_1)
	v_min_u32_e32 v5, 32, v5
	v_subrev_nc_u32_e32 v7, 28, v5
	s_delay_alu instid0(VALU_DEP_1) | instskip(NEXT) | instid1(VALU_DEP_1)
	v_lshlrev_b64_e32 v[8:9], v7, v[68:69]
	v_dual_sub_nc_u32 v5, 29, v5 :: v_dual_bitop2_b32 v22, 7, v8 bitop3:0x40
; %bb.2123:                             ;   in Loop: Header=BB357_2093 Depth=1
	s_or_b32 exec_lo, exec_lo, s16
	v_lshlrev_b32_e32 v6, 24, v6
	s_delay_alu instid0(VALU_DEP_2) | instskip(NEXT) | instid1(VALU_DEP_3)
	v_lshlrev_b32_e32 v7, 20, v22
	v_lshl_add_u32 v5, v5, 23, 0x3c000000
	s_delay_alu instid0(VALU_DEP_3) | instskip(NEXT) | instid1(VALU_DEP_1)
	v_and_b32_e32 v6, 0x80000000, v6
	v_or3_b32 v5, v7, v6, v5
.LBB357_2124:                           ;   in Loop: Header=BB357_2093 Depth=1
	s_or_b32 exec_lo, exec_lo, s15
.LBB357_2125:                           ;   in Loop: Header=BB357_2093 Depth=1
	s_delay_alu instid0(SALU_CYCLE_1)
	s_or_b32 exec_lo, exec_lo, s14
.LBB357_2126:                           ;   in Loop: Header=BB357_2093 Depth=1
	s_delay_alu instid0(SALU_CYCLE_1) | instskip(SKIP_4) | instid1(VALU_DEP_3)
	s_or_b32 exec_lo, exec_lo, s0
	v_and_b32_e32 v8, 0xff, v17
	v_dual_mov_b32 v68, v17 :: v_dual_mov_b32 v7, 0
	v_mov_b32_e32 v6, 0
	s_mov_b32 s0, exec_lo
	v_cmpx_ne_u16_e32 0, v8
	s_cbranch_execz .LBB357_2134
; %bb.2127:                             ;   in Loop: Header=BB357_2093 Depth=1
	v_bfrev_b32_e32 v6, 1
	s_mov_b32 s14, exec_lo
	v_cmpx_ne_u16_e32 0x80, v8
	s_cbranch_execz .LBB357_2133
; %bb.2128:                             ;   in Loop: Header=BB357_2093 Depth=1
	v_and_b32_e32 v8, 0x7f, v17
	v_mov_b32_e32 v6, 0x7f800001
	s_mov_b32 s15, exec_lo
	s_delay_alu instid0(VALU_DEP_2)
	v_cmpx_ne_u32_e32 0x7f, v8
	s_cbranch_execz .LBB357_2132
; %bb.2129:                             ;   in Loop: Header=BB357_2093 Depth=1
	v_mov_b64_e32 v[22:23], v[68:69]
	v_lshrrev_b32_e32 v6, 3, v8
	s_mov_b32 s16, exec_lo
	v_cmpx_gt_u32_e32 8, v8
; %bb.2130:                             ;   in Loop: Header=BB357_2093 Depth=1
	v_and_b32_e32 v6, 7, v17
	s_delay_alu instid0(VALU_DEP_1) | instskip(NEXT) | instid1(VALU_DEP_1)
	v_clz_i32_u32_e32 v6, v6
	v_min_u32_e32 v6, 32, v6
	s_delay_alu instid0(VALU_DEP_1) | instskip(SKIP_1) | instid1(VALU_DEP_2)
	v_subrev_nc_u32_e32 v8, 28, v6
	v_sub_nc_u32_e32 v6, 29, v6
	v_lshlrev_b64_e32 v[22:23], v8, v[68:69]
; %bb.2131:                             ;   in Loop: Header=BB357_2093 Depth=1
	s_or_b32 exec_lo, exec_lo, s16
	s_delay_alu instid0(VALU_DEP_1) | instskip(NEXT) | instid1(VALU_DEP_3)
	v_dual_lshlrev_b32 v8, 20, v22 :: v_dual_lshlrev_b32 v9, 24, v68
	v_lshl_add_u32 v6, v6, 23, 0x3c000000
	s_delay_alu instid0(VALU_DEP_2) | instskip(NEXT) | instid1(VALU_DEP_3)
	v_and_b32_e32 v8, 0x700000, v8
	v_and_b32_e32 v9, 0x80000000, v9
	s_delay_alu instid0(VALU_DEP_1)
	v_or3_b32 v6, v8, v9, v6
.LBB357_2132:                           ;   in Loop: Header=BB357_2093 Depth=1
	s_or_b32 exec_lo, exec_lo, s15
.LBB357_2133:                           ;   in Loop: Header=BB357_2093 Depth=1
	s_delay_alu instid0(SALU_CYCLE_1)
	s_or_b32 exec_lo, exec_lo, s14
.LBB357_2134:                           ;   in Loop: Header=BB357_2093 Depth=1
	s_delay_alu instid0(SALU_CYCLE_1) | instskip(SKIP_2) | instid1(VALU_DEP_1)
	s_or_b32 exec_lo, exec_lo, s0
	v_lshrrev_b16 v8, 8, v68
	s_mov_b32 s0, exec_lo
	v_cmpx_ne_u16_e32 0, v8
	s_cbranch_execz .LBB357_2142
; %bb.2135:                             ;   in Loop: Header=BB357_2093 Depth=1
	v_bfrev_b32_e32 v7, 1
	s_mov_b32 s14, exec_lo
	v_cmpx_ne_u16_e32 0x80, v8
	s_cbranch_execz .LBB357_2141
; %bb.2136:                             ;   in Loop: Header=BB357_2093 Depth=1
	v_and_b32_e32 v9, 0xffff, v8
	v_mov_b32_e32 v7, 0x7f800001
	s_mov_b32 s15, exec_lo
	s_delay_alu instid0(VALU_DEP_2) | instskip(NEXT) | instid1(VALU_DEP_1)
	v_and_b32_e32 v8, 0x7f, v9
	v_cmpx_ne_u32_e32 0x7f, v8
	s_cbranch_execz .LBB357_2140
; %bb.2137:                             ;   in Loop: Header=BB357_2093 Depth=1
	v_dual_mov_b32 v23, v69 :: v_dual_bitop2_b32 v22, 7, v9 bitop3:0x40
	v_lshrrev_b32_e32 v7, 3, v8
	s_mov_b32 s16, exec_lo
	v_cmpx_gt_u32_e32 8, v8
; %bb.2138:                             ;   in Loop: Header=BB357_2093 Depth=1
	s_delay_alu instid0(VALU_DEP_3) | instskip(NEXT) | instid1(VALU_DEP_1)
	v_clz_i32_u32_e32 v7, v22
	v_min_u32_e32 v7, 32, v7
	s_delay_alu instid0(VALU_DEP_1) | instskip(NEXT) | instid1(VALU_DEP_1)
	v_subrev_nc_u32_e32 v8, 28, v7
	v_lshlrev_b64_e32 v[8:9], v8, v[22:23]
	s_delay_alu instid0(VALU_DEP_1)
	v_dual_sub_nc_u32 v7, 29, v7 :: v_dual_bitop2_b32 v22, 7, v8 bitop3:0x40
; %bb.2139:                             ;   in Loop: Header=BB357_2093 Depth=1
	s_or_b32 exec_lo, exec_lo, s16
	s_delay_alu instid0(VALU_DEP_1) | instskip(NEXT) | instid1(VALU_DEP_2)
	v_dual_lshlrev_b32 v8, 16, v68 :: v_dual_lshlrev_b32 v9, 20, v22
	v_lshl_add_u32 v7, v7, 23, 0x3c000000
	s_delay_alu instid0(VALU_DEP_2) | instskip(NEXT) | instid1(VALU_DEP_1)
	v_and_b32_e32 v8, 0x80000000, v8
	v_or3_b32 v7, v9, v8, v7
.LBB357_2140:                           ;   in Loop: Header=BB357_2093 Depth=1
	s_or_b32 exec_lo, exec_lo, s15
.LBB357_2141:                           ;   in Loop: Header=BB357_2093 Depth=1
	s_delay_alu instid0(SALU_CYCLE_1)
	s_or_b32 exec_lo, exec_lo, s14
.LBB357_2142:                           ;   in Loop: Header=BB357_2093 Depth=1
	s_delay_alu instid0(SALU_CYCLE_1) | instskip(SKIP_3) | instid1(VALU_DEP_2)
	s_or_b32 exec_lo, exec_lo, s0
	v_dual_lshrrev_b32 v10, 16, v17 :: v_dual_mov_b32 v8, 0
	v_mov_b32_e32 v9, 0
	s_mov_b32 s0, exec_lo
	v_and_b32_e32 v11, 0xff, v10
	s_delay_alu instid0(VALU_DEP_1)
	v_cmpx_ne_u16_e32 0, v11
	s_cbranch_execz .LBB357_2150
; %bb.2143:                             ;   in Loop: Header=BB357_2093 Depth=1
	v_bfrev_b32_e32 v9, 1
	s_mov_b32 s14, exec_lo
	v_cmpx_ne_u16_e32 0x80, v11
	s_cbranch_execz .LBB357_2149
; %bb.2144:                             ;   in Loop: Header=BB357_2093 Depth=1
	v_bfe_u32 v11, v17, 16, 7
	v_mov_b32_e32 v9, 0x7f800001
	s_mov_b32 s15, exec_lo
	s_delay_alu instid0(VALU_DEP_2)
	v_cmpx_ne_u32_e32 0x7f, v11
	s_cbranch_execz .LBB357_2148
; %bb.2145:                             ;   in Loop: Header=BB357_2093 Depth=1
	v_dual_lshrrev_b32 v9, 3, v11 :: v_dual_bitop2_b32 v68, 7, v10 bitop3:0x40
	s_mov_b32 s16, exec_lo
	s_delay_alu instid0(VALU_DEP_1)
	v_mov_b64_e32 v[22:23], v[68:69]
	v_cmpx_gt_u32_e32 8, v11
; %bb.2146:                             ;   in Loop: Header=BB357_2093 Depth=1
	v_clz_i32_u32_e32 v9, v68
	s_delay_alu instid0(VALU_DEP_1) | instskip(NEXT) | instid1(VALU_DEP_1)
	v_min_u32_e32 v9, 32, v9
	v_subrev_nc_u32_e32 v11, 28, v9
	s_delay_alu instid0(VALU_DEP_1) | instskip(NEXT) | instid1(VALU_DEP_1)
	v_lshlrev_b64_e32 v[12:13], v11, v[68:69]
	v_dual_sub_nc_u32 v9, 29, v9 :: v_dual_bitop2_b32 v22, 7, v12 bitop3:0x40
; %bb.2147:                             ;   in Loop: Header=BB357_2093 Depth=1
	s_or_b32 exec_lo, exec_lo, s16
	v_lshlrev_b32_e32 v10, 24, v10
	s_delay_alu instid0(VALU_DEP_2) | instskip(NEXT) | instid1(VALU_DEP_3)
	v_lshlrev_b32_e32 v11, 20, v22
	v_lshl_add_u32 v9, v9, 23, 0x3c000000
	s_delay_alu instid0(VALU_DEP_3) | instskip(NEXT) | instid1(VALU_DEP_1)
	v_and_b32_e32 v10, 0x80000000, v10
	v_or3_b32 v9, v11, v10, v9
.LBB357_2148:                           ;   in Loop: Header=BB357_2093 Depth=1
	s_or_b32 exec_lo, exec_lo, s15
.LBB357_2149:                           ;   in Loop: Header=BB357_2093 Depth=1
	s_delay_alu instid0(SALU_CYCLE_1)
	s_or_b32 exec_lo, exec_lo, s14
.LBB357_2150:                           ;   in Loop: Header=BB357_2093 Depth=1
	s_delay_alu instid0(SALU_CYCLE_1) | instskip(NEXT) | instid1(SALU_CYCLE_1)
	s_or_b32 exec_lo, exec_lo, s0
	s_mov_b32 s0, exec_lo
	v_cmpx_lt_u64_e64 s[2:3], v[16:17]
	s_cbranch_execz .LBB357_2158
; %bb.2151:                             ;   in Loop: Header=BB357_2093 Depth=1
	v_lshrrev_b32_e32 v10, 24, v17
	v_bfrev_b32_e32 v8, 1
	s_mov_b32 s14, exec_lo
	s_delay_alu instid0(VALU_DEP_2)
	v_cmpx_ne_u32_e32 0x80, v10
	s_cbranch_execz .LBB357_2157
; %bb.2152:                             ;   in Loop: Header=BB357_2093 Depth=1
	v_bfe_u32 v11, v17, 24, 7
	v_mov_b32_e32 v8, 0x7f800001
	s_mov_b32 s15, exec_lo
	s_delay_alu instid0(VALU_DEP_2)
	v_cmpx_ne_u32_e32 0x7f, v11
	s_cbranch_execz .LBB357_2156
; %bb.2153:                             ;   in Loop: Header=BB357_2093 Depth=1
	v_dual_lshrrev_b32 v8, 3, v11 :: v_dual_bitop2_b32 v68, 7, v10 bitop3:0x40
	s_mov_b32 s16, exec_lo
	s_delay_alu instid0(VALU_DEP_1)
	v_mov_b64_e32 v[16:17], v[68:69]
	v_cmpx_gt_u32_e32 8, v11
; %bb.2154:                             ;   in Loop: Header=BB357_2093 Depth=1
	v_clz_i32_u32_e32 v8, v68
	s_delay_alu instid0(VALU_DEP_1) | instskip(NEXT) | instid1(VALU_DEP_1)
	v_min_u32_e32 v8, 32, v8
	v_subrev_nc_u32_e32 v11, 28, v8
	v_sub_nc_u32_e32 v8, 29, v8
	s_delay_alu instid0(VALU_DEP_2) | instskip(NEXT) | instid1(VALU_DEP_1)
	v_lshlrev_b64_e32 v[12:13], v11, v[68:69]
	v_and_b32_e32 v16, 7, v12
; %bb.2155:                             ;   in Loop: Header=BB357_2093 Depth=1
	s_or_b32 exec_lo, exec_lo, s16
	s_delay_alu instid0(VALU_DEP_1) | instskip(SKIP_1) | instid1(VALU_DEP_2)
	v_dual_lshlrev_b32 v10, 24, v10 :: v_dual_lshlrev_b32 v11, 20, v16
	v_lshl_add_u32 v8, v8, 23, 0x3c000000
	v_and_b32_e32 v10, 0x80000000, v10
	s_delay_alu instid0(VALU_DEP_1)
	v_or3_b32 v8, v11, v10, v8
.LBB357_2156:                           ;   in Loop: Header=BB357_2093 Depth=1
	s_or_b32 exec_lo, exec_lo, s15
.LBB357_2157:                           ;   in Loop: Header=BB357_2093 Depth=1
	s_delay_alu instid0(SALU_CYCLE_1)
	s_or_b32 exec_lo, exec_lo, s14
.LBB357_2158:                           ;   in Loop: Header=BB357_2093 Depth=1
	s_delay_alu instid0(SALU_CYCLE_1)
	s_or_b32 exec_lo, exec_lo, s0
	scratch_load_b32 v10, off, s32 offset:608 ; 4-byte Folded Reload
	s_wait_loadcnt 0x1
	v_fma_mixlo_bf16 v2, v75, v2, 0
	v_fma_mixlo_bf16 v7, v75, v7, 0
	;; [unrolled: 1-line block ×5, first 2 shown]
	scratch_store_b32 off, v2, s32 offset:248 ; 4-byte Folded Spill
	s_wait_xcnt 0x0
	v_fma_mixlo_bf16 v2, v75, v9, 0
	s_clause 0x1
	scratch_store_b32 off, v7, s32 offset:192
	scratch_store_b32 off, v6, s32 offset:200
	v_fma_mixlo_bf16 v3, v75, v3, 0
	s_clause 0x1
	scratch_store_b32 off, v5, s32 offset:224
	scratch_store_b32 off, v2, s32 offset:208
	s_wait_xcnt 0x0
	v_fma_mixlo_bf16 v2, v75, v8, 0
	v_or_b32_e32 v106, 1, v74
	v_or_b32_e32 v105, 2, v74
	;; [unrolled: 1-line block ×7, first 2 shown]
	s_clause 0x2
	scratch_store_b32 off, v4, s32 offset:232
	scratch_store_b32 off, v2, s32 offset:216
	;; [unrolled: 1-line block ×3, first 2 shown]
	s_wait_loadcnt 0x0
	v_add_nc_u32_e32 v10, -1, v10
	s_delay_alu instid0(VALU_DEP_1)
	v_cmp_eq_u32_e32 vcc_lo, v70, v10
	s_wait_xcnt 0x0
	s_and_saveexec_b32 s14, vcc_lo
	s_cbranch_execz .LBB357_2160
; %bb.2159:                             ;   in Loop: Header=BB357_2093 Depth=1
	scratch_load_b32 v2, off, s32 offset:248 ; 4-byte Folded Reload
	v_cmp_lt_i32_e64 s0, v74, v42
	s_wait_loadcnt 0x0
	s_delay_alu instid0(VALU_DEP_1)
	v_cndmask_b32_e64 v2, 0, v2, s0
	v_cmp_lt_i32_e64 s0, v106, v42
	s_clause 0x1
	scratch_store_b32 off, v2, s32 offset:248
	scratch_load_b32 v2, off, s32 offset:240
	s_wait_loadcnt 0x0
	v_cndmask_b32_e64 v2, 0, v2, s0
	v_cmp_lt_i32_e64 s0, v105, v42
	s_clause 0x1
	scratch_store_b32 off, v2, s32 offset:240
	scratch_load_b32 v2, off, s32 offset:232
	s_wait_loadcnt 0x0
	v_cndmask_b32_e64 v2, 0, v2, s0
	v_cmp_lt_i32_e64 s0, v104, v42
	s_clause 0x1
	scratch_store_b32 off, v2, s32 offset:232
	scratch_load_b32 v2, off, s32 offset:224
	s_wait_loadcnt 0x0
	v_cndmask_b32_e64 v2, 0, v2, s0
	v_cmp_lt_i32_e64 s0, v95, v42
	s_clause 0x1
	scratch_store_b32 off, v2, s32 offset:224
	scratch_load_b32 v2, off, s32 offset:200
	s_wait_loadcnt 0x0
	v_cndmask_b32_e64 v2, 0, v2, s0
	v_cmp_lt_i32_e64 s0, v94, v42
	s_clause 0x1
	scratch_store_b32 off, v2, s32 offset:200
	scratch_load_b32 v2, off, s32 offset:192
	s_wait_loadcnt 0x0
	v_cndmask_b32_e64 v2, 0, v2, s0
	v_cmp_lt_i32_e64 s0, v93, v42
	s_clause 0x1
	scratch_store_b32 off, v2, s32 offset:192
	scratch_load_b32 v2, off, s32 offset:208
	s_wait_loadcnt 0x0
	v_cndmask_b32_e64 v2, 0, v2, s0
	v_cmp_lt_i32_e64 s0, v92, v42
	s_clause 0x1
	scratch_store_b32 off, v2, s32 offset:208
	scratch_load_b32 v2, off, s32 offset:216
	s_wait_loadcnt 0x0
	v_cndmask_b32_e64 v2, 0, v2, s0
	scratch_store_b32 off, v2, s32 offset:216 ; 4-byte Folded Spill
.LBB357_2160:                           ;   in Loop: Header=BB357_2093 Depth=1
	s_wait_xcnt 0x0
	s_or_b32 exec_lo, exec_lo, s14
	flat_load_b64 v[16:17], v[18:19] offset:256
	v_dual_mov_b32 v3, 0 :: v_dual_mov_b32 v2, 0
	s_mov_b32 s14, exec_lo
	s_wait_loadcnt_dscnt 0x0
	v_and_b32_e32 v4, 0xff, v16
	s_wait_xcnt 0x0
	s_delay_alu instid0(VALU_DEP_1)
	v_cmpx_ne_u16_e32 0, v4
	s_cbranch_execz .LBB357_2168
; %bb.2161:                             ;   in Loop: Header=BB357_2093 Depth=1
	v_bfrev_b32_e32 v2, 1
	s_mov_b32 s15, exec_lo
	v_cmpx_ne_u16_e32 0x80, v4
	s_cbranch_execz .LBB357_2167
; %bb.2162:                             ;   in Loop: Header=BB357_2093 Depth=1
	v_and_b32_e32 v4, 0x7f, v16
	v_mov_b32_e32 v2, 0x7f800001
	s_mov_b32 s16, exec_lo
	s_delay_alu instid0(VALU_DEP_2)
	v_cmpx_ne_u32_e32 0x7f, v4
	s_cbranch_execz .LBB357_2166
; %bb.2163:                             ;   in Loop: Header=BB357_2093 Depth=1
	v_mov_b64_e32 v[22:23], v[16:17]
	v_lshrrev_b32_e32 v2, 3, v4
	s_mov_b32 s17, exec_lo
	v_cmpx_gt_u32_e32 8, v4
; %bb.2164:                             ;   in Loop: Header=BB357_2093 Depth=1
	v_and_b32_e32 v2, 7, v16
	s_delay_alu instid0(VALU_DEP_1) | instskip(NEXT) | instid1(VALU_DEP_1)
	v_clz_i32_u32_e32 v2, v2
	v_min_u32_e32 v2, 32, v2
	s_delay_alu instid0(VALU_DEP_1) | instskip(SKIP_1) | instid1(VALU_DEP_2)
	v_subrev_nc_u32_e32 v4, 28, v2
	v_sub_nc_u32_e32 v2, 29, v2
	v_lshlrev_b64_e32 v[22:23], v4, v[16:17]
; %bb.2165:                             ;   in Loop: Header=BB357_2093 Depth=1
	s_or_b32 exec_lo, exec_lo, s17
	s_delay_alu instid0(VALU_DEP_1) | instskip(NEXT) | instid1(VALU_DEP_3)
	v_dual_lshlrev_b32 v4, 20, v22 :: v_dual_lshlrev_b32 v5, 24, v16
	v_lshl_add_u32 v2, v2, 23, 0x3c000000
	s_delay_alu instid0(VALU_DEP_2) | instskip(NEXT) | instid1(VALU_DEP_3)
	v_and_b32_e32 v4, 0x700000, v4
	v_and_b32_e32 v5, 0x80000000, v5
	s_delay_alu instid0(VALU_DEP_1)
	v_or3_b32 v2, v4, v5, v2
.LBB357_2166:                           ;   in Loop: Header=BB357_2093 Depth=1
	s_or_b32 exec_lo, exec_lo, s16
.LBB357_2167:                           ;   in Loop: Header=BB357_2093 Depth=1
	s_delay_alu instid0(SALU_CYCLE_1)
	s_or_b32 exec_lo, exec_lo, s15
.LBB357_2168:                           ;   in Loop: Header=BB357_2093 Depth=1
	s_delay_alu instid0(SALU_CYCLE_1) | instskip(SKIP_2) | instid1(VALU_DEP_1)
	s_or_b32 exec_lo, exec_lo, s14
	v_lshrrev_b16 v4, 8, v16
	s_mov_b32 s14, exec_lo
	v_cmpx_ne_u16_e32 0, v4
	s_cbranch_execz .LBB357_2176
; %bb.2169:                             ;   in Loop: Header=BB357_2093 Depth=1
	v_bfrev_b32_e32 v3, 1
	s_mov_b32 s15, exec_lo
	v_cmpx_ne_u16_e32 0x80, v4
	s_cbranch_execz .LBB357_2175
; %bb.2170:                             ;   in Loop: Header=BB357_2093 Depth=1
	v_and_b32_e32 v5, 0xffff, v4
	v_mov_b32_e32 v3, 0x7f800001
	s_mov_b32 s16, exec_lo
	s_delay_alu instid0(VALU_DEP_2) | instskip(NEXT) | instid1(VALU_DEP_1)
	v_and_b32_e32 v4, 0x7f, v5
	v_cmpx_ne_u32_e32 0x7f, v4
	s_cbranch_execz .LBB357_2174
; %bb.2171:                             ;   in Loop: Header=BB357_2093 Depth=1
	v_dual_lshrrev_b32 v3, 3, v4 :: v_dual_bitop2_b32 v68, 7, v5 bitop3:0x40
	s_mov_b32 s17, exec_lo
	s_delay_alu instid0(VALU_DEP_1)
	v_mov_b64_e32 v[22:23], v[68:69]
	v_cmpx_gt_u32_e32 8, v4
; %bb.2172:                             ;   in Loop: Header=BB357_2093 Depth=1
	v_clz_i32_u32_e32 v3, v68
	s_delay_alu instid0(VALU_DEP_1) | instskip(NEXT) | instid1(VALU_DEP_1)
	v_min_u32_e32 v3, 32, v3
	v_subrev_nc_u32_e32 v4, 28, v3
	s_delay_alu instid0(VALU_DEP_1) | instskip(NEXT) | instid1(VALU_DEP_1)
	v_lshlrev_b64_e32 v[4:5], v4, v[68:69]
	v_dual_sub_nc_u32 v3, 29, v3 :: v_dual_bitop2_b32 v22, 7, v4 bitop3:0x40
; %bb.2173:                             ;   in Loop: Header=BB357_2093 Depth=1
	s_or_b32 exec_lo, exec_lo, s17
	s_delay_alu instid0(VALU_DEP_1) | instskip(NEXT) | instid1(VALU_DEP_2)
	v_dual_lshlrev_b32 v4, 16, v16 :: v_dual_lshlrev_b32 v5, 20, v22
	v_lshl_add_u32 v3, v3, 23, 0x3c000000
	s_delay_alu instid0(VALU_DEP_2) | instskip(NEXT) | instid1(VALU_DEP_1)
	v_and_b32_e32 v4, 0x80000000, v4
	v_or3_b32 v3, v5, v4, v3
.LBB357_2174:                           ;   in Loop: Header=BB357_2093 Depth=1
	s_or_b32 exec_lo, exec_lo, s16
.LBB357_2175:                           ;   in Loop: Header=BB357_2093 Depth=1
	s_delay_alu instid0(SALU_CYCLE_1)
	s_or_b32 exec_lo, exec_lo, s15
.LBB357_2176:                           ;   in Loop: Header=BB357_2093 Depth=1
	s_delay_alu instid0(SALU_CYCLE_1) | instskip(SKIP_3) | instid1(VALU_DEP_2)
	s_or_b32 exec_lo, exec_lo, s14
	v_dual_mov_b32 v5, 0 :: v_dual_lshrrev_b32 v6, 16, v16
	v_mov_b32_e32 v4, 0
	s_mov_b32 s14, exec_lo
	v_and_b32_e32 v7, 0xff, v6
	s_delay_alu instid0(VALU_DEP_1)
	v_cmpx_ne_u16_e32 0, v7
	s_cbranch_execz .LBB357_2184
; %bb.2177:                             ;   in Loop: Header=BB357_2093 Depth=1
	v_bfrev_b32_e32 v4, 1
	s_mov_b32 s15, exec_lo
	v_cmpx_ne_u16_e32 0x80, v7
	s_cbranch_execz .LBB357_2183
; %bb.2178:                             ;   in Loop: Header=BB357_2093 Depth=1
	v_bfe_u32 v7, v16, 16, 7
	v_mov_b32_e32 v4, 0x7f800001
	s_mov_b32 s16, exec_lo
	s_delay_alu instid0(VALU_DEP_2)
	v_cmpx_ne_u32_e32 0x7f, v7
	s_cbranch_execz .LBB357_2182
; %bb.2179:                             ;   in Loop: Header=BB357_2093 Depth=1
	v_dual_lshrrev_b32 v4, 3, v7 :: v_dual_bitop2_b32 v68, 7, v6 bitop3:0x40
	s_mov_b32 s17, exec_lo
	s_delay_alu instid0(VALU_DEP_1)
	v_mov_b64_e32 v[22:23], v[68:69]
	v_cmpx_gt_u32_e32 8, v7
; %bb.2180:                             ;   in Loop: Header=BB357_2093 Depth=1
	v_clz_i32_u32_e32 v4, v68
	s_delay_alu instid0(VALU_DEP_1) | instskip(NEXT) | instid1(VALU_DEP_1)
	v_min_u32_e32 v4, 32, v4
	v_subrev_nc_u32_e32 v7, 28, v4
	v_sub_nc_u32_e32 v4, 29, v4
	s_delay_alu instid0(VALU_DEP_2) | instskip(NEXT) | instid1(VALU_DEP_1)
	v_lshlrev_b64_e32 v[8:9], v7, v[68:69]
	v_and_b32_e32 v22, 7, v8
; %bb.2181:                             ;   in Loop: Header=BB357_2093 Depth=1
	s_or_b32 exec_lo, exec_lo, s17
	v_lshlrev_b32_e32 v6, 24, v6
	s_delay_alu instid0(VALU_DEP_2) | instskip(SKIP_1) | instid1(VALU_DEP_3)
	v_lshlrev_b32_e32 v7, 20, v22
	v_lshl_add_u32 v4, v4, 23, 0x3c000000
	v_and_b32_e32 v6, 0x80000000, v6
	s_delay_alu instid0(VALU_DEP_1)
	v_or3_b32 v4, v7, v6, v4
.LBB357_2182:                           ;   in Loop: Header=BB357_2093 Depth=1
	s_or_b32 exec_lo, exec_lo, s16
.LBB357_2183:                           ;   in Loop: Header=BB357_2093 Depth=1
	s_delay_alu instid0(SALU_CYCLE_1)
	s_or_b32 exec_lo, exec_lo, s15
.LBB357_2184:                           ;   in Loop: Header=BB357_2093 Depth=1
	s_delay_alu instid0(SALU_CYCLE_1) | instskip(NEXT) | instid1(SALU_CYCLE_1)
	s_or_b32 exec_lo, exec_lo, s14
	s_mov_b32 s14, exec_lo
	v_cmpx_lt_u32_e32 0xffffff, v16
	s_cbranch_execz .LBB357_2192
; %bb.2185:                             ;   in Loop: Header=BB357_2093 Depth=1
	v_lshrrev_b32_e32 v6, 24, v16
	v_bfrev_b32_e32 v5, 1
	s_mov_b32 s15, exec_lo
	s_delay_alu instid0(VALU_DEP_2)
	v_cmpx_ne_u32_e32 0x80, v6
	s_cbranch_execz .LBB357_2191
; %bb.2186:                             ;   in Loop: Header=BB357_2093 Depth=1
	v_bfe_u32 v7, v16, 24, 7
	v_mov_b32_e32 v5, 0x7f800001
	s_mov_b32 s16, exec_lo
	s_delay_alu instid0(VALU_DEP_2)
	v_cmpx_ne_u32_e32 0x7f, v7
	s_cbranch_execz .LBB357_2190
; %bb.2187:                             ;   in Loop: Header=BB357_2093 Depth=1
	v_dual_lshrrev_b32 v5, 3, v7 :: v_dual_bitop2_b32 v68, 7, v6 bitop3:0x40
	s_mov_b32 s17, exec_lo
	s_delay_alu instid0(VALU_DEP_1)
	v_mov_b64_e32 v[22:23], v[68:69]
	v_cmpx_gt_u32_e32 8, v7
; %bb.2188:                             ;   in Loop: Header=BB357_2093 Depth=1
	v_clz_i32_u32_e32 v5, v68
	s_delay_alu instid0(VALU_DEP_1) | instskip(NEXT) | instid1(VALU_DEP_1)
	v_min_u32_e32 v5, 32, v5
	v_subrev_nc_u32_e32 v7, 28, v5
	s_delay_alu instid0(VALU_DEP_1) | instskip(NEXT) | instid1(VALU_DEP_1)
	v_lshlrev_b64_e32 v[8:9], v7, v[68:69]
	v_dual_sub_nc_u32 v5, 29, v5 :: v_dual_bitop2_b32 v22, 7, v8 bitop3:0x40
; %bb.2189:                             ;   in Loop: Header=BB357_2093 Depth=1
	s_or_b32 exec_lo, exec_lo, s17
	v_lshlrev_b32_e32 v6, 24, v6
	s_delay_alu instid0(VALU_DEP_2) | instskip(NEXT) | instid1(VALU_DEP_3)
	v_lshlrev_b32_e32 v7, 20, v22
	v_lshl_add_u32 v5, v5, 23, 0x3c000000
	s_delay_alu instid0(VALU_DEP_3) | instskip(NEXT) | instid1(VALU_DEP_1)
	v_and_b32_e32 v6, 0x80000000, v6
	v_or3_b32 v5, v7, v6, v5
.LBB357_2190:                           ;   in Loop: Header=BB357_2093 Depth=1
	s_or_b32 exec_lo, exec_lo, s16
.LBB357_2191:                           ;   in Loop: Header=BB357_2093 Depth=1
	s_delay_alu instid0(SALU_CYCLE_1)
	s_or_b32 exec_lo, exec_lo, s15
.LBB357_2192:                           ;   in Loop: Header=BB357_2093 Depth=1
	s_delay_alu instid0(SALU_CYCLE_1) | instskip(SKIP_4) | instid1(VALU_DEP_3)
	s_or_b32 exec_lo, exec_lo, s14
	v_and_b32_e32 v8, 0xff, v17
	v_dual_mov_b32 v68, v17 :: v_dual_mov_b32 v7, 0
	v_mov_b32_e32 v6, 0
	s_mov_b32 s14, exec_lo
	v_cmpx_ne_u16_e32 0, v8
	s_cbranch_execz .LBB357_2200
; %bb.2193:                             ;   in Loop: Header=BB357_2093 Depth=1
	v_bfrev_b32_e32 v6, 1
	s_mov_b32 s15, exec_lo
	v_cmpx_ne_u16_e32 0x80, v8
	s_cbranch_execz .LBB357_2199
; %bb.2194:                             ;   in Loop: Header=BB357_2093 Depth=1
	v_and_b32_e32 v8, 0x7f, v17
	v_mov_b32_e32 v6, 0x7f800001
	s_mov_b32 s16, exec_lo
	s_delay_alu instid0(VALU_DEP_2)
	v_cmpx_ne_u32_e32 0x7f, v8
	s_cbranch_execz .LBB357_2198
; %bb.2195:                             ;   in Loop: Header=BB357_2093 Depth=1
	v_mov_b64_e32 v[22:23], v[68:69]
	v_lshrrev_b32_e32 v6, 3, v8
	s_mov_b32 s17, exec_lo
	v_cmpx_gt_u32_e32 8, v8
; %bb.2196:                             ;   in Loop: Header=BB357_2093 Depth=1
	v_and_b32_e32 v6, 7, v17
	s_delay_alu instid0(VALU_DEP_1) | instskip(NEXT) | instid1(VALU_DEP_1)
	v_clz_i32_u32_e32 v6, v6
	v_min_u32_e32 v6, 32, v6
	s_delay_alu instid0(VALU_DEP_1) | instskip(SKIP_1) | instid1(VALU_DEP_2)
	v_subrev_nc_u32_e32 v8, 28, v6
	v_sub_nc_u32_e32 v6, 29, v6
	v_lshlrev_b64_e32 v[22:23], v8, v[68:69]
; %bb.2197:                             ;   in Loop: Header=BB357_2093 Depth=1
	s_or_b32 exec_lo, exec_lo, s17
	s_delay_alu instid0(VALU_DEP_1) | instskip(NEXT) | instid1(VALU_DEP_3)
	v_dual_lshlrev_b32 v8, 20, v22 :: v_dual_lshlrev_b32 v9, 24, v68
	v_lshl_add_u32 v6, v6, 23, 0x3c000000
	s_delay_alu instid0(VALU_DEP_2) | instskip(NEXT) | instid1(VALU_DEP_3)
	v_and_b32_e32 v8, 0x700000, v8
	v_and_b32_e32 v9, 0x80000000, v9
	s_delay_alu instid0(VALU_DEP_1)
	v_or3_b32 v6, v8, v9, v6
.LBB357_2198:                           ;   in Loop: Header=BB357_2093 Depth=1
	s_or_b32 exec_lo, exec_lo, s16
.LBB357_2199:                           ;   in Loop: Header=BB357_2093 Depth=1
	s_delay_alu instid0(SALU_CYCLE_1)
	s_or_b32 exec_lo, exec_lo, s15
.LBB357_2200:                           ;   in Loop: Header=BB357_2093 Depth=1
	s_delay_alu instid0(SALU_CYCLE_1) | instskip(SKIP_2) | instid1(VALU_DEP_1)
	s_or_b32 exec_lo, exec_lo, s14
	v_lshrrev_b16 v8, 8, v68
	s_mov_b32 s14, exec_lo
	v_cmpx_ne_u16_e32 0, v8
	s_cbranch_execz .LBB357_2208
; %bb.2201:                             ;   in Loop: Header=BB357_2093 Depth=1
	v_bfrev_b32_e32 v7, 1
	s_mov_b32 s15, exec_lo
	v_cmpx_ne_u16_e32 0x80, v8
	s_cbranch_execz .LBB357_2207
; %bb.2202:                             ;   in Loop: Header=BB357_2093 Depth=1
	v_and_b32_e32 v9, 0xffff, v8
	v_mov_b32_e32 v7, 0x7f800001
	s_mov_b32 s16, exec_lo
	s_delay_alu instid0(VALU_DEP_2) | instskip(NEXT) | instid1(VALU_DEP_1)
	v_and_b32_e32 v8, 0x7f, v9
	v_cmpx_ne_u32_e32 0x7f, v8
	s_cbranch_execz .LBB357_2206
; %bb.2203:                             ;   in Loop: Header=BB357_2093 Depth=1
	v_dual_mov_b32 v23, v69 :: v_dual_bitop2_b32 v22, 7, v9 bitop3:0x40
	v_lshrrev_b32_e32 v7, 3, v8
	s_mov_b32 s17, exec_lo
	v_cmpx_gt_u32_e32 8, v8
; %bb.2204:                             ;   in Loop: Header=BB357_2093 Depth=1
	s_delay_alu instid0(VALU_DEP_3) | instskip(NEXT) | instid1(VALU_DEP_1)
	v_clz_i32_u32_e32 v7, v22
	v_min_u32_e32 v7, 32, v7
	s_delay_alu instid0(VALU_DEP_1) | instskip(NEXT) | instid1(VALU_DEP_1)
	v_subrev_nc_u32_e32 v8, 28, v7
	v_lshlrev_b64_e32 v[8:9], v8, v[22:23]
	s_delay_alu instid0(VALU_DEP_1)
	v_dual_sub_nc_u32 v7, 29, v7 :: v_dual_bitop2_b32 v22, 7, v8 bitop3:0x40
; %bb.2205:                             ;   in Loop: Header=BB357_2093 Depth=1
	s_or_b32 exec_lo, exec_lo, s17
	s_delay_alu instid0(VALU_DEP_1) | instskip(NEXT) | instid1(VALU_DEP_2)
	v_dual_lshlrev_b32 v8, 16, v68 :: v_dual_lshlrev_b32 v9, 20, v22
	v_lshl_add_u32 v7, v7, 23, 0x3c000000
	s_delay_alu instid0(VALU_DEP_2) | instskip(NEXT) | instid1(VALU_DEP_1)
	v_and_b32_e32 v8, 0x80000000, v8
	v_or3_b32 v7, v9, v8, v7
.LBB357_2206:                           ;   in Loop: Header=BB357_2093 Depth=1
	s_or_b32 exec_lo, exec_lo, s16
.LBB357_2207:                           ;   in Loop: Header=BB357_2093 Depth=1
	s_delay_alu instid0(SALU_CYCLE_1)
	s_or_b32 exec_lo, exec_lo, s15
.LBB357_2208:                           ;   in Loop: Header=BB357_2093 Depth=1
	s_delay_alu instid0(SALU_CYCLE_1) | instskip(SKIP_3) | instid1(VALU_DEP_2)
	s_or_b32 exec_lo, exec_lo, s14
	v_dual_lshrrev_b32 v10, 16, v17 :: v_dual_mov_b32 v8, 0
	v_mov_b32_e32 v9, 0
	s_mov_b32 s14, exec_lo
	v_and_b32_e32 v11, 0xff, v10
	s_delay_alu instid0(VALU_DEP_1)
	v_cmpx_ne_u16_e32 0, v11
	s_cbranch_execz .LBB357_2216
; %bb.2209:                             ;   in Loop: Header=BB357_2093 Depth=1
	v_bfrev_b32_e32 v9, 1
	s_mov_b32 s15, exec_lo
	v_cmpx_ne_u16_e32 0x80, v11
	s_cbranch_execz .LBB357_2215
; %bb.2210:                             ;   in Loop: Header=BB357_2093 Depth=1
	v_bfe_u32 v11, v17, 16, 7
	v_mov_b32_e32 v9, 0x7f800001
	s_mov_b32 s16, exec_lo
	s_delay_alu instid0(VALU_DEP_2)
	v_cmpx_ne_u32_e32 0x7f, v11
	s_cbranch_execz .LBB357_2214
; %bb.2211:                             ;   in Loop: Header=BB357_2093 Depth=1
	v_dual_lshrrev_b32 v9, 3, v11 :: v_dual_bitop2_b32 v68, 7, v10 bitop3:0x40
	s_mov_b32 s17, exec_lo
	s_delay_alu instid0(VALU_DEP_1)
	v_mov_b64_e32 v[22:23], v[68:69]
	v_cmpx_gt_u32_e32 8, v11
; %bb.2212:                             ;   in Loop: Header=BB357_2093 Depth=1
	v_clz_i32_u32_e32 v9, v68
	s_delay_alu instid0(VALU_DEP_1) | instskip(NEXT) | instid1(VALU_DEP_1)
	v_min_u32_e32 v9, 32, v9
	v_subrev_nc_u32_e32 v11, 28, v9
	s_delay_alu instid0(VALU_DEP_1) | instskip(NEXT) | instid1(VALU_DEP_1)
	v_lshlrev_b64_e32 v[12:13], v11, v[68:69]
	v_dual_sub_nc_u32 v9, 29, v9 :: v_dual_bitop2_b32 v22, 7, v12 bitop3:0x40
; %bb.2213:                             ;   in Loop: Header=BB357_2093 Depth=1
	s_or_b32 exec_lo, exec_lo, s17
	v_lshlrev_b32_e32 v10, 24, v10
	s_delay_alu instid0(VALU_DEP_2) | instskip(NEXT) | instid1(VALU_DEP_3)
	v_lshlrev_b32_e32 v11, 20, v22
	v_lshl_add_u32 v9, v9, 23, 0x3c000000
	s_delay_alu instid0(VALU_DEP_3) | instskip(NEXT) | instid1(VALU_DEP_1)
	v_and_b32_e32 v10, 0x80000000, v10
	v_or3_b32 v9, v11, v10, v9
.LBB357_2214:                           ;   in Loop: Header=BB357_2093 Depth=1
	s_or_b32 exec_lo, exec_lo, s16
.LBB357_2215:                           ;   in Loop: Header=BB357_2093 Depth=1
	s_delay_alu instid0(SALU_CYCLE_1)
	s_or_b32 exec_lo, exec_lo, s15
.LBB357_2216:                           ;   in Loop: Header=BB357_2093 Depth=1
	s_delay_alu instid0(SALU_CYCLE_1) | instskip(NEXT) | instid1(SALU_CYCLE_1)
	s_or_b32 exec_lo, exec_lo, s14
	s_mov_b32 s14, exec_lo
	v_cmpx_lt_u64_e64 s[2:3], v[16:17]
	s_cbranch_execz .LBB357_2224
; %bb.2217:                             ;   in Loop: Header=BB357_2093 Depth=1
	v_lshrrev_b32_e32 v10, 24, v17
	v_bfrev_b32_e32 v8, 1
	s_mov_b32 s15, exec_lo
	s_delay_alu instid0(VALU_DEP_2)
	v_cmpx_ne_u32_e32 0x80, v10
	s_cbranch_execz .LBB357_2223
; %bb.2218:                             ;   in Loop: Header=BB357_2093 Depth=1
	v_bfe_u32 v11, v17, 24, 7
	v_mov_b32_e32 v8, 0x7f800001
	s_mov_b32 s16, exec_lo
	s_delay_alu instid0(VALU_DEP_2)
	v_cmpx_ne_u32_e32 0x7f, v11
	s_cbranch_execz .LBB357_2222
; %bb.2219:                             ;   in Loop: Header=BB357_2093 Depth=1
	v_dual_lshrrev_b32 v8, 3, v11 :: v_dual_bitop2_b32 v68, 7, v10 bitop3:0x40
	s_mov_b32 s17, exec_lo
	s_delay_alu instid0(VALU_DEP_1)
	v_mov_b64_e32 v[16:17], v[68:69]
	v_cmpx_gt_u32_e32 8, v11
; %bb.2220:                             ;   in Loop: Header=BB357_2093 Depth=1
	v_clz_i32_u32_e32 v8, v68
	s_delay_alu instid0(VALU_DEP_1) | instskip(NEXT) | instid1(VALU_DEP_1)
	v_min_u32_e32 v8, 32, v8
	v_subrev_nc_u32_e32 v11, 28, v8
	v_sub_nc_u32_e32 v8, 29, v8
	s_delay_alu instid0(VALU_DEP_2) | instskip(NEXT) | instid1(VALU_DEP_1)
	v_lshlrev_b64_e32 v[12:13], v11, v[68:69]
	v_and_b32_e32 v16, 7, v12
; %bb.2221:                             ;   in Loop: Header=BB357_2093 Depth=1
	s_or_b32 exec_lo, exec_lo, s17
	s_delay_alu instid0(VALU_DEP_1) | instskip(SKIP_1) | instid1(VALU_DEP_2)
	v_dual_lshlrev_b32 v10, 24, v10 :: v_dual_lshlrev_b32 v11, 20, v16
	v_lshl_add_u32 v8, v8, 23, 0x3c000000
	v_and_b32_e32 v10, 0x80000000, v10
	s_delay_alu instid0(VALU_DEP_1)
	v_or3_b32 v8, v11, v10, v8
.LBB357_2222:                           ;   in Loop: Header=BB357_2093 Depth=1
	s_or_b32 exec_lo, exec_lo, s16
.LBB357_2223:                           ;   in Loop: Header=BB357_2093 Depth=1
	s_delay_alu instid0(SALU_CYCLE_1)
	s_or_b32 exec_lo, exec_lo, s15
.LBB357_2224:                           ;   in Loop: Header=BB357_2093 Depth=1
	s_delay_alu instid0(SALU_CYCLE_1)
	s_or_b32 exec_lo, exec_lo, s14
	v_fma_mixlo_bf16 v2, v75, v2, 0
	v_fma_mixlo_bf16 v7, v75, v7, 0
	;; [unrolled: 1-line block ×5, first 2 shown]
	scratch_store_b32 off, v2, s32 offset:312 ; 4-byte Folded Spill
	s_wait_xcnt 0x0
	v_fma_mixlo_bf16 v2, v75, v9, 0
	s_clause 0x1
	scratch_store_b32 off, v7, s32 offset:256
	scratch_store_b32 off, v6, s32 offset:264
	v_fma_mixlo_bf16 v3, v75, v3, 0
	s_clause 0x1
	scratch_store_b32 off, v5, s32 offset:288
	scratch_store_b32 off, v2, s32 offset:272
	s_wait_xcnt 0x0
	v_fma_mixlo_bf16 v2, v75, v8, 0
	s_clause 0x2
	scratch_store_b32 off, v4, s32 offset:296
	scratch_store_b32 off, v3, s32 offset:304
	;; [unrolled: 1-line block ×3, first 2 shown]
	s_wait_xcnt 0x0
	s_and_saveexec_b32 s14, vcc_lo
	s_cbranch_execz .LBB357_2226
; %bb.2225:                             ;   in Loop: Header=BB357_2093 Depth=1
	scratch_load_b32 v2, off, s32 offset:312 ; 4-byte Folded Reload
	v_cmp_lt_i32_e64 s0, v74, v42
	s_wait_loadcnt 0x0
	s_delay_alu instid0(VALU_DEP_1)
	v_cndmask_b32_e64 v2, 0, v2, s0
	v_cmp_lt_i32_e64 s0, v106, v42
	s_clause 0x1
	scratch_store_b32 off, v2, s32 offset:312
	scratch_load_b32 v2, off, s32 offset:304
	s_wait_loadcnt 0x0
	v_cndmask_b32_e64 v2, 0, v2, s0
	v_cmp_lt_i32_e64 s0, v105, v42
	s_clause 0x1
	scratch_store_b32 off, v2, s32 offset:304
	scratch_load_b32 v2, off, s32 offset:296
	s_wait_loadcnt 0x0
	;; [unrolled: 6-line block ×7, first 2 shown]
	v_cndmask_b32_e64 v2, 0, v2, s0
	scratch_store_b32 off, v2, s32 offset:280 ; 4-byte Folded Spill
.LBB357_2226:                           ;   in Loop: Header=BB357_2093 Depth=1
	s_wait_xcnt 0x0
	s_or_b32 exec_lo, exec_lo, s14
	flat_load_b64 v[16:17], v[18:19] offset:512
	v_dual_mov_b32 v3, 0 :: v_dual_mov_b32 v2, 0
	s_mov_b32 s14, exec_lo
	s_wait_loadcnt_dscnt 0x0
	v_and_b32_e32 v4, 0xff, v16
	s_wait_xcnt 0x0
	s_delay_alu instid0(VALU_DEP_1)
	v_cmpx_ne_u16_e32 0, v4
	s_cbranch_execz .LBB357_2234
; %bb.2227:                             ;   in Loop: Header=BB357_2093 Depth=1
	v_bfrev_b32_e32 v2, 1
	s_mov_b32 s15, exec_lo
	v_cmpx_ne_u16_e32 0x80, v4
	s_cbranch_execz .LBB357_2233
; %bb.2228:                             ;   in Loop: Header=BB357_2093 Depth=1
	v_and_b32_e32 v4, 0x7f, v16
	v_mov_b32_e32 v2, 0x7f800001
	s_mov_b32 s16, exec_lo
	s_delay_alu instid0(VALU_DEP_2)
	v_cmpx_ne_u32_e32 0x7f, v4
	s_cbranch_execz .LBB357_2232
; %bb.2229:                             ;   in Loop: Header=BB357_2093 Depth=1
	v_mov_b64_e32 v[22:23], v[16:17]
	v_lshrrev_b32_e32 v2, 3, v4
	s_mov_b32 s17, exec_lo
	v_cmpx_gt_u32_e32 8, v4
; %bb.2230:                             ;   in Loop: Header=BB357_2093 Depth=1
	v_and_b32_e32 v2, 7, v16
	s_delay_alu instid0(VALU_DEP_1) | instskip(NEXT) | instid1(VALU_DEP_1)
	v_clz_i32_u32_e32 v2, v2
	v_min_u32_e32 v2, 32, v2
	s_delay_alu instid0(VALU_DEP_1) | instskip(SKIP_1) | instid1(VALU_DEP_2)
	v_subrev_nc_u32_e32 v4, 28, v2
	v_sub_nc_u32_e32 v2, 29, v2
	v_lshlrev_b64_e32 v[22:23], v4, v[16:17]
; %bb.2231:                             ;   in Loop: Header=BB357_2093 Depth=1
	s_or_b32 exec_lo, exec_lo, s17
	s_delay_alu instid0(VALU_DEP_1) | instskip(NEXT) | instid1(VALU_DEP_3)
	v_dual_lshlrev_b32 v4, 20, v22 :: v_dual_lshlrev_b32 v5, 24, v16
	v_lshl_add_u32 v2, v2, 23, 0x3c000000
	s_delay_alu instid0(VALU_DEP_2) | instskip(NEXT) | instid1(VALU_DEP_3)
	v_and_b32_e32 v4, 0x700000, v4
	v_and_b32_e32 v5, 0x80000000, v5
	s_delay_alu instid0(VALU_DEP_1)
	v_or3_b32 v2, v4, v5, v2
.LBB357_2232:                           ;   in Loop: Header=BB357_2093 Depth=1
	s_or_b32 exec_lo, exec_lo, s16
.LBB357_2233:                           ;   in Loop: Header=BB357_2093 Depth=1
	s_delay_alu instid0(SALU_CYCLE_1)
	s_or_b32 exec_lo, exec_lo, s15
.LBB357_2234:                           ;   in Loop: Header=BB357_2093 Depth=1
	s_delay_alu instid0(SALU_CYCLE_1) | instskip(SKIP_2) | instid1(VALU_DEP_1)
	s_or_b32 exec_lo, exec_lo, s14
	v_lshrrev_b16 v4, 8, v16
	s_mov_b32 s14, exec_lo
	v_cmpx_ne_u16_e32 0, v4
	s_cbranch_execz .LBB357_2242
; %bb.2235:                             ;   in Loop: Header=BB357_2093 Depth=1
	v_bfrev_b32_e32 v3, 1
	s_mov_b32 s15, exec_lo
	v_cmpx_ne_u16_e32 0x80, v4
	s_cbranch_execz .LBB357_2241
; %bb.2236:                             ;   in Loop: Header=BB357_2093 Depth=1
	v_and_b32_e32 v5, 0xffff, v4
	v_mov_b32_e32 v3, 0x7f800001
	s_mov_b32 s16, exec_lo
	s_delay_alu instid0(VALU_DEP_2) | instskip(NEXT) | instid1(VALU_DEP_1)
	v_and_b32_e32 v4, 0x7f, v5
	v_cmpx_ne_u32_e32 0x7f, v4
	s_cbranch_execz .LBB357_2240
; %bb.2237:                             ;   in Loop: Header=BB357_2093 Depth=1
	v_dual_lshrrev_b32 v3, 3, v4 :: v_dual_bitop2_b32 v68, 7, v5 bitop3:0x40
	s_mov_b32 s17, exec_lo
	s_delay_alu instid0(VALU_DEP_1)
	v_mov_b64_e32 v[22:23], v[68:69]
	v_cmpx_gt_u32_e32 8, v4
; %bb.2238:                             ;   in Loop: Header=BB357_2093 Depth=1
	v_clz_i32_u32_e32 v3, v68
	s_delay_alu instid0(VALU_DEP_1) | instskip(NEXT) | instid1(VALU_DEP_1)
	v_min_u32_e32 v3, 32, v3
	v_subrev_nc_u32_e32 v4, 28, v3
	s_delay_alu instid0(VALU_DEP_1) | instskip(NEXT) | instid1(VALU_DEP_1)
	v_lshlrev_b64_e32 v[4:5], v4, v[68:69]
	v_dual_sub_nc_u32 v3, 29, v3 :: v_dual_bitop2_b32 v22, 7, v4 bitop3:0x40
; %bb.2239:                             ;   in Loop: Header=BB357_2093 Depth=1
	s_or_b32 exec_lo, exec_lo, s17
	s_delay_alu instid0(VALU_DEP_1) | instskip(NEXT) | instid1(VALU_DEP_2)
	v_dual_lshlrev_b32 v4, 16, v16 :: v_dual_lshlrev_b32 v5, 20, v22
	v_lshl_add_u32 v3, v3, 23, 0x3c000000
	s_delay_alu instid0(VALU_DEP_2) | instskip(NEXT) | instid1(VALU_DEP_1)
	v_and_b32_e32 v4, 0x80000000, v4
	v_or3_b32 v3, v5, v4, v3
.LBB357_2240:                           ;   in Loop: Header=BB357_2093 Depth=1
	s_or_b32 exec_lo, exec_lo, s16
.LBB357_2241:                           ;   in Loop: Header=BB357_2093 Depth=1
	s_delay_alu instid0(SALU_CYCLE_1)
	s_or_b32 exec_lo, exec_lo, s15
.LBB357_2242:                           ;   in Loop: Header=BB357_2093 Depth=1
	s_delay_alu instid0(SALU_CYCLE_1) | instskip(SKIP_3) | instid1(VALU_DEP_2)
	s_or_b32 exec_lo, exec_lo, s14
	v_dual_mov_b32 v5, 0 :: v_dual_lshrrev_b32 v6, 16, v16
	v_mov_b32_e32 v4, 0
	s_mov_b32 s14, exec_lo
	v_and_b32_e32 v7, 0xff, v6
	s_delay_alu instid0(VALU_DEP_1)
	v_cmpx_ne_u16_e32 0, v7
	s_cbranch_execz .LBB357_2250
; %bb.2243:                             ;   in Loop: Header=BB357_2093 Depth=1
	v_bfrev_b32_e32 v4, 1
	s_mov_b32 s15, exec_lo
	v_cmpx_ne_u16_e32 0x80, v7
	s_cbranch_execz .LBB357_2249
; %bb.2244:                             ;   in Loop: Header=BB357_2093 Depth=1
	v_bfe_u32 v7, v16, 16, 7
	v_mov_b32_e32 v4, 0x7f800001
	s_mov_b32 s16, exec_lo
	s_delay_alu instid0(VALU_DEP_2)
	v_cmpx_ne_u32_e32 0x7f, v7
	s_cbranch_execz .LBB357_2248
; %bb.2245:                             ;   in Loop: Header=BB357_2093 Depth=1
	v_dual_lshrrev_b32 v4, 3, v7 :: v_dual_bitop2_b32 v68, 7, v6 bitop3:0x40
	s_mov_b32 s17, exec_lo
	s_delay_alu instid0(VALU_DEP_1)
	v_mov_b64_e32 v[22:23], v[68:69]
	v_cmpx_gt_u32_e32 8, v7
; %bb.2246:                             ;   in Loop: Header=BB357_2093 Depth=1
	v_clz_i32_u32_e32 v4, v68
	s_delay_alu instid0(VALU_DEP_1) | instskip(NEXT) | instid1(VALU_DEP_1)
	v_min_u32_e32 v4, 32, v4
	v_subrev_nc_u32_e32 v7, 28, v4
	v_sub_nc_u32_e32 v4, 29, v4
	s_delay_alu instid0(VALU_DEP_2) | instskip(NEXT) | instid1(VALU_DEP_1)
	v_lshlrev_b64_e32 v[8:9], v7, v[68:69]
	v_and_b32_e32 v22, 7, v8
; %bb.2247:                             ;   in Loop: Header=BB357_2093 Depth=1
	s_or_b32 exec_lo, exec_lo, s17
	v_lshlrev_b32_e32 v6, 24, v6
	s_delay_alu instid0(VALU_DEP_2) | instskip(SKIP_1) | instid1(VALU_DEP_3)
	v_lshlrev_b32_e32 v7, 20, v22
	v_lshl_add_u32 v4, v4, 23, 0x3c000000
	v_and_b32_e32 v6, 0x80000000, v6
	s_delay_alu instid0(VALU_DEP_1)
	v_or3_b32 v4, v7, v6, v4
.LBB357_2248:                           ;   in Loop: Header=BB357_2093 Depth=1
	s_or_b32 exec_lo, exec_lo, s16
.LBB357_2249:                           ;   in Loop: Header=BB357_2093 Depth=1
	s_delay_alu instid0(SALU_CYCLE_1)
	s_or_b32 exec_lo, exec_lo, s15
.LBB357_2250:                           ;   in Loop: Header=BB357_2093 Depth=1
	s_delay_alu instid0(SALU_CYCLE_1) | instskip(NEXT) | instid1(SALU_CYCLE_1)
	s_or_b32 exec_lo, exec_lo, s14
	s_mov_b32 s14, exec_lo
	v_cmpx_lt_u32_e32 0xffffff, v16
	s_cbranch_execz .LBB357_2258
; %bb.2251:                             ;   in Loop: Header=BB357_2093 Depth=1
	v_lshrrev_b32_e32 v6, 24, v16
	v_bfrev_b32_e32 v5, 1
	s_mov_b32 s15, exec_lo
	s_delay_alu instid0(VALU_DEP_2)
	v_cmpx_ne_u32_e32 0x80, v6
	s_cbranch_execz .LBB357_2257
; %bb.2252:                             ;   in Loop: Header=BB357_2093 Depth=1
	v_bfe_u32 v7, v16, 24, 7
	v_mov_b32_e32 v5, 0x7f800001
	s_mov_b32 s16, exec_lo
	s_delay_alu instid0(VALU_DEP_2)
	v_cmpx_ne_u32_e32 0x7f, v7
	s_cbranch_execz .LBB357_2256
; %bb.2253:                             ;   in Loop: Header=BB357_2093 Depth=1
	v_dual_lshrrev_b32 v5, 3, v7 :: v_dual_bitop2_b32 v68, 7, v6 bitop3:0x40
	s_mov_b32 s17, exec_lo
	s_delay_alu instid0(VALU_DEP_1)
	v_mov_b64_e32 v[22:23], v[68:69]
	v_cmpx_gt_u32_e32 8, v7
; %bb.2254:                             ;   in Loop: Header=BB357_2093 Depth=1
	v_clz_i32_u32_e32 v5, v68
	s_delay_alu instid0(VALU_DEP_1) | instskip(NEXT) | instid1(VALU_DEP_1)
	v_min_u32_e32 v5, 32, v5
	v_subrev_nc_u32_e32 v7, 28, v5
	s_delay_alu instid0(VALU_DEP_1) | instskip(NEXT) | instid1(VALU_DEP_1)
	v_lshlrev_b64_e32 v[8:9], v7, v[68:69]
	v_dual_sub_nc_u32 v5, 29, v5 :: v_dual_bitop2_b32 v22, 7, v8 bitop3:0x40
; %bb.2255:                             ;   in Loop: Header=BB357_2093 Depth=1
	s_or_b32 exec_lo, exec_lo, s17
	v_lshlrev_b32_e32 v6, 24, v6
	s_delay_alu instid0(VALU_DEP_2) | instskip(NEXT) | instid1(VALU_DEP_3)
	v_lshlrev_b32_e32 v7, 20, v22
	v_lshl_add_u32 v5, v5, 23, 0x3c000000
	s_delay_alu instid0(VALU_DEP_3) | instskip(NEXT) | instid1(VALU_DEP_1)
	v_and_b32_e32 v6, 0x80000000, v6
	v_or3_b32 v5, v7, v6, v5
.LBB357_2256:                           ;   in Loop: Header=BB357_2093 Depth=1
	s_or_b32 exec_lo, exec_lo, s16
.LBB357_2257:                           ;   in Loop: Header=BB357_2093 Depth=1
	s_delay_alu instid0(SALU_CYCLE_1)
	s_or_b32 exec_lo, exec_lo, s15
.LBB357_2258:                           ;   in Loop: Header=BB357_2093 Depth=1
	s_delay_alu instid0(SALU_CYCLE_1) | instskip(SKIP_4) | instid1(VALU_DEP_3)
	s_or_b32 exec_lo, exec_lo, s14
	v_and_b32_e32 v8, 0xff, v17
	v_dual_mov_b32 v68, v17 :: v_dual_mov_b32 v7, 0
	v_mov_b32_e32 v6, 0
	s_mov_b32 s14, exec_lo
	v_cmpx_ne_u16_e32 0, v8
	s_cbranch_execz .LBB357_2266
; %bb.2259:                             ;   in Loop: Header=BB357_2093 Depth=1
	v_bfrev_b32_e32 v6, 1
	s_mov_b32 s15, exec_lo
	v_cmpx_ne_u16_e32 0x80, v8
	s_cbranch_execz .LBB357_2265
; %bb.2260:                             ;   in Loop: Header=BB357_2093 Depth=1
	v_and_b32_e32 v8, 0x7f, v17
	v_mov_b32_e32 v6, 0x7f800001
	s_mov_b32 s16, exec_lo
	s_delay_alu instid0(VALU_DEP_2)
	v_cmpx_ne_u32_e32 0x7f, v8
	s_cbranch_execz .LBB357_2264
; %bb.2261:                             ;   in Loop: Header=BB357_2093 Depth=1
	v_mov_b64_e32 v[22:23], v[68:69]
	v_lshrrev_b32_e32 v6, 3, v8
	s_mov_b32 s17, exec_lo
	v_cmpx_gt_u32_e32 8, v8
; %bb.2262:                             ;   in Loop: Header=BB357_2093 Depth=1
	v_and_b32_e32 v6, 7, v17
	s_delay_alu instid0(VALU_DEP_1) | instskip(NEXT) | instid1(VALU_DEP_1)
	v_clz_i32_u32_e32 v6, v6
	v_min_u32_e32 v6, 32, v6
	s_delay_alu instid0(VALU_DEP_1) | instskip(SKIP_1) | instid1(VALU_DEP_2)
	v_subrev_nc_u32_e32 v8, 28, v6
	v_sub_nc_u32_e32 v6, 29, v6
	v_lshlrev_b64_e32 v[22:23], v8, v[68:69]
; %bb.2263:                             ;   in Loop: Header=BB357_2093 Depth=1
	s_or_b32 exec_lo, exec_lo, s17
	s_delay_alu instid0(VALU_DEP_1) | instskip(NEXT) | instid1(VALU_DEP_3)
	v_dual_lshlrev_b32 v8, 20, v22 :: v_dual_lshlrev_b32 v9, 24, v68
	v_lshl_add_u32 v6, v6, 23, 0x3c000000
	s_delay_alu instid0(VALU_DEP_2) | instskip(NEXT) | instid1(VALU_DEP_3)
	v_and_b32_e32 v8, 0x700000, v8
	v_and_b32_e32 v9, 0x80000000, v9
	s_delay_alu instid0(VALU_DEP_1)
	v_or3_b32 v6, v8, v9, v6
.LBB357_2264:                           ;   in Loop: Header=BB357_2093 Depth=1
	s_or_b32 exec_lo, exec_lo, s16
.LBB357_2265:                           ;   in Loop: Header=BB357_2093 Depth=1
	s_delay_alu instid0(SALU_CYCLE_1)
	s_or_b32 exec_lo, exec_lo, s15
.LBB357_2266:                           ;   in Loop: Header=BB357_2093 Depth=1
	s_delay_alu instid0(SALU_CYCLE_1) | instskip(SKIP_2) | instid1(VALU_DEP_1)
	s_or_b32 exec_lo, exec_lo, s14
	v_lshrrev_b16 v8, 8, v68
	s_mov_b32 s14, exec_lo
	v_cmpx_ne_u16_e32 0, v8
	s_cbranch_execz .LBB357_2274
; %bb.2267:                             ;   in Loop: Header=BB357_2093 Depth=1
	v_bfrev_b32_e32 v7, 1
	s_mov_b32 s15, exec_lo
	v_cmpx_ne_u16_e32 0x80, v8
	s_cbranch_execz .LBB357_2273
; %bb.2268:                             ;   in Loop: Header=BB357_2093 Depth=1
	v_and_b32_e32 v9, 0xffff, v8
	v_mov_b32_e32 v7, 0x7f800001
	s_mov_b32 s16, exec_lo
	s_delay_alu instid0(VALU_DEP_2) | instskip(NEXT) | instid1(VALU_DEP_1)
	v_and_b32_e32 v8, 0x7f, v9
	v_cmpx_ne_u32_e32 0x7f, v8
	s_cbranch_execz .LBB357_2272
; %bb.2269:                             ;   in Loop: Header=BB357_2093 Depth=1
	v_dual_mov_b32 v23, v69 :: v_dual_bitop2_b32 v22, 7, v9 bitop3:0x40
	v_lshrrev_b32_e32 v7, 3, v8
	s_mov_b32 s17, exec_lo
	v_cmpx_gt_u32_e32 8, v8
; %bb.2270:                             ;   in Loop: Header=BB357_2093 Depth=1
	s_delay_alu instid0(VALU_DEP_3) | instskip(NEXT) | instid1(VALU_DEP_1)
	v_clz_i32_u32_e32 v7, v22
	v_min_u32_e32 v7, 32, v7
	s_delay_alu instid0(VALU_DEP_1) | instskip(NEXT) | instid1(VALU_DEP_1)
	v_subrev_nc_u32_e32 v8, 28, v7
	v_lshlrev_b64_e32 v[8:9], v8, v[22:23]
	s_delay_alu instid0(VALU_DEP_1)
	v_dual_sub_nc_u32 v7, 29, v7 :: v_dual_bitop2_b32 v22, 7, v8 bitop3:0x40
; %bb.2271:                             ;   in Loop: Header=BB357_2093 Depth=1
	s_or_b32 exec_lo, exec_lo, s17
	s_delay_alu instid0(VALU_DEP_1) | instskip(NEXT) | instid1(VALU_DEP_2)
	v_dual_lshlrev_b32 v8, 16, v68 :: v_dual_lshlrev_b32 v9, 20, v22
	v_lshl_add_u32 v7, v7, 23, 0x3c000000
	s_delay_alu instid0(VALU_DEP_2) | instskip(NEXT) | instid1(VALU_DEP_1)
	v_and_b32_e32 v8, 0x80000000, v8
	v_or3_b32 v7, v9, v8, v7
.LBB357_2272:                           ;   in Loop: Header=BB357_2093 Depth=1
	s_or_b32 exec_lo, exec_lo, s16
.LBB357_2273:                           ;   in Loop: Header=BB357_2093 Depth=1
	s_delay_alu instid0(SALU_CYCLE_1)
	s_or_b32 exec_lo, exec_lo, s15
.LBB357_2274:                           ;   in Loop: Header=BB357_2093 Depth=1
	s_delay_alu instid0(SALU_CYCLE_1) | instskip(SKIP_3) | instid1(VALU_DEP_2)
	s_or_b32 exec_lo, exec_lo, s14
	v_dual_lshrrev_b32 v10, 16, v17 :: v_dual_mov_b32 v8, 0
	v_mov_b32_e32 v9, 0
	s_mov_b32 s14, exec_lo
	v_and_b32_e32 v11, 0xff, v10
	s_delay_alu instid0(VALU_DEP_1)
	v_cmpx_ne_u16_e32 0, v11
	s_cbranch_execz .LBB357_2282
; %bb.2275:                             ;   in Loop: Header=BB357_2093 Depth=1
	v_bfrev_b32_e32 v9, 1
	s_mov_b32 s15, exec_lo
	v_cmpx_ne_u16_e32 0x80, v11
	s_cbranch_execz .LBB357_2281
; %bb.2276:                             ;   in Loop: Header=BB357_2093 Depth=1
	v_bfe_u32 v11, v17, 16, 7
	v_mov_b32_e32 v9, 0x7f800001
	s_mov_b32 s16, exec_lo
	s_delay_alu instid0(VALU_DEP_2)
	v_cmpx_ne_u32_e32 0x7f, v11
	s_cbranch_execz .LBB357_2280
; %bb.2277:                             ;   in Loop: Header=BB357_2093 Depth=1
	v_dual_lshrrev_b32 v9, 3, v11 :: v_dual_bitop2_b32 v68, 7, v10 bitop3:0x40
	s_mov_b32 s17, exec_lo
	s_delay_alu instid0(VALU_DEP_1)
	v_mov_b64_e32 v[22:23], v[68:69]
	v_cmpx_gt_u32_e32 8, v11
; %bb.2278:                             ;   in Loop: Header=BB357_2093 Depth=1
	v_clz_i32_u32_e32 v9, v68
	s_delay_alu instid0(VALU_DEP_1) | instskip(NEXT) | instid1(VALU_DEP_1)
	v_min_u32_e32 v9, 32, v9
	v_subrev_nc_u32_e32 v11, 28, v9
	s_delay_alu instid0(VALU_DEP_1) | instskip(NEXT) | instid1(VALU_DEP_1)
	v_lshlrev_b64_e32 v[12:13], v11, v[68:69]
	v_dual_sub_nc_u32 v9, 29, v9 :: v_dual_bitop2_b32 v22, 7, v12 bitop3:0x40
; %bb.2279:                             ;   in Loop: Header=BB357_2093 Depth=1
	s_or_b32 exec_lo, exec_lo, s17
	v_lshlrev_b32_e32 v10, 24, v10
	s_delay_alu instid0(VALU_DEP_2) | instskip(NEXT) | instid1(VALU_DEP_3)
	v_lshlrev_b32_e32 v11, 20, v22
	v_lshl_add_u32 v9, v9, 23, 0x3c000000
	s_delay_alu instid0(VALU_DEP_3) | instskip(NEXT) | instid1(VALU_DEP_1)
	v_and_b32_e32 v10, 0x80000000, v10
	v_or3_b32 v9, v11, v10, v9
.LBB357_2280:                           ;   in Loop: Header=BB357_2093 Depth=1
	s_or_b32 exec_lo, exec_lo, s16
.LBB357_2281:                           ;   in Loop: Header=BB357_2093 Depth=1
	s_delay_alu instid0(SALU_CYCLE_1)
	s_or_b32 exec_lo, exec_lo, s15
.LBB357_2282:                           ;   in Loop: Header=BB357_2093 Depth=1
	s_delay_alu instid0(SALU_CYCLE_1) | instskip(NEXT) | instid1(SALU_CYCLE_1)
	s_or_b32 exec_lo, exec_lo, s14
	s_mov_b32 s14, exec_lo
	v_cmpx_lt_u64_e64 s[2:3], v[16:17]
	s_cbranch_execz .LBB357_2290
; %bb.2283:                             ;   in Loop: Header=BB357_2093 Depth=1
	v_lshrrev_b32_e32 v10, 24, v17
	v_bfrev_b32_e32 v8, 1
	s_mov_b32 s15, exec_lo
	s_delay_alu instid0(VALU_DEP_2)
	v_cmpx_ne_u32_e32 0x80, v10
	s_cbranch_execz .LBB357_2289
; %bb.2284:                             ;   in Loop: Header=BB357_2093 Depth=1
	v_bfe_u32 v11, v17, 24, 7
	v_mov_b32_e32 v8, 0x7f800001
	s_mov_b32 s16, exec_lo
	s_delay_alu instid0(VALU_DEP_2)
	v_cmpx_ne_u32_e32 0x7f, v11
	s_cbranch_execz .LBB357_2288
; %bb.2285:                             ;   in Loop: Header=BB357_2093 Depth=1
	v_dual_lshrrev_b32 v8, 3, v11 :: v_dual_bitop2_b32 v68, 7, v10 bitop3:0x40
	s_mov_b32 s17, exec_lo
	s_delay_alu instid0(VALU_DEP_1)
	v_mov_b64_e32 v[16:17], v[68:69]
	v_cmpx_gt_u32_e32 8, v11
; %bb.2286:                             ;   in Loop: Header=BB357_2093 Depth=1
	v_clz_i32_u32_e32 v8, v68
	s_delay_alu instid0(VALU_DEP_1) | instskip(NEXT) | instid1(VALU_DEP_1)
	v_min_u32_e32 v8, 32, v8
	v_subrev_nc_u32_e32 v11, 28, v8
	v_sub_nc_u32_e32 v8, 29, v8
	s_delay_alu instid0(VALU_DEP_2) | instskip(NEXT) | instid1(VALU_DEP_1)
	v_lshlrev_b64_e32 v[12:13], v11, v[68:69]
	v_and_b32_e32 v16, 7, v12
; %bb.2287:                             ;   in Loop: Header=BB357_2093 Depth=1
	s_or_b32 exec_lo, exec_lo, s17
	s_delay_alu instid0(VALU_DEP_1) | instskip(SKIP_1) | instid1(VALU_DEP_2)
	v_dual_lshlrev_b32 v10, 24, v10 :: v_dual_lshlrev_b32 v11, 20, v16
	v_lshl_add_u32 v8, v8, 23, 0x3c000000
	v_and_b32_e32 v10, 0x80000000, v10
	s_delay_alu instid0(VALU_DEP_1)
	v_or3_b32 v8, v11, v10, v8
.LBB357_2288:                           ;   in Loop: Header=BB357_2093 Depth=1
	s_or_b32 exec_lo, exec_lo, s16
.LBB357_2289:                           ;   in Loop: Header=BB357_2093 Depth=1
	s_delay_alu instid0(SALU_CYCLE_1)
	s_or_b32 exec_lo, exec_lo, s15
.LBB357_2290:                           ;   in Loop: Header=BB357_2093 Depth=1
	s_delay_alu instid0(SALU_CYCLE_1)
	s_or_b32 exec_lo, exec_lo, s14
	v_fma_mixlo_bf16 v2, v75, v2, 0
	v_fma_mixlo_bf16 v7, v75, v7, 0
	;; [unrolled: 1-line block ×5, first 2 shown]
	scratch_store_b32 off, v2, s32 offset:376 ; 4-byte Folded Spill
	s_wait_xcnt 0x0
	v_fma_mixlo_bf16 v2, v75, v9, 0
	s_clause 0x1
	scratch_store_b32 off, v7, s32 offset:320
	scratch_store_b32 off, v6, s32 offset:328
	v_fma_mixlo_bf16 v3, v75, v3, 0
	s_clause 0x1
	scratch_store_b32 off, v5, s32 offset:352
	scratch_store_b32 off, v2, s32 offset:336
	s_wait_xcnt 0x0
	v_fma_mixlo_bf16 v2, v75, v8, 0
	s_clause 0x2
	scratch_store_b32 off, v4, s32 offset:360
	scratch_store_b32 off, v3, s32 offset:368
	;; [unrolled: 1-line block ×3, first 2 shown]
	s_wait_xcnt 0x0
	s_and_saveexec_b32 s14, vcc_lo
	s_cbranch_execz .LBB357_2292
; %bb.2291:                             ;   in Loop: Header=BB357_2093 Depth=1
	scratch_load_b32 v2, off, s32 offset:376 ; 4-byte Folded Reload
	v_cmp_lt_i32_e64 s0, v74, v42
	s_wait_loadcnt 0x0
	s_delay_alu instid0(VALU_DEP_1)
	v_cndmask_b32_e64 v2, 0, v2, s0
	v_cmp_lt_i32_e64 s0, v106, v42
	s_clause 0x1
	scratch_store_b32 off, v2, s32 offset:376
	scratch_load_b32 v2, off, s32 offset:368
	s_wait_loadcnt 0x0
	v_cndmask_b32_e64 v2, 0, v2, s0
	v_cmp_lt_i32_e64 s0, v105, v42
	s_clause 0x1
	scratch_store_b32 off, v2, s32 offset:368
	scratch_load_b32 v2, off, s32 offset:360
	s_wait_loadcnt 0x0
	;; [unrolled: 6-line block ×7, first 2 shown]
	v_cndmask_b32_e64 v2, 0, v2, s0
	scratch_store_b32 off, v2, s32 offset:344 ; 4-byte Folded Spill
.LBB357_2292:                           ;   in Loop: Header=BB357_2093 Depth=1
	s_wait_xcnt 0x0
	s_or_b32 exec_lo, exec_lo, s14
	flat_load_b64 v[16:17], v[18:19] offset:768
	v_dual_mov_b32 v3, 0 :: v_dual_mov_b32 v2, 0
	s_mov_b32 s14, exec_lo
	s_wait_loadcnt_dscnt 0x0
	v_and_b32_e32 v4, 0xff, v16
	s_wait_xcnt 0x0
	s_delay_alu instid0(VALU_DEP_1)
	v_cmpx_ne_u16_e32 0, v4
	s_cbranch_execz .LBB357_2300
; %bb.2293:                             ;   in Loop: Header=BB357_2093 Depth=1
	v_bfrev_b32_e32 v2, 1
	s_mov_b32 s15, exec_lo
	v_cmpx_ne_u16_e32 0x80, v4
	s_cbranch_execz .LBB357_2299
; %bb.2294:                             ;   in Loop: Header=BB357_2093 Depth=1
	v_and_b32_e32 v4, 0x7f, v16
	v_mov_b32_e32 v2, 0x7f800001
	s_mov_b32 s16, exec_lo
	s_delay_alu instid0(VALU_DEP_2)
	v_cmpx_ne_u32_e32 0x7f, v4
	s_cbranch_execz .LBB357_2298
; %bb.2295:                             ;   in Loop: Header=BB357_2093 Depth=1
	v_mov_b64_e32 v[22:23], v[16:17]
	v_lshrrev_b32_e32 v2, 3, v4
	s_mov_b32 s17, exec_lo
	v_cmpx_gt_u32_e32 8, v4
; %bb.2296:                             ;   in Loop: Header=BB357_2093 Depth=1
	v_and_b32_e32 v2, 7, v16
	s_delay_alu instid0(VALU_DEP_1) | instskip(NEXT) | instid1(VALU_DEP_1)
	v_clz_i32_u32_e32 v2, v2
	v_min_u32_e32 v2, 32, v2
	s_delay_alu instid0(VALU_DEP_1) | instskip(SKIP_1) | instid1(VALU_DEP_2)
	v_subrev_nc_u32_e32 v4, 28, v2
	v_sub_nc_u32_e32 v2, 29, v2
	v_lshlrev_b64_e32 v[22:23], v4, v[16:17]
; %bb.2297:                             ;   in Loop: Header=BB357_2093 Depth=1
	s_or_b32 exec_lo, exec_lo, s17
	s_delay_alu instid0(VALU_DEP_1) | instskip(NEXT) | instid1(VALU_DEP_3)
	v_dual_lshlrev_b32 v4, 20, v22 :: v_dual_lshlrev_b32 v5, 24, v16
	v_lshl_add_u32 v2, v2, 23, 0x3c000000
	s_delay_alu instid0(VALU_DEP_2) | instskip(NEXT) | instid1(VALU_DEP_3)
	v_and_b32_e32 v4, 0x700000, v4
	v_and_b32_e32 v5, 0x80000000, v5
	s_delay_alu instid0(VALU_DEP_1)
	v_or3_b32 v2, v4, v5, v2
.LBB357_2298:                           ;   in Loop: Header=BB357_2093 Depth=1
	s_or_b32 exec_lo, exec_lo, s16
.LBB357_2299:                           ;   in Loop: Header=BB357_2093 Depth=1
	s_delay_alu instid0(SALU_CYCLE_1)
	s_or_b32 exec_lo, exec_lo, s15
.LBB357_2300:                           ;   in Loop: Header=BB357_2093 Depth=1
	s_delay_alu instid0(SALU_CYCLE_1) | instskip(SKIP_2) | instid1(VALU_DEP_1)
	s_or_b32 exec_lo, exec_lo, s14
	v_lshrrev_b16 v4, 8, v16
	s_mov_b32 s14, exec_lo
	v_cmpx_ne_u16_e32 0, v4
	s_cbranch_execz .LBB357_2308
; %bb.2301:                             ;   in Loop: Header=BB357_2093 Depth=1
	v_bfrev_b32_e32 v3, 1
	s_mov_b32 s15, exec_lo
	v_cmpx_ne_u16_e32 0x80, v4
	s_cbranch_execz .LBB357_2307
; %bb.2302:                             ;   in Loop: Header=BB357_2093 Depth=1
	v_and_b32_e32 v5, 0xffff, v4
	v_mov_b32_e32 v3, 0x7f800001
	s_mov_b32 s16, exec_lo
	s_delay_alu instid0(VALU_DEP_2) | instskip(NEXT) | instid1(VALU_DEP_1)
	v_and_b32_e32 v4, 0x7f, v5
	v_cmpx_ne_u32_e32 0x7f, v4
	s_cbranch_execz .LBB357_2306
; %bb.2303:                             ;   in Loop: Header=BB357_2093 Depth=1
	v_dual_lshrrev_b32 v3, 3, v4 :: v_dual_bitop2_b32 v68, 7, v5 bitop3:0x40
	s_mov_b32 s17, exec_lo
	s_delay_alu instid0(VALU_DEP_1)
	v_mov_b64_e32 v[22:23], v[68:69]
	v_cmpx_gt_u32_e32 8, v4
; %bb.2304:                             ;   in Loop: Header=BB357_2093 Depth=1
	v_clz_i32_u32_e32 v3, v68
	s_delay_alu instid0(VALU_DEP_1) | instskip(NEXT) | instid1(VALU_DEP_1)
	v_min_u32_e32 v3, 32, v3
	v_subrev_nc_u32_e32 v4, 28, v3
	s_delay_alu instid0(VALU_DEP_1) | instskip(NEXT) | instid1(VALU_DEP_1)
	v_lshlrev_b64_e32 v[4:5], v4, v[68:69]
	v_dual_sub_nc_u32 v3, 29, v3 :: v_dual_bitop2_b32 v22, 7, v4 bitop3:0x40
; %bb.2305:                             ;   in Loop: Header=BB357_2093 Depth=1
	s_or_b32 exec_lo, exec_lo, s17
	s_delay_alu instid0(VALU_DEP_1) | instskip(NEXT) | instid1(VALU_DEP_2)
	v_dual_lshlrev_b32 v4, 16, v16 :: v_dual_lshlrev_b32 v5, 20, v22
	v_lshl_add_u32 v3, v3, 23, 0x3c000000
	s_delay_alu instid0(VALU_DEP_2) | instskip(NEXT) | instid1(VALU_DEP_1)
	v_and_b32_e32 v4, 0x80000000, v4
	v_or3_b32 v3, v5, v4, v3
.LBB357_2306:                           ;   in Loop: Header=BB357_2093 Depth=1
	s_or_b32 exec_lo, exec_lo, s16
.LBB357_2307:                           ;   in Loop: Header=BB357_2093 Depth=1
	s_delay_alu instid0(SALU_CYCLE_1)
	s_or_b32 exec_lo, exec_lo, s15
.LBB357_2308:                           ;   in Loop: Header=BB357_2093 Depth=1
	s_delay_alu instid0(SALU_CYCLE_1) | instskip(SKIP_3) | instid1(VALU_DEP_2)
	s_or_b32 exec_lo, exec_lo, s14
	v_dual_mov_b32 v5, 0 :: v_dual_lshrrev_b32 v6, 16, v16
	v_mov_b32_e32 v4, 0
	s_mov_b32 s14, exec_lo
	v_and_b32_e32 v7, 0xff, v6
	s_delay_alu instid0(VALU_DEP_1)
	v_cmpx_ne_u16_e32 0, v7
	s_cbranch_execz .LBB357_2316
; %bb.2309:                             ;   in Loop: Header=BB357_2093 Depth=1
	v_bfrev_b32_e32 v4, 1
	s_mov_b32 s15, exec_lo
	v_cmpx_ne_u16_e32 0x80, v7
	s_cbranch_execz .LBB357_2315
; %bb.2310:                             ;   in Loop: Header=BB357_2093 Depth=1
	v_bfe_u32 v7, v16, 16, 7
	v_mov_b32_e32 v4, 0x7f800001
	s_mov_b32 s16, exec_lo
	s_delay_alu instid0(VALU_DEP_2)
	v_cmpx_ne_u32_e32 0x7f, v7
	s_cbranch_execz .LBB357_2314
; %bb.2311:                             ;   in Loop: Header=BB357_2093 Depth=1
	v_dual_lshrrev_b32 v4, 3, v7 :: v_dual_bitop2_b32 v68, 7, v6 bitop3:0x40
	s_mov_b32 s17, exec_lo
	s_delay_alu instid0(VALU_DEP_1)
	v_mov_b64_e32 v[22:23], v[68:69]
	v_cmpx_gt_u32_e32 8, v7
; %bb.2312:                             ;   in Loop: Header=BB357_2093 Depth=1
	v_clz_i32_u32_e32 v4, v68
	s_delay_alu instid0(VALU_DEP_1) | instskip(NEXT) | instid1(VALU_DEP_1)
	v_min_u32_e32 v4, 32, v4
	v_subrev_nc_u32_e32 v7, 28, v4
	v_sub_nc_u32_e32 v4, 29, v4
	s_delay_alu instid0(VALU_DEP_2) | instskip(NEXT) | instid1(VALU_DEP_1)
	v_lshlrev_b64_e32 v[8:9], v7, v[68:69]
	v_and_b32_e32 v22, 7, v8
; %bb.2313:                             ;   in Loop: Header=BB357_2093 Depth=1
	s_or_b32 exec_lo, exec_lo, s17
	v_lshlrev_b32_e32 v6, 24, v6
	s_delay_alu instid0(VALU_DEP_2) | instskip(SKIP_1) | instid1(VALU_DEP_3)
	v_lshlrev_b32_e32 v7, 20, v22
	v_lshl_add_u32 v4, v4, 23, 0x3c000000
	v_and_b32_e32 v6, 0x80000000, v6
	s_delay_alu instid0(VALU_DEP_1)
	v_or3_b32 v4, v7, v6, v4
.LBB357_2314:                           ;   in Loop: Header=BB357_2093 Depth=1
	s_or_b32 exec_lo, exec_lo, s16
.LBB357_2315:                           ;   in Loop: Header=BB357_2093 Depth=1
	s_delay_alu instid0(SALU_CYCLE_1)
	s_or_b32 exec_lo, exec_lo, s15
.LBB357_2316:                           ;   in Loop: Header=BB357_2093 Depth=1
	s_delay_alu instid0(SALU_CYCLE_1) | instskip(NEXT) | instid1(SALU_CYCLE_1)
	s_or_b32 exec_lo, exec_lo, s14
	s_mov_b32 s14, exec_lo
	v_cmpx_lt_u32_e32 0xffffff, v16
	s_cbranch_execz .LBB357_2324
; %bb.2317:                             ;   in Loop: Header=BB357_2093 Depth=1
	v_lshrrev_b32_e32 v6, 24, v16
	v_bfrev_b32_e32 v5, 1
	s_mov_b32 s15, exec_lo
	s_delay_alu instid0(VALU_DEP_2)
	v_cmpx_ne_u32_e32 0x80, v6
	s_cbranch_execz .LBB357_2323
; %bb.2318:                             ;   in Loop: Header=BB357_2093 Depth=1
	v_bfe_u32 v7, v16, 24, 7
	v_mov_b32_e32 v5, 0x7f800001
	s_mov_b32 s16, exec_lo
	s_delay_alu instid0(VALU_DEP_2)
	v_cmpx_ne_u32_e32 0x7f, v7
	s_cbranch_execz .LBB357_2322
; %bb.2319:                             ;   in Loop: Header=BB357_2093 Depth=1
	v_dual_lshrrev_b32 v5, 3, v7 :: v_dual_bitop2_b32 v68, 7, v6 bitop3:0x40
	s_mov_b32 s17, exec_lo
	s_delay_alu instid0(VALU_DEP_1)
	v_mov_b64_e32 v[22:23], v[68:69]
	v_cmpx_gt_u32_e32 8, v7
; %bb.2320:                             ;   in Loop: Header=BB357_2093 Depth=1
	v_clz_i32_u32_e32 v5, v68
	s_delay_alu instid0(VALU_DEP_1) | instskip(NEXT) | instid1(VALU_DEP_1)
	v_min_u32_e32 v5, 32, v5
	v_subrev_nc_u32_e32 v7, 28, v5
	s_delay_alu instid0(VALU_DEP_1) | instskip(NEXT) | instid1(VALU_DEP_1)
	v_lshlrev_b64_e32 v[8:9], v7, v[68:69]
	v_dual_sub_nc_u32 v5, 29, v5 :: v_dual_bitop2_b32 v22, 7, v8 bitop3:0x40
; %bb.2321:                             ;   in Loop: Header=BB357_2093 Depth=1
	s_or_b32 exec_lo, exec_lo, s17
	v_lshlrev_b32_e32 v6, 24, v6
	s_delay_alu instid0(VALU_DEP_2) | instskip(NEXT) | instid1(VALU_DEP_3)
	v_lshlrev_b32_e32 v7, 20, v22
	v_lshl_add_u32 v5, v5, 23, 0x3c000000
	s_delay_alu instid0(VALU_DEP_3) | instskip(NEXT) | instid1(VALU_DEP_1)
	v_and_b32_e32 v6, 0x80000000, v6
	v_or3_b32 v5, v7, v6, v5
.LBB357_2322:                           ;   in Loop: Header=BB357_2093 Depth=1
	s_or_b32 exec_lo, exec_lo, s16
.LBB357_2323:                           ;   in Loop: Header=BB357_2093 Depth=1
	s_delay_alu instid0(SALU_CYCLE_1)
	s_or_b32 exec_lo, exec_lo, s15
.LBB357_2324:                           ;   in Loop: Header=BB357_2093 Depth=1
	s_delay_alu instid0(SALU_CYCLE_1) | instskip(SKIP_4) | instid1(VALU_DEP_3)
	s_or_b32 exec_lo, exec_lo, s14
	v_and_b32_e32 v8, 0xff, v17
	v_dual_mov_b32 v68, v17 :: v_dual_mov_b32 v7, 0
	v_mov_b32_e32 v6, 0
	s_mov_b32 s14, exec_lo
	v_cmpx_ne_u16_e32 0, v8
	s_cbranch_execz .LBB357_2332
; %bb.2325:                             ;   in Loop: Header=BB357_2093 Depth=1
	v_bfrev_b32_e32 v6, 1
	s_mov_b32 s15, exec_lo
	v_cmpx_ne_u16_e32 0x80, v8
	s_cbranch_execz .LBB357_2331
; %bb.2326:                             ;   in Loop: Header=BB357_2093 Depth=1
	v_and_b32_e32 v8, 0x7f, v17
	v_mov_b32_e32 v6, 0x7f800001
	s_mov_b32 s16, exec_lo
	s_delay_alu instid0(VALU_DEP_2)
	v_cmpx_ne_u32_e32 0x7f, v8
	s_cbranch_execz .LBB357_2330
; %bb.2327:                             ;   in Loop: Header=BB357_2093 Depth=1
	v_mov_b64_e32 v[22:23], v[68:69]
	v_lshrrev_b32_e32 v6, 3, v8
	s_mov_b32 s17, exec_lo
	v_cmpx_gt_u32_e32 8, v8
; %bb.2328:                             ;   in Loop: Header=BB357_2093 Depth=1
	v_and_b32_e32 v6, 7, v17
	s_delay_alu instid0(VALU_DEP_1) | instskip(NEXT) | instid1(VALU_DEP_1)
	v_clz_i32_u32_e32 v6, v6
	v_min_u32_e32 v6, 32, v6
	s_delay_alu instid0(VALU_DEP_1) | instskip(SKIP_1) | instid1(VALU_DEP_2)
	v_subrev_nc_u32_e32 v8, 28, v6
	v_sub_nc_u32_e32 v6, 29, v6
	v_lshlrev_b64_e32 v[22:23], v8, v[68:69]
; %bb.2329:                             ;   in Loop: Header=BB357_2093 Depth=1
	s_or_b32 exec_lo, exec_lo, s17
	s_delay_alu instid0(VALU_DEP_1) | instskip(NEXT) | instid1(VALU_DEP_3)
	v_dual_lshlrev_b32 v8, 20, v22 :: v_dual_lshlrev_b32 v9, 24, v68
	v_lshl_add_u32 v6, v6, 23, 0x3c000000
	s_delay_alu instid0(VALU_DEP_2) | instskip(NEXT) | instid1(VALU_DEP_3)
	v_and_b32_e32 v8, 0x700000, v8
	v_and_b32_e32 v9, 0x80000000, v9
	s_delay_alu instid0(VALU_DEP_1)
	v_or3_b32 v6, v8, v9, v6
.LBB357_2330:                           ;   in Loop: Header=BB357_2093 Depth=1
	s_or_b32 exec_lo, exec_lo, s16
.LBB357_2331:                           ;   in Loop: Header=BB357_2093 Depth=1
	s_delay_alu instid0(SALU_CYCLE_1)
	s_or_b32 exec_lo, exec_lo, s15
.LBB357_2332:                           ;   in Loop: Header=BB357_2093 Depth=1
	s_delay_alu instid0(SALU_CYCLE_1) | instskip(SKIP_2) | instid1(VALU_DEP_1)
	s_or_b32 exec_lo, exec_lo, s14
	v_lshrrev_b16 v8, 8, v68
	s_mov_b32 s14, exec_lo
	v_cmpx_ne_u16_e32 0, v8
	s_cbranch_execz .LBB357_2340
; %bb.2333:                             ;   in Loop: Header=BB357_2093 Depth=1
	v_bfrev_b32_e32 v7, 1
	s_mov_b32 s15, exec_lo
	v_cmpx_ne_u16_e32 0x80, v8
	s_cbranch_execz .LBB357_2339
; %bb.2334:                             ;   in Loop: Header=BB357_2093 Depth=1
	v_and_b32_e32 v9, 0xffff, v8
	v_mov_b32_e32 v7, 0x7f800001
	s_mov_b32 s16, exec_lo
	s_delay_alu instid0(VALU_DEP_2) | instskip(NEXT) | instid1(VALU_DEP_1)
	v_and_b32_e32 v8, 0x7f, v9
	v_cmpx_ne_u32_e32 0x7f, v8
	s_cbranch_execz .LBB357_2338
; %bb.2335:                             ;   in Loop: Header=BB357_2093 Depth=1
	v_dual_mov_b32 v23, v69 :: v_dual_bitop2_b32 v22, 7, v9 bitop3:0x40
	v_lshrrev_b32_e32 v7, 3, v8
	s_mov_b32 s17, exec_lo
	v_cmpx_gt_u32_e32 8, v8
; %bb.2336:                             ;   in Loop: Header=BB357_2093 Depth=1
	s_delay_alu instid0(VALU_DEP_3) | instskip(NEXT) | instid1(VALU_DEP_1)
	v_clz_i32_u32_e32 v7, v22
	v_min_u32_e32 v7, 32, v7
	s_delay_alu instid0(VALU_DEP_1) | instskip(NEXT) | instid1(VALU_DEP_1)
	v_subrev_nc_u32_e32 v8, 28, v7
	v_lshlrev_b64_e32 v[8:9], v8, v[22:23]
	s_delay_alu instid0(VALU_DEP_1)
	v_dual_sub_nc_u32 v7, 29, v7 :: v_dual_bitop2_b32 v22, 7, v8 bitop3:0x40
; %bb.2337:                             ;   in Loop: Header=BB357_2093 Depth=1
	s_or_b32 exec_lo, exec_lo, s17
	s_delay_alu instid0(VALU_DEP_1) | instskip(NEXT) | instid1(VALU_DEP_2)
	v_dual_lshlrev_b32 v8, 16, v68 :: v_dual_lshlrev_b32 v9, 20, v22
	v_lshl_add_u32 v7, v7, 23, 0x3c000000
	s_delay_alu instid0(VALU_DEP_2) | instskip(NEXT) | instid1(VALU_DEP_1)
	v_and_b32_e32 v8, 0x80000000, v8
	v_or3_b32 v7, v9, v8, v7
.LBB357_2338:                           ;   in Loop: Header=BB357_2093 Depth=1
	s_or_b32 exec_lo, exec_lo, s16
.LBB357_2339:                           ;   in Loop: Header=BB357_2093 Depth=1
	s_delay_alu instid0(SALU_CYCLE_1)
	s_or_b32 exec_lo, exec_lo, s15
.LBB357_2340:                           ;   in Loop: Header=BB357_2093 Depth=1
	s_delay_alu instid0(SALU_CYCLE_1) | instskip(SKIP_3) | instid1(VALU_DEP_2)
	s_or_b32 exec_lo, exec_lo, s14
	v_dual_lshrrev_b32 v10, 16, v17 :: v_dual_mov_b32 v8, 0
	v_mov_b32_e32 v9, 0
	s_mov_b32 s14, exec_lo
	v_and_b32_e32 v11, 0xff, v10
	s_delay_alu instid0(VALU_DEP_1)
	v_cmpx_ne_u16_e32 0, v11
	s_cbranch_execz .LBB357_2348
; %bb.2341:                             ;   in Loop: Header=BB357_2093 Depth=1
	v_bfrev_b32_e32 v9, 1
	s_mov_b32 s15, exec_lo
	v_cmpx_ne_u16_e32 0x80, v11
	s_cbranch_execz .LBB357_2347
; %bb.2342:                             ;   in Loop: Header=BB357_2093 Depth=1
	v_bfe_u32 v11, v17, 16, 7
	v_mov_b32_e32 v9, 0x7f800001
	s_mov_b32 s16, exec_lo
	s_delay_alu instid0(VALU_DEP_2)
	v_cmpx_ne_u32_e32 0x7f, v11
	s_cbranch_execz .LBB357_2346
; %bb.2343:                             ;   in Loop: Header=BB357_2093 Depth=1
	v_dual_lshrrev_b32 v9, 3, v11 :: v_dual_bitop2_b32 v68, 7, v10 bitop3:0x40
	s_mov_b32 s17, exec_lo
	s_delay_alu instid0(VALU_DEP_1)
	v_mov_b64_e32 v[22:23], v[68:69]
	v_cmpx_gt_u32_e32 8, v11
; %bb.2344:                             ;   in Loop: Header=BB357_2093 Depth=1
	v_clz_i32_u32_e32 v9, v68
	s_delay_alu instid0(VALU_DEP_1) | instskip(NEXT) | instid1(VALU_DEP_1)
	v_min_u32_e32 v9, 32, v9
	v_subrev_nc_u32_e32 v11, 28, v9
	s_delay_alu instid0(VALU_DEP_1) | instskip(NEXT) | instid1(VALU_DEP_1)
	v_lshlrev_b64_e32 v[12:13], v11, v[68:69]
	v_dual_sub_nc_u32 v9, 29, v9 :: v_dual_bitop2_b32 v22, 7, v12 bitop3:0x40
; %bb.2345:                             ;   in Loop: Header=BB357_2093 Depth=1
	s_or_b32 exec_lo, exec_lo, s17
	v_lshlrev_b32_e32 v10, 24, v10
	s_delay_alu instid0(VALU_DEP_2) | instskip(NEXT) | instid1(VALU_DEP_3)
	v_lshlrev_b32_e32 v11, 20, v22
	v_lshl_add_u32 v9, v9, 23, 0x3c000000
	s_delay_alu instid0(VALU_DEP_3) | instskip(NEXT) | instid1(VALU_DEP_1)
	v_and_b32_e32 v10, 0x80000000, v10
	v_or3_b32 v9, v11, v10, v9
.LBB357_2346:                           ;   in Loop: Header=BB357_2093 Depth=1
	s_or_b32 exec_lo, exec_lo, s16
.LBB357_2347:                           ;   in Loop: Header=BB357_2093 Depth=1
	s_delay_alu instid0(SALU_CYCLE_1)
	s_or_b32 exec_lo, exec_lo, s15
.LBB357_2348:                           ;   in Loop: Header=BB357_2093 Depth=1
	s_delay_alu instid0(SALU_CYCLE_1) | instskip(NEXT) | instid1(SALU_CYCLE_1)
	s_or_b32 exec_lo, exec_lo, s14
	s_mov_b32 s14, exec_lo
	v_cmpx_lt_u64_e64 s[2:3], v[16:17]
	s_cbranch_execz .LBB357_2356
; %bb.2349:                             ;   in Loop: Header=BB357_2093 Depth=1
	v_lshrrev_b32_e32 v10, 24, v17
	v_bfrev_b32_e32 v8, 1
	s_mov_b32 s15, exec_lo
	s_delay_alu instid0(VALU_DEP_2)
	v_cmpx_ne_u32_e32 0x80, v10
	s_cbranch_execz .LBB357_2355
; %bb.2350:                             ;   in Loop: Header=BB357_2093 Depth=1
	v_bfe_u32 v11, v17, 24, 7
	v_mov_b32_e32 v8, 0x7f800001
	s_mov_b32 s16, exec_lo
	s_delay_alu instid0(VALU_DEP_2)
	v_cmpx_ne_u32_e32 0x7f, v11
	s_cbranch_execz .LBB357_2354
; %bb.2351:                             ;   in Loop: Header=BB357_2093 Depth=1
	v_dual_lshrrev_b32 v8, 3, v11 :: v_dual_bitop2_b32 v68, 7, v10 bitop3:0x40
	s_mov_b32 s17, exec_lo
	s_delay_alu instid0(VALU_DEP_1)
	v_mov_b64_e32 v[16:17], v[68:69]
	v_cmpx_gt_u32_e32 8, v11
; %bb.2352:                             ;   in Loop: Header=BB357_2093 Depth=1
	v_clz_i32_u32_e32 v8, v68
	s_delay_alu instid0(VALU_DEP_1) | instskip(NEXT) | instid1(VALU_DEP_1)
	v_min_u32_e32 v8, 32, v8
	v_subrev_nc_u32_e32 v11, 28, v8
	v_sub_nc_u32_e32 v8, 29, v8
	s_delay_alu instid0(VALU_DEP_2) | instskip(NEXT) | instid1(VALU_DEP_1)
	v_lshlrev_b64_e32 v[12:13], v11, v[68:69]
	v_and_b32_e32 v16, 7, v12
; %bb.2353:                             ;   in Loop: Header=BB357_2093 Depth=1
	s_or_b32 exec_lo, exec_lo, s17
	s_delay_alu instid0(VALU_DEP_1) | instskip(SKIP_1) | instid1(VALU_DEP_2)
	v_dual_lshlrev_b32 v10, 24, v10 :: v_dual_lshlrev_b32 v11, 20, v16
	v_lshl_add_u32 v8, v8, 23, 0x3c000000
	v_and_b32_e32 v10, 0x80000000, v10
	s_delay_alu instid0(VALU_DEP_1)
	v_or3_b32 v8, v11, v10, v8
.LBB357_2354:                           ;   in Loop: Header=BB357_2093 Depth=1
	s_or_b32 exec_lo, exec_lo, s16
.LBB357_2355:                           ;   in Loop: Header=BB357_2093 Depth=1
	s_delay_alu instid0(SALU_CYCLE_1)
	s_or_b32 exec_lo, exec_lo, s15
.LBB357_2356:                           ;   in Loop: Header=BB357_2093 Depth=1
	s_delay_alu instid0(SALU_CYCLE_1)
	s_or_b32 exec_lo, exec_lo, s14
	v_fma_mixlo_bf16 v2, v75, v2, 0
	v_fma_mixlo_bf16 v7, v75, v7, 0
	;; [unrolled: 1-line block ×5, first 2 shown]
	scratch_store_b32 off, v2, s32 offset:440 ; 4-byte Folded Spill
	s_wait_xcnt 0x0
	v_fma_mixlo_bf16 v2, v75, v9, 0
	s_clause 0x1
	scratch_store_b32 off, v7, s32 offset:384
	scratch_store_b32 off, v6, s32 offset:392
	v_fma_mixlo_bf16 v3, v75, v3, 0
	s_clause 0x1
	scratch_store_b32 off, v5, s32 offset:416
	scratch_store_b32 off, v2, s32 offset:400
	s_wait_xcnt 0x0
	v_fma_mixlo_bf16 v2, v75, v8, 0
	s_clause 0x2
	scratch_store_b32 off, v4, s32 offset:424
	scratch_store_b32 off, v3, s32 offset:432
	;; [unrolled: 1-line block ×3, first 2 shown]
	s_wait_xcnt 0x0
	s_and_saveexec_b32 s14, vcc_lo
	s_cbranch_execz .LBB357_2358
; %bb.2357:                             ;   in Loop: Header=BB357_2093 Depth=1
	scratch_load_b32 v2, off, s32 offset:440 ; 4-byte Folded Reload
	v_cmp_lt_i32_e64 s0, v74, v42
	s_wait_loadcnt 0x0
	s_delay_alu instid0(VALU_DEP_1)
	v_cndmask_b32_e64 v2, 0, v2, s0
	v_cmp_lt_i32_e64 s0, v106, v42
	s_clause 0x1
	scratch_store_b32 off, v2, s32 offset:440
	scratch_load_b32 v2, off, s32 offset:432
	s_wait_loadcnt 0x0
	v_cndmask_b32_e64 v2, 0, v2, s0
	v_cmp_lt_i32_e64 s0, v105, v42
	s_clause 0x1
	scratch_store_b32 off, v2, s32 offset:432
	scratch_load_b32 v2, off, s32 offset:424
	s_wait_loadcnt 0x0
	;; [unrolled: 6-line block ×7, first 2 shown]
	v_cndmask_b32_e64 v2, 0, v2, s0
	scratch_store_b32 off, v2, s32 offset:408 ; 4-byte Folded Spill
.LBB357_2358:                           ;   in Loop: Header=BB357_2093 Depth=1
	s_wait_xcnt 0x0
	s_or_b32 exec_lo, exec_lo, s14
	flat_load_b64 v[16:17], v[18:19] offset:1024
	v_dual_mov_b32 v3, 0 :: v_dual_mov_b32 v2, 0
	s_mov_b32 s14, exec_lo
	s_wait_loadcnt_dscnt 0x0
	v_and_b32_e32 v4, 0xff, v16
	s_wait_xcnt 0x0
	s_delay_alu instid0(VALU_DEP_1)
	v_cmpx_ne_u16_e32 0, v4
	s_cbranch_execz .LBB357_2366
; %bb.2359:                             ;   in Loop: Header=BB357_2093 Depth=1
	v_bfrev_b32_e32 v2, 1
	s_mov_b32 s15, exec_lo
	v_cmpx_ne_u16_e32 0x80, v4
	s_cbranch_execz .LBB357_2365
; %bb.2360:                             ;   in Loop: Header=BB357_2093 Depth=1
	v_and_b32_e32 v4, 0x7f, v16
	v_mov_b32_e32 v2, 0x7f800001
	s_mov_b32 s16, exec_lo
	s_delay_alu instid0(VALU_DEP_2)
	v_cmpx_ne_u32_e32 0x7f, v4
	s_cbranch_execz .LBB357_2364
; %bb.2361:                             ;   in Loop: Header=BB357_2093 Depth=1
	v_mov_b64_e32 v[22:23], v[16:17]
	v_lshrrev_b32_e32 v2, 3, v4
	s_mov_b32 s17, exec_lo
	v_cmpx_gt_u32_e32 8, v4
; %bb.2362:                             ;   in Loop: Header=BB357_2093 Depth=1
	v_and_b32_e32 v2, 7, v16
	s_delay_alu instid0(VALU_DEP_1) | instskip(NEXT) | instid1(VALU_DEP_1)
	v_clz_i32_u32_e32 v2, v2
	v_min_u32_e32 v2, 32, v2
	s_delay_alu instid0(VALU_DEP_1) | instskip(SKIP_1) | instid1(VALU_DEP_2)
	v_subrev_nc_u32_e32 v4, 28, v2
	v_sub_nc_u32_e32 v2, 29, v2
	v_lshlrev_b64_e32 v[22:23], v4, v[16:17]
; %bb.2363:                             ;   in Loop: Header=BB357_2093 Depth=1
	s_or_b32 exec_lo, exec_lo, s17
	s_delay_alu instid0(VALU_DEP_1) | instskip(NEXT) | instid1(VALU_DEP_3)
	v_dual_lshlrev_b32 v4, 20, v22 :: v_dual_lshlrev_b32 v5, 24, v16
	v_lshl_add_u32 v2, v2, 23, 0x3c000000
	s_delay_alu instid0(VALU_DEP_2) | instskip(NEXT) | instid1(VALU_DEP_3)
	v_and_b32_e32 v4, 0x700000, v4
	v_and_b32_e32 v5, 0x80000000, v5
	s_delay_alu instid0(VALU_DEP_1)
	v_or3_b32 v2, v4, v5, v2
.LBB357_2364:                           ;   in Loop: Header=BB357_2093 Depth=1
	s_or_b32 exec_lo, exec_lo, s16
.LBB357_2365:                           ;   in Loop: Header=BB357_2093 Depth=1
	s_delay_alu instid0(SALU_CYCLE_1)
	s_or_b32 exec_lo, exec_lo, s15
.LBB357_2366:                           ;   in Loop: Header=BB357_2093 Depth=1
	s_delay_alu instid0(SALU_CYCLE_1) | instskip(SKIP_2) | instid1(VALU_DEP_1)
	s_or_b32 exec_lo, exec_lo, s14
	v_lshrrev_b16 v4, 8, v16
	s_mov_b32 s14, exec_lo
	v_cmpx_ne_u16_e32 0, v4
	s_cbranch_execz .LBB357_2374
; %bb.2367:                             ;   in Loop: Header=BB357_2093 Depth=1
	v_bfrev_b32_e32 v3, 1
	s_mov_b32 s15, exec_lo
	v_cmpx_ne_u16_e32 0x80, v4
	s_cbranch_execz .LBB357_2373
; %bb.2368:                             ;   in Loop: Header=BB357_2093 Depth=1
	v_and_b32_e32 v5, 0xffff, v4
	v_mov_b32_e32 v3, 0x7f800001
	s_mov_b32 s16, exec_lo
	s_delay_alu instid0(VALU_DEP_2) | instskip(NEXT) | instid1(VALU_DEP_1)
	v_and_b32_e32 v4, 0x7f, v5
	v_cmpx_ne_u32_e32 0x7f, v4
	s_cbranch_execz .LBB357_2372
; %bb.2369:                             ;   in Loop: Header=BB357_2093 Depth=1
	v_dual_lshrrev_b32 v3, 3, v4 :: v_dual_bitop2_b32 v68, 7, v5 bitop3:0x40
	s_mov_b32 s17, exec_lo
	s_delay_alu instid0(VALU_DEP_1)
	v_mov_b64_e32 v[22:23], v[68:69]
	v_cmpx_gt_u32_e32 8, v4
; %bb.2370:                             ;   in Loop: Header=BB357_2093 Depth=1
	v_clz_i32_u32_e32 v3, v68
	s_delay_alu instid0(VALU_DEP_1) | instskip(NEXT) | instid1(VALU_DEP_1)
	v_min_u32_e32 v3, 32, v3
	v_subrev_nc_u32_e32 v4, 28, v3
	s_delay_alu instid0(VALU_DEP_1) | instskip(NEXT) | instid1(VALU_DEP_1)
	v_lshlrev_b64_e32 v[4:5], v4, v[68:69]
	v_dual_sub_nc_u32 v3, 29, v3 :: v_dual_bitop2_b32 v22, 7, v4 bitop3:0x40
; %bb.2371:                             ;   in Loop: Header=BB357_2093 Depth=1
	s_or_b32 exec_lo, exec_lo, s17
	s_delay_alu instid0(VALU_DEP_1) | instskip(NEXT) | instid1(VALU_DEP_2)
	v_dual_lshlrev_b32 v4, 16, v16 :: v_dual_lshlrev_b32 v5, 20, v22
	v_lshl_add_u32 v3, v3, 23, 0x3c000000
	s_delay_alu instid0(VALU_DEP_2) | instskip(NEXT) | instid1(VALU_DEP_1)
	v_and_b32_e32 v4, 0x80000000, v4
	v_or3_b32 v3, v5, v4, v3
.LBB357_2372:                           ;   in Loop: Header=BB357_2093 Depth=1
	s_or_b32 exec_lo, exec_lo, s16
.LBB357_2373:                           ;   in Loop: Header=BB357_2093 Depth=1
	s_delay_alu instid0(SALU_CYCLE_1)
	s_or_b32 exec_lo, exec_lo, s15
.LBB357_2374:                           ;   in Loop: Header=BB357_2093 Depth=1
	s_delay_alu instid0(SALU_CYCLE_1) | instskip(SKIP_3) | instid1(VALU_DEP_2)
	s_or_b32 exec_lo, exec_lo, s14
	v_dual_mov_b32 v5, 0 :: v_dual_lshrrev_b32 v6, 16, v16
	v_mov_b32_e32 v4, 0
	s_mov_b32 s14, exec_lo
	v_and_b32_e32 v7, 0xff, v6
	s_delay_alu instid0(VALU_DEP_1)
	v_cmpx_ne_u16_e32 0, v7
	s_cbranch_execz .LBB357_2382
; %bb.2375:                             ;   in Loop: Header=BB357_2093 Depth=1
	v_bfrev_b32_e32 v4, 1
	s_mov_b32 s15, exec_lo
	v_cmpx_ne_u16_e32 0x80, v7
	s_cbranch_execz .LBB357_2381
; %bb.2376:                             ;   in Loop: Header=BB357_2093 Depth=1
	v_bfe_u32 v7, v16, 16, 7
	v_mov_b32_e32 v4, 0x7f800001
	s_mov_b32 s16, exec_lo
	s_delay_alu instid0(VALU_DEP_2)
	v_cmpx_ne_u32_e32 0x7f, v7
	s_cbranch_execz .LBB357_2380
; %bb.2377:                             ;   in Loop: Header=BB357_2093 Depth=1
	v_dual_lshrrev_b32 v4, 3, v7 :: v_dual_bitop2_b32 v68, 7, v6 bitop3:0x40
	s_mov_b32 s17, exec_lo
	s_delay_alu instid0(VALU_DEP_1)
	v_mov_b64_e32 v[22:23], v[68:69]
	v_cmpx_gt_u32_e32 8, v7
; %bb.2378:                             ;   in Loop: Header=BB357_2093 Depth=1
	v_clz_i32_u32_e32 v4, v68
	s_delay_alu instid0(VALU_DEP_1) | instskip(NEXT) | instid1(VALU_DEP_1)
	v_min_u32_e32 v4, 32, v4
	v_subrev_nc_u32_e32 v7, 28, v4
	v_sub_nc_u32_e32 v4, 29, v4
	s_delay_alu instid0(VALU_DEP_2) | instskip(NEXT) | instid1(VALU_DEP_1)
	v_lshlrev_b64_e32 v[8:9], v7, v[68:69]
	v_and_b32_e32 v22, 7, v8
; %bb.2379:                             ;   in Loop: Header=BB357_2093 Depth=1
	s_or_b32 exec_lo, exec_lo, s17
	v_lshlrev_b32_e32 v6, 24, v6
	s_delay_alu instid0(VALU_DEP_2) | instskip(SKIP_1) | instid1(VALU_DEP_3)
	v_lshlrev_b32_e32 v7, 20, v22
	v_lshl_add_u32 v4, v4, 23, 0x3c000000
	v_and_b32_e32 v6, 0x80000000, v6
	s_delay_alu instid0(VALU_DEP_1)
	v_or3_b32 v4, v7, v6, v4
.LBB357_2380:                           ;   in Loop: Header=BB357_2093 Depth=1
	s_or_b32 exec_lo, exec_lo, s16
.LBB357_2381:                           ;   in Loop: Header=BB357_2093 Depth=1
	s_delay_alu instid0(SALU_CYCLE_1)
	s_or_b32 exec_lo, exec_lo, s15
.LBB357_2382:                           ;   in Loop: Header=BB357_2093 Depth=1
	s_delay_alu instid0(SALU_CYCLE_1) | instskip(NEXT) | instid1(SALU_CYCLE_1)
	s_or_b32 exec_lo, exec_lo, s14
	s_mov_b32 s14, exec_lo
	v_cmpx_lt_u32_e32 0xffffff, v16
	s_cbranch_execz .LBB357_2390
; %bb.2383:                             ;   in Loop: Header=BB357_2093 Depth=1
	v_lshrrev_b32_e32 v6, 24, v16
	v_bfrev_b32_e32 v5, 1
	s_mov_b32 s15, exec_lo
	s_delay_alu instid0(VALU_DEP_2)
	v_cmpx_ne_u32_e32 0x80, v6
	s_cbranch_execz .LBB357_2389
; %bb.2384:                             ;   in Loop: Header=BB357_2093 Depth=1
	v_bfe_u32 v7, v16, 24, 7
	v_mov_b32_e32 v5, 0x7f800001
	s_mov_b32 s16, exec_lo
	s_delay_alu instid0(VALU_DEP_2)
	v_cmpx_ne_u32_e32 0x7f, v7
	s_cbranch_execz .LBB357_2388
; %bb.2385:                             ;   in Loop: Header=BB357_2093 Depth=1
	v_dual_lshrrev_b32 v5, 3, v7 :: v_dual_bitop2_b32 v68, 7, v6 bitop3:0x40
	s_mov_b32 s17, exec_lo
	s_delay_alu instid0(VALU_DEP_1)
	v_mov_b64_e32 v[22:23], v[68:69]
	v_cmpx_gt_u32_e32 8, v7
; %bb.2386:                             ;   in Loop: Header=BB357_2093 Depth=1
	v_clz_i32_u32_e32 v5, v68
	s_delay_alu instid0(VALU_DEP_1) | instskip(NEXT) | instid1(VALU_DEP_1)
	v_min_u32_e32 v5, 32, v5
	v_subrev_nc_u32_e32 v7, 28, v5
	s_delay_alu instid0(VALU_DEP_1) | instskip(NEXT) | instid1(VALU_DEP_1)
	v_lshlrev_b64_e32 v[8:9], v7, v[68:69]
	v_dual_sub_nc_u32 v5, 29, v5 :: v_dual_bitop2_b32 v22, 7, v8 bitop3:0x40
; %bb.2387:                             ;   in Loop: Header=BB357_2093 Depth=1
	s_or_b32 exec_lo, exec_lo, s17
	v_lshlrev_b32_e32 v6, 24, v6
	s_delay_alu instid0(VALU_DEP_2) | instskip(NEXT) | instid1(VALU_DEP_3)
	v_lshlrev_b32_e32 v7, 20, v22
	v_lshl_add_u32 v5, v5, 23, 0x3c000000
	s_delay_alu instid0(VALU_DEP_3) | instskip(NEXT) | instid1(VALU_DEP_1)
	v_and_b32_e32 v6, 0x80000000, v6
	v_or3_b32 v5, v7, v6, v5
.LBB357_2388:                           ;   in Loop: Header=BB357_2093 Depth=1
	s_or_b32 exec_lo, exec_lo, s16
.LBB357_2389:                           ;   in Loop: Header=BB357_2093 Depth=1
	s_delay_alu instid0(SALU_CYCLE_1)
	s_or_b32 exec_lo, exec_lo, s15
.LBB357_2390:                           ;   in Loop: Header=BB357_2093 Depth=1
	s_delay_alu instid0(SALU_CYCLE_1) | instskip(SKIP_4) | instid1(VALU_DEP_3)
	s_or_b32 exec_lo, exec_lo, s14
	v_and_b32_e32 v8, 0xff, v17
	v_dual_mov_b32 v68, v17 :: v_dual_mov_b32 v7, 0
	v_mov_b32_e32 v6, 0
	s_mov_b32 s14, exec_lo
	v_cmpx_ne_u16_e32 0, v8
	s_cbranch_execz .LBB357_2398
; %bb.2391:                             ;   in Loop: Header=BB357_2093 Depth=1
	v_bfrev_b32_e32 v6, 1
	s_mov_b32 s15, exec_lo
	v_cmpx_ne_u16_e32 0x80, v8
	s_cbranch_execz .LBB357_2397
; %bb.2392:                             ;   in Loop: Header=BB357_2093 Depth=1
	v_and_b32_e32 v8, 0x7f, v17
	v_mov_b32_e32 v6, 0x7f800001
	s_mov_b32 s16, exec_lo
	s_delay_alu instid0(VALU_DEP_2)
	v_cmpx_ne_u32_e32 0x7f, v8
	s_cbranch_execz .LBB357_2396
; %bb.2393:                             ;   in Loop: Header=BB357_2093 Depth=1
	v_mov_b64_e32 v[22:23], v[68:69]
	v_lshrrev_b32_e32 v6, 3, v8
	s_mov_b32 s17, exec_lo
	v_cmpx_gt_u32_e32 8, v8
; %bb.2394:                             ;   in Loop: Header=BB357_2093 Depth=1
	v_and_b32_e32 v6, 7, v17
	s_delay_alu instid0(VALU_DEP_1) | instskip(NEXT) | instid1(VALU_DEP_1)
	v_clz_i32_u32_e32 v6, v6
	v_min_u32_e32 v6, 32, v6
	s_delay_alu instid0(VALU_DEP_1) | instskip(SKIP_1) | instid1(VALU_DEP_2)
	v_subrev_nc_u32_e32 v8, 28, v6
	v_sub_nc_u32_e32 v6, 29, v6
	v_lshlrev_b64_e32 v[22:23], v8, v[68:69]
; %bb.2395:                             ;   in Loop: Header=BB357_2093 Depth=1
	s_or_b32 exec_lo, exec_lo, s17
	s_delay_alu instid0(VALU_DEP_1) | instskip(NEXT) | instid1(VALU_DEP_3)
	v_dual_lshlrev_b32 v8, 20, v22 :: v_dual_lshlrev_b32 v9, 24, v68
	v_lshl_add_u32 v6, v6, 23, 0x3c000000
	s_delay_alu instid0(VALU_DEP_2) | instskip(NEXT) | instid1(VALU_DEP_3)
	v_and_b32_e32 v8, 0x700000, v8
	v_and_b32_e32 v9, 0x80000000, v9
	s_delay_alu instid0(VALU_DEP_1)
	v_or3_b32 v6, v8, v9, v6
.LBB357_2396:                           ;   in Loop: Header=BB357_2093 Depth=1
	s_or_b32 exec_lo, exec_lo, s16
.LBB357_2397:                           ;   in Loop: Header=BB357_2093 Depth=1
	s_delay_alu instid0(SALU_CYCLE_1)
	s_or_b32 exec_lo, exec_lo, s15
.LBB357_2398:                           ;   in Loop: Header=BB357_2093 Depth=1
	s_delay_alu instid0(SALU_CYCLE_1) | instskip(SKIP_2) | instid1(VALU_DEP_1)
	s_or_b32 exec_lo, exec_lo, s14
	v_lshrrev_b16 v8, 8, v68
	s_mov_b32 s14, exec_lo
	v_cmpx_ne_u16_e32 0, v8
	s_cbranch_execz .LBB357_2406
; %bb.2399:                             ;   in Loop: Header=BB357_2093 Depth=1
	v_bfrev_b32_e32 v7, 1
	s_mov_b32 s15, exec_lo
	v_cmpx_ne_u16_e32 0x80, v8
	s_cbranch_execz .LBB357_2405
; %bb.2400:                             ;   in Loop: Header=BB357_2093 Depth=1
	v_and_b32_e32 v9, 0xffff, v8
	v_mov_b32_e32 v7, 0x7f800001
	s_mov_b32 s16, exec_lo
	s_delay_alu instid0(VALU_DEP_2) | instskip(NEXT) | instid1(VALU_DEP_1)
	v_and_b32_e32 v8, 0x7f, v9
	v_cmpx_ne_u32_e32 0x7f, v8
	s_cbranch_execz .LBB357_2404
; %bb.2401:                             ;   in Loop: Header=BB357_2093 Depth=1
	v_dual_mov_b32 v23, v69 :: v_dual_bitop2_b32 v22, 7, v9 bitop3:0x40
	v_lshrrev_b32_e32 v7, 3, v8
	s_mov_b32 s17, exec_lo
	v_cmpx_gt_u32_e32 8, v8
; %bb.2402:                             ;   in Loop: Header=BB357_2093 Depth=1
	s_delay_alu instid0(VALU_DEP_3) | instskip(NEXT) | instid1(VALU_DEP_1)
	v_clz_i32_u32_e32 v7, v22
	v_min_u32_e32 v7, 32, v7
	s_delay_alu instid0(VALU_DEP_1) | instskip(NEXT) | instid1(VALU_DEP_1)
	v_subrev_nc_u32_e32 v8, 28, v7
	v_lshlrev_b64_e32 v[8:9], v8, v[22:23]
	s_delay_alu instid0(VALU_DEP_1)
	v_dual_sub_nc_u32 v7, 29, v7 :: v_dual_bitop2_b32 v22, 7, v8 bitop3:0x40
; %bb.2403:                             ;   in Loop: Header=BB357_2093 Depth=1
	s_or_b32 exec_lo, exec_lo, s17
	s_delay_alu instid0(VALU_DEP_1) | instskip(NEXT) | instid1(VALU_DEP_2)
	v_dual_lshlrev_b32 v8, 16, v68 :: v_dual_lshlrev_b32 v9, 20, v22
	v_lshl_add_u32 v7, v7, 23, 0x3c000000
	s_delay_alu instid0(VALU_DEP_2) | instskip(NEXT) | instid1(VALU_DEP_1)
	v_and_b32_e32 v8, 0x80000000, v8
	v_or3_b32 v7, v9, v8, v7
.LBB357_2404:                           ;   in Loop: Header=BB357_2093 Depth=1
	s_or_b32 exec_lo, exec_lo, s16
.LBB357_2405:                           ;   in Loop: Header=BB357_2093 Depth=1
	s_delay_alu instid0(SALU_CYCLE_1)
	s_or_b32 exec_lo, exec_lo, s15
.LBB357_2406:                           ;   in Loop: Header=BB357_2093 Depth=1
	s_delay_alu instid0(SALU_CYCLE_1) | instskip(SKIP_3) | instid1(VALU_DEP_2)
	s_or_b32 exec_lo, exec_lo, s14
	v_dual_lshrrev_b32 v10, 16, v17 :: v_dual_mov_b32 v8, 0
	v_mov_b32_e32 v9, 0
	s_mov_b32 s14, exec_lo
	v_and_b32_e32 v11, 0xff, v10
	s_delay_alu instid0(VALU_DEP_1)
	v_cmpx_ne_u16_e32 0, v11
	s_cbranch_execz .LBB357_2414
; %bb.2407:                             ;   in Loop: Header=BB357_2093 Depth=1
	v_bfrev_b32_e32 v9, 1
	s_mov_b32 s15, exec_lo
	v_cmpx_ne_u16_e32 0x80, v11
	s_cbranch_execz .LBB357_2413
; %bb.2408:                             ;   in Loop: Header=BB357_2093 Depth=1
	v_bfe_u32 v11, v17, 16, 7
	v_mov_b32_e32 v9, 0x7f800001
	s_mov_b32 s16, exec_lo
	s_delay_alu instid0(VALU_DEP_2)
	v_cmpx_ne_u32_e32 0x7f, v11
	s_cbranch_execz .LBB357_2412
; %bb.2409:                             ;   in Loop: Header=BB357_2093 Depth=1
	v_dual_lshrrev_b32 v9, 3, v11 :: v_dual_bitop2_b32 v68, 7, v10 bitop3:0x40
	s_mov_b32 s17, exec_lo
	s_delay_alu instid0(VALU_DEP_1)
	v_mov_b64_e32 v[22:23], v[68:69]
	v_cmpx_gt_u32_e32 8, v11
; %bb.2410:                             ;   in Loop: Header=BB357_2093 Depth=1
	v_clz_i32_u32_e32 v9, v68
	s_delay_alu instid0(VALU_DEP_1) | instskip(NEXT) | instid1(VALU_DEP_1)
	v_min_u32_e32 v9, 32, v9
	v_subrev_nc_u32_e32 v11, 28, v9
	s_delay_alu instid0(VALU_DEP_1) | instskip(NEXT) | instid1(VALU_DEP_1)
	v_lshlrev_b64_e32 v[12:13], v11, v[68:69]
	v_dual_sub_nc_u32 v9, 29, v9 :: v_dual_bitop2_b32 v22, 7, v12 bitop3:0x40
; %bb.2411:                             ;   in Loop: Header=BB357_2093 Depth=1
	s_or_b32 exec_lo, exec_lo, s17
	v_lshlrev_b32_e32 v10, 24, v10
	s_delay_alu instid0(VALU_DEP_2) | instskip(NEXT) | instid1(VALU_DEP_3)
	v_lshlrev_b32_e32 v11, 20, v22
	v_lshl_add_u32 v9, v9, 23, 0x3c000000
	s_delay_alu instid0(VALU_DEP_3) | instskip(NEXT) | instid1(VALU_DEP_1)
	v_and_b32_e32 v10, 0x80000000, v10
	v_or3_b32 v9, v11, v10, v9
.LBB357_2412:                           ;   in Loop: Header=BB357_2093 Depth=1
	s_or_b32 exec_lo, exec_lo, s16
.LBB357_2413:                           ;   in Loop: Header=BB357_2093 Depth=1
	s_delay_alu instid0(SALU_CYCLE_1)
	s_or_b32 exec_lo, exec_lo, s15
.LBB357_2414:                           ;   in Loop: Header=BB357_2093 Depth=1
	s_delay_alu instid0(SALU_CYCLE_1) | instskip(NEXT) | instid1(SALU_CYCLE_1)
	s_or_b32 exec_lo, exec_lo, s14
	s_mov_b32 s14, exec_lo
	v_cmpx_lt_u64_e64 s[2:3], v[16:17]
	s_cbranch_execz .LBB357_2422
; %bb.2415:                             ;   in Loop: Header=BB357_2093 Depth=1
	v_lshrrev_b32_e32 v10, 24, v17
	v_bfrev_b32_e32 v8, 1
	s_mov_b32 s15, exec_lo
	s_delay_alu instid0(VALU_DEP_2)
	v_cmpx_ne_u32_e32 0x80, v10
	s_cbranch_execz .LBB357_2421
; %bb.2416:                             ;   in Loop: Header=BB357_2093 Depth=1
	v_bfe_u32 v11, v17, 24, 7
	v_mov_b32_e32 v8, 0x7f800001
	s_mov_b32 s16, exec_lo
	s_delay_alu instid0(VALU_DEP_2)
	v_cmpx_ne_u32_e32 0x7f, v11
	s_cbranch_execz .LBB357_2420
; %bb.2417:                             ;   in Loop: Header=BB357_2093 Depth=1
	v_dual_lshrrev_b32 v8, 3, v11 :: v_dual_bitop2_b32 v68, 7, v10 bitop3:0x40
	s_mov_b32 s17, exec_lo
	s_delay_alu instid0(VALU_DEP_1)
	v_mov_b64_e32 v[16:17], v[68:69]
	v_cmpx_gt_u32_e32 8, v11
; %bb.2418:                             ;   in Loop: Header=BB357_2093 Depth=1
	v_clz_i32_u32_e32 v8, v68
	s_delay_alu instid0(VALU_DEP_1) | instskip(NEXT) | instid1(VALU_DEP_1)
	v_min_u32_e32 v8, 32, v8
	v_subrev_nc_u32_e32 v11, 28, v8
	v_sub_nc_u32_e32 v8, 29, v8
	s_delay_alu instid0(VALU_DEP_2) | instskip(NEXT) | instid1(VALU_DEP_1)
	v_lshlrev_b64_e32 v[12:13], v11, v[68:69]
	v_and_b32_e32 v16, 7, v12
; %bb.2419:                             ;   in Loop: Header=BB357_2093 Depth=1
	s_or_b32 exec_lo, exec_lo, s17
	s_delay_alu instid0(VALU_DEP_1) | instskip(SKIP_1) | instid1(VALU_DEP_2)
	v_dual_lshlrev_b32 v10, 24, v10 :: v_dual_lshlrev_b32 v11, 20, v16
	v_lshl_add_u32 v8, v8, 23, 0x3c000000
	v_and_b32_e32 v10, 0x80000000, v10
	s_delay_alu instid0(VALU_DEP_1)
	v_or3_b32 v8, v11, v10, v8
.LBB357_2420:                           ;   in Loop: Header=BB357_2093 Depth=1
	s_or_b32 exec_lo, exec_lo, s16
.LBB357_2421:                           ;   in Loop: Header=BB357_2093 Depth=1
	s_delay_alu instid0(SALU_CYCLE_1)
	s_or_b32 exec_lo, exec_lo, s15
.LBB357_2422:                           ;   in Loop: Header=BB357_2093 Depth=1
	s_delay_alu instid0(SALU_CYCLE_1)
	s_or_b32 exec_lo, exec_lo, s14
	v_fma_mixlo_bf16 v2, v75, v2, 0
	v_fma_mixlo_bf16 v7, v75, v7, 0
	;; [unrolled: 1-line block ×5, first 2 shown]
	scratch_store_b32 off, v2, s32 offset:504 ; 4-byte Folded Spill
	s_wait_xcnt 0x0
	v_fma_mixlo_bf16 v2, v75, v9, 0
	s_clause 0x1
	scratch_store_b32 off, v7, s32 offset:448
	scratch_store_b32 off, v6, s32 offset:456
	v_fma_mixlo_bf16 v3, v75, v3, 0
	s_clause 0x1
	scratch_store_b32 off, v5, s32 offset:480
	scratch_store_b32 off, v2, s32 offset:464
	s_wait_xcnt 0x0
	v_fma_mixlo_bf16 v2, v75, v8, 0
	s_clause 0x2
	scratch_store_b32 off, v4, s32 offset:488
	scratch_store_b32 off, v3, s32 offset:496
	;; [unrolled: 1-line block ×3, first 2 shown]
	s_wait_xcnt 0x0
	s_and_saveexec_b32 s14, vcc_lo
	s_cbranch_execz .LBB357_2424
; %bb.2423:                             ;   in Loop: Header=BB357_2093 Depth=1
	scratch_load_b32 v2, off, s32 offset:504 ; 4-byte Folded Reload
	v_cmp_lt_i32_e64 s0, v74, v42
	s_wait_loadcnt 0x0
	s_delay_alu instid0(VALU_DEP_1)
	v_cndmask_b32_e64 v2, 0, v2, s0
	v_cmp_lt_i32_e64 s0, v106, v42
	s_clause 0x1
	scratch_store_b32 off, v2, s32 offset:504
	scratch_load_b32 v2, off, s32 offset:496
	s_wait_loadcnt 0x0
	v_cndmask_b32_e64 v2, 0, v2, s0
	v_cmp_lt_i32_e64 s0, v105, v42
	s_clause 0x1
	scratch_store_b32 off, v2, s32 offset:496
	scratch_load_b32 v2, off, s32 offset:488
	s_wait_loadcnt 0x0
	;; [unrolled: 6-line block ×7, first 2 shown]
	v_cndmask_b32_e64 v2, 0, v2, s0
	scratch_store_b32 off, v2, s32 offset:472 ; 4-byte Folded Spill
.LBB357_2424:                           ;   in Loop: Header=BB357_2093 Depth=1
	s_wait_xcnt 0x0
	s_or_b32 exec_lo, exec_lo, s14
	flat_load_b64 v[16:17], v[18:19] offset:1280
	v_dual_mov_b32 v3, 0 :: v_dual_mov_b32 v2, 0
	s_mov_b32 s14, exec_lo
	s_wait_loadcnt_dscnt 0x0
	v_and_b32_e32 v4, 0xff, v16
	s_wait_xcnt 0x0
	s_delay_alu instid0(VALU_DEP_1)
	v_cmpx_ne_u16_e32 0, v4
	s_cbranch_execz .LBB357_2432
; %bb.2425:                             ;   in Loop: Header=BB357_2093 Depth=1
	v_bfrev_b32_e32 v2, 1
	s_mov_b32 s15, exec_lo
	v_cmpx_ne_u16_e32 0x80, v4
	s_cbranch_execz .LBB357_2431
; %bb.2426:                             ;   in Loop: Header=BB357_2093 Depth=1
	v_and_b32_e32 v4, 0x7f, v16
	v_mov_b32_e32 v2, 0x7f800001
	s_mov_b32 s16, exec_lo
	s_delay_alu instid0(VALU_DEP_2)
	v_cmpx_ne_u32_e32 0x7f, v4
	s_cbranch_execz .LBB357_2430
; %bb.2427:                             ;   in Loop: Header=BB357_2093 Depth=1
	v_mov_b64_e32 v[22:23], v[16:17]
	v_lshrrev_b32_e32 v2, 3, v4
	s_mov_b32 s17, exec_lo
	v_cmpx_gt_u32_e32 8, v4
; %bb.2428:                             ;   in Loop: Header=BB357_2093 Depth=1
	v_and_b32_e32 v2, 7, v16
	s_delay_alu instid0(VALU_DEP_1) | instskip(NEXT) | instid1(VALU_DEP_1)
	v_clz_i32_u32_e32 v2, v2
	v_min_u32_e32 v2, 32, v2
	s_delay_alu instid0(VALU_DEP_1) | instskip(SKIP_1) | instid1(VALU_DEP_2)
	v_subrev_nc_u32_e32 v4, 28, v2
	v_sub_nc_u32_e32 v2, 29, v2
	v_lshlrev_b64_e32 v[22:23], v4, v[16:17]
; %bb.2429:                             ;   in Loop: Header=BB357_2093 Depth=1
	s_or_b32 exec_lo, exec_lo, s17
	s_delay_alu instid0(VALU_DEP_1) | instskip(NEXT) | instid1(VALU_DEP_3)
	v_dual_lshlrev_b32 v4, 20, v22 :: v_dual_lshlrev_b32 v5, 24, v16
	v_lshl_add_u32 v2, v2, 23, 0x3c000000
	s_delay_alu instid0(VALU_DEP_2) | instskip(NEXT) | instid1(VALU_DEP_3)
	v_and_b32_e32 v4, 0x700000, v4
	v_and_b32_e32 v5, 0x80000000, v5
	s_delay_alu instid0(VALU_DEP_1)
	v_or3_b32 v2, v4, v5, v2
.LBB357_2430:                           ;   in Loop: Header=BB357_2093 Depth=1
	s_or_b32 exec_lo, exec_lo, s16
.LBB357_2431:                           ;   in Loop: Header=BB357_2093 Depth=1
	s_delay_alu instid0(SALU_CYCLE_1)
	s_or_b32 exec_lo, exec_lo, s15
.LBB357_2432:                           ;   in Loop: Header=BB357_2093 Depth=1
	s_delay_alu instid0(SALU_CYCLE_1) | instskip(SKIP_2) | instid1(VALU_DEP_1)
	s_or_b32 exec_lo, exec_lo, s14
	v_lshrrev_b16 v4, 8, v16
	s_mov_b32 s14, exec_lo
	v_cmpx_ne_u16_e32 0, v4
	s_cbranch_execz .LBB357_2440
; %bb.2433:                             ;   in Loop: Header=BB357_2093 Depth=1
	v_bfrev_b32_e32 v3, 1
	s_mov_b32 s15, exec_lo
	v_cmpx_ne_u16_e32 0x80, v4
	s_cbranch_execz .LBB357_2439
; %bb.2434:                             ;   in Loop: Header=BB357_2093 Depth=1
	v_and_b32_e32 v5, 0xffff, v4
	v_mov_b32_e32 v3, 0x7f800001
	s_mov_b32 s16, exec_lo
	s_delay_alu instid0(VALU_DEP_2) | instskip(NEXT) | instid1(VALU_DEP_1)
	v_and_b32_e32 v4, 0x7f, v5
	v_cmpx_ne_u32_e32 0x7f, v4
	s_cbranch_execz .LBB357_2438
; %bb.2435:                             ;   in Loop: Header=BB357_2093 Depth=1
	v_dual_lshrrev_b32 v3, 3, v4 :: v_dual_bitop2_b32 v68, 7, v5 bitop3:0x40
	s_mov_b32 s17, exec_lo
	s_delay_alu instid0(VALU_DEP_1)
	v_mov_b64_e32 v[22:23], v[68:69]
	v_cmpx_gt_u32_e32 8, v4
; %bb.2436:                             ;   in Loop: Header=BB357_2093 Depth=1
	v_clz_i32_u32_e32 v3, v68
	s_delay_alu instid0(VALU_DEP_1) | instskip(NEXT) | instid1(VALU_DEP_1)
	v_min_u32_e32 v3, 32, v3
	v_subrev_nc_u32_e32 v4, 28, v3
	s_delay_alu instid0(VALU_DEP_1) | instskip(NEXT) | instid1(VALU_DEP_1)
	v_lshlrev_b64_e32 v[4:5], v4, v[68:69]
	v_dual_sub_nc_u32 v3, 29, v3 :: v_dual_bitop2_b32 v22, 7, v4 bitop3:0x40
; %bb.2437:                             ;   in Loop: Header=BB357_2093 Depth=1
	s_or_b32 exec_lo, exec_lo, s17
	s_delay_alu instid0(VALU_DEP_1) | instskip(NEXT) | instid1(VALU_DEP_2)
	v_dual_lshlrev_b32 v4, 16, v16 :: v_dual_lshlrev_b32 v5, 20, v22
	v_lshl_add_u32 v3, v3, 23, 0x3c000000
	s_delay_alu instid0(VALU_DEP_2) | instskip(NEXT) | instid1(VALU_DEP_1)
	v_and_b32_e32 v4, 0x80000000, v4
	v_or3_b32 v3, v5, v4, v3
.LBB357_2438:                           ;   in Loop: Header=BB357_2093 Depth=1
	s_or_b32 exec_lo, exec_lo, s16
.LBB357_2439:                           ;   in Loop: Header=BB357_2093 Depth=1
	s_delay_alu instid0(SALU_CYCLE_1)
	s_or_b32 exec_lo, exec_lo, s15
.LBB357_2440:                           ;   in Loop: Header=BB357_2093 Depth=1
	s_delay_alu instid0(SALU_CYCLE_1) | instskip(SKIP_3) | instid1(VALU_DEP_2)
	s_or_b32 exec_lo, exec_lo, s14
	v_dual_mov_b32 v5, 0 :: v_dual_lshrrev_b32 v6, 16, v16
	v_mov_b32_e32 v4, 0
	s_mov_b32 s14, exec_lo
	v_and_b32_e32 v7, 0xff, v6
	s_delay_alu instid0(VALU_DEP_1)
	v_cmpx_ne_u16_e32 0, v7
	s_cbranch_execz .LBB357_2448
; %bb.2441:                             ;   in Loop: Header=BB357_2093 Depth=1
	v_bfrev_b32_e32 v4, 1
	s_mov_b32 s15, exec_lo
	v_cmpx_ne_u16_e32 0x80, v7
	s_cbranch_execz .LBB357_2447
; %bb.2442:                             ;   in Loop: Header=BB357_2093 Depth=1
	v_bfe_u32 v7, v16, 16, 7
	v_mov_b32_e32 v4, 0x7f800001
	s_mov_b32 s16, exec_lo
	s_delay_alu instid0(VALU_DEP_2)
	v_cmpx_ne_u32_e32 0x7f, v7
	s_cbranch_execz .LBB357_2446
; %bb.2443:                             ;   in Loop: Header=BB357_2093 Depth=1
	v_dual_lshrrev_b32 v4, 3, v7 :: v_dual_bitop2_b32 v68, 7, v6 bitop3:0x40
	s_mov_b32 s17, exec_lo
	s_delay_alu instid0(VALU_DEP_1)
	v_mov_b64_e32 v[22:23], v[68:69]
	v_cmpx_gt_u32_e32 8, v7
; %bb.2444:                             ;   in Loop: Header=BB357_2093 Depth=1
	v_clz_i32_u32_e32 v4, v68
	s_delay_alu instid0(VALU_DEP_1) | instskip(NEXT) | instid1(VALU_DEP_1)
	v_min_u32_e32 v4, 32, v4
	v_subrev_nc_u32_e32 v7, 28, v4
	v_sub_nc_u32_e32 v4, 29, v4
	s_delay_alu instid0(VALU_DEP_2) | instskip(NEXT) | instid1(VALU_DEP_1)
	v_lshlrev_b64_e32 v[8:9], v7, v[68:69]
	v_and_b32_e32 v22, 7, v8
; %bb.2445:                             ;   in Loop: Header=BB357_2093 Depth=1
	s_or_b32 exec_lo, exec_lo, s17
	v_lshlrev_b32_e32 v6, 24, v6
	s_delay_alu instid0(VALU_DEP_2) | instskip(SKIP_1) | instid1(VALU_DEP_3)
	v_lshlrev_b32_e32 v7, 20, v22
	v_lshl_add_u32 v4, v4, 23, 0x3c000000
	v_and_b32_e32 v6, 0x80000000, v6
	s_delay_alu instid0(VALU_DEP_1)
	v_or3_b32 v4, v7, v6, v4
.LBB357_2446:                           ;   in Loop: Header=BB357_2093 Depth=1
	s_or_b32 exec_lo, exec_lo, s16
.LBB357_2447:                           ;   in Loop: Header=BB357_2093 Depth=1
	s_delay_alu instid0(SALU_CYCLE_1)
	s_or_b32 exec_lo, exec_lo, s15
.LBB357_2448:                           ;   in Loop: Header=BB357_2093 Depth=1
	s_delay_alu instid0(SALU_CYCLE_1) | instskip(NEXT) | instid1(SALU_CYCLE_1)
	s_or_b32 exec_lo, exec_lo, s14
	s_mov_b32 s14, exec_lo
	v_cmpx_lt_u32_e32 0xffffff, v16
	s_cbranch_execz .LBB357_2456
; %bb.2449:                             ;   in Loop: Header=BB357_2093 Depth=1
	v_lshrrev_b32_e32 v6, 24, v16
	v_bfrev_b32_e32 v5, 1
	s_mov_b32 s15, exec_lo
	s_delay_alu instid0(VALU_DEP_2)
	v_cmpx_ne_u32_e32 0x80, v6
	s_cbranch_execz .LBB357_2455
; %bb.2450:                             ;   in Loop: Header=BB357_2093 Depth=1
	v_bfe_u32 v7, v16, 24, 7
	v_mov_b32_e32 v5, 0x7f800001
	s_mov_b32 s16, exec_lo
	s_delay_alu instid0(VALU_DEP_2)
	v_cmpx_ne_u32_e32 0x7f, v7
	s_cbranch_execz .LBB357_2454
; %bb.2451:                             ;   in Loop: Header=BB357_2093 Depth=1
	v_dual_lshrrev_b32 v5, 3, v7 :: v_dual_bitop2_b32 v68, 7, v6 bitop3:0x40
	s_mov_b32 s17, exec_lo
	s_delay_alu instid0(VALU_DEP_1)
	v_mov_b64_e32 v[22:23], v[68:69]
	v_cmpx_gt_u32_e32 8, v7
; %bb.2452:                             ;   in Loop: Header=BB357_2093 Depth=1
	v_clz_i32_u32_e32 v5, v68
	s_delay_alu instid0(VALU_DEP_1) | instskip(NEXT) | instid1(VALU_DEP_1)
	v_min_u32_e32 v5, 32, v5
	v_subrev_nc_u32_e32 v7, 28, v5
	s_delay_alu instid0(VALU_DEP_1) | instskip(NEXT) | instid1(VALU_DEP_1)
	v_lshlrev_b64_e32 v[8:9], v7, v[68:69]
	v_dual_sub_nc_u32 v5, 29, v5 :: v_dual_bitop2_b32 v22, 7, v8 bitop3:0x40
; %bb.2453:                             ;   in Loop: Header=BB357_2093 Depth=1
	s_or_b32 exec_lo, exec_lo, s17
	v_lshlrev_b32_e32 v6, 24, v6
	s_delay_alu instid0(VALU_DEP_2) | instskip(NEXT) | instid1(VALU_DEP_3)
	v_lshlrev_b32_e32 v7, 20, v22
	v_lshl_add_u32 v5, v5, 23, 0x3c000000
	s_delay_alu instid0(VALU_DEP_3) | instskip(NEXT) | instid1(VALU_DEP_1)
	v_and_b32_e32 v6, 0x80000000, v6
	v_or3_b32 v5, v7, v6, v5
.LBB357_2454:                           ;   in Loop: Header=BB357_2093 Depth=1
	s_or_b32 exec_lo, exec_lo, s16
.LBB357_2455:                           ;   in Loop: Header=BB357_2093 Depth=1
	s_delay_alu instid0(SALU_CYCLE_1)
	s_or_b32 exec_lo, exec_lo, s15
.LBB357_2456:                           ;   in Loop: Header=BB357_2093 Depth=1
	s_delay_alu instid0(SALU_CYCLE_1) | instskip(SKIP_4) | instid1(VALU_DEP_3)
	s_or_b32 exec_lo, exec_lo, s14
	v_and_b32_e32 v8, 0xff, v17
	v_dual_mov_b32 v68, v17 :: v_dual_mov_b32 v7, 0
	v_mov_b32_e32 v6, 0
	s_mov_b32 s14, exec_lo
	v_cmpx_ne_u16_e32 0, v8
	s_cbranch_execz .LBB357_2464
; %bb.2457:                             ;   in Loop: Header=BB357_2093 Depth=1
	v_bfrev_b32_e32 v6, 1
	s_mov_b32 s15, exec_lo
	v_cmpx_ne_u16_e32 0x80, v8
	s_cbranch_execz .LBB357_2463
; %bb.2458:                             ;   in Loop: Header=BB357_2093 Depth=1
	v_and_b32_e32 v8, 0x7f, v17
	v_mov_b32_e32 v6, 0x7f800001
	s_mov_b32 s16, exec_lo
	s_delay_alu instid0(VALU_DEP_2)
	v_cmpx_ne_u32_e32 0x7f, v8
	s_cbranch_execz .LBB357_2462
; %bb.2459:                             ;   in Loop: Header=BB357_2093 Depth=1
	v_mov_b64_e32 v[22:23], v[68:69]
	v_lshrrev_b32_e32 v6, 3, v8
	s_mov_b32 s17, exec_lo
	v_cmpx_gt_u32_e32 8, v8
; %bb.2460:                             ;   in Loop: Header=BB357_2093 Depth=1
	v_and_b32_e32 v6, 7, v17
	s_delay_alu instid0(VALU_DEP_1) | instskip(NEXT) | instid1(VALU_DEP_1)
	v_clz_i32_u32_e32 v6, v6
	v_min_u32_e32 v6, 32, v6
	s_delay_alu instid0(VALU_DEP_1) | instskip(SKIP_1) | instid1(VALU_DEP_2)
	v_subrev_nc_u32_e32 v8, 28, v6
	v_sub_nc_u32_e32 v6, 29, v6
	v_lshlrev_b64_e32 v[22:23], v8, v[68:69]
; %bb.2461:                             ;   in Loop: Header=BB357_2093 Depth=1
	s_or_b32 exec_lo, exec_lo, s17
	s_delay_alu instid0(VALU_DEP_1) | instskip(NEXT) | instid1(VALU_DEP_3)
	v_dual_lshlrev_b32 v8, 20, v22 :: v_dual_lshlrev_b32 v9, 24, v68
	v_lshl_add_u32 v6, v6, 23, 0x3c000000
	s_delay_alu instid0(VALU_DEP_2) | instskip(NEXT) | instid1(VALU_DEP_3)
	v_and_b32_e32 v8, 0x700000, v8
	v_and_b32_e32 v9, 0x80000000, v9
	s_delay_alu instid0(VALU_DEP_1)
	v_or3_b32 v6, v8, v9, v6
.LBB357_2462:                           ;   in Loop: Header=BB357_2093 Depth=1
	s_or_b32 exec_lo, exec_lo, s16
.LBB357_2463:                           ;   in Loop: Header=BB357_2093 Depth=1
	s_delay_alu instid0(SALU_CYCLE_1)
	s_or_b32 exec_lo, exec_lo, s15
.LBB357_2464:                           ;   in Loop: Header=BB357_2093 Depth=1
	s_delay_alu instid0(SALU_CYCLE_1) | instskip(SKIP_2) | instid1(VALU_DEP_1)
	s_or_b32 exec_lo, exec_lo, s14
	v_lshrrev_b16 v8, 8, v68
	s_mov_b32 s14, exec_lo
	v_cmpx_ne_u16_e32 0, v8
	s_cbranch_execz .LBB357_2472
; %bb.2465:                             ;   in Loop: Header=BB357_2093 Depth=1
	v_bfrev_b32_e32 v7, 1
	s_mov_b32 s15, exec_lo
	v_cmpx_ne_u16_e32 0x80, v8
	s_cbranch_execz .LBB357_2471
; %bb.2466:                             ;   in Loop: Header=BB357_2093 Depth=1
	v_and_b32_e32 v9, 0xffff, v8
	v_mov_b32_e32 v7, 0x7f800001
	s_mov_b32 s16, exec_lo
	s_delay_alu instid0(VALU_DEP_2) | instskip(NEXT) | instid1(VALU_DEP_1)
	v_and_b32_e32 v8, 0x7f, v9
	v_cmpx_ne_u32_e32 0x7f, v8
	s_cbranch_execz .LBB357_2470
; %bb.2467:                             ;   in Loop: Header=BB357_2093 Depth=1
	v_dual_mov_b32 v23, v69 :: v_dual_bitop2_b32 v22, 7, v9 bitop3:0x40
	v_lshrrev_b32_e32 v7, 3, v8
	s_mov_b32 s17, exec_lo
	v_cmpx_gt_u32_e32 8, v8
; %bb.2468:                             ;   in Loop: Header=BB357_2093 Depth=1
	s_delay_alu instid0(VALU_DEP_3) | instskip(NEXT) | instid1(VALU_DEP_1)
	v_clz_i32_u32_e32 v7, v22
	v_min_u32_e32 v7, 32, v7
	s_delay_alu instid0(VALU_DEP_1) | instskip(NEXT) | instid1(VALU_DEP_1)
	v_subrev_nc_u32_e32 v8, 28, v7
	v_lshlrev_b64_e32 v[8:9], v8, v[22:23]
	s_delay_alu instid0(VALU_DEP_1)
	v_dual_sub_nc_u32 v7, 29, v7 :: v_dual_bitop2_b32 v22, 7, v8 bitop3:0x40
; %bb.2469:                             ;   in Loop: Header=BB357_2093 Depth=1
	s_or_b32 exec_lo, exec_lo, s17
	s_delay_alu instid0(VALU_DEP_1) | instskip(NEXT) | instid1(VALU_DEP_2)
	v_dual_lshlrev_b32 v8, 16, v68 :: v_dual_lshlrev_b32 v9, 20, v22
	v_lshl_add_u32 v7, v7, 23, 0x3c000000
	s_delay_alu instid0(VALU_DEP_2) | instskip(NEXT) | instid1(VALU_DEP_1)
	v_and_b32_e32 v8, 0x80000000, v8
	v_or3_b32 v7, v9, v8, v7
.LBB357_2470:                           ;   in Loop: Header=BB357_2093 Depth=1
	s_or_b32 exec_lo, exec_lo, s16
.LBB357_2471:                           ;   in Loop: Header=BB357_2093 Depth=1
	s_delay_alu instid0(SALU_CYCLE_1)
	s_or_b32 exec_lo, exec_lo, s15
.LBB357_2472:                           ;   in Loop: Header=BB357_2093 Depth=1
	s_delay_alu instid0(SALU_CYCLE_1) | instskip(SKIP_3) | instid1(VALU_DEP_2)
	s_or_b32 exec_lo, exec_lo, s14
	v_dual_lshrrev_b32 v10, 16, v17 :: v_dual_mov_b32 v8, 0
	v_mov_b32_e32 v9, 0
	s_mov_b32 s14, exec_lo
	v_and_b32_e32 v11, 0xff, v10
	s_delay_alu instid0(VALU_DEP_1)
	v_cmpx_ne_u16_e32 0, v11
	s_cbranch_execz .LBB357_2480
; %bb.2473:                             ;   in Loop: Header=BB357_2093 Depth=1
	v_bfrev_b32_e32 v9, 1
	s_mov_b32 s15, exec_lo
	v_cmpx_ne_u16_e32 0x80, v11
	s_cbranch_execz .LBB357_2479
; %bb.2474:                             ;   in Loop: Header=BB357_2093 Depth=1
	v_bfe_u32 v11, v17, 16, 7
	v_mov_b32_e32 v9, 0x7f800001
	s_mov_b32 s16, exec_lo
	s_delay_alu instid0(VALU_DEP_2)
	v_cmpx_ne_u32_e32 0x7f, v11
	s_cbranch_execz .LBB357_2478
; %bb.2475:                             ;   in Loop: Header=BB357_2093 Depth=1
	v_dual_lshrrev_b32 v9, 3, v11 :: v_dual_bitop2_b32 v68, 7, v10 bitop3:0x40
	s_mov_b32 s17, exec_lo
	s_delay_alu instid0(VALU_DEP_1)
	v_mov_b64_e32 v[22:23], v[68:69]
	v_cmpx_gt_u32_e32 8, v11
; %bb.2476:                             ;   in Loop: Header=BB357_2093 Depth=1
	v_clz_i32_u32_e32 v9, v68
	s_delay_alu instid0(VALU_DEP_1) | instskip(NEXT) | instid1(VALU_DEP_1)
	v_min_u32_e32 v9, 32, v9
	v_subrev_nc_u32_e32 v11, 28, v9
	s_delay_alu instid0(VALU_DEP_1) | instskip(NEXT) | instid1(VALU_DEP_1)
	v_lshlrev_b64_e32 v[12:13], v11, v[68:69]
	v_dual_sub_nc_u32 v9, 29, v9 :: v_dual_bitop2_b32 v22, 7, v12 bitop3:0x40
; %bb.2477:                             ;   in Loop: Header=BB357_2093 Depth=1
	s_or_b32 exec_lo, exec_lo, s17
	v_lshlrev_b32_e32 v10, 24, v10
	s_delay_alu instid0(VALU_DEP_2) | instskip(NEXT) | instid1(VALU_DEP_3)
	v_lshlrev_b32_e32 v11, 20, v22
	v_lshl_add_u32 v9, v9, 23, 0x3c000000
	s_delay_alu instid0(VALU_DEP_3) | instskip(NEXT) | instid1(VALU_DEP_1)
	v_and_b32_e32 v10, 0x80000000, v10
	v_or3_b32 v9, v11, v10, v9
.LBB357_2478:                           ;   in Loop: Header=BB357_2093 Depth=1
	s_or_b32 exec_lo, exec_lo, s16
.LBB357_2479:                           ;   in Loop: Header=BB357_2093 Depth=1
	s_delay_alu instid0(SALU_CYCLE_1)
	s_or_b32 exec_lo, exec_lo, s15
.LBB357_2480:                           ;   in Loop: Header=BB357_2093 Depth=1
	s_delay_alu instid0(SALU_CYCLE_1) | instskip(NEXT) | instid1(SALU_CYCLE_1)
	s_or_b32 exec_lo, exec_lo, s14
	s_mov_b32 s14, exec_lo
	v_cmpx_lt_u64_e64 s[2:3], v[16:17]
	s_cbranch_execz .LBB357_2488
; %bb.2481:                             ;   in Loop: Header=BB357_2093 Depth=1
	v_lshrrev_b32_e32 v10, 24, v17
	v_bfrev_b32_e32 v8, 1
	s_mov_b32 s15, exec_lo
	s_delay_alu instid0(VALU_DEP_2)
	v_cmpx_ne_u32_e32 0x80, v10
	s_cbranch_execz .LBB357_2487
; %bb.2482:                             ;   in Loop: Header=BB357_2093 Depth=1
	v_bfe_u32 v11, v17, 24, 7
	v_mov_b32_e32 v8, 0x7f800001
	s_mov_b32 s16, exec_lo
	s_delay_alu instid0(VALU_DEP_2)
	v_cmpx_ne_u32_e32 0x7f, v11
	s_cbranch_execz .LBB357_2486
; %bb.2483:                             ;   in Loop: Header=BB357_2093 Depth=1
	v_dual_lshrrev_b32 v8, 3, v11 :: v_dual_bitop2_b32 v68, 7, v10 bitop3:0x40
	s_mov_b32 s17, exec_lo
	s_delay_alu instid0(VALU_DEP_1)
	v_mov_b64_e32 v[16:17], v[68:69]
	v_cmpx_gt_u32_e32 8, v11
; %bb.2484:                             ;   in Loop: Header=BB357_2093 Depth=1
	v_clz_i32_u32_e32 v8, v68
	s_delay_alu instid0(VALU_DEP_1) | instskip(NEXT) | instid1(VALU_DEP_1)
	v_min_u32_e32 v8, 32, v8
	v_subrev_nc_u32_e32 v11, 28, v8
	v_sub_nc_u32_e32 v8, 29, v8
	s_delay_alu instid0(VALU_DEP_2) | instskip(NEXT) | instid1(VALU_DEP_1)
	v_lshlrev_b64_e32 v[12:13], v11, v[68:69]
	v_and_b32_e32 v16, 7, v12
; %bb.2485:                             ;   in Loop: Header=BB357_2093 Depth=1
	s_or_b32 exec_lo, exec_lo, s17
	s_delay_alu instid0(VALU_DEP_1) | instskip(SKIP_1) | instid1(VALU_DEP_2)
	v_dual_lshlrev_b32 v10, 24, v10 :: v_dual_lshlrev_b32 v11, 20, v16
	v_lshl_add_u32 v8, v8, 23, 0x3c000000
	v_and_b32_e32 v10, 0x80000000, v10
	s_delay_alu instid0(VALU_DEP_1)
	v_or3_b32 v8, v11, v10, v8
.LBB357_2486:                           ;   in Loop: Header=BB357_2093 Depth=1
	s_or_b32 exec_lo, exec_lo, s16
.LBB357_2487:                           ;   in Loop: Header=BB357_2093 Depth=1
	s_delay_alu instid0(SALU_CYCLE_1)
	s_or_b32 exec_lo, exec_lo, s15
.LBB357_2488:                           ;   in Loop: Header=BB357_2093 Depth=1
	s_delay_alu instid0(SALU_CYCLE_1)
	s_or_b32 exec_lo, exec_lo, s14
	v_fma_mixlo_bf16 v2, v75, v2, 0
	v_fma_mixlo_bf16 v7, v75, v7, 0
	;; [unrolled: 1-line block ×5, first 2 shown]
	scratch_store_b32 off, v2, s32 offset:568 ; 4-byte Folded Spill
	s_wait_xcnt 0x0
	v_fma_mixlo_bf16 v2, v75, v9, 0
	s_clause 0x1
	scratch_store_b32 off, v7, s32 offset:512
	scratch_store_b32 off, v6, s32 offset:520
	v_fma_mixlo_bf16 v3, v75, v3, 0
	s_clause 0x1
	scratch_store_b32 off, v5, s32 offset:544
	scratch_store_b32 off, v2, s32 offset:528
	s_wait_xcnt 0x0
	v_fma_mixlo_bf16 v2, v75, v8, 0
	s_clause 0x2
	scratch_store_b32 off, v4, s32 offset:552
	scratch_store_b32 off, v3, s32 offset:560
	;; [unrolled: 1-line block ×3, first 2 shown]
	s_wait_xcnt 0x0
	s_and_saveexec_b32 s14, vcc_lo
	s_cbranch_execz .LBB357_2490
; %bb.2489:                             ;   in Loop: Header=BB357_2093 Depth=1
	scratch_load_b32 v2, off, s32 offset:568 ; 4-byte Folded Reload
	v_cmp_lt_i32_e64 s0, v74, v42
	s_wait_loadcnt 0x0
	s_delay_alu instid0(VALU_DEP_1)
	v_cndmask_b32_e64 v2, 0, v2, s0
	v_cmp_lt_i32_e64 s0, v106, v42
	s_clause 0x1
	scratch_store_b32 off, v2, s32 offset:568
	scratch_load_b32 v2, off, s32 offset:560
	s_wait_loadcnt 0x0
	v_cndmask_b32_e64 v2, 0, v2, s0
	v_cmp_lt_i32_e64 s0, v105, v42
	s_clause 0x1
	scratch_store_b32 off, v2, s32 offset:560
	scratch_load_b32 v2, off, s32 offset:552
	s_wait_loadcnt 0x0
	;; [unrolled: 6-line block ×7, first 2 shown]
	v_cndmask_b32_e64 v2, 0, v2, s0
	scratch_store_b32 off, v2, s32 offset:536 ; 4-byte Folded Spill
.LBB357_2490:                           ;   in Loop: Header=BB357_2093 Depth=1
	s_wait_xcnt 0x0
	s_or_b32 exec_lo, exec_lo, s14
	flat_load_b64 v[16:17], v[18:19] offset:1536
	v_dual_mov_b32 v3, 0 :: v_dual_mov_b32 v2, 0
	s_mov_b32 s14, exec_lo
	s_wait_loadcnt_dscnt 0x0
	v_and_b32_e32 v4, 0xff, v16
	s_wait_xcnt 0x0
	s_delay_alu instid0(VALU_DEP_1)
	v_cmpx_ne_u16_e32 0, v4
	s_cbranch_execz .LBB357_2498
; %bb.2491:                             ;   in Loop: Header=BB357_2093 Depth=1
	v_bfrev_b32_e32 v2, 1
	s_mov_b32 s15, exec_lo
	v_cmpx_ne_u16_e32 0x80, v4
	s_cbranch_execz .LBB357_2497
; %bb.2492:                             ;   in Loop: Header=BB357_2093 Depth=1
	v_and_b32_e32 v4, 0x7f, v16
	v_mov_b32_e32 v2, 0x7f800001
	s_mov_b32 s16, exec_lo
	s_delay_alu instid0(VALU_DEP_2)
	v_cmpx_ne_u32_e32 0x7f, v4
	s_cbranch_execz .LBB357_2496
; %bb.2493:                             ;   in Loop: Header=BB357_2093 Depth=1
	v_mov_b64_e32 v[22:23], v[16:17]
	v_lshrrev_b32_e32 v2, 3, v4
	s_mov_b32 s17, exec_lo
	v_cmpx_gt_u32_e32 8, v4
; %bb.2494:                             ;   in Loop: Header=BB357_2093 Depth=1
	v_and_b32_e32 v2, 7, v16
	s_delay_alu instid0(VALU_DEP_1) | instskip(NEXT) | instid1(VALU_DEP_1)
	v_clz_i32_u32_e32 v2, v2
	v_min_u32_e32 v2, 32, v2
	s_delay_alu instid0(VALU_DEP_1) | instskip(SKIP_1) | instid1(VALU_DEP_2)
	v_subrev_nc_u32_e32 v4, 28, v2
	v_sub_nc_u32_e32 v2, 29, v2
	v_lshlrev_b64_e32 v[22:23], v4, v[16:17]
; %bb.2495:                             ;   in Loop: Header=BB357_2093 Depth=1
	s_or_b32 exec_lo, exec_lo, s17
	s_delay_alu instid0(VALU_DEP_1) | instskip(NEXT) | instid1(VALU_DEP_3)
	v_dual_lshlrev_b32 v4, 20, v22 :: v_dual_lshlrev_b32 v5, 24, v16
	v_lshl_add_u32 v2, v2, 23, 0x3c000000
	s_delay_alu instid0(VALU_DEP_2) | instskip(NEXT) | instid1(VALU_DEP_3)
	v_and_b32_e32 v4, 0x700000, v4
	v_and_b32_e32 v5, 0x80000000, v5
	s_delay_alu instid0(VALU_DEP_1)
	v_or3_b32 v2, v4, v5, v2
.LBB357_2496:                           ;   in Loop: Header=BB357_2093 Depth=1
	s_or_b32 exec_lo, exec_lo, s16
.LBB357_2497:                           ;   in Loop: Header=BB357_2093 Depth=1
	s_delay_alu instid0(SALU_CYCLE_1)
	s_or_b32 exec_lo, exec_lo, s15
.LBB357_2498:                           ;   in Loop: Header=BB357_2093 Depth=1
	s_delay_alu instid0(SALU_CYCLE_1) | instskip(SKIP_2) | instid1(VALU_DEP_1)
	s_or_b32 exec_lo, exec_lo, s14
	v_lshrrev_b16 v4, 8, v16
	s_mov_b32 s14, exec_lo
	v_cmpx_ne_u16_e32 0, v4
	s_cbranch_execz .LBB357_2506
; %bb.2499:                             ;   in Loop: Header=BB357_2093 Depth=1
	v_bfrev_b32_e32 v3, 1
	s_mov_b32 s15, exec_lo
	v_cmpx_ne_u16_e32 0x80, v4
	s_cbranch_execz .LBB357_2505
; %bb.2500:                             ;   in Loop: Header=BB357_2093 Depth=1
	v_and_b32_e32 v5, 0xffff, v4
	v_mov_b32_e32 v3, 0x7f800001
	s_mov_b32 s16, exec_lo
	s_delay_alu instid0(VALU_DEP_2) | instskip(NEXT) | instid1(VALU_DEP_1)
	v_and_b32_e32 v4, 0x7f, v5
	v_cmpx_ne_u32_e32 0x7f, v4
	s_cbranch_execz .LBB357_2504
; %bb.2501:                             ;   in Loop: Header=BB357_2093 Depth=1
	v_dual_lshrrev_b32 v3, 3, v4 :: v_dual_bitop2_b32 v68, 7, v5 bitop3:0x40
	s_mov_b32 s17, exec_lo
	s_delay_alu instid0(VALU_DEP_1)
	v_mov_b64_e32 v[22:23], v[68:69]
	v_cmpx_gt_u32_e32 8, v4
; %bb.2502:                             ;   in Loop: Header=BB357_2093 Depth=1
	v_clz_i32_u32_e32 v3, v68
	s_delay_alu instid0(VALU_DEP_1) | instskip(NEXT) | instid1(VALU_DEP_1)
	v_min_u32_e32 v3, 32, v3
	v_subrev_nc_u32_e32 v4, 28, v3
	s_delay_alu instid0(VALU_DEP_1) | instskip(NEXT) | instid1(VALU_DEP_1)
	v_lshlrev_b64_e32 v[4:5], v4, v[68:69]
	v_dual_sub_nc_u32 v3, 29, v3 :: v_dual_bitop2_b32 v22, 7, v4 bitop3:0x40
; %bb.2503:                             ;   in Loop: Header=BB357_2093 Depth=1
	s_or_b32 exec_lo, exec_lo, s17
	s_delay_alu instid0(VALU_DEP_1) | instskip(NEXT) | instid1(VALU_DEP_2)
	v_dual_lshlrev_b32 v4, 16, v16 :: v_dual_lshlrev_b32 v5, 20, v22
	v_lshl_add_u32 v3, v3, 23, 0x3c000000
	s_delay_alu instid0(VALU_DEP_2) | instskip(NEXT) | instid1(VALU_DEP_1)
	v_and_b32_e32 v4, 0x80000000, v4
	v_or3_b32 v3, v5, v4, v3
.LBB357_2504:                           ;   in Loop: Header=BB357_2093 Depth=1
	s_or_b32 exec_lo, exec_lo, s16
.LBB357_2505:                           ;   in Loop: Header=BB357_2093 Depth=1
	s_delay_alu instid0(SALU_CYCLE_1)
	s_or_b32 exec_lo, exec_lo, s15
.LBB357_2506:                           ;   in Loop: Header=BB357_2093 Depth=1
	s_delay_alu instid0(SALU_CYCLE_1) | instskip(SKIP_3) | instid1(VALU_DEP_2)
	s_or_b32 exec_lo, exec_lo, s14
	v_dual_mov_b32 v5, 0 :: v_dual_lshrrev_b32 v6, 16, v16
	v_mov_b32_e32 v4, 0
	s_mov_b32 s14, exec_lo
	v_and_b32_e32 v7, 0xff, v6
	s_delay_alu instid0(VALU_DEP_1)
	v_cmpx_ne_u16_e32 0, v7
	s_cbranch_execz .LBB357_2514
; %bb.2507:                             ;   in Loop: Header=BB357_2093 Depth=1
	v_bfrev_b32_e32 v4, 1
	s_mov_b32 s15, exec_lo
	v_cmpx_ne_u16_e32 0x80, v7
	s_cbranch_execz .LBB357_2513
; %bb.2508:                             ;   in Loop: Header=BB357_2093 Depth=1
	v_bfe_u32 v7, v16, 16, 7
	v_mov_b32_e32 v4, 0x7f800001
	s_mov_b32 s16, exec_lo
	s_delay_alu instid0(VALU_DEP_2)
	v_cmpx_ne_u32_e32 0x7f, v7
	s_cbranch_execz .LBB357_2512
; %bb.2509:                             ;   in Loop: Header=BB357_2093 Depth=1
	v_dual_lshrrev_b32 v4, 3, v7 :: v_dual_bitop2_b32 v68, 7, v6 bitop3:0x40
	s_mov_b32 s17, exec_lo
	s_delay_alu instid0(VALU_DEP_1)
	v_mov_b64_e32 v[22:23], v[68:69]
	v_cmpx_gt_u32_e32 8, v7
; %bb.2510:                             ;   in Loop: Header=BB357_2093 Depth=1
	v_clz_i32_u32_e32 v4, v68
	s_delay_alu instid0(VALU_DEP_1) | instskip(NEXT) | instid1(VALU_DEP_1)
	v_min_u32_e32 v4, 32, v4
	v_subrev_nc_u32_e32 v7, 28, v4
	v_sub_nc_u32_e32 v4, 29, v4
	s_delay_alu instid0(VALU_DEP_2) | instskip(NEXT) | instid1(VALU_DEP_1)
	v_lshlrev_b64_e32 v[8:9], v7, v[68:69]
	v_and_b32_e32 v22, 7, v8
; %bb.2511:                             ;   in Loop: Header=BB357_2093 Depth=1
	s_or_b32 exec_lo, exec_lo, s17
	v_lshlrev_b32_e32 v6, 24, v6
	s_delay_alu instid0(VALU_DEP_2) | instskip(SKIP_1) | instid1(VALU_DEP_3)
	v_lshlrev_b32_e32 v7, 20, v22
	v_lshl_add_u32 v4, v4, 23, 0x3c000000
	v_and_b32_e32 v6, 0x80000000, v6
	s_delay_alu instid0(VALU_DEP_1)
	v_or3_b32 v4, v7, v6, v4
.LBB357_2512:                           ;   in Loop: Header=BB357_2093 Depth=1
	s_or_b32 exec_lo, exec_lo, s16
.LBB357_2513:                           ;   in Loop: Header=BB357_2093 Depth=1
	s_delay_alu instid0(SALU_CYCLE_1)
	s_or_b32 exec_lo, exec_lo, s15
.LBB357_2514:                           ;   in Loop: Header=BB357_2093 Depth=1
	s_delay_alu instid0(SALU_CYCLE_1) | instskip(NEXT) | instid1(SALU_CYCLE_1)
	s_or_b32 exec_lo, exec_lo, s14
	s_mov_b32 s14, exec_lo
	v_cmpx_lt_u32_e32 0xffffff, v16
	s_cbranch_execz .LBB357_2522
; %bb.2515:                             ;   in Loop: Header=BB357_2093 Depth=1
	v_lshrrev_b32_e32 v6, 24, v16
	v_bfrev_b32_e32 v5, 1
	s_mov_b32 s15, exec_lo
	s_delay_alu instid0(VALU_DEP_2)
	v_cmpx_ne_u32_e32 0x80, v6
	s_cbranch_execz .LBB357_2521
; %bb.2516:                             ;   in Loop: Header=BB357_2093 Depth=1
	v_bfe_u32 v7, v16, 24, 7
	v_mov_b32_e32 v5, 0x7f800001
	s_mov_b32 s16, exec_lo
	s_delay_alu instid0(VALU_DEP_2)
	v_cmpx_ne_u32_e32 0x7f, v7
	s_cbranch_execz .LBB357_2520
; %bb.2517:                             ;   in Loop: Header=BB357_2093 Depth=1
	v_dual_lshrrev_b32 v5, 3, v7 :: v_dual_bitop2_b32 v68, 7, v6 bitop3:0x40
	s_mov_b32 s17, exec_lo
	s_delay_alu instid0(VALU_DEP_1)
	v_mov_b64_e32 v[22:23], v[68:69]
	v_cmpx_gt_u32_e32 8, v7
; %bb.2518:                             ;   in Loop: Header=BB357_2093 Depth=1
	v_clz_i32_u32_e32 v5, v68
	s_delay_alu instid0(VALU_DEP_1) | instskip(NEXT) | instid1(VALU_DEP_1)
	v_min_u32_e32 v5, 32, v5
	v_subrev_nc_u32_e32 v7, 28, v5
	s_delay_alu instid0(VALU_DEP_1) | instskip(NEXT) | instid1(VALU_DEP_1)
	v_lshlrev_b64_e32 v[8:9], v7, v[68:69]
	v_dual_sub_nc_u32 v5, 29, v5 :: v_dual_bitop2_b32 v22, 7, v8 bitop3:0x40
; %bb.2519:                             ;   in Loop: Header=BB357_2093 Depth=1
	s_or_b32 exec_lo, exec_lo, s17
	v_lshlrev_b32_e32 v6, 24, v6
	s_delay_alu instid0(VALU_DEP_2) | instskip(NEXT) | instid1(VALU_DEP_3)
	v_lshlrev_b32_e32 v7, 20, v22
	v_lshl_add_u32 v5, v5, 23, 0x3c000000
	s_delay_alu instid0(VALU_DEP_3) | instskip(NEXT) | instid1(VALU_DEP_1)
	v_and_b32_e32 v6, 0x80000000, v6
	v_or3_b32 v5, v7, v6, v5
.LBB357_2520:                           ;   in Loop: Header=BB357_2093 Depth=1
	s_or_b32 exec_lo, exec_lo, s16
.LBB357_2521:                           ;   in Loop: Header=BB357_2093 Depth=1
	s_delay_alu instid0(SALU_CYCLE_1)
	s_or_b32 exec_lo, exec_lo, s15
.LBB357_2522:                           ;   in Loop: Header=BB357_2093 Depth=1
	s_delay_alu instid0(SALU_CYCLE_1) | instskip(SKIP_4) | instid1(VALU_DEP_3)
	s_or_b32 exec_lo, exec_lo, s14
	v_and_b32_e32 v8, 0xff, v17
	v_dual_mov_b32 v68, v17 :: v_dual_mov_b32 v7, 0
	v_mov_b32_e32 v6, 0
	s_mov_b32 s14, exec_lo
	v_cmpx_ne_u16_e32 0, v8
	s_cbranch_execz .LBB357_2530
; %bb.2523:                             ;   in Loop: Header=BB357_2093 Depth=1
	v_bfrev_b32_e32 v6, 1
	s_mov_b32 s15, exec_lo
	v_cmpx_ne_u16_e32 0x80, v8
	s_cbranch_execz .LBB357_2529
; %bb.2524:                             ;   in Loop: Header=BB357_2093 Depth=1
	v_and_b32_e32 v8, 0x7f, v17
	v_mov_b32_e32 v6, 0x7f800001
	s_mov_b32 s16, exec_lo
	s_delay_alu instid0(VALU_DEP_2)
	v_cmpx_ne_u32_e32 0x7f, v8
	s_cbranch_execz .LBB357_2528
; %bb.2525:                             ;   in Loop: Header=BB357_2093 Depth=1
	v_mov_b64_e32 v[22:23], v[68:69]
	v_lshrrev_b32_e32 v6, 3, v8
	s_mov_b32 s17, exec_lo
	v_cmpx_gt_u32_e32 8, v8
; %bb.2526:                             ;   in Loop: Header=BB357_2093 Depth=1
	v_and_b32_e32 v6, 7, v17
	s_delay_alu instid0(VALU_DEP_1) | instskip(NEXT) | instid1(VALU_DEP_1)
	v_clz_i32_u32_e32 v6, v6
	v_min_u32_e32 v6, 32, v6
	s_delay_alu instid0(VALU_DEP_1) | instskip(SKIP_1) | instid1(VALU_DEP_2)
	v_subrev_nc_u32_e32 v8, 28, v6
	v_sub_nc_u32_e32 v6, 29, v6
	v_lshlrev_b64_e32 v[22:23], v8, v[68:69]
; %bb.2527:                             ;   in Loop: Header=BB357_2093 Depth=1
	s_or_b32 exec_lo, exec_lo, s17
	s_delay_alu instid0(VALU_DEP_1) | instskip(NEXT) | instid1(VALU_DEP_3)
	v_dual_lshlrev_b32 v8, 20, v22 :: v_dual_lshlrev_b32 v9, 24, v68
	v_lshl_add_u32 v6, v6, 23, 0x3c000000
	s_delay_alu instid0(VALU_DEP_2) | instskip(NEXT) | instid1(VALU_DEP_3)
	v_and_b32_e32 v8, 0x700000, v8
	v_and_b32_e32 v9, 0x80000000, v9
	s_delay_alu instid0(VALU_DEP_1)
	v_or3_b32 v6, v8, v9, v6
.LBB357_2528:                           ;   in Loop: Header=BB357_2093 Depth=1
	s_or_b32 exec_lo, exec_lo, s16
.LBB357_2529:                           ;   in Loop: Header=BB357_2093 Depth=1
	s_delay_alu instid0(SALU_CYCLE_1)
	s_or_b32 exec_lo, exec_lo, s15
.LBB357_2530:                           ;   in Loop: Header=BB357_2093 Depth=1
	s_delay_alu instid0(SALU_CYCLE_1) | instskip(SKIP_2) | instid1(VALU_DEP_1)
	s_or_b32 exec_lo, exec_lo, s14
	v_lshrrev_b16 v8, 8, v68
	s_mov_b32 s14, exec_lo
	v_cmpx_ne_u16_e32 0, v8
	s_cbranch_execz .LBB357_2538
; %bb.2531:                             ;   in Loop: Header=BB357_2093 Depth=1
	v_bfrev_b32_e32 v7, 1
	s_mov_b32 s15, exec_lo
	v_cmpx_ne_u16_e32 0x80, v8
	s_cbranch_execz .LBB357_2537
; %bb.2532:                             ;   in Loop: Header=BB357_2093 Depth=1
	v_and_b32_e32 v9, 0xffff, v8
	v_mov_b32_e32 v7, 0x7f800001
	s_mov_b32 s16, exec_lo
	s_delay_alu instid0(VALU_DEP_2) | instskip(NEXT) | instid1(VALU_DEP_1)
	v_and_b32_e32 v8, 0x7f, v9
	v_cmpx_ne_u32_e32 0x7f, v8
	s_cbranch_execz .LBB357_2536
; %bb.2533:                             ;   in Loop: Header=BB357_2093 Depth=1
	v_dual_mov_b32 v23, v69 :: v_dual_bitop2_b32 v22, 7, v9 bitop3:0x40
	v_lshrrev_b32_e32 v7, 3, v8
	s_mov_b32 s17, exec_lo
	v_cmpx_gt_u32_e32 8, v8
; %bb.2534:                             ;   in Loop: Header=BB357_2093 Depth=1
	s_delay_alu instid0(VALU_DEP_3) | instskip(NEXT) | instid1(VALU_DEP_1)
	v_clz_i32_u32_e32 v7, v22
	v_min_u32_e32 v7, 32, v7
	s_delay_alu instid0(VALU_DEP_1) | instskip(NEXT) | instid1(VALU_DEP_1)
	v_subrev_nc_u32_e32 v8, 28, v7
	v_lshlrev_b64_e32 v[8:9], v8, v[22:23]
	s_delay_alu instid0(VALU_DEP_1)
	v_dual_sub_nc_u32 v7, 29, v7 :: v_dual_bitop2_b32 v22, 7, v8 bitop3:0x40
; %bb.2535:                             ;   in Loop: Header=BB357_2093 Depth=1
	s_or_b32 exec_lo, exec_lo, s17
	s_delay_alu instid0(VALU_DEP_1) | instskip(NEXT) | instid1(VALU_DEP_2)
	v_dual_lshlrev_b32 v8, 16, v68 :: v_dual_lshlrev_b32 v9, 20, v22
	v_lshl_add_u32 v7, v7, 23, 0x3c000000
	s_delay_alu instid0(VALU_DEP_2) | instskip(NEXT) | instid1(VALU_DEP_1)
	v_and_b32_e32 v8, 0x80000000, v8
	v_or3_b32 v7, v9, v8, v7
.LBB357_2536:                           ;   in Loop: Header=BB357_2093 Depth=1
	s_or_b32 exec_lo, exec_lo, s16
.LBB357_2537:                           ;   in Loop: Header=BB357_2093 Depth=1
	s_delay_alu instid0(SALU_CYCLE_1)
	s_or_b32 exec_lo, exec_lo, s15
.LBB357_2538:                           ;   in Loop: Header=BB357_2093 Depth=1
	s_delay_alu instid0(SALU_CYCLE_1) | instskip(SKIP_3) | instid1(VALU_DEP_2)
	s_or_b32 exec_lo, exec_lo, s14
	v_dual_lshrrev_b32 v10, 16, v17 :: v_dual_mov_b32 v8, 0
	v_mov_b32_e32 v9, 0
	s_mov_b32 s14, exec_lo
	v_and_b32_e32 v11, 0xff, v10
	s_delay_alu instid0(VALU_DEP_1)
	v_cmpx_ne_u16_e32 0, v11
	s_cbranch_execz .LBB357_2546
; %bb.2539:                             ;   in Loop: Header=BB357_2093 Depth=1
	v_bfrev_b32_e32 v9, 1
	s_mov_b32 s15, exec_lo
	v_cmpx_ne_u16_e32 0x80, v11
	s_cbranch_execz .LBB357_2545
; %bb.2540:                             ;   in Loop: Header=BB357_2093 Depth=1
	v_bfe_u32 v11, v17, 16, 7
	v_mov_b32_e32 v9, 0x7f800001
	s_mov_b32 s16, exec_lo
	s_delay_alu instid0(VALU_DEP_2)
	v_cmpx_ne_u32_e32 0x7f, v11
	s_cbranch_execz .LBB357_2544
; %bb.2541:                             ;   in Loop: Header=BB357_2093 Depth=1
	v_dual_lshrrev_b32 v9, 3, v11 :: v_dual_bitop2_b32 v68, 7, v10 bitop3:0x40
	s_mov_b32 s17, exec_lo
	s_delay_alu instid0(VALU_DEP_1)
	v_mov_b64_e32 v[22:23], v[68:69]
	v_cmpx_gt_u32_e32 8, v11
; %bb.2542:                             ;   in Loop: Header=BB357_2093 Depth=1
	v_clz_i32_u32_e32 v9, v68
	s_delay_alu instid0(VALU_DEP_1) | instskip(NEXT) | instid1(VALU_DEP_1)
	v_min_u32_e32 v9, 32, v9
	v_subrev_nc_u32_e32 v11, 28, v9
	s_delay_alu instid0(VALU_DEP_1) | instskip(NEXT) | instid1(VALU_DEP_1)
	v_lshlrev_b64_e32 v[12:13], v11, v[68:69]
	v_dual_sub_nc_u32 v9, 29, v9 :: v_dual_bitop2_b32 v22, 7, v12 bitop3:0x40
; %bb.2543:                             ;   in Loop: Header=BB357_2093 Depth=1
	s_or_b32 exec_lo, exec_lo, s17
	v_lshlrev_b32_e32 v10, 24, v10
	s_delay_alu instid0(VALU_DEP_2) | instskip(NEXT) | instid1(VALU_DEP_3)
	v_lshlrev_b32_e32 v11, 20, v22
	v_lshl_add_u32 v9, v9, 23, 0x3c000000
	s_delay_alu instid0(VALU_DEP_3) | instskip(NEXT) | instid1(VALU_DEP_1)
	v_and_b32_e32 v10, 0x80000000, v10
	v_or3_b32 v9, v11, v10, v9
.LBB357_2544:                           ;   in Loop: Header=BB357_2093 Depth=1
	s_or_b32 exec_lo, exec_lo, s16
.LBB357_2545:                           ;   in Loop: Header=BB357_2093 Depth=1
	s_delay_alu instid0(SALU_CYCLE_1)
	s_or_b32 exec_lo, exec_lo, s15
.LBB357_2546:                           ;   in Loop: Header=BB357_2093 Depth=1
	s_delay_alu instid0(SALU_CYCLE_1) | instskip(NEXT) | instid1(SALU_CYCLE_1)
	s_or_b32 exec_lo, exec_lo, s14
	s_mov_b32 s14, exec_lo
	v_cmpx_lt_u64_e64 s[2:3], v[16:17]
	s_cbranch_execz .LBB357_2554
; %bb.2547:                             ;   in Loop: Header=BB357_2093 Depth=1
	v_lshrrev_b32_e32 v10, 24, v17
	v_bfrev_b32_e32 v8, 1
	s_mov_b32 s15, exec_lo
	s_delay_alu instid0(VALU_DEP_2)
	v_cmpx_ne_u32_e32 0x80, v10
	s_cbranch_execz .LBB357_2553
; %bb.2548:                             ;   in Loop: Header=BB357_2093 Depth=1
	v_bfe_u32 v11, v17, 24, 7
	v_mov_b32_e32 v8, 0x7f800001
	s_mov_b32 s16, exec_lo
	s_delay_alu instid0(VALU_DEP_2)
	v_cmpx_ne_u32_e32 0x7f, v11
	s_cbranch_execz .LBB357_2552
; %bb.2549:                             ;   in Loop: Header=BB357_2093 Depth=1
	v_dual_lshrrev_b32 v8, 3, v11 :: v_dual_bitop2_b32 v68, 7, v10 bitop3:0x40
	s_mov_b32 s17, exec_lo
	s_delay_alu instid0(VALU_DEP_1)
	v_mov_b64_e32 v[16:17], v[68:69]
	v_cmpx_gt_u32_e32 8, v11
; %bb.2550:                             ;   in Loop: Header=BB357_2093 Depth=1
	v_clz_i32_u32_e32 v8, v68
	s_delay_alu instid0(VALU_DEP_1) | instskip(NEXT) | instid1(VALU_DEP_1)
	v_min_u32_e32 v8, 32, v8
	v_subrev_nc_u32_e32 v11, 28, v8
	v_sub_nc_u32_e32 v8, 29, v8
	s_delay_alu instid0(VALU_DEP_2) | instskip(NEXT) | instid1(VALU_DEP_1)
	v_lshlrev_b64_e32 v[12:13], v11, v[68:69]
	v_and_b32_e32 v16, 7, v12
; %bb.2551:                             ;   in Loop: Header=BB357_2093 Depth=1
	s_or_b32 exec_lo, exec_lo, s17
	s_delay_alu instid0(VALU_DEP_1) | instskip(SKIP_1) | instid1(VALU_DEP_2)
	v_dual_lshlrev_b32 v10, 24, v10 :: v_dual_lshlrev_b32 v11, 20, v16
	v_lshl_add_u32 v8, v8, 23, 0x3c000000
	v_and_b32_e32 v10, 0x80000000, v10
	s_delay_alu instid0(VALU_DEP_1)
	v_or3_b32 v8, v11, v10, v8
.LBB357_2552:                           ;   in Loop: Header=BB357_2093 Depth=1
	s_or_b32 exec_lo, exec_lo, s16
.LBB357_2553:                           ;   in Loop: Header=BB357_2093 Depth=1
	s_delay_alu instid0(SALU_CYCLE_1)
	s_or_b32 exec_lo, exec_lo, s15
.LBB357_2554:                           ;   in Loop: Header=BB357_2093 Depth=1
	s_delay_alu instid0(SALU_CYCLE_1)
	s_or_b32 exec_lo, exec_lo, s14
	v_fma_mixlo_bf16 v2, v75, v2, 0
	v_fma_mixlo_bf16 v7, v75, v7, 0
	;; [unrolled: 1-line block ×5, first 2 shown]
	scratch_store_b32 off, v2, s32 offset:660 ; 4-byte Folded Spill
	s_wait_xcnt 0x0
	v_fma_mixlo_bf16 v2, v75, v9, 0
	s_clause 0x1
	scratch_store_b32 off, v7, s32 offset:576
	scratch_store_b32 off, v6, s32 offset:584
	v_fma_mixlo_bf16 v3, v75, v3, 0
	s_clause 0x1
	scratch_store_b32 off, v5, s32 offset:612
	scratch_store_b32 off, v2, s32 offset:592
	s_wait_xcnt 0x0
	v_fma_mixlo_bf16 v2, v75, v8, 0
	s_clause 0x2
	scratch_store_b32 off, v4, s32 offset:620
	scratch_store_b32 off, v3, s32 offset:628
	;; [unrolled: 1-line block ×3, first 2 shown]
	s_wait_xcnt 0x0
	s_and_saveexec_b32 s14, vcc_lo
	s_cbranch_execz .LBB357_2556
; %bb.2555:                             ;   in Loop: Header=BB357_2093 Depth=1
	scratch_load_b32 v2, off, s32 offset:660 ; 4-byte Folded Reload
	v_cmp_lt_i32_e64 s0, v74, v42
	s_wait_loadcnt 0x0
	s_delay_alu instid0(VALU_DEP_1)
	v_cndmask_b32_e64 v2, 0, v2, s0
	v_cmp_lt_i32_e64 s0, v106, v42
	s_clause 0x1
	scratch_store_b32 off, v2, s32 offset:660
	scratch_load_b32 v2, off, s32 offset:628
	s_wait_loadcnt 0x0
	v_cndmask_b32_e64 v2, 0, v2, s0
	v_cmp_lt_i32_e64 s0, v105, v42
	s_clause 0x1
	scratch_store_b32 off, v2, s32 offset:628
	scratch_load_b32 v2, off, s32 offset:620
	s_wait_loadcnt 0x0
	;; [unrolled: 6-line block ×7, first 2 shown]
	v_cndmask_b32_e64 v2, 0, v2, s0
	scratch_store_b32 off, v2, s32 offset:600 ; 4-byte Folded Spill
.LBB357_2556:                           ;   in Loop: Header=BB357_2093 Depth=1
	s_wait_xcnt 0x0
	s_or_b32 exec_lo, exec_lo, s14
	flat_load_b64 v[16:17], v[18:19] offset:1792
	v_dual_mov_b32 v3, 0 :: v_dual_mov_b32 v2, 0
	s_mov_b32 s14, exec_lo
	s_wait_loadcnt_dscnt 0x0
	v_and_b32_e32 v4, 0xff, v16
	s_wait_xcnt 0x0
	s_delay_alu instid0(VALU_DEP_1)
	v_cmpx_ne_u16_e32 0, v4
	s_cbranch_execz .LBB357_2564
; %bb.2557:                             ;   in Loop: Header=BB357_2093 Depth=1
	v_bfrev_b32_e32 v2, 1
	s_mov_b32 s15, exec_lo
	v_cmpx_ne_u16_e32 0x80, v4
	s_cbranch_execz .LBB357_2563
; %bb.2558:                             ;   in Loop: Header=BB357_2093 Depth=1
	v_and_b32_e32 v4, 0x7f, v16
	v_mov_b32_e32 v2, 0x7f800001
	s_mov_b32 s16, exec_lo
	s_delay_alu instid0(VALU_DEP_2)
	v_cmpx_ne_u32_e32 0x7f, v4
	s_cbranch_execz .LBB357_2562
; %bb.2559:                             ;   in Loop: Header=BB357_2093 Depth=1
	v_mov_b64_e32 v[22:23], v[16:17]
	v_lshrrev_b32_e32 v2, 3, v4
	s_mov_b32 s17, exec_lo
	v_cmpx_gt_u32_e32 8, v4
; %bb.2560:                             ;   in Loop: Header=BB357_2093 Depth=1
	v_and_b32_e32 v2, 7, v16
	s_delay_alu instid0(VALU_DEP_1) | instskip(NEXT) | instid1(VALU_DEP_1)
	v_clz_i32_u32_e32 v2, v2
	v_min_u32_e32 v2, 32, v2
	s_delay_alu instid0(VALU_DEP_1) | instskip(SKIP_1) | instid1(VALU_DEP_2)
	v_subrev_nc_u32_e32 v4, 28, v2
	v_sub_nc_u32_e32 v2, 29, v2
	v_lshlrev_b64_e32 v[22:23], v4, v[16:17]
; %bb.2561:                             ;   in Loop: Header=BB357_2093 Depth=1
	s_or_b32 exec_lo, exec_lo, s17
	s_delay_alu instid0(VALU_DEP_1) | instskip(NEXT) | instid1(VALU_DEP_3)
	v_dual_lshlrev_b32 v4, 20, v22 :: v_dual_lshlrev_b32 v5, 24, v16
	v_lshl_add_u32 v2, v2, 23, 0x3c000000
	s_delay_alu instid0(VALU_DEP_2) | instskip(NEXT) | instid1(VALU_DEP_3)
	v_and_b32_e32 v4, 0x700000, v4
	v_and_b32_e32 v5, 0x80000000, v5
	s_delay_alu instid0(VALU_DEP_1)
	v_or3_b32 v2, v4, v5, v2
.LBB357_2562:                           ;   in Loop: Header=BB357_2093 Depth=1
	s_or_b32 exec_lo, exec_lo, s16
.LBB357_2563:                           ;   in Loop: Header=BB357_2093 Depth=1
	s_delay_alu instid0(SALU_CYCLE_1)
	s_or_b32 exec_lo, exec_lo, s15
.LBB357_2564:                           ;   in Loop: Header=BB357_2093 Depth=1
	s_delay_alu instid0(SALU_CYCLE_1) | instskip(SKIP_2) | instid1(VALU_DEP_1)
	s_or_b32 exec_lo, exec_lo, s14
	v_lshrrev_b16 v4, 8, v16
	s_mov_b32 s14, exec_lo
	v_cmpx_ne_u16_e32 0, v4
	s_cbranch_execz .LBB357_2572
; %bb.2565:                             ;   in Loop: Header=BB357_2093 Depth=1
	v_bfrev_b32_e32 v3, 1
	s_mov_b32 s15, exec_lo
	v_cmpx_ne_u16_e32 0x80, v4
	s_cbranch_execz .LBB357_2571
; %bb.2566:                             ;   in Loop: Header=BB357_2093 Depth=1
	v_and_b32_e32 v5, 0xffff, v4
	v_mov_b32_e32 v3, 0x7f800001
	s_mov_b32 s16, exec_lo
	s_delay_alu instid0(VALU_DEP_2) | instskip(NEXT) | instid1(VALU_DEP_1)
	v_and_b32_e32 v4, 0x7f, v5
	v_cmpx_ne_u32_e32 0x7f, v4
	s_cbranch_execz .LBB357_2570
; %bb.2567:                             ;   in Loop: Header=BB357_2093 Depth=1
	v_dual_lshrrev_b32 v3, 3, v4 :: v_dual_bitop2_b32 v68, 7, v5 bitop3:0x40
	s_mov_b32 s17, exec_lo
	s_delay_alu instid0(VALU_DEP_1)
	v_mov_b64_e32 v[22:23], v[68:69]
	v_cmpx_gt_u32_e32 8, v4
; %bb.2568:                             ;   in Loop: Header=BB357_2093 Depth=1
	v_clz_i32_u32_e32 v3, v68
	s_delay_alu instid0(VALU_DEP_1) | instskip(NEXT) | instid1(VALU_DEP_1)
	v_min_u32_e32 v3, 32, v3
	v_subrev_nc_u32_e32 v4, 28, v3
	s_delay_alu instid0(VALU_DEP_1) | instskip(NEXT) | instid1(VALU_DEP_1)
	v_lshlrev_b64_e32 v[4:5], v4, v[68:69]
	v_dual_sub_nc_u32 v3, 29, v3 :: v_dual_bitop2_b32 v22, 7, v4 bitop3:0x40
; %bb.2569:                             ;   in Loop: Header=BB357_2093 Depth=1
	s_or_b32 exec_lo, exec_lo, s17
	s_delay_alu instid0(VALU_DEP_1) | instskip(NEXT) | instid1(VALU_DEP_2)
	v_dual_lshlrev_b32 v4, 16, v16 :: v_dual_lshlrev_b32 v5, 20, v22
	v_lshl_add_u32 v3, v3, 23, 0x3c000000
	s_delay_alu instid0(VALU_DEP_2) | instskip(NEXT) | instid1(VALU_DEP_1)
	v_and_b32_e32 v4, 0x80000000, v4
	v_or3_b32 v3, v5, v4, v3
.LBB357_2570:                           ;   in Loop: Header=BB357_2093 Depth=1
	s_or_b32 exec_lo, exec_lo, s16
.LBB357_2571:                           ;   in Loop: Header=BB357_2093 Depth=1
	s_delay_alu instid0(SALU_CYCLE_1)
	s_or_b32 exec_lo, exec_lo, s15
.LBB357_2572:                           ;   in Loop: Header=BB357_2093 Depth=1
	s_delay_alu instid0(SALU_CYCLE_1) | instskip(SKIP_3) | instid1(VALU_DEP_2)
	s_or_b32 exec_lo, exec_lo, s14
	v_dual_mov_b32 v5, 0 :: v_dual_lshrrev_b32 v6, 16, v16
	v_mov_b32_e32 v4, 0
	s_mov_b32 s14, exec_lo
	v_and_b32_e32 v7, 0xff, v6
	s_delay_alu instid0(VALU_DEP_1)
	v_cmpx_ne_u16_e32 0, v7
	s_cbranch_execz .LBB357_2580
; %bb.2573:                             ;   in Loop: Header=BB357_2093 Depth=1
	v_bfrev_b32_e32 v4, 1
	s_mov_b32 s15, exec_lo
	v_cmpx_ne_u16_e32 0x80, v7
	s_cbranch_execz .LBB357_2579
; %bb.2574:                             ;   in Loop: Header=BB357_2093 Depth=1
	v_bfe_u32 v7, v16, 16, 7
	v_mov_b32_e32 v4, 0x7f800001
	s_mov_b32 s16, exec_lo
	s_delay_alu instid0(VALU_DEP_2)
	v_cmpx_ne_u32_e32 0x7f, v7
	s_cbranch_execz .LBB357_2578
; %bb.2575:                             ;   in Loop: Header=BB357_2093 Depth=1
	v_dual_lshrrev_b32 v4, 3, v7 :: v_dual_bitop2_b32 v68, 7, v6 bitop3:0x40
	s_mov_b32 s17, exec_lo
	s_delay_alu instid0(VALU_DEP_1)
	v_mov_b64_e32 v[22:23], v[68:69]
	v_cmpx_gt_u32_e32 8, v7
; %bb.2576:                             ;   in Loop: Header=BB357_2093 Depth=1
	v_clz_i32_u32_e32 v4, v68
	s_delay_alu instid0(VALU_DEP_1) | instskip(NEXT) | instid1(VALU_DEP_1)
	v_min_u32_e32 v4, 32, v4
	v_subrev_nc_u32_e32 v7, 28, v4
	v_sub_nc_u32_e32 v4, 29, v4
	s_delay_alu instid0(VALU_DEP_2) | instskip(NEXT) | instid1(VALU_DEP_1)
	v_lshlrev_b64_e32 v[8:9], v7, v[68:69]
	v_and_b32_e32 v22, 7, v8
; %bb.2577:                             ;   in Loop: Header=BB357_2093 Depth=1
	s_or_b32 exec_lo, exec_lo, s17
	v_lshlrev_b32_e32 v6, 24, v6
	s_delay_alu instid0(VALU_DEP_2) | instskip(SKIP_1) | instid1(VALU_DEP_3)
	v_lshlrev_b32_e32 v7, 20, v22
	v_lshl_add_u32 v4, v4, 23, 0x3c000000
	v_and_b32_e32 v6, 0x80000000, v6
	s_delay_alu instid0(VALU_DEP_1)
	v_or3_b32 v4, v7, v6, v4
.LBB357_2578:                           ;   in Loop: Header=BB357_2093 Depth=1
	s_or_b32 exec_lo, exec_lo, s16
.LBB357_2579:                           ;   in Loop: Header=BB357_2093 Depth=1
	s_delay_alu instid0(SALU_CYCLE_1)
	s_or_b32 exec_lo, exec_lo, s15
.LBB357_2580:                           ;   in Loop: Header=BB357_2093 Depth=1
	s_delay_alu instid0(SALU_CYCLE_1) | instskip(NEXT) | instid1(SALU_CYCLE_1)
	s_or_b32 exec_lo, exec_lo, s14
	s_mov_b32 s14, exec_lo
	v_cmpx_lt_u32_e32 0xffffff, v16
	s_cbranch_execz .LBB357_2588
; %bb.2581:                             ;   in Loop: Header=BB357_2093 Depth=1
	v_lshrrev_b32_e32 v6, 24, v16
	v_bfrev_b32_e32 v5, 1
	s_mov_b32 s15, exec_lo
	s_delay_alu instid0(VALU_DEP_2)
	v_cmpx_ne_u32_e32 0x80, v6
	s_cbranch_execz .LBB357_2587
; %bb.2582:                             ;   in Loop: Header=BB357_2093 Depth=1
	v_bfe_u32 v7, v16, 24, 7
	v_mov_b32_e32 v5, 0x7f800001
	s_mov_b32 s16, exec_lo
	s_delay_alu instid0(VALU_DEP_2)
	v_cmpx_ne_u32_e32 0x7f, v7
	s_cbranch_execz .LBB357_2586
; %bb.2583:                             ;   in Loop: Header=BB357_2093 Depth=1
	v_dual_lshrrev_b32 v5, 3, v7 :: v_dual_bitop2_b32 v68, 7, v6 bitop3:0x40
	s_mov_b32 s17, exec_lo
	s_delay_alu instid0(VALU_DEP_1)
	v_mov_b64_e32 v[22:23], v[68:69]
	v_cmpx_gt_u32_e32 8, v7
; %bb.2584:                             ;   in Loop: Header=BB357_2093 Depth=1
	v_clz_i32_u32_e32 v5, v68
	s_delay_alu instid0(VALU_DEP_1) | instskip(NEXT) | instid1(VALU_DEP_1)
	v_min_u32_e32 v5, 32, v5
	v_subrev_nc_u32_e32 v7, 28, v5
	s_delay_alu instid0(VALU_DEP_1) | instskip(NEXT) | instid1(VALU_DEP_1)
	v_lshlrev_b64_e32 v[8:9], v7, v[68:69]
	v_dual_sub_nc_u32 v5, 29, v5 :: v_dual_bitop2_b32 v22, 7, v8 bitop3:0x40
; %bb.2585:                             ;   in Loop: Header=BB357_2093 Depth=1
	s_or_b32 exec_lo, exec_lo, s17
	v_lshlrev_b32_e32 v6, 24, v6
	s_delay_alu instid0(VALU_DEP_2) | instskip(NEXT) | instid1(VALU_DEP_3)
	v_lshlrev_b32_e32 v7, 20, v22
	v_lshl_add_u32 v5, v5, 23, 0x3c000000
	s_delay_alu instid0(VALU_DEP_3) | instskip(NEXT) | instid1(VALU_DEP_1)
	v_and_b32_e32 v6, 0x80000000, v6
	v_or3_b32 v5, v7, v6, v5
.LBB357_2586:                           ;   in Loop: Header=BB357_2093 Depth=1
	s_or_b32 exec_lo, exec_lo, s16
.LBB357_2587:                           ;   in Loop: Header=BB357_2093 Depth=1
	s_delay_alu instid0(SALU_CYCLE_1)
	s_or_b32 exec_lo, exec_lo, s15
.LBB357_2588:                           ;   in Loop: Header=BB357_2093 Depth=1
	s_delay_alu instid0(SALU_CYCLE_1) | instskip(SKIP_4) | instid1(VALU_DEP_3)
	s_or_b32 exec_lo, exec_lo, s14
	v_and_b32_e32 v8, 0xff, v17
	v_dual_mov_b32 v68, v17 :: v_dual_mov_b32 v7, 0
	v_mov_b32_e32 v6, 0
	s_mov_b32 s14, exec_lo
	v_cmpx_ne_u16_e32 0, v8
	s_cbranch_execz .LBB357_2596
; %bb.2589:                             ;   in Loop: Header=BB357_2093 Depth=1
	v_bfrev_b32_e32 v6, 1
	s_mov_b32 s15, exec_lo
	v_cmpx_ne_u16_e32 0x80, v8
	s_cbranch_execz .LBB357_2595
; %bb.2590:                             ;   in Loop: Header=BB357_2093 Depth=1
	v_and_b32_e32 v8, 0x7f, v17
	v_mov_b32_e32 v6, 0x7f800001
	s_mov_b32 s16, exec_lo
	s_delay_alu instid0(VALU_DEP_2)
	v_cmpx_ne_u32_e32 0x7f, v8
	s_cbranch_execz .LBB357_2594
; %bb.2591:                             ;   in Loop: Header=BB357_2093 Depth=1
	v_mov_b64_e32 v[22:23], v[68:69]
	v_lshrrev_b32_e32 v6, 3, v8
	s_mov_b32 s17, exec_lo
	v_cmpx_gt_u32_e32 8, v8
; %bb.2592:                             ;   in Loop: Header=BB357_2093 Depth=1
	v_and_b32_e32 v6, 7, v17
	s_delay_alu instid0(VALU_DEP_1) | instskip(NEXT) | instid1(VALU_DEP_1)
	v_clz_i32_u32_e32 v6, v6
	v_min_u32_e32 v6, 32, v6
	s_delay_alu instid0(VALU_DEP_1) | instskip(SKIP_1) | instid1(VALU_DEP_2)
	v_subrev_nc_u32_e32 v8, 28, v6
	v_sub_nc_u32_e32 v6, 29, v6
	v_lshlrev_b64_e32 v[22:23], v8, v[68:69]
; %bb.2593:                             ;   in Loop: Header=BB357_2093 Depth=1
	s_or_b32 exec_lo, exec_lo, s17
	s_delay_alu instid0(VALU_DEP_1) | instskip(NEXT) | instid1(VALU_DEP_3)
	v_dual_lshlrev_b32 v8, 20, v22 :: v_dual_lshlrev_b32 v9, 24, v68
	v_lshl_add_u32 v6, v6, 23, 0x3c000000
	s_delay_alu instid0(VALU_DEP_2) | instskip(NEXT) | instid1(VALU_DEP_3)
	v_and_b32_e32 v8, 0x700000, v8
	v_and_b32_e32 v9, 0x80000000, v9
	s_delay_alu instid0(VALU_DEP_1)
	v_or3_b32 v6, v8, v9, v6
.LBB357_2594:                           ;   in Loop: Header=BB357_2093 Depth=1
	s_or_b32 exec_lo, exec_lo, s16
.LBB357_2595:                           ;   in Loop: Header=BB357_2093 Depth=1
	s_delay_alu instid0(SALU_CYCLE_1)
	s_or_b32 exec_lo, exec_lo, s15
.LBB357_2596:                           ;   in Loop: Header=BB357_2093 Depth=1
	s_delay_alu instid0(SALU_CYCLE_1) | instskip(SKIP_2) | instid1(VALU_DEP_1)
	s_or_b32 exec_lo, exec_lo, s14
	v_lshrrev_b16 v8, 8, v68
	s_mov_b32 s14, exec_lo
	v_cmpx_ne_u16_e32 0, v8
	s_cbranch_execz .LBB357_2604
; %bb.2597:                             ;   in Loop: Header=BB357_2093 Depth=1
	v_bfrev_b32_e32 v7, 1
	s_mov_b32 s15, exec_lo
	v_cmpx_ne_u16_e32 0x80, v8
	s_cbranch_execz .LBB357_2603
; %bb.2598:                             ;   in Loop: Header=BB357_2093 Depth=1
	v_and_b32_e32 v9, 0xffff, v8
	v_mov_b32_e32 v7, 0x7f800001
	s_mov_b32 s16, exec_lo
	s_delay_alu instid0(VALU_DEP_2) | instskip(NEXT) | instid1(VALU_DEP_1)
	v_and_b32_e32 v8, 0x7f, v9
	v_cmpx_ne_u32_e32 0x7f, v8
	s_cbranch_execz .LBB357_2602
; %bb.2599:                             ;   in Loop: Header=BB357_2093 Depth=1
	v_dual_mov_b32 v23, v69 :: v_dual_bitop2_b32 v22, 7, v9 bitop3:0x40
	v_lshrrev_b32_e32 v7, 3, v8
	s_mov_b32 s17, exec_lo
	v_cmpx_gt_u32_e32 8, v8
; %bb.2600:                             ;   in Loop: Header=BB357_2093 Depth=1
	s_delay_alu instid0(VALU_DEP_3) | instskip(NEXT) | instid1(VALU_DEP_1)
	v_clz_i32_u32_e32 v7, v22
	v_min_u32_e32 v7, 32, v7
	s_delay_alu instid0(VALU_DEP_1) | instskip(NEXT) | instid1(VALU_DEP_1)
	v_subrev_nc_u32_e32 v8, 28, v7
	v_lshlrev_b64_e32 v[8:9], v8, v[22:23]
	s_delay_alu instid0(VALU_DEP_1)
	v_dual_sub_nc_u32 v7, 29, v7 :: v_dual_bitop2_b32 v22, 7, v8 bitop3:0x40
; %bb.2601:                             ;   in Loop: Header=BB357_2093 Depth=1
	s_or_b32 exec_lo, exec_lo, s17
	s_delay_alu instid0(VALU_DEP_1) | instskip(NEXT) | instid1(VALU_DEP_2)
	v_dual_lshlrev_b32 v8, 16, v68 :: v_dual_lshlrev_b32 v9, 20, v22
	v_lshl_add_u32 v7, v7, 23, 0x3c000000
	s_delay_alu instid0(VALU_DEP_2) | instskip(NEXT) | instid1(VALU_DEP_1)
	v_and_b32_e32 v8, 0x80000000, v8
	v_or3_b32 v7, v9, v8, v7
.LBB357_2602:                           ;   in Loop: Header=BB357_2093 Depth=1
	s_or_b32 exec_lo, exec_lo, s16
.LBB357_2603:                           ;   in Loop: Header=BB357_2093 Depth=1
	s_delay_alu instid0(SALU_CYCLE_1)
	s_or_b32 exec_lo, exec_lo, s15
.LBB357_2604:                           ;   in Loop: Header=BB357_2093 Depth=1
	s_delay_alu instid0(SALU_CYCLE_1) | instskip(SKIP_3) | instid1(VALU_DEP_2)
	s_or_b32 exec_lo, exec_lo, s14
	v_dual_lshrrev_b32 v10, 16, v17 :: v_dual_mov_b32 v8, 0
	v_mov_b32_e32 v9, 0
	s_mov_b32 s14, exec_lo
	v_and_b32_e32 v11, 0xff, v10
	s_delay_alu instid0(VALU_DEP_1)
	v_cmpx_ne_u16_e32 0, v11
	s_cbranch_execz .LBB357_2612
; %bb.2605:                             ;   in Loop: Header=BB357_2093 Depth=1
	v_bfrev_b32_e32 v9, 1
	s_mov_b32 s15, exec_lo
	v_cmpx_ne_u16_e32 0x80, v11
	s_cbranch_execz .LBB357_2611
; %bb.2606:                             ;   in Loop: Header=BB357_2093 Depth=1
	v_bfe_u32 v11, v17, 16, 7
	v_mov_b32_e32 v9, 0x7f800001
	s_mov_b32 s16, exec_lo
	s_delay_alu instid0(VALU_DEP_2)
	v_cmpx_ne_u32_e32 0x7f, v11
	s_cbranch_execz .LBB357_2610
; %bb.2607:                             ;   in Loop: Header=BB357_2093 Depth=1
	v_dual_lshrrev_b32 v9, 3, v11 :: v_dual_bitop2_b32 v68, 7, v10 bitop3:0x40
	s_mov_b32 s17, exec_lo
	s_delay_alu instid0(VALU_DEP_1)
	v_mov_b64_e32 v[22:23], v[68:69]
	v_cmpx_gt_u32_e32 8, v11
; %bb.2608:                             ;   in Loop: Header=BB357_2093 Depth=1
	v_clz_i32_u32_e32 v9, v68
	s_delay_alu instid0(VALU_DEP_1) | instskip(NEXT) | instid1(VALU_DEP_1)
	v_min_u32_e32 v9, 32, v9
	v_subrev_nc_u32_e32 v11, 28, v9
	s_delay_alu instid0(VALU_DEP_1) | instskip(NEXT) | instid1(VALU_DEP_1)
	v_lshlrev_b64_e32 v[12:13], v11, v[68:69]
	v_dual_sub_nc_u32 v9, 29, v9 :: v_dual_bitop2_b32 v22, 7, v12 bitop3:0x40
; %bb.2609:                             ;   in Loop: Header=BB357_2093 Depth=1
	s_or_b32 exec_lo, exec_lo, s17
	v_lshlrev_b32_e32 v10, 24, v10
	s_delay_alu instid0(VALU_DEP_2) | instskip(NEXT) | instid1(VALU_DEP_3)
	v_lshlrev_b32_e32 v11, 20, v22
	v_lshl_add_u32 v9, v9, 23, 0x3c000000
	s_delay_alu instid0(VALU_DEP_3) | instskip(NEXT) | instid1(VALU_DEP_1)
	v_and_b32_e32 v10, 0x80000000, v10
	v_or3_b32 v9, v11, v10, v9
.LBB357_2610:                           ;   in Loop: Header=BB357_2093 Depth=1
	s_or_b32 exec_lo, exec_lo, s16
.LBB357_2611:                           ;   in Loop: Header=BB357_2093 Depth=1
	s_delay_alu instid0(SALU_CYCLE_1)
	s_or_b32 exec_lo, exec_lo, s15
.LBB357_2612:                           ;   in Loop: Header=BB357_2093 Depth=1
	s_delay_alu instid0(SALU_CYCLE_1) | instskip(NEXT) | instid1(SALU_CYCLE_1)
	s_or_b32 exec_lo, exec_lo, s14
	s_mov_b32 s14, exec_lo
	v_cmpx_lt_u64_e64 s[2:3], v[16:17]
	s_cbranch_execz .LBB357_2620
; %bb.2613:                             ;   in Loop: Header=BB357_2093 Depth=1
	v_lshrrev_b32_e32 v10, 24, v17
	v_bfrev_b32_e32 v8, 1
	s_mov_b32 s15, exec_lo
	s_delay_alu instid0(VALU_DEP_2)
	v_cmpx_ne_u32_e32 0x80, v10
	s_cbranch_execz .LBB357_2619
; %bb.2614:                             ;   in Loop: Header=BB357_2093 Depth=1
	v_bfe_u32 v11, v17, 24, 7
	v_mov_b32_e32 v8, 0x7f800001
	s_mov_b32 s16, exec_lo
	s_delay_alu instid0(VALU_DEP_2)
	v_cmpx_ne_u32_e32 0x7f, v11
	s_cbranch_execz .LBB357_2618
; %bb.2615:                             ;   in Loop: Header=BB357_2093 Depth=1
	v_dual_lshrrev_b32 v8, 3, v11 :: v_dual_bitop2_b32 v68, 7, v10 bitop3:0x40
	s_mov_b32 s17, exec_lo
	s_delay_alu instid0(VALU_DEP_1)
	v_mov_b64_e32 v[16:17], v[68:69]
	v_cmpx_gt_u32_e32 8, v11
; %bb.2616:                             ;   in Loop: Header=BB357_2093 Depth=1
	v_clz_i32_u32_e32 v8, v68
	s_delay_alu instid0(VALU_DEP_1) | instskip(NEXT) | instid1(VALU_DEP_1)
	v_min_u32_e32 v8, 32, v8
	v_subrev_nc_u32_e32 v11, 28, v8
	v_sub_nc_u32_e32 v8, 29, v8
	s_delay_alu instid0(VALU_DEP_2) | instskip(NEXT) | instid1(VALU_DEP_1)
	v_lshlrev_b64_e32 v[12:13], v11, v[68:69]
	v_and_b32_e32 v16, 7, v12
; %bb.2617:                             ;   in Loop: Header=BB357_2093 Depth=1
	s_or_b32 exec_lo, exec_lo, s17
	s_delay_alu instid0(VALU_DEP_1) | instskip(SKIP_1) | instid1(VALU_DEP_2)
	v_dual_lshlrev_b32 v10, 24, v10 :: v_dual_lshlrev_b32 v11, 20, v16
	v_lshl_add_u32 v8, v8, 23, 0x3c000000
	v_and_b32_e32 v10, 0x80000000, v10
	s_delay_alu instid0(VALU_DEP_1)
	v_or3_b32 v8, v11, v10, v8
.LBB357_2618:                           ;   in Loop: Header=BB357_2093 Depth=1
	s_or_b32 exec_lo, exec_lo, s16
.LBB357_2619:                           ;   in Loop: Header=BB357_2093 Depth=1
	s_delay_alu instid0(SALU_CYCLE_1)
	s_or_b32 exec_lo, exec_lo, s15
.LBB357_2620:                           ;   in Loop: Header=BB357_2093 Depth=1
	s_delay_alu instid0(SALU_CYCLE_1)
	s_or_b32 exec_lo, exec_lo, s14
	v_fma_mixlo_bf16 v2, v75, v2, 0
	v_fma_mixlo_bf16 v7, v75, v7, 0
	;; [unrolled: 1-line block ×5, first 2 shown]
	scratch_store_b32 off, v2, s32 offset:692 ; 4-byte Folded Spill
	s_wait_xcnt 0x0
	v_fma_mixlo_bf16 v2, v75, v9, 0
	s_clause 0x1
	scratch_store_b32 off, v7, s32 offset:664
	scratch_store_b32 off, v6, s32 offset:668
	v_fma_mixlo_bf16 v3, v75, v3, 0
	s_clause 0x1
	scratch_store_b32 off, v5, s32 offset:680
	scratch_store_b32 off, v2, s32 offset:672
	s_wait_xcnt 0x0
	v_fma_mixlo_bf16 v2, v75, v8, 0
	s_clause 0x2
	scratch_store_b32 off, v4, s32 offset:684
	scratch_store_b32 off, v3, s32 offset:688
	;; [unrolled: 1-line block ×3, first 2 shown]
	s_wait_xcnt 0x0
	s_and_saveexec_b32 s14, vcc_lo
	s_cbranch_execz .LBB357_2622
; %bb.2621:                             ;   in Loop: Header=BB357_2093 Depth=1
	scratch_load_b32 v2, off, s32 offset:692 ; 4-byte Folded Reload
	v_cmp_lt_i32_e64 s0, v74, v42
	s_wait_loadcnt 0x0
	s_delay_alu instid0(VALU_DEP_1)
	v_cndmask_b32_e64 v2, 0, v2, s0
	v_cmp_lt_i32_e64 s0, v106, v42
	s_clause 0x1
	scratch_store_b32 off, v2, s32 offset:692
	scratch_load_b32 v2, off, s32 offset:688
	s_wait_loadcnt 0x0
	v_cndmask_b32_e64 v2, 0, v2, s0
	v_cmp_lt_i32_e64 s0, v105, v42
	s_clause 0x1
	scratch_store_b32 off, v2, s32 offset:688
	scratch_load_b32 v2, off, s32 offset:684
	s_wait_loadcnt 0x0
	;; [unrolled: 6-line block ×7, first 2 shown]
	v_cndmask_b32_e64 v2, 0, v2, s0
	scratch_store_b32 off, v2, s32 offset:676 ; 4-byte Folded Spill
.LBB357_2622:                           ;   in Loop: Header=BB357_2093 Depth=1
	s_wait_xcnt 0x0
	s_or_b32 exec_lo, exec_lo, s14
	flat_load_b64 v[16:17], v[18:19] offset:2048
	v_dual_mov_b32 v3, 0 :: v_dual_mov_b32 v2, 0
	s_mov_b32 s14, exec_lo
	s_wait_loadcnt_dscnt 0x0
	v_and_b32_e32 v4, 0xff, v16
	s_wait_xcnt 0x0
	s_delay_alu instid0(VALU_DEP_1)
	v_cmpx_ne_u16_e32 0, v4
	s_cbranch_execz .LBB357_2630
; %bb.2623:                             ;   in Loop: Header=BB357_2093 Depth=1
	v_bfrev_b32_e32 v2, 1
	s_mov_b32 s15, exec_lo
	v_cmpx_ne_u16_e32 0x80, v4
	s_cbranch_execz .LBB357_2629
; %bb.2624:                             ;   in Loop: Header=BB357_2093 Depth=1
	v_and_b32_e32 v4, 0x7f, v16
	v_mov_b32_e32 v2, 0x7f800001
	s_mov_b32 s16, exec_lo
	s_delay_alu instid0(VALU_DEP_2)
	v_cmpx_ne_u32_e32 0x7f, v4
	s_cbranch_execz .LBB357_2628
; %bb.2625:                             ;   in Loop: Header=BB357_2093 Depth=1
	v_mov_b64_e32 v[22:23], v[16:17]
	v_lshrrev_b32_e32 v2, 3, v4
	s_mov_b32 s17, exec_lo
	v_cmpx_gt_u32_e32 8, v4
; %bb.2626:                             ;   in Loop: Header=BB357_2093 Depth=1
	v_and_b32_e32 v2, 7, v16
	s_delay_alu instid0(VALU_DEP_1) | instskip(NEXT) | instid1(VALU_DEP_1)
	v_clz_i32_u32_e32 v2, v2
	v_min_u32_e32 v2, 32, v2
	s_delay_alu instid0(VALU_DEP_1) | instskip(SKIP_1) | instid1(VALU_DEP_2)
	v_subrev_nc_u32_e32 v4, 28, v2
	v_sub_nc_u32_e32 v2, 29, v2
	v_lshlrev_b64_e32 v[22:23], v4, v[16:17]
; %bb.2627:                             ;   in Loop: Header=BB357_2093 Depth=1
	s_or_b32 exec_lo, exec_lo, s17
	s_delay_alu instid0(VALU_DEP_1) | instskip(NEXT) | instid1(VALU_DEP_3)
	v_dual_lshlrev_b32 v4, 20, v22 :: v_dual_lshlrev_b32 v5, 24, v16
	v_lshl_add_u32 v2, v2, 23, 0x3c000000
	s_delay_alu instid0(VALU_DEP_2) | instskip(NEXT) | instid1(VALU_DEP_3)
	v_and_b32_e32 v4, 0x700000, v4
	v_and_b32_e32 v5, 0x80000000, v5
	s_delay_alu instid0(VALU_DEP_1)
	v_or3_b32 v2, v4, v5, v2
.LBB357_2628:                           ;   in Loop: Header=BB357_2093 Depth=1
	s_or_b32 exec_lo, exec_lo, s16
.LBB357_2629:                           ;   in Loop: Header=BB357_2093 Depth=1
	s_delay_alu instid0(SALU_CYCLE_1)
	s_or_b32 exec_lo, exec_lo, s15
.LBB357_2630:                           ;   in Loop: Header=BB357_2093 Depth=1
	s_delay_alu instid0(SALU_CYCLE_1) | instskip(SKIP_2) | instid1(VALU_DEP_1)
	s_or_b32 exec_lo, exec_lo, s14
	v_lshrrev_b16 v4, 8, v16
	s_mov_b32 s14, exec_lo
	v_cmpx_ne_u16_e32 0, v4
	s_cbranch_execz .LBB357_2638
; %bb.2631:                             ;   in Loop: Header=BB357_2093 Depth=1
	v_bfrev_b32_e32 v3, 1
	s_mov_b32 s15, exec_lo
	v_cmpx_ne_u16_e32 0x80, v4
	s_cbranch_execz .LBB357_2637
; %bb.2632:                             ;   in Loop: Header=BB357_2093 Depth=1
	v_and_b32_e32 v5, 0xffff, v4
	v_mov_b32_e32 v3, 0x7f800001
	s_mov_b32 s16, exec_lo
	s_delay_alu instid0(VALU_DEP_2) | instskip(NEXT) | instid1(VALU_DEP_1)
	v_and_b32_e32 v4, 0x7f, v5
	v_cmpx_ne_u32_e32 0x7f, v4
	s_cbranch_execz .LBB357_2636
; %bb.2633:                             ;   in Loop: Header=BB357_2093 Depth=1
	v_dual_lshrrev_b32 v3, 3, v4 :: v_dual_bitop2_b32 v68, 7, v5 bitop3:0x40
	s_mov_b32 s17, exec_lo
	s_delay_alu instid0(VALU_DEP_1)
	v_mov_b64_e32 v[22:23], v[68:69]
	v_cmpx_gt_u32_e32 8, v4
; %bb.2634:                             ;   in Loop: Header=BB357_2093 Depth=1
	v_clz_i32_u32_e32 v3, v68
	s_delay_alu instid0(VALU_DEP_1) | instskip(NEXT) | instid1(VALU_DEP_1)
	v_min_u32_e32 v3, 32, v3
	v_subrev_nc_u32_e32 v4, 28, v3
	s_delay_alu instid0(VALU_DEP_1) | instskip(NEXT) | instid1(VALU_DEP_1)
	v_lshlrev_b64_e32 v[4:5], v4, v[68:69]
	v_dual_sub_nc_u32 v3, 29, v3 :: v_dual_bitop2_b32 v22, 7, v4 bitop3:0x40
; %bb.2635:                             ;   in Loop: Header=BB357_2093 Depth=1
	s_or_b32 exec_lo, exec_lo, s17
	s_delay_alu instid0(VALU_DEP_1) | instskip(NEXT) | instid1(VALU_DEP_2)
	v_dual_lshlrev_b32 v4, 16, v16 :: v_dual_lshlrev_b32 v5, 20, v22
	v_lshl_add_u32 v3, v3, 23, 0x3c000000
	s_delay_alu instid0(VALU_DEP_2) | instskip(NEXT) | instid1(VALU_DEP_1)
	v_and_b32_e32 v4, 0x80000000, v4
	v_or3_b32 v3, v5, v4, v3
.LBB357_2636:                           ;   in Loop: Header=BB357_2093 Depth=1
	s_or_b32 exec_lo, exec_lo, s16
.LBB357_2637:                           ;   in Loop: Header=BB357_2093 Depth=1
	s_delay_alu instid0(SALU_CYCLE_1)
	s_or_b32 exec_lo, exec_lo, s15
.LBB357_2638:                           ;   in Loop: Header=BB357_2093 Depth=1
	s_delay_alu instid0(SALU_CYCLE_1) | instskip(SKIP_3) | instid1(VALU_DEP_2)
	s_or_b32 exec_lo, exec_lo, s14
	v_dual_mov_b32 v5, 0 :: v_dual_lshrrev_b32 v6, 16, v16
	v_mov_b32_e32 v4, 0
	s_mov_b32 s14, exec_lo
	v_and_b32_e32 v7, 0xff, v6
	s_delay_alu instid0(VALU_DEP_1)
	v_cmpx_ne_u16_e32 0, v7
	s_cbranch_execz .LBB357_2646
; %bb.2639:                             ;   in Loop: Header=BB357_2093 Depth=1
	v_bfrev_b32_e32 v4, 1
	s_mov_b32 s15, exec_lo
	v_cmpx_ne_u16_e32 0x80, v7
	s_cbranch_execz .LBB357_2645
; %bb.2640:                             ;   in Loop: Header=BB357_2093 Depth=1
	v_bfe_u32 v7, v16, 16, 7
	v_mov_b32_e32 v4, 0x7f800001
	s_mov_b32 s16, exec_lo
	s_delay_alu instid0(VALU_DEP_2)
	v_cmpx_ne_u32_e32 0x7f, v7
	s_cbranch_execz .LBB357_2644
; %bb.2641:                             ;   in Loop: Header=BB357_2093 Depth=1
	v_dual_lshrrev_b32 v4, 3, v7 :: v_dual_bitop2_b32 v68, 7, v6 bitop3:0x40
	s_mov_b32 s17, exec_lo
	s_delay_alu instid0(VALU_DEP_1)
	v_mov_b64_e32 v[22:23], v[68:69]
	v_cmpx_gt_u32_e32 8, v7
; %bb.2642:                             ;   in Loop: Header=BB357_2093 Depth=1
	v_clz_i32_u32_e32 v4, v68
	s_delay_alu instid0(VALU_DEP_1) | instskip(NEXT) | instid1(VALU_DEP_1)
	v_min_u32_e32 v4, 32, v4
	v_subrev_nc_u32_e32 v7, 28, v4
	v_sub_nc_u32_e32 v4, 29, v4
	s_delay_alu instid0(VALU_DEP_2) | instskip(NEXT) | instid1(VALU_DEP_1)
	v_lshlrev_b64_e32 v[8:9], v7, v[68:69]
	v_and_b32_e32 v22, 7, v8
; %bb.2643:                             ;   in Loop: Header=BB357_2093 Depth=1
	s_or_b32 exec_lo, exec_lo, s17
	v_lshlrev_b32_e32 v6, 24, v6
	s_delay_alu instid0(VALU_DEP_2) | instskip(SKIP_1) | instid1(VALU_DEP_3)
	v_lshlrev_b32_e32 v7, 20, v22
	v_lshl_add_u32 v4, v4, 23, 0x3c000000
	v_and_b32_e32 v6, 0x80000000, v6
	s_delay_alu instid0(VALU_DEP_1)
	v_or3_b32 v4, v7, v6, v4
.LBB357_2644:                           ;   in Loop: Header=BB357_2093 Depth=1
	s_or_b32 exec_lo, exec_lo, s16
.LBB357_2645:                           ;   in Loop: Header=BB357_2093 Depth=1
	s_delay_alu instid0(SALU_CYCLE_1)
	s_or_b32 exec_lo, exec_lo, s15
.LBB357_2646:                           ;   in Loop: Header=BB357_2093 Depth=1
	s_delay_alu instid0(SALU_CYCLE_1) | instskip(NEXT) | instid1(SALU_CYCLE_1)
	s_or_b32 exec_lo, exec_lo, s14
	s_mov_b32 s14, exec_lo
	v_cmpx_lt_u32_e32 0xffffff, v16
	s_cbranch_execz .LBB357_2654
; %bb.2647:                             ;   in Loop: Header=BB357_2093 Depth=1
	v_lshrrev_b32_e32 v6, 24, v16
	v_bfrev_b32_e32 v5, 1
	s_mov_b32 s15, exec_lo
	s_delay_alu instid0(VALU_DEP_2)
	v_cmpx_ne_u32_e32 0x80, v6
	s_cbranch_execz .LBB357_2653
; %bb.2648:                             ;   in Loop: Header=BB357_2093 Depth=1
	v_bfe_u32 v7, v16, 24, 7
	v_mov_b32_e32 v5, 0x7f800001
	s_mov_b32 s16, exec_lo
	s_delay_alu instid0(VALU_DEP_2)
	v_cmpx_ne_u32_e32 0x7f, v7
	s_cbranch_execz .LBB357_2652
; %bb.2649:                             ;   in Loop: Header=BB357_2093 Depth=1
	v_dual_lshrrev_b32 v5, 3, v7 :: v_dual_bitop2_b32 v68, 7, v6 bitop3:0x40
	s_mov_b32 s17, exec_lo
	s_delay_alu instid0(VALU_DEP_1)
	v_mov_b64_e32 v[22:23], v[68:69]
	v_cmpx_gt_u32_e32 8, v7
; %bb.2650:                             ;   in Loop: Header=BB357_2093 Depth=1
	v_clz_i32_u32_e32 v5, v68
	s_delay_alu instid0(VALU_DEP_1) | instskip(NEXT) | instid1(VALU_DEP_1)
	v_min_u32_e32 v5, 32, v5
	v_subrev_nc_u32_e32 v7, 28, v5
	s_delay_alu instid0(VALU_DEP_1) | instskip(NEXT) | instid1(VALU_DEP_1)
	v_lshlrev_b64_e32 v[8:9], v7, v[68:69]
	v_dual_sub_nc_u32 v5, 29, v5 :: v_dual_bitop2_b32 v22, 7, v8 bitop3:0x40
; %bb.2651:                             ;   in Loop: Header=BB357_2093 Depth=1
	s_or_b32 exec_lo, exec_lo, s17
	v_lshlrev_b32_e32 v6, 24, v6
	s_delay_alu instid0(VALU_DEP_2) | instskip(NEXT) | instid1(VALU_DEP_3)
	v_lshlrev_b32_e32 v7, 20, v22
	v_lshl_add_u32 v5, v5, 23, 0x3c000000
	s_delay_alu instid0(VALU_DEP_3) | instskip(NEXT) | instid1(VALU_DEP_1)
	v_and_b32_e32 v6, 0x80000000, v6
	v_or3_b32 v5, v7, v6, v5
.LBB357_2652:                           ;   in Loop: Header=BB357_2093 Depth=1
	s_or_b32 exec_lo, exec_lo, s16
.LBB357_2653:                           ;   in Loop: Header=BB357_2093 Depth=1
	s_delay_alu instid0(SALU_CYCLE_1)
	s_or_b32 exec_lo, exec_lo, s15
.LBB357_2654:                           ;   in Loop: Header=BB357_2093 Depth=1
	s_delay_alu instid0(SALU_CYCLE_1) | instskip(SKIP_4) | instid1(VALU_DEP_3)
	s_or_b32 exec_lo, exec_lo, s14
	v_and_b32_e32 v8, 0xff, v17
	v_dual_mov_b32 v68, v17 :: v_dual_mov_b32 v7, 0
	v_mov_b32_e32 v6, 0
	s_mov_b32 s14, exec_lo
	v_cmpx_ne_u16_e32 0, v8
	s_cbranch_execz .LBB357_2662
; %bb.2655:                             ;   in Loop: Header=BB357_2093 Depth=1
	v_bfrev_b32_e32 v6, 1
	s_mov_b32 s15, exec_lo
	v_cmpx_ne_u16_e32 0x80, v8
	s_cbranch_execz .LBB357_2661
; %bb.2656:                             ;   in Loop: Header=BB357_2093 Depth=1
	v_and_b32_e32 v8, 0x7f, v17
	v_mov_b32_e32 v6, 0x7f800001
	s_mov_b32 s16, exec_lo
	s_delay_alu instid0(VALU_DEP_2)
	v_cmpx_ne_u32_e32 0x7f, v8
	s_cbranch_execz .LBB357_2660
; %bb.2657:                             ;   in Loop: Header=BB357_2093 Depth=1
	v_mov_b64_e32 v[22:23], v[68:69]
	v_lshrrev_b32_e32 v6, 3, v8
	s_mov_b32 s17, exec_lo
	v_cmpx_gt_u32_e32 8, v8
; %bb.2658:                             ;   in Loop: Header=BB357_2093 Depth=1
	v_and_b32_e32 v6, 7, v17
	s_delay_alu instid0(VALU_DEP_1) | instskip(NEXT) | instid1(VALU_DEP_1)
	v_clz_i32_u32_e32 v6, v6
	v_min_u32_e32 v6, 32, v6
	s_delay_alu instid0(VALU_DEP_1) | instskip(SKIP_1) | instid1(VALU_DEP_2)
	v_subrev_nc_u32_e32 v8, 28, v6
	v_sub_nc_u32_e32 v6, 29, v6
	v_lshlrev_b64_e32 v[22:23], v8, v[68:69]
; %bb.2659:                             ;   in Loop: Header=BB357_2093 Depth=1
	s_or_b32 exec_lo, exec_lo, s17
	s_delay_alu instid0(VALU_DEP_1) | instskip(NEXT) | instid1(VALU_DEP_3)
	v_dual_lshlrev_b32 v8, 20, v22 :: v_dual_lshlrev_b32 v9, 24, v68
	v_lshl_add_u32 v6, v6, 23, 0x3c000000
	s_delay_alu instid0(VALU_DEP_2) | instskip(NEXT) | instid1(VALU_DEP_3)
	v_and_b32_e32 v8, 0x700000, v8
	v_and_b32_e32 v9, 0x80000000, v9
	s_delay_alu instid0(VALU_DEP_1)
	v_or3_b32 v6, v8, v9, v6
.LBB357_2660:                           ;   in Loop: Header=BB357_2093 Depth=1
	s_or_b32 exec_lo, exec_lo, s16
.LBB357_2661:                           ;   in Loop: Header=BB357_2093 Depth=1
	s_delay_alu instid0(SALU_CYCLE_1)
	s_or_b32 exec_lo, exec_lo, s15
.LBB357_2662:                           ;   in Loop: Header=BB357_2093 Depth=1
	s_delay_alu instid0(SALU_CYCLE_1) | instskip(SKIP_2) | instid1(VALU_DEP_1)
	s_or_b32 exec_lo, exec_lo, s14
	v_lshrrev_b16 v8, 8, v68
	s_mov_b32 s14, exec_lo
	v_cmpx_ne_u16_e32 0, v8
	s_cbranch_execz .LBB357_2670
; %bb.2663:                             ;   in Loop: Header=BB357_2093 Depth=1
	v_bfrev_b32_e32 v7, 1
	s_mov_b32 s15, exec_lo
	v_cmpx_ne_u16_e32 0x80, v8
	s_cbranch_execz .LBB357_2669
; %bb.2664:                             ;   in Loop: Header=BB357_2093 Depth=1
	v_and_b32_e32 v9, 0xffff, v8
	v_mov_b32_e32 v7, 0x7f800001
	s_mov_b32 s16, exec_lo
	s_delay_alu instid0(VALU_DEP_2) | instskip(NEXT) | instid1(VALU_DEP_1)
	v_and_b32_e32 v8, 0x7f, v9
	v_cmpx_ne_u32_e32 0x7f, v8
	s_cbranch_execz .LBB357_2668
; %bb.2665:                             ;   in Loop: Header=BB357_2093 Depth=1
	v_dual_mov_b32 v23, v69 :: v_dual_bitop2_b32 v22, 7, v9 bitop3:0x40
	v_lshrrev_b32_e32 v7, 3, v8
	s_mov_b32 s17, exec_lo
	v_cmpx_gt_u32_e32 8, v8
; %bb.2666:                             ;   in Loop: Header=BB357_2093 Depth=1
	s_delay_alu instid0(VALU_DEP_3) | instskip(NEXT) | instid1(VALU_DEP_1)
	v_clz_i32_u32_e32 v7, v22
	v_min_u32_e32 v7, 32, v7
	s_delay_alu instid0(VALU_DEP_1) | instskip(NEXT) | instid1(VALU_DEP_1)
	v_subrev_nc_u32_e32 v8, 28, v7
	v_lshlrev_b64_e32 v[8:9], v8, v[22:23]
	s_delay_alu instid0(VALU_DEP_1)
	v_dual_sub_nc_u32 v7, 29, v7 :: v_dual_bitop2_b32 v22, 7, v8 bitop3:0x40
; %bb.2667:                             ;   in Loop: Header=BB357_2093 Depth=1
	s_or_b32 exec_lo, exec_lo, s17
	s_delay_alu instid0(VALU_DEP_1) | instskip(NEXT) | instid1(VALU_DEP_2)
	v_dual_lshlrev_b32 v8, 16, v68 :: v_dual_lshlrev_b32 v9, 20, v22
	v_lshl_add_u32 v7, v7, 23, 0x3c000000
	s_delay_alu instid0(VALU_DEP_2) | instskip(NEXT) | instid1(VALU_DEP_1)
	v_and_b32_e32 v8, 0x80000000, v8
	v_or3_b32 v7, v9, v8, v7
.LBB357_2668:                           ;   in Loop: Header=BB357_2093 Depth=1
	s_or_b32 exec_lo, exec_lo, s16
.LBB357_2669:                           ;   in Loop: Header=BB357_2093 Depth=1
	s_delay_alu instid0(SALU_CYCLE_1)
	s_or_b32 exec_lo, exec_lo, s15
.LBB357_2670:                           ;   in Loop: Header=BB357_2093 Depth=1
	s_delay_alu instid0(SALU_CYCLE_1) | instskip(SKIP_3) | instid1(VALU_DEP_2)
	s_or_b32 exec_lo, exec_lo, s14
	v_dual_lshrrev_b32 v10, 16, v17 :: v_dual_mov_b32 v8, 0
	v_mov_b32_e32 v9, 0
	s_mov_b32 s14, exec_lo
	v_and_b32_e32 v11, 0xff, v10
	s_delay_alu instid0(VALU_DEP_1)
	v_cmpx_ne_u16_e32 0, v11
	s_cbranch_execz .LBB357_2678
; %bb.2671:                             ;   in Loop: Header=BB357_2093 Depth=1
	v_bfrev_b32_e32 v9, 1
	s_mov_b32 s15, exec_lo
	v_cmpx_ne_u16_e32 0x80, v11
	s_cbranch_execz .LBB357_2677
; %bb.2672:                             ;   in Loop: Header=BB357_2093 Depth=1
	v_bfe_u32 v11, v17, 16, 7
	v_mov_b32_e32 v9, 0x7f800001
	s_mov_b32 s16, exec_lo
	s_delay_alu instid0(VALU_DEP_2)
	v_cmpx_ne_u32_e32 0x7f, v11
	s_cbranch_execz .LBB357_2676
; %bb.2673:                             ;   in Loop: Header=BB357_2093 Depth=1
	v_dual_lshrrev_b32 v9, 3, v11 :: v_dual_bitop2_b32 v68, 7, v10 bitop3:0x40
	s_mov_b32 s17, exec_lo
	s_delay_alu instid0(VALU_DEP_1)
	v_mov_b64_e32 v[22:23], v[68:69]
	v_cmpx_gt_u32_e32 8, v11
; %bb.2674:                             ;   in Loop: Header=BB357_2093 Depth=1
	v_clz_i32_u32_e32 v9, v68
	s_delay_alu instid0(VALU_DEP_1) | instskip(NEXT) | instid1(VALU_DEP_1)
	v_min_u32_e32 v9, 32, v9
	v_subrev_nc_u32_e32 v11, 28, v9
	s_delay_alu instid0(VALU_DEP_1) | instskip(NEXT) | instid1(VALU_DEP_1)
	v_lshlrev_b64_e32 v[12:13], v11, v[68:69]
	v_dual_sub_nc_u32 v9, 29, v9 :: v_dual_bitop2_b32 v22, 7, v12 bitop3:0x40
; %bb.2675:                             ;   in Loop: Header=BB357_2093 Depth=1
	s_or_b32 exec_lo, exec_lo, s17
	v_lshlrev_b32_e32 v10, 24, v10
	s_delay_alu instid0(VALU_DEP_2) | instskip(NEXT) | instid1(VALU_DEP_3)
	v_lshlrev_b32_e32 v11, 20, v22
	v_lshl_add_u32 v9, v9, 23, 0x3c000000
	s_delay_alu instid0(VALU_DEP_3) | instskip(NEXT) | instid1(VALU_DEP_1)
	v_and_b32_e32 v10, 0x80000000, v10
	v_or3_b32 v9, v11, v10, v9
.LBB357_2676:                           ;   in Loop: Header=BB357_2093 Depth=1
	s_or_b32 exec_lo, exec_lo, s16
.LBB357_2677:                           ;   in Loop: Header=BB357_2093 Depth=1
	s_delay_alu instid0(SALU_CYCLE_1)
	s_or_b32 exec_lo, exec_lo, s15
.LBB357_2678:                           ;   in Loop: Header=BB357_2093 Depth=1
	s_delay_alu instid0(SALU_CYCLE_1) | instskip(NEXT) | instid1(SALU_CYCLE_1)
	s_or_b32 exec_lo, exec_lo, s14
	s_mov_b32 s14, exec_lo
	v_cmpx_lt_u64_e64 s[2:3], v[16:17]
	s_cbranch_execz .LBB357_2686
; %bb.2679:                             ;   in Loop: Header=BB357_2093 Depth=1
	v_lshrrev_b32_e32 v10, 24, v17
	v_bfrev_b32_e32 v8, 1
	s_mov_b32 s15, exec_lo
	s_delay_alu instid0(VALU_DEP_2)
	v_cmpx_ne_u32_e32 0x80, v10
	s_cbranch_execz .LBB357_2685
; %bb.2680:                             ;   in Loop: Header=BB357_2093 Depth=1
	v_bfe_u32 v11, v17, 24, 7
	v_mov_b32_e32 v8, 0x7f800001
	s_mov_b32 s16, exec_lo
	s_delay_alu instid0(VALU_DEP_2)
	v_cmpx_ne_u32_e32 0x7f, v11
	s_cbranch_execz .LBB357_2684
; %bb.2681:                             ;   in Loop: Header=BB357_2093 Depth=1
	v_dual_lshrrev_b32 v8, 3, v11 :: v_dual_bitop2_b32 v68, 7, v10 bitop3:0x40
	s_mov_b32 s17, exec_lo
	s_delay_alu instid0(VALU_DEP_1)
	v_mov_b64_e32 v[16:17], v[68:69]
	v_cmpx_gt_u32_e32 8, v11
; %bb.2682:                             ;   in Loop: Header=BB357_2093 Depth=1
	v_clz_i32_u32_e32 v8, v68
	s_delay_alu instid0(VALU_DEP_1) | instskip(NEXT) | instid1(VALU_DEP_1)
	v_min_u32_e32 v8, 32, v8
	v_subrev_nc_u32_e32 v11, 28, v8
	v_sub_nc_u32_e32 v8, 29, v8
	s_delay_alu instid0(VALU_DEP_2) | instskip(NEXT) | instid1(VALU_DEP_1)
	v_lshlrev_b64_e32 v[12:13], v11, v[68:69]
	v_and_b32_e32 v16, 7, v12
; %bb.2683:                             ;   in Loop: Header=BB357_2093 Depth=1
	s_or_b32 exec_lo, exec_lo, s17
	s_delay_alu instid0(VALU_DEP_1) | instskip(SKIP_1) | instid1(VALU_DEP_2)
	v_dual_lshlrev_b32 v10, 24, v10 :: v_dual_lshlrev_b32 v11, 20, v16
	v_lshl_add_u32 v8, v8, 23, 0x3c000000
	v_and_b32_e32 v10, 0x80000000, v10
	s_delay_alu instid0(VALU_DEP_1)
	v_or3_b32 v8, v11, v10, v8
.LBB357_2684:                           ;   in Loop: Header=BB357_2093 Depth=1
	s_or_b32 exec_lo, exec_lo, s16
.LBB357_2685:                           ;   in Loop: Header=BB357_2093 Depth=1
	s_delay_alu instid0(SALU_CYCLE_1)
	s_or_b32 exec_lo, exec_lo, s15
.LBB357_2686:                           ;   in Loop: Header=BB357_2093 Depth=1
	s_delay_alu instid0(SALU_CYCLE_1)
	s_or_b32 exec_lo, exec_lo, s14
	v_fma_mixlo_bf16 v2, v75, v2, 0
	v_fma_mixlo_bf16 v7, v75, v7, 0
	;; [unrolled: 1-line block ×5, first 2 shown]
	scratch_store_b32 off, v2, s32 offset:724 ; 4-byte Folded Spill
	s_wait_xcnt 0x0
	v_fma_mixlo_bf16 v2, v75, v9, 0
	s_clause 0x1
	scratch_store_b32 off, v7, s32 offset:696
	scratch_store_b32 off, v6, s32 offset:700
	v_fma_mixlo_bf16 v3, v75, v3, 0
	s_clause 0x1
	scratch_store_b32 off, v5, s32 offset:712
	scratch_store_b32 off, v2, s32 offset:704
	s_wait_xcnt 0x0
	v_fma_mixlo_bf16 v2, v75, v8, 0
	s_clause 0x2
	scratch_store_b32 off, v4, s32 offset:716
	scratch_store_b32 off, v3, s32 offset:720
	;; [unrolled: 1-line block ×3, first 2 shown]
	s_wait_xcnt 0x0
	s_and_saveexec_b32 s14, vcc_lo
	s_cbranch_execz .LBB357_2688
; %bb.2687:                             ;   in Loop: Header=BB357_2093 Depth=1
	scratch_load_b32 v2, off, s32 offset:724 ; 4-byte Folded Reload
	v_cmp_lt_i32_e64 s0, v74, v42
	s_wait_loadcnt 0x0
	s_delay_alu instid0(VALU_DEP_1)
	v_cndmask_b32_e64 v2, 0, v2, s0
	v_cmp_lt_i32_e64 s0, v106, v42
	s_clause 0x1
	scratch_store_b32 off, v2, s32 offset:724
	scratch_load_b32 v2, off, s32 offset:720
	s_wait_loadcnt 0x0
	v_cndmask_b32_e64 v2, 0, v2, s0
	v_cmp_lt_i32_e64 s0, v105, v42
	s_clause 0x1
	scratch_store_b32 off, v2, s32 offset:720
	scratch_load_b32 v2, off, s32 offset:716
	s_wait_loadcnt 0x0
	v_cndmask_b32_e64 v2, 0, v2, s0
	v_cmp_lt_i32_e64 s0, v104, v42
	s_clause 0x1
	scratch_store_b32 off, v2, s32 offset:716
	scratch_load_b32 v2, off, s32 offset:712
	s_wait_loadcnt 0x0
	v_cndmask_b32_e64 v2, 0, v2, s0
	v_cmp_lt_i32_e64 s0, v95, v42
	s_clause 0x1
	scratch_store_b32 off, v2, s32 offset:712
	scratch_load_b32 v2, off, s32 offset:700
	s_wait_loadcnt 0x0
	v_cndmask_b32_e64 v2, 0, v2, s0
	v_cmp_lt_i32_e64 s0, v94, v42
	s_clause 0x1
	scratch_store_b32 off, v2, s32 offset:700
	scratch_load_b32 v2, off, s32 offset:696
	s_wait_loadcnt 0x0
	v_cndmask_b32_e64 v2, 0, v2, s0
	v_cmp_lt_i32_e64 s0, v93, v42
	s_clause 0x1
	scratch_store_b32 off, v2, s32 offset:696
	scratch_load_b32 v2, off, s32 offset:704
	s_wait_loadcnt 0x0
	v_cndmask_b32_e64 v2, 0, v2, s0
	v_cmp_lt_i32_e64 s0, v92, v42
	s_clause 0x1
	scratch_store_b32 off, v2, s32 offset:704
	scratch_load_b32 v2, off, s32 offset:708
	s_wait_loadcnt 0x0
	v_cndmask_b32_e64 v2, 0, v2, s0
	scratch_store_b32 off, v2, s32 offset:708 ; 4-byte Folded Spill
.LBB357_2688:                           ;   in Loop: Header=BB357_2093 Depth=1
	s_wait_xcnt 0x0
	s_or_b32 exec_lo, exec_lo, s14
	flat_load_b64 v[16:17], v[18:19] offset:2304
	v_dual_mov_b32 v3, 0 :: v_dual_mov_b32 v2, 0
	s_mov_b32 s14, exec_lo
	s_wait_loadcnt_dscnt 0x0
	v_and_b32_e32 v4, 0xff, v16
	s_wait_xcnt 0x0
	s_delay_alu instid0(VALU_DEP_1)
	v_cmpx_ne_u16_e32 0, v4
	s_cbranch_execz .LBB357_2696
; %bb.2689:                             ;   in Loop: Header=BB357_2093 Depth=1
	v_bfrev_b32_e32 v2, 1
	s_mov_b32 s15, exec_lo
	v_cmpx_ne_u16_e32 0x80, v4
	s_cbranch_execz .LBB357_2695
; %bb.2690:                             ;   in Loop: Header=BB357_2093 Depth=1
	v_and_b32_e32 v4, 0x7f, v16
	v_mov_b32_e32 v2, 0x7f800001
	s_mov_b32 s16, exec_lo
	s_delay_alu instid0(VALU_DEP_2)
	v_cmpx_ne_u32_e32 0x7f, v4
	s_cbranch_execz .LBB357_2694
; %bb.2691:                             ;   in Loop: Header=BB357_2093 Depth=1
	v_mov_b64_e32 v[22:23], v[16:17]
	v_lshrrev_b32_e32 v2, 3, v4
	s_mov_b32 s17, exec_lo
	v_cmpx_gt_u32_e32 8, v4
; %bb.2692:                             ;   in Loop: Header=BB357_2093 Depth=1
	v_and_b32_e32 v2, 7, v16
	s_delay_alu instid0(VALU_DEP_1) | instskip(NEXT) | instid1(VALU_DEP_1)
	v_clz_i32_u32_e32 v2, v2
	v_min_u32_e32 v2, 32, v2
	s_delay_alu instid0(VALU_DEP_1) | instskip(SKIP_1) | instid1(VALU_DEP_2)
	v_subrev_nc_u32_e32 v4, 28, v2
	v_sub_nc_u32_e32 v2, 29, v2
	v_lshlrev_b64_e32 v[22:23], v4, v[16:17]
; %bb.2693:                             ;   in Loop: Header=BB357_2093 Depth=1
	s_or_b32 exec_lo, exec_lo, s17
	s_delay_alu instid0(VALU_DEP_1) | instskip(NEXT) | instid1(VALU_DEP_3)
	v_dual_lshlrev_b32 v4, 20, v22 :: v_dual_lshlrev_b32 v5, 24, v16
	v_lshl_add_u32 v2, v2, 23, 0x3c000000
	s_delay_alu instid0(VALU_DEP_2) | instskip(NEXT) | instid1(VALU_DEP_3)
	v_and_b32_e32 v4, 0x700000, v4
	v_and_b32_e32 v5, 0x80000000, v5
	s_delay_alu instid0(VALU_DEP_1)
	v_or3_b32 v2, v4, v5, v2
.LBB357_2694:                           ;   in Loop: Header=BB357_2093 Depth=1
	s_or_b32 exec_lo, exec_lo, s16
.LBB357_2695:                           ;   in Loop: Header=BB357_2093 Depth=1
	s_delay_alu instid0(SALU_CYCLE_1)
	s_or_b32 exec_lo, exec_lo, s15
.LBB357_2696:                           ;   in Loop: Header=BB357_2093 Depth=1
	s_delay_alu instid0(SALU_CYCLE_1) | instskip(SKIP_2) | instid1(VALU_DEP_1)
	s_or_b32 exec_lo, exec_lo, s14
	v_lshrrev_b16 v4, 8, v16
	s_mov_b32 s14, exec_lo
	v_cmpx_ne_u16_e32 0, v4
	s_cbranch_execz .LBB357_2704
; %bb.2697:                             ;   in Loop: Header=BB357_2093 Depth=1
	v_bfrev_b32_e32 v3, 1
	s_mov_b32 s15, exec_lo
	v_cmpx_ne_u16_e32 0x80, v4
	s_cbranch_execz .LBB357_2703
; %bb.2698:                             ;   in Loop: Header=BB357_2093 Depth=1
	v_and_b32_e32 v5, 0xffff, v4
	v_mov_b32_e32 v3, 0x7f800001
	s_mov_b32 s16, exec_lo
	s_delay_alu instid0(VALU_DEP_2) | instskip(NEXT) | instid1(VALU_DEP_1)
	v_and_b32_e32 v4, 0x7f, v5
	v_cmpx_ne_u32_e32 0x7f, v4
	s_cbranch_execz .LBB357_2702
; %bb.2699:                             ;   in Loop: Header=BB357_2093 Depth=1
	v_dual_lshrrev_b32 v3, 3, v4 :: v_dual_bitop2_b32 v68, 7, v5 bitop3:0x40
	s_mov_b32 s17, exec_lo
	s_delay_alu instid0(VALU_DEP_1)
	v_mov_b64_e32 v[22:23], v[68:69]
	v_cmpx_gt_u32_e32 8, v4
; %bb.2700:                             ;   in Loop: Header=BB357_2093 Depth=1
	v_clz_i32_u32_e32 v3, v68
	s_delay_alu instid0(VALU_DEP_1) | instskip(NEXT) | instid1(VALU_DEP_1)
	v_min_u32_e32 v3, 32, v3
	v_subrev_nc_u32_e32 v4, 28, v3
	s_delay_alu instid0(VALU_DEP_1) | instskip(NEXT) | instid1(VALU_DEP_1)
	v_lshlrev_b64_e32 v[4:5], v4, v[68:69]
	v_dual_sub_nc_u32 v3, 29, v3 :: v_dual_bitop2_b32 v22, 7, v4 bitop3:0x40
; %bb.2701:                             ;   in Loop: Header=BB357_2093 Depth=1
	s_or_b32 exec_lo, exec_lo, s17
	s_delay_alu instid0(VALU_DEP_1) | instskip(NEXT) | instid1(VALU_DEP_2)
	v_dual_lshlrev_b32 v4, 16, v16 :: v_dual_lshlrev_b32 v5, 20, v22
	v_lshl_add_u32 v3, v3, 23, 0x3c000000
	s_delay_alu instid0(VALU_DEP_2) | instskip(NEXT) | instid1(VALU_DEP_1)
	v_and_b32_e32 v4, 0x80000000, v4
	v_or3_b32 v3, v5, v4, v3
.LBB357_2702:                           ;   in Loop: Header=BB357_2093 Depth=1
	s_or_b32 exec_lo, exec_lo, s16
.LBB357_2703:                           ;   in Loop: Header=BB357_2093 Depth=1
	s_delay_alu instid0(SALU_CYCLE_1)
	s_or_b32 exec_lo, exec_lo, s15
.LBB357_2704:                           ;   in Loop: Header=BB357_2093 Depth=1
	s_delay_alu instid0(SALU_CYCLE_1) | instskip(SKIP_3) | instid1(VALU_DEP_2)
	s_or_b32 exec_lo, exec_lo, s14
	v_dual_mov_b32 v5, 0 :: v_dual_lshrrev_b32 v6, 16, v16
	v_mov_b32_e32 v4, 0
	s_mov_b32 s14, exec_lo
	v_and_b32_e32 v7, 0xff, v6
	s_delay_alu instid0(VALU_DEP_1)
	v_cmpx_ne_u16_e32 0, v7
	s_cbranch_execz .LBB357_2712
; %bb.2705:                             ;   in Loop: Header=BB357_2093 Depth=1
	v_bfrev_b32_e32 v4, 1
	s_mov_b32 s15, exec_lo
	v_cmpx_ne_u16_e32 0x80, v7
	s_cbranch_execz .LBB357_2711
; %bb.2706:                             ;   in Loop: Header=BB357_2093 Depth=1
	v_bfe_u32 v7, v16, 16, 7
	v_mov_b32_e32 v4, 0x7f800001
	s_mov_b32 s16, exec_lo
	s_delay_alu instid0(VALU_DEP_2)
	v_cmpx_ne_u32_e32 0x7f, v7
	s_cbranch_execz .LBB357_2710
; %bb.2707:                             ;   in Loop: Header=BB357_2093 Depth=1
	v_dual_lshrrev_b32 v4, 3, v7 :: v_dual_bitop2_b32 v68, 7, v6 bitop3:0x40
	s_mov_b32 s17, exec_lo
	s_delay_alu instid0(VALU_DEP_1)
	v_mov_b64_e32 v[22:23], v[68:69]
	v_cmpx_gt_u32_e32 8, v7
; %bb.2708:                             ;   in Loop: Header=BB357_2093 Depth=1
	v_clz_i32_u32_e32 v4, v68
	s_delay_alu instid0(VALU_DEP_1) | instskip(NEXT) | instid1(VALU_DEP_1)
	v_min_u32_e32 v4, 32, v4
	v_subrev_nc_u32_e32 v7, 28, v4
	v_sub_nc_u32_e32 v4, 29, v4
	s_delay_alu instid0(VALU_DEP_2) | instskip(NEXT) | instid1(VALU_DEP_1)
	v_lshlrev_b64_e32 v[8:9], v7, v[68:69]
	v_and_b32_e32 v22, 7, v8
; %bb.2709:                             ;   in Loop: Header=BB357_2093 Depth=1
	s_or_b32 exec_lo, exec_lo, s17
	v_lshlrev_b32_e32 v6, 24, v6
	s_delay_alu instid0(VALU_DEP_2) | instskip(SKIP_1) | instid1(VALU_DEP_3)
	v_lshlrev_b32_e32 v7, 20, v22
	v_lshl_add_u32 v4, v4, 23, 0x3c000000
	v_and_b32_e32 v6, 0x80000000, v6
	s_delay_alu instid0(VALU_DEP_1)
	v_or3_b32 v4, v7, v6, v4
.LBB357_2710:                           ;   in Loop: Header=BB357_2093 Depth=1
	s_or_b32 exec_lo, exec_lo, s16
.LBB357_2711:                           ;   in Loop: Header=BB357_2093 Depth=1
	s_delay_alu instid0(SALU_CYCLE_1)
	s_or_b32 exec_lo, exec_lo, s15
.LBB357_2712:                           ;   in Loop: Header=BB357_2093 Depth=1
	s_delay_alu instid0(SALU_CYCLE_1) | instskip(NEXT) | instid1(SALU_CYCLE_1)
	s_or_b32 exec_lo, exec_lo, s14
	s_mov_b32 s14, exec_lo
	v_cmpx_lt_u32_e32 0xffffff, v16
	s_cbranch_execz .LBB357_2720
; %bb.2713:                             ;   in Loop: Header=BB357_2093 Depth=1
	v_lshrrev_b32_e32 v6, 24, v16
	v_bfrev_b32_e32 v5, 1
	s_mov_b32 s15, exec_lo
	s_delay_alu instid0(VALU_DEP_2)
	v_cmpx_ne_u32_e32 0x80, v6
	s_cbranch_execz .LBB357_2719
; %bb.2714:                             ;   in Loop: Header=BB357_2093 Depth=1
	v_bfe_u32 v7, v16, 24, 7
	v_mov_b32_e32 v5, 0x7f800001
	s_mov_b32 s16, exec_lo
	s_delay_alu instid0(VALU_DEP_2)
	v_cmpx_ne_u32_e32 0x7f, v7
	s_cbranch_execz .LBB357_2718
; %bb.2715:                             ;   in Loop: Header=BB357_2093 Depth=1
	v_dual_lshrrev_b32 v5, 3, v7 :: v_dual_bitop2_b32 v68, 7, v6 bitop3:0x40
	s_mov_b32 s17, exec_lo
	s_delay_alu instid0(VALU_DEP_1)
	v_mov_b64_e32 v[22:23], v[68:69]
	v_cmpx_gt_u32_e32 8, v7
; %bb.2716:                             ;   in Loop: Header=BB357_2093 Depth=1
	v_clz_i32_u32_e32 v5, v68
	s_delay_alu instid0(VALU_DEP_1) | instskip(NEXT) | instid1(VALU_DEP_1)
	v_min_u32_e32 v5, 32, v5
	v_subrev_nc_u32_e32 v7, 28, v5
	s_delay_alu instid0(VALU_DEP_1) | instskip(NEXT) | instid1(VALU_DEP_1)
	v_lshlrev_b64_e32 v[8:9], v7, v[68:69]
	v_dual_sub_nc_u32 v5, 29, v5 :: v_dual_bitop2_b32 v22, 7, v8 bitop3:0x40
; %bb.2717:                             ;   in Loop: Header=BB357_2093 Depth=1
	s_or_b32 exec_lo, exec_lo, s17
	v_lshlrev_b32_e32 v6, 24, v6
	s_delay_alu instid0(VALU_DEP_2) | instskip(NEXT) | instid1(VALU_DEP_3)
	v_lshlrev_b32_e32 v7, 20, v22
	v_lshl_add_u32 v5, v5, 23, 0x3c000000
	s_delay_alu instid0(VALU_DEP_3) | instskip(NEXT) | instid1(VALU_DEP_1)
	v_and_b32_e32 v6, 0x80000000, v6
	v_or3_b32 v5, v7, v6, v5
.LBB357_2718:                           ;   in Loop: Header=BB357_2093 Depth=1
	s_or_b32 exec_lo, exec_lo, s16
.LBB357_2719:                           ;   in Loop: Header=BB357_2093 Depth=1
	s_delay_alu instid0(SALU_CYCLE_1)
	s_or_b32 exec_lo, exec_lo, s15
.LBB357_2720:                           ;   in Loop: Header=BB357_2093 Depth=1
	s_delay_alu instid0(SALU_CYCLE_1) | instskip(SKIP_4) | instid1(VALU_DEP_3)
	s_or_b32 exec_lo, exec_lo, s14
	v_and_b32_e32 v8, 0xff, v17
	v_dual_mov_b32 v68, v17 :: v_dual_mov_b32 v7, 0
	v_mov_b32_e32 v6, 0
	s_mov_b32 s14, exec_lo
	v_cmpx_ne_u16_e32 0, v8
	s_cbranch_execz .LBB357_2728
; %bb.2721:                             ;   in Loop: Header=BB357_2093 Depth=1
	v_bfrev_b32_e32 v6, 1
	s_mov_b32 s15, exec_lo
	v_cmpx_ne_u16_e32 0x80, v8
	s_cbranch_execz .LBB357_2727
; %bb.2722:                             ;   in Loop: Header=BB357_2093 Depth=1
	v_and_b32_e32 v8, 0x7f, v17
	v_mov_b32_e32 v6, 0x7f800001
	s_mov_b32 s16, exec_lo
	s_delay_alu instid0(VALU_DEP_2)
	v_cmpx_ne_u32_e32 0x7f, v8
	s_cbranch_execz .LBB357_2726
; %bb.2723:                             ;   in Loop: Header=BB357_2093 Depth=1
	v_mov_b64_e32 v[22:23], v[68:69]
	v_lshrrev_b32_e32 v6, 3, v8
	s_mov_b32 s17, exec_lo
	v_cmpx_gt_u32_e32 8, v8
; %bb.2724:                             ;   in Loop: Header=BB357_2093 Depth=1
	v_and_b32_e32 v6, 7, v17
	s_delay_alu instid0(VALU_DEP_1) | instskip(NEXT) | instid1(VALU_DEP_1)
	v_clz_i32_u32_e32 v6, v6
	v_min_u32_e32 v6, 32, v6
	s_delay_alu instid0(VALU_DEP_1) | instskip(SKIP_1) | instid1(VALU_DEP_2)
	v_subrev_nc_u32_e32 v8, 28, v6
	v_sub_nc_u32_e32 v6, 29, v6
	v_lshlrev_b64_e32 v[22:23], v8, v[68:69]
; %bb.2725:                             ;   in Loop: Header=BB357_2093 Depth=1
	s_or_b32 exec_lo, exec_lo, s17
	s_delay_alu instid0(VALU_DEP_1) | instskip(NEXT) | instid1(VALU_DEP_3)
	v_dual_lshlrev_b32 v8, 20, v22 :: v_dual_lshlrev_b32 v9, 24, v68
	v_lshl_add_u32 v6, v6, 23, 0x3c000000
	s_delay_alu instid0(VALU_DEP_2) | instskip(NEXT) | instid1(VALU_DEP_3)
	v_and_b32_e32 v8, 0x700000, v8
	v_and_b32_e32 v9, 0x80000000, v9
	s_delay_alu instid0(VALU_DEP_1)
	v_or3_b32 v6, v8, v9, v6
.LBB357_2726:                           ;   in Loop: Header=BB357_2093 Depth=1
	s_or_b32 exec_lo, exec_lo, s16
.LBB357_2727:                           ;   in Loop: Header=BB357_2093 Depth=1
	s_delay_alu instid0(SALU_CYCLE_1)
	s_or_b32 exec_lo, exec_lo, s15
.LBB357_2728:                           ;   in Loop: Header=BB357_2093 Depth=1
	s_delay_alu instid0(SALU_CYCLE_1) | instskip(SKIP_2) | instid1(VALU_DEP_1)
	s_or_b32 exec_lo, exec_lo, s14
	v_lshrrev_b16 v8, 8, v68
	s_mov_b32 s14, exec_lo
	v_cmpx_ne_u16_e32 0, v8
	s_cbranch_execz .LBB357_2736
; %bb.2729:                             ;   in Loop: Header=BB357_2093 Depth=1
	v_bfrev_b32_e32 v7, 1
	s_mov_b32 s15, exec_lo
	v_cmpx_ne_u16_e32 0x80, v8
	s_cbranch_execz .LBB357_2735
; %bb.2730:                             ;   in Loop: Header=BB357_2093 Depth=1
	v_and_b32_e32 v9, 0xffff, v8
	v_mov_b32_e32 v7, 0x7f800001
	s_mov_b32 s16, exec_lo
	s_delay_alu instid0(VALU_DEP_2) | instskip(NEXT) | instid1(VALU_DEP_1)
	v_and_b32_e32 v8, 0x7f, v9
	v_cmpx_ne_u32_e32 0x7f, v8
	s_cbranch_execz .LBB357_2734
; %bb.2731:                             ;   in Loop: Header=BB357_2093 Depth=1
	v_dual_mov_b32 v23, v69 :: v_dual_bitop2_b32 v22, 7, v9 bitop3:0x40
	v_lshrrev_b32_e32 v7, 3, v8
	s_mov_b32 s17, exec_lo
	v_cmpx_gt_u32_e32 8, v8
; %bb.2732:                             ;   in Loop: Header=BB357_2093 Depth=1
	s_delay_alu instid0(VALU_DEP_3) | instskip(NEXT) | instid1(VALU_DEP_1)
	v_clz_i32_u32_e32 v7, v22
	v_min_u32_e32 v7, 32, v7
	s_delay_alu instid0(VALU_DEP_1) | instskip(NEXT) | instid1(VALU_DEP_1)
	v_subrev_nc_u32_e32 v8, 28, v7
	v_lshlrev_b64_e32 v[8:9], v8, v[22:23]
	s_delay_alu instid0(VALU_DEP_1)
	v_dual_sub_nc_u32 v7, 29, v7 :: v_dual_bitop2_b32 v22, 7, v8 bitop3:0x40
; %bb.2733:                             ;   in Loop: Header=BB357_2093 Depth=1
	s_or_b32 exec_lo, exec_lo, s17
	s_delay_alu instid0(VALU_DEP_1) | instskip(NEXT) | instid1(VALU_DEP_2)
	v_dual_lshlrev_b32 v8, 16, v68 :: v_dual_lshlrev_b32 v9, 20, v22
	v_lshl_add_u32 v7, v7, 23, 0x3c000000
	s_delay_alu instid0(VALU_DEP_2) | instskip(NEXT) | instid1(VALU_DEP_1)
	v_and_b32_e32 v8, 0x80000000, v8
	v_or3_b32 v7, v9, v8, v7
.LBB357_2734:                           ;   in Loop: Header=BB357_2093 Depth=1
	s_or_b32 exec_lo, exec_lo, s16
.LBB357_2735:                           ;   in Loop: Header=BB357_2093 Depth=1
	s_delay_alu instid0(SALU_CYCLE_1)
	s_or_b32 exec_lo, exec_lo, s15
.LBB357_2736:                           ;   in Loop: Header=BB357_2093 Depth=1
	s_delay_alu instid0(SALU_CYCLE_1) | instskip(SKIP_3) | instid1(VALU_DEP_2)
	s_or_b32 exec_lo, exec_lo, s14
	v_dual_lshrrev_b32 v10, 16, v17 :: v_dual_mov_b32 v8, 0
	v_mov_b32_e32 v9, 0
	s_mov_b32 s14, exec_lo
	v_and_b32_e32 v11, 0xff, v10
	s_delay_alu instid0(VALU_DEP_1)
	v_cmpx_ne_u16_e32 0, v11
	s_cbranch_execz .LBB357_2744
; %bb.2737:                             ;   in Loop: Header=BB357_2093 Depth=1
	v_bfrev_b32_e32 v9, 1
	s_mov_b32 s15, exec_lo
	v_cmpx_ne_u16_e32 0x80, v11
	s_cbranch_execz .LBB357_2743
; %bb.2738:                             ;   in Loop: Header=BB357_2093 Depth=1
	v_bfe_u32 v11, v17, 16, 7
	v_mov_b32_e32 v9, 0x7f800001
	s_mov_b32 s16, exec_lo
	s_delay_alu instid0(VALU_DEP_2)
	v_cmpx_ne_u32_e32 0x7f, v11
	s_cbranch_execz .LBB357_2742
; %bb.2739:                             ;   in Loop: Header=BB357_2093 Depth=1
	v_dual_lshrrev_b32 v9, 3, v11 :: v_dual_bitop2_b32 v68, 7, v10 bitop3:0x40
	s_mov_b32 s17, exec_lo
	s_delay_alu instid0(VALU_DEP_1)
	v_mov_b64_e32 v[22:23], v[68:69]
	v_cmpx_gt_u32_e32 8, v11
; %bb.2740:                             ;   in Loop: Header=BB357_2093 Depth=1
	v_clz_i32_u32_e32 v9, v68
	s_delay_alu instid0(VALU_DEP_1) | instskip(NEXT) | instid1(VALU_DEP_1)
	v_min_u32_e32 v9, 32, v9
	v_subrev_nc_u32_e32 v11, 28, v9
	s_delay_alu instid0(VALU_DEP_1) | instskip(NEXT) | instid1(VALU_DEP_1)
	v_lshlrev_b64_e32 v[12:13], v11, v[68:69]
	v_dual_sub_nc_u32 v9, 29, v9 :: v_dual_bitop2_b32 v22, 7, v12 bitop3:0x40
; %bb.2741:                             ;   in Loop: Header=BB357_2093 Depth=1
	s_or_b32 exec_lo, exec_lo, s17
	v_lshlrev_b32_e32 v10, 24, v10
	s_delay_alu instid0(VALU_DEP_2) | instskip(NEXT) | instid1(VALU_DEP_3)
	v_lshlrev_b32_e32 v11, 20, v22
	v_lshl_add_u32 v9, v9, 23, 0x3c000000
	s_delay_alu instid0(VALU_DEP_3) | instskip(NEXT) | instid1(VALU_DEP_1)
	v_and_b32_e32 v10, 0x80000000, v10
	v_or3_b32 v9, v11, v10, v9
.LBB357_2742:                           ;   in Loop: Header=BB357_2093 Depth=1
	s_or_b32 exec_lo, exec_lo, s16
.LBB357_2743:                           ;   in Loop: Header=BB357_2093 Depth=1
	s_delay_alu instid0(SALU_CYCLE_1)
	s_or_b32 exec_lo, exec_lo, s15
.LBB357_2744:                           ;   in Loop: Header=BB357_2093 Depth=1
	s_delay_alu instid0(SALU_CYCLE_1) | instskip(NEXT) | instid1(SALU_CYCLE_1)
	s_or_b32 exec_lo, exec_lo, s14
	s_mov_b32 s14, exec_lo
	v_cmpx_lt_u64_e64 s[2:3], v[16:17]
	s_cbranch_execz .LBB357_2752
; %bb.2745:                             ;   in Loop: Header=BB357_2093 Depth=1
	v_lshrrev_b32_e32 v10, 24, v17
	v_bfrev_b32_e32 v8, 1
	s_mov_b32 s15, exec_lo
	s_delay_alu instid0(VALU_DEP_2)
	v_cmpx_ne_u32_e32 0x80, v10
	s_cbranch_execz .LBB357_2751
; %bb.2746:                             ;   in Loop: Header=BB357_2093 Depth=1
	v_bfe_u32 v11, v17, 24, 7
	v_mov_b32_e32 v8, 0x7f800001
	s_mov_b32 s16, exec_lo
	s_delay_alu instid0(VALU_DEP_2)
	v_cmpx_ne_u32_e32 0x7f, v11
	s_cbranch_execz .LBB357_2750
; %bb.2747:                             ;   in Loop: Header=BB357_2093 Depth=1
	v_dual_lshrrev_b32 v8, 3, v11 :: v_dual_bitop2_b32 v68, 7, v10 bitop3:0x40
	s_mov_b32 s17, exec_lo
	s_delay_alu instid0(VALU_DEP_1)
	v_mov_b64_e32 v[16:17], v[68:69]
	v_cmpx_gt_u32_e32 8, v11
; %bb.2748:                             ;   in Loop: Header=BB357_2093 Depth=1
	v_clz_i32_u32_e32 v8, v68
	s_delay_alu instid0(VALU_DEP_1) | instskip(NEXT) | instid1(VALU_DEP_1)
	v_min_u32_e32 v8, 32, v8
	v_subrev_nc_u32_e32 v11, 28, v8
	v_sub_nc_u32_e32 v8, 29, v8
	s_delay_alu instid0(VALU_DEP_2) | instskip(NEXT) | instid1(VALU_DEP_1)
	v_lshlrev_b64_e32 v[12:13], v11, v[68:69]
	v_and_b32_e32 v16, 7, v12
; %bb.2749:                             ;   in Loop: Header=BB357_2093 Depth=1
	s_or_b32 exec_lo, exec_lo, s17
	s_delay_alu instid0(VALU_DEP_1) | instskip(SKIP_1) | instid1(VALU_DEP_2)
	v_dual_lshlrev_b32 v10, 24, v10 :: v_dual_lshlrev_b32 v11, 20, v16
	v_lshl_add_u32 v8, v8, 23, 0x3c000000
	v_and_b32_e32 v10, 0x80000000, v10
	s_delay_alu instid0(VALU_DEP_1)
	v_or3_b32 v8, v11, v10, v8
.LBB357_2750:                           ;   in Loop: Header=BB357_2093 Depth=1
	s_or_b32 exec_lo, exec_lo, s16
.LBB357_2751:                           ;   in Loop: Header=BB357_2093 Depth=1
	s_delay_alu instid0(SALU_CYCLE_1)
	s_or_b32 exec_lo, exec_lo, s15
.LBB357_2752:                           ;   in Loop: Header=BB357_2093 Depth=1
	s_delay_alu instid0(SALU_CYCLE_1)
	s_or_b32 exec_lo, exec_lo, s14
	v_fma_mixlo_bf16 v2, v75, v2, 0
	v_fma_mixlo_bf16 v7, v75, v7, 0
	v_fma_mixlo_bf16 v6, v75, v6, 0
	v_fma_mixlo_bf16 v5, v75, v5, 0
	v_fma_mixlo_bf16 v4, v75, v4, 0
	scratch_store_b32 off, v2, s32 offset:760 ; 4-byte Folded Spill
	s_wait_xcnt 0x0
	v_fma_mixlo_bf16 v2, v75, v9, 0
	s_clause 0x1
	scratch_store_b32 off, v7, s32 offset:732
	scratch_store_b32 off, v6, s32 offset:736
	v_fma_mixlo_bf16 v3, v75, v3, 0
	s_clause 0x1
	scratch_store_b32 off, v5, s32 offset:748
	scratch_store_b32 off, v2, s32 offset:740
	s_wait_xcnt 0x0
	v_fma_mixlo_bf16 v2, v75, v8, 0
	s_clause 0x2
	scratch_store_b32 off, v4, s32 offset:752
	scratch_store_b32 off, v3, s32 offset:756
	;; [unrolled: 1-line block ×3, first 2 shown]
	s_wait_xcnt 0x0
	s_and_saveexec_b32 s14, vcc_lo
	s_cbranch_execz .LBB357_2754
; %bb.2753:                             ;   in Loop: Header=BB357_2093 Depth=1
	scratch_load_b32 v2, off, s32 offset:760 ; 4-byte Folded Reload
	v_cmp_lt_i32_e64 s0, v74, v42
	s_wait_loadcnt 0x0
	s_delay_alu instid0(VALU_DEP_1)
	v_cndmask_b32_e64 v2, 0, v2, s0
	v_cmp_lt_i32_e64 s0, v106, v42
	s_clause 0x1
	scratch_store_b32 off, v2, s32 offset:760
	scratch_load_b32 v2, off, s32 offset:756
	s_wait_loadcnt 0x0
	v_cndmask_b32_e64 v2, 0, v2, s0
	v_cmp_lt_i32_e64 s0, v105, v42
	s_clause 0x1
	scratch_store_b32 off, v2, s32 offset:756
	scratch_load_b32 v2, off, s32 offset:752
	s_wait_loadcnt 0x0
	;; [unrolled: 6-line block ×7, first 2 shown]
	v_cndmask_b32_e64 v2, 0, v2, s0
	scratch_store_b32 off, v2, s32 offset:744 ; 4-byte Folded Spill
.LBB357_2754:                           ;   in Loop: Header=BB357_2093 Depth=1
	s_wait_xcnt 0x0
	s_or_b32 exec_lo, exec_lo, s14
	flat_load_b64 v[16:17], v[18:19] offset:2560
	v_dual_mov_b32 v3, 0 :: v_dual_mov_b32 v2, 0
	s_mov_b32 s14, exec_lo
	s_wait_loadcnt_dscnt 0x0
	v_and_b32_e32 v4, 0xff, v16
	s_wait_xcnt 0x0
	s_delay_alu instid0(VALU_DEP_1)
	v_cmpx_ne_u16_e32 0, v4
	s_cbranch_execz .LBB357_2762
; %bb.2755:                             ;   in Loop: Header=BB357_2093 Depth=1
	v_bfrev_b32_e32 v2, 1
	s_mov_b32 s15, exec_lo
	v_cmpx_ne_u16_e32 0x80, v4
	s_cbranch_execz .LBB357_2761
; %bb.2756:                             ;   in Loop: Header=BB357_2093 Depth=1
	v_and_b32_e32 v4, 0x7f, v16
	v_mov_b32_e32 v2, 0x7f800001
	s_mov_b32 s16, exec_lo
	s_delay_alu instid0(VALU_DEP_2)
	v_cmpx_ne_u32_e32 0x7f, v4
	s_cbranch_execz .LBB357_2760
; %bb.2757:                             ;   in Loop: Header=BB357_2093 Depth=1
	v_mov_b64_e32 v[22:23], v[16:17]
	v_lshrrev_b32_e32 v2, 3, v4
	s_mov_b32 s17, exec_lo
	v_cmpx_gt_u32_e32 8, v4
; %bb.2758:                             ;   in Loop: Header=BB357_2093 Depth=1
	v_and_b32_e32 v2, 7, v16
	s_delay_alu instid0(VALU_DEP_1) | instskip(NEXT) | instid1(VALU_DEP_1)
	v_clz_i32_u32_e32 v2, v2
	v_min_u32_e32 v2, 32, v2
	s_delay_alu instid0(VALU_DEP_1) | instskip(SKIP_1) | instid1(VALU_DEP_2)
	v_subrev_nc_u32_e32 v4, 28, v2
	v_sub_nc_u32_e32 v2, 29, v2
	v_lshlrev_b64_e32 v[22:23], v4, v[16:17]
; %bb.2759:                             ;   in Loop: Header=BB357_2093 Depth=1
	s_or_b32 exec_lo, exec_lo, s17
	s_delay_alu instid0(VALU_DEP_1) | instskip(NEXT) | instid1(VALU_DEP_3)
	v_dual_lshlrev_b32 v4, 20, v22 :: v_dual_lshlrev_b32 v5, 24, v16
	v_lshl_add_u32 v2, v2, 23, 0x3c000000
	s_delay_alu instid0(VALU_DEP_2) | instskip(NEXT) | instid1(VALU_DEP_3)
	v_and_b32_e32 v4, 0x700000, v4
	v_and_b32_e32 v5, 0x80000000, v5
	s_delay_alu instid0(VALU_DEP_1)
	v_or3_b32 v2, v4, v5, v2
.LBB357_2760:                           ;   in Loop: Header=BB357_2093 Depth=1
	s_or_b32 exec_lo, exec_lo, s16
.LBB357_2761:                           ;   in Loop: Header=BB357_2093 Depth=1
	s_delay_alu instid0(SALU_CYCLE_1)
	s_or_b32 exec_lo, exec_lo, s15
.LBB357_2762:                           ;   in Loop: Header=BB357_2093 Depth=1
	s_delay_alu instid0(SALU_CYCLE_1) | instskip(SKIP_2) | instid1(VALU_DEP_1)
	s_or_b32 exec_lo, exec_lo, s14
	v_lshrrev_b16 v4, 8, v16
	s_mov_b32 s14, exec_lo
	v_cmpx_ne_u16_e32 0, v4
	s_cbranch_execz .LBB357_2770
; %bb.2763:                             ;   in Loop: Header=BB357_2093 Depth=1
	v_bfrev_b32_e32 v3, 1
	s_mov_b32 s15, exec_lo
	v_cmpx_ne_u16_e32 0x80, v4
	s_cbranch_execz .LBB357_2769
; %bb.2764:                             ;   in Loop: Header=BB357_2093 Depth=1
	v_and_b32_e32 v5, 0xffff, v4
	v_mov_b32_e32 v3, 0x7f800001
	s_mov_b32 s16, exec_lo
	s_delay_alu instid0(VALU_DEP_2) | instskip(NEXT) | instid1(VALU_DEP_1)
	v_and_b32_e32 v4, 0x7f, v5
	v_cmpx_ne_u32_e32 0x7f, v4
	s_cbranch_execz .LBB357_2768
; %bb.2765:                             ;   in Loop: Header=BB357_2093 Depth=1
	v_dual_lshrrev_b32 v3, 3, v4 :: v_dual_bitop2_b32 v68, 7, v5 bitop3:0x40
	s_mov_b32 s17, exec_lo
	s_delay_alu instid0(VALU_DEP_1)
	v_mov_b64_e32 v[22:23], v[68:69]
	v_cmpx_gt_u32_e32 8, v4
; %bb.2766:                             ;   in Loop: Header=BB357_2093 Depth=1
	v_clz_i32_u32_e32 v3, v68
	s_delay_alu instid0(VALU_DEP_1) | instskip(NEXT) | instid1(VALU_DEP_1)
	v_min_u32_e32 v3, 32, v3
	v_subrev_nc_u32_e32 v4, 28, v3
	s_delay_alu instid0(VALU_DEP_1) | instskip(NEXT) | instid1(VALU_DEP_1)
	v_lshlrev_b64_e32 v[4:5], v4, v[68:69]
	v_dual_sub_nc_u32 v3, 29, v3 :: v_dual_bitop2_b32 v22, 7, v4 bitop3:0x40
; %bb.2767:                             ;   in Loop: Header=BB357_2093 Depth=1
	s_or_b32 exec_lo, exec_lo, s17
	s_delay_alu instid0(VALU_DEP_1) | instskip(NEXT) | instid1(VALU_DEP_2)
	v_dual_lshlrev_b32 v4, 16, v16 :: v_dual_lshlrev_b32 v5, 20, v22
	v_lshl_add_u32 v3, v3, 23, 0x3c000000
	s_delay_alu instid0(VALU_DEP_2) | instskip(NEXT) | instid1(VALU_DEP_1)
	v_and_b32_e32 v4, 0x80000000, v4
	v_or3_b32 v3, v5, v4, v3
.LBB357_2768:                           ;   in Loop: Header=BB357_2093 Depth=1
	s_or_b32 exec_lo, exec_lo, s16
.LBB357_2769:                           ;   in Loop: Header=BB357_2093 Depth=1
	s_delay_alu instid0(SALU_CYCLE_1)
	s_or_b32 exec_lo, exec_lo, s15
.LBB357_2770:                           ;   in Loop: Header=BB357_2093 Depth=1
	s_delay_alu instid0(SALU_CYCLE_1) | instskip(SKIP_3) | instid1(VALU_DEP_2)
	s_or_b32 exec_lo, exec_lo, s14
	v_dual_mov_b32 v5, 0 :: v_dual_lshrrev_b32 v6, 16, v16
	v_mov_b32_e32 v4, 0
	s_mov_b32 s14, exec_lo
	v_and_b32_e32 v7, 0xff, v6
	s_delay_alu instid0(VALU_DEP_1)
	v_cmpx_ne_u16_e32 0, v7
	s_cbranch_execz .LBB357_2778
; %bb.2771:                             ;   in Loop: Header=BB357_2093 Depth=1
	v_bfrev_b32_e32 v4, 1
	s_mov_b32 s15, exec_lo
	v_cmpx_ne_u16_e32 0x80, v7
	s_cbranch_execz .LBB357_2777
; %bb.2772:                             ;   in Loop: Header=BB357_2093 Depth=1
	v_bfe_u32 v7, v16, 16, 7
	v_mov_b32_e32 v4, 0x7f800001
	s_mov_b32 s16, exec_lo
	s_delay_alu instid0(VALU_DEP_2)
	v_cmpx_ne_u32_e32 0x7f, v7
	s_cbranch_execz .LBB357_2776
; %bb.2773:                             ;   in Loop: Header=BB357_2093 Depth=1
	v_dual_lshrrev_b32 v4, 3, v7 :: v_dual_bitop2_b32 v68, 7, v6 bitop3:0x40
	s_mov_b32 s17, exec_lo
	s_delay_alu instid0(VALU_DEP_1)
	v_mov_b64_e32 v[22:23], v[68:69]
	v_cmpx_gt_u32_e32 8, v7
; %bb.2774:                             ;   in Loop: Header=BB357_2093 Depth=1
	v_clz_i32_u32_e32 v4, v68
	s_delay_alu instid0(VALU_DEP_1) | instskip(NEXT) | instid1(VALU_DEP_1)
	v_min_u32_e32 v4, 32, v4
	v_subrev_nc_u32_e32 v7, 28, v4
	v_sub_nc_u32_e32 v4, 29, v4
	s_delay_alu instid0(VALU_DEP_2) | instskip(NEXT) | instid1(VALU_DEP_1)
	v_lshlrev_b64_e32 v[8:9], v7, v[68:69]
	v_and_b32_e32 v22, 7, v8
; %bb.2775:                             ;   in Loop: Header=BB357_2093 Depth=1
	s_or_b32 exec_lo, exec_lo, s17
	v_lshlrev_b32_e32 v6, 24, v6
	s_delay_alu instid0(VALU_DEP_2) | instskip(SKIP_1) | instid1(VALU_DEP_3)
	v_lshlrev_b32_e32 v7, 20, v22
	v_lshl_add_u32 v4, v4, 23, 0x3c000000
	v_and_b32_e32 v6, 0x80000000, v6
	s_delay_alu instid0(VALU_DEP_1)
	v_or3_b32 v4, v7, v6, v4
.LBB357_2776:                           ;   in Loop: Header=BB357_2093 Depth=1
	s_or_b32 exec_lo, exec_lo, s16
.LBB357_2777:                           ;   in Loop: Header=BB357_2093 Depth=1
	s_delay_alu instid0(SALU_CYCLE_1)
	s_or_b32 exec_lo, exec_lo, s15
.LBB357_2778:                           ;   in Loop: Header=BB357_2093 Depth=1
	s_delay_alu instid0(SALU_CYCLE_1) | instskip(NEXT) | instid1(SALU_CYCLE_1)
	s_or_b32 exec_lo, exec_lo, s14
	s_mov_b32 s14, exec_lo
	v_cmpx_lt_u32_e32 0xffffff, v16
	s_cbranch_execz .LBB357_2786
; %bb.2779:                             ;   in Loop: Header=BB357_2093 Depth=1
	v_lshrrev_b32_e32 v6, 24, v16
	v_bfrev_b32_e32 v5, 1
	s_mov_b32 s15, exec_lo
	s_delay_alu instid0(VALU_DEP_2)
	v_cmpx_ne_u32_e32 0x80, v6
	s_cbranch_execz .LBB357_2785
; %bb.2780:                             ;   in Loop: Header=BB357_2093 Depth=1
	v_bfe_u32 v7, v16, 24, 7
	v_mov_b32_e32 v5, 0x7f800001
	s_mov_b32 s16, exec_lo
	s_delay_alu instid0(VALU_DEP_2)
	v_cmpx_ne_u32_e32 0x7f, v7
	s_cbranch_execz .LBB357_2784
; %bb.2781:                             ;   in Loop: Header=BB357_2093 Depth=1
	v_dual_lshrrev_b32 v5, 3, v7 :: v_dual_bitop2_b32 v68, 7, v6 bitop3:0x40
	s_mov_b32 s17, exec_lo
	s_delay_alu instid0(VALU_DEP_1)
	v_mov_b64_e32 v[22:23], v[68:69]
	v_cmpx_gt_u32_e32 8, v7
; %bb.2782:                             ;   in Loop: Header=BB357_2093 Depth=1
	v_clz_i32_u32_e32 v5, v68
	s_delay_alu instid0(VALU_DEP_1) | instskip(NEXT) | instid1(VALU_DEP_1)
	v_min_u32_e32 v5, 32, v5
	v_subrev_nc_u32_e32 v7, 28, v5
	s_delay_alu instid0(VALU_DEP_1) | instskip(NEXT) | instid1(VALU_DEP_1)
	v_lshlrev_b64_e32 v[8:9], v7, v[68:69]
	v_dual_sub_nc_u32 v5, 29, v5 :: v_dual_bitop2_b32 v22, 7, v8 bitop3:0x40
; %bb.2783:                             ;   in Loop: Header=BB357_2093 Depth=1
	s_or_b32 exec_lo, exec_lo, s17
	v_lshlrev_b32_e32 v6, 24, v6
	s_delay_alu instid0(VALU_DEP_2) | instskip(NEXT) | instid1(VALU_DEP_3)
	v_lshlrev_b32_e32 v7, 20, v22
	v_lshl_add_u32 v5, v5, 23, 0x3c000000
	s_delay_alu instid0(VALU_DEP_3) | instskip(NEXT) | instid1(VALU_DEP_1)
	v_and_b32_e32 v6, 0x80000000, v6
	v_or3_b32 v5, v7, v6, v5
.LBB357_2784:                           ;   in Loop: Header=BB357_2093 Depth=1
	s_or_b32 exec_lo, exec_lo, s16
.LBB357_2785:                           ;   in Loop: Header=BB357_2093 Depth=1
	s_delay_alu instid0(SALU_CYCLE_1)
	s_or_b32 exec_lo, exec_lo, s15
.LBB357_2786:                           ;   in Loop: Header=BB357_2093 Depth=1
	s_delay_alu instid0(SALU_CYCLE_1) | instskip(SKIP_4) | instid1(VALU_DEP_3)
	s_or_b32 exec_lo, exec_lo, s14
	v_and_b32_e32 v8, 0xff, v17
	v_dual_mov_b32 v68, v17 :: v_dual_mov_b32 v7, 0
	v_mov_b32_e32 v6, 0
	s_mov_b32 s14, exec_lo
	v_cmpx_ne_u16_e32 0, v8
	s_cbranch_execz .LBB357_2794
; %bb.2787:                             ;   in Loop: Header=BB357_2093 Depth=1
	v_bfrev_b32_e32 v6, 1
	s_mov_b32 s15, exec_lo
	v_cmpx_ne_u16_e32 0x80, v8
	s_cbranch_execz .LBB357_2793
; %bb.2788:                             ;   in Loop: Header=BB357_2093 Depth=1
	v_and_b32_e32 v8, 0x7f, v17
	v_mov_b32_e32 v6, 0x7f800001
	s_mov_b32 s16, exec_lo
	s_delay_alu instid0(VALU_DEP_2)
	v_cmpx_ne_u32_e32 0x7f, v8
	s_cbranch_execz .LBB357_2792
; %bb.2789:                             ;   in Loop: Header=BB357_2093 Depth=1
	v_mov_b64_e32 v[22:23], v[68:69]
	v_lshrrev_b32_e32 v6, 3, v8
	s_mov_b32 s17, exec_lo
	v_cmpx_gt_u32_e32 8, v8
; %bb.2790:                             ;   in Loop: Header=BB357_2093 Depth=1
	v_and_b32_e32 v6, 7, v17
	s_delay_alu instid0(VALU_DEP_1) | instskip(NEXT) | instid1(VALU_DEP_1)
	v_clz_i32_u32_e32 v6, v6
	v_min_u32_e32 v6, 32, v6
	s_delay_alu instid0(VALU_DEP_1) | instskip(SKIP_1) | instid1(VALU_DEP_2)
	v_subrev_nc_u32_e32 v8, 28, v6
	v_sub_nc_u32_e32 v6, 29, v6
	v_lshlrev_b64_e32 v[22:23], v8, v[68:69]
; %bb.2791:                             ;   in Loop: Header=BB357_2093 Depth=1
	s_or_b32 exec_lo, exec_lo, s17
	s_delay_alu instid0(VALU_DEP_1) | instskip(NEXT) | instid1(VALU_DEP_3)
	v_dual_lshlrev_b32 v8, 20, v22 :: v_dual_lshlrev_b32 v9, 24, v68
	v_lshl_add_u32 v6, v6, 23, 0x3c000000
	s_delay_alu instid0(VALU_DEP_2) | instskip(NEXT) | instid1(VALU_DEP_3)
	v_and_b32_e32 v8, 0x700000, v8
	v_and_b32_e32 v9, 0x80000000, v9
	s_delay_alu instid0(VALU_DEP_1)
	v_or3_b32 v6, v8, v9, v6
.LBB357_2792:                           ;   in Loop: Header=BB357_2093 Depth=1
	s_or_b32 exec_lo, exec_lo, s16
.LBB357_2793:                           ;   in Loop: Header=BB357_2093 Depth=1
	s_delay_alu instid0(SALU_CYCLE_1)
	s_or_b32 exec_lo, exec_lo, s15
.LBB357_2794:                           ;   in Loop: Header=BB357_2093 Depth=1
	s_delay_alu instid0(SALU_CYCLE_1) | instskip(SKIP_2) | instid1(VALU_DEP_1)
	s_or_b32 exec_lo, exec_lo, s14
	v_lshrrev_b16 v8, 8, v68
	s_mov_b32 s14, exec_lo
	v_cmpx_ne_u16_e32 0, v8
	s_cbranch_execz .LBB357_2802
; %bb.2795:                             ;   in Loop: Header=BB357_2093 Depth=1
	v_bfrev_b32_e32 v7, 1
	s_mov_b32 s15, exec_lo
	v_cmpx_ne_u16_e32 0x80, v8
	s_cbranch_execz .LBB357_2801
; %bb.2796:                             ;   in Loop: Header=BB357_2093 Depth=1
	v_and_b32_e32 v9, 0xffff, v8
	v_mov_b32_e32 v7, 0x7f800001
	s_mov_b32 s16, exec_lo
	s_delay_alu instid0(VALU_DEP_2) | instskip(NEXT) | instid1(VALU_DEP_1)
	v_and_b32_e32 v8, 0x7f, v9
	v_cmpx_ne_u32_e32 0x7f, v8
	s_cbranch_execz .LBB357_2800
; %bb.2797:                             ;   in Loop: Header=BB357_2093 Depth=1
	v_dual_mov_b32 v23, v69 :: v_dual_bitop2_b32 v22, 7, v9 bitop3:0x40
	v_lshrrev_b32_e32 v7, 3, v8
	s_mov_b32 s17, exec_lo
	v_cmpx_gt_u32_e32 8, v8
; %bb.2798:                             ;   in Loop: Header=BB357_2093 Depth=1
	s_delay_alu instid0(VALU_DEP_3) | instskip(NEXT) | instid1(VALU_DEP_1)
	v_clz_i32_u32_e32 v7, v22
	v_min_u32_e32 v7, 32, v7
	s_delay_alu instid0(VALU_DEP_1) | instskip(NEXT) | instid1(VALU_DEP_1)
	v_subrev_nc_u32_e32 v8, 28, v7
	v_lshlrev_b64_e32 v[8:9], v8, v[22:23]
	s_delay_alu instid0(VALU_DEP_1)
	v_dual_sub_nc_u32 v7, 29, v7 :: v_dual_bitop2_b32 v22, 7, v8 bitop3:0x40
; %bb.2799:                             ;   in Loop: Header=BB357_2093 Depth=1
	s_or_b32 exec_lo, exec_lo, s17
	s_delay_alu instid0(VALU_DEP_1) | instskip(NEXT) | instid1(VALU_DEP_2)
	v_dual_lshlrev_b32 v8, 16, v68 :: v_dual_lshlrev_b32 v9, 20, v22
	v_lshl_add_u32 v7, v7, 23, 0x3c000000
	s_delay_alu instid0(VALU_DEP_2) | instskip(NEXT) | instid1(VALU_DEP_1)
	v_and_b32_e32 v8, 0x80000000, v8
	v_or3_b32 v7, v9, v8, v7
.LBB357_2800:                           ;   in Loop: Header=BB357_2093 Depth=1
	s_or_b32 exec_lo, exec_lo, s16
.LBB357_2801:                           ;   in Loop: Header=BB357_2093 Depth=1
	s_delay_alu instid0(SALU_CYCLE_1)
	s_or_b32 exec_lo, exec_lo, s15
.LBB357_2802:                           ;   in Loop: Header=BB357_2093 Depth=1
	s_delay_alu instid0(SALU_CYCLE_1) | instskip(SKIP_3) | instid1(VALU_DEP_2)
	s_or_b32 exec_lo, exec_lo, s14
	v_dual_lshrrev_b32 v10, 16, v17 :: v_dual_mov_b32 v8, 0
	v_mov_b32_e32 v9, 0
	s_mov_b32 s14, exec_lo
	v_and_b32_e32 v11, 0xff, v10
	s_delay_alu instid0(VALU_DEP_1)
	v_cmpx_ne_u16_e32 0, v11
	s_cbranch_execz .LBB357_2810
; %bb.2803:                             ;   in Loop: Header=BB357_2093 Depth=1
	v_bfrev_b32_e32 v9, 1
	s_mov_b32 s15, exec_lo
	v_cmpx_ne_u16_e32 0x80, v11
	s_cbranch_execz .LBB357_2809
; %bb.2804:                             ;   in Loop: Header=BB357_2093 Depth=1
	v_bfe_u32 v11, v17, 16, 7
	v_mov_b32_e32 v9, 0x7f800001
	s_mov_b32 s16, exec_lo
	s_delay_alu instid0(VALU_DEP_2)
	v_cmpx_ne_u32_e32 0x7f, v11
	s_cbranch_execz .LBB357_2808
; %bb.2805:                             ;   in Loop: Header=BB357_2093 Depth=1
	v_dual_lshrrev_b32 v9, 3, v11 :: v_dual_bitop2_b32 v68, 7, v10 bitop3:0x40
	s_mov_b32 s17, exec_lo
	s_delay_alu instid0(VALU_DEP_1)
	v_mov_b64_e32 v[22:23], v[68:69]
	v_cmpx_gt_u32_e32 8, v11
; %bb.2806:                             ;   in Loop: Header=BB357_2093 Depth=1
	v_clz_i32_u32_e32 v9, v68
	s_delay_alu instid0(VALU_DEP_1) | instskip(NEXT) | instid1(VALU_DEP_1)
	v_min_u32_e32 v9, 32, v9
	v_subrev_nc_u32_e32 v11, 28, v9
	s_delay_alu instid0(VALU_DEP_1) | instskip(NEXT) | instid1(VALU_DEP_1)
	v_lshlrev_b64_e32 v[12:13], v11, v[68:69]
	v_dual_sub_nc_u32 v9, 29, v9 :: v_dual_bitop2_b32 v22, 7, v12 bitop3:0x40
; %bb.2807:                             ;   in Loop: Header=BB357_2093 Depth=1
	s_or_b32 exec_lo, exec_lo, s17
	v_lshlrev_b32_e32 v10, 24, v10
	s_delay_alu instid0(VALU_DEP_2) | instskip(NEXT) | instid1(VALU_DEP_3)
	v_lshlrev_b32_e32 v11, 20, v22
	v_lshl_add_u32 v9, v9, 23, 0x3c000000
	s_delay_alu instid0(VALU_DEP_3) | instskip(NEXT) | instid1(VALU_DEP_1)
	v_and_b32_e32 v10, 0x80000000, v10
	v_or3_b32 v9, v11, v10, v9
.LBB357_2808:                           ;   in Loop: Header=BB357_2093 Depth=1
	s_or_b32 exec_lo, exec_lo, s16
.LBB357_2809:                           ;   in Loop: Header=BB357_2093 Depth=1
	s_delay_alu instid0(SALU_CYCLE_1)
	s_or_b32 exec_lo, exec_lo, s15
.LBB357_2810:                           ;   in Loop: Header=BB357_2093 Depth=1
	s_delay_alu instid0(SALU_CYCLE_1) | instskip(NEXT) | instid1(SALU_CYCLE_1)
	s_or_b32 exec_lo, exec_lo, s14
	s_mov_b32 s14, exec_lo
	v_cmpx_lt_u64_e64 s[2:3], v[16:17]
	s_cbranch_execz .LBB357_2818
; %bb.2811:                             ;   in Loop: Header=BB357_2093 Depth=1
	v_lshrrev_b32_e32 v10, 24, v17
	v_bfrev_b32_e32 v8, 1
	s_mov_b32 s15, exec_lo
	s_delay_alu instid0(VALU_DEP_2)
	v_cmpx_ne_u32_e32 0x80, v10
	s_cbranch_execz .LBB357_2817
; %bb.2812:                             ;   in Loop: Header=BB357_2093 Depth=1
	v_bfe_u32 v11, v17, 24, 7
	v_mov_b32_e32 v8, 0x7f800001
	s_mov_b32 s16, exec_lo
	s_delay_alu instid0(VALU_DEP_2)
	v_cmpx_ne_u32_e32 0x7f, v11
	s_cbranch_execz .LBB357_2816
; %bb.2813:                             ;   in Loop: Header=BB357_2093 Depth=1
	v_dual_lshrrev_b32 v8, 3, v11 :: v_dual_bitop2_b32 v68, 7, v10 bitop3:0x40
	s_mov_b32 s17, exec_lo
	s_delay_alu instid0(VALU_DEP_1)
	v_mov_b64_e32 v[16:17], v[68:69]
	v_cmpx_gt_u32_e32 8, v11
; %bb.2814:                             ;   in Loop: Header=BB357_2093 Depth=1
	v_clz_i32_u32_e32 v8, v68
	s_delay_alu instid0(VALU_DEP_1) | instskip(NEXT) | instid1(VALU_DEP_1)
	v_min_u32_e32 v8, 32, v8
	v_subrev_nc_u32_e32 v11, 28, v8
	v_sub_nc_u32_e32 v8, 29, v8
	s_delay_alu instid0(VALU_DEP_2) | instskip(NEXT) | instid1(VALU_DEP_1)
	v_lshlrev_b64_e32 v[12:13], v11, v[68:69]
	v_and_b32_e32 v16, 7, v12
; %bb.2815:                             ;   in Loop: Header=BB357_2093 Depth=1
	s_or_b32 exec_lo, exec_lo, s17
	s_delay_alu instid0(VALU_DEP_1) | instskip(SKIP_1) | instid1(VALU_DEP_2)
	v_dual_lshlrev_b32 v10, 24, v10 :: v_dual_lshlrev_b32 v11, 20, v16
	v_lshl_add_u32 v8, v8, 23, 0x3c000000
	v_and_b32_e32 v10, 0x80000000, v10
	s_delay_alu instid0(VALU_DEP_1)
	v_or3_b32 v8, v11, v10, v8
.LBB357_2816:                           ;   in Loop: Header=BB357_2093 Depth=1
	s_or_b32 exec_lo, exec_lo, s16
.LBB357_2817:                           ;   in Loop: Header=BB357_2093 Depth=1
	s_delay_alu instid0(SALU_CYCLE_1)
	s_or_b32 exec_lo, exec_lo, s15
.LBB357_2818:                           ;   in Loop: Header=BB357_2093 Depth=1
	s_delay_alu instid0(SALU_CYCLE_1)
	s_or_b32 exec_lo, exec_lo, s14
	v_fma_mixlo_bf16 v2, v75, v2, 0
	v_fma_mixlo_bf16 v7, v75, v7, 0
	;; [unrolled: 1-line block ×5, first 2 shown]
	scratch_store_b32 off, v2, s32 offset:804 ; 4-byte Folded Spill
	s_wait_xcnt 0x0
	v_fma_mixlo_bf16 v2, v75, v9, 0
	s_clause 0x4
	scratch_store_b32 off, v7, s32 offset:768
	scratch_store_b32 off, v6, s32 offset:772
	;; [unrolled: 1-line block ×5, first 2 shown]
	v_fma_mixlo_bf16 v3, v75, v3, 0
	s_wait_xcnt 0x0
	v_fma_mixlo_bf16 v2, v75, v8, 0
	s_clause 0x1
	scratch_store_b32 off, v3, s32 offset:800
	scratch_store_b32 off, v2, s32 offset:792
	s_wait_xcnt 0x0
	s_and_saveexec_b32 s14, vcc_lo
	s_cbranch_execz .LBB357_2820
; %bb.2819:                             ;   in Loop: Header=BB357_2093 Depth=1
	scratch_load_b32 v2, off, s32 offset:804 ; 4-byte Folded Reload
	v_cmp_lt_i32_e64 s0, v74, v42
	s_wait_loadcnt 0x0
	s_delay_alu instid0(VALU_DEP_1)
	v_cndmask_b32_e64 v2, 0, v2, s0
	v_cmp_lt_i32_e64 s0, v106, v42
	s_clause 0x1
	scratch_store_b32 off, v2, s32 offset:804
	scratch_load_b32 v2, off, s32 offset:800
	s_wait_loadcnt 0x0
	v_cndmask_b32_e64 v2, 0, v2, s0
	v_cmp_lt_i32_e64 s0, v105, v42
	s_clause 0x1
	scratch_store_b32 off, v2, s32 offset:800
	scratch_load_b32 v2, off, s32 offset:796
	s_wait_loadcnt 0x0
	;; [unrolled: 6-line block ×7, first 2 shown]
	v_cndmask_b32_e64 v2, 0, v2, s0
	scratch_store_b32 off, v2, s32 offset:792 ; 4-byte Folded Spill
.LBB357_2820:                           ;   in Loop: Header=BB357_2093 Depth=1
	s_wait_xcnt 0x0
	s_or_b32 exec_lo, exec_lo, s14
	flat_load_b64 v[16:17], v[18:19] offset:2816
	v_dual_mov_b32 v3, 0 :: v_dual_mov_b32 v2, 0
	s_mov_b32 s14, exec_lo
	s_wait_loadcnt_dscnt 0x0
	v_and_b32_e32 v4, 0xff, v16
	s_wait_xcnt 0x0
	s_delay_alu instid0(VALU_DEP_1)
	v_cmpx_ne_u16_e32 0, v4
	s_cbranch_execz .LBB357_2828
; %bb.2821:                             ;   in Loop: Header=BB357_2093 Depth=1
	v_bfrev_b32_e32 v2, 1
	s_mov_b32 s15, exec_lo
	v_cmpx_ne_u16_e32 0x80, v4
	s_cbranch_execz .LBB357_2827
; %bb.2822:                             ;   in Loop: Header=BB357_2093 Depth=1
	v_and_b32_e32 v4, 0x7f, v16
	v_mov_b32_e32 v2, 0x7f800001
	s_mov_b32 s16, exec_lo
	s_delay_alu instid0(VALU_DEP_2)
	v_cmpx_ne_u32_e32 0x7f, v4
	s_cbranch_execz .LBB357_2826
; %bb.2823:                             ;   in Loop: Header=BB357_2093 Depth=1
	v_mov_b64_e32 v[22:23], v[16:17]
	v_lshrrev_b32_e32 v2, 3, v4
	s_mov_b32 s17, exec_lo
	v_cmpx_gt_u32_e32 8, v4
; %bb.2824:                             ;   in Loop: Header=BB357_2093 Depth=1
	v_and_b32_e32 v2, 7, v16
	s_delay_alu instid0(VALU_DEP_1) | instskip(NEXT) | instid1(VALU_DEP_1)
	v_clz_i32_u32_e32 v2, v2
	v_min_u32_e32 v2, 32, v2
	s_delay_alu instid0(VALU_DEP_1) | instskip(SKIP_1) | instid1(VALU_DEP_2)
	v_subrev_nc_u32_e32 v4, 28, v2
	v_sub_nc_u32_e32 v2, 29, v2
	v_lshlrev_b64_e32 v[22:23], v4, v[16:17]
; %bb.2825:                             ;   in Loop: Header=BB357_2093 Depth=1
	s_or_b32 exec_lo, exec_lo, s17
	s_delay_alu instid0(VALU_DEP_1) | instskip(NEXT) | instid1(VALU_DEP_3)
	v_dual_lshlrev_b32 v4, 20, v22 :: v_dual_lshlrev_b32 v5, 24, v16
	v_lshl_add_u32 v2, v2, 23, 0x3c000000
	s_delay_alu instid0(VALU_DEP_2) | instskip(NEXT) | instid1(VALU_DEP_3)
	v_and_b32_e32 v4, 0x700000, v4
	v_and_b32_e32 v5, 0x80000000, v5
	s_delay_alu instid0(VALU_DEP_1)
	v_or3_b32 v2, v4, v5, v2
.LBB357_2826:                           ;   in Loop: Header=BB357_2093 Depth=1
	s_or_b32 exec_lo, exec_lo, s16
.LBB357_2827:                           ;   in Loop: Header=BB357_2093 Depth=1
	s_delay_alu instid0(SALU_CYCLE_1)
	s_or_b32 exec_lo, exec_lo, s15
.LBB357_2828:                           ;   in Loop: Header=BB357_2093 Depth=1
	s_delay_alu instid0(SALU_CYCLE_1) | instskip(SKIP_2) | instid1(VALU_DEP_1)
	s_or_b32 exec_lo, exec_lo, s14
	v_lshrrev_b16 v4, 8, v16
	s_mov_b32 s14, exec_lo
	v_cmpx_ne_u16_e32 0, v4
	s_cbranch_execz .LBB357_2836
; %bb.2829:                             ;   in Loop: Header=BB357_2093 Depth=1
	v_bfrev_b32_e32 v3, 1
	s_mov_b32 s15, exec_lo
	v_cmpx_ne_u16_e32 0x80, v4
	s_cbranch_execz .LBB357_2835
; %bb.2830:                             ;   in Loop: Header=BB357_2093 Depth=1
	v_and_b32_e32 v5, 0xffff, v4
	v_mov_b32_e32 v3, 0x7f800001
	s_mov_b32 s16, exec_lo
	s_delay_alu instid0(VALU_DEP_2) | instskip(NEXT) | instid1(VALU_DEP_1)
	v_and_b32_e32 v4, 0x7f, v5
	v_cmpx_ne_u32_e32 0x7f, v4
	s_cbranch_execz .LBB357_2834
; %bb.2831:                             ;   in Loop: Header=BB357_2093 Depth=1
	v_dual_lshrrev_b32 v3, 3, v4 :: v_dual_bitop2_b32 v68, 7, v5 bitop3:0x40
	s_mov_b32 s17, exec_lo
	s_delay_alu instid0(VALU_DEP_1)
	v_mov_b64_e32 v[22:23], v[68:69]
	v_cmpx_gt_u32_e32 8, v4
; %bb.2832:                             ;   in Loop: Header=BB357_2093 Depth=1
	v_clz_i32_u32_e32 v3, v68
	s_delay_alu instid0(VALU_DEP_1) | instskip(NEXT) | instid1(VALU_DEP_1)
	v_min_u32_e32 v3, 32, v3
	v_subrev_nc_u32_e32 v4, 28, v3
	s_delay_alu instid0(VALU_DEP_1) | instskip(NEXT) | instid1(VALU_DEP_1)
	v_lshlrev_b64_e32 v[4:5], v4, v[68:69]
	v_dual_sub_nc_u32 v3, 29, v3 :: v_dual_bitop2_b32 v22, 7, v4 bitop3:0x40
; %bb.2833:                             ;   in Loop: Header=BB357_2093 Depth=1
	s_or_b32 exec_lo, exec_lo, s17
	s_delay_alu instid0(VALU_DEP_1) | instskip(NEXT) | instid1(VALU_DEP_2)
	v_dual_lshlrev_b32 v4, 16, v16 :: v_dual_lshlrev_b32 v5, 20, v22
	v_lshl_add_u32 v3, v3, 23, 0x3c000000
	s_delay_alu instid0(VALU_DEP_2) | instskip(NEXT) | instid1(VALU_DEP_1)
	v_and_b32_e32 v4, 0x80000000, v4
	v_or3_b32 v3, v5, v4, v3
.LBB357_2834:                           ;   in Loop: Header=BB357_2093 Depth=1
	s_or_b32 exec_lo, exec_lo, s16
.LBB357_2835:                           ;   in Loop: Header=BB357_2093 Depth=1
	s_delay_alu instid0(SALU_CYCLE_1)
	s_or_b32 exec_lo, exec_lo, s15
.LBB357_2836:                           ;   in Loop: Header=BB357_2093 Depth=1
	s_delay_alu instid0(SALU_CYCLE_1) | instskip(SKIP_3) | instid1(VALU_DEP_2)
	s_or_b32 exec_lo, exec_lo, s14
	v_dual_mov_b32 v5, 0 :: v_dual_lshrrev_b32 v6, 16, v16
	v_mov_b32_e32 v4, 0
	s_mov_b32 s14, exec_lo
	v_and_b32_e32 v7, 0xff, v6
	s_delay_alu instid0(VALU_DEP_1)
	v_cmpx_ne_u16_e32 0, v7
	s_cbranch_execz .LBB357_2844
; %bb.2837:                             ;   in Loop: Header=BB357_2093 Depth=1
	v_bfrev_b32_e32 v4, 1
	s_mov_b32 s15, exec_lo
	v_cmpx_ne_u16_e32 0x80, v7
	s_cbranch_execz .LBB357_2843
; %bb.2838:                             ;   in Loop: Header=BB357_2093 Depth=1
	v_bfe_u32 v7, v16, 16, 7
	v_mov_b32_e32 v4, 0x7f800001
	s_mov_b32 s16, exec_lo
	s_delay_alu instid0(VALU_DEP_2)
	v_cmpx_ne_u32_e32 0x7f, v7
	s_cbranch_execz .LBB357_2842
; %bb.2839:                             ;   in Loop: Header=BB357_2093 Depth=1
	v_dual_lshrrev_b32 v4, 3, v7 :: v_dual_bitop2_b32 v68, 7, v6 bitop3:0x40
	s_mov_b32 s17, exec_lo
	s_delay_alu instid0(VALU_DEP_1)
	v_mov_b64_e32 v[22:23], v[68:69]
	v_cmpx_gt_u32_e32 8, v7
; %bb.2840:                             ;   in Loop: Header=BB357_2093 Depth=1
	v_clz_i32_u32_e32 v4, v68
	s_delay_alu instid0(VALU_DEP_1) | instskip(NEXT) | instid1(VALU_DEP_1)
	v_min_u32_e32 v4, 32, v4
	v_subrev_nc_u32_e32 v7, 28, v4
	v_sub_nc_u32_e32 v4, 29, v4
	s_delay_alu instid0(VALU_DEP_2) | instskip(NEXT) | instid1(VALU_DEP_1)
	v_lshlrev_b64_e32 v[8:9], v7, v[68:69]
	v_and_b32_e32 v22, 7, v8
; %bb.2841:                             ;   in Loop: Header=BB357_2093 Depth=1
	s_or_b32 exec_lo, exec_lo, s17
	v_lshlrev_b32_e32 v6, 24, v6
	s_delay_alu instid0(VALU_DEP_2) | instskip(SKIP_1) | instid1(VALU_DEP_3)
	v_lshlrev_b32_e32 v7, 20, v22
	v_lshl_add_u32 v4, v4, 23, 0x3c000000
	v_and_b32_e32 v6, 0x80000000, v6
	s_delay_alu instid0(VALU_DEP_1)
	v_or3_b32 v4, v7, v6, v4
.LBB357_2842:                           ;   in Loop: Header=BB357_2093 Depth=1
	s_or_b32 exec_lo, exec_lo, s16
.LBB357_2843:                           ;   in Loop: Header=BB357_2093 Depth=1
	s_delay_alu instid0(SALU_CYCLE_1)
	s_or_b32 exec_lo, exec_lo, s15
.LBB357_2844:                           ;   in Loop: Header=BB357_2093 Depth=1
	s_delay_alu instid0(SALU_CYCLE_1) | instskip(NEXT) | instid1(SALU_CYCLE_1)
	s_or_b32 exec_lo, exec_lo, s14
	s_mov_b32 s14, exec_lo
	v_cmpx_lt_u32_e32 0xffffff, v16
	s_cbranch_execz .LBB357_2852
; %bb.2845:                             ;   in Loop: Header=BB357_2093 Depth=1
	v_lshrrev_b32_e32 v6, 24, v16
	v_bfrev_b32_e32 v5, 1
	s_mov_b32 s15, exec_lo
	s_delay_alu instid0(VALU_DEP_2)
	v_cmpx_ne_u32_e32 0x80, v6
	s_cbranch_execz .LBB357_2851
; %bb.2846:                             ;   in Loop: Header=BB357_2093 Depth=1
	v_bfe_u32 v7, v16, 24, 7
	v_mov_b32_e32 v5, 0x7f800001
	s_mov_b32 s16, exec_lo
	s_delay_alu instid0(VALU_DEP_2)
	v_cmpx_ne_u32_e32 0x7f, v7
	s_cbranch_execz .LBB357_2850
; %bb.2847:                             ;   in Loop: Header=BB357_2093 Depth=1
	v_dual_lshrrev_b32 v5, 3, v7 :: v_dual_bitop2_b32 v68, 7, v6 bitop3:0x40
	s_mov_b32 s17, exec_lo
	s_delay_alu instid0(VALU_DEP_1)
	v_mov_b64_e32 v[22:23], v[68:69]
	v_cmpx_gt_u32_e32 8, v7
; %bb.2848:                             ;   in Loop: Header=BB357_2093 Depth=1
	v_clz_i32_u32_e32 v5, v68
	s_delay_alu instid0(VALU_DEP_1) | instskip(NEXT) | instid1(VALU_DEP_1)
	v_min_u32_e32 v5, 32, v5
	v_subrev_nc_u32_e32 v7, 28, v5
	s_delay_alu instid0(VALU_DEP_1) | instskip(NEXT) | instid1(VALU_DEP_1)
	v_lshlrev_b64_e32 v[8:9], v7, v[68:69]
	v_dual_sub_nc_u32 v5, 29, v5 :: v_dual_bitop2_b32 v22, 7, v8 bitop3:0x40
; %bb.2849:                             ;   in Loop: Header=BB357_2093 Depth=1
	s_or_b32 exec_lo, exec_lo, s17
	v_lshlrev_b32_e32 v6, 24, v6
	s_delay_alu instid0(VALU_DEP_2) | instskip(NEXT) | instid1(VALU_DEP_3)
	v_lshlrev_b32_e32 v7, 20, v22
	v_lshl_add_u32 v5, v5, 23, 0x3c000000
	s_delay_alu instid0(VALU_DEP_3) | instskip(NEXT) | instid1(VALU_DEP_1)
	v_and_b32_e32 v6, 0x80000000, v6
	v_or3_b32 v5, v7, v6, v5
.LBB357_2850:                           ;   in Loop: Header=BB357_2093 Depth=1
	s_or_b32 exec_lo, exec_lo, s16
.LBB357_2851:                           ;   in Loop: Header=BB357_2093 Depth=1
	s_delay_alu instid0(SALU_CYCLE_1)
	s_or_b32 exec_lo, exec_lo, s15
.LBB357_2852:                           ;   in Loop: Header=BB357_2093 Depth=1
	s_delay_alu instid0(SALU_CYCLE_1) | instskip(SKIP_4) | instid1(VALU_DEP_3)
	s_or_b32 exec_lo, exec_lo, s14
	v_and_b32_e32 v8, 0xff, v17
	v_dual_mov_b32 v68, v17 :: v_dual_mov_b32 v7, 0
	v_mov_b32_e32 v6, 0
	s_mov_b32 s14, exec_lo
	v_cmpx_ne_u16_e32 0, v8
	s_cbranch_execz .LBB357_2860
; %bb.2853:                             ;   in Loop: Header=BB357_2093 Depth=1
	v_bfrev_b32_e32 v6, 1
	s_mov_b32 s15, exec_lo
	v_cmpx_ne_u16_e32 0x80, v8
	s_cbranch_execz .LBB357_2859
; %bb.2854:                             ;   in Loop: Header=BB357_2093 Depth=1
	v_and_b32_e32 v8, 0x7f, v17
	v_mov_b32_e32 v6, 0x7f800001
	s_mov_b32 s16, exec_lo
	s_delay_alu instid0(VALU_DEP_2)
	v_cmpx_ne_u32_e32 0x7f, v8
	s_cbranch_execz .LBB357_2858
; %bb.2855:                             ;   in Loop: Header=BB357_2093 Depth=1
	v_mov_b64_e32 v[22:23], v[68:69]
	v_lshrrev_b32_e32 v6, 3, v8
	s_mov_b32 s17, exec_lo
	v_cmpx_gt_u32_e32 8, v8
; %bb.2856:                             ;   in Loop: Header=BB357_2093 Depth=1
	v_and_b32_e32 v6, 7, v17
	s_delay_alu instid0(VALU_DEP_1) | instskip(NEXT) | instid1(VALU_DEP_1)
	v_clz_i32_u32_e32 v6, v6
	v_min_u32_e32 v6, 32, v6
	s_delay_alu instid0(VALU_DEP_1) | instskip(SKIP_1) | instid1(VALU_DEP_2)
	v_subrev_nc_u32_e32 v8, 28, v6
	v_sub_nc_u32_e32 v6, 29, v6
	v_lshlrev_b64_e32 v[22:23], v8, v[68:69]
; %bb.2857:                             ;   in Loop: Header=BB357_2093 Depth=1
	s_or_b32 exec_lo, exec_lo, s17
	s_delay_alu instid0(VALU_DEP_1) | instskip(NEXT) | instid1(VALU_DEP_3)
	v_dual_lshlrev_b32 v8, 20, v22 :: v_dual_lshlrev_b32 v9, 24, v68
	v_lshl_add_u32 v6, v6, 23, 0x3c000000
	s_delay_alu instid0(VALU_DEP_2) | instskip(NEXT) | instid1(VALU_DEP_3)
	v_and_b32_e32 v8, 0x700000, v8
	v_and_b32_e32 v9, 0x80000000, v9
	s_delay_alu instid0(VALU_DEP_1)
	v_or3_b32 v6, v8, v9, v6
.LBB357_2858:                           ;   in Loop: Header=BB357_2093 Depth=1
	s_or_b32 exec_lo, exec_lo, s16
.LBB357_2859:                           ;   in Loop: Header=BB357_2093 Depth=1
	s_delay_alu instid0(SALU_CYCLE_1)
	s_or_b32 exec_lo, exec_lo, s15
.LBB357_2860:                           ;   in Loop: Header=BB357_2093 Depth=1
	s_delay_alu instid0(SALU_CYCLE_1) | instskip(SKIP_2) | instid1(VALU_DEP_1)
	s_or_b32 exec_lo, exec_lo, s14
	v_lshrrev_b16 v8, 8, v68
	s_mov_b32 s14, exec_lo
	v_cmpx_ne_u16_e32 0, v8
	s_cbranch_execz .LBB357_2868
; %bb.2861:                             ;   in Loop: Header=BB357_2093 Depth=1
	v_bfrev_b32_e32 v7, 1
	s_mov_b32 s15, exec_lo
	v_cmpx_ne_u16_e32 0x80, v8
	s_cbranch_execz .LBB357_2867
; %bb.2862:                             ;   in Loop: Header=BB357_2093 Depth=1
	v_and_b32_e32 v9, 0xffff, v8
	v_mov_b32_e32 v7, 0x7f800001
	s_mov_b32 s16, exec_lo
	s_delay_alu instid0(VALU_DEP_2) | instskip(NEXT) | instid1(VALU_DEP_1)
	v_and_b32_e32 v8, 0x7f, v9
	v_cmpx_ne_u32_e32 0x7f, v8
	s_cbranch_execz .LBB357_2866
; %bb.2863:                             ;   in Loop: Header=BB357_2093 Depth=1
	v_dual_mov_b32 v23, v69 :: v_dual_bitop2_b32 v22, 7, v9 bitop3:0x40
	v_lshrrev_b32_e32 v7, 3, v8
	s_mov_b32 s17, exec_lo
	v_cmpx_gt_u32_e32 8, v8
; %bb.2864:                             ;   in Loop: Header=BB357_2093 Depth=1
	s_delay_alu instid0(VALU_DEP_3) | instskip(NEXT) | instid1(VALU_DEP_1)
	v_clz_i32_u32_e32 v7, v22
	v_min_u32_e32 v7, 32, v7
	s_delay_alu instid0(VALU_DEP_1) | instskip(NEXT) | instid1(VALU_DEP_1)
	v_subrev_nc_u32_e32 v8, 28, v7
	v_lshlrev_b64_e32 v[8:9], v8, v[22:23]
	s_delay_alu instid0(VALU_DEP_1)
	v_dual_sub_nc_u32 v7, 29, v7 :: v_dual_bitop2_b32 v22, 7, v8 bitop3:0x40
; %bb.2865:                             ;   in Loop: Header=BB357_2093 Depth=1
	s_or_b32 exec_lo, exec_lo, s17
	s_delay_alu instid0(VALU_DEP_1) | instskip(NEXT) | instid1(VALU_DEP_2)
	v_dual_lshlrev_b32 v8, 16, v68 :: v_dual_lshlrev_b32 v9, 20, v22
	v_lshl_add_u32 v7, v7, 23, 0x3c000000
	s_delay_alu instid0(VALU_DEP_2) | instskip(NEXT) | instid1(VALU_DEP_1)
	v_and_b32_e32 v8, 0x80000000, v8
	v_or3_b32 v7, v9, v8, v7
.LBB357_2866:                           ;   in Loop: Header=BB357_2093 Depth=1
	s_or_b32 exec_lo, exec_lo, s16
.LBB357_2867:                           ;   in Loop: Header=BB357_2093 Depth=1
	s_delay_alu instid0(SALU_CYCLE_1)
	s_or_b32 exec_lo, exec_lo, s15
.LBB357_2868:                           ;   in Loop: Header=BB357_2093 Depth=1
	s_delay_alu instid0(SALU_CYCLE_1) | instskip(SKIP_3) | instid1(VALU_DEP_2)
	s_or_b32 exec_lo, exec_lo, s14
	v_dual_lshrrev_b32 v10, 16, v17 :: v_dual_mov_b32 v8, 0
	v_mov_b32_e32 v9, 0
	s_mov_b32 s14, exec_lo
	v_and_b32_e32 v11, 0xff, v10
	s_delay_alu instid0(VALU_DEP_1)
	v_cmpx_ne_u16_e32 0, v11
	s_cbranch_execz .LBB357_2876
; %bb.2869:                             ;   in Loop: Header=BB357_2093 Depth=1
	v_bfrev_b32_e32 v9, 1
	s_mov_b32 s15, exec_lo
	v_cmpx_ne_u16_e32 0x80, v11
	s_cbranch_execz .LBB357_2875
; %bb.2870:                             ;   in Loop: Header=BB357_2093 Depth=1
	v_bfe_u32 v11, v17, 16, 7
	v_mov_b32_e32 v9, 0x7f800001
	s_mov_b32 s16, exec_lo
	s_delay_alu instid0(VALU_DEP_2)
	v_cmpx_ne_u32_e32 0x7f, v11
	s_cbranch_execz .LBB357_2874
; %bb.2871:                             ;   in Loop: Header=BB357_2093 Depth=1
	v_dual_lshrrev_b32 v9, 3, v11 :: v_dual_bitop2_b32 v68, 7, v10 bitop3:0x40
	s_mov_b32 s17, exec_lo
	s_delay_alu instid0(VALU_DEP_1)
	v_mov_b64_e32 v[22:23], v[68:69]
	v_cmpx_gt_u32_e32 8, v11
; %bb.2872:                             ;   in Loop: Header=BB357_2093 Depth=1
	v_clz_i32_u32_e32 v9, v68
	s_delay_alu instid0(VALU_DEP_1) | instskip(NEXT) | instid1(VALU_DEP_1)
	v_min_u32_e32 v9, 32, v9
	v_subrev_nc_u32_e32 v11, 28, v9
	s_delay_alu instid0(VALU_DEP_1) | instskip(NEXT) | instid1(VALU_DEP_1)
	v_lshlrev_b64_e32 v[12:13], v11, v[68:69]
	v_dual_sub_nc_u32 v9, 29, v9 :: v_dual_bitop2_b32 v22, 7, v12 bitop3:0x40
; %bb.2873:                             ;   in Loop: Header=BB357_2093 Depth=1
	s_or_b32 exec_lo, exec_lo, s17
	v_lshlrev_b32_e32 v10, 24, v10
	s_delay_alu instid0(VALU_DEP_2) | instskip(NEXT) | instid1(VALU_DEP_3)
	v_lshlrev_b32_e32 v11, 20, v22
	v_lshl_add_u32 v9, v9, 23, 0x3c000000
	s_delay_alu instid0(VALU_DEP_3) | instskip(NEXT) | instid1(VALU_DEP_1)
	v_and_b32_e32 v10, 0x80000000, v10
	v_or3_b32 v9, v11, v10, v9
.LBB357_2874:                           ;   in Loop: Header=BB357_2093 Depth=1
	s_or_b32 exec_lo, exec_lo, s16
.LBB357_2875:                           ;   in Loop: Header=BB357_2093 Depth=1
	s_delay_alu instid0(SALU_CYCLE_1)
	s_or_b32 exec_lo, exec_lo, s15
.LBB357_2876:                           ;   in Loop: Header=BB357_2093 Depth=1
	s_delay_alu instid0(SALU_CYCLE_1) | instskip(NEXT) | instid1(SALU_CYCLE_1)
	s_or_b32 exec_lo, exec_lo, s14
	s_mov_b32 s14, exec_lo
	v_cmpx_lt_u64_e64 s[2:3], v[16:17]
	s_cbranch_execz .LBB357_2884
; %bb.2877:                             ;   in Loop: Header=BB357_2093 Depth=1
	v_lshrrev_b32_e32 v10, 24, v17
	v_bfrev_b32_e32 v8, 1
	s_mov_b32 s15, exec_lo
	s_delay_alu instid0(VALU_DEP_2)
	v_cmpx_ne_u32_e32 0x80, v10
	s_cbranch_execz .LBB357_2883
; %bb.2878:                             ;   in Loop: Header=BB357_2093 Depth=1
	v_bfe_u32 v11, v17, 24, 7
	v_mov_b32_e32 v8, 0x7f800001
	s_mov_b32 s16, exec_lo
	s_delay_alu instid0(VALU_DEP_2)
	v_cmpx_ne_u32_e32 0x7f, v11
	s_cbranch_execz .LBB357_2882
; %bb.2879:                             ;   in Loop: Header=BB357_2093 Depth=1
	v_dual_lshrrev_b32 v8, 3, v11 :: v_dual_bitop2_b32 v68, 7, v10 bitop3:0x40
	s_mov_b32 s17, exec_lo
	s_delay_alu instid0(VALU_DEP_1)
	v_mov_b64_e32 v[16:17], v[68:69]
	v_cmpx_gt_u32_e32 8, v11
; %bb.2880:                             ;   in Loop: Header=BB357_2093 Depth=1
	v_clz_i32_u32_e32 v8, v68
	s_delay_alu instid0(VALU_DEP_1) | instskip(NEXT) | instid1(VALU_DEP_1)
	v_min_u32_e32 v8, 32, v8
	v_subrev_nc_u32_e32 v11, 28, v8
	v_sub_nc_u32_e32 v8, 29, v8
	s_delay_alu instid0(VALU_DEP_2) | instskip(NEXT) | instid1(VALU_DEP_1)
	v_lshlrev_b64_e32 v[12:13], v11, v[68:69]
	v_and_b32_e32 v16, 7, v12
; %bb.2881:                             ;   in Loop: Header=BB357_2093 Depth=1
	s_or_b32 exec_lo, exec_lo, s17
	s_delay_alu instid0(VALU_DEP_1) | instskip(SKIP_1) | instid1(VALU_DEP_2)
	v_dual_lshlrev_b32 v10, 24, v10 :: v_dual_lshlrev_b32 v11, 20, v16
	v_lshl_add_u32 v8, v8, 23, 0x3c000000
	v_and_b32_e32 v10, 0x80000000, v10
	s_delay_alu instid0(VALU_DEP_1)
	v_or3_b32 v8, v11, v10, v8
.LBB357_2882:                           ;   in Loop: Header=BB357_2093 Depth=1
	s_or_b32 exec_lo, exec_lo, s16
.LBB357_2883:                           ;   in Loop: Header=BB357_2093 Depth=1
	s_delay_alu instid0(SALU_CYCLE_1)
	s_or_b32 exec_lo, exec_lo, s15
.LBB357_2884:                           ;   in Loop: Header=BB357_2093 Depth=1
	s_delay_alu instid0(SALU_CYCLE_1)
	s_or_b32 exec_lo, exec_lo, s14
	v_fma_mixlo_bf16 v2, v75, v2, 0
	v_fma_mixlo_bf16 v7, v75, v7, 0
	;; [unrolled: 1-line block ×5, first 2 shown]
	scratch_store_b32 off, v2, s32 offset:860 ; 4-byte Folded Spill
	s_wait_xcnt 0x0
	v_fma_mixlo_bf16 v2, v75, v9, 0
	s_clause 0x1
	scratch_store_b32 off, v7, s32 offset:812
	scratch_store_b32 off, v6, s32 offset:816
	v_fma_mixlo_bf16 v3, v75, v3, 0
	s_clause 0x1
	scratch_store_b32 off, v5, s32 offset:836
	scratch_store_b32 off, v2, s32 offset:820
	s_wait_xcnt 0x0
	v_fma_mixlo_bf16 v2, v75, v8, 0
	s_clause 0x2
	scratch_store_b32 off, v4, s32 offset:844
	scratch_store_b32 off, v3, s32 offset:852
	;; [unrolled: 1-line block ×3, first 2 shown]
	s_wait_xcnt 0x0
	s_and_saveexec_b32 s14, vcc_lo
	s_cbranch_execz .LBB357_2886
; %bb.2885:                             ;   in Loop: Header=BB357_2093 Depth=1
	scratch_load_b32 v2, off, s32 offset:860 ; 4-byte Folded Reload
	v_cmp_lt_i32_e64 s0, v74, v42
	s_wait_loadcnt 0x0
	s_delay_alu instid0(VALU_DEP_1)
	v_cndmask_b32_e64 v2, 0, v2, s0
	v_cmp_lt_i32_e64 s0, v106, v42
	s_clause 0x1
	scratch_store_b32 off, v2, s32 offset:860
	scratch_load_b32 v2, off, s32 offset:852
	s_wait_loadcnt 0x0
	v_cndmask_b32_e64 v2, 0, v2, s0
	v_cmp_lt_i32_e64 s0, v105, v42
	s_clause 0x1
	scratch_store_b32 off, v2, s32 offset:852
	scratch_load_b32 v2, off, s32 offset:844
	s_wait_loadcnt 0x0
	;; [unrolled: 6-line block ×7, first 2 shown]
	v_cndmask_b32_e64 v2, 0, v2, s0
	scratch_store_b32 off, v2, s32 offset:828 ; 4-byte Folded Spill
.LBB357_2886:                           ;   in Loop: Header=BB357_2093 Depth=1
	s_wait_xcnt 0x0
	s_or_b32 exec_lo, exec_lo, s14
	flat_load_b64 v[16:17], v[18:19] offset:3072
	v_dual_mov_b32 v3, 0 :: v_dual_mov_b32 v2, 0
	s_mov_b32 s14, exec_lo
	s_wait_loadcnt_dscnt 0x0
	v_and_b32_e32 v4, 0xff, v16
	s_wait_xcnt 0x0
	s_delay_alu instid0(VALU_DEP_1)
	v_cmpx_ne_u16_e32 0, v4
	s_cbranch_execz .LBB357_2894
; %bb.2887:                             ;   in Loop: Header=BB357_2093 Depth=1
	v_bfrev_b32_e32 v2, 1
	s_mov_b32 s15, exec_lo
	v_cmpx_ne_u16_e32 0x80, v4
	s_cbranch_execz .LBB357_2893
; %bb.2888:                             ;   in Loop: Header=BB357_2093 Depth=1
	v_and_b32_e32 v4, 0x7f, v16
	v_mov_b32_e32 v2, 0x7f800001
	s_mov_b32 s16, exec_lo
	s_delay_alu instid0(VALU_DEP_2)
	v_cmpx_ne_u32_e32 0x7f, v4
	s_cbranch_execz .LBB357_2892
; %bb.2889:                             ;   in Loop: Header=BB357_2093 Depth=1
	v_mov_b64_e32 v[22:23], v[16:17]
	v_lshrrev_b32_e32 v2, 3, v4
	s_mov_b32 s17, exec_lo
	v_cmpx_gt_u32_e32 8, v4
; %bb.2890:                             ;   in Loop: Header=BB357_2093 Depth=1
	v_and_b32_e32 v2, 7, v16
	s_delay_alu instid0(VALU_DEP_1) | instskip(NEXT) | instid1(VALU_DEP_1)
	v_clz_i32_u32_e32 v2, v2
	v_min_u32_e32 v2, 32, v2
	s_delay_alu instid0(VALU_DEP_1) | instskip(SKIP_1) | instid1(VALU_DEP_2)
	v_subrev_nc_u32_e32 v4, 28, v2
	v_sub_nc_u32_e32 v2, 29, v2
	v_lshlrev_b64_e32 v[22:23], v4, v[16:17]
; %bb.2891:                             ;   in Loop: Header=BB357_2093 Depth=1
	s_or_b32 exec_lo, exec_lo, s17
	s_delay_alu instid0(VALU_DEP_1) | instskip(NEXT) | instid1(VALU_DEP_3)
	v_dual_lshlrev_b32 v4, 20, v22 :: v_dual_lshlrev_b32 v5, 24, v16
	v_lshl_add_u32 v2, v2, 23, 0x3c000000
	s_delay_alu instid0(VALU_DEP_2) | instskip(NEXT) | instid1(VALU_DEP_3)
	v_and_b32_e32 v4, 0x700000, v4
	v_and_b32_e32 v5, 0x80000000, v5
	s_delay_alu instid0(VALU_DEP_1)
	v_or3_b32 v2, v4, v5, v2
.LBB357_2892:                           ;   in Loop: Header=BB357_2093 Depth=1
	s_or_b32 exec_lo, exec_lo, s16
.LBB357_2893:                           ;   in Loop: Header=BB357_2093 Depth=1
	s_delay_alu instid0(SALU_CYCLE_1)
	s_or_b32 exec_lo, exec_lo, s15
.LBB357_2894:                           ;   in Loop: Header=BB357_2093 Depth=1
	s_delay_alu instid0(SALU_CYCLE_1) | instskip(SKIP_2) | instid1(VALU_DEP_1)
	s_or_b32 exec_lo, exec_lo, s14
	v_lshrrev_b16 v4, 8, v16
	s_mov_b32 s14, exec_lo
	v_cmpx_ne_u16_e32 0, v4
	s_cbranch_execz .LBB357_2902
; %bb.2895:                             ;   in Loop: Header=BB357_2093 Depth=1
	v_bfrev_b32_e32 v3, 1
	s_mov_b32 s15, exec_lo
	v_cmpx_ne_u16_e32 0x80, v4
	s_cbranch_execz .LBB357_2901
; %bb.2896:                             ;   in Loop: Header=BB357_2093 Depth=1
	v_and_b32_e32 v5, 0xffff, v4
	v_mov_b32_e32 v3, 0x7f800001
	s_mov_b32 s16, exec_lo
	s_delay_alu instid0(VALU_DEP_2) | instskip(NEXT) | instid1(VALU_DEP_1)
	v_and_b32_e32 v4, 0x7f, v5
	v_cmpx_ne_u32_e32 0x7f, v4
	s_cbranch_execz .LBB357_2900
; %bb.2897:                             ;   in Loop: Header=BB357_2093 Depth=1
	v_dual_lshrrev_b32 v3, 3, v4 :: v_dual_bitop2_b32 v68, 7, v5 bitop3:0x40
	s_mov_b32 s17, exec_lo
	s_delay_alu instid0(VALU_DEP_1)
	v_mov_b64_e32 v[22:23], v[68:69]
	v_cmpx_gt_u32_e32 8, v4
; %bb.2898:                             ;   in Loop: Header=BB357_2093 Depth=1
	v_clz_i32_u32_e32 v3, v68
	s_delay_alu instid0(VALU_DEP_1) | instskip(NEXT) | instid1(VALU_DEP_1)
	v_min_u32_e32 v3, 32, v3
	v_subrev_nc_u32_e32 v4, 28, v3
	s_delay_alu instid0(VALU_DEP_1) | instskip(NEXT) | instid1(VALU_DEP_1)
	v_lshlrev_b64_e32 v[4:5], v4, v[68:69]
	v_dual_sub_nc_u32 v3, 29, v3 :: v_dual_bitop2_b32 v22, 7, v4 bitop3:0x40
; %bb.2899:                             ;   in Loop: Header=BB357_2093 Depth=1
	s_or_b32 exec_lo, exec_lo, s17
	s_delay_alu instid0(VALU_DEP_1) | instskip(NEXT) | instid1(VALU_DEP_2)
	v_dual_lshlrev_b32 v4, 16, v16 :: v_dual_lshlrev_b32 v5, 20, v22
	v_lshl_add_u32 v3, v3, 23, 0x3c000000
	s_delay_alu instid0(VALU_DEP_2) | instskip(NEXT) | instid1(VALU_DEP_1)
	v_and_b32_e32 v4, 0x80000000, v4
	v_or3_b32 v3, v5, v4, v3
.LBB357_2900:                           ;   in Loop: Header=BB357_2093 Depth=1
	s_or_b32 exec_lo, exec_lo, s16
.LBB357_2901:                           ;   in Loop: Header=BB357_2093 Depth=1
	s_delay_alu instid0(SALU_CYCLE_1)
	s_or_b32 exec_lo, exec_lo, s15
.LBB357_2902:                           ;   in Loop: Header=BB357_2093 Depth=1
	s_delay_alu instid0(SALU_CYCLE_1) | instskip(SKIP_3) | instid1(VALU_DEP_2)
	s_or_b32 exec_lo, exec_lo, s14
	v_dual_mov_b32 v5, 0 :: v_dual_lshrrev_b32 v6, 16, v16
	v_mov_b32_e32 v4, 0
	s_mov_b32 s14, exec_lo
	v_and_b32_e32 v7, 0xff, v6
	s_delay_alu instid0(VALU_DEP_1)
	v_cmpx_ne_u16_e32 0, v7
	s_cbranch_execz .LBB357_2910
; %bb.2903:                             ;   in Loop: Header=BB357_2093 Depth=1
	v_bfrev_b32_e32 v4, 1
	s_mov_b32 s15, exec_lo
	v_cmpx_ne_u16_e32 0x80, v7
	s_cbranch_execz .LBB357_2909
; %bb.2904:                             ;   in Loop: Header=BB357_2093 Depth=1
	v_bfe_u32 v7, v16, 16, 7
	v_mov_b32_e32 v4, 0x7f800001
	s_mov_b32 s16, exec_lo
	s_delay_alu instid0(VALU_DEP_2)
	v_cmpx_ne_u32_e32 0x7f, v7
	s_cbranch_execz .LBB357_2908
; %bb.2905:                             ;   in Loop: Header=BB357_2093 Depth=1
	v_dual_lshrrev_b32 v4, 3, v7 :: v_dual_bitop2_b32 v68, 7, v6 bitop3:0x40
	s_mov_b32 s17, exec_lo
	s_delay_alu instid0(VALU_DEP_1)
	v_mov_b64_e32 v[22:23], v[68:69]
	v_cmpx_gt_u32_e32 8, v7
; %bb.2906:                             ;   in Loop: Header=BB357_2093 Depth=1
	v_clz_i32_u32_e32 v4, v68
	s_delay_alu instid0(VALU_DEP_1) | instskip(NEXT) | instid1(VALU_DEP_1)
	v_min_u32_e32 v4, 32, v4
	v_subrev_nc_u32_e32 v7, 28, v4
	v_sub_nc_u32_e32 v4, 29, v4
	s_delay_alu instid0(VALU_DEP_2) | instskip(NEXT) | instid1(VALU_DEP_1)
	v_lshlrev_b64_e32 v[8:9], v7, v[68:69]
	v_and_b32_e32 v22, 7, v8
; %bb.2907:                             ;   in Loop: Header=BB357_2093 Depth=1
	s_or_b32 exec_lo, exec_lo, s17
	v_lshlrev_b32_e32 v6, 24, v6
	s_delay_alu instid0(VALU_DEP_2) | instskip(SKIP_1) | instid1(VALU_DEP_3)
	v_lshlrev_b32_e32 v7, 20, v22
	v_lshl_add_u32 v4, v4, 23, 0x3c000000
	v_and_b32_e32 v6, 0x80000000, v6
	s_delay_alu instid0(VALU_DEP_1)
	v_or3_b32 v4, v7, v6, v4
.LBB357_2908:                           ;   in Loop: Header=BB357_2093 Depth=1
	s_or_b32 exec_lo, exec_lo, s16
.LBB357_2909:                           ;   in Loop: Header=BB357_2093 Depth=1
	s_delay_alu instid0(SALU_CYCLE_1)
	s_or_b32 exec_lo, exec_lo, s15
.LBB357_2910:                           ;   in Loop: Header=BB357_2093 Depth=1
	s_delay_alu instid0(SALU_CYCLE_1) | instskip(NEXT) | instid1(SALU_CYCLE_1)
	s_or_b32 exec_lo, exec_lo, s14
	s_mov_b32 s14, exec_lo
	v_cmpx_lt_u32_e32 0xffffff, v16
	s_cbranch_execz .LBB357_2918
; %bb.2911:                             ;   in Loop: Header=BB357_2093 Depth=1
	v_lshrrev_b32_e32 v6, 24, v16
	v_bfrev_b32_e32 v5, 1
	s_mov_b32 s15, exec_lo
	s_delay_alu instid0(VALU_DEP_2)
	v_cmpx_ne_u32_e32 0x80, v6
	s_cbranch_execz .LBB357_2917
; %bb.2912:                             ;   in Loop: Header=BB357_2093 Depth=1
	v_bfe_u32 v7, v16, 24, 7
	v_mov_b32_e32 v5, 0x7f800001
	s_mov_b32 s16, exec_lo
	s_delay_alu instid0(VALU_DEP_2)
	v_cmpx_ne_u32_e32 0x7f, v7
	s_cbranch_execz .LBB357_2916
; %bb.2913:                             ;   in Loop: Header=BB357_2093 Depth=1
	v_dual_lshrrev_b32 v5, 3, v7 :: v_dual_bitop2_b32 v68, 7, v6 bitop3:0x40
	s_mov_b32 s17, exec_lo
	s_delay_alu instid0(VALU_DEP_1)
	v_mov_b64_e32 v[22:23], v[68:69]
	v_cmpx_gt_u32_e32 8, v7
; %bb.2914:                             ;   in Loop: Header=BB357_2093 Depth=1
	v_clz_i32_u32_e32 v5, v68
	s_delay_alu instid0(VALU_DEP_1) | instskip(NEXT) | instid1(VALU_DEP_1)
	v_min_u32_e32 v5, 32, v5
	v_subrev_nc_u32_e32 v7, 28, v5
	s_delay_alu instid0(VALU_DEP_1) | instskip(NEXT) | instid1(VALU_DEP_1)
	v_lshlrev_b64_e32 v[8:9], v7, v[68:69]
	v_dual_sub_nc_u32 v5, 29, v5 :: v_dual_bitop2_b32 v22, 7, v8 bitop3:0x40
; %bb.2915:                             ;   in Loop: Header=BB357_2093 Depth=1
	s_or_b32 exec_lo, exec_lo, s17
	v_lshlrev_b32_e32 v6, 24, v6
	s_delay_alu instid0(VALU_DEP_2) | instskip(NEXT) | instid1(VALU_DEP_3)
	v_lshlrev_b32_e32 v7, 20, v22
	v_lshl_add_u32 v5, v5, 23, 0x3c000000
	s_delay_alu instid0(VALU_DEP_3) | instskip(NEXT) | instid1(VALU_DEP_1)
	v_and_b32_e32 v6, 0x80000000, v6
	v_or3_b32 v5, v7, v6, v5
.LBB357_2916:                           ;   in Loop: Header=BB357_2093 Depth=1
	s_or_b32 exec_lo, exec_lo, s16
.LBB357_2917:                           ;   in Loop: Header=BB357_2093 Depth=1
	s_delay_alu instid0(SALU_CYCLE_1)
	s_or_b32 exec_lo, exec_lo, s15
.LBB357_2918:                           ;   in Loop: Header=BB357_2093 Depth=1
	s_delay_alu instid0(SALU_CYCLE_1) | instskip(SKIP_4) | instid1(VALU_DEP_3)
	s_or_b32 exec_lo, exec_lo, s14
	v_and_b32_e32 v8, 0xff, v17
	v_dual_mov_b32 v68, v17 :: v_dual_mov_b32 v7, 0
	v_mov_b32_e32 v6, 0
	s_mov_b32 s14, exec_lo
	v_cmpx_ne_u16_e32 0, v8
	s_cbranch_execz .LBB357_2926
; %bb.2919:                             ;   in Loop: Header=BB357_2093 Depth=1
	v_bfrev_b32_e32 v6, 1
	s_mov_b32 s15, exec_lo
	v_cmpx_ne_u16_e32 0x80, v8
	s_cbranch_execz .LBB357_2925
; %bb.2920:                             ;   in Loop: Header=BB357_2093 Depth=1
	v_and_b32_e32 v8, 0x7f, v17
	v_mov_b32_e32 v6, 0x7f800001
	s_mov_b32 s16, exec_lo
	s_delay_alu instid0(VALU_DEP_2)
	v_cmpx_ne_u32_e32 0x7f, v8
	s_cbranch_execz .LBB357_2924
; %bb.2921:                             ;   in Loop: Header=BB357_2093 Depth=1
	v_mov_b64_e32 v[22:23], v[68:69]
	v_lshrrev_b32_e32 v6, 3, v8
	s_mov_b32 s17, exec_lo
	v_cmpx_gt_u32_e32 8, v8
; %bb.2922:                             ;   in Loop: Header=BB357_2093 Depth=1
	v_and_b32_e32 v6, 7, v17
	s_delay_alu instid0(VALU_DEP_1) | instskip(NEXT) | instid1(VALU_DEP_1)
	v_clz_i32_u32_e32 v6, v6
	v_min_u32_e32 v6, 32, v6
	s_delay_alu instid0(VALU_DEP_1) | instskip(SKIP_1) | instid1(VALU_DEP_2)
	v_subrev_nc_u32_e32 v8, 28, v6
	v_sub_nc_u32_e32 v6, 29, v6
	v_lshlrev_b64_e32 v[22:23], v8, v[68:69]
; %bb.2923:                             ;   in Loop: Header=BB357_2093 Depth=1
	s_or_b32 exec_lo, exec_lo, s17
	s_delay_alu instid0(VALU_DEP_1) | instskip(NEXT) | instid1(VALU_DEP_3)
	v_dual_lshlrev_b32 v8, 20, v22 :: v_dual_lshlrev_b32 v9, 24, v68
	v_lshl_add_u32 v6, v6, 23, 0x3c000000
	s_delay_alu instid0(VALU_DEP_2) | instskip(NEXT) | instid1(VALU_DEP_3)
	v_and_b32_e32 v8, 0x700000, v8
	v_and_b32_e32 v9, 0x80000000, v9
	s_delay_alu instid0(VALU_DEP_1)
	v_or3_b32 v6, v8, v9, v6
.LBB357_2924:                           ;   in Loop: Header=BB357_2093 Depth=1
	s_or_b32 exec_lo, exec_lo, s16
.LBB357_2925:                           ;   in Loop: Header=BB357_2093 Depth=1
	s_delay_alu instid0(SALU_CYCLE_1)
	s_or_b32 exec_lo, exec_lo, s15
.LBB357_2926:                           ;   in Loop: Header=BB357_2093 Depth=1
	s_delay_alu instid0(SALU_CYCLE_1) | instskip(SKIP_2) | instid1(VALU_DEP_1)
	s_or_b32 exec_lo, exec_lo, s14
	v_lshrrev_b16 v8, 8, v68
	s_mov_b32 s14, exec_lo
	v_cmpx_ne_u16_e32 0, v8
	s_cbranch_execz .LBB357_2934
; %bb.2927:                             ;   in Loop: Header=BB357_2093 Depth=1
	v_bfrev_b32_e32 v7, 1
	s_mov_b32 s15, exec_lo
	v_cmpx_ne_u16_e32 0x80, v8
	s_cbranch_execz .LBB357_2933
; %bb.2928:                             ;   in Loop: Header=BB357_2093 Depth=1
	v_and_b32_e32 v9, 0xffff, v8
	v_mov_b32_e32 v7, 0x7f800001
	s_mov_b32 s16, exec_lo
	s_delay_alu instid0(VALU_DEP_2) | instskip(NEXT) | instid1(VALU_DEP_1)
	v_and_b32_e32 v8, 0x7f, v9
	v_cmpx_ne_u32_e32 0x7f, v8
	s_cbranch_execz .LBB357_2932
; %bb.2929:                             ;   in Loop: Header=BB357_2093 Depth=1
	v_dual_mov_b32 v23, v69 :: v_dual_bitop2_b32 v22, 7, v9 bitop3:0x40
	v_lshrrev_b32_e32 v7, 3, v8
	s_mov_b32 s17, exec_lo
	v_cmpx_gt_u32_e32 8, v8
; %bb.2930:                             ;   in Loop: Header=BB357_2093 Depth=1
	s_delay_alu instid0(VALU_DEP_3) | instskip(NEXT) | instid1(VALU_DEP_1)
	v_clz_i32_u32_e32 v7, v22
	v_min_u32_e32 v7, 32, v7
	s_delay_alu instid0(VALU_DEP_1) | instskip(NEXT) | instid1(VALU_DEP_1)
	v_subrev_nc_u32_e32 v8, 28, v7
	v_lshlrev_b64_e32 v[8:9], v8, v[22:23]
	s_delay_alu instid0(VALU_DEP_1)
	v_dual_sub_nc_u32 v7, 29, v7 :: v_dual_bitop2_b32 v22, 7, v8 bitop3:0x40
; %bb.2931:                             ;   in Loop: Header=BB357_2093 Depth=1
	s_or_b32 exec_lo, exec_lo, s17
	s_delay_alu instid0(VALU_DEP_1) | instskip(NEXT) | instid1(VALU_DEP_2)
	v_dual_lshlrev_b32 v8, 16, v68 :: v_dual_lshlrev_b32 v9, 20, v22
	v_lshl_add_u32 v7, v7, 23, 0x3c000000
	s_delay_alu instid0(VALU_DEP_2) | instskip(NEXT) | instid1(VALU_DEP_1)
	v_and_b32_e32 v8, 0x80000000, v8
	v_or3_b32 v7, v9, v8, v7
.LBB357_2932:                           ;   in Loop: Header=BB357_2093 Depth=1
	s_or_b32 exec_lo, exec_lo, s16
.LBB357_2933:                           ;   in Loop: Header=BB357_2093 Depth=1
	s_delay_alu instid0(SALU_CYCLE_1)
	s_or_b32 exec_lo, exec_lo, s15
.LBB357_2934:                           ;   in Loop: Header=BB357_2093 Depth=1
	s_delay_alu instid0(SALU_CYCLE_1) | instskip(SKIP_3) | instid1(VALU_DEP_2)
	s_or_b32 exec_lo, exec_lo, s14
	v_dual_lshrrev_b32 v10, 16, v17 :: v_dual_mov_b32 v8, 0
	v_mov_b32_e32 v9, 0
	s_mov_b32 s14, exec_lo
	v_and_b32_e32 v11, 0xff, v10
	s_delay_alu instid0(VALU_DEP_1)
	v_cmpx_ne_u16_e32 0, v11
	s_cbranch_execz .LBB357_2942
; %bb.2935:                             ;   in Loop: Header=BB357_2093 Depth=1
	v_bfrev_b32_e32 v9, 1
	s_mov_b32 s15, exec_lo
	v_cmpx_ne_u16_e32 0x80, v11
	s_cbranch_execz .LBB357_2941
; %bb.2936:                             ;   in Loop: Header=BB357_2093 Depth=1
	v_bfe_u32 v11, v17, 16, 7
	v_mov_b32_e32 v9, 0x7f800001
	s_mov_b32 s16, exec_lo
	s_delay_alu instid0(VALU_DEP_2)
	v_cmpx_ne_u32_e32 0x7f, v11
	s_cbranch_execz .LBB357_2940
; %bb.2937:                             ;   in Loop: Header=BB357_2093 Depth=1
	v_dual_lshrrev_b32 v9, 3, v11 :: v_dual_bitop2_b32 v68, 7, v10 bitop3:0x40
	s_mov_b32 s17, exec_lo
	s_delay_alu instid0(VALU_DEP_1)
	v_mov_b64_e32 v[22:23], v[68:69]
	v_cmpx_gt_u32_e32 8, v11
; %bb.2938:                             ;   in Loop: Header=BB357_2093 Depth=1
	v_clz_i32_u32_e32 v9, v68
	s_delay_alu instid0(VALU_DEP_1) | instskip(NEXT) | instid1(VALU_DEP_1)
	v_min_u32_e32 v9, 32, v9
	v_subrev_nc_u32_e32 v11, 28, v9
	s_delay_alu instid0(VALU_DEP_1) | instskip(NEXT) | instid1(VALU_DEP_1)
	v_lshlrev_b64_e32 v[12:13], v11, v[68:69]
	v_dual_sub_nc_u32 v9, 29, v9 :: v_dual_bitop2_b32 v22, 7, v12 bitop3:0x40
; %bb.2939:                             ;   in Loop: Header=BB357_2093 Depth=1
	s_or_b32 exec_lo, exec_lo, s17
	v_lshlrev_b32_e32 v10, 24, v10
	s_delay_alu instid0(VALU_DEP_2) | instskip(NEXT) | instid1(VALU_DEP_3)
	v_lshlrev_b32_e32 v11, 20, v22
	v_lshl_add_u32 v9, v9, 23, 0x3c000000
	s_delay_alu instid0(VALU_DEP_3) | instskip(NEXT) | instid1(VALU_DEP_1)
	v_and_b32_e32 v10, 0x80000000, v10
	v_or3_b32 v9, v11, v10, v9
.LBB357_2940:                           ;   in Loop: Header=BB357_2093 Depth=1
	s_or_b32 exec_lo, exec_lo, s16
.LBB357_2941:                           ;   in Loop: Header=BB357_2093 Depth=1
	s_delay_alu instid0(SALU_CYCLE_1)
	s_or_b32 exec_lo, exec_lo, s15
.LBB357_2942:                           ;   in Loop: Header=BB357_2093 Depth=1
	s_delay_alu instid0(SALU_CYCLE_1) | instskip(NEXT) | instid1(SALU_CYCLE_1)
	s_or_b32 exec_lo, exec_lo, s14
	s_mov_b32 s14, exec_lo
	v_cmpx_lt_u64_e64 s[2:3], v[16:17]
	s_cbranch_execz .LBB357_2950
; %bb.2943:                             ;   in Loop: Header=BB357_2093 Depth=1
	v_lshrrev_b32_e32 v10, 24, v17
	v_bfrev_b32_e32 v8, 1
	s_mov_b32 s15, exec_lo
	s_delay_alu instid0(VALU_DEP_2)
	v_cmpx_ne_u32_e32 0x80, v10
	s_cbranch_execz .LBB357_2949
; %bb.2944:                             ;   in Loop: Header=BB357_2093 Depth=1
	v_bfe_u32 v11, v17, 24, 7
	v_mov_b32_e32 v8, 0x7f800001
	s_mov_b32 s16, exec_lo
	s_delay_alu instid0(VALU_DEP_2)
	v_cmpx_ne_u32_e32 0x7f, v11
	s_cbranch_execz .LBB357_2948
; %bb.2945:                             ;   in Loop: Header=BB357_2093 Depth=1
	v_dual_lshrrev_b32 v8, 3, v11 :: v_dual_bitop2_b32 v68, 7, v10 bitop3:0x40
	s_mov_b32 s17, exec_lo
	s_delay_alu instid0(VALU_DEP_1)
	v_mov_b64_e32 v[16:17], v[68:69]
	v_cmpx_gt_u32_e32 8, v11
; %bb.2946:                             ;   in Loop: Header=BB357_2093 Depth=1
	v_clz_i32_u32_e32 v8, v68
	s_delay_alu instid0(VALU_DEP_1) | instskip(NEXT) | instid1(VALU_DEP_1)
	v_min_u32_e32 v8, 32, v8
	v_subrev_nc_u32_e32 v11, 28, v8
	v_sub_nc_u32_e32 v8, 29, v8
	s_delay_alu instid0(VALU_DEP_2) | instskip(NEXT) | instid1(VALU_DEP_1)
	v_lshlrev_b64_e32 v[12:13], v11, v[68:69]
	v_and_b32_e32 v16, 7, v12
; %bb.2947:                             ;   in Loop: Header=BB357_2093 Depth=1
	s_or_b32 exec_lo, exec_lo, s17
	s_delay_alu instid0(VALU_DEP_1) | instskip(SKIP_1) | instid1(VALU_DEP_2)
	v_dual_lshlrev_b32 v10, 24, v10 :: v_dual_lshlrev_b32 v11, 20, v16
	v_lshl_add_u32 v8, v8, 23, 0x3c000000
	v_and_b32_e32 v10, 0x80000000, v10
	s_delay_alu instid0(VALU_DEP_1)
	v_or3_b32 v8, v11, v10, v8
.LBB357_2948:                           ;   in Loop: Header=BB357_2093 Depth=1
	s_or_b32 exec_lo, exec_lo, s16
.LBB357_2949:                           ;   in Loop: Header=BB357_2093 Depth=1
	s_delay_alu instid0(SALU_CYCLE_1)
	s_or_b32 exec_lo, exec_lo, s15
.LBB357_2950:                           ;   in Loop: Header=BB357_2093 Depth=1
	s_delay_alu instid0(SALU_CYCLE_1)
	s_or_b32 exec_lo, exec_lo, s14
	v_fma_mixlo_bf16 v2, v75, v2, 0
	v_fma_mixlo_bf16 v7, v75, v7, 0
	;; [unrolled: 1-line block ×5, first 2 shown]
	scratch_store_b32 off, v2, s32 offset:924 ; 4-byte Folded Spill
	s_wait_xcnt 0x0
	v_fma_mixlo_bf16 v2, v75, v9, 0
	s_clause 0x4
	scratch_store_b32 off, v7, s32 offset:868
	scratch_store_b32 off, v6, s32 offset:876
	;; [unrolled: 1-line block ×5, first 2 shown]
	v_fma_mixlo_bf16 v3, v75, v3, 0
	s_wait_xcnt 0x0
	v_fma_mixlo_bf16 v2, v75, v8, 0
	s_clause 0x1
	scratch_store_b32 off, v3, s32 offset:916
	scratch_store_b32 off, v2, s32 offset:900
	s_wait_xcnt 0x0
	s_and_saveexec_b32 s14, vcc_lo
	s_cbranch_execz .LBB357_2952
; %bb.2951:                             ;   in Loop: Header=BB357_2093 Depth=1
	scratch_load_b32 v2, off, s32 offset:924 ; 4-byte Folded Reload
	v_cmp_lt_i32_e64 s0, v74, v42
	s_wait_loadcnt 0x0
	s_delay_alu instid0(VALU_DEP_1)
	v_cndmask_b32_e64 v2, 0, v2, s0
	v_cmp_lt_i32_e64 s0, v106, v42
	s_clause 0x1
	scratch_store_b32 off, v2, s32 offset:924
	scratch_load_b32 v2, off, s32 offset:916
	s_wait_loadcnt 0x0
	v_cndmask_b32_e64 v2, 0, v2, s0
	v_cmp_lt_i32_e64 s0, v105, v42
	s_clause 0x1
	scratch_store_b32 off, v2, s32 offset:916
	scratch_load_b32 v2, off, s32 offset:908
	s_wait_loadcnt 0x0
	;; [unrolled: 6-line block ×7, first 2 shown]
	v_cndmask_b32_e64 v2, 0, v2, s0
	scratch_store_b32 off, v2, s32 offset:900 ; 4-byte Folded Spill
.LBB357_2952:                           ;   in Loop: Header=BB357_2093 Depth=1
	s_wait_xcnt 0x0
	s_or_b32 exec_lo, exec_lo, s14
	flat_load_b64 v[16:17], v[18:19] offset:3328
	v_dual_mov_b32 v3, 0 :: v_dual_mov_b32 v2, 0
	s_mov_b32 s14, exec_lo
	s_wait_loadcnt_dscnt 0x0
	v_and_b32_e32 v4, 0xff, v16
	s_wait_xcnt 0x0
	s_delay_alu instid0(VALU_DEP_1)
	v_cmpx_ne_u16_e32 0, v4
	s_cbranch_execz .LBB357_2960
; %bb.2953:                             ;   in Loop: Header=BB357_2093 Depth=1
	v_bfrev_b32_e32 v2, 1
	s_mov_b32 s15, exec_lo
	v_cmpx_ne_u16_e32 0x80, v4
	s_cbranch_execz .LBB357_2959
; %bb.2954:                             ;   in Loop: Header=BB357_2093 Depth=1
	v_and_b32_e32 v4, 0x7f, v16
	v_mov_b32_e32 v2, 0x7f800001
	s_mov_b32 s16, exec_lo
	s_delay_alu instid0(VALU_DEP_2)
	v_cmpx_ne_u32_e32 0x7f, v4
	s_cbranch_execz .LBB357_2958
; %bb.2955:                             ;   in Loop: Header=BB357_2093 Depth=1
	v_mov_b64_e32 v[22:23], v[16:17]
	v_lshrrev_b32_e32 v2, 3, v4
	s_mov_b32 s17, exec_lo
	v_cmpx_gt_u32_e32 8, v4
; %bb.2956:                             ;   in Loop: Header=BB357_2093 Depth=1
	v_and_b32_e32 v2, 7, v16
	s_delay_alu instid0(VALU_DEP_1) | instskip(NEXT) | instid1(VALU_DEP_1)
	v_clz_i32_u32_e32 v2, v2
	v_min_u32_e32 v2, 32, v2
	s_delay_alu instid0(VALU_DEP_1) | instskip(SKIP_1) | instid1(VALU_DEP_2)
	v_subrev_nc_u32_e32 v4, 28, v2
	v_sub_nc_u32_e32 v2, 29, v2
	v_lshlrev_b64_e32 v[22:23], v4, v[16:17]
; %bb.2957:                             ;   in Loop: Header=BB357_2093 Depth=1
	s_or_b32 exec_lo, exec_lo, s17
	s_delay_alu instid0(VALU_DEP_1) | instskip(NEXT) | instid1(VALU_DEP_3)
	v_dual_lshlrev_b32 v4, 20, v22 :: v_dual_lshlrev_b32 v5, 24, v16
	v_lshl_add_u32 v2, v2, 23, 0x3c000000
	s_delay_alu instid0(VALU_DEP_2) | instskip(NEXT) | instid1(VALU_DEP_3)
	v_and_b32_e32 v4, 0x700000, v4
	v_and_b32_e32 v5, 0x80000000, v5
	s_delay_alu instid0(VALU_DEP_1)
	v_or3_b32 v2, v4, v5, v2
.LBB357_2958:                           ;   in Loop: Header=BB357_2093 Depth=1
	s_or_b32 exec_lo, exec_lo, s16
.LBB357_2959:                           ;   in Loop: Header=BB357_2093 Depth=1
	s_delay_alu instid0(SALU_CYCLE_1)
	s_or_b32 exec_lo, exec_lo, s15
.LBB357_2960:                           ;   in Loop: Header=BB357_2093 Depth=1
	s_delay_alu instid0(SALU_CYCLE_1) | instskip(SKIP_2) | instid1(VALU_DEP_1)
	s_or_b32 exec_lo, exec_lo, s14
	v_lshrrev_b16 v4, 8, v16
	s_mov_b32 s14, exec_lo
	v_cmpx_ne_u16_e32 0, v4
	s_cbranch_execz .LBB357_2968
; %bb.2961:                             ;   in Loop: Header=BB357_2093 Depth=1
	v_bfrev_b32_e32 v3, 1
	s_mov_b32 s15, exec_lo
	v_cmpx_ne_u16_e32 0x80, v4
	s_cbranch_execz .LBB357_2967
; %bb.2962:                             ;   in Loop: Header=BB357_2093 Depth=1
	v_and_b32_e32 v5, 0xffff, v4
	v_mov_b32_e32 v3, 0x7f800001
	s_mov_b32 s16, exec_lo
	s_delay_alu instid0(VALU_DEP_2) | instskip(NEXT) | instid1(VALU_DEP_1)
	v_and_b32_e32 v4, 0x7f, v5
	v_cmpx_ne_u32_e32 0x7f, v4
	s_cbranch_execz .LBB357_2966
; %bb.2963:                             ;   in Loop: Header=BB357_2093 Depth=1
	v_dual_lshrrev_b32 v3, 3, v4 :: v_dual_bitop2_b32 v68, 7, v5 bitop3:0x40
	s_mov_b32 s17, exec_lo
	s_delay_alu instid0(VALU_DEP_1)
	v_mov_b64_e32 v[22:23], v[68:69]
	v_cmpx_gt_u32_e32 8, v4
; %bb.2964:                             ;   in Loop: Header=BB357_2093 Depth=1
	v_clz_i32_u32_e32 v3, v68
	s_delay_alu instid0(VALU_DEP_1) | instskip(NEXT) | instid1(VALU_DEP_1)
	v_min_u32_e32 v3, 32, v3
	v_subrev_nc_u32_e32 v4, 28, v3
	s_delay_alu instid0(VALU_DEP_1) | instskip(NEXT) | instid1(VALU_DEP_1)
	v_lshlrev_b64_e32 v[4:5], v4, v[68:69]
	v_dual_sub_nc_u32 v3, 29, v3 :: v_dual_bitop2_b32 v22, 7, v4 bitop3:0x40
; %bb.2965:                             ;   in Loop: Header=BB357_2093 Depth=1
	s_or_b32 exec_lo, exec_lo, s17
	s_delay_alu instid0(VALU_DEP_1) | instskip(NEXT) | instid1(VALU_DEP_2)
	v_dual_lshlrev_b32 v4, 16, v16 :: v_dual_lshlrev_b32 v5, 20, v22
	v_lshl_add_u32 v3, v3, 23, 0x3c000000
	s_delay_alu instid0(VALU_DEP_2) | instskip(NEXT) | instid1(VALU_DEP_1)
	v_and_b32_e32 v4, 0x80000000, v4
	v_or3_b32 v3, v5, v4, v3
.LBB357_2966:                           ;   in Loop: Header=BB357_2093 Depth=1
	s_or_b32 exec_lo, exec_lo, s16
.LBB357_2967:                           ;   in Loop: Header=BB357_2093 Depth=1
	s_delay_alu instid0(SALU_CYCLE_1)
	s_or_b32 exec_lo, exec_lo, s15
.LBB357_2968:                           ;   in Loop: Header=BB357_2093 Depth=1
	s_delay_alu instid0(SALU_CYCLE_1) | instskip(SKIP_3) | instid1(VALU_DEP_2)
	s_or_b32 exec_lo, exec_lo, s14
	v_dual_mov_b32 v5, 0 :: v_dual_lshrrev_b32 v6, 16, v16
	v_mov_b32_e32 v4, 0
	s_mov_b32 s14, exec_lo
	v_and_b32_e32 v7, 0xff, v6
	s_delay_alu instid0(VALU_DEP_1)
	v_cmpx_ne_u16_e32 0, v7
	s_cbranch_execz .LBB357_2976
; %bb.2969:                             ;   in Loop: Header=BB357_2093 Depth=1
	v_bfrev_b32_e32 v4, 1
	s_mov_b32 s15, exec_lo
	v_cmpx_ne_u16_e32 0x80, v7
	s_cbranch_execz .LBB357_2975
; %bb.2970:                             ;   in Loop: Header=BB357_2093 Depth=1
	v_bfe_u32 v7, v16, 16, 7
	v_mov_b32_e32 v4, 0x7f800001
	s_mov_b32 s16, exec_lo
	s_delay_alu instid0(VALU_DEP_2)
	v_cmpx_ne_u32_e32 0x7f, v7
	s_cbranch_execz .LBB357_2974
; %bb.2971:                             ;   in Loop: Header=BB357_2093 Depth=1
	v_dual_lshrrev_b32 v4, 3, v7 :: v_dual_bitop2_b32 v68, 7, v6 bitop3:0x40
	s_mov_b32 s17, exec_lo
	s_delay_alu instid0(VALU_DEP_1)
	v_mov_b64_e32 v[22:23], v[68:69]
	v_cmpx_gt_u32_e32 8, v7
; %bb.2972:                             ;   in Loop: Header=BB357_2093 Depth=1
	v_clz_i32_u32_e32 v4, v68
	s_delay_alu instid0(VALU_DEP_1) | instskip(NEXT) | instid1(VALU_DEP_1)
	v_min_u32_e32 v4, 32, v4
	v_subrev_nc_u32_e32 v7, 28, v4
	v_sub_nc_u32_e32 v4, 29, v4
	s_delay_alu instid0(VALU_DEP_2) | instskip(NEXT) | instid1(VALU_DEP_1)
	v_lshlrev_b64_e32 v[8:9], v7, v[68:69]
	v_and_b32_e32 v22, 7, v8
; %bb.2973:                             ;   in Loop: Header=BB357_2093 Depth=1
	s_or_b32 exec_lo, exec_lo, s17
	v_lshlrev_b32_e32 v6, 24, v6
	s_delay_alu instid0(VALU_DEP_2) | instskip(SKIP_1) | instid1(VALU_DEP_3)
	v_lshlrev_b32_e32 v7, 20, v22
	v_lshl_add_u32 v4, v4, 23, 0x3c000000
	v_and_b32_e32 v6, 0x80000000, v6
	s_delay_alu instid0(VALU_DEP_1)
	v_or3_b32 v4, v7, v6, v4
.LBB357_2974:                           ;   in Loop: Header=BB357_2093 Depth=1
	s_or_b32 exec_lo, exec_lo, s16
.LBB357_2975:                           ;   in Loop: Header=BB357_2093 Depth=1
	s_delay_alu instid0(SALU_CYCLE_1)
	s_or_b32 exec_lo, exec_lo, s15
.LBB357_2976:                           ;   in Loop: Header=BB357_2093 Depth=1
	s_delay_alu instid0(SALU_CYCLE_1) | instskip(NEXT) | instid1(SALU_CYCLE_1)
	s_or_b32 exec_lo, exec_lo, s14
	s_mov_b32 s14, exec_lo
	v_cmpx_lt_u32_e32 0xffffff, v16
	s_cbranch_execz .LBB357_2984
; %bb.2977:                             ;   in Loop: Header=BB357_2093 Depth=1
	v_lshrrev_b32_e32 v6, 24, v16
	v_bfrev_b32_e32 v5, 1
	s_mov_b32 s15, exec_lo
	s_delay_alu instid0(VALU_DEP_2)
	v_cmpx_ne_u32_e32 0x80, v6
	s_cbranch_execz .LBB357_2983
; %bb.2978:                             ;   in Loop: Header=BB357_2093 Depth=1
	v_bfe_u32 v7, v16, 24, 7
	v_mov_b32_e32 v5, 0x7f800001
	s_mov_b32 s16, exec_lo
	s_delay_alu instid0(VALU_DEP_2)
	v_cmpx_ne_u32_e32 0x7f, v7
	s_cbranch_execz .LBB357_2982
; %bb.2979:                             ;   in Loop: Header=BB357_2093 Depth=1
	v_dual_lshrrev_b32 v5, 3, v7 :: v_dual_bitop2_b32 v68, 7, v6 bitop3:0x40
	s_mov_b32 s17, exec_lo
	s_delay_alu instid0(VALU_DEP_1)
	v_mov_b64_e32 v[22:23], v[68:69]
	v_cmpx_gt_u32_e32 8, v7
; %bb.2980:                             ;   in Loop: Header=BB357_2093 Depth=1
	v_clz_i32_u32_e32 v5, v68
	s_delay_alu instid0(VALU_DEP_1) | instskip(NEXT) | instid1(VALU_DEP_1)
	v_min_u32_e32 v5, 32, v5
	v_subrev_nc_u32_e32 v7, 28, v5
	s_delay_alu instid0(VALU_DEP_1) | instskip(NEXT) | instid1(VALU_DEP_1)
	v_lshlrev_b64_e32 v[8:9], v7, v[68:69]
	v_dual_sub_nc_u32 v5, 29, v5 :: v_dual_bitop2_b32 v22, 7, v8 bitop3:0x40
; %bb.2981:                             ;   in Loop: Header=BB357_2093 Depth=1
	s_or_b32 exec_lo, exec_lo, s17
	v_lshlrev_b32_e32 v6, 24, v6
	s_delay_alu instid0(VALU_DEP_2) | instskip(NEXT) | instid1(VALU_DEP_3)
	v_lshlrev_b32_e32 v7, 20, v22
	v_lshl_add_u32 v5, v5, 23, 0x3c000000
	s_delay_alu instid0(VALU_DEP_3) | instskip(NEXT) | instid1(VALU_DEP_1)
	v_and_b32_e32 v6, 0x80000000, v6
	v_or3_b32 v5, v7, v6, v5
.LBB357_2982:                           ;   in Loop: Header=BB357_2093 Depth=1
	s_or_b32 exec_lo, exec_lo, s16
.LBB357_2983:                           ;   in Loop: Header=BB357_2093 Depth=1
	s_delay_alu instid0(SALU_CYCLE_1)
	s_or_b32 exec_lo, exec_lo, s15
.LBB357_2984:                           ;   in Loop: Header=BB357_2093 Depth=1
	s_delay_alu instid0(SALU_CYCLE_1) | instskip(SKIP_4) | instid1(VALU_DEP_3)
	s_or_b32 exec_lo, exec_lo, s14
	v_and_b32_e32 v8, 0xff, v17
	v_dual_mov_b32 v68, v17 :: v_dual_mov_b32 v7, 0
	v_mov_b32_e32 v6, 0
	s_mov_b32 s14, exec_lo
	v_cmpx_ne_u16_e32 0, v8
	s_cbranch_execz .LBB357_2992
; %bb.2985:                             ;   in Loop: Header=BB357_2093 Depth=1
	v_bfrev_b32_e32 v6, 1
	s_mov_b32 s15, exec_lo
	v_cmpx_ne_u16_e32 0x80, v8
	s_cbranch_execz .LBB357_2991
; %bb.2986:                             ;   in Loop: Header=BB357_2093 Depth=1
	v_and_b32_e32 v8, 0x7f, v17
	v_mov_b32_e32 v6, 0x7f800001
	s_mov_b32 s16, exec_lo
	s_delay_alu instid0(VALU_DEP_2)
	v_cmpx_ne_u32_e32 0x7f, v8
	s_cbranch_execz .LBB357_2990
; %bb.2987:                             ;   in Loop: Header=BB357_2093 Depth=1
	v_mov_b64_e32 v[22:23], v[68:69]
	v_lshrrev_b32_e32 v6, 3, v8
	s_mov_b32 s17, exec_lo
	v_cmpx_gt_u32_e32 8, v8
; %bb.2988:                             ;   in Loop: Header=BB357_2093 Depth=1
	v_and_b32_e32 v6, 7, v17
	s_delay_alu instid0(VALU_DEP_1) | instskip(NEXT) | instid1(VALU_DEP_1)
	v_clz_i32_u32_e32 v6, v6
	v_min_u32_e32 v6, 32, v6
	s_delay_alu instid0(VALU_DEP_1) | instskip(SKIP_1) | instid1(VALU_DEP_2)
	v_subrev_nc_u32_e32 v8, 28, v6
	v_sub_nc_u32_e32 v6, 29, v6
	v_lshlrev_b64_e32 v[22:23], v8, v[68:69]
; %bb.2989:                             ;   in Loop: Header=BB357_2093 Depth=1
	s_or_b32 exec_lo, exec_lo, s17
	s_delay_alu instid0(VALU_DEP_1) | instskip(NEXT) | instid1(VALU_DEP_3)
	v_dual_lshlrev_b32 v8, 20, v22 :: v_dual_lshlrev_b32 v9, 24, v68
	v_lshl_add_u32 v6, v6, 23, 0x3c000000
	s_delay_alu instid0(VALU_DEP_2) | instskip(NEXT) | instid1(VALU_DEP_3)
	v_and_b32_e32 v8, 0x700000, v8
	v_and_b32_e32 v9, 0x80000000, v9
	s_delay_alu instid0(VALU_DEP_1)
	v_or3_b32 v6, v8, v9, v6
.LBB357_2990:                           ;   in Loop: Header=BB357_2093 Depth=1
	s_or_b32 exec_lo, exec_lo, s16
.LBB357_2991:                           ;   in Loop: Header=BB357_2093 Depth=1
	s_delay_alu instid0(SALU_CYCLE_1)
	s_or_b32 exec_lo, exec_lo, s15
.LBB357_2992:                           ;   in Loop: Header=BB357_2093 Depth=1
	s_delay_alu instid0(SALU_CYCLE_1) | instskip(SKIP_2) | instid1(VALU_DEP_1)
	s_or_b32 exec_lo, exec_lo, s14
	v_lshrrev_b16 v8, 8, v68
	s_mov_b32 s14, exec_lo
	v_cmpx_ne_u16_e32 0, v8
	s_cbranch_execz .LBB357_3000
; %bb.2993:                             ;   in Loop: Header=BB357_2093 Depth=1
	v_bfrev_b32_e32 v7, 1
	s_mov_b32 s15, exec_lo
	v_cmpx_ne_u16_e32 0x80, v8
	s_cbranch_execz .LBB357_2999
; %bb.2994:                             ;   in Loop: Header=BB357_2093 Depth=1
	v_and_b32_e32 v9, 0xffff, v8
	v_mov_b32_e32 v7, 0x7f800001
	s_mov_b32 s16, exec_lo
	s_delay_alu instid0(VALU_DEP_2) | instskip(NEXT) | instid1(VALU_DEP_1)
	v_and_b32_e32 v8, 0x7f, v9
	v_cmpx_ne_u32_e32 0x7f, v8
	s_cbranch_execz .LBB357_2998
; %bb.2995:                             ;   in Loop: Header=BB357_2093 Depth=1
	v_dual_mov_b32 v23, v69 :: v_dual_bitop2_b32 v22, 7, v9 bitop3:0x40
	v_lshrrev_b32_e32 v7, 3, v8
	s_mov_b32 s17, exec_lo
	v_cmpx_gt_u32_e32 8, v8
; %bb.2996:                             ;   in Loop: Header=BB357_2093 Depth=1
	s_delay_alu instid0(VALU_DEP_3) | instskip(NEXT) | instid1(VALU_DEP_1)
	v_clz_i32_u32_e32 v7, v22
	v_min_u32_e32 v7, 32, v7
	s_delay_alu instid0(VALU_DEP_1) | instskip(NEXT) | instid1(VALU_DEP_1)
	v_subrev_nc_u32_e32 v8, 28, v7
	v_lshlrev_b64_e32 v[8:9], v8, v[22:23]
	s_delay_alu instid0(VALU_DEP_1)
	v_dual_sub_nc_u32 v7, 29, v7 :: v_dual_bitop2_b32 v22, 7, v8 bitop3:0x40
; %bb.2997:                             ;   in Loop: Header=BB357_2093 Depth=1
	s_or_b32 exec_lo, exec_lo, s17
	s_delay_alu instid0(VALU_DEP_1) | instskip(NEXT) | instid1(VALU_DEP_2)
	v_dual_lshlrev_b32 v8, 16, v68 :: v_dual_lshlrev_b32 v9, 20, v22
	v_lshl_add_u32 v7, v7, 23, 0x3c000000
	s_delay_alu instid0(VALU_DEP_2) | instskip(NEXT) | instid1(VALU_DEP_1)
	v_and_b32_e32 v8, 0x80000000, v8
	v_or3_b32 v7, v9, v8, v7
.LBB357_2998:                           ;   in Loop: Header=BB357_2093 Depth=1
	s_or_b32 exec_lo, exec_lo, s16
.LBB357_2999:                           ;   in Loop: Header=BB357_2093 Depth=1
	s_delay_alu instid0(SALU_CYCLE_1)
	s_or_b32 exec_lo, exec_lo, s15
.LBB357_3000:                           ;   in Loop: Header=BB357_2093 Depth=1
	s_delay_alu instid0(SALU_CYCLE_1) | instskip(SKIP_3) | instid1(VALU_DEP_2)
	s_or_b32 exec_lo, exec_lo, s14
	v_dual_lshrrev_b32 v10, 16, v17 :: v_dual_mov_b32 v8, 0
	v_mov_b32_e32 v9, 0
	s_mov_b32 s14, exec_lo
	v_and_b32_e32 v11, 0xff, v10
	s_delay_alu instid0(VALU_DEP_1)
	v_cmpx_ne_u16_e32 0, v11
	s_cbranch_execz .LBB357_3008
; %bb.3001:                             ;   in Loop: Header=BB357_2093 Depth=1
	v_bfrev_b32_e32 v9, 1
	s_mov_b32 s15, exec_lo
	v_cmpx_ne_u16_e32 0x80, v11
	s_cbranch_execz .LBB357_3007
; %bb.3002:                             ;   in Loop: Header=BB357_2093 Depth=1
	v_bfe_u32 v11, v17, 16, 7
	v_mov_b32_e32 v9, 0x7f800001
	s_mov_b32 s16, exec_lo
	s_delay_alu instid0(VALU_DEP_2)
	v_cmpx_ne_u32_e32 0x7f, v11
	s_cbranch_execz .LBB357_3006
; %bb.3003:                             ;   in Loop: Header=BB357_2093 Depth=1
	v_dual_lshrrev_b32 v9, 3, v11 :: v_dual_bitop2_b32 v68, 7, v10 bitop3:0x40
	s_mov_b32 s17, exec_lo
	s_delay_alu instid0(VALU_DEP_1)
	v_mov_b64_e32 v[22:23], v[68:69]
	v_cmpx_gt_u32_e32 8, v11
; %bb.3004:                             ;   in Loop: Header=BB357_2093 Depth=1
	v_clz_i32_u32_e32 v9, v68
	s_delay_alu instid0(VALU_DEP_1) | instskip(NEXT) | instid1(VALU_DEP_1)
	v_min_u32_e32 v9, 32, v9
	v_subrev_nc_u32_e32 v11, 28, v9
	s_delay_alu instid0(VALU_DEP_1) | instskip(NEXT) | instid1(VALU_DEP_1)
	v_lshlrev_b64_e32 v[12:13], v11, v[68:69]
	v_dual_sub_nc_u32 v9, 29, v9 :: v_dual_bitop2_b32 v22, 7, v12 bitop3:0x40
; %bb.3005:                             ;   in Loop: Header=BB357_2093 Depth=1
	s_or_b32 exec_lo, exec_lo, s17
	v_lshlrev_b32_e32 v10, 24, v10
	s_delay_alu instid0(VALU_DEP_2) | instskip(NEXT) | instid1(VALU_DEP_3)
	v_lshlrev_b32_e32 v11, 20, v22
	v_lshl_add_u32 v9, v9, 23, 0x3c000000
	s_delay_alu instid0(VALU_DEP_3) | instskip(NEXT) | instid1(VALU_DEP_1)
	v_and_b32_e32 v10, 0x80000000, v10
	v_or3_b32 v9, v11, v10, v9
.LBB357_3006:                           ;   in Loop: Header=BB357_2093 Depth=1
	s_or_b32 exec_lo, exec_lo, s16
.LBB357_3007:                           ;   in Loop: Header=BB357_2093 Depth=1
	s_delay_alu instid0(SALU_CYCLE_1)
	s_or_b32 exec_lo, exec_lo, s15
.LBB357_3008:                           ;   in Loop: Header=BB357_2093 Depth=1
	s_delay_alu instid0(SALU_CYCLE_1) | instskip(NEXT) | instid1(SALU_CYCLE_1)
	s_or_b32 exec_lo, exec_lo, s14
	s_mov_b32 s14, exec_lo
	v_cmpx_lt_u64_e64 s[2:3], v[16:17]
	s_cbranch_execz .LBB357_3016
; %bb.3009:                             ;   in Loop: Header=BB357_2093 Depth=1
	v_lshrrev_b32_e32 v10, 24, v17
	v_bfrev_b32_e32 v8, 1
	s_mov_b32 s15, exec_lo
	s_delay_alu instid0(VALU_DEP_2)
	v_cmpx_ne_u32_e32 0x80, v10
	s_cbranch_execz .LBB357_3015
; %bb.3010:                             ;   in Loop: Header=BB357_2093 Depth=1
	v_bfe_u32 v11, v17, 24, 7
	v_mov_b32_e32 v8, 0x7f800001
	s_mov_b32 s16, exec_lo
	s_delay_alu instid0(VALU_DEP_2)
	v_cmpx_ne_u32_e32 0x7f, v11
	s_cbranch_execz .LBB357_3014
; %bb.3011:                             ;   in Loop: Header=BB357_2093 Depth=1
	v_dual_lshrrev_b32 v8, 3, v11 :: v_dual_bitop2_b32 v68, 7, v10 bitop3:0x40
	s_mov_b32 s17, exec_lo
	s_delay_alu instid0(VALU_DEP_1)
	v_mov_b64_e32 v[16:17], v[68:69]
	v_cmpx_gt_u32_e32 8, v11
; %bb.3012:                             ;   in Loop: Header=BB357_2093 Depth=1
	v_clz_i32_u32_e32 v8, v68
	s_delay_alu instid0(VALU_DEP_1) | instskip(NEXT) | instid1(VALU_DEP_1)
	v_min_u32_e32 v8, 32, v8
	v_subrev_nc_u32_e32 v11, 28, v8
	v_sub_nc_u32_e32 v8, 29, v8
	s_delay_alu instid0(VALU_DEP_2) | instskip(NEXT) | instid1(VALU_DEP_1)
	v_lshlrev_b64_e32 v[12:13], v11, v[68:69]
	v_and_b32_e32 v16, 7, v12
; %bb.3013:                             ;   in Loop: Header=BB357_2093 Depth=1
	s_or_b32 exec_lo, exec_lo, s17
	s_delay_alu instid0(VALU_DEP_1) | instskip(SKIP_1) | instid1(VALU_DEP_2)
	v_dual_lshlrev_b32 v10, 24, v10 :: v_dual_lshlrev_b32 v11, 20, v16
	v_lshl_add_u32 v8, v8, 23, 0x3c000000
	v_and_b32_e32 v10, 0x80000000, v10
	s_delay_alu instid0(VALU_DEP_1)
	v_or3_b32 v8, v11, v10, v8
.LBB357_3014:                           ;   in Loop: Header=BB357_2093 Depth=1
	s_or_b32 exec_lo, exec_lo, s16
.LBB357_3015:                           ;   in Loop: Header=BB357_2093 Depth=1
	s_delay_alu instid0(SALU_CYCLE_1)
	s_or_b32 exec_lo, exec_lo, s15
.LBB357_3016:                           ;   in Loop: Header=BB357_2093 Depth=1
	s_delay_alu instid0(SALU_CYCLE_1)
	s_or_b32 exec_lo, exec_lo, s14
	v_fma_mixlo_bf16 v2, v75, v2, 0
	v_fma_mixlo_bf16 v7, v75, v7, 0
	;; [unrolled: 1-line block ×5, first 2 shown]
	scratch_store_b32 off, v2, s32 offset:988 ; 4-byte Folded Spill
	s_wait_xcnt 0x0
	v_fma_mixlo_bf16 v2, v75, v9, 0
	s_clause 0x1
	scratch_store_b32 off, v7, s32 offset:932
	scratch_store_b32 off, v6, s32 offset:940
	v_fma_mixlo_bf16 v3, v75, v3, 0
	s_clause 0x1
	scratch_store_b32 off, v5, s32 offset:964
	scratch_store_b32 off, v2, s32 offset:948
	s_wait_xcnt 0x0
	v_fma_mixlo_bf16 v2, v75, v8, 0
	s_clause 0x2
	scratch_store_b32 off, v4, s32 offset:972
	scratch_store_b32 off, v3, s32 offset:980
	;; [unrolled: 1-line block ×3, first 2 shown]
	s_wait_xcnt 0x0
	s_and_saveexec_b32 s14, vcc_lo
	s_cbranch_execz .LBB357_3018
; %bb.3017:                             ;   in Loop: Header=BB357_2093 Depth=1
	scratch_load_b32 v2, off, s32 offset:988 ; 4-byte Folded Reload
	v_cmp_lt_i32_e64 s0, v74, v42
	s_wait_loadcnt 0x0
	s_delay_alu instid0(VALU_DEP_1)
	v_cndmask_b32_e64 v2, 0, v2, s0
	v_cmp_lt_i32_e64 s0, v106, v42
	s_clause 0x1
	scratch_store_b32 off, v2, s32 offset:988
	scratch_load_b32 v2, off, s32 offset:980
	s_wait_loadcnt 0x0
	v_cndmask_b32_e64 v2, 0, v2, s0
	v_cmp_lt_i32_e64 s0, v105, v42
	s_clause 0x1
	scratch_store_b32 off, v2, s32 offset:980
	scratch_load_b32 v2, off, s32 offset:972
	s_wait_loadcnt 0x0
	;; [unrolled: 6-line block ×7, first 2 shown]
	v_cndmask_b32_e64 v2, 0, v2, s0
	scratch_store_b32 off, v2, s32 offset:956 ; 4-byte Folded Spill
.LBB357_3018:                           ;   in Loop: Header=BB357_2093 Depth=1
	s_wait_xcnt 0x0
	s_or_b32 exec_lo, exec_lo, s14
	flat_load_b64 v[16:17], v[18:19] offset:3584
	v_dual_mov_b32 v3, 0 :: v_dual_mov_b32 v2, 0
	s_mov_b32 s14, exec_lo
	s_wait_loadcnt_dscnt 0x0
	v_and_b32_e32 v4, 0xff, v16
	s_wait_xcnt 0x0
	s_delay_alu instid0(VALU_DEP_1)
	v_cmpx_ne_u16_e32 0, v4
	s_cbranch_execz .LBB357_3026
; %bb.3019:                             ;   in Loop: Header=BB357_2093 Depth=1
	v_bfrev_b32_e32 v2, 1
	s_mov_b32 s15, exec_lo
	v_cmpx_ne_u16_e32 0x80, v4
	s_cbranch_execz .LBB357_3025
; %bb.3020:                             ;   in Loop: Header=BB357_2093 Depth=1
	v_and_b32_e32 v4, 0x7f, v16
	v_mov_b32_e32 v2, 0x7f800001
	s_mov_b32 s16, exec_lo
	s_delay_alu instid0(VALU_DEP_2)
	v_cmpx_ne_u32_e32 0x7f, v4
	s_cbranch_execz .LBB357_3024
; %bb.3021:                             ;   in Loop: Header=BB357_2093 Depth=1
	v_mov_b64_e32 v[22:23], v[16:17]
	v_lshrrev_b32_e32 v2, 3, v4
	s_mov_b32 s17, exec_lo
	v_cmpx_gt_u32_e32 8, v4
; %bb.3022:                             ;   in Loop: Header=BB357_2093 Depth=1
	v_and_b32_e32 v2, 7, v16
	s_delay_alu instid0(VALU_DEP_1) | instskip(NEXT) | instid1(VALU_DEP_1)
	v_clz_i32_u32_e32 v2, v2
	v_min_u32_e32 v2, 32, v2
	s_delay_alu instid0(VALU_DEP_1) | instskip(SKIP_1) | instid1(VALU_DEP_2)
	v_subrev_nc_u32_e32 v4, 28, v2
	v_sub_nc_u32_e32 v2, 29, v2
	v_lshlrev_b64_e32 v[22:23], v4, v[16:17]
; %bb.3023:                             ;   in Loop: Header=BB357_2093 Depth=1
	s_or_b32 exec_lo, exec_lo, s17
	s_delay_alu instid0(VALU_DEP_1) | instskip(NEXT) | instid1(VALU_DEP_3)
	v_dual_lshlrev_b32 v4, 20, v22 :: v_dual_lshlrev_b32 v5, 24, v16
	v_lshl_add_u32 v2, v2, 23, 0x3c000000
	s_delay_alu instid0(VALU_DEP_2) | instskip(NEXT) | instid1(VALU_DEP_3)
	v_and_b32_e32 v4, 0x700000, v4
	v_and_b32_e32 v5, 0x80000000, v5
	s_delay_alu instid0(VALU_DEP_1)
	v_or3_b32 v2, v4, v5, v2
.LBB357_3024:                           ;   in Loop: Header=BB357_2093 Depth=1
	s_or_b32 exec_lo, exec_lo, s16
.LBB357_3025:                           ;   in Loop: Header=BB357_2093 Depth=1
	s_delay_alu instid0(SALU_CYCLE_1)
	s_or_b32 exec_lo, exec_lo, s15
.LBB357_3026:                           ;   in Loop: Header=BB357_2093 Depth=1
	s_delay_alu instid0(SALU_CYCLE_1) | instskip(SKIP_2) | instid1(VALU_DEP_1)
	s_or_b32 exec_lo, exec_lo, s14
	v_lshrrev_b16 v4, 8, v16
	s_mov_b32 s14, exec_lo
	v_cmpx_ne_u16_e32 0, v4
	s_cbranch_execz .LBB357_3034
; %bb.3027:                             ;   in Loop: Header=BB357_2093 Depth=1
	v_bfrev_b32_e32 v3, 1
	s_mov_b32 s15, exec_lo
	v_cmpx_ne_u16_e32 0x80, v4
	s_cbranch_execz .LBB357_3033
; %bb.3028:                             ;   in Loop: Header=BB357_2093 Depth=1
	v_and_b32_e32 v5, 0xffff, v4
	v_mov_b32_e32 v3, 0x7f800001
	s_mov_b32 s16, exec_lo
	s_delay_alu instid0(VALU_DEP_2) | instskip(NEXT) | instid1(VALU_DEP_1)
	v_and_b32_e32 v4, 0x7f, v5
	v_cmpx_ne_u32_e32 0x7f, v4
	s_cbranch_execz .LBB357_3032
; %bb.3029:                             ;   in Loop: Header=BB357_2093 Depth=1
	v_dual_lshrrev_b32 v3, 3, v4 :: v_dual_bitop2_b32 v68, 7, v5 bitop3:0x40
	s_mov_b32 s17, exec_lo
	s_delay_alu instid0(VALU_DEP_1)
	v_mov_b64_e32 v[22:23], v[68:69]
	v_cmpx_gt_u32_e32 8, v4
; %bb.3030:                             ;   in Loop: Header=BB357_2093 Depth=1
	v_clz_i32_u32_e32 v3, v68
	s_delay_alu instid0(VALU_DEP_1) | instskip(NEXT) | instid1(VALU_DEP_1)
	v_min_u32_e32 v3, 32, v3
	v_subrev_nc_u32_e32 v4, 28, v3
	s_delay_alu instid0(VALU_DEP_1) | instskip(NEXT) | instid1(VALU_DEP_1)
	v_lshlrev_b64_e32 v[4:5], v4, v[68:69]
	v_dual_sub_nc_u32 v3, 29, v3 :: v_dual_bitop2_b32 v22, 7, v4 bitop3:0x40
; %bb.3031:                             ;   in Loop: Header=BB357_2093 Depth=1
	s_or_b32 exec_lo, exec_lo, s17
	s_delay_alu instid0(VALU_DEP_1) | instskip(NEXT) | instid1(VALU_DEP_2)
	v_dual_lshlrev_b32 v4, 16, v16 :: v_dual_lshlrev_b32 v5, 20, v22
	v_lshl_add_u32 v3, v3, 23, 0x3c000000
	s_delay_alu instid0(VALU_DEP_2) | instskip(NEXT) | instid1(VALU_DEP_1)
	v_and_b32_e32 v4, 0x80000000, v4
	v_or3_b32 v3, v5, v4, v3
.LBB357_3032:                           ;   in Loop: Header=BB357_2093 Depth=1
	s_or_b32 exec_lo, exec_lo, s16
.LBB357_3033:                           ;   in Loop: Header=BB357_2093 Depth=1
	s_delay_alu instid0(SALU_CYCLE_1)
	s_or_b32 exec_lo, exec_lo, s15
.LBB357_3034:                           ;   in Loop: Header=BB357_2093 Depth=1
	s_delay_alu instid0(SALU_CYCLE_1) | instskip(SKIP_3) | instid1(VALU_DEP_2)
	s_or_b32 exec_lo, exec_lo, s14
	v_dual_mov_b32 v5, 0 :: v_dual_lshrrev_b32 v6, 16, v16
	v_mov_b32_e32 v4, 0
	s_mov_b32 s14, exec_lo
	v_and_b32_e32 v7, 0xff, v6
	s_delay_alu instid0(VALU_DEP_1)
	v_cmpx_ne_u16_e32 0, v7
	s_cbranch_execz .LBB357_3042
; %bb.3035:                             ;   in Loop: Header=BB357_2093 Depth=1
	v_bfrev_b32_e32 v4, 1
	s_mov_b32 s15, exec_lo
	v_cmpx_ne_u16_e32 0x80, v7
	s_cbranch_execz .LBB357_3041
; %bb.3036:                             ;   in Loop: Header=BB357_2093 Depth=1
	v_bfe_u32 v7, v16, 16, 7
	v_mov_b32_e32 v4, 0x7f800001
	s_mov_b32 s16, exec_lo
	s_delay_alu instid0(VALU_DEP_2)
	v_cmpx_ne_u32_e32 0x7f, v7
	s_cbranch_execz .LBB357_3040
; %bb.3037:                             ;   in Loop: Header=BB357_2093 Depth=1
	v_dual_lshrrev_b32 v4, 3, v7 :: v_dual_bitop2_b32 v68, 7, v6 bitop3:0x40
	s_mov_b32 s17, exec_lo
	s_delay_alu instid0(VALU_DEP_1)
	v_mov_b64_e32 v[22:23], v[68:69]
	v_cmpx_gt_u32_e32 8, v7
; %bb.3038:                             ;   in Loop: Header=BB357_2093 Depth=1
	v_clz_i32_u32_e32 v4, v68
	s_delay_alu instid0(VALU_DEP_1) | instskip(NEXT) | instid1(VALU_DEP_1)
	v_min_u32_e32 v4, 32, v4
	v_subrev_nc_u32_e32 v7, 28, v4
	v_sub_nc_u32_e32 v4, 29, v4
	s_delay_alu instid0(VALU_DEP_2) | instskip(NEXT) | instid1(VALU_DEP_1)
	v_lshlrev_b64_e32 v[8:9], v7, v[68:69]
	v_and_b32_e32 v22, 7, v8
; %bb.3039:                             ;   in Loop: Header=BB357_2093 Depth=1
	s_or_b32 exec_lo, exec_lo, s17
	v_lshlrev_b32_e32 v6, 24, v6
	s_delay_alu instid0(VALU_DEP_2) | instskip(SKIP_1) | instid1(VALU_DEP_3)
	v_lshlrev_b32_e32 v7, 20, v22
	v_lshl_add_u32 v4, v4, 23, 0x3c000000
	v_and_b32_e32 v6, 0x80000000, v6
	s_delay_alu instid0(VALU_DEP_1)
	v_or3_b32 v4, v7, v6, v4
.LBB357_3040:                           ;   in Loop: Header=BB357_2093 Depth=1
	s_or_b32 exec_lo, exec_lo, s16
.LBB357_3041:                           ;   in Loop: Header=BB357_2093 Depth=1
	s_delay_alu instid0(SALU_CYCLE_1)
	s_or_b32 exec_lo, exec_lo, s15
.LBB357_3042:                           ;   in Loop: Header=BB357_2093 Depth=1
	s_delay_alu instid0(SALU_CYCLE_1) | instskip(NEXT) | instid1(SALU_CYCLE_1)
	s_or_b32 exec_lo, exec_lo, s14
	s_mov_b32 s14, exec_lo
	v_cmpx_lt_u32_e32 0xffffff, v16
	s_cbranch_execz .LBB357_3050
; %bb.3043:                             ;   in Loop: Header=BB357_2093 Depth=1
	v_lshrrev_b32_e32 v6, 24, v16
	v_bfrev_b32_e32 v5, 1
	s_mov_b32 s15, exec_lo
	s_delay_alu instid0(VALU_DEP_2)
	v_cmpx_ne_u32_e32 0x80, v6
	s_cbranch_execz .LBB357_3049
; %bb.3044:                             ;   in Loop: Header=BB357_2093 Depth=1
	v_bfe_u32 v7, v16, 24, 7
	v_mov_b32_e32 v5, 0x7f800001
	s_mov_b32 s16, exec_lo
	s_delay_alu instid0(VALU_DEP_2)
	v_cmpx_ne_u32_e32 0x7f, v7
	s_cbranch_execz .LBB357_3048
; %bb.3045:                             ;   in Loop: Header=BB357_2093 Depth=1
	v_dual_lshrrev_b32 v5, 3, v7 :: v_dual_bitop2_b32 v68, 7, v6 bitop3:0x40
	s_mov_b32 s17, exec_lo
	s_delay_alu instid0(VALU_DEP_1)
	v_mov_b64_e32 v[22:23], v[68:69]
	v_cmpx_gt_u32_e32 8, v7
; %bb.3046:                             ;   in Loop: Header=BB357_2093 Depth=1
	v_clz_i32_u32_e32 v5, v68
	s_delay_alu instid0(VALU_DEP_1) | instskip(NEXT) | instid1(VALU_DEP_1)
	v_min_u32_e32 v5, 32, v5
	v_subrev_nc_u32_e32 v7, 28, v5
	s_delay_alu instid0(VALU_DEP_1) | instskip(NEXT) | instid1(VALU_DEP_1)
	v_lshlrev_b64_e32 v[8:9], v7, v[68:69]
	v_dual_sub_nc_u32 v5, 29, v5 :: v_dual_bitop2_b32 v22, 7, v8 bitop3:0x40
; %bb.3047:                             ;   in Loop: Header=BB357_2093 Depth=1
	s_or_b32 exec_lo, exec_lo, s17
	v_lshlrev_b32_e32 v6, 24, v6
	s_delay_alu instid0(VALU_DEP_2) | instskip(NEXT) | instid1(VALU_DEP_3)
	v_lshlrev_b32_e32 v7, 20, v22
	v_lshl_add_u32 v5, v5, 23, 0x3c000000
	s_delay_alu instid0(VALU_DEP_3) | instskip(NEXT) | instid1(VALU_DEP_1)
	v_and_b32_e32 v6, 0x80000000, v6
	v_or3_b32 v5, v7, v6, v5
.LBB357_3048:                           ;   in Loop: Header=BB357_2093 Depth=1
	s_or_b32 exec_lo, exec_lo, s16
.LBB357_3049:                           ;   in Loop: Header=BB357_2093 Depth=1
	s_delay_alu instid0(SALU_CYCLE_1)
	s_or_b32 exec_lo, exec_lo, s15
.LBB357_3050:                           ;   in Loop: Header=BB357_2093 Depth=1
	s_delay_alu instid0(SALU_CYCLE_1) | instskip(SKIP_4) | instid1(VALU_DEP_3)
	s_or_b32 exec_lo, exec_lo, s14
	v_and_b32_e32 v8, 0xff, v17
	v_dual_mov_b32 v68, v17 :: v_dual_mov_b32 v7, 0
	v_mov_b32_e32 v6, 0
	s_mov_b32 s14, exec_lo
	v_cmpx_ne_u16_e32 0, v8
	s_cbranch_execz .LBB357_3058
; %bb.3051:                             ;   in Loop: Header=BB357_2093 Depth=1
	v_bfrev_b32_e32 v6, 1
	s_mov_b32 s15, exec_lo
	v_cmpx_ne_u16_e32 0x80, v8
	s_cbranch_execz .LBB357_3057
; %bb.3052:                             ;   in Loop: Header=BB357_2093 Depth=1
	v_and_b32_e32 v8, 0x7f, v17
	v_mov_b32_e32 v6, 0x7f800001
	s_mov_b32 s16, exec_lo
	s_delay_alu instid0(VALU_DEP_2)
	v_cmpx_ne_u32_e32 0x7f, v8
	s_cbranch_execz .LBB357_3056
; %bb.3053:                             ;   in Loop: Header=BB357_2093 Depth=1
	v_mov_b64_e32 v[22:23], v[68:69]
	v_lshrrev_b32_e32 v6, 3, v8
	s_mov_b32 s17, exec_lo
	v_cmpx_gt_u32_e32 8, v8
; %bb.3054:                             ;   in Loop: Header=BB357_2093 Depth=1
	v_and_b32_e32 v6, 7, v17
	s_delay_alu instid0(VALU_DEP_1) | instskip(NEXT) | instid1(VALU_DEP_1)
	v_clz_i32_u32_e32 v6, v6
	v_min_u32_e32 v6, 32, v6
	s_delay_alu instid0(VALU_DEP_1) | instskip(SKIP_1) | instid1(VALU_DEP_2)
	v_subrev_nc_u32_e32 v8, 28, v6
	v_sub_nc_u32_e32 v6, 29, v6
	v_lshlrev_b64_e32 v[22:23], v8, v[68:69]
; %bb.3055:                             ;   in Loop: Header=BB357_2093 Depth=1
	s_or_b32 exec_lo, exec_lo, s17
	s_delay_alu instid0(VALU_DEP_1) | instskip(NEXT) | instid1(VALU_DEP_3)
	v_dual_lshlrev_b32 v8, 20, v22 :: v_dual_lshlrev_b32 v9, 24, v68
	v_lshl_add_u32 v6, v6, 23, 0x3c000000
	s_delay_alu instid0(VALU_DEP_2) | instskip(NEXT) | instid1(VALU_DEP_3)
	v_and_b32_e32 v8, 0x700000, v8
	v_and_b32_e32 v9, 0x80000000, v9
	s_delay_alu instid0(VALU_DEP_1)
	v_or3_b32 v6, v8, v9, v6
.LBB357_3056:                           ;   in Loop: Header=BB357_2093 Depth=1
	s_or_b32 exec_lo, exec_lo, s16
.LBB357_3057:                           ;   in Loop: Header=BB357_2093 Depth=1
	s_delay_alu instid0(SALU_CYCLE_1)
	s_or_b32 exec_lo, exec_lo, s15
.LBB357_3058:                           ;   in Loop: Header=BB357_2093 Depth=1
	s_delay_alu instid0(SALU_CYCLE_1) | instskip(SKIP_2) | instid1(VALU_DEP_1)
	s_or_b32 exec_lo, exec_lo, s14
	v_lshrrev_b16 v8, 8, v68
	s_mov_b32 s14, exec_lo
	v_cmpx_ne_u16_e32 0, v8
	s_cbranch_execz .LBB357_3066
; %bb.3059:                             ;   in Loop: Header=BB357_2093 Depth=1
	v_bfrev_b32_e32 v7, 1
	s_mov_b32 s15, exec_lo
	v_cmpx_ne_u16_e32 0x80, v8
	s_cbranch_execz .LBB357_3065
; %bb.3060:                             ;   in Loop: Header=BB357_2093 Depth=1
	v_and_b32_e32 v9, 0xffff, v8
	v_mov_b32_e32 v7, 0x7f800001
	s_mov_b32 s16, exec_lo
	s_delay_alu instid0(VALU_DEP_2) | instskip(NEXT) | instid1(VALU_DEP_1)
	v_and_b32_e32 v8, 0x7f, v9
	v_cmpx_ne_u32_e32 0x7f, v8
	s_cbranch_execz .LBB357_3064
; %bb.3061:                             ;   in Loop: Header=BB357_2093 Depth=1
	v_dual_mov_b32 v23, v69 :: v_dual_bitop2_b32 v22, 7, v9 bitop3:0x40
	v_lshrrev_b32_e32 v7, 3, v8
	s_mov_b32 s17, exec_lo
	v_cmpx_gt_u32_e32 8, v8
; %bb.3062:                             ;   in Loop: Header=BB357_2093 Depth=1
	s_delay_alu instid0(VALU_DEP_3) | instskip(NEXT) | instid1(VALU_DEP_1)
	v_clz_i32_u32_e32 v7, v22
	v_min_u32_e32 v7, 32, v7
	s_delay_alu instid0(VALU_DEP_1) | instskip(NEXT) | instid1(VALU_DEP_1)
	v_subrev_nc_u32_e32 v8, 28, v7
	v_lshlrev_b64_e32 v[8:9], v8, v[22:23]
	s_delay_alu instid0(VALU_DEP_1)
	v_dual_sub_nc_u32 v7, 29, v7 :: v_dual_bitop2_b32 v22, 7, v8 bitop3:0x40
; %bb.3063:                             ;   in Loop: Header=BB357_2093 Depth=1
	s_or_b32 exec_lo, exec_lo, s17
	s_delay_alu instid0(VALU_DEP_1) | instskip(NEXT) | instid1(VALU_DEP_2)
	v_dual_lshlrev_b32 v8, 16, v68 :: v_dual_lshlrev_b32 v9, 20, v22
	v_lshl_add_u32 v7, v7, 23, 0x3c000000
	s_delay_alu instid0(VALU_DEP_2) | instskip(NEXT) | instid1(VALU_DEP_1)
	v_and_b32_e32 v8, 0x80000000, v8
	v_or3_b32 v7, v9, v8, v7
.LBB357_3064:                           ;   in Loop: Header=BB357_2093 Depth=1
	s_or_b32 exec_lo, exec_lo, s16
.LBB357_3065:                           ;   in Loop: Header=BB357_2093 Depth=1
	s_delay_alu instid0(SALU_CYCLE_1)
	s_or_b32 exec_lo, exec_lo, s15
.LBB357_3066:                           ;   in Loop: Header=BB357_2093 Depth=1
	s_delay_alu instid0(SALU_CYCLE_1) | instskip(SKIP_3) | instid1(VALU_DEP_2)
	s_or_b32 exec_lo, exec_lo, s14
	v_dual_lshrrev_b32 v10, 16, v17 :: v_dual_mov_b32 v8, 0
	v_mov_b32_e32 v9, 0
	s_mov_b32 s14, exec_lo
	v_and_b32_e32 v11, 0xff, v10
	s_delay_alu instid0(VALU_DEP_1)
	v_cmpx_ne_u16_e32 0, v11
	s_cbranch_execz .LBB357_3074
; %bb.3067:                             ;   in Loop: Header=BB357_2093 Depth=1
	v_bfrev_b32_e32 v9, 1
	s_mov_b32 s15, exec_lo
	v_cmpx_ne_u16_e32 0x80, v11
	s_cbranch_execz .LBB357_3073
; %bb.3068:                             ;   in Loop: Header=BB357_2093 Depth=1
	v_bfe_u32 v11, v17, 16, 7
	v_mov_b32_e32 v9, 0x7f800001
	s_mov_b32 s16, exec_lo
	s_delay_alu instid0(VALU_DEP_2)
	v_cmpx_ne_u32_e32 0x7f, v11
	s_cbranch_execz .LBB357_3072
; %bb.3069:                             ;   in Loop: Header=BB357_2093 Depth=1
	v_dual_lshrrev_b32 v9, 3, v11 :: v_dual_bitop2_b32 v68, 7, v10 bitop3:0x40
	s_mov_b32 s17, exec_lo
	s_delay_alu instid0(VALU_DEP_1)
	v_mov_b64_e32 v[22:23], v[68:69]
	v_cmpx_gt_u32_e32 8, v11
; %bb.3070:                             ;   in Loop: Header=BB357_2093 Depth=1
	v_clz_i32_u32_e32 v9, v68
	s_delay_alu instid0(VALU_DEP_1) | instskip(NEXT) | instid1(VALU_DEP_1)
	v_min_u32_e32 v9, 32, v9
	v_subrev_nc_u32_e32 v11, 28, v9
	s_delay_alu instid0(VALU_DEP_1) | instskip(NEXT) | instid1(VALU_DEP_1)
	v_lshlrev_b64_e32 v[12:13], v11, v[68:69]
	v_dual_sub_nc_u32 v9, 29, v9 :: v_dual_bitop2_b32 v22, 7, v12 bitop3:0x40
; %bb.3071:                             ;   in Loop: Header=BB357_2093 Depth=1
	s_or_b32 exec_lo, exec_lo, s17
	v_lshlrev_b32_e32 v10, 24, v10
	s_delay_alu instid0(VALU_DEP_2) | instskip(NEXT) | instid1(VALU_DEP_3)
	v_lshlrev_b32_e32 v11, 20, v22
	v_lshl_add_u32 v9, v9, 23, 0x3c000000
	s_delay_alu instid0(VALU_DEP_3) | instskip(NEXT) | instid1(VALU_DEP_1)
	v_and_b32_e32 v10, 0x80000000, v10
	v_or3_b32 v9, v11, v10, v9
.LBB357_3072:                           ;   in Loop: Header=BB357_2093 Depth=1
	s_or_b32 exec_lo, exec_lo, s16
.LBB357_3073:                           ;   in Loop: Header=BB357_2093 Depth=1
	s_delay_alu instid0(SALU_CYCLE_1)
	s_or_b32 exec_lo, exec_lo, s15
.LBB357_3074:                           ;   in Loop: Header=BB357_2093 Depth=1
	s_delay_alu instid0(SALU_CYCLE_1) | instskip(NEXT) | instid1(SALU_CYCLE_1)
	s_or_b32 exec_lo, exec_lo, s14
	s_mov_b32 s14, exec_lo
	v_cmpx_lt_u64_e64 s[2:3], v[16:17]
	s_cbranch_execz .LBB357_3082
; %bb.3075:                             ;   in Loop: Header=BB357_2093 Depth=1
	v_lshrrev_b32_e32 v10, 24, v17
	v_bfrev_b32_e32 v8, 1
	s_mov_b32 s15, exec_lo
	s_delay_alu instid0(VALU_DEP_2)
	v_cmpx_ne_u32_e32 0x80, v10
	s_cbranch_execz .LBB357_3081
; %bb.3076:                             ;   in Loop: Header=BB357_2093 Depth=1
	v_bfe_u32 v11, v17, 24, 7
	v_mov_b32_e32 v8, 0x7f800001
	s_mov_b32 s16, exec_lo
	s_delay_alu instid0(VALU_DEP_2)
	v_cmpx_ne_u32_e32 0x7f, v11
	s_cbranch_execz .LBB357_3080
; %bb.3077:                             ;   in Loop: Header=BB357_2093 Depth=1
	v_dual_lshrrev_b32 v8, 3, v11 :: v_dual_bitop2_b32 v68, 7, v10 bitop3:0x40
	s_mov_b32 s17, exec_lo
	s_delay_alu instid0(VALU_DEP_1)
	v_mov_b64_e32 v[16:17], v[68:69]
	v_cmpx_gt_u32_e32 8, v11
; %bb.3078:                             ;   in Loop: Header=BB357_2093 Depth=1
	v_clz_i32_u32_e32 v8, v68
	s_delay_alu instid0(VALU_DEP_1) | instskip(NEXT) | instid1(VALU_DEP_1)
	v_min_u32_e32 v8, 32, v8
	v_subrev_nc_u32_e32 v11, 28, v8
	v_sub_nc_u32_e32 v8, 29, v8
	s_delay_alu instid0(VALU_DEP_2) | instskip(NEXT) | instid1(VALU_DEP_1)
	v_lshlrev_b64_e32 v[12:13], v11, v[68:69]
	v_and_b32_e32 v16, 7, v12
; %bb.3079:                             ;   in Loop: Header=BB357_2093 Depth=1
	s_or_b32 exec_lo, exec_lo, s17
	s_delay_alu instid0(VALU_DEP_1) | instskip(SKIP_1) | instid1(VALU_DEP_2)
	v_dual_lshlrev_b32 v10, 24, v10 :: v_dual_lshlrev_b32 v11, 20, v16
	v_lshl_add_u32 v8, v8, 23, 0x3c000000
	v_and_b32_e32 v10, 0x80000000, v10
	s_delay_alu instid0(VALU_DEP_1)
	v_or3_b32 v8, v11, v10, v8
.LBB357_3080:                           ;   in Loop: Header=BB357_2093 Depth=1
	s_or_b32 exec_lo, exec_lo, s16
.LBB357_3081:                           ;   in Loop: Header=BB357_2093 Depth=1
	s_delay_alu instid0(SALU_CYCLE_1)
	s_or_b32 exec_lo, exec_lo, s15
.LBB357_3082:                           ;   in Loop: Header=BB357_2093 Depth=1
	s_delay_alu instid0(SALU_CYCLE_1)
	s_or_b32 exec_lo, exec_lo, s14
	v_fma_mixlo_bf16 v2, v75, v2, 0
	v_fma_mixlo_bf16 v7, v75, v7, 0
	;; [unrolled: 1-line block ×5, first 2 shown]
	scratch_store_b32 off, v2, s32 offset:1052 ; 4-byte Folded Spill
	s_wait_xcnt 0x0
	v_fma_mixlo_bf16 v2, v75, v9, 0
	s_clause 0x4
	scratch_store_b32 off, v7, s32 offset:996
	scratch_store_b32 off, v6, s32 offset:1004
	;; [unrolled: 1-line block ×5, first 2 shown]
	v_fma_mixlo_bf16 v3, v75, v3, 0
	s_wait_xcnt 0x0
	v_fma_mixlo_bf16 v2, v75, v8, 0
	s_clause 0x1
	scratch_store_b32 off, v3, s32 offset:1044
	scratch_store_b32 off, v2, s32 offset:1028
	s_wait_xcnt 0x0
	s_and_saveexec_b32 s14, vcc_lo
	s_cbranch_execz .LBB357_3084
; %bb.3083:                             ;   in Loop: Header=BB357_2093 Depth=1
	scratch_load_b32 v2, off, s32 offset:1052 ; 4-byte Folded Reload
	v_cmp_lt_i32_e64 s0, v74, v42
	s_wait_loadcnt 0x0
	s_delay_alu instid0(VALU_DEP_1)
	v_cndmask_b32_e64 v2, 0, v2, s0
	v_cmp_lt_i32_e64 s0, v106, v42
	s_clause 0x1
	scratch_store_b32 off, v2, s32 offset:1052
	scratch_load_b32 v2, off, s32 offset:1044
	s_wait_loadcnt 0x0
	v_cndmask_b32_e64 v2, 0, v2, s0
	v_cmp_lt_i32_e64 s0, v105, v42
	s_clause 0x1
	scratch_store_b32 off, v2, s32 offset:1044
	scratch_load_b32 v2, off, s32 offset:1036
	s_wait_loadcnt 0x0
	;; [unrolled: 6-line block ×7, first 2 shown]
	v_cndmask_b32_e64 v2, 0, v2, s0
	scratch_store_b32 off, v2, s32 offset:1028 ; 4-byte Folded Spill
.LBB357_3084:                           ;   in Loop: Header=BB357_2093 Depth=1
	s_wait_xcnt 0x0
	s_or_b32 exec_lo, exec_lo, s14
	flat_load_b64 v[16:17], v[18:19] offset:3840
	v_dual_mov_b32 v3, 0 :: v_dual_mov_b32 v2, 0
	s_mov_b32 s14, exec_lo
	s_wait_loadcnt_dscnt 0x0
	v_and_b32_e32 v4, 0xff, v16
	s_wait_xcnt 0x0
	s_delay_alu instid0(VALU_DEP_1)
	v_cmpx_ne_u16_e32 0, v4
	s_cbranch_execz .LBB357_3092
; %bb.3085:                             ;   in Loop: Header=BB357_2093 Depth=1
	v_bfrev_b32_e32 v2, 1
	s_mov_b32 s15, exec_lo
	v_cmpx_ne_u16_e32 0x80, v4
	s_cbranch_execz .LBB357_3091
; %bb.3086:                             ;   in Loop: Header=BB357_2093 Depth=1
	v_and_b32_e32 v4, 0x7f, v16
	v_mov_b32_e32 v2, 0x7f800001
	s_mov_b32 s16, exec_lo
	s_delay_alu instid0(VALU_DEP_2)
	v_cmpx_ne_u32_e32 0x7f, v4
	s_cbranch_execz .LBB357_3090
; %bb.3087:                             ;   in Loop: Header=BB357_2093 Depth=1
	v_mov_b64_e32 v[22:23], v[16:17]
	v_lshrrev_b32_e32 v2, 3, v4
	s_mov_b32 s17, exec_lo
	v_cmpx_gt_u32_e32 8, v4
; %bb.3088:                             ;   in Loop: Header=BB357_2093 Depth=1
	v_and_b32_e32 v2, 7, v16
	s_delay_alu instid0(VALU_DEP_1) | instskip(NEXT) | instid1(VALU_DEP_1)
	v_clz_i32_u32_e32 v2, v2
	v_min_u32_e32 v2, 32, v2
	s_delay_alu instid0(VALU_DEP_1) | instskip(SKIP_1) | instid1(VALU_DEP_2)
	v_subrev_nc_u32_e32 v4, 28, v2
	v_sub_nc_u32_e32 v2, 29, v2
	v_lshlrev_b64_e32 v[22:23], v4, v[16:17]
; %bb.3089:                             ;   in Loop: Header=BB357_2093 Depth=1
	s_or_b32 exec_lo, exec_lo, s17
	s_delay_alu instid0(VALU_DEP_1) | instskip(NEXT) | instid1(VALU_DEP_3)
	v_dual_lshlrev_b32 v4, 20, v22 :: v_dual_lshlrev_b32 v5, 24, v16
	v_lshl_add_u32 v2, v2, 23, 0x3c000000
	s_delay_alu instid0(VALU_DEP_2) | instskip(NEXT) | instid1(VALU_DEP_3)
	v_and_b32_e32 v4, 0x700000, v4
	v_and_b32_e32 v5, 0x80000000, v5
	s_delay_alu instid0(VALU_DEP_1)
	v_or3_b32 v2, v4, v5, v2
.LBB357_3090:                           ;   in Loop: Header=BB357_2093 Depth=1
	s_or_b32 exec_lo, exec_lo, s16
.LBB357_3091:                           ;   in Loop: Header=BB357_2093 Depth=1
	s_delay_alu instid0(SALU_CYCLE_1)
	s_or_b32 exec_lo, exec_lo, s15
.LBB357_3092:                           ;   in Loop: Header=BB357_2093 Depth=1
	s_delay_alu instid0(SALU_CYCLE_1) | instskip(SKIP_2) | instid1(VALU_DEP_1)
	s_or_b32 exec_lo, exec_lo, s14
	v_lshrrev_b16 v4, 8, v16
	s_mov_b32 s14, exec_lo
	v_cmpx_ne_u16_e32 0, v4
	s_cbranch_execz .LBB357_3100
; %bb.3093:                             ;   in Loop: Header=BB357_2093 Depth=1
	v_bfrev_b32_e32 v3, 1
	s_mov_b32 s15, exec_lo
	v_cmpx_ne_u16_e32 0x80, v4
	s_cbranch_execz .LBB357_3099
; %bb.3094:                             ;   in Loop: Header=BB357_2093 Depth=1
	v_and_b32_e32 v5, 0xffff, v4
	v_mov_b32_e32 v3, 0x7f800001
	s_mov_b32 s16, exec_lo
	s_delay_alu instid0(VALU_DEP_2) | instskip(NEXT) | instid1(VALU_DEP_1)
	v_and_b32_e32 v4, 0x7f, v5
	v_cmpx_ne_u32_e32 0x7f, v4
	s_cbranch_execz .LBB357_3098
; %bb.3095:                             ;   in Loop: Header=BB357_2093 Depth=1
	v_dual_lshrrev_b32 v3, 3, v4 :: v_dual_bitop2_b32 v68, 7, v5 bitop3:0x40
	s_mov_b32 s17, exec_lo
	s_delay_alu instid0(VALU_DEP_1)
	v_mov_b64_e32 v[22:23], v[68:69]
	v_cmpx_gt_u32_e32 8, v4
; %bb.3096:                             ;   in Loop: Header=BB357_2093 Depth=1
	v_clz_i32_u32_e32 v3, v68
	s_delay_alu instid0(VALU_DEP_1) | instskip(NEXT) | instid1(VALU_DEP_1)
	v_min_u32_e32 v3, 32, v3
	v_subrev_nc_u32_e32 v4, 28, v3
	s_delay_alu instid0(VALU_DEP_1) | instskip(NEXT) | instid1(VALU_DEP_1)
	v_lshlrev_b64_e32 v[4:5], v4, v[68:69]
	v_dual_sub_nc_u32 v3, 29, v3 :: v_dual_bitop2_b32 v22, 7, v4 bitop3:0x40
; %bb.3097:                             ;   in Loop: Header=BB357_2093 Depth=1
	s_or_b32 exec_lo, exec_lo, s17
	s_delay_alu instid0(VALU_DEP_1) | instskip(NEXT) | instid1(VALU_DEP_2)
	v_dual_lshlrev_b32 v4, 16, v16 :: v_dual_lshlrev_b32 v5, 20, v22
	v_lshl_add_u32 v3, v3, 23, 0x3c000000
	s_delay_alu instid0(VALU_DEP_2) | instskip(NEXT) | instid1(VALU_DEP_1)
	v_and_b32_e32 v4, 0x80000000, v4
	v_or3_b32 v3, v5, v4, v3
.LBB357_3098:                           ;   in Loop: Header=BB357_2093 Depth=1
	s_or_b32 exec_lo, exec_lo, s16
.LBB357_3099:                           ;   in Loop: Header=BB357_2093 Depth=1
	s_delay_alu instid0(SALU_CYCLE_1)
	s_or_b32 exec_lo, exec_lo, s15
.LBB357_3100:                           ;   in Loop: Header=BB357_2093 Depth=1
	s_delay_alu instid0(SALU_CYCLE_1) | instskip(SKIP_3) | instid1(VALU_DEP_2)
	s_or_b32 exec_lo, exec_lo, s14
	v_dual_mov_b32 v5, 0 :: v_dual_lshrrev_b32 v6, 16, v16
	v_mov_b32_e32 v4, 0
	s_mov_b32 s14, exec_lo
	v_and_b32_e32 v7, 0xff, v6
	s_delay_alu instid0(VALU_DEP_1)
	v_cmpx_ne_u16_e32 0, v7
	s_cbranch_execz .LBB357_3108
; %bb.3101:                             ;   in Loop: Header=BB357_2093 Depth=1
	v_bfrev_b32_e32 v4, 1
	s_mov_b32 s15, exec_lo
	v_cmpx_ne_u16_e32 0x80, v7
	s_cbranch_execz .LBB357_3107
; %bb.3102:                             ;   in Loop: Header=BB357_2093 Depth=1
	v_bfe_u32 v7, v16, 16, 7
	v_mov_b32_e32 v4, 0x7f800001
	s_mov_b32 s16, exec_lo
	s_delay_alu instid0(VALU_DEP_2)
	v_cmpx_ne_u32_e32 0x7f, v7
	s_cbranch_execz .LBB357_3106
; %bb.3103:                             ;   in Loop: Header=BB357_2093 Depth=1
	v_dual_lshrrev_b32 v4, 3, v7 :: v_dual_bitop2_b32 v68, 7, v6 bitop3:0x40
	s_mov_b32 s17, exec_lo
	s_delay_alu instid0(VALU_DEP_1)
	v_mov_b64_e32 v[22:23], v[68:69]
	v_cmpx_gt_u32_e32 8, v7
; %bb.3104:                             ;   in Loop: Header=BB357_2093 Depth=1
	v_clz_i32_u32_e32 v4, v68
	s_delay_alu instid0(VALU_DEP_1) | instskip(NEXT) | instid1(VALU_DEP_1)
	v_min_u32_e32 v4, 32, v4
	v_subrev_nc_u32_e32 v7, 28, v4
	v_sub_nc_u32_e32 v4, 29, v4
	s_delay_alu instid0(VALU_DEP_2) | instskip(NEXT) | instid1(VALU_DEP_1)
	v_lshlrev_b64_e32 v[8:9], v7, v[68:69]
	v_and_b32_e32 v22, 7, v8
; %bb.3105:                             ;   in Loop: Header=BB357_2093 Depth=1
	s_or_b32 exec_lo, exec_lo, s17
	v_lshlrev_b32_e32 v6, 24, v6
	s_delay_alu instid0(VALU_DEP_2) | instskip(SKIP_1) | instid1(VALU_DEP_3)
	v_lshlrev_b32_e32 v7, 20, v22
	v_lshl_add_u32 v4, v4, 23, 0x3c000000
	v_and_b32_e32 v6, 0x80000000, v6
	s_delay_alu instid0(VALU_DEP_1)
	v_or3_b32 v4, v7, v6, v4
.LBB357_3106:                           ;   in Loop: Header=BB357_2093 Depth=1
	s_or_b32 exec_lo, exec_lo, s16
.LBB357_3107:                           ;   in Loop: Header=BB357_2093 Depth=1
	s_delay_alu instid0(SALU_CYCLE_1)
	s_or_b32 exec_lo, exec_lo, s15
.LBB357_3108:                           ;   in Loop: Header=BB357_2093 Depth=1
	s_delay_alu instid0(SALU_CYCLE_1) | instskip(NEXT) | instid1(SALU_CYCLE_1)
	s_or_b32 exec_lo, exec_lo, s14
	s_mov_b32 s14, exec_lo
	v_cmpx_lt_u32_e32 0xffffff, v16
	s_cbranch_execz .LBB357_3116
; %bb.3109:                             ;   in Loop: Header=BB357_2093 Depth=1
	v_lshrrev_b32_e32 v6, 24, v16
	v_bfrev_b32_e32 v5, 1
	s_mov_b32 s15, exec_lo
	s_delay_alu instid0(VALU_DEP_2)
	v_cmpx_ne_u32_e32 0x80, v6
	s_cbranch_execz .LBB357_3115
; %bb.3110:                             ;   in Loop: Header=BB357_2093 Depth=1
	v_bfe_u32 v7, v16, 24, 7
	v_mov_b32_e32 v5, 0x7f800001
	s_mov_b32 s16, exec_lo
	s_delay_alu instid0(VALU_DEP_2)
	v_cmpx_ne_u32_e32 0x7f, v7
	s_cbranch_execz .LBB357_3114
; %bb.3111:                             ;   in Loop: Header=BB357_2093 Depth=1
	v_dual_lshrrev_b32 v5, 3, v7 :: v_dual_bitop2_b32 v68, 7, v6 bitop3:0x40
	s_mov_b32 s17, exec_lo
	s_delay_alu instid0(VALU_DEP_1)
	v_mov_b64_e32 v[22:23], v[68:69]
	v_cmpx_gt_u32_e32 8, v7
; %bb.3112:                             ;   in Loop: Header=BB357_2093 Depth=1
	v_clz_i32_u32_e32 v5, v68
	s_delay_alu instid0(VALU_DEP_1) | instskip(NEXT) | instid1(VALU_DEP_1)
	v_min_u32_e32 v5, 32, v5
	v_subrev_nc_u32_e32 v7, 28, v5
	s_delay_alu instid0(VALU_DEP_1) | instskip(NEXT) | instid1(VALU_DEP_1)
	v_lshlrev_b64_e32 v[8:9], v7, v[68:69]
	v_dual_sub_nc_u32 v5, 29, v5 :: v_dual_bitop2_b32 v22, 7, v8 bitop3:0x40
; %bb.3113:                             ;   in Loop: Header=BB357_2093 Depth=1
	s_or_b32 exec_lo, exec_lo, s17
	v_lshlrev_b32_e32 v6, 24, v6
	s_delay_alu instid0(VALU_DEP_2) | instskip(NEXT) | instid1(VALU_DEP_3)
	v_lshlrev_b32_e32 v7, 20, v22
	v_lshl_add_u32 v5, v5, 23, 0x3c000000
	s_delay_alu instid0(VALU_DEP_3) | instskip(NEXT) | instid1(VALU_DEP_1)
	v_and_b32_e32 v6, 0x80000000, v6
	v_or3_b32 v5, v7, v6, v5
.LBB357_3114:                           ;   in Loop: Header=BB357_2093 Depth=1
	s_or_b32 exec_lo, exec_lo, s16
.LBB357_3115:                           ;   in Loop: Header=BB357_2093 Depth=1
	s_delay_alu instid0(SALU_CYCLE_1)
	s_or_b32 exec_lo, exec_lo, s15
.LBB357_3116:                           ;   in Loop: Header=BB357_2093 Depth=1
	s_delay_alu instid0(SALU_CYCLE_1) | instskip(SKIP_4) | instid1(VALU_DEP_3)
	s_or_b32 exec_lo, exec_lo, s14
	v_and_b32_e32 v8, 0xff, v17
	v_dual_mov_b32 v68, v17 :: v_dual_mov_b32 v7, 0
	v_mov_b32_e32 v6, 0
	s_mov_b32 s14, exec_lo
	v_cmpx_ne_u16_e32 0, v8
	s_cbranch_execz .LBB357_3124
; %bb.3117:                             ;   in Loop: Header=BB357_2093 Depth=1
	v_bfrev_b32_e32 v6, 1
	s_mov_b32 s15, exec_lo
	v_cmpx_ne_u16_e32 0x80, v8
	s_cbranch_execz .LBB357_3123
; %bb.3118:                             ;   in Loop: Header=BB357_2093 Depth=1
	v_and_b32_e32 v8, 0x7f, v17
	v_mov_b32_e32 v6, 0x7f800001
	s_mov_b32 s16, exec_lo
	s_delay_alu instid0(VALU_DEP_2)
	v_cmpx_ne_u32_e32 0x7f, v8
	s_cbranch_execz .LBB357_3122
; %bb.3119:                             ;   in Loop: Header=BB357_2093 Depth=1
	v_mov_b64_e32 v[22:23], v[68:69]
	v_lshrrev_b32_e32 v6, 3, v8
	s_mov_b32 s17, exec_lo
	v_cmpx_gt_u32_e32 8, v8
; %bb.3120:                             ;   in Loop: Header=BB357_2093 Depth=1
	v_and_b32_e32 v6, 7, v17
	s_delay_alu instid0(VALU_DEP_1) | instskip(NEXT) | instid1(VALU_DEP_1)
	v_clz_i32_u32_e32 v6, v6
	v_min_u32_e32 v6, 32, v6
	s_delay_alu instid0(VALU_DEP_1) | instskip(SKIP_1) | instid1(VALU_DEP_2)
	v_subrev_nc_u32_e32 v8, 28, v6
	v_sub_nc_u32_e32 v6, 29, v6
	v_lshlrev_b64_e32 v[22:23], v8, v[68:69]
; %bb.3121:                             ;   in Loop: Header=BB357_2093 Depth=1
	s_or_b32 exec_lo, exec_lo, s17
	s_delay_alu instid0(VALU_DEP_1) | instskip(NEXT) | instid1(VALU_DEP_3)
	v_dual_lshlrev_b32 v8, 20, v22 :: v_dual_lshlrev_b32 v9, 24, v68
	v_lshl_add_u32 v6, v6, 23, 0x3c000000
	s_delay_alu instid0(VALU_DEP_2) | instskip(NEXT) | instid1(VALU_DEP_3)
	v_and_b32_e32 v8, 0x700000, v8
	v_and_b32_e32 v9, 0x80000000, v9
	s_delay_alu instid0(VALU_DEP_1)
	v_or3_b32 v6, v8, v9, v6
.LBB357_3122:                           ;   in Loop: Header=BB357_2093 Depth=1
	s_or_b32 exec_lo, exec_lo, s16
.LBB357_3123:                           ;   in Loop: Header=BB357_2093 Depth=1
	s_delay_alu instid0(SALU_CYCLE_1)
	s_or_b32 exec_lo, exec_lo, s15
.LBB357_3124:                           ;   in Loop: Header=BB357_2093 Depth=1
	s_delay_alu instid0(SALU_CYCLE_1) | instskip(SKIP_2) | instid1(VALU_DEP_1)
	s_or_b32 exec_lo, exec_lo, s14
	v_lshrrev_b16 v8, 8, v68
	s_mov_b32 s14, exec_lo
	v_cmpx_ne_u16_e32 0, v8
	s_cbranch_execz .LBB357_3132
; %bb.3125:                             ;   in Loop: Header=BB357_2093 Depth=1
	v_bfrev_b32_e32 v7, 1
	s_mov_b32 s15, exec_lo
	v_cmpx_ne_u16_e32 0x80, v8
	s_cbranch_execz .LBB357_3131
; %bb.3126:                             ;   in Loop: Header=BB357_2093 Depth=1
	v_and_b32_e32 v9, 0xffff, v8
	v_mov_b32_e32 v7, 0x7f800001
	s_mov_b32 s16, exec_lo
	s_delay_alu instid0(VALU_DEP_2) | instskip(NEXT) | instid1(VALU_DEP_1)
	v_and_b32_e32 v8, 0x7f, v9
	v_cmpx_ne_u32_e32 0x7f, v8
	s_cbranch_execz .LBB357_3130
; %bb.3127:                             ;   in Loop: Header=BB357_2093 Depth=1
	v_dual_mov_b32 v23, v69 :: v_dual_bitop2_b32 v22, 7, v9 bitop3:0x40
	v_lshrrev_b32_e32 v7, 3, v8
	s_mov_b32 s17, exec_lo
	v_cmpx_gt_u32_e32 8, v8
; %bb.3128:                             ;   in Loop: Header=BB357_2093 Depth=1
	s_delay_alu instid0(VALU_DEP_3) | instskip(NEXT) | instid1(VALU_DEP_1)
	v_clz_i32_u32_e32 v7, v22
	v_min_u32_e32 v7, 32, v7
	s_delay_alu instid0(VALU_DEP_1) | instskip(NEXT) | instid1(VALU_DEP_1)
	v_subrev_nc_u32_e32 v8, 28, v7
	v_lshlrev_b64_e32 v[8:9], v8, v[22:23]
	s_delay_alu instid0(VALU_DEP_1)
	v_dual_sub_nc_u32 v7, 29, v7 :: v_dual_bitop2_b32 v22, 7, v8 bitop3:0x40
; %bb.3129:                             ;   in Loop: Header=BB357_2093 Depth=1
	s_or_b32 exec_lo, exec_lo, s17
	s_delay_alu instid0(VALU_DEP_1) | instskip(NEXT) | instid1(VALU_DEP_2)
	v_dual_lshlrev_b32 v8, 16, v68 :: v_dual_lshlrev_b32 v9, 20, v22
	v_lshl_add_u32 v7, v7, 23, 0x3c000000
	s_delay_alu instid0(VALU_DEP_2) | instskip(NEXT) | instid1(VALU_DEP_1)
	v_and_b32_e32 v8, 0x80000000, v8
	v_or3_b32 v7, v9, v8, v7
.LBB357_3130:                           ;   in Loop: Header=BB357_2093 Depth=1
	s_or_b32 exec_lo, exec_lo, s16
.LBB357_3131:                           ;   in Loop: Header=BB357_2093 Depth=1
	s_delay_alu instid0(SALU_CYCLE_1)
	s_or_b32 exec_lo, exec_lo, s15
.LBB357_3132:                           ;   in Loop: Header=BB357_2093 Depth=1
	s_delay_alu instid0(SALU_CYCLE_1) | instskip(SKIP_3) | instid1(VALU_DEP_2)
	s_or_b32 exec_lo, exec_lo, s14
	v_dual_lshrrev_b32 v10, 16, v17 :: v_dual_mov_b32 v8, 0
	v_mov_b32_e32 v9, 0
	s_mov_b32 s14, exec_lo
	v_and_b32_e32 v11, 0xff, v10
	s_delay_alu instid0(VALU_DEP_1)
	v_cmpx_ne_u16_e32 0, v11
	s_cbranch_execz .LBB357_3140
; %bb.3133:                             ;   in Loop: Header=BB357_2093 Depth=1
	v_bfrev_b32_e32 v9, 1
	s_mov_b32 s15, exec_lo
	v_cmpx_ne_u16_e32 0x80, v11
	s_cbranch_execz .LBB357_3139
; %bb.3134:                             ;   in Loop: Header=BB357_2093 Depth=1
	v_bfe_u32 v11, v17, 16, 7
	v_mov_b32_e32 v9, 0x7f800001
	s_mov_b32 s16, exec_lo
	s_delay_alu instid0(VALU_DEP_2)
	v_cmpx_ne_u32_e32 0x7f, v11
	s_cbranch_execz .LBB357_3138
; %bb.3135:                             ;   in Loop: Header=BB357_2093 Depth=1
	v_dual_lshrrev_b32 v9, 3, v11 :: v_dual_bitop2_b32 v68, 7, v10 bitop3:0x40
	s_mov_b32 s17, exec_lo
	s_delay_alu instid0(VALU_DEP_1)
	v_mov_b64_e32 v[22:23], v[68:69]
	v_cmpx_gt_u32_e32 8, v11
; %bb.3136:                             ;   in Loop: Header=BB357_2093 Depth=1
	v_clz_i32_u32_e32 v9, v68
	s_delay_alu instid0(VALU_DEP_1) | instskip(NEXT) | instid1(VALU_DEP_1)
	v_min_u32_e32 v9, 32, v9
	v_subrev_nc_u32_e32 v11, 28, v9
	s_delay_alu instid0(VALU_DEP_1) | instskip(NEXT) | instid1(VALU_DEP_1)
	v_lshlrev_b64_e32 v[12:13], v11, v[68:69]
	v_dual_sub_nc_u32 v9, 29, v9 :: v_dual_bitop2_b32 v22, 7, v12 bitop3:0x40
; %bb.3137:                             ;   in Loop: Header=BB357_2093 Depth=1
	s_or_b32 exec_lo, exec_lo, s17
	v_lshlrev_b32_e32 v10, 24, v10
	s_delay_alu instid0(VALU_DEP_2) | instskip(NEXT) | instid1(VALU_DEP_3)
	v_lshlrev_b32_e32 v11, 20, v22
	v_lshl_add_u32 v9, v9, 23, 0x3c000000
	s_delay_alu instid0(VALU_DEP_3) | instskip(NEXT) | instid1(VALU_DEP_1)
	v_and_b32_e32 v10, 0x80000000, v10
	v_or3_b32 v9, v11, v10, v9
.LBB357_3138:                           ;   in Loop: Header=BB357_2093 Depth=1
	s_or_b32 exec_lo, exec_lo, s16
.LBB357_3139:                           ;   in Loop: Header=BB357_2093 Depth=1
	s_delay_alu instid0(SALU_CYCLE_1)
	s_or_b32 exec_lo, exec_lo, s15
.LBB357_3140:                           ;   in Loop: Header=BB357_2093 Depth=1
	s_delay_alu instid0(SALU_CYCLE_1) | instskip(NEXT) | instid1(SALU_CYCLE_1)
	s_or_b32 exec_lo, exec_lo, s14
	s_mov_b32 s14, exec_lo
	v_cmpx_lt_u64_e64 s[2:3], v[16:17]
	s_cbranch_execz .LBB357_3148
; %bb.3141:                             ;   in Loop: Header=BB357_2093 Depth=1
	v_lshrrev_b32_e32 v10, 24, v17
	v_bfrev_b32_e32 v8, 1
	s_mov_b32 s15, exec_lo
	s_delay_alu instid0(VALU_DEP_2)
	v_cmpx_ne_u32_e32 0x80, v10
	s_cbranch_execz .LBB357_3147
; %bb.3142:                             ;   in Loop: Header=BB357_2093 Depth=1
	v_bfe_u32 v11, v17, 24, 7
	v_mov_b32_e32 v8, 0x7f800001
	s_mov_b32 s16, exec_lo
	s_delay_alu instid0(VALU_DEP_2)
	v_cmpx_ne_u32_e32 0x7f, v11
	s_cbranch_execz .LBB357_3146
; %bb.3143:                             ;   in Loop: Header=BB357_2093 Depth=1
	v_dual_lshrrev_b32 v8, 3, v11 :: v_dual_bitop2_b32 v68, 7, v10 bitop3:0x40
	s_mov_b32 s17, exec_lo
	s_delay_alu instid0(VALU_DEP_1)
	v_mov_b64_e32 v[16:17], v[68:69]
	v_cmpx_gt_u32_e32 8, v11
; %bb.3144:                             ;   in Loop: Header=BB357_2093 Depth=1
	v_clz_i32_u32_e32 v8, v68
	s_delay_alu instid0(VALU_DEP_1) | instskip(NEXT) | instid1(VALU_DEP_1)
	v_min_u32_e32 v8, 32, v8
	v_subrev_nc_u32_e32 v11, 28, v8
	v_sub_nc_u32_e32 v8, 29, v8
	s_delay_alu instid0(VALU_DEP_2) | instskip(NEXT) | instid1(VALU_DEP_1)
	v_lshlrev_b64_e32 v[12:13], v11, v[68:69]
	v_and_b32_e32 v16, 7, v12
; %bb.3145:                             ;   in Loop: Header=BB357_2093 Depth=1
	s_or_b32 exec_lo, exec_lo, s17
	s_delay_alu instid0(VALU_DEP_1) | instskip(SKIP_1) | instid1(VALU_DEP_2)
	v_dual_lshlrev_b32 v10, 24, v10 :: v_dual_lshlrev_b32 v11, 20, v16
	v_lshl_add_u32 v8, v8, 23, 0x3c000000
	v_and_b32_e32 v10, 0x80000000, v10
	s_delay_alu instid0(VALU_DEP_1)
	v_or3_b32 v8, v11, v10, v8
.LBB357_3146:                           ;   in Loop: Header=BB357_2093 Depth=1
	s_or_b32 exec_lo, exec_lo, s16
.LBB357_3147:                           ;   in Loop: Header=BB357_2093 Depth=1
	s_delay_alu instid0(SALU_CYCLE_1)
	s_or_b32 exec_lo, exec_lo, s15
.LBB357_3148:                           ;   in Loop: Header=BB357_2093 Depth=1
	s_delay_alu instid0(SALU_CYCLE_1)
	s_or_b32 exec_lo, exec_lo, s14
	v_fma_mixlo_bf16 v2, v75, v2, 0
	v_fma_mixlo_bf16 v7, v75, v7, 0
	v_fma_mixlo_bf16 v6, v75, v6, 0
	v_fma_mixlo_bf16 v5, v75, v5, 0
	v_fma_mixlo_bf16 v4, v75, v4, 0
	scratch_store_b32 off, v2, s32 offset:1100 ; 4-byte Folded Spill
	s_wait_xcnt 0x0
	v_fma_mixlo_bf16 v2, v75, v9, 0
	s_clause 0x4
	scratch_store_b32 off, v7, s32 offset:1060
	scratch_store_b32 off, v6, s32 offset:1068
	scratch_store_b32 off, v5, s32 offset:1080
	scratch_store_b32 off, v4, s32 offset:1092
	scratch_store_b32 off, v2, s32 offset:1072
	v_fma_mixlo_bf16 v3, v75, v3, 0
	s_wait_xcnt 0x0
	v_fma_mixlo_bf16 v2, v75, v8, 0
	s_clause 0x1
	scratch_store_b32 off, v3, s32 offset:1096
	scratch_store_b32 off, v2, s32 offset:1088
	s_wait_xcnt 0x0
	s_and_saveexec_b32 s14, vcc_lo
	s_cbranch_execz .LBB357_3150
; %bb.3149:                             ;   in Loop: Header=BB357_2093 Depth=1
	scratch_load_b32 v2, off, s32 offset:1100 ; 4-byte Folded Reload
	v_cmp_lt_i32_e64 s0, v74, v42
	s_wait_loadcnt 0x0
	s_delay_alu instid0(VALU_DEP_1)
	v_cndmask_b32_e64 v2, 0, v2, s0
	v_cmp_lt_i32_e64 s0, v106, v42
	s_clause 0x1
	scratch_store_b32 off, v2, s32 offset:1100
	scratch_load_b32 v2, off, s32 offset:1096
	s_wait_loadcnt 0x0
	v_cndmask_b32_e64 v2, 0, v2, s0
	v_cmp_lt_i32_e64 s0, v105, v42
	s_clause 0x1
	scratch_store_b32 off, v2, s32 offset:1096
	scratch_load_b32 v2, off, s32 offset:1092
	s_wait_loadcnt 0x0
	;; [unrolled: 6-line block ×7, first 2 shown]
	v_cndmask_b32_e64 v2, 0, v2, s0
	scratch_store_b32 off, v2, s32 offset:1088 ; 4-byte Folded Spill
.LBB357_3150:                           ;   in Loop: Header=BB357_2093 Depth=1
	s_wait_xcnt 0x0
	s_or_b32 exec_lo, exec_lo, s14
	flat_load_b64 v[16:17], v[18:19] offset:4096
	v_dual_mov_b32 v3, 0 :: v_dual_mov_b32 v2, 0
	s_mov_b32 s14, exec_lo
	s_wait_loadcnt_dscnt 0x0
	v_and_b32_e32 v4, 0xff, v16
	s_wait_xcnt 0x0
	s_delay_alu instid0(VALU_DEP_1)
	v_cmpx_ne_u16_e32 0, v4
	s_cbranch_execz .LBB357_3158
; %bb.3151:                             ;   in Loop: Header=BB357_2093 Depth=1
	v_bfrev_b32_e32 v2, 1
	s_mov_b32 s15, exec_lo
	v_cmpx_ne_u16_e32 0x80, v4
	s_cbranch_execz .LBB357_3157
; %bb.3152:                             ;   in Loop: Header=BB357_2093 Depth=1
	v_and_b32_e32 v4, 0x7f, v16
	v_mov_b32_e32 v2, 0x7f800001
	s_mov_b32 s16, exec_lo
	s_delay_alu instid0(VALU_DEP_2)
	v_cmpx_ne_u32_e32 0x7f, v4
	s_cbranch_execz .LBB357_3156
; %bb.3153:                             ;   in Loop: Header=BB357_2093 Depth=1
	v_mov_b64_e32 v[22:23], v[16:17]
	v_lshrrev_b32_e32 v2, 3, v4
	s_mov_b32 s17, exec_lo
	v_cmpx_gt_u32_e32 8, v4
; %bb.3154:                             ;   in Loop: Header=BB357_2093 Depth=1
	v_and_b32_e32 v2, 7, v16
	s_delay_alu instid0(VALU_DEP_1) | instskip(NEXT) | instid1(VALU_DEP_1)
	v_clz_i32_u32_e32 v2, v2
	v_min_u32_e32 v2, 32, v2
	s_delay_alu instid0(VALU_DEP_1) | instskip(SKIP_1) | instid1(VALU_DEP_2)
	v_subrev_nc_u32_e32 v4, 28, v2
	v_sub_nc_u32_e32 v2, 29, v2
	v_lshlrev_b64_e32 v[22:23], v4, v[16:17]
; %bb.3155:                             ;   in Loop: Header=BB357_2093 Depth=1
	s_or_b32 exec_lo, exec_lo, s17
	s_delay_alu instid0(VALU_DEP_1) | instskip(NEXT) | instid1(VALU_DEP_3)
	v_dual_lshlrev_b32 v4, 20, v22 :: v_dual_lshlrev_b32 v5, 24, v16
	v_lshl_add_u32 v2, v2, 23, 0x3c000000
	s_delay_alu instid0(VALU_DEP_2) | instskip(NEXT) | instid1(VALU_DEP_3)
	v_and_b32_e32 v4, 0x700000, v4
	v_and_b32_e32 v5, 0x80000000, v5
	s_delay_alu instid0(VALU_DEP_1)
	v_or3_b32 v2, v4, v5, v2
.LBB357_3156:                           ;   in Loop: Header=BB357_2093 Depth=1
	s_or_b32 exec_lo, exec_lo, s16
.LBB357_3157:                           ;   in Loop: Header=BB357_2093 Depth=1
	s_delay_alu instid0(SALU_CYCLE_1)
	s_or_b32 exec_lo, exec_lo, s15
.LBB357_3158:                           ;   in Loop: Header=BB357_2093 Depth=1
	s_delay_alu instid0(SALU_CYCLE_1) | instskip(SKIP_2) | instid1(VALU_DEP_1)
	s_or_b32 exec_lo, exec_lo, s14
	v_lshrrev_b16 v4, 8, v16
	s_mov_b32 s14, exec_lo
	v_cmpx_ne_u16_e32 0, v4
	s_cbranch_execz .LBB357_3166
; %bb.3159:                             ;   in Loop: Header=BB357_2093 Depth=1
	v_bfrev_b32_e32 v3, 1
	s_mov_b32 s15, exec_lo
	v_cmpx_ne_u16_e32 0x80, v4
	s_cbranch_execz .LBB357_3165
; %bb.3160:                             ;   in Loop: Header=BB357_2093 Depth=1
	v_and_b32_e32 v5, 0xffff, v4
	v_mov_b32_e32 v3, 0x7f800001
	s_mov_b32 s16, exec_lo
	s_delay_alu instid0(VALU_DEP_2) | instskip(NEXT) | instid1(VALU_DEP_1)
	v_and_b32_e32 v4, 0x7f, v5
	v_cmpx_ne_u32_e32 0x7f, v4
	s_cbranch_execz .LBB357_3164
; %bb.3161:                             ;   in Loop: Header=BB357_2093 Depth=1
	v_dual_lshrrev_b32 v3, 3, v4 :: v_dual_bitop2_b32 v68, 7, v5 bitop3:0x40
	s_mov_b32 s17, exec_lo
	s_delay_alu instid0(VALU_DEP_1)
	v_mov_b64_e32 v[22:23], v[68:69]
	v_cmpx_gt_u32_e32 8, v4
; %bb.3162:                             ;   in Loop: Header=BB357_2093 Depth=1
	v_clz_i32_u32_e32 v3, v68
	s_delay_alu instid0(VALU_DEP_1) | instskip(NEXT) | instid1(VALU_DEP_1)
	v_min_u32_e32 v3, 32, v3
	v_subrev_nc_u32_e32 v4, 28, v3
	s_delay_alu instid0(VALU_DEP_1) | instskip(NEXT) | instid1(VALU_DEP_1)
	v_lshlrev_b64_e32 v[4:5], v4, v[68:69]
	v_dual_sub_nc_u32 v3, 29, v3 :: v_dual_bitop2_b32 v22, 7, v4 bitop3:0x40
; %bb.3163:                             ;   in Loop: Header=BB357_2093 Depth=1
	s_or_b32 exec_lo, exec_lo, s17
	s_delay_alu instid0(VALU_DEP_1) | instskip(NEXT) | instid1(VALU_DEP_2)
	v_dual_lshlrev_b32 v4, 16, v16 :: v_dual_lshlrev_b32 v5, 20, v22
	v_lshl_add_u32 v3, v3, 23, 0x3c000000
	s_delay_alu instid0(VALU_DEP_2) | instskip(NEXT) | instid1(VALU_DEP_1)
	v_and_b32_e32 v4, 0x80000000, v4
	v_or3_b32 v3, v5, v4, v3
.LBB357_3164:                           ;   in Loop: Header=BB357_2093 Depth=1
	s_or_b32 exec_lo, exec_lo, s16
.LBB357_3165:                           ;   in Loop: Header=BB357_2093 Depth=1
	s_delay_alu instid0(SALU_CYCLE_1)
	s_or_b32 exec_lo, exec_lo, s15
.LBB357_3166:                           ;   in Loop: Header=BB357_2093 Depth=1
	s_delay_alu instid0(SALU_CYCLE_1) | instskip(SKIP_3) | instid1(VALU_DEP_2)
	s_or_b32 exec_lo, exec_lo, s14
	v_dual_mov_b32 v5, 0 :: v_dual_lshrrev_b32 v6, 16, v16
	v_mov_b32_e32 v4, 0
	s_mov_b32 s14, exec_lo
	v_and_b32_e32 v7, 0xff, v6
	s_delay_alu instid0(VALU_DEP_1)
	v_cmpx_ne_u16_e32 0, v7
	s_cbranch_execz .LBB357_3174
; %bb.3167:                             ;   in Loop: Header=BB357_2093 Depth=1
	v_bfrev_b32_e32 v4, 1
	s_mov_b32 s15, exec_lo
	v_cmpx_ne_u16_e32 0x80, v7
	s_cbranch_execz .LBB357_3173
; %bb.3168:                             ;   in Loop: Header=BB357_2093 Depth=1
	v_bfe_u32 v7, v16, 16, 7
	v_mov_b32_e32 v4, 0x7f800001
	s_mov_b32 s16, exec_lo
	s_delay_alu instid0(VALU_DEP_2)
	v_cmpx_ne_u32_e32 0x7f, v7
	s_cbranch_execz .LBB357_3172
; %bb.3169:                             ;   in Loop: Header=BB357_2093 Depth=1
	v_dual_lshrrev_b32 v4, 3, v7 :: v_dual_bitop2_b32 v68, 7, v6 bitop3:0x40
	s_mov_b32 s17, exec_lo
	s_delay_alu instid0(VALU_DEP_1)
	v_mov_b64_e32 v[22:23], v[68:69]
	v_cmpx_gt_u32_e32 8, v7
; %bb.3170:                             ;   in Loop: Header=BB357_2093 Depth=1
	v_clz_i32_u32_e32 v4, v68
	s_delay_alu instid0(VALU_DEP_1) | instskip(NEXT) | instid1(VALU_DEP_1)
	v_min_u32_e32 v4, 32, v4
	v_subrev_nc_u32_e32 v7, 28, v4
	v_sub_nc_u32_e32 v4, 29, v4
	s_delay_alu instid0(VALU_DEP_2) | instskip(NEXT) | instid1(VALU_DEP_1)
	v_lshlrev_b64_e32 v[8:9], v7, v[68:69]
	v_and_b32_e32 v22, 7, v8
; %bb.3171:                             ;   in Loop: Header=BB357_2093 Depth=1
	s_or_b32 exec_lo, exec_lo, s17
	v_lshlrev_b32_e32 v6, 24, v6
	s_delay_alu instid0(VALU_DEP_2) | instskip(SKIP_1) | instid1(VALU_DEP_3)
	v_lshlrev_b32_e32 v7, 20, v22
	v_lshl_add_u32 v4, v4, 23, 0x3c000000
	v_and_b32_e32 v6, 0x80000000, v6
	s_delay_alu instid0(VALU_DEP_1)
	v_or3_b32 v4, v7, v6, v4
.LBB357_3172:                           ;   in Loop: Header=BB357_2093 Depth=1
	s_or_b32 exec_lo, exec_lo, s16
.LBB357_3173:                           ;   in Loop: Header=BB357_2093 Depth=1
	s_delay_alu instid0(SALU_CYCLE_1)
	s_or_b32 exec_lo, exec_lo, s15
.LBB357_3174:                           ;   in Loop: Header=BB357_2093 Depth=1
	s_delay_alu instid0(SALU_CYCLE_1) | instskip(NEXT) | instid1(SALU_CYCLE_1)
	s_or_b32 exec_lo, exec_lo, s14
	s_mov_b32 s14, exec_lo
	v_cmpx_lt_u32_e32 0xffffff, v16
	s_cbranch_execz .LBB357_3182
; %bb.3175:                             ;   in Loop: Header=BB357_2093 Depth=1
	v_lshrrev_b32_e32 v6, 24, v16
	v_bfrev_b32_e32 v5, 1
	s_mov_b32 s15, exec_lo
	s_delay_alu instid0(VALU_DEP_2)
	v_cmpx_ne_u32_e32 0x80, v6
	s_cbranch_execz .LBB357_3181
; %bb.3176:                             ;   in Loop: Header=BB357_2093 Depth=1
	v_bfe_u32 v7, v16, 24, 7
	v_mov_b32_e32 v5, 0x7f800001
	s_mov_b32 s16, exec_lo
	s_delay_alu instid0(VALU_DEP_2)
	v_cmpx_ne_u32_e32 0x7f, v7
	s_cbranch_execz .LBB357_3180
; %bb.3177:                             ;   in Loop: Header=BB357_2093 Depth=1
	v_dual_lshrrev_b32 v5, 3, v7 :: v_dual_bitop2_b32 v68, 7, v6 bitop3:0x40
	s_mov_b32 s17, exec_lo
	s_delay_alu instid0(VALU_DEP_1)
	v_mov_b64_e32 v[22:23], v[68:69]
	v_cmpx_gt_u32_e32 8, v7
; %bb.3178:                             ;   in Loop: Header=BB357_2093 Depth=1
	v_clz_i32_u32_e32 v5, v68
	s_delay_alu instid0(VALU_DEP_1) | instskip(NEXT) | instid1(VALU_DEP_1)
	v_min_u32_e32 v5, 32, v5
	v_subrev_nc_u32_e32 v7, 28, v5
	s_delay_alu instid0(VALU_DEP_1) | instskip(NEXT) | instid1(VALU_DEP_1)
	v_lshlrev_b64_e32 v[8:9], v7, v[68:69]
	v_dual_sub_nc_u32 v5, 29, v5 :: v_dual_bitop2_b32 v22, 7, v8 bitop3:0x40
; %bb.3179:                             ;   in Loop: Header=BB357_2093 Depth=1
	s_or_b32 exec_lo, exec_lo, s17
	v_lshlrev_b32_e32 v6, 24, v6
	s_delay_alu instid0(VALU_DEP_2) | instskip(NEXT) | instid1(VALU_DEP_3)
	v_lshlrev_b32_e32 v7, 20, v22
	v_lshl_add_u32 v5, v5, 23, 0x3c000000
	s_delay_alu instid0(VALU_DEP_3) | instskip(NEXT) | instid1(VALU_DEP_1)
	v_and_b32_e32 v6, 0x80000000, v6
	v_or3_b32 v5, v7, v6, v5
.LBB357_3180:                           ;   in Loop: Header=BB357_2093 Depth=1
	s_or_b32 exec_lo, exec_lo, s16
.LBB357_3181:                           ;   in Loop: Header=BB357_2093 Depth=1
	s_delay_alu instid0(SALU_CYCLE_1)
	s_or_b32 exec_lo, exec_lo, s15
.LBB357_3182:                           ;   in Loop: Header=BB357_2093 Depth=1
	s_delay_alu instid0(SALU_CYCLE_1) | instskip(SKIP_4) | instid1(VALU_DEP_3)
	s_or_b32 exec_lo, exec_lo, s14
	v_and_b32_e32 v8, 0xff, v17
	v_dual_mov_b32 v68, v17 :: v_dual_mov_b32 v7, 0
	v_mov_b32_e32 v6, 0
	s_mov_b32 s14, exec_lo
	v_cmpx_ne_u16_e32 0, v8
	s_cbranch_execz .LBB357_3190
; %bb.3183:                             ;   in Loop: Header=BB357_2093 Depth=1
	v_bfrev_b32_e32 v6, 1
	s_mov_b32 s15, exec_lo
	v_cmpx_ne_u16_e32 0x80, v8
	s_cbranch_execz .LBB357_3189
; %bb.3184:                             ;   in Loop: Header=BB357_2093 Depth=1
	v_and_b32_e32 v8, 0x7f, v17
	v_mov_b32_e32 v6, 0x7f800001
	s_mov_b32 s16, exec_lo
	s_delay_alu instid0(VALU_DEP_2)
	v_cmpx_ne_u32_e32 0x7f, v8
	s_cbranch_execz .LBB357_3188
; %bb.3185:                             ;   in Loop: Header=BB357_2093 Depth=1
	v_mov_b64_e32 v[22:23], v[68:69]
	v_lshrrev_b32_e32 v6, 3, v8
	s_mov_b32 s17, exec_lo
	v_cmpx_gt_u32_e32 8, v8
; %bb.3186:                             ;   in Loop: Header=BB357_2093 Depth=1
	v_and_b32_e32 v6, 7, v17
	s_delay_alu instid0(VALU_DEP_1) | instskip(NEXT) | instid1(VALU_DEP_1)
	v_clz_i32_u32_e32 v6, v6
	v_min_u32_e32 v6, 32, v6
	s_delay_alu instid0(VALU_DEP_1) | instskip(SKIP_1) | instid1(VALU_DEP_2)
	v_subrev_nc_u32_e32 v8, 28, v6
	v_sub_nc_u32_e32 v6, 29, v6
	v_lshlrev_b64_e32 v[22:23], v8, v[68:69]
; %bb.3187:                             ;   in Loop: Header=BB357_2093 Depth=1
	s_or_b32 exec_lo, exec_lo, s17
	s_delay_alu instid0(VALU_DEP_1) | instskip(NEXT) | instid1(VALU_DEP_3)
	v_dual_lshlrev_b32 v8, 20, v22 :: v_dual_lshlrev_b32 v9, 24, v68
	v_lshl_add_u32 v6, v6, 23, 0x3c000000
	s_delay_alu instid0(VALU_DEP_2) | instskip(NEXT) | instid1(VALU_DEP_3)
	v_and_b32_e32 v8, 0x700000, v8
	v_and_b32_e32 v9, 0x80000000, v9
	s_delay_alu instid0(VALU_DEP_1)
	v_or3_b32 v6, v8, v9, v6
.LBB357_3188:                           ;   in Loop: Header=BB357_2093 Depth=1
	s_or_b32 exec_lo, exec_lo, s16
.LBB357_3189:                           ;   in Loop: Header=BB357_2093 Depth=1
	s_delay_alu instid0(SALU_CYCLE_1)
	s_or_b32 exec_lo, exec_lo, s15
.LBB357_3190:                           ;   in Loop: Header=BB357_2093 Depth=1
	s_delay_alu instid0(SALU_CYCLE_1) | instskip(SKIP_2) | instid1(VALU_DEP_1)
	s_or_b32 exec_lo, exec_lo, s14
	v_lshrrev_b16 v8, 8, v68
	s_mov_b32 s14, exec_lo
	v_cmpx_ne_u16_e32 0, v8
	s_cbranch_execz .LBB357_3198
; %bb.3191:                             ;   in Loop: Header=BB357_2093 Depth=1
	v_bfrev_b32_e32 v7, 1
	s_mov_b32 s15, exec_lo
	v_cmpx_ne_u16_e32 0x80, v8
	s_cbranch_execz .LBB357_3197
; %bb.3192:                             ;   in Loop: Header=BB357_2093 Depth=1
	v_and_b32_e32 v9, 0xffff, v8
	v_mov_b32_e32 v7, 0x7f800001
	s_mov_b32 s16, exec_lo
	s_delay_alu instid0(VALU_DEP_2) | instskip(NEXT) | instid1(VALU_DEP_1)
	v_and_b32_e32 v8, 0x7f, v9
	v_cmpx_ne_u32_e32 0x7f, v8
	s_cbranch_execz .LBB357_3196
; %bb.3193:                             ;   in Loop: Header=BB357_2093 Depth=1
	v_dual_mov_b32 v23, v69 :: v_dual_bitop2_b32 v22, 7, v9 bitop3:0x40
	v_lshrrev_b32_e32 v7, 3, v8
	s_mov_b32 s17, exec_lo
	v_cmpx_gt_u32_e32 8, v8
; %bb.3194:                             ;   in Loop: Header=BB357_2093 Depth=1
	s_delay_alu instid0(VALU_DEP_3) | instskip(NEXT) | instid1(VALU_DEP_1)
	v_clz_i32_u32_e32 v7, v22
	v_min_u32_e32 v7, 32, v7
	s_delay_alu instid0(VALU_DEP_1) | instskip(NEXT) | instid1(VALU_DEP_1)
	v_subrev_nc_u32_e32 v8, 28, v7
	v_lshlrev_b64_e32 v[8:9], v8, v[22:23]
	s_delay_alu instid0(VALU_DEP_1)
	v_dual_sub_nc_u32 v7, 29, v7 :: v_dual_bitop2_b32 v22, 7, v8 bitop3:0x40
; %bb.3195:                             ;   in Loop: Header=BB357_2093 Depth=1
	s_or_b32 exec_lo, exec_lo, s17
	s_delay_alu instid0(VALU_DEP_1) | instskip(NEXT) | instid1(VALU_DEP_2)
	v_dual_lshlrev_b32 v8, 16, v68 :: v_dual_lshlrev_b32 v9, 20, v22
	v_lshl_add_u32 v7, v7, 23, 0x3c000000
	s_delay_alu instid0(VALU_DEP_2) | instskip(NEXT) | instid1(VALU_DEP_1)
	v_and_b32_e32 v8, 0x80000000, v8
	v_or3_b32 v7, v9, v8, v7
.LBB357_3196:                           ;   in Loop: Header=BB357_2093 Depth=1
	s_or_b32 exec_lo, exec_lo, s16
.LBB357_3197:                           ;   in Loop: Header=BB357_2093 Depth=1
	s_delay_alu instid0(SALU_CYCLE_1)
	s_or_b32 exec_lo, exec_lo, s15
.LBB357_3198:                           ;   in Loop: Header=BB357_2093 Depth=1
	s_delay_alu instid0(SALU_CYCLE_1) | instskip(SKIP_3) | instid1(VALU_DEP_2)
	s_or_b32 exec_lo, exec_lo, s14
	v_dual_lshrrev_b32 v10, 16, v17 :: v_dual_mov_b32 v8, 0
	v_mov_b32_e32 v9, 0
	s_mov_b32 s14, exec_lo
	v_and_b32_e32 v11, 0xff, v10
	s_delay_alu instid0(VALU_DEP_1)
	v_cmpx_ne_u16_e32 0, v11
	s_cbranch_execz .LBB357_3206
; %bb.3199:                             ;   in Loop: Header=BB357_2093 Depth=1
	v_bfrev_b32_e32 v9, 1
	s_mov_b32 s15, exec_lo
	v_cmpx_ne_u16_e32 0x80, v11
	s_cbranch_execz .LBB357_3205
; %bb.3200:                             ;   in Loop: Header=BB357_2093 Depth=1
	v_bfe_u32 v11, v17, 16, 7
	v_mov_b32_e32 v9, 0x7f800001
	s_mov_b32 s16, exec_lo
	s_delay_alu instid0(VALU_DEP_2)
	v_cmpx_ne_u32_e32 0x7f, v11
	s_cbranch_execz .LBB357_3204
; %bb.3201:                             ;   in Loop: Header=BB357_2093 Depth=1
	v_dual_lshrrev_b32 v9, 3, v11 :: v_dual_bitop2_b32 v68, 7, v10 bitop3:0x40
	s_mov_b32 s17, exec_lo
	s_delay_alu instid0(VALU_DEP_1)
	v_mov_b64_e32 v[22:23], v[68:69]
	v_cmpx_gt_u32_e32 8, v11
; %bb.3202:                             ;   in Loop: Header=BB357_2093 Depth=1
	v_clz_i32_u32_e32 v9, v68
	s_delay_alu instid0(VALU_DEP_1) | instskip(NEXT) | instid1(VALU_DEP_1)
	v_min_u32_e32 v9, 32, v9
	v_subrev_nc_u32_e32 v11, 28, v9
	s_delay_alu instid0(VALU_DEP_1) | instskip(NEXT) | instid1(VALU_DEP_1)
	v_lshlrev_b64_e32 v[12:13], v11, v[68:69]
	v_dual_sub_nc_u32 v9, 29, v9 :: v_dual_bitop2_b32 v22, 7, v12 bitop3:0x40
; %bb.3203:                             ;   in Loop: Header=BB357_2093 Depth=1
	s_or_b32 exec_lo, exec_lo, s17
	v_lshlrev_b32_e32 v10, 24, v10
	s_delay_alu instid0(VALU_DEP_2) | instskip(NEXT) | instid1(VALU_DEP_3)
	v_lshlrev_b32_e32 v11, 20, v22
	v_lshl_add_u32 v9, v9, 23, 0x3c000000
	s_delay_alu instid0(VALU_DEP_3) | instskip(NEXT) | instid1(VALU_DEP_1)
	v_and_b32_e32 v10, 0x80000000, v10
	v_or3_b32 v9, v11, v10, v9
.LBB357_3204:                           ;   in Loop: Header=BB357_2093 Depth=1
	s_or_b32 exec_lo, exec_lo, s16
.LBB357_3205:                           ;   in Loop: Header=BB357_2093 Depth=1
	s_delay_alu instid0(SALU_CYCLE_1)
	s_or_b32 exec_lo, exec_lo, s15
.LBB357_3206:                           ;   in Loop: Header=BB357_2093 Depth=1
	s_delay_alu instid0(SALU_CYCLE_1) | instskip(NEXT) | instid1(SALU_CYCLE_1)
	s_or_b32 exec_lo, exec_lo, s14
	s_mov_b32 s14, exec_lo
	v_cmpx_lt_u64_e64 s[2:3], v[16:17]
	s_cbranch_execz .LBB357_3214
; %bb.3207:                             ;   in Loop: Header=BB357_2093 Depth=1
	v_lshrrev_b32_e32 v10, 24, v17
	v_bfrev_b32_e32 v8, 1
	s_mov_b32 s15, exec_lo
	s_delay_alu instid0(VALU_DEP_2)
	v_cmpx_ne_u32_e32 0x80, v10
	s_cbranch_execz .LBB357_3213
; %bb.3208:                             ;   in Loop: Header=BB357_2093 Depth=1
	v_bfe_u32 v11, v17, 24, 7
	v_mov_b32_e32 v8, 0x7f800001
	s_mov_b32 s16, exec_lo
	s_delay_alu instid0(VALU_DEP_2)
	v_cmpx_ne_u32_e32 0x7f, v11
	s_cbranch_execz .LBB357_3212
; %bb.3209:                             ;   in Loop: Header=BB357_2093 Depth=1
	v_dual_lshrrev_b32 v8, 3, v11 :: v_dual_bitop2_b32 v68, 7, v10 bitop3:0x40
	s_mov_b32 s17, exec_lo
	s_delay_alu instid0(VALU_DEP_1)
	v_mov_b64_e32 v[16:17], v[68:69]
	v_cmpx_gt_u32_e32 8, v11
; %bb.3210:                             ;   in Loop: Header=BB357_2093 Depth=1
	v_clz_i32_u32_e32 v8, v68
	s_delay_alu instid0(VALU_DEP_1) | instskip(NEXT) | instid1(VALU_DEP_1)
	v_min_u32_e32 v8, 32, v8
	v_subrev_nc_u32_e32 v11, 28, v8
	v_sub_nc_u32_e32 v8, 29, v8
	s_delay_alu instid0(VALU_DEP_2) | instskip(NEXT) | instid1(VALU_DEP_1)
	v_lshlrev_b64_e32 v[12:13], v11, v[68:69]
	v_and_b32_e32 v16, 7, v12
; %bb.3211:                             ;   in Loop: Header=BB357_2093 Depth=1
	s_or_b32 exec_lo, exec_lo, s17
	s_delay_alu instid0(VALU_DEP_1) | instskip(SKIP_1) | instid1(VALU_DEP_2)
	v_dual_lshlrev_b32 v10, 24, v10 :: v_dual_lshlrev_b32 v11, 20, v16
	v_lshl_add_u32 v8, v8, 23, 0x3c000000
	v_and_b32_e32 v10, 0x80000000, v10
	s_delay_alu instid0(VALU_DEP_1)
	v_or3_b32 v8, v11, v10, v8
.LBB357_3212:                           ;   in Loop: Header=BB357_2093 Depth=1
	s_or_b32 exec_lo, exec_lo, s16
.LBB357_3213:                           ;   in Loop: Header=BB357_2093 Depth=1
	s_delay_alu instid0(SALU_CYCLE_1)
	s_or_b32 exec_lo, exec_lo, s15
.LBB357_3214:                           ;   in Loop: Header=BB357_2093 Depth=1
	s_delay_alu instid0(SALU_CYCLE_1)
	s_or_b32 exec_lo, exec_lo, s14
	v_fma_mixlo_bf16 v2, v75, v2, 0
	v_fma_mixlo_bf16 v7, v75, v7, 0
	;; [unrolled: 1-line block ×5, first 2 shown]
	scratch_store_b32 off, v2, s32 offset:1160 ; 4-byte Folded Spill
	s_wait_xcnt 0x0
	v_fma_mixlo_bf16 v2, v75, v9, 0
	s_clause 0x4
	scratch_store_b32 off, v7, s32 offset:1104
	scratch_store_b32 off, v6, s32 offset:1112
	;; [unrolled: 1-line block ×5, first 2 shown]
	v_fma_mixlo_bf16 v3, v75, v3, 0
	s_wait_xcnt 0x0
	v_fma_mixlo_bf16 v2, v75, v8, 0
	s_clause 0x1
	scratch_store_b32 off, v3, s32 offset:1152
	scratch_store_b32 off, v2, s32 offset:1136
	s_wait_xcnt 0x0
	s_and_saveexec_b32 s14, vcc_lo
	s_cbranch_execz .LBB357_3216
; %bb.3215:                             ;   in Loop: Header=BB357_2093 Depth=1
	scratch_load_b32 v2, off, s32 offset:1160 ; 4-byte Folded Reload
	v_cmp_lt_i32_e64 s0, v74, v42
	s_wait_loadcnt 0x0
	s_delay_alu instid0(VALU_DEP_1)
	v_cndmask_b32_e64 v2, 0, v2, s0
	v_cmp_lt_i32_e64 s0, v106, v42
	s_clause 0x1
	scratch_store_b32 off, v2, s32 offset:1160
	scratch_load_b32 v2, off, s32 offset:1152
	s_wait_loadcnt 0x0
	v_cndmask_b32_e64 v2, 0, v2, s0
	v_cmp_lt_i32_e64 s0, v105, v42
	s_clause 0x1
	scratch_store_b32 off, v2, s32 offset:1152
	scratch_load_b32 v2, off, s32 offset:1144
	s_wait_loadcnt 0x0
	;; [unrolled: 6-line block ×7, first 2 shown]
	v_cndmask_b32_e64 v2, 0, v2, s0
	scratch_store_b32 off, v2, s32 offset:1136 ; 4-byte Folded Spill
.LBB357_3216:                           ;   in Loop: Header=BB357_2093 Depth=1
	s_wait_xcnt 0x0
	s_or_b32 exec_lo, exec_lo, s14
	flat_load_b64 v[16:17], v[18:19] offset:4352
	v_dual_mov_b32 v3, 0 :: v_dual_mov_b32 v2, 0
	s_mov_b32 s14, exec_lo
	s_wait_loadcnt_dscnt 0x0
	v_and_b32_e32 v4, 0xff, v16
	s_wait_xcnt 0x0
	s_delay_alu instid0(VALU_DEP_1)
	v_cmpx_ne_u16_e32 0, v4
	s_cbranch_execz .LBB357_3224
; %bb.3217:                             ;   in Loop: Header=BB357_2093 Depth=1
	v_bfrev_b32_e32 v2, 1
	s_mov_b32 s15, exec_lo
	v_cmpx_ne_u16_e32 0x80, v4
	s_cbranch_execz .LBB357_3223
; %bb.3218:                             ;   in Loop: Header=BB357_2093 Depth=1
	v_and_b32_e32 v4, 0x7f, v16
	v_mov_b32_e32 v2, 0x7f800001
	s_mov_b32 s16, exec_lo
	s_delay_alu instid0(VALU_DEP_2)
	v_cmpx_ne_u32_e32 0x7f, v4
	s_cbranch_execz .LBB357_3222
; %bb.3219:                             ;   in Loop: Header=BB357_2093 Depth=1
	v_mov_b64_e32 v[22:23], v[16:17]
	v_lshrrev_b32_e32 v2, 3, v4
	s_mov_b32 s17, exec_lo
	v_cmpx_gt_u32_e32 8, v4
; %bb.3220:                             ;   in Loop: Header=BB357_2093 Depth=1
	v_and_b32_e32 v2, 7, v16
	s_delay_alu instid0(VALU_DEP_1) | instskip(NEXT) | instid1(VALU_DEP_1)
	v_clz_i32_u32_e32 v2, v2
	v_min_u32_e32 v2, 32, v2
	s_delay_alu instid0(VALU_DEP_1) | instskip(SKIP_1) | instid1(VALU_DEP_2)
	v_subrev_nc_u32_e32 v4, 28, v2
	v_sub_nc_u32_e32 v2, 29, v2
	v_lshlrev_b64_e32 v[22:23], v4, v[16:17]
; %bb.3221:                             ;   in Loop: Header=BB357_2093 Depth=1
	s_or_b32 exec_lo, exec_lo, s17
	s_delay_alu instid0(VALU_DEP_1) | instskip(NEXT) | instid1(VALU_DEP_3)
	v_dual_lshlrev_b32 v4, 20, v22 :: v_dual_lshlrev_b32 v5, 24, v16
	v_lshl_add_u32 v2, v2, 23, 0x3c000000
	s_delay_alu instid0(VALU_DEP_2) | instskip(NEXT) | instid1(VALU_DEP_3)
	v_and_b32_e32 v4, 0x700000, v4
	v_and_b32_e32 v5, 0x80000000, v5
	s_delay_alu instid0(VALU_DEP_1)
	v_or3_b32 v2, v4, v5, v2
.LBB357_3222:                           ;   in Loop: Header=BB357_2093 Depth=1
	s_or_b32 exec_lo, exec_lo, s16
.LBB357_3223:                           ;   in Loop: Header=BB357_2093 Depth=1
	s_delay_alu instid0(SALU_CYCLE_1)
	s_or_b32 exec_lo, exec_lo, s15
.LBB357_3224:                           ;   in Loop: Header=BB357_2093 Depth=1
	s_delay_alu instid0(SALU_CYCLE_1) | instskip(SKIP_2) | instid1(VALU_DEP_1)
	s_or_b32 exec_lo, exec_lo, s14
	v_lshrrev_b16 v4, 8, v16
	s_mov_b32 s14, exec_lo
	v_cmpx_ne_u16_e32 0, v4
	s_cbranch_execz .LBB357_3232
; %bb.3225:                             ;   in Loop: Header=BB357_2093 Depth=1
	v_bfrev_b32_e32 v3, 1
	s_mov_b32 s15, exec_lo
	v_cmpx_ne_u16_e32 0x80, v4
	s_cbranch_execz .LBB357_3231
; %bb.3226:                             ;   in Loop: Header=BB357_2093 Depth=1
	v_and_b32_e32 v5, 0xffff, v4
	v_mov_b32_e32 v3, 0x7f800001
	s_mov_b32 s16, exec_lo
	s_delay_alu instid0(VALU_DEP_2) | instskip(NEXT) | instid1(VALU_DEP_1)
	v_and_b32_e32 v4, 0x7f, v5
	v_cmpx_ne_u32_e32 0x7f, v4
	s_cbranch_execz .LBB357_3230
; %bb.3227:                             ;   in Loop: Header=BB357_2093 Depth=1
	v_dual_lshrrev_b32 v3, 3, v4 :: v_dual_bitop2_b32 v68, 7, v5 bitop3:0x40
	s_mov_b32 s17, exec_lo
	s_delay_alu instid0(VALU_DEP_1)
	v_mov_b64_e32 v[22:23], v[68:69]
	v_cmpx_gt_u32_e32 8, v4
; %bb.3228:                             ;   in Loop: Header=BB357_2093 Depth=1
	v_clz_i32_u32_e32 v3, v68
	s_delay_alu instid0(VALU_DEP_1) | instskip(NEXT) | instid1(VALU_DEP_1)
	v_min_u32_e32 v3, 32, v3
	v_subrev_nc_u32_e32 v4, 28, v3
	s_delay_alu instid0(VALU_DEP_1) | instskip(NEXT) | instid1(VALU_DEP_1)
	v_lshlrev_b64_e32 v[4:5], v4, v[68:69]
	v_dual_sub_nc_u32 v3, 29, v3 :: v_dual_bitop2_b32 v22, 7, v4 bitop3:0x40
; %bb.3229:                             ;   in Loop: Header=BB357_2093 Depth=1
	s_or_b32 exec_lo, exec_lo, s17
	s_delay_alu instid0(VALU_DEP_1) | instskip(NEXT) | instid1(VALU_DEP_2)
	v_dual_lshlrev_b32 v4, 16, v16 :: v_dual_lshlrev_b32 v5, 20, v22
	v_lshl_add_u32 v3, v3, 23, 0x3c000000
	s_delay_alu instid0(VALU_DEP_2) | instskip(NEXT) | instid1(VALU_DEP_1)
	v_and_b32_e32 v4, 0x80000000, v4
	v_or3_b32 v3, v5, v4, v3
.LBB357_3230:                           ;   in Loop: Header=BB357_2093 Depth=1
	s_or_b32 exec_lo, exec_lo, s16
.LBB357_3231:                           ;   in Loop: Header=BB357_2093 Depth=1
	s_delay_alu instid0(SALU_CYCLE_1)
	s_or_b32 exec_lo, exec_lo, s15
.LBB357_3232:                           ;   in Loop: Header=BB357_2093 Depth=1
	s_delay_alu instid0(SALU_CYCLE_1) | instskip(SKIP_3) | instid1(VALU_DEP_2)
	s_or_b32 exec_lo, exec_lo, s14
	v_dual_mov_b32 v5, 0 :: v_dual_lshrrev_b32 v6, 16, v16
	v_mov_b32_e32 v4, 0
	s_mov_b32 s14, exec_lo
	v_and_b32_e32 v7, 0xff, v6
	s_delay_alu instid0(VALU_DEP_1)
	v_cmpx_ne_u16_e32 0, v7
	s_cbranch_execz .LBB357_3240
; %bb.3233:                             ;   in Loop: Header=BB357_2093 Depth=1
	v_bfrev_b32_e32 v4, 1
	s_mov_b32 s15, exec_lo
	v_cmpx_ne_u16_e32 0x80, v7
	s_cbranch_execz .LBB357_3239
; %bb.3234:                             ;   in Loop: Header=BB357_2093 Depth=1
	v_bfe_u32 v7, v16, 16, 7
	v_mov_b32_e32 v4, 0x7f800001
	s_mov_b32 s16, exec_lo
	s_delay_alu instid0(VALU_DEP_2)
	v_cmpx_ne_u32_e32 0x7f, v7
	s_cbranch_execz .LBB357_3238
; %bb.3235:                             ;   in Loop: Header=BB357_2093 Depth=1
	v_dual_lshrrev_b32 v4, 3, v7 :: v_dual_bitop2_b32 v68, 7, v6 bitop3:0x40
	s_mov_b32 s17, exec_lo
	s_delay_alu instid0(VALU_DEP_1)
	v_mov_b64_e32 v[22:23], v[68:69]
	v_cmpx_gt_u32_e32 8, v7
; %bb.3236:                             ;   in Loop: Header=BB357_2093 Depth=1
	v_clz_i32_u32_e32 v4, v68
	s_delay_alu instid0(VALU_DEP_1) | instskip(NEXT) | instid1(VALU_DEP_1)
	v_min_u32_e32 v4, 32, v4
	v_subrev_nc_u32_e32 v7, 28, v4
	v_sub_nc_u32_e32 v4, 29, v4
	s_delay_alu instid0(VALU_DEP_2) | instskip(NEXT) | instid1(VALU_DEP_1)
	v_lshlrev_b64_e32 v[8:9], v7, v[68:69]
	v_and_b32_e32 v22, 7, v8
; %bb.3237:                             ;   in Loop: Header=BB357_2093 Depth=1
	s_or_b32 exec_lo, exec_lo, s17
	v_lshlrev_b32_e32 v6, 24, v6
	s_delay_alu instid0(VALU_DEP_2) | instskip(SKIP_1) | instid1(VALU_DEP_3)
	v_lshlrev_b32_e32 v7, 20, v22
	v_lshl_add_u32 v4, v4, 23, 0x3c000000
	v_and_b32_e32 v6, 0x80000000, v6
	s_delay_alu instid0(VALU_DEP_1)
	v_or3_b32 v4, v7, v6, v4
.LBB357_3238:                           ;   in Loop: Header=BB357_2093 Depth=1
	s_or_b32 exec_lo, exec_lo, s16
.LBB357_3239:                           ;   in Loop: Header=BB357_2093 Depth=1
	s_delay_alu instid0(SALU_CYCLE_1)
	s_or_b32 exec_lo, exec_lo, s15
.LBB357_3240:                           ;   in Loop: Header=BB357_2093 Depth=1
	s_delay_alu instid0(SALU_CYCLE_1) | instskip(NEXT) | instid1(SALU_CYCLE_1)
	s_or_b32 exec_lo, exec_lo, s14
	s_mov_b32 s14, exec_lo
	v_cmpx_lt_u32_e32 0xffffff, v16
	s_cbranch_execz .LBB357_3248
; %bb.3241:                             ;   in Loop: Header=BB357_2093 Depth=1
	v_lshrrev_b32_e32 v6, 24, v16
	v_bfrev_b32_e32 v5, 1
	s_mov_b32 s15, exec_lo
	s_delay_alu instid0(VALU_DEP_2)
	v_cmpx_ne_u32_e32 0x80, v6
	s_cbranch_execz .LBB357_3247
; %bb.3242:                             ;   in Loop: Header=BB357_2093 Depth=1
	v_bfe_u32 v7, v16, 24, 7
	v_mov_b32_e32 v5, 0x7f800001
	s_mov_b32 s16, exec_lo
	s_delay_alu instid0(VALU_DEP_2)
	v_cmpx_ne_u32_e32 0x7f, v7
	s_cbranch_execz .LBB357_3246
; %bb.3243:                             ;   in Loop: Header=BB357_2093 Depth=1
	v_dual_lshrrev_b32 v5, 3, v7 :: v_dual_bitop2_b32 v68, 7, v6 bitop3:0x40
	s_mov_b32 s17, exec_lo
	s_delay_alu instid0(VALU_DEP_1)
	v_mov_b64_e32 v[22:23], v[68:69]
	v_cmpx_gt_u32_e32 8, v7
; %bb.3244:                             ;   in Loop: Header=BB357_2093 Depth=1
	v_clz_i32_u32_e32 v5, v68
	s_delay_alu instid0(VALU_DEP_1) | instskip(NEXT) | instid1(VALU_DEP_1)
	v_min_u32_e32 v5, 32, v5
	v_subrev_nc_u32_e32 v7, 28, v5
	s_delay_alu instid0(VALU_DEP_1) | instskip(NEXT) | instid1(VALU_DEP_1)
	v_lshlrev_b64_e32 v[8:9], v7, v[68:69]
	v_dual_sub_nc_u32 v5, 29, v5 :: v_dual_bitop2_b32 v22, 7, v8 bitop3:0x40
; %bb.3245:                             ;   in Loop: Header=BB357_2093 Depth=1
	s_or_b32 exec_lo, exec_lo, s17
	v_lshlrev_b32_e32 v6, 24, v6
	s_delay_alu instid0(VALU_DEP_2) | instskip(NEXT) | instid1(VALU_DEP_3)
	v_lshlrev_b32_e32 v7, 20, v22
	v_lshl_add_u32 v5, v5, 23, 0x3c000000
	s_delay_alu instid0(VALU_DEP_3) | instskip(NEXT) | instid1(VALU_DEP_1)
	v_and_b32_e32 v6, 0x80000000, v6
	v_or3_b32 v5, v7, v6, v5
.LBB357_3246:                           ;   in Loop: Header=BB357_2093 Depth=1
	s_or_b32 exec_lo, exec_lo, s16
.LBB357_3247:                           ;   in Loop: Header=BB357_2093 Depth=1
	s_delay_alu instid0(SALU_CYCLE_1)
	s_or_b32 exec_lo, exec_lo, s15
.LBB357_3248:                           ;   in Loop: Header=BB357_2093 Depth=1
	s_delay_alu instid0(SALU_CYCLE_1) | instskip(SKIP_4) | instid1(VALU_DEP_3)
	s_or_b32 exec_lo, exec_lo, s14
	v_and_b32_e32 v8, 0xff, v17
	v_dual_mov_b32 v68, v17 :: v_dual_mov_b32 v7, 0
	v_mov_b32_e32 v6, 0
	s_mov_b32 s14, exec_lo
	v_cmpx_ne_u16_e32 0, v8
	s_cbranch_execz .LBB357_3256
; %bb.3249:                             ;   in Loop: Header=BB357_2093 Depth=1
	v_bfrev_b32_e32 v6, 1
	s_mov_b32 s15, exec_lo
	v_cmpx_ne_u16_e32 0x80, v8
	s_cbranch_execz .LBB357_3255
; %bb.3250:                             ;   in Loop: Header=BB357_2093 Depth=1
	v_and_b32_e32 v8, 0x7f, v17
	v_mov_b32_e32 v6, 0x7f800001
	s_mov_b32 s16, exec_lo
	s_delay_alu instid0(VALU_DEP_2)
	v_cmpx_ne_u32_e32 0x7f, v8
	s_cbranch_execz .LBB357_3254
; %bb.3251:                             ;   in Loop: Header=BB357_2093 Depth=1
	v_mov_b64_e32 v[22:23], v[68:69]
	v_lshrrev_b32_e32 v6, 3, v8
	s_mov_b32 s17, exec_lo
	v_cmpx_gt_u32_e32 8, v8
; %bb.3252:                             ;   in Loop: Header=BB357_2093 Depth=1
	v_and_b32_e32 v6, 7, v17
	s_delay_alu instid0(VALU_DEP_1) | instskip(NEXT) | instid1(VALU_DEP_1)
	v_clz_i32_u32_e32 v6, v6
	v_min_u32_e32 v6, 32, v6
	s_delay_alu instid0(VALU_DEP_1) | instskip(SKIP_1) | instid1(VALU_DEP_2)
	v_subrev_nc_u32_e32 v8, 28, v6
	v_sub_nc_u32_e32 v6, 29, v6
	v_lshlrev_b64_e32 v[22:23], v8, v[68:69]
; %bb.3253:                             ;   in Loop: Header=BB357_2093 Depth=1
	s_or_b32 exec_lo, exec_lo, s17
	s_delay_alu instid0(VALU_DEP_1) | instskip(NEXT) | instid1(VALU_DEP_3)
	v_dual_lshlrev_b32 v8, 20, v22 :: v_dual_lshlrev_b32 v9, 24, v68
	v_lshl_add_u32 v6, v6, 23, 0x3c000000
	s_delay_alu instid0(VALU_DEP_2) | instskip(NEXT) | instid1(VALU_DEP_3)
	v_and_b32_e32 v8, 0x700000, v8
	v_and_b32_e32 v9, 0x80000000, v9
	s_delay_alu instid0(VALU_DEP_1)
	v_or3_b32 v6, v8, v9, v6
.LBB357_3254:                           ;   in Loop: Header=BB357_2093 Depth=1
	s_or_b32 exec_lo, exec_lo, s16
.LBB357_3255:                           ;   in Loop: Header=BB357_2093 Depth=1
	s_delay_alu instid0(SALU_CYCLE_1)
	s_or_b32 exec_lo, exec_lo, s15
.LBB357_3256:                           ;   in Loop: Header=BB357_2093 Depth=1
	s_delay_alu instid0(SALU_CYCLE_1) | instskip(SKIP_2) | instid1(VALU_DEP_1)
	s_or_b32 exec_lo, exec_lo, s14
	v_lshrrev_b16 v8, 8, v68
	s_mov_b32 s14, exec_lo
	v_cmpx_ne_u16_e32 0, v8
	s_cbranch_execz .LBB357_3264
; %bb.3257:                             ;   in Loop: Header=BB357_2093 Depth=1
	v_bfrev_b32_e32 v7, 1
	s_mov_b32 s15, exec_lo
	v_cmpx_ne_u16_e32 0x80, v8
	s_cbranch_execz .LBB357_3263
; %bb.3258:                             ;   in Loop: Header=BB357_2093 Depth=1
	v_and_b32_e32 v9, 0xffff, v8
	v_mov_b32_e32 v7, 0x7f800001
	s_mov_b32 s16, exec_lo
	s_delay_alu instid0(VALU_DEP_2) | instskip(NEXT) | instid1(VALU_DEP_1)
	v_and_b32_e32 v8, 0x7f, v9
	v_cmpx_ne_u32_e32 0x7f, v8
	s_cbranch_execz .LBB357_3262
; %bb.3259:                             ;   in Loop: Header=BB357_2093 Depth=1
	v_dual_mov_b32 v23, v69 :: v_dual_bitop2_b32 v22, 7, v9 bitop3:0x40
	v_lshrrev_b32_e32 v7, 3, v8
	s_mov_b32 s17, exec_lo
	v_cmpx_gt_u32_e32 8, v8
; %bb.3260:                             ;   in Loop: Header=BB357_2093 Depth=1
	s_delay_alu instid0(VALU_DEP_3) | instskip(NEXT) | instid1(VALU_DEP_1)
	v_clz_i32_u32_e32 v7, v22
	v_min_u32_e32 v7, 32, v7
	s_delay_alu instid0(VALU_DEP_1) | instskip(NEXT) | instid1(VALU_DEP_1)
	v_subrev_nc_u32_e32 v8, 28, v7
	v_lshlrev_b64_e32 v[8:9], v8, v[22:23]
	s_delay_alu instid0(VALU_DEP_1)
	v_dual_sub_nc_u32 v7, 29, v7 :: v_dual_bitop2_b32 v22, 7, v8 bitop3:0x40
; %bb.3261:                             ;   in Loop: Header=BB357_2093 Depth=1
	s_or_b32 exec_lo, exec_lo, s17
	s_delay_alu instid0(VALU_DEP_1) | instskip(NEXT) | instid1(VALU_DEP_2)
	v_dual_lshlrev_b32 v8, 16, v68 :: v_dual_lshlrev_b32 v9, 20, v22
	v_lshl_add_u32 v7, v7, 23, 0x3c000000
	s_delay_alu instid0(VALU_DEP_2) | instskip(NEXT) | instid1(VALU_DEP_1)
	v_and_b32_e32 v8, 0x80000000, v8
	v_or3_b32 v7, v9, v8, v7
.LBB357_3262:                           ;   in Loop: Header=BB357_2093 Depth=1
	s_or_b32 exec_lo, exec_lo, s16
.LBB357_3263:                           ;   in Loop: Header=BB357_2093 Depth=1
	s_delay_alu instid0(SALU_CYCLE_1)
	s_or_b32 exec_lo, exec_lo, s15
.LBB357_3264:                           ;   in Loop: Header=BB357_2093 Depth=1
	s_delay_alu instid0(SALU_CYCLE_1) | instskip(SKIP_3) | instid1(VALU_DEP_2)
	s_or_b32 exec_lo, exec_lo, s14
	v_dual_lshrrev_b32 v10, 16, v17 :: v_dual_mov_b32 v8, 0
	v_mov_b32_e32 v9, 0
	s_mov_b32 s14, exec_lo
	v_and_b32_e32 v11, 0xff, v10
	s_delay_alu instid0(VALU_DEP_1)
	v_cmpx_ne_u16_e32 0, v11
	s_cbranch_execz .LBB357_3272
; %bb.3265:                             ;   in Loop: Header=BB357_2093 Depth=1
	v_bfrev_b32_e32 v9, 1
	s_mov_b32 s15, exec_lo
	v_cmpx_ne_u16_e32 0x80, v11
	s_cbranch_execz .LBB357_3271
; %bb.3266:                             ;   in Loop: Header=BB357_2093 Depth=1
	v_bfe_u32 v11, v17, 16, 7
	v_mov_b32_e32 v9, 0x7f800001
	s_mov_b32 s16, exec_lo
	s_delay_alu instid0(VALU_DEP_2)
	v_cmpx_ne_u32_e32 0x7f, v11
	s_cbranch_execz .LBB357_3270
; %bb.3267:                             ;   in Loop: Header=BB357_2093 Depth=1
	v_dual_lshrrev_b32 v9, 3, v11 :: v_dual_bitop2_b32 v68, 7, v10 bitop3:0x40
	s_mov_b32 s17, exec_lo
	s_delay_alu instid0(VALU_DEP_1)
	v_mov_b64_e32 v[22:23], v[68:69]
	v_cmpx_gt_u32_e32 8, v11
; %bb.3268:                             ;   in Loop: Header=BB357_2093 Depth=1
	v_clz_i32_u32_e32 v9, v68
	s_delay_alu instid0(VALU_DEP_1) | instskip(NEXT) | instid1(VALU_DEP_1)
	v_min_u32_e32 v9, 32, v9
	v_subrev_nc_u32_e32 v11, 28, v9
	s_delay_alu instid0(VALU_DEP_1) | instskip(NEXT) | instid1(VALU_DEP_1)
	v_lshlrev_b64_e32 v[12:13], v11, v[68:69]
	v_dual_sub_nc_u32 v9, 29, v9 :: v_dual_bitop2_b32 v22, 7, v12 bitop3:0x40
; %bb.3269:                             ;   in Loop: Header=BB357_2093 Depth=1
	s_or_b32 exec_lo, exec_lo, s17
	v_lshlrev_b32_e32 v10, 24, v10
	s_delay_alu instid0(VALU_DEP_2) | instskip(NEXT) | instid1(VALU_DEP_3)
	v_lshlrev_b32_e32 v11, 20, v22
	v_lshl_add_u32 v9, v9, 23, 0x3c000000
	s_delay_alu instid0(VALU_DEP_3) | instskip(NEXT) | instid1(VALU_DEP_1)
	v_and_b32_e32 v10, 0x80000000, v10
	v_or3_b32 v9, v11, v10, v9
.LBB357_3270:                           ;   in Loop: Header=BB357_2093 Depth=1
	s_or_b32 exec_lo, exec_lo, s16
.LBB357_3271:                           ;   in Loop: Header=BB357_2093 Depth=1
	s_delay_alu instid0(SALU_CYCLE_1)
	s_or_b32 exec_lo, exec_lo, s15
.LBB357_3272:                           ;   in Loop: Header=BB357_2093 Depth=1
	s_delay_alu instid0(SALU_CYCLE_1) | instskip(NEXT) | instid1(SALU_CYCLE_1)
	s_or_b32 exec_lo, exec_lo, s14
	s_mov_b32 s14, exec_lo
	v_cmpx_lt_u64_e64 s[2:3], v[16:17]
	s_cbranch_execz .LBB357_3280
; %bb.3273:                             ;   in Loop: Header=BB357_2093 Depth=1
	v_lshrrev_b32_e32 v10, 24, v17
	v_bfrev_b32_e32 v8, 1
	s_mov_b32 s15, exec_lo
	s_delay_alu instid0(VALU_DEP_2)
	v_cmpx_ne_u32_e32 0x80, v10
	s_cbranch_execz .LBB357_3279
; %bb.3274:                             ;   in Loop: Header=BB357_2093 Depth=1
	v_bfe_u32 v11, v17, 24, 7
	v_mov_b32_e32 v8, 0x7f800001
	s_mov_b32 s16, exec_lo
	s_delay_alu instid0(VALU_DEP_2)
	v_cmpx_ne_u32_e32 0x7f, v11
	s_cbranch_execz .LBB357_3278
; %bb.3275:                             ;   in Loop: Header=BB357_2093 Depth=1
	v_dual_lshrrev_b32 v8, 3, v11 :: v_dual_bitop2_b32 v68, 7, v10 bitop3:0x40
	s_mov_b32 s17, exec_lo
	s_delay_alu instid0(VALU_DEP_1)
	v_mov_b64_e32 v[16:17], v[68:69]
	v_cmpx_gt_u32_e32 8, v11
; %bb.3276:                             ;   in Loop: Header=BB357_2093 Depth=1
	v_clz_i32_u32_e32 v8, v68
	s_delay_alu instid0(VALU_DEP_1) | instskip(NEXT) | instid1(VALU_DEP_1)
	v_min_u32_e32 v8, 32, v8
	v_subrev_nc_u32_e32 v11, 28, v8
	v_sub_nc_u32_e32 v8, 29, v8
	s_delay_alu instid0(VALU_DEP_2) | instskip(NEXT) | instid1(VALU_DEP_1)
	v_lshlrev_b64_e32 v[12:13], v11, v[68:69]
	v_and_b32_e32 v16, 7, v12
; %bb.3277:                             ;   in Loop: Header=BB357_2093 Depth=1
	s_or_b32 exec_lo, exec_lo, s17
	s_delay_alu instid0(VALU_DEP_1) | instskip(SKIP_1) | instid1(VALU_DEP_2)
	v_dual_lshlrev_b32 v10, 24, v10 :: v_dual_lshlrev_b32 v11, 20, v16
	v_lshl_add_u32 v8, v8, 23, 0x3c000000
	v_and_b32_e32 v10, 0x80000000, v10
	s_delay_alu instid0(VALU_DEP_1)
	v_or3_b32 v8, v11, v10, v8
.LBB357_3278:                           ;   in Loop: Header=BB357_2093 Depth=1
	s_or_b32 exec_lo, exec_lo, s16
.LBB357_3279:                           ;   in Loop: Header=BB357_2093 Depth=1
	s_delay_alu instid0(SALU_CYCLE_1)
	s_or_b32 exec_lo, exec_lo, s15
.LBB357_3280:                           ;   in Loop: Header=BB357_2093 Depth=1
	s_delay_alu instid0(SALU_CYCLE_1)
	s_or_b32 exec_lo, exec_lo, s14
	v_fma_mixlo_bf16 v2, v75, v2, 0
	v_fma_mixlo_bf16 v7, v75, v7, 0
	;; [unrolled: 1-line block ×5, first 2 shown]
	scratch_store_b32 off, v2, s32 offset:1224 ; 4-byte Folded Spill
	s_wait_xcnt 0x0
	v_fma_mixlo_bf16 v2, v75, v9, 0
	s_clause 0x1
	scratch_store_b32 off, v7, s32 offset:1168
	scratch_store_b32 off, v6, s32 offset:1176
	v_fma_mixlo_bf16 v3, v75, v3, 0
	s_clause 0x1
	scratch_store_b32 off, v5, s32 offset:1200
	scratch_store_b32 off, v2, s32 offset:1184
	s_wait_xcnt 0x0
	v_fma_mixlo_bf16 v2, v75, v8, 0
	s_clause 0x2
	scratch_store_b32 off, v4, s32 offset:1208
	scratch_store_b32 off, v3, s32 offset:1216
	;; [unrolled: 1-line block ×3, first 2 shown]
	s_wait_xcnt 0x0
	s_and_saveexec_b32 s14, vcc_lo
	s_cbranch_execz .LBB357_3282
; %bb.3281:                             ;   in Loop: Header=BB357_2093 Depth=1
	scratch_load_b32 v2, off, s32 offset:1224 ; 4-byte Folded Reload
	v_cmp_lt_i32_e64 s0, v74, v42
	s_wait_loadcnt 0x0
	s_delay_alu instid0(VALU_DEP_1)
	v_cndmask_b32_e64 v2, 0, v2, s0
	v_cmp_lt_i32_e64 s0, v106, v42
	s_clause 0x1
	scratch_store_b32 off, v2, s32 offset:1224
	scratch_load_b32 v2, off, s32 offset:1216
	s_wait_loadcnt 0x0
	v_cndmask_b32_e64 v2, 0, v2, s0
	v_cmp_lt_i32_e64 s0, v105, v42
	s_clause 0x1
	scratch_store_b32 off, v2, s32 offset:1216
	scratch_load_b32 v2, off, s32 offset:1208
	s_wait_loadcnt 0x0
	;; [unrolled: 6-line block ×7, first 2 shown]
	v_cndmask_b32_e64 v2, 0, v2, s0
	scratch_store_b32 off, v2, s32 offset:1192 ; 4-byte Folded Spill
.LBB357_3282:                           ;   in Loop: Header=BB357_2093 Depth=1
	s_wait_xcnt 0x0
	s_or_b32 exec_lo, exec_lo, s14
	flat_load_b64 v[16:17], v[18:19] offset:4608
	v_dual_mov_b32 v3, 0 :: v_dual_mov_b32 v2, 0
	s_mov_b32 s14, exec_lo
	s_wait_loadcnt_dscnt 0x0
	v_and_b32_e32 v4, 0xff, v16
	s_wait_xcnt 0x0
	s_delay_alu instid0(VALU_DEP_1)
	v_cmpx_ne_u16_e32 0, v4
	s_cbranch_execz .LBB357_3290
; %bb.3283:                             ;   in Loop: Header=BB357_2093 Depth=1
	v_bfrev_b32_e32 v2, 1
	s_mov_b32 s15, exec_lo
	v_cmpx_ne_u16_e32 0x80, v4
	s_cbranch_execz .LBB357_3289
; %bb.3284:                             ;   in Loop: Header=BB357_2093 Depth=1
	v_and_b32_e32 v4, 0x7f, v16
	v_mov_b32_e32 v2, 0x7f800001
	s_mov_b32 s16, exec_lo
	s_delay_alu instid0(VALU_DEP_2)
	v_cmpx_ne_u32_e32 0x7f, v4
	s_cbranch_execz .LBB357_3288
; %bb.3285:                             ;   in Loop: Header=BB357_2093 Depth=1
	v_mov_b64_e32 v[22:23], v[16:17]
	v_lshrrev_b32_e32 v2, 3, v4
	s_mov_b32 s17, exec_lo
	v_cmpx_gt_u32_e32 8, v4
; %bb.3286:                             ;   in Loop: Header=BB357_2093 Depth=1
	v_and_b32_e32 v2, 7, v16
	s_delay_alu instid0(VALU_DEP_1) | instskip(NEXT) | instid1(VALU_DEP_1)
	v_clz_i32_u32_e32 v2, v2
	v_min_u32_e32 v2, 32, v2
	s_delay_alu instid0(VALU_DEP_1) | instskip(SKIP_1) | instid1(VALU_DEP_2)
	v_subrev_nc_u32_e32 v4, 28, v2
	v_sub_nc_u32_e32 v2, 29, v2
	v_lshlrev_b64_e32 v[22:23], v4, v[16:17]
; %bb.3287:                             ;   in Loop: Header=BB357_2093 Depth=1
	s_or_b32 exec_lo, exec_lo, s17
	s_delay_alu instid0(VALU_DEP_1) | instskip(NEXT) | instid1(VALU_DEP_3)
	v_dual_lshlrev_b32 v4, 20, v22 :: v_dual_lshlrev_b32 v5, 24, v16
	v_lshl_add_u32 v2, v2, 23, 0x3c000000
	s_delay_alu instid0(VALU_DEP_2) | instskip(NEXT) | instid1(VALU_DEP_3)
	v_and_b32_e32 v4, 0x700000, v4
	v_and_b32_e32 v5, 0x80000000, v5
	s_delay_alu instid0(VALU_DEP_1)
	v_or3_b32 v2, v4, v5, v2
.LBB357_3288:                           ;   in Loop: Header=BB357_2093 Depth=1
	s_or_b32 exec_lo, exec_lo, s16
.LBB357_3289:                           ;   in Loop: Header=BB357_2093 Depth=1
	s_delay_alu instid0(SALU_CYCLE_1)
	s_or_b32 exec_lo, exec_lo, s15
.LBB357_3290:                           ;   in Loop: Header=BB357_2093 Depth=1
	s_delay_alu instid0(SALU_CYCLE_1) | instskip(SKIP_2) | instid1(VALU_DEP_1)
	s_or_b32 exec_lo, exec_lo, s14
	v_lshrrev_b16 v4, 8, v16
	s_mov_b32 s14, exec_lo
	v_cmpx_ne_u16_e32 0, v4
	s_cbranch_execz .LBB357_3298
; %bb.3291:                             ;   in Loop: Header=BB357_2093 Depth=1
	v_bfrev_b32_e32 v3, 1
	s_mov_b32 s15, exec_lo
	v_cmpx_ne_u16_e32 0x80, v4
	s_cbranch_execz .LBB357_3297
; %bb.3292:                             ;   in Loop: Header=BB357_2093 Depth=1
	v_and_b32_e32 v5, 0xffff, v4
	v_mov_b32_e32 v3, 0x7f800001
	s_mov_b32 s16, exec_lo
	s_delay_alu instid0(VALU_DEP_2) | instskip(NEXT) | instid1(VALU_DEP_1)
	v_and_b32_e32 v4, 0x7f, v5
	v_cmpx_ne_u32_e32 0x7f, v4
	s_cbranch_execz .LBB357_3296
; %bb.3293:                             ;   in Loop: Header=BB357_2093 Depth=1
	v_dual_lshrrev_b32 v3, 3, v4 :: v_dual_bitop2_b32 v68, 7, v5 bitop3:0x40
	s_mov_b32 s17, exec_lo
	s_delay_alu instid0(VALU_DEP_1)
	v_mov_b64_e32 v[22:23], v[68:69]
	v_cmpx_gt_u32_e32 8, v4
; %bb.3294:                             ;   in Loop: Header=BB357_2093 Depth=1
	v_clz_i32_u32_e32 v3, v68
	s_delay_alu instid0(VALU_DEP_1) | instskip(NEXT) | instid1(VALU_DEP_1)
	v_min_u32_e32 v3, 32, v3
	v_subrev_nc_u32_e32 v4, 28, v3
	s_delay_alu instid0(VALU_DEP_1) | instskip(NEXT) | instid1(VALU_DEP_1)
	v_lshlrev_b64_e32 v[4:5], v4, v[68:69]
	v_dual_sub_nc_u32 v3, 29, v3 :: v_dual_bitop2_b32 v22, 7, v4 bitop3:0x40
; %bb.3295:                             ;   in Loop: Header=BB357_2093 Depth=1
	s_or_b32 exec_lo, exec_lo, s17
	s_delay_alu instid0(VALU_DEP_1) | instskip(NEXT) | instid1(VALU_DEP_2)
	v_dual_lshlrev_b32 v4, 16, v16 :: v_dual_lshlrev_b32 v5, 20, v22
	v_lshl_add_u32 v3, v3, 23, 0x3c000000
	s_delay_alu instid0(VALU_DEP_2) | instskip(NEXT) | instid1(VALU_DEP_1)
	v_and_b32_e32 v4, 0x80000000, v4
	v_or3_b32 v3, v5, v4, v3
.LBB357_3296:                           ;   in Loop: Header=BB357_2093 Depth=1
	s_or_b32 exec_lo, exec_lo, s16
.LBB357_3297:                           ;   in Loop: Header=BB357_2093 Depth=1
	s_delay_alu instid0(SALU_CYCLE_1)
	s_or_b32 exec_lo, exec_lo, s15
.LBB357_3298:                           ;   in Loop: Header=BB357_2093 Depth=1
	s_delay_alu instid0(SALU_CYCLE_1) | instskip(SKIP_3) | instid1(VALU_DEP_2)
	s_or_b32 exec_lo, exec_lo, s14
	v_dual_mov_b32 v5, 0 :: v_dual_lshrrev_b32 v6, 16, v16
	v_mov_b32_e32 v4, 0
	s_mov_b32 s14, exec_lo
	v_and_b32_e32 v7, 0xff, v6
	s_delay_alu instid0(VALU_DEP_1)
	v_cmpx_ne_u16_e32 0, v7
	s_cbranch_execz .LBB357_3306
; %bb.3299:                             ;   in Loop: Header=BB357_2093 Depth=1
	v_bfrev_b32_e32 v4, 1
	s_mov_b32 s15, exec_lo
	v_cmpx_ne_u16_e32 0x80, v7
	s_cbranch_execz .LBB357_3305
; %bb.3300:                             ;   in Loop: Header=BB357_2093 Depth=1
	v_bfe_u32 v7, v16, 16, 7
	v_mov_b32_e32 v4, 0x7f800001
	s_mov_b32 s16, exec_lo
	s_delay_alu instid0(VALU_DEP_2)
	v_cmpx_ne_u32_e32 0x7f, v7
	s_cbranch_execz .LBB357_3304
; %bb.3301:                             ;   in Loop: Header=BB357_2093 Depth=1
	v_dual_lshrrev_b32 v4, 3, v7 :: v_dual_bitop2_b32 v68, 7, v6 bitop3:0x40
	s_mov_b32 s17, exec_lo
	s_delay_alu instid0(VALU_DEP_1)
	v_mov_b64_e32 v[22:23], v[68:69]
	v_cmpx_gt_u32_e32 8, v7
; %bb.3302:                             ;   in Loop: Header=BB357_2093 Depth=1
	v_clz_i32_u32_e32 v4, v68
	s_delay_alu instid0(VALU_DEP_1) | instskip(NEXT) | instid1(VALU_DEP_1)
	v_min_u32_e32 v4, 32, v4
	v_subrev_nc_u32_e32 v7, 28, v4
	v_sub_nc_u32_e32 v4, 29, v4
	s_delay_alu instid0(VALU_DEP_2) | instskip(NEXT) | instid1(VALU_DEP_1)
	v_lshlrev_b64_e32 v[8:9], v7, v[68:69]
	v_and_b32_e32 v22, 7, v8
; %bb.3303:                             ;   in Loop: Header=BB357_2093 Depth=1
	s_or_b32 exec_lo, exec_lo, s17
	v_lshlrev_b32_e32 v6, 24, v6
	s_delay_alu instid0(VALU_DEP_2) | instskip(SKIP_1) | instid1(VALU_DEP_3)
	v_lshlrev_b32_e32 v7, 20, v22
	v_lshl_add_u32 v4, v4, 23, 0x3c000000
	v_and_b32_e32 v6, 0x80000000, v6
	s_delay_alu instid0(VALU_DEP_1)
	v_or3_b32 v4, v7, v6, v4
.LBB357_3304:                           ;   in Loop: Header=BB357_2093 Depth=1
	s_or_b32 exec_lo, exec_lo, s16
.LBB357_3305:                           ;   in Loop: Header=BB357_2093 Depth=1
	s_delay_alu instid0(SALU_CYCLE_1)
	s_or_b32 exec_lo, exec_lo, s15
.LBB357_3306:                           ;   in Loop: Header=BB357_2093 Depth=1
	s_delay_alu instid0(SALU_CYCLE_1) | instskip(NEXT) | instid1(SALU_CYCLE_1)
	s_or_b32 exec_lo, exec_lo, s14
	s_mov_b32 s14, exec_lo
	v_cmpx_lt_u32_e32 0xffffff, v16
	s_cbranch_execz .LBB357_3314
; %bb.3307:                             ;   in Loop: Header=BB357_2093 Depth=1
	v_lshrrev_b32_e32 v6, 24, v16
	v_bfrev_b32_e32 v5, 1
	s_mov_b32 s15, exec_lo
	s_delay_alu instid0(VALU_DEP_2)
	v_cmpx_ne_u32_e32 0x80, v6
	s_cbranch_execz .LBB357_3313
; %bb.3308:                             ;   in Loop: Header=BB357_2093 Depth=1
	v_bfe_u32 v7, v16, 24, 7
	v_mov_b32_e32 v5, 0x7f800001
	s_mov_b32 s16, exec_lo
	s_delay_alu instid0(VALU_DEP_2)
	v_cmpx_ne_u32_e32 0x7f, v7
	s_cbranch_execz .LBB357_3312
; %bb.3309:                             ;   in Loop: Header=BB357_2093 Depth=1
	v_dual_lshrrev_b32 v5, 3, v7 :: v_dual_bitop2_b32 v68, 7, v6 bitop3:0x40
	s_mov_b32 s17, exec_lo
	s_delay_alu instid0(VALU_DEP_1)
	v_mov_b64_e32 v[22:23], v[68:69]
	v_cmpx_gt_u32_e32 8, v7
; %bb.3310:                             ;   in Loop: Header=BB357_2093 Depth=1
	v_clz_i32_u32_e32 v5, v68
	s_delay_alu instid0(VALU_DEP_1) | instskip(NEXT) | instid1(VALU_DEP_1)
	v_min_u32_e32 v5, 32, v5
	v_subrev_nc_u32_e32 v7, 28, v5
	s_delay_alu instid0(VALU_DEP_1) | instskip(NEXT) | instid1(VALU_DEP_1)
	v_lshlrev_b64_e32 v[8:9], v7, v[68:69]
	v_dual_sub_nc_u32 v5, 29, v5 :: v_dual_bitop2_b32 v22, 7, v8 bitop3:0x40
; %bb.3311:                             ;   in Loop: Header=BB357_2093 Depth=1
	s_or_b32 exec_lo, exec_lo, s17
	v_lshlrev_b32_e32 v6, 24, v6
	s_delay_alu instid0(VALU_DEP_2) | instskip(NEXT) | instid1(VALU_DEP_3)
	v_lshlrev_b32_e32 v7, 20, v22
	v_lshl_add_u32 v5, v5, 23, 0x3c000000
	s_delay_alu instid0(VALU_DEP_3) | instskip(NEXT) | instid1(VALU_DEP_1)
	v_and_b32_e32 v6, 0x80000000, v6
	v_or3_b32 v5, v7, v6, v5
.LBB357_3312:                           ;   in Loop: Header=BB357_2093 Depth=1
	s_or_b32 exec_lo, exec_lo, s16
.LBB357_3313:                           ;   in Loop: Header=BB357_2093 Depth=1
	s_delay_alu instid0(SALU_CYCLE_1)
	s_or_b32 exec_lo, exec_lo, s15
.LBB357_3314:                           ;   in Loop: Header=BB357_2093 Depth=1
	s_delay_alu instid0(SALU_CYCLE_1) | instskip(SKIP_4) | instid1(VALU_DEP_3)
	s_or_b32 exec_lo, exec_lo, s14
	v_and_b32_e32 v8, 0xff, v17
	v_dual_mov_b32 v68, v17 :: v_dual_mov_b32 v7, 0
	v_mov_b32_e32 v6, 0
	s_mov_b32 s14, exec_lo
	v_cmpx_ne_u16_e32 0, v8
	s_cbranch_execz .LBB357_3322
; %bb.3315:                             ;   in Loop: Header=BB357_2093 Depth=1
	v_bfrev_b32_e32 v6, 1
	s_mov_b32 s15, exec_lo
	v_cmpx_ne_u16_e32 0x80, v8
	s_cbranch_execz .LBB357_3321
; %bb.3316:                             ;   in Loop: Header=BB357_2093 Depth=1
	v_and_b32_e32 v8, 0x7f, v17
	v_mov_b32_e32 v6, 0x7f800001
	s_mov_b32 s16, exec_lo
	s_delay_alu instid0(VALU_DEP_2)
	v_cmpx_ne_u32_e32 0x7f, v8
	s_cbranch_execz .LBB357_3320
; %bb.3317:                             ;   in Loop: Header=BB357_2093 Depth=1
	v_mov_b64_e32 v[22:23], v[68:69]
	v_lshrrev_b32_e32 v6, 3, v8
	s_mov_b32 s17, exec_lo
	v_cmpx_gt_u32_e32 8, v8
; %bb.3318:                             ;   in Loop: Header=BB357_2093 Depth=1
	v_and_b32_e32 v6, 7, v17
	s_delay_alu instid0(VALU_DEP_1) | instskip(NEXT) | instid1(VALU_DEP_1)
	v_clz_i32_u32_e32 v6, v6
	v_min_u32_e32 v6, 32, v6
	s_delay_alu instid0(VALU_DEP_1) | instskip(SKIP_1) | instid1(VALU_DEP_2)
	v_subrev_nc_u32_e32 v8, 28, v6
	v_sub_nc_u32_e32 v6, 29, v6
	v_lshlrev_b64_e32 v[22:23], v8, v[68:69]
; %bb.3319:                             ;   in Loop: Header=BB357_2093 Depth=1
	s_or_b32 exec_lo, exec_lo, s17
	s_delay_alu instid0(VALU_DEP_1) | instskip(NEXT) | instid1(VALU_DEP_3)
	v_dual_lshlrev_b32 v8, 20, v22 :: v_dual_lshlrev_b32 v9, 24, v68
	v_lshl_add_u32 v6, v6, 23, 0x3c000000
	s_delay_alu instid0(VALU_DEP_2) | instskip(NEXT) | instid1(VALU_DEP_3)
	v_and_b32_e32 v8, 0x700000, v8
	v_and_b32_e32 v9, 0x80000000, v9
	s_delay_alu instid0(VALU_DEP_1)
	v_or3_b32 v6, v8, v9, v6
.LBB357_3320:                           ;   in Loop: Header=BB357_2093 Depth=1
	s_or_b32 exec_lo, exec_lo, s16
.LBB357_3321:                           ;   in Loop: Header=BB357_2093 Depth=1
	s_delay_alu instid0(SALU_CYCLE_1)
	s_or_b32 exec_lo, exec_lo, s15
.LBB357_3322:                           ;   in Loop: Header=BB357_2093 Depth=1
	s_delay_alu instid0(SALU_CYCLE_1) | instskip(SKIP_2) | instid1(VALU_DEP_1)
	s_or_b32 exec_lo, exec_lo, s14
	v_lshrrev_b16 v8, 8, v68
	s_mov_b32 s14, exec_lo
	v_cmpx_ne_u16_e32 0, v8
	s_cbranch_execz .LBB357_3330
; %bb.3323:                             ;   in Loop: Header=BB357_2093 Depth=1
	v_bfrev_b32_e32 v7, 1
	s_mov_b32 s15, exec_lo
	v_cmpx_ne_u16_e32 0x80, v8
	s_cbranch_execz .LBB357_3329
; %bb.3324:                             ;   in Loop: Header=BB357_2093 Depth=1
	v_and_b32_e32 v9, 0xffff, v8
	v_mov_b32_e32 v7, 0x7f800001
	s_mov_b32 s16, exec_lo
	s_delay_alu instid0(VALU_DEP_2) | instskip(NEXT) | instid1(VALU_DEP_1)
	v_and_b32_e32 v8, 0x7f, v9
	v_cmpx_ne_u32_e32 0x7f, v8
	s_cbranch_execz .LBB357_3328
; %bb.3325:                             ;   in Loop: Header=BB357_2093 Depth=1
	v_dual_mov_b32 v23, v69 :: v_dual_bitop2_b32 v22, 7, v9 bitop3:0x40
	v_lshrrev_b32_e32 v7, 3, v8
	s_mov_b32 s17, exec_lo
	v_cmpx_gt_u32_e32 8, v8
; %bb.3326:                             ;   in Loop: Header=BB357_2093 Depth=1
	s_delay_alu instid0(VALU_DEP_3) | instskip(NEXT) | instid1(VALU_DEP_1)
	v_clz_i32_u32_e32 v7, v22
	v_min_u32_e32 v7, 32, v7
	s_delay_alu instid0(VALU_DEP_1) | instskip(NEXT) | instid1(VALU_DEP_1)
	v_subrev_nc_u32_e32 v8, 28, v7
	v_lshlrev_b64_e32 v[8:9], v8, v[22:23]
	s_delay_alu instid0(VALU_DEP_1)
	v_dual_sub_nc_u32 v7, 29, v7 :: v_dual_bitop2_b32 v22, 7, v8 bitop3:0x40
; %bb.3327:                             ;   in Loop: Header=BB357_2093 Depth=1
	s_or_b32 exec_lo, exec_lo, s17
	s_delay_alu instid0(VALU_DEP_1) | instskip(NEXT) | instid1(VALU_DEP_2)
	v_dual_lshlrev_b32 v8, 16, v68 :: v_dual_lshlrev_b32 v9, 20, v22
	v_lshl_add_u32 v7, v7, 23, 0x3c000000
	s_delay_alu instid0(VALU_DEP_2) | instskip(NEXT) | instid1(VALU_DEP_1)
	v_and_b32_e32 v8, 0x80000000, v8
	v_or3_b32 v7, v9, v8, v7
.LBB357_3328:                           ;   in Loop: Header=BB357_2093 Depth=1
	s_or_b32 exec_lo, exec_lo, s16
.LBB357_3329:                           ;   in Loop: Header=BB357_2093 Depth=1
	s_delay_alu instid0(SALU_CYCLE_1)
	s_or_b32 exec_lo, exec_lo, s15
.LBB357_3330:                           ;   in Loop: Header=BB357_2093 Depth=1
	s_delay_alu instid0(SALU_CYCLE_1) | instskip(SKIP_3) | instid1(VALU_DEP_2)
	s_or_b32 exec_lo, exec_lo, s14
	v_dual_lshrrev_b32 v10, 16, v17 :: v_dual_mov_b32 v8, 0
	v_mov_b32_e32 v9, 0
	s_mov_b32 s14, exec_lo
	v_and_b32_e32 v11, 0xff, v10
	s_delay_alu instid0(VALU_DEP_1)
	v_cmpx_ne_u16_e32 0, v11
	s_cbranch_execz .LBB357_3338
; %bb.3331:                             ;   in Loop: Header=BB357_2093 Depth=1
	v_bfrev_b32_e32 v9, 1
	s_mov_b32 s15, exec_lo
	v_cmpx_ne_u16_e32 0x80, v11
	s_cbranch_execz .LBB357_3337
; %bb.3332:                             ;   in Loop: Header=BB357_2093 Depth=1
	v_bfe_u32 v11, v17, 16, 7
	v_mov_b32_e32 v9, 0x7f800001
	s_mov_b32 s16, exec_lo
	s_delay_alu instid0(VALU_DEP_2)
	v_cmpx_ne_u32_e32 0x7f, v11
	s_cbranch_execz .LBB357_3336
; %bb.3333:                             ;   in Loop: Header=BB357_2093 Depth=1
	v_dual_lshrrev_b32 v9, 3, v11 :: v_dual_bitop2_b32 v68, 7, v10 bitop3:0x40
	s_mov_b32 s17, exec_lo
	s_delay_alu instid0(VALU_DEP_1)
	v_mov_b64_e32 v[22:23], v[68:69]
	v_cmpx_gt_u32_e32 8, v11
; %bb.3334:                             ;   in Loop: Header=BB357_2093 Depth=1
	v_clz_i32_u32_e32 v9, v68
	s_delay_alu instid0(VALU_DEP_1) | instskip(NEXT) | instid1(VALU_DEP_1)
	v_min_u32_e32 v9, 32, v9
	v_subrev_nc_u32_e32 v11, 28, v9
	s_delay_alu instid0(VALU_DEP_1) | instskip(NEXT) | instid1(VALU_DEP_1)
	v_lshlrev_b64_e32 v[12:13], v11, v[68:69]
	v_dual_sub_nc_u32 v9, 29, v9 :: v_dual_bitop2_b32 v22, 7, v12 bitop3:0x40
; %bb.3335:                             ;   in Loop: Header=BB357_2093 Depth=1
	s_or_b32 exec_lo, exec_lo, s17
	v_lshlrev_b32_e32 v10, 24, v10
	s_delay_alu instid0(VALU_DEP_2) | instskip(NEXT) | instid1(VALU_DEP_3)
	v_lshlrev_b32_e32 v11, 20, v22
	v_lshl_add_u32 v9, v9, 23, 0x3c000000
	s_delay_alu instid0(VALU_DEP_3) | instskip(NEXT) | instid1(VALU_DEP_1)
	v_and_b32_e32 v10, 0x80000000, v10
	v_or3_b32 v9, v11, v10, v9
.LBB357_3336:                           ;   in Loop: Header=BB357_2093 Depth=1
	s_or_b32 exec_lo, exec_lo, s16
.LBB357_3337:                           ;   in Loop: Header=BB357_2093 Depth=1
	s_delay_alu instid0(SALU_CYCLE_1)
	s_or_b32 exec_lo, exec_lo, s15
.LBB357_3338:                           ;   in Loop: Header=BB357_2093 Depth=1
	s_delay_alu instid0(SALU_CYCLE_1) | instskip(NEXT) | instid1(SALU_CYCLE_1)
	s_or_b32 exec_lo, exec_lo, s14
	s_mov_b32 s14, exec_lo
	v_cmpx_lt_u64_e64 s[2:3], v[16:17]
	s_cbranch_execz .LBB357_3346
; %bb.3339:                             ;   in Loop: Header=BB357_2093 Depth=1
	v_lshrrev_b32_e32 v10, 24, v17
	v_bfrev_b32_e32 v8, 1
	s_mov_b32 s15, exec_lo
	s_delay_alu instid0(VALU_DEP_2)
	v_cmpx_ne_u32_e32 0x80, v10
	s_cbranch_execz .LBB357_3345
; %bb.3340:                             ;   in Loop: Header=BB357_2093 Depth=1
	v_bfe_u32 v11, v17, 24, 7
	v_mov_b32_e32 v8, 0x7f800001
	s_mov_b32 s16, exec_lo
	s_delay_alu instid0(VALU_DEP_2)
	v_cmpx_ne_u32_e32 0x7f, v11
	s_cbranch_execz .LBB357_3344
; %bb.3341:                             ;   in Loop: Header=BB357_2093 Depth=1
	v_dual_lshrrev_b32 v8, 3, v11 :: v_dual_bitop2_b32 v68, 7, v10 bitop3:0x40
	s_mov_b32 s17, exec_lo
	s_delay_alu instid0(VALU_DEP_1)
	v_mov_b64_e32 v[16:17], v[68:69]
	v_cmpx_gt_u32_e32 8, v11
; %bb.3342:                             ;   in Loop: Header=BB357_2093 Depth=1
	v_clz_i32_u32_e32 v8, v68
	s_delay_alu instid0(VALU_DEP_1) | instskip(NEXT) | instid1(VALU_DEP_1)
	v_min_u32_e32 v8, 32, v8
	v_subrev_nc_u32_e32 v11, 28, v8
	v_sub_nc_u32_e32 v8, 29, v8
	s_delay_alu instid0(VALU_DEP_2) | instskip(NEXT) | instid1(VALU_DEP_1)
	v_lshlrev_b64_e32 v[12:13], v11, v[68:69]
	v_and_b32_e32 v16, 7, v12
; %bb.3343:                             ;   in Loop: Header=BB357_2093 Depth=1
	s_or_b32 exec_lo, exec_lo, s17
	s_delay_alu instid0(VALU_DEP_1) | instskip(SKIP_1) | instid1(VALU_DEP_2)
	v_dual_lshlrev_b32 v10, 24, v10 :: v_dual_lshlrev_b32 v11, 20, v16
	v_lshl_add_u32 v8, v8, 23, 0x3c000000
	v_and_b32_e32 v10, 0x80000000, v10
	s_delay_alu instid0(VALU_DEP_1)
	v_or3_b32 v8, v11, v10, v8
.LBB357_3344:                           ;   in Loop: Header=BB357_2093 Depth=1
	s_or_b32 exec_lo, exec_lo, s16
.LBB357_3345:                           ;   in Loop: Header=BB357_2093 Depth=1
	s_delay_alu instid0(SALU_CYCLE_1)
	s_or_b32 exec_lo, exec_lo, s15
.LBB357_3346:                           ;   in Loop: Header=BB357_2093 Depth=1
	s_delay_alu instid0(SALU_CYCLE_1)
	s_or_b32 exec_lo, exec_lo, s14
	v_fma_mixlo_bf16 v7, v75, v7, 0
	v_fma_mixlo_bf16 v6, v75, v6, 0
	;; [unrolled: 1-line block ×8, first 2 shown]
	s_clause 0x3
	scratch_store_b32 off, v7, s32 offset:1228
	scratch_store_b32 off, v6, s32 offset:1236
	;; [unrolled: 1-line block ×4, first 2 shown]
	s_wait_xcnt 0x0
	s_and_saveexec_b32 s14, vcc_lo
	s_cbranch_execz .LBB357_3348
; %bb.3347:                             ;   in Loop: Header=BB357_2093 Depth=1
	scratch_load_b32 v2, off, s32 offset:1248 ; 4-byte Folded Reload
	v_cmp_lt_i32_e64 s0, v74, v42
	s_delay_alu instid0(VALU_DEP_1) | instskip(SKIP_1) | instid1(VALU_DEP_1)
	v_cndmask_b32_e64 v41, 0, v41, s0
	v_cmp_lt_i32_e64 s0, v106, v42
	v_cndmask_b32_e64 v40, 0, v40, s0
	v_cmp_lt_i32_e64 s0, v105, v42
	s_delay_alu instid0(VALU_DEP_1) | instskip(SKIP_2) | instid1(VALU_DEP_1)
	v_cndmask_b32_e64 v119, 0, v119, s0
	v_cmp_lt_i32_e64 s0, v104, v42
	s_wait_loadcnt 0x0
	v_cndmask_b32_e64 v2, 0, v2, s0
	v_cmp_lt_i32_e64 s0, v95, v42
	s_clause 0x1
	scratch_store_b32 off, v2, s32 offset:1248
	scratch_load_b32 v2, off, s32 offset:1236
	s_wait_loadcnt 0x0
	v_cndmask_b32_e64 v2, 0, v2, s0
	v_cmp_lt_i32_e64 s0, v94, v42
	s_clause 0x1
	scratch_store_b32 off, v2, s32 offset:1236
	scratch_load_b32 v2, off, s32 offset:1228
	;; [unrolled: 6-line block ×3, first 2 shown]
	s_wait_loadcnt 0x0
	v_cndmask_b32_e64 v2, 0, v2, s0
	v_cmp_lt_i32_e64 s0, v92, v42
	scratch_store_b32 off, v2, s32 offset:1240 ; 4-byte Folded Spill
	v_cndmask_b32_e64 v118, 0, v118, s0
.LBB357_3348:                           ;   in Loop: Header=BB357_2093 Depth=1
	s_wait_xcnt 0x0
	s_or_b32 exec_lo, exec_lo, s14
	flat_load_b64 v[16:17], v[18:19] offset:4864
	v_dual_mov_b32 v3, 0 :: v_dual_mov_b32 v2, 0
	s_mov_b32 s14, exec_lo
	s_wait_loadcnt_dscnt 0x0
	v_and_b32_e32 v4, 0xff, v16
	s_wait_xcnt 0x0
	s_delay_alu instid0(VALU_DEP_1)
	v_cmpx_ne_u16_e32 0, v4
	s_cbranch_execz .LBB357_3356
; %bb.3349:                             ;   in Loop: Header=BB357_2093 Depth=1
	v_bfrev_b32_e32 v2, 1
	s_mov_b32 s15, exec_lo
	v_cmpx_ne_u16_e32 0x80, v4
	s_cbranch_execz .LBB357_3355
; %bb.3350:                             ;   in Loop: Header=BB357_2093 Depth=1
	v_and_b32_e32 v4, 0x7f, v16
	v_mov_b32_e32 v2, 0x7f800001
	s_mov_b32 s16, exec_lo
	s_delay_alu instid0(VALU_DEP_2)
	v_cmpx_ne_u32_e32 0x7f, v4
	s_cbranch_execz .LBB357_3354
; %bb.3351:                             ;   in Loop: Header=BB357_2093 Depth=1
	v_mov_b64_e32 v[22:23], v[16:17]
	v_lshrrev_b32_e32 v2, 3, v4
	s_mov_b32 s17, exec_lo
	v_cmpx_gt_u32_e32 8, v4
; %bb.3352:                             ;   in Loop: Header=BB357_2093 Depth=1
	v_and_b32_e32 v2, 7, v16
	s_delay_alu instid0(VALU_DEP_1) | instskip(NEXT) | instid1(VALU_DEP_1)
	v_clz_i32_u32_e32 v2, v2
	v_min_u32_e32 v2, 32, v2
	s_delay_alu instid0(VALU_DEP_1) | instskip(SKIP_1) | instid1(VALU_DEP_2)
	v_subrev_nc_u32_e32 v4, 28, v2
	v_sub_nc_u32_e32 v2, 29, v2
	v_lshlrev_b64_e32 v[22:23], v4, v[16:17]
; %bb.3353:                             ;   in Loop: Header=BB357_2093 Depth=1
	s_or_b32 exec_lo, exec_lo, s17
	s_delay_alu instid0(VALU_DEP_1) | instskip(NEXT) | instid1(VALU_DEP_3)
	v_dual_lshlrev_b32 v4, 20, v22 :: v_dual_lshlrev_b32 v5, 24, v16
	v_lshl_add_u32 v2, v2, 23, 0x3c000000
	s_delay_alu instid0(VALU_DEP_2) | instskip(NEXT) | instid1(VALU_DEP_3)
	v_and_b32_e32 v4, 0x700000, v4
	v_and_b32_e32 v5, 0x80000000, v5
	s_delay_alu instid0(VALU_DEP_1)
	v_or3_b32 v2, v4, v5, v2
.LBB357_3354:                           ;   in Loop: Header=BB357_2093 Depth=1
	s_or_b32 exec_lo, exec_lo, s16
.LBB357_3355:                           ;   in Loop: Header=BB357_2093 Depth=1
	s_delay_alu instid0(SALU_CYCLE_1)
	s_or_b32 exec_lo, exec_lo, s15
.LBB357_3356:                           ;   in Loop: Header=BB357_2093 Depth=1
	s_delay_alu instid0(SALU_CYCLE_1) | instskip(SKIP_2) | instid1(VALU_DEP_1)
	s_or_b32 exec_lo, exec_lo, s14
	v_lshrrev_b16 v4, 8, v16
	s_mov_b32 s14, exec_lo
	v_cmpx_ne_u16_e32 0, v4
	s_cbranch_execz .LBB357_3364
; %bb.3357:                             ;   in Loop: Header=BB357_2093 Depth=1
	v_bfrev_b32_e32 v3, 1
	s_mov_b32 s15, exec_lo
	v_cmpx_ne_u16_e32 0x80, v4
	s_cbranch_execz .LBB357_3363
; %bb.3358:                             ;   in Loop: Header=BB357_2093 Depth=1
	v_and_b32_e32 v5, 0xffff, v4
	v_mov_b32_e32 v3, 0x7f800001
	s_mov_b32 s16, exec_lo
	s_delay_alu instid0(VALU_DEP_2) | instskip(NEXT) | instid1(VALU_DEP_1)
	v_and_b32_e32 v4, 0x7f, v5
	v_cmpx_ne_u32_e32 0x7f, v4
	s_cbranch_execz .LBB357_3362
; %bb.3359:                             ;   in Loop: Header=BB357_2093 Depth=1
	v_dual_lshrrev_b32 v3, 3, v4 :: v_dual_bitop2_b32 v68, 7, v5 bitop3:0x40
	s_mov_b32 s17, exec_lo
	s_delay_alu instid0(VALU_DEP_1)
	v_mov_b64_e32 v[22:23], v[68:69]
	v_cmpx_gt_u32_e32 8, v4
; %bb.3360:                             ;   in Loop: Header=BB357_2093 Depth=1
	v_clz_i32_u32_e32 v3, v68
	s_delay_alu instid0(VALU_DEP_1) | instskip(NEXT) | instid1(VALU_DEP_1)
	v_min_u32_e32 v3, 32, v3
	v_subrev_nc_u32_e32 v4, 28, v3
	s_delay_alu instid0(VALU_DEP_1) | instskip(NEXT) | instid1(VALU_DEP_1)
	v_lshlrev_b64_e32 v[4:5], v4, v[68:69]
	v_dual_sub_nc_u32 v3, 29, v3 :: v_dual_bitop2_b32 v22, 7, v4 bitop3:0x40
; %bb.3361:                             ;   in Loop: Header=BB357_2093 Depth=1
	s_or_b32 exec_lo, exec_lo, s17
	s_delay_alu instid0(VALU_DEP_1) | instskip(NEXT) | instid1(VALU_DEP_2)
	v_dual_lshlrev_b32 v4, 16, v16 :: v_dual_lshlrev_b32 v5, 20, v22
	v_lshl_add_u32 v3, v3, 23, 0x3c000000
	s_delay_alu instid0(VALU_DEP_2) | instskip(NEXT) | instid1(VALU_DEP_1)
	v_and_b32_e32 v4, 0x80000000, v4
	v_or3_b32 v3, v5, v4, v3
.LBB357_3362:                           ;   in Loop: Header=BB357_2093 Depth=1
	s_or_b32 exec_lo, exec_lo, s16
.LBB357_3363:                           ;   in Loop: Header=BB357_2093 Depth=1
	s_delay_alu instid0(SALU_CYCLE_1)
	s_or_b32 exec_lo, exec_lo, s15
.LBB357_3364:                           ;   in Loop: Header=BB357_2093 Depth=1
	s_delay_alu instid0(SALU_CYCLE_1) | instskip(SKIP_3) | instid1(VALU_DEP_2)
	s_or_b32 exec_lo, exec_lo, s14
	v_dual_mov_b32 v5, 0 :: v_dual_lshrrev_b32 v6, 16, v16
	v_mov_b32_e32 v4, 0
	s_mov_b32 s14, exec_lo
	v_and_b32_e32 v7, 0xff, v6
	s_delay_alu instid0(VALU_DEP_1)
	v_cmpx_ne_u16_e32 0, v7
	s_cbranch_execz .LBB357_3372
; %bb.3365:                             ;   in Loop: Header=BB357_2093 Depth=1
	v_bfrev_b32_e32 v4, 1
	s_mov_b32 s15, exec_lo
	v_cmpx_ne_u16_e32 0x80, v7
	s_cbranch_execz .LBB357_3371
; %bb.3366:                             ;   in Loop: Header=BB357_2093 Depth=1
	v_bfe_u32 v7, v16, 16, 7
	v_mov_b32_e32 v4, 0x7f800001
	s_mov_b32 s16, exec_lo
	s_delay_alu instid0(VALU_DEP_2)
	v_cmpx_ne_u32_e32 0x7f, v7
	s_cbranch_execz .LBB357_3370
; %bb.3367:                             ;   in Loop: Header=BB357_2093 Depth=1
	v_dual_lshrrev_b32 v4, 3, v7 :: v_dual_bitop2_b32 v68, 7, v6 bitop3:0x40
	s_mov_b32 s17, exec_lo
	s_delay_alu instid0(VALU_DEP_1)
	v_mov_b64_e32 v[22:23], v[68:69]
	v_cmpx_gt_u32_e32 8, v7
; %bb.3368:                             ;   in Loop: Header=BB357_2093 Depth=1
	v_clz_i32_u32_e32 v4, v68
	s_delay_alu instid0(VALU_DEP_1) | instskip(NEXT) | instid1(VALU_DEP_1)
	v_min_u32_e32 v4, 32, v4
	v_subrev_nc_u32_e32 v7, 28, v4
	v_sub_nc_u32_e32 v4, 29, v4
	s_delay_alu instid0(VALU_DEP_2) | instskip(NEXT) | instid1(VALU_DEP_1)
	v_lshlrev_b64_e32 v[8:9], v7, v[68:69]
	v_and_b32_e32 v22, 7, v8
; %bb.3369:                             ;   in Loop: Header=BB357_2093 Depth=1
	s_or_b32 exec_lo, exec_lo, s17
	v_lshlrev_b32_e32 v6, 24, v6
	s_delay_alu instid0(VALU_DEP_2) | instskip(SKIP_1) | instid1(VALU_DEP_3)
	v_lshlrev_b32_e32 v7, 20, v22
	v_lshl_add_u32 v4, v4, 23, 0x3c000000
	v_and_b32_e32 v6, 0x80000000, v6
	s_delay_alu instid0(VALU_DEP_1)
	v_or3_b32 v4, v7, v6, v4
.LBB357_3370:                           ;   in Loop: Header=BB357_2093 Depth=1
	s_or_b32 exec_lo, exec_lo, s16
.LBB357_3371:                           ;   in Loop: Header=BB357_2093 Depth=1
	s_delay_alu instid0(SALU_CYCLE_1)
	s_or_b32 exec_lo, exec_lo, s15
.LBB357_3372:                           ;   in Loop: Header=BB357_2093 Depth=1
	s_delay_alu instid0(SALU_CYCLE_1) | instskip(NEXT) | instid1(SALU_CYCLE_1)
	s_or_b32 exec_lo, exec_lo, s14
	s_mov_b32 s14, exec_lo
	v_cmpx_lt_u32_e32 0xffffff, v16
	s_cbranch_execz .LBB357_3380
; %bb.3373:                             ;   in Loop: Header=BB357_2093 Depth=1
	v_lshrrev_b32_e32 v6, 24, v16
	v_bfrev_b32_e32 v5, 1
	s_mov_b32 s15, exec_lo
	s_delay_alu instid0(VALU_DEP_2)
	v_cmpx_ne_u32_e32 0x80, v6
	s_cbranch_execz .LBB357_3379
; %bb.3374:                             ;   in Loop: Header=BB357_2093 Depth=1
	v_bfe_u32 v7, v16, 24, 7
	v_mov_b32_e32 v5, 0x7f800001
	s_mov_b32 s16, exec_lo
	s_delay_alu instid0(VALU_DEP_2)
	v_cmpx_ne_u32_e32 0x7f, v7
	s_cbranch_execz .LBB357_3378
; %bb.3375:                             ;   in Loop: Header=BB357_2093 Depth=1
	v_dual_lshrrev_b32 v5, 3, v7 :: v_dual_bitop2_b32 v68, 7, v6 bitop3:0x40
	s_mov_b32 s17, exec_lo
	s_delay_alu instid0(VALU_DEP_1)
	v_mov_b64_e32 v[22:23], v[68:69]
	v_cmpx_gt_u32_e32 8, v7
; %bb.3376:                             ;   in Loop: Header=BB357_2093 Depth=1
	v_clz_i32_u32_e32 v5, v68
	s_delay_alu instid0(VALU_DEP_1) | instskip(NEXT) | instid1(VALU_DEP_1)
	v_min_u32_e32 v5, 32, v5
	v_subrev_nc_u32_e32 v7, 28, v5
	s_delay_alu instid0(VALU_DEP_1) | instskip(NEXT) | instid1(VALU_DEP_1)
	v_lshlrev_b64_e32 v[8:9], v7, v[68:69]
	v_dual_sub_nc_u32 v5, 29, v5 :: v_dual_bitop2_b32 v22, 7, v8 bitop3:0x40
; %bb.3377:                             ;   in Loop: Header=BB357_2093 Depth=1
	s_or_b32 exec_lo, exec_lo, s17
	v_lshlrev_b32_e32 v6, 24, v6
	s_delay_alu instid0(VALU_DEP_2) | instskip(NEXT) | instid1(VALU_DEP_3)
	v_lshlrev_b32_e32 v7, 20, v22
	v_lshl_add_u32 v5, v5, 23, 0x3c000000
	s_delay_alu instid0(VALU_DEP_3) | instskip(NEXT) | instid1(VALU_DEP_1)
	v_and_b32_e32 v6, 0x80000000, v6
	v_or3_b32 v5, v7, v6, v5
.LBB357_3378:                           ;   in Loop: Header=BB357_2093 Depth=1
	s_or_b32 exec_lo, exec_lo, s16
.LBB357_3379:                           ;   in Loop: Header=BB357_2093 Depth=1
	s_delay_alu instid0(SALU_CYCLE_1)
	s_or_b32 exec_lo, exec_lo, s15
.LBB357_3380:                           ;   in Loop: Header=BB357_2093 Depth=1
	s_delay_alu instid0(SALU_CYCLE_1) | instskip(SKIP_4) | instid1(VALU_DEP_3)
	s_or_b32 exec_lo, exec_lo, s14
	v_and_b32_e32 v8, 0xff, v17
	v_dual_mov_b32 v68, v17 :: v_dual_mov_b32 v7, 0
	v_mov_b32_e32 v6, 0
	s_mov_b32 s14, exec_lo
	v_cmpx_ne_u16_e32 0, v8
	s_cbranch_execz .LBB357_3388
; %bb.3381:                             ;   in Loop: Header=BB357_2093 Depth=1
	v_bfrev_b32_e32 v6, 1
	s_mov_b32 s15, exec_lo
	v_cmpx_ne_u16_e32 0x80, v8
	s_cbranch_execz .LBB357_3387
; %bb.3382:                             ;   in Loop: Header=BB357_2093 Depth=1
	v_and_b32_e32 v8, 0x7f, v17
	v_mov_b32_e32 v6, 0x7f800001
	s_mov_b32 s16, exec_lo
	s_delay_alu instid0(VALU_DEP_2)
	v_cmpx_ne_u32_e32 0x7f, v8
	s_cbranch_execz .LBB357_3386
; %bb.3383:                             ;   in Loop: Header=BB357_2093 Depth=1
	v_mov_b64_e32 v[22:23], v[68:69]
	v_lshrrev_b32_e32 v6, 3, v8
	s_mov_b32 s17, exec_lo
	v_cmpx_gt_u32_e32 8, v8
; %bb.3384:                             ;   in Loop: Header=BB357_2093 Depth=1
	v_and_b32_e32 v6, 7, v17
	s_delay_alu instid0(VALU_DEP_1) | instskip(NEXT) | instid1(VALU_DEP_1)
	v_clz_i32_u32_e32 v6, v6
	v_min_u32_e32 v6, 32, v6
	s_delay_alu instid0(VALU_DEP_1) | instskip(SKIP_1) | instid1(VALU_DEP_2)
	v_subrev_nc_u32_e32 v8, 28, v6
	v_sub_nc_u32_e32 v6, 29, v6
	v_lshlrev_b64_e32 v[22:23], v8, v[68:69]
; %bb.3385:                             ;   in Loop: Header=BB357_2093 Depth=1
	s_or_b32 exec_lo, exec_lo, s17
	s_delay_alu instid0(VALU_DEP_1) | instskip(NEXT) | instid1(VALU_DEP_3)
	v_dual_lshlrev_b32 v8, 20, v22 :: v_dual_lshlrev_b32 v9, 24, v68
	v_lshl_add_u32 v6, v6, 23, 0x3c000000
	s_delay_alu instid0(VALU_DEP_2) | instskip(NEXT) | instid1(VALU_DEP_3)
	v_and_b32_e32 v8, 0x700000, v8
	v_and_b32_e32 v9, 0x80000000, v9
	s_delay_alu instid0(VALU_DEP_1)
	v_or3_b32 v6, v8, v9, v6
.LBB357_3386:                           ;   in Loop: Header=BB357_2093 Depth=1
	s_or_b32 exec_lo, exec_lo, s16
.LBB357_3387:                           ;   in Loop: Header=BB357_2093 Depth=1
	s_delay_alu instid0(SALU_CYCLE_1)
	s_or_b32 exec_lo, exec_lo, s15
.LBB357_3388:                           ;   in Loop: Header=BB357_2093 Depth=1
	s_delay_alu instid0(SALU_CYCLE_1) | instskip(SKIP_2) | instid1(VALU_DEP_1)
	s_or_b32 exec_lo, exec_lo, s14
	v_lshrrev_b16 v8, 8, v68
	s_mov_b32 s14, exec_lo
	v_cmpx_ne_u16_e32 0, v8
	s_cbranch_execz .LBB357_3396
; %bb.3389:                             ;   in Loop: Header=BB357_2093 Depth=1
	v_bfrev_b32_e32 v7, 1
	s_mov_b32 s15, exec_lo
	v_cmpx_ne_u16_e32 0x80, v8
	s_cbranch_execz .LBB357_3395
; %bb.3390:                             ;   in Loop: Header=BB357_2093 Depth=1
	v_and_b32_e32 v9, 0xffff, v8
	v_mov_b32_e32 v7, 0x7f800001
	s_mov_b32 s16, exec_lo
	s_delay_alu instid0(VALU_DEP_2) | instskip(NEXT) | instid1(VALU_DEP_1)
	v_and_b32_e32 v8, 0x7f, v9
	v_cmpx_ne_u32_e32 0x7f, v8
	s_cbranch_execz .LBB357_3394
; %bb.3391:                             ;   in Loop: Header=BB357_2093 Depth=1
	v_dual_mov_b32 v23, v69 :: v_dual_bitop2_b32 v22, 7, v9 bitop3:0x40
	v_lshrrev_b32_e32 v7, 3, v8
	s_mov_b32 s17, exec_lo
	v_cmpx_gt_u32_e32 8, v8
; %bb.3392:                             ;   in Loop: Header=BB357_2093 Depth=1
	s_delay_alu instid0(VALU_DEP_3) | instskip(NEXT) | instid1(VALU_DEP_1)
	v_clz_i32_u32_e32 v7, v22
	v_min_u32_e32 v7, 32, v7
	s_delay_alu instid0(VALU_DEP_1) | instskip(NEXT) | instid1(VALU_DEP_1)
	v_subrev_nc_u32_e32 v8, 28, v7
	v_lshlrev_b64_e32 v[8:9], v8, v[22:23]
	s_delay_alu instid0(VALU_DEP_1)
	v_dual_sub_nc_u32 v7, 29, v7 :: v_dual_bitop2_b32 v22, 7, v8 bitop3:0x40
; %bb.3393:                             ;   in Loop: Header=BB357_2093 Depth=1
	s_or_b32 exec_lo, exec_lo, s17
	s_delay_alu instid0(VALU_DEP_1) | instskip(NEXT) | instid1(VALU_DEP_2)
	v_dual_lshlrev_b32 v8, 16, v68 :: v_dual_lshlrev_b32 v9, 20, v22
	v_lshl_add_u32 v7, v7, 23, 0x3c000000
	s_delay_alu instid0(VALU_DEP_2) | instskip(NEXT) | instid1(VALU_DEP_1)
	v_and_b32_e32 v8, 0x80000000, v8
	v_or3_b32 v7, v9, v8, v7
.LBB357_3394:                           ;   in Loop: Header=BB357_2093 Depth=1
	s_or_b32 exec_lo, exec_lo, s16
.LBB357_3395:                           ;   in Loop: Header=BB357_2093 Depth=1
	s_delay_alu instid0(SALU_CYCLE_1)
	s_or_b32 exec_lo, exec_lo, s15
.LBB357_3396:                           ;   in Loop: Header=BB357_2093 Depth=1
	s_delay_alu instid0(SALU_CYCLE_1) | instskip(SKIP_3) | instid1(VALU_DEP_2)
	s_or_b32 exec_lo, exec_lo, s14
	v_dual_lshrrev_b32 v10, 16, v17 :: v_dual_mov_b32 v8, 0
	v_mov_b32_e32 v9, 0
	s_mov_b32 s14, exec_lo
	v_and_b32_e32 v11, 0xff, v10
	s_delay_alu instid0(VALU_DEP_1)
	v_cmpx_ne_u16_e32 0, v11
	s_cbranch_execz .LBB357_3404
; %bb.3397:                             ;   in Loop: Header=BB357_2093 Depth=1
	v_bfrev_b32_e32 v9, 1
	s_mov_b32 s15, exec_lo
	v_cmpx_ne_u16_e32 0x80, v11
	s_cbranch_execz .LBB357_3403
; %bb.3398:                             ;   in Loop: Header=BB357_2093 Depth=1
	v_bfe_u32 v11, v17, 16, 7
	v_mov_b32_e32 v9, 0x7f800001
	s_mov_b32 s16, exec_lo
	s_delay_alu instid0(VALU_DEP_2)
	v_cmpx_ne_u32_e32 0x7f, v11
	s_cbranch_execz .LBB357_3402
; %bb.3399:                             ;   in Loop: Header=BB357_2093 Depth=1
	v_dual_lshrrev_b32 v9, 3, v11 :: v_dual_bitop2_b32 v68, 7, v10 bitop3:0x40
	s_mov_b32 s17, exec_lo
	s_delay_alu instid0(VALU_DEP_1)
	v_mov_b64_e32 v[22:23], v[68:69]
	v_cmpx_gt_u32_e32 8, v11
; %bb.3400:                             ;   in Loop: Header=BB357_2093 Depth=1
	v_clz_i32_u32_e32 v9, v68
	s_delay_alu instid0(VALU_DEP_1) | instskip(NEXT) | instid1(VALU_DEP_1)
	v_min_u32_e32 v9, 32, v9
	v_subrev_nc_u32_e32 v11, 28, v9
	s_delay_alu instid0(VALU_DEP_1) | instskip(NEXT) | instid1(VALU_DEP_1)
	v_lshlrev_b64_e32 v[12:13], v11, v[68:69]
	v_dual_sub_nc_u32 v9, 29, v9 :: v_dual_bitop2_b32 v22, 7, v12 bitop3:0x40
; %bb.3401:                             ;   in Loop: Header=BB357_2093 Depth=1
	s_or_b32 exec_lo, exec_lo, s17
	v_lshlrev_b32_e32 v10, 24, v10
	s_delay_alu instid0(VALU_DEP_2) | instskip(NEXT) | instid1(VALU_DEP_3)
	v_lshlrev_b32_e32 v11, 20, v22
	v_lshl_add_u32 v9, v9, 23, 0x3c000000
	s_delay_alu instid0(VALU_DEP_3) | instskip(NEXT) | instid1(VALU_DEP_1)
	v_and_b32_e32 v10, 0x80000000, v10
	v_or3_b32 v9, v11, v10, v9
.LBB357_3402:                           ;   in Loop: Header=BB357_2093 Depth=1
	s_or_b32 exec_lo, exec_lo, s16
.LBB357_3403:                           ;   in Loop: Header=BB357_2093 Depth=1
	s_delay_alu instid0(SALU_CYCLE_1)
	s_or_b32 exec_lo, exec_lo, s15
.LBB357_3404:                           ;   in Loop: Header=BB357_2093 Depth=1
	s_delay_alu instid0(SALU_CYCLE_1) | instskip(NEXT) | instid1(SALU_CYCLE_1)
	s_or_b32 exec_lo, exec_lo, s14
	s_mov_b32 s14, exec_lo
	v_cmpx_lt_u64_e64 s[2:3], v[16:17]
	s_cbranch_execz .LBB357_3412
; %bb.3405:                             ;   in Loop: Header=BB357_2093 Depth=1
	v_lshrrev_b32_e32 v10, 24, v17
	v_bfrev_b32_e32 v8, 1
	s_mov_b32 s15, exec_lo
	s_delay_alu instid0(VALU_DEP_2)
	v_cmpx_ne_u32_e32 0x80, v10
	s_cbranch_execz .LBB357_3411
; %bb.3406:                             ;   in Loop: Header=BB357_2093 Depth=1
	v_bfe_u32 v11, v17, 24, 7
	v_mov_b32_e32 v8, 0x7f800001
	s_mov_b32 s16, exec_lo
	s_delay_alu instid0(VALU_DEP_2)
	v_cmpx_ne_u32_e32 0x7f, v11
	s_cbranch_execz .LBB357_3410
; %bb.3407:                             ;   in Loop: Header=BB357_2093 Depth=1
	v_dual_lshrrev_b32 v8, 3, v11 :: v_dual_bitop2_b32 v68, 7, v10 bitop3:0x40
	s_mov_b32 s17, exec_lo
	s_delay_alu instid0(VALU_DEP_1)
	v_mov_b64_e32 v[16:17], v[68:69]
	v_cmpx_gt_u32_e32 8, v11
; %bb.3408:                             ;   in Loop: Header=BB357_2093 Depth=1
	v_clz_i32_u32_e32 v8, v68
	s_delay_alu instid0(VALU_DEP_1) | instskip(NEXT) | instid1(VALU_DEP_1)
	v_min_u32_e32 v8, 32, v8
	v_subrev_nc_u32_e32 v11, 28, v8
	v_sub_nc_u32_e32 v8, 29, v8
	s_delay_alu instid0(VALU_DEP_2) | instskip(NEXT) | instid1(VALU_DEP_1)
	v_lshlrev_b64_e32 v[12:13], v11, v[68:69]
	v_and_b32_e32 v16, 7, v12
; %bb.3409:                             ;   in Loop: Header=BB357_2093 Depth=1
	s_or_b32 exec_lo, exec_lo, s17
	s_delay_alu instid0(VALU_DEP_1) | instskip(SKIP_1) | instid1(VALU_DEP_2)
	v_dual_lshlrev_b32 v10, 24, v10 :: v_dual_lshlrev_b32 v11, 20, v16
	v_lshl_add_u32 v8, v8, 23, 0x3c000000
	v_and_b32_e32 v10, 0x80000000, v10
	s_delay_alu instid0(VALU_DEP_1)
	v_or3_b32 v8, v11, v10, v8
.LBB357_3410:                           ;   in Loop: Header=BB357_2093 Depth=1
	s_or_b32 exec_lo, exec_lo, s16
.LBB357_3411:                           ;   in Loop: Header=BB357_2093 Depth=1
	s_delay_alu instid0(SALU_CYCLE_1)
	s_or_b32 exec_lo, exec_lo, s15
.LBB357_3412:                           ;   in Loop: Header=BB357_2093 Depth=1
	s_delay_alu instid0(SALU_CYCLE_1)
	s_or_b32 exec_lo, exec_lo, s14
	v_fma_mixlo_bf16 v82, v75, v7, 0
	v_fma_mixlo_bf16 v96, v75, v6, 0
	;; [unrolled: 1-line block ×8, first 2 shown]
	s_and_saveexec_b32 s14, vcc_lo
	s_cbranch_execz .LBB357_3414
; %bb.3413:                             ;   in Loop: Header=BB357_2093 Depth=1
	v_cmp_lt_i32_e64 s0, v74, v42
	s_delay_alu instid0(VALU_DEP_1) | instskip(SKIP_1) | instid1(VALU_DEP_1)
	v_cndmask_b32_e64 v47, 0, v47, s0
	v_cmp_lt_i32_e64 s0, v106, v42
	v_cndmask_b32_e64 v56, 0, v56, s0
	v_cmp_lt_i32_e64 s0, v105, v42
	s_delay_alu instid0(VALU_DEP_1) | instskip(SKIP_1) | instid1(VALU_DEP_1)
	v_cndmask_b32_e64 v45, 0, v45, s0
	v_cmp_lt_i32_e64 s0, v104, v42
	v_cndmask_b32_e64 v58, 0, v58, s0
	;; [unrolled: 5-line block ×4, first 2 shown]
.LBB357_3414:                           ;   in Loop: Header=BB357_2093 Depth=1
	s_or_b32 exec_lo, exec_lo, s14
	flat_load_b64 v[16:17], v[18:19] offset:5120
	v_dual_mov_b32 v3, 0 :: v_dual_mov_b32 v2, 0
	s_mov_b32 s14, exec_lo
	s_wait_loadcnt_dscnt 0x0
	v_and_b32_e32 v4, 0xff, v16
	s_wait_xcnt 0x0
	s_delay_alu instid0(VALU_DEP_1)
	v_cmpx_ne_u16_e32 0, v4
	s_cbranch_execz .LBB357_3422
; %bb.3415:                             ;   in Loop: Header=BB357_2093 Depth=1
	v_bfrev_b32_e32 v2, 1
	s_mov_b32 s15, exec_lo
	v_cmpx_ne_u16_e32 0x80, v4
	s_cbranch_execz .LBB357_3421
; %bb.3416:                             ;   in Loop: Header=BB357_2093 Depth=1
	v_and_b32_e32 v4, 0x7f, v16
	v_mov_b32_e32 v2, 0x7f800001
	s_mov_b32 s16, exec_lo
	s_delay_alu instid0(VALU_DEP_2)
	v_cmpx_ne_u32_e32 0x7f, v4
	s_cbranch_execz .LBB357_3420
; %bb.3417:                             ;   in Loop: Header=BB357_2093 Depth=1
	v_mov_b64_e32 v[22:23], v[16:17]
	v_lshrrev_b32_e32 v2, 3, v4
	s_mov_b32 s17, exec_lo
	v_cmpx_gt_u32_e32 8, v4
; %bb.3418:                             ;   in Loop: Header=BB357_2093 Depth=1
	v_and_b32_e32 v2, 7, v16
	s_delay_alu instid0(VALU_DEP_1) | instskip(NEXT) | instid1(VALU_DEP_1)
	v_clz_i32_u32_e32 v2, v2
	v_min_u32_e32 v2, 32, v2
	s_delay_alu instid0(VALU_DEP_1) | instskip(SKIP_1) | instid1(VALU_DEP_2)
	v_subrev_nc_u32_e32 v4, 28, v2
	v_sub_nc_u32_e32 v2, 29, v2
	v_lshlrev_b64_e32 v[22:23], v4, v[16:17]
; %bb.3419:                             ;   in Loop: Header=BB357_2093 Depth=1
	s_or_b32 exec_lo, exec_lo, s17
	s_delay_alu instid0(VALU_DEP_1) | instskip(NEXT) | instid1(VALU_DEP_3)
	v_dual_lshlrev_b32 v4, 20, v22 :: v_dual_lshlrev_b32 v5, 24, v16
	v_lshl_add_u32 v2, v2, 23, 0x3c000000
	s_delay_alu instid0(VALU_DEP_2) | instskip(NEXT) | instid1(VALU_DEP_3)
	v_and_b32_e32 v4, 0x700000, v4
	v_and_b32_e32 v5, 0x80000000, v5
	s_delay_alu instid0(VALU_DEP_1)
	v_or3_b32 v2, v4, v5, v2
.LBB357_3420:                           ;   in Loop: Header=BB357_2093 Depth=1
	s_or_b32 exec_lo, exec_lo, s16
.LBB357_3421:                           ;   in Loop: Header=BB357_2093 Depth=1
	s_delay_alu instid0(SALU_CYCLE_1)
	s_or_b32 exec_lo, exec_lo, s15
.LBB357_3422:                           ;   in Loop: Header=BB357_2093 Depth=1
	s_delay_alu instid0(SALU_CYCLE_1) | instskip(SKIP_2) | instid1(VALU_DEP_1)
	s_or_b32 exec_lo, exec_lo, s14
	v_lshrrev_b16 v4, 8, v16
	s_mov_b32 s14, exec_lo
	v_cmpx_ne_u16_e32 0, v4
	s_cbranch_execz .LBB357_3430
; %bb.3423:                             ;   in Loop: Header=BB357_2093 Depth=1
	v_bfrev_b32_e32 v3, 1
	s_mov_b32 s15, exec_lo
	v_cmpx_ne_u16_e32 0x80, v4
	s_cbranch_execz .LBB357_3429
; %bb.3424:                             ;   in Loop: Header=BB357_2093 Depth=1
	v_and_b32_e32 v5, 0xffff, v4
	v_mov_b32_e32 v3, 0x7f800001
	s_mov_b32 s16, exec_lo
	s_delay_alu instid0(VALU_DEP_2) | instskip(NEXT) | instid1(VALU_DEP_1)
	v_and_b32_e32 v4, 0x7f, v5
	v_cmpx_ne_u32_e32 0x7f, v4
	s_cbranch_execz .LBB357_3428
; %bb.3425:                             ;   in Loop: Header=BB357_2093 Depth=1
	v_dual_lshrrev_b32 v3, 3, v4 :: v_dual_bitop2_b32 v68, 7, v5 bitop3:0x40
	s_mov_b32 s17, exec_lo
	s_delay_alu instid0(VALU_DEP_1)
	v_mov_b64_e32 v[22:23], v[68:69]
	v_cmpx_gt_u32_e32 8, v4
; %bb.3426:                             ;   in Loop: Header=BB357_2093 Depth=1
	v_clz_i32_u32_e32 v3, v68
	s_delay_alu instid0(VALU_DEP_1) | instskip(NEXT) | instid1(VALU_DEP_1)
	v_min_u32_e32 v3, 32, v3
	v_subrev_nc_u32_e32 v4, 28, v3
	s_delay_alu instid0(VALU_DEP_1) | instskip(NEXT) | instid1(VALU_DEP_1)
	v_lshlrev_b64_e32 v[4:5], v4, v[68:69]
	v_dual_sub_nc_u32 v3, 29, v3 :: v_dual_bitop2_b32 v22, 7, v4 bitop3:0x40
; %bb.3427:                             ;   in Loop: Header=BB357_2093 Depth=1
	s_or_b32 exec_lo, exec_lo, s17
	s_delay_alu instid0(VALU_DEP_1) | instskip(NEXT) | instid1(VALU_DEP_2)
	v_dual_lshlrev_b32 v4, 16, v16 :: v_dual_lshlrev_b32 v5, 20, v22
	v_lshl_add_u32 v3, v3, 23, 0x3c000000
	s_delay_alu instid0(VALU_DEP_2) | instskip(NEXT) | instid1(VALU_DEP_1)
	v_and_b32_e32 v4, 0x80000000, v4
	v_or3_b32 v3, v5, v4, v3
.LBB357_3428:                           ;   in Loop: Header=BB357_2093 Depth=1
	s_or_b32 exec_lo, exec_lo, s16
.LBB357_3429:                           ;   in Loop: Header=BB357_2093 Depth=1
	s_delay_alu instid0(SALU_CYCLE_1)
	s_or_b32 exec_lo, exec_lo, s15
.LBB357_3430:                           ;   in Loop: Header=BB357_2093 Depth=1
	s_delay_alu instid0(SALU_CYCLE_1) | instskip(SKIP_3) | instid1(VALU_DEP_2)
	s_or_b32 exec_lo, exec_lo, s14
	v_dual_mov_b32 v5, 0 :: v_dual_lshrrev_b32 v6, 16, v16
	v_mov_b32_e32 v4, 0
	s_mov_b32 s14, exec_lo
	v_and_b32_e32 v7, 0xff, v6
	s_delay_alu instid0(VALU_DEP_1)
	v_cmpx_ne_u16_e32 0, v7
	s_cbranch_execz .LBB357_3438
; %bb.3431:                             ;   in Loop: Header=BB357_2093 Depth=1
	v_bfrev_b32_e32 v4, 1
	s_mov_b32 s15, exec_lo
	v_cmpx_ne_u16_e32 0x80, v7
	s_cbranch_execz .LBB357_3437
; %bb.3432:                             ;   in Loop: Header=BB357_2093 Depth=1
	v_bfe_u32 v7, v16, 16, 7
	v_mov_b32_e32 v4, 0x7f800001
	s_mov_b32 s16, exec_lo
	s_delay_alu instid0(VALU_DEP_2)
	v_cmpx_ne_u32_e32 0x7f, v7
	s_cbranch_execz .LBB357_3436
; %bb.3433:                             ;   in Loop: Header=BB357_2093 Depth=1
	v_dual_lshrrev_b32 v4, 3, v7 :: v_dual_bitop2_b32 v68, 7, v6 bitop3:0x40
	s_mov_b32 s17, exec_lo
	s_delay_alu instid0(VALU_DEP_1)
	v_mov_b64_e32 v[22:23], v[68:69]
	v_cmpx_gt_u32_e32 8, v7
; %bb.3434:                             ;   in Loop: Header=BB357_2093 Depth=1
	v_clz_i32_u32_e32 v4, v68
	s_delay_alu instid0(VALU_DEP_1) | instskip(NEXT) | instid1(VALU_DEP_1)
	v_min_u32_e32 v4, 32, v4
	v_subrev_nc_u32_e32 v7, 28, v4
	v_sub_nc_u32_e32 v4, 29, v4
	s_delay_alu instid0(VALU_DEP_2) | instskip(NEXT) | instid1(VALU_DEP_1)
	v_lshlrev_b64_e32 v[8:9], v7, v[68:69]
	v_and_b32_e32 v22, 7, v8
; %bb.3435:                             ;   in Loop: Header=BB357_2093 Depth=1
	s_or_b32 exec_lo, exec_lo, s17
	v_lshlrev_b32_e32 v6, 24, v6
	s_delay_alu instid0(VALU_DEP_2) | instskip(SKIP_1) | instid1(VALU_DEP_3)
	v_lshlrev_b32_e32 v7, 20, v22
	v_lshl_add_u32 v4, v4, 23, 0x3c000000
	v_and_b32_e32 v6, 0x80000000, v6
	s_delay_alu instid0(VALU_DEP_1)
	v_or3_b32 v4, v7, v6, v4
.LBB357_3436:                           ;   in Loop: Header=BB357_2093 Depth=1
	s_or_b32 exec_lo, exec_lo, s16
.LBB357_3437:                           ;   in Loop: Header=BB357_2093 Depth=1
	s_delay_alu instid0(SALU_CYCLE_1)
	s_or_b32 exec_lo, exec_lo, s15
.LBB357_3438:                           ;   in Loop: Header=BB357_2093 Depth=1
	s_delay_alu instid0(SALU_CYCLE_1) | instskip(NEXT) | instid1(SALU_CYCLE_1)
	s_or_b32 exec_lo, exec_lo, s14
	s_mov_b32 s14, exec_lo
	v_cmpx_lt_u32_e32 0xffffff, v16
	s_cbranch_execz .LBB357_3446
; %bb.3439:                             ;   in Loop: Header=BB357_2093 Depth=1
	v_lshrrev_b32_e32 v6, 24, v16
	v_bfrev_b32_e32 v5, 1
	s_mov_b32 s15, exec_lo
	s_delay_alu instid0(VALU_DEP_2)
	v_cmpx_ne_u32_e32 0x80, v6
	s_cbranch_execz .LBB357_3445
; %bb.3440:                             ;   in Loop: Header=BB357_2093 Depth=1
	v_bfe_u32 v7, v16, 24, 7
	v_mov_b32_e32 v5, 0x7f800001
	s_mov_b32 s16, exec_lo
	s_delay_alu instid0(VALU_DEP_2)
	v_cmpx_ne_u32_e32 0x7f, v7
	s_cbranch_execz .LBB357_3444
; %bb.3441:                             ;   in Loop: Header=BB357_2093 Depth=1
	v_dual_lshrrev_b32 v5, 3, v7 :: v_dual_bitop2_b32 v68, 7, v6 bitop3:0x40
	s_mov_b32 s17, exec_lo
	s_delay_alu instid0(VALU_DEP_1)
	v_mov_b64_e32 v[22:23], v[68:69]
	v_cmpx_gt_u32_e32 8, v7
; %bb.3442:                             ;   in Loop: Header=BB357_2093 Depth=1
	v_clz_i32_u32_e32 v5, v68
	s_delay_alu instid0(VALU_DEP_1) | instskip(NEXT) | instid1(VALU_DEP_1)
	v_min_u32_e32 v5, 32, v5
	v_subrev_nc_u32_e32 v7, 28, v5
	s_delay_alu instid0(VALU_DEP_1) | instskip(NEXT) | instid1(VALU_DEP_1)
	v_lshlrev_b64_e32 v[8:9], v7, v[68:69]
	v_dual_sub_nc_u32 v5, 29, v5 :: v_dual_bitop2_b32 v22, 7, v8 bitop3:0x40
; %bb.3443:                             ;   in Loop: Header=BB357_2093 Depth=1
	s_or_b32 exec_lo, exec_lo, s17
	v_lshlrev_b32_e32 v6, 24, v6
	s_delay_alu instid0(VALU_DEP_2) | instskip(NEXT) | instid1(VALU_DEP_3)
	v_lshlrev_b32_e32 v7, 20, v22
	v_lshl_add_u32 v5, v5, 23, 0x3c000000
	s_delay_alu instid0(VALU_DEP_3) | instskip(NEXT) | instid1(VALU_DEP_1)
	v_and_b32_e32 v6, 0x80000000, v6
	v_or3_b32 v5, v7, v6, v5
.LBB357_3444:                           ;   in Loop: Header=BB357_2093 Depth=1
	s_or_b32 exec_lo, exec_lo, s16
.LBB357_3445:                           ;   in Loop: Header=BB357_2093 Depth=1
	s_delay_alu instid0(SALU_CYCLE_1)
	s_or_b32 exec_lo, exec_lo, s15
.LBB357_3446:                           ;   in Loop: Header=BB357_2093 Depth=1
	s_delay_alu instid0(SALU_CYCLE_1) | instskip(SKIP_4) | instid1(VALU_DEP_3)
	s_or_b32 exec_lo, exec_lo, s14
	v_and_b32_e32 v8, 0xff, v17
	v_dual_mov_b32 v68, v17 :: v_dual_mov_b32 v7, 0
	v_mov_b32_e32 v6, 0
	s_mov_b32 s14, exec_lo
	v_cmpx_ne_u16_e32 0, v8
	s_cbranch_execz .LBB357_3454
; %bb.3447:                             ;   in Loop: Header=BB357_2093 Depth=1
	v_bfrev_b32_e32 v6, 1
	s_mov_b32 s15, exec_lo
	v_cmpx_ne_u16_e32 0x80, v8
	s_cbranch_execz .LBB357_3453
; %bb.3448:                             ;   in Loop: Header=BB357_2093 Depth=1
	v_and_b32_e32 v8, 0x7f, v17
	v_mov_b32_e32 v6, 0x7f800001
	s_mov_b32 s16, exec_lo
	s_delay_alu instid0(VALU_DEP_2)
	v_cmpx_ne_u32_e32 0x7f, v8
	s_cbranch_execz .LBB357_3452
; %bb.3449:                             ;   in Loop: Header=BB357_2093 Depth=1
	v_mov_b64_e32 v[22:23], v[68:69]
	v_lshrrev_b32_e32 v6, 3, v8
	s_mov_b32 s17, exec_lo
	v_cmpx_gt_u32_e32 8, v8
; %bb.3450:                             ;   in Loop: Header=BB357_2093 Depth=1
	v_and_b32_e32 v6, 7, v17
	s_delay_alu instid0(VALU_DEP_1) | instskip(NEXT) | instid1(VALU_DEP_1)
	v_clz_i32_u32_e32 v6, v6
	v_min_u32_e32 v6, 32, v6
	s_delay_alu instid0(VALU_DEP_1) | instskip(SKIP_1) | instid1(VALU_DEP_2)
	v_subrev_nc_u32_e32 v8, 28, v6
	v_sub_nc_u32_e32 v6, 29, v6
	v_lshlrev_b64_e32 v[22:23], v8, v[68:69]
; %bb.3451:                             ;   in Loop: Header=BB357_2093 Depth=1
	s_or_b32 exec_lo, exec_lo, s17
	s_delay_alu instid0(VALU_DEP_1) | instskip(NEXT) | instid1(VALU_DEP_3)
	v_dual_lshlrev_b32 v8, 20, v22 :: v_dual_lshlrev_b32 v9, 24, v68
	v_lshl_add_u32 v6, v6, 23, 0x3c000000
	s_delay_alu instid0(VALU_DEP_2) | instskip(NEXT) | instid1(VALU_DEP_3)
	v_and_b32_e32 v8, 0x700000, v8
	v_and_b32_e32 v9, 0x80000000, v9
	s_delay_alu instid0(VALU_DEP_1)
	v_or3_b32 v6, v8, v9, v6
.LBB357_3452:                           ;   in Loop: Header=BB357_2093 Depth=1
	s_or_b32 exec_lo, exec_lo, s16
.LBB357_3453:                           ;   in Loop: Header=BB357_2093 Depth=1
	s_delay_alu instid0(SALU_CYCLE_1)
	s_or_b32 exec_lo, exec_lo, s15
.LBB357_3454:                           ;   in Loop: Header=BB357_2093 Depth=1
	s_delay_alu instid0(SALU_CYCLE_1) | instskip(SKIP_2) | instid1(VALU_DEP_1)
	s_or_b32 exec_lo, exec_lo, s14
	v_lshrrev_b16 v8, 8, v68
	s_mov_b32 s14, exec_lo
	v_cmpx_ne_u16_e32 0, v8
	s_cbranch_execz .LBB357_3462
; %bb.3455:                             ;   in Loop: Header=BB357_2093 Depth=1
	v_bfrev_b32_e32 v7, 1
	s_mov_b32 s15, exec_lo
	v_cmpx_ne_u16_e32 0x80, v8
	s_cbranch_execz .LBB357_3461
; %bb.3456:                             ;   in Loop: Header=BB357_2093 Depth=1
	v_and_b32_e32 v9, 0xffff, v8
	v_mov_b32_e32 v7, 0x7f800001
	s_mov_b32 s16, exec_lo
	s_delay_alu instid0(VALU_DEP_2) | instskip(NEXT) | instid1(VALU_DEP_1)
	v_and_b32_e32 v8, 0x7f, v9
	v_cmpx_ne_u32_e32 0x7f, v8
	s_cbranch_execz .LBB357_3460
; %bb.3457:                             ;   in Loop: Header=BB357_2093 Depth=1
	v_dual_mov_b32 v23, v69 :: v_dual_bitop2_b32 v22, 7, v9 bitop3:0x40
	v_lshrrev_b32_e32 v7, 3, v8
	s_mov_b32 s17, exec_lo
	v_cmpx_gt_u32_e32 8, v8
; %bb.3458:                             ;   in Loop: Header=BB357_2093 Depth=1
	s_delay_alu instid0(VALU_DEP_3) | instskip(NEXT) | instid1(VALU_DEP_1)
	v_clz_i32_u32_e32 v7, v22
	v_min_u32_e32 v7, 32, v7
	s_delay_alu instid0(VALU_DEP_1) | instskip(NEXT) | instid1(VALU_DEP_1)
	v_subrev_nc_u32_e32 v8, 28, v7
	v_lshlrev_b64_e32 v[8:9], v8, v[22:23]
	s_delay_alu instid0(VALU_DEP_1)
	v_dual_sub_nc_u32 v7, 29, v7 :: v_dual_bitop2_b32 v22, 7, v8 bitop3:0x40
; %bb.3459:                             ;   in Loop: Header=BB357_2093 Depth=1
	s_or_b32 exec_lo, exec_lo, s17
	s_delay_alu instid0(VALU_DEP_1) | instskip(NEXT) | instid1(VALU_DEP_2)
	v_dual_lshlrev_b32 v8, 16, v68 :: v_dual_lshlrev_b32 v9, 20, v22
	v_lshl_add_u32 v7, v7, 23, 0x3c000000
	s_delay_alu instid0(VALU_DEP_2) | instskip(NEXT) | instid1(VALU_DEP_1)
	v_and_b32_e32 v8, 0x80000000, v8
	v_or3_b32 v7, v9, v8, v7
.LBB357_3460:                           ;   in Loop: Header=BB357_2093 Depth=1
	s_or_b32 exec_lo, exec_lo, s16
.LBB357_3461:                           ;   in Loop: Header=BB357_2093 Depth=1
	s_delay_alu instid0(SALU_CYCLE_1)
	s_or_b32 exec_lo, exec_lo, s15
.LBB357_3462:                           ;   in Loop: Header=BB357_2093 Depth=1
	s_delay_alu instid0(SALU_CYCLE_1) | instskip(SKIP_3) | instid1(VALU_DEP_2)
	s_or_b32 exec_lo, exec_lo, s14
	v_dual_lshrrev_b32 v10, 16, v17 :: v_dual_mov_b32 v8, 0
	v_mov_b32_e32 v9, 0
	s_mov_b32 s14, exec_lo
	v_and_b32_e32 v11, 0xff, v10
	s_delay_alu instid0(VALU_DEP_1)
	v_cmpx_ne_u16_e32 0, v11
	s_cbranch_execz .LBB357_3470
; %bb.3463:                             ;   in Loop: Header=BB357_2093 Depth=1
	v_bfrev_b32_e32 v9, 1
	s_mov_b32 s15, exec_lo
	v_cmpx_ne_u16_e32 0x80, v11
	s_cbranch_execz .LBB357_3469
; %bb.3464:                             ;   in Loop: Header=BB357_2093 Depth=1
	v_bfe_u32 v11, v17, 16, 7
	v_mov_b32_e32 v9, 0x7f800001
	s_mov_b32 s16, exec_lo
	s_delay_alu instid0(VALU_DEP_2)
	v_cmpx_ne_u32_e32 0x7f, v11
	s_cbranch_execz .LBB357_3468
; %bb.3465:                             ;   in Loop: Header=BB357_2093 Depth=1
	v_dual_lshrrev_b32 v9, 3, v11 :: v_dual_bitop2_b32 v68, 7, v10 bitop3:0x40
	s_mov_b32 s17, exec_lo
	s_delay_alu instid0(VALU_DEP_1)
	v_mov_b64_e32 v[22:23], v[68:69]
	v_cmpx_gt_u32_e32 8, v11
; %bb.3466:                             ;   in Loop: Header=BB357_2093 Depth=1
	v_clz_i32_u32_e32 v9, v68
	s_delay_alu instid0(VALU_DEP_1) | instskip(NEXT) | instid1(VALU_DEP_1)
	v_min_u32_e32 v9, 32, v9
	v_subrev_nc_u32_e32 v11, 28, v9
	s_delay_alu instid0(VALU_DEP_1) | instskip(NEXT) | instid1(VALU_DEP_1)
	v_lshlrev_b64_e32 v[12:13], v11, v[68:69]
	v_dual_sub_nc_u32 v9, 29, v9 :: v_dual_bitop2_b32 v22, 7, v12 bitop3:0x40
; %bb.3467:                             ;   in Loop: Header=BB357_2093 Depth=1
	s_or_b32 exec_lo, exec_lo, s17
	v_lshlrev_b32_e32 v10, 24, v10
	s_delay_alu instid0(VALU_DEP_2) | instskip(NEXT) | instid1(VALU_DEP_3)
	v_lshlrev_b32_e32 v11, 20, v22
	v_lshl_add_u32 v9, v9, 23, 0x3c000000
	s_delay_alu instid0(VALU_DEP_3) | instskip(NEXT) | instid1(VALU_DEP_1)
	v_and_b32_e32 v10, 0x80000000, v10
	v_or3_b32 v9, v11, v10, v9
.LBB357_3468:                           ;   in Loop: Header=BB357_2093 Depth=1
	s_or_b32 exec_lo, exec_lo, s16
.LBB357_3469:                           ;   in Loop: Header=BB357_2093 Depth=1
	s_delay_alu instid0(SALU_CYCLE_1)
	s_or_b32 exec_lo, exec_lo, s15
.LBB357_3470:                           ;   in Loop: Header=BB357_2093 Depth=1
	s_delay_alu instid0(SALU_CYCLE_1) | instskip(NEXT) | instid1(SALU_CYCLE_1)
	s_or_b32 exec_lo, exec_lo, s14
	s_mov_b32 s14, exec_lo
	v_cmpx_lt_u64_e64 s[2:3], v[16:17]
	s_cbranch_execz .LBB357_3478
; %bb.3471:                             ;   in Loop: Header=BB357_2093 Depth=1
	v_lshrrev_b32_e32 v10, 24, v17
	v_bfrev_b32_e32 v8, 1
	s_mov_b32 s15, exec_lo
	s_delay_alu instid0(VALU_DEP_2)
	v_cmpx_ne_u32_e32 0x80, v10
	s_cbranch_execz .LBB357_3477
; %bb.3472:                             ;   in Loop: Header=BB357_2093 Depth=1
	v_bfe_u32 v11, v17, 24, 7
	v_mov_b32_e32 v8, 0x7f800001
	s_mov_b32 s16, exec_lo
	s_delay_alu instid0(VALU_DEP_2)
	v_cmpx_ne_u32_e32 0x7f, v11
	s_cbranch_execz .LBB357_3476
; %bb.3473:                             ;   in Loop: Header=BB357_2093 Depth=1
	v_dual_lshrrev_b32 v8, 3, v11 :: v_dual_bitop2_b32 v68, 7, v10 bitop3:0x40
	s_mov_b32 s17, exec_lo
	s_delay_alu instid0(VALU_DEP_1)
	v_mov_b64_e32 v[16:17], v[68:69]
	v_cmpx_gt_u32_e32 8, v11
; %bb.3474:                             ;   in Loop: Header=BB357_2093 Depth=1
	v_clz_i32_u32_e32 v8, v68
	s_delay_alu instid0(VALU_DEP_1) | instskip(NEXT) | instid1(VALU_DEP_1)
	v_min_u32_e32 v8, 32, v8
	v_subrev_nc_u32_e32 v11, 28, v8
	v_sub_nc_u32_e32 v8, 29, v8
	s_delay_alu instid0(VALU_DEP_2) | instskip(NEXT) | instid1(VALU_DEP_1)
	v_lshlrev_b64_e32 v[12:13], v11, v[68:69]
	v_and_b32_e32 v16, 7, v12
; %bb.3475:                             ;   in Loop: Header=BB357_2093 Depth=1
	s_or_b32 exec_lo, exec_lo, s17
	s_delay_alu instid0(VALU_DEP_1) | instskip(SKIP_1) | instid1(VALU_DEP_2)
	v_dual_lshlrev_b32 v10, 24, v10 :: v_dual_lshlrev_b32 v11, 20, v16
	v_lshl_add_u32 v8, v8, 23, 0x3c000000
	v_and_b32_e32 v10, 0x80000000, v10
	s_delay_alu instid0(VALU_DEP_1)
	v_or3_b32 v8, v11, v10, v8
.LBB357_3476:                           ;   in Loop: Header=BB357_2093 Depth=1
	s_or_b32 exec_lo, exec_lo, s16
.LBB357_3477:                           ;   in Loop: Header=BB357_2093 Depth=1
	s_delay_alu instid0(SALU_CYCLE_1)
	s_or_b32 exec_lo, exec_lo, s15
.LBB357_3478:                           ;   in Loop: Header=BB357_2093 Depth=1
	s_delay_alu instid0(SALU_CYCLE_1)
	s_or_b32 exec_lo, exec_lo, s14
	v_fma_mixlo_bf16 v110, v75, v7, 0
	v_fma_mixlo_bf16 v57, v75, v6, 0
	;; [unrolled: 1-line block ×8, first 2 shown]
	s_and_saveexec_b32 s14, vcc_lo
	s_cbranch_execz .LBB357_3480
; %bb.3479:                             ;   in Loop: Header=BB357_2093 Depth=1
	v_cmp_lt_i32_e64 s0, v74, v42
	s_delay_alu instid0(VALU_DEP_1) | instskip(SKIP_1) | instid1(VALU_DEP_1)
	v_cndmask_b32_e64 v63, 0, v63, s0
	v_cmp_lt_i32_e64 s0, v106, v42
	v_cndmask_b32_e64 v62, 0, v62, s0
	v_cmp_lt_i32_e64 s0, v105, v42
	s_delay_alu instid0(VALU_DEP_1) | instskip(SKIP_1) | instid1(VALU_DEP_1)
	v_cndmask_b32_e64 v61, 0, v61, s0
	v_cmp_lt_i32_e64 s0, v104, v42
	v_cndmask_b32_e64 v59, 0, v59, s0
	;; [unrolled: 5-line block ×4, first 2 shown]
.LBB357_3480:                           ;   in Loop: Header=BB357_2093 Depth=1
	s_or_b32 exec_lo, exec_lo, s14
	flat_load_b64 v[16:17], v[18:19] offset:5376
	v_dual_mov_b32 v3, 0 :: v_dual_mov_b32 v2, 0
	s_mov_b32 s14, exec_lo
	s_wait_loadcnt_dscnt 0x0
	v_and_b32_e32 v4, 0xff, v16
	s_wait_xcnt 0x0
	s_delay_alu instid0(VALU_DEP_1)
	v_cmpx_ne_u16_e32 0, v4
	s_cbranch_execz .LBB357_3488
; %bb.3481:                             ;   in Loop: Header=BB357_2093 Depth=1
	v_bfrev_b32_e32 v2, 1
	s_mov_b32 s15, exec_lo
	v_cmpx_ne_u16_e32 0x80, v4
	s_cbranch_execz .LBB357_3487
; %bb.3482:                             ;   in Loop: Header=BB357_2093 Depth=1
	v_and_b32_e32 v4, 0x7f, v16
	v_mov_b32_e32 v2, 0x7f800001
	s_mov_b32 s16, exec_lo
	s_delay_alu instid0(VALU_DEP_2)
	v_cmpx_ne_u32_e32 0x7f, v4
	s_cbranch_execz .LBB357_3486
; %bb.3483:                             ;   in Loop: Header=BB357_2093 Depth=1
	v_mov_b64_e32 v[22:23], v[16:17]
	v_lshrrev_b32_e32 v2, 3, v4
	s_mov_b32 s17, exec_lo
	v_cmpx_gt_u32_e32 8, v4
; %bb.3484:                             ;   in Loop: Header=BB357_2093 Depth=1
	v_and_b32_e32 v2, 7, v16
	s_delay_alu instid0(VALU_DEP_1) | instskip(NEXT) | instid1(VALU_DEP_1)
	v_clz_i32_u32_e32 v2, v2
	v_min_u32_e32 v2, 32, v2
	s_delay_alu instid0(VALU_DEP_1) | instskip(SKIP_1) | instid1(VALU_DEP_2)
	v_subrev_nc_u32_e32 v4, 28, v2
	v_sub_nc_u32_e32 v2, 29, v2
	v_lshlrev_b64_e32 v[22:23], v4, v[16:17]
; %bb.3485:                             ;   in Loop: Header=BB357_2093 Depth=1
	s_or_b32 exec_lo, exec_lo, s17
	s_delay_alu instid0(VALU_DEP_1) | instskip(NEXT) | instid1(VALU_DEP_3)
	v_dual_lshlrev_b32 v4, 20, v22 :: v_dual_lshlrev_b32 v5, 24, v16
	v_lshl_add_u32 v2, v2, 23, 0x3c000000
	s_delay_alu instid0(VALU_DEP_2) | instskip(NEXT) | instid1(VALU_DEP_3)
	v_and_b32_e32 v4, 0x700000, v4
	v_and_b32_e32 v5, 0x80000000, v5
	s_delay_alu instid0(VALU_DEP_1)
	v_or3_b32 v2, v4, v5, v2
.LBB357_3486:                           ;   in Loop: Header=BB357_2093 Depth=1
	s_or_b32 exec_lo, exec_lo, s16
.LBB357_3487:                           ;   in Loop: Header=BB357_2093 Depth=1
	s_delay_alu instid0(SALU_CYCLE_1)
	s_or_b32 exec_lo, exec_lo, s15
.LBB357_3488:                           ;   in Loop: Header=BB357_2093 Depth=1
	s_delay_alu instid0(SALU_CYCLE_1) | instskip(SKIP_2) | instid1(VALU_DEP_1)
	s_or_b32 exec_lo, exec_lo, s14
	v_lshrrev_b16 v4, 8, v16
	s_mov_b32 s14, exec_lo
	v_cmpx_ne_u16_e32 0, v4
	s_cbranch_execz .LBB357_3496
; %bb.3489:                             ;   in Loop: Header=BB357_2093 Depth=1
	v_bfrev_b32_e32 v3, 1
	s_mov_b32 s15, exec_lo
	v_cmpx_ne_u16_e32 0x80, v4
	s_cbranch_execz .LBB357_3495
; %bb.3490:                             ;   in Loop: Header=BB357_2093 Depth=1
	v_and_b32_e32 v5, 0xffff, v4
	v_mov_b32_e32 v3, 0x7f800001
	s_mov_b32 s16, exec_lo
	s_delay_alu instid0(VALU_DEP_2) | instskip(NEXT) | instid1(VALU_DEP_1)
	v_and_b32_e32 v4, 0x7f, v5
	v_cmpx_ne_u32_e32 0x7f, v4
	s_cbranch_execz .LBB357_3494
; %bb.3491:                             ;   in Loop: Header=BB357_2093 Depth=1
	v_dual_lshrrev_b32 v3, 3, v4 :: v_dual_bitop2_b32 v68, 7, v5 bitop3:0x40
	s_mov_b32 s17, exec_lo
	s_delay_alu instid0(VALU_DEP_1)
	v_mov_b64_e32 v[22:23], v[68:69]
	v_cmpx_gt_u32_e32 8, v4
; %bb.3492:                             ;   in Loop: Header=BB357_2093 Depth=1
	v_clz_i32_u32_e32 v3, v68
	s_delay_alu instid0(VALU_DEP_1) | instskip(NEXT) | instid1(VALU_DEP_1)
	v_min_u32_e32 v3, 32, v3
	v_subrev_nc_u32_e32 v4, 28, v3
	s_delay_alu instid0(VALU_DEP_1) | instskip(NEXT) | instid1(VALU_DEP_1)
	v_lshlrev_b64_e32 v[4:5], v4, v[68:69]
	v_dual_sub_nc_u32 v3, 29, v3 :: v_dual_bitop2_b32 v22, 7, v4 bitop3:0x40
; %bb.3493:                             ;   in Loop: Header=BB357_2093 Depth=1
	s_or_b32 exec_lo, exec_lo, s17
	s_delay_alu instid0(VALU_DEP_1) | instskip(NEXT) | instid1(VALU_DEP_2)
	v_dual_lshlrev_b32 v4, 16, v16 :: v_dual_lshlrev_b32 v5, 20, v22
	v_lshl_add_u32 v3, v3, 23, 0x3c000000
	s_delay_alu instid0(VALU_DEP_2) | instskip(NEXT) | instid1(VALU_DEP_1)
	v_and_b32_e32 v4, 0x80000000, v4
	v_or3_b32 v3, v5, v4, v3
.LBB357_3494:                           ;   in Loop: Header=BB357_2093 Depth=1
	s_or_b32 exec_lo, exec_lo, s16
.LBB357_3495:                           ;   in Loop: Header=BB357_2093 Depth=1
	s_delay_alu instid0(SALU_CYCLE_1)
	s_or_b32 exec_lo, exec_lo, s15
.LBB357_3496:                           ;   in Loop: Header=BB357_2093 Depth=1
	s_delay_alu instid0(SALU_CYCLE_1) | instskip(SKIP_3) | instid1(VALU_DEP_2)
	s_or_b32 exec_lo, exec_lo, s14
	v_dual_mov_b32 v5, 0 :: v_dual_lshrrev_b32 v6, 16, v16
	v_mov_b32_e32 v4, 0
	s_mov_b32 s14, exec_lo
	v_and_b32_e32 v7, 0xff, v6
	s_delay_alu instid0(VALU_DEP_1)
	v_cmpx_ne_u16_e32 0, v7
	s_cbranch_execz .LBB357_3504
; %bb.3497:                             ;   in Loop: Header=BB357_2093 Depth=1
	v_bfrev_b32_e32 v4, 1
	s_mov_b32 s15, exec_lo
	v_cmpx_ne_u16_e32 0x80, v7
	s_cbranch_execz .LBB357_3503
; %bb.3498:                             ;   in Loop: Header=BB357_2093 Depth=1
	v_bfe_u32 v7, v16, 16, 7
	v_mov_b32_e32 v4, 0x7f800001
	s_mov_b32 s16, exec_lo
	s_delay_alu instid0(VALU_DEP_2)
	v_cmpx_ne_u32_e32 0x7f, v7
	s_cbranch_execz .LBB357_3502
; %bb.3499:                             ;   in Loop: Header=BB357_2093 Depth=1
	v_dual_lshrrev_b32 v4, 3, v7 :: v_dual_bitop2_b32 v68, 7, v6 bitop3:0x40
	s_mov_b32 s17, exec_lo
	s_delay_alu instid0(VALU_DEP_1)
	v_mov_b64_e32 v[22:23], v[68:69]
	v_cmpx_gt_u32_e32 8, v7
; %bb.3500:                             ;   in Loop: Header=BB357_2093 Depth=1
	v_clz_i32_u32_e32 v4, v68
	s_delay_alu instid0(VALU_DEP_1) | instskip(NEXT) | instid1(VALU_DEP_1)
	v_min_u32_e32 v4, 32, v4
	v_subrev_nc_u32_e32 v7, 28, v4
	v_sub_nc_u32_e32 v4, 29, v4
	s_delay_alu instid0(VALU_DEP_2) | instskip(NEXT) | instid1(VALU_DEP_1)
	v_lshlrev_b64_e32 v[8:9], v7, v[68:69]
	v_and_b32_e32 v22, 7, v8
; %bb.3501:                             ;   in Loop: Header=BB357_2093 Depth=1
	s_or_b32 exec_lo, exec_lo, s17
	v_lshlrev_b32_e32 v6, 24, v6
	s_delay_alu instid0(VALU_DEP_2) | instskip(SKIP_1) | instid1(VALU_DEP_3)
	v_lshlrev_b32_e32 v7, 20, v22
	v_lshl_add_u32 v4, v4, 23, 0x3c000000
	v_and_b32_e32 v6, 0x80000000, v6
	s_delay_alu instid0(VALU_DEP_1)
	v_or3_b32 v4, v7, v6, v4
.LBB357_3502:                           ;   in Loop: Header=BB357_2093 Depth=1
	s_or_b32 exec_lo, exec_lo, s16
.LBB357_3503:                           ;   in Loop: Header=BB357_2093 Depth=1
	s_delay_alu instid0(SALU_CYCLE_1)
	s_or_b32 exec_lo, exec_lo, s15
.LBB357_3504:                           ;   in Loop: Header=BB357_2093 Depth=1
	s_delay_alu instid0(SALU_CYCLE_1) | instskip(NEXT) | instid1(SALU_CYCLE_1)
	s_or_b32 exec_lo, exec_lo, s14
	s_mov_b32 s14, exec_lo
	v_cmpx_lt_u32_e32 0xffffff, v16
	s_cbranch_execz .LBB357_3512
; %bb.3505:                             ;   in Loop: Header=BB357_2093 Depth=1
	v_lshrrev_b32_e32 v6, 24, v16
	v_bfrev_b32_e32 v5, 1
	s_mov_b32 s15, exec_lo
	s_delay_alu instid0(VALU_DEP_2)
	v_cmpx_ne_u32_e32 0x80, v6
	s_cbranch_execz .LBB357_3511
; %bb.3506:                             ;   in Loop: Header=BB357_2093 Depth=1
	v_bfe_u32 v7, v16, 24, 7
	v_mov_b32_e32 v5, 0x7f800001
	s_mov_b32 s16, exec_lo
	s_delay_alu instid0(VALU_DEP_2)
	v_cmpx_ne_u32_e32 0x7f, v7
	s_cbranch_execz .LBB357_3510
; %bb.3507:                             ;   in Loop: Header=BB357_2093 Depth=1
	v_dual_lshrrev_b32 v5, 3, v7 :: v_dual_bitop2_b32 v68, 7, v6 bitop3:0x40
	s_mov_b32 s17, exec_lo
	s_delay_alu instid0(VALU_DEP_1)
	v_mov_b64_e32 v[22:23], v[68:69]
	v_cmpx_gt_u32_e32 8, v7
; %bb.3508:                             ;   in Loop: Header=BB357_2093 Depth=1
	v_clz_i32_u32_e32 v5, v68
	s_delay_alu instid0(VALU_DEP_1) | instskip(NEXT) | instid1(VALU_DEP_1)
	v_min_u32_e32 v5, 32, v5
	v_subrev_nc_u32_e32 v7, 28, v5
	s_delay_alu instid0(VALU_DEP_1) | instskip(NEXT) | instid1(VALU_DEP_1)
	v_lshlrev_b64_e32 v[8:9], v7, v[68:69]
	v_dual_sub_nc_u32 v5, 29, v5 :: v_dual_bitop2_b32 v22, 7, v8 bitop3:0x40
; %bb.3509:                             ;   in Loop: Header=BB357_2093 Depth=1
	s_or_b32 exec_lo, exec_lo, s17
	v_lshlrev_b32_e32 v6, 24, v6
	s_delay_alu instid0(VALU_DEP_2) | instskip(NEXT) | instid1(VALU_DEP_3)
	v_lshlrev_b32_e32 v7, 20, v22
	v_lshl_add_u32 v5, v5, 23, 0x3c000000
	s_delay_alu instid0(VALU_DEP_3) | instskip(NEXT) | instid1(VALU_DEP_1)
	v_and_b32_e32 v6, 0x80000000, v6
	v_or3_b32 v5, v7, v6, v5
.LBB357_3510:                           ;   in Loop: Header=BB357_2093 Depth=1
	s_or_b32 exec_lo, exec_lo, s16
.LBB357_3511:                           ;   in Loop: Header=BB357_2093 Depth=1
	s_delay_alu instid0(SALU_CYCLE_1)
	s_or_b32 exec_lo, exec_lo, s15
.LBB357_3512:                           ;   in Loop: Header=BB357_2093 Depth=1
	s_delay_alu instid0(SALU_CYCLE_1) | instskip(SKIP_4) | instid1(VALU_DEP_3)
	s_or_b32 exec_lo, exec_lo, s14
	v_and_b32_e32 v8, 0xff, v17
	v_dual_mov_b32 v68, v17 :: v_dual_mov_b32 v7, 0
	v_mov_b32_e32 v6, 0
	s_mov_b32 s14, exec_lo
	v_cmpx_ne_u16_e32 0, v8
	s_cbranch_execz .LBB357_3520
; %bb.3513:                             ;   in Loop: Header=BB357_2093 Depth=1
	v_bfrev_b32_e32 v6, 1
	s_mov_b32 s15, exec_lo
	v_cmpx_ne_u16_e32 0x80, v8
	s_cbranch_execz .LBB357_3519
; %bb.3514:                             ;   in Loop: Header=BB357_2093 Depth=1
	v_and_b32_e32 v8, 0x7f, v17
	v_mov_b32_e32 v6, 0x7f800001
	s_mov_b32 s16, exec_lo
	s_delay_alu instid0(VALU_DEP_2)
	v_cmpx_ne_u32_e32 0x7f, v8
	s_cbranch_execz .LBB357_3518
; %bb.3515:                             ;   in Loop: Header=BB357_2093 Depth=1
	v_mov_b64_e32 v[22:23], v[68:69]
	v_lshrrev_b32_e32 v6, 3, v8
	s_mov_b32 s17, exec_lo
	v_cmpx_gt_u32_e32 8, v8
; %bb.3516:                             ;   in Loop: Header=BB357_2093 Depth=1
	v_and_b32_e32 v6, 7, v17
	s_delay_alu instid0(VALU_DEP_1) | instskip(NEXT) | instid1(VALU_DEP_1)
	v_clz_i32_u32_e32 v6, v6
	v_min_u32_e32 v6, 32, v6
	s_delay_alu instid0(VALU_DEP_1) | instskip(SKIP_1) | instid1(VALU_DEP_2)
	v_subrev_nc_u32_e32 v8, 28, v6
	v_sub_nc_u32_e32 v6, 29, v6
	v_lshlrev_b64_e32 v[22:23], v8, v[68:69]
; %bb.3517:                             ;   in Loop: Header=BB357_2093 Depth=1
	s_or_b32 exec_lo, exec_lo, s17
	s_delay_alu instid0(VALU_DEP_1) | instskip(NEXT) | instid1(VALU_DEP_3)
	v_dual_lshlrev_b32 v8, 20, v22 :: v_dual_lshlrev_b32 v9, 24, v68
	v_lshl_add_u32 v6, v6, 23, 0x3c000000
	s_delay_alu instid0(VALU_DEP_2) | instskip(NEXT) | instid1(VALU_DEP_3)
	v_and_b32_e32 v8, 0x700000, v8
	v_and_b32_e32 v9, 0x80000000, v9
	s_delay_alu instid0(VALU_DEP_1)
	v_or3_b32 v6, v8, v9, v6
.LBB357_3518:                           ;   in Loop: Header=BB357_2093 Depth=1
	s_or_b32 exec_lo, exec_lo, s16
.LBB357_3519:                           ;   in Loop: Header=BB357_2093 Depth=1
	s_delay_alu instid0(SALU_CYCLE_1)
	s_or_b32 exec_lo, exec_lo, s15
.LBB357_3520:                           ;   in Loop: Header=BB357_2093 Depth=1
	s_delay_alu instid0(SALU_CYCLE_1) | instskip(SKIP_2) | instid1(VALU_DEP_1)
	s_or_b32 exec_lo, exec_lo, s14
	v_lshrrev_b16 v8, 8, v68
	s_mov_b32 s14, exec_lo
	v_cmpx_ne_u16_e32 0, v8
	s_cbranch_execz .LBB357_3528
; %bb.3521:                             ;   in Loop: Header=BB357_2093 Depth=1
	v_bfrev_b32_e32 v7, 1
	s_mov_b32 s15, exec_lo
	v_cmpx_ne_u16_e32 0x80, v8
	s_cbranch_execz .LBB357_3527
; %bb.3522:                             ;   in Loop: Header=BB357_2093 Depth=1
	v_and_b32_e32 v9, 0xffff, v8
	v_mov_b32_e32 v7, 0x7f800001
	s_mov_b32 s16, exec_lo
	s_delay_alu instid0(VALU_DEP_2) | instskip(NEXT) | instid1(VALU_DEP_1)
	v_and_b32_e32 v8, 0x7f, v9
	v_cmpx_ne_u32_e32 0x7f, v8
	s_cbranch_execz .LBB357_3526
; %bb.3523:                             ;   in Loop: Header=BB357_2093 Depth=1
	v_dual_mov_b32 v23, v69 :: v_dual_bitop2_b32 v22, 7, v9 bitop3:0x40
	v_lshrrev_b32_e32 v7, 3, v8
	s_mov_b32 s17, exec_lo
	v_cmpx_gt_u32_e32 8, v8
; %bb.3524:                             ;   in Loop: Header=BB357_2093 Depth=1
	s_delay_alu instid0(VALU_DEP_3) | instskip(NEXT) | instid1(VALU_DEP_1)
	v_clz_i32_u32_e32 v7, v22
	v_min_u32_e32 v7, 32, v7
	s_delay_alu instid0(VALU_DEP_1) | instskip(NEXT) | instid1(VALU_DEP_1)
	v_subrev_nc_u32_e32 v8, 28, v7
	v_lshlrev_b64_e32 v[8:9], v8, v[22:23]
	s_delay_alu instid0(VALU_DEP_1)
	v_dual_sub_nc_u32 v7, 29, v7 :: v_dual_bitop2_b32 v22, 7, v8 bitop3:0x40
; %bb.3525:                             ;   in Loop: Header=BB357_2093 Depth=1
	s_or_b32 exec_lo, exec_lo, s17
	s_delay_alu instid0(VALU_DEP_1) | instskip(NEXT) | instid1(VALU_DEP_2)
	v_dual_lshlrev_b32 v8, 16, v68 :: v_dual_lshlrev_b32 v9, 20, v22
	v_lshl_add_u32 v7, v7, 23, 0x3c000000
	s_delay_alu instid0(VALU_DEP_2) | instskip(NEXT) | instid1(VALU_DEP_1)
	v_and_b32_e32 v8, 0x80000000, v8
	v_or3_b32 v7, v9, v8, v7
.LBB357_3526:                           ;   in Loop: Header=BB357_2093 Depth=1
	s_or_b32 exec_lo, exec_lo, s16
.LBB357_3527:                           ;   in Loop: Header=BB357_2093 Depth=1
	s_delay_alu instid0(SALU_CYCLE_1)
	s_or_b32 exec_lo, exec_lo, s15
.LBB357_3528:                           ;   in Loop: Header=BB357_2093 Depth=1
	s_delay_alu instid0(SALU_CYCLE_1) | instskip(SKIP_3) | instid1(VALU_DEP_2)
	s_or_b32 exec_lo, exec_lo, s14
	v_dual_lshrrev_b32 v10, 16, v17 :: v_dual_mov_b32 v8, 0
	v_mov_b32_e32 v9, 0
	s_mov_b32 s14, exec_lo
	v_and_b32_e32 v11, 0xff, v10
	s_delay_alu instid0(VALU_DEP_1)
	v_cmpx_ne_u16_e32 0, v11
	s_cbranch_execz .LBB357_3536
; %bb.3529:                             ;   in Loop: Header=BB357_2093 Depth=1
	v_bfrev_b32_e32 v9, 1
	s_mov_b32 s15, exec_lo
	v_cmpx_ne_u16_e32 0x80, v11
	s_cbranch_execz .LBB357_3535
; %bb.3530:                             ;   in Loop: Header=BB357_2093 Depth=1
	v_bfe_u32 v11, v17, 16, 7
	v_mov_b32_e32 v9, 0x7f800001
	s_mov_b32 s16, exec_lo
	s_delay_alu instid0(VALU_DEP_2)
	v_cmpx_ne_u32_e32 0x7f, v11
	s_cbranch_execz .LBB357_3534
; %bb.3531:                             ;   in Loop: Header=BB357_2093 Depth=1
	v_dual_lshrrev_b32 v9, 3, v11 :: v_dual_bitop2_b32 v68, 7, v10 bitop3:0x40
	s_mov_b32 s17, exec_lo
	s_delay_alu instid0(VALU_DEP_1)
	v_mov_b64_e32 v[22:23], v[68:69]
	v_cmpx_gt_u32_e32 8, v11
; %bb.3532:                             ;   in Loop: Header=BB357_2093 Depth=1
	v_clz_i32_u32_e32 v9, v68
	s_delay_alu instid0(VALU_DEP_1) | instskip(NEXT) | instid1(VALU_DEP_1)
	v_min_u32_e32 v9, 32, v9
	v_subrev_nc_u32_e32 v11, 28, v9
	s_delay_alu instid0(VALU_DEP_1) | instskip(NEXT) | instid1(VALU_DEP_1)
	v_lshlrev_b64_e32 v[12:13], v11, v[68:69]
	v_dual_sub_nc_u32 v9, 29, v9 :: v_dual_bitop2_b32 v22, 7, v12 bitop3:0x40
; %bb.3533:                             ;   in Loop: Header=BB357_2093 Depth=1
	s_or_b32 exec_lo, exec_lo, s17
	v_lshlrev_b32_e32 v10, 24, v10
	s_delay_alu instid0(VALU_DEP_2) | instskip(NEXT) | instid1(VALU_DEP_3)
	v_lshlrev_b32_e32 v11, 20, v22
	v_lshl_add_u32 v9, v9, 23, 0x3c000000
	s_delay_alu instid0(VALU_DEP_3) | instskip(NEXT) | instid1(VALU_DEP_1)
	v_and_b32_e32 v10, 0x80000000, v10
	v_or3_b32 v9, v11, v10, v9
.LBB357_3534:                           ;   in Loop: Header=BB357_2093 Depth=1
	s_or_b32 exec_lo, exec_lo, s16
.LBB357_3535:                           ;   in Loop: Header=BB357_2093 Depth=1
	s_delay_alu instid0(SALU_CYCLE_1)
	s_or_b32 exec_lo, exec_lo, s15
.LBB357_3536:                           ;   in Loop: Header=BB357_2093 Depth=1
	s_delay_alu instid0(SALU_CYCLE_1) | instskip(NEXT) | instid1(SALU_CYCLE_1)
	s_or_b32 exec_lo, exec_lo, s14
	s_mov_b32 s14, exec_lo
	v_cmpx_lt_u64_e64 s[2:3], v[16:17]
	s_cbranch_execz .LBB357_3544
; %bb.3537:                             ;   in Loop: Header=BB357_2093 Depth=1
	v_lshrrev_b32_e32 v10, 24, v17
	v_bfrev_b32_e32 v8, 1
	s_mov_b32 s15, exec_lo
	s_delay_alu instid0(VALU_DEP_2)
	v_cmpx_ne_u32_e32 0x80, v10
	s_cbranch_execz .LBB357_3543
; %bb.3538:                             ;   in Loop: Header=BB357_2093 Depth=1
	v_bfe_u32 v11, v17, 24, 7
	v_mov_b32_e32 v8, 0x7f800001
	s_mov_b32 s16, exec_lo
	s_delay_alu instid0(VALU_DEP_2)
	v_cmpx_ne_u32_e32 0x7f, v11
	s_cbranch_execz .LBB357_3542
; %bb.3539:                             ;   in Loop: Header=BB357_2093 Depth=1
	v_dual_lshrrev_b32 v8, 3, v11 :: v_dual_bitop2_b32 v68, 7, v10 bitop3:0x40
	s_mov_b32 s17, exec_lo
	s_delay_alu instid0(VALU_DEP_1)
	v_mov_b64_e32 v[16:17], v[68:69]
	v_cmpx_gt_u32_e32 8, v11
; %bb.3540:                             ;   in Loop: Header=BB357_2093 Depth=1
	v_clz_i32_u32_e32 v8, v68
	s_delay_alu instid0(VALU_DEP_1) | instskip(NEXT) | instid1(VALU_DEP_1)
	v_min_u32_e32 v8, 32, v8
	v_subrev_nc_u32_e32 v11, 28, v8
	v_sub_nc_u32_e32 v8, 29, v8
	s_delay_alu instid0(VALU_DEP_2) | instskip(NEXT) | instid1(VALU_DEP_1)
	v_lshlrev_b64_e32 v[12:13], v11, v[68:69]
	v_and_b32_e32 v16, 7, v12
; %bb.3541:                             ;   in Loop: Header=BB357_2093 Depth=1
	s_or_b32 exec_lo, exec_lo, s17
	s_delay_alu instid0(VALU_DEP_1) | instskip(SKIP_1) | instid1(VALU_DEP_2)
	v_dual_lshlrev_b32 v10, 24, v10 :: v_dual_lshlrev_b32 v11, 20, v16
	v_lshl_add_u32 v8, v8, 23, 0x3c000000
	v_and_b32_e32 v10, 0x80000000, v10
	s_delay_alu instid0(VALU_DEP_1)
	v_or3_b32 v8, v11, v10, v8
.LBB357_3542:                           ;   in Loop: Header=BB357_2093 Depth=1
	s_or_b32 exec_lo, exec_lo, s16
.LBB357_3543:                           ;   in Loop: Header=BB357_2093 Depth=1
	s_delay_alu instid0(SALU_CYCLE_1)
	s_or_b32 exec_lo, exec_lo, s15
.LBB357_3544:                           ;   in Loop: Header=BB357_2093 Depth=1
	s_delay_alu instid0(SALU_CYCLE_1)
	s_or_b32 exec_lo, exec_lo, s14
	v_fma_mixlo_bf16 v72, v75, v7, 0
	v_fma_mixlo_bf16 v73, v75, v6, 0
	;; [unrolled: 1-line block ×8, first 2 shown]
	s_and_saveexec_b32 s14, vcc_lo
	s_cbranch_execz .LBB357_3546
; %bb.3545:                             ;   in Loop: Header=BB357_2093 Depth=1
	v_cmp_lt_i32_e64 s0, v74, v42
	s_delay_alu instid0(VALU_DEP_1) | instskip(SKIP_1) | instid1(VALU_DEP_1)
	v_cndmask_b32_e64 v25, 0, v25, s0
	v_cmp_lt_i32_e64 s0, v106, v42
	v_cndmask_b32_e64 v24, 0, v24, s0
	v_cmp_lt_i32_e64 s0, v105, v42
	s_delay_alu instid0(VALU_DEP_1) | instskip(SKIP_1) | instid1(VALU_DEP_1)
	v_cndmask_b32_e64 v21, 0, v21, s0
	v_cmp_lt_i32_e64 s0, v104, v42
	v_cndmask_b32_e64 v15, 0, v15, s0
	;; [unrolled: 5-line block ×4, first 2 shown]
.LBB357_3546:                           ;   in Loop: Header=BB357_2093 Depth=1
	s_or_b32 exec_lo, exec_lo, s14
	flat_load_b64 v[16:17], v[18:19] offset:5632
	v_dual_mov_b32 v3, 0 :: v_dual_mov_b32 v2, 0
	s_mov_b32 s14, exec_lo
	s_wait_loadcnt_dscnt 0x0
	v_and_b32_e32 v4, 0xff, v16
	s_wait_xcnt 0x0
	s_delay_alu instid0(VALU_DEP_1)
	v_cmpx_ne_u16_e32 0, v4
	s_cbranch_execz .LBB357_3554
; %bb.3547:                             ;   in Loop: Header=BB357_2093 Depth=1
	v_bfrev_b32_e32 v2, 1
	s_mov_b32 s15, exec_lo
	v_cmpx_ne_u16_e32 0x80, v4
	s_cbranch_execz .LBB357_3553
; %bb.3548:                             ;   in Loop: Header=BB357_2093 Depth=1
	v_and_b32_e32 v4, 0x7f, v16
	v_mov_b32_e32 v2, 0x7f800001
	s_mov_b32 s16, exec_lo
	s_delay_alu instid0(VALU_DEP_2)
	v_cmpx_ne_u32_e32 0x7f, v4
	s_cbranch_execz .LBB357_3552
; %bb.3549:                             ;   in Loop: Header=BB357_2093 Depth=1
	v_mov_b64_e32 v[22:23], v[16:17]
	v_lshrrev_b32_e32 v2, 3, v4
	s_mov_b32 s17, exec_lo
	v_cmpx_gt_u32_e32 8, v4
; %bb.3550:                             ;   in Loop: Header=BB357_2093 Depth=1
	v_and_b32_e32 v2, 7, v16
	s_delay_alu instid0(VALU_DEP_1) | instskip(NEXT) | instid1(VALU_DEP_1)
	v_clz_i32_u32_e32 v2, v2
	v_min_u32_e32 v2, 32, v2
	s_delay_alu instid0(VALU_DEP_1) | instskip(SKIP_1) | instid1(VALU_DEP_2)
	v_subrev_nc_u32_e32 v4, 28, v2
	v_sub_nc_u32_e32 v2, 29, v2
	v_lshlrev_b64_e32 v[22:23], v4, v[16:17]
; %bb.3551:                             ;   in Loop: Header=BB357_2093 Depth=1
	s_or_b32 exec_lo, exec_lo, s17
	s_delay_alu instid0(VALU_DEP_1) | instskip(NEXT) | instid1(VALU_DEP_3)
	v_dual_lshlrev_b32 v4, 20, v22 :: v_dual_lshlrev_b32 v5, 24, v16
	v_lshl_add_u32 v2, v2, 23, 0x3c000000
	s_delay_alu instid0(VALU_DEP_2) | instskip(NEXT) | instid1(VALU_DEP_3)
	v_and_b32_e32 v4, 0x700000, v4
	v_and_b32_e32 v5, 0x80000000, v5
	s_delay_alu instid0(VALU_DEP_1)
	v_or3_b32 v2, v4, v5, v2
.LBB357_3552:                           ;   in Loop: Header=BB357_2093 Depth=1
	s_or_b32 exec_lo, exec_lo, s16
.LBB357_3553:                           ;   in Loop: Header=BB357_2093 Depth=1
	s_delay_alu instid0(SALU_CYCLE_1)
	s_or_b32 exec_lo, exec_lo, s15
.LBB357_3554:                           ;   in Loop: Header=BB357_2093 Depth=1
	s_delay_alu instid0(SALU_CYCLE_1) | instskip(SKIP_2) | instid1(VALU_DEP_1)
	s_or_b32 exec_lo, exec_lo, s14
	v_lshrrev_b16 v4, 8, v16
	s_mov_b32 s14, exec_lo
	v_cmpx_ne_u16_e32 0, v4
	s_cbranch_execz .LBB357_3562
; %bb.3555:                             ;   in Loop: Header=BB357_2093 Depth=1
	v_bfrev_b32_e32 v3, 1
	s_mov_b32 s15, exec_lo
	v_cmpx_ne_u16_e32 0x80, v4
	s_cbranch_execz .LBB357_3561
; %bb.3556:                             ;   in Loop: Header=BB357_2093 Depth=1
	v_and_b32_e32 v5, 0xffff, v4
	v_mov_b32_e32 v3, 0x7f800001
	s_mov_b32 s16, exec_lo
	s_delay_alu instid0(VALU_DEP_2) | instskip(NEXT) | instid1(VALU_DEP_1)
	v_and_b32_e32 v4, 0x7f, v5
	v_cmpx_ne_u32_e32 0x7f, v4
	s_cbranch_execz .LBB357_3560
; %bb.3557:                             ;   in Loop: Header=BB357_2093 Depth=1
	v_dual_lshrrev_b32 v3, 3, v4 :: v_dual_bitop2_b32 v68, 7, v5 bitop3:0x40
	s_mov_b32 s17, exec_lo
	s_delay_alu instid0(VALU_DEP_1)
	v_mov_b64_e32 v[22:23], v[68:69]
	v_cmpx_gt_u32_e32 8, v4
; %bb.3558:                             ;   in Loop: Header=BB357_2093 Depth=1
	v_clz_i32_u32_e32 v3, v68
	s_delay_alu instid0(VALU_DEP_1) | instskip(NEXT) | instid1(VALU_DEP_1)
	v_min_u32_e32 v3, 32, v3
	v_subrev_nc_u32_e32 v4, 28, v3
	s_delay_alu instid0(VALU_DEP_1) | instskip(NEXT) | instid1(VALU_DEP_1)
	v_lshlrev_b64_e32 v[4:5], v4, v[68:69]
	v_dual_sub_nc_u32 v3, 29, v3 :: v_dual_bitop2_b32 v22, 7, v4 bitop3:0x40
; %bb.3559:                             ;   in Loop: Header=BB357_2093 Depth=1
	s_or_b32 exec_lo, exec_lo, s17
	s_delay_alu instid0(VALU_DEP_1) | instskip(NEXT) | instid1(VALU_DEP_2)
	v_dual_lshlrev_b32 v4, 16, v16 :: v_dual_lshlrev_b32 v5, 20, v22
	v_lshl_add_u32 v3, v3, 23, 0x3c000000
	s_delay_alu instid0(VALU_DEP_2) | instskip(NEXT) | instid1(VALU_DEP_1)
	v_and_b32_e32 v4, 0x80000000, v4
	v_or3_b32 v3, v5, v4, v3
.LBB357_3560:                           ;   in Loop: Header=BB357_2093 Depth=1
	s_or_b32 exec_lo, exec_lo, s16
.LBB357_3561:                           ;   in Loop: Header=BB357_2093 Depth=1
	s_delay_alu instid0(SALU_CYCLE_1)
	s_or_b32 exec_lo, exec_lo, s15
.LBB357_3562:                           ;   in Loop: Header=BB357_2093 Depth=1
	s_delay_alu instid0(SALU_CYCLE_1) | instskip(SKIP_3) | instid1(VALU_DEP_2)
	s_or_b32 exec_lo, exec_lo, s14
	v_dual_mov_b32 v5, 0 :: v_dual_lshrrev_b32 v6, 16, v16
	v_mov_b32_e32 v4, 0
	s_mov_b32 s14, exec_lo
	v_and_b32_e32 v7, 0xff, v6
	s_delay_alu instid0(VALU_DEP_1)
	v_cmpx_ne_u16_e32 0, v7
	s_cbranch_execz .LBB357_3570
; %bb.3563:                             ;   in Loop: Header=BB357_2093 Depth=1
	v_bfrev_b32_e32 v4, 1
	s_mov_b32 s15, exec_lo
	v_cmpx_ne_u16_e32 0x80, v7
	s_cbranch_execz .LBB357_3569
; %bb.3564:                             ;   in Loop: Header=BB357_2093 Depth=1
	v_bfe_u32 v7, v16, 16, 7
	v_mov_b32_e32 v4, 0x7f800001
	s_mov_b32 s16, exec_lo
	s_delay_alu instid0(VALU_DEP_2)
	v_cmpx_ne_u32_e32 0x7f, v7
	s_cbranch_execz .LBB357_3568
; %bb.3565:                             ;   in Loop: Header=BB357_2093 Depth=1
	v_dual_lshrrev_b32 v4, 3, v7 :: v_dual_bitop2_b32 v68, 7, v6 bitop3:0x40
	s_mov_b32 s17, exec_lo
	s_delay_alu instid0(VALU_DEP_1)
	v_mov_b64_e32 v[22:23], v[68:69]
	v_cmpx_gt_u32_e32 8, v7
; %bb.3566:                             ;   in Loop: Header=BB357_2093 Depth=1
	v_clz_i32_u32_e32 v4, v68
	s_delay_alu instid0(VALU_DEP_1) | instskip(NEXT) | instid1(VALU_DEP_1)
	v_min_u32_e32 v4, 32, v4
	v_subrev_nc_u32_e32 v7, 28, v4
	v_sub_nc_u32_e32 v4, 29, v4
	s_delay_alu instid0(VALU_DEP_2) | instskip(NEXT) | instid1(VALU_DEP_1)
	v_lshlrev_b64_e32 v[8:9], v7, v[68:69]
	v_and_b32_e32 v22, 7, v8
; %bb.3567:                             ;   in Loop: Header=BB357_2093 Depth=1
	s_or_b32 exec_lo, exec_lo, s17
	v_lshlrev_b32_e32 v6, 24, v6
	s_delay_alu instid0(VALU_DEP_2) | instskip(SKIP_1) | instid1(VALU_DEP_3)
	v_lshlrev_b32_e32 v7, 20, v22
	v_lshl_add_u32 v4, v4, 23, 0x3c000000
	v_and_b32_e32 v6, 0x80000000, v6
	s_delay_alu instid0(VALU_DEP_1)
	v_or3_b32 v4, v7, v6, v4
.LBB357_3568:                           ;   in Loop: Header=BB357_2093 Depth=1
	s_or_b32 exec_lo, exec_lo, s16
.LBB357_3569:                           ;   in Loop: Header=BB357_2093 Depth=1
	s_delay_alu instid0(SALU_CYCLE_1)
	s_or_b32 exec_lo, exec_lo, s15
.LBB357_3570:                           ;   in Loop: Header=BB357_2093 Depth=1
	s_delay_alu instid0(SALU_CYCLE_1) | instskip(NEXT) | instid1(SALU_CYCLE_1)
	s_or_b32 exec_lo, exec_lo, s14
	s_mov_b32 s14, exec_lo
	v_cmpx_lt_u32_e32 0xffffff, v16
	s_cbranch_execz .LBB357_3578
; %bb.3571:                             ;   in Loop: Header=BB357_2093 Depth=1
	v_lshrrev_b32_e32 v6, 24, v16
	v_bfrev_b32_e32 v5, 1
	s_mov_b32 s15, exec_lo
	s_delay_alu instid0(VALU_DEP_2)
	v_cmpx_ne_u32_e32 0x80, v6
	s_cbranch_execz .LBB357_3577
; %bb.3572:                             ;   in Loop: Header=BB357_2093 Depth=1
	v_bfe_u32 v7, v16, 24, 7
	v_mov_b32_e32 v5, 0x7f800001
	s_mov_b32 s16, exec_lo
	s_delay_alu instid0(VALU_DEP_2)
	v_cmpx_ne_u32_e32 0x7f, v7
	s_cbranch_execz .LBB357_3576
; %bb.3573:                             ;   in Loop: Header=BB357_2093 Depth=1
	v_dual_lshrrev_b32 v5, 3, v7 :: v_dual_bitop2_b32 v68, 7, v6 bitop3:0x40
	s_mov_b32 s17, exec_lo
	s_delay_alu instid0(VALU_DEP_1)
	v_mov_b64_e32 v[22:23], v[68:69]
	v_cmpx_gt_u32_e32 8, v7
; %bb.3574:                             ;   in Loop: Header=BB357_2093 Depth=1
	v_clz_i32_u32_e32 v5, v68
	s_delay_alu instid0(VALU_DEP_1) | instskip(NEXT) | instid1(VALU_DEP_1)
	v_min_u32_e32 v5, 32, v5
	v_subrev_nc_u32_e32 v7, 28, v5
	s_delay_alu instid0(VALU_DEP_1) | instskip(NEXT) | instid1(VALU_DEP_1)
	v_lshlrev_b64_e32 v[8:9], v7, v[68:69]
	v_dual_sub_nc_u32 v5, 29, v5 :: v_dual_bitop2_b32 v22, 7, v8 bitop3:0x40
; %bb.3575:                             ;   in Loop: Header=BB357_2093 Depth=1
	s_or_b32 exec_lo, exec_lo, s17
	v_lshlrev_b32_e32 v6, 24, v6
	s_delay_alu instid0(VALU_DEP_2) | instskip(NEXT) | instid1(VALU_DEP_3)
	v_lshlrev_b32_e32 v7, 20, v22
	v_lshl_add_u32 v5, v5, 23, 0x3c000000
	s_delay_alu instid0(VALU_DEP_3) | instskip(NEXT) | instid1(VALU_DEP_1)
	v_and_b32_e32 v6, 0x80000000, v6
	v_or3_b32 v5, v7, v6, v5
.LBB357_3576:                           ;   in Loop: Header=BB357_2093 Depth=1
	s_or_b32 exec_lo, exec_lo, s16
.LBB357_3577:                           ;   in Loop: Header=BB357_2093 Depth=1
	s_delay_alu instid0(SALU_CYCLE_1)
	s_or_b32 exec_lo, exec_lo, s15
.LBB357_3578:                           ;   in Loop: Header=BB357_2093 Depth=1
	s_delay_alu instid0(SALU_CYCLE_1) | instskip(SKIP_4) | instid1(VALU_DEP_3)
	s_or_b32 exec_lo, exec_lo, s14
	v_and_b32_e32 v8, 0xff, v17
	v_dual_mov_b32 v68, v17 :: v_dual_mov_b32 v7, 0
	v_mov_b32_e32 v6, 0
	s_mov_b32 s14, exec_lo
	v_cmpx_ne_u16_e32 0, v8
	s_cbranch_execz .LBB357_3586
; %bb.3579:                             ;   in Loop: Header=BB357_2093 Depth=1
	v_bfrev_b32_e32 v6, 1
	s_mov_b32 s15, exec_lo
	v_cmpx_ne_u16_e32 0x80, v8
	s_cbranch_execz .LBB357_3585
; %bb.3580:                             ;   in Loop: Header=BB357_2093 Depth=1
	v_and_b32_e32 v8, 0x7f, v17
	v_mov_b32_e32 v6, 0x7f800001
	s_mov_b32 s16, exec_lo
	s_delay_alu instid0(VALU_DEP_2)
	v_cmpx_ne_u32_e32 0x7f, v8
	s_cbranch_execz .LBB357_3584
; %bb.3581:                             ;   in Loop: Header=BB357_2093 Depth=1
	v_mov_b64_e32 v[22:23], v[68:69]
	v_lshrrev_b32_e32 v6, 3, v8
	s_mov_b32 s17, exec_lo
	v_cmpx_gt_u32_e32 8, v8
; %bb.3582:                             ;   in Loop: Header=BB357_2093 Depth=1
	v_and_b32_e32 v6, 7, v17
	s_delay_alu instid0(VALU_DEP_1) | instskip(NEXT) | instid1(VALU_DEP_1)
	v_clz_i32_u32_e32 v6, v6
	v_min_u32_e32 v6, 32, v6
	s_delay_alu instid0(VALU_DEP_1) | instskip(SKIP_1) | instid1(VALU_DEP_2)
	v_subrev_nc_u32_e32 v8, 28, v6
	v_sub_nc_u32_e32 v6, 29, v6
	v_lshlrev_b64_e32 v[22:23], v8, v[68:69]
; %bb.3583:                             ;   in Loop: Header=BB357_2093 Depth=1
	s_or_b32 exec_lo, exec_lo, s17
	s_delay_alu instid0(VALU_DEP_1) | instskip(NEXT) | instid1(VALU_DEP_3)
	v_dual_lshlrev_b32 v8, 20, v22 :: v_dual_lshlrev_b32 v9, 24, v68
	v_lshl_add_u32 v6, v6, 23, 0x3c000000
	s_delay_alu instid0(VALU_DEP_2) | instskip(NEXT) | instid1(VALU_DEP_3)
	v_and_b32_e32 v8, 0x700000, v8
	v_and_b32_e32 v9, 0x80000000, v9
	s_delay_alu instid0(VALU_DEP_1)
	v_or3_b32 v6, v8, v9, v6
.LBB357_3584:                           ;   in Loop: Header=BB357_2093 Depth=1
	s_or_b32 exec_lo, exec_lo, s16
.LBB357_3585:                           ;   in Loop: Header=BB357_2093 Depth=1
	s_delay_alu instid0(SALU_CYCLE_1)
	s_or_b32 exec_lo, exec_lo, s15
.LBB357_3586:                           ;   in Loop: Header=BB357_2093 Depth=1
	s_delay_alu instid0(SALU_CYCLE_1) | instskip(SKIP_2) | instid1(VALU_DEP_1)
	s_or_b32 exec_lo, exec_lo, s14
	v_lshrrev_b16 v8, 8, v68
	s_mov_b32 s14, exec_lo
	v_cmpx_ne_u16_e32 0, v8
	s_cbranch_execz .LBB357_3594
; %bb.3587:                             ;   in Loop: Header=BB357_2093 Depth=1
	v_bfrev_b32_e32 v7, 1
	s_mov_b32 s15, exec_lo
	v_cmpx_ne_u16_e32 0x80, v8
	s_cbranch_execz .LBB357_3593
; %bb.3588:                             ;   in Loop: Header=BB357_2093 Depth=1
	v_and_b32_e32 v9, 0xffff, v8
	v_mov_b32_e32 v7, 0x7f800001
	s_mov_b32 s16, exec_lo
	s_delay_alu instid0(VALU_DEP_2) | instskip(NEXT) | instid1(VALU_DEP_1)
	v_and_b32_e32 v8, 0x7f, v9
	v_cmpx_ne_u32_e32 0x7f, v8
	s_cbranch_execz .LBB357_3592
; %bb.3589:                             ;   in Loop: Header=BB357_2093 Depth=1
	v_dual_mov_b32 v23, v69 :: v_dual_bitop2_b32 v22, 7, v9 bitop3:0x40
	v_lshrrev_b32_e32 v7, 3, v8
	s_mov_b32 s17, exec_lo
	v_cmpx_gt_u32_e32 8, v8
; %bb.3590:                             ;   in Loop: Header=BB357_2093 Depth=1
	s_delay_alu instid0(VALU_DEP_3) | instskip(NEXT) | instid1(VALU_DEP_1)
	v_clz_i32_u32_e32 v7, v22
	v_min_u32_e32 v7, 32, v7
	s_delay_alu instid0(VALU_DEP_1) | instskip(NEXT) | instid1(VALU_DEP_1)
	v_subrev_nc_u32_e32 v8, 28, v7
	v_lshlrev_b64_e32 v[8:9], v8, v[22:23]
	s_delay_alu instid0(VALU_DEP_1)
	v_dual_sub_nc_u32 v7, 29, v7 :: v_dual_bitop2_b32 v22, 7, v8 bitop3:0x40
; %bb.3591:                             ;   in Loop: Header=BB357_2093 Depth=1
	s_or_b32 exec_lo, exec_lo, s17
	s_delay_alu instid0(VALU_DEP_1) | instskip(NEXT) | instid1(VALU_DEP_2)
	v_dual_lshlrev_b32 v8, 16, v68 :: v_dual_lshlrev_b32 v9, 20, v22
	v_lshl_add_u32 v7, v7, 23, 0x3c000000
	s_delay_alu instid0(VALU_DEP_2) | instskip(NEXT) | instid1(VALU_DEP_1)
	v_and_b32_e32 v8, 0x80000000, v8
	v_or3_b32 v7, v9, v8, v7
.LBB357_3592:                           ;   in Loop: Header=BB357_2093 Depth=1
	s_or_b32 exec_lo, exec_lo, s16
.LBB357_3593:                           ;   in Loop: Header=BB357_2093 Depth=1
	s_delay_alu instid0(SALU_CYCLE_1)
	s_or_b32 exec_lo, exec_lo, s15
.LBB357_3594:                           ;   in Loop: Header=BB357_2093 Depth=1
	s_delay_alu instid0(SALU_CYCLE_1) | instskip(SKIP_3) | instid1(VALU_DEP_2)
	s_or_b32 exec_lo, exec_lo, s14
	v_dual_lshrrev_b32 v10, 16, v17 :: v_dual_mov_b32 v8, 0
	v_mov_b32_e32 v9, 0
	s_mov_b32 s14, exec_lo
	v_and_b32_e32 v11, 0xff, v10
	s_delay_alu instid0(VALU_DEP_1)
	v_cmpx_ne_u16_e32 0, v11
	s_cbranch_execz .LBB357_3602
; %bb.3595:                             ;   in Loop: Header=BB357_2093 Depth=1
	v_bfrev_b32_e32 v9, 1
	s_mov_b32 s15, exec_lo
	v_cmpx_ne_u16_e32 0x80, v11
	s_cbranch_execz .LBB357_3601
; %bb.3596:                             ;   in Loop: Header=BB357_2093 Depth=1
	v_bfe_u32 v11, v17, 16, 7
	v_mov_b32_e32 v9, 0x7f800001
	s_mov_b32 s16, exec_lo
	s_delay_alu instid0(VALU_DEP_2)
	v_cmpx_ne_u32_e32 0x7f, v11
	s_cbranch_execz .LBB357_3600
; %bb.3597:                             ;   in Loop: Header=BB357_2093 Depth=1
	v_dual_lshrrev_b32 v9, 3, v11 :: v_dual_bitop2_b32 v68, 7, v10 bitop3:0x40
	s_mov_b32 s17, exec_lo
	s_delay_alu instid0(VALU_DEP_1)
	v_mov_b64_e32 v[22:23], v[68:69]
	v_cmpx_gt_u32_e32 8, v11
; %bb.3598:                             ;   in Loop: Header=BB357_2093 Depth=1
	v_clz_i32_u32_e32 v9, v68
	s_delay_alu instid0(VALU_DEP_1) | instskip(NEXT) | instid1(VALU_DEP_1)
	v_min_u32_e32 v9, 32, v9
	v_subrev_nc_u32_e32 v11, 28, v9
	s_delay_alu instid0(VALU_DEP_1) | instskip(NEXT) | instid1(VALU_DEP_1)
	v_lshlrev_b64_e32 v[12:13], v11, v[68:69]
	v_dual_sub_nc_u32 v9, 29, v9 :: v_dual_bitop2_b32 v22, 7, v12 bitop3:0x40
; %bb.3599:                             ;   in Loop: Header=BB357_2093 Depth=1
	s_or_b32 exec_lo, exec_lo, s17
	v_lshlrev_b32_e32 v10, 24, v10
	s_delay_alu instid0(VALU_DEP_2) | instskip(NEXT) | instid1(VALU_DEP_3)
	v_lshlrev_b32_e32 v11, 20, v22
	v_lshl_add_u32 v9, v9, 23, 0x3c000000
	s_delay_alu instid0(VALU_DEP_3) | instskip(NEXT) | instid1(VALU_DEP_1)
	v_and_b32_e32 v10, 0x80000000, v10
	v_or3_b32 v9, v11, v10, v9
.LBB357_3600:                           ;   in Loop: Header=BB357_2093 Depth=1
	s_or_b32 exec_lo, exec_lo, s16
.LBB357_3601:                           ;   in Loop: Header=BB357_2093 Depth=1
	s_delay_alu instid0(SALU_CYCLE_1)
	s_or_b32 exec_lo, exec_lo, s15
.LBB357_3602:                           ;   in Loop: Header=BB357_2093 Depth=1
	s_delay_alu instid0(SALU_CYCLE_1) | instskip(NEXT) | instid1(SALU_CYCLE_1)
	s_or_b32 exec_lo, exec_lo, s14
	s_mov_b32 s14, exec_lo
	v_cmpx_lt_u64_e64 s[2:3], v[16:17]
	s_cbranch_execz .LBB357_3610
; %bb.3603:                             ;   in Loop: Header=BB357_2093 Depth=1
	v_lshrrev_b32_e32 v10, 24, v17
	v_bfrev_b32_e32 v8, 1
	s_mov_b32 s15, exec_lo
	s_delay_alu instid0(VALU_DEP_2)
	v_cmpx_ne_u32_e32 0x80, v10
	s_cbranch_execz .LBB357_3609
; %bb.3604:                             ;   in Loop: Header=BB357_2093 Depth=1
	v_bfe_u32 v11, v17, 24, 7
	v_mov_b32_e32 v8, 0x7f800001
	s_mov_b32 s16, exec_lo
	s_delay_alu instid0(VALU_DEP_2)
	v_cmpx_ne_u32_e32 0x7f, v11
	s_cbranch_execz .LBB357_3608
; %bb.3605:                             ;   in Loop: Header=BB357_2093 Depth=1
	v_dual_lshrrev_b32 v8, 3, v11 :: v_dual_bitop2_b32 v68, 7, v10 bitop3:0x40
	s_mov_b32 s17, exec_lo
	s_delay_alu instid0(VALU_DEP_1)
	v_mov_b64_e32 v[16:17], v[68:69]
	v_cmpx_gt_u32_e32 8, v11
; %bb.3606:                             ;   in Loop: Header=BB357_2093 Depth=1
	v_clz_i32_u32_e32 v8, v68
	s_delay_alu instid0(VALU_DEP_1) | instskip(NEXT) | instid1(VALU_DEP_1)
	v_min_u32_e32 v8, 32, v8
	v_subrev_nc_u32_e32 v11, 28, v8
	v_sub_nc_u32_e32 v8, 29, v8
	s_delay_alu instid0(VALU_DEP_2) | instskip(NEXT) | instid1(VALU_DEP_1)
	v_lshlrev_b64_e32 v[12:13], v11, v[68:69]
	v_and_b32_e32 v16, 7, v12
; %bb.3607:                             ;   in Loop: Header=BB357_2093 Depth=1
	s_or_b32 exec_lo, exec_lo, s17
	s_delay_alu instid0(VALU_DEP_1) | instskip(SKIP_1) | instid1(VALU_DEP_2)
	v_dual_lshlrev_b32 v10, 24, v10 :: v_dual_lshlrev_b32 v11, 20, v16
	v_lshl_add_u32 v8, v8, 23, 0x3c000000
	v_and_b32_e32 v10, 0x80000000, v10
	s_delay_alu instid0(VALU_DEP_1)
	v_or3_b32 v8, v11, v10, v8
.LBB357_3608:                           ;   in Loop: Header=BB357_2093 Depth=1
	s_or_b32 exec_lo, exec_lo, s16
.LBB357_3609:                           ;   in Loop: Header=BB357_2093 Depth=1
	s_delay_alu instid0(SALU_CYCLE_1)
	s_or_b32 exec_lo, exec_lo, s15
.LBB357_3610:                           ;   in Loop: Header=BB357_2093 Depth=1
	s_delay_alu instid0(SALU_CYCLE_1)
	s_or_b32 exec_lo, exec_lo, s14
	v_fma_mixlo_bf16 v28, v75, v7, 0
	v_fma_mixlo_bf16 v29, v75, v6, 0
	;; [unrolled: 1-line block ×8, first 2 shown]
	s_and_saveexec_b32 s14, vcc_lo
	s_cbranch_execz .LBB357_3612
; %bb.3611:                             ;   in Loop: Header=BB357_2093 Depth=1
	v_cmp_lt_i32_e64 s0, v74, v42
	s_delay_alu instid0(VALU_DEP_1) | instskip(SKIP_1) | instid1(VALU_DEP_1)
	v_cndmask_b32_e64 v35, 0, v35, s0
	v_cmp_lt_i32_e64 s0, v106, v42
	v_cndmask_b32_e64 v34, 0, v34, s0
	v_cmp_lt_i32_e64 s0, v105, v42
	s_delay_alu instid0(VALU_DEP_1) | instskip(SKIP_1) | instid1(VALU_DEP_1)
	v_cndmask_b32_e64 v33, 0, v33, s0
	v_cmp_lt_i32_e64 s0, v104, v42
	v_cndmask_b32_e64 v31, 0, v31, s0
	;; [unrolled: 5-line block ×4, first 2 shown]
.LBB357_3612:                           ;   in Loop: Header=BB357_2093 Depth=1
	s_or_b32 exec_lo, exec_lo, s14
	flat_load_b64 v[16:17], v[18:19] offset:5888
	v_dual_mov_b32 v3, 0 :: v_dual_mov_b32 v2, 0
	s_mov_b32 s14, exec_lo
	s_wait_loadcnt_dscnt 0x0
	v_and_b32_e32 v4, 0xff, v16
	s_wait_xcnt 0x0
	s_delay_alu instid0(VALU_DEP_1)
	v_cmpx_ne_u16_e32 0, v4
	s_cbranch_execz .LBB357_3620
; %bb.3613:                             ;   in Loop: Header=BB357_2093 Depth=1
	v_bfrev_b32_e32 v2, 1
	s_mov_b32 s15, exec_lo
	v_cmpx_ne_u16_e32 0x80, v4
	s_cbranch_execz .LBB357_3619
; %bb.3614:                             ;   in Loop: Header=BB357_2093 Depth=1
	v_and_b32_e32 v4, 0x7f, v16
	v_mov_b32_e32 v2, 0x7f800001
	s_mov_b32 s16, exec_lo
	s_delay_alu instid0(VALU_DEP_2)
	v_cmpx_ne_u32_e32 0x7f, v4
	s_cbranch_execz .LBB357_3618
; %bb.3615:                             ;   in Loop: Header=BB357_2093 Depth=1
	v_mov_b64_e32 v[22:23], v[16:17]
	v_lshrrev_b32_e32 v2, 3, v4
	s_mov_b32 s17, exec_lo
	v_cmpx_gt_u32_e32 8, v4
; %bb.3616:                             ;   in Loop: Header=BB357_2093 Depth=1
	v_and_b32_e32 v2, 7, v16
	s_delay_alu instid0(VALU_DEP_1) | instskip(NEXT) | instid1(VALU_DEP_1)
	v_clz_i32_u32_e32 v2, v2
	v_min_u32_e32 v2, 32, v2
	s_delay_alu instid0(VALU_DEP_1) | instskip(SKIP_1) | instid1(VALU_DEP_2)
	v_subrev_nc_u32_e32 v4, 28, v2
	v_sub_nc_u32_e32 v2, 29, v2
	v_lshlrev_b64_e32 v[22:23], v4, v[16:17]
; %bb.3617:                             ;   in Loop: Header=BB357_2093 Depth=1
	s_or_b32 exec_lo, exec_lo, s17
	s_delay_alu instid0(VALU_DEP_1) | instskip(NEXT) | instid1(VALU_DEP_3)
	v_dual_lshlrev_b32 v4, 20, v22 :: v_dual_lshlrev_b32 v5, 24, v16
	v_lshl_add_u32 v2, v2, 23, 0x3c000000
	s_delay_alu instid0(VALU_DEP_2) | instskip(NEXT) | instid1(VALU_DEP_3)
	v_and_b32_e32 v4, 0x700000, v4
	v_and_b32_e32 v5, 0x80000000, v5
	s_delay_alu instid0(VALU_DEP_1)
	v_or3_b32 v2, v4, v5, v2
.LBB357_3618:                           ;   in Loop: Header=BB357_2093 Depth=1
	s_or_b32 exec_lo, exec_lo, s16
.LBB357_3619:                           ;   in Loop: Header=BB357_2093 Depth=1
	s_delay_alu instid0(SALU_CYCLE_1)
	s_or_b32 exec_lo, exec_lo, s15
.LBB357_3620:                           ;   in Loop: Header=BB357_2093 Depth=1
	s_delay_alu instid0(SALU_CYCLE_1) | instskip(SKIP_2) | instid1(VALU_DEP_1)
	s_or_b32 exec_lo, exec_lo, s14
	v_lshrrev_b16 v4, 8, v16
	s_mov_b32 s14, exec_lo
	v_cmpx_ne_u16_e32 0, v4
	s_cbranch_execz .LBB357_3628
; %bb.3621:                             ;   in Loop: Header=BB357_2093 Depth=1
	v_bfrev_b32_e32 v3, 1
	s_mov_b32 s15, exec_lo
	v_cmpx_ne_u16_e32 0x80, v4
	s_cbranch_execz .LBB357_3627
; %bb.3622:                             ;   in Loop: Header=BB357_2093 Depth=1
	v_and_b32_e32 v5, 0xffff, v4
	v_mov_b32_e32 v3, 0x7f800001
	s_mov_b32 s16, exec_lo
	s_delay_alu instid0(VALU_DEP_2) | instskip(NEXT) | instid1(VALU_DEP_1)
	v_and_b32_e32 v4, 0x7f, v5
	v_cmpx_ne_u32_e32 0x7f, v4
	s_cbranch_execz .LBB357_3626
; %bb.3623:                             ;   in Loop: Header=BB357_2093 Depth=1
	v_dual_lshrrev_b32 v3, 3, v4 :: v_dual_bitop2_b32 v68, 7, v5 bitop3:0x40
	s_mov_b32 s17, exec_lo
	s_delay_alu instid0(VALU_DEP_1)
	v_mov_b64_e32 v[22:23], v[68:69]
	v_cmpx_gt_u32_e32 8, v4
; %bb.3624:                             ;   in Loop: Header=BB357_2093 Depth=1
	v_clz_i32_u32_e32 v3, v68
	s_delay_alu instid0(VALU_DEP_1) | instskip(NEXT) | instid1(VALU_DEP_1)
	v_min_u32_e32 v3, 32, v3
	v_subrev_nc_u32_e32 v4, 28, v3
	s_delay_alu instid0(VALU_DEP_1) | instskip(NEXT) | instid1(VALU_DEP_1)
	v_lshlrev_b64_e32 v[4:5], v4, v[68:69]
	v_dual_sub_nc_u32 v3, 29, v3 :: v_dual_bitop2_b32 v22, 7, v4 bitop3:0x40
; %bb.3625:                             ;   in Loop: Header=BB357_2093 Depth=1
	s_or_b32 exec_lo, exec_lo, s17
	s_delay_alu instid0(VALU_DEP_1) | instskip(NEXT) | instid1(VALU_DEP_2)
	v_dual_lshlrev_b32 v4, 16, v16 :: v_dual_lshlrev_b32 v5, 20, v22
	v_lshl_add_u32 v3, v3, 23, 0x3c000000
	s_delay_alu instid0(VALU_DEP_2) | instskip(NEXT) | instid1(VALU_DEP_1)
	v_and_b32_e32 v4, 0x80000000, v4
	v_or3_b32 v3, v5, v4, v3
.LBB357_3626:                           ;   in Loop: Header=BB357_2093 Depth=1
	s_or_b32 exec_lo, exec_lo, s16
.LBB357_3627:                           ;   in Loop: Header=BB357_2093 Depth=1
	s_delay_alu instid0(SALU_CYCLE_1)
	s_or_b32 exec_lo, exec_lo, s15
.LBB357_3628:                           ;   in Loop: Header=BB357_2093 Depth=1
	s_delay_alu instid0(SALU_CYCLE_1) | instskip(SKIP_3) | instid1(VALU_DEP_2)
	s_or_b32 exec_lo, exec_lo, s14
	v_dual_mov_b32 v5, 0 :: v_dual_lshrrev_b32 v6, 16, v16
	v_mov_b32_e32 v4, 0
	s_mov_b32 s14, exec_lo
	v_and_b32_e32 v7, 0xff, v6
	s_delay_alu instid0(VALU_DEP_1)
	v_cmpx_ne_u16_e32 0, v7
	s_cbranch_execz .LBB357_3636
; %bb.3629:                             ;   in Loop: Header=BB357_2093 Depth=1
	v_bfrev_b32_e32 v4, 1
	s_mov_b32 s15, exec_lo
	v_cmpx_ne_u16_e32 0x80, v7
	s_cbranch_execz .LBB357_3635
; %bb.3630:                             ;   in Loop: Header=BB357_2093 Depth=1
	v_bfe_u32 v7, v16, 16, 7
	v_mov_b32_e32 v4, 0x7f800001
	s_mov_b32 s16, exec_lo
	s_delay_alu instid0(VALU_DEP_2)
	v_cmpx_ne_u32_e32 0x7f, v7
	s_cbranch_execz .LBB357_3634
; %bb.3631:                             ;   in Loop: Header=BB357_2093 Depth=1
	v_dual_lshrrev_b32 v4, 3, v7 :: v_dual_bitop2_b32 v68, 7, v6 bitop3:0x40
	s_mov_b32 s17, exec_lo
	s_delay_alu instid0(VALU_DEP_1)
	v_mov_b64_e32 v[22:23], v[68:69]
	v_cmpx_gt_u32_e32 8, v7
; %bb.3632:                             ;   in Loop: Header=BB357_2093 Depth=1
	v_clz_i32_u32_e32 v4, v68
	s_delay_alu instid0(VALU_DEP_1) | instskip(NEXT) | instid1(VALU_DEP_1)
	v_min_u32_e32 v4, 32, v4
	v_subrev_nc_u32_e32 v7, 28, v4
	v_sub_nc_u32_e32 v4, 29, v4
	s_delay_alu instid0(VALU_DEP_2) | instskip(NEXT) | instid1(VALU_DEP_1)
	v_lshlrev_b64_e32 v[8:9], v7, v[68:69]
	v_and_b32_e32 v22, 7, v8
; %bb.3633:                             ;   in Loop: Header=BB357_2093 Depth=1
	s_or_b32 exec_lo, exec_lo, s17
	v_lshlrev_b32_e32 v6, 24, v6
	s_delay_alu instid0(VALU_DEP_2) | instskip(SKIP_1) | instid1(VALU_DEP_3)
	v_lshlrev_b32_e32 v7, 20, v22
	v_lshl_add_u32 v4, v4, 23, 0x3c000000
	v_and_b32_e32 v6, 0x80000000, v6
	s_delay_alu instid0(VALU_DEP_1)
	v_or3_b32 v4, v7, v6, v4
.LBB357_3634:                           ;   in Loop: Header=BB357_2093 Depth=1
	s_or_b32 exec_lo, exec_lo, s16
.LBB357_3635:                           ;   in Loop: Header=BB357_2093 Depth=1
	s_delay_alu instid0(SALU_CYCLE_1)
	s_or_b32 exec_lo, exec_lo, s15
.LBB357_3636:                           ;   in Loop: Header=BB357_2093 Depth=1
	s_delay_alu instid0(SALU_CYCLE_1) | instskip(NEXT) | instid1(SALU_CYCLE_1)
	s_or_b32 exec_lo, exec_lo, s14
	s_mov_b32 s14, exec_lo
	v_cmpx_lt_u32_e32 0xffffff, v16
	s_cbranch_execz .LBB357_3644
; %bb.3637:                             ;   in Loop: Header=BB357_2093 Depth=1
	v_lshrrev_b32_e32 v6, 24, v16
	v_bfrev_b32_e32 v5, 1
	s_mov_b32 s15, exec_lo
	s_delay_alu instid0(VALU_DEP_2)
	v_cmpx_ne_u32_e32 0x80, v6
	s_cbranch_execz .LBB357_3643
; %bb.3638:                             ;   in Loop: Header=BB357_2093 Depth=1
	v_bfe_u32 v7, v16, 24, 7
	v_mov_b32_e32 v5, 0x7f800001
	s_mov_b32 s16, exec_lo
	s_delay_alu instid0(VALU_DEP_2)
	v_cmpx_ne_u32_e32 0x7f, v7
	s_cbranch_execz .LBB357_3642
; %bb.3639:                             ;   in Loop: Header=BB357_2093 Depth=1
	v_dual_lshrrev_b32 v5, 3, v7 :: v_dual_bitop2_b32 v68, 7, v6 bitop3:0x40
	s_mov_b32 s17, exec_lo
	s_delay_alu instid0(VALU_DEP_1)
	v_mov_b64_e32 v[22:23], v[68:69]
	v_cmpx_gt_u32_e32 8, v7
; %bb.3640:                             ;   in Loop: Header=BB357_2093 Depth=1
	v_clz_i32_u32_e32 v5, v68
	s_delay_alu instid0(VALU_DEP_1) | instskip(NEXT) | instid1(VALU_DEP_1)
	v_min_u32_e32 v5, 32, v5
	v_subrev_nc_u32_e32 v7, 28, v5
	s_delay_alu instid0(VALU_DEP_1) | instskip(NEXT) | instid1(VALU_DEP_1)
	v_lshlrev_b64_e32 v[8:9], v7, v[68:69]
	v_dual_sub_nc_u32 v5, 29, v5 :: v_dual_bitop2_b32 v22, 7, v8 bitop3:0x40
; %bb.3641:                             ;   in Loop: Header=BB357_2093 Depth=1
	s_or_b32 exec_lo, exec_lo, s17
	v_lshlrev_b32_e32 v6, 24, v6
	s_delay_alu instid0(VALU_DEP_2) | instskip(NEXT) | instid1(VALU_DEP_3)
	v_lshlrev_b32_e32 v7, 20, v22
	v_lshl_add_u32 v5, v5, 23, 0x3c000000
	s_delay_alu instid0(VALU_DEP_3) | instskip(NEXT) | instid1(VALU_DEP_1)
	v_and_b32_e32 v6, 0x80000000, v6
	v_or3_b32 v5, v7, v6, v5
.LBB357_3642:                           ;   in Loop: Header=BB357_2093 Depth=1
	s_or_b32 exec_lo, exec_lo, s16
.LBB357_3643:                           ;   in Loop: Header=BB357_2093 Depth=1
	s_delay_alu instid0(SALU_CYCLE_1)
	s_or_b32 exec_lo, exec_lo, s15
.LBB357_3644:                           ;   in Loop: Header=BB357_2093 Depth=1
	s_delay_alu instid0(SALU_CYCLE_1) | instskip(SKIP_4) | instid1(VALU_DEP_3)
	s_or_b32 exec_lo, exec_lo, s14
	v_and_b32_e32 v8, 0xff, v17
	v_dual_mov_b32 v68, v17 :: v_dual_mov_b32 v7, 0
	v_mov_b32_e32 v6, 0
	s_mov_b32 s14, exec_lo
	v_cmpx_ne_u16_e32 0, v8
	s_cbranch_execz .LBB357_3652
; %bb.3645:                             ;   in Loop: Header=BB357_2093 Depth=1
	v_bfrev_b32_e32 v6, 1
	s_mov_b32 s15, exec_lo
	v_cmpx_ne_u16_e32 0x80, v8
	s_cbranch_execz .LBB357_3651
; %bb.3646:                             ;   in Loop: Header=BB357_2093 Depth=1
	v_and_b32_e32 v8, 0x7f, v17
	v_mov_b32_e32 v6, 0x7f800001
	s_mov_b32 s16, exec_lo
	s_delay_alu instid0(VALU_DEP_2)
	v_cmpx_ne_u32_e32 0x7f, v8
	s_cbranch_execz .LBB357_3650
; %bb.3647:                             ;   in Loop: Header=BB357_2093 Depth=1
	v_mov_b64_e32 v[22:23], v[68:69]
	v_lshrrev_b32_e32 v6, 3, v8
	s_mov_b32 s17, exec_lo
	v_cmpx_gt_u32_e32 8, v8
; %bb.3648:                             ;   in Loop: Header=BB357_2093 Depth=1
	v_and_b32_e32 v6, 7, v17
	s_delay_alu instid0(VALU_DEP_1) | instskip(NEXT) | instid1(VALU_DEP_1)
	v_clz_i32_u32_e32 v6, v6
	v_min_u32_e32 v6, 32, v6
	s_delay_alu instid0(VALU_DEP_1) | instskip(SKIP_1) | instid1(VALU_DEP_2)
	v_subrev_nc_u32_e32 v8, 28, v6
	v_sub_nc_u32_e32 v6, 29, v6
	v_lshlrev_b64_e32 v[22:23], v8, v[68:69]
; %bb.3649:                             ;   in Loop: Header=BB357_2093 Depth=1
	s_or_b32 exec_lo, exec_lo, s17
	s_delay_alu instid0(VALU_DEP_1) | instskip(NEXT) | instid1(VALU_DEP_3)
	v_dual_lshlrev_b32 v8, 20, v22 :: v_dual_lshlrev_b32 v9, 24, v68
	v_lshl_add_u32 v6, v6, 23, 0x3c000000
	s_delay_alu instid0(VALU_DEP_2) | instskip(NEXT) | instid1(VALU_DEP_3)
	v_and_b32_e32 v8, 0x700000, v8
	v_and_b32_e32 v9, 0x80000000, v9
	s_delay_alu instid0(VALU_DEP_1)
	v_or3_b32 v6, v8, v9, v6
.LBB357_3650:                           ;   in Loop: Header=BB357_2093 Depth=1
	s_or_b32 exec_lo, exec_lo, s16
.LBB357_3651:                           ;   in Loop: Header=BB357_2093 Depth=1
	s_delay_alu instid0(SALU_CYCLE_1)
	s_or_b32 exec_lo, exec_lo, s15
.LBB357_3652:                           ;   in Loop: Header=BB357_2093 Depth=1
	s_delay_alu instid0(SALU_CYCLE_1) | instskip(SKIP_2) | instid1(VALU_DEP_1)
	s_or_b32 exec_lo, exec_lo, s14
	v_lshrrev_b16 v8, 8, v68
	s_mov_b32 s14, exec_lo
	v_cmpx_ne_u16_e32 0, v8
	s_cbranch_execz .LBB357_3660
; %bb.3653:                             ;   in Loop: Header=BB357_2093 Depth=1
	v_bfrev_b32_e32 v7, 1
	s_mov_b32 s15, exec_lo
	v_cmpx_ne_u16_e32 0x80, v8
	s_cbranch_execz .LBB357_3659
; %bb.3654:                             ;   in Loop: Header=BB357_2093 Depth=1
	v_and_b32_e32 v9, 0xffff, v8
	v_mov_b32_e32 v7, 0x7f800001
	s_mov_b32 s16, exec_lo
	s_delay_alu instid0(VALU_DEP_2) | instskip(NEXT) | instid1(VALU_DEP_1)
	v_and_b32_e32 v8, 0x7f, v9
	v_cmpx_ne_u32_e32 0x7f, v8
	s_cbranch_execz .LBB357_3658
; %bb.3655:                             ;   in Loop: Header=BB357_2093 Depth=1
	v_dual_mov_b32 v23, v69 :: v_dual_bitop2_b32 v22, 7, v9 bitop3:0x40
	v_lshrrev_b32_e32 v7, 3, v8
	s_mov_b32 s17, exec_lo
	v_cmpx_gt_u32_e32 8, v8
; %bb.3656:                             ;   in Loop: Header=BB357_2093 Depth=1
	s_delay_alu instid0(VALU_DEP_3) | instskip(NEXT) | instid1(VALU_DEP_1)
	v_clz_i32_u32_e32 v7, v22
	v_min_u32_e32 v7, 32, v7
	s_delay_alu instid0(VALU_DEP_1) | instskip(NEXT) | instid1(VALU_DEP_1)
	v_subrev_nc_u32_e32 v8, 28, v7
	v_lshlrev_b64_e32 v[8:9], v8, v[22:23]
	s_delay_alu instid0(VALU_DEP_1)
	v_dual_sub_nc_u32 v7, 29, v7 :: v_dual_bitop2_b32 v22, 7, v8 bitop3:0x40
; %bb.3657:                             ;   in Loop: Header=BB357_2093 Depth=1
	s_or_b32 exec_lo, exec_lo, s17
	s_delay_alu instid0(VALU_DEP_1) | instskip(NEXT) | instid1(VALU_DEP_2)
	v_dual_lshlrev_b32 v8, 16, v68 :: v_dual_lshlrev_b32 v9, 20, v22
	v_lshl_add_u32 v7, v7, 23, 0x3c000000
	s_delay_alu instid0(VALU_DEP_2) | instskip(NEXT) | instid1(VALU_DEP_1)
	v_and_b32_e32 v8, 0x80000000, v8
	v_or3_b32 v7, v9, v8, v7
.LBB357_3658:                           ;   in Loop: Header=BB357_2093 Depth=1
	s_or_b32 exec_lo, exec_lo, s16
.LBB357_3659:                           ;   in Loop: Header=BB357_2093 Depth=1
	s_delay_alu instid0(SALU_CYCLE_1)
	s_or_b32 exec_lo, exec_lo, s15
.LBB357_3660:                           ;   in Loop: Header=BB357_2093 Depth=1
	s_delay_alu instid0(SALU_CYCLE_1) | instskip(SKIP_3) | instid1(VALU_DEP_2)
	s_or_b32 exec_lo, exec_lo, s14
	v_dual_lshrrev_b32 v10, 16, v17 :: v_dual_mov_b32 v8, 0
	v_mov_b32_e32 v9, 0
	s_mov_b32 s14, exec_lo
	v_and_b32_e32 v11, 0xff, v10
	s_delay_alu instid0(VALU_DEP_1)
	v_cmpx_ne_u16_e32 0, v11
	s_cbranch_execz .LBB357_3668
; %bb.3661:                             ;   in Loop: Header=BB357_2093 Depth=1
	v_bfrev_b32_e32 v9, 1
	s_mov_b32 s15, exec_lo
	v_cmpx_ne_u16_e32 0x80, v11
	s_cbranch_execz .LBB357_3667
; %bb.3662:                             ;   in Loop: Header=BB357_2093 Depth=1
	v_bfe_u32 v11, v17, 16, 7
	v_mov_b32_e32 v9, 0x7f800001
	s_mov_b32 s16, exec_lo
	s_delay_alu instid0(VALU_DEP_2)
	v_cmpx_ne_u32_e32 0x7f, v11
	s_cbranch_execz .LBB357_3666
; %bb.3663:                             ;   in Loop: Header=BB357_2093 Depth=1
	v_dual_lshrrev_b32 v9, 3, v11 :: v_dual_bitop2_b32 v68, 7, v10 bitop3:0x40
	s_mov_b32 s17, exec_lo
	s_delay_alu instid0(VALU_DEP_1)
	v_mov_b64_e32 v[22:23], v[68:69]
	v_cmpx_gt_u32_e32 8, v11
; %bb.3664:                             ;   in Loop: Header=BB357_2093 Depth=1
	v_clz_i32_u32_e32 v9, v68
	s_delay_alu instid0(VALU_DEP_1) | instskip(NEXT) | instid1(VALU_DEP_1)
	v_min_u32_e32 v9, 32, v9
	v_subrev_nc_u32_e32 v11, 28, v9
	s_delay_alu instid0(VALU_DEP_1) | instskip(NEXT) | instid1(VALU_DEP_1)
	v_lshlrev_b64_e32 v[12:13], v11, v[68:69]
	v_dual_sub_nc_u32 v9, 29, v9 :: v_dual_bitop2_b32 v22, 7, v12 bitop3:0x40
; %bb.3665:                             ;   in Loop: Header=BB357_2093 Depth=1
	s_or_b32 exec_lo, exec_lo, s17
	v_lshlrev_b32_e32 v10, 24, v10
	s_delay_alu instid0(VALU_DEP_2) | instskip(NEXT) | instid1(VALU_DEP_3)
	v_lshlrev_b32_e32 v11, 20, v22
	v_lshl_add_u32 v9, v9, 23, 0x3c000000
	s_delay_alu instid0(VALU_DEP_3) | instskip(NEXT) | instid1(VALU_DEP_1)
	v_and_b32_e32 v10, 0x80000000, v10
	v_or3_b32 v9, v11, v10, v9
.LBB357_3666:                           ;   in Loop: Header=BB357_2093 Depth=1
	s_or_b32 exec_lo, exec_lo, s16
.LBB357_3667:                           ;   in Loop: Header=BB357_2093 Depth=1
	s_delay_alu instid0(SALU_CYCLE_1)
	s_or_b32 exec_lo, exec_lo, s15
.LBB357_3668:                           ;   in Loop: Header=BB357_2093 Depth=1
	s_delay_alu instid0(SALU_CYCLE_1) | instskip(NEXT) | instid1(SALU_CYCLE_1)
	s_or_b32 exec_lo, exec_lo, s14
	s_mov_b32 s14, exec_lo
	v_cmpx_lt_u64_e64 s[2:3], v[16:17]
	s_cbranch_execz .LBB357_3676
; %bb.3669:                             ;   in Loop: Header=BB357_2093 Depth=1
	v_lshrrev_b32_e32 v10, 24, v17
	v_bfrev_b32_e32 v8, 1
	s_mov_b32 s15, exec_lo
	s_delay_alu instid0(VALU_DEP_2)
	v_cmpx_ne_u32_e32 0x80, v10
	s_cbranch_execz .LBB357_3675
; %bb.3670:                             ;   in Loop: Header=BB357_2093 Depth=1
	v_bfe_u32 v11, v17, 24, 7
	v_mov_b32_e32 v8, 0x7f800001
	s_mov_b32 s16, exec_lo
	s_delay_alu instid0(VALU_DEP_2)
	v_cmpx_ne_u32_e32 0x7f, v11
	s_cbranch_execz .LBB357_3674
; %bb.3671:                             ;   in Loop: Header=BB357_2093 Depth=1
	v_dual_lshrrev_b32 v8, 3, v11 :: v_dual_bitop2_b32 v68, 7, v10 bitop3:0x40
	s_mov_b32 s17, exec_lo
	s_delay_alu instid0(VALU_DEP_1)
	v_mov_b64_e32 v[16:17], v[68:69]
	v_cmpx_gt_u32_e32 8, v11
; %bb.3672:                             ;   in Loop: Header=BB357_2093 Depth=1
	v_clz_i32_u32_e32 v8, v68
	s_delay_alu instid0(VALU_DEP_1) | instskip(NEXT) | instid1(VALU_DEP_1)
	v_min_u32_e32 v8, 32, v8
	v_subrev_nc_u32_e32 v11, 28, v8
	v_sub_nc_u32_e32 v8, 29, v8
	s_delay_alu instid0(VALU_DEP_2) | instskip(NEXT) | instid1(VALU_DEP_1)
	v_lshlrev_b64_e32 v[12:13], v11, v[68:69]
	v_and_b32_e32 v16, 7, v12
; %bb.3673:                             ;   in Loop: Header=BB357_2093 Depth=1
	s_or_b32 exec_lo, exec_lo, s17
	s_delay_alu instid0(VALU_DEP_1) | instskip(SKIP_1) | instid1(VALU_DEP_2)
	v_dual_lshlrev_b32 v10, 24, v10 :: v_dual_lshlrev_b32 v11, 20, v16
	v_lshl_add_u32 v8, v8, 23, 0x3c000000
	v_and_b32_e32 v10, 0x80000000, v10
	s_delay_alu instid0(VALU_DEP_1)
	v_or3_b32 v8, v11, v10, v8
.LBB357_3674:                           ;   in Loop: Header=BB357_2093 Depth=1
	s_or_b32 exec_lo, exec_lo, s16
.LBB357_3675:                           ;   in Loop: Header=BB357_2093 Depth=1
	s_delay_alu instid0(SALU_CYCLE_1)
	s_or_b32 exec_lo, exec_lo, s15
.LBB357_3676:                           ;   in Loop: Header=BB357_2093 Depth=1
	s_delay_alu instid0(SALU_CYCLE_1)
	s_or_b32 exec_lo, exec_lo, s14
	v_fma_mixlo_bf16 v36, v75, v7, 0
	v_fma_mixlo_bf16 v37, v75, v6, 0
	;; [unrolled: 1-line block ×8, first 2 shown]
	s_and_saveexec_b32 s14, vcc_lo
	s_cbranch_execz .LBB357_3678
; %bb.3677:                             ;   in Loop: Header=BB357_2093 Depth=1
	v_cmp_lt_i32_e64 s0, v74, v42
	s_delay_alu instid0(VALU_DEP_1) | instskip(SKIP_1) | instid1(VALU_DEP_1)
	v_cndmask_b32_e64 v51, 0, v51, s0
	v_cmp_lt_i32_e64 s0, v106, v42
	v_cndmask_b32_e64 v50, 0, v50, s0
	v_cmp_lt_i32_e64 s0, v105, v42
	s_delay_alu instid0(VALU_DEP_1) | instskip(SKIP_1) | instid1(VALU_DEP_1)
	v_cndmask_b32_e64 v49, 0, v49, s0
	v_cmp_lt_i32_e64 s0, v104, v42
	v_cndmask_b32_e64 v48, 0, v48, s0
	;; [unrolled: 5-line block ×4, first 2 shown]
.LBB357_3678:                           ;   in Loop: Header=BB357_2093 Depth=1
	s_or_b32 exec_lo, exec_lo, s14
	flat_load_b64 v[16:17], v[18:19] offset:6144
	v_dual_mov_b32 v3, 0 :: v_dual_mov_b32 v2, 0
	s_mov_b32 s14, exec_lo
	s_wait_loadcnt_dscnt 0x0
	v_and_b32_e32 v4, 0xff, v16
	s_wait_xcnt 0x0
	s_delay_alu instid0(VALU_DEP_1)
	v_cmpx_ne_u16_e32 0, v4
	s_cbranch_execz .LBB357_3686
; %bb.3679:                             ;   in Loop: Header=BB357_2093 Depth=1
	v_bfrev_b32_e32 v2, 1
	s_mov_b32 s15, exec_lo
	v_cmpx_ne_u16_e32 0x80, v4
	s_cbranch_execz .LBB357_3685
; %bb.3680:                             ;   in Loop: Header=BB357_2093 Depth=1
	v_and_b32_e32 v4, 0x7f, v16
	v_mov_b32_e32 v2, 0x7f800001
	s_mov_b32 s16, exec_lo
	s_delay_alu instid0(VALU_DEP_2)
	v_cmpx_ne_u32_e32 0x7f, v4
	s_cbranch_execz .LBB357_3684
; %bb.3681:                             ;   in Loop: Header=BB357_2093 Depth=1
	v_mov_b64_e32 v[22:23], v[16:17]
	v_lshrrev_b32_e32 v2, 3, v4
	s_mov_b32 s17, exec_lo
	v_cmpx_gt_u32_e32 8, v4
; %bb.3682:                             ;   in Loop: Header=BB357_2093 Depth=1
	v_and_b32_e32 v2, 7, v16
	s_delay_alu instid0(VALU_DEP_1) | instskip(NEXT) | instid1(VALU_DEP_1)
	v_clz_i32_u32_e32 v2, v2
	v_min_u32_e32 v2, 32, v2
	s_delay_alu instid0(VALU_DEP_1) | instskip(SKIP_1) | instid1(VALU_DEP_2)
	v_subrev_nc_u32_e32 v4, 28, v2
	v_sub_nc_u32_e32 v2, 29, v2
	v_lshlrev_b64_e32 v[22:23], v4, v[16:17]
; %bb.3683:                             ;   in Loop: Header=BB357_2093 Depth=1
	s_or_b32 exec_lo, exec_lo, s17
	s_delay_alu instid0(VALU_DEP_1) | instskip(NEXT) | instid1(VALU_DEP_3)
	v_dual_lshlrev_b32 v4, 20, v22 :: v_dual_lshlrev_b32 v5, 24, v16
	v_lshl_add_u32 v2, v2, 23, 0x3c000000
	s_delay_alu instid0(VALU_DEP_2) | instskip(NEXT) | instid1(VALU_DEP_3)
	v_and_b32_e32 v4, 0x700000, v4
	v_and_b32_e32 v5, 0x80000000, v5
	s_delay_alu instid0(VALU_DEP_1)
	v_or3_b32 v2, v4, v5, v2
.LBB357_3684:                           ;   in Loop: Header=BB357_2093 Depth=1
	s_or_b32 exec_lo, exec_lo, s16
.LBB357_3685:                           ;   in Loop: Header=BB357_2093 Depth=1
	s_delay_alu instid0(SALU_CYCLE_1)
	s_or_b32 exec_lo, exec_lo, s15
.LBB357_3686:                           ;   in Loop: Header=BB357_2093 Depth=1
	s_delay_alu instid0(SALU_CYCLE_1) | instskip(SKIP_2) | instid1(VALU_DEP_1)
	s_or_b32 exec_lo, exec_lo, s14
	v_lshrrev_b16 v4, 8, v16
	s_mov_b32 s14, exec_lo
	v_cmpx_ne_u16_e32 0, v4
	s_cbranch_execz .LBB357_3694
; %bb.3687:                             ;   in Loop: Header=BB357_2093 Depth=1
	v_bfrev_b32_e32 v3, 1
	s_mov_b32 s15, exec_lo
	v_cmpx_ne_u16_e32 0x80, v4
	s_cbranch_execz .LBB357_3693
; %bb.3688:                             ;   in Loop: Header=BB357_2093 Depth=1
	v_and_b32_e32 v5, 0xffff, v4
	v_mov_b32_e32 v3, 0x7f800001
	s_mov_b32 s16, exec_lo
	s_delay_alu instid0(VALU_DEP_2) | instskip(NEXT) | instid1(VALU_DEP_1)
	v_and_b32_e32 v4, 0x7f, v5
	v_cmpx_ne_u32_e32 0x7f, v4
	s_cbranch_execz .LBB357_3692
; %bb.3689:                             ;   in Loop: Header=BB357_2093 Depth=1
	v_dual_lshrrev_b32 v3, 3, v4 :: v_dual_bitop2_b32 v68, 7, v5 bitop3:0x40
	s_mov_b32 s17, exec_lo
	s_delay_alu instid0(VALU_DEP_1)
	v_mov_b64_e32 v[22:23], v[68:69]
	v_cmpx_gt_u32_e32 8, v4
; %bb.3690:                             ;   in Loop: Header=BB357_2093 Depth=1
	v_clz_i32_u32_e32 v3, v68
	s_delay_alu instid0(VALU_DEP_1) | instskip(NEXT) | instid1(VALU_DEP_1)
	v_min_u32_e32 v3, 32, v3
	v_subrev_nc_u32_e32 v4, 28, v3
	s_delay_alu instid0(VALU_DEP_1) | instskip(NEXT) | instid1(VALU_DEP_1)
	v_lshlrev_b64_e32 v[4:5], v4, v[68:69]
	v_dual_sub_nc_u32 v3, 29, v3 :: v_dual_bitop2_b32 v22, 7, v4 bitop3:0x40
; %bb.3691:                             ;   in Loop: Header=BB357_2093 Depth=1
	s_or_b32 exec_lo, exec_lo, s17
	s_delay_alu instid0(VALU_DEP_1) | instskip(NEXT) | instid1(VALU_DEP_2)
	v_dual_lshlrev_b32 v4, 16, v16 :: v_dual_lshlrev_b32 v5, 20, v22
	v_lshl_add_u32 v3, v3, 23, 0x3c000000
	s_delay_alu instid0(VALU_DEP_2) | instskip(NEXT) | instid1(VALU_DEP_1)
	v_and_b32_e32 v4, 0x80000000, v4
	v_or3_b32 v3, v5, v4, v3
.LBB357_3692:                           ;   in Loop: Header=BB357_2093 Depth=1
	s_or_b32 exec_lo, exec_lo, s16
.LBB357_3693:                           ;   in Loop: Header=BB357_2093 Depth=1
	s_delay_alu instid0(SALU_CYCLE_1)
	s_or_b32 exec_lo, exec_lo, s15
.LBB357_3694:                           ;   in Loop: Header=BB357_2093 Depth=1
	s_delay_alu instid0(SALU_CYCLE_1) | instskip(SKIP_3) | instid1(VALU_DEP_2)
	s_or_b32 exec_lo, exec_lo, s14
	v_dual_mov_b32 v5, 0 :: v_dual_lshrrev_b32 v6, 16, v16
	v_mov_b32_e32 v4, 0
	s_mov_b32 s14, exec_lo
	v_and_b32_e32 v7, 0xff, v6
	s_delay_alu instid0(VALU_DEP_1)
	v_cmpx_ne_u16_e32 0, v7
	s_cbranch_execz .LBB357_3702
; %bb.3695:                             ;   in Loop: Header=BB357_2093 Depth=1
	v_bfrev_b32_e32 v4, 1
	s_mov_b32 s15, exec_lo
	v_cmpx_ne_u16_e32 0x80, v7
	s_cbranch_execz .LBB357_3701
; %bb.3696:                             ;   in Loop: Header=BB357_2093 Depth=1
	v_bfe_u32 v7, v16, 16, 7
	v_mov_b32_e32 v4, 0x7f800001
	s_mov_b32 s16, exec_lo
	s_delay_alu instid0(VALU_DEP_2)
	v_cmpx_ne_u32_e32 0x7f, v7
	s_cbranch_execz .LBB357_3700
; %bb.3697:                             ;   in Loop: Header=BB357_2093 Depth=1
	v_dual_lshrrev_b32 v4, 3, v7 :: v_dual_bitop2_b32 v68, 7, v6 bitop3:0x40
	s_mov_b32 s17, exec_lo
	s_delay_alu instid0(VALU_DEP_1)
	v_mov_b64_e32 v[22:23], v[68:69]
	v_cmpx_gt_u32_e32 8, v7
; %bb.3698:                             ;   in Loop: Header=BB357_2093 Depth=1
	v_clz_i32_u32_e32 v4, v68
	s_delay_alu instid0(VALU_DEP_1) | instskip(NEXT) | instid1(VALU_DEP_1)
	v_min_u32_e32 v4, 32, v4
	v_subrev_nc_u32_e32 v7, 28, v4
	v_sub_nc_u32_e32 v4, 29, v4
	s_delay_alu instid0(VALU_DEP_2) | instskip(NEXT) | instid1(VALU_DEP_1)
	v_lshlrev_b64_e32 v[8:9], v7, v[68:69]
	v_and_b32_e32 v22, 7, v8
; %bb.3699:                             ;   in Loop: Header=BB357_2093 Depth=1
	s_or_b32 exec_lo, exec_lo, s17
	v_lshlrev_b32_e32 v6, 24, v6
	s_delay_alu instid0(VALU_DEP_2) | instskip(SKIP_1) | instid1(VALU_DEP_3)
	v_lshlrev_b32_e32 v7, 20, v22
	v_lshl_add_u32 v4, v4, 23, 0x3c000000
	v_and_b32_e32 v6, 0x80000000, v6
	s_delay_alu instid0(VALU_DEP_1)
	v_or3_b32 v4, v7, v6, v4
.LBB357_3700:                           ;   in Loop: Header=BB357_2093 Depth=1
	s_or_b32 exec_lo, exec_lo, s16
.LBB357_3701:                           ;   in Loop: Header=BB357_2093 Depth=1
	s_delay_alu instid0(SALU_CYCLE_1)
	s_or_b32 exec_lo, exec_lo, s15
.LBB357_3702:                           ;   in Loop: Header=BB357_2093 Depth=1
	s_delay_alu instid0(SALU_CYCLE_1) | instskip(NEXT) | instid1(SALU_CYCLE_1)
	s_or_b32 exec_lo, exec_lo, s14
	s_mov_b32 s14, exec_lo
	v_cmpx_lt_u32_e32 0xffffff, v16
	s_cbranch_execz .LBB357_3710
; %bb.3703:                             ;   in Loop: Header=BB357_2093 Depth=1
	v_lshrrev_b32_e32 v6, 24, v16
	v_bfrev_b32_e32 v5, 1
	s_mov_b32 s15, exec_lo
	s_delay_alu instid0(VALU_DEP_2)
	v_cmpx_ne_u32_e32 0x80, v6
	s_cbranch_execz .LBB357_3709
; %bb.3704:                             ;   in Loop: Header=BB357_2093 Depth=1
	v_bfe_u32 v7, v16, 24, 7
	v_mov_b32_e32 v5, 0x7f800001
	s_mov_b32 s16, exec_lo
	s_delay_alu instid0(VALU_DEP_2)
	v_cmpx_ne_u32_e32 0x7f, v7
	s_cbranch_execz .LBB357_3708
; %bb.3705:                             ;   in Loop: Header=BB357_2093 Depth=1
	v_dual_lshrrev_b32 v5, 3, v7 :: v_dual_bitop2_b32 v68, 7, v6 bitop3:0x40
	s_mov_b32 s17, exec_lo
	s_delay_alu instid0(VALU_DEP_1)
	v_mov_b64_e32 v[22:23], v[68:69]
	v_cmpx_gt_u32_e32 8, v7
; %bb.3706:                             ;   in Loop: Header=BB357_2093 Depth=1
	v_clz_i32_u32_e32 v5, v68
	s_delay_alu instid0(VALU_DEP_1) | instskip(NEXT) | instid1(VALU_DEP_1)
	v_min_u32_e32 v5, 32, v5
	v_subrev_nc_u32_e32 v7, 28, v5
	s_delay_alu instid0(VALU_DEP_1) | instskip(NEXT) | instid1(VALU_DEP_1)
	v_lshlrev_b64_e32 v[8:9], v7, v[68:69]
	v_dual_sub_nc_u32 v5, 29, v5 :: v_dual_bitop2_b32 v22, 7, v8 bitop3:0x40
; %bb.3707:                             ;   in Loop: Header=BB357_2093 Depth=1
	s_or_b32 exec_lo, exec_lo, s17
	v_lshlrev_b32_e32 v6, 24, v6
	s_delay_alu instid0(VALU_DEP_2) | instskip(NEXT) | instid1(VALU_DEP_3)
	v_lshlrev_b32_e32 v7, 20, v22
	v_lshl_add_u32 v5, v5, 23, 0x3c000000
	s_delay_alu instid0(VALU_DEP_3) | instskip(NEXT) | instid1(VALU_DEP_1)
	v_and_b32_e32 v6, 0x80000000, v6
	v_or3_b32 v5, v7, v6, v5
.LBB357_3708:                           ;   in Loop: Header=BB357_2093 Depth=1
	s_or_b32 exec_lo, exec_lo, s16
.LBB357_3709:                           ;   in Loop: Header=BB357_2093 Depth=1
	s_delay_alu instid0(SALU_CYCLE_1)
	s_or_b32 exec_lo, exec_lo, s15
.LBB357_3710:                           ;   in Loop: Header=BB357_2093 Depth=1
	s_delay_alu instid0(SALU_CYCLE_1) | instskip(SKIP_4) | instid1(VALU_DEP_3)
	s_or_b32 exec_lo, exec_lo, s14
	v_and_b32_e32 v8, 0xff, v17
	v_dual_mov_b32 v68, v17 :: v_dual_mov_b32 v7, 0
	v_mov_b32_e32 v6, 0
	s_mov_b32 s14, exec_lo
	v_cmpx_ne_u16_e32 0, v8
	s_cbranch_execz .LBB357_3718
; %bb.3711:                             ;   in Loop: Header=BB357_2093 Depth=1
	v_bfrev_b32_e32 v6, 1
	s_mov_b32 s15, exec_lo
	v_cmpx_ne_u16_e32 0x80, v8
	s_cbranch_execz .LBB357_3717
; %bb.3712:                             ;   in Loop: Header=BB357_2093 Depth=1
	v_and_b32_e32 v8, 0x7f, v17
	v_mov_b32_e32 v6, 0x7f800001
	s_mov_b32 s16, exec_lo
	s_delay_alu instid0(VALU_DEP_2)
	v_cmpx_ne_u32_e32 0x7f, v8
	s_cbranch_execz .LBB357_3716
; %bb.3713:                             ;   in Loop: Header=BB357_2093 Depth=1
	v_mov_b64_e32 v[22:23], v[68:69]
	v_lshrrev_b32_e32 v6, 3, v8
	s_mov_b32 s17, exec_lo
	v_cmpx_gt_u32_e32 8, v8
; %bb.3714:                             ;   in Loop: Header=BB357_2093 Depth=1
	v_and_b32_e32 v6, 7, v17
	s_delay_alu instid0(VALU_DEP_1) | instskip(NEXT) | instid1(VALU_DEP_1)
	v_clz_i32_u32_e32 v6, v6
	v_min_u32_e32 v6, 32, v6
	s_delay_alu instid0(VALU_DEP_1) | instskip(SKIP_1) | instid1(VALU_DEP_2)
	v_subrev_nc_u32_e32 v8, 28, v6
	v_sub_nc_u32_e32 v6, 29, v6
	v_lshlrev_b64_e32 v[22:23], v8, v[68:69]
; %bb.3715:                             ;   in Loop: Header=BB357_2093 Depth=1
	s_or_b32 exec_lo, exec_lo, s17
	s_delay_alu instid0(VALU_DEP_1) | instskip(NEXT) | instid1(VALU_DEP_3)
	v_dual_lshlrev_b32 v8, 20, v22 :: v_dual_lshlrev_b32 v9, 24, v68
	v_lshl_add_u32 v6, v6, 23, 0x3c000000
	s_delay_alu instid0(VALU_DEP_2) | instskip(NEXT) | instid1(VALU_DEP_3)
	v_and_b32_e32 v8, 0x700000, v8
	v_and_b32_e32 v9, 0x80000000, v9
	s_delay_alu instid0(VALU_DEP_1)
	v_or3_b32 v6, v8, v9, v6
.LBB357_3716:                           ;   in Loop: Header=BB357_2093 Depth=1
	s_or_b32 exec_lo, exec_lo, s16
.LBB357_3717:                           ;   in Loop: Header=BB357_2093 Depth=1
	s_delay_alu instid0(SALU_CYCLE_1)
	s_or_b32 exec_lo, exec_lo, s15
.LBB357_3718:                           ;   in Loop: Header=BB357_2093 Depth=1
	s_delay_alu instid0(SALU_CYCLE_1) | instskip(SKIP_2) | instid1(VALU_DEP_1)
	s_or_b32 exec_lo, exec_lo, s14
	v_lshrrev_b16 v8, 8, v68
	s_mov_b32 s14, exec_lo
	v_cmpx_ne_u16_e32 0, v8
	s_cbranch_execz .LBB357_3726
; %bb.3719:                             ;   in Loop: Header=BB357_2093 Depth=1
	v_bfrev_b32_e32 v7, 1
	s_mov_b32 s15, exec_lo
	v_cmpx_ne_u16_e32 0x80, v8
	s_cbranch_execz .LBB357_3725
; %bb.3720:                             ;   in Loop: Header=BB357_2093 Depth=1
	v_and_b32_e32 v9, 0xffff, v8
	v_mov_b32_e32 v7, 0x7f800001
	s_mov_b32 s16, exec_lo
	s_delay_alu instid0(VALU_DEP_2) | instskip(NEXT) | instid1(VALU_DEP_1)
	v_and_b32_e32 v8, 0x7f, v9
	v_cmpx_ne_u32_e32 0x7f, v8
	s_cbranch_execz .LBB357_3724
; %bb.3721:                             ;   in Loop: Header=BB357_2093 Depth=1
	v_dual_mov_b32 v23, v69 :: v_dual_bitop2_b32 v22, 7, v9 bitop3:0x40
	v_lshrrev_b32_e32 v7, 3, v8
	s_mov_b32 s17, exec_lo
	v_cmpx_gt_u32_e32 8, v8
; %bb.3722:                             ;   in Loop: Header=BB357_2093 Depth=1
	s_delay_alu instid0(VALU_DEP_3) | instskip(NEXT) | instid1(VALU_DEP_1)
	v_clz_i32_u32_e32 v7, v22
	v_min_u32_e32 v7, 32, v7
	s_delay_alu instid0(VALU_DEP_1) | instskip(NEXT) | instid1(VALU_DEP_1)
	v_subrev_nc_u32_e32 v8, 28, v7
	v_lshlrev_b64_e32 v[8:9], v8, v[22:23]
	s_delay_alu instid0(VALU_DEP_1)
	v_dual_sub_nc_u32 v7, 29, v7 :: v_dual_bitop2_b32 v22, 7, v8 bitop3:0x40
; %bb.3723:                             ;   in Loop: Header=BB357_2093 Depth=1
	s_or_b32 exec_lo, exec_lo, s17
	s_delay_alu instid0(VALU_DEP_1) | instskip(NEXT) | instid1(VALU_DEP_2)
	v_dual_lshlrev_b32 v8, 16, v68 :: v_dual_lshlrev_b32 v9, 20, v22
	v_lshl_add_u32 v7, v7, 23, 0x3c000000
	s_delay_alu instid0(VALU_DEP_2) | instskip(NEXT) | instid1(VALU_DEP_1)
	v_and_b32_e32 v8, 0x80000000, v8
	v_or3_b32 v7, v9, v8, v7
.LBB357_3724:                           ;   in Loop: Header=BB357_2093 Depth=1
	s_or_b32 exec_lo, exec_lo, s16
.LBB357_3725:                           ;   in Loop: Header=BB357_2093 Depth=1
	s_delay_alu instid0(SALU_CYCLE_1)
	s_or_b32 exec_lo, exec_lo, s15
.LBB357_3726:                           ;   in Loop: Header=BB357_2093 Depth=1
	s_delay_alu instid0(SALU_CYCLE_1) | instskip(SKIP_3) | instid1(VALU_DEP_2)
	s_or_b32 exec_lo, exec_lo, s14
	v_dual_lshrrev_b32 v10, 16, v17 :: v_dual_mov_b32 v8, 0
	v_mov_b32_e32 v9, 0
	s_mov_b32 s14, exec_lo
	v_and_b32_e32 v11, 0xff, v10
	s_delay_alu instid0(VALU_DEP_1)
	v_cmpx_ne_u16_e32 0, v11
	s_cbranch_execz .LBB357_3734
; %bb.3727:                             ;   in Loop: Header=BB357_2093 Depth=1
	v_bfrev_b32_e32 v9, 1
	s_mov_b32 s15, exec_lo
	v_cmpx_ne_u16_e32 0x80, v11
	s_cbranch_execz .LBB357_3733
; %bb.3728:                             ;   in Loop: Header=BB357_2093 Depth=1
	v_bfe_u32 v11, v17, 16, 7
	v_mov_b32_e32 v9, 0x7f800001
	s_mov_b32 s16, exec_lo
	s_delay_alu instid0(VALU_DEP_2)
	v_cmpx_ne_u32_e32 0x7f, v11
	s_cbranch_execz .LBB357_3732
; %bb.3729:                             ;   in Loop: Header=BB357_2093 Depth=1
	v_dual_lshrrev_b32 v9, 3, v11 :: v_dual_bitop2_b32 v68, 7, v10 bitop3:0x40
	s_mov_b32 s17, exec_lo
	s_delay_alu instid0(VALU_DEP_1)
	v_mov_b64_e32 v[22:23], v[68:69]
	v_cmpx_gt_u32_e32 8, v11
; %bb.3730:                             ;   in Loop: Header=BB357_2093 Depth=1
	v_clz_i32_u32_e32 v9, v68
	s_delay_alu instid0(VALU_DEP_1) | instskip(NEXT) | instid1(VALU_DEP_1)
	v_min_u32_e32 v9, 32, v9
	v_subrev_nc_u32_e32 v11, 28, v9
	s_delay_alu instid0(VALU_DEP_1) | instskip(NEXT) | instid1(VALU_DEP_1)
	v_lshlrev_b64_e32 v[12:13], v11, v[68:69]
	v_dual_sub_nc_u32 v9, 29, v9 :: v_dual_bitop2_b32 v22, 7, v12 bitop3:0x40
; %bb.3731:                             ;   in Loop: Header=BB357_2093 Depth=1
	s_or_b32 exec_lo, exec_lo, s17
	v_lshlrev_b32_e32 v10, 24, v10
	s_delay_alu instid0(VALU_DEP_2) | instskip(NEXT) | instid1(VALU_DEP_3)
	v_lshlrev_b32_e32 v11, 20, v22
	v_lshl_add_u32 v9, v9, 23, 0x3c000000
	s_delay_alu instid0(VALU_DEP_3) | instskip(NEXT) | instid1(VALU_DEP_1)
	v_and_b32_e32 v10, 0x80000000, v10
	v_or3_b32 v9, v11, v10, v9
.LBB357_3732:                           ;   in Loop: Header=BB357_2093 Depth=1
	s_or_b32 exec_lo, exec_lo, s16
.LBB357_3733:                           ;   in Loop: Header=BB357_2093 Depth=1
	s_delay_alu instid0(SALU_CYCLE_1)
	s_or_b32 exec_lo, exec_lo, s15
.LBB357_3734:                           ;   in Loop: Header=BB357_2093 Depth=1
	s_delay_alu instid0(SALU_CYCLE_1) | instskip(NEXT) | instid1(SALU_CYCLE_1)
	s_or_b32 exec_lo, exec_lo, s14
	s_mov_b32 s14, exec_lo
	v_cmpx_lt_u64_e64 s[2:3], v[16:17]
	s_cbranch_execz .LBB357_3742
; %bb.3735:                             ;   in Loop: Header=BB357_2093 Depth=1
	v_lshrrev_b32_e32 v10, 24, v17
	v_bfrev_b32_e32 v8, 1
	s_mov_b32 s15, exec_lo
	s_delay_alu instid0(VALU_DEP_2)
	v_cmpx_ne_u32_e32 0x80, v10
	s_cbranch_execz .LBB357_3741
; %bb.3736:                             ;   in Loop: Header=BB357_2093 Depth=1
	v_bfe_u32 v11, v17, 24, 7
	v_mov_b32_e32 v8, 0x7f800001
	s_mov_b32 s16, exec_lo
	s_delay_alu instid0(VALU_DEP_2)
	v_cmpx_ne_u32_e32 0x7f, v11
	s_cbranch_execz .LBB357_3740
; %bb.3737:                             ;   in Loop: Header=BB357_2093 Depth=1
	v_dual_lshrrev_b32 v8, 3, v11 :: v_dual_bitop2_b32 v68, 7, v10 bitop3:0x40
	s_mov_b32 s17, exec_lo
	s_delay_alu instid0(VALU_DEP_1)
	v_mov_b64_e32 v[16:17], v[68:69]
	v_cmpx_gt_u32_e32 8, v11
; %bb.3738:                             ;   in Loop: Header=BB357_2093 Depth=1
	v_clz_i32_u32_e32 v8, v68
	s_delay_alu instid0(VALU_DEP_1) | instskip(NEXT) | instid1(VALU_DEP_1)
	v_min_u32_e32 v8, 32, v8
	v_subrev_nc_u32_e32 v11, 28, v8
	v_sub_nc_u32_e32 v8, 29, v8
	s_delay_alu instid0(VALU_DEP_2) | instskip(NEXT) | instid1(VALU_DEP_1)
	v_lshlrev_b64_e32 v[12:13], v11, v[68:69]
	v_and_b32_e32 v16, 7, v12
; %bb.3739:                             ;   in Loop: Header=BB357_2093 Depth=1
	s_or_b32 exec_lo, exec_lo, s17
	s_delay_alu instid0(VALU_DEP_1) | instskip(SKIP_1) | instid1(VALU_DEP_2)
	v_dual_lshlrev_b32 v10, 24, v10 :: v_dual_lshlrev_b32 v11, 20, v16
	v_lshl_add_u32 v8, v8, 23, 0x3c000000
	v_and_b32_e32 v10, 0x80000000, v10
	s_delay_alu instid0(VALU_DEP_1)
	v_or3_b32 v8, v11, v10, v8
.LBB357_3740:                           ;   in Loop: Header=BB357_2093 Depth=1
	s_or_b32 exec_lo, exec_lo, s16
.LBB357_3741:                           ;   in Loop: Header=BB357_2093 Depth=1
	s_delay_alu instid0(SALU_CYCLE_1)
	s_or_b32 exec_lo, exec_lo, s15
.LBB357_3742:                           ;   in Loop: Header=BB357_2093 Depth=1
	s_delay_alu instid0(SALU_CYCLE_1)
	s_or_b32 exec_lo, exec_lo, s14
	v_fma_mixlo_bf16 v52, v75, v7, 0
	v_fma_mixlo_bf16 v53, v75, v6, 0
	;; [unrolled: 1-line block ×8, first 2 shown]
	s_and_saveexec_b32 s14, vcc_lo
	s_cbranch_execz .LBB357_3744
; %bb.3743:                             ;   in Loop: Header=BB357_2093 Depth=1
	v_cmp_lt_i32_e64 s0, v74, v42
	s_delay_alu instid0(VALU_DEP_1) | instskip(SKIP_1) | instid1(VALU_DEP_1)
	v_cndmask_b32_e64 v67, 0, v67, s0
	v_cmp_lt_i32_e64 s0, v106, v42
	v_cndmask_b32_e64 v66, 0, v66, s0
	v_cmp_lt_i32_e64 s0, v105, v42
	s_delay_alu instid0(VALU_DEP_1) | instskip(SKIP_1) | instid1(VALU_DEP_1)
	v_cndmask_b32_e64 v65, 0, v65, s0
	v_cmp_lt_i32_e64 s0, v104, v42
	v_cndmask_b32_e64 v55, 0, v55, s0
	;; [unrolled: 5-line block ×4, first 2 shown]
.LBB357_3744:                           ;   in Loop: Header=BB357_2093 Depth=1
	s_or_b32 exec_lo, exec_lo, s14
	flat_load_b64 v[16:17], v[18:19] offset:6400
	v_dual_mov_b32 v3, 0 :: v_dual_mov_b32 v2, 0
	s_mov_b32 s14, exec_lo
	s_wait_loadcnt_dscnt 0x0
	v_and_b32_e32 v4, 0xff, v16
	s_wait_xcnt 0x0
	s_delay_alu instid0(VALU_DEP_1)
	v_cmpx_ne_u16_e32 0, v4
	s_cbranch_execz .LBB357_3752
; %bb.3745:                             ;   in Loop: Header=BB357_2093 Depth=1
	v_bfrev_b32_e32 v2, 1
	s_mov_b32 s15, exec_lo
	v_cmpx_ne_u16_e32 0x80, v4
	s_cbranch_execz .LBB357_3751
; %bb.3746:                             ;   in Loop: Header=BB357_2093 Depth=1
	v_and_b32_e32 v4, 0x7f, v16
	v_mov_b32_e32 v2, 0x7f800001
	s_mov_b32 s16, exec_lo
	s_delay_alu instid0(VALU_DEP_2)
	v_cmpx_ne_u32_e32 0x7f, v4
	s_cbranch_execz .LBB357_3750
; %bb.3747:                             ;   in Loop: Header=BB357_2093 Depth=1
	v_mov_b64_e32 v[22:23], v[16:17]
	v_lshrrev_b32_e32 v2, 3, v4
	s_mov_b32 s17, exec_lo
	v_cmpx_gt_u32_e32 8, v4
; %bb.3748:                             ;   in Loop: Header=BB357_2093 Depth=1
	v_and_b32_e32 v2, 7, v16
	s_delay_alu instid0(VALU_DEP_1) | instskip(NEXT) | instid1(VALU_DEP_1)
	v_clz_i32_u32_e32 v2, v2
	v_min_u32_e32 v2, 32, v2
	s_delay_alu instid0(VALU_DEP_1) | instskip(SKIP_1) | instid1(VALU_DEP_2)
	v_subrev_nc_u32_e32 v4, 28, v2
	v_sub_nc_u32_e32 v2, 29, v2
	v_lshlrev_b64_e32 v[22:23], v4, v[16:17]
; %bb.3749:                             ;   in Loop: Header=BB357_2093 Depth=1
	s_or_b32 exec_lo, exec_lo, s17
	s_delay_alu instid0(VALU_DEP_1) | instskip(NEXT) | instid1(VALU_DEP_3)
	v_dual_lshlrev_b32 v4, 20, v22 :: v_dual_lshlrev_b32 v5, 24, v16
	v_lshl_add_u32 v2, v2, 23, 0x3c000000
	s_delay_alu instid0(VALU_DEP_2) | instskip(NEXT) | instid1(VALU_DEP_3)
	v_and_b32_e32 v4, 0x700000, v4
	v_and_b32_e32 v5, 0x80000000, v5
	s_delay_alu instid0(VALU_DEP_1)
	v_or3_b32 v2, v4, v5, v2
.LBB357_3750:                           ;   in Loop: Header=BB357_2093 Depth=1
	s_or_b32 exec_lo, exec_lo, s16
.LBB357_3751:                           ;   in Loop: Header=BB357_2093 Depth=1
	s_delay_alu instid0(SALU_CYCLE_1)
	s_or_b32 exec_lo, exec_lo, s15
.LBB357_3752:                           ;   in Loop: Header=BB357_2093 Depth=1
	s_delay_alu instid0(SALU_CYCLE_1) | instskip(SKIP_2) | instid1(VALU_DEP_1)
	s_or_b32 exec_lo, exec_lo, s14
	v_lshrrev_b16 v4, 8, v16
	s_mov_b32 s14, exec_lo
	v_cmpx_ne_u16_e32 0, v4
	s_cbranch_execz .LBB357_3760
; %bb.3753:                             ;   in Loop: Header=BB357_2093 Depth=1
	v_bfrev_b32_e32 v3, 1
	s_mov_b32 s15, exec_lo
	v_cmpx_ne_u16_e32 0x80, v4
	s_cbranch_execz .LBB357_3759
; %bb.3754:                             ;   in Loop: Header=BB357_2093 Depth=1
	v_and_b32_e32 v5, 0xffff, v4
	v_mov_b32_e32 v3, 0x7f800001
	s_mov_b32 s16, exec_lo
	s_delay_alu instid0(VALU_DEP_2) | instskip(NEXT) | instid1(VALU_DEP_1)
	v_and_b32_e32 v4, 0x7f, v5
	v_cmpx_ne_u32_e32 0x7f, v4
	s_cbranch_execz .LBB357_3758
; %bb.3755:                             ;   in Loop: Header=BB357_2093 Depth=1
	v_dual_lshrrev_b32 v3, 3, v4 :: v_dual_bitop2_b32 v68, 7, v5 bitop3:0x40
	s_mov_b32 s17, exec_lo
	s_delay_alu instid0(VALU_DEP_1)
	v_mov_b64_e32 v[22:23], v[68:69]
	v_cmpx_gt_u32_e32 8, v4
; %bb.3756:                             ;   in Loop: Header=BB357_2093 Depth=1
	v_clz_i32_u32_e32 v3, v68
	s_delay_alu instid0(VALU_DEP_1) | instskip(NEXT) | instid1(VALU_DEP_1)
	v_min_u32_e32 v3, 32, v3
	v_subrev_nc_u32_e32 v4, 28, v3
	s_delay_alu instid0(VALU_DEP_1) | instskip(NEXT) | instid1(VALU_DEP_1)
	v_lshlrev_b64_e32 v[4:5], v4, v[68:69]
	v_dual_sub_nc_u32 v3, 29, v3 :: v_dual_bitop2_b32 v22, 7, v4 bitop3:0x40
; %bb.3757:                             ;   in Loop: Header=BB357_2093 Depth=1
	s_or_b32 exec_lo, exec_lo, s17
	s_delay_alu instid0(VALU_DEP_1) | instskip(NEXT) | instid1(VALU_DEP_2)
	v_dual_lshlrev_b32 v4, 16, v16 :: v_dual_lshlrev_b32 v5, 20, v22
	v_lshl_add_u32 v3, v3, 23, 0x3c000000
	s_delay_alu instid0(VALU_DEP_2) | instskip(NEXT) | instid1(VALU_DEP_1)
	v_and_b32_e32 v4, 0x80000000, v4
	v_or3_b32 v3, v5, v4, v3
.LBB357_3758:                           ;   in Loop: Header=BB357_2093 Depth=1
	s_or_b32 exec_lo, exec_lo, s16
.LBB357_3759:                           ;   in Loop: Header=BB357_2093 Depth=1
	s_delay_alu instid0(SALU_CYCLE_1)
	s_or_b32 exec_lo, exec_lo, s15
.LBB357_3760:                           ;   in Loop: Header=BB357_2093 Depth=1
	s_delay_alu instid0(SALU_CYCLE_1) | instskip(SKIP_3) | instid1(VALU_DEP_2)
	s_or_b32 exec_lo, exec_lo, s14
	v_dual_lshrrev_b32 v6, 16, v16 :: v_dual_mov_b32 v4, 0
	v_mov_b32_e32 v5, 0
	s_mov_b32 s14, exec_lo
	v_and_b32_e32 v7, 0xff, v6
	s_delay_alu instid0(VALU_DEP_1)
	v_cmpx_ne_u16_e32 0, v7
	s_cbranch_execz .LBB357_3768
; %bb.3761:                             ;   in Loop: Header=BB357_2093 Depth=1
	v_bfrev_b32_e32 v5, 1
	s_mov_b32 s15, exec_lo
	v_cmpx_ne_u16_e32 0x80, v7
	s_cbranch_execz .LBB357_3767
; %bb.3762:                             ;   in Loop: Header=BB357_2093 Depth=1
	v_bfe_u32 v7, v16, 16, 7
	v_mov_b32_e32 v5, 0x7f800001
	s_mov_b32 s16, exec_lo
	s_delay_alu instid0(VALU_DEP_2)
	v_cmpx_ne_u32_e32 0x7f, v7
	s_cbranch_execz .LBB357_3766
; %bb.3763:                             ;   in Loop: Header=BB357_2093 Depth=1
	v_dual_lshrrev_b32 v5, 3, v7 :: v_dual_bitop2_b32 v68, 7, v6 bitop3:0x40
	s_mov_b32 s17, exec_lo
	s_delay_alu instid0(VALU_DEP_1)
	v_mov_b64_e32 v[22:23], v[68:69]
	v_cmpx_gt_u32_e32 8, v7
; %bb.3764:                             ;   in Loop: Header=BB357_2093 Depth=1
	v_clz_i32_u32_e32 v5, v68
	s_delay_alu instid0(VALU_DEP_1) | instskip(NEXT) | instid1(VALU_DEP_1)
	v_min_u32_e32 v5, 32, v5
	v_subrev_nc_u32_e32 v7, 28, v5
	s_delay_alu instid0(VALU_DEP_1) | instskip(NEXT) | instid1(VALU_DEP_1)
	v_lshlrev_b64_e32 v[8:9], v7, v[68:69]
	v_dual_sub_nc_u32 v5, 29, v5 :: v_dual_bitop2_b32 v22, 7, v8 bitop3:0x40
; %bb.3765:                             ;   in Loop: Header=BB357_2093 Depth=1
	s_or_b32 exec_lo, exec_lo, s17
	v_lshlrev_b32_e32 v6, 24, v6
	s_delay_alu instid0(VALU_DEP_2) | instskip(NEXT) | instid1(VALU_DEP_3)
	v_lshlrev_b32_e32 v7, 20, v22
	v_lshl_add_u32 v5, v5, 23, 0x3c000000
	s_delay_alu instid0(VALU_DEP_3) | instskip(NEXT) | instid1(VALU_DEP_1)
	v_and_b32_e32 v6, 0x80000000, v6
	v_or3_b32 v5, v7, v6, v5
.LBB357_3766:                           ;   in Loop: Header=BB357_2093 Depth=1
	s_or_b32 exec_lo, exec_lo, s16
.LBB357_3767:                           ;   in Loop: Header=BB357_2093 Depth=1
	s_delay_alu instid0(SALU_CYCLE_1)
	s_or_b32 exec_lo, exec_lo, s15
.LBB357_3768:                           ;   in Loop: Header=BB357_2093 Depth=1
	s_delay_alu instid0(SALU_CYCLE_1) | instskip(NEXT) | instid1(SALU_CYCLE_1)
	s_or_b32 exec_lo, exec_lo, s14
	s_mov_b32 s14, exec_lo
	v_cmpx_lt_u32_e32 0xffffff, v16
	s_cbranch_execz .LBB357_3776
; %bb.3769:                             ;   in Loop: Header=BB357_2093 Depth=1
	v_lshrrev_b32_e32 v6, 24, v16
	v_bfrev_b32_e32 v4, 1
	s_mov_b32 s15, exec_lo
	s_delay_alu instid0(VALU_DEP_2)
	v_cmpx_ne_u32_e32 0x80, v6
	s_cbranch_execz .LBB357_3775
; %bb.3770:                             ;   in Loop: Header=BB357_2093 Depth=1
	v_bfe_u32 v7, v16, 24, 7
	v_mov_b32_e32 v4, 0x7f800001
	s_mov_b32 s16, exec_lo
	s_delay_alu instid0(VALU_DEP_2)
	v_cmpx_ne_u32_e32 0x7f, v7
	s_cbranch_execz .LBB357_3774
; %bb.3771:                             ;   in Loop: Header=BB357_2093 Depth=1
	v_dual_lshrrev_b32 v4, 3, v7 :: v_dual_bitop2_b32 v68, 7, v6 bitop3:0x40
	s_mov_b32 s17, exec_lo
	s_delay_alu instid0(VALU_DEP_1)
	v_mov_b64_e32 v[22:23], v[68:69]
	v_cmpx_gt_u32_e32 8, v7
; %bb.3772:                             ;   in Loop: Header=BB357_2093 Depth=1
	v_clz_i32_u32_e32 v4, v68
	s_delay_alu instid0(VALU_DEP_1) | instskip(NEXT) | instid1(VALU_DEP_1)
	v_min_u32_e32 v4, 32, v4
	v_subrev_nc_u32_e32 v7, 28, v4
	v_sub_nc_u32_e32 v4, 29, v4
	s_delay_alu instid0(VALU_DEP_2) | instskip(NEXT) | instid1(VALU_DEP_1)
	v_lshlrev_b64_e32 v[8:9], v7, v[68:69]
	v_and_b32_e32 v22, 7, v8
; %bb.3773:                             ;   in Loop: Header=BB357_2093 Depth=1
	s_or_b32 exec_lo, exec_lo, s17
	v_lshlrev_b32_e32 v6, 24, v6
	s_delay_alu instid0(VALU_DEP_2) | instskip(SKIP_1) | instid1(VALU_DEP_3)
	v_lshlrev_b32_e32 v7, 20, v22
	v_lshl_add_u32 v4, v4, 23, 0x3c000000
	v_and_b32_e32 v6, 0x80000000, v6
	s_delay_alu instid0(VALU_DEP_1)
	v_or3_b32 v4, v7, v6, v4
.LBB357_3774:                           ;   in Loop: Header=BB357_2093 Depth=1
	s_or_b32 exec_lo, exec_lo, s16
.LBB357_3775:                           ;   in Loop: Header=BB357_2093 Depth=1
	s_delay_alu instid0(SALU_CYCLE_1)
	s_or_b32 exec_lo, exec_lo, s15
.LBB357_3776:                           ;   in Loop: Header=BB357_2093 Depth=1
	s_delay_alu instid0(SALU_CYCLE_1) | instskip(SKIP_4) | instid1(VALU_DEP_3)
	s_or_b32 exec_lo, exec_lo, s14
	v_and_b32_e32 v8, 0xff, v17
	v_dual_mov_b32 v68, v17 :: v_dual_mov_b32 v7, 0
	v_mov_b32_e32 v6, 0
	s_mov_b32 s14, exec_lo
	v_cmpx_ne_u16_e32 0, v8
	s_cbranch_execz .LBB357_3784
; %bb.3777:                             ;   in Loop: Header=BB357_2093 Depth=1
	v_bfrev_b32_e32 v6, 1
	s_mov_b32 s15, exec_lo
	v_cmpx_ne_u16_e32 0x80, v8
	s_cbranch_execz .LBB357_3783
; %bb.3778:                             ;   in Loop: Header=BB357_2093 Depth=1
	v_and_b32_e32 v8, 0x7f, v17
	v_mov_b32_e32 v6, 0x7f800001
	s_mov_b32 s16, exec_lo
	s_delay_alu instid0(VALU_DEP_2)
	v_cmpx_ne_u32_e32 0x7f, v8
	s_cbranch_execz .LBB357_3782
; %bb.3779:                             ;   in Loop: Header=BB357_2093 Depth=1
	v_mov_b64_e32 v[22:23], v[68:69]
	v_lshrrev_b32_e32 v6, 3, v8
	s_mov_b32 s17, exec_lo
	v_cmpx_gt_u32_e32 8, v8
; %bb.3780:                             ;   in Loop: Header=BB357_2093 Depth=1
	v_and_b32_e32 v6, 7, v17
	s_delay_alu instid0(VALU_DEP_1) | instskip(NEXT) | instid1(VALU_DEP_1)
	v_clz_i32_u32_e32 v6, v6
	v_min_u32_e32 v6, 32, v6
	s_delay_alu instid0(VALU_DEP_1) | instskip(SKIP_1) | instid1(VALU_DEP_2)
	v_subrev_nc_u32_e32 v8, 28, v6
	v_sub_nc_u32_e32 v6, 29, v6
	v_lshlrev_b64_e32 v[22:23], v8, v[68:69]
; %bb.3781:                             ;   in Loop: Header=BB357_2093 Depth=1
	s_or_b32 exec_lo, exec_lo, s17
	s_delay_alu instid0(VALU_DEP_1) | instskip(NEXT) | instid1(VALU_DEP_3)
	v_dual_lshlrev_b32 v8, 20, v22 :: v_dual_lshlrev_b32 v9, 24, v68
	v_lshl_add_u32 v6, v6, 23, 0x3c000000
	s_delay_alu instid0(VALU_DEP_2) | instskip(NEXT) | instid1(VALU_DEP_3)
	v_and_b32_e32 v8, 0x700000, v8
	v_and_b32_e32 v9, 0x80000000, v9
	s_delay_alu instid0(VALU_DEP_1)
	v_or3_b32 v6, v8, v9, v6
.LBB357_3782:                           ;   in Loop: Header=BB357_2093 Depth=1
	s_or_b32 exec_lo, exec_lo, s16
.LBB357_3783:                           ;   in Loop: Header=BB357_2093 Depth=1
	s_delay_alu instid0(SALU_CYCLE_1)
	s_or_b32 exec_lo, exec_lo, s15
.LBB357_3784:                           ;   in Loop: Header=BB357_2093 Depth=1
	s_delay_alu instid0(SALU_CYCLE_1) | instskip(SKIP_2) | instid1(VALU_DEP_1)
	s_or_b32 exec_lo, exec_lo, s14
	v_lshrrev_b16 v8, 8, v68
	s_mov_b32 s14, exec_lo
	v_cmpx_ne_u16_e32 0, v8
	s_cbranch_execz .LBB357_3792
; %bb.3785:                             ;   in Loop: Header=BB357_2093 Depth=1
	v_bfrev_b32_e32 v7, 1
	s_mov_b32 s15, exec_lo
	v_cmpx_ne_u16_e32 0x80, v8
	s_cbranch_execz .LBB357_3791
; %bb.3786:                             ;   in Loop: Header=BB357_2093 Depth=1
	v_and_b32_e32 v9, 0xffff, v8
	v_mov_b32_e32 v7, 0x7f800001
	s_mov_b32 s16, exec_lo
	s_delay_alu instid0(VALU_DEP_2) | instskip(NEXT) | instid1(VALU_DEP_1)
	v_and_b32_e32 v8, 0x7f, v9
	v_cmpx_ne_u32_e32 0x7f, v8
	s_cbranch_execz .LBB357_3790
; %bb.3787:                             ;   in Loop: Header=BB357_2093 Depth=1
	v_dual_mov_b32 v23, v69 :: v_dual_bitop2_b32 v22, 7, v9 bitop3:0x40
	v_lshrrev_b32_e32 v7, 3, v8
	s_mov_b32 s17, exec_lo
	v_cmpx_gt_u32_e32 8, v8
; %bb.3788:                             ;   in Loop: Header=BB357_2093 Depth=1
	s_delay_alu instid0(VALU_DEP_3) | instskip(NEXT) | instid1(VALU_DEP_1)
	v_clz_i32_u32_e32 v7, v22
	v_min_u32_e32 v7, 32, v7
	s_delay_alu instid0(VALU_DEP_1) | instskip(NEXT) | instid1(VALU_DEP_1)
	v_subrev_nc_u32_e32 v8, 28, v7
	v_lshlrev_b64_e32 v[8:9], v8, v[22:23]
	s_delay_alu instid0(VALU_DEP_1)
	v_dual_sub_nc_u32 v7, 29, v7 :: v_dual_bitop2_b32 v22, 7, v8 bitop3:0x40
; %bb.3789:                             ;   in Loop: Header=BB357_2093 Depth=1
	s_or_b32 exec_lo, exec_lo, s17
	s_delay_alu instid0(VALU_DEP_1) | instskip(NEXT) | instid1(VALU_DEP_2)
	v_dual_lshlrev_b32 v8, 16, v68 :: v_dual_lshlrev_b32 v9, 20, v22
	v_lshl_add_u32 v7, v7, 23, 0x3c000000
	s_delay_alu instid0(VALU_DEP_2) | instskip(NEXT) | instid1(VALU_DEP_1)
	v_and_b32_e32 v8, 0x80000000, v8
	v_or3_b32 v7, v9, v8, v7
.LBB357_3790:                           ;   in Loop: Header=BB357_2093 Depth=1
	s_or_b32 exec_lo, exec_lo, s16
.LBB357_3791:                           ;   in Loop: Header=BB357_2093 Depth=1
	s_delay_alu instid0(SALU_CYCLE_1)
	s_or_b32 exec_lo, exec_lo, s15
.LBB357_3792:                           ;   in Loop: Header=BB357_2093 Depth=1
	s_delay_alu instid0(SALU_CYCLE_1) | instskip(SKIP_3) | instid1(VALU_DEP_2)
	s_or_b32 exec_lo, exec_lo, s14
	v_dual_lshrrev_b32 v10, 16, v17 :: v_dual_mov_b32 v8, 0
	v_mov_b32_e32 v9, 0
	s_mov_b32 s14, exec_lo
	v_and_b32_e32 v11, 0xff, v10
	s_delay_alu instid0(VALU_DEP_1)
	v_cmpx_ne_u16_e32 0, v11
	s_cbranch_execz .LBB357_3800
; %bb.3793:                             ;   in Loop: Header=BB357_2093 Depth=1
	v_bfrev_b32_e32 v9, 1
	s_mov_b32 s15, exec_lo
	v_cmpx_ne_u16_e32 0x80, v11
	s_cbranch_execz .LBB357_3799
; %bb.3794:                             ;   in Loop: Header=BB357_2093 Depth=1
	v_bfe_u32 v11, v17, 16, 7
	v_mov_b32_e32 v9, 0x7f800001
	s_mov_b32 s16, exec_lo
	s_delay_alu instid0(VALU_DEP_2)
	v_cmpx_ne_u32_e32 0x7f, v11
	s_cbranch_execz .LBB357_3798
; %bb.3795:                             ;   in Loop: Header=BB357_2093 Depth=1
	v_dual_lshrrev_b32 v9, 3, v11 :: v_dual_bitop2_b32 v68, 7, v10 bitop3:0x40
	s_mov_b32 s17, exec_lo
	s_delay_alu instid0(VALU_DEP_1)
	v_mov_b64_e32 v[22:23], v[68:69]
	v_cmpx_gt_u32_e32 8, v11
; %bb.3796:                             ;   in Loop: Header=BB357_2093 Depth=1
	v_clz_i32_u32_e32 v9, v68
	s_delay_alu instid0(VALU_DEP_1) | instskip(NEXT) | instid1(VALU_DEP_1)
	v_min_u32_e32 v9, 32, v9
	v_subrev_nc_u32_e32 v11, 28, v9
	s_delay_alu instid0(VALU_DEP_1) | instskip(NEXT) | instid1(VALU_DEP_1)
	v_lshlrev_b64_e32 v[12:13], v11, v[68:69]
	v_dual_sub_nc_u32 v9, 29, v9 :: v_dual_bitop2_b32 v22, 7, v12 bitop3:0x40
; %bb.3797:                             ;   in Loop: Header=BB357_2093 Depth=1
	s_or_b32 exec_lo, exec_lo, s17
	v_lshlrev_b32_e32 v10, 24, v10
	s_delay_alu instid0(VALU_DEP_2) | instskip(NEXT) | instid1(VALU_DEP_3)
	v_lshlrev_b32_e32 v11, 20, v22
	v_lshl_add_u32 v9, v9, 23, 0x3c000000
	s_delay_alu instid0(VALU_DEP_3) | instskip(NEXT) | instid1(VALU_DEP_1)
	v_and_b32_e32 v10, 0x80000000, v10
	v_or3_b32 v9, v11, v10, v9
.LBB357_3798:                           ;   in Loop: Header=BB357_2093 Depth=1
	s_or_b32 exec_lo, exec_lo, s16
.LBB357_3799:                           ;   in Loop: Header=BB357_2093 Depth=1
	s_delay_alu instid0(SALU_CYCLE_1)
	s_or_b32 exec_lo, exec_lo, s15
.LBB357_3800:                           ;   in Loop: Header=BB357_2093 Depth=1
	s_delay_alu instid0(SALU_CYCLE_1) | instskip(NEXT) | instid1(SALU_CYCLE_1)
	s_or_b32 exec_lo, exec_lo, s14
	s_mov_b32 s14, exec_lo
	v_cmpx_lt_u64_e64 s[2:3], v[16:17]
	s_cbranch_execz .LBB357_3808
; %bb.3801:                             ;   in Loop: Header=BB357_2093 Depth=1
	v_lshrrev_b32_e32 v10, 24, v17
	v_bfrev_b32_e32 v8, 1
	s_mov_b32 s15, exec_lo
	s_delay_alu instid0(VALU_DEP_2)
	v_cmpx_ne_u32_e32 0x80, v10
	s_cbranch_execz .LBB357_3807
; %bb.3802:                             ;   in Loop: Header=BB357_2093 Depth=1
	v_bfe_u32 v11, v17, 24, 7
	v_mov_b32_e32 v8, 0x7f800001
	s_mov_b32 s16, exec_lo
	s_delay_alu instid0(VALU_DEP_2)
	v_cmpx_ne_u32_e32 0x7f, v11
	s_cbranch_execz .LBB357_3806
; %bb.3803:                             ;   in Loop: Header=BB357_2093 Depth=1
	v_dual_lshrrev_b32 v8, 3, v11 :: v_dual_bitop2_b32 v68, 7, v10 bitop3:0x40
	s_mov_b32 s17, exec_lo
	s_delay_alu instid0(VALU_DEP_1)
	v_mov_b64_e32 v[16:17], v[68:69]
	v_cmpx_gt_u32_e32 8, v11
; %bb.3804:                             ;   in Loop: Header=BB357_2093 Depth=1
	v_clz_i32_u32_e32 v8, v68
	s_delay_alu instid0(VALU_DEP_1) | instskip(NEXT) | instid1(VALU_DEP_1)
	v_min_u32_e32 v8, 32, v8
	v_subrev_nc_u32_e32 v11, 28, v8
	v_sub_nc_u32_e32 v8, 29, v8
	s_delay_alu instid0(VALU_DEP_2) | instskip(NEXT) | instid1(VALU_DEP_1)
	v_lshlrev_b64_e32 v[12:13], v11, v[68:69]
	v_and_b32_e32 v16, 7, v12
; %bb.3805:                             ;   in Loop: Header=BB357_2093 Depth=1
	s_or_b32 exec_lo, exec_lo, s17
	s_delay_alu instid0(VALU_DEP_1) | instskip(SKIP_1) | instid1(VALU_DEP_2)
	v_dual_lshlrev_b32 v10, 24, v10 :: v_dual_lshlrev_b32 v11, 20, v16
	v_lshl_add_u32 v8, v8, 23, 0x3c000000
	v_and_b32_e32 v10, 0x80000000, v10
	s_delay_alu instid0(VALU_DEP_1)
	v_or3_b32 v8, v11, v10, v8
.LBB357_3806:                           ;   in Loop: Header=BB357_2093 Depth=1
	s_or_b32 exec_lo, exec_lo, s16
.LBB357_3807:                           ;   in Loop: Header=BB357_2093 Depth=1
	s_delay_alu instid0(SALU_CYCLE_1)
	s_or_b32 exec_lo, exec_lo, s15
.LBB357_3808:                           ;   in Loop: Header=BB357_2093 Depth=1
	s_delay_alu instid0(SALU_CYCLE_1)
	s_or_b32 exec_lo, exec_lo, s14
	v_fma_mixlo_bf16 v12, v75, v7, 0
	v_fma_mixlo_bf16 v13, v75, v6, 0
	;; [unrolled: 1-line block ×8, first 2 shown]
	s_and_saveexec_b32 s14, vcc_lo
	s_cbranch_execz .LBB357_3810
; %bb.3809:                             ;   in Loop: Header=BB357_2093 Depth=1
	v_cmp_lt_i32_e64 s0, v74, v42
	s_delay_alu instid0(VALU_DEP_1) | instskip(SKIP_1) | instid1(VALU_DEP_1)
	v_cndmask_b32_e64 v7, 0, v7, s0
	v_cmp_lt_i32_e64 s0, v106, v42
	v_cndmask_b32_e64 v6, 0, v6, s0
	v_cmp_lt_i32_e64 s0, v105, v42
	s_delay_alu instid0(VALU_DEP_1) | instskip(SKIP_1) | instid1(VALU_DEP_1)
	v_cndmask_b32_e64 v5, 0, v5, s0
	v_cmp_lt_i32_e64 s0, v104, v42
	v_cndmask_b32_e64 v4, 0, v4, s0
	v_cmp_lt_i32_e64 s0, v95, v42
	s_delay_alu instid0(VALU_DEP_1) | instskip(SKIP_1) | instid1(VALU_DEP_1)
	v_cndmask_b32_e64 v13, 0, v13, s0
	v_cmp_lt_i32_e64 s0, v94, v42
	v_cndmask_b32_e64 v12, 0, v12, s0
	v_cmp_lt_i32_e64 s0, v93, v42
	s_delay_alu instid0(VALU_DEP_1) | instskip(SKIP_1) | instid1(VALU_DEP_1)
	v_cndmask_b32_e64 v2, 0, v2, s0
	v_cmp_lt_i32_e64 s0, v92, v42
	v_cndmask_b32_e64 v3, 0, v3, s0
.LBB357_3810:                           ;   in Loop: Header=BB357_2093 Depth=1
	s_or_b32 exec_lo, exec_lo, s14
	flat_load_b64 v[16:17], v[18:19] offset:6656
	v_dual_mov_b32 v11, 0 :: v_dual_mov_b32 v10, 0
	s_mov_b32 s14, exec_lo
	s_wait_loadcnt_dscnt 0x0
	v_and_b32_e32 v8, 0xff, v16
	s_wait_xcnt 0x0
	s_delay_alu instid0(VALU_DEP_1)
	v_cmpx_ne_u16_e32 0, v8
	s_cbranch_execz .LBB357_3818
; %bb.3811:                             ;   in Loop: Header=BB357_2093 Depth=1
	v_bfrev_b32_e32 v10, 1
	s_mov_b32 s15, exec_lo
	v_cmpx_ne_u16_e32 0x80, v8
	s_cbranch_execz .LBB357_3817
; %bb.3812:                             ;   in Loop: Header=BB357_2093 Depth=1
	v_and_b32_e32 v9, 0x7f, v16
	v_mov_b32_e32 v10, 0x7f800001
	s_mov_b32 s16, exec_lo
	s_delay_alu instid0(VALU_DEP_2)
	v_cmpx_ne_u32_e32 0x7f, v9
	s_cbranch_execz .LBB357_3816
; %bb.3813:                             ;   in Loop: Header=BB357_2093 Depth=1
	v_mov_b64_e32 v[22:23], v[16:17]
	v_lshrrev_b32_e32 v8, 3, v9
	s_mov_b32 s17, exec_lo
	v_cmpx_gt_u32_e32 8, v9
; %bb.3814:                             ;   in Loop: Header=BB357_2093 Depth=1
	v_and_b32_e32 v8, 7, v16
	s_delay_alu instid0(VALU_DEP_1) | instskip(NEXT) | instid1(VALU_DEP_1)
	v_clz_i32_u32_e32 v8, v8
	v_min_u32_e32 v8, 32, v8
	s_delay_alu instid0(VALU_DEP_1) | instskip(SKIP_1) | instid1(VALU_DEP_2)
	v_subrev_nc_u32_e32 v9, 28, v8
	v_sub_nc_u32_e32 v8, 29, v8
	v_lshlrev_b64_e32 v[22:23], v9, v[16:17]
; %bb.3815:                             ;   in Loop: Header=BB357_2093 Depth=1
	s_or_b32 exec_lo, exec_lo, s17
	s_delay_alu instid0(VALU_DEP_1) | instskip(NEXT) | instid1(VALU_DEP_3)
	v_dual_lshlrev_b32 v9, 20, v22 :: v_dual_lshlrev_b32 v10, 24, v16
	v_lshl_add_u32 v8, v8, 23, 0x3c000000
	s_delay_alu instid0(VALU_DEP_2) | instskip(NEXT) | instid1(VALU_DEP_3)
	v_and_b32_e32 v9, 0x700000, v9
	v_and_b32_e32 v10, 0x80000000, v10
	s_delay_alu instid0(VALU_DEP_1)
	v_or3_b32 v10, v9, v10, v8
.LBB357_3816:                           ;   in Loop: Header=BB357_2093 Depth=1
	s_or_b32 exec_lo, exec_lo, s16
.LBB357_3817:                           ;   in Loop: Header=BB357_2093 Depth=1
	s_delay_alu instid0(SALU_CYCLE_1)
	s_or_b32 exec_lo, exec_lo, s15
.LBB357_3818:                           ;   in Loop: Header=BB357_2093 Depth=1
	s_delay_alu instid0(SALU_CYCLE_1) | instskip(SKIP_2) | instid1(VALU_DEP_1)
	s_or_b32 exec_lo, exec_lo, s14
	v_lshrrev_b16 v8, 8, v16
	s_mov_b32 s14, exec_lo
	v_cmpx_ne_u16_e32 0, v8
	s_cbranch_execz .LBB357_3826
; %bb.3819:                             ;   in Loop: Header=BB357_2093 Depth=1
	v_bfrev_b32_e32 v11, 1
	s_mov_b32 s15, exec_lo
	v_cmpx_ne_u16_e32 0x80, v8
	s_cbranch_execz .LBB357_3825
; %bb.3820:                             ;   in Loop: Header=BB357_2093 Depth=1
	v_and_b32_e32 v8, 0xffff, v8
	v_mov_b32_e32 v11, 0x7f800001
	s_mov_b32 s16, exec_lo
	s_delay_alu instid0(VALU_DEP_2) | instskip(NEXT) | instid1(VALU_DEP_1)
	v_and_b32_e32 v9, 0x7f, v8
	v_cmpx_ne_u32_e32 0x7f, v9
	s_cbranch_execz .LBB357_3824
; %bb.3821:                             ;   in Loop: Header=BB357_2093 Depth=1
	v_dual_lshrrev_b32 v8, 3, v9 :: v_dual_bitop2_b32 v68, 7, v8 bitop3:0x40
	s_mov_b32 s17, exec_lo
	s_delay_alu instid0(VALU_DEP_1)
	v_mov_b64_e32 v[22:23], v[68:69]
	v_cmpx_gt_u32_e32 8, v9
; %bb.3822:                             ;   in Loop: Header=BB357_2093 Depth=1
	v_clz_i32_u32_e32 v8, v68
	s_delay_alu instid0(VALU_DEP_1) | instskip(NEXT) | instid1(VALU_DEP_1)
	v_min_u32_e32 v8, 32, v8
	v_subrev_nc_u32_e32 v9, 28, v8
	s_delay_alu instid0(VALU_DEP_1) | instskip(NEXT) | instid1(VALU_DEP_1)
	v_lshlrev_b64_e32 v[22:23], v9, v[68:69]
	v_dual_sub_nc_u32 v8, 29, v8 :: v_dual_bitop2_b32 v22, 7, v22 bitop3:0x40
; %bb.3823:                             ;   in Loop: Header=BB357_2093 Depth=1
	s_or_b32 exec_lo, exec_lo, s17
	s_delay_alu instid0(VALU_DEP_1) | instskip(NEXT) | instid1(VALU_DEP_2)
	v_dual_lshlrev_b32 v9, 16, v16 :: v_dual_lshlrev_b32 v11, 20, v22
	v_lshl_add_u32 v8, v8, 23, 0x3c000000
	s_delay_alu instid0(VALU_DEP_2) | instskip(NEXT) | instid1(VALU_DEP_1)
	v_and_b32_e32 v9, 0x80000000, v9
	v_or3_b32 v11, v11, v9, v8
.LBB357_3824:                           ;   in Loop: Header=BB357_2093 Depth=1
	s_or_b32 exec_lo, exec_lo, s16
.LBB357_3825:                           ;   in Loop: Header=BB357_2093 Depth=1
	s_delay_alu instid0(SALU_CYCLE_1)
	s_or_b32 exec_lo, exec_lo, s15
.LBB357_3826:                           ;   in Loop: Header=BB357_2093 Depth=1
	s_delay_alu instid0(SALU_CYCLE_1) | instskip(SKIP_3) | instid1(VALU_DEP_2)
	s_or_b32 exec_lo, exec_lo, s14
	v_dual_mov_b32 v27, 0 :: v_dual_lshrrev_b32 v8, 16, v16
	v_mov_b32_e32 v26, 0
	s_mov_b32 s14, exec_lo
	v_and_b32_e32 v9, 0xff, v8
	s_delay_alu instid0(VALU_DEP_1)
	v_cmpx_ne_u16_e32 0, v9
	s_cbranch_execz .LBB357_3834
; %bb.3827:                             ;   in Loop: Header=BB357_2093 Depth=1
	v_bfrev_b32_e32 v26, 1
	s_mov_b32 s15, exec_lo
	v_cmpx_ne_u16_e32 0x80, v9
	s_cbranch_execz .LBB357_3833
; %bb.3828:                             ;   in Loop: Header=BB357_2093 Depth=1
	v_bfe_u32 v71, v16, 16, 7
	v_mov_b32_e32 v26, 0x7f800001
	s_mov_b32 s16, exec_lo
	s_delay_alu instid0(VALU_DEP_2)
	v_cmpx_ne_u32_e32 0x7f, v71
	s_cbranch_execz .LBB357_3832
; %bb.3829:                             ;   in Loop: Header=BB357_2093 Depth=1
	v_dual_lshrrev_b32 v9, 3, v71 :: v_dual_bitop2_b32 v68, 7, v8 bitop3:0x40
	s_mov_b32 s17, exec_lo
	s_delay_alu instid0(VALU_DEP_1)
	v_mov_b64_e32 v[22:23], v[68:69]
	v_cmpx_gt_u32_e32 8, v71
; %bb.3830:                             ;   in Loop: Header=BB357_2093 Depth=1
	v_clz_i32_u32_e32 v9, v68
	s_delay_alu instid0(VALU_DEP_1) | instskip(NEXT) | instid1(VALU_DEP_1)
	v_min_u32_e32 v9, 32, v9
	v_subrev_nc_u32_e32 v22, 28, v9
	s_delay_alu instid0(VALU_DEP_1) | instskip(NEXT) | instid1(VALU_DEP_1)
	v_lshlrev_b64_e32 v[22:23], v22, v[68:69]
	v_dual_sub_nc_u32 v9, 29, v9 :: v_dual_bitop2_b32 v22, 7, v22 bitop3:0x40
; %bb.3831:                             ;   in Loop: Header=BB357_2093 Depth=1
	s_or_b32 exec_lo, exec_lo, s17
	s_delay_alu instid0(VALU_DEP_1) | instskip(NEXT) | instid1(VALU_DEP_2)
	v_dual_lshlrev_b32 v8, 24, v8 :: v_dual_lshlrev_b32 v22, 20, v22
	v_lshl_add_u32 v9, v9, 23, 0x3c000000
	s_delay_alu instid0(VALU_DEP_2) | instskip(NEXT) | instid1(VALU_DEP_1)
	v_and_b32_e32 v8, 0x80000000, v8
	v_or3_b32 v26, v22, v8, v9
.LBB357_3832:                           ;   in Loop: Header=BB357_2093 Depth=1
	s_or_b32 exec_lo, exec_lo, s16
.LBB357_3833:                           ;   in Loop: Header=BB357_2093 Depth=1
	s_delay_alu instid0(SALU_CYCLE_1)
	s_or_b32 exec_lo, exec_lo, s15
.LBB357_3834:                           ;   in Loop: Header=BB357_2093 Depth=1
	s_delay_alu instid0(SALU_CYCLE_1) | instskip(NEXT) | instid1(SALU_CYCLE_1)
	s_or_b32 exec_lo, exec_lo, s14
	s_mov_b32 s14, exec_lo
	v_cmpx_lt_u32_e32 0xffffff, v16
	s_cbranch_execz .LBB357_3842
; %bb.3835:                             ;   in Loop: Header=BB357_2093 Depth=1
	v_lshrrev_b32_e32 v8, 24, v16
	v_bfrev_b32_e32 v27, 1
	s_mov_b32 s15, exec_lo
	s_delay_alu instid0(VALU_DEP_2)
	v_cmpx_ne_u32_e32 0x80, v8
	s_cbranch_execz .LBB357_3841
; %bb.3836:                             ;   in Loop: Header=BB357_2093 Depth=1
	v_bfe_u32 v71, v16, 24, 7
	v_mov_b32_e32 v27, 0x7f800001
	s_mov_b32 s16, exec_lo
	s_delay_alu instid0(VALU_DEP_2)
	v_cmpx_ne_u32_e32 0x7f, v71
	s_cbranch_execz .LBB357_3840
; %bb.3837:                             ;   in Loop: Header=BB357_2093 Depth=1
	v_dual_lshrrev_b32 v9, 3, v71 :: v_dual_bitop2_b32 v68, 7, v8 bitop3:0x40
	s_mov_b32 s17, exec_lo
	s_delay_alu instid0(VALU_DEP_1)
	v_mov_b64_e32 v[22:23], v[68:69]
	v_cmpx_gt_u32_e32 8, v71
; %bb.3838:                             ;   in Loop: Header=BB357_2093 Depth=1
	v_clz_i32_u32_e32 v9, v68
	s_delay_alu instid0(VALU_DEP_1) | instskip(NEXT) | instid1(VALU_DEP_1)
	v_min_u32_e32 v9, 32, v9
	v_subrev_nc_u32_e32 v22, 28, v9
	s_delay_alu instid0(VALU_DEP_1) | instskip(NEXT) | instid1(VALU_DEP_1)
	v_lshlrev_b64_e32 v[22:23], v22, v[68:69]
	v_dual_sub_nc_u32 v9, 29, v9 :: v_dual_bitop2_b32 v22, 7, v22 bitop3:0x40
; %bb.3839:                             ;   in Loop: Header=BB357_2093 Depth=1
	s_or_b32 exec_lo, exec_lo, s17
	s_delay_alu instid0(VALU_DEP_1) | instskip(NEXT) | instid1(VALU_DEP_2)
	v_dual_lshlrev_b32 v8, 24, v8 :: v_dual_lshlrev_b32 v22, 20, v22
	v_lshl_add_u32 v9, v9, 23, 0x3c000000
	s_delay_alu instid0(VALU_DEP_2) | instskip(NEXT) | instid1(VALU_DEP_1)
	v_and_b32_e32 v8, 0x80000000, v8
	v_or3_b32 v27, v22, v8, v9
.LBB357_3840:                           ;   in Loop: Header=BB357_2093 Depth=1
	s_or_b32 exec_lo, exec_lo, s16
.LBB357_3841:                           ;   in Loop: Header=BB357_2093 Depth=1
	s_delay_alu instid0(SALU_CYCLE_1)
	s_or_b32 exec_lo, exec_lo, s15
.LBB357_3842:                           ;   in Loop: Header=BB357_2093 Depth=1
	s_delay_alu instid0(SALU_CYCLE_1) | instskip(SKIP_4) | instid1(VALU_DEP_3)
	s_or_b32 exec_lo, exec_lo, s14
	v_and_b32_e32 v22, 0xff, v17
	v_dual_mov_b32 v68, v17 :: v_dual_mov_b32 v8, 0
	v_mov_b32_e32 v9, 0
	s_mov_b32 s14, exec_lo
	v_cmpx_ne_u16_e32 0, v22
	s_cbranch_execz .LBB357_3850
; %bb.3843:                             ;   in Loop: Header=BB357_2093 Depth=1
	v_bfrev_b32_e32 v9, 1
	s_mov_b32 s15, exec_lo
	v_cmpx_ne_u16_e32 0x80, v22
	s_cbranch_execz .LBB357_3849
; %bb.3844:                             ;   in Loop: Header=BB357_2093 Depth=1
	v_and_b32_e32 v71, 0x7f, v17
	v_mov_b32_e32 v9, 0x7f800001
	s_mov_b32 s16, exec_lo
	s_delay_alu instid0(VALU_DEP_2)
	v_cmpx_ne_u32_e32 0x7f, v71
	s_cbranch_execz .LBB357_3848
; %bb.3845:                             ;   in Loop: Header=BB357_2093 Depth=1
	v_mov_b64_e32 v[22:23], v[68:69]
	v_lshrrev_b32_e32 v9, 3, v71
	s_mov_b32 s17, exec_lo
	v_cmpx_gt_u32_e32 8, v71
; %bb.3846:                             ;   in Loop: Header=BB357_2093 Depth=1
	v_and_b32_e32 v9, 7, v17
	s_delay_alu instid0(VALU_DEP_1) | instskip(NEXT) | instid1(VALU_DEP_1)
	v_clz_i32_u32_e32 v9, v9
	v_min_u32_e32 v9, 32, v9
	s_delay_alu instid0(VALU_DEP_1) | instskip(SKIP_1) | instid1(VALU_DEP_2)
	v_subrev_nc_u32_e32 v22, 28, v9
	v_sub_nc_u32_e32 v9, 29, v9
	v_lshlrev_b64_e32 v[22:23], v22, v[68:69]
; %bb.3847:                             ;   in Loop: Header=BB357_2093 Depth=1
	s_or_b32 exec_lo, exec_lo, s17
	s_delay_alu instid0(VALU_DEP_1) | instskip(NEXT) | instid1(VALU_DEP_3)
	v_dual_lshlrev_b32 v22, 20, v22 :: v_dual_lshlrev_b32 v23, 24, v68
	v_lshl_add_u32 v9, v9, 23, 0x3c000000
	s_delay_alu instid0(VALU_DEP_2) | instskip(NEXT) | instid1(VALU_DEP_3)
	v_and_b32_e32 v22, 0x700000, v22
	v_and_b32_e32 v23, 0x80000000, v23
	s_delay_alu instid0(VALU_DEP_1)
	v_or3_b32 v9, v22, v23, v9
.LBB357_3848:                           ;   in Loop: Header=BB357_2093 Depth=1
	s_or_b32 exec_lo, exec_lo, s16
.LBB357_3849:                           ;   in Loop: Header=BB357_2093 Depth=1
	s_delay_alu instid0(SALU_CYCLE_1)
	s_or_b32 exec_lo, exec_lo, s15
.LBB357_3850:                           ;   in Loop: Header=BB357_2093 Depth=1
	s_delay_alu instid0(SALU_CYCLE_1) | instskip(SKIP_2) | instid1(VALU_DEP_1)
	s_or_b32 exec_lo, exec_lo, s14
	v_lshrrev_b16 v22, 8, v68
	s_mov_b32 s14, exec_lo
	v_cmpx_ne_u16_e32 0, v22
	s_cbranch_execz .LBB357_3858
; %bb.3851:                             ;   in Loop: Header=BB357_2093 Depth=1
	v_bfrev_b32_e32 v8, 1
	s_mov_b32 s15, exec_lo
	v_cmpx_ne_u16_e32 0x80, v22
	s_cbranch_execz .LBB357_3857
; %bb.3852:                             ;   in Loop: Header=BB357_2093 Depth=1
	v_and_b32_e32 v22, 0xffff, v22
	v_mov_b32_e32 v8, 0x7f800001
	s_mov_b32 s16, exec_lo
	s_delay_alu instid0(VALU_DEP_2) | instskip(NEXT) | instid1(VALU_DEP_1)
	v_and_b32_e32 v71, 0x7f, v22
	v_cmpx_ne_u32_e32 0x7f, v71
	s_cbranch_execz .LBB357_3856
; %bb.3853:                             ;   in Loop: Header=BB357_2093 Depth=1
	v_dual_mov_b32 v23, v69 :: v_dual_bitop2_b32 v22, 7, v22 bitop3:0x40
	v_lshrrev_b32_e32 v8, 3, v71
	s_mov_b32 s17, exec_lo
	v_cmpx_gt_u32_e32 8, v71
; %bb.3854:                             ;   in Loop: Header=BB357_2093 Depth=1
	s_delay_alu instid0(VALU_DEP_3) | instskip(NEXT) | instid1(VALU_DEP_1)
	v_clz_i32_u32_e32 v8, v22
	v_min_u32_e32 v8, 32, v8
	s_delay_alu instid0(VALU_DEP_1) | instskip(NEXT) | instid1(VALU_DEP_1)
	v_subrev_nc_u32_e32 v71, 28, v8
	v_lshlrev_b64_e32 v[22:23], v71, v[22:23]
	s_delay_alu instid0(VALU_DEP_1)
	v_dual_sub_nc_u32 v8, 29, v8 :: v_dual_bitop2_b32 v22, 7, v22 bitop3:0x40
; %bb.3855:                             ;   in Loop: Header=BB357_2093 Depth=1
	s_or_b32 exec_lo, exec_lo, s17
	s_delay_alu instid0(VALU_DEP_1) | instskip(NEXT) | instid1(VALU_DEP_2)
	v_dual_lshlrev_b32 v23, 16, v68 :: v_dual_lshlrev_b32 v22, 20, v22
	v_lshl_add_u32 v8, v8, 23, 0x3c000000
	s_delay_alu instid0(VALU_DEP_2) | instskip(NEXT) | instid1(VALU_DEP_1)
	v_and_b32_e32 v23, 0x80000000, v23
	v_or3_b32 v8, v22, v23, v8
.LBB357_3856:                           ;   in Loop: Header=BB357_2093 Depth=1
	s_or_b32 exec_lo, exec_lo, s16
.LBB357_3857:                           ;   in Loop: Header=BB357_2093 Depth=1
	s_delay_alu instid0(SALU_CYCLE_1)
	s_or_b32 exec_lo, exec_lo, s15
.LBB357_3858:                           ;   in Loop: Header=BB357_2093 Depth=1
	s_delay_alu instid0(SALU_CYCLE_1) | instskip(SKIP_3) | instid1(VALU_DEP_2)
	s_or_b32 exec_lo, exec_lo, s14
	v_dual_mov_b32 v71, 0 :: v_dual_lshrrev_b32 v80, 16, v17
	v_mov_b32_e32 v22, 0
	s_mov_b32 s14, exec_lo
	v_and_b32_e32 v23, 0xff, v80
	s_delay_alu instid0(VALU_DEP_1)
	v_cmpx_ne_u16_e32 0, v23
	s_cbranch_execz .LBB357_3866
; %bb.3859:                             ;   in Loop: Header=BB357_2093 Depth=1
	v_bfrev_b32_e32 v22, 1
	s_mov_b32 s15, exec_lo
	v_cmpx_ne_u16_e32 0x80, v23
	s_cbranch_execz .LBB357_3865
; %bb.3860:                             ;   in Loop: Header=BB357_2093 Depth=1
	v_bfe_u32 v81, v17, 16, 7
	v_mov_b32_e32 v22, 0x7f800001
	s_mov_b32 s16, exec_lo
	s_delay_alu instid0(VALU_DEP_2)
	v_cmpx_ne_u32_e32 0x7f, v81
	s_cbranch_execz .LBB357_3864
; %bb.3861:                             ;   in Loop: Header=BB357_2093 Depth=1
	v_and_b32_e32 v68, 7, v80
	s_mov_b32 s17, exec_lo
	s_delay_alu instid0(VALU_DEP_1)
	v_mov_b64_e32 v[22:23], v[68:69]
	v_lshrrev_b32_e32 v23, 3, v81
	v_cmpx_gt_u32_e32 8, v81
; %bb.3862:                             ;   in Loop: Header=BB357_2093 Depth=1
	v_clz_i32_u32_e32 v22, v68
	s_delay_alu instid0(VALU_DEP_1) | instskip(NEXT) | instid1(VALU_DEP_1)
	v_min_u32_e32 v81, 32, v22
	v_subrev_nc_u32_e32 v22, 28, v81
	s_delay_alu instid0(VALU_DEP_1) | instskip(NEXT) | instid1(VALU_DEP_1)
	v_lshlrev_b64_e32 v[22:23], v22, v[68:69]
	v_dual_sub_nc_u32 v23, 29, v81 :: v_dual_bitop2_b32 v22, 7, v22 bitop3:0x40
; %bb.3863:                             ;   in Loop: Header=BB357_2093 Depth=1
	s_or_b32 exec_lo, exec_lo, s17
	s_delay_alu instid0(VALU_DEP_1) | instskip(NEXT) | instid1(VALU_DEP_2)
	v_dual_lshlrev_b32 v68, 24, v80 :: v_dual_lshlrev_b32 v22, 20, v22
	v_lshl_add_u32 v23, v23, 23, 0x3c000000
	s_delay_alu instid0(VALU_DEP_2) | instskip(NEXT) | instid1(VALU_DEP_1)
	v_and_b32_e32 v68, 0x80000000, v68
	v_or3_b32 v22, v22, v68, v23
.LBB357_3864:                           ;   in Loop: Header=BB357_2093 Depth=1
	s_or_b32 exec_lo, exec_lo, s16
.LBB357_3865:                           ;   in Loop: Header=BB357_2093 Depth=1
	s_delay_alu instid0(SALU_CYCLE_1)
	s_or_b32 exec_lo, exec_lo, s15
.LBB357_3866:                           ;   in Loop: Header=BB357_2093 Depth=1
	s_delay_alu instid0(SALU_CYCLE_1) | instskip(NEXT) | instid1(SALU_CYCLE_1)
	s_or_b32 exec_lo, exec_lo, s14
	s_mov_b32 s14, exec_lo
	v_cmpx_lt_u64_e64 s[2:3], v[16:17]
	s_cbranch_execz .LBB357_3874
; %bb.3867:                             ;   in Loop: Header=BB357_2093 Depth=1
	v_lshrrev_b32_e32 v23, 24, v17
	v_bfrev_b32_e32 v71, 1
	s_mov_b32 s15, exec_lo
	s_delay_alu instid0(VALU_DEP_2)
	v_cmpx_ne_u32_e32 0x80, v23
	s_cbranch_execz .LBB357_3873
; %bb.3868:                             ;   in Loop: Header=BB357_2093 Depth=1
	v_bfe_u32 v80, v17, 24, 7
	v_mov_b32_e32 v71, 0x7f800001
	s_mov_b32 s16, exec_lo
	s_delay_alu instid0(VALU_DEP_2)
	v_cmpx_ne_u32_e32 0x7f, v80
	s_cbranch_execz .LBB357_3872
; %bb.3869:                             ;   in Loop: Header=BB357_2093 Depth=1
	v_and_b32_e32 v68, 7, v23
	s_mov_b32 s17, exec_lo
	s_delay_alu instid0(VALU_DEP_1)
	v_mov_b64_e32 v[16:17], v[68:69]
	v_lshrrev_b32_e32 v17, 3, v80
	v_cmpx_gt_u32_e32 8, v80
; %bb.3870:                             ;   in Loop: Header=BB357_2093 Depth=1
	v_clz_i32_u32_e32 v16, v68
	s_delay_alu instid0(VALU_DEP_1) | instskip(NEXT) | instid1(VALU_DEP_1)
	v_min_u32_e32 v71, 32, v16
	v_subrev_nc_u32_e32 v16, 28, v71
	s_delay_alu instid0(VALU_DEP_1) | instskip(NEXT) | instid1(VALU_DEP_1)
	v_lshlrev_b64_e32 v[16:17], v16, v[68:69]
	v_dual_sub_nc_u32 v17, 29, v71 :: v_dual_bitop2_b32 v16, 7, v16 bitop3:0x40
; %bb.3871:                             ;   in Loop: Header=BB357_2093 Depth=1
	s_or_b32 exec_lo, exec_lo, s17
	s_delay_alu instid0(VALU_DEP_1) | instskip(NEXT) | instid1(VALU_DEP_2)
	v_dual_lshlrev_b32 v23, 24, v23 :: v_dual_lshlrev_b32 v16, 20, v16
	v_lshl_add_u32 v17, v17, 23, 0x3c000000
	s_delay_alu instid0(VALU_DEP_2) | instskip(NEXT) | instid1(VALU_DEP_1)
	v_and_b32_e32 v23, 0x80000000, v23
	v_or3_b32 v71, v16, v23, v17
.LBB357_3872:                           ;   in Loop: Header=BB357_2093 Depth=1
	s_or_b32 exec_lo, exec_lo, s16
.LBB357_3873:                           ;   in Loop: Header=BB357_2093 Depth=1
	s_delay_alu instid0(SALU_CYCLE_1)
	s_or_b32 exec_lo, exec_lo, s15
.LBB357_3874:                           ;   in Loop: Header=BB357_2093 Depth=1
	s_delay_alu instid0(SALU_CYCLE_1)
	s_or_b32 exec_lo, exec_lo, s14
	v_fma_mixlo_bf16 v8, v75, v8, 0
	v_fma_mixlo_bf16 v9, v75, v9, 0
	v_fma_mixlo_bf16 v77, v75, v27, 0
	v_fma_mixlo_bf16 v79, v75, v26, 0
	v_fma_mixlo_bf16 v88, v75, v11, 0
	v_fma_mixlo_bf16 v89, v75, v10, 0
	v_fma_mixlo_bf16 v76, v75, v22, 0
	v_fma_mixlo_bf16 v78, v75, v71, 0
	s_and_saveexec_b32 s14, vcc_lo
	s_cbranch_execz .LBB357_3876
; %bb.3875:                             ;   in Loop: Header=BB357_2093 Depth=1
	v_cmp_lt_i32_e64 s0, v74, v42
	s_delay_alu instid0(VALU_DEP_1) | instskip(SKIP_1) | instid1(VALU_DEP_1)
	v_cndmask_b32_e64 v89, 0, v89, s0
	v_cmp_lt_i32_e64 s0, v106, v42
	v_cndmask_b32_e64 v88, 0, v88, s0
	v_cmp_lt_i32_e64 s0, v105, v42
	s_delay_alu instid0(VALU_DEP_1) | instskip(SKIP_1) | instid1(VALU_DEP_1)
	v_cndmask_b32_e64 v79, 0, v79, s0
	v_cmp_lt_i32_e64 s0, v104, v42
	v_cndmask_b32_e64 v77, 0, v77, s0
	;; [unrolled: 5-line block ×4, first 2 shown]
.LBB357_3876:                           ;   in Loop: Header=BB357_2093 Depth=1
	s_or_b32 exec_lo, exec_lo, s14
	flat_load_b64 v[16:17], v[18:19] offset:6912
	v_dual_mov_b32 v11, 0 :: v_dual_mov_b32 v10, 0
	s_mov_b32 s14, exec_lo
	s_wait_loadcnt_dscnt 0x0
	v_and_b32_e32 v22, 0xff, v16
	s_wait_xcnt 0x0
	s_delay_alu instid0(VALU_DEP_1)
	v_cmpx_ne_u16_e32 0, v22
	s_cbranch_execz .LBB357_3884
; %bb.3877:                             ;   in Loop: Header=BB357_2093 Depth=1
	v_bfrev_b32_e32 v10, 1
	s_mov_b32 s15, exec_lo
	v_cmpx_ne_u16_e32 0x80, v22
	s_cbranch_execz .LBB357_3883
; %bb.3878:                             ;   in Loop: Header=BB357_2093 Depth=1
	v_and_b32_e32 v22, 0x7f, v16
	v_mov_b32_e32 v10, 0x7f800001
	s_mov_b32 s16, exec_lo
	s_delay_alu instid0(VALU_DEP_2)
	v_cmpx_ne_u32_e32 0x7f, v22
	s_cbranch_execz .LBB357_3882
; %bb.3879:                             ;   in Loop: Header=BB357_2093 Depth=1
	v_lshrrev_b32_e32 v10, 3, v22
	v_cmp_gt_u32_e64 s0, 8, v22
	v_mov_b64_e32 v[22:23], v[16:17]
	s_and_saveexec_b32 s17, s0
; %bb.3880:                             ;   in Loop: Header=BB357_2093 Depth=1
	v_and_b32_e32 v10, 7, v16
	s_delay_alu instid0(VALU_DEP_1) | instskip(NEXT) | instid1(VALU_DEP_1)
	v_clz_i32_u32_e32 v10, v10
	v_min_u32_e32 v10, 32, v10
	s_delay_alu instid0(VALU_DEP_1) | instskip(SKIP_1) | instid1(VALU_DEP_2)
	v_subrev_nc_u32_e32 v22, 28, v10
	v_sub_nc_u32_e32 v10, 29, v10
	v_lshlrev_b64_e32 v[22:23], v22, v[16:17]
; %bb.3881:                             ;   in Loop: Header=BB357_2093 Depth=1
	s_or_b32 exec_lo, exec_lo, s17
	s_delay_alu instid0(VALU_DEP_1) | instskip(NEXT) | instid1(VALU_DEP_3)
	v_dual_lshlrev_b32 v22, 20, v22 :: v_dual_lshlrev_b32 v23, 24, v16
	v_lshl_add_u32 v10, v10, 23, 0x3c000000
	s_delay_alu instid0(VALU_DEP_2) | instskip(NEXT) | instid1(VALU_DEP_3)
	v_and_b32_e32 v22, 0x700000, v22
	v_and_b32_e32 v23, 0x80000000, v23
	s_delay_alu instid0(VALU_DEP_1)
	v_or3_b32 v10, v22, v23, v10
.LBB357_3882:                           ;   in Loop: Header=BB357_2093 Depth=1
	s_or_b32 exec_lo, exec_lo, s16
.LBB357_3883:                           ;   in Loop: Header=BB357_2093 Depth=1
	s_delay_alu instid0(SALU_CYCLE_1)
	s_or_b32 exec_lo, exec_lo, s15
.LBB357_3884:                           ;   in Loop: Header=BB357_2093 Depth=1
	s_delay_alu instid0(SALU_CYCLE_1) | instskip(SKIP_2) | instid1(VALU_DEP_1)
	s_or_b32 exec_lo, exec_lo, s14
	v_lshrrev_b16 v22, 8, v16
	s_mov_b32 s14, exec_lo
	v_cmpx_ne_u16_e32 0, v22
	s_cbranch_execz .LBB357_3892
; %bb.3885:                             ;   in Loop: Header=BB357_2093 Depth=1
	v_bfrev_b32_e32 v11, 1
	s_mov_b32 s15, exec_lo
	v_cmpx_ne_u16_e32 0x80, v22
	s_cbranch_execz .LBB357_3891
; %bb.3886:                             ;   in Loop: Header=BB357_2093 Depth=1
	v_and_b32_e32 v22, 0xffff, v22
	v_mov_b32_e32 v11, 0x7f800001
	s_mov_b32 s16, exec_lo
	s_delay_alu instid0(VALU_DEP_2) | instskip(NEXT) | instid1(VALU_DEP_1)
	v_and_b32_e32 v26, 0x7f, v22
	v_cmpx_ne_u32_e32 0x7f, v26
	s_cbranch_execz .LBB357_3890
; %bb.3887:                             ;   in Loop: Header=BB357_2093 Depth=1
	v_and_b32_e32 v68, 7, v22
	v_lshrrev_b32_e32 v11, 3, v26
	s_mov_b32 s17, exec_lo
	s_delay_alu instid0(VALU_DEP_2)
	v_mov_b64_e32 v[22:23], v[68:69]
	v_cmpx_gt_u32_e32 8, v26
; %bb.3888:                             ;   in Loop: Header=BB357_2093 Depth=1
	v_clz_i32_u32_e32 v11, v68
	s_delay_alu instid0(VALU_DEP_1) | instskip(NEXT) | instid1(VALU_DEP_1)
	v_min_u32_e32 v11, 32, v11
	v_subrev_nc_u32_e32 v22, 28, v11
	s_delay_alu instid0(VALU_DEP_1) | instskip(NEXT) | instid1(VALU_DEP_1)
	v_lshlrev_b64_e32 v[22:23], v22, v[68:69]
	v_dual_sub_nc_u32 v11, 29, v11 :: v_dual_bitop2_b32 v22, 7, v22 bitop3:0x40
; %bb.3889:                             ;   in Loop: Header=BB357_2093 Depth=1
	s_or_b32 exec_lo, exec_lo, s17
	s_delay_alu instid0(VALU_DEP_1) | instskip(NEXT) | instid1(VALU_DEP_2)
	v_dual_lshlrev_b32 v23, 16, v16 :: v_dual_lshlrev_b32 v22, 20, v22
	v_lshl_add_u32 v11, v11, 23, 0x3c000000
	s_delay_alu instid0(VALU_DEP_2) | instskip(NEXT) | instid1(VALU_DEP_1)
	v_and_b32_e32 v23, 0x80000000, v23
	v_or3_b32 v11, v22, v23, v11
.LBB357_3890:                           ;   in Loop: Header=BB357_2093 Depth=1
	s_or_b32 exec_lo, exec_lo, s16
.LBB357_3891:                           ;   in Loop: Header=BB357_2093 Depth=1
	s_delay_alu instid0(SALU_CYCLE_1)
	s_or_b32 exec_lo, exec_lo, s15
.LBB357_3892:                           ;   in Loop: Header=BB357_2093 Depth=1
	s_delay_alu instid0(SALU_CYCLE_1) | instskip(SKIP_3) | instid1(VALU_DEP_2)
	s_or_b32 exec_lo, exec_lo, s14
	v_dual_lshrrev_b32 v71, 16, v16 :: v_dual_mov_b32 v27, 0
	v_mov_b32_e32 v26, 0
	s_mov_b32 s14, exec_lo
	v_and_b32_e32 v22, 0xff, v71
	s_delay_alu instid0(VALU_DEP_1)
	v_cmpx_ne_u16_e32 0, v22
	s_cbranch_execz .LBB357_3900
; %bb.3893:                             ;   in Loop: Header=BB357_2093 Depth=1
	v_bfrev_b32_e32 v26, 1
	s_mov_b32 s15, exec_lo
	v_cmpx_ne_u16_e32 0x80, v22
	s_cbranch_execz .LBB357_3899
; %bb.3894:                             ;   in Loop: Header=BB357_2093 Depth=1
	v_bfe_u32 v80, v16, 16, 7
	v_mov_b32_e32 v26, 0x7f800001
	s_mov_b32 s16, exec_lo
	s_delay_alu instid0(VALU_DEP_2)
	v_cmpx_ne_u32_e32 0x7f, v80
	s_cbranch_execz .LBB357_3898
; %bb.3895:                             ;   in Loop: Header=BB357_2093 Depth=1
	v_and_b32_e32 v68, 7, v71
	s_mov_b32 s17, exec_lo
	s_delay_alu instid0(VALU_DEP_1)
	v_mov_b64_e32 v[22:23], v[68:69]
	v_lshrrev_b32_e32 v23, 3, v80
	v_cmpx_gt_u32_e32 8, v80
; %bb.3896:                             ;   in Loop: Header=BB357_2093 Depth=1
	v_clz_i32_u32_e32 v22, v68
	s_delay_alu instid0(VALU_DEP_1) | instskip(NEXT) | instid1(VALU_DEP_1)
	v_min_u32_e32 v26, 32, v22
	v_subrev_nc_u32_e32 v22, 28, v26
	s_delay_alu instid0(VALU_DEP_1) | instskip(SKIP_1) | instid1(VALU_DEP_2)
	v_lshlrev_b64_e32 v[22:23], v22, v[68:69]
	v_sub_nc_u32_e32 v23, 29, v26
	v_and_b32_e32 v22, 7, v22
; %bb.3897:                             ;   in Loop: Header=BB357_2093 Depth=1
	s_or_b32 exec_lo, exec_lo, s17
	s_delay_alu instid0(VALU_DEP_1) | instskip(NEXT) | instid1(VALU_DEP_3)
	v_dual_lshlrev_b32 v26, 24, v71 :: v_dual_lshlrev_b32 v22, 20, v22
	v_lshl_add_u32 v23, v23, 23, 0x3c000000
	s_delay_alu instid0(VALU_DEP_2) | instskip(NEXT) | instid1(VALU_DEP_1)
	v_and_b32_e32 v26, 0x80000000, v26
	v_or3_b32 v26, v22, v26, v23
.LBB357_3898:                           ;   in Loop: Header=BB357_2093 Depth=1
	s_or_b32 exec_lo, exec_lo, s16
.LBB357_3899:                           ;   in Loop: Header=BB357_2093 Depth=1
	s_delay_alu instid0(SALU_CYCLE_1)
	s_or_b32 exec_lo, exec_lo, s15
.LBB357_3900:                           ;   in Loop: Header=BB357_2093 Depth=1
	s_delay_alu instid0(SALU_CYCLE_1) | instskip(NEXT) | instid1(SALU_CYCLE_1)
	s_or_b32 exec_lo, exec_lo, s14
	s_mov_b32 s14, exec_lo
	v_cmpx_lt_u32_e32 0xffffff, v16
	s_cbranch_execz .LBB357_3908
; %bb.3901:                             ;   in Loop: Header=BB357_2093 Depth=1
	v_lshrrev_b32_e32 v71, 24, v16
	v_bfrev_b32_e32 v27, 1
	s_mov_b32 s15, exec_lo
	s_delay_alu instid0(VALU_DEP_2)
	v_cmpx_ne_u32_e32 0x80, v71
	s_cbranch_execz .LBB357_3907
; %bb.3902:                             ;   in Loop: Header=BB357_2093 Depth=1
	v_bfe_u32 v80, v16, 24, 7
	v_mov_b32_e32 v27, 0x7f800001
	s_mov_b32 s16, exec_lo
	s_delay_alu instid0(VALU_DEP_2)
	v_cmpx_ne_u32_e32 0x7f, v80
	s_cbranch_execz .LBB357_3906
; %bb.3903:                             ;   in Loop: Header=BB357_2093 Depth=1
	v_and_b32_e32 v68, 7, v71
	s_mov_b32 s17, exec_lo
	s_delay_alu instid0(VALU_DEP_1)
	v_mov_b64_e32 v[22:23], v[68:69]
	v_lshrrev_b32_e32 v23, 3, v80
	v_cmpx_gt_u32_e32 8, v80
; %bb.3904:                             ;   in Loop: Header=BB357_2093 Depth=1
	v_clz_i32_u32_e32 v22, v68
	s_delay_alu instid0(VALU_DEP_1) | instskip(NEXT) | instid1(VALU_DEP_1)
	v_min_u32_e32 v27, 32, v22
	v_subrev_nc_u32_e32 v22, 28, v27
	s_delay_alu instid0(VALU_DEP_1) | instskip(NEXT) | instid1(VALU_DEP_1)
	v_lshlrev_b64_e32 v[22:23], v22, v[68:69]
	v_dual_sub_nc_u32 v23, 29, v27 :: v_dual_bitop2_b32 v22, 7, v22 bitop3:0x40
; %bb.3905:                             ;   in Loop: Header=BB357_2093 Depth=1
	s_or_b32 exec_lo, exec_lo, s17
	s_delay_alu instid0(VALU_DEP_1) | instskip(NEXT) | instid1(VALU_DEP_2)
	v_dual_lshlrev_b32 v27, 24, v71 :: v_dual_lshlrev_b32 v22, 20, v22
	v_lshl_add_u32 v23, v23, 23, 0x3c000000
	s_delay_alu instid0(VALU_DEP_2) | instskip(NEXT) | instid1(VALU_DEP_1)
	v_and_b32_e32 v27, 0x80000000, v27
	v_or3_b32 v27, v22, v27, v23
.LBB357_3906:                           ;   in Loop: Header=BB357_2093 Depth=1
	s_or_b32 exec_lo, exec_lo, s16
.LBB357_3907:                           ;   in Loop: Header=BB357_2093 Depth=1
	s_delay_alu instid0(SALU_CYCLE_1)
	s_or_b32 exec_lo, exec_lo, s15
.LBB357_3908:                           ;   in Loop: Header=BB357_2093 Depth=1
	s_delay_alu instid0(SALU_CYCLE_1) | instskip(SKIP_4) | instid1(VALU_DEP_3)
	s_or_b32 exec_lo, exec_lo, s14
	v_and_b32_e32 v22, 0xff, v17
	v_dual_mov_b32 v68, v17 :: v_dual_mov_b32 v80, 0
	v_mov_b32_e32 v71, 0
	s_mov_b32 s14, exec_lo
	v_cmpx_ne_u16_e32 0, v22
	s_cbranch_execz .LBB357_3916
; %bb.3909:                             ;   in Loop: Header=BB357_2093 Depth=1
	v_bfrev_b32_e32 v71, 1
	s_mov_b32 s15, exec_lo
	v_cmpx_ne_u16_e32 0x80, v22
	s_cbranch_execz .LBB357_3915
; %bb.3910:                             ;   in Loop: Header=BB357_2093 Depth=1
	v_and_b32_e32 v81, 0x7f, v17
	v_mov_b32_e32 v71, 0x7f800001
	s_mov_b32 s16, exec_lo
	s_delay_alu instid0(VALU_DEP_2)
	v_cmpx_ne_u32_e32 0x7f, v81
	s_cbranch_execz .LBB357_3914
; %bb.3911:                             ;   in Loop: Header=BB357_2093 Depth=1
	v_mov_b64_e32 v[22:23], v[68:69]
	v_lshrrev_b32_e32 v23, 3, v81
	s_mov_b32 s17, exec_lo
	v_cmpx_gt_u32_e32 8, v81
; %bb.3912:                             ;   in Loop: Header=BB357_2093 Depth=1
	v_and_b32_e32 v22, 7, v17
	s_delay_alu instid0(VALU_DEP_1) | instskip(NEXT) | instid1(VALU_DEP_1)
	v_clz_i32_u32_e32 v22, v22
	v_min_u32_e32 v71, 32, v22
	s_delay_alu instid0(VALU_DEP_1) | instskip(NEXT) | instid1(VALU_DEP_1)
	v_subrev_nc_u32_e32 v22, 28, v71
	v_lshlrev_b64_e32 v[22:23], v22, v[68:69]
	v_sub_nc_u32_e32 v23, 29, v71
; %bb.3913:                             ;   in Loop: Header=BB357_2093 Depth=1
	s_or_b32 exec_lo, exec_lo, s17
	s_delay_alu instid0(VALU_DEP_2) | instskip(NEXT) | instid1(VALU_DEP_2)
	v_dual_lshlrev_b32 v22, 20, v22 :: v_dual_lshlrev_b32 v71, 24, v68
	v_lshl_add_u32 v23, v23, 23, 0x3c000000
	s_delay_alu instid0(VALU_DEP_2) | instskip(NEXT) | instid1(VALU_DEP_3)
	v_and_b32_e32 v22, 0x700000, v22
	v_and_b32_e32 v71, 0x80000000, v71
	s_delay_alu instid0(VALU_DEP_1)
	v_or3_b32 v71, v22, v71, v23
.LBB357_3914:                           ;   in Loop: Header=BB357_2093 Depth=1
	s_or_b32 exec_lo, exec_lo, s16
.LBB357_3915:                           ;   in Loop: Header=BB357_2093 Depth=1
	s_delay_alu instid0(SALU_CYCLE_1)
	s_or_b32 exec_lo, exec_lo, s15
.LBB357_3916:                           ;   in Loop: Header=BB357_2093 Depth=1
	s_delay_alu instid0(SALU_CYCLE_1) | instskip(SKIP_2) | instid1(VALU_DEP_1)
	s_or_b32 exec_lo, exec_lo, s14
	v_lshrrev_b16 v22, 8, v68
	s_mov_b32 s14, exec_lo
	v_cmpx_ne_u16_e32 0, v22
	s_cbranch_execz .LBB357_3924
; %bb.3917:                             ;   in Loop: Header=BB357_2093 Depth=1
	v_bfrev_b32_e32 v80, 1
	s_mov_b32 s15, exec_lo
	v_cmpx_ne_u16_e32 0x80, v22
	s_cbranch_execz .LBB357_3923
; %bb.3918:                             ;   in Loop: Header=BB357_2093 Depth=1
	v_and_b32_e32 v22, 0xffff, v22
	v_mov_b32_e32 v80, 0x7f800001
	s_mov_b32 s16, exec_lo
	s_delay_alu instid0(VALU_DEP_2) | instskip(NEXT) | instid1(VALU_DEP_1)
	v_and_b32_e32 v81, 0x7f, v22
	v_cmpx_ne_u32_e32 0x7f, v81
	s_cbranch_execz .LBB357_3922
; %bb.3919:                             ;   in Loop: Header=BB357_2093 Depth=1
	v_dual_mov_b32 v23, v69 :: v_dual_bitop2_b32 v22, 7, v22 bitop3:0x40
	v_lshrrev_b32_e32 v80, 3, v81
	s_mov_b32 s17, exec_lo
	v_cmpx_gt_u32_e32 8, v81
; %bb.3920:                             ;   in Loop: Header=BB357_2093 Depth=1
	s_delay_alu instid0(VALU_DEP_3) | instskip(NEXT) | instid1(VALU_DEP_1)
	v_clz_i32_u32_e32 v80, v22
	v_min_u32_e32 v80, 32, v80
	s_delay_alu instid0(VALU_DEP_1) | instskip(NEXT) | instid1(VALU_DEP_1)
	v_subrev_nc_u32_e32 v81, 28, v80
	v_lshlrev_b64_e32 v[22:23], v81, v[22:23]
	s_delay_alu instid0(VALU_DEP_1)
	v_dual_sub_nc_u32 v80, 29, v80 :: v_dual_bitop2_b32 v22, 7, v22 bitop3:0x40
; %bb.3921:                             ;   in Loop: Header=BB357_2093 Depth=1
	s_or_b32 exec_lo, exec_lo, s17
	s_delay_alu instid0(VALU_DEP_1) | instskip(NEXT) | instid1(VALU_DEP_2)
	v_dual_lshlrev_b32 v23, 16, v68 :: v_dual_lshlrev_b32 v22, 20, v22
	v_lshl_add_u32 v68, v80, 23, 0x3c000000
	s_delay_alu instid0(VALU_DEP_2) | instskip(NEXT) | instid1(VALU_DEP_1)
	v_and_b32_e32 v23, 0x80000000, v23
	v_or3_b32 v80, v22, v23, v68
.LBB357_3922:                           ;   in Loop: Header=BB357_2093 Depth=1
	s_or_b32 exec_lo, exec_lo, s16
.LBB357_3923:                           ;   in Loop: Header=BB357_2093 Depth=1
	s_delay_alu instid0(SALU_CYCLE_1)
	s_or_b32 exec_lo, exec_lo, s15
.LBB357_3924:                           ;   in Loop: Header=BB357_2093 Depth=1
	s_delay_alu instid0(SALU_CYCLE_1) | instskip(SKIP_3) | instid1(VALU_DEP_2)
	s_or_b32 exec_lo, exec_lo, s14
	v_dual_lshrrev_b32 v83, 16, v17 :: v_dual_mov_b32 v81, 0
	v_mov_b32_e32 v22, 0
	s_mov_b32 s14, exec_lo
	v_and_b32_e32 v23, 0xff, v83
	s_delay_alu instid0(VALU_DEP_1)
	v_cmpx_ne_u16_e32 0, v23
	s_cbranch_execz .LBB357_3932
; %bb.3925:                             ;   in Loop: Header=BB357_2093 Depth=1
	v_bfrev_b32_e32 v22, 1
	s_mov_b32 s15, exec_lo
	v_cmpx_ne_u16_e32 0x80, v23
	s_cbranch_execz .LBB357_3931
; %bb.3926:                             ;   in Loop: Header=BB357_2093 Depth=1
	v_bfe_u32 v84, v17, 16, 7
	v_mov_b32_e32 v22, 0x7f800001
	s_mov_b32 s16, exec_lo
	s_delay_alu instid0(VALU_DEP_2)
	v_cmpx_ne_u32_e32 0x7f, v84
	s_cbranch_execz .LBB357_3930
; %bb.3927:                             ;   in Loop: Header=BB357_2093 Depth=1
	v_and_b32_e32 v68, 7, v83
	s_mov_b32 s17, exec_lo
	s_delay_alu instid0(VALU_DEP_1)
	v_mov_b64_e32 v[22:23], v[68:69]
	v_lshrrev_b32_e32 v23, 3, v84
	v_cmpx_gt_u32_e32 8, v84
; %bb.3928:                             ;   in Loop: Header=BB357_2093 Depth=1
	v_clz_i32_u32_e32 v22, v68
	s_delay_alu instid0(VALU_DEP_1) | instskip(NEXT) | instid1(VALU_DEP_1)
	v_min_u32_e32 v84, 32, v22
	v_subrev_nc_u32_e32 v22, 28, v84
	s_delay_alu instid0(VALU_DEP_1) | instskip(NEXT) | instid1(VALU_DEP_1)
	v_lshlrev_b64_e32 v[22:23], v22, v[68:69]
	v_dual_sub_nc_u32 v23, 29, v84 :: v_dual_bitop2_b32 v22, 7, v22 bitop3:0x40
; %bb.3929:                             ;   in Loop: Header=BB357_2093 Depth=1
	s_or_b32 exec_lo, exec_lo, s17
	s_delay_alu instid0(VALU_DEP_1) | instskip(NEXT) | instid1(VALU_DEP_2)
	v_dual_lshlrev_b32 v68, 24, v83 :: v_dual_lshlrev_b32 v22, 20, v22
	v_lshl_add_u32 v23, v23, 23, 0x3c000000
	s_delay_alu instid0(VALU_DEP_2) | instskip(NEXT) | instid1(VALU_DEP_1)
	v_and_b32_e32 v68, 0x80000000, v68
	v_or3_b32 v22, v22, v68, v23
.LBB357_3930:                           ;   in Loop: Header=BB357_2093 Depth=1
	s_or_b32 exec_lo, exec_lo, s16
.LBB357_3931:                           ;   in Loop: Header=BB357_2093 Depth=1
	s_delay_alu instid0(SALU_CYCLE_1)
	s_or_b32 exec_lo, exec_lo, s15
.LBB357_3932:                           ;   in Loop: Header=BB357_2093 Depth=1
	s_delay_alu instid0(SALU_CYCLE_1) | instskip(NEXT) | instid1(SALU_CYCLE_1)
	s_or_b32 exec_lo, exec_lo, s14
	s_mov_b32 s14, exec_lo
	v_cmpx_lt_u64_e64 s[2:3], v[16:17]
	s_cbranch_execz .LBB357_3940
; %bb.3933:                             ;   in Loop: Header=BB357_2093 Depth=1
	v_lshrrev_b32_e32 v23, 24, v17
	v_bfrev_b32_e32 v81, 1
	s_mov_b32 s15, exec_lo
	s_delay_alu instid0(VALU_DEP_2)
	v_cmpx_ne_u32_e32 0x80, v23
	s_cbranch_execz .LBB357_3939
; %bb.3934:                             ;   in Loop: Header=BB357_2093 Depth=1
	v_bfe_u32 v83, v17, 24, 7
	v_mov_b32_e32 v81, 0x7f800001
	s_mov_b32 s16, exec_lo
	s_delay_alu instid0(VALU_DEP_2)
	v_cmpx_ne_u32_e32 0x7f, v83
	s_cbranch_execz .LBB357_3938
; %bb.3935:                             ;   in Loop: Header=BB357_2093 Depth=1
	v_and_b32_e32 v68, 7, v23
	s_mov_b32 s17, exec_lo
	s_delay_alu instid0(VALU_DEP_1)
	v_mov_b64_e32 v[16:17], v[68:69]
	v_lshrrev_b32_e32 v17, 3, v83
	v_cmpx_gt_u32_e32 8, v83
; %bb.3936:                             ;   in Loop: Header=BB357_2093 Depth=1
	v_clz_i32_u32_e32 v16, v68
	s_delay_alu instid0(VALU_DEP_1) | instskip(NEXT) | instid1(VALU_DEP_1)
	v_min_u32_e32 v81, 32, v16
	v_subrev_nc_u32_e32 v16, 28, v81
	s_delay_alu instid0(VALU_DEP_1) | instskip(NEXT) | instid1(VALU_DEP_1)
	v_lshlrev_b64_e32 v[16:17], v16, v[68:69]
	v_dual_sub_nc_u32 v17, 29, v81 :: v_dual_bitop2_b32 v16, 7, v16 bitop3:0x40
; %bb.3937:                             ;   in Loop: Header=BB357_2093 Depth=1
	s_or_b32 exec_lo, exec_lo, s17
	s_delay_alu instid0(VALU_DEP_1) | instskip(NEXT) | instid1(VALU_DEP_2)
	v_dual_lshlrev_b32 v23, 24, v23 :: v_dual_lshlrev_b32 v16, 20, v16
	v_lshl_add_u32 v17, v17, 23, 0x3c000000
	s_delay_alu instid0(VALU_DEP_2) | instskip(NEXT) | instid1(VALU_DEP_1)
	v_and_b32_e32 v23, 0x80000000, v23
	v_or3_b32 v81, v16, v23, v17
.LBB357_3938:                           ;   in Loop: Header=BB357_2093 Depth=1
	s_or_b32 exec_lo, exec_lo, s16
.LBB357_3939:                           ;   in Loop: Header=BB357_2093 Depth=1
	s_delay_alu instid0(SALU_CYCLE_1)
	s_or_b32 exec_lo, exec_lo, s15
.LBB357_3940:                           ;   in Loop: Header=BB357_2093 Depth=1
	s_delay_alu instid0(SALU_CYCLE_1)
	s_or_b32 exec_lo, exec_lo, s14
	v_fma_mixlo_bf16 v90, v75, v80, 0
	v_fma_mixlo_bf16 v91, v75, v71, 0
	;; [unrolled: 1-line block ×8, first 2 shown]
	s_and_saveexec_b32 s14, vcc_lo
	s_cbranch_execz .LBB357_3942
; %bb.3941:                             ;   in Loop: Header=BB357_2093 Depth=1
	v_cmp_lt_i32_e64 s0, v74, v42
	s_delay_alu instid0(VALU_DEP_1) | instskip(SKIP_1) | instid1(VALU_DEP_1)
	v_cndmask_b32_e64 v120, 0, v120, s0
	v_cmp_lt_i32_e64 s0, v106, v42
	v_cndmask_b32_e64 v111, 0, v111, s0
	v_cmp_lt_i32_e64 s0, v105, v42
	s_delay_alu instid0(VALU_DEP_1) | instskip(SKIP_1) | instid1(VALU_DEP_1)
	v_cndmask_b32_e64 v122, 0, v122, s0
	v_cmp_lt_i32_e64 s0, v104, v42
	v_cndmask_b32_e64 v108, 0, v108, s0
	;; [unrolled: 5-line block ×4, first 2 shown]
.LBB357_3942:                           ;   in Loop: Header=BB357_2093 Depth=1
	s_or_b32 exec_lo, exec_lo, s14
	flat_load_b64 v[16:17], v[18:19] offset:7168
	v_dual_mov_b32 v10, 0 :: v_dual_mov_b32 v11, 0
	s_mov_b32 s14, exec_lo
	s_wait_loadcnt_dscnt 0x0
	v_and_b32_e32 v22, 0xff, v16
	s_wait_xcnt 0x0
	s_delay_alu instid0(VALU_DEP_1)
	v_cmpx_ne_u16_e32 0, v22
	s_cbranch_execz .LBB357_3950
; %bb.3943:                             ;   in Loop: Header=BB357_2093 Depth=1
	v_bfrev_b32_e32 v11, 1
	s_mov_b32 s15, exec_lo
	v_cmpx_ne_u16_e32 0x80, v22
	s_cbranch_execz .LBB357_3949
; %bb.3944:                             ;   in Loop: Header=BB357_2093 Depth=1
	v_and_b32_e32 v22, 0x7f, v16
	v_mov_b32_e32 v11, 0x7f800001
	s_mov_b32 s16, exec_lo
	s_delay_alu instid0(VALU_DEP_2)
	v_cmpx_ne_u32_e32 0x7f, v22
	s_cbranch_execz .LBB357_3948
; %bb.3945:                             ;   in Loop: Header=BB357_2093 Depth=1
	v_lshrrev_b32_e32 v11, 3, v22
	v_cmp_gt_u32_e64 s0, 8, v22
	v_mov_b64_e32 v[22:23], v[16:17]
	s_and_saveexec_b32 s17, s0
; %bb.3946:                             ;   in Loop: Header=BB357_2093 Depth=1
	v_and_b32_e32 v11, 7, v16
	s_delay_alu instid0(VALU_DEP_1) | instskip(NEXT) | instid1(VALU_DEP_1)
	v_clz_i32_u32_e32 v11, v11
	v_min_u32_e32 v11, 32, v11
	s_delay_alu instid0(VALU_DEP_1) | instskip(SKIP_1) | instid1(VALU_DEP_2)
	v_subrev_nc_u32_e32 v22, 28, v11
	v_sub_nc_u32_e32 v11, 29, v11
	v_lshlrev_b64_e32 v[22:23], v22, v[16:17]
; %bb.3947:                             ;   in Loop: Header=BB357_2093 Depth=1
	s_or_b32 exec_lo, exec_lo, s17
	s_delay_alu instid0(VALU_DEP_1) | instskip(NEXT) | instid1(VALU_DEP_3)
	v_dual_lshlrev_b32 v22, 20, v22 :: v_dual_lshlrev_b32 v23, 24, v16
	v_lshl_add_u32 v11, v11, 23, 0x3c000000
	s_delay_alu instid0(VALU_DEP_2) | instskip(NEXT) | instid1(VALU_DEP_3)
	v_and_b32_e32 v22, 0x700000, v22
	v_and_b32_e32 v23, 0x80000000, v23
	s_delay_alu instid0(VALU_DEP_1)
	v_or3_b32 v11, v22, v23, v11
.LBB357_3948:                           ;   in Loop: Header=BB357_2093 Depth=1
	s_or_b32 exec_lo, exec_lo, s16
.LBB357_3949:                           ;   in Loop: Header=BB357_2093 Depth=1
	s_delay_alu instid0(SALU_CYCLE_1)
	s_or_b32 exec_lo, exec_lo, s15
.LBB357_3950:                           ;   in Loop: Header=BB357_2093 Depth=1
	s_delay_alu instid0(SALU_CYCLE_1) | instskip(SKIP_2) | instid1(VALU_DEP_1)
	s_or_b32 exec_lo, exec_lo, s14
	v_lshrrev_b16 v22, 8, v16
	s_mov_b32 s14, exec_lo
	v_cmpx_ne_u16_e32 0, v22
	s_cbranch_execz .LBB357_3958
; %bb.3951:                             ;   in Loop: Header=BB357_2093 Depth=1
	v_bfrev_b32_e32 v10, 1
	s_mov_b32 s15, exec_lo
	v_cmpx_ne_u16_e32 0x80, v22
	s_cbranch_execz .LBB357_3957
; %bb.3952:                             ;   in Loop: Header=BB357_2093 Depth=1
	v_and_b32_e32 v22, 0xffff, v22
	v_mov_b32_e32 v10, 0x7f800001
	s_mov_b32 s16, exec_lo
	s_delay_alu instid0(VALU_DEP_2) | instskip(NEXT) | instid1(VALU_DEP_1)
	v_and_b32_e32 v26, 0x7f, v22
	v_cmpx_ne_u32_e32 0x7f, v26
	s_cbranch_execz .LBB357_3956
; %bb.3953:                             ;   in Loop: Header=BB357_2093 Depth=1
	v_and_b32_e32 v68, 7, v22
	v_lshrrev_b32_e32 v10, 3, v26
	s_mov_b32 s17, exec_lo
	s_delay_alu instid0(VALU_DEP_2)
	v_mov_b64_e32 v[22:23], v[68:69]
	v_cmpx_gt_u32_e32 8, v26
; %bb.3954:                             ;   in Loop: Header=BB357_2093 Depth=1
	v_clz_i32_u32_e32 v10, v68
	s_delay_alu instid0(VALU_DEP_1) | instskip(NEXT) | instid1(VALU_DEP_1)
	v_min_u32_e32 v10, 32, v10
	v_subrev_nc_u32_e32 v22, 28, v10
	v_sub_nc_u32_e32 v10, 29, v10
	s_delay_alu instid0(VALU_DEP_2) | instskip(NEXT) | instid1(VALU_DEP_1)
	v_lshlrev_b64_e32 v[22:23], v22, v[68:69]
	v_and_b32_e32 v22, 7, v22
; %bb.3955:                             ;   in Loop: Header=BB357_2093 Depth=1
	s_or_b32 exec_lo, exec_lo, s17
	s_delay_alu instid0(VALU_DEP_1) | instskip(SKIP_1) | instid1(VALU_DEP_2)
	v_dual_lshlrev_b32 v23, 16, v16 :: v_dual_lshlrev_b32 v22, 20, v22
	v_lshl_add_u32 v10, v10, 23, 0x3c000000
	v_and_b32_e32 v23, 0x80000000, v23
	s_delay_alu instid0(VALU_DEP_1)
	v_or3_b32 v10, v22, v23, v10
.LBB357_3956:                           ;   in Loop: Header=BB357_2093 Depth=1
	s_or_b32 exec_lo, exec_lo, s16
.LBB357_3957:                           ;   in Loop: Header=BB357_2093 Depth=1
	s_delay_alu instid0(SALU_CYCLE_1)
	s_or_b32 exec_lo, exec_lo, s15
.LBB357_3958:                           ;   in Loop: Header=BB357_2093 Depth=1
	s_delay_alu instid0(SALU_CYCLE_1) | instskip(SKIP_3) | instid1(VALU_DEP_2)
	s_or_b32 exec_lo, exec_lo, s14
	v_dual_lshrrev_b32 v71, 16, v16 :: v_dual_mov_b32 v27, 0
	v_mov_b32_e32 v26, 0
	s_mov_b32 s14, exec_lo
	v_and_b32_e32 v22, 0xff, v71
	s_delay_alu instid0(VALU_DEP_1)
	v_cmpx_ne_u16_e32 0, v22
	s_cbranch_execz .LBB357_3966
; %bb.3959:                             ;   in Loop: Header=BB357_2093 Depth=1
	v_bfrev_b32_e32 v26, 1
	s_mov_b32 s15, exec_lo
	v_cmpx_ne_u16_e32 0x80, v22
	s_cbranch_execz .LBB357_3965
; %bb.3960:                             ;   in Loop: Header=BB357_2093 Depth=1
	v_bfe_u32 v80, v16, 16, 7
	v_mov_b32_e32 v26, 0x7f800001
	s_mov_b32 s16, exec_lo
	s_delay_alu instid0(VALU_DEP_2)
	v_cmpx_ne_u32_e32 0x7f, v80
	s_cbranch_execz .LBB357_3964
; %bb.3961:                             ;   in Loop: Header=BB357_2093 Depth=1
	v_and_b32_e32 v68, 7, v71
	s_mov_b32 s17, exec_lo
	s_delay_alu instid0(VALU_DEP_1)
	v_mov_b64_e32 v[22:23], v[68:69]
	v_lshrrev_b32_e32 v23, 3, v80
	v_cmpx_gt_u32_e32 8, v80
; %bb.3962:                             ;   in Loop: Header=BB357_2093 Depth=1
	v_clz_i32_u32_e32 v22, v68
	s_delay_alu instid0(VALU_DEP_1) | instskip(NEXT) | instid1(VALU_DEP_1)
	v_min_u32_e32 v26, 32, v22
	v_subrev_nc_u32_e32 v22, 28, v26
	s_delay_alu instid0(VALU_DEP_1) | instskip(SKIP_1) | instid1(VALU_DEP_2)
	v_lshlrev_b64_e32 v[22:23], v22, v[68:69]
	v_sub_nc_u32_e32 v23, 29, v26
	v_and_b32_e32 v22, 7, v22
; %bb.3963:                             ;   in Loop: Header=BB357_2093 Depth=1
	s_or_b32 exec_lo, exec_lo, s17
	s_delay_alu instid0(VALU_DEP_1) | instskip(NEXT) | instid1(VALU_DEP_3)
	v_dual_lshlrev_b32 v26, 24, v71 :: v_dual_lshlrev_b32 v22, 20, v22
	v_lshl_add_u32 v23, v23, 23, 0x3c000000
	s_delay_alu instid0(VALU_DEP_2) | instskip(NEXT) | instid1(VALU_DEP_1)
	v_and_b32_e32 v26, 0x80000000, v26
	v_or3_b32 v26, v22, v26, v23
.LBB357_3964:                           ;   in Loop: Header=BB357_2093 Depth=1
	s_or_b32 exec_lo, exec_lo, s16
.LBB357_3965:                           ;   in Loop: Header=BB357_2093 Depth=1
	s_delay_alu instid0(SALU_CYCLE_1)
	s_or_b32 exec_lo, exec_lo, s15
.LBB357_3966:                           ;   in Loop: Header=BB357_2093 Depth=1
	s_delay_alu instid0(SALU_CYCLE_1) | instskip(NEXT) | instid1(SALU_CYCLE_1)
	s_or_b32 exec_lo, exec_lo, s14
	s_mov_b32 s14, exec_lo
	v_cmpx_lt_u32_e32 0xffffff, v16
	s_cbranch_execz .LBB357_3974
; %bb.3967:                             ;   in Loop: Header=BB357_2093 Depth=1
	v_lshrrev_b32_e32 v71, 24, v16
	v_bfrev_b32_e32 v27, 1
	s_mov_b32 s15, exec_lo
	s_delay_alu instid0(VALU_DEP_2)
	v_cmpx_ne_u32_e32 0x80, v71
	s_cbranch_execz .LBB357_3973
; %bb.3968:                             ;   in Loop: Header=BB357_2093 Depth=1
	v_bfe_u32 v80, v16, 24, 7
	v_mov_b32_e32 v27, 0x7f800001
	s_mov_b32 s16, exec_lo
	s_delay_alu instid0(VALU_DEP_2)
	v_cmpx_ne_u32_e32 0x7f, v80
	s_cbranch_execz .LBB357_3972
; %bb.3969:                             ;   in Loop: Header=BB357_2093 Depth=1
	v_and_b32_e32 v68, 7, v71
	s_mov_b32 s17, exec_lo
	s_delay_alu instid0(VALU_DEP_1)
	v_mov_b64_e32 v[22:23], v[68:69]
	v_lshrrev_b32_e32 v23, 3, v80
	v_cmpx_gt_u32_e32 8, v80
; %bb.3970:                             ;   in Loop: Header=BB357_2093 Depth=1
	v_clz_i32_u32_e32 v22, v68
	s_delay_alu instid0(VALU_DEP_1) | instskip(NEXT) | instid1(VALU_DEP_1)
	v_min_u32_e32 v27, 32, v22
	v_subrev_nc_u32_e32 v22, 28, v27
	s_delay_alu instid0(VALU_DEP_1) | instskip(NEXT) | instid1(VALU_DEP_1)
	v_lshlrev_b64_e32 v[22:23], v22, v[68:69]
	v_dual_sub_nc_u32 v23, 29, v27 :: v_dual_bitop2_b32 v22, 7, v22 bitop3:0x40
; %bb.3971:                             ;   in Loop: Header=BB357_2093 Depth=1
	s_or_b32 exec_lo, exec_lo, s17
	s_delay_alu instid0(VALU_DEP_1) | instskip(NEXT) | instid1(VALU_DEP_2)
	v_dual_lshlrev_b32 v27, 24, v71 :: v_dual_lshlrev_b32 v22, 20, v22
	v_lshl_add_u32 v23, v23, 23, 0x3c000000
	s_delay_alu instid0(VALU_DEP_2) | instskip(NEXT) | instid1(VALU_DEP_1)
	v_and_b32_e32 v27, 0x80000000, v27
	v_or3_b32 v27, v22, v27, v23
.LBB357_3972:                           ;   in Loop: Header=BB357_2093 Depth=1
	s_or_b32 exec_lo, exec_lo, s16
.LBB357_3973:                           ;   in Loop: Header=BB357_2093 Depth=1
	s_delay_alu instid0(SALU_CYCLE_1)
	s_or_b32 exec_lo, exec_lo, s15
.LBB357_3974:                           ;   in Loop: Header=BB357_2093 Depth=1
	s_delay_alu instid0(SALU_CYCLE_1) | instskip(SKIP_4) | instid1(VALU_DEP_3)
	s_or_b32 exec_lo, exec_lo, s14
	v_and_b32_e32 v22, 0xff, v17
	v_dual_mov_b32 v68, v17 :: v_dual_mov_b32 v80, 0
	v_mov_b32_e32 v71, 0
	s_mov_b32 s14, exec_lo
	v_cmpx_ne_u16_e32 0, v22
	s_cbranch_execz .LBB357_3982
; %bb.3975:                             ;   in Loop: Header=BB357_2093 Depth=1
	v_bfrev_b32_e32 v71, 1
	s_mov_b32 s15, exec_lo
	v_cmpx_ne_u16_e32 0x80, v22
	s_cbranch_execz .LBB357_3981
; %bb.3976:                             ;   in Loop: Header=BB357_2093 Depth=1
	v_and_b32_e32 v81, 0x7f, v17
	v_mov_b32_e32 v71, 0x7f800001
	s_mov_b32 s16, exec_lo
	s_delay_alu instid0(VALU_DEP_2)
	v_cmpx_ne_u32_e32 0x7f, v81
	s_cbranch_execz .LBB357_3980
; %bb.3977:                             ;   in Loop: Header=BB357_2093 Depth=1
	v_mov_b64_e32 v[22:23], v[68:69]
	v_lshrrev_b32_e32 v23, 3, v81
	s_mov_b32 s17, exec_lo
	v_cmpx_gt_u32_e32 8, v81
; %bb.3978:                             ;   in Loop: Header=BB357_2093 Depth=1
	v_and_b32_e32 v22, 7, v17
	s_delay_alu instid0(VALU_DEP_1) | instskip(NEXT) | instid1(VALU_DEP_1)
	v_clz_i32_u32_e32 v22, v22
	v_min_u32_e32 v71, 32, v22
	s_delay_alu instid0(VALU_DEP_1) | instskip(NEXT) | instid1(VALU_DEP_1)
	v_subrev_nc_u32_e32 v22, 28, v71
	v_lshlrev_b64_e32 v[22:23], v22, v[68:69]
	v_sub_nc_u32_e32 v23, 29, v71
; %bb.3979:                             ;   in Loop: Header=BB357_2093 Depth=1
	s_or_b32 exec_lo, exec_lo, s17
	s_delay_alu instid0(VALU_DEP_2) | instskip(NEXT) | instid1(VALU_DEP_2)
	v_dual_lshlrev_b32 v22, 20, v22 :: v_dual_lshlrev_b32 v71, 24, v68
	v_lshl_add_u32 v23, v23, 23, 0x3c000000
	s_delay_alu instid0(VALU_DEP_2) | instskip(NEXT) | instid1(VALU_DEP_3)
	v_and_b32_e32 v22, 0x700000, v22
	v_and_b32_e32 v71, 0x80000000, v71
	s_delay_alu instid0(VALU_DEP_1)
	v_or3_b32 v71, v22, v71, v23
.LBB357_3980:                           ;   in Loop: Header=BB357_2093 Depth=1
	s_or_b32 exec_lo, exec_lo, s16
.LBB357_3981:                           ;   in Loop: Header=BB357_2093 Depth=1
	s_delay_alu instid0(SALU_CYCLE_1)
	s_or_b32 exec_lo, exec_lo, s15
.LBB357_3982:                           ;   in Loop: Header=BB357_2093 Depth=1
	s_delay_alu instid0(SALU_CYCLE_1) | instskip(SKIP_2) | instid1(VALU_DEP_1)
	s_or_b32 exec_lo, exec_lo, s14
	v_lshrrev_b16 v22, 8, v68
	s_mov_b32 s14, exec_lo
	v_cmpx_ne_u16_e32 0, v22
	s_cbranch_execz .LBB357_3990
; %bb.3983:                             ;   in Loop: Header=BB357_2093 Depth=1
	v_bfrev_b32_e32 v80, 1
	s_mov_b32 s15, exec_lo
	v_cmpx_ne_u16_e32 0x80, v22
	s_cbranch_execz .LBB357_3989
; %bb.3984:                             ;   in Loop: Header=BB357_2093 Depth=1
	v_and_b32_e32 v22, 0xffff, v22
	v_mov_b32_e32 v80, 0x7f800001
	s_mov_b32 s16, exec_lo
	s_delay_alu instid0(VALU_DEP_2) | instskip(NEXT) | instid1(VALU_DEP_1)
	v_and_b32_e32 v81, 0x7f, v22
	v_cmpx_ne_u32_e32 0x7f, v81
	s_cbranch_execz .LBB357_3988
; %bb.3985:                             ;   in Loop: Header=BB357_2093 Depth=1
	v_dual_mov_b32 v23, v69 :: v_dual_bitop2_b32 v22, 7, v22 bitop3:0x40
	v_lshrrev_b32_e32 v80, 3, v81
	s_mov_b32 s17, exec_lo
	v_cmpx_gt_u32_e32 8, v81
; %bb.3986:                             ;   in Loop: Header=BB357_2093 Depth=1
	s_delay_alu instid0(VALU_DEP_3) | instskip(NEXT) | instid1(VALU_DEP_1)
	v_clz_i32_u32_e32 v80, v22
	v_min_u32_e32 v80, 32, v80
	s_delay_alu instid0(VALU_DEP_1) | instskip(NEXT) | instid1(VALU_DEP_1)
	v_subrev_nc_u32_e32 v81, 28, v80
	v_lshlrev_b64_e32 v[22:23], v81, v[22:23]
	s_delay_alu instid0(VALU_DEP_1)
	v_dual_sub_nc_u32 v80, 29, v80 :: v_dual_bitop2_b32 v22, 7, v22 bitop3:0x40
; %bb.3987:                             ;   in Loop: Header=BB357_2093 Depth=1
	s_or_b32 exec_lo, exec_lo, s17
	s_delay_alu instid0(VALU_DEP_1) | instskip(NEXT) | instid1(VALU_DEP_2)
	v_dual_lshlrev_b32 v23, 16, v68 :: v_dual_lshlrev_b32 v22, 20, v22
	v_lshl_add_u32 v68, v80, 23, 0x3c000000
	s_delay_alu instid0(VALU_DEP_2) | instskip(NEXT) | instid1(VALU_DEP_1)
	v_and_b32_e32 v23, 0x80000000, v23
	v_or3_b32 v80, v22, v23, v68
.LBB357_3988:                           ;   in Loop: Header=BB357_2093 Depth=1
	s_or_b32 exec_lo, exec_lo, s16
.LBB357_3989:                           ;   in Loop: Header=BB357_2093 Depth=1
	s_delay_alu instid0(SALU_CYCLE_1)
	s_or_b32 exec_lo, exec_lo, s15
.LBB357_3990:                           ;   in Loop: Header=BB357_2093 Depth=1
	s_delay_alu instid0(SALU_CYCLE_1) | instskip(SKIP_3) | instid1(VALU_DEP_2)
	s_or_b32 exec_lo, exec_lo, s14
	v_dual_lshrrev_b32 v83, 16, v17 :: v_dual_mov_b32 v81, 0
	v_mov_b32_e32 v22, 0
	s_mov_b32 s14, exec_lo
	v_and_b32_e32 v23, 0xff, v83
	s_delay_alu instid0(VALU_DEP_1)
	v_cmpx_ne_u16_e32 0, v23
	s_cbranch_execz .LBB357_3998
; %bb.3991:                             ;   in Loop: Header=BB357_2093 Depth=1
	v_bfrev_b32_e32 v22, 1
	s_mov_b32 s15, exec_lo
	v_cmpx_ne_u16_e32 0x80, v23
	s_cbranch_execz .LBB357_3997
; %bb.3992:                             ;   in Loop: Header=BB357_2093 Depth=1
	v_bfe_u32 v84, v17, 16, 7
	v_mov_b32_e32 v22, 0x7f800001
	s_mov_b32 s16, exec_lo
	s_delay_alu instid0(VALU_DEP_2)
	v_cmpx_ne_u32_e32 0x7f, v84
	s_cbranch_execz .LBB357_3996
; %bb.3993:                             ;   in Loop: Header=BB357_2093 Depth=1
	v_and_b32_e32 v68, 7, v83
	s_mov_b32 s17, exec_lo
	s_delay_alu instid0(VALU_DEP_1)
	v_mov_b64_e32 v[22:23], v[68:69]
	v_lshrrev_b32_e32 v23, 3, v84
	v_cmpx_gt_u32_e32 8, v84
; %bb.3994:                             ;   in Loop: Header=BB357_2093 Depth=1
	v_clz_i32_u32_e32 v22, v68
	s_delay_alu instid0(VALU_DEP_1) | instskip(NEXT) | instid1(VALU_DEP_1)
	v_min_u32_e32 v84, 32, v22
	v_subrev_nc_u32_e32 v22, 28, v84
	s_delay_alu instid0(VALU_DEP_1) | instskip(NEXT) | instid1(VALU_DEP_1)
	v_lshlrev_b64_e32 v[22:23], v22, v[68:69]
	v_dual_sub_nc_u32 v23, 29, v84 :: v_dual_bitop2_b32 v22, 7, v22 bitop3:0x40
; %bb.3995:                             ;   in Loop: Header=BB357_2093 Depth=1
	s_or_b32 exec_lo, exec_lo, s17
	s_delay_alu instid0(VALU_DEP_1) | instskip(NEXT) | instid1(VALU_DEP_2)
	v_dual_lshlrev_b32 v68, 24, v83 :: v_dual_lshlrev_b32 v22, 20, v22
	v_lshl_add_u32 v23, v23, 23, 0x3c000000
	s_delay_alu instid0(VALU_DEP_2) | instskip(NEXT) | instid1(VALU_DEP_1)
	v_and_b32_e32 v68, 0x80000000, v68
	v_or3_b32 v22, v22, v68, v23
.LBB357_3996:                           ;   in Loop: Header=BB357_2093 Depth=1
	s_or_b32 exec_lo, exec_lo, s16
.LBB357_3997:                           ;   in Loop: Header=BB357_2093 Depth=1
	s_delay_alu instid0(SALU_CYCLE_1)
	s_or_b32 exec_lo, exec_lo, s15
.LBB357_3998:                           ;   in Loop: Header=BB357_2093 Depth=1
	s_delay_alu instid0(SALU_CYCLE_1) | instskip(NEXT) | instid1(SALU_CYCLE_1)
	s_or_b32 exec_lo, exec_lo, s14
	s_mov_b32 s14, exec_lo
	v_cmpx_lt_u64_e64 s[2:3], v[16:17]
	s_cbranch_execz .LBB357_4006
; %bb.3999:                             ;   in Loop: Header=BB357_2093 Depth=1
	v_lshrrev_b32_e32 v23, 24, v17
	v_bfrev_b32_e32 v81, 1
	s_mov_b32 s15, exec_lo
	s_delay_alu instid0(VALU_DEP_2)
	v_cmpx_ne_u32_e32 0x80, v23
	s_cbranch_execz .LBB357_4005
; %bb.4000:                             ;   in Loop: Header=BB357_2093 Depth=1
	v_bfe_u32 v83, v17, 24, 7
	v_mov_b32_e32 v81, 0x7f800001
	s_mov_b32 s16, exec_lo
	s_delay_alu instid0(VALU_DEP_2)
	v_cmpx_ne_u32_e32 0x7f, v83
	s_cbranch_execz .LBB357_4004
; %bb.4001:                             ;   in Loop: Header=BB357_2093 Depth=1
	v_and_b32_e32 v68, 7, v23
	s_mov_b32 s17, exec_lo
	s_delay_alu instid0(VALU_DEP_1)
	v_mov_b64_e32 v[16:17], v[68:69]
	v_lshrrev_b32_e32 v17, 3, v83
	v_cmpx_gt_u32_e32 8, v83
; %bb.4002:                             ;   in Loop: Header=BB357_2093 Depth=1
	v_clz_i32_u32_e32 v16, v68
	s_delay_alu instid0(VALU_DEP_1) | instskip(NEXT) | instid1(VALU_DEP_1)
	v_min_u32_e32 v81, 32, v16
	v_subrev_nc_u32_e32 v16, 28, v81
	s_delay_alu instid0(VALU_DEP_1) | instskip(NEXT) | instid1(VALU_DEP_1)
	v_lshlrev_b64_e32 v[16:17], v16, v[68:69]
	v_dual_sub_nc_u32 v17, 29, v81 :: v_dual_bitop2_b32 v16, 7, v16 bitop3:0x40
; %bb.4003:                             ;   in Loop: Header=BB357_2093 Depth=1
	s_or_b32 exec_lo, exec_lo, s17
	s_delay_alu instid0(VALU_DEP_1) | instskip(NEXT) | instid1(VALU_DEP_2)
	v_dual_lshlrev_b32 v23, 24, v23 :: v_dual_lshlrev_b32 v16, 20, v16
	v_lshl_add_u32 v17, v17, 23, 0x3c000000
	s_delay_alu instid0(VALU_DEP_2) | instskip(NEXT) | instid1(VALU_DEP_1)
	v_and_b32_e32 v23, 0x80000000, v23
	v_or3_b32 v81, v16, v23, v17
.LBB357_4004:                           ;   in Loop: Header=BB357_2093 Depth=1
	s_or_b32 exec_lo, exec_lo, s16
.LBB357_4005:                           ;   in Loop: Header=BB357_2093 Depth=1
	s_delay_alu instid0(SALU_CYCLE_1)
	s_or_b32 exec_lo, exec_lo, s15
.LBB357_4006:                           ;   in Loop: Header=BB357_2093 Depth=1
	s_delay_alu instid0(SALU_CYCLE_1)
	s_or_b32 exec_lo, exec_lo, s14
	v_fma_mixlo_bf16 v121, v75, v80, 0
	v_fma_mixlo_bf16 v83, v75, v71, 0
	;; [unrolled: 1-line block ×8, first 2 shown]
	s_and_saveexec_b32 s14, vcc_lo
	s_cbranch_execz .LBB357_4008
; %bb.4007:                             ;   in Loop: Header=BB357_2093 Depth=1
	v_cmp_lt_i32_e64 s0, v74, v42
	s_delay_alu instid0(VALU_DEP_1) | instskip(SKIP_1) | instid1(VALU_DEP_1)
	v_cndmask_b32_e64 v127, 0, v127, s0
	v_cmp_lt_i32_e64 s0, v106, v42
	v_cndmask_b32_e64 v10, 0, v10, s0
	v_cmp_lt_i32_e64 s0, v105, v42
	s_delay_alu instid0(VALU_DEP_1) | instskip(SKIP_1) | instid1(VALU_DEP_1)
	v_cndmask_b32_e64 v126, 0, v126, s0
	v_cmp_lt_i32_e64 s0, v104, v42
	v_cndmask_b32_e64 v124, 0, v124, s0
	;; [unrolled: 5-line block ×4, first 2 shown]
.LBB357_4008:                           ;   in Loop: Header=BB357_2093 Depth=1
	s_or_b32 exec_lo, exec_lo, s14
	flat_load_b64 v[16:17], v[18:19] offset:7424
	v_dual_mov_b32 v71, 0 :: v_dual_mov_b32 v27, 0
	s_mov_b32 s14, exec_lo
	s_wait_loadcnt_dscnt 0x0
	v_and_b32_e32 v11, 0xff, v16
	s_wait_xcnt 0x0
	s_delay_alu instid0(VALU_DEP_1)
	v_cmpx_ne_u16_e32 0, v11
	s_cbranch_execz .LBB357_4016
; %bb.4009:                             ;   in Loop: Header=BB357_2093 Depth=1
	v_bfrev_b32_e32 v27, 1
	s_mov_b32 s15, exec_lo
	v_cmpx_ne_u16_e32 0x80, v11
	s_cbranch_execz .LBB357_4015
; %bb.4010:                             ;   in Loop: Header=BB357_2093 Depth=1
	v_and_b32_e32 v22, 0x7f, v16
	v_mov_b32_e32 v27, 0x7f800001
	s_mov_b32 s16, exec_lo
	s_delay_alu instid0(VALU_DEP_2)
	v_cmpx_ne_u32_e32 0x7f, v22
	s_cbranch_execz .LBB357_4014
; %bb.4011:                             ;   in Loop: Header=BB357_2093 Depth=1
	v_lshrrev_b32_e32 v11, 3, v22
	v_cmp_gt_u32_e64 s0, 8, v22
	v_mov_b64_e32 v[22:23], v[16:17]
	s_and_saveexec_b32 s17, s0
; %bb.4012:                             ;   in Loop: Header=BB357_2093 Depth=1
	v_and_b32_e32 v11, 7, v16
	s_delay_alu instid0(VALU_DEP_1) | instskip(NEXT) | instid1(VALU_DEP_1)
	v_clz_i32_u32_e32 v11, v11
	v_min_u32_e32 v11, 32, v11
	s_delay_alu instid0(VALU_DEP_1) | instskip(SKIP_1) | instid1(VALU_DEP_2)
	v_subrev_nc_u32_e32 v22, 28, v11
	v_sub_nc_u32_e32 v11, 29, v11
	v_lshlrev_b64_e32 v[22:23], v22, v[16:17]
; %bb.4013:                             ;   in Loop: Header=BB357_2093 Depth=1
	s_or_b32 exec_lo, exec_lo, s17
	s_delay_alu instid0(VALU_DEP_1) | instskip(NEXT) | instid1(VALU_DEP_3)
	v_dual_lshlrev_b32 v22, 20, v22 :: v_dual_lshlrev_b32 v23, 24, v16
	v_lshl_add_u32 v11, v11, 23, 0x3c000000
	s_delay_alu instid0(VALU_DEP_2) | instskip(NEXT) | instid1(VALU_DEP_3)
	v_and_b32_e32 v22, 0x700000, v22
	v_and_b32_e32 v23, 0x80000000, v23
	s_delay_alu instid0(VALU_DEP_1)
	v_or3_b32 v27, v22, v23, v11
.LBB357_4014:                           ;   in Loop: Header=BB357_2093 Depth=1
	s_or_b32 exec_lo, exec_lo, s16
.LBB357_4015:                           ;   in Loop: Header=BB357_2093 Depth=1
	s_delay_alu instid0(SALU_CYCLE_1)
	s_or_b32 exec_lo, exec_lo, s15
.LBB357_4016:                           ;   in Loop: Header=BB357_2093 Depth=1
	s_delay_alu instid0(SALU_CYCLE_1) | instskip(SKIP_2) | instid1(VALU_DEP_1)
	s_or_b32 exec_lo, exec_lo, s14
	v_lshrrev_b16 v11, 8, v16
	s_mov_b32 s14, exec_lo
	v_cmpx_ne_u16_e32 0, v11
	s_cbranch_execz .LBB357_4024
; %bb.4017:                             ;   in Loop: Header=BB357_2093 Depth=1
	v_bfrev_b32_e32 v71, 1
	s_mov_b32 s15, exec_lo
	v_cmpx_ne_u16_e32 0x80, v11
	s_cbranch_execz .LBB357_4023
; %bb.4018:                             ;   in Loop: Header=BB357_2093 Depth=1
	v_and_b32_e32 v11, 0xffff, v11
	v_mov_b32_e32 v71, 0x7f800001
	s_mov_b32 s16, exec_lo
	s_delay_alu instid0(VALU_DEP_2) | instskip(NEXT) | instid1(VALU_DEP_1)
	v_and_b32_e32 v26, 0x7f, v11
	v_cmpx_ne_u32_e32 0x7f, v26
	s_cbranch_execz .LBB357_4022
; %bb.4019:                             ;   in Loop: Header=BB357_2093 Depth=1
	v_dual_lshrrev_b32 v11, 3, v26 :: v_dual_bitop2_b32 v68, 7, v11 bitop3:0x40
	s_mov_b32 s17, exec_lo
	s_delay_alu instid0(VALU_DEP_1)
	v_mov_b64_e32 v[22:23], v[68:69]
	v_cmpx_gt_u32_e32 8, v26
; %bb.4020:                             ;   in Loop: Header=BB357_2093 Depth=1
	v_clz_i32_u32_e32 v11, v68
	s_delay_alu instid0(VALU_DEP_1) | instskip(NEXT) | instid1(VALU_DEP_1)
	v_min_u32_e32 v11, 32, v11
	v_subrev_nc_u32_e32 v22, 28, v11
	s_delay_alu instid0(VALU_DEP_1) | instskip(NEXT) | instid1(VALU_DEP_1)
	v_lshlrev_b64_e32 v[22:23], v22, v[68:69]
	v_dual_sub_nc_u32 v11, 29, v11 :: v_dual_bitop2_b32 v22, 7, v22 bitop3:0x40
; %bb.4021:                             ;   in Loop: Header=BB357_2093 Depth=1
	s_or_b32 exec_lo, exec_lo, s17
	s_delay_alu instid0(VALU_DEP_1) | instskip(NEXT) | instid1(VALU_DEP_2)
	v_dual_lshlrev_b32 v23, 16, v16 :: v_dual_lshlrev_b32 v22, 20, v22
	v_lshl_add_u32 v11, v11, 23, 0x3c000000
	s_delay_alu instid0(VALU_DEP_2) | instskip(NEXT) | instid1(VALU_DEP_1)
	v_and_b32_e32 v23, 0x80000000, v23
	v_or3_b32 v71, v22, v23, v11
.LBB357_4022:                           ;   in Loop: Header=BB357_2093 Depth=1
	s_or_b32 exec_lo, exec_lo, s16
.LBB357_4023:                           ;   in Loop: Header=BB357_2093 Depth=1
	s_delay_alu instid0(SALU_CYCLE_1)
	s_or_b32 exec_lo, exec_lo, s15
.LBB357_4024:                           ;   in Loop: Header=BB357_2093 Depth=1
	s_delay_alu instid0(SALU_CYCLE_1) | instskip(SKIP_3) | instid1(VALU_DEP_2)
	s_or_b32 exec_lo, exec_lo, s14
	v_dual_mov_b32 v80, 0 :: v_dual_lshrrev_b32 v11, 16, v16
	v_mov_b32_e32 v81, 0
	s_mov_b32 s14, exec_lo
	v_and_b32_e32 v22, 0xff, v11
	s_delay_alu instid0(VALU_DEP_1)
	v_cmpx_ne_u16_e32 0, v22
	s_cbranch_execz .LBB357_4032
; %bb.4025:                             ;   in Loop: Header=BB357_2093 Depth=1
	v_bfrev_b32_e32 v81, 1
	s_mov_b32 s15, exec_lo
	v_cmpx_ne_u16_e32 0x80, v22
	s_cbranch_execz .LBB357_4031
; %bb.4026:                             ;   in Loop: Header=BB357_2093 Depth=1
	v_bfe_u32 v26, v16, 16, 7
	v_mov_b32_e32 v81, 0x7f800001
	s_mov_b32 s16, exec_lo
	s_delay_alu instid0(VALU_DEP_2)
	v_cmpx_ne_u32_e32 0x7f, v26
	s_cbranch_execz .LBB357_4030
; %bb.4027:                             ;   in Loop: Header=BB357_2093 Depth=1
	v_and_b32_e32 v68, 7, v11
	s_mov_b32 s17, exec_lo
	s_delay_alu instid0(VALU_DEP_1)
	v_mov_b64_e32 v[22:23], v[68:69]
	v_lshrrev_b32_e32 v23, 3, v26
	v_cmpx_gt_u32_e32 8, v26
; %bb.4028:                             ;   in Loop: Header=BB357_2093 Depth=1
	v_clz_i32_u32_e32 v22, v68
	s_delay_alu instid0(VALU_DEP_1) | instskip(NEXT) | instid1(VALU_DEP_1)
	v_min_u32_e32 v26, 32, v22
	v_subrev_nc_u32_e32 v22, 28, v26
	s_delay_alu instid0(VALU_DEP_1) | instskip(SKIP_1) | instid1(VALU_DEP_2)
	v_lshlrev_b64_e32 v[22:23], v22, v[68:69]
	v_sub_nc_u32_e32 v23, 29, v26
	v_and_b32_e32 v22, 7, v22
; %bb.4029:                             ;   in Loop: Header=BB357_2093 Depth=1
	s_or_b32 exec_lo, exec_lo, s17
	s_delay_alu instid0(VALU_DEP_1) | instskip(NEXT) | instid1(VALU_DEP_3)
	v_dual_lshlrev_b32 v11, 24, v11 :: v_dual_lshlrev_b32 v22, 20, v22
	v_lshl_add_u32 v23, v23, 23, 0x3c000000
	s_delay_alu instid0(VALU_DEP_2) | instskip(NEXT) | instid1(VALU_DEP_1)
	v_and_b32_e32 v11, 0x80000000, v11
	v_or3_b32 v81, v22, v11, v23
.LBB357_4030:                           ;   in Loop: Header=BB357_2093 Depth=1
	s_or_b32 exec_lo, exec_lo, s16
.LBB357_4031:                           ;   in Loop: Header=BB357_2093 Depth=1
	s_delay_alu instid0(SALU_CYCLE_1)
	s_or_b32 exec_lo, exec_lo, s15
.LBB357_4032:                           ;   in Loop: Header=BB357_2093 Depth=1
	s_delay_alu instid0(SALU_CYCLE_1) | instskip(NEXT) | instid1(SALU_CYCLE_1)
	s_or_b32 exec_lo, exec_lo, s14
	s_mov_b32 s14, exec_lo
	v_cmpx_lt_u32_e32 0xffffff, v16
	s_cbranch_execz .LBB357_4040
; %bb.4033:                             ;   in Loop: Header=BB357_2093 Depth=1
	v_lshrrev_b32_e32 v11, 24, v16
	v_bfrev_b32_e32 v80, 1
	s_mov_b32 s15, exec_lo
	s_delay_alu instid0(VALU_DEP_2)
	v_cmpx_ne_u32_e32 0x80, v11
	s_cbranch_execz .LBB357_4039
; %bb.4034:                             ;   in Loop: Header=BB357_2093 Depth=1
	v_bfe_u32 v26, v16, 24, 7
	v_mov_b32_e32 v80, 0x7f800001
	s_mov_b32 s16, exec_lo
	s_delay_alu instid0(VALU_DEP_2)
	v_cmpx_ne_u32_e32 0x7f, v26
	s_cbranch_execz .LBB357_4038
; %bb.4035:                             ;   in Loop: Header=BB357_2093 Depth=1
	v_and_b32_e32 v68, 7, v11
	s_mov_b32 s17, exec_lo
	s_delay_alu instid0(VALU_DEP_1)
	v_mov_b64_e32 v[22:23], v[68:69]
	v_lshrrev_b32_e32 v23, 3, v26
	v_cmpx_gt_u32_e32 8, v26
; %bb.4036:                             ;   in Loop: Header=BB357_2093 Depth=1
	v_clz_i32_u32_e32 v22, v68
	s_delay_alu instid0(VALU_DEP_1) | instskip(NEXT) | instid1(VALU_DEP_1)
	v_min_u32_e32 v26, 32, v22
	v_subrev_nc_u32_e32 v22, 28, v26
	s_delay_alu instid0(VALU_DEP_1) | instskip(SKIP_1) | instid1(VALU_DEP_2)
	v_lshlrev_b64_e32 v[22:23], v22, v[68:69]
	v_sub_nc_u32_e32 v23, 29, v26
	v_and_b32_e32 v22, 7, v22
; %bb.4037:                             ;   in Loop: Header=BB357_2093 Depth=1
	s_or_b32 exec_lo, exec_lo, s17
	s_delay_alu instid0(VALU_DEP_1) | instskip(NEXT) | instid1(VALU_DEP_3)
	v_dual_lshlrev_b32 v11, 24, v11 :: v_dual_lshlrev_b32 v22, 20, v22
	v_lshl_add_u32 v23, v23, 23, 0x3c000000
	s_delay_alu instid0(VALU_DEP_2) | instskip(NEXT) | instid1(VALU_DEP_1)
	v_and_b32_e32 v11, 0x80000000, v11
	v_or3_b32 v80, v22, v11, v23
.LBB357_4038:                           ;   in Loop: Header=BB357_2093 Depth=1
	s_or_b32 exec_lo, exec_lo, s16
.LBB357_4039:                           ;   in Loop: Header=BB357_2093 Depth=1
	s_delay_alu instid0(SALU_CYCLE_1)
	s_or_b32 exec_lo, exec_lo, s15
.LBB357_4040:                           ;   in Loop: Header=BB357_2093 Depth=1
	s_delay_alu instid0(SALU_CYCLE_1) | instskip(SKIP_4) | instid1(VALU_DEP_3)
	s_or_b32 exec_lo, exec_lo, s14
	v_and_b32_e32 v22, 0xff, v17
	v_dual_mov_b32 v68, v17 :: v_dual_mov_b32 v11, 0
	v_mov_b32_e32 v26, 0
	s_mov_b32 s14, exec_lo
	v_cmpx_ne_u16_e32 0, v22
	s_cbranch_execz .LBB357_4048
; %bb.4041:                             ;   in Loop: Header=BB357_2093 Depth=1
	v_bfrev_b32_e32 v26, 1
	s_mov_b32 s15, exec_lo
	v_cmpx_ne_u16_e32 0x80, v22
	s_cbranch_execz .LBB357_4047
; %bb.4042:                             ;   in Loop: Header=BB357_2093 Depth=1
	v_and_b32_e32 v84, 0x7f, v17
	v_mov_b32_e32 v26, 0x7f800001
	s_mov_b32 s16, exec_lo
	s_delay_alu instid0(VALU_DEP_2)
	v_cmpx_ne_u32_e32 0x7f, v84
	s_cbranch_execz .LBB357_4046
; %bb.4043:                             ;   in Loop: Header=BB357_2093 Depth=1
	v_mov_b64_e32 v[22:23], v[68:69]
	v_lshrrev_b32_e32 v23, 3, v84
	s_mov_b32 s17, exec_lo
	v_cmpx_gt_u32_e32 8, v84
; %bb.4044:                             ;   in Loop: Header=BB357_2093 Depth=1
	v_and_b32_e32 v22, 7, v17
	s_delay_alu instid0(VALU_DEP_1) | instskip(NEXT) | instid1(VALU_DEP_1)
	v_clz_i32_u32_e32 v22, v22
	v_min_u32_e32 v26, 32, v22
	s_delay_alu instid0(VALU_DEP_1) | instskip(NEXT) | instid1(VALU_DEP_1)
	v_subrev_nc_u32_e32 v22, 28, v26
	v_lshlrev_b64_e32 v[22:23], v22, v[68:69]
	v_sub_nc_u32_e32 v23, 29, v26
; %bb.4045:                             ;   in Loop: Header=BB357_2093 Depth=1
	s_or_b32 exec_lo, exec_lo, s17
	s_delay_alu instid0(VALU_DEP_2) | instskip(NEXT) | instid1(VALU_DEP_2)
	v_dual_lshlrev_b32 v22, 20, v22 :: v_dual_lshlrev_b32 v26, 24, v68
	v_lshl_add_u32 v23, v23, 23, 0x3c000000
	s_delay_alu instid0(VALU_DEP_2) | instskip(NEXT) | instid1(VALU_DEP_3)
	v_and_b32_e32 v22, 0x700000, v22
	v_and_b32_e32 v26, 0x80000000, v26
	s_delay_alu instid0(VALU_DEP_1)
	v_or3_b32 v26, v22, v26, v23
.LBB357_4046:                           ;   in Loop: Header=BB357_2093 Depth=1
	s_or_b32 exec_lo, exec_lo, s16
.LBB357_4047:                           ;   in Loop: Header=BB357_2093 Depth=1
	s_delay_alu instid0(SALU_CYCLE_1)
	s_or_b32 exec_lo, exec_lo, s15
.LBB357_4048:                           ;   in Loop: Header=BB357_2093 Depth=1
	s_delay_alu instid0(SALU_CYCLE_1) | instskip(SKIP_2) | instid1(VALU_DEP_1)
	s_or_b32 exec_lo, exec_lo, s14
	v_lshrrev_b16 v22, 8, v68
	s_mov_b32 s14, exec_lo
	v_cmpx_ne_u16_e32 0, v22
	s_cbranch_execz .LBB357_4056
; %bb.4049:                             ;   in Loop: Header=BB357_2093 Depth=1
	v_bfrev_b32_e32 v11, 1
	s_mov_b32 s15, exec_lo
	v_cmpx_ne_u16_e32 0x80, v22
	s_cbranch_execz .LBB357_4055
; %bb.4050:                             ;   in Loop: Header=BB357_2093 Depth=1
	v_and_b32_e32 v22, 0xffff, v22
	v_mov_b32_e32 v11, 0x7f800001
	s_mov_b32 s16, exec_lo
	s_delay_alu instid0(VALU_DEP_2) | instskip(NEXT) | instid1(VALU_DEP_1)
	v_and_b32_e32 v84, 0x7f, v22
	v_cmpx_ne_u32_e32 0x7f, v84
	s_cbranch_execz .LBB357_4054
; %bb.4051:                             ;   in Loop: Header=BB357_2093 Depth=1
	v_dual_mov_b32 v23, v69 :: v_dual_bitop2_b32 v22, 7, v22 bitop3:0x40
	v_lshrrev_b32_e32 v11, 3, v84
	s_mov_b32 s17, exec_lo
	v_cmpx_gt_u32_e32 8, v84
; %bb.4052:                             ;   in Loop: Header=BB357_2093 Depth=1
	s_delay_alu instid0(VALU_DEP_3) | instskip(NEXT) | instid1(VALU_DEP_1)
	v_clz_i32_u32_e32 v11, v22
	v_min_u32_e32 v11, 32, v11
	s_delay_alu instid0(VALU_DEP_1) | instskip(NEXT) | instid1(VALU_DEP_1)
	v_subrev_nc_u32_e32 v84, 28, v11
	v_lshlrev_b64_e32 v[22:23], v84, v[22:23]
	s_delay_alu instid0(VALU_DEP_1)
	v_dual_sub_nc_u32 v11, 29, v11 :: v_dual_bitop2_b32 v22, 7, v22 bitop3:0x40
; %bb.4053:                             ;   in Loop: Header=BB357_2093 Depth=1
	s_or_b32 exec_lo, exec_lo, s17
	s_delay_alu instid0(VALU_DEP_1) | instskip(NEXT) | instid1(VALU_DEP_2)
	v_dual_lshlrev_b32 v23, 16, v68 :: v_dual_lshlrev_b32 v22, 20, v22
	v_lshl_add_u32 v11, v11, 23, 0x3c000000
	s_delay_alu instid0(VALU_DEP_2) | instskip(NEXT) | instid1(VALU_DEP_1)
	v_and_b32_e32 v23, 0x80000000, v23
	v_or3_b32 v11, v22, v23, v11
.LBB357_4054:                           ;   in Loop: Header=BB357_2093 Depth=1
	s_or_b32 exec_lo, exec_lo, s16
.LBB357_4055:                           ;   in Loop: Header=BB357_2093 Depth=1
	s_delay_alu instid0(SALU_CYCLE_1)
	s_or_b32 exec_lo, exec_lo, s15
.LBB357_4056:                           ;   in Loop: Header=BB357_2093 Depth=1
	s_delay_alu instid0(SALU_CYCLE_1) | instskip(SKIP_3) | instid1(VALU_DEP_2)
	s_or_b32 exec_lo, exec_lo, s14
	v_dual_mov_b32 v84, 0 :: v_dual_lshrrev_b32 v85, 16, v17
	v_mov_b32_e32 v22, 0
	s_mov_b32 s14, exec_lo
	v_and_b32_e32 v23, 0xff, v85
	s_delay_alu instid0(VALU_DEP_1)
	v_cmpx_ne_u16_e32 0, v23
	s_cbranch_execz .LBB357_4064
; %bb.4057:                             ;   in Loop: Header=BB357_2093 Depth=1
	v_bfrev_b32_e32 v22, 1
	s_mov_b32 s15, exec_lo
	v_cmpx_ne_u16_e32 0x80, v23
	s_cbranch_execz .LBB357_4063
; %bb.4058:                             ;   in Loop: Header=BB357_2093 Depth=1
	v_bfe_u32 v86, v17, 16, 7
	v_mov_b32_e32 v22, 0x7f800001
	s_mov_b32 s16, exec_lo
	s_delay_alu instid0(VALU_DEP_2)
	v_cmpx_ne_u32_e32 0x7f, v86
	s_cbranch_execz .LBB357_4062
; %bb.4059:                             ;   in Loop: Header=BB357_2093 Depth=1
	v_and_b32_e32 v68, 7, v85
	s_mov_b32 s17, exec_lo
	s_delay_alu instid0(VALU_DEP_1)
	v_mov_b64_e32 v[22:23], v[68:69]
	v_lshrrev_b32_e32 v23, 3, v86
	v_cmpx_gt_u32_e32 8, v86
; %bb.4060:                             ;   in Loop: Header=BB357_2093 Depth=1
	v_clz_i32_u32_e32 v22, v68
	s_delay_alu instid0(VALU_DEP_1) | instskip(NEXT) | instid1(VALU_DEP_1)
	v_min_u32_e32 v86, 32, v22
	v_subrev_nc_u32_e32 v22, 28, v86
	s_delay_alu instid0(VALU_DEP_1) | instskip(SKIP_1) | instid1(VALU_DEP_2)
	v_lshlrev_b64_e32 v[22:23], v22, v[68:69]
	v_sub_nc_u32_e32 v23, 29, v86
	v_and_b32_e32 v22, 7, v22
; %bb.4061:                             ;   in Loop: Header=BB357_2093 Depth=1
	s_or_b32 exec_lo, exec_lo, s17
	s_delay_alu instid0(VALU_DEP_1) | instskip(NEXT) | instid1(VALU_DEP_3)
	v_dual_lshlrev_b32 v68, 24, v85 :: v_dual_lshlrev_b32 v22, 20, v22
	v_lshl_add_u32 v23, v23, 23, 0x3c000000
	s_delay_alu instid0(VALU_DEP_2) | instskip(NEXT) | instid1(VALU_DEP_1)
	v_and_b32_e32 v68, 0x80000000, v68
	v_or3_b32 v22, v22, v68, v23
.LBB357_4062:                           ;   in Loop: Header=BB357_2093 Depth=1
	s_or_b32 exec_lo, exec_lo, s16
.LBB357_4063:                           ;   in Loop: Header=BB357_2093 Depth=1
	s_delay_alu instid0(SALU_CYCLE_1)
	s_or_b32 exec_lo, exec_lo, s15
.LBB357_4064:                           ;   in Loop: Header=BB357_2093 Depth=1
	s_delay_alu instid0(SALU_CYCLE_1) | instskip(NEXT) | instid1(SALU_CYCLE_1)
	s_or_b32 exec_lo, exec_lo, s14
	s_mov_b32 s14, exec_lo
	v_cmpx_lt_u64_e64 s[2:3], v[16:17]
	s_cbranch_execz .LBB357_4072
; %bb.4065:                             ;   in Loop: Header=BB357_2093 Depth=1
	v_lshrrev_b32_e32 v23, 24, v17
	v_bfrev_b32_e32 v84, 1
	s_mov_b32 s15, exec_lo
	s_delay_alu instid0(VALU_DEP_2)
	v_cmpx_ne_u32_e32 0x80, v23
	s_cbranch_execz .LBB357_4071
; %bb.4066:                             ;   in Loop: Header=BB357_2093 Depth=1
	v_bfe_u32 v85, v17, 24, 7
	v_mov_b32_e32 v84, 0x7f800001
	s_mov_b32 s16, exec_lo
	s_delay_alu instid0(VALU_DEP_2)
	v_cmpx_ne_u32_e32 0x7f, v85
	s_cbranch_execz .LBB357_4070
; %bb.4067:                             ;   in Loop: Header=BB357_2093 Depth=1
	v_and_b32_e32 v68, 7, v23
	s_mov_b32 s17, exec_lo
	s_delay_alu instid0(VALU_DEP_1)
	v_mov_b64_e32 v[16:17], v[68:69]
	v_lshrrev_b32_e32 v17, 3, v85
	v_cmpx_gt_u32_e32 8, v85
; %bb.4068:                             ;   in Loop: Header=BB357_2093 Depth=1
	v_clz_i32_u32_e32 v16, v68
	s_delay_alu instid0(VALU_DEP_1) | instskip(NEXT) | instid1(VALU_DEP_1)
	v_min_u32_e32 v84, 32, v16
	v_subrev_nc_u32_e32 v16, 28, v84
	s_delay_alu instid0(VALU_DEP_1) | instskip(SKIP_1) | instid1(VALU_DEP_2)
	v_lshlrev_b64_e32 v[16:17], v16, v[68:69]
	v_sub_nc_u32_e32 v17, 29, v84
	v_and_b32_e32 v16, 7, v16
; %bb.4069:                             ;   in Loop: Header=BB357_2093 Depth=1
	s_or_b32 exec_lo, exec_lo, s17
	s_delay_alu instid0(VALU_DEP_1) | instskip(NEXT) | instid1(VALU_DEP_3)
	v_dual_lshlrev_b32 v23, 24, v23 :: v_dual_lshlrev_b32 v16, 20, v16
	v_lshl_add_u32 v17, v17, 23, 0x3c000000
	s_delay_alu instid0(VALU_DEP_2) | instskip(NEXT) | instid1(VALU_DEP_1)
	v_and_b32_e32 v23, 0x80000000, v23
	v_or3_b32 v84, v16, v23, v17
.LBB357_4070:                           ;   in Loop: Header=BB357_2093 Depth=1
	s_or_b32 exec_lo, exec_lo, s16
.LBB357_4071:                           ;   in Loop: Header=BB357_2093 Depth=1
	s_delay_alu instid0(SALU_CYCLE_1)
	s_or_b32 exec_lo, exec_lo, s15
.LBB357_4072:                           ;   in Loop: Header=BB357_2093 Depth=1
	s_delay_alu instid0(SALU_CYCLE_1)
	s_or_b32 exec_lo, exec_lo, s14
	v_fma_mixlo_bf16 v11, v75, v11, 0
	v_fma_mixlo_bf16 v26, v75, v26, 0
	;; [unrolled: 1-line block ×8, first 2 shown]
	s_and_saveexec_b32 s14, vcc_lo
	s_cbranch_execz .LBB357_4074
; %bb.4073:                             ;   in Loop: Header=BB357_2093 Depth=1
	v_cmp_lt_i32_e64 s0, v74, v42
	s_delay_alu instid0(VALU_DEP_1) | instskip(SKIP_1) | instid1(VALU_DEP_1)
	v_cndmask_b32_e64 v87, 0, v87, s0
	v_cmp_lt_i32_e64 s0, v106, v42
	v_cndmask_b32_e64 v86, 0, v86, s0
	v_cmp_lt_i32_e64 s0, v105, v42
	s_delay_alu instid0(VALU_DEP_1) | instskip(SKIP_1) | instid1(VALU_DEP_1)
	v_cndmask_b32_e64 v81, 0, v81, s0
	v_cmp_lt_i32_e64 s0, v104, v42
	v_cndmask_b32_e64 v80, 0, v80, s0
	;; [unrolled: 5-line block ×4, first 2 shown]
.LBB357_4074:                           ;   in Loop: Header=BB357_2093 Depth=1
	s_or_b32 exec_lo, exec_lo, s14
	flat_load_b64 v[16:17], v[18:19] offset:7680
	v_dual_mov_b32 v23, 0 :: v_dual_mov_b32 v22, 0
	s_mov_b32 s14, exec_lo
	s_wait_loadcnt_dscnt 0x0
	v_and_b32_e32 v18, 0xff, v16
	s_delay_alu instid0(VALU_DEP_1)
	v_cmpx_ne_u16_e32 0, v18
	s_cbranch_execz .LBB357_4082
; %bb.4075:                             ;   in Loop: Header=BB357_2093 Depth=1
	v_bfrev_b32_e32 v22, 1
	s_mov_b32 s15, exec_lo
	v_cmpx_ne_u16_e32 0x80, v18
	s_cbranch_execz .LBB357_4081
; %bb.4076:                             ;   in Loop: Header=BB357_2093 Depth=1
	v_and_b32_e32 v18, 0x7f, v16
	v_mov_b32_e32 v22, 0x7f800001
	s_mov_b32 s16, exec_lo
	s_delay_alu instid0(VALU_DEP_2)
	v_cmpx_ne_u32_e32 0x7f, v18
	s_cbranch_execz .LBB357_4080
; %bb.4077:                             ;   in Loop: Header=BB357_2093 Depth=1
	v_lshrrev_b32_e32 v22, 3, v18
	v_cmp_gt_u32_e64 s0, 8, v18
	v_mov_b64_e32 v[18:19], v[16:17]
	s_and_saveexec_b32 s17, s0
; %bb.4078:                             ;   in Loop: Header=BB357_2093 Depth=1
	v_and_b32_e32 v18, 7, v16
	s_delay_alu instid0(VALU_DEP_1) | instskip(NEXT) | instid1(VALU_DEP_1)
	v_clz_i32_u32_e32 v18, v18
	v_min_u32_e32 v22, 32, v18
	s_delay_alu instid0(VALU_DEP_1) | instskip(SKIP_1) | instid1(VALU_DEP_2)
	v_subrev_nc_u32_e32 v18, 28, v22
	v_sub_nc_u32_e32 v22, 29, v22
	v_lshlrev_b64_e32 v[18:19], v18, v[16:17]
; %bb.4079:                             ;   in Loop: Header=BB357_2093 Depth=1
	s_or_b32 exec_lo, exec_lo, s17
	s_delay_alu instid0(VALU_DEP_1) | instskip(NEXT) | instid1(VALU_DEP_3)
	v_dual_lshlrev_b32 v18, 20, v18 :: v_dual_lshlrev_b32 v19, 24, v16
	v_lshl_add_u32 v22, v22, 23, 0x3c000000
	s_delay_alu instid0(VALU_DEP_2) | instskip(NEXT) | instid1(VALU_DEP_3)
	v_and_b32_e32 v18, 0x700000, v18
	v_and_b32_e32 v19, 0x80000000, v19
	s_delay_alu instid0(VALU_DEP_1)
	v_or3_b32 v22, v18, v19, v22
.LBB357_4080:                           ;   in Loop: Header=BB357_2093 Depth=1
	s_or_b32 exec_lo, exec_lo, s16
.LBB357_4081:                           ;   in Loop: Header=BB357_2093 Depth=1
	s_delay_alu instid0(SALU_CYCLE_1)
	s_or_b32 exec_lo, exec_lo, s15
.LBB357_4082:                           ;   in Loop: Header=BB357_2093 Depth=1
	s_delay_alu instid0(SALU_CYCLE_1) | instskip(SKIP_2) | instid1(VALU_DEP_1)
	s_or_b32 exec_lo, exec_lo, s14
	v_lshrrev_b16 v18, 8, v16
	s_mov_b32 s14, exec_lo
	v_cmpx_ne_u16_e32 0, v18
	s_cbranch_execz .LBB357_4090
; %bb.4083:                             ;   in Loop: Header=BB357_2093 Depth=1
	v_bfrev_b32_e32 v23, 1
	s_mov_b32 s15, exec_lo
	v_cmpx_ne_u16_e32 0x80, v18
	s_cbranch_execz .LBB357_4089
; %bb.4084:                             ;   in Loop: Header=BB357_2093 Depth=1
	v_and_b32_e32 v18, 0xffff, v18
	v_mov_b32_e32 v23, 0x7f800001
	s_mov_b32 s16, exec_lo
	s_delay_alu instid0(VALU_DEP_2) | instskip(NEXT) | instid1(VALU_DEP_1)
	v_and_b32_e32 v71, 0x7f, v18
	v_cmpx_ne_u32_e32 0x7f, v71
	s_cbranch_execz .LBB357_4088
; %bb.4085:                             ;   in Loop: Header=BB357_2093 Depth=1
	v_and_b32_e32 v68, 7, v18
	s_mov_b32 s17, exec_lo
	s_delay_alu instid0(VALU_DEP_1)
	v_mov_b64_e32 v[18:19], v[68:69]
	v_lshrrev_b32_e32 v19, 3, v71
	v_cmpx_gt_u32_e32 8, v71
; %bb.4086:                             ;   in Loop: Header=BB357_2093 Depth=1
	v_clz_i32_u32_e32 v18, v68
	s_delay_alu instid0(VALU_DEP_1) | instskip(NEXT) | instid1(VALU_DEP_1)
	v_min_u32_e32 v23, 32, v18
	v_subrev_nc_u32_e32 v18, 28, v23
	s_delay_alu instid0(VALU_DEP_1) | instskip(NEXT) | instid1(VALU_DEP_1)
	v_lshlrev_b64_e32 v[18:19], v18, v[68:69]
	v_dual_sub_nc_u32 v19, 29, v23 :: v_dual_bitop2_b32 v18, 7, v18 bitop3:0x40
; %bb.4087:                             ;   in Loop: Header=BB357_2093 Depth=1
	s_or_b32 exec_lo, exec_lo, s17
	s_delay_alu instid0(VALU_DEP_1) | instskip(NEXT) | instid1(VALU_DEP_2)
	v_dual_lshlrev_b32 v23, 16, v16 :: v_dual_lshlrev_b32 v18, 20, v18
	v_lshl_add_u32 v19, v19, 23, 0x3c000000
	s_delay_alu instid0(VALU_DEP_2) | instskip(NEXT) | instid1(VALU_DEP_1)
	v_and_b32_e32 v23, 0x80000000, v23
	v_or3_b32 v23, v18, v23, v19
.LBB357_4088:                           ;   in Loop: Header=BB357_2093 Depth=1
	s_or_b32 exec_lo, exec_lo, s16
.LBB357_4089:                           ;   in Loop: Header=BB357_2093 Depth=1
	s_delay_alu instid0(SALU_CYCLE_1)
	s_or_b32 exec_lo, exec_lo, s15
.LBB357_4090:                           ;   in Loop: Header=BB357_2093 Depth=1
	s_delay_alu instid0(SALU_CYCLE_1) | instskip(SKIP_3) | instid1(VALU_DEP_2)
	s_or_b32 exec_lo, exec_lo, s14
	v_dual_mov_b32 v99, 0 :: v_dual_lshrrev_b32 v84, 16, v16
	v_mov_b32_e32 v71, 0
	s_mov_b32 s14, exec_lo
	v_and_b32_e32 v18, 0xff, v84
	s_delay_alu instid0(VALU_DEP_1)
	v_cmpx_ne_u16_e32 0, v18
	s_cbranch_execz .LBB357_4098
; %bb.4091:                             ;   in Loop: Header=BB357_2093 Depth=1
	v_bfrev_b32_e32 v71, 1
	s_mov_b32 s15, exec_lo
	v_cmpx_ne_u16_e32 0x80, v18
	s_cbranch_execz .LBB357_4097
; %bb.4092:                             ;   in Loop: Header=BB357_2093 Depth=1
	v_bfe_u32 v85, v16, 16, 7
	v_mov_b32_e32 v71, 0x7f800001
	s_mov_b32 s16, exec_lo
	s_delay_alu instid0(VALU_DEP_2)
	v_cmpx_ne_u32_e32 0x7f, v85
	s_cbranch_execz .LBB357_4096
; %bb.4093:                             ;   in Loop: Header=BB357_2093 Depth=1
	v_and_b32_e32 v68, 7, v84
	s_mov_b32 s17, exec_lo
	s_delay_alu instid0(VALU_DEP_1)
	v_mov_b64_e32 v[18:19], v[68:69]
	v_lshrrev_b32_e32 v19, 3, v85
	v_cmpx_gt_u32_e32 8, v85
; %bb.4094:                             ;   in Loop: Header=BB357_2093 Depth=1
	v_clz_i32_u32_e32 v18, v68
	s_delay_alu instid0(VALU_DEP_1) | instskip(NEXT) | instid1(VALU_DEP_1)
	v_min_u32_e32 v71, 32, v18
	v_subrev_nc_u32_e32 v18, 28, v71
	s_delay_alu instid0(VALU_DEP_1) | instskip(NEXT) | instid1(VALU_DEP_1)
	v_lshlrev_b64_e32 v[18:19], v18, v[68:69]
	v_dual_sub_nc_u32 v19, 29, v71 :: v_dual_bitop2_b32 v18, 7, v18 bitop3:0x40
; %bb.4095:                             ;   in Loop: Header=BB357_2093 Depth=1
	s_or_b32 exec_lo, exec_lo, s17
	s_delay_alu instid0(VALU_DEP_1) | instskip(NEXT) | instid1(VALU_DEP_2)
	v_dual_lshlrev_b32 v68, 24, v84 :: v_dual_lshlrev_b32 v18, 20, v18
	v_lshl_add_u32 v19, v19, 23, 0x3c000000
	s_delay_alu instid0(VALU_DEP_2) | instskip(NEXT) | instid1(VALU_DEP_1)
	v_and_b32_e32 v68, 0x80000000, v68
	v_or3_b32 v71, v18, v68, v19
.LBB357_4096:                           ;   in Loop: Header=BB357_2093 Depth=1
	s_or_b32 exec_lo, exec_lo, s16
.LBB357_4097:                           ;   in Loop: Header=BB357_2093 Depth=1
	s_delay_alu instid0(SALU_CYCLE_1)
	s_or_b32 exec_lo, exec_lo, s15
.LBB357_4098:                           ;   in Loop: Header=BB357_2093 Depth=1
	s_delay_alu instid0(SALU_CYCLE_1) | instskip(NEXT) | instid1(SALU_CYCLE_1)
	s_or_b32 exec_lo, exec_lo, s14
	s_mov_b32 s14, exec_lo
	v_cmpx_lt_u32_e32 0xffffff, v16
	s_cbranch_execz .LBB357_4106
; %bb.4099:                             ;   in Loop: Header=BB357_2093 Depth=1
	v_lshrrev_b32_e32 v84, 24, v16
	v_bfrev_b32_e32 v99, 1
	s_mov_b32 s15, exec_lo
	s_delay_alu instid0(VALU_DEP_2)
	v_cmpx_ne_u32_e32 0x80, v84
	s_cbranch_execz .LBB357_4105
; %bb.4100:                             ;   in Loop: Header=BB357_2093 Depth=1
	v_bfe_u32 v85, v16, 24, 7
	v_mov_b32_e32 v99, 0x7f800001
	s_mov_b32 s16, exec_lo
	s_delay_alu instid0(VALU_DEP_2)
	v_cmpx_ne_u32_e32 0x7f, v85
	s_cbranch_execz .LBB357_4104
; %bb.4101:                             ;   in Loop: Header=BB357_2093 Depth=1
	v_and_b32_e32 v68, 7, v84
	s_mov_b32 s17, exec_lo
	s_delay_alu instid0(VALU_DEP_1)
	v_mov_b64_e32 v[18:19], v[68:69]
	v_lshrrev_b32_e32 v19, 3, v85
	v_cmpx_gt_u32_e32 8, v85
; %bb.4102:                             ;   in Loop: Header=BB357_2093 Depth=1
	v_clz_i32_u32_e32 v18, v68
	s_delay_alu instid0(VALU_DEP_1) | instskip(NEXT) | instid1(VALU_DEP_1)
	v_min_u32_e32 v85, 32, v18
	v_subrev_nc_u32_e32 v18, 28, v85
	s_delay_alu instid0(VALU_DEP_1) | instskip(NEXT) | instid1(VALU_DEP_1)
	v_lshlrev_b64_e32 v[18:19], v18, v[68:69]
	v_dual_sub_nc_u32 v19, 29, v85 :: v_dual_bitop2_b32 v18, 7, v18 bitop3:0x40
; %bb.4103:                             ;   in Loop: Header=BB357_2093 Depth=1
	s_or_b32 exec_lo, exec_lo, s17
	s_delay_alu instid0(VALU_DEP_1) | instskip(NEXT) | instid1(VALU_DEP_2)
	v_dual_lshlrev_b32 v68, 24, v84 :: v_dual_lshlrev_b32 v18, 20, v18
	v_lshl_add_u32 v19, v19, 23, 0x3c000000
	s_delay_alu instid0(VALU_DEP_2) | instskip(NEXT) | instid1(VALU_DEP_1)
	v_and_b32_e32 v68, 0x80000000, v68
	v_or3_b32 v99, v18, v68, v19
.LBB357_4104:                           ;   in Loop: Header=BB357_2093 Depth=1
	s_or_b32 exec_lo, exec_lo, s16
.LBB357_4105:                           ;   in Loop: Header=BB357_2093 Depth=1
	s_delay_alu instid0(SALU_CYCLE_1)
	s_or_b32 exec_lo, exec_lo, s15
.LBB357_4106:                           ;   in Loop: Header=BB357_2093 Depth=1
	s_delay_alu instid0(SALU_CYCLE_1) | instskip(SKIP_4) | instid1(VALU_DEP_3)
	s_or_b32 exec_lo, exec_lo, s14
	v_and_b32_e32 v18, 0xff, v17
	v_dual_mov_b32 v68, v17 :: v_dual_mov_b32 v84, 0
	v_mov_b32_e32 v85, 0
	s_mov_b32 s14, exec_lo
	v_cmpx_ne_u16_e32 0, v18
	s_cbranch_execz .LBB357_4114
; %bb.4107:                             ;   in Loop: Header=BB357_2093 Depth=1
	v_bfrev_b32_e32 v85, 1
	s_mov_b32 s15, exec_lo
	v_cmpx_ne_u16_e32 0x80, v18
	s_cbranch_execz .LBB357_4113
; %bb.4108:                             ;   in Loop: Header=BB357_2093 Depth=1
	v_and_b32_e32 v100, 0x7f, v17
	v_mov_b32_e32 v85, 0x7f800001
	s_mov_b32 s16, exec_lo
	s_delay_alu instid0(VALU_DEP_2)
	v_cmpx_ne_u32_e32 0x7f, v100
	s_cbranch_execz .LBB357_4112
; %bb.4109:                             ;   in Loop: Header=BB357_2093 Depth=1
	v_mov_b64_e32 v[18:19], v[68:69]
	v_lshrrev_b32_e32 v19, 3, v100
	s_mov_b32 s17, exec_lo
	v_cmpx_gt_u32_e32 8, v100
; %bb.4110:                             ;   in Loop: Header=BB357_2093 Depth=1
	v_and_b32_e32 v18, 7, v17
	s_delay_alu instid0(VALU_DEP_1) | instskip(NEXT) | instid1(VALU_DEP_1)
	v_clz_i32_u32_e32 v18, v18
	v_min_u32_e32 v85, 32, v18
	s_delay_alu instid0(VALU_DEP_1) | instskip(NEXT) | instid1(VALU_DEP_1)
	v_subrev_nc_u32_e32 v18, 28, v85
	v_lshlrev_b64_e32 v[18:19], v18, v[68:69]
	v_sub_nc_u32_e32 v19, 29, v85
; %bb.4111:                             ;   in Loop: Header=BB357_2093 Depth=1
	s_or_b32 exec_lo, exec_lo, s17
	s_delay_alu instid0(VALU_DEP_2) | instskip(NEXT) | instid1(VALU_DEP_2)
	v_dual_lshlrev_b32 v18, 20, v18 :: v_dual_lshlrev_b32 v85, 24, v68
	v_lshl_add_u32 v19, v19, 23, 0x3c000000
	s_delay_alu instid0(VALU_DEP_2) | instskip(NEXT) | instid1(VALU_DEP_3)
	v_and_b32_e32 v18, 0x700000, v18
	v_and_b32_e32 v85, 0x80000000, v85
	s_delay_alu instid0(VALU_DEP_1)
	v_or3_b32 v85, v18, v85, v19
.LBB357_4112:                           ;   in Loop: Header=BB357_2093 Depth=1
	s_or_b32 exec_lo, exec_lo, s16
.LBB357_4113:                           ;   in Loop: Header=BB357_2093 Depth=1
	s_delay_alu instid0(SALU_CYCLE_1)
	s_or_b32 exec_lo, exec_lo, s15
.LBB357_4114:                           ;   in Loop: Header=BB357_2093 Depth=1
	s_delay_alu instid0(SALU_CYCLE_1) | instskip(SKIP_2) | instid1(VALU_DEP_1)
	s_or_b32 exec_lo, exec_lo, s14
	v_lshrrev_b16 v18, 8, v68
	s_mov_b32 s14, exec_lo
	v_cmpx_ne_u16_e32 0, v18
	s_cbranch_execz .LBB357_4122
; %bb.4115:                             ;   in Loop: Header=BB357_2093 Depth=1
	v_bfrev_b32_e32 v84, 1
	s_mov_b32 s15, exec_lo
	v_cmpx_ne_u16_e32 0x80, v18
	s_cbranch_execz .LBB357_4121
; %bb.4116:                             ;   in Loop: Header=BB357_2093 Depth=1
	v_and_b32_e32 v18, 0xffff, v18
	v_mov_b32_e32 v84, 0x7f800001
	s_mov_b32 s16, exec_lo
	s_delay_alu instid0(VALU_DEP_2) | instskip(NEXT) | instid1(VALU_DEP_1)
	v_and_b32_e32 v100, 0x7f, v18
	v_cmpx_ne_u32_e32 0x7f, v100
	s_cbranch_execz .LBB357_4120
; %bb.4117:                             ;   in Loop: Header=BB357_2093 Depth=1
	v_dual_mov_b32 v19, v69 :: v_dual_bitop2_b32 v18, 7, v18 bitop3:0x40
	v_lshrrev_b32_e32 v84, 3, v100
	s_mov_b32 s17, exec_lo
	v_cmpx_gt_u32_e32 8, v100
; %bb.4118:                             ;   in Loop: Header=BB357_2093 Depth=1
	s_delay_alu instid0(VALU_DEP_3) | instskip(NEXT) | instid1(VALU_DEP_1)
	v_clz_i32_u32_e32 v84, v18
	v_min_u32_e32 v84, 32, v84
	s_delay_alu instid0(VALU_DEP_1) | instskip(NEXT) | instid1(VALU_DEP_1)
	v_subrev_nc_u32_e32 v100, 28, v84
	v_lshlrev_b64_e32 v[18:19], v100, v[18:19]
	s_delay_alu instid0(VALU_DEP_1)
	v_dual_sub_nc_u32 v84, 29, v84 :: v_dual_bitop2_b32 v18, 7, v18 bitop3:0x40
; %bb.4119:                             ;   in Loop: Header=BB357_2093 Depth=1
	s_or_b32 exec_lo, exec_lo, s17
	s_delay_alu instid0(VALU_DEP_1) | instskip(NEXT) | instid1(VALU_DEP_2)
	v_dual_lshlrev_b32 v19, 16, v68 :: v_dual_lshlrev_b32 v18, 20, v18
	v_lshl_add_u32 v68, v84, 23, 0x3c000000
	s_delay_alu instid0(VALU_DEP_2) | instskip(NEXT) | instid1(VALU_DEP_1)
	v_and_b32_e32 v19, 0x80000000, v19
	v_or3_b32 v84, v18, v19, v68
.LBB357_4120:                           ;   in Loop: Header=BB357_2093 Depth=1
	s_or_b32 exec_lo, exec_lo, s16
.LBB357_4121:                           ;   in Loop: Header=BB357_2093 Depth=1
	s_delay_alu instid0(SALU_CYCLE_1)
	s_or_b32 exec_lo, exec_lo, s15
.LBB357_4122:                           ;   in Loop: Header=BB357_2093 Depth=1
	s_delay_alu instid0(SALU_CYCLE_1) | instskip(SKIP_3) | instid1(VALU_DEP_2)
	s_or_b32 exec_lo, exec_lo, s14
	v_dual_lshrrev_b32 v100, 16, v17 :: v_dual_mov_b32 v112, 0
	v_mov_b32_e32 v18, 0
	s_mov_b32 s14, exec_lo
	v_and_b32_e32 v19, 0xff, v100
	s_delay_alu instid0(VALU_DEP_1)
	v_cmpx_ne_u16_e32 0, v19
	s_cbranch_execz .LBB357_4130
; %bb.4123:                             ;   in Loop: Header=BB357_2093 Depth=1
	v_bfrev_b32_e32 v18, 1
	s_mov_b32 s15, exec_lo
	v_cmpx_ne_u16_e32 0x80, v19
	s_cbranch_execz .LBB357_4129
; %bb.4124:                             ;   in Loop: Header=BB357_2093 Depth=1
	v_bfe_u32 v101, v17, 16, 7
	v_mov_b32_e32 v18, 0x7f800001
	s_mov_b32 s16, exec_lo
	s_delay_alu instid0(VALU_DEP_2)
	v_cmpx_ne_u32_e32 0x7f, v101
	s_cbranch_execz .LBB357_4128
; %bb.4125:                             ;   in Loop: Header=BB357_2093 Depth=1
	v_and_b32_e32 v68, 7, v100
	s_mov_b32 s17, exec_lo
	s_delay_alu instid0(VALU_DEP_1)
	v_mov_b64_e32 v[18:19], v[68:69]
	v_lshrrev_b32_e32 v19, 3, v101
	v_cmpx_gt_u32_e32 8, v101
; %bb.4126:                             ;   in Loop: Header=BB357_2093 Depth=1
	v_clz_i32_u32_e32 v18, v68
	s_delay_alu instid0(VALU_DEP_1) | instskip(NEXT) | instid1(VALU_DEP_1)
	v_min_u32_e32 v101, 32, v18
	v_subrev_nc_u32_e32 v18, 28, v101
	s_delay_alu instid0(VALU_DEP_1) | instskip(NEXT) | instid1(VALU_DEP_1)
	v_lshlrev_b64_e32 v[18:19], v18, v[68:69]
	v_dual_sub_nc_u32 v19, 29, v101 :: v_dual_bitop2_b32 v18, 7, v18 bitop3:0x40
; %bb.4127:                             ;   in Loop: Header=BB357_2093 Depth=1
	s_or_b32 exec_lo, exec_lo, s17
	s_delay_alu instid0(VALU_DEP_1) | instskip(NEXT) | instid1(VALU_DEP_2)
	v_dual_lshlrev_b32 v68, 24, v100 :: v_dual_lshlrev_b32 v18, 20, v18
	v_lshl_add_u32 v19, v19, 23, 0x3c000000
	s_delay_alu instid0(VALU_DEP_2) | instskip(NEXT) | instid1(VALU_DEP_1)
	v_and_b32_e32 v68, 0x80000000, v68
	v_or3_b32 v18, v18, v68, v19
.LBB357_4128:                           ;   in Loop: Header=BB357_2093 Depth=1
	s_or_b32 exec_lo, exec_lo, s16
.LBB357_4129:                           ;   in Loop: Header=BB357_2093 Depth=1
	s_delay_alu instid0(SALU_CYCLE_1)
	s_or_b32 exec_lo, exec_lo, s15
.LBB357_4130:                           ;   in Loop: Header=BB357_2093 Depth=1
	s_delay_alu instid0(SALU_CYCLE_1) | instskip(NEXT) | instid1(SALU_CYCLE_1)
	s_or_b32 exec_lo, exec_lo, s14
	s_mov_b32 s14, exec_lo
	v_cmpx_lt_u64_e64 s[2:3], v[16:17]
	s_cbranch_execz .LBB357_4138
; %bb.4131:                             ;   in Loop: Header=BB357_2093 Depth=1
	v_lshrrev_b32_e32 v19, 24, v17
	v_bfrev_b32_e32 v112, 1
	s_mov_b32 s15, exec_lo
	s_delay_alu instid0(VALU_DEP_2)
	v_cmpx_ne_u32_e32 0x80, v19
	s_cbranch_execz .LBB357_4137
; %bb.4132:                             ;   in Loop: Header=BB357_2093 Depth=1
	v_bfe_u32 v100, v17, 24, 7
	v_mov_b32_e32 v112, 0x7f800001
	s_mov_b32 s16, exec_lo
	s_delay_alu instid0(VALU_DEP_2)
	v_cmpx_ne_u32_e32 0x7f, v100
	s_cbranch_execz .LBB357_4136
; %bb.4133:                             ;   in Loop: Header=BB357_2093 Depth=1
	v_and_b32_e32 v68, 7, v19
	s_mov_b32 s17, exec_lo
	s_delay_alu instid0(VALU_DEP_1)
	v_mov_b64_e32 v[16:17], v[68:69]
	v_lshrrev_b32_e32 v17, 3, v100
	v_cmpx_gt_u32_e32 8, v100
; %bb.4134:                             ;   in Loop: Header=BB357_2093 Depth=1
	v_clz_i32_u32_e32 v16, v68
	s_delay_alu instid0(VALU_DEP_1) | instskip(NEXT) | instid1(VALU_DEP_1)
	v_min_u32_e32 v100, 32, v16
	v_subrev_nc_u32_e32 v16, 28, v100
	s_delay_alu instid0(VALU_DEP_1) | instskip(SKIP_1) | instid1(VALU_DEP_2)
	v_lshlrev_b64_e32 v[16:17], v16, v[68:69]
	v_sub_nc_u32_e32 v17, 29, v100
	v_and_b32_e32 v16, 7, v16
; %bb.4135:                             ;   in Loop: Header=BB357_2093 Depth=1
	s_or_b32 exec_lo, exec_lo, s17
	s_delay_alu instid0(VALU_DEP_1) | instskip(NEXT) | instid1(VALU_DEP_3)
	v_dual_lshlrev_b32 v19, 24, v19 :: v_dual_lshlrev_b32 v16, 20, v16
	v_lshl_add_u32 v17, v17, 23, 0x3c000000
	s_delay_alu instid0(VALU_DEP_2) | instskip(NEXT) | instid1(VALU_DEP_1)
	v_and_b32_e32 v19, 0x80000000, v19
	v_or3_b32 v112, v16, v19, v17
.LBB357_4136:                           ;   in Loop: Header=BB357_2093 Depth=1
	s_or_b32 exec_lo, exec_lo, s16
.LBB357_4137:                           ;   in Loop: Header=BB357_2093 Depth=1
	s_delay_alu instid0(SALU_CYCLE_1)
	s_or_b32 exec_lo, exec_lo, s15
.LBB357_4138:                           ;   in Loop: Header=BB357_2093 Depth=1
	s_delay_alu instid0(SALU_CYCLE_1)
	s_or_b32 exec_lo, exec_lo, s14
	v_fma_mixlo_bf16 v84, v75, v84, 0
	v_fma_mixlo_bf16 v85, v75, v85, 0
	;; [unrolled: 1-line block ×8, first 2 shown]
	s_and_saveexec_b32 s14, vcc_lo
	s_cbranch_execz .LBB357_4140
; %bb.4139:                             ;   in Loop: Header=BB357_2093 Depth=1
	v_cmp_lt_i32_e64 s0, v74, v42
	s_delay_alu instid0(VALU_DEP_1) | instskip(SKIP_1) | instid1(VALU_DEP_1)
	v_cndmask_b32_e64 v103, 0, v103, s0
	v_cmp_lt_i32_e64 s0, v106, v42
	v_cndmask_b32_e64 v102, 0, v102, s0
	v_cmp_lt_i32_e64 s0, v105, v42
	s_delay_alu instid0(VALU_DEP_1) | instskip(SKIP_1) | instid1(VALU_DEP_1)
	v_cndmask_b32_e64 v101, 0, v101, s0
	v_cmp_lt_i32_e64 s0, v104, v42
	v_cndmask_b32_e64 v100, 0, v100, s0
	v_cmp_lt_i32_e64 s0, v95, v42
	s_delay_alu instid0(VALU_DEP_1) | instskip(SKIP_1) | instid1(VALU_DEP_1)
	v_cndmask_b32_e64 v85, 0, v85, s0
	v_cmp_lt_i32_e64 s0, v94, v42
	v_cndmask_b32_e64 v84, 0, v84, s0
	v_cmp_lt_i32_e64 s0, v93, v42
	s_delay_alu instid0(VALU_DEP_1) | instskip(SKIP_1) | instid1(VALU_DEP_1)
	v_cndmask_b32_e64 v71, 0, v71, s0
	v_cmp_lt_i32_e64 s0, v92, v42
	v_cndmask_b32_e64 v99, 0, v99, s0
.LBB357_4140:                           ;   in Loop: Header=BB357_2093 Depth=1
	s_or_b32 exec_lo, exec_lo, s14
	scratch_load_b64 v[16:17], off, s32 offset:1472 ; 8-byte Folded Reload
	v_dual_mov_b32 v22, 0 :: v_dual_mov_b32 v23, 0
	s_mov_b32 s14, exec_lo
	s_wait_loadcnt 0x0
	v_add_nc_u64_e32 v[0:1], v[0:1], v[16:17]
	flat_load_b64 v[0:1], v[0:1]
	s_wait_loadcnt_dscnt 0x0
	v_and_b32_e32 v16, 0xff, v0
	s_wait_xcnt 0x0
	s_delay_alu instid0(VALU_DEP_1)
	v_cmpx_ne_u16_e32 0, v16
	s_cbranch_execz .LBB357_4148
; %bb.4141:                             ;   in Loop: Header=BB357_2093 Depth=1
	v_bfrev_b32_e32 v23, 1
	s_mov_b32 s15, exec_lo
	v_cmpx_ne_u16_e32 0x80, v16
	s_cbranch_execz .LBB357_4147
; %bb.4142:                             ;   in Loop: Header=BB357_2093 Depth=1
	v_and_b32_e32 v16, 0x7f, v0
	v_mov_b32_e32 v23, 0x7f800001
	s_mov_b32 s16, exec_lo
	s_delay_alu instid0(VALU_DEP_2)
	v_cmpx_ne_u32_e32 0x7f, v16
	s_cbranch_execz .LBB357_4146
; %bb.4143:                             ;   in Loop: Header=BB357_2093 Depth=1
	v_lshrrev_b32_e32 v18, 3, v16
	v_cmp_gt_u32_e64 s0, 8, v16
	v_mov_b64_e32 v[16:17], v[0:1]
	s_and_saveexec_b32 s17, s0
; %bb.4144:                             ;   in Loop: Header=BB357_2093 Depth=1
	v_and_b32_e32 v16, 7, v0
	s_delay_alu instid0(VALU_DEP_1) | instskip(NEXT) | instid1(VALU_DEP_1)
	v_clz_i32_u32_e32 v16, v16
	v_min_u32_e32 v18, 32, v16
	s_delay_alu instid0(VALU_DEP_1) | instskip(SKIP_1) | instid1(VALU_DEP_2)
	v_subrev_nc_u32_e32 v16, 28, v18
	v_sub_nc_u32_e32 v18, 29, v18
	v_lshlrev_b64_e32 v[16:17], v16, v[0:1]
; %bb.4145:                             ;   in Loop: Header=BB357_2093 Depth=1
	s_or_b32 exec_lo, exec_lo, s17
	s_delay_alu instid0(VALU_DEP_1) | instskip(SKIP_2) | instid1(VALU_DEP_3)
	v_lshlrev_b32_e32 v16, 20, v16
	v_lshlrev_b32_e32 v17, 24, v0
	v_lshl_add_u32 v18, v18, 23, 0x3c000000
	v_and_b32_e32 v16, 0x700000, v16
	s_delay_alu instid0(VALU_DEP_3) | instskip(NEXT) | instid1(VALU_DEP_1)
	v_and_b32_e32 v17, 0x80000000, v17
	v_or3_b32 v23, v16, v17, v18
.LBB357_4146:                           ;   in Loop: Header=BB357_2093 Depth=1
	s_or_b32 exec_lo, exec_lo, s16
.LBB357_4147:                           ;   in Loop: Header=BB357_2093 Depth=1
	s_delay_alu instid0(SALU_CYCLE_1)
	s_or_b32 exec_lo, exec_lo, s15
.LBB357_4148:                           ;   in Loop: Header=BB357_2093 Depth=1
	s_delay_alu instid0(SALU_CYCLE_1) | instskip(SKIP_2) | instid1(VALU_DEP_1)
	s_or_b32 exec_lo, exec_lo, s14
	v_lshrrev_b16 v16, 8, v0
	s_mov_b32 s14, exec_lo
	v_cmpx_ne_u16_e32 0, v16
	s_cbranch_execz .LBB357_4156
; %bb.4149:                             ;   in Loop: Header=BB357_2093 Depth=1
	v_bfrev_b32_e32 v22, 1
	s_mov_b32 s15, exec_lo
	v_cmpx_ne_u16_e32 0x80, v16
	s_cbranch_execz .LBB357_4155
; %bb.4150:                             ;   in Loop: Header=BB357_2093 Depth=1
	v_and_b32_e32 v16, 0xffff, v16
	v_mov_b32_e32 v22, 0x7f800001
	s_mov_b32 s16, exec_lo
	s_delay_alu instid0(VALU_DEP_2) | instskip(NEXT) | instid1(VALU_DEP_1)
	v_and_b32_e32 v18, 0x7f, v16
	v_cmpx_ne_u32_e32 0x7f, v18
	s_cbranch_execz .LBB357_4154
; %bb.4151:                             ;   in Loop: Header=BB357_2093 Depth=1
	v_and_b32_e32 v68, 7, v16
	s_mov_b32 s17, exec_lo
	s_delay_alu instid0(VALU_DEP_1)
	v_mov_b64_e32 v[16:17], v[68:69]
	v_lshrrev_b32_e32 v17, 3, v18
	v_cmpx_gt_u32_e32 8, v18
; %bb.4152:                             ;   in Loop: Header=BB357_2093 Depth=1
	v_clz_i32_u32_e32 v16, v68
	s_delay_alu instid0(VALU_DEP_1) | instskip(NEXT) | instid1(VALU_DEP_1)
	v_min_u32_e32 v18, 32, v16
	v_subrev_nc_u32_e32 v16, 28, v18
	s_delay_alu instid0(VALU_DEP_1) | instskip(NEXT) | instid1(VALU_DEP_1)
	v_lshlrev_b64_e32 v[16:17], v16, v[68:69]
	v_dual_sub_nc_u32 v17, 29, v18 :: v_dual_bitop2_b32 v16, 7, v16 bitop3:0x40
; %bb.4153:                             ;   in Loop: Header=BB357_2093 Depth=1
	s_or_b32 exec_lo, exec_lo, s17
	v_lshlrev_b32_e32 v18, 16, v0
	s_delay_alu instid0(VALU_DEP_2) | instskip(NEXT) | instid1(VALU_DEP_3)
	v_lshlrev_b32_e32 v16, 20, v16
	v_lshl_add_u32 v17, v17, 23, 0x3c000000
	s_delay_alu instid0(VALU_DEP_3) | instskip(NEXT) | instid1(VALU_DEP_1)
	v_and_b32_e32 v18, 0x80000000, v18
	v_or3_b32 v22, v16, v18, v17
.LBB357_4154:                           ;   in Loop: Header=BB357_2093 Depth=1
	s_or_b32 exec_lo, exec_lo, s16
.LBB357_4155:                           ;   in Loop: Header=BB357_2093 Depth=1
	s_delay_alu instid0(SALU_CYCLE_1)
	s_or_b32 exec_lo, exec_lo, s15
.LBB357_4156:                           ;   in Loop: Header=BB357_2093 Depth=1
	s_delay_alu instid0(SALU_CYCLE_1) | instskip(SKIP_3) | instid1(VALU_DEP_2)
	s_or_b32 exec_lo, exec_lo, s14
	v_dual_lshrrev_b32 v112, 16, v0 :: v_dual_mov_b32 v18, 0
	v_mov_b32_e32 v19, 0
	s_mov_b32 s14, exec_lo
	v_and_b32_e32 v16, 0xff, v112
	s_delay_alu instid0(VALU_DEP_1)
	v_cmpx_ne_u16_e32 0, v16
	s_cbranch_execz .LBB357_4164
; %bb.4157:                             ;   in Loop: Header=BB357_2093 Depth=1
	v_bfrev_b32_e32 v19, 1
	s_mov_b32 s15, exec_lo
	v_cmpx_ne_u16_e32 0x80, v16
	s_cbranch_execz .LBB357_4163
; %bb.4158:                             ;   in Loop: Header=BB357_2093 Depth=1
	v_bfe_u32 v113, v0, 16, 7
	v_mov_b32_e32 v19, 0x7f800001
	s_mov_b32 s16, exec_lo
	s_delay_alu instid0(VALU_DEP_2)
	v_cmpx_ne_u32_e32 0x7f, v113
	s_cbranch_execz .LBB357_4162
; %bb.4159:                             ;   in Loop: Header=BB357_2093 Depth=1
	v_and_b32_e32 v68, 7, v112
	s_mov_b32 s17, exec_lo
	s_delay_alu instid0(VALU_DEP_1)
	v_mov_b64_e32 v[16:17], v[68:69]
	v_lshrrev_b32_e32 v17, 3, v113
	v_cmpx_gt_u32_e32 8, v113
; %bb.4160:                             ;   in Loop: Header=BB357_2093 Depth=1
	v_clz_i32_u32_e32 v16, v68
	s_delay_alu instid0(VALU_DEP_1) | instskip(NEXT) | instid1(VALU_DEP_1)
	v_min_u32_e32 v19, 32, v16
	v_subrev_nc_u32_e32 v16, 28, v19
	s_delay_alu instid0(VALU_DEP_1) | instskip(NEXT) | instid1(VALU_DEP_1)
	v_lshlrev_b64_e32 v[16:17], v16, v[68:69]
	v_dual_sub_nc_u32 v17, 29, v19 :: v_dual_bitop2_b32 v16, 7, v16 bitop3:0x40
; %bb.4161:                             ;   in Loop: Header=BB357_2093 Depth=1
	s_or_b32 exec_lo, exec_lo, s17
	v_lshlrev_b32_e32 v19, 24, v112
	s_delay_alu instid0(VALU_DEP_2) | instskip(NEXT) | instid1(VALU_DEP_3)
	v_lshlrev_b32_e32 v16, 20, v16
	v_lshl_add_u32 v17, v17, 23, 0x3c000000
	s_delay_alu instid0(VALU_DEP_3) | instskip(NEXT) | instid1(VALU_DEP_1)
	v_and_b32_e32 v19, 0x80000000, v19
	v_or3_b32 v19, v16, v19, v17
.LBB357_4162:                           ;   in Loop: Header=BB357_2093 Depth=1
	s_or_b32 exec_lo, exec_lo, s16
.LBB357_4163:                           ;   in Loop: Header=BB357_2093 Depth=1
	s_delay_alu instid0(SALU_CYCLE_1)
	s_or_b32 exec_lo, exec_lo, s15
.LBB357_4164:                           ;   in Loop: Header=BB357_2093 Depth=1
	s_delay_alu instid0(SALU_CYCLE_1) | instskip(NEXT) | instid1(SALU_CYCLE_1)
	s_or_b32 exec_lo, exec_lo, s14
	s_mov_b32 s14, exec_lo
	v_cmpx_lt_u32_e32 0xffffff, v0
	s_cbranch_execz .LBB357_4172
; %bb.4165:                             ;   in Loop: Header=BB357_2093 Depth=1
	v_lshrrev_b32_e32 v112, 24, v0
	v_bfrev_b32_e32 v18, 1
	s_mov_b32 s15, exec_lo
	s_delay_alu instid0(VALU_DEP_2)
	v_cmpx_ne_u32_e32 0x80, v112
	s_cbranch_execz .LBB357_4171
; %bb.4166:                             ;   in Loop: Header=BB357_2093 Depth=1
	v_bfe_u32 v113, v0, 24, 7
	v_mov_b32_e32 v18, 0x7f800001
	s_mov_b32 s16, exec_lo
	s_delay_alu instid0(VALU_DEP_2)
	v_cmpx_ne_u32_e32 0x7f, v113
	s_cbranch_execz .LBB357_4170
; %bb.4167:                             ;   in Loop: Header=BB357_2093 Depth=1
	v_and_b32_e32 v68, 7, v112
	s_mov_b32 s17, exec_lo
	s_delay_alu instid0(VALU_DEP_1)
	v_mov_b64_e32 v[16:17], v[68:69]
	v_lshrrev_b32_e32 v17, 3, v113
	v_cmpx_gt_u32_e32 8, v113
; %bb.4168:                             ;   in Loop: Header=BB357_2093 Depth=1
	v_clz_i32_u32_e32 v16, v68
	s_delay_alu instid0(VALU_DEP_1) | instskip(NEXT) | instid1(VALU_DEP_1)
	v_min_u32_e32 v18, 32, v16
	v_subrev_nc_u32_e32 v16, 28, v18
	s_delay_alu instid0(VALU_DEP_1) | instskip(NEXT) | instid1(VALU_DEP_1)
	v_lshlrev_b64_e32 v[16:17], v16, v[68:69]
	v_dual_sub_nc_u32 v17, 29, v18 :: v_dual_bitop2_b32 v16, 7, v16 bitop3:0x40
; %bb.4169:                             ;   in Loop: Header=BB357_2093 Depth=1
	s_or_b32 exec_lo, exec_lo, s17
	v_lshlrev_b32_e32 v18, 24, v112
	s_delay_alu instid0(VALU_DEP_2) | instskip(NEXT) | instid1(VALU_DEP_3)
	v_lshlrev_b32_e32 v16, 20, v16
	v_lshl_add_u32 v17, v17, 23, 0x3c000000
	s_delay_alu instid0(VALU_DEP_3) | instskip(NEXT) | instid1(VALU_DEP_1)
	v_and_b32_e32 v18, 0x80000000, v18
	v_or3_b32 v18, v16, v18, v17
.LBB357_4170:                           ;   in Loop: Header=BB357_2093 Depth=1
	s_or_b32 exec_lo, exec_lo, s16
.LBB357_4171:                           ;   in Loop: Header=BB357_2093 Depth=1
	s_delay_alu instid0(SALU_CYCLE_1)
	s_or_b32 exec_lo, exec_lo, s15
.LBB357_4172:                           ;   in Loop: Header=BB357_2093 Depth=1
	s_delay_alu instid0(SALU_CYCLE_1) | instskip(SKIP_4) | instid1(VALU_DEP_3)
	s_or_b32 exec_lo, exec_lo, s14
	v_and_b32_e32 v16, 0xff, v1
	v_dual_mov_b32 v68, v1 :: v_dual_mov_b32 v113, 0
	v_mov_b32_e32 v112, 0
	s_mov_b32 s14, exec_lo
	v_cmpx_ne_u16_e32 0, v16
	s_cbranch_execz .LBB357_4180
; %bb.4173:                             ;   in Loop: Header=BB357_2093 Depth=1
	v_bfrev_b32_e32 v112, 1
	s_mov_b32 s15, exec_lo
	v_cmpx_ne_u16_e32 0x80, v16
	s_cbranch_execz .LBB357_4179
; %bb.4174:                             ;   in Loop: Header=BB357_2093 Depth=1
	v_and_b32_e32 v114, 0x7f, v1
	v_mov_b32_e32 v112, 0x7f800001
	s_mov_b32 s16, exec_lo
	s_delay_alu instid0(VALU_DEP_2)
	v_cmpx_ne_u32_e32 0x7f, v114
	s_cbranch_execz .LBB357_4178
; %bb.4175:                             ;   in Loop: Header=BB357_2093 Depth=1
	v_mov_b64_e32 v[16:17], v[68:69]
	v_lshrrev_b32_e32 v17, 3, v114
	s_mov_b32 s17, exec_lo
	v_cmpx_gt_u32_e32 8, v114
; %bb.4176:                             ;   in Loop: Header=BB357_2093 Depth=1
	v_and_b32_e32 v16, 7, v1
	s_delay_alu instid0(VALU_DEP_1) | instskip(NEXT) | instid1(VALU_DEP_1)
	v_clz_i32_u32_e32 v16, v16
	v_min_u32_e32 v112, 32, v16
	s_delay_alu instid0(VALU_DEP_1) | instskip(NEXT) | instid1(VALU_DEP_1)
	v_subrev_nc_u32_e32 v16, 28, v112
	v_lshlrev_b64_e32 v[16:17], v16, v[68:69]
	v_sub_nc_u32_e32 v17, 29, v112
; %bb.4177:                             ;   in Loop: Header=BB357_2093 Depth=1
	s_or_b32 exec_lo, exec_lo, s17
	s_delay_alu instid0(VALU_DEP_2) | instskip(SKIP_1) | instid1(VALU_DEP_3)
	v_lshlrev_b32_e32 v16, 20, v16
	v_lshlrev_b32_e32 v112, 24, v68
	v_lshl_add_u32 v17, v17, 23, 0x3c000000
	s_delay_alu instid0(VALU_DEP_3) | instskip(NEXT) | instid1(VALU_DEP_3)
	v_and_b32_e32 v16, 0x700000, v16
	v_and_b32_e32 v112, 0x80000000, v112
	s_delay_alu instid0(VALU_DEP_1)
	v_or3_b32 v112, v16, v112, v17
.LBB357_4178:                           ;   in Loop: Header=BB357_2093 Depth=1
	s_or_b32 exec_lo, exec_lo, s16
.LBB357_4179:                           ;   in Loop: Header=BB357_2093 Depth=1
	s_delay_alu instid0(SALU_CYCLE_1)
	s_or_b32 exec_lo, exec_lo, s15
.LBB357_4180:                           ;   in Loop: Header=BB357_2093 Depth=1
	s_delay_alu instid0(SALU_CYCLE_1) | instskip(SKIP_2) | instid1(VALU_DEP_1)
	s_or_b32 exec_lo, exec_lo, s14
	v_lshrrev_b16 v16, 8, v68
	s_mov_b32 s14, exec_lo
	v_cmpx_ne_u16_e32 0, v16
	s_cbranch_execz .LBB357_4188
; %bb.4181:                             ;   in Loop: Header=BB357_2093 Depth=1
	v_bfrev_b32_e32 v113, 1
	s_mov_b32 s15, exec_lo
	v_cmpx_ne_u16_e32 0x80, v16
	s_cbranch_execz .LBB357_4187
; %bb.4182:                             ;   in Loop: Header=BB357_2093 Depth=1
	v_and_b32_e32 v16, 0xffff, v16
	v_mov_b32_e32 v113, 0x7f800001
	s_mov_b32 s16, exec_lo
	s_delay_alu instid0(VALU_DEP_2) | instskip(NEXT) | instid1(VALU_DEP_1)
	v_and_b32_e32 v114, 0x7f, v16
	v_cmpx_ne_u32_e32 0x7f, v114
	s_cbranch_execz .LBB357_4186
; %bb.4183:                             ;   in Loop: Header=BB357_2093 Depth=1
	v_dual_mov_b32 v17, v69 :: v_dual_bitop2_b32 v16, 7, v16 bitop3:0x40
	v_lshrrev_b32_e32 v113, 3, v114
	s_mov_b32 s17, exec_lo
	v_cmpx_gt_u32_e32 8, v114
; %bb.4184:                             ;   in Loop: Header=BB357_2093 Depth=1
	s_delay_alu instid0(VALU_DEP_3) | instskip(NEXT) | instid1(VALU_DEP_1)
	v_clz_i32_u32_e32 v113, v16
	v_min_u32_e32 v113, 32, v113
	s_delay_alu instid0(VALU_DEP_1) | instskip(NEXT) | instid1(VALU_DEP_1)
	v_subrev_nc_u32_e32 v114, 28, v113
	v_lshlrev_b64_e32 v[16:17], v114, v[16:17]
	s_delay_alu instid0(VALU_DEP_1)
	v_dual_sub_nc_u32 v113, 29, v113 :: v_dual_bitop2_b32 v16, 7, v16 bitop3:0x40
; %bb.4185:                             ;   in Loop: Header=BB357_2093 Depth=1
	s_or_b32 exec_lo, exec_lo, s17
	v_lshlrev_b32_e32 v17, 16, v68
	s_delay_alu instid0(VALU_DEP_2) | instskip(NEXT) | instid1(VALU_DEP_3)
	v_lshlrev_b32_e32 v16, 20, v16
	v_lshl_add_u32 v68, v113, 23, 0x3c000000
	s_delay_alu instid0(VALU_DEP_3) | instskip(NEXT) | instid1(VALU_DEP_1)
	v_and_b32_e32 v17, 0x80000000, v17
	v_or3_b32 v113, v16, v17, v68
.LBB357_4186:                           ;   in Loop: Header=BB357_2093 Depth=1
	s_or_b32 exec_lo, exec_lo, s16
.LBB357_4187:                           ;   in Loop: Header=BB357_2093 Depth=1
	s_delay_alu instid0(SALU_CYCLE_1)
	s_or_b32 exec_lo, exec_lo, s15
.LBB357_4188:                           ;   in Loop: Header=BB357_2093 Depth=1
	s_delay_alu instid0(SALU_CYCLE_1) | instskip(SKIP_3) | instid1(VALU_DEP_2)
	s_or_b32 exec_lo, exec_lo, s14
	v_dual_mov_b32 v114, 0 :: v_dual_lshrrev_b32 v115, 16, v1
	v_mov_b32_e32 v16, 0
	s_mov_b32 s14, exec_lo
	v_and_b32_e32 v17, 0xff, v115
	s_delay_alu instid0(VALU_DEP_1)
	v_cmpx_ne_u16_e32 0, v17
	s_cbranch_execz .LBB357_4196
; %bb.4189:                             ;   in Loop: Header=BB357_2093 Depth=1
	v_bfrev_b32_e32 v16, 1
	s_mov_b32 s15, exec_lo
	v_cmpx_ne_u16_e32 0x80, v17
	s_cbranch_execz .LBB357_4195
; %bb.4190:                             ;   in Loop: Header=BB357_2093 Depth=1
	v_bfe_u32 v116, v1, 16, 7
	v_mov_b32_e32 v16, 0x7f800001
	s_mov_b32 s16, exec_lo
	s_delay_alu instid0(VALU_DEP_2)
	v_cmpx_ne_u32_e32 0x7f, v116
	s_cbranch_execz .LBB357_4194
; %bb.4191:                             ;   in Loop: Header=BB357_2093 Depth=1
	v_and_b32_e32 v68, 7, v115
	s_mov_b32 s17, exec_lo
	s_delay_alu instid0(VALU_DEP_1)
	v_mov_b64_e32 v[16:17], v[68:69]
	v_lshrrev_b32_e32 v17, 3, v116
	v_cmpx_gt_u32_e32 8, v116
; %bb.4192:                             ;   in Loop: Header=BB357_2093 Depth=1
	v_clz_i32_u32_e32 v16, v68
	s_delay_alu instid0(VALU_DEP_1) | instskip(NEXT) | instid1(VALU_DEP_1)
	v_min_u32_e32 v116, 32, v16
	v_subrev_nc_u32_e32 v16, 28, v116
	s_delay_alu instid0(VALU_DEP_1) | instskip(SKIP_1) | instid1(VALU_DEP_2)
	v_lshlrev_b64_e32 v[16:17], v16, v[68:69]
	v_sub_nc_u32_e32 v17, 29, v116
	v_and_b32_e32 v16, 7, v16
; %bb.4193:                             ;   in Loop: Header=BB357_2093 Depth=1
	s_or_b32 exec_lo, exec_lo, s17
	s_delay_alu instid0(VALU_DEP_1) | instskip(NEXT) | instid1(VALU_DEP_3)
	v_dual_lshlrev_b32 v68, 24, v115 :: v_dual_lshlrev_b32 v16, 20, v16
	v_lshl_add_u32 v17, v17, 23, 0x3c000000
	s_delay_alu instid0(VALU_DEP_2) | instskip(NEXT) | instid1(VALU_DEP_1)
	v_and_b32_e32 v68, 0x80000000, v68
	v_or3_b32 v16, v16, v68, v17
.LBB357_4194:                           ;   in Loop: Header=BB357_2093 Depth=1
	s_or_b32 exec_lo, exec_lo, s16
.LBB357_4195:                           ;   in Loop: Header=BB357_2093 Depth=1
	s_delay_alu instid0(SALU_CYCLE_1)
	s_or_b32 exec_lo, exec_lo, s15
.LBB357_4196:                           ;   in Loop: Header=BB357_2093 Depth=1
	s_delay_alu instid0(SALU_CYCLE_1) | instskip(NEXT) | instid1(SALU_CYCLE_1)
	s_or_b32 exec_lo, exec_lo, s14
	s_mov_b32 s14, exec_lo
	v_cmpx_lt_u64_e64 s[2:3], v[0:1]
	s_cbranch_execz .LBB357_4204
; %bb.4197:                             ;   in Loop: Header=BB357_2093 Depth=1
	v_lshrrev_b32_e32 v17, 24, v1
	v_bfrev_b32_e32 v114, 1
	s_mov_b32 s15, exec_lo
	s_delay_alu instid0(VALU_DEP_2)
	v_cmpx_ne_u32_e32 0x80, v17
	s_cbranch_execz .LBB357_4203
; %bb.4198:                             ;   in Loop: Header=BB357_2093 Depth=1
	v_bfe_u32 v115, v1, 24, 7
	v_mov_b32_e32 v114, 0x7f800001
	s_mov_b32 s16, exec_lo
	s_delay_alu instid0(VALU_DEP_2)
	v_cmpx_ne_u32_e32 0x7f, v115
	s_cbranch_execz .LBB357_4202
; %bb.4199:                             ;   in Loop: Header=BB357_2093 Depth=1
	v_and_b32_e32 v68, 7, v17
	s_mov_b32 s17, exec_lo
	s_delay_alu instid0(VALU_DEP_1)
	v_mov_b64_e32 v[0:1], v[68:69]
	v_lshrrev_b32_e32 v1, 3, v115
	v_cmpx_gt_u32_e32 8, v115
; %bb.4200:                             ;   in Loop: Header=BB357_2093 Depth=1
	v_clz_i32_u32_e32 v0, v68
	s_delay_alu instid0(VALU_DEP_1) | instskip(NEXT) | instid1(VALU_DEP_1)
	v_min_u32_e32 v114, 32, v0
	v_subrev_nc_u32_e32 v0, 28, v114
	s_delay_alu instid0(VALU_DEP_1) | instskip(NEXT) | instid1(VALU_DEP_1)
	v_lshlrev_b64_e32 v[0:1], v0, v[68:69]
	v_dual_sub_nc_u32 v1, 29, v114 :: v_dual_bitop2_b32 v0, 7, v0 bitop3:0x40
; %bb.4201:                             ;   in Loop: Header=BB357_2093 Depth=1
	s_or_b32 exec_lo, exec_lo, s17
	s_delay_alu instid0(VALU_DEP_1) | instskip(NEXT) | instid1(VALU_DEP_2)
	v_dual_lshlrev_b32 v17, 24, v17 :: v_dual_lshlrev_b32 v0, 20, v0
	v_lshl_add_u32 v1, v1, 23, 0x3c000000
	s_delay_alu instid0(VALU_DEP_2) | instskip(NEXT) | instid1(VALU_DEP_1)
	v_and_b32_e32 v17, 0x80000000, v17
	v_or3_b32 v114, v0, v17, v1
.LBB357_4202:                           ;   in Loop: Header=BB357_2093 Depth=1
	s_or_b32 exec_lo, exec_lo, s16
.LBB357_4203:                           ;   in Loop: Header=BB357_2093 Depth=1
	s_delay_alu instid0(SALU_CYCLE_1)
	s_or_b32 exec_lo, exec_lo, s15
.LBB357_4204:                           ;   in Loop: Header=BB357_2093 Depth=1
	s_delay_alu instid0(SALU_CYCLE_1)
	s_or_b32 exec_lo, exec_lo, s14
	v_fma_mixlo_bf16 v1, v75, v113, 0
	v_fma_mixlo_bf16 v17, v75, v112, 0
	;; [unrolled: 1-line block ×8, first 2 shown]
	s_and_saveexec_b32 s0, vcc_lo
	s_cbranch_execz .LBB357_2091
; %bb.4205:                             ;   in Loop: Header=BB357_2093 Depth=1
	v_cmp_lt_i32_e32 vcc_lo, v74, v42
	v_cndmask_b32_e32 v23, 0, v23, vcc_lo
	v_cmp_lt_i32_e32 vcc_lo, v106, v42
	v_cndmask_b32_e32 v22, 0, v22, vcc_lo
	;; [unrolled: 2-line block ×8, first 2 shown]
	s_branch .LBB357_2091
.LBB357_4206:
	s_or_b32 exec_lo, exec_lo, s8
	s_clause 0x6
	scratch_load_b32 v68, off, s32 offset:1480
	scratch_load_b32 v33, off, s32 offset:1488
	scratch_load_b64 v[96:97], off, s32 offset:1352
	scratch_load_b64 v[70:71], off, s32 offset:1360
	;; [unrolled: 1-line block ×5, first 2 shown]
.LBB357_4207:
	s_wait_xcnt 0x0
	s_or_b32 exec_lo, exec_lo, s1
	s_clause 0xa
	scratch_load_b64 v[36:37], off, s32 offset:1320 th:TH_LOAD_LU
	scratch_load_b64 v[52:53], off, s32 offset:1336 th:TH_LOAD_LU
	;; [unrolled: 1-line block ×11, first 2 shown]
	s_wait_loadcnt 0x0
	s_wait_storecnt 0x0
	s_barrier_signal -1
	s_barrier_wait -1
	v_mov_b64_e32 v[20:21], v[0:1]
	v_mov_b64_e32 v[16:17], v[2:3]
	;; [unrolled: 1-line block ×3, first 2 shown]
	ds_bpermute_b32 v32, v33, v96
	s_load_b32 s0, s[6:7], 0x0
	s_mov_b32 s1, exec_lo
	ds_bpermute_b32 v0, v33, v20
	ds_bpermute_b32 v1, v33, v21
	ds_bpermute_b32 v2, v33, v16
	ds_bpermute_b32 v3, v33, v17
	ds_bpermute_b32 v4, v33, v18
	ds_bpermute_b32 v5, v33, v19
	s_wait_dscnt 0x4
	v_pk_add_f32 v[0:1], v[20:21], v[0:1]
	s_wait_dscnt 0x2
	v_pk_add_f32 v[2:3], v[16:17], v[2:3]
	;; [unrolled: 2-line block ×3, first 2 shown]
	ds_bpermute_b32 v4, v68, v0
	ds_bpermute_b32 v5, v68, v1
	;; [unrolled: 1-line block ×6, first 2 shown]
	s_wait_dscnt 0x4
	v_pk_add_f32 v[4:5], v[0:1], v[4:5]
	s_wait_dscnt 0x2
	v_pk_add_f32 v[2:3], v[2:3], v[20:21]
	;; [unrolled: 2-line block ×3, first 2 shown]
	ds_bpermute_b32 v22, v33, v70
	ds_bpermute_b32 v23, v33, v71
	;; [unrolled: 1-line block ×22, first 2 shown]
	s_wait_dscnt 0x12
	v_pk_add_f32 v[6:7], v[36:37], v[6:7]
	s_wait_dscnt 0xf
	v_pk_add_f32 v[8:9], v[34:35], v[8:9]
	ds_bpermute_b32 v34, v68, v6
	ds_bpermute_b32 v35, v68, v7
	s_wait_dscnt 0xf
	v_pk_add_f32 v[16:17], v[30:31], v[16:17]
	ds_bpermute_b32 v30, v33, v86
	s_wait_dscnt 0xc
	v_pk_add_f32 v[66:67], v[66:67], v[28:29]
	ds_bpermute_b32 v31, v33, v87
	ds_bpermute_b32 v33, v33, v97
	s_wait_dscnt 0xd
	v_pk_add_f32 v[54:55], v[54:55], v[26:27]
	v_mov_b64_e32 v[26:27], v[70:71]
	v_pk_add_f32 v[10:11], v[52:53], v[10:11]
	s_wait_dscnt 0xb
	v_pk_add_f32 v[12:13], v[38:39], v[12:13]
	s_wait_dscnt 0x9
	;; [unrolled: 2-line block ×4, first 2 shown]
	v_pk_add_f32 v[70:71], v[80:81], v[20:21]
	ds_bpermute_b32 v36, v68, v8
	v_pk_add_f32 v[82:83], v[26:27], v[22:23]
	ds_bpermute_b32 v37, v68, v9
	ds_bpermute_b32 v38, v68, v10
	;; [unrolled: 1-line block ×5, first 2 shown]
	s_wait_dscnt 0x9
	v_pk_add_f32 v[28:29], v[6:7], v[34:35]
	s_clause 0x1
	scratch_load_b32 v6, off, s32 offset:1436
	scratch_load_b32 v34, off, s32 offset:1432
	v_mov_b32_e32 v24, v68
	s_wait_dscnt 0x7
	v_pk_add_f32 v[86:87], v[86:87], v[30:31]
	ds_bpermute_b32 v48, v68, v14
	ds_bpermute_b32 v49, v68, v15
	;; [unrolled: 1-line block ×7, first 2 shown]
	s_wait_dscnt 0xd
	v_pk_add_f32 v[30:31], v[96:97], v[32:33]
	s_wait_dscnt 0xb
	v_pk_add_f32 v[26:27], v[8:9], v[36:37]
	s_wait_dscnt 0x7
	v_pk_add_f32 v[22:23], v[12:13], v[18:19]
	s_wait_dscnt 0x5
	v_pk_add_f32 v[20:21], v[14:15], v[48:49]
	s_wait_dscnt 0x3
	v_pk_add_f32 v[18:19], v[16:17], v[52:53]
	s_wait_dscnt 0x1
	v_pk_add_f32 v[16:17], v[50:51], v[64:65]
	s_wait_loadcnt 0x1
	v_and_b32_e32 v35, 0x3c3, v6
	s_wait_loadcnt 0x0
	v_and_b32_e32 v34, 28, v34
	ds_bpermute_b32 v69, v24, v55
	ds_bpermute_b32 v80, v24, v66
	;; [unrolled: 1-line block ×11, first 2 shown]
	v_pk_add_f32 v[24:25], v[10:11], v[38:39]
	s_wait_dscnt 0xa
	v_pk_add_f32 v[14:15], v[54:55], v[68:69]
	s_wait_dscnt 0x8
	;; [unrolled: 2-line block ×5, first 2 shown]
	v_pk_add_f32 v[6:7], v[86:87], v[98:99]
	v_cmpx_ne_u32_e32 64, v35
	s_xor_b32 s1, exec_lo, s1
	s_delay_alu instid0(SALU_CYCLE_1)
	s_or_saveexec_b32 s1, s1
	s_wait_dscnt 0x0
	v_pk_add_f32 v[30:31], v[30:31], v[32:33]
	scratch_load_b32 v32, off, s32 offset:1432 th:TH_LOAD_LU ; 4-byte Folded Reload
	s_wait_kmcnt 0x0
	v_add_nc_u32_e32 v33, s0, v34
	scratch_load_b32 v34, off, s32 offset:2316 th:TH_LOAD_LU ; 4-byte Folded Reload
	s_wait_loadcnt 0x0
	v_dual_lshrrev_b32 v32, 2, v32 :: v_dual_lshlrev_b32 v34, 10, v34
	s_xor_b32 exec_lo, exec_lo, s1
	s_cbranch_execz .LBB357_4209
; %bb.4208:
	s_delay_alu instid0(VALU_DEP_1) | instskip(NEXT) | instid1(VALU_DEP_1)
	v_add_nc_u32_e32 v35, v33, v34
	v_add_nc_u32_e32 v36, 0xfffff800, v35
	;; [unrolled: 1-line block ×9, first 2 shown]
	ds_store_b32 v36, v4
	ds_store_b32 v37, v5
	ds_store_b32 v38, v2
	ds_store_b32 v39, v3
	ds_store_b32 v48, v0
	ds_store_b32 v49, v1
	ds_store_b32 v50, v28
	ds_store_b32 v51, v29
	v_add_nc_u32_e32 v36, 0xfffff900, v35
	v_add_nc_u32_e32 v37, 0xfffff920, v35
	v_add_nc_u32_e32 v38, 0xfffff940, v35
	v_add_nc_u32_e32 v39, 0xfffff960, v35
	v_add_nc_u32_e32 v48, 0xfffff980, v35
	v_add_nc_u32_e32 v49, 0xfffff9a0, v35
	v_add_nc_u32_e32 v50, 0xfffff9c0, v35
	v_add_nc_u32_e32 v51, 0xfffff9e0, v35
	ds_store_b32 v36, v26
	ds_store_b32 v37, v27
	ds_store_b32 v38, v24
	ds_store_b32 v39, v25
	ds_store_b32 v48, v22
	ds_store_b32 v49, v23
	ds_store_b32 v50, v20
	ds_store_b32 v51, v21
	v_add_nc_u32_e32 v36, 0xfffffa00, v35
	v_add_nc_u32_e32 v37, 0xfffffa20, v35
	v_add_nc_u32_e32 v38, 0xfffffa40, v35
	v_add_nc_u32_e32 v39, 0xfffffa60, v35
	v_add_nc_u32_e32 v48, 0xfffffa80, v35
	v_add_nc_u32_e32 v49, 0xfffffaa0, v35
	v_add_nc_u32_e32 v50, 0xfffffac0, v35
	v_add_nc_u32_e32 v51, 0xfffffae0, v35
	;; [unrolled: 16-line block ×3, first 2 shown]
	ds_store_b32 v36, v10
	ds_store_b32 v37, v11
	;; [unrolled: 1-line block ×8, first 2 shown]
.LBB357_4209:
	s_or_b32 exec_lo, exec_lo, s1
	scratch_load_b32 v36, off, s32 offset:1436 ; 4-byte Folded Reload
	v_lshlrev_b32_e32 v32, 2, v32
	s_mov_b32 s1, exec_lo
	s_wait_loadcnt_dscnt 0x0
	s_barrier_signal -1
	s_barrier_wait -1
	v_add3_u32 v32, s0, v34, v32
	v_and_b32_e32 v35, 3, v36
	s_delay_alu instid0(VALU_DEP_1)
	v_cmp_eq_u32_e32 vcc_lo, 0, v35
	v_cmpx_gt_u32_e32 64, v36
	s_cbranch_execz .LBB357_4244
; %bb.4210:
	s_and_saveexec_b32 s0, vcc_lo
	s_cbranch_execnz .LBB357_4284
; %bb.4211:
	s_or_b32 exec_lo, exec_lo, s0
	s_and_saveexec_b32 s0, vcc_lo
	s_cbranch_execnz .LBB357_4285
.LBB357_4212:
	s_or_b32 exec_lo, exec_lo, s0
	s_and_saveexec_b32 s0, vcc_lo
	s_cbranch_execnz .LBB357_4286
.LBB357_4213:
	s_or_b32 exec_lo, exec_lo, s0
	s_and_saveexec_b32 s0, vcc_lo
	s_cbranch_execnz .LBB357_4287
.LBB357_4214:
	s_or_b32 exec_lo, exec_lo, s0
	s_and_saveexec_b32 s0, vcc_lo
	s_cbranch_execnz .LBB357_4288
.LBB357_4215:
	s_or_b32 exec_lo, exec_lo, s0
	s_and_saveexec_b32 s0, vcc_lo
	s_cbranch_execnz .LBB357_4289
.LBB357_4216:
	s_or_b32 exec_lo, exec_lo, s0
	s_and_saveexec_b32 s0, vcc_lo
	s_cbranch_execnz .LBB357_4290
.LBB357_4217:
	s_or_b32 exec_lo, exec_lo, s0
	s_and_saveexec_b32 s0, vcc_lo
	s_cbranch_execnz .LBB357_4291
.LBB357_4218:
	s_or_b32 exec_lo, exec_lo, s0
	s_and_saveexec_b32 s0, vcc_lo
	s_cbranch_execnz .LBB357_4292
.LBB357_4219:
	s_or_b32 exec_lo, exec_lo, s0
	s_and_saveexec_b32 s0, vcc_lo
	s_cbranch_execnz .LBB357_4293
.LBB357_4220:
	s_or_b32 exec_lo, exec_lo, s0
	s_and_saveexec_b32 s0, vcc_lo
	s_cbranch_execnz .LBB357_4294
.LBB357_4221:
	s_or_b32 exec_lo, exec_lo, s0
	s_and_saveexec_b32 s0, vcc_lo
	s_cbranch_execnz .LBB357_4295
.LBB357_4222:
	s_or_b32 exec_lo, exec_lo, s0
	s_and_saveexec_b32 s0, vcc_lo
	s_cbranch_execnz .LBB357_4296
.LBB357_4223:
	s_or_b32 exec_lo, exec_lo, s0
	s_and_saveexec_b32 s0, vcc_lo
	s_cbranch_execnz .LBB357_4297
.LBB357_4224:
	s_or_b32 exec_lo, exec_lo, s0
	s_and_saveexec_b32 s0, vcc_lo
	s_cbranch_execnz .LBB357_4298
.LBB357_4225:
	s_or_b32 exec_lo, exec_lo, s0
	s_and_saveexec_b32 s0, vcc_lo
	s_cbranch_execnz .LBB357_4299
.LBB357_4226:
	s_or_b32 exec_lo, exec_lo, s0
	s_and_saveexec_b32 s0, vcc_lo
	s_cbranch_execnz .LBB357_4300
.LBB357_4227:
	s_or_b32 exec_lo, exec_lo, s0
	s_and_saveexec_b32 s0, vcc_lo
	s_cbranch_execnz .LBB357_4301
.LBB357_4228:
	s_or_b32 exec_lo, exec_lo, s0
	s_and_saveexec_b32 s0, vcc_lo
	s_cbranch_execnz .LBB357_4302
.LBB357_4229:
	s_or_b32 exec_lo, exec_lo, s0
	s_and_saveexec_b32 s0, vcc_lo
	s_cbranch_execnz .LBB357_4303
.LBB357_4230:
	s_or_b32 exec_lo, exec_lo, s0
	s_and_saveexec_b32 s0, vcc_lo
	s_cbranch_execnz .LBB357_4304
.LBB357_4231:
	s_or_b32 exec_lo, exec_lo, s0
	s_and_saveexec_b32 s0, vcc_lo
	s_cbranch_execnz .LBB357_4305
.LBB357_4232:
	s_or_b32 exec_lo, exec_lo, s0
	s_and_saveexec_b32 s0, vcc_lo
	s_cbranch_execnz .LBB357_4306
.LBB357_4233:
	s_or_b32 exec_lo, exec_lo, s0
	s_and_saveexec_b32 s0, vcc_lo
	s_cbranch_execnz .LBB357_4307
.LBB357_4234:
	s_or_b32 exec_lo, exec_lo, s0
	s_and_saveexec_b32 s0, vcc_lo
	s_cbranch_execnz .LBB357_4308
.LBB357_4235:
	s_or_b32 exec_lo, exec_lo, s0
	s_and_saveexec_b32 s0, vcc_lo
	s_cbranch_execnz .LBB357_4309
.LBB357_4236:
	s_or_b32 exec_lo, exec_lo, s0
	s_and_saveexec_b32 s0, vcc_lo
	s_cbranch_execnz .LBB357_4310
.LBB357_4237:
	s_or_b32 exec_lo, exec_lo, s0
	s_and_saveexec_b32 s0, vcc_lo
	s_cbranch_execnz .LBB357_4311
.LBB357_4238:
	s_or_b32 exec_lo, exec_lo, s0
	s_and_saveexec_b32 s0, vcc_lo
	s_cbranch_execnz .LBB357_4312
.LBB357_4239:
	s_or_b32 exec_lo, exec_lo, s0
	s_and_saveexec_b32 s0, vcc_lo
	s_cbranch_execnz .LBB357_4313
.LBB357_4240:
	s_or_b32 exec_lo, exec_lo, s0
	s_and_saveexec_b32 s0, vcc_lo
	s_cbranch_execnz .LBB357_4314
.LBB357_4241:
	s_or_b32 exec_lo, exec_lo, s0
	s_and_saveexec_b32 s0, vcc_lo
	s_cbranch_execz .LBB357_4243
.LBB357_4242:
	ds_load_b32 v34, v32 offset:992
	s_wait_dscnt 0x0
	v_add_f32_e32 v31, v34, v31
.LBB357_4243:
	s_or_b32 exec_lo, exec_lo, s0
.LBB357_4244:
	s_delay_alu instid0(SALU_CYCLE_1)
	s_or_b32 exec_lo, exec_lo, s1
	scratch_load_b32 v34, off, s32 offset:1436 ; 4-byte Folded Reload
	s_mov_b32 s1, exec_lo
	s_wait_loadcnt 0x0
	s_barrier_signal -1
	s_barrier_wait -1
	v_and_b32_e32 v34, 0x3e3, v34
	s_wait_xcnt 0x0
	s_delay_alu instid0(VALU_DEP_1)
	v_cmpx_eq_u32_e32 32, v34
	s_cbranch_execz .LBB357_4246
; %bb.4245:
	ds_store_2addr_b32 v33, v4, v5 offset1:8
	ds_store_2addr_b32 v33, v2, v3 offset0:16 offset1:24
	ds_store_2addr_b32 v33, v0, v1 offset0:32 offset1:40
	;; [unrolled: 1-line block ×15, first 2 shown]
.LBB357_4246:
	s_or_b32 exec_lo, exec_lo, s1
	scratch_load_b32 v33, off, s32 offset:1436 ; 4-byte Folded Reload
	s_mov_b32 s1, exec_lo
	s_wait_loadcnt_dscnt 0x0
	s_barrier_signal -1
	s_barrier_wait -1
	v_cmpx_gt_u32_e32 32, v33
	s_cbranch_execz .LBB357_4281
; %bb.4247:
	s_and_saveexec_b32 s0, vcc_lo
	s_cbranch_execnz .LBB357_4315
; %bb.4248:
	s_or_b32 exec_lo, exec_lo, s0
	s_and_saveexec_b32 s0, vcc_lo
	s_cbranch_execnz .LBB357_4316
.LBB357_4249:
	s_or_b32 exec_lo, exec_lo, s0
	s_and_saveexec_b32 s0, vcc_lo
	s_cbranch_execnz .LBB357_4317
.LBB357_4250:
	s_or_b32 exec_lo, exec_lo, s0
	s_and_saveexec_b32 s0, vcc_lo
	s_cbranch_execnz .LBB357_4318
.LBB357_4251:
	s_or_b32 exec_lo, exec_lo, s0
	s_and_saveexec_b32 s0, vcc_lo
	s_cbranch_execnz .LBB357_4319
.LBB357_4252:
	s_or_b32 exec_lo, exec_lo, s0
	s_and_saveexec_b32 s0, vcc_lo
	s_cbranch_execnz .LBB357_4320
.LBB357_4253:
	s_or_b32 exec_lo, exec_lo, s0
	s_and_saveexec_b32 s0, vcc_lo
	s_cbranch_execnz .LBB357_4321
.LBB357_4254:
	s_or_b32 exec_lo, exec_lo, s0
	s_and_saveexec_b32 s0, vcc_lo
	s_cbranch_execnz .LBB357_4322
.LBB357_4255:
	s_or_b32 exec_lo, exec_lo, s0
	s_and_saveexec_b32 s0, vcc_lo
	s_cbranch_execnz .LBB357_4323
.LBB357_4256:
	s_or_b32 exec_lo, exec_lo, s0
	s_and_saveexec_b32 s0, vcc_lo
	s_cbranch_execnz .LBB357_4324
.LBB357_4257:
	s_or_b32 exec_lo, exec_lo, s0
	s_and_saveexec_b32 s0, vcc_lo
	s_cbranch_execnz .LBB357_4325
.LBB357_4258:
	s_or_b32 exec_lo, exec_lo, s0
	s_and_saveexec_b32 s0, vcc_lo
	s_cbranch_execnz .LBB357_4326
.LBB357_4259:
	s_or_b32 exec_lo, exec_lo, s0
	s_and_saveexec_b32 s0, vcc_lo
	s_cbranch_execnz .LBB357_4327
.LBB357_4260:
	s_or_b32 exec_lo, exec_lo, s0
	s_and_saveexec_b32 s0, vcc_lo
	s_cbranch_execnz .LBB357_4328
.LBB357_4261:
	s_or_b32 exec_lo, exec_lo, s0
	s_and_saveexec_b32 s0, vcc_lo
	s_cbranch_execnz .LBB357_4329
.LBB357_4262:
	s_or_b32 exec_lo, exec_lo, s0
	s_and_saveexec_b32 s0, vcc_lo
	s_cbranch_execnz .LBB357_4330
.LBB357_4263:
	s_or_b32 exec_lo, exec_lo, s0
	s_and_saveexec_b32 s0, vcc_lo
	s_cbranch_execnz .LBB357_4331
.LBB357_4264:
	s_or_b32 exec_lo, exec_lo, s0
	s_and_saveexec_b32 s0, vcc_lo
	s_cbranch_execnz .LBB357_4332
.LBB357_4265:
	s_or_b32 exec_lo, exec_lo, s0
	s_and_saveexec_b32 s0, vcc_lo
	s_cbranch_execnz .LBB357_4333
.LBB357_4266:
	s_or_b32 exec_lo, exec_lo, s0
	s_and_saveexec_b32 s0, vcc_lo
	s_cbranch_execnz .LBB357_4334
.LBB357_4267:
	s_or_b32 exec_lo, exec_lo, s0
	s_and_saveexec_b32 s0, vcc_lo
	s_cbranch_execnz .LBB357_4335
.LBB357_4268:
	s_or_b32 exec_lo, exec_lo, s0
	s_and_saveexec_b32 s0, vcc_lo
	s_cbranch_execnz .LBB357_4336
.LBB357_4269:
	s_or_b32 exec_lo, exec_lo, s0
	s_and_saveexec_b32 s0, vcc_lo
	s_cbranch_execnz .LBB357_4337
.LBB357_4270:
	s_or_b32 exec_lo, exec_lo, s0
	s_and_saveexec_b32 s0, vcc_lo
	s_cbranch_execnz .LBB357_4338
.LBB357_4271:
	s_or_b32 exec_lo, exec_lo, s0
	s_and_saveexec_b32 s0, vcc_lo
	s_cbranch_execnz .LBB357_4339
.LBB357_4272:
	s_or_b32 exec_lo, exec_lo, s0
	s_and_saveexec_b32 s0, vcc_lo
	s_cbranch_execnz .LBB357_4340
.LBB357_4273:
	s_or_b32 exec_lo, exec_lo, s0
	s_and_saveexec_b32 s0, vcc_lo
	s_cbranch_execnz .LBB357_4341
.LBB357_4274:
	s_or_b32 exec_lo, exec_lo, s0
	s_and_saveexec_b32 s0, vcc_lo
	s_cbranch_execnz .LBB357_4342
.LBB357_4275:
	s_or_b32 exec_lo, exec_lo, s0
	s_and_saveexec_b32 s0, vcc_lo
	s_cbranch_execnz .LBB357_4343
.LBB357_4276:
	s_or_b32 exec_lo, exec_lo, s0
	s_and_saveexec_b32 s0, vcc_lo
	s_cbranch_execnz .LBB357_4344
.LBB357_4277:
	s_or_b32 exec_lo, exec_lo, s0
	s_and_saveexec_b32 s0, vcc_lo
	s_cbranch_execnz .LBB357_4345
.LBB357_4278:
	s_or_b32 exec_lo, exec_lo, s0
	s_and_saveexec_b32 s0, vcc_lo
	s_cbranch_execz .LBB357_4280
.LBB357_4279:
	ds_load_b32 v32, v32 offset:992
	s_wait_dscnt 0x0
	v_add_f32_e32 v31, v32, v31
.LBB357_4280:
	s_or_b32 exec_lo, exec_lo, s0
.LBB357_4281:
	s_delay_alu instid0(SALU_CYCLE_1)
	s_or_b32 exec_lo, exec_lo, s1
	s_mov_b32 s1, 0
	s_mov_b32 s2, exec_lo
	s_barrier_signal -1
	s_barrier_wait -1
	v_cmpx_eq_u32_e32 0, v34
	s_cbranch_execz .LBB357_4283
; %bb.4282:
	s_clause 0x1
	scratch_load_b64 v[32:33], off, s32 offset:2352 th:TH_LOAD_LU
	scratch_load_b32 v34, off, s32 offset:1436 th:TH_LOAD_LU
	s_and_b32 s0, 0xffff, s13
	v_mov_b32_e32 v35, 0
	s_cmp_lg_u32 s0, 0
	s_cselect_b32 s0, -1, 0
	s_delay_alu instid0(SALU_CYCLE_1)
	s_cmp_lg_u32 s0, 0
	s_add_co_ci_u32 s0, s5, 0
	s_bfe_u32 s8, ttmp6, 0x40014
	s_mul_i32 s5, s11, s0
	s_lshr_b32 s3, ttmp7, 16
	s_mul_i32 s5, s5, s12
	s_add_co_i32 s8, s8, 1
	s_lshl_b32 s6, s5, 8
	s_bfe_u32 s9, ttmp6, 0x40008
	s_ashr_i32 s7, s6, 31
	s_mul_i32 s4, s4, s0
	s_mul_i32 s0, s3, s8
	s_ashr_i32 s5, s4, 31
	s_add_co_i32 s9, s9, s0
	s_cmp_eq_u32 s10, 0
	s_cselect_b32 s0, s3, s9
	s_delay_alu instid0(SALU_CYCLE_1) | instskip(NEXT) | instid1(SALU_CYCLE_1)
	s_lshl_b32 s0, s0, 9
	v_cvt_pk_bf16_f32 v36, v4, s0
	v_cvt_pk_bf16_f32 v37, v5, s0
	;; [unrolled: 1-line block ×17, first 2 shown]
	s_wait_loadcnt 0x1
	v_lshl_add_u64 v[32:33], s[6:7], 1, v[32:33]
	s_wait_loadcnt 0x0
	v_lshrrev_b32_e32 v34, 1, v34
	s_delay_alu instid0(VALU_DEP_2) | instskip(NEXT) | instid1(VALU_DEP_1)
	v_lshl_add_u64 v[32:33], s[4:5], 1, v[32:33]
	v_add_nc_u64_e32 v[32:33], s[0:1], v[32:33]
	s_delay_alu instid0(VALU_DEP_1)
	v_add_nc_u64_e32 v[4:5], v[32:33], v[34:35]
	s_clause 0x7
	flat_store_b16 v[4:5], v36
	flat_store_b16 v[4:5], v37 offset:16
	flat_store_b16 v[4:5], v2 offset:32
	flat_store_b16 v[4:5], v3 offset:48
	flat_store_b16 v[4:5], v0 offset:64
	flat_store_b16 v[4:5], v1 offset:80
	flat_store_b16 v[4:5], v28 offset:96
	flat_store_b16 v[4:5], v29 offset:112
	s_wait_xcnt 0x3
	v_cvt_pk_bf16_f32 v0, v27, s0
	s_wait_xcnt 0x2
	v_cvt_pk_bf16_f32 v1, v24, s0
	v_cvt_pk_bf16_f32 v2, v25, s0
	;; [unrolled: 1-line block ×4, first 2 shown]
	s_clause 0x7
	flat_store_b16 v[4:5], v26 offset:128
	flat_store_b16 v[4:5], v0 offset:144
	;; [unrolled: 1-line block ×8, first 2 shown]
	s_wait_xcnt 0x6
	v_cvt_pk_bf16_f32 v0, v18, s0
	s_wait_xcnt 0x5
	v_cvt_pk_bf16_f32 v1, v19, s0
	;; [unrolled: 2-line block ×4, first 2 shown]
	s_clause 0x7
	flat_store_b16 v[4:5], v0 offset:256
	flat_store_b16 v[4:5], v1 offset:272
	;; [unrolled: 1-line block ×8, first 2 shown]
	s_wait_xcnt 0x7
	v_cvt_pk_bf16_f32 v0, v10, s0
	s_wait_xcnt 0x6
	v_cvt_pk_bf16_f32 v1, v11, s0
	;; [unrolled: 2-line block ×4, first 2 shown]
	v_cvt_pk_bf16_f32 v8, v30, s0
	v_cvt_pk_bf16_f32 v9, v31, s0
	s_clause 0x7
	flat_store_b16 v[4:5], v0 offset:384
	flat_store_b16 v[4:5], v1 offset:400
	;; [unrolled: 1-line block ×8, first 2 shown]
.LBB357_4283:
	s_wait_xcnt 0x0
	s_or_b32 exec_lo, exec_lo, s2
	s_clause 0x2f
	scratch_load_b32 v127, off, s32
	scratch_load_b32 v126, off, s32 offset:4
	scratch_load_b32 v125, off, s32 offset:8
	;; [unrolled: 1-line block ×47, first 2 shown]
	s_wait_loadcnt_dscnt 0x0
	s_set_pc_i64 s[30:31]
.LBB357_4284:
	ds_load_b32 v34, v32
	s_wait_dscnt 0x0
	v_add_f32_e32 v4, v34, v4
	s_or_b32 exec_lo, exec_lo, s0
	s_and_saveexec_b32 s0, vcc_lo
	s_cbranch_execz .LBB357_4212
.LBB357_4285:
	ds_load_b32 v34, v32 offset:32
	s_wait_dscnt 0x0
	v_add_f32_e32 v5, v34, v5
	s_or_b32 exec_lo, exec_lo, s0
	s_and_saveexec_b32 s0, vcc_lo
	s_cbranch_execz .LBB357_4213
.LBB357_4286:
	ds_load_b32 v34, v32 offset:64
	s_wait_dscnt 0x0
	v_add_f32_e32 v2, v34, v2
	s_or_b32 exec_lo, exec_lo, s0
	s_and_saveexec_b32 s0, vcc_lo
	s_cbranch_execz .LBB357_4214
.LBB357_4287:
	ds_load_b32 v34, v32 offset:96
	s_wait_dscnt 0x0
	v_add_f32_e32 v3, v34, v3
	s_or_b32 exec_lo, exec_lo, s0
	s_and_saveexec_b32 s0, vcc_lo
	s_cbranch_execz .LBB357_4215
.LBB357_4288:
	ds_load_b32 v34, v32 offset:128
	s_wait_dscnt 0x0
	v_add_f32_e32 v0, v34, v0
	s_or_b32 exec_lo, exec_lo, s0
	s_and_saveexec_b32 s0, vcc_lo
	s_cbranch_execz .LBB357_4216
.LBB357_4289:
	ds_load_b32 v34, v32 offset:160
	s_wait_dscnt 0x0
	v_add_f32_e32 v1, v34, v1
	s_or_b32 exec_lo, exec_lo, s0
	s_and_saveexec_b32 s0, vcc_lo
	s_cbranch_execz .LBB357_4217
.LBB357_4290:
	ds_load_b32 v34, v32 offset:192
	s_wait_dscnt 0x0
	v_add_f32_e32 v28, v34, v28
	s_or_b32 exec_lo, exec_lo, s0
	s_and_saveexec_b32 s0, vcc_lo
	s_cbranch_execz .LBB357_4218
.LBB357_4291:
	ds_load_b32 v34, v32 offset:224
	s_wait_dscnt 0x0
	v_add_f32_e32 v29, v34, v29
	s_or_b32 exec_lo, exec_lo, s0
	s_and_saveexec_b32 s0, vcc_lo
	s_cbranch_execz .LBB357_4219
.LBB357_4292:
	ds_load_b32 v34, v32 offset:256
	s_wait_dscnt 0x0
	v_add_f32_e32 v26, v34, v26
	s_or_b32 exec_lo, exec_lo, s0
	s_and_saveexec_b32 s0, vcc_lo
	s_cbranch_execz .LBB357_4220
.LBB357_4293:
	ds_load_b32 v34, v32 offset:288
	s_wait_dscnt 0x0
	v_add_f32_e32 v27, v34, v27
	s_or_b32 exec_lo, exec_lo, s0
	s_and_saveexec_b32 s0, vcc_lo
	s_cbranch_execz .LBB357_4221
.LBB357_4294:
	ds_load_b32 v34, v32 offset:320
	s_wait_dscnt 0x0
	v_add_f32_e32 v24, v34, v24
	s_or_b32 exec_lo, exec_lo, s0
	s_and_saveexec_b32 s0, vcc_lo
	s_cbranch_execz .LBB357_4222
.LBB357_4295:
	ds_load_b32 v34, v32 offset:352
	s_wait_dscnt 0x0
	v_add_f32_e32 v25, v34, v25
	s_or_b32 exec_lo, exec_lo, s0
	s_and_saveexec_b32 s0, vcc_lo
	s_cbranch_execz .LBB357_4223
.LBB357_4296:
	ds_load_b32 v34, v32 offset:384
	s_wait_dscnt 0x0
	v_add_f32_e32 v22, v34, v22
	s_or_b32 exec_lo, exec_lo, s0
	s_and_saveexec_b32 s0, vcc_lo
	s_cbranch_execz .LBB357_4224
.LBB357_4297:
	ds_load_b32 v34, v32 offset:416
	s_wait_dscnt 0x0
	v_add_f32_e32 v23, v34, v23
	s_or_b32 exec_lo, exec_lo, s0
	s_and_saveexec_b32 s0, vcc_lo
	s_cbranch_execz .LBB357_4225
.LBB357_4298:
	ds_load_b32 v34, v32 offset:448
	s_wait_dscnt 0x0
	v_add_f32_e32 v20, v34, v20
	s_or_b32 exec_lo, exec_lo, s0
	s_and_saveexec_b32 s0, vcc_lo
	s_cbranch_execz .LBB357_4226
.LBB357_4299:
	ds_load_b32 v34, v32 offset:480
	s_wait_dscnt 0x0
	v_add_f32_e32 v21, v34, v21
	s_or_b32 exec_lo, exec_lo, s0
	s_and_saveexec_b32 s0, vcc_lo
	s_cbranch_execz .LBB357_4227
.LBB357_4300:
	ds_load_b32 v34, v32 offset:512
	s_wait_dscnt 0x0
	v_add_f32_e32 v18, v34, v18
	s_or_b32 exec_lo, exec_lo, s0
	s_and_saveexec_b32 s0, vcc_lo
	s_cbranch_execz .LBB357_4228
.LBB357_4301:
	ds_load_b32 v34, v32 offset:544
	s_wait_dscnt 0x0
	v_add_f32_e32 v19, v34, v19
	s_or_b32 exec_lo, exec_lo, s0
	s_and_saveexec_b32 s0, vcc_lo
	s_cbranch_execz .LBB357_4229
.LBB357_4302:
	ds_load_b32 v34, v32 offset:576
	s_wait_dscnt 0x0
	v_add_f32_e32 v16, v34, v16
	s_or_b32 exec_lo, exec_lo, s0
	s_and_saveexec_b32 s0, vcc_lo
	s_cbranch_execz .LBB357_4230
.LBB357_4303:
	ds_load_b32 v34, v32 offset:608
	s_wait_dscnt 0x0
	v_add_f32_e32 v17, v34, v17
	s_or_b32 exec_lo, exec_lo, s0
	s_and_saveexec_b32 s0, vcc_lo
	s_cbranch_execz .LBB357_4231
.LBB357_4304:
	ds_load_b32 v34, v32 offset:640
	s_wait_dscnt 0x0
	v_add_f32_e32 v14, v34, v14
	s_or_b32 exec_lo, exec_lo, s0
	s_and_saveexec_b32 s0, vcc_lo
	s_cbranch_execz .LBB357_4232
.LBB357_4305:
	ds_load_b32 v34, v32 offset:672
	s_wait_dscnt 0x0
	v_add_f32_e32 v15, v34, v15
	s_or_b32 exec_lo, exec_lo, s0
	s_and_saveexec_b32 s0, vcc_lo
	s_cbranch_execz .LBB357_4233
.LBB357_4306:
	ds_load_b32 v34, v32 offset:704
	s_wait_dscnt 0x0
	v_add_f32_e32 v12, v34, v12
	s_or_b32 exec_lo, exec_lo, s0
	s_and_saveexec_b32 s0, vcc_lo
	s_cbranch_execz .LBB357_4234
.LBB357_4307:
	ds_load_b32 v34, v32 offset:736
	s_wait_dscnt 0x0
	v_add_f32_e32 v13, v34, v13
	s_or_b32 exec_lo, exec_lo, s0
	s_and_saveexec_b32 s0, vcc_lo
	s_cbranch_execz .LBB357_4235
.LBB357_4308:
	ds_load_b32 v34, v32 offset:768
	s_wait_dscnt 0x0
	v_add_f32_e32 v10, v34, v10
	s_or_b32 exec_lo, exec_lo, s0
	s_and_saveexec_b32 s0, vcc_lo
	s_cbranch_execz .LBB357_4236
.LBB357_4309:
	ds_load_b32 v34, v32 offset:800
	s_wait_dscnt 0x0
	v_add_f32_e32 v11, v34, v11
	s_or_b32 exec_lo, exec_lo, s0
	s_and_saveexec_b32 s0, vcc_lo
	s_cbranch_execz .LBB357_4237
.LBB357_4310:
	ds_load_b32 v34, v32 offset:832
	s_wait_dscnt 0x0
	v_add_f32_e32 v8, v34, v8
	s_or_b32 exec_lo, exec_lo, s0
	s_and_saveexec_b32 s0, vcc_lo
	s_cbranch_execz .LBB357_4238
.LBB357_4311:
	ds_load_b32 v34, v32 offset:864
	s_wait_dscnt 0x0
	v_add_f32_e32 v9, v34, v9
	s_or_b32 exec_lo, exec_lo, s0
	s_and_saveexec_b32 s0, vcc_lo
	s_cbranch_execz .LBB357_4239
.LBB357_4312:
	ds_load_b32 v34, v32 offset:896
	s_wait_dscnt 0x0
	v_add_f32_e32 v6, v34, v6
	s_or_b32 exec_lo, exec_lo, s0
	s_and_saveexec_b32 s0, vcc_lo
	s_cbranch_execz .LBB357_4240
.LBB357_4313:
	ds_load_b32 v34, v32 offset:928
	s_wait_dscnt 0x0
	v_add_f32_e32 v7, v34, v7
	s_or_b32 exec_lo, exec_lo, s0
	s_and_saveexec_b32 s0, vcc_lo
	s_cbranch_execz .LBB357_4241
.LBB357_4314:
	ds_load_b32 v34, v32 offset:960
	s_wait_dscnt 0x0
	v_add_f32_e32 v30, v34, v30
	s_or_b32 exec_lo, exec_lo, s0
	s_and_saveexec_b32 s0, vcc_lo
	s_cbranch_execnz .LBB357_4242
	s_branch .LBB357_4243
.LBB357_4315:
	ds_load_b32 v33, v32
	s_wait_dscnt 0x0
	v_add_f32_e32 v4, v33, v4
	s_or_b32 exec_lo, exec_lo, s0
	s_and_saveexec_b32 s0, vcc_lo
	s_cbranch_execz .LBB357_4249
.LBB357_4316:
	ds_load_b32 v33, v32 offset:32
	s_wait_dscnt 0x0
	v_add_f32_e32 v5, v33, v5
	s_or_b32 exec_lo, exec_lo, s0
	s_and_saveexec_b32 s0, vcc_lo
	s_cbranch_execz .LBB357_4250
.LBB357_4317:
	ds_load_b32 v33, v32 offset:64
	s_wait_dscnt 0x0
	v_add_f32_e32 v2, v33, v2
	s_or_b32 exec_lo, exec_lo, s0
	s_and_saveexec_b32 s0, vcc_lo
	s_cbranch_execz .LBB357_4251
.LBB357_4318:
	ds_load_b32 v33, v32 offset:96
	s_wait_dscnt 0x0
	v_add_f32_e32 v3, v33, v3
	s_or_b32 exec_lo, exec_lo, s0
	s_and_saveexec_b32 s0, vcc_lo
	s_cbranch_execz .LBB357_4252
.LBB357_4319:
	ds_load_b32 v33, v32 offset:128
	s_wait_dscnt 0x0
	v_add_f32_e32 v0, v33, v0
	s_or_b32 exec_lo, exec_lo, s0
	s_and_saveexec_b32 s0, vcc_lo
	s_cbranch_execz .LBB357_4253
.LBB357_4320:
	ds_load_b32 v33, v32 offset:160
	s_wait_dscnt 0x0
	v_add_f32_e32 v1, v33, v1
	s_or_b32 exec_lo, exec_lo, s0
	s_and_saveexec_b32 s0, vcc_lo
	s_cbranch_execz .LBB357_4254
.LBB357_4321:
	ds_load_b32 v33, v32 offset:192
	s_wait_dscnt 0x0
	v_add_f32_e32 v28, v33, v28
	s_or_b32 exec_lo, exec_lo, s0
	s_and_saveexec_b32 s0, vcc_lo
	s_cbranch_execz .LBB357_4255
.LBB357_4322:
	ds_load_b32 v33, v32 offset:224
	s_wait_dscnt 0x0
	v_add_f32_e32 v29, v33, v29
	s_or_b32 exec_lo, exec_lo, s0
	s_and_saveexec_b32 s0, vcc_lo
	s_cbranch_execz .LBB357_4256
.LBB357_4323:
	ds_load_b32 v33, v32 offset:256
	s_wait_dscnt 0x0
	v_add_f32_e32 v26, v33, v26
	s_or_b32 exec_lo, exec_lo, s0
	s_and_saveexec_b32 s0, vcc_lo
	s_cbranch_execz .LBB357_4257
.LBB357_4324:
	ds_load_b32 v33, v32 offset:288
	s_wait_dscnt 0x0
	v_add_f32_e32 v27, v33, v27
	s_or_b32 exec_lo, exec_lo, s0
	s_and_saveexec_b32 s0, vcc_lo
	s_cbranch_execz .LBB357_4258
.LBB357_4325:
	ds_load_b32 v33, v32 offset:320
	s_wait_dscnt 0x0
	v_add_f32_e32 v24, v33, v24
	s_or_b32 exec_lo, exec_lo, s0
	s_and_saveexec_b32 s0, vcc_lo
	s_cbranch_execz .LBB357_4259
.LBB357_4326:
	ds_load_b32 v33, v32 offset:352
	s_wait_dscnt 0x0
	v_add_f32_e32 v25, v33, v25
	s_or_b32 exec_lo, exec_lo, s0
	s_and_saveexec_b32 s0, vcc_lo
	s_cbranch_execz .LBB357_4260
.LBB357_4327:
	ds_load_b32 v33, v32 offset:384
	s_wait_dscnt 0x0
	v_add_f32_e32 v22, v33, v22
	s_or_b32 exec_lo, exec_lo, s0
	s_and_saveexec_b32 s0, vcc_lo
	s_cbranch_execz .LBB357_4261
.LBB357_4328:
	ds_load_b32 v33, v32 offset:416
	s_wait_dscnt 0x0
	v_add_f32_e32 v23, v33, v23
	s_or_b32 exec_lo, exec_lo, s0
	s_and_saveexec_b32 s0, vcc_lo
	s_cbranch_execz .LBB357_4262
.LBB357_4329:
	ds_load_b32 v33, v32 offset:448
	s_wait_dscnt 0x0
	v_add_f32_e32 v20, v33, v20
	s_or_b32 exec_lo, exec_lo, s0
	s_and_saveexec_b32 s0, vcc_lo
	s_cbranch_execz .LBB357_4263
.LBB357_4330:
	ds_load_b32 v33, v32 offset:480
	s_wait_dscnt 0x0
	v_add_f32_e32 v21, v33, v21
	s_or_b32 exec_lo, exec_lo, s0
	s_and_saveexec_b32 s0, vcc_lo
	s_cbranch_execz .LBB357_4264
.LBB357_4331:
	ds_load_b32 v33, v32 offset:512
	s_wait_dscnt 0x0
	v_add_f32_e32 v18, v33, v18
	s_or_b32 exec_lo, exec_lo, s0
	s_and_saveexec_b32 s0, vcc_lo
	s_cbranch_execz .LBB357_4265
.LBB357_4332:
	ds_load_b32 v33, v32 offset:544
	s_wait_dscnt 0x0
	v_add_f32_e32 v19, v33, v19
	s_or_b32 exec_lo, exec_lo, s0
	s_and_saveexec_b32 s0, vcc_lo
	s_cbranch_execz .LBB357_4266
.LBB357_4333:
	ds_load_b32 v33, v32 offset:576
	s_wait_dscnt 0x0
	v_add_f32_e32 v16, v33, v16
	s_or_b32 exec_lo, exec_lo, s0
	s_and_saveexec_b32 s0, vcc_lo
	s_cbranch_execz .LBB357_4267
.LBB357_4334:
	ds_load_b32 v33, v32 offset:608
	s_wait_dscnt 0x0
	v_add_f32_e32 v17, v33, v17
	s_or_b32 exec_lo, exec_lo, s0
	s_and_saveexec_b32 s0, vcc_lo
	s_cbranch_execz .LBB357_4268
.LBB357_4335:
	ds_load_b32 v33, v32 offset:640
	s_wait_dscnt 0x0
	v_add_f32_e32 v14, v33, v14
	s_or_b32 exec_lo, exec_lo, s0
	s_and_saveexec_b32 s0, vcc_lo
	s_cbranch_execz .LBB357_4269
.LBB357_4336:
	ds_load_b32 v33, v32 offset:672
	s_wait_dscnt 0x0
	v_add_f32_e32 v15, v33, v15
	s_or_b32 exec_lo, exec_lo, s0
	s_and_saveexec_b32 s0, vcc_lo
	s_cbranch_execz .LBB357_4270
.LBB357_4337:
	ds_load_b32 v33, v32 offset:704
	s_wait_dscnt 0x0
	v_add_f32_e32 v12, v33, v12
	s_or_b32 exec_lo, exec_lo, s0
	s_and_saveexec_b32 s0, vcc_lo
	s_cbranch_execz .LBB357_4271
.LBB357_4338:
	ds_load_b32 v33, v32 offset:736
	s_wait_dscnt 0x0
	v_add_f32_e32 v13, v33, v13
	s_or_b32 exec_lo, exec_lo, s0
	s_and_saveexec_b32 s0, vcc_lo
	s_cbranch_execz .LBB357_4272
.LBB357_4339:
	ds_load_b32 v33, v32 offset:768
	s_wait_dscnt 0x0
	v_add_f32_e32 v10, v33, v10
	s_or_b32 exec_lo, exec_lo, s0
	s_and_saveexec_b32 s0, vcc_lo
	s_cbranch_execz .LBB357_4273
.LBB357_4340:
	ds_load_b32 v33, v32 offset:800
	s_wait_dscnt 0x0
	v_add_f32_e32 v11, v33, v11
	s_or_b32 exec_lo, exec_lo, s0
	s_and_saveexec_b32 s0, vcc_lo
	s_cbranch_execz .LBB357_4274
.LBB357_4341:
	ds_load_b32 v33, v32 offset:832
	s_wait_dscnt 0x0
	v_add_f32_e32 v8, v33, v8
	s_or_b32 exec_lo, exec_lo, s0
	s_and_saveexec_b32 s0, vcc_lo
	s_cbranch_execz .LBB357_4275
.LBB357_4342:
	ds_load_b32 v33, v32 offset:864
	s_wait_dscnt 0x0
	v_add_f32_e32 v9, v33, v9
	s_or_b32 exec_lo, exec_lo, s0
	s_and_saveexec_b32 s0, vcc_lo
	s_cbranch_execz .LBB357_4276
.LBB357_4343:
	ds_load_b32 v33, v32 offset:896
	s_wait_dscnt 0x0
	v_add_f32_e32 v6, v33, v6
	s_or_b32 exec_lo, exec_lo, s0
	s_and_saveexec_b32 s0, vcc_lo
	s_cbranch_execz .LBB357_4277
.LBB357_4344:
	ds_load_b32 v33, v32 offset:928
	s_wait_dscnt 0x0
	v_add_f32_e32 v7, v33, v7
	s_or_b32 exec_lo, exec_lo, s0
	s_and_saveexec_b32 s0, vcc_lo
	s_cbranch_execz .LBB357_4278
.LBB357_4345:
	ds_load_b32 v33, v32 offset:960
	s_wait_dscnt 0x0
	v_add_f32_e32 v30, v33, v30
	s_or_b32 exec_lo, exec_lo, s0
	s_and_saveexec_b32 s0, vcc_lo
	s_cbranch_execnz .LBB357_4279
	s_branch .LBB357_4280
.Lfunc_end357:
	.size	_ZN4vllm22paged_attention_kernelI14__hip_bfloat16hLi256ELi32ELi128ELNS_18Fp8KVCacheDataTypeE1ELb1ELi0EEEvPfS3_PT_PKS4_PKT0_SA_ifPKiSC_iPKfiiiSE_SE_iiiii, .Lfunc_end357-_ZN4vllm22paged_attention_kernelI14__hip_bfloat16hLi256ELi32ELi128ELNS_18Fp8KVCacheDataTypeE1ELb1ELi0EEEvPfS3_PT_PKS4_PKT0_SA_ifPKiSC_iPKfiiiSE_SE_iiiii
                                        ; -- End function
	.set .L_ZN4vllm22paged_attention_kernelI14__hip_bfloat16hLi256ELi32ELi128ELNS_18Fp8KVCacheDataTypeE1ELb1ELi0EEEvPfS3_PT_PKS4_PKT0_SA_ifPKiSC_iPKfiiiSE_SE_iiiii.num_vgpr, 128
	.set .L_ZN4vllm22paged_attention_kernelI14__hip_bfloat16hLi256ELi32ELi128ELNS_18Fp8KVCacheDataTypeE1ELb1ELi0EEEvPfS3_PT_PKS4_PKT0_SA_ifPKiSC_iPKfiiiSE_SE_iiiii.num_agpr, 0
	.set .L_ZN4vllm22paged_attention_kernelI14__hip_bfloat16hLi256ELi32ELi128ELNS_18Fp8KVCacheDataTypeE1ELb1ELi0EEEvPfS3_PT_PKS4_PKT0_SA_ifPKiSC_iPKfiiiSE_SE_iiiii.numbered_sgpr, 33
	.set .L_ZN4vllm22paged_attention_kernelI14__hip_bfloat16hLi256ELi32ELi128ELNS_18Fp8KVCacheDataTypeE1ELb1ELi0EEEvPfS3_PT_PKS4_PKT0_SA_ifPKiSC_iPKfiiiSE_SE_iiiii.num_named_barrier, 0
	.set .L_ZN4vllm22paged_attention_kernelI14__hip_bfloat16hLi256ELi32ELi128ELNS_18Fp8KVCacheDataTypeE1ELb1ELi0EEEvPfS3_PT_PKS4_PKT0_SA_ifPKiSC_iPKfiiiSE_SE_iiiii.private_seg_size, 2376
	.set .L_ZN4vllm22paged_attention_kernelI14__hip_bfloat16hLi256ELi32ELi128ELNS_18Fp8KVCacheDataTypeE1ELb1ELi0EEEvPfS3_PT_PKS4_PKT0_SA_ifPKiSC_iPKfiiiSE_SE_iiiii.uses_vcc, 1
	.set .L_ZN4vllm22paged_attention_kernelI14__hip_bfloat16hLi256ELi32ELi128ELNS_18Fp8KVCacheDataTypeE1ELb1ELi0EEEvPfS3_PT_PKS4_PKT0_SA_ifPKiSC_iPKfiiiSE_SE_iiiii.uses_flat_scratch, 1
	.set .L_ZN4vllm22paged_attention_kernelI14__hip_bfloat16hLi256ELi32ELi128ELNS_18Fp8KVCacheDataTypeE1ELb1ELi0EEEvPfS3_PT_PKS4_PKT0_SA_ifPKiSC_iPKfiiiSE_SE_iiiii.has_dyn_sized_stack, 0
	.set .L_ZN4vllm22paged_attention_kernelI14__hip_bfloat16hLi256ELi32ELi128ELNS_18Fp8KVCacheDataTypeE1ELb1ELi0EEEvPfS3_PT_PKS4_PKT0_SA_ifPKiSC_iPKfiiiSE_SE_iiiii.has_recursion, 0
	.set .L_ZN4vllm22paged_attention_kernelI14__hip_bfloat16hLi256ELi32ELi128ELNS_18Fp8KVCacheDataTypeE1ELb1ELi0EEEvPfS3_PT_PKS4_PKT0_SA_ifPKiSC_iPKfiiiSE_SE_iiiii.has_indirect_call, 0
	.section	.AMDGPU.csdata,"",@progbits
; Function info:
; codeLenInByte = 176308
; TotalNumSgprs: 35
; NumVgprs: 128
; ScratchSize: 2376
; MemoryBound: 0
	.section	.text._ZN4vllm25paged_attention_v1_kernelI14__hip_bfloat16hLi256ELi32ELi128ELNS_18Fp8KVCacheDataTypeE1ELb1EEEvPT_PKS3_PKT0_S9_ifPKiSB_iPKfiiiSD_SD_iiiii,"axG",@progbits,_ZN4vllm25paged_attention_v1_kernelI14__hip_bfloat16hLi256ELi32ELi128ELNS_18Fp8KVCacheDataTypeE1ELb1EEEvPT_PKS3_PKT0_S9_ifPKiSB_iPKfiiiSD_SD_iiiii,comdat
	.protected	_ZN4vllm25paged_attention_v1_kernelI14__hip_bfloat16hLi256ELi32ELi128ELNS_18Fp8KVCacheDataTypeE1ELb1EEEvPT_PKS3_PKT0_S9_ifPKiSB_iPKfiiiSD_SD_iiiii ; -- Begin function _ZN4vllm25paged_attention_v1_kernelI14__hip_bfloat16hLi256ELi32ELi128ELNS_18Fp8KVCacheDataTypeE1ELb1EEEvPT_PKS3_PKT0_S9_ifPKiSB_iPKfiiiSD_SD_iiiii
	.globl	_ZN4vllm25paged_attention_v1_kernelI14__hip_bfloat16hLi256ELi32ELi128ELNS_18Fp8KVCacheDataTypeE1ELb1EEEvPT_PKS3_PKT0_S9_ifPKiSB_iPKfiiiSD_SD_iiiii
	.p2align	8
	.type	_ZN4vllm25paged_attention_v1_kernelI14__hip_bfloat16hLi256ELi32ELi128ELNS_18Fp8KVCacheDataTypeE1ELb1EEEvPT_PKS3_PKT0_S9_ifPKiSB_iPKfiiiSD_SD_iiiii,@function
_ZN4vllm25paged_attention_v1_kernelI14__hip_bfloat16hLi256ELi32ELi128ELNS_18Fp8KVCacheDataTypeE1ELb1EEEvPT_PKS3_PKT0_S9_ifPKiSB_iPKfiiiSD_SD_iiiii: ; @_ZN4vllm25paged_attention_v1_kernelI14__hip_bfloat16hLi256ELi32ELi128ELNS_18Fp8KVCacheDataTypeE1ELb1EEEvPT_PKS3_PKT0_S9_ifPKiSB_iPKfiiiSD_SD_iiiii
; %bb.0:
	s_clause 0x6
	s_load_b256 s[12:19], s[0:1], 0x0
	s_load_b128 s[4:7], s[0:1], 0x20
	s_load_b96 s[28:30], s[0:1], 0x30
	s_load_b64 s[10:11], s[0:1], 0x40
	s_load_b96 s[36:38], s[0:1], 0x48
	s_load_b256 s[20:27], s[0:1], 0x58
	s_load_b32 s31, s[0:1], 0x78
	v_mov_b32_e32 v31, v0
	s_get_pc_i64 s[2:3]
	s_add_nc_u64 s[2:3], s[2:3], _ZN4vllm22paged_attention_kernelI14__hip_bfloat16hLi256ELi32ELi128ELNS_18Fp8KVCacheDataTypeE1ELb1ELi0EEEvPfS3_PT_PKS4_PKT0_SA_ifPKiSC_iPKfiiiSE_SE_iiiii@rel64+4
	s_add_nc_u64 s[8:9], s[0:1], 0x80
	s_mov_b32 s32, 0
	s_wait_kmcnt 0x0
	v_dual_mov_b32 v15, s10 :: v_dual_mov_b32 v16, s11
	v_dual_mov_b32 v0, s12 :: v_dual_mov_b32 v1, s13
	;; [unrolled: 1-line block ×14, first 2 shown]
	v_mov_b32_e32 v28, s31
	s_mov_b32 s15, 13
	s_swap_pc_i64 s[30:31], s[2:3]
	s_endpgm
	.section	.rodata,"a",@progbits
	.p2align	6, 0x0
	.amdhsa_kernel _ZN4vllm25paged_attention_v1_kernelI14__hip_bfloat16hLi256ELi32ELi128ELNS_18Fp8KVCacheDataTypeE1ELb1EEEvPT_PKS3_PKT0_S9_ifPKiSB_iPKfiiiSD_SD_iiiii
		.amdhsa_group_segment_fixed_size 544
		.amdhsa_private_segment_fixed_size 2376
		.amdhsa_kernarg_size 384
		.amdhsa_user_sgpr_count 2
		.amdhsa_user_sgpr_dispatch_ptr 0
		.amdhsa_user_sgpr_queue_ptr 0
		.amdhsa_user_sgpr_kernarg_segment_ptr 1
		.amdhsa_user_sgpr_dispatch_id 0
		.amdhsa_user_sgpr_kernarg_preload_length 0
		.amdhsa_user_sgpr_kernarg_preload_offset 0
		.amdhsa_user_sgpr_private_segment_size 0
		.amdhsa_wavefront_size32 1
		.amdhsa_uses_dynamic_stack 0
		.amdhsa_enable_private_segment 1
		.amdhsa_system_sgpr_workgroup_id_x 1
		.amdhsa_system_sgpr_workgroup_id_y 1
		.amdhsa_system_sgpr_workgroup_id_z 1
		.amdhsa_system_sgpr_workgroup_info 0
		.amdhsa_system_vgpr_workitem_id 0
		.amdhsa_next_free_vgpr 128
		.amdhsa_next_free_sgpr 39
		.amdhsa_named_barrier_count 0
		.amdhsa_reserve_vcc 1
		.amdhsa_float_round_mode_32 0
		.amdhsa_float_round_mode_16_64 0
		.amdhsa_float_denorm_mode_32 3
		.amdhsa_float_denorm_mode_16_64 3
		.amdhsa_fp16_overflow 0
		.amdhsa_memory_ordered 1
		.amdhsa_forward_progress 1
		.amdhsa_inst_pref_size 2
		.amdhsa_round_robin_scheduling 0
		.amdhsa_exception_fp_ieee_invalid_op 0
		.amdhsa_exception_fp_denorm_src 0
		.amdhsa_exception_fp_ieee_div_zero 0
		.amdhsa_exception_fp_ieee_overflow 0
		.amdhsa_exception_fp_ieee_underflow 0
		.amdhsa_exception_fp_ieee_inexact 0
		.amdhsa_exception_int_div_zero 0
	.end_amdhsa_kernel
	.section	.text._ZN4vllm25paged_attention_v1_kernelI14__hip_bfloat16hLi256ELi32ELi128ELNS_18Fp8KVCacheDataTypeE1ELb1EEEvPT_PKS3_PKT0_S9_ifPKiSB_iPKfiiiSD_SD_iiiii,"axG",@progbits,_ZN4vllm25paged_attention_v1_kernelI14__hip_bfloat16hLi256ELi32ELi128ELNS_18Fp8KVCacheDataTypeE1ELb1EEEvPT_PKS3_PKT0_S9_ifPKiSB_iPKfiiiSD_SD_iiiii,comdat
.Lfunc_end358:
	.size	_ZN4vllm25paged_attention_v1_kernelI14__hip_bfloat16hLi256ELi32ELi128ELNS_18Fp8KVCacheDataTypeE1ELb1EEEvPT_PKS3_PKT0_S9_ifPKiSB_iPKfiiiSD_SD_iiiii, .Lfunc_end358-_ZN4vllm25paged_attention_v1_kernelI14__hip_bfloat16hLi256ELi32ELi128ELNS_18Fp8KVCacheDataTypeE1ELb1EEEvPT_PKS3_PKT0_S9_ifPKiSB_iPKfiiiSD_SD_iiiii
                                        ; -- End function
	.set _ZN4vllm25paged_attention_v1_kernelI14__hip_bfloat16hLi256ELi32ELi128ELNS_18Fp8KVCacheDataTypeE1ELb1EEEvPT_PKS3_PKT0_S9_ifPKiSB_iPKfiiiSD_SD_iiiii.num_vgpr, max(32, .L_ZN4vllm22paged_attention_kernelI14__hip_bfloat16hLi256ELi32ELi128ELNS_18Fp8KVCacheDataTypeE1ELb1ELi0EEEvPfS3_PT_PKS4_PKT0_SA_ifPKiSC_iPKfiiiSE_SE_iiiii.num_vgpr)
	.set _ZN4vllm25paged_attention_v1_kernelI14__hip_bfloat16hLi256ELi32ELi128ELNS_18Fp8KVCacheDataTypeE1ELb1EEEvPT_PKS3_PKT0_S9_ifPKiSB_iPKfiiiSD_SD_iiiii.num_agpr, max(0, .L_ZN4vllm22paged_attention_kernelI14__hip_bfloat16hLi256ELi32ELi128ELNS_18Fp8KVCacheDataTypeE1ELb1ELi0EEEvPfS3_PT_PKS4_PKT0_SA_ifPKiSC_iPKfiiiSE_SE_iiiii.num_agpr)
	.set _ZN4vllm25paged_attention_v1_kernelI14__hip_bfloat16hLi256ELi32ELi128ELNS_18Fp8KVCacheDataTypeE1ELb1EEEvPT_PKS3_PKT0_S9_ifPKiSB_iPKfiiiSD_SD_iiiii.numbered_sgpr, max(39, .L_ZN4vllm22paged_attention_kernelI14__hip_bfloat16hLi256ELi32ELi128ELNS_18Fp8KVCacheDataTypeE1ELb1ELi0EEEvPfS3_PT_PKS4_PKT0_SA_ifPKiSC_iPKfiiiSE_SE_iiiii.numbered_sgpr)
	.set _ZN4vllm25paged_attention_v1_kernelI14__hip_bfloat16hLi256ELi32ELi128ELNS_18Fp8KVCacheDataTypeE1ELb1EEEvPT_PKS3_PKT0_S9_ifPKiSB_iPKfiiiSD_SD_iiiii.num_named_barrier, max(0, .L_ZN4vllm22paged_attention_kernelI14__hip_bfloat16hLi256ELi32ELi128ELNS_18Fp8KVCacheDataTypeE1ELb1ELi0EEEvPfS3_PT_PKS4_PKT0_SA_ifPKiSC_iPKfiiiSE_SE_iiiii.num_named_barrier)
	.set _ZN4vllm25paged_attention_v1_kernelI14__hip_bfloat16hLi256ELi32ELi128ELNS_18Fp8KVCacheDataTypeE1ELb1EEEvPT_PKS3_PKT0_S9_ifPKiSB_iPKfiiiSD_SD_iiiii.private_seg_size, 0+max(.L_ZN4vllm22paged_attention_kernelI14__hip_bfloat16hLi256ELi32ELi128ELNS_18Fp8KVCacheDataTypeE1ELb1ELi0EEEvPfS3_PT_PKS4_PKT0_SA_ifPKiSC_iPKfiiiSE_SE_iiiii.private_seg_size)
	.set _ZN4vllm25paged_attention_v1_kernelI14__hip_bfloat16hLi256ELi32ELi128ELNS_18Fp8KVCacheDataTypeE1ELb1EEEvPT_PKS3_PKT0_S9_ifPKiSB_iPKfiiiSD_SD_iiiii.uses_vcc, or(1, .L_ZN4vllm22paged_attention_kernelI14__hip_bfloat16hLi256ELi32ELi128ELNS_18Fp8KVCacheDataTypeE1ELb1ELi0EEEvPfS3_PT_PKS4_PKT0_SA_ifPKiSC_iPKfiiiSE_SE_iiiii.uses_vcc)
	.set _ZN4vllm25paged_attention_v1_kernelI14__hip_bfloat16hLi256ELi32ELi128ELNS_18Fp8KVCacheDataTypeE1ELb1EEEvPT_PKS3_PKT0_S9_ifPKiSB_iPKfiiiSD_SD_iiiii.uses_flat_scratch, or(0, .L_ZN4vllm22paged_attention_kernelI14__hip_bfloat16hLi256ELi32ELi128ELNS_18Fp8KVCacheDataTypeE1ELb1ELi0EEEvPfS3_PT_PKS4_PKT0_SA_ifPKiSC_iPKfiiiSE_SE_iiiii.uses_flat_scratch)
	.set _ZN4vllm25paged_attention_v1_kernelI14__hip_bfloat16hLi256ELi32ELi128ELNS_18Fp8KVCacheDataTypeE1ELb1EEEvPT_PKS3_PKT0_S9_ifPKiSB_iPKfiiiSD_SD_iiiii.has_dyn_sized_stack, or(0, .L_ZN4vllm22paged_attention_kernelI14__hip_bfloat16hLi256ELi32ELi128ELNS_18Fp8KVCacheDataTypeE1ELb1ELi0EEEvPfS3_PT_PKS4_PKT0_SA_ifPKiSC_iPKfiiiSE_SE_iiiii.has_dyn_sized_stack)
	.set _ZN4vllm25paged_attention_v1_kernelI14__hip_bfloat16hLi256ELi32ELi128ELNS_18Fp8KVCacheDataTypeE1ELb1EEEvPT_PKS3_PKT0_S9_ifPKiSB_iPKfiiiSD_SD_iiiii.has_recursion, or(0, .L_ZN4vllm22paged_attention_kernelI14__hip_bfloat16hLi256ELi32ELi128ELNS_18Fp8KVCacheDataTypeE1ELb1ELi0EEEvPfS3_PT_PKS4_PKT0_SA_ifPKiSC_iPKfiiiSE_SE_iiiii.has_recursion)
	.set _ZN4vllm25paged_attention_v1_kernelI14__hip_bfloat16hLi256ELi32ELi128ELNS_18Fp8KVCacheDataTypeE1ELb1EEEvPT_PKS3_PKT0_S9_ifPKiSB_iPKfiiiSD_SD_iiiii.has_indirect_call, or(0, .L_ZN4vllm22paged_attention_kernelI14__hip_bfloat16hLi256ELi32ELi128ELNS_18Fp8KVCacheDataTypeE1ELb1ELi0EEEvPfS3_PT_PKS4_PKT0_SA_ifPKiSC_iPKfiiiSE_SE_iiiii.has_indirect_call)
	.section	.AMDGPU.csdata,"",@progbits
; Kernel info:
; codeLenInByte = 224
; TotalNumSgprs: 41
; NumVgprs: 128
; ScratchSize: 2376
; MemoryBound: 0
; FloatMode: 240
; IeeeMode: 1
; LDSByteSize: 544 bytes/workgroup (compile time only)
; SGPRBlocks: 0
; VGPRBlocks: 7
; NumSGPRsForWavesPerEU: 41
; NumVGPRsForWavesPerEU: 128
; NamedBarCnt: 0
; Occupancy: 8
; WaveLimiterHint : 1
; COMPUTE_PGM_RSRC2:SCRATCH_EN: 1
; COMPUTE_PGM_RSRC2:USER_SGPR: 2
; COMPUTE_PGM_RSRC2:TRAP_HANDLER: 0
; COMPUTE_PGM_RSRC2:TGID_X_EN: 1
; COMPUTE_PGM_RSRC2:TGID_Y_EN: 1
; COMPUTE_PGM_RSRC2:TGID_Z_EN: 1
; COMPUTE_PGM_RSRC2:TIDIG_COMP_CNT: 0
	.section	.text._ZN4vllm25paged_attention_v1_kernelI14__hip_bfloat16hLi32ELi32ELi128ELNS_18Fp8KVCacheDataTypeE1ELb0EEEvPT_PKS3_PKT0_S9_ifPKiSB_iPKfiiiSD_SD_iiiii,"axG",@progbits,_ZN4vllm25paged_attention_v1_kernelI14__hip_bfloat16hLi32ELi32ELi128ELNS_18Fp8KVCacheDataTypeE1ELb0EEEvPT_PKS3_PKT0_S9_ifPKiSB_iPKfiiiSD_SD_iiiii,comdat
	.protected	_ZN4vllm25paged_attention_v1_kernelI14__hip_bfloat16hLi32ELi32ELi128ELNS_18Fp8KVCacheDataTypeE1ELb0EEEvPT_PKS3_PKT0_S9_ifPKiSB_iPKfiiiSD_SD_iiiii ; -- Begin function _ZN4vllm25paged_attention_v1_kernelI14__hip_bfloat16hLi32ELi32ELi128ELNS_18Fp8KVCacheDataTypeE1ELb0EEEvPT_PKS3_PKT0_S9_ifPKiSB_iPKfiiiSD_SD_iiiii
	.globl	_ZN4vllm25paged_attention_v1_kernelI14__hip_bfloat16hLi32ELi32ELi128ELNS_18Fp8KVCacheDataTypeE1ELb0EEEvPT_PKS3_PKT0_S9_ifPKiSB_iPKfiiiSD_SD_iiiii
	.p2align	8
	.type	_ZN4vllm25paged_attention_v1_kernelI14__hip_bfloat16hLi32ELi32ELi128ELNS_18Fp8KVCacheDataTypeE1ELb0EEEvPT_PKS3_PKT0_S9_ifPKiSB_iPKfiiiSD_SD_iiiii,@function
_ZN4vllm25paged_attention_v1_kernelI14__hip_bfloat16hLi32ELi32ELi128ELNS_18Fp8KVCacheDataTypeE1ELb0EEEvPT_PKS3_PKT0_S9_ifPKiSB_iPKfiiiSD_SD_iiiii: ; @_ZN4vllm25paged_attention_v1_kernelI14__hip_bfloat16hLi32ELi32ELi128ELNS_18Fp8KVCacheDataTypeE1ELb0EEEvPT_PKS3_PKT0_S9_ifPKiSB_iPKfiiiSD_SD_iiiii
; %bb.0:
	s_load_b64 s[18:19], s[0:1], 0x20
	s_bfe_u32 s3, ttmp6, 0x4000c
	s_bfe_u32 s5, ttmp6, 0x40010
	s_and_b32 s4, ttmp7, 0xffff
	s_add_co_i32 s3, s3, 1
	s_add_co_i32 s5, s5, 1
	s_and_b32 s2, ttmp6, 15
	s_bfe_u32 s6, ttmp6, 0x40004
	s_mul_i32 s3, ttmp9, s3
	s_mul_i32 s5, s4, s5
	s_getreg_b32 s22, hwreg(HW_REG_IB_STS2, 6, 4)
	s_add_co_i32 s2, s2, s3
	s_add_co_i32 s3, s6, s5
	s_cmp_eq_u32 s22, 0
	s_clause 0x1
	s_load_b32 s23, s[0:1], 0x80
	s_load_b64 s[6:7], s[0:1], 0x30
	s_cselect_b32 s24, s4, s3
	s_cselect_b32 s4, ttmp9, s2
	s_wait_kmcnt 0x0
	s_abs_i32 s2, s18
	s_delay_alu instid0(SALU_CYCLE_1) | instskip(SKIP_1) | instid1(SALU_CYCLE_2)
	s_cvt_f32_u32 s3, s2
	s_sub_co_i32 s5, 0, s2
	v_rcp_iflag_f32_e32 v1, s3
	s_abs_i32 s8, s23
	v_nop
	s_delay_alu instid0(TRANS32_DEP_1) | instskip(SKIP_1) | instid1(SALU_CYCLE_3)
	v_readfirstlane_b32 s3, v1
	s_mul_f32 s3, s3, 0x4f7ffffe
	s_cvt_u32_f32 s3, s3
	s_delay_alu instid0(SALU_CYCLE_3) | instskip(NEXT) | instid1(SALU_CYCLE_1)
	s_mul_i32 s5, s5, s3
	s_mul_hi_u32 s5, s3, s5
	s_delay_alu instid0(SALU_CYCLE_1) | instskip(SKIP_4) | instid1(SALU_CYCLE_1)
	s_add_co_i32 s3, s3, s5
	s_xor_b32 s5, s23, s18
	s_mul_hi_u32 s3, s8, s3
	s_ashr_i32 s5, s5, 31
	s_mul_i32 s9, s3, s2
	s_sub_co_i32 s8, s8, s9
	s_add_co_i32 s9, s3, 1
	s_sub_co_i32 s10, s8, s2
	s_cmp_ge_u32 s8, s2
	s_cselect_b32 s3, s9, s3
	s_cselect_b32 s8, s10, s8
	s_add_co_i32 s9, s3, 1
	s_cmp_ge_u32 s8, s2
	s_cselect_b32 s2, s9, s3
	s_load_b64 s[8:9], s[0:1], 0x40
	s_xor_b32 s2, s2, s5
	s_mov_b32 s3, 0
	s_sub_co_i32 s14, s2, s5
	s_mov_b32 s13, s3
	s_abs_i32 s11, s14
	s_mov_b32 s18, s3
	s_cvt_f32_u32 s2, s11
	s_delay_alu instid0(SALU_CYCLE_3) | instskip(SKIP_1) | instid1(TRANS32_DEP_1)
	v_rcp_iflag_f32_e32 v1, s2
	v_nop
	v_readfirstlane_b32 s2, v1
	s_mul_f32 s2, s2, 0x4f7ffffe
	s_delay_alu instid0(SALU_CYCLE_3) | instskip(SKIP_1) | instid1(SALU_CYCLE_2)
	s_cvt_u32_f32 s5, s2
	s_sub_co_i32 s2, 0, s11
	s_mul_i32 s2, s2, s5
	s_delay_alu instid0(SALU_CYCLE_1)
	s_mul_hi_u32 s10, s5, s2
	s_abs_i32 s2, s4
	s_add_co_i32 s12, s5, s10
	s_wait_kmcnt 0x0
	s_cmp_eq_u64 s[8:9], 0
	s_cbranch_scc1 .LBB359_2
; %bb.1:
	s_ashr_i32 s5, s4, 31
	s_delay_alu instid0(SALU_CYCLE_1) | instskip(NEXT) | instid1(SALU_CYCLE_1)
	s_lshl_b64 s[16:17], s[4:5], 2
	s_add_nc_u64 s[8:9], s[8:9], s[16:17]
	s_load_b32 s18, s[8:9], 0x0
.LBB359_2:
	s_load_b32 s25, s[6:7], s24 offset:0x0 scale_offset
	s_wait_xcnt 0x0
	s_load_b96 s[8:10], s[0:1], 0x48
	s_ashr_i32 s5, s4, 31
	s_ashr_i32 s6, s14, 31
	s_mul_u64 s[16:17], s[2:3], s[12:13]
	s_lshl_b32 s12, s4, 5
	s_mov_b32 s3, exec_lo
	v_cmpx_gt_u32_e32 4, v0
	s_cbranch_execz .LBB359_4
; %bb.3:
	s_load_b64 s[14:15], s[0:1], 0x8
	s_wait_kmcnt 0x0
	s_mul_i32 s20, s8, s24
	s_ashr_i32 s13, s12, 31
	s_ashr_i32 s21, s20, 31
	v_lshlrev_b32_e32 v1, 4, v0
	s_lshl_b64 s[20:21], s[20:21], 1
	s_delay_alu instid0(SALU_CYCLE_1) | instskip(SKIP_1) | instid1(SALU_CYCLE_1)
	s_add_nc_u64 s[14:15], s[14:15], s[20:21]
	s_lshl_b64 s[20:21], s[12:13], 1
	s_add_nc_u64 s[14:15], s[14:15], s[20:21]
	global_load_b128 v[2:5], v0, s[14:15] scale_offset
	s_wait_loadcnt 0x0
	ds_store_b128 v1, v[2:5]
.LBB359_4:
	s_or_b32 exec_lo, exec_lo, s3
	s_wait_kmcnt 0x0
	s_add_co_i32 s3, s25, 31
	s_clause 0x1
	s_load_b64 s[14:15], s[0:1], 0x28
	s_load_b32 s16, s[0:1], 0x38
	s_ashr_i32 s4, s3, 31
	s_xor_b32 s20, s5, s6
	s_lshr_b32 s4, s4, 27
	v_dual_lshrrev_b32 v1, 5, v0 :: v_dual_bitop2_b32 v76, 31, v0 bitop3:0x40
	s_add_co_i32 s3, s3, s4
	s_mul_i32 s4, s17, s11
	s_ashr_i32 s13, s3, 5
	s_sub_co_i32 s2, s2, s4
	s_clause 0x1
	s_load_b32 s8, s[0:1], 0x88
	s_load_b128 s[4:7], s[0:1], 0x58
	s_add_co_i32 s3, s17, 1
	s_sub_co_i32 s21, s2, s11
	s_cmp_ge_u32 s2, s11
	v_dual_mov_b32 v79, 0xff7fffff :: v_dual_lshlrev_b32 v78, 2, v76
	s_cselect_b32 s3, s3, s17
	s_cselect_b32 s2, s21, s2
	s_add_co_i32 s17, s3, 1
	s_cmp_ge_u32 s2, s11
	v_lshrrev_b32_e32 v77, 3, v0
	s_cselect_b32 s2, s17, s3
	s_wait_kmcnt 0x0
	s_mul_i32 s16, s16, s24
	s_xor_b32 s2, s2, s20
	s_ashr_i32 s17, s16, 31
	s_sub_co_i32 s3, s2, s20
	v_cmp_gt_i32_e64 s2, s13, v1
	s_mul_i32 s10, s3, s10
	s_wait_dscnt 0x0
	s_barrier_signal -1
	s_barrier_wait -1
	s_and_saveexec_b32 s26, s2
	s_cbranch_execz .LBB359_248
; %bb.5:
	v_dual_mov_b32 v3, 0 :: v_dual_lshlrev_b32 v2, 4, v76
	s_load_b64 s[20:21], s[0:1], 0x10
	s_ashr_i32 s11, s10, 31
	s_cmp_neq_f32 s18, 0
	ds_load_b128 v[24:27], v3
	ds_load_b128 v[28:31], v3 offset:16
	ds_load_b128 v[32:35], v3 offset:32
	;; [unrolled: 1-line block ×3, first 2 shown]
	s_load_b32 s4, s[4:5], 0x0
	s_cselect_b32 vcc_lo, -1, 0
	v_lshl_or_b32 v80, v1, 5, v76
	v_mov_b32_e32 v79, 0xff7fffff
	s_mov_b32 s27, s9
	s_sub_co_i32 s28, 1, s25
	v_mov_b32_e32 v82, v1
	s_wait_kmcnt 0x0
	s_add_nc_u64 s[20:21], s[20:21], s[10:11]
	s_wait_dscnt 0x3
	v_and_b32_e32 v7, 0xffff0000, v24
	v_add_nc_u64_e32 v[4:5], s[20:21], v[2:3]
	s_wait_dscnt 0x2
	v_and_b32_e32 v9, 0xffff0000, v28
	v_dual_lshlrev_b32 v8, 16, v28 :: v_dual_lshlrev_b32 v14, 16, v29
	v_and_b32_e32 v15, 0xffff0000, v29
	s_wait_dscnt 0x1
	v_and_b32_e32 v23, 0xffff0000, v34
	v_dual_lshlrev_b32 v22, 16, v34 :: v_dual_lshlrev_b32 v28, 16, v35
	v_and_b32_e32 v29, 0xffff0000, v35
	s_wait_dscnt 0x0
	v_and_b32_e32 v35, 0xffff0000, v38
	v_lshlrev_b32_e32 v34, 16, v38
	v_lshl_or_b32 v38, v1, 7, v78
	v_and_b32_e32 v2, 0x7c, v77
	s_lshl_b64 s[20:21], s[16:17], 2
	v_dual_lshlrev_b32 v6, 16, v24 :: v_dual_lshlrev_b32 v12, 16, v25
	s_add_nc_u64 s[20:21], s[14:15], s[20:21]
	v_and_b32_e32 v11, 0xffff0000, v32
	v_dual_lshlrev_b32 v10, 16, v32 :: v_dual_lshlrev_b32 v16, 16, v33
	v_and_b32_e32 v13, 0xffff0000, v25
	v_and_b32_e32 v17, 0xffff0000, v33
	;; [unrolled: 1-line block ×3, first 2 shown]
	v_dual_lshlrev_b32 v18, 16, v26 :: v_dual_lshlrev_b32 v24, 16, v27
	v_and_b32_e32 v21, 0xffff0000, v30
	v_dual_lshlrev_b32 v20, 16, v30 :: v_dual_lshlrev_b32 v26, 16, v31
	v_and_b32_e32 v25, 0xffff0000, v27
	v_and_b32_e32 v27, 0xffff0000, v31
	;; [unrolled: 1-line block ×3, first 2 shown]
	v_dual_lshlrev_b32 v30, 16, v36 :: v_dual_lshlrev_b32 v32, 16, v37
	v_and_b32_e32 v33, 0xffff0000, v37
	v_and_b32_e32 v37, 0xffff0000, v39
	v_lshlrev_b32_e32 v36, 16, v39
	v_add_nc_u32_e32 v81, 0x60, v38
	v_add_nc_u64_e32 v[38:39], s[20:21], v[2:3]
	s_mov_b64 s[20:21], 0xffffffffffffff
	s_mov_b32 s11, 0
	s_mov_b32 s5, s4
	s_branch .LBB359_10
.LBB359_6:                              ;   in Loop: Header=BB359_10 Depth=1
	s_or_b32 exec_lo, exec_lo, s33
	s_delay_alu instid0(VALU_DEP_1) | instskip(NEXT) | instid1(VALU_DEP_2)
	v_dual_lshlrev_b32 v68, 24, v68 :: v_dual_lshlrev_b32 v2, 20, v2
	v_lshl_add_u32 v69, v69, 23, 0x3c000000
	s_delay_alu instid0(VALU_DEP_2) | instskip(NEXT) | instid1(VALU_DEP_1)
	v_and_b32_e32 v68, 0x80000000, v68
	v_or3_b32 v73, v2, v68, v69
.LBB359_7:                              ;   in Loop: Header=BB359_10 Depth=1
	s_or_b32 exec_lo, exec_lo, s31
.LBB359_8:                              ;   in Loop: Header=BB359_10 Depth=1
	s_delay_alu instid0(SALU_CYCLE_1)
	s_or_b32 exec_lo, exec_lo, s30
.LBB359_9:                              ;   in Loop: Header=BB359_10 Depth=1
	s_delay_alu instid0(SALU_CYCLE_1) | instskip(SKIP_4) | instid1(VALU_DEP_4)
	s_or_b32 exec_lo, exec_lo, s29
	v_mov_b64_e32 v[68:69], s[4:5]
	v_cmp_gt_i32_e64 s3, s25, v80
	v_add_nc_u64_e32 v[38:39], 16, v[38:39]
	v_add_nc_u32_e32 v82, 4, v82
	v_pk_mul_f32 v[58:59], v[68:69], v[58:59]
	v_pk_mul_f32 v[48:49], v[68:69], v[48:49]
	;; [unrolled: 1-line block ×5, first 2 shown]
	v_cvt_pk_bf16_f32 v75, v58, v59
	v_cvt_pk_bf16_f32 v59, v48, v49
	v_pk_mul_f32 v[48:49], v[68:69], v[56:57]
	v_cvt_pk_bf16_f32 v2, v62, v63
	v_cvt_pk_bf16_f32 v58, v52, v53
	v_pk_mul_f32 v[44:45], v[68:69], v[44:45]
	v_pk_mul_f32 v[42:43], v[68:69], v[42:43]
	v_cvt_pk_bf16_f32 v62, v48, v49
	v_cvt_pk_bf16_f32 v48, v40, v41
	v_and_b32_e32 v57, 0xffff0000, v59
	v_lshlrev_b32_e32 v56, 16, v59
	v_pk_mul_f32 v[60:61], v[68:69], v[60:61]
	v_pk_mul_f32 v[64:65], v[68:69], v[64:65]
	;; [unrolled: 1-line block ×4, first 2 shown]
	v_cvt_pk_bf16_f32 v52, v44, v45
	v_cvt_pk_bf16_f32 v53, v42, v43
	v_pk_mul_f32 v[44:45], v[68:69], v[66:67]
	v_and_b32_e32 v49, 0xffff0000, v48
	v_lshlrev_b32_e32 v48, 16, v48
	v_and_b32_e32 v59, 0xffff0000, v58
	v_lshlrev_b32_e32 v58, 16, v58
	v_pk_mul_f32 v[56:57], v[8:9], v[56:57]
	v_cvt_pk_bf16_f32 v74, v60, v61
	v_cvt_pk_bf16_f32 v83, v64, v65
	;; [unrolled: 1-line block ×4, first 2 shown]
	v_pk_mul_f32 v[40:41], v[68:69], v[70:71]
	v_pk_mul_f32 v[42:43], v[68:69], v[50:51]
	;; [unrolled: 1-line block ×3, first 2 shown]
	v_and_b32_e32 v51, 0xffff0000, v53
	v_lshlrev_b32_e32 v50, 16, v53
	v_and_b32_e32 v65, 0xffff0000, v75
	v_dual_lshlrev_b32 v64, 16, v75 :: v_dual_lshlrev_b32 v66, 16, v74
	v_pk_fma_f32 v[48:49], v[6:7], v[48:49], v[56:57]
	v_pk_mul_f32 v[56:57], v[14:15], v[58:59]
	v_cvt_pk_bf16_f32 v68, v44, v45
	v_and_b32_e32 v61, 0xffff0000, v60
	v_lshlrev_b32_e32 v60, 16, v60
	v_and_b32_e32 v67, 0xffff0000, v74
	v_and_b32_e32 v59, 0xffff0000, v2
	v_lshlrev_b32_e32 v58, 16, v2
	v_pk_fma_f32 v[44:45], v[10:11], v[64:65], v[48:49]
	v_pk_fma_f32 v[48:49], v[12:13], v[50:51], v[56:57]
	v_cvt_pk_bf16_f32 v2, v42, v43
	v_and_b32_e32 v43, 0xffff0000, v68
	v_lshlrev_b32_e32 v42, 16, v68
	v_and_b32_e32 v53, 0xffff0000, v52
	v_lshlrev_b32_e32 v52, 16, v52
	;; [unrolled: 2-line block ×3, first 2 shown]
	v_pk_mul_f32 v[50:51], v[20:21], v[60:61]
	v_pk_fma_f32 v[48:49], v[16:17], v[66:67], v[48:49]
	v_and_b32_e32 v57, 0xffff0000, v2
	v_pk_fma_f32 v[42:43], v[30:31], v[42:43], v[44:45]
	v_lshlrev_b32_e32 v56, 16, v2
	v_and_b32_e32 v55, 0xffff0000, v54
	v_lshlrev_b32_e32 v54, 16, v54
	v_pk_fma_f32 v[44:45], v[18:19], v[52:53], v[50:51]
	v_cvt_pk_bf16_f32 v2, v40, v41
	v_add_f32_e32 v50, v42, v43
	v_pk_fma_f32 v[40:41], v[32:33], v[56:57], v[48:49]
	v_and_b32_e32 v51, 0xffff0000, v83
	v_pk_fma_f32 v[42:43], v[22:23], v[58:59], v[44:45]
	v_pk_mul_f32 v[44:45], v[26:27], v[62:63]
	v_and_b32_e32 v49, 0xffff0000, v2
	v_dual_lshlrev_b32 v48, 16, v2 :: v_dual_add_f32 v2, v50, v40
	v_lshlrev_b32_e32 v50, 16, v83
	s_delay_alu instid0(VALU_DEP_4) | instskip(SKIP_1) | instid1(VALU_DEP_4)
	v_pk_fma_f32 v[44:45], v[24:25], v[54:55], v[44:45]
	v_cvt_pk_bf16_f32 v46, v46, v47
	v_pk_fma_f32 v[42:43], v[34:35], v[48:49], v[42:43]
	v_dual_add_f32 v2, v2, v41 :: v_dual_add_nc_u32 v47, s28, v80
	s_delay_alu instid0(VALU_DEP_4) | instskip(NEXT) | instid1(VALU_DEP_4)
	v_pk_fma_f32 v[40:41], v[28:29], v[50:51], v[44:45]
	v_and_b32_e32 v45, 0xffff0000, v46
	v_lshlrev_b32_e32 v44, 16, v46
	s_delay_alu instid0(VALU_DEP_4) | instskip(SKIP_2) | instid1(VALU_DEP_4)
	v_add_f32_e32 v2, v2, v42
	v_cvt_f32_i32_e32 v42, v47
	v_add_nc_u32_e32 v80, 0x80, v80
	v_pk_fma_f32 v[40:41], v[36:37], v[44:45], v[40:41]
	s_delay_alu instid0(VALU_DEP_3) | instskip(NEXT) | instid1(VALU_DEP_1)
	v_dual_mul_f32 v42, s18, v42 :: v_dual_add_f32 v2, v2, v43
	v_dual_add_f32 v2, v2, v40 :: v_dual_cndmask_b32 v40, 0, v42, vcc_lo
	s_delay_alu instid0(VALU_DEP_1) | instskip(NEXT) | instid1(VALU_DEP_1)
	v_add_f32_e32 v2, v2, v41
	v_dual_fmac_f32 v40, s19, v2 :: v_dual_max_num_f32 v2, v79, v79
	s_delay_alu instid0(VALU_DEP_1)
	v_dual_cndmask_b32 v41, 0, v40, s3 :: v_dual_max_num_f32 v2, v2, v40
	ds_store_b32 v81, v41
	v_add_nc_u32_e32 v81, 0x200, v81
	v_cndmask_b32_e64 v79, v79, v2, s3
	v_cmp_le_i32_e64 s3, s13, v82
	s_or_b32 s11, s3, s11
	s_delay_alu instid0(SALU_CYCLE_1)
	s_and_not1_b32 exec_lo, exec_lo, s11
	s_cbranch_execz .LBB359_247
.LBB359_10:                             ; =>This Inner Loop Header: Depth=1
	global_load_b32 v2, v[38:39], off
	v_mov_b32_e32 v40, 0
	s_mov_b32 s29, exec_lo
	s_wait_loadcnt 0x0
	v_mad_nc_i64_i32 v[50:51], v2, s27, v[4:5]
	global_load_b64 v[48:49], v[50:51], off
	s_wait_loadcnt 0x0
	v_and_b32_e32 v2, 0xff, v48
	s_wait_xcnt 0x0
	s_delay_alu instid0(VALU_DEP_1)
	v_cmpx_ne_u16_e32 0, v2
	s_cbranch_execz .LBB359_16
; %bb.11:                               ;   in Loop: Header=BB359_10 Depth=1
	v_bfrev_b32_e32 v40, 1
	s_mov_b32 s30, exec_lo
	v_cmpx_ne_u16_e32 0x80, v2
	s_cbranch_execz .LBB359_15
; %bb.12:                               ;   in Loop: Header=BB359_10 Depth=1
	v_and_b32_e32 v2, 0x7f, v48
	v_mov_b32_e32 v40, 0x7f800001
	s_mov_b32 s31, exec_lo
	s_delay_alu instid0(VALU_DEP_2)
	v_cmpx_ne_u32_e32 0x7f, v2
	s_cbranch_execz .LBB359_14
; %bb.13:                               ;   in Loop: Header=BB359_10 Depth=1
	v_dual_lshrrev_b32 v41, 3, v2 :: v_dual_bitop2_b32 v40, 7, v48 bitop3:0x40
	v_cmp_gt_u32_e64 s3, 8, v2
	s_delay_alu instid0(VALU_DEP_2) | instskip(NEXT) | instid1(VALU_DEP_1)
	v_clz_i32_u32_e32 v40, v40
	v_min_u32_e32 v40, 32, v40
	s_delay_alu instid0(VALU_DEP_1) | instskip(SKIP_1) | instid1(VALU_DEP_1)
	v_subrev_nc_u32_e32 v42, 28, v40
	v_sub_nc_u32_e32 v40, 29, v40
	v_dual_cndmask_b32 v2, v41, v40, s3 :: v_dual_cndmask_b32 v40, 0, v42, s3
	s_delay_alu instid0(VALU_DEP_1) | instskip(NEXT) | instid1(VALU_DEP_2)
	v_lshl_add_u32 v2, v2, 23, 0x3c000000
	v_lshlrev_b64_e32 v[40:41], v40, v[48:49]
	v_lshlrev_b32_e32 v41, 24, v48
	s_delay_alu instid0(VALU_DEP_1) | instskip(NEXT) | instid1(VALU_DEP_3)
	v_and_b32_e32 v41, 0x80000000, v41
	v_lshlrev_b32_e32 v40, 20, v40
	s_delay_alu instid0(VALU_DEP_1) | instskip(NEXT) | instid1(VALU_DEP_1)
	v_and_b32_e32 v40, 0x700000, v40
	v_or3_b32 v40, v40, v41, v2
.LBB359_14:                             ;   in Loop: Header=BB359_10 Depth=1
	s_or_b32 exec_lo, exec_lo, s31
.LBB359_15:                             ;   in Loop: Header=BB359_10 Depth=1
	s_delay_alu instid0(SALU_CYCLE_1)
	s_or_b32 exec_lo, exec_lo, s30
.LBB359_16:                             ;   in Loop: Header=BB359_10 Depth=1
	s_delay_alu instid0(SALU_CYCLE_1) | instskip(SKIP_3) | instid1(VALU_DEP_2)
	s_or_b32 exec_lo, exec_lo, s29
	v_lshrrev_b16 v2, 8, v48
	v_dual_mov_b32 v42, 0 :: v_dual_mov_b32 v41, 0
	s_mov_b32 s29, exec_lo
	v_cmpx_ne_u16_e32 0, v2
	s_cbranch_execz .LBB359_24
; %bb.17:                               ;   in Loop: Header=BB359_10 Depth=1
	v_bfrev_b32_e32 v41, 1
	s_mov_b32 s30, exec_lo
	v_cmpx_ne_u16_e32 0x80, v2
	s_cbranch_execz .LBB359_23
; %bb.18:                               ;   in Loop: Header=BB359_10 Depth=1
	v_and_b32_e32 v2, 0xffff, v2
	v_mov_b32_e32 v41, 0x7f800001
	s_mov_b32 s31, exec_lo
	s_delay_alu instid0(VALU_DEP_2) | instskip(NEXT) | instid1(VALU_DEP_1)
	v_and_b32_e32 v43, 0x7f, v2
	v_cmpx_ne_u32_e32 0x7f, v43
	s_cbranch_execz .LBB359_22
; %bb.19:                               ;   in Loop: Header=BB359_10 Depth=1
	v_dual_lshrrev_b32 v41, 3, v43 :: v_dual_bitop2_b32 v2, 7, v2 bitop3:0x40
	s_mov_b32 s33, exec_lo
	v_cmpx_gt_u32_e32 8, v43
; %bb.20:                               ;   in Loop: Header=BB359_10 Depth=1
	s_delay_alu instid0(VALU_DEP_2) | instskip(NEXT) | instid1(VALU_DEP_1)
	v_clz_i32_u32_e32 v41, v2
	v_min_u32_e32 v41, 32, v41
	s_delay_alu instid0(VALU_DEP_1) | instskip(NEXT) | instid1(VALU_DEP_1)
	v_subrev_nc_u32_e32 v43, 28, v41
	v_lshlrev_b64_e32 v[44:45], v43, v[2:3]
	s_delay_alu instid0(VALU_DEP_1)
	v_dual_sub_nc_u32 v41, 29, v41 :: v_dual_bitop2_b32 v2, 7, v44 bitop3:0x40
; %bb.21:                               ;   in Loop: Header=BB359_10 Depth=1
	s_or_b32 exec_lo, exec_lo, s33
	s_delay_alu instid0(VALU_DEP_1) | instskip(NEXT) | instid1(VALU_DEP_2)
	v_dual_lshlrev_b32 v43, 16, v48 :: v_dual_lshlrev_b32 v2, 20, v2
	v_lshl_add_u32 v41, v41, 23, 0x3c000000
	s_delay_alu instid0(VALU_DEP_2) | instskip(NEXT) | instid1(VALU_DEP_1)
	v_and_b32_e32 v43, 0x80000000, v43
	v_or3_b32 v41, v2, v43, v41
.LBB359_22:                             ;   in Loop: Header=BB359_10 Depth=1
	s_or_b32 exec_lo, exec_lo, s31
.LBB359_23:                             ;   in Loop: Header=BB359_10 Depth=1
	s_delay_alu instid0(SALU_CYCLE_1)
	s_or_b32 exec_lo, exec_lo, s30
.LBB359_24:                             ;   in Loop: Header=BB359_10 Depth=1
	s_delay_alu instid0(SALU_CYCLE_1) | instskip(SKIP_2) | instid1(VALU_DEP_1)
	s_or_b32 exec_lo, exec_lo, s29
	v_lshrrev_b32_e32 v43, 16, v48
	s_mov_b32 s29, exec_lo
	v_and_b32_e32 v2, 0xff, v43
	s_delay_alu instid0(VALU_DEP_1)
	v_cmpx_ne_u16_e32 0, v2
	s_cbranch_execz .LBB359_32
; %bb.25:                               ;   in Loop: Header=BB359_10 Depth=1
	v_bfrev_b32_e32 v42, 1
	s_mov_b32 s30, exec_lo
	v_cmpx_ne_u16_e32 0x80, v2
	s_cbranch_execz .LBB359_31
; %bb.26:                               ;   in Loop: Header=BB359_10 Depth=1
	v_bfe_u32 v44, v48, 16, 7
	v_mov_b32_e32 v42, 0x7f800001
	s_mov_b32 s31, exec_lo
	s_delay_alu instid0(VALU_DEP_2)
	v_cmpx_ne_u32_e32 0x7f, v44
	s_cbranch_execz .LBB359_30
; %bb.27:                               ;   in Loop: Header=BB359_10 Depth=1
	v_dual_lshrrev_b32 v42, 3, v44 :: v_dual_bitop2_b32 v2, 7, v43 bitop3:0x40
	s_mov_b32 s33, exec_lo
	v_cmpx_gt_u32_e32 8, v44
; %bb.28:                               ;   in Loop: Header=BB359_10 Depth=1
	s_delay_alu instid0(VALU_DEP_2) | instskip(NEXT) | instid1(VALU_DEP_1)
	v_clz_i32_u32_e32 v42, v2
	v_min_u32_e32 v42, 32, v42
	s_delay_alu instid0(VALU_DEP_1) | instskip(NEXT) | instid1(VALU_DEP_1)
	v_subrev_nc_u32_e32 v44, 28, v42
	v_lshlrev_b64_e32 v[44:45], v44, v[2:3]
	s_delay_alu instid0(VALU_DEP_1)
	v_dual_sub_nc_u32 v42, 29, v42 :: v_dual_bitop2_b32 v2, 7, v44 bitop3:0x40
; %bb.29:                               ;   in Loop: Header=BB359_10 Depth=1
	s_or_b32 exec_lo, exec_lo, s33
	s_delay_alu instid0(VALU_DEP_1) | instskip(NEXT) | instid1(VALU_DEP_2)
	v_dual_lshlrev_b32 v43, 24, v43 :: v_dual_lshlrev_b32 v2, 20, v2
	v_lshl_add_u32 v42, v42, 23, 0x3c000000
	s_delay_alu instid0(VALU_DEP_2) | instskip(NEXT) | instid1(VALU_DEP_1)
	v_and_b32_e32 v43, 0x80000000, v43
	v_or3_b32 v42, v2, v43, v42
.LBB359_30:                             ;   in Loop: Header=BB359_10 Depth=1
	s_or_b32 exec_lo, exec_lo, s31
.LBB359_31:                             ;   in Loop: Header=BB359_10 Depth=1
	s_delay_alu instid0(SALU_CYCLE_1)
	s_or_b32 exec_lo, exec_lo, s30
.LBB359_32:                             ;   in Loop: Header=BB359_10 Depth=1
	s_delay_alu instid0(SALU_CYCLE_1)
	s_or_b32 exec_lo, exec_lo, s29
	v_dual_mov_b32 v44, 0 :: v_dual_mov_b32 v43, 0
	s_mov_b32 s29, exec_lo
	v_cmpx_lt_u32_e32 0xffffff, v48
	s_cbranch_execz .LBB359_40
; %bb.33:                               ;   in Loop: Header=BB359_10 Depth=1
	v_lshrrev_b32_e32 v45, 24, v48
	v_bfrev_b32_e32 v43, 1
	s_mov_b32 s30, exec_lo
	s_delay_alu instid0(VALU_DEP_2)
	v_cmpx_ne_u32_e32 0x80, v45
	s_cbranch_execz .LBB359_39
; %bb.34:                               ;   in Loop: Header=BB359_10 Depth=1
	v_bfe_u32 v46, v48, 24, 7
	v_mov_b32_e32 v43, 0x7f800001
	s_mov_b32 s31, exec_lo
	s_delay_alu instid0(VALU_DEP_2)
	v_cmpx_ne_u32_e32 0x7f, v46
	s_cbranch_execz .LBB359_38
; %bb.35:                               ;   in Loop: Header=BB359_10 Depth=1
	v_dual_lshrrev_b32 v43, 3, v46 :: v_dual_bitop2_b32 v2, 7, v45 bitop3:0x40
	s_mov_b32 s33, exec_lo
	v_cmpx_gt_u32_e32 8, v46
; %bb.36:                               ;   in Loop: Header=BB359_10 Depth=1
	s_delay_alu instid0(VALU_DEP_2) | instskip(NEXT) | instid1(VALU_DEP_1)
	v_clz_i32_u32_e32 v43, v2
	v_min_u32_e32 v43, 32, v43
	s_delay_alu instid0(VALU_DEP_1) | instskip(NEXT) | instid1(VALU_DEP_1)
	v_subrev_nc_u32_e32 v46, 28, v43
	v_lshlrev_b64_e32 v[46:47], v46, v[2:3]
	s_delay_alu instid0(VALU_DEP_1)
	v_dual_sub_nc_u32 v43, 29, v43 :: v_dual_bitop2_b32 v2, 7, v46 bitop3:0x40
; %bb.37:                               ;   in Loop: Header=BB359_10 Depth=1
	s_or_b32 exec_lo, exec_lo, s33
	s_delay_alu instid0(VALU_DEP_1) | instskip(NEXT) | instid1(VALU_DEP_2)
	v_dual_lshlrev_b32 v45, 24, v45 :: v_dual_lshlrev_b32 v2, 20, v2
	v_lshl_add_u32 v43, v43, 23, 0x3c000000
	s_delay_alu instid0(VALU_DEP_2) | instskip(NEXT) | instid1(VALU_DEP_1)
	v_and_b32_e32 v45, 0x80000000, v45
	v_or3_b32 v43, v2, v45, v43
.LBB359_38:                             ;   in Loop: Header=BB359_10 Depth=1
	s_or_b32 exec_lo, exec_lo, s31
.LBB359_39:                             ;   in Loop: Header=BB359_10 Depth=1
	s_delay_alu instid0(SALU_CYCLE_1)
	s_or_b32 exec_lo, exec_lo, s30
.LBB359_40:                             ;   in Loop: Header=BB359_10 Depth=1
	s_delay_alu instid0(SALU_CYCLE_1) | instskip(SKIP_3) | instid1(VALU_DEP_2)
	s_or_b32 exec_lo, exec_lo, s29
	v_and_b32_e32 v45, 0xff, v49
	v_mov_b32_e32 v2, v49
	s_mov_b32 s29, exec_lo
	v_cmpx_ne_u16_e32 0, v45
	s_cbranch_execz .LBB359_46
; %bb.41:                               ;   in Loop: Header=BB359_10 Depth=1
	v_bfrev_b32_e32 v44, 1
	s_mov_b32 s30, exec_lo
	v_cmpx_ne_u16_e32 0x80, v45
	s_cbranch_execz .LBB359_45
; %bb.42:                               ;   in Loop: Header=BB359_10 Depth=1
	v_and_b32_e32 v45, 0x7f, v49
	v_mov_b32_e32 v44, 0x7f800001
	s_mov_b32 s31, exec_lo
	s_delay_alu instid0(VALU_DEP_2)
	v_cmpx_ne_u32_e32 0x7f, v45
	s_cbranch_execz .LBB359_44
; %bb.43:                               ;   in Loop: Header=BB359_10 Depth=1
	v_and_b32_e32 v44, 7, v49
	v_cmp_gt_u32_e64 s3, 8, v45
	s_delay_alu instid0(VALU_DEP_2) | instskip(NEXT) | instid1(VALU_DEP_1)
	v_clz_i32_u32_e32 v44, v44
	v_min_u32_e32 v44, 32, v44
	v_lshrrev_b32_e32 v46, 3, v45
	s_delay_alu instid0(VALU_DEP_2) | instskip(SKIP_1) | instid1(VALU_DEP_1)
	v_subrev_nc_u32_e32 v47, 28, v44
	v_sub_nc_u32_e32 v44, 29, v44
	v_dual_cndmask_b32 v46, v46, v44, s3 :: v_dual_cndmask_b32 v44, 0, v47, s3
	s_delay_alu instid0(VALU_DEP_1) | instskip(NEXT) | instid1(VALU_DEP_2)
	v_lshl_add_u32 v46, v46, 23, 0x3c000000
	v_lshlrev_b64_e32 v[44:45], v44, v[2:3]
	v_lshlrev_b32_e32 v45, 24, v2
	s_delay_alu instid0(VALU_DEP_1) | instskip(NEXT) | instid1(VALU_DEP_3)
	v_and_b32_e32 v45, 0x80000000, v45
	v_lshlrev_b32_e32 v44, 20, v44
	s_delay_alu instid0(VALU_DEP_1) | instskip(NEXT) | instid1(VALU_DEP_1)
	v_and_b32_e32 v44, 0x700000, v44
	v_or3_b32 v44, v44, v45, v46
.LBB359_44:                             ;   in Loop: Header=BB359_10 Depth=1
	s_or_b32 exec_lo, exec_lo, s31
.LBB359_45:                             ;   in Loop: Header=BB359_10 Depth=1
	s_delay_alu instid0(SALU_CYCLE_1)
	s_or_b32 exec_lo, exec_lo, s30
.LBB359_46:                             ;   in Loop: Header=BB359_10 Depth=1
	s_delay_alu instid0(SALU_CYCLE_1) | instskip(SKIP_3) | instid1(VALU_DEP_2)
	s_or_b32 exec_lo, exec_lo, s29
	v_lshrrev_b16 v47, 8, v2
	v_dual_mov_b32 v46, 0 :: v_dual_mov_b32 v45, 0
	s_mov_b32 s29, exec_lo
	v_cmpx_ne_u16_e32 0, v47
	s_cbranch_execz .LBB359_54
; %bb.47:                               ;   in Loop: Header=BB359_10 Depth=1
	v_bfrev_b32_e32 v45, 1
	s_mov_b32 s30, exec_lo
	v_cmpx_ne_u16_e32 0x80, v47
	s_cbranch_execz .LBB359_53
; %bb.48:                               ;   in Loop: Header=BB359_10 Depth=1
	v_and_b32_e32 v52, 0xffff, v47
	v_mov_b32_e32 v45, 0x7f800001
	s_mov_b32 s31, exec_lo
	s_delay_alu instid0(VALU_DEP_2) | instskip(NEXT) | instid1(VALU_DEP_1)
	v_and_b32_e32 v47, 0x7f, v52
	v_cmpx_ne_u32_e32 0x7f, v47
	s_cbranch_execz .LBB359_52
; %bb.49:                               ;   in Loop: Header=BB359_10 Depth=1
	v_dual_mov_b32 v53, v3 :: v_dual_bitop2_b32 v52, 7, v52 bitop3:0x40
	v_lshrrev_b32_e32 v45, 3, v47
	s_mov_b32 s33, exec_lo
	v_cmpx_gt_u32_e32 8, v47
; %bb.50:                               ;   in Loop: Header=BB359_10 Depth=1
	s_delay_alu instid0(VALU_DEP_3) | instskip(NEXT) | instid1(VALU_DEP_1)
	v_clz_i32_u32_e32 v45, v52
	v_min_u32_e32 v45, 32, v45
	s_delay_alu instid0(VALU_DEP_1) | instskip(NEXT) | instid1(VALU_DEP_1)
	v_subrev_nc_u32_e32 v47, 28, v45
	v_lshlrev_b64_e32 v[52:53], v47, v[52:53]
	s_delay_alu instid0(VALU_DEP_1)
	v_dual_sub_nc_u32 v45, 29, v45 :: v_dual_bitop2_b32 v52, 7, v52 bitop3:0x40
; %bb.51:                               ;   in Loop: Header=BB359_10 Depth=1
	s_or_b32 exec_lo, exec_lo, s33
	s_delay_alu instid0(VALU_DEP_1) | instskip(NEXT) | instid1(VALU_DEP_2)
	v_dual_lshlrev_b32 v2, 16, v2 :: v_dual_lshlrev_b32 v47, 20, v52
	v_lshl_add_u32 v45, v45, 23, 0x3c000000
	s_delay_alu instid0(VALU_DEP_2) | instskip(NEXT) | instid1(VALU_DEP_1)
	v_and_b32_e32 v2, 0x80000000, v2
	v_or3_b32 v45, v47, v2, v45
.LBB359_52:                             ;   in Loop: Header=BB359_10 Depth=1
	s_or_b32 exec_lo, exec_lo, s31
.LBB359_53:                             ;   in Loop: Header=BB359_10 Depth=1
	s_delay_alu instid0(SALU_CYCLE_1)
	s_or_b32 exec_lo, exec_lo, s30
.LBB359_54:                             ;   in Loop: Header=BB359_10 Depth=1
	s_delay_alu instid0(SALU_CYCLE_1) | instskip(SKIP_2) | instid1(VALU_DEP_1)
	s_or_b32 exec_lo, exec_lo, s29
	v_lshrrev_b32_e32 v47, 16, v49
	s_mov_b32 s29, exec_lo
	v_and_b32_e32 v2, 0xff, v47
	s_delay_alu instid0(VALU_DEP_1)
	v_cmpx_ne_u16_e32 0, v2
	s_cbranch_execz .LBB359_62
; %bb.55:                               ;   in Loop: Header=BB359_10 Depth=1
	v_bfrev_b32_e32 v46, 1
	s_mov_b32 s30, exec_lo
	v_cmpx_ne_u16_e32 0x80, v2
	s_cbranch_execz .LBB359_61
; %bb.56:                               ;   in Loop: Header=BB359_10 Depth=1
	v_bfe_u32 v52, v49, 16, 7
	v_mov_b32_e32 v46, 0x7f800001
	s_mov_b32 s31, exec_lo
	s_delay_alu instid0(VALU_DEP_2)
	v_cmpx_ne_u32_e32 0x7f, v52
	s_cbranch_execz .LBB359_60
; %bb.57:                               ;   in Loop: Header=BB359_10 Depth=1
	v_dual_lshrrev_b32 v46, 3, v52 :: v_dual_bitop2_b32 v2, 7, v47 bitop3:0x40
	s_mov_b32 s33, exec_lo
	v_cmpx_gt_u32_e32 8, v52
; %bb.58:                               ;   in Loop: Header=BB359_10 Depth=1
	s_delay_alu instid0(VALU_DEP_2) | instskip(NEXT) | instid1(VALU_DEP_1)
	v_clz_i32_u32_e32 v46, v2
	v_min_u32_e32 v46, 32, v46
	s_delay_alu instid0(VALU_DEP_1) | instskip(NEXT) | instid1(VALU_DEP_1)
	v_subrev_nc_u32_e32 v52, 28, v46
	v_lshlrev_b64_e32 v[52:53], v52, v[2:3]
	s_delay_alu instid0(VALU_DEP_1)
	v_dual_sub_nc_u32 v46, 29, v46 :: v_dual_bitop2_b32 v2, 7, v52 bitop3:0x40
; %bb.59:                               ;   in Loop: Header=BB359_10 Depth=1
	s_or_b32 exec_lo, exec_lo, s33
	s_delay_alu instid0(VALU_DEP_1) | instskip(NEXT) | instid1(VALU_DEP_2)
	v_dual_lshlrev_b32 v47, 24, v47 :: v_dual_lshlrev_b32 v2, 20, v2
	v_lshl_add_u32 v46, v46, 23, 0x3c000000
	s_delay_alu instid0(VALU_DEP_2) | instskip(NEXT) | instid1(VALU_DEP_1)
	v_and_b32_e32 v47, 0x80000000, v47
	v_or3_b32 v46, v2, v47, v46
.LBB359_60:                             ;   in Loop: Header=BB359_10 Depth=1
	s_or_b32 exec_lo, exec_lo, s31
.LBB359_61:                             ;   in Loop: Header=BB359_10 Depth=1
	s_delay_alu instid0(SALU_CYCLE_1)
	s_or_b32 exec_lo, exec_lo, s30
.LBB359_62:                             ;   in Loop: Header=BB359_10 Depth=1
	s_delay_alu instid0(SALU_CYCLE_1)
	s_or_b32 exec_lo, exec_lo, s29
	v_cmp_lt_u64_e64 s3, s[20:21], v[48:49]
	v_dual_mov_b32 v48, 0 :: v_dual_mov_b32 v47, 0
	s_and_saveexec_b32 s29, s3
	s_cbranch_execz .LBB359_70
; %bb.63:                               ;   in Loop: Header=BB359_10 Depth=1
	v_lshrrev_b32_e32 v52, 24, v49
	v_bfrev_b32_e32 v47, 1
	s_mov_b32 s30, exec_lo
	s_delay_alu instid0(VALU_DEP_2)
	v_cmpx_ne_u32_e32 0x80, v52
	s_cbranch_execz .LBB359_69
; %bb.64:                               ;   in Loop: Header=BB359_10 Depth=1
	v_bfe_u32 v49, v49, 24, 7
	v_mov_b32_e32 v47, 0x7f800001
	s_mov_b32 s31, exec_lo
	s_delay_alu instid0(VALU_DEP_2)
	v_cmpx_ne_u32_e32 0x7f, v49
	s_cbranch_execz .LBB359_68
; %bb.65:                               ;   in Loop: Header=BB359_10 Depth=1
	v_dual_lshrrev_b32 v47, 3, v49 :: v_dual_bitop2_b32 v2, 7, v52 bitop3:0x40
	s_mov_b32 s33, exec_lo
	v_cmpx_gt_u32_e32 8, v49
; %bb.66:                               ;   in Loop: Header=BB359_10 Depth=1
	s_delay_alu instid0(VALU_DEP_2) | instskip(NEXT) | instid1(VALU_DEP_1)
	v_clz_i32_u32_e32 v47, v2
	v_min_u32_e32 v47, 32, v47
	s_delay_alu instid0(VALU_DEP_1) | instskip(NEXT) | instid1(VALU_DEP_1)
	v_subrev_nc_u32_e32 v49, 28, v47
	v_lshlrev_b64_e32 v[54:55], v49, v[2:3]
	s_delay_alu instid0(VALU_DEP_1)
	v_dual_sub_nc_u32 v47, 29, v47 :: v_dual_bitop2_b32 v2, 7, v54 bitop3:0x40
; %bb.67:                               ;   in Loop: Header=BB359_10 Depth=1
	s_or_b32 exec_lo, exec_lo, s33
	s_delay_alu instid0(VALU_DEP_1) | instskip(NEXT) | instid1(VALU_DEP_2)
	v_dual_lshlrev_b32 v49, 24, v52 :: v_dual_lshlrev_b32 v2, 20, v2
	v_lshl_add_u32 v47, v47, 23, 0x3c000000
	s_delay_alu instid0(VALU_DEP_2) | instskip(NEXT) | instid1(VALU_DEP_1)
	v_and_b32_e32 v49, 0x80000000, v49
	v_or3_b32 v47, v2, v49, v47
.LBB359_68:                             ;   in Loop: Header=BB359_10 Depth=1
	s_or_b32 exec_lo, exec_lo, s31
.LBB359_69:                             ;   in Loop: Header=BB359_10 Depth=1
	s_delay_alu instid0(SALU_CYCLE_1)
	s_or_b32 exec_lo, exec_lo, s30
.LBB359_70:                             ;   in Loop: Header=BB359_10 Depth=1
	s_delay_alu instid0(SALU_CYCLE_1)
	s_or_b32 exec_lo, exec_lo, s29
	global_load_b64 v[58:59], v[50:51], off offset:8
	s_mov_b32 s29, exec_lo
	s_wait_loadcnt 0x0
	v_and_b32_e32 v2, 0xff, v58
	s_wait_xcnt 0x0
	s_delay_alu instid0(VALU_DEP_1)
	v_cmpx_ne_u16_e32 0, v2
	s_cbranch_execz .LBB359_76
; %bb.71:                               ;   in Loop: Header=BB359_10 Depth=1
	v_bfrev_b32_e32 v48, 1
	s_mov_b32 s30, exec_lo
	v_cmpx_ne_u16_e32 0x80, v2
	s_cbranch_execz .LBB359_75
; %bb.72:                               ;   in Loop: Header=BB359_10 Depth=1
	v_and_b32_e32 v2, 0x7f, v58
	v_mov_b32_e32 v48, 0x7f800001
	s_mov_b32 s31, exec_lo
	s_delay_alu instid0(VALU_DEP_2)
	v_cmpx_ne_u32_e32 0x7f, v2
	s_cbranch_execz .LBB359_74
; %bb.73:                               ;   in Loop: Header=BB359_10 Depth=1
	v_and_b32_e32 v48, 7, v58
	v_cmp_gt_u32_e64 s3, 8, v2
	s_delay_alu instid0(VALU_DEP_2) | instskip(NEXT) | instid1(VALU_DEP_1)
	v_clz_i32_u32_e32 v48, v48
	v_min_u32_e32 v48, 32, v48
	v_lshrrev_b32_e32 v49, 3, v2
	s_delay_alu instid0(VALU_DEP_2) | instskip(SKIP_1) | instid1(VALU_DEP_1)
	v_subrev_nc_u32_e32 v52, 28, v48
	v_sub_nc_u32_e32 v48, 29, v48
	v_cndmask_b32_e64 v2, v49, v48, s3
	s_delay_alu instid0(VALU_DEP_3) | instskip(NEXT) | instid1(VALU_DEP_1)
	v_cndmask_b32_e64 v48, 0, v52, s3
	v_lshlrev_b64_e32 v[48:49], v48, v[58:59]
	v_lshlrev_b32_e32 v49, 24, v58
	s_delay_alu instid0(VALU_DEP_1) | instskip(NEXT) | instid1(VALU_DEP_3)
	v_and_b32_e32 v49, 0x80000000, v49
	v_lshlrev_b32_e32 v48, 20, v48
	v_lshl_add_u32 v2, v2, 23, 0x3c000000
	s_delay_alu instid0(VALU_DEP_2) | instskip(NEXT) | instid1(VALU_DEP_1)
	v_and_b32_e32 v48, 0x700000, v48
	v_or3_b32 v48, v48, v49, v2
.LBB359_74:                             ;   in Loop: Header=BB359_10 Depth=1
	s_or_b32 exec_lo, exec_lo, s31
.LBB359_75:                             ;   in Loop: Header=BB359_10 Depth=1
	s_delay_alu instid0(SALU_CYCLE_1)
	s_or_b32 exec_lo, exec_lo, s30
.LBB359_76:                             ;   in Loop: Header=BB359_10 Depth=1
	s_delay_alu instid0(SALU_CYCLE_1) | instskip(SKIP_3) | instid1(VALU_DEP_2)
	s_or_b32 exec_lo, exec_lo, s29
	v_lshrrev_b16 v2, 8, v58
	v_dual_mov_b32 v52, 0 :: v_dual_mov_b32 v49, 0
	s_mov_b32 s29, exec_lo
	v_cmpx_ne_u16_e32 0, v2
	s_cbranch_execz .LBB359_84
; %bb.77:                               ;   in Loop: Header=BB359_10 Depth=1
	v_bfrev_b32_e32 v49, 1
	s_mov_b32 s30, exec_lo
	v_cmpx_ne_u16_e32 0x80, v2
	s_cbranch_execz .LBB359_83
; %bb.78:                               ;   in Loop: Header=BB359_10 Depth=1
	v_and_b32_e32 v2, 0xffff, v2
	v_mov_b32_e32 v49, 0x7f800001
	s_mov_b32 s31, exec_lo
	s_delay_alu instid0(VALU_DEP_2) | instskip(NEXT) | instid1(VALU_DEP_1)
	v_and_b32_e32 v53, 0x7f, v2
	v_cmpx_ne_u32_e32 0x7f, v53
	s_cbranch_execz .LBB359_82
; %bb.79:                               ;   in Loop: Header=BB359_10 Depth=1
	v_dual_lshrrev_b32 v49, 3, v53 :: v_dual_bitop2_b32 v2, 7, v2 bitop3:0x40
	s_mov_b32 s33, exec_lo
	v_cmpx_gt_u32_e32 8, v53
; %bb.80:                               ;   in Loop: Header=BB359_10 Depth=1
	s_delay_alu instid0(VALU_DEP_2) | instskip(NEXT) | instid1(VALU_DEP_1)
	v_clz_i32_u32_e32 v49, v2
	v_min_u32_e32 v49, 32, v49
	s_delay_alu instid0(VALU_DEP_1) | instskip(NEXT) | instid1(VALU_DEP_1)
	v_subrev_nc_u32_e32 v53, 28, v49
	v_lshlrev_b64_e32 v[54:55], v53, v[2:3]
	s_delay_alu instid0(VALU_DEP_1)
	v_dual_sub_nc_u32 v49, 29, v49 :: v_dual_bitop2_b32 v2, 7, v54 bitop3:0x40
; %bb.81:                               ;   in Loop: Header=BB359_10 Depth=1
	s_or_b32 exec_lo, exec_lo, s33
	v_lshlrev_b32_e32 v53, 16, v58
	s_delay_alu instid0(VALU_DEP_2) | instskip(NEXT) | instid1(VALU_DEP_3)
	v_lshlrev_b32_e32 v2, 20, v2
	v_lshl_add_u32 v49, v49, 23, 0x3c000000
	s_delay_alu instid0(VALU_DEP_3) | instskip(NEXT) | instid1(VALU_DEP_1)
	v_and_b32_e32 v53, 0x80000000, v53
	v_or3_b32 v49, v2, v53, v49
.LBB359_82:                             ;   in Loop: Header=BB359_10 Depth=1
	s_or_b32 exec_lo, exec_lo, s31
.LBB359_83:                             ;   in Loop: Header=BB359_10 Depth=1
	s_delay_alu instid0(SALU_CYCLE_1)
	s_or_b32 exec_lo, exec_lo, s30
.LBB359_84:                             ;   in Loop: Header=BB359_10 Depth=1
	s_delay_alu instid0(SALU_CYCLE_1) | instskip(SKIP_2) | instid1(VALU_DEP_1)
	s_or_b32 exec_lo, exec_lo, s29
	v_lshrrev_b32_e32 v53, 16, v58
	s_mov_b32 s29, exec_lo
	v_and_b32_e32 v2, 0xff, v53
	s_delay_alu instid0(VALU_DEP_1)
	v_cmpx_ne_u16_e32 0, v2
	s_cbranch_execz .LBB359_92
; %bb.85:                               ;   in Loop: Header=BB359_10 Depth=1
	v_bfrev_b32_e32 v52, 1
	s_mov_b32 s30, exec_lo
	v_cmpx_ne_u16_e32 0x80, v2
	s_cbranch_execz .LBB359_91
; %bb.86:                               ;   in Loop: Header=BB359_10 Depth=1
	v_bfe_u32 v54, v58, 16, 7
	v_mov_b32_e32 v52, 0x7f800001
	s_mov_b32 s31, exec_lo
	s_delay_alu instid0(VALU_DEP_2)
	v_cmpx_ne_u32_e32 0x7f, v54
	s_cbranch_execz .LBB359_90
; %bb.87:                               ;   in Loop: Header=BB359_10 Depth=1
	v_dual_lshrrev_b32 v52, 3, v54 :: v_dual_bitop2_b32 v2, 7, v53 bitop3:0x40
	s_mov_b32 s33, exec_lo
	v_cmpx_gt_u32_e32 8, v54
; %bb.88:                               ;   in Loop: Header=BB359_10 Depth=1
	s_delay_alu instid0(VALU_DEP_2) | instskip(NEXT) | instid1(VALU_DEP_1)
	v_clz_i32_u32_e32 v52, v2
	v_min_u32_e32 v52, 32, v52
	s_delay_alu instid0(VALU_DEP_1) | instskip(NEXT) | instid1(VALU_DEP_1)
	v_subrev_nc_u32_e32 v54, 28, v52
	v_lshlrev_b64_e32 v[54:55], v54, v[2:3]
	s_delay_alu instid0(VALU_DEP_1)
	v_dual_sub_nc_u32 v52, 29, v52 :: v_dual_bitop2_b32 v2, 7, v54 bitop3:0x40
; %bb.89:                               ;   in Loop: Header=BB359_10 Depth=1
	s_or_b32 exec_lo, exec_lo, s33
	s_delay_alu instid0(VALU_DEP_1) | instskip(NEXT) | instid1(VALU_DEP_2)
	v_dual_lshlrev_b32 v53, 24, v53 :: v_dual_lshlrev_b32 v2, 20, v2
	v_lshl_add_u32 v52, v52, 23, 0x3c000000
	s_delay_alu instid0(VALU_DEP_2) | instskip(NEXT) | instid1(VALU_DEP_1)
	v_and_b32_e32 v53, 0x80000000, v53
	v_or3_b32 v52, v2, v53, v52
.LBB359_90:                             ;   in Loop: Header=BB359_10 Depth=1
	s_or_b32 exec_lo, exec_lo, s31
.LBB359_91:                             ;   in Loop: Header=BB359_10 Depth=1
	s_delay_alu instid0(SALU_CYCLE_1)
	s_or_b32 exec_lo, exec_lo, s30
.LBB359_92:                             ;   in Loop: Header=BB359_10 Depth=1
	s_delay_alu instid0(SALU_CYCLE_1)
	s_or_b32 exec_lo, exec_lo, s29
	v_dual_mov_b32 v54, 0 :: v_dual_mov_b32 v53, 0
	s_mov_b32 s29, exec_lo
	v_cmpx_lt_u32_e32 0xffffff, v58
	s_cbranch_execz .LBB359_100
; %bb.93:                               ;   in Loop: Header=BB359_10 Depth=1
	v_lshrrev_b32_e32 v55, 24, v58
	v_bfrev_b32_e32 v53, 1
	s_mov_b32 s30, exec_lo
	s_delay_alu instid0(VALU_DEP_2)
	v_cmpx_ne_u32_e32 0x80, v55
	s_cbranch_execz .LBB359_99
; %bb.94:                               ;   in Loop: Header=BB359_10 Depth=1
	v_bfe_u32 v56, v58, 24, 7
	v_mov_b32_e32 v53, 0x7f800001
	s_mov_b32 s31, exec_lo
	s_delay_alu instid0(VALU_DEP_2)
	v_cmpx_ne_u32_e32 0x7f, v56
	s_cbranch_execz .LBB359_98
; %bb.95:                               ;   in Loop: Header=BB359_10 Depth=1
	v_dual_lshrrev_b32 v53, 3, v56 :: v_dual_bitop2_b32 v2, 7, v55 bitop3:0x40
	s_mov_b32 s33, exec_lo
	v_cmpx_gt_u32_e32 8, v56
; %bb.96:                               ;   in Loop: Header=BB359_10 Depth=1
	s_delay_alu instid0(VALU_DEP_2) | instskip(NEXT) | instid1(VALU_DEP_1)
	v_clz_i32_u32_e32 v53, v2
	v_min_u32_e32 v53, 32, v53
	s_delay_alu instid0(VALU_DEP_1) | instskip(NEXT) | instid1(VALU_DEP_1)
	v_subrev_nc_u32_e32 v56, 28, v53
	v_lshlrev_b64_e32 v[56:57], v56, v[2:3]
	s_delay_alu instid0(VALU_DEP_1)
	v_dual_sub_nc_u32 v53, 29, v53 :: v_dual_bitop2_b32 v2, 7, v56 bitop3:0x40
; %bb.97:                               ;   in Loop: Header=BB359_10 Depth=1
	s_or_b32 exec_lo, exec_lo, s33
	s_delay_alu instid0(VALU_DEP_1) | instskip(NEXT) | instid1(VALU_DEP_2)
	v_dual_lshlrev_b32 v55, 24, v55 :: v_dual_lshlrev_b32 v2, 20, v2
	v_lshl_add_u32 v53, v53, 23, 0x3c000000
	s_delay_alu instid0(VALU_DEP_2) | instskip(NEXT) | instid1(VALU_DEP_1)
	v_and_b32_e32 v55, 0x80000000, v55
	v_or3_b32 v53, v2, v55, v53
.LBB359_98:                             ;   in Loop: Header=BB359_10 Depth=1
	s_or_b32 exec_lo, exec_lo, s31
.LBB359_99:                             ;   in Loop: Header=BB359_10 Depth=1
	s_delay_alu instid0(SALU_CYCLE_1)
	s_or_b32 exec_lo, exec_lo, s30
.LBB359_100:                            ;   in Loop: Header=BB359_10 Depth=1
	s_delay_alu instid0(SALU_CYCLE_1) | instskip(SKIP_3) | instid1(VALU_DEP_2)
	s_or_b32 exec_lo, exec_lo, s29
	v_and_b32_e32 v55, 0xff, v59
	v_mov_b32_e32 v2, v59
	s_mov_b32 s29, exec_lo
	v_cmpx_ne_u16_e32 0, v55
	s_cbranch_execz .LBB359_106
; %bb.101:                              ;   in Loop: Header=BB359_10 Depth=1
	v_bfrev_b32_e32 v54, 1
	s_mov_b32 s30, exec_lo
	v_cmpx_ne_u16_e32 0x80, v55
	s_cbranch_execz .LBB359_105
; %bb.102:                              ;   in Loop: Header=BB359_10 Depth=1
	v_and_b32_e32 v55, 0x7f, v59
	v_mov_b32_e32 v54, 0x7f800001
	s_mov_b32 s31, exec_lo
	s_delay_alu instid0(VALU_DEP_2)
	v_cmpx_ne_u32_e32 0x7f, v55
	s_cbranch_execz .LBB359_104
; %bb.103:                              ;   in Loop: Header=BB359_10 Depth=1
	v_and_b32_e32 v54, 7, v59
	v_cmp_gt_u32_e64 s3, 8, v55
	s_delay_alu instid0(VALU_DEP_2) | instskip(NEXT) | instid1(VALU_DEP_1)
	v_clz_i32_u32_e32 v54, v54
	v_min_u32_e32 v54, 32, v54
	v_lshrrev_b32_e32 v56, 3, v55
	s_delay_alu instid0(VALU_DEP_2) | instskip(SKIP_1) | instid1(VALU_DEP_1)
	v_subrev_nc_u32_e32 v57, 28, v54
	v_sub_nc_u32_e32 v54, 29, v54
	v_dual_cndmask_b32 v56, v56, v54, s3 :: v_dual_cndmask_b32 v54, 0, v57, s3
	s_delay_alu instid0(VALU_DEP_1) | instskip(NEXT) | instid1(VALU_DEP_2)
	v_lshl_add_u32 v56, v56, 23, 0x3c000000
	v_lshlrev_b64_e32 v[54:55], v54, v[2:3]
	v_lshlrev_b32_e32 v55, 24, v2
	s_delay_alu instid0(VALU_DEP_1) | instskip(NEXT) | instid1(VALU_DEP_3)
	v_and_b32_e32 v55, 0x80000000, v55
	v_lshlrev_b32_e32 v54, 20, v54
	s_delay_alu instid0(VALU_DEP_1) | instskip(NEXT) | instid1(VALU_DEP_1)
	v_and_b32_e32 v54, 0x700000, v54
	v_or3_b32 v54, v54, v55, v56
.LBB359_104:                            ;   in Loop: Header=BB359_10 Depth=1
	s_or_b32 exec_lo, exec_lo, s31
.LBB359_105:                            ;   in Loop: Header=BB359_10 Depth=1
	s_delay_alu instid0(SALU_CYCLE_1)
	s_or_b32 exec_lo, exec_lo, s30
.LBB359_106:                            ;   in Loop: Header=BB359_10 Depth=1
	s_delay_alu instid0(SALU_CYCLE_1) | instskip(SKIP_3) | instid1(VALU_DEP_2)
	s_or_b32 exec_lo, exec_lo, s29
	v_lshrrev_b16 v57, 8, v2
	v_dual_mov_b32 v56, 0 :: v_dual_mov_b32 v55, 0
	s_mov_b32 s29, exec_lo
	v_cmpx_ne_u16_e32 0, v57
	s_cbranch_execz .LBB359_114
; %bb.107:                              ;   in Loop: Header=BB359_10 Depth=1
	v_bfrev_b32_e32 v55, 1
	s_mov_b32 s30, exec_lo
	v_cmpx_ne_u16_e32 0x80, v57
	s_cbranch_execz .LBB359_113
; %bb.108:                              ;   in Loop: Header=BB359_10 Depth=1
	v_and_b32_e32 v60, 0xffff, v57
	v_mov_b32_e32 v55, 0x7f800001
	s_mov_b32 s31, exec_lo
	s_delay_alu instid0(VALU_DEP_2) | instskip(NEXT) | instid1(VALU_DEP_1)
	v_and_b32_e32 v57, 0x7f, v60
	v_cmpx_ne_u32_e32 0x7f, v57
	s_cbranch_execz .LBB359_112
; %bb.109:                              ;   in Loop: Header=BB359_10 Depth=1
	v_dual_mov_b32 v61, v3 :: v_dual_bitop2_b32 v60, 7, v60 bitop3:0x40
	v_lshrrev_b32_e32 v55, 3, v57
	s_mov_b32 s33, exec_lo
	v_cmpx_gt_u32_e32 8, v57
; %bb.110:                              ;   in Loop: Header=BB359_10 Depth=1
	s_delay_alu instid0(VALU_DEP_3) | instskip(NEXT) | instid1(VALU_DEP_1)
	v_clz_i32_u32_e32 v55, v60
	v_min_u32_e32 v55, 32, v55
	s_delay_alu instid0(VALU_DEP_1) | instskip(NEXT) | instid1(VALU_DEP_1)
	v_subrev_nc_u32_e32 v57, 28, v55
	v_lshlrev_b64_e32 v[60:61], v57, v[60:61]
	s_delay_alu instid0(VALU_DEP_1)
	v_dual_sub_nc_u32 v55, 29, v55 :: v_dual_bitop2_b32 v60, 7, v60 bitop3:0x40
; %bb.111:                              ;   in Loop: Header=BB359_10 Depth=1
	s_or_b32 exec_lo, exec_lo, s33
	s_delay_alu instid0(VALU_DEP_1) | instskip(NEXT) | instid1(VALU_DEP_2)
	v_dual_lshlrev_b32 v2, 16, v2 :: v_dual_lshlrev_b32 v57, 20, v60
	v_lshl_add_u32 v55, v55, 23, 0x3c000000
	s_delay_alu instid0(VALU_DEP_2) | instskip(NEXT) | instid1(VALU_DEP_1)
	v_and_b32_e32 v2, 0x80000000, v2
	v_or3_b32 v55, v57, v2, v55
.LBB359_112:                            ;   in Loop: Header=BB359_10 Depth=1
	s_or_b32 exec_lo, exec_lo, s31
.LBB359_113:                            ;   in Loop: Header=BB359_10 Depth=1
	s_delay_alu instid0(SALU_CYCLE_1)
	s_or_b32 exec_lo, exec_lo, s30
.LBB359_114:                            ;   in Loop: Header=BB359_10 Depth=1
	s_delay_alu instid0(SALU_CYCLE_1) | instskip(SKIP_2) | instid1(VALU_DEP_1)
	s_or_b32 exec_lo, exec_lo, s29
	v_lshrrev_b32_e32 v57, 16, v59
	s_mov_b32 s29, exec_lo
	v_and_b32_e32 v2, 0xff, v57
	s_delay_alu instid0(VALU_DEP_1)
	v_cmpx_ne_u16_e32 0, v2
	s_cbranch_execz .LBB359_122
; %bb.115:                              ;   in Loop: Header=BB359_10 Depth=1
	v_bfrev_b32_e32 v56, 1
	s_mov_b32 s30, exec_lo
	v_cmpx_ne_u16_e32 0x80, v2
	s_cbranch_execz .LBB359_121
; %bb.116:                              ;   in Loop: Header=BB359_10 Depth=1
	v_bfe_u32 v60, v59, 16, 7
	v_mov_b32_e32 v56, 0x7f800001
	s_mov_b32 s31, exec_lo
	s_delay_alu instid0(VALU_DEP_2)
	v_cmpx_ne_u32_e32 0x7f, v60
	s_cbranch_execz .LBB359_120
; %bb.117:                              ;   in Loop: Header=BB359_10 Depth=1
	v_dual_lshrrev_b32 v56, 3, v60 :: v_dual_bitop2_b32 v2, 7, v57 bitop3:0x40
	s_mov_b32 s33, exec_lo
	v_cmpx_gt_u32_e32 8, v60
; %bb.118:                              ;   in Loop: Header=BB359_10 Depth=1
	s_delay_alu instid0(VALU_DEP_2) | instskip(NEXT) | instid1(VALU_DEP_1)
	v_clz_i32_u32_e32 v56, v2
	v_min_u32_e32 v56, 32, v56
	s_delay_alu instid0(VALU_DEP_1) | instskip(SKIP_1) | instid1(VALU_DEP_2)
	v_subrev_nc_u32_e32 v60, 28, v56
	v_sub_nc_u32_e32 v56, 29, v56
	v_lshlrev_b64_e32 v[60:61], v60, v[2:3]
	s_delay_alu instid0(VALU_DEP_1)
	v_and_b32_e32 v2, 7, v60
; %bb.119:                              ;   in Loop: Header=BB359_10 Depth=1
	s_or_b32 exec_lo, exec_lo, s33
	s_delay_alu instid0(VALU_DEP_1) | instskip(SKIP_1) | instid1(VALU_DEP_2)
	v_dual_lshlrev_b32 v57, 24, v57 :: v_dual_lshlrev_b32 v2, 20, v2
	v_lshl_add_u32 v56, v56, 23, 0x3c000000
	v_and_b32_e32 v57, 0x80000000, v57
	s_delay_alu instid0(VALU_DEP_1)
	v_or3_b32 v56, v2, v57, v56
.LBB359_120:                            ;   in Loop: Header=BB359_10 Depth=1
	s_or_b32 exec_lo, exec_lo, s31
.LBB359_121:                            ;   in Loop: Header=BB359_10 Depth=1
	s_delay_alu instid0(SALU_CYCLE_1)
	s_or_b32 exec_lo, exec_lo, s30
.LBB359_122:                            ;   in Loop: Header=BB359_10 Depth=1
	s_delay_alu instid0(SALU_CYCLE_1)
	s_or_b32 exec_lo, exec_lo, s29
	v_cmp_lt_u64_e64 s3, s[20:21], v[58:59]
	v_dual_mov_b32 v58, 0 :: v_dual_mov_b32 v57, 0
	s_and_saveexec_b32 s29, s3
	s_cbranch_execz .LBB359_130
; %bb.123:                              ;   in Loop: Header=BB359_10 Depth=1
	v_lshrrev_b32_e32 v60, 24, v59
	v_bfrev_b32_e32 v57, 1
	s_mov_b32 s30, exec_lo
	s_delay_alu instid0(VALU_DEP_2)
	v_cmpx_ne_u32_e32 0x80, v60
	s_cbranch_execz .LBB359_129
; %bb.124:                              ;   in Loop: Header=BB359_10 Depth=1
	v_bfe_u32 v59, v59, 24, 7
	v_mov_b32_e32 v57, 0x7f800001
	s_mov_b32 s31, exec_lo
	s_delay_alu instid0(VALU_DEP_2)
	v_cmpx_ne_u32_e32 0x7f, v59
	s_cbranch_execz .LBB359_128
; %bb.125:                              ;   in Loop: Header=BB359_10 Depth=1
	v_dual_lshrrev_b32 v57, 3, v59 :: v_dual_bitop2_b32 v2, 7, v60 bitop3:0x40
	s_mov_b32 s33, exec_lo
	v_cmpx_gt_u32_e32 8, v59
; %bb.126:                              ;   in Loop: Header=BB359_10 Depth=1
	s_delay_alu instid0(VALU_DEP_2) | instskip(NEXT) | instid1(VALU_DEP_1)
	v_clz_i32_u32_e32 v57, v2
	v_min_u32_e32 v57, 32, v57
	s_delay_alu instid0(VALU_DEP_1) | instskip(NEXT) | instid1(VALU_DEP_1)
	v_subrev_nc_u32_e32 v59, 28, v57
	v_lshlrev_b64_e32 v[62:63], v59, v[2:3]
	s_delay_alu instid0(VALU_DEP_1)
	v_dual_sub_nc_u32 v57, 29, v57 :: v_dual_bitop2_b32 v2, 7, v62 bitop3:0x40
; %bb.127:                              ;   in Loop: Header=BB359_10 Depth=1
	s_or_b32 exec_lo, exec_lo, s33
	s_delay_alu instid0(VALU_DEP_1) | instskip(NEXT) | instid1(VALU_DEP_2)
	v_dual_lshlrev_b32 v59, 24, v60 :: v_dual_lshlrev_b32 v2, 20, v2
	v_lshl_add_u32 v57, v57, 23, 0x3c000000
	s_delay_alu instid0(VALU_DEP_2) | instskip(NEXT) | instid1(VALU_DEP_1)
	v_and_b32_e32 v59, 0x80000000, v59
	v_or3_b32 v57, v2, v59, v57
.LBB359_128:                            ;   in Loop: Header=BB359_10 Depth=1
	s_or_b32 exec_lo, exec_lo, s31
.LBB359_129:                            ;   in Loop: Header=BB359_10 Depth=1
	s_delay_alu instid0(SALU_CYCLE_1)
	s_or_b32 exec_lo, exec_lo, s30
.LBB359_130:                            ;   in Loop: Header=BB359_10 Depth=1
	s_delay_alu instid0(SALU_CYCLE_1)
	s_or_b32 exec_lo, exec_lo, s29
	global_load_b64 v[66:67], v[50:51], off offset:512
	s_mov_b32 s29, exec_lo
	s_wait_loadcnt 0x0
	v_and_b32_e32 v2, 0xff, v66
	s_wait_xcnt 0x0
	s_delay_alu instid0(VALU_DEP_1)
	v_cmpx_ne_u16_e32 0, v2
	s_cbranch_execz .LBB359_136
; %bb.131:                              ;   in Loop: Header=BB359_10 Depth=1
	v_bfrev_b32_e32 v58, 1
	s_mov_b32 s30, exec_lo
	v_cmpx_ne_u16_e32 0x80, v2
	s_cbranch_execz .LBB359_135
; %bb.132:                              ;   in Loop: Header=BB359_10 Depth=1
	v_and_b32_e32 v2, 0x7f, v66
	v_mov_b32_e32 v58, 0x7f800001
	s_mov_b32 s31, exec_lo
	s_delay_alu instid0(VALU_DEP_2)
	v_cmpx_ne_u32_e32 0x7f, v2
	s_cbranch_execz .LBB359_134
; %bb.133:                              ;   in Loop: Header=BB359_10 Depth=1
	v_and_b32_e32 v58, 7, v66
	v_cmp_gt_u32_e64 s3, 8, v2
	s_delay_alu instid0(VALU_DEP_2) | instskip(NEXT) | instid1(VALU_DEP_1)
	v_clz_i32_u32_e32 v58, v58
	v_min_u32_e32 v58, 32, v58
	s_delay_alu instid0(VALU_DEP_1) | instskip(SKIP_2) | instid1(VALU_DEP_1)
	v_subrev_nc_u32_e32 v60, 28, v58
	v_lshrrev_b32_e32 v59, 3, v2
	v_sub_nc_u32_e32 v58, 29, v58
	v_dual_cndmask_b32 v2, v59, v58, s3 :: v_dual_cndmask_b32 v58, 0, v60, s3
	s_delay_alu instid0(VALU_DEP_1) | instskip(SKIP_1) | instid1(VALU_DEP_1)
	v_lshlrev_b64_e32 v[58:59], v58, v[66:67]
	v_lshlrev_b32_e32 v59, 24, v66
	v_and_b32_e32 v59, 0x80000000, v59
	s_delay_alu instid0(VALU_DEP_3) | instskip(SKIP_1) | instid1(VALU_DEP_2)
	v_lshlrev_b32_e32 v58, 20, v58
	v_lshl_add_u32 v2, v2, 23, 0x3c000000
	v_and_b32_e32 v58, 0x700000, v58
	s_delay_alu instid0(VALU_DEP_1)
	v_or3_b32 v58, v58, v59, v2
.LBB359_134:                            ;   in Loop: Header=BB359_10 Depth=1
	s_or_b32 exec_lo, exec_lo, s31
.LBB359_135:                            ;   in Loop: Header=BB359_10 Depth=1
	s_delay_alu instid0(SALU_CYCLE_1)
	s_or_b32 exec_lo, exec_lo, s30
.LBB359_136:                            ;   in Loop: Header=BB359_10 Depth=1
	s_delay_alu instid0(SALU_CYCLE_1) | instskip(SKIP_3) | instid1(VALU_DEP_2)
	s_or_b32 exec_lo, exec_lo, s29
	v_lshrrev_b16 v2, 8, v66
	v_dual_mov_b32 v60, 0 :: v_dual_mov_b32 v59, 0
	s_mov_b32 s29, exec_lo
	v_cmpx_ne_u16_e32 0, v2
	s_cbranch_execz .LBB359_144
; %bb.137:                              ;   in Loop: Header=BB359_10 Depth=1
	v_bfrev_b32_e32 v59, 1
	s_mov_b32 s30, exec_lo
	v_cmpx_ne_u16_e32 0x80, v2
	s_cbranch_execz .LBB359_143
; %bb.138:                              ;   in Loop: Header=BB359_10 Depth=1
	v_and_b32_e32 v2, 0xffff, v2
	v_mov_b32_e32 v59, 0x7f800001
	s_mov_b32 s31, exec_lo
	s_delay_alu instid0(VALU_DEP_2) | instskip(NEXT) | instid1(VALU_DEP_1)
	v_and_b32_e32 v61, 0x7f, v2
	v_cmpx_ne_u32_e32 0x7f, v61
	s_cbranch_execz .LBB359_142
; %bb.139:                              ;   in Loop: Header=BB359_10 Depth=1
	v_dual_lshrrev_b32 v59, 3, v61 :: v_dual_bitop2_b32 v2, 7, v2 bitop3:0x40
	s_mov_b32 s33, exec_lo
	v_cmpx_gt_u32_e32 8, v61
; %bb.140:                              ;   in Loop: Header=BB359_10 Depth=1
	s_delay_alu instid0(VALU_DEP_2) | instskip(NEXT) | instid1(VALU_DEP_1)
	v_clz_i32_u32_e32 v59, v2
	v_min_u32_e32 v59, 32, v59
	s_delay_alu instid0(VALU_DEP_1) | instskip(NEXT) | instid1(VALU_DEP_1)
	v_subrev_nc_u32_e32 v61, 28, v59
	v_lshlrev_b64_e32 v[62:63], v61, v[2:3]
	s_delay_alu instid0(VALU_DEP_1)
	v_dual_sub_nc_u32 v59, 29, v59 :: v_dual_bitop2_b32 v2, 7, v62 bitop3:0x40
; %bb.141:                              ;   in Loop: Header=BB359_10 Depth=1
	s_or_b32 exec_lo, exec_lo, s33
	v_lshlrev_b32_e32 v61, 16, v66
	s_delay_alu instid0(VALU_DEP_2) | instskip(NEXT) | instid1(VALU_DEP_3)
	v_lshlrev_b32_e32 v2, 20, v2
	v_lshl_add_u32 v59, v59, 23, 0x3c000000
	s_delay_alu instid0(VALU_DEP_3) | instskip(NEXT) | instid1(VALU_DEP_1)
	v_and_b32_e32 v61, 0x80000000, v61
	v_or3_b32 v59, v2, v61, v59
.LBB359_142:                            ;   in Loop: Header=BB359_10 Depth=1
	s_or_b32 exec_lo, exec_lo, s31
.LBB359_143:                            ;   in Loop: Header=BB359_10 Depth=1
	s_delay_alu instid0(SALU_CYCLE_1)
	s_or_b32 exec_lo, exec_lo, s30
.LBB359_144:                            ;   in Loop: Header=BB359_10 Depth=1
	s_delay_alu instid0(SALU_CYCLE_1) | instskip(SKIP_2) | instid1(VALU_DEP_1)
	s_or_b32 exec_lo, exec_lo, s29
	v_lshrrev_b32_e32 v61, 16, v66
	s_mov_b32 s29, exec_lo
	v_and_b32_e32 v2, 0xff, v61
	s_delay_alu instid0(VALU_DEP_1)
	v_cmpx_ne_u16_e32 0, v2
	s_cbranch_execz .LBB359_152
; %bb.145:                              ;   in Loop: Header=BB359_10 Depth=1
	v_bfrev_b32_e32 v60, 1
	s_mov_b32 s30, exec_lo
	v_cmpx_ne_u16_e32 0x80, v2
	s_cbranch_execz .LBB359_151
; %bb.146:                              ;   in Loop: Header=BB359_10 Depth=1
	v_bfe_u32 v62, v66, 16, 7
	v_mov_b32_e32 v60, 0x7f800001
	s_mov_b32 s31, exec_lo
	s_delay_alu instid0(VALU_DEP_2)
	v_cmpx_ne_u32_e32 0x7f, v62
	s_cbranch_execz .LBB359_150
; %bb.147:                              ;   in Loop: Header=BB359_10 Depth=1
	v_dual_lshrrev_b32 v60, 3, v62 :: v_dual_bitop2_b32 v2, 7, v61 bitop3:0x40
	s_mov_b32 s33, exec_lo
	v_cmpx_gt_u32_e32 8, v62
; %bb.148:                              ;   in Loop: Header=BB359_10 Depth=1
	s_delay_alu instid0(VALU_DEP_2) | instskip(NEXT) | instid1(VALU_DEP_1)
	v_clz_i32_u32_e32 v60, v2
	v_min_u32_e32 v60, 32, v60
	s_delay_alu instid0(VALU_DEP_1) | instskip(NEXT) | instid1(VALU_DEP_1)
	v_subrev_nc_u32_e32 v62, 28, v60
	v_lshlrev_b64_e32 v[62:63], v62, v[2:3]
	s_delay_alu instid0(VALU_DEP_1)
	v_dual_sub_nc_u32 v60, 29, v60 :: v_dual_bitop2_b32 v2, 7, v62 bitop3:0x40
; %bb.149:                              ;   in Loop: Header=BB359_10 Depth=1
	s_or_b32 exec_lo, exec_lo, s33
	s_delay_alu instid0(VALU_DEP_1) | instskip(NEXT) | instid1(VALU_DEP_2)
	v_dual_lshlrev_b32 v61, 24, v61 :: v_dual_lshlrev_b32 v2, 20, v2
	v_lshl_add_u32 v60, v60, 23, 0x3c000000
	s_delay_alu instid0(VALU_DEP_2) | instskip(NEXT) | instid1(VALU_DEP_1)
	v_and_b32_e32 v61, 0x80000000, v61
	v_or3_b32 v60, v2, v61, v60
.LBB359_150:                            ;   in Loop: Header=BB359_10 Depth=1
	s_or_b32 exec_lo, exec_lo, s31
.LBB359_151:                            ;   in Loop: Header=BB359_10 Depth=1
	s_delay_alu instid0(SALU_CYCLE_1)
	s_or_b32 exec_lo, exec_lo, s30
.LBB359_152:                            ;   in Loop: Header=BB359_10 Depth=1
	s_delay_alu instid0(SALU_CYCLE_1)
	s_or_b32 exec_lo, exec_lo, s29
	v_dual_mov_b32 v62, 0 :: v_dual_mov_b32 v61, 0
	s_mov_b32 s29, exec_lo
	v_cmpx_lt_u32_e32 0xffffff, v66
	s_cbranch_execz .LBB359_160
; %bb.153:                              ;   in Loop: Header=BB359_10 Depth=1
	v_lshrrev_b32_e32 v63, 24, v66
	v_bfrev_b32_e32 v61, 1
	s_mov_b32 s30, exec_lo
	s_delay_alu instid0(VALU_DEP_2)
	v_cmpx_ne_u32_e32 0x80, v63
	s_cbranch_execz .LBB359_159
; %bb.154:                              ;   in Loop: Header=BB359_10 Depth=1
	v_bfe_u32 v64, v66, 24, 7
	v_mov_b32_e32 v61, 0x7f800001
	s_mov_b32 s31, exec_lo
	s_delay_alu instid0(VALU_DEP_2)
	v_cmpx_ne_u32_e32 0x7f, v64
	s_cbranch_execz .LBB359_158
; %bb.155:                              ;   in Loop: Header=BB359_10 Depth=1
	v_dual_lshrrev_b32 v61, 3, v64 :: v_dual_bitop2_b32 v2, 7, v63 bitop3:0x40
	s_mov_b32 s33, exec_lo
	v_cmpx_gt_u32_e32 8, v64
; %bb.156:                              ;   in Loop: Header=BB359_10 Depth=1
	s_delay_alu instid0(VALU_DEP_2) | instskip(NEXT) | instid1(VALU_DEP_1)
	v_clz_i32_u32_e32 v61, v2
	v_min_u32_e32 v61, 32, v61
	s_delay_alu instid0(VALU_DEP_1) | instskip(NEXT) | instid1(VALU_DEP_1)
	v_subrev_nc_u32_e32 v64, 28, v61
	v_lshlrev_b64_e32 v[64:65], v64, v[2:3]
	s_delay_alu instid0(VALU_DEP_1)
	v_dual_sub_nc_u32 v61, 29, v61 :: v_dual_bitop2_b32 v2, 7, v64 bitop3:0x40
; %bb.157:                              ;   in Loop: Header=BB359_10 Depth=1
	s_or_b32 exec_lo, exec_lo, s33
	s_delay_alu instid0(VALU_DEP_1) | instskip(NEXT) | instid1(VALU_DEP_2)
	v_dual_lshlrev_b32 v63, 24, v63 :: v_dual_lshlrev_b32 v2, 20, v2
	v_lshl_add_u32 v61, v61, 23, 0x3c000000
	s_delay_alu instid0(VALU_DEP_2) | instskip(NEXT) | instid1(VALU_DEP_1)
	v_and_b32_e32 v63, 0x80000000, v63
	v_or3_b32 v61, v2, v63, v61
.LBB359_158:                            ;   in Loop: Header=BB359_10 Depth=1
	s_or_b32 exec_lo, exec_lo, s31
.LBB359_159:                            ;   in Loop: Header=BB359_10 Depth=1
	s_delay_alu instid0(SALU_CYCLE_1)
	s_or_b32 exec_lo, exec_lo, s30
.LBB359_160:                            ;   in Loop: Header=BB359_10 Depth=1
	s_delay_alu instid0(SALU_CYCLE_1) | instskip(SKIP_3) | instid1(VALU_DEP_2)
	s_or_b32 exec_lo, exec_lo, s29
	v_and_b32_e32 v63, 0xff, v67
	v_mov_b32_e32 v2, v67
	s_mov_b32 s29, exec_lo
	v_cmpx_ne_u16_e32 0, v63
	s_cbranch_execz .LBB359_166
; %bb.161:                              ;   in Loop: Header=BB359_10 Depth=1
	v_bfrev_b32_e32 v62, 1
	s_mov_b32 s30, exec_lo
	v_cmpx_ne_u16_e32 0x80, v63
	s_cbranch_execz .LBB359_165
; %bb.162:                              ;   in Loop: Header=BB359_10 Depth=1
	v_and_b32_e32 v63, 0x7f, v67
	v_mov_b32_e32 v62, 0x7f800001
	s_mov_b32 s31, exec_lo
	s_delay_alu instid0(VALU_DEP_2)
	v_cmpx_ne_u32_e32 0x7f, v63
	s_cbranch_execz .LBB359_164
; %bb.163:                              ;   in Loop: Header=BB359_10 Depth=1
	v_and_b32_e32 v62, 7, v67
	v_cmp_gt_u32_e64 s3, 8, v63
	s_delay_alu instid0(VALU_DEP_2) | instskip(NEXT) | instid1(VALU_DEP_1)
	v_clz_i32_u32_e32 v62, v62
	v_min_u32_e32 v62, 32, v62
	v_lshrrev_b32_e32 v64, 3, v63
	s_delay_alu instid0(VALU_DEP_2) | instskip(SKIP_1) | instid1(VALU_DEP_1)
	v_subrev_nc_u32_e32 v65, 28, v62
	v_sub_nc_u32_e32 v62, 29, v62
	v_dual_cndmask_b32 v64, v64, v62, s3 :: v_dual_cndmask_b32 v62, 0, v65, s3
	s_delay_alu instid0(VALU_DEP_1) | instskip(NEXT) | instid1(VALU_DEP_2)
	v_lshl_add_u32 v64, v64, 23, 0x3c000000
	v_lshlrev_b64_e32 v[62:63], v62, v[2:3]
	v_lshlrev_b32_e32 v63, 24, v2
	s_delay_alu instid0(VALU_DEP_1) | instskip(NEXT) | instid1(VALU_DEP_3)
	v_and_b32_e32 v63, 0x80000000, v63
	v_lshlrev_b32_e32 v62, 20, v62
	s_delay_alu instid0(VALU_DEP_1) | instskip(NEXT) | instid1(VALU_DEP_1)
	v_and_b32_e32 v62, 0x700000, v62
	v_or3_b32 v62, v62, v63, v64
.LBB359_164:                            ;   in Loop: Header=BB359_10 Depth=1
	s_or_b32 exec_lo, exec_lo, s31
.LBB359_165:                            ;   in Loop: Header=BB359_10 Depth=1
	s_delay_alu instid0(SALU_CYCLE_1)
	s_or_b32 exec_lo, exec_lo, s30
.LBB359_166:                            ;   in Loop: Header=BB359_10 Depth=1
	s_delay_alu instid0(SALU_CYCLE_1) | instskip(SKIP_3) | instid1(VALU_DEP_2)
	s_or_b32 exec_lo, exec_lo, s29
	v_lshrrev_b16 v65, 8, v2
	v_dual_mov_b32 v64, 0 :: v_dual_mov_b32 v63, 0
	s_mov_b32 s29, exec_lo
	v_cmpx_ne_u16_e32 0, v65
	s_cbranch_execz .LBB359_174
; %bb.167:                              ;   in Loop: Header=BB359_10 Depth=1
	v_bfrev_b32_e32 v63, 1
	s_mov_b32 s30, exec_lo
	v_cmpx_ne_u16_e32 0x80, v65
	s_cbranch_execz .LBB359_173
; %bb.168:                              ;   in Loop: Header=BB359_10 Depth=1
	v_and_b32_e32 v68, 0xffff, v65
	v_mov_b32_e32 v63, 0x7f800001
	s_mov_b32 s31, exec_lo
	s_delay_alu instid0(VALU_DEP_2) | instskip(NEXT) | instid1(VALU_DEP_1)
	v_and_b32_e32 v65, 0x7f, v68
	v_cmpx_ne_u32_e32 0x7f, v65
	s_cbranch_execz .LBB359_172
; %bb.169:                              ;   in Loop: Header=BB359_10 Depth=1
	v_dual_mov_b32 v69, v3 :: v_dual_bitop2_b32 v68, 7, v68 bitop3:0x40
	v_lshrrev_b32_e32 v63, 3, v65
	s_mov_b32 s33, exec_lo
	v_cmpx_gt_u32_e32 8, v65
; %bb.170:                              ;   in Loop: Header=BB359_10 Depth=1
	s_delay_alu instid0(VALU_DEP_3) | instskip(NEXT) | instid1(VALU_DEP_1)
	v_clz_i32_u32_e32 v63, v68
	v_min_u32_e32 v63, 32, v63
	s_delay_alu instid0(VALU_DEP_1) | instskip(NEXT) | instid1(VALU_DEP_1)
	v_subrev_nc_u32_e32 v65, 28, v63
	v_lshlrev_b64_e32 v[68:69], v65, v[68:69]
	s_delay_alu instid0(VALU_DEP_1)
	v_dual_sub_nc_u32 v63, 29, v63 :: v_dual_bitop2_b32 v68, 7, v68 bitop3:0x40
; %bb.171:                              ;   in Loop: Header=BB359_10 Depth=1
	s_or_b32 exec_lo, exec_lo, s33
	s_delay_alu instid0(VALU_DEP_1) | instskip(NEXT) | instid1(VALU_DEP_2)
	v_dual_lshlrev_b32 v2, 16, v2 :: v_dual_lshlrev_b32 v65, 20, v68
	v_lshl_add_u32 v63, v63, 23, 0x3c000000
	s_delay_alu instid0(VALU_DEP_2) | instskip(NEXT) | instid1(VALU_DEP_1)
	v_and_b32_e32 v2, 0x80000000, v2
	v_or3_b32 v63, v65, v2, v63
.LBB359_172:                            ;   in Loop: Header=BB359_10 Depth=1
	s_or_b32 exec_lo, exec_lo, s31
.LBB359_173:                            ;   in Loop: Header=BB359_10 Depth=1
	s_delay_alu instid0(SALU_CYCLE_1)
	s_or_b32 exec_lo, exec_lo, s30
.LBB359_174:                            ;   in Loop: Header=BB359_10 Depth=1
	s_delay_alu instid0(SALU_CYCLE_1) | instskip(SKIP_2) | instid1(VALU_DEP_1)
	s_or_b32 exec_lo, exec_lo, s29
	v_lshrrev_b32_e32 v65, 16, v67
	s_mov_b32 s29, exec_lo
	v_and_b32_e32 v2, 0xff, v65
	s_delay_alu instid0(VALU_DEP_1)
	v_cmpx_ne_u16_e32 0, v2
	s_cbranch_execz .LBB359_182
; %bb.175:                              ;   in Loop: Header=BB359_10 Depth=1
	v_bfrev_b32_e32 v64, 1
	s_mov_b32 s30, exec_lo
	v_cmpx_ne_u16_e32 0x80, v2
	s_cbranch_execz .LBB359_181
; %bb.176:                              ;   in Loop: Header=BB359_10 Depth=1
	v_bfe_u32 v68, v67, 16, 7
	v_mov_b32_e32 v64, 0x7f800001
	s_mov_b32 s31, exec_lo
	s_delay_alu instid0(VALU_DEP_2)
	v_cmpx_ne_u32_e32 0x7f, v68
	s_cbranch_execz .LBB359_180
; %bb.177:                              ;   in Loop: Header=BB359_10 Depth=1
	v_dual_lshrrev_b32 v64, 3, v68 :: v_dual_bitop2_b32 v2, 7, v65 bitop3:0x40
	s_mov_b32 s33, exec_lo
	v_cmpx_gt_u32_e32 8, v68
; %bb.178:                              ;   in Loop: Header=BB359_10 Depth=1
	s_delay_alu instid0(VALU_DEP_2) | instskip(NEXT) | instid1(VALU_DEP_1)
	v_clz_i32_u32_e32 v64, v2
	v_min_u32_e32 v64, 32, v64
	s_delay_alu instid0(VALU_DEP_1) | instskip(SKIP_1) | instid1(VALU_DEP_2)
	v_subrev_nc_u32_e32 v68, 28, v64
	v_sub_nc_u32_e32 v64, 29, v64
	v_lshlrev_b64_e32 v[68:69], v68, v[2:3]
	s_delay_alu instid0(VALU_DEP_1)
	v_and_b32_e32 v2, 7, v68
; %bb.179:                              ;   in Loop: Header=BB359_10 Depth=1
	s_or_b32 exec_lo, exec_lo, s33
	s_delay_alu instid0(VALU_DEP_1) | instskip(SKIP_1) | instid1(VALU_DEP_2)
	v_dual_lshlrev_b32 v65, 24, v65 :: v_dual_lshlrev_b32 v2, 20, v2
	v_lshl_add_u32 v64, v64, 23, 0x3c000000
	v_and_b32_e32 v65, 0x80000000, v65
	s_delay_alu instid0(VALU_DEP_1)
	v_or3_b32 v64, v2, v65, v64
.LBB359_180:                            ;   in Loop: Header=BB359_10 Depth=1
	s_or_b32 exec_lo, exec_lo, s31
.LBB359_181:                            ;   in Loop: Header=BB359_10 Depth=1
	s_delay_alu instid0(SALU_CYCLE_1)
	s_or_b32 exec_lo, exec_lo, s30
.LBB359_182:                            ;   in Loop: Header=BB359_10 Depth=1
	s_delay_alu instid0(SALU_CYCLE_1)
	s_or_b32 exec_lo, exec_lo, s29
	v_cmp_lt_u64_e64 s3, s[20:21], v[66:67]
	v_dual_mov_b32 v66, 0 :: v_dual_mov_b32 v65, 0
	s_and_saveexec_b32 s29, s3
	s_cbranch_execz .LBB359_190
; %bb.183:                              ;   in Loop: Header=BB359_10 Depth=1
	v_lshrrev_b32_e32 v68, 24, v67
	v_bfrev_b32_e32 v65, 1
	s_mov_b32 s30, exec_lo
	s_delay_alu instid0(VALU_DEP_2)
	v_cmpx_ne_u32_e32 0x80, v68
	s_cbranch_execz .LBB359_189
; %bb.184:                              ;   in Loop: Header=BB359_10 Depth=1
	v_bfe_u32 v67, v67, 24, 7
	v_mov_b32_e32 v65, 0x7f800001
	s_mov_b32 s31, exec_lo
	s_delay_alu instid0(VALU_DEP_2)
	v_cmpx_ne_u32_e32 0x7f, v67
	s_cbranch_execz .LBB359_188
; %bb.185:                              ;   in Loop: Header=BB359_10 Depth=1
	v_dual_lshrrev_b32 v65, 3, v67 :: v_dual_bitop2_b32 v2, 7, v68 bitop3:0x40
	s_mov_b32 s33, exec_lo
	v_cmpx_gt_u32_e32 8, v67
; %bb.186:                              ;   in Loop: Header=BB359_10 Depth=1
	s_delay_alu instid0(VALU_DEP_2) | instskip(NEXT) | instid1(VALU_DEP_1)
	v_clz_i32_u32_e32 v65, v2
	v_min_u32_e32 v65, 32, v65
	s_delay_alu instid0(VALU_DEP_1) | instskip(NEXT) | instid1(VALU_DEP_1)
	v_subrev_nc_u32_e32 v67, 28, v65
	v_lshlrev_b64_e32 v[70:71], v67, v[2:3]
	s_delay_alu instid0(VALU_DEP_1)
	v_dual_sub_nc_u32 v65, 29, v65 :: v_dual_bitop2_b32 v2, 7, v70 bitop3:0x40
; %bb.187:                              ;   in Loop: Header=BB359_10 Depth=1
	s_or_b32 exec_lo, exec_lo, s33
	s_delay_alu instid0(VALU_DEP_1) | instskip(NEXT) | instid1(VALU_DEP_2)
	v_dual_lshlrev_b32 v67, 24, v68 :: v_dual_lshlrev_b32 v2, 20, v2
	v_lshl_add_u32 v65, v65, 23, 0x3c000000
	s_delay_alu instid0(VALU_DEP_2) | instskip(NEXT) | instid1(VALU_DEP_1)
	v_and_b32_e32 v67, 0x80000000, v67
	v_or3_b32 v65, v2, v67, v65
.LBB359_188:                            ;   in Loop: Header=BB359_10 Depth=1
	s_or_b32 exec_lo, exec_lo, s31
.LBB359_189:                            ;   in Loop: Header=BB359_10 Depth=1
	s_delay_alu instid0(SALU_CYCLE_1)
	s_or_b32 exec_lo, exec_lo, s30
.LBB359_190:                            ;   in Loop: Header=BB359_10 Depth=1
	s_delay_alu instid0(SALU_CYCLE_1)
	s_or_b32 exec_lo, exec_lo, s29
	global_load_b64 v[68:69], v[50:51], off offset:520
	s_mov_b32 s29, exec_lo
	s_wait_loadcnt 0x0
	v_and_b32_e32 v2, 0xff, v68
	s_wait_xcnt 0x0
	s_delay_alu instid0(VALU_DEP_1)
	v_cmpx_ne_u16_e32 0, v2
	s_cbranch_execz .LBB359_196
; %bb.191:                              ;   in Loop: Header=BB359_10 Depth=1
	v_bfrev_b32_e32 v66, 1
	s_mov_b32 s30, exec_lo
	v_cmpx_ne_u16_e32 0x80, v2
	s_cbranch_execz .LBB359_195
; %bb.192:                              ;   in Loop: Header=BB359_10 Depth=1
	v_and_b32_e32 v2, 0x7f, v68
	v_mov_b32_e32 v66, 0x7f800001
	s_mov_b32 s31, exec_lo
	s_delay_alu instid0(VALU_DEP_2)
	v_cmpx_ne_u32_e32 0x7f, v2
	s_cbranch_execz .LBB359_194
; %bb.193:                              ;   in Loop: Header=BB359_10 Depth=1
	v_dual_lshrrev_b32 v51, 3, v2 :: v_dual_bitop2_b32 v50, 7, v68 bitop3:0x40
	v_cmp_gt_u32_e64 s3, 8, v2
	s_delay_alu instid0(VALU_DEP_2) | instskip(NEXT) | instid1(VALU_DEP_1)
	v_clz_i32_u32_e32 v50, v50
	v_min_u32_e32 v50, 32, v50
	s_delay_alu instid0(VALU_DEP_1) | instskip(SKIP_1) | instid1(VALU_DEP_1)
	v_subrev_nc_u32_e32 v66, 28, v50
	v_sub_nc_u32_e32 v50, 29, v50
	v_cndmask_b32_e64 v2, v51, v50, s3
	s_delay_alu instid0(VALU_DEP_3) | instskip(NEXT) | instid1(VALU_DEP_1)
	v_cndmask_b32_e64 v50, 0, v66, s3
	v_lshlrev_b64_e32 v[50:51], v50, v[68:69]
	v_lshlrev_b32_e32 v51, 24, v68
	s_delay_alu instid0(VALU_DEP_1) | instskip(NEXT) | instid1(VALU_DEP_3)
	v_and_b32_e32 v51, 0x80000000, v51
	v_lshlrev_b32_e32 v50, 20, v50
	v_lshl_add_u32 v2, v2, 23, 0x3c000000
	s_delay_alu instid0(VALU_DEP_2) | instskip(NEXT) | instid1(VALU_DEP_1)
	v_and_b32_e32 v50, 0x700000, v50
	v_or3_b32 v66, v50, v51, v2
.LBB359_194:                            ;   in Loop: Header=BB359_10 Depth=1
	s_or_b32 exec_lo, exec_lo, s31
.LBB359_195:                            ;   in Loop: Header=BB359_10 Depth=1
	s_delay_alu instid0(SALU_CYCLE_1)
	s_or_b32 exec_lo, exec_lo, s30
.LBB359_196:                            ;   in Loop: Header=BB359_10 Depth=1
	s_delay_alu instid0(SALU_CYCLE_1) | instskip(SKIP_3) | instid1(VALU_DEP_2)
	s_or_b32 exec_lo, exec_lo, s29
	v_lshrrev_b16 v2, 8, v68
	v_dual_mov_b32 v50, 0 :: v_dual_mov_b32 v67, 0
	s_mov_b32 s29, exec_lo
	v_cmpx_ne_u16_e32 0, v2
	s_cbranch_execz .LBB359_204
; %bb.197:                              ;   in Loop: Header=BB359_10 Depth=1
	v_bfrev_b32_e32 v67, 1
	s_mov_b32 s30, exec_lo
	v_cmpx_ne_u16_e32 0x80, v2
	s_cbranch_execz .LBB359_203
; %bb.198:                              ;   in Loop: Header=BB359_10 Depth=1
	v_and_b32_e32 v2, 0xffff, v2
	v_mov_b32_e32 v67, 0x7f800001
	s_mov_b32 s31, exec_lo
	s_delay_alu instid0(VALU_DEP_2) | instskip(NEXT) | instid1(VALU_DEP_1)
	v_and_b32_e32 v70, 0x7f, v2
	v_cmpx_ne_u32_e32 0x7f, v70
	s_cbranch_execz .LBB359_202
; %bb.199:                              ;   in Loop: Header=BB359_10 Depth=1
	v_and_b32_e32 v2, 7, v2
	v_lshrrev_b32_e32 v51, 3, v70
	s_mov_b32 s33, exec_lo
	v_cmpx_gt_u32_e32 8, v70
; %bb.200:                              ;   in Loop: Header=BB359_10 Depth=1
	s_delay_alu instid0(VALU_DEP_3) | instskip(NEXT) | instid1(VALU_DEP_1)
	v_clz_i32_u32_e32 v51, v2
	v_min_u32_e32 v51, 32, v51
	s_delay_alu instid0(VALU_DEP_1) | instskip(NEXT) | instid1(VALU_DEP_1)
	v_subrev_nc_u32_e32 v67, 28, v51
	v_lshlrev_b64_e32 v[70:71], v67, v[2:3]
	s_delay_alu instid0(VALU_DEP_1)
	v_dual_sub_nc_u32 v51, 29, v51 :: v_dual_bitop2_b32 v2, 7, v70 bitop3:0x40
; %bb.201:                              ;   in Loop: Header=BB359_10 Depth=1
	s_or_b32 exec_lo, exec_lo, s33
	s_delay_alu instid0(VALU_DEP_1) | instskip(NEXT) | instid1(VALU_DEP_2)
	v_dual_lshlrev_b32 v67, 16, v68 :: v_dual_lshlrev_b32 v2, 20, v2
	v_lshl_add_u32 v51, v51, 23, 0x3c000000
	s_delay_alu instid0(VALU_DEP_2) | instskip(NEXT) | instid1(VALU_DEP_1)
	v_and_b32_e32 v67, 0x80000000, v67
	v_or3_b32 v67, v2, v67, v51
.LBB359_202:                            ;   in Loop: Header=BB359_10 Depth=1
	s_or_b32 exec_lo, exec_lo, s31
.LBB359_203:                            ;   in Loop: Header=BB359_10 Depth=1
	s_delay_alu instid0(SALU_CYCLE_1)
	s_or_b32 exec_lo, exec_lo, s30
.LBB359_204:                            ;   in Loop: Header=BB359_10 Depth=1
	s_delay_alu instid0(SALU_CYCLE_1) | instskip(SKIP_2) | instid1(VALU_DEP_1)
	s_or_b32 exec_lo, exec_lo, s29
	v_lshrrev_b32_e32 v51, 16, v68
	s_mov_b32 s29, exec_lo
	v_and_b32_e32 v2, 0xff, v51
	s_delay_alu instid0(VALU_DEP_1)
	v_cmpx_ne_u16_e32 0, v2
	s_cbranch_execz .LBB359_212
; %bb.205:                              ;   in Loop: Header=BB359_10 Depth=1
	v_bfrev_b32_e32 v50, 1
	s_mov_b32 s30, exec_lo
	v_cmpx_ne_u16_e32 0x80, v2
	s_cbranch_execz .LBB359_211
; %bb.206:                              ;   in Loop: Header=BB359_10 Depth=1
	v_bfe_u32 v70, v68, 16, 7
	v_mov_b32_e32 v50, 0x7f800001
	s_mov_b32 s31, exec_lo
	s_delay_alu instid0(VALU_DEP_2)
	v_cmpx_ne_u32_e32 0x7f, v70
	s_cbranch_execz .LBB359_210
; %bb.207:                              ;   in Loop: Header=BB359_10 Depth=1
	v_dual_lshrrev_b32 v50, 3, v70 :: v_dual_bitop2_b32 v2, 7, v51 bitop3:0x40
	s_mov_b32 s33, exec_lo
	v_cmpx_gt_u32_e32 8, v70
; %bb.208:                              ;   in Loop: Header=BB359_10 Depth=1
	s_delay_alu instid0(VALU_DEP_2) | instskip(NEXT) | instid1(VALU_DEP_1)
	v_clz_i32_u32_e32 v50, v2
	v_min_u32_e32 v50, 32, v50
	s_delay_alu instid0(VALU_DEP_1) | instskip(SKIP_1) | instid1(VALU_DEP_2)
	v_subrev_nc_u32_e32 v70, 28, v50
	v_sub_nc_u32_e32 v50, 29, v50
	v_lshlrev_b64_e32 v[70:71], v70, v[2:3]
	s_delay_alu instid0(VALU_DEP_1)
	v_and_b32_e32 v2, 7, v70
; %bb.209:                              ;   in Loop: Header=BB359_10 Depth=1
	s_or_b32 exec_lo, exec_lo, s33
	s_delay_alu instid0(VALU_DEP_1) | instskip(SKIP_1) | instid1(VALU_DEP_2)
	v_dual_lshlrev_b32 v51, 24, v51 :: v_dual_lshlrev_b32 v2, 20, v2
	v_lshl_add_u32 v50, v50, 23, 0x3c000000
	v_and_b32_e32 v51, 0x80000000, v51
	s_delay_alu instid0(VALU_DEP_1)
	v_or3_b32 v50, v2, v51, v50
.LBB359_210:                            ;   in Loop: Header=BB359_10 Depth=1
	s_or_b32 exec_lo, exec_lo, s31
.LBB359_211:                            ;   in Loop: Header=BB359_10 Depth=1
	s_delay_alu instid0(SALU_CYCLE_1)
	s_or_b32 exec_lo, exec_lo, s30
.LBB359_212:                            ;   in Loop: Header=BB359_10 Depth=1
	s_delay_alu instid0(SALU_CYCLE_1)
	s_or_b32 exec_lo, exec_lo, s29
	v_dual_mov_b32 v70, 0 :: v_dual_mov_b32 v51, 0
	s_mov_b32 s29, exec_lo
	v_cmpx_lt_u32_e32 0xffffff, v68
	s_cbranch_execz .LBB359_220
; %bb.213:                              ;   in Loop: Header=BB359_10 Depth=1
	v_lshrrev_b32_e32 v71, 24, v68
	v_bfrev_b32_e32 v51, 1
	s_mov_b32 s30, exec_lo
	s_delay_alu instid0(VALU_DEP_2)
	v_cmpx_ne_u32_e32 0x80, v71
	s_cbranch_execz .LBB359_219
; %bb.214:                              ;   in Loop: Header=BB359_10 Depth=1
	v_bfe_u32 v72, v68, 24, 7
	v_mov_b32_e32 v51, 0x7f800001
	s_mov_b32 s31, exec_lo
	s_delay_alu instid0(VALU_DEP_2)
	v_cmpx_ne_u32_e32 0x7f, v72
	s_cbranch_execz .LBB359_218
; %bb.215:                              ;   in Loop: Header=BB359_10 Depth=1
	v_dual_lshrrev_b32 v51, 3, v72 :: v_dual_bitop2_b32 v2, 7, v71 bitop3:0x40
	s_mov_b32 s33, exec_lo
	v_cmpx_gt_u32_e32 8, v72
; %bb.216:                              ;   in Loop: Header=BB359_10 Depth=1
	s_delay_alu instid0(VALU_DEP_2) | instskip(NEXT) | instid1(VALU_DEP_1)
	v_clz_i32_u32_e32 v51, v2
	v_min_u32_e32 v51, 32, v51
	s_delay_alu instid0(VALU_DEP_1) | instskip(NEXT) | instid1(VALU_DEP_1)
	v_subrev_nc_u32_e32 v72, 28, v51
	v_lshlrev_b64_e32 v[72:73], v72, v[2:3]
	s_delay_alu instid0(VALU_DEP_1)
	v_dual_sub_nc_u32 v51, 29, v51 :: v_dual_bitop2_b32 v2, 7, v72 bitop3:0x40
; %bb.217:                              ;   in Loop: Header=BB359_10 Depth=1
	s_or_b32 exec_lo, exec_lo, s33
	s_delay_alu instid0(VALU_DEP_1) | instskip(NEXT) | instid1(VALU_DEP_2)
	v_dual_lshlrev_b32 v71, 24, v71 :: v_dual_lshlrev_b32 v2, 20, v2
	v_lshl_add_u32 v51, v51, 23, 0x3c000000
	s_delay_alu instid0(VALU_DEP_2) | instskip(NEXT) | instid1(VALU_DEP_1)
	v_and_b32_e32 v71, 0x80000000, v71
	v_or3_b32 v51, v2, v71, v51
.LBB359_218:                            ;   in Loop: Header=BB359_10 Depth=1
	s_or_b32 exec_lo, exec_lo, s31
.LBB359_219:                            ;   in Loop: Header=BB359_10 Depth=1
	s_delay_alu instid0(SALU_CYCLE_1)
	s_or_b32 exec_lo, exec_lo, s30
.LBB359_220:                            ;   in Loop: Header=BB359_10 Depth=1
	s_delay_alu instid0(SALU_CYCLE_1) | instskip(SKIP_3) | instid1(VALU_DEP_2)
	s_or_b32 exec_lo, exec_lo, s29
	v_and_b32_e32 v71, 0xff, v69
	v_mov_b32_e32 v2, v69
	s_mov_b32 s29, exec_lo
	v_cmpx_ne_u16_e32 0, v71
	s_cbranch_execz .LBB359_226
; %bb.221:                              ;   in Loop: Header=BB359_10 Depth=1
	v_bfrev_b32_e32 v70, 1
	s_mov_b32 s30, exec_lo
	v_cmpx_ne_u16_e32 0x80, v71
	s_cbranch_execz .LBB359_225
; %bb.222:                              ;   in Loop: Header=BB359_10 Depth=1
	v_and_b32_e32 v71, 0x7f, v69
	v_mov_b32_e32 v70, 0x7f800001
	s_mov_b32 s31, exec_lo
	s_delay_alu instid0(VALU_DEP_2)
	v_cmpx_ne_u32_e32 0x7f, v71
	s_cbranch_execz .LBB359_224
; %bb.223:                              ;   in Loop: Header=BB359_10 Depth=1
	v_dual_lshrrev_b32 v72, 3, v71 :: v_dual_bitop2_b32 v70, 7, v69 bitop3:0x40
	v_cmp_gt_u32_e64 s3, 8, v71
	s_delay_alu instid0(VALU_DEP_2) | instskip(NEXT) | instid1(VALU_DEP_1)
	v_clz_i32_u32_e32 v70, v70
	v_min_u32_e32 v70, 32, v70
	s_delay_alu instid0(VALU_DEP_1) | instskip(SKIP_1) | instid1(VALU_DEP_1)
	v_subrev_nc_u32_e32 v73, 28, v70
	v_sub_nc_u32_e32 v70, 29, v70
	v_dual_cndmask_b32 v72, v72, v70, s3 :: v_dual_cndmask_b32 v70, 0, v73, s3
	s_delay_alu instid0(VALU_DEP_1) | instskip(NEXT) | instid1(VALU_DEP_2)
	v_lshl_add_u32 v72, v72, 23, 0x3c000000
	v_lshlrev_b64_e32 v[70:71], v70, v[2:3]
	v_lshlrev_b32_e32 v71, 24, v2
	s_delay_alu instid0(VALU_DEP_1) | instskip(NEXT) | instid1(VALU_DEP_3)
	v_and_b32_e32 v71, 0x80000000, v71
	v_lshlrev_b32_e32 v70, 20, v70
	s_delay_alu instid0(VALU_DEP_1) | instskip(NEXT) | instid1(VALU_DEP_1)
	v_and_b32_e32 v70, 0x700000, v70
	v_or3_b32 v70, v70, v71, v72
.LBB359_224:                            ;   in Loop: Header=BB359_10 Depth=1
	s_or_b32 exec_lo, exec_lo, s31
.LBB359_225:                            ;   in Loop: Header=BB359_10 Depth=1
	s_delay_alu instid0(SALU_CYCLE_1)
	s_or_b32 exec_lo, exec_lo, s30
.LBB359_226:                            ;   in Loop: Header=BB359_10 Depth=1
	s_delay_alu instid0(SALU_CYCLE_1) | instskip(SKIP_3) | instid1(VALU_DEP_2)
	s_or_b32 exec_lo, exec_lo, s29
	v_lshrrev_b16 v73, 8, v2
	v_dual_mov_b32 v72, 0 :: v_dual_mov_b32 v71, 0
	s_mov_b32 s29, exec_lo
	v_cmpx_ne_u16_e32 0, v73
	s_cbranch_execz .LBB359_234
; %bb.227:                              ;   in Loop: Header=BB359_10 Depth=1
	v_bfrev_b32_e32 v71, 1
	s_mov_b32 s30, exec_lo
	v_cmpx_ne_u16_e32 0x80, v73
	s_cbranch_execz .LBB359_233
; %bb.228:                              ;   in Loop: Header=BB359_10 Depth=1
	v_and_b32_e32 v74, 0xffff, v73
	v_mov_b32_e32 v71, 0x7f800001
	s_mov_b32 s31, exec_lo
	s_delay_alu instid0(VALU_DEP_2) | instskip(NEXT) | instid1(VALU_DEP_1)
	v_and_b32_e32 v73, 0x7f, v74
	v_cmpx_ne_u32_e32 0x7f, v73
	s_cbranch_execz .LBB359_232
; %bb.229:                              ;   in Loop: Header=BB359_10 Depth=1
	v_dual_mov_b32 v75, v3 :: v_dual_bitop2_b32 v74, 7, v74 bitop3:0x40
	v_lshrrev_b32_e32 v71, 3, v73
	s_mov_b32 s33, exec_lo
	v_cmpx_gt_u32_e32 8, v73
; %bb.230:                              ;   in Loop: Header=BB359_10 Depth=1
	s_delay_alu instid0(VALU_DEP_3) | instskip(NEXT) | instid1(VALU_DEP_1)
	v_clz_i32_u32_e32 v71, v74
	v_min_u32_e32 v71, 32, v71
	s_delay_alu instid0(VALU_DEP_1) | instskip(NEXT) | instid1(VALU_DEP_1)
	v_subrev_nc_u32_e32 v73, 28, v71
	v_lshlrev_b64_e32 v[74:75], v73, v[74:75]
	s_delay_alu instid0(VALU_DEP_1)
	v_dual_sub_nc_u32 v71, 29, v71 :: v_dual_bitop2_b32 v74, 7, v74 bitop3:0x40
; %bb.231:                              ;   in Loop: Header=BB359_10 Depth=1
	s_or_b32 exec_lo, exec_lo, s33
	v_lshlrev_b32_e32 v2, 16, v2
	s_delay_alu instid0(VALU_DEP_2) | instskip(NEXT) | instid1(VALU_DEP_3)
	v_lshlrev_b32_e32 v73, 20, v74
	v_lshl_add_u32 v71, v71, 23, 0x3c000000
	s_delay_alu instid0(VALU_DEP_3) | instskip(NEXT) | instid1(VALU_DEP_1)
	v_and_b32_e32 v2, 0x80000000, v2
	v_or3_b32 v71, v73, v2, v71
.LBB359_232:                            ;   in Loop: Header=BB359_10 Depth=1
	s_or_b32 exec_lo, exec_lo, s31
.LBB359_233:                            ;   in Loop: Header=BB359_10 Depth=1
	s_delay_alu instid0(SALU_CYCLE_1)
	s_or_b32 exec_lo, exec_lo, s30
.LBB359_234:                            ;   in Loop: Header=BB359_10 Depth=1
	s_delay_alu instid0(SALU_CYCLE_1) | instskip(SKIP_2) | instid1(VALU_DEP_1)
	s_or_b32 exec_lo, exec_lo, s29
	v_lshrrev_b32_e32 v73, 16, v69
	s_mov_b32 s29, exec_lo
	v_and_b32_e32 v2, 0xff, v73
	s_delay_alu instid0(VALU_DEP_1)
	v_cmpx_ne_u16_e32 0, v2
	s_cbranch_execz .LBB359_242
; %bb.235:                              ;   in Loop: Header=BB359_10 Depth=1
	v_bfrev_b32_e32 v72, 1
	s_mov_b32 s30, exec_lo
	v_cmpx_ne_u16_e32 0x80, v2
	s_cbranch_execz .LBB359_241
; %bb.236:                              ;   in Loop: Header=BB359_10 Depth=1
	v_bfe_u32 v74, v69, 16, 7
	v_mov_b32_e32 v72, 0x7f800001
	s_mov_b32 s31, exec_lo
	s_delay_alu instid0(VALU_DEP_2)
	v_cmpx_ne_u32_e32 0x7f, v74
	s_cbranch_execz .LBB359_240
; %bb.237:                              ;   in Loop: Header=BB359_10 Depth=1
	v_dual_lshrrev_b32 v72, 3, v74 :: v_dual_bitop2_b32 v2, 7, v73 bitop3:0x40
	s_mov_b32 s33, exec_lo
	v_cmpx_gt_u32_e32 8, v74
; %bb.238:                              ;   in Loop: Header=BB359_10 Depth=1
	s_delay_alu instid0(VALU_DEP_2) | instskip(NEXT) | instid1(VALU_DEP_1)
	v_clz_i32_u32_e32 v72, v2
	v_min_u32_e32 v72, 32, v72
	s_delay_alu instid0(VALU_DEP_1) | instskip(NEXT) | instid1(VALU_DEP_1)
	v_subrev_nc_u32_e32 v74, 28, v72
	v_lshlrev_b64_e32 v[74:75], v74, v[2:3]
	s_delay_alu instid0(VALU_DEP_1)
	v_dual_sub_nc_u32 v72, 29, v72 :: v_dual_bitop2_b32 v2, 7, v74 bitop3:0x40
; %bb.239:                              ;   in Loop: Header=BB359_10 Depth=1
	s_or_b32 exec_lo, exec_lo, s33
	s_delay_alu instid0(VALU_DEP_1) | instskip(NEXT) | instid1(VALU_DEP_2)
	v_dual_lshlrev_b32 v73, 24, v73 :: v_dual_lshlrev_b32 v2, 20, v2
	v_lshl_add_u32 v72, v72, 23, 0x3c000000
	s_delay_alu instid0(VALU_DEP_2) | instskip(NEXT) | instid1(VALU_DEP_1)
	v_and_b32_e32 v73, 0x80000000, v73
	v_or3_b32 v72, v2, v73, v72
.LBB359_240:                            ;   in Loop: Header=BB359_10 Depth=1
	s_or_b32 exec_lo, exec_lo, s31
.LBB359_241:                            ;   in Loop: Header=BB359_10 Depth=1
	s_delay_alu instid0(SALU_CYCLE_1)
	s_or_b32 exec_lo, exec_lo, s30
.LBB359_242:                            ;   in Loop: Header=BB359_10 Depth=1
	s_delay_alu instid0(SALU_CYCLE_1)
	s_or_b32 exec_lo, exec_lo, s29
	v_mov_b32_e32 v73, 0
	s_mov_b32 s29, exec_lo
	v_cmpx_lt_u64_e64 s[20:21], v[68:69]
	s_cbranch_execz .LBB359_9
; %bb.243:                              ;   in Loop: Header=BB359_10 Depth=1
	v_lshrrev_b32_e32 v68, 24, v69
	v_bfrev_b32_e32 v73, 1
	s_mov_b32 s30, exec_lo
	s_delay_alu instid0(VALU_DEP_2)
	v_cmpx_ne_u32_e32 0x80, v68
	s_cbranch_execz .LBB359_8
; %bb.244:                              ;   in Loop: Header=BB359_10 Depth=1
	v_bfe_u32 v74, v69, 24, 7
	v_mov_b32_e32 v73, 0x7f800001
	s_mov_b32 s31, exec_lo
	s_delay_alu instid0(VALU_DEP_2)
	v_cmpx_ne_u32_e32 0x7f, v74
	s_cbranch_execz .LBB359_7
; %bb.245:                              ;   in Loop: Header=BB359_10 Depth=1
	v_dual_lshrrev_b32 v69, 3, v74 :: v_dual_bitop2_b32 v2, 7, v68 bitop3:0x40
	s_mov_b32 s33, exec_lo
	v_cmpx_gt_u32_e32 8, v74
	s_cbranch_execz .LBB359_6
; %bb.246:                              ;   in Loop: Header=BB359_10 Depth=1
	s_delay_alu instid0(VALU_DEP_2) | instskip(NEXT) | instid1(VALU_DEP_1)
	v_clz_i32_u32_e32 v69, v2
	v_min_u32_e32 v69, 32, v69
	s_delay_alu instid0(VALU_DEP_1) | instskip(NEXT) | instid1(VALU_DEP_1)
	v_subrev_nc_u32_e32 v73, 28, v69
	v_lshlrev_b64_e32 v[74:75], v73, v[2:3]
	s_delay_alu instid0(VALU_DEP_1)
	v_dual_sub_nc_u32 v69, 29, v69 :: v_dual_bitop2_b32 v2, 7, v74 bitop3:0x40
	s_branch .LBB359_6
.LBB359_247:
	s_or_b32 exec_lo, exec_lo, s11
.LBB359_248:
	s_delay_alu instid0(SALU_CYCLE_1) | instskip(SKIP_4) | instid1(VALU_DEP_1)
	s_or_b32 exec_lo, exec_lo, s26
	v_mbcnt_lo_u32_b32 v5, -1, 0
	s_clause 0x1
	s_load_b64 s[4:5], s[0:1], 0x0
	s_load_b64 s[18:19], s[0:1], 0x18
	v_dual_max_num_f32 v6, v79, v79 :: v_dual_bitop2_b32 v2, 16, v5 bitop3:0x14
	v_xor_b32_e32 v4, 8, v5
	s_delay_alu instid0(VALU_DEP_2) | instskip(SKIP_1) | instid1(VALU_DEP_3)
	v_cmp_gt_i32_e32 vcc_lo, 32, v2
	v_cndmask_b32_e32 v2, v5, v2, vcc_lo
	v_cmp_gt_i32_e32 vcc_lo, 32, v4
	s_delay_alu instid0(VALU_DEP_2) | instskip(SKIP_3) | instid1(VALU_DEP_1)
	v_dual_lshlrev_b32 v2, 2, v2 :: v_dual_cndmask_b32 v4, v5, v4, vcc_lo
	ds_bpermute_b32 v3, v2, v79
	s_wait_dscnt 0x0
	v_dual_max_num_f32 v7, v3, v3 :: v_dual_lshlrev_b32 v3, 2, v4
	v_dual_max_num_f32 v6, v6, v7 :: v_dual_bitop2_b32 v7, 4, v5 bitop3:0x14
	ds_bpermute_b32 v4, v3, v6
	v_cmp_gt_i32_e32 vcc_lo, 32, v7
	s_wait_dscnt 0x0
	v_dual_cndmask_b32 v7, v5, v7 :: v_dual_max_num_f32 v8, v4, v4
	s_delay_alu instid0(VALU_DEP_1) | instskip(SKIP_3) | instid1(VALU_DEP_1)
	v_dual_lshlrev_b32 v4, 2, v7 :: v_dual_max_num_f32 v6, v6, v8
	ds_bpermute_b32 v7, v4, v6
	s_wait_dscnt 0x0
	v_dual_max_num_f32 v7, v7, v7 :: v_dual_bitop2_b32 v8, 2, v5 bitop3:0x14
	v_cmp_gt_i32_e32 vcc_lo, 32, v8
	s_delay_alu instid0(VALU_DEP_2) | instskip(NEXT) | instid1(VALU_DEP_1)
	v_dual_max_num_f32 v6, v6, v7 :: v_dual_cndmask_b32 v8, v5, v8, vcc_lo
	v_dual_lshlrev_b32 v26, 2, v8 :: v_dual_bitop2_b32 v8, 1, v5 bitop3:0x14
	ds_bpermute_b32 v7, v26, v6
	v_cmp_gt_i32_e32 vcc_lo, 32, v8
	v_cndmask_b32_e32 v5, v5, v8, vcc_lo
	v_cmp_eq_u32_e32 vcc_lo, 0, v76
	s_delay_alu instid0(VALU_DEP_2) | instskip(SKIP_2) | instid1(VALU_DEP_1)
	v_lshlrev_b32_e32 v27, 2, v5
	s_wait_dscnt 0x0
	v_dual_lshlrev_b32 v5, 2, v1 :: v_dual_max_num_f32 v7, v7, v7
	v_max_num_f32_e32 v6, v6, v7
	ds_bpermute_b32 v7, v27, v6
	s_wait_xcnt 0x0
	s_and_saveexec_b32 s0, vcc_lo
	s_cbranch_execz .LBB359_250
; %bb.249:
	s_wait_dscnt 0x0
	v_dual_max_num_f32 v7, v7, v7 :: v_dual_max_num_f32 v6, v6, v6
	s_delay_alu instid0(VALU_DEP_1)
	v_max_num_f32_e32 v6, v6, v7
	ds_store_b32 v5, v6 offset:64
.LBB359_250:
	s_or_b32 exec_lo, exec_lo, s0
	v_cmp_gt_u32_e64 s0, 4, v76
	v_mov_b32_e32 v6, 0xff7fffff
	s_wait_dscnt 0x0
	s_barrier_signal -1
	s_barrier_wait -1
	s_and_saveexec_b32 s1, s0
; %bb.251:
	ds_load_b32 v6, v78 offset:64
; %bb.252:
	s_or_b32 exec_lo, exec_lo, s1
	s_wait_dscnt 0x0
	ds_bpermute_b32 v7, v26, v6
	v_max_num_f32_e32 v6, v6, v6
	s_lshl_b32 s1, s13, 5
	s_delay_alu instid0(SALU_CYCLE_1) | instskip(NEXT) | instid1(SALU_CYCLE_1)
	s_min_i32 s11, s1, s25
	v_cmp_gt_i32_e64 s1, s11, v0
	s_wait_dscnt 0x0
	v_max_num_f32_e32 v7, v7, v7
	s_delay_alu instid0(VALU_DEP_1) | instskip(SKIP_3) | instid1(VALU_DEP_1)
	v_max_num_f32_e32 v6, v6, v7
	ds_bpermute_b32 v7, v27, v6
	s_wait_dscnt 0x0
	v_max_num_f32_e32 v7, v7, v7
	v_dual_max_num_f32 v7, v6, v7 :: v_dual_mov_b32 v6, 0
	ds_bpermute_b32 v7, v6, v7
	s_and_saveexec_b32 s20, s1
	s_cbranch_execz .LBB359_256
; %bb.253:
	v_lshl_add_u32 v8, v0, 2, 0x60
	v_dual_mov_b32 v6, 0 :: v_dual_mov_b32 v9, v0
	s_mov_b32 s21, 0
.LBB359_254:                            ; =>This Inner Loop Header: Depth=1
	ds_load_b32 v10, v8
	v_add_nc_u32_e32 v9, 0x80, v9
	s_delay_alu instid0(VALU_DEP_1) | instskip(SKIP_3) | instid1(VALU_DEP_1)
	v_cmp_le_i32_e64 s3, s11, v9
	s_or_b32 s21, s3, s21
	s_wait_dscnt 0x0
	v_sub_f32_e32 v10, v10, v7
	v_mul_f32_e32 v10, 0x3fb8aa3b, v10
	s_delay_alu instid0(VALU_DEP_1)
	v_exp_f32_e32 v10, v10
	ds_store_b32 v8, v10
	v_nop
	v_add_f32_e32 v6, v6, v10
	v_add_nc_u32_e32 v8, 0x200, v8
	s_and_not1_b32 exec_lo, exec_lo, s21
	s_cbranch_execnz .LBB359_254
; %bb.255:
	s_or_b32 exec_lo, exec_lo, s21
.LBB359_256:
	s_delay_alu instid0(SALU_CYCLE_1)
	s_or_b32 exec_lo, exec_lo, s20
	ds_bpermute_b32 v2, v2, v6
	s_wait_dscnt 0x0
	v_add_f32_e32 v2, v6, v2
	ds_bpermute_b32 v3, v3, v2
	s_wait_dscnt 0x0
	v_add_f32_e32 v2, v2, v3
	;; [unrolled: 3-line block ×5, first 2 shown]
	s_and_saveexec_b32 s3, vcc_lo
; %bb.257:
	ds_store_b32 v5, v2 offset:80
; %bb.258:
	s_or_b32 exec_lo, exec_lo, s3
	s_wait_dscnt 0x0
	s_barrier_signal -1
	s_barrier_wait -1
	s_and_saveexec_b32 s3, s0
; %bb.259:
	ds_load_b32 v2, v78 offset:80
; %bb.260:
	s_or_b32 exec_lo, exec_lo, s3
	s_wait_dscnt 0x0
	ds_bpermute_b32 v3, v26, v2
	s_wait_dscnt 0x0
	v_dual_mov_b32 v11, 0 :: v_dual_add_f32 v2, v2, v3
	ds_bpermute_b32 v3, v27, v2
	s_wait_dscnt 0x0
	v_add_f32_e32 v2, v2, v3
	ds_bpermute_b32 v2, v11, v2
	s_and_saveexec_b32 s0, s1
	s_cbranch_execz .LBB359_273
; %bb.261:
	s_wait_dscnt 0x0
	v_add_f32_e32 v2, 0x358637bd, v2
	s_mov_b32 s3, -1
	s_mov_b32 s1, exec_lo
	s_delay_alu instid0(VALU_DEP_1) | instskip(NEXT) | instid1(VALU_DEP_1)
	v_div_scale_f32 v3, null, v2, v2, 1.0
	v_rcp_f32_e32 v5, v3
	v_nop
	s_delay_alu instid0(TRANS32_DEP_1) | instskip(NEXT) | instid1(VALU_DEP_1)
	v_fma_f32 v4, -v3, v5, 1.0
	v_fmac_f32_e32 v5, v4, v5
	v_div_scale_f32 v6, vcc_lo, 1.0, v2, 1.0
	s_delay_alu instid0(VALU_DEP_1) | instskip(NEXT) | instid1(VALU_DEP_1)
	v_mul_f32_e32 v7, v6, v5
	v_fma_f32 v4, -v3, v7, v6
	s_delay_alu instid0(VALU_DEP_1) | instskip(SKIP_1) | instid1(VALU_DEP_2)
	v_fmac_f32_e32 v7, v4, v5
	v_xad_u32 v4, v0, -1, s11
	v_fma_f32 v3, -v3, v7, v6
	s_delay_alu instid0(VALU_DEP_1) | instskip(NEXT) | instid1(VALU_DEP_1)
	v_div_fmas_f32 v3, v3, v5, v7
	v_div_fixup_f32 v2, v3, v2, 1.0
	v_mov_b32_e32 v3, v0
	v_cmpx_lt_u32_e32 0x7f, v4
	s_cbranch_execz .LBB359_270
; %bb.262:
	s_delay_alu instid0(VALU_DEP_3) | instskip(NEXT) | instid1(VALU_DEP_1)
	v_dual_mov_b32 v3, v2 :: v_dual_lshrrev_b32 v4, 7, v4
	v_dual_mov_b32 v8, 0 :: v_dual_add_nc_u32 v5, -1, v4
	s_delay_alu instid0(VALU_DEP_1) | instskip(SKIP_1) | instid1(VALU_DEP_2)
	v_lshrrev_b32_e32 v6, 1, v5
	v_cmp_lt_u32_e32 vcc_lo, 13, v5
	v_add_nc_u32_e32 v5, 1, v6
	s_and_saveexec_b32 s3, vcc_lo
	s_cbranch_execz .LBB359_266
; %bb.263:
	s_delay_alu instid0(VALU_DEP_1)
	v_and_b32_e32 v6, -8, v5
	v_lshl_add_u32 v7, v0, 2, 0x60
	s_mov_b32 s20, 0
	s_mov_b32 s21, 0
.LBB359_264:                            ; =>This Inner Loop Header: Depth=1
	ds_load_2addr_stride64_b32 v[8:9], v7 offset1:2
	ds_load_2addr_stride64_b32 v[12:13], v7 offset0:4 offset1:6
	ds_load_2addr_stride64_b32 v[14:15], v7 offset0:8 offset1:10
	ds_load_2addr_stride64_b32 v[16:17], v7 offset0:12 offset1:14
	ds_load_2addr_stride64_b32 v[18:19], v7 offset0:16 offset1:18
	ds_load_2addr_stride64_b32 v[20:21], v7 offset0:20 offset1:22
	ds_load_2addr_stride64_b32 v[22:23], v7 offset0:24 offset1:26
	ds_load_2addr_stride64_b32 v[24:25], v7 offset0:28 offset1:30
	s_add_co_i32 s21, s21, 16
	v_add_nc_u32_e32 v6, -8, v6
	s_wait_dscnt 0x7
	v_pk_mul_f32 v[8:9], v[2:3], v[8:9]
	s_wait_dscnt 0x6
	v_pk_mul_f32 v[12:13], v[2:3], v[12:13]
	s_wait_dscnt 0x5
	v_pk_mul_f32 v[14:15], v[2:3], v[14:15]
	s_wait_dscnt 0x4
	v_pk_mul_f32 v[16:17], v[2:3], v[16:17]
	s_wait_dscnt 0x3
	v_pk_mul_f32 v[18:19], v[2:3], v[18:19]
	s_wait_dscnt 0x2
	v_pk_mul_f32 v[20:21], v[2:3], v[20:21]
	s_wait_dscnt 0x1
	v_pk_mul_f32 v[22:23], v[2:3], v[22:23]
	s_wait_dscnt 0x0
	v_pk_mul_f32 v[24:25], v[2:3], v[24:25]
	ds_store_2addr_stride64_b32 v7, v8, v9 offset1:2
	ds_store_2addr_stride64_b32 v7, v12, v13 offset0:4 offset1:6
	ds_store_2addr_stride64_b32 v7, v14, v15 offset0:8 offset1:10
	;; [unrolled: 1-line block ×7, first 2 shown]
	v_mov_b32_e32 v8, s21
	v_cmp_eq_u32_e32 vcc_lo, 0, v6
	v_add_nc_u32_e32 v7, 0x2000, v7
	s_or_b32 s20, vcc_lo, s20
	s_delay_alu instid0(SALU_CYCLE_1)
	s_and_not1_b32 exec_lo, exec_lo, s20
	s_cbranch_execnz .LBB359_264
; %bb.265:
	s_or_b32 exec_lo, exec_lo, s20
.LBB359_266:
	s_delay_alu instid0(SALU_CYCLE_1) | instskip(NEXT) | instid1(VALU_DEP_1)
	s_or_b32 exec_lo, exec_lo, s3
	v_and_b32_e32 v5, 7, v5
	s_mov_b32 s20, 0
	s_mov_b32 s3, exec_lo
	s_delay_alu instid0(VALU_DEP_1)
	v_cmpx_ne_u32_e32 0, v5
	s_cbranch_execz .LBB359_269
; %bb.267:
	v_lshlrev_b32_e32 v6, 9, v8
	v_lshlrev_b32_e32 v7, 2, v0
	s_delay_alu instid0(VALU_DEP_1)
	v_add3_u32 v6, v6, v7, 0x60
.LBB359_268:                            ; =>This Inner Loop Header: Depth=1
	ds_load_2addr_stride64_b32 v[8:9], v6 offset1:2
	v_add_nc_u32_e32 v5, -1, v5
	s_delay_alu instid0(VALU_DEP_1)
	v_cmp_eq_u32_e32 vcc_lo, 0, v5
	s_or_b32 s20, vcc_lo, s20
	s_wait_dscnt 0x0
	v_pk_mul_f32 v[8:9], v[2:3], v[8:9]
	ds_store_2addr_stride64_b32 v6, v8, v9 offset1:2
	v_add_nc_u32_e32 v6, 0x400, v6
	s_and_not1_b32 exec_lo, exec_lo, s20
	s_cbranch_execnz .LBB359_268
.LBB359_269:
	s_or_b32 exec_lo, exec_lo, s3
	v_add_nc_u32_e32 v3, 1, v4
	s_delay_alu instid0(VALU_DEP_1) | instskip(NEXT) | instid1(VALU_DEP_1)
	v_and_b32_e32 v4, 0x3fffffe, v3
	v_cmp_ne_u32_e32 vcc_lo, v3, v4
	v_lshl_add_u32 v3, v4, 7, v0
	s_or_not1_b32 s3, vcc_lo, exec_lo
.LBB359_270:
	s_or_b32 exec_lo, exec_lo, s1
	s_delay_alu instid0(SALU_CYCLE_1)
	s_and_b32 exec_lo, exec_lo, s3
	s_cbranch_execz .LBB359_273
; %bb.271:
	v_lshl_add_u32 v4, v3, 2, 0x60
	s_mov_b32 s1, 0
.LBB359_272:                            ; =>This Inner Loop Header: Depth=1
	ds_load_b32 v5, v4
	v_add_nc_u32_e32 v3, 0x80, v3
	s_delay_alu instid0(VALU_DEP_1)
	v_cmp_le_i32_e32 vcc_lo, s11, v3
	s_or_b32 s1, vcc_lo, s1
	s_wait_dscnt 0x0
	v_mul_f32_e32 v5, v2, v5
	ds_store_b32 v4, v5
	v_add_nc_u32_e32 v4, 0x200, v4
	s_and_not1_b32 exec_lo, exec_lo, s1
	s_cbranch_execnz .LBB359_272
.LBB359_273:
	s_or_b32 exec_lo, exec_lo, s0
	v_dual_mov_b32 v10, 0 :: v_dual_bitop2_b32 v28, 3, v0 bitop3:0x40
	v_dual_mov_b32 v13, 0 :: v_dual_mov_b32 v12, 0
	s_wait_dscnt 0x0
	s_barrier_signal -1
	s_barrier_wait -1
	s_and_saveexec_b32 s1, s2
	s_cbranch_execz .LBB359_525
; %bb.274:
	v_dual_mov_b32 v15, 0 :: v_dual_lshlrev_b32 v2, 3, v0
	s_load_b32 s6, s[6:7], 0x0
	s_ashr_i32 s11, s10, 31
	v_dual_lshlrev_b32 v3, 5, v28 :: v_dual_lshlrev_b32 v4, 5, v1
	s_delay_alu instid0(VALU_DEP_2)
	v_and_b32_e32 v14, 0xf8, v2
	s_wait_kmcnt 0x0
	s_add_nc_u64 s[2:3], s[18:19], s[10:11]
	v_dual_mov_b32 v11, 0 :: v_dual_bitop2_b32 v2, 24, v2 bitop3:0x40
	v_lshl_or_b32 v3, v1, 7, v3
	v_add_nc_u64_e32 v[16:17], s[2:3], v[14:15]
	v_and_b32_e32 v14, 0x7c, v77
	s_lshl_b64 s[2:3], s[16:17], 2
	v_or3_b32 v29, v4, v2, 7
	s_add_nc_u64 s[2:3], s[14:15], s[2:3]
	v_dual_mov_b32 v13, 0 :: v_dual_add_nc_u32 v30, 0x60, v3
	v_add_nc_u64_e32 v[18:19], s[2:3], v[14:15]
	v_dual_mov_b32 v10, 0 :: v_dual_mov_b32 v12, 0
	v_mov_b32_e32 v31, v1
	s_mov_b64 s[2:3], 0xffffffffffffff
	s_mov_b32 s7, s9
	s_add_co_i32 s10, s13, -1
	s_mov_b32 s9, 0
	s_branch .LBB359_276
.LBB359_275:                            ;   in Loop: Header=BB359_276 Depth=1
	s_or_b32 exec_lo, exec_lo, s0
	s_wait_dscnt 0x1
	v_cvt_pk_bf16_f32 v6, v6, v7
	v_perm_b32 v7, v59, v60, 0x5040100
	v_cvt_pk_bf16_f32 v8, v8, v9
	v_perm_b32 v9, v57, v58, 0x5040100
	s_wait_dscnt 0x0
	v_cvt_pk_bf16_f32 v2, v2, v3
	v_perm_b32 v3, v55, v56, 0x5040100
	v_pk_mul_bf16 v7, v6, v7
	v_cvt_pk_bf16_f32 v4, v4, v5
	v_pk_mul_bf16 v9, v8, v9
	v_perm_b32 v5, v25, v24, 0x5040100
	v_pk_mul_bf16 v3, v2, v3
	v_lshlrev_b32_e32 v40, 16, v7
	v_and_b32_e32 v7, 0xffff0000, v7
	v_lshlrev_b32_e32 v41, 16, v9
	v_and_b32_e32 v9, 0xffff0000, v9
	v_pk_mul_bf16 v5, v4, v5
	v_lshlrev_b32_e32 v24, 16, v3
	v_add_f32_e32 v7, v40, v7
	v_and_b32_e32 v3, 0xffff0000, v3
	v_add_f32_e32 v9, v41, v9
	v_lshlrev_b32_e32 v25, 16, v5
	v_and_b32_e32 v5, 0xffff0000, v5
	v_perm_b32 v41, v50, v49, 0x5040100
	v_add_f32_e32 v3, v24, v3
	v_add_f32_e32 v7, v9, v7
	v_perm_b32 v9, v53, v54, 0x5040100
	v_perm_b32 v24, v51, v52, 0x5040100
	v_add_f32_e32 v25, v25, v5
	v_add_nc_u64_e32 v[18:19], 16, v[18:19]
	v_add_nc_u32_e32 v29, 0x80, v29
	v_pk_mul_bf16 v9, v6, v9
	v_pk_mul_bf16 v24, v8, v24
	v_add_f32_e32 v40, v3, v7
	v_add_nc_u32_e32 v30, 0x200, v30
	s_delay_alu instid0(VALU_DEP_4)
	v_dual_add_nc_u32 v31, 4, v31 :: v_dual_lshlrev_b32 v3, 16, v9
	v_and_b32_e32 v5, 0xffff0000, v9
	v_lshlrev_b32_e32 v7, 16, v24
	v_and_b32_e32 v9, 0xffff0000, v24
	v_perm_b32 v24, v47, v48, 0x5040100
	v_cmp_le_i32_e32 vcc_lo, s13, v31
	s_delay_alu instid0(VALU_DEP_3) | instskip(SKIP_1) | instid1(VALU_DEP_4)
	v_add_f32_e32 v7, v7, v9
	v_perm_b32 v9, v36, v37, 0x5040100
	v_pk_mul_bf16 v24, v2, v24
	v_add_f32_e32 v3, v3, v5
	v_perm_b32 v5, v38, v39, 0x5040100
	v_pk_mul_bf16 v36, v4, v41
	s_or_b32 s9, vcc_lo, s9
	s_delay_alu instid0(VALU_DEP_2)
	v_pk_mul_bf16 v5, v6, v5
	v_add_f32_e32 v37, v7, v3
	v_pk_mul_bf16 v3, v8, v9
	v_lshlrev_b32_e32 v7, 16, v24
	v_and_b32_e32 v9, 0xffff0000, v24
	v_lshlrev_b32_e32 v24, 16, v5
	v_and_b32_e32 v5, 0xffff0000, v5
	;; [unrolled: 2-line block ×3, first 2 shown]
	v_add_f32_e32 v39, v7, v9
	v_perm_b32 v7, v32, v33, 0x5040100
	v_dual_add_f32 v5, v24, v5 :: v_dual_lshlrev_b32 v24, 16, v36
	s_delay_alu instid0(VALU_DEP_4) | instskip(SKIP_1) | instid1(VALU_DEP_4)
	v_add_f32_e32 v3, v38, v3
	v_perm_b32 v9, v35, v34, 0x5040100
	v_pk_mul_bf16 v7, v2, v7
	v_and_b32_e32 v32, 0xffff0000, v36
	s_delay_alu instid0(VALU_DEP_4)
	v_add_f32_e32 v34, v3, v5
	v_perm_b32 v3, v62, v61, 0x5040100
	v_perm_b32 v5, v22, v63, 0x5040100
	v_pk_mul_bf16 v33, v4, v9
	v_lshlrev_b32_e32 v35, 16, v7
	v_perm_b32 v9, v14, v20, 0x5040100
	v_perm_b32 v14, v23, v21, 0x5040100
	v_pk_mul_bf16 v6, v6, v3
	v_and_b32_e32 v20, 0xffff0000, v7
	v_pk_mul_bf16 v7, v8, v5
	v_pk_mul_bf16 v8, v2, v9
	;; [unrolled: 1-line block ×3, first 2 shown]
	v_and_b32_e32 v3, 0xffff0000, v6
	s_delay_alu instid0(VALU_DEP_4) | instskip(SKIP_4) | instid1(VALU_DEP_4)
	v_dual_lshlrev_b32 v5, 16, v6 :: v_dual_lshlrev_b32 v4, 16, v7
	v_and_b32_e32 v2, 0xffff0000, v7
	v_and_b32_e32 v7, 0xffff0000, v8
	v_dual_lshlrev_b32 v9, 16, v8 :: v_dual_lshlrev_b32 v8, 16, v14
	v_and_b32_e32 v6, 0xffff0000, v14
	v_pk_add_f32 v[2:3], v[4:5], v[2:3]
	v_dual_add_f32 v14, v35, v20 :: v_dual_lshlrev_b32 v20, 16, v33
	v_and_b32_e32 v21, 0xffff0000, v33
	s_delay_alu instid0(VALU_DEP_4) | instskip(NEXT) | instid1(VALU_DEP_4)
	v_pk_add_f32 v[4:5], v[8:9], v[6:7]
	v_dual_add_f32 v2, v2, v3 :: v_dual_add_f32 v3, v39, v37
	s_delay_alu instid0(VALU_DEP_4) | instskip(NEXT) | instid1(VALU_DEP_2)
	v_dual_add_f32 v6, v24, v32 :: v_dual_add_f32 v7, v14, v34
	v_dual_add_f32 v8, v20, v21 :: v_dual_add_f32 v2, v5, v2
	s_delay_alu instid0(VALU_DEP_2) | instskip(NEXT) | instid1(VALU_DEP_2)
	v_dual_add_f32 v5, v25, v40 :: v_dual_add_f32 v3, v6, v3
	v_add_f32_e32 v6, v8, v7
	s_delay_alu instid0(VALU_DEP_2) | instskip(NEXT) | instid1(VALU_DEP_2)
	v_dual_add_f32 v2, v4, v2 :: v_dual_add_f32 v10, v10, v5
	v_dual_add_f32 v13, v13, v3 :: v_dual_add_f32 v12, v12, v6
	s_delay_alu instid0(VALU_DEP_2)
	v_add_f32_e32 v11, v11, v2
	s_and_not1_b32 exec_lo, exec_lo, s9
	s_cbranch_execz .LBB359_524
.LBB359_276:                            ; =>This Inner Loop Header: Depth=1
	global_load_b32 v2, v[18:19], off
	v_mov_b32_e32 v34, 0
	s_mov_b32 s0, exec_lo
	s_wait_loadcnt 0x0
	v_mad_nc_i64_i32 v[20:21], v2, s7, v[16:17]
	global_load_b64 v[22:23], v[20:21], off
	ds_load_2addr_b64 v[6:9], v30 offset1:1
	ds_load_2addr_b64 v[2:5], v30 offset0:2 offset1:3
	s_wait_loadcnt 0x0
	v_and_b32_e32 v14, 0xff, v22
	s_delay_alu instid0(VALU_DEP_1)
	v_cmpx_ne_u16_e32 0, v14
	s_cbranch_execz .LBB359_282
; %bb.277:                              ;   in Loop: Header=BB359_276 Depth=1
	v_bfrev_b32_e32 v34, 1
	s_mov_b32 s11, exec_lo
	v_cmpx_ne_u16_e32 0x80, v14
	s_cbranch_execz .LBB359_281
; %bb.278:                              ;   in Loop: Header=BB359_276 Depth=1
	v_and_b32_e32 v14, 0x7f, v22
	v_mov_b32_e32 v34, 0x7f800001
	s_mov_b32 s14, exec_lo
	s_delay_alu instid0(VALU_DEP_2)
	v_cmpx_ne_u32_e32 0x7f, v14
	s_cbranch_execz .LBB359_280
; %bb.279:                              ;   in Loop: Header=BB359_276 Depth=1
	v_and_b32_e32 v24, 7, v22
	v_cmp_gt_u32_e32 vcc_lo, 8, v14
	s_delay_alu instid0(VALU_DEP_2) | instskip(NEXT) | instid1(VALU_DEP_1)
	v_clz_i32_u32_e32 v24, v24
	v_min_u32_e32 v24, 32, v24
	v_lshrrev_b32_e32 v25, 3, v14
	s_delay_alu instid0(VALU_DEP_2) | instskip(SKIP_1) | instid1(VALU_DEP_1)
	v_subrev_nc_u32_e32 v32, 28, v24
	v_sub_nc_u32_e32 v24, 29, v24
	v_cndmask_b32_e32 v14, v25, v24, vcc_lo
	s_delay_alu instid0(VALU_DEP_3) | instskip(NEXT) | instid1(VALU_DEP_1)
	v_cndmask_b32_e32 v24, 0, v32, vcc_lo
	v_lshlrev_b64_e32 v[24:25], v24, v[22:23]
	v_lshlrev_b32_e32 v25, 24, v22
	s_delay_alu instid0(VALU_DEP_1) | instskip(NEXT) | instid1(VALU_DEP_3)
	v_and_b32_e32 v25, 0x80000000, v25
	v_lshlrev_b32_e32 v24, 20, v24
	v_lshl_add_u32 v14, v14, 23, 0x3c000000
	s_delay_alu instid0(VALU_DEP_2) | instskip(NEXT) | instid1(VALU_DEP_1)
	v_and_b32_e32 v24, 0x700000, v24
	v_or3_b32 v34, v24, v25, v14
.LBB359_280:                            ;   in Loop: Header=BB359_276 Depth=1
	s_or_b32 exec_lo, exec_lo, s14
.LBB359_281:                            ;   in Loop: Header=BB359_276 Depth=1
	s_delay_alu instid0(SALU_CYCLE_1)
	s_or_b32 exec_lo, exec_lo, s11
.LBB359_282:                            ;   in Loop: Header=BB359_276 Depth=1
	s_delay_alu instid0(SALU_CYCLE_1) | instskip(SKIP_3) | instid1(VALU_DEP_2)
	s_or_b32 exec_lo, exec_lo, s0
	v_lshrrev_b16 v14, 8, v22
	v_dual_mov_b32 v35, 0 :: v_dual_mov_b32 v38, 0
	s_mov_b32 s0, exec_lo
	v_cmpx_ne_u16_e32 0, v14
	s_cbranch_execz .LBB359_290
; %bb.283:                              ;   in Loop: Header=BB359_276 Depth=1
	v_bfrev_b32_e32 v38, 1
	s_mov_b32 s11, exec_lo
	v_cmpx_ne_u16_e32 0x80, v14
	s_cbranch_execz .LBB359_289
; %bb.284:                              ;   in Loop: Header=BB359_276 Depth=1
	v_and_b32_e32 v14, 0xffff, v14
	v_mov_b32_e32 v38, 0x7f800001
	s_mov_b32 s14, exec_lo
	s_delay_alu instid0(VALU_DEP_2) | instskip(NEXT) | instid1(VALU_DEP_1)
	v_and_b32_e32 v25, 0x7f, v14
	v_cmpx_ne_u32_e32 0x7f, v25
	s_cbranch_execz .LBB359_288
; %bb.285:                              ;   in Loop: Header=BB359_276 Depth=1
	v_dual_lshrrev_b32 v24, 3, v25 :: v_dual_bitop2_b32 v14, 7, v14 bitop3:0x40
	s_mov_b32 s15, exec_lo
	v_cmpx_gt_u32_e32 8, v25
; %bb.286:                              ;   in Loop: Header=BB359_276 Depth=1
	s_delay_alu instid0(VALU_DEP_2) | instskip(NEXT) | instid1(VALU_DEP_1)
	v_clz_i32_u32_e32 v24, v14
	v_min_u32_e32 v24, 32, v24
	s_delay_alu instid0(VALU_DEP_1) | instskip(SKIP_1) | instid1(VALU_DEP_2)
	v_subrev_nc_u32_e32 v25, 28, v24
	v_sub_nc_u32_e32 v24, 29, v24
	v_lshlrev_b64_e32 v[32:33], v25, v[14:15]
	s_delay_alu instid0(VALU_DEP_1)
	v_and_b32_e32 v14, 7, v32
; %bb.287:                              ;   in Loop: Header=BB359_276 Depth=1
	s_or_b32 exec_lo, exec_lo, s15
	v_lshlrev_b32_e32 v25, 16, v22
	s_delay_alu instid0(VALU_DEP_2) | instskip(SKIP_1) | instid1(VALU_DEP_3)
	v_lshlrev_b32_e32 v14, 20, v14
	v_lshl_add_u32 v24, v24, 23, 0x3c000000
	v_and_b32_e32 v25, 0x80000000, v25
	s_delay_alu instid0(VALU_DEP_1)
	v_or3_b32 v38, v14, v25, v24
.LBB359_288:                            ;   in Loop: Header=BB359_276 Depth=1
	s_or_b32 exec_lo, exec_lo, s14
.LBB359_289:                            ;   in Loop: Header=BB359_276 Depth=1
	s_delay_alu instid0(SALU_CYCLE_1)
	s_or_b32 exec_lo, exec_lo, s11
.LBB359_290:                            ;   in Loop: Header=BB359_276 Depth=1
	s_delay_alu instid0(SALU_CYCLE_1) | instskip(SKIP_2) | instid1(VALU_DEP_1)
	s_or_b32 exec_lo, exec_lo, s0
	v_lshrrev_b32_e32 v24, 16, v22
	s_mov_b32 s0, exec_lo
	v_and_b32_e32 v14, 0xff, v24
	s_delay_alu instid0(VALU_DEP_1)
	v_cmpx_ne_u16_e32 0, v14
	s_cbranch_execz .LBB359_298
; %bb.291:                              ;   in Loop: Header=BB359_276 Depth=1
	v_bfrev_b32_e32 v35, 1
	s_mov_b32 s11, exec_lo
	v_cmpx_ne_u16_e32 0x80, v14
	s_cbranch_execz .LBB359_297
; %bb.292:                              ;   in Loop: Header=BB359_276 Depth=1
	v_bfe_u32 v32, v22, 16, 7
	v_mov_b32_e32 v35, 0x7f800001
	s_mov_b32 s14, exec_lo
	s_delay_alu instid0(VALU_DEP_2)
	v_cmpx_ne_u32_e32 0x7f, v32
	s_cbranch_execz .LBB359_296
; %bb.293:                              ;   in Loop: Header=BB359_276 Depth=1
	v_and_b32_e32 v14, 7, v24
	v_lshrrev_b32_e32 v25, 3, v32
	s_mov_b32 s15, exec_lo
	v_cmpx_gt_u32_e32 8, v32
; %bb.294:                              ;   in Loop: Header=BB359_276 Depth=1
	s_delay_alu instid0(VALU_DEP_3) | instskip(NEXT) | instid1(VALU_DEP_1)
	v_clz_i32_u32_e32 v25, v14
	v_min_u32_e32 v25, 32, v25
	s_delay_alu instid0(VALU_DEP_1) | instskip(NEXT) | instid1(VALU_DEP_1)
	v_subrev_nc_u32_e32 v32, 28, v25
	v_lshlrev_b64_e32 v[32:33], v32, v[14:15]
	s_delay_alu instid0(VALU_DEP_1)
	v_dual_sub_nc_u32 v25, 29, v25 :: v_dual_bitop2_b32 v14, 7, v32 bitop3:0x40
; %bb.295:                              ;   in Loop: Header=BB359_276 Depth=1
	s_or_b32 exec_lo, exec_lo, s15
	s_delay_alu instid0(VALU_DEP_1) | instskip(NEXT) | instid1(VALU_DEP_2)
	v_dual_lshlrev_b32 v24, 24, v24 :: v_dual_lshlrev_b32 v14, 20, v14
	v_lshl_add_u32 v25, v25, 23, 0x3c000000
	s_delay_alu instid0(VALU_DEP_2) | instskip(NEXT) | instid1(VALU_DEP_1)
	v_and_b32_e32 v24, 0x80000000, v24
	v_or3_b32 v35, v14, v24, v25
.LBB359_296:                            ;   in Loop: Header=BB359_276 Depth=1
	s_or_b32 exec_lo, exec_lo, s14
.LBB359_297:                            ;   in Loop: Header=BB359_276 Depth=1
	s_delay_alu instid0(SALU_CYCLE_1)
	s_or_b32 exec_lo, exec_lo, s11
.LBB359_298:                            ;   in Loop: Header=BB359_276 Depth=1
	s_delay_alu instid0(SALU_CYCLE_1)
	s_or_b32 exec_lo, exec_lo, s0
	v_dual_mov_b32 v33, 0 :: v_dual_mov_b32 v36, 0
	s_mov_b32 s0, exec_lo
	v_cmpx_lt_u32_e32 0xffffff, v22
	s_cbranch_execz .LBB359_306
; %bb.299:                              ;   in Loop: Header=BB359_276 Depth=1
	v_lshrrev_b32_e32 v24, 24, v22
	v_bfrev_b32_e32 v36, 1
	s_mov_b32 s11, exec_lo
	s_delay_alu instid0(VALU_DEP_2)
	v_cmpx_ne_u32_e32 0x80, v24
	s_cbranch_execz .LBB359_305
; %bb.300:                              ;   in Loop: Header=BB359_276 Depth=1
	v_bfe_u32 v32, v22, 24, 7
	v_mov_b32_e32 v36, 0x7f800001
	s_mov_b32 s14, exec_lo
	s_delay_alu instid0(VALU_DEP_2)
	v_cmpx_ne_u32_e32 0x7f, v32
	s_cbranch_execz .LBB359_304
; %bb.301:                              ;   in Loop: Header=BB359_276 Depth=1
	v_and_b32_e32 v14, 7, v24
	v_lshrrev_b32_e32 v25, 3, v32
	s_mov_b32 s15, exec_lo
	v_cmpx_gt_u32_e32 8, v32
; %bb.302:                              ;   in Loop: Header=BB359_276 Depth=1
	s_delay_alu instid0(VALU_DEP_3) | instskip(NEXT) | instid1(VALU_DEP_1)
	v_clz_i32_u32_e32 v25, v14
	v_min_u32_e32 v25, 32, v25
	s_delay_alu instid0(VALU_DEP_1) | instskip(NEXT) | instid1(VALU_DEP_1)
	v_subrev_nc_u32_e32 v32, 28, v25
	v_lshlrev_b64_e32 v[36:37], v32, v[14:15]
	s_delay_alu instid0(VALU_DEP_1)
	v_dual_sub_nc_u32 v25, 29, v25 :: v_dual_bitop2_b32 v14, 7, v36 bitop3:0x40
; %bb.303:                              ;   in Loop: Header=BB359_276 Depth=1
	s_or_b32 exec_lo, exec_lo, s15
	s_delay_alu instid0(VALU_DEP_1) | instskip(NEXT) | instid1(VALU_DEP_2)
	v_dual_lshlrev_b32 v24, 24, v24 :: v_dual_lshlrev_b32 v14, 20, v14
	v_lshl_add_u32 v25, v25, 23, 0x3c000000
	s_delay_alu instid0(VALU_DEP_2) | instskip(NEXT) | instid1(VALU_DEP_1)
	v_and_b32_e32 v24, 0x80000000, v24
	v_or3_b32 v36, v14, v24, v25
.LBB359_304:                            ;   in Loop: Header=BB359_276 Depth=1
	s_or_b32 exec_lo, exec_lo, s14
.LBB359_305:                            ;   in Loop: Header=BB359_276 Depth=1
	s_delay_alu instid0(SALU_CYCLE_1)
	s_or_b32 exec_lo, exec_lo, s11
.LBB359_306:                            ;   in Loop: Header=BB359_276 Depth=1
	s_delay_alu instid0(SALU_CYCLE_1) | instskip(SKIP_3) | instid1(VALU_DEP_2)
	s_or_b32 exec_lo, exec_lo, s0
	v_and_b32_e32 v24, 0xff, v23
	v_mov_b32_e32 v14, v23
	s_mov_b32 s0, exec_lo
	v_cmpx_ne_u16_e32 0, v24
	s_cbranch_execz .LBB359_312
; %bb.307:                              ;   in Loop: Header=BB359_276 Depth=1
	v_bfrev_b32_e32 v33, 1
	s_mov_b32 s11, exec_lo
	v_cmpx_ne_u16_e32 0x80, v24
	s_cbranch_execz .LBB359_311
; %bb.308:                              ;   in Loop: Header=BB359_276 Depth=1
	v_and_b32_e32 v24, 0x7f, v23
	v_mov_b32_e32 v33, 0x7f800001
	s_mov_b32 s14, exec_lo
	s_delay_alu instid0(VALU_DEP_2)
	v_cmpx_ne_u32_e32 0x7f, v24
	s_cbranch_execz .LBB359_310
; %bb.309:                              ;   in Loop: Header=BB359_276 Depth=1
	v_dual_lshrrev_b32 v32, 3, v24 :: v_dual_bitop2_b32 v25, 7, v23 bitop3:0x40
	v_cmp_gt_u32_e32 vcc_lo, 8, v24
	s_delay_alu instid0(VALU_DEP_2) | instskip(NEXT) | instid1(VALU_DEP_1)
	v_clz_i32_u32_e32 v25, v25
	v_min_u32_e32 v25, 32, v25
	s_delay_alu instid0(VALU_DEP_1) | instskip(SKIP_1) | instid1(VALU_DEP_2)
	v_subrev_nc_u32_e32 v33, 28, v25
	v_sub_nc_u32_e32 v25, 29, v25
	v_cndmask_b32_e32 v24, 0, v33, vcc_lo
	s_delay_alu instid0(VALU_DEP_2) | instskip(NEXT) | instid1(VALU_DEP_2)
	v_cndmask_b32_e32 v32, v32, v25, vcc_lo
	v_lshlrev_b64_e32 v[24:25], v24, v[14:15]
	v_lshlrev_b32_e32 v25, 24, v14
	s_delay_alu instid0(VALU_DEP_3) | instskip(NEXT) | instid1(VALU_DEP_2)
	v_lshl_add_u32 v32, v32, 23, 0x3c000000
	v_and_b32_e32 v25, 0x80000000, v25
	s_delay_alu instid0(VALU_DEP_4) | instskip(NEXT) | instid1(VALU_DEP_1)
	v_lshlrev_b32_e32 v24, 20, v24
	v_and_b32_e32 v24, 0x700000, v24
	s_delay_alu instid0(VALU_DEP_1)
	v_or3_b32 v33, v24, v25, v32
.LBB359_310:                            ;   in Loop: Header=BB359_276 Depth=1
	s_or_b32 exec_lo, exec_lo, s14
.LBB359_311:                            ;   in Loop: Header=BB359_276 Depth=1
	s_delay_alu instid0(SALU_CYCLE_1)
	s_or_b32 exec_lo, exec_lo, s11
.LBB359_312:                            ;   in Loop: Header=BB359_276 Depth=1
	s_delay_alu instid0(SALU_CYCLE_1) | instskip(SKIP_3) | instid1(VALU_DEP_2)
	s_or_b32 exec_lo, exec_lo, s0
	v_lshrrev_b16 v25, 8, v14
	v_dual_mov_b32 v41, 0 :: v_dual_mov_b32 v24, 0
	s_mov_b32 s0, exec_lo
	v_cmpx_ne_u16_e32 0, v25
	s_cbranch_execz .LBB359_320
; %bb.313:                              ;   in Loop: Header=BB359_276 Depth=1
	v_bfrev_b32_e32 v24, 1
	s_mov_b32 s11, exec_lo
	v_cmpx_ne_u16_e32 0x80, v25
	s_cbranch_execz .LBB359_319
; %bb.314:                              ;   in Loop: Header=BB359_276 Depth=1
	v_and_b32_e32 v25, 0xffff, v25
	v_mov_b32_e32 v24, 0x7f800001
	s_mov_b32 s14, exec_lo
	s_delay_alu instid0(VALU_DEP_2) | instskip(NEXT) | instid1(VALU_DEP_1)
	v_and_b32_e32 v37, 0x7f, v25
	v_cmpx_ne_u32_e32 0x7f, v37
	s_cbranch_execz .LBB359_318
; %bb.315:                              ;   in Loop: Header=BB359_276 Depth=1
	v_dual_mov_b32 v25, v15 :: v_dual_bitop2_b32 v24, 7, v25 bitop3:0x40
	v_lshrrev_b32_e32 v32, 3, v37
	s_mov_b32 s15, exec_lo
	v_cmpx_gt_u32_e32 8, v37
; %bb.316:                              ;   in Loop: Header=BB359_276 Depth=1
	s_delay_alu instid0(VALU_DEP_3) | instskip(NEXT) | instid1(VALU_DEP_1)
	v_clz_i32_u32_e32 v32, v24
	v_min_u32_e32 v32, 32, v32
	s_delay_alu instid0(VALU_DEP_1) | instskip(SKIP_1) | instid1(VALU_DEP_2)
	v_subrev_nc_u32_e32 v37, 28, v32
	v_sub_nc_u32_e32 v32, 29, v32
	v_lshlrev_b64_e32 v[24:25], v37, v[24:25]
	s_delay_alu instid0(VALU_DEP_1)
	v_and_b32_e32 v24, 7, v24
; %bb.317:                              ;   in Loop: Header=BB359_276 Depth=1
	s_or_b32 exec_lo, exec_lo, s15
	s_delay_alu instid0(VALU_DEP_1) | instskip(SKIP_1) | instid1(VALU_DEP_2)
	v_dual_lshlrev_b32 v14, 16, v14 :: v_dual_lshlrev_b32 v24, 20, v24
	v_lshl_add_u32 v25, v32, 23, 0x3c000000
	v_and_b32_e32 v14, 0x80000000, v14
	s_delay_alu instid0(VALU_DEP_1)
	v_or3_b32 v24, v24, v14, v25
.LBB359_318:                            ;   in Loop: Header=BB359_276 Depth=1
	s_or_b32 exec_lo, exec_lo, s14
.LBB359_319:                            ;   in Loop: Header=BB359_276 Depth=1
	s_delay_alu instid0(SALU_CYCLE_1)
	s_or_b32 exec_lo, exec_lo, s11
.LBB359_320:                            ;   in Loop: Header=BB359_276 Depth=1
	s_delay_alu instid0(SALU_CYCLE_1) | instskip(SKIP_2) | instid1(VALU_DEP_1)
	s_or_b32 exec_lo, exec_lo, s0
	v_lshrrev_b32_e32 v25, 16, v23
	s_mov_b32 s0, exec_lo
	v_and_b32_e32 v14, 0xff, v25
	s_delay_alu instid0(VALU_DEP_1)
	v_cmpx_ne_u16_e32 0, v14
	s_cbranch_execz .LBB359_328
; %bb.321:                              ;   in Loop: Header=BB359_276 Depth=1
	v_bfrev_b32_e32 v41, 1
	s_mov_b32 s11, exec_lo
	v_cmpx_ne_u16_e32 0x80, v14
	s_cbranch_execz .LBB359_327
; %bb.322:                              ;   in Loop: Header=BB359_276 Depth=1
	v_bfe_u32 v37, v23, 16, 7
	v_mov_b32_e32 v41, 0x7f800001
	s_mov_b32 s14, exec_lo
	s_delay_alu instid0(VALU_DEP_2)
	v_cmpx_ne_u32_e32 0x7f, v37
	s_cbranch_execz .LBB359_326
; %bb.323:                              ;   in Loop: Header=BB359_276 Depth=1
	v_and_b32_e32 v14, 7, v25
	v_lshrrev_b32_e32 v32, 3, v37
	s_mov_b32 s15, exec_lo
	v_cmpx_gt_u32_e32 8, v37
; %bb.324:                              ;   in Loop: Header=BB359_276 Depth=1
	s_delay_alu instid0(VALU_DEP_3) | instskip(NEXT) | instid1(VALU_DEP_1)
	v_clz_i32_u32_e32 v32, v14
	v_min_u32_e32 v32, 32, v32
	s_delay_alu instid0(VALU_DEP_1) | instskip(SKIP_1) | instid1(VALU_DEP_2)
	v_subrev_nc_u32_e32 v37, 28, v32
	v_sub_nc_u32_e32 v32, 29, v32
	v_lshlrev_b64_e32 v[40:41], v37, v[14:15]
	s_delay_alu instid0(VALU_DEP_1)
	v_and_b32_e32 v14, 7, v40
; %bb.325:                              ;   in Loop: Header=BB359_276 Depth=1
	s_or_b32 exec_lo, exec_lo, s15
	s_delay_alu instid0(VALU_DEP_1) | instskip(SKIP_1) | instid1(VALU_DEP_2)
	v_dual_lshlrev_b32 v25, 24, v25 :: v_dual_lshlrev_b32 v14, 20, v14
	v_lshl_add_u32 v32, v32, 23, 0x3c000000
	v_and_b32_e32 v25, 0x80000000, v25
	s_delay_alu instid0(VALU_DEP_1)
	v_or3_b32 v41, v14, v25, v32
.LBB359_326:                            ;   in Loop: Header=BB359_276 Depth=1
	s_or_b32 exec_lo, exec_lo, s14
.LBB359_327:                            ;   in Loop: Header=BB359_276 Depth=1
	s_delay_alu instid0(SALU_CYCLE_1)
	s_or_b32 exec_lo, exec_lo, s11
.LBB359_328:                            ;   in Loop: Header=BB359_276 Depth=1
	s_delay_alu instid0(SALU_CYCLE_1)
	s_or_b32 exec_lo, exec_lo, s0
	v_mov_b32_e32 v14, 0
	s_mov_b32 s0, exec_lo
	v_cmpx_lt_u64_e64 s[2:3], v[22:23]
	s_cbranch_execz .LBB359_336
; %bb.329:                              ;   in Loop: Header=BB359_276 Depth=1
	v_lshrrev_b32_e32 v22, 24, v23
	v_bfrev_b32_e32 v14, 1
	s_mov_b32 s11, exec_lo
	s_delay_alu instid0(VALU_DEP_2)
	v_cmpx_ne_u32_e32 0x80, v22
	s_cbranch_execz .LBB359_335
; %bb.330:                              ;   in Loop: Header=BB359_276 Depth=1
	v_bfe_u32 v25, v23, 24, 7
	v_mov_b32_e32 v14, 0x7f800001
	s_mov_b32 s14, exec_lo
	s_delay_alu instid0(VALU_DEP_2)
	v_cmpx_ne_u32_e32 0x7f, v25
	s_cbranch_execz .LBB359_334
; %bb.331:                              ;   in Loop: Header=BB359_276 Depth=1
	v_dual_lshrrev_b32 v23, 3, v25 :: v_dual_bitop2_b32 v14, 7, v22 bitop3:0x40
	s_mov_b32 s15, exec_lo
	v_cmpx_gt_u32_e32 8, v25
; %bb.332:                              ;   in Loop: Header=BB359_276 Depth=1
	s_delay_alu instid0(VALU_DEP_2) | instskip(NEXT) | instid1(VALU_DEP_1)
	v_clz_i32_u32_e32 v23, v14
	v_min_u32_e32 v23, 32, v23
	s_delay_alu instid0(VALU_DEP_1) | instskip(NEXT) | instid1(VALU_DEP_1)
	v_subrev_nc_u32_e32 v25, 28, v23
	v_lshlrev_b64_e32 v[42:43], v25, v[14:15]
	s_delay_alu instid0(VALU_DEP_1)
	v_dual_sub_nc_u32 v23, 29, v23 :: v_dual_bitop2_b32 v14, 7, v42 bitop3:0x40
; %bb.333:                              ;   in Loop: Header=BB359_276 Depth=1
	s_or_b32 exec_lo, exec_lo, s15
	v_lshlrev_b32_e32 v22, 24, v22
	s_delay_alu instid0(VALU_DEP_2) | instskip(NEXT) | instid1(VALU_DEP_3)
	v_lshlrev_b32_e32 v14, 20, v14
	v_lshl_add_u32 v23, v23, 23, 0x3c000000
	s_delay_alu instid0(VALU_DEP_3) | instskip(NEXT) | instid1(VALU_DEP_1)
	v_and_b32_e32 v22, 0x80000000, v22
	v_or3_b32 v14, v14, v22, v23
.LBB359_334:                            ;   in Loop: Header=BB359_276 Depth=1
	s_or_b32 exec_lo, exec_lo, s14
.LBB359_335:                            ;   in Loop: Header=BB359_276 Depth=1
	s_delay_alu instid0(SALU_CYCLE_1)
	s_or_b32 exec_lo, exec_lo, s11
.LBB359_336:                            ;   in Loop: Header=BB359_276 Depth=1
	s_delay_alu instid0(SALU_CYCLE_1)
	s_or_b32 exec_lo, exec_lo, s0
	v_dual_add_nc_u32 v40, -7, v29 :: v_dual_add_nc_u32 v46, -6, v29
	v_cmp_eq_u32_e32 vcc_lo, s10, v31
	v_fma_mixlo_bf16 v32, s6, v24, 0
	v_fma_mixlo_bf16 v33, s6, v33, 0
	;; [unrolled: 1-line block ×8, first 2 shown]
	v_dual_add_nc_u32 v45, -5, v29 :: v_dual_add_nc_u32 v44, -4, v29
	v_dual_add_nc_u32 v43, -3, v29 :: v_dual_add_nc_u32 v42, -2, v29
	v_add_nc_u32_e32 v41, -1, v29
	s_and_saveexec_b32 s11, vcc_lo
	s_cbranch_execz .LBB359_338
; %bb.337:                              ;   in Loop: Header=BB359_276 Depth=1
	v_cmp_gt_i32_e64 s0, s25, v40
	s_delay_alu instid0(VALU_DEP_1) | instskip(SKIP_1) | instid1(VALU_DEP_1)
	v_cndmask_b32_e64 v39, 0, v39, s0
	v_cmp_gt_i32_e64 s0, s25, v46
	v_cndmask_b32_e64 v38, 0, v38, s0
	v_cmp_gt_i32_e64 s0, s25, v45
	s_delay_alu instid0(VALU_DEP_1) | instskip(SKIP_1) | instid1(VALU_DEP_1)
	v_cndmask_b32_e64 v37, 0, v37, s0
	v_cmp_gt_i32_e64 s0, s25, v44
	v_cndmask_b32_e64 v36, 0, v36, s0
	;; [unrolled: 5-line block ×4, first 2 shown]
.LBB359_338:                            ;   in Loop: Header=BB359_276 Depth=1
	s_or_b32 exec_lo, exec_lo, s11
	global_load_b64 v[22:23], v[20:21], off offset:256
	v_dual_mov_b32 v50, 0 :: v_dual_mov_b32 v49, 0
	s_mov_b32 s11, exec_lo
	s_wait_loadcnt 0x0
	v_and_b32_e32 v14, 0xff, v22
	s_delay_alu instid0(VALU_DEP_1)
	v_cmpx_ne_u16_e32 0, v14
	s_cbranch_execz .LBB359_344
; %bb.339:                              ;   in Loop: Header=BB359_276 Depth=1
	v_bfrev_b32_e32 v49, 1
	s_mov_b32 s14, exec_lo
	v_cmpx_ne_u16_e32 0x80, v14
	s_cbranch_execz .LBB359_343
; %bb.340:                              ;   in Loop: Header=BB359_276 Depth=1
	v_and_b32_e32 v14, 0x7f, v22
	v_mov_b32_e32 v49, 0x7f800001
	s_mov_b32 s15, exec_lo
	s_delay_alu instid0(VALU_DEP_2)
	v_cmpx_ne_u32_e32 0x7f, v14
	s_cbranch_execz .LBB359_342
; %bb.341:                              ;   in Loop: Header=BB359_276 Depth=1
	v_and_b32_e32 v24, 7, v22
	v_cmp_gt_u32_e64 s0, 8, v14
	s_delay_alu instid0(VALU_DEP_2) | instskip(NEXT) | instid1(VALU_DEP_1)
	v_clz_i32_u32_e32 v24, v24
	v_min_u32_e32 v24, 32, v24
	v_lshrrev_b32_e32 v25, 3, v14
	s_delay_alu instid0(VALU_DEP_2) | instskip(SKIP_1) | instid1(VALU_DEP_1)
	v_subrev_nc_u32_e32 v47, 28, v24
	v_sub_nc_u32_e32 v24, 29, v24
	v_dual_cndmask_b32 v14, v25, v24, s0 :: v_dual_cndmask_b32 v24, 0, v47, s0
	s_delay_alu instid0(VALU_DEP_1) | instskip(NEXT) | instid1(VALU_DEP_2)
	v_lshl_add_u32 v14, v14, 23, 0x3c000000
	v_lshlrev_b64_e32 v[24:25], v24, v[22:23]
	v_lshlrev_b32_e32 v25, 24, v22
	s_delay_alu instid0(VALU_DEP_1) | instskip(NEXT) | instid1(VALU_DEP_3)
	v_and_b32_e32 v25, 0x80000000, v25
	v_lshlrev_b32_e32 v24, 20, v24
	s_delay_alu instid0(VALU_DEP_1) | instskip(NEXT) | instid1(VALU_DEP_1)
	v_and_b32_e32 v24, 0x700000, v24
	v_or3_b32 v49, v24, v25, v14
.LBB359_342:                            ;   in Loop: Header=BB359_276 Depth=1
	s_or_b32 exec_lo, exec_lo, s15
.LBB359_343:                            ;   in Loop: Header=BB359_276 Depth=1
	s_delay_alu instid0(SALU_CYCLE_1)
	s_or_b32 exec_lo, exec_lo, s14
.LBB359_344:                            ;   in Loop: Header=BB359_276 Depth=1
	s_delay_alu instid0(SALU_CYCLE_1) | instskip(SKIP_2) | instid1(VALU_DEP_1)
	s_or_b32 exec_lo, exec_lo, s11
	v_lshrrev_b16 v14, 8, v22
	s_mov_b32 s11, exec_lo
	v_cmpx_ne_u16_e32 0, v14
	s_cbranch_execz .LBB359_352
; %bb.345:                              ;   in Loop: Header=BB359_276 Depth=1
	v_bfrev_b32_e32 v50, 1
	s_mov_b32 s14, exec_lo
	v_cmpx_ne_u16_e32 0x80, v14
	s_cbranch_execz .LBB359_351
; %bb.346:                              ;   in Loop: Header=BB359_276 Depth=1
	v_and_b32_e32 v14, 0xffff, v14
	v_mov_b32_e32 v50, 0x7f800001
	s_mov_b32 s15, exec_lo
	s_delay_alu instid0(VALU_DEP_2) | instskip(NEXT) | instid1(VALU_DEP_1)
	v_and_b32_e32 v25, 0x7f, v14
	v_cmpx_ne_u32_e32 0x7f, v25
	s_cbranch_execz .LBB359_350
; %bb.347:                              ;   in Loop: Header=BB359_276 Depth=1
	v_dual_lshrrev_b32 v24, 3, v25 :: v_dual_bitop2_b32 v14, 7, v14 bitop3:0x40
	s_mov_b32 s16, exec_lo
	v_cmpx_gt_u32_e32 8, v25
; %bb.348:                              ;   in Loop: Header=BB359_276 Depth=1
	s_delay_alu instid0(VALU_DEP_2) | instskip(NEXT) | instid1(VALU_DEP_1)
	v_clz_i32_u32_e32 v24, v14
	v_min_u32_e32 v24, 32, v24
	s_delay_alu instid0(VALU_DEP_1) | instskip(NEXT) | instid1(VALU_DEP_1)
	v_subrev_nc_u32_e32 v25, 28, v24
	v_lshlrev_b64_e32 v[50:51], v25, v[14:15]
	s_delay_alu instid0(VALU_DEP_1)
	v_dual_sub_nc_u32 v24, 29, v24 :: v_dual_bitop2_b32 v14, 7, v50 bitop3:0x40
; %bb.349:                              ;   in Loop: Header=BB359_276 Depth=1
	s_or_b32 exec_lo, exec_lo, s16
	v_lshlrev_b32_e32 v25, 16, v22
	s_delay_alu instid0(VALU_DEP_2) | instskip(NEXT) | instid1(VALU_DEP_3)
	v_lshlrev_b32_e32 v14, 20, v14
	v_lshl_add_u32 v24, v24, 23, 0x3c000000
	s_delay_alu instid0(VALU_DEP_3) | instskip(NEXT) | instid1(VALU_DEP_1)
	v_and_b32_e32 v25, 0x80000000, v25
	v_or3_b32 v50, v14, v25, v24
.LBB359_350:                            ;   in Loop: Header=BB359_276 Depth=1
	s_or_b32 exec_lo, exec_lo, s15
.LBB359_351:                            ;   in Loop: Header=BB359_276 Depth=1
	s_delay_alu instid0(SALU_CYCLE_1)
	s_or_b32 exec_lo, exec_lo, s14
.LBB359_352:                            ;   in Loop: Header=BB359_276 Depth=1
	s_delay_alu instid0(SALU_CYCLE_1) | instskip(SKIP_3) | instid1(VALU_DEP_2)
	s_or_b32 exec_lo, exec_lo, s11
	v_dual_mov_b32 v51, 0 :: v_dual_lshrrev_b32 v24, 16, v22
	v_mov_b32_e32 v52, 0
	s_mov_b32 s11, exec_lo
	v_and_b32_e32 v14, 0xff, v24
	s_delay_alu instid0(VALU_DEP_1)
	v_cmpx_ne_u16_e32 0, v14
	s_cbranch_execz .LBB359_360
; %bb.353:                              ;   in Loop: Header=BB359_276 Depth=1
	v_bfrev_b32_e32 v52, 1
	s_mov_b32 s14, exec_lo
	v_cmpx_ne_u16_e32 0x80, v14
	s_cbranch_execz .LBB359_359
; %bb.354:                              ;   in Loop: Header=BB359_276 Depth=1
	v_bfe_u32 v47, v22, 16, 7
	v_mov_b32_e32 v52, 0x7f800001
	s_mov_b32 s15, exec_lo
	s_delay_alu instid0(VALU_DEP_2)
	v_cmpx_ne_u32_e32 0x7f, v47
	s_cbranch_execz .LBB359_358
; %bb.355:                              ;   in Loop: Header=BB359_276 Depth=1
	v_dual_lshrrev_b32 v25, 3, v47 :: v_dual_bitop2_b32 v14, 7, v24 bitop3:0x40
	s_mov_b32 s16, exec_lo
	v_cmpx_gt_u32_e32 8, v47
; %bb.356:                              ;   in Loop: Header=BB359_276 Depth=1
	s_delay_alu instid0(VALU_DEP_2) | instskip(NEXT) | instid1(VALU_DEP_1)
	v_clz_i32_u32_e32 v25, v14
	v_min_u32_e32 v25, 32, v25
	s_delay_alu instid0(VALU_DEP_1) | instskip(NEXT) | instid1(VALU_DEP_1)
	v_subrev_nc_u32_e32 v47, 28, v25
	v_lshlrev_b64_e32 v[52:53], v47, v[14:15]
	s_delay_alu instid0(VALU_DEP_1)
	v_dual_sub_nc_u32 v25, 29, v25 :: v_dual_bitop2_b32 v14, 7, v52 bitop3:0x40
; %bb.357:                              ;   in Loop: Header=BB359_276 Depth=1
	s_or_b32 exec_lo, exec_lo, s16
	s_delay_alu instid0(VALU_DEP_1) | instskip(NEXT) | instid1(VALU_DEP_2)
	v_dual_lshlrev_b32 v24, 24, v24 :: v_dual_lshlrev_b32 v14, 20, v14
	v_lshl_add_u32 v25, v25, 23, 0x3c000000
	s_delay_alu instid0(VALU_DEP_2) | instskip(NEXT) | instid1(VALU_DEP_1)
	v_and_b32_e32 v24, 0x80000000, v24
	v_or3_b32 v52, v14, v24, v25
.LBB359_358:                            ;   in Loop: Header=BB359_276 Depth=1
	s_or_b32 exec_lo, exec_lo, s15
.LBB359_359:                            ;   in Loop: Header=BB359_276 Depth=1
	s_delay_alu instid0(SALU_CYCLE_1)
	s_or_b32 exec_lo, exec_lo, s14
.LBB359_360:                            ;   in Loop: Header=BB359_276 Depth=1
	s_delay_alu instid0(SALU_CYCLE_1) | instskip(NEXT) | instid1(SALU_CYCLE_1)
	s_or_b32 exec_lo, exec_lo, s11
	s_mov_b32 s11, exec_lo
	v_cmpx_lt_u32_e32 0xffffff, v22
	s_cbranch_execz .LBB359_368
; %bb.361:                              ;   in Loop: Header=BB359_276 Depth=1
	v_lshrrev_b32_e32 v24, 24, v22
	v_bfrev_b32_e32 v51, 1
	s_mov_b32 s14, exec_lo
	s_delay_alu instid0(VALU_DEP_2)
	v_cmpx_ne_u32_e32 0x80, v24
	s_cbranch_execz .LBB359_367
; %bb.362:                              ;   in Loop: Header=BB359_276 Depth=1
	v_bfe_u32 v47, v22, 24, 7
	v_mov_b32_e32 v51, 0x7f800001
	s_mov_b32 s15, exec_lo
	s_delay_alu instid0(VALU_DEP_2)
	v_cmpx_ne_u32_e32 0x7f, v47
	s_cbranch_execz .LBB359_366
; %bb.363:                              ;   in Loop: Header=BB359_276 Depth=1
	v_dual_lshrrev_b32 v25, 3, v47 :: v_dual_bitop2_b32 v14, 7, v24 bitop3:0x40
	s_mov_b32 s16, exec_lo
	v_cmpx_gt_u32_e32 8, v47
; %bb.364:                              ;   in Loop: Header=BB359_276 Depth=1
	s_delay_alu instid0(VALU_DEP_2) | instskip(NEXT) | instid1(VALU_DEP_1)
	v_clz_i32_u32_e32 v25, v14
	v_min_u32_e32 v25, 32, v25
	s_delay_alu instid0(VALU_DEP_1) | instskip(NEXT) | instid1(VALU_DEP_1)
	v_subrev_nc_u32_e32 v47, 28, v25
	v_lshlrev_b64_e32 v[54:55], v47, v[14:15]
	s_delay_alu instid0(VALU_DEP_1)
	v_dual_sub_nc_u32 v25, 29, v25 :: v_dual_bitop2_b32 v14, 7, v54 bitop3:0x40
; %bb.365:                              ;   in Loop: Header=BB359_276 Depth=1
	s_or_b32 exec_lo, exec_lo, s16
	s_delay_alu instid0(VALU_DEP_1) | instskip(NEXT) | instid1(VALU_DEP_2)
	v_dual_lshlrev_b32 v24, 24, v24 :: v_dual_lshlrev_b32 v14, 20, v14
	v_lshl_add_u32 v25, v25, 23, 0x3c000000
	s_delay_alu instid0(VALU_DEP_2) | instskip(NEXT) | instid1(VALU_DEP_1)
	v_and_b32_e32 v24, 0x80000000, v24
	v_or3_b32 v51, v14, v24, v25
.LBB359_366:                            ;   in Loop: Header=BB359_276 Depth=1
	s_or_b32 exec_lo, exec_lo, s15
.LBB359_367:                            ;   in Loop: Header=BB359_276 Depth=1
	s_delay_alu instid0(SALU_CYCLE_1)
	s_or_b32 exec_lo, exec_lo, s14
.LBB359_368:                            ;   in Loop: Header=BB359_276 Depth=1
	s_delay_alu instid0(SALU_CYCLE_1) | instskip(SKIP_4) | instid1(VALU_DEP_3)
	s_or_b32 exec_lo, exec_lo, s11
	v_and_b32_e32 v25, 0xff, v23
	v_dual_mov_b32 v14, v23 :: v_dual_mov_b32 v24, 0
	v_mov_b32_e32 v48, 0
	s_mov_b32 s11, exec_lo
	v_cmpx_ne_u16_e32 0, v25
	s_cbranch_execz .LBB359_374
; %bb.369:                              ;   in Loop: Header=BB359_276 Depth=1
	v_bfrev_b32_e32 v48, 1
	s_mov_b32 s14, exec_lo
	v_cmpx_ne_u16_e32 0x80, v25
	s_cbranch_execz .LBB359_373
; %bb.370:                              ;   in Loop: Header=BB359_276 Depth=1
	v_and_b32_e32 v25, 0x7f, v23
	v_mov_b32_e32 v48, 0x7f800001
	s_mov_b32 s15, exec_lo
	s_delay_alu instid0(VALU_DEP_2)
	v_cmpx_ne_u32_e32 0x7f, v25
	s_cbranch_execz .LBB359_372
; %bb.371:                              ;   in Loop: Header=BB359_276 Depth=1
	v_dual_lshrrev_b32 v48, 3, v25 :: v_dual_bitop2_b32 v47, 7, v23 bitop3:0x40
	v_cmp_gt_u32_e64 s0, 8, v25
	s_delay_alu instid0(VALU_DEP_2) | instskip(NEXT) | instid1(VALU_DEP_1)
	v_clz_i32_u32_e32 v47, v47
	v_min_u32_e32 v47, 32, v47
	s_delay_alu instid0(VALU_DEP_1) | instskip(SKIP_1) | instid1(VALU_DEP_1)
	v_subrev_nc_u32_e32 v53, 28, v47
	v_sub_nc_u32_e32 v47, 29, v47
	v_dual_cndmask_b32 v25, v48, v47, s0 :: v_dual_cndmask_b32 v47, 0, v53, s0
	s_delay_alu instid0(VALU_DEP_1) | instskip(NEXT) | instid1(VALU_DEP_2)
	v_lshl_add_u32 v25, v25, 23, 0x3c000000
	v_lshlrev_b64_e32 v[54:55], v47, v[14:15]
	v_lshlrev_b32_e32 v47, 24, v14
	s_delay_alu instid0(VALU_DEP_1) | instskip(NEXT) | instid1(VALU_DEP_3)
	v_and_b32_e32 v47, 0x80000000, v47
	v_lshlrev_b32_e32 v48, 20, v54
	s_delay_alu instid0(VALU_DEP_1) | instskip(NEXT) | instid1(VALU_DEP_1)
	v_and_b32_e32 v48, 0x700000, v48
	v_or3_b32 v48, v48, v47, v25
.LBB359_372:                            ;   in Loop: Header=BB359_276 Depth=1
	s_or_b32 exec_lo, exec_lo, s15
.LBB359_373:                            ;   in Loop: Header=BB359_276 Depth=1
	s_delay_alu instid0(SALU_CYCLE_1)
	s_or_b32 exec_lo, exec_lo, s14
.LBB359_374:                            ;   in Loop: Header=BB359_276 Depth=1
	s_delay_alu instid0(SALU_CYCLE_1) | instskip(SKIP_2) | instid1(VALU_DEP_1)
	s_or_b32 exec_lo, exec_lo, s11
	v_lshrrev_b16 v25, 8, v14
	s_mov_b32 s11, exec_lo
	v_cmpx_ne_u16_e32 0, v25
	s_cbranch_execz .LBB359_382
; %bb.375:                              ;   in Loop: Header=BB359_276 Depth=1
	v_bfrev_b32_e32 v24, 1
	s_mov_b32 s14, exec_lo
	v_cmpx_ne_u16_e32 0x80, v25
	s_cbranch_execz .LBB359_381
; %bb.376:                              ;   in Loop: Header=BB359_276 Depth=1
	v_and_b32_e32 v25, 0xffff, v25
	v_mov_b32_e32 v24, 0x7f800001
	s_mov_b32 s15, exec_lo
	s_delay_alu instid0(VALU_DEP_2) | instskip(NEXT) | instid1(VALU_DEP_1)
	v_and_b32_e32 v53, 0x7f, v25
	v_cmpx_ne_u32_e32 0x7f, v53
	s_cbranch_execz .LBB359_380
; %bb.377:                              ;   in Loop: Header=BB359_276 Depth=1
	v_dual_mov_b32 v25, v15 :: v_dual_bitop2_b32 v24, 7, v25 bitop3:0x40
	v_lshrrev_b32_e32 v47, 3, v53
	s_mov_b32 s16, exec_lo
	v_cmpx_gt_u32_e32 8, v53
; %bb.378:                              ;   in Loop: Header=BB359_276 Depth=1
	s_delay_alu instid0(VALU_DEP_3) | instskip(NEXT) | instid1(VALU_DEP_1)
	v_clz_i32_u32_e32 v47, v24
	v_min_u32_e32 v47, 32, v47
	s_delay_alu instid0(VALU_DEP_1) | instskip(NEXT) | instid1(VALU_DEP_1)
	v_subrev_nc_u32_e32 v53, 28, v47
	v_lshlrev_b64_e32 v[24:25], v53, v[24:25]
	s_delay_alu instid0(VALU_DEP_1)
	v_dual_sub_nc_u32 v47, 29, v47 :: v_dual_bitop2_b32 v24, 7, v24 bitop3:0x40
; %bb.379:                              ;   in Loop: Header=BB359_276 Depth=1
	s_or_b32 exec_lo, exec_lo, s16
	s_delay_alu instid0(VALU_DEP_1) | instskip(NEXT) | instid1(VALU_DEP_2)
	v_dual_lshlrev_b32 v14, 16, v14 :: v_dual_lshlrev_b32 v24, 20, v24
	v_lshl_add_u32 v25, v47, 23, 0x3c000000
	s_delay_alu instid0(VALU_DEP_2) | instskip(NEXT) | instid1(VALU_DEP_1)
	v_and_b32_e32 v14, 0x80000000, v14
	v_or3_b32 v24, v24, v14, v25
.LBB359_380:                            ;   in Loop: Header=BB359_276 Depth=1
	s_or_b32 exec_lo, exec_lo, s15
.LBB359_381:                            ;   in Loop: Header=BB359_276 Depth=1
	s_delay_alu instid0(SALU_CYCLE_1)
	s_or_b32 exec_lo, exec_lo, s14
.LBB359_382:                            ;   in Loop: Header=BB359_276 Depth=1
	s_delay_alu instid0(SALU_CYCLE_1) | instskip(SKIP_3) | instid1(VALU_DEP_2)
	s_or_b32 exec_lo, exec_lo, s11
	v_dual_lshrrev_b32 v47, 16, v23 :: v_dual_mov_b32 v25, 0
	v_mov_b32_e32 v55, 0
	s_mov_b32 s11, exec_lo
	v_and_b32_e32 v14, 0xff, v47
	s_delay_alu instid0(VALU_DEP_1)
	v_cmpx_ne_u16_e32 0, v14
	s_cbranch_execz .LBB359_390
; %bb.383:                              ;   in Loop: Header=BB359_276 Depth=1
	v_bfrev_b32_e32 v55, 1
	s_mov_b32 s14, exec_lo
	v_cmpx_ne_u16_e32 0x80, v14
	s_cbranch_execz .LBB359_389
; %bb.384:                              ;   in Loop: Header=BB359_276 Depth=1
	v_bfe_u32 v54, v23, 16, 7
	v_mov_b32_e32 v55, 0x7f800001
	s_mov_b32 s15, exec_lo
	s_delay_alu instid0(VALU_DEP_2)
	v_cmpx_ne_u32_e32 0x7f, v54
	s_cbranch_execz .LBB359_388
; %bb.385:                              ;   in Loop: Header=BB359_276 Depth=1
	v_dual_lshrrev_b32 v53, 3, v54 :: v_dual_bitop2_b32 v14, 7, v47 bitop3:0x40
	s_mov_b32 s16, exec_lo
	v_cmpx_gt_u32_e32 8, v54
; %bb.386:                              ;   in Loop: Header=BB359_276 Depth=1
	s_delay_alu instid0(VALU_DEP_2) | instskip(NEXT) | instid1(VALU_DEP_1)
	v_clz_i32_u32_e32 v53, v14
	v_min_u32_e32 v53, 32, v53
	s_delay_alu instid0(VALU_DEP_1) | instskip(NEXT) | instid1(VALU_DEP_1)
	v_subrev_nc_u32_e32 v54, 28, v53
	v_lshlrev_b64_e32 v[54:55], v54, v[14:15]
	s_delay_alu instid0(VALU_DEP_1)
	v_dual_sub_nc_u32 v53, 29, v53 :: v_dual_bitop2_b32 v14, 7, v54 bitop3:0x40
; %bb.387:                              ;   in Loop: Header=BB359_276 Depth=1
	s_or_b32 exec_lo, exec_lo, s16
	s_delay_alu instid0(VALU_DEP_1) | instskip(NEXT) | instid1(VALU_DEP_2)
	v_dual_lshlrev_b32 v47, 24, v47 :: v_dual_lshlrev_b32 v14, 20, v14
	v_lshl_add_u32 v53, v53, 23, 0x3c000000
	s_delay_alu instid0(VALU_DEP_2) | instskip(NEXT) | instid1(VALU_DEP_1)
	v_and_b32_e32 v47, 0x80000000, v47
	v_or3_b32 v55, v14, v47, v53
.LBB359_388:                            ;   in Loop: Header=BB359_276 Depth=1
	s_or_b32 exec_lo, exec_lo, s15
.LBB359_389:                            ;   in Loop: Header=BB359_276 Depth=1
	s_delay_alu instid0(SALU_CYCLE_1)
	s_or_b32 exec_lo, exec_lo, s14
.LBB359_390:                            ;   in Loop: Header=BB359_276 Depth=1
	s_delay_alu instid0(SALU_CYCLE_1) | instskip(NEXT) | instid1(SALU_CYCLE_1)
	s_or_b32 exec_lo, exec_lo, s11
	s_mov_b32 s11, exec_lo
	v_cmpx_lt_u64_e64 s[2:3], v[22:23]
	s_cbranch_execz .LBB359_398
; %bb.391:                              ;   in Loop: Header=BB359_276 Depth=1
	v_lshrrev_b32_e32 v22, 24, v23
	v_bfrev_b32_e32 v25, 1
	s_mov_b32 s14, exec_lo
	s_delay_alu instid0(VALU_DEP_2)
	v_cmpx_ne_u32_e32 0x80, v22
	s_cbranch_execz .LBB359_397
; %bb.392:                              ;   in Loop: Header=BB359_276 Depth=1
	v_bfe_u32 v47, v23, 24, 7
	v_mov_b32_e32 v25, 0x7f800001
	s_mov_b32 s15, exec_lo
	s_delay_alu instid0(VALU_DEP_2)
	v_cmpx_ne_u32_e32 0x7f, v47
	s_cbranch_execz .LBB359_396
; %bb.393:                              ;   in Loop: Header=BB359_276 Depth=1
	v_dual_lshrrev_b32 v23, 3, v47 :: v_dual_bitop2_b32 v14, 7, v22 bitop3:0x40
	s_mov_b32 s16, exec_lo
	v_cmpx_gt_u32_e32 8, v47
; %bb.394:                              ;   in Loop: Header=BB359_276 Depth=1
	s_delay_alu instid0(VALU_DEP_2) | instskip(NEXT) | instid1(VALU_DEP_1)
	v_clz_i32_u32_e32 v23, v14
	v_min_u32_e32 v23, 32, v23
	s_delay_alu instid0(VALU_DEP_1) | instskip(NEXT) | instid1(VALU_DEP_1)
	v_subrev_nc_u32_e32 v25, 28, v23
	v_lshlrev_b64_e32 v[56:57], v25, v[14:15]
	s_delay_alu instid0(VALU_DEP_1)
	v_dual_sub_nc_u32 v23, 29, v23 :: v_dual_bitop2_b32 v14, 7, v56 bitop3:0x40
; %bb.395:                              ;   in Loop: Header=BB359_276 Depth=1
	s_or_b32 exec_lo, exec_lo, s16
	v_lshlrev_b32_e32 v22, 24, v22
	s_delay_alu instid0(VALU_DEP_2) | instskip(NEXT) | instid1(VALU_DEP_3)
	v_lshlrev_b32_e32 v14, 20, v14
	v_lshl_add_u32 v23, v23, 23, 0x3c000000
	s_delay_alu instid0(VALU_DEP_3) | instskip(NEXT) | instid1(VALU_DEP_1)
	v_and_b32_e32 v22, 0x80000000, v22
	v_or3_b32 v25, v14, v22, v23
.LBB359_396:                            ;   in Loop: Header=BB359_276 Depth=1
	s_or_b32 exec_lo, exec_lo, s15
.LBB359_397:                            ;   in Loop: Header=BB359_276 Depth=1
	s_delay_alu instid0(SALU_CYCLE_1)
	s_or_b32 exec_lo, exec_lo, s14
.LBB359_398:                            ;   in Loop: Header=BB359_276 Depth=1
	s_delay_alu instid0(SALU_CYCLE_1)
	s_or_b32 exec_lo, exec_lo, s11
	v_fma_mixlo_bf16 v47, s6, v24, 0
	v_fma_mixlo_bf16 v48, s6, v48, 0
	;; [unrolled: 1-line block ×8, first 2 shown]
	s_and_saveexec_b32 s11, vcc_lo
	s_cbranch_execz .LBB359_400
; %bb.399:                              ;   in Loop: Header=BB359_276 Depth=1
	v_cmp_gt_i32_e64 s0, s25, v40
	s_delay_alu instid0(VALU_DEP_1) | instskip(SKIP_1) | instid1(VALU_DEP_1)
	v_cndmask_b32_e64 v54, 0, v54, s0
	v_cmp_gt_i32_e64 s0, s25, v46
	v_cndmask_b32_e64 v53, 0, v53, s0
	v_cmp_gt_i32_e64 s0, s25, v45
	s_delay_alu instid0(VALU_DEP_1) | instskip(SKIP_1) | instid1(VALU_DEP_1)
	v_cndmask_b32_e64 v52, 0, v52, s0
	v_cmp_gt_i32_e64 s0, s25, v44
	v_cndmask_b32_e64 v51, 0, v51, s0
	;; [unrolled: 5-line block ×4, first 2 shown]
.LBB359_400:                            ;   in Loop: Header=BB359_276 Depth=1
	s_or_b32 exec_lo, exec_lo, s11
	global_load_b64 v[22:23], v[20:21], off offset:512
	v_dual_mov_b32 v59, 0 :: v_dual_mov_b32 v60, 0
	s_mov_b32 s11, exec_lo
	s_wait_loadcnt 0x0
	v_and_b32_e32 v14, 0xff, v22
	s_delay_alu instid0(VALU_DEP_1)
	v_cmpx_ne_u16_e32 0, v14
	s_cbranch_execz .LBB359_406
; %bb.401:                              ;   in Loop: Header=BB359_276 Depth=1
	v_bfrev_b32_e32 v60, 1
	s_mov_b32 s14, exec_lo
	v_cmpx_ne_u16_e32 0x80, v14
	s_cbranch_execz .LBB359_405
; %bb.402:                              ;   in Loop: Header=BB359_276 Depth=1
	v_and_b32_e32 v14, 0x7f, v22
	v_mov_b32_e32 v60, 0x7f800001
	s_mov_b32 s15, exec_lo
	s_delay_alu instid0(VALU_DEP_2)
	v_cmpx_ne_u32_e32 0x7f, v14
	s_cbranch_execz .LBB359_404
; %bb.403:                              ;   in Loop: Header=BB359_276 Depth=1
	v_and_b32_e32 v24, 7, v22
	v_cmp_gt_u32_e64 s0, 8, v14
	s_delay_alu instid0(VALU_DEP_2) | instskip(NEXT) | instid1(VALU_DEP_1)
	v_clz_i32_u32_e32 v24, v24
	v_min_u32_e32 v24, 32, v24
	v_lshrrev_b32_e32 v25, 3, v14
	s_delay_alu instid0(VALU_DEP_2) | instskip(SKIP_1) | instid1(VALU_DEP_1)
	v_subrev_nc_u32_e32 v55, 28, v24
	v_sub_nc_u32_e32 v24, 29, v24
	v_dual_cndmask_b32 v14, v25, v24, s0 :: v_dual_cndmask_b32 v24, 0, v55, s0
	s_delay_alu instid0(VALU_DEP_1) | instskip(NEXT) | instid1(VALU_DEP_2)
	v_lshl_add_u32 v14, v14, 23, 0x3c000000
	v_lshlrev_b64_e32 v[24:25], v24, v[22:23]
	v_lshlrev_b32_e32 v25, 24, v22
	s_delay_alu instid0(VALU_DEP_1) | instskip(NEXT) | instid1(VALU_DEP_3)
	v_and_b32_e32 v25, 0x80000000, v25
	v_lshlrev_b32_e32 v24, 20, v24
	s_delay_alu instid0(VALU_DEP_1) | instskip(NEXT) | instid1(VALU_DEP_1)
	v_and_b32_e32 v24, 0x700000, v24
	v_or3_b32 v60, v24, v25, v14
.LBB359_404:                            ;   in Loop: Header=BB359_276 Depth=1
	s_or_b32 exec_lo, exec_lo, s15
.LBB359_405:                            ;   in Loop: Header=BB359_276 Depth=1
	s_delay_alu instid0(SALU_CYCLE_1)
	s_or_b32 exec_lo, exec_lo, s14
.LBB359_406:                            ;   in Loop: Header=BB359_276 Depth=1
	s_delay_alu instid0(SALU_CYCLE_1) | instskip(SKIP_2) | instid1(VALU_DEP_1)
	s_or_b32 exec_lo, exec_lo, s11
	v_lshrrev_b16 v14, 8, v22
	s_mov_b32 s11, exec_lo
	v_cmpx_ne_u16_e32 0, v14
	s_cbranch_execz .LBB359_414
; %bb.407:                              ;   in Loop: Header=BB359_276 Depth=1
	v_bfrev_b32_e32 v59, 1
	s_mov_b32 s14, exec_lo
	v_cmpx_ne_u16_e32 0x80, v14
	s_cbranch_execz .LBB359_413
; %bb.408:                              ;   in Loop: Header=BB359_276 Depth=1
	v_and_b32_e32 v14, 0xffff, v14
	v_mov_b32_e32 v59, 0x7f800001
	s_mov_b32 s15, exec_lo
	s_delay_alu instid0(VALU_DEP_2) | instskip(NEXT) | instid1(VALU_DEP_1)
	v_and_b32_e32 v25, 0x7f, v14
	v_cmpx_ne_u32_e32 0x7f, v25
	s_cbranch_execz .LBB359_412
; %bb.409:                              ;   in Loop: Header=BB359_276 Depth=1
	v_dual_lshrrev_b32 v24, 3, v25 :: v_dual_bitop2_b32 v14, 7, v14 bitop3:0x40
	s_mov_b32 s16, exec_lo
	v_cmpx_gt_u32_e32 8, v25
; %bb.410:                              ;   in Loop: Header=BB359_276 Depth=1
	s_delay_alu instid0(VALU_DEP_2) | instskip(NEXT) | instid1(VALU_DEP_1)
	v_clz_i32_u32_e32 v24, v14
	v_min_u32_e32 v24, 32, v24
	s_delay_alu instid0(VALU_DEP_1) | instskip(SKIP_1) | instid1(VALU_DEP_2)
	v_subrev_nc_u32_e32 v25, 28, v24
	v_sub_nc_u32_e32 v24, 29, v24
	v_lshlrev_b64_e32 v[56:57], v25, v[14:15]
	s_delay_alu instid0(VALU_DEP_1)
	v_and_b32_e32 v14, 7, v56
; %bb.411:                              ;   in Loop: Header=BB359_276 Depth=1
	s_or_b32 exec_lo, exec_lo, s16
	v_lshlrev_b32_e32 v25, 16, v22
	s_delay_alu instid0(VALU_DEP_2) | instskip(SKIP_1) | instid1(VALU_DEP_3)
	v_lshlrev_b32_e32 v14, 20, v14
	v_lshl_add_u32 v24, v24, 23, 0x3c000000
	v_and_b32_e32 v25, 0x80000000, v25
	s_delay_alu instid0(VALU_DEP_1)
	v_or3_b32 v59, v14, v25, v24
.LBB359_412:                            ;   in Loop: Header=BB359_276 Depth=1
	s_or_b32 exec_lo, exec_lo, s15
.LBB359_413:                            ;   in Loop: Header=BB359_276 Depth=1
	s_delay_alu instid0(SALU_CYCLE_1)
	s_or_b32 exec_lo, exec_lo, s14
.LBB359_414:                            ;   in Loop: Header=BB359_276 Depth=1
	s_delay_alu instid0(SALU_CYCLE_1) | instskip(SKIP_3) | instid1(VALU_DEP_2)
	s_or_b32 exec_lo, exec_lo, s11
	v_dual_mov_b32 v57, 0 :: v_dual_lshrrev_b32 v24, 16, v22
	v_mov_b32_e32 v58, 0
	s_mov_b32 s11, exec_lo
	v_and_b32_e32 v14, 0xff, v24
	s_delay_alu instid0(VALU_DEP_1)
	v_cmpx_ne_u16_e32 0, v14
	s_cbranch_execz .LBB359_422
; %bb.415:                              ;   in Loop: Header=BB359_276 Depth=1
	v_bfrev_b32_e32 v58, 1
	s_mov_b32 s14, exec_lo
	v_cmpx_ne_u16_e32 0x80, v14
	s_cbranch_execz .LBB359_421
; %bb.416:                              ;   in Loop: Header=BB359_276 Depth=1
	v_bfe_u32 v55, v22, 16, 7
	v_mov_b32_e32 v58, 0x7f800001
	s_mov_b32 s15, exec_lo
	s_delay_alu instid0(VALU_DEP_2)
	v_cmpx_ne_u32_e32 0x7f, v55
	s_cbranch_execz .LBB359_420
; %bb.417:                              ;   in Loop: Header=BB359_276 Depth=1
	v_dual_lshrrev_b32 v25, 3, v55 :: v_dual_bitop2_b32 v14, 7, v24 bitop3:0x40
	s_mov_b32 s16, exec_lo
	v_cmpx_gt_u32_e32 8, v55
; %bb.418:                              ;   in Loop: Header=BB359_276 Depth=1
	s_delay_alu instid0(VALU_DEP_2) | instskip(NEXT) | instid1(VALU_DEP_1)
	v_clz_i32_u32_e32 v25, v14
	v_min_u32_e32 v25, 32, v25
	s_delay_alu instid0(VALU_DEP_1) | instskip(NEXT) | instid1(VALU_DEP_1)
	v_subrev_nc_u32_e32 v55, 28, v25
	v_lshlrev_b64_e32 v[62:63], v55, v[14:15]
	s_delay_alu instid0(VALU_DEP_1)
	v_dual_sub_nc_u32 v25, 29, v25 :: v_dual_bitop2_b32 v14, 7, v62 bitop3:0x40
; %bb.419:                              ;   in Loop: Header=BB359_276 Depth=1
	s_or_b32 exec_lo, exec_lo, s16
	s_delay_alu instid0(VALU_DEP_1) | instskip(NEXT) | instid1(VALU_DEP_2)
	v_dual_lshlrev_b32 v24, 24, v24 :: v_dual_lshlrev_b32 v14, 20, v14
	v_lshl_add_u32 v25, v25, 23, 0x3c000000
	s_delay_alu instid0(VALU_DEP_2) | instskip(NEXT) | instid1(VALU_DEP_1)
	v_and_b32_e32 v24, 0x80000000, v24
	v_or3_b32 v58, v14, v24, v25
.LBB359_420:                            ;   in Loop: Header=BB359_276 Depth=1
	s_or_b32 exec_lo, exec_lo, s15
.LBB359_421:                            ;   in Loop: Header=BB359_276 Depth=1
	s_delay_alu instid0(SALU_CYCLE_1)
	s_or_b32 exec_lo, exec_lo, s14
.LBB359_422:                            ;   in Loop: Header=BB359_276 Depth=1
	s_delay_alu instid0(SALU_CYCLE_1) | instskip(NEXT) | instid1(SALU_CYCLE_1)
	s_or_b32 exec_lo, exec_lo, s11
	s_mov_b32 s11, exec_lo
	v_cmpx_lt_u32_e32 0xffffff, v22
	s_cbranch_execz .LBB359_430
; %bb.423:                              ;   in Loop: Header=BB359_276 Depth=1
	v_lshrrev_b32_e32 v24, 24, v22
	v_bfrev_b32_e32 v57, 1
	s_mov_b32 s14, exec_lo
	s_delay_alu instid0(VALU_DEP_2)
	v_cmpx_ne_u32_e32 0x80, v24
	s_cbranch_execz .LBB359_429
; %bb.424:                              ;   in Loop: Header=BB359_276 Depth=1
	v_bfe_u32 v55, v22, 24, 7
	v_mov_b32_e32 v57, 0x7f800001
	s_mov_b32 s15, exec_lo
	s_delay_alu instid0(VALU_DEP_2)
	v_cmpx_ne_u32_e32 0x7f, v55
	s_cbranch_execz .LBB359_428
; %bb.425:                              ;   in Loop: Header=BB359_276 Depth=1
	v_dual_lshrrev_b32 v25, 3, v55 :: v_dual_bitop2_b32 v14, 7, v24 bitop3:0x40
	s_mov_b32 s16, exec_lo
	v_cmpx_gt_u32_e32 8, v55
; %bb.426:                              ;   in Loop: Header=BB359_276 Depth=1
	s_delay_alu instid0(VALU_DEP_2) | instskip(NEXT) | instid1(VALU_DEP_1)
	v_clz_i32_u32_e32 v25, v14
	v_min_u32_e32 v25, 32, v25
	s_delay_alu instid0(VALU_DEP_1) | instskip(NEXT) | instid1(VALU_DEP_1)
	v_subrev_nc_u32_e32 v55, 28, v25
	v_lshlrev_b64_e32 v[56:57], v55, v[14:15]
	s_delay_alu instid0(VALU_DEP_1)
	v_dual_sub_nc_u32 v25, 29, v25 :: v_dual_bitop2_b32 v14, 7, v56 bitop3:0x40
; %bb.427:                              ;   in Loop: Header=BB359_276 Depth=1
	s_or_b32 exec_lo, exec_lo, s16
	s_delay_alu instid0(VALU_DEP_1) | instskip(NEXT) | instid1(VALU_DEP_2)
	v_dual_lshlrev_b32 v24, 24, v24 :: v_dual_lshlrev_b32 v14, 20, v14
	v_lshl_add_u32 v25, v25, 23, 0x3c000000
	s_delay_alu instid0(VALU_DEP_2) | instskip(NEXT) | instid1(VALU_DEP_1)
	v_and_b32_e32 v24, 0x80000000, v24
	v_or3_b32 v57, v14, v24, v25
.LBB359_428:                            ;   in Loop: Header=BB359_276 Depth=1
	s_or_b32 exec_lo, exec_lo, s15
.LBB359_429:                            ;   in Loop: Header=BB359_276 Depth=1
	s_delay_alu instid0(SALU_CYCLE_1)
	s_or_b32 exec_lo, exec_lo, s14
.LBB359_430:                            ;   in Loop: Header=BB359_276 Depth=1
	s_delay_alu instid0(SALU_CYCLE_1) | instskip(SKIP_4) | instid1(VALU_DEP_3)
	s_or_b32 exec_lo, exec_lo, s11
	v_and_b32_e32 v25, 0xff, v23
	v_dual_mov_b32 v14, v23 :: v_dual_mov_b32 v24, 0
	v_mov_b32_e32 v56, 0
	s_mov_b32 s11, exec_lo
	v_cmpx_ne_u16_e32 0, v25
	s_cbranch_execz .LBB359_436
; %bb.431:                              ;   in Loop: Header=BB359_276 Depth=1
	v_bfrev_b32_e32 v56, 1
	s_mov_b32 s14, exec_lo
	v_cmpx_ne_u16_e32 0x80, v25
	s_cbranch_execz .LBB359_435
; %bb.432:                              ;   in Loop: Header=BB359_276 Depth=1
	v_and_b32_e32 v25, 0x7f, v23
	v_mov_b32_e32 v56, 0x7f800001
	s_mov_b32 s15, exec_lo
	s_delay_alu instid0(VALU_DEP_2)
	v_cmpx_ne_u32_e32 0x7f, v25
	s_cbranch_execz .LBB359_434
; %bb.433:                              ;   in Loop: Header=BB359_276 Depth=1
	v_dual_lshrrev_b32 v56, 3, v25 :: v_dual_bitop2_b32 v55, 7, v23 bitop3:0x40
	v_cmp_gt_u32_e64 s0, 8, v25
	s_delay_alu instid0(VALU_DEP_2) | instskip(NEXT) | instid1(VALU_DEP_1)
	v_clz_i32_u32_e32 v55, v55
	v_min_u32_e32 v55, 32, v55
	s_delay_alu instid0(VALU_DEP_1) | instskip(SKIP_1) | instid1(VALU_DEP_1)
	v_subrev_nc_u32_e32 v61, 28, v55
	v_sub_nc_u32_e32 v55, 29, v55
	v_dual_cndmask_b32 v25, v56, v55, s0 :: v_dual_cndmask_b32 v55, 0, v61, s0
	s_delay_alu instid0(VALU_DEP_1) | instskip(NEXT) | instid1(VALU_DEP_2)
	v_lshl_add_u32 v25, v25, 23, 0x3c000000
	v_lshlrev_b64_e32 v[62:63], v55, v[14:15]
	v_lshlrev_b32_e32 v55, 24, v14
	s_delay_alu instid0(VALU_DEP_1) | instskip(NEXT) | instid1(VALU_DEP_3)
	v_and_b32_e32 v55, 0x80000000, v55
	v_lshlrev_b32_e32 v56, 20, v62
	s_delay_alu instid0(VALU_DEP_1) | instskip(NEXT) | instid1(VALU_DEP_1)
	v_and_b32_e32 v56, 0x700000, v56
	v_or3_b32 v56, v56, v55, v25
.LBB359_434:                            ;   in Loop: Header=BB359_276 Depth=1
	s_or_b32 exec_lo, exec_lo, s15
.LBB359_435:                            ;   in Loop: Header=BB359_276 Depth=1
	s_delay_alu instid0(SALU_CYCLE_1)
	s_or_b32 exec_lo, exec_lo, s14
.LBB359_436:                            ;   in Loop: Header=BB359_276 Depth=1
	s_delay_alu instid0(SALU_CYCLE_1) | instskip(SKIP_2) | instid1(VALU_DEP_1)
	s_or_b32 exec_lo, exec_lo, s11
	v_lshrrev_b16 v25, 8, v14
	s_mov_b32 s11, exec_lo
	v_cmpx_ne_u16_e32 0, v25
	s_cbranch_execz .LBB359_444
; %bb.437:                              ;   in Loop: Header=BB359_276 Depth=1
	v_bfrev_b32_e32 v24, 1
	s_mov_b32 s14, exec_lo
	v_cmpx_ne_u16_e32 0x80, v25
	s_cbranch_execz .LBB359_443
; %bb.438:                              ;   in Loop: Header=BB359_276 Depth=1
	v_and_b32_e32 v25, 0xffff, v25
	v_mov_b32_e32 v24, 0x7f800001
	s_mov_b32 s15, exec_lo
	s_delay_alu instid0(VALU_DEP_2) | instskip(NEXT) | instid1(VALU_DEP_1)
	v_and_b32_e32 v61, 0x7f, v25
	v_cmpx_ne_u32_e32 0x7f, v61
	s_cbranch_execz .LBB359_442
; %bb.439:                              ;   in Loop: Header=BB359_276 Depth=1
	v_dual_mov_b32 v25, v15 :: v_dual_bitop2_b32 v24, 7, v25 bitop3:0x40
	v_lshrrev_b32_e32 v55, 3, v61
	s_mov_b32 s16, exec_lo
	v_cmpx_gt_u32_e32 8, v61
; %bb.440:                              ;   in Loop: Header=BB359_276 Depth=1
	s_delay_alu instid0(VALU_DEP_3) | instskip(NEXT) | instid1(VALU_DEP_1)
	v_clz_i32_u32_e32 v55, v24
	v_min_u32_e32 v55, 32, v55
	s_delay_alu instid0(VALU_DEP_1) | instskip(NEXT) | instid1(VALU_DEP_1)
	v_subrev_nc_u32_e32 v61, 28, v55
	v_lshlrev_b64_e32 v[24:25], v61, v[24:25]
	s_delay_alu instid0(VALU_DEP_1)
	v_dual_sub_nc_u32 v55, 29, v55 :: v_dual_bitop2_b32 v24, 7, v24 bitop3:0x40
; %bb.441:                              ;   in Loop: Header=BB359_276 Depth=1
	s_or_b32 exec_lo, exec_lo, s16
	s_delay_alu instid0(VALU_DEP_1) | instskip(NEXT) | instid1(VALU_DEP_2)
	v_dual_lshlrev_b32 v14, 16, v14 :: v_dual_lshlrev_b32 v24, 20, v24
	v_lshl_add_u32 v25, v55, 23, 0x3c000000
	s_delay_alu instid0(VALU_DEP_2) | instskip(NEXT) | instid1(VALU_DEP_1)
	v_and_b32_e32 v14, 0x80000000, v14
	v_or3_b32 v24, v24, v14, v25
.LBB359_442:                            ;   in Loop: Header=BB359_276 Depth=1
	s_or_b32 exec_lo, exec_lo, s15
.LBB359_443:                            ;   in Loop: Header=BB359_276 Depth=1
	s_delay_alu instid0(SALU_CYCLE_1)
	s_or_b32 exec_lo, exec_lo, s14
.LBB359_444:                            ;   in Loop: Header=BB359_276 Depth=1
	s_delay_alu instid0(SALU_CYCLE_1) | instskip(SKIP_3) | instid1(VALU_DEP_2)
	s_or_b32 exec_lo, exec_lo, s11
	v_dual_lshrrev_b32 v55, 16, v23 :: v_dual_mov_b32 v25, 0
	v_mov_b32_e32 v61, 0
	s_mov_b32 s11, exec_lo
	v_and_b32_e32 v14, 0xff, v55
	s_delay_alu instid0(VALU_DEP_1)
	v_cmpx_ne_u16_e32 0, v14
	s_cbranch_execz .LBB359_452
; %bb.445:                              ;   in Loop: Header=BB359_276 Depth=1
	v_bfrev_b32_e32 v61, 1
	s_mov_b32 s14, exec_lo
	v_cmpx_ne_u16_e32 0x80, v14
	s_cbranch_execz .LBB359_451
; %bb.446:                              ;   in Loop: Header=BB359_276 Depth=1
	v_bfe_u32 v62, v23, 16, 7
	v_mov_b32_e32 v61, 0x7f800001
	s_mov_b32 s15, exec_lo
	s_delay_alu instid0(VALU_DEP_2)
	v_cmpx_ne_u32_e32 0x7f, v62
	s_cbranch_execz .LBB359_450
; %bb.447:                              ;   in Loop: Header=BB359_276 Depth=1
	v_dual_lshrrev_b32 v61, 3, v62 :: v_dual_bitop2_b32 v14, 7, v55 bitop3:0x40
	s_mov_b32 s16, exec_lo
	v_cmpx_gt_u32_e32 8, v62
; %bb.448:                              ;   in Loop: Header=BB359_276 Depth=1
	s_delay_alu instid0(VALU_DEP_2) | instskip(NEXT) | instid1(VALU_DEP_1)
	v_clz_i32_u32_e32 v61, v14
	v_min_u32_e32 v61, 32, v61
	s_delay_alu instid0(VALU_DEP_1) | instskip(NEXT) | instid1(VALU_DEP_1)
	v_subrev_nc_u32_e32 v62, 28, v61
	v_lshlrev_b64_e32 v[62:63], v62, v[14:15]
	s_delay_alu instid0(VALU_DEP_1)
	v_dual_sub_nc_u32 v61, 29, v61 :: v_dual_bitop2_b32 v14, 7, v62 bitop3:0x40
; %bb.449:                              ;   in Loop: Header=BB359_276 Depth=1
	s_or_b32 exec_lo, exec_lo, s16
	s_delay_alu instid0(VALU_DEP_1) | instskip(NEXT) | instid1(VALU_DEP_2)
	v_dual_lshlrev_b32 v55, 24, v55 :: v_dual_lshlrev_b32 v14, 20, v14
	v_lshl_add_u32 v61, v61, 23, 0x3c000000
	s_delay_alu instid0(VALU_DEP_2) | instskip(NEXT) | instid1(VALU_DEP_1)
	v_and_b32_e32 v55, 0x80000000, v55
	v_or3_b32 v61, v14, v55, v61
.LBB359_450:                            ;   in Loop: Header=BB359_276 Depth=1
	s_or_b32 exec_lo, exec_lo, s15
.LBB359_451:                            ;   in Loop: Header=BB359_276 Depth=1
	s_delay_alu instid0(SALU_CYCLE_1)
	s_or_b32 exec_lo, exec_lo, s14
.LBB359_452:                            ;   in Loop: Header=BB359_276 Depth=1
	s_delay_alu instid0(SALU_CYCLE_1) | instskip(NEXT) | instid1(SALU_CYCLE_1)
	s_or_b32 exec_lo, exec_lo, s11
	s_mov_b32 s11, exec_lo
	v_cmpx_lt_u64_e64 s[2:3], v[22:23]
	s_cbranch_execz .LBB359_460
; %bb.453:                              ;   in Loop: Header=BB359_276 Depth=1
	v_lshrrev_b32_e32 v22, 24, v23
	v_bfrev_b32_e32 v25, 1
	s_mov_b32 s14, exec_lo
	s_delay_alu instid0(VALU_DEP_2)
	v_cmpx_ne_u32_e32 0x80, v22
	s_cbranch_execz .LBB359_459
; %bb.454:                              ;   in Loop: Header=BB359_276 Depth=1
	v_bfe_u32 v55, v23, 24, 7
	v_mov_b32_e32 v25, 0x7f800001
	s_mov_b32 s15, exec_lo
	s_delay_alu instid0(VALU_DEP_2)
	v_cmpx_ne_u32_e32 0x7f, v55
	s_cbranch_execz .LBB359_458
; %bb.455:                              ;   in Loop: Header=BB359_276 Depth=1
	v_dual_lshrrev_b32 v23, 3, v55 :: v_dual_bitop2_b32 v14, 7, v22 bitop3:0x40
	s_mov_b32 s16, exec_lo
	v_cmpx_gt_u32_e32 8, v55
; %bb.456:                              ;   in Loop: Header=BB359_276 Depth=1
	s_delay_alu instid0(VALU_DEP_2) | instskip(NEXT) | instid1(VALU_DEP_1)
	v_clz_i32_u32_e32 v23, v14
	v_min_u32_e32 v23, 32, v23
	s_delay_alu instid0(VALU_DEP_1) | instskip(NEXT) | instid1(VALU_DEP_1)
	v_subrev_nc_u32_e32 v25, 28, v23
	v_lshlrev_b64_e32 v[62:63], v25, v[14:15]
	s_delay_alu instid0(VALU_DEP_1)
	v_dual_sub_nc_u32 v23, 29, v23 :: v_dual_bitop2_b32 v14, 7, v62 bitop3:0x40
; %bb.457:                              ;   in Loop: Header=BB359_276 Depth=1
	s_or_b32 exec_lo, exec_lo, s16
	v_lshlrev_b32_e32 v22, 24, v22
	s_delay_alu instid0(VALU_DEP_2) | instskip(NEXT) | instid1(VALU_DEP_3)
	v_lshlrev_b32_e32 v14, 20, v14
	v_lshl_add_u32 v23, v23, 23, 0x3c000000
	s_delay_alu instid0(VALU_DEP_3) | instskip(NEXT) | instid1(VALU_DEP_1)
	v_and_b32_e32 v22, 0x80000000, v22
	v_or3_b32 v25, v14, v22, v23
.LBB359_458:                            ;   in Loop: Header=BB359_276 Depth=1
	s_or_b32 exec_lo, exec_lo, s15
.LBB359_459:                            ;   in Loop: Header=BB359_276 Depth=1
	s_delay_alu instid0(SALU_CYCLE_1)
	s_or_b32 exec_lo, exec_lo, s14
.LBB359_460:                            ;   in Loop: Header=BB359_276 Depth=1
	s_delay_alu instid0(SALU_CYCLE_1)
	s_or_b32 exec_lo, exec_lo, s11
	v_fma_mixlo_bf16 v55, s6, v24, 0
	v_fma_mixlo_bf16 v56, s6, v56, 0
	;; [unrolled: 1-line block ×8, first 2 shown]
	s_and_saveexec_b32 s11, vcc_lo
	s_cbranch_execz .LBB359_462
; %bb.461:                              ;   in Loop: Header=BB359_276 Depth=1
	v_cmp_gt_i32_e64 s0, s25, v40
	s_delay_alu instid0(VALU_DEP_1) | instskip(SKIP_1) | instid1(VALU_DEP_1)
	v_cndmask_b32_e64 v60, 0, v60, s0
	v_cmp_gt_i32_e64 s0, s25, v46
	v_cndmask_b32_e64 v59, 0, v59, s0
	v_cmp_gt_i32_e64 s0, s25, v45
	s_delay_alu instid0(VALU_DEP_1) | instskip(SKIP_1) | instid1(VALU_DEP_1)
	v_cndmask_b32_e64 v58, 0, v58, s0
	v_cmp_gt_i32_e64 s0, s25, v44
	v_cndmask_b32_e64 v57, 0, v57, s0
	;; [unrolled: 5-line block ×4, first 2 shown]
.LBB359_462:                            ;   in Loop: Header=BB359_276 Depth=1
	s_or_b32 exec_lo, exec_lo, s11
	global_load_b64 v[20:21], v[20:21], off offset:768
	v_dual_mov_b32 v62, 0 :: v_dual_mov_b32 v61, 0
	s_mov_b32 s11, exec_lo
	s_wait_loadcnt 0x0
	v_and_b32_e32 v14, 0xff, v20
	s_delay_alu instid0(VALU_DEP_1)
	v_cmpx_ne_u16_e32 0, v14
	s_cbranch_execz .LBB359_468
; %bb.463:                              ;   in Loop: Header=BB359_276 Depth=1
	v_bfrev_b32_e32 v61, 1
	s_mov_b32 s14, exec_lo
	v_cmpx_ne_u16_e32 0x80, v14
	s_cbranch_execz .LBB359_467
; %bb.464:                              ;   in Loop: Header=BB359_276 Depth=1
	v_and_b32_e32 v14, 0x7f, v20
	v_mov_b32_e32 v61, 0x7f800001
	s_mov_b32 s15, exec_lo
	s_delay_alu instid0(VALU_DEP_2)
	v_cmpx_ne_u32_e32 0x7f, v14
	s_cbranch_execz .LBB359_466
; %bb.465:                              ;   in Loop: Header=BB359_276 Depth=1
	v_dual_lshrrev_b32 v23, 3, v14 :: v_dual_bitop2_b32 v22, 7, v20 bitop3:0x40
	v_cmp_gt_u32_e64 s0, 8, v14
	s_delay_alu instid0(VALU_DEP_2) | instskip(NEXT) | instid1(VALU_DEP_1)
	v_clz_i32_u32_e32 v22, v22
	v_min_u32_e32 v22, 32, v22
	s_delay_alu instid0(VALU_DEP_1) | instskip(SKIP_1) | instid1(VALU_DEP_1)
	v_subrev_nc_u32_e32 v61, 28, v22
	v_sub_nc_u32_e32 v22, 29, v22
	v_dual_cndmask_b32 v14, v23, v22, s0 :: v_dual_cndmask_b32 v22, 0, v61, s0
	s_delay_alu instid0(VALU_DEP_1) | instskip(NEXT) | instid1(VALU_DEP_2)
	v_lshl_add_u32 v14, v14, 23, 0x3c000000
	v_lshlrev_b64_e32 v[22:23], v22, v[20:21]
	v_lshlrev_b32_e32 v23, 24, v20
	s_delay_alu instid0(VALU_DEP_1) | instskip(NEXT) | instid1(VALU_DEP_3)
	v_and_b32_e32 v23, 0x80000000, v23
	v_lshlrev_b32_e32 v22, 20, v22
	s_delay_alu instid0(VALU_DEP_1) | instskip(NEXT) | instid1(VALU_DEP_1)
	v_and_b32_e32 v22, 0x700000, v22
	v_or3_b32 v61, v22, v23, v14
.LBB359_466:                            ;   in Loop: Header=BB359_276 Depth=1
	s_or_b32 exec_lo, exec_lo, s15
.LBB359_467:                            ;   in Loop: Header=BB359_276 Depth=1
	s_delay_alu instid0(SALU_CYCLE_1)
	s_or_b32 exec_lo, exec_lo, s14
.LBB359_468:                            ;   in Loop: Header=BB359_276 Depth=1
	s_delay_alu instid0(SALU_CYCLE_1) | instskip(SKIP_2) | instid1(VALU_DEP_1)
	s_or_b32 exec_lo, exec_lo, s11
	v_lshrrev_b16 v14, 8, v20
	s_mov_b32 s11, exec_lo
	v_cmpx_ne_u16_e32 0, v14
	s_cbranch_execz .LBB359_476
; %bb.469:                              ;   in Loop: Header=BB359_276 Depth=1
	v_bfrev_b32_e32 v62, 1
	s_mov_b32 s14, exec_lo
	v_cmpx_ne_u16_e32 0x80, v14
	s_cbranch_execz .LBB359_475
; %bb.470:                              ;   in Loop: Header=BB359_276 Depth=1
	v_and_b32_e32 v14, 0xffff, v14
	v_mov_b32_e32 v62, 0x7f800001
	s_mov_b32 s15, exec_lo
	s_delay_alu instid0(VALU_DEP_2) | instskip(NEXT) | instid1(VALU_DEP_1)
	v_and_b32_e32 v23, 0x7f, v14
	v_cmpx_ne_u32_e32 0x7f, v23
	s_cbranch_execz .LBB359_474
; %bb.471:                              ;   in Loop: Header=BB359_276 Depth=1
	v_dual_lshrrev_b32 v22, 3, v23 :: v_dual_bitop2_b32 v14, 7, v14 bitop3:0x40
	s_mov_b32 s16, exec_lo
	v_cmpx_gt_u32_e32 8, v23
; %bb.472:                              ;   in Loop: Header=BB359_276 Depth=1
	s_delay_alu instid0(VALU_DEP_2) | instskip(NEXT) | instid1(VALU_DEP_1)
	v_clz_i32_u32_e32 v22, v14
	v_min_u32_e32 v22, 32, v22
	s_delay_alu instid0(VALU_DEP_1) | instskip(SKIP_1) | instid1(VALU_DEP_2)
	v_subrev_nc_u32_e32 v23, 28, v22
	v_sub_nc_u32_e32 v22, 29, v22
	v_lshlrev_b64_e32 v[62:63], v23, v[14:15]
	s_delay_alu instid0(VALU_DEP_1)
	v_and_b32_e32 v14, 7, v62
; %bb.473:                              ;   in Loop: Header=BB359_276 Depth=1
	s_or_b32 exec_lo, exec_lo, s16
	s_delay_alu instid0(VALU_DEP_1) | instskip(SKIP_1) | instid1(VALU_DEP_2)
	v_dual_lshlrev_b32 v23, 16, v20 :: v_dual_lshlrev_b32 v14, 20, v14
	v_lshl_add_u32 v22, v22, 23, 0x3c000000
	v_and_b32_e32 v23, 0x80000000, v23
	s_delay_alu instid0(VALU_DEP_1)
	v_or3_b32 v62, v14, v23, v22
.LBB359_474:                            ;   in Loop: Header=BB359_276 Depth=1
	s_or_b32 exec_lo, exec_lo, s15
.LBB359_475:                            ;   in Loop: Header=BB359_276 Depth=1
	s_delay_alu instid0(SALU_CYCLE_1)
	s_or_b32 exec_lo, exec_lo, s14
.LBB359_476:                            ;   in Loop: Header=BB359_276 Depth=1
	s_delay_alu instid0(SALU_CYCLE_1) | instskip(SKIP_3) | instid1(VALU_DEP_2)
	s_or_b32 exec_lo, exec_lo, s11
	v_dual_lshrrev_b32 v22, 16, v20 :: v_dual_mov_b32 v64, 0
	v_mov_b32_e32 v63, 0
	s_mov_b32 s11, exec_lo
	v_and_b32_e32 v14, 0xff, v22
	s_delay_alu instid0(VALU_DEP_1)
	v_cmpx_ne_u16_e32 0, v14
	s_cbranch_execz .LBB359_484
; %bb.477:                              ;   in Loop: Header=BB359_276 Depth=1
	v_bfrev_b32_e32 v63, 1
	s_mov_b32 s14, exec_lo
	v_cmpx_ne_u16_e32 0x80, v14
	s_cbranch_execz .LBB359_483
; %bb.478:                              ;   in Loop: Header=BB359_276 Depth=1
	v_bfe_u32 v65, v20, 16, 7
	v_mov_b32_e32 v63, 0x7f800001
	s_mov_b32 s15, exec_lo
	s_delay_alu instid0(VALU_DEP_2)
	v_cmpx_ne_u32_e32 0x7f, v65
	s_cbranch_execz .LBB359_482
; %bb.479:                              ;   in Loop: Header=BB359_276 Depth=1
	v_dual_lshrrev_b32 v23, 3, v65 :: v_dual_bitop2_b32 v14, 7, v22 bitop3:0x40
	s_mov_b32 s16, exec_lo
	v_cmpx_gt_u32_e32 8, v65
; %bb.480:                              ;   in Loop: Header=BB359_276 Depth=1
	s_delay_alu instid0(VALU_DEP_2) | instskip(NEXT) | instid1(VALU_DEP_1)
	v_clz_i32_u32_e32 v23, v14
	v_min_u32_e32 v23, 32, v23
	s_delay_alu instid0(VALU_DEP_1) | instskip(NEXT) | instid1(VALU_DEP_1)
	v_subrev_nc_u32_e32 v63, 28, v23
	v_lshlrev_b64_e32 v[66:67], v63, v[14:15]
	s_delay_alu instid0(VALU_DEP_1)
	v_dual_sub_nc_u32 v23, 29, v23 :: v_dual_bitop2_b32 v14, 7, v66 bitop3:0x40
; %bb.481:                              ;   in Loop: Header=BB359_276 Depth=1
	s_or_b32 exec_lo, exec_lo, s16
	v_lshlrev_b32_e32 v22, 24, v22
	s_delay_alu instid0(VALU_DEP_2) | instskip(NEXT) | instid1(VALU_DEP_3)
	v_lshlrev_b32_e32 v14, 20, v14
	v_lshl_add_u32 v23, v23, 23, 0x3c000000
	s_delay_alu instid0(VALU_DEP_3) | instskip(NEXT) | instid1(VALU_DEP_1)
	v_and_b32_e32 v22, 0x80000000, v22
	v_or3_b32 v63, v14, v22, v23
.LBB359_482:                            ;   in Loop: Header=BB359_276 Depth=1
	s_or_b32 exec_lo, exec_lo, s15
.LBB359_483:                            ;   in Loop: Header=BB359_276 Depth=1
	s_delay_alu instid0(SALU_CYCLE_1)
	s_or_b32 exec_lo, exec_lo, s14
.LBB359_484:                            ;   in Loop: Header=BB359_276 Depth=1
	s_delay_alu instid0(SALU_CYCLE_1) | instskip(NEXT) | instid1(SALU_CYCLE_1)
	s_or_b32 exec_lo, exec_lo, s11
	s_mov_b32 s11, exec_lo
	v_cmpx_lt_u32_e32 0xffffff, v20
	s_cbranch_execz .LBB359_492
; %bb.485:                              ;   in Loop: Header=BB359_276 Depth=1
	v_lshrrev_b32_e32 v22, 24, v20
	v_bfrev_b32_e32 v64, 1
	s_mov_b32 s14, exec_lo
	s_delay_alu instid0(VALU_DEP_2)
	v_cmpx_ne_u32_e32 0x80, v22
	s_cbranch_execz .LBB359_491
; %bb.486:                              ;   in Loop: Header=BB359_276 Depth=1
	v_bfe_u32 v65, v20, 24, 7
	v_mov_b32_e32 v64, 0x7f800001
	s_mov_b32 s15, exec_lo
	s_delay_alu instid0(VALU_DEP_2)
	v_cmpx_ne_u32_e32 0x7f, v65
	s_cbranch_execz .LBB359_490
; %bb.487:                              ;   in Loop: Header=BB359_276 Depth=1
	v_dual_lshrrev_b32 v23, 3, v65 :: v_dual_bitop2_b32 v14, 7, v22 bitop3:0x40
	s_mov_b32 s16, exec_lo
	v_cmpx_gt_u32_e32 8, v65
; %bb.488:                              ;   in Loop: Header=BB359_276 Depth=1
	s_delay_alu instid0(VALU_DEP_2) | instskip(NEXT) | instid1(VALU_DEP_1)
	v_clz_i32_u32_e32 v23, v14
	v_min_u32_e32 v23, 32, v23
	s_delay_alu instid0(VALU_DEP_1) | instskip(NEXT) | instid1(VALU_DEP_1)
	v_subrev_nc_u32_e32 v64, 28, v23
	v_lshlrev_b64_e32 v[64:65], v64, v[14:15]
	s_delay_alu instid0(VALU_DEP_1)
	v_dual_sub_nc_u32 v23, 29, v23 :: v_dual_bitop2_b32 v14, 7, v64 bitop3:0x40
; %bb.489:                              ;   in Loop: Header=BB359_276 Depth=1
	s_or_b32 exec_lo, exec_lo, s16
	v_lshlrev_b32_e32 v22, 24, v22
	s_delay_alu instid0(VALU_DEP_2) | instskip(NEXT) | instid1(VALU_DEP_3)
	v_lshlrev_b32_e32 v14, 20, v14
	v_lshl_add_u32 v23, v23, 23, 0x3c000000
	s_delay_alu instid0(VALU_DEP_3) | instskip(NEXT) | instid1(VALU_DEP_1)
	v_and_b32_e32 v22, 0x80000000, v22
	v_or3_b32 v64, v14, v22, v23
.LBB359_490:                            ;   in Loop: Header=BB359_276 Depth=1
	s_or_b32 exec_lo, exec_lo, s15
.LBB359_491:                            ;   in Loop: Header=BB359_276 Depth=1
	s_delay_alu instid0(SALU_CYCLE_1)
	s_or_b32 exec_lo, exec_lo, s14
.LBB359_492:                            ;   in Loop: Header=BB359_276 Depth=1
	s_delay_alu instid0(SALU_CYCLE_1) | instskip(SKIP_4) | instid1(VALU_DEP_3)
	s_or_b32 exec_lo, exec_lo, s11
	v_and_b32_e32 v23, 0xff, v21
	v_dual_mov_b32 v14, v21 :: v_dual_mov_b32 v22, 0
	v_mov_b32_e32 v65, 0
	s_mov_b32 s11, exec_lo
	v_cmpx_ne_u16_e32 0, v23
	s_cbranch_execz .LBB359_498
; %bb.493:                              ;   in Loop: Header=BB359_276 Depth=1
	v_bfrev_b32_e32 v65, 1
	s_mov_b32 s14, exec_lo
	v_cmpx_ne_u16_e32 0x80, v23
	s_cbranch_execz .LBB359_497
; %bb.494:                              ;   in Loop: Header=BB359_276 Depth=1
	v_and_b32_e32 v23, 0x7f, v21
	v_mov_b32_e32 v65, 0x7f800001
	s_mov_b32 s15, exec_lo
	s_delay_alu instid0(VALU_DEP_2)
	v_cmpx_ne_u32_e32 0x7f, v23
	s_cbranch_execz .LBB359_496
; %bb.495:                              ;   in Loop: Header=BB359_276 Depth=1
	v_dual_lshrrev_b32 v66, 3, v23 :: v_dual_bitop2_b32 v65, 7, v21 bitop3:0x40
	v_cmp_gt_u32_e64 s0, 8, v23
	s_delay_alu instid0(VALU_DEP_2) | instskip(NEXT) | instid1(VALU_DEP_1)
	v_clz_i32_u32_e32 v65, v65
	v_min_u32_e32 v65, 32, v65
	s_delay_alu instid0(VALU_DEP_1) | instskip(SKIP_1) | instid1(VALU_DEP_1)
	v_subrev_nc_u32_e32 v67, 28, v65
	v_sub_nc_u32_e32 v65, 29, v65
	v_dual_cndmask_b32 v23, v66, v65, s0 :: v_dual_cndmask_b32 v65, 0, v67, s0
	s_delay_alu instid0(VALU_DEP_1) | instskip(NEXT) | instid1(VALU_DEP_2)
	v_lshl_add_u32 v23, v23, 23, 0x3c000000
	v_lshlrev_b64_e32 v[66:67], v65, v[14:15]
	v_lshlrev_b32_e32 v65, 24, v14
	s_delay_alu instid0(VALU_DEP_1) | instskip(NEXT) | instid1(VALU_DEP_3)
	v_and_b32_e32 v65, 0x80000000, v65
	v_lshlrev_b32_e32 v66, 20, v66
	s_delay_alu instid0(VALU_DEP_1) | instskip(NEXT) | instid1(VALU_DEP_1)
	v_and_b32_e32 v66, 0x700000, v66
	v_or3_b32 v65, v66, v65, v23
.LBB359_496:                            ;   in Loop: Header=BB359_276 Depth=1
	s_or_b32 exec_lo, exec_lo, s15
.LBB359_497:                            ;   in Loop: Header=BB359_276 Depth=1
	s_delay_alu instid0(SALU_CYCLE_1)
	s_or_b32 exec_lo, exec_lo, s14
.LBB359_498:                            ;   in Loop: Header=BB359_276 Depth=1
	s_delay_alu instid0(SALU_CYCLE_1) | instskip(SKIP_2) | instid1(VALU_DEP_1)
	s_or_b32 exec_lo, exec_lo, s11
	v_lshrrev_b16 v23, 8, v14
	s_mov_b32 s11, exec_lo
	v_cmpx_ne_u16_e32 0, v23
	s_cbranch_execz .LBB359_506
; %bb.499:                              ;   in Loop: Header=BB359_276 Depth=1
	v_bfrev_b32_e32 v22, 1
	s_mov_b32 s14, exec_lo
	v_cmpx_ne_u16_e32 0x80, v23
	s_cbranch_execz .LBB359_505
; %bb.500:                              ;   in Loop: Header=BB359_276 Depth=1
	v_and_b32_e32 v23, 0xffff, v23
	v_mov_b32_e32 v22, 0x7f800001
	s_mov_b32 s15, exec_lo
	s_delay_alu instid0(VALU_DEP_2) | instskip(NEXT) | instid1(VALU_DEP_1)
	v_and_b32_e32 v67, 0x7f, v23
	v_cmpx_ne_u32_e32 0x7f, v67
	s_cbranch_execz .LBB359_504
; %bb.501:                              ;   in Loop: Header=BB359_276 Depth=1
	v_dual_mov_b32 v23, v15 :: v_dual_bitop2_b32 v22, 7, v23 bitop3:0x40
	v_lshrrev_b32_e32 v66, 3, v67
	s_mov_b32 s16, exec_lo
	v_cmpx_gt_u32_e32 8, v67
; %bb.502:                              ;   in Loop: Header=BB359_276 Depth=1
	s_delay_alu instid0(VALU_DEP_3) | instskip(NEXT) | instid1(VALU_DEP_1)
	v_clz_i32_u32_e32 v66, v22
	v_min_u32_e32 v66, 32, v66
	s_delay_alu instid0(VALU_DEP_1) | instskip(SKIP_1) | instid1(VALU_DEP_2)
	v_subrev_nc_u32_e32 v67, 28, v66
	v_sub_nc_u32_e32 v66, 29, v66
	v_lshlrev_b64_e32 v[22:23], v67, v[22:23]
	s_delay_alu instid0(VALU_DEP_1)
	v_and_b32_e32 v22, 7, v22
; %bb.503:                              ;   in Loop: Header=BB359_276 Depth=1
	s_or_b32 exec_lo, exec_lo, s16
	v_lshlrev_b32_e32 v14, 16, v14
	s_delay_alu instid0(VALU_DEP_2) | instskip(SKIP_1) | instid1(VALU_DEP_3)
	v_lshlrev_b32_e32 v22, 20, v22
	v_lshl_add_u32 v23, v66, 23, 0x3c000000
	v_and_b32_e32 v14, 0x80000000, v14
	s_delay_alu instid0(VALU_DEP_1)
	v_or3_b32 v22, v22, v14, v23
.LBB359_504:                            ;   in Loop: Header=BB359_276 Depth=1
	s_or_b32 exec_lo, exec_lo, s15
.LBB359_505:                            ;   in Loop: Header=BB359_276 Depth=1
	s_delay_alu instid0(SALU_CYCLE_1)
	s_or_b32 exec_lo, exec_lo, s14
.LBB359_506:                            ;   in Loop: Header=BB359_276 Depth=1
	s_delay_alu instid0(SALU_CYCLE_1) | instskip(SKIP_3) | instid1(VALU_DEP_2)
	s_or_b32 exec_lo, exec_lo, s11
	v_dual_lshrrev_b32 v67, 16, v21 :: v_dual_mov_b32 v23, 0
	v_mov_b32_e32 v66, 0
	s_mov_b32 s11, exec_lo
	v_and_b32_e32 v14, 0xff, v67
	s_delay_alu instid0(VALU_DEP_1)
	v_cmpx_ne_u16_e32 0, v14
	s_cbranch_execz .LBB359_514
; %bb.507:                              ;   in Loop: Header=BB359_276 Depth=1
	v_bfrev_b32_e32 v66, 1
	s_mov_b32 s14, exec_lo
	v_cmpx_ne_u16_e32 0x80, v14
	s_cbranch_execz .LBB359_513
; %bb.508:                              ;   in Loop: Header=BB359_276 Depth=1
	v_bfe_u32 v68, v21, 16, 7
	v_mov_b32_e32 v66, 0x7f800001
	s_mov_b32 s15, exec_lo
	s_delay_alu instid0(VALU_DEP_2)
	v_cmpx_ne_u32_e32 0x7f, v68
	s_cbranch_execz .LBB359_512
; %bb.509:                              ;   in Loop: Header=BB359_276 Depth=1
	v_dual_lshrrev_b32 v66, 3, v68 :: v_dual_bitop2_b32 v14, 7, v67 bitop3:0x40
	s_mov_b32 s16, exec_lo
	v_cmpx_gt_u32_e32 8, v68
; %bb.510:                              ;   in Loop: Header=BB359_276 Depth=1
	s_delay_alu instid0(VALU_DEP_2) | instskip(NEXT) | instid1(VALU_DEP_1)
	v_clz_i32_u32_e32 v66, v14
	v_min_u32_e32 v66, 32, v66
	s_delay_alu instid0(VALU_DEP_1) | instskip(NEXT) | instid1(VALU_DEP_1)
	v_subrev_nc_u32_e32 v68, 28, v66
	v_lshlrev_b64_e32 v[68:69], v68, v[14:15]
	s_delay_alu instid0(VALU_DEP_1)
	v_dual_sub_nc_u32 v66, 29, v66 :: v_dual_bitop2_b32 v14, 7, v68 bitop3:0x40
; %bb.511:                              ;   in Loop: Header=BB359_276 Depth=1
	s_or_b32 exec_lo, exec_lo, s16
	s_delay_alu instid0(VALU_DEP_1) | instskip(NEXT) | instid1(VALU_DEP_2)
	v_dual_lshlrev_b32 v67, 24, v67 :: v_dual_lshlrev_b32 v14, 20, v14
	v_lshl_add_u32 v66, v66, 23, 0x3c000000
	s_delay_alu instid0(VALU_DEP_2) | instskip(NEXT) | instid1(VALU_DEP_1)
	v_and_b32_e32 v67, 0x80000000, v67
	v_or3_b32 v66, v14, v67, v66
.LBB359_512:                            ;   in Loop: Header=BB359_276 Depth=1
	s_or_b32 exec_lo, exec_lo, s15
.LBB359_513:                            ;   in Loop: Header=BB359_276 Depth=1
	s_delay_alu instid0(SALU_CYCLE_1)
	s_or_b32 exec_lo, exec_lo, s14
.LBB359_514:                            ;   in Loop: Header=BB359_276 Depth=1
	s_delay_alu instid0(SALU_CYCLE_1) | instskip(NEXT) | instid1(SALU_CYCLE_1)
	s_or_b32 exec_lo, exec_lo, s11
	s_mov_b32 s11, exec_lo
	v_cmpx_lt_u64_e64 s[2:3], v[20:21]
	s_cbranch_execz .LBB359_522
; %bb.515:                              ;   in Loop: Header=BB359_276 Depth=1
	v_lshrrev_b32_e32 v20, 24, v21
	v_bfrev_b32_e32 v23, 1
	s_mov_b32 s14, exec_lo
	s_delay_alu instid0(VALU_DEP_2)
	v_cmpx_ne_u32_e32 0x80, v20
	s_cbranch_execz .LBB359_521
; %bb.516:                              ;   in Loop: Header=BB359_276 Depth=1
	v_bfe_u32 v67, v21, 24, 7
	v_mov_b32_e32 v23, 0x7f800001
	s_mov_b32 s15, exec_lo
	s_delay_alu instid0(VALU_DEP_2)
	v_cmpx_ne_u32_e32 0x7f, v67
	s_cbranch_execz .LBB359_520
; %bb.517:                              ;   in Loop: Header=BB359_276 Depth=1
	v_dual_lshrrev_b32 v21, 3, v67 :: v_dual_bitop2_b32 v14, 7, v20 bitop3:0x40
	s_mov_b32 s16, exec_lo
	v_cmpx_gt_u32_e32 8, v67
; %bb.518:                              ;   in Loop: Header=BB359_276 Depth=1
	s_delay_alu instid0(VALU_DEP_2) | instskip(NEXT) | instid1(VALU_DEP_1)
	v_clz_i32_u32_e32 v21, v14
	v_min_u32_e32 v21, 32, v21
	s_delay_alu instid0(VALU_DEP_1) | instskip(NEXT) | instid1(VALU_DEP_1)
	v_subrev_nc_u32_e32 v23, 28, v21
	v_lshlrev_b64_e32 v[68:69], v23, v[14:15]
	s_delay_alu instid0(VALU_DEP_1)
	v_dual_sub_nc_u32 v21, 29, v21 :: v_dual_bitop2_b32 v14, 7, v68 bitop3:0x40
; %bb.519:                              ;   in Loop: Header=BB359_276 Depth=1
	s_or_b32 exec_lo, exec_lo, s16
	s_delay_alu instid0(VALU_DEP_1) | instskip(NEXT) | instid1(VALU_DEP_2)
	v_dual_lshlrev_b32 v20, 24, v20 :: v_dual_lshlrev_b32 v14, 20, v14
	v_lshl_add_u32 v21, v21, 23, 0x3c000000
	s_delay_alu instid0(VALU_DEP_2) | instskip(NEXT) | instid1(VALU_DEP_1)
	v_and_b32_e32 v20, 0x80000000, v20
	v_or3_b32 v23, v14, v20, v21
.LBB359_520:                            ;   in Loop: Header=BB359_276 Depth=1
	s_or_b32 exec_lo, exec_lo, s15
.LBB359_521:                            ;   in Loop: Header=BB359_276 Depth=1
	s_delay_alu instid0(SALU_CYCLE_1)
	s_or_b32 exec_lo, exec_lo, s14
.LBB359_522:                            ;   in Loop: Header=BB359_276 Depth=1
	s_delay_alu instid0(SALU_CYCLE_1)
	s_or_b32 exec_lo, exec_lo, s11
	v_fma_mixlo_bf16 v14, s6, v22, 0
	v_fma_mixlo_bf16 v20, s6, v65, 0
	;; [unrolled: 1-line block ×8, first 2 shown]
	s_and_saveexec_b32 s0, vcc_lo
	s_cbranch_execz .LBB359_275
; %bb.523:                              ;   in Loop: Header=BB359_276 Depth=1
	v_cmp_gt_i32_e32 vcc_lo, s25, v40
	v_cndmask_b32_e32 v61, 0, v61, vcc_lo
	v_cmp_gt_i32_e32 vcc_lo, s25, v46
	v_cndmask_b32_e32 v62, 0, v62, vcc_lo
	;; [unrolled: 2-line block ×8, first 2 shown]
	s_branch .LBB359_275
.LBB359_524:
	s_or_b32 exec_lo, exec_lo, s9
.LBB359_525:
	s_delay_alu instid0(SALU_CYCLE_1)
	s_or_b32 exec_lo, exec_lo, s1
	ds_bpermute_b32 v2, v26, v12
	ds_bpermute_b32 v3, v26, v13
	;; [unrolled: 1-line block ×4, first 2 shown]
	v_and_b32_e32 v9, 0x3c3, v0
	v_and_b32_e32 v8, 28, v76
	s_mov_b32 s0, exec_lo
	s_wait_dscnt 0x0
	s_barrier_signal -1
	s_barrier_wait -1
	v_pk_add_f32 v[2:3], v[12:13], v[2:3]
	v_pk_add_f32 v[4:5], v[10:11], v[4:5]
	ds_bpermute_b32 v10, v27, v2
	ds_bpermute_b32 v11, v27, v3
	;; [unrolled: 1-line block ×4, first 2 shown]
	s_wait_dscnt 0x2
	v_pk_add_f32 v[2:3], v[2:3], v[10:11]
	v_cmpx_ne_u32_e32 64, v9
	s_xor_b32 s0, exec_lo, s0
; %bb.526:
                                        ; implicit-def: $vgpr1
; %bb.527:
	s_delay_alu instid0(SALU_CYCLE_1)
	s_or_saveexec_b32 s0, s0
	s_wait_dscnt 0x0
	v_pk_add_f32 v[4:5], v[4:5], v[6:7]
	v_lshrrev_b32_e32 v7, 2, v76
	v_add_nc_u32_e32 v6, 0x60, v8
	s_xor_b32 exec_lo, exec_lo, s0
	s_cbranch_execz .LBB359_529
; %bb.528:
	s_delay_alu instid0(VALU_DEP_1) | instskip(NEXT) | instid1(VALU_DEP_1)
	v_lshl_add_u32 v1, v1, 7, v6
	v_add_nc_u32_e32 v8, 0xffffff00, v1
	v_add_nc_u32_e32 v9, 0xffffff20, v1
	;; [unrolled: 1-line block ×4, first 2 shown]
	ds_store_b32 v8, v2
	ds_store_b32 v9, v3
	;; [unrolled: 1-line block ×4, first 2 shown]
.LBB359_529:
	s_or_b32 exec_lo, exec_lo, s0
	v_and_b32_e32 v1, 0x3e0, v0
	v_lshlrev_b32_e32 v7, 2, v7
	s_mov_b32 s1, exec_lo
	v_cmp_eq_u32_e32 vcc_lo, 0, v28
	s_wait_dscnt 0x0
	v_lshlrev_b32_e32 v1, 2, v1
	s_barrier_signal -1
	s_barrier_wait -1
	s_delay_alu instid0(VALU_DEP_1)
	v_add3_u32 v1, 0x60, v1, v7
	v_cmpx_gt_u32_e32 64, v0
	s_cbranch_execz .LBB359_536
; %bb.530:
	s_and_saveexec_b32 s0, vcc_lo
	s_cbranch_execnz .LBB359_548
; %bb.531:
	s_or_b32 exec_lo, exec_lo, s0
	s_and_saveexec_b32 s0, vcc_lo
	s_cbranch_execnz .LBB359_549
.LBB359_532:
	s_or_b32 exec_lo, exec_lo, s0
	s_and_saveexec_b32 s0, vcc_lo
	s_cbranch_execnz .LBB359_550
.LBB359_533:
	s_or_b32 exec_lo, exec_lo, s0
	s_and_saveexec_b32 s0, vcc_lo
	s_cbranch_execz .LBB359_535
.LBB359_534:
	ds_load_b32 v7, v1 offset:96
	s_wait_dscnt 0x0
	v_add_f32_e32 v5, v5, v7
.LBB359_535:
	s_or_b32 exec_lo, exec_lo, s0
.LBB359_536:
	s_delay_alu instid0(SALU_CYCLE_1) | instskip(SKIP_4) | instid1(VALU_DEP_1)
	s_or_b32 exec_lo, exec_lo, s1
	v_and_b32_e32 v7, 0x3e3, v0
	s_mov_b32 s1, exec_lo
	s_barrier_signal -1
	s_barrier_wait -1
	v_cmpx_eq_u32_e32 32, v7
	s_cbranch_execz .LBB359_538
; %bb.537:
	ds_store_2addr_b32 v6, v2, v3 offset1:8
	ds_store_2addr_b32 v6, v4, v5 offset0:16 offset1:24
.LBB359_538:
	s_or_b32 exec_lo, exec_lo, s1
	s_delay_alu instid0(SALU_CYCLE_1)
	s_mov_b32 s1, exec_lo
	s_wait_dscnt 0x0
	s_barrier_signal -1
	s_barrier_wait -1
	v_cmpx_gt_u32_e32 32, v0
	s_cbranch_execz .LBB359_545
; %bb.539:
	s_and_saveexec_b32 s0, vcc_lo
	s_cbranch_execnz .LBB359_551
; %bb.540:
	s_or_b32 exec_lo, exec_lo, s0
	s_and_saveexec_b32 s0, vcc_lo
	s_cbranch_execnz .LBB359_552
.LBB359_541:
	s_or_b32 exec_lo, exec_lo, s0
	s_and_saveexec_b32 s0, vcc_lo
	s_cbranch_execnz .LBB359_553
.LBB359_542:
	s_or_b32 exec_lo, exec_lo, s0
	s_and_saveexec_b32 s0, vcc_lo
	s_cbranch_execz .LBB359_544
.LBB359_543:
	ds_load_b32 v1, v1 offset:96
	s_wait_dscnt 0x0
	v_add_f32_e32 v5, v5, v1
.LBB359_544:
	s_or_b32 exec_lo, exec_lo, s0
.LBB359_545:
	s_delay_alu instid0(SALU_CYCLE_1)
	s_or_b32 exec_lo, exec_lo, s1
	s_mov_b32 s1, 0
	s_barrier_signal -1
	s_barrier_wait -1
	s_mov_b32 s0, exec_lo
	v_cmpx_eq_u32_e32 0, v7
	s_cbranch_execz .LBB359_547
; %bb.546:
	s_mul_i32 s0, s24, s8
	s_mul_i32 s2, s8, s12
	;; [unrolled: 1-line block ×3, first 2 shown]
	s_lshr_b32 s8, ttmp7, 16
	s_lshl_b32 s6, s0, 5
	s_bfe_u32 s0, ttmp6, 0x40014
	s_ashr_i32 s7, s6, 31
	s_add_co_i32 s0, s0, 1
	s_ashr_i32 s3, s2, 31
	s_mul_i32 s0, s8, s0
	s_bfe_u32 s9, ttmp6, 0x40008
	s_lshl_b64 s[6:7], s[6:7], 1
	s_lshl_b64 s[2:3], s[2:3], 1
	s_add_co_i32 s9, s9, s0
	s_cmp_eq_u32 s22, 0
	s_wait_kmcnt 0x0
	s_add_nc_u64 s[4:5], s[4:5], s[6:7]
	s_cselect_b32 s0, s8, s9
	s_add_nc_u64 s[2:3], s[4:5], s[2:3]
	s_lshl_b32 s0, s0, 6
	v_lshrrev_b32_e32 v0, 1, v0
	s_add_nc_u64 s[0:1], s[2:3], s[0:1]
	s_delay_alu instid0(SALU_CYCLE_1)
	v_cvt_pk_bf16_f32 v1, v2, s0
	v_cvt_pk_bf16_f32 v2, v3, s0
	v_cvt_pk_bf16_f32 v3, v4, s0
	v_cvt_pk_bf16_f32 v4, v5, s0
	s_clause 0x3
	global_store_b16 v0, v1, s[0:1]
	global_store_b16 v0, v2, s[0:1] offset:16
	global_store_b16 v0, v3, s[0:1] offset:32
	;; [unrolled: 1-line block ×3, first 2 shown]
.LBB359_547:
	s_sendmsg sendmsg(MSG_DEALLOC_VGPRS)
	s_endpgm
.LBB359_548:
	ds_load_b32 v7, v1
	s_wait_dscnt 0x0
	v_add_f32_e32 v2, v2, v7
	s_or_b32 exec_lo, exec_lo, s0
	s_and_saveexec_b32 s0, vcc_lo
	s_cbranch_execz .LBB359_532
.LBB359_549:
	ds_load_b32 v7, v1 offset:32
	s_wait_dscnt 0x0
	v_add_f32_e32 v3, v3, v7
	s_or_b32 exec_lo, exec_lo, s0
	s_and_saveexec_b32 s0, vcc_lo
	s_cbranch_execz .LBB359_533
.LBB359_550:
	ds_load_b32 v7, v1 offset:64
	s_wait_dscnt 0x0
	v_add_f32_e32 v4, v4, v7
	s_or_b32 exec_lo, exec_lo, s0
	s_and_saveexec_b32 s0, vcc_lo
	s_cbranch_execnz .LBB359_534
	s_branch .LBB359_535
.LBB359_551:
	ds_load_b32 v6, v1
	s_wait_dscnt 0x0
	v_add_f32_e32 v2, v2, v6
	s_or_b32 exec_lo, exec_lo, s0
	s_and_saveexec_b32 s0, vcc_lo
	s_cbranch_execz .LBB359_541
.LBB359_552:
	ds_load_b32 v6, v1 offset:32
	s_wait_dscnt 0x0
	v_add_f32_e32 v3, v3, v6
	s_or_b32 exec_lo, exec_lo, s0
	s_and_saveexec_b32 s0, vcc_lo
	s_cbranch_execz .LBB359_542
.LBB359_553:
	ds_load_b32 v6, v1 offset:64
	s_wait_dscnt 0x0
	v_add_f32_e32 v4, v4, v6
	s_or_b32 exec_lo, exec_lo, s0
	s_and_saveexec_b32 s0, vcc_lo
	s_cbranch_execnz .LBB359_543
	s_branch .LBB359_544
	.section	.rodata,"a",@progbits
	.p2align	6, 0x0
	.amdhsa_kernel _ZN4vllm25paged_attention_v1_kernelI14__hip_bfloat16hLi32ELi32ELi128ELNS_18Fp8KVCacheDataTypeE1ELb0EEEvPT_PKS3_PKT0_S9_ifPKiSB_iPKfiiiSD_SD_iiiii
		.amdhsa_group_segment_fixed_size 96
		.amdhsa_private_segment_fixed_size 0
		.amdhsa_kernarg_size 384
		.amdhsa_user_sgpr_count 2
		.amdhsa_user_sgpr_dispatch_ptr 0
		.amdhsa_user_sgpr_queue_ptr 0
		.amdhsa_user_sgpr_kernarg_segment_ptr 1
		.amdhsa_user_sgpr_dispatch_id 0
		.amdhsa_user_sgpr_kernarg_preload_length 0
		.amdhsa_user_sgpr_kernarg_preload_offset 0
		.amdhsa_user_sgpr_private_segment_size 0
		.amdhsa_wavefront_size32 1
		.amdhsa_uses_dynamic_stack 0
		.amdhsa_enable_private_segment 0
		.amdhsa_system_sgpr_workgroup_id_x 1
		.amdhsa_system_sgpr_workgroup_id_y 1
		.amdhsa_system_sgpr_workgroup_id_z 1
		.amdhsa_system_sgpr_workgroup_info 0
		.amdhsa_system_vgpr_workitem_id 0
		.amdhsa_next_free_vgpr 84
		.amdhsa_next_free_sgpr 34
		.amdhsa_named_barrier_count 0
		.amdhsa_reserve_vcc 1
		.amdhsa_float_round_mode_32 0
		.amdhsa_float_round_mode_16_64 0
		.amdhsa_float_denorm_mode_32 3
		.amdhsa_float_denorm_mode_16_64 3
		.amdhsa_fp16_overflow 0
		.amdhsa_memory_ordered 1
		.amdhsa_forward_progress 1
		.amdhsa_inst_pref_size 159
		.amdhsa_round_robin_scheduling 0
		.amdhsa_exception_fp_ieee_invalid_op 0
		.amdhsa_exception_fp_denorm_src 0
		.amdhsa_exception_fp_ieee_div_zero 0
		.amdhsa_exception_fp_ieee_overflow 0
		.amdhsa_exception_fp_ieee_underflow 0
		.amdhsa_exception_fp_ieee_inexact 0
		.amdhsa_exception_int_div_zero 0
	.end_amdhsa_kernel
	.section	.text._ZN4vllm25paged_attention_v1_kernelI14__hip_bfloat16hLi32ELi32ELi128ELNS_18Fp8KVCacheDataTypeE1ELb0EEEvPT_PKS3_PKT0_S9_ifPKiSB_iPKfiiiSD_SD_iiiii,"axG",@progbits,_ZN4vllm25paged_attention_v1_kernelI14__hip_bfloat16hLi32ELi32ELi128ELNS_18Fp8KVCacheDataTypeE1ELb0EEEvPT_PKS3_PKT0_S9_ifPKiSB_iPKfiiiSD_SD_iiiii,comdat
.Lfunc_end359:
	.size	_ZN4vllm25paged_attention_v1_kernelI14__hip_bfloat16hLi32ELi32ELi128ELNS_18Fp8KVCacheDataTypeE1ELb0EEEvPT_PKS3_PKT0_S9_ifPKiSB_iPKfiiiSD_SD_iiiii, .Lfunc_end359-_ZN4vllm25paged_attention_v1_kernelI14__hip_bfloat16hLi32ELi32ELi128ELNS_18Fp8KVCacheDataTypeE1ELb0EEEvPT_PKS3_PKT0_S9_ifPKiSB_iPKfiiiSD_SD_iiiii
                                        ; -- End function
	.set _ZN4vllm25paged_attention_v1_kernelI14__hip_bfloat16hLi32ELi32ELi128ELNS_18Fp8KVCacheDataTypeE1ELb0EEEvPT_PKS3_PKT0_S9_ifPKiSB_iPKfiiiSD_SD_iiiii.num_vgpr, 84
	.set _ZN4vllm25paged_attention_v1_kernelI14__hip_bfloat16hLi32ELi32ELi128ELNS_18Fp8KVCacheDataTypeE1ELb0EEEvPT_PKS3_PKT0_S9_ifPKiSB_iPKfiiiSD_SD_iiiii.num_agpr, 0
	.set _ZN4vllm25paged_attention_v1_kernelI14__hip_bfloat16hLi32ELi32ELi128ELNS_18Fp8KVCacheDataTypeE1ELb0EEEvPT_PKS3_PKT0_S9_ifPKiSB_iPKfiiiSD_SD_iiiii.numbered_sgpr, 34
	.set _ZN4vllm25paged_attention_v1_kernelI14__hip_bfloat16hLi32ELi32ELi128ELNS_18Fp8KVCacheDataTypeE1ELb0EEEvPT_PKS3_PKT0_S9_ifPKiSB_iPKfiiiSD_SD_iiiii.num_named_barrier, 0
	.set _ZN4vllm25paged_attention_v1_kernelI14__hip_bfloat16hLi32ELi32ELi128ELNS_18Fp8KVCacheDataTypeE1ELb0EEEvPT_PKS3_PKT0_S9_ifPKiSB_iPKfiiiSD_SD_iiiii.private_seg_size, 0
	.set _ZN4vllm25paged_attention_v1_kernelI14__hip_bfloat16hLi32ELi32ELi128ELNS_18Fp8KVCacheDataTypeE1ELb0EEEvPT_PKS3_PKT0_S9_ifPKiSB_iPKfiiiSD_SD_iiiii.uses_vcc, 1
	.set _ZN4vllm25paged_attention_v1_kernelI14__hip_bfloat16hLi32ELi32ELi128ELNS_18Fp8KVCacheDataTypeE1ELb0EEEvPT_PKS3_PKT0_S9_ifPKiSB_iPKfiiiSD_SD_iiiii.uses_flat_scratch, 0
	.set _ZN4vllm25paged_attention_v1_kernelI14__hip_bfloat16hLi32ELi32ELi128ELNS_18Fp8KVCacheDataTypeE1ELb0EEEvPT_PKS3_PKT0_S9_ifPKiSB_iPKfiiiSD_SD_iiiii.has_dyn_sized_stack, 0
	.set _ZN4vllm25paged_attention_v1_kernelI14__hip_bfloat16hLi32ELi32ELi128ELNS_18Fp8KVCacheDataTypeE1ELb0EEEvPT_PKS3_PKT0_S9_ifPKiSB_iPKfiiiSD_SD_iiiii.has_recursion, 0
	.set _ZN4vllm25paged_attention_v1_kernelI14__hip_bfloat16hLi32ELi32ELi128ELNS_18Fp8KVCacheDataTypeE1ELb0EEEvPT_PKS3_PKT0_S9_ifPKiSB_iPKfiiiSD_SD_iiiii.has_indirect_call, 0
	.section	.AMDGPU.csdata,"",@progbits
; Kernel info:
; codeLenInByte = 20248
; TotalNumSgprs: 36
; NumVgprs: 84
; ScratchSize: 0
; MemoryBound: 0
; FloatMode: 240
; IeeeMode: 1
; LDSByteSize: 96 bytes/workgroup (compile time only)
; SGPRBlocks: 0
; VGPRBlocks: 5
; NumSGPRsForWavesPerEU: 36
; NumVGPRsForWavesPerEU: 84
; NamedBarCnt: 0
; Occupancy: 10
; WaveLimiterHint : 1
; COMPUTE_PGM_RSRC2:SCRATCH_EN: 0
; COMPUTE_PGM_RSRC2:USER_SGPR: 2
; COMPUTE_PGM_RSRC2:TRAP_HANDLER: 0
; COMPUTE_PGM_RSRC2:TGID_X_EN: 1
; COMPUTE_PGM_RSRC2:TGID_Y_EN: 1
; COMPUTE_PGM_RSRC2:TGID_Z_EN: 1
; COMPUTE_PGM_RSRC2:TIDIG_COMP_CNT: 0
	.section	.text._ZN4vllm25paged_attention_v1_kernelI14__hip_bfloat16hLi64ELi32ELi128ELNS_18Fp8KVCacheDataTypeE1ELb0EEEvPT_PKS3_PKT0_S9_ifPKiSB_iPKfiiiSD_SD_iiiii,"axG",@progbits,_ZN4vllm25paged_attention_v1_kernelI14__hip_bfloat16hLi64ELi32ELi128ELNS_18Fp8KVCacheDataTypeE1ELb0EEEvPT_PKS3_PKT0_S9_ifPKiSB_iPKfiiiSD_SD_iiiii,comdat
	.protected	_ZN4vllm25paged_attention_v1_kernelI14__hip_bfloat16hLi64ELi32ELi128ELNS_18Fp8KVCacheDataTypeE1ELb0EEEvPT_PKS3_PKT0_S9_ifPKiSB_iPKfiiiSD_SD_iiiii ; -- Begin function _ZN4vllm25paged_attention_v1_kernelI14__hip_bfloat16hLi64ELi32ELi128ELNS_18Fp8KVCacheDataTypeE1ELb0EEEvPT_PKS3_PKT0_S9_ifPKiSB_iPKfiiiSD_SD_iiiii
	.globl	_ZN4vllm25paged_attention_v1_kernelI14__hip_bfloat16hLi64ELi32ELi128ELNS_18Fp8KVCacheDataTypeE1ELb0EEEvPT_PKS3_PKT0_S9_ifPKiSB_iPKfiiiSD_SD_iiiii
	.p2align	8
	.type	_ZN4vllm25paged_attention_v1_kernelI14__hip_bfloat16hLi64ELi32ELi128ELNS_18Fp8KVCacheDataTypeE1ELb0EEEvPT_PKS3_PKT0_S9_ifPKiSB_iPKfiiiSD_SD_iiiii,@function
_ZN4vllm25paged_attention_v1_kernelI14__hip_bfloat16hLi64ELi32ELi128ELNS_18Fp8KVCacheDataTypeE1ELb0EEEvPT_PKS3_PKT0_S9_ifPKiSB_iPKfiiiSD_SD_iiiii: ; @_ZN4vllm25paged_attention_v1_kernelI14__hip_bfloat16hLi64ELi32ELi128ELNS_18Fp8KVCacheDataTypeE1ELb0EEEvPT_PKS3_PKT0_S9_ifPKiSB_iPKfiiiSD_SD_iiiii
; %bb.0:
	s_load_b64 s[18:19], s[0:1], 0x20
	s_bfe_u32 s3, ttmp6, 0x4000c
	s_bfe_u32 s5, ttmp6, 0x40010
	s_and_b32 s4, ttmp7, 0xffff
	s_add_co_i32 s3, s3, 1
	s_add_co_i32 s5, s5, 1
	s_and_b32 s2, ttmp6, 15
	s_bfe_u32 s6, ttmp6, 0x40004
	s_mul_i32 s3, ttmp9, s3
	s_mul_i32 s5, s4, s5
	s_getreg_b32 s22, hwreg(HW_REG_IB_STS2, 6, 4)
	s_add_co_i32 s2, s2, s3
	s_add_co_i32 s3, s6, s5
	s_cmp_eq_u32 s22, 0
	v_mov_b32_e32 v24, v0
	s_cselect_b32 s24, s4, s3
	s_cselect_b32 s4, ttmp9, s2
	s_clause 0x1
	s_load_b32 s23, s[0:1], 0x80
	s_load_b64 s[6:7], s[0:1], 0x30
	s_wait_kmcnt 0x0
	s_abs_i32 s2, s18
	s_delay_alu instid0(SALU_CYCLE_1) | instskip(SKIP_1) | instid1(SALU_CYCLE_2)
	s_cvt_f32_u32 s3, s2
	s_sub_co_i32 s5, 0, s2
	v_rcp_iflag_f32_e32 v0, s3
	v_nop
	s_delay_alu instid0(TRANS32_DEP_1) | instskip(SKIP_2) | instid1(SALU_CYCLE_3)
	v_readfirstlane_b32 s3, v0
	s_abs_i32 s8, s23
	s_mul_f32 s3, s3, 0x4f7ffffe
	s_cvt_u32_f32 s3, s3
	s_delay_alu instid0(SALU_CYCLE_3) | instskip(NEXT) | instid1(SALU_CYCLE_1)
	s_mul_i32 s5, s5, s3
	s_mul_hi_u32 s5, s3, s5
	s_delay_alu instid0(SALU_CYCLE_1) | instskip(SKIP_4) | instid1(SALU_CYCLE_1)
	s_add_co_i32 s3, s3, s5
	s_xor_b32 s5, s23, s18
	s_mul_hi_u32 s3, s8, s3
	s_ashr_i32 s5, s5, 31
	s_mul_i32 s9, s3, s2
	s_sub_co_i32 s8, s8, s9
	s_add_co_i32 s9, s3, 1
	s_sub_co_i32 s10, s8, s2
	s_cmp_ge_u32 s8, s2
	s_cselect_b32 s3, s9, s3
	s_cselect_b32 s8, s10, s8
	s_add_co_i32 s9, s3, 1
	s_cmp_ge_u32 s8, s2
	s_cselect_b32 s2, s9, s3
	s_load_b64 s[8:9], s[0:1], 0x40
	s_xor_b32 s2, s2, s5
	s_mov_b32 s3, 0
	s_sub_co_i32 s14, s2, s5
	s_mov_b32 s13, s3
	s_abs_i32 s11, s14
	s_mov_b32 s18, s3
	s_cvt_f32_u32 s2, s11
	s_delay_alu instid0(SALU_CYCLE_3) | instskip(SKIP_1) | instid1(TRANS32_DEP_1)
	v_rcp_iflag_f32_e32 v0, s2
	v_nop
	v_readfirstlane_b32 s2, v0
	s_mul_f32 s2, s2, 0x4f7ffffe
	s_delay_alu instid0(SALU_CYCLE_3) | instskip(SKIP_1) | instid1(SALU_CYCLE_2)
	s_cvt_u32_f32 s5, s2
	s_sub_co_i32 s2, 0, s11
	s_mul_i32 s2, s2, s5
	s_delay_alu instid0(SALU_CYCLE_1)
	s_mul_hi_u32 s10, s5, s2
	s_abs_i32 s2, s4
	s_add_co_i32 s12, s5, s10
	s_wait_kmcnt 0x0
	s_cmp_eq_u64 s[8:9], 0
	s_cbranch_scc1 .LBB360_2
; %bb.1:
	s_ashr_i32 s5, s4, 31
	s_delay_alu instid0(SALU_CYCLE_1) | instskip(NEXT) | instid1(SALU_CYCLE_1)
	s_lshl_b64 s[16:17], s[4:5], 2
	s_add_nc_u64 s[8:9], s[8:9], s[16:17]
	s_load_b32 s18, s[8:9], 0x0
.LBB360_2:
	s_load_b32 s25, s[6:7], s24 offset:0x0 scale_offset
	s_wait_xcnt 0x0
	s_load_b96 s[8:10], s[0:1], 0x48
	s_ashr_i32 s5, s4, 31
	s_ashr_i32 s6, s14, 31
	s_mul_u64 s[16:17], s[2:3], s[12:13]
	s_lshl_b32 s12, s4, 6
	s_mov_b32 s3, exec_lo
	v_cmpx_gt_u32_e32 8, v24
	s_cbranch_execz .LBB360_4
; %bb.3:
	s_load_b64 s[14:15], s[0:1], 0x8
	s_wait_kmcnt 0x0
	s_mul_i32 s20, s8, s24
	s_ashr_i32 s13, s12, 31
	s_ashr_i32 s21, s20, 31
	v_lshlrev_b32_e32 v4, 4, v24
	s_lshl_b64 s[20:21], s[20:21], 1
	s_delay_alu instid0(SALU_CYCLE_1) | instskip(SKIP_1) | instid1(SALU_CYCLE_1)
	s_add_nc_u64 s[14:15], s[14:15], s[20:21]
	s_lshl_b64 s[20:21], s[12:13], 1
	s_add_nc_u64 s[14:15], s[14:15], s[20:21]
	global_load_b128 v[0:3], v24, s[14:15] scale_offset
	s_wait_loadcnt 0x0
	ds_store_b128 v4, v[0:3]
.LBB360_4:
	s_or_b32 exec_lo, exec_lo, s3
	s_wait_kmcnt 0x0
	s_add_co_i32 s3, s25, 31
	s_clause 0x1
	s_load_b64 s[14:15], s[0:1], 0x28
	s_load_b32 s16, s[0:1], 0x38
	s_ashr_i32 s4, s3, 31
	s_xor_b32 s20, s5, s6
	s_lshr_b32 s4, s4, 27
	v_dual_lshrrev_b32 v33, 5, v24 :: v_dual_bitop2_b32 v106, 31, v24 bitop3:0x40
	s_add_co_i32 s3, s3, s4
	s_mul_i32 s4, s17, s11
	s_ashr_i32 s13, s3, 5
	s_sub_co_i32 s2, s2, s4
	s_clause 0x1
	s_load_b32 s8, s[0:1], 0x88
	s_load_b128 s[4:7], s[0:1], 0x58
	s_add_co_i32 s3, s17, 1
	s_sub_co_i32 s21, s2, s11
	s_cmp_ge_u32 s2, s11
	v_mov_b32_e32 v28, 0xff7fffff
	s_cselect_b32 s3, s3, s17
	s_cselect_b32 s2, s21, s2
	s_add_co_i32 s17, s3, 1
	s_cmp_ge_u32 s2, s11
	v_dual_lshlrev_b32 v18, 2, v106 :: v_dual_lshrrev_b32 v68, 3, v24
	s_cselect_b32 s2, s17, s3
	s_wait_kmcnt 0x0
	s_mul_i32 s16, s16, s24
	s_xor_b32 s2, s2, s20
	s_ashr_i32 s17, s16, 31
	s_sub_co_i32 s3, s2, s20
	v_cmp_gt_i32_e64 s2, s13, v33
	s_mul_i32 s10, s3, s10
	s_wait_dscnt 0x0
	s_barrier_signal -1
	s_barrier_wait -1
	s_and_saveexec_b32 s26, s2
	s_cbranch_execz .LBB360_488
; %bb.5:
	v_mov_b32_e32 v19, 0
	scratch_store_b32 off, v24, off offset:56 ; 4-byte Folded Spill
	s_load_b64 s[20:21], s[0:1], 0x10
	s_ashr_i32 s11, s10, 31
	s_cmp_neq_f32 s18, 0
	ds_load_b128 v[20:23], v19
	ds_load_b128 v[10:13], v19 offset:16
	ds_load_b128 v[6:9], v19 offset:32
	;; [unrolled: 1-line block ×5, first 2 shown]
	s_load_b32 s4, s[4:5], 0x0
	s_mov_b32 s27, s9
	s_cselect_b32 vcc_lo, -1, 0
	s_lshl_b64 s[28:29], s[16:17], 2
	scratch_store_b32 off, v18, off offset:72 ; 4-byte Folded Spill
	s_add_nc_u64 s[28:29], s[14:15], s[28:29]
	s_wait_dscnt 0x5
	v_and_b32_e32 v1, 0xffff0000, v20
	v_lshlrev_b32_e32 v0, 16, v20
	v_and_b32_e32 v37, 0xffff0000, v22
	s_wait_dscnt 0x4
	v_dual_lshlrev_b32 v36, 16, v22 :: v_dual_lshlrev_b32 v38, 16, v12
	v_and_b32_e32 v41, 0xffff0000, v23
	scratch_store_b64 off, v[0:1], off      ; 8-byte Folded Spill
	s_wait_xcnt 0x0
	v_and_b32_e32 v1, 0xffff0000, v10
	v_dual_lshlrev_b32 v0, 16, v10 :: v_dual_lshlrev_b32 v40, 16, v23
	s_wait_dscnt 0x3
	v_dual_lshlrev_b32 v42, 16, v8 :: v_dual_lshlrev_b32 v32, 16, v21
	s_wait_kmcnt 0x0
	s_add_nc_u64 s[20:21], s[20:21], s[10:11]
	scratch_store_b64 off, v[0:1], off offset:8 ; 8-byte Folded Spill
	s_wait_xcnt 0x0
	v_and_b32_e32 v1, 0xffff0000, v6
	v_dual_lshlrev_b32 v0, 16, v6 :: v_dual_lshlrev_b32 v34, 16, v11
	v_and_b32_e32 v35, 0xffff0000, v11
	v_and_b32_e32 v11, 0xffff0000, v7
	;; [unrolled: 1-line block ×3, first 2 shown]
	scratch_store_b64 off, v[0:1], off offset:16 ; 8-byte Folded Spill
	s_wait_dscnt 0x2
	s_wait_xcnt 0x0
	v_and_b32_e32 v1, 0xffff0000, v2
	v_dual_lshlrev_b32 v0, 16, v2 :: v_dual_lshlrev_b32 v10, 16, v7
	v_and_b32_e32 v7, 0xffff0000, v3
	v_lshlrev_b32_e32 v6, 16, v3
	s_wait_dscnt 0x1
	v_and_b32_e32 v3, 0xffff0000, v15
	scratch_store_b64 off, v[0:1], off offset:24 ; 8-byte Folded Spill
	s_wait_xcnt 0x0
	v_and_b32_e32 v1, 0xffff0000, v14
	v_lshlrev_b32_e32 v0, 16, v14
	ds_load_b128 v[28:31], v19 offset:112
	s_wait_dscnt 0x1
	v_dual_lshlrev_b32 v2, 16, v15 :: v_dual_lshlrev_b32 v14, 16, v25
	v_and_b32_e32 v15, 0xffff0000, v25
	scratch_store_b64 off, v[0:1], off offset:32 ; 8-byte Folded Spill
	s_wait_xcnt 0x0
	v_and_b32_e32 v1, 0xffff0000, v24
	v_lshlrev_b32_e32 v0, 16, v24
	v_and_b32_e32 v43, 0xffff0000, v8
	v_and_b32_e32 v45, 0xffff0000, v13
	v_dual_lshlrev_b32 v44, 16, v13 :: v_dual_lshlrev_b32 v12, 16, v4
	scratch_store_b64 off, v[0:1], off offset:40 ; 8-byte Folded Spill
	s_wait_xcnt 0x0
	v_mov_b32_e32 v1, v33
	v_and_b32_e32 v33, 0xffff0000, v21
	ds_load_b128 v[20:23], v19 offset:96
	v_and_b32_e32 v13, 0xffff0000, v4
	v_and_b32_e32 v47, 0xffff0000, v9
	v_lshl_or_b32 v0, v1, 7, v18
	v_dual_lshlrev_b32 v18, 4, v106 :: v_dual_lshlrev_b32 v46, 16, v9
	s_wait_dscnt 0x1
	v_dual_lshlrev_b32 v8, 16, v16 :: v_dual_lshlrev_b32 v64, 16, v30
	v_lshlrev_b32_e32 v66, 16, v31
	v_and_b32_e32 v67, 0xffff0000, v31
	v_mov_b32_e32 v31, v1
	v_and_b32_e32 v9, 0xffff0000, v16
	v_and_b32_e32 v49, 0xffff0000, v5
	v_dual_lshlrev_b32 v48, 16, v5 :: v_dual_lshlrev_b32 v4, 16, v26
	v_and_b32_e32 v5, 0xffff0000, v26
	v_and_b32_e32 v51, 0xffff0000, v17
	v_dual_lshlrev_b32 v50, 16, v17 :: v_dual_lshlrev_b32 v16, 16, v27
	v_and_b32_e32 v17, 0xffff0000, v27
	s_wait_dscnt 0x0
	v_and_b32_e32 v53, 0xffff0000, v20
	v_dual_lshlrev_b32 v52, 16, v20 :: v_dual_lshlrev_b32 v54, 16, v21
	v_and_b32_e32 v55, 0xffff0000, v21
	v_add_nc_u64_e32 v[20:21], s[20:21], v[18:19]
	v_and_b32_e32 v18, 0x7c, v68
	v_and_b32_e32 v57, 0xffff0000, v22
	v_dual_lshlrev_b32 v56, 16, v22 :: v_dual_lshlrev_b32 v58, 16, v23
	v_and_b32_e32 v59, 0xffff0000, v23
	s_delay_alu instid0(VALU_DEP_4)
	v_add_nc_u64_e32 v[70:71], s[28:29], v[18:19]
	v_and_b32_e32 v61, 0xffff0000, v28
	v_dual_lshlrev_b32 v60, 16, v28 :: v_dual_lshlrev_b32 v62, 16, v29
	v_and_b32_e32 v63, 0xffff0000, v29
	v_and_b32_e32 v65, 0xffff0000, v30
	v_add_nc_u32_e32 v29, 0xa0, v0
	v_lshl_or_b32 v30, v1, 5, v106
	v_mov_b32_e32 v28, 0xff7fffff
	s_mov_b64 s[20:21], 0xffffffffffffff
	s_mov_b32 s11, 0
	s_mov_b32 s5, s4
	s_sub_co_i32 s28, 1, s25
	s_clause 0x3
	scratch_store_b64 off, v[20:21], off offset:48
	scratch_store_b32 off, v68, off offset:68
	scratch_store_b32 off, v106, off offset:64
	;; [unrolled: 1-line block ×3, first 2 shown]
	s_branch .LBB360_10
.LBB360_6:                              ;   in Loop: Header=BB360_10 Depth=1
	s_or_b32 exec_lo, exec_lo, s33
	s_delay_alu instid0(VALU_DEP_1) | instskip(NEXT) | instid1(VALU_DEP_2)
	v_dual_lshlrev_b32 v20, 24, v20 :: v_dual_lshlrev_b32 v18, 20, v18
	v_lshl_add_u32 v21, v21, 23, 0x3c000000
	s_delay_alu instid0(VALU_DEP_2) | instskip(NEXT) | instid1(VALU_DEP_1)
	v_and_b32_e32 v20, 0x80000000, v20
	v_or3_b32 v25, v18, v20, v21
.LBB360_7:                              ;   in Loop: Header=BB360_10 Depth=1
	s_or_b32 exec_lo, exec_lo, s31
.LBB360_8:                              ;   in Loop: Header=BB360_10 Depth=1
	s_delay_alu instid0(SALU_CYCLE_1)
	s_or_b32 exec_lo, exec_lo, s30
.LBB360_9:                              ;   in Loop: Header=BB360_10 Depth=1
	s_delay_alu instid0(SALU_CYCLE_1) | instskip(SKIP_4) | instid1(VALU_DEP_4)
	s_or_b32 exec_lo, exec_lo, s29
	v_mov_b64_e32 v[26:27], s[4:5]
	v_cmp_gt_i32_e64 s3, s25, v30
	v_add_nc_u64_e32 v[70:71], 16, v[70:71]
	v_add_nc_u32_e32 v31, 4, v31
	v_pk_mul_f32 v[20:21], v[26:27], v[126:127]
	v_pk_mul_f32 v[92:93], v[26:27], v[92:93]
	;; [unrolled: 1-line block ×5, first 2 shown]
	v_cvt_pk_bf16_f32 v126, v20, v21
	v_pk_mul_f32 v[20:21], v[26:27], v[124:125]
	v_cvt_pk_bf16_f32 v92, v92, v93
	v_cvt_pk_bf16_f32 v74, v74, v75
	v_cvt_pk_bf16_f32 v72, v72, v73
	v_pk_mul_f32 v[80:81], v[26:27], v[80:81]
	v_cvt_pk_bf16_f32 v124, v20, v21
	v_pk_mul_f32 v[20:21], v[26:27], v[122:123]
	v_pk_mul_f32 v[82:83], v[26:27], v[82:83]
	;; [unrolled: 1-line block ×3, first 2 shown]
	v_cvt_pk_bf16_f32 v80, v80, v81
	s_delay_alu instid0(VALU_DEP_4) | instskip(SKIP_4) | instid1(VALU_DEP_4)
	v_cvt_pk_bf16_f32 v122, v20, v21
	v_pk_mul_f32 v[20:21], v[26:27], v[68:69]
	v_pk_mul_f32 v[68:69], v[26:27], v[98:99]
	;; [unrolled: 1-line block ×3, first 2 shown]
	v_cvt_pk_bf16_f32 v82, v82, v83
	v_cvt_pk_bf16_f32 v18, v20, v21
	v_pk_mul_f32 v[20:21], v[26:27], v[118:119]
	s_delay_alu instid0(VALU_DEP_4) | instskip(SKIP_2) | instid1(VALU_DEP_4)
	v_cvt_pk_bf16_f32 v105, v98, v99
	v_and_b32_e32 v99, 0xffff0000, v80
	v_lshlrev_b32_e32 v98, 16, v80
	v_cvt_pk_bf16_f32 v118, v20, v21
	v_pk_mul_f32 v[20:21], v[26:27], v[116:117]
	s_delay_alu instid0(VALU_DEP_1) | instskip(SKIP_1) | instid1(VALU_DEP_1)
	v_cvt_pk_bf16_f32 v116, v20, v21
	v_pk_mul_f32 v[20:21], v[26:27], v[114:115]
	v_cvt_pk_bf16_f32 v115, v20, v21
	v_pk_mul_f32 v[20:21], v[26:27], v[120:121]
	s_delay_alu instid0(VALU_DEP_1) | instskip(SKIP_1) | instid1(VALU_DEP_1)
	v_cvt_pk_bf16_f32 v114, v20, v21
	v_pk_mul_f32 v[20:21], v[26:27], v[110:111]
	;; [unrolled: 5-line block ×3, first 2 shown]
	v_cvt_pk_bf16_f32 v106, v20, v21
	v_pk_mul_f32 v[20:21], v[26:27], v[112:113]
	scratch_load_b64 v[112:113], off, off offset:32 ; 8-byte Folded Reload
	v_cvt_pk_bf16_f32 v107, v20, v21
	v_pk_mul_f32 v[20:21], v[26:27], v[102:103]
	v_cvt_pk_bf16_f32 v102, v68, v69
	v_pk_mul_f32 v[68:69], v[26:27], v[96:97]
	v_and_b32_e32 v97, 0xffff0000, v72
	v_lshlrev_b32_e32 v96, 16, v72
	v_cvt_pk_bf16_f32 v109, v20, v21
	v_pk_mul_f32 v[20:21], v[26:27], v[100:101]
	v_cvt_pk_bf16_f32 v111, v68, v69
	v_pk_mul_f32 v[68:69], v[26:27], v[76:77]
	v_pk_mul_f32 v[76:77], v[26:27], v[78:79]
	v_cvt_pk_bf16_f32 v103, v94, v95
	v_cvt_pk_bf16_f32 v104, v20, v21
	v_pk_mul_f32 v[20:21], v[26:27], v[90:91]
	v_cvt_pk_bf16_f32 v79, v68, v69
	v_cvt_pk_bf16_f32 v73, v76, v77
	;; [unrolled: 1-line block ×3, first 2 shown]
	v_pk_mul_f32 v[68:69], v[26:27], v[0:1]
	v_cvt_pk_bf16_f32 v93, v20, v21
	v_pk_mul_f32 v[20:21], v[26:27], v[88:89]
	v_pk_mul_f32 v[0:1], v[26:27], v[24:25]
	v_and_b32_e32 v87, 0xffff0000, v74
	v_lshlrev_b32_e32 v86, 16, v74
	v_and_b32_e32 v75, 0xffff0000, v79
	v_cvt_pk_bf16_f32 v78, v20, v21
	v_dual_lshlrev_b32 v74, 16, v79 :: v_dual_lshlrev_b32 v24, 16, v73
	v_and_b32_e32 v25, 0xffff0000, v73
	v_dual_lshlrev_b32 v76, 16, v111 :: v_dual_lshlrev_b32 v88, 16, v104
	s_delay_alu instid0(VALU_DEP_4)
	v_and_b32_e32 v73, 0xffff0000, v78
	v_lshlrev_b32_e32 v72, 16, v78
	v_and_b32_e32 v89, 0xffff0000, v104
	v_and_b32_e32 v79, 0xffff0000, v105
	v_lshlrev_b32_e32 v78, 16, v105
	scratch_load_b64 v[104:105], off, off offset:8 ; 8-byte Folded Reload
	v_lshlrev_b32_e32 v94, 16, v82
	v_and_b32_e32 v95, 0xffff0000, v82
	v_pk_mul_f32 v[20:21], v[26:27], v[22:23]
	v_pk_mul_f32 v[22:23], v[26:27], v[84:85]
	v_and_b32_e32 v91, 0xffff0000, v90
	v_dual_lshlrev_b32 v90, 16, v90 :: v_dual_lshlrev_b32 v100, 16, v93
	v_and_b32_e32 v101, 0xffff0000, v93
	v_and_b32_e32 v27, 0xffff0000, v92
	v_lshlrev_b32_e32 v26, 16, v92
	v_and_b32_e32 v81, 0xffff0000, v109
	v_dual_lshlrev_b32 v80, 16, v109 :: v_dual_lshlrev_b32 v92, 16, v106
	v_and_b32_e32 v93, 0xffff0000, v106
	v_and_b32_e32 v85, 0xffff0000, v108
	v_lshlrev_b32_e32 v84, 16, v108
	scratch_load_b64 v[108:109], off, off offset:24 ; 8-byte Folded Reload
	v_pk_mul_f32 v[94:95], v[34:35], v[94:95]
	v_and_b32_e32 v83, 0xffff0000, v103
	v_lshlrev_b32_e32 v82, 16, v103
	v_and_b32_e32 v103, 0xffff0000, v102
	v_lshlrev_b32_e32 v102, 16, v102
	v_pk_fma_f32 v[86:87], v[32:33], v[86:87], v[94:95]
	v_and_b32_e32 v95, 0xffff0000, v122
	v_lshlrev_b32_e32 v94, 16, v122
	v_pk_mul_f32 v[72:73], v[44:45], v[72:73]
	v_and_b32_e32 v77, 0xffff0000, v111
	v_pk_fma_f32 v[26:27], v[10:11], v[26:27], v[86:87]
	v_pk_mul_f32 v[86:87], v[38:39], v[90:91]
	v_and_b32_e32 v111, 0xffff0000, v124
	v_pk_fma_f32 v[24:25], v[40:41], v[24:25], v[72:73]
	v_cvt_pk_bf16_f32 v72, v22, v23
	v_pk_fma_f32 v[26:27], v[6:7], v[88:89], v[26:27]
	scratch_load_b64 v[88:89], off, off offset:40 ; 8-byte Folded Reload
	v_pk_fma_f32 v[74:75], v[36:37], v[74:75], v[86:87]
	v_cvt_pk_bf16_f32 v86, v68, v69
	v_pk_fma_f32 v[24:25], v[46:47], v[76:77], v[24:25]
	v_pk_fma_f32 v[26:27], v[2:3], v[84:85], v[26:27]
	v_and_b32_e32 v91, 0xffff0000, v126
	v_pk_fma_f32 v[68:69], v[42:43], v[82:83], v[74:75]
	v_and_b32_e32 v83, 0xffff0000, v86
	v_lshlrev_b32_e32 v82, 16, v86
	v_pk_fma_f32 v[24:25], v[48:49], v[78:79], v[24:25]
	v_and_b32_e32 v87, 0xffff0000, v18
	v_pk_fma_f32 v[68:69], v[12:13], v[80:81], v[68:69]
	v_lshlrev_b32_e32 v86, 16, v18
	v_cvt_pk_bf16_f32 v18, v0, v1
	s_wait_loadcnt 0x2
	v_pk_mul_f32 v[98:99], v[104:105], v[98:99]
	scratch_load_b64 v[104:105], off, off   ; 8-byte Folded Reload
	s_wait_loadcnt 0x0
	v_pk_fma_f32 v[98:99], v[104:105], v[96:97], v[98:99]
	v_dual_lshlrev_b32 v104, 16, v110 :: v_dual_lshlrev_b32 v96, 16, v107
	v_and_b32_e32 v97, 0xffff0000, v107
	scratch_load_b64 v[106:107], off, off offset:16 ; 8-byte Folded Reload
	v_and_b32_e32 v105, 0xffff0000, v110
	v_lshlrev_b32_e32 v110, 16, v124
	v_pk_fma_f32 v[24:25], v[50:51], v[96:97], v[24:25]
	s_wait_loadcnt 0x0
	v_pk_fma_f32 v[98:99], v[106:107], v[100:101], v[98:99]
	v_and_b32_e32 v101, 0xffff0000, v115
	v_dual_lshlrev_b32 v100, 16, v115 :: v_dual_lshlrev_b32 v106, 16, v116
	v_and_b32_e32 v107, 0xffff0000, v116
	s_delay_alu instid0(VALU_DEP_4)
	v_pk_fma_f32 v[98:99], v[108:109], v[102:103], v[98:99]
	v_lshlrev_b32_e32 v102, 16, v118
	v_and_b32_e32 v103, 0xffff0000, v118
	v_lshlrev_b32_e32 v108, 16, v114
	v_pk_fma_f32 v[26:27], v[14:15], v[106:107], v[26:27]
	v_pk_fma_f32 v[92:93], v[112:113], v[92:93], v[98:99]
	v_and_b32_e32 v109, 0xffff0000, v114
	s_delay_alu instid0(VALU_DEP_3) | instskip(NEXT) | instid1(VALU_DEP_3)
	v_pk_fma_f32 v[22:23], v[54:55], v[110:111], v[26:27]
	v_pk_fma_f32 v[88:89], v[88:89], v[100:101], v[92:93]
	;; [unrolled: 1-line block ×3, first 2 shown]
	v_and_b32_e32 v69, 0xffff0000, v72
	v_lshlrev_b32_e32 v68, 16, v72
	v_pk_fma_f32 v[24:25], v[16:17], v[108:109], v[24:25]
	v_pk_fma_f32 v[74:75], v[52:53], v[94:95], v[88:89]
	;; [unrolled: 1-line block ×3, first 2 shown]
	s_delay_alu instid0(VALU_DEP_2) | instskip(SKIP_2) | instid1(VALU_DEP_3)
	v_pk_fma_f32 v[72:73], v[60:61], v[82:83], v[74:75]
	v_cvt_pk_bf16_f32 v74, v20, v21
	v_pk_fma_f32 v[20:21], v[62:63], v[68:69], v[22:23]
	v_dual_add_f32 v68, v72, v73 :: v_dual_lshlrev_b32 v90, 16, v126
	s_delay_alu instid0(VALU_DEP_1) | instskip(NEXT) | instid1(VALU_DEP_2)
	v_add_f32_e32 v20, v68, v20
	v_pk_fma_f32 v[22:23], v[56:57], v[90:91], v[26:27]
	v_and_b32_e32 v27, 0xffff0000, v74
	v_lshlrev_b32_e32 v26, 16, v74
	s_delay_alu instid0(VALU_DEP_1) | instskip(SKIP_4) | instid1(VALU_DEP_4)
	v_pk_fma_f32 v[0:1], v[64:65], v[26:27], v[22:23]
	v_dual_add_f32 v26, v20, v21 :: v_dual_add_nc_u32 v27, s28, v30
	v_and_b32_e32 v23, 0xffff0000, v18
	v_lshlrev_b32_e32 v22, 16, v18
	v_pk_fma_f32 v[20:21], v[58:59], v[86:87], v[24:25]
	v_add_f32_e32 v0, v26, v0
	v_cvt_f32_i32_e32 v18, v27
	v_add_nc_u32_e32 v30, 0x80, v30
	s_delay_alu instid0(VALU_DEP_4) | instskip(NEXT) | instid1(VALU_DEP_3)
	v_pk_fma_f32 v[20:21], v[66:67], v[22:23], v[20:21]
	v_dual_add_f32 v0, v0, v1 :: v_dual_mul_f32 v1, s18, v18
	s_delay_alu instid0(VALU_DEP_1) | instskip(NEXT) | instid1(VALU_DEP_1)
	v_dual_add_f32 v0, v0, v20 :: v_dual_cndmask_b32 v1, 0, v1
	v_add_f32_e32 v0, v0, v21
	s_delay_alu instid0(VALU_DEP_1) | instskip(SKIP_1) | instid1(VALU_DEP_1)
	v_fmac_f32_e32 v1, s19, v0
	v_max_num_f32_e32 v0, v28, v28
	v_max_num_f32_e32 v0, v0, v1
	s_delay_alu instid0(VALU_DEP_1)
	v_dual_cndmask_b32 v28, v28, v0, s3 :: v_dual_cndmask_b32 v18, 0, v1, s3
	v_cmp_le_i32_e64 s3, s13, v31
	ds_store_b32 v29, v18
	v_add_nc_u32_e32 v29, 0x200, v29
	s_or_b32 s11, s3, s11
	s_wait_xcnt 0x0
	s_and_not1_b32 exec_lo, exec_lo, s11
	s_cbranch_execz .LBB360_487
.LBB360_10:                             ; =>This Inner Loop Header: Depth=1
	global_load_b32 v0, v[70:71], off
	scratch_load_b64 v[20:21], off, off offset:48 ; 8-byte Folded Reload
	v_mov_b32_e32 v72, 0
	s_mov_b32 s29, exec_lo
	s_wait_loadcnt 0x0
	v_mad_nc_i64_i32 v[84:85], v0, s27, v[20:21]
	global_load_b64 v[0:1], v[84:85], off
	s_wait_loadcnt 0x0
	v_and_b32_e32 v18, 0xff, v0
	s_wait_xcnt 0x0
	s_delay_alu instid0(VALU_DEP_1)
	v_cmpx_ne_u16_e32 0, v18
	s_cbranch_execz .LBB360_16
; %bb.11:                               ;   in Loop: Header=BB360_10 Depth=1
	v_bfrev_b32_e32 v72, 1
	s_mov_b32 s30, exec_lo
	v_cmpx_ne_u16_e32 0x80, v18
	s_cbranch_execz .LBB360_15
; %bb.12:                               ;   in Loop: Header=BB360_10 Depth=1
	v_and_b32_e32 v18, 0x7f, v0
	v_mov_b32_e32 v72, 0x7f800001
	s_mov_b32 s31, exec_lo
	s_delay_alu instid0(VALU_DEP_2)
	v_cmpx_ne_u32_e32 0x7f, v18
	s_cbranch_execz .LBB360_14
; %bb.13:                               ;   in Loop: Header=BB360_10 Depth=1
	v_dual_lshrrev_b32 v21, 3, v18 :: v_dual_bitop2_b32 v20, 7, v0 bitop3:0x40
	v_cmp_gt_u32_e64 s3, 8, v18
	s_delay_alu instid0(VALU_DEP_2) | instskip(NEXT) | instid1(VALU_DEP_1)
	v_clz_i32_u32_e32 v20, v20
	v_min_u32_e32 v20, 32, v20
	s_delay_alu instid0(VALU_DEP_1) | instskip(SKIP_1) | instid1(VALU_DEP_1)
	v_subrev_nc_u32_e32 v22, 28, v20
	v_sub_nc_u32_e32 v20, 29, v20
	v_dual_cndmask_b32 v18, v21, v20, s3 :: v_dual_cndmask_b32 v20, 0, v22, s3
	s_delay_alu instid0(VALU_DEP_1) | instskip(NEXT) | instid1(VALU_DEP_2)
	v_lshl_add_u32 v18, v18, 23, 0x3c000000
	v_lshlrev_b64_e32 v[20:21], v20, v[0:1]
	v_lshlrev_b32_e32 v21, 24, v0
	s_delay_alu instid0(VALU_DEP_1) | instskip(NEXT) | instid1(VALU_DEP_3)
	v_and_b32_e32 v21, 0x80000000, v21
	v_lshlrev_b32_e32 v20, 20, v20
	s_delay_alu instid0(VALU_DEP_1) | instskip(NEXT) | instid1(VALU_DEP_1)
	v_and_b32_e32 v20, 0x700000, v20
	v_or3_b32 v72, v20, v21, v18
.LBB360_14:                             ;   in Loop: Header=BB360_10 Depth=1
	s_or_b32 exec_lo, exec_lo, s31
.LBB360_15:                             ;   in Loop: Header=BB360_10 Depth=1
	s_delay_alu instid0(SALU_CYCLE_1)
	s_or_b32 exec_lo, exec_lo, s30
.LBB360_16:                             ;   in Loop: Header=BB360_10 Depth=1
	s_delay_alu instid0(SALU_CYCLE_1) | instskip(SKIP_3) | instid1(VALU_DEP_2)
	s_or_b32 exec_lo, exec_lo, s29
	v_lshrrev_b16 v18, 8, v0
	v_dual_mov_b32 v74, 0 :: v_dual_mov_b32 v73, 0
	s_mov_b32 s29, exec_lo
	v_cmpx_ne_u16_e32 0, v18
	s_cbranch_execz .LBB360_24
; %bb.17:                               ;   in Loop: Header=BB360_10 Depth=1
	v_bfrev_b32_e32 v73, 1
	s_mov_b32 s30, exec_lo
	v_cmpx_ne_u16_e32 0x80, v18
	s_cbranch_execz .LBB360_23
; %bb.18:                               ;   in Loop: Header=BB360_10 Depth=1
	v_and_b32_e32 v18, 0xffff, v18
	v_mov_b32_e32 v73, 0x7f800001
	s_mov_b32 s31, exec_lo
	s_delay_alu instid0(VALU_DEP_2) | instskip(NEXT) | instid1(VALU_DEP_1)
	v_and_b32_e32 v21, 0x7f, v18
	v_cmpx_ne_u32_e32 0x7f, v21
	s_cbranch_execz .LBB360_22
; %bb.19:                               ;   in Loop: Header=BB360_10 Depth=1
	v_dual_lshrrev_b32 v20, 3, v21 :: v_dual_bitop2_b32 v18, 7, v18 bitop3:0x40
	s_mov_b32 s33, exec_lo
	v_cmpx_gt_u32_e32 8, v21
; %bb.20:                               ;   in Loop: Header=BB360_10 Depth=1
	s_delay_alu instid0(VALU_DEP_2) | instskip(NEXT) | instid1(VALU_DEP_1)
	v_clz_i32_u32_e32 v20, v18
	v_min_u32_e32 v20, 32, v20
	s_delay_alu instid0(VALU_DEP_1) | instskip(NEXT) | instid1(VALU_DEP_1)
	v_subrev_nc_u32_e32 v21, 28, v20
	v_lshlrev_b64_e32 v[22:23], v21, v[18:19]
	s_delay_alu instid0(VALU_DEP_1)
	v_dual_sub_nc_u32 v20, 29, v20 :: v_dual_bitop2_b32 v18, 7, v22 bitop3:0x40
; %bb.21:                               ;   in Loop: Header=BB360_10 Depth=1
	s_or_b32 exec_lo, exec_lo, s33
	s_delay_alu instid0(VALU_DEP_1) | instskip(NEXT) | instid1(VALU_DEP_2)
	v_dual_lshlrev_b32 v21, 16, v0 :: v_dual_lshlrev_b32 v18, 20, v18
	v_lshl_add_u32 v20, v20, 23, 0x3c000000
	s_delay_alu instid0(VALU_DEP_2) | instskip(NEXT) | instid1(VALU_DEP_1)
	v_and_b32_e32 v21, 0x80000000, v21
	v_or3_b32 v73, v18, v21, v20
.LBB360_22:                             ;   in Loop: Header=BB360_10 Depth=1
	s_or_b32 exec_lo, exec_lo, s31
.LBB360_23:                             ;   in Loop: Header=BB360_10 Depth=1
	s_delay_alu instid0(SALU_CYCLE_1)
	s_or_b32 exec_lo, exec_lo, s30
.LBB360_24:                             ;   in Loop: Header=BB360_10 Depth=1
	s_delay_alu instid0(SALU_CYCLE_1) | instskip(SKIP_2) | instid1(VALU_DEP_1)
	s_or_b32 exec_lo, exec_lo, s29
	v_lshrrev_b32_e32 v20, 16, v0
	s_mov_b32 s29, exec_lo
	v_and_b32_e32 v18, 0xff, v20
	s_delay_alu instid0(VALU_DEP_1)
	v_cmpx_ne_u16_e32 0, v18
	s_cbranch_execz .LBB360_32
; %bb.25:                               ;   in Loop: Header=BB360_10 Depth=1
	v_bfrev_b32_e32 v74, 1
	s_mov_b32 s30, exec_lo
	v_cmpx_ne_u16_e32 0x80, v18
	s_cbranch_execz .LBB360_31
; %bb.26:                               ;   in Loop: Header=BB360_10 Depth=1
	v_bfe_u32 v22, v0, 16, 7
	v_mov_b32_e32 v74, 0x7f800001
	s_mov_b32 s31, exec_lo
	s_delay_alu instid0(VALU_DEP_2)
	v_cmpx_ne_u32_e32 0x7f, v22
	s_cbranch_execz .LBB360_30
; %bb.27:                               ;   in Loop: Header=BB360_10 Depth=1
	v_dual_lshrrev_b32 v21, 3, v22 :: v_dual_bitop2_b32 v18, 7, v20 bitop3:0x40
	s_mov_b32 s33, exec_lo
	v_cmpx_gt_u32_e32 8, v22
; %bb.28:                               ;   in Loop: Header=BB360_10 Depth=1
	s_delay_alu instid0(VALU_DEP_2) | instskip(NEXT) | instid1(VALU_DEP_1)
	v_clz_i32_u32_e32 v21, v18
	v_min_u32_e32 v21, 32, v21
	s_delay_alu instid0(VALU_DEP_1) | instskip(NEXT) | instid1(VALU_DEP_1)
	v_subrev_nc_u32_e32 v22, 28, v21
	v_lshlrev_b64_e32 v[22:23], v22, v[18:19]
	s_delay_alu instid0(VALU_DEP_1)
	v_dual_sub_nc_u32 v21, 29, v21 :: v_dual_bitop2_b32 v18, 7, v22 bitop3:0x40
; %bb.29:                               ;   in Loop: Header=BB360_10 Depth=1
	s_or_b32 exec_lo, exec_lo, s33
	s_delay_alu instid0(VALU_DEP_1) | instskip(NEXT) | instid1(VALU_DEP_2)
	v_dual_lshlrev_b32 v20, 24, v20 :: v_dual_lshlrev_b32 v18, 20, v18
	v_lshl_add_u32 v21, v21, 23, 0x3c000000
	s_delay_alu instid0(VALU_DEP_2) | instskip(NEXT) | instid1(VALU_DEP_1)
	v_and_b32_e32 v20, 0x80000000, v20
	v_or3_b32 v74, v18, v20, v21
.LBB360_30:                             ;   in Loop: Header=BB360_10 Depth=1
	s_or_b32 exec_lo, exec_lo, s31
.LBB360_31:                             ;   in Loop: Header=BB360_10 Depth=1
	s_delay_alu instid0(SALU_CYCLE_1)
	s_or_b32 exec_lo, exec_lo, s30
.LBB360_32:                             ;   in Loop: Header=BB360_10 Depth=1
	s_delay_alu instid0(SALU_CYCLE_1)
	s_or_b32 exec_lo, exec_lo, s29
	v_dual_mov_b32 v76, 0 :: v_dual_mov_b32 v75, 0
	s_mov_b32 s29, exec_lo
	v_cmpx_lt_u32_e32 0xffffff, v0
	s_cbranch_execz .LBB360_40
; %bb.33:                               ;   in Loop: Header=BB360_10 Depth=1
	v_lshrrev_b32_e32 v20, 24, v0
	v_bfrev_b32_e32 v75, 1
	s_mov_b32 s30, exec_lo
	s_delay_alu instid0(VALU_DEP_2)
	v_cmpx_ne_u32_e32 0x80, v20
	s_cbranch_execz .LBB360_39
; %bb.34:                               ;   in Loop: Header=BB360_10 Depth=1
	v_bfe_u32 v22, v0, 24, 7
	v_mov_b32_e32 v75, 0x7f800001
	s_mov_b32 s31, exec_lo
	s_delay_alu instid0(VALU_DEP_2)
	v_cmpx_ne_u32_e32 0x7f, v22
	s_cbranch_execz .LBB360_38
; %bb.35:                               ;   in Loop: Header=BB360_10 Depth=1
	v_dual_lshrrev_b32 v21, 3, v22 :: v_dual_bitop2_b32 v18, 7, v20 bitop3:0x40
	s_mov_b32 s33, exec_lo
	v_cmpx_gt_u32_e32 8, v22
; %bb.36:                               ;   in Loop: Header=BB360_10 Depth=1
	s_delay_alu instid0(VALU_DEP_2) | instskip(NEXT) | instid1(VALU_DEP_1)
	v_clz_i32_u32_e32 v21, v18
	v_min_u32_e32 v21, 32, v21
	s_delay_alu instid0(VALU_DEP_1) | instskip(NEXT) | instid1(VALU_DEP_1)
	v_subrev_nc_u32_e32 v22, 28, v21
	v_lshlrev_b64_e32 v[22:23], v22, v[18:19]
	s_delay_alu instid0(VALU_DEP_1)
	v_dual_sub_nc_u32 v21, 29, v21 :: v_dual_bitop2_b32 v18, 7, v22 bitop3:0x40
; %bb.37:                               ;   in Loop: Header=BB360_10 Depth=1
	s_or_b32 exec_lo, exec_lo, s33
	s_delay_alu instid0(VALU_DEP_1) | instskip(NEXT) | instid1(VALU_DEP_2)
	v_dual_lshlrev_b32 v20, 24, v20 :: v_dual_lshlrev_b32 v18, 20, v18
	v_lshl_add_u32 v21, v21, 23, 0x3c000000
	s_delay_alu instid0(VALU_DEP_2) | instskip(NEXT) | instid1(VALU_DEP_1)
	v_and_b32_e32 v20, 0x80000000, v20
	v_or3_b32 v75, v18, v20, v21
.LBB360_38:                             ;   in Loop: Header=BB360_10 Depth=1
	s_or_b32 exec_lo, exec_lo, s31
.LBB360_39:                             ;   in Loop: Header=BB360_10 Depth=1
	s_delay_alu instid0(SALU_CYCLE_1)
	s_or_b32 exec_lo, exec_lo, s30
.LBB360_40:                             ;   in Loop: Header=BB360_10 Depth=1
	s_delay_alu instid0(SALU_CYCLE_1) | instskip(SKIP_3) | instid1(VALU_DEP_2)
	s_or_b32 exec_lo, exec_lo, s29
	v_and_b32_e32 v20, 0xff, v1
	v_mov_b32_e32 v18, v1
	s_mov_b32 s29, exec_lo
	v_cmpx_ne_u16_e32 0, v20
	s_cbranch_execz .LBB360_46
; %bb.41:                               ;   in Loop: Header=BB360_10 Depth=1
	v_bfrev_b32_e32 v76, 1
	s_mov_b32 s30, exec_lo
	v_cmpx_ne_u16_e32 0x80, v20
	s_cbranch_execz .LBB360_45
; %bb.42:                               ;   in Loop: Header=BB360_10 Depth=1
	v_and_b32_e32 v20, 0x7f, v1
	v_mov_b32_e32 v76, 0x7f800001
	s_mov_b32 s31, exec_lo
	s_delay_alu instid0(VALU_DEP_2)
	v_cmpx_ne_u32_e32 0x7f, v20
	s_cbranch_execz .LBB360_44
; %bb.43:                               ;   in Loop: Header=BB360_10 Depth=1
	v_dual_lshrrev_b32 v22, 3, v20 :: v_dual_bitop2_b32 v21, 7, v1 bitop3:0x40
	v_cmp_gt_u32_e64 s3, 8, v20
	s_delay_alu instid0(VALU_DEP_2) | instskip(NEXT) | instid1(VALU_DEP_1)
	v_clz_i32_u32_e32 v21, v21
	v_min_u32_e32 v21, 32, v21
	s_delay_alu instid0(VALU_DEP_1) | instskip(NEXT) | instid1(VALU_DEP_1)
	v_subrev_nc_u32_e32 v23, 28, v21
	v_dual_sub_nc_u32 v21, 29, v21 :: v_dual_cndmask_b32 v20, 0, v23, s3
	s_delay_alu instid0(VALU_DEP_1) | instskip(NEXT) | instid1(VALU_DEP_2)
	v_cndmask_b32_e64 v22, v22, v21, s3
	v_lshlrev_b64_e32 v[20:21], v20, v[18:19]
	v_lshlrev_b32_e32 v21, 24, v18
	s_delay_alu instid0(VALU_DEP_3) | instskip(NEXT) | instid1(VALU_DEP_2)
	v_lshl_add_u32 v22, v22, 23, 0x3c000000
	v_and_b32_e32 v21, 0x80000000, v21
	s_delay_alu instid0(VALU_DEP_4) | instskip(NEXT) | instid1(VALU_DEP_1)
	v_lshlrev_b32_e32 v20, 20, v20
	v_and_b32_e32 v20, 0x700000, v20
	s_delay_alu instid0(VALU_DEP_1)
	v_or3_b32 v76, v20, v21, v22
.LBB360_44:                             ;   in Loop: Header=BB360_10 Depth=1
	s_or_b32 exec_lo, exec_lo, s31
.LBB360_45:                             ;   in Loop: Header=BB360_10 Depth=1
	s_delay_alu instid0(SALU_CYCLE_1)
	s_or_b32 exec_lo, exec_lo, s30
.LBB360_46:                             ;   in Loop: Header=BB360_10 Depth=1
	s_delay_alu instid0(SALU_CYCLE_1) | instskip(SKIP_3) | instid1(VALU_DEP_2)
	s_or_b32 exec_lo, exec_lo, s29
	v_lshrrev_b16 v20, 8, v18
	v_dual_mov_b32 v78, 0 :: v_dual_mov_b32 v77, 0
	s_mov_b32 s29, exec_lo
	v_cmpx_ne_u16_e32 0, v20
	s_cbranch_execz .LBB360_54
; %bb.47:                               ;   in Loop: Header=BB360_10 Depth=1
	v_bfrev_b32_e32 v77, 1
	s_mov_b32 s30, exec_lo
	v_cmpx_ne_u16_e32 0x80, v20
	s_cbranch_execz .LBB360_53
; %bb.48:                               ;   in Loop: Header=BB360_10 Depth=1
	v_and_b32_e32 v20, 0xffff, v20
	v_mov_b32_e32 v77, 0x7f800001
	s_mov_b32 s31, exec_lo
	s_delay_alu instid0(VALU_DEP_2) | instskip(NEXT) | instid1(VALU_DEP_1)
	v_and_b32_e32 v23, 0x7f, v20
	v_cmpx_ne_u32_e32 0x7f, v23
	s_cbranch_execz .LBB360_52
; %bb.49:                               ;   in Loop: Header=BB360_10 Depth=1
	v_dual_mov_b32 v21, v19 :: v_dual_bitop2_b32 v20, 7, v20 bitop3:0x40
	v_lshrrev_b32_e32 v22, 3, v23
	s_mov_b32 s33, exec_lo
	v_cmpx_gt_u32_e32 8, v23
; %bb.50:                               ;   in Loop: Header=BB360_10 Depth=1
	s_delay_alu instid0(VALU_DEP_3) | instskip(NEXT) | instid1(VALU_DEP_1)
	v_clz_i32_u32_e32 v22, v20
	v_min_u32_e32 v22, 32, v22
	s_delay_alu instid0(VALU_DEP_1) | instskip(NEXT) | instid1(VALU_DEP_1)
	v_subrev_nc_u32_e32 v23, 28, v22
	v_lshlrev_b64_e32 v[20:21], v23, v[20:21]
	s_delay_alu instid0(VALU_DEP_1)
	v_dual_sub_nc_u32 v22, 29, v22 :: v_dual_bitop2_b32 v20, 7, v20 bitop3:0x40
; %bb.51:                               ;   in Loop: Header=BB360_10 Depth=1
	s_or_b32 exec_lo, exec_lo, s33
	s_delay_alu instid0(VALU_DEP_1) | instskip(NEXT) | instid1(VALU_DEP_2)
	v_dual_lshlrev_b32 v18, 16, v18 :: v_dual_lshlrev_b32 v20, 20, v20
	v_lshl_add_u32 v21, v22, 23, 0x3c000000
	s_delay_alu instid0(VALU_DEP_2) | instskip(NEXT) | instid1(VALU_DEP_1)
	v_and_b32_e32 v18, 0x80000000, v18
	v_or3_b32 v77, v20, v18, v21
.LBB360_52:                             ;   in Loop: Header=BB360_10 Depth=1
	s_or_b32 exec_lo, exec_lo, s31
.LBB360_53:                             ;   in Loop: Header=BB360_10 Depth=1
	s_delay_alu instid0(SALU_CYCLE_1)
	s_or_b32 exec_lo, exec_lo, s30
.LBB360_54:                             ;   in Loop: Header=BB360_10 Depth=1
	s_delay_alu instid0(SALU_CYCLE_1) | instskip(SKIP_2) | instid1(VALU_DEP_1)
	s_or_b32 exec_lo, exec_lo, s29
	v_lshrrev_b32_e32 v20, 16, v1
	s_mov_b32 s29, exec_lo
	v_and_b32_e32 v18, 0xff, v20
	s_delay_alu instid0(VALU_DEP_1)
	v_cmpx_ne_u16_e32 0, v18
	s_cbranch_execz .LBB360_62
; %bb.55:                               ;   in Loop: Header=BB360_10 Depth=1
	v_bfrev_b32_e32 v78, 1
	s_mov_b32 s30, exec_lo
	v_cmpx_ne_u16_e32 0x80, v18
	s_cbranch_execz .LBB360_61
; %bb.56:                               ;   in Loop: Header=BB360_10 Depth=1
	v_bfe_u32 v22, v1, 16, 7
	v_mov_b32_e32 v78, 0x7f800001
	s_mov_b32 s31, exec_lo
	s_delay_alu instid0(VALU_DEP_2)
	v_cmpx_ne_u32_e32 0x7f, v22
	s_cbranch_execz .LBB360_60
; %bb.57:                               ;   in Loop: Header=BB360_10 Depth=1
	v_dual_lshrrev_b32 v21, 3, v22 :: v_dual_bitop2_b32 v18, 7, v20 bitop3:0x40
	s_mov_b32 s33, exec_lo
	v_cmpx_gt_u32_e32 8, v22
; %bb.58:                               ;   in Loop: Header=BB360_10 Depth=1
	s_delay_alu instid0(VALU_DEP_2) | instskip(NEXT) | instid1(VALU_DEP_1)
	v_clz_i32_u32_e32 v21, v18
	v_min_u32_e32 v21, 32, v21
	s_delay_alu instid0(VALU_DEP_1) | instskip(NEXT) | instid1(VALU_DEP_1)
	v_subrev_nc_u32_e32 v22, 28, v21
	v_lshlrev_b64_e32 v[22:23], v22, v[18:19]
	s_delay_alu instid0(VALU_DEP_1)
	v_dual_sub_nc_u32 v21, 29, v21 :: v_dual_bitop2_b32 v18, 7, v22 bitop3:0x40
; %bb.59:                               ;   in Loop: Header=BB360_10 Depth=1
	s_or_b32 exec_lo, exec_lo, s33
	s_delay_alu instid0(VALU_DEP_1) | instskip(NEXT) | instid1(VALU_DEP_2)
	v_dual_lshlrev_b32 v20, 24, v20 :: v_dual_lshlrev_b32 v18, 20, v18
	v_lshl_add_u32 v21, v21, 23, 0x3c000000
	s_delay_alu instid0(VALU_DEP_2) | instskip(NEXT) | instid1(VALU_DEP_1)
	v_and_b32_e32 v20, 0x80000000, v20
	v_or3_b32 v78, v18, v20, v21
.LBB360_60:                             ;   in Loop: Header=BB360_10 Depth=1
	s_or_b32 exec_lo, exec_lo, s31
.LBB360_61:                             ;   in Loop: Header=BB360_10 Depth=1
	s_delay_alu instid0(SALU_CYCLE_1)
	s_or_b32 exec_lo, exec_lo, s30
.LBB360_62:                             ;   in Loop: Header=BB360_10 Depth=1
	s_delay_alu instid0(SALU_CYCLE_1)
	s_or_b32 exec_lo, exec_lo, s29
	v_dual_mov_b32 v80, 0 :: v_dual_mov_b32 v79, 0
	s_mov_b32 s29, exec_lo
	v_cmpx_lt_u64_e64 s[20:21], v[0:1]
	s_cbranch_execz .LBB360_70
; %bb.63:                               ;   in Loop: Header=BB360_10 Depth=1
	v_lshrrev_b32_e32 v0, 24, v1
	v_bfrev_b32_e32 v79, 1
	s_mov_b32 s30, exec_lo
	s_delay_alu instid0(VALU_DEP_2)
	v_cmpx_ne_u32_e32 0x80, v0
	s_cbranch_execz .LBB360_69
; %bb.64:                               ;   in Loop: Header=BB360_10 Depth=1
	v_bfe_u32 v20, v1, 24, 7
	v_mov_b32_e32 v79, 0x7f800001
	s_mov_b32 s31, exec_lo
	s_delay_alu instid0(VALU_DEP_2)
	v_cmpx_ne_u32_e32 0x7f, v20
	s_cbranch_execz .LBB360_68
; %bb.65:                               ;   in Loop: Header=BB360_10 Depth=1
	v_and_b32_e32 v18, 7, v0
	v_lshrrev_b32_e32 v1, 3, v20
	s_mov_b32 s33, exec_lo
	v_cmpx_gt_u32_e32 8, v20
; %bb.66:                               ;   in Loop: Header=BB360_10 Depth=1
	s_delay_alu instid0(VALU_DEP_3) | instskip(NEXT) | instid1(VALU_DEP_1)
	v_clz_i32_u32_e32 v1, v18
	v_min_u32_e32 v1, 32, v1
	s_delay_alu instid0(VALU_DEP_1) | instskip(NEXT) | instid1(VALU_DEP_1)
	v_subrev_nc_u32_e32 v20, 28, v1
	v_lshlrev_b64_e32 v[20:21], v20, v[18:19]
	s_delay_alu instid0(VALU_DEP_1)
	v_dual_sub_nc_u32 v1, 29, v1 :: v_dual_bitop2_b32 v18, 7, v20 bitop3:0x40
; %bb.67:                               ;   in Loop: Header=BB360_10 Depth=1
	s_or_b32 exec_lo, exec_lo, s33
	s_delay_alu instid0(VALU_DEP_1) | instskip(NEXT) | instid1(VALU_DEP_2)
	v_dual_lshlrev_b32 v0, 24, v0 :: v_dual_lshlrev_b32 v18, 20, v18
	v_lshl_add_u32 v1, v1, 23, 0x3c000000
	s_delay_alu instid0(VALU_DEP_2) | instskip(NEXT) | instid1(VALU_DEP_1)
	v_and_b32_e32 v0, 0x80000000, v0
	v_or3_b32 v79, v18, v0, v1
.LBB360_68:                             ;   in Loop: Header=BB360_10 Depth=1
	s_or_b32 exec_lo, exec_lo, s31
.LBB360_69:                             ;   in Loop: Header=BB360_10 Depth=1
	s_delay_alu instid0(SALU_CYCLE_1)
	s_or_b32 exec_lo, exec_lo, s30
.LBB360_70:                             ;   in Loop: Header=BB360_10 Depth=1
	s_delay_alu instid0(SALU_CYCLE_1)
	s_or_b32 exec_lo, exec_lo, s29
	global_load_b64 v[0:1], v[84:85], off offset:8
	s_mov_b32 s29, exec_lo
	s_wait_loadcnt 0x0
	v_and_b32_e32 v18, 0xff, v0
	s_wait_xcnt 0x0
	s_delay_alu instid0(VALU_DEP_1)
	v_cmpx_ne_u16_e32 0, v18
	s_cbranch_execz .LBB360_76
; %bb.71:                               ;   in Loop: Header=BB360_10 Depth=1
	v_bfrev_b32_e32 v80, 1
	s_mov_b32 s30, exec_lo
	v_cmpx_ne_u16_e32 0x80, v18
	s_cbranch_execz .LBB360_75
; %bb.72:                               ;   in Loop: Header=BB360_10 Depth=1
	v_and_b32_e32 v18, 0x7f, v0
	v_mov_b32_e32 v80, 0x7f800001
	s_mov_b32 s31, exec_lo
	s_delay_alu instid0(VALU_DEP_2)
	v_cmpx_ne_u32_e32 0x7f, v18
	s_cbranch_execz .LBB360_74
; %bb.73:                               ;   in Loop: Header=BB360_10 Depth=1
	v_dual_lshrrev_b32 v21, 3, v18 :: v_dual_bitop2_b32 v20, 7, v0 bitop3:0x40
	v_cmp_gt_u32_e64 s3, 8, v18
	s_delay_alu instid0(VALU_DEP_2) | instskip(NEXT) | instid1(VALU_DEP_1)
	v_clz_i32_u32_e32 v20, v20
	v_min_u32_e32 v20, 32, v20
	s_delay_alu instid0(VALU_DEP_1) | instskip(SKIP_1) | instid1(VALU_DEP_1)
	v_subrev_nc_u32_e32 v22, 28, v20
	v_sub_nc_u32_e32 v20, 29, v20
	v_dual_cndmask_b32 v18, v21, v20, s3 :: v_dual_cndmask_b32 v20, 0, v22, s3
	s_delay_alu instid0(VALU_DEP_1) | instskip(NEXT) | instid1(VALU_DEP_2)
	v_lshl_add_u32 v18, v18, 23, 0x3c000000
	v_lshlrev_b64_e32 v[20:21], v20, v[0:1]
	v_lshlrev_b32_e32 v21, 24, v0
	s_delay_alu instid0(VALU_DEP_1) | instskip(NEXT) | instid1(VALU_DEP_3)
	v_and_b32_e32 v21, 0x80000000, v21
	v_lshlrev_b32_e32 v20, 20, v20
	s_delay_alu instid0(VALU_DEP_1) | instskip(NEXT) | instid1(VALU_DEP_1)
	v_and_b32_e32 v20, 0x700000, v20
	v_or3_b32 v80, v20, v21, v18
.LBB360_74:                             ;   in Loop: Header=BB360_10 Depth=1
	s_or_b32 exec_lo, exec_lo, s31
.LBB360_75:                             ;   in Loop: Header=BB360_10 Depth=1
	s_delay_alu instid0(SALU_CYCLE_1)
	s_or_b32 exec_lo, exec_lo, s30
.LBB360_76:                             ;   in Loop: Header=BB360_10 Depth=1
	s_delay_alu instid0(SALU_CYCLE_1) | instskip(SKIP_3) | instid1(VALU_DEP_2)
	s_or_b32 exec_lo, exec_lo, s29
	v_lshrrev_b16 v18, 8, v0
	v_dual_mov_b32 v82, 0 :: v_dual_mov_b32 v81, 0
	s_mov_b32 s29, exec_lo
	v_cmpx_ne_u16_e32 0, v18
	s_cbranch_execz .LBB360_84
; %bb.77:                               ;   in Loop: Header=BB360_10 Depth=1
	v_bfrev_b32_e32 v81, 1
	s_mov_b32 s30, exec_lo
	v_cmpx_ne_u16_e32 0x80, v18
	s_cbranch_execz .LBB360_83
; %bb.78:                               ;   in Loop: Header=BB360_10 Depth=1
	v_and_b32_e32 v18, 0xffff, v18
	v_mov_b32_e32 v81, 0x7f800001
	s_mov_b32 s31, exec_lo
	s_delay_alu instid0(VALU_DEP_2) | instskip(NEXT) | instid1(VALU_DEP_1)
	v_and_b32_e32 v21, 0x7f, v18
	v_cmpx_ne_u32_e32 0x7f, v21
	s_cbranch_execz .LBB360_82
; %bb.79:                               ;   in Loop: Header=BB360_10 Depth=1
	v_dual_lshrrev_b32 v20, 3, v21 :: v_dual_bitop2_b32 v18, 7, v18 bitop3:0x40
	s_mov_b32 s33, exec_lo
	v_cmpx_gt_u32_e32 8, v21
; %bb.80:                               ;   in Loop: Header=BB360_10 Depth=1
	s_delay_alu instid0(VALU_DEP_2) | instskip(NEXT) | instid1(VALU_DEP_1)
	v_clz_i32_u32_e32 v20, v18
	v_min_u32_e32 v20, 32, v20
	s_delay_alu instid0(VALU_DEP_1) | instskip(NEXT) | instid1(VALU_DEP_1)
	v_subrev_nc_u32_e32 v21, 28, v20
	v_lshlrev_b64_e32 v[22:23], v21, v[18:19]
	s_delay_alu instid0(VALU_DEP_1)
	v_dual_sub_nc_u32 v20, 29, v20 :: v_dual_bitop2_b32 v18, 7, v22 bitop3:0x40
; %bb.81:                               ;   in Loop: Header=BB360_10 Depth=1
	s_or_b32 exec_lo, exec_lo, s33
	s_delay_alu instid0(VALU_DEP_1) | instskip(NEXT) | instid1(VALU_DEP_2)
	v_dual_lshlrev_b32 v21, 16, v0 :: v_dual_lshlrev_b32 v18, 20, v18
	v_lshl_add_u32 v20, v20, 23, 0x3c000000
	s_delay_alu instid0(VALU_DEP_2) | instskip(NEXT) | instid1(VALU_DEP_1)
	v_and_b32_e32 v21, 0x80000000, v21
	v_or3_b32 v81, v18, v21, v20
.LBB360_82:                             ;   in Loop: Header=BB360_10 Depth=1
	s_or_b32 exec_lo, exec_lo, s31
.LBB360_83:                             ;   in Loop: Header=BB360_10 Depth=1
	s_delay_alu instid0(SALU_CYCLE_1)
	s_or_b32 exec_lo, exec_lo, s30
.LBB360_84:                             ;   in Loop: Header=BB360_10 Depth=1
	s_delay_alu instid0(SALU_CYCLE_1) | instskip(SKIP_2) | instid1(VALU_DEP_1)
	s_or_b32 exec_lo, exec_lo, s29
	v_lshrrev_b32_e32 v20, 16, v0
	s_mov_b32 s29, exec_lo
	v_and_b32_e32 v18, 0xff, v20
	s_delay_alu instid0(VALU_DEP_1)
	v_cmpx_ne_u16_e32 0, v18
	s_cbranch_execz .LBB360_92
; %bb.85:                               ;   in Loop: Header=BB360_10 Depth=1
	v_bfrev_b32_e32 v82, 1
	s_mov_b32 s30, exec_lo
	v_cmpx_ne_u16_e32 0x80, v18
	s_cbranch_execz .LBB360_91
; %bb.86:                               ;   in Loop: Header=BB360_10 Depth=1
	v_bfe_u32 v22, v0, 16, 7
	v_mov_b32_e32 v82, 0x7f800001
	s_mov_b32 s31, exec_lo
	s_delay_alu instid0(VALU_DEP_2)
	v_cmpx_ne_u32_e32 0x7f, v22
	s_cbranch_execz .LBB360_90
; %bb.87:                               ;   in Loop: Header=BB360_10 Depth=1
	v_dual_lshrrev_b32 v21, 3, v22 :: v_dual_bitop2_b32 v18, 7, v20 bitop3:0x40
	s_mov_b32 s33, exec_lo
	v_cmpx_gt_u32_e32 8, v22
; %bb.88:                               ;   in Loop: Header=BB360_10 Depth=1
	s_delay_alu instid0(VALU_DEP_2) | instskip(NEXT) | instid1(VALU_DEP_1)
	v_clz_i32_u32_e32 v21, v18
	v_min_u32_e32 v21, 32, v21
	s_delay_alu instid0(VALU_DEP_1) | instskip(NEXT) | instid1(VALU_DEP_1)
	v_subrev_nc_u32_e32 v22, 28, v21
	v_lshlrev_b64_e32 v[22:23], v22, v[18:19]
	s_delay_alu instid0(VALU_DEP_1)
	v_dual_sub_nc_u32 v21, 29, v21 :: v_dual_bitop2_b32 v18, 7, v22 bitop3:0x40
; %bb.89:                               ;   in Loop: Header=BB360_10 Depth=1
	s_or_b32 exec_lo, exec_lo, s33
	s_delay_alu instid0(VALU_DEP_1) | instskip(NEXT) | instid1(VALU_DEP_2)
	v_dual_lshlrev_b32 v20, 24, v20 :: v_dual_lshlrev_b32 v18, 20, v18
	v_lshl_add_u32 v21, v21, 23, 0x3c000000
	s_delay_alu instid0(VALU_DEP_2) | instskip(NEXT) | instid1(VALU_DEP_1)
	v_and_b32_e32 v20, 0x80000000, v20
	v_or3_b32 v82, v18, v20, v21
.LBB360_90:                             ;   in Loop: Header=BB360_10 Depth=1
	s_or_b32 exec_lo, exec_lo, s31
.LBB360_91:                             ;   in Loop: Header=BB360_10 Depth=1
	s_delay_alu instid0(SALU_CYCLE_1)
	s_or_b32 exec_lo, exec_lo, s30
.LBB360_92:                             ;   in Loop: Header=BB360_10 Depth=1
	s_delay_alu instid0(SALU_CYCLE_1)
	s_or_b32 exec_lo, exec_lo, s29
	v_dual_mov_b32 v86, 0 :: v_dual_mov_b32 v83, 0
	s_mov_b32 s29, exec_lo
	v_cmpx_lt_u32_e32 0xffffff, v0
	s_cbranch_execz .LBB360_100
; %bb.93:                               ;   in Loop: Header=BB360_10 Depth=1
	v_lshrrev_b32_e32 v20, 24, v0
	v_bfrev_b32_e32 v83, 1
	s_mov_b32 s30, exec_lo
	s_delay_alu instid0(VALU_DEP_2)
	v_cmpx_ne_u32_e32 0x80, v20
	s_cbranch_execz .LBB360_99
; %bb.94:                               ;   in Loop: Header=BB360_10 Depth=1
	v_bfe_u32 v22, v0, 24, 7
	v_mov_b32_e32 v83, 0x7f800001
	s_mov_b32 s31, exec_lo
	s_delay_alu instid0(VALU_DEP_2)
	v_cmpx_ne_u32_e32 0x7f, v22
	s_cbranch_execz .LBB360_98
; %bb.95:                               ;   in Loop: Header=BB360_10 Depth=1
	v_dual_lshrrev_b32 v21, 3, v22 :: v_dual_bitop2_b32 v18, 7, v20 bitop3:0x40
	s_mov_b32 s33, exec_lo
	v_cmpx_gt_u32_e32 8, v22
; %bb.96:                               ;   in Loop: Header=BB360_10 Depth=1
	s_delay_alu instid0(VALU_DEP_2) | instskip(NEXT) | instid1(VALU_DEP_1)
	v_clz_i32_u32_e32 v21, v18
	v_min_u32_e32 v21, 32, v21
	s_delay_alu instid0(VALU_DEP_1) | instskip(NEXT) | instid1(VALU_DEP_1)
	v_subrev_nc_u32_e32 v22, 28, v21
	v_lshlrev_b64_e32 v[22:23], v22, v[18:19]
	s_delay_alu instid0(VALU_DEP_1)
	v_dual_sub_nc_u32 v21, 29, v21 :: v_dual_bitop2_b32 v18, 7, v22 bitop3:0x40
; %bb.97:                               ;   in Loop: Header=BB360_10 Depth=1
	s_or_b32 exec_lo, exec_lo, s33
	s_delay_alu instid0(VALU_DEP_1) | instskip(NEXT) | instid1(VALU_DEP_2)
	v_dual_lshlrev_b32 v20, 24, v20 :: v_dual_lshlrev_b32 v18, 20, v18
	v_lshl_add_u32 v21, v21, 23, 0x3c000000
	s_delay_alu instid0(VALU_DEP_2) | instskip(NEXT) | instid1(VALU_DEP_1)
	v_and_b32_e32 v20, 0x80000000, v20
	v_or3_b32 v83, v18, v20, v21
.LBB360_98:                             ;   in Loop: Header=BB360_10 Depth=1
	s_or_b32 exec_lo, exec_lo, s31
.LBB360_99:                             ;   in Loop: Header=BB360_10 Depth=1
	s_delay_alu instid0(SALU_CYCLE_1)
	s_or_b32 exec_lo, exec_lo, s30
.LBB360_100:                            ;   in Loop: Header=BB360_10 Depth=1
	s_delay_alu instid0(SALU_CYCLE_1) | instskip(SKIP_3) | instid1(VALU_DEP_2)
	s_or_b32 exec_lo, exec_lo, s29
	v_and_b32_e32 v20, 0xff, v1
	v_mov_b32_e32 v18, v1
	s_mov_b32 s29, exec_lo
	v_cmpx_ne_u16_e32 0, v20
	s_cbranch_execz .LBB360_106
; %bb.101:                              ;   in Loop: Header=BB360_10 Depth=1
	v_bfrev_b32_e32 v86, 1
	s_mov_b32 s30, exec_lo
	v_cmpx_ne_u16_e32 0x80, v20
	s_cbranch_execz .LBB360_105
; %bb.102:                              ;   in Loop: Header=BB360_10 Depth=1
	v_and_b32_e32 v20, 0x7f, v1
	v_mov_b32_e32 v86, 0x7f800001
	s_mov_b32 s31, exec_lo
	s_delay_alu instid0(VALU_DEP_2)
	v_cmpx_ne_u32_e32 0x7f, v20
	s_cbranch_execz .LBB360_104
; %bb.103:                              ;   in Loop: Header=BB360_10 Depth=1
	v_dual_lshrrev_b32 v22, 3, v20 :: v_dual_bitop2_b32 v21, 7, v1 bitop3:0x40
	v_cmp_gt_u32_e64 s3, 8, v20
	s_delay_alu instid0(VALU_DEP_2) | instskip(NEXT) | instid1(VALU_DEP_1)
	v_clz_i32_u32_e32 v21, v21
	v_min_u32_e32 v21, 32, v21
	s_delay_alu instid0(VALU_DEP_1) | instskip(NEXT) | instid1(VALU_DEP_1)
	v_subrev_nc_u32_e32 v23, 28, v21
	v_dual_sub_nc_u32 v21, 29, v21 :: v_dual_cndmask_b32 v20, 0, v23, s3
	s_delay_alu instid0(VALU_DEP_1) | instskip(NEXT) | instid1(VALU_DEP_2)
	v_cndmask_b32_e64 v22, v22, v21, s3
	v_lshlrev_b64_e32 v[20:21], v20, v[18:19]
	v_lshlrev_b32_e32 v21, 24, v18
	s_delay_alu instid0(VALU_DEP_3) | instskip(NEXT) | instid1(VALU_DEP_2)
	v_lshl_add_u32 v22, v22, 23, 0x3c000000
	v_and_b32_e32 v21, 0x80000000, v21
	s_delay_alu instid0(VALU_DEP_4) | instskip(NEXT) | instid1(VALU_DEP_1)
	v_lshlrev_b32_e32 v20, 20, v20
	v_and_b32_e32 v20, 0x700000, v20
	s_delay_alu instid0(VALU_DEP_1)
	v_or3_b32 v86, v20, v21, v22
.LBB360_104:                            ;   in Loop: Header=BB360_10 Depth=1
	s_or_b32 exec_lo, exec_lo, s31
.LBB360_105:                            ;   in Loop: Header=BB360_10 Depth=1
	s_delay_alu instid0(SALU_CYCLE_1)
	s_or_b32 exec_lo, exec_lo, s30
.LBB360_106:                            ;   in Loop: Header=BB360_10 Depth=1
	s_delay_alu instid0(SALU_CYCLE_1) | instskip(SKIP_3) | instid1(VALU_DEP_2)
	s_or_b32 exec_lo, exec_lo, s29
	v_lshrrev_b16 v20, 8, v18
	v_dual_mov_b32 v88, 0 :: v_dual_mov_b32 v87, 0
	s_mov_b32 s29, exec_lo
	v_cmpx_ne_u16_e32 0, v20
	s_cbranch_execz .LBB360_114
; %bb.107:                              ;   in Loop: Header=BB360_10 Depth=1
	v_bfrev_b32_e32 v87, 1
	s_mov_b32 s30, exec_lo
	v_cmpx_ne_u16_e32 0x80, v20
	s_cbranch_execz .LBB360_113
; %bb.108:                              ;   in Loop: Header=BB360_10 Depth=1
	v_and_b32_e32 v20, 0xffff, v20
	v_mov_b32_e32 v87, 0x7f800001
	s_mov_b32 s31, exec_lo
	s_delay_alu instid0(VALU_DEP_2) | instskip(NEXT) | instid1(VALU_DEP_1)
	v_and_b32_e32 v23, 0x7f, v20
	v_cmpx_ne_u32_e32 0x7f, v23
	s_cbranch_execz .LBB360_112
; %bb.109:                              ;   in Loop: Header=BB360_10 Depth=1
	v_dual_mov_b32 v21, v19 :: v_dual_bitop2_b32 v20, 7, v20 bitop3:0x40
	v_lshrrev_b32_e32 v22, 3, v23
	s_mov_b32 s33, exec_lo
	v_cmpx_gt_u32_e32 8, v23
; %bb.110:                              ;   in Loop: Header=BB360_10 Depth=1
	s_delay_alu instid0(VALU_DEP_3) | instskip(NEXT) | instid1(VALU_DEP_1)
	v_clz_i32_u32_e32 v22, v20
	v_min_u32_e32 v22, 32, v22
	s_delay_alu instid0(VALU_DEP_1) | instskip(NEXT) | instid1(VALU_DEP_1)
	v_subrev_nc_u32_e32 v23, 28, v22
	v_lshlrev_b64_e32 v[20:21], v23, v[20:21]
	s_delay_alu instid0(VALU_DEP_1)
	v_dual_sub_nc_u32 v22, 29, v22 :: v_dual_bitop2_b32 v20, 7, v20 bitop3:0x40
; %bb.111:                              ;   in Loop: Header=BB360_10 Depth=1
	s_or_b32 exec_lo, exec_lo, s33
	s_delay_alu instid0(VALU_DEP_1) | instskip(NEXT) | instid1(VALU_DEP_2)
	v_dual_lshlrev_b32 v18, 16, v18 :: v_dual_lshlrev_b32 v20, 20, v20
	v_lshl_add_u32 v21, v22, 23, 0x3c000000
	s_delay_alu instid0(VALU_DEP_2) | instskip(NEXT) | instid1(VALU_DEP_1)
	v_and_b32_e32 v18, 0x80000000, v18
	v_or3_b32 v87, v20, v18, v21
.LBB360_112:                            ;   in Loop: Header=BB360_10 Depth=1
	s_or_b32 exec_lo, exec_lo, s31
.LBB360_113:                            ;   in Loop: Header=BB360_10 Depth=1
	s_delay_alu instid0(SALU_CYCLE_1)
	s_or_b32 exec_lo, exec_lo, s30
.LBB360_114:                            ;   in Loop: Header=BB360_10 Depth=1
	s_delay_alu instid0(SALU_CYCLE_1) | instskip(SKIP_2) | instid1(VALU_DEP_1)
	s_or_b32 exec_lo, exec_lo, s29
	v_lshrrev_b32_e32 v20, 16, v1
	s_mov_b32 s29, exec_lo
	v_and_b32_e32 v18, 0xff, v20
	s_delay_alu instid0(VALU_DEP_1)
	v_cmpx_ne_u16_e32 0, v18
	s_cbranch_execz .LBB360_122
; %bb.115:                              ;   in Loop: Header=BB360_10 Depth=1
	v_bfrev_b32_e32 v88, 1
	s_mov_b32 s30, exec_lo
	v_cmpx_ne_u16_e32 0x80, v18
	s_cbranch_execz .LBB360_121
; %bb.116:                              ;   in Loop: Header=BB360_10 Depth=1
	v_bfe_u32 v22, v1, 16, 7
	v_mov_b32_e32 v88, 0x7f800001
	s_mov_b32 s31, exec_lo
	s_delay_alu instid0(VALU_DEP_2)
	v_cmpx_ne_u32_e32 0x7f, v22
	s_cbranch_execz .LBB360_120
; %bb.117:                              ;   in Loop: Header=BB360_10 Depth=1
	v_dual_lshrrev_b32 v21, 3, v22 :: v_dual_bitop2_b32 v18, 7, v20 bitop3:0x40
	s_mov_b32 s33, exec_lo
	v_cmpx_gt_u32_e32 8, v22
; %bb.118:                              ;   in Loop: Header=BB360_10 Depth=1
	s_delay_alu instid0(VALU_DEP_2) | instskip(NEXT) | instid1(VALU_DEP_1)
	v_clz_i32_u32_e32 v21, v18
	v_min_u32_e32 v21, 32, v21
	s_delay_alu instid0(VALU_DEP_1) | instskip(NEXT) | instid1(VALU_DEP_1)
	v_subrev_nc_u32_e32 v22, 28, v21
	v_lshlrev_b64_e32 v[22:23], v22, v[18:19]
	s_delay_alu instid0(VALU_DEP_1)
	v_dual_sub_nc_u32 v21, 29, v21 :: v_dual_bitop2_b32 v18, 7, v22 bitop3:0x40
; %bb.119:                              ;   in Loop: Header=BB360_10 Depth=1
	s_or_b32 exec_lo, exec_lo, s33
	s_delay_alu instid0(VALU_DEP_1) | instskip(NEXT) | instid1(VALU_DEP_2)
	v_dual_lshlrev_b32 v20, 24, v20 :: v_dual_lshlrev_b32 v18, 20, v18
	v_lshl_add_u32 v21, v21, 23, 0x3c000000
	s_delay_alu instid0(VALU_DEP_2) | instskip(NEXT) | instid1(VALU_DEP_1)
	v_and_b32_e32 v20, 0x80000000, v20
	v_or3_b32 v88, v18, v20, v21
.LBB360_120:                            ;   in Loop: Header=BB360_10 Depth=1
	s_or_b32 exec_lo, exec_lo, s31
.LBB360_121:                            ;   in Loop: Header=BB360_10 Depth=1
	s_delay_alu instid0(SALU_CYCLE_1)
	s_or_b32 exec_lo, exec_lo, s30
.LBB360_122:                            ;   in Loop: Header=BB360_10 Depth=1
	s_delay_alu instid0(SALU_CYCLE_1)
	s_or_b32 exec_lo, exec_lo, s29
	v_dual_mov_b32 v90, 0 :: v_dual_mov_b32 v89, 0
	s_mov_b32 s29, exec_lo
	v_cmpx_lt_u64_e64 s[20:21], v[0:1]
	s_cbranch_execz .LBB360_130
; %bb.123:                              ;   in Loop: Header=BB360_10 Depth=1
	v_lshrrev_b32_e32 v0, 24, v1
	v_bfrev_b32_e32 v89, 1
	s_mov_b32 s30, exec_lo
	s_delay_alu instid0(VALU_DEP_2)
	v_cmpx_ne_u32_e32 0x80, v0
	s_cbranch_execz .LBB360_129
; %bb.124:                              ;   in Loop: Header=BB360_10 Depth=1
	v_bfe_u32 v20, v1, 24, 7
	v_mov_b32_e32 v89, 0x7f800001
	s_mov_b32 s31, exec_lo
	s_delay_alu instid0(VALU_DEP_2)
	v_cmpx_ne_u32_e32 0x7f, v20
	s_cbranch_execz .LBB360_128
; %bb.125:                              ;   in Loop: Header=BB360_10 Depth=1
	v_and_b32_e32 v18, 7, v0
	v_lshrrev_b32_e32 v1, 3, v20
	s_mov_b32 s33, exec_lo
	v_cmpx_gt_u32_e32 8, v20
; %bb.126:                              ;   in Loop: Header=BB360_10 Depth=1
	s_delay_alu instid0(VALU_DEP_3) | instskip(NEXT) | instid1(VALU_DEP_1)
	v_clz_i32_u32_e32 v1, v18
	v_min_u32_e32 v1, 32, v1
	s_delay_alu instid0(VALU_DEP_1) | instskip(NEXT) | instid1(VALU_DEP_1)
	v_subrev_nc_u32_e32 v20, 28, v1
	v_lshlrev_b64_e32 v[20:21], v20, v[18:19]
	s_delay_alu instid0(VALU_DEP_1)
	v_dual_sub_nc_u32 v1, 29, v1 :: v_dual_bitop2_b32 v18, 7, v20 bitop3:0x40
; %bb.127:                              ;   in Loop: Header=BB360_10 Depth=1
	s_or_b32 exec_lo, exec_lo, s33
	s_delay_alu instid0(VALU_DEP_1) | instskip(NEXT) | instid1(VALU_DEP_2)
	v_dual_lshlrev_b32 v0, 24, v0 :: v_dual_lshlrev_b32 v18, 20, v18
	v_lshl_add_u32 v1, v1, 23, 0x3c000000
	s_delay_alu instid0(VALU_DEP_2) | instskip(NEXT) | instid1(VALU_DEP_1)
	v_and_b32_e32 v0, 0x80000000, v0
	v_or3_b32 v89, v18, v0, v1
.LBB360_128:                            ;   in Loop: Header=BB360_10 Depth=1
	s_or_b32 exec_lo, exec_lo, s31
.LBB360_129:                            ;   in Loop: Header=BB360_10 Depth=1
	s_delay_alu instid0(SALU_CYCLE_1)
	s_or_b32 exec_lo, exec_lo, s30
.LBB360_130:                            ;   in Loop: Header=BB360_10 Depth=1
	s_delay_alu instid0(SALU_CYCLE_1)
	s_or_b32 exec_lo, exec_lo, s29
	global_load_b64 v[0:1], v[84:85], off offset:512
	s_mov_b32 s29, exec_lo
	s_wait_loadcnt 0x0
	v_and_b32_e32 v18, 0xff, v0
	s_wait_xcnt 0x0
	s_delay_alu instid0(VALU_DEP_1)
	v_cmpx_ne_u16_e32 0, v18
	s_cbranch_execz .LBB360_136
; %bb.131:                              ;   in Loop: Header=BB360_10 Depth=1
	v_bfrev_b32_e32 v90, 1
	s_mov_b32 s30, exec_lo
	v_cmpx_ne_u16_e32 0x80, v18
	s_cbranch_execz .LBB360_135
; %bb.132:                              ;   in Loop: Header=BB360_10 Depth=1
	v_and_b32_e32 v18, 0x7f, v0
	v_mov_b32_e32 v90, 0x7f800001
	s_mov_b32 s31, exec_lo
	s_delay_alu instid0(VALU_DEP_2)
	v_cmpx_ne_u32_e32 0x7f, v18
	s_cbranch_execz .LBB360_134
; %bb.133:                              ;   in Loop: Header=BB360_10 Depth=1
	v_dual_lshrrev_b32 v21, 3, v18 :: v_dual_bitop2_b32 v20, 7, v0 bitop3:0x40
	v_cmp_gt_u32_e64 s3, 8, v18
	s_delay_alu instid0(VALU_DEP_2) | instskip(NEXT) | instid1(VALU_DEP_1)
	v_clz_i32_u32_e32 v20, v20
	v_min_u32_e32 v20, 32, v20
	s_delay_alu instid0(VALU_DEP_1) | instskip(SKIP_1) | instid1(VALU_DEP_1)
	v_subrev_nc_u32_e32 v22, 28, v20
	v_sub_nc_u32_e32 v20, 29, v20
	v_dual_cndmask_b32 v18, v21, v20, s3 :: v_dual_cndmask_b32 v20, 0, v22, s3
	s_delay_alu instid0(VALU_DEP_1) | instskip(NEXT) | instid1(VALU_DEP_2)
	v_lshl_add_u32 v18, v18, 23, 0x3c000000
	v_lshlrev_b64_e32 v[20:21], v20, v[0:1]
	v_lshlrev_b32_e32 v21, 24, v0
	s_delay_alu instid0(VALU_DEP_1) | instskip(NEXT) | instid1(VALU_DEP_3)
	v_and_b32_e32 v21, 0x80000000, v21
	v_lshlrev_b32_e32 v20, 20, v20
	s_delay_alu instid0(VALU_DEP_1) | instskip(NEXT) | instid1(VALU_DEP_1)
	v_and_b32_e32 v20, 0x700000, v20
	v_or3_b32 v90, v20, v21, v18
.LBB360_134:                            ;   in Loop: Header=BB360_10 Depth=1
	s_or_b32 exec_lo, exec_lo, s31
.LBB360_135:                            ;   in Loop: Header=BB360_10 Depth=1
	s_delay_alu instid0(SALU_CYCLE_1)
	s_or_b32 exec_lo, exec_lo, s30
.LBB360_136:                            ;   in Loop: Header=BB360_10 Depth=1
	s_delay_alu instid0(SALU_CYCLE_1) | instskip(SKIP_3) | instid1(VALU_DEP_2)
	s_or_b32 exec_lo, exec_lo, s29
	v_lshrrev_b16 v18, 8, v0
	v_dual_mov_b32 v92, 0 :: v_dual_mov_b32 v91, 0
	s_mov_b32 s29, exec_lo
	v_cmpx_ne_u16_e32 0, v18
	s_cbranch_execz .LBB360_144
; %bb.137:                              ;   in Loop: Header=BB360_10 Depth=1
	v_bfrev_b32_e32 v91, 1
	s_mov_b32 s30, exec_lo
	v_cmpx_ne_u16_e32 0x80, v18
	s_cbranch_execz .LBB360_143
; %bb.138:                              ;   in Loop: Header=BB360_10 Depth=1
	v_and_b32_e32 v18, 0xffff, v18
	v_mov_b32_e32 v91, 0x7f800001
	s_mov_b32 s31, exec_lo
	s_delay_alu instid0(VALU_DEP_2) | instskip(NEXT) | instid1(VALU_DEP_1)
	v_and_b32_e32 v21, 0x7f, v18
	v_cmpx_ne_u32_e32 0x7f, v21
	s_cbranch_execz .LBB360_142
; %bb.139:                              ;   in Loop: Header=BB360_10 Depth=1
	v_dual_lshrrev_b32 v20, 3, v21 :: v_dual_bitop2_b32 v18, 7, v18 bitop3:0x40
	s_mov_b32 s33, exec_lo
	v_cmpx_gt_u32_e32 8, v21
; %bb.140:                              ;   in Loop: Header=BB360_10 Depth=1
	s_delay_alu instid0(VALU_DEP_2) | instskip(NEXT) | instid1(VALU_DEP_1)
	v_clz_i32_u32_e32 v20, v18
	v_min_u32_e32 v20, 32, v20
	s_delay_alu instid0(VALU_DEP_1) | instskip(NEXT) | instid1(VALU_DEP_1)
	v_subrev_nc_u32_e32 v21, 28, v20
	v_lshlrev_b64_e32 v[22:23], v21, v[18:19]
	s_delay_alu instid0(VALU_DEP_1)
	v_dual_sub_nc_u32 v20, 29, v20 :: v_dual_bitop2_b32 v18, 7, v22 bitop3:0x40
; %bb.141:                              ;   in Loop: Header=BB360_10 Depth=1
	s_or_b32 exec_lo, exec_lo, s33
	s_delay_alu instid0(VALU_DEP_1) | instskip(NEXT) | instid1(VALU_DEP_2)
	v_dual_lshlrev_b32 v21, 16, v0 :: v_dual_lshlrev_b32 v18, 20, v18
	v_lshl_add_u32 v20, v20, 23, 0x3c000000
	s_delay_alu instid0(VALU_DEP_2) | instskip(NEXT) | instid1(VALU_DEP_1)
	v_and_b32_e32 v21, 0x80000000, v21
	v_or3_b32 v91, v18, v21, v20
.LBB360_142:                            ;   in Loop: Header=BB360_10 Depth=1
	s_or_b32 exec_lo, exec_lo, s31
.LBB360_143:                            ;   in Loop: Header=BB360_10 Depth=1
	s_delay_alu instid0(SALU_CYCLE_1)
	s_or_b32 exec_lo, exec_lo, s30
.LBB360_144:                            ;   in Loop: Header=BB360_10 Depth=1
	s_delay_alu instid0(SALU_CYCLE_1) | instskip(SKIP_2) | instid1(VALU_DEP_1)
	s_or_b32 exec_lo, exec_lo, s29
	v_lshrrev_b32_e32 v20, 16, v0
	s_mov_b32 s29, exec_lo
	v_and_b32_e32 v18, 0xff, v20
	s_delay_alu instid0(VALU_DEP_1)
	v_cmpx_ne_u16_e32 0, v18
	s_cbranch_execz .LBB360_152
; %bb.145:                              ;   in Loop: Header=BB360_10 Depth=1
	v_bfrev_b32_e32 v92, 1
	s_mov_b32 s30, exec_lo
	v_cmpx_ne_u16_e32 0x80, v18
	s_cbranch_execz .LBB360_151
; %bb.146:                              ;   in Loop: Header=BB360_10 Depth=1
	v_bfe_u32 v22, v0, 16, 7
	v_mov_b32_e32 v92, 0x7f800001
	s_mov_b32 s31, exec_lo
	s_delay_alu instid0(VALU_DEP_2)
	v_cmpx_ne_u32_e32 0x7f, v22
	s_cbranch_execz .LBB360_150
; %bb.147:                              ;   in Loop: Header=BB360_10 Depth=1
	v_dual_lshrrev_b32 v21, 3, v22 :: v_dual_bitop2_b32 v18, 7, v20 bitop3:0x40
	s_mov_b32 s33, exec_lo
	v_cmpx_gt_u32_e32 8, v22
; %bb.148:                              ;   in Loop: Header=BB360_10 Depth=1
	s_delay_alu instid0(VALU_DEP_2) | instskip(NEXT) | instid1(VALU_DEP_1)
	v_clz_i32_u32_e32 v21, v18
	v_min_u32_e32 v21, 32, v21
	s_delay_alu instid0(VALU_DEP_1) | instskip(NEXT) | instid1(VALU_DEP_1)
	v_subrev_nc_u32_e32 v22, 28, v21
	v_lshlrev_b64_e32 v[22:23], v22, v[18:19]
	s_delay_alu instid0(VALU_DEP_1)
	v_dual_sub_nc_u32 v21, 29, v21 :: v_dual_bitop2_b32 v18, 7, v22 bitop3:0x40
; %bb.149:                              ;   in Loop: Header=BB360_10 Depth=1
	s_or_b32 exec_lo, exec_lo, s33
	s_delay_alu instid0(VALU_DEP_1) | instskip(NEXT) | instid1(VALU_DEP_2)
	v_dual_lshlrev_b32 v20, 24, v20 :: v_dual_lshlrev_b32 v18, 20, v18
	v_lshl_add_u32 v21, v21, 23, 0x3c000000
	s_delay_alu instid0(VALU_DEP_2) | instskip(NEXT) | instid1(VALU_DEP_1)
	v_and_b32_e32 v20, 0x80000000, v20
	v_or3_b32 v92, v18, v20, v21
.LBB360_150:                            ;   in Loop: Header=BB360_10 Depth=1
	s_or_b32 exec_lo, exec_lo, s31
.LBB360_151:                            ;   in Loop: Header=BB360_10 Depth=1
	s_delay_alu instid0(SALU_CYCLE_1)
	s_or_b32 exec_lo, exec_lo, s30
.LBB360_152:                            ;   in Loop: Header=BB360_10 Depth=1
	s_delay_alu instid0(SALU_CYCLE_1)
	s_or_b32 exec_lo, exec_lo, s29
	v_dual_mov_b32 v94, 0 :: v_dual_mov_b32 v93, 0
	s_mov_b32 s29, exec_lo
	v_cmpx_lt_u32_e32 0xffffff, v0
	s_cbranch_execz .LBB360_160
; %bb.153:                              ;   in Loop: Header=BB360_10 Depth=1
	v_lshrrev_b32_e32 v20, 24, v0
	v_bfrev_b32_e32 v93, 1
	s_mov_b32 s30, exec_lo
	s_delay_alu instid0(VALU_DEP_2)
	v_cmpx_ne_u32_e32 0x80, v20
	s_cbranch_execz .LBB360_159
; %bb.154:                              ;   in Loop: Header=BB360_10 Depth=1
	v_bfe_u32 v22, v0, 24, 7
	v_mov_b32_e32 v93, 0x7f800001
	s_mov_b32 s31, exec_lo
	s_delay_alu instid0(VALU_DEP_2)
	v_cmpx_ne_u32_e32 0x7f, v22
	s_cbranch_execz .LBB360_158
; %bb.155:                              ;   in Loop: Header=BB360_10 Depth=1
	v_dual_lshrrev_b32 v21, 3, v22 :: v_dual_bitop2_b32 v18, 7, v20 bitop3:0x40
	s_mov_b32 s33, exec_lo
	v_cmpx_gt_u32_e32 8, v22
; %bb.156:                              ;   in Loop: Header=BB360_10 Depth=1
	s_delay_alu instid0(VALU_DEP_2) | instskip(NEXT) | instid1(VALU_DEP_1)
	v_clz_i32_u32_e32 v21, v18
	v_min_u32_e32 v21, 32, v21
	s_delay_alu instid0(VALU_DEP_1) | instskip(NEXT) | instid1(VALU_DEP_1)
	v_subrev_nc_u32_e32 v22, 28, v21
	v_lshlrev_b64_e32 v[22:23], v22, v[18:19]
	s_delay_alu instid0(VALU_DEP_1)
	v_dual_sub_nc_u32 v21, 29, v21 :: v_dual_bitop2_b32 v18, 7, v22 bitop3:0x40
; %bb.157:                              ;   in Loop: Header=BB360_10 Depth=1
	s_or_b32 exec_lo, exec_lo, s33
	s_delay_alu instid0(VALU_DEP_1) | instskip(NEXT) | instid1(VALU_DEP_2)
	v_dual_lshlrev_b32 v20, 24, v20 :: v_dual_lshlrev_b32 v18, 20, v18
	v_lshl_add_u32 v21, v21, 23, 0x3c000000
	s_delay_alu instid0(VALU_DEP_2) | instskip(NEXT) | instid1(VALU_DEP_1)
	v_and_b32_e32 v20, 0x80000000, v20
	v_or3_b32 v93, v18, v20, v21
.LBB360_158:                            ;   in Loop: Header=BB360_10 Depth=1
	s_or_b32 exec_lo, exec_lo, s31
.LBB360_159:                            ;   in Loop: Header=BB360_10 Depth=1
	s_delay_alu instid0(SALU_CYCLE_1)
	s_or_b32 exec_lo, exec_lo, s30
.LBB360_160:                            ;   in Loop: Header=BB360_10 Depth=1
	s_delay_alu instid0(SALU_CYCLE_1) | instskip(SKIP_3) | instid1(VALU_DEP_2)
	s_or_b32 exec_lo, exec_lo, s29
	v_and_b32_e32 v20, 0xff, v1
	v_mov_b32_e32 v18, v1
	s_mov_b32 s29, exec_lo
	v_cmpx_ne_u16_e32 0, v20
	s_cbranch_execz .LBB360_166
; %bb.161:                              ;   in Loop: Header=BB360_10 Depth=1
	v_bfrev_b32_e32 v94, 1
	s_mov_b32 s30, exec_lo
	v_cmpx_ne_u16_e32 0x80, v20
	s_cbranch_execz .LBB360_165
; %bb.162:                              ;   in Loop: Header=BB360_10 Depth=1
	v_and_b32_e32 v20, 0x7f, v1
	v_mov_b32_e32 v94, 0x7f800001
	s_mov_b32 s31, exec_lo
	s_delay_alu instid0(VALU_DEP_2)
	v_cmpx_ne_u32_e32 0x7f, v20
	s_cbranch_execz .LBB360_164
; %bb.163:                              ;   in Loop: Header=BB360_10 Depth=1
	v_dual_lshrrev_b32 v22, 3, v20 :: v_dual_bitop2_b32 v21, 7, v1 bitop3:0x40
	v_cmp_gt_u32_e64 s3, 8, v20
	s_delay_alu instid0(VALU_DEP_2) | instskip(NEXT) | instid1(VALU_DEP_1)
	v_clz_i32_u32_e32 v21, v21
	v_min_u32_e32 v21, 32, v21
	s_delay_alu instid0(VALU_DEP_1) | instskip(NEXT) | instid1(VALU_DEP_1)
	v_subrev_nc_u32_e32 v23, 28, v21
	v_dual_sub_nc_u32 v21, 29, v21 :: v_dual_cndmask_b32 v20, 0, v23, s3
	s_delay_alu instid0(VALU_DEP_1) | instskip(NEXT) | instid1(VALU_DEP_2)
	v_cndmask_b32_e64 v22, v22, v21, s3
	v_lshlrev_b64_e32 v[20:21], v20, v[18:19]
	v_lshlrev_b32_e32 v21, 24, v18
	s_delay_alu instid0(VALU_DEP_3) | instskip(NEXT) | instid1(VALU_DEP_2)
	v_lshl_add_u32 v22, v22, 23, 0x3c000000
	v_and_b32_e32 v21, 0x80000000, v21
	s_delay_alu instid0(VALU_DEP_4) | instskip(NEXT) | instid1(VALU_DEP_1)
	v_lshlrev_b32_e32 v20, 20, v20
	v_and_b32_e32 v20, 0x700000, v20
	s_delay_alu instid0(VALU_DEP_1)
	v_or3_b32 v94, v20, v21, v22
.LBB360_164:                            ;   in Loop: Header=BB360_10 Depth=1
	s_or_b32 exec_lo, exec_lo, s31
.LBB360_165:                            ;   in Loop: Header=BB360_10 Depth=1
	s_delay_alu instid0(SALU_CYCLE_1)
	s_or_b32 exec_lo, exec_lo, s30
.LBB360_166:                            ;   in Loop: Header=BB360_10 Depth=1
	s_delay_alu instid0(SALU_CYCLE_1) | instskip(SKIP_3) | instid1(VALU_DEP_2)
	s_or_b32 exec_lo, exec_lo, s29
	v_lshrrev_b16 v20, 8, v18
	v_dual_mov_b32 v96, 0 :: v_dual_mov_b32 v95, 0
	s_mov_b32 s29, exec_lo
	v_cmpx_ne_u16_e32 0, v20
	s_cbranch_execz .LBB360_174
; %bb.167:                              ;   in Loop: Header=BB360_10 Depth=1
	v_bfrev_b32_e32 v95, 1
	s_mov_b32 s30, exec_lo
	v_cmpx_ne_u16_e32 0x80, v20
	s_cbranch_execz .LBB360_173
; %bb.168:                              ;   in Loop: Header=BB360_10 Depth=1
	v_and_b32_e32 v20, 0xffff, v20
	v_mov_b32_e32 v95, 0x7f800001
	s_mov_b32 s31, exec_lo
	s_delay_alu instid0(VALU_DEP_2) | instskip(NEXT) | instid1(VALU_DEP_1)
	v_and_b32_e32 v23, 0x7f, v20
	v_cmpx_ne_u32_e32 0x7f, v23
	s_cbranch_execz .LBB360_172
; %bb.169:                              ;   in Loop: Header=BB360_10 Depth=1
	v_dual_mov_b32 v21, v19 :: v_dual_bitop2_b32 v20, 7, v20 bitop3:0x40
	v_lshrrev_b32_e32 v22, 3, v23
	s_mov_b32 s33, exec_lo
	v_cmpx_gt_u32_e32 8, v23
; %bb.170:                              ;   in Loop: Header=BB360_10 Depth=1
	s_delay_alu instid0(VALU_DEP_3) | instskip(NEXT) | instid1(VALU_DEP_1)
	v_clz_i32_u32_e32 v22, v20
	v_min_u32_e32 v22, 32, v22
	s_delay_alu instid0(VALU_DEP_1) | instskip(NEXT) | instid1(VALU_DEP_1)
	v_subrev_nc_u32_e32 v23, 28, v22
	v_lshlrev_b64_e32 v[20:21], v23, v[20:21]
	s_delay_alu instid0(VALU_DEP_1)
	v_dual_sub_nc_u32 v22, 29, v22 :: v_dual_bitop2_b32 v20, 7, v20 bitop3:0x40
; %bb.171:                              ;   in Loop: Header=BB360_10 Depth=1
	s_or_b32 exec_lo, exec_lo, s33
	s_delay_alu instid0(VALU_DEP_1) | instskip(NEXT) | instid1(VALU_DEP_2)
	v_dual_lshlrev_b32 v18, 16, v18 :: v_dual_lshlrev_b32 v20, 20, v20
	v_lshl_add_u32 v21, v22, 23, 0x3c000000
	s_delay_alu instid0(VALU_DEP_2) | instskip(NEXT) | instid1(VALU_DEP_1)
	v_and_b32_e32 v18, 0x80000000, v18
	v_or3_b32 v95, v20, v18, v21
.LBB360_172:                            ;   in Loop: Header=BB360_10 Depth=1
	s_or_b32 exec_lo, exec_lo, s31
.LBB360_173:                            ;   in Loop: Header=BB360_10 Depth=1
	s_delay_alu instid0(SALU_CYCLE_1)
	s_or_b32 exec_lo, exec_lo, s30
.LBB360_174:                            ;   in Loop: Header=BB360_10 Depth=1
	s_delay_alu instid0(SALU_CYCLE_1) | instskip(SKIP_2) | instid1(VALU_DEP_1)
	s_or_b32 exec_lo, exec_lo, s29
	v_lshrrev_b32_e32 v20, 16, v1
	s_mov_b32 s29, exec_lo
	v_and_b32_e32 v18, 0xff, v20
	s_delay_alu instid0(VALU_DEP_1)
	v_cmpx_ne_u16_e32 0, v18
	s_cbranch_execz .LBB360_182
; %bb.175:                              ;   in Loop: Header=BB360_10 Depth=1
	v_bfrev_b32_e32 v96, 1
	s_mov_b32 s30, exec_lo
	v_cmpx_ne_u16_e32 0x80, v18
	s_cbranch_execz .LBB360_181
; %bb.176:                              ;   in Loop: Header=BB360_10 Depth=1
	v_bfe_u32 v22, v1, 16, 7
	v_mov_b32_e32 v96, 0x7f800001
	s_mov_b32 s31, exec_lo
	s_delay_alu instid0(VALU_DEP_2)
	v_cmpx_ne_u32_e32 0x7f, v22
	s_cbranch_execz .LBB360_180
; %bb.177:                              ;   in Loop: Header=BB360_10 Depth=1
	v_dual_lshrrev_b32 v21, 3, v22 :: v_dual_bitop2_b32 v18, 7, v20 bitop3:0x40
	s_mov_b32 s33, exec_lo
	v_cmpx_gt_u32_e32 8, v22
; %bb.178:                              ;   in Loop: Header=BB360_10 Depth=1
	s_delay_alu instid0(VALU_DEP_2) | instskip(NEXT) | instid1(VALU_DEP_1)
	v_clz_i32_u32_e32 v21, v18
	v_min_u32_e32 v21, 32, v21
	s_delay_alu instid0(VALU_DEP_1) | instskip(NEXT) | instid1(VALU_DEP_1)
	v_subrev_nc_u32_e32 v22, 28, v21
	v_lshlrev_b64_e32 v[22:23], v22, v[18:19]
	s_delay_alu instid0(VALU_DEP_1)
	v_dual_sub_nc_u32 v21, 29, v21 :: v_dual_bitop2_b32 v18, 7, v22 bitop3:0x40
; %bb.179:                              ;   in Loop: Header=BB360_10 Depth=1
	s_or_b32 exec_lo, exec_lo, s33
	s_delay_alu instid0(VALU_DEP_1) | instskip(NEXT) | instid1(VALU_DEP_2)
	v_dual_lshlrev_b32 v20, 24, v20 :: v_dual_lshlrev_b32 v18, 20, v18
	v_lshl_add_u32 v21, v21, 23, 0x3c000000
	s_delay_alu instid0(VALU_DEP_2) | instskip(NEXT) | instid1(VALU_DEP_1)
	v_and_b32_e32 v20, 0x80000000, v20
	v_or3_b32 v96, v18, v20, v21
.LBB360_180:                            ;   in Loop: Header=BB360_10 Depth=1
	s_or_b32 exec_lo, exec_lo, s31
.LBB360_181:                            ;   in Loop: Header=BB360_10 Depth=1
	s_delay_alu instid0(SALU_CYCLE_1)
	s_or_b32 exec_lo, exec_lo, s30
.LBB360_182:                            ;   in Loop: Header=BB360_10 Depth=1
	s_delay_alu instid0(SALU_CYCLE_1)
	s_or_b32 exec_lo, exec_lo, s29
	v_dual_mov_b32 v98, 0 :: v_dual_mov_b32 v97, 0
	s_mov_b32 s29, exec_lo
	v_cmpx_lt_u64_e64 s[20:21], v[0:1]
	s_cbranch_execz .LBB360_190
; %bb.183:                              ;   in Loop: Header=BB360_10 Depth=1
	v_lshrrev_b32_e32 v0, 24, v1
	v_bfrev_b32_e32 v97, 1
	s_mov_b32 s30, exec_lo
	s_delay_alu instid0(VALU_DEP_2)
	v_cmpx_ne_u32_e32 0x80, v0
	s_cbranch_execz .LBB360_189
; %bb.184:                              ;   in Loop: Header=BB360_10 Depth=1
	v_bfe_u32 v20, v1, 24, 7
	v_mov_b32_e32 v97, 0x7f800001
	s_mov_b32 s31, exec_lo
	s_delay_alu instid0(VALU_DEP_2)
	v_cmpx_ne_u32_e32 0x7f, v20
	s_cbranch_execz .LBB360_188
; %bb.185:                              ;   in Loop: Header=BB360_10 Depth=1
	v_and_b32_e32 v18, 7, v0
	v_lshrrev_b32_e32 v1, 3, v20
	s_mov_b32 s33, exec_lo
	v_cmpx_gt_u32_e32 8, v20
; %bb.186:                              ;   in Loop: Header=BB360_10 Depth=1
	s_delay_alu instid0(VALU_DEP_3) | instskip(NEXT) | instid1(VALU_DEP_1)
	v_clz_i32_u32_e32 v1, v18
	v_min_u32_e32 v1, 32, v1
	s_delay_alu instid0(VALU_DEP_1) | instskip(NEXT) | instid1(VALU_DEP_1)
	v_subrev_nc_u32_e32 v20, 28, v1
	v_lshlrev_b64_e32 v[20:21], v20, v[18:19]
	s_delay_alu instid0(VALU_DEP_1)
	v_dual_sub_nc_u32 v1, 29, v1 :: v_dual_bitop2_b32 v18, 7, v20 bitop3:0x40
; %bb.187:                              ;   in Loop: Header=BB360_10 Depth=1
	s_or_b32 exec_lo, exec_lo, s33
	s_delay_alu instid0(VALU_DEP_1) | instskip(NEXT) | instid1(VALU_DEP_2)
	v_dual_lshlrev_b32 v0, 24, v0 :: v_dual_lshlrev_b32 v18, 20, v18
	v_lshl_add_u32 v1, v1, 23, 0x3c000000
	s_delay_alu instid0(VALU_DEP_2) | instskip(NEXT) | instid1(VALU_DEP_1)
	v_and_b32_e32 v0, 0x80000000, v0
	v_or3_b32 v97, v18, v0, v1
.LBB360_188:                            ;   in Loop: Header=BB360_10 Depth=1
	s_or_b32 exec_lo, exec_lo, s31
.LBB360_189:                            ;   in Loop: Header=BB360_10 Depth=1
	s_delay_alu instid0(SALU_CYCLE_1)
	s_or_b32 exec_lo, exec_lo, s30
.LBB360_190:                            ;   in Loop: Header=BB360_10 Depth=1
	s_delay_alu instid0(SALU_CYCLE_1)
	s_or_b32 exec_lo, exec_lo, s29
	global_load_b64 v[0:1], v[84:85], off offset:520
	s_mov_b32 s29, exec_lo
	s_wait_loadcnt 0x0
	v_and_b32_e32 v18, 0xff, v0
	s_wait_xcnt 0x0
	s_delay_alu instid0(VALU_DEP_1)
	v_cmpx_ne_u16_e32 0, v18
	s_cbranch_execz .LBB360_196
; %bb.191:                              ;   in Loop: Header=BB360_10 Depth=1
	v_bfrev_b32_e32 v98, 1
	s_mov_b32 s30, exec_lo
	v_cmpx_ne_u16_e32 0x80, v18
	s_cbranch_execz .LBB360_195
; %bb.192:                              ;   in Loop: Header=BB360_10 Depth=1
	v_and_b32_e32 v18, 0x7f, v0
	v_mov_b32_e32 v98, 0x7f800001
	s_mov_b32 s31, exec_lo
	s_delay_alu instid0(VALU_DEP_2)
	v_cmpx_ne_u32_e32 0x7f, v18
	s_cbranch_execz .LBB360_194
; %bb.193:                              ;   in Loop: Header=BB360_10 Depth=1
	v_dual_lshrrev_b32 v21, 3, v18 :: v_dual_bitop2_b32 v20, 7, v0 bitop3:0x40
	v_cmp_gt_u32_e64 s3, 8, v18
	s_delay_alu instid0(VALU_DEP_2) | instskip(NEXT) | instid1(VALU_DEP_1)
	v_clz_i32_u32_e32 v20, v20
	v_min_u32_e32 v20, 32, v20
	s_delay_alu instid0(VALU_DEP_1) | instskip(SKIP_1) | instid1(VALU_DEP_1)
	v_subrev_nc_u32_e32 v22, 28, v20
	v_sub_nc_u32_e32 v20, 29, v20
	v_dual_cndmask_b32 v18, v21, v20, s3 :: v_dual_cndmask_b32 v20, 0, v22, s3
	s_delay_alu instid0(VALU_DEP_1) | instskip(NEXT) | instid1(VALU_DEP_2)
	v_lshl_add_u32 v18, v18, 23, 0x3c000000
	v_lshlrev_b64_e32 v[20:21], v20, v[0:1]
	v_lshlrev_b32_e32 v21, 24, v0
	s_delay_alu instid0(VALU_DEP_1) | instskip(NEXT) | instid1(VALU_DEP_3)
	v_and_b32_e32 v21, 0x80000000, v21
	v_lshlrev_b32_e32 v20, 20, v20
	s_delay_alu instid0(VALU_DEP_1) | instskip(NEXT) | instid1(VALU_DEP_1)
	v_and_b32_e32 v20, 0x700000, v20
	v_or3_b32 v98, v20, v21, v18
.LBB360_194:                            ;   in Loop: Header=BB360_10 Depth=1
	s_or_b32 exec_lo, exec_lo, s31
.LBB360_195:                            ;   in Loop: Header=BB360_10 Depth=1
	s_delay_alu instid0(SALU_CYCLE_1)
	s_or_b32 exec_lo, exec_lo, s30
.LBB360_196:                            ;   in Loop: Header=BB360_10 Depth=1
	s_delay_alu instid0(SALU_CYCLE_1) | instskip(SKIP_3) | instid1(VALU_DEP_2)
	s_or_b32 exec_lo, exec_lo, s29
	v_lshrrev_b16 v18, 8, v0
	v_dual_mov_b32 v100, 0 :: v_dual_mov_b32 v99, 0
	s_mov_b32 s29, exec_lo
	v_cmpx_ne_u16_e32 0, v18
	s_cbranch_execz .LBB360_204
; %bb.197:                              ;   in Loop: Header=BB360_10 Depth=1
	v_bfrev_b32_e32 v99, 1
	s_mov_b32 s30, exec_lo
	v_cmpx_ne_u16_e32 0x80, v18
	s_cbranch_execz .LBB360_203
; %bb.198:                              ;   in Loop: Header=BB360_10 Depth=1
	v_and_b32_e32 v18, 0xffff, v18
	v_mov_b32_e32 v99, 0x7f800001
	s_mov_b32 s31, exec_lo
	s_delay_alu instid0(VALU_DEP_2) | instskip(NEXT) | instid1(VALU_DEP_1)
	v_and_b32_e32 v21, 0x7f, v18
	v_cmpx_ne_u32_e32 0x7f, v21
	s_cbranch_execz .LBB360_202
; %bb.199:                              ;   in Loop: Header=BB360_10 Depth=1
	v_dual_lshrrev_b32 v20, 3, v21 :: v_dual_bitop2_b32 v18, 7, v18 bitop3:0x40
	s_mov_b32 s33, exec_lo
	v_cmpx_gt_u32_e32 8, v21
; %bb.200:                              ;   in Loop: Header=BB360_10 Depth=1
	s_delay_alu instid0(VALU_DEP_2) | instskip(NEXT) | instid1(VALU_DEP_1)
	v_clz_i32_u32_e32 v20, v18
	v_min_u32_e32 v20, 32, v20
	s_delay_alu instid0(VALU_DEP_1) | instskip(NEXT) | instid1(VALU_DEP_1)
	v_subrev_nc_u32_e32 v21, 28, v20
	v_lshlrev_b64_e32 v[22:23], v21, v[18:19]
	s_delay_alu instid0(VALU_DEP_1)
	v_dual_sub_nc_u32 v20, 29, v20 :: v_dual_bitop2_b32 v18, 7, v22 bitop3:0x40
; %bb.201:                              ;   in Loop: Header=BB360_10 Depth=1
	s_or_b32 exec_lo, exec_lo, s33
	s_delay_alu instid0(VALU_DEP_1) | instskip(NEXT) | instid1(VALU_DEP_2)
	v_dual_lshlrev_b32 v21, 16, v0 :: v_dual_lshlrev_b32 v18, 20, v18
	v_lshl_add_u32 v20, v20, 23, 0x3c000000
	s_delay_alu instid0(VALU_DEP_2) | instskip(NEXT) | instid1(VALU_DEP_1)
	v_and_b32_e32 v21, 0x80000000, v21
	v_or3_b32 v99, v18, v21, v20
.LBB360_202:                            ;   in Loop: Header=BB360_10 Depth=1
	s_or_b32 exec_lo, exec_lo, s31
.LBB360_203:                            ;   in Loop: Header=BB360_10 Depth=1
	s_delay_alu instid0(SALU_CYCLE_1)
	s_or_b32 exec_lo, exec_lo, s30
.LBB360_204:                            ;   in Loop: Header=BB360_10 Depth=1
	s_delay_alu instid0(SALU_CYCLE_1) | instskip(SKIP_2) | instid1(VALU_DEP_1)
	s_or_b32 exec_lo, exec_lo, s29
	v_lshrrev_b32_e32 v20, 16, v0
	s_mov_b32 s29, exec_lo
	v_and_b32_e32 v18, 0xff, v20
	s_delay_alu instid0(VALU_DEP_1)
	v_cmpx_ne_u16_e32 0, v18
	s_cbranch_execz .LBB360_212
; %bb.205:                              ;   in Loop: Header=BB360_10 Depth=1
	v_bfrev_b32_e32 v100, 1
	s_mov_b32 s30, exec_lo
	v_cmpx_ne_u16_e32 0x80, v18
	s_cbranch_execz .LBB360_211
; %bb.206:                              ;   in Loop: Header=BB360_10 Depth=1
	v_bfe_u32 v22, v0, 16, 7
	v_mov_b32_e32 v100, 0x7f800001
	s_mov_b32 s31, exec_lo
	s_delay_alu instid0(VALU_DEP_2)
	v_cmpx_ne_u32_e32 0x7f, v22
	s_cbranch_execz .LBB360_210
; %bb.207:                              ;   in Loop: Header=BB360_10 Depth=1
	v_dual_lshrrev_b32 v21, 3, v22 :: v_dual_bitop2_b32 v18, 7, v20 bitop3:0x40
	s_mov_b32 s33, exec_lo
	v_cmpx_gt_u32_e32 8, v22
; %bb.208:                              ;   in Loop: Header=BB360_10 Depth=1
	s_delay_alu instid0(VALU_DEP_2) | instskip(NEXT) | instid1(VALU_DEP_1)
	v_clz_i32_u32_e32 v21, v18
	v_min_u32_e32 v21, 32, v21
	s_delay_alu instid0(VALU_DEP_1) | instskip(NEXT) | instid1(VALU_DEP_1)
	v_subrev_nc_u32_e32 v22, 28, v21
	v_lshlrev_b64_e32 v[22:23], v22, v[18:19]
	s_delay_alu instid0(VALU_DEP_1)
	v_dual_sub_nc_u32 v21, 29, v21 :: v_dual_bitop2_b32 v18, 7, v22 bitop3:0x40
; %bb.209:                              ;   in Loop: Header=BB360_10 Depth=1
	s_or_b32 exec_lo, exec_lo, s33
	s_delay_alu instid0(VALU_DEP_1) | instskip(NEXT) | instid1(VALU_DEP_2)
	v_dual_lshlrev_b32 v20, 24, v20 :: v_dual_lshlrev_b32 v18, 20, v18
	v_lshl_add_u32 v21, v21, 23, 0x3c000000
	s_delay_alu instid0(VALU_DEP_2) | instskip(NEXT) | instid1(VALU_DEP_1)
	v_and_b32_e32 v20, 0x80000000, v20
	v_or3_b32 v100, v18, v20, v21
.LBB360_210:                            ;   in Loop: Header=BB360_10 Depth=1
	s_or_b32 exec_lo, exec_lo, s31
.LBB360_211:                            ;   in Loop: Header=BB360_10 Depth=1
	s_delay_alu instid0(SALU_CYCLE_1)
	s_or_b32 exec_lo, exec_lo, s30
.LBB360_212:                            ;   in Loop: Header=BB360_10 Depth=1
	s_delay_alu instid0(SALU_CYCLE_1)
	s_or_b32 exec_lo, exec_lo, s29
	v_dual_mov_b32 v102, 0 :: v_dual_mov_b32 v101, 0
	s_mov_b32 s29, exec_lo
	v_cmpx_lt_u32_e32 0xffffff, v0
	s_cbranch_execz .LBB360_220
; %bb.213:                              ;   in Loop: Header=BB360_10 Depth=1
	v_lshrrev_b32_e32 v20, 24, v0
	v_bfrev_b32_e32 v101, 1
	s_mov_b32 s30, exec_lo
	s_delay_alu instid0(VALU_DEP_2)
	v_cmpx_ne_u32_e32 0x80, v20
	s_cbranch_execz .LBB360_219
; %bb.214:                              ;   in Loop: Header=BB360_10 Depth=1
	v_bfe_u32 v22, v0, 24, 7
	v_mov_b32_e32 v101, 0x7f800001
	s_mov_b32 s31, exec_lo
	s_delay_alu instid0(VALU_DEP_2)
	v_cmpx_ne_u32_e32 0x7f, v22
	s_cbranch_execz .LBB360_218
; %bb.215:                              ;   in Loop: Header=BB360_10 Depth=1
	v_dual_lshrrev_b32 v21, 3, v22 :: v_dual_bitop2_b32 v18, 7, v20 bitop3:0x40
	s_mov_b32 s33, exec_lo
	v_cmpx_gt_u32_e32 8, v22
; %bb.216:                              ;   in Loop: Header=BB360_10 Depth=1
	s_delay_alu instid0(VALU_DEP_2) | instskip(NEXT) | instid1(VALU_DEP_1)
	v_clz_i32_u32_e32 v21, v18
	v_min_u32_e32 v21, 32, v21
	s_delay_alu instid0(VALU_DEP_1) | instskip(NEXT) | instid1(VALU_DEP_1)
	v_subrev_nc_u32_e32 v22, 28, v21
	v_lshlrev_b64_e32 v[22:23], v22, v[18:19]
	s_delay_alu instid0(VALU_DEP_1)
	v_dual_sub_nc_u32 v21, 29, v21 :: v_dual_bitop2_b32 v18, 7, v22 bitop3:0x40
; %bb.217:                              ;   in Loop: Header=BB360_10 Depth=1
	s_or_b32 exec_lo, exec_lo, s33
	s_delay_alu instid0(VALU_DEP_1) | instskip(NEXT) | instid1(VALU_DEP_2)
	v_dual_lshlrev_b32 v20, 24, v20 :: v_dual_lshlrev_b32 v18, 20, v18
	v_lshl_add_u32 v21, v21, 23, 0x3c000000
	s_delay_alu instid0(VALU_DEP_2) | instskip(NEXT) | instid1(VALU_DEP_1)
	v_and_b32_e32 v20, 0x80000000, v20
	v_or3_b32 v101, v18, v20, v21
.LBB360_218:                            ;   in Loop: Header=BB360_10 Depth=1
	s_or_b32 exec_lo, exec_lo, s31
.LBB360_219:                            ;   in Loop: Header=BB360_10 Depth=1
	s_delay_alu instid0(SALU_CYCLE_1)
	s_or_b32 exec_lo, exec_lo, s30
.LBB360_220:                            ;   in Loop: Header=BB360_10 Depth=1
	s_delay_alu instid0(SALU_CYCLE_1) | instskip(SKIP_3) | instid1(VALU_DEP_2)
	s_or_b32 exec_lo, exec_lo, s29
	v_and_b32_e32 v20, 0xff, v1
	v_mov_b32_e32 v18, v1
	s_mov_b32 s29, exec_lo
	v_cmpx_ne_u16_e32 0, v20
	s_cbranch_execz .LBB360_226
; %bb.221:                              ;   in Loop: Header=BB360_10 Depth=1
	v_bfrev_b32_e32 v102, 1
	s_mov_b32 s30, exec_lo
	v_cmpx_ne_u16_e32 0x80, v20
	s_cbranch_execz .LBB360_225
; %bb.222:                              ;   in Loop: Header=BB360_10 Depth=1
	v_and_b32_e32 v20, 0x7f, v1
	v_mov_b32_e32 v102, 0x7f800001
	s_mov_b32 s31, exec_lo
	s_delay_alu instid0(VALU_DEP_2)
	v_cmpx_ne_u32_e32 0x7f, v20
	s_cbranch_execz .LBB360_224
; %bb.223:                              ;   in Loop: Header=BB360_10 Depth=1
	v_dual_lshrrev_b32 v22, 3, v20 :: v_dual_bitop2_b32 v21, 7, v1 bitop3:0x40
	v_cmp_gt_u32_e64 s3, 8, v20
	s_delay_alu instid0(VALU_DEP_2) | instskip(NEXT) | instid1(VALU_DEP_1)
	v_clz_i32_u32_e32 v21, v21
	v_min_u32_e32 v21, 32, v21
	s_delay_alu instid0(VALU_DEP_1) | instskip(NEXT) | instid1(VALU_DEP_1)
	v_subrev_nc_u32_e32 v23, 28, v21
	v_dual_sub_nc_u32 v21, 29, v21 :: v_dual_cndmask_b32 v20, 0, v23, s3
	s_delay_alu instid0(VALU_DEP_1) | instskip(NEXT) | instid1(VALU_DEP_2)
	v_cndmask_b32_e64 v22, v22, v21, s3
	v_lshlrev_b64_e32 v[20:21], v20, v[18:19]
	v_lshlrev_b32_e32 v21, 24, v18
	s_delay_alu instid0(VALU_DEP_3) | instskip(NEXT) | instid1(VALU_DEP_2)
	v_lshl_add_u32 v22, v22, 23, 0x3c000000
	v_and_b32_e32 v21, 0x80000000, v21
	s_delay_alu instid0(VALU_DEP_4) | instskip(NEXT) | instid1(VALU_DEP_1)
	v_lshlrev_b32_e32 v20, 20, v20
	v_and_b32_e32 v20, 0x700000, v20
	s_delay_alu instid0(VALU_DEP_1)
	v_or3_b32 v102, v20, v21, v22
.LBB360_224:                            ;   in Loop: Header=BB360_10 Depth=1
	s_or_b32 exec_lo, exec_lo, s31
.LBB360_225:                            ;   in Loop: Header=BB360_10 Depth=1
	s_delay_alu instid0(SALU_CYCLE_1)
	s_or_b32 exec_lo, exec_lo, s30
.LBB360_226:                            ;   in Loop: Header=BB360_10 Depth=1
	s_delay_alu instid0(SALU_CYCLE_1) | instskip(SKIP_3) | instid1(VALU_DEP_2)
	s_or_b32 exec_lo, exec_lo, s29
	v_lshrrev_b16 v20, 8, v18
	v_dual_mov_b32 v104, 0 :: v_dual_mov_b32 v103, 0
	s_mov_b32 s29, exec_lo
	v_cmpx_ne_u16_e32 0, v20
	s_cbranch_execz .LBB360_234
; %bb.227:                              ;   in Loop: Header=BB360_10 Depth=1
	v_bfrev_b32_e32 v103, 1
	s_mov_b32 s30, exec_lo
	v_cmpx_ne_u16_e32 0x80, v20
	s_cbranch_execz .LBB360_233
; %bb.228:                              ;   in Loop: Header=BB360_10 Depth=1
	v_and_b32_e32 v20, 0xffff, v20
	v_mov_b32_e32 v103, 0x7f800001
	s_mov_b32 s31, exec_lo
	s_delay_alu instid0(VALU_DEP_2) | instskip(NEXT) | instid1(VALU_DEP_1)
	v_and_b32_e32 v23, 0x7f, v20
	v_cmpx_ne_u32_e32 0x7f, v23
	s_cbranch_execz .LBB360_232
; %bb.229:                              ;   in Loop: Header=BB360_10 Depth=1
	v_dual_mov_b32 v21, v19 :: v_dual_bitop2_b32 v20, 7, v20 bitop3:0x40
	v_lshrrev_b32_e32 v22, 3, v23
	s_mov_b32 s33, exec_lo
	v_cmpx_gt_u32_e32 8, v23
; %bb.230:                              ;   in Loop: Header=BB360_10 Depth=1
	s_delay_alu instid0(VALU_DEP_3) | instskip(NEXT) | instid1(VALU_DEP_1)
	v_clz_i32_u32_e32 v22, v20
	v_min_u32_e32 v22, 32, v22
	s_delay_alu instid0(VALU_DEP_1) | instskip(NEXT) | instid1(VALU_DEP_1)
	v_subrev_nc_u32_e32 v23, 28, v22
	v_lshlrev_b64_e32 v[20:21], v23, v[20:21]
	s_delay_alu instid0(VALU_DEP_1)
	v_dual_sub_nc_u32 v22, 29, v22 :: v_dual_bitop2_b32 v20, 7, v20 bitop3:0x40
; %bb.231:                              ;   in Loop: Header=BB360_10 Depth=1
	s_or_b32 exec_lo, exec_lo, s33
	s_delay_alu instid0(VALU_DEP_1) | instskip(NEXT) | instid1(VALU_DEP_2)
	v_dual_lshlrev_b32 v18, 16, v18 :: v_dual_lshlrev_b32 v20, 20, v20
	v_lshl_add_u32 v21, v22, 23, 0x3c000000
	s_delay_alu instid0(VALU_DEP_2) | instskip(NEXT) | instid1(VALU_DEP_1)
	v_and_b32_e32 v18, 0x80000000, v18
	v_or3_b32 v103, v20, v18, v21
.LBB360_232:                            ;   in Loop: Header=BB360_10 Depth=1
	s_or_b32 exec_lo, exec_lo, s31
.LBB360_233:                            ;   in Loop: Header=BB360_10 Depth=1
	s_delay_alu instid0(SALU_CYCLE_1)
	s_or_b32 exec_lo, exec_lo, s30
.LBB360_234:                            ;   in Loop: Header=BB360_10 Depth=1
	s_delay_alu instid0(SALU_CYCLE_1) | instskip(SKIP_2) | instid1(VALU_DEP_1)
	s_or_b32 exec_lo, exec_lo, s29
	v_lshrrev_b32_e32 v20, 16, v1
	s_mov_b32 s29, exec_lo
	v_and_b32_e32 v18, 0xff, v20
	s_delay_alu instid0(VALU_DEP_1)
	v_cmpx_ne_u16_e32 0, v18
	s_cbranch_execz .LBB360_242
; %bb.235:                              ;   in Loop: Header=BB360_10 Depth=1
	v_bfrev_b32_e32 v104, 1
	s_mov_b32 s30, exec_lo
	v_cmpx_ne_u16_e32 0x80, v18
	s_cbranch_execz .LBB360_241
; %bb.236:                              ;   in Loop: Header=BB360_10 Depth=1
	v_bfe_u32 v22, v1, 16, 7
	v_mov_b32_e32 v104, 0x7f800001
	s_mov_b32 s31, exec_lo
	s_delay_alu instid0(VALU_DEP_2)
	v_cmpx_ne_u32_e32 0x7f, v22
	s_cbranch_execz .LBB360_240
; %bb.237:                              ;   in Loop: Header=BB360_10 Depth=1
	v_dual_lshrrev_b32 v21, 3, v22 :: v_dual_bitop2_b32 v18, 7, v20 bitop3:0x40
	s_mov_b32 s33, exec_lo
	v_cmpx_gt_u32_e32 8, v22
; %bb.238:                              ;   in Loop: Header=BB360_10 Depth=1
	s_delay_alu instid0(VALU_DEP_2) | instskip(NEXT) | instid1(VALU_DEP_1)
	v_clz_i32_u32_e32 v21, v18
	v_min_u32_e32 v21, 32, v21
	s_delay_alu instid0(VALU_DEP_1) | instskip(NEXT) | instid1(VALU_DEP_1)
	v_subrev_nc_u32_e32 v22, 28, v21
	v_lshlrev_b64_e32 v[22:23], v22, v[18:19]
	s_delay_alu instid0(VALU_DEP_1)
	v_dual_sub_nc_u32 v21, 29, v21 :: v_dual_bitop2_b32 v18, 7, v22 bitop3:0x40
; %bb.239:                              ;   in Loop: Header=BB360_10 Depth=1
	s_or_b32 exec_lo, exec_lo, s33
	s_delay_alu instid0(VALU_DEP_1) | instskip(NEXT) | instid1(VALU_DEP_2)
	v_dual_lshlrev_b32 v20, 24, v20 :: v_dual_lshlrev_b32 v18, 20, v18
	v_lshl_add_u32 v21, v21, 23, 0x3c000000
	s_delay_alu instid0(VALU_DEP_2) | instskip(NEXT) | instid1(VALU_DEP_1)
	v_and_b32_e32 v20, 0x80000000, v20
	v_or3_b32 v104, v18, v20, v21
.LBB360_240:                            ;   in Loop: Header=BB360_10 Depth=1
	s_or_b32 exec_lo, exec_lo, s31
.LBB360_241:                            ;   in Loop: Header=BB360_10 Depth=1
	s_delay_alu instid0(SALU_CYCLE_1)
	s_or_b32 exec_lo, exec_lo, s30
.LBB360_242:                            ;   in Loop: Header=BB360_10 Depth=1
	s_delay_alu instid0(SALU_CYCLE_1)
	s_or_b32 exec_lo, exec_lo, s29
	v_dual_mov_b32 v106, 0 :: v_dual_mov_b32 v105, 0
	s_mov_b32 s29, exec_lo
	v_cmpx_lt_u64_e64 s[20:21], v[0:1]
	s_cbranch_execz .LBB360_250
; %bb.243:                              ;   in Loop: Header=BB360_10 Depth=1
	v_lshrrev_b32_e32 v0, 24, v1
	v_bfrev_b32_e32 v105, 1
	s_mov_b32 s30, exec_lo
	s_delay_alu instid0(VALU_DEP_2)
	v_cmpx_ne_u32_e32 0x80, v0
	s_cbranch_execz .LBB360_249
; %bb.244:                              ;   in Loop: Header=BB360_10 Depth=1
	v_bfe_u32 v20, v1, 24, 7
	v_mov_b32_e32 v105, 0x7f800001
	s_mov_b32 s31, exec_lo
	s_delay_alu instid0(VALU_DEP_2)
	v_cmpx_ne_u32_e32 0x7f, v20
	s_cbranch_execz .LBB360_248
; %bb.245:                              ;   in Loop: Header=BB360_10 Depth=1
	v_and_b32_e32 v18, 7, v0
	v_lshrrev_b32_e32 v1, 3, v20
	s_mov_b32 s33, exec_lo
	v_cmpx_gt_u32_e32 8, v20
; %bb.246:                              ;   in Loop: Header=BB360_10 Depth=1
	s_delay_alu instid0(VALU_DEP_3) | instskip(NEXT) | instid1(VALU_DEP_1)
	v_clz_i32_u32_e32 v1, v18
	v_min_u32_e32 v1, 32, v1
	s_delay_alu instid0(VALU_DEP_1) | instskip(NEXT) | instid1(VALU_DEP_1)
	v_subrev_nc_u32_e32 v20, 28, v1
	v_lshlrev_b64_e32 v[20:21], v20, v[18:19]
	s_delay_alu instid0(VALU_DEP_1)
	v_dual_sub_nc_u32 v1, 29, v1 :: v_dual_bitop2_b32 v18, 7, v20 bitop3:0x40
; %bb.247:                              ;   in Loop: Header=BB360_10 Depth=1
	s_or_b32 exec_lo, exec_lo, s33
	s_delay_alu instid0(VALU_DEP_1) | instskip(NEXT) | instid1(VALU_DEP_2)
	v_dual_lshlrev_b32 v0, 24, v0 :: v_dual_lshlrev_b32 v18, 20, v18
	v_lshl_add_u32 v1, v1, 23, 0x3c000000
	s_delay_alu instid0(VALU_DEP_2) | instskip(NEXT) | instid1(VALU_DEP_1)
	v_and_b32_e32 v0, 0x80000000, v0
	v_or3_b32 v105, v18, v0, v1
.LBB360_248:                            ;   in Loop: Header=BB360_10 Depth=1
	s_or_b32 exec_lo, exec_lo, s31
.LBB360_249:                            ;   in Loop: Header=BB360_10 Depth=1
	s_delay_alu instid0(SALU_CYCLE_1)
	s_or_b32 exec_lo, exec_lo, s30
.LBB360_250:                            ;   in Loop: Header=BB360_10 Depth=1
	s_delay_alu instid0(SALU_CYCLE_1)
	s_or_b32 exec_lo, exec_lo, s29
	global_load_b64 v[0:1], v[84:85], off offset:1024
	s_mov_b32 s29, exec_lo
	s_wait_loadcnt 0x0
	v_and_b32_e32 v18, 0xff, v0
	s_wait_xcnt 0x0
	s_delay_alu instid0(VALU_DEP_1)
	v_cmpx_ne_u16_e32 0, v18
	s_cbranch_execz .LBB360_256
; %bb.251:                              ;   in Loop: Header=BB360_10 Depth=1
	v_bfrev_b32_e32 v106, 1
	s_mov_b32 s30, exec_lo
	v_cmpx_ne_u16_e32 0x80, v18
	s_cbranch_execz .LBB360_255
; %bb.252:                              ;   in Loop: Header=BB360_10 Depth=1
	v_and_b32_e32 v18, 0x7f, v0
	v_mov_b32_e32 v106, 0x7f800001
	s_mov_b32 s31, exec_lo
	s_delay_alu instid0(VALU_DEP_2)
	v_cmpx_ne_u32_e32 0x7f, v18
	s_cbranch_execz .LBB360_254
; %bb.253:                              ;   in Loop: Header=BB360_10 Depth=1
	v_dual_lshrrev_b32 v21, 3, v18 :: v_dual_bitop2_b32 v20, 7, v0 bitop3:0x40
	v_cmp_gt_u32_e64 s3, 8, v18
	s_delay_alu instid0(VALU_DEP_2) | instskip(NEXT) | instid1(VALU_DEP_1)
	v_clz_i32_u32_e32 v20, v20
	v_min_u32_e32 v20, 32, v20
	s_delay_alu instid0(VALU_DEP_1) | instskip(SKIP_1) | instid1(VALU_DEP_1)
	v_subrev_nc_u32_e32 v22, 28, v20
	v_sub_nc_u32_e32 v20, 29, v20
	v_dual_cndmask_b32 v18, v21, v20, s3 :: v_dual_cndmask_b32 v20, 0, v22, s3
	s_delay_alu instid0(VALU_DEP_1) | instskip(NEXT) | instid1(VALU_DEP_2)
	v_lshl_add_u32 v18, v18, 23, 0x3c000000
	v_lshlrev_b64_e32 v[20:21], v20, v[0:1]
	v_lshlrev_b32_e32 v21, 24, v0
	s_delay_alu instid0(VALU_DEP_1) | instskip(NEXT) | instid1(VALU_DEP_3)
	v_and_b32_e32 v21, 0x80000000, v21
	v_lshlrev_b32_e32 v20, 20, v20
	s_delay_alu instid0(VALU_DEP_1) | instskip(NEXT) | instid1(VALU_DEP_1)
	v_and_b32_e32 v20, 0x700000, v20
	v_or3_b32 v106, v20, v21, v18
.LBB360_254:                            ;   in Loop: Header=BB360_10 Depth=1
	s_or_b32 exec_lo, exec_lo, s31
.LBB360_255:                            ;   in Loop: Header=BB360_10 Depth=1
	s_delay_alu instid0(SALU_CYCLE_1)
	s_or_b32 exec_lo, exec_lo, s30
.LBB360_256:                            ;   in Loop: Header=BB360_10 Depth=1
	s_delay_alu instid0(SALU_CYCLE_1) | instskip(SKIP_3) | instid1(VALU_DEP_2)
	s_or_b32 exec_lo, exec_lo, s29
	v_lshrrev_b16 v18, 8, v0
	v_dual_mov_b32 v108, 0 :: v_dual_mov_b32 v107, 0
	s_mov_b32 s29, exec_lo
	v_cmpx_ne_u16_e32 0, v18
	s_cbranch_execz .LBB360_264
; %bb.257:                              ;   in Loop: Header=BB360_10 Depth=1
	v_bfrev_b32_e32 v107, 1
	s_mov_b32 s30, exec_lo
	v_cmpx_ne_u16_e32 0x80, v18
	s_cbranch_execz .LBB360_263
; %bb.258:                              ;   in Loop: Header=BB360_10 Depth=1
	v_and_b32_e32 v18, 0xffff, v18
	v_mov_b32_e32 v107, 0x7f800001
	s_mov_b32 s31, exec_lo
	s_delay_alu instid0(VALU_DEP_2) | instskip(NEXT) | instid1(VALU_DEP_1)
	v_and_b32_e32 v21, 0x7f, v18
	v_cmpx_ne_u32_e32 0x7f, v21
	s_cbranch_execz .LBB360_262
; %bb.259:                              ;   in Loop: Header=BB360_10 Depth=1
	v_dual_lshrrev_b32 v20, 3, v21 :: v_dual_bitop2_b32 v18, 7, v18 bitop3:0x40
	s_mov_b32 s33, exec_lo
	v_cmpx_gt_u32_e32 8, v21
; %bb.260:                              ;   in Loop: Header=BB360_10 Depth=1
	s_delay_alu instid0(VALU_DEP_2) | instskip(NEXT) | instid1(VALU_DEP_1)
	v_clz_i32_u32_e32 v20, v18
	v_min_u32_e32 v20, 32, v20
	s_delay_alu instid0(VALU_DEP_1) | instskip(NEXT) | instid1(VALU_DEP_1)
	v_subrev_nc_u32_e32 v21, 28, v20
	v_lshlrev_b64_e32 v[22:23], v21, v[18:19]
	s_delay_alu instid0(VALU_DEP_1)
	v_dual_sub_nc_u32 v20, 29, v20 :: v_dual_bitop2_b32 v18, 7, v22 bitop3:0x40
; %bb.261:                              ;   in Loop: Header=BB360_10 Depth=1
	s_or_b32 exec_lo, exec_lo, s33
	s_delay_alu instid0(VALU_DEP_1) | instskip(NEXT) | instid1(VALU_DEP_2)
	v_dual_lshlrev_b32 v21, 16, v0 :: v_dual_lshlrev_b32 v18, 20, v18
	v_lshl_add_u32 v20, v20, 23, 0x3c000000
	s_delay_alu instid0(VALU_DEP_2) | instskip(NEXT) | instid1(VALU_DEP_1)
	v_and_b32_e32 v21, 0x80000000, v21
	v_or3_b32 v107, v18, v21, v20
.LBB360_262:                            ;   in Loop: Header=BB360_10 Depth=1
	s_or_b32 exec_lo, exec_lo, s31
.LBB360_263:                            ;   in Loop: Header=BB360_10 Depth=1
	s_delay_alu instid0(SALU_CYCLE_1)
	s_or_b32 exec_lo, exec_lo, s30
.LBB360_264:                            ;   in Loop: Header=BB360_10 Depth=1
	s_delay_alu instid0(SALU_CYCLE_1) | instskip(SKIP_2) | instid1(VALU_DEP_1)
	s_or_b32 exec_lo, exec_lo, s29
	v_lshrrev_b32_e32 v20, 16, v0
	s_mov_b32 s29, exec_lo
	v_and_b32_e32 v18, 0xff, v20
	s_delay_alu instid0(VALU_DEP_1)
	v_cmpx_ne_u16_e32 0, v18
	s_cbranch_execz .LBB360_272
; %bb.265:                              ;   in Loop: Header=BB360_10 Depth=1
	v_bfrev_b32_e32 v108, 1
	s_mov_b32 s30, exec_lo
	v_cmpx_ne_u16_e32 0x80, v18
	s_cbranch_execz .LBB360_271
; %bb.266:                              ;   in Loop: Header=BB360_10 Depth=1
	v_bfe_u32 v22, v0, 16, 7
	v_mov_b32_e32 v108, 0x7f800001
	s_mov_b32 s31, exec_lo
	s_delay_alu instid0(VALU_DEP_2)
	v_cmpx_ne_u32_e32 0x7f, v22
	s_cbranch_execz .LBB360_270
; %bb.267:                              ;   in Loop: Header=BB360_10 Depth=1
	v_dual_lshrrev_b32 v21, 3, v22 :: v_dual_bitop2_b32 v18, 7, v20 bitop3:0x40
	s_mov_b32 s33, exec_lo
	v_cmpx_gt_u32_e32 8, v22
; %bb.268:                              ;   in Loop: Header=BB360_10 Depth=1
	s_delay_alu instid0(VALU_DEP_2) | instskip(NEXT) | instid1(VALU_DEP_1)
	v_clz_i32_u32_e32 v21, v18
	v_min_u32_e32 v21, 32, v21
	s_delay_alu instid0(VALU_DEP_1) | instskip(NEXT) | instid1(VALU_DEP_1)
	v_subrev_nc_u32_e32 v22, 28, v21
	v_lshlrev_b64_e32 v[22:23], v22, v[18:19]
	s_delay_alu instid0(VALU_DEP_1)
	v_dual_sub_nc_u32 v21, 29, v21 :: v_dual_bitop2_b32 v18, 7, v22 bitop3:0x40
; %bb.269:                              ;   in Loop: Header=BB360_10 Depth=1
	s_or_b32 exec_lo, exec_lo, s33
	s_delay_alu instid0(VALU_DEP_1) | instskip(NEXT) | instid1(VALU_DEP_2)
	v_dual_lshlrev_b32 v20, 24, v20 :: v_dual_lshlrev_b32 v18, 20, v18
	v_lshl_add_u32 v21, v21, 23, 0x3c000000
	s_delay_alu instid0(VALU_DEP_2) | instskip(NEXT) | instid1(VALU_DEP_1)
	v_and_b32_e32 v20, 0x80000000, v20
	v_or3_b32 v108, v18, v20, v21
.LBB360_270:                            ;   in Loop: Header=BB360_10 Depth=1
	s_or_b32 exec_lo, exec_lo, s31
.LBB360_271:                            ;   in Loop: Header=BB360_10 Depth=1
	s_delay_alu instid0(SALU_CYCLE_1)
	s_or_b32 exec_lo, exec_lo, s30
.LBB360_272:                            ;   in Loop: Header=BB360_10 Depth=1
	s_delay_alu instid0(SALU_CYCLE_1)
	s_or_b32 exec_lo, exec_lo, s29
	v_dual_mov_b32 v110, 0 :: v_dual_mov_b32 v109, 0
	s_mov_b32 s29, exec_lo
	v_cmpx_lt_u32_e32 0xffffff, v0
	s_cbranch_execz .LBB360_280
; %bb.273:                              ;   in Loop: Header=BB360_10 Depth=1
	v_lshrrev_b32_e32 v20, 24, v0
	v_bfrev_b32_e32 v109, 1
	s_mov_b32 s30, exec_lo
	s_delay_alu instid0(VALU_DEP_2)
	v_cmpx_ne_u32_e32 0x80, v20
	s_cbranch_execz .LBB360_279
; %bb.274:                              ;   in Loop: Header=BB360_10 Depth=1
	v_bfe_u32 v22, v0, 24, 7
	v_mov_b32_e32 v109, 0x7f800001
	s_mov_b32 s31, exec_lo
	s_delay_alu instid0(VALU_DEP_2)
	v_cmpx_ne_u32_e32 0x7f, v22
	s_cbranch_execz .LBB360_278
; %bb.275:                              ;   in Loop: Header=BB360_10 Depth=1
	v_dual_lshrrev_b32 v21, 3, v22 :: v_dual_bitop2_b32 v18, 7, v20 bitop3:0x40
	s_mov_b32 s33, exec_lo
	v_cmpx_gt_u32_e32 8, v22
; %bb.276:                              ;   in Loop: Header=BB360_10 Depth=1
	s_delay_alu instid0(VALU_DEP_2) | instskip(NEXT) | instid1(VALU_DEP_1)
	v_clz_i32_u32_e32 v21, v18
	v_min_u32_e32 v21, 32, v21
	s_delay_alu instid0(VALU_DEP_1) | instskip(NEXT) | instid1(VALU_DEP_1)
	v_subrev_nc_u32_e32 v22, 28, v21
	v_lshlrev_b64_e32 v[22:23], v22, v[18:19]
	s_delay_alu instid0(VALU_DEP_1)
	v_dual_sub_nc_u32 v21, 29, v21 :: v_dual_bitop2_b32 v18, 7, v22 bitop3:0x40
; %bb.277:                              ;   in Loop: Header=BB360_10 Depth=1
	s_or_b32 exec_lo, exec_lo, s33
	s_delay_alu instid0(VALU_DEP_1) | instskip(NEXT) | instid1(VALU_DEP_2)
	v_dual_lshlrev_b32 v20, 24, v20 :: v_dual_lshlrev_b32 v18, 20, v18
	v_lshl_add_u32 v21, v21, 23, 0x3c000000
	s_delay_alu instid0(VALU_DEP_2) | instskip(NEXT) | instid1(VALU_DEP_1)
	v_and_b32_e32 v20, 0x80000000, v20
	v_or3_b32 v109, v18, v20, v21
.LBB360_278:                            ;   in Loop: Header=BB360_10 Depth=1
	s_or_b32 exec_lo, exec_lo, s31
.LBB360_279:                            ;   in Loop: Header=BB360_10 Depth=1
	s_delay_alu instid0(SALU_CYCLE_1)
	s_or_b32 exec_lo, exec_lo, s30
.LBB360_280:                            ;   in Loop: Header=BB360_10 Depth=1
	s_delay_alu instid0(SALU_CYCLE_1) | instskip(SKIP_3) | instid1(VALU_DEP_2)
	s_or_b32 exec_lo, exec_lo, s29
	v_and_b32_e32 v20, 0xff, v1
	v_mov_b32_e32 v18, v1
	s_mov_b32 s29, exec_lo
	v_cmpx_ne_u16_e32 0, v20
	s_cbranch_execz .LBB360_286
; %bb.281:                              ;   in Loop: Header=BB360_10 Depth=1
	v_bfrev_b32_e32 v110, 1
	s_mov_b32 s30, exec_lo
	v_cmpx_ne_u16_e32 0x80, v20
	s_cbranch_execz .LBB360_285
; %bb.282:                              ;   in Loop: Header=BB360_10 Depth=1
	v_and_b32_e32 v20, 0x7f, v1
	v_mov_b32_e32 v110, 0x7f800001
	s_mov_b32 s31, exec_lo
	s_delay_alu instid0(VALU_DEP_2)
	v_cmpx_ne_u32_e32 0x7f, v20
	s_cbranch_execz .LBB360_284
; %bb.283:                              ;   in Loop: Header=BB360_10 Depth=1
	v_dual_lshrrev_b32 v22, 3, v20 :: v_dual_bitop2_b32 v21, 7, v1 bitop3:0x40
	v_cmp_gt_u32_e64 s3, 8, v20
	s_delay_alu instid0(VALU_DEP_2) | instskip(NEXT) | instid1(VALU_DEP_1)
	v_clz_i32_u32_e32 v21, v21
	v_min_u32_e32 v21, 32, v21
	s_delay_alu instid0(VALU_DEP_1) | instskip(NEXT) | instid1(VALU_DEP_1)
	v_subrev_nc_u32_e32 v23, 28, v21
	v_dual_sub_nc_u32 v21, 29, v21 :: v_dual_cndmask_b32 v20, 0, v23, s3
	s_delay_alu instid0(VALU_DEP_1) | instskip(NEXT) | instid1(VALU_DEP_2)
	v_cndmask_b32_e64 v22, v22, v21, s3
	v_lshlrev_b64_e32 v[20:21], v20, v[18:19]
	v_lshlrev_b32_e32 v21, 24, v18
	s_delay_alu instid0(VALU_DEP_3) | instskip(NEXT) | instid1(VALU_DEP_2)
	v_lshl_add_u32 v22, v22, 23, 0x3c000000
	v_and_b32_e32 v21, 0x80000000, v21
	s_delay_alu instid0(VALU_DEP_4) | instskip(NEXT) | instid1(VALU_DEP_1)
	v_lshlrev_b32_e32 v20, 20, v20
	v_and_b32_e32 v20, 0x700000, v20
	s_delay_alu instid0(VALU_DEP_1)
	v_or3_b32 v110, v20, v21, v22
.LBB360_284:                            ;   in Loop: Header=BB360_10 Depth=1
	s_or_b32 exec_lo, exec_lo, s31
.LBB360_285:                            ;   in Loop: Header=BB360_10 Depth=1
	s_delay_alu instid0(SALU_CYCLE_1)
	s_or_b32 exec_lo, exec_lo, s30
.LBB360_286:                            ;   in Loop: Header=BB360_10 Depth=1
	s_delay_alu instid0(SALU_CYCLE_1) | instskip(SKIP_3) | instid1(VALU_DEP_2)
	s_or_b32 exec_lo, exec_lo, s29
	v_lshrrev_b16 v20, 8, v18
	v_dual_mov_b32 v112, 0 :: v_dual_mov_b32 v111, 0
	s_mov_b32 s29, exec_lo
	v_cmpx_ne_u16_e32 0, v20
	s_cbranch_execz .LBB360_294
; %bb.287:                              ;   in Loop: Header=BB360_10 Depth=1
	v_bfrev_b32_e32 v111, 1
	s_mov_b32 s30, exec_lo
	v_cmpx_ne_u16_e32 0x80, v20
	s_cbranch_execz .LBB360_293
; %bb.288:                              ;   in Loop: Header=BB360_10 Depth=1
	v_and_b32_e32 v20, 0xffff, v20
	v_mov_b32_e32 v111, 0x7f800001
	s_mov_b32 s31, exec_lo
	s_delay_alu instid0(VALU_DEP_2) | instskip(NEXT) | instid1(VALU_DEP_1)
	v_and_b32_e32 v23, 0x7f, v20
	v_cmpx_ne_u32_e32 0x7f, v23
	s_cbranch_execz .LBB360_292
; %bb.289:                              ;   in Loop: Header=BB360_10 Depth=1
	v_dual_mov_b32 v21, v19 :: v_dual_bitop2_b32 v20, 7, v20 bitop3:0x40
	v_lshrrev_b32_e32 v22, 3, v23
	s_mov_b32 s33, exec_lo
	v_cmpx_gt_u32_e32 8, v23
; %bb.290:                              ;   in Loop: Header=BB360_10 Depth=1
	s_delay_alu instid0(VALU_DEP_3) | instskip(NEXT) | instid1(VALU_DEP_1)
	v_clz_i32_u32_e32 v22, v20
	v_min_u32_e32 v22, 32, v22
	s_delay_alu instid0(VALU_DEP_1) | instskip(NEXT) | instid1(VALU_DEP_1)
	v_subrev_nc_u32_e32 v23, 28, v22
	v_lshlrev_b64_e32 v[20:21], v23, v[20:21]
	s_delay_alu instid0(VALU_DEP_1)
	v_dual_sub_nc_u32 v22, 29, v22 :: v_dual_bitop2_b32 v20, 7, v20 bitop3:0x40
; %bb.291:                              ;   in Loop: Header=BB360_10 Depth=1
	s_or_b32 exec_lo, exec_lo, s33
	s_delay_alu instid0(VALU_DEP_1) | instskip(NEXT) | instid1(VALU_DEP_2)
	v_dual_lshlrev_b32 v18, 16, v18 :: v_dual_lshlrev_b32 v20, 20, v20
	v_lshl_add_u32 v21, v22, 23, 0x3c000000
	s_delay_alu instid0(VALU_DEP_2) | instskip(NEXT) | instid1(VALU_DEP_1)
	v_and_b32_e32 v18, 0x80000000, v18
	v_or3_b32 v111, v20, v18, v21
.LBB360_292:                            ;   in Loop: Header=BB360_10 Depth=1
	s_or_b32 exec_lo, exec_lo, s31
.LBB360_293:                            ;   in Loop: Header=BB360_10 Depth=1
	s_delay_alu instid0(SALU_CYCLE_1)
	s_or_b32 exec_lo, exec_lo, s30
.LBB360_294:                            ;   in Loop: Header=BB360_10 Depth=1
	s_delay_alu instid0(SALU_CYCLE_1) | instskip(SKIP_2) | instid1(VALU_DEP_1)
	s_or_b32 exec_lo, exec_lo, s29
	v_lshrrev_b32_e32 v20, 16, v1
	s_mov_b32 s29, exec_lo
	v_and_b32_e32 v18, 0xff, v20
	s_delay_alu instid0(VALU_DEP_1)
	v_cmpx_ne_u16_e32 0, v18
	s_cbranch_execz .LBB360_302
; %bb.295:                              ;   in Loop: Header=BB360_10 Depth=1
	v_bfrev_b32_e32 v112, 1
	s_mov_b32 s30, exec_lo
	v_cmpx_ne_u16_e32 0x80, v18
	s_cbranch_execz .LBB360_301
; %bb.296:                              ;   in Loop: Header=BB360_10 Depth=1
	v_bfe_u32 v22, v1, 16, 7
	v_mov_b32_e32 v112, 0x7f800001
	s_mov_b32 s31, exec_lo
	s_delay_alu instid0(VALU_DEP_2)
	v_cmpx_ne_u32_e32 0x7f, v22
	s_cbranch_execz .LBB360_300
; %bb.297:                              ;   in Loop: Header=BB360_10 Depth=1
	v_dual_lshrrev_b32 v21, 3, v22 :: v_dual_bitop2_b32 v18, 7, v20 bitop3:0x40
	s_mov_b32 s33, exec_lo
	v_cmpx_gt_u32_e32 8, v22
; %bb.298:                              ;   in Loop: Header=BB360_10 Depth=1
	s_delay_alu instid0(VALU_DEP_2) | instskip(NEXT) | instid1(VALU_DEP_1)
	v_clz_i32_u32_e32 v21, v18
	v_min_u32_e32 v21, 32, v21
	s_delay_alu instid0(VALU_DEP_1) | instskip(NEXT) | instid1(VALU_DEP_1)
	v_subrev_nc_u32_e32 v22, 28, v21
	v_lshlrev_b64_e32 v[22:23], v22, v[18:19]
	s_delay_alu instid0(VALU_DEP_1)
	v_dual_sub_nc_u32 v21, 29, v21 :: v_dual_bitop2_b32 v18, 7, v22 bitop3:0x40
; %bb.299:                              ;   in Loop: Header=BB360_10 Depth=1
	s_or_b32 exec_lo, exec_lo, s33
	s_delay_alu instid0(VALU_DEP_1) | instskip(NEXT) | instid1(VALU_DEP_2)
	v_dual_lshlrev_b32 v20, 24, v20 :: v_dual_lshlrev_b32 v18, 20, v18
	v_lshl_add_u32 v21, v21, 23, 0x3c000000
	s_delay_alu instid0(VALU_DEP_2) | instskip(NEXT) | instid1(VALU_DEP_1)
	v_and_b32_e32 v20, 0x80000000, v20
	v_or3_b32 v112, v18, v20, v21
.LBB360_300:                            ;   in Loop: Header=BB360_10 Depth=1
	s_or_b32 exec_lo, exec_lo, s31
.LBB360_301:                            ;   in Loop: Header=BB360_10 Depth=1
	s_delay_alu instid0(SALU_CYCLE_1)
	s_or_b32 exec_lo, exec_lo, s30
.LBB360_302:                            ;   in Loop: Header=BB360_10 Depth=1
	s_delay_alu instid0(SALU_CYCLE_1)
	s_or_b32 exec_lo, exec_lo, s29
	v_dual_mov_b32 v114, 0 :: v_dual_mov_b32 v113, 0
	s_mov_b32 s29, exec_lo
	v_cmpx_lt_u64_e64 s[20:21], v[0:1]
	s_cbranch_execz .LBB360_310
; %bb.303:                              ;   in Loop: Header=BB360_10 Depth=1
	v_lshrrev_b32_e32 v0, 24, v1
	v_bfrev_b32_e32 v113, 1
	s_mov_b32 s30, exec_lo
	s_delay_alu instid0(VALU_DEP_2)
	v_cmpx_ne_u32_e32 0x80, v0
	s_cbranch_execz .LBB360_309
; %bb.304:                              ;   in Loop: Header=BB360_10 Depth=1
	v_bfe_u32 v20, v1, 24, 7
	v_mov_b32_e32 v113, 0x7f800001
	s_mov_b32 s31, exec_lo
	s_delay_alu instid0(VALU_DEP_2)
	v_cmpx_ne_u32_e32 0x7f, v20
	s_cbranch_execz .LBB360_308
; %bb.305:                              ;   in Loop: Header=BB360_10 Depth=1
	v_and_b32_e32 v18, 7, v0
	v_lshrrev_b32_e32 v1, 3, v20
	s_mov_b32 s33, exec_lo
	v_cmpx_gt_u32_e32 8, v20
; %bb.306:                              ;   in Loop: Header=BB360_10 Depth=1
	s_delay_alu instid0(VALU_DEP_3) | instskip(NEXT) | instid1(VALU_DEP_1)
	v_clz_i32_u32_e32 v1, v18
	v_min_u32_e32 v1, 32, v1
	s_delay_alu instid0(VALU_DEP_1) | instskip(NEXT) | instid1(VALU_DEP_1)
	v_subrev_nc_u32_e32 v20, 28, v1
	v_lshlrev_b64_e32 v[20:21], v20, v[18:19]
	s_delay_alu instid0(VALU_DEP_1)
	v_dual_sub_nc_u32 v1, 29, v1 :: v_dual_bitop2_b32 v18, 7, v20 bitop3:0x40
; %bb.307:                              ;   in Loop: Header=BB360_10 Depth=1
	s_or_b32 exec_lo, exec_lo, s33
	s_delay_alu instid0(VALU_DEP_1) | instskip(NEXT) | instid1(VALU_DEP_2)
	v_dual_lshlrev_b32 v0, 24, v0 :: v_dual_lshlrev_b32 v18, 20, v18
	v_lshl_add_u32 v1, v1, 23, 0x3c000000
	s_delay_alu instid0(VALU_DEP_2) | instskip(NEXT) | instid1(VALU_DEP_1)
	v_and_b32_e32 v0, 0x80000000, v0
	v_or3_b32 v113, v18, v0, v1
.LBB360_308:                            ;   in Loop: Header=BB360_10 Depth=1
	s_or_b32 exec_lo, exec_lo, s31
.LBB360_309:                            ;   in Loop: Header=BB360_10 Depth=1
	s_delay_alu instid0(SALU_CYCLE_1)
	s_or_b32 exec_lo, exec_lo, s30
.LBB360_310:                            ;   in Loop: Header=BB360_10 Depth=1
	s_delay_alu instid0(SALU_CYCLE_1)
	s_or_b32 exec_lo, exec_lo, s29
	global_load_b64 v[0:1], v[84:85], off offset:1032
	s_mov_b32 s29, exec_lo
	s_wait_loadcnt 0x0
	v_and_b32_e32 v18, 0xff, v0
	s_wait_xcnt 0x0
	s_delay_alu instid0(VALU_DEP_1)
	v_cmpx_ne_u16_e32 0, v18
	s_cbranch_execz .LBB360_316
; %bb.311:                              ;   in Loop: Header=BB360_10 Depth=1
	v_bfrev_b32_e32 v114, 1
	s_mov_b32 s30, exec_lo
	v_cmpx_ne_u16_e32 0x80, v18
	s_cbranch_execz .LBB360_315
; %bb.312:                              ;   in Loop: Header=BB360_10 Depth=1
	v_and_b32_e32 v18, 0x7f, v0
	v_mov_b32_e32 v114, 0x7f800001
	s_mov_b32 s31, exec_lo
	s_delay_alu instid0(VALU_DEP_2)
	v_cmpx_ne_u32_e32 0x7f, v18
	s_cbranch_execz .LBB360_314
; %bb.313:                              ;   in Loop: Header=BB360_10 Depth=1
	v_dual_lshrrev_b32 v21, 3, v18 :: v_dual_bitop2_b32 v20, 7, v0 bitop3:0x40
	v_cmp_gt_u32_e64 s3, 8, v18
	s_delay_alu instid0(VALU_DEP_2) | instskip(NEXT) | instid1(VALU_DEP_1)
	v_clz_i32_u32_e32 v20, v20
	v_min_u32_e32 v20, 32, v20
	s_delay_alu instid0(VALU_DEP_1) | instskip(SKIP_1) | instid1(VALU_DEP_1)
	v_subrev_nc_u32_e32 v22, 28, v20
	v_sub_nc_u32_e32 v20, 29, v20
	v_dual_cndmask_b32 v18, v21, v20, s3 :: v_dual_cndmask_b32 v20, 0, v22, s3
	s_delay_alu instid0(VALU_DEP_1) | instskip(NEXT) | instid1(VALU_DEP_2)
	v_lshl_add_u32 v18, v18, 23, 0x3c000000
	v_lshlrev_b64_e32 v[20:21], v20, v[0:1]
	v_lshlrev_b32_e32 v21, 24, v0
	s_delay_alu instid0(VALU_DEP_1) | instskip(NEXT) | instid1(VALU_DEP_3)
	v_and_b32_e32 v21, 0x80000000, v21
	v_lshlrev_b32_e32 v20, 20, v20
	s_delay_alu instid0(VALU_DEP_1) | instskip(NEXT) | instid1(VALU_DEP_1)
	v_and_b32_e32 v20, 0x700000, v20
	v_or3_b32 v114, v20, v21, v18
.LBB360_314:                            ;   in Loop: Header=BB360_10 Depth=1
	s_or_b32 exec_lo, exec_lo, s31
.LBB360_315:                            ;   in Loop: Header=BB360_10 Depth=1
	s_delay_alu instid0(SALU_CYCLE_1)
	s_or_b32 exec_lo, exec_lo, s30
.LBB360_316:                            ;   in Loop: Header=BB360_10 Depth=1
	s_delay_alu instid0(SALU_CYCLE_1) | instskip(SKIP_3) | instid1(VALU_DEP_2)
	s_or_b32 exec_lo, exec_lo, s29
	v_lshrrev_b16 v18, 8, v0
	v_dual_mov_b32 v116, 0 :: v_dual_mov_b32 v115, 0
	s_mov_b32 s29, exec_lo
	v_cmpx_ne_u16_e32 0, v18
	s_cbranch_execz .LBB360_324
; %bb.317:                              ;   in Loop: Header=BB360_10 Depth=1
	v_bfrev_b32_e32 v115, 1
	s_mov_b32 s30, exec_lo
	v_cmpx_ne_u16_e32 0x80, v18
	s_cbranch_execz .LBB360_323
; %bb.318:                              ;   in Loop: Header=BB360_10 Depth=1
	v_and_b32_e32 v18, 0xffff, v18
	v_mov_b32_e32 v115, 0x7f800001
	s_mov_b32 s31, exec_lo
	s_delay_alu instid0(VALU_DEP_2) | instskip(NEXT) | instid1(VALU_DEP_1)
	v_and_b32_e32 v21, 0x7f, v18
	v_cmpx_ne_u32_e32 0x7f, v21
	s_cbranch_execz .LBB360_322
; %bb.319:                              ;   in Loop: Header=BB360_10 Depth=1
	v_dual_lshrrev_b32 v20, 3, v21 :: v_dual_bitop2_b32 v18, 7, v18 bitop3:0x40
	s_mov_b32 s33, exec_lo
	v_cmpx_gt_u32_e32 8, v21
; %bb.320:                              ;   in Loop: Header=BB360_10 Depth=1
	s_delay_alu instid0(VALU_DEP_2) | instskip(NEXT) | instid1(VALU_DEP_1)
	v_clz_i32_u32_e32 v20, v18
	v_min_u32_e32 v20, 32, v20
	s_delay_alu instid0(VALU_DEP_1) | instskip(NEXT) | instid1(VALU_DEP_1)
	v_subrev_nc_u32_e32 v21, 28, v20
	v_lshlrev_b64_e32 v[22:23], v21, v[18:19]
	s_delay_alu instid0(VALU_DEP_1)
	v_dual_sub_nc_u32 v20, 29, v20 :: v_dual_bitop2_b32 v18, 7, v22 bitop3:0x40
; %bb.321:                              ;   in Loop: Header=BB360_10 Depth=1
	s_or_b32 exec_lo, exec_lo, s33
	s_delay_alu instid0(VALU_DEP_1) | instskip(NEXT) | instid1(VALU_DEP_2)
	v_dual_lshlrev_b32 v21, 16, v0 :: v_dual_lshlrev_b32 v18, 20, v18
	v_lshl_add_u32 v20, v20, 23, 0x3c000000
	s_delay_alu instid0(VALU_DEP_2) | instskip(NEXT) | instid1(VALU_DEP_1)
	v_and_b32_e32 v21, 0x80000000, v21
	v_or3_b32 v115, v18, v21, v20
.LBB360_322:                            ;   in Loop: Header=BB360_10 Depth=1
	s_or_b32 exec_lo, exec_lo, s31
.LBB360_323:                            ;   in Loop: Header=BB360_10 Depth=1
	s_delay_alu instid0(SALU_CYCLE_1)
	s_or_b32 exec_lo, exec_lo, s30
.LBB360_324:                            ;   in Loop: Header=BB360_10 Depth=1
	s_delay_alu instid0(SALU_CYCLE_1) | instskip(SKIP_2) | instid1(VALU_DEP_1)
	s_or_b32 exec_lo, exec_lo, s29
	v_lshrrev_b32_e32 v20, 16, v0
	s_mov_b32 s29, exec_lo
	v_and_b32_e32 v18, 0xff, v20
	s_delay_alu instid0(VALU_DEP_1)
	v_cmpx_ne_u16_e32 0, v18
	s_cbranch_execz .LBB360_332
; %bb.325:                              ;   in Loop: Header=BB360_10 Depth=1
	v_bfrev_b32_e32 v116, 1
	s_mov_b32 s30, exec_lo
	v_cmpx_ne_u16_e32 0x80, v18
	s_cbranch_execz .LBB360_331
; %bb.326:                              ;   in Loop: Header=BB360_10 Depth=1
	v_bfe_u32 v22, v0, 16, 7
	v_mov_b32_e32 v116, 0x7f800001
	s_mov_b32 s31, exec_lo
	s_delay_alu instid0(VALU_DEP_2)
	v_cmpx_ne_u32_e32 0x7f, v22
	s_cbranch_execz .LBB360_330
; %bb.327:                              ;   in Loop: Header=BB360_10 Depth=1
	v_dual_lshrrev_b32 v21, 3, v22 :: v_dual_bitop2_b32 v18, 7, v20 bitop3:0x40
	s_mov_b32 s33, exec_lo
	v_cmpx_gt_u32_e32 8, v22
; %bb.328:                              ;   in Loop: Header=BB360_10 Depth=1
	s_delay_alu instid0(VALU_DEP_2) | instskip(NEXT) | instid1(VALU_DEP_1)
	v_clz_i32_u32_e32 v21, v18
	v_min_u32_e32 v21, 32, v21
	s_delay_alu instid0(VALU_DEP_1) | instskip(NEXT) | instid1(VALU_DEP_1)
	v_subrev_nc_u32_e32 v22, 28, v21
	v_lshlrev_b64_e32 v[22:23], v22, v[18:19]
	s_delay_alu instid0(VALU_DEP_1)
	v_dual_sub_nc_u32 v21, 29, v21 :: v_dual_bitop2_b32 v18, 7, v22 bitop3:0x40
; %bb.329:                              ;   in Loop: Header=BB360_10 Depth=1
	s_or_b32 exec_lo, exec_lo, s33
	s_delay_alu instid0(VALU_DEP_1) | instskip(NEXT) | instid1(VALU_DEP_2)
	v_dual_lshlrev_b32 v20, 24, v20 :: v_dual_lshlrev_b32 v18, 20, v18
	v_lshl_add_u32 v21, v21, 23, 0x3c000000
	s_delay_alu instid0(VALU_DEP_2) | instskip(NEXT) | instid1(VALU_DEP_1)
	v_and_b32_e32 v20, 0x80000000, v20
	v_or3_b32 v116, v18, v20, v21
.LBB360_330:                            ;   in Loop: Header=BB360_10 Depth=1
	s_or_b32 exec_lo, exec_lo, s31
.LBB360_331:                            ;   in Loop: Header=BB360_10 Depth=1
	s_delay_alu instid0(SALU_CYCLE_1)
	s_or_b32 exec_lo, exec_lo, s30
.LBB360_332:                            ;   in Loop: Header=BB360_10 Depth=1
	s_delay_alu instid0(SALU_CYCLE_1)
	s_or_b32 exec_lo, exec_lo, s29
	v_dual_mov_b32 v118, 0 :: v_dual_mov_b32 v117, 0
	s_mov_b32 s29, exec_lo
	v_cmpx_lt_u32_e32 0xffffff, v0
	s_cbranch_execz .LBB360_340
; %bb.333:                              ;   in Loop: Header=BB360_10 Depth=1
	v_lshrrev_b32_e32 v20, 24, v0
	v_bfrev_b32_e32 v117, 1
	s_mov_b32 s30, exec_lo
	s_delay_alu instid0(VALU_DEP_2)
	v_cmpx_ne_u32_e32 0x80, v20
	s_cbranch_execz .LBB360_339
; %bb.334:                              ;   in Loop: Header=BB360_10 Depth=1
	v_bfe_u32 v22, v0, 24, 7
	v_mov_b32_e32 v117, 0x7f800001
	s_mov_b32 s31, exec_lo
	s_delay_alu instid0(VALU_DEP_2)
	v_cmpx_ne_u32_e32 0x7f, v22
	s_cbranch_execz .LBB360_338
; %bb.335:                              ;   in Loop: Header=BB360_10 Depth=1
	v_dual_lshrrev_b32 v21, 3, v22 :: v_dual_bitop2_b32 v18, 7, v20 bitop3:0x40
	s_mov_b32 s33, exec_lo
	v_cmpx_gt_u32_e32 8, v22
; %bb.336:                              ;   in Loop: Header=BB360_10 Depth=1
	s_delay_alu instid0(VALU_DEP_2) | instskip(NEXT) | instid1(VALU_DEP_1)
	v_clz_i32_u32_e32 v21, v18
	v_min_u32_e32 v21, 32, v21
	s_delay_alu instid0(VALU_DEP_1) | instskip(NEXT) | instid1(VALU_DEP_1)
	v_subrev_nc_u32_e32 v22, 28, v21
	v_lshlrev_b64_e32 v[22:23], v22, v[18:19]
	s_delay_alu instid0(VALU_DEP_1)
	v_dual_sub_nc_u32 v21, 29, v21 :: v_dual_bitop2_b32 v18, 7, v22 bitop3:0x40
; %bb.337:                              ;   in Loop: Header=BB360_10 Depth=1
	s_or_b32 exec_lo, exec_lo, s33
	s_delay_alu instid0(VALU_DEP_1) | instskip(NEXT) | instid1(VALU_DEP_2)
	v_dual_lshlrev_b32 v20, 24, v20 :: v_dual_lshlrev_b32 v18, 20, v18
	v_lshl_add_u32 v21, v21, 23, 0x3c000000
	s_delay_alu instid0(VALU_DEP_2) | instskip(NEXT) | instid1(VALU_DEP_1)
	v_and_b32_e32 v20, 0x80000000, v20
	v_or3_b32 v117, v18, v20, v21
.LBB360_338:                            ;   in Loop: Header=BB360_10 Depth=1
	s_or_b32 exec_lo, exec_lo, s31
.LBB360_339:                            ;   in Loop: Header=BB360_10 Depth=1
	s_delay_alu instid0(SALU_CYCLE_1)
	s_or_b32 exec_lo, exec_lo, s30
.LBB360_340:                            ;   in Loop: Header=BB360_10 Depth=1
	s_delay_alu instid0(SALU_CYCLE_1) | instskip(SKIP_3) | instid1(VALU_DEP_2)
	s_or_b32 exec_lo, exec_lo, s29
	v_and_b32_e32 v20, 0xff, v1
	v_mov_b32_e32 v18, v1
	s_mov_b32 s29, exec_lo
	v_cmpx_ne_u16_e32 0, v20
	s_cbranch_execz .LBB360_346
; %bb.341:                              ;   in Loop: Header=BB360_10 Depth=1
	v_bfrev_b32_e32 v118, 1
	s_mov_b32 s30, exec_lo
	v_cmpx_ne_u16_e32 0x80, v20
	s_cbranch_execz .LBB360_345
; %bb.342:                              ;   in Loop: Header=BB360_10 Depth=1
	v_and_b32_e32 v20, 0x7f, v1
	v_mov_b32_e32 v118, 0x7f800001
	s_mov_b32 s31, exec_lo
	s_delay_alu instid0(VALU_DEP_2)
	v_cmpx_ne_u32_e32 0x7f, v20
	s_cbranch_execz .LBB360_344
; %bb.343:                              ;   in Loop: Header=BB360_10 Depth=1
	v_dual_lshrrev_b32 v22, 3, v20 :: v_dual_bitop2_b32 v21, 7, v1 bitop3:0x40
	v_cmp_gt_u32_e64 s3, 8, v20
	s_delay_alu instid0(VALU_DEP_2) | instskip(NEXT) | instid1(VALU_DEP_1)
	v_clz_i32_u32_e32 v20, v21
	v_min_u32_e32 v20, 32, v20
	s_delay_alu instid0(VALU_DEP_1) | instskip(SKIP_1) | instid1(VALU_DEP_1)
	v_subrev_nc_u32_e32 v21, 28, v20
	v_sub_nc_u32_e32 v20, 29, v20
	v_dual_cndmask_b32 v22, v22, v20, s3 :: v_dual_cndmask_b32 v20, 0, v21, s3
	s_delay_alu instid0(VALU_DEP_1) | instskip(NEXT) | instid1(VALU_DEP_2)
	v_lshl_add_u32 v22, v22, 23, 0x3c000000
	v_lshlrev_b64_e32 v[20:21], v20, v[18:19]
	v_lshlrev_b32_e32 v21, 24, v18
	s_delay_alu instid0(VALU_DEP_1) | instskip(NEXT) | instid1(VALU_DEP_3)
	v_and_b32_e32 v21, 0x80000000, v21
	v_lshlrev_b32_e32 v20, 20, v20
	s_delay_alu instid0(VALU_DEP_1) | instskip(NEXT) | instid1(VALU_DEP_1)
	v_and_b32_e32 v20, 0x700000, v20
	v_or3_b32 v118, v20, v21, v22
.LBB360_344:                            ;   in Loop: Header=BB360_10 Depth=1
	s_or_b32 exec_lo, exec_lo, s31
.LBB360_345:                            ;   in Loop: Header=BB360_10 Depth=1
	s_delay_alu instid0(SALU_CYCLE_1)
	s_or_b32 exec_lo, exec_lo, s30
.LBB360_346:                            ;   in Loop: Header=BB360_10 Depth=1
	s_delay_alu instid0(SALU_CYCLE_1) | instskip(SKIP_3) | instid1(VALU_DEP_2)
	s_or_b32 exec_lo, exec_lo, s29
	v_lshrrev_b16 v20, 8, v18
	v_dual_mov_b32 v120, 0 :: v_dual_mov_b32 v119, 0
	s_mov_b32 s29, exec_lo
	v_cmpx_ne_u16_e32 0, v20
	s_cbranch_execz .LBB360_354
; %bb.347:                              ;   in Loop: Header=BB360_10 Depth=1
	v_bfrev_b32_e32 v119, 1
	s_mov_b32 s30, exec_lo
	v_cmpx_ne_u16_e32 0x80, v20
	s_cbranch_execz .LBB360_353
; %bb.348:                              ;   in Loop: Header=BB360_10 Depth=1
	v_and_b32_e32 v20, 0xffff, v20
	v_mov_b32_e32 v119, 0x7f800001
	s_mov_b32 s31, exec_lo
	s_delay_alu instid0(VALU_DEP_2) | instskip(NEXT) | instid1(VALU_DEP_1)
	v_and_b32_e32 v23, 0x7f, v20
	v_cmpx_ne_u32_e32 0x7f, v23
	s_cbranch_execz .LBB360_352
; %bb.349:                              ;   in Loop: Header=BB360_10 Depth=1
	v_dual_mov_b32 v21, v19 :: v_dual_bitop2_b32 v20, 7, v20 bitop3:0x40
	v_lshrrev_b32_e32 v22, 3, v23
	s_mov_b32 s33, exec_lo
	v_cmpx_gt_u32_e32 8, v23
; %bb.350:                              ;   in Loop: Header=BB360_10 Depth=1
	s_delay_alu instid0(VALU_DEP_3) | instskip(NEXT) | instid1(VALU_DEP_1)
	v_clz_i32_u32_e32 v22, v20
	v_min_u32_e32 v22, 32, v22
	s_delay_alu instid0(VALU_DEP_1) | instskip(NEXT) | instid1(VALU_DEP_1)
	v_subrev_nc_u32_e32 v23, 28, v22
	v_lshlrev_b64_e32 v[20:21], v23, v[20:21]
	s_delay_alu instid0(VALU_DEP_1)
	v_dual_sub_nc_u32 v22, 29, v22 :: v_dual_bitop2_b32 v20, 7, v20 bitop3:0x40
; %bb.351:                              ;   in Loop: Header=BB360_10 Depth=1
	s_or_b32 exec_lo, exec_lo, s33
	s_delay_alu instid0(VALU_DEP_1) | instskip(NEXT) | instid1(VALU_DEP_2)
	v_dual_lshlrev_b32 v18, 16, v18 :: v_dual_lshlrev_b32 v20, 20, v20
	v_lshl_add_u32 v21, v22, 23, 0x3c000000
	s_delay_alu instid0(VALU_DEP_2) | instskip(NEXT) | instid1(VALU_DEP_1)
	v_and_b32_e32 v18, 0x80000000, v18
	v_or3_b32 v119, v20, v18, v21
.LBB360_352:                            ;   in Loop: Header=BB360_10 Depth=1
	s_or_b32 exec_lo, exec_lo, s31
.LBB360_353:                            ;   in Loop: Header=BB360_10 Depth=1
	s_delay_alu instid0(SALU_CYCLE_1)
	s_or_b32 exec_lo, exec_lo, s30
.LBB360_354:                            ;   in Loop: Header=BB360_10 Depth=1
	s_delay_alu instid0(SALU_CYCLE_1) | instskip(SKIP_2) | instid1(VALU_DEP_1)
	s_or_b32 exec_lo, exec_lo, s29
	v_lshrrev_b32_e32 v20, 16, v1
	s_mov_b32 s29, exec_lo
	v_and_b32_e32 v18, 0xff, v20
	s_delay_alu instid0(VALU_DEP_1)
	v_cmpx_ne_u16_e32 0, v18
	s_cbranch_execz .LBB360_362
; %bb.355:                              ;   in Loop: Header=BB360_10 Depth=1
	v_bfrev_b32_e32 v120, 1
	s_mov_b32 s30, exec_lo
	v_cmpx_ne_u16_e32 0x80, v18
	s_cbranch_execz .LBB360_361
; %bb.356:                              ;   in Loop: Header=BB360_10 Depth=1
	v_bfe_u32 v22, v1, 16, 7
	v_mov_b32_e32 v120, 0x7f800001
	s_mov_b32 s31, exec_lo
	s_delay_alu instid0(VALU_DEP_2)
	v_cmpx_ne_u32_e32 0x7f, v22
	s_cbranch_execz .LBB360_360
; %bb.357:                              ;   in Loop: Header=BB360_10 Depth=1
	v_dual_lshrrev_b32 v21, 3, v22 :: v_dual_bitop2_b32 v18, 7, v20 bitop3:0x40
	s_mov_b32 s33, exec_lo
	v_cmpx_gt_u32_e32 8, v22
; %bb.358:                              ;   in Loop: Header=BB360_10 Depth=1
	s_delay_alu instid0(VALU_DEP_2) | instskip(NEXT) | instid1(VALU_DEP_1)
	v_clz_i32_u32_e32 v21, v18
	v_min_u32_e32 v21, 32, v21
	s_delay_alu instid0(VALU_DEP_1) | instskip(NEXT) | instid1(VALU_DEP_1)
	v_subrev_nc_u32_e32 v22, 28, v21
	v_lshlrev_b64_e32 v[22:23], v22, v[18:19]
	s_delay_alu instid0(VALU_DEP_1)
	v_dual_sub_nc_u32 v21, 29, v21 :: v_dual_bitop2_b32 v18, 7, v22 bitop3:0x40
; %bb.359:                              ;   in Loop: Header=BB360_10 Depth=1
	s_or_b32 exec_lo, exec_lo, s33
	s_delay_alu instid0(VALU_DEP_1) | instskip(NEXT) | instid1(VALU_DEP_2)
	v_dual_lshlrev_b32 v20, 24, v20 :: v_dual_lshlrev_b32 v18, 20, v18
	v_lshl_add_u32 v21, v21, 23, 0x3c000000
	s_delay_alu instid0(VALU_DEP_2) | instskip(NEXT) | instid1(VALU_DEP_1)
	v_and_b32_e32 v20, 0x80000000, v20
	v_or3_b32 v120, v18, v20, v21
.LBB360_360:                            ;   in Loop: Header=BB360_10 Depth=1
	s_or_b32 exec_lo, exec_lo, s31
.LBB360_361:                            ;   in Loop: Header=BB360_10 Depth=1
	s_delay_alu instid0(SALU_CYCLE_1)
	s_or_b32 exec_lo, exec_lo, s30
.LBB360_362:                            ;   in Loop: Header=BB360_10 Depth=1
	s_delay_alu instid0(SALU_CYCLE_1)
	s_or_b32 exec_lo, exec_lo, s29
	v_dual_mov_b32 v122, 0 :: v_dual_mov_b32 v121, 0
	s_mov_b32 s29, exec_lo
	v_cmpx_lt_u64_e64 s[20:21], v[0:1]
	s_cbranch_execz .LBB360_370
; %bb.363:                              ;   in Loop: Header=BB360_10 Depth=1
	v_lshrrev_b32_e32 v0, 24, v1
	v_bfrev_b32_e32 v121, 1
	s_mov_b32 s30, exec_lo
	s_delay_alu instid0(VALU_DEP_2)
	v_cmpx_ne_u32_e32 0x80, v0
	s_cbranch_execz .LBB360_369
; %bb.364:                              ;   in Loop: Header=BB360_10 Depth=1
	v_bfe_u32 v20, v1, 24, 7
	v_mov_b32_e32 v121, 0x7f800001
	s_mov_b32 s31, exec_lo
	s_delay_alu instid0(VALU_DEP_2)
	v_cmpx_ne_u32_e32 0x7f, v20
	s_cbranch_execz .LBB360_368
; %bb.365:                              ;   in Loop: Header=BB360_10 Depth=1
	v_and_b32_e32 v18, 7, v0
	v_lshrrev_b32_e32 v1, 3, v20
	s_mov_b32 s33, exec_lo
	v_cmpx_gt_u32_e32 8, v20
; %bb.366:                              ;   in Loop: Header=BB360_10 Depth=1
	s_delay_alu instid0(VALU_DEP_3) | instskip(NEXT) | instid1(VALU_DEP_1)
	v_clz_i32_u32_e32 v1, v18
	v_min_u32_e32 v1, 32, v1
	s_delay_alu instid0(VALU_DEP_1) | instskip(NEXT) | instid1(VALU_DEP_1)
	v_subrev_nc_u32_e32 v20, 28, v1
	v_lshlrev_b64_e32 v[20:21], v20, v[18:19]
	s_delay_alu instid0(VALU_DEP_1)
	v_dual_sub_nc_u32 v1, 29, v1 :: v_dual_bitop2_b32 v18, 7, v20 bitop3:0x40
; %bb.367:                              ;   in Loop: Header=BB360_10 Depth=1
	s_or_b32 exec_lo, exec_lo, s33
	s_delay_alu instid0(VALU_DEP_1) | instskip(NEXT) | instid1(VALU_DEP_2)
	v_dual_lshlrev_b32 v0, 24, v0 :: v_dual_lshlrev_b32 v18, 20, v18
	v_lshl_add_u32 v1, v1, 23, 0x3c000000
	s_delay_alu instid0(VALU_DEP_2) | instskip(NEXT) | instid1(VALU_DEP_1)
	v_and_b32_e32 v0, 0x80000000, v0
	v_or3_b32 v121, v18, v0, v1
.LBB360_368:                            ;   in Loop: Header=BB360_10 Depth=1
	s_or_b32 exec_lo, exec_lo, s31
.LBB360_369:                            ;   in Loop: Header=BB360_10 Depth=1
	s_delay_alu instid0(SALU_CYCLE_1)
	s_or_b32 exec_lo, exec_lo, s30
.LBB360_370:                            ;   in Loop: Header=BB360_10 Depth=1
	s_delay_alu instid0(SALU_CYCLE_1)
	s_or_b32 exec_lo, exec_lo, s29
	global_load_b64 v[0:1], v[84:85], off offset:1536
	s_mov_b32 s29, exec_lo
	s_wait_loadcnt 0x0
	v_and_b32_e32 v18, 0xff, v0
	s_wait_xcnt 0x0
	s_delay_alu instid0(VALU_DEP_1)
	v_cmpx_ne_u16_e32 0, v18
	s_cbranch_execz .LBB360_376
; %bb.371:                              ;   in Loop: Header=BB360_10 Depth=1
	v_bfrev_b32_e32 v122, 1
	s_mov_b32 s30, exec_lo
	v_cmpx_ne_u16_e32 0x80, v18
	s_cbranch_execz .LBB360_375
; %bb.372:                              ;   in Loop: Header=BB360_10 Depth=1
	v_and_b32_e32 v18, 0x7f, v0
	v_mov_b32_e32 v122, 0x7f800001
	s_mov_b32 s31, exec_lo
	s_delay_alu instid0(VALU_DEP_2)
	v_cmpx_ne_u32_e32 0x7f, v18
	s_cbranch_execz .LBB360_374
; %bb.373:                              ;   in Loop: Header=BB360_10 Depth=1
	v_dual_lshrrev_b32 v21, 3, v18 :: v_dual_bitop2_b32 v20, 7, v0 bitop3:0x40
	v_cmp_gt_u32_e64 s3, 8, v18
	s_delay_alu instid0(VALU_DEP_2) | instskip(NEXT) | instid1(VALU_DEP_1)
	v_clz_i32_u32_e32 v18, v20
	v_min_u32_e32 v18, 32, v18
	s_delay_alu instid0(VALU_DEP_1) | instskip(NEXT) | instid1(VALU_DEP_1)
	v_subrev_nc_u32_e32 v20, 28, v18
	v_dual_sub_nc_u32 v18, 29, v18 :: v_dual_cndmask_b32 v20, 0, v20, s3
	s_delay_alu instid0(VALU_DEP_1) | instskip(NEXT) | instid1(VALU_DEP_2)
	v_cndmask_b32_e64 v18, v21, v18, s3
	v_lshlrev_b64_e32 v[20:21], v20, v[0:1]
	v_lshlrev_b32_e32 v21, 24, v0
	s_delay_alu instid0(VALU_DEP_1) | instskip(NEXT) | instid1(VALU_DEP_3)
	v_and_b32_e32 v21, 0x80000000, v21
	v_lshlrev_b32_e32 v20, 20, v20
	v_lshl_add_u32 v18, v18, 23, 0x3c000000
	s_delay_alu instid0(VALU_DEP_2) | instskip(NEXT) | instid1(VALU_DEP_1)
	v_and_b32_e32 v20, 0x700000, v20
	v_or3_b32 v122, v20, v21, v18
.LBB360_374:                            ;   in Loop: Header=BB360_10 Depth=1
	s_or_b32 exec_lo, exec_lo, s31
.LBB360_375:                            ;   in Loop: Header=BB360_10 Depth=1
	s_delay_alu instid0(SALU_CYCLE_1)
	s_or_b32 exec_lo, exec_lo, s30
.LBB360_376:                            ;   in Loop: Header=BB360_10 Depth=1
	s_delay_alu instid0(SALU_CYCLE_1) | instskip(SKIP_3) | instid1(VALU_DEP_2)
	s_or_b32 exec_lo, exec_lo, s29
	v_lshrrev_b16 v18, 8, v0
	v_dual_mov_b32 v124, 0 :: v_dual_mov_b32 v123, 0
	s_mov_b32 s29, exec_lo
	v_cmpx_ne_u16_e32 0, v18
	s_cbranch_execz .LBB360_384
; %bb.377:                              ;   in Loop: Header=BB360_10 Depth=1
	v_bfrev_b32_e32 v123, 1
	s_mov_b32 s30, exec_lo
	v_cmpx_ne_u16_e32 0x80, v18
	s_cbranch_execz .LBB360_383
; %bb.378:                              ;   in Loop: Header=BB360_10 Depth=1
	v_and_b32_e32 v18, 0xffff, v18
	v_mov_b32_e32 v123, 0x7f800001
	s_mov_b32 s31, exec_lo
	s_delay_alu instid0(VALU_DEP_2) | instskip(NEXT) | instid1(VALU_DEP_1)
	v_and_b32_e32 v21, 0x7f, v18
	v_cmpx_ne_u32_e32 0x7f, v21
	s_cbranch_execz .LBB360_382
; %bb.379:                              ;   in Loop: Header=BB360_10 Depth=1
	v_dual_lshrrev_b32 v20, 3, v21 :: v_dual_bitop2_b32 v18, 7, v18 bitop3:0x40
	s_mov_b32 s33, exec_lo
	v_cmpx_gt_u32_e32 8, v21
; %bb.380:                              ;   in Loop: Header=BB360_10 Depth=1
	s_delay_alu instid0(VALU_DEP_2) | instskip(NEXT) | instid1(VALU_DEP_1)
	v_clz_i32_u32_e32 v20, v18
	v_min_u32_e32 v20, 32, v20
	s_delay_alu instid0(VALU_DEP_1) | instskip(NEXT) | instid1(VALU_DEP_1)
	v_subrev_nc_u32_e32 v21, 28, v20
	v_lshlrev_b64_e32 v[22:23], v21, v[18:19]
	s_delay_alu instid0(VALU_DEP_1)
	v_dual_sub_nc_u32 v20, 29, v20 :: v_dual_bitop2_b32 v18, 7, v22 bitop3:0x40
; %bb.381:                              ;   in Loop: Header=BB360_10 Depth=1
	s_or_b32 exec_lo, exec_lo, s33
	s_delay_alu instid0(VALU_DEP_1) | instskip(NEXT) | instid1(VALU_DEP_2)
	v_dual_lshlrev_b32 v21, 16, v0 :: v_dual_lshlrev_b32 v18, 20, v18
	v_lshl_add_u32 v20, v20, 23, 0x3c000000
	s_delay_alu instid0(VALU_DEP_2) | instskip(NEXT) | instid1(VALU_DEP_1)
	v_and_b32_e32 v21, 0x80000000, v21
	v_or3_b32 v123, v18, v21, v20
.LBB360_382:                            ;   in Loop: Header=BB360_10 Depth=1
	s_or_b32 exec_lo, exec_lo, s31
.LBB360_383:                            ;   in Loop: Header=BB360_10 Depth=1
	s_delay_alu instid0(SALU_CYCLE_1)
	s_or_b32 exec_lo, exec_lo, s30
.LBB360_384:                            ;   in Loop: Header=BB360_10 Depth=1
	s_delay_alu instid0(SALU_CYCLE_1) | instskip(SKIP_2) | instid1(VALU_DEP_1)
	s_or_b32 exec_lo, exec_lo, s29
	v_lshrrev_b32_e32 v20, 16, v0
	s_mov_b32 s29, exec_lo
	v_and_b32_e32 v18, 0xff, v20
	s_delay_alu instid0(VALU_DEP_1)
	v_cmpx_ne_u16_e32 0, v18
	s_cbranch_execz .LBB360_392
; %bb.385:                              ;   in Loop: Header=BB360_10 Depth=1
	v_bfrev_b32_e32 v124, 1
	s_mov_b32 s30, exec_lo
	v_cmpx_ne_u16_e32 0x80, v18
	s_cbranch_execz .LBB360_391
; %bb.386:                              ;   in Loop: Header=BB360_10 Depth=1
	v_bfe_u32 v22, v0, 16, 7
	v_mov_b32_e32 v124, 0x7f800001
	s_mov_b32 s31, exec_lo
	s_delay_alu instid0(VALU_DEP_2)
	v_cmpx_ne_u32_e32 0x7f, v22
	s_cbranch_execz .LBB360_390
; %bb.387:                              ;   in Loop: Header=BB360_10 Depth=1
	v_dual_lshrrev_b32 v21, 3, v22 :: v_dual_bitop2_b32 v18, 7, v20 bitop3:0x40
	s_mov_b32 s33, exec_lo
	v_cmpx_gt_u32_e32 8, v22
; %bb.388:                              ;   in Loop: Header=BB360_10 Depth=1
	s_delay_alu instid0(VALU_DEP_2) | instskip(NEXT) | instid1(VALU_DEP_1)
	v_clz_i32_u32_e32 v21, v18
	v_min_u32_e32 v21, 32, v21
	s_delay_alu instid0(VALU_DEP_1) | instskip(NEXT) | instid1(VALU_DEP_1)
	v_subrev_nc_u32_e32 v22, 28, v21
	v_lshlrev_b64_e32 v[22:23], v22, v[18:19]
	s_delay_alu instid0(VALU_DEP_1)
	v_dual_sub_nc_u32 v21, 29, v21 :: v_dual_bitop2_b32 v18, 7, v22 bitop3:0x40
; %bb.389:                              ;   in Loop: Header=BB360_10 Depth=1
	s_or_b32 exec_lo, exec_lo, s33
	s_delay_alu instid0(VALU_DEP_1) | instskip(NEXT) | instid1(VALU_DEP_2)
	v_dual_lshlrev_b32 v20, 24, v20 :: v_dual_lshlrev_b32 v18, 20, v18
	v_lshl_add_u32 v21, v21, 23, 0x3c000000
	s_delay_alu instid0(VALU_DEP_2) | instskip(NEXT) | instid1(VALU_DEP_1)
	v_and_b32_e32 v20, 0x80000000, v20
	v_or3_b32 v124, v18, v20, v21
.LBB360_390:                            ;   in Loop: Header=BB360_10 Depth=1
	s_or_b32 exec_lo, exec_lo, s31
.LBB360_391:                            ;   in Loop: Header=BB360_10 Depth=1
	s_delay_alu instid0(SALU_CYCLE_1)
	s_or_b32 exec_lo, exec_lo, s30
.LBB360_392:                            ;   in Loop: Header=BB360_10 Depth=1
	s_delay_alu instid0(SALU_CYCLE_1)
	s_or_b32 exec_lo, exec_lo, s29
	v_dual_mov_b32 v126, 0 :: v_dual_mov_b32 v125, 0
	s_mov_b32 s29, exec_lo
	v_cmpx_lt_u32_e32 0xffffff, v0
	s_cbranch_execz .LBB360_400
; %bb.393:                              ;   in Loop: Header=BB360_10 Depth=1
	v_lshrrev_b32_e32 v20, 24, v0
	v_bfrev_b32_e32 v125, 1
	s_mov_b32 s30, exec_lo
	s_delay_alu instid0(VALU_DEP_2)
	v_cmpx_ne_u32_e32 0x80, v20
	s_cbranch_execz .LBB360_399
; %bb.394:                              ;   in Loop: Header=BB360_10 Depth=1
	v_bfe_u32 v22, v0, 24, 7
	v_mov_b32_e32 v125, 0x7f800001
	s_mov_b32 s31, exec_lo
	s_delay_alu instid0(VALU_DEP_2)
	v_cmpx_ne_u32_e32 0x7f, v22
	s_cbranch_execz .LBB360_398
; %bb.395:                              ;   in Loop: Header=BB360_10 Depth=1
	v_dual_lshrrev_b32 v21, 3, v22 :: v_dual_bitop2_b32 v18, 7, v20 bitop3:0x40
	s_mov_b32 s33, exec_lo
	v_cmpx_gt_u32_e32 8, v22
; %bb.396:                              ;   in Loop: Header=BB360_10 Depth=1
	s_delay_alu instid0(VALU_DEP_2) | instskip(NEXT) | instid1(VALU_DEP_1)
	v_clz_i32_u32_e32 v21, v18
	v_min_u32_e32 v21, 32, v21
	s_delay_alu instid0(VALU_DEP_1) | instskip(NEXT) | instid1(VALU_DEP_1)
	v_subrev_nc_u32_e32 v22, 28, v21
	v_lshlrev_b64_e32 v[22:23], v22, v[18:19]
	s_delay_alu instid0(VALU_DEP_1)
	v_dual_sub_nc_u32 v21, 29, v21 :: v_dual_bitop2_b32 v18, 7, v22 bitop3:0x40
; %bb.397:                              ;   in Loop: Header=BB360_10 Depth=1
	s_or_b32 exec_lo, exec_lo, s33
	s_delay_alu instid0(VALU_DEP_1) | instskip(NEXT) | instid1(VALU_DEP_2)
	v_dual_lshlrev_b32 v20, 24, v20 :: v_dual_lshlrev_b32 v18, 20, v18
	v_lshl_add_u32 v21, v21, 23, 0x3c000000
	s_delay_alu instid0(VALU_DEP_2) | instskip(NEXT) | instid1(VALU_DEP_1)
	v_and_b32_e32 v20, 0x80000000, v20
	v_or3_b32 v125, v18, v20, v21
.LBB360_398:                            ;   in Loop: Header=BB360_10 Depth=1
	s_or_b32 exec_lo, exec_lo, s31
.LBB360_399:                            ;   in Loop: Header=BB360_10 Depth=1
	s_delay_alu instid0(SALU_CYCLE_1)
	s_or_b32 exec_lo, exec_lo, s30
.LBB360_400:                            ;   in Loop: Header=BB360_10 Depth=1
	s_delay_alu instid0(SALU_CYCLE_1) | instskip(SKIP_3) | instid1(VALU_DEP_2)
	s_or_b32 exec_lo, exec_lo, s29
	v_and_b32_e32 v20, 0xff, v1
	v_mov_b32_e32 v18, v1
	s_mov_b32 s29, exec_lo
	v_cmpx_ne_u16_e32 0, v20
	s_cbranch_execz .LBB360_406
; %bb.401:                              ;   in Loop: Header=BB360_10 Depth=1
	v_bfrev_b32_e32 v126, 1
	s_mov_b32 s30, exec_lo
	v_cmpx_ne_u16_e32 0x80, v20
	s_cbranch_execz .LBB360_405
; %bb.402:                              ;   in Loop: Header=BB360_10 Depth=1
	v_and_b32_e32 v20, 0x7f, v1
	v_mov_b32_e32 v126, 0x7f800001
	s_mov_b32 s31, exec_lo
	s_delay_alu instid0(VALU_DEP_2)
	v_cmpx_ne_u32_e32 0x7f, v20
	s_cbranch_execz .LBB360_404
; %bb.403:                              ;   in Loop: Header=BB360_10 Depth=1
	v_dual_lshrrev_b32 v22, 3, v20 :: v_dual_bitop2_b32 v21, 7, v1 bitop3:0x40
	v_cmp_gt_u32_e64 s3, 8, v20
	s_delay_alu instid0(VALU_DEP_2) | instskip(NEXT) | instid1(VALU_DEP_1)
	v_clz_i32_u32_e32 v20, v21
	v_min_u32_e32 v20, 32, v20
	s_delay_alu instid0(VALU_DEP_1) | instskip(SKIP_1) | instid1(VALU_DEP_1)
	v_subrev_nc_u32_e32 v21, 28, v20
	v_sub_nc_u32_e32 v20, 29, v20
	v_dual_cndmask_b32 v22, v22, v20, s3 :: v_dual_cndmask_b32 v20, 0, v21, s3
	s_delay_alu instid0(VALU_DEP_1) | instskip(NEXT) | instid1(VALU_DEP_2)
	v_lshl_add_u32 v22, v22, 23, 0x3c000000
	v_lshlrev_b64_e32 v[20:21], v20, v[18:19]
	v_lshlrev_b32_e32 v21, 24, v18
	s_delay_alu instid0(VALU_DEP_1) | instskip(NEXT) | instid1(VALU_DEP_3)
	v_and_b32_e32 v21, 0x80000000, v21
	v_lshlrev_b32_e32 v20, 20, v20
	s_delay_alu instid0(VALU_DEP_1) | instskip(NEXT) | instid1(VALU_DEP_1)
	v_and_b32_e32 v20, 0x700000, v20
	v_or3_b32 v126, v20, v21, v22
.LBB360_404:                            ;   in Loop: Header=BB360_10 Depth=1
	s_or_b32 exec_lo, exec_lo, s31
.LBB360_405:                            ;   in Loop: Header=BB360_10 Depth=1
	s_delay_alu instid0(SALU_CYCLE_1)
	s_or_b32 exec_lo, exec_lo, s30
.LBB360_406:                            ;   in Loop: Header=BB360_10 Depth=1
	s_delay_alu instid0(SALU_CYCLE_1) | instskip(SKIP_3) | instid1(VALU_DEP_2)
	s_or_b32 exec_lo, exec_lo, s29
	v_lshrrev_b16 v20, 8, v18
	v_dual_mov_b32 v68, 0 :: v_dual_mov_b32 v127, 0
	s_mov_b32 s29, exec_lo
	v_cmpx_ne_u16_e32 0, v20
	s_cbranch_execz .LBB360_414
; %bb.407:                              ;   in Loop: Header=BB360_10 Depth=1
	v_bfrev_b32_e32 v127, 1
	s_mov_b32 s30, exec_lo
	v_cmpx_ne_u16_e32 0x80, v20
	s_cbranch_execz .LBB360_413
; %bb.408:                              ;   in Loop: Header=BB360_10 Depth=1
	v_and_b32_e32 v20, 0xffff, v20
	v_mov_b32_e32 v127, 0x7f800001
	s_mov_b32 s31, exec_lo
	s_delay_alu instid0(VALU_DEP_2) | instskip(NEXT) | instid1(VALU_DEP_1)
	v_and_b32_e32 v23, 0x7f, v20
	v_cmpx_ne_u32_e32 0x7f, v23
	s_cbranch_execz .LBB360_412
; %bb.409:                              ;   in Loop: Header=BB360_10 Depth=1
	v_dual_mov_b32 v21, v19 :: v_dual_bitop2_b32 v20, 7, v20 bitop3:0x40
	v_lshrrev_b32_e32 v22, 3, v23
	s_mov_b32 s33, exec_lo
	v_cmpx_gt_u32_e32 8, v23
; %bb.410:                              ;   in Loop: Header=BB360_10 Depth=1
	s_delay_alu instid0(VALU_DEP_3) | instskip(NEXT) | instid1(VALU_DEP_1)
	v_clz_i32_u32_e32 v22, v20
	v_min_u32_e32 v22, 32, v22
	s_delay_alu instid0(VALU_DEP_1) | instskip(NEXT) | instid1(VALU_DEP_1)
	v_subrev_nc_u32_e32 v23, 28, v22
	v_lshlrev_b64_e32 v[20:21], v23, v[20:21]
	s_delay_alu instid0(VALU_DEP_1)
	v_dual_sub_nc_u32 v22, 29, v22 :: v_dual_bitop2_b32 v20, 7, v20 bitop3:0x40
; %bb.411:                              ;   in Loop: Header=BB360_10 Depth=1
	s_or_b32 exec_lo, exec_lo, s33
	s_delay_alu instid0(VALU_DEP_1) | instskip(NEXT) | instid1(VALU_DEP_2)
	v_dual_lshlrev_b32 v18, 16, v18 :: v_dual_lshlrev_b32 v20, 20, v20
	v_lshl_add_u32 v21, v22, 23, 0x3c000000
	s_delay_alu instid0(VALU_DEP_2) | instskip(NEXT) | instid1(VALU_DEP_1)
	v_and_b32_e32 v18, 0x80000000, v18
	v_or3_b32 v127, v20, v18, v21
.LBB360_412:                            ;   in Loop: Header=BB360_10 Depth=1
	s_or_b32 exec_lo, exec_lo, s31
.LBB360_413:                            ;   in Loop: Header=BB360_10 Depth=1
	s_delay_alu instid0(SALU_CYCLE_1)
	s_or_b32 exec_lo, exec_lo, s30
.LBB360_414:                            ;   in Loop: Header=BB360_10 Depth=1
	s_delay_alu instid0(SALU_CYCLE_1) | instskip(SKIP_2) | instid1(VALU_DEP_1)
	s_or_b32 exec_lo, exec_lo, s29
	v_lshrrev_b32_e32 v20, 16, v1
	s_mov_b32 s29, exec_lo
	v_and_b32_e32 v18, 0xff, v20
	s_delay_alu instid0(VALU_DEP_1)
	v_cmpx_ne_u16_e32 0, v18
	s_cbranch_execz .LBB360_422
; %bb.415:                              ;   in Loop: Header=BB360_10 Depth=1
	v_bfrev_b32_e32 v68, 1
	s_mov_b32 s30, exec_lo
	v_cmpx_ne_u16_e32 0x80, v18
	s_cbranch_execz .LBB360_421
; %bb.416:                              ;   in Loop: Header=BB360_10 Depth=1
	v_bfe_u32 v22, v1, 16, 7
	v_mov_b32_e32 v68, 0x7f800001
	s_mov_b32 s31, exec_lo
	s_delay_alu instid0(VALU_DEP_2)
	v_cmpx_ne_u32_e32 0x7f, v22
	s_cbranch_execz .LBB360_420
; %bb.417:                              ;   in Loop: Header=BB360_10 Depth=1
	v_dual_lshrrev_b32 v21, 3, v22 :: v_dual_bitop2_b32 v18, 7, v20 bitop3:0x40
	s_mov_b32 s33, exec_lo
	v_cmpx_gt_u32_e32 8, v22
; %bb.418:                              ;   in Loop: Header=BB360_10 Depth=1
	s_delay_alu instid0(VALU_DEP_2) | instskip(NEXT) | instid1(VALU_DEP_1)
	v_clz_i32_u32_e32 v21, v18
	v_min_u32_e32 v21, 32, v21
	s_delay_alu instid0(VALU_DEP_1) | instskip(NEXT) | instid1(VALU_DEP_1)
	v_subrev_nc_u32_e32 v22, 28, v21
	v_lshlrev_b64_e32 v[22:23], v22, v[18:19]
	s_delay_alu instid0(VALU_DEP_1)
	v_dual_sub_nc_u32 v21, 29, v21 :: v_dual_bitop2_b32 v18, 7, v22 bitop3:0x40
; %bb.419:                              ;   in Loop: Header=BB360_10 Depth=1
	s_or_b32 exec_lo, exec_lo, s33
	s_delay_alu instid0(VALU_DEP_1) | instskip(NEXT) | instid1(VALU_DEP_2)
	v_dual_lshlrev_b32 v20, 24, v20 :: v_dual_lshlrev_b32 v18, 20, v18
	v_lshl_add_u32 v21, v21, 23, 0x3c000000
	s_delay_alu instid0(VALU_DEP_2) | instskip(NEXT) | instid1(VALU_DEP_1)
	v_and_b32_e32 v20, 0x80000000, v20
	v_or3_b32 v68, v18, v20, v21
.LBB360_420:                            ;   in Loop: Header=BB360_10 Depth=1
	s_or_b32 exec_lo, exec_lo, s31
.LBB360_421:                            ;   in Loop: Header=BB360_10 Depth=1
	s_delay_alu instid0(SALU_CYCLE_1)
	s_or_b32 exec_lo, exec_lo, s30
.LBB360_422:                            ;   in Loop: Header=BB360_10 Depth=1
	s_delay_alu instid0(SALU_CYCLE_1)
	s_or_b32 exec_lo, exec_lo, s29
	v_cmp_lt_u64_e64 s3, s[20:21], v[0:1]
	v_dual_mov_b32 v0, 0 :: v_dual_mov_b32 v69, 0
	s_and_saveexec_b32 s29, s3
	s_cbranch_execz .LBB360_430
; %bb.423:                              ;   in Loop: Header=BB360_10 Depth=1
	v_lshrrev_b32_e32 v20, 24, v1
	v_bfrev_b32_e32 v69, 1
	s_mov_b32 s30, exec_lo
	s_delay_alu instid0(VALU_DEP_2)
	v_cmpx_ne_u32_e32 0x80, v20
	s_cbranch_execz .LBB360_429
; %bb.424:                              ;   in Loop: Header=BB360_10 Depth=1
	v_bfe_u32 v21, v1, 24, 7
	v_mov_b32_e32 v69, 0x7f800001
	s_mov_b32 s31, exec_lo
	s_delay_alu instid0(VALU_DEP_2)
	v_cmpx_ne_u32_e32 0x7f, v21
	s_cbranch_execz .LBB360_428
; %bb.425:                              ;   in Loop: Header=BB360_10 Depth=1
	v_dual_lshrrev_b32 v1, 3, v21 :: v_dual_bitop2_b32 v18, 7, v20 bitop3:0x40
	s_mov_b32 s33, exec_lo
	v_cmpx_gt_u32_e32 8, v21
; %bb.426:                              ;   in Loop: Header=BB360_10 Depth=1
	s_delay_alu instid0(VALU_DEP_2) | instskip(NEXT) | instid1(VALU_DEP_1)
	v_clz_i32_u32_e32 v1, v18
	v_min_u32_e32 v1, 32, v1
	s_delay_alu instid0(VALU_DEP_1) | instskip(NEXT) | instid1(VALU_DEP_1)
	v_subrev_nc_u32_e32 v21, 28, v1
	v_lshlrev_b64_e32 v[22:23], v21, v[18:19]
	s_delay_alu instid0(VALU_DEP_1)
	v_dual_sub_nc_u32 v1, 29, v1 :: v_dual_bitop2_b32 v18, 7, v22 bitop3:0x40
; %bb.427:                              ;   in Loop: Header=BB360_10 Depth=1
	s_or_b32 exec_lo, exec_lo, s33
	s_delay_alu instid0(VALU_DEP_1) | instskip(NEXT) | instid1(VALU_DEP_2)
	v_dual_lshlrev_b32 v20, 24, v20 :: v_dual_lshlrev_b32 v18, 20, v18
	v_lshl_add_u32 v1, v1, 23, 0x3c000000
	s_delay_alu instid0(VALU_DEP_2) | instskip(NEXT) | instid1(VALU_DEP_1)
	v_and_b32_e32 v20, 0x80000000, v20
	v_or3_b32 v69, v18, v20, v1
.LBB360_428:                            ;   in Loop: Header=BB360_10 Depth=1
	s_or_b32 exec_lo, exec_lo, s31
.LBB360_429:                            ;   in Loop: Header=BB360_10 Depth=1
	s_delay_alu instid0(SALU_CYCLE_1)
	s_or_b32 exec_lo, exec_lo, s30
.LBB360_430:                            ;   in Loop: Header=BB360_10 Depth=1
	s_delay_alu instid0(SALU_CYCLE_1)
	s_or_b32 exec_lo, exec_lo, s29
	global_load_b64 v[20:21], v[84:85], off offset:1544
	s_mov_b32 s29, exec_lo
	s_wait_loadcnt 0x0
	v_and_b32_e32 v1, 0xff, v20
	s_wait_xcnt 0x0
	s_delay_alu instid0(VALU_DEP_1)
	v_cmpx_ne_u16_e32 0, v1
	s_cbranch_execz .LBB360_436
; %bb.431:                              ;   in Loop: Header=BB360_10 Depth=1
	v_bfrev_b32_e32 v0, 1
	s_mov_b32 s30, exec_lo
	v_cmpx_ne_u16_e32 0x80, v1
	s_cbranch_execz .LBB360_435
; %bb.432:                              ;   in Loop: Header=BB360_10 Depth=1
	v_and_b32_e32 v1, 0x7f, v20
	v_mov_b32_e32 v0, 0x7f800001
	s_mov_b32 s31, exec_lo
	s_delay_alu instid0(VALU_DEP_2)
	v_cmpx_ne_u32_e32 0x7f, v1
	s_cbranch_execz .LBB360_434
; %bb.433:                              ;   in Loop: Header=BB360_10 Depth=1
	v_dual_lshrrev_b32 v18, 3, v1 :: v_dual_bitop2_b32 v0, 7, v20 bitop3:0x40
	v_cmp_gt_u32_e64 s3, 8, v1
	s_delay_alu instid0(VALU_DEP_2) | instskip(NEXT) | instid1(VALU_DEP_1)
	v_clz_i32_u32_e32 v0, v0
	v_min_u32_e32 v0, 32, v0
	s_delay_alu instid0(VALU_DEP_1) | instskip(SKIP_1) | instid1(VALU_DEP_1)
	v_subrev_nc_u32_e32 v1, 28, v0
	v_sub_nc_u32_e32 v0, 29, v0
	v_dual_cndmask_b32 v18, v18, v0, s3 :: v_dual_cndmask_b32 v0, 0, v1, s3
	s_delay_alu instid0(VALU_DEP_1) | instskip(NEXT) | instid1(VALU_DEP_2)
	v_lshl_add_u32 v18, v18, 23, 0x3c000000
	v_lshlrev_b64_e32 v[0:1], v0, v[20:21]
	v_lshlrev_b32_e32 v1, 24, v20
	s_delay_alu instid0(VALU_DEP_1) | instskip(NEXT) | instid1(VALU_DEP_3)
	v_and_b32_e32 v1, 0x80000000, v1
	v_lshlrev_b32_e32 v0, 20, v0
	s_delay_alu instid0(VALU_DEP_1) | instskip(NEXT) | instid1(VALU_DEP_1)
	v_and_b32_e32 v0, 0x700000, v0
	v_or3_b32 v0, v0, v1, v18
.LBB360_434:                            ;   in Loop: Header=BB360_10 Depth=1
	s_or_b32 exec_lo, exec_lo, s31
.LBB360_435:                            ;   in Loop: Header=BB360_10 Depth=1
	s_delay_alu instid0(SALU_CYCLE_1)
	s_or_b32 exec_lo, exec_lo, s30
.LBB360_436:                            ;   in Loop: Header=BB360_10 Depth=1
	s_delay_alu instid0(SALU_CYCLE_1) | instskip(SKIP_3) | instid1(VALU_DEP_2)
	s_or_b32 exec_lo, exec_lo, s29
	v_lshrrev_b16 v18, 8, v20
	v_dual_mov_b32 v84, 0 :: v_dual_mov_b32 v1, 0
	s_mov_b32 s29, exec_lo
	v_cmpx_ne_u16_e32 0, v18
	s_cbranch_execz .LBB360_444
; %bb.437:                              ;   in Loop: Header=BB360_10 Depth=1
	v_bfrev_b32_e32 v1, 1
	s_mov_b32 s30, exec_lo
	v_cmpx_ne_u16_e32 0x80, v18
	s_cbranch_execz .LBB360_443
; %bb.438:                              ;   in Loop: Header=BB360_10 Depth=1
	v_and_b32_e32 v18, 0xffff, v18
	v_mov_b32_e32 v1, 0x7f800001
	s_mov_b32 s31, exec_lo
	s_delay_alu instid0(VALU_DEP_2) | instskip(NEXT) | instid1(VALU_DEP_1)
	v_and_b32_e32 v22, 0x7f, v18
	v_cmpx_ne_u32_e32 0x7f, v22
	s_cbranch_execz .LBB360_442
; %bb.439:                              ;   in Loop: Header=BB360_10 Depth=1
	v_and_b32_e32 v18, 7, v18
	v_lshrrev_b32_e32 v1, 3, v22
	s_mov_b32 s33, exec_lo
	v_cmpx_gt_u32_e32 8, v22
; %bb.440:                              ;   in Loop: Header=BB360_10 Depth=1
	s_delay_alu instid0(VALU_DEP_3) | instskip(NEXT) | instid1(VALU_DEP_1)
	v_clz_i32_u32_e32 v1, v18
	v_min_u32_e32 v1, 32, v1
	s_delay_alu instid0(VALU_DEP_1) | instskip(NEXT) | instid1(VALU_DEP_1)
	v_subrev_nc_u32_e32 v22, 28, v1
	v_lshlrev_b64_e32 v[22:23], v22, v[18:19]
	s_delay_alu instid0(VALU_DEP_1)
	v_dual_sub_nc_u32 v1, 29, v1 :: v_dual_bitop2_b32 v18, 7, v22 bitop3:0x40
; %bb.441:                              ;   in Loop: Header=BB360_10 Depth=1
	s_or_b32 exec_lo, exec_lo, s33
	s_delay_alu instid0(VALU_DEP_1) | instskip(NEXT) | instid1(VALU_DEP_2)
	v_dual_lshlrev_b32 v22, 16, v20 :: v_dual_lshlrev_b32 v18, 20, v18
	v_lshl_add_u32 v1, v1, 23, 0x3c000000
	s_delay_alu instid0(VALU_DEP_2) | instskip(NEXT) | instid1(VALU_DEP_1)
	v_and_b32_e32 v22, 0x80000000, v22
	v_or3_b32 v1, v18, v22, v1
.LBB360_442:                            ;   in Loop: Header=BB360_10 Depth=1
	s_or_b32 exec_lo, exec_lo, s31
.LBB360_443:                            ;   in Loop: Header=BB360_10 Depth=1
	s_delay_alu instid0(SALU_CYCLE_1)
	s_or_b32 exec_lo, exec_lo, s30
.LBB360_444:                            ;   in Loop: Header=BB360_10 Depth=1
	s_delay_alu instid0(SALU_CYCLE_1) | instskip(SKIP_2) | instid1(VALU_DEP_1)
	s_or_b32 exec_lo, exec_lo, s29
	v_lshrrev_b32_e32 v22, 16, v20
	s_mov_b32 s29, exec_lo
	v_and_b32_e32 v18, 0xff, v22
	s_delay_alu instid0(VALU_DEP_1)
	v_cmpx_ne_u16_e32 0, v18
	s_cbranch_execz .LBB360_452
; %bb.445:                              ;   in Loop: Header=BB360_10 Depth=1
	v_bfrev_b32_e32 v84, 1
	s_mov_b32 s30, exec_lo
	v_cmpx_ne_u16_e32 0x80, v18
	s_cbranch_execz .LBB360_451
; %bb.446:                              ;   in Loop: Header=BB360_10 Depth=1
	v_bfe_u32 v24, v20, 16, 7
	v_mov_b32_e32 v84, 0x7f800001
	s_mov_b32 s31, exec_lo
	s_delay_alu instid0(VALU_DEP_2)
	v_cmpx_ne_u32_e32 0x7f, v24
	s_cbranch_execz .LBB360_450
; %bb.447:                              ;   in Loop: Header=BB360_10 Depth=1
	v_dual_lshrrev_b32 v23, 3, v24 :: v_dual_bitop2_b32 v18, 7, v22 bitop3:0x40
	s_mov_b32 s33, exec_lo
	v_cmpx_gt_u32_e32 8, v24
; %bb.448:                              ;   in Loop: Header=BB360_10 Depth=1
	s_delay_alu instid0(VALU_DEP_2) | instskip(NEXT) | instid1(VALU_DEP_1)
	v_clz_i32_u32_e32 v23, v18
	v_min_u32_e32 v23, 32, v23
	s_delay_alu instid0(VALU_DEP_1) | instskip(NEXT) | instid1(VALU_DEP_1)
	v_subrev_nc_u32_e32 v24, 28, v23
	v_lshlrev_b64_e32 v[24:25], v24, v[18:19]
	s_delay_alu instid0(VALU_DEP_1)
	v_dual_sub_nc_u32 v23, 29, v23 :: v_dual_bitop2_b32 v18, 7, v24 bitop3:0x40
; %bb.449:                              ;   in Loop: Header=BB360_10 Depth=1
	s_or_b32 exec_lo, exec_lo, s33
	v_lshlrev_b32_e32 v22, 24, v22
	s_delay_alu instid0(VALU_DEP_2) | instskip(NEXT) | instid1(VALU_DEP_3)
	v_lshlrev_b32_e32 v18, 20, v18
	v_lshl_add_u32 v23, v23, 23, 0x3c000000
	s_delay_alu instid0(VALU_DEP_3) | instskip(NEXT) | instid1(VALU_DEP_1)
	v_and_b32_e32 v22, 0x80000000, v22
	v_or3_b32 v84, v18, v22, v23
.LBB360_450:                            ;   in Loop: Header=BB360_10 Depth=1
	s_or_b32 exec_lo, exec_lo, s31
.LBB360_451:                            ;   in Loop: Header=BB360_10 Depth=1
	s_delay_alu instid0(SALU_CYCLE_1)
	s_or_b32 exec_lo, exec_lo, s30
.LBB360_452:                            ;   in Loop: Header=BB360_10 Depth=1
	s_delay_alu instid0(SALU_CYCLE_1)
	s_or_b32 exec_lo, exec_lo, s29
	v_dual_mov_b32 v22, 0 :: v_dual_mov_b32 v85, 0
	s_mov_b32 s29, exec_lo
	v_cmpx_lt_u32_e32 0xffffff, v20
	s_cbranch_execz .LBB360_460
; %bb.453:                              ;   in Loop: Header=BB360_10 Depth=1
	v_lshrrev_b32_e32 v23, 24, v20
	v_bfrev_b32_e32 v85, 1
	s_mov_b32 s30, exec_lo
	s_delay_alu instid0(VALU_DEP_2)
	v_cmpx_ne_u32_e32 0x80, v23
	s_cbranch_execz .LBB360_459
; %bb.454:                              ;   in Loop: Header=BB360_10 Depth=1
	v_bfe_u32 v25, v20, 24, 7
	v_mov_b32_e32 v85, 0x7f800001
	s_mov_b32 s31, exec_lo
	s_delay_alu instid0(VALU_DEP_2)
	v_cmpx_ne_u32_e32 0x7f, v25
	s_cbranch_execz .LBB360_458
; %bb.455:                              ;   in Loop: Header=BB360_10 Depth=1
	v_dual_lshrrev_b32 v24, 3, v25 :: v_dual_bitop2_b32 v18, 7, v23 bitop3:0x40
	s_mov_b32 s33, exec_lo
	v_cmpx_gt_u32_e32 8, v25
; %bb.456:                              ;   in Loop: Header=BB360_10 Depth=1
	s_delay_alu instid0(VALU_DEP_2) | instskip(NEXT) | instid1(VALU_DEP_1)
	v_clz_i32_u32_e32 v24, v18
	v_min_u32_e32 v24, 32, v24
	s_delay_alu instid0(VALU_DEP_1) | instskip(NEXT) | instid1(VALU_DEP_1)
	v_subrev_nc_u32_e32 v25, 28, v24
	v_lshlrev_b64_e32 v[26:27], v25, v[18:19]
	s_delay_alu instid0(VALU_DEP_1)
	v_dual_sub_nc_u32 v24, 29, v24 :: v_dual_bitop2_b32 v18, 7, v26 bitop3:0x40
; %bb.457:                              ;   in Loop: Header=BB360_10 Depth=1
	s_or_b32 exec_lo, exec_lo, s33
	s_delay_alu instid0(VALU_DEP_1) | instskip(NEXT) | instid1(VALU_DEP_2)
	v_dual_lshlrev_b32 v23, 24, v23 :: v_dual_lshlrev_b32 v18, 20, v18
	v_lshl_add_u32 v24, v24, 23, 0x3c000000
	s_delay_alu instid0(VALU_DEP_2) | instskip(NEXT) | instid1(VALU_DEP_1)
	v_and_b32_e32 v23, 0x80000000, v23
	v_or3_b32 v85, v18, v23, v24
.LBB360_458:                            ;   in Loop: Header=BB360_10 Depth=1
	s_or_b32 exec_lo, exec_lo, s31
.LBB360_459:                            ;   in Loop: Header=BB360_10 Depth=1
	s_delay_alu instid0(SALU_CYCLE_1)
	s_or_b32 exec_lo, exec_lo, s30
.LBB360_460:                            ;   in Loop: Header=BB360_10 Depth=1
	s_delay_alu instid0(SALU_CYCLE_1) | instskip(SKIP_3) | instid1(VALU_DEP_2)
	s_or_b32 exec_lo, exec_lo, s29
	v_and_b32_e32 v23, 0xff, v21
	v_mov_b32_e32 v18, v21
	s_mov_b32 s29, exec_lo
	v_cmpx_ne_u16_e32 0, v23
	s_cbranch_execz .LBB360_466
; %bb.461:                              ;   in Loop: Header=BB360_10 Depth=1
	v_bfrev_b32_e32 v22, 1
	s_mov_b32 s30, exec_lo
	v_cmpx_ne_u16_e32 0x80, v23
	s_cbranch_execz .LBB360_465
; %bb.462:                              ;   in Loop: Header=BB360_10 Depth=1
	v_and_b32_e32 v23, 0x7f, v21
	v_mov_b32_e32 v22, 0x7f800001
	s_mov_b32 s31, exec_lo
	s_delay_alu instid0(VALU_DEP_2)
	v_cmpx_ne_u32_e32 0x7f, v23
	s_cbranch_execz .LBB360_464
; %bb.463:                              ;   in Loop: Header=BB360_10 Depth=1
	v_dual_lshrrev_b32 v24, 3, v23 :: v_dual_bitop2_b32 v22, 7, v21 bitop3:0x40
	v_cmp_gt_u32_e64 s3, 8, v23
	s_delay_alu instid0(VALU_DEP_2) | instskip(NEXT) | instid1(VALU_DEP_1)
	v_clz_i32_u32_e32 v22, v22
	v_min_u32_e32 v22, 32, v22
	s_delay_alu instid0(VALU_DEP_1) | instskip(SKIP_1) | instid1(VALU_DEP_1)
	v_subrev_nc_u32_e32 v23, 28, v22
	v_sub_nc_u32_e32 v22, 29, v22
	v_dual_cndmask_b32 v24, v24, v22, s3 :: v_dual_cndmask_b32 v22, 0, v23, s3
	s_delay_alu instid0(VALU_DEP_1) | instskip(NEXT) | instid1(VALU_DEP_2)
	v_lshl_add_u32 v24, v24, 23, 0x3c000000
	v_lshlrev_b64_e32 v[22:23], v22, v[18:19]
	v_lshlrev_b32_e32 v23, 24, v18
	s_delay_alu instid0(VALU_DEP_1) | instskip(NEXT) | instid1(VALU_DEP_3)
	v_and_b32_e32 v23, 0x80000000, v23
	v_lshlrev_b32_e32 v22, 20, v22
	s_delay_alu instid0(VALU_DEP_1) | instskip(NEXT) | instid1(VALU_DEP_1)
	v_and_b32_e32 v22, 0x700000, v22
	v_or3_b32 v22, v22, v23, v24
.LBB360_464:                            ;   in Loop: Header=BB360_10 Depth=1
	s_or_b32 exec_lo, exec_lo, s31
.LBB360_465:                            ;   in Loop: Header=BB360_10 Depth=1
	s_delay_alu instid0(SALU_CYCLE_1)
	s_or_b32 exec_lo, exec_lo, s30
.LBB360_466:                            ;   in Loop: Header=BB360_10 Depth=1
	s_delay_alu instid0(SALU_CYCLE_1) | instskip(SKIP_3) | instid1(VALU_DEP_2)
	s_or_b32 exec_lo, exec_lo, s29
	v_lshrrev_b16 v25, 8, v18
	v_dual_mov_b32 v24, 0 :: v_dual_mov_b32 v23, 0
	s_mov_b32 s29, exec_lo
	v_cmpx_ne_u16_e32 0, v25
	s_cbranch_execz .LBB360_474
; %bb.467:                              ;   in Loop: Header=BB360_10 Depth=1
	v_bfrev_b32_e32 v23, 1
	s_mov_b32 s30, exec_lo
	v_cmpx_ne_u16_e32 0x80, v25
	s_cbranch_execz .LBB360_473
; %bb.468:                              ;   in Loop: Header=BB360_10 Depth=1
	v_and_b32_e32 v26, 0xffff, v25
	v_mov_b32_e32 v23, 0x7f800001
	s_mov_b32 s31, exec_lo
	s_delay_alu instid0(VALU_DEP_2) | instskip(NEXT) | instid1(VALU_DEP_1)
	v_and_b32_e32 v25, 0x7f, v26
	v_cmpx_ne_u32_e32 0x7f, v25
	s_cbranch_execz .LBB360_472
; %bb.469:                              ;   in Loop: Header=BB360_10 Depth=1
	v_dual_mov_b32 v27, v19 :: v_dual_bitop2_b32 v26, 7, v26 bitop3:0x40
	v_lshrrev_b32_e32 v23, 3, v25
	s_mov_b32 s33, exec_lo
	v_cmpx_gt_u32_e32 8, v25
; %bb.470:                              ;   in Loop: Header=BB360_10 Depth=1
	s_delay_alu instid0(VALU_DEP_3) | instskip(NEXT) | instid1(VALU_DEP_1)
	v_clz_i32_u32_e32 v23, v26
	v_min_u32_e32 v23, 32, v23
	s_delay_alu instid0(VALU_DEP_1) | instskip(NEXT) | instid1(VALU_DEP_1)
	v_subrev_nc_u32_e32 v25, 28, v23
	v_lshlrev_b64_e32 v[26:27], v25, v[26:27]
	s_delay_alu instid0(VALU_DEP_1)
	v_dual_sub_nc_u32 v23, 29, v23 :: v_dual_bitop2_b32 v26, 7, v26 bitop3:0x40
; %bb.471:                              ;   in Loop: Header=BB360_10 Depth=1
	s_or_b32 exec_lo, exec_lo, s33
	v_lshlrev_b32_e32 v18, 16, v18
	s_delay_alu instid0(VALU_DEP_2) | instskip(NEXT) | instid1(VALU_DEP_3)
	v_lshlrev_b32_e32 v25, 20, v26
	v_lshl_add_u32 v23, v23, 23, 0x3c000000
	s_delay_alu instid0(VALU_DEP_3) | instskip(NEXT) | instid1(VALU_DEP_1)
	v_and_b32_e32 v18, 0x80000000, v18
	v_or3_b32 v23, v25, v18, v23
.LBB360_472:                            ;   in Loop: Header=BB360_10 Depth=1
	s_or_b32 exec_lo, exec_lo, s31
.LBB360_473:                            ;   in Loop: Header=BB360_10 Depth=1
	s_delay_alu instid0(SALU_CYCLE_1)
	s_or_b32 exec_lo, exec_lo, s30
.LBB360_474:                            ;   in Loop: Header=BB360_10 Depth=1
	s_delay_alu instid0(SALU_CYCLE_1) | instskip(SKIP_2) | instid1(VALU_DEP_1)
	s_or_b32 exec_lo, exec_lo, s29
	v_lshrrev_b32_e32 v25, 16, v21
	s_mov_b32 s29, exec_lo
	v_and_b32_e32 v18, 0xff, v25
	s_delay_alu instid0(VALU_DEP_1)
	v_cmpx_ne_u16_e32 0, v18
	s_cbranch_execz .LBB360_482
; %bb.475:                              ;   in Loop: Header=BB360_10 Depth=1
	v_bfrev_b32_e32 v24, 1
	s_mov_b32 s30, exec_lo
	v_cmpx_ne_u16_e32 0x80, v18
	s_cbranch_execz .LBB360_481
; %bb.476:                              ;   in Loop: Header=BB360_10 Depth=1
	v_bfe_u32 v26, v21, 16, 7
	v_mov_b32_e32 v24, 0x7f800001
	s_mov_b32 s31, exec_lo
	s_delay_alu instid0(VALU_DEP_2)
	v_cmpx_ne_u32_e32 0x7f, v26
	s_cbranch_execz .LBB360_480
; %bb.477:                              ;   in Loop: Header=BB360_10 Depth=1
	v_dual_lshrrev_b32 v24, 3, v26 :: v_dual_bitop2_b32 v18, 7, v25 bitop3:0x40
	s_mov_b32 s33, exec_lo
	v_cmpx_gt_u32_e32 8, v26
; %bb.478:                              ;   in Loop: Header=BB360_10 Depth=1
	s_delay_alu instid0(VALU_DEP_2) | instskip(NEXT) | instid1(VALU_DEP_1)
	v_clz_i32_u32_e32 v24, v18
	v_min_u32_e32 v24, 32, v24
	s_delay_alu instid0(VALU_DEP_1) | instskip(NEXT) | instid1(VALU_DEP_1)
	v_subrev_nc_u32_e32 v26, 28, v24
	v_lshlrev_b64_e32 v[26:27], v26, v[18:19]
	s_delay_alu instid0(VALU_DEP_1)
	v_dual_sub_nc_u32 v24, 29, v24 :: v_dual_bitop2_b32 v18, 7, v26 bitop3:0x40
; %bb.479:                              ;   in Loop: Header=BB360_10 Depth=1
	s_or_b32 exec_lo, exec_lo, s33
	s_delay_alu instid0(VALU_DEP_1) | instskip(NEXT) | instid1(VALU_DEP_2)
	v_dual_lshlrev_b32 v25, 24, v25 :: v_dual_lshlrev_b32 v18, 20, v18
	v_lshl_add_u32 v24, v24, 23, 0x3c000000
	s_delay_alu instid0(VALU_DEP_2) | instskip(NEXT) | instid1(VALU_DEP_1)
	v_and_b32_e32 v25, 0x80000000, v25
	v_or3_b32 v24, v18, v25, v24
.LBB360_480:                            ;   in Loop: Header=BB360_10 Depth=1
	s_or_b32 exec_lo, exec_lo, s31
.LBB360_481:                            ;   in Loop: Header=BB360_10 Depth=1
	s_delay_alu instid0(SALU_CYCLE_1)
	s_or_b32 exec_lo, exec_lo, s30
.LBB360_482:                            ;   in Loop: Header=BB360_10 Depth=1
	s_delay_alu instid0(SALU_CYCLE_1)
	s_or_b32 exec_lo, exec_lo, s29
	v_mov_b32_e32 v25, 0
	s_mov_b32 s29, exec_lo
	v_cmpx_lt_u64_e64 s[20:21], v[20:21]
	s_cbranch_execz .LBB360_9
; %bb.483:                              ;   in Loop: Header=BB360_10 Depth=1
	v_lshrrev_b32_e32 v20, 24, v21
	v_bfrev_b32_e32 v25, 1
	s_mov_b32 s30, exec_lo
	s_delay_alu instid0(VALU_DEP_2)
	v_cmpx_ne_u32_e32 0x80, v20
	s_cbranch_execz .LBB360_8
; %bb.484:                              ;   in Loop: Header=BB360_10 Depth=1
	v_bfe_u32 v26, v21, 24, 7
	v_mov_b32_e32 v25, 0x7f800001
	s_mov_b32 s31, exec_lo
	s_delay_alu instid0(VALU_DEP_2)
	v_cmpx_ne_u32_e32 0x7f, v26
	s_cbranch_execz .LBB360_7
; %bb.485:                              ;   in Loop: Header=BB360_10 Depth=1
	v_dual_lshrrev_b32 v21, 3, v26 :: v_dual_bitop2_b32 v18, 7, v20 bitop3:0x40
	s_mov_b32 s33, exec_lo
	v_cmpx_gt_u32_e32 8, v26
	s_cbranch_execz .LBB360_6
; %bb.486:                              ;   in Loop: Header=BB360_10 Depth=1
	s_delay_alu instid0(VALU_DEP_2) | instskip(NEXT) | instid1(VALU_DEP_1)
	v_clz_i32_u32_e32 v21, v18
	v_min_u32_e32 v21, 32, v21
	s_delay_alu instid0(VALU_DEP_1) | instskip(NEXT) | instid1(VALU_DEP_1)
	v_subrev_nc_u32_e32 v25, 28, v21
	v_lshlrev_b64_e32 v[26:27], v25, v[18:19]
	s_delay_alu instid0(VALU_DEP_1)
	v_dual_sub_nc_u32 v21, 29, v21 :: v_dual_bitop2_b32 v18, 7, v26 bitop3:0x40
	s_branch .LBB360_6
.LBB360_487:
	s_or_b32 exec_lo, exec_lo, s11
	s_clause 0x4
	scratch_load_b32 v24, off, off offset:56
	scratch_load_b32 v33, off, off offset:60
	;; [unrolled: 1-line block ×5, first 2 shown]
.LBB360_488:
	s_wait_xcnt 0x0
	s_or_b32 exec_lo, exec_lo, s26
	v_mbcnt_lo_u32_b32 v3, -1, 0
	s_clause 0x1
	s_load_b64 s[4:5], s[0:1], 0x0
	s_load_b64 s[18:19], s[0:1], 0x18
	s_delay_alu instid0(VALU_DEP_1) | instskip(SKIP_1) | instid1(VALU_DEP_2)
	v_dual_max_num_f32 v4, v28, v28 :: v_dual_bitop2_b32 v0, 16, v3 bitop3:0x14
	v_xor_b32_e32 v2, 8, v3
	v_cmp_gt_i32_e32 vcc_lo, 32, v0
	v_cndmask_b32_e32 v0, v3, v0, vcc_lo
	s_delay_alu instid0(VALU_DEP_3) | instskip(NEXT) | instid1(VALU_DEP_2)
	v_cmp_gt_i32_e32 vcc_lo, 32, v2
	v_dual_lshlrev_b32 v0, 2, v0 :: v_dual_cndmask_b32 v2, v3, v2, vcc_lo
	ds_bpermute_b32 v1, v0, v28
	s_wait_dscnt 0x0
	v_dual_max_num_f32 v5, v1, v1 :: v_dual_lshlrev_b32 v1, 2, v2
	s_delay_alu instid0(VALU_DEP_1) | instskip(SKIP_4) | instid1(VALU_DEP_1)
	v_dual_max_num_f32 v4, v4, v5 :: v_dual_bitop2_b32 v5, 4, v3 bitop3:0x14
	ds_bpermute_b32 v2, v1, v4
	v_cmp_gt_i32_e32 vcc_lo, 32, v5
	s_wait_dscnt 0x0
	v_dual_cndmask_b32 v5, v3, v5 :: v_dual_max_num_f32 v6, v2, v2
	v_dual_lshlrev_b32 v2, 2, v5 :: v_dual_max_num_f32 v4, v4, v6
	ds_bpermute_b32 v5, v2, v4
	s_wait_dscnt 0x0
	v_dual_max_num_f32 v5, v5, v5 :: v_dual_bitop2_b32 v6, 2, v3 bitop3:0x14
	s_delay_alu instid0(VALU_DEP_1) | instskip(NEXT) | instid1(VALU_DEP_2)
	v_cmp_gt_i32_e32 vcc_lo, 32, v6
	v_dual_max_num_f32 v4, v4, v5 :: v_dual_cndmask_b32 v6, v3, v6, vcc_lo
	s_delay_alu instid0(VALU_DEP_1)
	v_dual_lshlrev_b32 v29, 2, v6 :: v_dual_bitop2_b32 v6, 1, v3 bitop3:0x14
	ds_bpermute_b32 v5, v29, v4
	v_cmp_gt_i32_e32 vcc_lo, 32, v6
	v_cndmask_b32_e32 v3, v3, v6, vcc_lo
	s_wait_loadcnt 0x2
	v_cmp_eq_u32_e32 vcc_lo, 0, v106
	s_delay_alu instid0(VALU_DEP_2) | instskip(SKIP_2) | instid1(VALU_DEP_1)
	v_dual_lshlrev_b32 v28, 2, v3 :: v_dual_lshlrev_b32 v3, 2, v33
	s_wait_dscnt 0x0
	v_max_num_f32_e32 v5, v5, v5
	v_max_num_f32_e32 v4, v4, v5
	ds_bpermute_b32 v5, v28, v4
	s_wait_xcnt 0x0
	s_and_saveexec_b32 s0, vcc_lo
	s_cbranch_execz .LBB360_490
; %bb.489:
	s_wait_dscnt 0x0
	v_dual_max_num_f32 v5, v5, v5 :: v_dual_max_num_f32 v4, v4, v4
	s_delay_alu instid0(VALU_DEP_1)
	v_max_num_f32_e32 v4, v4, v5
	ds_store_b32 v3, v4 offset:128
.LBB360_490:
	s_or_b32 exec_lo, exec_lo, s0
	v_cmp_gt_u32_e64 s0, 4, v106
	v_mov_b32_e32 v4, 0xff7fffff
	s_wait_storecnt 0x0
	s_wait_loadcnt_dscnt 0x0
	s_barrier_signal -1
	s_barrier_wait -1
	s_and_saveexec_b32 s1, s0
; %bb.491:
	ds_load_b32 v4, v18 offset:128
; %bb.492:
	s_or_b32 exec_lo, exec_lo, s1
	s_wait_dscnt 0x0
	ds_bpermute_b32 v5, v29, v4
	v_max_num_f32_e32 v4, v4, v4
	s_lshl_b32 s1, s13, 5
	s_delay_alu instid0(SALU_CYCLE_1) | instskip(NEXT) | instid1(SALU_CYCLE_1)
	s_min_i32 s11, s1, s25
	v_cmp_gt_i32_e64 s1, s11, v24
	s_wait_dscnt 0x0
	v_max_num_f32_e32 v5, v5, v5
	s_delay_alu instid0(VALU_DEP_1) | instskip(SKIP_3) | instid1(VALU_DEP_1)
	v_max_num_f32_e32 v4, v4, v5
	ds_bpermute_b32 v5, v28, v4
	s_wait_dscnt 0x0
	v_max_num_f32_e32 v5, v5, v5
	v_dual_max_num_f32 v5, v4, v5 :: v_dual_mov_b32 v4, 0
	ds_bpermute_b32 v5, v4, v5
	s_and_saveexec_b32 s20, s1
	s_cbranch_execz .LBB360_496
; %bb.493:
	v_lshl_add_u32 v6, v24, 2, 0xa0
	v_dual_mov_b32 v4, 0 :: v_dual_mov_b32 v7, v24
	s_mov_b32 s21, 0
.LBB360_494:                            ; =>This Inner Loop Header: Depth=1
	ds_load_b32 v8, v6
	v_add_nc_u32_e32 v7, 0x80, v7
	s_delay_alu instid0(VALU_DEP_1) | instskip(SKIP_3) | instid1(VALU_DEP_1)
	v_cmp_le_i32_e64 s3, s11, v7
	s_or_b32 s21, s3, s21
	s_wait_dscnt 0x0
	v_sub_f32_e32 v8, v8, v5
	v_mul_f32_e32 v8, 0x3fb8aa3b, v8
	s_delay_alu instid0(VALU_DEP_1)
	v_exp_f32_e32 v8, v8
	ds_store_b32 v6, v8
	v_nop
	v_add_f32_e32 v4, v4, v8
	v_add_nc_u32_e32 v6, 0x200, v6
	s_and_not1_b32 exec_lo, exec_lo, s21
	s_cbranch_execnz .LBB360_494
; %bb.495:
	s_or_b32 exec_lo, exec_lo, s21
.LBB360_496:
	s_delay_alu instid0(SALU_CYCLE_1)
	s_or_b32 exec_lo, exec_lo, s20
	ds_bpermute_b32 v0, v0, v4
	s_wait_dscnt 0x0
	v_add_f32_e32 v0, v4, v0
	ds_bpermute_b32 v1, v1, v0
	s_wait_dscnt 0x0
	v_add_f32_e32 v0, v0, v1
	;; [unrolled: 3-line block ×5, first 2 shown]
	s_and_saveexec_b32 s3, vcc_lo
; %bb.497:
	ds_store_b32 v3, v0 offset:144
; %bb.498:
	s_or_b32 exec_lo, exec_lo, s3
	s_wait_dscnt 0x0
	s_barrier_signal -1
	s_barrier_wait -1
	s_and_saveexec_b32 s3, s0
; %bb.499:
	ds_load_b32 v0, v18 offset:144
; %bb.500:
	s_or_b32 exec_lo, exec_lo, s3
	s_wait_dscnt 0x0
	ds_bpermute_b32 v1, v29, v0
	s_wait_dscnt 0x0
	v_dual_mov_b32 v11, 0 :: v_dual_add_f32 v0, v0, v1
	ds_bpermute_b32 v1, v28, v0
	s_wait_dscnt 0x0
	v_add_f32_e32 v0, v0, v1
	ds_bpermute_b32 v0, v11, v0
	s_and_saveexec_b32 s0, s1
	s_cbranch_execz .LBB360_513
; %bb.501:
	s_wait_dscnt 0x0
	v_add_f32_e32 v0, 0x358637bd, v0
	s_mov_b32 s3, -1
	s_mov_b32 s1, exec_lo
	s_delay_alu instid0(VALU_DEP_1) | instskip(NEXT) | instid1(VALU_DEP_1)
	v_div_scale_f32 v1, null, v0, v0, 1.0
	v_rcp_f32_e32 v3, v1
	v_nop
	s_delay_alu instid0(TRANS32_DEP_1) | instskip(NEXT) | instid1(VALU_DEP_1)
	v_fma_f32 v2, -v1, v3, 1.0
	v_fmac_f32_e32 v3, v2, v3
	v_div_scale_f32 v4, vcc_lo, 1.0, v0, 1.0
	s_delay_alu instid0(VALU_DEP_1) | instskip(NEXT) | instid1(VALU_DEP_1)
	v_mul_f32_e32 v5, v4, v3
	v_fma_f32 v2, -v1, v5, v4
	s_delay_alu instid0(VALU_DEP_1) | instskip(SKIP_1) | instid1(VALU_DEP_2)
	v_fmac_f32_e32 v5, v2, v3
	v_xad_u32 v2, v24, -1, s11
	v_fma_f32 v1, -v1, v5, v4
	s_delay_alu instid0(VALU_DEP_1) | instskip(NEXT) | instid1(VALU_DEP_1)
	v_div_fmas_f32 v1, v1, v3, v5
	v_div_fixup_f32 v0, v1, v0, 1.0
	v_mov_b32_e32 v1, v24
	v_cmpx_lt_u32_e32 0x7f, v2
	s_cbranch_execz .LBB360_510
; %bb.502:
	s_delay_alu instid0(VALU_DEP_3) | instskip(NEXT) | instid1(VALU_DEP_1)
	v_dual_mov_b32 v1, v0 :: v_dual_lshrrev_b32 v2, 7, v2
	v_dual_mov_b32 v6, 0 :: v_dual_add_nc_u32 v3, -1, v2
	s_delay_alu instid0(VALU_DEP_1) | instskip(SKIP_1) | instid1(VALU_DEP_2)
	v_lshrrev_b32_e32 v4, 1, v3
	v_cmp_lt_u32_e32 vcc_lo, 13, v3
	v_add_nc_u32_e32 v3, 1, v4
	s_and_saveexec_b32 s3, vcc_lo
	s_cbranch_execz .LBB360_506
; %bb.503:
	s_delay_alu instid0(VALU_DEP_1)
	v_and_b32_e32 v4, -8, v3
	v_lshl_add_u32 v5, v24, 2, 0xa0
	s_mov_b32 s20, 0
	s_mov_b32 s21, 0
.LBB360_504:                            ; =>This Inner Loop Header: Depth=1
	ds_load_2addr_stride64_b32 v[6:7], v5 offset1:2
	ds_load_2addr_stride64_b32 v[8:9], v5 offset0:4 offset1:6
	ds_load_2addr_stride64_b32 v[12:13], v5 offset0:8 offset1:10
	;; [unrolled: 1-line block ×7, first 2 shown]
	s_add_co_i32 s21, s21, 16
	v_add_nc_u32_e32 v4, -8, v4
	s_wait_dscnt 0x7
	v_pk_mul_f32 v[6:7], v[0:1], v[6:7]
	s_wait_dscnt 0x6
	v_pk_mul_f32 v[8:9], v[0:1], v[8:9]
	;; [unrolled: 2-line block ×8, first 2 shown]
	ds_store_2addr_stride64_b32 v5, v6, v7 offset1:2
	ds_store_2addr_stride64_b32 v5, v8, v9 offset0:4 offset1:6
	ds_store_2addr_stride64_b32 v5, v12, v13 offset0:8 offset1:10
	;; [unrolled: 1-line block ×7, first 2 shown]
	v_mov_b32_e32 v6, s21
	v_cmp_eq_u32_e32 vcc_lo, 0, v4
	v_add_nc_u32_e32 v5, 0x2000, v5
	s_or_b32 s20, vcc_lo, s20
	s_delay_alu instid0(SALU_CYCLE_1)
	s_and_not1_b32 exec_lo, exec_lo, s20
	s_cbranch_execnz .LBB360_504
; %bb.505:
	s_or_b32 exec_lo, exec_lo, s20
.LBB360_506:
	s_delay_alu instid0(SALU_CYCLE_1) | instskip(NEXT) | instid1(VALU_DEP_1)
	s_or_b32 exec_lo, exec_lo, s3
	v_and_b32_e32 v3, 7, v3
	s_mov_b32 s20, 0
	s_mov_b32 s3, exec_lo
	s_delay_alu instid0(VALU_DEP_1)
	v_cmpx_ne_u32_e32 0, v3
	s_cbranch_execz .LBB360_509
; %bb.507:
	v_dual_lshlrev_b32 v4, 9, v6 :: v_dual_lshlrev_b32 v5, 2, v24
	s_delay_alu instid0(VALU_DEP_1)
	v_add3_u32 v4, v4, v5, 0xa0
.LBB360_508:                            ; =>This Inner Loop Header: Depth=1
	ds_load_2addr_stride64_b32 v[6:7], v4 offset1:2
	v_add_nc_u32_e32 v3, -1, v3
	s_delay_alu instid0(VALU_DEP_1)
	v_cmp_eq_u32_e32 vcc_lo, 0, v3
	s_or_b32 s20, vcc_lo, s20
	s_wait_dscnt 0x0
	v_pk_mul_f32 v[6:7], v[0:1], v[6:7]
	ds_store_2addr_stride64_b32 v4, v6, v7 offset1:2
	v_add_nc_u32_e32 v4, 0x400, v4
	s_and_not1_b32 exec_lo, exec_lo, s20
	s_cbranch_execnz .LBB360_508
.LBB360_509:
	s_or_b32 exec_lo, exec_lo, s3
	v_add_nc_u32_e32 v1, 1, v2
	s_delay_alu instid0(VALU_DEP_1) | instskip(NEXT) | instid1(VALU_DEP_1)
	v_and_b32_e32 v2, 0x3fffffe, v1
	v_cmp_ne_u32_e32 vcc_lo, v1, v2
	v_lshl_add_u32 v1, v2, 7, v24
	s_or_not1_b32 s3, vcc_lo, exec_lo
.LBB360_510:
	s_or_b32 exec_lo, exec_lo, s1
	s_delay_alu instid0(SALU_CYCLE_1)
	s_and_b32 exec_lo, exec_lo, s3
	s_cbranch_execz .LBB360_513
; %bb.511:
	v_lshl_add_u32 v2, v1, 2, 0xa0
	s_mov_b32 s1, 0
.LBB360_512:                            ; =>This Inner Loop Header: Depth=1
	ds_load_b32 v3, v2
	v_add_nc_u32_e32 v1, 0x80, v1
	s_delay_alu instid0(VALU_DEP_1)
	v_cmp_le_i32_e32 vcc_lo, s11, v1
	s_or_b32 s1, vcc_lo, s1
	s_wait_dscnt 0x0
	v_mul_f32_e32 v3, v0, v3
	ds_store_b32 v2, v3
	v_add_nc_u32_e32 v2, 0x200, v2
	s_and_not1_b32 exec_lo, exec_lo, s1
	s_cbranch_execnz .LBB360_512
.LBB360_513:
	s_or_b32 exec_lo, exec_lo, s0
	v_dual_mov_b32 v10, 0 :: v_dual_bitop2_b32 v30, 3, v24 bitop3:0x40
	v_dual_mov_b32 v13, 0 :: v_dual_mov_b32 v12, 0
	v_dual_mov_b32 v15, 0 :: v_dual_mov_b32 v14, 0
	v_dual_mov_b32 v17, 0 :: v_dual_mov_b32 v16, 0
	s_wait_dscnt 0x0
	s_barrier_signal -1
	s_barrier_wait -1
	s_and_saveexec_b32 s1, s2
	s_cbranch_execz .LBB360_1013
; %bb.514:
	v_dual_mov_b32 v104, v24 :: v_dual_lshlrev_b32 v0, 3, v24
	s_load_b32 s6, s[6:7], 0x0
	v_dual_mov_b32 v19, 0 :: v_dual_lshlrev_b32 v1, 5, v30
	s_ashr_i32 s11, s10, 31
	s_delay_alu instid0(VALU_DEP_2)
	v_and_b32_e32 v18, 0xf8, v0
	s_wait_kmcnt 0x0
	s_add_nc_u64 s[2:3], s[18:19], s[10:11]
	v_dual_lshlrev_b32 v2, 5, v33 :: v_dual_bitop2_b32 v0, 24, v0 bitop3:0x40
	v_lshl_or_b32 v1, v33, 7, v1
	v_add_nc_u64_e32 v[20:21], s[2:3], v[18:19]
	v_and_b32_e32 v18, 0x7c, v68
	s_lshl_b64 s[2:3], s[16:17], 2
	v_or3_b32 v31, v2, v0, 7
	s_add_nc_u64 s[2:3], s[14:15], s[2:3]
	v_dual_mov_b32 v11, 0 :: v_dual_add_nc_u32 v32, 0xa0, v1
	v_add_nc_u64_e32 v[22:23], s[2:3], v[18:19]
	v_dual_mov_b32 v10, 0 :: v_dual_mov_b32 v13, 0
	v_dual_mov_b32 v12, 0 :: v_dual_mov_b32 v15, 0
	v_dual_mov_b32 v14, 0 :: v_dual_mov_b32 v17, 0
	v_dual_mov_b32 v16, 0 :: v_dual_mov_b32 v105, v33
	s_mov_b64 s[2:3], 0xffffffffffffff
	s_mov_b32 s7, s9
	s_add_co_i32 s10, s13, -1
	s_mov_b32 s9, 0
	s_branch .LBB360_516
.LBB360_515:                            ;   in Loop: Header=BB360_516 Depth=1
	s_or_b32 exec_lo, exec_lo, s0
	s_wait_dscnt 0x1
	v_cvt_pk_bf16_f32 v6, v6, v7
	v_perm_b32 v42, v93, v94, 0x5040100
	v_cvt_pk_bf16_f32 v7, v8, v9
	v_perm_b32 v8, v91, v92, 0x5040100
	s_wait_dscnt 0x0
	v_cvt_pk_bf16_f32 v2, v2, v3
	v_perm_b32 v3, v89, v90, 0x5040100
	v_pk_mul_bf16 v9, v6, v42
	v_cvt_pk_bf16_f32 v4, v4, v5
	v_pk_mul_bf16 v8, v7, v8
	v_perm_b32 v5, v27, v26, 0x5040100
	v_pk_mul_bf16 v3, v2, v3
	v_lshlrev_b32_e32 v42, 16, v9
	v_and_b32_e32 v9, 0xffff0000, v9
	v_lshlrev_b32_e32 v43, 16, v8
	v_and_b32_e32 v8, 0xffff0000, v8
	v_perm_b32 v27, v87, v88, 0x5040100
	v_pk_mul_bf16 v5, v4, v5
	v_add_f32_e32 v9, v42, v9
	v_perm_b32 v42, v85, v86, 0x5040100
	v_dual_add_f32 v8, v43, v8 :: v_dual_lshlrev_b32 v26, 16, v3
	v_and_b32_e32 v3, 0xffff0000, v3
	v_perm_b32 v45, v82, v81, 0x5040100
	v_perm_b32 v38, v38, v39, 0x5040100
	s_delay_alu instid0(VALU_DEP_4) | instskip(SKIP_4) | instid1(VALU_DEP_4)
	v_add_f32_e32 v8, v8, v9
	v_pk_mul_bf16 v9, v6, v27
	v_dual_add_f32 v3, v26, v3 :: v_dual_lshlrev_b32 v27, 16, v5
	v_pk_mul_bf16 v26, v7, v42
	v_perm_b32 v42, v83, v84, 0x5040100
	v_lshlrev_b32_e32 v43, 16, v9
	v_and_b32_e32 v9, 0xffff0000, v9
	v_and_b32_e32 v5, 0xffff0000, v5
	v_lshlrev_b32_e32 v44, 16, v26
	v_and_b32_e32 v26, 0xffff0000, v26
	v_pk_mul_bf16 v42, v2, v42
	v_add_f32_e32 v9, v43, v9
	v_add_f32_e32 v3, v3, v8
	v_perm_b32 v24, v24, v97, 0x5040100
	v_add_f32_e32 v26, v44, v26
	v_lshlrev_b32_e32 v43, 16, v42
	v_and_b32_e32 v42, 0xffff0000, v42
	v_pk_mul_bf16 v44, v4, v45
	v_add_f32_e32 v5, v27, v5
	v_add_f32_e32 v8, v26, v9
	v_perm_b32 v0, v0, v1, 0x5040100
	s_delay_alu instid0(VALU_DEP_4) | instskip(SKIP_3) | instid1(VALU_DEP_4)
	v_dual_add_f32 v9, v43, v42 :: v_dual_lshlrev_b32 v26, 16, v44
	v_and_b32_e32 v27, 0xffff0000, v44
	v_perm_b32 v42, v69, v70, 0x5040100
	v_perm_b32 v1, v25, v18, 0x5040100
	v_add_f32_e32 v8, v9, v8
	v_perm_b32 v9, v77, v78, 0x5040100
	v_add_f32_e32 v26, v26, v27
	v_add_f32_e32 v3, v5, v3
	v_perm_b32 v5, v79, v80, 0x5040100
	v_add_nc_u64_e32 v[22:23], 16, v[22:23]
	v_add_nc_u32_e32 v32, 0x200, v32
	v_dual_add_f32 v8, v26, v8 :: v_dual_add_nc_u32 v33, 4, v33
	s_delay_alu instid0(VALU_DEP_4) | instskip(SKIP_3) | instid1(VALU_DEP_4)
	v_pk_mul_bf16 v5, v6, v5
	v_add_f32_e32 v10, v10, v3
	v_pk_mul_bf16 v3, v7, v9
	v_perm_b32 v9, v75, v76, 0x5040100
	v_dual_add_f32 v13, v13, v8 :: v_dual_lshlrev_b32 v26, 16, v5
	v_and_b32_e32 v5, 0xffff0000, v5
	s_delay_alu instid0(VALU_DEP_4)
	v_lshlrev_b32_e32 v27, 16, v3
	v_and_b32_e32 v3, 0xffff0000, v3
	v_pk_mul_bf16 v9, v2, v9
	v_perm_b32 v8, v74, v73, 0x5040100
	v_add_f32_e32 v5, v26, v5
	v_cmp_le_i32_e32 vcc_lo, s13, v33
	s_delay_alu instid0(VALU_DEP_4) | instskip(SKIP_3) | instid1(VALU_DEP_4)
	v_dual_add_f32 v3, v27, v3 :: v_dual_lshlrev_b32 v26, 16, v9
	v_and_b32_e32 v9, 0xffff0000, v9
	v_perm_b32 v27, v71, v72, 0x5040100
	v_pk_mul_bf16 v8, v4, v8
	v_add_f32_e32 v3, v3, v5
	v_add_nc_u32_e32 v31, 0x80, v31
	v_add_f32_e32 v5, v26, v9
	v_pk_mul_bf16 v9, v6, v27
	v_pk_mul_bf16 v27, v7, v42
	v_perm_b32 v42, v67, v68, 0x5040100
	v_lshlrev_b32_e32 v26, 16, v8
	v_and_b32_e32 v8, 0xffff0000, v8
	v_lshlrev_b32_e32 v43, 16, v9
	v_and_b32_e32 v9, 0xffff0000, v9
	;; [unrolled: 2-line block ×3, first 2 shown]
	v_pk_mul_bf16 v42, v2, v42
	v_dual_add_f32 v3, v5, v3 :: v_dual_add_f32 v5, v26, v8
	s_delay_alu instid0(VALU_DEP_3) | instskip(NEXT) | instid1(VALU_DEP_3)
	v_dual_add_f32 v8, v43, v9 :: v_dual_add_f32 v9, v44, v27
	v_lshlrev_b32_e32 v26, 16, v42
	v_and_b32_e32 v27, 0xffff0000, v42
	s_delay_alu instid0(VALU_DEP_4)
	v_add_f32_e32 v3, v5, v3
	v_perm_b32 v5, v66, v65, 0x5040100
	v_add_f32_e32 v8, v9, v8
	v_perm_b32 v9, v63, v64, 0x5040100
	v_add_f32_e32 v26, v26, v27
	v_perm_b32 v27, v61, v62, 0x5040100
	v_pk_mul_bf16 v5, v4, v5
	v_add_f32_e32 v12, v12, v3
	v_pk_mul_bf16 v3, v6, v9
	v_add_f32_e32 v8, v26, v8
	v_pk_mul_bf16 v9, v7, v27
	v_lshlrev_b32_e32 v26, 16, v5
	v_perm_b32 v27, v59, v60, 0x5040100
	v_lshlrev_b32_e32 v42, 16, v3
	v_and_b32_e32 v3, 0xffff0000, v3
	v_lshlrev_b32_e32 v43, 16, v9
	v_and_b32_e32 v9, 0xffff0000, v9
	v_pk_mul_bf16 v27, v2, v27
	v_and_b32_e32 v5, 0xffff0000, v5
	v_perm_b32 v44, v58, v57, 0x5040100
	s_delay_alu instid0(VALU_DEP_4) | instskip(NEXT) | instid1(VALU_DEP_4)
	v_dual_add_f32 v3, v42, v3 :: v_dual_add_f32 v9, v43, v9
	v_lshlrev_b32_e32 v42, 16, v27
	v_and_b32_e32 v27, 0xffff0000, v27
	v_add_f32_e32 v5, v26, v5
	v_pk_mul_bf16 v26, v4, v44
	v_add_f32_e32 v3, v9, v3
	v_perm_b32 v9, v55, v56, 0x5040100
	v_add_f32_e32 v27, v42, v27
	v_perm_b32 v42, v53, v54, 0x5040100
	v_lshlrev_b32_e32 v43, 16, v26
	v_and_b32_e32 v26, 0xffff0000, v26
	v_pk_mul_bf16 v9, v6, v9
	v_dual_add_f32 v8, v5, v8 :: v_dual_add_f32 v27, v27, v3
	v_pk_mul_bf16 v5, v7, v42
	s_delay_alu instid0(VALU_DEP_3)
	v_dual_add_f32 v26, v43, v26 :: v_dual_lshlrev_b32 v3, 16, v9
	v_and_b32_e32 v9, 0xffff0000, v9
	v_perm_b32 v43, v49, v50, 0x5040100
	v_perm_b32 v44, v52, v51, 0x5040100
	v_add_f32_e32 v15, v15, v8
	s_or_b32 s9, vcc_lo, s9
	s_delay_alu instid0(VALU_DEP_3)
	v_pk_mul_bf16 v39, v2, v43
	v_add_f32_e32 v3, v3, v9
	v_lshlrev_b32_e32 v42, 16, v5
	v_and_b32_e32 v5, 0xffff0000, v5
	v_perm_b32 v9, v40, v41, 0x5040100
	v_pk_mul_bf16 v40, v4, v44
	s_delay_alu instid0(VALU_DEP_3) | instskip(NEXT) | instid1(VALU_DEP_3)
	v_add_f32_e32 v5, v42, v5
	v_pk_mul_bf16 v9, v6, v9
	s_delay_alu instid0(VALU_DEP_2)
	v_add_f32_e32 v41, v5, v3
	v_pk_mul_bf16 v3, v7, v38
	v_lshlrev_b32_e32 v5, 16, v39
	v_and_b32_e32 v38, 0xffff0000, v39
	v_lshlrev_b32_e32 v39, 16, v9
	v_and_b32_e32 v9, 0xffff0000, v9
	;; [unrolled: 2-line block ×3, first 2 shown]
	v_add_f32_e32 v38, v5, v38
	v_perm_b32 v5, v34, v35, 0x5040100
	v_add_f32_e32 v9, v39, v9
	v_perm_b32 v34, v37, v36, 0x5040100
	v_dual_add_f32 v3, v42, v3 :: v_dual_lshlrev_b32 v35, 16, v40
	s_delay_alu instid0(VALU_DEP_4) | instskip(SKIP_1) | instid1(VALU_DEP_4)
	v_pk_mul_bf16 v5, v2, v5
	v_and_b32_e32 v36, 0xffff0000, v40
	v_pk_mul_bf16 v34, v4, v34
	s_delay_alu instid0(VALU_DEP_4) | instskip(SKIP_2) | instid1(VALU_DEP_4)
	v_add_f32_e32 v9, v3, v9
	v_perm_b32 v3, v96, v95, 0x5040100
	v_and_b32_e32 v18, 0xffff0000, v5
	v_and_b32_e32 v25, 0xffff0000, v34
	s_delay_alu instid0(VALU_DEP_3)
	v_pk_mul_bf16 v3, v6, v3
	v_lshlrev_b32_e32 v37, 16, v5
	v_pk_mul_bf16 v5, v7, v24
	v_pk_mul_bf16 v6, v2, v0
	;; [unrolled: 1-line block ×3, first 2 shown]
	v_and_b32_e32 v1, 0xffff0000, v3
	v_lshlrev_b32_e32 v3, 16, v3
	v_and_b32_e32 v0, 0xffff0000, v5
	v_dual_lshlrev_b32 v2, 16, v5 :: v_dual_lshlrev_b32 v7, 16, v6
	v_and_b32_e32 v5, 0xffff0000, v6
	v_and_b32_e32 v4, 0xffff0000, v24
	v_dual_lshlrev_b32 v6, 16, v24 :: v_dual_add_f32 v18, v37, v18
	s_delay_alu instid0(VALU_DEP_4) | instskip(SKIP_1) | instid1(VALU_DEP_3)
	v_pk_add_f32 v[0:1], v[2:3], v[0:1]
	v_lshlrev_b32_e32 v24, 16, v34
	v_pk_add_f32 v[2:3], v[6:7], v[4:5]
	s_delay_alu instid0(VALU_DEP_3) | instskip(SKIP_2) | instid1(VALU_DEP_3)
	v_dual_add_f32 v4, v35, v36 :: v_dual_add_f32 v0, v0, v1
	v_add_f32_e32 v5, v18, v9
	v_add_f32_e32 v1, v38, v41
	v_dual_add_f32 v6, v24, v25 :: v_dual_add_f32 v0, v3, v0
	s_delay_alu instid0(VALU_DEP_2) | instskip(NEXT) | instid1(VALU_DEP_2)
	v_dual_add_f32 v3, v26, v27 :: v_dual_add_f32 v1, v4, v1
	v_add_f32_e32 v0, v2, v0
	s_delay_alu instid0(VALU_DEP_3) | instskip(NEXT) | instid1(VALU_DEP_3)
	v_add_f32_e32 v4, v6, v5
	v_dual_add_f32 v14, v14, v3 :: v_dual_add_f32 v17, v17, v1
	s_delay_alu instid0(VALU_DEP_3) | instskip(NEXT) | instid1(VALU_DEP_3)
	v_add_f32_e32 v11, v11, v0
	v_add_f32_e32 v16, v16, v4
	s_and_not1_b32 exec_lo, exec_lo, s9
	s_cbranch_execz .LBB360_1012
.LBB360_516:                            ; =>This Inner Loop Header: Depth=1
	global_load_b32 v0, v[22:23], off
	v_mov_b32_e32 v36, 0
	s_mov_b32 s0, exec_lo
	s_wait_loadcnt 0x0
	v_mad_nc_i64_i32 v[24:25], v0, s7, v[20:21]
	global_load_b64 v[0:1], v[24:25], off
	ds_load_2addr_b64 v[6:9], v32 offset1:1
	ds_load_2addr_b64 v[2:5], v32 offset0:2 offset1:3
	s_wait_loadcnt 0x0
	v_and_b32_e32 v18, 0xff, v0
	s_delay_alu instid0(VALU_DEP_1)
	v_cmpx_ne_u16_e32 0, v18
	s_cbranch_execz .LBB360_522
; %bb.517:                              ;   in Loop: Header=BB360_516 Depth=1
	v_bfrev_b32_e32 v36, 1
	s_mov_b32 s11, exec_lo
	v_cmpx_ne_u16_e32 0x80, v18
	s_cbranch_execz .LBB360_521
; %bb.518:                              ;   in Loop: Header=BB360_516 Depth=1
	v_and_b32_e32 v18, 0x7f, v0
	v_mov_b32_e32 v36, 0x7f800001
	s_mov_b32 s14, exec_lo
	s_delay_alu instid0(VALU_DEP_2)
	v_cmpx_ne_u32_e32 0x7f, v18
	s_cbranch_execz .LBB360_520
; %bb.519:                              ;   in Loop: Header=BB360_516 Depth=1
	v_dual_lshrrev_b32 v27, 3, v18 :: v_dual_bitop2_b32 v26, 7, v0 bitop3:0x40
	v_cmp_gt_u32_e32 vcc_lo, 8, v18
	s_delay_alu instid0(VALU_DEP_2) | instskip(NEXT) | instid1(VALU_DEP_1)
	v_clz_i32_u32_e32 v26, v26
	v_min_u32_e32 v26, 32, v26
	s_delay_alu instid0(VALU_DEP_1) | instskip(SKIP_1) | instid1(VALU_DEP_1)
	v_subrev_nc_u32_e32 v34, 28, v26
	v_sub_nc_u32_e32 v26, 29, v26
	v_cndmask_b32_e32 v18, v27, v26, vcc_lo
	s_delay_alu instid0(VALU_DEP_3) | instskip(NEXT) | instid1(VALU_DEP_1)
	v_cndmask_b32_e32 v26, 0, v34, vcc_lo
	v_lshlrev_b64_e32 v[26:27], v26, v[0:1]
	v_lshlrev_b32_e32 v27, 24, v0
	s_delay_alu instid0(VALU_DEP_1) | instskip(NEXT) | instid1(VALU_DEP_3)
	v_and_b32_e32 v27, 0x80000000, v27
	v_lshlrev_b32_e32 v26, 20, v26
	v_lshl_add_u32 v18, v18, 23, 0x3c000000
	s_delay_alu instid0(VALU_DEP_2) | instskip(NEXT) | instid1(VALU_DEP_1)
	v_and_b32_e32 v26, 0x700000, v26
	v_or3_b32 v36, v26, v27, v18
.LBB360_520:                            ;   in Loop: Header=BB360_516 Depth=1
	s_or_b32 exec_lo, exec_lo, s14
.LBB360_521:                            ;   in Loop: Header=BB360_516 Depth=1
	s_delay_alu instid0(SALU_CYCLE_1)
	s_or_b32 exec_lo, exec_lo, s11
.LBB360_522:                            ;   in Loop: Header=BB360_516 Depth=1
	s_delay_alu instid0(SALU_CYCLE_1) | instskip(SKIP_3) | instid1(VALU_DEP_2)
	s_or_b32 exec_lo, exec_lo, s0
	v_lshrrev_b16 v18, 8, v0
	v_dual_mov_b32 v37, 0 :: v_dual_mov_b32 v40, 0
	s_mov_b32 s0, exec_lo
	v_cmpx_ne_u16_e32 0, v18
	s_cbranch_execz .LBB360_530
; %bb.523:                              ;   in Loop: Header=BB360_516 Depth=1
	v_bfrev_b32_e32 v40, 1
	s_mov_b32 s11, exec_lo
	v_cmpx_ne_u16_e32 0x80, v18
	s_cbranch_execz .LBB360_529
; %bb.524:                              ;   in Loop: Header=BB360_516 Depth=1
	v_and_b32_e32 v18, 0xffff, v18
	v_mov_b32_e32 v40, 0x7f800001
	s_mov_b32 s14, exec_lo
	s_delay_alu instid0(VALU_DEP_2) | instskip(NEXT) | instid1(VALU_DEP_1)
	v_and_b32_e32 v27, 0x7f, v18
	v_cmpx_ne_u32_e32 0x7f, v27
	s_cbranch_execz .LBB360_528
; %bb.525:                              ;   in Loop: Header=BB360_516 Depth=1
	v_dual_lshrrev_b32 v26, 3, v27 :: v_dual_bitop2_b32 v18, 7, v18 bitop3:0x40
	s_mov_b32 s15, exec_lo
	v_cmpx_gt_u32_e32 8, v27
; %bb.526:                              ;   in Loop: Header=BB360_516 Depth=1
	s_delay_alu instid0(VALU_DEP_2) | instskip(NEXT) | instid1(VALU_DEP_1)
	v_clz_i32_u32_e32 v26, v18
	v_min_u32_e32 v26, 32, v26
	s_delay_alu instid0(VALU_DEP_1) | instskip(SKIP_1) | instid1(VALU_DEP_2)
	v_subrev_nc_u32_e32 v27, 28, v26
	v_sub_nc_u32_e32 v26, 29, v26
	v_lshlrev_b64_e32 v[34:35], v27, v[18:19]
	s_delay_alu instid0(VALU_DEP_1)
	v_and_b32_e32 v18, 7, v34
; %bb.527:                              ;   in Loop: Header=BB360_516 Depth=1
	s_or_b32 exec_lo, exec_lo, s15
	s_delay_alu instid0(VALU_DEP_1) | instskip(SKIP_1) | instid1(VALU_DEP_2)
	v_dual_lshlrev_b32 v27, 16, v0 :: v_dual_lshlrev_b32 v18, 20, v18
	v_lshl_add_u32 v26, v26, 23, 0x3c000000
	v_and_b32_e32 v27, 0x80000000, v27
	s_delay_alu instid0(VALU_DEP_1)
	v_or3_b32 v40, v18, v27, v26
.LBB360_528:                            ;   in Loop: Header=BB360_516 Depth=1
	s_or_b32 exec_lo, exec_lo, s14
.LBB360_529:                            ;   in Loop: Header=BB360_516 Depth=1
	s_delay_alu instid0(SALU_CYCLE_1)
	s_or_b32 exec_lo, exec_lo, s11
.LBB360_530:                            ;   in Loop: Header=BB360_516 Depth=1
	s_delay_alu instid0(SALU_CYCLE_1) | instskip(SKIP_2) | instid1(VALU_DEP_1)
	s_or_b32 exec_lo, exec_lo, s0
	v_lshrrev_b32_e32 v26, 16, v0
	s_mov_b32 s0, exec_lo
	v_and_b32_e32 v18, 0xff, v26
	s_delay_alu instid0(VALU_DEP_1)
	v_cmpx_ne_u16_e32 0, v18
	s_cbranch_execz .LBB360_538
; %bb.531:                              ;   in Loop: Header=BB360_516 Depth=1
	v_bfrev_b32_e32 v37, 1
	s_mov_b32 s11, exec_lo
	v_cmpx_ne_u16_e32 0x80, v18
	s_cbranch_execz .LBB360_537
; %bb.532:                              ;   in Loop: Header=BB360_516 Depth=1
	v_bfe_u32 v34, v0, 16, 7
	v_mov_b32_e32 v37, 0x7f800001
	s_mov_b32 s14, exec_lo
	s_delay_alu instid0(VALU_DEP_2)
	v_cmpx_ne_u32_e32 0x7f, v34
	s_cbranch_execz .LBB360_536
; %bb.533:                              ;   in Loop: Header=BB360_516 Depth=1
	v_and_b32_e32 v18, 7, v26
	v_lshrrev_b32_e32 v27, 3, v34
	s_mov_b32 s15, exec_lo
	v_cmpx_gt_u32_e32 8, v34
; %bb.534:                              ;   in Loop: Header=BB360_516 Depth=1
	s_delay_alu instid0(VALU_DEP_3) | instskip(NEXT) | instid1(VALU_DEP_1)
	v_clz_i32_u32_e32 v27, v18
	v_min_u32_e32 v27, 32, v27
	s_delay_alu instid0(VALU_DEP_1) | instskip(NEXT) | instid1(VALU_DEP_1)
	v_subrev_nc_u32_e32 v34, 28, v27
	v_lshlrev_b64_e32 v[34:35], v34, v[18:19]
	s_delay_alu instid0(VALU_DEP_1)
	v_dual_sub_nc_u32 v27, 29, v27 :: v_dual_bitop2_b32 v18, 7, v34 bitop3:0x40
; %bb.535:                              ;   in Loop: Header=BB360_516 Depth=1
	s_or_b32 exec_lo, exec_lo, s15
	v_lshlrev_b32_e32 v26, 24, v26
	s_delay_alu instid0(VALU_DEP_2) | instskip(NEXT) | instid1(VALU_DEP_3)
	v_lshlrev_b32_e32 v18, 20, v18
	v_lshl_add_u32 v27, v27, 23, 0x3c000000
	s_delay_alu instid0(VALU_DEP_3) | instskip(NEXT) | instid1(VALU_DEP_1)
	v_and_b32_e32 v26, 0x80000000, v26
	v_or3_b32 v37, v18, v26, v27
.LBB360_536:                            ;   in Loop: Header=BB360_516 Depth=1
	s_or_b32 exec_lo, exec_lo, s14
.LBB360_537:                            ;   in Loop: Header=BB360_516 Depth=1
	s_delay_alu instid0(SALU_CYCLE_1)
	s_or_b32 exec_lo, exec_lo, s11
.LBB360_538:                            ;   in Loop: Header=BB360_516 Depth=1
	s_delay_alu instid0(SALU_CYCLE_1)
	s_or_b32 exec_lo, exec_lo, s0
	v_dual_mov_b32 v35, 0 :: v_dual_mov_b32 v38, 0
	s_mov_b32 s0, exec_lo
	v_cmpx_lt_u32_e32 0xffffff, v0
	s_cbranch_execz .LBB360_546
; %bb.539:                              ;   in Loop: Header=BB360_516 Depth=1
	v_lshrrev_b32_e32 v26, 24, v0
	v_bfrev_b32_e32 v38, 1
	s_mov_b32 s11, exec_lo
	s_delay_alu instid0(VALU_DEP_2)
	v_cmpx_ne_u32_e32 0x80, v26
	s_cbranch_execz .LBB360_545
; %bb.540:                              ;   in Loop: Header=BB360_516 Depth=1
	v_bfe_u32 v34, v0, 24, 7
	v_mov_b32_e32 v38, 0x7f800001
	s_mov_b32 s14, exec_lo
	s_delay_alu instid0(VALU_DEP_2)
	v_cmpx_ne_u32_e32 0x7f, v34
	s_cbranch_execz .LBB360_544
; %bb.541:                              ;   in Loop: Header=BB360_516 Depth=1
	v_and_b32_e32 v18, 7, v26
	v_lshrrev_b32_e32 v27, 3, v34
	s_mov_b32 s15, exec_lo
	v_cmpx_gt_u32_e32 8, v34
; %bb.542:                              ;   in Loop: Header=BB360_516 Depth=1
	s_delay_alu instid0(VALU_DEP_3) | instskip(NEXT) | instid1(VALU_DEP_1)
	v_clz_i32_u32_e32 v27, v18
	v_min_u32_e32 v27, 32, v27
	s_delay_alu instid0(VALU_DEP_1) | instskip(NEXT) | instid1(VALU_DEP_1)
	v_subrev_nc_u32_e32 v34, 28, v27
	v_lshlrev_b64_e32 v[38:39], v34, v[18:19]
	s_delay_alu instid0(VALU_DEP_1)
	v_dual_sub_nc_u32 v27, 29, v27 :: v_dual_bitop2_b32 v18, 7, v38 bitop3:0x40
; %bb.543:                              ;   in Loop: Header=BB360_516 Depth=1
	s_or_b32 exec_lo, exec_lo, s15
	v_lshlrev_b32_e32 v26, 24, v26
	s_delay_alu instid0(VALU_DEP_2) | instskip(NEXT) | instid1(VALU_DEP_3)
	v_lshlrev_b32_e32 v18, 20, v18
	v_lshl_add_u32 v27, v27, 23, 0x3c000000
	s_delay_alu instid0(VALU_DEP_3) | instskip(NEXT) | instid1(VALU_DEP_1)
	v_and_b32_e32 v26, 0x80000000, v26
	v_or3_b32 v38, v18, v26, v27
.LBB360_544:                            ;   in Loop: Header=BB360_516 Depth=1
	s_or_b32 exec_lo, exec_lo, s14
.LBB360_545:                            ;   in Loop: Header=BB360_516 Depth=1
	s_delay_alu instid0(SALU_CYCLE_1)
	s_or_b32 exec_lo, exec_lo, s11
.LBB360_546:                            ;   in Loop: Header=BB360_516 Depth=1
	s_delay_alu instid0(SALU_CYCLE_1) | instskip(SKIP_3) | instid1(VALU_DEP_2)
	s_or_b32 exec_lo, exec_lo, s0
	v_and_b32_e32 v26, 0xff, v1
	v_mov_b32_e32 v18, v1
	s_mov_b32 s0, exec_lo
	v_cmpx_ne_u16_e32 0, v26
	s_cbranch_execz .LBB360_552
; %bb.547:                              ;   in Loop: Header=BB360_516 Depth=1
	v_bfrev_b32_e32 v35, 1
	s_mov_b32 s11, exec_lo
	v_cmpx_ne_u16_e32 0x80, v26
	s_cbranch_execz .LBB360_551
; %bb.548:                              ;   in Loop: Header=BB360_516 Depth=1
	v_and_b32_e32 v26, 0x7f, v1
	v_mov_b32_e32 v35, 0x7f800001
	s_mov_b32 s14, exec_lo
	s_delay_alu instid0(VALU_DEP_2)
	v_cmpx_ne_u32_e32 0x7f, v26
	s_cbranch_execz .LBB360_550
; %bb.549:                              ;   in Loop: Header=BB360_516 Depth=1
	v_dual_lshrrev_b32 v34, 3, v26 :: v_dual_bitop2_b32 v27, 7, v1 bitop3:0x40
	v_cmp_gt_u32_e32 vcc_lo, 8, v26
	s_delay_alu instid0(VALU_DEP_2) | instskip(NEXT) | instid1(VALU_DEP_1)
	v_clz_i32_u32_e32 v27, v27
	v_min_u32_e32 v27, 32, v27
	s_delay_alu instid0(VALU_DEP_1) | instskip(SKIP_1) | instid1(VALU_DEP_2)
	v_subrev_nc_u32_e32 v35, 28, v27
	v_sub_nc_u32_e32 v27, 29, v27
	v_cndmask_b32_e32 v26, 0, v35, vcc_lo
	s_delay_alu instid0(VALU_DEP_2) | instskip(NEXT) | instid1(VALU_DEP_2)
	v_cndmask_b32_e32 v34, v34, v27, vcc_lo
	v_lshlrev_b64_e32 v[26:27], v26, v[18:19]
	v_lshlrev_b32_e32 v27, 24, v18
	s_delay_alu instid0(VALU_DEP_3) | instskip(NEXT) | instid1(VALU_DEP_2)
	v_lshl_add_u32 v34, v34, 23, 0x3c000000
	v_and_b32_e32 v27, 0x80000000, v27
	s_delay_alu instid0(VALU_DEP_4) | instskip(NEXT) | instid1(VALU_DEP_1)
	v_lshlrev_b32_e32 v26, 20, v26
	v_and_b32_e32 v26, 0x700000, v26
	s_delay_alu instid0(VALU_DEP_1)
	v_or3_b32 v35, v26, v27, v34
.LBB360_550:                            ;   in Loop: Header=BB360_516 Depth=1
	s_or_b32 exec_lo, exec_lo, s14
.LBB360_551:                            ;   in Loop: Header=BB360_516 Depth=1
	s_delay_alu instid0(SALU_CYCLE_1)
	s_or_b32 exec_lo, exec_lo, s11
.LBB360_552:                            ;   in Loop: Header=BB360_516 Depth=1
	s_delay_alu instid0(SALU_CYCLE_1) | instskip(SKIP_3) | instid1(VALU_DEP_2)
	s_or_b32 exec_lo, exec_lo, s0
	v_lshrrev_b16 v27, 8, v18
	v_dual_mov_b32 v43, 0 :: v_dual_mov_b32 v26, 0
	s_mov_b32 s0, exec_lo
	v_cmpx_ne_u16_e32 0, v27
	s_cbranch_execz .LBB360_560
; %bb.553:                              ;   in Loop: Header=BB360_516 Depth=1
	v_bfrev_b32_e32 v26, 1
	s_mov_b32 s11, exec_lo
	v_cmpx_ne_u16_e32 0x80, v27
	s_cbranch_execz .LBB360_559
; %bb.554:                              ;   in Loop: Header=BB360_516 Depth=1
	v_and_b32_e32 v27, 0xffff, v27
	v_mov_b32_e32 v26, 0x7f800001
	s_mov_b32 s14, exec_lo
	s_delay_alu instid0(VALU_DEP_2) | instskip(NEXT) | instid1(VALU_DEP_1)
	v_and_b32_e32 v39, 0x7f, v27
	v_cmpx_ne_u32_e32 0x7f, v39
	s_cbranch_execz .LBB360_558
; %bb.555:                              ;   in Loop: Header=BB360_516 Depth=1
	v_dual_mov_b32 v27, v19 :: v_dual_bitop2_b32 v26, 7, v27 bitop3:0x40
	v_lshrrev_b32_e32 v34, 3, v39
	s_mov_b32 s15, exec_lo
	v_cmpx_gt_u32_e32 8, v39
; %bb.556:                              ;   in Loop: Header=BB360_516 Depth=1
	s_delay_alu instid0(VALU_DEP_3) | instskip(NEXT) | instid1(VALU_DEP_1)
	v_clz_i32_u32_e32 v34, v26
	v_min_u32_e32 v34, 32, v34
	s_delay_alu instid0(VALU_DEP_1) | instskip(SKIP_1) | instid1(VALU_DEP_2)
	v_subrev_nc_u32_e32 v39, 28, v34
	v_sub_nc_u32_e32 v34, 29, v34
	v_lshlrev_b64_e32 v[26:27], v39, v[26:27]
	s_delay_alu instid0(VALU_DEP_1)
	v_and_b32_e32 v26, 7, v26
; %bb.557:                              ;   in Loop: Header=BB360_516 Depth=1
	s_or_b32 exec_lo, exec_lo, s15
	v_lshlrev_b32_e32 v18, 16, v18
	s_delay_alu instid0(VALU_DEP_2) | instskip(SKIP_1) | instid1(VALU_DEP_3)
	v_lshlrev_b32_e32 v26, 20, v26
	v_lshl_add_u32 v27, v34, 23, 0x3c000000
	v_and_b32_e32 v18, 0x80000000, v18
	s_delay_alu instid0(VALU_DEP_1)
	v_or3_b32 v26, v26, v18, v27
.LBB360_558:                            ;   in Loop: Header=BB360_516 Depth=1
	s_or_b32 exec_lo, exec_lo, s14
.LBB360_559:                            ;   in Loop: Header=BB360_516 Depth=1
	s_delay_alu instid0(SALU_CYCLE_1)
	s_or_b32 exec_lo, exec_lo, s11
.LBB360_560:                            ;   in Loop: Header=BB360_516 Depth=1
	s_delay_alu instid0(SALU_CYCLE_1) | instskip(SKIP_2) | instid1(VALU_DEP_1)
	s_or_b32 exec_lo, exec_lo, s0
	v_lshrrev_b32_e32 v27, 16, v1
	s_mov_b32 s0, exec_lo
	v_and_b32_e32 v18, 0xff, v27
	s_delay_alu instid0(VALU_DEP_1)
	v_cmpx_ne_u16_e32 0, v18
	s_cbranch_execz .LBB360_568
; %bb.561:                              ;   in Loop: Header=BB360_516 Depth=1
	v_bfrev_b32_e32 v43, 1
	s_mov_b32 s11, exec_lo
	v_cmpx_ne_u16_e32 0x80, v18
	s_cbranch_execz .LBB360_567
; %bb.562:                              ;   in Loop: Header=BB360_516 Depth=1
	v_bfe_u32 v39, v1, 16, 7
	v_mov_b32_e32 v43, 0x7f800001
	s_mov_b32 s14, exec_lo
	s_delay_alu instid0(VALU_DEP_2)
	v_cmpx_ne_u32_e32 0x7f, v39
	s_cbranch_execz .LBB360_566
; %bb.563:                              ;   in Loop: Header=BB360_516 Depth=1
	v_and_b32_e32 v18, 7, v27
	v_lshrrev_b32_e32 v34, 3, v39
	s_mov_b32 s15, exec_lo
	v_cmpx_gt_u32_e32 8, v39
; %bb.564:                              ;   in Loop: Header=BB360_516 Depth=1
	s_delay_alu instid0(VALU_DEP_3) | instskip(NEXT) | instid1(VALU_DEP_1)
	v_clz_i32_u32_e32 v34, v18
	v_min_u32_e32 v34, 32, v34
	s_delay_alu instid0(VALU_DEP_1) | instskip(SKIP_1) | instid1(VALU_DEP_2)
	v_subrev_nc_u32_e32 v39, 28, v34
	v_sub_nc_u32_e32 v34, 29, v34
	v_lshlrev_b64_e32 v[42:43], v39, v[18:19]
	s_delay_alu instid0(VALU_DEP_1)
	v_and_b32_e32 v18, 7, v42
; %bb.565:                              ;   in Loop: Header=BB360_516 Depth=1
	s_or_b32 exec_lo, exec_lo, s15
	s_delay_alu instid0(VALU_DEP_1) | instskip(SKIP_1) | instid1(VALU_DEP_2)
	v_dual_lshlrev_b32 v27, 24, v27 :: v_dual_lshlrev_b32 v18, 20, v18
	v_lshl_add_u32 v34, v34, 23, 0x3c000000
	v_and_b32_e32 v27, 0x80000000, v27
	s_delay_alu instid0(VALU_DEP_1)
	v_or3_b32 v43, v18, v27, v34
.LBB360_566:                            ;   in Loop: Header=BB360_516 Depth=1
	s_or_b32 exec_lo, exec_lo, s14
.LBB360_567:                            ;   in Loop: Header=BB360_516 Depth=1
	s_delay_alu instid0(SALU_CYCLE_1)
	s_or_b32 exec_lo, exec_lo, s11
.LBB360_568:                            ;   in Loop: Header=BB360_516 Depth=1
	s_delay_alu instid0(SALU_CYCLE_1)
	s_or_b32 exec_lo, exec_lo, s0
	v_mov_b32_e32 v18, 0
	s_mov_b32 s0, exec_lo
	v_cmpx_lt_u64_e64 s[2:3], v[0:1]
	s_cbranch_execz .LBB360_576
; %bb.569:                              ;   in Loop: Header=BB360_516 Depth=1
	v_lshrrev_b32_e32 v0, 24, v1
	v_bfrev_b32_e32 v18, 1
	s_mov_b32 s11, exec_lo
	s_delay_alu instid0(VALU_DEP_2)
	v_cmpx_ne_u32_e32 0x80, v0
	s_cbranch_execz .LBB360_575
; %bb.570:                              ;   in Loop: Header=BB360_516 Depth=1
	v_bfe_u32 v27, v1, 24, 7
	v_mov_b32_e32 v18, 0x7f800001
	s_mov_b32 s14, exec_lo
	s_delay_alu instid0(VALU_DEP_2)
	v_cmpx_ne_u32_e32 0x7f, v27
	s_cbranch_execz .LBB360_574
; %bb.571:                              ;   in Loop: Header=BB360_516 Depth=1
	v_dual_lshrrev_b32 v1, 3, v27 :: v_dual_bitop2_b32 v18, 7, v0 bitop3:0x40
	s_mov_b32 s15, exec_lo
	v_cmpx_gt_u32_e32 8, v27
; %bb.572:                              ;   in Loop: Header=BB360_516 Depth=1
	s_delay_alu instid0(VALU_DEP_2) | instskip(NEXT) | instid1(VALU_DEP_1)
	v_clz_i32_u32_e32 v1, v18
	v_min_u32_e32 v1, 32, v1
	s_delay_alu instid0(VALU_DEP_1) | instskip(NEXT) | instid1(VALU_DEP_1)
	v_subrev_nc_u32_e32 v27, 28, v1
	v_lshlrev_b64_e32 v[44:45], v27, v[18:19]
	s_delay_alu instid0(VALU_DEP_1)
	v_dual_sub_nc_u32 v1, 29, v1 :: v_dual_bitop2_b32 v18, 7, v44 bitop3:0x40
; %bb.573:                              ;   in Loop: Header=BB360_516 Depth=1
	s_or_b32 exec_lo, exec_lo, s15
	s_delay_alu instid0(VALU_DEP_1) | instskip(NEXT) | instid1(VALU_DEP_2)
	v_dual_lshlrev_b32 v0, 24, v0 :: v_dual_lshlrev_b32 v18, 20, v18
	v_lshl_add_u32 v1, v1, 23, 0x3c000000
	s_delay_alu instid0(VALU_DEP_2) | instskip(NEXT) | instid1(VALU_DEP_1)
	v_and_b32_e32 v0, 0x80000000, v0
	v_or3_b32 v18, v18, v0, v1
.LBB360_574:                            ;   in Loop: Header=BB360_516 Depth=1
	s_or_b32 exec_lo, exec_lo, s14
.LBB360_575:                            ;   in Loop: Header=BB360_516 Depth=1
	s_delay_alu instid0(SALU_CYCLE_1)
	s_or_b32 exec_lo, exec_lo, s11
.LBB360_576:                            ;   in Loop: Header=BB360_516 Depth=1
	s_delay_alu instid0(SALU_CYCLE_1)
	s_or_b32 exec_lo, exec_lo, s0
	v_dual_add_nc_u32 v42, -7, v31 :: v_dual_add_nc_u32 v48, -6, v31
	v_cmp_eq_u32_e32 vcc_lo, s10, v33
	v_fma_mixlo_bf16 v34, s6, v26, 0
	v_fma_mixlo_bf16 v35, s6, v35, 0
	;; [unrolled: 1-line block ×8, first 2 shown]
	v_dual_add_nc_u32 v47, -5, v31 :: v_dual_add_nc_u32 v46, -4, v31
	v_dual_add_nc_u32 v45, -3, v31 :: v_dual_add_nc_u32 v44, -2, v31
	v_add_nc_u32_e32 v43, -1, v31
	s_and_saveexec_b32 s11, vcc_lo
	s_cbranch_execz .LBB360_578
; %bb.577:                              ;   in Loop: Header=BB360_516 Depth=1
	v_cmp_gt_i32_e64 s0, s25, v42
	s_delay_alu instid0(VALU_DEP_1) | instskip(SKIP_1) | instid1(VALU_DEP_1)
	v_cndmask_b32_e64 v41, 0, v41, s0
	v_cmp_gt_i32_e64 s0, s25, v48
	v_cndmask_b32_e64 v40, 0, v40, s0
	v_cmp_gt_i32_e64 s0, s25, v47
	s_delay_alu instid0(VALU_DEP_1) | instskip(SKIP_1) | instid1(VALU_DEP_1)
	v_cndmask_b32_e64 v39, 0, v39, s0
	v_cmp_gt_i32_e64 s0, s25, v46
	v_cndmask_b32_e64 v38, 0, v38, s0
	;; [unrolled: 5-line block ×4, first 2 shown]
.LBB360_578:                            ;   in Loop: Header=BB360_516 Depth=1
	s_or_b32 exec_lo, exec_lo, s11
	global_load_b64 v[0:1], v[24:25], off offset:256
	v_dual_mov_b32 v52, 0 :: v_dual_mov_b32 v51, 0
	s_mov_b32 s11, exec_lo
	s_wait_loadcnt 0x0
	v_and_b32_e32 v18, 0xff, v0
	s_delay_alu instid0(VALU_DEP_1)
	v_cmpx_ne_u16_e32 0, v18
	s_cbranch_execz .LBB360_584
; %bb.579:                              ;   in Loop: Header=BB360_516 Depth=1
	v_bfrev_b32_e32 v51, 1
	s_mov_b32 s14, exec_lo
	v_cmpx_ne_u16_e32 0x80, v18
	s_cbranch_execz .LBB360_583
; %bb.580:                              ;   in Loop: Header=BB360_516 Depth=1
	v_and_b32_e32 v18, 0x7f, v0
	v_mov_b32_e32 v51, 0x7f800001
	s_mov_b32 s15, exec_lo
	s_delay_alu instid0(VALU_DEP_2)
	v_cmpx_ne_u32_e32 0x7f, v18
	s_cbranch_execz .LBB360_582
; %bb.581:                              ;   in Loop: Header=BB360_516 Depth=1
	v_dual_lshrrev_b32 v27, 3, v18 :: v_dual_bitop2_b32 v26, 7, v0 bitop3:0x40
	v_cmp_gt_u32_e64 s0, 8, v18
	s_delay_alu instid0(VALU_DEP_2) | instskip(NEXT) | instid1(VALU_DEP_1)
	v_clz_i32_u32_e32 v26, v26
	v_min_u32_e32 v26, 32, v26
	s_delay_alu instid0(VALU_DEP_1) | instskip(SKIP_1) | instid1(VALU_DEP_1)
	v_subrev_nc_u32_e32 v49, 28, v26
	v_sub_nc_u32_e32 v26, 29, v26
	v_dual_cndmask_b32 v18, v27, v26, s0 :: v_dual_cndmask_b32 v26, 0, v49, s0
	s_delay_alu instid0(VALU_DEP_1) | instskip(NEXT) | instid1(VALU_DEP_2)
	v_lshl_add_u32 v18, v18, 23, 0x3c000000
	v_lshlrev_b64_e32 v[26:27], v26, v[0:1]
	v_lshlrev_b32_e32 v27, 24, v0
	s_delay_alu instid0(VALU_DEP_1) | instskip(NEXT) | instid1(VALU_DEP_3)
	v_and_b32_e32 v27, 0x80000000, v27
	v_lshlrev_b32_e32 v26, 20, v26
	s_delay_alu instid0(VALU_DEP_1) | instskip(NEXT) | instid1(VALU_DEP_1)
	v_and_b32_e32 v26, 0x700000, v26
	v_or3_b32 v51, v26, v27, v18
.LBB360_582:                            ;   in Loop: Header=BB360_516 Depth=1
	s_or_b32 exec_lo, exec_lo, s15
.LBB360_583:                            ;   in Loop: Header=BB360_516 Depth=1
	s_delay_alu instid0(SALU_CYCLE_1)
	s_or_b32 exec_lo, exec_lo, s14
.LBB360_584:                            ;   in Loop: Header=BB360_516 Depth=1
	s_delay_alu instid0(SALU_CYCLE_1) | instskip(SKIP_2) | instid1(VALU_DEP_1)
	s_or_b32 exec_lo, exec_lo, s11
	v_lshrrev_b16 v18, 8, v0
	s_mov_b32 s11, exec_lo
	v_cmpx_ne_u16_e32 0, v18
	s_cbranch_execz .LBB360_592
; %bb.585:                              ;   in Loop: Header=BB360_516 Depth=1
	v_bfrev_b32_e32 v52, 1
	s_mov_b32 s14, exec_lo
	v_cmpx_ne_u16_e32 0x80, v18
	s_cbranch_execz .LBB360_591
; %bb.586:                              ;   in Loop: Header=BB360_516 Depth=1
	v_and_b32_e32 v18, 0xffff, v18
	v_mov_b32_e32 v52, 0x7f800001
	s_mov_b32 s15, exec_lo
	s_delay_alu instid0(VALU_DEP_2) | instskip(NEXT) | instid1(VALU_DEP_1)
	v_and_b32_e32 v27, 0x7f, v18
	v_cmpx_ne_u32_e32 0x7f, v27
	s_cbranch_execz .LBB360_590
; %bb.587:                              ;   in Loop: Header=BB360_516 Depth=1
	v_dual_lshrrev_b32 v26, 3, v27 :: v_dual_bitop2_b32 v18, 7, v18 bitop3:0x40
	s_mov_b32 s16, exec_lo
	v_cmpx_gt_u32_e32 8, v27
; %bb.588:                              ;   in Loop: Header=BB360_516 Depth=1
	s_delay_alu instid0(VALU_DEP_2) | instskip(NEXT) | instid1(VALU_DEP_1)
	v_clz_i32_u32_e32 v26, v18
	v_min_u32_e32 v26, 32, v26
	s_delay_alu instid0(VALU_DEP_1) | instskip(NEXT) | instid1(VALU_DEP_1)
	v_subrev_nc_u32_e32 v27, 28, v26
	v_lshlrev_b64_e32 v[52:53], v27, v[18:19]
	s_delay_alu instid0(VALU_DEP_1)
	v_dual_sub_nc_u32 v26, 29, v26 :: v_dual_bitop2_b32 v18, 7, v52 bitop3:0x40
; %bb.589:                              ;   in Loop: Header=BB360_516 Depth=1
	s_or_b32 exec_lo, exec_lo, s16
	s_delay_alu instid0(VALU_DEP_1) | instskip(NEXT) | instid1(VALU_DEP_2)
	v_dual_lshlrev_b32 v27, 16, v0 :: v_dual_lshlrev_b32 v18, 20, v18
	v_lshl_add_u32 v26, v26, 23, 0x3c000000
	s_delay_alu instid0(VALU_DEP_2) | instskip(NEXT) | instid1(VALU_DEP_1)
	v_and_b32_e32 v27, 0x80000000, v27
	v_or3_b32 v52, v18, v27, v26
.LBB360_590:                            ;   in Loop: Header=BB360_516 Depth=1
	s_or_b32 exec_lo, exec_lo, s15
.LBB360_591:                            ;   in Loop: Header=BB360_516 Depth=1
	s_delay_alu instid0(SALU_CYCLE_1)
	s_or_b32 exec_lo, exec_lo, s14
.LBB360_592:                            ;   in Loop: Header=BB360_516 Depth=1
	s_delay_alu instid0(SALU_CYCLE_1) | instskip(SKIP_3) | instid1(VALU_DEP_2)
	s_or_b32 exec_lo, exec_lo, s11
	v_dual_mov_b32 v53, 0 :: v_dual_lshrrev_b32 v26, 16, v0
	v_mov_b32_e32 v54, 0
	s_mov_b32 s11, exec_lo
	v_and_b32_e32 v18, 0xff, v26
	s_delay_alu instid0(VALU_DEP_1)
	v_cmpx_ne_u16_e32 0, v18
	s_cbranch_execz .LBB360_600
; %bb.593:                              ;   in Loop: Header=BB360_516 Depth=1
	v_bfrev_b32_e32 v54, 1
	s_mov_b32 s14, exec_lo
	v_cmpx_ne_u16_e32 0x80, v18
	s_cbranch_execz .LBB360_599
; %bb.594:                              ;   in Loop: Header=BB360_516 Depth=1
	v_bfe_u32 v49, v0, 16, 7
	v_mov_b32_e32 v54, 0x7f800001
	s_mov_b32 s15, exec_lo
	s_delay_alu instid0(VALU_DEP_2)
	v_cmpx_ne_u32_e32 0x7f, v49
	s_cbranch_execz .LBB360_598
; %bb.595:                              ;   in Loop: Header=BB360_516 Depth=1
	v_dual_lshrrev_b32 v27, 3, v49 :: v_dual_bitop2_b32 v18, 7, v26 bitop3:0x40
	s_mov_b32 s16, exec_lo
	v_cmpx_gt_u32_e32 8, v49
; %bb.596:                              ;   in Loop: Header=BB360_516 Depth=1
	s_delay_alu instid0(VALU_DEP_2) | instskip(NEXT) | instid1(VALU_DEP_1)
	v_clz_i32_u32_e32 v27, v18
	v_min_u32_e32 v27, 32, v27
	s_delay_alu instid0(VALU_DEP_1) | instskip(NEXT) | instid1(VALU_DEP_1)
	v_subrev_nc_u32_e32 v49, 28, v27
	v_lshlrev_b64_e32 v[54:55], v49, v[18:19]
	s_delay_alu instid0(VALU_DEP_1)
	v_dual_sub_nc_u32 v27, 29, v27 :: v_dual_bitop2_b32 v18, 7, v54 bitop3:0x40
; %bb.597:                              ;   in Loop: Header=BB360_516 Depth=1
	s_or_b32 exec_lo, exec_lo, s16
	v_lshlrev_b32_e32 v26, 24, v26
	s_delay_alu instid0(VALU_DEP_2) | instskip(NEXT) | instid1(VALU_DEP_3)
	v_lshlrev_b32_e32 v18, 20, v18
	v_lshl_add_u32 v27, v27, 23, 0x3c000000
	s_delay_alu instid0(VALU_DEP_3) | instskip(NEXT) | instid1(VALU_DEP_1)
	v_and_b32_e32 v26, 0x80000000, v26
	v_or3_b32 v54, v18, v26, v27
.LBB360_598:                            ;   in Loop: Header=BB360_516 Depth=1
	s_or_b32 exec_lo, exec_lo, s15
.LBB360_599:                            ;   in Loop: Header=BB360_516 Depth=1
	s_delay_alu instid0(SALU_CYCLE_1)
	s_or_b32 exec_lo, exec_lo, s14
.LBB360_600:                            ;   in Loop: Header=BB360_516 Depth=1
	s_delay_alu instid0(SALU_CYCLE_1) | instskip(NEXT) | instid1(SALU_CYCLE_1)
	s_or_b32 exec_lo, exec_lo, s11
	s_mov_b32 s11, exec_lo
	v_cmpx_lt_u32_e32 0xffffff, v0
	s_cbranch_execz .LBB360_608
; %bb.601:                              ;   in Loop: Header=BB360_516 Depth=1
	v_lshrrev_b32_e32 v26, 24, v0
	v_bfrev_b32_e32 v53, 1
	s_mov_b32 s14, exec_lo
	s_delay_alu instid0(VALU_DEP_2)
	v_cmpx_ne_u32_e32 0x80, v26
	s_cbranch_execz .LBB360_607
; %bb.602:                              ;   in Loop: Header=BB360_516 Depth=1
	v_bfe_u32 v49, v0, 24, 7
	v_mov_b32_e32 v53, 0x7f800001
	s_mov_b32 s15, exec_lo
	s_delay_alu instid0(VALU_DEP_2)
	v_cmpx_ne_u32_e32 0x7f, v49
	s_cbranch_execz .LBB360_606
; %bb.603:                              ;   in Loop: Header=BB360_516 Depth=1
	v_dual_lshrrev_b32 v27, 3, v49 :: v_dual_bitop2_b32 v18, 7, v26 bitop3:0x40
	s_mov_b32 s16, exec_lo
	v_cmpx_gt_u32_e32 8, v49
; %bb.604:                              ;   in Loop: Header=BB360_516 Depth=1
	s_delay_alu instid0(VALU_DEP_2) | instskip(NEXT) | instid1(VALU_DEP_1)
	v_clz_i32_u32_e32 v27, v18
	v_min_u32_e32 v27, 32, v27
	s_delay_alu instid0(VALU_DEP_1) | instskip(NEXT) | instid1(VALU_DEP_1)
	v_subrev_nc_u32_e32 v49, 28, v27
	v_lshlrev_b64_e32 v[56:57], v49, v[18:19]
	s_delay_alu instid0(VALU_DEP_1)
	v_dual_sub_nc_u32 v27, 29, v27 :: v_dual_bitop2_b32 v18, 7, v56 bitop3:0x40
; %bb.605:                              ;   in Loop: Header=BB360_516 Depth=1
	s_or_b32 exec_lo, exec_lo, s16
	v_lshlrev_b32_e32 v26, 24, v26
	s_delay_alu instid0(VALU_DEP_2) | instskip(NEXT) | instid1(VALU_DEP_3)
	v_lshlrev_b32_e32 v18, 20, v18
	v_lshl_add_u32 v27, v27, 23, 0x3c000000
	s_delay_alu instid0(VALU_DEP_3) | instskip(NEXT) | instid1(VALU_DEP_1)
	v_and_b32_e32 v26, 0x80000000, v26
	v_or3_b32 v53, v18, v26, v27
.LBB360_606:                            ;   in Loop: Header=BB360_516 Depth=1
	s_or_b32 exec_lo, exec_lo, s15
.LBB360_607:                            ;   in Loop: Header=BB360_516 Depth=1
	s_delay_alu instid0(SALU_CYCLE_1)
	s_or_b32 exec_lo, exec_lo, s14
.LBB360_608:                            ;   in Loop: Header=BB360_516 Depth=1
	s_delay_alu instid0(SALU_CYCLE_1) | instskip(SKIP_4) | instid1(VALU_DEP_3)
	s_or_b32 exec_lo, exec_lo, s11
	v_and_b32_e32 v27, 0xff, v1
	v_dual_mov_b32 v18, v1 :: v_dual_mov_b32 v26, 0
	v_mov_b32_e32 v50, 0
	s_mov_b32 s11, exec_lo
	v_cmpx_ne_u16_e32 0, v27
	s_cbranch_execz .LBB360_614
; %bb.609:                              ;   in Loop: Header=BB360_516 Depth=1
	v_bfrev_b32_e32 v50, 1
	s_mov_b32 s14, exec_lo
	v_cmpx_ne_u16_e32 0x80, v27
	s_cbranch_execz .LBB360_613
; %bb.610:                              ;   in Loop: Header=BB360_516 Depth=1
	v_and_b32_e32 v27, 0x7f, v1
	v_mov_b32_e32 v50, 0x7f800001
	s_mov_b32 s15, exec_lo
	s_delay_alu instid0(VALU_DEP_2)
	v_cmpx_ne_u32_e32 0x7f, v27
	s_cbranch_execz .LBB360_612
; %bb.611:                              ;   in Loop: Header=BB360_516 Depth=1
	v_dual_lshrrev_b32 v50, 3, v27 :: v_dual_bitop2_b32 v49, 7, v1 bitop3:0x40
	v_cmp_gt_u32_e64 s0, 8, v27
	s_delay_alu instid0(VALU_DEP_2) | instskip(NEXT) | instid1(VALU_DEP_1)
	v_clz_i32_u32_e32 v49, v49
	v_min_u32_e32 v49, 32, v49
	s_delay_alu instid0(VALU_DEP_1) | instskip(SKIP_1) | instid1(VALU_DEP_1)
	v_subrev_nc_u32_e32 v55, 28, v49
	v_sub_nc_u32_e32 v49, 29, v49
	v_dual_cndmask_b32 v27, v50, v49, s0 :: v_dual_cndmask_b32 v49, 0, v55, s0
	s_delay_alu instid0(VALU_DEP_1) | instskip(NEXT) | instid1(VALU_DEP_2)
	v_lshl_add_u32 v27, v27, 23, 0x3c000000
	v_lshlrev_b64_e32 v[56:57], v49, v[18:19]
	v_lshlrev_b32_e32 v49, 24, v18
	s_delay_alu instid0(VALU_DEP_1) | instskip(NEXT) | instid1(VALU_DEP_3)
	v_and_b32_e32 v49, 0x80000000, v49
	v_lshlrev_b32_e32 v50, 20, v56
	s_delay_alu instid0(VALU_DEP_1) | instskip(NEXT) | instid1(VALU_DEP_1)
	v_and_b32_e32 v50, 0x700000, v50
	v_or3_b32 v50, v50, v49, v27
.LBB360_612:                            ;   in Loop: Header=BB360_516 Depth=1
	s_or_b32 exec_lo, exec_lo, s15
.LBB360_613:                            ;   in Loop: Header=BB360_516 Depth=1
	s_delay_alu instid0(SALU_CYCLE_1)
	s_or_b32 exec_lo, exec_lo, s14
.LBB360_614:                            ;   in Loop: Header=BB360_516 Depth=1
	s_delay_alu instid0(SALU_CYCLE_1) | instskip(SKIP_2) | instid1(VALU_DEP_1)
	s_or_b32 exec_lo, exec_lo, s11
	v_lshrrev_b16 v27, 8, v18
	s_mov_b32 s11, exec_lo
	v_cmpx_ne_u16_e32 0, v27
	s_cbranch_execz .LBB360_622
; %bb.615:                              ;   in Loop: Header=BB360_516 Depth=1
	v_bfrev_b32_e32 v26, 1
	s_mov_b32 s14, exec_lo
	v_cmpx_ne_u16_e32 0x80, v27
	s_cbranch_execz .LBB360_621
; %bb.616:                              ;   in Loop: Header=BB360_516 Depth=1
	v_and_b32_e32 v27, 0xffff, v27
	v_mov_b32_e32 v26, 0x7f800001
	s_mov_b32 s15, exec_lo
	s_delay_alu instid0(VALU_DEP_2) | instskip(NEXT) | instid1(VALU_DEP_1)
	v_and_b32_e32 v55, 0x7f, v27
	v_cmpx_ne_u32_e32 0x7f, v55
	s_cbranch_execz .LBB360_620
; %bb.617:                              ;   in Loop: Header=BB360_516 Depth=1
	v_dual_mov_b32 v27, v19 :: v_dual_bitop2_b32 v26, 7, v27 bitop3:0x40
	v_lshrrev_b32_e32 v49, 3, v55
	s_mov_b32 s16, exec_lo
	v_cmpx_gt_u32_e32 8, v55
; %bb.618:                              ;   in Loop: Header=BB360_516 Depth=1
	s_delay_alu instid0(VALU_DEP_3) | instskip(NEXT) | instid1(VALU_DEP_1)
	v_clz_i32_u32_e32 v49, v26
	v_min_u32_e32 v49, 32, v49
	s_delay_alu instid0(VALU_DEP_1) | instskip(NEXT) | instid1(VALU_DEP_1)
	v_subrev_nc_u32_e32 v55, 28, v49
	v_lshlrev_b64_e32 v[26:27], v55, v[26:27]
	s_delay_alu instid0(VALU_DEP_1)
	v_dual_sub_nc_u32 v49, 29, v49 :: v_dual_bitop2_b32 v26, 7, v26 bitop3:0x40
; %bb.619:                              ;   in Loop: Header=BB360_516 Depth=1
	s_or_b32 exec_lo, exec_lo, s16
	v_lshlrev_b32_e32 v18, 16, v18
	s_delay_alu instid0(VALU_DEP_2) | instskip(NEXT) | instid1(VALU_DEP_3)
	v_lshlrev_b32_e32 v26, 20, v26
	v_lshl_add_u32 v27, v49, 23, 0x3c000000
	s_delay_alu instid0(VALU_DEP_3) | instskip(NEXT) | instid1(VALU_DEP_1)
	v_and_b32_e32 v18, 0x80000000, v18
	v_or3_b32 v26, v26, v18, v27
.LBB360_620:                            ;   in Loop: Header=BB360_516 Depth=1
	s_or_b32 exec_lo, exec_lo, s15
.LBB360_621:                            ;   in Loop: Header=BB360_516 Depth=1
	s_delay_alu instid0(SALU_CYCLE_1)
	s_or_b32 exec_lo, exec_lo, s14
.LBB360_622:                            ;   in Loop: Header=BB360_516 Depth=1
	s_delay_alu instid0(SALU_CYCLE_1) | instskip(SKIP_3) | instid1(VALU_DEP_2)
	s_or_b32 exec_lo, exec_lo, s11
	v_dual_lshrrev_b32 v49, 16, v1 :: v_dual_mov_b32 v27, 0
	v_mov_b32_e32 v57, 0
	s_mov_b32 s11, exec_lo
	v_and_b32_e32 v18, 0xff, v49
	s_delay_alu instid0(VALU_DEP_1)
	v_cmpx_ne_u16_e32 0, v18
	s_cbranch_execz .LBB360_630
; %bb.623:                              ;   in Loop: Header=BB360_516 Depth=1
	v_bfrev_b32_e32 v57, 1
	s_mov_b32 s14, exec_lo
	v_cmpx_ne_u16_e32 0x80, v18
	s_cbranch_execz .LBB360_629
; %bb.624:                              ;   in Loop: Header=BB360_516 Depth=1
	v_bfe_u32 v56, v1, 16, 7
	v_mov_b32_e32 v57, 0x7f800001
	s_mov_b32 s15, exec_lo
	s_delay_alu instid0(VALU_DEP_2)
	v_cmpx_ne_u32_e32 0x7f, v56
	s_cbranch_execz .LBB360_628
; %bb.625:                              ;   in Loop: Header=BB360_516 Depth=1
	v_dual_lshrrev_b32 v55, 3, v56 :: v_dual_bitop2_b32 v18, 7, v49 bitop3:0x40
	s_mov_b32 s16, exec_lo
	v_cmpx_gt_u32_e32 8, v56
; %bb.626:                              ;   in Loop: Header=BB360_516 Depth=1
	s_delay_alu instid0(VALU_DEP_2) | instskip(NEXT) | instid1(VALU_DEP_1)
	v_clz_i32_u32_e32 v55, v18
	v_min_u32_e32 v55, 32, v55
	s_delay_alu instid0(VALU_DEP_1) | instskip(NEXT) | instid1(VALU_DEP_1)
	v_subrev_nc_u32_e32 v56, 28, v55
	v_lshlrev_b64_e32 v[56:57], v56, v[18:19]
	s_delay_alu instid0(VALU_DEP_1)
	v_dual_sub_nc_u32 v55, 29, v55 :: v_dual_bitop2_b32 v18, 7, v56 bitop3:0x40
; %bb.627:                              ;   in Loop: Header=BB360_516 Depth=1
	s_or_b32 exec_lo, exec_lo, s16
	s_delay_alu instid0(VALU_DEP_1) | instskip(NEXT) | instid1(VALU_DEP_2)
	v_dual_lshlrev_b32 v49, 24, v49 :: v_dual_lshlrev_b32 v18, 20, v18
	v_lshl_add_u32 v55, v55, 23, 0x3c000000
	s_delay_alu instid0(VALU_DEP_2) | instskip(NEXT) | instid1(VALU_DEP_1)
	v_and_b32_e32 v49, 0x80000000, v49
	v_or3_b32 v57, v18, v49, v55
.LBB360_628:                            ;   in Loop: Header=BB360_516 Depth=1
	s_or_b32 exec_lo, exec_lo, s15
.LBB360_629:                            ;   in Loop: Header=BB360_516 Depth=1
	s_delay_alu instid0(SALU_CYCLE_1)
	s_or_b32 exec_lo, exec_lo, s14
.LBB360_630:                            ;   in Loop: Header=BB360_516 Depth=1
	s_delay_alu instid0(SALU_CYCLE_1) | instskip(NEXT) | instid1(SALU_CYCLE_1)
	s_or_b32 exec_lo, exec_lo, s11
	s_mov_b32 s11, exec_lo
	v_cmpx_lt_u64_e64 s[2:3], v[0:1]
	s_cbranch_execz .LBB360_638
; %bb.631:                              ;   in Loop: Header=BB360_516 Depth=1
	v_lshrrev_b32_e32 v0, 24, v1
	v_bfrev_b32_e32 v27, 1
	s_mov_b32 s14, exec_lo
	s_delay_alu instid0(VALU_DEP_2)
	v_cmpx_ne_u32_e32 0x80, v0
	s_cbranch_execz .LBB360_637
; %bb.632:                              ;   in Loop: Header=BB360_516 Depth=1
	v_bfe_u32 v49, v1, 24, 7
	v_mov_b32_e32 v27, 0x7f800001
	s_mov_b32 s15, exec_lo
	s_delay_alu instid0(VALU_DEP_2)
	v_cmpx_ne_u32_e32 0x7f, v49
	s_cbranch_execz .LBB360_636
; %bb.633:                              ;   in Loop: Header=BB360_516 Depth=1
	v_dual_lshrrev_b32 v1, 3, v49 :: v_dual_bitop2_b32 v18, 7, v0 bitop3:0x40
	s_mov_b32 s16, exec_lo
	v_cmpx_gt_u32_e32 8, v49
; %bb.634:                              ;   in Loop: Header=BB360_516 Depth=1
	s_delay_alu instid0(VALU_DEP_2) | instskip(NEXT) | instid1(VALU_DEP_1)
	v_clz_i32_u32_e32 v1, v18
	v_min_u32_e32 v1, 32, v1
	s_delay_alu instid0(VALU_DEP_1) | instskip(NEXT) | instid1(VALU_DEP_1)
	v_subrev_nc_u32_e32 v27, 28, v1
	v_lshlrev_b64_e32 v[58:59], v27, v[18:19]
	s_delay_alu instid0(VALU_DEP_1)
	v_dual_sub_nc_u32 v1, 29, v1 :: v_dual_bitop2_b32 v18, 7, v58 bitop3:0x40
; %bb.635:                              ;   in Loop: Header=BB360_516 Depth=1
	s_or_b32 exec_lo, exec_lo, s16
	s_delay_alu instid0(VALU_DEP_1) | instskip(NEXT) | instid1(VALU_DEP_2)
	v_dual_lshlrev_b32 v0, 24, v0 :: v_dual_lshlrev_b32 v18, 20, v18
	v_lshl_add_u32 v1, v1, 23, 0x3c000000
	s_delay_alu instid0(VALU_DEP_2) | instskip(NEXT) | instid1(VALU_DEP_1)
	v_and_b32_e32 v0, 0x80000000, v0
	v_or3_b32 v27, v18, v0, v1
.LBB360_636:                            ;   in Loop: Header=BB360_516 Depth=1
	s_or_b32 exec_lo, exec_lo, s15
.LBB360_637:                            ;   in Loop: Header=BB360_516 Depth=1
	s_delay_alu instid0(SALU_CYCLE_1)
	s_or_b32 exec_lo, exec_lo, s14
.LBB360_638:                            ;   in Loop: Header=BB360_516 Depth=1
	s_delay_alu instid0(SALU_CYCLE_1)
	s_or_b32 exec_lo, exec_lo, s11
	v_fma_mixlo_bf16 v49, s6, v26, 0
	v_fma_mixlo_bf16 v50, s6, v50, 0
	;; [unrolled: 1-line block ×8, first 2 shown]
	s_and_saveexec_b32 s11, vcc_lo
	s_cbranch_execz .LBB360_640
; %bb.639:                              ;   in Loop: Header=BB360_516 Depth=1
	v_cmp_gt_i32_e64 s0, s25, v42
	s_delay_alu instid0(VALU_DEP_1) | instskip(SKIP_1) | instid1(VALU_DEP_1)
	v_cndmask_b32_e64 v56, 0, v56, s0
	v_cmp_gt_i32_e64 s0, s25, v48
	v_cndmask_b32_e64 v55, 0, v55, s0
	v_cmp_gt_i32_e64 s0, s25, v47
	s_delay_alu instid0(VALU_DEP_1) | instskip(SKIP_1) | instid1(VALU_DEP_1)
	v_cndmask_b32_e64 v54, 0, v54, s0
	v_cmp_gt_i32_e64 s0, s25, v46
	v_cndmask_b32_e64 v53, 0, v53, s0
	;; [unrolled: 5-line block ×4, first 2 shown]
.LBB360_640:                            ;   in Loop: Header=BB360_516 Depth=1
	s_or_b32 exec_lo, exec_lo, s11
	global_load_b64 v[0:1], v[24:25], off offset:512
	v_dual_mov_b32 v58, 0 :: v_dual_mov_b32 v57, 0
	s_mov_b32 s11, exec_lo
	s_wait_loadcnt 0x0
	v_and_b32_e32 v18, 0xff, v0
	s_delay_alu instid0(VALU_DEP_1)
	v_cmpx_ne_u16_e32 0, v18
	s_cbranch_execz .LBB360_646
; %bb.641:                              ;   in Loop: Header=BB360_516 Depth=1
	v_bfrev_b32_e32 v57, 1
	s_mov_b32 s14, exec_lo
	v_cmpx_ne_u16_e32 0x80, v18
	s_cbranch_execz .LBB360_645
; %bb.642:                              ;   in Loop: Header=BB360_516 Depth=1
	v_and_b32_e32 v18, 0x7f, v0
	v_mov_b32_e32 v57, 0x7f800001
	s_mov_b32 s15, exec_lo
	s_delay_alu instid0(VALU_DEP_2)
	v_cmpx_ne_u32_e32 0x7f, v18
	s_cbranch_execz .LBB360_644
; %bb.643:                              ;   in Loop: Header=BB360_516 Depth=1
	v_dual_lshrrev_b32 v27, 3, v18 :: v_dual_bitop2_b32 v26, 7, v0 bitop3:0x40
	v_cmp_gt_u32_e64 s0, 8, v18
	s_delay_alu instid0(VALU_DEP_2) | instskip(NEXT) | instid1(VALU_DEP_1)
	v_clz_i32_u32_e32 v26, v26
	v_min_u32_e32 v26, 32, v26
	s_delay_alu instid0(VALU_DEP_1) | instskip(SKIP_1) | instid1(VALU_DEP_1)
	v_subrev_nc_u32_e32 v57, 28, v26
	v_sub_nc_u32_e32 v26, 29, v26
	v_dual_cndmask_b32 v18, v27, v26, s0 :: v_dual_cndmask_b32 v26, 0, v57, s0
	s_delay_alu instid0(VALU_DEP_1) | instskip(NEXT) | instid1(VALU_DEP_2)
	v_lshl_add_u32 v18, v18, 23, 0x3c000000
	v_lshlrev_b64_e32 v[26:27], v26, v[0:1]
	v_lshlrev_b32_e32 v27, 24, v0
	s_delay_alu instid0(VALU_DEP_1) | instskip(NEXT) | instid1(VALU_DEP_3)
	v_and_b32_e32 v27, 0x80000000, v27
	v_lshlrev_b32_e32 v26, 20, v26
	s_delay_alu instid0(VALU_DEP_1) | instskip(NEXT) | instid1(VALU_DEP_1)
	v_and_b32_e32 v26, 0x700000, v26
	v_or3_b32 v57, v26, v27, v18
.LBB360_644:                            ;   in Loop: Header=BB360_516 Depth=1
	s_or_b32 exec_lo, exec_lo, s15
.LBB360_645:                            ;   in Loop: Header=BB360_516 Depth=1
	s_delay_alu instid0(SALU_CYCLE_1)
	s_or_b32 exec_lo, exec_lo, s14
.LBB360_646:                            ;   in Loop: Header=BB360_516 Depth=1
	s_delay_alu instid0(SALU_CYCLE_1) | instskip(SKIP_2) | instid1(VALU_DEP_1)
	s_or_b32 exec_lo, exec_lo, s11
	v_lshrrev_b16 v18, 8, v0
	s_mov_b32 s11, exec_lo
	v_cmpx_ne_u16_e32 0, v18
	s_cbranch_execz .LBB360_654
; %bb.647:                              ;   in Loop: Header=BB360_516 Depth=1
	v_bfrev_b32_e32 v58, 1
	s_mov_b32 s14, exec_lo
	v_cmpx_ne_u16_e32 0x80, v18
	s_cbranch_execz .LBB360_653
; %bb.648:                              ;   in Loop: Header=BB360_516 Depth=1
	v_and_b32_e32 v18, 0xffff, v18
	v_mov_b32_e32 v58, 0x7f800001
	s_mov_b32 s15, exec_lo
	s_delay_alu instid0(VALU_DEP_2) | instskip(NEXT) | instid1(VALU_DEP_1)
	v_and_b32_e32 v27, 0x7f, v18
	v_cmpx_ne_u32_e32 0x7f, v27
	s_cbranch_execz .LBB360_652
; %bb.649:                              ;   in Loop: Header=BB360_516 Depth=1
	v_dual_lshrrev_b32 v26, 3, v27 :: v_dual_bitop2_b32 v18, 7, v18 bitop3:0x40
	s_mov_b32 s16, exec_lo
	v_cmpx_gt_u32_e32 8, v27
; %bb.650:                              ;   in Loop: Header=BB360_516 Depth=1
	s_delay_alu instid0(VALU_DEP_2) | instskip(NEXT) | instid1(VALU_DEP_1)
	v_clz_i32_u32_e32 v26, v18
	v_min_u32_e32 v26, 32, v26
	s_delay_alu instid0(VALU_DEP_1) | instskip(SKIP_1) | instid1(VALU_DEP_2)
	v_subrev_nc_u32_e32 v27, 28, v26
	v_sub_nc_u32_e32 v26, 29, v26
	v_lshlrev_b64_e32 v[58:59], v27, v[18:19]
	s_delay_alu instid0(VALU_DEP_1)
	v_and_b32_e32 v18, 7, v58
; %bb.651:                              ;   in Loop: Header=BB360_516 Depth=1
	s_or_b32 exec_lo, exec_lo, s16
	s_delay_alu instid0(VALU_DEP_1) | instskip(SKIP_1) | instid1(VALU_DEP_2)
	v_dual_lshlrev_b32 v27, 16, v0 :: v_dual_lshlrev_b32 v18, 20, v18
	v_lshl_add_u32 v26, v26, 23, 0x3c000000
	v_and_b32_e32 v27, 0x80000000, v27
	s_delay_alu instid0(VALU_DEP_1)
	v_or3_b32 v58, v18, v27, v26
.LBB360_652:                            ;   in Loop: Header=BB360_516 Depth=1
	s_or_b32 exec_lo, exec_lo, s15
.LBB360_653:                            ;   in Loop: Header=BB360_516 Depth=1
	s_delay_alu instid0(SALU_CYCLE_1)
	s_or_b32 exec_lo, exec_lo, s14
.LBB360_654:                            ;   in Loop: Header=BB360_516 Depth=1
	s_delay_alu instid0(SALU_CYCLE_1) | instskip(SKIP_3) | instid1(VALU_DEP_2)
	s_or_b32 exec_lo, exec_lo, s11
	v_dual_mov_b32 v61, 0 :: v_dual_lshrrev_b32 v26, 16, v0
	v_mov_b32_e32 v62, 0
	s_mov_b32 s11, exec_lo
	v_and_b32_e32 v18, 0xff, v26
	s_delay_alu instid0(VALU_DEP_1)
	v_cmpx_ne_u16_e32 0, v18
	s_cbranch_execz .LBB360_662
; %bb.655:                              ;   in Loop: Header=BB360_516 Depth=1
	v_bfrev_b32_e32 v62, 1
	s_mov_b32 s14, exec_lo
	v_cmpx_ne_u16_e32 0x80, v18
	s_cbranch_execz .LBB360_661
; %bb.656:                              ;   in Loop: Header=BB360_516 Depth=1
	v_bfe_u32 v59, v0, 16, 7
	v_mov_b32_e32 v62, 0x7f800001
	s_mov_b32 s15, exec_lo
	s_delay_alu instid0(VALU_DEP_2)
	v_cmpx_ne_u32_e32 0x7f, v59
	s_cbranch_execz .LBB360_660
; %bb.657:                              ;   in Loop: Header=BB360_516 Depth=1
	v_dual_lshrrev_b32 v27, 3, v59 :: v_dual_bitop2_b32 v18, 7, v26 bitop3:0x40
	s_mov_b32 s16, exec_lo
	v_cmpx_gt_u32_e32 8, v59
; %bb.658:                              ;   in Loop: Header=BB360_516 Depth=1
	s_delay_alu instid0(VALU_DEP_2) | instskip(NEXT) | instid1(VALU_DEP_1)
	v_clz_i32_u32_e32 v27, v18
	v_min_u32_e32 v27, 32, v27
	s_delay_alu instid0(VALU_DEP_1) | instskip(NEXT) | instid1(VALU_DEP_1)
	v_subrev_nc_u32_e32 v59, 28, v27
	v_lshlrev_b64_e32 v[62:63], v59, v[18:19]
	s_delay_alu instid0(VALU_DEP_1)
	v_dual_sub_nc_u32 v27, 29, v27 :: v_dual_bitop2_b32 v18, 7, v62 bitop3:0x40
; %bb.659:                              ;   in Loop: Header=BB360_516 Depth=1
	s_or_b32 exec_lo, exec_lo, s16
	v_lshlrev_b32_e32 v26, 24, v26
	s_delay_alu instid0(VALU_DEP_2) | instskip(NEXT) | instid1(VALU_DEP_3)
	v_lshlrev_b32_e32 v18, 20, v18
	v_lshl_add_u32 v27, v27, 23, 0x3c000000
	s_delay_alu instid0(VALU_DEP_3) | instskip(NEXT) | instid1(VALU_DEP_1)
	v_and_b32_e32 v26, 0x80000000, v26
	v_or3_b32 v62, v18, v26, v27
.LBB360_660:                            ;   in Loop: Header=BB360_516 Depth=1
	s_or_b32 exec_lo, exec_lo, s15
.LBB360_661:                            ;   in Loop: Header=BB360_516 Depth=1
	s_delay_alu instid0(SALU_CYCLE_1)
	s_or_b32 exec_lo, exec_lo, s14
.LBB360_662:                            ;   in Loop: Header=BB360_516 Depth=1
	s_delay_alu instid0(SALU_CYCLE_1) | instskip(NEXT) | instid1(SALU_CYCLE_1)
	s_or_b32 exec_lo, exec_lo, s11
	s_mov_b32 s11, exec_lo
	v_cmpx_lt_u32_e32 0xffffff, v0
	s_cbranch_execz .LBB360_670
; %bb.663:                              ;   in Loop: Header=BB360_516 Depth=1
	v_lshrrev_b32_e32 v26, 24, v0
	v_bfrev_b32_e32 v61, 1
	s_mov_b32 s14, exec_lo
	s_delay_alu instid0(VALU_DEP_2)
	v_cmpx_ne_u32_e32 0x80, v26
	s_cbranch_execz .LBB360_669
; %bb.664:                              ;   in Loop: Header=BB360_516 Depth=1
	v_bfe_u32 v59, v0, 24, 7
	v_mov_b32_e32 v61, 0x7f800001
	s_mov_b32 s15, exec_lo
	s_delay_alu instid0(VALU_DEP_2)
	v_cmpx_ne_u32_e32 0x7f, v59
	s_cbranch_execz .LBB360_668
; %bb.665:                              ;   in Loop: Header=BB360_516 Depth=1
	v_dual_lshrrev_b32 v27, 3, v59 :: v_dual_bitop2_b32 v18, 7, v26 bitop3:0x40
	s_mov_b32 s16, exec_lo
	v_cmpx_gt_u32_e32 8, v59
; %bb.666:                              ;   in Loop: Header=BB360_516 Depth=1
	s_delay_alu instid0(VALU_DEP_2) | instskip(NEXT) | instid1(VALU_DEP_1)
	v_clz_i32_u32_e32 v27, v18
	v_min_u32_e32 v27, 32, v27
	s_delay_alu instid0(VALU_DEP_1) | instskip(NEXT) | instid1(VALU_DEP_1)
	v_subrev_nc_u32_e32 v59, 28, v27
	v_lshlrev_b64_e32 v[60:61], v59, v[18:19]
	s_delay_alu instid0(VALU_DEP_1)
	v_dual_sub_nc_u32 v27, 29, v27 :: v_dual_bitop2_b32 v18, 7, v60 bitop3:0x40
; %bb.667:                              ;   in Loop: Header=BB360_516 Depth=1
	s_or_b32 exec_lo, exec_lo, s16
	v_lshlrev_b32_e32 v26, 24, v26
	s_delay_alu instid0(VALU_DEP_2) | instskip(NEXT) | instid1(VALU_DEP_3)
	v_lshlrev_b32_e32 v18, 20, v18
	v_lshl_add_u32 v27, v27, 23, 0x3c000000
	s_delay_alu instid0(VALU_DEP_3) | instskip(NEXT) | instid1(VALU_DEP_1)
	v_and_b32_e32 v26, 0x80000000, v26
	v_or3_b32 v61, v18, v26, v27
.LBB360_668:                            ;   in Loop: Header=BB360_516 Depth=1
	s_or_b32 exec_lo, exec_lo, s15
.LBB360_669:                            ;   in Loop: Header=BB360_516 Depth=1
	s_delay_alu instid0(SALU_CYCLE_1)
	s_or_b32 exec_lo, exec_lo, s14
.LBB360_670:                            ;   in Loop: Header=BB360_516 Depth=1
	s_delay_alu instid0(SALU_CYCLE_1) | instskip(SKIP_4) | instid1(VALU_DEP_3)
	s_or_b32 exec_lo, exec_lo, s11
	v_and_b32_e32 v27, 0xff, v1
	v_dual_mov_b32 v18, v1 :: v_dual_mov_b32 v26, 0
	v_mov_b32_e32 v60, 0
	s_mov_b32 s11, exec_lo
	v_cmpx_ne_u16_e32 0, v27
	s_cbranch_execz .LBB360_676
; %bb.671:                              ;   in Loop: Header=BB360_516 Depth=1
	v_bfrev_b32_e32 v60, 1
	s_mov_b32 s14, exec_lo
	v_cmpx_ne_u16_e32 0x80, v27
	s_cbranch_execz .LBB360_675
; %bb.672:                              ;   in Loop: Header=BB360_516 Depth=1
	v_and_b32_e32 v27, 0x7f, v1
	v_mov_b32_e32 v60, 0x7f800001
	s_mov_b32 s15, exec_lo
	s_delay_alu instid0(VALU_DEP_2)
	v_cmpx_ne_u32_e32 0x7f, v27
	s_cbranch_execz .LBB360_674
; %bb.673:                              ;   in Loop: Header=BB360_516 Depth=1
	v_dual_lshrrev_b32 v60, 3, v27 :: v_dual_bitop2_b32 v59, 7, v1 bitop3:0x40
	v_cmp_gt_u32_e64 s0, 8, v27
	s_delay_alu instid0(VALU_DEP_2) | instskip(NEXT) | instid1(VALU_DEP_1)
	v_clz_i32_u32_e32 v59, v59
	v_min_u32_e32 v59, 32, v59
	s_delay_alu instid0(VALU_DEP_1) | instskip(SKIP_1) | instid1(VALU_DEP_1)
	v_subrev_nc_u32_e32 v63, 28, v59
	v_sub_nc_u32_e32 v59, 29, v59
	v_cndmask_b32_e64 v27, v60, v59, s0
	s_delay_alu instid0(VALU_DEP_3) | instskip(NEXT) | instid1(VALU_DEP_1)
	v_cndmask_b32_e64 v59, 0, v63, s0
	v_lshlrev_b64_e32 v[64:65], v59, v[18:19]
	v_lshlrev_b32_e32 v59, 24, v18
	s_delay_alu instid0(VALU_DEP_4) | instskip(NEXT) | instid1(VALU_DEP_2)
	v_lshl_add_u32 v27, v27, 23, 0x3c000000
	v_and_b32_e32 v59, 0x80000000, v59
	s_delay_alu instid0(VALU_DEP_4) | instskip(NEXT) | instid1(VALU_DEP_1)
	v_lshlrev_b32_e32 v60, 20, v64
	v_and_b32_e32 v60, 0x700000, v60
	s_delay_alu instid0(VALU_DEP_1)
	v_or3_b32 v60, v60, v59, v27
.LBB360_674:                            ;   in Loop: Header=BB360_516 Depth=1
	s_or_b32 exec_lo, exec_lo, s15
.LBB360_675:                            ;   in Loop: Header=BB360_516 Depth=1
	s_delay_alu instid0(SALU_CYCLE_1)
	s_or_b32 exec_lo, exec_lo, s14
.LBB360_676:                            ;   in Loop: Header=BB360_516 Depth=1
	s_delay_alu instid0(SALU_CYCLE_1) | instskip(SKIP_2) | instid1(VALU_DEP_1)
	s_or_b32 exec_lo, exec_lo, s11
	v_lshrrev_b16 v27, 8, v18
	s_mov_b32 s11, exec_lo
	v_cmpx_ne_u16_e32 0, v27
	s_cbranch_execz .LBB360_684
; %bb.677:                              ;   in Loop: Header=BB360_516 Depth=1
	v_bfrev_b32_e32 v26, 1
	s_mov_b32 s14, exec_lo
	v_cmpx_ne_u16_e32 0x80, v27
	s_cbranch_execz .LBB360_683
; %bb.678:                              ;   in Loop: Header=BB360_516 Depth=1
	v_and_b32_e32 v27, 0xffff, v27
	v_mov_b32_e32 v26, 0x7f800001
	s_mov_b32 s15, exec_lo
	s_delay_alu instid0(VALU_DEP_2) | instskip(NEXT) | instid1(VALU_DEP_1)
	v_and_b32_e32 v63, 0x7f, v27
	v_cmpx_ne_u32_e32 0x7f, v63
	s_cbranch_execz .LBB360_682
; %bb.679:                              ;   in Loop: Header=BB360_516 Depth=1
	v_dual_mov_b32 v27, v19 :: v_dual_bitop2_b32 v26, 7, v27 bitop3:0x40
	v_lshrrev_b32_e32 v59, 3, v63
	s_mov_b32 s16, exec_lo
	v_cmpx_gt_u32_e32 8, v63
; %bb.680:                              ;   in Loop: Header=BB360_516 Depth=1
	s_delay_alu instid0(VALU_DEP_3) | instskip(NEXT) | instid1(VALU_DEP_1)
	v_clz_i32_u32_e32 v59, v26
	v_min_u32_e32 v59, 32, v59
	s_delay_alu instid0(VALU_DEP_1) | instskip(NEXT) | instid1(VALU_DEP_1)
	v_subrev_nc_u32_e32 v63, 28, v59
	v_lshlrev_b64_e32 v[26:27], v63, v[26:27]
	s_delay_alu instid0(VALU_DEP_1)
	v_dual_sub_nc_u32 v59, 29, v59 :: v_dual_bitop2_b32 v26, 7, v26 bitop3:0x40
; %bb.681:                              ;   in Loop: Header=BB360_516 Depth=1
	s_or_b32 exec_lo, exec_lo, s16
	v_lshlrev_b32_e32 v18, 16, v18
	s_delay_alu instid0(VALU_DEP_2) | instskip(NEXT) | instid1(VALU_DEP_3)
	v_lshlrev_b32_e32 v26, 20, v26
	v_lshl_add_u32 v27, v59, 23, 0x3c000000
	s_delay_alu instid0(VALU_DEP_3) | instskip(NEXT) | instid1(VALU_DEP_1)
	v_and_b32_e32 v18, 0x80000000, v18
	v_or3_b32 v26, v26, v18, v27
.LBB360_682:                            ;   in Loop: Header=BB360_516 Depth=1
	s_or_b32 exec_lo, exec_lo, s15
.LBB360_683:                            ;   in Loop: Header=BB360_516 Depth=1
	s_delay_alu instid0(SALU_CYCLE_1)
	s_or_b32 exec_lo, exec_lo, s14
.LBB360_684:                            ;   in Loop: Header=BB360_516 Depth=1
	s_delay_alu instid0(SALU_CYCLE_1) | instskip(SKIP_3) | instid1(VALU_DEP_2)
	s_or_b32 exec_lo, exec_lo, s11
	v_dual_lshrrev_b32 v59, 16, v1 :: v_dual_mov_b32 v27, 0
	v_mov_b32_e32 v65, 0
	s_mov_b32 s11, exec_lo
	v_and_b32_e32 v18, 0xff, v59
	s_delay_alu instid0(VALU_DEP_1)
	v_cmpx_ne_u16_e32 0, v18
	s_cbranch_execz .LBB360_692
; %bb.685:                              ;   in Loop: Header=BB360_516 Depth=1
	v_bfrev_b32_e32 v65, 1
	s_mov_b32 s14, exec_lo
	v_cmpx_ne_u16_e32 0x80, v18
	s_cbranch_execz .LBB360_691
; %bb.686:                              ;   in Loop: Header=BB360_516 Depth=1
	v_bfe_u32 v64, v1, 16, 7
	v_mov_b32_e32 v65, 0x7f800001
	s_mov_b32 s15, exec_lo
	s_delay_alu instid0(VALU_DEP_2)
	v_cmpx_ne_u32_e32 0x7f, v64
	s_cbranch_execz .LBB360_690
; %bb.687:                              ;   in Loop: Header=BB360_516 Depth=1
	v_dual_lshrrev_b32 v63, 3, v64 :: v_dual_bitop2_b32 v18, 7, v59 bitop3:0x40
	s_mov_b32 s16, exec_lo
	v_cmpx_gt_u32_e32 8, v64
; %bb.688:                              ;   in Loop: Header=BB360_516 Depth=1
	s_delay_alu instid0(VALU_DEP_2) | instskip(NEXT) | instid1(VALU_DEP_1)
	v_clz_i32_u32_e32 v63, v18
	v_min_u32_e32 v63, 32, v63
	s_delay_alu instid0(VALU_DEP_1) | instskip(NEXT) | instid1(VALU_DEP_1)
	v_subrev_nc_u32_e32 v64, 28, v63
	v_lshlrev_b64_e32 v[64:65], v64, v[18:19]
	s_delay_alu instid0(VALU_DEP_1)
	v_dual_sub_nc_u32 v63, 29, v63 :: v_dual_bitop2_b32 v18, 7, v64 bitop3:0x40
; %bb.689:                              ;   in Loop: Header=BB360_516 Depth=1
	s_or_b32 exec_lo, exec_lo, s16
	s_delay_alu instid0(VALU_DEP_1) | instskip(NEXT) | instid1(VALU_DEP_2)
	v_dual_lshlrev_b32 v59, 24, v59 :: v_dual_lshlrev_b32 v18, 20, v18
	v_lshl_add_u32 v63, v63, 23, 0x3c000000
	s_delay_alu instid0(VALU_DEP_2) | instskip(NEXT) | instid1(VALU_DEP_1)
	v_and_b32_e32 v59, 0x80000000, v59
	v_or3_b32 v65, v18, v59, v63
.LBB360_690:                            ;   in Loop: Header=BB360_516 Depth=1
	s_or_b32 exec_lo, exec_lo, s15
.LBB360_691:                            ;   in Loop: Header=BB360_516 Depth=1
	s_delay_alu instid0(SALU_CYCLE_1)
	s_or_b32 exec_lo, exec_lo, s14
.LBB360_692:                            ;   in Loop: Header=BB360_516 Depth=1
	s_delay_alu instid0(SALU_CYCLE_1) | instskip(NEXT) | instid1(SALU_CYCLE_1)
	s_or_b32 exec_lo, exec_lo, s11
	s_mov_b32 s11, exec_lo
	v_cmpx_lt_u64_e64 s[2:3], v[0:1]
	s_cbranch_execz .LBB360_700
; %bb.693:                              ;   in Loop: Header=BB360_516 Depth=1
	v_lshrrev_b32_e32 v0, 24, v1
	v_bfrev_b32_e32 v27, 1
	s_mov_b32 s14, exec_lo
	s_delay_alu instid0(VALU_DEP_2)
	v_cmpx_ne_u32_e32 0x80, v0
	s_cbranch_execz .LBB360_699
; %bb.694:                              ;   in Loop: Header=BB360_516 Depth=1
	v_bfe_u32 v59, v1, 24, 7
	v_mov_b32_e32 v27, 0x7f800001
	s_mov_b32 s15, exec_lo
	s_delay_alu instid0(VALU_DEP_2)
	v_cmpx_ne_u32_e32 0x7f, v59
	s_cbranch_execz .LBB360_698
; %bb.695:                              ;   in Loop: Header=BB360_516 Depth=1
	v_dual_lshrrev_b32 v1, 3, v59 :: v_dual_bitop2_b32 v18, 7, v0 bitop3:0x40
	s_mov_b32 s16, exec_lo
	v_cmpx_gt_u32_e32 8, v59
; %bb.696:                              ;   in Loop: Header=BB360_516 Depth=1
	s_delay_alu instid0(VALU_DEP_2) | instskip(NEXT) | instid1(VALU_DEP_1)
	v_clz_i32_u32_e32 v1, v18
	v_min_u32_e32 v1, 32, v1
	s_delay_alu instid0(VALU_DEP_1) | instskip(NEXT) | instid1(VALU_DEP_1)
	v_subrev_nc_u32_e32 v27, 28, v1
	v_lshlrev_b64_e32 v[66:67], v27, v[18:19]
	s_delay_alu instid0(VALU_DEP_1)
	v_dual_sub_nc_u32 v1, 29, v1 :: v_dual_bitop2_b32 v18, 7, v66 bitop3:0x40
; %bb.697:                              ;   in Loop: Header=BB360_516 Depth=1
	s_or_b32 exec_lo, exec_lo, s16
	s_delay_alu instid0(VALU_DEP_1) | instskip(NEXT) | instid1(VALU_DEP_2)
	v_dual_lshlrev_b32 v0, 24, v0 :: v_dual_lshlrev_b32 v18, 20, v18
	v_lshl_add_u32 v1, v1, 23, 0x3c000000
	s_delay_alu instid0(VALU_DEP_2) | instskip(NEXT) | instid1(VALU_DEP_1)
	v_and_b32_e32 v0, 0x80000000, v0
	v_or3_b32 v27, v18, v0, v1
.LBB360_698:                            ;   in Loop: Header=BB360_516 Depth=1
	s_or_b32 exec_lo, exec_lo, s15
.LBB360_699:                            ;   in Loop: Header=BB360_516 Depth=1
	s_delay_alu instid0(SALU_CYCLE_1)
	s_or_b32 exec_lo, exec_lo, s14
.LBB360_700:                            ;   in Loop: Header=BB360_516 Depth=1
	s_delay_alu instid0(SALU_CYCLE_1)
	s_or_b32 exec_lo, exec_lo, s11
	v_fma_mixlo_bf16 v59, s6, v26, 0
	v_fma_mixlo_bf16 v60, s6, v60, 0
	v_fma_mixlo_bf16 v61, s6, v61, 0
	v_fma_mixlo_bf16 v62, s6, v62, 0
	v_fma_mixlo_bf16 v63, s6, v58, 0
	v_fma_mixlo_bf16 v64, s6, v57, 0
	v_fma_mixlo_bf16 v57, s6, v65, 0
	v_fma_mixlo_bf16 v58, s6, v27, 0
	s_and_saveexec_b32 s11, vcc_lo
	s_cbranch_execz .LBB360_702
; %bb.701:                              ;   in Loop: Header=BB360_516 Depth=1
	v_cmp_gt_i32_e64 s0, s25, v42
	s_delay_alu instid0(VALU_DEP_1) | instskip(SKIP_1) | instid1(VALU_DEP_1)
	v_cndmask_b32_e64 v64, 0, v64, s0
	v_cmp_gt_i32_e64 s0, s25, v48
	v_cndmask_b32_e64 v63, 0, v63, s0
	v_cmp_gt_i32_e64 s0, s25, v47
	s_delay_alu instid0(VALU_DEP_1) | instskip(SKIP_1) | instid1(VALU_DEP_1)
	v_cndmask_b32_e64 v62, 0, v62, s0
	v_cmp_gt_i32_e64 s0, s25, v46
	v_cndmask_b32_e64 v61, 0, v61, s0
	;; [unrolled: 5-line block ×4, first 2 shown]
.LBB360_702:                            ;   in Loop: Header=BB360_516 Depth=1
	s_or_b32 exec_lo, exec_lo, s11
	global_load_b64 v[0:1], v[24:25], off offset:768
	v_dual_mov_b32 v66, 0 :: v_dual_mov_b32 v65, 0
	s_mov_b32 s11, exec_lo
	s_wait_loadcnt 0x0
	v_and_b32_e32 v18, 0xff, v0
	s_delay_alu instid0(VALU_DEP_1)
	v_cmpx_ne_u16_e32 0, v18
	s_cbranch_execz .LBB360_708
; %bb.703:                              ;   in Loop: Header=BB360_516 Depth=1
	v_bfrev_b32_e32 v65, 1
	s_mov_b32 s14, exec_lo
	v_cmpx_ne_u16_e32 0x80, v18
	s_cbranch_execz .LBB360_707
; %bb.704:                              ;   in Loop: Header=BB360_516 Depth=1
	v_and_b32_e32 v18, 0x7f, v0
	v_mov_b32_e32 v65, 0x7f800001
	s_mov_b32 s15, exec_lo
	s_delay_alu instid0(VALU_DEP_2)
	v_cmpx_ne_u32_e32 0x7f, v18
	s_cbranch_execz .LBB360_706
; %bb.705:                              ;   in Loop: Header=BB360_516 Depth=1
	v_dual_lshrrev_b32 v27, 3, v18 :: v_dual_bitop2_b32 v26, 7, v0 bitop3:0x40
	v_cmp_gt_u32_e64 s0, 8, v18
	s_delay_alu instid0(VALU_DEP_2) | instskip(NEXT) | instid1(VALU_DEP_1)
	v_clz_i32_u32_e32 v26, v26
	v_min_u32_e32 v26, 32, v26
	s_delay_alu instid0(VALU_DEP_1) | instskip(SKIP_1) | instid1(VALU_DEP_1)
	v_subrev_nc_u32_e32 v65, 28, v26
	v_sub_nc_u32_e32 v26, 29, v26
	v_dual_cndmask_b32 v18, v27, v26, s0 :: v_dual_cndmask_b32 v26, 0, v65, s0
	s_delay_alu instid0(VALU_DEP_1) | instskip(NEXT) | instid1(VALU_DEP_2)
	v_lshl_add_u32 v18, v18, 23, 0x3c000000
	v_lshlrev_b64_e32 v[26:27], v26, v[0:1]
	v_lshlrev_b32_e32 v27, 24, v0
	s_delay_alu instid0(VALU_DEP_1) | instskip(NEXT) | instid1(VALU_DEP_3)
	v_and_b32_e32 v27, 0x80000000, v27
	v_lshlrev_b32_e32 v26, 20, v26
	s_delay_alu instid0(VALU_DEP_1) | instskip(NEXT) | instid1(VALU_DEP_1)
	v_and_b32_e32 v26, 0x700000, v26
	v_or3_b32 v65, v26, v27, v18
.LBB360_706:                            ;   in Loop: Header=BB360_516 Depth=1
	s_or_b32 exec_lo, exec_lo, s15
.LBB360_707:                            ;   in Loop: Header=BB360_516 Depth=1
	s_delay_alu instid0(SALU_CYCLE_1)
	s_or_b32 exec_lo, exec_lo, s14
.LBB360_708:                            ;   in Loop: Header=BB360_516 Depth=1
	s_delay_alu instid0(SALU_CYCLE_1) | instskip(SKIP_2) | instid1(VALU_DEP_1)
	s_or_b32 exec_lo, exec_lo, s11
	v_lshrrev_b16 v18, 8, v0
	s_mov_b32 s11, exec_lo
	v_cmpx_ne_u16_e32 0, v18
	s_cbranch_execz .LBB360_716
; %bb.709:                              ;   in Loop: Header=BB360_516 Depth=1
	v_bfrev_b32_e32 v66, 1
	s_mov_b32 s14, exec_lo
	v_cmpx_ne_u16_e32 0x80, v18
	s_cbranch_execz .LBB360_715
; %bb.710:                              ;   in Loop: Header=BB360_516 Depth=1
	v_and_b32_e32 v18, 0xffff, v18
	v_mov_b32_e32 v66, 0x7f800001
	s_mov_b32 s15, exec_lo
	s_delay_alu instid0(VALU_DEP_2) | instskip(NEXT) | instid1(VALU_DEP_1)
	v_and_b32_e32 v27, 0x7f, v18
	v_cmpx_ne_u32_e32 0x7f, v27
	s_cbranch_execz .LBB360_714
; %bb.711:                              ;   in Loop: Header=BB360_516 Depth=1
	v_dual_lshrrev_b32 v26, 3, v27 :: v_dual_bitop2_b32 v18, 7, v18 bitop3:0x40
	s_mov_b32 s16, exec_lo
	v_cmpx_gt_u32_e32 8, v27
; %bb.712:                              ;   in Loop: Header=BB360_516 Depth=1
	s_delay_alu instid0(VALU_DEP_2) | instskip(NEXT) | instid1(VALU_DEP_1)
	v_clz_i32_u32_e32 v26, v18
	v_min_u32_e32 v26, 32, v26
	s_delay_alu instid0(VALU_DEP_1) | instskip(SKIP_1) | instid1(VALU_DEP_2)
	v_subrev_nc_u32_e32 v27, 28, v26
	v_sub_nc_u32_e32 v26, 29, v26
	v_lshlrev_b64_e32 v[66:67], v27, v[18:19]
	s_delay_alu instid0(VALU_DEP_1)
	v_and_b32_e32 v18, 7, v66
; %bb.713:                              ;   in Loop: Header=BB360_516 Depth=1
	s_or_b32 exec_lo, exec_lo, s16
	s_delay_alu instid0(VALU_DEP_1) | instskip(SKIP_1) | instid1(VALU_DEP_2)
	v_dual_lshlrev_b32 v27, 16, v0 :: v_dual_lshlrev_b32 v18, 20, v18
	v_lshl_add_u32 v26, v26, 23, 0x3c000000
	v_and_b32_e32 v27, 0x80000000, v27
	s_delay_alu instid0(VALU_DEP_1)
	v_or3_b32 v66, v18, v27, v26
.LBB360_714:                            ;   in Loop: Header=BB360_516 Depth=1
	s_or_b32 exec_lo, exec_lo, s15
.LBB360_715:                            ;   in Loop: Header=BB360_516 Depth=1
	s_delay_alu instid0(SALU_CYCLE_1)
	s_or_b32 exec_lo, exec_lo, s14
.LBB360_716:                            ;   in Loop: Header=BB360_516 Depth=1
	s_delay_alu instid0(SALU_CYCLE_1) | instskip(SKIP_3) | instid1(VALU_DEP_2)
	s_or_b32 exec_lo, exec_lo, s11
	v_dual_mov_b32 v69, 0 :: v_dual_lshrrev_b32 v26, 16, v0
	v_mov_b32_e32 v70, 0
	s_mov_b32 s11, exec_lo
	v_and_b32_e32 v18, 0xff, v26
	s_delay_alu instid0(VALU_DEP_1)
	v_cmpx_ne_u16_e32 0, v18
	s_cbranch_execz .LBB360_724
; %bb.717:                              ;   in Loop: Header=BB360_516 Depth=1
	v_bfrev_b32_e32 v70, 1
	s_mov_b32 s14, exec_lo
	v_cmpx_ne_u16_e32 0x80, v18
	s_cbranch_execz .LBB360_723
; %bb.718:                              ;   in Loop: Header=BB360_516 Depth=1
	v_bfe_u32 v67, v0, 16, 7
	v_mov_b32_e32 v70, 0x7f800001
	s_mov_b32 s15, exec_lo
	s_delay_alu instid0(VALU_DEP_2)
	v_cmpx_ne_u32_e32 0x7f, v67
	s_cbranch_execz .LBB360_722
; %bb.719:                              ;   in Loop: Header=BB360_516 Depth=1
	v_dual_lshrrev_b32 v27, 3, v67 :: v_dual_bitop2_b32 v18, 7, v26 bitop3:0x40
	s_mov_b32 s16, exec_lo
	v_cmpx_gt_u32_e32 8, v67
; %bb.720:                              ;   in Loop: Header=BB360_516 Depth=1
	s_delay_alu instid0(VALU_DEP_2) | instskip(NEXT) | instid1(VALU_DEP_1)
	v_clz_i32_u32_e32 v27, v18
	v_min_u32_e32 v27, 32, v27
	s_delay_alu instid0(VALU_DEP_1) | instskip(NEXT) | instid1(VALU_DEP_1)
	v_subrev_nc_u32_e32 v67, 28, v27
	v_lshlrev_b64_e32 v[70:71], v67, v[18:19]
	s_delay_alu instid0(VALU_DEP_1)
	v_dual_sub_nc_u32 v27, 29, v27 :: v_dual_bitop2_b32 v18, 7, v70 bitop3:0x40
; %bb.721:                              ;   in Loop: Header=BB360_516 Depth=1
	s_or_b32 exec_lo, exec_lo, s16
	v_lshlrev_b32_e32 v26, 24, v26
	s_delay_alu instid0(VALU_DEP_2) | instskip(NEXT) | instid1(VALU_DEP_3)
	v_lshlrev_b32_e32 v18, 20, v18
	v_lshl_add_u32 v27, v27, 23, 0x3c000000
	s_delay_alu instid0(VALU_DEP_3) | instskip(NEXT) | instid1(VALU_DEP_1)
	v_and_b32_e32 v26, 0x80000000, v26
	v_or3_b32 v70, v18, v26, v27
.LBB360_722:                            ;   in Loop: Header=BB360_516 Depth=1
	s_or_b32 exec_lo, exec_lo, s15
.LBB360_723:                            ;   in Loop: Header=BB360_516 Depth=1
	s_delay_alu instid0(SALU_CYCLE_1)
	s_or_b32 exec_lo, exec_lo, s14
.LBB360_724:                            ;   in Loop: Header=BB360_516 Depth=1
	s_delay_alu instid0(SALU_CYCLE_1) | instskip(NEXT) | instid1(SALU_CYCLE_1)
	s_or_b32 exec_lo, exec_lo, s11
	s_mov_b32 s11, exec_lo
	v_cmpx_lt_u32_e32 0xffffff, v0
	s_cbranch_execz .LBB360_732
; %bb.725:                              ;   in Loop: Header=BB360_516 Depth=1
	v_lshrrev_b32_e32 v26, 24, v0
	v_bfrev_b32_e32 v69, 1
	s_mov_b32 s14, exec_lo
	s_delay_alu instid0(VALU_DEP_2)
	v_cmpx_ne_u32_e32 0x80, v26
	s_cbranch_execz .LBB360_731
; %bb.726:                              ;   in Loop: Header=BB360_516 Depth=1
	v_bfe_u32 v67, v0, 24, 7
	v_mov_b32_e32 v69, 0x7f800001
	s_mov_b32 s15, exec_lo
	s_delay_alu instid0(VALU_DEP_2)
	v_cmpx_ne_u32_e32 0x7f, v67
	s_cbranch_execz .LBB360_730
; %bb.727:                              ;   in Loop: Header=BB360_516 Depth=1
	v_dual_lshrrev_b32 v27, 3, v67 :: v_dual_bitop2_b32 v18, 7, v26 bitop3:0x40
	s_mov_b32 s16, exec_lo
	v_cmpx_gt_u32_e32 8, v67
; %bb.728:                              ;   in Loop: Header=BB360_516 Depth=1
	s_delay_alu instid0(VALU_DEP_2) | instskip(NEXT) | instid1(VALU_DEP_1)
	v_clz_i32_u32_e32 v27, v18
	v_min_u32_e32 v27, 32, v27
	s_delay_alu instid0(VALU_DEP_1) | instskip(NEXT) | instid1(VALU_DEP_1)
	v_subrev_nc_u32_e32 v67, 28, v27
	v_lshlrev_b64_e32 v[68:69], v67, v[18:19]
	s_delay_alu instid0(VALU_DEP_1)
	v_dual_sub_nc_u32 v27, 29, v27 :: v_dual_bitop2_b32 v18, 7, v68 bitop3:0x40
; %bb.729:                              ;   in Loop: Header=BB360_516 Depth=1
	s_or_b32 exec_lo, exec_lo, s16
	v_lshlrev_b32_e32 v26, 24, v26
	s_delay_alu instid0(VALU_DEP_2) | instskip(NEXT) | instid1(VALU_DEP_3)
	v_lshlrev_b32_e32 v18, 20, v18
	v_lshl_add_u32 v27, v27, 23, 0x3c000000
	s_delay_alu instid0(VALU_DEP_3) | instskip(NEXT) | instid1(VALU_DEP_1)
	v_and_b32_e32 v26, 0x80000000, v26
	v_or3_b32 v69, v18, v26, v27
.LBB360_730:                            ;   in Loop: Header=BB360_516 Depth=1
	s_or_b32 exec_lo, exec_lo, s15
.LBB360_731:                            ;   in Loop: Header=BB360_516 Depth=1
	s_delay_alu instid0(SALU_CYCLE_1)
	s_or_b32 exec_lo, exec_lo, s14
.LBB360_732:                            ;   in Loop: Header=BB360_516 Depth=1
	s_delay_alu instid0(SALU_CYCLE_1) | instskip(SKIP_4) | instid1(VALU_DEP_3)
	s_or_b32 exec_lo, exec_lo, s11
	v_and_b32_e32 v27, 0xff, v1
	v_dual_mov_b32 v18, v1 :: v_dual_mov_b32 v26, 0
	v_mov_b32_e32 v68, 0
	s_mov_b32 s11, exec_lo
	v_cmpx_ne_u16_e32 0, v27
	s_cbranch_execz .LBB360_738
; %bb.733:                              ;   in Loop: Header=BB360_516 Depth=1
	v_bfrev_b32_e32 v68, 1
	s_mov_b32 s14, exec_lo
	v_cmpx_ne_u16_e32 0x80, v27
	s_cbranch_execz .LBB360_737
; %bb.734:                              ;   in Loop: Header=BB360_516 Depth=1
	v_and_b32_e32 v27, 0x7f, v1
	v_mov_b32_e32 v68, 0x7f800001
	s_mov_b32 s15, exec_lo
	s_delay_alu instid0(VALU_DEP_2)
	v_cmpx_ne_u32_e32 0x7f, v27
	s_cbranch_execz .LBB360_736
; %bb.735:                              ;   in Loop: Header=BB360_516 Depth=1
	v_dual_lshrrev_b32 v68, 3, v27 :: v_dual_bitop2_b32 v67, 7, v1 bitop3:0x40
	v_cmp_gt_u32_e64 s0, 8, v27
	s_delay_alu instid0(VALU_DEP_2) | instskip(NEXT) | instid1(VALU_DEP_1)
	v_clz_i32_u32_e32 v67, v67
	v_min_u32_e32 v67, 32, v67
	s_delay_alu instid0(VALU_DEP_1) | instskip(SKIP_1) | instid1(VALU_DEP_1)
	v_subrev_nc_u32_e32 v71, 28, v67
	v_sub_nc_u32_e32 v67, 29, v67
	v_cndmask_b32_e64 v27, v68, v67, s0
	s_delay_alu instid0(VALU_DEP_3) | instskip(NEXT) | instid1(VALU_DEP_1)
	v_cndmask_b32_e64 v67, 0, v71, s0
	v_lshlrev_b64_e32 v[72:73], v67, v[18:19]
	v_lshlrev_b32_e32 v67, 24, v18
	s_delay_alu instid0(VALU_DEP_4) | instskip(NEXT) | instid1(VALU_DEP_2)
	v_lshl_add_u32 v27, v27, 23, 0x3c000000
	v_and_b32_e32 v67, 0x80000000, v67
	s_delay_alu instid0(VALU_DEP_4) | instskip(NEXT) | instid1(VALU_DEP_1)
	v_lshlrev_b32_e32 v68, 20, v72
	v_and_b32_e32 v68, 0x700000, v68
	s_delay_alu instid0(VALU_DEP_1)
	v_or3_b32 v68, v68, v67, v27
.LBB360_736:                            ;   in Loop: Header=BB360_516 Depth=1
	s_or_b32 exec_lo, exec_lo, s15
.LBB360_737:                            ;   in Loop: Header=BB360_516 Depth=1
	s_delay_alu instid0(SALU_CYCLE_1)
	s_or_b32 exec_lo, exec_lo, s14
.LBB360_738:                            ;   in Loop: Header=BB360_516 Depth=1
	s_delay_alu instid0(SALU_CYCLE_1) | instskip(SKIP_2) | instid1(VALU_DEP_1)
	s_or_b32 exec_lo, exec_lo, s11
	v_lshrrev_b16 v27, 8, v18
	s_mov_b32 s11, exec_lo
	v_cmpx_ne_u16_e32 0, v27
	s_cbranch_execz .LBB360_746
; %bb.739:                              ;   in Loop: Header=BB360_516 Depth=1
	v_bfrev_b32_e32 v26, 1
	s_mov_b32 s14, exec_lo
	v_cmpx_ne_u16_e32 0x80, v27
	s_cbranch_execz .LBB360_745
; %bb.740:                              ;   in Loop: Header=BB360_516 Depth=1
	v_and_b32_e32 v27, 0xffff, v27
	v_mov_b32_e32 v26, 0x7f800001
	s_mov_b32 s15, exec_lo
	s_delay_alu instid0(VALU_DEP_2) | instskip(NEXT) | instid1(VALU_DEP_1)
	v_and_b32_e32 v71, 0x7f, v27
	v_cmpx_ne_u32_e32 0x7f, v71
	s_cbranch_execz .LBB360_744
; %bb.741:                              ;   in Loop: Header=BB360_516 Depth=1
	v_dual_mov_b32 v27, v19 :: v_dual_bitop2_b32 v26, 7, v27 bitop3:0x40
	v_lshrrev_b32_e32 v67, 3, v71
	s_mov_b32 s16, exec_lo
	v_cmpx_gt_u32_e32 8, v71
; %bb.742:                              ;   in Loop: Header=BB360_516 Depth=1
	s_delay_alu instid0(VALU_DEP_3) | instskip(NEXT) | instid1(VALU_DEP_1)
	v_clz_i32_u32_e32 v67, v26
	v_min_u32_e32 v67, 32, v67
	s_delay_alu instid0(VALU_DEP_1) | instskip(NEXT) | instid1(VALU_DEP_1)
	v_subrev_nc_u32_e32 v71, 28, v67
	v_lshlrev_b64_e32 v[26:27], v71, v[26:27]
	s_delay_alu instid0(VALU_DEP_1)
	v_dual_sub_nc_u32 v67, 29, v67 :: v_dual_bitop2_b32 v26, 7, v26 bitop3:0x40
; %bb.743:                              ;   in Loop: Header=BB360_516 Depth=1
	s_or_b32 exec_lo, exec_lo, s16
	v_lshlrev_b32_e32 v18, 16, v18
	s_delay_alu instid0(VALU_DEP_2) | instskip(NEXT) | instid1(VALU_DEP_3)
	v_lshlrev_b32_e32 v26, 20, v26
	v_lshl_add_u32 v27, v67, 23, 0x3c000000
	s_delay_alu instid0(VALU_DEP_3) | instskip(NEXT) | instid1(VALU_DEP_1)
	v_and_b32_e32 v18, 0x80000000, v18
	v_or3_b32 v26, v26, v18, v27
.LBB360_744:                            ;   in Loop: Header=BB360_516 Depth=1
	s_or_b32 exec_lo, exec_lo, s15
.LBB360_745:                            ;   in Loop: Header=BB360_516 Depth=1
	s_delay_alu instid0(SALU_CYCLE_1)
	s_or_b32 exec_lo, exec_lo, s14
.LBB360_746:                            ;   in Loop: Header=BB360_516 Depth=1
	s_delay_alu instid0(SALU_CYCLE_1) | instskip(SKIP_3) | instid1(VALU_DEP_2)
	s_or_b32 exec_lo, exec_lo, s11
	v_dual_lshrrev_b32 v67, 16, v1 :: v_dual_mov_b32 v27, 0
	v_mov_b32_e32 v73, 0
	s_mov_b32 s11, exec_lo
	v_and_b32_e32 v18, 0xff, v67
	s_delay_alu instid0(VALU_DEP_1)
	v_cmpx_ne_u16_e32 0, v18
	s_cbranch_execz .LBB360_754
; %bb.747:                              ;   in Loop: Header=BB360_516 Depth=1
	v_bfrev_b32_e32 v73, 1
	s_mov_b32 s14, exec_lo
	v_cmpx_ne_u16_e32 0x80, v18
	s_cbranch_execz .LBB360_753
; %bb.748:                              ;   in Loop: Header=BB360_516 Depth=1
	v_bfe_u32 v72, v1, 16, 7
	v_mov_b32_e32 v73, 0x7f800001
	s_mov_b32 s15, exec_lo
	s_delay_alu instid0(VALU_DEP_2)
	v_cmpx_ne_u32_e32 0x7f, v72
	s_cbranch_execz .LBB360_752
; %bb.749:                              ;   in Loop: Header=BB360_516 Depth=1
	v_dual_lshrrev_b32 v71, 3, v72 :: v_dual_bitop2_b32 v18, 7, v67 bitop3:0x40
	s_mov_b32 s16, exec_lo
	v_cmpx_gt_u32_e32 8, v72
; %bb.750:                              ;   in Loop: Header=BB360_516 Depth=1
	s_delay_alu instid0(VALU_DEP_2) | instskip(NEXT) | instid1(VALU_DEP_1)
	v_clz_i32_u32_e32 v71, v18
	v_min_u32_e32 v71, 32, v71
	s_delay_alu instid0(VALU_DEP_1) | instskip(NEXT) | instid1(VALU_DEP_1)
	v_subrev_nc_u32_e32 v72, 28, v71
	v_lshlrev_b64_e32 v[72:73], v72, v[18:19]
	s_delay_alu instid0(VALU_DEP_1)
	v_dual_sub_nc_u32 v71, 29, v71 :: v_dual_bitop2_b32 v18, 7, v72 bitop3:0x40
; %bb.751:                              ;   in Loop: Header=BB360_516 Depth=1
	s_or_b32 exec_lo, exec_lo, s16
	s_delay_alu instid0(VALU_DEP_1) | instskip(NEXT) | instid1(VALU_DEP_2)
	v_dual_lshlrev_b32 v67, 24, v67 :: v_dual_lshlrev_b32 v18, 20, v18
	v_lshl_add_u32 v71, v71, 23, 0x3c000000
	s_delay_alu instid0(VALU_DEP_2) | instskip(NEXT) | instid1(VALU_DEP_1)
	v_and_b32_e32 v67, 0x80000000, v67
	v_or3_b32 v73, v18, v67, v71
.LBB360_752:                            ;   in Loop: Header=BB360_516 Depth=1
	s_or_b32 exec_lo, exec_lo, s15
.LBB360_753:                            ;   in Loop: Header=BB360_516 Depth=1
	s_delay_alu instid0(SALU_CYCLE_1)
	s_or_b32 exec_lo, exec_lo, s14
.LBB360_754:                            ;   in Loop: Header=BB360_516 Depth=1
	s_delay_alu instid0(SALU_CYCLE_1) | instskip(NEXT) | instid1(SALU_CYCLE_1)
	s_or_b32 exec_lo, exec_lo, s11
	s_mov_b32 s11, exec_lo
	v_cmpx_lt_u64_e64 s[2:3], v[0:1]
	s_cbranch_execz .LBB360_762
; %bb.755:                              ;   in Loop: Header=BB360_516 Depth=1
	v_lshrrev_b32_e32 v0, 24, v1
	v_bfrev_b32_e32 v27, 1
	s_mov_b32 s14, exec_lo
	s_delay_alu instid0(VALU_DEP_2)
	v_cmpx_ne_u32_e32 0x80, v0
	s_cbranch_execz .LBB360_761
; %bb.756:                              ;   in Loop: Header=BB360_516 Depth=1
	v_bfe_u32 v67, v1, 24, 7
	v_mov_b32_e32 v27, 0x7f800001
	s_mov_b32 s15, exec_lo
	s_delay_alu instid0(VALU_DEP_2)
	v_cmpx_ne_u32_e32 0x7f, v67
	s_cbranch_execz .LBB360_760
; %bb.757:                              ;   in Loop: Header=BB360_516 Depth=1
	v_dual_lshrrev_b32 v1, 3, v67 :: v_dual_bitop2_b32 v18, 7, v0 bitop3:0x40
	s_mov_b32 s16, exec_lo
	v_cmpx_gt_u32_e32 8, v67
; %bb.758:                              ;   in Loop: Header=BB360_516 Depth=1
	s_delay_alu instid0(VALU_DEP_2) | instskip(NEXT) | instid1(VALU_DEP_1)
	v_clz_i32_u32_e32 v1, v18
	v_min_u32_e32 v1, 32, v1
	s_delay_alu instid0(VALU_DEP_1) | instskip(NEXT) | instid1(VALU_DEP_1)
	v_subrev_nc_u32_e32 v27, 28, v1
	v_lshlrev_b64_e32 v[74:75], v27, v[18:19]
	s_delay_alu instid0(VALU_DEP_1)
	v_dual_sub_nc_u32 v1, 29, v1 :: v_dual_bitop2_b32 v18, 7, v74 bitop3:0x40
; %bb.759:                              ;   in Loop: Header=BB360_516 Depth=1
	s_or_b32 exec_lo, exec_lo, s16
	s_delay_alu instid0(VALU_DEP_1) | instskip(NEXT) | instid1(VALU_DEP_2)
	v_dual_lshlrev_b32 v0, 24, v0 :: v_dual_lshlrev_b32 v18, 20, v18
	v_lshl_add_u32 v1, v1, 23, 0x3c000000
	s_delay_alu instid0(VALU_DEP_2) | instskip(NEXT) | instid1(VALU_DEP_1)
	v_and_b32_e32 v0, 0x80000000, v0
	v_or3_b32 v27, v18, v0, v1
.LBB360_760:                            ;   in Loop: Header=BB360_516 Depth=1
	s_or_b32 exec_lo, exec_lo, s15
.LBB360_761:                            ;   in Loop: Header=BB360_516 Depth=1
	s_delay_alu instid0(SALU_CYCLE_1)
	s_or_b32 exec_lo, exec_lo, s14
.LBB360_762:                            ;   in Loop: Header=BB360_516 Depth=1
	s_delay_alu instid0(SALU_CYCLE_1)
	s_or_b32 exec_lo, exec_lo, s11
	v_fma_mixlo_bf16 v67, s6, v26, 0
	v_fma_mixlo_bf16 v68, s6, v68, 0
	;; [unrolled: 1-line block ×8, first 2 shown]
	s_and_saveexec_b32 s11, vcc_lo
	s_cbranch_execz .LBB360_764
; %bb.763:                              ;   in Loop: Header=BB360_516 Depth=1
	v_cmp_gt_i32_e64 s0, s25, v42
	s_delay_alu instid0(VALU_DEP_1) | instskip(SKIP_1) | instid1(VALU_DEP_1)
	v_cndmask_b32_e64 v72, 0, v72, s0
	v_cmp_gt_i32_e64 s0, s25, v48
	v_cndmask_b32_e64 v71, 0, v71, s0
	v_cmp_gt_i32_e64 s0, s25, v47
	s_delay_alu instid0(VALU_DEP_1) | instskip(SKIP_1) | instid1(VALU_DEP_1)
	v_cndmask_b32_e64 v70, 0, v70, s0
	v_cmp_gt_i32_e64 s0, s25, v46
	v_cndmask_b32_e64 v69, 0, v69, s0
	;; [unrolled: 5-line block ×4, first 2 shown]
.LBB360_764:                            ;   in Loop: Header=BB360_516 Depth=1
	s_or_b32 exec_lo, exec_lo, s11
	global_load_b64 v[0:1], v[24:25], off offset:1024
	v_dual_mov_b32 v74, 0 :: v_dual_mov_b32 v73, 0
	s_mov_b32 s11, exec_lo
	s_wait_loadcnt 0x0
	v_and_b32_e32 v18, 0xff, v0
	s_delay_alu instid0(VALU_DEP_1)
	v_cmpx_ne_u16_e32 0, v18
	s_cbranch_execz .LBB360_770
; %bb.765:                              ;   in Loop: Header=BB360_516 Depth=1
	v_bfrev_b32_e32 v73, 1
	s_mov_b32 s14, exec_lo
	v_cmpx_ne_u16_e32 0x80, v18
	s_cbranch_execz .LBB360_769
; %bb.766:                              ;   in Loop: Header=BB360_516 Depth=1
	v_and_b32_e32 v18, 0x7f, v0
	v_mov_b32_e32 v73, 0x7f800001
	s_mov_b32 s15, exec_lo
	s_delay_alu instid0(VALU_DEP_2)
	v_cmpx_ne_u32_e32 0x7f, v18
	s_cbranch_execz .LBB360_768
; %bb.767:                              ;   in Loop: Header=BB360_516 Depth=1
	v_dual_lshrrev_b32 v27, 3, v18 :: v_dual_bitop2_b32 v26, 7, v0 bitop3:0x40
	v_cmp_gt_u32_e64 s0, 8, v18
	s_delay_alu instid0(VALU_DEP_2) | instskip(NEXT) | instid1(VALU_DEP_1)
	v_clz_i32_u32_e32 v26, v26
	v_min_u32_e32 v26, 32, v26
	s_delay_alu instid0(VALU_DEP_1) | instskip(SKIP_1) | instid1(VALU_DEP_1)
	v_subrev_nc_u32_e32 v73, 28, v26
	v_sub_nc_u32_e32 v26, 29, v26
	v_dual_cndmask_b32 v18, v27, v26, s0 :: v_dual_cndmask_b32 v26, 0, v73, s0
	s_delay_alu instid0(VALU_DEP_1) | instskip(NEXT) | instid1(VALU_DEP_2)
	v_lshl_add_u32 v18, v18, 23, 0x3c000000
	v_lshlrev_b64_e32 v[26:27], v26, v[0:1]
	v_lshlrev_b32_e32 v27, 24, v0
	s_delay_alu instid0(VALU_DEP_1) | instskip(NEXT) | instid1(VALU_DEP_3)
	v_and_b32_e32 v27, 0x80000000, v27
	v_lshlrev_b32_e32 v26, 20, v26
	s_delay_alu instid0(VALU_DEP_1) | instskip(NEXT) | instid1(VALU_DEP_1)
	v_and_b32_e32 v26, 0x700000, v26
	v_or3_b32 v73, v26, v27, v18
.LBB360_768:                            ;   in Loop: Header=BB360_516 Depth=1
	s_or_b32 exec_lo, exec_lo, s15
.LBB360_769:                            ;   in Loop: Header=BB360_516 Depth=1
	s_delay_alu instid0(SALU_CYCLE_1)
	s_or_b32 exec_lo, exec_lo, s14
.LBB360_770:                            ;   in Loop: Header=BB360_516 Depth=1
	s_delay_alu instid0(SALU_CYCLE_1) | instskip(SKIP_2) | instid1(VALU_DEP_1)
	s_or_b32 exec_lo, exec_lo, s11
	v_lshrrev_b16 v18, 8, v0
	s_mov_b32 s11, exec_lo
	v_cmpx_ne_u16_e32 0, v18
	s_cbranch_execz .LBB360_778
; %bb.771:                              ;   in Loop: Header=BB360_516 Depth=1
	v_bfrev_b32_e32 v74, 1
	s_mov_b32 s14, exec_lo
	v_cmpx_ne_u16_e32 0x80, v18
	s_cbranch_execz .LBB360_777
; %bb.772:                              ;   in Loop: Header=BB360_516 Depth=1
	v_and_b32_e32 v18, 0xffff, v18
	v_mov_b32_e32 v74, 0x7f800001
	s_mov_b32 s15, exec_lo
	s_delay_alu instid0(VALU_DEP_2) | instskip(NEXT) | instid1(VALU_DEP_1)
	v_and_b32_e32 v27, 0x7f, v18
	v_cmpx_ne_u32_e32 0x7f, v27
	s_cbranch_execz .LBB360_776
; %bb.773:                              ;   in Loop: Header=BB360_516 Depth=1
	v_dual_lshrrev_b32 v26, 3, v27 :: v_dual_bitop2_b32 v18, 7, v18 bitop3:0x40
	s_mov_b32 s16, exec_lo
	v_cmpx_gt_u32_e32 8, v27
; %bb.774:                              ;   in Loop: Header=BB360_516 Depth=1
	s_delay_alu instid0(VALU_DEP_2) | instskip(NEXT) | instid1(VALU_DEP_1)
	v_clz_i32_u32_e32 v26, v18
	v_min_u32_e32 v26, 32, v26
	s_delay_alu instid0(VALU_DEP_1) | instskip(SKIP_1) | instid1(VALU_DEP_2)
	v_subrev_nc_u32_e32 v27, 28, v26
	v_sub_nc_u32_e32 v26, 29, v26
	v_lshlrev_b64_e32 v[74:75], v27, v[18:19]
	s_delay_alu instid0(VALU_DEP_1)
	v_and_b32_e32 v18, 7, v74
; %bb.775:                              ;   in Loop: Header=BB360_516 Depth=1
	s_or_b32 exec_lo, exec_lo, s16
	s_delay_alu instid0(VALU_DEP_1) | instskip(SKIP_1) | instid1(VALU_DEP_2)
	v_dual_lshlrev_b32 v27, 16, v0 :: v_dual_lshlrev_b32 v18, 20, v18
	v_lshl_add_u32 v26, v26, 23, 0x3c000000
	v_and_b32_e32 v27, 0x80000000, v27
	s_delay_alu instid0(VALU_DEP_1)
	v_or3_b32 v74, v18, v27, v26
.LBB360_776:                            ;   in Loop: Header=BB360_516 Depth=1
	s_or_b32 exec_lo, exec_lo, s15
.LBB360_777:                            ;   in Loop: Header=BB360_516 Depth=1
	s_delay_alu instid0(SALU_CYCLE_1)
	s_or_b32 exec_lo, exec_lo, s14
.LBB360_778:                            ;   in Loop: Header=BB360_516 Depth=1
	s_delay_alu instid0(SALU_CYCLE_1) | instskip(SKIP_3) | instid1(VALU_DEP_2)
	s_or_b32 exec_lo, exec_lo, s11
	v_dual_mov_b32 v77, 0 :: v_dual_lshrrev_b32 v26, 16, v0
	v_mov_b32_e32 v78, 0
	s_mov_b32 s11, exec_lo
	v_and_b32_e32 v18, 0xff, v26
	s_delay_alu instid0(VALU_DEP_1)
	v_cmpx_ne_u16_e32 0, v18
	s_cbranch_execz .LBB360_786
; %bb.779:                              ;   in Loop: Header=BB360_516 Depth=1
	v_bfrev_b32_e32 v78, 1
	s_mov_b32 s14, exec_lo
	v_cmpx_ne_u16_e32 0x80, v18
	s_cbranch_execz .LBB360_785
; %bb.780:                              ;   in Loop: Header=BB360_516 Depth=1
	v_bfe_u32 v75, v0, 16, 7
	v_mov_b32_e32 v78, 0x7f800001
	s_mov_b32 s15, exec_lo
	s_delay_alu instid0(VALU_DEP_2)
	v_cmpx_ne_u32_e32 0x7f, v75
	s_cbranch_execz .LBB360_784
; %bb.781:                              ;   in Loop: Header=BB360_516 Depth=1
	v_dual_lshrrev_b32 v27, 3, v75 :: v_dual_bitop2_b32 v18, 7, v26 bitop3:0x40
	s_mov_b32 s16, exec_lo
	v_cmpx_gt_u32_e32 8, v75
; %bb.782:                              ;   in Loop: Header=BB360_516 Depth=1
	s_delay_alu instid0(VALU_DEP_2) | instskip(NEXT) | instid1(VALU_DEP_1)
	v_clz_i32_u32_e32 v27, v18
	v_min_u32_e32 v27, 32, v27
	s_delay_alu instid0(VALU_DEP_1) | instskip(NEXT) | instid1(VALU_DEP_1)
	v_subrev_nc_u32_e32 v75, 28, v27
	v_lshlrev_b64_e32 v[78:79], v75, v[18:19]
	s_delay_alu instid0(VALU_DEP_1)
	v_dual_sub_nc_u32 v27, 29, v27 :: v_dual_bitop2_b32 v18, 7, v78 bitop3:0x40
; %bb.783:                              ;   in Loop: Header=BB360_516 Depth=1
	s_or_b32 exec_lo, exec_lo, s16
	v_lshlrev_b32_e32 v26, 24, v26
	s_delay_alu instid0(VALU_DEP_2) | instskip(NEXT) | instid1(VALU_DEP_3)
	v_lshlrev_b32_e32 v18, 20, v18
	v_lshl_add_u32 v27, v27, 23, 0x3c000000
	s_delay_alu instid0(VALU_DEP_3) | instskip(NEXT) | instid1(VALU_DEP_1)
	v_and_b32_e32 v26, 0x80000000, v26
	v_or3_b32 v78, v18, v26, v27
.LBB360_784:                            ;   in Loop: Header=BB360_516 Depth=1
	s_or_b32 exec_lo, exec_lo, s15
.LBB360_785:                            ;   in Loop: Header=BB360_516 Depth=1
	s_delay_alu instid0(SALU_CYCLE_1)
	s_or_b32 exec_lo, exec_lo, s14
.LBB360_786:                            ;   in Loop: Header=BB360_516 Depth=1
	s_delay_alu instid0(SALU_CYCLE_1) | instskip(NEXT) | instid1(SALU_CYCLE_1)
	s_or_b32 exec_lo, exec_lo, s11
	s_mov_b32 s11, exec_lo
	v_cmpx_lt_u32_e32 0xffffff, v0
	s_cbranch_execz .LBB360_794
; %bb.787:                              ;   in Loop: Header=BB360_516 Depth=1
	v_lshrrev_b32_e32 v26, 24, v0
	v_bfrev_b32_e32 v77, 1
	s_mov_b32 s14, exec_lo
	s_delay_alu instid0(VALU_DEP_2)
	v_cmpx_ne_u32_e32 0x80, v26
	s_cbranch_execz .LBB360_793
; %bb.788:                              ;   in Loop: Header=BB360_516 Depth=1
	v_bfe_u32 v75, v0, 24, 7
	v_mov_b32_e32 v77, 0x7f800001
	s_mov_b32 s15, exec_lo
	s_delay_alu instid0(VALU_DEP_2)
	v_cmpx_ne_u32_e32 0x7f, v75
	s_cbranch_execz .LBB360_792
; %bb.789:                              ;   in Loop: Header=BB360_516 Depth=1
	v_dual_lshrrev_b32 v27, 3, v75 :: v_dual_bitop2_b32 v18, 7, v26 bitop3:0x40
	s_mov_b32 s16, exec_lo
	v_cmpx_gt_u32_e32 8, v75
; %bb.790:                              ;   in Loop: Header=BB360_516 Depth=1
	s_delay_alu instid0(VALU_DEP_2) | instskip(NEXT) | instid1(VALU_DEP_1)
	v_clz_i32_u32_e32 v27, v18
	v_min_u32_e32 v27, 32, v27
	s_delay_alu instid0(VALU_DEP_1) | instskip(NEXT) | instid1(VALU_DEP_1)
	v_subrev_nc_u32_e32 v75, 28, v27
	v_lshlrev_b64_e32 v[76:77], v75, v[18:19]
	s_delay_alu instid0(VALU_DEP_1)
	v_dual_sub_nc_u32 v27, 29, v27 :: v_dual_bitop2_b32 v18, 7, v76 bitop3:0x40
; %bb.791:                              ;   in Loop: Header=BB360_516 Depth=1
	s_or_b32 exec_lo, exec_lo, s16
	v_lshlrev_b32_e32 v26, 24, v26
	s_delay_alu instid0(VALU_DEP_2) | instskip(NEXT) | instid1(VALU_DEP_3)
	v_lshlrev_b32_e32 v18, 20, v18
	v_lshl_add_u32 v27, v27, 23, 0x3c000000
	s_delay_alu instid0(VALU_DEP_3) | instskip(NEXT) | instid1(VALU_DEP_1)
	v_and_b32_e32 v26, 0x80000000, v26
	v_or3_b32 v77, v18, v26, v27
.LBB360_792:                            ;   in Loop: Header=BB360_516 Depth=1
	s_or_b32 exec_lo, exec_lo, s15
.LBB360_793:                            ;   in Loop: Header=BB360_516 Depth=1
	s_delay_alu instid0(SALU_CYCLE_1)
	s_or_b32 exec_lo, exec_lo, s14
.LBB360_794:                            ;   in Loop: Header=BB360_516 Depth=1
	s_delay_alu instid0(SALU_CYCLE_1) | instskip(SKIP_4) | instid1(VALU_DEP_3)
	s_or_b32 exec_lo, exec_lo, s11
	v_and_b32_e32 v27, 0xff, v1
	v_dual_mov_b32 v18, v1 :: v_dual_mov_b32 v26, 0
	v_mov_b32_e32 v76, 0
	s_mov_b32 s11, exec_lo
	v_cmpx_ne_u16_e32 0, v27
	s_cbranch_execz .LBB360_800
; %bb.795:                              ;   in Loop: Header=BB360_516 Depth=1
	v_bfrev_b32_e32 v76, 1
	s_mov_b32 s14, exec_lo
	v_cmpx_ne_u16_e32 0x80, v27
	s_cbranch_execz .LBB360_799
; %bb.796:                              ;   in Loop: Header=BB360_516 Depth=1
	v_and_b32_e32 v27, 0x7f, v1
	v_mov_b32_e32 v76, 0x7f800001
	s_mov_b32 s15, exec_lo
	s_delay_alu instid0(VALU_DEP_2)
	v_cmpx_ne_u32_e32 0x7f, v27
	s_cbranch_execz .LBB360_798
; %bb.797:                              ;   in Loop: Header=BB360_516 Depth=1
	v_dual_lshrrev_b32 v76, 3, v27 :: v_dual_bitop2_b32 v75, 7, v1 bitop3:0x40
	v_cmp_gt_u32_e64 s0, 8, v27
	s_delay_alu instid0(VALU_DEP_2) | instskip(NEXT) | instid1(VALU_DEP_1)
	v_clz_i32_u32_e32 v75, v75
	v_min_u32_e32 v75, 32, v75
	s_delay_alu instid0(VALU_DEP_1) | instskip(SKIP_1) | instid1(VALU_DEP_1)
	v_subrev_nc_u32_e32 v79, 28, v75
	v_sub_nc_u32_e32 v75, 29, v75
	v_cndmask_b32_e64 v27, v76, v75, s0
	s_delay_alu instid0(VALU_DEP_3) | instskip(NEXT) | instid1(VALU_DEP_1)
	v_cndmask_b32_e64 v75, 0, v79, s0
	v_lshlrev_b64_e32 v[80:81], v75, v[18:19]
	v_lshlrev_b32_e32 v75, 24, v18
	s_delay_alu instid0(VALU_DEP_4) | instskip(NEXT) | instid1(VALU_DEP_2)
	v_lshl_add_u32 v27, v27, 23, 0x3c000000
	v_and_b32_e32 v75, 0x80000000, v75
	s_delay_alu instid0(VALU_DEP_4) | instskip(NEXT) | instid1(VALU_DEP_1)
	v_lshlrev_b32_e32 v76, 20, v80
	v_and_b32_e32 v76, 0x700000, v76
	s_delay_alu instid0(VALU_DEP_1)
	v_or3_b32 v76, v76, v75, v27
.LBB360_798:                            ;   in Loop: Header=BB360_516 Depth=1
	s_or_b32 exec_lo, exec_lo, s15
.LBB360_799:                            ;   in Loop: Header=BB360_516 Depth=1
	s_delay_alu instid0(SALU_CYCLE_1)
	s_or_b32 exec_lo, exec_lo, s14
.LBB360_800:                            ;   in Loop: Header=BB360_516 Depth=1
	s_delay_alu instid0(SALU_CYCLE_1) | instskip(SKIP_2) | instid1(VALU_DEP_1)
	s_or_b32 exec_lo, exec_lo, s11
	v_lshrrev_b16 v27, 8, v18
	s_mov_b32 s11, exec_lo
	v_cmpx_ne_u16_e32 0, v27
	s_cbranch_execz .LBB360_808
; %bb.801:                              ;   in Loop: Header=BB360_516 Depth=1
	v_bfrev_b32_e32 v26, 1
	s_mov_b32 s14, exec_lo
	v_cmpx_ne_u16_e32 0x80, v27
	s_cbranch_execz .LBB360_807
; %bb.802:                              ;   in Loop: Header=BB360_516 Depth=1
	v_and_b32_e32 v27, 0xffff, v27
	v_mov_b32_e32 v26, 0x7f800001
	s_mov_b32 s15, exec_lo
	s_delay_alu instid0(VALU_DEP_2) | instskip(NEXT) | instid1(VALU_DEP_1)
	v_and_b32_e32 v79, 0x7f, v27
	v_cmpx_ne_u32_e32 0x7f, v79
	s_cbranch_execz .LBB360_806
; %bb.803:                              ;   in Loop: Header=BB360_516 Depth=1
	v_dual_mov_b32 v27, v19 :: v_dual_bitop2_b32 v26, 7, v27 bitop3:0x40
	v_lshrrev_b32_e32 v75, 3, v79
	s_mov_b32 s16, exec_lo
	v_cmpx_gt_u32_e32 8, v79
; %bb.804:                              ;   in Loop: Header=BB360_516 Depth=1
	s_delay_alu instid0(VALU_DEP_3) | instskip(NEXT) | instid1(VALU_DEP_1)
	v_clz_i32_u32_e32 v75, v26
	v_min_u32_e32 v75, 32, v75
	s_delay_alu instid0(VALU_DEP_1) | instskip(NEXT) | instid1(VALU_DEP_1)
	v_subrev_nc_u32_e32 v79, 28, v75
	v_lshlrev_b64_e32 v[26:27], v79, v[26:27]
	s_delay_alu instid0(VALU_DEP_1)
	v_dual_sub_nc_u32 v75, 29, v75 :: v_dual_bitop2_b32 v26, 7, v26 bitop3:0x40
; %bb.805:                              ;   in Loop: Header=BB360_516 Depth=1
	s_or_b32 exec_lo, exec_lo, s16
	v_lshlrev_b32_e32 v18, 16, v18
	s_delay_alu instid0(VALU_DEP_2) | instskip(NEXT) | instid1(VALU_DEP_3)
	v_lshlrev_b32_e32 v26, 20, v26
	v_lshl_add_u32 v27, v75, 23, 0x3c000000
	s_delay_alu instid0(VALU_DEP_3) | instskip(NEXT) | instid1(VALU_DEP_1)
	v_and_b32_e32 v18, 0x80000000, v18
	v_or3_b32 v26, v26, v18, v27
.LBB360_806:                            ;   in Loop: Header=BB360_516 Depth=1
	s_or_b32 exec_lo, exec_lo, s15
.LBB360_807:                            ;   in Loop: Header=BB360_516 Depth=1
	s_delay_alu instid0(SALU_CYCLE_1)
	s_or_b32 exec_lo, exec_lo, s14
.LBB360_808:                            ;   in Loop: Header=BB360_516 Depth=1
	s_delay_alu instid0(SALU_CYCLE_1) | instskip(SKIP_3) | instid1(VALU_DEP_2)
	s_or_b32 exec_lo, exec_lo, s11
	v_dual_lshrrev_b32 v75, 16, v1 :: v_dual_mov_b32 v27, 0
	v_mov_b32_e32 v81, 0
	s_mov_b32 s11, exec_lo
	v_and_b32_e32 v18, 0xff, v75
	s_delay_alu instid0(VALU_DEP_1)
	v_cmpx_ne_u16_e32 0, v18
	s_cbranch_execz .LBB360_816
; %bb.809:                              ;   in Loop: Header=BB360_516 Depth=1
	v_bfrev_b32_e32 v81, 1
	s_mov_b32 s14, exec_lo
	v_cmpx_ne_u16_e32 0x80, v18
	s_cbranch_execz .LBB360_815
; %bb.810:                              ;   in Loop: Header=BB360_516 Depth=1
	v_bfe_u32 v80, v1, 16, 7
	v_mov_b32_e32 v81, 0x7f800001
	s_mov_b32 s15, exec_lo
	s_delay_alu instid0(VALU_DEP_2)
	v_cmpx_ne_u32_e32 0x7f, v80
	s_cbranch_execz .LBB360_814
; %bb.811:                              ;   in Loop: Header=BB360_516 Depth=1
	v_dual_lshrrev_b32 v79, 3, v80 :: v_dual_bitop2_b32 v18, 7, v75 bitop3:0x40
	s_mov_b32 s16, exec_lo
	v_cmpx_gt_u32_e32 8, v80
; %bb.812:                              ;   in Loop: Header=BB360_516 Depth=1
	s_delay_alu instid0(VALU_DEP_2) | instskip(NEXT) | instid1(VALU_DEP_1)
	v_clz_i32_u32_e32 v79, v18
	v_min_u32_e32 v79, 32, v79
	s_delay_alu instid0(VALU_DEP_1) | instskip(NEXT) | instid1(VALU_DEP_1)
	v_subrev_nc_u32_e32 v80, 28, v79
	v_lshlrev_b64_e32 v[80:81], v80, v[18:19]
	s_delay_alu instid0(VALU_DEP_1)
	v_dual_sub_nc_u32 v79, 29, v79 :: v_dual_bitop2_b32 v18, 7, v80 bitop3:0x40
; %bb.813:                              ;   in Loop: Header=BB360_516 Depth=1
	s_or_b32 exec_lo, exec_lo, s16
	s_delay_alu instid0(VALU_DEP_1) | instskip(NEXT) | instid1(VALU_DEP_2)
	v_dual_lshlrev_b32 v75, 24, v75 :: v_dual_lshlrev_b32 v18, 20, v18
	v_lshl_add_u32 v79, v79, 23, 0x3c000000
	s_delay_alu instid0(VALU_DEP_2) | instskip(NEXT) | instid1(VALU_DEP_1)
	v_and_b32_e32 v75, 0x80000000, v75
	v_or3_b32 v81, v18, v75, v79
.LBB360_814:                            ;   in Loop: Header=BB360_516 Depth=1
	s_or_b32 exec_lo, exec_lo, s15
.LBB360_815:                            ;   in Loop: Header=BB360_516 Depth=1
	s_delay_alu instid0(SALU_CYCLE_1)
	s_or_b32 exec_lo, exec_lo, s14
.LBB360_816:                            ;   in Loop: Header=BB360_516 Depth=1
	s_delay_alu instid0(SALU_CYCLE_1) | instskip(NEXT) | instid1(SALU_CYCLE_1)
	s_or_b32 exec_lo, exec_lo, s11
	s_mov_b32 s11, exec_lo
	v_cmpx_lt_u64_e64 s[2:3], v[0:1]
	s_cbranch_execz .LBB360_824
; %bb.817:                              ;   in Loop: Header=BB360_516 Depth=1
	v_lshrrev_b32_e32 v0, 24, v1
	v_bfrev_b32_e32 v27, 1
	s_mov_b32 s14, exec_lo
	s_delay_alu instid0(VALU_DEP_2)
	v_cmpx_ne_u32_e32 0x80, v0
	s_cbranch_execz .LBB360_823
; %bb.818:                              ;   in Loop: Header=BB360_516 Depth=1
	v_bfe_u32 v75, v1, 24, 7
	v_mov_b32_e32 v27, 0x7f800001
	s_mov_b32 s15, exec_lo
	s_delay_alu instid0(VALU_DEP_2)
	v_cmpx_ne_u32_e32 0x7f, v75
	s_cbranch_execz .LBB360_822
; %bb.819:                              ;   in Loop: Header=BB360_516 Depth=1
	v_dual_lshrrev_b32 v1, 3, v75 :: v_dual_bitop2_b32 v18, 7, v0 bitop3:0x40
	s_mov_b32 s16, exec_lo
	v_cmpx_gt_u32_e32 8, v75
; %bb.820:                              ;   in Loop: Header=BB360_516 Depth=1
	s_delay_alu instid0(VALU_DEP_2) | instskip(NEXT) | instid1(VALU_DEP_1)
	v_clz_i32_u32_e32 v1, v18
	v_min_u32_e32 v1, 32, v1
	s_delay_alu instid0(VALU_DEP_1) | instskip(NEXT) | instid1(VALU_DEP_1)
	v_subrev_nc_u32_e32 v27, 28, v1
	v_lshlrev_b64_e32 v[82:83], v27, v[18:19]
	s_delay_alu instid0(VALU_DEP_1)
	v_dual_sub_nc_u32 v1, 29, v1 :: v_dual_bitop2_b32 v18, 7, v82 bitop3:0x40
; %bb.821:                              ;   in Loop: Header=BB360_516 Depth=1
	s_or_b32 exec_lo, exec_lo, s16
	s_delay_alu instid0(VALU_DEP_1) | instskip(NEXT) | instid1(VALU_DEP_2)
	v_dual_lshlrev_b32 v0, 24, v0 :: v_dual_lshlrev_b32 v18, 20, v18
	v_lshl_add_u32 v1, v1, 23, 0x3c000000
	s_delay_alu instid0(VALU_DEP_2) | instskip(NEXT) | instid1(VALU_DEP_1)
	v_and_b32_e32 v0, 0x80000000, v0
	v_or3_b32 v27, v18, v0, v1
.LBB360_822:                            ;   in Loop: Header=BB360_516 Depth=1
	s_or_b32 exec_lo, exec_lo, s15
.LBB360_823:                            ;   in Loop: Header=BB360_516 Depth=1
	s_delay_alu instid0(SALU_CYCLE_1)
	s_or_b32 exec_lo, exec_lo, s14
.LBB360_824:                            ;   in Loop: Header=BB360_516 Depth=1
	s_delay_alu instid0(SALU_CYCLE_1)
	s_or_b32 exec_lo, exec_lo, s11
	v_fma_mixlo_bf16 v75, s6, v26, 0
	v_fma_mixlo_bf16 v76, s6, v76, 0
	;; [unrolled: 1-line block ×8, first 2 shown]
	s_and_saveexec_b32 s11, vcc_lo
	s_cbranch_execz .LBB360_826
; %bb.825:                              ;   in Loop: Header=BB360_516 Depth=1
	v_cmp_gt_i32_e64 s0, s25, v42
	s_delay_alu instid0(VALU_DEP_1) | instskip(SKIP_1) | instid1(VALU_DEP_1)
	v_cndmask_b32_e64 v80, 0, v80, s0
	v_cmp_gt_i32_e64 s0, s25, v48
	v_cndmask_b32_e64 v79, 0, v79, s0
	v_cmp_gt_i32_e64 s0, s25, v47
	s_delay_alu instid0(VALU_DEP_1) | instskip(SKIP_1) | instid1(VALU_DEP_1)
	v_cndmask_b32_e64 v78, 0, v78, s0
	v_cmp_gt_i32_e64 s0, s25, v46
	v_cndmask_b32_e64 v77, 0, v77, s0
	;; [unrolled: 5-line block ×4, first 2 shown]
.LBB360_826:                            ;   in Loop: Header=BB360_516 Depth=1
	s_or_b32 exec_lo, exec_lo, s11
	global_load_b64 v[0:1], v[24:25], off offset:1280
	v_dual_mov_b32 v82, 0 :: v_dual_mov_b32 v81, 0
	s_mov_b32 s11, exec_lo
	s_wait_loadcnt 0x0
	v_and_b32_e32 v18, 0xff, v0
	s_delay_alu instid0(VALU_DEP_1)
	v_cmpx_ne_u16_e32 0, v18
	s_cbranch_execz .LBB360_832
; %bb.827:                              ;   in Loop: Header=BB360_516 Depth=1
	v_bfrev_b32_e32 v81, 1
	s_mov_b32 s14, exec_lo
	v_cmpx_ne_u16_e32 0x80, v18
	s_cbranch_execz .LBB360_831
; %bb.828:                              ;   in Loop: Header=BB360_516 Depth=1
	v_and_b32_e32 v18, 0x7f, v0
	v_mov_b32_e32 v81, 0x7f800001
	s_mov_b32 s15, exec_lo
	s_delay_alu instid0(VALU_DEP_2)
	v_cmpx_ne_u32_e32 0x7f, v18
	s_cbranch_execz .LBB360_830
; %bb.829:                              ;   in Loop: Header=BB360_516 Depth=1
	v_dual_lshrrev_b32 v27, 3, v18 :: v_dual_bitop2_b32 v26, 7, v0 bitop3:0x40
	v_cmp_gt_u32_e64 s0, 8, v18
	s_delay_alu instid0(VALU_DEP_2) | instskip(NEXT) | instid1(VALU_DEP_1)
	v_clz_i32_u32_e32 v26, v26
	v_min_u32_e32 v26, 32, v26
	s_delay_alu instid0(VALU_DEP_1) | instskip(SKIP_1) | instid1(VALU_DEP_1)
	v_subrev_nc_u32_e32 v81, 28, v26
	v_sub_nc_u32_e32 v26, 29, v26
	v_dual_cndmask_b32 v18, v27, v26, s0 :: v_dual_cndmask_b32 v26, 0, v81, s0
	s_delay_alu instid0(VALU_DEP_1) | instskip(NEXT) | instid1(VALU_DEP_2)
	v_lshl_add_u32 v18, v18, 23, 0x3c000000
	v_lshlrev_b64_e32 v[26:27], v26, v[0:1]
	v_lshlrev_b32_e32 v27, 24, v0
	s_delay_alu instid0(VALU_DEP_1) | instskip(NEXT) | instid1(VALU_DEP_3)
	v_and_b32_e32 v27, 0x80000000, v27
	v_lshlrev_b32_e32 v26, 20, v26
	s_delay_alu instid0(VALU_DEP_1) | instskip(NEXT) | instid1(VALU_DEP_1)
	v_and_b32_e32 v26, 0x700000, v26
	v_or3_b32 v81, v26, v27, v18
.LBB360_830:                            ;   in Loop: Header=BB360_516 Depth=1
	s_or_b32 exec_lo, exec_lo, s15
.LBB360_831:                            ;   in Loop: Header=BB360_516 Depth=1
	s_delay_alu instid0(SALU_CYCLE_1)
	s_or_b32 exec_lo, exec_lo, s14
.LBB360_832:                            ;   in Loop: Header=BB360_516 Depth=1
	s_delay_alu instid0(SALU_CYCLE_1) | instskip(SKIP_2) | instid1(VALU_DEP_1)
	s_or_b32 exec_lo, exec_lo, s11
	v_lshrrev_b16 v18, 8, v0
	s_mov_b32 s11, exec_lo
	v_cmpx_ne_u16_e32 0, v18
	s_cbranch_execz .LBB360_840
; %bb.833:                              ;   in Loop: Header=BB360_516 Depth=1
	v_bfrev_b32_e32 v82, 1
	s_mov_b32 s14, exec_lo
	v_cmpx_ne_u16_e32 0x80, v18
	s_cbranch_execz .LBB360_839
; %bb.834:                              ;   in Loop: Header=BB360_516 Depth=1
	v_and_b32_e32 v18, 0xffff, v18
	v_mov_b32_e32 v82, 0x7f800001
	s_mov_b32 s15, exec_lo
	s_delay_alu instid0(VALU_DEP_2) | instskip(NEXT) | instid1(VALU_DEP_1)
	v_and_b32_e32 v27, 0x7f, v18
	v_cmpx_ne_u32_e32 0x7f, v27
	s_cbranch_execz .LBB360_838
; %bb.835:                              ;   in Loop: Header=BB360_516 Depth=1
	v_dual_lshrrev_b32 v26, 3, v27 :: v_dual_bitop2_b32 v18, 7, v18 bitop3:0x40
	s_mov_b32 s16, exec_lo
	v_cmpx_gt_u32_e32 8, v27
; %bb.836:                              ;   in Loop: Header=BB360_516 Depth=1
	s_delay_alu instid0(VALU_DEP_2) | instskip(NEXT) | instid1(VALU_DEP_1)
	v_clz_i32_u32_e32 v26, v18
	v_min_u32_e32 v26, 32, v26
	s_delay_alu instid0(VALU_DEP_1) | instskip(SKIP_1) | instid1(VALU_DEP_2)
	v_subrev_nc_u32_e32 v27, 28, v26
	v_sub_nc_u32_e32 v26, 29, v26
	v_lshlrev_b64_e32 v[82:83], v27, v[18:19]
	s_delay_alu instid0(VALU_DEP_1)
	v_and_b32_e32 v18, 7, v82
; %bb.837:                              ;   in Loop: Header=BB360_516 Depth=1
	s_or_b32 exec_lo, exec_lo, s16
	s_delay_alu instid0(VALU_DEP_1) | instskip(SKIP_1) | instid1(VALU_DEP_2)
	v_dual_lshlrev_b32 v27, 16, v0 :: v_dual_lshlrev_b32 v18, 20, v18
	v_lshl_add_u32 v26, v26, 23, 0x3c000000
	v_and_b32_e32 v27, 0x80000000, v27
	s_delay_alu instid0(VALU_DEP_1)
	v_or3_b32 v82, v18, v27, v26
.LBB360_838:                            ;   in Loop: Header=BB360_516 Depth=1
	s_or_b32 exec_lo, exec_lo, s15
.LBB360_839:                            ;   in Loop: Header=BB360_516 Depth=1
	s_delay_alu instid0(SALU_CYCLE_1)
	s_or_b32 exec_lo, exec_lo, s14
.LBB360_840:                            ;   in Loop: Header=BB360_516 Depth=1
	s_delay_alu instid0(SALU_CYCLE_1) | instskip(SKIP_3) | instid1(VALU_DEP_2)
	s_or_b32 exec_lo, exec_lo, s11
	v_dual_mov_b32 v85, 0 :: v_dual_lshrrev_b32 v26, 16, v0
	v_mov_b32_e32 v86, 0
	s_mov_b32 s11, exec_lo
	v_and_b32_e32 v18, 0xff, v26
	s_delay_alu instid0(VALU_DEP_1)
	v_cmpx_ne_u16_e32 0, v18
	s_cbranch_execz .LBB360_848
; %bb.841:                              ;   in Loop: Header=BB360_516 Depth=1
	v_bfrev_b32_e32 v86, 1
	s_mov_b32 s14, exec_lo
	v_cmpx_ne_u16_e32 0x80, v18
	s_cbranch_execz .LBB360_847
; %bb.842:                              ;   in Loop: Header=BB360_516 Depth=1
	v_bfe_u32 v83, v0, 16, 7
	v_mov_b32_e32 v86, 0x7f800001
	s_mov_b32 s15, exec_lo
	s_delay_alu instid0(VALU_DEP_2)
	v_cmpx_ne_u32_e32 0x7f, v83
	s_cbranch_execz .LBB360_846
; %bb.843:                              ;   in Loop: Header=BB360_516 Depth=1
	v_dual_lshrrev_b32 v27, 3, v83 :: v_dual_bitop2_b32 v18, 7, v26 bitop3:0x40
	s_mov_b32 s16, exec_lo
	v_cmpx_gt_u32_e32 8, v83
; %bb.844:                              ;   in Loop: Header=BB360_516 Depth=1
	s_delay_alu instid0(VALU_DEP_2) | instskip(NEXT) | instid1(VALU_DEP_1)
	v_clz_i32_u32_e32 v27, v18
	v_min_u32_e32 v27, 32, v27
	s_delay_alu instid0(VALU_DEP_1) | instskip(NEXT) | instid1(VALU_DEP_1)
	v_subrev_nc_u32_e32 v83, 28, v27
	v_lshlrev_b64_e32 v[86:87], v83, v[18:19]
	s_delay_alu instid0(VALU_DEP_1)
	v_dual_sub_nc_u32 v27, 29, v27 :: v_dual_bitop2_b32 v18, 7, v86 bitop3:0x40
; %bb.845:                              ;   in Loop: Header=BB360_516 Depth=1
	s_or_b32 exec_lo, exec_lo, s16
	v_lshlrev_b32_e32 v26, 24, v26
	s_delay_alu instid0(VALU_DEP_2) | instskip(NEXT) | instid1(VALU_DEP_3)
	v_lshlrev_b32_e32 v18, 20, v18
	v_lshl_add_u32 v27, v27, 23, 0x3c000000
	s_delay_alu instid0(VALU_DEP_3) | instskip(NEXT) | instid1(VALU_DEP_1)
	v_and_b32_e32 v26, 0x80000000, v26
	v_or3_b32 v86, v18, v26, v27
.LBB360_846:                            ;   in Loop: Header=BB360_516 Depth=1
	s_or_b32 exec_lo, exec_lo, s15
.LBB360_847:                            ;   in Loop: Header=BB360_516 Depth=1
	s_delay_alu instid0(SALU_CYCLE_1)
	s_or_b32 exec_lo, exec_lo, s14
.LBB360_848:                            ;   in Loop: Header=BB360_516 Depth=1
	s_delay_alu instid0(SALU_CYCLE_1) | instskip(NEXT) | instid1(SALU_CYCLE_1)
	s_or_b32 exec_lo, exec_lo, s11
	s_mov_b32 s11, exec_lo
	v_cmpx_lt_u32_e32 0xffffff, v0
	s_cbranch_execz .LBB360_856
; %bb.849:                              ;   in Loop: Header=BB360_516 Depth=1
	v_lshrrev_b32_e32 v26, 24, v0
	v_bfrev_b32_e32 v85, 1
	s_mov_b32 s14, exec_lo
	s_delay_alu instid0(VALU_DEP_2)
	v_cmpx_ne_u32_e32 0x80, v26
	s_cbranch_execz .LBB360_855
; %bb.850:                              ;   in Loop: Header=BB360_516 Depth=1
	v_bfe_u32 v83, v0, 24, 7
	v_mov_b32_e32 v85, 0x7f800001
	s_mov_b32 s15, exec_lo
	s_delay_alu instid0(VALU_DEP_2)
	v_cmpx_ne_u32_e32 0x7f, v83
	s_cbranch_execz .LBB360_854
; %bb.851:                              ;   in Loop: Header=BB360_516 Depth=1
	v_dual_lshrrev_b32 v27, 3, v83 :: v_dual_bitop2_b32 v18, 7, v26 bitop3:0x40
	s_mov_b32 s16, exec_lo
	v_cmpx_gt_u32_e32 8, v83
; %bb.852:                              ;   in Loop: Header=BB360_516 Depth=1
	s_delay_alu instid0(VALU_DEP_2) | instskip(NEXT) | instid1(VALU_DEP_1)
	v_clz_i32_u32_e32 v27, v18
	v_min_u32_e32 v27, 32, v27
	s_delay_alu instid0(VALU_DEP_1) | instskip(NEXT) | instid1(VALU_DEP_1)
	v_subrev_nc_u32_e32 v83, 28, v27
	v_lshlrev_b64_e32 v[84:85], v83, v[18:19]
	s_delay_alu instid0(VALU_DEP_1)
	v_dual_sub_nc_u32 v27, 29, v27 :: v_dual_bitop2_b32 v18, 7, v84 bitop3:0x40
; %bb.853:                              ;   in Loop: Header=BB360_516 Depth=1
	s_or_b32 exec_lo, exec_lo, s16
	v_lshlrev_b32_e32 v26, 24, v26
	s_delay_alu instid0(VALU_DEP_2) | instskip(NEXT) | instid1(VALU_DEP_3)
	v_lshlrev_b32_e32 v18, 20, v18
	v_lshl_add_u32 v27, v27, 23, 0x3c000000
	s_delay_alu instid0(VALU_DEP_3) | instskip(NEXT) | instid1(VALU_DEP_1)
	v_and_b32_e32 v26, 0x80000000, v26
	v_or3_b32 v85, v18, v26, v27
.LBB360_854:                            ;   in Loop: Header=BB360_516 Depth=1
	s_or_b32 exec_lo, exec_lo, s15
.LBB360_855:                            ;   in Loop: Header=BB360_516 Depth=1
	s_delay_alu instid0(SALU_CYCLE_1)
	s_or_b32 exec_lo, exec_lo, s14
.LBB360_856:                            ;   in Loop: Header=BB360_516 Depth=1
	s_delay_alu instid0(SALU_CYCLE_1) | instskip(SKIP_4) | instid1(VALU_DEP_3)
	s_or_b32 exec_lo, exec_lo, s11
	v_and_b32_e32 v27, 0xff, v1
	v_dual_mov_b32 v18, v1 :: v_dual_mov_b32 v26, 0
	v_mov_b32_e32 v84, 0
	s_mov_b32 s11, exec_lo
	v_cmpx_ne_u16_e32 0, v27
	s_cbranch_execz .LBB360_862
; %bb.857:                              ;   in Loop: Header=BB360_516 Depth=1
	v_bfrev_b32_e32 v84, 1
	s_mov_b32 s14, exec_lo
	v_cmpx_ne_u16_e32 0x80, v27
	s_cbranch_execz .LBB360_861
; %bb.858:                              ;   in Loop: Header=BB360_516 Depth=1
	v_and_b32_e32 v27, 0x7f, v1
	v_mov_b32_e32 v84, 0x7f800001
	s_mov_b32 s15, exec_lo
	s_delay_alu instid0(VALU_DEP_2)
	v_cmpx_ne_u32_e32 0x7f, v27
	s_cbranch_execz .LBB360_860
; %bb.859:                              ;   in Loop: Header=BB360_516 Depth=1
	v_dual_lshrrev_b32 v84, 3, v27 :: v_dual_bitop2_b32 v83, 7, v1 bitop3:0x40
	v_cmp_gt_u32_e64 s0, 8, v27
	s_delay_alu instid0(VALU_DEP_2) | instskip(NEXT) | instid1(VALU_DEP_1)
	v_clz_i32_u32_e32 v83, v83
	v_min_u32_e32 v83, 32, v83
	s_delay_alu instid0(VALU_DEP_1) | instskip(SKIP_1) | instid1(VALU_DEP_1)
	v_subrev_nc_u32_e32 v87, 28, v83
	v_sub_nc_u32_e32 v83, 29, v83
	v_cndmask_b32_e64 v27, v84, v83, s0
	s_delay_alu instid0(VALU_DEP_3) | instskip(NEXT) | instid1(VALU_DEP_1)
	v_cndmask_b32_e64 v83, 0, v87, s0
	v_lshlrev_b64_e32 v[88:89], v83, v[18:19]
	v_lshlrev_b32_e32 v83, 24, v18
	s_delay_alu instid0(VALU_DEP_4) | instskip(NEXT) | instid1(VALU_DEP_2)
	v_lshl_add_u32 v27, v27, 23, 0x3c000000
	v_and_b32_e32 v83, 0x80000000, v83
	s_delay_alu instid0(VALU_DEP_4) | instskip(NEXT) | instid1(VALU_DEP_1)
	v_lshlrev_b32_e32 v84, 20, v88
	v_and_b32_e32 v84, 0x700000, v84
	s_delay_alu instid0(VALU_DEP_1)
	v_or3_b32 v84, v84, v83, v27
.LBB360_860:                            ;   in Loop: Header=BB360_516 Depth=1
	s_or_b32 exec_lo, exec_lo, s15
.LBB360_861:                            ;   in Loop: Header=BB360_516 Depth=1
	s_delay_alu instid0(SALU_CYCLE_1)
	s_or_b32 exec_lo, exec_lo, s14
.LBB360_862:                            ;   in Loop: Header=BB360_516 Depth=1
	s_delay_alu instid0(SALU_CYCLE_1) | instskip(SKIP_2) | instid1(VALU_DEP_1)
	s_or_b32 exec_lo, exec_lo, s11
	v_lshrrev_b16 v27, 8, v18
	s_mov_b32 s11, exec_lo
	v_cmpx_ne_u16_e32 0, v27
	s_cbranch_execz .LBB360_870
; %bb.863:                              ;   in Loop: Header=BB360_516 Depth=1
	v_bfrev_b32_e32 v26, 1
	s_mov_b32 s14, exec_lo
	v_cmpx_ne_u16_e32 0x80, v27
	s_cbranch_execz .LBB360_869
; %bb.864:                              ;   in Loop: Header=BB360_516 Depth=1
	v_and_b32_e32 v27, 0xffff, v27
	v_mov_b32_e32 v26, 0x7f800001
	s_mov_b32 s15, exec_lo
	s_delay_alu instid0(VALU_DEP_2) | instskip(NEXT) | instid1(VALU_DEP_1)
	v_and_b32_e32 v87, 0x7f, v27
	v_cmpx_ne_u32_e32 0x7f, v87
	s_cbranch_execz .LBB360_868
; %bb.865:                              ;   in Loop: Header=BB360_516 Depth=1
	v_dual_mov_b32 v27, v19 :: v_dual_bitop2_b32 v26, 7, v27 bitop3:0x40
	v_lshrrev_b32_e32 v83, 3, v87
	s_mov_b32 s16, exec_lo
	v_cmpx_gt_u32_e32 8, v87
; %bb.866:                              ;   in Loop: Header=BB360_516 Depth=1
	s_delay_alu instid0(VALU_DEP_3) | instskip(NEXT) | instid1(VALU_DEP_1)
	v_clz_i32_u32_e32 v83, v26
	v_min_u32_e32 v83, 32, v83
	s_delay_alu instid0(VALU_DEP_1) | instskip(NEXT) | instid1(VALU_DEP_1)
	v_subrev_nc_u32_e32 v87, 28, v83
	v_lshlrev_b64_e32 v[26:27], v87, v[26:27]
	s_delay_alu instid0(VALU_DEP_1)
	v_dual_sub_nc_u32 v83, 29, v83 :: v_dual_bitop2_b32 v26, 7, v26 bitop3:0x40
; %bb.867:                              ;   in Loop: Header=BB360_516 Depth=1
	s_or_b32 exec_lo, exec_lo, s16
	v_lshlrev_b32_e32 v18, 16, v18
	s_delay_alu instid0(VALU_DEP_2) | instskip(NEXT) | instid1(VALU_DEP_3)
	v_lshlrev_b32_e32 v26, 20, v26
	v_lshl_add_u32 v27, v83, 23, 0x3c000000
	s_delay_alu instid0(VALU_DEP_3) | instskip(NEXT) | instid1(VALU_DEP_1)
	v_and_b32_e32 v18, 0x80000000, v18
	v_or3_b32 v26, v26, v18, v27
.LBB360_868:                            ;   in Loop: Header=BB360_516 Depth=1
	s_or_b32 exec_lo, exec_lo, s15
.LBB360_869:                            ;   in Loop: Header=BB360_516 Depth=1
	s_delay_alu instid0(SALU_CYCLE_1)
	s_or_b32 exec_lo, exec_lo, s14
.LBB360_870:                            ;   in Loop: Header=BB360_516 Depth=1
	s_delay_alu instid0(SALU_CYCLE_1) | instskip(SKIP_3) | instid1(VALU_DEP_2)
	s_or_b32 exec_lo, exec_lo, s11
	v_dual_lshrrev_b32 v83, 16, v1 :: v_dual_mov_b32 v27, 0
	v_mov_b32_e32 v89, 0
	s_mov_b32 s11, exec_lo
	v_and_b32_e32 v18, 0xff, v83
	s_delay_alu instid0(VALU_DEP_1)
	v_cmpx_ne_u16_e32 0, v18
	s_cbranch_execz .LBB360_878
; %bb.871:                              ;   in Loop: Header=BB360_516 Depth=1
	v_bfrev_b32_e32 v89, 1
	s_mov_b32 s14, exec_lo
	v_cmpx_ne_u16_e32 0x80, v18
	s_cbranch_execz .LBB360_877
; %bb.872:                              ;   in Loop: Header=BB360_516 Depth=1
	v_bfe_u32 v88, v1, 16, 7
	v_mov_b32_e32 v89, 0x7f800001
	s_mov_b32 s15, exec_lo
	s_delay_alu instid0(VALU_DEP_2)
	v_cmpx_ne_u32_e32 0x7f, v88
	s_cbranch_execz .LBB360_876
; %bb.873:                              ;   in Loop: Header=BB360_516 Depth=1
	v_dual_lshrrev_b32 v87, 3, v88 :: v_dual_bitop2_b32 v18, 7, v83 bitop3:0x40
	s_mov_b32 s16, exec_lo
	v_cmpx_gt_u32_e32 8, v88
; %bb.874:                              ;   in Loop: Header=BB360_516 Depth=1
	s_delay_alu instid0(VALU_DEP_2) | instskip(NEXT) | instid1(VALU_DEP_1)
	v_clz_i32_u32_e32 v87, v18
	v_min_u32_e32 v87, 32, v87
	s_delay_alu instid0(VALU_DEP_1) | instskip(NEXT) | instid1(VALU_DEP_1)
	v_subrev_nc_u32_e32 v88, 28, v87
	v_lshlrev_b64_e32 v[88:89], v88, v[18:19]
	s_delay_alu instid0(VALU_DEP_1)
	v_dual_sub_nc_u32 v87, 29, v87 :: v_dual_bitop2_b32 v18, 7, v88 bitop3:0x40
; %bb.875:                              ;   in Loop: Header=BB360_516 Depth=1
	s_or_b32 exec_lo, exec_lo, s16
	s_delay_alu instid0(VALU_DEP_1) | instskip(NEXT) | instid1(VALU_DEP_2)
	v_dual_lshlrev_b32 v83, 24, v83 :: v_dual_lshlrev_b32 v18, 20, v18
	v_lshl_add_u32 v87, v87, 23, 0x3c000000
	s_delay_alu instid0(VALU_DEP_2) | instskip(NEXT) | instid1(VALU_DEP_1)
	v_and_b32_e32 v83, 0x80000000, v83
	v_or3_b32 v89, v18, v83, v87
.LBB360_876:                            ;   in Loop: Header=BB360_516 Depth=1
	s_or_b32 exec_lo, exec_lo, s15
.LBB360_877:                            ;   in Loop: Header=BB360_516 Depth=1
	s_delay_alu instid0(SALU_CYCLE_1)
	s_or_b32 exec_lo, exec_lo, s14
.LBB360_878:                            ;   in Loop: Header=BB360_516 Depth=1
	s_delay_alu instid0(SALU_CYCLE_1) | instskip(NEXT) | instid1(SALU_CYCLE_1)
	s_or_b32 exec_lo, exec_lo, s11
	s_mov_b32 s11, exec_lo
	v_cmpx_lt_u64_e64 s[2:3], v[0:1]
	s_cbranch_execz .LBB360_886
; %bb.879:                              ;   in Loop: Header=BB360_516 Depth=1
	v_lshrrev_b32_e32 v0, 24, v1
	v_bfrev_b32_e32 v27, 1
	s_mov_b32 s14, exec_lo
	s_delay_alu instid0(VALU_DEP_2)
	v_cmpx_ne_u32_e32 0x80, v0
	s_cbranch_execz .LBB360_885
; %bb.880:                              ;   in Loop: Header=BB360_516 Depth=1
	v_bfe_u32 v83, v1, 24, 7
	v_mov_b32_e32 v27, 0x7f800001
	s_mov_b32 s15, exec_lo
	s_delay_alu instid0(VALU_DEP_2)
	v_cmpx_ne_u32_e32 0x7f, v83
	s_cbranch_execz .LBB360_884
; %bb.881:                              ;   in Loop: Header=BB360_516 Depth=1
	v_dual_lshrrev_b32 v1, 3, v83 :: v_dual_bitop2_b32 v18, 7, v0 bitop3:0x40
	s_mov_b32 s16, exec_lo
	v_cmpx_gt_u32_e32 8, v83
; %bb.882:                              ;   in Loop: Header=BB360_516 Depth=1
	s_delay_alu instid0(VALU_DEP_2) | instskip(NEXT) | instid1(VALU_DEP_1)
	v_clz_i32_u32_e32 v1, v18
	v_min_u32_e32 v1, 32, v1
	s_delay_alu instid0(VALU_DEP_1) | instskip(NEXT) | instid1(VALU_DEP_1)
	v_subrev_nc_u32_e32 v27, 28, v1
	v_lshlrev_b64_e32 v[90:91], v27, v[18:19]
	s_delay_alu instid0(VALU_DEP_1)
	v_dual_sub_nc_u32 v1, 29, v1 :: v_dual_bitop2_b32 v18, 7, v90 bitop3:0x40
; %bb.883:                              ;   in Loop: Header=BB360_516 Depth=1
	s_or_b32 exec_lo, exec_lo, s16
	s_delay_alu instid0(VALU_DEP_1) | instskip(NEXT) | instid1(VALU_DEP_2)
	v_dual_lshlrev_b32 v0, 24, v0 :: v_dual_lshlrev_b32 v18, 20, v18
	v_lshl_add_u32 v1, v1, 23, 0x3c000000
	s_delay_alu instid0(VALU_DEP_2) | instskip(NEXT) | instid1(VALU_DEP_1)
	v_and_b32_e32 v0, 0x80000000, v0
	v_or3_b32 v27, v18, v0, v1
.LBB360_884:                            ;   in Loop: Header=BB360_516 Depth=1
	s_or_b32 exec_lo, exec_lo, s15
.LBB360_885:                            ;   in Loop: Header=BB360_516 Depth=1
	s_delay_alu instid0(SALU_CYCLE_1)
	s_or_b32 exec_lo, exec_lo, s14
.LBB360_886:                            ;   in Loop: Header=BB360_516 Depth=1
	s_delay_alu instid0(SALU_CYCLE_1)
	s_or_b32 exec_lo, exec_lo, s11
	v_fma_mixlo_bf16 v83, s6, v26, 0
	v_fma_mixlo_bf16 v84, s6, v84, 0
	;; [unrolled: 1-line block ×8, first 2 shown]
	s_and_saveexec_b32 s11, vcc_lo
	s_cbranch_execz .LBB360_888
; %bb.887:                              ;   in Loop: Header=BB360_516 Depth=1
	v_cmp_gt_i32_e64 s0, s25, v42
	s_delay_alu instid0(VALU_DEP_1) | instskip(SKIP_1) | instid1(VALU_DEP_1)
	v_cndmask_b32_e64 v88, 0, v88, s0
	v_cmp_gt_i32_e64 s0, s25, v48
	v_cndmask_b32_e64 v87, 0, v87, s0
	v_cmp_gt_i32_e64 s0, s25, v47
	s_delay_alu instid0(VALU_DEP_1) | instskip(SKIP_1) | instid1(VALU_DEP_1)
	v_cndmask_b32_e64 v86, 0, v86, s0
	v_cmp_gt_i32_e64 s0, s25, v46
	v_cndmask_b32_e64 v85, 0, v85, s0
	;; [unrolled: 5-line block ×4, first 2 shown]
.LBB360_888:                            ;   in Loop: Header=BB360_516 Depth=1
	s_or_b32 exec_lo, exec_lo, s11
	global_load_b64 v[0:1], v[24:25], off offset:1536
	v_dual_mov_b32 v93, 0 :: v_dual_mov_b32 v94, 0
	s_mov_b32 s11, exec_lo
	s_wait_loadcnt 0x0
	v_and_b32_e32 v18, 0xff, v0
	s_delay_alu instid0(VALU_DEP_1)
	v_cmpx_ne_u16_e32 0, v18
	s_cbranch_execz .LBB360_894
; %bb.889:                              ;   in Loop: Header=BB360_516 Depth=1
	v_bfrev_b32_e32 v94, 1
	s_mov_b32 s14, exec_lo
	v_cmpx_ne_u16_e32 0x80, v18
	s_cbranch_execz .LBB360_893
; %bb.890:                              ;   in Loop: Header=BB360_516 Depth=1
	v_and_b32_e32 v18, 0x7f, v0
	v_mov_b32_e32 v94, 0x7f800001
	s_mov_b32 s15, exec_lo
	s_delay_alu instid0(VALU_DEP_2)
	v_cmpx_ne_u32_e32 0x7f, v18
	s_cbranch_execz .LBB360_892
; %bb.891:                              ;   in Loop: Header=BB360_516 Depth=1
	v_dual_lshrrev_b32 v27, 3, v18 :: v_dual_bitop2_b32 v26, 7, v0 bitop3:0x40
	v_cmp_gt_u32_e64 s0, 8, v18
	s_delay_alu instid0(VALU_DEP_2) | instskip(NEXT) | instid1(VALU_DEP_1)
	v_clz_i32_u32_e32 v26, v26
	v_min_u32_e32 v26, 32, v26
	s_delay_alu instid0(VALU_DEP_1) | instskip(SKIP_1) | instid1(VALU_DEP_1)
	v_subrev_nc_u32_e32 v89, 28, v26
	v_sub_nc_u32_e32 v26, 29, v26
	v_dual_cndmask_b32 v18, v27, v26, s0 :: v_dual_cndmask_b32 v26, 0, v89, s0
	s_delay_alu instid0(VALU_DEP_1) | instskip(NEXT) | instid1(VALU_DEP_2)
	v_lshl_add_u32 v18, v18, 23, 0x3c000000
	v_lshlrev_b64_e32 v[26:27], v26, v[0:1]
	v_lshlrev_b32_e32 v27, 24, v0
	s_delay_alu instid0(VALU_DEP_1) | instskip(NEXT) | instid1(VALU_DEP_3)
	v_and_b32_e32 v27, 0x80000000, v27
	v_lshlrev_b32_e32 v26, 20, v26
	s_delay_alu instid0(VALU_DEP_1) | instskip(NEXT) | instid1(VALU_DEP_1)
	v_and_b32_e32 v26, 0x700000, v26
	v_or3_b32 v94, v26, v27, v18
.LBB360_892:                            ;   in Loop: Header=BB360_516 Depth=1
	s_or_b32 exec_lo, exec_lo, s15
.LBB360_893:                            ;   in Loop: Header=BB360_516 Depth=1
	s_delay_alu instid0(SALU_CYCLE_1)
	s_or_b32 exec_lo, exec_lo, s14
.LBB360_894:                            ;   in Loop: Header=BB360_516 Depth=1
	s_delay_alu instid0(SALU_CYCLE_1) | instskip(SKIP_2) | instid1(VALU_DEP_1)
	s_or_b32 exec_lo, exec_lo, s11
	v_lshrrev_b16 v18, 8, v0
	s_mov_b32 s11, exec_lo
	v_cmpx_ne_u16_e32 0, v18
	s_cbranch_execz .LBB360_902
; %bb.895:                              ;   in Loop: Header=BB360_516 Depth=1
	v_bfrev_b32_e32 v93, 1
	s_mov_b32 s14, exec_lo
	v_cmpx_ne_u16_e32 0x80, v18
	s_cbranch_execz .LBB360_901
; %bb.896:                              ;   in Loop: Header=BB360_516 Depth=1
	v_and_b32_e32 v18, 0xffff, v18
	v_mov_b32_e32 v93, 0x7f800001
	s_mov_b32 s15, exec_lo
	s_delay_alu instid0(VALU_DEP_2) | instskip(NEXT) | instid1(VALU_DEP_1)
	v_and_b32_e32 v27, 0x7f, v18
	v_cmpx_ne_u32_e32 0x7f, v27
	s_cbranch_execz .LBB360_900
; %bb.897:                              ;   in Loop: Header=BB360_516 Depth=1
	v_dual_lshrrev_b32 v26, 3, v27 :: v_dual_bitop2_b32 v18, 7, v18 bitop3:0x40
	s_mov_b32 s16, exec_lo
	v_cmpx_gt_u32_e32 8, v27
; %bb.898:                              ;   in Loop: Header=BB360_516 Depth=1
	s_delay_alu instid0(VALU_DEP_2) | instskip(NEXT) | instid1(VALU_DEP_1)
	v_clz_i32_u32_e32 v26, v18
	v_min_u32_e32 v26, 32, v26
	s_delay_alu instid0(VALU_DEP_1) | instskip(SKIP_1) | instid1(VALU_DEP_2)
	v_subrev_nc_u32_e32 v27, 28, v26
	v_sub_nc_u32_e32 v26, 29, v26
	v_lshlrev_b64_e32 v[90:91], v27, v[18:19]
	s_delay_alu instid0(VALU_DEP_1)
	v_and_b32_e32 v18, 7, v90
; %bb.899:                              ;   in Loop: Header=BB360_516 Depth=1
	s_or_b32 exec_lo, exec_lo, s16
	s_delay_alu instid0(VALU_DEP_1) | instskip(SKIP_1) | instid1(VALU_DEP_2)
	v_dual_lshlrev_b32 v27, 16, v0 :: v_dual_lshlrev_b32 v18, 20, v18
	v_lshl_add_u32 v26, v26, 23, 0x3c000000
	v_and_b32_e32 v27, 0x80000000, v27
	s_delay_alu instid0(VALU_DEP_1)
	v_or3_b32 v93, v18, v27, v26
.LBB360_900:                            ;   in Loop: Header=BB360_516 Depth=1
	s_or_b32 exec_lo, exec_lo, s15
.LBB360_901:                            ;   in Loop: Header=BB360_516 Depth=1
	s_delay_alu instid0(SALU_CYCLE_1)
	s_or_b32 exec_lo, exec_lo, s14
.LBB360_902:                            ;   in Loop: Header=BB360_516 Depth=1
	s_delay_alu instid0(SALU_CYCLE_1) | instskip(SKIP_3) | instid1(VALU_DEP_2)
	s_or_b32 exec_lo, exec_lo, s11
	v_dual_mov_b32 v91, 0 :: v_dual_lshrrev_b32 v26, 16, v0
	v_mov_b32_e32 v92, 0
	s_mov_b32 s11, exec_lo
	v_and_b32_e32 v18, 0xff, v26
	s_delay_alu instid0(VALU_DEP_1)
	v_cmpx_ne_u16_e32 0, v18
	s_cbranch_execz .LBB360_910
; %bb.903:                              ;   in Loop: Header=BB360_516 Depth=1
	v_bfrev_b32_e32 v92, 1
	s_mov_b32 s14, exec_lo
	v_cmpx_ne_u16_e32 0x80, v18
	s_cbranch_execz .LBB360_909
; %bb.904:                              ;   in Loop: Header=BB360_516 Depth=1
	v_bfe_u32 v89, v0, 16, 7
	v_mov_b32_e32 v92, 0x7f800001
	s_mov_b32 s15, exec_lo
	s_delay_alu instid0(VALU_DEP_2)
	v_cmpx_ne_u32_e32 0x7f, v89
	s_cbranch_execz .LBB360_908
; %bb.905:                              ;   in Loop: Header=BB360_516 Depth=1
	v_dual_lshrrev_b32 v27, 3, v89 :: v_dual_bitop2_b32 v18, 7, v26 bitop3:0x40
	s_mov_b32 s16, exec_lo
	v_cmpx_gt_u32_e32 8, v89
; %bb.906:                              ;   in Loop: Header=BB360_516 Depth=1
	s_delay_alu instid0(VALU_DEP_2) | instskip(NEXT) | instid1(VALU_DEP_1)
	v_clz_i32_u32_e32 v27, v18
	v_min_u32_e32 v27, 32, v27
	s_delay_alu instid0(VALU_DEP_1) | instskip(NEXT) | instid1(VALU_DEP_1)
	v_subrev_nc_u32_e32 v89, 28, v27
	v_lshlrev_b64_e32 v[96:97], v89, v[18:19]
	s_delay_alu instid0(VALU_DEP_1)
	v_dual_sub_nc_u32 v27, 29, v27 :: v_dual_bitop2_b32 v18, 7, v96 bitop3:0x40
; %bb.907:                              ;   in Loop: Header=BB360_516 Depth=1
	s_or_b32 exec_lo, exec_lo, s16
	v_lshlrev_b32_e32 v26, 24, v26
	s_delay_alu instid0(VALU_DEP_2) | instskip(NEXT) | instid1(VALU_DEP_3)
	v_lshlrev_b32_e32 v18, 20, v18
	v_lshl_add_u32 v27, v27, 23, 0x3c000000
	s_delay_alu instid0(VALU_DEP_3) | instskip(NEXT) | instid1(VALU_DEP_1)
	v_and_b32_e32 v26, 0x80000000, v26
	v_or3_b32 v92, v18, v26, v27
.LBB360_908:                            ;   in Loop: Header=BB360_516 Depth=1
	s_or_b32 exec_lo, exec_lo, s15
.LBB360_909:                            ;   in Loop: Header=BB360_516 Depth=1
	s_delay_alu instid0(SALU_CYCLE_1)
	s_or_b32 exec_lo, exec_lo, s14
.LBB360_910:                            ;   in Loop: Header=BB360_516 Depth=1
	s_delay_alu instid0(SALU_CYCLE_1) | instskip(NEXT) | instid1(SALU_CYCLE_1)
	s_or_b32 exec_lo, exec_lo, s11
	s_mov_b32 s11, exec_lo
	v_cmpx_lt_u32_e32 0xffffff, v0
	s_cbranch_execz .LBB360_918
; %bb.911:                              ;   in Loop: Header=BB360_516 Depth=1
	v_lshrrev_b32_e32 v26, 24, v0
	v_bfrev_b32_e32 v91, 1
	s_mov_b32 s14, exec_lo
	s_delay_alu instid0(VALU_DEP_2)
	v_cmpx_ne_u32_e32 0x80, v26
	s_cbranch_execz .LBB360_917
; %bb.912:                              ;   in Loop: Header=BB360_516 Depth=1
	v_bfe_u32 v89, v0, 24, 7
	v_mov_b32_e32 v91, 0x7f800001
	s_mov_b32 s15, exec_lo
	s_delay_alu instid0(VALU_DEP_2)
	v_cmpx_ne_u32_e32 0x7f, v89
	s_cbranch_execz .LBB360_916
; %bb.913:                              ;   in Loop: Header=BB360_516 Depth=1
	v_dual_lshrrev_b32 v27, 3, v89 :: v_dual_bitop2_b32 v18, 7, v26 bitop3:0x40
	s_mov_b32 s16, exec_lo
	v_cmpx_gt_u32_e32 8, v89
; %bb.914:                              ;   in Loop: Header=BB360_516 Depth=1
	s_delay_alu instid0(VALU_DEP_2) | instskip(NEXT) | instid1(VALU_DEP_1)
	v_clz_i32_u32_e32 v27, v18
	v_min_u32_e32 v27, 32, v27
	s_delay_alu instid0(VALU_DEP_1) | instskip(NEXT) | instid1(VALU_DEP_1)
	v_subrev_nc_u32_e32 v89, 28, v27
	v_lshlrev_b64_e32 v[90:91], v89, v[18:19]
	s_delay_alu instid0(VALU_DEP_1)
	v_dual_sub_nc_u32 v27, 29, v27 :: v_dual_bitop2_b32 v18, 7, v90 bitop3:0x40
; %bb.915:                              ;   in Loop: Header=BB360_516 Depth=1
	s_or_b32 exec_lo, exec_lo, s16
	v_lshlrev_b32_e32 v26, 24, v26
	s_delay_alu instid0(VALU_DEP_2) | instskip(NEXT) | instid1(VALU_DEP_3)
	v_lshlrev_b32_e32 v18, 20, v18
	v_lshl_add_u32 v27, v27, 23, 0x3c000000
	s_delay_alu instid0(VALU_DEP_3) | instskip(NEXT) | instid1(VALU_DEP_1)
	v_and_b32_e32 v26, 0x80000000, v26
	v_or3_b32 v91, v18, v26, v27
.LBB360_916:                            ;   in Loop: Header=BB360_516 Depth=1
	s_or_b32 exec_lo, exec_lo, s15
.LBB360_917:                            ;   in Loop: Header=BB360_516 Depth=1
	s_delay_alu instid0(SALU_CYCLE_1)
	s_or_b32 exec_lo, exec_lo, s14
.LBB360_918:                            ;   in Loop: Header=BB360_516 Depth=1
	s_delay_alu instid0(SALU_CYCLE_1) | instskip(SKIP_4) | instid1(VALU_DEP_3)
	s_or_b32 exec_lo, exec_lo, s11
	v_and_b32_e32 v27, 0xff, v1
	v_dual_mov_b32 v18, v1 :: v_dual_mov_b32 v26, 0
	v_mov_b32_e32 v90, 0
	s_mov_b32 s11, exec_lo
	v_cmpx_ne_u16_e32 0, v27
	s_cbranch_execz .LBB360_924
; %bb.919:                              ;   in Loop: Header=BB360_516 Depth=1
	v_bfrev_b32_e32 v90, 1
	s_mov_b32 s14, exec_lo
	v_cmpx_ne_u16_e32 0x80, v27
	s_cbranch_execz .LBB360_923
; %bb.920:                              ;   in Loop: Header=BB360_516 Depth=1
	v_and_b32_e32 v27, 0x7f, v1
	v_mov_b32_e32 v90, 0x7f800001
	s_mov_b32 s15, exec_lo
	s_delay_alu instid0(VALU_DEP_2)
	v_cmpx_ne_u32_e32 0x7f, v27
	s_cbranch_execz .LBB360_922
; %bb.921:                              ;   in Loop: Header=BB360_516 Depth=1
	v_dual_lshrrev_b32 v90, 3, v27 :: v_dual_bitop2_b32 v89, 7, v1 bitop3:0x40
	v_cmp_gt_u32_e64 s0, 8, v27
	s_delay_alu instid0(VALU_DEP_2) | instskip(NEXT) | instid1(VALU_DEP_1)
	v_clz_i32_u32_e32 v89, v89
	v_min_u32_e32 v89, 32, v89
	s_delay_alu instid0(VALU_DEP_1) | instskip(SKIP_1) | instid1(VALU_DEP_1)
	v_subrev_nc_u32_e32 v95, 28, v89
	v_sub_nc_u32_e32 v89, 29, v89
	v_dual_cndmask_b32 v27, v90, v89, s0 :: v_dual_cndmask_b32 v89, 0, v95, s0
	s_delay_alu instid0(VALU_DEP_1) | instskip(NEXT) | instid1(VALU_DEP_2)
	v_lshl_add_u32 v27, v27, 23, 0x3c000000
	v_lshlrev_b64_e32 v[96:97], v89, v[18:19]
	v_lshlrev_b32_e32 v89, 24, v18
	s_delay_alu instid0(VALU_DEP_1) | instskip(NEXT) | instid1(VALU_DEP_3)
	v_and_b32_e32 v89, 0x80000000, v89
	v_lshlrev_b32_e32 v90, 20, v96
	s_delay_alu instid0(VALU_DEP_1) | instskip(NEXT) | instid1(VALU_DEP_1)
	v_and_b32_e32 v90, 0x700000, v90
	v_or3_b32 v90, v90, v89, v27
.LBB360_922:                            ;   in Loop: Header=BB360_516 Depth=1
	s_or_b32 exec_lo, exec_lo, s15
.LBB360_923:                            ;   in Loop: Header=BB360_516 Depth=1
	s_delay_alu instid0(SALU_CYCLE_1)
	s_or_b32 exec_lo, exec_lo, s14
.LBB360_924:                            ;   in Loop: Header=BB360_516 Depth=1
	s_delay_alu instid0(SALU_CYCLE_1) | instskip(SKIP_2) | instid1(VALU_DEP_1)
	s_or_b32 exec_lo, exec_lo, s11
	v_lshrrev_b16 v27, 8, v18
	s_mov_b32 s11, exec_lo
	v_cmpx_ne_u16_e32 0, v27
	s_cbranch_execz .LBB360_932
; %bb.925:                              ;   in Loop: Header=BB360_516 Depth=1
	v_bfrev_b32_e32 v26, 1
	s_mov_b32 s14, exec_lo
	v_cmpx_ne_u16_e32 0x80, v27
	s_cbranch_execz .LBB360_931
; %bb.926:                              ;   in Loop: Header=BB360_516 Depth=1
	v_and_b32_e32 v27, 0xffff, v27
	v_mov_b32_e32 v26, 0x7f800001
	s_mov_b32 s15, exec_lo
	s_delay_alu instid0(VALU_DEP_2) | instskip(NEXT) | instid1(VALU_DEP_1)
	v_and_b32_e32 v95, 0x7f, v27
	v_cmpx_ne_u32_e32 0x7f, v95
	s_cbranch_execz .LBB360_930
; %bb.927:                              ;   in Loop: Header=BB360_516 Depth=1
	v_dual_mov_b32 v27, v19 :: v_dual_bitop2_b32 v26, 7, v27 bitop3:0x40
	v_lshrrev_b32_e32 v89, 3, v95
	s_mov_b32 s16, exec_lo
	v_cmpx_gt_u32_e32 8, v95
; %bb.928:                              ;   in Loop: Header=BB360_516 Depth=1
	s_delay_alu instid0(VALU_DEP_3) | instskip(NEXT) | instid1(VALU_DEP_1)
	v_clz_i32_u32_e32 v89, v26
	v_min_u32_e32 v89, 32, v89
	s_delay_alu instid0(VALU_DEP_1) | instskip(NEXT) | instid1(VALU_DEP_1)
	v_subrev_nc_u32_e32 v95, 28, v89
	v_lshlrev_b64_e32 v[26:27], v95, v[26:27]
	s_delay_alu instid0(VALU_DEP_1)
	v_dual_sub_nc_u32 v89, 29, v89 :: v_dual_bitop2_b32 v26, 7, v26 bitop3:0x40
; %bb.929:                              ;   in Loop: Header=BB360_516 Depth=1
	s_or_b32 exec_lo, exec_lo, s16
	v_lshlrev_b32_e32 v18, 16, v18
	s_delay_alu instid0(VALU_DEP_2) | instskip(NEXT) | instid1(VALU_DEP_3)
	v_lshlrev_b32_e32 v26, 20, v26
	v_lshl_add_u32 v27, v89, 23, 0x3c000000
	s_delay_alu instid0(VALU_DEP_3) | instskip(NEXT) | instid1(VALU_DEP_1)
	v_and_b32_e32 v18, 0x80000000, v18
	v_or3_b32 v26, v26, v18, v27
.LBB360_930:                            ;   in Loop: Header=BB360_516 Depth=1
	s_or_b32 exec_lo, exec_lo, s15
.LBB360_931:                            ;   in Loop: Header=BB360_516 Depth=1
	s_delay_alu instid0(SALU_CYCLE_1)
	s_or_b32 exec_lo, exec_lo, s14
.LBB360_932:                            ;   in Loop: Header=BB360_516 Depth=1
	s_delay_alu instid0(SALU_CYCLE_1) | instskip(SKIP_3) | instid1(VALU_DEP_2)
	s_or_b32 exec_lo, exec_lo, s11
	v_dual_lshrrev_b32 v89, 16, v1 :: v_dual_mov_b32 v27, 0
	v_mov_b32_e32 v95, 0
	s_mov_b32 s11, exec_lo
	v_and_b32_e32 v18, 0xff, v89
	s_delay_alu instid0(VALU_DEP_1)
	v_cmpx_ne_u16_e32 0, v18
	s_cbranch_execz .LBB360_940
; %bb.933:                              ;   in Loop: Header=BB360_516 Depth=1
	v_bfrev_b32_e32 v95, 1
	s_mov_b32 s14, exec_lo
	v_cmpx_ne_u16_e32 0x80, v18
	s_cbranch_execz .LBB360_939
; %bb.934:                              ;   in Loop: Header=BB360_516 Depth=1
	v_bfe_u32 v96, v1, 16, 7
	v_mov_b32_e32 v95, 0x7f800001
	s_mov_b32 s15, exec_lo
	s_delay_alu instid0(VALU_DEP_2)
	v_cmpx_ne_u32_e32 0x7f, v96
	s_cbranch_execz .LBB360_938
; %bb.935:                              ;   in Loop: Header=BB360_516 Depth=1
	v_dual_lshrrev_b32 v95, 3, v96 :: v_dual_bitop2_b32 v18, 7, v89 bitop3:0x40
	s_mov_b32 s16, exec_lo
	v_cmpx_gt_u32_e32 8, v96
; %bb.936:                              ;   in Loop: Header=BB360_516 Depth=1
	s_delay_alu instid0(VALU_DEP_2) | instskip(NEXT) | instid1(VALU_DEP_1)
	v_clz_i32_u32_e32 v95, v18
	v_min_u32_e32 v95, 32, v95
	s_delay_alu instid0(VALU_DEP_1) | instskip(NEXT) | instid1(VALU_DEP_1)
	v_subrev_nc_u32_e32 v96, 28, v95
	v_lshlrev_b64_e32 v[96:97], v96, v[18:19]
	s_delay_alu instid0(VALU_DEP_1)
	v_dual_sub_nc_u32 v95, 29, v95 :: v_dual_bitop2_b32 v18, 7, v96 bitop3:0x40
; %bb.937:                              ;   in Loop: Header=BB360_516 Depth=1
	s_or_b32 exec_lo, exec_lo, s16
	s_delay_alu instid0(VALU_DEP_1) | instskip(NEXT) | instid1(VALU_DEP_2)
	v_dual_lshlrev_b32 v89, 24, v89 :: v_dual_lshlrev_b32 v18, 20, v18
	v_lshl_add_u32 v95, v95, 23, 0x3c000000
	s_delay_alu instid0(VALU_DEP_2) | instskip(NEXT) | instid1(VALU_DEP_1)
	v_and_b32_e32 v89, 0x80000000, v89
	v_or3_b32 v95, v18, v89, v95
.LBB360_938:                            ;   in Loop: Header=BB360_516 Depth=1
	s_or_b32 exec_lo, exec_lo, s15
.LBB360_939:                            ;   in Loop: Header=BB360_516 Depth=1
	s_delay_alu instid0(SALU_CYCLE_1)
	s_or_b32 exec_lo, exec_lo, s14
.LBB360_940:                            ;   in Loop: Header=BB360_516 Depth=1
	s_delay_alu instid0(SALU_CYCLE_1) | instskip(NEXT) | instid1(SALU_CYCLE_1)
	s_or_b32 exec_lo, exec_lo, s11
	s_mov_b32 s11, exec_lo
	v_cmpx_lt_u64_e64 s[2:3], v[0:1]
	s_cbranch_execz .LBB360_948
; %bb.941:                              ;   in Loop: Header=BB360_516 Depth=1
	v_lshrrev_b32_e32 v0, 24, v1
	v_bfrev_b32_e32 v27, 1
	s_mov_b32 s14, exec_lo
	s_delay_alu instid0(VALU_DEP_2)
	v_cmpx_ne_u32_e32 0x80, v0
	s_cbranch_execz .LBB360_947
; %bb.942:                              ;   in Loop: Header=BB360_516 Depth=1
	v_bfe_u32 v89, v1, 24, 7
	v_mov_b32_e32 v27, 0x7f800001
	s_mov_b32 s15, exec_lo
	s_delay_alu instid0(VALU_DEP_2)
	v_cmpx_ne_u32_e32 0x7f, v89
	s_cbranch_execz .LBB360_946
; %bb.943:                              ;   in Loop: Header=BB360_516 Depth=1
	v_dual_lshrrev_b32 v1, 3, v89 :: v_dual_bitop2_b32 v18, 7, v0 bitop3:0x40
	s_mov_b32 s16, exec_lo
	v_cmpx_gt_u32_e32 8, v89
; %bb.944:                              ;   in Loop: Header=BB360_516 Depth=1
	s_delay_alu instid0(VALU_DEP_2) | instskip(NEXT) | instid1(VALU_DEP_1)
	v_clz_i32_u32_e32 v1, v18
	v_min_u32_e32 v1, 32, v1
	s_delay_alu instid0(VALU_DEP_1) | instskip(NEXT) | instid1(VALU_DEP_1)
	v_subrev_nc_u32_e32 v27, 28, v1
	v_lshlrev_b64_e32 v[96:97], v27, v[18:19]
	s_delay_alu instid0(VALU_DEP_1)
	v_dual_sub_nc_u32 v1, 29, v1 :: v_dual_bitop2_b32 v18, 7, v96 bitop3:0x40
; %bb.945:                              ;   in Loop: Header=BB360_516 Depth=1
	s_or_b32 exec_lo, exec_lo, s16
	s_delay_alu instid0(VALU_DEP_1) | instskip(NEXT) | instid1(VALU_DEP_2)
	v_dual_lshlrev_b32 v0, 24, v0 :: v_dual_lshlrev_b32 v18, 20, v18
	v_lshl_add_u32 v1, v1, 23, 0x3c000000
	s_delay_alu instid0(VALU_DEP_2) | instskip(NEXT) | instid1(VALU_DEP_1)
	v_and_b32_e32 v0, 0x80000000, v0
	v_or3_b32 v27, v18, v0, v1
.LBB360_946:                            ;   in Loop: Header=BB360_516 Depth=1
	s_or_b32 exec_lo, exec_lo, s15
.LBB360_947:                            ;   in Loop: Header=BB360_516 Depth=1
	s_delay_alu instid0(SALU_CYCLE_1)
	s_or_b32 exec_lo, exec_lo, s14
.LBB360_948:                            ;   in Loop: Header=BB360_516 Depth=1
	s_delay_alu instid0(SALU_CYCLE_1)
	s_or_b32 exec_lo, exec_lo, s11
	v_fma_mixlo_bf16 v89, s6, v26, 0
	v_fma_mixlo_bf16 v90, s6, v90, 0
	;; [unrolled: 1-line block ×8, first 2 shown]
	s_and_saveexec_b32 s11, vcc_lo
	s_cbranch_execz .LBB360_950
; %bb.949:                              ;   in Loop: Header=BB360_516 Depth=1
	v_cmp_gt_i32_e64 s0, s25, v42
	s_delay_alu instid0(VALU_DEP_1) | instskip(SKIP_1) | instid1(VALU_DEP_1)
	v_cndmask_b32_e64 v94, 0, v94, s0
	v_cmp_gt_i32_e64 s0, s25, v48
	v_cndmask_b32_e64 v93, 0, v93, s0
	v_cmp_gt_i32_e64 s0, s25, v47
	s_delay_alu instid0(VALU_DEP_1) | instskip(SKIP_1) | instid1(VALU_DEP_1)
	v_cndmask_b32_e64 v92, 0, v92, s0
	v_cmp_gt_i32_e64 s0, s25, v46
	v_cndmask_b32_e64 v91, 0, v91, s0
	v_cmp_gt_i32_e64 s0, s25, v45
	s_delay_alu instid0(VALU_DEP_1) | instskip(SKIP_1) | instid1(VALU_DEP_1)
	v_cndmask_b32_e64 v90, 0, v90, s0
	v_cmp_gt_i32_e64 s0, s25, v44
	v_cndmask_b32_e64 v89, 0, v89, s0
	v_cmp_gt_i32_e64 s0, s25, v43
	s_delay_alu instid0(VALU_DEP_1) | instskip(SKIP_1) | instid1(VALU_DEP_1)
	v_cndmask_b32_e64 v26, 0, v26, s0
	v_cmp_gt_i32_e64 s0, s25, v31
	v_cndmask_b32_e64 v27, 0, v27, s0
.LBB360_950:                            ;   in Loop: Header=BB360_516 Depth=1
	s_or_b32 exec_lo, exec_lo, s11
	global_load_b64 v[0:1], v[24:25], off offset:1792
	v_dual_mov_b32 v96, 0 :: v_dual_mov_b32 v95, 0
	s_mov_b32 s11, exec_lo
	s_wait_loadcnt 0x0
	v_and_b32_e32 v18, 0xff, v0
	s_delay_alu instid0(VALU_DEP_1)
	v_cmpx_ne_u16_e32 0, v18
	s_cbranch_execz .LBB360_956
; %bb.951:                              ;   in Loop: Header=BB360_516 Depth=1
	v_bfrev_b32_e32 v95, 1
	s_mov_b32 s14, exec_lo
	v_cmpx_ne_u16_e32 0x80, v18
	s_cbranch_execz .LBB360_955
; %bb.952:                              ;   in Loop: Header=BB360_516 Depth=1
	v_and_b32_e32 v18, 0x7f, v0
	v_mov_b32_e32 v95, 0x7f800001
	s_mov_b32 s15, exec_lo
	s_delay_alu instid0(VALU_DEP_2)
	v_cmpx_ne_u32_e32 0x7f, v18
	s_cbranch_execz .LBB360_954
; %bb.953:                              ;   in Loop: Header=BB360_516 Depth=1
	v_dual_lshrrev_b32 v25, 3, v18 :: v_dual_bitop2_b32 v24, 7, v0 bitop3:0x40
	v_cmp_gt_u32_e64 s0, 8, v18
	s_delay_alu instid0(VALU_DEP_2) | instskip(NEXT) | instid1(VALU_DEP_1)
	v_clz_i32_u32_e32 v24, v24
	v_min_u32_e32 v24, 32, v24
	s_delay_alu instid0(VALU_DEP_1) | instskip(SKIP_1) | instid1(VALU_DEP_1)
	v_subrev_nc_u32_e32 v95, 28, v24
	v_sub_nc_u32_e32 v24, 29, v24
	v_dual_cndmask_b32 v18, v25, v24, s0 :: v_dual_cndmask_b32 v24, 0, v95, s0
	s_delay_alu instid0(VALU_DEP_1) | instskip(NEXT) | instid1(VALU_DEP_2)
	v_lshl_add_u32 v18, v18, 23, 0x3c000000
	v_lshlrev_b64_e32 v[24:25], v24, v[0:1]
	v_lshlrev_b32_e32 v25, 24, v0
	s_delay_alu instid0(VALU_DEP_1) | instskip(NEXT) | instid1(VALU_DEP_3)
	v_and_b32_e32 v25, 0x80000000, v25
	v_lshlrev_b32_e32 v24, 20, v24
	s_delay_alu instid0(VALU_DEP_1) | instskip(NEXT) | instid1(VALU_DEP_1)
	v_and_b32_e32 v24, 0x700000, v24
	v_or3_b32 v95, v24, v25, v18
.LBB360_954:                            ;   in Loop: Header=BB360_516 Depth=1
	s_or_b32 exec_lo, exec_lo, s15
.LBB360_955:                            ;   in Loop: Header=BB360_516 Depth=1
	s_delay_alu instid0(SALU_CYCLE_1)
	s_or_b32 exec_lo, exec_lo, s14
.LBB360_956:                            ;   in Loop: Header=BB360_516 Depth=1
	s_delay_alu instid0(SALU_CYCLE_1) | instskip(SKIP_2) | instid1(VALU_DEP_1)
	s_or_b32 exec_lo, exec_lo, s11
	v_lshrrev_b16 v18, 8, v0
	s_mov_b32 s11, exec_lo
	v_cmpx_ne_u16_e32 0, v18
	s_cbranch_execz .LBB360_964
; %bb.957:                              ;   in Loop: Header=BB360_516 Depth=1
	v_bfrev_b32_e32 v96, 1
	s_mov_b32 s14, exec_lo
	v_cmpx_ne_u16_e32 0x80, v18
	s_cbranch_execz .LBB360_963
; %bb.958:                              ;   in Loop: Header=BB360_516 Depth=1
	v_and_b32_e32 v18, 0xffff, v18
	v_mov_b32_e32 v96, 0x7f800001
	s_mov_b32 s15, exec_lo
	s_delay_alu instid0(VALU_DEP_2) | instskip(NEXT) | instid1(VALU_DEP_1)
	v_and_b32_e32 v25, 0x7f, v18
	v_cmpx_ne_u32_e32 0x7f, v25
	s_cbranch_execz .LBB360_962
; %bb.959:                              ;   in Loop: Header=BB360_516 Depth=1
	v_dual_lshrrev_b32 v24, 3, v25 :: v_dual_bitop2_b32 v18, 7, v18 bitop3:0x40
	s_mov_b32 s16, exec_lo
	v_cmpx_gt_u32_e32 8, v25
; %bb.960:                              ;   in Loop: Header=BB360_516 Depth=1
	s_delay_alu instid0(VALU_DEP_2) | instskip(NEXT) | instid1(VALU_DEP_1)
	v_clz_i32_u32_e32 v24, v18
	v_min_u32_e32 v24, 32, v24
	s_delay_alu instid0(VALU_DEP_1) | instskip(SKIP_1) | instid1(VALU_DEP_2)
	v_subrev_nc_u32_e32 v25, 28, v24
	v_sub_nc_u32_e32 v24, 29, v24
	v_lshlrev_b64_e32 v[96:97], v25, v[18:19]
	s_delay_alu instid0(VALU_DEP_1)
	v_and_b32_e32 v18, 7, v96
; %bb.961:                              ;   in Loop: Header=BB360_516 Depth=1
	s_or_b32 exec_lo, exec_lo, s16
	s_delay_alu instid0(VALU_DEP_1) | instskip(SKIP_1) | instid1(VALU_DEP_2)
	v_dual_lshlrev_b32 v25, 16, v0 :: v_dual_lshlrev_b32 v18, 20, v18
	v_lshl_add_u32 v24, v24, 23, 0x3c000000
	v_and_b32_e32 v25, 0x80000000, v25
	s_delay_alu instid0(VALU_DEP_1)
	v_or3_b32 v96, v18, v25, v24
.LBB360_962:                            ;   in Loop: Header=BB360_516 Depth=1
	s_or_b32 exec_lo, exec_lo, s15
.LBB360_963:                            ;   in Loop: Header=BB360_516 Depth=1
	s_delay_alu instid0(SALU_CYCLE_1)
	s_or_b32 exec_lo, exec_lo, s14
.LBB360_964:                            ;   in Loop: Header=BB360_516 Depth=1
	s_delay_alu instid0(SALU_CYCLE_1) | instskip(SKIP_3) | instid1(VALU_DEP_2)
	s_or_b32 exec_lo, exec_lo, s11
	v_dual_lshrrev_b32 v24, 16, v0 :: v_dual_mov_b32 v98, 0
	v_mov_b32_e32 v97, 0
	s_mov_b32 s11, exec_lo
	v_and_b32_e32 v18, 0xff, v24
	s_delay_alu instid0(VALU_DEP_1)
	v_cmpx_ne_u16_e32 0, v18
	s_cbranch_execz .LBB360_972
; %bb.965:                              ;   in Loop: Header=BB360_516 Depth=1
	v_bfrev_b32_e32 v97, 1
	s_mov_b32 s14, exec_lo
	v_cmpx_ne_u16_e32 0x80, v18
	s_cbranch_execz .LBB360_971
; %bb.966:                              ;   in Loop: Header=BB360_516 Depth=1
	v_bfe_u32 v99, v0, 16, 7
	v_mov_b32_e32 v97, 0x7f800001
	s_mov_b32 s15, exec_lo
	s_delay_alu instid0(VALU_DEP_2)
	v_cmpx_ne_u32_e32 0x7f, v99
	s_cbranch_execz .LBB360_970
; %bb.967:                              ;   in Loop: Header=BB360_516 Depth=1
	v_dual_lshrrev_b32 v25, 3, v99 :: v_dual_bitop2_b32 v18, 7, v24 bitop3:0x40
	s_mov_b32 s16, exec_lo
	v_cmpx_gt_u32_e32 8, v99
; %bb.968:                              ;   in Loop: Header=BB360_516 Depth=1
	s_delay_alu instid0(VALU_DEP_2) | instskip(NEXT) | instid1(VALU_DEP_1)
	v_clz_i32_u32_e32 v25, v18
	v_min_u32_e32 v25, 32, v25
	s_delay_alu instid0(VALU_DEP_1) | instskip(NEXT) | instid1(VALU_DEP_1)
	v_subrev_nc_u32_e32 v97, 28, v25
	v_lshlrev_b64_e32 v[100:101], v97, v[18:19]
	s_delay_alu instid0(VALU_DEP_1)
	v_dual_sub_nc_u32 v25, 29, v25 :: v_dual_bitop2_b32 v18, 7, v100 bitop3:0x40
; %bb.969:                              ;   in Loop: Header=BB360_516 Depth=1
	s_or_b32 exec_lo, exec_lo, s16
	s_delay_alu instid0(VALU_DEP_1) | instskip(NEXT) | instid1(VALU_DEP_2)
	v_dual_lshlrev_b32 v24, 24, v24 :: v_dual_lshlrev_b32 v18, 20, v18
	v_lshl_add_u32 v25, v25, 23, 0x3c000000
	s_delay_alu instid0(VALU_DEP_2) | instskip(NEXT) | instid1(VALU_DEP_1)
	v_and_b32_e32 v24, 0x80000000, v24
	v_or3_b32 v97, v18, v24, v25
.LBB360_970:                            ;   in Loop: Header=BB360_516 Depth=1
	s_or_b32 exec_lo, exec_lo, s15
.LBB360_971:                            ;   in Loop: Header=BB360_516 Depth=1
	s_delay_alu instid0(SALU_CYCLE_1)
	s_or_b32 exec_lo, exec_lo, s14
.LBB360_972:                            ;   in Loop: Header=BB360_516 Depth=1
	s_delay_alu instid0(SALU_CYCLE_1) | instskip(NEXT) | instid1(SALU_CYCLE_1)
	s_or_b32 exec_lo, exec_lo, s11
	s_mov_b32 s11, exec_lo
	v_cmpx_lt_u32_e32 0xffffff, v0
	s_cbranch_execz .LBB360_980
; %bb.973:                              ;   in Loop: Header=BB360_516 Depth=1
	v_lshrrev_b32_e32 v24, 24, v0
	v_bfrev_b32_e32 v98, 1
	s_mov_b32 s14, exec_lo
	s_delay_alu instid0(VALU_DEP_2)
	v_cmpx_ne_u32_e32 0x80, v24
	s_cbranch_execz .LBB360_979
; %bb.974:                              ;   in Loop: Header=BB360_516 Depth=1
	v_bfe_u32 v99, v0, 24, 7
	v_mov_b32_e32 v98, 0x7f800001
	s_mov_b32 s15, exec_lo
	s_delay_alu instid0(VALU_DEP_2)
	v_cmpx_ne_u32_e32 0x7f, v99
	s_cbranch_execz .LBB360_978
; %bb.975:                              ;   in Loop: Header=BB360_516 Depth=1
	v_dual_lshrrev_b32 v25, 3, v99 :: v_dual_bitop2_b32 v18, 7, v24 bitop3:0x40
	s_mov_b32 s16, exec_lo
	v_cmpx_gt_u32_e32 8, v99
; %bb.976:                              ;   in Loop: Header=BB360_516 Depth=1
	s_delay_alu instid0(VALU_DEP_2) | instskip(NEXT) | instid1(VALU_DEP_1)
	v_clz_i32_u32_e32 v25, v18
	v_min_u32_e32 v25, 32, v25
	s_delay_alu instid0(VALU_DEP_1) | instskip(NEXT) | instid1(VALU_DEP_1)
	v_subrev_nc_u32_e32 v98, 28, v25
	v_lshlrev_b64_e32 v[98:99], v98, v[18:19]
	s_delay_alu instid0(VALU_DEP_1)
	v_dual_sub_nc_u32 v25, 29, v25 :: v_dual_bitop2_b32 v18, 7, v98 bitop3:0x40
; %bb.977:                              ;   in Loop: Header=BB360_516 Depth=1
	s_or_b32 exec_lo, exec_lo, s16
	s_delay_alu instid0(VALU_DEP_1) | instskip(NEXT) | instid1(VALU_DEP_2)
	v_dual_lshlrev_b32 v24, 24, v24 :: v_dual_lshlrev_b32 v18, 20, v18
	v_lshl_add_u32 v25, v25, 23, 0x3c000000
	s_delay_alu instid0(VALU_DEP_2) | instskip(NEXT) | instid1(VALU_DEP_1)
	v_and_b32_e32 v24, 0x80000000, v24
	v_or3_b32 v98, v18, v24, v25
.LBB360_978:                            ;   in Loop: Header=BB360_516 Depth=1
	s_or_b32 exec_lo, exec_lo, s15
.LBB360_979:                            ;   in Loop: Header=BB360_516 Depth=1
	s_delay_alu instid0(SALU_CYCLE_1)
	s_or_b32 exec_lo, exec_lo, s14
.LBB360_980:                            ;   in Loop: Header=BB360_516 Depth=1
	s_delay_alu instid0(SALU_CYCLE_1) | instskip(SKIP_4) | instid1(VALU_DEP_3)
	s_or_b32 exec_lo, exec_lo, s11
	v_and_b32_e32 v25, 0xff, v1
	v_dual_mov_b32 v18, v1 :: v_dual_mov_b32 v24, 0
	v_mov_b32_e32 v99, 0
	s_mov_b32 s11, exec_lo
	v_cmpx_ne_u16_e32 0, v25
	s_cbranch_execz .LBB360_986
; %bb.981:                              ;   in Loop: Header=BB360_516 Depth=1
	v_bfrev_b32_e32 v99, 1
	s_mov_b32 s14, exec_lo
	v_cmpx_ne_u16_e32 0x80, v25
	s_cbranch_execz .LBB360_985
; %bb.982:                              ;   in Loop: Header=BB360_516 Depth=1
	v_and_b32_e32 v25, 0x7f, v1
	v_mov_b32_e32 v99, 0x7f800001
	s_mov_b32 s15, exec_lo
	s_delay_alu instid0(VALU_DEP_2)
	v_cmpx_ne_u32_e32 0x7f, v25
	s_cbranch_execz .LBB360_984
; %bb.983:                              ;   in Loop: Header=BB360_516 Depth=1
	v_and_b32_e32 v99, 7, v1
	v_cmp_gt_u32_e64 s0, 8, v25
	s_delay_alu instid0(VALU_DEP_2) | instskip(NEXT) | instid1(VALU_DEP_1)
	v_clz_i32_u32_e32 v99, v99
	v_min_u32_e32 v99, 32, v99
	v_lshrrev_b32_e32 v100, 3, v25
	s_delay_alu instid0(VALU_DEP_2) | instskip(SKIP_1) | instid1(VALU_DEP_1)
	v_subrev_nc_u32_e32 v101, 28, v99
	v_sub_nc_u32_e32 v99, 29, v99
	v_dual_cndmask_b32 v25, v100, v99, s0 :: v_dual_cndmask_b32 v99, 0, v101, s0
	s_delay_alu instid0(VALU_DEP_1) | instskip(NEXT) | instid1(VALU_DEP_2)
	v_lshl_add_u32 v25, v25, 23, 0x3c000000
	v_lshlrev_b64_e32 v[100:101], v99, v[18:19]
	v_lshlrev_b32_e32 v99, 24, v18
	s_delay_alu instid0(VALU_DEP_1) | instskip(NEXT) | instid1(VALU_DEP_3)
	v_and_b32_e32 v99, 0x80000000, v99
	v_lshlrev_b32_e32 v100, 20, v100
	s_delay_alu instid0(VALU_DEP_1) | instskip(NEXT) | instid1(VALU_DEP_1)
	v_and_b32_e32 v100, 0x700000, v100
	v_or3_b32 v99, v100, v99, v25
.LBB360_984:                            ;   in Loop: Header=BB360_516 Depth=1
	s_or_b32 exec_lo, exec_lo, s15
.LBB360_985:                            ;   in Loop: Header=BB360_516 Depth=1
	s_delay_alu instid0(SALU_CYCLE_1)
	s_or_b32 exec_lo, exec_lo, s14
.LBB360_986:                            ;   in Loop: Header=BB360_516 Depth=1
	s_delay_alu instid0(SALU_CYCLE_1) | instskip(SKIP_2) | instid1(VALU_DEP_1)
	s_or_b32 exec_lo, exec_lo, s11
	v_lshrrev_b16 v25, 8, v18
	s_mov_b32 s11, exec_lo
	v_cmpx_ne_u16_e32 0, v25
	s_cbranch_execz .LBB360_994
; %bb.987:                              ;   in Loop: Header=BB360_516 Depth=1
	v_bfrev_b32_e32 v24, 1
	s_mov_b32 s14, exec_lo
	v_cmpx_ne_u16_e32 0x80, v25
	s_cbranch_execz .LBB360_993
; %bb.988:                              ;   in Loop: Header=BB360_516 Depth=1
	v_and_b32_e32 v25, 0xffff, v25
	v_mov_b32_e32 v24, 0x7f800001
	s_mov_b32 s15, exec_lo
	s_delay_alu instid0(VALU_DEP_2) | instskip(NEXT) | instid1(VALU_DEP_1)
	v_and_b32_e32 v101, 0x7f, v25
	v_cmpx_ne_u32_e32 0x7f, v101
	s_cbranch_execz .LBB360_992
; %bb.989:                              ;   in Loop: Header=BB360_516 Depth=1
	v_dual_mov_b32 v25, v19 :: v_dual_bitop2_b32 v24, 7, v25 bitop3:0x40
	v_lshrrev_b32_e32 v100, 3, v101
	s_mov_b32 s16, exec_lo
	v_cmpx_gt_u32_e32 8, v101
; %bb.990:                              ;   in Loop: Header=BB360_516 Depth=1
	s_delay_alu instid0(VALU_DEP_3) | instskip(NEXT) | instid1(VALU_DEP_1)
	v_clz_i32_u32_e32 v100, v24
	v_min_u32_e32 v100, 32, v100
	s_delay_alu instid0(VALU_DEP_1) | instskip(SKIP_1) | instid1(VALU_DEP_2)
	v_subrev_nc_u32_e32 v101, 28, v100
	v_sub_nc_u32_e32 v100, 29, v100
	v_lshlrev_b64_e32 v[24:25], v101, v[24:25]
	s_delay_alu instid0(VALU_DEP_1)
	v_and_b32_e32 v24, 7, v24
; %bb.991:                              ;   in Loop: Header=BB360_516 Depth=1
	s_or_b32 exec_lo, exec_lo, s16
	s_delay_alu instid0(VALU_DEP_1) | instskip(SKIP_1) | instid1(VALU_DEP_2)
	v_dual_lshlrev_b32 v18, 16, v18 :: v_dual_lshlrev_b32 v24, 20, v24
	v_lshl_add_u32 v25, v100, 23, 0x3c000000
	v_and_b32_e32 v18, 0x80000000, v18
	s_delay_alu instid0(VALU_DEP_1)
	v_or3_b32 v24, v24, v18, v25
.LBB360_992:                            ;   in Loop: Header=BB360_516 Depth=1
	s_or_b32 exec_lo, exec_lo, s15
.LBB360_993:                            ;   in Loop: Header=BB360_516 Depth=1
	s_delay_alu instid0(SALU_CYCLE_1)
	s_or_b32 exec_lo, exec_lo, s14
.LBB360_994:                            ;   in Loop: Header=BB360_516 Depth=1
	s_delay_alu instid0(SALU_CYCLE_1) | instskip(SKIP_3) | instid1(VALU_DEP_2)
	s_or_b32 exec_lo, exec_lo, s11
	v_dual_lshrrev_b32 v101, 16, v1 :: v_dual_mov_b32 v25, 0
	v_mov_b32_e32 v100, 0
	s_mov_b32 s11, exec_lo
	v_and_b32_e32 v18, 0xff, v101
	s_delay_alu instid0(VALU_DEP_1)
	v_cmpx_ne_u16_e32 0, v18
	s_cbranch_execz .LBB360_1002
; %bb.995:                              ;   in Loop: Header=BB360_516 Depth=1
	v_bfrev_b32_e32 v100, 1
	s_mov_b32 s14, exec_lo
	v_cmpx_ne_u16_e32 0x80, v18
	s_cbranch_execz .LBB360_1001
; %bb.996:                              ;   in Loop: Header=BB360_516 Depth=1
	v_bfe_u32 v102, v1, 16, 7
	v_mov_b32_e32 v100, 0x7f800001
	s_mov_b32 s15, exec_lo
	s_delay_alu instid0(VALU_DEP_2)
	v_cmpx_ne_u32_e32 0x7f, v102
	s_cbranch_execz .LBB360_1000
; %bb.997:                              ;   in Loop: Header=BB360_516 Depth=1
	v_dual_lshrrev_b32 v100, 3, v102 :: v_dual_bitop2_b32 v18, 7, v101 bitop3:0x40
	s_mov_b32 s16, exec_lo
	v_cmpx_gt_u32_e32 8, v102
; %bb.998:                              ;   in Loop: Header=BB360_516 Depth=1
	s_delay_alu instid0(VALU_DEP_2) | instskip(NEXT) | instid1(VALU_DEP_1)
	v_clz_i32_u32_e32 v100, v18
	v_min_u32_e32 v100, 32, v100
	s_delay_alu instid0(VALU_DEP_1) | instskip(NEXT) | instid1(VALU_DEP_1)
	v_subrev_nc_u32_e32 v102, 28, v100
	v_lshlrev_b64_e32 v[102:103], v102, v[18:19]
	s_delay_alu instid0(VALU_DEP_1)
	v_dual_sub_nc_u32 v100, 29, v100 :: v_dual_bitop2_b32 v18, 7, v102 bitop3:0x40
; %bb.999:                              ;   in Loop: Header=BB360_516 Depth=1
	s_or_b32 exec_lo, exec_lo, s16
	s_delay_alu instid0(VALU_DEP_1) | instskip(NEXT) | instid1(VALU_DEP_2)
	v_dual_lshlrev_b32 v101, 24, v101 :: v_dual_lshlrev_b32 v18, 20, v18
	v_lshl_add_u32 v100, v100, 23, 0x3c000000
	s_delay_alu instid0(VALU_DEP_2) | instskip(NEXT) | instid1(VALU_DEP_1)
	v_and_b32_e32 v101, 0x80000000, v101
	v_or3_b32 v100, v18, v101, v100
.LBB360_1000:                           ;   in Loop: Header=BB360_516 Depth=1
	s_or_b32 exec_lo, exec_lo, s15
.LBB360_1001:                           ;   in Loop: Header=BB360_516 Depth=1
	s_delay_alu instid0(SALU_CYCLE_1)
	s_or_b32 exec_lo, exec_lo, s14
.LBB360_1002:                           ;   in Loop: Header=BB360_516 Depth=1
	s_delay_alu instid0(SALU_CYCLE_1) | instskip(NEXT) | instid1(SALU_CYCLE_1)
	s_or_b32 exec_lo, exec_lo, s11
	s_mov_b32 s11, exec_lo
	v_cmpx_lt_u64_e64 s[2:3], v[0:1]
	s_cbranch_execz .LBB360_1010
; %bb.1003:                             ;   in Loop: Header=BB360_516 Depth=1
	v_lshrrev_b32_e32 v0, 24, v1
	v_bfrev_b32_e32 v25, 1
	s_mov_b32 s14, exec_lo
	s_delay_alu instid0(VALU_DEP_2)
	v_cmpx_ne_u32_e32 0x80, v0
	s_cbranch_execz .LBB360_1009
; %bb.1004:                             ;   in Loop: Header=BB360_516 Depth=1
	v_bfe_u32 v101, v1, 24, 7
	v_mov_b32_e32 v25, 0x7f800001
	s_mov_b32 s15, exec_lo
	s_delay_alu instid0(VALU_DEP_2)
	v_cmpx_ne_u32_e32 0x7f, v101
	s_cbranch_execz .LBB360_1008
; %bb.1005:                             ;   in Loop: Header=BB360_516 Depth=1
	v_dual_lshrrev_b32 v1, 3, v101 :: v_dual_bitop2_b32 v18, 7, v0 bitop3:0x40
	s_mov_b32 s16, exec_lo
	v_cmpx_gt_u32_e32 8, v101
; %bb.1006:                             ;   in Loop: Header=BB360_516 Depth=1
	s_delay_alu instid0(VALU_DEP_2) | instskip(NEXT) | instid1(VALU_DEP_1)
	v_clz_i32_u32_e32 v1, v18
	v_min_u32_e32 v1, 32, v1
	s_delay_alu instid0(VALU_DEP_1) | instskip(NEXT) | instid1(VALU_DEP_1)
	v_subrev_nc_u32_e32 v25, 28, v1
	v_lshlrev_b64_e32 v[102:103], v25, v[18:19]
	s_delay_alu instid0(VALU_DEP_1)
	v_dual_sub_nc_u32 v1, 29, v1 :: v_dual_bitop2_b32 v18, 7, v102 bitop3:0x40
; %bb.1007:                             ;   in Loop: Header=BB360_516 Depth=1
	s_or_b32 exec_lo, exec_lo, s16
	s_delay_alu instid0(VALU_DEP_1) | instskip(NEXT) | instid1(VALU_DEP_2)
	v_dual_lshlrev_b32 v0, 24, v0 :: v_dual_lshlrev_b32 v18, 20, v18
	v_lshl_add_u32 v1, v1, 23, 0x3c000000
	s_delay_alu instid0(VALU_DEP_2) | instskip(NEXT) | instid1(VALU_DEP_1)
	v_and_b32_e32 v0, 0x80000000, v0
	v_or3_b32 v25, v18, v0, v1
.LBB360_1008:                           ;   in Loop: Header=BB360_516 Depth=1
	s_or_b32 exec_lo, exec_lo, s15
.LBB360_1009:                           ;   in Loop: Header=BB360_516 Depth=1
	s_delay_alu instid0(SALU_CYCLE_1)
	s_or_b32 exec_lo, exec_lo, s14
.LBB360_1010:                           ;   in Loop: Header=BB360_516 Depth=1
	s_delay_alu instid0(SALU_CYCLE_1)
	s_or_b32 exec_lo, exec_lo, s11
	v_fma_mixlo_bf16 v0, s6, v24, 0
	v_fma_mixlo_bf16 v1, s6, v99, 0
	;; [unrolled: 1-line block ×8, first 2 shown]
	s_and_saveexec_b32 s0, vcc_lo
	s_cbranch_execz .LBB360_515
; %bb.1011:                             ;   in Loop: Header=BB360_516 Depth=1
	v_cmp_gt_i32_e32 vcc_lo, s25, v42
	v_cndmask_b32_e32 v95, 0, v95, vcc_lo
	v_cmp_gt_i32_e32 vcc_lo, s25, v48
	v_cndmask_b32_e32 v96, 0, v96, vcc_lo
	;; [unrolled: 2-line block ×8, first 2 shown]
	s_branch .LBB360_515
.LBB360_1012:
	s_or_b32 exec_lo, exec_lo, s9
	v_dual_mov_b32 v24, v104 :: v_dual_mov_b32 v33, v105
.LBB360_1013:
	s_or_b32 exec_lo, exec_lo, s1
	ds_bpermute_b32 v0, v29, v16
	ds_bpermute_b32 v1, v29, v17
	;; [unrolled: 1-line block ×8, first 2 shown]
	s_mov_b32 s0, exec_lo
	s_wait_dscnt 0x0
	s_barrier_signal -1
	s_barrier_wait -1
	v_pk_add_f32 v[0:1], v[16:17], v[0:1]
	v_pk_add_f32 v[2:3], v[14:15], v[2:3]
	;; [unrolled: 1-line block ×3, first 2 shown]
	ds_bpermute_b32 v4, v28, v0
	v_pk_add_f32 v[6:7], v[10:11], v[6:7]
	ds_bpermute_b32 v5, v28, v1
	ds_bpermute_b32 v14, v28, v2
	;; [unrolled: 1-line block ×7, first 2 shown]
	v_and_b32_e32 v11, 0x3c3, v24
	v_and_b32_e32 v10, 28, v106
	s_wait_dscnt 0x6
	v_pk_add_f32 v[4:5], v[0:1], v[4:5]
	s_wait_dscnt 0x4
	v_pk_add_f32 v[2:3], v[2:3], v[14:15]
	;; [unrolled: 2-line block ×3, first 2 shown]
	v_cmpx_ne_u32_e32 64, v11
	s_xor_b32 s0, exec_lo, s0
	s_delay_alu instid0(SALU_CYCLE_1)
	s_or_saveexec_b32 s0, s0
	s_wait_dscnt 0x0
	v_pk_add_f32 v[6:7], v[6:7], v[8:9]
	v_lshrrev_b32_e32 v8, 2, v106
	v_add_nc_u32_e32 v9, 0xa0, v10
	v_lshlrev_b32_e32 v10, 8, v33
	s_xor_b32 exec_lo, exec_lo, s0
	s_cbranch_execz .LBB360_1015
; %bb.1014:
	s_delay_alu instid0(VALU_DEP_1) | instskip(NEXT) | instid1(VALU_DEP_1)
	v_add_nc_u32_e32 v11, v9, v10
	v_add_nc_u32_e32 v12, 0xfffffe00, v11
	;; [unrolled: 1-line block ×9, first 2 shown]
	ds_store_b32 v12, v4
	ds_store_b32 v13, v5
	;; [unrolled: 1-line block ×8, first 2 shown]
.LBB360_1015:
	s_or_b32 exec_lo, exec_lo, s0
	v_lshlrev_b32_e32 v8, 2, v8
	s_mov_b32 s1, exec_lo
	v_cmp_eq_u32_e32 vcc_lo, 0, v30
	s_wait_dscnt 0x0
	s_barrier_signal -1
	v_add3_u32 v8, 0xa0, v10, v8
	s_barrier_wait -1
	v_cmpx_gt_u32_e32 64, v24
	s_cbranch_execz .LBB360_1026
; %bb.1016:
	s_and_saveexec_b32 s0, vcc_lo
	s_cbranch_execnz .LBB360_1042
; %bb.1017:
	s_or_b32 exec_lo, exec_lo, s0
	s_and_saveexec_b32 s0, vcc_lo
	s_cbranch_execnz .LBB360_1043
.LBB360_1018:
	s_or_b32 exec_lo, exec_lo, s0
	s_and_saveexec_b32 s0, vcc_lo
	s_cbranch_execnz .LBB360_1044
.LBB360_1019:
	s_or_b32 exec_lo, exec_lo, s0
	s_and_saveexec_b32 s0, vcc_lo
	s_cbranch_execnz .LBB360_1045
.LBB360_1020:
	s_or_b32 exec_lo, exec_lo, s0
	s_and_saveexec_b32 s0, vcc_lo
	s_cbranch_execnz .LBB360_1046
.LBB360_1021:
	s_or_b32 exec_lo, exec_lo, s0
	s_and_saveexec_b32 s0, vcc_lo
	s_cbranch_execnz .LBB360_1047
.LBB360_1022:
	s_or_b32 exec_lo, exec_lo, s0
	s_and_saveexec_b32 s0, vcc_lo
	s_cbranch_execnz .LBB360_1048
.LBB360_1023:
	s_or_b32 exec_lo, exec_lo, s0
	s_and_saveexec_b32 s0, vcc_lo
	s_cbranch_execz .LBB360_1025
.LBB360_1024:
	ds_load_b32 v10, v8 offset:224
	s_wait_dscnt 0x0
	v_add_f32_e32 v7, v7, v10
.LBB360_1025:
	s_or_b32 exec_lo, exec_lo, s0
.LBB360_1026:
	s_delay_alu instid0(SALU_CYCLE_1) | instskip(SKIP_4) | instid1(VALU_DEP_1)
	s_or_b32 exec_lo, exec_lo, s1
	v_and_b32_e32 v10, 0x3e3, v24
	s_mov_b32 s1, exec_lo
	s_barrier_signal -1
	s_barrier_wait -1
	v_cmpx_eq_u32_e32 32, v10
	s_cbranch_execz .LBB360_1028
; %bb.1027:
	ds_store_2addr_b32 v9, v4, v5 offset1:8
	ds_store_2addr_b32 v9, v2, v3 offset0:16 offset1:24
	ds_store_2addr_b32 v9, v0, v1 offset0:32 offset1:40
	;; [unrolled: 1-line block ×3, first 2 shown]
.LBB360_1028:
	s_or_b32 exec_lo, exec_lo, s1
	s_delay_alu instid0(SALU_CYCLE_1)
	s_mov_b32 s1, exec_lo
	s_wait_dscnt 0x0
	s_barrier_signal -1
	s_barrier_wait -1
	v_cmpx_gt_u32_e32 32, v24
	s_cbranch_execz .LBB360_1039
; %bb.1029:
	s_and_saveexec_b32 s0, vcc_lo
	s_cbranch_execnz .LBB360_1049
; %bb.1030:
	s_or_b32 exec_lo, exec_lo, s0
	s_and_saveexec_b32 s0, vcc_lo
	s_cbranch_execnz .LBB360_1050
.LBB360_1031:
	s_or_b32 exec_lo, exec_lo, s0
	s_and_saveexec_b32 s0, vcc_lo
	s_cbranch_execnz .LBB360_1051
.LBB360_1032:
	s_or_b32 exec_lo, exec_lo, s0
	s_and_saveexec_b32 s0, vcc_lo
	s_cbranch_execnz .LBB360_1052
.LBB360_1033:
	s_or_b32 exec_lo, exec_lo, s0
	s_and_saveexec_b32 s0, vcc_lo
	s_cbranch_execnz .LBB360_1053
.LBB360_1034:
	s_or_b32 exec_lo, exec_lo, s0
	s_and_saveexec_b32 s0, vcc_lo
	s_cbranch_execnz .LBB360_1054
.LBB360_1035:
	s_or_b32 exec_lo, exec_lo, s0
	s_and_saveexec_b32 s0, vcc_lo
	s_cbranch_execnz .LBB360_1055
.LBB360_1036:
	s_or_b32 exec_lo, exec_lo, s0
	s_and_saveexec_b32 s0, vcc_lo
	s_cbranch_execz .LBB360_1038
.LBB360_1037:
	ds_load_b32 v8, v8 offset:224
	s_wait_dscnt 0x0
	v_add_f32_e32 v7, v7, v8
.LBB360_1038:
	s_or_b32 exec_lo, exec_lo, s0
.LBB360_1039:
	s_delay_alu instid0(SALU_CYCLE_1)
	s_or_b32 exec_lo, exec_lo, s1
	s_mov_b32 s1, 0
	s_barrier_signal -1
	s_barrier_wait -1
	s_mov_b32 s0, exec_lo
	v_cmpx_eq_u32_e32 0, v10
	s_cbranch_execz .LBB360_1041
; %bb.1040:
	s_mul_i32 s0, s24, s8
	s_mul_i32 s2, s8, s12
	;; [unrolled: 1-line block ×3, first 2 shown]
	s_lshr_b32 s8, ttmp7, 16
	s_lshl_b32 s6, s0, 6
	s_bfe_u32 s0, ttmp6, 0x40014
	s_ashr_i32 s7, s6, 31
	s_add_co_i32 s0, s0, 1
	s_ashr_i32 s3, s2, 31
	s_mul_i32 s0, s8, s0
	s_bfe_u32 s9, ttmp6, 0x40008
	s_lshl_b64 s[6:7], s[6:7], 1
	s_lshl_b64 s[2:3], s[2:3], 1
	s_add_co_i32 s9, s9, s0
	s_cmp_eq_u32 s22, 0
	s_wait_kmcnt 0x0
	s_add_nc_u64 s[4:5], s[4:5], s[6:7]
	s_cselect_b32 s0, s8, s9
	s_add_nc_u64 s[2:3], s[4:5], s[2:3]
	s_lshl_b32 s0, s0, 7
	v_lshrrev_b32_e32 v8, 1, v24
	s_add_nc_u64 s[0:1], s[2:3], s[0:1]
	s_delay_alu instid0(SALU_CYCLE_1)
	v_cvt_pk_bf16_f32 v4, v4, s0
	v_cvt_pk_bf16_f32 v5, v5, s0
	;; [unrolled: 1-line block ×8, first 2 shown]
	s_clause 0x7
	global_store_b16 v8, v4, s[0:1]
	global_store_b16 v8, v5, s[0:1] offset:16
	global_store_b16 v8, v2, s[0:1] offset:32
	;; [unrolled: 1-line block ×7, first 2 shown]
.LBB360_1041:
	s_sendmsg sendmsg(MSG_DEALLOC_VGPRS)
	s_endpgm
.LBB360_1042:
	ds_load_b32 v10, v8
	s_wait_dscnt 0x0
	v_add_f32_e32 v4, v4, v10
	s_or_b32 exec_lo, exec_lo, s0
	s_and_saveexec_b32 s0, vcc_lo
	s_cbranch_execz .LBB360_1018
.LBB360_1043:
	ds_load_b32 v10, v8 offset:32
	s_wait_dscnt 0x0
	v_add_f32_e32 v5, v5, v10
	s_or_b32 exec_lo, exec_lo, s0
	s_and_saveexec_b32 s0, vcc_lo
	s_cbranch_execz .LBB360_1019
.LBB360_1044:
	ds_load_b32 v10, v8 offset:64
	s_wait_dscnt 0x0
	v_add_f32_e32 v2, v2, v10
	s_or_b32 exec_lo, exec_lo, s0
	s_and_saveexec_b32 s0, vcc_lo
	s_cbranch_execz .LBB360_1020
.LBB360_1045:
	ds_load_b32 v10, v8 offset:96
	s_wait_dscnt 0x0
	v_add_f32_e32 v3, v3, v10
	s_or_b32 exec_lo, exec_lo, s0
	s_and_saveexec_b32 s0, vcc_lo
	s_cbranch_execz .LBB360_1021
.LBB360_1046:
	ds_load_b32 v10, v8 offset:128
	s_wait_dscnt 0x0
	v_add_f32_e32 v0, v0, v10
	s_or_b32 exec_lo, exec_lo, s0
	s_and_saveexec_b32 s0, vcc_lo
	s_cbranch_execz .LBB360_1022
.LBB360_1047:
	ds_load_b32 v10, v8 offset:160
	s_wait_dscnt 0x0
	v_add_f32_e32 v1, v1, v10
	s_or_b32 exec_lo, exec_lo, s0
	s_and_saveexec_b32 s0, vcc_lo
	s_cbranch_execz .LBB360_1023
.LBB360_1048:
	ds_load_b32 v10, v8 offset:192
	s_wait_dscnt 0x0
	v_add_f32_e32 v6, v6, v10
	s_or_b32 exec_lo, exec_lo, s0
	s_and_saveexec_b32 s0, vcc_lo
	s_cbranch_execnz .LBB360_1024
	s_branch .LBB360_1025
.LBB360_1049:
	ds_load_b32 v9, v8
	s_wait_dscnt 0x0
	v_add_f32_e32 v4, v4, v9
	s_or_b32 exec_lo, exec_lo, s0
	s_and_saveexec_b32 s0, vcc_lo
	s_cbranch_execz .LBB360_1031
.LBB360_1050:
	ds_load_b32 v9, v8 offset:32
	s_wait_dscnt 0x0
	v_add_f32_e32 v5, v5, v9
	s_or_b32 exec_lo, exec_lo, s0
	s_and_saveexec_b32 s0, vcc_lo
	s_cbranch_execz .LBB360_1032
.LBB360_1051:
	ds_load_b32 v9, v8 offset:64
	s_wait_dscnt 0x0
	v_add_f32_e32 v2, v2, v9
	s_or_b32 exec_lo, exec_lo, s0
	s_and_saveexec_b32 s0, vcc_lo
	s_cbranch_execz .LBB360_1033
.LBB360_1052:
	ds_load_b32 v9, v8 offset:96
	s_wait_dscnt 0x0
	v_add_f32_e32 v3, v3, v9
	s_or_b32 exec_lo, exec_lo, s0
	s_and_saveexec_b32 s0, vcc_lo
	s_cbranch_execz .LBB360_1034
.LBB360_1053:
	ds_load_b32 v9, v8 offset:128
	s_wait_dscnt 0x0
	v_add_f32_e32 v0, v0, v9
	s_or_b32 exec_lo, exec_lo, s0
	s_and_saveexec_b32 s0, vcc_lo
	s_cbranch_execz .LBB360_1035
.LBB360_1054:
	ds_load_b32 v9, v8 offset:160
	s_wait_dscnt 0x0
	v_add_f32_e32 v1, v1, v9
	s_or_b32 exec_lo, exec_lo, s0
	s_and_saveexec_b32 s0, vcc_lo
	s_cbranch_execz .LBB360_1036
.LBB360_1055:
	ds_load_b32 v9, v8 offset:192
	s_wait_dscnt 0x0
	v_add_f32_e32 v6, v6, v9
	s_or_b32 exec_lo, exec_lo, s0
	s_and_saveexec_b32 s0, vcc_lo
	s_cbranch_execnz .LBB360_1037
	s_branch .LBB360_1038
	.section	.rodata,"a",@progbits
	.p2align	6, 0x0
	.amdhsa_kernel _ZN4vllm25paged_attention_v1_kernelI14__hip_bfloat16hLi64ELi32ELi128ELNS_18Fp8KVCacheDataTypeE1ELb0EEEvPT_PKS3_PKT0_S9_ifPKiSB_iPKfiiiSD_SD_iiiii
		.amdhsa_group_segment_fixed_size 160
		.amdhsa_private_segment_fixed_size 80
		.amdhsa_kernarg_size 384
		.amdhsa_user_sgpr_count 2
		.amdhsa_user_sgpr_dispatch_ptr 0
		.amdhsa_user_sgpr_queue_ptr 0
		.amdhsa_user_sgpr_kernarg_segment_ptr 1
		.amdhsa_user_sgpr_dispatch_id 0
		.amdhsa_user_sgpr_kernarg_preload_length 0
		.amdhsa_user_sgpr_kernarg_preload_offset 0
		.amdhsa_user_sgpr_private_segment_size 0
		.amdhsa_wavefront_size32 1
		.amdhsa_uses_dynamic_stack 0
		.amdhsa_enable_private_segment 1
		.amdhsa_system_sgpr_workgroup_id_x 1
		.amdhsa_system_sgpr_workgroup_id_y 1
		.amdhsa_system_sgpr_workgroup_id_z 1
		.amdhsa_system_sgpr_workgroup_info 0
		.amdhsa_system_vgpr_workitem_id 0
		.amdhsa_next_free_vgpr 128
		.amdhsa_next_free_sgpr 34
		.amdhsa_named_barrier_count 0
		.amdhsa_reserve_vcc 1
		.amdhsa_float_round_mode_32 0
		.amdhsa_float_round_mode_16_64 0
		.amdhsa_float_denorm_mode_32 3
		.amdhsa_float_denorm_mode_16_64 3
		.amdhsa_fp16_overflow 0
		.amdhsa_memory_ordered 1
		.amdhsa_forward_progress 1
		.amdhsa_inst_pref_size 255
		.amdhsa_round_robin_scheduling 0
		.amdhsa_exception_fp_ieee_invalid_op 0
		.amdhsa_exception_fp_denorm_src 0
		.amdhsa_exception_fp_ieee_div_zero 0
		.amdhsa_exception_fp_ieee_overflow 0
		.amdhsa_exception_fp_ieee_underflow 0
		.amdhsa_exception_fp_ieee_inexact 0
		.amdhsa_exception_int_div_zero 0
	.end_amdhsa_kernel
	.section	.text._ZN4vllm25paged_attention_v1_kernelI14__hip_bfloat16hLi64ELi32ELi128ELNS_18Fp8KVCacheDataTypeE1ELb0EEEvPT_PKS3_PKT0_S9_ifPKiSB_iPKfiiiSD_SD_iiiii,"axG",@progbits,_ZN4vllm25paged_attention_v1_kernelI14__hip_bfloat16hLi64ELi32ELi128ELNS_18Fp8KVCacheDataTypeE1ELb0EEEvPT_PKS3_PKT0_S9_ifPKiSB_iPKfiiiSD_SD_iiiii,comdat
.Lfunc_end360:
	.size	_ZN4vllm25paged_attention_v1_kernelI14__hip_bfloat16hLi64ELi32ELi128ELNS_18Fp8KVCacheDataTypeE1ELb0EEEvPT_PKS3_PKT0_S9_ifPKiSB_iPKfiiiSD_SD_iiiii, .Lfunc_end360-_ZN4vllm25paged_attention_v1_kernelI14__hip_bfloat16hLi64ELi32ELi128ELNS_18Fp8KVCacheDataTypeE1ELb0EEEvPT_PKS3_PKT0_S9_ifPKiSB_iPKfiiiSD_SD_iiiii
                                        ; -- End function
	.set _ZN4vllm25paged_attention_v1_kernelI14__hip_bfloat16hLi64ELi32ELi128ELNS_18Fp8KVCacheDataTypeE1ELb0EEEvPT_PKS3_PKT0_S9_ifPKiSB_iPKfiiiSD_SD_iiiii.num_vgpr, 128
	.set _ZN4vllm25paged_attention_v1_kernelI14__hip_bfloat16hLi64ELi32ELi128ELNS_18Fp8KVCacheDataTypeE1ELb0EEEvPT_PKS3_PKT0_S9_ifPKiSB_iPKfiiiSD_SD_iiiii.num_agpr, 0
	.set _ZN4vllm25paged_attention_v1_kernelI14__hip_bfloat16hLi64ELi32ELi128ELNS_18Fp8KVCacheDataTypeE1ELb0EEEvPT_PKS3_PKT0_S9_ifPKiSB_iPKfiiiSD_SD_iiiii.numbered_sgpr, 34
	.set _ZN4vllm25paged_attention_v1_kernelI14__hip_bfloat16hLi64ELi32ELi128ELNS_18Fp8KVCacheDataTypeE1ELb0EEEvPT_PKS3_PKT0_S9_ifPKiSB_iPKfiiiSD_SD_iiiii.num_named_barrier, 0
	.set _ZN4vllm25paged_attention_v1_kernelI14__hip_bfloat16hLi64ELi32ELi128ELNS_18Fp8KVCacheDataTypeE1ELb0EEEvPT_PKS3_PKT0_S9_ifPKiSB_iPKfiiiSD_SD_iiiii.private_seg_size, 80
	.set _ZN4vllm25paged_attention_v1_kernelI14__hip_bfloat16hLi64ELi32ELi128ELNS_18Fp8KVCacheDataTypeE1ELb0EEEvPT_PKS3_PKT0_S9_ifPKiSB_iPKfiiiSD_SD_iiiii.uses_vcc, 1
	.set _ZN4vllm25paged_attention_v1_kernelI14__hip_bfloat16hLi64ELi32ELi128ELNS_18Fp8KVCacheDataTypeE1ELb0EEEvPT_PKS3_PKT0_S9_ifPKiSB_iPKfiiiSD_SD_iiiii.uses_flat_scratch, 1
	.set _ZN4vllm25paged_attention_v1_kernelI14__hip_bfloat16hLi64ELi32ELi128ELNS_18Fp8KVCacheDataTypeE1ELb0EEEvPT_PKS3_PKT0_S9_ifPKiSB_iPKfiiiSD_SD_iiiii.has_dyn_sized_stack, 0
	.set _ZN4vllm25paged_attention_v1_kernelI14__hip_bfloat16hLi64ELi32ELi128ELNS_18Fp8KVCacheDataTypeE1ELb0EEEvPT_PKS3_PKT0_S9_ifPKiSB_iPKfiiiSD_SD_iiiii.has_recursion, 0
	.set _ZN4vllm25paged_attention_v1_kernelI14__hip_bfloat16hLi64ELi32ELi128ELNS_18Fp8KVCacheDataTypeE1ELb0EEEvPT_PKS3_PKT0_S9_ifPKiSB_iPKfiiiSD_SD_iiiii.has_indirect_call, 0
	.section	.AMDGPU.csdata,"",@progbits
; Kernel info:
; codeLenInByte = 37920
; TotalNumSgprs: 36
; NumVgprs: 128
; ScratchSize: 80
; MemoryBound: 0
; FloatMode: 240
; IeeeMode: 1
; LDSByteSize: 160 bytes/workgroup (compile time only)
; SGPRBlocks: 0
; VGPRBlocks: 7
; NumSGPRsForWavesPerEU: 36
; NumVGPRsForWavesPerEU: 128
; NamedBarCnt: 0
; Occupancy: 8
; WaveLimiterHint : 1
; COMPUTE_PGM_RSRC2:SCRATCH_EN: 1
; COMPUTE_PGM_RSRC2:USER_SGPR: 2
; COMPUTE_PGM_RSRC2:TRAP_HANDLER: 0
; COMPUTE_PGM_RSRC2:TGID_X_EN: 1
; COMPUTE_PGM_RSRC2:TGID_Y_EN: 1
; COMPUTE_PGM_RSRC2:TGID_Z_EN: 1
; COMPUTE_PGM_RSRC2:TIDIG_COMP_CNT: 0
	.section	.text._ZN4vllm25paged_attention_v1_kernelI14__hip_bfloat16hLi80ELi32ELi128ELNS_18Fp8KVCacheDataTypeE1ELb0EEEvPT_PKS3_PKT0_S9_ifPKiSB_iPKfiiiSD_SD_iiiii,"axG",@progbits,_ZN4vllm25paged_attention_v1_kernelI14__hip_bfloat16hLi80ELi32ELi128ELNS_18Fp8KVCacheDataTypeE1ELb0EEEvPT_PKS3_PKT0_S9_ifPKiSB_iPKfiiiSD_SD_iiiii,comdat
	.protected	_ZN4vllm25paged_attention_v1_kernelI14__hip_bfloat16hLi80ELi32ELi128ELNS_18Fp8KVCacheDataTypeE1ELb0EEEvPT_PKS3_PKT0_S9_ifPKiSB_iPKfiiiSD_SD_iiiii ; -- Begin function _ZN4vllm25paged_attention_v1_kernelI14__hip_bfloat16hLi80ELi32ELi128ELNS_18Fp8KVCacheDataTypeE1ELb0EEEvPT_PKS3_PKT0_S9_ifPKiSB_iPKfiiiSD_SD_iiiii
	.globl	_ZN4vllm25paged_attention_v1_kernelI14__hip_bfloat16hLi80ELi32ELi128ELNS_18Fp8KVCacheDataTypeE1ELb0EEEvPT_PKS3_PKT0_S9_ifPKiSB_iPKfiiiSD_SD_iiiii
	.p2align	8
	.type	_ZN4vllm25paged_attention_v1_kernelI14__hip_bfloat16hLi80ELi32ELi128ELNS_18Fp8KVCacheDataTypeE1ELb0EEEvPT_PKS3_PKT0_S9_ifPKiSB_iPKfiiiSD_SD_iiiii,@function
_ZN4vllm25paged_attention_v1_kernelI14__hip_bfloat16hLi80ELi32ELi128ELNS_18Fp8KVCacheDataTypeE1ELb0EEEvPT_PKS3_PKT0_S9_ifPKiSB_iPKfiiiSD_SD_iiiii: ; @_ZN4vllm25paged_attention_v1_kernelI14__hip_bfloat16hLi80ELi32ELi128ELNS_18Fp8KVCacheDataTypeE1ELb0EEEvPT_PKS3_PKT0_S9_ifPKiSB_iPKfiiiSD_SD_iiiii
; %bb.0:
	s_load_b64 s[18:19], s[0:1], 0x20
	s_bfe_u32 s3, ttmp6, 0x4000c
	s_bfe_u32 s5, ttmp6, 0x40010
	s_and_b32 s4, ttmp7, 0xffff
	s_add_co_i32 s3, s3, 1
	s_add_co_i32 s5, s5, 1
	s_and_b32 s2, ttmp6, 15
	s_bfe_u32 s6, ttmp6, 0x40004
	s_mul_i32 s3, ttmp9, s3
	s_mul_i32 s5, s4, s5
	s_getreg_b32 s22, hwreg(HW_REG_IB_STS2, 6, 4)
	s_add_co_i32 s2, s2, s3
	s_add_co_i32 s3, s6, s5
	s_cmp_eq_u32 s22, 0
	v_mov_b32_e32 v24, v0
	s_cselect_b32 s24, s4, s3
	s_cselect_b32 s4, ttmp9, s2
	s_clause 0x1
	s_load_b32 s23, s[0:1], 0x80
	s_load_b64 s[6:7], s[0:1], 0x30
	s_wait_kmcnt 0x0
	s_abs_i32 s2, s18
	s_delay_alu instid0(SALU_CYCLE_1) | instskip(SKIP_1) | instid1(SALU_CYCLE_2)
	s_cvt_f32_u32 s3, s2
	s_sub_co_i32 s5, 0, s2
	v_rcp_iflag_f32_e32 v0, s3
	v_nop
	s_delay_alu instid0(TRANS32_DEP_1) | instskip(SKIP_2) | instid1(SALU_CYCLE_3)
	v_readfirstlane_b32 s3, v0
	s_abs_i32 s8, s23
	s_mul_f32 s3, s3, 0x4f7ffffe
	s_cvt_u32_f32 s3, s3
	s_delay_alu instid0(SALU_CYCLE_3) | instskip(NEXT) | instid1(SALU_CYCLE_1)
	s_mul_i32 s5, s5, s3
	s_mul_hi_u32 s5, s3, s5
	s_delay_alu instid0(SALU_CYCLE_1) | instskip(SKIP_4) | instid1(SALU_CYCLE_1)
	s_add_co_i32 s3, s3, s5
	s_xor_b32 s5, s23, s18
	s_mul_hi_u32 s3, s8, s3
	s_ashr_i32 s5, s5, 31
	s_mul_i32 s9, s3, s2
	s_sub_co_i32 s8, s8, s9
	s_add_co_i32 s9, s3, 1
	s_sub_co_i32 s10, s8, s2
	s_cmp_ge_u32 s8, s2
	s_cselect_b32 s3, s9, s3
	s_cselect_b32 s8, s10, s8
	s_add_co_i32 s9, s3, 1
	s_cmp_ge_u32 s8, s2
	s_cselect_b32 s2, s9, s3
	s_load_b64 s[8:9], s[0:1], 0x40
	s_xor_b32 s2, s2, s5
	s_mov_b32 s3, 0
	s_sub_co_i32 s14, s2, s5
	s_mov_b32 s13, s3
	s_abs_i32 s11, s14
	s_mov_b32 s18, s3
	s_cvt_f32_u32 s2, s11
	s_delay_alu instid0(SALU_CYCLE_3) | instskip(SKIP_1) | instid1(TRANS32_DEP_1)
	v_rcp_iflag_f32_e32 v0, s2
	v_nop
	v_readfirstlane_b32 s2, v0
	s_mul_f32 s2, s2, 0x4f7ffffe
	s_delay_alu instid0(SALU_CYCLE_3) | instskip(SKIP_1) | instid1(SALU_CYCLE_2)
	s_cvt_u32_f32 s5, s2
	s_sub_co_i32 s2, 0, s11
	s_mul_i32 s2, s2, s5
	s_delay_alu instid0(SALU_CYCLE_1)
	s_mul_hi_u32 s10, s5, s2
	s_abs_i32 s2, s4
	s_add_co_i32 s12, s5, s10
	s_wait_kmcnt 0x0
	s_cmp_eq_u64 s[8:9], 0
	s_cbranch_scc1 .LBB361_2
; %bb.1:
	s_ashr_i32 s5, s4, 31
	s_delay_alu instid0(SALU_CYCLE_1) | instskip(NEXT) | instid1(SALU_CYCLE_1)
	s_lshl_b64 s[16:17], s[4:5], 2
	s_add_nc_u64 s[8:9], s[8:9], s[16:17]
	s_load_b32 s18, s[8:9], 0x0
.LBB361_2:
	s_load_b32 s25, s[6:7], s24 offset:0x0 scale_offset
	s_wait_xcnt 0x0
	s_load_b96 s[8:10], s[0:1], 0x48
	s_ashr_i32 s5, s4, 31
	s_ashr_i32 s6, s14, 31
	s_mul_u64 s[16:17], s[2:3], s[12:13]
	s_mul_i32 s12, s4, 0x50
	s_mov_b32 s3, exec_lo
	v_cmpx_gt_u32_e32 10, v24
	s_cbranch_execz .LBB361_4
; %bb.3:
	s_load_b64 s[14:15], s[0:1], 0x8
	s_wait_kmcnt 0x0
	s_mul_i32 s20, s8, s24
	s_ashr_i32 s13, s12, 31
	s_ashr_i32 s21, s20, 31
	v_lshlrev_b32_e32 v4, 4, v24
	s_lshl_b64 s[20:21], s[20:21], 1
	s_delay_alu instid0(SALU_CYCLE_1) | instskip(SKIP_1) | instid1(SALU_CYCLE_1)
	s_add_nc_u64 s[14:15], s[14:15], s[20:21]
	s_lshl_b64 s[20:21], s[12:13], 1
	s_add_nc_u64 s[14:15], s[14:15], s[20:21]
	global_load_b128 v[0:3], v24, s[14:15] scale_offset
	s_wait_loadcnt 0x0
	ds_store_b128 v4, v[0:3]
.LBB361_4:
	s_or_b32 exec_lo, exec_lo, s3
	s_wait_kmcnt 0x0
	s_add_co_i32 s3, s25, 31
	s_clause 0x1
	s_load_b64 s[14:15], s[0:1], 0x28
	s_load_b32 s16, s[0:1], 0x38
	s_ashr_i32 s4, s3, 31
	s_xor_b32 s20, s5, s6
	s_lshr_b32 s4, s4, 27
	v_dual_lshrrev_b32 v0, 5, v24 :: v_dual_bitop2_b32 v1, 31, v24 bitop3:0x40
	s_add_co_i32 s3, s3, s4
	s_mul_i32 s4, s17, s11
	s_ashr_i32 s13, s3, 5
	s_sub_co_i32 s2, s2, s4
	s_clause 0x1
	s_load_b32 s8, s[0:1], 0x88
	s_load_b128 s[4:7], s[0:1], 0x58
	s_add_co_i32 s3, s17, 1
	s_sub_co_i32 s21, s2, s11
	s_cmp_ge_u32 s2, s11
	v_mov_b32_e32 v4, 0xff7fffff
	s_cselect_b32 s3, s3, s17
	s_cselect_b32 s2, s21, s2
	s_add_co_i32 s17, s3, 1
	s_cmp_ge_u32 s2, s11
	v_dual_lshlrev_b32 v26, 2, v1 :: v_dual_lshrrev_b32 v28, 3, v24
	s_cselect_b32 s2, s17, s3
	s_wait_kmcnt 0x0
	s_mul_i32 s16, s16, s24
	s_xor_b32 s2, s2, s20
	s_ashr_i32 s17, s16, 31
	s_sub_co_i32 s3, s2, s20
	v_cmp_gt_i32_e64 s2, s13, v0
	s_mul_i32 s10, s3, s10
	s_wait_dscnt 0x0
	s_barrier_signal -1
	s_clause 0x1
	scratch_store_b32 off, v0, off offset:220
	scratch_store_b32 off, v1, off offset:216
	s_barrier_wait -1
	s_wait_storecnt 0x0
	s_wait_xcnt 0x0
	s_and_saveexec_b32 s26, s2
	s_cbranch_execz .LBB361_608
; %bb.5:
	v_mov_b32_e32 v27, 0
	scratch_store_b32 off, v24, off offset:224 ; 4-byte Folded Spill
	s_load_b64 s[20:21], s[0:1], 0x10
	s_ashr_i32 s11, s10, 31
	s_cmp_neq_f32 s18, 0
	ds_load_b128 v[22:25], v27
	ds_load_b128 v[14:17], v27 offset:16
	ds_load_b128 v[10:13], v27 offset:32
	;; [unrolled: 1-line block ×5, first 2 shown]
	scratch_load_b32 v55, off, off offset:220 ; 4-byte Folded Reload
	s_load_b32 s4, s[4:5], 0x0
	s_cselect_b32 vcc_lo, -1, 0
	s_lshl_b64 s[28:29], s[16:17], 2
	s_mov_b32 s27, s9
	s_add_nc_u64 s[28:29], s[14:15], s[28:29]
	scratch_store_b32 off, v26, off offset:232 ; 4-byte Folded Spill
	s_wait_dscnt 0x5
	v_and_b32_e32 v1, 0xffff0000, v22
	v_lshlrev_b32_e32 v0, 16, v22
	s_wait_kmcnt 0x0
	s_add_nc_u64 s[20:21], s[20:21], s[10:11]
	s_mov_b32 s11, 0
	scratch_store_b64 off, v[0:1], off      ; 8-byte Folded Spill
	s_wait_dscnt 0x4
	s_wait_xcnt 0x0
	v_and_b32_e32 v1, 0xffff0000, v14
	s_wait_dscnt 0x0
	v_dual_lshlrev_b32 v0, 16, v14 :: v_dual_lshlrev_b32 v14, 16, v5
	s_mov_b32 s5, s4
	scratch_store_b64 off, v[0:1], off offset:8 ; 8-byte Folded Spill
	s_wait_xcnt 0x0
	v_and_b32_e32 v1, 0xffff0000, v10
	v_lshlrev_b32_e32 v0, 16, v10
	scratch_store_b64 off, v[0:1], off offset:16 ; 8-byte Folded Spill
	s_wait_xcnt 0x0
	v_and_b32_e32 v1, 0xffff0000, v6
	v_dual_lshlrev_b32 v0, 16, v6 :: v_dual_lshlrev_b32 v6, 16, v12
	scratch_store_b64 off, v[0:1], off offset:24 ; 8-byte Folded Spill
	s_wait_xcnt 0x0
	v_and_b32_e32 v1, 0xffff0000, v18
	v_lshlrev_b32_e32 v0, 16, v18
	scratch_store_b64 off, v[0:1], off offset:32 ; 8-byte Folded Spill
	s_wait_xcnt 0x0
	v_and_b32_e32 v1, 0xffff0000, v2
	v_lshlrev_b32_e32 v0, 16, v2
	;; [unrolled: 4-line block ×4, first 2 shown]
	v_and_b32_e32 v15, 0xffff0000, v5
	scratch_store_b64 off, v[0:1], off offset:56 ; 8-byte Folded Spill
	s_wait_xcnt 0x0
	v_and_b32_e32 v1, 0xffff0000, v11
	v_lshlrev_b32_e32 v0, 16, v11
	scratch_store_b64 off, v[0:1], off offset:64 ; 8-byte Folded Spill
	s_wait_xcnt 0x0
	v_and_b32_e32 v1, 0xffff0000, v7
	v_lshlrev_b32_e32 v0, 16, v7
	v_and_b32_e32 v7, 0xffff0000, v12
	s_clause 0x1
	scratch_store_b64 off, v[0:1], off offset:72
	scratch_store_b64 off, v[6:7], off offset:120
	s_wait_xcnt 0x1
	v_and_b32_e32 v1, 0xffff0000, v19
	v_lshlrev_b32_e32 v0, 16, v19
	s_wait_xcnt 0x0
	v_and_b32_e32 v7, 0xffff0000, v17
	v_lshlrev_b32_e32 v6, 16, v17
	scratch_store_b64 off, v[0:1], off offset:80 ; 8-byte Folded Spill
	s_wait_xcnt 0x0
	v_and_b32_e32 v1, 0xffff0000, v3
	v_lshlrev_b32_e32 v0, 16, v3
	scratch_store_b64 off, v[6:7], off offset:128 ; 8-byte Folded Spill
	;; [unrolled: 4-line block ×4, first 2 shown]
	s_wait_xcnt 0x0
	v_and_b32_e32 v7, 0xffff0000, v13
	v_lshlrev_b32_e32 v6, 16, v13
	ds_load_b128 v[10:13], v27 offset:112
	scratch_store_b64 off, v[0:1], off offset:96 ; 8-byte Folded Spill
	s_wait_xcnt 0x0
	v_and_b32_e32 v1, 0xffff0000, v16
	v_lshlrev_b32_e32 v0, 16, v16
	scratch_store_b64 off, v[6:7], off offset:144 ; 8-byte Folded Spill
	s_wait_xcnt 0x0
	v_and_b32_e32 v7, 0xffff0000, v20
	v_lshlrev_b32_e32 v6, 16, v20
	;; [unrolled: 4-line block ×4, first 2 shown]
	scratch_store_b64 off, v[0:1], off offset:112 ; 8-byte Folded Spill
	s_wait_xcnt 0x0
	ds_load_b128 v[0:3], v27 offset:96
	scratch_store_b64 off, v[6:7], off offset:160 ; 8-byte Folded Spill
	s_wait_xcnt 0x0
	v_and_b32_e32 v7, 0xffff0000, v4
	v_lshlrev_b32_e32 v6, 16, v4
	s_wait_dscnt 0x1
	v_and_b32_e32 v61, 0xffff0000, v10
	v_lshlrev_b32_e32 v60, 16, v10
	v_and_b32_e32 v63, 0xffff0000, v11
	v_lshlrev_b32_e32 v62, 16, v11
	;; [unrolled: 2-line block ×3, first 2 shown]
	v_and_b32_e32 v67, 0xffff0000, v13
	s_wait_dscnt 0x0
	v_and_b32_e32 v5, 0xffff0000, v0
	v_lshlrev_b32_e32 v4, 16, v0
	scratch_store_b64 off, v[6:7], off offset:168 ; 8-byte Folded Spill
	s_wait_xcnt 0x0
	v_and_b32_e32 v7, 0xffff0000, v21
	v_lshlrev_b32_e32 v6, 16, v21
	s_clause 0x1
	scratch_store_b64 off, v[14:15], off offset:184
	scratch_store_b64 off, v[4:5], off offset:192
	s_wait_xcnt 0x0
	v_and_b32_e32 v5, 0xffff0000, v1
	v_lshlrev_b32_e32 v4, 16, v1
	s_clause 0x1
	scratch_load_b32 v1, off, off offset:216
	scratch_store_b64 off, v[6:7], off offset:176
	s_wait_xcnt 0x0
	ds_load_b128 v[6:9], v27 offset:128
	ds_load_b128 v[14:17], v27 offset:144
	v_and_b32_e32 v57, 0xffff0000, v2
	v_lshlrev_b32_e32 v56, 16, v2
	v_and_b32_e32 v59, 0xffff0000, v3
	v_lshlrev_b32_e32 v58, 16, v3
	scratch_store_b64 off, v[4:5], off offset:200 ; 8-byte Folded Spill
	v_lshlrev_b32_e32 v66, 16, v13
	s_wait_xcnt 0x0
	v_mov_b32_e32 v4, 0xff7fffff
	s_wait_dscnt 0x1
	v_and_b32_e32 v69, 0xffff0000, v6
	v_lshlrev_b32_e32 v68, 16, v6
	v_and_b32_e32 v71, 0xffff0000, v7
	v_dual_lshlrev_b32 v70, 16, v7 :: v_dual_lshlrev_b32 v72, 16, v8
	v_and_b32_e32 v73, 0xffff0000, v8
	v_and_b32_e32 v75, 0xffff0000, v9
	s_wait_dscnt 0x0
	v_dual_lshlrev_b32 v74, 16, v9 :: v_dual_lshlrev_b32 v76, 16, v14
	v_and_b32_e32 v77, 0xffff0000, v14
	v_and_b32_e32 v79, 0xffff0000, v15
	v_dual_lshlrev_b32 v78, 16, v15 :: v_dual_lshlrev_b32 v80, 16, v16
	v_and_b32_e32 v81, 0xffff0000, v16
	v_and_b32_e32 v83, 0xffff0000, v17
	v_lshlrev_b32_e32 v82, 16, v17
	s_wait_loadcnt 0x1
	v_lshl_or_b32 v0, v55, 7, v26
	s_delay_alu instid0(VALU_DEP_1) | instskip(SKIP_3) | instid1(VALU_DEP_2)
	v_add_nc_u32_e32 v5, 0xc0, v0
	s_wait_loadcnt 0x0
	v_lshlrev_b32_e32 v26, 4, v1
	v_lshl_or_b32 v54, v55, 5, v1
	v_add_nc_u64_e32 v[2:3], s[20:21], v[26:27]
	v_and_b32_e32 v26, 0x7c, v28
	s_mov_b64 s[20:21], 0xffffffffffffff
	s_clause 0x1
	scratch_store_b64 off, v[2:3], off offset:208
	scratch_store_b32 off, v28, off offset:228
	v_add_nc_u64_e32 v[86:87], s[28:29], v[26:27]
	s_sub_co_i32 s28, 1, s25
	s_branch .LBB361_10
.LBB361_6:                              ;   in Loop: Header=BB361_10 Depth=1
	s_or_b32 exec_lo, exec_lo, s33
	s_delay_alu instid0(VALU_DEP_1) | instskip(NEXT) | instid1(VALU_DEP_2)
	v_dual_lshlrev_b32 v8, 24, v8 :: v_dual_lshlrev_b32 v12, 20, v26
	v_lshl_add_u32 v9, v9, 23, 0x3c000000
	s_delay_alu instid0(VALU_DEP_2) | instskip(NEXT) | instid1(VALU_DEP_1)
	v_and_b32_e32 v8, 0x80000000, v8
	v_or3_b32 v49, v12, v8, v9
.LBB361_7:                              ;   in Loop: Header=BB361_10 Depth=1
	s_or_b32 exec_lo, exec_lo, s31
.LBB361_8:                              ;   in Loop: Header=BB361_10 Depth=1
	s_delay_alu instid0(SALU_CYCLE_1)
	s_or_b32 exec_lo, exec_lo, s30
.LBB361_9:                              ;   in Loop: Header=BB361_10 Depth=1
	s_delay_alu instid0(SALU_CYCLE_1) | instskip(SKIP_4) | instid1(VALU_DEP_4)
	s_or_b32 exec_lo, exec_lo, s29
	v_mov_b64_e32 v[20:21], s[4:5]
	v_cmp_gt_i32_e64 s3, s25, v54
	v_add_nc_u64_e32 v[86:87], 16, v[86:87]
	v_add_nc_u32_e32 v55, 4, v55
	v_pk_mul_f32 v[12:13], v[20:21], v[18:19]
	v_pk_mul_f32 v[18:19], v[20:21], v[44:45]
	;; [unrolled: 1-line block ×4, first 2 shown]
	scratch_load_b64 v[24:25], off, off offset:8 ; 8-byte Folded Reload
	v_pk_mul_f32 v[8:9], v[20:21], v[34:35]
	v_pk_mul_f32 v[34:35], v[20:21], v[40:41]
	;; [unrolled: 1-line block ×15, first 2 shown]
	v_cvt_pk_bf16_f32 v16, v112, v113
	v_pk_mul_f32 v[42:43], v[20:21], v[42:43]
	v_pk_mul_f32 v[14:15], v[20:21], v[14:15]
	;; [unrolled: 1-line block ×4, first 2 shown]
	v_and_b32_e32 v17, 0xffff0000, v16
	v_lshlrev_b32_e32 v16, 16, v16
	v_pk_mul_f32 v[38:39], v[20:21], v[38:39]
	v_pk_mul_f32 v[36:37], v[20:21], v[36:37]
	;; [unrolled: 1-line block ×17, first 2 shown]
	v_cvt_pk_bf16_f32 v20, v104, v105
	v_cvt_pk_bf16_f32 v8, v8, v9
	;; [unrolled: 1-line block ×5, first 2 shown]
	v_and_b32_e32 v21, 0xffff0000, v20
	v_lshlrev_b32_e32 v20, 16, v20
	v_and_b32_e32 v9, 0xffff0000, v8
	v_lshlrev_b32_e32 v8, 16, v8
	v_and_b32_e32 v13, 0xffff0000, v12
	v_lshlrev_b32_e32 v12, 16, v12
	s_wait_loadcnt 0x0
	v_pk_mul_f32 v[16:17], v[24:25], v[16:17]
	scratch_load_b64 v[24:25], off, off     ; 8-byte Folded Reload
	s_wait_loadcnt 0x0
	v_pk_fma_f32 v[16:17], v[24:25], v[20:21], v[16:17]
	scratch_load_b64 v[24:25], off, off offset:16 ; 8-byte Folded Reload
	v_cvt_pk_bf16_f32 v20, v120, v121
	s_delay_alu instid0(VALU_DEP_1) | instskip(SKIP_2) | instid1(VALU_DEP_1)
	v_and_b32_e32 v21, 0xffff0000, v20
	v_lshlrev_b32_e32 v20, 16, v20
	s_wait_loadcnt 0x0
	v_pk_fma_f32 v[16:17], v[24:25], v[20:21], v[16:17]
	scratch_load_b64 v[24:25], off, off offset:24 ; 8-byte Folded Reload
	v_cvt_pk_bf16_f32 v20, v116, v117
	s_delay_alu instid0(VALU_DEP_1) | instskip(SKIP_2) | instid1(VALU_DEP_1)
	v_and_b32_e32 v21, 0xffff0000, v20
	v_lshlrev_b32_e32 v20, 16, v20
	;; [unrolled: 7-line block ×4, first 2 shown]
	s_wait_loadcnt 0x0
	v_pk_fma_f32 v[16:17], v[24:25], v[20:21], v[16:17]
	scratch_load_b64 v[20:21], off, off offset:192 ; 8-byte Folded Reload
	v_cvt_pk_bf16_f32 v24, v102, v103
	s_wait_loadcnt 0x0
	v_pk_fma_f32 v[8:9], v[20:21], v[8:9], v[16:17]
	scratch_load_b64 v[20:21], off, off offset:56 ; 8-byte Folded Reload
	v_cvt_pk_bf16_f32 v16, v50, v51
	s_delay_alu instid0(VALU_DEP_1) | instskip(SKIP_1) | instid1(VALU_DEP_1)
	v_and_b32_e32 v17, 0xffff0000, v16
	v_lshlrev_b32_e32 v16, 16, v16
	v_pk_fma_f32 v[8:9], v[60:61], v[16:17], v[8:9]
	v_cvt_pk_bf16_f32 v16, v90, v91
	s_delay_alu instid0(VALU_DEP_2) | instskip(SKIP_1) | instid1(VALU_DEP_3)
	v_pk_fma_f32 v[8:9], v[68:69], v[12:13], v[8:9]
	v_cvt_pk_bf16_f32 v12, v98, v99
	v_and_b32_e32 v17, 0xffff0000, v16
	v_lshlrev_b32_e32 v16, 16, v16
	s_delay_alu instid0(VALU_DEP_3) | instskip(SKIP_2) | instid1(VALU_DEP_1)
	v_and_b32_e32 v13, 0xffff0000, v12
	v_lshlrev_b32_e32 v12, 16, v12
	s_wait_loadcnt 0x0
	v_pk_mul_f32 v[12:13], v[20:21], v[12:13]
	scratch_load_b64 v[20:21], off, off offset:48 ; 8-byte Folded Reload
	s_wait_loadcnt 0x0
	v_pk_fma_f32 v[12:13], v[20:21], v[16:17], v[12:13]
	scratch_load_b64 v[20:21], off, off offset:64 ; 8-byte Folded Reload
	v_cvt_pk_bf16_f32 v16, v108, v109
	s_delay_alu instid0(VALU_DEP_1) | instskip(SKIP_2) | instid1(VALU_DEP_1)
	v_and_b32_e32 v17, 0xffff0000, v16
	v_lshlrev_b32_e32 v16, 16, v16
	s_wait_loadcnt 0x0
	v_pk_fma_f32 v[16:17], v[20:21], v[16:17], v[12:13]
	v_cvt_pk_bf16_f32 v13, v42, v43
	v_cvt_pk_bf16_f32 v42, v44, v45
	;; [unrolled: 1-line block ×6, first 2 shown]
	scratch_load_b64 v[40:41], off, off offset:72 ; 8-byte Folded Reload
	v_cvt_pk_bf16_f32 v43, v14, v15
	v_cvt_pk_bf16_f32 v14, v84, v85
	v_cvt_pk_bf16_f32 v12, v18, v19
	v_cvt_pk_bf16_f32 v18, v124, v125
	v_cvt_pk_bf16_f32 v20, v28, v29
	v_cvt_pk_bf16_f32 v21, v92, v93
	v_and_b32_e32 v15, 0xffff0000, v14
	v_lshlrev_b32_e32 v14, 16, v14
	v_and_b32_e32 v19, 0xffff0000, v18
	v_lshlrev_b32_e32 v18, 16, v18
	v_cvt_pk_bf16_f32 v23, v88, v89
	v_cvt_pk_bf16_f32 v28, v110, v111
	;; [unrolled: 1-line block ×9, first 2 shown]
	s_delay_alu instid0(VALU_DEP_4)
	v_and_b32_e32 v25, 0xffff0000, v29
	s_wait_loadcnt 0x0
	v_pk_fma_f32 v[14:15], v[40:41], v[14:15], v[16:17]
	scratch_load_b64 v[40:41], off, off offset:80 ; 8-byte Folded Reload
	v_and_b32_e32 v17, 0xffff0000, v21
	v_lshlrev_b32_e32 v16, 16, v21
	v_and_b32_e32 v21, 0xffff0000, v20
	v_lshlrev_b32_e32 v20, 16, v20
	s_wait_loadcnt 0x0
	v_pk_fma_f32 v[14:15], v[40:41], v[18:19], v[14:15]
	scratch_load_b64 v[40:41], off, off offset:88 ; 8-byte Folded Reload
	v_and_b32_e32 v19, 0xffff0000, v23
	v_lshlrev_b32_e32 v18, 16, v23
	v_and_b32_e32 v23, 0xffff0000, v22
	v_lshlrev_b32_e32 v22, 16, v22
	s_wait_loadcnt 0x0
	v_pk_fma_f32 v[14:15], v[40:41], v[20:21], v[14:15]
	scratch_load_b64 v[40:41], off, off offset:200 ; 8-byte Folded Reload
	v_and_b32_e32 v21, 0xffff0000, v24
	v_dual_lshlrev_b32 v20, 16, v24 :: v_dual_lshlrev_b32 v24, 16, v29
	v_and_b32_e32 v29, 0xffff0000, v31
	s_wait_loadcnt 0x0
	v_pk_fma_f32 v[14:15], v[40:41], v[22:23], v[14:15]
	scratch_load_b64 v[40:41], off, off offset:104 ; 8-byte Folded Reload
	v_and_b32_e32 v23, 0xffff0000, v28
	v_dual_lshlrev_b32 v22, 16, v28 :: v_dual_lshlrev_b32 v28, 16, v31
	v_and_b32_e32 v31, 0xffff0000, v33
	s_wait_loadcnt 0x0
	v_pk_mul_f32 v[20:21], v[40:41], v[20:21]
	scratch_load_b64 v[40:41], off, off offset:96 ; 8-byte Folded Reload
	s_wait_loadcnt 0x0
	v_pk_fma_f32 v[16:17], v[40:41], v[16:17], v[20:21]
	scratch_load_b64 v[40:41], off, off offset:120 ; 8-byte Folded Reload
	v_and_b32_e32 v21, 0xffff0000, v30
	v_dual_lshlrev_b32 v20, 16, v30 :: v_dual_lshlrev_b32 v30, 16, v33
	v_and_b32_e32 v33, 0xffff0000, v35
	s_wait_loadcnt 0x0
	v_pk_fma_f32 v[16:17], v[40:41], v[22:23], v[16:17]
	scratch_load_b64 v[40:41], off, off offset:136 ; 8-byte Folded Reload
	v_and_b32_e32 v23, 0xffff0000, v32
	v_dual_lshlrev_b32 v22, 16, v32 :: v_dual_lshlrev_b32 v32, 16, v35
	v_and_b32_e32 v35, 0xffff0000, v37
	;; [unrolled: 6-line block ×3, first 2 shown]
	v_lshlrev_b32_e32 v36, 16, v36
	s_wait_loadcnt 0x0
	v_pk_fma_f32 v[16:17], v[40:41], v[22:23], v[16:17]
	v_and_b32_e32 v23, 0xffff0000, v38
	v_lshlrev_b32_e32 v22, 16, v38
	s_clause 0x1
	scratch_load_b64 v[38:39], off, off offset:128
	scratch_load_b64 v[40:41], off, off offset:144
	s_wait_loadcnt 0x1
	v_pk_mul_f32 v[24:25], v[38:39], v[24:25]
	scratch_load_b64 v[38:39], off, off offset:112 ; 8-byte Folded Reload
	s_wait_loadcnt 0x0
	v_pk_fma_f32 v[18:19], v[38:39], v[18:19], v[24:25]
	v_and_b32_e32 v25, 0xffff0000, v43
	v_lshlrev_b32_e32 v24, 16, v43
	v_and_b32_e32 v39, 0xffff0000, v42
	v_lshlrev_b32_e32 v38, 16, v42
	v_pk_fma_f32 v[18:19], v[40:41], v[28:29], v[18:19]
	v_and_b32_e32 v41, 0xffff0000, v26
	v_pk_fma_f32 v[14:15], v[62:63], v[24:25], v[14:15]
	scratch_load_b64 v[24:25], off, off offset:168 ; 8-byte Folded Reload
	v_lshlrev_b32_e32 v40, 16, v26
	v_cvt_pk_bf16_f32 v26, v10, v11
	v_lshlrev_b32_e32 v28, 16, v44
	v_and_b32_e32 v11, 0xffff0000, v13
	v_lshlrev_b32_e32 v10, 16, v13
	v_and_b32_e32 v29, 0xffff0000, v44
	v_and_b32_e32 v13, 0xffff0000, v12
	v_lshlrev_b32_e32 v12, 16, v12
	s_wait_loadcnt 0x0
	v_pk_fma_f32 v[16:17], v[24:25], v[20:21], v[16:17]
	scratch_load_b64 v[24:25], off, off offset:160 ; 8-byte Folded Reload
	v_and_b32_e32 v21, 0xffff0000, v26
	v_lshlrev_b32_e32 v20, 16, v26
	s_delay_alu instid0(VALU_DEP_1)
	v_pk_fma_f32 v[8:9], v[76:77], v[20:21], v[8:9]
	scratch_load_b64 v[20:21], off, off offset:184 ; 8-byte Folded Reload
	s_wait_loadcnt 0x1
	v_pk_fma_f32 v[18:19], v[24:25], v[30:31], v[18:19]
	v_cvt_pk_bf16_f32 v24, v6, v7
	v_pk_fma_f32 v[6:7], v[70:71], v[40:41], v[14:15]
	v_pk_fma_f32 v[14:15], v[56:57], v[22:23], v[16:17]
	scratch_load_b64 v[16:17], off, off offset:176 ; 8-byte Folded Reload
	v_pk_fma_f32 v[14:15], v[64:65], v[38:39], v[14:15]
	s_wait_loadcnt 0x0
	v_pk_fma_f32 v[16:17], v[16:17], v[32:33], v[18:19]
	v_and_b32_e32 v19, 0xffff0000, v24
	v_lshlrev_b32_e32 v18, 16, v24
	s_delay_alu instid0(VALU_DEP_3) | instskip(SKIP_1) | instid1(VALU_DEP_3)
	v_pk_fma_f32 v[16:17], v[20:21], v[34:35], v[16:17]
	v_cvt_pk_bf16_f32 v20, v2, v3
	v_pk_fma_f32 v[2:3], v[78:79], v[18:19], v[6:7]
	v_add_f32_e32 v18, v8, v9
	v_pk_fma_f32 v[6:7], v[72:73], v[10:11], v[14:15]
	v_pk_fma_f32 v[8:9], v[58:59], v[36:37], v[16:17]
	v_and_b32_e32 v11, 0xffff0000, v20
	s_delay_alu instid0(VALU_DEP_4) | instskip(SKIP_1) | instid1(VALU_DEP_4)
	v_dual_lshlrev_b32 v10, 16, v20 :: v_dual_add_f32 v2, v18, v2
	v_cvt_pk_bf16_f32 v14, v0, v1
	v_pk_fma_f32 v[8:9], v[66:67], v[28:29], v[8:9]
	s_delay_alu instid0(VALU_DEP_3) | instskip(NEXT) | instid1(VALU_DEP_4)
	v_pk_fma_f32 v[0:1], v[80:81], v[10:11], v[6:7]
	v_dual_add_f32 v10, v2, v3 :: v_dual_add_nc_u32 v11, s28, v54
	s_delay_alu instid0(VALU_DEP_3) | instskip(SKIP_2) | instid1(VALU_DEP_4)
	v_pk_fma_f32 v[2:3], v[74:75], v[12:13], v[8:9]
	v_and_b32_e32 v7, 0xffff0000, v14
	v_add_nc_u32_e32 v54, 0x80, v54
	v_dual_add_f32 v0, v10, v0 :: v_dual_lshlrev_b32 v6, 16, v14
	v_cvt_f32_i32_e32 v8, v11
	s_delay_alu instid0(VALU_DEP_2) | instskip(NEXT) | instid1(VALU_DEP_3)
	v_add_f32_e32 v0, v0, v1
	v_pk_fma_f32 v[2:3], v[82:83], v[6:7], v[2:3]
	s_delay_alu instid0(VALU_DEP_1) | instskip(NEXT) | instid1(VALU_DEP_1)
	v_dual_mul_f32 v1, s18, v8 :: v_dual_add_f32 v0, v0, v2
	v_dual_cndmask_b32 v1, 0, v1 :: v_dual_add_f32 v0, v0, v3
	s_delay_alu instid0(VALU_DEP_1) | instskip(NEXT) | instid1(VALU_DEP_1)
	v_fmac_f32_e32 v1, s19, v0
	v_dual_max_num_f32 v0, v4, v4 :: v_dual_cndmask_b32 v2, 0, v1, s3
	s_delay_alu instid0(VALU_DEP_1)
	v_max_num_f32_e32 v0, v0, v1
	ds_store_b32 v5, v2
	v_cndmask_b32_e64 v4, v4, v0, s3
	v_cmp_le_i32_e64 s3, s13, v55
	v_add_nc_u32_e32 v5, 0x200, v5
	s_or_b32 s11, s3, s11
	s_wait_xcnt 0x0
	s_and_not1_b32 exec_lo, exec_lo, s11
	s_cbranch_execz .LBB361_607
.LBB361_10:                             ; =>This Inner Loop Header: Depth=1
	global_load_b32 v0, v[86:87], off
	scratch_load_b64 v[2:3], off, off offset:208 ; 8-byte Folded Reload
	v_mov_b32_e32 v88, 0
	s_mov_b32 s29, exec_lo
	s_wait_loadcnt 0x0
	v_mad_nc_i64_i32 v[100:101], v0, s27, v[2:3]
	global_load_b64 v[0:1], v[100:101], off
	s_wait_loadcnt 0x0
	v_and_b32_e32 v2, 0xff, v0
	s_wait_xcnt 0x0
	s_delay_alu instid0(VALU_DEP_1)
	v_cmpx_ne_u16_e32 0, v2
	s_cbranch_execz .LBB361_16
; %bb.11:                               ;   in Loop: Header=BB361_10 Depth=1
	v_bfrev_b32_e32 v88, 1
	s_mov_b32 s30, exec_lo
	v_cmpx_ne_u16_e32 0x80, v2
	s_cbranch_execz .LBB361_15
; %bb.12:                               ;   in Loop: Header=BB361_10 Depth=1
	v_and_b32_e32 v2, 0x7f, v0
	v_mov_b32_e32 v88, 0x7f800001
	s_mov_b32 s31, exec_lo
	s_delay_alu instid0(VALU_DEP_2)
	v_cmpx_ne_u32_e32 0x7f, v2
	s_cbranch_execz .LBB361_14
; %bb.13:                               ;   in Loop: Header=BB361_10 Depth=1
	v_dual_lshrrev_b32 v6, 3, v2 :: v_dual_bitop2_b32 v3, 7, v0 bitop3:0x40
	v_cmp_gt_u32_e64 s3, 8, v2
	s_delay_alu instid0(VALU_DEP_2) | instskip(NEXT) | instid1(VALU_DEP_1)
	v_clz_i32_u32_e32 v3, v3
	v_min_u32_e32 v3, 32, v3
	s_delay_alu instid0(VALU_DEP_1) | instskip(SKIP_1) | instid1(VALU_DEP_2)
	v_subrev_nc_u32_e32 v7, 28, v3
	v_sub_nc_u32_e32 v3, 29, v3
	v_cndmask_b32_e64 v2, 0, v7, s3
	s_delay_alu instid0(VALU_DEP_2) | instskip(NEXT) | instid1(VALU_DEP_2)
	v_cndmask_b32_e64 v6, v6, v3, s3
	v_lshlrev_b64_e32 v[2:3], v2, v[0:1]
	v_lshlrev_b32_e32 v3, 24, v0
	s_delay_alu instid0(VALU_DEP_3) | instskip(NEXT) | instid1(VALU_DEP_2)
	v_lshl_add_u32 v6, v6, 23, 0x3c000000
	v_and_b32_e32 v3, 0x80000000, v3
	s_delay_alu instid0(VALU_DEP_4) | instskip(NEXT) | instid1(VALU_DEP_1)
	v_lshlrev_b32_e32 v2, 20, v2
	v_and_b32_e32 v2, 0x700000, v2
	s_delay_alu instid0(VALU_DEP_1)
	v_or3_b32 v88, v2, v3, v6
.LBB361_14:                             ;   in Loop: Header=BB361_10 Depth=1
	s_or_b32 exec_lo, exec_lo, s31
.LBB361_15:                             ;   in Loop: Header=BB361_10 Depth=1
	s_delay_alu instid0(SALU_CYCLE_1)
	s_or_b32 exec_lo, exec_lo, s30
.LBB361_16:                             ;   in Loop: Header=BB361_10 Depth=1
	s_delay_alu instid0(SALU_CYCLE_1) | instskip(SKIP_3) | instid1(VALU_DEP_2)
	s_or_b32 exec_lo, exec_lo, s29
	v_lshrrev_b16 v2, 8, v0
	v_dual_mov_b32 v90, 0 :: v_dual_mov_b32 v89, 0
	s_mov_b32 s29, exec_lo
	v_cmpx_ne_u16_e32 0, v2
	s_cbranch_execz .LBB361_24
; %bb.17:                               ;   in Loop: Header=BB361_10 Depth=1
	v_bfrev_b32_e32 v89, 1
	s_mov_b32 s30, exec_lo
	v_cmpx_ne_u16_e32 0x80, v2
	s_cbranch_execz .LBB361_23
; %bb.18:                               ;   in Loop: Header=BB361_10 Depth=1
	v_and_b32_e32 v2, 0xffff, v2
	v_mov_b32_e32 v89, 0x7f800001
	s_mov_b32 s31, exec_lo
	s_delay_alu instid0(VALU_DEP_2) | instskip(NEXT) | instid1(VALU_DEP_1)
	v_and_b32_e32 v3, 0x7f, v2
	v_cmpx_ne_u32_e32 0x7f, v3
	s_cbranch_execz .LBB361_22
; %bb.19:                               ;   in Loop: Header=BB361_10 Depth=1
	v_dual_lshrrev_b32 v2, 3, v3 :: v_dual_bitop2_b32 v26, 7, v2 bitop3:0x40
	s_mov_b32 s33, exec_lo
	v_cmpx_gt_u32_e32 8, v3
; %bb.20:                               ;   in Loop: Header=BB361_10 Depth=1
	s_delay_alu instid0(VALU_DEP_2) | instskip(NEXT) | instid1(VALU_DEP_1)
	v_clz_i32_u32_e32 v2, v26
	v_min_u32_e32 v2, 32, v2
	s_delay_alu instid0(VALU_DEP_1) | instskip(SKIP_1) | instid1(VALU_DEP_2)
	v_subrev_nc_u32_e32 v3, 28, v2
	v_sub_nc_u32_e32 v2, 29, v2
	v_lshlrev_b64_e32 v[6:7], v3, v[26:27]
	s_delay_alu instid0(VALU_DEP_1)
	v_and_b32_e32 v26, 7, v6
; %bb.21:                               ;   in Loop: Header=BB361_10 Depth=1
	s_or_b32 exec_lo, exec_lo, s33
	s_delay_alu instid0(VALU_DEP_1) | instskip(SKIP_1) | instid1(VALU_DEP_2)
	v_dual_lshlrev_b32 v3, 16, v0 :: v_dual_lshlrev_b32 v6, 20, v26
	v_lshl_add_u32 v2, v2, 23, 0x3c000000
	v_and_b32_e32 v3, 0x80000000, v3
	s_delay_alu instid0(VALU_DEP_1)
	v_or3_b32 v89, v6, v3, v2
.LBB361_22:                             ;   in Loop: Header=BB361_10 Depth=1
	s_or_b32 exec_lo, exec_lo, s31
.LBB361_23:                             ;   in Loop: Header=BB361_10 Depth=1
	s_delay_alu instid0(SALU_CYCLE_1)
	s_or_b32 exec_lo, exec_lo, s30
.LBB361_24:                             ;   in Loop: Header=BB361_10 Depth=1
	s_delay_alu instid0(SALU_CYCLE_1) | instskip(SKIP_2) | instid1(VALU_DEP_1)
	s_or_b32 exec_lo, exec_lo, s29
	v_lshrrev_b32_e32 v2, 16, v0
	s_mov_b32 s29, exec_lo
	v_and_b32_e32 v3, 0xff, v2
	s_delay_alu instid0(VALU_DEP_1)
	v_cmpx_ne_u16_e32 0, v3
	s_cbranch_execz .LBB361_32
; %bb.25:                               ;   in Loop: Header=BB361_10 Depth=1
	v_bfrev_b32_e32 v90, 1
	s_mov_b32 s30, exec_lo
	v_cmpx_ne_u16_e32 0x80, v3
	s_cbranch_execz .LBB361_31
; %bb.26:                               ;   in Loop: Header=BB361_10 Depth=1
	v_bfe_u32 v6, v0, 16, 7
	v_mov_b32_e32 v90, 0x7f800001
	s_mov_b32 s31, exec_lo
	s_delay_alu instid0(VALU_DEP_2)
	v_cmpx_ne_u32_e32 0x7f, v6
	s_cbranch_execz .LBB361_30
; %bb.27:                               ;   in Loop: Header=BB361_10 Depth=1
	v_and_b32_e32 v26, 7, v2
	v_lshrrev_b32_e32 v3, 3, v6
	s_mov_b32 s33, exec_lo
	v_cmpx_gt_u32_e32 8, v6
; %bb.28:                               ;   in Loop: Header=BB361_10 Depth=1
	s_delay_alu instid0(VALU_DEP_3) | instskip(NEXT) | instid1(VALU_DEP_1)
	v_clz_i32_u32_e32 v3, v26
	v_min_u32_e32 v3, 32, v3
	s_delay_alu instid0(VALU_DEP_1) | instskip(NEXT) | instid1(VALU_DEP_1)
	v_subrev_nc_u32_e32 v6, 28, v3
	v_lshlrev_b64_e32 v[6:7], v6, v[26:27]
	s_delay_alu instid0(VALU_DEP_1)
	v_dual_sub_nc_u32 v3, 29, v3 :: v_dual_bitop2_b32 v26, 7, v6 bitop3:0x40
; %bb.29:                               ;   in Loop: Header=BB361_10 Depth=1
	s_or_b32 exec_lo, exec_lo, s33
	v_lshlrev_b32_e32 v2, 24, v2
	s_delay_alu instid0(VALU_DEP_2) | instskip(NEXT) | instid1(VALU_DEP_3)
	v_lshlrev_b32_e32 v6, 20, v26
	v_lshl_add_u32 v3, v3, 23, 0x3c000000
	s_delay_alu instid0(VALU_DEP_3) | instskip(NEXT) | instid1(VALU_DEP_1)
	v_and_b32_e32 v2, 0x80000000, v2
	v_or3_b32 v90, v6, v2, v3
.LBB361_30:                             ;   in Loop: Header=BB361_10 Depth=1
	s_or_b32 exec_lo, exec_lo, s31
.LBB361_31:                             ;   in Loop: Header=BB361_10 Depth=1
	s_delay_alu instid0(SALU_CYCLE_1)
	s_or_b32 exec_lo, exec_lo, s30
.LBB361_32:                             ;   in Loop: Header=BB361_10 Depth=1
	s_delay_alu instid0(SALU_CYCLE_1)
	s_or_b32 exec_lo, exec_lo, s29
	v_dual_mov_b32 v92, 0 :: v_dual_mov_b32 v91, 0
	s_mov_b32 s29, exec_lo
	v_cmpx_lt_u32_e32 0xffffff, v0
	s_cbranch_execz .LBB361_40
; %bb.33:                               ;   in Loop: Header=BB361_10 Depth=1
	v_lshrrev_b32_e32 v2, 24, v0
	v_bfrev_b32_e32 v91, 1
	s_mov_b32 s30, exec_lo
	s_delay_alu instid0(VALU_DEP_2)
	v_cmpx_ne_u32_e32 0x80, v2
	s_cbranch_execz .LBB361_39
; %bb.34:                               ;   in Loop: Header=BB361_10 Depth=1
	v_bfe_u32 v6, v0, 24, 7
	v_mov_b32_e32 v91, 0x7f800001
	s_mov_b32 s31, exec_lo
	s_delay_alu instid0(VALU_DEP_2)
	v_cmpx_ne_u32_e32 0x7f, v6
	s_cbranch_execz .LBB361_38
; %bb.35:                               ;   in Loop: Header=BB361_10 Depth=1
	v_and_b32_e32 v26, 7, v2
	v_lshrrev_b32_e32 v3, 3, v6
	s_mov_b32 s33, exec_lo
	v_cmpx_gt_u32_e32 8, v6
; %bb.36:                               ;   in Loop: Header=BB361_10 Depth=1
	s_delay_alu instid0(VALU_DEP_3) | instskip(NEXT) | instid1(VALU_DEP_1)
	v_clz_i32_u32_e32 v3, v26
	v_min_u32_e32 v3, 32, v3
	s_delay_alu instid0(VALU_DEP_1) | instskip(NEXT) | instid1(VALU_DEP_1)
	v_subrev_nc_u32_e32 v6, 28, v3
	v_lshlrev_b64_e32 v[6:7], v6, v[26:27]
	s_delay_alu instid0(VALU_DEP_1)
	v_dual_sub_nc_u32 v3, 29, v3 :: v_dual_bitop2_b32 v26, 7, v6 bitop3:0x40
; %bb.37:                               ;   in Loop: Header=BB361_10 Depth=1
	s_or_b32 exec_lo, exec_lo, s33
	v_lshlrev_b32_e32 v2, 24, v2
	s_delay_alu instid0(VALU_DEP_2) | instskip(NEXT) | instid1(VALU_DEP_3)
	v_lshlrev_b32_e32 v6, 20, v26
	v_lshl_add_u32 v3, v3, 23, 0x3c000000
	s_delay_alu instid0(VALU_DEP_3) | instskip(NEXT) | instid1(VALU_DEP_1)
	v_and_b32_e32 v2, 0x80000000, v2
	v_or3_b32 v91, v6, v2, v3
.LBB361_38:                             ;   in Loop: Header=BB361_10 Depth=1
	s_or_b32 exec_lo, exec_lo, s31
.LBB361_39:                             ;   in Loop: Header=BB361_10 Depth=1
	s_delay_alu instid0(SALU_CYCLE_1)
	s_or_b32 exec_lo, exec_lo, s30
.LBB361_40:                             ;   in Loop: Header=BB361_10 Depth=1
	s_delay_alu instid0(SALU_CYCLE_1) | instskip(SKIP_3) | instid1(VALU_DEP_2)
	s_or_b32 exec_lo, exec_lo, s29
	v_and_b32_e32 v2, 0xff, v1
	v_mov_b32_e32 v26, v1
	s_mov_b32 s29, exec_lo
	v_cmpx_ne_u16_e32 0, v2
	s_cbranch_execz .LBB361_46
; %bb.41:                               ;   in Loop: Header=BB361_10 Depth=1
	v_bfrev_b32_e32 v92, 1
	s_mov_b32 s30, exec_lo
	v_cmpx_ne_u16_e32 0x80, v2
	s_cbranch_execz .LBB361_45
; %bb.42:                               ;   in Loop: Header=BB361_10 Depth=1
	v_and_b32_e32 v2, 0x7f, v1
	v_mov_b32_e32 v92, 0x7f800001
	s_mov_b32 s31, exec_lo
	s_delay_alu instid0(VALU_DEP_2)
	v_cmpx_ne_u32_e32 0x7f, v2
	s_cbranch_execz .LBB361_44
; %bb.43:                               ;   in Loop: Header=BB361_10 Depth=1
	v_dual_lshrrev_b32 v6, 3, v2 :: v_dual_bitop2_b32 v3, 7, v1 bitop3:0x40
	v_cmp_gt_u32_e64 s3, 8, v2
	s_delay_alu instid0(VALU_DEP_2) | instskip(NEXT) | instid1(VALU_DEP_1)
	v_clz_i32_u32_e32 v3, v3
	v_min_u32_e32 v3, 32, v3
	s_delay_alu instid0(VALU_DEP_1) | instskip(SKIP_1) | instid1(VALU_DEP_2)
	v_subrev_nc_u32_e32 v7, 28, v3
	v_sub_nc_u32_e32 v3, 29, v3
	v_cndmask_b32_e64 v2, 0, v7, s3
	s_delay_alu instid0(VALU_DEP_2) | instskip(NEXT) | instid1(VALU_DEP_2)
	v_cndmask_b32_e64 v6, v6, v3, s3
	v_lshlrev_b64_e32 v[2:3], v2, v[26:27]
	v_lshlrev_b32_e32 v3, 24, v26
	s_delay_alu instid0(VALU_DEP_3) | instskip(NEXT) | instid1(VALU_DEP_2)
	v_lshl_add_u32 v6, v6, 23, 0x3c000000
	v_and_b32_e32 v3, 0x80000000, v3
	s_delay_alu instid0(VALU_DEP_4) | instskip(NEXT) | instid1(VALU_DEP_1)
	v_lshlrev_b32_e32 v2, 20, v2
	v_and_b32_e32 v2, 0x700000, v2
	s_delay_alu instid0(VALU_DEP_1)
	v_or3_b32 v92, v2, v3, v6
.LBB361_44:                             ;   in Loop: Header=BB361_10 Depth=1
	s_or_b32 exec_lo, exec_lo, s31
.LBB361_45:                             ;   in Loop: Header=BB361_10 Depth=1
	s_delay_alu instid0(SALU_CYCLE_1)
	s_or_b32 exec_lo, exec_lo, s30
.LBB361_46:                             ;   in Loop: Header=BB361_10 Depth=1
	s_delay_alu instid0(SALU_CYCLE_1) | instskip(SKIP_3) | instid1(VALU_DEP_2)
	s_or_b32 exec_lo, exec_lo, s29
	v_lshrrev_b16 v2, 8, v26
	v_dual_mov_b32 v94, 0 :: v_dual_mov_b32 v93, 0
	s_mov_b32 s29, exec_lo
	v_cmpx_ne_u16_e32 0, v2
	s_cbranch_execz .LBB361_54
; %bb.47:                               ;   in Loop: Header=BB361_10 Depth=1
	v_bfrev_b32_e32 v93, 1
	s_mov_b32 s30, exec_lo
	v_cmpx_ne_u16_e32 0x80, v2
	s_cbranch_execz .LBB361_53
; %bb.48:                               ;   in Loop: Header=BB361_10 Depth=1
	v_and_b32_e32 v2, 0xffff, v2
	v_mov_b32_e32 v93, 0x7f800001
	s_mov_b32 s31, exec_lo
	s_delay_alu instid0(VALU_DEP_2) | instskip(NEXT) | instid1(VALU_DEP_1)
	v_and_b32_e32 v7, 0x7f, v2
	v_cmpx_ne_u32_e32 0x7f, v7
	s_cbranch_execz .LBB361_52
; %bb.49:                               ;   in Loop: Header=BB361_10 Depth=1
	v_dual_mov_b32 v3, v27 :: v_dual_bitop2_b32 v2, 7, v2 bitop3:0x40
	v_lshrrev_b32_e32 v6, 3, v7
	s_mov_b32 s33, exec_lo
	v_cmpx_gt_u32_e32 8, v7
; %bb.50:                               ;   in Loop: Header=BB361_10 Depth=1
	s_delay_alu instid0(VALU_DEP_3) | instskip(NEXT) | instid1(VALU_DEP_1)
	v_clz_i32_u32_e32 v6, v2
	v_min_u32_e32 v6, 32, v6
	s_delay_alu instid0(VALU_DEP_1) | instskip(SKIP_1) | instid1(VALU_DEP_2)
	v_subrev_nc_u32_e32 v7, 28, v6
	v_sub_nc_u32_e32 v6, 29, v6
	v_lshlrev_b64_e32 v[2:3], v7, v[2:3]
	s_delay_alu instid0(VALU_DEP_1)
	v_and_b32_e32 v2, 7, v2
; %bb.51:                               ;   in Loop: Header=BB361_10 Depth=1
	s_or_b32 exec_lo, exec_lo, s33
	v_lshlrev_b32_e32 v3, 16, v26
	s_delay_alu instid0(VALU_DEP_2) | instskip(SKIP_1) | instid1(VALU_DEP_3)
	v_lshlrev_b32_e32 v2, 20, v2
	v_lshl_add_u32 v6, v6, 23, 0x3c000000
	v_and_b32_e32 v3, 0x80000000, v3
	s_delay_alu instid0(VALU_DEP_1)
	v_or3_b32 v93, v2, v3, v6
.LBB361_52:                             ;   in Loop: Header=BB361_10 Depth=1
	s_or_b32 exec_lo, exec_lo, s31
.LBB361_53:                             ;   in Loop: Header=BB361_10 Depth=1
	s_delay_alu instid0(SALU_CYCLE_1)
	s_or_b32 exec_lo, exec_lo, s30
.LBB361_54:                             ;   in Loop: Header=BB361_10 Depth=1
	s_delay_alu instid0(SALU_CYCLE_1) | instskip(SKIP_2) | instid1(VALU_DEP_1)
	s_or_b32 exec_lo, exec_lo, s29
	v_lshrrev_b32_e32 v2, 16, v1
	s_mov_b32 s29, exec_lo
	v_and_b32_e32 v3, 0xff, v2
	s_delay_alu instid0(VALU_DEP_1)
	v_cmpx_ne_u16_e32 0, v3
	s_cbranch_execz .LBB361_62
; %bb.55:                               ;   in Loop: Header=BB361_10 Depth=1
	v_bfrev_b32_e32 v94, 1
	s_mov_b32 s30, exec_lo
	v_cmpx_ne_u16_e32 0x80, v3
	s_cbranch_execz .LBB361_61
; %bb.56:                               ;   in Loop: Header=BB361_10 Depth=1
	v_bfe_u32 v6, v1, 16, 7
	v_mov_b32_e32 v94, 0x7f800001
	s_mov_b32 s31, exec_lo
	s_delay_alu instid0(VALU_DEP_2)
	v_cmpx_ne_u32_e32 0x7f, v6
	s_cbranch_execz .LBB361_60
; %bb.57:                               ;   in Loop: Header=BB361_10 Depth=1
	v_and_b32_e32 v26, 7, v2
	v_lshrrev_b32_e32 v3, 3, v6
	s_mov_b32 s33, exec_lo
	v_cmpx_gt_u32_e32 8, v6
; %bb.58:                               ;   in Loop: Header=BB361_10 Depth=1
	s_delay_alu instid0(VALU_DEP_3) | instskip(NEXT) | instid1(VALU_DEP_1)
	v_clz_i32_u32_e32 v3, v26
	v_min_u32_e32 v3, 32, v3
	s_delay_alu instid0(VALU_DEP_1) | instskip(NEXT) | instid1(VALU_DEP_1)
	v_subrev_nc_u32_e32 v6, 28, v3
	v_lshlrev_b64_e32 v[6:7], v6, v[26:27]
	s_delay_alu instid0(VALU_DEP_1)
	v_dual_sub_nc_u32 v3, 29, v3 :: v_dual_bitop2_b32 v26, 7, v6 bitop3:0x40
; %bb.59:                               ;   in Loop: Header=BB361_10 Depth=1
	s_or_b32 exec_lo, exec_lo, s33
	v_lshlrev_b32_e32 v2, 24, v2
	s_delay_alu instid0(VALU_DEP_2) | instskip(NEXT) | instid1(VALU_DEP_3)
	v_lshlrev_b32_e32 v6, 20, v26
	v_lshl_add_u32 v3, v3, 23, 0x3c000000
	s_delay_alu instid0(VALU_DEP_3) | instskip(NEXT) | instid1(VALU_DEP_1)
	v_and_b32_e32 v2, 0x80000000, v2
	v_or3_b32 v94, v6, v2, v3
.LBB361_60:                             ;   in Loop: Header=BB361_10 Depth=1
	s_or_b32 exec_lo, exec_lo, s31
.LBB361_61:                             ;   in Loop: Header=BB361_10 Depth=1
	s_delay_alu instid0(SALU_CYCLE_1)
	s_or_b32 exec_lo, exec_lo, s30
.LBB361_62:                             ;   in Loop: Header=BB361_10 Depth=1
	s_delay_alu instid0(SALU_CYCLE_1)
	s_or_b32 exec_lo, exec_lo, s29
	v_dual_mov_b32 v96, 0 :: v_dual_mov_b32 v95, 0
	s_mov_b32 s29, exec_lo
	v_cmpx_lt_u64_e64 s[20:21], v[0:1]
	s_cbranch_execz .LBB361_70
; %bb.63:                               ;   in Loop: Header=BB361_10 Depth=1
	v_lshrrev_b32_e32 v0, 24, v1
	v_bfrev_b32_e32 v95, 1
	s_mov_b32 s30, exec_lo
	s_delay_alu instid0(VALU_DEP_2)
	v_cmpx_ne_u32_e32 0x80, v0
	s_cbranch_execz .LBB361_69
; %bb.64:                               ;   in Loop: Header=BB361_10 Depth=1
	v_bfe_u32 v2, v1, 24, 7
	v_mov_b32_e32 v95, 0x7f800001
	s_mov_b32 s31, exec_lo
	s_delay_alu instid0(VALU_DEP_2)
	v_cmpx_ne_u32_e32 0x7f, v2
	s_cbranch_execz .LBB361_68
; %bb.65:                               ;   in Loop: Header=BB361_10 Depth=1
	v_dual_lshrrev_b32 v1, 3, v2 :: v_dual_bitop2_b32 v26, 7, v0 bitop3:0x40
	s_mov_b32 s33, exec_lo
	v_cmpx_gt_u32_e32 8, v2
; %bb.66:                               ;   in Loop: Header=BB361_10 Depth=1
	s_delay_alu instid0(VALU_DEP_2) | instskip(NEXT) | instid1(VALU_DEP_1)
	v_clz_i32_u32_e32 v1, v26
	v_min_u32_e32 v1, 32, v1
	s_delay_alu instid0(VALU_DEP_1) | instskip(NEXT) | instid1(VALU_DEP_1)
	v_subrev_nc_u32_e32 v2, 28, v1
	v_lshlrev_b64_e32 v[2:3], v2, v[26:27]
	s_delay_alu instid0(VALU_DEP_1)
	v_dual_sub_nc_u32 v1, 29, v1 :: v_dual_bitop2_b32 v26, 7, v2 bitop3:0x40
; %bb.67:                               ;   in Loop: Header=BB361_10 Depth=1
	s_or_b32 exec_lo, exec_lo, s33
	s_delay_alu instid0(VALU_DEP_1) | instskip(NEXT) | instid1(VALU_DEP_2)
	v_dual_lshlrev_b32 v0, 24, v0 :: v_dual_lshlrev_b32 v2, 20, v26
	v_lshl_add_u32 v1, v1, 23, 0x3c000000
	s_delay_alu instid0(VALU_DEP_2) | instskip(NEXT) | instid1(VALU_DEP_1)
	v_and_b32_e32 v0, 0x80000000, v0
	v_or3_b32 v95, v2, v0, v1
.LBB361_68:                             ;   in Loop: Header=BB361_10 Depth=1
	s_or_b32 exec_lo, exec_lo, s31
.LBB361_69:                             ;   in Loop: Header=BB361_10 Depth=1
	s_delay_alu instid0(SALU_CYCLE_1)
	s_or_b32 exec_lo, exec_lo, s30
.LBB361_70:                             ;   in Loop: Header=BB361_10 Depth=1
	s_delay_alu instid0(SALU_CYCLE_1)
	s_or_b32 exec_lo, exec_lo, s29
	global_load_b64 v[0:1], v[100:101], off offset:8
	s_mov_b32 s29, exec_lo
	s_wait_loadcnt 0x0
	v_and_b32_e32 v2, 0xff, v0
	s_wait_xcnt 0x0
	s_delay_alu instid0(VALU_DEP_1)
	v_cmpx_ne_u16_e32 0, v2
	s_cbranch_execz .LBB361_76
; %bb.71:                               ;   in Loop: Header=BB361_10 Depth=1
	v_bfrev_b32_e32 v96, 1
	s_mov_b32 s30, exec_lo
	v_cmpx_ne_u16_e32 0x80, v2
	s_cbranch_execz .LBB361_75
; %bb.72:                               ;   in Loop: Header=BB361_10 Depth=1
	v_and_b32_e32 v2, 0x7f, v0
	v_mov_b32_e32 v96, 0x7f800001
	s_mov_b32 s31, exec_lo
	s_delay_alu instid0(VALU_DEP_2)
	v_cmpx_ne_u32_e32 0x7f, v2
	s_cbranch_execz .LBB361_74
; %bb.73:                               ;   in Loop: Header=BB361_10 Depth=1
	v_dual_lshrrev_b32 v6, 3, v2 :: v_dual_bitop2_b32 v3, 7, v0 bitop3:0x40
	v_cmp_gt_u32_e64 s3, 8, v2
	s_delay_alu instid0(VALU_DEP_2) | instskip(NEXT) | instid1(VALU_DEP_1)
	v_clz_i32_u32_e32 v3, v3
	v_min_u32_e32 v3, 32, v3
	s_delay_alu instid0(VALU_DEP_1) | instskip(SKIP_1) | instid1(VALU_DEP_2)
	v_subrev_nc_u32_e32 v7, 28, v3
	v_sub_nc_u32_e32 v3, 29, v3
	v_cndmask_b32_e64 v2, 0, v7, s3
	s_delay_alu instid0(VALU_DEP_2) | instskip(NEXT) | instid1(VALU_DEP_2)
	v_cndmask_b32_e64 v6, v6, v3, s3
	v_lshlrev_b64_e32 v[2:3], v2, v[0:1]
	v_lshlrev_b32_e32 v3, 24, v0
	s_delay_alu instid0(VALU_DEP_3) | instskip(NEXT) | instid1(VALU_DEP_2)
	v_lshl_add_u32 v6, v6, 23, 0x3c000000
	v_and_b32_e32 v3, 0x80000000, v3
	s_delay_alu instid0(VALU_DEP_4) | instskip(NEXT) | instid1(VALU_DEP_1)
	v_lshlrev_b32_e32 v2, 20, v2
	v_and_b32_e32 v2, 0x700000, v2
	s_delay_alu instid0(VALU_DEP_1)
	v_or3_b32 v96, v2, v3, v6
.LBB361_74:                             ;   in Loop: Header=BB361_10 Depth=1
	s_or_b32 exec_lo, exec_lo, s31
.LBB361_75:                             ;   in Loop: Header=BB361_10 Depth=1
	s_delay_alu instid0(SALU_CYCLE_1)
	s_or_b32 exec_lo, exec_lo, s30
.LBB361_76:                             ;   in Loop: Header=BB361_10 Depth=1
	s_delay_alu instid0(SALU_CYCLE_1) | instskip(SKIP_3) | instid1(VALU_DEP_2)
	s_or_b32 exec_lo, exec_lo, s29
	v_lshrrev_b16 v2, 8, v0
	v_dual_mov_b32 v98, 0 :: v_dual_mov_b32 v97, 0
	s_mov_b32 s29, exec_lo
	v_cmpx_ne_u16_e32 0, v2
	s_cbranch_execz .LBB361_84
; %bb.77:                               ;   in Loop: Header=BB361_10 Depth=1
	v_bfrev_b32_e32 v97, 1
	s_mov_b32 s30, exec_lo
	v_cmpx_ne_u16_e32 0x80, v2
	s_cbranch_execz .LBB361_83
; %bb.78:                               ;   in Loop: Header=BB361_10 Depth=1
	v_and_b32_e32 v2, 0xffff, v2
	v_mov_b32_e32 v97, 0x7f800001
	s_mov_b32 s31, exec_lo
	s_delay_alu instid0(VALU_DEP_2) | instskip(NEXT) | instid1(VALU_DEP_1)
	v_and_b32_e32 v3, 0x7f, v2
	v_cmpx_ne_u32_e32 0x7f, v3
	s_cbranch_execz .LBB361_82
; %bb.79:                               ;   in Loop: Header=BB361_10 Depth=1
	v_dual_lshrrev_b32 v2, 3, v3 :: v_dual_bitop2_b32 v26, 7, v2 bitop3:0x40
	s_mov_b32 s33, exec_lo
	v_cmpx_gt_u32_e32 8, v3
; %bb.80:                               ;   in Loop: Header=BB361_10 Depth=1
	s_delay_alu instid0(VALU_DEP_2) | instskip(NEXT) | instid1(VALU_DEP_1)
	v_clz_i32_u32_e32 v2, v26
	v_min_u32_e32 v2, 32, v2
	s_delay_alu instid0(VALU_DEP_1) | instskip(SKIP_1) | instid1(VALU_DEP_2)
	v_subrev_nc_u32_e32 v3, 28, v2
	v_sub_nc_u32_e32 v2, 29, v2
	v_lshlrev_b64_e32 v[6:7], v3, v[26:27]
	s_delay_alu instid0(VALU_DEP_1)
	v_and_b32_e32 v26, 7, v6
; %bb.81:                               ;   in Loop: Header=BB361_10 Depth=1
	s_or_b32 exec_lo, exec_lo, s33
	s_delay_alu instid0(VALU_DEP_1) | instskip(SKIP_1) | instid1(VALU_DEP_2)
	v_dual_lshlrev_b32 v3, 16, v0 :: v_dual_lshlrev_b32 v6, 20, v26
	v_lshl_add_u32 v2, v2, 23, 0x3c000000
	v_and_b32_e32 v3, 0x80000000, v3
	s_delay_alu instid0(VALU_DEP_1)
	v_or3_b32 v97, v6, v3, v2
.LBB361_82:                             ;   in Loop: Header=BB361_10 Depth=1
	s_or_b32 exec_lo, exec_lo, s31
.LBB361_83:                             ;   in Loop: Header=BB361_10 Depth=1
	s_delay_alu instid0(SALU_CYCLE_1)
	s_or_b32 exec_lo, exec_lo, s30
.LBB361_84:                             ;   in Loop: Header=BB361_10 Depth=1
	s_delay_alu instid0(SALU_CYCLE_1) | instskip(SKIP_2) | instid1(VALU_DEP_1)
	s_or_b32 exec_lo, exec_lo, s29
	v_lshrrev_b32_e32 v2, 16, v0
	s_mov_b32 s29, exec_lo
	v_and_b32_e32 v3, 0xff, v2
	s_delay_alu instid0(VALU_DEP_1)
	v_cmpx_ne_u16_e32 0, v3
	s_cbranch_execz .LBB361_92
; %bb.85:                               ;   in Loop: Header=BB361_10 Depth=1
	v_bfrev_b32_e32 v98, 1
	s_mov_b32 s30, exec_lo
	v_cmpx_ne_u16_e32 0x80, v3
	s_cbranch_execz .LBB361_91
; %bb.86:                               ;   in Loop: Header=BB361_10 Depth=1
	v_bfe_u32 v6, v0, 16, 7
	v_mov_b32_e32 v98, 0x7f800001
	s_mov_b32 s31, exec_lo
	s_delay_alu instid0(VALU_DEP_2)
	v_cmpx_ne_u32_e32 0x7f, v6
	s_cbranch_execz .LBB361_90
; %bb.87:                               ;   in Loop: Header=BB361_10 Depth=1
	v_and_b32_e32 v26, 7, v2
	v_lshrrev_b32_e32 v3, 3, v6
	s_mov_b32 s33, exec_lo
	v_cmpx_gt_u32_e32 8, v6
; %bb.88:                               ;   in Loop: Header=BB361_10 Depth=1
	s_delay_alu instid0(VALU_DEP_3) | instskip(NEXT) | instid1(VALU_DEP_1)
	v_clz_i32_u32_e32 v3, v26
	v_min_u32_e32 v3, 32, v3
	s_delay_alu instid0(VALU_DEP_1) | instskip(NEXT) | instid1(VALU_DEP_1)
	v_subrev_nc_u32_e32 v6, 28, v3
	v_lshlrev_b64_e32 v[6:7], v6, v[26:27]
	s_delay_alu instid0(VALU_DEP_1)
	v_dual_sub_nc_u32 v3, 29, v3 :: v_dual_bitop2_b32 v26, 7, v6 bitop3:0x40
; %bb.89:                               ;   in Loop: Header=BB361_10 Depth=1
	s_or_b32 exec_lo, exec_lo, s33
	v_lshlrev_b32_e32 v2, 24, v2
	s_delay_alu instid0(VALU_DEP_2) | instskip(NEXT) | instid1(VALU_DEP_3)
	v_lshlrev_b32_e32 v6, 20, v26
	v_lshl_add_u32 v3, v3, 23, 0x3c000000
	s_delay_alu instid0(VALU_DEP_3) | instskip(NEXT) | instid1(VALU_DEP_1)
	v_and_b32_e32 v2, 0x80000000, v2
	v_or3_b32 v98, v6, v2, v3
.LBB361_90:                             ;   in Loop: Header=BB361_10 Depth=1
	s_or_b32 exec_lo, exec_lo, s31
.LBB361_91:                             ;   in Loop: Header=BB361_10 Depth=1
	s_delay_alu instid0(SALU_CYCLE_1)
	s_or_b32 exec_lo, exec_lo, s30
.LBB361_92:                             ;   in Loop: Header=BB361_10 Depth=1
	s_delay_alu instid0(SALU_CYCLE_1)
	s_or_b32 exec_lo, exec_lo, s29
	v_dual_mov_b32 v102, 0 :: v_dual_mov_b32 v99, 0
	s_mov_b32 s29, exec_lo
	v_cmpx_lt_u32_e32 0xffffff, v0
	s_cbranch_execz .LBB361_100
; %bb.93:                               ;   in Loop: Header=BB361_10 Depth=1
	v_lshrrev_b32_e32 v2, 24, v0
	v_bfrev_b32_e32 v99, 1
	s_mov_b32 s30, exec_lo
	s_delay_alu instid0(VALU_DEP_2)
	v_cmpx_ne_u32_e32 0x80, v2
	s_cbranch_execz .LBB361_99
; %bb.94:                               ;   in Loop: Header=BB361_10 Depth=1
	v_bfe_u32 v6, v0, 24, 7
	v_mov_b32_e32 v99, 0x7f800001
	s_mov_b32 s31, exec_lo
	s_delay_alu instid0(VALU_DEP_2)
	v_cmpx_ne_u32_e32 0x7f, v6
	s_cbranch_execz .LBB361_98
; %bb.95:                               ;   in Loop: Header=BB361_10 Depth=1
	v_and_b32_e32 v26, 7, v2
	v_lshrrev_b32_e32 v3, 3, v6
	s_mov_b32 s33, exec_lo
	v_cmpx_gt_u32_e32 8, v6
; %bb.96:                               ;   in Loop: Header=BB361_10 Depth=1
	s_delay_alu instid0(VALU_DEP_3) | instskip(NEXT) | instid1(VALU_DEP_1)
	v_clz_i32_u32_e32 v3, v26
	v_min_u32_e32 v3, 32, v3
	s_delay_alu instid0(VALU_DEP_1) | instskip(NEXT) | instid1(VALU_DEP_1)
	v_subrev_nc_u32_e32 v6, 28, v3
	v_lshlrev_b64_e32 v[6:7], v6, v[26:27]
	s_delay_alu instid0(VALU_DEP_1)
	v_dual_sub_nc_u32 v3, 29, v3 :: v_dual_bitop2_b32 v26, 7, v6 bitop3:0x40
; %bb.97:                               ;   in Loop: Header=BB361_10 Depth=1
	s_or_b32 exec_lo, exec_lo, s33
	v_lshlrev_b32_e32 v2, 24, v2
	s_delay_alu instid0(VALU_DEP_2) | instskip(NEXT) | instid1(VALU_DEP_3)
	v_lshlrev_b32_e32 v6, 20, v26
	v_lshl_add_u32 v3, v3, 23, 0x3c000000
	s_delay_alu instid0(VALU_DEP_3) | instskip(NEXT) | instid1(VALU_DEP_1)
	v_and_b32_e32 v2, 0x80000000, v2
	v_or3_b32 v99, v6, v2, v3
.LBB361_98:                             ;   in Loop: Header=BB361_10 Depth=1
	s_or_b32 exec_lo, exec_lo, s31
.LBB361_99:                             ;   in Loop: Header=BB361_10 Depth=1
	s_delay_alu instid0(SALU_CYCLE_1)
	s_or_b32 exec_lo, exec_lo, s30
.LBB361_100:                            ;   in Loop: Header=BB361_10 Depth=1
	s_delay_alu instid0(SALU_CYCLE_1) | instskip(SKIP_3) | instid1(VALU_DEP_2)
	s_or_b32 exec_lo, exec_lo, s29
	v_and_b32_e32 v2, 0xff, v1
	v_mov_b32_e32 v26, v1
	s_mov_b32 s29, exec_lo
	v_cmpx_ne_u16_e32 0, v2
	s_cbranch_execz .LBB361_106
; %bb.101:                              ;   in Loop: Header=BB361_10 Depth=1
	v_bfrev_b32_e32 v102, 1
	s_mov_b32 s30, exec_lo
	v_cmpx_ne_u16_e32 0x80, v2
	s_cbranch_execz .LBB361_105
; %bb.102:                              ;   in Loop: Header=BB361_10 Depth=1
	v_and_b32_e32 v2, 0x7f, v1
	v_mov_b32_e32 v102, 0x7f800001
	s_mov_b32 s31, exec_lo
	s_delay_alu instid0(VALU_DEP_2)
	v_cmpx_ne_u32_e32 0x7f, v2
	s_cbranch_execz .LBB361_104
; %bb.103:                              ;   in Loop: Header=BB361_10 Depth=1
	v_dual_lshrrev_b32 v6, 3, v2 :: v_dual_bitop2_b32 v3, 7, v1 bitop3:0x40
	v_cmp_gt_u32_e64 s3, 8, v2
	s_delay_alu instid0(VALU_DEP_2) | instskip(NEXT) | instid1(VALU_DEP_1)
	v_clz_i32_u32_e32 v3, v3
	v_min_u32_e32 v3, 32, v3
	s_delay_alu instid0(VALU_DEP_1) | instskip(SKIP_1) | instid1(VALU_DEP_2)
	v_subrev_nc_u32_e32 v7, 28, v3
	v_sub_nc_u32_e32 v3, 29, v3
	v_cndmask_b32_e64 v2, 0, v7, s3
	s_delay_alu instid0(VALU_DEP_2) | instskip(NEXT) | instid1(VALU_DEP_2)
	v_cndmask_b32_e64 v6, v6, v3, s3
	v_lshlrev_b64_e32 v[2:3], v2, v[26:27]
	v_lshlrev_b32_e32 v3, 24, v26
	s_delay_alu instid0(VALU_DEP_3) | instskip(NEXT) | instid1(VALU_DEP_2)
	v_lshl_add_u32 v6, v6, 23, 0x3c000000
	v_and_b32_e32 v3, 0x80000000, v3
	s_delay_alu instid0(VALU_DEP_4) | instskip(NEXT) | instid1(VALU_DEP_1)
	v_lshlrev_b32_e32 v2, 20, v2
	v_and_b32_e32 v2, 0x700000, v2
	s_delay_alu instid0(VALU_DEP_1)
	v_or3_b32 v102, v2, v3, v6
.LBB361_104:                            ;   in Loop: Header=BB361_10 Depth=1
	s_or_b32 exec_lo, exec_lo, s31
.LBB361_105:                            ;   in Loop: Header=BB361_10 Depth=1
	s_delay_alu instid0(SALU_CYCLE_1)
	s_or_b32 exec_lo, exec_lo, s30
.LBB361_106:                            ;   in Loop: Header=BB361_10 Depth=1
	s_delay_alu instid0(SALU_CYCLE_1) | instskip(SKIP_3) | instid1(VALU_DEP_2)
	s_or_b32 exec_lo, exec_lo, s29
	v_lshrrev_b16 v2, 8, v26
	v_dual_mov_b32 v104, 0 :: v_dual_mov_b32 v103, 0
	s_mov_b32 s29, exec_lo
	v_cmpx_ne_u16_e32 0, v2
	s_cbranch_execz .LBB361_114
; %bb.107:                              ;   in Loop: Header=BB361_10 Depth=1
	v_bfrev_b32_e32 v103, 1
	s_mov_b32 s30, exec_lo
	v_cmpx_ne_u16_e32 0x80, v2
	s_cbranch_execz .LBB361_113
; %bb.108:                              ;   in Loop: Header=BB361_10 Depth=1
	v_and_b32_e32 v2, 0xffff, v2
	v_mov_b32_e32 v103, 0x7f800001
	s_mov_b32 s31, exec_lo
	s_delay_alu instid0(VALU_DEP_2) | instskip(NEXT) | instid1(VALU_DEP_1)
	v_and_b32_e32 v7, 0x7f, v2
	v_cmpx_ne_u32_e32 0x7f, v7
	s_cbranch_execz .LBB361_112
; %bb.109:                              ;   in Loop: Header=BB361_10 Depth=1
	v_dual_mov_b32 v3, v27 :: v_dual_bitop2_b32 v2, 7, v2 bitop3:0x40
	v_lshrrev_b32_e32 v6, 3, v7
	s_mov_b32 s33, exec_lo
	v_cmpx_gt_u32_e32 8, v7
; %bb.110:                              ;   in Loop: Header=BB361_10 Depth=1
	s_delay_alu instid0(VALU_DEP_3) | instskip(NEXT) | instid1(VALU_DEP_1)
	v_clz_i32_u32_e32 v6, v2
	v_min_u32_e32 v6, 32, v6
	s_delay_alu instid0(VALU_DEP_1) | instskip(SKIP_1) | instid1(VALU_DEP_2)
	v_subrev_nc_u32_e32 v7, 28, v6
	v_sub_nc_u32_e32 v6, 29, v6
	v_lshlrev_b64_e32 v[2:3], v7, v[2:3]
	s_delay_alu instid0(VALU_DEP_1)
	v_and_b32_e32 v2, 7, v2
; %bb.111:                              ;   in Loop: Header=BB361_10 Depth=1
	s_or_b32 exec_lo, exec_lo, s33
	v_lshlrev_b32_e32 v3, 16, v26
	s_delay_alu instid0(VALU_DEP_2) | instskip(SKIP_1) | instid1(VALU_DEP_3)
	v_lshlrev_b32_e32 v2, 20, v2
	v_lshl_add_u32 v6, v6, 23, 0x3c000000
	v_and_b32_e32 v3, 0x80000000, v3
	s_delay_alu instid0(VALU_DEP_1)
	v_or3_b32 v103, v2, v3, v6
.LBB361_112:                            ;   in Loop: Header=BB361_10 Depth=1
	s_or_b32 exec_lo, exec_lo, s31
.LBB361_113:                            ;   in Loop: Header=BB361_10 Depth=1
	s_delay_alu instid0(SALU_CYCLE_1)
	s_or_b32 exec_lo, exec_lo, s30
.LBB361_114:                            ;   in Loop: Header=BB361_10 Depth=1
	s_delay_alu instid0(SALU_CYCLE_1) | instskip(SKIP_2) | instid1(VALU_DEP_1)
	s_or_b32 exec_lo, exec_lo, s29
	v_lshrrev_b32_e32 v2, 16, v1
	s_mov_b32 s29, exec_lo
	v_and_b32_e32 v3, 0xff, v2
	s_delay_alu instid0(VALU_DEP_1)
	v_cmpx_ne_u16_e32 0, v3
	s_cbranch_execz .LBB361_122
; %bb.115:                              ;   in Loop: Header=BB361_10 Depth=1
	v_bfrev_b32_e32 v104, 1
	s_mov_b32 s30, exec_lo
	v_cmpx_ne_u16_e32 0x80, v3
	s_cbranch_execz .LBB361_121
; %bb.116:                              ;   in Loop: Header=BB361_10 Depth=1
	v_bfe_u32 v6, v1, 16, 7
	v_mov_b32_e32 v104, 0x7f800001
	s_mov_b32 s31, exec_lo
	s_delay_alu instid0(VALU_DEP_2)
	v_cmpx_ne_u32_e32 0x7f, v6
	s_cbranch_execz .LBB361_120
; %bb.117:                              ;   in Loop: Header=BB361_10 Depth=1
	v_and_b32_e32 v26, 7, v2
	v_lshrrev_b32_e32 v3, 3, v6
	s_mov_b32 s33, exec_lo
	v_cmpx_gt_u32_e32 8, v6
; %bb.118:                              ;   in Loop: Header=BB361_10 Depth=1
	s_delay_alu instid0(VALU_DEP_3) | instskip(NEXT) | instid1(VALU_DEP_1)
	v_clz_i32_u32_e32 v3, v26
	v_min_u32_e32 v3, 32, v3
	s_delay_alu instid0(VALU_DEP_1) | instskip(NEXT) | instid1(VALU_DEP_1)
	v_subrev_nc_u32_e32 v6, 28, v3
	v_lshlrev_b64_e32 v[6:7], v6, v[26:27]
	s_delay_alu instid0(VALU_DEP_1)
	v_dual_sub_nc_u32 v3, 29, v3 :: v_dual_bitop2_b32 v26, 7, v6 bitop3:0x40
; %bb.119:                              ;   in Loop: Header=BB361_10 Depth=1
	s_or_b32 exec_lo, exec_lo, s33
	v_lshlrev_b32_e32 v2, 24, v2
	s_delay_alu instid0(VALU_DEP_2) | instskip(NEXT) | instid1(VALU_DEP_3)
	v_lshlrev_b32_e32 v6, 20, v26
	v_lshl_add_u32 v3, v3, 23, 0x3c000000
	s_delay_alu instid0(VALU_DEP_3) | instskip(NEXT) | instid1(VALU_DEP_1)
	v_and_b32_e32 v2, 0x80000000, v2
	v_or3_b32 v104, v6, v2, v3
.LBB361_120:                            ;   in Loop: Header=BB361_10 Depth=1
	s_or_b32 exec_lo, exec_lo, s31
.LBB361_121:                            ;   in Loop: Header=BB361_10 Depth=1
	s_delay_alu instid0(SALU_CYCLE_1)
	s_or_b32 exec_lo, exec_lo, s30
.LBB361_122:                            ;   in Loop: Header=BB361_10 Depth=1
	s_delay_alu instid0(SALU_CYCLE_1)
	s_or_b32 exec_lo, exec_lo, s29
	v_dual_mov_b32 v106, 0 :: v_dual_mov_b32 v105, 0
	s_mov_b32 s29, exec_lo
	v_cmpx_lt_u64_e64 s[20:21], v[0:1]
	s_cbranch_execz .LBB361_130
; %bb.123:                              ;   in Loop: Header=BB361_10 Depth=1
	v_lshrrev_b32_e32 v0, 24, v1
	v_bfrev_b32_e32 v105, 1
	s_mov_b32 s30, exec_lo
	s_delay_alu instid0(VALU_DEP_2)
	v_cmpx_ne_u32_e32 0x80, v0
	s_cbranch_execz .LBB361_129
; %bb.124:                              ;   in Loop: Header=BB361_10 Depth=1
	v_bfe_u32 v2, v1, 24, 7
	v_mov_b32_e32 v105, 0x7f800001
	s_mov_b32 s31, exec_lo
	s_delay_alu instid0(VALU_DEP_2)
	v_cmpx_ne_u32_e32 0x7f, v2
	s_cbranch_execz .LBB361_128
; %bb.125:                              ;   in Loop: Header=BB361_10 Depth=1
	v_dual_lshrrev_b32 v1, 3, v2 :: v_dual_bitop2_b32 v26, 7, v0 bitop3:0x40
	s_mov_b32 s33, exec_lo
	v_cmpx_gt_u32_e32 8, v2
; %bb.126:                              ;   in Loop: Header=BB361_10 Depth=1
	s_delay_alu instid0(VALU_DEP_2) | instskip(NEXT) | instid1(VALU_DEP_1)
	v_clz_i32_u32_e32 v1, v26
	v_min_u32_e32 v1, 32, v1
	s_delay_alu instid0(VALU_DEP_1) | instskip(NEXT) | instid1(VALU_DEP_1)
	v_subrev_nc_u32_e32 v2, 28, v1
	v_lshlrev_b64_e32 v[2:3], v2, v[26:27]
	s_delay_alu instid0(VALU_DEP_1)
	v_dual_sub_nc_u32 v1, 29, v1 :: v_dual_bitop2_b32 v26, 7, v2 bitop3:0x40
; %bb.127:                              ;   in Loop: Header=BB361_10 Depth=1
	s_or_b32 exec_lo, exec_lo, s33
	s_delay_alu instid0(VALU_DEP_1) | instskip(NEXT) | instid1(VALU_DEP_2)
	v_dual_lshlrev_b32 v0, 24, v0 :: v_dual_lshlrev_b32 v2, 20, v26
	v_lshl_add_u32 v1, v1, 23, 0x3c000000
	s_delay_alu instid0(VALU_DEP_2) | instskip(NEXT) | instid1(VALU_DEP_1)
	v_and_b32_e32 v0, 0x80000000, v0
	v_or3_b32 v105, v2, v0, v1
.LBB361_128:                            ;   in Loop: Header=BB361_10 Depth=1
	s_or_b32 exec_lo, exec_lo, s31
.LBB361_129:                            ;   in Loop: Header=BB361_10 Depth=1
	s_delay_alu instid0(SALU_CYCLE_1)
	s_or_b32 exec_lo, exec_lo, s30
.LBB361_130:                            ;   in Loop: Header=BB361_10 Depth=1
	s_delay_alu instid0(SALU_CYCLE_1)
	s_or_b32 exec_lo, exec_lo, s29
	global_load_b64 v[0:1], v[100:101], off offset:512
	s_mov_b32 s29, exec_lo
	s_wait_loadcnt 0x0
	v_and_b32_e32 v2, 0xff, v0
	s_wait_xcnt 0x0
	s_delay_alu instid0(VALU_DEP_1)
	v_cmpx_ne_u16_e32 0, v2
	s_cbranch_execz .LBB361_136
; %bb.131:                              ;   in Loop: Header=BB361_10 Depth=1
	v_bfrev_b32_e32 v106, 1
	s_mov_b32 s30, exec_lo
	v_cmpx_ne_u16_e32 0x80, v2
	s_cbranch_execz .LBB361_135
; %bb.132:                              ;   in Loop: Header=BB361_10 Depth=1
	v_and_b32_e32 v2, 0x7f, v0
	v_mov_b32_e32 v106, 0x7f800001
	s_mov_b32 s31, exec_lo
	s_delay_alu instid0(VALU_DEP_2)
	v_cmpx_ne_u32_e32 0x7f, v2
	s_cbranch_execz .LBB361_134
; %bb.133:                              ;   in Loop: Header=BB361_10 Depth=1
	v_dual_lshrrev_b32 v6, 3, v2 :: v_dual_bitop2_b32 v3, 7, v0 bitop3:0x40
	v_cmp_gt_u32_e64 s3, 8, v2
	s_delay_alu instid0(VALU_DEP_2) | instskip(NEXT) | instid1(VALU_DEP_1)
	v_clz_i32_u32_e32 v3, v3
	v_min_u32_e32 v3, 32, v3
	s_delay_alu instid0(VALU_DEP_1) | instskip(SKIP_1) | instid1(VALU_DEP_2)
	v_subrev_nc_u32_e32 v7, 28, v3
	v_sub_nc_u32_e32 v3, 29, v3
	v_cndmask_b32_e64 v2, 0, v7, s3
	s_delay_alu instid0(VALU_DEP_2) | instskip(NEXT) | instid1(VALU_DEP_2)
	v_cndmask_b32_e64 v6, v6, v3, s3
	v_lshlrev_b64_e32 v[2:3], v2, v[0:1]
	v_lshlrev_b32_e32 v3, 24, v0
	s_delay_alu instid0(VALU_DEP_3) | instskip(NEXT) | instid1(VALU_DEP_2)
	v_lshl_add_u32 v6, v6, 23, 0x3c000000
	v_and_b32_e32 v3, 0x80000000, v3
	s_delay_alu instid0(VALU_DEP_4) | instskip(NEXT) | instid1(VALU_DEP_1)
	v_lshlrev_b32_e32 v2, 20, v2
	v_and_b32_e32 v2, 0x700000, v2
	s_delay_alu instid0(VALU_DEP_1)
	v_or3_b32 v106, v2, v3, v6
.LBB361_134:                            ;   in Loop: Header=BB361_10 Depth=1
	s_or_b32 exec_lo, exec_lo, s31
.LBB361_135:                            ;   in Loop: Header=BB361_10 Depth=1
	s_delay_alu instid0(SALU_CYCLE_1)
	s_or_b32 exec_lo, exec_lo, s30
.LBB361_136:                            ;   in Loop: Header=BB361_10 Depth=1
	s_delay_alu instid0(SALU_CYCLE_1) | instskip(SKIP_3) | instid1(VALU_DEP_2)
	s_or_b32 exec_lo, exec_lo, s29
	v_lshrrev_b16 v2, 8, v0
	v_dual_mov_b32 v108, 0 :: v_dual_mov_b32 v107, 0
	s_mov_b32 s29, exec_lo
	v_cmpx_ne_u16_e32 0, v2
	s_cbranch_execz .LBB361_144
; %bb.137:                              ;   in Loop: Header=BB361_10 Depth=1
	v_bfrev_b32_e32 v107, 1
	s_mov_b32 s30, exec_lo
	v_cmpx_ne_u16_e32 0x80, v2
	s_cbranch_execz .LBB361_143
; %bb.138:                              ;   in Loop: Header=BB361_10 Depth=1
	v_and_b32_e32 v2, 0xffff, v2
	v_mov_b32_e32 v107, 0x7f800001
	s_mov_b32 s31, exec_lo
	s_delay_alu instid0(VALU_DEP_2) | instskip(NEXT) | instid1(VALU_DEP_1)
	v_and_b32_e32 v3, 0x7f, v2
	v_cmpx_ne_u32_e32 0x7f, v3
	s_cbranch_execz .LBB361_142
; %bb.139:                              ;   in Loop: Header=BB361_10 Depth=1
	v_dual_lshrrev_b32 v2, 3, v3 :: v_dual_bitop2_b32 v26, 7, v2 bitop3:0x40
	s_mov_b32 s33, exec_lo
	v_cmpx_gt_u32_e32 8, v3
; %bb.140:                              ;   in Loop: Header=BB361_10 Depth=1
	s_delay_alu instid0(VALU_DEP_2) | instskip(NEXT) | instid1(VALU_DEP_1)
	v_clz_i32_u32_e32 v2, v26
	v_min_u32_e32 v2, 32, v2
	s_delay_alu instid0(VALU_DEP_1) | instskip(SKIP_1) | instid1(VALU_DEP_2)
	v_subrev_nc_u32_e32 v3, 28, v2
	v_sub_nc_u32_e32 v2, 29, v2
	v_lshlrev_b64_e32 v[6:7], v3, v[26:27]
	s_delay_alu instid0(VALU_DEP_1)
	v_and_b32_e32 v26, 7, v6
; %bb.141:                              ;   in Loop: Header=BB361_10 Depth=1
	s_or_b32 exec_lo, exec_lo, s33
	s_delay_alu instid0(VALU_DEP_1) | instskip(SKIP_1) | instid1(VALU_DEP_2)
	v_dual_lshlrev_b32 v3, 16, v0 :: v_dual_lshlrev_b32 v6, 20, v26
	v_lshl_add_u32 v2, v2, 23, 0x3c000000
	v_and_b32_e32 v3, 0x80000000, v3
	s_delay_alu instid0(VALU_DEP_1)
	v_or3_b32 v107, v6, v3, v2
.LBB361_142:                            ;   in Loop: Header=BB361_10 Depth=1
	s_or_b32 exec_lo, exec_lo, s31
.LBB361_143:                            ;   in Loop: Header=BB361_10 Depth=1
	s_delay_alu instid0(SALU_CYCLE_1)
	s_or_b32 exec_lo, exec_lo, s30
.LBB361_144:                            ;   in Loop: Header=BB361_10 Depth=1
	s_delay_alu instid0(SALU_CYCLE_1) | instskip(SKIP_2) | instid1(VALU_DEP_1)
	s_or_b32 exec_lo, exec_lo, s29
	v_lshrrev_b32_e32 v2, 16, v0
	s_mov_b32 s29, exec_lo
	v_and_b32_e32 v3, 0xff, v2
	s_delay_alu instid0(VALU_DEP_1)
	v_cmpx_ne_u16_e32 0, v3
	s_cbranch_execz .LBB361_152
; %bb.145:                              ;   in Loop: Header=BB361_10 Depth=1
	v_bfrev_b32_e32 v108, 1
	s_mov_b32 s30, exec_lo
	v_cmpx_ne_u16_e32 0x80, v3
	s_cbranch_execz .LBB361_151
; %bb.146:                              ;   in Loop: Header=BB361_10 Depth=1
	v_bfe_u32 v6, v0, 16, 7
	v_mov_b32_e32 v108, 0x7f800001
	s_mov_b32 s31, exec_lo
	s_delay_alu instid0(VALU_DEP_2)
	v_cmpx_ne_u32_e32 0x7f, v6
	s_cbranch_execz .LBB361_150
; %bb.147:                              ;   in Loop: Header=BB361_10 Depth=1
	v_and_b32_e32 v26, 7, v2
	v_lshrrev_b32_e32 v3, 3, v6
	s_mov_b32 s33, exec_lo
	v_cmpx_gt_u32_e32 8, v6
; %bb.148:                              ;   in Loop: Header=BB361_10 Depth=1
	s_delay_alu instid0(VALU_DEP_3) | instskip(NEXT) | instid1(VALU_DEP_1)
	v_clz_i32_u32_e32 v3, v26
	v_min_u32_e32 v3, 32, v3
	s_delay_alu instid0(VALU_DEP_1) | instskip(NEXT) | instid1(VALU_DEP_1)
	v_subrev_nc_u32_e32 v6, 28, v3
	v_lshlrev_b64_e32 v[6:7], v6, v[26:27]
	s_delay_alu instid0(VALU_DEP_1)
	v_dual_sub_nc_u32 v3, 29, v3 :: v_dual_bitop2_b32 v26, 7, v6 bitop3:0x40
; %bb.149:                              ;   in Loop: Header=BB361_10 Depth=1
	s_or_b32 exec_lo, exec_lo, s33
	v_lshlrev_b32_e32 v2, 24, v2
	s_delay_alu instid0(VALU_DEP_2) | instskip(NEXT) | instid1(VALU_DEP_3)
	v_lshlrev_b32_e32 v6, 20, v26
	v_lshl_add_u32 v3, v3, 23, 0x3c000000
	s_delay_alu instid0(VALU_DEP_3) | instskip(NEXT) | instid1(VALU_DEP_1)
	v_and_b32_e32 v2, 0x80000000, v2
	v_or3_b32 v108, v6, v2, v3
.LBB361_150:                            ;   in Loop: Header=BB361_10 Depth=1
	s_or_b32 exec_lo, exec_lo, s31
.LBB361_151:                            ;   in Loop: Header=BB361_10 Depth=1
	s_delay_alu instid0(SALU_CYCLE_1)
	s_or_b32 exec_lo, exec_lo, s30
.LBB361_152:                            ;   in Loop: Header=BB361_10 Depth=1
	s_delay_alu instid0(SALU_CYCLE_1)
	s_or_b32 exec_lo, exec_lo, s29
	v_dual_mov_b32 v110, 0 :: v_dual_mov_b32 v109, 0
	s_mov_b32 s29, exec_lo
	v_cmpx_lt_u32_e32 0xffffff, v0
	s_cbranch_execz .LBB361_160
; %bb.153:                              ;   in Loop: Header=BB361_10 Depth=1
	v_lshrrev_b32_e32 v2, 24, v0
	v_bfrev_b32_e32 v109, 1
	s_mov_b32 s30, exec_lo
	s_delay_alu instid0(VALU_DEP_2)
	v_cmpx_ne_u32_e32 0x80, v2
	s_cbranch_execz .LBB361_159
; %bb.154:                              ;   in Loop: Header=BB361_10 Depth=1
	v_bfe_u32 v6, v0, 24, 7
	v_mov_b32_e32 v109, 0x7f800001
	s_mov_b32 s31, exec_lo
	s_delay_alu instid0(VALU_DEP_2)
	v_cmpx_ne_u32_e32 0x7f, v6
	s_cbranch_execz .LBB361_158
; %bb.155:                              ;   in Loop: Header=BB361_10 Depth=1
	v_and_b32_e32 v26, 7, v2
	v_lshrrev_b32_e32 v3, 3, v6
	s_mov_b32 s33, exec_lo
	v_cmpx_gt_u32_e32 8, v6
; %bb.156:                              ;   in Loop: Header=BB361_10 Depth=1
	s_delay_alu instid0(VALU_DEP_3) | instskip(NEXT) | instid1(VALU_DEP_1)
	v_clz_i32_u32_e32 v3, v26
	v_min_u32_e32 v3, 32, v3
	s_delay_alu instid0(VALU_DEP_1) | instskip(NEXT) | instid1(VALU_DEP_1)
	v_subrev_nc_u32_e32 v6, 28, v3
	v_lshlrev_b64_e32 v[6:7], v6, v[26:27]
	s_delay_alu instid0(VALU_DEP_1)
	v_dual_sub_nc_u32 v3, 29, v3 :: v_dual_bitop2_b32 v26, 7, v6 bitop3:0x40
; %bb.157:                              ;   in Loop: Header=BB361_10 Depth=1
	s_or_b32 exec_lo, exec_lo, s33
	v_lshlrev_b32_e32 v2, 24, v2
	s_delay_alu instid0(VALU_DEP_2) | instskip(NEXT) | instid1(VALU_DEP_3)
	v_lshlrev_b32_e32 v6, 20, v26
	v_lshl_add_u32 v3, v3, 23, 0x3c000000
	s_delay_alu instid0(VALU_DEP_3) | instskip(NEXT) | instid1(VALU_DEP_1)
	v_and_b32_e32 v2, 0x80000000, v2
	v_or3_b32 v109, v6, v2, v3
.LBB361_158:                            ;   in Loop: Header=BB361_10 Depth=1
	s_or_b32 exec_lo, exec_lo, s31
.LBB361_159:                            ;   in Loop: Header=BB361_10 Depth=1
	s_delay_alu instid0(SALU_CYCLE_1)
	s_or_b32 exec_lo, exec_lo, s30
.LBB361_160:                            ;   in Loop: Header=BB361_10 Depth=1
	s_delay_alu instid0(SALU_CYCLE_1) | instskip(SKIP_3) | instid1(VALU_DEP_2)
	s_or_b32 exec_lo, exec_lo, s29
	v_and_b32_e32 v2, 0xff, v1
	v_mov_b32_e32 v26, v1
	s_mov_b32 s29, exec_lo
	v_cmpx_ne_u16_e32 0, v2
	s_cbranch_execz .LBB361_166
; %bb.161:                              ;   in Loop: Header=BB361_10 Depth=1
	v_bfrev_b32_e32 v110, 1
	s_mov_b32 s30, exec_lo
	v_cmpx_ne_u16_e32 0x80, v2
	s_cbranch_execz .LBB361_165
; %bb.162:                              ;   in Loop: Header=BB361_10 Depth=1
	v_and_b32_e32 v2, 0x7f, v1
	v_mov_b32_e32 v110, 0x7f800001
	s_mov_b32 s31, exec_lo
	s_delay_alu instid0(VALU_DEP_2)
	v_cmpx_ne_u32_e32 0x7f, v2
	s_cbranch_execz .LBB361_164
; %bb.163:                              ;   in Loop: Header=BB361_10 Depth=1
	v_dual_lshrrev_b32 v6, 3, v2 :: v_dual_bitop2_b32 v3, 7, v1 bitop3:0x40
	v_cmp_gt_u32_e64 s3, 8, v2
	s_delay_alu instid0(VALU_DEP_2) | instskip(NEXT) | instid1(VALU_DEP_1)
	v_clz_i32_u32_e32 v3, v3
	v_min_u32_e32 v3, 32, v3
	s_delay_alu instid0(VALU_DEP_1) | instskip(SKIP_1) | instid1(VALU_DEP_2)
	v_subrev_nc_u32_e32 v7, 28, v3
	v_sub_nc_u32_e32 v3, 29, v3
	v_cndmask_b32_e64 v2, 0, v7, s3
	s_delay_alu instid0(VALU_DEP_2) | instskip(NEXT) | instid1(VALU_DEP_2)
	v_cndmask_b32_e64 v6, v6, v3, s3
	v_lshlrev_b64_e32 v[2:3], v2, v[26:27]
	v_lshlrev_b32_e32 v3, 24, v26
	s_delay_alu instid0(VALU_DEP_3) | instskip(NEXT) | instid1(VALU_DEP_2)
	v_lshl_add_u32 v6, v6, 23, 0x3c000000
	v_and_b32_e32 v3, 0x80000000, v3
	s_delay_alu instid0(VALU_DEP_4) | instskip(NEXT) | instid1(VALU_DEP_1)
	v_lshlrev_b32_e32 v2, 20, v2
	v_and_b32_e32 v2, 0x700000, v2
	s_delay_alu instid0(VALU_DEP_1)
	v_or3_b32 v110, v2, v3, v6
.LBB361_164:                            ;   in Loop: Header=BB361_10 Depth=1
	s_or_b32 exec_lo, exec_lo, s31
.LBB361_165:                            ;   in Loop: Header=BB361_10 Depth=1
	s_delay_alu instid0(SALU_CYCLE_1)
	s_or_b32 exec_lo, exec_lo, s30
.LBB361_166:                            ;   in Loop: Header=BB361_10 Depth=1
	s_delay_alu instid0(SALU_CYCLE_1) | instskip(SKIP_3) | instid1(VALU_DEP_2)
	s_or_b32 exec_lo, exec_lo, s29
	v_lshrrev_b16 v2, 8, v26
	v_dual_mov_b32 v112, 0 :: v_dual_mov_b32 v111, 0
	s_mov_b32 s29, exec_lo
	v_cmpx_ne_u16_e32 0, v2
	s_cbranch_execz .LBB361_174
; %bb.167:                              ;   in Loop: Header=BB361_10 Depth=1
	v_bfrev_b32_e32 v111, 1
	s_mov_b32 s30, exec_lo
	v_cmpx_ne_u16_e32 0x80, v2
	s_cbranch_execz .LBB361_173
; %bb.168:                              ;   in Loop: Header=BB361_10 Depth=1
	v_and_b32_e32 v2, 0xffff, v2
	v_mov_b32_e32 v111, 0x7f800001
	s_mov_b32 s31, exec_lo
	s_delay_alu instid0(VALU_DEP_2) | instskip(NEXT) | instid1(VALU_DEP_1)
	v_and_b32_e32 v7, 0x7f, v2
	v_cmpx_ne_u32_e32 0x7f, v7
	s_cbranch_execz .LBB361_172
; %bb.169:                              ;   in Loop: Header=BB361_10 Depth=1
	v_dual_mov_b32 v3, v27 :: v_dual_bitop2_b32 v2, 7, v2 bitop3:0x40
	v_lshrrev_b32_e32 v6, 3, v7
	s_mov_b32 s33, exec_lo
	v_cmpx_gt_u32_e32 8, v7
; %bb.170:                              ;   in Loop: Header=BB361_10 Depth=1
	s_delay_alu instid0(VALU_DEP_3) | instskip(NEXT) | instid1(VALU_DEP_1)
	v_clz_i32_u32_e32 v6, v2
	v_min_u32_e32 v6, 32, v6
	s_delay_alu instid0(VALU_DEP_1) | instskip(SKIP_1) | instid1(VALU_DEP_2)
	v_subrev_nc_u32_e32 v7, 28, v6
	v_sub_nc_u32_e32 v6, 29, v6
	v_lshlrev_b64_e32 v[2:3], v7, v[2:3]
	s_delay_alu instid0(VALU_DEP_1)
	v_and_b32_e32 v2, 7, v2
; %bb.171:                              ;   in Loop: Header=BB361_10 Depth=1
	s_or_b32 exec_lo, exec_lo, s33
	v_lshlrev_b32_e32 v3, 16, v26
	s_delay_alu instid0(VALU_DEP_2) | instskip(SKIP_1) | instid1(VALU_DEP_3)
	v_lshlrev_b32_e32 v2, 20, v2
	v_lshl_add_u32 v6, v6, 23, 0x3c000000
	v_and_b32_e32 v3, 0x80000000, v3
	s_delay_alu instid0(VALU_DEP_1)
	v_or3_b32 v111, v2, v3, v6
.LBB361_172:                            ;   in Loop: Header=BB361_10 Depth=1
	s_or_b32 exec_lo, exec_lo, s31
.LBB361_173:                            ;   in Loop: Header=BB361_10 Depth=1
	s_delay_alu instid0(SALU_CYCLE_1)
	s_or_b32 exec_lo, exec_lo, s30
.LBB361_174:                            ;   in Loop: Header=BB361_10 Depth=1
	s_delay_alu instid0(SALU_CYCLE_1) | instskip(SKIP_2) | instid1(VALU_DEP_1)
	s_or_b32 exec_lo, exec_lo, s29
	v_lshrrev_b32_e32 v2, 16, v1
	s_mov_b32 s29, exec_lo
	v_and_b32_e32 v3, 0xff, v2
	s_delay_alu instid0(VALU_DEP_1)
	v_cmpx_ne_u16_e32 0, v3
	s_cbranch_execz .LBB361_182
; %bb.175:                              ;   in Loop: Header=BB361_10 Depth=1
	v_bfrev_b32_e32 v112, 1
	s_mov_b32 s30, exec_lo
	v_cmpx_ne_u16_e32 0x80, v3
	s_cbranch_execz .LBB361_181
; %bb.176:                              ;   in Loop: Header=BB361_10 Depth=1
	v_bfe_u32 v6, v1, 16, 7
	v_mov_b32_e32 v112, 0x7f800001
	s_mov_b32 s31, exec_lo
	s_delay_alu instid0(VALU_DEP_2)
	v_cmpx_ne_u32_e32 0x7f, v6
	s_cbranch_execz .LBB361_180
; %bb.177:                              ;   in Loop: Header=BB361_10 Depth=1
	v_and_b32_e32 v26, 7, v2
	v_lshrrev_b32_e32 v3, 3, v6
	s_mov_b32 s33, exec_lo
	v_cmpx_gt_u32_e32 8, v6
; %bb.178:                              ;   in Loop: Header=BB361_10 Depth=1
	s_delay_alu instid0(VALU_DEP_3) | instskip(NEXT) | instid1(VALU_DEP_1)
	v_clz_i32_u32_e32 v3, v26
	v_min_u32_e32 v3, 32, v3
	s_delay_alu instid0(VALU_DEP_1) | instskip(NEXT) | instid1(VALU_DEP_1)
	v_subrev_nc_u32_e32 v6, 28, v3
	v_lshlrev_b64_e32 v[6:7], v6, v[26:27]
	s_delay_alu instid0(VALU_DEP_1)
	v_dual_sub_nc_u32 v3, 29, v3 :: v_dual_bitop2_b32 v26, 7, v6 bitop3:0x40
; %bb.179:                              ;   in Loop: Header=BB361_10 Depth=1
	s_or_b32 exec_lo, exec_lo, s33
	v_lshlrev_b32_e32 v2, 24, v2
	s_delay_alu instid0(VALU_DEP_2) | instskip(NEXT) | instid1(VALU_DEP_3)
	v_lshlrev_b32_e32 v6, 20, v26
	v_lshl_add_u32 v3, v3, 23, 0x3c000000
	s_delay_alu instid0(VALU_DEP_3) | instskip(NEXT) | instid1(VALU_DEP_1)
	v_and_b32_e32 v2, 0x80000000, v2
	v_or3_b32 v112, v6, v2, v3
.LBB361_180:                            ;   in Loop: Header=BB361_10 Depth=1
	s_or_b32 exec_lo, exec_lo, s31
.LBB361_181:                            ;   in Loop: Header=BB361_10 Depth=1
	s_delay_alu instid0(SALU_CYCLE_1)
	s_or_b32 exec_lo, exec_lo, s30
.LBB361_182:                            ;   in Loop: Header=BB361_10 Depth=1
	s_delay_alu instid0(SALU_CYCLE_1)
	s_or_b32 exec_lo, exec_lo, s29
	v_dual_mov_b32 v114, 0 :: v_dual_mov_b32 v113, 0
	s_mov_b32 s29, exec_lo
	v_cmpx_lt_u64_e64 s[20:21], v[0:1]
	s_cbranch_execz .LBB361_190
; %bb.183:                              ;   in Loop: Header=BB361_10 Depth=1
	v_lshrrev_b32_e32 v0, 24, v1
	v_bfrev_b32_e32 v113, 1
	s_mov_b32 s30, exec_lo
	s_delay_alu instid0(VALU_DEP_2)
	v_cmpx_ne_u32_e32 0x80, v0
	s_cbranch_execz .LBB361_189
; %bb.184:                              ;   in Loop: Header=BB361_10 Depth=1
	v_bfe_u32 v2, v1, 24, 7
	v_mov_b32_e32 v113, 0x7f800001
	s_mov_b32 s31, exec_lo
	s_delay_alu instid0(VALU_DEP_2)
	v_cmpx_ne_u32_e32 0x7f, v2
	s_cbranch_execz .LBB361_188
; %bb.185:                              ;   in Loop: Header=BB361_10 Depth=1
	v_dual_lshrrev_b32 v1, 3, v2 :: v_dual_bitop2_b32 v26, 7, v0 bitop3:0x40
	s_mov_b32 s33, exec_lo
	v_cmpx_gt_u32_e32 8, v2
; %bb.186:                              ;   in Loop: Header=BB361_10 Depth=1
	s_delay_alu instid0(VALU_DEP_2) | instskip(NEXT) | instid1(VALU_DEP_1)
	v_clz_i32_u32_e32 v1, v26
	v_min_u32_e32 v1, 32, v1
	s_delay_alu instid0(VALU_DEP_1) | instskip(NEXT) | instid1(VALU_DEP_1)
	v_subrev_nc_u32_e32 v2, 28, v1
	v_lshlrev_b64_e32 v[2:3], v2, v[26:27]
	s_delay_alu instid0(VALU_DEP_1)
	v_dual_sub_nc_u32 v1, 29, v1 :: v_dual_bitop2_b32 v26, 7, v2 bitop3:0x40
; %bb.187:                              ;   in Loop: Header=BB361_10 Depth=1
	s_or_b32 exec_lo, exec_lo, s33
	s_delay_alu instid0(VALU_DEP_1) | instskip(NEXT) | instid1(VALU_DEP_2)
	v_dual_lshlrev_b32 v0, 24, v0 :: v_dual_lshlrev_b32 v2, 20, v26
	v_lshl_add_u32 v1, v1, 23, 0x3c000000
	s_delay_alu instid0(VALU_DEP_2) | instskip(NEXT) | instid1(VALU_DEP_1)
	v_and_b32_e32 v0, 0x80000000, v0
	v_or3_b32 v113, v2, v0, v1
.LBB361_188:                            ;   in Loop: Header=BB361_10 Depth=1
	s_or_b32 exec_lo, exec_lo, s31
.LBB361_189:                            ;   in Loop: Header=BB361_10 Depth=1
	s_delay_alu instid0(SALU_CYCLE_1)
	s_or_b32 exec_lo, exec_lo, s30
.LBB361_190:                            ;   in Loop: Header=BB361_10 Depth=1
	s_delay_alu instid0(SALU_CYCLE_1)
	s_or_b32 exec_lo, exec_lo, s29
	global_load_b64 v[0:1], v[100:101], off offset:520
	s_mov_b32 s29, exec_lo
	s_wait_loadcnt 0x0
	v_and_b32_e32 v2, 0xff, v0
	s_wait_xcnt 0x0
	s_delay_alu instid0(VALU_DEP_1)
	v_cmpx_ne_u16_e32 0, v2
	s_cbranch_execz .LBB361_196
; %bb.191:                              ;   in Loop: Header=BB361_10 Depth=1
	v_bfrev_b32_e32 v114, 1
	s_mov_b32 s30, exec_lo
	v_cmpx_ne_u16_e32 0x80, v2
	s_cbranch_execz .LBB361_195
; %bb.192:                              ;   in Loop: Header=BB361_10 Depth=1
	v_and_b32_e32 v2, 0x7f, v0
	v_mov_b32_e32 v114, 0x7f800001
	s_mov_b32 s31, exec_lo
	s_delay_alu instid0(VALU_DEP_2)
	v_cmpx_ne_u32_e32 0x7f, v2
	s_cbranch_execz .LBB361_194
; %bb.193:                              ;   in Loop: Header=BB361_10 Depth=1
	v_dual_lshrrev_b32 v6, 3, v2 :: v_dual_bitop2_b32 v3, 7, v0 bitop3:0x40
	v_cmp_gt_u32_e64 s3, 8, v2
	s_delay_alu instid0(VALU_DEP_2) | instskip(NEXT) | instid1(VALU_DEP_1)
	v_clz_i32_u32_e32 v3, v3
	v_min_u32_e32 v3, 32, v3
	s_delay_alu instid0(VALU_DEP_1) | instskip(SKIP_1) | instid1(VALU_DEP_2)
	v_subrev_nc_u32_e32 v7, 28, v3
	v_sub_nc_u32_e32 v3, 29, v3
	v_cndmask_b32_e64 v2, 0, v7, s3
	s_delay_alu instid0(VALU_DEP_2) | instskip(NEXT) | instid1(VALU_DEP_2)
	v_cndmask_b32_e64 v6, v6, v3, s3
	v_lshlrev_b64_e32 v[2:3], v2, v[0:1]
	v_lshlrev_b32_e32 v3, 24, v0
	s_delay_alu instid0(VALU_DEP_3) | instskip(NEXT) | instid1(VALU_DEP_2)
	v_lshl_add_u32 v6, v6, 23, 0x3c000000
	v_and_b32_e32 v3, 0x80000000, v3
	s_delay_alu instid0(VALU_DEP_4) | instskip(NEXT) | instid1(VALU_DEP_1)
	v_lshlrev_b32_e32 v2, 20, v2
	v_and_b32_e32 v2, 0x700000, v2
	s_delay_alu instid0(VALU_DEP_1)
	v_or3_b32 v114, v2, v3, v6
.LBB361_194:                            ;   in Loop: Header=BB361_10 Depth=1
	s_or_b32 exec_lo, exec_lo, s31
.LBB361_195:                            ;   in Loop: Header=BB361_10 Depth=1
	s_delay_alu instid0(SALU_CYCLE_1)
	s_or_b32 exec_lo, exec_lo, s30
.LBB361_196:                            ;   in Loop: Header=BB361_10 Depth=1
	s_delay_alu instid0(SALU_CYCLE_1) | instskip(SKIP_3) | instid1(VALU_DEP_2)
	s_or_b32 exec_lo, exec_lo, s29
	v_lshrrev_b16 v2, 8, v0
	v_dual_mov_b32 v116, 0 :: v_dual_mov_b32 v115, 0
	s_mov_b32 s29, exec_lo
	v_cmpx_ne_u16_e32 0, v2
	s_cbranch_execz .LBB361_204
; %bb.197:                              ;   in Loop: Header=BB361_10 Depth=1
	v_bfrev_b32_e32 v115, 1
	s_mov_b32 s30, exec_lo
	v_cmpx_ne_u16_e32 0x80, v2
	s_cbranch_execz .LBB361_203
; %bb.198:                              ;   in Loop: Header=BB361_10 Depth=1
	v_and_b32_e32 v2, 0xffff, v2
	v_mov_b32_e32 v115, 0x7f800001
	s_mov_b32 s31, exec_lo
	s_delay_alu instid0(VALU_DEP_2) | instskip(NEXT) | instid1(VALU_DEP_1)
	v_and_b32_e32 v3, 0x7f, v2
	v_cmpx_ne_u32_e32 0x7f, v3
	s_cbranch_execz .LBB361_202
; %bb.199:                              ;   in Loop: Header=BB361_10 Depth=1
	v_dual_lshrrev_b32 v2, 3, v3 :: v_dual_bitop2_b32 v26, 7, v2 bitop3:0x40
	s_mov_b32 s33, exec_lo
	v_cmpx_gt_u32_e32 8, v3
; %bb.200:                              ;   in Loop: Header=BB361_10 Depth=1
	s_delay_alu instid0(VALU_DEP_2) | instskip(NEXT) | instid1(VALU_DEP_1)
	v_clz_i32_u32_e32 v2, v26
	v_min_u32_e32 v2, 32, v2
	s_delay_alu instid0(VALU_DEP_1) | instskip(SKIP_1) | instid1(VALU_DEP_2)
	v_subrev_nc_u32_e32 v3, 28, v2
	v_sub_nc_u32_e32 v2, 29, v2
	v_lshlrev_b64_e32 v[6:7], v3, v[26:27]
	s_delay_alu instid0(VALU_DEP_1)
	v_and_b32_e32 v26, 7, v6
; %bb.201:                              ;   in Loop: Header=BB361_10 Depth=1
	s_or_b32 exec_lo, exec_lo, s33
	s_delay_alu instid0(VALU_DEP_1) | instskip(SKIP_1) | instid1(VALU_DEP_2)
	v_dual_lshlrev_b32 v3, 16, v0 :: v_dual_lshlrev_b32 v6, 20, v26
	v_lshl_add_u32 v2, v2, 23, 0x3c000000
	v_and_b32_e32 v3, 0x80000000, v3
	s_delay_alu instid0(VALU_DEP_1)
	v_or3_b32 v115, v6, v3, v2
.LBB361_202:                            ;   in Loop: Header=BB361_10 Depth=1
	s_or_b32 exec_lo, exec_lo, s31
.LBB361_203:                            ;   in Loop: Header=BB361_10 Depth=1
	s_delay_alu instid0(SALU_CYCLE_1)
	s_or_b32 exec_lo, exec_lo, s30
.LBB361_204:                            ;   in Loop: Header=BB361_10 Depth=1
	s_delay_alu instid0(SALU_CYCLE_1) | instskip(SKIP_2) | instid1(VALU_DEP_1)
	s_or_b32 exec_lo, exec_lo, s29
	v_lshrrev_b32_e32 v2, 16, v0
	s_mov_b32 s29, exec_lo
	v_and_b32_e32 v3, 0xff, v2
	s_delay_alu instid0(VALU_DEP_1)
	v_cmpx_ne_u16_e32 0, v3
	s_cbranch_execz .LBB361_212
; %bb.205:                              ;   in Loop: Header=BB361_10 Depth=1
	v_bfrev_b32_e32 v116, 1
	s_mov_b32 s30, exec_lo
	v_cmpx_ne_u16_e32 0x80, v3
	s_cbranch_execz .LBB361_211
; %bb.206:                              ;   in Loop: Header=BB361_10 Depth=1
	v_bfe_u32 v6, v0, 16, 7
	v_mov_b32_e32 v116, 0x7f800001
	s_mov_b32 s31, exec_lo
	s_delay_alu instid0(VALU_DEP_2)
	v_cmpx_ne_u32_e32 0x7f, v6
	s_cbranch_execz .LBB361_210
; %bb.207:                              ;   in Loop: Header=BB361_10 Depth=1
	v_and_b32_e32 v26, 7, v2
	v_lshrrev_b32_e32 v3, 3, v6
	s_mov_b32 s33, exec_lo
	v_cmpx_gt_u32_e32 8, v6
; %bb.208:                              ;   in Loop: Header=BB361_10 Depth=1
	s_delay_alu instid0(VALU_DEP_3) | instskip(NEXT) | instid1(VALU_DEP_1)
	v_clz_i32_u32_e32 v3, v26
	v_min_u32_e32 v3, 32, v3
	s_delay_alu instid0(VALU_DEP_1) | instskip(NEXT) | instid1(VALU_DEP_1)
	v_subrev_nc_u32_e32 v6, 28, v3
	v_lshlrev_b64_e32 v[6:7], v6, v[26:27]
	s_delay_alu instid0(VALU_DEP_1)
	v_dual_sub_nc_u32 v3, 29, v3 :: v_dual_bitop2_b32 v26, 7, v6 bitop3:0x40
; %bb.209:                              ;   in Loop: Header=BB361_10 Depth=1
	s_or_b32 exec_lo, exec_lo, s33
	v_lshlrev_b32_e32 v2, 24, v2
	s_delay_alu instid0(VALU_DEP_2) | instskip(NEXT) | instid1(VALU_DEP_3)
	v_lshlrev_b32_e32 v6, 20, v26
	v_lshl_add_u32 v3, v3, 23, 0x3c000000
	s_delay_alu instid0(VALU_DEP_3) | instskip(NEXT) | instid1(VALU_DEP_1)
	v_and_b32_e32 v2, 0x80000000, v2
	v_or3_b32 v116, v6, v2, v3
.LBB361_210:                            ;   in Loop: Header=BB361_10 Depth=1
	s_or_b32 exec_lo, exec_lo, s31
.LBB361_211:                            ;   in Loop: Header=BB361_10 Depth=1
	s_delay_alu instid0(SALU_CYCLE_1)
	s_or_b32 exec_lo, exec_lo, s30
.LBB361_212:                            ;   in Loop: Header=BB361_10 Depth=1
	s_delay_alu instid0(SALU_CYCLE_1)
	s_or_b32 exec_lo, exec_lo, s29
	v_dual_mov_b32 v118, 0 :: v_dual_mov_b32 v117, 0
	s_mov_b32 s29, exec_lo
	v_cmpx_lt_u32_e32 0xffffff, v0
	s_cbranch_execz .LBB361_220
; %bb.213:                              ;   in Loop: Header=BB361_10 Depth=1
	v_lshrrev_b32_e32 v2, 24, v0
	v_bfrev_b32_e32 v117, 1
	s_mov_b32 s30, exec_lo
	s_delay_alu instid0(VALU_DEP_2)
	v_cmpx_ne_u32_e32 0x80, v2
	s_cbranch_execz .LBB361_219
; %bb.214:                              ;   in Loop: Header=BB361_10 Depth=1
	v_bfe_u32 v6, v0, 24, 7
	v_mov_b32_e32 v117, 0x7f800001
	s_mov_b32 s31, exec_lo
	s_delay_alu instid0(VALU_DEP_2)
	v_cmpx_ne_u32_e32 0x7f, v6
	s_cbranch_execz .LBB361_218
; %bb.215:                              ;   in Loop: Header=BB361_10 Depth=1
	v_and_b32_e32 v26, 7, v2
	v_lshrrev_b32_e32 v3, 3, v6
	s_mov_b32 s33, exec_lo
	v_cmpx_gt_u32_e32 8, v6
; %bb.216:                              ;   in Loop: Header=BB361_10 Depth=1
	s_delay_alu instid0(VALU_DEP_3) | instskip(NEXT) | instid1(VALU_DEP_1)
	v_clz_i32_u32_e32 v3, v26
	v_min_u32_e32 v3, 32, v3
	s_delay_alu instid0(VALU_DEP_1) | instskip(NEXT) | instid1(VALU_DEP_1)
	v_subrev_nc_u32_e32 v6, 28, v3
	v_lshlrev_b64_e32 v[6:7], v6, v[26:27]
	s_delay_alu instid0(VALU_DEP_1)
	v_dual_sub_nc_u32 v3, 29, v3 :: v_dual_bitop2_b32 v26, 7, v6 bitop3:0x40
; %bb.217:                              ;   in Loop: Header=BB361_10 Depth=1
	s_or_b32 exec_lo, exec_lo, s33
	v_lshlrev_b32_e32 v2, 24, v2
	s_delay_alu instid0(VALU_DEP_2) | instskip(NEXT) | instid1(VALU_DEP_3)
	v_lshlrev_b32_e32 v6, 20, v26
	v_lshl_add_u32 v3, v3, 23, 0x3c000000
	s_delay_alu instid0(VALU_DEP_3) | instskip(NEXT) | instid1(VALU_DEP_1)
	v_and_b32_e32 v2, 0x80000000, v2
	v_or3_b32 v117, v6, v2, v3
.LBB361_218:                            ;   in Loop: Header=BB361_10 Depth=1
	s_or_b32 exec_lo, exec_lo, s31
.LBB361_219:                            ;   in Loop: Header=BB361_10 Depth=1
	s_delay_alu instid0(SALU_CYCLE_1)
	s_or_b32 exec_lo, exec_lo, s30
.LBB361_220:                            ;   in Loop: Header=BB361_10 Depth=1
	s_delay_alu instid0(SALU_CYCLE_1) | instskip(SKIP_3) | instid1(VALU_DEP_2)
	s_or_b32 exec_lo, exec_lo, s29
	v_and_b32_e32 v2, 0xff, v1
	v_mov_b32_e32 v26, v1
	s_mov_b32 s29, exec_lo
	v_cmpx_ne_u16_e32 0, v2
	s_cbranch_execz .LBB361_226
; %bb.221:                              ;   in Loop: Header=BB361_10 Depth=1
	v_bfrev_b32_e32 v118, 1
	s_mov_b32 s30, exec_lo
	v_cmpx_ne_u16_e32 0x80, v2
	s_cbranch_execz .LBB361_225
; %bb.222:                              ;   in Loop: Header=BB361_10 Depth=1
	v_and_b32_e32 v2, 0x7f, v1
	v_mov_b32_e32 v118, 0x7f800001
	s_mov_b32 s31, exec_lo
	s_delay_alu instid0(VALU_DEP_2)
	v_cmpx_ne_u32_e32 0x7f, v2
	s_cbranch_execz .LBB361_224
; %bb.223:                              ;   in Loop: Header=BB361_10 Depth=1
	v_dual_lshrrev_b32 v6, 3, v2 :: v_dual_bitop2_b32 v3, 7, v1 bitop3:0x40
	v_cmp_gt_u32_e64 s3, 8, v2
	s_delay_alu instid0(VALU_DEP_2) | instskip(NEXT) | instid1(VALU_DEP_1)
	v_clz_i32_u32_e32 v2, v3
	v_min_u32_e32 v2, 32, v2
	s_delay_alu instid0(VALU_DEP_1) | instskip(SKIP_1) | instid1(VALU_DEP_1)
	v_subrev_nc_u32_e32 v3, 28, v2
	v_sub_nc_u32_e32 v2, 29, v2
	v_dual_cndmask_b32 v6, v6, v2, s3 :: v_dual_cndmask_b32 v2, 0, v3, s3
	s_delay_alu instid0(VALU_DEP_1) | instskip(NEXT) | instid1(VALU_DEP_2)
	v_lshl_add_u32 v6, v6, 23, 0x3c000000
	v_lshlrev_b64_e32 v[2:3], v2, v[26:27]
	v_lshlrev_b32_e32 v3, 24, v26
	s_delay_alu instid0(VALU_DEP_1) | instskip(NEXT) | instid1(VALU_DEP_3)
	v_and_b32_e32 v3, 0x80000000, v3
	v_lshlrev_b32_e32 v2, 20, v2
	s_delay_alu instid0(VALU_DEP_1) | instskip(NEXT) | instid1(VALU_DEP_1)
	v_and_b32_e32 v2, 0x700000, v2
	v_or3_b32 v118, v2, v3, v6
.LBB361_224:                            ;   in Loop: Header=BB361_10 Depth=1
	s_or_b32 exec_lo, exec_lo, s31
.LBB361_225:                            ;   in Loop: Header=BB361_10 Depth=1
	s_delay_alu instid0(SALU_CYCLE_1)
	s_or_b32 exec_lo, exec_lo, s30
.LBB361_226:                            ;   in Loop: Header=BB361_10 Depth=1
	s_delay_alu instid0(SALU_CYCLE_1) | instskip(SKIP_3) | instid1(VALU_DEP_2)
	s_or_b32 exec_lo, exec_lo, s29
	v_lshrrev_b16 v2, 8, v26
	v_dual_mov_b32 v120, 0 :: v_dual_mov_b32 v119, 0
	s_mov_b32 s29, exec_lo
	v_cmpx_ne_u16_e32 0, v2
	s_cbranch_execz .LBB361_234
; %bb.227:                              ;   in Loop: Header=BB361_10 Depth=1
	v_bfrev_b32_e32 v119, 1
	s_mov_b32 s30, exec_lo
	v_cmpx_ne_u16_e32 0x80, v2
	s_cbranch_execz .LBB361_233
; %bb.228:                              ;   in Loop: Header=BB361_10 Depth=1
	v_and_b32_e32 v2, 0xffff, v2
	v_mov_b32_e32 v119, 0x7f800001
	s_mov_b32 s31, exec_lo
	s_delay_alu instid0(VALU_DEP_2) | instskip(NEXT) | instid1(VALU_DEP_1)
	v_and_b32_e32 v7, 0x7f, v2
	v_cmpx_ne_u32_e32 0x7f, v7
	s_cbranch_execz .LBB361_232
; %bb.229:                              ;   in Loop: Header=BB361_10 Depth=1
	v_dual_mov_b32 v3, v27 :: v_dual_bitop2_b32 v2, 7, v2 bitop3:0x40
	v_lshrrev_b32_e32 v6, 3, v7
	s_mov_b32 s33, exec_lo
	v_cmpx_gt_u32_e32 8, v7
; %bb.230:                              ;   in Loop: Header=BB361_10 Depth=1
	s_delay_alu instid0(VALU_DEP_3) | instskip(NEXT) | instid1(VALU_DEP_1)
	v_clz_i32_u32_e32 v6, v2
	v_min_u32_e32 v6, 32, v6
	s_delay_alu instid0(VALU_DEP_1) | instskip(SKIP_1) | instid1(VALU_DEP_2)
	v_subrev_nc_u32_e32 v7, 28, v6
	v_sub_nc_u32_e32 v6, 29, v6
	v_lshlrev_b64_e32 v[2:3], v7, v[2:3]
	s_delay_alu instid0(VALU_DEP_1)
	v_and_b32_e32 v2, 7, v2
; %bb.231:                              ;   in Loop: Header=BB361_10 Depth=1
	s_or_b32 exec_lo, exec_lo, s33
	v_lshlrev_b32_e32 v3, 16, v26
	s_delay_alu instid0(VALU_DEP_2) | instskip(SKIP_1) | instid1(VALU_DEP_3)
	v_lshlrev_b32_e32 v2, 20, v2
	v_lshl_add_u32 v6, v6, 23, 0x3c000000
	v_and_b32_e32 v3, 0x80000000, v3
	s_delay_alu instid0(VALU_DEP_1)
	v_or3_b32 v119, v2, v3, v6
.LBB361_232:                            ;   in Loop: Header=BB361_10 Depth=1
	s_or_b32 exec_lo, exec_lo, s31
.LBB361_233:                            ;   in Loop: Header=BB361_10 Depth=1
	s_delay_alu instid0(SALU_CYCLE_1)
	s_or_b32 exec_lo, exec_lo, s30
.LBB361_234:                            ;   in Loop: Header=BB361_10 Depth=1
	s_delay_alu instid0(SALU_CYCLE_1) | instskip(SKIP_2) | instid1(VALU_DEP_1)
	s_or_b32 exec_lo, exec_lo, s29
	v_lshrrev_b32_e32 v2, 16, v1
	s_mov_b32 s29, exec_lo
	v_and_b32_e32 v3, 0xff, v2
	s_delay_alu instid0(VALU_DEP_1)
	v_cmpx_ne_u16_e32 0, v3
	s_cbranch_execz .LBB361_242
; %bb.235:                              ;   in Loop: Header=BB361_10 Depth=1
	v_bfrev_b32_e32 v120, 1
	s_mov_b32 s30, exec_lo
	v_cmpx_ne_u16_e32 0x80, v3
	s_cbranch_execz .LBB361_241
; %bb.236:                              ;   in Loop: Header=BB361_10 Depth=1
	v_bfe_u32 v6, v1, 16, 7
	v_mov_b32_e32 v120, 0x7f800001
	s_mov_b32 s31, exec_lo
	s_delay_alu instid0(VALU_DEP_2)
	v_cmpx_ne_u32_e32 0x7f, v6
	s_cbranch_execz .LBB361_240
; %bb.237:                              ;   in Loop: Header=BB361_10 Depth=1
	v_and_b32_e32 v26, 7, v2
	v_lshrrev_b32_e32 v3, 3, v6
	s_mov_b32 s33, exec_lo
	v_cmpx_gt_u32_e32 8, v6
; %bb.238:                              ;   in Loop: Header=BB361_10 Depth=1
	s_delay_alu instid0(VALU_DEP_3) | instskip(NEXT) | instid1(VALU_DEP_1)
	v_clz_i32_u32_e32 v3, v26
	v_min_u32_e32 v3, 32, v3
	s_delay_alu instid0(VALU_DEP_1) | instskip(NEXT) | instid1(VALU_DEP_1)
	v_subrev_nc_u32_e32 v6, 28, v3
	v_lshlrev_b64_e32 v[6:7], v6, v[26:27]
	s_delay_alu instid0(VALU_DEP_1)
	v_dual_sub_nc_u32 v3, 29, v3 :: v_dual_bitop2_b32 v26, 7, v6 bitop3:0x40
; %bb.239:                              ;   in Loop: Header=BB361_10 Depth=1
	s_or_b32 exec_lo, exec_lo, s33
	v_lshlrev_b32_e32 v2, 24, v2
	s_delay_alu instid0(VALU_DEP_2) | instskip(NEXT) | instid1(VALU_DEP_3)
	v_lshlrev_b32_e32 v6, 20, v26
	v_lshl_add_u32 v3, v3, 23, 0x3c000000
	s_delay_alu instid0(VALU_DEP_3) | instskip(NEXT) | instid1(VALU_DEP_1)
	v_and_b32_e32 v2, 0x80000000, v2
	v_or3_b32 v120, v6, v2, v3
.LBB361_240:                            ;   in Loop: Header=BB361_10 Depth=1
	s_or_b32 exec_lo, exec_lo, s31
.LBB361_241:                            ;   in Loop: Header=BB361_10 Depth=1
	s_delay_alu instid0(SALU_CYCLE_1)
	s_or_b32 exec_lo, exec_lo, s30
.LBB361_242:                            ;   in Loop: Header=BB361_10 Depth=1
	s_delay_alu instid0(SALU_CYCLE_1)
	s_or_b32 exec_lo, exec_lo, s29
	v_dual_mov_b32 v122, 0 :: v_dual_mov_b32 v121, 0
	s_mov_b32 s29, exec_lo
	v_cmpx_lt_u64_e64 s[20:21], v[0:1]
	s_cbranch_execz .LBB361_250
; %bb.243:                              ;   in Loop: Header=BB361_10 Depth=1
	v_lshrrev_b32_e32 v0, 24, v1
	v_bfrev_b32_e32 v121, 1
	s_mov_b32 s30, exec_lo
	s_delay_alu instid0(VALU_DEP_2)
	v_cmpx_ne_u32_e32 0x80, v0
	s_cbranch_execz .LBB361_249
; %bb.244:                              ;   in Loop: Header=BB361_10 Depth=1
	v_bfe_u32 v2, v1, 24, 7
	v_mov_b32_e32 v121, 0x7f800001
	s_mov_b32 s31, exec_lo
	s_delay_alu instid0(VALU_DEP_2)
	v_cmpx_ne_u32_e32 0x7f, v2
	s_cbranch_execz .LBB361_248
; %bb.245:                              ;   in Loop: Header=BB361_10 Depth=1
	v_dual_lshrrev_b32 v1, 3, v2 :: v_dual_bitop2_b32 v26, 7, v0 bitop3:0x40
	s_mov_b32 s33, exec_lo
	v_cmpx_gt_u32_e32 8, v2
; %bb.246:                              ;   in Loop: Header=BB361_10 Depth=1
	s_delay_alu instid0(VALU_DEP_2) | instskip(NEXT) | instid1(VALU_DEP_1)
	v_clz_i32_u32_e32 v1, v26
	v_min_u32_e32 v1, 32, v1
	s_delay_alu instid0(VALU_DEP_1) | instskip(NEXT) | instid1(VALU_DEP_1)
	v_subrev_nc_u32_e32 v2, 28, v1
	v_lshlrev_b64_e32 v[2:3], v2, v[26:27]
	s_delay_alu instid0(VALU_DEP_1)
	v_dual_sub_nc_u32 v1, 29, v1 :: v_dual_bitop2_b32 v26, 7, v2 bitop3:0x40
; %bb.247:                              ;   in Loop: Header=BB361_10 Depth=1
	s_or_b32 exec_lo, exec_lo, s33
	s_delay_alu instid0(VALU_DEP_1) | instskip(NEXT) | instid1(VALU_DEP_2)
	v_dual_lshlrev_b32 v0, 24, v0 :: v_dual_lshlrev_b32 v2, 20, v26
	v_lshl_add_u32 v1, v1, 23, 0x3c000000
	s_delay_alu instid0(VALU_DEP_2) | instskip(NEXT) | instid1(VALU_DEP_1)
	v_and_b32_e32 v0, 0x80000000, v0
	v_or3_b32 v121, v2, v0, v1
.LBB361_248:                            ;   in Loop: Header=BB361_10 Depth=1
	s_or_b32 exec_lo, exec_lo, s31
.LBB361_249:                            ;   in Loop: Header=BB361_10 Depth=1
	s_delay_alu instid0(SALU_CYCLE_1)
	s_or_b32 exec_lo, exec_lo, s30
.LBB361_250:                            ;   in Loop: Header=BB361_10 Depth=1
	s_delay_alu instid0(SALU_CYCLE_1)
	s_or_b32 exec_lo, exec_lo, s29
	global_load_b64 v[0:1], v[100:101], off offset:1024
	s_mov_b32 s29, exec_lo
	s_wait_loadcnt 0x0
	v_and_b32_e32 v2, 0xff, v0
	s_wait_xcnt 0x0
	s_delay_alu instid0(VALU_DEP_1)
	v_cmpx_ne_u16_e32 0, v2
	s_cbranch_execz .LBB361_256
; %bb.251:                              ;   in Loop: Header=BB361_10 Depth=1
	v_bfrev_b32_e32 v122, 1
	s_mov_b32 s30, exec_lo
	v_cmpx_ne_u16_e32 0x80, v2
	s_cbranch_execz .LBB361_255
; %bb.252:                              ;   in Loop: Header=BB361_10 Depth=1
	v_and_b32_e32 v2, 0x7f, v0
	v_mov_b32_e32 v122, 0x7f800001
	s_mov_b32 s31, exec_lo
	s_delay_alu instid0(VALU_DEP_2)
	v_cmpx_ne_u32_e32 0x7f, v2
	s_cbranch_execz .LBB361_254
; %bb.253:                              ;   in Loop: Header=BB361_10 Depth=1
	v_dual_lshrrev_b32 v6, 3, v2 :: v_dual_bitop2_b32 v3, 7, v0 bitop3:0x40
	v_cmp_gt_u32_e64 s3, 8, v2
	s_delay_alu instid0(VALU_DEP_2) | instskip(NEXT) | instid1(VALU_DEP_1)
	v_clz_i32_u32_e32 v2, v3
	v_min_u32_e32 v2, 32, v2
	s_delay_alu instid0(VALU_DEP_1) | instskip(SKIP_1) | instid1(VALU_DEP_1)
	v_subrev_nc_u32_e32 v3, 28, v2
	v_sub_nc_u32_e32 v2, 29, v2
	v_dual_cndmask_b32 v6, v6, v2, s3 :: v_dual_cndmask_b32 v2, 0, v3, s3
	s_delay_alu instid0(VALU_DEP_1) | instskip(NEXT) | instid1(VALU_DEP_2)
	v_lshl_add_u32 v6, v6, 23, 0x3c000000
	v_lshlrev_b64_e32 v[2:3], v2, v[0:1]
	v_lshlrev_b32_e32 v3, 24, v0
	s_delay_alu instid0(VALU_DEP_1) | instskip(NEXT) | instid1(VALU_DEP_3)
	v_and_b32_e32 v3, 0x80000000, v3
	v_lshlrev_b32_e32 v2, 20, v2
	s_delay_alu instid0(VALU_DEP_1) | instskip(NEXT) | instid1(VALU_DEP_1)
	v_and_b32_e32 v2, 0x700000, v2
	v_or3_b32 v122, v2, v3, v6
.LBB361_254:                            ;   in Loop: Header=BB361_10 Depth=1
	s_or_b32 exec_lo, exec_lo, s31
.LBB361_255:                            ;   in Loop: Header=BB361_10 Depth=1
	s_delay_alu instid0(SALU_CYCLE_1)
	s_or_b32 exec_lo, exec_lo, s30
.LBB361_256:                            ;   in Loop: Header=BB361_10 Depth=1
	s_delay_alu instid0(SALU_CYCLE_1) | instskip(SKIP_3) | instid1(VALU_DEP_2)
	s_or_b32 exec_lo, exec_lo, s29
	v_lshrrev_b16 v2, 8, v0
	v_dual_mov_b32 v124, 0 :: v_dual_mov_b32 v123, 0
	s_mov_b32 s29, exec_lo
	v_cmpx_ne_u16_e32 0, v2
	s_cbranch_execz .LBB361_264
; %bb.257:                              ;   in Loop: Header=BB361_10 Depth=1
	v_bfrev_b32_e32 v123, 1
	s_mov_b32 s30, exec_lo
	v_cmpx_ne_u16_e32 0x80, v2
	s_cbranch_execz .LBB361_263
; %bb.258:                              ;   in Loop: Header=BB361_10 Depth=1
	v_and_b32_e32 v2, 0xffff, v2
	v_mov_b32_e32 v123, 0x7f800001
	s_mov_b32 s31, exec_lo
	s_delay_alu instid0(VALU_DEP_2) | instskip(NEXT) | instid1(VALU_DEP_1)
	v_and_b32_e32 v3, 0x7f, v2
	v_cmpx_ne_u32_e32 0x7f, v3
	s_cbranch_execz .LBB361_262
; %bb.259:                              ;   in Loop: Header=BB361_10 Depth=1
	v_dual_lshrrev_b32 v2, 3, v3 :: v_dual_bitop2_b32 v26, 7, v2 bitop3:0x40
	s_mov_b32 s33, exec_lo
	v_cmpx_gt_u32_e32 8, v3
; %bb.260:                              ;   in Loop: Header=BB361_10 Depth=1
	s_delay_alu instid0(VALU_DEP_2) | instskip(NEXT) | instid1(VALU_DEP_1)
	v_clz_i32_u32_e32 v2, v26
	v_min_u32_e32 v2, 32, v2
	s_delay_alu instid0(VALU_DEP_1) | instskip(SKIP_1) | instid1(VALU_DEP_2)
	v_subrev_nc_u32_e32 v3, 28, v2
	v_sub_nc_u32_e32 v2, 29, v2
	v_lshlrev_b64_e32 v[6:7], v3, v[26:27]
	s_delay_alu instid0(VALU_DEP_1)
	v_and_b32_e32 v26, 7, v6
; %bb.261:                              ;   in Loop: Header=BB361_10 Depth=1
	s_or_b32 exec_lo, exec_lo, s33
	s_delay_alu instid0(VALU_DEP_1) | instskip(SKIP_1) | instid1(VALU_DEP_2)
	v_dual_lshlrev_b32 v3, 16, v0 :: v_dual_lshlrev_b32 v6, 20, v26
	v_lshl_add_u32 v2, v2, 23, 0x3c000000
	v_and_b32_e32 v3, 0x80000000, v3
	s_delay_alu instid0(VALU_DEP_1)
	v_or3_b32 v123, v6, v3, v2
.LBB361_262:                            ;   in Loop: Header=BB361_10 Depth=1
	s_or_b32 exec_lo, exec_lo, s31
.LBB361_263:                            ;   in Loop: Header=BB361_10 Depth=1
	s_delay_alu instid0(SALU_CYCLE_1)
	s_or_b32 exec_lo, exec_lo, s30
.LBB361_264:                            ;   in Loop: Header=BB361_10 Depth=1
	s_delay_alu instid0(SALU_CYCLE_1) | instskip(SKIP_2) | instid1(VALU_DEP_1)
	s_or_b32 exec_lo, exec_lo, s29
	v_lshrrev_b32_e32 v2, 16, v0
	s_mov_b32 s29, exec_lo
	v_and_b32_e32 v3, 0xff, v2
	s_delay_alu instid0(VALU_DEP_1)
	v_cmpx_ne_u16_e32 0, v3
	s_cbranch_execz .LBB361_272
; %bb.265:                              ;   in Loop: Header=BB361_10 Depth=1
	v_bfrev_b32_e32 v124, 1
	s_mov_b32 s30, exec_lo
	v_cmpx_ne_u16_e32 0x80, v3
	s_cbranch_execz .LBB361_271
; %bb.266:                              ;   in Loop: Header=BB361_10 Depth=1
	v_bfe_u32 v6, v0, 16, 7
	v_mov_b32_e32 v124, 0x7f800001
	s_mov_b32 s31, exec_lo
	s_delay_alu instid0(VALU_DEP_2)
	v_cmpx_ne_u32_e32 0x7f, v6
	s_cbranch_execz .LBB361_270
; %bb.267:                              ;   in Loop: Header=BB361_10 Depth=1
	v_and_b32_e32 v26, 7, v2
	v_lshrrev_b32_e32 v3, 3, v6
	s_mov_b32 s33, exec_lo
	v_cmpx_gt_u32_e32 8, v6
; %bb.268:                              ;   in Loop: Header=BB361_10 Depth=1
	s_delay_alu instid0(VALU_DEP_3) | instskip(NEXT) | instid1(VALU_DEP_1)
	v_clz_i32_u32_e32 v3, v26
	v_min_u32_e32 v3, 32, v3
	s_delay_alu instid0(VALU_DEP_1) | instskip(NEXT) | instid1(VALU_DEP_1)
	v_subrev_nc_u32_e32 v6, 28, v3
	v_lshlrev_b64_e32 v[6:7], v6, v[26:27]
	s_delay_alu instid0(VALU_DEP_1)
	v_dual_sub_nc_u32 v3, 29, v3 :: v_dual_bitop2_b32 v26, 7, v6 bitop3:0x40
; %bb.269:                              ;   in Loop: Header=BB361_10 Depth=1
	s_or_b32 exec_lo, exec_lo, s33
	v_lshlrev_b32_e32 v2, 24, v2
	s_delay_alu instid0(VALU_DEP_2) | instskip(NEXT) | instid1(VALU_DEP_3)
	v_lshlrev_b32_e32 v6, 20, v26
	v_lshl_add_u32 v3, v3, 23, 0x3c000000
	s_delay_alu instid0(VALU_DEP_3) | instskip(NEXT) | instid1(VALU_DEP_1)
	v_and_b32_e32 v2, 0x80000000, v2
	v_or3_b32 v124, v6, v2, v3
.LBB361_270:                            ;   in Loop: Header=BB361_10 Depth=1
	s_or_b32 exec_lo, exec_lo, s31
.LBB361_271:                            ;   in Loop: Header=BB361_10 Depth=1
	s_delay_alu instid0(SALU_CYCLE_1)
	s_or_b32 exec_lo, exec_lo, s30
.LBB361_272:                            ;   in Loop: Header=BB361_10 Depth=1
	s_delay_alu instid0(SALU_CYCLE_1)
	s_or_b32 exec_lo, exec_lo, s29
	v_dual_mov_b32 v126, 0 :: v_dual_mov_b32 v125, 0
	s_mov_b32 s29, exec_lo
	v_cmpx_lt_u32_e32 0xffffff, v0
	s_cbranch_execz .LBB361_280
; %bb.273:                              ;   in Loop: Header=BB361_10 Depth=1
	v_lshrrev_b32_e32 v2, 24, v0
	v_bfrev_b32_e32 v125, 1
	s_mov_b32 s30, exec_lo
	s_delay_alu instid0(VALU_DEP_2)
	v_cmpx_ne_u32_e32 0x80, v2
	s_cbranch_execz .LBB361_279
; %bb.274:                              ;   in Loop: Header=BB361_10 Depth=1
	v_bfe_u32 v6, v0, 24, 7
	v_mov_b32_e32 v125, 0x7f800001
	s_mov_b32 s31, exec_lo
	s_delay_alu instid0(VALU_DEP_2)
	v_cmpx_ne_u32_e32 0x7f, v6
	s_cbranch_execz .LBB361_278
; %bb.275:                              ;   in Loop: Header=BB361_10 Depth=1
	v_and_b32_e32 v26, 7, v2
	v_lshrrev_b32_e32 v3, 3, v6
	s_mov_b32 s33, exec_lo
	v_cmpx_gt_u32_e32 8, v6
; %bb.276:                              ;   in Loop: Header=BB361_10 Depth=1
	s_delay_alu instid0(VALU_DEP_3) | instskip(NEXT) | instid1(VALU_DEP_1)
	v_clz_i32_u32_e32 v3, v26
	v_min_u32_e32 v3, 32, v3
	s_delay_alu instid0(VALU_DEP_1) | instskip(NEXT) | instid1(VALU_DEP_1)
	v_subrev_nc_u32_e32 v6, 28, v3
	v_lshlrev_b64_e32 v[6:7], v6, v[26:27]
	s_delay_alu instid0(VALU_DEP_1)
	v_dual_sub_nc_u32 v3, 29, v3 :: v_dual_bitop2_b32 v26, 7, v6 bitop3:0x40
; %bb.277:                              ;   in Loop: Header=BB361_10 Depth=1
	s_or_b32 exec_lo, exec_lo, s33
	v_lshlrev_b32_e32 v2, 24, v2
	s_delay_alu instid0(VALU_DEP_2) | instskip(NEXT) | instid1(VALU_DEP_3)
	v_lshlrev_b32_e32 v6, 20, v26
	v_lshl_add_u32 v3, v3, 23, 0x3c000000
	s_delay_alu instid0(VALU_DEP_3) | instskip(NEXT) | instid1(VALU_DEP_1)
	v_and_b32_e32 v2, 0x80000000, v2
	v_or3_b32 v125, v6, v2, v3
.LBB361_278:                            ;   in Loop: Header=BB361_10 Depth=1
	s_or_b32 exec_lo, exec_lo, s31
.LBB361_279:                            ;   in Loop: Header=BB361_10 Depth=1
	s_delay_alu instid0(SALU_CYCLE_1)
	s_or_b32 exec_lo, exec_lo, s30
.LBB361_280:                            ;   in Loop: Header=BB361_10 Depth=1
	s_delay_alu instid0(SALU_CYCLE_1) | instskip(SKIP_3) | instid1(VALU_DEP_2)
	s_or_b32 exec_lo, exec_lo, s29
	v_and_b32_e32 v2, 0xff, v1
	v_mov_b32_e32 v26, v1
	s_mov_b32 s29, exec_lo
	v_cmpx_ne_u16_e32 0, v2
	s_cbranch_execz .LBB361_286
; %bb.281:                              ;   in Loop: Header=BB361_10 Depth=1
	v_bfrev_b32_e32 v126, 1
	s_mov_b32 s30, exec_lo
	v_cmpx_ne_u16_e32 0x80, v2
	s_cbranch_execz .LBB361_285
; %bb.282:                              ;   in Loop: Header=BB361_10 Depth=1
	v_and_b32_e32 v2, 0x7f, v1
	v_mov_b32_e32 v126, 0x7f800001
	s_mov_b32 s31, exec_lo
	s_delay_alu instid0(VALU_DEP_2)
	v_cmpx_ne_u32_e32 0x7f, v2
	s_cbranch_execz .LBB361_284
; %bb.283:                              ;   in Loop: Header=BB361_10 Depth=1
	v_dual_lshrrev_b32 v6, 3, v2 :: v_dual_bitop2_b32 v3, 7, v1 bitop3:0x40
	v_cmp_gt_u32_e64 s3, 8, v2
	s_delay_alu instid0(VALU_DEP_2) | instskip(NEXT) | instid1(VALU_DEP_1)
	v_clz_i32_u32_e32 v2, v3
	v_min_u32_e32 v2, 32, v2
	s_delay_alu instid0(VALU_DEP_1) | instskip(SKIP_1) | instid1(VALU_DEP_1)
	v_subrev_nc_u32_e32 v3, 28, v2
	v_sub_nc_u32_e32 v2, 29, v2
	v_dual_cndmask_b32 v6, v6, v2, s3 :: v_dual_cndmask_b32 v2, 0, v3, s3
	s_delay_alu instid0(VALU_DEP_1) | instskip(NEXT) | instid1(VALU_DEP_2)
	v_lshl_add_u32 v6, v6, 23, 0x3c000000
	v_lshlrev_b64_e32 v[2:3], v2, v[26:27]
	v_lshlrev_b32_e32 v3, 24, v26
	s_delay_alu instid0(VALU_DEP_1) | instskip(NEXT) | instid1(VALU_DEP_3)
	v_and_b32_e32 v3, 0x80000000, v3
	v_lshlrev_b32_e32 v2, 20, v2
	s_delay_alu instid0(VALU_DEP_1) | instskip(NEXT) | instid1(VALU_DEP_1)
	v_and_b32_e32 v2, 0x700000, v2
	v_or3_b32 v126, v2, v3, v6
.LBB361_284:                            ;   in Loop: Header=BB361_10 Depth=1
	s_or_b32 exec_lo, exec_lo, s31
.LBB361_285:                            ;   in Loop: Header=BB361_10 Depth=1
	s_delay_alu instid0(SALU_CYCLE_1)
	s_or_b32 exec_lo, exec_lo, s30
.LBB361_286:                            ;   in Loop: Header=BB361_10 Depth=1
	s_delay_alu instid0(SALU_CYCLE_1) | instskip(SKIP_3) | instid1(VALU_DEP_2)
	s_or_b32 exec_lo, exec_lo, s29
	v_lshrrev_b16 v2, 8, v26
	v_dual_mov_b32 v84, 0 :: v_dual_mov_b32 v127, 0
	s_mov_b32 s29, exec_lo
	v_cmpx_ne_u16_e32 0, v2
	s_cbranch_execz .LBB361_294
; %bb.287:                              ;   in Loop: Header=BB361_10 Depth=1
	v_bfrev_b32_e32 v127, 1
	s_mov_b32 s30, exec_lo
	v_cmpx_ne_u16_e32 0x80, v2
	s_cbranch_execz .LBB361_293
; %bb.288:                              ;   in Loop: Header=BB361_10 Depth=1
	v_and_b32_e32 v2, 0xffff, v2
	v_mov_b32_e32 v127, 0x7f800001
	s_mov_b32 s31, exec_lo
	s_delay_alu instid0(VALU_DEP_2) | instskip(NEXT) | instid1(VALU_DEP_1)
	v_and_b32_e32 v7, 0x7f, v2
	v_cmpx_ne_u32_e32 0x7f, v7
	s_cbranch_execz .LBB361_292
; %bb.289:                              ;   in Loop: Header=BB361_10 Depth=1
	v_dual_mov_b32 v3, v27 :: v_dual_bitop2_b32 v2, 7, v2 bitop3:0x40
	v_lshrrev_b32_e32 v6, 3, v7
	s_mov_b32 s33, exec_lo
	v_cmpx_gt_u32_e32 8, v7
; %bb.290:                              ;   in Loop: Header=BB361_10 Depth=1
	s_delay_alu instid0(VALU_DEP_3) | instskip(NEXT) | instid1(VALU_DEP_1)
	v_clz_i32_u32_e32 v6, v2
	v_min_u32_e32 v6, 32, v6
	s_delay_alu instid0(VALU_DEP_1) | instskip(SKIP_1) | instid1(VALU_DEP_2)
	v_subrev_nc_u32_e32 v7, 28, v6
	v_sub_nc_u32_e32 v6, 29, v6
	v_lshlrev_b64_e32 v[2:3], v7, v[2:3]
	s_delay_alu instid0(VALU_DEP_1)
	v_and_b32_e32 v2, 7, v2
; %bb.291:                              ;   in Loop: Header=BB361_10 Depth=1
	s_or_b32 exec_lo, exec_lo, s33
	v_lshlrev_b32_e32 v3, 16, v26
	s_delay_alu instid0(VALU_DEP_2) | instskip(SKIP_1) | instid1(VALU_DEP_3)
	v_lshlrev_b32_e32 v2, 20, v2
	v_lshl_add_u32 v6, v6, 23, 0x3c000000
	v_and_b32_e32 v3, 0x80000000, v3
	s_delay_alu instid0(VALU_DEP_1)
	v_or3_b32 v127, v2, v3, v6
.LBB361_292:                            ;   in Loop: Header=BB361_10 Depth=1
	s_or_b32 exec_lo, exec_lo, s31
.LBB361_293:                            ;   in Loop: Header=BB361_10 Depth=1
	s_delay_alu instid0(SALU_CYCLE_1)
	s_or_b32 exec_lo, exec_lo, s30
.LBB361_294:                            ;   in Loop: Header=BB361_10 Depth=1
	s_delay_alu instid0(SALU_CYCLE_1) | instskip(SKIP_2) | instid1(VALU_DEP_1)
	s_or_b32 exec_lo, exec_lo, s29
	v_lshrrev_b32_e32 v2, 16, v1
	s_mov_b32 s29, exec_lo
	v_and_b32_e32 v3, 0xff, v2
	s_delay_alu instid0(VALU_DEP_1)
	v_cmpx_ne_u16_e32 0, v3
	s_cbranch_execz .LBB361_302
; %bb.295:                              ;   in Loop: Header=BB361_10 Depth=1
	v_bfrev_b32_e32 v84, 1
	s_mov_b32 s30, exec_lo
	v_cmpx_ne_u16_e32 0x80, v3
	s_cbranch_execz .LBB361_301
; %bb.296:                              ;   in Loop: Header=BB361_10 Depth=1
	v_bfe_u32 v6, v1, 16, 7
	v_mov_b32_e32 v84, 0x7f800001
	s_mov_b32 s31, exec_lo
	s_delay_alu instid0(VALU_DEP_2)
	v_cmpx_ne_u32_e32 0x7f, v6
	s_cbranch_execz .LBB361_300
; %bb.297:                              ;   in Loop: Header=BB361_10 Depth=1
	v_and_b32_e32 v26, 7, v2
	v_lshrrev_b32_e32 v3, 3, v6
	s_mov_b32 s33, exec_lo
	v_cmpx_gt_u32_e32 8, v6
; %bb.298:                              ;   in Loop: Header=BB361_10 Depth=1
	s_delay_alu instid0(VALU_DEP_3) | instskip(NEXT) | instid1(VALU_DEP_1)
	v_clz_i32_u32_e32 v3, v26
	v_min_u32_e32 v3, 32, v3
	s_delay_alu instid0(VALU_DEP_1) | instskip(NEXT) | instid1(VALU_DEP_1)
	v_subrev_nc_u32_e32 v6, 28, v3
	v_lshlrev_b64_e32 v[6:7], v6, v[26:27]
	s_delay_alu instid0(VALU_DEP_1)
	v_dual_sub_nc_u32 v3, 29, v3 :: v_dual_bitop2_b32 v26, 7, v6 bitop3:0x40
; %bb.299:                              ;   in Loop: Header=BB361_10 Depth=1
	s_or_b32 exec_lo, exec_lo, s33
	v_lshlrev_b32_e32 v2, 24, v2
	s_delay_alu instid0(VALU_DEP_2) | instskip(NEXT) | instid1(VALU_DEP_3)
	v_lshlrev_b32_e32 v6, 20, v26
	v_lshl_add_u32 v3, v3, 23, 0x3c000000
	s_delay_alu instid0(VALU_DEP_3) | instskip(NEXT) | instid1(VALU_DEP_1)
	v_and_b32_e32 v2, 0x80000000, v2
	v_or3_b32 v84, v6, v2, v3
.LBB361_300:                            ;   in Loop: Header=BB361_10 Depth=1
	s_or_b32 exec_lo, exec_lo, s31
.LBB361_301:                            ;   in Loop: Header=BB361_10 Depth=1
	s_delay_alu instid0(SALU_CYCLE_1)
	s_or_b32 exec_lo, exec_lo, s30
.LBB361_302:                            ;   in Loop: Header=BB361_10 Depth=1
	s_delay_alu instid0(SALU_CYCLE_1)
	s_or_b32 exec_lo, exec_lo, s29
	v_cmp_lt_u64_e64 s3, s[20:21], v[0:1]
	v_dual_mov_b32 v0, 0 :: v_dual_mov_b32 v85, 0
	s_and_saveexec_b32 s29, s3
	s_cbranch_execz .LBB361_310
; %bb.303:                              ;   in Loop: Header=BB361_10 Depth=1
	v_lshrrev_b32_e32 v2, 24, v1
	v_bfrev_b32_e32 v85, 1
	s_mov_b32 s30, exec_lo
	s_delay_alu instid0(VALU_DEP_2)
	v_cmpx_ne_u32_e32 0x80, v2
	s_cbranch_execz .LBB361_309
; %bb.304:                              ;   in Loop: Header=BB361_10 Depth=1
	v_bfe_u32 v3, v1, 24, 7
	v_mov_b32_e32 v85, 0x7f800001
	s_mov_b32 s31, exec_lo
	s_delay_alu instid0(VALU_DEP_2)
	v_cmpx_ne_u32_e32 0x7f, v3
	s_cbranch_execz .LBB361_308
; %bb.305:                              ;   in Loop: Header=BB361_10 Depth=1
	v_dual_lshrrev_b32 v1, 3, v3 :: v_dual_bitop2_b32 v26, 7, v2 bitop3:0x40
	s_mov_b32 s33, exec_lo
	v_cmpx_gt_u32_e32 8, v3
; %bb.306:                              ;   in Loop: Header=BB361_10 Depth=1
	s_delay_alu instid0(VALU_DEP_2) | instskip(NEXT) | instid1(VALU_DEP_1)
	v_clz_i32_u32_e32 v1, v26
	v_min_u32_e32 v1, 32, v1
	s_delay_alu instid0(VALU_DEP_1) | instskip(NEXT) | instid1(VALU_DEP_1)
	v_subrev_nc_u32_e32 v3, 28, v1
	v_lshlrev_b64_e32 v[6:7], v3, v[26:27]
	s_delay_alu instid0(VALU_DEP_1)
	v_dual_sub_nc_u32 v1, 29, v1 :: v_dual_bitop2_b32 v26, 7, v6 bitop3:0x40
; %bb.307:                              ;   in Loop: Header=BB361_10 Depth=1
	s_or_b32 exec_lo, exec_lo, s33
	v_lshlrev_b32_e32 v2, 24, v2
	s_delay_alu instid0(VALU_DEP_2) | instskip(NEXT) | instid1(VALU_DEP_3)
	v_lshlrev_b32_e32 v3, 20, v26
	v_lshl_add_u32 v1, v1, 23, 0x3c000000
	s_delay_alu instid0(VALU_DEP_3) | instskip(NEXT) | instid1(VALU_DEP_1)
	v_and_b32_e32 v2, 0x80000000, v2
	v_or3_b32 v85, v3, v2, v1
.LBB361_308:                            ;   in Loop: Header=BB361_10 Depth=1
	s_or_b32 exec_lo, exec_lo, s31
.LBB361_309:                            ;   in Loop: Header=BB361_10 Depth=1
	s_delay_alu instid0(SALU_CYCLE_1)
	s_or_b32 exec_lo, exec_lo, s30
.LBB361_310:                            ;   in Loop: Header=BB361_10 Depth=1
	s_delay_alu instid0(SALU_CYCLE_1)
	s_or_b32 exec_lo, exec_lo, s29
	global_load_b64 v[2:3], v[100:101], off offset:1032
	s_mov_b32 s29, exec_lo
	s_wait_loadcnt 0x0
	v_and_b32_e32 v1, 0xff, v2
	s_wait_xcnt 0x0
	s_delay_alu instid0(VALU_DEP_1)
	v_cmpx_ne_u16_e32 0, v1
	s_cbranch_execz .LBB361_316
; %bb.311:                              ;   in Loop: Header=BB361_10 Depth=1
	v_bfrev_b32_e32 v0, 1
	s_mov_b32 s30, exec_lo
	v_cmpx_ne_u16_e32 0x80, v1
	s_cbranch_execz .LBB361_315
; %bb.312:                              ;   in Loop: Header=BB361_10 Depth=1
	v_and_b32_e32 v1, 0x7f, v2
	v_mov_b32_e32 v0, 0x7f800001
	s_mov_b32 s31, exec_lo
	s_delay_alu instid0(VALU_DEP_2)
	v_cmpx_ne_u32_e32 0x7f, v1
	s_cbranch_execz .LBB361_314
; %bb.313:                              ;   in Loop: Header=BB361_10 Depth=1
	v_dual_lshrrev_b32 v6, 3, v1 :: v_dual_bitop2_b32 v0, 7, v2 bitop3:0x40
	v_cmp_gt_u32_e64 s3, 8, v1
	s_delay_alu instid0(VALU_DEP_2) | instskip(NEXT) | instid1(VALU_DEP_1)
	v_clz_i32_u32_e32 v0, v0
	v_min_u32_e32 v0, 32, v0
	s_delay_alu instid0(VALU_DEP_1) | instskip(SKIP_1) | instid1(VALU_DEP_1)
	v_subrev_nc_u32_e32 v1, 28, v0
	v_sub_nc_u32_e32 v0, 29, v0
	v_dual_cndmask_b32 v6, v6, v0, s3 :: v_dual_cndmask_b32 v0, 0, v1, s3
	s_delay_alu instid0(VALU_DEP_1) | instskip(NEXT) | instid1(VALU_DEP_2)
	v_lshl_add_u32 v6, v6, 23, 0x3c000000
	v_lshlrev_b64_e32 v[0:1], v0, v[2:3]
	v_lshlrev_b32_e32 v1, 24, v2
	s_delay_alu instid0(VALU_DEP_1) | instskip(NEXT) | instid1(VALU_DEP_3)
	v_and_b32_e32 v1, 0x80000000, v1
	v_lshlrev_b32_e32 v0, 20, v0
	s_delay_alu instid0(VALU_DEP_1) | instskip(NEXT) | instid1(VALU_DEP_1)
	v_and_b32_e32 v0, 0x700000, v0
	v_or3_b32 v0, v0, v1, v6
.LBB361_314:                            ;   in Loop: Header=BB361_10 Depth=1
	s_or_b32 exec_lo, exec_lo, s31
.LBB361_315:                            ;   in Loop: Header=BB361_10 Depth=1
	s_delay_alu instid0(SALU_CYCLE_1)
	s_or_b32 exec_lo, exec_lo, s30
.LBB361_316:                            ;   in Loop: Header=BB361_10 Depth=1
	s_delay_alu instid0(SALU_CYCLE_1) | instskip(SKIP_3) | instid1(VALU_DEP_2)
	s_or_b32 exec_lo, exec_lo, s29
	v_lshrrev_b16 v6, 8, v2
	v_dual_mov_b32 v28, 0 :: v_dual_mov_b32 v1, 0
	s_mov_b32 s29, exec_lo
	v_cmpx_ne_u16_e32 0, v6
	s_cbranch_execz .LBB361_324
; %bb.317:                              ;   in Loop: Header=BB361_10 Depth=1
	v_bfrev_b32_e32 v1, 1
	s_mov_b32 s30, exec_lo
	v_cmpx_ne_u16_e32 0x80, v6
	s_cbranch_execz .LBB361_323
; %bb.318:                              ;   in Loop: Header=BB361_10 Depth=1
	v_and_b32_e32 v7, 0xffff, v6
	v_mov_b32_e32 v1, 0x7f800001
	s_mov_b32 s31, exec_lo
	s_delay_alu instid0(VALU_DEP_2) | instskip(NEXT) | instid1(VALU_DEP_1)
	v_and_b32_e32 v6, 0x7f, v7
	v_cmpx_ne_u32_e32 0x7f, v6
	s_cbranch_execz .LBB361_322
; %bb.319:                              ;   in Loop: Header=BB361_10 Depth=1
	v_dual_lshrrev_b32 v1, 3, v6 :: v_dual_bitop2_b32 v26, 7, v7 bitop3:0x40
	s_mov_b32 s33, exec_lo
	v_cmpx_gt_u32_e32 8, v6
; %bb.320:                              ;   in Loop: Header=BB361_10 Depth=1
	s_delay_alu instid0(VALU_DEP_2) | instskip(NEXT) | instid1(VALU_DEP_1)
	v_clz_i32_u32_e32 v1, v26
	v_min_u32_e32 v1, 32, v1
	s_delay_alu instid0(VALU_DEP_1) | instskip(NEXT) | instid1(VALU_DEP_1)
	v_subrev_nc_u32_e32 v6, 28, v1
	v_lshlrev_b64_e32 v[6:7], v6, v[26:27]
	s_delay_alu instid0(VALU_DEP_1)
	v_dual_sub_nc_u32 v1, 29, v1 :: v_dual_bitop2_b32 v26, 7, v6 bitop3:0x40
; %bb.321:                              ;   in Loop: Header=BB361_10 Depth=1
	s_or_b32 exec_lo, exec_lo, s33
	v_lshlrev_b32_e32 v6, 16, v2
	s_delay_alu instid0(VALU_DEP_2) | instskip(NEXT) | instid1(VALU_DEP_3)
	v_lshlrev_b32_e32 v7, 20, v26
	v_lshl_add_u32 v1, v1, 23, 0x3c000000
	s_delay_alu instid0(VALU_DEP_3) | instskip(NEXT) | instid1(VALU_DEP_1)
	v_and_b32_e32 v6, 0x80000000, v6
	v_or3_b32 v1, v7, v6, v1
.LBB361_322:                            ;   in Loop: Header=BB361_10 Depth=1
	s_or_b32 exec_lo, exec_lo, s31
.LBB361_323:                            ;   in Loop: Header=BB361_10 Depth=1
	s_delay_alu instid0(SALU_CYCLE_1)
	s_or_b32 exec_lo, exec_lo, s30
.LBB361_324:                            ;   in Loop: Header=BB361_10 Depth=1
	s_delay_alu instid0(SALU_CYCLE_1) | instskip(SKIP_2) | instid1(VALU_DEP_1)
	s_or_b32 exec_lo, exec_lo, s29
	v_lshrrev_b32_e32 v6, 16, v2
	s_mov_b32 s29, exec_lo
	v_and_b32_e32 v7, 0xff, v6
	s_delay_alu instid0(VALU_DEP_1)
	v_cmpx_ne_u16_e32 0, v7
	s_cbranch_execz .LBB361_332
; %bb.325:                              ;   in Loop: Header=BB361_10 Depth=1
	v_bfrev_b32_e32 v28, 1
	s_mov_b32 s30, exec_lo
	v_cmpx_ne_u16_e32 0x80, v7
	s_cbranch_execz .LBB361_331
; %bb.326:                              ;   in Loop: Header=BB361_10 Depth=1
	v_bfe_u32 v8, v2, 16, 7
	v_mov_b32_e32 v28, 0x7f800001
	s_mov_b32 s31, exec_lo
	s_delay_alu instid0(VALU_DEP_2)
	v_cmpx_ne_u32_e32 0x7f, v8
	s_cbranch_execz .LBB361_330
; %bb.327:                              ;   in Loop: Header=BB361_10 Depth=1
	v_dual_lshrrev_b32 v7, 3, v8 :: v_dual_bitop2_b32 v26, 7, v6 bitop3:0x40
	s_mov_b32 s33, exec_lo
	v_cmpx_gt_u32_e32 8, v8
; %bb.328:                              ;   in Loop: Header=BB361_10 Depth=1
	s_delay_alu instid0(VALU_DEP_2) | instskip(NEXT) | instid1(VALU_DEP_1)
	v_clz_i32_u32_e32 v7, v26
	v_min_u32_e32 v7, 32, v7
	s_delay_alu instid0(VALU_DEP_1) | instskip(NEXT) | instid1(VALU_DEP_1)
	v_subrev_nc_u32_e32 v8, 28, v7
	v_lshlrev_b64_e32 v[8:9], v8, v[26:27]
	s_delay_alu instid0(VALU_DEP_1)
	v_dual_sub_nc_u32 v7, 29, v7 :: v_dual_bitop2_b32 v26, 7, v8 bitop3:0x40
; %bb.329:                              ;   in Loop: Header=BB361_10 Depth=1
	s_or_b32 exec_lo, exec_lo, s33
	v_lshlrev_b32_e32 v6, 24, v6
	s_delay_alu instid0(VALU_DEP_2) | instskip(NEXT) | instid1(VALU_DEP_3)
	v_lshlrev_b32_e32 v8, 20, v26
	v_lshl_add_u32 v7, v7, 23, 0x3c000000
	s_delay_alu instid0(VALU_DEP_3) | instskip(NEXT) | instid1(VALU_DEP_1)
	v_and_b32_e32 v6, 0x80000000, v6
	v_or3_b32 v28, v8, v6, v7
.LBB361_330:                            ;   in Loop: Header=BB361_10 Depth=1
	s_or_b32 exec_lo, exec_lo, s31
.LBB361_331:                            ;   in Loop: Header=BB361_10 Depth=1
	s_delay_alu instid0(SALU_CYCLE_1)
	s_or_b32 exec_lo, exec_lo, s30
.LBB361_332:                            ;   in Loop: Header=BB361_10 Depth=1
	s_delay_alu instid0(SALU_CYCLE_1)
	s_or_b32 exec_lo, exec_lo, s29
	v_dual_mov_b32 v30, 0 :: v_dual_mov_b32 v29, 0
	s_mov_b32 s29, exec_lo
	v_cmpx_lt_u32_e32 0xffffff, v2
	s_cbranch_execz .LBB361_340
; %bb.333:                              ;   in Loop: Header=BB361_10 Depth=1
	v_lshrrev_b32_e32 v6, 24, v2
	v_bfrev_b32_e32 v29, 1
	s_mov_b32 s30, exec_lo
	s_delay_alu instid0(VALU_DEP_2)
	v_cmpx_ne_u32_e32 0x80, v6
	s_cbranch_execz .LBB361_339
; %bb.334:                              ;   in Loop: Header=BB361_10 Depth=1
	v_bfe_u32 v8, v2, 24, 7
	v_mov_b32_e32 v29, 0x7f800001
	s_mov_b32 s31, exec_lo
	s_delay_alu instid0(VALU_DEP_2)
	v_cmpx_ne_u32_e32 0x7f, v8
	s_cbranch_execz .LBB361_338
; %bb.335:                              ;   in Loop: Header=BB361_10 Depth=1
	v_dual_lshrrev_b32 v7, 3, v8 :: v_dual_bitop2_b32 v26, 7, v6 bitop3:0x40
	s_mov_b32 s33, exec_lo
	v_cmpx_gt_u32_e32 8, v8
; %bb.336:                              ;   in Loop: Header=BB361_10 Depth=1
	s_delay_alu instid0(VALU_DEP_2) | instskip(NEXT) | instid1(VALU_DEP_1)
	v_clz_i32_u32_e32 v7, v26
	v_min_u32_e32 v7, 32, v7
	s_delay_alu instid0(VALU_DEP_1) | instskip(NEXT) | instid1(VALU_DEP_1)
	v_subrev_nc_u32_e32 v8, 28, v7
	v_lshlrev_b64_e32 v[8:9], v8, v[26:27]
	s_delay_alu instid0(VALU_DEP_1)
	v_dual_sub_nc_u32 v7, 29, v7 :: v_dual_bitop2_b32 v26, 7, v8 bitop3:0x40
; %bb.337:                              ;   in Loop: Header=BB361_10 Depth=1
	s_or_b32 exec_lo, exec_lo, s33
	v_lshlrev_b32_e32 v6, 24, v6
	s_delay_alu instid0(VALU_DEP_2) | instskip(NEXT) | instid1(VALU_DEP_3)
	v_lshlrev_b32_e32 v8, 20, v26
	v_lshl_add_u32 v7, v7, 23, 0x3c000000
	s_delay_alu instid0(VALU_DEP_3) | instskip(NEXT) | instid1(VALU_DEP_1)
	v_and_b32_e32 v6, 0x80000000, v6
	v_or3_b32 v29, v8, v6, v7
.LBB361_338:                            ;   in Loop: Header=BB361_10 Depth=1
	s_or_b32 exec_lo, exec_lo, s31
.LBB361_339:                            ;   in Loop: Header=BB361_10 Depth=1
	s_delay_alu instid0(SALU_CYCLE_1)
	s_or_b32 exec_lo, exec_lo, s30
.LBB361_340:                            ;   in Loop: Header=BB361_10 Depth=1
	s_delay_alu instid0(SALU_CYCLE_1) | instskip(SKIP_3) | instid1(VALU_DEP_2)
	s_or_b32 exec_lo, exec_lo, s29
	v_and_b32_e32 v6, 0xff, v3
	v_mov_b32_e32 v26, v3
	s_mov_b32 s29, exec_lo
	v_cmpx_ne_u16_e32 0, v6
	s_cbranch_execz .LBB361_346
; %bb.341:                              ;   in Loop: Header=BB361_10 Depth=1
	v_bfrev_b32_e32 v30, 1
	s_mov_b32 s30, exec_lo
	v_cmpx_ne_u16_e32 0x80, v6
	s_cbranch_execz .LBB361_345
; %bb.342:                              ;   in Loop: Header=BB361_10 Depth=1
	v_and_b32_e32 v6, 0x7f, v3
	v_mov_b32_e32 v30, 0x7f800001
	s_mov_b32 s31, exec_lo
	s_delay_alu instid0(VALU_DEP_2)
	v_cmpx_ne_u32_e32 0x7f, v6
	s_cbranch_execz .LBB361_344
; %bb.343:                              ;   in Loop: Header=BB361_10 Depth=1
	v_dual_lshrrev_b32 v8, 3, v6 :: v_dual_bitop2_b32 v7, 7, v3 bitop3:0x40
	v_cmp_gt_u32_e64 s3, 8, v6
	s_delay_alu instid0(VALU_DEP_2) | instskip(NEXT) | instid1(VALU_DEP_1)
	v_clz_i32_u32_e32 v6, v7
	v_min_u32_e32 v6, 32, v6
	s_delay_alu instid0(VALU_DEP_1) | instskip(SKIP_1) | instid1(VALU_DEP_1)
	v_subrev_nc_u32_e32 v7, 28, v6
	v_sub_nc_u32_e32 v6, 29, v6
	v_dual_cndmask_b32 v8, v8, v6, s3 :: v_dual_cndmask_b32 v6, 0, v7, s3
	s_delay_alu instid0(VALU_DEP_1) | instskip(NEXT) | instid1(VALU_DEP_2)
	v_lshl_add_u32 v8, v8, 23, 0x3c000000
	v_lshlrev_b64_e32 v[6:7], v6, v[26:27]
	v_lshlrev_b32_e32 v7, 24, v26
	s_delay_alu instid0(VALU_DEP_1) | instskip(NEXT) | instid1(VALU_DEP_3)
	v_and_b32_e32 v7, 0x80000000, v7
	v_lshlrev_b32_e32 v6, 20, v6
	s_delay_alu instid0(VALU_DEP_1) | instskip(NEXT) | instid1(VALU_DEP_1)
	v_and_b32_e32 v6, 0x700000, v6
	v_or3_b32 v30, v6, v7, v8
.LBB361_344:                            ;   in Loop: Header=BB361_10 Depth=1
	s_or_b32 exec_lo, exec_lo, s31
.LBB361_345:                            ;   in Loop: Header=BB361_10 Depth=1
	s_delay_alu instid0(SALU_CYCLE_1)
	s_or_b32 exec_lo, exec_lo, s30
.LBB361_346:                            ;   in Loop: Header=BB361_10 Depth=1
	s_delay_alu instid0(SALU_CYCLE_1) | instskip(SKIP_3) | instid1(VALU_DEP_2)
	s_or_b32 exec_lo, exec_lo, s29
	v_lshrrev_b16 v6, 8, v26
	v_dual_mov_b32 v32, 0 :: v_dual_mov_b32 v31, 0
	s_mov_b32 s29, exec_lo
	v_cmpx_ne_u16_e32 0, v6
	s_cbranch_execz .LBB361_354
; %bb.347:                              ;   in Loop: Header=BB361_10 Depth=1
	v_bfrev_b32_e32 v31, 1
	s_mov_b32 s30, exec_lo
	v_cmpx_ne_u16_e32 0x80, v6
	s_cbranch_execz .LBB361_353
; %bb.348:                              ;   in Loop: Header=BB361_10 Depth=1
	v_and_b32_e32 v6, 0xffff, v6
	v_mov_b32_e32 v31, 0x7f800001
	s_mov_b32 s31, exec_lo
	s_delay_alu instid0(VALU_DEP_2) | instskip(NEXT) | instid1(VALU_DEP_1)
	v_and_b32_e32 v9, 0x7f, v6
	v_cmpx_ne_u32_e32 0x7f, v9
	s_cbranch_execz .LBB361_352
; %bb.349:                              ;   in Loop: Header=BB361_10 Depth=1
	v_dual_mov_b32 v7, v27 :: v_dual_bitop2_b32 v6, 7, v6 bitop3:0x40
	v_lshrrev_b32_e32 v8, 3, v9
	s_mov_b32 s33, exec_lo
	v_cmpx_gt_u32_e32 8, v9
; %bb.350:                              ;   in Loop: Header=BB361_10 Depth=1
	s_delay_alu instid0(VALU_DEP_3) | instskip(NEXT) | instid1(VALU_DEP_1)
	v_clz_i32_u32_e32 v8, v6
	v_min_u32_e32 v8, 32, v8
	s_delay_alu instid0(VALU_DEP_1) | instskip(NEXT) | instid1(VALU_DEP_1)
	v_subrev_nc_u32_e32 v9, 28, v8
	v_lshlrev_b64_e32 v[6:7], v9, v[6:7]
	s_delay_alu instid0(VALU_DEP_1)
	v_dual_sub_nc_u32 v8, 29, v8 :: v_dual_bitop2_b32 v6, 7, v6 bitop3:0x40
; %bb.351:                              ;   in Loop: Header=BB361_10 Depth=1
	s_or_b32 exec_lo, exec_lo, s33
	v_lshlrev_b32_e32 v7, 16, v26
	s_delay_alu instid0(VALU_DEP_2) | instskip(NEXT) | instid1(VALU_DEP_3)
	v_lshlrev_b32_e32 v6, 20, v6
	v_lshl_add_u32 v8, v8, 23, 0x3c000000
	s_delay_alu instid0(VALU_DEP_3) | instskip(NEXT) | instid1(VALU_DEP_1)
	v_and_b32_e32 v7, 0x80000000, v7
	v_or3_b32 v31, v6, v7, v8
.LBB361_352:                            ;   in Loop: Header=BB361_10 Depth=1
	s_or_b32 exec_lo, exec_lo, s31
.LBB361_353:                            ;   in Loop: Header=BB361_10 Depth=1
	s_delay_alu instid0(SALU_CYCLE_1)
	s_or_b32 exec_lo, exec_lo, s30
.LBB361_354:                            ;   in Loop: Header=BB361_10 Depth=1
	s_delay_alu instid0(SALU_CYCLE_1) | instskip(SKIP_2) | instid1(VALU_DEP_1)
	s_or_b32 exec_lo, exec_lo, s29
	v_lshrrev_b32_e32 v6, 16, v3
	s_mov_b32 s29, exec_lo
	v_and_b32_e32 v7, 0xff, v6
	s_delay_alu instid0(VALU_DEP_1)
	v_cmpx_ne_u16_e32 0, v7
	s_cbranch_execz .LBB361_362
; %bb.355:                              ;   in Loop: Header=BB361_10 Depth=1
	v_bfrev_b32_e32 v32, 1
	s_mov_b32 s30, exec_lo
	v_cmpx_ne_u16_e32 0x80, v7
	s_cbranch_execz .LBB361_361
; %bb.356:                              ;   in Loop: Header=BB361_10 Depth=1
	v_bfe_u32 v8, v3, 16, 7
	v_mov_b32_e32 v32, 0x7f800001
	s_mov_b32 s31, exec_lo
	s_delay_alu instid0(VALU_DEP_2)
	v_cmpx_ne_u32_e32 0x7f, v8
	s_cbranch_execz .LBB361_360
; %bb.357:                              ;   in Loop: Header=BB361_10 Depth=1
	v_dual_lshrrev_b32 v7, 3, v8 :: v_dual_bitop2_b32 v26, 7, v6 bitop3:0x40
	s_mov_b32 s33, exec_lo
	v_cmpx_gt_u32_e32 8, v8
; %bb.358:                              ;   in Loop: Header=BB361_10 Depth=1
	s_delay_alu instid0(VALU_DEP_2) | instskip(NEXT) | instid1(VALU_DEP_1)
	v_clz_i32_u32_e32 v7, v26
	v_min_u32_e32 v7, 32, v7
	s_delay_alu instid0(VALU_DEP_1) | instskip(NEXT) | instid1(VALU_DEP_1)
	v_subrev_nc_u32_e32 v8, 28, v7
	v_lshlrev_b64_e32 v[8:9], v8, v[26:27]
	s_delay_alu instid0(VALU_DEP_1)
	v_dual_sub_nc_u32 v7, 29, v7 :: v_dual_bitop2_b32 v26, 7, v8 bitop3:0x40
; %bb.359:                              ;   in Loop: Header=BB361_10 Depth=1
	s_or_b32 exec_lo, exec_lo, s33
	v_lshlrev_b32_e32 v6, 24, v6
	s_delay_alu instid0(VALU_DEP_2) | instskip(NEXT) | instid1(VALU_DEP_3)
	v_lshlrev_b32_e32 v8, 20, v26
	v_lshl_add_u32 v7, v7, 23, 0x3c000000
	s_delay_alu instid0(VALU_DEP_3) | instskip(NEXT) | instid1(VALU_DEP_1)
	v_and_b32_e32 v6, 0x80000000, v6
	v_or3_b32 v32, v8, v6, v7
.LBB361_360:                            ;   in Loop: Header=BB361_10 Depth=1
	s_or_b32 exec_lo, exec_lo, s31
.LBB361_361:                            ;   in Loop: Header=BB361_10 Depth=1
	s_delay_alu instid0(SALU_CYCLE_1)
	s_or_b32 exec_lo, exec_lo, s30
.LBB361_362:                            ;   in Loop: Header=BB361_10 Depth=1
	s_delay_alu instid0(SALU_CYCLE_1)
	s_or_b32 exec_lo, exec_lo, s29
	v_dual_mov_b32 v34, 0 :: v_dual_mov_b32 v33, 0
	s_mov_b32 s29, exec_lo
	v_cmpx_lt_u64_e64 s[20:21], v[2:3]
	s_cbranch_execz .LBB361_370
; %bb.363:                              ;   in Loop: Header=BB361_10 Depth=1
	v_lshrrev_b32_e32 v2, 24, v3
	v_bfrev_b32_e32 v33, 1
	s_mov_b32 s30, exec_lo
	s_delay_alu instid0(VALU_DEP_2)
	v_cmpx_ne_u32_e32 0x80, v2
	s_cbranch_execz .LBB361_369
; %bb.364:                              ;   in Loop: Header=BB361_10 Depth=1
	v_bfe_u32 v6, v3, 24, 7
	v_mov_b32_e32 v33, 0x7f800001
	s_mov_b32 s31, exec_lo
	s_delay_alu instid0(VALU_DEP_2)
	v_cmpx_ne_u32_e32 0x7f, v6
	s_cbranch_execz .LBB361_368
; %bb.365:                              ;   in Loop: Header=BB361_10 Depth=1
	v_and_b32_e32 v26, 7, v2
	v_lshrrev_b32_e32 v3, 3, v6
	s_mov_b32 s33, exec_lo
	v_cmpx_gt_u32_e32 8, v6
; %bb.366:                              ;   in Loop: Header=BB361_10 Depth=1
	s_delay_alu instid0(VALU_DEP_3) | instskip(NEXT) | instid1(VALU_DEP_1)
	v_clz_i32_u32_e32 v3, v26
	v_min_u32_e32 v3, 32, v3
	s_delay_alu instid0(VALU_DEP_1) | instskip(NEXT) | instid1(VALU_DEP_1)
	v_subrev_nc_u32_e32 v6, 28, v3
	v_lshlrev_b64_e32 v[6:7], v6, v[26:27]
	s_delay_alu instid0(VALU_DEP_1)
	v_dual_sub_nc_u32 v3, 29, v3 :: v_dual_bitop2_b32 v26, 7, v6 bitop3:0x40
; %bb.367:                              ;   in Loop: Header=BB361_10 Depth=1
	s_or_b32 exec_lo, exec_lo, s33
	v_lshlrev_b32_e32 v2, 24, v2
	s_delay_alu instid0(VALU_DEP_2) | instskip(NEXT) | instid1(VALU_DEP_3)
	v_lshlrev_b32_e32 v6, 20, v26
	v_lshl_add_u32 v3, v3, 23, 0x3c000000
	s_delay_alu instid0(VALU_DEP_3) | instskip(NEXT) | instid1(VALU_DEP_1)
	v_and_b32_e32 v2, 0x80000000, v2
	v_or3_b32 v33, v6, v2, v3
.LBB361_368:                            ;   in Loop: Header=BB361_10 Depth=1
	s_or_b32 exec_lo, exec_lo, s31
.LBB361_369:                            ;   in Loop: Header=BB361_10 Depth=1
	s_delay_alu instid0(SALU_CYCLE_1)
	s_or_b32 exec_lo, exec_lo, s30
.LBB361_370:                            ;   in Loop: Header=BB361_10 Depth=1
	s_delay_alu instid0(SALU_CYCLE_1)
	s_or_b32 exec_lo, exec_lo, s29
	global_load_b64 v[2:3], v[100:101], off offset:1536
	s_mov_b32 s29, exec_lo
	s_wait_loadcnt 0x0
	v_and_b32_e32 v6, 0xff, v2
	s_wait_xcnt 0x0
	s_delay_alu instid0(VALU_DEP_1)
	v_cmpx_ne_u16_e32 0, v6
	s_cbranch_execz .LBB361_376
; %bb.371:                              ;   in Loop: Header=BB361_10 Depth=1
	v_bfrev_b32_e32 v34, 1
	s_mov_b32 s30, exec_lo
	v_cmpx_ne_u16_e32 0x80, v6
	s_cbranch_execz .LBB361_375
; %bb.372:                              ;   in Loop: Header=BB361_10 Depth=1
	v_and_b32_e32 v6, 0x7f, v2
	v_mov_b32_e32 v34, 0x7f800001
	s_mov_b32 s31, exec_lo
	s_delay_alu instid0(VALU_DEP_2)
	v_cmpx_ne_u32_e32 0x7f, v6
	s_cbranch_execz .LBB361_374
; %bb.373:                              ;   in Loop: Header=BB361_10 Depth=1
	v_and_b32_e32 v7, 7, v2
	v_lshrrev_b32_e32 v8, 3, v6
	v_cmp_gt_u32_e64 s3, 8, v6
	s_delay_alu instid0(VALU_DEP_3) | instskip(NEXT) | instid1(VALU_DEP_1)
	v_clz_i32_u32_e32 v6, v7
	v_min_u32_e32 v6, 32, v6
	s_delay_alu instid0(VALU_DEP_1) | instskip(SKIP_1) | instid1(VALU_DEP_1)
	v_subrev_nc_u32_e32 v7, 28, v6
	v_sub_nc_u32_e32 v6, 29, v6
	v_dual_cndmask_b32 v8, v8, v6, s3 :: v_dual_cndmask_b32 v6, 0, v7, s3
	s_delay_alu instid0(VALU_DEP_1) | instskip(NEXT) | instid1(VALU_DEP_2)
	v_lshl_add_u32 v8, v8, 23, 0x3c000000
	v_lshlrev_b64_e32 v[6:7], v6, v[2:3]
	v_lshlrev_b32_e32 v7, 24, v2
	s_delay_alu instid0(VALU_DEP_1) | instskip(NEXT) | instid1(VALU_DEP_3)
	v_and_b32_e32 v7, 0x80000000, v7
	v_lshlrev_b32_e32 v6, 20, v6
	s_delay_alu instid0(VALU_DEP_1) | instskip(NEXT) | instid1(VALU_DEP_1)
	v_and_b32_e32 v6, 0x700000, v6
	v_or3_b32 v34, v6, v7, v8
.LBB361_374:                            ;   in Loop: Header=BB361_10 Depth=1
	s_or_b32 exec_lo, exec_lo, s31
.LBB361_375:                            ;   in Loop: Header=BB361_10 Depth=1
	s_delay_alu instid0(SALU_CYCLE_1)
	s_or_b32 exec_lo, exec_lo, s30
.LBB361_376:                            ;   in Loop: Header=BB361_10 Depth=1
	s_delay_alu instid0(SALU_CYCLE_1) | instskip(SKIP_3) | instid1(VALU_DEP_2)
	s_or_b32 exec_lo, exec_lo, s29
	v_lshrrev_b16 v6, 8, v2
	v_dual_mov_b32 v36, 0 :: v_dual_mov_b32 v35, 0
	s_mov_b32 s29, exec_lo
	v_cmpx_ne_u16_e32 0, v6
	s_cbranch_execz .LBB361_384
; %bb.377:                              ;   in Loop: Header=BB361_10 Depth=1
	v_bfrev_b32_e32 v35, 1
	s_mov_b32 s30, exec_lo
	v_cmpx_ne_u16_e32 0x80, v6
	s_cbranch_execz .LBB361_383
; %bb.378:                              ;   in Loop: Header=BB361_10 Depth=1
	v_and_b32_e32 v6, 0xffff, v6
	v_mov_b32_e32 v35, 0x7f800001
	s_mov_b32 s31, exec_lo
	s_delay_alu instid0(VALU_DEP_2) | instskip(NEXT) | instid1(VALU_DEP_1)
	v_and_b32_e32 v7, 0x7f, v6
	v_cmpx_ne_u32_e32 0x7f, v7
	s_cbranch_execz .LBB361_382
; %bb.379:                              ;   in Loop: Header=BB361_10 Depth=1
	v_dual_lshrrev_b32 v6, 3, v7 :: v_dual_bitop2_b32 v26, 7, v6 bitop3:0x40
	s_mov_b32 s33, exec_lo
	v_cmpx_gt_u32_e32 8, v7
; %bb.380:                              ;   in Loop: Header=BB361_10 Depth=1
	s_delay_alu instid0(VALU_DEP_2) | instskip(NEXT) | instid1(VALU_DEP_1)
	v_clz_i32_u32_e32 v6, v26
	v_min_u32_e32 v6, 32, v6
	s_delay_alu instid0(VALU_DEP_1) | instskip(NEXT) | instid1(VALU_DEP_1)
	v_subrev_nc_u32_e32 v7, 28, v6
	v_lshlrev_b64_e32 v[8:9], v7, v[26:27]
	s_delay_alu instid0(VALU_DEP_1)
	v_dual_sub_nc_u32 v6, 29, v6 :: v_dual_bitop2_b32 v26, 7, v8 bitop3:0x40
; %bb.381:                              ;   in Loop: Header=BB361_10 Depth=1
	s_or_b32 exec_lo, exec_lo, s33
	v_lshlrev_b32_e32 v7, 16, v2
	s_delay_alu instid0(VALU_DEP_2) | instskip(NEXT) | instid1(VALU_DEP_3)
	v_lshlrev_b32_e32 v8, 20, v26
	v_lshl_add_u32 v6, v6, 23, 0x3c000000
	s_delay_alu instid0(VALU_DEP_3) | instskip(NEXT) | instid1(VALU_DEP_1)
	v_and_b32_e32 v7, 0x80000000, v7
	v_or3_b32 v35, v8, v7, v6
.LBB361_382:                            ;   in Loop: Header=BB361_10 Depth=1
	s_or_b32 exec_lo, exec_lo, s31
.LBB361_383:                            ;   in Loop: Header=BB361_10 Depth=1
	s_delay_alu instid0(SALU_CYCLE_1)
	s_or_b32 exec_lo, exec_lo, s30
.LBB361_384:                            ;   in Loop: Header=BB361_10 Depth=1
	s_delay_alu instid0(SALU_CYCLE_1) | instskip(SKIP_2) | instid1(VALU_DEP_1)
	s_or_b32 exec_lo, exec_lo, s29
	v_lshrrev_b32_e32 v6, 16, v2
	s_mov_b32 s29, exec_lo
	v_and_b32_e32 v7, 0xff, v6
	s_delay_alu instid0(VALU_DEP_1)
	v_cmpx_ne_u16_e32 0, v7
	s_cbranch_execz .LBB361_392
; %bb.385:                              ;   in Loop: Header=BB361_10 Depth=1
	v_bfrev_b32_e32 v36, 1
	s_mov_b32 s30, exec_lo
	v_cmpx_ne_u16_e32 0x80, v7
	s_cbranch_execz .LBB361_391
; %bb.386:                              ;   in Loop: Header=BB361_10 Depth=1
	v_bfe_u32 v8, v2, 16, 7
	v_mov_b32_e32 v36, 0x7f800001
	s_mov_b32 s31, exec_lo
	s_delay_alu instid0(VALU_DEP_2)
	v_cmpx_ne_u32_e32 0x7f, v8
	s_cbranch_execz .LBB361_390
; %bb.387:                              ;   in Loop: Header=BB361_10 Depth=1
	v_dual_lshrrev_b32 v7, 3, v8 :: v_dual_bitop2_b32 v26, 7, v6 bitop3:0x40
	s_mov_b32 s33, exec_lo
	v_cmpx_gt_u32_e32 8, v8
; %bb.388:                              ;   in Loop: Header=BB361_10 Depth=1
	s_delay_alu instid0(VALU_DEP_2) | instskip(NEXT) | instid1(VALU_DEP_1)
	v_clz_i32_u32_e32 v7, v26
	v_min_u32_e32 v7, 32, v7
	s_delay_alu instid0(VALU_DEP_1) | instskip(NEXT) | instid1(VALU_DEP_1)
	v_subrev_nc_u32_e32 v8, 28, v7
	v_lshlrev_b64_e32 v[8:9], v8, v[26:27]
	s_delay_alu instid0(VALU_DEP_1)
	v_dual_sub_nc_u32 v7, 29, v7 :: v_dual_bitop2_b32 v26, 7, v8 bitop3:0x40
; %bb.389:                              ;   in Loop: Header=BB361_10 Depth=1
	s_or_b32 exec_lo, exec_lo, s33
	v_lshlrev_b32_e32 v6, 24, v6
	s_delay_alu instid0(VALU_DEP_2) | instskip(NEXT) | instid1(VALU_DEP_3)
	v_lshlrev_b32_e32 v8, 20, v26
	v_lshl_add_u32 v7, v7, 23, 0x3c000000
	s_delay_alu instid0(VALU_DEP_3) | instskip(NEXT) | instid1(VALU_DEP_1)
	v_and_b32_e32 v6, 0x80000000, v6
	v_or3_b32 v36, v8, v6, v7
.LBB361_390:                            ;   in Loop: Header=BB361_10 Depth=1
	s_or_b32 exec_lo, exec_lo, s31
.LBB361_391:                            ;   in Loop: Header=BB361_10 Depth=1
	s_delay_alu instid0(SALU_CYCLE_1)
	s_or_b32 exec_lo, exec_lo, s30
.LBB361_392:                            ;   in Loop: Header=BB361_10 Depth=1
	s_delay_alu instid0(SALU_CYCLE_1)
	s_or_b32 exec_lo, exec_lo, s29
	v_dual_mov_b32 v38, 0 :: v_dual_mov_b32 v37, 0
	s_mov_b32 s29, exec_lo
	v_cmpx_lt_u32_e32 0xffffff, v2
	s_cbranch_execz .LBB361_400
; %bb.393:                              ;   in Loop: Header=BB361_10 Depth=1
	v_lshrrev_b32_e32 v6, 24, v2
	v_bfrev_b32_e32 v37, 1
	s_mov_b32 s30, exec_lo
	s_delay_alu instid0(VALU_DEP_2)
	v_cmpx_ne_u32_e32 0x80, v6
	s_cbranch_execz .LBB361_399
; %bb.394:                              ;   in Loop: Header=BB361_10 Depth=1
	v_bfe_u32 v8, v2, 24, 7
	v_mov_b32_e32 v37, 0x7f800001
	s_mov_b32 s31, exec_lo
	s_delay_alu instid0(VALU_DEP_2)
	v_cmpx_ne_u32_e32 0x7f, v8
	s_cbranch_execz .LBB361_398
; %bb.395:                              ;   in Loop: Header=BB361_10 Depth=1
	v_dual_lshrrev_b32 v7, 3, v8 :: v_dual_bitop2_b32 v26, 7, v6 bitop3:0x40
	s_mov_b32 s33, exec_lo
	v_cmpx_gt_u32_e32 8, v8
; %bb.396:                              ;   in Loop: Header=BB361_10 Depth=1
	s_delay_alu instid0(VALU_DEP_2) | instskip(NEXT) | instid1(VALU_DEP_1)
	v_clz_i32_u32_e32 v7, v26
	v_min_u32_e32 v7, 32, v7
	s_delay_alu instid0(VALU_DEP_1) | instskip(NEXT) | instid1(VALU_DEP_1)
	v_subrev_nc_u32_e32 v8, 28, v7
	v_lshlrev_b64_e32 v[8:9], v8, v[26:27]
	s_delay_alu instid0(VALU_DEP_1)
	v_dual_sub_nc_u32 v7, 29, v7 :: v_dual_bitop2_b32 v26, 7, v8 bitop3:0x40
; %bb.397:                              ;   in Loop: Header=BB361_10 Depth=1
	s_or_b32 exec_lo, exec_lo, s33
	v_lshlrev_b32_e32 v6, 24, v6
	s_delay_alu instid0(VALU_DEP_2) | instskip(NEXT) | instid1(VALU_DEP_3)
	v_lshlrev_b32_e32 v8, 20, v26
	v_lshl_add_u32 v7, v7, 23, 0x3c000000
	s_delay_alu instid0(VALU_DEP_3) | instskip(NEXT) | instid1(VALU_DEP_1)
	v_and_b32_e32 v6, 0x80000000, v6
	v_or3_b32 v37, v8, v6, v7
.LBB361_398:                            ;   in Loop: Header=BB361_10 Depth=1
	s_or_b32 exec_lo, exec_lo, s31
.LBB361_399:                            ;   in Loop: Header=BB361_10 Depth=1
	s_delay_alu instid0(SALU_CYCLE_1)
	s_or_b32 exec_lo, exec_lo, s30
.LBB361_400:                            ;   in Loop: Header=BB361_10 Depth=1
	s_delay_alu instid0(SALU_CYCLE_1) | instskip(SKIP_3) | instid1(VALU_DEP_2)
	s_or_b32 exec_lo, exec_lo, s29
	v_and_b32_e32 v6, 0xff, v3
	v_mov_b32_e32 v26, v3
	s_mov_b32 s29, exec_lo
	v_cmpx_ne_u16_e32 0, v6
	s_cbranch_execz .LBB361_406
; %bb.401:                              ;   in Loop: Header=BB361_10 Depth=1
	v_bfrev_b32_e32 v38, 1
	s_mov_b32 s30, exec_lo
	v_cmpx_ne_u16_e32 0x80, v6
	s_cbranch_execz .LBB361_405
; %bb.402:                              ;   in Loop: Header=BB361_10 Depth=1
	v_and_b32_e32 v6, 0x7f, v3
	v_mov_b32_e32 v38, 0x7f800001
	s_mov_b32 s31, exec_lo
	s_delay_alu instid0(VALU_DEP_2)
	v_cmpx_ne_u32_e32 0x7f, v6
	s_cbranch_execz .LBB361_404
; %bb.403:                              ;   in Loop: Header=BB361_10 Depth=1
	v_dual_lshrrev_b32 v8, 3, v6 :: v_dual_bitop2_b32 v7, 7, v3 bitop3:0x40
	v_cmp_gt_u32_e64 s3, 8, v6
	s_delay_alu instid0(VALU_DEP_2) | instskip(NEXT) | instid1(VALU_DEP_1)
	v_clz_i32_u32_e32 v6, v7
	v_min_u32_e32 v6, 32, v6
	s_delay_alu instid0(VALU_DEP_1) | instskip(SKIP_1) | instid1(VALU_DEP_1)
	v_subrev_nc_u32_e32 v7, 28, v6
	v_sub_nc_u32_e32 v6, 29, v6
	v_dual_cndmask_b32 v8, v8, v6, s3 :: v_dual_cndmask_b32 v6, 0, v7, s3
	s_delay_alu instid0(VALU_DEP_1) | instskip(NEXT) | instid1(VALU_DEP_2)
	v_lshl_add_u32 v8, v8, 23, 0x3c000000
	v_lshlrev_b64_e32 v[6:7], v6, v[26:27]
	v_lshlrev_b32_e32 v7, 24, v26
	s_delay_alu instid0(VALU_DEP_1) | instskip(NEXT) | instid1(VALU_DEP_3)
	v_and_b32_e32 v7, 0x80000000, v7
	v_lshlrev_b32_e32 v6, 20, v6
	s_delay_alu instid0(VALU_DEP_1) | instskip(NEXT) | instid1(VALU_DEP_1)
	v_and_b32_e32 v6, 0x700000, v6
	v_or3_b32 v38, v6, v7, v8
.LBB361_404:                            ;   in Loop: Header=BB361_10 Depth=1
	s_or_b32 exec_lo, exec_lo, s31
.LBB361_405:                            ;   in Loop: Header=BB361_10 Depth=1
	s_delay_alu instid0(SALU_CYCLE_1)
	s_or_b32 exec_lo, exec_lo, s30
.LBB361_406:                            ;   in Loop: Header=BB361_10 Depth=1
	s_delay_alu instid0(SALU_CYCLE_1) | instskip(SKIP_3) | instid1(VALU_DEP_2)
	s_or_b32 exec_lo, exec_lo, s29
	v_lshrrev_b16 v6, 8, v26
	v_dual_mov_b32 v40, 0 :: v_dual_mov_b32 v39, 0
	s_mov_b32 s29, exec_lo
	v_cmpx_ne_u16_e32 0, v6
	s_cbranch_execz .LBB361_414
; %bb.407:                              ;   in Loop: Header=BB361_10 Depth=1
	v_bfrev_b32_e32 v39, 1
	s_mov_b32 s30, exec_lo
	v_cmpx_ne_u16_e32 0x80, v6
	s_cbranch_execz .LBB361_413
; %bb.408:                              ;   in Loop: Header=BB361_10 Depth=1
	v_and_b32_e32 v6, 0xffff, v6
	v_mov_b32_e32 v39, 0x7f800001
	s_mov_b32 s31, exec_lo
	s_delay_alu instid0(VALU_DEP_2) | instskip(NEXT) | instid1(VALU_DEP_1)
	v_and_b32_e32 v9, 0x7f, v6
	v_cmpx_ne_u32_e32 0x7f, v9
	s_cbranch_execz .LBB361_412
; %bb.409:                              ;   in Loop: Header=BB361_10 Depth=1
	v_dual_mov_b32 v7, v27 :: v_dual_bitop2_b32 v6, 7, v6 bitop3:0x40
	v_lshrrev_b32_e32 v8, 3, v9
	s_mov_b32 s33, exec_lo
	v_cmpx_gt_u32_e32 8, v9
; %bb.410:                              ;   in Loop: Header=BB361_10 Depth=1
	s_delay_alu instid0(VALU_DEP_3) | instskip(NEXT) | instid1(VALU_DEP_1)
	v_clz_i32_u32_e32 v8, v6
	v_min_u32_e32 v8, 32, v8
	s_delay_alu instid0(VALU_DEP_1) | instskip(NEXT) | instid1(VALU_DEP_1)
	v_subrev_nc_u32_e32 v9, 28, v8
	v_lshlrev_b64_e32 v[6:7], v9, v[6:7]
	s_delay_alu instid0(VALU_DEP_1)
	v_dual_sub_nc_u32 v8, 29, v8 :: v_dual_bitop2_b32 v6, 7, v6 bitop3:0x40
; %bb.411:                              ;   in Loop: Header=BB361_10 Depth=1
	s_or_b32 exec_lo, exec_lo, s33
	v_lshlrev_b32_e32 v7, 16, v26
	s_delay_alu instid0(VALU_DEP_2) | instskip(NEXT) | instid1(VALU_DEP_3)
	v_lshlrev_b32_e32 v6, 20, v6
	v_lshl_add_u32 v8, v8, 23, 0x3c000000
	s_delay_alu instid0(VALU_DEP_3) | instskip(NEXT) | instid1(VALU_DEP_1)
	v_and_b32_e32 v7, 0x80000000, v7
	v_or3_b32 v39, v6, v7, v8
.LBB361_412:                            ;   in Loop: Header=BB361_10 Depth=1
	s_or_b32 exec_lo, exec_lo, s31
.LBB361_413:                            ;   in Loop: Header=BB361_10 Depth=1
	s_delay_alu instid0(SALU_CYCLE_1)
	s_or_b32 exec_lo, exec_lo, s30
.LBB361_414:                            ;   in Loop: Header=BB361_10 Depth=1
	s_delay_alu instid0(SALU_CYCLE_1) | instskip(SKIP_2) | instid1(VALU_DEP_1)
	s_or_b32 exec_lo, exec_lo, s29
	v_lshrrev_b32_e32 v6, 16, v3
	s_mov_b32 s29, exec_lo
	v_and_b32_e32 v7, 0xff, v6
	s_delay_alu instid0(VALU_DEP_1)
	v_cmpx_ne_u16_e32 0, v7
	s_cbranch_execz .LBB361_422
; %bb.415:                              ;   in Loop: Header=BB361_10 Depth=1
	v_bfrev_b32_e32 v40, 1
	s_mov_b32 s30, exec_lo
	v_cmpx_ne_u16_e32 0x80, v7
	s_cbranch_execz .LBB361_421
; %bb.416:                              ;   in Loop: Header=BB361_10 Depth=1
	v_bfe_u32 v8, v3, 16, 7
	v_mov_b32_e32 v40, 0x7f800001
	s_mov_b32 s31, exec_lo
	s_delay_alu instid0(VALU_DEP_2)
	v_cmpx_ne_u32_e32 0x7f, v8
	s_cbranch_execz .LBB361_420
; %bb.417:                              ;   in Loop: Header=BB361_10 Depth=1
	v_dual_lshrrev_b32 v7, 3, v8 :: v_dual_bitop2_b32 v26, 7, v6 bitop3:0x40
	s_mov_b32 s33, exec_lo
	v_cmpx_gt_u32_e32 8, v8
; %bb.418:                              ;   in Loop: Header=BB361_10 Depth=1
	s_delay_alu instid0(VALU_DEP_2) | instskip(NEXT) | instid1(VALU_DEP_1)
	v_clz_i32_u32_e32 v7, v26
	v_min_u32_e32 v7, 32, v7
	s_delay_alu instid0(VALU_DEP_1) | instskip(NEXT) | instid1(VALU_DEP_1)
	v_subrev_nc_u32_e32 v8, 28, v7
	v_lshlrev_b64_e32 v[8:9], v8, v[26:27]
	s_delay_alu instid0(VALU_DEP_1)
	v_dual_sub_nc_u32 v7, 29, v7 :: v_dual_bitop2_b32 v26, 7, v8 bitop3:0x40
; %bb.419:                              ;   in Loop: Header=BB361_10 Depth=1
	s_or_b32 exec_lo, exec_lo, s33
	v_lshlrev_b32_e32 v6, 24, v6
	s_delay_alu instid0(VALU_DEP_2) | instskip(NEXT) | instid1(VALU_DEP_3)
	v_lshlrev_b32_e32 v8, 20, v26
	v_lshl_add_u32 v7, v7, 23, 0x3c000000
	s_delay_alu instid0(VALU_DEP_3) | instskip(NEXT) | instid1(VALU_DEP_1)
	v_and_b32_e32 v6, 0x80000000, v6
	v_or3_b32 v40, v8, v6, v7
.LBB361_420:                            ;   in Loop: Header=BB361_10 Depth=1
	s_or_b32 exec_lo, exec_lo, s31
.LBB361_421:                            ;   in Loop: Header=BB361_10 Depth=1
	s_delay_alu instid0(SALU_CYCLE_1)
	s_or_b32 exec_lo, exec_lo, s30
.LBB361_422:                            ;   in Loop: Header=BB361_10 Depth=1
	s_delay_alu instid0(SALU_CYCLE_1)
	s_or_b32 exec_lo, exec_lo, s29
	v_dual_mov_b32 v22, 0 :: v_dual_mov_b32 v41, 0
	s_mov_b32 s29, exec_lo
	v_cmpx_lt_u64_e64 s[20:21], v[2:3]
	s_cbranch_execz .LBB361_430
; %bb.423:                              ;   in Loop: Header=BB361_10 Depth=1
	v_lshrrev_b32_e32 v2, 24, v3
	v_bfrev_b32_e32 v41, 1
	s_mov_b32 s30, exec_lo
	s_delay_alu instid0(VALU_DEP_2)
	v_cmpx_ne_u32_e32 0x80, v2
	s_cbranch_execz .LBB361_429
; %bb.424:                              ;   in Loop: Header=BB361_10 Depth=1
	v_bfe_u32 v6, v3, 24, 7
	v_mov_b32_e32 v41, 0x7f800001
	s_mov_b32 s31, exec_lo
	s_delay_alu instid0(VALU_DEP_2)
	v_cmpx_ne_u32_e32 0x7f, v6
	s_cbranch_execz .LBB361_428
; %bb.425:                              ;   in Loop: Header=BB361_10 Depth=1
	v_and_b32_e32 v26, 7, v2
	v_lshrrev_b32_e32 v3, 3, v6
	s_mov_b32 s33, exec_lo
	v_cmpx_gt_u32_e32 8, v6
; %bb.426:                              ;   in Loop: Header=BB361_10 Depth=1
	s_delay_alu instid0(VALU_DEP_3) | instskip(NEXT) | instid1(VALU_DEP_1)
	v_clz_i32_u32_e32 v3, v26
	v_min_u32_e32 v3, 32, v3
	s_delay_alu instid0(VALU_DEP_1) | instskip(NEXT) | instid1(VALU_DEP_1)
	v_subrev_nc_u32_e32 v6, 28, v3
	v_lshlrev_b64_e32 v[6:7], v6, v[26:27]
	s_delay_alu instid0(VALU_DEP_1)
	v_dual_sub_nc_u32 v3, 29, v3 :: v_dual_bitop2_b32 v26, 7, v6 bitop3:0x40
; %bb.427:                              ;   in Loop: Header=BB361_10 Depth=1
	s_or_b32 exec_lo, exec_lo, s33
	v_lshlrev_b32_e32 v2, 24, v2
	s_delay_alu instid0(VALU_DEP_2) | instskip(NEXT) | instid1(VALU_DEP_3)
	v_lshlrev_b32_e32 v6, 20, v26
	v_lshl_add_u32 v3, v3, 23, 0x3c000000
	s_delay_alu instid0(VALU_DEP_3) | instskip(NEXT) | instid1(VALU_DEP_1)
	v_and_b32_e32 v2, 0x80000000, v2
	v_or3_b32 v41, v6, v2, v3
.LBB361_428:                            ;   in Loop: Header=BB361_10 Depth=1
	s_or_b32 exec_lo, exec_lo, s31
.LBB361_429:                            ;   in Loop: Header=BB361_10 Depth=1
	s_delay_alu instid0(SALU_CYCLE_1)
	s_or_b32 exec_lo, exec_lo, s30
.LBB361_430:                            ;   in Loop: Header=BB361_10 Depth=1
	s_delay_alu instid0(SALU_CYCLE_1)
	s_or_b32 exec_lo, exec_lo, s29
	global_load_b64 v[2:3], v[100:101], off offset:1544
	s_mov_b32 s29, exec_lo
	s_wait_loadcnt 0x0
	v_and_b32_e32 v6, 0xff, v2
	s_wait_xcnt 0x0
	s_delay_alu instid0(VALU_DEP_1)
	v_cmpx_ne_u16_e32 0, v6
	s_cbranch_execz .LBB361_436
; %bb.431:                              ;   in Loop: Header=BB361_10 Depth=1
	v_bfrev_b32_e32 v22, 1
	s_mov_b32 s30, exec_lo
	v_cmpx_ne_u16_e32 0x80, v6
	s_cbranch_execz .LBB361_435
; %bb.432:                              ;   in Loop: Header=BB361_10 Depth=1
	v_and_b32_e32 v6, 0x7f, v2
	v_mov_b32_e32 v22, 0x7f800001
	s_mov_b32 s31, exec_lo
	s_delay_alu instid0(VALU_DEP_2)
	v_cmpx_ne_u32_e32 0x7f, v6
	s_cbranch_execz .LBB361_434
; %bb.433:                              ;   in Loop: Header=BB361_10 Depth=1
	v_and_b32_e32 v7, 7, v2
	v_lshrrev_b32_e32 v8, 3, v6
	v_cmp_gt_u32_e64 s3, 8, v6
	s_delay_alu instid0(VALU_DEP_3) | instskip(NEXT) | instid1(VALU_DEP_1)
	v_clz_i32_u32_e32 v6, v7
	v_min_u32_e32 v6, 32, v6
	s_delay_alu instid0(VALU_DEP_1) | instskip(SKIP_1) | instid1(VALU_DEP_1)
	v_subrev_nc_u32_e32 v7, 28, v6
	v_sub_nc_u32_e32 v6, 29, v6
	v_dual_cndmask_b32 v8, v8, v6, s3 :: v_dual_cndmask_b32 v6, 0, v7, s3
	s_delay_alu instid0(VALU_DEP_1) | instskip(NEXT) | instid1(VALU_DEP_2)
	v_lshl_add_u32 v8, v8, 23, 0x3c000000
	v_lshlrev_b64_e32 v[6:7], v6, v[2:3]
	v_lshlrev_b32_e32 v7, 24, v2
	s_delay_alu instid0(VALU_DEP_1) | instskip(NEXT) | instid1(VALU_DEP_3)
	v_and_b32_e32 v7, 0x80000000, v7
	v_lshlrev_b32_e32 v6, 20, v6
	s_delay_alu instid0(VALU_DEP_1) | instskip(NEXT) | instid1(VALU_DEP_1)
	v_and_b32_e32 v6, 0x700000, v6
	v_or3_b32 v22, v6, v7, v8
.LBB361_434:                            ;   in Loop: Header=BB361_10 Depth=1
	s_or_b32 exec_lo, exec_lo, s31
.LBB361_435:                            ;   in Loop: Header=BB361_10 Depth=1
	s_delay_alu instid0(SALU_CYCLE_1)
	s_or_b32 exec_lo, exec_lo, s30
.LBB361_436:                            ;   in Loop: Header=BB361_10 Depth=1
	s_delay_alu instid0(SALU_CYCLE_1) | instskip(SKIP_3) | instid1(VALU_DEP_2)
	s_or_b32 exec_lo, exec_lo, s29
	v_lshrrev_b16 v6, 8, v2
	v_dual_mov_b32 v14, 0 :: v_dual_mov_b32 v23, 0
	s_mov_b32 s29, exec_lo
	v_cmpx_ne_u16_e32 0, v6
	s_cbranch_execz .LBB361_444
; %bb.437:                              ;   in Loop: Header=BB361_10 Depth=1
	v_bfrev_b32_e32 v23, 1
	s_mov_b32 s30, exec_lo
	v_cmpx_ne_u16_e32 0x80, v6
	s_cbranch_execz .LBB361_443
; %bb.438:                              ;   in Loop: Header=BB361_10 Depth=1
	v_and_b32_e32 v6, 0xffff, v6
	v_mov_b32_e32 v23, 0x7f800001
	s_mov_b32 s31, exec_lo
	s_delay_alu instid0(VALU_DEP_2) | instskip(NEXT) | instid1(VALU_DEP_1)
	v_and_b32_e32 v7, 0x7f, v6
	v_cmpx_ne_u32_e32 0x7f, v7
	s_cbranch_execz .LBB361_442
; %bb.439:                              ;   in Loop: Header=BB361_10 Depth=1
	v_dual_lshrrev_b32 v6, 3, v7 :: v_dual_bitop2_b32 v26, 7, v6 bitop3:0x40
	s_mov_b32 s33, exec_lo
	v_cmpx_gt_u32_e32 8, v7
; %bb.440:                              ;   in Loop: Header=BB361_10 Depth=1
	s_delay_alu instid0(VALU_DEP_2) | instskip(NEXT) | instid1(VALU_DEP_1)
	v_clz_i32_u32_e32 v6, v26
	v_min_u32_e32 v6, 32, v6
	s_delay_alu instid0(VALU_DEP_1) | instskip(NEXT) | instid1(VALU_DEP_1)
	v_subrev_nc_u32_e32 v7, 28, v6
	v_lshlrev_b64_e32 v[8:9], v7, v[26:27]
	s_delay_alu instid0(VALU_DEP_1)
	v_dual_sub_nc_u32 v6, 29, v6 :: v_dual_bitop2_b32 v26, 7, v8 bitop3:0x40
; %bb.441:                              ;   in Loop: Header=BB361_10 Depth=1
	s_or_b32 exec_lo, exec_lo, s33
	v_lshlrev_b32_e32 v7, 16, v2
	s_delay_alu instid0(VALU_DEP_2) | instskip(NEXT) | instid1(VALU_DEP_3)
	v_lshlrev_b32_e32 v8, 20, v26
	v_lshl_add_u32 v6, v6, 23, 0x3c000000
	s_delay_alu instid0(VALU_DEP_3) | instskip(NEXT) | instid1(VALU_DEP_1)
	v_and_b32_e32 v7, 0x80000000, v7
	v_or3_b32 v23, v8, v7, v6
.LBB361_442:                            ;   in Loop: Header=BB361_10 Depth=1
	s_or_b32 exec_lo, exec_lo, s31
.LBB361_443:                            ;   in Loop: Header=BB361_10 Depth=1
	s_delay_alu instid0(SALU_CYCLE_1)
	s_or_b32 exec_lo, exec_lo, s30
.LBB361_444:                            ;   in Loop: Header=BB361_10 Depth=1
	s_delay_alu instid0(SALU_CYCLE_1) | instskip(SKIP_2) | instid1(VALU_DEP_1)
	s_or_b32 exec_lo, exec_lo, s29
	v_lshrrev_b32_e32 v6, 16, v2
	s_mov_b32 s29, exec_lo
	v_and_b32_e32 v7, 0xff, v6
	s_delay_alu instid0(VALU_DEP_1)
	v_cmpx_ne_u16_e32 0, v7
	s_cbranch_execz .LBB361_452
; %bb.445:                              ;   in Loop: Header=BB361_10 Depth=1
	v_bfrev_b32_e32 v14, 1
	s_mov_b32 s30, exec_lo
	v_cmpx_ne_u16_e32 0x80, v7
	s_cbranch_execz .LBB361_451
; %bb.446:                              ;   in Loop: Header=BB361_10 Depth=1
	v_bfe_u32 v8, v2, 16, 7
	v_mov_b32_e32 v14, 0x7f800001
	s_mov_b32 s31, exec_lo
	s_delay_alu instid0(VALU_DEP_2)
	v_cmpx_ne_u32_e32 0x7f, v8
	s_cbranch_execz .LBB361_450
; %bb.447:                              ;   in Loop: Header=BB361_10 Depth=1
	v_dual_lshrrev_b32 v7, 3, v8 :: v_dual_bitop2_b32 v26, 7, v6 bitop3:0x40
	s_mov_b32 s33, exec_lo
	v_cmpx_gt_u32_e32 8, v8
; %bb.448:                              ;   in Loop: Header=BB361_10 Depth=1
	s_delay_alu instid0(VALU_DEP_2) | instskip(NEXT) | instid1(VALU_DEP_1)
	v_clz_i32_u32_e32 v7, v26
	v_min_u32_e32 v7, 32, v7
	s_delay_alu instid0(VALU_DEP_1) | instskip(NEXT) | instid1(VALU_DEP_1)
	v_subrev_nc_u32_e32 v8, 28, v7
	v_lshlrev_b64_e32 v[8:9], v8, v[26:27]
	s_delay_alu instid0(VALU_DEP_1)
	v_dual_sub_nc_u32 v7, 29, v7 :: v_dual_bitop2_b32 v26, 7, v8 bitop3:0x40
; %bb.449:                              ;   in Loop: Header=BB361_10 Depth=1
	s_or_b32 exec_lo, exec_lo, s33
	v_lshlrev_b32_e32 v6, 24, v6
	s_delay_alu instid0(VALU_DEP_2) | instskip(NEXT) | instid1(VALU_DEP_3)
	v_lshlrev_b32_e32 v8, 20, v26
	v_lshl_add_u32 v7, v7, 23, 0x3c000000
	s_delay_alu instid0(VALU_DEP_3) | instskip(NEXT) | instid1(VALU_DEP_1)
	v_and_b32_e32 v6, 0x80000000, v6
	v_or3_b32 v14, v8, v6, v7
.LBB361_450:                            ;   in Loop: Header=BB361_10 Depth=1
	s_or_b32 exec_lo, exec_lo, s31
.LBB361_451:                            ;   in Loop: Header=BB361_10 Depth=1
	s_delay_alu instid0(SALU_CYCLE_1)
	s_or_b32 exec_lo, exec_lo, s30
.LBB361_452:                            ;   in Loop: Header=BB361_10 Depth=1
	s_delay_alu instid0(SALU_CYCLE_1)
	s_or_b32 exec_lo, exec_lo, s29
	v_dual_mov_b32 v10, 0 :: v_dual_mov_b32 v15, 0
	s_mov_b32 s29, exec_lo
	v_cmpx_lt_u32_e32 0xffffff, v2
	s_cbranch_execz .LBB361_460
; %bb.453:                              ;   in Loop: Header=BB361_10 Depth=1
	v_lshrrev_b32_e32 v6, 24, v2
	v_bfrev_b32_e32 v15, 1
	s_mov_b32 s30, exec_lo
	s_delay_alu instid0(VALU_DEP_2)
	v_cmpx_ne_u32_e32 0x80, v6
	s_cbranch_execz .LBB361_459
; %bb.454:                              ;   in Loop: Header=BB361_10 Depth=1
	v_bfe_u32 v8, v2, 24, 7
	v_mov_b32_e32 v15, 0x7f800001
	s_mov_b32 s31, exec_lo
	s_delay_alu instid0(VALU_DEP_2)
	v_cmpx_ne_u32_e32 0x7f, v8
	s_cbranch_execz .LBB361_458
; %bb.455:                              ;   in Loop: Header=BB361_10 Depth=1
	v_dual_lshrrev_b32 v7, 3, v8 :: v_dual_bitop2_b32 v26, 7, v6 bitop3:0x40
	s_mov_b32 s33, exec_lo
	v_cmpx_gt_u32_e32 8, v8
; %bb.456:                              ;   in Loop: Header=BB361_10 Depth=1
	s_delay_alu instid0(VALU_DEP_2) | instskip(NEXT) | instid1(VALU_DEP_1)
	v_clz_i32_u32_e32 v7, v26
	v_min_u32_e32 v7, 32, v7
	s_delay_alu instid0(VALU_DEP_1) | instskip(NEXT) | instid1(VALU_DEP_1)
	v_subrev_nc_u32_e32 v8, 28, v7
	v_lshlrev_b64_e32 v[8:9], v8, v[26:27]
	s_delay_alu instid0(VALU_DEP_1)
	v_dual_sub_nc_u32 v7, 29, v7 :: v_dual_bitop2_b32 v26, 7, v8 bitop3:0x40
; %bb.457:                              ;   in Loop: Header=BB361_10 Depth=1
	s_or_b32 exec_lo, exec_lo, s33
	v_lshlrev_b32_e32 v6, 24, v6
	s_delay_alu instid0(VALU_DEP_2) | instskip(NEXT) | instid1(VALU_DEP_3)
	v_lshlrev_b32_e32 v8, 20, v26
	v_lshl_add_u32 v7, v7, 23, 0x3c000000
	s_delay_alu instid0(VALU_DEP_3) | instskip(NEXT) | instid1(VALU_DEP_1)
	v_and_b32_e32 v6, 0x80000000, v6
	v_or3_b32 v15, v8, v6, v7
.LBB361_458:                            ;   in Loop: Header=BB361_10 Depth=1
	s_or_b32 exec_lo, exec_lo, s31
.LBB361_459:                            ;   in Loop: Header=BB361_10 Depth=1
	s_delay_alu instid0(SALU_CYCLE_1)
	s_or_b32 exec_lo, exec_lo, s30
.LBB361_460:                            ;   in Loop: Header=BB361_10 Depth=1
	s_delay_alu instid0(SALU_CYCLE_1) | instskip(SKIP_3) | instid1(VALU_DEP_2)
	s_or_b32 exec_lo, exec_lo, s29
	v_and_b32_e32 v6, 0xff, v3
	v_mov_b32_e32 v26, v3
	s_mov_b32 s29, exec_lo
	v_cmpx_ne_u16_e32 0, v6
	s_cbranch_execz .LBB361_466
; %bb.461:                              ;   in Loop: Header=BB361_10 Depth=1
	v_bfrev_b32_e32 v10, 1
	s_mov_b32 s30, exec_lo
	v_cmpx_ne_u16_e32 0x80, v6
	s_cbranch_execz .LBB361_465
; %bb.462:                              ;   in Loop: Header=BB361_10 Depth=1
	v_and_b32_e32 v6, 0x7f, v3
	v_mov_b32_e32 v10, 0x7f800001
	s_mov_b32 s31, exec_lo
	s_delay_alu instid0(VALU_DEP_2)
	v_cmpx_ne_u32_e32 0x7f, v6
	s_cbranch_execz .LBB361_464
; %bb.463:                              ;   in Loop: Header=BB361_10 Depth=1
	v_dual_lshrrev_b32 v8, 3, v6 :: v_dual_bitop2_b32 v7, 7, v3 bitop3:0x40
	v_cmp_gt_u32_e64 s3, 8, v6
	s_delay_alu instid0(VALU_DEP_2) | instskip(NEXT) | instid1(VALU_DEP_1)
	v_clz_i32_u32_e32 v6, v7
	v_min_u32_e32 v6, 32, v6
	s_delay_alu instid0(VALU_DEP_1) | instskip(SKIP_1) | instid1(VALU_DEP_1)
	v_subrev_nc_u32_e32 v7, 28, v6
	v_sub_nc_u32_e32 v6, 29, v6
	v_dual_cndmask_b32 v8, v8, v6, s3 :: v_dual_cndmask_b32 v6, 0, v7, s3
	s_delay_alu instid0(VALU_DEP_1) | instskip(NEXT) | instid1(VALU_DEP_2)
	v_lshl_add_u32 v8, v8, 23, 0x3c000000
	v_lshlrev_b64_e32 v[6:7], v6, v[26:27]
	v_lshlrev_b32_e32 v7, 24, v26
	s_delay_alu instid0(VALU_DEP_1) | instskip(NEXT) | instid1(VALU_DEP_3)
	v_and_b32_e32 v7, 0x80000000, v7
	v_lshlrev_b32_e32 v6, 20, v6
	s_delay_alu instid0(VALU_DEP_1) | instskip(NEXT) | instid1(VALU_DEP_1)
	v_and_b32_e32 v6, 0x700000, v6
	v_or3_b32 v10, v6, v7, v8
.LBB361_464:                            ;   in Loop: Header=BB361_10 Depth=1
	s_or_b32 exec_lo, exec_lo, s31
.LBB361_465:                            ;   in Loop: Header=BB361_10 Depth=1
	s_delay_alu instid0(SALU_CYCLE_1)
	s_or_b32 exec_lo, exec_lo, s30
.LBB361_466:                            ;   in Loop: Header=BB361_10 Depth=1
	s_delay_alu instid0(SALU_CYCLE_1) | instskip(SKIP_3) | instid1(VALU_DEP_2)
	s_or_b32 exec_lo, exec_lo, s29
	v_lshrrev_b16 v7, 8, v26
	v_dual_mov_b32 v6, 0 :: v_dual_mov_b32 v11, 0
	s_mov_b32 s29, exec_lo
	v_cmpx_ne_u16_e32 0, v7
	s_cbranch_execz .LBB361_474
; %bb.467:                              ;   in Loop: Header=BB361_10 Depth=1
	v_bfrev_b32_e32 v11, 1
	s_mov_b32 s30, exec_lo
	v_cmpx_ne_u16_e32 0x80, v7
	s_cbranch_execz .LBB361_473
; %bb.468:                              ;   in Loop: Header=BB361_10 Depth=1
	v_and_b32_e32 v7, 0xffff, v7
	v_mov_b32_e32 v11, 0x7f800001
	s_mov_b32 s31, exec_lo
	s_delay_alu instid0(VALU_DEP_2) | instskip(NEXT) | instid1(VALU_DEP_1)
	v_and_b32_e32 v12, 0x7f, v7
	v_cmpx_ne_u32_e32 0x7f, v12
	s_cbranch_execz .LBB361_472
; %bb.469:                              ;   in Loop: Header=BB361_10 Depth=1
	v_dual_mov_b32 v9, v27 :: v_dual_bitop2_b32 v8, 7, v7 bitop3:0x40
	v_lshrrev_b32_e32 v7, 3, v12
	s_mov_b32 s33, exec_lo
	v_cmpx_gt_u32_e32 8, v12
; %bb.470:                              ;   in Loop: Header=BB361_10 Depth=1
	s_delay_alu instid0(VALU_DEP_3) | instskip(NEXT) | instid1(VALU_DEP_1)
	v_clz_i32_u32_e32 v7, v8
	v_min_u32_e32 v7, 32, v7
	s_delay_alu instid0(VALU_DEP_1) | instskip(NEXT) | instid1(VALU_DEP_1)
	v_subrev_nc_u32_e32 v11, 28, v7
	v_lshlrev_b64_e32 v[8:9], v11, v[8:9]
	s_delay_alu instid0(VALU_DEP_1)
	v_dual_sub_nc_u32 v7, 29, v7 :: v_dual_bitop2_b32 v8, 7, v8 bitop3:0x40
; %bb.471:                              ;   in Loop: Header=BB361_10 Depth=1
	s_or_b32 exec_lo, exec_lo, s33
	s_delay_alu instid0(VALU_DEP_1) | instskip(NEXT) | instid1(VALU_DEP_2)
	v_dual_lshlrev_b32 v9, 16, v26 :: v_dual_lshlrev_b32 v8, 20, v8
	v_lshl_add_u32 v7, v7, 23, 0x3c000000
	s_delay_alu instid0(VALU_DEP_2) | instskip(NEXT) | instid1(VALU_DEP_1)
	v_and_b32_e32 v9, 0x80000000, v9
	v_or3_b32 v11, v8, v9, v7
.LBB361_472:                            ;   in Loop: Header=BB361_10 Depth=1
	s_or_b32 exec_lo, exec_lo, s31
.LBB361_473:                            ;   in Loop: Header=BB361_10 Depth=1
	s_delay_alu instid0(SALU_CYCLE_1)
	s_or_b32 exec_lo, exec_lo, s30
.LBB361_474:                            ;   in Loop: Header=BB361_10 Depth=1
	s_delay_alu instid0(SALU_CYCLE_1) | instskip(SKIP_2) | instid1(VALU_DEP_1)
	s_or_b32 exec_lo, exec_lo, s29
	v_lshrrev_b32_e32 v7, 16, v3
	s_mov_b32 s29, exec_lo
	v_and_b32_e32 v8, 0xff, v7
	s_delay_alu instid0(VALU_DEP_1)
	v_cmpx_ne_u16_e32 0, v8
	s_cbranch_execz .LBB361_482
; %bb.475:                              ;   in Loop: Header=BB361_10 Depth=1
	v_bfrev_b32_e32 v6, 1
	s_mov_b32 s30, exec_lo
	v_cmpx_ne_u16_e32 0x80, v8
	s_cbranch_execz .LBB361_481
; %bb.476:                              ;   in Loop: Header=BB361_10 Depth=1
	v_bfe_u32 v8, v3, 16, 7
	v_mov_b32_e32 v6, 0x7f800001
	s_mov_b32 s31, exec_lo
	s_delay_alu instid0(VALU_DEP_2)
	v_cmpx_ne_u32_e32 0x7f, v8
	s_cbranch_execz .LBB361_480
; %bb.477:                              ;   in Loop: Header=BB361_10 Depth=1
	v_dual_lshrrev_b32 v6, 3, v8 :: v_dual_bitop2_b32 v26, 7, v7 bitop3:0x40
	s_mov_b32 s33, exec_lo
	v_cmpx_gt_u32_e32 8, v8
; %bb.478:                              ;   in Loop: Header=BB361_10 Depth=1
	s_delay_alu instid0(VALU_DEP_2) | instskip(NEXT) | instid1(VALU_DEP_1)
	v_clz_i32_u32_e32 v6, v26
	v_min_u32_e32 v6, 32, v6
	s_delay_alu instid0(VALU_DEP_1) | instskip(NEXT) | instid1(VALU_DEP_1)
	v_subrev_nc_u32_e32 v8, 28, v6
	v_lshlrev_b64_e32 v[8:9], v8, v[26:27]
	s_delay_alu instid0(VALU_DEP_1)
	v_dual_sub_nc_u32 v6, 29, v6 :: v_dual_bitop2_b32 v26, 7, v8 bitop3:0x40
; %bb.479:                              ;   in Loop: Header=BB361_10 Depth=1
	s_or_b32 exec_lo, exec_lo, s33
	s_delay_alu instid0(VALU_DEP_1) | instskip(NEXT) | instid1(VALU_DEP_2)
	v_dual_lshlrev_b32 v7, 24, v7 :: v_dual_lshlrev_b32 v8, 20, v26
	v_lshl_add_u32 v6, v6, 23, 0x3c000000
	s_delay_alu instid0(VALU_DEP_2) | instskip(NEXT) | instid1(VALU_DEP_1)
	v_and_b32_e32 v7, 0x80000000, v7
	v_or3_b32 v6, v8, v7, v6
.LBB361_480:                            ;   in Loop: Header=BB361_10 Depth=1
	s_or_b32 exec_lo, exec_lo, s31
.LBB361_481:                            ;   in Loop: Header=BB361_10 Depth=1
	s_delay_alu instid0(SALU_CYCLE_1)
	s_or_b32 exec_lo, exec_lo, s30
.LBB361_482:                            ;   in Loop: Header=BB361_10 Depth=1
	s_delay_alu instid0(SALU_CYCLE_1)
	s_or_b32 exec_lo, exec_lo, s29
	v_dual_mov_b32 v18, 0 :: v_dual_mov_b32 v7, 0
	s_mov_b32 s29, exec_lo
	v_cmpx_lt_u64_e64 s[20:21], v[2:3]
	s_cbranch_execz .LBB361_490
; %bb.483:                              ;   in Loop: Header=BB361_10 Depth=1
	v_lshrrev_b32_e32 v2, 24, v3
	v_bfrev_b32_e32 v7, 1
	s_mov_b32 s30, exec_lo
	s_delay_alu instid0(VALU_DEP_2)
	v_cmpx_ne_u32_e32 0x80, v2
	s_cbranch_execz .LBB361_489
; %bb.484:                              ;   in Loop: Header=BB361_10 Depth=1
	v_bfe_u32 v8, v3, 24, 7
	v_mov_b32_e32 v7, 0x7f800001
	s_mov_b32 s31, exec_lo
	s_delay_alu instid0(VALU_DEP_2)
	v_cmpx_ne_u32_e32 0x7f, v8
	s_cbranch_execz .LBB361_488
; %bb.485:                              ;   in Loop: Header=BB361_10 Depth=1
	v_dual_lshrrev_b32 v3, 3, v8 :: v_dual_bitop2_b32 v26, 7, v2 bitop3:0x40
	s_mov_b32 s33, exec_lo
	v_cmpx_gt_u32_e32 8, v8
; %bb.486:                              ;   in Loop: Header=BB361_10 Depth=1
	s_delay_alu instid0(VALU_DEP_2) | instskip(NEXT) | instid1(VALU_DEP_1)
	v_clz_i32_u32_e32 v3, v26
	v_min_u32_e32 v3, 32, v3
	s_delay_alu instid0(VALU_DEP_1) | instskip(NEXT) | instid1(VALU_DEP_1)
	v_subrev_nc_u32_e32 v7, 28, v3
	v_lshlrev_b64_e32 v[8:9], v7, v[26:27]
	s_delay_alu instid0(VALU_DEP_1)
	v_dual_sub_nc_u32 v3, 29, v3 :: v_dual_bitop2_b32 v26, 7, v8 bitop3:0x40
; %bb.487:                              ;   in Loop: Header=BB361_10 Depth=1
	s_or_b32 exec_lo, exec_lo, s33
	v_lshlrev_b32_e32 v2, 24, v2
	s_delay_alu instid0(VALU_DEP_2) | instskip(NEXT) | instid1(VALU_DEP_3)
	v_lshlrev_b32_e32 v7, 20, v26
	v_lshl_add_u32 v3, v3, 23, 0x3c000000
	s_delay_alu instid0(VALU_DEP_3) | instskip(NEXT) | instid1(VALU_DEP_1)
	v_and_b32_e32 v2, 0x80000000, v2
	v_or3_b32 v7, v7, v2, v3
.LBB361_488:                            ;   in Loop: Header=BB361_10 Depth=1
	s_or_b32 exec_lo, exec_lo, s31
.LBB361_489:                            ;   in Loop: Header=BB361_10 Depth=1
	s_delay_alu instid0(SALU_CYCLE_1)
	s_or_b32 exec_lo, exec_lo, s30
.LBB361_490:                            ;   in Loop: Header=BB361_10 Depth=1
	s_delay_alu instid0(SALU_CYCLE_1)
	s_or_b32 exec_lo, exec_lo, s29
	global_load_b64 v[24:25], v[100:101], off offset:2048
	s_mov_b32 s29, exec_lo
	s_wait_loadcnt 0x0
	v_and_b32_e32 v2, 0xff, v24
	s_wait_xcnt 0x0
	s_delay_alu instid0(VALU_DEP_1)
	v_cmpx_ne_u16_e32 0, v2
	s_cbranch_execz .LBB361_496
; %bb.491:                              ;   in Loop: Header=BB361_10 Depth=1
	v_bfrev_b32_e32 v18, 1
	s_mov_b32 s30, exec_lo
	v_cmpx_ne_u16_e32 0x80, v2
	s_cbranch_execz .LBB361_495
; %bb.492:                              ;   in Loop: Header=BB361_10 Depth=1
	v_and_b32_e32 v2, 0x7f, v24
	v_mov_b32_e32 v18, 0x7f800001
	s_mov_b32 s31, exec_lo
	s_delay_alu instid0(VALU_DEP_2)
	v_cmpx_ne_u32_e32 0x7f, v2
	s_cbranch_execz .LBB361_494
; %bb.493:                              ;   in Loop: Header=BB361_10 Depth=1
	v_dual_lshrrev_b32 v8, 3, v2 :: v_dual_bitop2_b32 v3, 7, v24 bitop3:0x40
	v_cmp_gt_u32_e64 s3, 8, v2
	s_delay_alu instid0(VALU_DEP_2) | instskip(NEXT) | instid1(VALU_DEP_1)
	v_clz_i32_u32_e32 v2, v3
	v_min_u32_e32 v2, 32, v2
	s_delay_alu instid0(VALU_DEP_1) | instskip(SKIP_1) | instid1(VALU_DEP_1)
	v_subrev_nc_u32_e32 v3, 28, v2
	v_sub_nc_u32_e32 v2, 29, v2
	v_dual_cndmask_b32 v8, v8, v2, s3 :: v_dual_cndmask_b32 v2, 0, v3, s3
	s_delay_alu instid0(VALU_DEP_1) | instskip(NEXT) | instid1(VALU_DEP_2)
	v_lshl_add_u32 v8, v8, 23, 0x3c000000
	v_lshlrev_b64_e32 v[2:3], v2, v[24:25]
	v_lshlrev_b32_e32 v3, 24, v24
	s_delay_alu instid0(VALU_DEP_1) | instskip(NEXT) | instid1(VALU_DEP_3)
	v_and_b32_e32 v3, 0x80000000, v3
	v_lshlrev_b32_e32 v2, 20, v2
	s_delay_alu instid0(VALU_DEP_1) | instskip(NEXT) | instid1(VALU_DEP_1)
	v_and_b32_e32 v2, 0x700000, v2
	v_or3_b32 v18, v2, v3, v8
.LBB361_494:                            ;   in Loop: Header=BB361_10 Depth=1
	s_or_b32 exec_lo, exec_lo, s31
.LBB361_495:                            ;   in Loop: Header=BB361_10 Depth=1
	s_delay_alu instid0(SALU_CYCLE_1)
	s_or_b32 exec_lo, exec_lo, s30
.LBB361_496:                            ;   in Loop: Header=BB361_10 Depth=1
	s_delay_alu instid0(SALU_CYCLE_1) | instskip(SKIP_3) | instid1(VALU_DEP_2)
	s_or_b32 exec_lo, exec_lo, s29
	v_lshrrev_b16 v3, 8, v24
	v_dual_mov_b32 v2, 0 :: v_dual_mov_b32 v19, 0
	s_mov_b32 s29, exec_lo
	v_cmpx_ne_u16_e32 0, v3
	s_cbranch_execz .LBB361_504
; %bb.497:                              ;   in Loop: Header=BB361_10 Depth=1
	v_bfrev_b32_e32 v19, 1
	s_mov_b32 s30, exec_lo
	v_cmpx_ne_u16_e32 0x80, v3
	s_cbranch_execz .LBB361_503
; %bb.498:                              ;   in Loop: Header=BB361_10 Depth=1
	v_and_b32_e32 v3, 0xffff, v3
	v_mov_b32_e32 v19, 0x7f800001
	s_mov_b32 s31, exec_lo
	s_delay_alu instid0(VALU_DEP_2) | instskip(NEXT) | instid1(VALU_DEP_1)
	v_and_b32_e32 v8, 0x7f, v3
	v_cmpx_ne_u32_e32 0x7f, v8
	s_cbranch_execz .LBB361_502
; %bb.499:                              ;   in Loop: Header=BB361_10 Depth=1
	v_dual_lshrrev_b32 v3, 3, v8 :: v_dual_bitop2_b32 v26, 7, v3 bitop3:0x40
	s_mov_b32 s33, exec_lo
	v_cmpx_gt_u32_e32 8, v8
; %bb.500:                              ;   in Loop: Header=BB361_10 Depth=1
	s_delay_alu instid0(VALU_DEP_2) | instskip(NEXT) | instid1(VALU_DEP_1)
	v_clz_i32_u32_e32 v3, v26
	v_min_u32_e32 v3, 32, v3
	s_delay_alu instid0(VALU_DEP_1) | instskip(NEXT) | instid1(VALU_DEP_1)
	v_subrev_nc_u32_e32 v8, 28, v3
	v_lshlrev_b64_e32 v[8:9], v8, v[26:27]
	s_delay_alu instid0(VALU_DEP_1)
	v_dual_sub_nc_u32 v3, 29, v3 :: v_dual_bitop2_b32 v26, 7, v8 bitop3:0x40
; %bb.501:                              ;   in Loop: Header=BB361_10 Depth=1
	s_or_b32 exec_lo, exec_lo, s33
	s_delay_alu instid0(VALU_DEP_1) | instskip(NEXT) | instid1(VALU_DEP_2)
	v_dual_lshlrev_b32 v8, 16, v24 :: v_dual_lshlrev_b32 v9, 20, v26
	v_lshl_add_u32 v3, v3, 23, 0x3c000000
	s_delay_alu instid0(VALU_DEP_2) | instskip(NEXT) | instid1(VALU_DEP_1)
	v_and_b32_e32 v8, 0x80000000, v8
	v_or3_b32 v19, v9, v8, v3
.LBB361_502:                            ;   in Loop: Header=BB361_10 Depth=1
	s_or_b32 exec_lo, exec_lo, s31
.LBB361_503:                            ;   in Loop: Header=BB361_10 Depth=1
	s_delay_alu instid0(SALU_CYCLE_1)
	s_or_b32 exec_lo, exec_lo, s30
.LBB361_504:                            ;   in Loop: Header=BB361_10 Depth=1
	s_delay_alu instid0(SALU_CYCLE_1) | instskip(SKIP_2) | instid1(VALU_DEP_1)
	s_or_b32 exec_lo, exec_lo, s29
	v_lshrrev_b32_e32 v3, 16, v24
	s_mov_b32 s29, exec_lo
	v_and_b32_e32 v8, 0xff, v3
	s_delay_alu instid0(VALU_DEP_1)
	v_cmpx_ne_u16_e32 0, v8
	s_cbranch_execz .LBB361_512
; %bb.505:                              ;   in Loop: Header=BB361_10 Depth=1
	v_bfrev_b32_e32 v2, 1
	s_mov_b32 s30, exec_lo
	v_cmpx_ne_u16_e32 0x80, v8
	s_cbranch_execz .LBB361_511
; %bb.506:                              ;   in Loop: Header=BB361_10 Depth=1
	v_bfe_u32 v8, v24, 16, 7
	v_mov_b32_e32 v2, 0x7f800001
	s_mov_b32 s31, exec_lo
	s_delay_alu instid0(VALU_DEP_2)
	v_cmpx_ne_u32_e32 0x7f, v8
	s_cbranch_execz .LBB361_510
; %bb.507:                              ;   in Loop: Header=BB361_10 Depth=1
	v_dual_lshrrev_b32 v2, 3, v8 :: v_dual_bitop2_b32 v26, 7, v3 bitop3:0x40
	s_mov_b32 s33, exec_lo
	v_cmpx_gt_u32_e32 8, v8
; %bb.508:                              ;   in Loop: Header=BB361_10 Depth=1
	s_delay_alu instid0(VALU_DEP_2) | instskip(NEXT) | instid1(VALU_DEP_1)
	v_clz_i32_u32_e32 v2, v26
	v_min_u32_e32 v2, 32, v2
	s_delay_alu instid0(VALU_DEP_1) | instskip(NEXT) | instid1(VALU_DEP_1)
	v_subrev_nc_u32_e32 v8, 28, v2
	v_lshlrev_b64_e32 v[8:9], v8, v[26:27]
	s_delay_alu instid0(VALU_DEP_1)
	v_dual_sub_nc_u32 v2, 29, v2 :: v_dual_bitop2_b32 v26, 7, v8 bitop3:0x40
; %bb.509:                              ;   in Loop: Header=BB361_10 Depth=1
	s_or_b32 exec_lo, exec_lo, s33
	s_delay_alu instid0(VALU_DEP_1) | instskip(NEXT) | instid1(VALU_DEP_2)
	v_dual_lshlrev_b32 v3, 24, v3 :: v_dual_lshlrev_b32 v8, 20, v26
	v_lshl_add_u32 v2, v2, 23, 0x3c000000
	s_delay_alu instid0(VALU_DEP_2) | instskip(NEXT) | instid1(VALU_DEP_1)
	v_and_b32_e32 v3, 0x80000000, v3
	v_or3_b32 v2, v8, v3, v2
.LBB361_510:                            ;   in Loop: Header=BB361_10 Depth=1
	s_or_b32 exec_lo, exec_lo, s31
.LBB361_511:                            ;   in Loop: Header=BB361_10 Depth=1
	s_delay_alu instid0(SALU_CYCLE_1)
	s_or_b32 exec_lo, exec_lo, s30
.LBB361_512:                            ;   in Loop: Header=BB361_10 Depth=1
	s_delay_alu instid0(SALU_CYCLE_1)
	s_or_b32 exec_lo, exec_lo, s29
	v_dual_mov_b32 v42, 0 :: v_dual_mov_b32 v3, 0
	s_mov_b32 s29, exec_lo
	v_cmpx_lt_u32_e32 0xffffff, v24
	s_cbranch_execz .LBB361_520
; %bb.513:                              ;   in Loop: Header=BB361_10 Depth=1
	v_lshrrev_b32_e32 v8, 24, v24
	v_bfrev_b32_e32 v3, 1
	s_mov_b32 s30, exec_lo
	s_delay_alu instid0(VALU_DEP_2)
	v_cmpx_ne_u32_e32 0x80, v8
	s_cbranch_execz .LBB361_519
; %bb.514:                              ;   in Loop: Header=BB361_10 Depth=1
	v_bfe_u32 v9, v24, 24, 7
	v_mov_b32_e32 v3, 0x7f800001
	s_mov_b32 s31, exec_lo
	s_delay_alu instid0(VALU_DEP_2)
	v_cmpx_ne_u32_e32 0x7f, v9
	s_cbranch_execz .LBB361_518
; %bb.515:                              ;   in Loop: Header=BB361_10 Depth=1
	v_dual_lshrrev_b32 v3, 3, v9 :: v_dual_bitop2_b32 v26, 7, v8 bitop3:0x40
	s_mov_b32 s33, exec_lo
	v_cmpx_gt_u32_e32 8, v9
; %bb.516:                              ;   in Loop: Header=BB361_10 Depth=1
	s_delay_alu instid0(VALU_DEP_2) | instskip(NEXT) | instid1(VALU_DEP_1)
	v_clz_i32_u32_e32 v3, v26
	v_min_u32_e32 v3, 32, v3
	s_delay_alu instid0(VALU_DEP_1) | instskip(NEXT) | instid1(VALU_DEP_1)
	v_subrev_nc_u32_e32 v9, 28, v3
	v_lshlrev_b64_e32 v[12:13], v9, v[26:27]
	s_delay_alu instid0(VALU_DEP_1)
	v_dual_sub_nc_u32 v3, 29, v3 :: v_dual_bitop2_b32 v26, 7, v12 bitop3:0x40
; %bb.517:                              ;   in Loop: Header=BB361_10 Depth=1
	s_or_b32 exec_lo, exec_lo, s33
	s_delay_alu instid0(VALU_DEP_1) | instskip(NEXT) | instid1(VALU_DEP_2)
	v_dual_lshlrev_b32 v8, 24, v8 :: v_dual_lshlrev_b32 v9, 20, v26
	v_lshl_add_u32 v3, v3, 23, 0x3c000000
	s_delay_alu instid0(VALU_DEP_2) | instskip(NEXT) | instid1(VALU_DEP_1)
	v_and_b32_e32 v8, 0x80000000, v8
	v_or3_b32 v3, v9, v8, v3
.LBB361_518:                            ;   in Loop: Header=BB361_10 Depth=1
	s_or_b32 exec_lo, exec_lo, s31
.LBB361_519:                            ;   in Loop: Header=BB361_10 Depth=1
	s_delay_alu instid0(SALU_CYCLE_1)
	s_or_b32 exec_lo, exec_lo, s30
.LBB361_520:                            ;   in Loop: Header=BB361_10 Depth=1
	s_delay_alu instid0(SALU_CYCLE_1) | instskip(SKIP_3) | instid1(VALU_DEP_2)
	s_or_b32 exec_lo, exec_lo, s29
	v_and_b32_e32 v8, 0xff, v25
	v_mov_b32_e32 v26, v25
	s_mov_b32 s29, exec_lo
	v_cmpx_ne_u16_e32 0, v8
	s_cbranch_execz .LBB361_526
; %bb.521:                              ;   in Loop: Header=BB361_10 Depth=1
	v_bfrev_b32_e32 v42, 1
	s_mov_b32 s30, exec_lo
	v_cmpx_ne_u16_e32 0x80, v8
	s_cbranch_execz .LBB361_525
; %bb.522:                              ;   in Loop: Header=BB361_10 Depth=1
	v_and_b32_e32 v8, 0x7f, v25
	v_mov_b32_e32 v42, 0x7f800001
	s_mov_b32 s31, exec_lo
	s_delay_alu instid0(VALU_DEP_2)
	v_cmpx_ne_u32_e32 0x7f, v8
	s_cbranch_execz .LBB361_524
; %bb.523:                              ;   in Loop: Header=BB361_10 Depth=1
	v_dual_lshrrev_b32 v12, 3, v8 :: v_dual_bitop2_b32 v9, 7, v25 bitop3:0x40
	v_cmp_gt_u32_e64 s3, 8, v8
	s_delay_alu instid0(VALU_DEP_2) | instskip(NEXT) | instid1(VALU_DEP_1)
	v_clz_i32_u32_e32 v8, v9
	v_min_u32_e32 v8, 32, v8
	s_delay_alu instid0(VALU_DEP_1) | instskip(SKIP_1) | instid1(VALU_DEP_1)
	v_subrev_nc_u32_e32 v9, 28, v8
	v_sub_nc_u32_e32 v8, 29, v8
	v_dual_cndmask_b32 v12, v12, v8, s3 :: v_dual_cndmask_b32 v8, 0, v9, s3
	s_delay_alu instid0(VALU_DEP_1) | instskip(NEXT) | instid1(VALU_DEP_2)
	v_lshl_add_u32 v12, v12, 23, 0x3c000000
	v_lshlrev_b64_e32 v[8:9], v8, v[26:27]
	v_lshlrev_b32_e32 v9, 24, v26
	s_delay_alu instid0(VALU_DEP_1) | instskip(NEXT) | instid1(VALU_DEP_3)
	v_and_b32_e32 v9, 0x80000000, v9
	v_lshlrev_b32_e32 v8, 20, v8
	s_delay_alu instid0(VALU_DEP_1) | instskip(NEXT) | instid1(VALU_DEP_1)
	v_and_b32_e32 v8, 0x700000, v8
	v_or3_b32 v42, v8, v9, v12
.LBB361_524:                            ;   in Loop: Header=BB361_10 Depth=1
	s_or_b32 exec_lo, exec_lo, s31
.LBB361_525:                            ;   in Loop: Header=BB361_10 Depth=1
	s_delay_alu instid0(SALU_CYCLE_1)
	s_or_b32 exec_lo, exec_lo, s30
.LBB361_526:                            ;   in Loop: Header=BB361_10 Depth=1
	s_delay_alu instid0(SALU_CYCLE_1) | instskip(SKIP_3) | instid1(VALU_DEP_2)
	s_or_b32 exec_lo, exec_lo, s29
	v_lshrrev_b16 v8, 8, v26
	v_dual_mov_b32 v44, 0 :: v_dual_mov_b32 v43, 0
	s_mov_b32 s29, exec_lo
	v_cmpx_ne_u16_e32 0, v8
	s_cbranch_execz .LBB361_534
; %bb.527:                              ;   in Loop: Header=BB361_10 Depth=1
	v_bfrev_b32_e32 v43, 1
	s_mov_b32 s30, exec_lo
	v_cmpx_ne_u16_e32 0x80, v8
	s_cbranch_execz .LBB361_533
; %bb.528:                              ;   in Loop: Header=BB361_10 Depth=1
	v_and_b32_e32 v8, 0xffff, v8
	v_mov_b32_e32 v43, 0x7f800001
	s_mov_b32 s31, exec_lo
	s_delay_alu instid0(VALU_DEP_2) | instskip(NEXT) | instid1(VALU_DEP_1)
	v_and_b32_e32 v13, 0x7f, v8
	v_cmpx_ne_u32_e32 0x7f, v13
	s_cbranch_execz .LBB361_532
; %bb.529:                              ;   in Loop: Header=BB361_10 Depth=1
	v_dual_mov_b32 v9, v27 :: v_dual_bitop2_b32 v8, 7, v8 bitop3:0x40
	v_lshrrev_b32_e32 v12, 3, v13
	s_mov_b32 s33, exec_lo
	v_cmpx_gt_u32_e32 8, v13
; %bb.530:                              ;   in Loop: Header=BB361_10 Depth=1
	s_delay_alu instid0(VALU_DEP_3) | instskip(NEXT) | instid1(VALU_DEP_1)
	v_clz_i32_u32_e32 v12, v8
	v_min_u32_e32 v12, 32, v12
	s_delay_alu instid0(VALU_DEP_1) | instskip(SKIP_1) | instid1(VALU_DEP_2)
	v_subrev_nc_u32_e32 v13, 28, v12
	v_sub_nc_u32_e32 v12, 29, v12
	v_lshlrev_b64_e32 v[8:9], v13, v[8:9]
	s_delay_alu instid0(VALU_DEP_1)
	v_and_b32_e32 v8, 7, v8
; %bb.531:                              ;   in Loop: Header=BB361_10 Depth=1
	s_or_b32 exec_lo, exec_lo, s33
	s_delay_alu instid0(VALU_DEP_1) | instskip(SKIP_1) | instid1(VALU_DEP_2)
	v_dual_lshlrev_b32 v9, 16, v26 :: v_dual_lshlrev_b32 v8, 20, v8
	v_lshl_add_u32 v12, v12, 23, 0x3c000000
	v_and_b32_e32 v9, 0x80000000, v9
	s_delay_alu instid0(VALU_DEP_1)
	v_or3_b32 v43, v8, v9, v12
.LBB361_532:                            ;   in Loop: Header=BB361_10 Depth=1
	s_or_b32 exec_lo, exec_lo, s31
.LBB361_533:                            ;   in Loop: Header=BB361_10 Depth=1
	s_delay_alu instid0(SALU_CYCLE_1)
	s_or_b32 exec_lo, exec_lo, s30
.LBB361_534:                            ;   in Loop: Header=BB361_10 Depth=1
	s_delay_alu instid0(SALU_CYCLE_1) | instskip(SKIP_2) | instid1(VALU_DEP_1)
	s_or_b32 exec_lo, exec_lo, s29
	v_lshrrev_b32_e32 v8, 16, v25
	s_mov_b32 s29, exec_lo
	v_and_b32_e32 v9, 0xff, v8
	s_delay_alu instid0(VALU_DEP_1)
	v_cmpx_ne_u16_e32 0, v9
	s_cbranch_execz .LBB361_542
; %bb.535:                              ;   in Loop: Header=BB361_10 Depth=1
	v_bfrev_b32_e32 v44, 1
	s_mov_b32 s30, exec_lo
	v_cmpx_ne_u16_e32 0x80, v9
	s_cbranch_execz .LBB361_541
; %bb.536:                              ;   in Loop: Header=BB361_10 Depth=1
	v_bfe_u32 v12, v25, 16, 7
	v_mov_b32_e32 v44, 0x7f800001
	s_mov_b32 s31, exec_lo
	s_delay_alu instid0(VALU_DEP_2)
	v_cmpx_ne_u32_e32 0x7f, v12
	s_cbranch_execz .LBB361_540
; %bb.537:                              ;   in Loop: Header=BB361_10 Depth=1
	v_and_b32_e32 v26, 7, v8
	v_lshrrev_b32_e32 v9, 3, v12
	s_mov_b32 s33, exec_lo
	v_cmpx_gt_u32_e32 8, v12
; %bb.538:                              ;   in Loop: Header=BB361_10 Depth=1
	s_delay_alu instid0(VALU_DEP_3) | instskip(NEXT) | instid1(VALU_DEP_1)
	v_clz_i32_u32_e32 v9, v26
	v_min_u32_e32 v9, 32, v9
	s_delay_alu instid0(VALU_DEP_1) | instskip(NEXT) | instid1(VALU_DEP_1)
	v_subrev_nc_u32_e32 v12, 28, v9
	v_lshlrev_b64_e32 v[12:13], v12, v[26:27]
	s_delay_alu instid0(VALU_DEP_1)
	v_dual_sub_nc_u32 v9, 29, v9 :: v_dual_bitop2_b32 v26, 7, v12 bitop3:0x40
; %bb.539:                              ;   in Loop: Header=BB361_10 Depth=1
	s_or_b32 exec_lo, exec_lo, s33
	s_delay_alu instid0(VALU_DEP_1) | instskip(NEXT) | instid1(VALU_DEP_2)
	v_dual_lshlrev_b32 v8, 24, v8 :: v_dual_lshlrev_b32 v12, 20, v26
	v_lshl_add_u32 v9, v9, 23, 0x3c000000
	s_delay_alu instid0(VALU_DEP_2) | instskip(NEXT) | instid1(VALU_DEP_1)
	v_and_b32_e32 v8, 0x80000000, v8
	v_or3_b32 v44, v12, v8, v9
.LBB361_540:                            ;   in Loop: Header=BB361_10 Depth=1
	s_or_b32 exec_lo, exec_lo, s31
.LBB361_541:                            ;   in Loop: Header=BB361_10 Depth=1
	s_delay_alu instid0(SALU_CYCLE_1)
	s_or_b32 exec_lo, exec_lo, s30
.LBB361_542:                            ;   in Loop: Header=BB361_10 Depth=1
	s_delay_alu instid0(SALU_CYCLE_1)
	s_or_b32 exec_lo, exec_lo, s29
	v_cmp_lt_u64_e64 s3, s[20:21], v[24:25]
	v_dual_mov_b32 v24, 0 :: v_dual_mov_b32 v45, 0
	s_and_saveexec_b32 s29, s3
	s_cbranch_execz .LBB361_550
; %bb.543:                              ;   in Loop: Header=BB361_10 Depth=1
	v_lshrrev_b32_e32 v8, 24, v25
	v_bfrev_b32_e32 v45, 1
	s_mov_b32 s30, exec_lo
	s_delay_alu instid0(VALU_DEP_2)
	v_cmpx_ne_u32_e32 0x80, v8
	s_cbranch_execz .LBB361_549
; %bb.544:                              ;   in Loop: Header=BB361_10 Depth=1
	v_bfe_u32 v12, v25, 24, 7
	v_mov_b32_e32 v45, 0x7f800001
	s_mov_b32 s31, exec_lo
	s_delay_alu instid0(VALU_DEP_2)
	v_cmpx_ne_u32_e32 0x7f, v12
	s_cbranch_execz .LBB361_548
; %bb.545:                              ;   in Loop: Header=BB361_10 Depth=1
	v_and_b32_e32 v26, 7, v8
	v_lshrrev_b32_e32 v9, 3, v12
	s_mov_b32 s33, exec_lo
	v_cmpx_gt_u32_e32 8, v12
; %bb.546:                              ;   in Loop: Header=BB361_10 Depth=1
	s_delay_alu instid0(VALU_DEP_3) | instskip(NEXT) | instid1(VALU_DEP_1)
	v_clz_i32_u32_e32 v9, v26
	v_min_u32_e32 v9, 32, v9
	s_delay_alu instid0(VALU_DEP_1) | instskip(NEXT) | instid1(VALU_DEP_1)
	v_subrev_nc_u32_e32 v12, 28, v9
	v_lshlrev_b64_e32 v[12:13], v12, v[26:27]
	s_delay_alu instid0(VALU_DEP_1)
	v_dual_sub_nc_u32 v9, 29, v9 :: v_dual_bitop2_b32 v26, 7, v12 bitop3:0x40
; %bb.547:                              ;   in Loop: Header=BB361_10 Depth=1
	s_or_b32 exec_lo, exec_lo, s33
	s_delay_alu instid0(VALU_DEP_1) | instskip(NEXT) | instid1(VALU_DEP_2)
	v_dual_lshlrev_b32 v8, 24, v8 :: v_dual_lshlrev_b32 v12, 20, v26
	v_lshl_add_u32 v9, v9, 23, 0x3c000000
	s_delay_alu instid0(VALU_DEP_2) | instskip(NEXT) | instid1(VALU_DEP_1)
	v_and_b32_e32 v8, 0x80000000, v8
	v_or3_b32 v45, v12, v8, v9
.LBB361_548:                            ;   in Loop: Header=BB361_10 Depth=1
	s_or_b32 exec_lo, exec_lo, s31
.LBB361_549:                            ;   in Loop: Header=BB361_10 Depth=1
	s_delay_alu instid0(SALU_CYCLE_1)
	s_or_b32 exec_lo, exec_lo, s30
.LBB361_550:                            ;   in Loop: Header=BB361_10 Depth=1
	s_delay_alu instid0(SALU_CYCLE_1)
	s_or_b32 exec_lo, exec_lo, s29
	global_load_b64 v[46:47], v[100:101], off offset:2056
	s_mov_b32 s29, exec_lo
	s_wait_loadcnt 0x0
	v_and_b32_e32 v8, 0xff, v46
	s_wait_xcnt 0x0
	s_delay_alu instid0(VALU_DEP_1)
	v_cmpx_ne_u16_e32 0, v8
	s_cbranch_execz .LBB361_556
; %bb.551:                              ;   in Loop: Header=BB361_10 Depth=1
	v_bfrev_b32_e32 v24, 1
	s_mov_b32 s30, exec_lo
	v_cmpx_ne_u16_e32 0x80, v8
	s_cbranch_execz .LBB361_555
; %bb.552:                              ;   in Loop: Header=BB361_10 Depth=1
	v_and_b32_e32 v8, 0x7f, v46
	v_mov_b32_e32 v24, 0x7f800001
	s_mov_b32 s31, exec_lo
	s_delay_alu instid0(VALU_DEP_2)
	v_cmpx_ne_u32_e32 0x7f, v8
	s_cbranch_execz .LBB361_554
; %bb.553:                              ;   in Loop: Header=BB361_10 Depth=1
	v_dual_lshrrev_b32 v12, 3, v8 :: v_dual_bitop2_b32 v9, 7, v46 bitop3:0x40
	v_cmp_gt_u32_e64 s3, 8, v8
	s_delay_alu instid0(VALU_DEP_2) | instskip(NEXT) | instid1(VALU_DEP_1)
	v_clz_i32_u32_e32 v8, v9
	v_min_u32_e32 v8, 32, v8
	s_delay_alu instid0(VALU_DEP_1) | instskip(SKIP_1) | instid1(VALU_DEP_1)
	v_subrev_nc_u32_e32 v9, 28, v8
	v_sub_nc_u32_e32 v8, 29, v8
	v_dual_cndmask_b32 v12, v12, v8, s3 :: v_dual_cndmask_b32 v8, 0, v9, s3
	s_delay_alu instid0(VALU_DEP_1) | instskip(NEXT) | instid1(VALU_DEP_2)
	v_lshl_add_u32 v12, v12, 23, 0x3c000000
	v_lshlrev_b64_e32 v[8:9], v8, v[46:47]
	v_lshlrev_b32_e32 v9, 24, v46
	s_delay_alu instid0(VALU_DEP_1) | instskip(NEXT) | instid1(VALU_DEP_3)
	v_and_b32_e32 v9, 0x80000000, v9
	v_lshlrev_b32_e32 v8, 20, v8
	s_delay_alu instid0(VALU_DEP_1) | instskip(NEXT) | instid1(VALU_DEP_1)
	v_and_b32_e32 v8, 0x700000, v8
	v_or3_b32 v24, v8, v9, v12
.LBB361_554:                            ;   in Loop: Header=BB361_10 Depth=1
	s_or_b32 exec_lo, exec_lo, s31
.LBB361_555:                            ;   in Loop: Header=BB361_10 Depth=1
	s_delay_alu instid0(SALU_CYCLE_1)
	s_or_b32 exec_lo, exec_lo, s30
.LBB361_556:                            ;   in Loop: Header=BB361_10 Depth=1
	s_delay_alu instid0(SALU_CYCLE_1) | instskip(SKIP_3) | instid1(VALU_DEP_2)
	s_or_b32 exec_lo, exec_lo, s29
	v_lshrrev_b16 v8, 8, v46
	v_dual_mov_b32 v100, 0 :: v_dual_mov_b32 v25, 0
	s_mov_b32 s29, exec_lo
	v_cmpx_ne_u16_e32 0, v8
	s_cbranch_execz .LBB361_564
; %bb.557:                              ;   in Loop: Header=BB361_10 Depth=1
	v_bfrev_b32_e32 v25, 1
	s_mov_b32 s30, exec_lo
	v_cmpx_ne_u16_e32 0x80, v8
	s_cbranch_execz .LBB361_563
; %bb.558:                              ;   in Loop: Header=BB361_10 Depth=1
	v_and_b32_e32 v8, 0xffff, v8
	v_mov_b32_e32 v25, 0x7f800001
	s_mov_b32 s31, exec_lo
	s_delay_alu instid0(VALU_DEP_2) | instskip(NEXT) | instid1(VALU_DEP_1)
	v_and_b32_e32 v9, 0x7f, v8
	v_cmpx_ne_u32_e32 0x7f, v9
	s_cbranch_execz .LBB361_562
; %bb.559:                              ;   in Loop: Header=BB361_10 Depth=1
	v_dual_lshrrev_b32 v8, 3, v9 :: v_dual_bitop2_b32 v26, 7, v8 bitop3:0x40
	s_mov_b32 s33, exec_lo
	v_cmpx_gt_u32_e32 8, v9
; %bb.560:                              ;   in Loop: Header=BB361_10 Depth=1
	s_delay_alu instid0(VALU_DEP_2) | instskip(NEXT) | instid1(VALU_DEP_1)
	v_clz_i32_u32_e32 v8, v26
	v_min_u32_e32 v8, 32, v8
	s_delay_alu instid0(VALU_DEP_1) | instskip(SKIP_1) | instid1(VALU_DEP_2)
	v_subrev_nc_u32_e32 v9, 28, v8
	v_sub_nc_u32_e32 v8, 29, v8
	v_lshlrev_b64_e32 v[12:13], v9, v[26:27]
	s_delay_alu instid0(VALU_DEP_1)
	v_and_b32_e32 v26, 7, v12
; %bb.561:                              ;   in Loop: Header=BB361_10 Depth=1
	s_or_b32 exec_lo, exec_lo, s33
	v_lshlrev_b32_e32 v9, 16, v46
	s_delay_alu instid0(VALU_DEP_2) | instskip(SKIP_1) | instid1(VALU_DEP_3)
	v_lshlrev_b32_e32 v12, 20, v26
	v_lshl_add_u32 v8, v8, 23, 0x3c000000
	v_and_b32_e32 v9, 0x80000000, v9
	s_delay_alu instid0(VALU_DEP_1)
	v_or3_b32 v25, v12, v9, v8
.LBB361_562:                            ;   in Loop: Header=BB361_10 Depth=1
	s_or_b32 exec_lo, exec_lo, s31
.LBB361_563:                            ;   in Loop: Header=BB361_10 Depth=1
	s_delay_alu instid0(SALU_CYCLE_1)
	s_or_b32 exec_lo, exec_lo, s30
.LBB361_564:                            ;   in Loop: Header=BB361_10 Depth=1
	s_delay_alu instid0(SALU_CYCLE_1) | instskip(SKIP_2) | instid1(VALU_DEP_1)
	s_or_b32 exec_lo, exec_lo, s29
	v_lshrrev_b32_e32 v8, 16, v46
	s_mov_b32 s29, exec_lo
	v_and_b32_e32 v9, 0xff, v8
	s_delay_alu instid0(VALU_DEP_1)
	v_cmpx_ne_u16_e32 0, v9
	s_cbranch_execz .LBB361_572
; %bb.565:                              ;   in Loop: Header=BB361_10 Depth=1
	v_bfrev_b32_e32 v100, 1
	s_mov_b32 s30, exec_lo
	v_cmpx_ne_u16_e32 0x80, v9
	s_cbranch_execz .LBB361_571
; %bb.566:                              ;   in Loop: Header=BB361_10 Depth=1
	v_bfe_u32 v12, v46, 16, 7
	v_mov_b32_e32 v100, 0x7f800001
	s_mov_b32 s31, exec_lo
	s_delay_alu instid0(VALU_DEP_2)
	v_cmpx_ne_u32_e32 0x7f, v12
	s_cbranch_execz .LBB361_570
; %bb.567:                              ;   in Loop: Header=BB361_10 Depth=1
	v_and_b32_e32 v26, 7, v8
	v_lshrrev_b32_e32 v9, 3, v12
	s_mov_b32 s33, exec_lo
	v_cmpx_gt_u32_e32 8, v12
; %bb.568:                              ;   in Loop: Header=BB361_10 Depth=1
	s_delay_alu instid0(VALU_DEP_3) | instskip(NEXT) | instid1(VALU_DEP_1)
	v_clz_i32_u32_e32 v9, v26
	v_min_u32_e32 v9, 32, v9
	s_delay_alu instid0(VALU_DEP_1) | instskip(NEXT) | instid1(VALU_DEP_1)
	v_subrev_nc_u32_e32 v12, 28, v9
	v_lshlrev_b64_e32 v[12:13], v12, v[26:27]
	s_delay_alu instid0(VALU_DEP_1)
	v_dual_sub_nc_u32 v9, 29, v9 :: v_dual_bitop2_b32 v26, 7, v12 bitop3:0x40
; %bb.569:                              ;   in Loop: Header=BB361_10 Depth=1
	s_or_b32 exec_lo, exec_lo, s33
	s_delay_alu instid0(VALU_DEP_1) | instskip(NEXT) | instid1(VALU_DEP_2)
	v_dual_lshlrev_b32 v8, 24, v8 :: v_dual_lshlrev_b32 v12, 20, v26
	v_lshl_add_u32 v9, v9, 23, 0x3c000000
	s_delay_alu instid0(VALU_DEP_2) | instskip(NEXT) | instid1(VALU_DEP_1)
	v_and_b32_e32 v8, 0x80000000, v8
	v_or3_b32 v100, v12, v8, v9
.LBB361_570:                            ;   in Loop: Header=BB361_10 Depth=1
	s_or_b32 exec_lo, exec_lo, s31
.LBB361_571:                            ;   in Loop: Header=BB361_10 Depth=1
	s_delay_alu instid0(SALU_CYCLE_1)
	s_or_b32 exec_lo, exec_lo, s30
.LBB361_572:                            ;   in Loop: Header=BB361_10 Depth=1
	s_delay_alu instid0(SALU_CYCLE_1)
	s_or_b32 exec_lo, exec_lo, s29
	v_dual_mov_b32 v16, 0 :: v_dual_mov_b32 v101, 0
	s_mov_b32 s29, exec_lo
	v_cmpx_lt_u32_e32 0xffffff, v46
	s_cbranch_execz .LBB361_580
; %bb.573:                              ;   in Loop: Header=BB361_10 Depth=1
	v_lshrrev_b32_e32 v8, 24, v46
	v_bfrev_b32_e32 v101, 1
	s_mov_b32 s30, exec_lo
	s_delay_alu instid0(VALU_DEP_2)
	v_cmpx_ne_u32_e32 0x80, v8
	s_cbranch_execz .LBB361_579
; %bb.574:                              ;   in Loop: Header=BB361_10 Depth=1
	v_bfe_u32 v12, v46, 24, 7
	v_mov_b32_e32 v101, 0x7f800001
	s_mov_b32 s31, exec_lo
	s_delay_alu instid0(VALU_DEP_2)
	v_cmpx_ne_u32_e32 0x7f, v12
	s_cbranch_execz .LBB361_578
; %bb.575:                              ;   in Loop: Header=BB361_10 Depth=1
	v_and_b32_e32 v26, 7, v8
	v_lshrrev_b32_e32 v9, 3, v12
	s_mov_b32 s33, exec_lo
	v_cmpx_gt_u32_e32 8, v12
; %bb.576:                              ;   in Loop: Header=BB361_10 Depth=1
	s_delay_alu instid0(VALU_DEP_3) | instskip(NEXT) | instid1(VALU_DEP_1)
	v_clz_i32_u32_e32 v9, v26
	v_min_u32_e32 v9, 32, v9
	s_delay_alu instid0(VALU_DEP_1) | instskip(NEXT) | instid1(VALU_DEP_1)
	v_subrev_nc_u32_e32 v12, 28, v9
	v_lshlrev_b64_e32 v[12:13], v12, v[26:27]
	s_delay_alu instid0(VALU_DEP_1)
	v_dual_sub_nc_u32 v9, 29, v9 :: v_dual_bitop2_b32 v26, 7, v12 bitop3:0x40
; %bb.577:                              ;   in Loop: Header=BB361_10 Depth=1
	s_or_b32 exec_lo, exec_lo, s33
	s_delay_alu instid0(VALU_DEP_1) | instskip(NEXT) | instid1(VALU_DEP_2)
	v_dual_lshlrev_b32 v8, 24, v8 :: v_dual_lshlrev_b32 v12, 20, v26
	v_lshl_add_u32 v9, v9, 23, 0x3c000000
	s_delay_alu instid0(VALU_DEP_2) | instskip(NEXT) | instid1(VALU_DEP_1)
	v_and_b32_e32 v8, 0x80000000, v8
	v_or3_b32 v101, v12, v8, v9
.LBB361_578:                            ;   in Loop: Header=BB361_10 Depth=1
	s_or_b32 exec_lo, exec_lo, s31
.LBB361_579:                            ;   in Loop: Header=BB361_10 Depth=1
	s_delay_alu instid0(SALU_CYCLE_1)
	s_or_b32 exec_lo, exec_lo, s30
.LBB361_580:                            ;   in Loop: Header=BB361_10 Depth=1
	s_delay_alu instid0(SALU_CYCLE_1) | instskip(SKIP_3) | instid1(VALU_DEP_2)
	s_or_b32 exec_lo, exec_lo, s29
	v_and_b32_e32 v8, 0xff, v47
	v_mov_b32_e32 v26, v47
	s_mov_b32 s29, exec_lo
	v_cmpx_ne_u16_e32 0, v8
	s_cbranch_execz .LBB361_586
; %bb.581:                              ;   in Loop: Header=BB361_10 Depth=1
	v_bfrev_b32_e32 v16, 1
	s_mov_b32 s30, exec_lo
	v_cmpx_ne_u16_e32 0x80, v8
	s_cbranch_execz .LBB361_585
; %bb.582:                              ;   in Loop: Header=BB361_10 Depth=1
	v_and_b32_e32 v8, 0x7f, v47
	v_mov_b32_e32 v16, 0x7f800001
	s_mov_b32 s31, exec_lo
	s_delay_alu instid0(VALU_DEP_2)
	v_cmpx_ne_u32_e32 0x7f, v8
	s_cbranch_execz .LBB361_584
; %bb.583:                              ;   in Loop: Header=BB361_10 Depth=1
	v_dual_lshrrev_b32 v12, 3, v8 :: v_dual_bitop2_b32 v9, 7, v47 bitop3:0x40
	v_cmp_gt_u32_e64 s3, 8, v8
	s_delay_alu instid0(VALU_DEP_2) | instskip(NEXT) | instid1(VALU_DEP_1)
	v_clz_i32_u32_e32 v8, v9
	v_min_u32_e32 v8, 32, v8
	s_delay_alu instid0(VALU_DEP_1) | instskip(SKIP_1) | instid1(VALU_DEP_1)
	v_subrev_nc_u32_e32 v9, 28, v8
	v_sub_nc_u32_e32 v8, 29, v8
	v_dual_cndmask_b32 v12, v12, v8, s3 :: v_dual_cndmask_b32 v8, 0, v9, s3
	s_delay_alu instid0(VALU_DEP_1) | instskip(NEXT) | instid1(VALU_DEP_2)
	v_lshl_add_u32 v12, v12, 23, 0x3c000000
	v_lshlrev_b64_e32 v[8:9], v8, v[26:27]
	v_lshlrev_b32_e32 v9, 24, v26
	s_delay_alu instid0(VALU_DEP_1) | instskip(NEXT) | instid1(VALU_DEP_3)
	v_and_b32_e32 v9, 0x80000000, v9
	v_lshlrev_b32_e32 v8, 20, v8
	s_delay_alu instid0(VALU_DEP_1) | instskip(NEXT) | instid1(VALU_DEP_1)
	v_and_b32_e32 v8, 0x700000, v8
	v_or3_b32 v16, v8, v9, v12
.LBB361_584:                            ;   in Loop: Header=BB361_10 Depth=1
	s_or_b32 exec_lo, exec_lo, s31
.LBB361_585:                            ;   in Loop: Header=BB361_10 Depth=1
	s_delay_alu instid0(SALU_CYCLE_1)
	s_or_b32 exec_lo, exec_lo, s30
.LBB361_586:                            ;   in Loop: Header=BB361_10 Depth=1
	s_delay_alu instid0(SALU_CYCLE_1) | instskip(SKIP_3) | instid1(VALU_DEP_2)
	s_or_b32 exec_lo, exec_lo, s29
	v_lshrrev_b16 v8, 8, v26
	v_dual_mov_b32 v48, 0 :: v_dual_mov_b32 v17, 0
	s_mov_b32 s29, exec_lo
	v_cmpx_ne_u16_e32 0, v8
	s_cbranch_execz .LBB361_594
; %bb.587:                              ;   in Loop: Header=BB361_10 Depth=1
	v_bfrev_b32_e32 v17, 1
	s_mov_b32 s30, exec_lo
	v_cmpx_ne_u16_e32 0x80, v8
	s_cbranch_execz .LBB361_593
; %bb.588:                              ;   in Loop: Header=BB361_10 Depth=1
	v_and_b32_e32 v8, 0xffff, v8
	v_mov_b32_e32 v17, 0x7f800001
	s_mov_b32 s31, exec_lo
	s_delay_alu instid0(VALU_DEP_2) | instskip(NEXT) | instid1(VALU_DEP_1)
	v_and_b32_e32 v13, 0x7f, v8
	v_cmpx_ne_u32_e32 0x7f, v13
	s_cbranch_execz .LBB361_592
; %bb.589:                              ;   in Loop: Header=BB361_10 Depth=1
	v_dual_mov_b32 v9, v27 :: v_dual_bitop2_b32 v8, 7, v8 bitop3:0x40
	v_lshrrev_b32_e32 v12, 3, v13
	s_mov_b32 s33, exec_lo
	v_cmpx_gt_u32_e32 8, v13
; %bb.590:                              ;   in Loop: Header=BB361_10 Depth=1
	s_delay_alu instid0(VALU_DEP_3) | instskip(NEXT) | instid1(VALU_DEP_1)
	v_clz_i32_u32_e32 v12, v8
	v_min_u32_e32 v12, 32, v12
	s_delay_alu instid0(VALU_DEP_1) | instskip(SKIP_1) | instid1(VALU_DEP_2)
	v_subrev_nc_u32_e32 v13, 28, v12
	v_sub_nc_u32_e32 v12, 29, v12
	v_lshlrev_b64_e32 v[8:9], v13, v[8:9]
	s_delay_alu instid0(VALU_DEP_1)
	v_and_b32_e32 v8, 7, v8
; %bb.591:                              ;   in Loop: Header=BB361_10 Depth=1
	s_or_b32 exec_lo, exec_lo, s33
	s_delay_alu instid0(VALU_DEP_1) | instskip(SKIP_1) | instid1(VALU_DEP_2)
	v_dual_lshlrev_b32 v9, 16, v26 :: v_dual_lshlrev_b32 v8, 20, v8
	v_lshl_add_u32 v12, v12, 23, 0x3c000000
	v_and_b32_e32 v9, 0x80000000, v9
	s_delay_alu instid0(VALU_DEP_1)
	v_or3_b32 v17, v8, v9, v12
.LBB361_592:                            ;   in Loop: Header=BB361_10 Depth=1
	s_or_b32 exec_lo, exec_lo, s31
.LBB361_593:                            ;   in Loop: Header=BB361_10 Depth=1
	s_delay_alu instid0(SALU_CYCLE_1)
	s_or_b32 exec_lo, exec_lo, s30
.LBB361_594:                            ;   in Loop: Header=BB361_10 Depth=1
	s_delay_alu instid0(SALU_CYCLE_1) | instskip(SKIP_2) | instid1(VALU_DEP_1)
	s_or_b32 exec_lo, exec_lo, s29
	v_lshrrev_b32_e32 v8, 16, v47
	s_mov_b32 s29, exec_lo
	v_and_b32_e32 v9, 0xff, v8
	s_delay_alu instid0(VALU_DEP_1)
	v_cmpx_ne_u16_e32 0, v9
	s_cbranch_execz .LBB361_602
; %bb.595:                              ;   in Loop: Header=BB361_10 Depth=1
	v_bfrev_b32_e32 v48, 1
	s_mov_b32 s30, exec_lo
	v_cmpx_ne_u16_e32 0x80, v9
	s_cbranch_execz .LBB361_601
; %bb.596:                              ;   in Loop: Header=BB361_10 Depth=1
	v_bfe_u32 v12, v47, 16, 7
	v_mov_b32_e32 v48, 0x7f800001
	s_mov_b32 s31, exec_lo
	s_delay_alu instid0(VALU_DEP_2)
	v_cmpx_ne_u32_e32 0x7f, v12
	s_cbranch_execz .LBB361_600
; %bb.597:                              ;   in Loop: Header=BB361_10 Depth=1
	v_and_b32_e32 v26, 7, v8
	v_lshrrev_b32_e32 v9, 3, v12
	s_mov_b32 s33, exec_lo
	v_cmpx_gt_u32_e32 8, v12
; %bb.598:                              ;   in Loop: Header=BB361_10 Depth=1
	s_delay_alu instid0(VALU_DEP_3) | instskip(NEXT) | instid1(VALU_DEP_1)
	v_clz_i32_u32_e32 v9, v26
	v_min_u32_e32 v9, 32, v9
	s_delay_alu instid0(VALU_DEP_1) | instskip(NEXT) | instid1(VALU_DEP_1)
	v_subrev_nc_u32_e32 v12, 28, v9
	v_lshlrev_b64_e32 v[12:13], v12, v[26:27]
	s_delay_alu instid0(VALU_DEP_1)
	v_dual_sub_nc_u32 v9, 29, v9 :: v_dual_bitop2_b32 v26, 7, v12 bitop3:0x40
; %bb.599:                              ;   in Loop: Header=BB361_10 Depth=1
	s_or_b32 exec_lo, exec_lo, s33
	s_delay_alu instid0(VALU_DEP_1) | instskip(NEXT) | instid1(VALU_DEP_2)
	v_dual_lshlrev_b32 v8, 24, v8 :: v_dual_lshlrev_b32 v12, 20, v26
	v_lshl_add_u32 v9, v9, 23, 0x3c000000
	s_delay_alu instid0(VALU_DEP_2) | instskip(NEXT) | instid1(VALU_DEP_1)
	v_and_b32_e32 v8, 0x80000000, v8
	v_or3_b32 v48, v12, v8, v9
.LBB361_600:                            ;   in Loop: Header=BB361_10 Depth=1
	s_or_b32 exec_lo, exec_lo, s31
.LBB361_601:                            ;   in Loop: Header=BB361_10 Depth=1
	s_delay_alu instid0(SALU_CYCLE_1)
	s_or_b32 exec_lo, exec_lo, s30
.LBB361_602:                            ;   in Loop: Header=BB361_10 Depth=1
	s_delay_alu instid0(SALU_CYCLE_1)
	s_or_b32 exec_lo, exec_lo, s29
	v_mov_b32_e32 v49, 0
	s_mov_b32 s29, exec_lo
	v_cmpx_lt_u64_e64 s[20:21], v[46:47]
	s_cbranch_execz .LBB361_9
; %bb.603:                              ;   in Loop: Header=BB361_10 Depth=1
	v_lshrrev_b32_e32 v8, 24, v47
	v_bfrev_b32_e32 v49, 1
	s_mov_b32 s30, exec_lo
	s_delay_alu instid0(VALU_DEP_2)
	v_cmpx_ne_u32_e32 0x80, v8
	s_cbranch_execz .LBB361_8
; %bb.604:                              ;   in Loop: Header=BB361_10 Depth=1
	v_bfe_u32 v12, v47, 24, 7
	v_mov_b32_e32 v49, 0x7f800001
	s_mov_b32 s31, exec_lo
	s_delay_alu instid0(VALU_DEP_2)
	v_cmpx_ne_u32_e32 0x7f, v12
	s_cbranch_execz .LBB361_7
; %bb.605:                              ;   in Loop: Header=BB361_10 Depth=1
	v_and_b32_e32 v26, 7, v8
	v_lshrrev_b32_e32 v9, 3, v12
	s_mov_b32 s33, exec_lo
	v_cmpx_gt_u32_e32 8, v12
	s_cbranch_execz .LBB361_6
; %bb.606:                              ;   in Loop: Header=BB361_10 Depth=1
	v_clz_i32_u32_e32 v9, v26
	s_delay_alu instid0(VALU_DEP_1) | instskip(NEXT) | instid1(VALU_DEP_1)
	v_min_u32_e32 v9, 32, v9
	v_subrev_nc_u32_e32 v12, 28, v9
	s_delay_alu instid0(VALU_DEP_1) | instskip(NEXT) | instid1(VALU_DEP_1)
	v_lshlrev_b64_e32 v[12:13], v12, v[26:27]
	v_dual_sub_nc_u32 v9, 29, v9 :: v_dual_bitop2_b32 v26, 7, v12 bitop3:0x40
	s_branch .LBB361_6
.LBB361_607:
	s_or_b32 exec_lo, exec_lo, s11
	s_clause 0x2
	scratch_load_b32 v24, off, off offset:224
	scratch_load_b32 v28, off, off offset:228
	;; [unrolled: 1-line block ×3, first 2 shown]
.LBB361_608:
	s_wait_xcnt 0x0
	s_or_b32 exec_lo, exec_lo, s26
	v_mbcnt_lo_u32_b32 v3, -1, 0
	s_clause 0x1
	s_load_b64 s[4:5], s[0:1], 0x0
	s_load_b64 s[18:19], s[0:1], 0x18
	s_delay_alu instid0(VALU_DEP_1) | instskip(SKIP_1) | instid1(VALU_DEP_2)
	v_xor_b32_e32 v0, 16, v3
	v_xor_b32_e32 v2, 8, v3
	v_cmp_gt_i32_e32 vcc_lo, 32, v0
	v_cndmask_b32_e32 v0, v3, v0, vcc_lo
	s_delay_alu instid0(VALU_DEP_3) | instskip(NEXT) | instid1(VALU_DEP_2)
	v_cmp_gt_i32_e32 vcc_lo, 32, v2
	v_dual_lshlrev_b32 v0, 2, v0 :: v_dual_cndmask_b32 v2, v3, v2, vcc_lo
	ds_bpermute_b32 v1, v0, v4
	s_wait_dscnt 0x0
	v_dual_max_num_f32 v4, v4, v4 :: v_dual_max_num_f32 v5, v1, v1
	s_delay_alu instid0(VALU_DEP_1)
	v_dual_max_num_f32 v4, v4, v5 :: v_dual_lshlrev_b32 v1, 2, v2
	v_xor_b32_e32 v5, 4, v3
	ds_bpermute_b32 v2, v1, v4
	v_cmp_gt_i32_e32 vcc_lo, 32, v5
	s_wait_dscnt 0x0
	v_dual_cndmask_b32 v5, v3, v5 :: v_dual_max_num_f32 v6, v2, v2
	s_delay_alu instid0(VALU_DEP_1) | instskip(SKIP_3) | instid1(VALU_DEP_1)
	v_dual_lshlrev_b32 v2, 2, v5 :: v_dual_max_num_f32 v4, v4, v6
	ds_bpermute_b32 v5, v2, v4
	s_wait_dscnt 0x0
	v_dual_max_num_f32 v5, v5, v5 :: v_dual_bitop2_b32 v6, 2, v3 bitop3:0x14
	v_cmp_gt_i32_e32 vcc_lo, 32, v6
	s_delay_alu instid0(VALU_DEP_2) | instskip(NEXT) | instid1(VALU_DEP_1)
	v_dual_max_num_f32 v4, v4, v5 :: v_dual_cndmask_b32 v6, v3, v6, vcc_lo
	v_dual_lshlrev_b32 v31, 2, v6 :: v_dual_bitop2_b32 v6, 1, v3 bitop3:0x14
	ds_bpermute_b32 v5, v31, v4
	v_cmp_gt_i32_e32 vcc_lo, 32, v6
	v_cndmask_b32_e32 v3, v3, v6, vcc_lo
	s_delay_alu instid0(VALU_DEP_1) | instskip(SKIP_3) | instid1(VALU_DEP_1)
	v_lshlrev_b32_e32 v30, 2, v3
	scratch_load_b32 v3, off, off offset:216 ; 4-byte Folded Reload
	s_wait_dscnt 0x0
	v_max_num_f32_e32 v5, v5, v5
	v_max_num_f32_e32 v4, v4, v5
	ds_bpermute_b32 v5, v30, v4
	s_wait_loadcnt 0x0
	v_cmp_eq_u32_e32 vcc_lo, 0, v3
	scratch_load_b32 v3, off, off offset:220 ; 4-byte Folded Reload
	s_wait_loadcnt 0x0
	v_lshlrev_b32_e32 v3, 2, v3
	s_wait_xcnt 0x0
	s_and_saveexec_b32 s0, vcc_lo
	s_cbranch_execz .LBB361_610
; %bb.609:
	s_wait_dscnt 0x0
	v_dual_max_num_f32 v5, v5, v5 :: v_dual_max_num_f32 v4, v4, v4
	s_delay_alu instid0(VALU_DEP_1)
	v_max_num_f32_e32 v4, v4, v5
	ds_store_b32 v3, v4 offset:160
.LBB361_610:
	s_or_b32 exec_lo, exec_lo, s0
	scratch_load_b32 v4, off, off offset:216 ; 4-byte Folded Reload
	s_wait_storecnt 0x0
	s_wait_loadcnt_dscnt 0x0
	s_barrier_signal -1
	s_barrier_wait -1
	v_cmp_gt_u32_e64 s0, 4, v4
	v_mov_b32_e32 v4, 0xff7fffff
	s_and_saveexec_b32 s1, s0
; %bb.611:
	ds_load_b32 v4, v26 offset:160
; %bb.612:
	s_or_b32 exec_lo, exec_lo, s1
	s_wait_dscnt 0x0
	ds_bpermute_b32 v5, v31, v4
	v_max_num_f32_e32 v4, v4, v4
	s_lshl_b32 s1, s13, 5
	s_delay_alu instid0(SALU_CYCLE_1) | instskip(NEXT) | instid1(SALU_CYCLE_1)
	s_min_i32 s11, s1, s25
	v_cmp_gt_i32_e64 s1, s11, v24
	s_wait_dscnt 0x0
	v_max_num_f32_e32 v5, v5, v5
	s_delay_alu instid0(VALU_DEP_1) | instskip(SKIP_3) | instid1(VALU_DEP_1)
	v_max_num_f32_e32 v4, v4, v5
	ds_bpermute_b32 v5, v30, v4
	s_wait_dscnt 0x0
	v_max_num_f32_e32 v5, v5, v5
	v_dual_max_num_f32 v5, v4, v5 :: v_dual_mov_b32 v4, 0
	ds_bpermute_b32 v5, v4, v5
	s_and_saveexec_b32 s20, s1
	s_cbranch_execz .LBB361_616
; %bb.613:
	v_lshl_add_u32 v6, v24, 2, 0xc0
	v_dual_mov_b32 v4, 0 :: v_dual_mov_b32 v7, v24
	s_mov_b32 s21, 0
.LBB361_614:                            ; =>This Inner Loop Header: Depth=1
	ds_load_b32 v8, v6
	v_add_nc_u32_e32 v7, 0x80, v7
	s_delay_alu instid0(VALU_DEP_1) | instskip(SKIP_3) | instid1(VALU_DEP_1)
	v_cmp_le_i32_e64 s3, s11, v7
	s_or_b32 s21, s3, s21
	s_wait_dscnt 0x0
	v_sub_f32_e32 v8, v8, v5
	v_mul_f32_e32 v8, 0x3fb8aa3b, v8
	s_delay_alu instid0(VALU_DEP_1)
	v_exp_f32_e32 v8, v8
	ds_store_b32 v6, v8
	v_nop
	v_add_f32_e32 v4, v4, v8
	v_add_nc_u32_e32 v6, 0x200, v6
	s_and_not1_b32 exec_lo, exec_lo, s21
	s_cbranch_execnz .LBB361_614
; %bb.615:
	s_or_b32 exec_lo, exec_lo, s21
.LBB361_616:
	s_delay_alu instid0(SALU_CYCLE_1)
	s_or_b32 exec_lo, exec_lo, s20
	ds_bpermute_b32 v0, v0, v4
	s_wait_dscnt 0x0
	v_add_f32_e32 v0, v4, v0
	ds_bpermute_b32 v1, v1, v0
	s_wait_dscnt 0x0
	v_add_f32_e32 v0, v0, v1
	;; [unrolled: 3-line block ×5, first 2 shown]
	s_and_saveexec_b32 s3, vcc_lo
; %bb.617:
	ds_store_b32 v3, v0 offset:176
; %bb.618:
	s_or_b32 exec_lo, exec_lo, s3
	s_wait_dscnt 0x0
	s_barrier_signal -1
	s_barrier_wait -1
	s_and_saveexec_b32 s3, s0
; %bb.619:
	ds_load_b32 v0, v26 offset:176
; %bb.620:
	s_or_b32 exec_lo, exec_lo, s3
	s_wait_dscnt 0x0
	ds_bpermute_b32 v1, v31, v0
	s_wait_dscnt 0x0
	v_dual_mov_b32 v11, 0 :: v_dual_add_f32 v0, v0, v1
	ds_bpermute_b32 v1, v30, v0
	s_wait_dscnt 0x0
	v_add_f32_e32 v0, v0, v1
	ds_bpermute_b32 v0, v11, v0
	s_and_saveexec_b32 s0, s1
	s_cbranch_execz .LBB361_633
; %bb.621:
	s_wait_dscnt 0x0
	v_add_f32_e32 v0, 0x358637bd, v0
	s_mov_b32 s3, -1
	s_mov_b32 s1, exec_lo
	s_delay_alu instid0(VALU_DEP_1) | instskip(NEXT) | instid1(VALU_DEP_1)
	v_div_scale_f32 v1, null, v0, v0, 1.0
	v_rcp_f32_e32 v3, v1
	v_nop
	s_delay_alu instid0(TRANS32_DEP_1) | instskip(NEXT) | instid1(VALU_DEP_1)
	v_fma_f32 v2, -v1, v3, 1.0
	v_fmac_f32_e32 v3, v2, v3
	v_div_scale_f32 v4, vcc_lo, 1.0, v0, 1.0
	s_delay_alu instid0(VALU_DEP_1) | instskip(NEXT) | instid1(VALU_DEP_1)
	v_mul_f32_e32 v5, v4, v3
	v_fma_f32 v2, -v1, v5, v4
	s_delay_alu instid0(VALU_DEP_1) | instskip(SKIP_1) | instid1(VALU_DEP_2)
	v_fmac_f32_e32 v5, v2, v3
	v_xad_u32 v2, v24, -1, s11
	v_fma_f32 v1, -v1, v5, v4
	s_delay_alu instid0(VALU_DEP_1) | instskip(NEXT) | instid1(VALU_DEP_1)
	v_div_fmas_f32 v1, v1, v3, v5
	v_div_fixup_f32 v0, v1, v0, 1.0
	v_mov_b32_e32 v1, v24
	v_cmpx_lt_u32_e32 0x7f, v2
	s_cbranch_execz .LBB361_630
; %bb.622:
	s_delay_alu instid0(VALU_DEP_3) | instskip(NEXT) | instid1(VALU_DEP_1)
	v_dual_mov_b32 v1, v0 :: v_dual_lshrrev_b32 v2, 7, v2
	v_dual_mov_b32 v6, 0 :: v_dual_add_nc_u32 v3, -1, v2
	s_delay_alu instid0(VALU_DEP_1) | instskip(SKIP_1) | instid1(VALU_DEP_2)
	v_lshrrev_b32_e32 v4, 1, v3
	v_cmp_lt_u32_e32 vcc_lo, 13, v3
	v_add_nc_u32_e32 v3, 1, v4
	s_and_saveexec_b32 s3, vcc_lo
	s_cbranch_execz .LBB361_626
; %bb.623:
	s_delay_alu instid0(VALU_DEP_1)
	v_and_b32_e32 v4, -8, v3
	v_lshl_add_u32 v5, v24, 2, 0xc0
	s_mov_b32 s20, 0
	s_mov_b32 s21, 0
.LBB361_624:                            ; =>This Inner Loop Header: Depth=1
	ds_load_2addr_stride64_b32 v[6:7], v5 offset1:2
	ds_load_2addr_stride64_b32 v[8:9], v5 offset0:4 offset1:6
	ds_load_2addr_stride64_b32 v[12:13], v5 offset0:8 offset1:10
	;; [unrolled: 1-line block ×7, first 2 shown]
	s_add_co_i32 s21, s21, 16
	v_add_nc_u32_e32 v4, -8, v4
	s_wait_dscnt 0x7
	v_pk_mul_f32 v[6:7], v[0:1], v[6:7]
	s_wait_dscnt 0x6
	v_pk_mul_f32 v[8:9], v[0:1], v[8:9]
	s_wait_dscnt 0x5
	v_pk_mul_f32 v[12:13], v[0:1], v[12:13]
	s_wait_dscnt 0x4
	v_pk_mul_f32 v[14:15], v[0:1], v[14:15]
	s_wait_dscnt 0x3
	v_pk_mul_f32 v[16:17], v[0:1], v[16:17]
	s_wait_dscnt 0x2
	v_pk_mul_f32 v[18:19], v[0:1], v[18:19]
	s_wait_dscnt 0x1
	v_pk_mul_f32 v[20:21], v[0:1], v[20:21]
	s_wait_dscnt 0x0
	v_pk_mul_f32 v[22:23], v[0:1], v[22:23]
	ds_store_2addr_stride64_b32 v5, v6, v7 offset1:2
	ds_store_2addr_stride64_b32 v5, v8, v9 offset0:4 offset1:6
	ds_store_2addr_stride64_b32 v5, v12, v13 offset0:8 offset1:10
	;; [unrolled: 1-line block ×7, first 2 shown]
	v_mov_b32_e32 v6, s21
	v_cmp_eq_u32_e32 vcc_lo, 0, v4
	v_add_nc_u32_e32 v5, 0x2000, v5
	s_or_b32 s20, vcc_lo, s20
	s_delay_alu instid0(SALU_CYCLE_1)
	s_and_not1_b32 exec_lo, exec_lo, s20
	s_cbranch_execnz .LBB361_624
; %bb.625:
	s_or_b32 exec_lo, exec_lo, s20
.LBB361_626:
	s_delay_alu instid0(SALU_CYCLE_1) | instskip(NEXT) | instid1(VALU_DEP_1)
	s_or_b32 exec_lo, exec_lo, s3
	v_and_b32_e32 v3, 7, v3
	s_mov_b32 s20, 0
	s_mov_b32 s3, exec_lo
	s_delay_alu instid0(VALU_DEP_1)
	v_cmpx_ne_u32_e32 0, v3
	s_cbranch_execz .LBB361_629
; %bb.627:
	v_dual_lshlrev_b32 v4, 9, v6 :: v_dual_lshlrev_b32 v5, 2, v24
	s_delay_alu instid0(VALU_DEP_1)
	v_add3_u32 v4, v4, v5, 0xc0
.LBB361_628:                            ; =>This Inner Loop Header: Depth=1
	ds_load_2addr_stride64_b32 v[6:7], v4 offset1:2
	v_add_nc_u32_e32 v3, -1, v3
	s_delay_alu instid0(VALU_DEP_1)
	v_cmp_eq_u32_e32 vcc_lo, 0, v3
	s_or_b32 s20, vcc_lo, s20
	s_wait_dscnt 0x0
	v_pk_mul_f32 v[6:7], v[0:1], v[6:7]
	ds_store_2addr_stride64_b32 v4, v6, v7 offset1:2
	v_add_nc_u32_e32 v4, 0x400, v4
	s_and_not1_b32 exec_lo, exec_lo, s20
	s_cbranch_execnz .LBB361_628
.LBB361_629:
	s_or_b32 exec_lo, exec_lo, s3
	v_add_nc_u32_e32 v1, 1, v2
	s_delay_alu instid0(VALU_DEP_1) | instskip(NEXT) | instid1(VALU_DEP_1)
	v_and_b32_e32 v2, 0x3fffffe, v1
	v_cmp_ne_u32_e32 vcc_lo, v1, v2
	v_lshl_add_u32 v1, v2, 7, v24
	s_or_not1_b32 s3, vcc_lo, exec_lo
.LBB361_630:
	s_or_b32 exec_lo, exec_lo, s1
	s_delay_alu instid0(SALU_CYCLE_1)
	s_and_b32 exec_lo, exec_lo, s3
	s_cbranch_execz .LBB361_633
; %bb.631:
	v_lshl_add_u32 v2, v1, 2, 0xc0
	s_mov_b32 s1, 0
.LBB361_632:                            ; =>This Inner Loop Header: Depth=1
	ds_load_b32 v3, v2
	v_add_nc_u32_e32 v1, 0x80, v1
	s_delay_alu instid0(VALU_DEP_1)
	v_cmp_le_i32_e32 vcc_lo, s11, v1
	s_or_b32 s1, vcc_lo, s1
	s_wait_dscnt 0x0
	v_mul_f32_e32 v3, v0, v3
	ds_store_b32 v2, v3
	v_add_nc_u32_e32 v2, 0x200, v2
	s_and_not1_b32 exec_lo, exec_lo, s1
	s_cbranch_execnz .LBB361_632
.LBB361_633:
	s_or_b32 exec_lo, exec_lo, s0
	v_dual_mov_b32 v10, 0 :: v_dual_bitop2_b32 v32, 3, v24 bitop3:0x40
	v_dual_mov_b32 v13, 0 :: v_dual_mov_b32 v12, 0
	v_dual_mov_b32 v15, 0 :: v_dual_mov_b32 v14, 0
	;; [unrolled: 1-line block ×4, first 2 shown]
	s_wait_dscnt 0x0
	s_barrier_signal -1
	s_barrier_wait -1
	s_and_saveexec_b32 s1, s2
	s_cbranch_execz .LBB361_1257
; %bb.634:
	scratch_load_b32 v35, off, off offset:220 ; 4-byte Folded Reload
	v_dual_mov_b32 v122, v24 :: v_dual_lshlrev_b32 v0, 3, v24
	s_load_b32 s6, s[6:7], 0x0
	v_dual_mov_b32 v21, 0 :: v_dual_lshlrev_b32 v1, 5, v32
	s_ashr_i32 s11, s10, 31
	s_delay_alu instid0(VALU_DEP_2)
	v_and_b32_e32 v20, 0xf8, v0
	s_wait_kmcnt 0x0
	s_add_nc_u64 s[2:3], s[18:19], s[10:11]
	v_dual_mov_b32 v10, 0 :: v_dual_mov_b32 v13, 0
	v_dual_mov_b32 v12, 0 :: v_dual_mov_b32 v15, 0
	v_add_nc_u64_e32 v[22:23], s[2:3], v[20:21]
	v_and_b32_e32 v20, 0x7c, v28
	s_lshl_b64 s[2:3], s[16:17], 2
	v_dual_mov_b32 v14, 0 :: v_dual_mov_b32 v17, 0
	s_add_nc_u64 s[2:3], s[14:15], s[2:3]
	v_dual_mov_b32 v16, 0 :: v_dual_mov_b32 v19, 0
	v_add_nc_u64_e32 v[24:25], s[2:3], v[20:21]
	v_mov_b32_e32 v18, 0
	s_mov_b64 s[2:3], 0xffffffffffffff
	s_mov_b32 s7, s9
	s_add_co_i32 s10, s13, -1
	s_mov_b32 s9, 0
	v_dual_mov_b32 v11, 0 :: v_dual_bitop2_b32 v0, 24, v0 bitop3:0x40
	s_wait_loadcnt 0x0
	v_lshlrev_b32_e32 v2, 5, v35
	v_lshl_or_b32 v1, v35, 7, v1
	s_delay_alu instid0(VALU_DEP_2) | instskip(NEXT) | instid1(VALU_DEP_2)
	v_or3_b32 v33, v2, v0, 7
	v_add_nc_u32_e32 v34, 0xc0, v1
	s_branch .LBB361_636
.LBB361_635:                            ;   in Loop: Header=BB361_636 Depth=1
	s_or_b32 exec_lo, exec_lo, s0
	s_wait_dscnt 0x1
	v_cvt_pk_bf16_f32 v6, v6, v7
	v_perm_b32 v44, v111, v112, 0x5040100
	v_cvt_pk_bf16_f32 v7, v8, v9
	v_perm_b32 v8, v109, v110, 0x5040100
	s_wait_dscnt 0x0
	v_cvt_pk_bf16_f32 v2, v2, v3
	v_perm_b32 v3, v107, v108, 0x5040100
	v_pk_mul_bf16 v9, v6, v44
	v_perm_b32 v28, v29, v28, 0x5040100
	v_pk_mul_bf16 v8, v7, v8
	;; [unrolled: 2-line block ×3, first 2 shown]
	v_lshlrev_b32_e32 v44, 16, v9
	v_and_b32_e32 v9, 0xffff0000, v9
	v_lshlrev_b32_e32 v45, 16, v8
	v_and_b32_e32 v8, 0xffff0000, v8
	v_cvt_pk_bf16_f32 v3, v4, v5
	v_perm_b32 v48, v84, v83, 0x5040100
	v_add_f32_e32 v4, v44, v9
	v_and_b32_e32 v9, 0xffff0000, v46
	v_dual_add_f32 v5, v45, v8 :: v_dual_lshlrev_b32 v8, 16, v46
	v_perm_b32 v40, v40, v41, 0x5040100
	v_perm_b32 v26, v26, v115, 0x5040100
	;; [unrolled: 1-line block ×3, first 2 shown]
	s_delay_alu instid0(VALU_DEP_4)
	v_dual_add_f32 v4, v5, v4 :: v_dual_add_f32 v5, v8, v9
	v_perm_b32 v9, v103, v104, 0x5040100
	v_pk_mul_bf16 v8, v3, v28
	v_pk_mul_bf16 v28, v6, v29
	v_perm_b32 v29, v101, v102, 0x5040100
	v_perm_b32 v1, v27, v20, 0x5040100
	v_pk_mul_bf16 v9, v7, v9
	v_add_nc_u64_e32 v[24:25], 16, v[24:25]
	v_lshlrev_b32_e32 v44, 16, v28
	v_add_f32_e32 v4, v5, v4
	v_and_b32_e32 v28, 0xffff0000, v28
	v_lshlrev_b32_e32 v45, 16, v9
	v_and_b32_e32 v9, 0xffff0000, v9
	v_lshlrev_b32_e32 v5, 16, v8
	v_and_b32_e32 v8, 0xffff0000, v8
	v_pk_mul_bf16 v29, v2, v29
	s_delay_alu instid0(VALU_DEP_4) | instskip(SKIP_1) | instid1(VALU_DEP_3)
	v_dual_add_f32 v28, v44, v28 :: v_dual_add_f32 v9, v45, v9
	v_perm_b32 v45, v87, v88, 0x5040100
	v_dual_add_f32 v5, v5, v8 :: v_dual_lshlrev_b32 v44, 16, v29
	v_perm_b32 v8, v100, v99, 0x5040100
	v_and_b32_e32 v29, 0xffff0000, v29
	s_delay_alu instid0(VALU_DEP_3) | instskip(SKIP_1) | instid1(VALU_DEP_4)
	v_dual_add_f32 v4, v5, v4 :: v_dual_add_nc_u32 v33, 0x80, v33
	v_add_f32_e32 v5, v9, v28
	v_pk_mul_bf16 v8, v3, v8
	s_delay_alu instid0(VALU_DEP_4) | instskip(SKIP_2) | instid1(VALU_DEP_4)
	v_add_f32_e32 v9, v44, v29
	v_perm_b32 v44, v95, v96, 0x5040100
	v_perm_b32 v28, v97, v98, 0x5040100
	v_dual_add_nc_u32 v35, 4, v35 :: v_dual_lshlrev_b32 v29, 16, v8
	s_delay_alu instid0(VALU_DEP_4) | instskip(NEXT) | instid1(VALU_DEP_4)
	v_add_f32_e32 v5, v9, v5
	v_pk_mul_bf16 v9, v7, v44
	v_and_b32_e32 v8, 0xffff0000, v8
	s_delay_alu instid0(VALU_DEP_4) | instskip(SKIP_1) | instid1(VALU_DEP_4)
	v_cmp_le_i32_e32 vcc_lo, s13, v35
	v_add_nc_u32_e32 v34, 0x200, v34
	v_dual_lshlrev_b32 v44, 16, v9 :: v_dual_add_f32 v10, v10, v4
	v_pk_mul_bf16 v4, v6, v28
	v_add_f32_e32 v8, v29, v8
	v_and_b32_e32 v9, 0xffff0000, v9
	v_perm_b32 v28, v93, v94, 0x5040100
	s_or_b32 s9, vcc_lo, s9
	v_lshlrev_b32_e32 v29, 16, v4
	v_and_b32_e32 v4, 0xffff0000, v4
	v_add_f32_e32 v9, v44, v9
	v_perm_b32 v44, v89, v90, 0x5040100
	v_pk_mul_bf16 v28, v2, v28
	s_delay_alu instid0(VALU_DEP_4) | instskip(NEXT) | instid1(VALU_DEP_2)
	v_add_f32_e32 v4, v29, v4
	v_lshlrev_b32_e32 v29, 16, v28
	v_and_b32_e32 v28, 0xffff0000, v28
	s_delay_alu instid0(VALU_DEP_3) | instskip(SKIP_1) | instid1(VALU_DEP_3)
	v_add_f32_e32 v4, v9, v4
	v_pk_mul_bf16 v9, v6, v44
	v_add_f32_e32 v28, v29, v28
	v_pk_mul_bf16 v29, v7, v45
	s_delay_alu instid0(VALU_DEP_3)
	v_lshlrev_b32_e32 v46, 16, v9
	v_add_f32_e32 v5, v8, v5
	v_perm_b32 v8, v92, v91, 0x5040100
	v_perm_b32 v45, v85, v86, 0x5040100
	v_and_b32_e32 v9, 0xffff0000, v9
	v_lshlrev_b32_e32 v47, 16, v29
	v_and_b32_e32 v29, 0xffff0000, v29
	v_pk_mul_bf16 v8, v3, v8
	v_pk_mul_bf16 v45, v2, v45
	v_add_f32_e32 v9, v46, v9
	s_delay_alu instid0(VALU_DEP_3) | instskip(NEXT) | instid1(VALU_DEP_3)
	v_dual_add_f32 v29, v47, v29 :: v_dual_lshlrev_b32 v44, 16, v8
	v_lshlrev_b32_e32 v46, 16, v45
	v_and_b32_e32 v8, 0xffff0000, v8
	v_and_b32_e32 v45, 0xffff0000, v45
	v_pk_mul_bf16 v47, v3, v48
	v_dual_add_f32 v4, v28, v4 :: v_dual_add_f32 v9, v29, v9
	s_delay_alu instid0(VALU_DEP_3) | instskip(NEXT) | instid1(VALU_DEP_3)
	v_dual_add_f32 v8, v44, v8 :: v_dual_add_f32 v28, v46, v45
	v_lshlrev_b32_e32 v29, 16, v47
	v_and_b32_e32 v44, 0xffff0000, v47
	s_delay_alu instid0(VALU_DEP_3) | instskip(SKIP_1) | instid1(VALU_DEP_3)
	v_add_f32_e32 v4, v8, v4
	v_perm_b32 v8, v81, v82, 0x5040100
	v_dual_add_f32 v9, v28, v9 :: v_dual_add_f32 v29, v29, v44
	v_perm_b32 v28, v79, v80, 0x5040100
	s_delay_alu instid0(VALU_DEP_4) | instskip(NEXT) | instid1(VALU_DEP_4)
	v_dual_add_f32 v13, v13, v5 :: v_dual_add_f32 v12, v12, v4
	v_pk_mul_bf16 v5, v6, v8
	v_perm_b32 v44, v71, v72, 0x5040100
	s_delay_alu instid0(VALU_DEP_4) | instskip(SKIP_2) | instid1(VALU_DEP_3)
	v_pk_mul_bf16 v4, v7, v28
	v_add_f32_e32 v8, v29, v9
	v_perm_b32 v9, v77, v78, 0x5040100
	v_dual_lshlrev_b32 v29, 16, v4 :: v_dual_lshlrev_b32 v28, 16, v5
	s_delay_alu instid0(VALU_DEP_3) | instskip(SKIP_4) | instid1(VALU_DEP_3)
	v_add_f32_e32 v15, v15, v8
	v_and_b32_e32 v5, 0xffff0000, v5
	v_and_b32_e32 v4, 0xffff0000, v4
	v_pk_mul_bf16 v9, v2, v9
	v_perm_b32 v8, v76, v75, 0x5040100
	v_dual_add_f32 v5, v28, v5 :: v_dual_add_f32 v4, v29, v4
	s_delay_alu instid0(VALU_DEP_3) | instskip(SKIP_4) | instid1(VALU_DEP_4)
	v_lshlrev_b32_e32 v28, 16, v9
	v_and_b32_e32 v9, 0xffff0000, v9
	v_perm_b32 v29, v73, v74, 0x5040100
	v_pk_mul_bf16 v8, v3, v8
	v_add_f32_e32 v4, v4, v5
	v_add_f32_e32 v5, v28, v9
	s_delay_alu instid0(VALU_DEP_4) | instskip(NEXT) | instid1(VALU_DEP_4)
	v_pk_mul_bf16 v9, v6, v29
	v_lshlrev_b32_e32 v28, 16, v8
	v_pk_mul_bf16 v29, v7, v44
	v_and_b32_e32 v8, 0xffff0000, v8
	v_perm_b32 v44, v69, v70, 0x5040100
	v_lshlrev_b32_e32 v45, 16, v9
	v_and_b32_e32 v9, 0xffff0000, v9
	v_dual_lshlrev_b32 v46, 16, v29 :: v_dual_add_f32 v4, v5, v4
	v_and_b32_e32 v29, 0xffff0000, v29
	v_pk_mul_bf16 v44, v2, v44
	s_delay_alu instid0(VALU_DEP_4) | instskip(NEXT) | instid1(VALU_DEP_2)
	v_dual_add_f32 v5, v28, v8 :: v_dual_add_f32 v8, v45, v9
	v_dual_add_f32 v9, v46, v29 :: v_dual_lshlrev_b32 v28, 16, v44
	v_and_b32_e32 v29, 0xffff0000, v44
	s_delay_alu instid0(VALU_DEP_3) | instskip(SKIP_2) | instid1(VALU_DEP_4)
	v_add_f32_e32 v4, v5, v4
	v_perm_b32 v5, v68, v67, 0x5040100
	v_perm_b32 v46, v60, v59, 0x5040100
	v_add_f32_e32 v28, v28, v29
	v_perm_b32 v29, v63, v64, 0x5040100
	s_delay_alu instid0(VALU_DEP_4) | instskip(SKIP_3) | instid1(VALU_DEP_2)
	v_pk_mul_bf16 v5, v3, v5
	v_add_f32_e32 v8, v9, v8
	v_perm_b32 v9, v65, v66, 0x5040100
	v_add_f32_e32 v14, v14, v4
	v_pk_mul_bf16 v4, v6, v9
	v_pk_mul_bf16 v9, v7, v29
	v_perm_b32 v29, v61, v62, 0x5040100
	s_delay_alu instid0(VALU_DEP_3) | instskip(SKIP_1) | instid1(VALU_DEP_4)
	v_lshlrev_b32_e32 v44, 16, v4
	v_and_b32_e32 v4, 0xffff0000, v4
	v_lshlrev_b32_e32 v45, 16, v9
	v_and_b32_e32 v9, 0xffff0000, v9
	v_pk_mul_bf16 v29, v2, v29
	v_dual_add_f32 v8, v28, v8 :: v_dual_lshlrev_b32 v28, 16, v5
	v_and_b32_e32 v5, 0xffff0000, v5
	s_delay_alu instid0(VALU_DEP_3) | instskip(SKIP_2) | instid1(VALU_DEP_4)
	v_dual_add_f32 v4, v44, v4 :: v_dual_lshlrev_b32 v44, 16, v29
	v_add_f32_e32 v9, v45, v9
	v_and_b32_e32 v29, 0xffff0000, v29
	v_add_f32_e32 v5, v28, v5
	v_pk_mul_bf16 v28, v3, v46
	v_perm_b32 v46, v54, v53, 0x5040100
	v_add_f32_e32 v4, v9, v4
	v_perm_b32 v9, v57, v58, 0x5040100
	s_delay_alu instid0(VALU_DEP_4) | instskip(SKIP_2) | instid1(VALU_DEP_4)
	v_dual_add_f32 v29, v44, v29 :: v_dual_lshlrev_b32 v45, 16, v28
	v_perm_b32 v44, v55, v56, 0x5040100
	v_and_b32_e32 v28, 0xffff0000, v28
	v_pk_mul_bf16 v9, v6, v9
	v_add_f32_e32 v8, v5, v8
	s_delay_alu instid0(VALU_DEP_4) | instskip(NEXT) | instid1(VALU_DEP_3)
	v_pk_mul_bf16 v5, v7, v44
	v_dual_add_f32 v29, v29, v4 :: v_dual_lshlrev_b32 v4, 16, v9
	v_and_b32_e32 v9, 0xffff0000, v9
	s_delay_alu instid0(VALU_DEP_3) | instskip(SKIP_2) | instid1(VALU_DEP_4)
	v_dual_add_f32 v28, v45, v28 :: v_dual_lshlrev_b32 v44, 16, v5
	v_and_b32_e32 v5, 0xffff0000, v5
	v_perm_b32 v45, v51, v52, 0x5040100
	v_add_f32_e32 v4, v4, v9
	v_perm_b32 v9, v42, v43, 0x5040100
	v_pk_mul_bf16 v42, v3, v46
	v_add_f32_e32 v5, v44, v5
	v_pk_mul_bf16 v41, v2, v45
	s_delay_alu instid0(VALU_DEP_4) | instskip(NEXT) | instid1(VALU_DEP_2)
	v_pk_mul_bf16 v9, v6, v9
	v_dual_add_f32 v43, v5, v4 :: v_dual_lshlrev_b32 v5, 16, v41
	v_pk_mul_bf16 v4, v7, v40
	v_and_b32_e32 v40, 0xffff0000, v41
	s_delay_alu instid0(VALU_DEP_4) | instskip(SKIP_1) | instid1(VALU_DEP_4)
	v_lshlrev_b32_e32 v41, 16, v9
	v_and_b32_e32 v9, 0xffff0000, v9
	v_lshlrev_b32_e32 v44, 16, v4
	v_and_b32_e32 v4, 0xffff0000, v4
	v_add_f32_e32 v40, v5, v40
	v_perm_b32 v5, v36, v37, 0x5040100
	v_add_f32_e32 v9, v41, v9
	v_perm_b32 v36, v39, v38, 0x5040100
	v_dual_add_f32 v4, v44, v4 :: v_dual_lshlrev_b32 v37, 16, v42
	s_delay_alu instid0(VALU_DEP_4) | instskip(SKIP_1) | instid1(VALU_DEP_4)
	v_pk_mul_bf16 v5, v2, v5
	v_and_b32_e32 v38, 0xffff0000, v42
	v_pk_mul_bf16 v36, v3, v36
	s_delay_alu instid0(VALU_DEP_4) | instskip(SKIP_2) | instid1(VALU_DEP_4)
	v_add_f32_e32 v9, v4, v9
	v_perm_b32 v4, v114, v113, 0x5040100
	v_and_b32_e32 v20, 0xffff0000, v5
	v_and_b32_e32 v27, 0xffff0000, v36
	s_delay_alu instid0(VALU_DEP_3)
	v_pk_mul_bf16 v4, v6, v4
	v_lshlrev_b32_e32 v39, 16, v5
	v_pk_mul_bf16 v5, v7, v26
	v_pk_mul_bf16 v6, v2, v0
	;; [unrolled: 1-line block ×3, first 2 shown]
	v_and_b32_e32 v1, 0xffff0000, v4
	v_lshlrev_b32_e32 v3, 16, v4
	v_and_b32_e32 v0, 0xffff0000, v5
	v_dual_lshlrev_b32 v2, 16, v5 :: v_dual_lshlrev_b32 v7, 16, v6
	v_and_b32_e32 v5, 0xffff0000, v6
	v_and_b32_e32 v4, 0xffff0000, v26
	v_dual_lshlrev_b32 v6, 16, v26 :: v_dual_add_f32 v20, v39, v20
	s_delay_alu instid0(VALU_DEP_4) | instskip(SKIP_1) | instid1(VALU_DEP_3)
	v_pk_add_f32 v[0:1], v[2:3], v[0:1]
	v_lshlrev_b32_e32 v26, 16, v36
	v_pk_add_f32 v[2:3], v[6:7], v[4:5]
	s_delay_alu instid0(VALU_DEP_3) | instskip(SKIP_1) | instid1(VALU_DEP_4)
	v_dual_add_f32 v4, v37, v38 :: v_dual_add_f32 v0, v0, v1
	v_add_f32_e32 v1, v40, v43
	v_dual_add_f32 v5, v20, v9 :: v_dual_add_f32 v6, v26, v27
	v_add_f32_e32 v17, v17, v8
	s_delay_alu instid0(VALU_DEP_4) | instskip(NEXT) | instid1(VALU_DEP_4)
	v_dual_add_f32 v0, v3, v0 :: v_dual_add_f32 v3, v28, v29
	v_add_f32_e32 v1, v4, v1
	s_delay_alu instid0(VALU_DEP_4) | instskip(NEXT) | instid1(VALU_DEP_3)
	v_add_f32_e32 v4, v6, v5
	v_dual_add_f32 v0, v2, v0 :: v_dual_add_f32 v16, v16, v3
	s_delay_alu instid0(VALU_DEP_2) | instskip(NEXT) | instid1(VALU_DEP_2)
	v_dual_add_f32 v19, v19, v1 :: v_dual_add_f32 v18, v18, v4
	v_add_f32_e32 v11, v11, v0
	s_and_not1_b32 exec_lo, exec_lo, s9
	s_cbranch_execz .LBB361_1256
.LBB361_636:                            ; =>This Inner Loop Header: Depth=1
	global_load_b32 v0, v[24:25], off
	v_mov_b32_e32 v38, 0
	s_mov_b32 s0, exec_lo
	s_wait_loadcnt 0x0
	v_mad_nc_i64_i32 v[26:27], v0, s7, v[22:23]
	global_load_b64 v[0:1], v[26:27], off
	ds_load_2addr_b64 v[6:9], v34 offset1:1
	ds_load_2addr_b64 v[2:5], v34 offset0:2 offset1:3
	s_wait_loadcnt 0x0
	v_and_b32_e32 v20, 0xff, v0
	s_delay_alu instid0(VALU_DEP_1)
	v_cmpx_ne_u16_e32 0, v20
	s_cbranch_execz .LBB361_642
; %bb.637:                              ;   in Loop: Header=BB361_636 Depth=1
	v_bfrev_b32_e32 v38, 1
	s_mov_b32 s11, exec_lo
	v_cmpx_ne_u16_e32 0x80, v20
	s_cbranch_execz .LBB361_641
; %bb.638:                              ;   in Loop: Header=BB361_636 Depth=1
	v_and_b32_e32 v20, 0x7f, v0
	v_mov_b32_e32 v38, 0x7f800001
	s_mov_b32 s14, exec_lo
	s_delay_alu instid0(VALU_DEP_2)
	v_cmpx_ne_u32_e32 0x7f, v20
	s_cbranch_execz .LBB361_640
; %bb.639:                              ;   in Loop: Header=BB361_636 Depth=1
	v_and_b32_e32 v28, 7, v0
	v_lshrrev_b32_e32 v29, 3, v20
	v_cmp_gt_u32_e32 vcc_lo, 8, v20
	s_delay_alu instid0(VALU_DEP_3) | instskip(NEXT) | instid1(VALU_DEP_1)
	v_clz_i32_u32_e32 v28, v28
	v_min_u32_e32 v28, 32, v28
	s_delay_alu instid0(VALU_DEP_1) | instskip(SKIP_1) | instid1(VALU_DEP_1)
	v_subrev_nc_u32_e32 v36, 28, v28
	v_sub_nc_u32_e32 v28, 29, v28
	v_cndmask_b32_e32 v20, v29, v28, vcc_lo
	s_delay_alu instid0(VALU_DEP_3) | instskip(NEXT) | instid1(VALU_DEP_1)
	v_cndmask_b32_e32 v28, 0, v36, vcc_lo
	v_lshlrev_b64_e32 v[28:29], v28, v[0:1]
	v_lshlrev_b32_e32 v29, 24, v0
	s_delay_alu instid0(VALU_DEP_1) | instskip(NEXT) | instid1(VALU_DEP_3)
	v_and_b32_e32 v29, 0x80000000, v29
	v_lshlrev_b32_e32 v28, 20, v28
	v_lshl_add_u32 v20, v20, 23, 0x3c000000
	s_delay_alu instid0(VALU_DEP_2) | instskip(NEXT) | instid1(VALU_DEP_1)
	v_and_b32_e32 v28, 0x700000, v28
	v_or3_b32 v38, v28, v29, v20
.LBB361_640:                            ;   in Loop: Header=BB361_636 Depth=1
	s_or_b32 exec_lo, exec_lo, s14
.LBB361_641:                            ;   in Loop: Header=BB361_636 Depth=1
	s_delay_alu instid0(SALU_CYCLE_1)
	s_or_b32 exec_lo, exec_lo, s11
.LBB361_642:                            ;   in Loop: Header=BB361_636 Depth=1
	s_delay_alu instid0(SALU_CYCLE_1) | instskip(SKIP_3) | instid1(VALU_DEP_2)
	s_or_b32 exec_lo, exec_lo, s0
	v_lshrrev_b16 v20, 8, v0
	v_dual_mov_b32 v39, 0 :: v_dual_mov_b32 v42, 0
	s_mov_b32 s0, exec_lo
	v_cmpx_ne_u16_e32 0, v20
	s_cbranch_execz .LBB361_650
; %bb.643:                              ;   in Loop: Header=BB361_636 Depth=1
	v_bfrev_b32_e32 v42, 1
	s_mov_b32 s11, exec_lo
	v_cmpx_ne_u16_e32 0x80, v20
	s_cbranch_execz .LBB361_649
; %bb.644:                              ;   in Loop: Header=BB361_636 Depth=1
	v_and_b32_e32 v20, 0xffff, v20
	v_mov_b32_e32 v42, 0x7f800001
	s_mov_b32 s14, exec_lo
	s_delay_alu instid0(VALU_DEP_2) | instskip(NEXT) | instid1(VALU_DEP_1)
	v_and_b32_e32 v29, 0x7f, v20
	v_cmpx_ne_u32_e32 0x7f, v29
	s_cbranch_execz .LBB361_648
; %bb.645:                              ;   in Loop: Header=BB361_636 Depth=1
	v_dual_lshrrev_b32 v28, 3, v29 :: v_dual_bitop2_b32 v20, 7, v20 bitop3:0x40
	s_mov_b32 s15, exec_lo
	v_cmpx_gt_u32_e32 8, v29
; %bb.646:                              ;   in Loop: Header=BB361_636 Depth=1
	s_delay_alu instid0(VALU_DEP_2) | instskip(NEXT) | instid1(VALU_DEP_1)
	v_clz_i32_u32_e32 v28, v20
	v_min_u32_e32 v28, 32, v28
	s_delay_alu instid0(VALU_DEP_1) | instskip(SKIP_1) | instid1(VALU_DEP_2)
	v_subrev_nc_u32_e32 v29, 28, v28
	v_sub_nc_u32_e32 v28, 29, v28
	v_lshlrev_b64_e32 v[36:37], v29, v[20:21]
	s_delay_alu instid0(VALU_DEP_1)
	v_and_b32_e32 v20, 7, v36
; %bb.647:                              ;   in Loop: Header=BB361_636 Depth=1
	s_or_b32 exec_lo, exec_lo, s15
	v_lshlrev_b32_e32 v29, 16, v0
	s_delay_alu instid0(VALU_DEP_2) | instskip(SKIP_1) | instid1(VALU_DEP_3)
	v_lshlrev_b32_e32 v20, 20, v20
	v_lshl_add_u32 v28, v28, 23, 0x3c000000
	v_and_b32_e32 v29, 0x80000000, v29
	s_delay_alu instid0(VALU_DEP_1)
	v_or3_b32 v42, v20, v29, v28
.LBB361_648:                            ;   in Loop: Header=BB361_636 Depth=1
	s_or_b32 exec_lo, exec_lo, s14
.LBB361_649:                            ;   in Loop: Header=BB361_636 Depth=1
	s_delay_alu instid0(SALU_CYCLE_1)
	s_or_b32 exec_lo, exec_lo, s11
.LBB361_650:                            ;   in Loop: Header=BB361_636 Depth=1
	s_delay_alu instid0(SALU_CYCLE_1) | instskip(SKIP_2) | instid1(VALU_DEP_1)
	s_or_b32 exec_lo, exec_lo, s0
	v_lshrrev_b32_e32 v28, 16, v0
	s_mov_b32 s0, exec_lo
	v_and_b32_e32 v20, 0xff, v28
	s_delay_alu instid0(VALU_DEP_1)
	v_cmpx_ne_u16_e32 0, v20
	s_cbranch_execz .LBB361_658
; %bb.651:                              ;   in Loop: Header=BB361_636 Depth=1
	v_bfrev_b32_e32 v39, 1
	s_mov_b32 s11, exec_lo
	v_cmpx_ne_u16_e32 0x80, v20
	s_cbranch_execz .LBB361_657
; %bb.652:                              ;   in Loop: Header=BB361_636 Depth=1
	v_bfe_u32 v36, v0, 16, 7
	v_mov_b32_e32 v39, 0x7f800001
	s_mov_b32 s14, exec_lo
	s_delay_alu instid0(VALU_DEP_2)
	v_cmpx_ne_u32_e32 0x7f, v36
	s_cbranch_execz .LBB361_656
; %bb.653:                              ;   in Loop: Header=BB361_636 Depth=1
	v_and_b32_e32 v20, 7, v28
	v_lshrrev_b32_e32 v29, 3, v36
	s_mov_b32 s15, exec_lo
	v_cmpx_gt_u32_e32 8, v36
; %bb.654:                              ;   in Loop: Header=BB361_636 Depth=1
	s_delay_alu instid0(VALU_DEP_3) | instskip(NEXT) | instid1(VALU_DEP_1)
	v_clz_i32_u32_e32 v29, v20
	v_min_u32_e32 v29, 32, v29
	s_delay_alu instid0(VALU_DEP_1) | instskip(NEXT) | instid1(VALU_DEP_1)
	v_subrev_nc_u32_e32 v36, 28, v29
	v_lshlrev_b64_e32 v[36:37], v36, v[20:21]
	s_delay_alu instid0(VALU_DEP_1)
	v_dual_sub_nc_u32 v29, 29, v29 :: v_dual_bitop2_b32 v20, 7, v36 bitop3:0x40
; %bb.655:                              ;   in Loop: Header=BB361_636 Depth=1
	s_or_b32 exec_lo, exec_lo, s15
	v_lshlrev_b32_e32 v28, 24, v28
	s_delay_alu instid0(VALU_DEP_2) | instskip(NEXT) | instid1(VALU_DEP_3)
	v_lshlrev_b32_e32 v20, 20, v20
	v_lshl_add_u32 v29, v29, 23, 0x3c000000
	s_delay_alu instid0(VALU_DEP_3) | instskip(NEXT) | instid1(VALU_DEP_1)
	v_and_b32_e32 v28, 0x80000000, v28
	v_or3_b32 v39, v20, v28, v29
.LBB361_656:                            ;   in Loop: Header=BB361_636 Depth=1
	s_or_b32 exec_lo, exec_lo, s14
.LBB361_657:                            ;   in Loop: Header=BB361_636 Depth=1
	s_delay_alu instid0(SALU_CYCLE_1)
	s_or_b32 exec_lo, exec_lo, s11
.LBB361_658:                            ;   in Loop: Header=BB361_636 Depth=1
	s_delay_alu instid0(SALU_CYCLE_1)
	s_or_b32 exec_lo, exec_lo, s0
	v_dual_mov_b32 v37, 0 :: v_dual_mov_b32 v40, 0
	s_mov_b32 s0, exec_lo
	v_cmpx_lt_u32_e32 0xffffff, v0
	s_cbranch_execz .LBB361_666
; %bb.659:                              ;   in Loop: Header=BB361_636 Depth=1
	v_lshrrev_b32_e32 v28, 24, v0
	v_bfrev_b32_e32 v40, 1
	s_mov_b32 s11, exec_lo
	s_delay_alu instid0(VALU_DEP_2)
	v_cmpx_ne_u32_e32 0x80, v28
	s_cbranch_execz .LBB361_665
; %bb.660:                              ;   in Loop: Header=BB361_636 Depth=1
	v_bfe_u32 v36, v0, 24, 7
	v_mov_b32_e32 v40, 0x7f800001
	s_mov_b32 s14, exec_lo
	s_delay_alu instid0(VALU_DEP_2)
	v_cmpx_ne_u32_e32 0x7f, v36
	s_cbranch_execz .LBB361_664
; %bb.661:                              ;   in Loop: Header=BB361_636 Depth=1
	v_and_b32_e32 v20, 7, v28
	v_lshrrev_b32_e32 v29, 3, v36
	s_mov_b32 s15, exec_lo
	v_cmpx_gt_u32_e32 8, v36
; %bb.662:                              ;   in Loop: Header=BB361_636 Depth=1
	s_delay_alu instid0(VALU_DEP_3) | instskip(NEXT) | instid1(VALU_DEP_1)
	v_clz_i32_u32_e32 v29, v20
	v_min_u32_e32 v29, 32, v29
	s_delay_alu instid0(VALU_DEP_1) | instskip(NEXT) | instid1(VALU_DEP_1)
	v_subrev_nc_u32_e32 v36, 28, v29
	v_lshlrev_b64_e32 v[40:41], v36, v[20:21]
	s_delay_alu instid0(VALU_DEP_1)
	v_dual_sub_nc_u32 v29, 29, v29 :: v_dual_bitop2_b32 v20, 7, v40 bitop3:0x40
; %bb.663:                              ;   in Loop: Header=BB361_636 Depth=1
	s_or_b32 exec_lo, exec_lo, s15
	v_lshlrev_b32_e32 v28, 24, v28
	s_delay_alu instid0(VALU_DEP_2) | instskip(NEXT) | instid1(VALU_DEP_3)
	v_lshlrev_b32_e32 v20, 20, v20
	v_lshl_add_u32 v29, v29, 23, 0x3c000000
	s_delay_alu instid0(VALU_DEP_3) | instskip(NEXT) | instid1(VALU_DEP_1)
	v_and_b32_e32 v28, 0x80000000, v28
	v_or3_b32 v40, v20, v28, v29
.LBB361_664:                            ;   in Loop: Header=BB361_636 Depth=1
	s_or_b32 exec_lo, exec_lo, s14
.LBB361_665:                            ;   in Loop: Header=BB361_636 Depth=1
	s_delay_alu instid0(SALU_CYCLE_1)
	s_or_b32 exec_lo, exec_lo, s11
.LBB361_666:                            ;   in Loop: Header=BB361_636 Depth=1
	s_delay_alu instid0(SALU_CYCLE_1) | instskip(SKIP_3) | instid1(VALU_DEP_2)
	s_or_b32 exec_lo, exec_lo, s0
	v_and_b32_e32 v28, 0xff, v1
	v_mov_b32_e32 v20, v1
	s_mov_b32 s0, exec_lo
	v_cmpx_ne_u16_e32 0, v28
	s_cbranch_execz .LBB361_672
; %bb.667:                              ;   in Loop: Header=BB361_636 Depth=1
	v_bfrev_b32_e32 v37, 1
	s_mov_b32 s11, exec_lo
	v_cmpx_ne_u16_e32 0x80, v28
	s_cbranch_execz .LBB361_671
; %bb.668:                              ;   in Loop: Header=BB361_636 Depth=1
	v_and_b32_e32 v28, 0x7f, v1
	v_mov_b32_e32 v37, 0x7f800001
	s_mov_b32 s14, exec_lo
	s_delay_alu instid0(VALU_DEP_2)
	v_cmpx_ne_u32_e32 0x7f, v28
	s_cbranch_execz .LBB361_670
; %bb.669:                              ;   in Loop: Header=BB361_636 Depth=1
	v_dual_lshrrev_b32 v36, 3, v28 :: v_dual_bitop2_b32 v29, 7, v1 bitop3:0x40
	v_cmp_gt_u32_e32 vcc_lo, 8, v28
	s_delay_alu instid0(VALU_DEP_2) | instskip(NEXT) | instid1(VALU_DEP_1)
	v_clz_i32_u32_e32 v29, v29
	v_min_u32_e32 v29, 32, v29
	s_delay_alu instid0(VALU_DEP_1) | instskip(SKIP_1) | instid1(VALU_DEP_2)
	v_subrev_nc_u32_e32 v37, 28, v29
	v_sub_nc_u32_e32 v29, 29, v29
	v_cndmask_b32_e32 v28, 0, v37, vcc_lo
	s_delay_alu instid0(VALU_DEP_2) | instskip(NEXT) | instid1(VALU_DEP_2)
	v_cndmask_b32_e32 v36, v36, v29, vcc_lo
	v_lshlrev_b64_e32 v[28:29], v28, v[20:21]
	v_lshlrev_b32_e32 v29, 24, v20
	s_delay_alu instid0(VALU_DEP_3) | instskip(NEXT) | instid1(VALU_DEP_2)
	v_lshl_add_u32 v36, v36, 23, 0x3c000000
	v_and_b32_e32 v29, 0x80000000, v29
	s_delay_alu instid0(VALU_DEP_4) | instskip(NEXT) | instid1(VALU_DEP_1)
	v_lshlrev_b32_e32 v28, 20, v28
	v_and_b32_e32 v28, 0x700000, v28
	s_delay_alu instid0(VALU_DEP_1)
	v_or3_b32 v37, v28, v29, v36
.LBB361_670:                            ;   in Loop: Header=BB361_636 Depth=1
	s_or_b32 exec_lo, exec_lo, s14
.LBB361_671:                            ;   in Loop: Header=BB361_636 Depth=1
	s_delay_alu instid0(SALU_CYCLE_1)
	s_or_b32 exec_lo, exec_lo, s11
.LBB361_672:                            ;   in Loop: Header=BB361_636 Depth=1
	s_delay_alu instid0(SALU_CYCLE_1) | instskip(SKIP_3) | instid1(VALU_DEP_2)
	s_or_b32 exec_lo, exec_lo, s0
	v_lshrrev_b16 v29, 8, v20
	v_dual_mov_b32 v45, 0 :: v_dual_mov_b32 v28, 0
	s_mov_b32 s0, exec_lo
	v_cmpx_ne_u16_e32 0, v29
	s_cbranch_execz .LBB361_680
; %bb.673:                              ;   in Loop: Header=BB361_636 Depth=1
	v_bfrev_b32_e32 v28, 1
	s_mov_b32 s11, exec_lo
	v_cmpx_ne_u16_e32 0x80, v29
	s_cbranch_execz .LBB361_679
; %bb.674:                              ;   in Loop: Header=BB361_636 Depth=1
	v_and_b32_e32 v29, 0xffff, v29
	v_mov_b32_e32 v28, 0x7f800001
	s_mov_b32 s14, exec_lo
	s_delay_alu instid0(VALU_DEP_2) | instskip(NEXT) | instid1(VALU_DEP_1)
	v_and_b32_e32 v41, 0x7f, v29
	v_cmpx_ne_u32_e32 0x7f, v41
	s_cbranch_execz .LBB361_678
; %bb.675:                              ;   in Loop: Header=BB361_636 Depth=1
	v_dual_mov_b32 v29, v21 :: v_dual_bitop2_b32 v28, 7, v29 bitop3:0x40
	v_lshrrev_b32_e32 v36, 3, v41
	s_mov_b32 s15, exec_lo
	v_cmpx_gt_u32_e32 8, v41
; %bb.676:                              ;   in Loop: Header=BB361_636 Depth=1
	s_delay_alu instid0(VALU_DEP_3) | instskip(NEXT) | instid1(VALU_DEP_1)
	v_clz_i32_u32_e32 v36, v28
	v_min_u32_e32 v36, 32, v36
	s_delay_alu instid0(VALU_DEP_1) | instskip(SKIP_1) | instid1(VALU_DEP_2)
	v_subrev_nc_u32_e32 v41, 28, v36
	v_sub_nc_u32_e32 v36, 29, v36
	v_lshlrev_b64_e32 v[28:29], v41, v[28:29]
	s_delay_alu instid0(VALU_DEP_1)
	v_and_b32_e32 v28, 7, v28
; %bb.677:                              ;   in Loop: Header=BB361_636 Depth=1
	s_or_b32 exec_lo, exec_lo, s15
	v_lshlrev_b32_e32 v20, 16, v20
	s_delay_alu instid0(VALU_DEP_2) | instskip(SKIP_1) | instid1(VALU_DEP_3)
	v_lshlrev_b32_e32 v28, 20, v28
	v_lshl_add_u32 v29, v36, 23, 0x3c000000
	v_and_b32_e32 v20, 0x80000000, v20
	s_delay_alu instid0(VALU_DEP_1)
	v_or3_b32 v28, v28, v20, v29
.LBB361_678:                            ;   in Loop: Header=BB361_636 Depth=1
	s_or_b32 exec_lo, exec_lo, s14
.LBB361_679:                            ;   in Loop: Header=BB361_636 Depth=1
	s_delay_alu instid0(SALU_CYCLE_1)
	s_or_b32 exec_lo, exec_lo, s11
.LBB361_680:                            ;   in Loop: Header=BB361_636 Depth=1
	s_delay_alu instid0(SALU_CYCLE_1) | instskip(SKIP_2) | instid1(VALU_DEP_1)
	s_or_b32 exec_lo, exec_lo, s0
	v_lshrrev_b32_e32 v29, 16, v1
	s_mov_b32 s0, exec_lo
	v_and_b32_e32 v20, 0xff, v29
	s_delay_alu instid0(VALU_DEP_1)
	v_cmpx_ne_u16_e32 0, v20
	s_cbranch_execz .LBB361_688
; %bb.681:                              ;   in Loop: Header=BB361_636 Depth=1
	v_bfrev_b32_e32 v45, 1
	s_mov_b32 s11, exec_lo
	v_cmpx_ne_u16_e32 0x80, v20
	s_cbranch_execz .LBB361_687
; %bb.682:                              ;   in Loop: Header=BB361_636 Depth=1
	v_bfe_u32 v41, v1, 16, 7
	v_mov_b32_e32 v45, 0x7f800001
	s_mov_b32 s14, exec_lo
	s_delay_alu instid0(VALU_DEP_2)
	v_cmpx_ne_u32_e32 0x7f, v41
	s_cbranch_execz .LBB361_686
; %bb.683:                              ;   in Loop: Header=BB361_636 Depth=1
	v_and_b32_e32 v20, 7, v29
	v_lshrrev_b32_e32 v36, 3, v41
	s_mov_b32 s15, exec_lo
	v_cmpx_gt_u32_e32 8, v41
; %bb.684:                              ;   in Loop: Header=BB361_636 Depth=1
	s_delay_alu instid0(VALU_DEP_3) | instskip(NEXT) | instid1(VALU_DEP_1)
	v_clz_i32_u32_e32 v36, v20
	v_min_u32_e32 v36, 32, v36
	s_delay_alu instid0(VALU_DEP_1) | instskip(SKIP_1) | instid1(VALU_DEP_2)
	v_subrev_nc_u32_e32 v41, 28, v36
	v_sub_nc_u32_e32 v36, 29, v36
	v_lshlrev_b64_e32 v[44:45], v41, v[20:21]
	s_delay_alu instid0(VALU_DEP_1)
	v_and_b32_e32 v20, 7, v44
; %bb.685:                              ;   in Loop: Header=BB361_636 Depth=1
	s_or_b32 exec_lo, exec_lo, s15
	s_delay_alu instid0(VALU_DEP_1) | instskip(SKIP_1) | instid1(VALU_DEP_2)
	v_dual_lshlrev_b32 v29, 24, v29 :: v_dual_lshlrev_b32 v20, 20, v20
	v_lshl_add_u32 v36, v36, 23, 0x3c000000
	v_and_b32_e32 v29, 0x80000000, v29
	s_delay_alu instid0(VALU_DEP_1)
	v_or3_b32 v45, v20, v29, v36
.LBB361_686:                            ;   in Loop: Header=BB361_636 Depth=1
	s_or_b32 exec_lo, exec_lo, s14
.LBB361_687:                            ;   in Loop: Header=BB361_636 Depth=1
	s_delay_alu instid0(SALU_CYCLE_1)
	s_or_b32 exec_lo, exec_lo, s11
.LBB361_688:                            ;   in Loop: Header=BB361_636 Depth=1
	s_delay_alu instid0(SALU_CYCLE_1)
	s_or_b32 exec_lo, exec_lo, s0
	v_mov_b32_e32 v20, 0
	s_mov_b32 s0, exec_lo
	v_cmpx_lt_u64_e64 s[2:3], v[0:1]
	s_cbranch_execz .LBB361_696
; %bb.689:                              ;   in Loop: Header=BB361_636 Depth=1
	v_lshrrev_b32_e32 v0, 24, v1
	v_bfrev_b32_e32 v20, 1
	s_mov_b32 s11, exec_lo
	s_delay_alu instid0(VALU_DEP_2)
	v_cmpx_ne_u32_e32 0x80, v0
	s_cbranch_execz .LBB361_695
; %bb.690:                              ;   in Loop: Header=BB361_636 Depth=1
	v_bfe_u32 v29, v1, 24, 7
	v_mov_b32_e32 v20, 0x7f800001
	s_mov_b32 s14, exec_lo
	s_delay_alu instid0(VALU_DEP_2)
	v_cmpx_ne_u32_e32 0x7f, v29
	s_cbranch_execz .LBB361_694
; %bb.691:                              ;   in Loop: Header=BB361_636 Depth=1
	v_dual_lshrrev_b32 v1, 3, v29 :: v_dual_bitop2_b32 v20, 7, v0 bitop3:0x40
	s_mov_b32 s15, exec_lo
	v_cmpx_gt_u32_e32 8, v29
; %bb.692:                              ;   in Loop: Header=BB361_636 Depth=1
	s_delay_alu instid0(VALU_DEP_2) | instskip(NEXT) | instid1(VALU_DEP_1)
	v_clz_i32_u32_e32 v1, v20
	v_min_u32_e32 v1, 32, v1
	s_delay_alu instid0(VALU_DEP_1) | instskip(NEXT) | instid1(VALU_DEP_1)
	v_subrev_nc_u32_e32 v29, 28, v1
	v_lshlrev_b64_e32 v[46:47], v29, v[20:21]
	s_delay_alu instid0(VALU_DEP_1)
	v_dual_sub_nc_u32 v1, 29, v1 :: v_dual_bitop2_b32 v20, 7, v46 bitop3:0x40
; %bb.693:                              ;   in Loop: Header=BB361_636 Depth=1
	s_or_b32 exec_lo, exec_lo, s15
	v_lshlrev_b32_e32 v0, 24, v0
	s_delay_alu instid0(VALU_DEP_2) | instskip(NEXT) | instid1(VALU_DEP_3)
	v_lshlrev_b32_e32 v20, 20, v20
	v_lshl_add_u32 v1, v1, 23, 0x3c000000
	s_delay_alu instid0(VALU_DEP_3) | instskip(NEXT) | instid1(VALU_DEP_1)
	v_and_b32_e32 v0, 0x80000000, v0
	v_or3_b32 v20, v20, v0, v1
.LBB361_694:                            ;   in Loop: Header=BB361_636 Depth=1
	s_or_b32 exec_lo, exec_lo, s14
.LBB361_695:                            ;   in Loop: Header=BB361_636 Depth=1
	s_delay_alu instid0(SALU_CYCLE_1)
	s_or_b32 exec_lo, exec_lo, s11
.LBB361_696:                            ;   in Loop: Header=BB361_636 Depth=1
	s_delay_alu instid0(SALU_CYCLE_1)
	s_or_b32 exec_lo, exec_lo, s0
	v_dual_add_nc_u32 v44, -7, v33 :: v_dual_add_nc_u32 v50, -6, v33
	v_cmp_eq_u32_e32 vcc_lo, s10, v35
	v_fma_mixlo_bf16 v36, s6, v28, 0
	v_fma_mixlo_bf16 v37, s6, v37, 0
	v_fma_mixlo_bf16 v40, s6, v40, 0
	v_fma_mixlo_bf16 v41, s6, v39, 0
	v_fma_mixlo_bf16 v42, s6, v42, 0
	v_fma_mixlo_bf16 v43, s6, v38, 0
	v_fma_mixlo_bf16 v38, s6, v45, 0
	v_fma_mixlo_bf16 v39, s6, v20, 0
	v_dual_add_nc_u32 v49, -5, v33 :: v_dual_add_nc_u32 v48, -4, v33
	v_dual_add_nc_u32 v47, -3, v33 :: v_dual_add_nc_u32 v46, -2, v33
	v_add_nc_u32_e32 v45, -1, v33
	s_and_saveexec_b32 s11, vcc_lo
	s_cbranch_execz .LBB361_698
; %bb.697:                              ;   in Loop: Header=BB361_636 Depth=1
	v_cmp_gt_i32_e64 s0, s25, v44
	s_delay_alu instid0(VALU_DEP_1) | instskip(SKIP_1) | instid1(VALU_DEP_1)
	v_cndmask_b32_e64 v43, 0, v43, s0
	v_cmp_gt_i32_e64 s0, s25, v50
	v_cndmask_b32_e64 v42, 0, v42, s0
	v_cmp_gt_i32_e64 s0, s25, v49
	s_delay_alu instid0(VALU_DEP_1) | instskip(SKIP_1) | instid1(VALU_DEP_1)
	v_cndmask_b32_e64 v41, 0, v41, s0
	v_cmp_gt_i32_e64 s0, s25, v48
	v_cndmask_b32_e64 v40, 0, v40, s0
	;; [unrolled: 5-line block ×4, first 2 shown]
.LBB361_698:                            ;   in Loop: Header=BB361_636 Depth=1
	s_or_b32 exec_lo, exec_lo, s11
	global_load_b64 v[0:1], v[26:27], off offset:256
	v_dual_mov_b32 v54, 0 :: v_dual_mov_b32 v53, 0
	s_mov_b32 s11, exec_lo
	s_wait_loadcnt 0x0
	v_and_b32_e32 v20, 0xff, v0
	s_delay_alu instid0(VALU_DEP_1)
	v_cmpx_ne_u16_e32 0, v20
	s_cbranch_execz .LBB361_704
; %bb.699:                              ;   in Loop: Header=BB361_636 Depth=1
	v_bfrev_b32_e32 v53, 1
	s_mov_b32 s14, exec_lo
	v_cmpx_ne_u16_e32 0x80, v20
	s_cbranch_execz .LBB361_703
; %bb.700:                              ;   in Loop: Header=BB361_636 Depth=1
	v_and_b32_e32 v20, 0x7f, v0
	v_mov_b32_e32 v53, 0x7f800001
	s_mov_b32 s15, exec_lo
	s_delay_alu instid0(VALU_DEP_2)
	v_cmpx_ne_u32_e32 0x7f, v20
	s_cbranch_execz .LBB361_702
; %bb.701:                              ;   in Loop: Header=BB361_636 Depth=1
	v_and_b32_e32 v28, 7, v0
	v_cmp_gt_u32_e64 s0, 8, v20
	s_delay_alu instid0(VALU_DEP_2) | instskip(NEXT) | instid1(VALU_DEP_1)
	v_clz_i32_u32_e32 v28, v28
	v_min_u32_e32 v28, 32, v28
	s_delay_alu instid0(VALU_DEP_1) | instskip(SKIP_2) | instid1(VALU_DEP_1)
	v_subrev_nc_u32_e32 v51, 28, v28
	v_lshrrev_b32_e32 v29, 3, v20
	v_sub_nc_u32_e32 v28, 29, v28
	v_dual_cndmask_b32 v20, v29, v28, s0 :: v_dual_cndmask_b32 v28, 0, v51, s0
	s_delay_alu instid0(VALU_DEP_1) | instskip(SKIP_1) | instid1(VALU_DEP_1)
	v_lshlrev_b64_e32 v[28:29], v28, v[0:1]
	v_lshlrev_b32_e32 v29, 24, v0
	v_and_b32_e32 v29, 0x80000000, v29
	s_delay_alu instid0(VALU_DEP_3) | instskip(SKIP_1) | instid1(VALU_DEP_2)
	v_lshlrev_b32_e32 v28, 20, v28
	v_lshl_add_u32 v20, v20, 23, 0x3c000000
	v_and_b32_e32 v28, 0x700000, v28
	s_delay_alu instid0(VALU_DEP_1)
	v_or3_b32 v53, v28, v29, v20
.LBB361_702:                            ;   in Loop: Header=BB361_636 Depth=1
	s_or_b32 exec_lo, exec_lo, s15
.LBB361_703:                            ;   in Loop: Header=BB361_636 Depth=1
	s_delay_alu instid0(SALU_CYCLE_1)
	s_or_b32 exec_lo, exec_lo, s14
.LBB361_704:                            ;   in Loop: Header=BB361_636 Depth=1
	s_delay_alu instid0(SALU_CYCLE_1) | instskip(SKIP_2) | instid1(VALU_DEP_1)
	s_or_b32 exec_lo, exec_lo, s11
	v_lshrrev_b16 v20, 8, v0
	s_mov_b32 s11, exec_lo
	v_cmpx_ne_u16_e32 0, v20
	s_cbranch_execz .LBB361_712
; %bb.705:                              ;   in Loop: Header=BB361_636 Depth=1
	v_bfrev_b32_e32 v54, 1
	s_mov_b32 s14, exec_lo
	v_cmpx_ne_u16_e32 0x80, v20
	s_cbranch_execz .LBB361_711
; %bb.706:                              ;   in Loop: Header=BB361_636 Depth=1
	v_and_b32_e32 v20, 0xffff, v20
	v_mov_b32_e32 v54, 0x7f800001
	s_mov_b32 s15, exec_lo
	s_delay_alu instid0(VALU_DEP_2) | instskip(NEXT) | instid1(VALU_DEP_1)
	v_and_b32_e32 v29, 0x7f, v20
	v_cmpx_ne_u32_e32 0x7f, v29
	s_cbranch_execz .LBB361_710
; %bb.707:                              ;   in Loop: Header=BB361_636 Depth=1
	v_dual_lshrrev_b32 v28, 3, v29 :: v_dual_bitop2_b32 v20, 7, v20 bitop3:0x40
	s_mov_b32 s16, exec_lo
	v_cmpx_gt_u32_e32 8, v29
; %bb.708:                              ;   in Loop: Header=BB361_636 Depth=1
	s_delay_alu instid0(VALU_DEP_2) | instskip(NEXT) | instid1(VALU_DEP_1)
	v_clz_i32_u32_e32 v28, v20
	v_min_u32_e32 v28, 32, v28
	s_delay_alu instid0(VALU_DEP_1) | instskip(NEXT) | instid1(VALU_DEP_1)
	v_subrev_nc_u32_e32 v29, 28, v28
	v_lshlrev_b64_e32 v[54:55], v29, v[20:21]
	s_delay_alu instid0(VALU_DEP_1)
	v_dual_sub_nc_u32 v28, 29, v28 :: v_dual_bitop2_b32 v20, 7, v54 bitop3:0x40
; %bb.709:                              ;   in Loop: Header=BB361_636 Depth=1
	s_or_b32 exec_lo, exec_lo, s16
	v_lshlrev_b32_e32 v29, 16, v0
	s_delay_alu instid0(VALU_DEP_2) | instskip(NEXT) | instid1(VALU_DEP_3)
	v_lshlrev_b32_e32 v20, 20, v20
	v_lshl_add_u32 v28, v28, 23, 0x3c000000
	s_delay_alu instid0(VALU_DEP_3) | instskip(NEXT) | instid1(VALU_DEP_1)
	v_and_b32_e32 v29, 0x80000000, v29
	v_or3_b32 v54, v20, v29, v28
.LBB361_710:                            ;   in Loop: Header=BB361_636 Depth=1
	s_or_b32 exec_lo, exec_lo, s15
.LBB361_711:                            ;   in Loop: Header=BB361_636 Depth=1
	s_delay_alu instid0(SALU_CYCLE_1)
	s_or_b32 exec_lo, exec_lo, s14
.LBB361_712:                            ;   in Loop: Header=BB361_636 Depth=1
	s_delay_alu instid0(SALU_CYCLE_1) | instskip(SKIP_3) | instid1(VALU_DEP_2)
	s_or_b32 exec_lo, exec_lo, s11
	v_dual_mov_b32 v55, 0 :: v_dual_lshrrev_b32 v28, 16, v0
	v_mov_b32_e32 v56, 0
	s_mov_b32 s11, exec_lo
	v_and_b32_e32 v20, 0xff, v28
	s_delay_alu instid0(VALU_DEP_1)
	v_cmpx_ne_u16_e32 0, v20
	s_cbranch_execz .LBB361_720
; %bb.713:                              ;   in Loop: Header=BB361_636 Depth=1
	v_bfrev_b32_e32 v56, 1
	s_mov_b32 s14, exec_lo
	v_cmpx_ne_u16_e32 0x80, v20
	s_cbranch_execz .LBB361_719
; %bb.714:                              ;   in Loop: Header=BB361_636 Depth=1
	v_bfe_u32 v51, v0, 16, 7
	v_mov_b32_e32 v56, 0x7f800001
	s_mov_b32 s15, exec_lo
	s_delay_alu instid0(VALU_DEP_2)
	v_cmpx_ne_u32_e32 0x7f, v51
	s_cbranch_execz .LBB361_718
; %bb.715:                              ;   in Loop: Header=BB361_636 Depth=1
	v_dual_lshrrev_b32 v29, 3, v51 :: v_dual_bitop2_b32 v20, 7, v28 bitop3:0x40
	s_mov_b32 s16, exec_lo
	v_cmpx_gt_u32_e32 8, v51
; %bb.716:                              ;   in Loop: Header=BB361_636 Depth=1
	s_delay_alu instid0(VALU_DEP_2) | instskip(NEXT) | instid1(VALU_DEP_1)
	v_clz_i32_u32_e32 v29, v20
	v_min_u32_e32 v29, 32, v29
	s_delay_alu instid0(VALU_DEP_1) | instskip(NEXT) | instid1(VALU_DEP_1)
	v_subrev_nc_u32_e32 v51, 28, v29
	v_lshlrev_b64_e32 v[56:57], v51, v[20:21]
	s_delay_alu instid0(VALU_DEP_1)
	v_dual_sub_nc_u32 v29, 29, v29 :: v_dual_bitop2_b32 v20, 7, v56 bitop3:0x40
; %bb.717:                              ;   in Loop: Header=BB361_636 Depth=1
	s_or_b32 exec_lo, exec_lo, s16
	v_lshlrev_b32_e32 v28, 24, v28
	s_delay_alu instid0(VALU_DEP_2) | instskip(NEXT) | instid1(VALU_DEP_3)
	v_lshlrev_b32_e32 v20, 20, v20
	v_lshl_add_u32 v29, v29, 23, 0x3c000000
	s_delay_alu instid0(VALU_DEP_3) | instskip(NEXT) | instid1(VALU_DEP_1)
	v_and_b32_e32 v28, 0x80000000, v28
	v_or3_b32 v56, v20, v28, v29
.LBB361_718:                            ;   in Loop: Header=BB361_636 Depth=1
	s_or_b32 exec_lo, exec_lo, s15
.LBB361_719:                            ;   in Loop: Header=BB361_636 Depth=1
	s_delay_alu instid0(SALU_CYCLE_1)
	s_or_b32 exec_lo, exec_lo, s14
.LBB361_720:                            ;   in Loop: Header=BB361_636 Depth=1
	s_delay_alu instid0(SALU_CYCLE_1) | instskip(NEXT) | instid1(SALU_CYCLE_1)
	s_or_b32 exec_lo, exec_lo, s11
	s_mov_b32 s11, exec_lo
	v_cmpx_lt_u32_e32 0xffffff, v0
	s_cbranch_execz .LBB361_728
; %bb.721:                              ;   in Loop: Header=BB361_636 Depth=1
	v_lshrrev_b32_e32 v28, 24, v0
	v_bfrev_b32_e32 v55, 1
	s_mov_b32 s14, exec_lo
	s_delay_alu instid0(VALU_DEP_2)
	v_cmpx_ne_u32_e32 0x80, v28
	s_cbranch_execz .LBB361_727
; %bb.722:                              ;   in Loop: Header=BB361_636 Depth=1
	v_bfe_u32 v51, v0, 24, 7
	v_mov_b32_e32 v55, 0x7f800001
	s_mov_b32 s15, exec_lo
	s_delay_alu instid0(VALU_DEP_2)
	v_cmpx_ne_u32_e32 0x7f, v51
	s_cbranch_execz .LBB361_726
; %bb.723:                              ;   in Loop: Header=BB361_636 Depth=1
	v_dual_lshrrev_b32 v29, 3, v51 :: v_dual_bitop2_b32 v20, 7, v28 bitop3:0x40
	s_mov_b32 s16, exec_lo
	v_cmpx_gt_u32_e32 8, v51
; %bb.724:                              ;   in Loop: Header=BB361_636 Depth=1
	s_delay_alu instid0(VALU_DEP_2) | instskip(NEXT) | instid1(VALU_DEP_1)
	v_clz_i32_u32_e32 v29, v20
	v_min_u32_e32 v29, 32, v29
	s_delay_alu instid0(VALU_DEP_1) | instskip(NEXT) | instid1(VALU_DEP_1)
	v_subrev_nc_u32_e32 v51, 28, v29
	v_lshlrev_b64_e32 v[58:59], v51, v[20:21]
	s_delay_alu instid0(VALU_DEP_1)
	v_dual_sub_nc_u32 v29, 29, v29 :: v_dual_bitop2_b32 v20, 7, v58 bitop3:0x40
; %bb.725:                              ;   in Loop: Header=BB361_636 Depth=1
	s_or_b32 exec_lo, exec_lo, s16
	v_lshlrev_b32_e32 v28, 24, v28
	s_delay_alu instid0(VALU_DEP_2) | instskip(NEXT) | instid1(VALU_DEP_3)
	v_lshlrev_b32_e32 v20, 20, v20
	v_lshl_add_u32 v29, v29, 23, 0x3c000000
	s_delay_alu instid0(VALU_DEP_3) | instskip(NEXT) | instid1(VALU_DEP_1)
	v_and_b32_e32 v28, 0x80000000, v28
	v_or3_b32 v55, v20, v28, v29
.LBB361_726:                            ;   in Loop: Header=BB361_636 Depth=1
	s_or_b32 exec_lo, exec_lo, s15
.LBB361_727:                            ;   in Loop: Header=BB361_636 Depth=1
	s_delay_alu instid0(SALU_CYCLE_1)
	s_or_b32 exec_lo, exec_lo, s14
.LBB361_728:                            ;   in Loop: Header=BB361_636 Depth=1
	s_delay_alu instid0(SALU_CYCLE_1) | instskip(SKIP_4) | instid1(VALU_DEP_3)
	s_or_b32 exec_lo, exec_lo, s11
	v_and_b32_e32 v29, 0xff, v1
	v_dual_mov_b32 v20, v1 :: v_dual_mov_b32 v28, 0
	v_mov_b32_e32 v52, 0
	s_mov_b32 s11, exec_lo
	v_cmpx_ne_u16_e32 0, v29
	s_cbranch_execz .LBB361_734
; %bb.729:                              ;   in Loop: Header=BB361_636 Depth=1
	v_bfrev_b32_e32 v52, 1
	s_mov_b32 s14, exec_lo
	v_cmpx_ne_u16_e32 0x80, v29
	s_cbranch_execz .LBB361_733
; %bb.730:                              ;   in Loop: Header=BB361_636 Depth=1
	v_and_b32_e32 v29, 0x7f, v1
	v_mov_b32_e32 v52, 0x7f800001
	s_mov_b32 s15, exec_lo
	s_delay_alu instid0(VALU_DEP_2)
	v_cmpx_ne_u32_e32 0x7f, v29
	s_cbranch_execz .LBB361_732
; %bb.731:                              ;   in Loop: Header=BB361_636 Depth=1
	v_and_b32_e32 v51, 7, v1
	v_cmp_gt_u32_e64 s0, 8, v29
	s_delay_alu instid0(VALU_DEP_2) | instskip(NEXT) | instid1(VALU_DEP_1)
	v_clz_i32_u32_e32 v51, v51
	v_min_u32_e32 v51, 32, v51
	v_lshrrev_b32_e32 v52, 3, v29
	s_delay_alu instid0(VALU_DEP_2) | instskip(SKIP_1) | instid1(VALU_DEP_1)
	v_subrev_nc_u32_e32 v57, 28, v51
	v_sub_nc_u32_e32 v51, 29, v51
	v_dual_cndmask_b32 v29, v52, v51, s0 :: v_dual_cndmask_b32 v51, 0, v57, s0
	s_delay_alu instid0(VALU_DEP_1) | instskip(NEXT) | instid1(VALU_DEP_2)
	v_lshl_add_u32 v29, v29, 23, 0x3c000000
	v_lshlrev_b64_e32 v[58:59], v51, v[20:21]
	v_lshlrev_b32_e32 v51, 24, v20
	s_delay_alu instid0(VALU_DEP_1) | instskip(NEXT) | instid1(VALU_DEP_3)
	v_and_b32_e32 v51, 0x80000000, v51
	v_lshlrev_b32_e32 v52, 20, v58
	s_delay_alu instid0(VALU_DEP_1) | instskip(NEXT) | instid1(VALU_DEP_1)
	v_and_b32_e32 v52, 0x700000, v52
	v_or3_b32 v52, v52, v51, v29
.LBB361_732:                            ;   in Loop: Header=BB361_636 Depth=1
	s_or_b32 exec_lo, exec_lo, s15
.LBB361_733:                            ;   in Loop: Header=BB361_636 Depth=1
	s_delay_alu instid0(SALU_CYCLE_1)
	s_or_b32 exec_lo, exec_lo, s14
.LBB361_734:                            ;   in Loop: Header=BB361_636 Depth=1
	s_delay_alu instid0(SALU_CYCLE_1) | instskip(SKIP_2) | instid1(VALU_DEP_1)
	s_or_b32 exec_lo, exec_lo, s11
	v_lshrrev_b16 v29, 8, v20
	s_mov_b32 s11, exec_lo
	v_cmpx_ne_u16_e32 0, v29
	s_cbranch_execz .LBB361_742
; %bb.735:                              ;   in Loop: Header=BB361_636 Depth=1
	v_bfrev_b32_e32 v28, 1
	s_mov_b32 s14, exec_lo
	v_cmpx_ne_u16_e32 0x80, v29
	s_cbranch_execz .LBB361_741
; %bb.736:                              ;   in Loop: Header=BB361_636 Depth=1
	v_and_b32_e32 v29, 0xffff, v29
	v_mov_b32_e32 v28, 0x7f800001
	s_mov_b32 s15, exec_lo
	s_delay_alu instid0(VALU_DEP_2) | instskip(NEXT) | instid1(VALU_DEP_1)
	v_and_b32_e32 v57, 0x7f, v29
	v_cmpx_ne_u32_e32 0x7f, v57
	s_cbranch_execz .LBB361_740
; %bb.737:                              ;   in Loop: Header=BB361_636 Depth=1
	v_dual_mov_b32 v29, v21 :: v_dual_bitop2_b32 v28, 7, v29 bitop3:0x40
	v_lshrrev_b32_e32 v51, 3, v57
	s_mov_b32 s16, exec_lo
	v_cmpx_gt_u32_e32 8, v57
; %bb.738:                              ;   in Loop: Header=BB361_636 Depth=1
	s_delay_alu instid0(VALU_DEP_3) | instskip(NEXT) | instid1(VALU_DEP_1)
	v_clz_i32_u32_e32 v51, v28
	v_min_u32_e32 v51, 32, v51
	s_delay_alu instid0(VALU_DEP_1) | instskip(NEXT) | instid1(VALU_DEP_1)
	v_subrev_nc_u32_e32 v57, 28, v51
	v_lshlrev_b64_e32 v[28:29], v57, v[28:29]
	s_delay_alu instid0(VALU_DEP_1)
	v_dual_sub_nc_u32 v51, 29, v51 :: v_dual_bitop2_b32 v28, 7, v28 bitop3:0x40
; %bb.739:                              ;   in Loop: Header=BB361_636 Depth=1
	s_or_b32 exec_lo, exec_lo, s16
	v_lshlrev_b32_e32 v20, 16, v20
	s_delay_alu instid0(VALU_DEP_2) | instskip(NEXT) | instid1(VALU_DEP_3)
	v_lshlrev_b32_e32 v28, 20, v28
	v_lshl_add_u32 v29, v51, 23, 0x3c000000
	s_delay_alu instid0(VALU_DEP_3) | instskip(NEXT) | instid1(VALU_DEP_1)
	v_and_b32_e32 v20, 0x80000000, v20
	v_or3_b32 v28, v28, v20, v29
.LBB361_740:                            ;   in Loop: Header=BB361_636 Depth=1
	s_or_b32 exec_lo, exec_lo, s15
.LBB361_741:                            ;   in Loop: Header=BB361_636 Depth=1
	s_delay_alu instid0(SALU_CYCLE_1)
	s_or_b32 exec_lo, exec_lo, s14
.LBB361_742:                            ;   in Loop: Header=BB361_636 Depth=1
	s_delay_alu instid0(SALU_CYCLE_1) | instskip(SKIP_3) | instid1(VALU_DEP_2)
	s_or_b32 exec_lo, exec_lo, s11
	v_dual_lshrrev_b32 v51, 16, v1 :: v_dual_mov_b32 v29, 0
	v_mov_b32_e32 v59, 0
	s_mov_b32 s11, exec_lo
	v_and_b32_e32 v20, 0xff, v51
	s_delay_alu instid0(VALU_DEP_1)
	v_cmpx_ne_u16_e32 0, v20
	s_cbranch_execz .LBB361_750
; %bb.743:                              ;   in Loop: Header=BB361_636 Depth=1
	v_bfrev_b32_e32 v59, 1
	s_mov_b32 s14, exec_lo
	v_cmpx_ne_u16_e32 0x80, v20
	s_cbranch_execz .LBB361_749
; %bb.744:                              ;   in Loop: Header=BB361_636 Depth=1
	v_bfe_u32 v58, v1, 16, 7
	v_mov_b32_e32 v59, 0x7f800001
	s_mov_b32 s15, exec_lo
	s_delay_alu instid0(VALU_DEP_2)
	v_cmpx_ne_u32_e32 0x7f, v58
	s_cbranch_execz .LBB361_748
; %bb.745:                              ;   in Loop: Header=BB361_636 Depth=1
	v_dual_lshrrev_b32 v57, 3, v58 :: v_dual_bitop2_b32 v20, 7, v51 bitop3:0x40
	s_mov_b32 s16, exec_lo
	v_cmpx_gt_u32_e32 8, v58
; %bb.746:                              ;   in Loop: Header=BB361_636 Depth=1
	s_delay_alu instid0(VALU_DEP_2) | instskip(NEXT) | instid1(VALU_DEP_1)
	v_clz_i32_u32_e32 v57, v20
	v_min_u32_e32 v57, 32, v57
	s_delay_alu instid0(VALU_DEP_1) | instskip(NEXT) | instid1(VALU_DEP_1)
	v_subrev_nc_u32_e32 v58, 28, v57
	v_lshlrev_b64_e32 v[58:59], v58, v[20:21]
	s_delay_alu instid0(VALU_DEP_1)
	v_dual_sub_nc_u32 v57, 29, v57 :: v_dual_bitop2_b32 v20, 7, v58 bitop3:0x40
; %bb.747:                              ;   in Loop: Header=BB361_636 Depth=1
	s_or_b32 exec_lo, exec_lo, s16
	s_delay_alu instid0(VALU_DEP_1) | instskip(NEXT) | instid1(VALU_DEP_2)
	v_dual_lshlrev_b32 v51, 24, v51 :: v_dual_lshlrev_b32 v20, 20, v20
	v_lshl_add_u32 v57, v57, 23, 0x3c000000
	s_delay_alu instid0(VALU_DEP_2) | instskip(NEXT) | instid1(VALU_DEP_1)
	v_and_b32_e32 v51, 0x80000000, v51
	v_or3_b32 v59, v20, v51, v57
.LBB361_748:                            ;   in Loop: Header=BB361_636 Depth=1
	s_or_b32 exec_lo, exec_lo, s15
.LBB361_749:                            ;   in Loop: Header=BB361_636 Depth=1
	s_delay_alu instid0(SALU_CYCLE_1)
	s_or_b32 exec_lo, exec_lo, s14
.LBB361_750:                            ;   in Loop: Header=BB361_636 Depth=1
	s_delay_alu instid0(SALU_CYCLE_1) | instskip(NEXT) | instid1(SALU_CYCLE_1)
	s_or_b32 exec_lo, exec_lo, s11
	s_mov_b32 s11, exec_lo
	v_cmpx_lt_u64_e64 s[2:3], v[0:1]
	s_cbranch_execz .LBB361_758
; %bb.751:                              ;   in Loop: Header=BB361_636 Depth=1
	v_lshrrev_b32_e32 v0, 24, v1
	v_bfrev_b32_e32 v29, 1
	s_mov_b32 s14, exec_lo
	s_delay_alu instid0(VALU_DEP_2)
	v_cmpx_ne_u32_e32 0x80, v0
	s_cbranch_execz .LBB361_757
; %bb.752:                              ;   in Loop: Header=BB361_636 Depth=1
	v_bfe_u32 v51, v1, 24, 7
	v_mov_b32_e32 v29, 0x7f800001
	s_mov_b32 s15, exec_lo
	s_delay_alu instid0(VALU_DEP_2)
	v_cmpx_ne_u32_e32 0x7f, v51
	s_cbranch_execz .LBB361_756
; %bb.753:                              ;   in Loop: Header=BB361_636 Depth=1
	v_dual_lshrrev_b32 v1, 3, v51 :: v_dual_bitop2_b32 v20, 7, v0 bitop3:0x40
	s_mov_b32 s16, exec_lo
	v_cmpx_gt_u32_e32 8, v51
; %bb.754:                              ;   in Loop: Header=BB361_636 Depth=1
	s_delay_alu instid0(VALU_DEP_2) | instskip(NEXT) | instid1(VALU_DEP_1)
	v_clz_i32_u32_e32 v1, v20
	v_min_u32_e32 v1, 32, v1
	s_delay_alu instid0(VALU_DEP_1) | instskip(NEXT) | instid1(VALU_DEP_1)
	v_subrev_nc_u32_e32 v29, 28, v1
	v_lshlrev_b64_e32 v[60:61], v29, v[20:21]
	s_delay_alu instid0(VALU_DEP_1)
	v_dual_sub_nc_u32 v1, 29, v1 :: v_dual_bitop2_b32 v20, 7, v60 bitop3:0x40
; %bb.755:                              ;   in Loop: Header=BB361_636 Depth=1
	s_or_b32 exec_lo, exec_lo, s16
	v_lshlrev_b32_e32 v0, 24, v0
	s_delay_alu instid0(VALU_DEP_2) | instskip(NEXT) | instid1(VALU_DEP_3)
	v_lshlrev_b32_e32 v20, 20, v20
	v_lshl_add_u32 v1, v1, 23, 0x3c000000
	s_delay_alu instid0(VALU_DEP_3) | instskip(NEXT) | instid1(VALU_DEP_1)
	v_and_b32_e32 v0, 0x80000000, v0
	v_or3_b32 v29, v20, v0, v1
.LBB361_756:                            ;   in Loop: Header=BB361_636 Depth=1
	s_or_b32 exec_lo, exec_lo, s15
.LBB361_757:                            ;   in Loop: Header=BB361_636 Depth=1
	s_delay_alu instid0(SALU_CYCLE_1)
	s_or_b32 exec_lo, exec_lo, s14
.LBB361_758:                            ;   in Loop: Header=BB361_636 Depth=1
	s_delay_alu instid0(SALU_CYCLE_1)
	s_or_b32 exec_lo, exec_lo, s11
	v_fma_mixlo_bf16 v51, s6, v28, 0
	v_fma_mixlo_bf16 v52, s6, v52, 0
	;; [unrolled: 1-line block ×8, first 2 shown]
	s_and_saveexec_b32 s11, vcc_lo
	s_cbranch_execz .LBB361_760
; %bb.759:                              ;   in Loop: Header=BB361_636 Depth=1
	v_cmp_gt_i32_e64 s0, s25, v44
	s_delay_alu instid0(VALU_DEP_1) | instskip(SKIP_1) | instid1(VALU_DEP_1)
	v_cndmask_b32_e64 v58, 0, v58, s0
	v_cmp_gt_i32_e64 s0, s25, v50
	v_cndmask_b32_e64 v57, 0, v57, s0
	v_cmp_gt_i32_e64 s0, s25, v49
	s_delay_alu instid0(VALU_DEP_1) | instskip(SKIP_1) | instid1(VALU_DEP_1)
	v_cndmask_b32_e64 v56, 0, v56, s0
	v_cmp_gt_i32_e64 s0, s25, v48
	v_cndmask_b32_e64 v55, 0, v55, s0
	;; [unrolled: 5-line block ×4, first 2 shown]
.LBB361_760:                            ;   in Loop: Header=BB361_636 Depth=1
	s_or_b32 exec_lo, exec_lo, s11
	global_load_b64 v[0:1], v[26:27], off offset:512
	v_dual_mov_b32 v60, 0 :: v_dual_mov_b32 v59, 0
	s_mov_b32 s11, exec_lo
	s_wait_loadcnt 0x0
	v_and_b32_e32 v20, 0xff, v0
	s_delay_alu instid0(VALU_DEP_1)
	v_cmpx_ne_u16_e32 0, v20
	s_cbranch_execz .LBB361_766
; %bb.761:                              ;   in Loop: Header=BB361_636 Depth=1
	v_bfrev_b32_e32 v59, 1
	s_mov_b32 s14, exec_lo
	v_cmpx_ne_u16_e32 0x80, v20
	s_cbranch_execz .LBB361_765
; %bb.762:                              ;   in Loop: Header=BB361_636 Depth=1
	v_and_b32_e32 v20, 0x7f, v0
	v_mov_b32_e32 v59, 0x7f800001
	s_mov_b32 s15, exec_lo
	s_delay_alu instid0(VALU_DEP_2)
	v_cmpx_ne_u32_e32 0x7f, v20
	s_cbranch_execz .LBB361_764
; %bb.763:                              ;   in Loop: Header=BB361_636 Depth=1
	v_and_b32_e32 v28, 7, v0
	v_cmp_gt_u32_e64 s0, 8, v20
	s_delay_alu instid0(VALU_DEP_2) | instskip(NEXT) | instid1(VALU_DEP_1)
	v_clz_i32_u32_e32 v28, v28
	v_min_u32_e32 v28, 32, v28
	s_delay_alu instid0(VALU_DEP_1) | instskip(SKIP_2) | instid1(VALU_DEP_1)
	v_subrev_nc_u32_e32 v59, 28, v28
	v_lshrrev_b32_e32 v29, 3, v20
	v_sub_nc_u32_e32 v28, 29, v28
	v_dual_cndmask_b32 v20, v29, v28, s0 :: v_dual_cndmask_b32 v28, 0, v59, s0
	s_delay_alu instid0(VALU_DEP_1) | instskip(SKIP_1) | instid1(VALU_DEP_1)
	v_lshlrev_b64_e32 v[28:29], v28, v[0:1]
	v_lshlrev_b32_e32 v29, 24, v0
	v_and_b32_e32 v29, 0x80000000, v29
	s_delay_alu instid0(VALU_DEP_3) | instskip(SKIP_1) | instid1(VALU_DEP_2)
	v_lshlrev_b32_e32 v28, 20, v28
	v_lshl_add_u32 v20, v20, 23, 0x3c000000
	v_and_b32_e32 v28, 0x700000, v28
	s_delay_alu instid0(VALU_DEP_1)
	v_or3_b32 v59, v28, v29, v20
.LBB361_764:                            ;   in Loop: Header=BB361_636 Depth=1
	s_or_b32 exec_lo, exec_lo, s15
.LBB361_765:                            ;   in Loop: Header=BB361_636 Depth=1
	s_delay_alu instid0(SALU_CYCLE_1)
	s_or_b32 exec_lo, exec_lo, s14
.LBB361_766:                            ;   in Loop: Header=BB361_636 Depth=1
	s_delay_alu instid0(SALU_CYCLE_1) | instskip(SKIP_2) | instid1(VALU_DEP_1)
	s_or_b32 exec_lo, exec_lo, s11
	v_lshrrev_b16 v20, 8, v0
	s_mov_b32 s11, exec_lo
	v_cmpx_ne_u16_e32 0, v20
	s_cbranch_execz .LBB361_774
; %bb.767:                              ;   in Loop: Header=BB361_636 Depth=1
	v_bfrev_b32_e32 v60, 1
	s_mov_b32 s14, exec_lo
	v_cmpx_ne_u16_e32 0x80, v20
	s_cbranch_execz .LBB361_773
; %bb.768:                              ;   in Loop: Header=BB361_636 Depth=1
	v_and_b32_e32 v20, 0xffff, v20
	v_mov_b32_e32 v60, 0x7f800001
	s_mov_b32 s15, exec_lo
	s_delay_alu instid0(VALU_DEP_2) | instskip(NEXT) | instid1(VALU_DEP_1)
	v_and_b32_e32 v29, 0x7f, v20
	v_cmpx_ne_u32_e32 0x7f, v29
	s_cbranch_execz .LBB361_772
; %bb.769:                              ;   in Loop: Header=BB361_636 Depth=1
	v_dual_lshrrev_b32 v28, 3, v29 :: v_dual_bitop2_b32 v20, 7, v20 bitop3:0x40
	s_mov_b32 s16, exec_lo
	v_cmpx_gt_u32_e32 8, v29
; %bb.770:                              ;   in Loop: Header=BB361_636 Depth=1
	s_delay_alu instid0(VALU_DEP_2) | instskip(NEXT) | instid1(VALU_DEP_1)
	v_clz_i32_u32_e32 v28, v20
	v_min_u32_e32 v28, 32, v28
	s_delay_alu instid0(VALU_DEP_1) | instskip(SKIP_1) | instid1(VALU_DEP_2)
	v_subrev_nc_u32_e32 v29, 28, v28
	v_sub_nc_u32_e32 v28, 29, v28
	v_lshlrev_b64_e32 v[60:61], v29, v[20:21]
	s_delay_alu instid0(VALU_DEP_1)
	v_and_b32_e32 v20, 7, v60
; %bb.771:                              ;   in Loop: Header=BB361_636 Depth=1
	s_or_b32 exec_lo, exec_lo, s16
	v_lshlrev_b32_e32 v29, 16, v0
	s_delay_alu instid0(VALU_DEP_2) | instskip(SKIP_1) | instid1(VALU_DEP_3)
	v_lshlrev_b32_e32 v20, 20, v20
	v_lshl_add_u32 v28, v28, 23, 0x3c000000
	v_and_b32_e32 v29, 0x80000000, v29
	s_delay_alu instid0(VALU_DEP_1)
	v_or3_b32 v60, v20, v29, v28
.LBB361_772:                            ;   in Loop: Header=BB361_636 Depth=1
	s_or_b32 exec_lo, exec_lo, s15
.LBB361_773:                            ;   in Loop: Header=BB361_636 Depth=1
	s_delay_alu instid0(SALU_CYCLE_1)
	s_or_b32 exec_lo, exec_lo, s14
.LBB361_774:                            ;   in Loop: Header=BB361_636 Depth=1
	s_delay_alu instid0(SALU_CYCLE_1) | instskip(SKIP_3) | instid1(VALU_DEP_2)
	s_or_b32 exec_lo, exec_lo, s11
	v_dual_mov_b32 v63, 0 :: v_dual_lshrrev_b32 v28, 16, v0
	v_mov_b32_e32 v64, 0
	s_mov_b32 s11, exec_lo
	v_and_b32_e32 v20, 0xff, v28
	s_delay_alu instid0(VALU_DEP_1)
	v_cmpx_ne_u16_e32 0, v20
	s_cbranch_execz .LBB361_782
; %bb.775:                              ;   in Loop: Header=BB361_636 Depth=1
	v_bfrev_b32_e32 v64, 1
	s_mov_b32 s14, exec_lo
	v_cmpx_ne_u16_e32 0x80, v20
	s_cbranch_execz .LBB361_781
; %bb.776:                              ;   in Loop: Header=BB361_636 Depth=1
	v_bfe_u32 v61, v0, 16, 7
	v_mov_b32_e32 v64, 0x7f800001
	s_mov_b32 s15, exec_lo
	s_delay_alu instid0(VALU_DEP_2)
	v_cmpx_ne_u32_e32 0x7f, v61
	s_cbranch_execz .LBB361_780
; %bb.777:                              ;   in Loop: Header=BB361_636 Depth=1
	v_dual_lshrrev_b32 v29, 3, v61 :: v_dual_bitop2_b32 v20, 7, v28 bitop3:0x40
	s_mov_b32 s16, exec_lo
	v_cmpx_gt_u32_e32 8, v61
; %bb.778:                              ;   in Loop: Header=BB361_636 Depth=1
	s_delay_alu instid0(VALU_DEP_2) | instskip(NEXT) | instid1(VALU_DEP_1)
	v_clz_i32_u32_e32 v29, v20
	v_min_u32_e32 v29, 32, v29
	s_delay_alu instid0(VALU_DEP_1) | instskip(NEXT) | instid1(VALU_DEP_1)
	v_subrev_nc_u32_e32 v61, 28, v29
	v_lshlrev_b64_e32 v[64:65], v61, v[20:21]
	s_delay_alu instid0(VALU_DEP_1)
	v_dual_sub_nc_u32 v29, 29, v29 :: v_dual_bitop2_b32 v20, 7, v64 bitop3:0x40
; %bb.779:                              ;   in Loop: Header=BB361_636 Depth=1
	s_or_b32 exec_lo, exec_lo, s16
	v_lshlrev_b32_e32 v28, 24, v28
	s_delay_alu instid0(VALU_DEP_2) | instskip(NEXT) | instid1(VALU_DEP_3)
	v_lshlrev_b32_e32 v20, 20, v20
	v_lshl_add_u32 v29, v29, 23, 0x3c000000
	s_delay_alu instid0(VALU_DEP_3) | instskip(NEXT) | instid1(VALU_DEP_1)
	v_and_b32_e32 v28, 0x80000000, v28
	v_or3_b32 v64, v20, v28, v29
.LBB361_780:                            ;   in Loop: Header=BB361_636 Depth=1
	s_or_b32 exec_lo, exec_lo, s15
.LBB361_781:                            ;   in Loop: Header=BB361_636 Depth=1
	s_delay_alu instid0(SALU_CYCLE_1)
	s_or_b32 exec_lo, exec_lo, s14
.LBB361_782:                            ;   in Loop: Header=BB361_636 Depth=1
	s_delay_alu instid0(SALU_CYCLE_1) | instskip(NEXT) | instid1(SALU_CYCLE_1)
	s_or_b32 exec_lo, exec_lo, s11
	s_mov_b32 s11, exec_lo
	v_cmpx_lt_u32_e32 0xffffff, v0
	s_cbranch_execz .LBB361_790
; %bb.783:                              ;   in Loop: Header=BB361_636 Depth=1
	v_lshrrev_b32_e32 v28, 24, v0
	v_bfrev_b32_e32 v63, 1
	s_mov_b32 s14, exec_lo
	s_delay_alu instid0(VALU_DEP_2)
	v_cmpx_ne_u32_e32 0x80, v28
	s_cbranch_execz .LBB361_789
; %bb.784:                              ;   in Loop: Header=BB361_636 Depth=1
	v_bfe_u32 v61, v0, 24, 7
	v_mov_b32_e32 v63, 0x7f800001
	s_mov_b32 s15, exec_lo
	s_delay_alu instid0(VALU_DEP_2)
	v_cmpx_ne_u32_e32 0x7f, v61
	s_cbranch_execz .LBB361_788
; %bb.785:                              ;   in Loop: Header=BB361_636 Depth=1
	v_dual_lshrrev_b32 v29, 3, v61 :: v_dual_bitop2_b32 v20, 7, v28 bitop3:0x40
	s_mov_b32 s16, exec_lo
	v_cmpx_gt_u32_e32 8, v61
; %bb.786:                              ;   in Loop: Header=BB361_636 Depth=1
	s_delay_alu instid0(VALU_DEP_2) | instskip(NEXT) | instid1(VALU_DEP_1)
	v_clz_i32_u32_e32 v29, v20
	v_min_u32_e32 v29, 32, v29
	s_delay_alu instid0(VALU_DEP_1) | instskip(NEXT) | instid1(VALU_DEP_1)
	v_subrev_nc_u32_e32 v61, 28, v29
	v_lshlrev_b64_e32 v[62:63], v61, v[20:21]
	s_delay_alu instid0(VALU_DEP_1)
	v_dual_sub_nc_u32 v29, 29, v29 :: v_dual_bitop2_b32 v20, 7, v62 bitop3:0x40
; %bb.787:                              ;   in Loop: Header=BB361_636 Depth=1
	s_or_b32 exec_lo, exec_lo, s16
	v_lshlrev_b32_e32 v28, 24, v28
	s_delay_alu instid0(VALU_DEP_2) | instskip(NEXT) | instid1(VALU_DEP_3)
	v_lshlrev_b32_e32 v20, 20, v20
	v_lshl_add_u32 v29, v29, 23, 0x3c000000
	s_delay_alu instid0(VALU_DEP_3) | instskip(NEXT) | instid1(VALU_DEP_1)
	v_and_b32_e32 v28, 0x80000000, v28
	v_or3_b32 v63, v20, v28, v29
.LBB361_788:                            ;   in Loop: Header=BB361_636 Depth=1
	s_or_b32 exec_lo, exec_lo, s15
.LBB361_789:                            ;   in Loop: Header=BB361_636 Depth=1
	s_delay_alu instid0(SALU_CYCLE_1)
	s_or_b32 exec_lo, exec_lo, s14
.LBB361_790:                            ;   in Loop: Header=BB361_636 Depth=1
	s_delay_alu instid0(SALU_CYCLE_1) | instskip(SKIP_4) | instid1(VALU_DEP_3)
	s_or_b32 exec_lo, exec_lo, s11
	v_and_b32_e32 v29, 0xff, v1
	v_dual_mov_b32 v20, v1 :: v_dual_mov_b32 v28, 0
	v_mov_b32_e32 v62, 0
	s_mov_b32 s11, exec_lo
	v_cmpx_ne_u16_e32 0, v29
	s_cbranch_execz .LBB361_796
; %bb.791:                              ;   in Loop: Header=BB361_636 Depth=1
	v_bfrev_b32_e32 v62, 1
	s_mov_b32 s14, exec_lo
	v_cmpx_ne_u16_e32 0x80, v29
	s_cbranch_execz .LBB361_795
; %bb.792:                              ;   in Loop: Header=BB361_636 Depth=1
	v_and_b32_e32 v29, 0x7f, v1
	v_mov_b32_e32 v62, 0x7f800001
	s_mov_b32 s15, exec_lo
	s_delay_alu instid0(VALU_DEP_2)
	v_cmpx_ne_u32_e32 0x7f, v29
	s_cbranch_execz .LBB361_794
; %bb.793:                              ;   in Loop: Header=BB361_636 Depth=1
	v_and_b32_e32 v61, 7, v1
	v_lshrrev_b32_e32 v62, 3, v29
	v_cmp_gt_u32_e64 s0, 8, v29
	s_delay_alu instid0(VALU_DEP_3) | instskip(NEXT) | instid1(VALU_DEP_1)
	v_clz_i32_u32_e32 v61, v61
	v_min_u32_e32 v61, 32, v61
	s_delay_alu instid0(VALU_DEP_1) | instskip(SKIP_1) | instid1(VALU_DEP_1)
	v_subrev_nc_u32_e32 v65, 28, v61
	v_sub_nc_u32_e32 v61, 29, v61
	v_cndmask_b32_e64 v29, v62, v61, s0
	s_delay_alu instid0(VALU_DEP_3) | instskip(NEXT) | instid1(VALU_DEP_2)
	v_cndmask_b32_e64 v61, 0, v65, s0
	v_lshl_add_u32 v29, v29, 23, 0x3c000000
	s_delay_alu instid0(VALU_DEP_2) | instskip(SKIP_1) | instid1(VALU_DEP_1)
	v_lshlrev_b64_e32 v[66:67], v61, v[20:21]
	v_lshlrev_b32_e32 v61, 24, v20
	v_and_b32_e32 v61, 0x80000000, v61
	s_delay_alu instid0(VALU_DEP_3) | instskip(NEXT) | instid1(VALU_DEP_1)
	v_lshlrev_b32_e32 v62, 20, v66
	v_and_b32_e32 v62, 0x700000, v62
	s_delay_alu instid0(VALU_DEP_1)
	v_or3_b32 v62, v62, v61, v29
.LBB361_794:                            ;   in Loop: Header=BB361_636 Depth=1
	s_or_b32 exec_lo, exec_lo, s15
.LBB361_795:                            ;   in Loop: Header=BB361_636 Depth=1
	s_delay_alu instid0(SALU_CYCLE_1)
	s_or_b32 exec_lo, exec_lo, s14
.LBB361_796:                            ;   in Loop: Header=BB361_636 Depth=1
	s_delay_alu instid0(SALU_CYCLE_1) | instskip(SKIP_2) | instid1(VALU_DEP_1)
	s_or_b32 exec_lo, exec_lo, s11
	v_lshrrev_b16 v29, 8, v20
	s_mov_b32 s11, exec_lo
	v_cmpx_ne_u16_e32 0, v29
	s_cbranch_execz .LBB361_804
; %bb.797:                              ;   in Loop: Header=BB361_636 Depth=1
	v_bfrev_b32_e32 v28, 1
	s_mov_b32 s14, exec_lo
	v_cmpx_ne_u16_e32 0x80, v29
	s_cbranch_execz .LBB361_803
; %bb.798:                              ;   in Loop: Header=BB361_636 Depth=1
	v_and_b32_e32 v29, 0xffff, v29
	v_mov_b32_e32 v28, 0x7f800001
	s_mov_b32 s15, exec_lo
	s_delay_alu instid0(VALU_DEP_2) | instskip(NEXT) | instid1(VALU_DEP_1)
	v_and_b32_e32 v65, 0x7f, v29
	v_cmpx_ne_u32_e32 0x7f, v65
	s_cbranch_execz .LBB361_802
; %bb.799:                              ;   in Loop: Header=BB361_636 Depth=1
	v_dual_mov_b32 v29, v21 :: v_dual_bitop2_b32 v28, 7, v29 bitop3:0x40
	v_lshrrev_b32_e32 v61, 3, v65
	s_mov_b32 s16, exec_lo
	v_cmpx_gt_u32_e32 8, v65
; %bb.800:                              ;   in Loop: Header=BB361_636 Depth=1
	s_delay_alu instid0(VALU_DEP_3) | instskip(NEXT) | instid1(VALU_DEP_1)
	v_clz_i32_u32_e32 v61, v28
	v_min_u32_e32 v61, 32, v61
	s_delay_alu instid0(VALU_DEP_1) | instskip(NEXT) | instid1(VALU_DEP_1)
	v_subrev_nc_u32_e32 v65, 28, v61
	v_lshlrev_b64_e32 v[28:29], v65, v[28:29]
	s_delay_alu instid0(VALU_DEP_1)
	v_dual_sub_nc_u32 v61, 29, v61 :: v_dual_bitop2_b32 v28, 7, v28 bitop3:0x40
; %bb.801:                              ;   in Loop: Header=BB361_636 Depth=1
	s_or_b32 exec_lo, exec_lo, s16
	v_lshlrev_b32_e32 v20, 16, v20
	s_delay_alu instid0(VALU_DEP_2) | instskip(NEXT) | instid1(VALU_DEP_3)
	v_lshlrev_b32_e32 v28, 20, v28
	v_lshl_add_u32 v29, v61, 23, 0x3c000000
	s_delay_alu instid0(VALU_DEP_3) | instskip(NEXT) | instid1(VALU_DEP_1)
	v_and_b32_e32 v20, 0x80000000, v20
	v_or3_b32 v28, v28, v20, v29
.LBB361_802:                            ;   in Loop: Header=BB361_636 Depth=1
	s_or_b32 exec_lo, exec_lo, s15
.LBB361_803:                            ;   in Loop: Header=BB361_636 Depth=1
	s_delay_alu instid0(SALU_CYCLE_1)
	s_or_b32 exec_lo, exec_lo, s14
.LBB361_804:                            ;   in Loop: Header=BB361_636 Depth=1
	s_delay_alu instid0(SALU_CYCLE_1) | instskip(SKIP_3) | instid1(VALU_DEP_2)
	s_or_b32 exec_lo, exec_lo, s11
	v_dual_lshrrev_b32 v61, 16, v1 :: v_dual_mov_b32 v29, 0
	v_mov_b32_e32 v67, 0
	s_mov_b32 s11, exec_lo
	v_and_b32_e32 v20, 0xff, v61
	s_delay_alu instid0(VALU_DEP_1)
	v_cmpx_ne_u16_e32 0, v20
	s_cbranch_execz .LBB361_812
; %bb.805:                              ;   in Loop: Header=BB361_636 Depth=1
	v_bfrev_b32_e32 v67, 1
	s_mov_b32 s14, exec_lo
	v_cmpx_ne_u16_e32 0x80, v20
	s_cbranch_execz .LBB361_811
; %bb.806:                              ;   in Loop: Header=BB361_636 Depth=1
	v_bfe_u32 v66, v1, 16, 7
	v_mov_b32_e32 v67, 0x7f800001
	s_mov_b32 s15, exec_lo
	s_delay_alu instid0(VALU_DEP_2)
	v_cmpx_ne_u32_e32 0x7f, v66
	s_cbranch_execz .LBB361_810
; %bb.807:                              ;   in Loop: Header=BB361_636 Depth=1
	v_dual_lshrrev_b32 v65, 3, v66 :: v_dual_bitop2_b32 v20, 7, v61 bitop3:0x40
	s_mov_b32 s16, exec_lo
	v_cmpx_gt_u32_e32 8, v66
; %bb.808:                              ;   in Loop: Header=BB361_636 Depth=1
	s_delay_alu instid0(VALU_DEP_2) | instskip(NEXT) | instid1(VALU_DEP_1)
	v_clz_i32_u32_e32 v65, v20
	v_min_u32_e32 v65, 32, v65
	s_delay_alu instid0(VALU_DEP_1) | instskip(NEXT) | instid1(VALU_DEP_1)
	v_subrev_nc_u32_e32 v66, 28, v65
	v_lshlrev_b64_e32 v[66:67], v66, v[20:21]
	s_delay_alu instid0(VALU_DEP_1)
	v_dual_sub_nc_u32 v65, 29, v65 :: v_dual_bitop2_b32 v20, 7, v66 bitop3:0x40
; %bb.809:                              ;   in Loop: Header=BB361_636 Depth=1
	s_or_b32 exec_lo, exec_lo, s16
	s_delay_alu instid0(VALU_DEP_1) | instskip(NEXT) | instid1(VALU_DEP_2)
	v_dual_lshlrev_b32 v61, 24, v61 :: v_dual_lshlrev_b32 v20, 20, v20
	v_lshl_add_u32 v65, v65, 23, 0x3c000000
	s_delay_alu instid0(VALU_DEP_2) | instskip(NEXT) | instid1(VALU_DEP_1)
	v_and_b32_e32 v61, 0x80000000, v61
	v_or3_b32 v67, v20, v61, v65
.LBB361_810:                            ;   in Loop: Header=BB361_636 Depth=1
	s_or_b32 exec_lo, exec_lo, s15
.LBB361_811:                            ;   in Loop: Header=BB361_636 Depth=1
	s_delay_alu instid0(SALU_CYCLE_1)
	s_or_b32 exec_lo, exec_lo, s14
.LBB361_812:                            ;   in Loop: Header=BB361_636 Depth=1
	s_delay_alu instid0(SALU_CYCLE_1) | instskip(NEXT) | instid1(SALU_CYCLE_1)
	s_or_b32 exec_lo, exec_lo, s11
	s_mov_b32 s11, exec_lo
	v_cmpx_lt_u64_e64 s[2:3], v[0:1]
	s_cbranch_execz .LBB361_820
; %bb.813:                              ;   in Loop: Header=BB361_636 Depth=1
	v_lshrrev_b32_e32 v0, 24, v1
	v_bfrev_b32_e32 v29, 1
	s_mov_b32 s14, exec_lo
	s_delay_alu instid0(VALU_DEP_2)
	v_cmpx_ne_u32_e32 0x80, v0
	s_cbranch_execz .LBB361_819
; %bb.814:                              ;   in Loop: Header=BB361_636 Depth=1
	v_bfe_u32 v61, v1, 24, 7
	v_mov_b32_e32 v29, 0x7f800001
	s_mov_b32 s15, exec_lo
	s_delay_alu instid0(VALU_DEP_2)
	v_cmpx_ne_u32_e32 0x7f, v61
	s_cbranch_execz .LBB361_818
; %bb.815:                              ;   in Loop: Header=BB361_636 Depth=1
	v_dual_lshrrev_b32 v1, 3, v61 :: v_dual_bitop2_b32 v20, 7, v0 bitop3:0x40
	s_mov_b32 s16, exec_lo
	v_cmpx_gt_u32_e32 8, v61
; %bb.816:                              ;   in Loop: Header=BB361_636 Depth=1
	s_delay_alu instid0(VALU_DEP_2) | instskip(NEXT) | instid1(VALU_DEP_1)
	v_clz_i32_u32_e32 v1, v20
	v_min_u32_e32 v1, 32, v1
	s_delay_alu instid0(VALU_DEP_1) | instskip(NEXT) | instid1(VALU_DEP_1)
	v_subrev_nc_u32_e32 v29, 28, v1
	v_lshlrev_b64_e32 v[68:69], v29, v[20:21]
	s_delay_alu instid0(VALU_DEP_1)
	v_dual_sub_nc_u32 v1, 29, v1 :: v_dual_bitop2_b32 v20, 7, v68 bitop3:0x40
; %bb.817:                              ;   in Loop: Header=BB361_636 Depth=1
	s_or_b32 exec_lo, exec_lo, s16
	v_lshlrev_b32_e32 v0, 24, v0
	s_delay_alu instid0(VALU_DEP_2) | instskip(NEXT) | instid1(VALU_DEP_3)
	v_lshlrev_b32_e32 v20, 20, v20
	v_lshl_add_u32 v1, v1, 23, 0x3c000000
	s_delay_alu instid0(VALU_DEP_3) | instskip(NEXT) | instid1(VALU_DEP_1)
	v_and_b32_e32 v0, 0x80000000, v0
	v_or3_b32 v29, v20, v0, v1
.LBB361_818:                            ;   in Loop: Header=BB361_636 Depth=1
	s_or_b32 exec_lo, exec_lo, s15
.LBB361_819:                            ;   in Loop: Header=BB361_636 Depth=1
	s_delay_alu instid0(SALU_CYCLE_1)
	s_or_b32 exec_lo, exec_lo, s14
.LBB361_820:                            ;   in Loop: Header=BB361_636 Depth=1
	s_delay_alu instid0(SALU_CYCLE_1)
	s_or_b32 exec_lo, exec_lo, s11
	v_fma_mixlo_bf16 v61, s6, v28, 0
	v_fma_mixlo_bf16 v62, s6, v62, 0
	;; [unrolled: 1-line block ×8, first 2 shown]
	s_and_saveexec_b32 s11, vcc_lo
	s_cbranch_execz .LBB361_822
; %bb.821:                              ;   in Loop: Header=BB361_636 Depth=1
	v_cmp_gt_i32_e64 s0, s25, v44
	s_delay_alu instid0(VALU_DEP_1) | instskip(SKIP_1) | instid1(VALU_DEP_1)
	v_cndmask_b32_e64 v66, 0, v66, s0
	v_cmp_gt_i32_e64 s0, s25, v50
	v_cndmask_b32_e64 v65, 0, v65, s0
	v_cmp_gt_i32_e64 s0, s25, v49
	s_delay_alu instid0(VALU_DEP_1) | instskip(SKIP_1) | instid1(VALU_DEP_1)
	v_cndmask_b32_e64 v64, 0, v64, s0
	v_cmp_gt_i32_e64 s0, s25, v48
	v_cndmask_b32_e64 v63, 0, v63, s0
	;; [unrolled: 5-line block ×4, first 2 shown]
.LBB361_822:                            ;   in Loop: Header=BB361_636 Depth=1
	s_or_b32 exec_lo, exec_lo, s11
	global_load_b64 v[0:1], v[26:27], off offset:768
	v_dual_mov_b32 v68, 0 :: v_dual_mov_b32 v67, 0
	s_mov_b32 s11, exec_lo
	s_wait_loadcnt 0x0
	v_and_b32_e32 v20, 0xff, v0
	s_delay_alu instid0(VALU_DEP_1)
	v_cmpx_ne_u16_e32 0, v20
	s_cbranch_execz .LBB361_828
; %bb.823:                              ;   in Loop: Header=BB361_636 Depth=1
	v_bfrev_b32_e32 v67, 1
	s_mov_b32 s14, exec_lo
	v_cmpx_ne_u16_e32 0x80, v20
	s_cbranch_execz .LBB361_827
; %bb.824:                              ;   in Loop: Header=BB361_636 Depth=1
	v_and_b32_e32 v20, 0x7f, v0
	v_mov_b32_e32 v67, 0x7f800001
	s_mov_b32 s15, exec_lo
	s_delay_alu instid0(VALU_DEP_2)
	v_cmpx_ne_u32_e32 0x7f, v20
	s_cbranch_execz .LBB361_826
; %bb.825:                              ;   in Loop: Header=BB361_636 Depth=1
	v_and_b32_e32 v28, 7, v0
	v_cmp_gt_u32_e64 s0, 8, v20
	s_delay_alu instid0(VALU_DEP_2) | instskip(NEXT) | instid1(VALU_DEP_1)
	v_clz_i32_u32_e32 v28, v28
	v_min_u32_e32 v28, 32, v28
	s_delay_alu instid0(VALU_DEP_1) | instskip(SKIP_2) | instid1(VALU_DEP_1)
	v_subrev_nc_u32_e32 v67, 28, v28
	v_lshrrev_b32_e32 v29, 3, v20
	v_sub_nc_u32_e32 v28, 29, v28
	v_dual_cndmask_b32 v20, v29, v28, s0 :: v_dual_cndmask_b32 v28, 0, v67, s0
	s_delay_alu instid0(VALU_DEP_1) | instskip(SKIP_1) | instid1(VALU_DEP_1)
	v_lshlrev_b64_e32 v[28:29], v28, v[0:1]
	v_lshlrev_b32_e32 v29, 24, v0
	v_and_b32_e32 v29, 0x80000000, v29
	s_delay_alu instid0(VALU_DEP_3) | instskip(SKIP_1) | instid1(VALU_DEP_2)
	v_lshlrev_b32_e32 v28, 20, v28
	v_lshl_add_u32 v20, v20, 23, 0x3c000000
	v_and_b32_e32 v28, 0x700000, v28
	s_delay_alu instid0(VALU_DEP_1)
	v_or3_b32 v67, v28, v29, v20
.LBB361_826:                            ;   in Loop: Header=BB361_636 Depth=1
	s_or_b32 exec_lo, exec_lo, s15
.LBB361_827:                            ;   in Loop: Header=BB361_636 Depth=1
	s_delay_alu instid0(SALU_CYCLE_1)
	s_or_b32 exec_lo, exec_lo, s14
.LBB361_828:                            ;   in Loop: Header=BB361_636 Depth=1
	s_delay_alu instid0(SALU_CYCLE_1) | instskip(SKIP_2) | instid1(VALU_DEP_1)
	s_or_b32 exec_lo, exec_lo, s11
	v_lshrrev_b16 v20, 8, v0
	s_mov_b32 s11, exec_lo
	v_cmpx_ne_u16_e32 0, v20
	s_cbranch_execz .LBB361_836
; %bb.829:                              ;   in Loop: Header=BB361_636 Depth=1
	v_bfrev_b32_e32 v68, 1
	s_mov_b32 s14, exec_lo
	v_cmpx_ne_u16_e32 0x80, v20
	s_cbranch_execz .LBB361_835
; %bb.830:                              ;   in Loop: Header=BB361_636 Depth=1
	v_and_b32_e32 v20, 0xffff, v20
	v_mov_b32_e32 v68, 0x7f800001
	s_mov_b32 s15, exec_lo
	s_delay_alu instid0(VALU_DEP_2) | instskip(NEXT) | instid1(VALU_DEP_1)
	v_and_b32_e32 v29, 0x7f, v20
	v_cmpx_ne_u32_e32 0x7f, v29
	s_cbranch_execz .LBB361_834
; %bb.831:                              ;   in Loop: Header=BB361_636 Depth=1
	v_dual_lshrrev_b32 v28, 3, v29 :: v_dual_bitop2_b32 v20, 7, v20 bitop3:0x40
	s_mov_b32 s16, exec_lo
	v_cmpx_gt_u32_e32 8, v29
; %bb.832:                              ;   in Loop: Header=BB361_636 Depth=1
	s_delay_alu instid0(VALU_DEP_2) | instskip(NEXT) | instid1(VALU_DEP_1)
	v_clz_i32_u32_e32 v28, v20
	v_min_u32_e32 v28, 32, v28
	s_delay_alu instid0(VALU_DEP_1) | instskip(SKIP_1) | instid1(VALU_DEP_2)
	v_subrev_nc_u32_e32 v29, 28, v28
	v_sub_nc_u32_e32 v28, 29, v28
	v_lshlrev_b64_e32 v[68:69], v29, v[20:21]
	s_delay_alu instid0(VALU_DEP_1)
	v_and_b32_e32 v20, 7, v68
; %bb.833:                              ;   in Loop: Header=BB361_636 Depth=1
	s_or_b32 exec_lo, exec_lo, s16
	v_lshlrev_b32_e32 v29, 16, v0
	s_delay_alu instid0(VALU_DEP_2) | instskip(SKIP_1) | instid1(VALU_DEP_3)
	v_lshlrev_b32_e32 v20, 20, v20
	v_lshl_add_u32 v28, v28, 23, 0x3c000000
	v_and_b32_e32 v29, 0x80000000, v29
	s_delay_alu instid0(VALU_DEP_1)
	v_or3_b32 v68, v20, v29, v28
.LBB361_834:                            ;   in Loop: Header=BB361_636 Depth=1
	s_or_b32 exec_lo, exec_lo, s15
.LBB361_835:                            ;   in Loop: Header=BB361_636 Depth=1
	s_delay_alu instid0(SALU_CYCLE_1)
	s_or_b32 exec_lo, exec_lo, s14
.LBB361_836:                            ;   in Loop: Header=BB361_636 Depth=1
	s_delay_alu instid0(SALU_CYCLE_1) | instskip(SKIP_3) | instid1(VALU_DEP_2)
	s_or_b32 exec_lo, exec_lo, s11
	v_dual_mov_b32 v71, 0 :: v_dual_lshrrev_b32 v28, 16, v0
	v_mov_b32_e32 v72, 0
	s_mov_b32 s11, exec_lo
	v_and_b32_e32 v20, 0xff, v28
	s_delay_alu instid0(VALU_DEP_1)
	v_cmpx_ne_u16_e32 0, v20
	s_cbranch_execz .LBB361_844
; %bb.837:                              ;   in Loop: Header=BB361_636 Depth=1
	v_bfrev_b32_e32 v72, 1
	s_mov_b32 s14, exec_lo
	v_cmpx_ne_u16_e32 0x80, v20
	s_cbranch_execz .LBB361_843
; %bb.838:                              ;   in Loop: Header=BB361_636 Depth=1
	v_bfe_u32 v69, v0, 16, 7
	v_mov_b32_e32 v72, 0x7f800001
	s_mov_b32 s15, exec_lo
	s_delay_alu instid0(VALU_DEP_2)
	v_cmpx_ne_u32_e32 0x7f, v69
	s_cbranch_execz .LBB361_842
; %bb.839:                              ;   in Loop: Header=BB361_636 Depth=1
	v_dual_lshrrev_b32 v29, 3, v69 :: v_dual_bitop2_b32 v20, 7, v28 bitop3:0x40
	s_mov_b32 s16, exec_lo
	v_cmpx_gt_u32_e32 8, v69
; %bb.840:                              ;   in Loop: Header=BB361_636 Depth=1
	s_delay_alu instid0(VALU_DEP_2) | instskip(NEXT) | instid1(VALU_DEP_1)
	v_clz_i32_u32_e32 v29, v20
	v_min_u32_e32 v29, 32, v29
	s_delay_alu instid0(VALU_DEP_1) | instskip(NEXT) | instid1(VALU_DEP_1)
	v_subrev_nc_u32_e32 v69, 28, v29
	v_lshlrev_b64_e32 v[72:73], v69, v[20:21]
	s_delay_alu instid0(VALU_DEP_1)
	v_dual_sub_nc_u32 v29, 29, v29 :: v_dual_bitop2_b32 v20, 7, v72 bitop3:0x40
; %bb.841:                              ;   in Loop: Header=BB361_636 Depth=1
	s_or_b32 exec_lo, exec_lo, s16
	v_lshlrev_b32_e32 v28, 24, v28
	s_delay_alu instid0(VALU_DEP_2) | instskip(NEXT) | instid1(VALU_DEP_3)
	v_lshlrev_b32_e32 v20, 20, v20
	v_lshl_add_u32 v29, v29, 23, 0x3c000000
	s_delay_alu instid0(VALU_DEP_3) | instskip(NEXT) | instid1(VALU_DEP_1)
	v_and_b32_e32 v28, 0x80000000, v28
	v_or3_b32 v72, v20, v28, v29
.LBB361_842:                            ;   in Loop: Header=BB361_636 Depth=1
	s_or_b32 exec_lo, exec_lo, s15
.LBB361_843:                            ;   in Loop: Header=BB361_636 Depth=1
	s_delay_alu instid0(SALU_CYCLE_1)
	s_or_b32 exec_lo, exec_lo, s14
.LBB361_844:                            ;   in Loop: Header=BB361_636 Depth=1
	s_delay_alu instid0(SALU_CYCLE_1) | instskip(NEXT) | instid1(SALU_CYCLE_1)
	s_or_b32 exec_lo, exec_lo, s11
	s_mov_b32 s11, exec_lo
	v_cmpx_lt_u32_e32 0xffffff, v0
	s_cbranch_execz .LBB361_852
; %bb.845:                              ;   in Loop: Header=BB361_636 Depth=1
	v_lshrrev_b32_e32 v28, 24, v0
	v_bfrev_b32_e32 v71, 1
	s_mov_b32 s14, exec_lo
	s_delay_alu instid0(VALU_DEP_2)
	v_cmpx_ne_u32_e32 0x80, v28
	s_cbranch_execz .LBB361_851
; %bb.846:                              ;   in Loop: Header=BB361_636 Depth=1
	v_bfe_u32 v69, v0, 24, 7
	v_mov_b32_e32 v71, 0x7f800001
	s_mov_b32 s15, exec_lo
	s_delay_alu instid0(VALU_DEP_2)
	v_cmpx_ne_u32_e32 0x7f, v69
	s_cbranch_execz .LBB361_850
; %bb.847:                              ;   in Loop: Header=BB361_636 Depth=1
	v_dual_lshrrev_b32 v29, 3, v69 :: v_dual_bitop2_b32 v20, 7, v28 bitop3:0x40
	s_mov_b32 s16, exec_lo
	v_cmpx_gt_u32_e32 8, v69
; %bb.848:                              ;   in Loop: Header=BB361_636 Depth=1
	s_delay_alu instid0(VALU_DEP_2) | instskip(NEXT) | instid1(VALU_DEP_1)
	v_clz_i32_u32_e32 v29, v20
	v_min_u32_e32 v29, 32, v29
	s_delay_alu instid0(VALU_DEP_1) | instskip(NEXT) | instid1(VALU_DEP_1)
	v_subrev_nc_u32_e32 v69, 28, v29
	v_lshlrev_b64_e32 v[70:71], v69, v[20:21]
	s_delay_alu instid0(VALU_DEP_1)
	v_dual_sub_nc_u32 v29, 29, v29 :: v_dual_bitop2_b32 v20, 7, v70 bitop3:0x40
; %bb.849:                              ;   in Loop: Header=BB361_636 Depth=1
	s_or_b32 exec_lo, exec_lo, s16
	v_lshlrev_b32_e32 v28, 24, v28
	s_delay_alu instid0(VALU_DEP_2) | instskip(NEXT) | instid1(VALU_DEP_3)
	v_lshlrev_b32_e32 v20, 20, v20
	v_lshl_add_u32 v29, v29, 23, 0x3c000000
	s_delay_alu instid0(VALU_DEP_3) | instskip(NEXT) | instid1(VALU_DEP_1)
	v_and_b32_e32 v28, 0x80000000, v28
	v_or3_b32 v71, v20, v28, v29
.LBB361_850:                            ;   in Loop: Header=BB361_636 Depth=1
	s_or_b32 exec_lo, exec_lo, s15
.LBB361_851:                            ;   in Loop: Header=BB361_636 Depth=1
	s_delay_alu instid0(SALU_CYCLE_1)
	s_or_b32 exec_lo, exec_lo, s14
.LBB361_852:                            ;   in Loop: Header=BB361_636 Depth=1
	s_delay_alu instid0(SALU_CYCLE_1) | instskip(SKIP_4) | instid1(VALU_DEP_3)
	s_or_b32 exec_lo, exec_lo, s11
	v_and_b32_e32 v29, 0xff, v1
	v_dual_mov_b32 v20, v1 :: v_dual_mov_b32 v28, 0
	v_mov_b32_e32 v70, 0
	s_mov_b32 s11, exec_lo
	v_cmpx_ne_u16_e32 0, v29
	s_cbranch_execz .LBB361_858
; %bb.853:                              ;   in Loop: Header=BB361_636 Depth=1
	v_bfrev_b32_e32 v70, 1
	s_mov_b32 s14, exec_lo
	v_cmpx_ne_u16_e32 0x80, v29
	s_cbranch_execz .LBB361_857
; %bb.854:                              ;   in Loop: Header=BB361_636 Depth=1
	v_and_b32_e32 v29, 0x7f, v1
	v_mov_b32_e32 v70, 0x7f800001
	s_mov_b32 s15, exec_lo
	s_delay_alu instid0(VALU_DEP_2)
	v_cmpx_ne_u32_e32 0x7f, v29
	s_cbranch_execz .LBB361_856
; %bb.855:                              ;   in Loop: Header=BB361_636 Depth=1
	v_and_b32_e32 v69, 7, v1
	v_lshrrev_b32_e32 v70, 3, v29
	v_cmp_gt_u32_e64 s0, 8, v29
	s_delay_alu instid0(VALU_DEP_3) | instskip(NEXT) | instid1(VALU_DEP_1)
	v_clz_i32_u32_e32 v69, v69
	v_min_u32_e32 v69, 32, v69
	s_delay_alu instid0(VALU_DEP_1) | instskip(SKIP_1) | instid1(VALU_DEP_1)
	v_subrev_nc_u32_e32 v73, 28, v69
	v_sub_nc_u32_e32 v69, 29, v69
	v_cndmask_b32_e64 v29, v70, v69, s0
	s_delay_alu instid0(VALU_DEP_3) | instskip(NEXT) | instid1(VALU_DEP_2)
	v_cndmask_b32_e64 v69, 0, v73, s0
	v_lshl_add_u32 v29, v29, 23, 0x3c000000
	s_delay_alu instid0(VALU_DEP_2) | instskip(SKIP_1) | instid1(VALU_DEP_1)
	v_lshlrev_b64_e32 v[74:75], v69, v[20:21]
	v_lshlrev_b32_e32 v69, 24, v20
	v_and_b32_e32 v69, 0x80000000, v69
	s_delay_alu instid0(VALU_DEP_3) | instskip(NEXT) | instid1(VALU_DEP_1)
	v_lshlrev_b32_e32 v70, 20, v74
	v_and_b32_e32 v70, 0x700000, v70
	s_delay_alu instid0(VALU_DEP_1)
	v_or3_b32 v70, v70, v69, v29
.LBB361_856:                            ;   in Loop: Header=BB361_636 Depth=1
	s_or_b32 exec_lo, exec_lo, s15
.LBB361_857:                            ;   in Loop: Header=BB361_636 Depth=1
	s_delay_alu instid0(SALU_CYCLE_1)
	s_or_b32 exec_lo, exec_lo, s14
.LBB361_858:                            ;   in Loop: Header=BB361_636 Depth=1
	s_delay_alu instid0(SALU_CYCLE_1) | instskip(SKIP_2) | instid1(VALU_DEP_1)
	s_or_b32 exec_lo, exec_lo, s11
	v_lshrrev_b16 v29, 8, v20
	s_mov_b32 s11, exec_lo
	v_cmpx_ne_u16_e32 0, v29
	s_cbranch_execz .LBB361_866
; %bb.859:                              ;   in Loop: Header=BB361_636 Depth=1
	v_bfrev_b32_e32 v28, 1
	s_mov_b32 s14, exec_lo
	v_cmpx_ne_u16_e32 0x80, v29
	s_cbranch_execz .LBB361_865
; %bb.860:                              ;   in Loop: Header=BB361_636 Depth=1
	v_and_b32_e32 v29, 0xffff, v29
	v_mov_b32_e32 v28, 0x7f800001
	s_mov_b32 s15, exec_lo
	s_delay_alu instid0(VALU_DEP_2) | instskip(NEXT) | instid1(VALU_DEP_1)
	v_and_b32_e32 v73, 0x7f, v29
	v_cmpx_ne_u32_e32 0x7f, v73
	s_cbranch_execz .LBB361_864
; %bb.861:                              ;   in Loop: Header=BB361_636 Depth=1
	v_dual_mov_b32 v29, v21 :: v_dual_bitop2_b32 v28, 7, v29 bitop3:0x40
	v_lshrrev_b32_e32 v69, 3, v73
	s_mov_b32 s16, exec_lo
	v_cmpx_gt_u32_e32 8, v73
; %bb.862:                              ;   in Loop: Header=BB361_636 Depth=1
	s_delay_alu instid0(VALU_DEP_3) | instskip(NEXT) | instid1(VALU_DEP_1)
	v_clz_i32_u32_e32 v69, v28
	v_min_u32_e32 v69, 32, v69
	s_delay_alu instid0(VALU_DEP_1) | instskip(NEXT) | instid1(VALU_DEP_1)
	v_subrev_nc_u32_e32 v73, 28, v69
	v_lshlrev_b64_e32 v[28:29], v73, v[28:29]
	s_delay_alu instid0(VALU_DEP_1)
	v_dual_sub_nc_u32 v69, 29, v69 :: v_dual_bitop2_b32 v28, 7, v28 bitop3:0x40
; %bb.863:                              ;   in Loop: Header=BB361_636 Depth=1
	s_or_b32 exec_lo, exec_lo, s16
	v_lshlrev_b32_e32 v20, 16, v20
	s_delay_alu instid0(VALU_DEP_2) | instskip(NEXT) | instid1(VALU_DEP_3)
	v_lshlrev_b32_e32 v28, 20, v28
	v_lshl_add_u32 v29, v69, 23, 0x3c000000
	s_delay_alu instid0(VALU_DEP_3) | instskip(NEXT) | instid1(VALU_DEP_1)
	v_and_b32_e32 v20, 0x80000000, v20
	v_or3_b32 v28, v28, v20, v29
.LBB361_864:                            ;   in Loop: Header=BB361_636 Depth=1
	s_or_b32 exec_lo, exec_lo, s15
.LBB361_865:                            ;   in Loop: Header=BB361_636 Depth=1
	s_delay_alu instid0(SALU_CYCLE_1)
	s_or_b32 exec_lo, exec_lo, s14
.LBB361_866:                            ;   in Loop: Header=BB361_636 Depth=1
	s_delay_alu instid0(SALU_CYCLE_1) | instskip(SKIP_3) | instid1(VALU_DEP_2)
	s_or_b32 exec_lo, exec_lo, s11
	v_dual_lshrrev_b32 v69, 16, v1 :: v_dual_mov_b32 v29, 0
	v_mov_b32_e32 v75, 0
	s_mov_b32 s11, exec_lo
	v_and_b32_e32 v20, 0xff, v69
	s_delay_alu instid0(VALU_DEP_1)
	v_cmpx_ne_u16_e32 0, v20
	s_cbranch_execz .LBB361_874
; %bb.867:                              ;   in Loop: Header=BB361_636 Depth=1
	v_bfrev_b32_e32 v75, 1
	s_mov_b32 s14, exec_lo
	v_cmpx_ne_u16_e32 0x80, v20
	s_cbranch_execz .LBB361_873
; %bb.868:                              ;   in Loop: Header=BB361_636 Depth=1
	v_bfe_u32 v74, v1, 16, 7
	v_mov_b32_e32 v75, 0x7f800001
	s_mov_b32 s15, exec_lo
	s_delay_alu instid0(VALU_DEP_2)
	v_cmpx_ne_u32_e32 0x7f, v74
	s_cbranch_execz .LBB361_872
; %bb.869:                              ;   in Loop: Header=BB361_636 Depth=1
	v_dual_lshrrev_b32 v73, 3, v74 :: v_dual_bitop2_b32 v20, 7, v69 bitop3:0x40
	s_mov_b32 s16, exec_lo
	v_cmpx_gt_u32_e32 8, v74
; %bb.870:                              ;   in Loop: Header=BB361_636 Depth=1
	s_delay_alu instid0(VALU_DEP_2) | instskip(NEXT) | instid1(VALU_DEP_1)
	v_clz_i32_u32_e32 v73, v20
	v_min_u32_e32 v73, 32, v73
	s_delay_alu instid0(VALU_DEP_1) | instskip(NEXT) | instid1(VALU_DEP_1)
	v_subrev_nc_u32_e32 v74, 28, v73
	v_lshlrev_b64_e32 v[74:75], v74, v[20:21]
	s_delay_alu instid0(VALU_DEP_1)
	v_dual_sub_nc_u32 v73, 29, v73 :: v_dual_bitop2_b32 v20, 7, v74 bitop3:0x40
; %bb.871:                              ;   in Loop: Header=BB361_636 Depth=1
	s_or_b32 exec_lo, exec_lo, s16
	s_delay_alu instid0(VALU_DEP_1) | instskip(NEXT) | instid1(VALU_DEP_2)
	v_dual_lshlrev_b32 v69, 24, v69 :: v_dual_lshlrev_b32 v20, 20, v20
	v_lshl_add_u32 v73, v73, 23, 0x3c000000
	s_delay_alu instid0(VALU_DEP_2) | instskip(NEXT) | instid1(VALU_DEP_1)
	v_and_b32_e32 v69, 0x80000000, v69
	v_or3_b32 v75, v20, v69, v73
.LBB361_872:                            ;   in Loop: Header=BB361_636 Depth=1
	s_or_b32 exec_lo, exec_lo, s15
.LBB361_873:                            ;   in Loop: Header=BB361_636 Depth=1
	s_delay_alu instid0(SALU_CYCLE_1)
	s_or_b32 exec_lo, exec_lo, s14
.LBB361_874:                            ;   in Loop: Header=BB361_636 Depth=1
	s_delay_alu instid0(SALU_CYCLE_1) | instskip(NEXT) | instid1(SALU_CYCLE_1)
	s_or_b32 exec_lo, exec_lo, s11
	s_mov_b32 s11, exec_lo
	v_cmpx_lt_u64_e64 s[2:3], v[0:1]
	s_cbranch_execz .LBB361_882
; %bb.875:                              ;   in Loop: Header=BB361_636 Depth=1
	v_lshrrev_b32_e32 v0, 24, v1
	v_bfrev_b32_e32 v29, 1
	s_mov_b32 s14, exec_lo
	s_delay_alu instid0(VALU_DEP_2)
	v_cmpx_ne_u32_e32 0x80, v0
	s_cbranch_execz .LBB361_881
; %bb.876:                              ;   in Loop: Header=BB361_636 Depth=1
	v_bfe_u32 v69, v1, 24, 7
	v_mov_b32_e32 v29, 0x7f800001
	s_mov_b32 s15, exec_lo
	s_delay_alu instid0(VALU_DEP_2)
	v_cmpx_ne_u32_e32 0x7f, v69
	s_cbranch_execz .LBB361_880
; %bb.877:                              ;   in Loop: Header=BB361_636 Depth=1
	v_dual_lshrrev_b32 v1, 3, v69 :: v_dual_bitop2_b32 v20, 7, v0 bitop3:0x40
	s_mov_b32 s16, exec_lo
	v_cmpx_gt_u32_e32 8, v69
; %bb.878:                              ;   in Loop: Header=BB361_636 Depth=1
	s_delay_alu instid0(VALU_DEP_2) | instskip(NEXT) | instid1(VALU_DEP_1)
	v_clz_i32_u32_e32 v1, v20
	v_min_u32_e32 v1, 32, v1
	s_delay_alu instid0(VALU_DEP_1) | instskip(NEXT) | instid1(VALU_DEP_1)
	v_subrev_nc_u32_e32 v29, 28, v1
	v_lshlrev_b64_e32 v[76:77], v29, v[20:21]
	s_delay_alu instid0(VALU_DEP_1)
	v_dual_sub_nc_u32 v1, 29, v1 :: v_dual_bitop2_b32 v20, 7, v76 bitop3:0x40
; %bb.879:                              ;   in Loop: Header=BB361_636 Depth=1
	s_or_b32 exec_lo, exec_lo, s16
	v_lshlrev_b32_e32 v0, 24, v0
	s_delay_alu instid0(VALU_DEP_2) | instskip(NEXT) | instid1(VALU_DEP_3)
	v_lshlrev_b32_e32 v20, 20, v20
	v_lshl_add_u32 v1, v1, 23, 0x3c000000
	s_delay_alu instid0(VALU_DEP_3) | instskip(NEXT) | instid1(VALU_DEP_1)
	v_and_b32_e32 v0, 0x80000000, v0
	v_or3_b32 v29, v20, v0, v1
.LBB361_880:                            ;   in Loop: Header=BB361_636 Depth=1
	s_or_b32 exec_lo, exec_lo, s15
.LBB361_881:                            ;   in Loop: Header=BB361_636 Depth=1
	s_delay_alu instid0(SALU_CYCLE_1)
	s_or_b32 exec_lo, exec_lo, s14
.LBB361_882:                            ;   in Loop: Header=BB361_636 Depth=1
	s_delay_alu instid0(SALU_CYCLE_1)
	s_or_b32 exec_lo, exec_lo, s11
	v_fma_mixlo_bf16 v69, s6, v28, 0
	v_fma_mixlo_bf16 v70, s6, v70, 0
	;; [unrolled: 1-line block ×8, first 2 shown]
	s_and_saveexec_b32 s11, vcc_lo
	s_cbranch_execz .LBB361_884
; %bb.883:                              ;   in Loop: Header=BB361_636 Depth=1
	v_cmp_gt_i32_e64 s0, s25, v44
	s_delay_alu instid0(VALU_DEP_1) | instskip(SKIP_1) | instid1(VALU_DEP_1)
	v_cndmask_b32_e64 v74, 0, v74, s0
	v_cmp_gt_i32_e64 s0, s25, v50
	v_cndmask_b32_e64 v73, 0, v73, s0
	v_cmp_gt_i32_e64 s0, s25, v49
	s_delay_alu instid0(VALU_DEP_1) | instskip(SKIP_1) | instid1(VALU_DEP_1)
	v_cndmask_b32_e64 v72, 0, v72, s0
	v_cmp_gt_i32_e64 s0, s25, v48
	v_cndmask_b32_e64 v71, 0, v71, s0
	;; [unrolled: 5-line block ×4, first 2 shown]
.LBB361_884:                            ;   in Loop: Header=BB361_636 Depth=1
	s_or_b32 exec_lo, exec_lo, s11
	global_load_b64 v[0:1], v[26:27], off offset:1024
	v_dual_mov_b32 v76, 0 :: v_dual_mov_b32 v75, 0
	s_mov_b32 s11, exec_lo
	s_wait_loadcnt 0x0
	v_and_b32_e32 v20, 0xff, v0
	s_delay_alu instid0(VALU_DEP_1)
	v_cmpx_ne_u16_e32 0, v20
	s_cbranch_execz .LBB361_890
; %bb.885:                              ;   in Loop: Header=BB361_636 Depth=1
	v_bfrev_b32_e32 v75, 1
	s_mov_b32 s14, exec_lo
	v_cmpx_ne_u16_e32 0x80, v20
	s_cbranch_execz .LBB361_889
; %bb.886:                              ;   in Loop: Header=BB361_636 Depth=1
	v_and_b32_e32 v20, 0x7f, v0
	v_mov_b32_e32 v75, 0x7f800001
	s_mov_b32 s15, exec_lo
	s_delay_alu instid0(VALU_DEP_2)
	v_cmpx_ne_u32_e32 0x7f, v20
	s_cbranch_execz .LBB361_888
; %bb.887:                              ;   in Loop: Header=BB361_636 Depth=1
	v_and_b32_e32 v28, 7, v0
	v_cmp_gt_u32_e64 s0, 8, v20
	s_delay_alu instid0(VALU_DEP_2) | instskip(NEXT) | instid1(VALU_DEP_1)
	v_clz_i32_u32_e32 v28, v28
	v_min_u32_e32 v28, 32, v28
	s_delay_alu instid0(VALU_DEP_1) | instskip(SKIP_2) | instid1(VALU_DEP_1)
	v_subrev_nc_u32_e32 v75, 28, v28
	v_lshrrev_b32_e32 v29, 3, v20
	v_sub_nc_u32_e32 v28, 29, v28
	v_dual_cndmask_b32 v20, v29, v28, s0 :: v_dual_cndmask_b32 v28, 0, v75, s0
	s_delay_alu instid0(VALU_DEP_1) | instskip(SKIP_1) | instid1(VALU_DEP_1)
	v_lshlrev_b64_e32 v[28:29], v28, v[0:1]
	v_lshlrev_b32_e32 v29, 24, v0
	v_and_b32_e32 v29, 0x80000000, v29
	s_delay_alu instid0(VALU_DEP_3) | instskip(SKIP_1) | instid1(VALU_DEP_2)
	v_lshlrev_b32_e32 v28, 20, v28
	v_lshl_add_u32 v20, v20, 23, 0x3c000000
	v_and_b32_e32 v28, 0x700000, v28
	s_delay_alu instid0(VALU_DEP_1)
	v_or3_b32 v75, v28, v29, v20
.LBB361_888:                            ;   in Loop: Header=BB361_636 Depth=1
	s_or_b32 exec_lo, exec_lo, s15
.LBB361_889:                            ;   in Loop: Header=BB361_636 Depth=1
	s_delay_alu instid0(SALU_CYCLE_1)
	s_or_b32 exec_lo, exec_lo, s14
.LBB361_890:                            ;   in Loop: Header=BB361_636 Depth=1
	s_delay_alu instid0(SALU_CYCLE_1) | instskip(SKIP_2) | instid1(VALU_DEP_1)
	s_or_b32 exec_lo, exec_lo, s11
	v_lshrrev_b16 v20, 8, v0
	s_mov_b32 s11, exec_lo
	v_cmpx_ne_u16_e32 0, v20
	s_cbranch_execz .LBB361_898
; %bb.891:                              ;   in Loop: Header=BB361_636 Depth=1
	v_bfrev_b32_e32 v76, 1
	s_mov_b32 s14, exec_lo
	v_cmpx_ne_u16_e32 0x80, v20
	s_cbranch_execz .LBB361_897
; %bb.892:                              ;   in Loop: Header=BB361_636 Depth=1
	v_and_b32_e32 v20, 0xffff, v20
	v_mov_b32_e32 v76, 0x7f800001
	s_mov_b32 s15, exec_lo
	s_delay_alu instid0(VALU_DEP_2) | instskip(NEXT) | instid1(VALU_DEP_1)
	v_and_b32_e32 v29, 0x7f, v20
	v_cmpx_ne_u32_e32 0x7f, v29
	s_cbranch_execz .LBB361_896
; %bb.893:                              ;   in Loop: Header=BB361_636 Depth=1
	v_dual_lshrrev_b32 v28, 3, v29 :: v_dual_bitop2_b32 v20, 7, v20 bitop3:0x40
	s_mov_b32 s16, exec_lo
	v_cmpx_gt_u32_e32 8, v29
; %bb.894:                              ;   in Loop: Header=BB361_636 Depth=1
	s_delay_alu instid0(VALU_DEP_2) | instskip(NEXT) | instid1(VALU_DEP_1)
	v_clz_i32_u32_e32 v28, v20
	v_min_u32_e32 v28, 32, v28
	s_delay_alu instid0(VALU_DEP_1) | instskip(SKIP_1) | instid1(VALU_DEP_2)
	v_subrev_nc_u32_e32 v29, 28, v28
	v_sub_nc_u32_e32 v28, 29, v28
	v_lshlrev_b64_e32 v[76:77], v29, v[20:21]
	s_delay_alu instid0(VALU_DEP_1)
	v_and_b32_e32 v20, 7, v76
; %bb.895:                              ;   in Loop: Header=BB361_636 Depth=1
	s_or_b32 exec_lo, exec_lo, s16
	v_lshlrev_b32_e32 v29, 16, v0
	s_delay_alu instid0(VALU_DEP_2) | instskip(SKIP_1) | instid1(VALU_DEP_3)
	v_lshlrev_b32_e32 v20, 20, v20
	v_lshl_add_u32 v28, v28, 23, 0x3c000000
	v_and_b32_e32 v29, 0x80000000, v29
	s_delay_alu instid0(VALU_DEP_1)
	v_or3_b32 v76, v20, v29, v28
.LBB361_896:                            ;   in Loop: Header=BB361_636 Depth=1
	s_or_b32 exec_lo, exec_lo, s15
.LBB361_897:                            ;   in Loop: Header=BB361_636 Depth=1
	s_delay_alu instid0(SALU_CYCLE_1)
	s_or_b32 exec_lo, exec_lo, s14
.LBB361_898:                            ;   in Loop: Header=BB361_636 Depth=1
	s_delay_alu instid0(SALU_CYCLE_1) | instskip(SKIP_3) | instid1(VALU_DEP_2)
	s_or_b32 exec_lo, exec_lo, s11
	v_dual_mov_b32 v79, 0 :: v_dual_lshrrev_b32 v28, 16, v0
	v_mov_b32_e32 v80, 0
	s_mov_b32 s11, exec_lo
	v_and_b32_e32 v20, 0xff, v28
	s_delay_alu instid0(VALU_DEP_1)
	v_cmpx_ne_u16_e32 0, v20
	s_cbranch_execz .LBB361_906
; %bb.899:                              ;   in Loop: Header=BB361_636 Depth=1
	v_bfrev_b32_e32 v80, 1
	s_mov_b32 s14, exec_lo
	v_cmpx_ne_u16_e32 0x80, v20
	s_cbranch_execz .LBB361_905
; %bb.900:                              ;   in Loop: Header=BB361_636 Depth=1
	v_bfe_u32 v77, v0, 16, 7
	v_mov_b32_e32 v80, 0x7f800001
	s_mov_b32 s15, exec_lo
	s_delay_alu instid0(VALU_DEP_2)
	v_cmpx_ne_u32_e32 0x7f, v77
	s_cbranch_execz .LBB361_904
; %bb.901:                              ;   in Loop: Header=BB361_636 Depth=1
	v_dual_lshrrev_b32 v29, 3, v77 :: v_dual_bitop2_b32 v20, 7, v28 bitop3:0x40
	s_mov_b32 s16, exec_lo
	v_cmpx_gt_u32_e32 8, v77
; %bb.902:                              ;   in Loop: Header=BB361_636 Depth=1
	s_delay_alu instid0(VALU_DEP_2) | instskip(NEXT) | instid1(VALU_DEP_1)
	v_clz_i32_u32_e32 v29, v20
	v_min_u32_e32 v29, 32, v29
	s_delay_alu instid0(VALU_DEP_1) | instskip(NEXT) | instid1(VALU_DEP_1)
	v_subrev_nc_u32_e32 v77, 28, v29
	v_lshlrev_b64_e32 v[80:81], v77, v[20:21]
	s_delay_alu instid0(VALU_DEP_1)
	v_dual_sub_nc_u32 v29, 29, v29 :: v_dual_bitop2_b32 v20, 7, v80 bitop3:0x40
; %bb.903:                              ;   in Loop: Header=BB361_636 Depth=1
	s_or_b32 exec_lo, exec_lo, s16
	v_lshlrev_b32_e32 v28, 24, v28
	s_delay_alu instid0(VALU_DEP_2) | instskip(NEXT) | instid1(VALU_DEP_3)
	v_lshlrev_b32_e32 v20, 20, v20
	v_lshl_add_u32 v29, v29, 23, 0x3c000000
	s_delay_alu instid0(VALU_DEP_3) | instskip(NEXT) | instid1(VALU_DEP_1)
	v_and_b32_e32 v28, 0x80000000, v28
	v_or3_b32 v80, v20, v28, v29
.LBB361_904:                            ;   in Loop: Header=BB361_636 Depth=1
	s_or_b32 exec_lo, exec_lo, s15
.LBB361_905:                            ;   in Loop: Header=BB361_636 Depth=1
	s_delay_alu instid0(SALU_CYCLE_1)
	s_or_b32 exec_lo, exec_lo, s14
.LBB361_906:                            ;   in Loop: Header=BB361_636 Depth=1
	s_delay_alu instid0(SALU_CYCLE_1) | instskip(NEXT) | instid1(SALU_CYCLE_1)
	s_or_b32 exec_lo, exec_lo, s11
	s_mov_b32 s11, exec_lo
	v_cmpx_lt_u32_e32 0xffffff, v0
	s_cbranch_execz .LBB361_914
; %bb.907:                              ;   in Loop: Header=BB361_636 Depth=1
	v_lshrrev_b32_e32 v28, 24, v0
	v_bfrev_b32_e32 v79, 1
	s_mov_b32 s14, exec_lo
	s_delay_alu instid0(VALU_DEP_2)
	v_cmpx_ne_u32_e32 0x80, v28
	s_cbranch_execz .LBB361_913
; %bb.908:                              ;   in Loop: Header=BB361_636 Depth=1
	v_bfe_u32 v77, v0, 24, 7
	v_mov_b32_e32 v79, 0x7f800001
	s_mov_b32 s15, exec_lo
	s_delay_alu instid0(VALU_DEP_2)
	v_cmpx_ne_u32_e32 0x7f, v77
	s_cbranch_execz .LBB361_912
; %bb.909:                              ;   in Loop: Header=BB361_636 Depth=1
	v_dual_lshrrev_b32 v29, 3, v77 :: v_dual_bitop2_b32 v20, 7, v28 bitop3:0x40
	s_mov_b32 s16, exec_lo
	v_cmpx_gt_u32_e32 8, v77
; %bb.910:                              ;   in Loop: Header=BB361_636 Depth=1
	s_delay_alu instid0(VALU_DEP_2) | instskip(NEXT) | instid1(VALU_DEP_1)
	v_clz_i32_u32_e32 v29, v20
	v_min_u32_e32 v29, 32, v29
	s_delay_alu instid0(VALU_DEP_1) | instskip(NEXT) | instid1(VALU_DEP_1)
	v_subrev_nc_u32_e32 v77, 28, v29
	v_lshlrev_b64_e32 v[78:79], v77, v[20:21]
	s_delay_alu instid0(VALU_DEP_1)
	v_dual_sub_nc_u32 v29, 29, v29 :: v_dual_bitop2_b32 v20, 7, v78 bitop3:0x40
; %bb.911:                              ;   in Loop: Header=BB361_636 Depth=1
	s_or_b32 exec_lo, exec_lo, s16
	v_lshlrev_b32_e32 v28, 24, v28
	s_delay_alu instid0(VALU_DEP_2) | instskip(NEXT) | instid1(VALU_DEP_3)
	v_lshlrev_b32_e32 v20, 20, v20
	v_lshl_add_u32 v29, v29, 23, 0x3c000000
	s_delay_alu instid0(VALU_DEP_3) | instskip(NEXT) | instid1(VALU_DEP_1)
	v_and_b32_e32 v28, 0x80000000, v28
	v_or3_b32 v79, v20, v28, v29
.LBB361_912:                            ;   in Loop: Header=BB361_636 Depth=1
	s_or_b32 exec_lo, exec_lo, s15
.LBB361_913:                            ;   in Loop: Header=BB361_636 Depth=1
	s_delay_alu instid0(SALU_CYCLE_1)
	s_or_b32 exec_lo, exec_lo, s14
.LBB361_914:                            ;   in Loop: Header=BB361_636 Depth=1
	s_delay_alu instid0(SALU_CYCLE_1) | instskip(SKIP_4) | instid1(VALU_DEP_3)
	s_or_b32 exec_lo, exec_lo, s11
	v_and_b32_e32 v29, 0xff, v1
	v_dual_mov_b32 v20, v1 :: v_dual_mov_b32 v28, 0
	v_mov_b32_e32 v78, 0
	s_mov_b32 s11, exec_lo
	v_cmpx_ne_u16_e32 0, v29
	s_cbranch_execz .LBB361_920
; %bb.915:                              ;   in Loop: Header=BB361_636 Depth=1
	v_bfrev_b32_e32 v78, 1
	s_mov_b32 s14, exec_lo
	v_cmpx_ne_u16_e32 0x80, v29
	s_cbranch_execz .LBB361_919
; %bb.916:                              ;   in Loop: Header=BB361_636 Depth=1
	v_and_b32_e32 v29, 0x7f, v1
	v_mov_b32_e32 v78, 0x7f800001
	s_mov_b32 s15, exec_lo
	s_delay_alu instid0(VALU_DEP_2)
	v_cmpx_ne_u32_e32 0x7f, v29
	s_cbranch_execz .LBB361_918
; %bb.917:                              ;   in Loop: Header=BB361_636 Depth=1
	v_and_b32_e32 v77, 7, v1
	v_lshrrev_b32_e32 v78, 3, v29
	v_cmp_gt_u32_e64 s0, 8, v29
	s_delay_alu instid0(VALU_DEP_3) | instskip(NEXT) | instid1(VALU_DEP_1)
	v_clz_i32_u32_e32 v77, v77
	v_min_u32_e32 v77, 32, v77
	s_delay_alu instid0(VALU_DEP_1) | instskip(SKIP_1) | instid1(VALU_DEP_1)
	v_subrev_nc_u32_e32 v81, 28, v77
	v_sub_nc_u32_e32 v77, 29, v77
	v_cndmask_b32_e64 v29, v78, v77, s0
	s_delay_alu instid0(VALU_DEP_3) | instskip(NEXT) | instid1(VALU_DEP_2)
	v_cndmask_b32_e64 v77, 0, v81, s0
	v_lshl_add_u32 v29, v29, 23, 0x3c000000
	s_delay_alu instid0(VALU_DEP_2) | instskip(SKIP_1) | instid1(VALU_DEP_1)
	v_lshlrev_b64_e32 v[82:83], v77, v[20:21]
	v_lshlrev_b32_e32 v77, 24, v20
	v_and_b32_e32 v77, 0x80000000, v77
	s_delay_alu instid0(VALU_DEP_3) | instskip(NEXT) | instid1(VALU_DEP_1)
	v_lshlrev_b32_e32 v78, 20, v82
	v_and_b32_e32 v78, 0x700000, v78
	s_delay_alu instid0(VALU_DEP_1)
	v_or3_b32 v78, v78, v77, v29
.LBB361_918:                            ;   in Loop: Header=BB361_636 Depth=1
	s_or_b32 exec_lo, exec_lo, s15
.LBB361_919:                            ;   in Loop: Header=BB361_636 Depth=1
	s_delay_alu instid0(SALU_CYCLE_1)
	s_or_b32 exec_lo, exec_lo, s14
.LBB361_920:                            ;   in Loop: Header=BB361_636 Depth=1
	s_delay_alu instid0(SALU_CYCLE_1) | instskip(SKIP_2) | instid1(VALU_DEP_1)
	s_or_b32 exec_lo, exec_lo, s11
	v_lshrrev_b16 v29, 8, v20
	s_mov_b32 s11, exec_lo
	v_cmpx_ne_u16_e32 0, v29
	s_cbranch_execz .LBB361_928
; %bb.921:                              ;   in Loop: Header=BB361_636 Depth=1
	v_bfrev_b32_e32 v28, 1
	s_mov_b32 s14, exec_lo
	v_cmpx_ne_u16_e32 0x80, v29
	s_cbranch_execz .LBB361_927
; %bb.922:                              ;   in Loop: Header=BB361_636 Depth=1
	v_and_b32_e32 v29, 0xffff, v29
	v_mov_b32_e32 v28, 0x7f800001
	s_mov_b32 s15, exec_lo
	s_delay_alu instid0(VALU_DEP_2) | instskip(NEXT) | instid1(VALU_DEP_1)
	v_and_b32_e32 v81, 0x7f, v29
	v_cmpx_ne_u32_e32 0x7f, v81
	s_cbranch_execz .LBB361_926
; %bb.923:                              ;   in Loop: Header=BB361_636 Depth=1
	v_dual_mov_b32 v29, v21 :: v_dual_bitop2_b32 v28, 7, v29 bitop3:0x40
	v_lshrrev_b32_e32 v77, 3, v81
	s_mov_b32 s16, exec_lo
	v_cmpx_gt_u32_e32 8, v81
; %bb.924:                              ;   in Loop: Header=BB361_636 Depth=1
	s_delay_alu instid0(VALU_DEP_3) | instskip(NEXT) | instid1(VALU_DEP_1)
	v_clz_i32_u32_e32 v77, v28
	v_min_u32_e32 v77, 32, v77
	s_delay_alu instid0(VALU_DEP_1) | instskip(NEXT) | instid1(VALU_DEP_1)
	v_subrev_nc_u32_e32 v81, 28, v77
	v_lshlrev_b64_e32 v[28:29], v81, v[28:29]
	s_delay_alu instid0(VALU_DEP_1)
	v_dual_sub_nc_u32 v77, 29, v77 :: v_dual_bitop2_b32 v28, 7, v28 bitop3:0x40
; %bb.925:                              ;   in Loop: Header=BB361_636 Depth=1
	s_or_b32 exec_lo, exec_lo, s16
	v_lshlrev_b32_e32 v20, 16, v20
	s_delay_alu instid0(VALU_DEP_2) | instskip(NEXT) | instid1(VALU_DEP_3)
	v_lshlrev_b32_e32 v28, 20, v28
	v_lshl_add_u32 v29, v77, 23, 0x3c000000
	s_delay_alu instid0(VALU_DEP_3) | instskip(NEXT) | instid1(VALU_DEP_1)
	v_and_b32_e32 v20, 0x80000000, v20
	v_or3_b32 v28, v28, v20, v29
.LBB361_926:                            ;   in Loop: Header=BB361_636 Depth=1
	s_or_b32 exec_lo, exec_lo, s15
.LBB361_927:                            ;   in Loop: Header=BB361_636 Depth=1
	s_delay_alu instid0(SALU_CYCLE_1)
	s_or_b32 exec_lo, exec_lo, s14
.LBB361_928:                            ;   in Loop: Header=BB361_636 Depth=1
	s_delay_alu instid0(SALU_CYCLE_1) | instskip(SKIP_3) | instid1(VALU_DEP_2)
	s_or_b32 exec_lo, exec_lo, s11
	v_dual_lshrrev_b32 v77, 16, v1 :: v_dual_mov_b32 v29, 0
	v_mov_b32_e32 v83, 0
	s_mov_b32 s11, exec_lo
	v_and_b32_e32 v20, 0xff, v77
	s_delay_alu instid0(VALU_DEP_1)
	v_cmpx_ne_u16_e32 0, v20
	s_cbranch_execz .LBB361_936
; %bb.929:                              ;   in Loop: Header=BB361_636 Depth=1
	v_bfrev_b32_e32 v83, 1
	s_mov_b32 s14, exec_lo
	v_cmpx_ne_u16_e32 0x80, v20
	s_cbranch_execz .LBB361_935
; %bb.930:                              ;   in Loop: Header=BB361_636 Depth=1
	v_bfe_u32 v82, v1, 16, 7
	v_mov_b32_e32 v83, 0x7f800001
	s_mov_b32 s15, exec_lo
	s_delay_alu instid0(VALU_DEP_2)
	v_cmpx_ne_u32_e32 0x7f, v82
	s_cbranch_execz .LBB361_934
; %bb.931:                              ;   in Loop: Header=BB361_636 Depth=1
	v_dual_lshrrev_b32 v81, 3, v82 :: v_dual_bitop2_b32 v20, 7, v77 bitop3:0x40
	s_mov_b32 s16, exec_lo
	v_cmpx_gt_u32_e32 8, v82
; %bb.932:                              ;   in Loop: Header=BB361_636 Depth=1
	s_delay_alu instid0(VALU_DEP_2) | instskip(NEXT) | instid1(VALU_DEP_1)
	v_clz_i32_u32_e32 v81, v20
	v_min_u32_e32 v81, 32, v81
	s_delay_alu instid0(VALU_DEP_1) | instskip(NEXT) | instid1(VALU_DEP_1)
	v_subrev_nc_u32_e32 v82, 28, v81
	v_lshlrev_b64_e32 v[82:83], v82, v[20:21]
	s_delay_alu instid0(VALU_DEP_1)
	v_dual_sub_nc_u32 v81, 29, v81 :: v_dual_bitop2_b32 v20, 7, v82 bitop3:0x40
; %bb.933:                              ;   in Loop: Header=BB361_636 Depth=1
	s_or_b32 exec_lo, exec_lo, s16
	s_delay_alu instid0(VALU_DEP_1) | instskip(NEXT) | instid1(VALU_DEP_2)
	v_dual_lshlrev_b32 v77, 24, v77 :: v_dual_lshlrev_b32 v20, 20, v20
	v_lshl_add_u32 v81, v81, 23, 0x3c000000
	s_delay_alu instid0(VALU_DEP_2) | instskip(NEXT) | instid1(VALU_DEP_1)
	v_and_b32_e32 v77, 0x80000000, v77
	v_or3_b32 v83, v20, v77, v81
.LBB361_934:                            ;   in Loop: Header=BB361_636 Depth=1
	s_or_b32 exec_lo, exec_lo, s15
.LBB361_935:                            ;   in Loop: Header=BB361_636 Depth=1
	s_delay_alu instid0(SALU_CYCLE_1)
	s_or_b32 exec_lo, exec_lo, s14
.LBB361_936:                            ;   in Loop: Header=BB361_636 Depth=1
	s_delay_alu instid0(SALU_CYCLE_1) | instskip(NEXT) | instid1(SALU_CYCLE_1)
	s_or_b32 exec_lo, exec_lo, s11
	s_mov_b32 s11, exec_lo
	v_cmpx_lt_u64_e64 s[2:3], v[0:1]
	s_cbranch_execz .LBB361_944
; %bb.937:                              ;   in Loop: Header=BB361_636 Depth=1
	v_lshrrev_b32_e32 v0, 24, v1
	v_bfrev_b32_e32 v29, 1
	s_mov_b32 s14, exec_lo
	s_delay_alu instid0(VALU_DEP_2)
	v_cmpx_ne_u32_e32 0x80, v0
	s_cbranch_execz .LBB361_943
; %bb.938:                              ;   in Loop: Header=BB361_636 Depth=1
	v_bfe_u32 v77, v1, 24, 7
	v_mov_b32_e32 v29, 0x7f800001
	s_mov_b32 s15, exec_lo
	s_delay_alu instid0(VALU_DEP_2)
	v_cmpx_ne_u32_e32 0x7f, v77
	s_cbranch_execz .LBB361_942
; %bb.939:                              ;   in Loop: Header=BB361_636 Depth=1
	v_dual_lshrrev_b32 v1, 3, v77 :: v_dual_bitop2_b32 v20, 7, v0 bitop3:0x40
	s_mov_b32 s16, exec_lo
	v_cmpx_gt_u32_e32 8, v77
; %bb.940:                              ;   in Loop: Header=BB361_636 Depth=1
	s_delay_alu instid0(VALU_DEP_2) | instskip(NEXT) | instid1(VALU_DEP_1)
	v_clz_i32_u32_e32 v1, v20
	v_min_u32_e32 v1, 32, v1
	s_delay_alu instid0(VALU_DEP_1) | instskip(NEXT) | instid1(VALU_DEP_1)
	v_subrev_nc_u32_e32 v29, 28, v1
	v_lshlrev_b64_e32 v[84:85], v29, v[20:21]
	s_delay_alu instid0(VALU_DEP_1)
	v_dual_sub_nc_u32 v1, 29, v1 :: v_dual_bitop2_b32 v20, 7, v84 bitop3:0x40
; %bb.941:                              ;   in Loop: Header=BB361_636 Depth=1
	s_or_b32 exec_lo, exec_lo, s16
	v_lshlrev_b32_e32 v0, 24, v0
	s_delay_alu instid0(VALU_DEP_2) | instskip(NEXT) | instid1(VALU_DEP_3)
	v_lshlrev_b32_e32 v20, 20, v20
	v_lshl_add_u32 v1, v1, 23, 0x3c000000
	s_delay_alu instid0(VALU_DEP_3) | instskip(NEXT) | instid1(VALU_DEP_1)
	v_and_b32_e32 v0, 0x80000000, v0
	v_or3_b32 v29, v20, v0, v1
.LBB361_942:                            ;   in Loop: Header=BB361_636 Depth=1
	s_or_b32 exec_lo, exec_lo, s15
.LBB361_943:                            ;   in Loop: Header=BB361_636 Depth=1
	s_delay_alu instid0(SALU_CYCLE_1)
	s_or_b32 exec_lo, exec_lo, s14
.LBB361_944:                            ;   in Loop: Header=BB361_636 Depth=1
	s_delay_alu instid0(SALU_CYCLE_1)
	s_or_b32 exec_lo, exec_lo, s11
	v_fma_mixlo_bf16 v77, s6, v28, 0
	v_fma_mixlo_bf16 v78, s6, v78, 0
	;; [unrolled: 1-line block ×8, first 2 shown]
	s_and_saveexec_b32 s11, vcc_lo
	s_cbranch_execz .LBB361_946
; %bb.945:                              ;   in Loop: Header=BB361_636 Depth=1
	v_cmp_gt_i32_e64 s0, s25, v44
	s_delay_alu instid0(VALU_DEP_1) | instskip(SKIP_1) | instid1(VALU_DEP_1)
	v_cndmask_b32_e64 v82, 0, v82, s0
	v_cmp_gt_i32_e64 s0, s25, v50
	v_cndmask_b32_e64 v81, 0, v81, s0
	v_cmp_gt_i32_e64 s0, s25, v49
	s_delay_alu instid0(VALU_DEP_1) | instskip(SKIP_1) | instid1(VALU_DEP_1)
	v_cndmask_b32_e64 v80, 0, v80, s0
	v_cmp_gt_i32_e64 s0, s25, v48
	v_cndmask_b32_e64 v79, 0, v79, s0
	;; [unrolled: 5-line block ×4, first 2 shown]
.LBB361_946:                            ;   in Loop: Header=BB361_636 Depth=1
	s_or_b32 exec_lo, exec_lo, s11
	global_load_b64 v[0:1], v[26:27], off offset:1280
	v_dual_mov_b32 v84, 0 :: v_dual_mov_b32 v83, 0
	s_mov_b32 s11, exec_lo
	s_wait_loadcnt 0x0
	v_and_b32_e32 v20, 0xff, v0
	s_delay_alu instid0(VALU_DEP_1)
	v_cmpx_ne_u16_e32 0, v20
	s_cbranch_execz .LBB361_952
; %bb.947:                              ;   in Loop: Header=BB361_636 Depth=1
	v_bfrev_b32_e32 v83, 1
	s_mov_b32 s14, exec_lo
	v_cmpx_ne_u16_e32 0x80, v20
	s_cbranch_execz .LBB361_951
; %bb.948:                              ;   in Loop: Header=BB361_636 Depth=1
	v_and_b32_e32 v20, 0x7f, v0
	v_mov_b32_e32 v83, 0x7f800001
	s_mov_b32 s15, exec_lo
	s_delay_alu instid0(VALU_DEP_2)
	v_cmpx_ne_u32_e32 0x7f, v20
	s_cbranch_execz .LBB361_950
; %bb.949:                              ;   in Loop: Header=BB361_636 Depth=1
	v_and_b32_e32 v28, 7, v0
	v_cmp_gt_u32_e64 s0, 8, v20
	s_delay_alu instid0(VALU_DEP_2) | instskip(NEXT) | instid1(VALU_DEP_1)
	v_clz_i32_u32_e32 v28, v28
	v_min_u32_e32 v28, 32, v28
	s_delay_alu instid0(VALU_DEP_1) | instskip(SKIP_2) | instid1(VALU_DEP_1)
	v_subrev_nc_u32_e32 v83, 28, v28
	v_lshrrev_b32_e32 v29, 3, v20
	v_sub_nc_u32_e32 v28, 29, v28
	v_dual_cndmask_b32 v20, v29, v28, s0 :: v_dual_cndmask_b32 v28, 0, v83, s0
	s_delay_alu instid0(VALU_DEP_1) | instskip(SKIP_1) | instid1(VALU_DEP_1)
	v_lshlrev_b64_e32 v[28:29], v28, v[0:1]
	v_lshlrev_b32_e32 v29, 24, v0
	v_and_b32_e32 v29, 0x80000000, v29
	s_delay_alu instid0(VALU_DEP_3) | instskip(SKIP_1) | instid1(VALU_DEP_2)
	v_lshlrev_b32_e32 v28, 20, v28
	v_lshl_add_u32 v20, v20, 23, 0x3c000000
	v_and_b32_e32 v28, 0x700000, v28
	s_delay_alu instid0(VALU_DEP_1)
	v_or3_b32 v83, v28, v29, v20
.LBB361_950:                            ;   in Loop: Header=BB361_636 Depth=1
	s_or_b32 exec_lo, exec_lo, s15
.LBB361_951:                            ;   in Loop: Header=BB361_636 Depth=1
	s_delay_alu instid0(SALU_CYCLE_1)
	s_or_b32 exec_lo, exec_lo, s14
.LBB361_952:                            ;   in Loop: Header=BB361_636 Depth=1
	s_delay_alu instid0(SALU_CYCLE_1) | instskip(SKIP_2) | instid1(VALU_DEP_1)
	s_or_b32 exec_lo, exec_lo, s11
	v_lshrrev_b16 v20, 8, v0
	s_mov_b32 s11, exec_lo
	v_cmpx_ne_u16_e32 0, v20
	s_cbranch_execz .LBB361_960
; %bb.953:                              ;   in Loop: Header=BB361_636 Depth=1
	v_bfrev_b32_e32 v84, 1
	s_mov_b32 s14, exec_lo
	v_cmpx_ne_u16_e32 0x80, v20
	s_cbranch_execz .LBB361_959
; %bb.954:                              ;   in Loop: Header=BB361_636 Depth=1
	v_and_b32_e32 v20, 0xffff, v20
	v_mov_b32_e32 v84, 0x7f800001
	s_mov_b32 s15, exec_lo
	s_delay_alu instid0(VALU_DEP_2) | instskip(NEXT) | instid1(VALU_DEP_1)
	v_and_b32_e32 v29, 0x7f, v20
	v_cmpx_ne_u32_e32 0x7f, v29
	s_cbranch_execz .LBB361_958
; %bb.955:                              ;   in Loop: Header=BB361_636 Depth=1
	v_dual_lshrrev_b32 v28, 3, v29 :: v_dual_bitop2_b32 v20, 7, v20 bitop3:0x40
	s_mov_b32 s16, exec_lo
	v_cmpx_gt_u32_e32 8, v29
; %bb.956:                              ;   in Loop: Header=BB361_636 Depth=1
	s_delay_alu instid0(VALU_DEP_2) | instskip(NEXT) | instid1(VALU_DEP_1)
	v_clz_i32_u32_e32 v28, v20
	v_min_u32_e32 v28, 32, v28
	s_delay_alu instid0(VALU_DEP_1) | instskip(SKIP_1) | instid1(VALU_DEP_2)
	v_subrev_nc_u32_e32 v29, 28, v28
	v_sub_nc_u32_e32 v28, 29, v28
	v_lshlrev_b64_e32 v[84:85], v29, v[20:21]
	s_delay_alu instid0(VALU_DEP_1)
	v_and_b32_e32 v20, 7, v84
; %bb.957:                              ;   in Loop: Header=BB361_636 Depth=1
	s_or_b32 exec_lo, exec_lo, s16
	v_lshlrev_b32_e32 v29, 16, v0
	s_delay_alu instid0(VALU_DEP_2) | instskip(SKIP_1) | instid1(VALU_DEP_3)
	v_lshlrev_b32_e32 v20, 20, v20
	v_lshl_add_u32 v28, v28, 23, 0x3c000000
	v_and_b32_e32 v29, 0x80000000, v29
	s_delay_alu instid0(VALU_DEP_1)
	v_or3_b32 v84, v20, v29, v28
.LBB361_958:                            ;   in Loop: Header=BB361_636 Depth=1
	s_or_b32 exec_lo, exec_lo, s15
.LBB361_959:                            ;   in Loop: Header=BB361_636 Depth=1
	s_delay_alu instid0(SALU_CYCLE_1)
	s_or_b32 exec_lo, exec_lo, s14
.LBB361_960:                            ;   in Loop: Header=BB361_636 Depth=1
	s_delay_alu instid0(SALU_CYCLE_1) | instskip(SKIP_3) | instid1(VALU_DEP_2)
	s_or_b32 exec_lo, exec_lo, s11
	v_dual_mov_b32 v87, 0 :: v_dual_lshrrev_b32 v28, 16, v0
	v_mov_b32_e32 v88, 0
	s_mov_b32 s11, exec_lo
	v_and_b32_e32 v20, 0xff, v28
	s_delay_alu instid0(VALU_DEP_1)
	v_cmpx_ne_u16_e32 0, v20
	s_cbranch_execz .LBB361_968
; %bb.961:                              ;   in Loop: Header=BB361_636 Depth=1
	v_bfrev_b32_e32 v88, 1
	s_mov_b32 s14, exec_lo
	v_cmpx_ne_u16_e32 0x80, v20
	s_cbranch_execz .LBB361_967
; %bb.962:                              ;   in Loop: Header=BB361_636 Depth=1
	v_bfe_u32 v85, v0, 16, 7
	v_mov_b32_e32 v88, 0x7f800001
	s_mov_b32 s15, exec_lo
	s_delay_alu instid0(VALU_DEP_2)
	v_cmpx_ne_u32_e32 0x7f, v85
	s_cbranch_execz .LBB361_966
; %bb.963:                              ;   in Loop: Header=BB361_636 Depth=1
	v_dual_lshrrev_b32 v29, 3, v85 :: v_dual_bitop2_b32 v20, 7, v28 bitop3:0x40
	s_mov_b32 s16, exec_lo
	v_cmpx_gt_u32_e32 8, v85
; %bb.964:                              ;   in Loop: Header=BB361_636 Depth=1
	s_delay_alu instid0(VALU_DEP_2) | instskip(NEXT) | instid1(VALU_DEP_1)
	v_clz_i32_u32_e32 v29, v20
	v_min_u32_e32 v29, 32, v29
	s_delay_alu instid0(VALU_DEP_1) | instskip(NEXT) | instid1(VALU_DEP_1)
	v_subrev_nc_u32_e32 v85, 28, v29
	v_lshlrev_b64_e32 v[88:89], v85, v[20:21]
	s_delay_alu instid0(VALU_DEP_1)
	v_dual_sub_nc_u32 v29, 29, v29 :: v_dual_bitop2_b32 v20, 7, v88 bitop3:0x40
; %bb.965:                              ;   in Loop: Header=BB361_636 Depth=1
	s_or_b32 exec_lo, exec_lo, s16
	v_lshlrev_b32_e32 v28, 24, v28
	s_delay_alu instid0(VALU_DEP_2) | instskip(NEXT) | instid1(VALU_DEP_3)
	v_lshlrev_b32_e32 v20, 20, v20
	v_lshl_add_u32 v29, v29, 23, 0x3c000000
	s_delay_alu instid0(VALU_DEP_3) | instskip(NEXT) | instid1(VALU_DEP_1)
	v_and_b32_e32 v28, 0x80000000, v28
	v_or3_b32 v88, v20, v28, v29
.LBB361_966:                            ;   in Loop: Header=BB361_636 Depth=1
	s_or_b32 exec_lo, exec_lo, s15
.LBB361_967:                            ;   in Loop: Header=BB361_636 Depth=1
	s_delay_alu instid0(SALU_CYCLE_1)
	s_or_b32 exec_lo, exec_lo, s14
.LBB361_968:                            ;   in Loop: Header=BB361_636 Depth=1
	s_delay_alu instid0(SALU_CYCLE_1) | instskip(NEXT) | instid1(SALU_CYCLE_1)
	s_or_b32 exec_lo, exec_lo, s11
	s_mov_b32 s11, exec_lo
	v_cmpx_lt_u32_e32 0xffffff, v0
	s_cbranch_execz .LBB361_976
; %bb.969:                              ;   in Loop: Header=BB361_636 Depth=1
	v_lshrrev_b32_e32 v28, 24, v0
	v_bfrev_b32_e32 v87, 1
	s_mov_b32 s14, exec_lo
	s_delay_alu instid0(VALU_DEP_2)
	v_cmpx_ne_u32_e32 0x80, v28
	s_cbranch_execz .LBB361_975
; %bb.970:                              ;   in Loop: Header=BB361_636 Depth=1
	v_bfe_u32 v85, v0, 24, 7
	v_mov_b32_e32 v87, 0x7f800001
	s_mov_b32 s15, exec_lo
	s_delay_alu instid0(VALU_DEP_2)
	v_cmpx_ne_u32_e32 0x7f, v85
	s_cbranch_execz .LBB361_974
; %bb.971:                              ;   in Loop: Header=BB361_636 Depth=1
	v_dual_lshrrev_b32 v29, 3, v85 :: v_dual_bitop2_b32 v20, 7, v28 bitop3:0x40
	s_mov_b32 s16, exec_lo
	v_cmpx_gt_u32_e32 8, v85
; %bb.972:                              ;   in Loop: Header=BB361_636 Depth=1
	s_delay_alu instid0(VALU_DEP_2) | instskip(NEXT) | instid1(VALU_DEP_1)
	v_clz_i32_u32_e32 v29, v20
	v_min_u32_e32 v29, 32, v29
	s_delay_alu instid0(VALU_DEP_1) | instskip(NEXT) | instid1(VALU_DEP_1)
	v_subrev_nc_u32_e32 v85, 28, v29
	v_lshlrev_b64_e32 v[86:87], v85, v[20:21]
	s_delay_alu instid0(VALU_DEP_1)
	v_dual_sub_nc_u32 v29, 29, v29 :: v_dual_bitop2_b32 v20, 7, v86 bitop3:0x40
; %bb.973:                              ;   in Loop: Header=BB361_636 Depth=1
	s_or_b32 exec_lo, exec_lo, s16
	v_lshlrev_b32_e32 v28, 24, v28
	s_delay_alu instid0(VALU_DEP_2) | instskip(NEXT) | instid1(VALU_DEP_3)
	v_lshlrev_b32_e32 v20, 20, v20
	v_lshl_add_u32 v29, v29, 23, 0x3c000000
	s_delay_alu instid0(VALU_DEP_3) | instskip(NEXT) | instid1(VALU_DEP_1)
	v_and_b32_e32 v28, 0x80000000, v28
	v_or3_b32 v87, v20, v28, v29
.LBB361_974:                            ;   in Loop: Header=BB361_636 Depth=1
	s_or_b32 exec_lo, exec_lo, s15
.LBB361_975:                            ;   in Loop: Header=BB361_636 Depth=1
	s_delay_alu instid0(SALU_CYCLE_1)
	s_or_b32 exec_lo, exec_lo, s14
.LBB361_976:                            ;   in Loop: Header=BB361_636 Depth=1
	s_delay_alu instid0(SALU_CYCLE_1) | instskip(SKIP_4) | instid1(VALU_DEP_3)
	s_or_b32 exec_lo, exec_lo, s11
	v_and_b32_e32 v29, 0xff, v1
	v_dual_mov_b32 v20, v1 :: v_dual_mov_b32 v28, 0
	v_mov_b32_e32 v86, 0
	s_mov_b32 s11, exec_lo
	v_cmpx_ne_u16_e32 0, v29
	s_cbranch_execz .LBB361_982
; %bb.977:                              ;   in Loop: Header=BB361_636 Depth=1
	v_bfrev_b32_e32 v86, 1
	s_mov_b32 s14, exec_lo
	v_cmpx_ne_u16_e32 0x80, v29
	s_cbranch_execz .LBB361_981
; %bb.978:                              ;   in Loop: Header=BB361_636 Depth=1
	v_and_b32_e32 v29, 0x7f, v1
	v_mov_b32_e32 v86, 0x7f800001
	s_mov_b32 s15, exec_lo
	s_delay_alu instid0(VALU_DEP_2)
	v_cmpx_ne_u32_e32 0x7f, v29
	s_cbranch_execz .LBB361_980
; %bb.979:                              ;   in Loop: Header=BB361_636 Depth=1
	v_and_b32_e32 v85, 7, v1
	v_lshrrev_b32_e32 v86, 3, v29
	v_cmp_gt_u32_e64 s0, 8, v29
	s_delay_alu instid0(VALU_DEP_3) | instskip(NEXT) | instid1(VALU_DEP_1)
	v_clz_i32_u32_e32 v85, v85
	v_min_u32_e32 v85, 32, v85
	s_delay_alu instid0(VALU_DEP_1) | instskip(SKIP_1) | instid1(VALU_DEP_1)
	v_subrev_nc_u32_e32 v89, 28, v85
	v_sub_nc_u32_e32 v85, 29, v85
	v_cndmask_b32_e64 v29, v86, v85, s0
	s_delay_alu instid0(VALU_DEP_3) | instskip(NEXT) | instid1(VALU_DEP_2)
	v_cndmask_b32_e64 v85, 0, v89, s0
	v_lshl_add_u32 v29, v29, 23, 0x3c000000
	s_delay_alu instid0(VALU_DEP_2) | instskip(SKIP_1) | instid1(VALU_DEP_1)
	v_lshlrev_b64_e32 v[90:91], v85, v[20:21]
	v_lshlrev_b32_e32 v85, 24, v20
	v_and_b32_e32 v85, 0x80000000, v85
	s_delay_alu instid0(VALU_DEP_3) | instskip(NEXT) | instid1(VALU_DEP_1)
	v_lshlrev_b32_e32 v86, 20, v90
	v_and_b32_e32 v86, 0x700000, v86
	s_delay_alu instid0(VALU_DEP_1)
	v_or3_b32 v86, v86, v85, v29
.LBB361_980:                            ;   in Loop: Header=BB361_636 Depth=1
	s_or_b32 exec_lo, exec_lo, s15
.LBB361_981:                            ;   in Loop: Header=BB361_636 Depth=1
	s_delay_alu instid0(SALU_CYCLE_1)
	s_or_b32 exec_lo, exec_lo, s14
.LBB361_982:                            ;   in Loop: Header=BB361_636 Depth=1
	s_delay_alu instid0(SALU_CYCLE_1) | instskip(SKIP_2) | instid1(VALU_DEP_1)
	s_or_b32 exec_lo, exec_lo, s11
	v_lshrrev_b16 v29, 8, v20
	s_mov_b32 s11, exec_lo
	v_cmpx_ne_u16_e32 0, v29
	s_cbranch_execz .LBB361_990
; %bb.983:                              ;   in Loop: Header=BB361_636 Depth=1
	v_bfrev_b32_e32 v28, 1
	s_mov_b32 s14, exec_lo
	v_cmpx_ne_u16_e32 0x80, v29
	s_cbranch_execz .LBB361_989
; %bb.984:                              ;   in Loop: Header=BB361_636 Depth=1
	v_and_b32_e32 v29, 0xffff, v29
	v_mov_b32_e32 v28, 0x7f800001
	s_mov_b32 s15, exec_lo
	s_delay_alu instid0(VALU_DEP_2) | instskip(NEXT) | instid1(VALU_DEP_1)
	v_and_b32_e32 v89, 0x7f, v29
	v_cmpx_ne_u32_e32 0x7f, v89
	s_cbranch_execz .LBB361_988
; %bb.985:                              ;   in Loop: Header=BB361_636 Depth=1
	v_dual_mov_b32 v29, v21 :: v_dual_bitop2_b32 v28, 7, v29 bitop3:0x40
	v_lshrrev_b32_e32 v85, 3, v89
	s_mov_b32 s16, exec_lo
	v_cmpx_gt_u32_e32 8, v89
; %bb.986:                              ;   in Loop: Header=BB361_636 Depth=1
	s_delay_alu instid0(VALU_DEP_3) | instskip(NEXT) | instid1(VALU_DEP_1)
	v_clz_i32_u32_e32 v85, v28
	v_min_u32_e32 v85, 32, v85
	s_delay_alu instid0(VALU_DEP_1) | instskip(NEXT) | instid1(VALU_DEP_1)
	v_subrev_nc_u32_e32 v89, 28, v85
	v_lshlrev_b64_e32 v[28:29], v89, v[28:29]
	s_delay_alu instid0(VALU_DEP_1)
	v_dual_sub_nc_u32 v85, 29, v85 :: v_dual_bitop2_b32 v28, 7, v28 bitop3:0x40
; %bb.987:                              ;   in Loop: Header=BB361_636 Depth=1
	s_or_b32 exec_lo, exec_lo, s16
	v_lshlrev_b32_e32 v20, 16, v20
	s_delay_alu instid0(VALU_DEP_2) | instskip(NEXT) | instid1(VALU_DEP_3)
	v_lshlrev_b32_e32 v28, 20, v28
	v_lshl_add_u32 v29, v85, 23, 0x3c000000
	s_delay_alu instid0(VALU_DEP_3) | instskip(NEXT) | instid1(VALU_DEP_1)
	v_and_b32_e32 v20, 0x80000000, v20
	v_or3_b32 v28, v28, v20, v29
.LBB361_988:                            ;   in Loop: Header=BB361_636 Depth=1
	s_or_b32 exec_lo, exec_lo, s15
.LBB361_989:                            ;   in Loop: Header=BB361_636 Depth=1
	s_delay_alu instid0(SALU_CYCLE_1)
	s_or_b32 exec_lo, exec_lo, s14
.LBB361_990:                            ;   in Loop: Header=BB361_636 Depth=1
	s_delay_alu instid0(SALU_CYCLE_1) | instskip(SKIP_3) | instid1(VALU_DEP_2)
	s_or_b32 exec_lo, exec_lo, s11
	v_dual_lshrrev_b32 v85, 16, v1 :: v_dual_mov_b32 v29, 0
	v_mov_b32_e32 v91, 0
	s_mov_b32 s11, exec_lo
	v_and_b32_e32 v20, 0xff, v85
	s_delay_alu instid0(VALU_DEP_1)
	v_cmpx_ne_u16_e32 0, v20
	s_cbranch_execz .LBB361_998
; %bb.991:                              ;   in Loop: Header=BB361_636 Depth=1
	v_bfrev_b32_e32 v91, 1
	s_mov_b32 s14, exec_lo
	v_cmpx_ne_u16_e32 0x80, v20
	s_cbranch_execz .LBB361_997
; %bb.992:                              ;   in Loop: Header=BB361_636 Depth=1
	v_bfe_u32 v90, v1, 16, 7
	v_mov_b32_e32 v91, 0x7f800001
	s_mov_b32 s15, exec_lo
	s_delay_alu instid0(VALU_DEP_2)
	v_cmpx_ne_u32_e32 0x7f, v90
	s_cbranch_execz .LBB361_996
; %bb.993:                              ;   in Loop: Header=BB361_636 Depth=1
	v_dual_lshrrev_b32 v89, 3, v90 :: v_dual_bitop2_b32 v20, 7, v85 bitop3:0x40
	s_mov_b32 s16, exec_lo
	v_cmpx_gt_u32_e32 8, v90
; %bb.994:                              ;   in Loop: Header=BB361_636 Depth=1
	s_delay_alu instid0(VALU_DEP_2) | instskip(NEXT) | instid1(VALU_DEP_1)
	v_clz_i32_u32_e32 v89, v20
	v_min_u32_e32 v89, 32, v89
	s_delay_alu instid0(VALU_DEP_1) | instskip(NEXT) | instid1(VALU_DEP_1)
	v_subrev_nc_u32_e32 v90, 28, v89
	v_lshlrev_b64_e32 v[90:91], v90, v[20:21]
	s_delay_alu instid0(VALU_DEP_1)
	v_dual_sub_nc_u32 v89, 29, v89 :: v_dual_bitop2_b32 v20, 7, v90 bitop3:0x40
; %bb.995:                              ;   in Loop: Header=BB361_636 Depth=1
	s_or_b32 exec_lo, exec_lo, s16
	s_delay_alu instid0(VALU_DEP_1) | instskip(NEXT) | instid1(VALU_DEP_2)
	v_dual_lshlrev_b32 v85, 24, v85 :: v_dual_lshlrev_b32 v20, 20, v20
	v_lshl_add_u32 v89, v89, 23, 0x3c000000
	s_delay_alu instid0(VALU_DEP_2) | instskip(NEXT) | instid1(VALU_DEP_1)
	v_and_b32_e32 v85, 0x80000000, v85
	v_or3_b32 v91, v20, v85, v89
.LBB361_996:                            ;   in Loop: Header=BB361_636 Depth=1
	s_or_b32 exec_lo, exec_lo, s15
.LBB361_997:                            ;   in Loop: Header=BB361_636 Depth=1
	s_delay_alu instid0(SALU_CYCLE_1)
	s_or_b32 exec_lo, exec_lo, s14
.LBB361_998:                            ;   in Loop: Header=BB361_636 Depth=1
	s_delay_alu instid0(SALU_CYCLE_1) | instskip(NEXT) | instid1(SALU_CYCLE_1)
	s_or_b32 exec_lo, exec_lo, s11
	s_mov_b32 s11, exec_lo
	v_cmpx_lt_u64_e64 s[2:3], v[0:1]
	s_cbranch_execz .LBB361_1006
; %bb.999:                              ;   in Loop: Header=BB361_636 Depth=1
	v_lshrrev_b32_e32 v0, 24, v1
	v_bfrev_b32_e32 v29, 1
	s_mov_b32 s14, exec_lo
	s_delay_alu instid0(VALU_DEP_2)
	v_cmpx_ne_u32_e32 0x80, v0
	s_cbranch_execz .LBB361_1005
; %bb.1000:                             ;   in Loop: Header=BB361_636 Depth=1
	v_bfe_u32 v85, v1, 24, 7
	v_mov_b32_e32 v29, 0x7f800001
	s_mov_b32 s15, exec_lo
	s_delay_alu instid0(VALU_DEP_2)
	v_cmpx_ne_u32_e32 0x7f, v85
	s_cbranch_execz .LBB361_1004
; %bb.1001:                             ;   in Loop: Header=BB361_636 Depth=1
	v_dual_lshrrev_b32 v1, 3, v85 :: v_dual_bitop2_b32 v20, 7, v0 bitop3:0x40
	s_mov_b32 s16, exec_lo
	v_cmpx_gt_u32_e32 8, v85
; %bb.1002:                             ;   in Loop: Header=BB361_636 Depth=1
	s_delay_alu instid0(VALU_DEP_2) | instskip(NEXT) | instid1(VALU_DEP_1)
	v_clz_i32_u32_e32 v1, v20
	v_min_u32_e32 v1, 32, v1
	s_delay_alu instid0(VALU_DEP_1) | instskip(NEXT) | instid1(VALU_DEP_1)
	v_subrev_nc_u32_e32 v29, 28, v1
	v_lshlrev_b64_e32 v[92:93], v29, v[20:21]
	s_delay_alu instid0(VALU_DEP_1)
	v_dual_sub_nc_u32 v1, 29, v1 :: v_dual_bitop2_b32 v20, 7, v92 bitop3:0x40
; %bb.1003:                             ;   in Loop: Header=BB361_636 Depth=1
	s_or_b32 exec_lo, exec_lo, s16
	v_lshlrev_b32_e32 v0, 24, v0
	s_delay_alu instid0(VALU_DEP_2) | instskip(NEXT) | instid1(VALU_DEP_3)
	v_lshlrev_b32_e32 v20, 20, v20
	v_lshl_add_u32 v1, v1, 23, 0x3c000000
	s_delay_alu instid0(VALU_DEP_3) | instskip(NEXT) | instid1(VALU_DEP_1)
	v_and_b32_e32 v0, 0x80000000, v0
	v_or3_b32 v29, v20, v0, v1
.LBB361_1004:                           ;   in Loop: Header=BB361_636 Depth=1
	s_or_b32 exec_lo, exec_lo, s15
.LBB361_1005:                           ;   in Loop: Header=BB361_636 Depth=1
	s_delay_alu instid0(SALU_CYCLE_1)
	s_or_b32 exec_lo, exec_lo, s14
.LBB361_1006:                           ;   in Loop: Header=BB361_636 Depth=1
	s_delay_alu instid0(SALU_CYCLE_1)
	s_or_b32 exec_lo, exec_lo, s11
	v_fma_mixlo_bf16 v85, s6, v28, 0
	v_fma_mixlo_bf16 v86, s6, v86, 0
	;; [unrolled: 1-line block ×8, first 2 shown]
	s_and_saveexec_b32 s11, vcc_lo
	s_cbranch_execz .LBB361_1008
; %bb.1007:                             ;   in Loop: Header=BB361_636 Depth=1
	v_cmp_gt_i32_e64 s0, s25, v44
	s_delay_alu instid0(VALU_DEP_1) | instskip(SKIP_1) | instid1(VALU_DEP_1)
	v_cndmask_b32_e64 v90, 0, v90, s0
	v_cmp_gt_i32_e64 s0, s25, v50
	v_cndmask_b32_e64 v89, 0, v89, s0
	v_cmp_gt_i32_e64 s0, s25, v49
	s_delay_alu instid0(VALU_DEP_1) | instskip(SKIP_1) | instid1(VALU_DEP_1)
	v_cndmask_b32_e64 v88, 0, v88, s0
	v_cmp_gt_i32_e64 s0, s25, v48
	v_cndmask_b32_e64 v87, 0, v87, s0
	;; [unrolled: 5-line block ×4, first 2 shown]
.LBB361_1008:                           ;   in Loop: Header=BB361_636 Depth=1
	s_or_b32 exec_lo, exec_lo, s11
	global_load_b64 v[0:1], v[26:27], off offset:1536
	v_dual_mov_b32 v92, 0 :: v_dual_mov_b32 v91, 0
	s_mov_b32 s11, exec_lo
	s_wait_loadcnt 0x0
	v_and_b32_e32 v20, 0xff, v0
	s_delay_alu instid0(VALU_DEP_1)
	v_cmpx_ne_u16_e32 0, v20
	s_cbranch_execz .LBB361_1014
; %bb.1009:                             ;   in Loop: Header=BB361_636 Depth=1
	v_bfrev_b32_e32 v91, 1
	s_mov_b32 s14, exec_lo
	v_cmpx_ne_u16_e32 0x80, v20
	s_cbranch_execz .LBB361_1013
; %bb.1010:                             ;   in Loop: Header=BB361_636 Depth=1
	v_and_b32_e32 v20, 0x7f, v0
	v_mov_b32_e32 v91, 0x7f800001
	s_mov_b32 s15, exec_lo
	s_delay_alu instid0(VALU_DEP_2)
	v_cmpx_ne_u32_e32 0x7f, v20
	s_cbranch_execz .LBB361_1012
; %bb.1011:                             ;   in Loop: Header=BB361_636 Depth=1
	v_and_b32_e32 v28, 7, v0
	v_cmp_gt_u32_e64 s0, 8, v20
	s_delay_alu instid0(VALU_DEP_2) | instskip(NEXT) | instid1(VALU_DEP_1)
	v_clz_i32_u32_e32 v28, v28
	v_min_u32_e32 v28, 32, v28
	s_delay_alu instid0(VALU_DEP_1) | instskip(SKIP_2) | instid1(VALU_DEP_1)
	v_subrev_nc_u32_e32 v91, 28, v28
	v_lshrrev_b32_e32 v29, 3, v20
	v_sub_nc_u32_e32 v28, 29, v28
	v_dual_cndmask_b32 v20, v29, v28, s0 :: v_dual_cndmask_b32 v28, 0, v91, s0
	s_delay_alu instid0(VALU_DEP_1) | instskip(SKIP_1) | instid1(VALU_DEP_1)
	v_lshlrev_b64_e32 v[28:29], v28, v[0:1]
	v_lshlrev_b32_e32 v29, 24, v0
	v_and_b32_e32 v29, 0x80000000, v29
	s_delay_alu instid0(VALU_DEP_3) | instskip(SKIP_1) | instid1(VALU_DEP_2)
	v_lshlrev_b32_e32 v28, 20, v28
	v_lshl_add_u32 v20, v20, 23, 0x3c000000
	v_and_b32_e32 v28, 0x700000, v28
	s_delay_alu instid0(VALU_DEP_1)
	v_or3_b32 v91, v28, v29, v20
.LBB361_1012:                           ;   in Loop: Header=BB361_636 Depth=1
	s_or_b32 exec_lo, exec_lo, s15
.LBB361_1013:                           ;   in Loop: Header=BB361_636 Depth=1
	s_delay_alu instid0(SALU_CYCLE_1)
	s_or_b32 exec_lo, exec_lo, s14
.LBB361_1014:                           ;   in Loop: Header=BB361_636 Depth=1
	s_delay_alu instid0(SALU_CYCLE_1) | instskip(SKIP_2) | instid1(VALU_DEP_1)
	s_or_b32 exec_lo, exec_lo, s11
	v_lshrrev_b16 v20, 8, v0
	s_mov_b32 s11, exec_lo
	v_cmpx_ne_u16_e32 0, v20
	s_cbranch_execz .LBB361_1022
; %bb.1015:                             ;   in Loop: Header=BB361_636 Depth=1
	v_bfrev_b32_e32 v92, 1
	s_mov_b32 s14, exec_lo
	v_cmpx_ne_u16_e32 0x80, v20
	s_cbranch_execz .LBB361_1021
; %bb.1016:                             ;   in Loop: Header=BB361_636 Depth=1
	v_and_b32_e32 v20, 0xffff, v20
	v_mov_b32_e32 v92, 0x7f800001
	s_mov_b32 s15, exec_lo
	s_delay_alu instid0(VALU_DEP_2) | instskip(NEXT) | instid1(VALU_DEP_1)
	v_and_b32_e32 v29, 0x7f, v20
	v_cmpx_ne_u32_e32 0x7f, v29
	s_cbranch_execz .LBB361_1020
; %bb.1017:                             ;   in Loop: Header=BB361_636 Depth=1
	v_dual_lshrrev_b32 v28, 3, v29 :: v_dual_bitop2_b32 v20, 7, v20 bitop3:0x40
	s_mov_b32 s16, exec_lo
	v_cmpx_gt_u32_e32 8, v29
; %bb.1018:                             ;   in Loop: Header=BB361_636 Depth=1
	s_delay_alu instid0(VALU_DEP_2) | instskip(NEXT) | instid1(VALU_DEP_1)
	v_clz_i32_u32_e32 v28, v20
	v_min_u32_e32 v28, 32, v28
	s_delay_alu instid0(VALU_DEP_1) | instskip(SKIP_1) | instid1(VALU_DEP_2)
	v_subrev_nc_u32_e32 v29, 28, v28
	v_sub_nc_u32_e32 v28, 29, v28
	v_lshlrev_b64_e32 v[92:93], v29, v[20:21]
	s_delay_alu instid0(VALU_DEP_1)
	v_and_b32_e32 v20, 7, v92
; %bb.1019:                             ;   in Loop: Header=BB361_636 Depth=1
	s_or_b32 exec_lo, exec_lo, s16
	v_lshlrev_b32_e32 v29, 16, v0
	s_delay_alu instid0(VALU_DEP_2) | instskip(SKIP_1) | instid1(VALU_DEP_3)
	v_lshlrev_b32_e32 v20, 20, v20
	v_lshl_add_u32 v28, v28, 23, 0x3c000000
	v_and_b32_e32 v29, 0x80000000, v29
	s_delay_alu instid0(VALU_DEP_1)
	v_or3_b32 v92, v20, v29, v28
.LBB361_1020:                           ;   in Loop: Header=BB361_636 Depth=1
	s_or_b32 exec_lo, exec_lo, s15
.LBB361_1021:                           ;   in Loop: Header=BB361_636 Depth=1
	s_delay_alu instid0(SALU_CYCLE_1)
	s_or_b32 exec_lo, exec_lo, s14
.LBB361_1022:                           ;   in Loop: Header=BB361_636 Depth=1
	s_delay_alu instid0(SALU_CYCLE_1) | instskip(SKIP_3) | instid1(VALU_DEP_2)
	s_or_b32 exec_lo, exec_lo, s11
	v_dual_mov_b32 v95, 0 :: v_dual_lshrrev_b32 v28, 16, v0
	v_mov_b32_e32 v96, 0
	s_mov_b32 s11, exec_lo
	v_and_b32_e32 v20, 0xff, v28
	s_delay_alu instid0(VALU_DEP_1)
	v_cmpx_ne_u16_e32 0, v20
	s_cbranch_execz .LBB361_1030
; %bb.1023:                             ;   in Loop: Header=BB361_636 Depth=1
	v_bfrev_b32_e32 v96, 1
	s_mov_b32 s14, exec_lo
	v_cmpx_ne_u16_e32 0x80, v20
	s_cbranch_execz .LBB361_1029
; %bb.1024:                             ;   in Loop: Header=BB361_636 Depth=1
	v_bfe_u32 v93, v0, 16, 7
	v_mov_b32_e32 v96, 0x7f800001
	s_mov_b32 s15, exec_lo
	s_delay_alu instid0(VALU_DEP_2)
	v_cmpx_ne_u32_e32 0x7f, v93
	s_cbranch_execz .LBB361_1028
; %bb.1025:                             ;   in Loop: Header=BB361_636 Depth=1
	v_dual_lshrrev_b32 v29, 3, v93 :: v_dual_bitop2_b32 v20, 7, v28 bitop3:0x40
	s_mov_b32 s16, exec_lo
	v_cmpx_gt_u32_e32 8, v93
; %bb.1026:                             ;   in Loop: Header=BB361_636 Depth=1
	s_delay_alu instid0(VALU_DEP_2) | instskip(NEXT) | instid1(VALU_DEP_1)
	v_clz_i32_u32_e32 v29, v20
	v_min_u32_e32 v29, 32, v29
	s_delay_alu instid0(VALU_DEP_1) | instskip(NEXT) | instid1(VALU_DEP_1)
	v_subrev_nc_u32_e32 v93, 28, v29
	v_lshlrev_b64_e32 v[96:97], v93, v[20:21]
	s_delay_alu instid0(VALU_DEP_1)
	v_dual_sub_nc_u32 v29, 29, v29 :: v_dual_bitop2_b32 v20, 7, v96 bitop3:0x40
; %bb.1027:                             ;   in Loop: Header=BB361_636 Depth=1
	s_or_b32 exec_lo, exec_lo, s16
	v_lshlrev_b32_e32 v28, 24, v28
	s_delay_alu instid0(VALU_DEP_2) | instskip(NEXT) | instid1(VALU_DEP_3)
	v_lshlrev_b32_e32 v20, 20, v20
	v_lshl_add_u32 v29, v29, 23, 0x3c000000
	s_delay_alu instid0(VALU_DEP_3) | instskip(NEXT) | instid1(VALU_DEP_1)
	v_and_b32_e32 v28, 0x80000000, v28
	v_or3_b32 v96, v20, v28, v29
.LBB361_1028:                           ;   in Loop: Header=BB361_636 Depth=1
	s_or_b32 exec_lo, exec_lo, s15
.LBB361_1029:                           ;   in Loop: Header=BB361_636 Depth=1
	s_delay_alu instid0(SALU_CYCLE_1)
	s_or_b32 exec_lo, exec_lo, s14
.LBB361_1030:                           ;   in Loop: Header=BB361_636 Depth=1
	s_delay_alu instid0(SALU_CYCLE_1) | instskip(NEXT) | instid1(SALU_CYCLE_1)
	s_or_b32 exec_lo, exec_lo, s11
	s_mov_b32 s11, exec_lo
	v_cmpx_lt_u32_e32 0xffffff, v0
	s_cbranch_execz .LBB361_1038
; %bb.1031:                             ;   in Loop: Header=BB361_636 Depth=1
	v_lshrrev_b32_e32 v28, 24, v0
	v_bfrev_b32_e32 v95, 1
	s_mov_b32 s14, exec_lo
	s_delay_alu instid0(VALU_DEP_2)
	v_cmpx_ne_u32_e32 0x80, v28
	s_cbranch_execz .LBB361_1037
; %bb.1032:                             ;   in Loop: Header=BB361_636 Depth=1
	v_bfe_u32 v93, v0, 24, 7
	v_mov_b32_e32 v95, 0x7f800001
	s_mov_b32 s15, exec_lo
	s_delay_alu instid0(VALU_DEP_2)
	v_cmpx_ne_u32_e32 0x7f, v93
	s_cbranch_execz .LBB361_1036
; %bb.1033:                             ;   in Loop: Header=BB361_636 Depth=1
	v_dual_lshrrev_b32 v29, 3, v93 :: v_dual_bitop2_b32 v20, 7, v28 bitop3:0x40
	s_mov_b32 s16, exec_lo
	v_cmpx_gt_u32_e32 8, v93
; %bb.1034:                             ;   in Loop: Header=BB361_636 Depth=1
	s_delay_alu instid0(VALU_DEP_2) | instskip(NEXT) | instid1(VALU_DEP_1)
	v_clz_i32_u32_e32 v29, v20
	v_min_u32_e32 v29, 32, v29
	s_delay_alu instid0(VALU_DEP_1) | instskip(NEXT) | instid1(VALU_DEP_1)
	v_subrev_nc_u32_e32 v93, 28, v29
	v_lshlrev_b64_e32 v[94:95], v93, v[20:21]
	s_delay_alu instid0(VALU_DEP_1)
	v_dual_sub_nc_u32 v29, 29, v29 :: v_dual_bitop2_b32 v20, 7, v94 bitop3:0x40
; %bb.1035:                             ;   in Loop: Header=BB361_636 Depth=1
	s_or_b32 exec_lo, exec_lo, s16
	v_lshlrev_b32_e32 v28, 24, v28
	s_delay_alu instid0(VALU_DEP_2) | instskip(NEXT) | instid1(VALU_DEP_3)
	v_lshlrev_b32_e32 v20, 20, v20
	v_lshl_add_u32 v29, v29, 23, 0x3c000000
	s_delay_alu instid0(VALU_DEP_3) | instskip(NEXT) | instid1(VALU_DEP_1)
	v_and_b32_e32 v28, 0x80000000, v28
	v_or3_b32 v95, v20, v28, v29
.LBB361_1036:                           ;   in Loop: Header=BB361_636 Depth=1
	s_or_b32 exec_lo, exec_lo, s15
.LBB361_1037:                           ;   in Loop: Header=BB361_636 Depth=1
	s_delay_alu instid0(SALU_CYCLE_1)
	s_or_b32 exec_lo, exec_lo, s14
.LBB361_1038:                           ;   in Loop: Header=BB361_636 Depth=1
	s_delay_alu instid0(SALU_CYCLE_1) | instskip(SKIP_4) | instid1(VALU_DEP_3)
	s_or_b32 exec_lo, exec_lo, s11
	v_and_b32_e32 v29, 0xff, v1
	v_dual_mov_b32 v20, v1 :: v_dual_mov_b32 v28, 0
	v_mov_b32_e32 v94, 0
	s_mov_b32 s11, exec_lo
	v_cmpx_ne_u16_e32 0, v29
	s_cbranch_execz .LBB361_1044
; %bb.1039:                             ;   in Loop: Header=BB361_636 Depth=1
	v_bfrev_b32_e32 v94, 1
	s_mov_b32 s14, exec_lo
	v_cmpx_ne_u16_e32 0x80, v29
	s_cbranch_execz .LBB361_1043
; %bb.1040:                             ;   in Loop: Header=BB361_636 Depth=1
	v_and_b32_e32 v29, 0x7f, v1
	v_mov_b32_e32 v94, 0x7f800001
	s_mov_b32 s15, exec_lo
	s_delay_alu instid0(VALU_DEP_2)
	v_cmpx_ne_u32_e32 0x7f, v29
	s_cbranch_execz .LBB361_1042
; %bb.1041:                             ;   in Loop: Header=BB361_636 Depth=1
	v_and_b32_e32 v93, 7, v1
	v_lshrrev_b32_e32 v94, 3, v29
	v_cmp_gt_u32_e64 s0, 8, v29
	s_delay_alu instid0(VALU_DEP_3) | instskip(NEXT) | instid1(VALU_DEP_1)
	v_clz_i32_u32_e32 v93, v93
	v_min_u32_e32 v93, 32, v93
	s_delay_alu instid0(VALU_DEP_1) | instskip(SKIP_1) | instid1(VALU_DEP_1)
	v_subrev_nc_u32_e32 v97, 28, v93
	v_sub_nc_u32_e32 v93, 29, v93
	v_cndmask_b32_e64 v29, v94, v93, s0
	s_delay_alu instid0(VALU_DEP_3) | instskip(NEXT) | instid1(VALU_DEP_2)
	v_cndmask_b32_e64 v93, 0, v97, s0
	v_lshl_add_u32 v29, v29, 23, 0x3c000000
	s_delay_alu instid0(VALU_DEP_2) | instskip(SKIP_1) | instid1(VALU_DEP_1)
	v_lshlrev_b64_e32 v[98:99], v93, v[20:21]
	v_lshlrev_b32_e32 v93, 24, v20
	v_and_b32_e32 v93, 0x80000000, v93
	s_delay_alu instid0(VALU_DEP_3) | instskip(NEXT) | instid1(VALU_DEP_1)
	v_lshlrev_b32_e32 v94, 20, v98
	v_and_b32_e32 v94, 0x700000, v94
	s_delay_alu instid0(VALU_DEP_1)
	v_or3_b32 v94, v94, v93, v29
.LBB361_1042:                           ;   in Loop: Header=BB361_636 Depth=1
	s_or_b32 exec_lo, exec_lo, s15
.LBB361_1043:                           ;   in Loop: Header=BB361_636 Depth=1
	s_delay_alu instid0(SALU_CYCLE_1)
	s_or_b32 exec_lo, exec_lo, s14
.LBB361_1044:                           ;   in Loop: Header=BB361_636 Depth=1
	s_delay_alu instid0(SALU_CYCLE_1) | instskip(SKIP_2) | instid1(VALU_DEP_1)
	s_or_b32 exec_lo, exec_lo, s11
	v_lshrrev_b16 v29, 8, v20
	s_mov_b32 s11, exec_lo
	v_cmpx_ne_u16_e32 0, v29
	s_cbranch_execz .LBB361_1052
; %bb.1045:                             ;   in Loop: Header=BB361_636 Depth=1
	v_bfrev_b32_e32 v28, 1
	s_mov_b32 s14, exec_lo
	v_cmpx_ne_u16_e32 0x80, v29
	s_cbranch_execz .LBB361_1051
; %bb.1046:                             ;   in Loop: Header=BB361_636 Depth=1
	v_and_b32_e32 v29, 0xffff, v29
	v_mov_b32_e32 v28, 0x7f800001
	s_mov_b32 s15, exec_lo
	s_delay_alu instid0(VALU_DEP_2) | instskip(NEXT) | instid1(VALU_DEP_1)
	v_and_b32_e32 v97, 0x7f, v29
	v_cmpx_ne_u32_e32 0x7f, v97
	s_cbranch_execz .LBB361_1050
; %bb.1047:                             ;   in Loop: Header=BB361_636 Depth=1
	v_dual_mov_b32 v29, v21 :: v_dual_bitop2_b32 v28, 7, v29 bitop3:0x40
	v_lshrrev_b32_e32 v93, 3, v97
	s_mov_b32 s16, exec_lo
	v_cmpx_gt_u32_e32 8, v97
; %bb.1048:                             ;   in Loop: Header=BB361_636 Depth=1
	s_delay_alu instid0(VALU_DEP_3) | instskip(NEXT) | instid1(VALU_DEP_1)
	v_clz_i32_u32_e32 v93, v28
	v_min_u32_e32 v93, 32, v93
	s_delay_alu instid0(VALU_DEP_1) | instskip(NEXT) | instid1(VALU_DEP_1)
	v_subrev_nc_u32_e32 v97, 28, v93
	v_lshlrev_b64_e32 v[28:29], v97, v[28:29]
	s_delay_alu instid0(VALU_DEP_1)
	v_dual_sub_nc_u32 v93, 29, v93 :: v_dual_bitop2_b32 v28, 7, v28 bitop3:0x40
; %bb.1049:                             ;   in Loop: Header=BB361_636 Depth=1
	s_or_b32 exec_lo, exec_lo, s16
	v_lshlrev_b32_e32 v20, 16, v20
	s_delay_alu instid0(VALU_DEP_2) | instskip(NEXT) | instid1(VALU_DEP_3)
	v_lshlrev_b32_e32 v28, 20, v28
	v_lshl_add_u32 v29, v93, 23, 0x3c000000
	s_delay_alu instid0(VALU_DEP_3) | instskip(NEXT) | instid1(VALU_DEP_1)
	v_and_b32_e32 v20, 0x80000000, v20
	v_or3_b32 v28, v28, v20, v29
.LBB361_1050:                           ;   in Loop: Header=BB361_636 Depth=1
	s_or_b32 exec_lo, exec_lo, s15
.LBB361_1051:                           ;   in Loop: Header=BB361_636 Depth=1
	s_delay_alu instid0(SALU_CYCLE_1)
	s_or_b32 exec_lo, exec_lo, s14
.LBB361_1052:                           ;   in Loop: Header=BB361_636 Depth=1
	s_delay_alu instid0(SALU_CYCLE_1) | instskip(SKIP_3) | instid1(VALU_DEP_2)
	s_or_b32 exec_lo, exec_lo, s11
	v_dual_lshrrev_b32 v93, 16, v1 :: v_dual_mov_b32 v29, 0
	v_mov_b32_e32 v99, 0
	s_mov_b32 s11, exec_lo
	v_and_b32_e32 v20, 0xff, v93
	s_delay_alu instid0(VALU_DEP_1)
	v_cmpx_ne_u16_e32 0, v20
	s_cbranch_execz .LBB361_1060
; %bb.1053:                             ;   in Loop: Header=BB361_636 Depth=1
	v_bfrev_b32_e32 v99, 1
	s_mov_b32 s14, exec_lo
	v_cmpx_ne_u16_e32 0x80, v20
	s_cbranch_execz .LBB361_1059
; %bb.1054:                             ;   in Loop: Header=BB361_636 Depth=1
	v_bfe_u32 v98, v1, 16, 7
	v_mov_b32_e32 v99, 0x7f800001
	s_mov_b32 s15, exec_lo
	s_delay_alu instid0(VALU_DEP_2)
	v_cmpx_ne_u32_e32 0x7f, v98
	s_cbranch_execz .LBB361_1058
; %bb.1055:                             ;   in Loop: Header=BB361_636 Depth=1
	v_dual_lshrrev_b32 v97, 3, v98 :: v_dual_bitop2_b32 v20, 7, v93 bitop3:0x40
	s_mov_b32 s16, exec_lo
	v_cmpx_gt_u32_e32 8, v98
; %bb.1056:                             ;   in Loop: Header=BB361_636 Depth=1
	s_delay_alu instid0(VALU_DEP_2) | instskip(NEXT) | instid1(VALU_DEP_1)
	v_clz_i32_u32_e32 v97, v20
	v_min_u32_e32 v97, 32, v97
	s_delay_alu instid0(VALU_DEP_1) | instskip(NEXT) | instid1(VALU_DEP_1)
	v_subrev_nc_u32_e32 v98, 28, v97
	v_lshlrev_b64_e32 v[98:99], v98, v[20:21]
	s_delay_alu instid0(VALU_DEP_1)
	v_dual_sub_nc_u32 v97, 29, v97 :: v_dual_bitop2_b32 v20, 7, v98 bitop3:0x40
; %bb.1057:                             ;   in Loop: Header=BB361_636 Depth=1
	s_or_b32 exec_lo, exec_lo, s16
	s_delay_alu instid0(VALU_DEP_1) | instskip(NEXT) | instid1(VALU_DEP_2)
	v_dual_lshlrev_b32 v93, 24, v93 :: v_dual_lshlrev_b32 v20, 20, v20
	v_lshl_add_u32 v97, v97, 23, 0x3c000000
	s_delay_alu instid0(VALU_DEP_2) | instskip(NEXT) | instid1(VALU_DEP_1)
	v_and_b32_e32 v93, 0x80000000, v93
	v_or3_b32 v99, v20, v93, v97
.LBB361_1058:                           ;   in Loop: Header=BB361_636 Depth=1
	s_or_b32 exec_lo, exec_lo, s15
.LBB361_1059:                           ;   in Loop: Header=BB361_636 Depth=1
	s_delay_alu instid0(SALU_CYCLE_1)
	s_or_b32 exec_lo, exec_lo, s14
.LBB361_1060:                           ;   in Loop: Header=BB361_636 Depth=1
	s_delay_alu instid0(SALU_CYCLE_1) | instskip(NEXT) | instid1(SALU_CYCLE_1)
	s_or_b32 exec_lo, exec_lo, s11
	s_mov_b32 s11, exec_lo
	v_cmpx_lt_u64_e64 s[2:3], v[0:1]
	s_cbranch_execz .LBB361_1068
; %bb.1061:                             ;   in Loop: Header=BB361_636 Depth=1
	v_lshrrev_b32_e32 v0, 24, v1
	v_bfrev_b32_e32 v29, 1
	s_mov_b32 s14, exec_lo
	s_delay_alu instid0(VALU_DEP_2)
	v_cmpx_ne_u32_e32 0x80, v0
	s_cbranch_execz .LBB361_1067
; %bb.1062:                             ;   in Loop: Header=BB361_636 Depth=1
	v_bfe_u32 v93, v1, 24, 7
	v_mov_b32_e32 v29, 0x7f800001
	s_mov_b32 s15, exec_lo
	s_delay_alu instid0(VALU_DEP_2)
	v_cmpx_ne_u32_e32 0x7f, v93
	s_cbranch_execz .LBB361_1066
; %bb.1063:                             ;   in Loop: Header=BB361_636 Depth=1
	v_dual_lshrrev_b32 v1, 3, v93 :: v_dual_bitop2_b32 v20, 7, v0 bitop3:0x40
	s_mov_b32 s16, exec_lo
	v_cmpx_gt_u32_e32 8, v93
; %bb.1064:                             ;   in Loop: Header=BB361_636 Depth=1
	s_delay_alu instid0(VALU_DEP_2) | instskip(NEXT) | instid1(VALU_DEP_1)
	v_clz_i32_u32_e32 v1, v20
	v_min_u32_e32 v1, 32, v1
	s_delay_alu instid0(VALU_DEP_1) | instskip(NEXT) | instid1(VALU_DEP_1)
	v_subrev_nc_u32_e32 v29, 28, v1
	v_lshlrev_b64_e32 v[100:101], v29, v[20:21]
	s_delay_alu instid0(VALU_DEP_1)
	v_dual_sub_nc_u32 v1, 29, v1 :: v_dual_bitop2_b32 v20, 7, v100 bitop3:0x40
; %bb.1065:                             ;   in Loop: Header=BB361_636 Depth=1
	s_or_b32 exec_lo, exec_lo, s16
	v_lshlrev_b32_e32 v0, 24, v0
	s_delay_alu instid0(VALU_DEP_2) | instskip(NEXT) | instid1(VALU_DEP_3)
	v_lshlrev_b32_e32 v20, 20, v20
	v_lshl_add_u32 v1, v1, 23, 0x3c000000
	s_delay_alu instid0(VALU_DEP_3) | instskip(NEXT) | instid1(VALU_DEP_1)
	v_and_b32_e32 v0, 0x80000000, v0
	v_or3_b32 v29, v20, v0, v1
.LBB361_1066:                           ;   in Loop: Header=BB361_636 Depth=1
	s_or_b32 exec_lo, exec_lo, s15
.LBB361_1067:                           ;   in Loop: Header=BB361_636 Depth=1
	s_delay_alu instid0(SALU_CYCLE_1)
	s_or_b32 exec_lo, exec_lo, s14
.LBB361_1068:                           ;   in Loop: Header=BB361_636 Depth=1
	s_delay_alu instid0(SALU_CYCLE_1)
	s_or_b32 exec_lo, exec_lo, s11
	v_fma_mixlo_bf16 v93, s6, v28, 0
	v_fma_mixlo_bf16 v94, s6, v94, 0
	;; [unrolled: 1-line block ×8, first 2 shown]
	s_and_saveexec_b32 s11, vcc_lo
	s_cbranch_execz .LBB361_1070
; %bb.1069:                             ;   in Loop: Header=BB361_636 Depth=1
	v_cmp_gt_i32_e64 s0, s25, v44
	s_delay_alu instid0(VALU_DEP_1) | instskip(SKIP_1) | instid1(VALU_DEP_1)
	v_cndmask_b32_e64 v98, 0, v98, s0
	v_cmp_gt_i32_e64 s0, s25, v50
	v_cndmask_b32_e64 v97, 0, v97, s0
	v_cmp_gt_i32_e64 s0, s25, v49
	s_delay_alu instid0(VALU_DEP_1) | instskip(SKIP_1) | instid1(VALU_DEP_1)
	v_cndmask_b32_e64 v96, 0, v96, s0
	v_cmp_gt_i32_e64 s0, s25, v48
	v_cndmask_b32_e64 v95, 0, v95, s0
	v_cmp_gt_i32_e64 s0, s25, v47
	s_delay_alu instid0(VALU_DEP_1) | instskip(SKIP_1) | instid1(VALU_DEP_1)
	v_cndmask_b32_e64 v94, 0, v94, s0
	v_cmp_gt_i32_e64 s0, s25, v46
	v_cndmask_b32_e64 v93, 0, v93, s0
	v_cmp_gt_i32_e64 s0, s25, v45
	s_delay_alu instid0(VALU_DEP_1) | instskip(SKIP_1) | instid1(VALU_DEP_1)
	v_cndmask_b32_e64 v91, 0, v91, s0
	v_cmp_gt_i32_e64 s0, s25, v33
	v_cndmask_b32_e64 v92, 0, v92, s0
.LBB361_1070:                           ;   in Loop: Header=BB361_636 Depth=1
	s_or_b32 exec_lo, exec_lo, s11
	global_load_b64 v[0:1], v[26:27], off offset:1792
	v_dual_mov_b32 v100, 0 :: v_dual_mov_b32 v99, 0
	s_mov_b32 s11, exec_lo
	s_wait_loadcnt 0x0
	v_and_b32_e32 v20, 0xff, v0
	s_delay_alu instid0(VALU_DEP_1)
	v_cmpx_ne_u16_e32 0, v20
	s_cbranch_execz .LBB361_1076
; %bb.1071:                             ;   in Loop: Header=BB361_636 Depth=1
	v_bfrev_b32_e32 v99, 1
	s_mov_b32 s14, exec_lo
	v_cmpx_ne_u16_e32 0x80, v20
	s_cbranch_execz .LBB361_1075
; %bb.1072:                             ;   in Loop: Header=BB361_636 Depth=1
	v_and_b32_e32 v20, 0x7f, v0
	v_mov_b32_e32 v99, 0x7f800001
	s_mov_b32 s15, exec_lo
	s_delay_alu instid0(VALU_DEP_2)
	v_cmpx_ne_u32_e32 0x7f, v20
	s_cbranch_execz .LBB361_1074
; %bb.1073:                             ;   in Loop: Header=BB361_636 Depth=1
	v_and_b32_e32 v28, 7, v0
	v_cmp_gt_u32_e64 s0, 8, v20
	s_delay_alu instid0(VALU_DEP_2) | instskip(NEXT) | instid1(VALU_DEP_1)
	v_clz_i32_u32_e32 v28, v28
	v_min_u32_e32 v28, 32, v28
	s_delay_alu instid0(VALU_DEP_1) | instskip(SKIP_2) | instid1(VALU_DEP_1)
	v_subrev_nc_u32_e32 v99, 28, v28
	v_lshrrev_b32_e32 v29, 3, v20
	v_sub_nc_u32_e32 v28, 29, v28
	v_dual_cndmask_b32 v20, v29, v28, s0 :: v_dual_cndmask_b32 v28, 0, v99, s0
	s_delay_alu instid0(VALU_DEP_1) | instskip(SKIP_1) | instid1(VALU_DEP_1)
	v_lshlrev_b64_e32 v[28:29], v28, v[0:1]
	v_lshlrev_b32_e32 v29, 24, v0
	v_and_b32_e32 v29, 0x80000000, v29
	s_delay_alu instid0(VALU_DEP_3) | instskip(SKIP_1) | instid1(VALU_DEP_2)
	v_lshlrev_b32_e32 v28, 20, v28
	v_lshl_add_u32 v20, v20, 23, 0x3c000000
	v_and_b32_e32 v28, 0x700000, v28
	s_delay_alu instid0(VALU_DEP_1)
	v_or3_b32 v99, v28, v29, v20
.LBB361_1074:                           ;   in Loop: Header=BB361_636 Depth=1
	s_or_b32 exec_lo, exec_lo, s15
.LBB361_1075:                           ;   in Loop: Header=BB361_636 Depth=1
	s_delay_alu instid0(SALU_CYCLE_1)
	s_or_b32 exec_lo, exec_lo, s14
.LBB361_1076:                           ;   in Loop: Header=BB361_636 Depth=1
	s_delay_alu instid0(SALU_CYCLE_1) | instskip(SKIP_2) | instid1(VALU_DEP_1)
	s_or_b32 exec_lo, exec_lo, s11
	v_lshrrev_b16 v20, 8, v0
	s_mov_b32 s11, exec_lo
	v_cmpx_ne_u16_e32 0, v20
	s_cbranch_execz .LBB361_1084
; %bb.1077:                             ;   in Loop: Header=BB361_636 Depth=1
	v_bfrev_b32_e32 v100, 1
	s_mov_b32 s14, exec_lo
	v_cmpx_ne_u16_e32 0x80, v20
	s_cbranch_execz .LBB361_1083
; %bb.1078:                             ;   in Loop: Header=BB361_636 Depth=1
	v_and_b32_e32 v20, 0xffff, v20
	v_mov_b32_e32 v100, 0x7f800001
	s_mov_b32 s15, exec_lo
	s_delay_alu instid0(VALU_DEP_2) | instskip(NEXT) | instid1(VALU_DEP_1)
	v_and_b32_e32 v29, 0x7f, v20
	v_cmpx_ne_u32_e32 0x7f, v29
	s_cbranch_execz .LBB361_1082
; %bb.1079:                             ;   in Loop: Header=BB361_636 Depth=1
	v_dual_lshrrev_b32 v28, 3, v29 :: v_dual_bitop2_b32 v20, 7, v20 bitop3:0x40
	s_mov_b32 s16, exec_lo
	v_cmpx_gt_u32_e32 8, v29
; %bb.1080:                             ;   in Loop: Header=BB361_636 Depth=1
	s_delay_alu instid0(VALU_DEP_2) | instskip(NEXT) | instid1(VALU_DEP_1)
	v_clz_i32_u32_e32 v28, v20
	v_min_u32_e32 v28, 32, v28
	s_delay_alu instid0(VALU_DEP_1) | instskip(SKIP_1) | instid1(VALU_DEP_2)
	v_subrev_nc_u32_e32 v29, 28, v28
	v_sub_nc_u32_e32 v28, 29, v28
	v_lshlrev_b64_e32 v[100:101], v29, v[20:21]
	s_delay_alu instid0(VALU_DEP_1)
	v_and_b32_e32 v20, 7, v100
; %bb.1081:                             ;   in Loop: Header=BB361_636 Depth=1
	s_or_b32 exec_lo, exec_lo, s16
	v_lshlrev_b32_e32 v29, 16, v0
	s_delay_alu instid0(VALU_DEP_2) | instskip(SKIP_1) | instid1(VALU_DEP_3)
	v_lshlrev_b32_e32 v20, 20, v20
	v_lshl_add_u32 v28, v28, 23, 0x3c000000
	v_and_b32_e32 v29, 0x80000000, v29
	s_delay_alu instid0(VALU_DEP_1)
	v_or3_b32 v100, v20, v29, v28
.LBB361_1082:                           ;   in Loop: Header=BB361_636 Depth=1
	s_or_b32 exec_lo, exec_lo, s15
.LBB361_1083:                           ;   in Loop: Header=BB361_636 Depth=1
	s_delay_alu instid0(SALU_CYCLE_1)
	s_or_b32 exec_lo, exec_lo, s14
.LBB361_1084:                           ;   in Loop: Header=BB361_636 Depth=1
	s_delay_alu instid0(SALU_CYCLE_1) | instskip(SKIP_3) | instid1(VALU_DEP_2)
	s_or_b32 exec_lo, exec_lo, s11
	v_dual_mov_b32 v103, 0 :: v_dual_lshrrev_b32 v28, 16, v0
	v_mov_b32_e32 v104, 0
	s_mov_b32 s11, exec_lo
	v_and_b32_e32 v20, 0xff, v28
	s_delay_alu instid0(VALU_DEP_1)
	v_cmpx_ne_u16_e32 0, v20
	s_cbranch_execz .LBB361_1092
; %bb.1085:                             ;   in Loop: Header=BB361_636 Depth=1
	v_bfrev_b32_e32 v104, 1
	s_mov_b32 s14, exec_lo
	v_cmpx_ne_u16_e32 0x80, v20
	s_cbranch_execz .LBB361_1091
; %bb.1086:                             ;   in Loop: Header=BB361_636 Depth=1
	v_bfe_u32 v101, v0, 16, 7
	v_mov_b32_e32 v104, 0x7f800001
	s_mov_b32 s15, exec_lo
	s_delay_alu instid0(VALU_DEP_2)
	v_cmpx_ne_u32_e32 0x7f, v101
	s_cbranch_execz .LBB361_1090
; %bb.1087:                             ;   in Loop: Header=BB361_636 Depth=1
	v_dual_lshrrev_b32 v29, 3, v101 :: v_dual_bitop2_b32 v20, 7, v28 bitop3:0x40
	s_mov_b32 s16, exec_lo
	v_cmpx_gt_u32_e32 8, v101
; %bb.1088:                             ;   in Loop: Header=BB361_636 Depth=1
	s_delay_alu instid0(VALU_DEP_2) | instskip(NEXT) | instid1(VALU_DEP_1)
	v_clz_i32_u32_e32 v29, v20
	v_min_u32_e32 v29, 32, v29
	s_delay_alu instid0(VALU_DEP_1) | instskip(NEXT) | instid1(VALU_DEP_1)
	v_subrev_nc_u32_e32 v101, 28, v29
	v_lshlrev_b64_e32 v[104:105], v101, v[20:21]
	s_delay_alu instid0(VALU_DEP_1)
	v_dual_sub_nc_u32 v29, 29, v29 :: v_dual_bitop2_b32 v20, 7, v104 bitop3:0x40
; %bb.1089:                             ;   in Loop: Header=BB361_636 Depth=1
	s_or_b32 exec_lo, exec_lo, s16
	v_lshlrev_b32_e32 v28, 24, v28
	s_delay_alu instid0(VALU_DEP_2) | instskip(NEXT) | instid1(VALU_DEP_3)
	v_lshlrev_b32_e32 v20, 20, v20
	v_lshl_add_u32 v29, v29, 23, 0x3c000000
	s_delay_alu instid0(VALU_DEP_3) | instskip(NEXT) | instid1(VALU_DEP_1)
	v_and_b32_e32 v28, 0x80000000, v28
	v_or3_b32 v104, v20, v28, v29
.LBB361_1090:                           ;   in Loop: Header=BB361_636 Depth=1
	s_or_b32 exec_lo, exec_lo, s15
.LBB361_1091:                           ;   in Loop: Header=BB361_636 Depth=1
	s_delay_alu instid0(SALU_CYCLE_1)
	s_or_b32 exec_lo, exec_lo, s14
.LBB361_1092:                           ;   in Loop: Header=BB361_636 Depth=1
	s_delay_alu instid0(SALU_CYCLE_1) | instskip(NEXT) | instid1(SALU_CYCLE_1)
	s_or_b32 exec_lo, exec_lo, s11
	s_mov_b32 s11, exec_lo
	v_cmpx_lt_u32_e32 0xffffff, v0
	s_cbranch_execz .LBB361_1100
; %bb.1093:                             ;   in Loop: Header=BB361_636 Depth=1
	v_lshrrev_b32_e32 v28, 24, v0
	v_bfrev_b32_e32 v103, 1
	s_mov_b32 s14, exec_lo
	s_delay_alu instid0(VALU_DEP_2)
	v_cmpx_ne_u32_e32 0x80, v28
	s_cbranch_execz .LBB361_1099
; %bb.1094:                             ;   in Loop: Header=BB361_636 Depth=1
	v_bfe_u32 v101, v0, 24, 7
	v_mov_b32_e32 v103, 0x7f800001
	s_mov_b32 s15, exec_lo
	s_delay_alu instid0(VALU_DEP_2)
	v_cmpx_ne_u32_e32 0x7f, v101
	s_cbranch_execz .LBB361_1098
; %bb.1095:                             ;   in Loop: Header=BB361_636 Depth=1
	v_dual_lshrrev_b32 v29, 3, v101 :: v_dual_bitop2_b32 v20, 7, v28 bitop3:0x40
	s_mov_b32 s16, exec_lo
	v_cmpx_gt_u32_e32 8, v101
; %bb.1096:                             ;   in Loop: Header=BB361_636 Depth=1
	s_delay_alu instid0(VALU_DEP_2) | instskip(NEXT) | instid1(VALU_DEP_1)
	v_clz_i32_u32_e32 v29, v20
	v_min_u32_e32 v29, 32, v29
	s_delay_alu instid0(VALU_DEP_1) | instskip(NEXT) | instid1(VALU_DEP_1)
	v_subrev_nc_u32_e32 v101, 28, v29
	v_lshlrev_b64_e32 v[102:103], v101, v[20:21]
	s_delay_alu instid0(VALU_DEP_1)
	v_dual_sub_nc_u32 v29, 29, v29 :: v_dual_bitop2_b32 v20, 7, v102 bitop3:0x40
; %bb.1097:                             ;   in Loop: Header=BB361_636 Depth=1
	s_or_b32 exec_lo, exec_lo, s16
	v_lshlrev_b32_e32 v28, 24, v28
	s_delay_alu instid0(VALU_DEP_2) | instskip(NEXT) | instid1(VALU_DEP_3)
	v_lshlrev_b32_e32 v20, 20, v20
	v_lshl_add_u32 v29, v29, 23, 0x3c000000
	s_delay_alu instid0(VALU_DEP_3) | instskip(NEXT) | instid1(VALU_DEP_1)
	v_and_b32_e32 v28, 0x80000000, v28
	v_or3_b32 v103, v20, v28, v29
.LBB361_1098:                           ;   in Loop: Header=BB361_636 Depth=1
	s_or_b32 exec_lo, exec_lo, s15
.LBB361_1099:                           ;   in Loop: Header=BB361_636 Depth=1
	s_delay_alu instid0(SALU_CYCLE_1)
	s_or_b32 exec_lo, exec_lo, s14
.LBB361_1100:                           ;   in Loop: Header=BB361_636 Depth=1
	s_delay_alu instid0(SALU_CYCLE_1) | instskip(SKIP_4) | instid1(VALU_DEP_3)
	s_or_b32 exec_lo, exec_lo, s11
	v_and_b32_e32 v29, 0xff, v1
	v_dual_mov_b32 v20, v1 :: v_dual_mov_b32 v28, 0
	v_mov_b32_e32 v102, 0
	s_mov_b32 s11, exec_lo
	v_cmpx_ne_u16_e32 0, v29
	s_cbranch_execz .LBB361_1106
; %bb.1101:                             ;   in Loop: Header=BB361_636 Depth=1
	v_bfrev_b32_e32 v102, 1
	s_mov_b32 s14, exec_lo
	v_cmpx_ne_u16_e32 0x80, v29
	s_cbranch_execz .LBB361_1105
; %bb.1102:                             ;   in Loop: Header=BB361_636 Depth=1
	v_and_b32_e32 v29, 0x7f, v1
	v_mov_b32_e32 v102, 0x7f800001
	s_mov_b32 s15, exec_lo
	s_delay_alu instid0(VALU_DEP_2)
	v_cmpx_ne_u32_e32 0x7f, v29
	s_cbranch_execz .LBB361_1104
; %bb.1103:                             ;   in Loop: Header=BB361_636 Depth=1
	v_and_b32_e32 v101, 7, v1
	v_lshrrev_b32_e32 v102, 3, v29
	v_cmp_gt_u32_e64 s0, 8, v29
	s_delay_alu instid0(VALU_DEP_3) | instskip(NEXT) | instid1(VALU_DEP_1)
	v_clz_i32_u32_e32 v101, v101
	v_min_u32_e32 v101, 32, v101
	s_delay_alu instid0(VALU_DEP_1) | instskip(SKIP_1) | instid1(VALU_DEP_1)
	v_subrev_nc_u32_e32 v105, 28, v101
	v_sub_nc_u32_e32 v101, 29, v101
	v_cndmask_b32_e64 v29, v102, v101, s0
	s_delay_alu instid0(VALU_DEP_3) | instskip(NEXT) | instid1(VALU_DEP_2)
	v_cndmask_b32_e64 v101, 0, v105, s0
	v_lshl_add_u32 v29, v29, 23, 0x3c000000
	s_delay_alu instid0(VALU_DEP_2) | instskip(SKIP_1) | instid1(VALU_DEP_1)
	v_lshlrev_b64_e32 v[106:107], v101, v[20:21]
	v_lshlrev_b32_e32 v101, 24, v20
	v_and_b32_e32 v101, 0x80000000, v101
	s_delay_alu instid0(VALU_DEP_3) | instskip(NEXT) | instid1(VALU_DEP_1)
	v_lshlrev_b32_e32 v102, 20, v106
	v_and_b32_e32 v102, 0x700000, v102
	s_delay_alu instid0(VALU_DEP_1)
	v_or3_b32 v102, v102, v101, v29
.LBB361_1104:                           ;   in Loop: Header=BB361_636 Depth=1
	s_or_b32 exec_lo, exec_lo, s15
.LBB361_1105:                           ;   in Loop: Header=BB361_636 Depth=1
	s_delay_alu instid0(SALU_CYCLE_1)
	s_or_b32 exec_lo, exec_lo, s14
.LBB361_1106:                           ;   in Loop: Header=BB361_636 Depth=1
	s_delay_alu instid0(SALU_CYCLE_1) | instskip(SKIP_2) | instid1(VALU_DEP_1)
	s_or_b32 exec_lo, exec_lo, s11
	v_lshrrev_b16 v29, 8, v20
	s_mov_b32 s11, exec_lo
	v_cmpx_ne_u16_e32 0, v29
	s_cbranch_execz .LBB361_1114
; %bb.1107:                             ;   in Loop: Header=BB361_636 Depth=1
	v_bfrev_b32_e32 v28, 1
	s_mov_b32 s14, exec_lo
	v_cmpx_ne_u16_e32 0x80, v29
	s_cbranch_execz .LBB361_1113
; %bb.1108:                             ;   in Loop: Header=BB361_636 Depth=1
	v_and_b32_e32 v29, 0xffff, v29
	v_mov_b32_e32 v28, 0x7f800001
	s_mov_b32 s15, exec_lo
	s_delay_alu instid0(VALU_DEP_2) | instskip(NEXT) | instid1(VALU_DEP_1)
	v_and_b32_e32 v105, 0x7f, v29
	v_cmpx_ne_u32_e32 0x7f, v105
	s_cbranch_execz .LBB361_1112
; %bb.1109:                             ;   in Loop: Header=BB361_636 Depth=1
	v_dual_mov_b32 v29, v21 :: v_dual_bitop2_b32 v28, 7, v29 bitop3:0x40
	v_lshrrev_b32_e32 v101, 3, v105
	s_mov_b32 s16, exec_lo
	v_cmpx_gt_u32_e32 8, v105
; %bb.1110:                             ;   in Loop: Header=BB361_636 Depth=1
	s_delay_alu instid0(VALU_DEP_3) | instskip(NEXT) | instid1(VALU_DEP_1)
	v_clz_i32_u32_e32 v101, v28
	v_min_u32_e32 v101, 32, v101
	s_delay_alu instid0(VALU_DEP_1) | instskip(NEXT) | instid1(VALU_DEP_1)
	v_subrev_nc_u32_e32 v105, 28, v101
	v_lshlrev_b64_e32 v[28:29], v105, v[28:29]
	s_delay_alu instid0(VALU_DEP_1)
	v_dual_sub_nc_u32 v101, 29, v101 :: v_dual_bitop2_b32 v28, 7, v28 bitop3:0x40
; %bb.1111:                             ;   in Loop: Header=BB361_636 Depth=1
	s_or_b32 exec_lo, exec_lo, s16
	v_lshlrev_b32_e32 v20, 16, v20
	s_delay_alu instid0(VALU_DEP_2) | instskip(NEXT) | instid1(VALU_DEP_3)
	v_lshlrev_b32_e32 v28, 20, v28
	v_lshl_add_u32 v29, v101, 23, 0x3c000000
	s_delay_alu instid0(VALU_DEP_3) | instskip(NEXT) | instid1(VALU_DEP_1)
	v_and_b32_e32 v20, 0x80000000, v20
	v_or3_b32 v28, v28, v20, v29
.LBB361_1112:                           ;   in Loop: Header=BB361_636 Depth=1
	s_or_b32 exec_lo, exec_lo, s15
.LBB361_1113:                           ;   in Loop: Header=BB361_636 Depth=1
	s_delay_alu instid0(SALU_CYCLE_1)
	s_or_b32 exec_lo, exec_lo, s14
.LBB361_1114:                           ;   in Loop: Header=BB361_636 Depth=1
	s_delay_alu instid0(SALU_CYCLE_1) | instskip(SKIP_3) | instid1(VALU_DEP_2)
	s_or_b32 exec_lo, exec_lo, s11
	v_dual_lshrrev_b32 v101, 16, v1 :: v_dual_mov_b32 v29, 0
	v_mov_b32_e32 v107, 0
	s_mov_b32 s11, exec_lo
	v_and_b32_e32 v20, 0xff, v101
	s_delay_alu instid0(VALU_DEP_1)
	v_cmpx_ne_u16_e32 0, v20
	s_cbranch_execz .LBB361_1122
; %bb.1115:                             ;   in Loop: Header=BB361_636 Depth=1
	v_bfrev_b32_e32 v107, 1
	s_mov_b32 s14, exec_lo
	v_cmpx_ne_u16_e32 0x80, v20
	s_cbranch_execz .LBB361_1121
; %bb.1116:                             ;   in Loop: Header=BB361_636 Depth=1
	v_bfe_u32 v106, v1, 16, 7
	v_mov_b32_e32 v107, 0x7f800001
	s_mov_b32 s15, exec_lo
	s_delay_alu instid0(VALU_DEP_2)
	v_cmpx_ne_u32_e32 0x7f, v106
	s_cbranch_execz .LBB361_1120
; %bb.1117:                             ;   in Loop: Header=BB361_636 Depth=1
	v_dual_lshrrev_b32 v105, 3, v106 :: v_dual_bitop2_b32 v20, 7, v101 bitop3:0x40
	s_mov_b32 s16, exec_lo
	v_cmpx_gt_u32_e32 8, v106
; %bb.1118:                             ;   in Loop: Header=BB361_636 Depth=1
	s_delay_alu instid0(VALU_DEP_2) | instskip(NEXT) | instid1(VALU_DEP_1)
	v_clz_i32_u32_e32 v105, v20
	v_min_u32_e32 v105, 32, v105
	s_delay_alu instid0(VALU_DEP_1) | instskip(NEXT) | instid1(VALU_DEP_1)
	v_subrev_nc_u32_e32 v106, 28, v105
	v_lshlrev_b64_e32 v[106:107], v106, v[20:21]
	s_delay_alu instid0(VALU_DEP_1)
	v_dual_sub_nc_u32 v105, 29, v105 :: v_dual_bitop2_b32 v20, 7, v106 bitop3:0x40
; %bb.1119:                             ;   in Loop: Header=BB361_636 Depth=1
	s_or_b32 exec_lo, exec_lo, s16
	s_delay_alu instid0(VALU_DEP_1) | instskip(NEXT) | instid1(VALU_DEP_2)
	v_dual_lshlrev_b32 v101, 24, v101 :: v_dual_lshlrev_b32 v20, 20, v20
	v_lshl_add_u32 v105, v105, 23, 0x3c000000
	s_delay_alu instid0(VALU_DEP_2) | instskip(NEXT) | instid1(VALU_DEP_1)
	v_and_b32_e32 v101, 0x80000000, v101
	v_or3_b32 v107, v20, v101, v105
.LBB361_1120:                           ;   in Loop: Header=BB361_636 Depth=1
	s_or_b32 exec_lo, exec_lo, s15
.LBB361_1121:                           ;   in Loop: Header=BB361_636 Depth=1
	s_delay_alu instid0(SALU_CYCLE_1)
	s_or_b32 exec_lo, exec_lo, s14
.LBB361_1122:                           ;   in Loop: Header=BB361_636 Depth=1
	s_delay_alu instid0(SALU_CYCLE_1) | instskip(NEXT) | instid1(SALU_CYCLE_1)
	s_or_b32 exec_lo, exec_lo, s11
	s_mov_b32 s11, exec_lo
	v_cmpx_lt_u64_e64 s[2:3], v[0:1]
	s_cbranch_execz .LBB361_1130
; %bb.1123:                             ;   in Loop: Header=BB361_636 Depth=1
	v_lshrrev_b32_e32 v0, 24, v1
	v_bfrev_b32_e32 v29, 1
	s_mov_b32 s14, exec_lo
	s_delay_alu instid0(VALU_DEP_2)
	v_cmpx_ne_u32_e32 0x80, v0
	s_cbranch_execz .LBB361_1129
; %bb.1124:                             ;   in Loop: Header=BB361_636 Depth=1
	v_bfe_u32 v101, v1, 24, 7
	v_mov_b32_e32 v29, 0x7f800001
	s_mov_b32 s15, exec_lo
	s_delay_alu instid0(VALU_DEP_2)
	v_cmpx_ne_u32_e32 0x7f, v101
	s_cbranch_execz .LBB361_1128
; %bb.1125:                             ;   in Loop: Header=BB361_636 Depth=1
	v_dual_lshrrev_b32 v1, 3, v101 :: v_dual_bitop2_b32 v20, 7, v0 bitop3:0x40
	s_mov_b32 s16, exec_lo
	v_cmpx_gt_u32_e32 8, v101
; %bb.1126:                             ;   in Loop: Header=BB361_636 Depth=1
	s_delay_alu instid0(VALU_DEP_2) | instskip(NEXT) | instid1(VALU_DEP_1)
	v_clz_i32_u32_e32 v1, v20
	v_min_u32_e32 v1, 32, v1
	s_delay_alu instid0(VALU_DEP_1) | instskip(NEXT) | instid1(VALU_DEP_1)
	v_subrev_nc_u32_e32 v29, 28, v1
	v_lshlrev_b64_e32 v[108:109], v29, v[20:21]
	s_delay_alu instid0(VALU_DEP_1)
	v_dual_sub_nc_u32 v1, 29, v1 :: v_dual_bitop2_b32 v20, 7, v108 bitop3:0x40
; %bb.1127:                             ;   in Loop: Header=BB361_636 Depth=1
	s_or_b32 exec_lo, exec_lo, s16
	v_lshlrev_b32_e32 v0, 24, v0
	s_delay_alu instid0(VALU_DEP_2) | instskip(NEXT) | instid1(VALU_DEP_3)
	v_lshlrev_b32_e32 v20, 20, v20
	v_lshl_add_u32 v1, v1, 23, 0x3c000000
	s_delay_alu instid0(VALU_DEP_3) | instskip(NEXT) | instid1(VALU_DEP_1)
	v_and_b32_e32 v0, 0x80000000, v0
	v_or3_b32 v29, v20, v0, v1
.LBB361_1128:                           ;   in Loop: Header=BB361_636 Depth=1
	s_or_b32 exec_lo, exec_lo, s15
.LBB361_1129:                           ;   in Loop: Header=BB361_636 Depth=1
	s_delay_alu instid0(SALU_CYCLE_1)
	s_or_b32 exec_lo, exec_lo, s14
.LBB361_1130:                           ;   in Loop: Header=BB361_636 Depth=1
	s_delay_alu instid0(SALU_CYCLE_1)
	s_or_b32 exec_lo, exec_lo, s11
	v_fma_mixlo_bf16 v101, s6, v28, 0
	v_fma_mixlo_bf16 v102, s6, v102, 0
	;; [unrolled: 1-line block ×8, first 2 shown]
	s_and_saveexec_b32 s11, vcc_lo
	s_cbranch_execz .LBB361_1132
; %bb.1131:                             ;   in Loop: Header=BB361_636 Depth=1
	v_cmp_gt_i32_e64 s0, s25, v44
	s_delay_alu instid0(VALU_DEP_1) | instskip(SKIP_1) | instid1(VALU_DEP_1)
	v_cndmask_b32_e64 v106, 0, v106, s0
	v_cmp_gt_i32_e64 s0, s25, v50
	v_cndmask_b32_e64 v105, 0, v105, s0
	v_cmp_gt_i32_e64 s0, s25, v49
	s_delay_alu instid0(VALU_DEP_1) | instskip(SKIP_1) | instid1(VALU_DEP_1)
	v_cndmask_b32_e64 v104, 0, v104, s0
	v_cmp_gt_i32_e64 s0, s25, v48
	v_cndmask_b32_e64 v103, 0, v103, s0
	;; [unrolled: 5-line block ×4, first 2 shown]
.LBB361_1132:                           ;   in Loop: Header=BB361_636 Depth=1
	s_or_b32 exec_lo, exec_lo, s11
	global_load_b64 v[0:1], v[26:27], off offset:2048
	v_dual_mov_b32 v111, 0 :: v_dual_mov_b32 v112, 0
	s_mov_b32 s11, exec_lo
	s_wait_loadcnt 0x0
	v_and_b32_e32 v20, 0xff, v0
	s_delay_alu instid0(VALU_DEP_1)
	v_cmpx_ne_u16_e32 0, v20
	s_cbranch_execz .LBB361_1138
; %bb.1133:                             ;   in Loop: Header=BB361_636 Depth=1
	v_bfrev_b32_e32 v112, 1
	s_mov_b32 s14, exec_lo
	v_cmpx_ne_u16_e32 0x80, v20
	s_cbranch_execz .LBB361_1137
; %bb.1134:                             ;   in Loop: Header=BB361_636 Depth=1
	v_and_b32_e32 v20, 0x7f, v0
	v_mov_b32_e32 v112, 0x7f800001
	s_mov_b32 s15, exec_lo
	s_delay_alu instid0(VALU_DEP_2)
	v_cmpx_ne_u32_e32 0x7f, v20
	s_cbranch_execz .LBB361_1136
; %bb.1135:                             ;   in Loop: Header=BB361_636 Depth=1
	v_and_b32_e32 v28, 7, v0
	v_cmp_gt_u32_e64 s0, 8, v20
	s_delay_alu instid0(VALU_DEP_2) | instskip(NEXT) | instid1(VALU_DEP_1)
	v_clz_i32_u32_e32 v28, v28
	v_min_u32_e32 v28, 32, v28
	s_delay_alu instid0(VALU_DEP_1) | instskip(SKIP_2) | instid1(VALU_DEP_1)
	v_subrev_nc_u32_e32 v107, 28, v28
	v_lshrrev_b32_e32 v29, 3, v20
	v_sub_nc_u32_e32 v28, 29, v28
	v_dual_cndmask_b32 v20, v29, v28, s0 :: v_dual_cndmask_b32 v28, 0, v107, s0
	s_delay_alu instid0(VALU_DEP_1) | instskip(SKIP_1) | instid1(VALU_DEP_1)
	v_lshlrev_b64_e32 v[28:29], v28, v[0:1]
	v_lshlrev_b32_e32 v29, 24, v0
	v_and_b32_e32 v29, 0x80000000, v29
	s_delay_alu instid0(VALU_DEP_3) | instskip(SKIP_1) | instid1(VALU_DEP_2)
	v_lshlrev_b32_e32 v28, 20, v28
	v_lshl_add_u32 v20, v20, 23, 0x3c000000
	v_and_b32_e32 v28, 0x700000, v28
	s_delay_alu instid0(VALU_DEP_1)
	v_or3_b32 v112, v28, v29, v20
.LBB361_1136:                           ;   in Loop: Header=BB361_636 Depth=1
	s_or_b32 exec_lo, exec_lo, s15
.LBB361_1137:                           ;   in Loop: Header=BB361_636 Depth=1
	s_delay_alu instid0(SALU_CYCLE_1)
	s_or_b32 exec_lo, exec_lo, s14
.LBB361_1138:                           ;   in Loop: Header=BB361_636 Depth=1
	s_delay_alu instid0(SALU_CYCLE_1) | instskip(SKIP_2) | instid1(VALU_DEP_1)
	s_or_b32 exec_lo, exec_lo, s11
	v_lshrrev_b16 v20, 8, v0
	s_mov_b32 s11, exec_lo
	v_cmpx_ne_u16_e32 0, v20
	s_cbranch_execz .LBB361_1146
; %bb.1139:                             ;   in Loop: Header=BB361_636 Depth=1
	v_bfrev_b32_e32 v111, 1
	s_mov_b32 s14, exec_lo
	v_cmpx_ne_u16_e32 0x80, v20
	s_cbranch_execz .LBB361_1145
; %bb.1140:                             ;   in Loop: Header=BB361_636 Depth=1
	v_and_b32_e32 v20, 0xffff, v20
	v_mov_b32_e32 v111, 0x7f800001
	s_mov_b32 s15, exec_lo
	s_delay_alu instid0(VALU_DEP_2) | instskip(NEXT) | instid1(VALU_DEP_1)
	v_and_b32_e32 v29, 0x7f, v20
	v_cmpx_ne_u32_e32 0x7f, v29
	s_cbranch_execz .LBB361_1144
; %bb.1141:                             ;   in Loop: Header=BB361_636 Depth=1
	v_dual_lshrrev_b32 v28, 3, v29 :: v_dual_bitop2_b32 v20, 7, v20 bitop3:0x40
	s_mov_b32 s16, exec_lo
	v_cmpx_gt_u32_e32 8, v29
; %bb.1142:                             ;   in Loop: Header=BB361_636 Depth=1
	s_delay_alu instid0(VALU_DEP_2) | instskip(NEXT) | instid1(VALU_DEP_1)
	v_clz_i32_u32_e32 v28, v20
	v_min_u32_e32 v28, 32, v28
	s_delay_alu instid0(VALU_DEP_1) | instskip(SKIP_1) | instid1(VALU_DEP_2)
	v_subrev_nc_u32_e32 v29, 28, v28
	v_sub_nc_u32_e32 v28, 29, v28
	v_lshlrev_b64_e32 v[108:109], v29, v[20:21]
	s_delay_alu instid0(VALU_DEP_1)
	v_and_b32_e32 v20, 7, v108
; %bb.1143:                             ;   in Loop: Header=BB361_636 Depth=1
	s_or_b32 exec_lo, exec_lo, s16
	v_lshlrev_b32_e32 v29, 16, v0
	s_delay_alu instid0(VALU_DEP_2) | instskip(SKIP_1) | instid1(VALU_DEP_3)
	v_lshlrev_b32_e32 v20, 20, v20
	v_lshl_add_u32 v28, v28, 23, 0x3c000000
	v_and_b32_e32 v29, 0x80000000, v29
	s_delay_alu instid0(VALU_DEP_1)
	v_or3_b32 v111, v20, v29, v28
.LBB361_1144:                           ;   in Loop: Header=BB361_636 Depth=1
	s_or_b32 exec_lo, exec_lo, s15
.LBB361_1145:                           ;   in Loop: Header=BB361_636 Depth=1
	s_delay_alu instid0(SALU_CYCLE_1)
	s_or_b32 exec_lo, exec_lo, s14
.LBB361_1146:                           ;   in Loop: Header=BB361_636 Depth=1
	s_delay_alu instid0(SALU_CYCLE_1) | instskip(SKIP_3) | instid1(VALU_DEP_2)
	s_or_b32 exec_lo, exec_lo, s11
	v_dual_mov_b32 v109, 0 :: v_dual_lshrrev_b32 v28, 16, v0
	v_mov_b32_e32 v110, 0
	s_mov_b32 s11, exec_lo
	v_and_b32_e32 v20, 0xff, v28
	s_delay_alu instid0(VALU_DEP_1)
	v_cmpx_ne_u16_e32 0, v20
	s_cbranch_execz .LBB361_1154
; %bb.1147:                             ;   in Loop: Header=BB361_636 Depth=1
	v_bfrev_b32_e32 v110, 1
	s_mov_b32 s14, exec_lo
	v_cmpx_ne_u16_e32 0x80, v20
	s_cbranch_execz .LBB361_1153
; %bb.1148:                             ;   in Loop: Header=BB361_636 Depth=1
	v_bfe_u32 v107, v0, 16, 7
	v_mov_b32_e32 v110, 0x7f800001
	s_mov_b32 s15, exec_lo
	s_delay_alu instid0(VALU_DEP_2)
	v_cmpx_ne_u32_e32 0x7f, v107
	s_cbranch_execz .LBB361_1152
; %bb.1149:                             ;   in Loop: Header=BB361_636 Depth=1
	v_dual_lshrrev_b32 v29, 3, v107 :: v_dual_bitop2_b32 v20, 7, v28 bitop3:0x40
	s_mov_b32 s16, exec_lo
	v_cmpx_gt_u32_e32 8, v107
; %bb.1150:                             ;   in Loop: Header=BB361_636 Depth=1
	s_delay_alu instid0(VALU_DEP_2) | instskip(NEXT) | instid1(VALU_DEP_1)
	v_clz_i32_u32_e32 v29, v20
	v_min_u32_e32 v29, 32, v29
	s_delay_alu instid0(VALU_DEP_1) | instskip(NEXT) | instid1(VALU_DEP_1)
	v_subrev_nc_u32_e32 v107, 28, v29
	v_lshlrev_b64_e32 v[114:115], v107, v[20:21]
	s_delay_alu instid0(VALU_DEP_1)
	v_dual_sub_nc_u32 v29, 29, v29 :: v_dual_bitop2_b32 v20, 7, v114 bitop3:0x40
; %bb.1151:                             ;   in Loop: Header=BB361_636 Depth=1
	s_or_b32 exec_lo, exec_lo, s16
	v_lshlrev_b32_e32 v28, 24, v28
	s_delay_alu instid0(VALU_DEP_2) | instskip(NEXT) | instid1(VALU_DEP_3)
	v_lshlrev_b32_e32 v20, 20, v20
	v_lshl_add_u32 v29, v29, 23, 0x3c000000
	s_delay_alu instid0(VALU_DEP_3) | instskip(NEXT) | instid1(VALU_DEP_1)
	v_and_b32_e32 v28, 0x80000000, v28
	v_or3_b32 v110, v20, v28, v29
.LBB361_1152:                           ;   in Loop: Header=BB361_636 Depth=1
	s_or_b32 exec_lo, exec_lo, s15
.LBB361_1153:                           ;   in Loop: Header=BB361_636 Depth=1
	s_delay_alu instid0(SALU_CYCLE_1)
	s_or_b32 exec_lo, exec_lo, s14
.LBB361_1154:                           ;   in Loop: Header=BB361_636 Depth=1
	s_delay_alu instid0(SALU_CYCLE_1) | instskip(NEXT) | instid1(SALU_CYCLE_1)
	s_or_b32 exec_lo, exec_lo, s11
	s_mov_b32 s11, exec_lo
	v_cmpx_lt_u32_e32 0xffffff, v0
	s_cbranch_execz .LBB361_1162
; %bb.1155:                             ;   in Loop: Header=BB361_636 Depth=1
	v_lshrrev_b32_e32 v28, 24, v0
	v_bfrev_b32_e32 v109, 1
	s_mov_b32 s14, exec_lo
	s_delay_alu instid0(VALU_DEP_2)
	v_cmpx_ne_u32_e32 0x80, v28
	s_cbranch_execz .LBB361_1161
; %bb.1156:                             ;   in Loop: Header=BB361_636 Depth=1
	v_bfe_u32 v107, v0, 24, 7
	v_mov_b32_e32 v109, 0x7f800001
	s_mov_b32 s15, exec_lo
	s_delay_alu instid0(VALU_DEP_2)
	v_cmpx_ne_u32_e32 0x7f, v107
	s_cbranch_execz .LBB361_1160
; %bb.1157:                             ;   in Loop: Header=BB361_636 Depth=1
	v_dual_lshrrev_b32 v29, 3, v107 :: v_dual_bitop2_b32 v20, 7, v28 bitop3:0x40
	s_mov_b32 s16, exec_lo
	v_cmpx_gt_u32_e32 8, v107
; %bb.1158:                             ;   in Loop: Header=BB361_636 Depth=1
	s_delay_alu instid0(VALU_DEP_2) | instskip(NEXT) | instid1(VALU_DEP_1)
	v_clz_i32_u32_e32 v29, v20
	v_min_u32_e32 v29, 32, v29
	s_delay_alu instid0(VALU_DEP_1) | instskip(NEXT) | instid1(VALU_DEP_1)
	v_subrev_nc_u32_e32 v107, 28, v29
	v_lshlrev_b64_e32 v[108:109], v107, v[20:21]
	s_delay_alu instid0(VALU_DEP_1)
	v_dual_sub_nc_u32 v29, 29, v29 :: v_dual_bitop2_b32 v20, 7, v108 bitop3:0x40
; %bb.1159:                             ;   in Loop: Header=BB361_636 Depth=1
	s_or_b32 exec_lo, exec_lo, s16
	v_lshlrev_b32_e32 v28, 24, v28
	s_delay_alu instid0(VALU_DEP_2) | instskip(NEXT) | instid1(VALU_DEP_3)
	v_lshlrev_b32_e32 v20, 20, v20
	v_lshl_add_u32 v29, v29, 23, 0x3c000000
	s_delay_alu instid0(VALU_DEP_3) | instskip(NEXT) | instid1(VALU_DEP_1)
	v_and_b32_e32 v28, 0x80000000, v28
	v_or3_b32 v109, v20, v28, v29
.LBB361_1160:                           ;   in Loop: Header=BB361_636 Depth=1
	s_or_b32 exec_lo, exec_lo, s15
.LBB361_1161:                           ;   in Loop: Header=BB361_636 Depth=1
	s_delay_alu instid0(SALU_CYCLE_1)
	s_or_b32 exec_lo, exec_lo, s14
.LBB361_1162:                           ;   in Loop: Header=BB361_636 Depth=1
	s_delay_alu instid0(SALU_CYCLE_1) | instskip(SKIP_4) | instid1(VALU_DEP_3)
	s_or_b32 exec_lo, exec_lo, s11
	v_and_b32_e32 v29, 0xff, v1
	v_dual_mov_b32 v20, v1 :: v_dual_mov_b32 v28, 0
	v_mov_b32_e32 v108, 0
	s_mov_b32 s11, exec_lo
	v_cmpx_ne_u16_e32 0, v29
	s_cbranch_execz .LBB361_1168
; %bb.1163:                             ;   in Loop: Header=BB361_636 Depth=1
	v_bfrev_b32_e32 v108, 1
	s_mov_b32 s14, exec_lo
	v_cmpx_ne_u16_e32 0x80, v29
	s_cbranch_execz .LBB361_1167
; %bb.1164:                             ;   in Loop: Header=BB361_636 Depth=1
	v_and_b32_e32 v29, 0x7f, v1
	v_mov_b32_e32 v108, 0x7f800001
	s_mov_b32 s15, exec_lo
	s_delay_alu instid0(VALU_DEP_2)
	v_cmpx_ne_u32_e32 0x7f, v29
	s_cbranch_execz .LBB361_1166
; %bb.1165:                             ;   in Loop: Header=BB361_636 Depth=1
	v_and_b32_e32 v107, 7, v1
	v_cmp_gt_u32_e64 s0, 8, v29
	s_delay_alu instid0(VALU_DEP_2) | instskip(NEXT) | instid1(VALU_DEP_1)
	v_clz_i32_u32_e32 v107, v107
	v_min_u32_e32 v107, 32, v107
	v_lshrrev_b32_e32 v108, 3, v29
	s_delay_alu instid0(VALU_DEP_2) | instskip(SKIP_1) | instid1(VALU_DEP_1)
	v_subrev_nc_u32_e32 v113, 28, v107
	v_sub_nc_u32_e32 v107, 29, v107
	v_dual_cndmask_b32 v29, v108, v107, s0 :: v_dual_cndmask_b32 v107, 0, v113, s0
	s_delay_alu instid0(VALU_DEP_1) | instskip(NEXT) | instid1(VALU_DEP_2)
	v_lshl_add_u32 v29, v29, 23, 0x3c000000
	v_lshlrev_b64_e32 v[114:115], v107, v[20:21]
	v_lshlrev_b32_e32 v107, 24, v20
	s_delay_alu instid0(VALU_DEP_1) | instskip(NEXT) | instid1(VALU_DEP_3)
	v_and_b32_e32 v107, 0x80000000, v107
	v_lshlrev_b32_e32 v108, 20, v114
	s_delay_alu instid0(VALU_DEP_1) | instskip(NEXT) | instid1(VALU_DEP_1)
	v_and_b32_e32 v108, 0x700000, v108
	v_or3_b32 v108, v108, v107, v29
.LBB361_1166:                           ;   in Loop: Header=BB361_636 Depth=1
	s_or_b32 exec_lo, exec_lo, s15
.LBB361_1167:                           ;   in Loop: Header=BB361_636 Depth=1
	s_delay_alu instid0(SALU_CYCLE_1)
	s_or_b32 exec_lo, exec_lo, s14
.LBB361_1168:                           ;   in Loop: Header=BB361_636 Depth=1
	s_delay_alu instid0(SALU_CYCLE_1) | instskip(SKIP_2) | instid1(VALU_DEP_1)
	s_or_b32 exec_lo, exec_lo, s11
	v_lshrrev_b16 v29, 8, v20
	s_mov_b32 s11, exec_lo
	v_cmpx_ne_u16_e32 0, v29
	s_cbranch_execz .LBB361_1176
; %bb.1169:                             ;   in Loop: Header=BB361_636 Depth=1
	v_bfrev_b32_e32 v28, 1
	s_mov_b32 s14, exec_lo
	v_cmpx_ne_u16_e32 0x80, v29
	s_cbranch_execz .LBB361_1175
; %bb.1170:                             ;   in Loop: Header=BB361_636 Depth=1
	v_and_b32_e32 v29, 0xffff, v29
	v_mov_b32_e32 v28, 0x7f800001
	s_mov_b32 s15, exec_lo
	s_delay_alu instid0(VALU_DEP_2) | instskip(NEXT) | instid1(VALU_DEP_1)
	v_and_b32_e32 v113, 0x7f, v29
	v_cmpx_ne_u32_e32 0x7f, v113
	s_cbranch_execz .LBB361_1174
; %bb.1171:                             ;   in Loop: Header=BB361_636 Depth=1
	v_dual_mov_b32 v29, v21 :: v_dual_bitop2_b32 v28, 7, v29 bitop3:0x40
	v_lshrrev_b32_e32 v107, 3, v113
	s_mov_b32 s16, exec_lo
	v_cmpx_gt_u32_e32 8, v113
; %bb.1172:                             ;   in Loop: Header=BB361_636 Depth=1
	s_delay_alu instid0(VALU_DEP_3) | instskip(NEXT) | instid1(VALU_DEP_1)
	v_clz_i32_u32_e32 v107, v28
	v_min_u32_e32 v107, 32, v107
	s_delay_alu instid0(VALU_DEP_1) | instskip(NEXT) | instid1(VALU_DEP_1)
	v_subrev_nc_u32_e32 v113, 28, v107
	v_lshlrev_b64_e32 v[28:29], v113, v[28:29]
	s_delay_alu instid0(VALU_DEP_1)
	v_dual_sub_nc_u32 v107, 29, v107 :: v_dual_bitop2_b32 v28, 7, v28 bitop3:0x40
; %bb.1173:                             ;   in Loop: Header=BB361_636 Depth=1
	s_or_b32 exec_lo, exec_lo, s16
	v_lshlrev_b32_e32 v20, 16, v20
	s_delay_alu instid0(VALU_DEP_2) | instskip(NEXT) | instid1(VALU_DEP_3)
	v_lshlrev_b32_e32 v28, 20, v28
	v_lshl_add_u32 v29, v107, 23, 0x3c000000
	s_delay_alu instid0(VALU_DEP_3) | instskip(NEXT) | instid1(VALU_DEP_1)
	v_and_b32_e32 v20, 0x80000000, v20
	v_or3_b32 v28, v28, v20, v29
.LBB361_1174:                           ;   in Loop: Header=BB361_636 Depth=1
	s_or_b32 exec_lo, exec_lo, s15
.LBB361_1175:                           ;   in Loop: Header=BB361_636 Depth=1
	s_delay_alu instid0(SALU_CYCLE_1)
	s_or_b32 exec_lo, exec_lo, s14
.LBB361_1176:                           ;   in Loop: Header=BB361_636 Depth=1
	s_delay_alu instid0(SALU_CYCLE_1) | instskip(SKIP_3) | instid1(VALU_DEP_2)
	s_or_b32 exec_lo, exec_lo, s11
	v_dual_lshrrev_b32 v107, 16, v1 :: v_dual_mov_b32 v29, 0
	v_mov_b32_e32 v113, 0
	s_mov_b32 s11, exec_lo
	v_and_b32_e32 v20, 0xff, v107
	s_delay_alu instid0(VALU_DEP_1)
	v_cmpx_ne_u16_e32 0, v20
	s_cbranch_execz .LBB361_1184
; %bb.1177:                             ;   in Loop: Header=BB361_636 Depth=1
	v_bfrev_b32_e32 v113, 1
	s_mov_b32 s14, exec_lo
	v_cmpx_ne_u16_e32 0x80, v20
	s_cbranch_execz .LBB361_1183
; %bb.1178:                             ;   in Loop: Header=BB361_636 Depth=1
	v_bfe_u32 v114, v1, 16, 7
	v_mov_b32_e32 v113, 0x7f800001
	s_mov_b32 s15, exec_lo
	s_delay_alu instid0(VALU_DEP_2)
	v_cmpx_ne_u32_e32 0x7f, v114
	s_cbranch_execz .LBB361_1182
; %bb.1179:                             ;   in Loop: Header=BB361_636 Depth=1
	v_dual_lshrrev_b32 v113, 3, v114 :: v_dual_bitop2_b32 v20, 7, v107 bitop3:0x40
	s_mov_b32 s16, exec_lo
	v_cmpx_gt_u32_e32 8, v114
; %bb.1180:                             ;   in Loop: Header=BB361_636 Depth=1
	s_delay_alu instid0(VALU_DEP_2) | instskip(NEXT) | instid1(VALU_DEP_1)
	v_clz_i32_u32_e32 v113, v20
	v_min_u32_e32 v113, 32, v113
	s_delay_alu instid0(VALU_DEP_1) | instskip(NEXT) | instid1(VALU_DEP_1)
	v_subrev_nc_u32_e32 v114, 28, v113
	v_lshlrev_b64_e32 v[114:115], v114, v[20:21]
	s_delay_alu instid0(VALU_DEP_1)
	v_dual_sub_nc_u32 v113, 29, v113 :: v_dual_bitop2_b32 v20, 7, v114 bitop3:0x40
; %bb.1181:                             ;   in Loop: Header=BB361_636 Depth=1
	s_or_b32 exec_lo, exec_lo, s16
	s_delay_alu instid0(VALU_DEP_1) | instskip(NEXT) | instid1(VALU_DEP_2)
	v_dual_lshlrev_b32 v107, 24, v107 :: v_dual_lshlrev_b32 v20, 20, v20
	v_lshl_add_u32 v113, v113, 23, 0x3c000000
	s_delay_alu instid0(VALU_DEP_2) | instskip(NEXT) | instid1(VALU_DEP_1)
	v_and_b32_e32 v107, 0x80000000, v107
	v_or3_b32 v113, v20, v107, v113
.LBB361_1182:                           ;   in Loop: Header=BB361_636 Depth=1
	s_or_b32 exec_lo, exec_lo, s15
.LBB361_1183:                           ;   in Loop: Header=BB361_636 Depth=1
	s_delay_alu instid0(SALU_CYCLE_1)
	s_or_b32 exec_lo, exec_lo, s14
.LBB361_1184:                           ;   in Loop: Header=BB361_636 Depth=1
	s_delay_alu instid0(SALU_CYCLE_1) | instskip(NEXT) | instid1(SALU_CYCLE_1)
	s_or_b32 exec_lo, exec_lo, s11
	s_mov_b32 s11, exec_lo
	v_cmpx_lt_u64_e64 s[2:3], v[0:1]
	s_cbranch_execz .LBB361_1192
; %bb.1185:                             ;   in Loop: Header=BB361_636 Depth=1
	v_lshrrev_b32_e32 v0, 24, v1
	v_bfrev_b32_e32 v29, 1
	s_mov_b32 s14, exec_lo
	s_delay_alu instid0(VALU_DEP_2)
	v_cmpx_ne_u32_e32 0x80, v0
	s_cbranch_execz .LBB361_1191
; %bb.1186:                             ;   in Loop: Header=BB361_636 Depth=1
	v_bfe_u32 v107, v1, 24, 7
	v_mov_b32_e32 v29, 0x7f800001
	s_mov_b32 s15, exec_lo
	s_delay_alu instid0(VALU_DEP_2)
	v_cmpx_ne_u32_e32 0x7f, v107
	s_cbranch_execz .LBB361_1190
; %bb.1187:                             ;   in Loop: Header=BB361_636 Depth=1
	v_dual_lshrrev_b32 v1, 3, v107 :: v_dual_bitop2_b32 v20, 7, v0 bitop3:0x40
	s_mov_b32 s16, exec_lo
	v_cmpx_gt_u32_e32 8, v107
; %bb.1188:                             ;   in Loop: Header=BB361_636 Depth=1
	s_delay_alu instid0(VALU_DEP_2) | instskip(NEXT) | instid1(VALU_DEP_1)
	v_clz_i32_u32_e32 v1, v20
	v_min_u32_e32 v1, 32, v1
	s_delay_alu instid0(VALU_DEP_1) | instskip(NEXT) | instid1(VALU_DEP_1)
	v_subrev_nc_u32_e32 v29, 28, v1
	v_lshlrev_b64_e32 v[114:115], v29, v[20:21]
	s_delay_alu instid0(VALU_DEP_1)
	v_dual_sub_nc_u32 v1, 29, v1 :: v_dual_bitop2_b32 v20, 7, v114 bitop3:0x40
; %bb.1189:                             ;   in Loop: Header=BB361_636 Depth=1
	s_or_b32 exec_lo, exec_lo, s16
	v_lshlrev_b32_e32 v0, 24, v0
	s_delay_alu instid0(VALU_DEP_2) | instskip(NEXT) | instid1(VALU_DEP_3)
	v_lshlrev_b32_e32 v20, 20, v20
	v_lshl_add_u32 v1, v1, 23, 0x3c000000
	s_delay_alu instid0(VALU_DEP_3) | instskip(NEXT) | instid1(VALU_DEP_1)
	v_and_b32_e32 v0, 0x80000000, v0
	v_or3_b32 v29, v20, v0, v1
.LBB361_1190:                           ;   in Loop: Header=BB361_636 Depth=1
	s_or_b32 exec_lo, exec_lo, s15
.LBB361_1191:                           ;   in Loop: Header=BB361_636 Depth=1
	s_delay_alu instid0(SALU_CYCLE_1)
	s_or_b32 exec_lo, exec_lo, s14
.LBB361_1192:                           ;   in Loop: Header=BB361_636 Depth=1
	s_delay_alu instid0(SALU_CYCLE_1)
	s_or_b32 exec_lo, exec_lo, s11
	v_fma_mixlo_bf16 v107, s6, v28, 0
	v_fma_mixlo_bf16 v108, s6, v108, 0
	;; [unrolled: 1-line block ×8, first 2 shown]
	s_and_saveexec_b32 s11, vcc_lo
	s_cbranch_execz .LBB361_1194
; %bb.1193:                             ;   in Loop: Header=BB361_636 Depth=1
	v_cmp_gt_i32_e64 s0, s25, v44
	s_delay_alu instid0(VALU_DEP_1) | instskip(SKIP_1) | instid1(VALU_DEP_1)
	v_cndmask_b32_e64 v112, 0, v112, s0
	v_cmp_gt_i32_e64 s0, s25, v50
	v_cndmask_b32_e64 v111, 0, v111, s0
	v_cmp_gt_i32_e64 s0, s25, v49
	s_delay_alu instid0(VALU_DEP_1) | instskip(SKIP_1) | instid1(VALU_DEP_1)
	v_cndmask_b32_e64 v110, 0, v110, s0
	v_cmp_gt_i32_e64 s0, s25, v48
	v_cndmask_b32_e64 v109, 0, v109, s0
	;; [unrolled: 5-line block ×4, first 2 shown]
.LBB361_1194:                           ;   in Loop: Header=BB361_636 Depth=1
	s_or_b32 exec_lo, exec_lo, s11
	global_load_b64 v[0:1], v[26:27], off offset:2304
	v_dual_mov_b32 v114, 0 :: v_dual_mov_b32 v113, 0
	s_mov_b32 s11, exec_lo
	s_wait_loadcnt 0x0
	v_and_b32_e32 v20, 0xff, v0
	s_delay_alu instid0(VALU_DEP_1)
	v_cmpx_ne_u16_e32 0, v20
	s_cbranch_execz .LBB361_1200
; %bb.1195:                             ;   in Loop: Header=BB361_636 Depth=1
	v_bfrev_b32_e32 v113, 1
	s_mov_b32 s14, exec_lo
	v_cmpx_ne_u16_e32 0x80, v20
	s_cbranch_execz .LBB361_1199
; %bb.1196:                             ;   in Loop: Header=BB361_636 Depth=1
	v_and_b32_e32 v20, 0x7f, v0
	v_mov_b32_e32 v113, 0x7f800001
	s_mov_b32 s15, exec_lo
	s_delay_alu instid0(VALU_DEP_2)
	v_cmpx_ne_u32_e32 0x7f, v20
	s_cbranch_execz .LBB361_1198
; %bb.1197:                             ;   in Loop: Header=BB361_636 Depth=1
	v_and_b32_e32 v26, 7, v0
	v_cmp_gt_u32_e64 s0, 8, v20
	s_delay_alu instid0(VALU_DEP_2) | instskip(NEXT) | instid1(VALU_DEP_1)
	v_clz_i32_u32_e32 v26, v26
	v_min_u32_e32 v26, 32, v26
	v_lshrrev_b32_e32 v27, 3, v20
	s_delay_alu instid0(VALU_DEP_2) | instskip(SKIP_1) | instid1(VALU_DEP_1)
	v_subrev_nc_u32_e32 v113, 28, v26
	v_sub_nc_u32_e32 v26, 29, v26
	v_dual_cndmask_b32 v20, v27, v26, s0 :: v_dual_cndmask_b32 v26, 0, v113, s0
	s_delay_alu instid0(VALU_DEP_1) | instskip(NEXT) | instid1(VALU_DEP_2)
	v_lshl_add_u32 v20, v20, 23, 0x3c000000
	v_lshlrev_b64_e32 v[26:27], v26, v[0:1]
	v_lshlrev_b32_e32 v27, 24, v0
	s_delay_alu instid0(VALU_DEP_1) | instskip(NEXT) | instid1(VALU_DEP_3)
	v_and_b32_e32 v27, 0x80000000, v27
	v_lshlrev_b32_e32 v26, 20, v26
	s_delay_alu instid0(VALU_DEP_1) | instskip(NEXT) | instid1(VALU_DEP_1)
	v_and_b32_e32 v26, 0x700000, v26
	v_or3_b32 v113, v26, v27, v20
.LBB361_1198:                           ;   in Loop: Header=BB361_636 Depth=1
	s_or_b32 exec_lo, exec_lo, s15
.LBB361_1199:                           ;   in Loop: Header=BB361_636 Depth=1
	s_delay_alu instid0(SALU_CYCLE_1)
	s_or_b32 exec_lo, exec_lo, s14
.LBB361_1200:                           ;   in Loop: Header=BB361_636 Depth=1
	s_delay_alu instid0(SALU_CYCLE_1) | instskip(SKIP_2) | instid1(VALU_DEP_1)
	s_or_b32 exec_lo, exec_lo, s11
	v_lshrrev_b16 v20, 8, v0
	s_mov_b32 s11, exec_lo
	v_cmpx_ne_u16_e32 0, v20
	s_cbranch_execz .LBB361_1208
; %bb.1201:                             ;   in Loop: Header=BB361_636 Depth=1
	v_bfrev_b32_e32 v114, 1
	s_mov_b32 s14, exec_lo
	v_cmpx_ne_u16_e32 0x80, v20
	s_cbranch_execz .LBB361_1207
; %bb.1202:                             ;   in Loop: Header=BB361_636 Depth=1
	v_and_b32_e32 v20, 0xffff, v20
	v_mov_b32_e32 v114, 0x7f800001
	s_mov_b32 s15, exec_lo
	s_delay_alu instid0(VALU_DEP_2) | instskip(NEXT) | instid1(VALU_DEP_1)
	v_and_b32_e32 v27, 0x7f, v20
	v_cmpx_ne_u32_e32 0x7f, v27
	s_cbranch_execz .LBB361_1206
; %bb.1203:                             ;   in Loop: Header=BB361_636 Depth=1
	v_dual_lshrrev_b32 v26, 3, v27 :: v_dual_bitop2_b32 v20, 7, v20 bitop3:0x40
	s_mov_b32 s16, exec_lo
	v_cmpx_gt_u32_e32 8, v27
; %bb.1204:                             ;   in Loop: Header=BB361_636 Depth=1
	s_delay_alu instid0(VALU_DEP_2) | instskip(NEXT) | instid1(VALU_DEP_1)
	v_clz_i32_u32_e32 v26, v20
	v_min_u32_e32 v26, 32, v26
	s_delay_alu instid0(VALU_DEP_1) | instskip(SKIP_1) | instid1(VALU_DEP_2)
	v_subrev_nc_u32_e32 v27, 28, v26
	v_sub_nc_u32_e32 v26, 29, v26
	v_lshlrev_b64_e32 v[114:115], v27, v[20:21]
	s_delay_alu instid0(VALU_DEP_1)
	v_and_b32_e32 v20, 7, v114
; %bb.1205:                             ;   in Loop: Header=BB361_636 Depth=1
	s_or_b32 exec_lo, exec_lo, s16
	v_lshlrev_b32_e32 v27, 16, v0
	s_delay_alu instid0(VALU_DEP_2) | instskip(SKIP_1) | instid1(VALU_DEP_3)
	v_lshlrev_b32_e32 v20, 20, v20
	v_lshl_add_u32 v26, v26, 23, 0x3c000000
	v_and_b32_e32 v27, 0x80000000, v27
	s_delay_alu instid0(VALU_DEP_1)
	v_or3_b32 v114, v20, v27, v26
.LBB361_1206:                           ;   in Loop: Header=BB361_636 Depth=1
	s_or_b32 exec_lo, exec_lo, s15
.LBB361_1207:                           ;   in Loop: Header=BB361_636 Depth=1
	s_delay_alu instid0(SALU_CYCLE_1)
	s_or_b32 exec_lo, exec_lo, s14
.LBB361_1208:                           ;   in Loop: Header=BB361_636 Depth=1
	s_delay_alu instid0(SALU_CYCLE_1) | instskip(SKIP_3) | instid1(VALU_DEP_2)
	s_or_b32 exec_lo, exec_lo, s11
	v_dual_lshrrev_b32 v26, 16, v0 :: v_dual_mov_b32 v116, 0
	v_mov_b32_e32 v115, 0
	s_mov_b32 s11, exec_lo
	v_and_b32_e32 v20, 0xff, v26
	s_delay_alu instid0(VALU_DEP_1)
	v_cmpx_ne_u16_e32 0, v20
	s_cbranch_execz .LBB361_1216
; %bb.1209:                             ;   in Loop: Header=BB361_636 Depth=1
	v_bfrev_b32_e32 v115, 1
	s_mov_b32 s14, exec_lo
	v_cmpx_ne_u16_e32 0x80, v20
	s_cbranch_execz .LBB361_1215
; %bb.1210:                             ;   in Loop: Header=BB361_636 Depth=1
	v_bfe_u32 v117, v0, 16, 7
	v_mov_b32_e32 v115, 0x7f800001
	s_mov_b32 s15, exec_lo
	s_delay_alu instid0(VALU_DEP_2)
	v_cmpx_ne_u32_e32 0x7f, v117
	s_cbranch_execz .LBB361_1214
; %bb.1211:                             ;   in Loop: Header=BB361_636 Depth=1
	v_dual_lshrrev_b32 v27, 3, v117 :: v_dual_bitop2_b32 v20, 7, v26 bitop3:0x40
	s_mov_b32 s16, exec_lo
	v_cmpx_gt_u32_e32 8, v117
; %bb.1212:                             ;   in Loop: Header=BB361_636 Depth=1
	s_delay_alu instid0(VALU_DEP_2) | instskip(NEXT) | instid1(VALU_DEP_1)
	v_clz_i32_u32_e32 v27, v20
	v_min_u32_e32 v27, 32, v27
	s_delay_alu instid0(VALU_DEP_1) | instskip(NEXT) | instid1(VALU_DEP_1)
	v_subrev_nc_u32_e32 v115, 28, v27
	v_lshlrev_b64_e32 v[118:119], v115, v[20:21]
	s_delay_alu instid0(VALU_DEP_1)
	v_dual_sub_nc_u32 v27, 29, v27 :: v_dual_bitop2_b32 v20, 7, v118 bitop3:0x40
; %bb.1213:                             ;   in Loop: Header=BB361_636 Depth=1
	s_or_b32 exec_lo, exec_lo, s16
	s_delay_alu instid0(VALU_DEP_1) | instskip(NEXT) | instid1(VALU_DEP_2)
	v_dual_lshlrev_b32 v26, 24, v26 :: v_dual_lshlrev_b32 v20, 20, v20
	v_lshl_add_u32 v27, v27, 23, 0x3c000000
	s_delay_alu instid0(VALU_DEP_2) | instskip(NEXT) | instid1(VALU_DEP_1)
	v_and_b32_e32 v26, 0x80000000, v26
	v_or3_b32 v115, v20, v26, v27
.LBB361_1214:                           ;   in Loop: Header=BB361_636 Depth=1
	s_or_b32 exec_lo, exec_lo, s15
.LBB361_1215:                           ;   in Loop: Header=BB361_636 Depth=1
	s_delay_alu instid0(SALU_CYCLE_1)
	s_or_b32 exec_lo, exec_lo, s14
.LBB361_1216:                           ;   in Loop: Header=BB361_636 Depth=1
	s_delay_alu instid0(SALU_CYCLE_1) | instskip(NEXT) | instid1(SALU_CYCLE_1)
	s_or_b32 exec_lo, exec_lo, s11
	s_mov_b32 s11, exec_lo
	v_cmpx_lt_u32_e32 0xffffff, v0
	s_cbranch_execz .LBB361_1224
; %bb.1217:                             ;   in Loop: Header=BB361_636 Depth=1
	v_lshrrev_b32_e32 v26, 24, v0
	v_bfrev_b32_e32 v116, 1
	s_mov_b32 s14, exec_lo
	s_delay_alu instid0(VALU_DEP_2)
	v_cmpx_ne_u32_e32 0x80, v26
	s_cbranch_execz .LBB361_1223
; %bb.1218:                             ;   in Loop: Header=BB361_636 Depth=1
	v_bfe_u32 v117, v0, 24, 7
	v_mov_b32_e32 v116, 0x7f800001
	s_mov_b32 s15, exec_lo
	s_delay_alu instid0(VALU_DEP_2)
	v_cmpx_ne_u32_e32 0x7f, v117
	s_cbranch_execz .LBB361_1222
; %bb.1219:                             ;   in Loop: Header=BB361_636 Depth=1
	v_dual_lshrrev_b32 v27, 3, v117 :: v_dual_bitop2_b32 v20, 7, v26 bitop3:0x40
	s_mov_b32 s16, exec_lo
	v_cmpx_gt_u32_e32 8, v117
; %bb.1220:                             ;   in Loop: Header=BB361_636 Depth=1
	s_delay_alu instid0(VALU_DEP_2) | instskip(NEXT) | instid1(VALU_DEP_1)
	v_clz_i32_u32_e32 v27, v20
	v_min_u32_e32 v27, 32, v27
	s_delay_alu instid0(VALU_DEP_1) | instskip(NEXT) | instid1(VALU_DEP_1)
	v_subrev_nc_u32_e32 v116, 28, v27
	v_lshlrev_b64_e32 v[116:117], v116, v[20:21]
	s_delay_alu instid0(VALU_DEP_1)
	v_dual_sub_nc_u32 v27, 29, v27 :: v_dual_bitop2_b32 v20, 7, v116 bitop3:0x40
; %bb.1221:                             ;   in Loop: Header=BB361_636 Depth=1
	s_or_b32 exec_lo, exec_lo, s16
	s_delay_alu instid0(VALU_DEP_1) | instskip(NEXT) | instid1(VALU_DEP_2)
	v_dual_lshlrev_b32 v26, 24, v26 :: v_dual_lshlrev_b32 v20, 20, v20
	v_lshl_add_u32 v27, v27, 23, 0x3c000000
	s_delay_alu instid0(VALU_DEP_2) | instskip(NEXT) | instid1(VALU_DEP_1)
	v_and_b32_e32 v26, 0x80000000, v26
	v_or3_b32 v116, v20, v26, v27
.LBB361_1222:                           ;   in Loop: Header=BB361_636 Depth=1
	s_or_b32 exec_lo, exec_lo, s15
.LBB361_1223:                           ;   in Loop: Header=BB361_636 Depth=1
	s_delay_alu instid0(SALU_CYCLE_1)
	s_or_b32 exec_lo, exec_lo, s14
.LBB361_1224:                           ;   in Loop: Header=BB361_636 Depth=1
	s_delay_alu instid0(SALU_CYCLE_1) | instskip(SKIP_4) | instid1(VALU_DEP_3)
	s_or_b32 exec_lo, exec_lo, s11
	v_and_b32_e32 v27, 0xff, v1
	v_dual_mov_b32 v20, v1 :: v_dual_mov_b32 v26, 0
	v_mov_b32_e32 v117, 0
	s_mov_b32 s11, exec_lo
	v_cmpx_ne_u16_e32 0, v27
	s_cbranch_execz .LBB361_1230
; %bb.1225:                             ;   in Loop: Header=BB361_636 Depth=1
	v_bfrev_b32_e32 v117, 1
	s_mov_b32 s14, exec_lo
	v_cmpx_ne_u16_e32 0x80, v27
	s_cbranch_execz .LBB361_1229
; %bb.1226:                             ;   in Loop: Header=BB361_636 Depth=1
	v_and_b32_e32 v27, 0x7f, v1
	v_mov_b32_e32 v117, 0x7f800001
	s_mov_b32 s15, exec_lo
	s_delay_alu instid0(VALU_DEP_2)
	v_cmpx_ne_u32_e32 0x7f, v27
	s_cbranch_execz .LBB361_1228
; %bb.1227:                             ;   in Loop: Header=BB361_636 Depth=1
	v_dual_lshrrev_b32 v118, 3, v27 :: v_dual_bitop2_b32 v117, 7, v1 bitop3:0x40
	v_cmp_gt_u32_e64 s0, 8, v27
	s_delay_alu instid0(VALU_DEP_2) | instskip(NEXT) | instid1(VALU_DEP_1)
	v_clz_i32_u32_e32 v117, v117
	v_min_u32_e32 v117, 32, v117
	s_delay_alu instid0(VALU_DEP_1) | instskip(SKIP_1) | instid1(VALU_DEP_1)
	v_subrev_nc_u32_e32 v119, 28, v117
	v_sub_nc_u32_e32 v117, 29, v117
	v_dual_cndmask_b32 v27, v118, v117, s0 :: v_dual_cndmask_b32 v117, 0, v119, s0
	s_delay_alu instid0(VALU_DEP_1) | instskip(NEXT) | instid1(VALU_DEP_2)
	v_lshl_add_u32 v27, v27, 23, 0x3c000000
	v_lshlrev_b64_e32 v[118:119], v117, v[20:21]
	v_lshlrev_b32_e32 v117, 24, v20
	s_delay_alu instid0(VALU_DEP_1) | instskip(NEXT) | instid1(VALU_DEP_3)
	v_and_b32_e32 v117, 0x80000000, v117
	v_lshlrev_b32_e32 v118, 20, v118
	s_delay_alu instid0(VALU_DEP_1) | instskip(NEXT) | instid1(VALU_DEP_1)
	v_and_b32_e32 v118, 0x700000, v118
	v_or3_b32 v117, v118, v117, v27
.LBB361_1228:                           ;   in Loop: Header=BB361_636 Depth=1
	s_or_b32 exec_lo, exec_lo, s15
.LBB361_1229:                           ;   in Loop: Header=BB361_636 Depth=1
	s_delay_alu instid0(SALU_CYCLE_1)
	s_or_b32 exec_lo, exec_lo, s14
.LBB361_1230:                           ;   in Loop: Header=BB361_636 Depth=1
	s_delay_alu instid0(SALU_CYCLE_1) | instskip(SKIP_2) | instid1(VALU_DEP_1)
	s_or_b32 exec_lo, exec_lo, s11
	v_lshrrev_b16 v27, 8, v20
	s_mov_b32 s11, exec_lo
	v_cmpx_ne_u16_e32 0, v27
	s_cbranch_execz .LBB361_1238
; %bb.1231:                             ;   in Loop: Header=BB361_636 Depth=1
	v_bfrev_b32_e32 v26, 1
	s_mov_b32 s14, exec_lo
	v_cmpx_ne_u16_e32 0x80, v27
	s_cbranch_execz .LBB361_1237
; %bb.1232:                             ;   in Loop: Header=BB361_636 Depth=1
	v_and_b32_e32 v27, 0xffff, v27
	v_mov_b32_e32 v26, 0x7f800001
	s_mov_b32 s15, exec_lo
	s_delay_alu instid0(VALU_DEP_2) | instskip(NEXT) | instid1(VALU_DEP_1)
	v_and_b32_e32 v119, 0x7f, v27
	v_cmpx_ne_u32_e32 0x7f, v119
	s_cbranch_execz .LBB361_1236
; %bb.1233:                             ;   in Loop: Header=BB361_636 Depth=1
	v_dual_mov_b32 v27, v21 :: v_dual_bitop2_b32 v26, 7, v27 bitop3:0x40
	v_lshrrev_b32_e32 v118, 3, v119
	s_mov_b32 s16, exec_lo
	v_cmpx_gt_u32_e32 8, v119
; %bb.1234:                             ;   in Loop: Header=BB361_636 Depth=1
	s_delay_alu instid0(VALU_DEP_3) | instskip(NEXT) | instid1(VALU_DEP_1)
	v_clz_i32_u32_e32 v118, v26
	v_min_u32_e32 v118, 32, v118
	s_delay_alu instid0(VALU_DEP_1) | instskip(SKIP_1) | instid1(VALU_DEP_2)
	v_subrev_nc_u32_e32 v119, 28, v118
	v_sub_nc_u32_e32 v118, 29, v118
	v_lshlrev_b64_e32 v[26:27], v119, v[26:27]
	s_delay_alu instid0(VALU_DEP_1)
	v_and_b32_e32 v26, 7, v26
; %bb.1235:                             ;   in Loop: Header=BB361_636 Depth=1
	s_or_b32 exec_lo, exec_lo, s16
	s_delay_alu instid0(VALU_DEP_1) | instskip(SKIP_1) | instid1(VALU_DEP_2)
	v_dual_lshlrev_b32 v20, 16, v20 :: v_dual_lshlrev_b32 v26, 20, v26
	v_lshl_add_u32 v27, v118, 23, 0x3c000000
	v_and_b32_e32 v20, 0x80000000, v20
	s_delay_alu instid0(VALU_DEP_1)
	v_or3_b32 v26, v26, v20, v27
.LBB361_1236:                           ;   in Loop: Header=BB361_636 Depth=1
	s_or_b32 exec_lo, exec_lo, s15
.LBB361_1237:                           ;   in Loop: Header=BB361_636 Depth=1
	s_delay_alu instid0(SALU_CYCLE_1)
	s_or_b32 exec_lo, exec_lo, s14
.LBB361_1238:                           ;   in Loop: Header=BB361_636 Depth=1
	s_delay_alu instid0(SALU_CYCLE_1) | instskip(SKIP_3) | instid1(VALU_DEP_2)
	s_or_b32 exec_lo, exec_lo, s11
	v_dual_lshrrev_b32 v119, 16, v1 :: v_dual_mov_b32 v27, 0
	v_mov_b32_e32 v118, 0
	s_mov_b32 s11, exec_lo
	v_and_b32_e32 v20, 0xff, v119
	s_delay_alu instid0(VALU_DEP_1)
	v_cmpx_ne_u16_e32 0, v20
	s_cbranch_execz .LBB361_1246
; %bb.1239:                             ;   in Loop: Header=BB361_636 Depth=1
	v_bfrev_b32_e32 v118, 1
	s_mov_b32 s14, exec_lo
	v_cmpx_ne_u16_e32 0x80, v20
	s_cbranch_execz .LBB361_1245
; %bb.1240:                             ;   in Loop: Header=BB361_636 Depth=1
	v_bfe_u32 v120, v1, 16, 7
	v_mov_b32_e32 v118, 0x7f800001
	s_mov_b32 s15, exec_lo
	s_delay_alu instid0(VALU_DEP_2)
	v_cmpx_ne_u32_e32 0x7f, v120
	s_cbranch_execz .LBB361_1244
; %bb.1241:                             ;   in Loop: Header=BB361_636 Depth=1
	v_dual_lshrrev_b32 v118, 3, v120 :: v_dual_bitop2_b32 v20, 7, v119 bitop3:0x40
	s_mov_b32 s16, exec_lo
	v_cmpx_gt_u32_e32 8, v120
; %bb.1242:                             ;   in Loop: Header=BB361_636 Depth=1
	s_delay_alu instid0(VALU_DEP_2) | instskip(NEXT) | instid1(VALU_DEP_1)
	v_clz_i32_u32_e32 v118, v20
	v_min_u32_e32 v118, 32, v118
	s_delay_alu instid0(VALU_DEP_1) | instskip(NEXT) | instid1(VALU_DEP_1)
	v_subrev_nc_u32_e32 v120, 28, v118
	v_lshlrev_b64_e32 v[120:121], v120, v[20:21]
	s_delay_alu instid0(VALU_DEP_1)
	v_dual_sub_nc_u32 v118, 29, v118 :: v_dual_bitop2_b32 v20, 7, v120 bitop3:0x40
; %bb.1243:                             ;   in Loop: Header=BB361_636 Depth=1
	s_or_b32 exec_lo, exec_lo, s16
	s_delay_alu instid0(VALU_DEP_1) | instskip(NEXT) | instid1(VALU_DEP_2)
	v_dual_lshlrev_b32 v119, 24, v119 :: v_dual_lshlrev_b32 v20, 20, v20
	v_lshl_add_u32 v118, v118, 23, 0x3c000000
	s_delay_alu instid0(VALU_DEP_2) | instskip(NEXT) | instid1(VALU_DEP_1)
	v_and_b32_e32 v119, 0x80000000, v119
	v_or3_b32 v118, v20, v119, v118
.LBB361_1244:                           ;   in Loop: Header=BB361_636 Depth=1
	s_or_b32 exec_lo, exec_lo, s15
.LBB361_1245:                           ;   in Loop: Header=BB361_636 Depth=1
	s_delay_alu instid0(SALU_CYCLE_1)
	s_or_b32 exec_lo, exec_lo, s14
.LBB361_1246:                           ;   in Loop: Header=BB361_636 Depth=1
	s_delay_alu instid0(SALU_CYCLE_1) | instskip(NEXT) | instid1(SALU_CYCLE_1)
	s_or_b32 exec_lo, exec_lo, s11
	s_mov_b32 s11, exec_lo
	v_cmpx_lt_u64_e64 s[2:3], v[0:1]
	s_cbranch_execz .LBB361_1254
; %bb.1247:                             ;   in Loop: Header=BB361_636 Depth=1
	v_lshrrev_b32_e32 v0, 24, v1
	v_bfrev_b32_e32 v27, 1
	s_mov_b32 s14, exec_lo
	s_delay_alu instid0(VALU_DEP_2)
	v_cmpx_ne_u32_e32 0x80, v0
	s_cbranch_execz .LBB361_1253
; %bb.1248:                             ;   in Loop: Header=BB361_636 Depth=1
	v_bfe_u32 v119, v1, 24, 7
	v_mov_b32_e32 v27, 0x7f800001
	s_mov_b32 s15, exec_lo
	s_delay_alu instid0(VALU_DEP_2)
	v_cmpx_ne_u32_e32 0x7f, v119
	s_cbranch_execz .LBB361_1252
; %bb.1249:                             ;   in Loop: Header=BB361_636 Depth=1
	v_dual_lshrrev_b32 v1, 3, v119 :: v_dual_bitop2_b32 v20, 7, v0 bitop3:0x40
	s_mov_b32 s16, exec_lo
	v_cmpx_gt_u32_e32 8, v119
; %bb.1250:                             ;   in Loop: Header=BB361_636 Depth=1
	s_delay_alu instid0(VALU_DEP_2) | instskip(NEXT) | instid1(VALU_DEP_1)
	v_clz_i32_u32_e32 v1, v20
	v_min_u32_e32 v1, 32, v1
	s_delay_alu instid0(VALU_DEP_1) | instskip(NEXT) | instid1(VALU_DEP_1)
	v_subrev_nc_u32_e32 v27, 28, v1
	v_lshlrev_b64_e32 v[120:121], v27, v[20:21]
	s_delay_alu instid0(VALU_DEP_1)
	v_dual_sub_nc_u32 v1, 29, v1 :: v_dual_bitop2_b32 v20, 7, v120 bitop3:0x40
; %bb.1251:                             ;   in Loop: Header=BB361_636 Depth=1
	s_or_b32 exec_lo, exec_lo, s16
	v_lshlrev_b32_e32 v0, 24, v0
	s_delay_alu instid0(VALU_DEP_2) | instskip(NEXT) | instid1(VALU_DEP_3)
	v_lshlrev_b32_e32 v20, 20, v20
	v_lshl_add_u32 v1, v1, 23, 0x3c000000
	s_delay_alu instid0(VALU_DEP_3) | instskip(NEXT) | instid1(VALU_DEP_1)
	v_and_b32_e32 v0, 0x80000000, v0
	v_or3_b32 v27, v20, v0, v1
.LBB361_1252:                           ;   in Loop: Header=BB361_636 Depth=1
	s_or_b32 exec_lo, exec_lo, s15
.LBB361_1253:                           ;   in Loop: Header=BB361_636 Depth=1
	s_delay_alu instid0(SALU_CYCLE_1)
	s_or_b32 exec_lo, exec_lo, s14
.LBB361_1254:                           ;   in Loop: Header=BB361_636 Depth=1
	s_delay_alu instid0(SALU_CYCLE_1)
	s_or_b32 exec_lo, exec_lo, s11
	v_fma_mixlo_bf16 v0, s6, v26, 0
	v_fma_mixlo_bf16 v1, s6, v117, 0
	;; [unrolled: 1-line block ×8, first 2 shown]
	s_and_saveexec_b32 s0, vcc_lo
	s_cbranch_execz .LBB361_635
; %bb.1255:                             ;   in Loop: Header=BB361_636 Depth=1
	v_cmp_gt_i32_e32 vcc_lo, s25, v44
	v_cndmask_b32_e32 v113, 0, v113, vcc_lo
	v_cmp_gt_i32_e32 vcc_lo, s25, v50
	v_cndmask_b32_e32 v114, 0, v114, vcc_lo
	;; [unrolled: 2-line block ×8, first 2 shown]
	s_branch .LBB361_635
.LBB361_1256:
	s_or_b32 exec_lo, exec_lo, s9
	v_mov_b32_e32 v24, v122
.LBB361_1257:
	s_or_b32 exec_lo, exec_lo, s1
	ds_bpermute_b32 v2, v31, v16
	ds_bpermute_b32 v3, v31, v17
	;; [unrolled: 1-line block ×10, first 2 shown]
	s_mov_b32 s0, exec_lo
	s_wait_dscnt 0x8
	v_pk_add_f32 v[2:3], v[16:17], v[2:3]
	s_wait_dscnt 0x6
	v_pk_add_f32 v[16:17], v[12:13], v[6:7]
	scratch_load_b32 v6, off, off offset:216 ; 4-byte Folded Reload
	s_wait_dscnt 0x4
	v_pk_add_f32 v[0:1], v[18:19], v[0:1]
	ds_bpermute_b32 v18, v30, v2
	s_wait_dscnt 0x3
	v_pk_add_f32 v[14:15], v[14:15], v[4:5]
	ds_bpermute_b32 v19, v30, v3
	;; [unrolled: 3-line block ×3, first 2 shown]
	ds_bpermute_b32 v5, v30, v1
	ds_bpermute_b32 v20, v30, v14
	ds_bpermute_b32 v21, v30, v15
	ds_bpermute_b32 v22, v30, v16
	ds_bpermute_b32 v23, v30, v17
	ds_bpermute_b32 v10, v30, v8
	ds_bpermute_b32 v11, v30, v9
	v_and_b32_e32 v13, 0x3c3, v24
	s_wait_loadcnt_dscnt 0x0
	s_barrier_signal -1
	s_barrier_wait -1
	v_and_b32_e32 v12, 28, v6
	v_pk_add_f32 v[6:7], v[0:1], v[4:5]
	v_pk_add_f32 v[4:5], v[2:3], v[18:19]
	v_pk_add_f32 v[2:3], v[14:15], v[20:21]
	v_pk_add_f32 v[0:1], v[16:17], v[22:23]
	v_cmpx_ne_u32_e32 64, v13
	s_xor_b32 s0, exec_lo, s0
	s_delay_alu instid0(SALU_CYCLE_1)
	s_or_saveexec_b32 s0, s0
	v_pk_add_f32 v[8:9], v[8:9], v[10:11]
	scratch_load_b32 v10, off, off offset:216 th:TH_LOAD_LU ; 4-byte Folded Reload
	v_add_nc_u32_e32 v11, 0xc0, v12
	scratch_load_b32 v12, off, off offset:220 th:TH_LOAD_LU ; 4-byte Folded Reload
	s_wait_loadcnt 0x1
	v_lshrrev_b32_e32 v10, 2, v10
	s_wait_loadcnt 0x0
	v_mul_u32_u24_e32 v12, 0x140, v12
	s_xor_b32 exec_lo, exec_lo, s0
	s_cbranch_execz .LBB361_1259
; %bb.1258:
	s_delay_alu instid0(VALU_DEP_1) | instskip(NEXT) | instid1(VALU_DEP_1)
	v_add_nc_u32_e32 v13, v11, v12
	v_add_nc_u32_e32 v14, 0xfffffd80, v13
	;; [unrolled: 1-line block ×11, first 2 shown]
	ds_store_b32 v14, v6
	ds_store_b32 v15, v7
	;; [unrolled: 1-line block ×10, first 2 shown]
.LBB361_1259:
	s_or_b32 exec_lo, exec_lo, s0
	v_lshlrev_b32_e32 v10, 2, v10
	s_mov_b32 s1, exec_lo
	v_cmp_eq_u32_e32 vcc_lo, 0, v32
	s_wait_dscnt 0x0
	s_barrier_signal -1
	v_add3_u32 v10, 0xc0, v12, v10
	s_barrier_wait -1
	v_cmpx_gt_u32_e32 64, v24
	s_cbranch_execz .LBB361_1272
; %bb.1260:
	s_and_saveexec_b32 s0, vcc_lo
	s_cbranch_execnz .LBB361_1290
; %bb.1261:
	s_or_b32 exec_lo, exec_lo, s0
	s_and_saveexec_b32 s0, vcc_lo
	s_cbranch_execnz .LBB361_1291
.LBB361_1262:
	s_or_b32 exec_lo, exec_lo, s0
	s_and_saveexec_b32 s0, vcc_lo
	s_cbranch_execnz .LBB361_1292
.LBB361_1263:
	s_or_b32 exec_lo, exec_lo, s0
	s_and_saveexec_b32 s0, vcc_lo
	s_cbranch_execnz .LBB361_1293
.LBB361_1264:
	s_or_b32 exec_lo, exec_lo, s0
	s_and_saveexec_b32 s0, vcc_lo
	s_cbranch_execnz .LBB361_1294
.LBB361_1265:
	s_or_b32 exec_lo, exec_lo, s0
	s_and_saveexec_b32 s0, vcc_lo
	s_cbranch_execnz .LBB361_1295
.LBB361_1266:
	s_or_b32 exec_lo, exec_lo, s0
	s_and_saveexec_b32 s0, vcc_lo
	s_cbranch_execnz .LBB361_1296
.LBB361_1267:
	s_or_b32 exec_lo, exec_lo, s0
	s_and_saveexec_b32 s0, vcc_lo
	s_cbranch_execnz .LBB361_1297
.LBB361_1268:
	s_or_b32 exec_lo, exec_lo, s0
	s_and_saveexec_b32 s0, vcc_lo
	s_cbranch_execnz .LBB361_1298
.LBB361_1269:
	s_or_b32 exec_lo, exec_lo, s0
	s_and_saveexec_b32 s0, vcc_lo
	s_cbranch_execz .LBB361_1271
.LBB361_1270:
	ds_load_b32 v12, v10 offset:288
	s_wait_dscnt 0x0
	v_add_f32_e32 v9, v9, v12
.LBB361_1271:
	s_or_b32 exec_lo, exec_lo, s0
.LBB361_1272:
	s_delay_alu instid0(SALU_CYCLE_1) | instskip(SKIP_4) | instid1(VALU_DEP_1)
	s_or_b32 exec_lo, exec_lo, s1
	v_and_b32_e32 v12, 0x3e3, v24
	s_mov_b32 s1, exec_lo
	s_barrier_signal -1
	s_barrier_wait -1
	v_cmpx_eq_u32_e32 32, v12
	s_cbranch_execz .LBB361_1274
; %bb.1273:
	ds_store_2addr_b32 v11, v6, v7 offset1:8
	ds_store_2addr_b32 v11, v4, v5 offset0:16 offset1:24
	ds_store_2addr_b32 v11, v2, v3 offset0:32 offset1:40
	;; [unrolled: 1-line block ×4, first 2 shown]
.LBB361_1274:
	s_or_b32 exec_lo, exec_lo, s1
	s_delay_alu instid0(SALU_CYCLE_1)
	s_mov_b32 s1, exec_lo
	s_wait_dscnt 0x0
	s_barrier_signal -1
	s_barrier_wait -1
	v_cmpx_gt_u32_e32 32, v24
	s_cbranch_execz .LBB361_1287
; %bb.1275:
	s_and_saveexec_b32 s0, vcc_lo
	s_cbranch_execnz .LBB361_1299
; %bb.1276:
	s_or_b32 exec_lo, exec_lo, s0
	s_and_saveexec_b32 s0, vcc_lo
	s_cbranch_execnz .LBB361_1300
.LBB361_1277:
	s_or_b32 exec_lo, exec_lo, s0
	s_and_saveexec_b32 s0, vcc_lo
	s_cbranch_execnz .LBB361_1301
.LBB361_1278:
	s_or_b32 exec_lo, exec_lo, s0
	s_and_saveexec_b32 s0, vcc_lo
	s_cbranch_execnz .LBB361_1302
.LBB361_1279:
	s_or_b32 exec_lo, exec_lo, s0
	s_and_saveexec_b32 s0, vcc_lo
	s_cbranch_execnz .LBB361_1303
.LBB361_1280:
	s_or_b32 exec_lo, exec_lo, s0
	s_and_saveexec_b32 s0, vcc_lo
	s_cbranch_execnz .LBB361_1304
.LBB361_1281:
	s_or_b32 exec_lo, exec_lo, s0
	s_and_saveexec_b32 s0, vcc_lo
	s_cbranch_execnz .LBB361_1305
.LBB361_1282:
	s_or_b32 exec_lo, exec_lo, s0
	s_and_saveexec_b32 s0, vcc_lo
	s_cbranch_execnz .LBB361_1306
.LBB361_1283:
	s_or_b32 exec_lo, exec_lo, s0
	s_and_saveexec_b32 s0, vcc_lo
	s_cbranch_execnz .LBB361_1307
.LBB361_1284:
	s_or_b32 exec_lo, exec_lo, s0
	s_and_saveexec_b32 s0, vcc_lo
	s_cbranch_execz .LBB361_1286
.LBB361_1285:
	ds_load_b32 v10, v10 offset:288
	s_wait_dscnt 0x0
	v_add_f32_e32 v9, v9, v10
.LBB361_1286:
	s_or_b32 exec_lo, exec_lo, s0
.LBB361_1287:
	s_delay_alu instid0(SALU_CYCLE_1)
	s_or_b32 exec_lo, exec_lo, s1
	s_mov_b32 s1, 0
	s_barrier_signal -1
	s_barrier_wait -1
	s_mov_b32 s0, exec_lo
	v_cmpx_eq_u32_e32 0, v12
	s_cbranch_execz .LBB361_1289
; %bb.1288:
	s_mul_i32 s0, s24, s8
	s_mul_i32 s2, s8, s12
	;; [unrolled: 1-line block ×3, first 2 shown]
	s_lshr_b32 s8, ttmp7, 16
	s_mul_i32 s6, s0, 0x50
	s_bfe_u32 s0, ttmp6, 0x40014
	s_ashr_i32 s7, s6, 31
	s_add_co_i32 s0, s0, 1
	s_ashr_i32 s3, s2, 31
	s_mul_i32 s0, s8, s0
	s_bfe_u32 s9, ttmp6, 0x40008
	s_lshl_b64 s[6:7], s[6:7], 1
	s_lshl_b64 s[2:3], s[2:3], 1
	s_add_co_i32 s9, s9, s0
	s_cmp_eq_u32 s22, 0
	s_wait_kmcnt 0x0
	s_add_nc_u64 s[4:5], s[4:5], s[6:7]
	s_cselect_b32 s0, s8, s9
	s_add_nc_u64 s[2:3], s[4:5], s[2:3]
	s_mulk_i32 s0, 0xa0
	v_lshrrev_b32_e32 v10, 1, v24
	s_add_nc_u64 s[0:1], s[2:3], s[0:1]
	s_delay_alu instid0(SALU_CYCLE_1)
	v_cvt_pk_bf16_f32 v6, v6, s0
	v_cvt_pk_bf16_f32 v7, v7, s0
	;; [unrolled: 1-line block ×10, first 2 shown]
	s_clause 0x9
	global_store_b16 v10, v6, s[0:1]
	global_store_b16 v10, v7, s[0:1] offset:16
	global_store_b16 v10, v4, s[0:1] offset:32
	global_store_b16 v10, v5, s[0:1] offset:48
	global_store_b16 v10, v2, s[0:1] offset:64
	global_store_b16 v10, v3, s[0:1] offset:80
	global_store_b16 v10, v0, s[0:1] offset:96
	global_store_b16 v10, v1, s[0:1] offset:112
	global_store_b16 v10, v8, s[0:1] offset:128
	global_store_b16 v10, v9, s[0:1] offset:144
.LBB361_1289:
	s_sendmsg sendmsg(MSG_DEALLOC_VGPRS)
	s_endpgm
.LBB361_1290:
	ds_load_b32 v12, v10
	s_wait_dscnt 0x0
	v_add_f32_e32 v6, v6, v12
	s_or_b32 exec_lo, exec_lo, s0
	s_and_saveexec_b32 s0, vcc_lo
	s_cbranch_execz .LBB361_1262
.LBB361_1291:
	ds_load_b32 v12, v10 offset:32
	s_wait_dscnt 0x0
	v_add_f32_e32 v7, v7, v12
	s_or_b32 exec_lo, exec_lo, s0
	s_and_saveexec_b32 s0, vcc_lo
	s_cbranch_execz .LBB361_1263
.LBB361_1292:
	ds_load_b32 v12, v10 offset:64
	s_wait_dscnt 0x0
	v_add_f32_e32 v4, v4, v12
	s_or_b32 exec_lo, exec_lo, s0
	s_and_saveexec_b32 s0, vcc_lo
	s_cbranch_execz .LBB361_1264
.LBB361_1293:
	ds_load_b32 v12, v10 offset:96
	s_wait_dscnt 0x0
	v_add_f32_e32 v5, v5, v12
	s_or_b32 exec_lo, exec_lo, s0
	s_and_saveexec_b32 s0, vcc_lo
	s_cbranch_execz .LBB361_1265
.LBB361_1294:
	ds_load_b32 v12, v10 offset:128
	s_wait_dscnt 0x0
	v_add_f32_e32 v2, v2, v12
	s_or_b32 exec_lo, exec_lo, s0
	s_and_saveexec_b32 s0, vcc_lo
	s_cbranch_execz .LBB361_1266
.LBB361_1295:
	ds_load_b32 v12, v10 offset:160
	s_wait_dscnt 0x0
	v_add_f32_e32 v3, v3, v12
	s_or_b32 exec_lo, exec_lo, s0
	s_and_saveexec_b32 s0, vcc_lo
	s_cbranch_execz .LBB361_1267
.LBB361_1296:
	ds_load_b32 v12, v10 offset:192
	s_wait_dscnt 0x0
	v_add_f32_e32 v0, v0, v12
	s_or_b32 exec_lo, exec_lo, s0
	s_and_saveexec_b32 s0, vcc_lo
	s_cbranch_execz .LBB361_1268
.LBB361_1297:
	ds_load_b32 v12, v10 offset:224
	s_wait_dscnt 0x0
	v_add_f32_e32 v1, v1, v12
	s_or_b32 exec_lo, exec_lo, s0
	s_and_saveexec_b32 s0, vcc_lo
	s_cbranch_execz .LBB361_1269
.LBB361_1298:
	ds_load_b32 v12, v10 offset:256
	s_wait_dscnt 0x0
	v_add_f32_e32 v8, v8, v12
	s_or_b32 exec_lo, exec_lo, s0
	s_and_saveexec_b32 s0, vcc_lo
	s_cbranch_execnz .LBB361_1270
	s_branch .LBB361_1271
.LBB361_1299:
	ds_load_b32 v11, v10
	s_wait_dscnt 0x0
	v_add_f32_e32 v6, v6, v11
	s_or_b32 exec_lo, exec_lo, s0
	s_and_saveexec_b32 s0, vcc_lo
	s_cbranch_execz .LBB361_1277
.LBB361_1300:
	ds_load_b32 v11, v10 offset:32
	s_wait_dscnt 0x0
	v_add_f32_e32 v7, v7, v11
	s_or_b32 exec_lo, exec_lo, s0
	s_and_saveexec_b32 s0, vcc_lo
	s_cbranch_execz .LBB361_1278
.LBB361_1301:
	ds_load_b32 v11, v10 offset:64
	s_wait_dscnt 0x0
	v_add_f32_e32 v4, v4, v11
	s_or_b32 exec_lo, exec_lo, s0
	s_and_saveexec_b32 s0, vcc_lo
	s_cbranch_execz .LBB361_1279
.LBB361_1302:
	ds_load_b32 v11, v10 offset:96
	s_wait_dscnt 0x0
	v_add_f32_e32 v5, v5, v11
	s_or_b32 exec_lo, exec_lo, s0
	s_and_saveexec_b32 s0, vcc_lo
	s_cbranch_execz .LBB361_1280
.LBB361_1303:
	ds_load_b32 v11, v10 offset:128
	s_wait_dscnt 0x0
	v_add_f32_e32 v2, v2, v11
	s_or_b32 exec_lo, exec_lo, s0
	s_and_saveexec_b32 s0, vcc_lo
	s_cbranch_execz .LBB361_1281
.LBB361_1304:
	ds_load_b32 v11, v10 offset:160
	s_wait_dscnt 0x0
	v_add_f32_e32 v3, v3, v11
	s_or_b32 exec_lo, exec_lo, s0
	s_and_saveexec_b32 s0, vcc_lo
	s_cbranch_execz .LBB361_1282
.LBB361_1305:
	ds_load_b32 v11, v10 offset:192
	s_wait_dscnt 0x0
	v_add_f32_e32 v0, v0, v11
	s_or_b32 exec_lo, exec_lo, s0
	s_and_saveexec_b32 s0, vcc_lo
	s_cbranch_execz .LBB361_1283
.LBB361_1306:
	ds_load_b32 v11, v10 offset:224
	s_wait_dscnt 0x0
	v_add_f32_e32 v1, v1, v11
	s_or_b32 exec_lo, exec_lo, s0
	s_and_saveexec_b32 s0, vcc_lo
	s_cbranch_execz .LBB361_1284
.LBB361_1307:
	ds_load_b32 v11, v10 offset:256
	s_wait_dscnt 0x0
	v_add_f32_e32 v8, v8, v11
	s_or_b32 exec_lo, exec_lo, s0
	s_and_saveexec_b32 s0, vcc_lo
	s_cbranch_execnz .LBB361_1285
	s_branch .LBB361_1286
	.section	.rodata,"a",@progbits
	.p2align	6, 0x0
	.amdhsa_kernel _ZN4vllm25paged_attention_v1_kernelI14__hip_bfloat16hLi80ELi32ELi128ELNS_18Fp8KVCacheDataTypeE1ELb0EEEvPT_PKS3_PKT0_S9_ifPKiSB_iPKfiiiSD_SD_iiiii
		.amdhsa_group_segment_fixed_size 192
		.amdhsa_private_segment_fixed_size 240
		.amdhsa_kernarg_size 384
		.amdhsa_user_sgpr_count 2
		.amdhsa_user_sgpr_dispatch_ptr 0
		.amdhsa_user_sgpr_queue_ptr 0
		.amdhsa_user_sgpr_kernarg_segment_ptr 1
		.amdhsa_user_sgpr_dispatch_id 0
		.amdhsa_user_sgpr_kernarg_preload_length 0
		.amdhsa_user_sgpr_kernarg_preload_offset 0
		.amdhsa_user_sgpr_private_segment_size 0
		.amdhsa_wavefront_size32 1
		.amdhsa_uses_dynamic_stack 0
		.amdhsa_enable_private_segment 1
		.amdhsa_system_sgpr_workgroup_id_x 1
		.amdhsa_system_sgpr_workgroup_id_y 1
		.amdhsa_system_sgpr_workgroup_id_z 1
		.amdhsa_system_sgpr_workgroup_info 0
		.amdhsa_system_vgpr_workitem_id 0
		.amdhsa_next_free_vgpr 128
		.amdhsa_next_free_sgpr 34
		.amdhsa_named_barrier_count 0
		.amdhsa_reserve_vcc 1
		.amdhsa_float_round_mode_32 0
		.amdhsa_float_round_mode_16_64 0
		.amdhsa_float_denorm_mode_32 3
		.amdhsa_float_denorm_mode_16_64 3
		.amdhsa_fp16_overflow 0
		.amdhsa_memory_ordered 1
		.amdhsa_forward_progress 1
		.amdhsa_inst_pref_size 255
		.amdhsa_round_robin_scheduling 0
		.amdhsa_exception_fp_ieee_invalid_op 0
		.amdhsa_exception_fp_denorm_src 0
		.amdhsa_exception_fp_ieee_div_zero 0
		.amdhsa_exception_fp_ieee_overflow 0
		.amdhsa_exception_fp_ieee_underflow 0
		.amdhsa_exception_fp_ieee_inexact 0
		.amdhsa_exception_int_div_zero 0
	.end_amdhsa_kernel
	.section	.text._ZN4vllm25paged_attention_v1_kernelI14__hip_bfloat16hLi80ELi32ELi128ELNS_18Fp8KVCacheDataTypeE1ELb0EEEvPT_PKS3_PKT0_S9_ifPKiSB_iPKfiiiSD_SD_iiiii,"axG",@progbits,_ZN4vllm25paged_attention_v1_kernelI14__hip_bfloat16hLi80ELi32ELi128ELNS_18Fp8KVCacheDataTypeE1ELb0EEEvPT_PKS3_PKT0_S9_ifPKiSB_iPKfiiiSD_SD_iiiii,comdat
.Lfunc_end361:
	.size	_ZN4vllm25paged_attention_v1_kernelI14__hip_bfloat16hLi80ELi32ELi128ELNS_18Fp8KVCacheDataTypeE1ELb0EEEvPT_PKS3_PKT0_S9_ifPKiSB_iPKfiiiSD_SD_iiiii, .Lfunc_end361-_ZN4vllm25paged_attention_v1_kernelI14__hip_bfloat16hLi80ELi32ELi128ELNS_18Fp8KVCacheDataTypeE1ELb0EEEvPT_PKS3_PKT0_S9_ifPKiSB_iPKfiiiSD_SD_iiiii
                                        ; -- End function
	.set _ZN4vllm25paged_attention_v1_kernelI14__hip_bfloat16hLi80ELi32ELi128ELNS_18Fp8KVCacheDataTypeE1ELb0EEEvPT_PKS3_PKT0_S9_ifPKiSB_iPKfiiiSD_SD_iiiii.num_vgpr, 128
	.set _ZN4vllm25paged_attention_v1_kernelI14__hip_bfloat16hLi80ELi32ELi128ELNS_18Fp8KVCacheDataTypeE1ELb0EEEvPT_PKS3_PKT0_S9_ifPKiSB_iPKfiiiSD_SD_iiiii.num_agpr, 0
	.set _ZN4vllm25paged_attention_v1_kernelI14__hip_bfloat16hLi80ELi32ELi128ELNS_18Fp8KVCacheDataTypeE1ELb0EEEvPT_PKS3_PKT0_S9_ifPKiSB_iPKfiiiSD_SD_iiiii.numbered_sgpr, 34
	.set _ZN4vllm25paged_attention_v1_kernelI14__hip_bfloat16hLi80ELi32ELi128ELNS_18Fp8KVCacheDataTypeE1ELb0EEEvPT_PKS3_PKT0_S9_ifPKiSB_iPKfiiiSD_SD_iiiii.num_named_barrier, 0
	.set _ZN4vllm25paged_attention_v1_kernelI14__hip_bfloat16hLi80ELi32ELi128ELNS_18Fp8KVCacheDataTypeE1ELb0EEEvPT_PKS3_PKT0_S9_ifPKiSB_iPKfiiiSD_SD_iiiii.private_seg_size, 240
	.set _ZN4vllm25paged_attention_v1_kernelI14__hip_bfloat16hLi80ELi32ELi128ELNS_18Fp8KVCacheDataTypeE1ELb0EEEvPT_PKS3_PKT0_S9_ifPKiSB_iPKfiiiSD_SD_iiiii.uses_vcc, 1
	.set _ZN4vllm25paged_attention_v1_kernelI14__hip_bfloat16hLi80ELi32ELi128ELNS_18Fp8KVCacheDataTypeE1ELb0EEEvPT_PKS3_PKT0_S9_ifPKiSB_iPKfiiiSD_SD_iiiii.uses_flat_scratch, 1
	.set _ZN4vllm25paged_attention_v1_kernelI14__hip_bfloat16hLi80ELi32ELi128ELNS_18Fp8KVCacheDataTypeE1ELb0EEEvPT_PKS3_PKT0_S9_ifPKiSB_iPKfiiiSD_SD_iiiii.has_dyn_sized_stack, 0
	.set _ZN4vllm25paged_attention_v1_kernelI14__hip_bfloat16hLi80ELi32ELi128ELNS_18Fp8KVCacheDataTypeE1ELb0EEEvPT_PKS3_PKT0_S9_ifPKiSB_iPKfiiiSD_SD_iiiii.has_recursion, 0
	.set _ZN4vllm25paged_attention_v1_kernelI14__hip_bfloat16hLi80ELi32ELi128ELNS_18Fp8KVCacheDataTypeE1ELb0EEEvPT_PKS3_PKT0_S9_ifPKiSB_iPKfiiiSD_SD_iiiii.has_indirect_call, 0
	.section	.AMDGPU.csdata,"",@progbits
; Kernel info:
; codeLenInByte = 46892
; TotalNumSgprs: 36
; NumVgprs: 128
; ScratchSize: 240
; MemoryBound: 0
; FloatMode: 240
; IeeeMode: 1
; LDSByteSize: 192 bytes/workgroup (compile time only)
; SGPRBlocks: 0
; VGPRBlocks: 7
; NumSGPRsForWavesPerEU: 36
; NumVGPRsForWavesPerEU: 128
; NamedBarCnt: 0
; Occupancy: 8
; WaveLimiterHint : 1
; COMPUTE_PGM_RSRC2:SCRATCH_EN: 1
; COMPUTE_PGM_RSRC2:USER_SGPR: 2
; COMPUTE_PGM_RSRC2:TRAP_HANDLER: 0
; COMPUTE_PGM_RSRC2:TGID_X_EN: 1
; COMPUTE_PGM_RSRC2:TGID_Y_EN: 1
; COMPUTE_PGM_RSRC2:TGID_Z_EN: 1
; COMPUTE_PGM_RSRC2:TIDIG_COMP_CNT: 0
	.text
	.p2align	2                               ; -- Begin function _ZN4vllm22paged_attention_kernelI14__hip_bfloat16hLi96ELi32ELi128ELNS_18Fp8KVCacheDataTypeE1ELb0ELi0EEEvPfS3_PT_PKS4_PKT0_SA_ifPKiSC_iPKfiiiSE_SE_iiiii
	.type	_ZN4vllm22paged_attention_kernelI14__hip_bfloat16hLi96ELi32ELi128ELNS_18Fp8KVCacheDataTypeE1ELb0ELi0EEEvPfS3_PT_PKS4_PKT0_SA_ifPKiSC_iPKfiiiSE_SE_iiiii,@function
_ZN4vllm22paged_attention_kernelI14__hip_bfloat16hLi96ELi32ELi128ELNS_18Fp8KVCacheDataTypeE1ELb0ELi0EEEvPfS3_PT_PKS4_PKT0_SA_ifPKiSC_iPKfiiiSE_SE_iiiii: ; @_ZN4vllm22paged_attention_kernelI14__hip_bfloat16hLi96ELi32ELi128ELNS_18Fp8KVCacheDataTypeE1ELb0ELi0EEEvPfS3_PT_PKS4_PKT0_SA_ifPKiSC_iPKfiiiSE_SE_iiiii
; %bb.0:
	s_wait_loadcnt_dscnt 0x0
	s_wait_kmcnt 0x0
	s_clause 0x2f
	scratch_store_b32 off, v40, s32 offset:188
	; meta instruction
	scratch_store_b32 off, v41, s32 offset:184
	; meta instruction
	;; [unrolled: 2-line block ×47, first 2 shown]
	scratch_store_b32 off, v127, s32
	s_bfe_u32 s0, ttmp6, 0x4000c
	s_bfe_u32 s2, ttmp6, 0x40010
	s_add_co_i32 s0, s0, 1
	s_and_b32 s1, ttmp6, 15
	s_mul_i32 s0, ttmp9, s0
	s_and_b32 s3, ttmp7, 0xffff
	s_add_co_i32 s2, s2, 1
	s_add_co_i32 s0, s1, s0
	s_mul_i32 s1, s3, s2
	s_bfe_u32 s2, ttmp6, 0x40004
	s_getreg_b32 s10, hwreg(HW_REG_IB_STS2, 6, 4)
	s_add_co_i32 s2, s2, s1
	s_cmp_eq_u32 s10, 0
	s_mov_b32 s1, 0
	s_cselect_b32 s11, s3, s2
	s_cselect_b32 s2, ttmp9, s0
	s_lshl_b32 s0, s11, 2
	v_dual_mov_b32 v37, v7 :: v_dual_mov_b32 v36, v6
	v_add_nc_u64_e32 v[6:7], s[0:1], v[12:13]
	s_clause 0x2
	scratch_store_b64 off, v[18:19], s32 offset:244
	scratch_store_b32 off, v9, s32 offset:200
	scratch_store_b64 off, v[0:1], s32 offset:584
	s_wait_xcnt 0x0
	v_mov_b32_e32 v1, 0
	s_clause 0x1
	s_load_u16 s0, s[8:9], 0x12
	s_load_b32 s3, s[8:9], 0x0
	v_dual_mov_b32 v25, v16 :: v_dual_mov_b32 v24, v15
	flat_load_b32 v118, v[6:7]
	s_wait_xcnt 0x0
	v_sub_nc_u32_e32 v6, 0, v8
	global_load_u16 v0, v1, s[8:9] offset:22
	s_mov_b32 s6, s15
	s_mov_b32 s4, exec_lo
	v_max_i32_e32 v6, v8, v6
	s_delay_alu instid0(VALU_DEP_1) | instskip(NEXT) | instid1(VALU_DEP_1)
	v_cvt_f32_u32_e32 v7, v6
	v_rcp_iflag_f32_e32 v7, v7
	s_wait_kmcnt 0x0
	s_cmp_lg_u32 s0, 0
	s_cselect_b32 s0, -1, 0
	s_delay_alu instid0(SALU_CYCLE_1) | instskip(SKIP_1) | instid1(TRANS32_DEP_1)
	s_cmp_lg_u32 s0, 0
	v_nop
	v_mul_f32_e32 v7, 0x4f7ffffe, v7
	v_sub_nc_u32_e32 v9, 0, v6
	s_add_co_ci_u32 s12, s3, 0
	s_delay_alu instid0(SALU_CYCLE_1) | instskip(NEXT) | instid1(VALU_DEP_2)
	s_abs_i32 s0, s12
	v_cvt_u32_f32_e32 v7, v7
	s_delay_alu instid0(VALU_DEP_1) | instskip(NEXT) | instid1(VALU_DEP_1)
	v_mul_lo_u32 v9, v9, v7
	v_mul_hi_u32 v9, v7, v9
	s_delay_alu instid0(VALU_DEP_1) | instskip(NEXT) | instid1(VALU_DEP_1)
	v_add_nc_u32_e32 v7, v7, v9
	v_mul_hi_u32 v7, s0, v7
	s_delay_alu instid0(VALU_DEP_1) | instskip(NEXT) | instid1(VALU_DEP_1)
	v_mul_lo_u32 v9, v7, v6
	v_dual_add_nc_u32 v12, 1, v7 :: v_dual_sub_nc_u32 v9, s0, v9
	s_abs_i32 s0, s2
	s_delay_alu instid0(VALU_DEP_1) | instskip(NEXT) | instid1(VALU_DEP_2)
	v_cmp_ge_u32_e32 vcc_lo, v9, v6
	v_dual_sub_nc_u32 v13, v9, v6 :: v_dual_cndmask_b32 v7, v7, v12, vcc_lo
	s_delay_alu instid0(VALU_DEP_1) | instskip(NEXT) | instid1(VALU_DEP_1)
	v_dual_cndmask_b32 v9, v9, v13, vcc_lo :: v_dual_bitop2_b32 v8, s12, v8 bitop3:0x14
	v_dual_add_nc_u32 v12, 1, v7 :: v_dual_ashrrev_i32 v8, 31, v8
	s_delay_alu instid0(VALU_DEP_2) | instskip(NEXT) | instid1(VALU_DEP_2)
	v_cmp_ge_u32_e32 vcc_lo, v9, v6
	v_cndmask_b32_e32 v6, v7, v12, vcc_lo
	s_delay_alu instid0(VALU_DEP_1) | instskip(NEXT) | instid1(VALU_DEP_1)
	v_xor_b32_e32 v6, v6, v8
	v_sub_nc_u32_e32 v7, v6, v8
	s_delay_alu instid0(VALU_DEP_1) | instskip(NEXT) | instid1(VALU_DEP_1)
	v_sub_nc_u32_e32 v6, 0, v7
	v_max_i32_e32 v6, v7, v6
	s_delay_alu instid0(VALU_DEP_1) | instskip(SKIP_1) | instid1(VALU_DEP_2)
	v_cvt_f32_u32_e32 v8, v6
	v_sub_nc_u32_e32 v9, 0, v6
	v_rcp_iflag_f32_e32 v8, v8
	v_nop
	s_delay_alu instid0(TRANS32_DEP_1) | instskip(NEXT) | instid1(VALU_DEP_1)
	v_mul_f32_e32 v8, 0x4f7ffffe, v8
	v_cvt_u32_f32_e32 v8, v8
	s_delay_alu instid0(VALU_DEP_1) | instskip(NEXT) | instid1(VALU_DEP_1)
	v_mul_lo_u32 v9, v9, v8
	v_mul_hi_u32 v9, v8, v9
	s_wait_loadcnt 0x0
	v_readfirstlane_b32 s13, v0
	s_delay_alu instid0(VALU_DEP_2)
	v_dual_add_nc_u32 v0, v8, v9 :: v_dual_mov_b32 v8, v1
	scratch_store_b32 off, v8, s32 offset:196 ; 4-byte Folded Spill
	s_wait_xcnt 0x0
	v_cmpx_ne_u64_e32 0, v[24:25]
	s_cbranch_execz .LBB362_2
; %bb.1:
	s_ashr_i32 s3, s2, 31
	s_delay_alu instid0(SALU_CYCLE_1)
	v_lshl_add_u64 v[8:9], s[2:3], 2, v[24:25]
	flat_load_b32 v8, v[8:9]
	s_wait_loadcnt_dscnt 0x0
	scratch_store_b32 off, v8, s32 offset:196 ; 4-byte Folded Spill
.LBB362_2:
	s_wait_xcnt 0x0
	s_or_b32 exec_lo, exec_lo, s4
	v_mul_u64_e32 v[0:1], s[0:1], v[0:1]
	v_and_b32_e32 v24, 0x3ff, v31
	v_ashrrev_i32_e32 v0, 31, v7
	s_ashr_i32 s1, s2, 31
	s_mul_i32 s4, s2, 0x60
	s_mov_b32 s2, exec_lo
	v_cmpx_gt_u32_e32 12, v24
	s_cbranch_execz .LBB362_4
; %bb.3:
	v_mul_lo_u32 v8, v17, s11
	s_ashr_i32 s5, s4, 31
	v_dual_mov_b32 v13, 0 :: v_dual_lshlrev_b32 v12, 4, v24
	s_delay_alu instid0(VALU_DEP_2) | instskip(NEXT) | instid1(VALU_DEP_1)
	v_ashrrev_i32_e32 v9, 31, v8
	v_lshl_add_u64 v[2:3], v[8:9], 1, v[2:3]
	s_delay_alu instid0(VALU_DEP_1) | instskip(NEXT) | instid1(VALU_DEP_1)
	v_lshl_add_u64 v[2:3], s[4:5], 1, v[2:3]
	v_add_nc_u64_e32 v[2:3], v[2:3], v[12:13]
	flat_load_b128 v[26:29], v[2:3]
	s_wait_loadcnt_dscnt 0x0
	ds_store_b128 v12, v[26:29]
.LBB362_4:
	s_wait_xcnt 0x0
	s_or_b32 exec_lo, exec_lo, s2
	s_delay_alu instid0(VALU_DEP_4)
	v_mul_lo_u32 v2, v1, v6
	s_load_b32 s5, s[8:9], 0x8
	v_mul_lo_u32 v38, v14, s11
	s_wait_xcnt 0x0
	s_get_pc_i64 s[8:9]
	s_add_nc_u64 s[8:9], s[8:9], llvm.amdgcn.dynlds.offset.table@rel64+4
	v_dual_add_nc_u32 v3, 1, v1 :: v_dual_bitop2_b32 v0, s1, v0 bitop3:0x14
	s_delay_alu instid0(VALU_DEP_3) | instskip(NEXT) | instid1(VALU_DEP_1)
	v_dual_lshrrev_b32 v34, 3, v24 :: v_dual_sub_nc_u32 v2, s0, v2
	v_cmp_ge_u32_e32 vcc_lo, v2, v6
	s_delay_alu instid0(VALU_DEP_3) | instskip(SKIP_1) | instid1(VALU_DEP_1)
	v_dual_sub_nc_u32 v7, v2, v6 :: v_dual_cndmask_b32 v1, v1, v3, vcc_lo
	s_wait_dscnt 0x0
	v_dual_cndmask_b32 v2, v2, v7 :: v_dual_add_nc_u32 v7, 31, v118
	s_delay_alu instid0(VALU_DEP_2) | instskip(NEXT) | instid1(VALU_DEP_2)
	v_add_nc_u32_e32 v3, 1, v1
	v_cmp_ge_u32_e32 vcc_lo, v2, v6
	s_delay_alu instid0(VALU_DEP_3) | instskip(NEXT) | instid1(VALU_DEP_1)
	v_ashrrev_i32_e32 v2, 31, v7
	v_dual_cndmask_b32 v1, v1, v3 :: v_dual_lshrrev_b32 v2, 27, v2
	s_delay_alu instid0(VALU_DEP_1) | instskip(NEXT) | instid1(VALU_DEP_1)
	v_xor_b32_e32 v1, v1, v0
	v_dual_sub_nc_u32 v0, v1, v0 :: v_dual_add_nc_u32 v1, v7, v2
	v_and_b32_e32 v2, 31, v24
	v_mov_b32_e32 v9, 0xff7fffff
	s_delay_alu instid0(VALU_DEP_3) | instskip(NEXT) | instid1(VALU_DEP_4)
	v_mul_lo_u32 v48, v0, v19
	v_dual_lshrrev_b32 v0, 5, v24 :: v_dual_ashrrev_i32 v1, 5, v1
	v_ashrrev_i32_e32 v39, 31, v38
	v_lshlrev_b32_e32 v18, 2, v2
	s_clause 0x1
	scratch_store_b32 off, v0, s32 offset:580
	scratch_store_b32 off, v1, s32 offset:192
	v_cmp_ge_i32_e64 s0, v0, v1
	v_cmp_lt_i32_e32 vcc_lo, v0, v1
	scratch_store_b32 off, v2, s32 offset:572 ; 4-byte Folded Spill
	s_wait_storecnt 0x0
	v_ashrrev_i32_e32 v49, 31, v48
	s_barrier_signal -1
	s_barrier_wait -1
	s_wait_xcnt 0x0
	s_mov_b32 s14, exec_lo
	s_delay_alu instid0(SALU_CYCLE_1)
	s_and_b32 s1, s14, vcc_lo
	scratch_store_b32 off, v24, s32 offset:576 ; 4-byte Folded Spill
	s_wait_xcnt 0x0
	s_mov_b32 exec_lo, s1
	s_cbranch_execz .LBB362_776
; %bb.5:
	v_mov_b32_e32 v17, 0
	s_clause 0x1
	scratch_store_b64 off, v[36:37], s32 offset:608
	scratch_store_b64 off, v[22:23], s32 offset:600
	s_ashr_i32 s7, s6, 31
	ds_load_b128 v[0:3], v17
	ds_load_b128 v[6:9], v17 offset:16
	ds_load_b128 v[24:27], v17 offset:32
	;; [unrolled: 1-line block ×4, first 2 shown]
	s_lshl_b64 s[2:3], s[6:7], 2
	s_mov_b32 s7, 0
	s_add_nc_u64 s[2:3], s[8:9], s[2:3]
	s_wait_dscnt 0x4
	s_wait_xcnt 0x0
	v_and_b32_e32 v23, 0xffff0000, v0
	v_dual_lshlrev_b32 v22, 16, v0 :: v_dual_lshlrev_b32 v0, 16, v2
	scratch_store_b64 off, v[22:23], s32 offset:204 ; 8-byte Folded Spill
	s_wait_xcnt 0x0
	v_and_b32_e32 v23, 0xffff0000, v1
	v_lshlrev_b32_e32 v22, 16, v1
	v_and_b32_e32 v1, 0xffff0000, v2
	s_clause 0x1
	scratch_store_b64 off, v[22:23], s32 offset:212
	scratch_store_b64 off, v[0:1], s32 offset:220
	s_wait_xcnt 0x0
	v_and_b32_e32 v1, 0xffff0000, v3
	v_lshlrev_b32_e32 v0, 16, v3
	scratch_store_b64 off, v[0:1], s32 offset:228 ; 8-byte Folded Spill
	s_wait_dscnt 0x3
	s_wait_xcnt 0x0
	v_and_b32_e32 v1, 0xffff0000, v6
	s_wait_dscnt 0x2
	v_dual_lshlrev_b32 v0, 16, v6 :: v_dual_lshlrev_b32 v6, 16, v25
	scratch_store_b64 off, v[0:1], s32 offset:236 ; 8-byte Folded Spill
	s_wait_xcnt 0x0
	v_and_b32_e32 v1, 0xffff0000, v7
	v_lshlrev_b32_e32 v0, 16, v7
	v_and_b32_e32 v7, 0xffff0000, v25
	s_clause 0x1
	scratch_store_b64 off, v[0:1], s32 offset:252
	scratch_store_b64 off, v[6:7], s32 offset:300
	s_wait_xcnt 0x1
	v_and_b32_e32 v1, 0xffff0000, v8
	v_lshlrev_b32_e32 v0, 16, v8
	s_wait_dscnt 0x1
	s_wait_xcnt 0x0
	v_and_b32_e32 v7, 0xffff0000, v13
	v_lshlrev_b32_e32 v6, 16, v13
	scratch_store_b64 off, v[0:1], s32 offset:268 ; 8-byte Folded Spill
	s_wait_xcnt 0x0
	v_and_b32_e32 v1, 0xffff0000, v9
	v_lshlrev_b32_e32 v0, 16, v9
	scratch_store_b64 off, v[6:7], s32 offset:308 ; 8-byte Folded Spill
	;; [unrolled: 4-line block ×7, first 2 shown]
	s_wait_xcnt 0x0
	ds_load_b128 v[0:3], v17 offset:80
	scratch_store_b64 off, v[6:7], s32 offset:332 ; 8-byte Folded Spill
	s_wait_xcnt 0x0
	v_and_b32_e32 v7, 0xffff0000, v15
	v_lshlrev_b32_e32 v6, 16, v15
	scratch_store_b64 off, v[6:7], s32 offset:340 ; 8-byte Folded Spill
	s_wait_dscnt 0x1
	s_wait_xcnt 0x0
	v_and_b32_e32 v7, 0xffff0000, v28
	v_lshlrev_b32_e32 v6, 16, v28
	scratch_store_b64 off, v[6:7], s32 offset:348 ; 8-byte Folded Spill
	s_wait_xcnt 0x0
	v_and_b32_e32 v7, 0xffff0000, v29
	v_lshlrev_b32_e32 v6, 16, v29
	scratch_store_b64 off, v[6:7], s32 offset:356 ; 8-byte Folded Spill
	;; [unrolled: 4-line block ×4, first 2 shown]
	s_wait_dscnt 0x0
	s_wait_xcnt 0x0
	v_and_b32_e32 v7, 0xffff0000, v0
	v_dual_lshlrev_b32 v6, 16, v0 :: v_dual_lshlrev_b32 v0, 16, v2
	scratch_store_b64 off, v[6:7], s32 offset:380 ; 8-byte Folded Spill
	s_wait_xcnt 0x0
	v_and_b32_e32 v7, 0xffff0000, v1
	v_lshlrev_b32_e32 v6, 16, v1
	v_and_b32_e32 v1, 0xffff0000, v2
	s_clause 0x1
	scratch_store_b64 off, v[6:7], s32 offset:388
	scratch_store_b64 off, v[0:1], s32 offset:396
	s_wait_xcnt 0x0
	v_and_b32_e32 v1, 0xffff0000, v3
	v_lshlrev_b32_e32 v0, 16, v3
	scratch_store_b64 off, v[0:1], s32 offset:404 ; 8-byte Folded Spill
	s_wait_xcnt 0x0
	ds_load_b128 v[0:3], v17 offset:96
	ds_load_b128 v[6:9], v17 offset:112
	s_wait_dscnt 0x1
	v_and_b32_e32 v13, 0xffff0000, v0
	v_dual_lshlrev_b32 v12, 16, v0 :: v_dual_lshlrev_b32 v0, 16, v2
	scratch_store_b64 off, v[12:13], s32 offset:412 ; 8-byte Folded Spill
	s_wait_xcnt 0x0
	v_and_b32_e32 v13, 0xffff0000, v1
	v_lshlrev_b32_e32 v12, 16, v1
	v_and_b32_e32 v1, 0xffff0000, v2
	s_clause 0x1
	scratch_store_b64 off, v[12:13], s32 offset:420
	scratch_store_b64 off, v[0:1], s32 offset:428
	s_wait_xcnt 0x0
	v_and_b32_e32 v1, 0xffff0000, v3
	v_lshlrev_b32_e32 v0, 16, v3
	scratch_store_b64 off, v[0:1], s32 offset:436 ; 8-byte Folded Spill
	s_wait_dscnt 0x0
	s_wait_xcnt 0x0
	v_and_b32_e32 v1, 0xffff0000, v6
	v_lshlrev_b32_e32 v0, 16, v6
	scratch_store_b64 off, v[0:1], s32 offset:444 ; 8-byte Folded Spill
	s_wait_xcnt 0x0
	v_and_b32_e32 v1, 0xffff0000, v7
	v_lshlrev_b32_e32 v0, 16, v7
	scratch_store_b64 off, v[0:1], s32 offset:452 ; 8-byte Folded Spill
	;; [unrolled: 4-line block ×4, first 2 shown]
	s_wait_xcnt 0x0
	ds_load_b128 v[0:3], v17 offset:128
	ds_load_b128 v[6:9], v17 offset:144
	s_wait_dscnt 0x1
	v_and_b32_e32 v13, 0xffff0000, v0
	v_dual_lshlrev_b32 v12, 16, v0 :: v_dual_lshlrev_b32 v0, 16, v2
	scratch_store_b64 off, v[12:13], s32 offset:476 ; 8-byte Folded Spill
	s_wait_xcnt 0x0
	v_and_b32_e32 v13, 0xffff0000, v1
	v_lshlrev_b32_e32 v12, 16, v1
	v_and_b32_e32 v1, 0xffff0000, v2
	s_clause 0x1
	scratch_store_b64 off, v[12:13], s32 offset:484
	scratch_store_b64 off, v[0:1], s32 offset:492
	s_wait_xcnt 0x0
	v_and_b32_e32 v1, 0xffff0000, v3
	v_lshlrev_b32_e32 v0, 16, v3
	scratch_store_b64 off, v[0:1], s32 offset:500 ; 8-byte Folded Spill
	s_wait_dscnt 0x0
	s_wait_xcnt 0x0
	v_and_b32_e32 v1, 0xffff0000, v6
	v_lshlrev_b32_e32 v0, 16, v6
	scratch_store_b64 off, v[0:1], s32 offset:508 ; 8-byte Folded Spill
	s_wait_xcnt 0x0
	v_and_b32_e32 v1, 0xffff0000, v7
	v_lshlrev_b32_e32 v0, 16, v7
	scratch_store_b64 off, v[0:1], s32 offset:516 ; 8-byte Folded Spill
	;; [unrolled: 4-line block ×4, first 2 shown]
	s_wait_xcnt 0x0
	ds_load_b128 v[0:3], v17 offset:160
	ds_load_b128 v[6:9], v17 offset:176
	scratch_store_b64 off, v[48:49], s32 offset:624 ; 8-byte Folded Spill
	s_load_b32 s1, s[2:3], 0x0
	s_wait_xcnt 0x0
	s_mov_b64 s[2:3], 0xffffffffffffff
	s_wait_dscnt 0x1
	v_and_b32_e32 v13, 0xffff0000, v0
	v_dual_lshlrev_b32 v12, 16, v0 :: v_dual_lshlrev_b32 v0, 16, v2
	v_and_b32_e32 v93, 0xffff0000, v3
	v_lshlrev_b32_e32 v92, 16, v3
	s_wait_dscnt 0x0
	v_and_b32_e32 v95, 0xffff0000, v6
	scratch_store_b64 off, v[12:13], s32 offset:540 ; 8-byte Folded Spill
	s_wait_xcnt 0x0
	v_and_b32_e32 v13, 0xffff0000, v1
	v_lshlrev_b32_e32 v12, 16, v1
	v_and_b32_e32 v1, 0xffff0000, v2
	scratch_load_b32 v2, off, s32 offset:572 ; 4-byte Folded Reload
	v_lshlrev_b32_e32 v94, 16, v6
	v_and_b32_e32 v105, 0xffff0000, v7
	s_clause 0x1
	scratch_store_b64 off, v[12:13], s32 offset:548
	scratch_store_b64 off, v[0:1], s32 offset:556
	s_wait_xcnt 0x0
	v_add_nc_u64_e32 v[0:1], v[4:5], v[48:49]
	v_lshlrev_b32_e32 v104, 16, v7
	v_and_b32_e32 v107, 0xffff0000, v8
	v_lshlrev_b32_e32 v106, 16, v8
	v_and_b32_e32 v109, 0xffff0000, v9
	v_dual_mov_b32 v9, 0xff7fffff :: v_dual_lshlrev_b32 v108, 16, v9
	s_wait_loadcnt 0x0
	v_lshlrev_b32_e32 v16, 4, v2
	s_delay_alu instid0(VALU_DEP_1)
	v_add_nc_u64_e32 v[0:1], v[0:1], v[16:17]
	s_clause 0x3
	scratch_store_b64 off, v[0:1], s32 offset:564
	scratch_store_b32 off, v34, s32 offset:632
	scratch_load_b32 v0, off, s32 offset:196
	scratch_load_b32 v42, off, s32 offset:580
	v_and_b32_e32 v16, 0x7c, v34
	s_clause 0x2
	scratch_store_b64 off, v[38:39], s32 offset:616
	scratch_store_b64 off, v[10:11], s32 offset:592
	scratch_store_b32 off, v18, s32 offset:636
	s_wait_loadcnt 0x1
	v_cmp_neq_f32_e32 vcc_lo, 0, v0
	v_lshl_add_u64 v[0:1], v[38:39], 2, v[16:17]
	s_wait_loadcnt 0x0
	v_lshl_or_b32 v41, v42, 5, v2
	s_delay_alu instid0(VALU_DEP_2) | instskip(SKIP_2) | instid1(VALU_DEP_1)
	v_add_nc_u64_e32 v[110:111], v[10:11], v[0:1]
	v_lshl_or_b32 v0, v42, 7, v18
	s_wait_kmcnt 0x0
	v_add_nc_u32_e32 v40, s1, v0
	s_branch .LBB362_10
.LBB362_6:                              ;   in Loop: Header=BB362_10 Depth=1
	s_or_b32 exec_lo, exec_lo, s18
	s_delay_alu instid0(VALU_DEP_1) | instskip(NEXT) | instid1(VALU_DEP_2)
	v_dual_lshlrev_b32 v98, 24, v98 :: v_dual_lshlrev_b32 v16, 20, v16
	v_lshl_add_u32 v99, v99, 23, 0x3c000000
	s_delay_alu instid0(VALU_DEP_2) | instskip(NEXT) | instid1(VALU_DEP_1)
	v_and_b32_e32 v98, 0x80000000, v98
	v_or3_b32 v103, v16, v98, v99
.LBB362_7:                              ;   in Loop: Header=BB362_10 Depth=1
	s_or_b32 exec_lo, exec_lo, s17
.LBB362_8:                              ;   in Loop: Header=BB362_10 Depth=1
	s_delay_alu instid0(SALU_CYCLE_1)
	s_or_b32 exec_lo, exec_lo, s16
.LBB362_9:                              ;   in Loop: Header=BB362_10 Depth=1
	s_delay_alu instid0(SALU_CYCLE_1)
	s_or_b32 exec_lo, exec_lo, s15
	v_fma_mixlo_bf16 v91, v8, v75, 0
	v_fma_mixlo_bf16 v16, v8, v88, 0
	;; [unrolled: 1-line block ×6, first 2 shown]
	v_pk_mul_f32 v[114:115], v[8:9], v[32:33] op_sel_hi:[0,1]
	v_pk_mul_f32 v[32:33], v[8:9], v[6:7] op_sel_hi:[0,1]
	;; [unrolled: 1-line block ×5, first 2 shown]
	v_fma_mixlo_bf16 v61, v8, v61, 0
	v_fma_mixlo_bf16 v45, v8, v45, 0
	v_pk_mul_f32 v[10:11], v[8:9], v[100:101] op_sel_hi:[0,1]
	v_pk_mul_f32 v[100:101], v[8:9], v[120:121] op_sel_hi:[0,1]
	;; [unrolled: 1-line block ×3, first 2 shown]
	v_dual_lshlrev_b32 v102, 16, v75 :: v_dual_lshlrev_b32 v103, 16, v61
	v_dual_lshlrev_b32 v120, 16, v74 :: v_dual_lshlrev_b32 v121, 16, v45
	scratch_load_b64 v[74:75], off, s32 offset:236 ; 8-byte Folded Reload
	v_fma_mixlo_bf16 v77, v8, v77, 0
	v_fma_mixlo_bf16 v119, v8, v90, 0
	v_pk_mul_f32 v[122:123], v[8:9], v[122:123] op_sel_hi:[0,1]
	v_pk_mul_f32 v[86:87], v[8:9], v[86:87] op_sel_hi:[0,1]
	;; [unrolled: 1-line block ×27, first 2 shown]
	v_fma_mixlo_bf16 v89, v8, v89, 0
	v_fma_mixlo_bf16 v78, v8, v78, 0
	;; [unrolled: 1-line block ×14, first 2 shown]
	v_pk_mul_f32 v[96:97], v[8:9], v[96:97] op_sel_hi:[0,1]
	v_cvt_pk_bf16_f32 v8, v122, v123
	v_cvt_pk_bf16_f32 v6, v6, v7
	;; [unrolled: 1-line block ×3, first 2 shown]
	v_cmp_lt_i32_e64 s1, v41, v118
	v_add_nc_u64_e32 v[110:111], 16, v[110:111]
	s_delay_alu instid0(VALU_DEP_4)
	v_and_b32_e32 v7, 0xffff0000, v6
	v_lshlrev_b32_e32 v6, 16, v6
	v_and_b32_e32 v1, 0xffff0000, v0
	v_lshlrev_b32_e32 v0, 16, v0
	s_wait_loadcnt 0x0
	v_pk_mul_f32 v[102:103], v[102:103], v[74:75]
	scratch_load_b64 v[74:75], off, s32 offset:204 ; 8-byte Folded Reload
	s_wait_loadcnt 0x0
	v_pk_fma_f32 v[102:103], v[120:121], v[74:75], v[102:103]
	v_dual_lshlrev_b32 v75, 16, v77 :: v_dual_lshlrev_b32 v74, 16, v91
	scratch_load_b64 v[90:91], off, s32 offset:284 ; 8-byte Folded Reload
	s_wait_loadcnt 0x0
	v_pk_fma_f32 v[102:103], v[90:91], v[74:75], v[102:103]
	scratch_load_b64 v[90:91], off, s32 offset:292 ; 8-byte Folded Reload
	v_and_b32_e32 v75, 0xffff0000, v8
	v_lshlrev_b32_e32 v74, 16, v8
	v_cvt_pk_bf16_f32 v8, v116, v117
	s_delay_alu instid0(VALU_DEP_1) | instskip(SKIP_2) | instid1(VALU_DEP_1)
	v_and_b32_e32 v117, 0xffff0000, v8
	v_lshlrev_b32_e32 v116, 16, v8
	v_cvt_pk_bf16_f32 v8, v114, v115
	v_and_b32_e32 v115, 0xffff0000, v8
	v_lshlrev_b32_e32 v114, 16, v8
	v_cvt_pk_bf16_f32 v8, v68, v69
	s_delay_alu instid0(VALU_DEP_1) | instskip(SKIP_2) | instid1(VALU_DEP_1)
	v_and_b32_e32 v69, 0xffff0000, v8
	v_lshlrev_b32_e32 v68, 16, v8
	v_cvt_pk_bf16_f32 v8, v54, v55
	v_and_b32_e32 v55, 0xffff0000, v8
	v_lshlrev_b32_e32 v54, 16, v8
	v_cvt_pk_bf16_f32 v8, v70, v71
	scratch_load_b64 v[70:71], off, s32 offset:476 ; 8-byte Folded Reload
	s_wait_loadcnt 0x1
	v_pk_fma_f32 v[102:103], v[90:91], v[74:75], v[102:103]
	scratch_load_b64 v[74:75], off, s32 offset:348 ; 8-byte Folded Reload
	s_wait_loadcnt 0x0
	v_pk_fma_f32 v[102:103], v[74:75], v[116:117], v[102:103]
	;; [unrolled: 3-line block ×5, first 2 shown]
	v_and_b32_e32 v69, 0xffff0000, v8
	v_lshlrev_b32_e32 v68, 16, v8
	v_cvt_pk_bf16_f32 v8, v112, v113
	s_delay_alu instid0(VALU_DEP_2)
	v_pk_fma_f32 v[54:55], v[70:71], v[68:69], v[54:55]
	scratch_load_b64 v[70:71], off, s32 offset:508 ; 8-byte Folded Reload
	v_and_b32_e32 v69, 0xffff0000, v8
	v_lshlrev_b32_e32 v68, 16, v8
	v_cvt_pk_bf16_f32 v8, v84, v85
	scratch_load_b64 v[84:85], off, s32 offset:252 ; 8-byte Folded Reload
	s_wait_loadcnt 0x1
	v_pk_fma_f32 v[54:55], v[70:71], v[68:69], v[54:55]
	scratch_load_b64 v[70:71], off, s32 offset:540 ; 8-byte Folded Reload
	v_and_b32_e32 v69, 0xffff0000, v8
	v_lshlrev_b32_e32 v68, 16, v8
	v_cvt_pk_bf16_f32 v8, v96, v97
	s_wait_loadcnt 0x0
	s_delay_alu instid0(VALU_DEP_2) | instskip(NEXT) | instid1(VALU_DEP_2)
	v_pk_fma_f32 v[54:55], v[70:71], v[68:69], v[54:55]
	v_and_b32_e32 v69, 0xffff0000, v8
	v_lshlrev_b32_e32 v68, 16, v8
	v_cvt_pk_bf16_f32 v8, v52, v53
	v_dual_lshlrev_b32 v70, 16, v72 :: v_dual_lshlrev_b32 v71, 16, v47
	s_delay_alu instid0(VALU_DEP_3) | instskip(SKIP_1) | instid1(VALU_DEP_4)
	v_pk_fma_f32 v[54:55], v[94:95], v[68:69], v[54:55]
	v_dual_lshlrev_b32 v68, 16, v88 :: v_dual_lshlrev_b32 v69, 16, v63
	v_and_b32_e32 v53, 0xffff0000, v8
	v_lshlrev_b32_e32 v52, 16, v8
	v_cvt_pk_bf16_f32 v8, v36, v37
	s_delay_alu instid0(VALU_DEP_4) | instskip(SKIP_4) | instid1(VALU_DEP_1)
	v_pk_mul_f32 v[68:69], v[68:69], v[84:85]
	scratch_load_b64 v[84:85], off, s32 offset:212 ; 8-byte Folded Reload
	v_and_b32_e32 v37, 0xffff0000, v8
	v_lshlrev_b32_e32 v36, 16, v8
	v_cvt_pk_bf16_f32 v8, v34, v35
	v_and_b32_e32 v35, 0xffff0000, v8
	v_lshlrev_b32_e32 v34, 16, v8
	v_cvt_pk_bf16_f32 v8, v48, v49
	scratch_load_b64 v[48:49], off, s32 offset:420 ; 8-byte Folded Reload
	s_wait_loadcnt 0x1
	v_pk_fma_f32 v[68:69], v[70:71], v[84:85], v[68:69]
	scratch_load_b64 v[84:85], off, s32 offset:300 ; 8-byte Folded Reload
	v_dual_lshlrev_b32 v71, 16, v79 :: v_dual_lshlrev_b32 v70, 16, v76
	s_wait_loadcnt 0x0
	s_delay_alu instid0(VALU_DEP_1)
	v_pk_fma_f32 v[68:69], v[84:85], v[70:71], v[68:69]
	scratch_load_b64 v[70:71], off, s32 offset:308 ; 8-byte Folded Reload
	s_wait_loadcnt 0x0
	v_pk_fma_f32 v[52:53], v[70:71], v[52:53], v[68:69]
	scratch_load_b64 v[68:69], off, s32 offset:356 ; 8-byte Folded Reload
	s_wait_loadcnt 0x0
	;; [unrolled: 3-line block ×3, first 2 shown]
	v_pk_fma_f32 v[34:35], v[52:53], v[34:35], v[36:37]
	v_and_b32_e32 v37, 0xffff0000, v8
	v_lshlrev_b32_e32 v36, 16, v8
	v_cvt_pk_bf16_f32 v8, v64, v65
	scratch_load_b64 v[52:53], off, s32 offset:268 ; 8-byte Folded Reload
	v_pk_fma_f32 v[34:35], v[48:49], v[36:37], v[34:35]
	scratch_load_b64 v[48:49], off, s32 offset:452 ; 8-byte Folded Reload
	v_and_b32_e32 v37, 0xffff0000, v8
	v_lshlrev_b32_e32 v36, 16, v8
	v_cvt_pk_bf16_f32 v8, v80, v81
	s_wait_loadcnt 0x0
	s_delay_alu instid0(VALU_DEP_2)
	v_pk_fma_f32 v[34:35], v[48:49], v[36:37], v[34:35]
	scratch_load_b64 v[48:49], off, s32 offset:484 ; 8-byte Folded Reload
	v_and_b32_e32 v37, 0xffff0000, v8
	v_lshlrev_b32_e32 v36, 16, v8
	v_cvt_pk_bf16_f32 v8, v82, v83
	s_wait_loadcnt 0x0
	s_delay_alu instid0(VALU_DEP_2)
	;; [unrolled: 7-line block ×3, first 2 shown]
	v_pk_fma_f32 v[34:35], v[48:49], v[36:37], v[34:35]
	scratch_load_b64 v[48:49], off, s32 offset:548 ; 8-byte Folded Reload
	v_and_b32_e32 v37, 0xffff0000, v8
	v_lshlrev_b32_e32 v36, 16, v8
	v_cvt_pk_bf16_f32 v8, v100, v101
	s_wait_loadcnt 0x0
	s_delay_alu instid0(VALU_DEP_2) | instskip(NEXT) | instid1(VALU_DEP_2)
	v_pk_fma_f32 v[34:35], v[48:49], v[36:37], v[34:35]
	v_and_b32_e32 v37, 0xffff0000, v8
	v_lshlrev_b32_e32 v36, 16, v8
	v_cvt_pk_bf16_f32 v8, v22, v23
	v_dual_lshlrev_b32 v48, 16, v46 :: v_dual_lshlrev_b32 v49, 16, v57
	s_delay_alu instid0(VALU_DEP_2) | instskip(SKIP_2) | instid1(VALU_DEP_1)
	v_and_b32_e32 v23, 0xffff0000, v8
	v_lshlrev_b32_e32 v22, 16, v8
	v_cvt_pk_bf16_f32 v8, v32, v33
	v_lshlrev_b32_e32 v32, 16, v8
	v_pk_fma_f32 v[34:35], v[104:105], v[36:37], v[34:35]
	v_dual_lshlrev_b32 v36, 16, v62 :: v_dual_lshlrev_b32 v37, 16, v73
	v_and_b32_e32 v33, 0xffff0000, v8
	v_cvt_pk_bf16_f32 v8, v38, v39
	s_delay_alu instid0(VALU_DEP_3)
	v_pk_mul_f32 v[36:37], v[36:37], v[52:53]
	scratch_load_b64 v[52:53], off, s32 offset:220 ; 8-byte Folded Reload
	s_wait_loadcnt 0x0
	v_pk_fma_f32 v[36:37], v[48:49], v[52:53], v[36:37]
	scratch_load_b64 v[52:53], off, s32 offset:316 ; 8-byte Folded Reload
	v_dual_lshlrev_b32 v49, 16, v89 :: v_dual_lshlrev_b32 v48, 16, v78
	s_wait_loadcnt 0x0
	s_delay_alu instid0(VALU_DEP_1)
	v_pk_fma_f32 v[36:37], v[52:53], v[48:49], v[36:37]
	scratch_load_b64 v[48:49], off, s32 offset:332 ; 8-byte Folded Reload
	s_wait_loadcnt 0x0
	v_pk_fma_f32 v[22:23], v[48:49], v[22:23], v[36:37]
	scratch_load_b64 v[36:37], off, s32 offset:364 ; 8-byte Folded Reload
	s_wait_loadcnt 0x0
	v_pk_fma_f32 v[22:23], v[36:37], v[32:33], v[22:23]
	scratch_load_b64 v[36:37], off, s32 offset:396 ; 8-byte Folded Reload
	v_and_b32_e32 v33, 0xffff0000, v8
	v_lshlrev_b32_e32 v32, 16, v8
	v_cvt_pk_bf16_f32 v8, v50, v51
	s_wait_loadcnt 0x0
	s_delay_alu instid0(VALU_DEP_2)
	v_pk_fma_f32 v[22:23], v[36:37], v[32:33], v[22:23]
	scratch_load_b64 v[36:37], off, s32 offset:428 ; 8-byte Folded Reload
	v_and_b32_e32 v33, 0xffff0000, v8
	v_lshlrev_b32_e32 v32, 16, v8
	v_cvt_pk_bf16_f32 v8, v66, v67
	s_wait_loadcnt 0x0
	s_delay_alu instid0(VALU_DEP_2) | instskip(SKIP_4) | instid1(VALU_DEP_1)
	v_pk_fma_f32 v[22:23], v[36:37], v[32:33], v[22:23]
	scratch_load_b64 v[36:37], off, s32 offset:460 ; 8-byte Folded Reload
	v_and_b32_e32 v33, 0xffff0000, v8
	v_lshlrev_b32_e32 v32, 16, v8
	v_cvt_pk_bf16_f32 v8, v26, v27
	v_and_b32_e32 v27, 0xffff0000, v8
	v_lshlrev_b32_e32 v26, 16, v8
	v_cvt_pk_bf16_f32 v8, v30, v31
	scratch_load_b64 v[30:31], off, s32 offset:524 ; 8-byte Folded Reload
	s_wait_loadcnt 0x1
	v_pk_fma_f32 v[22:23], v[36:37], v[32:33], v[22:23]
	scratch_load_b64 v[32:33], off, s32 offset:492 ; 8-byte Folded Reload
	s_wait_loadcnt 0x0
	v_pk_fma_f32 v[22:23], v[32:33], v[26:27], v[22:23]
	v_and_b32_e32 v27, 0xffff0000, v8
	v_lshlrev_b32_e32 v26, 16, v8
	scratch_load_b64 v[32:33], off, s32 offset:276 ; 8-byte Folded Reload
	v_cvt_pk_bf16_f32 v8, v86, v87
	v_pk_fma_f32 v[22:23], v[30:31], v[26:27], v[22:23]
	scratch_load_b64 v[30:31], off, s32 offset:556 ; 8-byte Folded Reload
	v_and_b32_e32 v27, 0xffff0000, v8
	v_lshlrev_b32_e32 v26, 16, v8
	v_cvt_pk_bf16_f32 v8, v4, v5
	s_wait_loadcnt 0x0
	s_delay_alu instid0(VALU_DEP_2) | instskip(SKIP_2) | instid1(VALU_DEP_2)
	v_pk_fma_f32 v[22:23], v[30:31], v[26:27], v[22:23]
	v_dual_lshlrev_b32 v26, 16, v59 :: v_dual_lshlrev_b32 v27, 16, v60
	v_dual_lshlrev_b32 v30, 16, v43 :: v_dual_lshlrev_b32 v31, 16, v44
	v_pk_mul_f32 v[26:27], v[26:27], v[32:33]
	scratch_load_b64 v[32:33], off, s32 offset:228 ; 8-byte Folded Reload
	s_wait_loadcnt 0x0
	v_pk_fma_f32 v[26:27], v[30:31], v[32:33], v[26:27]
	scratch_load_b64 v[32:33], off, s32 offset:324 ; 8-byte Folded Reload
	v_dual_lshlrev_b32 v31, 16, v119 :: v_dual_lshlrev_b32 v30, 16, v16
	s_wait_loadcnt 0x0
	s_delay_alu instid0(VALU_DEP_1)
	v_pk_fma_f32 v[26:27], v[32:33], v[30:31], v[26:27]
	scratch_load_b64 v[30:31], off, s32 offset:340 ; 8-byte Folded Reload
	s_wait_loadcnt 0x0
	v_pk_fma_f32 v[6:7], v[30:31], v[6:7], v[26:27]
	scratch_load_b64 v[26:27], off, s32 offset:372 ; 8-byte Folded Reload
	s_wait_loadcnt 0x0
	v_pk_fma_f32 v[0:1], v[26:27], v[0:1], v[6:7]
	v_cvt_pk_bf16_f32 v6, v18, v19
	scratch_load_b64 v[18:19], off, s32 offset:404 ; 8-byte Folded Reload
	v_and_b32_e32 v7, 0xffff0000, v6
	v_lshlrev_b32_e32 v6, 16, v6
	s_wait_loadcnt 0x0
	s_delay_alu instid0(VALU_DEP_1) | instskip(SKIP_2) | instid1(VALU_DEP_1)
	v_pk_fma_f32 v[0:1], v[18:19], v[6:7], v[0:1]
	scratch_load_b64 v[18:19], off, s32 offset:436 ; 8-byte Folded Reload
	v_cvt_pk_bf16_f32 v6, v24, v25
	v_and_b32_e32 v7, 0xffff0000, v6
	v_lshlrev_b32_e32 v6, 16, v6
	s_wait_loadcnt 0x0
	s_delay_alu instid0(VALU_DEP_1)
	v_pk_fma_f32 v[0:1], v[18:19], v[6:7], v[0:1]
	v_cvt_pk_bf16_f32 v6, v12, v13
	v_and_b32_e32 v7, 0xffff0000, v8
	v_cvt_pk_bf16_f32 v13, v14, v15
	scratch_load_b64 v[14:15], off, s32 offset:500 ; 8-byte Folded Reload
	v_cvt_pk_bf16_f32 v12, v28, v29
	v_and_b32_e32 v5, 0xffff0000, v6
	v_dual_lshlrev_b32 v4, 16, v6 :: v_dual_lshlrev_b32 v6, 16, v8
	v_cvt_pk_bf16_f32 v8, v10, v11
	scratch_load_b64 v[10:11], off, s32 offset:468 ; 8-byte Folded Reload
	s_wait_loadcnt 0x0
	v_pk_fma_f32 v[0:1], v[10:11], v[4:5], v[0:1]
	v_add_f32_e32 v10, v54, v55
	v_and_b32_e32 v5, 0xffff0000, v13
	v_lshlrev_b32_e32 v4, 16, v13
	v_and_b32_e32 v11, 0xffff0000, v12
	v_pk_fma_f32 v[0:1], v[14:15], v[6:7], v[0:1]
	v_and_b32_e32 v7, 0xffff0000, v8
	v_dual_lshlrev_b32 v6, 16, v8 :: v_dual_add_f32 v8, v10, v34
	v_lshlrev_b32_e32 v10, 16, v12
	scratch_load_b64 v[12:13], off, s32 offset:532 ; 8-byte Folded Reload
	s_wait_loadcnt 0x0
	v_pk_fma_f32 v[0:1], v[12:13], v[4:5], v[0:1]
	v_cvt_pk_bf16_f32 v4, v2, v3
	v_pk_fma_f32 v[2:3], v[106:107], v[6:7], v[22:23]
	v_dual_add_f32 v6, v35, v8 :: v_dual_sub_nc_u32 v5, 1, v118
	s_delay_alu instid0(VALU_DEP_4) | instskip(NEXT) | instid1(VALU_DEP_2)
	v_pk_fma_f32 v[0:1], v[92:93], v[10:11], v[0:1]
	v_add_nc_u32_e32 v7, v5, v41
	v_and_b32_e32 v5, 0xffff0000, v4
	s_delay_alu instid0(VALU_DEP_4) | instskip(SKIP_1) | instid1(VALU_DEP_4)
	v_dual_lshlrev_b32 v4, 16, v4 :: v_dual_add_f32 v2, v2, v6
	v_add_nc_u32_e32 v41, 0x80, v41
	v_cvt_f32_i32_e32 v6, v7
	s_delay_alu instid0(VALU_DEP_3) | instskip(NEXT) | instid1(VALU_DEP_4)
	v_pk_fma_f32 v[0:1], v[108:109], v[4:5], v[0:1]
	v_add_f32_e32 v2, v3, v2
	scratch_load_b32 v3, off, s32 offset:196 ; 4-byte Folded Reload
	v_add_f32_e32 v0, v0, v2
	s_delay_alu instid0(VALU_DEP_1) | instskip(SKIP_3) | instid1(VALU_DEP_1)
	v_add_f32_e32 v0, v1, v0
	scratch_load_b32 v1, off, s32 offset:200 ; 4-byte Folded Reload
	s_wait_loadcnt 0x1
	v_mul_f32_e32 v3, v3, v6
	v_cndmask_b32_e32 v2, 0, v3, vcc_lo
	s_wait_loadcnt 0x0
	s_delay_alu instid0(VALU_DEP_1) | instskip(NEXT) | instid1(VALU_DEP_1)
	v_fmac_f32_e32 v2, v1, v0
	v_dual_max_num_f32 v0, v9, v9 :: v_dual_cndmask_b32 v1, 0, v2, s1
	s_delay_alu instid0(VALU_DEP_1)
	v_max_num_f32_e32 v0, v0, v2
	v_add_nc_u32_e32 v42, 4, v42
	ds_store_b32 v40, v1
	v_cndmask_b32_e64 v9, v9, v0, s1
	scratch_load_b32 v0, off, s32 offset:192 ; 4-byte Folded Reload
	v_add_nc_u32_e32 v40, 0x200, v40
	s_wait_loadcnt 0x0
	v_cmp_ge_i32_e64 s1, v42, v0
	s_or_b32 s7, s1, s7
	s_wait_xcnt 0x0
	s_and_not1_b32 exec_lo, exec_lo, s7
	s_cbranch_execz .LBB362_775
.LBB362_10:                             ; =>This Inner Loop Header: Depth=1
	flat_load_b32 v0, v[110:111]
	s_clause 0x1
	scratch_load_b64 v[2:3], off, s32 offset:244
	scratch_load_b64 v[4:5], off, s32 offset:564
	v_mov_b32_e32 v43, 0
	s_mov_b32 s15, exec_lo
	s_wait_loadcnt_dscnt 0x0
	v_mad_nc_i64_i32 v[120:121], v0, v2, v[4:5]
	flat_load_b64 v[0:1], v[120:121]
	flat_load_b32 v8, v[20:21]
	s_wait_loadcnt_dscnt 0x101
	v_and_b32_e32 v2, 0xff, v0
	s_wait_xcnt 0x0
	s_delay_alu instid0(VALU_DEP_1)
	v_cmpx_ne_u16_e32 0, v2
	s_cbranch_execz .LBB362_18
; %bb.11:                               ;   in Loop: Header=BB362_10 Depth=1
	v_bfrev_b32_e32 v43, 1
	s_mov_b32 s16, exec_lo
	v_cmpx_ne_u16_e32 0x80, v2
	s_cbranch_execz .LBB362_17
; %bb.12:                               ;   in Loop: Header=BB362_10 Depth=1
	v_and_b32_e32 v2, 0x7f, v0
	v_mov_b32_e32 v43, 0x7f800001
	s_mov_b32 s17, exec_lo
	s_delay_alu instid0(VALU_DEP_2)
	v_cmpx_ne_u32_e32 0x7f, v2
	s_cbranch_execz .LBB362_16
; %bb.13:                               ;   in Loop: Header=BB362_10 Depth=1
	v_lshrrev_b32_e32 v4, 3, v2
	v_cmp_gt_u32_e64 s1, 8, v2
	v_mov_b64_e32 v[2:3], v[0:1]
	s_and_saveexec_b32 s18, s1
; %bb.14:                               ;   in Loop: Header=BB362_10 Depth=1
	v_and_b32_e32 v2, 7, v0
	s_delay_alu instid0(VALU_DEP_1) | instskip(NEXT) | instid1(VALU_DEP_1)
	v_clz_i32_u32_e32 v2, v2
	v_min_u32_e32 v4, 32, v2
	s_delay_alu instid0(VALU_DEP_1) | instskip(SKIP_1) | instid1(VALU_DEP_2)
	v_subrev_nc_u32_e32 v2, 28, v4
	v_sub_nc_u32_e32 v4, 29, v4
	v_lshlrev_b64_e32 v[2:3], v2, v[0:1]
; %bb.15:                               ;   in Loop: Header=BB362_10 Depth=1
	s_or_b32 exec_lo, exec_lo, s18
	s_delay_alu instid0(VALU_DEP_1) | instskip(NEXT) | instid1(VALU_DEP_3)
	v_dual_lshlrev_b32 v2, 20, v2 :: v_dual_lshlrev_b32 v3, 24, v0
	v_lshl_add_u32 v4, v4, 23, 0x3c000000
	s_delay_alu instid0(VALU_DEP_2) | instskip(NEXT) | instid1(VALU_DEP_3)
	v_and_b32_e32 v2, 0x700000, v2
	v_and_b32_e32 v3, 0x80000000, v3
	s_delay_alu instid0(VALU_DEP_1)
	v_or3_b32 v43, v2, v3, v4
.LBB362_16:                             ;   in Loop: Header=BB362_10 Depth=1
	s_or_b32 exec_lo, exec_lo, s17
.LBB362_17:                             ;   in Loop: Header=BB362_10 Depth=1
	s_delay_alu instid0(SALU_CYCLE_1)
	s_or_b32 exec_lo, exec_lo, s16
.LBB362_18:                             ;   in Loop: Header=BB362_10 Depth=1
	s_delay_alu instid0(SALU_CYCLE_1) | instskip(SKIP_3) | instid1(VALU_DEP_2)
	s_or_b32 exec_lo, exec_lo, s15
	v_lshrrev_b16 v2, 8, v0
	v_dual_mov_b32 v44, 0 :: v_dual_mov_b32 v45, 0
	s_mov_b32 s15, exec_lo
	v_cmpx_ne_u16_e32 0, v2
	s_cbranch_execz .LBB362_26
; %bb.19:                               ;   in Loop: Header=BB362_10 Depth=1
	v_bfrev_b32_e32 v45, 1
	s_mov_b32 s16, exec_lo
	v_cmpx_ne_u16_e32 0x80, v2
	s_cbranch_execz .LBB362_25
; %bb.20:                               ;   in Loop: Header=BB362_10 Depth=1
	v_and_b32_e32 v2, 0xffff, v2
	v_mov_b32_e32 v45, 0x7f800001
	s_mov_b32 s17, exec_lo
	s_delay_alu instid0(VALU_DEP_2) | instskip(NEXT) | instid1(VALU_DEP_1)
	v_and_b32_e32 v3, 0x7f, v2
	v_cmpx_ne_u32_e32 0x7f, v3
	s_cbranch_execz .LBB362_24
; %bb.21:                               ;   in Loop: Header=BB362_10 Depth=1
	v_dual_lshrrev_b32 v2, 3, v3 :: v_dual_bitop2_b32 v16, 7, v2 bitop3:0x40
	s_mov_b32 s18, exec_lo
	v_cmpx_gt_u32_e32 8, v3
; %bb.22:                               ;   in Loop: Header=BB362_10 Depth=1
	s_delay_alu instid0(VALU_DEP_2) | instskip(NEXT) | instid1(VALU_DEP_1)
	v_clz_i32_u32_e32 v2, v16
	v_min_u32_e32 v2, 32, v2
	s_delay_alu instid0(VALU_DEP_1) | instskip(NEXT) | instid1(VALU_DEP_1)
	v_subrev_nc_u32_e32 v3, 28, v2
	v_lshlrev_b64_e32 v[4:5], v3, v[16:17]
	s_delay_alu instid0(VALU_DEP_1)
	v_dual_sub_nc_u32 v2, 29, v2 :: v_dual_bitop2_b32 v16, 7, v4 bitop3:0x40
; %bb.23:                               ;   in Loop: Header=BB362_10 Depth=1
	s_or_b32 exec_lo, exec_lo, s18
	v_lshlrev_b32_e32 v3, 16, v0
	s_delay_alu instid0(VALU_DEP_2) | instskip(NEXT) | instid1(VALU_DEP_3)
	v_lshlrev_b32_e32 v4, 20, v16
	v_lshl_add_u32 v2, v2, 23, 0x3c000000
	s_delay_alu instid0(VALU_DEP_3) | instskip(NEXT) | instid1(VALU_DEP_1)
	v_and_b32_e32 v3, 0x80000000, v3
	v_or3_b32 v45, v4, v3, v2
.LBB362_24:                             ;   in Loop: Header=BB362_10 Depth=1
	s_or_b32 exec_lo, exec_lo, s17
.LBB362_25:                             ;   in Loop: Header=BB362_10 Depth=1
	s_delay_alu instid0(SALU_CYCLE_1)
	s_or_b32 exec_lo, exec_lo, s16
.LBB362_26:                             ;   in Loop: Header=BB362_10 Depth=1
	s_delay_alu instid0(SALU_CYCLE_1) | instskip(SKIP_2) | instid1(VALU_DEP_1)
	s_or_b32 exec_lo, exec_lo, s15
	v_lshrrev_b32_e32 v2, 16, v0
	s_mov_b32 s15, exec_lo
	v_and_b32_e32 v3, 0xff, v2
	s_delay_alu instid0(VALU_DEP_1)
	v_cmpx_ne_u16_e32 0, v3
	s_cbranch_execz .LBB362_34
; %bb.27:                               ;   in Loop: Header=BB362_10 Depth=1
	v_bfrev_b32_e32 v44, 1
	s_mov_b32 s16, exec_lo
	v_cmpx_ne_u16_e32 0x80, v3
	s_cbranch_execz .LBB362_33
; %bb.28:                               ;   in Loop: Header=BB362_10 Depth=1
	v_bfe_u32 v4, v0, 16, 7
	v_mov_b32_e32 v44, 0x7f800001
	s_mov_b32 s17, exec_lo
	s_delay_alu instid0(VALU_DEP_2)
	v_cmpx_ne_u32_e32 0x7f, v4
	s_cbranch_execz .LBB362_32
; %bb.29:                               ;   in Loop: Header=BB362_10 Depth=1
	v_dual_lshrrev_b32 v3, 3, v4 :: v_dual_bitop2_b32 v16, 7, v2 bitop3:0x40
	s_mov_b32 s18, exec_lo
	v_cmpx_gt_u32_e32 8, v4
; %bb.30:                               ;   in Loop: Header=BB362_10 Depth=1
	s_delay_alu instid0(VALU_DEP_2) | instskip(NEXT) | instid1(VALU_DEP_1)
	v_clz_i32_u32_e32 v3, v16
	v_min_u32_e32 v3, 32, v3
	s_delay_alu instid0(VALU_DEP_1) | instskip(NEXT) | instid1(VALU_DEP_1)
	v_subrev_nc_u32_e32 v4, 28, v3
	v_lshlrev_b64_e32 v[4:5], v4, v[16:17]
	s_delay_alu instid0(VALU_DEP_1)
	v_dual_sub_nc_u32 v3, 29, v3 :: v_dual_bitop2_b32 v16, 7, v4 bitop3:0x40
; %bb.31:                               ;   in Loop: Header=BB362_10 Depth=1
	s_or_b32 exec_lo, exec_lo, s18
	s_delay_alu instid0(VALU_DEP_1) | instskip(NEXT) | instid1(VALU_DEP_2)
	v_dual_lshlrev_b32 v2, 24, v2 :: v_dual_lshlrev_b32 v4, 20, v16
	v_lshl_add_u32 v3, v3, 23, 0x3c000000
	s_delay_alu instid0(VALU_DEP_2) | instskip(NEXT) | instid1(VALU_DEP_1)
	v_and_b32_e32 v2, 0x80000000, v2
	v_or3_b32 v44, v4, v2, v3
.LBB362_32:                             ;   in Loop: Header=BB362_10 Depth=1
	s_or_b32 exec_lo, exec_lo, s17
.LBB362_33:                             ;   in Loop: Header=BB362_10 Depth=1
	s_delay_alu instid0(SALU_CYCLE_1)
	s_or_b32 exec_lo, exec_lo, s16
.LBB362_34:                             ;   in Loop: Header=BB362_10 Depth=1
	s_delay_alu instid0(SALU_CYCLE_1)
	s_or_b32 exec_lo, exec_lo, s15
	v_dual_mov_b32 v46, 0 :: v_dual_mov_b32 v47, 0
	s_mov_b32 s15, exec_lo
	v_cmpx_lt_u32_e32 0xffffff, v0
	s_cbranch_execz .LBB362_42
; %bb.35:                               ;   in Loop: Header=BB362_10 Depth=1
	v_lshrrev_b32_e32 v2, 24, v0
	v_bfrev_b32_e32 v47, 1
	s_mov_b32 s16, exec_lo
	s_delay_alu instid0(VALU_DEP_2)
	v_cmpx_ne_u32_e32 0x80, v2
	s_cbranch_execz .LBB362_41
; %bb.36:                               ;   in Loop: Header=BB362_10 Depth=1
	v_bfe_u32 v4, v0, 24, 7
	v_mov_b32_e32 v47, 0x7f800001
	s_mov_b32 s17, exec_lo
	s_delay_alu instid0(VALU_DEP_2)
	v_cmpx_ne_u32_e32 0x7f, v4
	s_cbranch_execz .LBB362_40
; %bb.37:                               ;   in Loop: Header=BB362_10 Depth=1
	v_dual_lshrrev_b32 v3, 3, v4 :: v_dual_bitop2_b32 v16, 7, v2 bitop3:0x40
	s_mov_b32 s18, exec_lo
	v_cmpx_gt_u32_e32 8, v4
; %bb.38:                               ;   in Loop: Header=BB362_10 Depth=1
	s_delay_alu instid0(VALU_DEP_2) | instskip(NEXT) | instid1(VALU_DEP_1)
	v_clz_i32_u32_e32 v3, v16
	v_min_u32_e32 v3, 32, v3
	s_delay_alu instid0(VALU_DEP_1) | instskip(NEXT) | instid1(VALU_DEP_1)
	v_subrev_nc_u32_e32 v4, 28, v3
	v_lshlrev_b64_e32 v[4:5], v4, v[16:17]
	s_delay_alu instid0(VALU_DEP_1)
	v_dual_sub_nc_u32 v3, 29, v3 :: v_dual_bitop2_b32 v16, 7, v4 bitop3:0x40
; %bb.39:                               ;   in Loop: Header=BB362_10 Depth=1
	s_or_b32 exec_lo, exec_lo, s18
	s_delay_alu instid0(VALU_DEP_1) | instskip(NEXT) | instid1(VALU_DEP_2)
	v_dual_lshlrev_b32 v2, 24, v2 :: v_dual_lshlrev_b32 v4, 20, v16
	v_lshl_add_u32 v3, v3, 23, 0x3c000000
	s_delay_alu instid0(VALU_DEP_2) | instskip(NEXT) | instid1(VALU_DEP_1)
	v_and_b32_e32 v2, 0x80000000, v2
	v_or3_b32 v47, v4, v2, v3
.LBB362_40:                             ;   in Loop: Header=BB362_10 Depth=1
	s_or_b32 exec_lo, exec_lo, s17
.LBB362_41:                             ;   in Loop: Header=BB362_10 Depth=1
	s_delay_alu instid0(SALU_CYCLE_1)
	s_or_b32 exec_lo, exec_lo, s16
.LBB362_42:                             ;   in Loop: Header=BB362_10 Depth=1
	s_delay_alu instid0(SALU_CYCLE_1) | instskip(SKIP_3) | instid1(VALU_DEP_2)
	s_or_b32 exec_lo, exec_lo, s15
	v_and_b32_e32 v2, 0xff, v1
	v_mov_b32_e32 v16, v1
	s_mov_b32 s15, exec_lo
	v_cmpx_ne_u16_e32 0, v2
	s_cbranch_execz .LBB362_50
; %bb.43:                               ;   in Loop: Header=BB362_10 Depth=1
	v_bfrev_b32_e32 v46, 1
	s_mov_b32 s16, exec_lo
	v_cmpx_ne_u16_e32 0x80, v2
	s_cbranch_execz .LBB362_49
; %bb.44:                               ;   in Loop: Header=BB362_10 Depth=1
	v_and_b32_e32 v2, 0x7f, v1
	v_mov_b32_e32 v46, 0x7f800001
	s_mov_b32 s17, exec_lo
	s_delay_alu instid0(VALU_DEP_2)
	v_cmpx_ne_u32_e32 0x7f, v2
	s_cbranch_execz .LBB362_48
; %bb.45:                               ;   in Loop: Header=BB362_10 Depth=1
	v_lshrrev_b32_e32 v4, 3, v2
	v_cmp_gt_u32_e64 s1, 8, v2
	v_mov_b64_e32 v[2:3], v[16:17]
	s_and_saveexec_b32 s18, s1
; %bb.46:                               ;   in Loop: Header=BB362_10 Depth=1
	v_and_b32_e32 v2, 7, v1
	s_delay_alu instid0(VALU_DEP_1) | instskip(NEXT) | instid1(VALU_DEP_1)
	v_clz_i32_u32_e32 v2, v2
	v_min_u32_e32 v4, 32, v2
	s_delay_alu instid0(VALU_DEP_1) | instskip(SKIP_1) | instid1(VALU_DEP_2)
	v_subrev_nc_u32_e32 v2, 28, v4
	v_sub_nc_u32_e32 v4, 29, v4
	v_lshlrev_b64_e32 v[2:3], v2, v[16:17]
; %bb.47:                               ;   in Loop: Header=BB362_10 Depth=1
	s_or_b32 exec_lo, exec_lo, s18
	s_delay_alu instid0(VALU_DEP_1) | instskip(NEXT) | instid1(VALU_DEP_3)
	v_dual_lshlrev_b32 v2, 20, v2 :: v_dual_lshlrev_b32 v3, 24, v16
	v_lshl_add_u32 v4, v4, 23, 0x3c000000
	s_delay_alu instid0(VALU_DEP_2) | instskip(NEXT) | instid1(VALU_DEP_3)
	v_and_b32_e32 v2, 0x700000, v2
	v_and_b32_e32 v3, 0x80000000, v3
	s_delay_alu instid0(VALU_DEP_1)
	v_or3_b32 v46, v2, v3, v4
.LBB362_48:                             ;   in Loop: Header=BB362_10 Depth=1
	s_or_b32 exec_lo, exec_lo, s17
.LBB362_49:                             ;   in Loop: Header=BB362_10 Depth=1
	s_delay_alu instid0(SALU_CYCLE_1)
	s_or_b32 exec_lo, exec_lo, s16
.LBB362_50:                             ;   in Loop: Header=BB362_10 Depth=1
	s_delay_alu instid0(SALU_CYCLE_1) | instskip(SKIP_3) | instid1(VALU_DEP_2)
	s_or_b32 exec_lo, exec_lo, s15
	v_lshrrev_b16 v2, 8, v16
	v_dual_mov_b32 v56, 0 :: v_dual_mov_b32 v57, 0
	s_mov_b32 s15, exec_lo
	v_cmpx_ne_u16_e32 0, v2
	s_cbranch_execz .LBB362_58
; %bb.51:                               ;   in Loop: Header=BB362_10 Depth=1
	v_bfrev_b32_e32 v57, 1
	s_mov_b32 s16, exec_lo
	v_cmpx_ne_u16_e32 0x80, v2
	s_cbranch_execz .LBB362_57
; %bb.52:                               ;   in Loop: Header=BB362_10 Depth=1
	v_and_b32_e32 v2, 0xffff, v2
	v_mov_b32_e32 v57, 0x7f800001
	s_mov_b32 s17, exec_lo
	s_delay_alu instid0(VALU_DEP_2) | instskip(NEXT) | instid1(VALU_DEP_1)
	v_and_b32_e32 v5, 0x7f, v2
	v_cmpx_ne_u32_e32 0x7f, v5
	s_cbranch_execz .LBB362_56
; %bb.53:                               ;   in Loop: Header=BB362_10 Depth=1
	v_dual_mov_b32 v3, v17 :: v_dual_bitop2_b32 v2, 7, v2 bitop3:0x40
	v_lshrrev_b32_e32 v4, 3, v5
	s_mov_b32 s18, exec_lo
	v_cmpx_gt_u32_e32 8, v5
; %bb.54:                               ;   in Loop: Header=BB362_10 Depth=1
	s_delay_alu instid0(VALU_DEP_3) | instskip(NEXT) | instid1(VALU_DEP_1)
	v_clz_i32_u32_e32 v4, v2
	v_min_u32_e32 v4, 32, v4
	s_delay_alu instid0(VALU_DEP_1) | instskip(NEXT) | instid1(VALU_DEP_1)
	v_subrev_nc_u32_e32 v5, 28, v4
	v_lshlrev_b64_e32 v[2:3], v5, v[2:3]
	s_delay_alu instid0(VALU_DEP_1)
	v_dual_sub_nc_u32 v4, 29, v4 :: v_dual_bitop2_b32 v2, 7, v2 bitop3:0x40
; %bb.55:                               ;   in Loop: Header=BB362_10 Depth=1
	s_or_b32 exec_lo, exec_lo, s18
	s_delay_alu instid0(VALU_DEP_1) | instskip(NEXT) | instid1(VALU_DEP_2)
	v_dual_lshlrev_b32 v3, 16, v16 :: v_dual_lshlrev_b32 v2, 20, v2
	v_lshl_add_u32 v4, v4, 23, 0x3c000000
	s_delay_alu instid0(VALU_DEP_2) | instskip(NEXT) | instid1(VALU_DEP_1)
	v_and_b32_e32 v3, 0x80000000, v3
	v_or3_b32 v57, v2, v3, v4
.LBB362_56:                             ;   in Loop: Header=BB362_10 Depth=1
	s_or_b32 exec_lo, exec_lo, s17
.LBB362_57:                             ;   in Loop: Header=BB362_10 Depth=1
	s_delay_alu instid0(SALU_CYCLE_1)
	s_or_b32 exec_lo, exec_lo, s16
.LBB362_58:                             ;   in Loop: Header=BB362_10 Depth=1
	s_delay_alu instid0(SALU_CYCLE_1) | instskip(SKIP_2) | instid1(VALU_DEP_1)
	s_or_b32 exec_lo, exec_lo, s15
	v_lshrrev_b32_e32 v2, 16, v1
	s_mov_b32 s15, exec_lo
	v_and_b32_e32 v3, 0xff, v2
	s_delay_alu instid0(VALU_DEP_1)
	v_cmpx_ne_u16_e32 0, v3
	s_cbranch_execz .LBB362_66
; %bb.59:                               ;   in Loop: Header=BB362_10 Depth=1
	v_bfrev_b32_e32 v56, 1
	s_mov_b32 s16, exec_lo
	v_cmpx_ne_u16_e32 0x80, v3
	s_cbranch_execz .LBB362_65
; %bb.60:                               ;   in Loop: Header=BB362_10 Depth=1
	v_bfe_u32 v4, v1, 16, 7
	v_mov_b32_e32 v56, 0x7f800001
	s_mov_b32 s17, exec_lo
	s_delay_alu instid0(VALU_DEP_2)
	v_cmpx_ne_u32_e32 0x7f, v4
	s_cbranch_execz .LBB362_64
; %bb.61:                               ;   in Loop: Header=BB362_10 Depth=1
	v_dual_lshrrev_b32 v3, 3, v4 :: v_dual_bitop2_b32 v16, 7, v2 bitop3:0x40
	s_mov_b32 s18, exec_lo
	v_cmpx_gt_u32_e32 8, v4
; %bb.62:                               ;   in Loop: Header=BB362_10 Depth=1
	s_delay_alu instid0(VALU_DEP_2) | instskip(NEXT) | instid1(VALU_DEP_1)
	v_clz_i32_u32_e32 v3, v16
	v_min_u32_e32 v3, 32, v3
	s_delay_alu instid0(VALU_DEP_1) | instskip(NEXT) | instid1(VALU_DEP_1)
	v_subrev_nc_u32_e32 v4, 28, v3
	v_lshlrev_b64_e32 v[4:5], v4, v[16:17]
	s_delay_alu instid0(VALU_DEP_1)
	v_dual_sub_nc_u32 v3, 29, v3 :: v_dual_bitop2_b32 v16, 7, v4 bitop3:0x40
; %bb.63:                               ;   in Loop: Header=BB362_10 Depth=1
	s_or_b32 exec_lo, exec_lo, s18
	s_delay_alu instid0(VALU_DEP_1) | instskip(NEXT) | instid1(VALU_DEP_2)
	v_dual_lshlrev_b32 v2, 24, v2 :: v_dual_lshlrev_b32 v4, 20, v16
	v_lshl_add_u32 v3, v3, 23, 0x3c000000
	s_delay_alu instid0(VALU_DEP_2) | instskip(NEXT) | instid1(VALU_DEP_1)
	v_and_b32_e32 v2, 0x80000000, v2
	v_or3_b32 v56, v4, v2, v3
.LBB362_64:                             ;   in Loop: Header=BB362_10 Depth=1
	s_or_b32 exec_lo, exec_lo, s17
.LBB362_65:                             ;   in Loop: Header=BB362_10 Depth=1
	s_delay_alu instid0(SALU_CYCLE_1)
	s_or_b32 exec_lo, exec_lo, s16
.LBB362_66:                             ;   in Loop: Header=BB362_10 Depth=1
	s_delay_alu instid0(SALU_CYCLE_1)
	s_or_b32 exec_lo, exec_lo, s15
	v_dual_mov_b32 v59, 0 :: v_dual_mov_b32 v58, 0
	s_mov_b32 s15, exec_lo
	v_cmpx_lt_u64_e64 s[2:3], v[0:1]
	s_cbranch_execz .LBB362_74
; %bb.67:                               ;   in Loop: Header=BB362_10 Depth=1
	v_lshrrev_b32_e32 v0, 24, v1
	v_bfrev_b32_e32 v58, 1
	s_mov_b32 s16, exec_lo
	s_delay_alu instid0(VALU_DEP_2)
	v_cmpx_ne_u32_e32 0x80, v0
	s_cbranch_execz .LBB362_73
; %bb.68:                               ;   in Loop: Header=BB362_10 Depth=1
	v_bfe_u32 v2, v1, 24, 7
	v_mov_b32_e32 v58, 0x7f800001
	s_mov_b32 s17, exec_lo
	s_delay_alu instid0(VALU_DEP_2)
	v_cmpx_ne_u32_e32 0x7f, v2
	s_cbranch_execz .LBB362_72
; %bb.69:                               ;   in Loop: Header=BB362_10 Depth=1
	v_dual_lshrrev_b32 v1, 3, v2 :: v_dual_bitop2_b32 v16, 7, v0 bitop3:0x40
	s_mov_b32 s18, exec_lo
	v_cmpx_gt_u32_e32 8, v2
; %bb.70:                               ;   in Loop: Header=BB362_10 Depth=1
	s_delay_alu instid0(VALU_DEP_2) | instskip(NEXT) | instid1(VALU_DEP_1)
	v_clz_i32_u32_e32 v1, v16
	v_min_u32_e32 v1, 32, v1
	s_delay_alu instid0(VALU_DEP_1) | instskip(NEXT) | instid1(VALU_DEP_1)
	v_subrev_nc_u32_e32 v2, 28, v1
	v_lshlrev_b64_e32 v[2:3], v2, v[16:17]
	s_delay_alu instid0(VALU_DEP_1)
	v_dual_sub_nc_u32 v1, 29, v1 :: v_dual_bitop2_b32 v16, 7, v2 bitop3:0x40
; %bb.71:                               ;   in Loop: Header=BB362_10 Depth=1
	s_or_b32 exec_lo, exec_lo, s18
	v_lshlrev_b32_e32 v0, 24, v0
	s_delay_alu instid0(VALU_DEP_2) | instskip(NEXT) | instid1(VALU_DEP_3)
	v_lshlrev_b32_e32 v2, 20, v16
	v_lshl_add_u32 v1, v1, 23, 0x3c000000
	s_delay_alu instid0(VALU_DEP_3) | instskip(NEXT) | instid1(VALU_DEP_1)
	v_and_b32_e32 v0, 0x80000000, v0
	v_or3_b32 v58, v2, v0, v1
.LBB362_72:                             ;   in Loop: Header=BB362_10 Depth=1
	s_or_b32 exec_lo, exec_lo, s17
.LBB362_73:                             ;   in Loop: Header=BB362_10 Depth=1
	s_delay_alu instid0(SALU_CYCLE_1)
	s_or_b32 exec_lo, exec_lo, s16
.LBB362_74:                             ;   in Loop: Header=BB362_10 Depth=1
	s_delay_alu instid0(SALU_CYCLE_1)
	s_or_b32 exec_lo, exec_lo, s15
	flat_load_b64 v[0:1], v[120:121] offset:8
	s_mov_b32 s15, exec_lo
	s_wait_loadcnt_dscnt 0x0
	v_and_b32_e32 v2, 0xff, v0
	s_wait_xcnt 0x0
	s_delay_alu instid0(VALU_DEP_1)
	v_cmpx_ne_u16_e32 0, v2
	s_cbranch_execz .LBB362_82
; %bb.75:                               ;   in Loop: Header=BB362_10 Depth=1
	v_bfrev_b32_e32 v59, 1
	s_mov_b32 s16, exec_lo
	v_cmpx_ne_u16_e32 0x80, v2
	s_cbranch_execz .LBB362_81
; %bb.76:                               ;   in Loop: Header=BB362_10 Depth=1
	v_and_b32_e32 v2, 0x7f, v0
	v_mov_b32_e32 v59, 0x7f800001
	s_mov_b32 s17, exec_lo
	s_delay_alu instid0(VALU_DEP_2)
	v_cmpx_ne_u32_e32 0x7f, v2
	s_cbranch_execz .LBB362_80
; %bb.77:                               ;   in Loop: Header=BB362_10 Depth=1
	v_lshrrev_b32_e32 v4, 3, v2
	v_cmp_gt_u32_e64 s1, 8, v2
	v_mov_b64_e32 v[2:3], v[0:1]
	s_and_saveexec_b32 s18, s1
; %bb.78:                               ;   in Loop: Header=BB362_10 Depth=1
	v_and_b32_e32 v2, 7, v0
	s_delay_alu instid0(VALU_DEP_1) | instskip(NEXT) | instid1(VALU_DEP_1)
	v_clz_i32_u32_e32 v2, v2
	v_min_u32_e32 v4, 32, v2
	s_delay_alu instid0(VALU_DEP_1) | instskip(SKIP_1) | instid1(VALU_DEP_2)
	v_subrev_nc_u32_e32 v2, 28, v4
	v_sub_nc_u32_e32 v4, 29, v4
	v_lshlrev_b64_e32 v[2:3], v2, v[0:1]
; %bb.79:                               ;   in Loop: Header=BB362_10 Depth=1
	s_or_b32 exec_lo, exec_lo, s18
	s_delay_alu instid0(VALU_DEP_1) | instskip(NEXT) | instid1(VALU_DEP_3)
	v_dual_lshlrev_b32 v2, 20, v2 :: v_dual_lshlrev_b32 v3, 24, v0
	v_lshl_add_u32 v4, v4, 23, 0x3c000000
	s_delay_alu instid0(VALU_DEP_2) | instskip(NEXT) | instid1(VALU_DEP_3)
	v_and_b32_e32 v2, 0x700000, v2
	v_and_b32_e32 v3, 0x80000000, v3
	s_delay_alu instid0(VALU_DEP_1)
	v_or3_b32 v59, v2, v3, v4
.LBB362_80:                             ;   in Loop: Header=BB362_10 Depth=1
	s_or_b32 exec_lo, exec_lo, s17
.LBB362_81:                             ;   in Loop: Header=BB362_10 Depth=1
	s_delay_alu instid0(SALU_CYCLE_1)
	s_or_b32 exec_lo, exec_lo, s16
.LBB362_82:                             ;   in Loop: Header=BB362_10 Depth=1
	s_delay_alu instid0(SALU_CYCLE_1) | instskip(SKIP_3) | instid1(VALU_DEP_2)
	s_or_b32 exec_lo, exec_lo, s15
	v_lshrrev_b16 v2, 8, v0
	v_dual_mov_b32 v60, 0 :: v_dual_mov_b32 v61, 0
	s_mov_b32 s15, exec_lo
	v_cmpx_ne_u16_e32 0, v2
	s_cbranch_execz .LBB362_90
; %bb.83:                               ;   in Loop: Header=BB362_10 Depth=1
	v_bfrev_b32_e32 v61, 1
	s_mov_b32 s16, exec_lo
	v_cmpx_ne_u16_e32 0x80, v2
	s_cbranch_execz .LBB362_89
; %bb.84:                               ;   in Loop: Header=BB362_10 Depth=1
	v_and_b32_e32 v2, 0xffff, v2
	v_mov_b32_e32 v61, 0x7f800001
	s_mov_b32 s17, exec_lo
	s_delay_alu instid0(VALU_DEP_2) | instskip(NEXT) | instid1(VALU_DEP_1)
	v_and_b32_e32 v3, 0x7f, v2
	v_cmpx_ne_u32_e32 0x7f, v3
	s_cbranch_execz .LBB362_88
; %bb.85:                               ;   in Loop: Header=BB362_10 Depth=1
	v_dual_lshrrev_b32 v2, 3, v3 :: v_dual_bitop2_b32 v16, 7, v2 bitop3:0x40
	s_mov_b32 s18, exec_lo
	v_cmpx_gt_u32_e32 8, v3
; %bb.86:                               ;   in Loop: Header=BB362_10 Depth=1
	s_delay_alu instid0(VALU_DEP_2) | instskip(NEXT) | instid1(VALU_DEP_1)
	v_clz_i32_u32_e32 v2, v16
	v_min_u32_e32 v2, 32, v2
	s_delay_alu instid0(VALU_DEP_1) | instskip(NEXT) | instid1(VALU_DEP_1)
	v_subrev_nc_u32_e32 v3, 28, v2
	v_lshlrev_b64_e32 v[4:5], v3, v[16:17]
	s_delay_alu instid0(VALU_DEP_1)
	v_dual_sub_nc_u32 v2, 29, v2 :: v_dual_bitop2_b32 v16, 7, v4 bitop3:0x40
; %bb.87:                               ;   in Loop: Header=BB362_10 Depth=1
	s_or_b32 exec_lo, exec_lo, s18
	v_lshlrev_b32_e32 v3, 16, v0
	s_delay_alu instid0(VALU_DEP_2) | instskip(NEXT) | instid1(VALU_DEP_3)
	v_lshlrev_b32_e32 v4, 20, v16
	v_lshl_add_u32 v2, v2, 23, 0x3c000000
	s_delay_alu instid0(VALU_DEP_3) | instskip(NEXT) | instid1(VALU_DEP_1)
	v_and_b32_e32 v3, 0x80000000, v3
	v_or3_b32 v61, v4, v3, v2
.LBB362_88:                             ;   in Loop: Header=BB362_10 Depth=1
	s_or_b32 exec_lo, exec_lo, s17
.LBB362_89:                             ;   in Loop: Header=BB362_10 Depth=1
	s_delay_alu instid0(SALU_CYCLE_1)
	s_or_b32 exec_lo, exec_lo, s16
.LBB362_90:                             ;   in Loop: Header=BB362_10 Depth=1
	s_delay_alu instid0(SALU_CYCLE_1) | instskip(SKIP_2) | instid1(VALU_DEP_1)
	s_or_b32 exec_lo, exec_lo, s15
	v_lshrrev_b32_e32 v2, 16, v0
	s_mov_b32 s15, exec_lo
	v_and_b32_e32 v3, 0xff, v2
	s_delay_alu instid0(VALU_DEP_1)
	v_cmpx_ne_u16_e32 0, v3
	s_cbranch_execz .LBB362_98
; %bb.91:                               ;   in Loop: Header=BB362_10 Depth=1
	v_bfrev_b32_e32 v60, 1
	s_mov_b32 s16, exec_lo
	v_cmpx_ne_u16_e32 0x80, v3
	s_cbranch_execz .LBB362_97
; %bb.92:                               ;   in Loop: Header=BB362_10 Depth=1
	v_bfe_u32 v4, v0, 16, 7
	v_mov_b32_e32 v60, 0x7f800001
	s_mov_b32 s17, exec_lo
	s_delay_alu instid0(VALU_DEP_2)
	v_cmpx_ne_u32_e32 0x7f, v4
	s_cbranch_execz .LBB362_96
; %bb.93:                               ;   in Loop: Header=BB362_10 Depth=1
	v_dual_lshrrev_b32 v3, 3, v4 :: v_dual_bitop2_b32 v16, 7, v2 bitop3:0x40
	s_mov_b32 s18, exec_lo
	v_cmpx_gt_u32_e32 8, v4
; %bb.94:                               ;   in Loop: Header=BB362_10 Depth=1
	s_delay_alu instid0(VALU_DEP_2) | instskip(NEXT) | instid1(VALU_DEP_1)
	v_clz_i32_u32_e32 v3, v16
	v_min_u32_e32 v3, 32, v3
	s_delay_alu instid0(VALU_DEP_1) | instskip(NEXT) | instid1(VALU_DEP_1)
	v_subrev_nc_u32_e32 v4, 28, v3
	v_lshlrev_b64_e32 v[4:5], v4, v[16:17]
	s_delay_alu instid0(VALU_DEP_1)
	v_dual_sub_nc_u32 v3, 29, v3 :: v_dual_bitop2_b32 v16, 7, v4 bitop3:0x40
; %bb.95:                               ;   in Loop: Header=BB362_10 Depth=1
	s_or_b32 exec_lo, exec_lo, s18
	s_delay_alu instid0(VALU_DEP_1) | instskip(NEXT) | instid1(VALU_DEP_2)
	v_dual_lshlrev_b32 v2, 24, v2 :: v_dual_lshlrev_b32 v4, 20, v16
	v_lshl_add_u32 v3, v3, 23, 0x3c000000
	s_delay_alu instid0(VALU_DEP_2) | instskip(NEXT) | instid1(VALU_DEP_1)
	v_and_b32_e32 v2, 0x80000000, v2
	v_or3_b32 v60, v4, v2, v3
.LBB362_96:                             ;   in Loop: Header=BB362_10 Depth=1
	s_or_b32 exec_lo, exec_lo, s17
.LBB362_97:                             ;   in Loop: Header=BB362_10 Depth=1
	s_delay_alu instid0(SALU_CYCLE_1)
	s_or_b32 exec_lo, exec_lo, s16
.LBB362_98:                             ;   in Loop: Header=BB362_10 Depth=1
	s_delay_alu instid0(SALU_CYCLE_1)
	s_or_b32 exec_lo, exec_lo, s15
	v_dual_mov_b32 v62, 0 :: v_dual_mov_b32 v63, 0
	s_mov_b32 s15, exec_lo
	v_cmpx_lt_u32_e32 0xffffff, v0
	s_cbranch_execz .LBB362_106
; %bb.99:                               ;   in Loop: Header=BB362_10 Depth=1
	v_lshrrev_b32_e32 v2, 24, v0
	v_bfrev_b32_e32 v63, 1
	s_mov_b32 s16, exec_lo
	s_delay_alu instid0(VALU_DEP_2)
	v_cmpx_ne_u32_e32 0x80, v2
	s_cbranch_execz .LBB362_105
; %bb.100:                              ;   in Loop: Header=BB362_10 Depth=1
	v_bfe_u32 v4, v0, 24, 7
	v_mov_b32_e32 v63, 0x7f800001
	s_mov_b32 s17, exec_lo
	s_delay_alu instid0(VALU_DEP_2)
	v_cmpx_ne_u32_e32 0x7f, v4
	s_cbranch_execz .LBB362_104
; %bb.101:                              ;   in Loop: Header=BB362_10 Depth=1
	v_dual_lshrrev_b32 v3, 3, v4 :: v_dual_bitop2_b32 v16, 7, v2 bitop3:0x40
	s_mov_b32 s18, exec_lo
	v_cmpx_gt_u32_e32 8, v4
; %bb.102:                              ;   in Loop: Header=BB362_10 Depth=1
	s_delay_alu instid0(VALU_DEP_2) | instskip(NEXT) | instid1(VALU_DEP_1)
	v_clz_i32_u32_e32 v3, v16
	v_min_u32_e32 v3, 32, v3
	s_delay_alu instid0(VALU_DEP_1) | instskip(NEXT) | instid1(VALU_DEP_1)
	v_subrev_nc_u32_e32 v4, 28, v3
	v_lshlrev_b64_e32 v[4:5], v4, v[16:17]
	s_delay_alu instid0(VALU_DEP_1)
	v_dual_sub_nc_u32 v3, 29, v3 :: v_dual_bitop2_b32 v16, 7, v4 bitop3:0x40
; %bb.103:                              ;   in Loop: Header=BB362_10 Depth=1
	s_or_b32 exec_lo, exec_lo, s18
	s_delay_alu instid0(VALU_DEP_1) | instskip(NEXT) | instid1(VALU_DEP_2)
	v_dual_lshlrev_b32 v2, 24, v2 :: v_dual_lshlrev_b32 v4, 20, v16
	v_lshl_add_u32 v3, v3, 23, 0x3c000000
	s_delay_alu instid0(VALU_DEP_2) | instskip(NEXT) | instid1(VALU_DEP_1)
	v_and_b32_e32 v2, 0x80000000, v2
	v_or3_b32 v63, v4, v2, v3
.LBB362_104:                            ;   in Loop: Header=BB362_10 Depth=1
	s_or_b32 exec_lo, exec_lo, s17
.LBB362_105:                            ;   in Loop: Header=BB362_10 Depth=1
	s_delay_alu instid0(SALU_CYCLE_1)
	s_or_b32 exec_lo, exec_lo, s16
.LBB362_106:                            ;   in Loop: Header=BB362_10 Depth=1
	s_delay_alu instid0(SALU_CYCLE_1) | instskip(SKIP_3) | instid1(VALU_DEP_2)
	s_or_b32 exec_lo, exec_lo, s15
	v_and_b32_e32 v2, 0xff, v1
	v_mov_b32_e32 v16, v1
	s_mov_b32 s15, exec_lo
	v_cmpx_ne_u16_e32 0, v2
	s_cbranch_execz .LBB362_114
; %bb.107:                              ;   in Loop: Header=BB362_10 Depth=1
	v_bfrev_b32_e32 v62, 1
	s_mov_b32 s16, exec_lo
	v_cmpx_ne_u16_e32 0x80, v2
	s_cbranch_execz .LBB362_113
; %bb.108:                              ;   in Loop: Header=BB362_10 Depth=1
	v_and_b32_e32 v2, 0x7f, v1
	v_mov_b32_e32 v62, 0x7f800001
	s_mov_b32 s17, exec_lo
	s_delay_alu instid0(VALU_DEP_2)
	v_cmpx_ne_u32_e32 0x7f, v2
	s_cbranch_execz .LBB362_112
; %bb.109:                              ;   in Loop: Header=BB362_10 Depth=1
	v_lshrrev_b32_e32 v4, 3, v2
	v_cmp_gt_u32_e64 s1, 8, v2
	v_mov_b64_e32 v[2:3], v[16:17]
	s_and_saveexec_b32 s18, s1
; %bb.110:                              ;   in Loop: Header=BB362_10 Depth=1
	v_and_b32_e32 v2, 7, v1
	s_delay_alu instid0(VALU_DEP_1) | instskip(NEXT) | instid1(VALU_DEP_1)
	v_clz_i32_u32_e32 v2, v2
	v_min_u32_e32 v4, 32, v2
	s_delay_alu instid0(VALU_DEP_1) | instskip(SKIP_1) | instid1(VALU_DEP_2)
	v_subrev_nc_u32_e32 v2, 28, v4
	v_sub_nc_u32_e32 v4, 29, v4
	v_lshlrev_b64_e32 v[2:3], v2, v[16:17]
; %bb.111:                              ;   in Loop: Header=BB362_10 Depth=1
	s_or_b32 exec_lo, exec_lo, s18
	s_delay_alu instid0(VALU_DEP_1) | instskip(NEXT) | instid1(VALU_DEP_3)
	v_dual_lshlrev_b32 v2, 20, v2 :: v_dual_lshlrev_b32 v3, 24, v16
	v_lshl_add_u32 v4, v4, 23, 0x3c000000
	s_delay_alu instid0(VALU_DEP_2) | instskip(NEXT) | instid1(VALU_DEP_3)
	v_and_b32_e32 v2, 0x700000, v2
	v_and_b32_e32 v3, 0x80000000, v3
	s_delay_alu instid0(VALU_DEP_1)
	v_or3_b32 v62, v2, v3, v4
.LBB362_112:                            ;   in Loop: Header=BB362_10 Depth=1
	s_or_b32 exec_lo, exec_lo, s17
.LBB362_113:                            ;   in Loop: Header=BB362_10 Depth=1
	s_delay_alu instid0(SALU_CYCLE_1)
	s_or_b32 exec_lo, exec_lo, s16
.LBB362_114:                            ;   in Loop: Header=BB362_10 Depth=1
	s_delay_alu instid0(SALU_CYCLE_1) | instskip(SKIP_3) | instid1(VALU_DEP_2)
	s_or_b32 exec_lo, exec_lo, s15
	v_lshrrev_b16 v2, 8, v16
	v_dual_mov_b32 v72, 0 :: v_dual_mov_b32 v73, 0
	s_mov_b32 s15, exec_lo
	v_cmpx_ne_u16_e32 0, v2
	s_cbranch_execz .LBB362_122
; %bb.115:                              ;   in Loop: Header=BB362_10 Depth=1
	v_bfrev_b32_e32 v73, 1
	s_mov_b32 s16, exec_lo
	v_cmpx_ne_u16_e32 0x80, v2
	s_cbranch_execz .LBB362_121
; %bb.116:                              ;   in Loop: Header=BB362_10 Depth=1
	v_and_b32_e32 v2, 0xffff, v2
	v_mov_b32_e32 v73, 0x7f800001
	s_mov_b32 s17, exec_lo
	s_delay_alu instid0(VALU_DEP_2) | instskip(NEXT) | instid1(VALU_DEP_1)
	v_and_b32_e32 v5, 0x7f, v2
	v_cmpx_ne_u32_e32 0x7f, v5
	s_cbranch_execz .LBB362_120
; %bb.117:                              ;   in Loop: Header=BB362_10 Depth=1
	v_dual_mov_b32 v3, v17 :: v_dual_bitop2_b32 v2, 7, v2 bitop3:0x40
	v_lshrrev_b32_e32 v4, 3, v5
	s_mov_b32 s18, exec_lo
	v_cmpx_gt_u32_e32 8, v5
; %bb.118:                              ;   in Loop: Header=BB362_10 Depth=1
	s_delay_alu instid0(VALU_DEP_3) | instskip(NEXT) | instid1(VALU_DEP_1)
	v_clz_i32_u32_e32 v4, v2
	v_min_u32_e32 v4, 32, v4
	s_delay_alu instid0(VALU_DEP_1) | instskip(NEXT) | instid1(VALU_DEP_1)
	v_subrev_nc_u32_e32 v5, 28, v4
	v_lshlrev_b64_e32 v[2:3], v5, v[2:3]
	s_delay_alu instid0(VALU_DEP_1)
	v_dual_sub_nc_u32 v4, 29, v4 :: v_dual_bitop2_b32 v2, 7, v2 bitop3:0x40
; %bb.119:                              ;   in Loop: Header=BB362_10 Depth=1
	s_or_b32 exec_lo, exec_lo, s18
	s_delay_alu instid0(VALU_DEP_1) | instskip(NEXT) | instid1(VALU_DEP_2)
	v_dual_lshlrev_b32 v3, 16, v16 :: v_dual_lshlrev_b32 v2, 20, v2
	v_lshl_add_u32 v4, v4, 23, 0x3c000000
	s_delay_alu instid0(VALU_DEP_2) | instskip(NEXT) | instid1(VALU_DEP_1)
	v_and_b32_e32 v3, 0x80000000, v3
	v_or3_b32 v73, v2, v3, v4
.LBB362_120:                            ;   in Loop: Header=BB362_10 Depth=1
	s_or_b32 exec_lo, exec_lo, s17
.LBB362_121:                            ;   in Loop: Header=BB362_10 Depth=1
	s_delay_alu instid0(SALU_CYCLE_1)
	s_or_b32 exec_lo, exec_lo, s16
.LBB362_122:                            ;   in Loop: Header=BB362_10 Depth=1
	s_delay_alu instid0(SALU_CYCLE_1) | instskip(SKIP_2) | instid1(VALU_DEP_1)
	s_or_b32 exec_lo, exec_lo, s15
	v_lshrrev_b32_e32 v2, 16, v1
	s_mov_b32 s15, exec_lo
	v_and_b32_e32 v3, 0xff, v2
	s_delay_alu instid0(VALU_DEP_1)
	v_cmpx_ne_u16_e32 0, v3
	s_cbranch_execz .LBB362_130
; %bb.123:                              ;   in Loop: Header=BB362_10 Depth=1
	v_bfrev_b32_e32 v72, 1
	s_mov_b32 s16, exec_lo
	v_cmpx_ne_u16_e32 0x80, v3
	s_cbranch_execz .LBB362_129
; %bb.124:                              ;   in Loop: Header=BB362_10 Depth=1
	v_bfe_u32 v4, v1, 16, 7
	v_mov_b32_e32 v72, 0x7f800001
	s_mov_b32 s17, exec_lo
	s_delay_alu instid0(VALU_DEP_2)
	v_cmpx_ne_u32_e32 0x7f, v4
	s_cbranch_execz .LBB362_128
; %bb.125:                              ;   in Loop: Header=BB362_10 Depth=1
	v_dual_lshrrev_b32 v3, 3, v4 :: v_dual_bitop2_b32 v16, 7, v2 bitop3:0x40
	s_mov_b32 s18, exec_lo
	v_cmpx_gt_u32_e32 8, v4
; %bb.126:                              ;   in Loop: Header=BB362_10 Depth=1
	s_delay_alu instid0(VALU_DEP_2) | instskip(NEXT) | instid1(VALU_DEP_1)
	v_clz_i32_u32_e32 v3, v16
	v_min_u32_e32 v3, 32, v3
	s_delay_alu instid0(VALU_DEP_1) | instskip(NEXT) | instid1(VALU_DEP_1)
	v_subrev_nc_u32_e32 v4, 28, v3
	v_lshlrev_b64_e32 v[4:5], v4, v[16:17]
	s_delay_alu instid0(VALU_DEP_1)
	v_dual_sub_nc_u32 v3, 29, v3 :: v_dual_bitop2_b32 v16, 7, v4 bitop3:0x40
; %bb.127:                              ;   in Loop: Header=BB362_10 Depth=1
	s_or_b32 exec_lo, exec_lo, s18
	s_delay_alu instid0(VALU_DEP_1) | instskip(NEXT) | instid1(VALU_DEP_2)
	v_dual_lshlrev_b32 v2, 24, v2 :: v_dual_lshlrev_b32 v4, 20, v16
	v_lshl_add_u32 v3, v3, 23, 0x3c000000
	s_delay_alu instid0(VALU_DEP_2) | instskip(NEXT) | instid1(VALU_DEP_1)
	v_and_b32_e32 v2, 0x80000000, v2
	v_or3_b32 v72, v4, v2, v3
.LBB362_128:                            ;   in Loop: Header=BB362_10 Depth=1
	s_or_b32 exec_lo, exec_lo, s17
.LBB362_129:                            ;   in Loop: Header=BB362_10 Depth=1
	s_delay_alu instid0(SALU_CYCLE_1)
	s_or_b32 exec_lo, exec_lo, s16
.LBB362_130:                            ;   in Loop: Header=BB362_10 Depth=1
	s_delay_alu instid0(SALU_CYCLE_1)
	s_or_b32 exec_lo, exec_lo, s15
	v_dual_mov_b32 v75, 0 :: v_dual_mov_b32 v74, 0
	s_mov_b32 s15, exec_lo
	v_cmpx_lt_u64_e64 s[2:3], v[0:1]
	s_cbranch_execz .LBB362_138
; %bb.131:                              ;   in Loop: Header=BB362_10 Depth=1
	v_lshrrev_b32_e32 v0, 24, v1
	v_bfrev_b32_e32 v74, 1
	s_mov_b32 s16, exec_lo
	s_delay_alu instid0(VALU_DEP_2)
	v_cmpx_ne_u32_e32 0x80, v0
	s_cbranch_execz .LBB362_137
; %bb.132:                              ;   in Loop: Header=BB362_10 Depth=1
	v_bfe_u32 v2, v1, 24, 7
	v_mov_b32_e32 v74, 0x7f800001
	s_mov_b32 s17, exec_lo
	s_delay_alu instid0(VALU_DEP_2)
	v_cmpx_ne_u32_e32 0x7f, v2
	s_cbranch_execz .LBB362_136
; %bb.133:                              ;   in Loop: Header=BB362_10 Depth=1
	v_dual_lshrrev_b32 v1, 3, v2 :: v_dual_bitop2_b32 v16, 7, v0 bitop3:0x40
	s_mov_b32 s18, exec_lo
	v_cmpx_gt_u32_e32 8, v2
; %bb.134:                              ;   in Loop: Header=BB362_10 Depth=1
	s_delay_alu instid0(VALU_DEP_2) | instskip(NEXT) | instid1(VALU_DEP_1)
	v_clz_i32_u32_e32 v1, v16
	v_min_u32_e32 v1, 32, v1
	s_delay_alu instid0(VALU_DEP_1) | instskip(NEXT) | instid1(VALU_DEP_1)
	v_subrev_nc_u32_e32 v2, 28, v1
	v_lshlrev_b64_e32 v[2:3], v2, v[16:17]
	s_delay_alu instid0(VALU_DEP_1)
	v_dual_sub_nc_u32 v1, 29, v1 :: v_dual_bitop2_b32 v16, 7, v2 bitop3:0x40
; %bb.135:                              ;   in Loop: Header=BB362_10 Depth=1
	s_or_b32 exec_lo, exec_lo, s18
	v_lshlrev_b32_e32 v0, 24, v0
	s_delay_alu instid0(VALU_DEP_2) | instskip(NEXT) | instid1(VALU_DEP_3)
	v_lshlrev_b32_e32 v2, 20, v16
	v_lshl_add_u32 v1, v1, 23, 0x3c000000
	s_delay_alu instid0(VALU_DEP_3) | instskip(NEXT) | instid1(VALU_DEP_1)
	v_and_b32_e32 v0, 0x80000000, v0
	v_or3_b32 v74, v2, v0, v1
.LBB362_136:                            ;   in Loop: Header=BB362_10 Depth=1
	s_or_b32 exec_lo, exec_lo, s17
.LBB362_137:                            ;   in Loop: Header=BB362_10 Depth=1
	s_delay_alu instid0(SALU_CYCLE_1)
	s_or_b32 exec_lo, exec_lo, s16
.LBB362_138:                            ;   in Loop: Header=BB362_10 Depth=1
	s_delay_alu instid0(SALU_CYCLE_1)
	s_or_b32 exec_lo, exec_lo, s15
	flat_load_b64 v[0:1], v[120:121] offset:512
	s_mov_b32 s15, exec_lo
	s_wait_loadcnt_dscnt 0x0
	v_and_b32_e32 v2, 0xff, v0
	s_wait_xcnt 0x0
	s_delay_alu instid0(VALU_DEP_1)
	v_cmpx_ne_u16_e32 0, v2
	s_cbranch_execz .LBB362_146
; %bb.139:                              ;   in Loop: Header=BB362_10 Depth=1
	v_bfrev_b32_e32 v75, 1
	s_mov_b32 s16, exec_lo
	v_cmpx_ne_u16_e32 0x80, v2
	s_cbranch_execz .LBB362_145
; %bb.140:                              ;   in Loop: Header=BB362_10 Depth=1
	v_and_b32_e32 v2, 0x7f, v0
	v_mov_b32_e32 v75, 0x7f800001
	s_mov_b32 s17, exec_lo
	s_delay_alu instid0(VALU_DEP_2)
	v_cmpx_ne_u32_e32 0x7f, v2
	s_cbranch_execz .LBB362_144
; %bb.141:                              ;   in Loop: Header=BB362_10 Depth=1
	v_lshrrev_b32_e32 v4, 3, v2
	v_cmp_gt_u32_e64 s1, 8, v2
	v_mov_b64_e32 v[2:3], v[0:1]
	s_and_saveexec_b32 s18, s1
; %bb.142:                              ;   in Loop: Header=BB362_10 Depth=1
	v_and_b32_e32 v2, 7, v0
	s_delay_alu instid0(VALU_DEP_1) | instskip(NEXT) | instid1(VALU_DEP_1)
	v_clz_i32_u32_e32 v2, v2
	v_min_u32_e32 v4, 32, v2
	s_delay_alu instid0(VALU_DEP_1) | instskip(SKIP_1) | instid1(VALU_DEP_2)
	v_subrev_nc_u32_e32 v2, 28, v4
	v_sub_nc_u32_e32 v4, 29, v4
	v_lshlrev_b64_e32 v[2:3], v2, v[0:1]
; %bb.143:                              ;   in Loop: Header=BB362_10 Depth=1
	s_or_b32 exec_lo, exec_lo, s18
	s_delay_alu instid0(VALU_DEP_1) | instskip(NEXT) | instid1(VALU_DEP_3)
	v_dual_lshlrev_b32 v2, 20, v2 :: v_dual_lshlrev_b32 v3, 24, v0
	v_lshl_add_u32 v4, v4, 23, 0x3c000000
	s_delay_alu instid0(VALU_DEP_2) | instskip(NEXT) | instid1(VALU_DEP_3)
	v_and_b32_e32 v2, 0x700000, v2
	v_and_b32_e32 v3, 0x80000000, v3
	s_delay_alu instid0(VALU_DEP_1)
	v_or3_b32 v75, v2, v3, v4
.LBB362_144:                            ;   in Loop: Header=BB362_10 Depth=1
	s_or_b32 exec_lo, exec_lo, s17
.LBB362_145:                            ;   in Loop: Header=BB362_10 Depth=1
	s_delay_alu instid0(SALU_CYCLE_1)
	s_or_b32 exec_lo, exec_lo, s16
.LBB362_146:                            ;   in Loop: Header=BB362_10 Depth=1
	s_delay_alu instid0(SALU_CYCLE_1) | instskip(SKIP_3) | instid1(VALU_DEP_2)
	s_or_b32 exec_lo, exec_lo, s15
	v_lshrrev_b16 v2, 8, v0
	v_dual_mov_b32 v76, 0 :: v_dual_mov_b32 v77, 0
	s_mov_b32 s15, exec_lo
	v_cmpx_ne_u16_e32 0, v2
	s_cbranch_execz .LBB362_154
; %bb.147:                              ;   in Loop: Header=BB362_10 Depth=1
	v_bfrev_b32_e32 v77, 1
	s_mov_b32 s16, exec_lo
	v_cmpx_ne_u16_e32 0x80, v2
	s_cbranch_execz .LBB362_153
; %bb.148:                              ;   in Loop: Header=BB362_10 Depth=1
	v_and_b32_e32 v2, 0xffff, v2
	v_mov_b32_e32 v77, 0x7f800001
	s_mov_b32 s17, exec_lo
	s_delay_alu instid0(VALU_DEP_2) | instskip(NEXT) | instid1(VALU_DEP_1)
	v_and_b32_e32 v3, 0x7f, v2
	v_cmpx_ne_u32_e32 0x7f, v3
	s_cbranch_execz .LBB362_152
; %bb.149:                              ;   in Loop: Header=BB362_10 Depth=1
	v_dual_lshrrev_b32 v2, 3, v3 :: v_dual_bitop2_b32 v16, 7, v2 bitop3:0x40
	s_mov_b32 s18, exec_lo
	v_cmpx_gt_u32_e32 8, v3
; %bb.150:                              ;   in Loop: Header=BB362_10 Depth=1
	s_delay_alu instid0(VALU_DEP_2) | instskip(NEXT) | instid1(VALU_DEP_1)
	v_clz_i32_u32_e32 v2, v16
	v_min_u32_e32 v2, 32, v2
	s_delay_alu instid0(VALU_DEP_1) | instskip(NEXT) | instid1(VALU_DEP_1)
	v_subrev_nc_u32_e32 v3, 28, v2
	v_lshlrev_b64_e32 v[4:5], v3, v[16:17]
	s_delay_alu instid0(VALU_DEP_1)
	v_dual_sub_nc_u32 v2, 29, v2 :: v_dual_bitop2_b32 v16, 7, v4 bitop3:0x40
; %bb.151:                              ;   in Loop: Header=BB362_10 Depth=1
	s_or_b32 exec_lo, exec_lo, s18
	v_lshlrev_b32_e32 v3, 16, v0
	s_delay_alu instid0(VALU_DEP_2) | instskip(NEXT) | instid1(VALU_DEP_3)
	v_lshlrev_b32_e32 v4, 20, v16
	v_lshl_add_u32 v2, v2, 23, 0x3c000000
	s_delay_alu instid0(VALU_DEP_3) | instskip(NEXT) | instid1(VALU_DEP_1)
	v_and_b32_e32 v3, 0x80000000, v3
	v_or3_b32 v77, v4, v3, v2
.LBB362_152:                            ;   in Loop: Header=BB362_10 Depth=1
	s_or_b32 exec_lo, exec_lo, s17
.LBB362_153:                            ;   in Loop: Header=BB362_10 Depth=1
	s_delay_alu instid0(SALU_CYCLE_1)
	s_or_b32 exec_lo, exec_lo, s16
.LBB362_154:                            ;   in Loop: Header=BB362_10 Depth=1
	s_delay_alu instid0(SALU_CYCLE_1) | instskip(SKIP_2) | instid1(VALU_DEP_1)
	s_or_b32 exec_lo, exec_lo, s15
	v_lshrrev_b32_e32 v2, 16, v0
	s_mov_b32 s15, exec_lo
	v_and_b32_e32 v3, 0xff, v2
	s_delay_alu instid0(VALU_DEP_1)
	v_cmpx_ne_u16_e32 0, v3
	s_cbranch_execz .LBB362_162
; %bb.155:                              ;   in Loop: Header=BB362_10 Depth=1
	v_bfrev_b32_e32 v76, 1
	s_mov_b32 s16, exec_lo
	v_cmpx_ne_u16_e32 0x80, v3
	s_cbranch_execz .LBB362_161
; %bb.156:                              ;   in Loop: Header=BB362_10 Depth=1
	v_bfe_u32 v4, v0, 16, 7
	v_mov_b32_e32 v76, 0x7f800001
	s_mov_b32 s17, exec_lo
	s_delay_alu instid0(VALU_DEP_2)
	v_cmpx_ne_u32_e32 0x7f, v4
	s_cbranch_execz .LBB362_160
; %bb.157:                              ;   in Loop: Header=BB362_10 Depth=1
	v_dual_lshrrev_b32 v3, 3, v4 :: v_dual_bitop2_b32 v16, 7, v2 bitop3:0x40
	s_mov_b32 s18, exec_lo
	v_cmpx_gt_u32_e32 8, v4
; %bb.158:                              ;   in Loop: Header=BB362_10 Depth=1
	s_delay_alu instid0(VALU_DEP_2) | instskip(NEXT) | instid1(VALU_DEP_1)
	v_clz_i32_u32_e32 v3, v16
	v_min_u32_e32 v3, 32, v3
	s_delay_alu instid0(VALU_DEP_1) | instskip(NEXT) | instid1(VALU_DEP_1)
	v_subrev_nc_u32_e32 v4, 28, v3
	v_lshlrev_b64_e32 v[4:5], v4, v[16:17]
	s_delay_alu instid0(VALU_DEP_1)
	v_dual_sub_nc_u32 v3, 29, v3 :: v_dual_bitop2_b32 v16, 7, v4 bitop3:0x40
; %bb.159:                              ;   in Loop: Header=BB362_10 Depth=1
	s_or_b32 exec_lo, exec_lo, s18
	s_delay_alu instid0(VALU_DEP_1) | instskip(NEXT) | instid1(VALU_DEP_2)
	v_dual_lshlrev_b32 v2, 24, v2 :: v_dual_lshlrev_b32 v4, 20, v16
	v_lshl_add_u32 v3, v3, 23, 0x3c000000
	s_delay_alu instid0(VALU_DEP_2) | instskip(NEXT) | instid1(VALU_DEP_1)
	v_and_b32_e32 v2, 0x80000000, v2
	v_or3_b32 v76, v4, v2, v3
.LBB362_160:                            ;   in Loop: Header=BB362_10 Depth=1
	s_or_b32 exec_lo, exec_lo, s17
.LBB362_161:                            ;   in Loop: Header=BB362_10 Depth=1
	s_delay_alu instid0(SALU_CYCLE_1)
	s_or_b32 exec_lo, exec_lo, s16
.LBB362_162:                            ;   in Loop: Header=BB362_10 Depth=1
	s_delay_alu instid0(SALU_CYCLE_1)
	s_or_b32 exec_lo, exec_lo, s15
	v_dual_mov_b32 v78, 0 :: v_dual_mov_b32 v79, 0
	s_mov_b32 s15, exec_lo
	v_cmpx_lt_u32_e32 0xffffff, v0
	s_cbranch_execz .LBB362_170
; %bb.163:                              ;   in Loop: Header=BB362_10 Depth=1
	v_lshrrev_b32_e32 v2, 24, v0
	v_bfrev_b32_e32 v79, 1
	s_mov_b32 s16, exec_lo
	s_delay_alu instid0(VALU_DEP_2)
	v_cmpx_ne_u32_e32 0x80, v2
	s_cbranch_execz .LBB362_169
; %bb.164:                              ;   in Loop: Header=BB362_10 Depth=1
	v_bfe_u32 v4, v0, 24, 7
	v_mov_b32_e32 v79, 0x7f800001
	s_mov_b32 s17, exec_lo
	s_delay_alu instid0(VALU_DEP_2)
	v_cmpx_ne_u32_e32 0x7f, v4
	s_cbranch_execz .LBB362_168
; %bb.165:                              ;   in Loop: Header=BB362_10 Depth=1
	v_dual_lshrrev_b32 v3, 3, v4 :: v_dual_bitop2_b32 v16, 7, v2 bitop3:0x40
	s_mov_b32 s18, exec_lo
	v_cmpx_gt_u32_e32 8, v4
; %bb.166:                              ;   in Loop: Header=BB362_10 Depth=1
	s_delay_alu instid0(VALU_DEP_2) | instskip(NEXT) | instid1(VALU_DEP_1)
	v_clz_i32_u32_e32 v3, v16
	v_min_u32_e32 v3, 32, v3
	s_delay_alu instid0(VALU_DEP_1) | instskip(NEXT) | instid1(VALU_DEP_1)
	v_subrev_nc_u32_e32 v4, 28, v3
	v_lshlrev_b64_e32 v[4:5], v4, v[16:17]
	s_delay_alu instid0(VALU_DEP_1)
	v_dual_sub_nc_u32 v3, 29, v3 :: v_dual_bitop2_b32 v16, 7, v4 bitop3:0x40
; %bb.167:                              ;   in Loop: Header=BB362_10 Depth=1
	s_or_b32 exec_lo, exec_lo, s18
	s_delay_alu instid0(VALU_DEP_1) | instskip(NEXT) | instid1(VALU_DEP_2)
	v_dual_lshlrev_b32 v2, 24, v2 :: v_dual_lshlrev_b32 v4, 20, v16
	v_lshl_add_u32 v3, v3, 23, 0x3c000000
	s_delay_alu instid0(VALU_DEP_2) | instskip(NEXT) | instid1(VALU_DEP_1)
	v_and_b32_e32 v2, 0x80000000, v2
	v_or3_b32 v79, v4, v2, v3
.LBB362_168:                            ;   in Loop: Header=BB362_10 Depth=1
	s_or_b32 exec_lo, exec_lo, s17
.LBB362_169:                            ;   in Loop: Header=BB362_10 Depth=1
	s_delay_alu instid0(SALU_CYCLE_1)
	s_or_b32 exec_lo, exec_lo, s16
.LBB362_170:                            ;   in Loop: Header=BB362_10 Depth=1
	s_delay_alu instid0(SALU_CYCLE_1) | instskip(SKIP_3) | instid1(VALU_DEP_2)
	s_or_b32 exec_lo, exec_lo, s15
	v_and_b32_e32 v2, 0xff, v1
	v_mov_b32_e32 v16, v1
	s_mov_b32 s15, exec_lo
	v_cmpx_ne_u16_e32 0, v2
	s_cbranch_execz .LBB362_178
; %bb.171:                              ;   in Loop: Header=BB362_10 Depth=1
	v_bfrev_b32_e32 v78, 1
	s_mov_b32 s16, exec_lo
	v_cmpx_ne_u16_e32 0x80, v2
	s_cbranch_execz .LBB362_177
; %bb.172:                              ;   in Loop: Header=BB362_10 Depth=1
	v_and_b32_e32 v2, 0x7f, v1
	v_mov_b32_e32 v78, 0x7f800001
	s_mov_b32 s17, exec_lo
	s_delay_alu instid0(VALU_DEP_2)
	v_cmpx_ne_u32_e32 0x7f, v2
	s_cbranch_execz .LBB362_176
; %bb.173:                              ;   in Loop: Header=BB362_10 Depth=1
	v_lshrrev_b32_e32 v4, 3, v2
	v_cmp_gt_u32_e64 s1, 8, v2
	v_mov_b64_e32 v[2:3], v[16:17]
	s_and_saveexec_b32 s18, s1
; %bb.174:                              ;   in Loop: Header=BB362_10 Depth=1
	v_and_b32_e32 v2, 7, v1
	s_delay_alu instid0(VALU_DEP_1) | instskip(NEXT) | instid1(VALU_DEP_1)
	v_clz_i32_u32_e32 v2, v2
	v_min_u32_e32 v4, 32, v2
	s_delay_alu instid0(VALU_DEP_1) | instskip(SKIP_1) | instid1(VALU_DEP_2)
	v_subrev_nc_u32_e32 v2, 28, v4
	v_sub_nc_u32_e32 v4, 29, v4
	v_lshlrev_b64_e32 v[2:3], v2, v[16:17]
; %bb.175:                              ;   in Loop: Header=BB362_10 Depth=1
	s_or_b32 exec_lo, exec_lo, s18
	s_delay_alu instid0(VALU_DEP_1) | instskip(NEXT) | instid1(VALU_DEP_3)
	v_dual_lshlrev_b32 v2, 20, v2 :: v_dual_lshlrev_b32 v3, 24, v16
	v_lshl_add_u32 v4, v4, 23, 0x3c000000
	s_delay_alu instid0(VALU_DEP_2) | instskip(NEXT) | instid1(VALU_DEP_3)
	v_and_b32_e32 v2, 0x700000, v2
	v_and_b32_e32 v3, 0x80000000, v3
	s_delay_alu instid0(VALU_DEP_1)
	v_or3_b32 v78, v2, v3, v4
.LBB362_176:                            ;   in Loop: Header=BB362_10 Depth=1
	s_or_b32 exec_lo, exec_lo, s17
.LBB362_177:                            ;   in Loop: Header=BB362_10 Depth=1
	s_delay_alu instid0(SALU_CYCLE_1)
	s_or_b32 exec_lo, exec_lo, s16
.LBB362_178:                            ;   in Loop: Header=BB362_10 Depth=1
	s_delay_alu instid0(SALU_CYCLE_1) | instskip(SKIP_3) | instid1(VALU_DEP_2)
	s_or_b32 exec_lo, exec_lo, s15
	v_lshrrev_b16 v2, 8, v16
	v_dual_mov_b32 v88, 0 :: v_dual_mov_b32 v89, 0
	s_mov_b32 s15, exec_lo
	v_cmpx_ne_u16_e32 0, v2
	s_cbranch_execz .LBB362_186
; %bb.179:                              ;   in Loop: Header=BB362_10 Depth=1
	v_bfrev_b32_e32 v89, 1
	s_mov_b32 s16, exec_lo
	v_cmpx_ne_u16_e32 0x80, v2
	s_cbranch_execz .LBB362_185
; %bb.180:                              ;   in Loop: Header=BB362_10 Depth=1
	v_and_b32_e32 v2, 0xffff, v2
	v_mov_b32_e32 v89, 0x7f800001
	s_mov_b32 s17, exec_lo
	s_delay_alu instid0(VALU_DEP_2) | instskip(NEXT) | instid1(VALU_DEP_1)
	v_and_b32_e32 v5, 0x7f, v2
	v_cmpx_ne_u32_e32 0x7f, v5
	s_cbranch_execz .LBB362_184
; %bb.181:                              ;   in Loop: Header=BB362_10 Depth=1
	v_dual_mov_b32 v3, v17 :: v_dual_bitop2_b32 v2, 7, v2 bitop3:0x40
	v_lshrrev_b32_e32 v4, 3, v5
	s_mov_b32 s18, exec_lo
	v_cmpx_gt_u32_e32 8, v5
; %bb.182:                              ;   in Loop: Header=BB362_10 Depth=1
	s_delay_alu instid0(VALU_DEP_3) | instskip(NEXT) | instid1(VALU_DEP_1)
	v_clz_i32_u32_e32 v4, v2
	v_min_u32_e32 v4, 32, v4
	s_delay_alu instid0(VALU_DEP_1) | instskip(NEXT) | instid1(VALU_DEP_1)
	v_subrev_nc_u32_e32 v5, 28, v4
	v_lshlrev_b64_e32 v[2:3], v5, v[2:3]
	s_delay_alu instid0(VALU_DEP_1)
	v_dual_sub_nc_u32 v4, 29, v4 :: v_dual_bitop2_b32 v2, 7, v2 bitop3:0x40
; %bb.183:                              ;   in Loop: Header=BB362_10 Depth=1
	s_or_b32 exec_lo, exec_lo, s18
	s_delay_alu instid0(VALU_DEP_1) | instskip(NEXT) | instid1(VALU_DEP_2)
	v_dual_lshlrev_b32 v3, 16, v16 :: v_dual_lshlrev_b32 v2, 20, v2
	v_lshl_add_u32 v4, v4, 23, 0x3c000000
	s_delay_alu instid0(VALU_DEP_2) | instskip(NEXT) | instid1(VALU_DEP_1)
	v_and_b32_e32 v3, 0x80000000, v3
	v_or3_b32 v89, v2, v3, v4
.LBB362_184:                            ;   in Loop: Header=BB362_10 Depth=1
	s_or_b32 exec_lo, exec_lo, s17
.LBB362_185:                            ;   in Loop: Header=BB362_10 Depth=1
	s_delay_alu instid0(SALU_CYCLE_1)
	s_or_b32 exec_lo, exec_lo, s16
.LBB362_186:                            ;   in Loop: Header=BB362_10 Depth=1
	s_delay_alu instid0(SALU_CYCLE_1) | instskip(SKIP_2) | instid1(VALU_DEP_1)
	s_or_b32 exec_lo, exec_lo, s15
	v_lshrrev_b32_e32 v2, 16, v1
	s_mov_b32 s15, exec_lo
	v_and_b32_e32 v3, 0xff, v2
	s_delay_alu instid0(VALU_DEP_1)
	v_cmpx_ne_u16_e32 0, v3
	s_cbranch_execz .LBB362_194
; %bb.187:                              ;   in Loop: Header=BB362_10 Depth=1
	v_bfrev_b32_e32 v88, 1
	s_mov_b32 s16, exec_lo
	v_cmpx_ne_u16_e32 0x80, v3
	s_cbranch_execz .LBB362_193
; %bb.188:                              ;   in Loop: Header=BB362_10 Depth=1
	v_bfe_u32 v4, v1, 16, 7
	v_mov_b32_e32 v88, 0x7f800001
	s_mov_b32 s17, exec_lo
	s_delay_alu instid0(VALU_DEP_2)
	v_cmpx_ne_u32_e32 0x7f, v4
	s_cbranch_execz .LBB362_192
; %bb.189:                              ;   in Loop: Header=BB362_10 Depth=1
	v_dual_lshrrev_b32 v3, 3, v4 :: v_dual_bitop2_b32 v16, 7, v2 bitop3:0x40
	s_mov_b32 s18, exec_lo
	v_cmpx_gt_u32_e32 8, v4
; %bb.190:                              ;   in Loop: Header=BB362_10 Depth=1
	s_delay_alu instid0(VALU_DEP_2) | instskip(NEXT) | instid1(VALU_DEP_1)
	v_clz_i32_u32_e32 v3, v16
	v_min_u32_e32 v3, 32, v3
	s_delay_alu instid0(VALU_DEP_1) | instskip(NEXT) | instid1(VALU_DEP_1)
	v_subrev_nc_u32_e32 v4, 28, v3
	v_lshlrev_b64_e32 v[4:5], v4, v[16:17]
	s_delay_alu instid0(VALU_DEP_1)
	v_dual_sub_nc_u32 v3, 29, v3 :: v_dual_bitop2_b32 v16, 7, v4 bitop3:0x40
; %bb.191:                              ;   in Loop: Header=BB362_10 Depth=1
	s_or_b32 exec_lo, exec_lo, s18
	s_delay_alu instid0(VALU_DEP_1) | instskip(NEXT) | instid1(VALU_DEP_2)
	v_dual_lshlrev_b32 v2, 24, v2 :: v_dual_lshlrev_b32 v4, 20, v16
	v_lshl_add_u32 v3, v3, 23, 0x3c000000
	s_delay_alu instid0(VALU_DEP_2) | instskip(NEXT) | instid1(VALU_DEP_1)
	v_and_b32_e32 v2, 0x80000000, v2
	v_or3_b32 v88, v4, v2, v3
.LBB362_192:                            ;   in Loop: Header=BB362_10 Depth=1
	s_or_b32 exec_lo, exec_lo, s17
.LBB362_193:                            ;   in Loop: Header=BB362_10 Depth=1
	s_delay_alu instid0(SALU_CYCLE_1)
	s_or_b32 exec_lo, exec_lo, s16
.LBB362_194:                            ;   in Loop: Header=BB362_10 Depth=1
	s_delay_alu instid0(SALU_CYCLE_1)
	s_or_b32 exec_lo, exec_lo, s15
	v_dual_mov_b32 v122, 0 :: v_dual_mov_b32 v90, 0
	s_mov_b32 s15, exec_lo
	v_cmpx_lt_u64_e64 s[2:3], v[0:1]
	s_cbranch_execz .LBB362_202
; %bb.195:                              ;   in Loop: Header=BB362_10 Depth=1
	v_lshrrev_b32_e32 v0, 24, v1
	v_bfrev_b32_e32 v90, 1
	s_mov_b32 s16, exec_lo
	s_delay_alu instid0(VALU_DEP_2)
	v_cmpx_ne_u32_e32 0x80, v0
	s_cbranch_execz .LBB362_201
; %bb.196:                              ;   in Loop: Header=BB362_10 Depth=1
	v_bfe_u32 v2, v1, 24, 7
	v_mov_b32_e32 v90, 0x7f800001
	s_mov_b32 s17, exec_lo
	s_delay_alu instid0(VALU_DEP_2)
	v_cmpx_ne_u32_e32 0x7f, v2
	s_cbranch_execz .LBB362_200
; %bb.197:                              ;   in Loop: Header=BB362_10 Depth=1
	v_dual_lshrrev_b32 v1, 3, v2 :: v_dual_bitop2_b32 v16, 7, v0 bitop3:0x40
	s_mov_b32 s18, exec_lo
	v_cmpx_gt_u32_e32 8, v2
; %bb.198:                              ;   in Loop: Header=BB362_10 Depth=1
	s_delay_alu instid0(VALU_DEP_2) | instskip(NEXT) | instid1(VALU_DEP_1)
	v_clz_i32_u32_e32 v1, v16
	v_min_u32_e32 v1, 32, v1
	s_delay_alu instid0(VALU_DEP_1) | instskip(NEXT) | instid1(VALU_DEP_1)
	v_subrev_nc_u32_e32 v2, 28, v1
	v_lshlrev_b64_e32 v[2:3], v2, v[16:17]
	s_delay_alu instid0(VALU_DEP_1)
	v_dual_sub_nc_u32 v1, 29, v1 :: v_dual_bitop2_b32 v16, 7, v2 bitop3:0x40
; %bb.199:                              ;   in Loop: Header=BB362_10 Depth=1
	s_or_b32 exec_lo, exec_lo, s18
	v_lshlrev_b32_e32 v0, 24, v0
	s_delay_alu instid0(VALU_DEP_2) | instskip(NEXT) | instid1(VALU_DEP_3)
	v_lshlrev_b32_e32 v2, 20, v16
	v_lshl_add_u32 v1, v1, 23, 0x3c000000
	s_delay_alu instid0(VALU_DEP_3) | instskip(NEXT) | instid1(VALU_DEP_1)
	v_and_b32_e32 v0, 0x80000000, v0
	v_or3_b32 v90, v2, v0, v1
.LBB362_200:                            ;   in Loop: Header=BB362_10 Depth=1
	s_or_b32 exec_lo, exec_lo, s17
.LBB362_201:                            ;   in Loop: Header=BB362_10 Depth=1
	s_delay_alu instid0(SALU_CYCLE_1)
	s_or_b32 exec_lo, exec_lo, s16
.LBB362_202:                            ;   in Loop: Header=BB362_10 Depth=1
	s_delay_alu instid0(SALU_CYCLE_1)
	s_or_b32 exec_lo, exec_lo, s15
	flat_load_b64 v[0:1], v[120:121] offset:520
	s_mov_b32 s15, exec_lo
	s_wait_loadcnt_dscnt 0x0
	v_and_b32_e32 v2, 0xff, v0
	s_wait_xcnt 0x0
	s_delay_alu instid0(VALU_DEP_1)
	v_cmpx_ne_u16_e32 0, v2
	s_cbranch_execz .LBB362_210
; %bb.203:                              ;   in Loop: Header=BB362_10 Depth=1
	v_bfrev_b32_e32 v122, 1
	s_mov_b32 s16, exec_lo
	v_cmpx_ne_u16_e32 0x80, v2
	s_cbranch_execz .LBB362_209
; %bb.204:                              ;   in Loop: Header=BB362_10 Depth=1
	v_and_b32_e32 v2, 0x7f, v0
	v_mov_b32_e32 v122, 0x7f800001
	s_mov_b32 s17, exec_lo
	s_delay_alu instid0(VALU_DEP_2)
	v_cmpx_ne_u32_e32 0x7f, v2
	s_cbranch_execz .LBB362_208
; %bb.205:                              ;   in Loop: Header=BB362_10 Depth=1
	v_lshrrev_b32_e32 v4, 3, v2
	v_cmp_gt_u32_e64 s1, 8, v2
	v_mov_b64_e32 v[2:3], v[0:1]
	s_and_saveexec_b32 s18, s1
; %bb.206:                              ;   in Loop: Header=BB362_10 Depth=1
	v_and_b32_e32 v2, 7, v0
	s_delay_alu instid0(VALU_DEP_1) | instskip(NEXT) | instid1(VALU_DEP_1)
	v_clz_i32_u32_e32 v2, v2
	v_min_u32_e32 v4, 32, v2
	s_delay_alu instid0(VALU_DEP_1) | instskip(SKIP_1) | instid1(VALU_DEP_2)
	v_subrev_nc_u32_e32 v2, 28, v4
	v_sub_nc_u32_e32 v4, 29, v4
	v_lshlrev_b64_e32 v[2:3], v2, v[0:1]
; %bb.207:                              ;   in Loop: Header=BB362_10 Depth=1
	s_or_b32 exec_lo, exec_lo, s18
	s_delay_alu instid0(VALU_DEP_1) | instskip(NEXT) | instid1(VALU_DEP_3)
	v_dual_lshlrev_b32 v2, 20, v2 :: v_dual_lshlrev_b32 v3, 24, v0
	v_lshl_add_u32 v4, v4, 23, 0x3c000000
	s_delay_alu instid0(VALU_DEP_2) | instskip(NEXT) | instid1(VALU_DEP_3)
	v_and_b32_e32 v2, 0x700000, v2
	v_and_b32_e32 v3, 0x80000000, v3
	s_delay_alu instid0(VALU_DEP_1)
	v_or3_b32 v122, v2, v3, v4
.LBB362_208:                            ;   in Loop: Header=BB362_10 Depth=1
	s_or_b32 exec_lo, exec_lo, s17
.LBB362_209:                            ;   in Loop: Header=BB362_10 Depth=1
	s_delay_alu instid0(SALU_CYCLE_1)
	s_or_b32 exec_lo, exec_lo, s16
.LBB362_210:                            ;   in Loop: Header=BB362_10 Depth=1
	s_delay_alu instid0(SALU_CYCLE_1) | instskip(SKIP_3) | instid1(VALU_DEP_2)
	s_or_b32 exec_lo, exec_lo, s15
	v_lshrrev_b16 v2, 8, v0
	v_dual_mov_b32 v124, 0 :: v_dual_mov_b32 v123, 0
	s_mov_b32 s15, exec_lo
	v_cmpx_ne_u16_e32 0, v2
	s_cbranch_execz .LBB362_218
; %bb.211:                              ;   in Loop: Header=BB362_10 Depth=1
	v_bfrev_b32_e32 v123, 1
	s_mov_b32 s16, exec_lo
	v_cmpx_ne_u16_e32 0x80, v2
	s_cbranch_execz .LBB362_217
; %bb.212:                              ;   in Loop: Header=BB362_10 Depth=1
	v_and_b32_e32 v2, 0xffff, v2
	v_mov_b32_e32 v123, 0x7f800001
	s_mov_b32 s17, exec_lo
	s_delay_alu instid0(VALU_DEP_2) | instskip(NEXT) | instid1(VALU_DEP_1)
	v_and_b32_e32 v3, 0x7f, v2
	v_cmpx_ne_u32_e32 0x7f, v3
	s_cbranch_execz .LBB362_216
; %bb.213:                              ;   in Loop: Header=BB362_10 Depth=1
	v_dual_lshrrev_b32 v2, 3, v3 :: v_dual_bitop2_b32 v16, 7, v2 bitop3:0x40
	s_mov_b32 s18, exec_lo
	v_cmpx_gt_u32_e32 8, v3
; %bb.214:                              ;   in Loop: Header=BB362_10 Depth=1
	s_delay_alu instid0(VALU_DEP_2) | instskip(NEXT) | instid1(VALU_DEP_1)
	v_clz_i32_u32_e32 v2, v16
	v_min_u32_e32 v2, 32, v2
	s_delay_alu instid0(VALU_DEP_1) | instskip(NEXT) | instid1(VALU_DEP_1)
	v_subrev_nc_u32_e32 v3, 28, v2
	v_lshlrev_b64_e32 v[4:5], v3, v[16:17]
	s_delay_alu instid0(VALU_DEP_1)
	v_dual_sub_nc_u32 v2, 29, v2 :: v_dual_bitop2_b32 v16, 7, v4 bitop3:0x40
; %bb.215:                              ;   in Loop: Header=BB362_10 Depth=1
	s_or_b32 exec_lo, exec_lo, s18
	v_lshlrev_b32_e32 v3, 16, v0
	s_delay_alu instid0(VALU_DEP_2) | instskip(NEXT) | instid1(VALU_DEP_3)
	v_lshlrev_b32_e32 v4, 20, v16
	v_lshl_add_u32 v2, v2, 23, 0x3c000000
	s_delay_alu instid0(VALU_DEP_3) | instskip(NEXT) | instid1(VALU_DEP_1)
	v_and_b32_e32 v3, 0x80000000, v3
	v_or3_b32 v123, v4, v3, v2
.LBB362_216:                            ;   in Loop: Header=BB362_10 Depth=1
	s_or_b32 exec_lo, exec_lo, s17
.LBB362_217:                            ;   in Loop: Header=BB362_10 Depth=1
	s_delay_alu instid0(SALU_CYCLE_1)
	s_or_b32 exec_lo, exec_lo, s16
.LBB362_218:                            ;   in Loop: Header=BB362_10 Depth=1
	s_delay_alu instid0(SALU_CYCLE_1) | instskip(SKIP_2) | instid1(VALU_DEP_1)
	s_or_b32 exec_lo, exec_lo, s15
	v_lshrrev_b32_e32 v2, 16, v0
	s_mov_b32 s15, exec_lo
	v_and_b32_e32 v3, 0xff, v2
	s_delay_alu instid0(VALU_DEP_1)
	v_cmpx_ne_u16_e32 0, v3
	s_cbranch_execz .LBB362_226
; %bb.219:                              ;   in Loop: Header=BB362_10 Depth=1
	v_bfrev_b32_e32 v124, 1
	s_mov_b32 s16, exec_lo
	v_cmpx_ne_u16_e32 0x80, v3
	s_cbranch_execz .LBB362_225
; %bb.220:                              ;   in Loop: Header=BB362_10 Depth=1
	v_bfe_u32 v4, v0, 16, 7
	v_mov_b32_e32 v124, 0x7f800001
	s_mov_b32 s17, exec_lo
	s_delay_alu instid0(VALU_DEP_2)
	v_cmpx_ne_u32_e32 0x7f, v4
	s_cbranch_execz .LBB362_224
; %bb.221:                              ;   in Loop: Header=BB362_10 Depth=1
	v_dual_lshrrev_b32 v3, 3, v4 :: v_dual_bitop2_b32 v16, 7, v2 bitop3:0x40
	s_mov_b32 s18, exec_lo
	v_cmpx_gt_u32_e32 8, v4
; %bb.222:                              ;   in Loop: Header=BB362_10 Depth=1
	s_delay_alu instid0(VALU_DEP_2) | instskip(NEXT) | instid1(VALU_DEP_1)
	v_clz_i32_u32_e32 v3, v16
	v_min_u32_e32 v3, 32, v3
	s_delay_alu instid0(VALU_DEP_1) | instskip(NEXT) | instid1(VALU_DEP_1)
	v_subrev_nc_u32_e32 v4, 28, v3
	v_lshlrev_b64_e32 v[4:5], v4, v[16:17]
	s_delay_alu instid0(VALU_DEP_1)
	v_dual_sub_nc_u32 v3, 29, v3 :: v_dual_bitop2_b32 v16, 7, v4 bitop3:0x40
; %bb.223:                              ;   in Loop: Header=BB362_10 Depth=1
	s_or_b32 exec_lo, exec_lo, s18
	s_delay_alu instid0(VALU_DEP_1) | instskip(NEXT) | instid1(VALU_DEP_2)
	v_dual_lshlrev_b32 v2, 24, v2 :: v_dual_lshlrev_b32 v4, 20, v16
	v_lshl_add_u32 v3, v3, 23, 0x3c000000
	s_delay_alu instid0(VALU_DEP_2) | instskip(NEXT) | instid1(VALU_DEP_1)
	v_and_b32_e32 v2, 0x80000000, v2
	v_or3_b32 v124, v4, v2, v3
.LBB362_224:                            ;   in Loop: Header=BB362_10 Depth=1
	s_or_b32 exec_lo, exec_lo, s17
.LBB362_225:                            ;   in Loop: Header=BB362_10 Depth=1
	s_delay_alu instid0(SALU_CYCLE_1)
	s_or_b32 exec_lo, exec_lo, s16
.LBB362_226:                            ;   in Loop: Header=BB362_10 Depth=1
	s_delay_alu instid0(SALU_CYCLE_1)
	s_or_b32 exec_lo, exec_lo, s15
	v_dual_mov_b32 v126, 0 :: v_dual_mov_b32 v125, 0
	s_mov_b32 s15, exec_lo
	v_cmpx_lt_u32_e32 0xffffff, v0
	s_cbranch_execz .LBB362_234
; %bb.227:                              ;   in Loop: Header=BB362_10 Depth=1
	v_lshrrev_b32_e32 v2, 24, v0
	v_bfrev_b32_e32 v125, 1
	s_mov_b32 s16, exec_lo
	s_delay_alu instid0(VALU_DEP_2)
	v_cmpx_ne_u32_e32 0x80, v2
	s_cbranch_execz .LBB362_233
; %bb.228:                              ;   in Loop: Header=BB362_10 Depth=1
	v_bfe_u32 v4, v0, 24, 7
	v_mov_b32_e32 v125, 0x7f800001
	s_mov_b32 s17, exec_lo
	s_delay_alu instid0(VALU_DEP_2)
	v_cmpx_ne_u32_e32 0x7f, v4
	s_cbranch_execz .LBB362_232
; %bb.229:                              ;   in Loop: Header=BB362_10 Depth=1
	v_dual_lshrrev_b32 v3, 3, v4 :: v_dual_bitop2_b32 v16, 7, v2 bitop3:0x40
	s_mov_b32 s18, exec_lo
	v_cmpx_gt_u32_e32 8, v4
; %bb.230:                              ;   in Loop: Header=BB362_10 Depth=1
	s_delay_alu instid0(VALU_DEP_2) | instskip(NEXT) | instid1(VALU_DEP_1)
	v_clz_i32_u32_e32 v3, v16
	v_min_u32_e32 v3, 32, v3
	s_delay_alu instid0(VALU_DEP_1) | instskip(NEXT) | instid1(VALU_DEP_1)
	v_subrev_nc_u32_e32 v4, 28, v3
	v_lshlrev_b64_e32 v[4:5], v4, v[16:17]
	s_delay_alu instid0(VALU_DEP_1)
	v_dual_sub_nc_u32 v3, 29, v3 :: v_dual_bitop2_b32 v16, 7, v4 bitop3:0x40
; %bb.231:                              ;   in Loop: Header=BB362_10 Depth=1
	s_or_b32 exec_lo, exec_lo, s18
	s_delay_alu instid0(VALU_DEP_1) | instskip(NEXT) | instid1(VALU_DEP_2)
	v_dual_lshlrev_b32 v2, 24, v2 :: v_dual_lshlrev_b32 v4, 20, v16
	v_lshl_add_u32 v3, v3, 23, 0x3c000000
	s_delay_alu instid0(VALU_DEP_2) | instskip(NEXT) | instid1(VALU_DEP_1)
	v_and_b32_e32 v2, 0x80000000, v2
	v_or3_b32 v125, v4, v2, v3
.LBB362_232:                            ;   in Loop: Header=BB362_10 Depth=1
	s_or_b32 exec_lo, exec_lo, s17
.LBB362_233:                            ;   in Loop: Header=BB362_10 Depth=1
	s_delay_alu instid0(SALU_CYCLE_1)
	s_or_b32 exec_lo, exec_lo, s16
.LBB362_234:                            ;   in Loop: Header=BB362_10 Depth=1
	s_delay_alu instid0(SALU_CYCLE_1) | instskip(SKIP_3) | instid1(VALU_DEP_2)
	s_or_b32 exec_lo, exec_lo, s15
	v_and_b32_e32 v2, 0xff, v1
	v_mov_b32_e32 v16, v1
	s_mov_b32 s15, exec_lo
	v_cmpx_ne_u16_e32 0, v2
	s_cbranch_execz .LBB362_242
; %bb.235:                              ;   in Loop: Header=BB362_10 Depth=1
	v_bfrev_b32_e32 v126, 1
	s_mov_b32 s16, exec_lo
	v_cmpx_ne_u16_e32 0x80, v2
	s_cbranch_execz .LBB362_241
; %bb.236:                              ;   in Loop: Header=BB362_10 Depth=1
	v_and_b32_e32 v2, 0x7f, v1
	v_mov_b32_e32 v126, 0x7f800001
	s_mov_b32 s17, exec_lo
	s_delay_alu instid0(VALU_DEP_2)
	v_cmpx_ne_u32_e32 0x7f, v2
	s_cbranch_execz .LBB362_240
; %bb.237:                              ;   in Loop: Header=BB362_10 Depth=1
	v_lshrrev_b32_e32 v4, 3, v2
	v_cmp_gt_u32_e64 s1, 8, v2
	v_mov_b64_e32 v[2:3], v[16:17]
	s_and_saveexec_b32 s18, s1
; %bb.238:                              ;   in Loop: Header=BB362_10 Depth=1
	v_and_b32_e32 v2, 7, v1
	s_delay_alu instid0(VALU_DEP_1) | instskip(NEXT) | instid1(VALU_DEP_1)
	v_clz_i32_u32_e32 v2, v2
	v_min_u32_e32 v4, 32, v2
	s_delay_alu instid0(VALU_DEP_1) | instskip(SKIP_1) | instid1(VALU_DEP_2)
	v_subrev_nc_u32_e32 v2, 28, v4
	v_sub_nc_u32_e32 v4, 29, v4
	v_lshlrev_b64_e32 v[2:3], v2, v[16:17]
; %bb.239:                              ;   in Loop: Header=BB362_10 Depth=1
	s_or_b32 exec_lo, exec_lo, s18
	s_delay_alu instid0(VALU_DEP_1) | instskip(NEXT) | instid1(VALU_DEP_3)
	v_dual_lshlrev_b32 v2, 20, v2 :: v_dual_lshlrev_b32 v3, 24, v16
	v_lshl_add_u32 v4, v4, 23, 0x3c000000
	s_delay_alu instid0(VALU_DEP_2) | instskip(NEXT) | instid1(VALU_DEP_3)
	v_and_b32_e32 v2, 0x700000, v2
	v_and_b32_e32 v3, 0x80000000, v3
	s_delay_alu instid0(VALU_DEP_1)
	v_or3_b32 v126, v2, v3, v4
.LBB362_240:                            ;   in Loop: Header=BB362_10 Depth=1
	s_or_b32 exec_lo, exec_lo, s17
.LBB362_241:                            ;   in Loop: Header=BB362_10 Depth=1
	s_delay_alu instid0(SALU_CYCLE_1)
	s_or_b32 exec_lo, exec_lo, s16
.LBB362_242:                            ;   in Loop: Header=BB362_10 Depth=1
	s_delay_alu instid0(SALU_CYCLE_1) | instskip(SKIP_3) | instid1(VALU_DEP_2)
	s_or_b32 exec_lo, exec_lo, s15
	v_lshrrev_b16 v3, 8, v16
	v_dual_mov_b32 v2, 0 :: v_dual_mov_b32 v127, 0
	s_mov_b32 s15, exec_lo
	v_cmpx_ne_u16_e32 0, v3
	s_cbranch_execz .LBB362_250
; %bb.243:                              ;   in Loop: Header=BB362_10 Depth=1
	v_bfrev_b32_e32 v127, 1
	s_mov_b32 s16, exec_lo
	v_cmpx_ne_u16_e32 0x80, v3
	s_cbranch_execz .LBB362_249
; %bb.244:                              ;   in Loop: Header=BB362_10 Depth=1
	v_and_b32_e32 v3, 0xffff, v3
	v_mov_b32_e32 v127, 0x7f800001
	s_mov_b32 s17, exec_lo
	s_delay_alu instid0(VALU_DEP_2) | instskip(NEXT) | instid1(VALU_DEP_1)
	v_and_b32_e32 v6, 0x7f, v3
	v_cmpx_ne_u32_e32 0x7f, v6
	s_cbranch_execz .LBB362_248
; %bb.245:                              ;   in Loop: Header=BB362_10 Depth=1
	v_dual_mov_b32 v5, v17 :: v_dual_bitop2_b32 v4, 7, v3 bitop3:0x40
	v_lshrrev_b32_e32 v3, 3, v6
	s_mov_b32 s18, exec_lo
	v_cmpx_gt_u32_e32 8, v6
; %bb.246:                              ;   in Loop: Header=BB362_10 Depth=1
	s_delay_alu instid0(VALU_DEP_3) | instskip(NEXT) | instid1(VALU_DEP_1)
	v_clz_i32_u32_e32 v3, v4
	v_min_u32_e32 v3, 32, v3
	s_delay_alu instid0(VALU_DEP_1) | instskip(NEXT) | instid1(VALU_DEP_1)
	v_subrev_nc_u32_e32 v6, 28, v3
	v_lshlrev_b64_e32 v[4:5], v6, v[4:5]
	s_delay_alu instid0(VALU_DEP_1)
	v_dual_sub_nc_u32 v3, 29, v3 :: v_dual_bitop2_b32 v4, 7, v4 bitop3:0x40
; %bb.247:                              ;   in Loop: Header=BB362_10 Depth=1
	s_or_b32 exec_lo, exec_lo, s18
	v_lshlrev_b32_e32 v5, 16, v16
	s_delay_alu instid0(VALU_DEP_2) | instskip(NEXT) | instid1(VALU_DEP_3)
	v_lshlrev_b32_e32 v4, 20, v4
	v_lshl_add_u32 v3, v3, 23, 0x3c000000
	s_delay_alu instid0(VALU_DEP_3) | instskip(NEXT) | instid1(VALU_DEP_1)
	v_and_b32_e32 v5, 0x80000000, v5
	v_or3_b32 v127, v4, v5, v3
.LBB362_248:                            ;   in Loop: Header=BB362_10 Depth=1
	s_or_b32 exec_lo, exec_lo, s17
.LBB362_249:                            ;   in Loop: Header=BB362_10 Depth=1
	s_delay_alu instid0(SALU_CYCLE_1)
	s_or_b32 exec_lo, exec_lo, s16
.LBB362_250:                            ;   in Loop: Header=BB362_10 Depth=1
	s_delay_alu instid0(SALU_CYCLE_1) | instskip(SKIP_2) | instid1(VALU_DEP_1)
	s_or_b32 exec_lo, exec_lo, s15
	v_lshrrev_b32_e32 v3, 16, v1
	s_mov_b32 s15, exec_lo
	v_and_b32_e32 v4, 0xff, v3
	s_delay_alu instid0(VALU_DEP_1)
	v_cmpx_ne_u16_e32 0, v4
	s_cbranch_execz .LBB362_258
; %bb.251:                              ;   in Loop: Header=BB362_10 Depth=1
	v_bfrev_b32_e32 v2, 1
	s_mov_b32 s16, exec_lo
	v_cmpx_ne_u16_e32 0x80, v4
	s_cbranch_execz .LBB362_257
; %bb.252:                              ;   in Loop: Header=BB362_10 Depth=1
	v_bfe_u32 v4, v1, 16, 7
	v_mov_b32_e32 v2, 0x7f800001
	s_mov_b32 s17, exec_lo
	s_delay_alu instid0(VALU_DEP_2)
	v_cmpx_ne_u32_e32 0x7f, v4
	s_cbranch_execz .LBB362_256
; %bb.253:                              ;   in Loop: Header=BB362_10 Depth=1
	v_dual_lshrrev_b32 v2, 3, v4 :: v_dual_bitop2_b32 v16, 7, v3 bitop3:0x40
	s_mov_b32 s18, exec_lo
	v_cmpx_gt_u32_e32 8, v4
; %bb.254:                              ;   in Loop: Header=BB362_10 Depth=1
	s_delay_alu instid0(VALU_DEP_2) | instskip(NEXT) | instid1(VALU_DEP_1)
	v_clz_i32_u32_e32 v2, v16
	v_min_u32_e32 v2, 32, v2
	s_delay_alu instid0(VALU_DEP_1) | instskip(NEXT) | instid1(VALU_DEP_1)
	v_subrev_nc_u32_e32 v4, 28, v2
	v_lshlrev_b64_e32 v[4:5], v4, v[16:17]
	s_delay_alu instid0(VALU_DEP_1)
	v_dual_sub_nc_u32 v2, 29, v2 :: v_dual_bitop2_b32 v16, 7, v4 bitop3:0x40
; %bb.255:                              ;   in Loop: Header=BB362_10 Depth=1
	s_or_b32 exec_lo, exec_lo, s18
	s_delay_alu instid0(VALU_DEP_1) | instskip(NEXT) | instid1(VALU_DEP_2)
	v_dual_lshlrev_b32 v3, 24, v3 :: v_dual_lshlrev_b32 v4, 20, v16
	v_lshl_add_u32 v2, v2, 23, 0x3c000000
	s_delay_alu instid0(VALU_DEP_2) | instskip(NEXT) | instid1(VALU_DEP_1)
	v_and_b32_e32 v3, 0x80000000, v3
	v_or3_b32 v2, v4, v3, v2
.LBB362_256:                            ;   in Loop: Header=BB362_10 Depth=1
	s_or_b32 exec_lo, exec_lo, s17
.LBB362_257:                            ;   in Loop: Header=BB362_10 Depth=1
	s_delay_alu instid0(SALU_CYCLE_1)
	s_or_b32 exec_lo, exec_lo, s16
.LBB362_258:                            ;   in Loop: Header=BB362_10 Depth=1
	s_delay_alu instid0(SALU_CYCLE_1)
	s_or_b32 exec_lo, exec_lo, s15
	v_cmp_lt_u64_e64 s1, s[2:3], v[0:1]
	v_dual_mov_b32 v0, 0 :: v_dual_mov_b32 v3, 0
	s_and_saveexec_b32 s15, s1
	s_cbranch_execz .LBB362_266
; %bb.259:                              ;   in Loop: Header=BB362_10 Depth=1
	v_lshrrev_b32_e32 v4, 24, v1
	v_bfrev_b32_e32 v3, 1
	s_mov_b32 s16, exec_lo
	s_delay_alu instid0(VALU_DEP_2)
	v_cmpx_ne_u32_e32 0x80, v4
	s_cbranch_execz .LBB362_265
; %bb.260:                              ;   in Loop: Header=BB362_10 Depth=1
	v_bfe_u32 v5, v1, 24, 7
	v_mov_b32_e32 v3, 0x7f800001
	s_mov_b32 s17, exec_lo
	s_delay_alu instid0(VALU_DEP_2)
	v_cmpx_ne_u32_e32 0x7f, v5
	s_cbranch_execz .LBB362_264
; %bb.261:                              ;   in Loop: Header=BB362_10 Depth=1
	v_dual_lshrrev_b32 v1, 3, v5 :: v_dual_bitop2_b32 v16, 7, v4 bitop3:0x40
	s_mov_b32 s18, exec_lo
	v_cmpx_gt_u32_e32 8, v5
; %bb.262:                              ;   in Loop: Header=BB362_10 Depth=1
	s_delay_alu instid0(VALU_DEP_2) | instskip(NEXT) | instid1(VALU_DEP_1)
	v_clz_i32_u32_e32 v1, v16
	v_min_u32_e32 v1, 32, v1
	s_delay_alu instid0(VALU_DEP_1) | instskip(NEXT) | instid1(VALU_DEP_1)
	v_subrev_nc_u32_e32 v3, 28, v1
	v_lshlrev_b64_e32 v[6:7], v3, v[16:17]
	s_delay_alu instid0(VALU_DEP_1)
	v_dual_sub_nc_u32 v1, 29, v1 :: v_dual_bitop2_b32 v16, 7, v6 bitop3:0x40
; %bb.263:                              ;   in Loop: Header=BB362_10 Depth=1
	s_or_b32 exec_lo, exec_lo, s18
	v_lshlrev_b32_e32 v3, 24, v4
	s_delay_alu instid0(VALU_DEP_2) | instskip(NEXT) | instid1(VALU_DEP_3)
	v_lshlrev_b32_e32 v4, 20, v16
	v_lshl_add_u32 v1, v1, 23, 0x3c000000
	s_delay_alu instid0(VALU_DEP_3) | instskip(NEXT) | instid1(VALU_DEP_1)
	v_and_b32_e32 v3, 0x80000000, v3
	v_or3_b32 v3, v4, v3, v1
.LBB362_264:                            ;   in Loop: Header=BB362_10 Depth=1
	s_or_b32 exec_lo, exec_lo, s17
.LBB362_265:                            ;   in Loop: Header=BB362_10 Depth=1
	s_delay_alu instid0(SALU_CYCLE_1)
	s_or_b32 exec_lo, exec_lo, s16
.LBB362_266:                            ;   in Loop: Header=BB362_10 Depth=1
	s_delay_alu instid0(SALU_CYCLE_1)
	s_or_b32 exec_lo, exec_lo, s15
	flat_load_b64 v[4:5], v[120:121] offset:1024
	s_mov_b32 s15, exec_lo
	s_wait_loadcnt_dscnt 0x0
	v_and_b32_e32 v1, 0xff, v4
	s_wait_xcnt 0x0
	s_delay_alu instid0(VALU_DEP_1)
	v_cmpx_ne_u16_e32 0, v1
	s_cbranch_execz .LBB362_274
; %bb.267:                              ;   in Loop: Header=BB362_10 Depth=1
	v_bfrev_b32_e32 v0, 1
	s_mov_b32 s16, exec_lo
	v_cmpx_ne_u16_e32 0x80, v1
	s_cbranch_execz .LBB362_273
; %bb.268:                              ;   in Loop: Header=BB362_10 Depth=1
	v_and_b32_e32 v1, 0x7f, v4
	v_mov_b32_e32 v0, 0x7f800001
	s_mov_b32 s17, exec_lo
	s_delay_alu instid0(VALU_DEP_2)
	v_cmpx_ne_u32_e32 0x7f, v1
	s_cbranch_execz .LBB362_272
; %bb.269:                              ;   in Loop: Header=BB362_10 Depth=1
	v_lshrrev_b32_e32 v6, 3, v1
	v_cmp_gt_u32_e64 s1, 8, v1
	v_mov_b64_e32 v[0:1], v[4:5]
	s_and_saveexec_b32 s18, s1
; %bb.270:                              ;   in Loop: Header=BB362_10 Depth=1
	v_and_b32_e32 v0, 7, v4
	s_delay_alu instid0(VALU_DEP_1) | instskip(NEXT) | instid1(VALU_DEP_1)
	v_clz_i32_u32_e32 v0, v0
	v_min_u32_e32 v6, 32, v0
	s_delay_alu instid0(VALU_DEP_1) | instskip(SKIP_1) | instid1(VALU_DEP_2)
	v_subrev_nc_u32_e32 v0, 28, v6
	v_sub_nc_u32_e32 v6, 29, v6
	v_lshlrev_b64_e32 v[0:1], v0, v[4:5]
; %bb.271:                              ;   in Loop: Header=BB362_10 Depth=1
	s_or_b32 exec_lo, exec_lo, s18
	s_delay_alu instid0(VALU_DEP_1) | instskip(SKIP_2) | instid1(VALU_DEP_3)
	v_lshlrev_b32_e32 v0, 20, v0
	v_lshlrev_b32_e32 v1, 24, v4
	v_lshl_add_u32 v6, v6, 23, 0x3c000000
	v_and_b32_e32 v0, 0x700000, v0
	s_delay_alu instid0(VALU_DEP_3) | instskip(NEXT) | instid1(VALU_DEP_1)
	v_and_b32_e32 v1, 0x80000000, v1
	v_or3_b32 v0, v0, v1, v6
.LBB362_272:                            ;   in Loop: Header=BB362_10 Depth=1
	s_or_b32 exec_lo, exec_lo, s17
.LBB362_273:                            ;   in Loop: Header=BB362_10 Depth=1
	s_delay_alu instid0(SALU_CYCLE_1)
	s_or_b32 exec_lo, exec_lo, s16
.LBB362_274:                            ;   in Loop: Header=BB362_10 Depth=1
	s_delay_alu instid0(SALU_CYCLE_1) | instskip(SKIP_3) | instid1(VALU_DEP_2)
	s_or_b32 exec_lo, exec_lo, s15
	v_lshrrev_b16 v6, 8, v4
	v_dual_mov_b32 v22, 0 :: v_dual_mov_b32 v1, 0
	s_mov_b32 s15, exec_lo
	v_cmpx_ne_u16_e32 0, v6
	s_cbranch_execz .LBB362_282
; %bb.275:                              ;   in Loop: Header=BB362_10 Depth=1
	v_bfrev_b32_e32 v1, 1
	s_mov_b32 s16, exec_lo
	v_cmpx_ne_u16_e32 0x80, v6
	s_cbranch_execz .LBB362_281
; %bb.276:                              ;   in Loop: Header=BB362_10 Depth=1
	v_and_b32_e32 v7, 0xffff, v6
	v_mov_b32_e32 v1, 0x7f800001
	s_mov_b32 s17, exec_lo
	s_delay_alu instid0(VALU_DEP_2) | instskip(NEXT) | instid1(VALU_DEP_1)
	v_and_b32_e32 v6, 0x7f, v7
	v_cmpx_ne_u32_e32 0x7f, v6
	s_cbranch_execz .LBB362_280
; %bb.277:                              ;   in Loop: Header=BB362_10 Depth=1
	v_dual_lshrrev_b32 v1, 3, v6 :: v_dual_bitop2_b32 v16, 7, v7 bitop3:0x40
	s_mov_b32 s18, exec_lo
	v_cmpx_gt_u32_e32 8, v6
; %bb.278:                              ;   in Loop: Header=BB362_10 Depth=1
	s_delay_alu instid0(VALU_DEP_2) | instskip(NEXT) | instid1(VALU_DEP_1)
	v_clz_i32_u32_e32 v1, v16
	v_min_u32_e32 v1, 32, v1
	s_delay_alu instid0(VALU_DEP_1) | instskip(NEXT) | instid1(VALU_DEP_1)
	v_subrev_nc_u32_e32 v6, 28, v1
	v_lshlrev_b64_e32 v[6:7], v6, v[16:17]
	s_delay_alu instid0(VALU_DEP_1)
	v_dual_sub_nc_u32 v1, 29, v1 :: v_dual_bitop2_b32 v16, 7, v6 bitop3:0x40
; %bb.279:                              ;   in Loop: Header=BB362_10 Depth=1
	s_or_b32 exec_lo, exec_lo, s18
	v_lshlrev_b32_e32 v6, 16, v4
	s_delay_alu instid0(VALU_DEP_2) | instskip(NEXT) | instid1(VALU_DEP_3)
	v_lshlrev_b32_e32 v7, 20, v16
	v_lshl_add_u32 v1, v1, 23, 0x3c000000
	s_delay_alu instid0(VALU_DEP_3) | instskip(NEXT) | instid1(VALU_DEP_1)
	v_and_b32_e32 v6, 0x80000000, v6
	v_or3_b32 v1, v7, v6, v1
.LBB362_280:                            ;   in Loop: Header=BB362_10 Depth=1
	s_or_b32 exec_lo, exec_lo, s17
.LBB362_281:                            ;   in Loop: Header=BB362_10 Depth=1
	s_delay_alu instid0(SALU_CYCLE_1)
	s_or_b32 exec_lo, exec_lo, s16
.LBB362_282:                            ;   in Loop: Header=BB362_10 Depth=1
	s_delay_alu instid0(SALU_CYCLE_1) | instskip(SKIP_2) | instid1(VALU_DEP_1)
	s_or_b32 exec_lo, exec_lo, s15
	v_lshrrev_b32_e32 v6, 16, v4
	s_mov_b32 s15, exec_lo
	v_and_b32_e32 v7, 0xff, v6
	s_delay_alu instid0(VALU_DEP_1)
	v_cmpx_ne_u16_e32 0, v7
	s_cbranch_execz .LBB362_290
; %bb.283:                              ;   in Loop: Header=BB362_10 Depth=1
	v_bfrev_b32_e32 v22, 1
	s_mov_b32 s16, exec_lo
	v_cmpx_ne_u16_e32 0x80, v7
	s_cbranch_execz .LBB362_289
; %bb.284:                              ;   in Loop: Header=BB362_10 Depth=1
	v_bfe_u32 v10, v4, 16, 7
	v_mov_b32_e32 v22, 0x7f800001
	s_mov_b32 s17, exec_lo
	s_delay_alu instid0(VALU_DEP_2)
	v_cmpx_ne_u32_e32 0x7f, v10
	s_cbranch_execz .LBB362_288
; %bb.285:                              ;   in Loop: Header=BB362_10 Depth=1
	v_and_b32_e32 v16, 7, v6
	v_lshrrev_b32_e32 v7, 3, v10
	s_mov_b32 s18, exec_lo
	v_cmpx_gt_u32_e32 8, v10
; %bb.286:                              ;   in Loop: Header=BB362_10 Depth=1
	s_delay_alu instid0(VALU_DEP_3) | instskip(NEXT) | instid1(VALU_DEP_1)
	v_clz_i32_u32_e32 v7, v16
	v_min_u32_e32 v7, 32, v7
	s_delay_alu instid0(VALU_DEP_1) | instskip(NEXT) | instid1(VALU_DEP_1)
	v_subrev_nc_u32_e32 v10, 28, v7
	v_lshlrev_b64_e32 v[10:11], v10, v[16:17]
	s_delay_alu instid0(VALU_DEP_1)
	v_dual_sub_nc_u32 v7, 29, v7 :: v_dual_bitop2_b32 v16, 7, v10 bitop3:0x40
; %bb.287:                              ;   in Loop: Header=BB362_10 Depth=1
	s_or_b32 exec_lo, exec_lo, s18
	s_delay_alu instid0(VALU_DEP_1) | instskip(NEXT) | instid1(VALU_DEP_2)
	v_dual_lshlrev_b32 v6, 24, v6 :: v_dual_lshlrev_b32 v10, 20, v16
	v_lshl_add_u32 v7, v7, 23, 0x3c000000
	s_delay_alu instid0(VALU_DEP_2) | instskip(NEXT) | instid1(VALU_DEP_1)
	v_and_b32_e32 v6, 0x80000000, v6
	v_or3_b32 v22, v10, v6, v7
.LBB362_288:                            ;   in Loop: Header=BB362_10 Depth=1
	s_or_b32 exec_lo, exec_lo, s17
.LBB362_289:                            ;   in Loop: Header=BB362_10 Depth=1
	s_delay_alu instid0(SALU_CYCLE_1)
	s_or_b32 exec_lo, exec_lo, s16
.LBB362_290:                            ;   in Loop: Header=BB362_10 Depth=1
	s_delay_alu instid0(SALU_CYCLE_1)
	s_or_b32 exec_lo, exec_lo, s15
	v_dual_mov_b32 v6, 0 :: v_dual_mov_b32 v23, 0
	s_mov_b32 s15, exec_lo
	v_cmpx_lt_u32_e32 0xffffff, v4
	s_cbranch_execz .LBB362_298
; %bb.291:                              ;   in Loop: Header=BB362_10 Depth=1
	v_lshrrev_b32_e32 v7, 24, v4
	v_bfrev_b32_e32 v23, 1
	s_mov_b32 s16, exec_lo
	s_delay_alu instid0(VALU_DEP_2)
	v_cmpx_ne_u32_e32 0x80, v7
	s_cbranch_execz .LBB362_297
; %bb.292:                              ;   in Loop: Header=BB362_10 Depth=1
	v_bfe_u32 v11, v4, 24, 7
	v_mov_b32_e32 v23, 0x7f800001
	s_mov_b32 s17, exec_lo
	s_delay_alu instid0(VALU_DEP_2)
	v_cmpx_ne_u32_e32 0x7f, v11
	s_cbranch_execz .LBB362_296
; %bb.293:                              ;   in Loop: Header=BB362_10 Depth=1
	v_and_b32_e32 v16, 7, v7
	v_lshrrev_b32_e32 v10, 3, v11
	s_mov_b32 s18, exec_lo
	v_cmpx_gt_u32_e32 8, v11
; %bb.294:                              ;   in Loop: Header=BB362_10 Depth=1
	s_delay_alu instid0(VALU_DEP_3) | instskip(NEXT) | instid1(VALU_DEP_1)
	v_clz_i32_u32_e32 v10, v16
	v_min_u32_e32 v10, 32, v10
	s_delay_alu instid0(VALU_DEP_1) | instskip(NEXT) | instid1(VALU_DEP_1)
	v_subrev_nc_u32_e32 v11, 28, v10
	v_lshlrev_b64_e32 v[12:13], v11, v[16:17]
	s_delay_alu instid0(VALU_DEP_1)
	v_dual_sub_nc_u32 v10, 29, v10 :: v_dual_bitop2_b32 v16, 7, v12 bitop3:0x40
; %bb.295:                              ;   in Loop: Header=BB362_10 Depth=1
	s_or_b32 exec_lo, exec_lo, s18
	s_delay_alu instid0(VALU_DEP_1) | instskip(NEXT) | instid1(VALU_DEP_2)
	v_dual_lshlrev_b32 v7, 24, v7 :: v_dual_lshlrev_b32 v11, 20, v16
	v_lshl_add_u32 v10, v10, 23, 0x3c000000
	s_delay_alu instid0(VALU_DEP_2) | instskip(NEXT) | instid1(VALU_DEP_1)
	v_and_b32_e32 v7, 0x80000000, v7
	v_or3_b32 v23, v11, v7, v10
.LBB362_296:                            ;   in Loop: Header=BB362_10 Depth=1
	s_or_b32 exec_lo, exec_lo, s17
.LBB362_297:                            ;   in Loop: Header=BB362_10 Depth=1
	s_delay_alu instid0(SALU_CYCLE_1)
	s_or_b32 exec_lo, exec_lo, s16
.LBB362_298:                            ;   in Loop: Header=BB362_10 Depth=1
	s_delay_alu instid0(SALU_CYCLE_1) | instskip(SKIP_3) | instid1(VALU_DEP_2)
	s_or_b32 exec_lo, exec_lo, s15
	v_and_b32_e32 v7, 0xff, v5
	v_mov_b32_e32 v16, v5
	s_mov_b32 s15, exec_lo
	v_cmpx_ne_u16_e32 0, v7
	s_cbranch_execz .LBB362_306
; %bb.299:                              ;   in Loop: Header=BB362_10 Depth=1
	v_bfrev_b32_e32 v6, 1
	s_mov_b32 s16, exec_lo
	v_cmpx_ne_u16_e32 0x80, v7
	s_cbranch_execz .LBB362_305
; %bb.300:                              ;   in Loop: Header=BB362_10 Depth=1
	v_and_b32_e32 v7, 0x7f, v5
	v_mov_b32_e32 v6, 0x7f800001
	s_mov_b32 s17, exec_lo
	s_delay_alu instid0(VALU_DEP_2)
	v_cmpx_ne_u32_e32 0x7f, v7
	s_cbranch_execz .LBB362_304
; %bb.301:                              ;   in Loop: Header=BB362_10 Depth=1
	v_lshrrev_b32_e32 v10, 3, v7
	v_cmp_gt_u32_e64 s1, 8, v7
	v_mov_b64_e32 v[6:7], v[16:17]
	s_and_saveexec_b32 s18, s1
; %bb.302:                              ;   in Loop: Header=BB362_10 Depth=1
	v_and_b32_e32 v6, 7, v5
	s_delay_alu instid0(VALU_DEP_1) | instskip(NEXT) | instid1(VALU_DEP_1)
	v_clz_i32_u32_e32 v6, v6
	v_min_u32_e32 v10, 32, v6
	s_delay_alu instid0(VALU_DEP_1) | instskip(SKIP_1) | instid1(VALU_DEP_2)
	v_subrev_nc_u32_e32 v6, 28, v10
	v_sub_nc_u32_e32 v10, 29, v10
	v_lshlrev_b64_e32 v[6:7], v6, v[16:17]
; %bb.303:                              ;   in Loop: Header=BB362_10 Depth=1
	s_or_b32 exec_lo, exec_lo, s18
	s_delay_alu instid0(VALU_DEP_1) | instskip(NEXT) | instid1(VALU_DEP_3)
	v_dual_lshlrev_b32 v6, 20, v6 :: v_dual_lshlrev_b32 v7, 24, v16
	v_lshl_add_u32 v10, v10, 23, 0x3c000000
	s_delay_alu instid0(VALU_DEP_2) | instskip(NEXT) | instid1(VALU_DEP_3)
	v_and_b32_e32 v6, 0x700000, v6
	v_and_b32_e32 v7, 0x80000000, v7
	s_delay_alu instid0(VALU_DEP_1)
	v_or3_b32 v6, v6, v7, v10
.LBB362_304:                            ;   in Loop: Header=BB362_10 Depth=1
	s_or_b32 exec_lo, exec_lo, s17
.LBB362_305:                            ;   in Loop: Header=BB362_10 Depth=1
	s_delay_alu instid0(SALU_CYCLE_1)
	s_or_b32 exec_lo, exec_lo, s16
.LBB362_306:                            ;   in Loop: Header=BB362_10 Depth=1
	s_delay_alu instid0(SALU_CYCLE_1) | instskip(SKIP_3) | instid1(VALU_DEP_2)
	s_or_b32 exec_lo, exec_lo, s15
	v_lshrrev_b16 v11, 8, v16
	v_dual_mov_b32 v10, 0 :: v_dual_mov_b32 v7, 0
	s_mov_b32 s15, exec_lo
	v_cmpx_ne_u16_e32 0, v11
	s_cbranch_execz .LBB362_314
; %bb.307:                              ;   in Loop: Header=BB362_10 Depth=1
	v_bfrev_b32_e32 v7, 1
	s_mov_b32 s16, exec_lo
	v_cmpx_ne_u16_e32 0x80, v11
	s_cbranch_execz .LBB362_313
; %bb.308:                              ;   in Loop: Header=BB362_10 Depth=1
	v_and_b32_e32 v12, 0xffff, v11
	v_mov_b32_e32 v7, 0x7f800001
	s_mov_b32 s17, exec_lo
	s_delay_alu instid0(VALU_DEP_2) | instskip(NEXT) | instid1(VALU_DEP_1)
	v_and_b32_e32 v11, 0x7f, v12
	v_cmpx_ne_u32_e32 0x7f, v11
	s_cbranch_execz .LBB362_312
; %bb.309:                              ;   in Loop: Header=BB362_10 Depth=1
	v_dual_mov_b32 v13, v17 :: v_dual_bitop2_b32 v12, 7, v12 bitop3:0x40
	v_lshrrev_b32_e32 v7, 3, v11
	s_mov_b32 s18, exec_lo
	v_cmpx_gt_u32_e32 8, v11
; %bb.310:                              ;   in Loop: Header=BB362_10 Depth=1
	s_delay_alu instid0(VALU_DEP_3) | instskip(NEXT) | instid1(VALU_DEP_1)
	v_clz_i32_u32_e32 v7, v12
	v_min_u32_e32 v7, 32, v7
	s_delay_alu instid0(VALU_DEP_1) | instskip(NEXT) | instid1(VALU_DEP_1)
	v_subrev_nc_u32_e32 v11, 28, v7
	v_lshlrev_b64_e32 v[12:13], v11, v[12:13]
	s_delay_alu instid0(VALU_DEP_1)
	v_dual_sub_nc_u32 v7, 29, v7 :: v_dual_bitop2_b32 v12, 7, v12 bitop3:0x40
; %bb.311:                              ;   in Loop: Header=BB362_10 Depth=1
	s_or_b32 exec_lo, exec_lo, s18
	v_lshlrev_b32_e32 v11, 16, v16
	s_delay_alu instid0(VALU_DEP_2) | instskip(NEXT) | instid1(VALU_DEP_3)
	v_lshlrev_b32_e32 v12, 20, v12
	v_lshl_add_u32 v7, v7, 23, 0x3c000000
	s_delay_alu instid0(VALU_DEP_3) | instskip(NEXT) | instid1(VALU_DEP_1)
	v_and_b32_e32 v11, 0x80000000, v11
	v_or3_b32 v7, v12, v11, v7
.LBB362_312:                            ;   in Loop: Header=BB362_10 Depth=1
	s_or_b32 exec_lo, exec_lo, s17
.LBB362_313:                            ;   in Loop: Header=BB362_10 Depth=1
	s_delay_alu instid0(SALU_CYCLE_1)
	s_or_b32 exec_lo, exec_lo, s16
.LBB362_314:                            ;   in Loop: Header=BB362_10 Depth=1
	s_delay_alu instid0(SALU_CYCLE_1) | instskip(SKIP_2) | instid1(VALU_DEP_1)
	s_or_b32 exec_lo, exec_lo, s15
	v_lshrrev_b32_e32 v11, 16, v5
	s_mov_b32 s15, exec_lo
	v_and_b32_e32 v12, 0xff, v11
	s_delay_alu instid0(VALU_DEP_1)
	v_cmpx_ne_u16_e32 0, v12
	s_cbranch_execz .LBB362_322
; %bb.315:                              ;   in Loop: Header=BB362_10 Depth=1
	v_bfrev_b32_e32 v10, 1
	s_mov_b32 s16, exec_lo
	v_cmpx_ne_u16_e32 0x80, v12
	s_cbranch_execz .LBB362_321
; %bb.316:                              ;   in Loop: Header=BB362_10 Depth=1
	v_bfe_u32 v12, v5, 16, 7
	v_mov_b32_e32 v10, 0x7f800001
	s_mov_b32 s17, exec_lo
	s_delay_alu instid0(VALU_DEP_2)
	v_cmpx_ne_u32_e32 0x7f, v12
	s_cbranch_execz .LBB362_320
; %bb.317:                              ;   in Loop: Header=BB362_10 Depth=1
	v_dual_lshrrev_b32 v10, 3, v12 :: v_dual_bitop2_b32 v16, 7, v11 bitop3:0x40
	s_mov_b32 s18, exec_lo
	v_cmpx_gt_u32_e32 8, v12
; %bb.318:                              ;   in Loop: Header=BB362_10 Depth=1
	s_delay_alu instid0(VALU_DEP_2) | instskip(NEXT) | instid1(VALU_DEP_1)
	v_clz_i32_u32_e32 v10, v16
	v_min_u32_e32 v10, 32, v10
	s_delay_alu instid0(VALU_DEP_1) | instskip(NEXT) | instid1(VALU_DEP_1)
	v_subrev_nc_u32_e32 v12, 28, v10
	v_lshlrev_b64_e32 v[12:13], v12, v[16:17]
	s_delay_alu instid0(VALU_DEP_1)
	v_dual_sub_nc_u32 v10, 29, v10 :: v_dual_bitop2_b32 v16, 7, v12 bitop3:0x40
; %bb.319:                              ;   in Loop: Header=BB362_10 Depth=1
	s_or_b32 exec_lo, exec_lo, s18
	s_delay_alu instid0(VALU_DEP_1) | instskip(NEXT) | instid1(VALU_DEP_2)
	v_dual_lshlrev_b32 v11, 24, v11 :: v_dual_lshlrev_b32 v12, 20, v16
	v_lshl_add_u32 v10, v10, 23, 0x3c000000
	s_delay_alu instid0(VALU_DEP_2) | instskip(NEXT) | instid1(VALU_DEP_1)
	v_and_b32_e32 v11, 0x80000000, v11
	v_or3_b32 v10, v12, v11, v10
.LBB362_320:                            ;   in Loop: Header=BB362_10 Depth=1
	s_or_b32 exec_lo, exec_lo, s17
.LBB362_321:                            ;   in Loop: Header=BB362_10 Depth=1
	s_delay_alu instid0(SALU_CYCLE_1)
	s_or_b32 exec_lo, exec_lo, s16
.LBB362_322:                            ;   in Loop: Header=BB362_10 Depth=1
	s_delay_alu instid0(SALU_CYCLE_1)
	s_or_b32 exec_lo, exec_lo, s15
	v_dual_mov_b32 v32, 0 :: v_dual_mov_b32 v11, 0
	s_mov_b32 s15, exec_lo
	v_cmpx_lt_u64_e64 s[2:3], v[4:5]
	s_cbranch_execz .LBB362_330
; %bb.323:                              ;   in Loop: Header=BB362_10 Depth=1
	v_lshrrev_b32_e32 v4, 24, v5
	v_bfrev_b32_e32 v11, 1
	s_mov_b32 s16, exec_lo
	s_delay_alu instid0(VALU_DEP_2)
	v_cmpx_ne_u32_e32 0x80, v4
	s_cbranch_execz .LBB362_329
; %bb.324:                              ;   in Loop: Header=BB362_10 Depth=1
	v_bfe_u32 v12, v5, 24, 7
	v_mov_b32_e32 v11, 0x7f800001
	s_mov_b32 s17, exec_lo
	s_delay_alu instid0(VALU_DEP_2)
	v_cmpx_ne_u32_e32 0x7f, v12
	s_cbranch_execz .LBB362_328
; %bb.325:                              ;   in Loop: Header=BB362_10 Depth=1
	v_and_b32_e32 v16, 7, v4
	v_lshrrev_b32_e32 v5, 3, v12
	s_mov_b32 s18, exec_lo
	v_cmpx_gt_u32_e32 8, v12
; %bb.326:                              ;   in Loop: Header=BB362_10 Depth=1
	s_delay_alu instid0(VALU_DEP_3) | instskip(NEXT) | instid1(VALU_DEP_1)
	v_clz_i32_u32_e32 v5, v16
	v_min_u32_e32 v5, 32, v5
	s_delay_alu instid0(VALU_DEP_1) | instskip(NEXT) | instid1(VALU_DEP_1)
	v_subrev_nc_u32_e32 v11, 28, v5
	v_lshlrev_b64_e32 v[12:13], v11, v[16:17]
	s_delay_alu instid0(VALU_DEP_1)
	v_dual_sub_nc_u32 v5, 29, v5 :: v_dual_bitop2_b32 v16, 7, v12 bitop3:0x40
; %bb.327:                              ;   in Loop: Header=BB362_10 Depth=1
	s_or_b32 exec_lo, exec_lo, s18
	v_lshlrev_b32_e32 v4, 24, v4
	s_delay_alu instid0(VALU_DEP_2) | instskip(NEXT) | instid1(VALU_DEP_3)
	v_lshlrev_b32_e32 v11, 20, v16
	v_lshl_add_u32 v5, v5, 23, 0x3c000000
	s_delay_alu instid0(VALU_DEP_3) | instskip(NEXT) | instid1(VALU_DEP_1)
	v_and_b32_e32 v4, 0x80000000, v4
	v_or3_b32 v11, v11, v4, v5
.LBB362_328:                            ;   in Loop: Header=BB362_10 Depth=1
	s_or_b32 exec_lo, exec_lo, s17
.LBB362_329:                            ;   in Loop: Header=BB362_10 Depth=1
	s_delay_alu instid0(SALU_CYCLE_1)
	s_or_b32 exec_lo, exec_lo, s16
.LBB362_330:                            ;   in Loop: Header=BB362_10 Depth=1
	s_delay_alu instid0(SALU_CYCLE_1)
	s_or_b32 exec_lo, exec_lo, s15
	flat_load_b64 v[4:5], v[120:121] offset:1032
	s_mov_b32 s15, exec_lo
	s_wait_loadcnt_dscnt 0x0
	v_and_b32_e32 v12, 0xff, v4
	s_wait_xcnt 0x0
	s_delay_alu instid0(VALU_DEP_1)
	v_cmpx_ne_u16_e32 0, v12
	s_cbranch_execz .LBB362_338
; %bb.331:                              ;   in Loop: Header=BB362_10 Depth=1
	v_bfrev_b32_e32 v32, 1
	s_mov_b32 s16, exec_lo
	v_cmpx_ne_u16_e32 0x80, v12
	s_cbranch_execz .LBB362_337
; %bb.332:                              ;   in Loop: Header=BB362_10 Depth=1
	v_and_b32_e32 v12, 0x7f, v4
	v_mov_b32_e32 v32, 0x7f800001
	s_mov_b32 s17, exec_lo
	s_delay_alu instid0(VALU_DEP_2)
	v_cmpx_ne_u32_e32 0x7f, v12
	s_cbranch_execz .LBB362_336
; %bb.333:                              ;   in Loop: Header=BB362_10 Depth=1
	v_lshrrev_b32_e32 v14, 3, v12
	v_cmp_gt_u32_e64 s1, 8, v12
	v_mov_b64_e32 v[12:13], v[4:5]
	s_and_saveexec_b32 s18, s1
; %bb.334:                              ;   in Loop: Header=BB362_10 Depth=1
	v_and_b32_e32 v12, 7, v4
	s_delay_alu instid0(VALU_DEP_1) | instskip(NEXT) | instid1(VALU_DEP_1)
	v_clz_i32_u32_e32 v12, v12
	v_min_u32_e32 v14, 32, v12
	s_delay_alu instid0(VALU_DEP_1) | instskip(SKIP_1) | instid1(VALU_DEP_2)
	v_subrev_nc_u32_e32 v12, 28, v14
	v_sub_nc_u32_e32 v14, 29, v14
	v_lshlrev_b64_e32 v[12:13], v12, v[4:5]
; %bb.335:                              ;   in Loop: Header=BB362_10 Depth=1
	s_or_b32 exec_lo, exec_lo, s18
	s_delay_alu instid0(VALU_DEP_1) | instskip(SKIP_2) | instid1(VALU_DEP_3)
	v_lshlrev_b32_e32 v12, 20, v12
	v_lshlrev_b32_e32 v13, 24, v4
	v_lshl_add_u32 v14, v14, 23, 0x3c000000
	v_and_b32_e32 v12, 0x700000, v12
	s_delay_alu instid0(VALU_DEP_3) | instskip(NEXT) | instid1(VALU_DEP_1)
	v_and_b32_e32 v13, 0x80000000, v13
	v_or3_b32 v32, v12, v13, v14
.LBB362_336:                            ;   in Loop: Header=BB362_10 Depth=1
	s_or_b32 exec_lo, exec_lo, s17
.LBB362_337:                            ;   in Loop: Header=BB362_10 Depth=1
	s_delay_alu instid0(SALU_CYCLE_1)
	s_or_b32 exec_lo, exec_lo, s16
.LBB362_338:                            ;   in Loop: Header=BB362_10 Depth=1
	s_delay_alu instid0(SALU_CYCLE_1) | instskip(SKIP_3) | instid1(VALU_DEP_2)
	s_or_b32 exec_lo, exec_lo, s15
	v_lshrrev_b16 v12, 8, v4
	v_dual_mov_b32 v34, 0 :: v_dual_mov_b32 v33, 0
	s_mov_b32 s15, exec_lo
	v_cmpx_ne_u16_e32 0, v12
	s_cbranch_execz .LBB362_346
; %bb.339:                              ;   in Loop: Header=BB362_10 Depth=1
	v_bfrev_b32_e32 v33, 1
	s_mov_b32 s16, exec_lo
	v_cmpx_ne_u16_e32 0x80, v12
	s_cbranch_execz .LBB362_345
; %bb.340:                              ;   in Loop: Header=BB362_10 Depth=1
	v_and_b32_e32 v12, 0xffff, v12
	v_mov_b32_e32 v33, 0x7f800001
	s_mov_b32 s17, exec_lo
	s_delay_alu instid0(VALU_DEP_2) | instskip(NEXT) | instid1(VALU_DEP_1)
	v_and_b32_e32 v13, 0x7f, v12
	v_cmpx_ne_u32_e32 0x7f, v13
	s_cbranch_execz .LBB362_344
; %bb.341:                              ;   in Loop: Header=BB362_10 Depth=1
	v_dual_lshrrev_b32 v12, 3, v13 :: v_dual_bitop2_b32 v16, 7, v12 bitop3:0x40
	s_mov_b32 s18, exec_lo
	v_cmpx_gt_u32_e32 8, v13
; %bb.342:                              ;   in Loop: Header=BB362_10 Depth=1
	s_delay_alu instid0(VALU_DEP_2) | instskip(NEXT) | instid1(VALU_DEP_1)
	v_clz_i32_u32_e32 v12, v16
	v_min_u32_e32 v12, 32, v12
	s_delay_alu instid0(VALU_DEP_1) | instskip(NEXT) | instid1(VALU_DEP_1)
	v_subrev_nc_u32_e32 v13, 28, v12
	v_lshlrev_b64_e32 v[14:15], v13, v[16:17]
	s_delay_alu instid0(VALU_DEP_1)
	v_dual_sub_nc_u32 v12, 29, v12 :: v_dual_bitop2_b32 v16, 7, v14 bitop3:0x40
; %bb.343:                              ;   in Loop: Header=BB362_10 Depth=1
	s_or_b32 exec_lo, exec_lo, s18
	v_lshlrev_b32_e32 v13, 16, v4
	s_delay_alu instid0(VALU_DEP_2) | instskip(NEXT) | instid1(VALU_DEP_3)
	v_lshlrev_b32_e32 v14, 20, v16
	v_lshl_add_u32 v12, v12, 23, 0x3c000000
	s_delay_alu instid0(VALU_DEP_3) | instskip(NEXT) | instid1(VALU_DEP_1)
	v_and_b32_e32 v13, 0x80000000, v13
	v_or3_b32 v33, v14, v13, v12
.LBB362_344:                            ;   in Loop: Header=BB362_10 Depth=1
	s_or_b32 exec_lo, exec_lo, s17
.LBB362_345:                            ;   in Loop: Header=BB362_10 Depth=1
	s_delay_alu instid0(SALU_CYCLE_1)
	s_or_b32 exec_lo, exec_lo, s16
.LBB362_346:                            ;   in Loop: Header=BB362_10 Depth=1
	s_delay_alu instid0(SALU_CYCLE_1) | instskip(SKIP_2) | instid1(VALU_DEP_1)
	s_or_b32 exec_lo, exec_lo, s15
	v_lshrrev_b32_e32 v12, 16, v4
	s_mov_b32 s15, exec_lo
	v_and_b32_e32 v13, 0xff, v12
	s_delay_alu instid0(VALU_DEP_1)
	v_cmpx_ne_u16_e32 0, v13
	s_cbranch_execz .LBB362_354
; %bb.347:                              ;   in Loop: Header=BB362_10 Depth=1
	v_bfrev_b32_e32 v34, 1
	s_mov_b32 s16, exec_lo
	v_cmpx_ne_u16_e32 0x80, v13
	s_cbranch_execz .LBB362_353
; %bb.348:                              ;   in Loop: Header=BB362_10 Depth=1
	v_bfe_u32 v14, v4, 16, 7
	v_mov_b32_e32 v34, 0x7f800001
	s_mov_b32 s17, exec_lo
	s_delay_alu instid0(VALU_DEP_2)
	v_cmpx_ne_u32_e32 0x7f, v14
	s_cbranch_execz .LBB362_352
; %bb.349:                              ;   in Loop: Header=BB362_10 Depth=1
	v_dual_lshrrev_b32 v13, 3, v14 :: v_dual_bitop2_b32 v16, 7, v12 bitop3:0x40
	s_mov_b32 s18, exec_lo
	v_cmpx_gt_u32_e32 8, v14
; %bb.350:                              ;   in Loop: Header=BB362_10 Depth=1
	s_delay_alu instid0(VALU_DEP_2) | instskip(NEXT) | instid1(VALU_DEP_1)
	v_clz_i32_u32_e32 v13, v16
	v_min_u32_e32 v13, 32, v13
	s_delay_alu instid0(VALU_DEP_1) | instskip(NEXT) | instid1(VALU_DEP_1)
	v_subrev_nc_u32_e32 v14, 28, v13
	v_lshlrev_b64_e32 v[14:15], v14, v[16:17]
	s_delay_alu instid0(VALU_DEP_1)
	v_dual_sub_nc_u32 v13, 29, v13 :: v_dual_bitop2_b32 v16, 7, v14 bitop3:0x40
; %bb.351:                              ;   in Loop: Header=BB362_10 Depth=1
	s_or_b32 exec_lo, exec_lo, s18
	v_lshlrev_b32_e32 v12, 24, v12
	s_delay_alu instid0(VALU_DEP_2) | instskip(NEXT) | instid1(VALU_DEP_3)
	v_lshlrev_b32_e32 v14, 20, v16
	v_lshl_add_u32 v13, v13, 23, 0x3c000000
	s_delay_alu instid0(VALU_DEP_3) | instskip(NEXT) | instid1(VALU_DEP_1)
	v_and_b32_e32 v12, 0x80000000, v12
	v_or3_b32 v34, v14, v12, v13
.LBB362_352:                            ;   in Loop: Header=BB362_10 Depth=1
	s_or_b32 exec_lo, exec_lo, s17
.LBB362_353:                            ;   in Loop: Header=BB362_10 Depth=1
	s_delay_alu instid0(SALU_CYCLE_1)
	s_or_b32 exec_lo, exec_lo, s16
.LBB362_354:                            ;   in Loop: Header=BB362_10 Depth=1
	s_delay_alu instid0(SALU_CYCLE_1)
	s_or_b32 exec_lo, exec_lo, s15
	v_dual_mov_b32 v18, 0 :: v_dual_mov_b32 v35, 0
	s_mov_b32 s15, exec_lo
	v_cmpx_lt_u32_e32 0xffffff, v4
	s_cbranch_execz .LBB362_362
; %bb.355:                              ;   in Loop: Header=BB362_10 Depth=1
	v_lshrrev_b32_e32 v12, 24, v4
	v_bfrev_b32_e32 v35, 1
	s_mov_b32 s16, exec_lo
	s_delay_alu instid0(VALU_DEP_2)
	v_cmpx_ne_u32_e32 0x80, v12
	s_cbranch_execz .LBB362_361
; %bb.356:                              ;   in Loop: Header=BB362_10 Depth=1
	v_bfe_u32 v14, v4, 24, 7
	v_mov_b32_e32 v35, 0x7f800001
	s_mov_b32 s17, exec_lo
	s_delay_alu instid0(VALU_DEP_2)
	v_cmpx_ne_u32_e32 0x7f, v14
	s_cbranch_execz .LBB362_360
; %bb.357:                              ;   in Loop: Header=BB362_10 Depth=1
	v_dual_lshrrev_b32 v13, 3, v14 :: v_dual_bitop2_b32 v16, 7, v12 bitop3:0x40
	s_mov_b32 s18, exec_lo
	v_cmpx_gt_u32_e32 8, v14
; %bb.358:                              ;   in Loop: Header=BB362_10 Depth=1
	s_delay_alu instid0(VALU_DEP_2) | instskip(NEXT) | instid1(VALU_DEP_1)
	v_clz_i32_u32_e32 v13, v16
	v_min_u32_e32 v13, 32, v13
	s_delay_alu instid0(VALU_DEP_1) | instskip(NEXT) | instid1(VALU_DEP_1)
	v_subrev_nc_u32_e32 v14, 28, v13
	v_lshlrev_b64_e32 v[14:15], v14, v[16:17]
	s_delay_alu instid0(VALU_DEP_1)
	v_dual_sub_nc_u32 v13, 29, v13 :: v_dual_bitop2_b32 v16, 7, v14 bitop3:0x40
; %bb.359:                              ;   in Loop: Header=BB362_10 Depth=1
	s_or_b32 exec_lo, exec_lo, s18
	v_lshlrev_b32_e32 v12, 24, v12
	s_delay_alu instid0(VALU_DEP_2) | instskip(NEXT) | instid1(VALU_DEP_3)
	v_lshlrev_b32_e32 v14, 20, v16
	v_lshl_add_u32 v13, v13, 23, 0x3c000000
	s_delay_alu instid0(VALU_DEP_3) | instskip(NEXT) | instid1(VALU_DEP_1)
	v_and_b32_e32 v12, 0x80000000, v12
	v_or3_b32 v35, v14, v12, v13
.LBB362_360:                            ;   in Loop: Header=BB362_10 Depth=1
	s_or_b32 exec_lo, exec_lo, s17
.LBB362_361:                            ;   in Loop: Header=BB362_10 Depth=1
	s_delay_alu instid0(SALU_CYCLE_1)
	s_or_b32 exec_lo, exec_lo, s16
.LBB362_362:                            ;   in Loop: Header=BB362_10 Depth=1
	s_delay_alu instid0(SALU_CYCLE_1) | instskip(SKIP_3) | instid1(VALU_DEP_2)
	s_or_b32 exec_lo, exec_lo, s15
	v_and_b32_e32 v12, 0xff, v5
	v_mov_b32_e32 v16, v5
	s_mov_b32 s15, exec_lo
	v_cmpx_ne_u16_e32 0, v12
	s_cbranch_execz .LBB362_370
; %bb.363:                              ;   in Loop: Header=BB362_10 Depth=1
	v_bfrev_b32_e32 v18, 1
	s_mov_b32 s16, exec_lo
	v_cmpx_ne_u16_e32 0x80, v12
	s_cbranch_execz .LBB362_369
; %bb.364:                              ;   in Loop: Header=BB362_10 Depth=1
	v_and_b32_e32 v12, 0x7f, v5
	v_mov_b32_e32 v18, 0x7f800001
	s_mov_b32 s17, exec_lo
	s_delay_alu instid0(VALU_DEP_2)
	v_cmpx_ne_u32_e32 0x7f, v12
	s_cbranch_execz .LBB362_368
; %bb.365:                              ;   in Loop: Header=BB362_10 Depth=1
	v_lshrrev_b32_e32 v14, 3, v12
	v_cmp_gt_u32_e64 s1, 8, v12
	v_mov_b64_e32 v[12:13], v[16:17]
	s_and_saveexec_b32 s18, s1
; %bb.366:                              ;   in Loop: Header=BB362_10 Depth=1
	v_and_b32_e32 v12, 7, v5
	s_delay_alu instid0(VALU_DEP_1) | instskip(NEXT) | instid1(VALU_DEP_1)
	v_clz_i32_u32_e32 v12, v12
	v_min_u32_e32 v14, 32, v12
	s_delay_alu instid0(VALU_DEP_1) | instskip(SKIP_1) | instid1(VALU_DEP_2)
	v_subrev_nc_u32_e32 v12, 28, v14
	v_sub_nc_u32_e32 v14, 29, v14
	v_lshlrev_b64_e32 v[12:13], v12, v[16:17]
; %bb.367:                              ;   in Loop: Header=BB362_10 Depth=1
	s_or_b32 exec_lo, exec_lo, s18
	s_delay_alu instid0(VALU_DEP_1) | instskip(SKIP_2) | instid1(VALU_DEP_3)
	v_lshlrev_b32_e32 v12, 20, v12
	v_lshlrev_b32_e32 v13, 24, v16
	v_lshl_add_u32 v14, v14, 23, 0x3c000000
	v_and_b32_e32 v12, 0x700000, v12
	s_delay_alu instid0(VALU_DEP_3) | instskip(NEXT) | instid1(VALU_DEP_1)
	v_and_b32_e32 v13, 0x80000000, v13
	v_or3_b32 v18, v12, v13, v14
.LBB362_368:                            ;   in Loop: Header=BB362_10 Depth=1
	s_or_b32 exec_lo, exec_lo, s17
.LBB362_369:                            ;   in Loop: Header=BB362_10 Depth=1
	s_delay_alu instid0(SALU_CYCLE_1)
	s_or_b32 exec_lo, exec_lo, s16
.LBB362_370:                            ;   in Loop: Header=BB362_10 Depth=1
	s_delay_alu instid0(SALU_CYCLE_1) | instskip(SKIP_3) | instid1(VALU_DEP_2)
	s_or_b32 exec_lo, exec_lo, s15
	v_lshrrev_b16 v12, 8, v16
	v_dual_mov_b32 v36, 0 :: v_dual_mov_b32 v19, 0
	s_mov_b32 s15, exec_lo
	v_cmpx_ne_u16_e32 0, v12
	s_cbranch_execz .LBB362_378
; %bb.371:                              ;   in Loop: Header=BB362_10 Depth=1
	v_bfrev_b32_e32 v19, 1
	s_mov_b32 s16, exec_lo
	v_cmpx_ne_u16_e32 0x80, v12
	s_cbranch_execz .LBB362_377
; %bb.372:                              ;   in Loop: Header=BB362_10 Depth=1
	v_and_b32_e32 v12, 0xffff, v12
	v_mov_b32_e32 v19, 0x7f800001
	s_mov_b32 s17, exec_lo
	s_delay_alu instid0(VALU_DEP_2) | instskip(NEXT) | instid1(VALU_DEP_1)
	v_and_b32_e32 v15, 0x7f, v12
	v_cmpx_ne_u32_e32 0x7f, v15
	s_cbranch_execz .LBB362_376
; %bb.373:                              ;   in Loop: Header=BB362_10 Depth=1
	v_dual_mov_b32 v13, v17 :: v_dual_bitop2_b32 v12, 7, v12 bitop3:0x40
	v_lshrrev_b32_e32 v14, 3, v15
	s_mov_b32 s18, exec_lo
	v_cmpx_gt_u32_e32 8, v15
; %bb.374:                              ;   in Loop: Header=BB362_10 Depth=1
	s_delay_alu instid0(VALU_DEP_3) | instskip(NEXT) | instid1(VALU_DEP_1)
	v_clz_i32_u32_e32 v14, v12
	v_min_u32_e32 v14, 32, v14
	s_delay_alu instid0(VALU_DEP_1) | instskip(NEXT) | instid1(VALU_DEP_1)
	v_subrev_nc_u32_e32 v15, 28, v14
	v_lshlrev_b64_e32 v[12:13], v15, v[12:13]
	s_delay_alu instid0(VALU_DEP_1)
	v_dual_sub_nc_u32 v14, 29, v14 :: v_dual_bitop2_b32 v12, 7, v12 bitop3:0x40
; %bb.375:                              ;   in Loop: Header=BB362_10 Depth=1
	s_or_b32 exec_lo, exec_lo, s18
	v_lshlrev_b32_e32 v13, 16, v16
	s_delay_alu instid0(VALU_DEP_2) | instskip(NEXT) | instid1(VALU_DEP_3)
	v_lshlrev_b32_e32 v12, 20, v12
	v_lshl_add_u32 v14, v14, 23, 0x3c000000
	s_delay_alu instid0(VALU_DEP_3) | instskip(NEXT) | instid1(VALU_DEP_1)
	v_and_b32_e32 v13, 0x80000000, v13
	v_or3_b32 v19, v12, v13, v14
.LBB362_376:                            ;   in Loop: Header=BB362_10 Depth=1
	s_or_b32 exec_lo, exec_lo, s17
.LBB362_377:                            ;   in Loop: Header=BB362_10 Depth=1
	s_delay_alu instid0(SALU_CYCLE_1)
	s_or_b32 exec_lo, exec_lo, s16
.LBB362_378:                            ;   in Loop: Header=BB362_10 Depth=1
	s_delay_alu instid0(SALU_CYCLE_1) | instskip(SKIP_2) | instid1(VALU_DEP_1)
	s_or_b32 exec_lo, exec_lo, s15
	v_lshrrev_b32_e32 v12, 16, v5
	s_mov_b32 s15, exec_lo
	v_and_b32_e32 v13, 0xff, v12
	s_delay_alu instid0(VALU_DEP_1)
	v_cmpx_ne_u16_e32 0, v13
	s_cbranch_execz .LBB362_386
; %bb.379:                              ;   in Loop: Header=BB362_10 Depth=1
	v_bfrev_b32_e32 v36, 1
	s_mov_b32 s16, exec_lo
	v_cmpx_ne_u16_e32 0x80, v13
	s_cbranch_execz .LBB362_385
; %bb.380:                              ;   in Loop: Header=BB362_10 Depth=1
	v_bfe_u32 v14, v5, 16, 7
	v_mov_b32_e32 v36, 0x7f800001
	s_mov_b32 s17, exec_lo
	s_delay_alu instid0(VALU_DEP_2)
	v_cmpx_ne_u32_e32 0x7f, v14
	s_cbranch_execz .LBB362_384
; %bb.381:                              ;   in Loop: Header=BB362_10 Depth=1
	v_dual_lshrrev_b32 v13, 3, v14 :: v_dual_bitop2_b32 v16, 7, v12 bitop3:0x40
	s_mov_b32 s18, exec_lo
	v_cmpx_gt_u32_e32 8, v14
; %bb.382:                              ;   in Loop: Header=BB362_10 Depth=1
	s_delay_alu instid0(VALU_DEP_2) | instskip(NEXT) | instid1(VALU_DEP_1)
	v_clz_i32_u32_e32 v13, v16
	v_min_u32_e32 v13, 32, v13
	s_delay_alu instid0(VALU_DEP_1) | instskip(NEXT) | instid1(VALU_DEP_1)
	v_subrev_nc_u32_e32 v14, 28, v13
	v_lshlrev_b64_e32 v[14:15], v14, v[16:17]
	s_delay_alu instid0(VALU_DEP_1)
	v_dual_sub_nc_u32 v13, 29, v13 :: v_dual_bitop2_b32 v16, 7, v14 bitop3:0x40
; %bb.383:                              ;   in Loop: Header=BB362_10 Depth=1
	s_or_b32 exec_lo, exec_lo, s18
	v_lshlrev_b32_e32 v12, 24, v12
	s_delay_alu instid0(VALU_DEP_2) | instskip(NEXT) | instid1(VALU_DEP_3)
	v_lshlrev_b32_e32 v14, 20, v16
	v_lshl_add_u32 v13, v13, 23, 0x3c000000
	s_delay_alu instid0(VALU_DEP_3) | instskip(NEXT) | instid1(VALU_DEP_1)
	v_and_b32_e32 v12, 0x80000000, v12
	v_or3_b32 v36, v14, v12, v13
.LBB362_384:                            ;   in Loop: Header=BB362_10 Depth=1
	s_or_b32 exec_lo, exec_lo, s17
.LBB362_385:                            ;   in Loop: Header=BB362_10 Depth=1
	s_delay_alu instid0(SALU_CYCLE_1)
	s_or_b32 exec_lo, exec_lo, s16
.LBB362_386:                            ;   in Loop: Header=BB362_10 Depth=1
	s_delay_alu instid0(SALU_CYCLE_1)
	s_or_b32 exec_lo, exec_lo, s15
	v_dual_mov_b32 v38, 0 :: v_dual_mov_b32 v37, 0
	s_mov_b32 s15, exec_lo
	v_cmpx_lt_u64_e64 s[2:3], v[4:5]
	s_cbranch_execz .LBB362_394
; %bb.387:                              ;   in Loop: Header=BB362_10 Depth=1
	v_lshrrev_b32_e32 v4, 24, v5
	v_bfrev_b32_e32 v37, 1
	s_mov_b32 s16, exec_lo
	s_delay_alu instid0(VALU_DEP_2)
	v_cmpx_ne_u32_e32 0x80, v4
	s_cbranch_execz .LBB362_393
; %bb.388:                              ;   in Loop: Header=BB362_10 Depth=1
	v_bfe_u32 v12, v5, 24, 7
	v_mov_b32_e32 v37, 0x7f800001
	s_mov_b32 s17, exec_lo
	s_delay_alu instid0(VALU_DEP_2)
	v_cmpx_ne_u32_e32 0x7f, v12
	s_cbranch_execz .LBB362_392
; %bb.389:                              ;   in Loop: Header=BB362_10 Depth=1
	v_and_b32_e32 v16, 7, v4
	v_lshrrev_b32_e32 v5, 3, v12
	s_mov_b32 s18, exec_lo
	v_cmpx_gt_u32_e32 8, v12
; %bb.390:                              ;   in Loop: Header=BB362_10 Depth=1
	s_delay_alu instid0(VALU_DEP_3) | instskip(NEXT) | instid1(VALU_DEP_1)
	v_clz_i32_u32_e32 v5, v16
	v_min_u32_e32 v5, 32, v5
	s_delay_alu instid0(VALU_DEP_1) | instskip(NEXT) | instid1(VALU_DEP_1)
	v_subrev_nc_u32_e32 v12, 28, v5
	v_lshlrev_b64_e32 v[12:13], v12, v[16:17]
	s_delay_alu instid0(VALU_DEP_1)
	v_dual_sub_nc_u32 v5, 29, v5 :: v_dual_bitop2_b32 v16, 7, v12 bitop3:0x40
; %bb.391:                              ;   in Loop: Header=BB362_10 Depth=1
	s_or_b32 exec_lo, exec_lo, s18
	v_lshlrev_b32_e32 v4, 24, v4
	s_delay_alu instid0(VALU_DEP_2) | instskip(NEXT) | instid1(VALU_DEP_3)
	v_lshlrev_b32_e32 v12, 20, v16
	v_lshl_add_u32 v5, v5, 23, 0x3c000000
	s_delay_alu instid0(VALU_DEP_3) | instskip(NEXT) | instid1(VALU_DEP_1)
	v_and_b32_e32 v4, 0x80000000, v4
	v_or3_b32 v37, v12, v4, v5
.LBB362_392:                            ;   in Loop: Header=BB362_10 Depth=1
	s_or_b32 exec_lo, exec_lo, s17
.LBB362_393:                            ;   in Loop: Header=BB362_10 Depth=1
	s_delay_alu instid0(SALU_CYCLE_1)
	s_or_b32 exec_lo, exec_lo, s16
.LBB362_394:                            ;   in Loop: Header=BB362_10 Depth=1
	s_delay_alu instid0(SALU_CYCLE_1)
	s_or_b32 exec_lo, exec_lo, s15
	flat_load_b64 v[4:5], v[120:121] offset:1536
	s_mov_b32 s15, exec_lo
	s_wait_loadcnt_dscnt 0x0
	v_and_b32_e32 v12, 0xff, v4
	s_wait_xcnt 0x0
	s_delay_alu instid0(VALU_DEP_1)
	v_cmpx_ne_u16_e32 0, v12
	s_cbranch_execz .LBB362_402
; %bb.395:                              ;   in Loop: Header=BB362_10 Depth=1
	v_bfrev_b32_e32 v38, 1
	s_mov_b32 s16, exec_lo
	v_cmpx_ne_u16_e32 0x80, v12
	s_cbranch_execz .LBB362_401
; %bb.396:                              ;   in Loop: Header=BB362_10 Depth=1
	v_and_b32_e32 v12, 0x7f, v4
	v_mov_b32_e32 v38, 0x7f800001
	s_mov_b32 s17, exec_lo
	s_delay_alu instid0(VALU_DEP_2)
	v_cmpx_ne_u32_e32 0x7f, v12
	s_cbranch_execz .LBB362_400
; %bb.397:                              ;   in Loop: Header=BB362_10 Depth=1
	v_lshrrev_b32_e32 v14, 3, v12
	v_cmp_gt_u32_e64 s1, 8, v12
	v_mov_b64_e32 v[12:13], v[4:5]
	s_and_saveexec_b32 s18, s1
; %bb.398:                              ;   in Loop: Header=BB362_10 Depth=1
	v_and_b32_e32 v12, 7, v4
	s_delay_alu instid0(VALU_DEP_1) | instskip(NEXT) | instid1(VALU_DEP_1)
	v_clz_i32_u32_e32 v12, v12
	v_min_u32_e32 v14, 32, v12
	s_delay_alu instid0(VALU_DEP_1) | instskip(SKIP_1) | instid1(VALU_DEP_2)
	v_subrev_nc_u32_e32 v12, 28, v14
	v_sub_nc_u32_e32 v14, 29, v14
	v_lshlrev_b64_e32 v[12:13], v12, v[4:5]
; %bb.399:                              ;   in Loop: Header=BB362_10 Depth=1
	s_or_b32 exec_lo, exec_lo, s18
	s_delay_alu instid0(VALU_DEP_1) | instskip(SKIP_2) | instid1(VALU_DEP_3)
	v_lshlrev_b32_e32 v12, 20, v12
	v_lshlrev_b32_e32 v13, 24, v4
	v_lshl_add_u32 v14, v14, 23, 0x3c000000
	v_and_b32_e32 v12, 0x700000, v12
	s_delay_alu instid0(VALU_DEP_3) | instskip(NEXT) | instid1(VALU_DEP_1)
	v_and_b32_e32 v13, 0x80000000, v13
	v_or3_b32 v38, v12, v13, v14
.LBB362_400:                            ;   in Loop: Header=BB362_10 Depth=1
	s_or_b32 exec_lo, exec_lo, s17
.LBB362_401:                            ;   in Loop: Header=BB362_10 Depth=1
	s_delay_alu instid0(SALU_CYCLE_1)
	s_or_b32 exec_lo, exec_lo, s16
.LBB362_402:                            ;   in Loop: Header=BB362_10 Depth=1
	s_delay_alu instid0(SALU_CYCLE_1) | instskip(SKIP_3) | instid1(VALU_DEP_2)
	s_or_b32 exec_lo, exec_lo, s15
	v_lshrrev_b16 v12, 8, v4
	v_dual_mov_b32 v48, 0 :: v_dual_mov_b32 v39, 0
	s_mov_b32 s15, exec_lo
	v_cmpx_ne_u16_e32 0, v12
	s_cbranch_execz .LBB362_410
; %bb.403:                              ;   in Loop: Header=BB362_10 Depth=1
	v_bfrev_b32_e32 v39, 1
	s_mov_b32 s16, exec_lo
	v_cmpx_ne_u16_e32 0x80, v12
	s_cbranch_execz .LBB362_409
; %bb.404:                              ;   in Loop: Header=BB362_10 Depth=1
	v_and_b32_e32 v12, 0xffff, v12
	v_mov_b32_e32 v39, 0x7f800001
	s_mov_b32 s17, exec_lo
	s_delay_alu instid0(VALU_DEP_2) | instskip(NEXT) | instid1(VALU_DEP_1)
	v_and_b32_e32 v13, 0x7f, v12
	v_cmpx_ne_u32_e32 0x7f, v13
	s_cbranch_execz .LBB362_408
; %bb.405:                              ;   in Loop: Header=BB362_10 Depth=1
	v_dual_lshrrev_b32 v12, 3, v13 :: v_dual_bitop2_b32 v16, 7, v12 bitop3:0x40
	s_mov_b32 s18, exec_lo
	v_cmpx_gt_u32_e32 8, v13
; %bb.406:                              ;   in Loop: Header=BB362_10 Depth=1
	s_delay_alu instid0(VALU_DEP_2) | instskip(NEXT) | instid1(VALU_DEP_1)
	v_clz_i32_u32_e32 v12, v16
	v_min_u32_e32 v12, 32, v12
	s_delay_alu instid0(VALU_DEP_1) | instskip(NEXT) | instid1(VALU_DEP_1)
	v_subrev_nc_u32_e32 v13, 28, v12
	v_lshlrev_b64_e32 v[14:15], v13, v[16:17]
	s_delay_alu instid0(VALU_DEP_1)
	v_dual_sub_nc_u32 v12, 29, v12 :: v_dual_bitop2_b32 v16, 7, v14 bitop3:0x40
; %bb.407:                              ;   in Loop: Header=BB362_10 Depth=1
	s_or_b32 exec_lo, exec_lo, s18
	v_lshlrev_b32_e32 v13, 16, v4
	s_delay_alu instid0(VALU_DEP_2) | instskip(NEXT) | instid1(VALU_DEP_3)
	v_lshlrev_b32_e32 v14, 20, v16
	v_lshl_add_u32 v12, v12, 23, 0x3c000000
	s_delay_alu instid0(VALU_DEP_3) | instskip(NEXT) | instid1(VALU_DEP_1)
	v_and_b32_e32 v13, 0x80000000, v13
	v_or3_b32 v39, v14, v13, v12
.LBB362_408:                            ;   in Loop: Header=BB362_10 Depth=1
	s_or_b32 exec_lo, exec_lo, s17
.LBB362_409:                            ;   in Loop: Header=BB362_10 Depth=1
	s_delay_alu instid0(SALU_CYCLE_1)
	s_or_b32 exec_lo, exec_lo, s16
.LBB362_410:                            ;   in Loop: Header=BB362_10 Depth=1
	s_delay_alu instid0(SALU_CYCLE_1) | instskip(SKIP_2) | instid1(VALU_DEP_1)
	s_or_b32 exec_lo, exec_lo, s15
	v_lshrrev_b32_e32 v12, 16, v4
	s_mov_b32 s15, exec_lo
	v_and_b32_e32 v13, 0xff, v12
	s_delay_alu instid0(VALU_DEP_1)
	v_cmpx_ne_u16_e32 0, v13
	s_cbranch_execz .LBB362_418
; %bb.411:                              ;   in Loop: Header=BB362_10 Depth=1
	v_bfrev_b32_e32 v48, 1
	s_mov_b32 s16, exec_lo
	v_cmpx_ne_u16_e32 0x80, v13
	s_cbranch_execz .LBB362_417
; %bb.412:                              ;   in Loop: Header=BB362_10 Depth=1
	v_bfe_u32 v14, v4, 16, 7
	v_mov_b32_e32 v48, 0x7f800001
	s_mov_b32 s17, exec_lo
	s_delay_alu instid0(VALU_DEP_2)
	v_cmpx_ne_u32_e32 0x7f, v14
	s_cbranch_execz .LBB362_416
; %bb.413:                              ;   in Loop: Header=BB362_10 Depth=1
	v_dual_lshrrev_b32 v13, 3, v14 :: v_dual_bitop2_b32 v16, 7, v12 bitop3:0x40
	s_mov_b32 s18, exec_lo
	v_cmpx_gt_u32_e32 8, v14
; %bb.414:                              ;   in Loop: Header=BB362_10 Depth=1
	s_delay_alu instid0(VALU_DEP_2) | instskip(NEXT) | instid1(VALU_DEP_1)
	v_clz_i32_u32_e32 v13, v16
	v_min_u32_e32 v13, 32, v13
	s_delay_alu instid0(VALU_DEP_1) | instskip(NEXT) | instid1(VALU_DEP_1)
	v_subrev_nc_u32_e32 v14, 28, v13
	v_lshlrev_b64_e32 v[14:15], v14, v[16:17]
	s_delay_alu instid0(VALU_DEP_1)
	v_dual_sub_nc_u32 v13, 29, v13 :: v_dual_bitop2_b32 v16, 7, v14 bitop3:0x40
; %bb.415:                              ;   in Loop: Header=BB362_10 Depth=1
	s_or_b32 exec_lo, exec_lo, s18
	v_lshlrev_b32_e32 v12, 24, v12
	s_delay_alu instid0(VALU_DEP_2) | instskip(NEXT) | instid1(VALU_DEP_3)
	v_lshlrev_b32_e32 v14, 20, v16
	v_lshl_add_u32 v13, v13, 23, 0x3c000000
	s_delay_alu instid0(VALU_DEP_3) | instskip(NEXT) | instid1(VALU_DEP_1)
	v_and_b32_e32 v12, 0x80000000, v12
	v_or3_b32 v48, v14, v12, v13
.LBB362_416:                            ;   in Loop: Header=BB362_10 Depth=1
	s_or_b32 exec_lo, exec_lo, s17
.LBB362_417:                            ;   in Loop: Header=BB362_10 Depth=1
	s_delay_alu instid0(SALU_CYCLE_1)
	s_or_b32 exec_lo, exec_lo, s16
.LBB362_418:                            ;   in Loop: Header=BB362_10 Depth=1
	s_delay_alu instid0(SALU_CYCLE_1)
	s_or_b32 exec_lo, exec_lo, s15
	v_dual_mov_b32 v50, 0 :: v_dual_mov_b32 v49, 0
	s_mov_b32 s15, exec_lo
	v_cmpx_lt_u32_e32 0xffffff, v4
	s_cbranch_execz .LBB362_426
; %bb.419:                              ;   in Loop: Header=BB362_10 Depth=1
	v_lshrrev_b32_e32 v12, 24, v4
	v_bfrev_b32_e32 v49, 1
	s_mov_b32 s16, exec_lo
	s_delay_alu instid0(VALU_DEP_2)
	v_cmpx_ne_u32_e32 0x80, v12
	s_cbranch_execz .LBB362_425
; %bb.420:                              ;   in Loop: Header=BB362_10 Depth=1
	v_bfe_u32 v14, v4, 24, 7
	v_mov_b32_e32 v49, 0x7f800001
	s_mov_b32 s17, exec_lo
	s_delay_alu instid0(VALU_DEP_2)
	v_cmpx_ne_u32_e32 0x7f, v14
	s_cbranch_execz .LBB362_424
; %bb.421:                              ;   in Loop: Header=BB362_10 Depth=1
	v_dual_lshrrev_b32 v13, 3, v14 :: v_dual_bitop2_b32 v16, 7, v12 bitop3:0x40
	s_mov_b32 s18, exec_lo
	v_cmpx_gt_u32_e32 8, v14
; %bb.422:                              ;   in Loop: Header=BB362_10 Depth=1
	s_delay_alu instid0(VALU_DEP_2) | instskip(NEXT) | instid1(VALU_DEP_1)
	v_clz_i32_u32_e32 v13, v16
	v_min_u32_e32 v13, 32, v13
	s_delay_alu instid0(VALU_DEP_1) | instskip(NEXT) | instid1(VALU_DEP_1)
	v_subrev_nc_u32_e32 v14, 28, v13
	v_lshlrev_b64_e32 v[14:15], v14, v[16:17]
	s_delay_alu instid0(VALU_DEP_1)
	v_dual_sub_nc_u32 v13, 29, v13 :: v_dual_bitop2_b32 v16, 7, v14 bitop3:0x40
; %bb.423:                              ;   in Loop: Header=BB362_10 Depth=1
	s_or_b32 exec_lo, exec_lo, s18
	v_lshlrev_b32_e32 v12, 24, v12
	s_delay_alu instid0(VALU_DEP_2) | instskip(NEXT) | instid1(VALU_DEP_3)
	v_lshlrev_b32_e32 v14, 20, v16
	v_lshl_add_u32 v13, v13, 23, 0x3c000000
	s_delay_alu instid0(VALU_DEP_3) | instskip(NEXT) | instid1(VALU_DEP_1)
	v_and_b32_e32 v12, 0x80000000, v12
	v_or3_b32 v49, v14, v12, v13
.LBB362_424:                            ;   in Loop: Header=BB362_10 Depth=1
	s_or_b32 exec_lo, exec_lo, s17
.LBB362_425:                            ;   in Loop: Header=BB362_10 Depth=1
	s_delay_alu instid0(SALU_CYCLE_1)
	s_or_b32 exec_lo, exec_lo, s16
.LBB362_426:                            ;   in Loop: Header=BB362_10 Depth=1
	s_delay_alu instid0(SALU_CYCLE_1) | instskip(SKIP_3) | instid1(VALU_DEP_2)
	s_or_b32 exec_lo, exec_lo, s15
	v_and_b32_e32 v12, 0xff, v5
	v_mov_b32_e32 v16, v5
	s_mov_b32 s15, exec_lo
	v_cmpx_ne_u16_e32 0, v12
	s_cbranch_execz .LBB362_434
; %bb.427:                              ;   in Loop: Header=BB362_10 Depth=1
	v_bfrev_b32_e32 v50, 1
	s_mov_b32 s16, exec_lo
	v_cmpx_ne_u16_e32 0x80, v12
	s_cbranch_execz .LBB362_433
; %bb.428:                              ;   in Loop: Header=BB362_10 Depth=1
	v_and_b32_e32 v12, 0x7f, v5
	v_mov_b32_e32 v50, 0x7f800001
	s_mov_b32 s17, exec_lo
	s_delay_alu instid0(VALU_DEP_2)
	v_cmpx_ne_u32_e32 0x7f, v12
	s_cbranch_execz .LBB362_432
; %bb.429:                              ;   in Loop: Header=BB362_10 Depth=1
	v_lshrrev_b32_e32 v14, 3, v12
	v_cmp_gt_u32_e64 s1, 8, v12
	v_mov_b64_e32 v[12:13], v[16:17]
	s_and_saveexec_b32 s18, s1
; %bb.430:                              ;   in Loop: Header=BB362_10 Depth=1
	v_and_b32_e32 v12, 7, v5
	s_delay_alu instid0(VALU_DEP_1) | instskip(NEXT) | instid1(VALU_DEP_1)
	v_clz_i32_u32_e32 v12, v12
	v_min_u32_e32 v14, 32, v12
	s_delay_alu instid0(VALU_DEP_1) | instskip(SKIP_1) | instid1(VALU_DEP_2)
	v_subrev_nc_u32_e32 v12, 28, v14
	v_sub_nc_u32_e32 v14, 29, v14
	v_lshlrev_b64_e32 v[12:13], v12, v[16:17]
; %bb.431:                              ;   in Loop: Header=BB362_10 Depth=1
	s_or_b32 exec_lo, exec_lo, s18
	s_delay_alu instid0(VALU_DEP_1) | instskip(SKIP_2) | instid1(VALU_DEP_3)
	v_lshlrev_b32_e32 v12, 20, v12
	v_lshlrev_b32_e32 v13, 24, v16
	v_lshl_add_u32 v14, v14, 23, 0x3c000000
	v_and_b32_e32 v12, 0x700000, v12
	s_delay_alu instid0(VALU_DEP_3) | instskip(NEXT) | instid1(VALU_DEP_1)
	v_and_b32_e32 v13, 0x80000000, v13
	v_or3_b32 v50, v12, v13, v14
.LBB362_432:                            ;   in Loop: Header=BB362_10 Depth=1
	s_or_b32 exec_lo, exec_lo, s17
.LBB362_433:                            ;   in Loop: Header=BB362_10 Depth=1
	s_delay_alu instid0(SALU_CYCLE_1)
	s_or_b32 exec_lo, exec_lo, s16
.LBB362_434:                            ;   in Loop: Header=BB362_10 Depth=1
	s_delay_alu instid0(SALU_CYCLE_1) | instskip(SKIP_3) | instid1(VALU_DEP_2)
	s_or_b32 exec_lo, exec_lo, s15
	v_lshrrev_b16 v12, 8, v16
	v_dual_mov_b32 v52, 0 :: v_dual_mov_b32 v51, 0
	s_mov_b32 s15, exec_lo
	v_cmpx_ne_u16_e32 0, v12
	s_cbranch_execz .LBB362_442
; %bb.435:                              ;   in Loop: Header=BB362_10 Depth=1
	v_bfrev_b32_e32 v51, 1
	s_mov_b32 s16, exec_lo
	v_cmpx_ne_u16_e32 0x80, v12
	s_cbranch_execz .LBB362_441
; %bb.436:                              ;   in Loop: Header=BB362_10 Depth=1
	v_and_b32_e32 v12, 0xffff, v12
	v_mov_b32_e32 v51, 0x7f800001
	s_mov_b32 s17, exec_lo
	s_delay_alu instid0(VALU_DEP_2) | instskip(NEXT) | instid1(VALU_DEP_1)
	v_and_b32_e32 v15, 0x7f, v12
	v_cmpx_ne_u32_e32 0x7f, v15
	s_cbranch_execz .LBB362_440
; %bb.437:                              ;   in Loop: Header=BB362_10 Depth=1
	v_dual_mov_b32 v13, v17 :: v_dual_bitop2_b32 v12, 7, v12 bitop3:0x40
	v_lshrrev_b32_e32 v14, 3, v15
	s_mov_b32 s18, exec_lo
	v_cmpx_gt_u32_e32 8, v15
; %bb.438:                              ;   in Loop: Header=BB362_10 Depth=1
	s_delay_alu instid0(VALU_DEP_3) | instskip(NEXT) | instid1(VALU_DEP_1)
	v_clz_i32_u32_e32 v14, v12
	v_min_u32_e32 v14, 32, v14
	s_delay_alu instid0(VALU_DEP_1) | instskip(NEXT) | instid1(VALU_DEP_1)
	v_subrev_nc_u32_e32 v15, 28, v14
	v_lshlrev_b64_e32 v[12:13], v15, v[12:13]
	s_delay_alu instid0(VALU_DEP_1)
	v_dual_sub_nc_u32 v14, 29, v14 :: v_dual_bitop2_b32 v12, 7, v12 bitop3:0x40
; %bb.439:                              ;   in Loop: Header=BB362_10 Depth=1
	s_or_b32 exec_lo, exec_lo, s18
	v_lshlrev_b32_e32 v13, 16, v16
	s_delay_alu instid0(VALU_DEP_2) | instskip(NEXT) | instid1(VALU_DEP_3)
	v_lshlrev_b32_e32 v12, 20, v12
	v_lshl_add_u32 v14, v14, 23, 0x3c000000
	s_delay_alu instid0(VALU_DEP_3) | instskip(NEXT) | instid1(VALU_DEP_1)
	v_and_b32_e32 v13, 0x80000000, v13
	v_or3_b32 v51, v12, v13, v14
.LBB362_440:                            ;   in Loop: Header=BB362_10 Depth=1
	s_or_b32 exec_lo, exec_lo, s17
.LBB362_441:                            ;   in Loop: Header=BB362_10 Depth=1
	s_delay_alu instid0(SALU_CYCLE_1)
	s_or_b32 exec_lo, exec_lo, s16
.LBB362_442:                            ;   in Loop: Header=BB362_10 Depth=1
	s_delay_alu instid0(SALU_CYCLE_1) | instskip(SKIP_2) | instid1(VALU_DEP_1)
	s_or_b32 exec_lo, exec_lo, s15
	v_lshrrev_b32_e32 v12, 16, v5
	s_mov_b32 s15, exec_lo
	v_and_b32_e32 v13, 0xff, v12
	s_delay_alu instid0(VALU_DEP_1)
	v_cmpx_ne_u16_e32 0, v13
	s_cbranch_execz .LBB362_450
; %bb.443:                              ;   in Loop: Header=BB362_10 Depth=1
	v_bfrev_b32_e32 v52, 1
	s_mov_b32 s16, exec_lo
	v_cmpx_ne_u16_e32 0x80, v13
	s_cbranch_execz .LBB362_449
; %bb.444:                              ;   in Loop: Header=BB362_10 Depth=1
	v_bfe_u32 v14, v5, 16, 7
	v_mov_b32_e32 v52, 0x7f800001
	s_mov_b32 s17, exec_lo
	s_delay_alu instid0(VALU_DEP_2)
	v_cmpx_ne_u32_e32 0x7f, v14
	s_cbranch_execz .LBB362_448
; %bb.445:                              ;   in Loop: Header=BB362_10 Depth=1
	v_dual_lshrrev_b32 v13, 3, v14 :: v_dual_bitop2_b32 v16, 7, v12 bitop3:0x40
	s_mov_b32 s18, exec_lo
	v_cmpx_gt_u32_e32 8, v14
; %bb.446:                              ;   in Loop: Header=BB362_10 Depth=1
	s_delay_alu instid0(VALU_DEP_2) | instskip(NEXT) | instid1(VALU_DEP_1)
	v_clz_i32_u32_e32 v13, v16
	v_min_u32_e32 v13, 32, v13
	s_delay_alu instid0(VALU_DEP_1) | instskip(NEXT) | instid1(VALU_DEP_1)
	v_subrev_nc_u32_e32 v14, 28, v13
	v_lshlrev_b64_e32 v[14:15], v14, v[16:17]
	s_delay_alu instid0(VALU_DEP_1)
	v_dual_sub_nc_u32 v13, 29, v13 :: v_dual_bitop2_b32 v16, 7, v14 bitop3:0x40
; %bb.447:                              ;   in Loop: Header=BB362_10 Depth=1
	s_or_b32 exec_lo, exec_lo, s18
	v_lshlrev_b32_e32 v12, 24, v12
	s_delay_alu instid0(VALU_DEP_2) | instskip(NEXT) | instid1(VALU_DEP_3)
	v_lshlrev_b32_e32 v14, 20, v16
	v_lshl_add_u32 v13, v13, 23, 0x3c000000
	s_delay_alu instid0(VALU_DEP_3) | instskip(NEXT) | instid1(VALU_DEP_1)
	v_and_b32_e32 v12, 0x80000000, v12
	v_or3_b32 v52, v14, v12, v13
.LBB362_448:                            ;   in Loop: Header=BB362_10 Depth=1
	s_or_b32 exec_lo, exec_lo, s17
.LBB362_449:                            ;   in Loop: Header=BB362_10 Depth=1
	s_delay_alu instid0(SALU_CYCLE_1)
	s_or_b32 exec_lo, exec_lo, s16
.LBB362_450:                            ;   in Loop: Header=BB362_10 Depth=1
	s_delay_alu instid0(SALU_CYCLE_1)
	s_or_b32 exec_lo, exec_lo, s15
	v_dual_mov_b32 v54, 0 :: v_dual_mov_b32 v53, 0
	s_mov_b32 s15, exec_lo
	v_cmpx_lt_u64_e64 s[2:3], v[4:5]
	s_cbranch_execz .LBB362_458
; %bb.451:                              ;   in Loop: Header=BB362_10 Depth=1
	v_lshrrev_b32_e32 v4, 24, v5
	v_bfrev_b32_e32 v53, 1
	s_mov_b32 s16, exec_lo
	s_delay_alu instid0(VALU_DEP_2)
	v_cmpx_ne_u32_e32 0x80, v4
	s_cbranch_execz .LBB362_457
; %bb.452:                              ;   in Loop: Header=BB362_10 Depth=1
	v_bfe_u32 v12, v5, 24, 7
	v_mov_b32_e32 v53, 0x7f800001
	s_mov_b32 s17, exec_lo
	s_delay_alu instid0(VALU_DEP_2)
	v_cmpx_ne_u32_e32 0x7f, v12
	s_cbranch_execz .LBB362_456
; %bb.453:                              ;   in Loop: Header=BB362_10 Depth=1
	v_and_b32_e32 v16, 7, v4
	v_lshrrev_b32_e32 v5, 3, v12
	s_mov_b32 s18, exec_lo
	v_cmpx_gt_u32_e32 8, v12
; %bb.454:                              ;   in Loop: Header=BB362_10 Depth=1
	s_delay_alu instid0(VALU_DEP_3) | instskip(NEXT) | instid1(VALU_DEP_1)
	v_clz_i32_u32_e32 v5, v16
	v_min_u32_e32 v5, 32, v5
	s_delay_alu instid0(VALU_DEP_1) | instskip(NEXT) | instid1(VALU_DEP_1)
	v_subrev_nc_u32_e32 v12, 28, v5
	v_lshlrev_b64_e32 v[12:13], v12, v[16:17]
	s_delay_alu instid0(VALU_DEP_1)
	v_dual_sub_nc_u32 v5, 29, v5 :: v_dual_bitop2_b32 v16, 7, v12 bitop3:0x40
; %bb.455:                              ;   in Loop: Header=BB362_10 Depth=1
	s_or_b32 exec_lo, exec_lo, s18
	v_lshlrev_b32_e32 v4, 24, v4
	s_delay_alu instid0(VALU_DEP_2) | instskip(NEXT) | instid1(VALU_DEP_3)
	v_lshlrev_b32_e32 v12, 20, v16
	v_lshl_add_u32 v5, v5, 23, 0x3c000000
	s_delay_alu instid0(VALU_DEP_3) | instskip(NEXT) | instid1(VALU_DEP_1)
	v_and_b32_e32 v4, 0x80000000, v4
	v_or3_b32 v53, v12, v4, v5
.LBB362_456:                            ;   in Loop: Header=BB362_10 Depth=1
	s_or_b32 exec_lo, exec_lo, s17
.LBB362_457:                            ;   in Loop: Header=BB362_10 Depth=1
	s_delay_alu instid0(SALU_CYCLE_1)
	s_or_b32 exec_lo, exec_lo, s16
.LBB362_458:                            ;   in Loop: Header=BB362_10 Depth=1
	s_delay_alu instid0(SALU_CYCLE_1)
	s_or_b32 exec_lo, exec_lo, s15
	flat_load_b64 v[4:5], v[120:121] offset:1544
	s_mov_b32 s15, exec_lo
	s_wait_loadcnt_dscnt 0x0
	v_and_b32_e32 v12, 0xff, v4
	s_wait_xcnt 0x0
	s_delay_alu instid0(VALU_DEP_1)
	v_cmpx_ne_u16_e32 0, v12
	s_cbranch_execz .LBB362_466
; %bb.459:                              ;   in Loop: Header=BB362_10 Depth=1
	v_bfrev_b32_e32 v54, 1
	s_mov_b32 s16, exec_lo
	v_cmpx_ne_u16_e32 0x80, v12
	s_cbranch_execz .LBB362_465
; %bb.460:                              ;   in Loop: Header=BB362_10 Depth=1
	v_and_b32_e32 v12, 0x7f, v4
	v_mov_b32_e32 v54, 0x7f800001
	s_mov_b32 s17, exec_lo
	s_delay_alu instid0(VALU_DEP_2)
	v_cmpx_ne_u32_e32 0x7f, v12
	s_cbranch_execz .LBB362_464
; %bb.461:                              ;   in Loop: Header=BB362_10 Depth=1
	v_lshrrev_b32_e32 v14, 3, v12
	v_cmp_gt_u32_e64 s1, 8, v12
	v_mov_b64_e32 v[12:13], v[4:5]
	s_and_saveexec_b32 s18, s1
; %bb.462:                              ;   in Loop: Header=BB362_10 Depth=1
	v_and_b32_e32 v12, 7, v4
	s_delay_alu instid0(VALU_DEP_1) | instskip(NEXT) | instid1(VALU_DEP_1)
	v_clz_i32_u32_e32 v12, v12
	v_min_u32_e32 v14, 32, v12
	s_delay_alu instid0(VALU_DEP_1) | instskip(SKIP_1) | instid1(VALU_DEP_2)
	v_subrev_nc_u32_e32 v12, 28, v14
	v_sub_nc_u32_e32 v14, 29, v14
	v_lshlrev_b64_e32 v[12:13], v12, v[4:5]
; %bb.463:                              ;   in Loop: Header=BB362_10 Depth=1
	s_or_b32 exec_lo, exec_lo, s18
	s_delay_alu instid0(VALU_DEP_1) | instskip(SKIP_2) | instid1(VALU_DEP_3)
	v_lshlrev_b32_e32 v12, 20, v12
	v_lshlrev_b32_e32 v13, 24, v4
	v_lshl_add_u32 v14, v14, 23, 0x3c000000
	v_and_b32_e32 v12, 0x700000, v12
	s_delay_alu instid0(VALU_DEP_3) | instskip(NEXT) | instid1(VALU_DEP_1)
	v_and_b32_e32 v13, 0x80000000, v13
	v_or3_b32 v54, v12, v13, v14
.LBB362_464:                            ;   in Loop: Header=BB362_10 Depth=1
	s_or_b32 exec_lo, exec_lo, s17
.LBB362_465:                            ;   in Loop: Header=BB362_10 Depth=1
	s_delay_alu instid0(SALU_CYCLE_1)
	s_or_b32 exec_lo, exec_lo, s16
.LBB362_466:                            ;   in Loop: Header=BB362_10 Depth=1
	s_delay_alu instid0(SALU_CYCLE_1) | instskip(SKIP_3) | instid1(VALU_DEP_2)
	s_or_b32 exec_lo, exec_lo, s15
	v_lshrrev_b16 v12, 8, v4
	v_dual_mov_b32 v64, 0 :: v_dual_mov_b32 v55, 0
	s_mov_b32 s15, exec_lo
	v_cmpx_ne_u16_e32 0, v12
	s_cbranch_execz .LBB362_474
; %bb.467:                              ;   in Loop: Header=BB362_10 Depth=1
	v_bfrev_b32_e32 v55, 1
	s_mov_b32 s16, exec_lo
	v_cmpx_ne_u16_e32 0x80, v12
	s_cbranch_execz .LBB362_473
; %bb.468:                              ;   in Loop: Header=BB362_10 Depth=1
	v_and_b32_e32 v12, 0xffff, v12
	v_mov_b32_e32 v55, 0x7f800001
	s_mov_b32 s17, exec_lo
	s_delay_alu instid0(VALU_DEP_2) | instskip(NEXT) | instid1(VALU_DEP_1)
	v_and_b32_e32 v13, 0x7f, v12
	v_cmpx_ne_u32_e32 0x7f, v13
	s_cbranch_execz .LBB362_472
; %bb.469:                              ;   in Loop: Header=BB362_10 Depth=1
	v_dual_lshrrev_b32 v12, 3, v13 :: v_dual_bitop2_b32 v16, 7, v12 bitop3:0x40
	s_mov_b32 s18, exec_lo
	v_cmpx_gt_u32_e32 8, v13
; %bb.470:                              ;   in Loop: Header=BB362_10 Depth=1
	s_delay_alu instid0(VALU_DEP_2) | instskip(NEXT) | instid1(VALU_DEP_1)
	v_clz_i32_u32_e32 v12, v16
	v_min_u32_e32 v12, 32, v12
	s_delay_alu instid0(VALU_DEP_1) | instskip(NEXT) | instid1(VALU_DEP_1)
	v_subrev_nc_u32_e32 v13, 28, v12
	v_lshlrev_b64_e32 v[14:15], v13, v[16:17]
	s_delay_alu instid0(VALU_DEP_1)
	v_dual_sub_nc_u32 v12, 29, v12 :: v_dual_bitop2_b32 v16, 7, v14 bitop3:0x40
; %bb.471:                              ;   in Loop: Header=BB362_10 Depth=1
	s_or_b32 exec_lo, exec_lo, s18
	v_lshlrev_b32_e32 v13, 16, v4
	s_delay_alu instid0(VALU_DEP_2) | instskip(NEXT) | instid1(VALU_DEP_3)
	v_lshlrev_b32_e32 v14, 20, v16
	v_lshl_add_u32 v12, v12, 23, 0x3c000000
	s_delay_alu instid0(VALU_DEP_3) | instskip(NEXT) | instid1(VALU_DEP_1)
	v_and_b32_e32 v13, 0x80000000, v13
	v_or3_b32 v55, v14, v13, v12
.LBB362_472:                            ;   in Loop: Header=BB362_10 Depth=1
	s_or_b32 exec_lo, exec_lo, s17
.LBB362_473:                            ;   in Loop: Header=BB362_10 Depth=1
	s_delay_alu instid0(SALU_CYCLE_1)
	s_or_b32 exec_lo, exec_lo, s16
.LBB362_474:                            ;   in Loop: Header=BB362_10 Depth=1
	s_delay_alu instid0(SALU_CYCLE_1) | instskip(SKIP_2) | instid1(VALU_DEP_1)
	s_or_b32 exec_lo, exec_lo, s15
	v_lshrrev_b32_e32 v12, 16, v4
	s_mov_b32 s15, exec_lo
	v_and_b32_e32 v13, 0xff, v12
	s_delay_alu instid0(VALU_DEP_1)
	v_cmpx_ne_u16_e32 0, v13
	s_cbranch_execz .LBB362_482
; %bb.475:                              ;   in Loop: Header=BB362_10 Depth=1
	v_bfrev_b32_e32 v64, 1
	s_mov_b32 s16, exec_lo
	v_cmpx_ne_u16_e32 0x80, v13
	s_cbranch_execz .LBB362_481
; %bb.476:                              ;   in Loop: Header=BB362_10 Depth=1
	v_bfe_u32 v14, v4, 16, 7
	v_mov_b32_e32 v64, 0x7f800001
	s_mov_b32 s17, exec_lo
	s_delay_alu instid0(VALU_DEP_2)
	v_cmpx_ne_u32_e32 0x7f, v14
	s_cbranch_execz .LBB362_480
; %bb.477:                              ;   in Loop: Header=BB362_10 Depth=1
	v_dual_lshrrev_b32 v13, 3, v14 :: v_dual_bitop2_b32 v16, 7, v12 bitop3:0x40
	s_mov_b32 s18, exec_lo
	v_cmpx_gt_u32_e32 8, v14
; %bb.478:                              ;   in Loop: Header=BB362_10 Depth=1
	s_delay_alu instid0(VALU_DEP_2) | instskip(NEXT) | instid1(VALU_DEP_1)
	v_clz_i32_u32_e32 v13, v16
	v_min_u32_e32 v13, 32, v13
	s_delay_alu instid0(VALU_DEP_1) | instskip(NEXT) | instid1(VALU_DEP_1)
	v_subrev_nc_u32_e32 v14, 28, v13
	v_lshlrev_b64_e32 v[14:15], v14, v[16:17]
	s_delay_alu instid0(VALU_DEP_1)
	v_dual_sub_nc_u32 v13, 29, v13 :: v_dual_bitop2_b32 v16, 7, v14 bitop3:0x40
; %bb.479:                              ;   in Loop: Header=BB362_10 Depth=1
	s_or_b32 exec_lo, exec_lo, s18
	v_lshlrev_b32_e32 v12, 24, v12
	s_delay_alu instid0(VALU_DEP_2) | instskip(NEXT) | instid1(VALU_DEP_3)
	v_lshlrev_b32_e32 v14, 20, v16
	v_lshl_add_u32 v13, v13, 23, 0x3c000000
	s_delay_alu instid0(VALU_DEP_3) | instskip(NEXT) | instid1(VALU_DEP_1)
	v_and_b32_e32 v12, 0x80000000, v12
	v_or3_b32 v64, v14, v12, v13
.LBB362_480:                            ;   in Loop: Header=BB362_10 Depth=1
	s_or_b32 exec_lo, exec_lo, s17
.LBB362_481:                            ;   in Loop: Header=BB362_10 Depth=1
	s_delay_alu instid0(SALU_CYCLE_1)
	s_or_b32 exec_lo, exec_lo, s16
.LBB362_482:                            ;   in Loop: Header=BB362_10 Depth=1
	s_delay_alu instid0(SALU_CYCLE_1)
	s_or_b32 exec_lo, exec_lo, s15
	v_dual_mov_b32 v66, 0 :: v_dual_mov_b32 v65, 0
	s_mov_b32 s15, exec_lo
	v_cmpx_lt_u32_e32 0xffffff, v4
	s_cbranch_execz .LBB362_490
; %bb.483:                              ;   in Loop: Header=BB362_10 Depth=1
	v_lshrrev_b32_e32 v12, 24, v4
	v_bfrev_b32_e32 v65, 1
	s_mov_b32 s16, exec_lo
	s_delay_alu instid0(VALU_DEP_2)
	v_cmpx_ne_u32_e32 0x80, v12
	s_cbranch_execz .LBB362_489
; %bb.484:                              ;   in Loop: Header=BB362_10 Depth=1
	v_bfe_u32 v14, v4, 24, 7
	v_mov_b32_e32 v65, 0x7f800001
	s_mov_b32 s17, exec_lo
	s_delay_alu instid0(VALU_DEP_2)
	v_cmpx_ne_u32_e32 0x7f, v14
	s_cbranch_execz .LBB362_488
; %bb.485:                              ;   in Loop: Header=BB362_10 Depth=1
	v_dual_lshrrev_b32 v13, 3, v14 :: v_dual_bitop2_b32 v16, 7, v12 bitop3:0x40
	s_mov_b32 s18, exec_lo
	v_cmpx_gt_u32_e32 8, v14
; %bb.486:                              ;   in Loop: Header=BB362_10 Depth=1
	s_delay_alu instid0(VALU_DEP_2) | instskip(NEXT) | instid1(VALU_DEP_1)
	v_clz_i32_u32_e32 v13, v16
	v_min_u32_e32 v13, 32, v13
	s_delay_alu instid0(VALU_DEP_1) | instskip(NEXT) | instid1(VALU_DEP_1)
	v_subrev_nc_u32_e32 v14, 28, v13
	v_lshlrev_b64_e32 v[14:15], v14, v[16:17]
	s_delay_alu instid0(VALU_DEP_1)
	v_dual_sub_nc_u32 v13, 29, v13 :: v_dual_bitop2_b32 v16, 7, v14 bitop3:0x40
; %bb.487:                              ;   in Loop: Header=BB362_10 Depth=1
	s_or_b32 exec_lo, exec_lo, s18
	v_lshlrev_b32_e32 v12, 24, v12
	s_delay_alu instid0(VALU_DEP_2) | instskip(NEXT) | instid1(VALU_DEP_3)
	v_lshlrev_b32_e32 v14, 20, v16
	v_lshl_add_u32 v13, v13, 23, 0x3c000000
	s_delay_alu instid0(VALU_DEP_3) | instskip(NEXT) | instid1(VALU_DEP_1)
	v_and_b32_e32 v12, 0x80000000, v12
	v_or3_b32 v65, v14, v12, v13
.LBB362_488:                            ;   in Loop: Header=BB362_10 Depth=1
	s_or_b32 exec_lo, exec_lo, s17
.LBB362_489:                            ;   in Loop: Header=BB362_10 Depth=1
	s_delay_alu instid0(SALU_CYCLE_1)
	s_or_b32 exec_lo, exec_lo, s16
.LBB362_490:                            ;   in Loop: Header=BB362_10 Depth=1
	s_delay_alu instid0(SALU_CYCLE_1) | instskip(SKIP_3) | instid1(VALU_DEP_2)
	s_or_b32 exec_lo, exec_lo, s15
	v_and_b32_e32 v12, 0xff, v5
	v_mov_b32_e32 v16, v5
	s_mov_b32 s15, exec_lo
	v_cmpx_ne_u16_e32 0, v12
	s_cbranch_execz .LBB362_498
; %bb.491:                              ;   in Loop: Header=BB362_10 Depth=1
	v_bfrev_b32_e32 v66, 1
	s_mov_b32 s16, exec_lo
	v_cmpx_ne_u16_e32 0x80, v12
	s_cbranch_execz .LBB362_497
; %bb.492:                              ;   in Loop: Header=BB362_10 Depth=1
	v_and_b32_e32 v12, 0x7f, v5
	v_mov_b32_e32 v66, 0x7f800001
	s_mov_b32 s17, exec_lo
	s_delay_alu instid0(VALU_DEP_2)
	v_cmpx_ne_u32_e32 0x7f, v12
	s_cbranch_execz .LBB362_496
; %bb.493:                              ;   in Loop: Header=BB362_10 Depth=1
	v_lshrrev_b32_e32 v14, 3, v12
	v_cmp_gt_u32_e64 s1, 8, v12
	v_mov_b64_e32 v[12:13], v[16:17]
	s_and_saveexec_b32 s18, s1
; %bb.494:                              ;   in Loop: Header=BB362_10 Depth=1
	v_and_b32_e32 v12, 7, v5
	s_delay_alu instid0(VALU_DEP_1) | instskip(NEXT) | instid1(VALU_DEP_1)
	v_clz_i32_u32_e32 v12, v12
	v_min_u32_e32 v14, 32, v12
	s_delay_alu instid0(VALU_DEP_1) | instskip(SKIP_1) | instid1(VALU_DEP_2)
	v_subrev_nc_u32_e32 v12, 28, v14
	v_sub_nc_u32_e32 v14, 29, v14
	v_lshlrev_b64_e32 v[12:13], v12, v[16:17]
; %bb.495:                              ;   in Loop: Header=BB362_10 Depth=1
	s_or_b32 exec_lo, exec_lo, s18
	s_delay_alu instid0(VALU_DEP_1) | instskip(SKIP_2) | instid1(VALU_DEP_3)
	v_lshlrev_b32_e32 v12, 20, v12
	v_lshlrev_b32_e32 v13, 24, v16
	v_lshl_add_u32 v14, v14, 23, 0x3c000000
	v_and_b32_e32 v12, 0x700000, v12
	s_delay_alu instid0(VALU_DEP_3) | instskip(NEXT) | instid1(VALU_DEP_1)
	v_and_b32_e32 v13, 0x80000000, v13
	v_or3_b32 v66, v12, v13, v14
.LBB362_496:                            ;   in Loop: Header=BB362_10 Depth=1
	s_or_b32 exec_lo, exec_lo, s17
.LBB362_497:                            ;   in Loop: Header=BB362_10 Depth=1
	s_delay_alu instid0(SALU_CYCLE_1)
	s_or_b32 exec_lo, exec_lo, s16
.LBB362_498:                            ;   in Loop: Header=BB362_10 Depth=1
	s_delay_alu instid0(SALU_CYCLE_1) | instskip(SKIP_3) | instid1(VALU_DEP_2)
	s_or_b32 exec_lo, exec_lo, s15
	v_lshrrev_b16 v12, 8, v16
	v_dual_mov_b32 v68, 0 :: v_dual_mov_b32 v67, 0
	s_mov_b32 s15, exec_lo
	v_cmpx_ne_u16_e32 0, v12
	s_cbranch_execz .LBB362_506
; %bb.499:                              ;   in Loop: Header=BB362_10 Depth=1
	v_bfrev_b32_e32 v67, 1
	s_mov_b32 s16, exec_lo
	v_cmpx_ne_u16_e32 0x80, v12
	s_cbranch_execz .LBB362_505
; %bb.500:                              ;   in Loop: Header=BB362_10 Depth=1
	v_and_b32_e32 v12, 0xffff, v12
	v_mov_b32_e32 v67, 0x7f800001
	s_mov_b32 s17, exec_lo
	s_delay_alu instid0(VALU_DEP_2) | instskip(NEXT) | instid1(VALU_DEP_1)
	v_and_b32_e32 v15, 0x7f, v12
	v_cmpx_ne_u32_e32 0x7f, v15
	s_cbranch_execz .LBB362_504
; %bb.501:                              ;   in Loop: Header=BB362_10 Depth=1
	v_dual_mov_b32 v13, v17 :: v_dual_bitop2_b32 v12, 7, v12 bitop3:0x40
	v_lshrrev_b32_e32 v14, 3, v15
	s_mov_b32 s18, exec_lo
	v_cmpx_gt_u32_e32 8, v15
; %bb.502:                              ;   in Loop: Header=BB362_10 Depth=1
	s_delay_alu instid0(VALU_DEP_3) | instskip(NEXT) | instid1(VALU_DEP_1)
	v_clz_i32_u32_e32 v14, v12
	v_min_u32_e32 v14, 32, v14
	s_delay_alu instid0(VALU_DEP_1) | instskip(NEXT) | instid1(VALU_DEP_1)
	v_subrev_nc_u32_e32 v15, 28, v14
	v_lshlrev_b64_e32 v[12:13], v15, v[12:13]
	s_delay_alu instid0(VALU_DEP_1)
	v_dual_sub_nc_u32 v14, 29, v14 :: v_dual_bitop2_b32 v12, 7, v12 bitop3:0x40
; %bb.503:                              ;   in Loop: Header=BB362_10 Depth=1
	s_or_b32 exec_lo, exec_lo, s18
	v_lshlrev_b32_e32 v13, 16, v16
	s_delay_alu instid0(VALU_DEP_2) | instskip(NEXT) | instid1(VALU_DEP_3)
	v_lshlrev_b32_e32 v12, 20, v12
	v_lshl_add_u32 v14, v14, 23, 0x3c000000
	s_delay_alu instid0(VALU_DEP_3) | instskip(NEXT) | instid1(VALU_DEP_1)
	v_and_b32_e32 v13, 0x80000000, v13
	v_or3_b32 v67, v12, v13, v14
.LBB362_504:                            ;   in Loop: Header=BB362_10 Depth=1
	s_or_b32 exec_lo, exec_lo, s17
.LBB362_505:                            ;   in Loop: Header=BB362_10 Depth=1
	s_delay_alu instid0(SALU_CYCLE_1)
	s_or_b32 exec_lo, exec_lo, s16
.LBB362_506:                            ;   in Loop: Header=BB362_10 Depth=1
	s_delay_alu instid0(SALU_CYCLE_1) | instskip(SKIP_2) | instid1(VALU_DEP_1)
	s_or_b32 exec_lo, exec_lo, s15
	v_lshrrev_b32_e32 v12, 16, v5
	s_mov_b32 s15, exec_lo
	v_and_b32_e32 v13, 0xff, v12
	s_delay_alu instid0(VALU_DEP_1)
	v_cmpx_ne_u16_e32 0, v13
	s_cbranch_execz .LBB362_514
; %bb.507:                              ;   in Loop: Header=BB362_10 Depth=1
	v_bfrev_b32_e32 v68, 1
	s_mov_b32 s16, exec_lo
	v_cmpx_ne_u16_e32 0x80, v13
	s_cbranch_execz .LBB362_513
; %bb.508:                              ;   in Loop: Header=BB362_10 Depth=1
	v_bfe_u32 v14, v5, 16, 7
	v_mov_b32_e32 v68, 0x7f800001
	s_mov_b32 s17, exec_lo
	s_delay_alu instid0(VALU_DEP_2)
	v_cmpx_ne_u32_e32 0x7f, v14
	s_cbranch_execz .LBB362_512
; %bb.509:                              ;   in Loop: Header=BB362_10 Depth=1
	v_dual_lshrrev_b32 v13, 3, v14 :: v_dual_bitop2_b32 v16, 7, v12 bitop3:0x40
	s_mov_b32 s18, exec_lo
	v_cmpx_gt_u32_e32 8, v14
; %bb.510:                              ;   in Loop: Header=BB362_10 Depth=1
	s_delay_alu instid0(VALU_DEP_2) | instskip(NEXT) | instid1(VALU_DEP_1)
	v_clz_i32_u32_e32 v13, v16
	v_min_u32_e32 v13, 32, v13
	s_delay_alu instid0(VALU_DEP_1) | instskip(NEXT) | instid1(VALU_DEP_1)
	v_subrev_nc_u32_e32 v14, 28, v13
	v_lshlrev_b64_e32 v[14:15], v14, v[16:17]
	s_delay_alu instid0(VALU_DEP_1)
	v_dual_sub_nc_u32 v13, 29, v13 :: v_dual_bitop2_b32 v16, 7, v14 bitop3:0x40
; %bb.511:                              ;   in Loop: Header=BB362_10 Depth=1
	s_or_b32 exec_lo, exec_lo, s18
	v_lshlrev_b32_e32 v12, 24, v12
	s_delay_alu instid0(VALU_DEP_2) | instskip(NEXT) | instid1(VALU_DEP_3)
	v_lshlrev_b32_e32 v14, 20, v16
	v_lshl_add_u32 v13, v13, 23, 0x3c000000
	s_delay_alu instid0(VALU_DEP_3) | instskip(NEXT) | instid1(VALU_DEP_1)
	v_and_b32_e32 v12, 0x80000000, v12
	v_or3_b32 v68, v14, v12, v13
.LBB362_512:                            ;   in Loop: Header=BB362_10 Depth=1
	s_or_b32 exec_lo, exec_lo, s17
.LBB362_513:                            ;   in Loop: Header=BB362_10 Depth=1
	s_delay_alu instid0(SALU_CYCLE_1)
	s_or_b32 exec_lo, exec_lo, s16
.LBB362_514:                            ;   in Loop: Header=BB362_10 Depth=1
	s_delay_alu instid0(SALU_CYCLE_1)
	s_or_b32 exec_lo, exec_lo, s15
	v_dual_mov_b32 v70, 0 :: v_dual_mov_b32 v69, 0
	s_mov_b32 s15, exec_lo
	v_cmpx_lt_u64_e64 s[2:3], v[4:5]
	s_cbranch_execz .LBB362_522
; %bb.515:                              ;   in Loop: Header=BB362_10 Depth=1
	v_lshrrev_b32_e32 v4, 24, v5
	v_bfrev_b32_e32 v69, 1
	s_mov_b32 s16, exec_lo
	s_delay_alu instid0(VALU_DEP_2)
	v_cmpx_ne_u32_e32 0x80, v4
	s_cbranch_execz .LBB362_521
; %bb.516:                              ;   in Loop: Header=BB362_10 Depth=1
	v_bfe_u32 v12, v5, 24, 7
	v_mov_b32_e32 v69, 0x7f800001
	s_mov_b32 s17, exec_lo
	s_delay_alu instid0(VALU_DEP_2)
	v_cmpx_ne_u32_e32 0x7f, v12
	s_cbranch_execz .LBB362_520
; %bb.517:                              ;   in Loop: Header=BB362_10 Depth=1
	v_and_b32_e32 v16, 7, v4
	v_lshrrev_b32_e32 v5, 3, v12
	s_mov_b32 s18, exec_lo
	v_cmpx_gt_u32_e32 8, v12
; %bb.518:                              ;   in Loop: Header=BB362_10 Depth=1
	s_delay_alu instid0(VALU_DEP_3) | instskip(NEXT) | instid1(VALU_DEP_1)
	v_clz_i32_u32_e32 v5, v16
	v_min_u32_e32 v5, 32, v5
	s_delay_alu instid0(VALU_DEP_1) | instskip(NEXT) | instid1(VALU_DEP_1)
	v_subrev_nc_u32_e32 v12, 28, v5
	v_lshlrev_b64_e32 v[12:13], v12, v[16:17]
	s_delay_alu instid0(VALU_DEP_1)
	v_dual_sub_nc_u32 v5, 29, v5 :: v_dual_bitop2_b32 v16, 7, v12 bitop3:0x40
; %bb.519:                              ;   in Loop: Header=BB362_10 Depth=1
	s_or_b32 exec_lo, exec_lo, s18
	v_lshlrev_b32_e32 v4, 24, v4
	s_delay_alu instid0(VALU_DEP_2) | instskip(NEXT) | instid1(VALU_DEP_3)
	v_lshlrev_b32_e32 v12, 20, v16
	v_lshl_add_u32 v5, v5, 23, 0x3c000000
	s_delay_alu instid0(VALU_DEP_3) | instskip(NEXT) | instid1(VALU_DEP_1)
	v_and_b32_e32 v4, 0x80000000, v4
	v_or3_b32 v69, v12, v4, v5
.LBB362_520:                            ;   in Loop: Header=BB362_10 Depth=1
	s_or_b32 exec_lo, exec_lo, s17
.LBB362_521:                            ;   in Loop: Header=BB362_10 Depth=1
	s_delay_alu instid0(SALU_CYCLE_1)
	s_or_b32 exec_lo, exec_lo, s16
.LBB362_522:                            ;   in Loop: Header=BB362_10 Depth=1
	s_delay_alu instid0(SALU_CYCLE_1)
	s_or_b32 exec_lo, exec_lo, s15
	flat_load_b64 v[14:15], v[120:121] offset:2048
	s_mov_b32 s15, exec_lo
	s_wait_loadcnt_dscnt 0x0
	v_and_b32_e32 v4, 0xff, v14
	s_wait_xcnt 0x0
	s_delay_alu instid0(VALU_DEP_1)
	v_cmpx_ne_u16_e32 0, v4
	s_cbranch_execz .LBB362_530
; %bb.523:                              ;   in Loop: Header=BB362_10 Depth=1
	v_bfrev_b32_e32 v70, 1
	s_mov_b32 s16, exec_lo
	v_cmpx_ne_u16_e32 0x80, v4
	s_cbranch_execz .LBB362_529
; %bb.524:                              ;   in Loop: Header=BB362_10 Depth=1
	v_and_b32_e32 v4, 0x7f, v14
	v_mov_b32_e32 v70, 0x7f800001
	s_mov_b32 s17, exec_lo
	s_delay_alu instid0(VALU_DEP_2)
	v_cmpx_ne_u32_e32 0x7f, v4
	s_cbranch_execz .LBB362_528
; %bb.525:                              ;   in Loop: Header=BB362_10 Depth=1
	v_lshrrev_b32_e32 v12, 3, v4
	v_cmp_gt_u32_e64 s1, 8, v4
	v_mov_b64_e32 v[4:5], v[14:15]
	s_and_saveexec_b32 s18, s1
; %bb.526:                              ;   in Loop: Header=BB362_10 Depth=1
	v_and_b32_e32 v4, 7, v14
	s_delay_alu instid0(VALU_DEP_1) | instskip(NEXT) | instid1(VALU_DEP_1)
	v_clz_i32_u32_e32 v4, v4
	v_min_u32_e32 v12, 32, v4
	s_delay_alu instid0(VALU_DEP_1) | instskip(SKIP_1) | instid1(VALU_DEP_2)
	v_subrev_nc_u32_e32 v4, 28, v12
	v_sub_nc_u32_e32 v12, 29, v12
	v_lshlrev_b64_e32 v[4:5], v4, v[14:15]
; %bb.527:                              ;   in Loop: Header=BB362_10 Depth=1
	s_or_b32 exec_lo, exec_lo, s18
	s_delay_alu instid0(VALU_DEP_1) | instskip(NEXT) | instid1(VALU_DEP_3)
	v_dual_lshlrev_b32 v4, 20, v4 :: v_dual_lshlrev_b32 v5, 24, v14
	v_lshl_add_u32 v12, v12, 23, 0x3c000000
	s_delay_alu instid0(VALU_DEP_2) | instskip(NEXT) | instid1(VALU_DEP_3)
	v_and_b32_e32 v4, 0x700000, v4
	v_and_b32_e32 v5, 0x80000000, v5
	s_delay_alu instid0(VALU_DEP_1)
	v_or3_b32 v70, v4, v5, v12
.LBB362_528:                            ;   in Loop: Header=BB362_10 Depth=1
	s_or_b32 exec_lo, exec_lo, s17
.LBB362_529:                            ;   in Loop: Header=BB362_10 Depth=1
	s_delay_alu instid0(SALU_CYCLE_1)
	s_or_b32 exec_lo, exec_lo, s16
.LBB362_530:                            ;   in Loop: Header=BB362_10 Depth=1
	s_delay_alu instid0(SALU_CYCLE_1) | instskip(SKIP_3) | instid1(VALU_DEP_2)
	s_or_b32 exec_lo, exec_lo, s15
	v_lshrrev_b16 v4, 8, v14
	v_dual_mov_b32 v24, 0 :: v_dual_mov_b32 v71, 0
	s_mov_b32 s15, exec_lo
	v_cmpx_ne_u16_e32 0, v4
	s_cbranch_execz .LBB362_538
; %bb.531:                              ;   in Loop: Header=BB362_10 Depth=1
	v_bfrev_b32_e32 v71, 1
	s_mov_b32 s16, exec_lo
	v_cmpx_ne_u16_e32 0x80, v4
	s_cbranch_execz .LBB362_537
; %bb.532:                              ;   in Loop: Header=BB362_10 Depth=1
	v_and_b32_e32 v4, 0xffff, v4
	v_mov_b32_e32 v71, 0x7f800001
	s_mov_b32 s17, exec_lo
	s_delay_alu instid0(VALU_DEP_2) | instskip(NEXT) | instid1(VALU_DEP_1)
	v_and_b32_e32 v5, 0x7f, v4
	v_cmpx_ne_u32_e32 0x7f, v5
	s_cbranch_execz .LBB362_536
; %bb.533:                              ;   in Loop: Header=BB362_10 Depth=1
	v_dual_lshrrev_b32 v4, 3, v5 :: v_dual_bitop2_b32 v16, 7, v4 bitop3:0x40
	s_mov_b32 s18, exec_lo
	v_cmpx_gt_u32_e32 8, v5
; %bb.534:                              ;   in Loop: Header=BB362_10 Depth=1
	s_delay_alu instid0(VALU_DEP_2) | instskip(NEXT) | instid1(VALU_DEP_1)
	v_clz_i32_u32_e32 v4, v16
	v_min_u32_e32 v4, 32, v4
	s_delay_alu instid0(VALU_DEP_1) | instskip(SKIP_1) | instid1(VALU_DEP_2)
	v_subrev_nc_u32_e32 v5, 28, v4
	v_sub_nc_u32_e32 v4, 29, v4
	v_lshlrev_b64_e32 v[12:13], v5, v[16:17]
	s_delay_alu instid0(VALU_DEP_1)
	v_and_b32_e32 v16, 7, v12
; %bb.535:                              ;   in Loop: Header=BB362_10 Depth=1
	s_or_b32 exec_lo, exec_lo, s18
	s_delay_alu instid0(VALU_DEP_1) | instskip(SKIP_1) | instid1(VALU_DEP_2)
	v_dual_lshlrev_b32 v5, 16, v14 :: v_dual_lshlrev_b32 v12, 20, v16
	v_lshl_add_u32 v4, v4, 23, 0x3c000000
	v_and_b32_e32 v5, 0x80000000, v5
	s_delay_alu instid0(VALU_DEP_1)
	v_or3_b32 v71, v12, v5, v4
.LBB362_536:                            ;   in Loop: Header=BB362_10 Depth=1
	s_or_b32 exec_lo, exec_lo, s17
.LBB362_537:                            ;   in Loop: Header=BB362_10 Depth=1
	s_delay_alu instid0(SALU_CYCLE_1)
	s_or_b32 exec_lo, exec_lo, s16
.LBB362_538:                            ;   in Loop: Header=BB362_10 Depth=1
	s_delay_alu instid0(SALU_CYCLE_1) | instskip(SKIP_2) | instid1(VALU_DEP_1)
	s_or_b32 exec_lo, exec_lo, s15
	v_lshrrev_b32_e32 v4, 16, v14
	s_mov_b32 s15, exec_lo
	v_and_b32_e32 v5, 0xff, v4
	s_delay_alu instid0(VALU_DEP_1)
	v_cmpx_ne_u16_e32 0, v5
	s_cbranch_execz .LBB362_546
; %bb.539:                              ;   in Loop: Header=BB362_10 Depth=1
	v_bfrev_b32_e32 v24, 1
	s_mov_b32 s16, exec_lo
	v_cmpx_ne_u16_e32 0x80, v5
	s_cbranch_execz .LBB362_545
; %bb.540:                              ;   in Loop: Header=BB362_10 Depth=1
	v_bfe_u32 v12, v14, 16, 7
	v_mov_b32_e32 v24, 0x7f800001
	s_mov_b32 s17, exec_lo
	s_delay_alu instid0(VALU_DEP_2)
	v_cmpx_ne_u32_e32 0x7f, v12
	s_cbranch_execz .LBB362_544
; %bb.541:                              ;   in Loop: Header=BB362_10 Depth=1
	v_and_b32_e32 v16, 7, v4
	v_lshrrev_b32_e32 v5, 3, v12
	s_mov_b32 s18, exec_lo
	v_cmpx_gt_u32_e32 8, v12
; %bb.542:                              ;   in Loop: Header=BB362_10 Depth=1
	s_delay_alu instid0(VALU_DEP_3) | instskip(NEXT) | instid1(VALU_DEP_1)
	v_clz_i32_u32_e32 v5, v16
	v_min_u32_e32 v5, 32, v5
	s_delay_alu instid0(VALU_DEP_1) | instskip(NEXT) | instid1(VALU_DEP_1)
	v_subrev_nc_u32_e32 v12, 28, v5
	v_lshlrev_b64_e32 v[12:13], v12, v[16:17]
	s_delay_alu instid0(VALU_DEP_1)
	v_dual_sub_nc_u32 v5, 29, v5 :: v_dual_bitop2_b32 v16, 7, v12 bitop3:0x40
; %bb.543:                              ;   in Loop: Header=BB362_10 Depth=1
	s_or_b32 exec_lo, exec_lo, s18
	v_lshlrev_b32_e32 v4, 24, v4
	s_delay_alu instid0(VALU_DEP_2) | instskip(NEXT) | instid1(VALU_DEP_3)
	v_lshlrev_b32_e32 v12, 20, v16
	v_lshl_add_u32 v5, v5, 23, 0x3c000000
	s_delay_alu instid0(VALU_DEP_3) | instskip(NEXT) | instid1(VALU_DEP_1)
	v_and_b32_e32 v4, 0x80000000, v4
	v_or3_b32 v24, v12, v4, v5
.LBB362_544:                            ;   in Loop: Header=BB362_10 Depth=1
	s_or_b32 exec_lo, exec_lo, s17
.LBB362_545:                            ;   in Loop: Header=BB362_10 Depth=1
	s_delay_alu instid0(SALU_CYCLE_1)
	s_or_b32 exec_lo, exec_lo, s16
.LBB362_546:                            ;   in Loop: Header=BB362_10 Depth=1
	s_delay_alu instid0(SALU_CYCLE_1)
	s_or_b32 exec_lo, exec_lo, s15
	v_dual_mov_b32 v12, 0 :: v_dual_mov_b32 v25, 0
	s_mov_b32 s15, exec_lo
	v_cmpx_lt_u32_e32 0xffffff, v14
	s_cbranch_execz .LBB362_554
; %bb.547:                              ;   in Loop: Header=BB362_10 Depth=1
	v_lshrrev_b32_e32 v4, 24, v14
	v_bfrev_b32_e32 v25, 1
	s_mov_b32 s16, exec_lo
	s_delay_alu instid0(VALU_DEP_2)
	v_cmpx_ne_u32_e32 0x80, v4
	s_cbranch_execz .LBB362_553
; %bb.548:                              ;   in Loop: Header=BB362_10 Depth=1
	v_bfe_u32 v13, v14, 24, 7
	v_mov_b32_e32 v25, 0x7f800001
	s_mov_b32 s17, exec_lo
	s_delay_alu instid0(VALU_DEP_2)
	v_cmpx_ne_u32_e32 0x7f, v13
	s_cbranch_execz .LBB362_552
; %bb.549:                              ;   in Loop: Header=BB362_10 Depth=1
	v_dual_lshrrev_b32 v5, 3, v13 :: v_dual_bitop2_b32 v16, 7, v4 bitop3:0x40
	s_mov_b32 s18, exec_lo
	v_cmpx_gt_u32_e32 8, v13
; %bb.550:                              ;   in Loop: Header=BB362_10 Depth=1
	s_delay_alu instid0(VALU_DEP_2) | instskip(NEXT) | instid1(VALU_DEP_1)
	v_clz_i32_u32_e32 v5, v16
	v_min_u32_e32 v5, 32, v5
	s_delay_alu instid0(VALU_DEP_1) | instskip(NEXT) | instid1(VALU_DEP_1)
	v_subrev_nc_u32_e32 v13, 28, v5
	v_lshlrev_b64_e32 v[26:27], v13, v[16:17]
	s_delay_alu instid0(VALU_DEP_1)
	v_dual_sub_nc_u32 v5, 29, v5 :: v_dual_bitop2_b32 v16, 7, v26 bitop3:0x40
; %bb.551:                              ;   in Loop: Header=BB362_10 Depth=1
	s_or_b32 exec_lo, exec_lo, s18
	v_lshlrev_b32_e32 v4, 24, v4
	s_delay_alu instid0(VALU_DEP_2) | instskip(NEXT) | instid1(VALU_DEP_3)
	v_lshlrev_b32_e32 v13, 20, v16
	v_lshl_add_u32 v5, v5, 23, 0x3c000000
	s_delay_alu instid0(VALU_DEP_3) | instskip(NEXT) | instid1(VALU_DEP_1)
	v_and_b32_e32 v4, 0x80000000, v4
	v_or3_b32 v25, v13, v4, v5
.LBB362_552:                            ;   in Loop: Header=BB362_10 Depth=1
	s_or_b32 exec_lo, exec_lo, s17
.LBB362_553:                            ;   in Loop: Header=BB362_10 Depth=1
	s_delay_alu instid0(SALU_CYCLE_1)
	s_or_b32 exec_lo, exec_lo, s16
.LBB362_554:                            ;   in Loop: Header=BB362_10 Depth=1
	s_delay_alu instid0(SALU_CYCLE_1) | instskip(SKIP_3) | instid1(VALU_DEP_2)
	s_or_b32 exec_lo, exec_lo, s15
	v_and_b32_e32 v4, 0xff, v15
	v_mov_b32_e32 v16, v15
	s_mov_b32 s15, exec_lo
	v_cmpx_ne_u16_e32 0, v4
	s_cbranch_execz .LBB362_562
; %bb.555:                              ;   in Loop: Header=BB362_10 Depth=1
	v_bfrev_b32_e32 v12, 1
	s_mov_b32 s16, exec_lo
	v_cmpx_ne_u16_e32 0x80, v4
	s_cbranch_execz .LBB362_561
; %bb.556:                              ;   in Loop: Header=BB362_10 Depth=1
	v_and_b32_e32 v4, 0x7f, v15
	v_mov_b32_e32 v12, 0x7f800001
	s_mov_b32 s17, exec_lo
	s_delay_alu instid0(VALU_DEP_2)
	v_cmpx_ne_u32_e32 0x7f, v4
	s_cbranch_execz .LBB362_560
; %bb.557:                              ;   in Loop: Header=BB362_10 Depth=1
	v_lshrrev_b32_e32 v12, 3, v4
	v_cmp_gt_u32_e64 s1, 8, v4
	v_mov_b64_e32 v[4:5], v[16:17]
	s_and_saveexec_b32 s18, s1
; %bb.558:                              ;   in Loop: Header=BB362_10 Depth=1
	v_and_b32_e32 v4, 7, v15
	s_delay_alu instid0(VALU_DEP_1) | instskip(NEXT) | instid1(VALU_DEP_1)
	v_clz_i32_u32_e32 v4, v4
	v_min_u32_e32 v12, 32, v4
	s_delay_alu instid0(VALU_DEP_1) | instskip(SKIP_1) | instid1(VALU_DEP_2)
	v_subrev_nc_u32_e32 v4, 28, v12
	v_sub_nc_u32_e32 v12, 29, v12
	v_lshlrev_b64_e32 v[4:5], v4, v[16:17]
; %bb.559:                              ;   in Loop: Header=BB362_10 Depth=1
	s_or_b32 exec_lo, exec_lo, s18
	s_delay_alu instid0(VALU_DEP_1) | instskip(SKIP_2) | instid1(VALU_DEP_3)
	v_lshlrev_b32_e32 v4, 20, v4
	v_lshlrev_b32_e32 v5, 24, v16
	v_lshl_add_u32 v12, v12, 23, 0x3c000000
	v_and_b32_e32 v4, 0x700000, v4
	s_delay_alu instid0(VALU_DEP_3) | instskip(NEXT) | instid1(VALU_DEP_1)
	v_and_b32_e32 v5, 0x80000000, v5
	v_or3_b32 v12, v4, v5, v12
.LBB362_560:                            ;   in Loop: Header=BB362_10 Depth=1
	s_or_b32 exec_lo, exec_lo, s17
.LBB362_561:                            ;   in Loop: Header=BB362_10 Depth=1
	s_delay_alu instid0(SALU_CYCLE_1)
	s_or_b32 exec_lo, exec_lo, s16
.LBB362_562:                            ;   in Loop: Header=BB362_10 Depth=1
	s_delay_alu instid0(SALU_CYCLE_1) | instskip(SKIP_3) | instid1(VALU_DEP_2)
	s_or_b32 exec_lo, exec_lo, s15
	v_lshrrev_b16 v5, 8, v16
	v_dual_mov_b32 v4, 0 :: v_dual_mov_b32 v13, 0
	s_mov_b32 s15, exec_lo
	v_cmpx_ne_u16_e32 0, v5
	s_cbranch_execz .LBB362_570
; %bb.563:                              ;   in Loop: Header=BB362_10 Depth=1
	v_bfrev_b32_e32 v13, 1
	s_mov_b32 s16, exec_lo
	v_cmpx_ne_u16_e32 0x80, v5
	s_cbranch_execz .LBB362_569
; %bb.564:                              ;   in Loop: Header=BB362_10 Depth=1
	v_and_b32_e32 v5, 0xffff, v5
	v_mov_b32_e32 v13, 0x7f800001
	s_mov_b32 s17, exec_lo
	s_delay_alu instid0(VALU_DEP_2) | instskip(NEXT) | instid1(VALU_DEP_1)
	v_and_b32_e32 v28, 0x7f, v5
	v_cmpx_ne_u32_e32 0x7f, v28
	s_cbranch_execz .LBB362_568
; %bb.565:                              ;   in Loop: Header=BB362_10 Depth=1
	v_dual_mov_b32 v27, v17 :: v_dual_bitop2_b32 v26, 7, v5 bitop3:0x40
	v_lshrrev_b32_e32 v5, 3, v28
	s_mov_b32 s18, exec_lo
	v_cmpx_gt_u32_e32 8, v28
; %bb.566:                              ;   in Loop: Header=BB362_10 Depth=1
	s_delay_alu instid0(VALU_DEP_3) | instskip(NEXT) | instid1(VALU_DEP_1)
	v_clz_i32_u32_e32 v5, v26
	v_min_u32_e32 v5, 32, v5
	s_delay_alu instid0(VALU_DEP_1) | instskip(NEXT) | instid1(VALU_DEP_1)
	v_subrev_nc_u32_e32 v13, 28, v5
	v_lshlrev_b64_e32 v[26:27], v13, v[26:27]
	s_delay_alu instid0(VALU_DEP_1)
	v_dual_sub_nc_u32 v5, 29, v5 :: v_dual_bitop2_b32 v26, 7, v26 bitop3:0x40
; %bb.567:                              ;   in Loop: Header=BB362_10 Depth=1
	s_or_b32 exec_lo, exec_lo, s18
	s_delay_alu instid0(VALU_DEP_1) | instskip(NEXT) | instid1(VALU_DEP_2)
	v_dual_lshlrev_b32 v13, 16, v16 :: v_dual_lshlrev_b32 v16, 20, v26
	v_lshl_add_u32 v5, v5, 23, 0x3c000000
	s_delay_alu instid0(VALU_DEP_2) | instskip(NEXT) | instid1(VALU_DEP_1)
	v_and_b32_e32 v13, 0x80000000, v13
	v_or3_b32 v13, v16, v13, v5
.LBB362_568:                            ;   in Loop: Header=BB362_10 Depth=1
	s_or_b32 exec_lo, exec_lo, s17
.LBB362_569:                            ;   in Loop: Header=BB362_10 Depth=1
	s_delay_alu instid0(SALU_CYCLE_1)
	s_or_b32 exec_lo, exec_lo, s16
.LBB362_570:                            ;   in Loop: Header=BB362_10 Depth=1
	s_delay_alu instid0(SALU_CYCLE_1) | instskip(SKIP_2) | instid1(VALU_DEP_1)
	s_or_b32 exec_lo, exec_lo, s15
	v_lshrrev_b32_e32 v5, 16, v15
	s_mov_b32 s15, exec_lo
	v_and_b32_e32 v16, 0xff, v5
	s_delay_alu instid0(VALU_DEP_1)
	v_cmpx_ne_u16_e32 0, v16
	s_cbranch_execz .LBB362_578
; %bb.571:                              ;   in Loop: Header=BB362_10 Depth=1
	v_bfrev_b32_e32 v4, 1
	s_mov_b32 s16, exec_lo
	v_cmpx_ne_u16_e32 0x80, v16
	s_cbranch_execz .LBB362_577
; %bb.572:                              ;   in Loop: Header=BB362_10 Depth=1
	v_bfe_u32 v26, v15, 16, 7
	v_mov_b32_e32 v4, 0x7f800001
	s_mov_b32 s17, exec_lo
	s_delay_alu instid0(VALU_DEP_2)
	v_cmpx_ne_u32_e32 0x7f, v26
	s_cbranch_execz .LBB362_576
; %bb.573:                              ;   in Loop: Header=BB362_10 Depth=1
	v_dual_lshrrev_b32 v4, 3, v26 :: v_dual_bitop2_b32 v16, 7, v5 bitop3:0x40
	s_mov_b32 s18, exec_lo
	v_cmpx_gt_u32_e32 8, v26
; %bb.574:                              ;   in Loop: Header=BB362_10 Depth=1
	s_delay_alu instid0(VALU_DEP_2) | instskip(NEXT) | instid1(VALU_DEP_1)
	v_clz_i32_u32_e32 v4, v16
	v_min_u32_e32 v4, 32, v4
	s_delay_alu instid0(VALU_DEP_1) | instskip(NEXT) | instid1(VALU_DEP_1)
	v_subrev_nc_u32_e32 v26, 28, v4
	v_lshlrev_b64_e32 v[26:27], v26, v[16:17]
	s_delay_alu instid0(VALU_DEP_1)
	v_dual_sub_nc_u32 v4, 29, v4 :: v_dual_bitop2_b32 v16, 7, v26 bitop3:0x40
; %bb.575:                              ;   in Loop: Header=BB362_10 Depth=1
	s_or_b32 exec_lo, exec_lo, s18
	s_delay_alu instid0(VALU_DEP_1) | instskip(NEXT) | instid1(VALU_DEP_2)
	v_dual_lshlrev_b32 v5, 24, v5 :: v_dual_lshlrev_b32 v16, 20, v16
	v_lshl_add_u32 v4, v4, 23, 0x3c000000
	s_delay_alu instid0(VALU_DEP_2) | instskip(NEXT) | instid1(VALU_DEP_1)
	v_and_b32_e32 v5, 0x80000000, v5
	v_or3_b32 v4, v16, v5, v4
.LBB362_576:                            ;   in Loop: Header=BB362_10 Depth=1
	s_or_b32 exec_lo, exec_lo, s17
.LBB362_577:                            ;   in Loop: Header=BB362_10 Depth=1
	s_delay_alu instid0(SALU_CYCLE_1)
	s_or_b32 exec_lo, exec_lo, s16
.LBB362_578:                            ;   in Loop: Header=BB362_10 Depth=1
	s_delay_alu instid0(SALU_CYCLE_1)
	s_or_b32 exec_lo, exec_lo, s15
	v_dual_mov_b32 v80, 0 :: v_dual_mov_b32 v5, 0
	s_mov_b32 s15, exec_lo
	v_cmpx_lt_u64_e64 s[2:3], v[14:15]
	s_cbranch_execz .LBB362_586
; %bb.579:                              ;   in Loop: Header=BB362_10 Depth=1
	v_lshrrev_b32_e32 v14, 24, v15
	v_bfrev_b32_e32 v5, 1
	s_mov_b32 s16, exec_lo
	s_delay_alu instid0(VALU_DEP_2)
	v_cmpx_ne_u32_e32 0x80, v14
	s_cbranch_execz .LBB362_585
; %bb.580:                              ;   in Loop: Header=BB362_10 Depth=1
	v_bfe_u32 v15, v15, 24, 7
	v_mov_b32_e32 v5, 0x7f800001
	s_mov_b32 s17, exec_lo
	s_delay_alu instid0(VALU_DEP_2)
	v_cmpx_ne_u32_e32 0x7f, v15
	s_cbranch_execz .LBB362_584
; %bb.581:                              ;   in Loop: Header=BB362_10 Depth=1
	v_dual_lshrrev_b32 v5, 3, v15 :: v_dual_bitop2_b32 v16, 7, v14 bitop3:0x40
	s_mov_b32 s18, exec_lo
	v_cmpx_gt_u32_e32 8, v15
; %bb.582:                              ;   in Loop: Header=BB362_10 Depth=1
	s_delay_alu instid0(VALU_DEP_2) | instskip(NEXT) | instid1(VALU_DEP_1)
	v_clz_i32_u32_e32 v5, v16
	v_min_u32_e32 v5, 32, v5
	s_delay_alu instid0(VALU_DEP_1) | instskip(NEXT) | instid1(VALU_DEP_1)
	v_subrev_nc_u32_e32 v15, 28, v5
	v_lshlrev_b64_e32 v[26:27], v15, v[16:17]
	s_delay_alu instid0(VALU_DEP_1)
	v_dual_sub_nc_u32 v5, 29, v5 :: v_dual_bitop2_b32 v16, 7, v26 bitop3:0x40
; %bb.583:                              ;   in Loop: Header=BB362_10 Depth=1
	s_or_b32 exec_lo, exec_lo, s18
	s_delay_alu instid0(VALU_DEP_1) | instskip(NEXT) | instid1(VALU_DEP_2)
	v_dual_lshlrev_b32 v14, 24, v14 :: v_dual_lshlrev_b32 v15, 20, v16
	v_lshl_add_u32 v5, v5, 23, 0x3c000000
	s_delay_alu instid0(VALU_DEP_2) | instskip(NEXT) | instid1(VALU_DEP_1)
	v_and_b32_e32 v14, 0x80000000, v14
	v_or3_b32 v5, v15, v14, v5
.LBB362_584:                            ;   in Loop: Header=BB362_10 Depth=1
	s_or_b32 exec_lo, exec_lo, s17
.LBB362_585:                            ;   in Loop: Header=BB362_10 Depth=1
	s_delay_alu instid0(SALU_CYCLE_1)
	s_or_b32 exec_lo, exec_lo, s16
.LBB362_586:                            ;   in Loop: Header=BB362_10 Depth=1
	s_delay_alu instid0(SALU_CYCLE_1)
	s_or_b32 exec_lo, exec_lo, s15
	flat_load_b64 v[28:29], v[120:121] offset:2056
	s_mov_b32 s15, exec_lo
	s_wait_loadcnt_dscnt 0x0
	v_and_b32_e32 v14, 0xff, v28
	s_wait_xcnt 0x0
	s_delay_alu instid0(VALU_DEP_1)
	v_cmpx_ne_u16_e32 0, v14
	s_cbranch_execz .LBB362_594
; %bb.587:                              ;   in Loop: Header=BB362_10 Depth=1
	v_bfrev_b32_e32 v80, 1
	s_mov_b32 s16, exec_lo
	v_cmpx_ne_u16_e32 0x80, v14
	s_cbranch_execz .LBB362_593
; %bb.588:                              ;   in Loop: Header=BB362_10 Depth=1
	v_and_b32_e32 v14, 0x7f, v28
	v_mov_b32_e32 v80, 0x7f800001
	s_mov_b32 s17, exec_lo
	s_delay_alu instid0(VALU_DEP_2)
	v_cmpx_ne_u32_e32 0x7f, v14
	s_cbranch_execz .LBB362_592
; %bb.589:                              ;   in Loop: Header=BB362_10 Depth=1
	v_lshrrev_b32_e32 v16, 3, v14
	v_cmp_gt_u32_e64 s1, 8, v14
	v_mov_b64_e32 v[14:15], v[28:29]
	s_and_saveexec_b32 s18, s1
; %bb.590:                              ;   in Loop: Header=BB362_10 Depth=1
	v_and_b32_e32 v14, 7, v28
	s_delay_alu instid0(VALU_DEP_1) | instskip(NEXT) | instid1(VALU_DEP_1)
	v_clz_i32_u32_e32 v14, v14
	v_min_u32_e32 v16, 32, v14
	s_delay_alu instid0(VALU_DEP_1) | instskip(SKIP_1) | instid1(VALU_DEP_2)
	v_subrev_nc_u32_e32 v14, 28, v16
	v_sub_nc_u32_e32 v16, 29, v16
	v_lshlrev_b64_e32 v[14:15], v14, v[28:29]
; %bb.591:                              ;   in Loop: Header=BB362_10 Depth=1
	s_or_b32 exec_lo, exec_lo, s18
	s_delay_alu instid0(VALU_DEP_1) | instskip(NEXT) | instid1(VALU_DEP_3)
	v_dual_lshlrev_b32 v14, 20, v14 :: v_dual_lshlrev_b32 v15, 24, v28
	v_lshl_add_u32 v16, v16, 23, 0x3c000000
	s_delay_alu instid0(VALU_DEP_2) | instskip(NEXT) | instid1(VALU_DEP_3)
	v_and_b32_e32 v14, 0x700000, v14
	v_and_b32_e32 v15, 0x80000000, v15
	s_delay_alu instid0(VALU_DEP_1)
	v_or3_b32 v80, v14, v15, v16
.LBB362_592:                            ;   in Loop: Header=BB362_10 Depth=1
	s_or_b32 exec_lo, exec_lo, s17
.LBB362_593:                            ;   in Loop: Header=BB362_10 Depth=1
	s_delay_alu instid0(SALU_CYCLE_1)
	s_or_b32 exec_lo, exec_lo, s16
.LBB362_594:                            ;   in Loop: Header=BB362_10 Depth=1
	s_delay_alu instid0(SALU_CYCLE_1) | instskip(SKIP_3) | instid1(VALU_DEP_2)
	s_or_b32 exec_lo, exec_lo, s15
	v_lshrrev_b16 v14, 8, v28
	v_dual_mov_b32 v26, 0 :: v_dual_mov_b32 v81, 0
	s_mov_b32 s15, exec_lo
	v_cmpx_ne_u16_e32 0, v14
	s_cbranch_execz .LBB362_602
; %bb.595:                              ;   in Loop: Header=BB362_10 Depth=1
	v_bfrev_b32_e32 v81, 1
	s_mov_b32 s16, exec_lo
	v_cmpx_ne_u16_e32 0x80, v14
	s_cbranch_execz .LBB362_601
; %bb.596:                              ;   in Loop: Header=BB362_10 Depth=1
	v_and_b32_e32 v14, 0xffff, v14
	v_mov_b32_e32 v81, 0x7f800001
	s_mov_b32 s17, exec_lo
	s_delay_alu instid0(VALU_DEP_2) | instskip(NEXT) | instid1(VALU_DEP_1)
	v_and_b32_e32 v15, 0x7f, v14
	v_cmpx_ne_u32_e32 0x7f, v15
	s_cbranch_execz .LBB362_600
; %bb.597:                              ;   in Loop: Header=BB362_10 Depth=1
	v_dual_lshrrev_b32 v14, 3, v15 :: v_dual_bitop2_b32 v16, 7, v14 bitop3:0x40
	s_mov_b32 s18, exec_lo
	v_cmpx_gt_u32_e32 8, v15
; %bb.598:                              ;   in Loop: Header=BB362_10 Depth=1
	s_delay_alu instid0(VALU_DEP_2) | instskip(NEXT) | instid1(VALU_DEP_1)
	v_clz_i32_u32_e32 v14, v16
	v_min_u32_e32 v14, 32, v14
	s_delay_alu instid0(VALU_DEP_1) | instskip(SKIP_1) | instid1(VALU_DEP_2)
	v_subrev_nc_u32_e32 v15, 28, v14
	v_sub_nc_u32_e32 v14, 29, v14
	v_lshlrev_b64_e32 v[30:31], v15, v[16:17]
	s_delay_alu instid0(VALU_DEP_1)
	v_and_b32_e32 v16, 7, v30
; %bb.599:                              ;   in Loop: Header=BB362_10 Depth=1
	s_or_b32 exec_lo, exec_lo, s18
	v_lshlrev_b32_e32 v15, 16, v28
	s_delay_alu instid0(VALU_DEP_2) | instskip(SKIP_1) | instid1(VALU_DEP_3)
	v_lshlrev_b32_e32 v16, 20, v16
	v_lshl_add_u32 v14, v14, 23, 0x3c000000
	v_and_b32_e32 v15, 0x80000000, v15
	s_delay_alu instid0(VALU_DEP_1)
	v_or3_b32 v81, v16, v15, v14
.LBB362_600:                            ;   in Loop: Header=BB362_10 Depth=1
	s_or_b32 exec_lo, exec_lo, s17
.LBB362_601:                            ;   in Loop: Header=BB362_10 Depth=1
	s_delay_alu instid0(SALU_CYCLE_1)
	s_or_b32 exec_lo, exec_lo, s16
.LBB362_602:                            ;   in Loop: Header=BB362_10 Depth=1
	s_delay_alu instid0(SALU_CYCLE_1) | instskip(SKIP_2) | instid1(VALU_DEP_1)
	s_or_b32 exec_lo, exec_lo, s15
	v_lshrrev_b32_e32 v14, 16, v28
	s_mov_b32 s15, exec_lo
	v_and_b32_e32 v15, 0xff, v14
	s_delay_alu instid0(VALU_DEP_1)
	v_cmpx_ne_u16_e32 0, v15
	s_cbranch_execz .LBB362_610
; %bb.603:                              ;   in Loop: Header=BB362_10 Depth=1
	v_bfrev_b32_e32 v26, 1
	s_mov_b32 s16, exec_lo
	v_cmpx_ne_u16_e32 0x80, v15
	s_cbranch_execz .LBB362_609
; %bb.604:                              ;   in Loop: Header=BB362_10 Depth=1
	v_bfe_u32 v27, v28, 16, 7
	v_mov_b32_e32 v26, 0x7f800001
	s_mov_b32 s17, exec_lo
	s_delay_alu instid0(VALU_DEP_2)
	v_cmpx_ne_u32_e32 0x7f, v27
	s_cbranch_execz .LBB362_608
; %bb.605:                              ;   in Loop: Header=BB362_10 Depth=1
	v_dual_lshrrev_b32 v15, 3, v27 :: v_dual_bitop2_b32 v16, 7, v14 bitop3:0x40
	s_mov_b32 s18, exec_lo
	v_cmpx_gt_u32_e32 8, v27
; %bb.606:                              ;   in Loop: Header=BB362_10 Depth=1
	s_delay_alu instid0(VALU_DEP_2) | instskip(NEXT) | instid1(VALU_DEP_1)
	v_clz_i32_u32_e32 v15, v16
	v_min_u32_e32 v15, 32, v15
	s_delay_alu instid0(VALU_DEP_1) | instskip(NEXT) | instid1(VALU_DEP_1)
	v_subrev_nc_u32_e32 v26, 28, v15
	v_lshlrev_b64_e32 v[26:27], v26, v[16:17]
	s_delay_alu instid0(VALU_DEP_1)
	v_dual_sub_nc_u32 v15, 29, v15 :: v_dual_bitop2_b32 v16, 7, v26 bitop3:0x40
; %bb.607:                              ;   in Loop: Header=BB362_10 Depth=1
	s_or_b32 exec_lo, exec_lo, s18
	s_delay_alu instid0(VALU_DEP_1) | instskip(NEXT) | instid1(VALU_DEP_2)
	v_dual_lshlrev_b32 v14, 24, v14 :: v_dual_lshlrev_b32 v16, 20, v16
	v_lshl_add_u32 v15, v15, 23, 0x3c000000
	s_delay_alu instid0(VALU_DEP_2) | instskip(NEXT) | instid1(VALU_DEP_1)
	v_and_b32_e32 v14, 0x80000000, v14
	v_or3_b32 v26, v16, v14, v15
.LBB362_608:                            ;   in Loop: Header=BB362_10 Depth=1
	s_or_b32 exec_lo, exec_lo, s17
.LBB362_609:                            ;   in Loop: Header=BB362_10 Depth=1
	s_delay_alu instid0(SALU_CYCLE_1)
	s_or_b32 exec_lo, exec_lo, s16
.LBB362_610:                            ;   in Loop: Header=BB362_10 Depth=1
	s_delay_alu instid0(SALU_CYCLE_1)
	s_or_b32 exec_lo, exec_lo, s15
	v_dual_mov_b32 v82, 0 :: v_dual_mov_b32 v27, 0
	s_mov_b32 s15, exec_lo
	v_cmpx_lt_u32_e32 0xffffff, v28
	s_cbranch_execz .LBB362_618
; %bb.611:                              ;   in Loop: Header=BB362_10 Depth=1
	v_lshrrev_b32_e32 v14, 24, v28
	v_bfrev_b32_e32 v27, 1
	s_mov_b32 s16, exec_lo
	s_delay_alu instid0(VALU_DEP_2)
	v_cmpx_ne_u32_e32 0x80, v14
	s_cbranch_execz .LBB362_617
; %bb.612:                              ;   in Loop: Header=BB362_10 Depth=1
	v_bfe_u32 v30, v28, 24, 7
	v_mov_b32_e32 v27, 0x7f800001
	s_mov_b32 s17, exec_lo
	s_delay_alu instid0(VALU_DEP_2)
	v_cmpx_ne_u32_e32 0x7f, v30
	s_cbranch_execz .LBB362_616
; %bb.613:                              ;   in Loop: Header=BB362_10 Depth=1
	v_and_b32_e32 v16, 7, v14
	v_lshrrev_b32_e32 v15, 3, v30
	s_mov_b32 s18, exec_lo
	v_cmpx_gt_u32_e32 8, v30
; %bb.614:                              ;   in Loop: Header=BB362_10 Depth=1
	s_delay_alu instid0(VALU_DEP_3) | instskip(NEXT) | instid1(VALU_DEP_1)
	v_clz_i32_u32_e32 v15, v16
	v_min_u32_e32 v15, 32, v15
	s_delay_alu instid0(VALU_DEP_1) | instskip(NEXT) | instid1(VALU_DEP_1)
	v_subrev_nc_u32_e32 v27, 28, v15
	v_lshlrev_b64_e32 v[30:31], v27, v[16:17]
	s_delay_alu instid0(VALU_DEP_1)
	v_dual_sub_nc_u32 v15, 29, v15 :: v_dual_bitop2_b32 v16, 7, v30 bitop3:0x40
; %bb.615:                              ;   in Loop: Header=BB362_10 Depth=1
	s_or_b32 exec_lo, exec_lo, s18
	s_delay_alu instid0(VALU_DEP_1) | instskip(NEXT) | instid1(VALU_DEP_2)
	v_dual_lshlrev_b32 v14, 24, v14 :: v_dual_lshlrev_b32 v16, 20, v16
	v_lshl_add_u32 v15, v15, 23, 0x3c000000
	s_delay_alu instid0(VALU_DEP_2) | instskip(NEXT) | instid1(VALU_DEP_1)
	v_and_b32_e32 v14, 0x80000000, v14
	v_or3_b32 v27, v16, v14, v15
.LBB362_616:                            ;   in Loop: Header=BB362_10 Depth=1
	s_or_b32 exec_lo, exec_lo, s17
.LBB362_617:                            ;   in Loop: Header=BB362_10 Depth=1
	s_delay_alu instid0(SALU_CYCLE_1)
	s_or_b32 exec_lo, exec_lo, s16
.LBB362_618:                            ;   in Loop: Header=BB362_10 Depth=1
	s_delay_alu instid0(SALU_CYCLE_1) | instskip(SKIP_3) | instid1(VALU_DEP_2)
	s_or_b32 exec_lo, exec_lo, s15
	v_and_b32_e32 v14, 0xff, v29
	v_mov_b32_e32 v16, v29
	s_mov_b32 s15, exec_lo
	v_cmpx_ne_u16_e32 0, v14
	s_cbranch_execz .LBB362_626
; %bb.619:                              ;   in Loop: Header=BB362_10 Depth=1
	v_bfrev_b32_e32 v82, 1
	s_mov_b32 s16, exec_lo
	v_cmpx_ne_u16_e32 0x80, v14
	s_cbranch_execz .LBB362_625
; %bb.620:                              ;   in Loop: Header=BB362_10 Depth=1
	v_and_b32_e32 v14, 0x7f, v29
	v_mov_b32_e32 v82, 0x7f800001
	s_mov_b32 s17, exec_lo
	s_delay_alu instid0(VALU_DEP_2)
	v_cmpx_ne_u32_e32 0x7f, v14
	s_cbranch_execz .LBB362_624
; %bb.621:                              ;   in Loop: Header=BB362_10 Depth=1
	v_lshrrev_b32_e32 v30, 3, v14
	v_cmp_gt_u32_e64 s1, 8, v14
	v_mov_b64_e32 v[14:15], v[16:17]
	s_and_saveexec_b32 s18, s1
; %bb.622:                              ;   in Loop: Header=BB362_10 Depth=1
	v_and_b32_e32 v14, 7, v29
	s_delay_alu instid0(VALU_DEP_1) | instskip(NEXT) | instid1(VALU_DEP_1)
	v_clz_i32_u32_e32 v14, v14
	v_min_u32_e32 v30, 32, v14
	s_delay_alu instid0(VALU_DEP_1) | instskip(SKIP_1) | instid1(VALU_DEP_2)
	v_subrev_nc_u32_e32 v14, 28, v30
	v_sub_nc_u32_e32 v30, 29, v30
	v_lshlrev_b64_e32 v[14:15], v14, v[16:17]
; %bb.623:                              ;   in Loop: Header=BB362_10 Depth=1
	s_or_b32 exec_lo, exec_lo, s18
	s_delay_alu instid0(VALU_DEP_1) | instskip(NEXT) | instid1(VALU_DEP_3)
	v_dual_lshlrev_b32 v14, 20, v14 :: v_dual_lshlrev_b32 v15, 24, v16
	v_lshl_add_u32 v30, v30, 23, 0x3c000000
	s_delay_alu instid0(VALU_DEP_2) | instskip(NEXT) | instid1(VALU_DEP_3)
	v_and_b32_e32 v14, 0x700000, v14
	v_and_b32_e32 v15, 0x80000000, v15
	s_delay_alu instid0(VALU_DEP_1)
	v_or3_b32 v82, v14, v15, v30
.LBB362_624:                            ;   in Loop: Header=BB362_10 Depth=1
	s_or_b32 exec_lo, exec_lo, s17
.LBB362_625:                            ;   in Loop: Header=BB362_10 Depth=1
	s_delay_alu instid0(SALU_CYCLE_1)
	s_or_b32 exec_lo, exec_lo, s16
.LBB362_626:                            ;   in Loop: Header=BB362_10 Depth=1
	s_delay_alu instid0(SALU_CYCLE_1) | instskip(SKIP_3) | instid1(VALU_DEP_2)
	s_or_b32 exec_lo, exec_lo, s15
	v_lshrrev_b16 v15, 8, v16
	v_dual_mov_b32 v14, 0 :: v_dual_mov_b32 v83, 0
	s_mov_b32 s15, exec_lo
	v_cmpx_ne_u16_e32 0, v15
	s_cbranch_execz .LBB362_634
; %bb.627:                              ;   in Loop: Header=BB362_10 Depth=1
	v_bfrev_b32_e32 v83, 1
	s_mov_b32 s16, exec_lo
	v_cmpx_ne_u16_e32 0x80, v15
	s_cbranch_execz .LBB362_633
; %bb.628:                              ;   in Loop: Header=BB362_10 Depth=1
	v_and_b32_e32 v15, 0xffff, v15
	v_mov_b32_e32 v83, 0x7f800001
	s_mov_b32 s17, exec_lo
	s_delay_alu instid0(VALU_DEP_2) | instskip(NEXT) | instid1(VALU_DEP_1)
	v_and_b32_e32 v84, 0x7f, v15
	v_cmpx_ne_u32_e32 0x7f, v84
	s_cbranch_execz .LBB362_632
; %bb.629:                              ;   in Loop: Header=BB362_10 Depth=1
	v_dual_mov_b32 v31, v17 :: v_dual_bitop2_b32 v30, 7, v15 bitop3:0x40
	v_lshrrev_b32_e32 v15, 3, v84
	s_mov_b32 s18, exec_lo
	v_cmpx_gt_u32_e32 8, v84
; %bb.630:                              ;   in Loop: Header=BB362_10 Depth=1
	s_delay_alu instid0(VALU_DEP_3) | instskip(NEXT) | instid1(VALU_DEP_1)
	v_clz_i32_u32_e32 v15, v30
	v_min_u32_e32 v15, 32, v15
	s_delay_alu instid0(VALU_DEP_1) | instskip(NEXT) | instid1(VALU_DEP_1)
	v_subrev_nc_u32_e32 v83, 28, v15
	v_lshlrev_b64_e32 v[30:31], v83, v[30:31]
	s_delay_alu instid0(VALU_DEP_1)
	v_dual_sub_nc_u32 v15, 29, v15 :: v_dual_bitop2_b32 v30, 7, v30 bitop3:0x40
; %bb.631:                              ;   in Loop: Header=BB362_10 Depth=1
	s_or_b32 exec_lo, exec_lo, s18
	s_delay_alu instid0(VALU_DEP_1) | instskip(NEXT) | instid1(VALU_DEP_2)
	v_dual_lshlrev_b32 v16, 16, v16 :: v_dual_lshlrev_b32 v30, 20, v30
	v_lshl_add_u32 v15, v15, 23, 0x3c000000
	s_delay_alu instid0(VALU_DEP_2) | instskip(NEXT) | instid1(VALU_DEP_1)
	v_and_b32_e32 v16, 0x80000000, v16
	v_or3_b32 v83, v30, v16, v15
.LBB362_632:                            ;   in Loop: Header=BB362_10 Depth=1
	s_or_b32 exec_lo, exec_lo, s17
.LBB362_633:                            ;   in Loop: Header=BB362_10 Depth=1
	s_delay_alu instid0(SALU_CYCLE_1)
	s_or_b32 exec_lo, exec_lo, s16
.LBB362_634:                            ;   in Loop: Header=BB362_10 Depth=1
	s_delay_alu instid0(SALU_CYCLE_1) | instskip(SKIP_2) | instid1(VALU_DEP_1)
	s_or_b32 exec_lo, exec_lo, s15
	v_lshrrev_b32_e32 v15, 16, v29
	s_mov_b32 s15, exec_lo
	v_and_b32_e32 v16, 0xff, v15
	s_delay_alu instid0(VALU_DEP_1)
	v_cmpx_ne_u16_e32 0, v16
	s_cbranch_execz .LBB362_642
; %bb.635:                              ;   in Loop: Header=BB362_10 Depth=1
	v_bfrev_b32_e32 v14, 1
	s_mov_b32 s16, exec_lo
	v_cmpx_ne_u16_e32 0x80, v16
	s_cbranch_execz .LBB362_641
; %bb.636:                              ;   in Loop: Header=BB362_10 Depth=1
	v_bfe_u32 v30, v29, 16, 7
	v_mov_b32_e32 v14, 0x7f800001
	s_mov_b32 s17, exec_lo
	s_delay_alu instid0(VALU_DEP_2)
	v_cmpx_ne_u32_e32 0x7f, v30
	s_cbranch_execz .LBB362_640
; %bb.637:                              ;   in Loop: Header=BB362_10 Depth=1
	v_dual_lshrrev_b32 v14, 3, v30 :: v_dual_bitop2_b32 v16, 7, v15 bitop3:0x40
	s_mov_b32 s18, exec_lo
	v_cmpx_gt_u32_e32 8, v30
; %bb.638:                              ;   in Loop: Header=BB362_10 Depth=1
	s_delay_alu instid0(VALU_DEP_2) | instskip(NEXT) | instid1(VALU_DEP_1)
	v_clz_i32_u32_e32 v14, v16
	v_min_u32_e32 v14, 32, v14
	s_delay_alu instid0(VALU_DEP_1) | instskip(SKIP_1) | instid1(VALU_DEP_2)
	v_subrev_nc_u32_e32 v30, 28, v14
	v_sub_nc_u32_e32 v14, 29, v14
	v_lshlrev_b64_e32 v[30:31], v30, v[16:17]
	s_delay_alu instid0(VALU_DEP_1)
	v_and_b32_e32 v16, 7, v30
; %bb.639:                              ;   in Loop: Header=BB362_10 Depth=1
	s_or_b32 exec_lo, exec_lo, s18
	s_delay_alu instid0(VALU_DEP_1) | instskip(SKIP_1) | instid1(VALU_DEP_2)
	v_dual_lshlrev_b32 v15, 24, v15 :: v_dual_lshlrev_b32 v16, 20, v16
	v_lshl_add_u32 v14, v14, 23, 0x3c000000
	v_and_b32_e32 v15, 0x80000000, v15
	s_delay_alu instid0(VALU_DEP_1)
	v_or3_b32 v14, v16, v15, v14
.LBB362_640:                            ;   in Loop: Header=BB362_10 Depth=1
	s_or_b32 exec_lo, exec_lo, s17
.LBB362_641:                            ;   in Loop: Header=BB362_10 Depth=1
	s_delay_alu instid0(SALU_CYCLE_1)
	s_or_b32 exec_lo, exec_lo, s16
.LBB362_642:                            ;   in Loop: Header=BB362_10 Depth=1
	s_delay_alu instid0(SALU_CYCLE_1)
	s_or_b32 exec_lo, exec_lo, s15
	v_dual_mov_b32 v84, 0 :: v_dual_mov_b32 v15, 0
	s_mov_b32 s15, exec_lo
	v_cmpx_lt_u64_e64 s[2:3], v[28:29]
	s_cbranch_execz .LBB362_650
; %bb.643:                              ;   in Loop: Header=BB362_10 Depth=1
	v_lshrrev_b32_e32 v28, 24, v29
	v_bfrev_b32_e32 v15, 1
	s_mov_b32 s16, exec_lo
	s_delay_alu instid0(VALU_DEP_2)
	v_cmpx_ne_u32_e32 0x80, v28
	s_cbranch_execz .LBB362_649
; %bb.644:                              ;   in Loop: Header=BB362_10 Depth=1
	v_bfe_u32 v29, v29, 24, 7
	v_mov_b32_e32 v15, 0x7f800001
	s_mov_b32 s17, exec_lo
	s_delay_alu instid0(VALU_DEP_2)
	v_cmpx_ne_u32_e32 0x7f, v29
	s_cbranch_execz .LBB362_648
; %bb.645:                              ;   in Loop: Header=BB362_10 Depth=1
	v_dual_lshrrev_b32 v15, 3, v29 :: v_dual_bitop2_b32 v16, 7, v28 bitop3:0x40
	s_mov_b32 s18, exec_lo
	v_cmpx_gt_u32_e32 8, v29
; %bb.646:                              ;   in Loop: Header=BB362_10 Depth=1
	s_delay_alu instid0(VALU_DEP_2) | instskip(NEXT) | instid1(VALU_DEP_1)
	v_clz_i32_u32_e32 v15, v16
	v_min_u32_e32 v15, 32, v15
	s_delay_alu instid0(VALU_DEP_1) | instskip(NEXT) | instid1(VALU_DEP_1)
	v_subrev_nc_u32_e32 v29, 28, v15
	v_lshlrev_b64_e32 v[30:31], v29, v[16:17]
	s_delay_alu instid0(VALU_DEP_1)
	v_dual_sub_nc_u32 v15, 29, v15 :: v_dual_bitop2_b32 v16, 7, v30 bitop3:0x40
; %bb.647:                              ;   in Loop: Header=BB362_10 Depth=1
	s_or_b32 exec_lo, exec_lo, s18
	v_lshlrev_b32_e32 v28, 24, v28
	s_delay_alu instid0(VALU_DEP_2) | instskip(NEXT) | instid1(VALU_DEP_3)
	v_lshlrev_b32_e32 v16, 20, v16
	v_lshl_add_u32 v15, v15, 23, 0x3c000000
	s_delay_alu instid0(VALU_DEP_3) | instskip(NEXT) | instid1(VALU_DEP_1)
	v_and_b32_e32 v28, 0x80000000, v28
	v_or3_b32 v15, v16, v28, v15
.LBB362_648:                            ;   in Loop: Header=BB362_10 Depth=1
	s_or_b32 exec_lo, exec_lo, s17
.LBB362_649:                            ;   in Loop: Header=BB362_10 Depth=1
	s_delay_alu instid0(SALU_CYCLE_1)
	s_or_b32 exec_lo, exec_lo, s16
.LBB362_650:                            ;   in Loop: Header=BB362_10 Depth=1
	s_delay_alu instid0(SALU_CYCLE_1)
	s_or_b32 exec_lo, exec_lo, s15
	flat_load_b64 v[96:97], v[120:121] offset:2560
	s_mov_b32 s15, exec_lo
	s_wait_loadcnt_dscnt 0x0
	v_and_b32_e32 v16, 0xff, v96
	s_wait_xcnt 0x0
	s_delay_alu instid0(VALU_DEP_1)
	v_cmpx_ne_u16_e32 0, v16
	s_cbranch_execz .LBB362_658
; %bb.651:                              ;   in Loop: Header=BB362_10 Depth=1
	v_bfrev_b32_e32 v84, 1
	s_mov_b32 s16, exec_lo
	v_cmpx_ne_u16_e32 0x80, v16
	s_cbranch_execz .LBB362_657
; %bb.652:                              ;   in Loop: Header=BB362_10 Depth=1
	v_and_b32_e32 v28, 0x7f, v96
	v_mov_b32_e32 v84, 0x7f800001
	s_mov_b32 s17, exec_lo
	s_delay_alu instid0(VALU_DEP_2)
	v_cmpx_ne_u32_e32 0x7f, v28
	s_cbranch_execz .LBB362_656
; %bb.653:                              ;   in Loop: Header=BB362_10 Depth=1
	v_lshrrev_b32_e32 v16, 3, v28
	v_cmp_gt_u32_e64 s1, 8, v28
	v_mov_b64_e32 v[28:29], v[96:97]
	s_and_saveexec_b32 s18, s1
; %bb.654:                              ;   in Loop: Header=BB362_10 Depth=1
	v_and_b32_e32 v16, 7, v96
	s_delay_alu instid0(VALU_DEP_1) | instskip(NEXT) | instid1(VALU_DEP_1)
	v_clz_i32_u32_e32 v16, v16
	v_min_u32_e32 v16, 32, v16
	s_delay_alu instid0(VALU_DEP_1) | instskip(SKIP_1) | instid1(VALU_DEP_2)
	v_subrev_nc_u32_e32 v28, 28, v16
	v_sub_nc_u32_e32 v16, 29, v16
	v_lshlrev_b64_e32 v[28:29], v28, v[96:97]
; %bb.655:                              ;   in Loop: Header=BB362_10 Depth=1
	s_or_b32 exec_lo, exec_lo, s18
	s_delay_alu instid0(VALU_DEP_1) | instskip(SKIP_2) | instid1(VALU_DEP_3)
	v_lshlrev_b32_e32 v28, 20, v28
	v_lshlrev_b32_e32 v29, 24, v96
	v_lshl_add_u32 v16, v16, 23, 0x3c000000
	v_and_b32_e32 v28, 0x700000, v28
	s_delay_alu instid0(VALU_DEP_3) | instskip(NEXT) | instid1(VALU_DEP_1)
	v_and_b32_e32 v29, 0x80000000, v29
	v_or3_b32 v84, v28, v29, v16
.LBB362_656:                            ;   in Loop: Header=BB362_10 Depth=1
	s_or_b32 exec_lo, exec_lo, s17
.LBB362_657:                            ;   in Loop: Header=BB362_10 Depth=1
	s_delay_alu instid0(SALU_CYCLE_1)
	s_or_b32 exec_lo, exec_lo, s16
.LBB362_658:                            ;   in Loop: Header=BB362_10 Depth=1
	s_delay_alu instid0(SALU_CYCLE_1) | instskip(SKIP_3) | instid1(VALU_DEP_2)
	s_or_b32 exec_lo, exec_lo, s15
	v_lshrrev_b16 v16, 8, v96
	v_dual_mov_b32 v28, 0 :: v_dual_mov_b32 v85, 0
	s_mov_b32 s15, exec_lo
	v_cmpx_ne_u16_e32 0, v16
	s_cbranch_execz .LBB362_666
; %bb.659:                              ;   in Loop: Header=BB362_10 Depth=1
	v_bfrev_b32_e32 v85, 1
	s_mov_b32 s16, exec_lo
	v_cmpx_ne_u16_e32 0x80, v16
	s_cbranch_execz .LBB362_665
; %bb.660:                              ;   in Loop: Header=BB362_10 Depth=1
	v_and_b32_e32 v16, 0xffff, v16
	v_mov_b32_e32 v85, 0x7f800001
	s_mov_b32 s17, exec_lo
	s_delay_alu instid0(VALU_DEP_2) | instskip(NEXT) | instid1(VALU_DEP_1)
	v_and_b32_e32 v30, 0x7f, v16
	v_cmpx_ne_u32_e32 0x7f, v30
	s_cbranch_execz .LBB362_664
; %bb.661:                              ;   in Loop: Header=BB362_10 Depth=1
	v_dual_lshrrev_b32 v29, 3, v30 :: v_dual_bitop2_b32 v16, 7, v16 bitop3:0x40
	s_mov_b32 s18, exec_lo
	v_cmpx_gt_u32_e32 8, v30
; %bb.662:                              ;   in Loop: Header=BB362_10 Depth=1
	s_delay_alu instid0(VALU_DEP_2) | instskip(NEXT) | instid1(VALU_DEP_1)
	v_clz_i32_u32_e32 v29, v16
	v_min_u32_e32 v29, 32, v29
	s_delay_alu instid0(VALU_DEP_1) | instskip(NEXT) | instid1(VALU_DEP_1)
	v_subrev_nc_u32_e32 v30, 28, v29
	v_lshlrev_b64_e32 v[30:31], v30, v[16:17]
	s_delay_alu instid0(VALU_DEP_1)
	v_dual_sub_nc_u32 v29, 29, v29 :: v_dual_bitop2_b32 v16, 7, v30 bitop3:0x40
; %bb.663:                              ;   in Loop: Header=BB362_10 Depth=1
	s_or_b32 exec_lo, exec_lo, s18
	v_lshlrev_b32_e32 v30, 16, v96
	s_delay_alu instid0(VALU_DEP_2) | instskip(NEXT) | instid1(VALU_DEP_3)
	v_lshlrev_b32_e32 v16, 20, v16
	v_lshl_add_u32 v29, v29, 23, 0x3c000000
	s_delay_alu instid0(VALU_DEP_3) | instskip(NEXT) | instid1(VALU_DEP_1)
	v_and_b32_e32 v30, 0x80000000, v30
	v_or3_b32 v85, v16, v30, v29
.LBB362_664:                            ;   in Loop: Header=BB362_10 Depth=1
	s_or_b32 exec_lo, exec_lo, s17
.LBB362_665:                            ;   in Loop: Header=BB362_10 Depth=1
	s_delay_alu instid0(SALU_CYCLE_1)
	s_or_b32 exec_lo, exec_lo, s16
.LBB362_666:                            ;   in Loop: Header=BB362_10 Depth=1
	s_delay_alu instid0(SALU_CYCLE_1) | instskip(SKIP_2) | instid1(VALU_DEP_1)
	s_or_b32 exec_lo, exec_lo, s15
	v_lshrrev_b32_e32 v29, 16, v96
	s_mov_b32 s15, exec_lo
	v_and_b32_e32 v16, 0xff, v29
	s_delay_alu instid0(VALU_DEP_1)
	v_cmpx_ne_u16_e32 0, v16
	s_cbranch_execz .LBB362_674
; %bb.667:                              ;   in Loop: Header=BB362_10 Depth=1
	v_bfrev_b32_e32 v28, 1
	s_mov_b32 s16, exec_lo
	v_cmpx_ne_u16_e32 0x80, v16
	s_cbranch_execz .LBB362_673
; %bb.668:                              ;   in Loop: Header=BB362_10 Depth=1
	v_bfe_u32 v30, v96, 16, 7
	v_mov_b32_e32 v28, 0x7f800001
	s_mov_b32 s17, exec_lo
	s_delay_alu instid0(VALU_DEP_2)
	v_cmpx_ne_u32_e32 0x7f, v30
	s_cbranch_execz .LBB362_672
; %bb.669:                              ;   in Loop: Header=BB362_10 Depth=1
	v_dual_lshrrev_b32 v28, 3, v30 :: v_dual_bitop2_b32 v16, 7, v29 bitop3:0x40
	s_mov_b32 s18, exec_lo
	v_cmpx_gt_u32_e32 8, v30
; %bb.670:                              ;   in Loop: Header=BB362_10 Depth=1
	s_delay_alu instid0(VALU_DEP_2) | instskip(NEXT) | instid1(VALU_DEP_1)
	v_clz_i32_u32_e32 v28, v16
	v_min_u32_e32 v28, 32, v28
	s_delay_alu instid0(VALU_DEP_1) | instskip(NEXT) | instid1(VALU_DEP_1)
	v_subrev_nc_u32_e32 v30, 28, v28
	v_lshlrev_b64_e32 v[30:31], v30, v[16:17]
	s_delay_alu instid0(VALU_DEP_1)
	v_dual_sub_nc_u32 v28, 29, v28 :: v_dual_bitop2_b32 v16, 7, v30 bitop3:0x40
; %bb.671:                              ;   in Loop: Header=BB362_10 Depth=1
	s_or_b32 exec_lo, exec_lo, s18
	s_delay_alu instid0(VALU_DEP_1) | instskip(NEXT) | instid1(VALU_DEP_2)
	v_dual_lshlrev_b32 v29, 24, v29 :: v_dual_lshlrev_b32 v16, 20, v16
	v_lshl_add_u32 v28, v28, 23, 0x3c000000
	s_delay_alu instid0(VALU_DEP_2) | instskip(NEXT) | instid1(VALU_DEP_1)
	v_and_b32_e32 v29, 0x80000000, v29
	v_or3_b32 v28, v16, v29, v28
.LBB362_672:                            ;   in Loop: Header=BB362_10 Depth=1
	s_or_b32 exec_lo, exec_lo, s17
.LBB362_673:                            ;   in Loop: Header=BB362_10 Depth=1
	s_delay_alu instid0(SALU_CYCLE_1)
	s_or_b32 exec_lo, exec_lo, s16
.LBB362_674:                            ;   in Loop: Header=BB362_10 Depth=1
	s_delay_alu instid0(SALU_CYCLE_1)
	s_or_b32 exec_lo, exec_lo, s15
	v_dual_mov_b32 v86, 0 :: v_dual_mov_b32 v29, 0
	s_mov_b32 s15, exec_lo
	v_cmpx_lt_u32_e32 0xffffff, v96
	s_cbranch_execz .LBB362_682
; %bb.675:                              ;   in Loop: Header=BB362_10 Depth=1
	v_lshrrev_b32_e32 v30, 24, v96
	v_bfrev_b32_e32 v29, 1
	s_mov_b32 s16, exec_lo
	s_delay_alu instid0(VALU_DEP_2)
	v_cmpx_ne_u32_e32 0x80, v30
	s_cbranch_execz .LBB362_681
; %bb.676:                              ;   in Loop: Header=BB362_10 Depth=1
	v_bfe_u32 v31, v96, 24, 7
	v_mov_b32_e32 v29, 0x7f800001
	s_mov_b32 s17, exec_lo
	s_delay_alu instid0(VALU_DEP_2)
	v_cmpx_ne_u32_e32 0x7f, v31
	s_cbranch_execz .LBB362_680
; %bb.677:                              ;   in Loop: Header=BB362_10 Depth=1
	v_dual_lshrrev_b32 v29, 3, v31 :: v_dual_bitop2_b32 v16, 7, v30 bitop3:0x40
	s_mov_b32 s18, exec_lo
	v_cmpx_gt_u32_e32 8, v31
; %bb.678:                              ;   in Loop: Header=BB362_10 Depth=1
	s_delay_alu instid0(VALU_DEP_2) | instskip(NEXT) | instid1(VALU_DEP_1)
	v_clz_i32_u32_e32 v29, v16
	v_min_u32_e32 v29, 32, v29
	s_delay_alu instid0(VALU_DEP_1) | instskip(NEXT) | instid1(VALU_DEP_1)
	v_subrev_nc_u32_e32 v31, 28, v29
	v_lshlrev_b64_e32 v[98:99], v31, v[16:17]
	s_delay_alu instid0(VALU_DEP_1)
	v_dual_sub_nc_u32 v29, 29, v29 :: v_dual_bitop2_b32 v16, 7, v98 bitop3:0x40
; %bb.679:                              ;   in Loop: Header=BB362_10 Depth=1
	s_or_b32 exec_lo, exec_lo, s18
	s_delay_alu instid0(VALU_DEP_1) | instskip(NEXT) | instid1(VALU_DEP_2)
	v_dual_lshlrev_b32 v30, 24, v30 :: v_dual_lshlrev_b32 v16, 20, v16
	v_lshl_add_u32 v29, v29, 23, 0x3c000000
	s_delay_alu instid0(VALU_DEP_2) | instskip(NEXT) | instid1(VALU_DEP_1)
	v_and_b32_e32 v30, 0x80000000, v30
	v_or3_b32 v29, v16, v30, v29
.LBB362_680:                            ;   in Loop: Header=BB362_10 Depth=1
	s_or_b32 exec_lo, exec_lo, s17
.LBB362_681:                            ;   in Loop: Header=BB362_10 Depth=1
	s_delay_alu instid0(SALU_CYCLE_1)
	s_or_b32 exec_lo, exec_lo, s16
.LBB362_682:                            ;   in Loop: Header=BB362_10 Depth=1
	s_delay_alu instid0(SALU_CYCLE_1) | instskip(SKIP_3) | instid1(VALU_DEP_2)
	s_or_b32 exec_lo, exec_lo, s15
	v_and_b32_e32 v30, 0xff, v97
	v_mov_b32_e32 v16, v97
	s_mov_b32 s15, exec_lo
	v_cmpx_ne_u16_e32 0, v30
	s_cbranch_execz .LBB362_690
; %bb.683:                              ;   in Loop: Header=BB362_10 Depth=1
	v_bfrev_b32_e32 v86, 1
	s_mov_b32 s16, exec_lo
	v_cmpx_ne_u16_e32 0x80, v30
	s_cbranch_execz .LBB362_689
; %bb.684:                              ;   in Loop: Header=BB362_10 Depth=1
	v_and_b32_e32 v30, 0x7f, v97
	v_mov_b32_e32 v86, 0x7f800001
	s_mov_b32 s17, exec_lo
	s_delay_alu instid0(VALU_DEP_2)
	v_cmpx_ne_u32_e32 0x7f, v30
	s_cbranch_execz .LBB362_688
; %bb.685:                              ;   in Loop: Header=BB362_10 Depth=1
	v_lshrrev_b32_e32 v86, 3, v30
	v_cmp_gt_u32_e64 s1, 8, v30
	v_mov_b64_e32 v[30:31], v[16:17]
	s_and_saveexec_b32 s18, s1
; %bb.686:                              ;   in Loop: Header=BB362_10 Depth=1
	v_and_b32_e32 v30, 7, v97
	s_delay_alu instid0(VALU_DEP_1) | instskip(NEXT) | instid1(VALU_DEP_1)
	v_clz_i32_u32_e32 v30, v30
	v_min_u32_e32 v86, 32, v30
	s_delay_alu instid0(VALU_DEP_1) | instskip(SKIP_1) | instid1(VALU_DEP_2)
	v_subrev_nc_u32_e32 v30, 28, v86
	v_sub_nc_u32_e32 v86, 29, v86
	v_lshlrev_b64_e32 v[30:31], v30, v[16:17]
; %bb.687:                              ;   in Loop: Header=BB362_10 Depth=1
	s_or_b32 exec_lo, exec_lo, s18
	s_delay_alu instid0(VALU_DEP_1) | instskip(NEXT) | instid1(VALU_DEP_3)
	v_dual_lshlrev_b32 v30, 20, v30 :: v_dual_lshlrev_b32 v31, 24, v16
	v_lshl_add_u32 v86, v86, 23, 0x3c000000
	s_delay_alu instid0(VALU_DEP_2) | instskip(NEXT) | instid1(VALU_DEP_3)
	v_and_b32_e32 v30, 0x700000, v30
	v_and_b32_e32 v31, 0x80000000, v31
	s_delay_alu instid0(VALU_DEP_1)
	v_or3_b32 v86, v30, v31, v86
.LBB362_688:                            ;   in Loop: Header=BB362_10 Depth=1
	s_or_b32 exec_lo, exec_lo, s17
.LBB362_689:                            ;   in Loop: Header=BB362_10 Depth=1
	s_delay_alu instid0(SALU_CYCLE_1)
	s_or_b32 exec_lo, exec_lo, s16
.LBB362_690:                            ;   in Loop: Header=BB362_10 Depth=1
	s_delay_alu instid0(SALU_CYCLE_1) | instskip(SKIP_3) | instid1(VALU_DEP_2)
	s_or_b32 exec_lo, exec_lo, s15
	v_lshrrev_b16 v31, 8, v16
	v_dual_mov_b32 v30, 0 :: v_dual_mov_b32 v87, 0
	s_mov_b32 s15, exec_lo
	v_cmpx_ne_u16_e32 0, v31
	s_cbranch_execz .LBB362_698
; %bb.691:                              ;   in Loop: Header=BB362_10 Depth=1
	v_bfrev_b32_e32 v87, 1
	s_mov_b32 s16, exec_lo
	v_cmpx_ne_u16_e32 0x80, v31
	s_cbranch_execz .LBB362_697
; %bb.692:                              ;   in Loop: Header=BB362_10 Depth=1
	v_and_b32_e32 v31, 0xffff, v31
	v_mov_b32_e32 v87, 0x7f800001
	s_mov_b32 s17, exec_lo
	s_delay_alu instid0(VALU_DEP_2) | instskip(NEXT) | instid1(VALU_DEP_1)
	v_and_b32_e32 v100, 0x7f, v31
	v_cmpx_ne_u32_e32 0x7f, v100
	s_cbranch_execz .LBB362_696
; %bb.693:                              ;   in Loop: Header=BB362_10 Depth=1
	v_dual_mov_b32 v99, v17 :: v_dual_bitop2_b32 v98, 7, v31 bitop3:0x40
	v_lshrrev_b32_e32 v31, 3, v100
	s_mov_b32 s18, exec_lo
	v_cmpx_gt_u32_e32 8, v100
; %bb.694:                              ;   in Loop: Header=BB362_10 Depth=1
	s_delay_alu instid0(VALU_DEP_3) | instskip(NEXT) | instid1(VALU_DEP_1)
	v_clz_i32_u32_e32 v31, v98
	v_min_u32_e32 v31, 32, v31
	s_delay_alu instid0(VALU_DEP_1) | instskip(NEXT) | instid1(VALU_DEP_1)
	v_subrev_nc_u32_e32 v87, 28, v31
	v_lshlrev_b64_e32 v[98:99], v87, v[98:99]
	s_delay_alu instid0(VALU_DEP_1)
	v_dual_sub_nc_u32 v31, 29, v31 :: v_dual_bitop2_b32 v98, 7, v98 bitop3:0x40
; %bb.695:                              ;   in Loop: Header=BB362_10 Depth=1
	s_or_b32 exec_lo, exec_lo, s18
	s_delay_alu instid0(VALU_DEP_1) | instskip(NEXT) | instid1(VALU_DEP_2)
	v_dual_lshlrev_b32 v16, 16, v16 :: v_dual_lshlrev_b32 v87, 20, v98
	v_lshl_add_u32 v31, v31, 23, 0x3c000000
	s_delay_alu instid0(VALU_DEP_2) | instskip(NEXT) | instid1(VALU_DEP_1)
	v_and_b32_e32 v16, 0x80000000, v16
	v_or3_b32 v87, v87, v16, v31
.LBB362_696:                            ;   in Loop: Header=BB362_10 Depth=1
	s_or_b32 exec_lo, exec_lo, s17
.LBB362_697:                            ;   in Loop: Header=BB362_10 Depth=1
	s_delay_alu instid0(SALU_CYCLE_1)
	s_or_b32 exec_lo, exec_lo, s16
.LBB362_698:                            ;   in Loop: Header=BB362_10 Depth=1
	s_delay_alu instid0(SALU_CYCLE_1) | instskip(SKIP_2) | instid1(VALU_DEP_1)
	s_or_b32 exec_lo, exec_lo, s15
	v_lshrrev_b32_e32 v31, 16, v97
	s_mov_b32 s15, exec_lo
	v_and_b32_e32 v16, 0xff, v31
	s_delay_alu instid0(VALU_DEP_1)
	v_cmpx_ne_u16_e32 0, v16
	s_cbranch_execz .LBB362_706
; %bb.699:                              ;   in Loop: Header=BB362_10 Depth=1
	v_bfrev_b32_e32 v30, 1
	s_mov_b32 s16, exec_lo
	v_cmpx_ne_u16_e32 0x80, v16
	s_cbranch_execz .LBB362_705
; %bb.700:                              ;   in Loop: Header=BB362_10 Depth=1
	v_bfe_u32 v98, v97, 16, 7
	v_mov_b32_e32 v30, 0x7f800001
	s_mov_b32 s17, exec_lo
	s_delay_alu instid0(VALU_DEP_2)
	v_cmpx_ne_u32_e32 0x7f, v98
	s_cbranch_execz .LBB362_704
; %bb.701:                              ;   in Loop: Header=BB362_10 Depth=1
	v_dual_lshrrev_b32 v30, 3, v98 :: v_dual_bitop2_b32 v16, 7, v31 bitop3:0x40
	s_mov_b32 s18, exec_lo
	v_cmpx_gt_u32_e32 8, v98
; %bb.702:                              ;   in Loop: Header=BB362_10 Depth=1
	s_delay_alu instid0(VALU_DEP_2) | instskip(NEXT) | instid1(VALU_DEP_1)
	v_clz_i32_u32_e32 v30, v16
	v_min_u32_e32 v30, 32, v30
	s_delay_alu instid0(VALU_DEP_1) | instskip(SKIP_1) | instid1(VALU_DEP_2)
	v_subrev_nc_u32_e32 v98, 28, v30
	v_sub_nc_u32_e32 v30, 29, v30
	v_lshlrev_b64_e32 v[98:99], v98, v[16:17]
	s_delay_alu instid0(VALU_DEP_1)
	v_and_b32_e32 v16, 7, v98
; %bb.703:                              ;   in Loop: Header=BB362_10 Depth=1
	s_or_b32 exec_lo, exec_lo, s18
	s_delay_alu instid0(VALU_DEP_1) | instskip(SKIP_1) | instid1(VALU_DEP_2)
	v_dual_lshlrev_b32 v31, 24, v31 :: v_dual_lshlrev_b32 v16, 20, v16
	v_lshl_add_u32 v30, v30, 23, 0x3c000000
	v_and_b32_e32 v31, 0x80000000, v31
	s_delay_alu instid0(VALU_DEP_1)
	v_or3_b32 v30, v16, v31, v30
.LBB362_704:                            ;   in Loop: Header=BB362_10 Depth=1
	s_or_b32 exec_lo, exec_lo, s17
.LBB362_705:                            ;   in Loop: Header=BB362_10 Depth=1
	s_delay_alu instid0(SALU_CYCLE_1)
	s_or_b32 exec_lo, exec_lo, s16
.LBB362_706:                            ;   in Loop: Header=BB362_10 Depth=1
	s_delay_alu instid0(SALU_CYCLE_1)
	s_or_b32 exec_lo, exec_lo, s15
	v_cmp_lt_u64_e64 s1, s[2:3], v[96:97]
	v_dual_mov_b32 v96, 0 :: v_dual_mov_b32 v31, 0
	s_and_saveexec_b32 s15, s1
	s_cbranch_execz .LBB362_714
; %bb.707:                              ;   in Loop: Header=BB362_10 Depth=1
	v_lshrrev_b32_e32 v98, 24, v97
	v_bfrev_b32_e32 v31, 1
	s_mov_b32 s16, exec_lo
	s_delay_alu instid0(VALU_DEP_2)
	v_cmpx_ne_u32_e32 0x80, v98
	s_cbranch_execz .LBB362_713
; %bb.708:                              ;   in Loop: Header=BB362_10 Depth=1
	v_bfe_u32 v97, v97, 24, 7
	v_mov_b32_e32 v31, 0x7f800001
	s_mov_b32 s17, exec_lo
	s_delay_alu instid0(VALU_DEP_2)
	v_cmpx_ne_u32_e32 0x7f, v97
	s_cbranch_execz .LBB362_712
; %bb.709:                              ;   in Loop: Header=BB362_10 Depth=1
	v_dual_lshrrev_b32 v31, 3, v97 :: v_dual_bitop2_b32 v16, 7, v98 bitop3:0x40
	s_mov_b32 s18, exec_lo
	v_cmpx_gt_u32_e32 8, v97
; %bb.710:                              ;   in Loop: Header=BB362_10 Depth=1
	s_delay_alu instid0(VALU_DEP_2) | instskip(NEXT) | instid1(VALU_DEP_1)
	v_clz_i32_u32_e32 v31, v16
	v_min_u32_e32 v31, 32, v31
	s_delay_alu instid0(VALU_DEP_1) | instskip(NEXT) | instid1(VALU_DEP_1)
	v_subrev_nc_u32_e32 v97, 28, v31
	v_lshlrev_b64_e32 v[100:101], v97, v[16:17]
	s_delay_alu instid0(VALU_DEP_1)
	v_dual_sub_nc_u32 v31, 29, v31 :: v_dual_bitop2_b32 v16, 7, v100 bitop3:0x40
; %bb.711:                              ;   in Loop: Header=BB362_10 Depth=1
	s_or_b32 exec_lo, exec_lo, s18
	s_delay_alu instid0(VALU_DEP_1) | instskip(NEXT) | instid1(VALU_DEP_2)
	v_dual_lshlrev_b32 v97, 24, v98 :: v_dual_lshlrev_b32 v16, 20, v16
	v_lshl_add_u32 v31, v31, 23, 0x3c000000
	s_delay_alu instid0(VALU_DEP_2) | instskip(NEXT) | instid1(VALU_DEP_1)
	v_and_b32_e32 v97, 0x80000000, v97
	v_or3_b32 v31, v16, v97, v31
.LBB362_712:                            ;   in Loop: Header=BB362_10 Depth=1
	s_or_b32 exec_lo, exec_lo, s17
.LBB362_713:                            ;   in Loop: Header=BB362_10 Depth=1
	s_delay_alu instid0(SALU_CYCLE_1)
	s_or_b32 exec_lo, exec_lo, s16
.LBB362_714:                            ;   in Loop: Header=BB362_10 Depth=1
	s_delay_alu instid0(SALU_CYCLE_1)
	s_or_b32 exec_lo, exec_lo, s15
	flat_load_b64 v[98:99], v[120:121] offset:2568
	s_mov_b32 s15, exec_lo
	s_wait_loadcnt_dscnt 0x0
	v_and_b32_e32 v16, 0xff, v98
	s_wait_xcnt 0x0
	s_delay_alu instid0(VALU_DEP_1)
	v_cmpx_ne_u16_e32 0, v16
	s_cbranch_execz .LBB362_722
; %bb.715:                              ;   in Loop: Header=BB362_10 Depth=1
	v_bfrev_b32_e32 v96, 1
	s_mov_b32 s16, exec_lo
	v_cmpx_ne_u16_e32 0x80, v16
	s_cbranch_execz .LBB362_721
; %bb.716:                              ;   in Loop: Header=BB362_10 Depth=1
	v_and_b32_e32 v97, 0x7f, v98
	v_mov_b32_e32 v96, 0x7f800001
	s_mov_b32 s17, exec_lo
	s_delay_alu instid0(VALU_DEP_2)
	v_cmpx_ne_u32_e32 0x7f, v97
	s_cbranch_execz .LBB362_720
; %bb.717:                              ;   in Loop: Header=BB362_10 Depth=1
	v_lshrrev_b32_e32 v16, 3, v97
	v_cmp_gt_u32_e64 s1, 8, v97
	v_mov_b64_e32 v[96:97], v[98:99]
	s_and_saveexec_b32 s18, s1
; %bb.718:                              ;   in Loop: Header=BB362_10 Depth=1
	v_and_b32_e32 v16, 7, v98
	s_delay_alu instid0(VALU_DEP_1) | instskip(NEXT) | instid1(VALU_DEP_1)
	v_clz_i32_u32_e32 v16, v16
	v_min_u32_e32 v16, 32, v16
	s_delay_alu instid0(VALU_DEP_1) | instskip(SKIP_1) | instid1(VALU_DEP_2)
	v_subrev_nc_u32_e32 v96, 28, v16
	v_sub_nc_u32_e32 v16, 29, v16
	v_lshlrev_b64_e32 v[96:97], v96, v[98:99]
; %bb.719:                              ;   in Loop: Header=BB362_10 Depth=1
	s_or_b32 exec_lo, exec_lo, s18
	s_delay_alu instid0(VALU_DEP_1) | instskip(NEXT) | instid1(VALU_DEP_3)
	v_dual_lshlrev_b32 v96, 20, v96 :: v_dual_lshlrev_b32 v97, 24, v98
	v_lshl_add_u32 v16, v16, 23, 0x3c000000
	s_delay_alu instid0(VALU_DEP_2) | instskip(NEXT) | instid1(VALU_DEP_3)
	v_and_b32_e32 v96, 0x700000, v96
	v_and_b32_e32 v97, 0x80000000, v97
	s_delay_alu instid0(VALU_DEP_1)
	v_or3_b32 v96, v96, v97, v16
.LBB362_720:                            ;   in Loop: Header=BB362_10 Depth=1
	s_or_b32 exec_lo, exec_lo, s17
.LBB362_721:                            ;   in Loop: Header=BB362_10 Depth=1
	s_delay_alu instid0(SALU_CYCLE_1)
	s_or_b32 exec_lo, exec_lo, s16
.LBB362_722:                            ;   in Loop: Header=BB362_10 Depth=1
	s_delay_alu instid0(SALU_CYCLE_1) | instskip(SKIP_3) | instid1(VALU_DEP_2)
	s_or_b32 exec_lo, exec_lo, s15
	v_lshrrev_b16 v16, 8, v98
	v_dual_mov_b32 v120, 0 :: v_dual_mov_b32 v97, 0
	s_mov_b32 s15, exec_lo
	v_cmpx_ne_u16_e32 0, v16
	s_cbranch_execz .LBB362_730
; %bb.723:                              ;   in Loop: Header=BB362_10 Depth=1
	v_bfrev_b32_e32 v97, 1
	s_mov_b32 s16, exec_lo
	v_cmpx_ne_u16_e32 0x80, v16
	s_cbranch_execz .LBB362_729
; %bb.724:                              ;   in Loop: Header=BB362_10 Depth=1
	v_and_b32_e32 v16, 0xffff, v16
	v_mov_b32_e32 v97, 0x7f800001
	s_mov_b32 s17, exec_lo
	s_delay_alu instid0(VALU_DEP_2) | instskip(NEXT) | instid1(VALU_DEP_1)
	v_and_b32_e32 v100, 0x7f, v16
	v_cmpx_ne_u32_e32 0x7f, v100
	s_cbranch_execz .LBB362_728
; %bb.725:                              ;   in Loop: Header=BB362_10 Depth=1
	v_and_b32_e32 v16, 7, v16
	v_lshrrev_b32_e32 v97, 3, v100
	s_mov_b32 s18, exec_lo
	v_cmpx_gt_u32_e32 8, v100
; %bb.726:                              ;   in Loop: Header=BB362_10 Depth=1
	s_delay_alu instid0(VALU_DEP_3) | instskip(NEXT) | instid1(VALU_DEP_1)
	v_clz_i32_u32_e32 v97, v16
	v_min_u32_e32 v97, 32, v97
	s_delay_alu instid0(VALU_DEP_1) | instskip(NEXT) | instid1(VALU_DEP_1)
	v_subrev_nc_u32_e32 v100, 28, v97
	v_lshlrev_b64_e32 v[100:101], v100, v[16:17]
	s_delay_alu instid0(VALU_DEP_1)
	v_dual_sub_nc_u32 v97, 29, v97 :: v_dual_bitop2_b32 v16, 7, v100 bitop3:0x40
; %bb.727:                              ;   in Loop: Header=BB362_10 Depth=1
	s_or_b32 exec_lo, exec_lo, s18
	s_delay_alu instid0(VALU_DEP_1) | instskip(NEXT) | instid1(VALU_DEP_2)
	v_dual_lshlrev_b32 v100, 16, v98 :: v_dual_lshlrev_b32 v16, 20, v16
	v_lshl_add_u32 v97, v97, 23, 0x3c000000
	s_delay_alu instid0(VALU_DEP_2) | instskip(NEXT) | instid1(VALU_DEP_1)
	v_and_b32_e32 v100, 0x80000000, v100
	v_or3_b32 v97, v16, v100, v97
.LBB362_728:                            ;   in Loop: Header=BB362_10 Depth=1
	s_or_b32 exec_lo, exec_lo, s17
.LBB362_729:                            ;   in Loop: Header=BB362_10 Depth=1
	s_delay_alu instid0(SALU_CYCLE_1)
	s_or_b32 exec_lo, exec_lo, s16
.LBB362_730:                            ;   in Loop: Header=BB362_10 Depth=1
	s_delay_alu instid0(SALU_CYCLE_1) | instskip(SKIP_2) | instid1(VALU_DEP_1)
	s_or_b32 exec_lo, exec_lo, s15
	v_lshrrev_b32_e32 v100, 16, v98
	s_mov_b32 s15, exec_lo
	v_and_b32_e32 v16, 0xff, v100
	s_delay_alu instid0(VALU_DEP_1)
	v_cmpx_ne_u16_e32 0, v16
	s_cbranch_execz .LBB362_738
; %bb.731:                              ;   in Loop: Header=BB362_10 Depth=1
	v_bfrev_b32_e32 v120, 1
	s_mov_b32 s16, exec_lo
	v_cmpx_ne_u16_e32 0x80, v16
	s_cbranch_execz .LBB362_737
; %bb.732:                              ;   in Loop: Header=BB362_10 Depth=1
	v_bfe_u32 v102, v98, 16, 7
	v_mov_b32_e32 v120, 0x7f800001
	s_mov_b32 s17, exec_lo
	s_delay_alu instid0(VALU_DEP_2)
	v_cmpx_ne_u32_e32 0x7f, v102
	s_cbranch_execz .LBB362_736
; %bb.733:                              ;   in Loop: Header=BB362_10 Depth=1
	v_dual_lshrrev_b32 v101, 3, v102 :: v_dual_bitop2_b32 v16, 7, v100 bitop3:0x40
	s_mov_b32 s18, exec_lo
	v_cmpx_gt_u32_e32 8, v102
; %bb.734:                              ;   in Loop: Header=BB362_10 Depth=1
	s_delay_alu instid0(VALU_DEP_2) | instskip(NEXT) | instid1(VALU_DEP_1)
	v_clz_i32_u32_e32 v101, v16
	v_min_u32_e32 v101, 32, v101
	s_delay_alu instid0(VALU_DEP_1) | instskip(NEXT) | instid1(VALU_DEP_1)
	v_subrev_nc_u32_e32 v102, 28, v101
	v_lshlrev_b64_e32 v[102:103], v102, v[16:17]
	s_delay_alu instid0(VALU_DEP_1)
	v_dual_sub_nc_u32 v101, 29, v101 :: v_dual_bitop2_b32 v16, 7, v102 bitop3:0x40
; %bb.735:                              ;   in Loop: Header=BB362_10 Depth=1
	s_or_b32 exec_lo, exec_lo, s18
	v_lshlrev_b32_e32 v100, 24, v100
	s_delay_alu instid0(VALU_DEP_2) | instskip(NEXT) | instid1(VALU_DEP_3)
	v_lshlrev_b32_e32 v16, 20, v16
	v_lshl_add_u32 v101, v101, 23, 0x3c000000
	s_delay_alu instid0(VALU_DEP_3) | instskip(NEXT) | instid1(VALU_DEP_1)
	v_and_b32_e32 v100, 0x80000000, v100
	v_or3_b32 v120, v16, v100, v101
.LBB362_736:                            ;   in Loop: Header=BB362_10 Depth=1
	s_or_b32 exec_lo, exec_lo, s17
.LBB362_737:                            ;   in Loop: Header=BB362_10 Depth=1
	s_delay_alu instid0(SALU_CYCLE_1)
	s_or_b32 exec_lo, exec_lo, s16
.LBB362_738:                            ;   in Loop: Header=BB362_10 Depth=1
	s_delay_alu instid0(SALU_CYCLE_1)
	s_or_b32 exec_lo, exec_lo, s15
	v_dual_mov_b32 v100, 0 :: v_dual_mov_b32 v121, 0
	s_mov_b32 s15, exec_lo
	v_cmpx_lt_u32_e32 0xffffff, v98
	s_cbranch_execz .LBB362_746
; %bb.739:                              ;   in Loop: Header=BB362_10 Depth=1
	v_lshrrev_b32_e32 v101, 24, v98
	v_bfrev_b32_e32 v121, 1
	s_mov_b32 s16, exec_lo
	s_delay_alu instid0(VALU_DEP_2)
	v_cmpx_ne_u32_e32 0x80, v101
	s_cbranch_execz .LBB362_745
; %bb.740:                              ;   in Loop: Header=BB362_10 Depth=1
	v_bfe_u32 v103, v98, 24, 7
	v_mov_b32_e32 v121, 0x7f800001
	s_mov_b32 s17, exec_lo
	s_delay_alu instid0(VALU_DEP_2)
	v_cmpx_ne_u32_e32 0x7f, v103
	s_cbranch_execz .LBB362_744
; %bb.741:                              ;   in Loop: Header=BB362_10 Depth=1
	v_dual_lshrrev_b32 v102, 3, v103 :: v_dual_bitop2_b32 v16, 7, v101 bitop3:0x40
	s_mov_b32 s18, exec_lo
	v_cmpx_gt_u32_e32 8, v103
; %bb.742:                              ;   in Loop: Header=BB362_10 Depth=1
	s_delay_alu instid0(VALU_DEP_2) | instskip(NEXT) | instid1(VALU_DEP_1)
	v_clz_i32_u32_e32 v102, v16
	v_min_u32_e32 v102, 32, v102
	s_delay_alu instid0(VALU_DEP_1) | instskip(NEXT) | instid1(VALU_DEP_1)
	v_subrev_nc_u32_e32 v103, 28, v102
	v_lshlrev_b64_e32 v[112:113], v103, v[16:17]
	s_delay_alu instid0(VALU_DEP_1)
	v_dual_sub_nc_u32 v102, 29, v102 :: v_dual_bitop2_b32 v16, 7, v112 bitop3:0x40
; %bb.743:                              ;   in Loop: Header=BB362_10 Depth=1
	s_or_b32 exec_lo, exec_lo, s18
	s_delay_alu instid0(VALU_DEP_1) | instskip(NEXT) | instid1(VALU_DEP_2)
	v_dual_lshlrev_b32 v101, 24, v101 :: v_dual_lshlrev_b32 v16, 20, v16
	v_lshl_add_u32 v102, v102, 23, 0x3c000000
	s_delay_alu instid0(VALU_DEP_2) | instskip(NEXT) | instid1(VALU_DEP_1)
	v_and_b32_e32 v101, 0x80000000, v101
	v_or3_b32 v121, v16, v101, v102
.LBB362_744:                            ;   in Loop: Header=BB362_10 Depth=1
	s_or_b32 exec_lo, exec_lo, s17
.LBB362_745:                            ;   in Loop: Header=BB362_10 Depth=1
	s_delay_alu instid0(SALU_CYCLE_1)
	s_or_b32 exec_lo, exec_lo, s16
.LBB362_746:                            ;   in Loop: Header=BB362_10 Depth=1
	s_delay_alu instid0(SALU_CYCLE_1) | instskip(SKIP_3) | instid1(VALU_DEP_2)
	s_or_b32 exec_lo, exec_lo, s15
	v_and_b32_e32 v101, 0xff, v99
	v_mov_b32_e32 v16, v99
	s_mov_b32 s15, exec_lo
	v_cmpx_ne_u16_e32 0, v101
	s_cbranch_execz .LBB362_754
; %bb.747:                              ;   in Loop: Header=BB362_10 Depth=1
	v_bfrev_b32_e32 v100, 1
	s_mov_b32 s16, exec_lo
	v_cmpx_ne_u16_e32 0x80, v101
	s_cbranch_execz .LBB362_753
; %bb.748:                              ;   in Loop: Header=BB362_10 Depth=1
	v_and_b32_e32 v101, 0x7f, v99
	v_mov_b32_e32 v100, 0x7f800001
	s_mov_b32 s17, exec_lo
	s_delay_alu instid0(VALU_DEP_2)
	v_cmpx_ne_u32_e32 0x7f, v101
	s_cbranch_execz .LBB362_752
; %bb.749:                              ;   in Loop: Header=BB362_10 Depth=1
	v_lshrrev_b32_e32 v102, 3, v101
	v_cmp_gt_u32_e64 s1, 8, v101
	v_mov_b64_e32 v[100:101], v[16:17]
	s_and_saveexec_b32 s18, s1
; %bb.750:                              ;   in Loop: Header=BB362_10 Depth=1
	v_and_b32_e32 v100, 7, v99
	s_delay_alu instid0(VALU_DEP_1) | instskip(NEXT) | instid1(VALU_DEP_1)
	v_clz_i32_u32_e32 v100, v100
	v_min_u32_e32 v102, 32, v100
	s_delay_alu instid0(VALU_DEP_1) | instskip(SKIP_1) | instid1(VALU_DEP_2)
	v_subrev_nc_u32_e32 v100, 28, v102
	v_sub_nc_u32_e32 v102, 29, v102
	v_lshlrev_b64_e32 v[100:101], v100, v[16:17]
; %bb.751:                              ;   in Loop: Header=BB362_10 Depth=1
	s_or_b32 exec_lo, exec_lo, s18
	s_delay_alu instid0(VALU_DEP_1) | instskip(SKIP_2) | instid1(VALU_DEP_3)
	v_lshlrev_b32_e32 v100, 20, v100
	v_lshlrev_b32_e32 v101, 24, v16
	v_lshl_add_u32 v102, v102, 23, 0x3c000000
	v_and_b32_e32 v100, 0x700000, v100
	s_delay_alu instid0(VALU_DEP_3) | instskip(NEXT) | instid1(VALU_DEP_1)
	v_and_b32_e32 v101, 0x80000000, v101
	v_or3_b32 v100, v100, v101, v102
.LBB362_752:                            ;   in Loop: Header=BB362_10 Depth=1
	s_or_b32 exec_lo, exec_lo, s17
.LBB362_753:                            ;   in Loop: Header=BB362_10 Depth=1
	s_delay_alu instid0(SALU_CYCLE_1)
	s_or_b32 exec_lo, exec_lo, s16
.LBB362_754:                            ;   in Loop: Header=BB362_10 Depth=1
	s_delay_alu instid0(SALU_CYCLE_1) | instskip(SKIP_3) | instid1(VALU_DEP_2)
	s_or_b32 exec_lo, exec_lo, s15
	v_lshrrev_b16 v103, 8, v16
	v_dual_mov_b32 v102, 0 :: v_dual_mov_b32 v101, 0
	s_mov_b32 s15, exec_lo
	v_cmpx_ne_u16_e32 0, v103
	s_cbranch_execz .LBB362_762
; %bb.755:                              ;   in Loop: Header=BB362_10 Depth=1
	v_bfrev_b32_e32 v101, 1
	s_mov_b32 s16, exec_lo
	v_cmpx_ne_u16_e32 0x80, v103
	s_cbranch_execz .LBB362_761
; %bb.756:                              ;   in Loop: Header=BB362_10 Depth=1
	v_and_b32_e32 v112, 0xffff, v103
	v_mov_b32_e32 v101, 0x7f800001
	s_mov_b32 s17, exec_lo
	s_delay_alu instid0(VALU_DEP_2) | instskip(NEXT) | instid1(VALU_DEP_1)
	v_and_b32_e32 v103, 0x7f, v112
	v_cmpx_ne_u32_e32 0x7f, v103
	s_cbranch_execz .LBB362_760
; %bb.757:                              ;   in Loop: Header=BB362_10 Depth=1
	v_dual_mov_b32 v113, v17 :: v_dual_bitop2_b32 v112, 7, v112 bitop3:0x40
	v_lshrrev_b32_e32 v101, 3, v103
	s_mov_b32 s18, exec_lo
	v_cmpx_gt_u32_e32 8, v103
; %bb.758:                              ;   in Loop: Header=BB362_10 Depth=1
	s_delay_alu instid0(VALU_DEP_3) | instskip(NEXT) | instid1(VALU_DEP_1)
	v_clz_i32_u32_e32 v101, v112
	v_min_u32_e32 v101, 32, v101
	s_delay_alu instid0(VALU_DEP_1) | instskip(NEXT) | instid1(VALU_DEP_1)
	v_subrev_nc_u32_e32 v103, 28, v101
	v_lshlrev_b64_e32 v[112:113], v103, v[112:113]
	s_delay_alu instid0(VALU_DEP_1)
	v_dual_sub_nc_u32 v101, 29, v101 :: v_dual_bitop2_b32 v112, 7, v112 bitop3:0x40
; %bb.759:                              ;   in Loop: Header=BB362_10 Depth=1
	s_or_b32 exec_lo, exec_lo, s18
	v_lshlrev_b32_e32 v16, 16, v16
	s_delay_alu instid0(VALU_DEP_2) | instskip(NEXT) | instid1(VALU_DEP_3)
	v_lshlrev_b32_e32 v103, 20, v112
	v_lshl_add_u32 v101, v101, 23, 0x3c000000
	s_delay_alu instid0(VALU_DEP_3) | instskip(NEXT) | instid1(VALU_DEP_1)
	v_and_b32_e32 v16, 0x80000000, v16
	v_or3_b32 v101, v103, v16, v101
.LBB362_760:                            ;   in Loop: Header=BB362_10 Depth=1
	s_or_b32 exec_lo, exec_lo, s17
.LBB362_761:                            ;   in Loop: Header=BB362_10 Depth=1
	s_delay_alu instid0(SALU_CYCLE_1)
	s_or_b32 exec_lo, exec_lo, s16
.LBB362_762:                            ;   in Loop: Header=BB362_10 Depth=1
	s_delay_alu instid0(SALU_CYCLE_1) | instskip(SKIP_2) | instid1(VALU_DEP_1)
	s_or_b32 exec_lo, exec_lo, s15
	v_lshrrev_b32_e32 v103, 16, v99
	s_mov_b32 s15, exec_lo
	v_and_b32_e32 v16, 0xff, v103
	s_delay_alu instid0(VALU_DEP_1)
	v_cmpx_ne_u16_e32 0, v16
	s_cbranch_execz .LBB362_770
; %bb.763:                              ;   in Loop: Header=BB362_10 Depth=1
	v_bfrev_b32_e32 v102, 1
	s_mov_b32 s16, exec_lo
	v_cmpx_ne_u16_e32 0x80, v16
	s_cbranch_execz .LBB362_769
; %bb.764:                              ;   in Loop: Header=BB362_10 Depth=1
	v_bfe_u32 v112, v99, 16, 7
	v_mov_b32_e32 v102, 0x7f800001
	s_mov_b32 s17, exec_lo
	s_delay_alu instid0(VALU_DEP_2)
	v_cmpx_ne_u32_e32 0x7f, v112
	s_cbranch_execz .LBB362_768
; %bb.765:                              ;   in Loop: Header=BB362_10 Depth=1
	v_dual_lshrrev_b32 v102, 3, v112 :: v_dual_bitop2_b32 v16, 7, v103 bitop3:0x40
	s_mov_b32 s18, exec_lo
	v_cmpx_gt_u32_e32 8, v112
; %bb.766:                              ;   in Loop: Header=BB362_10 Depth=1
	s_delay_alu instid0(VALU_DEP_2) | instskip(NEXT) | instid1(VALU_DEP_1)
	v_clz_i32_u32_e32 v102, v16
	v_min_u32_e32 v102, 32, v102
	s_delay_alu instid0(VALU_DEP_1) | instskip(NEXT) | instid1(VALU_DEP_1)
	v_subrev_nc_u32_e32 v112, 28, v102
	v_lshlrev_b64_e32 v[112:113], v112, v[16:17]
	s_delay_alu instid0(VALU_DEP_1)
	v_dual_sub_nc_u32 v102, 29, v102 :: v_dual_bitop2_b32 v16, 7, v112 bitop3:0x40
; %bb.767:                              ;   in Loop: Header=BB362_10 Depth=1
	s_or_b32 exec_lo, exec_lo, s18
	s_delay_alu instid0(VALU_DEP_1) | instskip(NEXT) | instid1(VALU_DEP_2)
	v_dual_lshlrev_b32 v103, 24, v103 :: v_dual_lshlrev_b32 v16, 20, v16
	v_lshl_add_u32 v102, v102, 23, 0x3c000000
	s_delay_alu instid0(VALU_DEP_2) | instskip(NEXT) | instid1(VALU_DEP_1)
	v_and_b32_e32 v103, 0x80000000, v103
	v_or3_b32 v102, v16, v103, v102
.LBB362_768:                            ;   in Loop: Header=BB362_10 Depth=1
	s_or_b32 exec_lo, exec_lo, s17
.LBB362_769:                            ;   in Loop: Header=BB362_10 Depth=1
	s_delay_alu instid0(SALU_CYCLE_1)
	s_or_b32 exec_lo, exec_lo, s16
.LBB362_770:                            ;   in Loop: Header=BB362_10 Depth=1
	s_delay_alu instid0(SALU_CYCLE_1)
	s_or_b32 exec_lo, exec_lo, s15
	v_mov_b32_e32 v103, 0
	s_mov_b32 s15, exec_lo
	v_cmpx_lt_u64_e64 s[2:3], v[98:99]
	s_cbranch_execz .LBB362_9
; %bb.771:                              ;   in Loop: Header=BB362_10 Depth=1
	v_lshrrev_b32_e32 v98, 24, v99
	v_bfrev_b32_e32 v103, 1
	s_mov_b32 s16, exec_lo
	s_delay_alu instid0(VALU_DEP_2)
	v_cmpx_ne_u32_e32 0x80, v98
	s_cbranch_execz .LBB362_8
; %bb.772:                              ;   in Loop: Header=BB362_10 Depth=1
	v_bfe_u32 v112, v99, 24, 7
	v_mov_b32_e32 v103, 0x7f800001
	s_mov_b32 s17, exec_lo
	s_delay_alu instid0(VALU_DEP_2)
	v_cmpx_ne_u32_e32 0x7f, v112
	s_cbranch_execz .LBB362_7
; %bb.773:                              ;   in Loop: Header=BB362_10 Depth=1
	v_dual_lshrrev_b32 v99, 3, v112 :: v_dual_bitop2_b32 v16, 7, v98 bitop3:0x40
	s_mov_b32 s18, exec_lo
	v_cmpx_gt_u32_e32 8, v112
	s_cbranch_execz .LBB362_6
; %bb.774:                              ;   in Loop: Header=BB362_10 Depth=1
	s_delay_alu instid0(VALU_DEP_2) | instskip(NEXT) | instid1(VALU_DEP_1)
	v_clz_i32_u32_e32 v99, v16
	v_min_u32_e32 v99, 32, v99
	s_delay_alu instid0(VALU_DEP_1) | instskip(NEXT) | instid1(VALU_DEP_1)
	v_subrev_nc_u32_e32 v103, 28, v99
	v_lshlrev_b64_e32 v[112:113], v103, v[16:17]
	s_delay_alu instid0(VALU_DEP_1)
	v_dual_sub_nc_u32 v99, 29, v99 :: v_dual_bitop2_b32 v16, 7, v112 bitop3:0x40
	s_branch .LBB362_6
.LBB362_775:
	s_or_b32 exec_lo, exec_lo, s7
	s_clause 0x7
	scratch_load_b32 v24, off, s32 offset:576
	scratch_load_b64 v[10:11], off, s32 offset:592
	scratch_load_b64 v[22:23], off, s32 offset:600
	;; [unrolled: 1-line block ×5, first 2 shown]
	scratch_load_b32 v34, off, s32 offset:632
	scratch_load_b32 v18, off, s32 offset:636
.LBB362_776:
	s_wait_xcnt 0x0
	s_or_b32 exec_lo, exec_lo, s14
	v_mbcnt_lo_u32_b32 v2, -1, 0
	s_delay_alu instid0(VALU_DEP_1) | instskip(SKIP_1) | instid1(VALU_DEP_2)
	v_dual_max_num_f32 v4, v9, v9 :: v_dual_bitop2_b32 v0, 16, v2 bitop3:0x14
	v_xor_b32_e32 v3, 8, v2
	v_cmp_gt_i32_e32 vcc_lo, 32, v0
	v_cndmask_b32_e32 v0, v2, v0, vcc_lo
	s_delay_alu instid0(VALU_DEP_3) | instskip(NEXT) | instid1(VALU_DEP_2)
	v_cmp_gt_i32_e32 vcc_lo, 32, v3
	v_dual_cndmask_b32 v3, v2, v3 :: v_dual_lshlrev_b32 v0, 2, v0
	ds_bpermute_b32 v1, v0, v9
	s_wait_dscnt 0x0
	v_dual_max_num_f32 v5, v1, v1 :: v_dual_lshlrev_b32 v1, 2, v3
	s_delay_alu instid0(VALU_DEP_1) | instskip(SKIP_4) | instid1(VALU_DEP_1)
	v_dual_max_num_f32 v4, v4, v5 :: v_dual_bitop2_b32 v5, 4, v2 bitop3:0x14
	ds_bpermute_b32 v3, v1, v4
	v_cmp_gt_i32_e32 vcc_lo, 32, v5
	s_wait_dscnt 0x0
	v_dual_cndmask_b32 v5, v2, v5 :: v_dual_max_num_f32 v6, v3, v3
	v_dual_max_num_f32 v4, v4, v6 :: v_dual_lshlrev_b32 v3, 2, v5
	ds_bpermute_b32 v5, v3, v4
	s_wait_dscnt 0x0
	v_dual_max_num_f32 v5, v5, v5 :: v_dual_bitop2_b32 v6, 2, v2 bitop3:0x14
	s_delay_alu instid0(VALU_DEP_1) | instskip(NEXT) | instid1(VALU_DEP_2)
	v_cmp_gt_i32_e32 vcc_lo, 32, v6
	v_dual_max_num_f32 v4, v4, v5 :: v_dual_cndmask_b32 v6, v2, v6, vcc_lo
	s_delay_alu instid0(VALU_DEP_1) | instskip(SKIP_3) | instid1(VALU_DEP_1)
	v_lshlrev_b32_e32 v28, 2, v6
	ds_bpermute_b32 v5, v28, v4
	s_wait_dscnt 0x0
	v_dual_max_num_f32 v5, v5, v5 :: v_dual_bitop2_b32 v6, 1, v2 bitop3:0x14
	v_cmp_gt_i32_e32 vcc_lo, 32, v6
	s_delay_alu instid0(VALU_DEP_2)
	v_dual_cndmask_b32 v6, v2, v6, vcc_lo :: v_dual_max_num_f32 v2, v4, v5
	scratch_load_b32 v4, off, s32 offset:572 ; 4-byte Folded Reload
	s_wait_loadcnt 0x0
	v_cmp_eq_u32_e32 vcc_lo, 0, v4
	scratch_load_b32 v4, off, s32 offset:580 ; 4-byte Folded Reload
	s_wait_loadcnt 0x0
	v_dual_lshlrev_b32 v4, 2, v4 :: v_dual_lshlrev_b32 v30, 2, v6
	ds_bpermute_b32 v5, v30, v2
	s_wait_xcnt 0x0
	s_and_saveexec_b32 s1, vcc_lo
	s_cbranch_execz .LBB362_778
; %bb.777:
	s_wait_dscnt 0x0
	v_dual_max_num_f32 v5, v5, v5 :: v_dual_max_num_f32 v2, v2, v2
	s_delay_alu instid0(VALU_DEP_1)
	v_max_num_f32_e32 v2, v2, v5
	ds_store_b32 v4, v2 offset:192
.LBB362_778:
	s_or_b32 exec_lo, exec_lo, s1
	scratch_load_b32 v2, off, s32 offset:572 ; 4-byte Folded Reload
	s_wait_storecnt 0x0
	s_wait_loadcnt_dscnt 0x0
	s_barrier_signal -1
	s_barrier_wait -1
	v_cmp_gt_u32_e64 s1, 4, v2
	v_mov_b32_e32 v2, 0xff7fffff
	s_and_saveexec_b32 s2, s1
; %bb.779:
	ds_load_b32 v2, v18 offset:192
; %bb.780:
	s_or_b32 exec_lo, exec_lo, s2
	s_wait_dscnt 0x0
	ds_bpermute_b32 v5, v28, v2
	s_wait_dscnt 0x0
	v_dual_max_num_f32 v2, v2, v2 :: v_dual_max_num_f32 v5, v5, v5
	s_delay_alu instid0(VALU_DEP_1) | instskip(SKIP_3) | instid1(VALU_DEP_1)
	v_max_num_f32_e32 v2, v2, v5
	ds_bpermute_b32 v5, v30, v2
	s_wait_dscnt 0x0
	v_max_num_f32_e32 v5, v5, v5
	v_dual_max_num_f32 v2, v2, v5 :: v_dual_mov_b32 v5, 0
	ds_bpermute_b32 v6, v5, v2
	scratch_load_b32 v2, off, s32 offset:192 ; 4-byte Folded Reload
	s_wait_loadcnt 0x0
	v_lshlrev_b32_e32 v2, 5, v2
	s_delay_alu instid0(VALU_DEP_1) | instskip(NEXT) | instid1(VALU_DEP_1)
	v_min_i32_e32 v2, v2, v118
	v_cmp_lt_i32_e64 s2, v24, v2
	s_and_saveexec_b32 s14, s2
	s_cbranch_execz .LBB362_784
; %bb.781:
	s_ashr_i32 s7, s6, 31
	v_dual_mov_b32 v5, 0 :: v_dual_mov_b32 v8, v24
	s_lshl_b64 s[16:17], s[6:7], 2
	s_mov_b32 s7, 0
	s_add_nc_u64 s[16:17], s[8:9], s[16:17]
	s_load_b32 s3, s[16:17], 0x0
	s_wait_kmcnt 0x0
	v_lshl_add_u32 v7, v24, 2, s3
.LBB362_782:                            ; =>This Inner Loop Header: Depth=1
	ds_load_b32 v9, v7
	v_add_nc_u32_e32 v8, 0x80, v8
	s_delay_alu instid0(VALU_DEP_1) | instskip(SKIP_3) | instid1(VALU_DEP_1)
	v_cmp_ge_i32_e64 s3, v8, v2
	s_or_b32 s7, s3, s7
	s_wait_dscnt 0x0
	v_sub_f32_e32 v9, v9, v6
	v_mul_f32_e32 v9, 0x3fb8aa3b, v9
	s_delay_alu instid0(VALU_DEP_1)
	v_exp_f32_e32 v9, v9
	ds_store_b32 v7, v9
	v_nop
	v_add_f32_e32 v5, v5, v9
	v_add_nc_u32_e32 v7, 0x200, v7
	s_and_not1_b32 exec_lo, exec_lo, s7
	s_cbranch_execnz .LBB362_782
; %bb.783:
	s_or_b32 exec_lo, exec_lo, s7
.LBB362_784:
	s_delay_alu instid0(SALU_CYCLE_1)
	s_or_b32 exec_lo, exec_lo, s14
	ds_bpermute_b32 v0, v0, v5
	s_wait_dscnt 0x0
	v_add_f32_e32 v0, v5, v0
	ds_bpermute_b32 v1, v1, v0
	s_wait_dscnt 0x0
	v_add_f32_e32 v0, v0, v1
	;; [unrolled: 3-line block ×5, first 2 shown]
	s_and_saveexec_b32 s3, vcc_lo
; %bb.785:
	ds_store_b32 v4, v0 offset:208
; %bb.786:
	s_or_b32 exec_lo, exec_lo, s3
	s_wait_dscnt 0x0
	s_barrier_signal -1
	s_barrier_wait -1
	s_and_saveexec_b32 s3, s1
; %bb.787:
	ds_load_b32 v0, v18 offset:208
; %bb.788:
	s_or_b32 exec_lo, exec_lo, s3
	s_wait_dscnt 0x0
	ds_bpermute_b32 v1, v28, v0
	s_wait_dscnt 0x0
	v_add_f32_e32 v0, v0, v1
	ds_bpermute_b32 v1, v30, v0
	s_wait_dscnt 0x0
	v_dual_add_f32 v0, v0, v1 :: v_dual_mov_b32 v1, 0
	ds_bpermute_b32 v0, v1, v0
	s_and_saveexec_b32 s1, s2
	s_cbranch_execz .LBB362_801
; %bb.789:
	s_wait_dscnt 0x0
	v_add_f32_e32 v0, 0x358637bd, v0
	s_mov_b32 s3, -1
	s_mov_b32 s2, exec_lo
	s_delay_alu instid0(VALU_DEP_1) | instskip(SKIP_1) | instid1(VALU_DEP_2)
	v_div_scale_f32 v1, null, v0, v0, 1.0
	v_div_scale_f32 v5, vcc_lo, 1.0, v0, 1.0
	v_rcp_f32_e32 v4, v1
	v_nop
	s_delay_alu instid0(TRANS32_DEP_1) | instskip(NEXT) | instid1(VALU_DEP_1)
	v_fma_f32 v3, -v1, v4, 1.0
	v_fmac_f32_e32 v4, v3, v4
	s_delay_alu instid0(VALU_DEP_1) | instskip(NEXT) | instid1(VALU_DEP_1)
	v_mul_f32_e32 v6, v5, v4
	v_fma_f32 v3, -v1, v6, v5
	s_delay_alu instid0(VALU_DEP_1) | instskip(SKIP_1) | instid1(VALU_DEP_2)
	v_fmac_f32_e32 v6, v3, v4
	v_xad_u32 v3, v24, -1, v2
	v_fma_f32 v1, -v1, v6, v5
	s_delay_alu instid0(VALU_DEP_1) | instskip(NEXT) | instid1(VALU_DEP_1)
	v_div_fmas_f32 v1, v1, v4, v6
	v_div_fixup_f32 v0, v1, v0, 1.0
	v_mov_b32_e32 v1, v24
	v_cmpx_lt_u32_e32 0x7f, v3
	s_cbranch_execz .LBB362_798
; %bb.790:
	s_delay_alu instid0(VALU_DEP_3) | instskip(NEXT) | instid1(VALU_DEP_1)
	v_dual_lshrrev_b32 v3, 7, v3 :: v_dual_mov_b32 v1, v0
	v_dual_mov_b32 v7, 0 :: v_dual_add_nc_u32 v4, -1, v3
	s_delay_alu instid0(VALU_DEP_1) | instskip(SKIP_1) | instid1(VALU_DEP_2)
	v_lshrrev_b32_e32 v5, 1, v4
	v_cmp_lt_u32_e32 vcc_lo, 13, v4
	v_add_nc_u32_e32 v4, 1, v5
	s_and_saveexec_b32 s3, vcc_lo
	s_cbranch_execz .LBB362_794
; %bb.791:
	s_ashr_i32 s7, s6, 31
	s_delay_alu instid0(VALU_DEP_1) | instskip(SKIP_1) | instid1(SALU_CYCLE_1)
	v_and_b32_e32 v5, -8, v4
	s_lshl_b64 s[14:15], s[6:7], 2
	s_add_nc_u64 s[14:15], s[8:9], s[14:15]
	s_load_b32 s7, s[14:15], 0x0
	s_wait_xcnt 0x0
	s_mov_b32 s14, 0
	s_wait_kmcnt 0x0
	v_lshl_add_u32 v6, v24, 2, s7
	s_mov_b32 s7, 0
.LBB362_792:                            ; =>This Inner Loop Header: Depth=1
	ds_load_2addr_stride64_b32 v[8:9], v6 offset1:2
	ds_load_2addr_stride64_b32 v[26:27], v6 offset0:4 offset1:6
	ds_load_2addr_stride64_b32 v[12:13], v6 offset0:8 offset1:10
	;; [unrolled: 1-line block ×7, first 2 shown]
	s_add_co_i32 s14, s14, 16
	s_delay_alu instid0(SALU_CYCLE_1) | instskip(NEXT) | instid1(VALU_DEP_1)
	v_dual_add_nc_u32 v5, -8, v5 :: v_dual_mov_b32 v7, s14
	v_cmp_eq_u32_e32 vcc_lo, 0, v5
	s_or_b32 s7, vcc_lo, s7
	s_wait_dscnt 0x7
	v_pk_mul_f32 v[8:9], v[0:1], v[8:9]
	s_wait_dscnt 0x6
	v_pk_mul_f32 v[26:27], v[0:1], v[26:27]
	;; [unrolled: 2-line block ×8, first 2 shown]
	ds_store_2addr_stride64_b32 v6, v8, v9 offset1:2
	ds_store_2addr_stride64_b32 v6, v26, v27 offset0:4 offset1:6
	ds_store_2addr_stride64_b32 v6, v12, v13 offset0:8 offset1:10
	;; [unrolled: 1-line block ×7, first 2 shown]
	v_add_nc_u32_e32 v6, 0x2000, v6
	s_and_not1_b32 exec_lo, exec_lo, s7
	s_cbranch_execnz .LBB362_792
; %bb.793:
	s_or_b32 exec_lo, exec_lo, s7
.LBB362_794:
	s_delay_alu instid0(SALU_CYCLE_1) | instskip(NEXT) | instid1(VALU_DEP_1)
	s_or_b32 exec_lo, exec_lo, s3
	v_and_b32_e32 v4, 7, v4
	s_mov_b32 s14, 0
	s_mov_b32 s3, exec_lo
	s_delay_alu instid0(VALU_DEP_1)
	v_cmpx_ne_u32_e32 0, v4
	s_cbranch_execz .LBB362_797
; %bb.795:
	s_ashr_i32 s7, s6, 31
	v_dual_lshlrev_b32 v5, 9, v7 :: v_dual_lshlrev_b32 v6, 2, v24
	s_lshl_b64 s[16:17], s[6:7], 2
	s_delay_alu instid0(SALU_CYCLE_1)
	s_add_nc_u64 s[16:17], s[8:9], s[16:17]
	s_load_b32 s7, s[16:17], 0x0
	s_wait_kmcnt 0x0
	v_add3_u32 v5, v5, v6, s7
.LBB362_796:                            ; =>This Inner Loop Header: Depth=1
	ds_load_2addr_stride64_b32 v[6:7], v5 offset1:2
	v_add_nc_u32_e32 v4, -1, v4
	s_delay_alu instid0(VALU_DEP_1)
	v_cmp_eq_u32_e32 vcc_lo, 0, v4
	s_or_b32 s14, vcc_lo, s14
	s_wait_dscnt 0x0
	v_pk_mul_f32 v[6:7], v[0:1], v[6:7]
	ds_store_2addr_stride64_b32 v5, v6, v7 offset1:2
	v_add_nc_u32_e32 v5, 0x400, v5
	s_and_not1_b32 exec_lo, exec_lo, s14
	s_cbranch_execnz .LBB362_796
.LBB362_797:
	s_or_b32 exec_lo, exec_lo, s3
	v_add_nc_u32_e32 v1, 1, v3
	s_delay_alu instid0(VALU_DEP_1) | instskip(NEXT) | instid1(VALU_DEP_1)
	v_and_b32_e32 v3, 0x3fffffe, v1
	v_cmp_ne_u32_e32 vcc_lo, v1, v3
	v_lshl_add_u32 v1, v3, 7, v24
	s_or_not1_b32 s3, vcc_lo, exec_lo
.LBB362_798:
	s_or_b32 exec_lo, exec_lo, s2
	s_delay_alu instid0(SALU_CYCLE_1)
	s_and_b32 exec_lo, exec_lo, s3
	s_cbranch_execz .LBB362_801
; %bb.799:
	s_ashr_i32 s7, s6, 31
	s_delay_alu instid0(SALU_CYCLE_1) | instskip(NEXT) | instid1(SALU_CYCLE_1)
	s_lshl_b64 s[2:3], s[6:7], 2
	s_add_nc_u64 s[2:3], s[8:9], s[2:3]
	s_load_b32 s2, s[2:3], 0x0
	s_wait_kmcnt 0x0
	v_lshl_add_u32 v3, v1, 2, s2
	s_mov_b32 s2, 0
.LBB362_800:                            ; =>This Inner Loop Header: Depth=1
	ds_load_b32 v4, v3
	s_wait_dscnt 0x0
	v_dual_mul_f32 v4, v0, v4 :: v_dual_add_nc_u32 v1, 0x80, v1
	s_delay_alu instid0(VALU_DEP_1) | instskip(SKIP_3) | instid1(SALU_CYCLE_1)
	v_cmp_ge_i32_e32 vcc_lo, v1, v2
	ds_store_b32 v3, v4
	v_add_nc_u32_e32 v3, 0x200, v3
	s_or_b32 s2, vcc_lo, s2
	s_and_not1_b32 exec_lo, exec_lo, s2
	s_cbranch_execnz .LBB362_800
.LBB362_801:
	s_or_b32 exec_lo, exec_lo, s1
	s_wait_dscnt 0x0
	s_barrier_signal -1
	s_barrier_wait -1
	s_and_saveexec_b32 s1, s0
	s_delay_alu instid0(SALU_CYCLE_1)
	s_xor_b32 s0, exec_lo, s1
	s_cbranch_execz .LBB362_803
; %bb.802:
	s_ashr_i32 s7, s6, 31
                                        ; implicit-def: $vgpr0
                                        ; implicit-def: $vgpr118
                                        ; kill: killed $vgpr0
                                        ; implicit-def: $vgpr0
	scratch_store_b64 off, v[0:1], s32 offset:244 ; 8-byte Folded Spill
                                        ; implicit-def: $vgpr38_vgpr39
                                        ; implicit-def: $vgpr22_vgpr23
                                        ; implicit-def: $vgpr10_vgpr11
                                        ; implicit-def: $vgpr36_vgpr37
                                        ; implicit-def: $vgpr48
                                        ; implicit-def: $vgpr34
.LBB362_803:
	s_wait_xcnt 0x0
	s_or_saveexec_b32 s1, s0
	v_mov_b64_e32 v[0:1], s[6:7]
	v_dual_mov_b32 v13, 0 :: v_dual_bitop2_b32 v31, 3, v24 bitop3:0x40
	v_dual_mov_b32 v12, 0 :: v_dual_mov_b32 v15, 0
	v_dual_mov_b32 v14, 0 :: v_dual_mov_b32 v17, 0
	;; [unrolled: 1-line block ×5, first 2 shown]
	v_mov_b32_e32 v26, 0
	s_xor_b32 exec_lo, exec_lo, s1
	s_cbranch_execz .LBB362_1599
; %bb.804:
	s_clause 0x2
	scratch_store_b32 off, v28, s32 offset:284
	scratch_store_b32 off, v30, s32 offset:276
	scratch_load_b32 v0, off, s32 offset:576
	flat_load_b32 v35, v[22:23]
	s_ashr_i32 s7, s6, 31
	v_dual_mov_b32 v13, 0 :: v_dual_mov_b32 v12, 0
	s_lshl_b64 s[2:3], s[6:7], 2
	v_dual_mov_b32 v15, 0 :: v_dual_mov_b32 v14, 0
	s_add_nc_u64 s[2:3], s[8:9], s[2:3]
	v_dual_mov_b32 v17, 0 :: v_dual_mov_b32 v16, 0
	s_load_b32 s0, s[2:3], 0x0
	v_dual_mov_b32 v21, 0 :: v_dual_mov_b32 v20, 0
	v_dual_mov_b32 v25, 0 :: v_dual_mov_b32 v24, 0
	;; [unrolled: 1-line block ×3, first 2 shown]
	s_wait_xcnt 0x0
	s_mov_b64 s[2:3], 0xffffffffffffff
	s_mov_b32 s14, 0
	v_mov_b32_e32 v23, 0
	scratch_store_b32 off, v31, s32 offset:292 ; 4-byte Folded Spill
	s_wait_loadcnt 0x1
	v_lshlrev_b32_e32 v2, 3, v0
	v_add_nc_u64_e32 v[0:1], v[36:37], v[48:49]
	v_lshlrev_b32_e32 v3, 5, v31
	s_delay_alu instid0(VALU_DEP_3) | instskip(SKIP_1) | instid1(VALU_DEP_2)
	v_and_b32_e32 v22, 0xf8, v2
	v_and_b32_e32 v2, 24, v2
	v_add_nc_u64_e32 v[0:1], v[0:1], v[22:23]
	v_and_b32_e32 v22, 0x7c, v34
	scratch_store_b64 off, v[0:1], s32 offset:268 ; 8-byte Folded Spill
	s_wait_xcnt 0x0
	v_lshl_add_u64 v[0:1], v[38:39], 2, v[22:23]
	scratch_load_b32 v38, off, s32 offset:580 ; 4-byte Folded Reload
	v_add_nc_u64_e32 v[10:11], v[10:11], v[0:1]
	s_wait_loadcnt 0x0
	v_lshl_or_b32 v3, v38, 7, v3
	s_wait_kmcnt 0x0
	s_delay_alu instid0(VALU_DEP_1) | instskip(NEXT) | instid1(VALU_DEP_1)
	v_dual_lshlrev_b32 v4, 5, v38 :: v_dual_add_nc_u32 v37, s0, v3
	v_or3_b32 v36, v4, v2, 7
	s_branch .LBB362_806
.LBB362_805:                            ;   in Loop: Header=BB362_806 Depth=1
	s_or_b32 exec_lo, exec_lo, s0
	scratch_load_b128 v[2:5], off, s32 offset:252 th:TH_LOAD_LU ; 16-byte Folded Reload
	v_cvt_pk_bf16_f32 v7, v6, v7
	v_cvt_pk_bf16_f32 v6, v8, v9
	v_perm_b32 v9, v29, v28, 0x5040100
	v_perm_b32 v8, v32, v33, 0x5040100
	;; [unrolled: 1-line block ×4, first 2 shown]
	v_add_nc_u64_e32 v[10:11], 16, v[10:11]
	v_add_nc_u32_e32 v36, 0x80, v36
	v_add_nc_u32_e32 v37, 0x200, v37
	v_add_nc_u32_e32 v38, 4, v38
	s_wait_loadcnt 0x0
	v_cvt_pk_bf16_f32 v3, v2, v3
	v_cvt_pk_bf16_f32 v2, v4, v5
	v_perm_b32 v4, v48, v49, 0x5040100
	v_perm_b32 v5, v119, v39, 0x5040100
	s_delay_alu instid0(VALU_DEP_4) | instskip(NEXT) | instid1(VALU_DEP_4)
	v_pk_mul_bf16 v8, v3, v8
	v_pk_mul_bf16 v9, v2, v9
	s_delay_alu instid0(VALU_DEP_4) | instskip(NEXT) | instid1(VALU_DEP_4)
	v_pk_mul_bf16 v4, v7, v4
	v_pk_mul_bf16 v5, v6, v5
	s_delay_alu instid0(VALU_DEP_2) | instskip(SKIP_1) | instid1(VALU_DEP_1)
	v_lshlrev_b32_e32 v28, 16, v4
	v_and_b32_e32 v4, 0xffff0000, v4
	v_dual_add_f32 v4, v28, v4 :: v_dual_lshlrev_b32 v28, 16, v5
	v_and_b32_e32 v5, 0xffff0000, v5
	s_delay_alu instid0(VALU_DEP_1) | instskip(NEXT) | instid1(VALU_DEP_1)
	v_add_f32_e32 v5, v28, v5
	v_dual_add_f32 v4, v4, v5 :: v_dual_lshlrev_b32 v5, 16, v8
	v_and_b32_e32 v8, 0xffff0000, v8
	s_delay_alu instid0(VALU_DEP_1) | instskip(SKIP_1) | instid1(VALU_DEP_2)
	v_add_f32_e32 v5, v5, v8
	v_and_b32_e32 v8, 0xffff0000, v9
	v_add_f32_e32 v4, v4, v5
	v_lshlrev_b32_e32 v5, 16, v9
	v_perm_b32 v9, v123, v122, 0x5040100
	s_delay_alu instid0(VALU_DEP_2) | instskip(SKIP_1) | instid1(VALU_DEP_3)
	v_add_f32_e32 v5, v5, v8
	v_perm_b32 v8, v120, v121, 0x5040100
	v_pk_mul_bf16 v9, v2, v9
	s_delay_alu instid0(VALU_DEP_3) | instskip(SKIP_1) | instid1(VALU_DEP_4)
	v_add_f32_e32 v4, v4, v5
	v_perm_b32 v5, v124, v125, 0x5040100
	v_pk_mul_bf16 v8, v3, v8
	s_delay_alu instid0(VALU_DEP_3) | instskip(SKIP_1) | instid1(VALU_DEP_4)
	v_add_f32_e32 v12, v12, v4
	v_perm_b32 v4, v126, v127, 0x5040100
	v_pk_mul_bf16 v5, v6, v5
	s_delay_alu instid0(VALU_DEP_2) | instskip(NEXT) | instid1(VALU_DEP_1)
	v_pk_mul_bf16 v4, v7, v4
	v_lshlrev_b32_e32 v28, 16, v4
	v_and_b32_e32 v4, 0xffff0000, v4
	s_delay_alu instid0(VALU_DEP_1) | instskip(SKIP_1) | instid1(VALU_DEP_1)
	v_dual_add_f32 v4, v28, v4 :: v_dual_lshlrev_b32 v28, 16, v5
	v_and_b32_e32 v5, 0xffff0000, v5
	v_add_f32_e32 v5, v28, v5
	s_delay_alu instid0(VALU_DEP_1) | instskip(SKIP_1) | instid1(VALU_DEP_1)
	v_dual_add_f32 v4, v4, v5 :: v_dual_lshlrev_b32 v5, 16, v8
	v_and_b32_e32 v8, 0xffff0000, v8
	v_add_f32_e32 v5, v5, v8
	v_and_b32_e32 v8, 0xffff0000, v9
	s_delay_alu instid0(VALU_DEP_2) | instskip(SKIP_2) | instid1(VALU_DEP_2)
	v_add_f32_e32 v4, v4, v5
	v_lshlrev_b32_e32 v5, 16, v9
	v_perm_b32 v9, v107, v106, 0x5040100
	v_add_f32_e32 v5, v5, v8
	v_perm_b32 v8, v104, v105, 0x5040100
	s_delay_alu instid0(VALU_DEP_3) | instskip(NEXT) | instid1(VALU_DEP_3)
	v_pk_mul_bf16 v9, v2, v9
	v_add_f32_e32 v4, v4, v5
	v_perm_b32 v5, v108, v109, 0x5040100
	s_delay_alu instid0(VALU_DEP_4) | instskip(NEXT) | instid1(VALU_DEP_3)
	v_pk_mul_bf16 v8, v3, v8
	v_add_f32_e32 v15, v15, v4
	v_perm_b32 v4, v110, v111, 0x5040100
	s_delay_alu instid0(VALU_DEP_4) | instskip(NEXT) | instid1(VALU_DEP_2)
	v_pk_mul_bf16 v5, v6, v5
	v_pk_mul_bf16 v4, v7, v4
	s_delay_alu instid0(VALU_DEP_1) | instskip(SKIP_1) | instid1(VALU_DEP_1)
	v_lshlrev_b32_e32 v28, 16, v4
	v_and_b32_e32 v4, 0xffff0000, v4
	v_dual_add_f32 v4, v28, v4 :: v_dual_lshlrev_b32 v28, 16, v5
	v_and_b32_e32 v5, 0xffff0000, v5
	s_delay_alu instid0(VALU_DEP_1) | instskip(NEXT) | instid1(VALU_DEP_1)
	v_add_f32_e32 v5, v28, v5
	v_dual_add_f32 v4, v4, v5 :: v_dual_lshlrev_b32 v5, 16, v8
	v_and_b32_e32 v8, 0xffff0000, v8
	s_delay_alu instid0(VALU_DEP_1) | instskip(SKIP_1) | instid1(VALU_DEP_2)
	v_add_f32_e32 v5, v5, v8
	v_and_b32_e32 v8, 0xffff0000, v9
	v_add_f32_e32 v4, v4, v5
	v_lshlrev_b32_e32 v5, 16, v9
	v_perm_b32 v9, v91, v90, 0x5040100
	s_delay_alu instid0(VALU_DEP_2) | instskip(SKIP_1) | instid1(VALU_DEP_3)
	v_add_f32_e32 v5, v5, v8
	v_perm_b32 v8, v88, v89, 0x5040100
	v_pk_mul_bf16 v9, v2, v9
	s_delay_alu instid0(VALU_DEP_3) | instskip(SKIP_1) | instid1(VALU_DEP_4)
	v_add_f32_e32 v4, v4, v5
	v_perm_b32 v5, v92, v93, 0x5040100
	v_pk_mul_bf16 v8, v3, v8
	s_delay_alu instid0(VALU_DEP_3) | instskip(SKIP_1) | instid1(VALU_DEP_4)
	v_add_f32_e32 v14, v14, v4
	v_perm_b32 v4, v94, v95, 0x5040100
	v_pk_mul_bf16 v5, v6, v5
	s_delay_alu instid0(VALU_DEP_2) | instskip(NEXT) | instid1(VALU_DEP_1)
	v_pk_mul_bf16 v4, v7, v4
	v_lshlrev_b32_e32 v28, 16, v4
	v_and_b32_e32 v4, 0xffff0000, v4
	s_delay_alu instid0(VALU_DEP_1) | instskip(SKIP_1) | instid1(VALU_DEP_1)
	v_dual_add_f32 v4, v28, v4 :: v_dual_lshlrev_b32 v28, 16, v5
	v_and_b32_e32 v5, 0xffff0000, v5
	v_add_f32_e32 v5, v28, v5
	s_delay_alu instid0(VALU_DEP_1) | instskip(SKIP_1) | instid1(VALU_DEP_1)
	v_dual_add_f32 v4, v4, v5 :: v_dual_lshlrev_b32 v5, 16, v8
	v_and_b32_e32 v8, 0xffff0000, v8
	v_add_f32_e32 v5, v5, v8
	v_and_b32_e32 v8, 0xffff0000, v9
	s_delay_alu instid0(VALU_DEP_2) | instskip(SKIP_2) | instid1(VALU_DEP_2)
	v_add_f32_e32 v4, v4, v5
	v_lshlrev_b32_e32 v5, 16, v9
	v_perm_b32 v9, v75, v74, 0x5040100
	v_add_f32_e32 v5, v5, v8
	v_perm_b32 v8, v72, v73, 0x5040100
	s_delay_alu instid0(VALU_DEP_3) | instskip(NEXT) | instid1(VALU_DEP_3)
	v_pk_mul_bf16 v9, v2, v9
	v_add_f32_e32 v4, v4, v5
	v_perm_b32 v5, v76, v77, 0x5040100
	s_delay_alu instid0(VALU_DEP_4) | instskip(NEXT) | instid1(VALU_DEP_3)
	v_pk_mul_bf16 v8, v3, v8
	v_add_f32_e32 v17, v17, v4
	v_perm_b32 v4, v78, v79, 0x5040100
	s_delay_alu instid0(VALU_DEP_4) | instskip(NEXT) | instid1(VALU_DEP_2)
	v_pk_mul_bf16 v5, v6, v5
	v_pk_mul_bf16 v4, v7, v4
	s_delay_alu instid0(VALU_DEP_1) | instskip(SKIP_1) | instid1(VALU_DEP_1)
	v_lshlrev_b32_e32 v28, 16, v4
	v_and_b32_e32 v4, 0xffff0000, v4
	v_dual_add_f32 v4, v28, v4 :: v_dual_lshlrev_b32 v28, 16, v5
	v_and_b32_e32 v5, 0xffff0000, v5
	s_delay_alu instid0(VALU_DEP_1) | instskip(NEXT) | instid1(VALU_DEP_1)
	v_add_f32_e32 v5, v28, v5
	v_dual_add_f32 v4, v4, v5 :: v_dual_lshlrev_b32 v5, 16, v8
	v_and_b32_e32 v8, 0xffff0000, v8
	s_delay_alu instid0(VALU_DEP_1) | instskip(SKIP_1) | instid1(VALU_DEP_2)
	v_add_f32_e32 v5, v5, v8
	v_and_b32_e32 v8, 0xffff0000, v9
	v_add_f32_e32 v4, v4, v5
	v_lshlrev_b32_e32 v5, 16, v9
	v_perm_b32 v9, v59, v58, 0x5040100
	s_delay_alu instid0(VALU_DEP_2) | instskip(SKIP_1) | instid1(VALU_DEP_3)
	v_add_f32_e32 v5, v5, v8
	v_perm_b32 v8, v56, v57, 0x5040100
	v_pk_mul_bf16 v9, v2, v9
	s_delay_alu instid0(VALU_DEP_3) | instskip(SKIP_1) | instid1(VALU_DEP_4)
	v_add_f32_e32 v4, v4, v5
	v_perm_b32 v5, v60, v61, 0x5040100
	v_pk_mul_bf16 v8, v3, v8
	s_delay_alu instid0(VALU_DEP_3) | instskip(SKIP_1) | instid1(VALU_DEP_4)
	v_add_f32_e32 v16, v16, v4
	v_perm_b32 v4, v62, v63, 0x5040100
	v_pk_mul_bf16 v5, v6, v5
	s_delay_alu instid0(VALU_DEP_2) | instskip(NEXT) | instid1(VALU_DEP_1)
	v_pk_mul_bf16 v4, v7, v4
	v_lshlrev_b32_e32 v28, 16, v4
	v_and_b32_e32 v4, 0xffff0000, v4
	s_delay_alu instid0(VALU_DEP_1) | instskip(SKIP_1) | instid1(VALU_DEP_1)
	v_dual_add_f32 v4, v28, v4 :: v_dual_lshlrev_b32 v28, 16, v5
	v_and_b32_e32 v5, 0xffff0000, v5
	v_add_f32_e32 v5, v28, v5
	s_delay_alu instid0(VALU_DEP_1) | instskip(SKIP_1) | instid1(VALU_DEP_1)
	v_dual_add_f32 v4, v4, v5 :: v_dual_lshlrev_b32 v5, 16, v8
	v_and_b32_e32 v8, 0xffff0000, v8
	v_add_f32_e32 v5, v5, v8
	v_and_b32_e32 v8, 0xffff0000, v9
	s_delay_alu instid0(VALU_DEP_2) | instskip(SKIP_2) | instid1(VALU_DEP_2)
	v_add_f32_e32 v4, v4, v5
	v_lshlrev_b32_e32 v5, 16, v9
	v_perm_b32 v9, v43, v42, 0x5040100
	v_add_f32_e32 v5, v5, v8
	v_perm_b32 v8, v40, v41, 0x5040100
	s_delay_alu instid0(VALU_DEP_3) | instskip(NEXT) | instid1(VALU_DEP_3)
	v_pk_mul_bf16 v9, v2, v9
	v_add_f32_e32 v4, v4, v5
	v_perm_b32 v5, v44, v45, 0x5040100
	s_delay_alu instid0(VALU_DEP_4) | instskip(NEXT) | instid1(VALU_DEP_3)
	v_pk_mul_bf16 v8, v3, v8
	v_add_f32_e32 v21, v21, v4
	v_perm_b32 v4, v46, v47, 0x5040100
	s_delay_alu instid0(VALU_DEP_4) | instskip(NEXT) | instid1(VALU_DEP_2)
	v_pk_mul_bf16 v5, v6, v5
	v_pk_mul_bf16 v4, v7, v4
	s_delay_alu instid0(VALU_DEP_1) | instskip(SKIP_1) | instid1(VALU_DEP_1)
	v_lshlrev_b32_e32 v28, 16, v4
	v_and_b32_e32 v4, 0xffff0000, v4
	v_dual_add_f32 v4, v28, v4 :: v_dual_lshlrev_b32 v28, 16, v5
	v_and_b32_e32 v5, 0xffff0000, v5
	s_delay_alu instid0(VALU_DEP_1) | instskip(NEXT) | instid1(VALU_DEP_1)
	v_add_f32_e32 v5, v28, v5
	v_dual_add_f32 v4, v4, v5 :: v_dual_lshlrev_b32 v5, 16, v8
	v_and_b32_e32 v8, 0xffff0000, v8
	s_delay_alu instid0(VALU_DEP_1) | instskip(SKIP_1) | instid1(VALU_DEP_2)
	v_add_f32_e32 v5, v5, v8
	v_and_b32_e32 v8, 0xffff0000, v9
	v_add_f32_e32 v4, v4, v5
	v_lshlrev_b32_e32 v5, 16, v9
	v_perm_b32 v9, v113, v112, 0x5040100
	s_delay_alu instid0(VALU_DEP_2) | instskip(SKIP_1) | instid1(VALU_DEP_3)
	v_add_f32_e32 v5, v5, v8
	v_perm_b32 v8, v102, v103, 0x5040100
	v_pk_mul_bf16 v9, v2, v9
	s_delay_alu instid0(VALU_DEP_3) | instskip(SKIP_1) | instid1(VALU_DEP_4)
	v_add_f32_e32 v4, v4, v5
	v_perm_b32 v5, v114, v115, 0x5040100
	v_pk_mul_bf16 v8, v3, v8
	s_delay_alu instid0(VALU_DEP_3) | instskip(SKIP_1) | instid1(VALU_DEP_4)
	v_add_f32_e32 v20, v20, v4
	v_perm_b32 v4, v116, v117, 0x5040100
	v_pk_mul_bf16 v5, v6, v5
	s_delay_alu instid0(VALU_DEP_2) | instskip(NEXT) | instid1(VALU_DEP_1)
	v_pk_mul_bf16 v4, v7, v4
	v_lshlrev_b32_e32 v28, 16, v4
	v_and_b32_e32 v4, 0xffff0000, v4
	s_delay_alu instid0(VALU_DEP_1) | instskip(SKIP_1) | instid1(VALU_DEP_1)
	v_dual_add_f32 v4, v28, v4 :: v_dual_lshlrev_b32 v28, 16, v5
	v_and_b32_e32 v5, 0xffff0000, v5
	v_add_f32_e32 v5, v28, v5
	s_delay_alu instid0(VALU_DEP_1) | instskip(SKIP_1) | instid1(VALU_DEP_1)
	v_dual_add_f32 v4, v4, v5 :: v_dual_lshlrev_b32 v5, 16, v8
	v_and_b32_e32 v8, 0xffff0000, v8
	v_add_f32_e32 v5, v5, v8
	v_and_b32_e32 v8, 0xffff0000, v9
	s_delay_alu instid0(VALU_DEP_2) | instskip(SKIP_2) | instid1(VALU_DEP_2)
	v_add_f32_e32 v4, v4, v5
	v_lshlrev_b32_e32 v5, 16, v9
	v_perm_b32 v9, v97, v96, 0x5040100
	v_add_f32_e32 v5, v5, v8
	v_perm_b32 v8, v86, v87, 0x5040100
	s_delay_alu instid0(VALU_DEP_3) | instskip(NEXT) | instid1(VALU_DEP_3)
	v_pk_mul_bf16 v9, v2, v9
	v_add_f32_e32 v4, v4, v5
	v_perm_b32 v5, v98, v99, 0x5040100
	s_delay_alu instid0(VALU_DEP_4) | instskip(NEXT) | instid1(VALU_DEP_3)
	v_pk_mul_bf16 v8, v3, v8
	v_add_f32_e32 v25, v25, v4
	v_perm_b32 v4, v100, v101, 0x5040100
	s_delay_alu instid0(VALU_DEP_4) | instskip(NEXT) | instid1(VALU_DEP_2)
	v_pk_mul_bf16 v5, v6, v5
	v_pk_mul_bf16 v4, v7, v4
	s_delay_alu instid0(VALU_DEP_1) | instskip(SKIP_1) | instid1(VALU_DEP_1)
	v_lshlrev_b32_e32 v28, 16, v4
	v_and_b32_e32 v4, 0xffff0000, v4
	v_dual_add_f32 v4, v28, v4 :: v_dual_lshlrev_b32 v28, 16, v5
	v_and_b32_e32 v5, 0xffff0000, v5
	s_delay_alu instid0(VALU_DEP_1) | instskip(NEXT) | instid1(VALU_DEP_1)
	v_add_f32_e32 v5, v28, v5
	v_dual_add_f32 v4, v4, v5 :: v_dual_lshlrev_b32 v5, 16, v8
	v_and_b32_e32 v8, 0xffff0000, v8
	s_delay_alu instid0(VALU_DEP_1) | instskip(SKIP_1) | instid1(VALU_DEP_2)
	v_add_f32_e32 v5, v5, v8
	v_and_b32_e32 v8, 0xffff0000, v9
	v_add_f32_e32 v4, v4, v5
	v_lshlrev_b32_e32 v5, 16, v9
	v_perm_b32 v9, v66, v65, 0x5040100
	s_delay_alu instid0(VALU_DEP_2) | instskip(SKIP_1) | instid1(VALU_DEP_3)
	v_add_f32_e32 v5, v5, v8
	v_perm_b32 v8, v55, v64, 0x5040100
	v_pk_mul_bf16 v9, v2, v9
	s_delay_alu instid0(VALU_DEP_3) | instskip(SKIP_1) | instid1(VALU_DEP_4)
	v_add_f32_e32 v4, v4, v5
	v_perm_b32 v5, v67, v68, 0x5040100
	v_pk_mul_bf16 v8, v3, v8
	s_delay_alu instid0(VALU_DEP_3) | instskip(SKIP_1) | instid1(VALU_DEP_4)
	v_add_f32_e32 v24, v24, v4
	v_perm_b32 v4, v69, v70, 0x5040100
	v_pk_mul_bf16 v5, v6, v5
	s_delay_alu instid0(VALU_DEP_2) | instskip(NEXT) | instid1(VALU_DEP_1)
	v_pk_mul_bf16 v4, v7, v4
	v_lshlrev_b32_e32 v28, 16, v4
	v_and_b32_e32 v4, 0xffff0000, v4
	s_delay_alu instid0(VALU_DEP_1) | instskip(SKIP_1) | instid1(VALU_DEP_1)
	v_dual_add_f32 v4, v28, v4 :: v_dual_lshlrev_b32 v28, 16, v5
	v_and_b32_e32 v5, 0xffff0000, v5
	v_add_f32_e32 v5, v28, v5
	s_delay_alu instid0(VALU_DEP_1) | instskip(SKIP_1) | instid1(VALU_DEP_1)
	v_dual_add_f32 v4, v4, v5 :: v_dual_lshlrev_b32 v5, 16, v8
	v_and_b32_e32 v8, 0xffff0000, v8
	v_add_f32_e32 v5, v5, v8
	v_and_b32_e32 v8, 0xffff0000, v9
	s_delay_alu instid0(VALU_DEP_2) | instskip(SKIP_1) | instid1(VALU_DEP_1)
	v_add_f32_e32 v4, v4, v5
	v_lshlrev_b32_e32 v5, 16, v9
	v_add_f32_e32 v5, v5, v8
	s_delay_alu instid0(VALU_DEP_1) | instskip(NEXT) | instid1(VALU_DEP_1)
	v_add_f32_e32 v4, v4, v5
	v_add_f32_e32 v27, v27, v4
	s_clause 0x1
	scratch_load_b32 v4, off, s32 offset:228 th:TH_LOAD_LU
	scratch_load_b32 v5, off, s32 offset:236 th:TH_LOAD_LU
	s_wait_loadcnt 0x0
	v_perm_b32 v4, v4, v5, 0x5040100
	s_clause 0x1
	scratch_load_b32 v5, off, s32 offset:212 th:TH_LOAD_LU
	scratch_load_b32 v8, off, s32 offset:220 th:TH_LOAD_LU
	v_pk_mul_bf16 v4, v7, v4
	s_wait_loadcnt 0x0
	v_perm_b32 v5, v5, v8, 0x5040100
	s_clause 0x2
	scratch_load_b32 v8, off, s32 offset:196 th:TH_LOAD_LU
	scratch_load_b32 v9, off, s32 offset:200 th:TH_LOAD_LU
	;; [unrolled: 1-line block ×3, first 2 shown]
	v_pk_mul_bf16 v5, v6, v5
	s_wait_loadcnt 0x2
	v_perm_b32 v8, v54, v8, 0x5040100
	s_wait_loadcnt 0x0
	v_perm_b32 v9, v28, v9, 0x5040100
	v_lshlrev_b32_e32 v28, 16, v4
	v_and_b32_e32 v4, 0xffff0000, v4
	v_pk_mul_bf16 v8, v3, v8
	s_delay_alu instid0(VALU_DEP_4) | instskip(NEXT) | instid1(VALU_DEP_3)
	v_pk_mul_bf16 v9, v2, v9
	v_dual_add_f32 v4, v28, v4 :: v_dual_lshlrev_b32 v28, 16, v5
	v_and_b32_e32 v5, 0xffff0000, v5
	s_delay_alu instid0(VALU_DEP_1) | instskip(NEXT) | instid1(VALU_DEP_1)
	v_add_f32_e32 v5, v28, v5
	v_dual_add_f32 v4, v4, v5 :: v_dual_lshlrev_b32 v5, 16, v8
	v_and_b32_e32 v8, 0xffff0000, v8
	s_delay_alu instid0(VALU_DEP_1) | instskip(SKIP_1) | instid1(VALU_DEP_2)
	v_add_f32_e32 v5, v5, v8
	v_and_b32_e32 v8, 0xffff0000, v9
	v_add_f32_e32 v4, v4, v5
	v_lshlrev_b32_e32 v5, 16, v9
	s_delay_alu instid0(VALU_DEP_1) | instskip(NEXT) | instid1(VALU_DEP_1)
	v_add_f32_e32 v5, v5, v8
	v_add_f32_e32 v4, v4, v5
	v_perm_b32 v5, v22, v30, 0x5040100
	s_delay_alu instid0(VALU_DEP_1) | instskip(SKIP_1) | instid1(VALU_DEP_2)
	v_pk_mul_bf16 v5, v6, v5
	v_pk_mul_bf16 v6, v3, v1
	v_dual_add_f32 v26, v26, v4 :: v_dual_lshlrev_b32 v3, 16, v5
	v_perm_b32 v4, v31, v34, 0x5040100
	v_and_b32_e32 v1, 0xffff0000, v5
	s_delay_alu instid0(VALU_DEP_2) | instskip(SKIP_1) | instid1(VALU_DEP_2)
	v_pk_mul_bf16 v4, v7, v4
	v_pk_mul_bf16 v7, v2, v0
	v_and_b32_e32 v0, 0xffff0000, v4
	s_delay_alu instid0(VALU_DEP_2) | instskip(SKIP_1) | instid1(VALU_DEP_2)
	v_dual_lshlrev_b32 v2, 16, v4 :: v_dual_lshlrev_b32 v5, 16, v7
	v_lshlrev_b32_e32 v4, 16, v6
	v_pk_add_f32 v[0:1], v[2:3], v[0:1]
	v_and_b32_e32 v2, 0xffff0000, v6
	v_and_b32_e32 v3, 0xffff0000, v7
	s_delay_alu instid0(VALU_DEP_3) | instskip(NEXT) | instid1(VALU_DEP_2)
	v_add_f32_e32 v0, v0, v1
	v_pk_add_f32 v[2:3], v[4:5], v[2:3]
	s_delay_alu instid0(VALU_DEP_1) | instskip(NEXT) | instid1(VALU_DEP_1)
	v_add_f32_e32 v0, v0, v2
	v_add_f32_e32 v0, v0, v3
	s_delay_alu instid0(VALU_DEP_1)
	v_add_f32_e32 v13, v13, v0
	scratch_load_b32 v0, off, s32 offset:192 ; 4-byte Folded Reload
	s_wait_loadcnt 0x0
	v_cmp_ge_i32_e32 vcc_lo, v38, v0
	s_or_b32 s14, vcc_lo, s14
	s_wait_xcnt 0x0
	s_and_not1_b32 exec_lo, exec_lo, s14
	s_cbranch_execz .LBB362_1598
.LBB362_806:                            ; =>This Inner Loop Header: Depth=1
	flat_load_b32 v0, v[10:11]
	s_clause 0x1
	scratch_load_b64 v[2:3], off, s32 offset:244
	scratch_load_b64 v[4:5], off, s32 offset:268
	v_mov_b32_e32 v28, 0
	s_mov_b32 s0, exec_lo
	s_wait_loadcnt_dscnt 0x0
	v_mad_nc_i64_i32 v[30:31], v0, v2, v[4:5]
	flat_load_b64 v[0:1], v[30:31]
	ds_load_2addr_b64 v[6:9], v37 offset1:1
	ds_load_2addr_b64 v[2:5], v37 offset0:2 offset1:3
	s_wait_dscnt 0x0
	scratch_store_b128 off, v[2:5], s32 offset:252 ; 16-byte Folded Spill
	s_wait_loadcnt 0x0
	v_and_b32_e32 v18, 0xff, v0
	s_wait_xcnt 0x0
	s_delay_alu instid0(VALU_DEP_1)
	v_cmpx_ne_u16_e32 0, v18
	s_cbranch_execz .LBB362_814
; %bb.807:                              ;   in Loop: Header=BB362_806 Depth=1
	v_bfrev_b32_e32 v28, 1
	s_mov_b32 s15, exec_lo
	v_cmpx_ne_u16_e32 0x80, v18
	s_cbranch_execz .LBB362_813
; %bb.808:                              ;   in Loop: Header=BB362_806 Depth=1
	v_and_b32_e32 v18, 0x7f, v0
	v_mov_b32_e32 v28, 0x7f800001
	s_mov_b32 s16, exec_lo
	s_delay_alu instid0(VALU_DEP_2)
	v_cmpx_ne_u32_e32 0x7f, v18
	s_cbranch_execz .LBB362_812
; %bb.809:                              ;   in Loop: Header=BB362_806 Depth=1
	v_lshrrev_b32_e32 v22, 3, v18
	v_cmp_gt_u32_e32 vcc_lo, 8, v18
	v_mov_b64_e32 v[18:19], v[0:1]
	s_and_saveexec_b32 s17, vcc_lo
; %bb.810:                              ;   in Loop: Header=BB362_806 Depth=1
	v_and_b32_e32 v2, 7, v0
	s_delay_alu instid0(VALU_DEP_1) | instskip(NEXT) | instid1(VALU_DEP_1)
	v_clz_i32_u32_e32 v2, v2
	v_min_u32_e32 v2, 32, v2
	s_delay_alu instid0(VALU_DEP_1) | instskip(SKIP_1) | instid1(VALU_DEP_2)
	v_subrev_nc_u32_e32 v3, 28, v2
	v_sub_nc_u32_e32 v22, 29, v2
	v_lshlrev_b64_e32 v[18:19], v3, v[0:1]
; %bb.811:                              ;   in Loop: Header=BB362_806 Depth=1
	s_or_b32 exec_lo, exec_lo, s17
	s_delay_alu instid0(VALU_DEP_1) | instskip(NEXT) | instid1(VALU_DEP_3)
	v_dual_lshlrev_b32 v2, 20, v18 :: v_dual_lshlrev_b32 v3, 24, v0
	v_lshl_add_u32 v4, v22, 23, 0x3c000000
	s_delay_alu instid0(VALU_DEP_2) | instskip(NEXT) | instid1(VALU_DEP_3)
	v_and_b32_e32 v2, 0x700000, v2
	v_and_b32_e32 v3, 0x80000000, v3
	s_delay_alu instid0(VALU_DEP_1)
	v_or3_b32 v28, v2, v3, v4
.LBB362_812:                            ;   in Loop: Header=BB362_806 Depth=1
	s_or_b32 exec_lo, exec_lo, s16
.LBB362_813:                            ;   in Loop: Header=BB362_806 Depth=1
	s_delay_alu instid0(SALU_CYCLE_1)
	s_or_b32 exec_lo, exec_lo, s15
.LBB362_814:                            ;   in Loop: Header=BB362_806 Depth=1
	s_delay_alu instid0(SALU_CYCLE_1) | instskip(SKIP_3) | instid1(VALU_DEP_2)
	s_or_b32 exec_lo, exec_lo, s0
	v_lshrrev_b16 v18, 8, v0
	v_dual_mov_b32 v29, 0 :: v_dual_mov_b32 v32, 0
	s_mov_b32 s0, exec_lo
	v_cmpx_ne_u16_e32 0, v18
	s_cbranch_execz .LBB362_822
; %bb.815:                              ;   in Loop: Header=BB362_806 Depth=1
	v_bfrev_b32_e32 v32, 1
	s_mov_b32 s15, exec_lo
	v_cmpx_ne_u16_e32 0x80, v18
	s_cbranch_execz .LBB362_821
; %bb.816:                              ;   in Loop: Header=BB362_806 Depth=1
	v_and_b32_e32 v18, 0xffff, v18
	v_mov_b32_e32 v32, 0x7f800001
	s_mov_b32 s16, exec_lo
	s_delay_alu instid0(VALU_DEP_2) | instskip(NEXT) | instid1(VALU_DEP_1)
	v_and_b32_e32 v19, 0x7f, v18
	v_cmpx_ne_u32_e32 0x7f, v19
	s_cbranch_execz .LBB362_820
; %bb.817:                              ;   in Loop: Header=BB362_806 Depth=1
	v_dual_lshrrev_b32 v18, 3, v19 :: v_dual_bitop2_b32 v22, 7, v18 bitop3:0x40
	s_mov_b32 s17, exec_lo
	v_cmpx_gt_u32_e32 8, v19
; %bb.818:                              ;   in Loop: Header=BB362_806 Depth=1
	s_delay_alu instid0(VALU_DEP_2) | instskip(NEXT) | instid1(VALU_DEP_1)
	v_clz_i32_u32_e32 v2, v22
	v_min_u32_e32 v2, 32, v2
	s_delay_alu instid0(VALU_DEP_1) | instskip(NEXT) | instid1(VALU_DEP_1)
	v_subrev_nc_u32_e32 v3, 28, v2
	v_lshlrev_b64_e32 v[32:33], v3, v[22:23]
	s_delay_alu instid0(VALU_DEP_1)
	v_dual_sub_nc_u32 v18, 29, v2 :: v_dual_bitop2_b32 v22, 7, v32 bitop3:0x40
; %bb.819:                              ;   in Loop: Header=BB362_806 Depth=1
	s_or_b32 exec_lo, exec_lo, s17
	s_delay_alu instid0(VALU_DEP_1) | instskip(NEXT) | instid1(VALU_DEP_2)
	v_dual_lshlrev_b32 v2, 16, v0 :: v_dual_lshlrev_b32 v3, 20, v22
	v_lshl_add_u32 v4, v18, 23, 0x3c000000
	s_delay_alu instid0(VALU_DEP_2) | instskip(NEXT) | instid1(VALU_DEP_1)
	v_and_b32_e32 v2, 0x80000000, v2
	v_or3_b32 v32, v3, v2, v4
.LBB362_820:                            ;   in Loop: Header=BB362_806 Depth=1
	s_or_b32 exec_lo, exec_lo, s16
.LBB362_821:                            ;   in Loop: Header=BB362_806 Depth=1
	s_delay_alu instid0(SALU_CYCLE_1)
	s_or_b32 exec_lo, exec_lo, s15
.LBB362_822:                            ;   in Loop: Header=BB362_806 Depth=1
	s_delay_alu instid0(SALU_CYCLE_1) | instskip(SKIP_2) | instid1(VALU_DEP_1)
	s_or_b32 exec_lo, exec_lo, s0
	v_lshrrev_b32_e32 v18, 16, v0
	s_mov_b32 s0, exec_lo
	v_and_b32_e32 v19, 0xff, v18
	s_delay_alu instid0(VALU_DEP_1)
	v_cmpx_ne_u16_e32 0, v19
	s_cbranch_execz .LBB362_830
; %bb.823:                              ;   in Loop: Header=BB362_806 Depth=1
	v_bfrev_b32_e32 v29, 1
	s_mov_b32 s15, exec_lo
	v_cmpx_ne_u16_e32 0x80, v19
	s_cbranch_execz .LBB362_829
; %bb.824:                              ;   in Loop: Header=BB362_806 Depth=1
	v_bfe_u32 v33, v0, 16, 7
	v_mov_b32_e32 v29, 0x7f800001
	s_mov_b32 s16, exec_lo
	s_delay_alu instid0(VALU_DEP_2)
	v_cmpx_ne_u32_e32 0x7f, v33
	s_cbranch_execz .LBB362_828
; %bb.825:                              ;   in Loop: Header=BB362_806 Depth=1
	v_dual_lshrrev_b32 v19, 3, v33 :: v_dual_bitop2_b32 v22, 7, v18 bitop3:0x40
	s_mov_b32 s17, exec_lo
	v_cmpx_gt_u32_e32 8, v33
; %bb.826:                              ;   in Loop: Header=BB362_806 Depth=1
	s_delay_alu instid0(VALU_DEP_2) | instskip(NEXT) | instid1(VALU_DEP_1)
	v_clz_i32_u32_e32 v2, v22
	v_min_u32_e32 v2, 32, v2
	s_delay_alu instid0(VALU_DEP_1) | instskip(NEXT) | instid1(VALU_DEP_1)
	v_subrev_nc_u32_e32 v3, 28, v2
	v_lshlrev_b64_e32 v[48:49], v3, v[22:23]
	s_delay_alu instid0(VALU_DEP_1)
	v_dual_sub_nc_u32 v19, 29, v2 :: v_dual_bitop2_b32 v22, 7, v48 bitop3:0x40
; %bb.827:                              ;   in Loop: Header=BB362_806 Depth=1
	s_or_b32 exec_lo, exec_lo, s17
	v_lshlrev_b32_e32 v2, 24, v18
	s_delay_alu instid0(VALU_DEP_2) | instskip(NEXT) | instid1(VALU_DEP_3)
	v_lshlrev_b32_e32 v3, 20, v22
	v_lshl_add_u32 v4, v19, 23, 0x3c000000
	s_delay_alu instid0(VALU_DEP_3) | instskip(NEXT) | instid1(VALU_DEP_1)
	v_and_b32_e32 v2, 0x80000000, v2
	v_or3_b32 v29, v3, v2, v4
.LBB362_828:                            ;   in Loop: Header=BB362_806 Depth=1
	s_or_b32 exec_lo, exec_lo, s16
.LBB362_829:                            ;   in Loop: Header=BB362_806 Depth=1
	s_delay_alu instid0(SALU_CYCLE_1)
	s_or_b32 exec_lo, exec_lo, s15
.LBB362_830:                            ;   in Loop: Header=BB362_806 Depth=1
	s_delay_alu instid0(SALU_CYCLE_1)
	s_or_b32 exec_lo, exec_lo, s0
	v_dual_mov_b32 v33, 0 :: v_dual_mov_b32 v34, 0
	s_mov_b32 s0, exec_lo
	v_cmpx_lt_u32_e32 0xffffff, v0
	s_cbranch_execz .LBB362_838
; %bb.831:                              ;   in Loop: Header=BB362_806 Depth=1
	v_lshrrev_b32_e32 v18, 24, v0
	v_bfrev_b32_e32 v34, 1
	s_mov_b32 s15, exec_lo
	s_delay_alu instid0(VALU_DEP_2)
	v_cmpx_ne_u32_e32 0x80, v18
	s_cbranch_execz .LBB362_837
; %bb.832:                              ;   in Loop: Header=BB362_806 Depth=1
	v_bfe_u32 v39, v0, 24, 7
	v_mov_b32_e32 v34, 0x7f800001
	s_mov_b32 s16, exec_lo
	s_delay_alu instid0(VALU_DEP_2)
	v_cmpx_ne_u32_e32 0x7f, v39
	s_cbranch_execz .LBB362_836
; %bb.833:                              ;   in Loop: Header=BB362_806 Depth=1
	v_dual_lshrrev_b32 v19, 3, v39 :: v_dual_bitop2_b32 v22, 7, v18 bitop3:0x40
	s_mov_b32 s17, exec_lo
	v_cmpx_gt_u32_e32 8, v39
; %bb.834:                              ;   in Loop: Header=BB362_806 Depth=1
	s_delay_alu instid0(VALU_DEP_2) | instskip(NEXT) | instid1(VALU_DEP_1)
	v_clz_i32_u32_e32 v2, v22
	v_min_u32_e32 v2, 32, v2
	s_delay_alu instid0(VALU_DEP_1) | instskip(NEXT) | instid1(VALU_DEP_1)
	v_subrev_nc_u32_e32 v3, 28, v2
	v_lshlrev_b64_e32 v[48:49], v3, v[22:23]
	s_delay_alu instid0(VALU_DEP_1)
	v_dual_sub_nc_u32 v19, 29, v2 :: v_dual_bitop2_b32 v22, 7, v48 bitop3:0x40
; %bb.835:                              ;   in Loop: Header=BB362_806 Depth=1
	s_or_b32 exec_lo, exec_lo, s17
	v_lshlrev_b32_e32 v2, 24, v18
	s_delay_alu instid0(VALU_DEP_2) | instskip(NEXT) | instid1(VALU_DEP_3)
	v_lshlrev_b32_e32 v3, 20, v22
	v_lshl_add_u32 v4, v19, 23, 0x3c000000
	s_delay_alu instid0(VALU_DEP_3) | instskip(NEXT) | instid1(VALU_DEP_1)
	v_and_b32_e32 v2, 0x80000000, v2
	v_or3_b32 v34, v3, v2, v4
.LBB362_836:                            ;   in Loop: Header=BB362_806 Depth=1
	s_or_b32 exec_lo, exec_lo, s16
.LBB362_837:                            ;   in Loop: Header=BB362_806 Depth=1
	s_delay_alu instid0(SALU_CYCLE_1)
	s_or_b32 exec_lo, exec_lo, s15
.LBB362_838:                            ;   in Loop: Header=BB362_806 Depth=1
	s_delay_alu instid0(SALU_CYCLE_1) | instskip(SKIP_3) | instid1(VALU_DEP_2)
	s_or_b32 exec_lo, exec_lo, s0
	v_and_b32_e32 v18, 0xff, v1
	v_mov_b32_e32 v22, v1
	s_mov_b32 s0, exec_lo
	v_cmpx_ne_u16_e32 0, v18
	s_cbranch_execz .LBB362_846
; %bb.839:                              ;   in Loop: Header=BB362_806 Depth=1
	v_bfrev_b32_e32 v33, 1
	s_mov_b32 s15, exec_lo
	v_cmpx_ne_u16_e32 0x80, v18
	s_cbranch_execz .LBB362_845
; %bb.840:                              ;   in Loop: Header=BB362_806 Depth=1
	v_and_b32_e32 v18, 0x7f, v1
	v_mov_b32_e32 v33, 0x7f800001
	s_mov_b32 s16, exec_lo
	s_delay_alu instid0(VALU_DEP_2)
	v_cmpx_ne_u32_e32 0x7f, v18
	s_cbranch_execz .LBB362_844
; %bb.841:                              ;   in Loop: Header=BB362_806 Depth=1
	v_lshrrev_b32_e32 v33, 3, v18
	v_cmp_gt_u32_e32 vcc_lo, 8, v18
	v_mov_b64_e32 v[18:19], v[22:23]
	s_and_saveexec_b32 s17, vcc_lo
; %bb.842:                              ;   in Loop: Header=BB362_806 Depth=1
	v_and_b32_e32 v2, 7, v1
	s_delay_alu instid0(VALU_DEP_1) | instskip(NEXT) | instid1(VALU_DEP_1)
	v_clz_i32_u32_e32 v2, v2
	v_min_u32_e32 v2, 32, v2
	s_delay_alu instid0(VALU_DEP_1) | instskip(SKIP_1) | instid1(VALU_DEP_2)
	v_subrev_nc_u32_e32 v3, 28, v2
	v_sub_nc_u32_e32 v33, 29, v2
	v_lshlrev_b64_e32 v[18:19], v3, v[22:23]
; %bb.843:                              ;   in Loop: Header=BB362_806 Depth=1
	s_or_b32 exec_lo, exec_lo, s17
	s_delay_alu instid0(VALU_DEP_1) | instskip(SKIP_2) | instid1(VALU_DEP_3)
	v_lshlrev_b32_e32 v2, 20, v18
	v_lshlrev_b32_e32 v3, 24, v22
	v_lshl_add_u32 v4, v33, 23, 0x3c000000
	v_and_b32_e32 v2, 0x700000, v2
	s_delay_alu instid0(VALU_DEP_3) | instskip(NEXT) | instid1(VALU_DEP_1)
	v_and_b32_e32 v3, 0x80000000, v3
	v_or3_b32 v33, v2, v3, v4
.LBB362_844:                            ;   in Loop: Header=BB362_806 Depth=1
	s_or_b32 exec_lo, exec_lo, s16
.LBB362_845:                            ;   in Loop: Header=BB362_806 Depth=1
	s_delay_alu instid0(SALU_CYCLE_1)
	s_or_b32 exec_lo, exec_lo, s15
.LBB362_846:                            ;   in Loop: Header=BB362_806 Depth=1
	s_delay_alu instid0(SALU_CYCLE_1) | instskip(SKIP_3) | instid1(VALU_DEP_2)
	s_or_b32 exec_lo, exec_lo, s0
	v_lshrrev_b16 v19, 8, v22
	v_dual_mov_b32 v39, 0 :: v_dual_mov_b32 v18, 0
	s_mov_b32 s0, exec_lo
	v_cmpx_ne_u16_e32 0, v19
	s_cbranch_execz .LBB362_854
; %bb.847:                              ;   in Loop: Header=BB362_806 Depth=1
	v_bfrev_b32_e32 v18, 1
	s_mov_b32 s15, exec_lo
	v_cmpx_ne_u16_e32 0x80, v19
	s_cbranch_execz .LBB362_853
; %bb.848:                              ;   in Loop: Header=BB362_806 Depth=1
	v_and_b32_e32 v19, 0xffff, v19
	v_mov_b32_e32 v18, 0x7f800001
	s_mov_b32 s16, exec_lo
	s_delay_alu instid0(VALU_DEP_2) | instskip(NEXT) | instid1(VALU_DEP_1)
	v_and_b32_e32 v49, 0x7f, v19
	v_cmpx_ne_u32_e32 0x7f, v49
	s_cbranch_execz .LBB362_852
; %bb.849:                              ;   in Loop: Header=BB362_806 Depth=1
	v_dual_mov_b32 v19, v23 :: v_dual_bitop2_b32 v18, 7, v19 bitop3:0x40
	v_lshrrev_b32_e32 v48, 3, v49
	s_mov_b32 s17, exec_lo
	v_cmpx_gt_u32_e32 8, v49
; %bb.850:                              ;   in Loop: Header=BB362_806 Depth=1
	s_delay_alu instid0(VALU_DEP_3) | instskip(NEXT) | instid1(VALU_DEP_1)
	v_clz_i32_u32_e32 v2, v18
	v_min_u32_e32 v2, 32, v2
	s_delay_alu instid0(VALU_DEP_1) | instskip(SKIP_1) | instid1(VALU_DEP_2)
	v_subrev_nc_u32_e32 v3, 28, v2
	v_sub_nc_u32_e32 v48, 29, v2
	v_lshlrev_b64_e32 v[18:19], v3, v[18:19]
	s_delay_alu instid0(VALU_DEP_1)
	v_and_b32_e32 v18, 7, v18
; %bb.851:                              ;   in Loop: Header=BB362_806 Depth=1
	s_or_b32 exec_lo, exec_lo, s17
	v_lshlrev_b32_e32 v2, 16, v22
	s_delay_alu instid0(VALU_DEP_2) | instskip(SKIP_1) | instid1(VALU_DEP_3)
	v_lshlrev_b32_e32 v3, 20, v18
	v_lshl_add_u32 v4, v48, 23, 0x3c000000
	v_and_b32_e32 v2, 0x80000000, v2
	s_delay_alu instid0(VALU_DEP_1)
	v_or3_b32 v18, v3, v2, v4
.LBB362_852:                            ;   in Loop: Header=BB362_806 Depth=1
	s_or_b32 exec_lo, exec_lo, s16
.LBB362_853:                            ;   in Loop: Header=BB362_806 Depth=1
	s_delay_alu instid0(SALU_CYCLE_1)
	s_or_b32 exec_lo, exec_lo, s15
.LBB362_854:                            ;   in Loop: Header=BB362_806 Depth=1
	s_delay_alu instid0(SALU_CYCLE_1) | instskip(SKIP_2) | instid1(VALU_DEP_1)
	s_or_b32 exec_lo, exec_lo, s0
	v_lshrrev_b32_e32 v19, 16, v1
	s_mov_b32 s0, exec_lo
	v_and_b32_e32 v22, 0xff, v19
	s_delay_alu instid0(VALU_DEP_1)
	v_cmpx_ne_u16_e32 0, v22
	s_cbranch_execz .LBB362_862
; %bb.855:                              ;   in Loop: Header=BB362_806 Depth=1
	v_bfrev_b32_e32 v39, 1
	s_mov_b32 s15, exec_lo
	v_cmpx_ne_u16_e32 0x80, v22
	s_cbranch_execz .LBB362_861
; %bb.856:                              ;   in Loop: Header=BB362_806 Depth=1
	v_bfe_u32 v48, v1, 16, 7
	v_mov_b32_e32 v39, 0x7f800001
	s_mov_b32 s16, exec_lo
	s_delay_alu instid0(VALU_DEP_2)
	v_cmpx_ne_u32_e32 0x7f, v48
	s_cbranch_execz .LBB362_860
; %bb.857:                              ;   in Loop: Header=BB362_806 Depth=1
	v_dual_lshrrev_b32 v39, 3, v48 :: v_dual_bitop2_b32 v22, 7, v19 bitop3:0x40
	s_mov_b32 s17, exec_lo
	v_cmpx_gt_u32_e32 8, v48
; %bb.858:                              ;   in Loop: Header=BB362_806 Depth=1
	s_delay_alu instid0(VALU_DEP_2) | instskip(NEXT) | instid1(VALU_DEP_1)
	v_clz_i32_u32_e32 v2, v22
	v_min_u32_e32 v2, 32, v2
	s_delay_alu instid0(VALU_DEP_1) | instskip(NEXT) | instid1(VALU_DEP_1)
	v_subrev_nc_u32_e32 v3, 28, v2
	v_lshlrev_b64_e32 v[48:49], v3, v[22:23]
	s_delay_alu instid0(VALU_DEP_1)
	v_dual_sub_nc_u32 v39, 29, v2 :: v_dual_bitop2_b32 v22, 7, v48 bitop3:0x40
; %bb.859:                              ;   in Loop: Header=BB362_806 Depth=1
	s_or_b32 exec_lo, exec_lo, s17
	s_delay_alu instid0(VALU_DEP_1) | instskip(NEXT) | instid1(VALU_DEP_2)
	v_dual_lshlrev_b32 v2, 24, v19 :: v_dual_lshlrev_b32 v3, 20, v22
	v_lshl_add_u32 v4, v39, 23, 0x3c000000
	s_delay_alu instid0(VALU_DEP_2) | instskip(NEXT) | instid1(VALU_DEP_1)
	v_and_b32_e32 v2, 0x80000000, v2
	v_or3_b32 v39, v3, v2, v4
.LBB362_860:                            ;   in Loop: Header=BB362_806 Depth=1
	s_or_b32 exec_lo, exec_lo, s16
.LBB362_861:                            ;   in Loop: Header=BB362_806 Depth=1
	s_delay_alu instid0(SALU_CYCLE_1)
	s_or_b32 exec_lo, exec_lo, s15
.LBB362_862:                            ;   in Loop: Header=BB362_806 Depth=1
	s_delay_alu instid0(SALU_CYCLE_1)
	s_or_b32 exec_lo, exec_lo, s0
	v_mov_b32_e32 v19, 0
	s_mov_b32 s0, exec_lo
	v_cmpx_lt_u64_e64 s[2:3], v[0:1]
	s_cbranch_execz .LBB362_870
; %bb.863:                              ;   in Loop: Header=BB362_806 Depth=1
	v_lshrrev_b32_e32 v0, 24, v1
	v_bfrev_b32_e32 v19, 1
	s_mov_b32 s15, exec_lo
	s_delay_alu instid0(VALU_DEP_2)
	v_cmpx_ne_u32_e32 0x80, v0
	s_cbranch_execz .LBB362_869
; %bb.864:                              ;   in Loop: Header=BB362_806 Depth=1
	v_bfe_u32 v48, v1, 24, 7
	v_mov_b32_e32 v19, 0x7f800001
	s_mov_b32 s16, exec_lo
	s_delay_alu instid0(VALU_DEP_2)
	v_cmpx_ne_u32_e32 0x7f, v48
	s_cbranch_execz .LBB362_868
; %bb.865:                              ;   in Loop: Header=BB362_806 Depth=1
	v_and_b32_e32 v22, 7, v0
	v_lshrrev_b32_e32 v1, 3, v48
	s_mov_b32 s17, exec_lo
	v_cmpx_gt_u32_e32 8, v48
; %bb.866:                              ;   in Loop: Header=BB362_806 Depth=1
	s_delay_alu instid0(VALU_DEP_3) | instskip(NEXT) | instid1(VALU_DEP_1)
	v_clz_i32_u32_e32 v1, v22
	v_min_u32_e32 v1, 32, v1
	s_delay_alu instid0(VALU_DEP_1) | instskip(NEXT) | instid1(VALU_DEP_1)
	v_subrev_nc_u32_e32 v2, 28, v1
	v_lshlrev_b64_e32 v[48:49], v2, v[22:23]
	s_delay_alu instid0(VALU_DEP_1)
	v_dual_sub_nc_u32 v1, 29, v1 :: v_dual_bitop2_b32 v22, 7, v48 bitop3:0x40
; %bb.867:                              ;   in Loop: Header=BB362_806 Depth=1
	s_or_b32 exec_lo, exec_lo, s17
	s_delay_alu instid0(VALU_DEP_1) | instskip(NEXT) | instid1(VALU_DEP_2)
	v_dual_lshlrev_b32 v0, 24, v0 :: v_dual_lshlrev_b32 v2, 20, v22
	v_lshl_add_u32 v1, v1, 23, 0x3c000000
	s_delay_alu instid0(VALU_DEP_2) | instskip(NEXT) | instid1(VALU_DEP_1)
	v_and_b32_e32 v0, 0x80000000, v0
	v_or3_b32 v19, v2, v0, v1
.LBB362_868:                            ;   in Loop: Header=BB362_806 Depth=1
	s_or_b32 exec_lo, exec_lo, s16
.LBB362_869:                            ;   in Loop: Header=BB362_806 Depth=1
	s_delay_alu instid0(SALU_CYCLE_1)
	s_or_b32 exec_lo, exec_lo, s15
.LBB362_870:                            ;   in Loop: Header=BB362_806 Depth=1
	s_delay_alu instid0(SALU_CYCLE_1)
	s_or_b32 exec_lo, exec_lo, s0
	scratch_load_b32 v0, off, s32 offset:192 ; 4-byte Folded Reload
	v_fma_mixlo_bf16 v1, v35, v33, 0
	v_dual_add_nc_u32 v81, -7, v36 :: v_dual_add_nc_u32 v85, -6, v36
	v_fma_mixlo_bf16 v54, v35, v18, 0
	v_dual_add_nc_u32 v84, -5, v36 :: v_dual_add_nc_u32 v83, -4, v36
	v_dual_add_nc_u32 v82, -3, v36 :: v_dual_add_nc_u32 v80, -2, v36
	v_add_nc_u32_e32 v71, -1, v36
	s_wait_loadcnt 0x0
	v_add_nc_u32_e32 v0, -1, v0
	s_delay_alu instid0(VALU_DEP_1)
	v_cmp_eq_u32_e32 vcc_lo, v0, v38
	v_fma_mixlo_bf16 v0, v35, v29, 0
	scratch_store_b32 off, v0, s32 offset:220 ; 4-byte Folded Spill
	s_wait_xcnt 0x0
	v_fma_mixlo_bf16 v0, v35, v32, 0
	scratch_store_b32 off, v0, s32 offset:228 ; 4-byte Folded Spill
	s_wait_xcnt 0x0
	;; [unrolled: 3-line block ×5, first 2 shown]
	v_fma_mixlo_bf16 v0, v35, v19, 0
	s_clause 0x1
	scratch_store_b32 off, v1, s32 offset:212
	scratch_store_b32 off, v0, s32 offset:204
	s_wait_xcnt 0x0
	s_and_saveexec_b32 s15, vcc_lo
	s_cbranch_execz .LBB362_872
; %bb.871:                              ;   in Loop: Header=BB362_806 Depth=1
	scratch_load_b32 v0, off, s32 offset:236 ; 4-byte Folded Reload
	v_cmp_lt_i32_e64 s0, v81, v118
	s_wait_loadcnt 0x0
	s_delay_alu instid0(VALU_DEP_1)
	v_cndmask_b32_e64 v0, 0, v0, s0
	v_cmp_lt_i32_e64 s0, v85, v118
	s_clause 0x1
	scratch_store_b32 off, v0, s32 offset:236
	scratch_load_b32 v0, off, s32 offset:228
	s_wait_loadcnt 0x0
	v_cndmask_b32_e64 v0, 0, v0, s0
	v_cmp_lt_i32_e64 s0, v84, v118
	s_clause 0x1
	scratch_store_b32 off, v0, s32 offset:228
	scratch_load_b32 v0, off, s32 offset:220
	s_wait_loadcnt 0x0
	;; [unrolled: 6-line block ×4, first 2 shown]
	v_cndmask_b32_e64 v0, 0, v0, s0
	v_cmp_lt_i32_e64 s0, v80, v118
	s_clause 0x1
	scratch_store_b32 off, v0, s32 offset:196
	scratch_load_b32 v0, off, s32 offset:200
	v_cndmask_b32_e64 v54, 0, v54, s0
	v_cmp_lt_i32_e64 s0, v71, v118
	s_wait_loadcnt 0x0
	s_delay_alu instid0(VALU_DEP_1)
	v_cndmask_b32_e64 v0, 0, v0, s0
	v_cmp_lt_i32_e64 s0, v36, v118
	s_clause 0x1
	scratch_store_b32 off, v0, s32 offset:200
	scratch_load_b32 v0, off, s32 offset:204
	s_wait_loadcnt 0x0
	v_cndmask_b32_e64 v0, 0, v0, s0
	scratch_store_b32 off, v0, s32 offset:204 ; 4-byte Folded Spill
.LBB362_872:                            ;   in Loop: Header=BB362_806 Depth=1
	s_wait_xcnt 0x0
	s_or_b32 exec_lo, exec_lo, s15
	flat_load_b64 v[0:1], v[30:31] offset:256
	v_dual_mov_b32 v29, 0 :: v_dual_mov_b32 v28, 0
	s_mov_b32 s15, exec_lo
	s_wait_loadcnt_dscnt 0x0
	v_and_b32_e32 v18, 0xff, v0
	s_wait_xcnt 0x0
	s_delay_alu instid0(VALU_DEP_1)
	v_cmpx_ne_u16_e32 0, v18
	s_cbranch_execz .LBB362_880
; %bb.873:                              ;   in Loop: Header=BB362_806 Depth=1
	v_bfrev_b32_e32 v28, 1
	s_mov_b32 s16, exec_lo
	v_cmpx_ne_u16_e32 0x80, v18
	s_cbranch_execz .LBB362_879
; %bb.874:                              ;   in Loop: Header=BB362_806 Depth=1
	v_and_b32_e32 v18, 0x7f, v0
	v_mov_b32_e32 v28, 0x7f800001
	s_mov_b32 s17, exec_lo
	s_delay_alu instid0(VALU_DEP_2)
	v_cmpx_ne_u32_e32 0x7f, v18
	s_cbranch_execz .LBB362_878
; %bb.875:                              ;   in Loop: Header=BB362_806 Depth=1
	v_lshrrev_b32_e32 v22, 3, v18
	v_cmp_gt_u32_e64 s0, 8, v18
	v_mov_b64_e32 v[18:19], v[0:1]
	s_and_saveexec_b32 s18, s0
; %bb.876:                              ;   in Loop: Header=BB362_806 Depth=1
	v_and_b32_e32 v2, 7, v0
	s_delay_alu instid0(VALU_DEP_1) | instskip(NEXT) | instid1(VALU_DEP_1)
	v_clz_i32_u32_e32 v2, v2
	v_min_u32_e32 v2, 32, v2
	s_delay_alu instid0(VALU_DEP_1) | instskip(SKIP_1) | instid1(VALU_DEP_2)
	v_subrev_nc_u32_e32 v3, 28, v2
	v_sub_nc_u32_e32 v22, 29, v2
	v_lshlrev_b64_e32 v[18:19], v3, v[0:1]
; %bb.877:                              ;   in Loop: Header=BB362_806 Depth=1
	s_or_b32 exec_lo, exec_lo, s18
	s_delay_alu instid0(VALU_DEP_1) | instskip(NEXT) | instid1(VALU_DEP_3)
	v_dual_lshlrev_b32 v2, 20, v18 :: v_dual_lshlrev_b32 v3, 24, v0
	v_lshl_add_u32 v4, v22, 23, 0x3c000000
	s_delay_alu instid0(VALU_DEP_2) | instskip(NEXT) | instid1(VALU_DEP_3)
	v_and_b32_e32 v2, 0x700000, v2
	v_and_b32_e32 v3, 0x80000000, v3
	s_delay_alu instid0(VALU_DEP_1)
	v_or3_b32 v28, v2, v3, v4
.LBB362_878:                            ;   in Loop: Header=BB362_806 Depth=1
	s_or_b32 exec_lo, exec_lo, s17
.LBB362_879:                            ;   in Loop: Header=BB362_806 Depth=1
	s_delay_alu instid0(SALU_CYCLE_1)
	s_or_b32 exec_lo, exec_lo, s16
.LBB362_880:                            ;   in Loop: Header=BB362_806 Depth=1
	s_delay_alu instid0(SALU_CYCLE_1) | instskip(SKIP_2) | instid1(VALU_DEP_1)
	s_or_b32 exec_lo, exec_lo, s15
	v_lshrrev_b16 v18, 8, v0
	s_mov_b32 s15, exec_lo
	v_cmpx_ne_u16_e32 0, v18
	s_cbranch_execz .LBB362_888
; %bb.881:                              ;   in Loop: Header=BB362_806 Depth=1
	v_bfrev_b32_e32 v29, 1
	s_mov_b32 s16, exec_lo
	v_cmpx_ne_u16_e32 0x80, v18
	s_cbranch_execz .LBB362_887
; %bb.882:                              ;   in Loop: Header=BB362_806 Depth=1
	v_and_b32_e32 v18, 0xffff, v18
	v_mov_b32_e32 v29, 0x7f800001
	s_mov_b32 s17, exec_lo
	s_delay_alu instid0(VALU_DEP_2) | instskip(NEXT) | instid1(VALU_DEP_1)
	v_and_b32_e32 v19, 0x7f, v18
	v_cmpx_ne_u32_e32 0x7f, v19
	s_cbranch_execz .LBB362_886
; %bb.883:                              ;   in Loop: Header=BB362_806 Depth=1
	v_dual_lshrrev_b32 v18, 3, v19 :: v_dual_bitop2_b32 v22, 7, v18 bitop3:0x40
	s_mov_b32 s18, exec_lo
	v_cmpx_gt_u32_e32 8, v19
; %bb.884:                              ;   in Loop: Header=BB362_806 Depth=1
	s_delay_alu instid0(VALU_DEP_2) | instskip(NEXT) | instid1(VALU_DEP_1)
	v_clz_i32_u32_e32 v2, v22
	v_min_u32_e32 v2, 32, v2
	s_delay_alu instid0(VALU_DEP_1) | instskip(NEXT) | instid1(VALU_DEP_1)
	v_subrev_nc_u32_e32 v3, 28, v2
	v_lshlrev_b64_e32 v[32:33], v3, v[22:23]
	s_delay_alu instid0(VALU_DEP_1)
	v_dual_sub_nc_u32 v18, 29, v2 :: v_dual_bitop2_b32 v22, 7, v32 bitop3:0x40
; %bb.885:                              ;   in Loop: Header=BB362_806 Depth=1
	s_or_b32 exec_lo, exec_lo, s18
	s_delay_alu instid0(VALU_DEP_1) | instskip(NEXT) | instid1(VALU_DEP_2)
	v_dual_lshlrev_b32 v2, 16, v0 :: v_dual_lshlrev_b32 v3, 20, v22
	v_lshl_add_u32 v4, v18, 23, 0x3c000000
	s_delay_alu instid0(VALU_DEP_2) | instskip(NEXT) | instid1(VALU_DEP_1)
	v_and_b32_e32 v2, 0x80000000, v2
	v_or3_b32 v29, v3, v2, v4
.LBB362_886:                            ;   in Loop: Header=BB362_806 Depth=1
	s_or_b32 exec_lo, exec_lo, s17
.LBB362_887:                            ;   in Loop: Header=BB362_806 Depth=1
	s_delay_alu instid0(SALU_CYCLE_1)
	s_or_b32 exec_lo, exec_lo, s16
.LBB362_888:                            ;   in Loop: Header=BB362_806 Depth=1
	s_delay_alu instid0(SALU_CYCLE_1) | instskip(SKIP_3) | instid1(VALU_DEP_2)
	s_or_b32 exec_lo, exec_lo, s15
	v_dual_mov_b32 v33, 0 :: v_dual_lshrrev_b32 v18, 16, v0
	v_mov_b32_e32 v32, 0
	s_mov_b32 s15, exec_lo
	v_and_b32_e32 v19, 0xff, v18
	s_delay_alu instid0(VALU_DEP_1)
	v_cmpx_ne_u16_e32 0, v19
	s_cbranch_execz .LBB362_896
; %bb.889:                              ;   in Loop: Header=BB362_806 Depth=1
	v_bfrev_b32_e32 v32, 1
	s_mov_b32 s16, exec_lo
	v_cmpx_ne_u16_e32 0x80, v19
	s_cbranch_execz .LBB362_895
; %bb.890:                              ;   in Loop: Header=BB362_806 Depth=1
	v_bfe_u32 v34, v0, 16, 7
	v_mov_b32_e32 v32, 0x7f800001
	s_mov_b32 s17, exec_lo
	s_delay_alu instid0(VALU_DEP_2)
	v_cmpx_ne_u32_e32 0x7f, v34
	s_cbranch_execz .LBB362_894
; %bb.891:                              ;   in Loop: Header=BB362_806 Depth=1
	v_and_b32_e32 v22, 7, v18
	v_lshrrev_b32_e32 v19, 3, v34
	s_mov_b32 s18, exec_lo
	v_cmpx_gt_u32_e32 8, v34
; %bb.892:                              ;   in Loop: Header=BB362_806 Depth=1
	s_delay_alu instid0(VALU_DEP_3) | instskip(NEXT) | instid1(VALU_DEP_1)
	v_clz_i32_u32_e32 v2, v22
	v_min_u32_e32 v2, 32, v2
	s_delay_alu instid0(VALU_DEP_1) | instskip(NEXT) | instid1(VALU_DEP_1)
	v_subrev_nc_u32_e32 v3, 28, v2
	v_lshlrev_b64_e32 v[48:49], v3, v[22:23]
	s_delay_alu instid0(VALU_DEP_1)
	v_dual_sub_nc_u32 v19, 29, v2 :: v_dual_bitop2_b32 v22, 7, v48 bitop3:0x40
; %bb.893:                              ;   in Loop: Header=BB362_806 Depth=1
	s_or_b32 exec_lo, exec_lo, s18
	v_lshlrev_b32_e32 v2, 24, v18
	s_delay_alu instid0(VALU_DEP_2) | instskip(NEXT) | instid1(VALU_DEP_3)
	v_lshlrev_b32_e32 v3, 20, v22
	v_lshl_add_u32 v4, v19, 23, 0x3c000000
	s_delay_alu instid0(VALU_DEP_3) | instskip(NEXT) | instid1(VALU_DEP_1)
	v_and_b32_e32 v2, 0x80000000, v2
	v_or3_b32 v32, v3, v2, v4
.LBB362_894:                            ;   in Loop: Header=BB362_806 Depth=1
	s_or_b32 exec_lo, exec_lo, s17
.LBB362_895:                            ;   in Loop: Header=BB362_806 Depth=1
	s_delay_alu instid0(SALU_CYCLE_1)
	s_or_b32 exec_lo, exec_lo, s16
.LBB362_896:                            ;   in Loop: Header=BB362_806 Depth=1
	s_delay_alu instid0(SALU_CYCLE_1) | instskip(NEXT) | instid1(SALU_CYCLE_1)
	s_or_b32 exec_lo, exec_lo, s15
	s_mov_b32 s15, exec_lo
	v_cmpx_lt_u32_e32 0xffffff, v0
	s_cbranch_execz .LBB362_904
; %bb.897:                              ;   in Loop: Header=BB362_806 Depth=1
	v_lshrrev_b32_e32 v18, 24, v0
	v_bfrev_b32_e32 v33, 1
	s_mov_b32 s16, exec_lo
	s_delay_alu instid0(VALU_DEP_2)
	v_cmpx_ne_u32_e32 0x80, v18
	s_cbranch_execz .LBB362_903
; %bb.898:                              ;   in Loop: Header=BB362_806 Depth=1
	v_bfe_u32 v34, v0, 24, 7
	v_mov_b32_e32 v33, 0x7f800001
	s_mov_b32 s17, exec_lo
	s_delay_alu instid0(VALU_DEP_2)
	v_cmpx_ne_u32_e32 0x7f, v34
	s_cbranch_execz .LBB362_902
; %bb.899:                              ;   in Loop: Header=BB362_806 Depth=1
	v_and_b32_e32 v22, 7, v18
	v_lshrrev_b32_e32 v19, 3, v34
	s_mov_b32 s18, exec_lo
	v_cmpx_gt_u32_e32 8, v34
; %bb.900:                              ;   in Loop: Header=BB362_806 Depth=1
	s_delay_alu instid0(VALU_DEP_3) | instskip(NEXT) | instid1(VALU_DEP_1)
	v_clz_i32_u32_e32 v2, v22
	v_min_u32_e32 v2, 32, v2
	s_delay_alu instid0(VALU_DEP_1) | instskip(NEXT) | instid1(VALU_DEP_1)
	v_subrev_nc_u32_e32 v3, 28, v2
	v_lshlrev_b64_e32 v[48:49], v3, v[22:23]
	s_delay_alu instid0(VALU_DEP_1)
	v_dual_sub_nc_u32 v19, 29, v2 :: v_dual_bitop2_b32 v22, 7, v48 bitop3:0x40
; %bb.901:                              ;   in Loop: Header=BB362_806 Depth=1
	s_or_b32 exec_lo, exec_lo, s18
	v_lshlrev_b32_e32 v2, 24, v18
	s_delay_alu instid0(VALU_DEP_2) | instskip(NEXT) | instid1(VALU_DEP_3)
	v_lshlrev_b32_e32 v3, 20, v22
	v_lshl_add_u32 v4, v19, 23, 0x3c000000
	s_delay_alu instid0(VALU_DEP_3) | instskip(NEXT) | instid1(VALU_DEP_1)
	v_and_b32_e32 v2, 0x80000000, v2
	v_or3_b32 v33, v3, v2, v4
.LBB362_902:                            ;   in Loop: Header=BB362_806 Depth=1
	s_or_b32 exec_lo, exec_lo, s17
.LBB362_903:                            ;   in Loop: Header=BB362_806 Depth=1
	s_delay_alu instid0(SALU_CYCLE_1)
	s_or_b32 exec_lo, exec_lo, s16
.LBB362_904:                            ;   in Loop: Header=BB362_806 Depth=1
	s_delay_alu instid0(SALU_CYCLE_1) | instskip(SKIP_4) | instid1(VALU_DEP_3)
	s_or_b32 exec_lo, exec_lo, s15
	v_and_b32_e32 v18, 0xff, v1
	v_dual_mov_b32 v22, v1 :: v_dual_mov_b32 v39, 0
	v_mov_b32_e32 v34, 0
	s_mov_b32 s15, exec_lo
	v_cmpx_ne_u16_e32 0, v18
	s_cbranch_execz .LBB362_912
; %bb.905:                              ;   in Loop: Header=BB362_806 Depth=1
	v_bfrev_b32_e32 v34, 1
	s_mov_b32 s16, exec_lo
	v_cmpx_ne_u16_e32 0x80, v18
	s_cbranch_execz .LBB362_911
; %bb.906:                              ;   in Loop: Header=BB362_806 Depth=1
	v_and_b32_e32 v18, 0x7f, v1
	v_mov_b32_e32 v34, 0x7f800001
	s_mov_b32 s17, exec_lo
	s_delay_alu instid0(VALU_DEP_2)
	v_cmpx_ne_u32_e32 0x7f, v18
	s_cbranch_execz .LBB362_910
; %bb.907:                              ;   in Loop: Header=BB362_806 Depth=1
	v_lshrrev_b32_e32 v34, 3, v18
	v_cmp_gt_u32_e64 s0, 8, v18
	v_mov_b64_e32 v[18:19], v[22:23]
	s_and_saveexec_b32 s18, s0
; %bb.908:                              ;   in Loop: Header=BB362_806 Depth=1
	v_and_b32_e32 v2, 7, v1
	s_delay_alu instid0(VALU_DEP_1) | instskip(NEXT) | instid1(VALU_DEP_1)
	v_clz_i32_u32_e32 v2, v2
	v_min_u32_e32 v2, 32, v2
	s_delay_alu instid0(VALU_DEP_1) | instskip(SKIP_1) | instid1(VALU_DEP_2)
	v_subrev_nc_u32_e32 v3, 28, v2
	v_sub_nc_u32_e32 v34, 29, v2
	v_lshlrev_b64_e32 v[18:19], v3, v[22:23]
; %bb.909:                              ;   in Loop: Header=BB362_806 Depth=1
	s_or_b32 exec_lo, exec_lo, s18
	s_delay_alu instid0(VALU_DEP_1) | instskip(SKIP_2) | instid1(VALU_DEP_3)
	v_lshlrev_b32_e32 v2, 20, v18
	v_lshlrev_b32_e32 v3, 24, v22
	v_lshl_add_u32 v4, v34, 23, 0x3c000000
	v_and_b32_e32 v2, 0x700000, v2
	s_delay_alu instid0(VALU_DEP_3) | instskip(NEXT) | instid1(VALU_DEP_1)
	v_and_b32_e32 v3, 0x80000000, v3
	v_or3_b32 v34, v2, v3, v4
.LBB362_910:                            ;   in Loop: Header=BB362_806 Depth=1
	s_or_b32 exec_lo, exec_lo, s17
.LBB362_911:                            ;   in Loop: Header=BB362_806 Depth=1
	s_delay_alu instid0(SALU_CYCLE_1)
	s_or_b32 exec_lo, exec_lo, s16
.LBB362_912:                            ;   in Loop: Header=BB362_806 Depth=1
	s_delay_alu instid0(SALU_CYCLE_1) | instskip(SKIP_2) | instid1(VALU_DEP_1)
	s_or_b32 exec_lo, exec_lo, s15
	v_lshrrev_b16 v18, 8, v22
	s_mov_b32 s15, exec_lo
	v_cmpx_ne_u16_e32 0, v18
	s_cbranch_execz .LBB362_920
; %bb.913:                              ;   in Loop: Header=BB362_806 Depth=1
	v_bfrev_b32_e32 v39, 1
	s_mov_b32 s16, exec_lo
	v_cmpx_ne_u16_e32 0x80, v18
	s_cbranch_execz .LBB362_919
; %bb.914:                              ;   in Loop: Header=BB362_806 Depth=1
	v_and_b32_e32 v18, 0xffff, v18
	v_mov_b32_e32 v39, 0x7f800001
	s_mov_b32 s17, exec_lo
	s_delay_alu instid0(VALU_DEP_2) | instskip(NEXT) | instid1(VALU_DEP_1)
	v_and_b32_e32 v48, 0x7f, v18
	v_cmpx_ne_u32_e32 0x7f, v48
	s_cbranch_execz .LBB362_918
; %bb.915:                              ;   in Loop: Header=BB362_806 Depth=1
	v_dual_mov_b32 v19, v23 :: v_dual_bitop2_b32 v18, 7, v18 bitop3:0x40
	v_lshrrev_b32_e32 v39, 3, v48
	s_mov_b32 s18, exec_lo
	v_cmpx_gt_u32_e32 8, v48
; %bb.916:                              ;   in Loop: Header=BB362_806 Depth=1
	s_delay_alu instid0(VALU_DEP_3) | instskip(NEXT) | instid1(VALU_DEP_1)
	v_clz_i32_u32_e32 v2, v18
	v_min_u32_e32 v2, 32, v2
	s_delay_alu instid0(VALU_DEP_1) | instskip(SKIP_1) | instid1(VALU_DEP_2)
	v_subrev_nc_u32_e32 v3, 28, v2
	v_sub_nc_u32_e32 v39, 29, v2
	v_lshlrev_b64_e32 v[18:19], v3, v[18:19]
	s_delay_alu instid0(VALU_DEP_1)
	v_and_b32_e32 v18, 7, v18
; %bb.917:                              ;   in Loop: Header=BB362_806 Depth=1
	s_or_b32 exec_lo, exec_lo, s18
	v_lshlrev_b32_e32 v2, 16, v22
	s_delay_alu instid0(VALU_DEP_2) | instskip(SKIP_1) | instid1(VALU_DEP_3)
	v_lshlrev_b32_e32 v3, 20, v18
	v_lshl_add_u32 v4, v39, 23, 0x3c000000
	v_and_b32_e32 v2, 0x80000000, v2
	s_delay_alu instid0(VALU_DEP_1)
	v_or3_b32 v39, v3, v2, v4
.LBB362_918:                            ;   in Loop: Header=BB362_806 Depth=1
	s_or_b32 exec_lo, exec_lo, s17
.LBB362_919:                            ;   in Loop: Header=BB362_806 Depth=1
	s_delay_alu instid0(SALU_CYCLE_1)
	s_or_b32 exec_lo, exec_lo, s16
.LBB362_920:                            ;   in Loop: Header=BB362_806 Depth=1
	s_delay_alu instid0(SALU_CYCLE_1) | instskip(SKIP_3) | instid1(VALU_DEP_2)
	s_or_b32 exec_lo, exec_lo, s15
	v_dual_lshrrev_b32 v48, 16, v1 :: v_dual_mov_b32 v18, 0
	v_mov_b32_e32 v19, 0
	s_mov_b32 s15, exec_lo
	v_and_b32_e32 v22, 0xff, v48
	s_delay_alu instid0(VALU_DEP_1)
	v_cmpx_ne_u16_e32 0, v22
	s_cbranch_execz .LBB362_928
; %bb.921:                              ;   in Loop: Header=BB362_806 Depth=1
	v_bfrev_b32_e32 v19, 1
	s_mov_b32 s16, exec_lo
	v_cmpx_ne_u16_e32 0x80, v22
	s_cbranch_execz .LBB362_927
; %bb.922:                              ;   in Loop: Header=BB362_806 Depth=1
	v_bfe_u32 v49, v1, 16, 7
	v_mov_b32_e32 v19, 0x7f800001
	s_mov_b32 s17, exec_lo
	s_delay_alu instid0(VALU_DEP_2)
	v_cmpx_ne_u32_e32 0x7f, v49
	s_cbranch_execz .LBB362_926
; %bb.923:                              ;   in Loop: Header=BB362_806 Depth=1
	v_dual_lshrrev_b32 v19, 3, v49 :: v_dual_bitop2_b32 v22, 7, v48 bitop3:0x40
	s_mov_b32 s18, exec_lo
	v_cmpx_gt_u32_e32 8, v49
; %bb.924:                              ;   in Loop: Header=BB362_806 Depth=1
	s_delay_alu instid0(VALU_DEP_2) | instskip(NEXT) | instid1(VALU_DEP_1)
	v_clz_i32_u32_e32 v2, v22
	v_min_u32_e32 v2, 32, v2
	s_delay_alu instid0(VALU_DEP_1) | instskip(SKIP_1) | instid1(VALU_DEP_2)
	v_subrev_nc_u32_e32 v3, 28, v2
	v_sub_nc_u32_e32 v19, 29, v2
	v_lshlrev_b64_e32 v[50:51], v3, v[22:23]
	s_delay_alu instid0(VALU_DEP_1)
	v_and_b32_e32 v22, 7, v50
; %bb.925:                              ;   in Loop: Header=BB362_806 Depth=1
	s_or_b32 exec_lo, exec_lo, s18
	s_delay_alu instid0(VALU_DEP_1) | instskip(SKIP_1) | instid1(VALU_DEP_2)
	v_dual_lshlrev_b32 v2, 24, v48 :: v_dual_lshlrev_b32 v3, 20, v22
	v_lshl_add_u32 v4, v19, 23, 0x3c000000
	v_and_b32_e32 v2, 0x80000000, v2
	s_delay_alu instid0(VALU_DEP_1)
	v_or3_b32 v19, v3, v2, v4
.LBB362_926:                            ;   in Loop: Header=BB362_806 Depth=1
	s_or_b32 exec_lo, exec_lo, s17
.LBB362_927:                            ;   in Loop: Header=BB362_806 Depth=1
	s_delay_alu instid0(SALU_CYCLE_1)
	s_or_b32 exec_lo, exec_lo, s16
.LBB362_928:                            ;   in Loop: Header=BB362_806 Depth=1
	s_delay_alu instid0(SALU_CYCLE_1) | instskip(NEXT) | instid1(SALU_CYCLE_1)
	s_or_b32 exec_lo, exec_lo, s15
	s_mov_b32 s15, exec_lo
	v_cmpx_lt_u64_e64 s[2:3], v[0:1]
	s_cbranch_execz .LBB362_936
; %bb.929:                              ;   in Loop: Header=BB362_806 Depth=1
	v_lshrrev_b32_e32 v0, 24, v1
	v_bfrev_b32_e32 v18, 1
	s_mov_b32 s16, exec_lo
	s_delay_alu instid0(VALU_DEP_2)
	v_cmpx_ne_u32_e32 0x80, v0
	s_cbranch_execz .LBB362_935
; %bb.930:                              ;   in Loop: Header=BB362_806 Depth=1
	v_bfe_u32 v48, v1, 24, 7
	v_mov_b32_e32 v18, 0x7f800001
	s_mov_b32 s17, exec_lo
	s_delay_alu instid0(VALU_DEP_2)
	v_cmpx_ne_u32_e32 0x7f, v48
	s_cbranch_execz .LBB362_934
; %bb.931:                              ;   in Loop: Header=BB362_806 Depth=1
	v_and_b32_e32 v22, 7, v0
	v_lshrrev_b32_e32 v1, 3, v48
	s_mov_b32 s18, exec_lo
	v_cmpx_gt_u32_e32 8, v48
; %bb.932:                              ;   in Loop: Header=BB362_806 Depth=1
	s_delay_alu instid0(VALU_DEP_3) | instskip(NEXT) | instid1(VALU_DEP_1)
	v_clz_i32_u32_e32 v1, v22
	v_min_u32_e32 v1, 32, v1
	s_delay_alu instid0(VALU_DEP_1) | instskip(NEXT) | instid1(VALU_DEP_1)
	v_subrev_nc_u32_e32 v2, 28, v1
	v_lshlrev_b64_e32 v[48:49], v2, v[22:23]
	s_delay_alu instid0(VALU_DEP_1)
	v_dual_sub_nc_u32 v1, 29, v1 :: v_dual_bitop2_b32 v22, 7, v48 bitop3:0x40
; %bb.933:                              ;   in Loop: Header=BB362_806 Depth=1
	s_or_b32 exec_lo, exec_lo, s18
	s_delay_alu instid0(VALU_DEP_1) | instskip(NEXT) | instid1(VALU_DEP_2)
	v_dual_lshlrev_b32 v0, 24, v0 :: v_dual_lshlrev_b32 v2, 20, v22
	v_lshl_add_u32 v1, v1, 23, 0x3c000000
	s_delay_alu instid0(VALU_DEP_2) | instskip(NEXT) | instid1(VALU_DEP_1)
	v_and_b32_e32 v0, 0x80000000, v0
	v_or3_b32 v18, v2, v0, v1
.LBB362_934:                            ;   in Loop: Header=BB362_806 Depth=1
	s_or_b32 exec_lo, exec_lo, s17
.LBB362_935:                            ;   in Loop: Header=BB362_806 Depth=1
	s_delay_alu instid0(SALU_CYCLE_1)
	s_or_b32 exec_lo, exec_lo, s16
.LBB362_936:                            ;   in Loop: Header=BB362_806 Depth=1
	s_delay_alu instid0(SALU_CYCLE_1)
	s_or_b32 exec_lo, exec_lo, s15
	v_fma_mixlo_bf16 v55, v35, v39, 0
	v_fma_mixlo_bf16 v64, v35, v34, 0
	;; [unrolled: 1-line block ×8, first 2 shown]
	s_and_saveexec_b32 s15, vcc_lo
	s_cbranch_execz .LBB362_938
; %bb.937:                              ;   in Loop: Header=BB362_806 Depth=1
	v_cmp_lt_i32_e64 s0, v81, v118
	s_delay_alu instid0(VALU_DEP_1) | instskip(SKIP_1) | instid1(VALU_DEP_1)
	v_cndmask_b32_e64 v70, 0, v70, s0
	v_cmp_lt_i32_e64 s0, v85, v118
	v_cndmask_b32_e64 v69, 0, v69, s0
	v_cmp_lt_i32_e64 s0, v84, v118
	s_delay_alu instid0(VALU_DEP_1) | instskip(SKIP_1) | instid1(VALU_DEP_1)
	v_cndmask_b32_e64 v68, 0, v68, s0
	v_cmp_lt_i32_e64 s0, v83, v118
	v_cndmask_b32_e64 v67, 0, v67, s0
	;; [unrolled: 5-line block ×4, first 2 shown]
.LBB362_938:                            ;   in Loop: Header=BB362_806 Depth=1
	s_or_b32 exec_lo, exec_lo, s15
	flat_load_b64 v[0:1], v[30:31] offset:512
	v_dual_mov_b32 v29, 0 :: v_dual_mov_b32 v28, 0
	s_mov_b32 s15, exec_lo
	s_wait_loadcnt_dscnt 0x0
	v_and_b32_e32 v18, 0xff, v0
	s_wait_xcnt 0x0
	s_delay_alu instid0(VALU_DEP_1)
	v_cmpx_ne_u16_e32 0, v18
	s_cbranch_execz .LBB362_946
; %bb.939:                              ;   in Loop: Header=BB362_806 Depth=1
	v_bfrev_b32_e32 v28, 1
	s_mov_b32 s16, exec_lo
	v_cmpx_ne_u16_e32 0x80, v18
	s_cbranch_execz .LBB362_945
; %bb.940:                              ;   in Loop: Header=BB362_806 Depth=1
	v_and_b32_e32 v18, 0x7f, v0
	v_mov_b32_e32 v28, 0x7f800001
	s_mov_b32 s17, exec_lo
	s_delay_alu instid0(VALU_DEP_2)
	v_cmpx_ne_u32_e32 0x7f, v18
	s_cbranch_execz .LBB362_944
; %bb.941:                              ;   in Loop: Header=BB362_806 Depth=1
	v_lshrrev_b32_e32 v22, 3, v18
	v_cmp_gt_u32_e64 s0, 8, v18
	v_mov_b64_e32 v[18:19], v[0:1]
	s_and_saveexec_b32 s18, s0
; %bb.942:                              ;   in Loop: Header=BB362_806 Depth=1
	v_and_b32_e32 v2, 7, v0
	s_delay_alu instid0(VALU_DEP_1) | instskip(NEXT) | instid1(VALU_DEP_1)
	v_clz_i32_u32_e32 v2, v2
	v_min_u32_e32 v2, 32, v2
	s_delay_alu instid0(VALU_DEP_1) | instskip(SKIP_1) | instid1(VALU_DEP_2)
	v_subrev_nc_u32_e32 v3, 28, v2
	v_sub_nc_u32_e32 v22, 29, v2
	v_lshlrev_b64_e32 v[18:19], v3, v[0:1]
; %bb.943:                              ;   in Loop: Header=BB362_806 Depth=1
	s_or_b32 exec_lo, exec_lo, s18
	s_delay_alu instid0(VALU_DEP_1) | instskip(NEXT) | instid1(VALU_DEP_3)
	v_dual_lshlrev_b32 v2, 20, v18 :: v_dual_lshlrev_b32 v3, 24, v0
	v_lshl_add_u32 v4, v22, 23, 0x3c000000
	s_delay_alu instid0(VALU_DEP_2) | instskip(NEXT) | instid1(VALU_DEP_3)
	v_and_b32_e32 v2, 0x700000, v2
	v_and_b32_e32 v3, 0x80000000, v3
	s_delay_alu instid0(VALU_DEP_1)
	v_or3_b32 v28, v2, v3, v4
.LBB362_944:                            ;   in Loop: Header=BB362_806 Depth=1
	s_or_b32 exec_lo, exec_lo, s17
.LBB362_945:                            ;   in Loop: Header=BB362_806 Depth=1
	s_delay_alu instid0(SALU_CYCLE_1)
	s_or_b32 exec_lo, exec_lo, s16
.LBB362_946:                            ;   in Loop: Header=BB362_806 Depth=1
	s_delay_alu instid0(SALU_CYCLE_1) | instskip(SKIP_2) | instid1(VALU_DEP_1)
	s_or_b32 exec_lo, exec_lo, s15
	v_lshrrev_b16 v18, 8, v0
	s_mov_b32 s15, exec_lo
	v_cmpx_ne_u16_e32 0, v18
	s_cbranch_execz .LBB362_954
; %bb.947:                              ;   in Loop: Header=BB362_806 Depth=1
	v_bfrev_b32_e32 v29, 1
	s_mov_b32 s16, exec_lo
	v_cmpx_ne_u16_e32 0x80, v18
	s_cbranch_execz .LBB362_953
; %bb.948:                              ;   in Loop: Header=BB362_806 Depth=1
	v_and_b32_e32 v18, 0xffff, v18
	v_mov_b32_e32 v29, 0x7f800001
	s_mov_b32 s17, exec_lo
	s_delay_alu instid0(VALU_DEP_2) | instskip(NEXT) | instid1(VALU_DEP_1)
	v_and_b32_e32 v19, 0x7f, v18
	v_cmpx_ne_u32_e32 0x7f, v19
	s_cbranch_execz .LBB362_952
; %bb.949:                              ;   in Loop: Header=BB362_806 Depth=1
	v_dual_lshrrev_b32 v18, 3, v19 :: v_dual_bitop2_b32 v22, 7, v18 bitop3:0x40
	s_mov_b32 s18, exec_lo
	v_cmpx_gt_u32_e32 8, v19
; %bb.950:                              ;   in Loop: Header=BB362_806 Depth=1
	s_delay_alu instid0(VALU_DEP_2) | instskip(NEXT) | instid1(VALU_DEP_1)
	v_clz_i32_u32_e32 v2, v22
	v_min_u32_e32 v2, 32, v2
	s_delay_alu instid0(VALU_DEP_1) | instskip(NEXT) | instid1(VALU_DEP_1)
	v_subrev_nc_u32_e32 v3, 28, v2
	v_lshlrev_b64_e32 v[32:33], v3, v[22:23]
	s_delay_alu instid0(VALU_DEP_1)
	v_dual_sub_nc_u32 v18, 29, v2 :: v_dual_bitop2_b32 v22, 7, v32 bitop3:0x40
; %bb.951:                              ;   in Loop: Header=BB362_806 Depth=1
	s_or_b32 exec_lo, exec_lo, s18
	s_delay_alu instid0(VALU_DEP_1) | instskip(NEXT) | instid1(VALU_DEP_2)
	v_dual_lshlrev_b32 v2, 16, v0 :: v_dual_lshlrev_b32 v3, 20, v22
	v_lshl_add_u32 v4, v18, 23, 0x3c000000
	s_delay_alu instid0(VALU_DEP_2) | instskip(NEXT) | instid1(VALU_DEP_1)
	v_and_b32_e32 v2, 0x80000000, v2
	v_or3_b32 v29, v3, v2, v4
.LBB362_952:                            ;   in Loop: Header=BB362_806 Depth=1
	s_or_b32 exec_lo, exec_lo, s17
.LBB362_953:                            ;   in Loop: Header=BB362_806 Depth=1
	s_delay_alu instid0(SALU_CYCLE_1)
	s_or_b32 exec_lo, exec_lo, s16
.LBB362_954:                            ;   in Loop: Header=BB362_806 Depth=1
	s_delay_alu instid0(SALU_CYCLE_1) | instskip(SKIP_3) | instid1(VALU_DEP_2)
	s_or_b32 exec_lo, exec_lo, s15
	v_dual_mov_b32 v33, 0 :: v_dual_lshrrev_b32 v18, 16, v0
	v_mov_b32_e32 v32, 0
	s_mov_b32 s15, exec_lo
	v_and_b32_e32 v19, 0xff, v18
	s_delay_alu instid0(VALU_DEP_1)
	v_cmpx_ne_u16_e32 0, v19
	s_cbranch_execz .LBB362_962
; %bb.955:                              ;   in Loop: Header=BB362_806 Depth=1
	v_bfrev_b32_e32 v32, 1
	s_mov_b32 s16, exec_lo
	v_cmpx_ne_u16_e32 0x80, v19
	s_cbranch_execz .LBB362_961
; %bb.956:                              ;   in Loop: Header=BB362_806 Depth=1
	v_bfe_u32 v34, v0, 16, 7
	v_mov_b32_e32 v32, 0x7f800001
	s_mov_b32 s17, exec_lo
	s_delay_alu instid0(VALU_DEP_2)
	v_cmpx_ne_u32_e32 0x7f, v34
	s_cbranch_execz .LBB362_960
; %bb.957:                              ;   in Loop: Header=BB362_806 Depth=1
	v_and_b32_e32 v22, 7, v18
	v_lshrrev_b32_e32 v19, 3, v34
	s_mov_b32 s18, exec_lo
	v_cmpx_gt_u32_e32 8, v34
; %bb.958:                              ;   in Loop: Header=BB362_806 Depth=1
	s_delay_alu instid0(VALU_DEP_3) | instskip(NEXT) | instid1(VALU_DEP_1)
	v_clz_i32_u32_e32 v2, v22
	v_min_u32_e32 v2, 32, v2
	s_delay_alu instid0(VALU_DEP_1) | instskip(NEXT) | instid1(VALU_DEP_1)
	v_subrev_nc_u32_e32 v3, 28, v2
	v_lshlrev_b64_e32 v[48:49], v3, v[22:23]
	s_delay_alu instid0(VALU_DEP_1)
	v_dual_sub_nc_u32 v19, 29, v2 :: v_dual_bitop2_b32 v22, 7, v48 bitop3:0x40
; %bb.959:                              ;   in Loop: Header=BB362_806 Depth=1
	s_or_b32 exec_lo, exec_lo, s18
	v_lshlrev_b32_e32 v2, 24, v18
	s_delay_alu instid0(VALU_DEP_2) | instskip(NEXT) | instid1(VALU_DEP_3)
	v_lshlrev_b32_e32 v3, 20, v22
	v_lshl_add_u32 v4, v19, 23, 0x3c000000
	s_delay_alu instid0(VALU_DEP_3) | instskip(NEXT) | instid1(VALU_DEP_1)
	v_and_b32_e32 v2, 0x80000000, v2
	v_or3_b32 v32, v3, v2, v4
.LBB362_960:                            ;   in Loop: Header=BB362_806 Depth=1
	s_or_b32 exec_lo, exec_lo, s17
.LBB362_961:                            ;   in Loop: Header=BB362_806 Depth=1
	s_delay_alu instid0(SALU_CYCLE_1)
	s_or_b32 exec_lo, exec_lo, s16
.LBB362_962:                            ;   in Loop: Header=BB362_806 Depth=1
	s_delay_alu instid0(SALU_CYCLE_1) | instskip(NEXT) | instid1(SALU_CYCLE_1)
	s_or_b32 exec_lo, exec_lo, s15
	s_mov_b32 s15, exec_lo
	v_cmpx_lt_u32_e32 0xffffff, v0
	s_cbranch_execz .LBB362_970
; %bb.963:                              ;   in Loop: Header=BB362_806 Depth=1
	v_lshrrev_b32_e32 v18, 24, v0
	v_bfrev_b32_e32 v33, 1
	s_mov_b32 s16, exec_lo
	s_delay_alu instid0(VALU_DEP_2)
	v_cmpx_ne_u32_e32 0x80, v18
	s_cbranch_execz .LBB362_969
; %bb.964:                              ;   in Loop: Header=BB362_806 Depth=1
	v_bfe_u32 v34, v0, 24, 7
	v_mov_b32_e32 v33, 0x7f800001
	s_mov_b32 s17, exec_lo
	s_delay_alu instid0(VALU_DEP_2)
	v_cmpx_ne_u32_e32 0x7f, v34
	s_cbranch_execz .LBB362_968
; %bb.965:                              ;   in Loop: Header=BB362_806 Depth=1
	v_and_b32_e32 v22, 7, v18
	v_lshrrev_b32_e32 v19, 3, v34
	s_mov_b32 s18, exec_lo
	v_cmpx_gt_u32_e32 8, v34
; %bb.966:                              ;   in Loop: Header=BB362_806 Depth=1
	s_delay_alu instid0(VALU_DEP_3) | instskip(NEXT) | instid1(VALU_DEP_1)
	v_clz_i32_u32_e32 v2, v22
	v_min_u32_e32 v2, 32, v2
	s_delay_alu instid0(VALU_DEP_1) | instskip(NEXT) | instid1(VALU_DEP_1)
	v_subrev_nc_u32_e32 v3, 28, v2
	v_lshlrev_b64_e32 v[48:49], v3, v[22:23]
	s_delay_alu instid0(VALU_DEP_1)
	v_dual_sub_nc_u32 v19, 29, v2 :: v_dual_bitop2_b32 v22, 7, v48 bitop3:0x40
; %bb.967:                              ;   in Loop: Header=BB362_806 Depth=1
	s_or_b32 exec_lo, exec_lo, s18
	v_lshlrev_b32_e32 v2, 24, v18
	s_delay_alu instid0(VALU_DEP_2) | instskip(NEXT) | instid1(VALU_DEP_3)
	v_lshlrev_b32_e32 v3, 20, v22
	v_lshl_add_u32 v4, v19, 23, 0x3c000000
	s_delay_alu instid0(VALU_DEP_3) | instskip(NEXT) | instid1(VALU_DEP_1)
	v_and_b32_e32 v2, 0x80000000, v2
	v_or3_b32 v33, v3, v2, v4
.LBB362_968:                            ;   in Loop: Header=BB362_806 Depth=1
	s_or_b32 exec_lo, exec_lo, s17
.LBB362_969:                            ;   in Loop: Header=BB362_806 Depth=1
	s_delay_alu instid0(SALU_CYCLE_1)
	s_or_b32 exec_lo, exec_lo, s16
.LBB362_970:                            ;   in Loop: Header=BB362_806 Depth=1
	s_delay_alu instid0(SALU_CYCLE_1) | instskip(SKIP_4) | instid1(VALU_DEP_3)
	s_or_b32 exec_lo, exec_lo, s15
	v_and_b32_e32 v18, 0xff, v1
	v_dual_mov_b32 v22, v1 :: v_dual_mov_b32 v39, 0
	v_mov_b32_e32 v34, 0
	s_mov_b32 s15, exec_lo
	v_cmpx_ne_u16_e32 0, v18
	s_cbranch_execz .LBB362_978
; %bb.971:                              ;   in Loop: Header=BB362_806 Depth=1
	v_bfrev_b32_e32 v34, 1
	s_mov_b32 s16, exec_lo
	v_cmpx_ne_u16_e32 0x80, v18
	s_cbranch_execz .LBB362_977
; %bb.972:                              ;   in Loop: Header=BB362_806 Depth=1
	v_and_b32_e32 v18, 0x7f, v1
	v_mov_b32_e32 v34, 0x7f800001
	s_mov_b32 s17, exec_lo
	s_delay_alu instid0(VALU_DEP_2)
	v_cmpx_ne_u32_e32 0x7f, v18
	s_cbranch_execz .LBB362_976
; %bb.973:                              ;   in Loop: Header=BB362_806 Depth=1
	v_lshrrev_b32_e32 v34, 3, v18
	v_cmp_gt_u32_e64 s0, 8, v18
	v_mov_b64_e32 v[18:19], v[22:23]
	s_and_saveexec_b32 s18, s0
; %bb.974:                              ;   in Loop: Header=BB362_806 Depth=1
	v_and_b32_e32 v2, 7, v1
	s_delay_alu instid0(VALU_DEP_1) | instskip(NEXT) | instid1(VALU_DEP_1)
	v_clz_i32_u32_e32 v2, v2
	v_min_u32_e32 v2, 32, v2
	s_delay_alu instid0(VALU_DEP_1) | instskip(SKIP_1) | instid1(VALU_DEP_2)
	v_subrev_nc_u32_e32 v3, 28, v2
	v_sub_nc_u32_e32 v34, 29, v2
	v_lshlrev_b64_e32 v[18:19], v3, v[22:23]
; %bb.975:                              ;   in Loop: Header=BB362_806 Depth=1
	s_or_b32 exec_lo, exec_lo, s18
	s_delay_alu instid0(VALU_DEP_1) | instskip(SKIP_2) | instid1(VALU_DEP_3)
	v_lshlrev_b32_e32 v2, 20, v18
	v_lshlrev_b32_e32 v3, 24, v22
	v_lshl_add_u32 v4, v34, 23, 0x3c000000
	v_and_b32_e32 v2, 0x700000, v2
	s_delay_alu instid0(VALU_DEP_3) | instskip(NEXT) | instid1(VALU_DEP_1)
	v_and_b32_e32 v3, 0x80000000, v3
	v_or3_b32 v34, v2, v3, v4
.LBB362_976:                            ;   in Loop: Header=BB362_806 Depth=1
	s_or_b32 exec_lo, exec_lo, s17
.LBB362_977:                            ;   in Loop: Header=BB362_806 Depth=1
	s_delay_alu instid0(SALU_CYCLE_1)
	s_or_b32 exec_lo, exec_lo, s16
.LBB362_978:                            ;   in Loop: Header=BB362_806 Depth=1
	s_delay_alu instid0(SALU_CYCLE_1) | instskip(SKIP_2) | instid1(VALU_DEP_1)
	s_or_b32 exec_lo, exec_lo, s15
	v_lshrrev_b16 v18, 8, v22
	s_mov_b32 s15, exec_lo
	v_cmpx_ne_u16_e32 0, v18
	s_cbranch_execz .LBB362_986
; %bb.979:                              ;   in Loop: Header=BB362_806 Depth=1
	v_bfrev_b32_e32 v39, 1
	s_mov_b32 s16, exec_lo
	v_cmpx_ne_u16_e32 0x80, v18
	s_cbranch_execz .LBB362_985
; %bb.980:                              ;   in Loop: Header=BB362_806 Depth=1
	v_and_b32_e32 v18, 0xffff, v18
	v_mov_b32_e32 v39, 0x7f800001
	s_mov_b32 s17, exec_lo
	s_delay_alu instid0(VALU_DEP_2) | instskip(NEXT) | instid1(VALU_DEP_1)
	v_and_b32_e32 v48, 0x7f, v18
	v_cmpx_ne_u32_e32 0x7f, v48
	s_cbranch_execz .LBB362_984
; %bb.981:                              ;   in Loop: Header=BB362_806 Depth=1
	v_dual_mov_b32 v19, v23 :: v_dual_bitop2_b32 v18, 7, v18 bitop3:0x40
	v_lshrrev_b32_e32 v39, 3, v48
	s_mov_b32 s18, exec_lo
	v_cmpx_gt_u32_e32 8, v48
; %bb.982:                              ;   in Loop: Header=BB362_806 Depth=1
	s_delay_alu instid0(VALU_DEP_3) | instskip(NEXT) | instid1(VALU_DEP_1)
	v_clz_i32_u32_e32 v2, v18
	v_min_u32_e32 v2, 32, v2
	s_delay_alu instid0(VALU_DEP_1) | instskip(SKIP_1) | instid1(VALU_DEP_2)
	v_subrev_nc_u32_e32 v3, 28, v2
	v_sub_nc_u32_e32 v39, 29, v2
	v_lshlrev_b64_e32 v[18:19], v3, v[18:19]
	s_delay_alu instid0(VALU_DEP_1)
	v_and_b32_e32 v18, 7, v18
; %bb.983:                              ;   in Loop: Header=BB362_806 Depth=1
	s_or_b32 exec_lo, exec_lo, s18
	v_lshlrev_b32_e32 v2, 16, v22
	s_delay_alu instid0(VALU_DEP_2) | instskip(SKIP_1) | instid1(VALU_DEP_3)
	v_lshlrev_b32_e32 v3, 20, v18
	v_lshl_add_u32 v4, v39, 23, 0x3c000000
	v_and_b32_e32 v2, 0x80000000, v2
	s_delay_alu instid0(VALU_DEP_1)
	v_or3_b32 v39, v3, v2, v4
.LBB362_984:                            ;   in Loop: Header=BB362_806 Depth=1
	s_or_b32 exec_lo, exec_lo, s17
.LBB362_985:                            ;   in Loop: Header=BB362_806 Depth=1
	s_delay_alu instid0(SALU_CYCLE_1)
	s_or_b32 exec_lo, exec_lo, s16
.LBB362_986:                            ;   in Loop: Header=BB362_806 Depth=1
	s_delay_alu instid0(SALU_CYCLE_1) | instskip(SKIP_3) | instid1(VALU_DEP_2)
	s_or_b32 exec_lo, exec_lo, s15
	v_dual_lshrrev_b32 v48, 16, v1 :: v_dual_mov_b32 v18, 0
	v_mov_b32_e32 v19, 0
	s_mov_b32 s15, exec_lo
	v_and_b32_e32 v22, 0xff, v48
	s_delay_alu instid0(VALU_DEP_1)
	v_cmpx_ne_u16_e32 0, v22
	s_cbranch_execz .LBB362_994
; %bb.987:                              ;   in Loop: Header=BB362_806 Depth=1
	v_bfrev_b32_e32 v19, 1
	s_mov_b32 s16, exec_lo
	v_cmpx_ne_u16_e32 0x80, v22
	s_cbranch_execz .LBB362_993
; %bb.988:                              ;   in Loop: Header=BB362_806 Depth=1
	v_bfe_u32 v49, v1, 16, 7
	v_mov_b32_e32 v19, 0x7f800001
	s_mov_b32 s17, exec_lo
	s_delay_alu instid0(VALU_DEP_2)
	v_cmpx_ne_u32_e32 0x7f, v49
	s_cbranch_execz .LBB362_992
; %bb.989:                              ;   in Loop: Header=BB362_806 Depth=1
	v_dual_lshrrev_b32 v19, 3, v49 :: v_dual_bitop2_b32 v22, 7, v48 bitop3:0x40
	s_mov_b32 s18, exec_lo
	v_cmpx_gt_u32_e32 8, v49
; %bb.990:                              ;   in Loop: Header=BB362_806 Depth=1
	s_delay_alu instid0(VALU_DEP_2) | instskip(NEXT) | instid1(VALU_DEP_1)
	v_clz_i32_u32_e32 v2, v22
	v_min_u32_e32 v2, 32, v2
	s_delay_alu instid0(VALU_DEP_1) | instskip(SKIP_1) | instid1(VALU_DEP_2)
	v_subrev_nc_u32_e32 v3, 28, v2
	v_sub_nc_u32_e32 v19, 29, v2
	v_lshlrev_b64_e32 v[50:51], v3, v[22:23]
	s_delay_alu instid0(VALU_DEP_1)
	v_and_b32_e32 v22, 7, v50
; %bb.991:                              ;   in Loop: Header=BB362_806 Depth=1
	s_or_b32 exec_lo, exec_lo, s18
	s_delay_alu instid0(VALU_DEP_1) | instskip(SKIP_1) | instid1(VALU_DEP_2)
	v_dual_lshlrev_b32 v2, 24, v48 :: v_dual_lshlrev_b32 v3, 20, v22
	v_lshl_add_u32 v4, v19, 23, 0x3c000000
	v_and_b32_e32 v2, 0x80000000, v2
	s_delay_alu instid0(VALU_DEP_1)
	v_or3_b32 v19, v3, v2, v4
.LBB362_992:                            ;   in Loop: Header=BB362_806 Depth=1
	s_or_b32 exec_lo, exec_lo, s17
.LBB362_993:                            ;   in Loop: Header=BB362_806 Depth=1
	s_delay_alu instid0(SALU_CYCLE_1)
	s_or_b32 exec_lo, exec_lo, s16
.LBB362_994:                            ;   in Loop: Header=BB362_806 Depth=1
	s_delay_alu instid0(SALU_CYCLE_1) | instskip(NEXT) | instid1(SALU_CYCLE_1)
	s_or_b32 exec_lo, exec_lo, s15
	s_mov_b32 s15, exec_lo
	v_cmpx_lt_u64_e64 s[2:3], v[0:1]
	s_cbranch_execz .LBB362_1002
; %bb.995:                              ;   in Loop: Header=BB362_806 Depth=1
	v_lshrrev_b32_e32 v0, 24, v1
	v_bfrev_b32_e32 v18, 1
	s_mov_b32 s16, exec_lo
	s_delay_alu instid0(VALU_DEP_2)
	v_cmpx_ne_u32_e32 0x80, v0
	s_cbranch_execz .LBB362_1001
; %bb.996:                              ;   in Loop: Header=BB362_806 Depth=1
	v_bfe_u32 v48, v1, 24, 7
	v_mov_b32_e32 v18, 0x7f800001
	s_mov_b32 s17, exec_lo
	s_delay_alu instid0(VALU_DEP_2)
	v_cmpx_ne_u32_e32 0x7f, v48
	s_cbranch_execz .LBB362_1000
; %bb.997:                              ;   in Loop: Header=BB362_806 Depth=1
	v_and_b32_e32 v22, 7, v0
	v_lshrrev_b32_e32 v1, 3, v48
	s_mov_b32 s18, exec_lo
	v_cmpx_gt_u32_e32 8, v48
; %bb.998:                              ;   in Loop: Header=BB362_806 Depth=1
	s_delay_alu instid0(VALU_DEP_3) | instskip(NEXT) | instid1(VALU_DEP_1)
	v_clz_i32_u32_e32 v1, v22
	v_min_u32_e32 v1, 32, v1
	s_delay_alu instid0(VALU_DEP_1) | instskip(NEXT) | instid1(VALU_DEP_1)
	v_subrev_nc_u32_e32 v2, 28, v1
	v_lshlrev_b64_e32 v[48:49], v2, v[22:23]
	s_delay_alu instid0(VALU_DEP_1)
	v_dual_sub_nc_u32 v1, 29, v1 :: v_dual_bitop2_b32 v22, 7, v48 bitop3:0x40
; %bb.999:                              ;   in Loop: Header=BB362_806 Depth=1
	s_or_b32 exec_lo, exec_lo, s18
	s_delay_alu instid0(VALU_DEP_1) | instskip(NEXT) | instid1(VALU_DEP_2)
	v_dual_lshlrev_b32 v0, 24, v0 :: v_dual_lshlrev_b32 v2, 20, v22
	v_lshl_add_u32 v1, v1, 23, 0x3c000000
	s_delay_alu instid0(VALU_DEP_2) | instskip(NEXT) | instid1(VALU_DEP_1)
	v_and_b32_e32 v0, 0x80000000, v0
	v_or3_b32 v18, v2, v0, v1
.LBB362_1000:                           ;   in Loop: Header=BB362_806 Depth=1
	s_or_b32 exec_lo, exec_lo, s17
.LBB362_1001:                           ;   in Loop: Header=BB362_806 Depth=1
	s_delay_alu instid0(SALU_CYCLE_1)
	s_or_b32 exec_lo, exec_lo, s16
.LBB362_1002:                           ;   in Loop: Header=BB362_806 Depth=1
	s_delay_alu instid0(SALU_CYCLE_1)
	s_or_b32 exec_lo, exec_lo, s15
	v_fma_mixlo_bf16 v86, v35, v39, 0
	v_fma_mixlo_bf16 v87, v35, v34, 0
	;; [unrolled: 1-line block ×8, first 2 shown]
	s_and_saveexec_b32 s15, vcc_lo
	s_cbranch_execz .LBB362_1004
; %bb.1003:                             ;   in Loop: Header=BB362_806 Depth=1
	v_cmp_lt_i32_e64 s0, v81, v118
	s_delay_alu instid0(VALU_DEP_1) | instskip(SKIP_1) | instid1(VALU_DEP_1)
	v_cndmask_b32_e64 v101, 0, v101, s0
	v_cmp_lt_i32_e64 s0, v85, v118
	v_cndmask_b32_e64 v100, 0, v100, s0
	v_cmp_lt_i32_e64 s0, v84, v118
	s_delay_alu instid0(VALU_DEP_1) | instskip(SKIP_1) | instid1(VALU_DEP_1)
	v_cndmask_b32_e64 v99, 0, v99, s0
	v_cmp_lt_i32_e64 s0, v83, v118
	v_cndmask_b32_e64 v98, 0, v98, s0
	;; [unrolled: 5-line block ×4, first 2 shown]
.LBB362_1004:                           ;   in Loop: Header=BB362_806 Depth=1
	s_or_b32 exec_lo, exec_lo, s15
	flat_load_b64 v[0:1], v[30:31] offset:768
	v_dual_mov_b32 v29, 0 :: v_dual_mov_b32 v28, 0
	s_mov_b32 s15, exec_lo
	s_wait_loadcnt_dscnt 0x0
	v_and_b32_e32 v18, 0xff, v0
	s_wait_xcnt 0x0
	s_delay_alu instid0(VALU_DEP_1)
	v_cmpx_ne_u16_e32 0, v18
	s_cbranch_execz .LBB362_1012
; %bb.1005:                             ;   in Loop: Header=BB362_806 Depth=1
	v_bfrev_b32_e32 v28, 1
	s_mov_b32 s16, exec_lo
	v_cmpx_ne_u16_e32 0x80, v18
	s_cbranch_execz .LBB362_1011
; %bb.1006:                             ;   in Loop: Header=BB362_806 Depth=1
	v_and_b32_e32 v18, 0x7f, v0
	v_mov_b32_e32 v28, 0x7f800001
	s_mov_b32 s17, exec_lo
	s_delay_alu instid0(VALU_DEP_2)
	v_cmpx_ne_u32_e32 0x7f, v18
	s_cbranch_execz .LBB362_1010
; %bb.1007:                             ;   in Loop: Header=BB362_806 Depth=1
	v_lshrrev_b32_e32 v22, 3, v18
	v_cmp_gt_u32_e64 s0, 8, v18
	v_mov_b64_e32 v[18:19], v[0:1]
	s_and_saveexec_b32 s18, s0
; %bb.1008:                             ;   in Loop: Header=BB362_806 Depth=1
	v_and_b32_e32 v2, 7, v0
	s_delay_alu instid0(VALU_DEP_1) | instskip(NEXT) | instid1(VALU_DEP_1)
	v_clz_i32_u32_e32 v2, v2
	v_min_u32_e32 v2, 32, v2
	s_delay_alu instid0(VALU_DEP_1) | instskip(SKIP_1) | instid1(VALU_DEP_2)
	v_subrev_nc_u32_e32 v3, 28, v2
	v_sub_nc_u32_e32 v22, 29, v2
	v_lshlrev_b64_e32 v[18:19], v3, v[0:1]
; %bb.1009:                             ;   in Loop: Header=BB362_806 Depth=1
	s_or_b32 exec_lo, exec_lo, s18
	s_delay_alu instid0(VALU_DEP_1) | instskip(NEXT) | instid1(VALU_DEP_3)
	v_dual_lshlrev_b32 v2, 20, v18 :: v_dual_lshlrev_b32 v3, 24, v0
	v_lshl_add_u32 v4, v22, 23, 0x3c000000
	s_delay_alu instid0(VALU_DEP_2) | instskip(NEXT) | instid1(VALU_DEP_3)
	v_and_b32_e32 v2, 0x700000, v2
	v_and_b32_e32 v3, 0x80000000, v3
	s_delay_alu instid0(VALU_DEP_1)
	v_or3_b32 v28, v2, v3, v4
.LBB362_1010:                           ;   in Loop: Header=BB362_806 Depth=1
	s_or_b32 exec_lo, exec_lo, s17
.LBB362_1011:                           ;   in Loop: Header=BB362_806 Depth=1
	s_delay_alu instid0(SALU_CYCLE_1)
	s_or_b32 exec_lo, exec_lo, s16
.LBB362_1012:                           ;   in Loop: Header=BB362_806 Depth=1
	s_delay_alu instid0(SALU_CYCLE_1) | instskip(SKIP_2) | instid1(VALU_DEP_1)
	s_or_b32 exec_lo, exec_lo, s15
	v_lshrrev_b16 v18, 8, v0
	s_mov_b32 s15, exec_lo
	v_cmpx_ne_u16_e32 0, v18
	s_cbranch_execz .LBB362_1020
; %bb.1013:                             ;   in Loop: Header=BB362_806 Depth=1
	v_bfrev_b32_e32 v29, 1
	s_mov_b32 s16, exec_lo
	v_cmpx_ne_u16_e32 0x80, v18
	s_cbranch_execz .LBB362_1019
; %bb.1014:                             ;   in Loop: Header=BB362_806 Depth=1
	v_and_b32_e32 v18, 0xffff, v18
	v_mov_b32_e32 v29, 0x7f800001
	s_mov_b32 s17, exec_lo
	s_delay_alu instid0(VALU_DEP_2) | instskip(NEXT) | instid1(VALU_DEP_1)
	v_and_b32_e32 v19, 0x7f, v18
	v_cmpx_ne_u32_e32 0x7f, v19
	s_cbranch_execz .LBB362_1018
; %bb.1015:                             ;   in Loop: Header=BB362_806 Depth=1
	v_dual_lshrrev_b32 v18, 3, v19 :: v_dual_bitop2_b32 v22, 7, v18 bitop3:0x40
	s_mov_b32 s18, exec_lo
	v_cmpx_gt_u32_e32 8, v19
; %bb.1016:                             ;   in Loop: Header=BB362_806 Depth=1
	s_delay_alu instid0(VALU_DEP_2) | instskip(NEXT) | instid1(VALU_DEP_1)
	v_clz_i32_u32_e32 v2, v22
	v_min_u32_e32 v2, 32, v2
	s_delay_alu instid0(VALU_DEP_1) | instskip(NEXT) | instid1(VALU_DEP_1)
	v_subrev_nc_u32_e32 v3, 28, v2
	v_lshlrev_b64_e32 v[32:33], v3, v[22:23]
	s_delay_alu instid0(VALU_DEP_1)
	v_dual_sub_nc_u32 v18, 29, v2 :: v_dual_bitop2_b32 v22, 7, v32 bitop3:0x40
; %bb.1017:                             ;   in Loop: Header=BB362_806 Depth=1
	s_or_b32 exec_lo, exec_lo, s18
	s_delay_alu instid0(VALU_DEP_1) | instskip(NEXT) | instid1(VALU_DEP_2)
	v_dual_lshlrev_b32 v2, 16, v0 :: v_dual_lshlrev_b32 v3, 20, v22
	v_lshl_add_u32 v4, v18, 23, 0x3c000000
	s_delay_alu instid0(VALU_DEP_2) | instskip(NEXT) | instid1(VALU_DEP_1)
	v_and_b32_e32 v2, 0x80000000, v2
	v_or3_b32 v29, v3, v2, v4
.LBB362_1018:                           ;   in Loop: Header=BB362_806 Depth=1
	s_or_b32 exec_lo, exec_lo, s17
.LBB362_1019:                           ;   in Loop: Header=BB362_806 Depth=1
	s_delay_alu instid0(SALU_CYCLE_1)
	s_or_b32 exec_lo, exec_lo, s16
.LBB362_1020:                           ;   in Loop: Header=BB362_806 Depth=1
	s_delay_alu instid0(SALU_CYCLE_1) | instskip(SKIP_3) | instid1(VALU_DEP_2)
	s_or_b32 exec_lo, exec_lo, s15
	v_dual_mov_b32 v33, 0 :: v_dual_lshrrev_b32 v18, 16, v0
	v_mov_b32_e32 v32, 0
	s_mov_b32 s15, exec_lo
	v_and_b32_e32 v19, 0xff, v18
	s_delay_alu instid0(VALU_DEP_1)
	v_cmpx_ne_u16_e32 0, v19
	s_cbranch_execz .LBB362_1028
; %bb.1021:                             ;   in Loop: Header=BB362_806 Depth=1
	v_bfrev_b32_e32 v32, 1
	s_mov_b32 s16, exec_lo
	v_cmpx_ne_u16_e32 0x80, v19
	s_cbranch_execz .LBB362_1027
; %bb.1022:                             ;   in Loop: Header=BB362_806 Depth=1
	v_bfe_u32 v34, v0, 16, 7
	v_mov_b32_e32 v32, 0x7f800001
	s_mov_b32 s17, exec_lo
	s_delay_alu instid0(VALU_DEP_2)
	v_cmpx_ne_u32_e32 0x7f, v34
	s_cbranch_execz .LBB362_1026
; %bb.1023:                             ;   in Loop: Header=BB362_806 Depth=1
	v_and_b32_e32 v22, 7, v18
	v_lshrrev_b32_e32 v19, 3, v34
	s_mov_b32 s18, exec_lo
	v_cmpx_gt_u32_e32 8, v34
; %bb.1024:                             ;   in Loop: Header=BB362_806 Depth=1
	s_delay_alu instid0(VALU_DEP_3) | instskip(NEXT) | instid1(VALU_DEP_1)
	v_clz_i32_u32_e32 v2, v22
	v_min_u32_e32 v2, 32, v2
	s_delay_alu instid0(VALU_DEP_1) | instskip(NEXT) | instid1(VALU_DEP_1)
	v_subrev_nc_u32_e32 v3, 28, v2
	v_lshlrev_b64_e32 v[48:49], v3, v[22:23]
	s_delay_alu instid0(VALU_DEP_1)
	v_dual_sub_nc_u32 v19, 29, v2 :: v_dual_bitop2_b32 v22, 7, v48 bitop3:0x40
; %bb.1025:                             ;   in Loop: Header=BB362_806 Depth=1
	s_or_b32 exec_lo, exec_lo, s18
	v_lshlrev_b32_e32 v2, 24, v18
	s_delay_alu instid0(VALU_DEP_2) | instskip(NEXT) | instid1(VALU_DEP_3)
	v_lshlrev_b32_e32 v3, 20, v22
	v_lshl_add_u32 v4, v19, 23, 0x3c000000
	s_delay_alu instid0(VALU_DEP_3) | instskip(NEXT) | instid1(VALU_DEP_1)
	v_and_b32_e32 v2, 0x80000000, v2
	v_or3_b32 v32, v3, v2, v4
.LBB362_1026:                           ;   in Loop: Header=BB362_806 Depth=1
	s_or_b32 exec_lo, exec_lo, s17
.LBB362_1027:                           ;   in Loop: Header=BB362_806 Depth=1
	s_delay_alu instid0(SALU_CYCLE_1)
	s_or_b32 exec_lo, exec_lo, s16
.LBB362_1028:                           ;   in Loop: Header=BB362_806 Depth=1
	s_delay_alu instid0(SALU_CYCLE_1) | instskip(NEXT) | instid1(SALU_CYCLE_1)
	s_or_b32 exec_lo, exec_lo, s15
	s_mov_b32 s15, exec_lo
	v_cmpx_lt_u32_e32 0xffffff, v0
	s_cbranch_execz .LBB362_1036
; %bb.1029:                             ;   in Loop: Header=BB362_806 Depth=1
	v_lshrrev_b32_e32 v18, 24, v0
	v_bfrev_b32_e32 v33, 1
	s_mov_b32 s16, exec_lo
	s_delay_alu instid0(VALU_DEP_2)
	v_cmpx_ne_u32_e32 0x80, v18
	s_cbranch_execz .LBB362_1035
; %bb.1030:                             ;   in Loop: Header=BB362_806 Depth=1
	v_bfe_u32 v34, v0, 24, 7
	v_mov_b32_e32 v33, 0x7f800001
	s_mov_b32 s17, exec_lo
	s_delay_alu instid0(VALU_DEP_2)
	v_cmpx_ne_u32_e32 0x7f, v34
	s_cbranch_execz .LBB362_1034
; %bb.1031:                             ;   in Loop: Header=BB362_806 Depth=1
	v_and_b32_e32 v22, 7, v18
	v_lshrrev_b32_e32 v19, 3, v34
	s_mov_b32 s18, exec_lo
	v_cmpx_gt_u32_e32 8, v34
; %bb.1032:                             ;   in Loop: Header=BB362_806 Depth=1
	s_delay_alu instid0(VALU_DEP_3) | instskip(NEXT) | instid1(VALU_DEP_1)
	v_clz_i32_u32_e32 v2, v22
	v_min_u32_e32 v2, 32, v2
	s_delay_alu instid0(VALU_DEP_1) | instskip(NEXT) | instid1(VALU_DEP_1)
	v_subrev_nc_u32_e32 v3, 28, v2
	v_lshlrev_b64_e32 v[48:49], v3, v[22:23]
	s_delay_alu instid0(VALU_DEP_1)
	v_dual_sub_nc_u32 v19, 29, v2 :: v_dual_bitop2_b32 v22, 7, v48 bitop3:0x40
; %bb.1033:                             ;   in Loop: Header=BB362_806 Depth=1
	s_or_b32 exec_lo, exec_lo, s18
	v_lshlrev_b32_e32 v2, 24, v18
	s_delay_alu instid0(VALU_DEP_2) | instskip(NEXT) | instid1(VALU_DEP_3)
	v_lshlrev_b32_e32 v3, 20, v22
	v_lshl_add_u32 v4, v19, 23, 0x3c000000
	s_delay_alu instid0(VALU_DEP_3) | instskip(NEXT) | instid1(VALU_DEP_1)
	v_and_b32_e32 v2, 0x80000000, v2
	v_or3_b32 v33, v3, v2, v4
.LBB362_1034:                           ;   in Loop: Header=BB362_806 Depth=1
	s_or_b32 exec_lo, exec_lo, s17
.LBB362_1035:                           ;   in Loop: Header=BB362_806 Depth=1
	s_delay_alu instid0(SALU_CYCLE_1)
	s_or_b32 exec_lo, exec_lo, s16
.LBB362_1036:                           ;   in Loop: Header=BB362_806 Depth=1
	s_delay_alu instid0(SALU_CYCLE_1) | instskip(SKIP_4) | instid1(VALU_DEP_3)
	s_or_b32 exec_lo, exec_lo, s15
	v_and_b32_e32 v18, 0xff, v1
	v_dual_mov_b32 v22, v1 :: v_dual_mov_b32 v39, 0
	v_mov_b32_e32 v34, 0
	s_mov_b32 s15, exec_lo
	v_cmpx_ne_u16_e32 0, v18
	s_cbranch_execz .LBB362_1044
; %bb.1037:                             ;   in Loop: Header=BB362_806 Depth=1
	v_bfrev_b32_e32 v34, 1
	s_mov_b32 s16, exec_lo
	v_cmpx_ne_u16_e32 0x80, v18
	s_cbranch_execz .LBB362_1043
; %bb.1038:                             ;   in Loop: Header=BB362_806 Depth=1
	v_and_b32_e32 v18, 0x7f, v1
	v_mov_b32_e32 v34, 0x7f800001
	s_mov_b32 s17, exec_lo
	s_delay_alu instid0(VALU_DEP_2)
	v_cmpx_ne_u32_e32 0x7f, v18
	s_cbranch_execz .LBB362_1042
; %bb.1039:                             ;   in Loop: Header=BB362_806 Depth=1
	v_lshrrev_b32_e32 v34, 3, v18
	v_cmp_gt_u32_e64 s0, 8, v18
	v_mov_b64_e32 v[18:19], v[22:23]
	s_and_saveexec_b32 s18, s0
; %bb.1040:                             ;   in Loop: Header=BB362_806 Depth=1
	v_and_b32_e32 v2, 7, v1
	s_delay_alu instid0(VALU_DEP_1) | instskip(NEXT) | instid1(VALU_DEP_1)
	v_clz_i32_u32_e32 v2, v2
	v_min_u32_e32 v2, 32, v2
	s_delay_alu instid0(VALU_DEP_1) | instskip(SKIP_1) | instid1(VALU_DEP_2)
	v_subrev_nc_u32_e32 v3, 28, v2
	v_sub_nc_u32_e32 v34, 29, v2
	v_lshlrev_b64_e32 v[18:19], v3, v[22:23]
; %bb.1041:                             ;   in Loop: Header=BB362_806 Depth=1
	s_or_b32 exec_lo, exec_lo, s18
	s_delay_alu instid0(VALU_DEP_1) | instskip(SKIP_2) | instid1(VALU_DEP_3)
	v_lshlrev_b32_e32 v2, 20, v18
	v_lshlrev_b32_e32 v3, 24, v22
	v_lshl_add_u32 v4, v34, 23, 0x3c000000
	v_and_b32_e32 v2, 0x700000, v2
	s_delay_alu instid0(VALU_DEP_3) | instskip(NEXT) | instid1(VALU_DEP_1)
	v_and_b32_e32 v3, 0x80000000, v3
	v_or3_b32 v34, v2, v3, v4
.LBB362_1042:                           ;   in Loop: Header=BB362_806 Depth=1
	s_or_b32 exec_lo, exec_lo, s17
.LBB362_1043:                           ;   in Loop: Header=BB362_806 Depth=1
	s_delay_alu instid0(SALU_CYCLE_1)
	s_or_b32 exec_lo, exec_lo, s16
.LBB362_1044:                           ;   in Loop: Header=BB362_806 Depth=1
	s_delay_alu instid0(SALU_CYCLE_1) | instskip(SKIP_2) | instid1(VALU_DEP_1)
	s_or_b32 exec_lo, exec_lo, s15
	v_lshrrev_b16 v18, 8, v22
	s_mov_b32 s15, exec_lo
	v_cmpx_ne_u16_e32 0, v18
	s_cbranch_execz .LBB362_1052
; %bb.1045:                             ;   in Loop: Header=BB362_806 Depth=1
	v_bfrev_b32_e32 v39, 1
	s_mov_b32 s16, exec_lo
	v_cmpx_ne_u16_e32 0x80, v18
	s_cbranch_execz .LBB362_1051
; %bb.1046:                             ;   in Loop: Header=BB362_806 Depth=1
	v_and_b32_e32 v18, 0xffff, v18
	v_mov_b32_e32 v39, 0x7f800001
	s_mov_b32 s17, exec_lo
	s_delay_alu instid0(VALU_DEP_2) | instskip(NEXT) | instid1(VALU_DEP_1)
	v_and_b32_e32 v48, 0x7f, v18
	v_cmpx_ne_u32_e32 0x7f, v48
	s_cbranch_execz .LBB362_1050
; %bb.1047:                             ;   in Loop: Header=BB362_806 Depth=1
	v_dual_mov_b32 v19, v23 :: v_dual_bitop2_b32 v18, 7, v18 bitop3:0x40
	v_lshrrev_b32_e32 v39, 3, v48
	s_mov_b32 s18, exec_lo
	v_cmpx_gt_u32_e32 8, v48
; %bb.1048:                             ;   in Loop: Header=BB362_806 Depth=1
	s_delay_alu instid0(VALU_DEP_3) | instskip(NEXT) | instid1(VALU_DEP_1)
	v_clz_i32_u32_e32 v2, v18
	v_min_u32_e32 v2, 32, v2
	s_delay_alu instid0(VALU_DEP_1) | instskip(SKIP_1) | instid1(VALU_DEP_2)
	v_subrev_nc_u32_e32 v3, 28, v2
	v_sub_nc_u32_e32 v39, 29, v2
	v_lshlrev_b64_e32 v[18:19], v3, v[18:19]
	s_delay_alu instid0(VALU_DEP_1)
	v_and_b32_e32 v18, 7, v18
; %bb.1049:                             ;   in Loop: Header=BB362_806 Depth=1
	s_or_b32 exec_lo, exec_lo, s18
	v_lshlrev_b32_e32 v2, 16, v22
	s_delay_alu instid0(VALU_DEP_2) | instskip(SKIP_1) | instid1(VALU_DEP_3)
	v_lshlrev_b32_e32 v3, 20, v18
	v_lshl_add_u32 v4, v39, 23, 0x3c000000
	v_and_b32_e32 v2, 0x80000000, v2
	s_delay_alu instid0(VALU_DEP_1)
	v_or3_b32 v39, v3, v2, v4
.LBB362_1050:                           ;   in Loop: Header=BB362_806 Depth=1
	s_or_b32 exec_lo, exec_lo, s17
.LBB362_1051:                           ;   in Loop: Header=BB362_806 Depth=1
	s_delay_alu instid0(SALU_CYCLE_1)
	s_or_b32 exec_lo, exec_lo, s16
.LBB362_1052:                           ;   in Loop: Header=BB362_806 Depth=1
	s_delay_alu instid0(SALU_CYCLE_1) | instskip(SKIP_3) | instid1(VALU_DEP_2)
	s_or_b32 exec_lo, exec_lo, s15
	v_dual_lshrrev_b32 v48, 16, v1 :: v_dual_mov_b32 v18, 0
	v_mov_b32_e32 v19, 0
	s_mov_b32 s15, exec_lo
	v_and_b32_e32 v22, 0xff, v48
	s_delay_alu instid0(VALU_DEP_1)
	v_cmpx_ne_u16_e32 0, v22
	s_cbranch_execz .LBB362_1060
; %bb.1053:                             ;   in Loop: Header=BB362_806 Depth=1
	v_bfrev_b32_e32 v19, 1
	s_mov_b32 s16, exec_lo
	v_cmpx_ne_u16_e32 0x80, v22
	s_cbranch_execz .LBB362_1059
; %bb.1054:                             ;   in Loop: Header=BB362_806 Depth=1
	v_bfe_u32 v49, v1, 16, 7
	v_mov_b32_e32 v19, 0x7f800001
	s_mov_b32 s17, exec_lo
	s_delay_alu instid0(VALU_DEP_2)
	v_cmpx_ne_u32_e32 0x7f, v49
	s_cbranch_execz .LBB362_1058
; %bb.1055:                             ;   in Loop: Header=BB362_806 Depth=1
	v_dual_lshrrev_b32 v19, 3, v49 :: v_dual_bitop2_b32 v22, 7, v48 bitop3:0x40
	s_mov_b32 s18, exec_lo
	v_cmpx_gt_u32_e32 8, v49
; %bb.1056:                             ;   in Loop: Header=BB362_806 Depth=1
	s_delay_alu instid0(VALU_DEP_2) | instskip(NEXT) | instid1(VALU_DEP_1)
	v_clz_i32_u32_e32 v2, v22
	v_min_u32_e32 v2, 32, v2
	s_delay_alu instid0(VALU_DEP_1) | instskip(SKIP_1) | instid1(VALU_DEP_2)
	v_subrev_nc_u32_e32 v3, 28, v2
	v_sub_nc_u32_e32 v19, 29, v2
	v_lshlrev_b64_e32 v[50:51], v3, v[22:23]
	s_delay_alu instid0(VALU_DEP_1)
	v_and_b32_e32 v22, 7, v50
; %bb.1057:                             ;   in Loop: Header=BB362_806 Depth=1
	s_or_b32 exec_lo, exec_lo, s18
	s_delay_alu instid0(VALU_DEP_1) | instskip(SKIP_1) | instid1(VALU_DEP_2)
	v_dual_lshlrev_b32 v2, 24, v48 :: v_dual_lshlrev_b32 v3, 20, v22
	v_lshl_add_u32 v4, v19, 23, 0x3c000000
	v_and_b32_e32 v2, 0x80000000, v2
	s_delay_alu instid0(VALU_DEP_1)
	v_or3_b32 v19, v3, v2, v4
.LBB362_1058:                           ;   in Loop: Header=BB362_806 Depth=1
	s_or_b32 exec_lo, exec_lo, s17
.LBB362_1059:                           ;   in Loop: Header=BB362_806 Depth=1
	s_delay_alu instid0(SALU_CYCLE_1)
	s_or_b32 exec_lo, exec_lo, s16
.LBB362_1060:                           ;   in Loop: Header=BB362_806 Depth=1
	s_delay_alu instid0(SALU_CYCLE_1) | instskip(NEXT) | instid1(SALU_CYCLE_1)
	s_or_b32 exec_lo, exec_lo, s15
	s_mov_b32 s15, exec_lo
	v_cmpx_lt_u64_e64 s[2:3], v[0:1]
	s_cbranch_execz .LBB362_1068
; %bb.1061:                             ;   in Loop: Header=BB362_806 Depth=1
	v_lshrrev_b32_e32 v0, 24, v1
	v_bfrev_b32_e32 v18, 1
	s_mov_b32 s16, exec_lo
	s_delay_alu instid0(VALU_DEP_2)
	v_cmpx_ne_u32_e32 0x80, v0
	s_cbranch_execz .LBB362_1067
; %bb.1062:                             ;   in Loop: Header=BB362_806 Depth=1
	v_bfe_u32 v48, v1, 24, 7
	v_mov_b32_e32 v18, 0x7f800001
	s_mov_b32 s17, exec_lo
	s_delay_alu instid0(VALU_DEP_2)
	v_cmpx_ne_u32_e32 0x7f, v48
	s_cbranch_execz .LBB362_1066
; %bb.1063:                             ;   in Loop: Header=BB362_806 Depth=1
	v_and_b32_e32 v22, 7, v0
	v_lshrrev_b32_e32 v1, 3, v48
	s_mov_b32 s18, exec_lo
	v_cmpx_gt_u32_e32 8, v48
; %bb.1064:                             ;   in Loop: Header=BB362_806 Depth=1
	s_delay_alu instid0(VALU_DEP_3) | instskip(NEXT) | instid1(VALU_DEP_1)
	v_clz_i32_u32_e32 v1, v22
	v_min_u32_e32 v1, 32, v1
	s_delay_alu instid0(VALU_DEP_1) | instskip(NEXT) | instid1(VALU_DEP_1)
	v_subrev_nc_u32_e32 v2, 28, v1
	v_lshlrev_b64_e32 v[48:49], v2, v[22:23]
	s_delay_alu instid0(VALU_DEP_1)
	v_dual_sub_nc_u32 v1, 29, v1 :: v_dual_bitop2_b32 v22, 7, v48 bitop3:0x40
; %bb.1065:                             ;   in Loop: Header=BB362_806 Depth=1
	s_or_b32 exec_lo, exec_lo, s18
	s_delay_alu instid0(VALU_DEP_1) | instskip(NEXT) | instid1(VALU_DEP_2)
	v_dual_lshlrev_b32 v0, 24, v0 :: v_dual_lshlrev_b32 v2, 20, v22
	v_lshl_add_u32 v1, v1, 23, 0x3c000000
	s_delay_alu instid0(VALU_DEP_2) | instskip(NEXT) | instid1(VALU_DEP_1)
	v_and_b32_e32 v0, 0x80000000, v0
	v_or3_b32 v18, v2, v0, v1
.LBB362_1066:                           ;   in Loop: Header=BB362_806 Depth=1
	s_or_b32 exec_lo, exec_lo, s17
.LBB362_1067:                           ;   in Loop: Header=BB362_806 Depth=1
	s_delay_alu instid0(SALU_CYCLE_1)
	s_or_b32 exec_lo, exec_lo, s16
.LBB362_1068:                           ;   in Loop: Header=BB362_806 Depth=1
	s_delay_alu instid0(SALU_CYCLE_1)
	s_or_b32 exec_lo, exec_lo, s15
	v_fma_mixlo_bf16 v102, v35, v39, 0
	v_fma_mixlo_bf16 v103, v35, v34, 0
	;; [unrolled: 1-line block ×8, first 2 shown]
	s_and_saveexec_b32 s15, vcc_lo
	s_cbranch_execz .LBB362_1070
; %bb.1069:                             ;   in Loop: Header=BB362_806 Depth=1
	v_cmp_lt_i32_e64 s0, v81, v118
	s_delay_alu instid0(VALU_DEP_1) | instskip(SKIP_1) | instid1(VALU_DEP_1)
	v_cndmask_b32_e64 v117, 0, v117, s0
	v_cmp_lt_i32_e64 s0, v85, v118
	v_cndmask_b32_e64 v116, 0, v116, s0
	v_cmp_lt_i32_e64 s0, v84, v118
	s_delay_alu instid0(VALU_DEP_1) | instskip(SKIP_1) | instid1(VALU_DEP_1)
	v_cndmask_b32_e64 v115, 0, v115, s0
	v_cmp_lt_i32_e64 s0, v83, v118
	v_cndmask_b32_e64 v114, 0, v114, s0
	;; [unrolled: 5-line block ×4, first 2 shown]
.LBB362_1070:                           ;   in Loop: Header=BB362_806 Depth=1
	s_or_b32 exec_lo, exec_lo, s15
	flat_load_b64 v[0:1], v[30:31] offset:1024
	v_dual_mov_b32 v29, 0 :: v_dual_mov_b32 v28, 0
	s_mov_b32 s15, exec_lo
	s_wait_loadcnt_dscnt 0x0
	v_and_b32_e32 v18, 0xff, v0
	s_wait_xcnt 0x0
	s_delay_alu instid0(VALU_DEP_1)
	v_cmpx_ne_u16_e32 0, v18
	s_cbranch_execz .LBB362_1078
; %bb.1071:                             ;   in Loop: Header=BB362_806 Depth=1
	v_bfrev_b32_e32 v28, 1
	s_mov_b32 s16, exec_lo
	v_cmpx_ne_u16_e32 0x80, v18
	s_cbranch_execz .LBB362_1077
; %bb.1072:                             ;   in Loop: Header=BB362_806 Depth=1
	v_and_b32_e32 v18, 0x7f, v0
	v_mov_b32_e32 v28, 0x7f800001
	s_mov_b32 s17, exec_lo
	s_delay_alu instid0(VALU_DEP_2)
	v_cmpx_ne_u32_e32 0x7f, v18
	s_cbranch_execz .LBB362_1076
; %bb.1073:                             ;   in Loop: Header=BB362_806 Depth=1
	v_lshrrev_b32_e32 v22, 3, v18
	v_cmp_gt_u32_e64 s0, 8, v18
	v_mov_b64_e32 v[18:19], v[0:1]
	s_and_saveexec_b32 s18, s0
; %bb.1074:                             ;   in Loop: Header=BB362_806 Depth=1
	v_and_b32_e32 v2, 7, v0
	s_delay_alu instid0(VALU_DEP_1) | instskip(NEXT) | instid1(VALU_DEP_1)
	v_clz_i32_u32_e32 v2, v2
	v_min_u32_e32 v2, 32, v2
	s_delay_alu instid0(VALU_DEP_1) | instskip(SKIP_1) | instid1(VALU_DEP_2)
	v_subrev_nc_u32_e32 v3, 28, v2
	v_sub_nc_u32_e32 v22, 29, v2
	v_lshlrev_b64_e32 v[18:19], v3, v[0:1]
; %bb.1075:                             ;   in Loop: Header=BB362_806 Depth=1
	s_or_b32 exec_lo, exec_lo, s18
	s_delay_alu instid0(VALU_DEP_1) | instskip(NEXT) | instid1(VALU_DEP_3)
	v_dual_lshlrev_b32 v2, 20, v18 :: v_dual_lshlrev_b32 v3, 24, v0
	v_lshl_add_u32 v4, v22, 23, 0x3c000000
	s_delay_alu instid0(VALU_DEP_2) | instskip(NEXT) | instid1(VALU_DEP_3)
	v_and_b32_e32 v2, 0x700000, v2
	v_and_b32_e32 v3, 0x80000000, v3
	s_delay_alu instid0(VALU_DEP_1)
	v_or3_b32 v28, v2, v3, v4
.LBB362_1076:                           ;   in Loop: Header=BB362_806 Depth=1
	s_or_b32 exec_lo, exec_lo, s17
.LBB362_1077:                           ;   in Loop: Header=BB362_806 Depth=1
	s_delay_alu instid0(SALU_CYCLE_1)
	s_or_b32 exec_lo, exec_lo, s16
.LBB362_1078:                           ;   in Loop: Header=BB362_806 Depth=1
	s_delay_alu instid0(SALU_CYCLE_1) | instskip(SKIP_2) | instid1(VALU_DEP_1)
	s_or_b32 exec_lo, exec_lo, s15
	v_lshrrev_b16 v18, 8, v0
	s_mov_b32 s15, exec_lo
	v_cmpx_ne_u16_e32 0, v18
	s_cbranch_execz .LBB362_1086
; %bb.1079:                             ;   in Loop: Header=BB362_806 Depth=1
	v_bfrev_b32_e32 v29, 1
	s_mov_b32 s16, exec_lo
	v_cmpx_ne_u16_e32 0x80, v18
	s_cbranch_execz .LBB362_1085
; %bb.1080:                             ;   in Loop: Header=BB362_806 Depth=1
	v_and_b32_e32 v18, 0xffff, v18
	v_mov_b32_e32 v29, 0x7f800001
	s_mov_b32 s17, exec_lo
	s_delay_alu instid0(VALU_DEP_2) | instskip(NEXT) | instid1(VALU_DEP_1)
	v_and_b32_e32 v19, 0x7f, v18
	v_cmpx_ne_u32_e32 0x7f, v19
	s_cbranch_execz .LBB362_1084
; %bb.1081:                             ;   in Loop: Header=BB362_806 Depth=1
	v_dual_lshrrev_b32 v18, 3, v19 :: v_dual_bitop2_b32 v22, 7, v18 bitop3:0x40
	s_mov_b32 s18, exec_lo
	v_cmpx_gt_u32_e32 8, v19
; %bb.1082:                             ;   in Loop: Header=BB362_806 Depth=1
	s_delay_alu instid0(VALU_DEP_2) | instskip(NEXT) | instid1(VALU_DEP_1)
	v_clz_i32_u32_e32 v2, v22
	v_min_u32_e32 v2, 32, v2
	s_delay_alu instid0(VALU_DEP_1) | instskip(NEXT) | instid1(VALU_DEP_1)
	v_subrev_nc_u32_e32 v3, 28, v2
	v_lshlrev_b64_e32 v[32:33], v3, v[22:23]
	s_delay_alu instid0(VALU_DEP_1)
	v_dual_sub_nc_u32 v18, 29, v2 :: v_dual_bitop2_b32 v22, 7, v32 bitop3:0x40
; %bb.1083:                             ;   in Loop: Header=BB362_806 Depth=1
	s_or_b32 exec_lo, exec_lo, s18
	s_delay_alu instid0(VALU_DEP_1) | instskip(NEXT) | instid1(VALU_DEP_2)
	v_dual_lshlrev_b32 v2, 16, v0 :: v_dual_lshlrev_b32 v3, 20, v22
	v_lshl_add_u32 v4, v18, 23, 0x3c000000
	s_delay_alu instid0(VALU_DEP_2) | instskip(NEXT) | instid1(VALU_DEP_1)
	v_and_b32_e32 v2, 0x80000000, v2
	v_or3_b32 v29, v3, v2, v4
.LBB362_1084:                           ;   in Loop: Header=BB362_806 Depth=1
	s_or_b32 exec_lo, exec_lo, s17
.LBB362_1085:                           ;   in Loop: Header=BB362_806 Depth=1
	s_delay_alu instid0(SALU_CYCLE_1)
	s_or_b32 exec_lo, exec_lo, s16
.LBB362_1086:                           ;   in Loop: Header=BB362_806 Depth=1
	s_delay_alu instid0(SALU_CYCLE_1) | instskip(SKIP_3) | instid1(VALU_DEP_2)
	s_or_b32 exec_lo, exec_lo, s15
	v_dual_mov_b32 v33, 0 :: v_dual_lshrrev_b32 v18, 16, v0
	v_mov_b32_e32 v32, 0
	s_mov_b32 s15, exec_lo
	v_and_b32_e32 v19, 0xff, v18
	s_delay_alu instid0(VALU_DEP_1)
	v_cmpx_ne_u16_e32 0, v19
	s_cbranch_execz .LBB362_1094
; %bb.1087:                             ;   in Loop: Header=BB362_806 Depth=1
	v_bfrev_b32_e32 v32, 1
	s_mov_b32 s16, exec_lo
	v_cmpx_ne_u16_e32 0x80, v19
	s_cbranch_execz .LBB362_1093
; %bb.1088:                             ;   in Loop: Header=BB362_806 Depth=1
	v_bfe_u32 v34, v0, 16, 7
	v_mov_b32_e32 v32, 0x7f800001
	s_mov_b32 s17, exec_lo
	s_delay_alu instid0(VALU_DEP_2)
	v_cmpx_ne_u32_e32 0x7f, v34
	s_cbranch_execz .LBB362_1092
; %bb.1089:                             ;   in Loop: Header=BB362_806 Depth=1
	v_and_b32_e32 v22, 7, v18
	v_lshrrev_b32_e32 v19, 3, v34
	s_mov_b32 s18, exec_lo
	v_cmpx_gt_u32_e32 8, v34
; %bb.1090:                             ;   in Loop: Header=BB362_806 Depth=1
	s_delay_alu instid0(VALU_DEP_3) | instskip(NEXT) | instid1(VALU_DEP_1)
	v_clz_i32_u32_e32 v2, v22
	v_min_u32_e32 v2, 32, v2
	s_delay_alu instid0(VALU_DEP_1) | instskip(NEXT) | instid1(VALU_DEP_1)
	v_subrev_nc_u32_e32 v3, 28, v2
	v_lshlrev_b64_e32 v[48:49], v3, v[22:23]
	s_delay_alu instid0(VALU_DEP_1)
	v_dual_sub_nc_u32 v19, 29, v2 :: v_dual_bitop2_b32 v22, 7, v48 bitop3:0x40
; %bb.1091:                             ;   in Loop: Header=BB362_806 Depth=1
	s_or_b32 exec_lo, exec_lo, s18
	v_lshlrev_b32_e32 v2, 24, v18
	s_delay_alu instid0(VALU_DEP_2) | instskip(NEXT) | instid1(VALU_DEP_3)
	v_lshlrev_b32_e32 v3, 20, v22
	v_lshl_add_u32 v4, v19, 23, 0x3c000000
	s_delay_alu instid0(VALU_DEP_3) | instskip(NEXT) | instid1(VALU_DEP_1)
	v_and_b32_e32 v2, 0x80000000, v2
	v_or3_b32 v32, v3, v2, v4
.LBB362_1092:                           ;   in Loop: Header=BB362_806 Depth=1
	s_or_b32 exec_lo, exec_lo, s17
.LBB362_1093:                           ;   in Loop: Header=BB362_806 Depth=1
	s_delay_alu instid0(SALU_CYCLE_1)
	s_or_b32 exec_lo, exec_lo, s16
.LBB362_1094:                           ;   in Loop: Header=BB362_806 Depth=1
	s_delay_alu instid0(SALU_CYCLE_1) | instskip(NEXT) | instid1(SALU_CYCLE_1)
	s_or_b32 exec_lo, exec_lo, s15
	s_mov_b32 s15, exec_lo
	v_cmpx_lt_u32_e32 0xffffff, v0
	s_cbranch_execz .LBB362_1102
; %bb.1095:                             ;   in Loop: Header=BB362_806 Depth=1
	v_lshrrev_b32_e32 v18, 24, v0
	v_bfrev_b32_e32 v33, 1
	s_mov_b32 s16, exec_lo
	s_delay_alu instid0(VALU_DEP_2)
	v_cmpx_ne_u32_e32 0x80, v18
	s_cbranch_execz .LBB362_1101
; %bb.1096:                             ;   in Loop: Header=BB362_806 Depth=1
	v_bfe_u32 v34, v0, 24, 7
	v_mov_b32_e32 v33, 0x7f800001
	s_mov_b32 s17, exec_lo
	s_delay_alu instid0(VALU_DEP_2)
	v_cmpx_ne_u32_e32 0x7f, v34
	s_cbranch_execz .LBB362_1100
; %bb.1097:                             ;   in Loop: Header=BB362_806 Depth=1
	v_and_b32_e32 v22, 7, v18
	v_lshrrev_b32_e32 v19, 3, v34
	s_mov_b32 s18, exec_lo
	v_cmpx_gt_u32_e32 8, v34
; %bb.1098:                             ;   in Loop: Header=BB362_806 Depth=1
	s_delay_alu instid0(VALU_DEP_3) | instskip(NEXT) | instid1(VALU_DEP_1)
	v_clz_i32_u32_e32 v2, v22
	v_min_u32_e32 v2, 32, v2
	s_delay_alu instid0(VALU_DEP_1) | instskip(NEXT) | instid1(VALU_DEP_1)
	v_subrev_nc_u32_e32 v3, 28, v2
	v_lshlrev_b64_e32 v[48:49], v3, v[22:23]
	s_delay_alu instid0(VALU_DEP_1)
	v_dual_sub_nc_u32 v19, 29, v2 :: v_dual_bitop2_b32 v22, 7, v48 bitop3:0x40
; %bb.1099:                             ;   in Loop: Header=BB362_806 Depth=1
	s_or_b32 exec_lo, exec_lo, s18
	v_lshlrev_b32_e32 v2, 24, v18
	s_delay_alu instid0(VALU_DEP_2) | instskip(NEXT) | instid1(VALU_DEP_3)
	v_lshlrev_b32_e32 v3, 20, v22
	v_lshl_add_u32 v4, v19, 23, 0x3c000000
	s_delay_alu instid0(VALU_DEP_3) | instskip(NEXT) | instid1(VALU_DEP_1)
	v_and_b32_e32 v2, 0x80000000, v2
	v_or3_b32 v33, v3, v2, v4
.LBB362_1100:                           ;   in Loop: Header=BB362_806 Depth=1
	s_or_b32 exec_lo, exec_lo, s17
.LBB362_1101:                           ;   in Loop: Header=BB362_806 Depth=1
	s_delay_alu instid0(SALU_CYCLE_1)
	s_or_b32 exec_lo, exec_lo, s16
.LBB362_1102:                           ;   in Loop: Header=BB362_806 Depth=1
	s_delay_alu instid0(SALU_CYCLE_1) | instskip(SKIP_4) | instid1(VALU_DEP_3)
	s_or_b32 exec_lo, exec_lo, s15
	v_and_b32_e32 v18, 0xff, v1
	v_dual_mov_b32 v22, v1 :: v_dual_mov_b32 v39, 0
	v_mov_b32_e32 v34, 0
	s_mov_b32 s15, exec_lo
	v_cmpx_ne_u16_e32 0, v18
	s_cbranch_execz .LBB362_1110
; %bb.1103:                             ;   in Loop: Header=BB362_806 Depth=1
	v_bfrev_b32_e32 v34, 1
	s_mov_b32 s16, exec_lo
	v_cmpx_ne_u16_e32 0x80, v18
	s_cbranch_execz .LBB362_1109
; %bb.1104:                             ;   in Loop: Header=BB362_806 Depth=1
	v_and_b32_e32 v18, 0x7f, v1
	v_mov_b32_e32 v34, 0x7f800001
	s_mov_b32 s17, exec_lo
	s_delay_alu instid0(VALU_DEP_2)
	v_cmpx_ne_u32_e32 0x7f, v18
	s_cbranch_execz .LBB362_1108
; %bb.1105:                             ;   in Loop: Header=BB362_806 Depth=1
	v_lshrrev_b32_e32 v34, 3, v18
	v_cmp_gt_u32_e64 s0, 8, v18
	v_mov_b64_e32 v[18:19], v[22:23]
	s_and_saveexec_b32 s18, s0
; %bb.1106:                             ;   in Loop: Header=BB362_806 Depth=1
	v_and_b32_e32 v2, 7, v1
	s_delay_alu instid0(VALU_DEP_1) | instskip(NEXT) | instid1(VALU_DEP_1)
	v_clz_i32_u32_e32 v2, v2
	v_min_u32_e32 v2, 32, v2
	s_delay_alu instid0(VALU_DEP_1) | instskip(SKIP_1) | instid1(VALU_DEP_2)
	v_subrev_nc_u32_e32 v3, 28, v2
	v_sub_nc_u32_e32 v34, 29, v2
	v_lshlrev_b64_e32 v[18:19], v3, v[22:23]
; %bb.1107:                             ;   in Loop: Header=BB362_806 Depth=1
	s_or_b32 exec_lo, exec_lo, s18
	s_delay_alu instid0(VALU_DEP_1) | instskip(SKIP_2) | instid1(VALU_DEP_3)
	v_lshlrev_b32_e32 v2, 20, v18
	v_lshlrev_b32_e32 v3, 24, v22
	v_lshl_add_u32 v4, v34, 23, 0x3c000000
	v_and_b32_e32 v2, 0x700000, v2
	s_delay_alu instid0(VALU_DEP_3) | instskip(NEXT) | instid1(VALU_DEP_1)
	v_and_b32_e32 v3, 0x80000000, v3
	v_or3_b32 v34, v2, v3, v4
.LBB362_1108:                           ;   in Loop: Header=BB362_806 Depth=1
	s_or_b32 exec_lo, exec_lo, s17
.LBB362_1109:                           ;   in Loop: Header=BB362_806 Depth=1
	s_delay_alu instid0(SALU_CYCLE_1)
	s_or_b32 exec_lo, exec_lo, s16
.LBB362_1110:                           ;   in Loop: Header=BB362_806 Depth=1
	s_delay_alu instid0(SALU_CYCLE_1) | instskip(SKIP_2) | instid1(VALU_DEP_1)
	s_or_b32 exec_lo, exec_lo, s15
	v_lshrrev_b16 v18, 8, v22
	s_mov_b32 s15, exec_lo
	v_cmpx_ne_u16_e32 0, v18
	s_cbranch_execz .LBB362_1118
; %bb.1111:                             ;   in Loop: Header=BB362_806 Depth=1
	v_bfrev_b32_e32 v39, 1
	s_mov_b32 s16, exec_lo
	v_cmpx_ne_u16_e32 0x80, v18
	s_cbranch_execz .LBB362_1117
; %bb.1112:                             ;   in Loop: Header=BB362_806 Depth=1
	v_and_b32_e32 v18, 0xffff, v18
	v_mov_b32_e32 v39, 0x7f800001
	s_mov_b32 s17, exec_lo
	s_delay_alu instid0(VALU_DEP_2) | instskip(NEXT) | instid1(VALU_DEP_1)
	v_and_b32_e32 v48, 0x7f, v18
	v_cmpx_ne_u32_e32 0x7f, v48
	s_cbranch_execz .LBB362_1116
; %bb.1113:                             ;   in Loop: Header=BB362_806 Depth=1
	v_dual_mov_b32 v19, v23 :: v_dual_bitop2_b32 v18, 7, v18 bitop3:0x40
	v_lshrrev_b32_e32 v39, 3, v48
	s_mov_b32 s18, exec_lo
	v_cmpx_gt_u32_e32 8, v48
; %bb.1114:                             ;   in Loop: Header=BB362_806 Depth=1
	s_delay_alu instid0(VALU_DEP_3) | instskip(NEXT) | instid1(VALU_DEP_1)
	v_clz_i32_u32_e32 v2, v18
	v_min_u32_e32 v2, 32, v2
	s_delay_alu instid0(VALU_DEP_1) | instskip(SKIP_1) | instid1(VALU_DEP_2)
	v_subrev_nc_u32_e32 v3, 28, v2
	v_sub_nc_u32_e32 v39, 29, v2
	v_lshlrev_b64_e32 v[18:19], v3, v[18:19]
	s_delay_alu instid0(VALU_DEP_1)
	v_and_b32_e32 v18, 7, v18
; %bb.1115:                             ;   in Loop: Header=BB362_806 Depth=1
	s_or_b32 exec_lo, exec_lo, s18
	v_lshlrev_b32_e32 v2, 16, v22
	s_delay_alu instid0(VALU_DEP_2) | instskip(SKIP_1) | instid1(VALU_DEP_3)
	v_lshlrev_b32_e32 v3, 20, v18
	v_lshl_add_u32 v4, v39, 23, 0x3c000000
	v_and_b32_e32 v2, 0x80000000, v2
	s_delay_alu instid0(VALU_DEP_1)
	v_or3_b32 v39, v3, v2, v4
.LBB362_1116:                           ;   in Loop: Header=BB362_806 Depth=1
	s_or_b32 exec_lo, exec_lo, s17
.LBB362_1117:                           ;   in Loop: Header=BB362_806 Depth=1
	s_delay_alu instid0(SALU_CYCLE_1)
	s_or_b32 exec_lo, exec_lo, s16
.LBB362_1118:                           ;   in Loop: Header=BB362_806 Depth=1
	s_delay_alu instid0(SALU_CYCLE_1) | instskip(SKIP_3) | instid1(VALU_DEP_2)
	s_or_b32 exec_lo, exec_lo, s15
	v_dual_lshrrev_b32 v48, 16, v1 :: v_dual_mov_b32 v18, 0
	v_mov_b32_e32 v19, 0
	s_mov_b32 s15, exec_lo
	v_and_b32_e32 v22, 0xff, v48
	s_delay_alu instid0(VALU_DEP_1)
	v_cmpx_ne_u16_e32 0, v22
	s_cbranch_execz .LBB362_1126
; %bb.1119:                             ;   in Loop: Header=BB362_806 Depth=1
	v_bfrev_b32_e32 v19, 1
	s_mov_b32 s16, exec_lo
	v_cmpx_ne_u16_e32 0x80, v22
	s_cbranch_execz .LBB362_1125
; %bb.1120:                             ;   in Loop: Header=BB362_806 Depth=1
	v_bfe_u32 v49, v1, 16, 7
	v_mov_b32_e32 v19, 0x7f800001
	s_mov_b32 s17, exec_lo
	s_delay_alu instid0(VALU_DEP_2)
	v_cmpx_ne_u32_e32 0x7f, v49
	s_cbranch_execz .LBB362_1124
; %bb.1121:                             ;   in Loop: Header=BB362_806 Depth=1
	v_dual_lshrrev_b32 v19, 3, v49 :: v_dual_bitop2_b32 v22, 7, v48 bitop3:0x40
	s_mov_b32 s18, exec_lo
	v_cmpx_gt_u32_e32 8, v49
; %bb.1122:                             ;   in Loop: Header=BB362_806 Depth=1
	s_delay_alu instid0(VALU_DEP_2) | instskip(NEXT) | instid1(VALU_DEP_1)
	v_clz_i32_u32_e32 v2, v22
	v_min_u32_e32 v2, 32, v2
	s_delay_alu instid0(VALU_DEP_1) | instskip(SKIP_1) | instid1(VALU_DEP_2)
	v_subrev_nc_u32_e32 v3, 28, v2
	v_sub_nc_u32_e32 v19, 29, v2
	v_lshlrev_b64_e32 v[50:51], v3, v[22:23]
	s_delay_alu instid0(VALU_DEP_1)
	v_and_b32_e32 v22, 7, v50
; %bb.1123:                             ;   in Loop: Header=BB362_806 Depth=1
	s_or_b32 exec_lo, exec_lo, s18
	s_delay_alu instid0(VALU_DEP_1) | instskip(SKIP_1) | instid1(VALU_DEP_2)
	v_dual_lshlrev_b32 v2, 24, v48 :: v_dual_lshlrev_b32 v3, 20, v22
	v_lshl_add_u32 v4, v19, 23, 0x3c000000
	v_and_b32_e32 v2, 0x80000000, v2
	s_delay_alu instid0(VALU_DEP_1)
	v_or3_b32 v19, v3, v2, v4
.LBB362_1124:                           ;   in Loop: Header=BB362_806 Depth=1
	s_or_b32 exec_lo, exec_lo, s17
.LBB362_1125:                           ;   in Loop: Header=BB362_806 Depth=1
	s_delay_alu instid0(SALU_CYCLE_1)
	s_or_b32 exec_lo, exec_lo, s16
.LBB362_1126:                           ;   in Loop: Header=BB362_806 Depth=1
	s_delay_alu instid0(SALU_CYCLE_1) | instskip(NEXT) | instid1(SALU_CYCLE_1)
	s_or_b32 exec_lo, exec_lo, s15
	s_mov_b32 s15, exec_lo
	v_cmpx_lt_u64_e64 s[2:3], v[0:1]
	s_cbranch_execz .LBB362_1134
; %bb.1127:                             ;   in Loop: Header=BB362_806 Depth=1
	v_lshrrev_b32_e32 v0, 24, v1
	v_bfrev_b32_e32 v18, 1
	s_mov_b32 s16, exec_lo
	s_delay_alu instid0(VALU_DEP_2)
	v_cmpx_ne_u32_e32 0x80, v0
	s_cbranch_execz .LBB362_1133
; %bb.1128:                             ;   in Loop: Header=BB362_806 Depth=1
	v_bfe_u32 v48, v1, 24, 7
	v_mov_b32_e32 v18, 0x7f800001
	s_mov_b32 s17, exec_lo
	s_delay_alu instid0(VALU_DEP_2)
	v_cmpx_ne_u32_e32 0x7f, v48
	s_cbranch_execz .LBB362_1132
; %bb.1129:                             ;   in Loop: Header=BB362_806 Depth=1
	v_and_b32_e32 v22, 7, v0
	v_lshrrev_b32_e32 v1, 3, v48
	s_mov_b32 s18, exec_lo
	v_cmpx_gt_u32_e32 8, v48
; %bb.1130:                             ;   in Loop: Header=BB362_806 Depth=1
	s_delay_alu instid0(VALU_DEP_3) | instskip(NEXT) | instid1(VALU_DEP_1)
	v_clz_i32_u32_e32 v1, v22
	v_min_u32_e32 v1, 32, v1
	s_delay_alu instid0(VALU_DEP_1) | instskip(NEXT) | instid1(VALU_DEP_1)
	v_subrev_nc_u32_e32 v2, 28, v1
	v_lshlrev_b64_e32 v[48:49], v2, v[22:23]
	s_delay_alu instid0(VALU_DEP_1)
	v_dual_sub_nc_u32 v1, 29, v1 :: v_dual_bitop2_b32 v22, 7, v48 bitop3:0x40
; %bb.1131:                             ;   in Loop: Header=BB362_806 Depth=1
	s_or_b32 exec_lo, exec_lo, s18
	s_delay_alu instid0(VALU_DEP_1) | instskip(NEXT) | instid1(VALU_DEP_2)
	v_dual_lshlrev_b32 v0, 24, v0 :: v_dual_lshlrev_b32 v2, 20, v22
	v_lshl_add_u32 v1, v1, 23, 0x3c000000
	s_delay_alu instid0(VALU_DEP_2) | instskip(NEXT) | instid1(VALU_DEP_1)
	v_and_b32_e32 v0, 0x80000000, v0
	v_or3_b32 v18, v2, v0, v1
.LBB362_1132:                           ;   in Loop: Header=BB362_806 Depth=1
	s_or_b32 exec_lo, exec_lo, s17
.LBB362_1133:                           ;   in Loop: Header=BB362_806 Depth=1
	s_delay_alu instid0(SALU_CYCLE_1)
	s_or_b32 exec_lo, exec_lo, s16
.LBB362_1134:                           ;   in Loop: Header=BB362_806 Depth=1
	s_delay_alu instid0(SALU_CYCLE_1)
	s_or_b32 exec_lo, exec_lo, s15
	v_fma_mixlo_bf16 v40, v35, v39, 0
	v_fma_mixlo_bf16 v41, v35, v34, 0
	;; [unrolled: 1-line block ×8, first 2 shown]
	s_and_saveexec_b32 s15, vcc_lo
	s_cbranch_execz .LBB362_1136
; %bb.1135:                             ;   in Loop: Header=BB362_806 Depth=1
	v_cmp_lt_i32_e64 s0, v81, v118
	s_delay_alu instid0(VALU_DEP_1) | instskip(SKIP_1) | instid1(VALU_DEP_1)
	v_cndmask_b32_e64 v47, 0, v47, s0
	v_cmp_lt_i32_e64 s0, v85, v118
	v_cndmask_b32_e64 v46, 0, v46, s0
	v_cmp_lt_i32_e64 s0, v84, v118
	s_delay_alu instid0(VALU_DEP_1) | instskip(SKIP_1) | instid1(VALU_DEP_1)
	v_cndmask_b32_e64 v45, 0, v45, s0
	v_cmp_lt_i32_e64 s0, v83, v118
	v_cndmask_b32_e64 v44, 0, v44, s0
	;; [unrolled: 5-line block ×4, first 2 shown]
.LBB362_1136:                           ;   in Loop: Header=BB362_806 Depth=1
	s_or_b32 exec_lo, exec_lo, s15
	flat_load_b64 v[0:1], v[30:31] offset:1280
	v_dual_mov_b32 v29, 0 :: v_dual_mov_b32 v28, 0
	s_mov_b32 s15, exec_lo
	s_wait_loadcnt_dscnt 0x0
	v_and_b32_e32 v18, 0xff, v0
	s_wait_xcnt 0x0
	s_delay_alu instid0(VALU_DEP_1)
	v_cmpx_ne_u16_e32 0, v18
	s_cbranch_execz .LBB362_1144
; %bb.1137:                             ;   in Loop: Header=BB362_806 Depth=1
	v_bfrev_b32_e32 v28, 1
	s_mov_b32 s16, exec_lo
	v_cmpx_ne_u16_e32 0x80, v18
	s_cbranch_execz .LBB362_1143
; %bb.1138:                             ;   in Loop: Header=BB362_806 Depth=1
	v_and_b32_e32 v18, 0x7f, v0
	v_mov_b32_e32 v28, 0x7f800001
	s_mov_b32 s17, exec_lo
	s_delay_alu instid0(VALU_DEP_2)
	v_cmpx_ne_u32_e32 0x7f, v18
	s_cbranch_execz .LBB362_1142
; %bb.1139:                             ;   in Loop: Header=BB362_806 Depth=1
	v_lshrrev_b32_e32 v22, 3, v18
	v_cmp_gt_u32_e64 s0, 8, v18
	v_mov_b64_e32 v[18:19], v[0:1]
	s_and_saveexec_b32 s18, s0
; %bb.1140:                             ;   in Loop: Header=BB362_806 Depth=1
	v_and_b32_e32 v2, 7, v0
	s_delay_alu instid0(VALU_DEP_1) | instskip(NEXT) | instid1(VALU_DEP_1)
	v_clz_i32_u32_e32 v2, v2
	v_min_u32_e32 v2, 32, v2
	s_delay_alu instid0(VALU_DEP_1) | instskip(SKIP_1) | instid1(VALU_DEP_2)
	v_subrev_nc_u32_e32 v3, 28, v2
	v_sub_nc_u32_e32 v22, 29, v2
	v_lshlrev_b64_e32 v[18:19], v3, v[0:1]
; %bb.1141:                             ;   in Loop: Header=BB362_806 Depth=1
	s_or_b32 exec_lo, exec_lo, s18
	s_delay_alu instid0(VALU_DEP_1) | instskip(NEXT) | instid1(VALU_DEP_3)
	v_dual_lshlrev_b32 v2, 20, v18 :: v_dual_lshlrev_b32 v3, 24, v0
	v_lshl_add_u32 v4, v22, 23, 0x3c000000
	s_delay_alu instid0(VALU_DEP_2) | instskip(NEXT) | instid1(VALU_DEP_3)
	v_and_b32_e32 v2, 0x700000, v2
	v_and_b32_e32 v3, 0x80000000, v3
	s_delay_alu instid0(VALU_DEP_1)
	v_or3_b32 v28, v2, v3, v4
.LBB362_1142:                           ;   in Loop: Header=BB362_806 Depth=1
	s_or_b32 exec_lo, exec_lo, s17
.LBB362_1143:                           ;   in Loop: Header=BB362_806 Depth=1
	s_delay_alu instid0(SALU_CYCLE_1)
	s_or_b32 exec_lo, exec_lo, s16
.LBB362_1144:                           ;   in Loop: Header=BB362_806 Depth=1
	s_delay_alu instid0(SALU_CYCLE_1) | instskip(SKIP_2) | instid1(VALU_DEP_1)
	s_or_b32 exec_lo, exec_lo, s15
	v_lshrrev_b16 v18, 8, v0
	s_mov_b32 s15, exec_lo
	v_cmpx_ne_u16_e32 0, v18
	s_cbranch_execz .LBB362_1152
; %bb.1145:                             ;   in Loop: Header=BB362_806 Depth=1
	v_bfrev_b32_e32 v29, 1
	s_mov_b32 s16, exec_lo
	v_cmpx_ne_u16_e32 0x80, v18
	s_cbranch_execz .LBB362_1151
; %bb.1146:                             ;   in Loop: Header=BB362_806 Depth=1
	v_and_b32_e32 v18, 0xffff, v18
	v_mov_b32_e32 v29, 0x7f800001
	s_mov_b32 s17, exec_lo
	s_delay_alu instid0(VALU_DEP_2) | instskip(NEXT) | instid1(VALU_DEP_1)
	v_and_b32_e32 v19, 0x7f, v18
	v_cmpx_ne_u32_e32 0x7f, v19
	s_cbranch_execz .LBB362_1150
; %bb.1147:                             ;   in Loop: Header=BB362_806 Depth=1
	v_dual_lshrrev_b32 v18, 3, v19 :: v_dual_bitop2_b32 v22, 7, v18 bitop3:0x40
	s_mov_b32 s18, exec_lo
	v_cmpx_gt_u32_e32 8, v19
; %bb.1148:                             ;   in Loop: Header=BB362_806 Depth=1
	s_delay_alu instid0(VALU_DEP_2) | instskip(NEXT) | instid1(VALU_DEP_1)
	v_clz_i32_u32_e32 v2, v22
	v_min_u32_e32 v2, 32, v2
	s_delay_alu instid0(VALU_DEP_1) | instskip(NEXT) | instid1(VALU_DEP_1)
	v_subrev_nc_u32_e32 v3, 28, v2
	v_lshlrev_b64_e32 v[32:33], v3, v[22:23]
	s_delay_alu instid0(VALU_DEP_1)
	v_dual_sub_nc_u32 v18, 29, v2 :: v_dual_bitop2_b32 v22, 7, v32 bitop3:0x40
; %bb.1149:                             ;   in Loop: Header=BB362_806 Depth=1
	s_or_b32 exec_lo, exec_lo, s18
	s_delay_alu instid0(VALU_DEP_1) | instskip(NEXT) | instid1(VALU_DEP_2)
	v_dual_lshlrev_b32 v2, 16, v0 :: v_dual_lshlrev_b32 v3, 20, v22
	v_lshl_add_u32 v4, v18, 23, 0x3c000000
	s_delay_alu instid0(VALU_DEP_2) | instskip(NEXT) | instid1(VALU_DEP_1)
	v_and_b32_e32 v2, 0x80000000, v2
	v_or3_b32 v29, v3, v2, v4
.LBB362_1150:                           ;   in Loop: Header=BB362_806 Depth=1
	s_or_b32 exec_lo, exec_lo, s17
.LBB362_1151:                           ;   in Loop: Header=BB362_806 Depth=1
	s_delay_alu instid0(SALU_CYCLE_1)
	s_or_b32 exec_lo, exec_lo, s16
.LBB362_1152:                           ;   in Loop: Header=BB362_806 Depth=1
	s_delay_alu instid0(SALU_CYCLE_1) | instskip(SKIP_3) | instid1(VALU_DEP_2)
	s_or_b32 exec_lo, exec_lo, s15
	v_dual_mov_b32 v33, 0 :: v_dual_lshrrev_b32 v18, 16, v0
	v_mov_b32_e32 v32, 0
	s_mov_b32 s15, exec_lo
	v_and_b32_e32 v19, 0xff, v18
	s_delay_alu instid0(VALU_DEP_1)
	v_cmpx_ne_u16_e32 0, v19
	s_cbranch_execz .LBB362_1160
; %bb.1153:                             ;   in Loop: Header=BB362_806 Depth=1
	v_bfrev_b32_e32 v32, 1
	s_mov_b32 s16, exec_lo
	v_cmpx_ne_u16_e32 0x80, v19
	s_cbranch_execz .LBB362_1159
; %bb.1154:                             ;   in Loop: Header=BB362_806 Depth=1
	v_bfe_u32 v34, v0, 16, 7
	v_mov_b32_e32 v32, 0x7f800001
	s_mov_b32 s17, exec_lo
	s_delay_alu instid0(VALU_DEP_2)
	v_cmpx_ne_u32_e32 0x7f, v34
	s_cbranch_execz .LBB362_1158
; %bb.1155:                             ;   in Loop: Header=BB362_806 Depth=1
	v_and_b32_e32 v22, 7, v18
	v_lshrrev_b32_e32 v19, 3, v34
	s_mov_b32 s18, exec_lo
	v_cmpx_gt_u32_e32 8, v34
; %bb.1156:                             ;   in Loop: Header=BB362_806 Depth=1
	s_delay_alu instid0(VALU_DEP_3) | instskip(NEXT) | instid1(VALU_DEP_1)
	v_clz_i32_u32_e32 v2, v22
	v_min_u32_e32 v2, 32, v2
	s_delay_alu instid0(VALU_DEP_1) | instskip(NEXT) | instid1(VALU_DEP_1)
	v_subrev_nc_u32_e32 v3, 28, v2
	v_lshlrev_b64_e32 v[48:49], v3, v[22:23]
	s_delay_alu instid0(VALU_DEP_1)
	v_dual_sub_nc_u32 v19, 29, v2 :: v_dual_bitop2_b32 v22, 7, v48 bitop3:0x40
; %bb.1157:                             ;   in Loop: Header=BB362_806 Depth=1
	s_or_b32 exec_lo, exec_lo, s18
	v_lshlrev_b32_e32 v2, 24, v18
	s_delay_alu instid0(VALU_DEP_2) | instskip(NEXT) | instid1(VALU_DEP_3)
	v_lshlrev_b32_e32 v3, 20, v22
	v_lshl_add_u32 v4, v19, 23, 0x3c000000
	s_delay_alu instid0(VALU_DEP_3) | instskip(NEXT) | instid1(VALU_DEP_1)
	v_and_b32_e32 v2, 0x80000000, v2
	v_or3_b32 v32, v3, v2, v4
.LBB362_1158:                           ;   in Loop: Header=BB362_806 Depth=1
	s_or_b32 exec_lo, exec_lo, s17
.LBB362_1159:                           ;   in Loop: Header=BB362_806 Depth=1
	s_delay_alu instid0(SALU_CYCLE_1)
	s_or_b32 exec_lo, exec_lo, s16
.LBB362_1160:                           ;   in Loop: Header=BB362_806 Depth=1
	s_delay_alu instid0(SALU_CYCLE_1) | instskip(NEXT) | instid1(SALU_CYCLE_1)
	s_or_b32 exec_lo, exec_lo, s15
	s_mov_b32 s15, exec_lo
	v_cmpx_lt_u32_e32 0xffffff, v0
	s_cbranch_execz .LBB362_1168
; %bb.1161:                             ;   in Loop: Header=BB362_806 Depth=1
	v_lshrrev_b32_e32 v18, 24, v0
	v_bfrev_b32_e32 v33, 1
	s_mov_b32 s16, exec_lo
	s_delay_alu instid0(VALU_DEP_2)
	v_cmpx_ne_u32_e32 0x80, v18
	s_cbranch_execz .LBB362_1167
; %bb.1162:                             ;   in Loop: Header=BB362_806 Depth=1
	v_bfe_u32 v34, v0, 24, 7
	v_mov_b32_e32 v33, 0x7f800001
	s_mov_b32 s17, exec_lo
	s_delay_alu instid0(VALU_DEP_2)
	v_cmpx_ne_u32_e32 0x7f, v34
	s_cbranch_execz .LBB362_1166
; %bb.1163:                             ;   in Loop: Header=BB362_806 Depth=1
	v_and_b32_e32 v22, 7, v18
	v_lshrrev_b32_e32 v19, 3, v34
	s_mov_b32 s18, exec_lo
	v_cmpx_gt_u32_e32 8, v34
; %bb.1164:                             ;   in Loop: Header=BB362_806 Depth=1
	s_delay_alu instid0(VALU_DEP_3) | instskip(NEXT) | instid1(VALU_DEP_1)
	v_clz_i32_u32_e32 v2, v22
	v_min_u32_e32 v2, 32, v2
	s_delay_alu instid0(VALU_DEP_1) | instskip(NEXT) | instid1(VALU_DEP_1)
	v_subrev_nc_u32_e32 v3, 28, v2
	v_lshlrev_b64_e32 v[48:49], v3, v[22:23]
	s_delay_alu instid0(VALU_DEP_1)
	v_dual_sub_nc_u32 v19, 29, v2 :: v_dual_bitop2_b32 v22, 7, v48 bitop3:0x40
; %bb.1165:                             ;   in Loop: Header=BB362_806 Depth=1
	s_or_b32 exec_lo, exec_lo, s18
	v_lshlrev_b32_e32 v2, 24, v18
	s_delay_alu instid0(VALU_DEP_2) | instskip(NEXT) | instid1(VALU_DEP_3)
	v_lshlrev_b32_e32 v3, 20, v22
	v_lshl_add_u32 v4, v19, 23, 0x3c000000
	s_delay_alu instid0(VALU_DEP_3) | instskip(NEXT) | instid1(VALU_DEP_1)
	v_and_b32_e32 v2, 0x80000000, v2
	v_or3_b32 v33, v3, v2, v4
.LBB362_1166:                           ;   in Loop: Header=BB362_806 Depth=1
	s_or_b32 exec_lo, exec_lo, s17
.LBB362_1167:                           ;   in Loop: Header=BB362_806 Depth=1
	s_delay_alu instid0(SALU_CYCLE_1)
	s_or_b32 exec_lo, exec_lo, s16
.LBB362_1168:                           ;   in Loop: Header=BB362_806 Depth=1
	s_delay_alu instid0(SALU_CYCLE_1) | instskip(SKIP_4) | instid1(VALU_DEP_3)
	s_or_b32 exec_lo, exec_lo, s15
	v_and_b32_e32 v18, 0xff, v1
	v_dual_mov_b32 v22, v1 :: v_dual_mov_b32 v39, 0
	v_mov_b32_e32 v34, 0
	s_mov_b32 s15, exec_lo
	v_cmpx_ne_u16_e32 0, v18
	s_cbranch_execz .LBB362_1176
; %bb.1169:                             ;   in Loop: Header=BB362_806 Depth=1
	v_bfrev_b32_e32 v34, 1
	s_mov_b32 s16, exec_lo
	v_cmpx_ne_u16_e32 0x80, v18
	s_cbranch_execz .LBB362_1175
; %bb.1170:                             ;   in Loop: Header=BB362_806 Depth=1
	v_and_b32_e32 v18, 0x7f, v1
	v_mov_b32_e32 v34, 0x7f800001
	s_mov_b32 s17, exec_lo
	s_delay_alu instid0(VALU_DEP_2)
	v_cmpx_ne_u32_e32 0x7f, v18
	s_cbranch_execz .LBB362_1174
; %bb.1171:                             ;   in Loop: Header=BB362_806 Depth=1
	v_lshrrev_b32_e32 v34, 3, v18
	v_cmp_gt_u32_e64 s0, 8, v18
	v_mov_b64_e32 v[18:19], v[22:23]
	s_and_saveexec_b32 s18, s0
; %bb.1172:                             ;   in Loop: Header=BB362_806 Depth=1
	v_and_b32_e32 v2, 7, v1
	s_delay_alu instid0(VALU_DEP_1) | instskip(NEXT) | instid1(VALU_DEP_1)
	v_clz_i32_u32_e32 v2, v2
	v_min_u32_e32 v2, 32, v2
	s_delay_alu instid0(VALU_DEP_1) | instskip(SKIP_1) | instid1(VALU_DEP_2)
	v_subrev_nc_u32_e32 v3, 28, v2
	v_sub_nc_u32_e32 v34, 29, v2
	v_lshlrev_b64_e32 v[18:19], v3, v[22:23]
; %bb.1173:                             ;   in Loop: Header=BB362_806 Depth=1
	s_or_b32 exec_lo, exec_lo, s18
	s_delay_alu instid0(VALU_DEP_1) | instskip(SKIP_2) | instid1(VALU_DEP_3)
	v_lshlrev_b32_e32 v2, 20, v18
	v_lshlrev_b32_e32 v3, 24, v22
	v_lshl_add_u32 v4, v34, 23, 0x3c000000
	v_and_b32_e32 v2, 0x700000, v2
	s_delay_alu instid0(VALU_DEP_3) | instskip(NEXT) | instid1(VALU_DEP_1)
	v_and_b32_e32 v3, 0x80000000, v3
	v_or3_b32 v34, v2, v3, v4
.LBB362_1174:                           ;   in Loop: Header=BB362_806 Depth=1
	s_or_b32 exec_lo, exec_lo, s17
.LBB362_1175:                           ;   in Loop: Header=BB362_806 Depth=1
	s_delay_alu instid0(SALU_CYCLE_1)
	s_or_b32 exec_lo, exec_lo, s16
.LBB362_1176:                           ;   in Loop: Header=BB362_806 Depth=1
	s_delay_alu instid0(SALU_CYCLE_1) | instskip(SKIP_2) | instid1(VALU_DEP_1)
	s_or_b32 exec_lo, exec_lo, s15
	v_lshrrev_b16 v18, 8, v22
	s_mov_b32 s15, exec_lo
	v_cmpx_ne_u16_e32 0, v18
	s_cbranch_execz .LBB362_1184
; %bb.1177:                             ;   in Loop: Header=BB362_806 Depth=1
	v_bfrev_b32_e32 v39, 1
	s_mov_b32 s16, exec_lo
	v_cmpx_ne_u16_e32 0x80, v18
	s_cbranch_execz .LBB362_1183
; %bb.1178:                             ;   in Loop: Header=BB362_806 Depth=1
	v_and_b32_e32 v18, 0xffff, v18
	v_mov_b32_e32 v39, 0x7f800001
	s_mov_b32 s17, exec_lo
	s_delay_alu instid0(VALU_DEP_2) | instskip(NEXT) | instid1(VALU_DEP_1)
	v_and_b32_e32 v48, 0x7f, v18
	v_cmpx_ne_u32_e32 0x7f, v48
	s_cbranch_execz .LBB362_1182
; %bb.1179:                             ;   in Loop: Header=BB362_806 Depth=1
	v_dual_mov_b32 v19, v23 :: v_dual_bitop2_b32 v18, 7, v18 bitop3:0x40
	v_lshrrev_b32_e32 v39, 3, v48
	s_mov_b32 s18, exec_lo
	v_cmpx_gt_u32_e32 8, v48
; %bb.1180:                             ;   in Loop: Header=BB362_806 Depth=1
	s_delay_alu instid0(VALU_DEP_3) | instskip(NEXT) | instid1(VALU_DEP_1)
	v_clz_i32_u32_e32 v2, v18
	v_min_u32_e32 v2, 32, v2
	s_delay_alu instid0(VALU_DEP_1) | instskip(SKIP_1) | instid1(VALU_DEP_2)
	v_subrev_nc_u32_e32 v3, 28, v2
	v_sub_nc_u32_e32 v39, 29, v2
	v_lshlrev_b64_e32 v[18:19], v3, v[18:19]
	s_delay_alu instid0(VALU_DEP_1)
	v_and_b32_e32 v18, 7, v18
; %bb.1181:                             ;   in Loop: Header=BB362_806 Depth=1
	s_or_b32 exec_lo, exec_lo, s18
	v_lshlrev_b32_e32 v2, 16, v22
	s_delay_alu instid0(VALU_DEP_2) | instskip(SKIP_1) | instid1(VALU_DEP_3)
	v_lshlrev_b32_e32 v3, 20, v18
	v_lshl_add_u32 v4, v39, 23, 0x3c000000
	v_and_b32_e32 v2, 0x80000000, v2
	s_delay_alu instid0(VALU_DEP_1)
	v_or3_b32 v39, v3, v2, v4
.LBB362_1182:                           ;   in Loop: Header=BB362_806 Depth=1
	s_or_b32 exec_lo, exec_lo, s17
.LBB362_1183:                           ;   in Loop: Header=BB362_806 Depth=1
	s_delay_alu instid0(SALU_CYCLE_1)
	s_or_b32 exec_lo, exec_lo, s16
.LBB362_1184:                           ;   in Loop: Header=BB362_806 Depth=1
	s_delay_alu instid0(SALU_CYCLE_1) | instskip(SKIP_3) | instid1(VALU_DEP_2)
	s_or_b32 exec_lo, exec_lo, s15
	v_dual_lshrrev_b32 v48, 16, v1 :: v_dual_mov_b32 v18, 0
	v_mov_b32_e32 v19, 0
	s_mov_b32 s15, exec_lo
	v_and_b32_e32 v22, 0xff, v48
	s_delay_alu instid0(VALU_DEP_1)
	v_cmpx_ne_u16_e32 0, v22
	s_cbranch_execz .LBB362_1192
; %bb.1185:                             ;   in Loop: Header=BB362_806 Depth=1
	v_bfrev_b32_e32 v19, 1
	s_mov_b32 s16, exec_lo
	v_cmpx_ne_u16_e32 0x80, v22
	s_cbranch_execz .LBB362_1191
; %bb.1186:                             ;   in Loop: Header=BB362_806 Depth=1
	v_bfe_u32 v49, v1, 16, 7
	v_mov_b32_e32 v19, 0x7f800001
	s_mov_b32 s17, exec_lo
	s_delay_alu instid0(VALU_DEP_2)
	v_cmpx_ne_u32_e32 0x7f, v49
	s_cbranch_execz .LBB362_1190
; %bb.1187:                             ;   in Loop: Header=BB362_806 Depth=1
	v_dual_lshrrev_b32 v19, 3, v49 :: v_dual_bitop2_b32 v22, 7, v48 bitop3:0x40
	s_mov_b32 s18, exec_lo
	v_cmpx_gt_u32_e32 8, v49
; %bb.1188:                             ;   in Loop: Header=BB362_806 Depth=1
	s_delay_alu instid0(VALU_DEP_2) | instskip(NEXT) | instid1(VALU_DEP_1)
	v_clz_i32_u32_e32 v2, v22
	v_min_u32_e32 v2, 32, v2
	s_delay_alu instid0(VALU_DEP_1) | instskip(SKIP_1) | instid1(VALU_DEP_2)
	v_subrev_nc_u32_e32 v3, 28, v2
	v_sub_nc_u32_e32 v19, 29, v2
	v_lshlrev_b64_e32 v[50:51], v3, v[22:23]
	s_delay_alu instid0(VALU_DEP_1)
	v_and_b32_e32 v22, 7, v50
; %bb.1189:                             ;   in Loop: Header=BB362_806 Depth=1
	s_or_b32 exec_lo, exec_lo, s18
	s_delay_alu instid0(VALU_DEP_1) | instskip(SKIP_1) | instid1(VALU_DEP_2)
	v_dual_lshlrev_b32 v2, 24, v48 :: v_dual_lshlrev_b32 v3, 20, v22
	v_lshl_add_u32 v4, v19, 23, 0x3c000000
	v_and_b32_e32 v2, 0x80000000, v2
	s_delay_alu instid0(VALU_DEP_1)
	v_or3_b32 v19, v3, v2, v4
.LBB362_1190:                           ;   in Loop: Header=BB362_806 Depth=1
	s_or_b32 exec_lo, exec_lo, s17
.LBB362_1191:                           ;   in Loop: Header=BB362_806 Depth=1
	s_delay_alu instid0(SALU_CYCLE_1)
	s_or_b32 exec_lo, exec_lo, s16
.LBB362_1192:                           ;   in Loop: Header=BB362_806 Depth=1
	s_delay_alu instid0(SALU_CYCLE_1) | instskip(NEXT) | instid1(SALU_CYCLE_1)
	s_or_b32 exec_lo, exec_lo, s15
	s_mov_b32 s15, exec_lo
	v_cmpx_lt_u64_e64 s[2:3], v[0:1]
	s_cbranch_execz .LBB362_1200
; %bb.1193:                             ;   in Loop: Header=BB362_806 Depth=1
	v_lshrrev_b32_e32 v0, 24, v1
	v_bfrev_b32_e32 v18, 1
	s_mov_b32 s16, exec_lo
	s_delay_alu instid0(VALU_DEP_2)
	v_cmpx_ne_u32_e32 0x80, v0
	s_cbranch_execz .LBB362_1199
; %bb.1194:                             ;   in Loop: Header=BB362_806 Depth=1
	v_bfe_u32 v48, v1, 24, 7
	v_mov_b32_e32 v18, 0x7f800001
	s_mov_b32 s17, exec_lo
	s_delay_alu instid0(VALU_DEP_2)
	v_cmpx_ne_u32_e32 0x7f, v48
	s_cbranch_execz .LBB362_1198
; %bb.1195:                             ;   in Loop: Header=BB362_806 Depth=1
	v_and_b32_e32 v22, 7, v0
	v_lshrrev_b32_e32 v1, 3, v48
	s_mov_b32 s18, exec_lo
	v_cmpx_gt_u32_e32 8, v48
; %bb.1196:                             ;   in Loop: Header=BB362_806 Depth=1
	s_delay_alu instid0(VALU_DEP_3) | instskip(NEXT) | instid1(VALU_DEP_1)
	v_clz_i32_u32_e32 v1, v22
	v_min_u32_e32 v1, 32, v1
	s_delay_alu instid0(VALU_DEP_1) | instskip(NEXT) | instid1(VALU_DEP_1)
	v_subrev_nc_u32_e32 v2, 28, v1
	v_lshlrev_b64_e32 v[48:49], v2, v[22:23]
	s_delay_alu instid0(VALU_DEP_1)
	v_dual_sub_nc_u32 v1, 29, v1 :: v_dual_bitop2_b32 v22, 7, v48 bitop3:0x40
; %bb.1197:                             ;   in Loop: Header=BB362_806 Depth=1
	s_or_b32 exec_lo, exec_lo, s18
	s_delay_alu instid0(VALU_DEP_1) | instskip(NEXT) | instid1(VALU_DEP_2)
	v_dual_lshlrev_b32 v0, 24, v0 :: v_dual_lshlrev_b32 v2, 20, v22
	v_lshl_add_u32 v1, v1, 23, 0x3c000000
	s_delay_alu instid0(VALU_DEP_2) | instskip(NEXT) | instid1(VALU_DEP_1)
	v_and_b32_e32 v0, 0x80000000, v0
	v_or3_b32 v18, v2, v0, v1
.LBB362_1198:                           ;   in Loop: Header=BB362_806 Depth=1
	s_or_b32 exec_lo, exec_lo, s17
.LBB362_1199:                           ;   in Loop: Header=BB362_806 Depth=1
	s_delay_alu instid0(SALU_CYCLE_1)
	s_or_b32 exec_lo, exec_lo, s16
.LBB362_1200:                           ;   in Loop: Header=BB362_806 Depth=1
	s_delay_alu instid0(SALU_CYCLE_1)
	s_or_b32 exec_lo, exec_lo, s15
	v_fma_mixlo_bf16 v56, v35, v39, 0
	v_fma_mixlo_bf16 v57, v35, v34, 0
	;; [unrolled: 1-line block ×8, first 2 shown]
	s_and_saveexec_b32 s15, vcc_lo
	s_cbranch_execz .LBB362_1202
; %bb.1201:                             ;   in Loop: Header=BB362_806 Depth=1
	v_cmp_lt_i32_e64 s0, v81, v118
	s_delay_alu instid0(VALU_DEP_1) | instskip(SKIP_1) | instid1(VALU_DEP_1)
	v_cndmask_b32_e64 v63, 0, v63, s0
	v_cmp_lt_i32_e64 s0, v85, v118
	v_cndmask_b32_e64 v62, 0, v62, s0
	v_cmp_lt_i32_e64 s0, v84, v118
	s_delay_alu instid0(VALU_DEP_1) | instskip(SKIP_1) | instid1(VALU_DEP_1)
	v_cndmask_b32_e64 v61, 0, v61, s0
	v_cmp_lt_i32_e64 s0, v83, v118
	v_cndmask_b32_e64 v60, 0, v60, s0
	;; [unrolled: 5-line block ×4, first 2 shown]
.LBB362_1202:                           ;   in Loop: Header=BB362_806 Depth=1
	s_or_b32 exec_lo, exec_lo, s15
	flat_load_b64 v[0:1], v[30:31] offset:1536
	v_dual_mov_b32 v29, 0 :: v_dual_mov_b32 v28, 0
	s_mov_b32 s15, exec_lo
	s_wait_loadcnt_dscnt 0x0
	v_and_b32_e32 v18, 0xff, v0
	s_wait_xcnt 0x0
	s_delay_alu instid0(VALU_DEP_1)
	v_cmpx_ne_u16_e32 0, v18
	s_cbranch_execz .LBB362_1210
; %bb.1203:                             ;   in Loop: Header=BB362_806 Depth=1
	v_bfrev_b32_e32 v28, 1
	s_mov_b32 s16, exec_lo
	v_cmpx_ne_u16_e32 0x80, v18
	s_cbranch_execz .LBB362_1209
; %bb.1204:                             ;   in Loop: Header=BB362_806 Depth=1
	v_and_b32_e32 v18, 0x7f, v0
	v_mov_b32_e32 v28, 0x7f800001
	s_mov_b32 s17, exec_lo
	s_delay_alu instid0(VALU_DEP_2)
	v_cmpx_ne_u32_e32 0x7f, v18
	s_cbranch_execz .LBB362_1208
; %bb.1205:                             ;   in Loop: Header=BB362_806 Depth=1
	v_lshrrev_b32_e32 v22, 3, v18
	v_cmp_gt_u32_e64 s0, 8, v18
	v_mov_b64_e32 v[18:19], v[0:1]
	s_and_saveexec_b32 s18, s0
; %bb.1206:                             ;   in Loop: Header=BB362_806 Depth=1
	v_and_b32_e32 v2, 7, v0
	s_delay_alu instid0(VALU_DEP_1) | instskip(NEXT) | instid1(VALU_DEP_1)
	v_clz_i32_u32_e32 v2, v2
	v_min_u32_e32 v2, 32, v2
	s_delay_alu instid0(VALU_DEP_1) | instskip(SKIP_1) | instid1(VALU_DEP_2)
	v_subrev_nc_u32_e32 v3, 28, v2
	v_sub_nc_u32_e32 v22, 29, v2
	v_lshlrev_b64_e32 v[18:19], v3, v[0:1]
; %bb.1207:                             ;   in Loop: Header=BB362_806 Depth=1
	s_or_b32 exec_lo, exec_lo, s18
	s_delay_alu instid0(VALU_DEP_1) | instskip(NEXT) | instid1(VALU_DEP_3)
	v_dual_lshlrev_b32 v2, 20, v18 :: v_dual_lshlrev_b32 v3, 24, v0
	v_lshl_add_u32 v4, v22, 23, 0x3c000000
	s_delay_alu instid0(VALU_DEP_2) | instskip(NEXT) | instid1(VALU_DEP_3)
	v_and_b32_e32 v2, 0x700000, v2
	v_and_b32_e32 v3, 0x80000000, v3
	s_delay_alu instid0(VALU_DEP_1)
	v_or3_b32 v28, v2, v3, v4
.LBB362_1208:                           ;   in Loop: Header=BB362_806 Depth=1
	s_or_b32 exec_lo, exec_lo, s17
.LBB362_1209:                           ;   in Loop: Header=BB362_806 Depth=1
	s_delay_alu instid0(SALU_CYCLE_1)
	s_or_b32 exec_lo, exec_lo, s16
.LBB362_1210:                           ;   in Loop: Header=BB362_806 Depth=1
	s_delay_alu instid0(SALU_CYCLE_1) | instskip(SKIP_2) | instid1(VALU_DEP_1)
	s_or_b32 exec_lo, exec_lo, s15
	v_lshrrev_b16 v18, 8, v0
	s_mov_b32 s15, exec_lo
	v_cmpx_ne_u16_e32 0, v18
	s_cbranch_execz .LBB362_1218
; %bb.1211:                             ;   in Loop: Header=BB362_806 Depth=1
	v_bfrev_b32_e32 v29, 1
	s_mov_b32 s16, exec_lo
	v_cmpx_ne_u16_e32 0x80, v18
	s_cbranch_execz .LBB362_1217
; %bb.1212:                             ;   in Loop: Header=BB362_806 Depth=1
	v_and_b32_e32 v18, 0xffff, v18
	v_mov_b32_e32 v29, 0x7f800001
	s_mov_b32 s17, exec_lo
	s_delay_alu instid0(VALU_DEP_2) | instskip(NEXT) | instid1(VALU_DEP_1)
	v_and_b32_e32 v19, 0x7f, v18
	v_cmpx_ne_u32_e32 0x7f, v19
	s_cbranch_execz .LBB362_1216
; %bb.1213:                             ;   in Loop: Header=BB362_806 Depth=1
	v_dual_lshrrev_b32 v18, 3, v19 :: v_dual_bitop2_b32 v22, 7, v18 bitop3:0x40
	s_mov_b32 s18, exec_lo
	v_cmpx_gt_u32_e32 8, v19
; %bb.1214:                             ;   in Loop: Header=BB362_806 Depth=1
	s_delay_alu instid0(VALU_DEP_2) | instskip(NEXT) | instid1(VALU_DEP_1)
	v_clz_i32_u32_e32 v2, v22
	v_min_u32_e32 v2, 32, v2
	s_delay_alu instid0(VALU_DEP_1) | instskip(NEXT) | instid1(VALU_DEP_1)
	v_subrev_nc_u32_e32 v3, 28, v2
	v_lshlrev_b64_e32 v[32:33], v3, v[22:23]
	s_delay_alu instid0(VALU_DEP_1)
	v_dual_sub_nc_u32 v18, 29, v2 :: v_dual_bitop2_b32 v22, 7, v32 bitop3:0x40
; %bb.1215:                             ;   in Loop: Header=BB362_806 Depth=1
	s_or_b32 exec_lo, exec_lo, s18
	s_delay_alu instid0(VALU_DEP_1) | instskip(NEXT) | instid1(VALU_DEP_2)
	v_dual_lshlrev_b32 v2, 16, v0 :: v_dual_lshlrev_b32 v3, 20, v22
	v_lshl_add_u32 v4, v18, 23, 0x3c000000
	s_delay_alu instid0(VALU_DEP_2) | instskip(NEXT) | instid1(VALU_DEP_1)
	v_and_b32_e32 v2, 0x80000000, v2
	v_or3_b32 v29, v3, v2, v4
.LBB362_1216:                           ;   in Loop: Header=BB362_806 Depth=1
	s_or_b32 exec_lo, exec_lo, s17
.LBB362_1217:                           ;   in Loop: Header=BB362_806 Depth=1
	s_delay_alu instid0(SALU_CYCLE_1)
	s_or_b32 exec_lo, exec_lo, s16
.LBB362_1218:                           ;   in Loop: Header=BB362_806 Depth=1
	s_delay_alu instid0(SALU_CYCLE_1) | instskip(SKIP_3) | instid1(VALU_DEP_2)
	s_or_b32 exec_lo, exec_lo, s15
	v_dual_mov_b32 v33, 0 :: v_dual_lshrrev_b32 v18, 16, v0
	v_mov_b32_e32 v32, 0
	s_mov_b32 s15, exec_lo
	v_and_b32_e32 v19, 0xff, v18
	s_delay_alu instid0(VALU_DEP_1)
	v_cmpx_ne_u16_e32 0, v19
	s_cbranch_execz .LBB362_1226
; %bb.1219:                             ;   in Loop: Header=BB362_806 Depth=1
	v_bfrev_b32_e32 v32, 1
	s_mov_b32 s16, exec_lo
	v_cmpx_ne_u16_e32 0x80, v19
	s_cbranch_execz .LBB362_1225
; %bb.1220:                             ;   in Loop: Header=BB362_806 Depth=1
	v_bfe_u32 v34, v0, 16, 7
	v_mov_b32_e32 v32, 0x7f800001
	s_mov_b32 s17, exec_lo
	s_delay_alu instid0(VALU_DEP_2)
	v_cmpx_ne_u32_e32 0x7f, v34
	s_cbranch_execz .LBB362_1224
; %bb.1221:                             ;   in Loop: Header=BB362_806 Depth=1
	v_and_b32_e32 v22, 7, v18
	v_lshrrev_b32_e32 v19, 3, v34
	s_mov_b32 s18, exec_lo
	v_cmpx_gt_u32_e32 8, v34
; %bb.1222:                             ;   in Loop: Header=BB362_806 Depth=1
	s_delay_alu instid0(VALU_DEP_3) | instskip(NEXT) | instid1(VALU_DEP_1)
	v_clz_i32_u32_e32 v2, v22
	v_min_u32_e32 v2, 32, v2
	s_delay_alu instid0(VALU_DEP_1) | instskip(NEXT) | instid1(VALU_DEP_1)
	v_subrev_nc_u32_e32 v3, 28, v2
	v_lshlrev_b64_e32 v[48:49], v3, v[22:23]
	s_delay_alu instid0(VALU_DEP_1)
	v_dual_sub_nc_u32 v19, 29, v2 :: v_dual_bitop2_b32 v22, 7, v48 bitop3:0x40
; %bb.1223:                             ;   in Loop: Header=BB362_806 Depth=1
	s_or_b32 exec_lo, exec_lo, s18
	v_lshlrev_b32_e32 v2, 24, v18
	s_delay_alu instid0(VALU_DEP_2) | instskip(NEXT) | instid1(VALU_DEP_3)
	v_lshlrev_b32_e32 v3, 20, v22
	v_lshl_add_u32 v4, v19, 23, 0x3c000000
	s_delay_alu instid0(VALU_DEP_3) | instskip(NEXT) | instid1(VALU_DEP_1)
	v_and_b32_e32 v2, 0x80000000, v2
	v_or3_b32 v32, v3, v2, v4
.LBB362_1224:                           ;   in Loop: Header=BB362_806 Depth=1
	s_or_b32 exec_lo, exec_lo, s17
.LBB362_1225:                           ;   in Loop: Header=BB362_806 Depth=1
	s_delay_alu instid0(SALU_CYCLE_1)
	s_or_b32 exec_lo, exec_lo, s16
.LBB362_1226:                           ;   in Loop: Header=BB362_806 Depth=1
	s_delay_alu instid0(SALU_CYCLE_1) | instskip(NEXT) | instid1(SALU_CYCLE_1)
	s_or_b32 exec_lo, exec_lo, s15
	s_mov_b32 s15, exec_lo
	v_cmpx_lt_u32_e32 0xffffff, v0
	s_cbranch_execz .LBB362_1234
; %bb.1227:                             ;   in Loop: Header=BB362_806 Depth=1
	v_lshrrev_b32_e32 v18, 24, v0
	v_bfrev_b32_e32 v33, 1
	s_mov_b32 s16, exec_lo
	s_delay_alu instid0(VALU_DEP_2)
	v_cmpx_ne_u32_e32 0x80, v18
	s_cbranch_execz .LBB362_1233
; %bb.1228:                             ;   in Loop: Header=BB362_806 Depth=1
	v_bfe_u32 v34, v0, 24, 7
	v_mov_b32_e32 v33, 0x7f800001
	s_mov_b32 s17, exec_lo
	s_delay_alu instid0(VALU_DEP_2)
	v_cmpx_ne_u32_e32 0x7f, v34
	s_cbranch_execz .LBB362_1232
; %bb.1229:                             ;   in Loop: Header=BB362_806 Depth=1
	v_and_b32_e32 v22, 7, v18
	v_lshrrev_b32_e32 v19, 3, v34
	s_mov_b32 s18, exec_lo
	v_cmpx_gt_u32_e32 8, v34
; %bb.1230:                             ;   in Loop: Header=BB362_806 Depth=1
	s_delay_alu instid0(VALU_DEP_3) | instskip(NEXT) | instid1(VALU_DEP_1)
	v_clz_i32_u32_e32 v2, v22
	v_min_u32_e32 v2, 32, v2
	s_delay_alu instid0(VALU_DEP_1) | instskip(NEXT) | instid1(VALU_DEP_1)
	v_subrev_nc_u32_e32 v3, 28, v2
	v_lshlrev_b64_e32 v[48:49], v3, v[22:23]
	s_delay_alu instid0(VALU_DEP_1)
	v_dual_sub_nc_u32 v19, 29, v2 :: v_dual_bitop2_b32 v22, 7, v48 bitop3:0x40
; %bb.1231:                             ;   in Loop: Header=BB362_806 Depth=1
	s_or_b32 exec_lo, exec_lo, s18
	v_lshlrev_b32_e32 v2, 24, v18
	s_delay_alu instid0(VALU_DEP_2) | instskip(NEXT) | instid1(VALU_DEP_3)
	v_lshlrev_b32_e32 v3, 20, v22
	v_lshl_add_u32 v4, v19, 23, 0x3c000000
	s_delay_alu instid0(VALU_DEP_3) | instskip(NEXT) | instid1(VALU_DEP_1)
	v_and_b32_e32 v2, 0x80000000, v2
	v_or3_b32 v33, v3, v2, v4
.LBB362_1232:                           ;   in Loop: Header=BB362_806 Depth=1
	s_or_b32 exec_lo, exec_lo, s17
.LBB362_1233:                           ;   in Loop: Header=BB362_806 Depth=1
	s_delay_alu instid0(SALU_CYCLE_1)
	s_or_b32 exec_lo, exec_lo, s16
.LBB362_1234:                           ;   in Loop: Header=BB362_806 Depth=1
	s_delay_alu instid0(SALU_CYCLE_1) | instskip(SKIP_4) | instid1(VALU_DEP_3)
	s_or_b32 exec_lo, exec_lo, s15
	v_and_b32_e32 v18, 0xff, v1
	v_dual_mov_b32 v22, v1 :: v_dual_mov_b32 v39, 0
	v_mov_b32_e32 v34, 0
	s_mov_b32 s15, exec_lo
	v_cmpx_ne_u16_e32 0, v18
	s_cbranch_execz .LBB362_1242
; %bb.1235:                             ;   in Loop: Header=BB362_806 Depth=1
	v_bfrev_b32_e32 v34, 1
	s_mov_b32 s16, exec_lo
	v_cmpx_ne_u16_e32 0x80, v18
	s_cbranch_execz .LBB362_1241
; %bb.1236:                             ;   in Loop: Header=BB362_806 Depth=1
	v_and_b32_e32 v18, 0x7f, v1
	v_mov_b32_e32 v34, 0x7f800001
	s_mov_b32 s17, exec_lo
	s_delay_alu instid0(VALU_DEP_2)
	v_cmpx_ne_u32_e32 0x7f, v18
	s_cbranch_execz .LBB362_1240
; %bb.1237:                             ;   in Loop: Header=BB362_806 Depth=1
	v_lshrrev_b32_e32 v34, 3, v18
	v_cmp_gt_u32_e64 s0, 8, v18
	v_mov_b64_e32 v[18:19], v[22:23]
	s_and_saveexec_b32 s18, s0
; %bb.1238:                             ;   in Loop: Header=BB362_806 Depth=1
	v_and_b32_e32 v2, 7, v1
	s_delay_alu instid0(VALU_DEP_1) | instskip(NEXT) | instid1(VALU_DEP_1)
	v_clz_i32_u32_e32 v2, v2
	v_min_u32_e32 v2, 32, v2
	s_delay_alu instid0(VALU_DEP_1) | instskip(SKIP_1) | instid1(VALU_DEP_2)
	v_subrev_nc_u32_e32 v3, 28, v2
	v_sub_nc_u32_e32 v34, 29, v2
	v_lshlrev_b64_e32 v[18:19], v3, v[22:23]
; %bb.1239:                             ;   in Loop: Header=BB362_806 Depth=1
	s_or_b32 exec_lo, exec_lo, s18
	s_delay_alu instid0(VALU_DEP_1) | instskip(SKIP_2) | instid1(VALU_DEP_3)
	v_lshlrev_b32_e32 v2, 20, v18
	v_lshlrev_b32_e32 v3, 24, v22
	v_lshl_add_u32 v4, v34, 23, 0x3c000000
	v_and_b32_e32 v2, 0x700000, v2
	s_delay_alu instid0(VALU_DEP_3) | instskip(NEXT) | instid1(VALU_DEP_1)
	v_and_b32_e32 v3, 0x80000000, v3
	v_or3_b32 v34, v2, v3, v4
.LBB362_1240:                           ;   in Loop: Header=BB362_806 Depth=1
	s_or_b32 exec_lo, exec_lo, s17
.LBB362_1241:                           ;   in Loop: Header=BB362_806 Depth=1
	s_delay_alu instid0(SALU_CYCLE_1)
	s_or_b32 exec_lo, exec_lo, s16
.LBB362_1242:                           ;   in Loop: Header=BB362_806 Depth=1
	s_delay_alu instid0(SALU_CYCLE_1) | instskip(SKIP_2) | instid1(VALU_DEP_1)
	s_or_b32 exec_lo, exec_lo, s15
	v_lshrrev_b16 v18, 8, v22
	s_mov_b32 s15, exec_lo
	v_cmpx_ne_u16_e32 0, v18
	s_cbranch_execz .LBB362_1250
; %bb.1243:                             ;   in Loop: Header=BB362_806 Depth=1
	v_bfrev_b32_e32 v39, 1
	s_mov_b32 s16, exec_lo
	v_cmpx_ne_u16_e32 0x80, v18
	s_cbranch_execz .LBB362_1249
; %bb.1244:                             ;   in Loop: Header=BB362_806 Depth=1
	v_and_b32_e32 v18, 0xffff, v18
	v_mov_b32_e32 v39, 0x7f800001
	s_mov_b32 s17, exec_lo
	s_delay_alu instid0(VALU_DEP_2) | instskip(NEXT) | instid1(VALU_DEP_1)
	v_and_b32_e32 v48, 0x7f, v18
	v_cmpx_ne_u32_e32 0x7f, v48
	s_cbranch_execz .LBB362_1248
; %bb.1245:                             ;   in Loop: Header=BB362_806 Depth=1
	v_dual_mov_b32 v19, v23 :: v_dual_bitop2_b32 v18, 7, v18 bitop3:0x40
	v_lshrrev_b32_e32 v39, 3, v48
	s_mov_b32 s18, exec_lo
	v_cmpx_gt_u32_e32 8, v48
; %bb.1246:                             ;   in Loop: Header=BB362_806 Depth=1
	s_delay_alu instid0(VALU_DEP_3) | instskip(NEXT) | instid1(VALU_DEP_1)
	v_clz_i32_u32_e32 v2, v18
	v_min_u32_e32 v2, 32, v2
	s_delay_alu instid0(VALU_DEP_1) | instskip(SKIP_1) | instid1(VALU_DEP_2)
	v_subrev_nc_u32_e32 v3, 28, v2
	v_sub_nc_u32_e32 v39, 29, v2
	v_lshlrev_b64_e32 v[18:19], v3, v[18:19]
	s_delay_alu instid0(VALU_DEP_1)
	v_and_b32_e32 v18, 7, v18
; %bb.1247:                             ;   in Loop: Header=BB362_806 Depth=1
	s_or_b32 exec_lo, exec_lo, s18
	v_lshlrev_b32_e32 v2, 16, v22
	s_delay_alu instid0(VALU_DEP_2) | instskip(SKIP_1) | instid1(VALU_DEP_3)
	v_lshlrev_b32_e32 v3, 20, v18
	v_lshl_add_u32 v4, v39, 23, 0x3c000000
	v_and_b32_e32 v2, 0x80000000, v2
	s_delay_alu instid0(VALU_DEP_1)
	v_or3_b32 v39, v3, v2, v4
.LBB362_1248:                           ;   in Loop: Header=BB362_806 Depth=1
	s_or_b32 exec_lo, exec_lo, s17
.LBB362_1249:                           ;   in Loop: Header=BB362_806 Depth=1
	s_delay_alu instid0(SALU_CYCLE_1)
	s_or_b32 exec_lo, exec_lo, s16
.LBB362_1250:                           ;   in Loop: Header=BB362_806 Depth=1
	s_delay_alu instid0(SALU_CYCLE_1) | instskip(SKIP_3) | instid1(VALU_DEP_2)
	s_or_b32 exec_lo, exec_lo, s15
	v_dual_lshrrev_b32 v48, 16, v1 :: v_dual_mov_b32 v18, 0
	v_mov_b32_e32 v19, 0
	s_mov_b32 s15, exec_lo
	v_and_b32_e32 v22, 0xff, v48
	s_delay_alu instid0(VALU_DEP_1)
	v_cmpx_ne_u16_e32 0, v22
	s_cbranch_execz .LBB362_1258
; %bb.1251:                             ;   in Loop: Header=BB362_806 Depth=1
	v_bfrev_b32_e32 v19, 1
	s_mov_b32 s16, exec_lo
	v_cmpx_ne_u16_e32 0x80, v22
	s_cbranch_execz .LBB362_1257
; %bb.1252:                             ;   in Loop: Header=BB362_806 Depth=1
	v_bfe_u32 v49, v1, 16, 7
	v_mov_b32_e32 v19, 0x7f800001
	s_mov_b32 s17, exec_lo
	s_delay_alu instid0(VALU_DEP_2)
	v_cmpx_ne_u32_e32 0x7f, v49
	s_cbranch_execz .LBB362_1256
; %bb.1253:                             ;   in Loop: Header=BB362_806 Depth=1
	v_dual_lshrrev_b32 v19, 3, v49 :: v_dual_bitop2_b32 v22, 7, v48 bitop3:0x40
	s_mov_b32 s18, exec_lo
	v_cmpx_gt_u32_e32 8, v49
; %bb.1254:                             ;   in Loop: Header=BB362_806 Depth=1
	s_delay_alu instid0(VALU_DEP_2) | instskip(NEXT) | instid1(VALU_DEP_1)
	v_clz_i32_u32_e32 v2, v22
	v_min_u32_e32 v2, 32, v2
	s_delay_alu instid0(VALU_DEP_1) | instskip(SKIP_1) | instid1(VALU_DEP_2)
	v_subrev_nc_u32_e32 v3, 28, v2
	v_sub_nc_u32_e32 v19, 29, v2
	v_lshlrev_b64_e32 v[50:51], v3, v[22:23]
	s_delay_alu instid0(VALU_DEP_1)
	v_and_b32_e32 v22, 7, v50
; %bb.1255:                             ;   in Loop: Header=BB362_806 Depth=1
	s_or_b32 exec_lo, exec_lo, s18
	s_delay_alu instid0(VALU_DEP_1) | instskip(SKIP_1) | instid1(VALU_DEP_2)
	v_dual_lshlrev_b32 v2, 24, v48 :: v_dual_lshlrev_b32 v3, 20, v22
	v_lshl_add_u32 v4, v19, 23, 0x3c000000
	v_and_b32_e32 v2, 0x80000000, v2
	s_delay_alu instid0(VALU_DEP_1)
	v_or3_b32 v19, v3, v2, v4
.LBB362_1256:                           ;   in Loop: Header=BB362_806 Depth=1
	s_or_b32 exec_lo, exec_lo, s17
.LBB362_1257:                           ;   in Loop: Header=BB362_806 Depth=1
	s_delay_alu instid0(SALU_CYCLE_1)
	s_or_b32 exec_lo, exec_lo, s16
.LBB362_1258:                           ;   in Loop: Header=BB362_806 Depth=1
	s_delay_alu instid0(SALU_CYCLE_1) | instskip(NEXT) | instid1(SALU_CYCLE_1)
	s_or_b32 exec_lo, exec_lo, s15
	s_mov_b32 s15, exec_lo
	v_cmpx_lt_u64_e64 s[2:3], v[0:1]
	s_cbranch_execz .LBB362_1266
; %bb.1259:                             ;   in Loop: Header=BB362_806 Depth=1
	v_lshrrev_b32_e32 v0, 24, v1
	v_bfrev_b32_e32 v18, 1
	s_mov_b32 s16, exec_lo
	s_delay_alu instid0(VALU_DEP_2)
	v_cmpx_ne_u32_e32 0x80, v0
	s_cbranch_execz .LBB362_1265
; %bb.1260:                             ;   in Loop: Header=BB362_806 Depth=1
	v_bfe_u32 v48, v1, 24, 7
	v_mov_b32_e32 v18, 0x7f800001
	s_mov_b32 s17, exec_lo
	s_delay_alu instid0(VALU_DEP_2)
	v_cmpx_ne_u32_e32 0x7f, v48
	s_cbranch_execz .LBB362_1264
; %bb.1261:                             ;   in Loop: Header=BB362_806 Depth=1
	v_and_b32_e32 v22, 7, v0
	v_lshrrev_b32_e32 v1, 3, v48
	s_mov_b32 s18, exec_lo
	v_cmpx_gt_u32_e32 8, v48
; %bb.1262:                             ;   in Loop: Header=BB362_806 Depth=1
	s_delay_alu instid0(VALU_DEP_3) | instskip(NEXT) | instid1(VALU_DEP_1)
	v_clz_i32_u32_e32 v1, v22
	v_min_u32_e32 v1, 32, v1
	s_delay_alu instid0(VALU_DEP_1) | instskip(NEXT) | instid1(VALU_DEP_1)
	v_subrev_nc_u32_e32 v2, 28, v1
	v_lshlrev_b64_e32 v[48:49], v2, v[22:23]
	s_delay_alu instid0(VALU_DEP_1)
	v_dual_sub_nc_u32 v1, 29, v1 :: v_dual_bitop2_b32 v22, 7, v48 bitop3:0x40
; %bb.1263:                             ;   in Loop: Header=BB362_806 Depth=1
	s_or_b32 exec_lo, exec_lo, s18
	s_delay_alu instid0(VALU_DEP_1) | instskip(NEXT) | instid1(VALU_DEP_2)
	v_dual_lshlrev_b32 v0, 24, v0 :: v_dual_lshlrev_b32 v2, 20, v22
	v_lshl_add_u32 v1, v1, 23, 0x3c000000
	s_delay_alu instid0(VALU_DEP_2) | instskip(NEXT) | instid1(VALU_DEP_1)
	v_and_b32_e32 v0, 0x80000000, v0
	v_or3_b32 v18, v2, v0, v1
.LBB362_1264:                           ;   in Loop: Header=BB362_806 Depth=1
	s_or_b32 exec_lo, exec_lo, s17
.LBB362_1265:                           ;   in Loop: Header=BB362_806 Depth=1
	s_delay_alu instid0(SALU_CYCLE_1)
	s_or_b32 exec_lo, exec_lo, s16
.LBB362_1266:                           ;   in Loop: Header=BB362_806 Depth=1
	s_delay_alu instid0(SALU_CYCLE_1)
	s_or_b32 exec_lo, exec_lo, s15
	v_fma_mixlo_bf16 v72, v35, v39, 0
	v_fma_mixlo_bf16 v73, v35, v34, 0
	;; [unrolled: 1-line block ×8, first 2 shown]
	s_and_saveexec_b32 s15, vcc_lo
	s_cbranch_execz .LBB362_1268
; %bb.1267:                             ;   in Loop: Header=BB362_806 Depth=1
	v_cmp_lt_i32_e64 s0, v81, v118
	s_delay_alu instid0(VALU_DEP_1) | instskip(SKIP_1) | instid1(VALU_DEP_1)
	v_cndmask_b32_e64 v79, 0, v79, s0
	v_cmp_lt_i32_e64 s0, v85, v118
	v_cndmask_b32_e64 v78, 0, v78, s0
	v_cmp_lt_i32_e64 s0, v84, v118
	s_delay_alu instid0(VALU_DEP_1) | instskip(SKIP_1) | instid1(VALU_DEP_1)
	v_cndmask_b32_e64 v77, 0, v77, s0
	v_cmp_lt_i32_e64 s0, v83, v118
	v_cndmask_b32_e64 v76, 0, v76, s0
	;; [unrolled: 5-line block ×4, first 2 shown]
.LBB362_1268:                           ;   in Loop: Header=BB362_806 Depth=1
	s_or_b32 exec_lo, exec_lo, s15
	flat_load_b64 v[0:1], v[30:31] offset:1792
	v_dual_mov_b32 v29, 0 :: v_dual_mov_b32 v28, 0
	s_mov_b32 s15, exec_lo
	s_wait_loadcnt_dscnt 0x0
	v_and_b32_e32 v18, 0xff, v0
	s_wait_xcnt 0x0
	s_delay_alu instid0(VALU_DEP_1)
	v_cmpx_ne_u16_e32 0, v18
	s_cbranch_execz .LBB362_1276
; %bb.1269:                             ;   in Loop: Header=BB362_806 Depth=1
	v_bfrev_b32_e32 v28, 1
	s_mov_b32 s16, exec_lo
	v_cmpx_ne_u16_e32 0x80, v18
	s_cbranch_execz .LBB362_1275
; %bb.1270:                             ;   in Loop: Header=BB362_806 Depth=1
	v_and_b32_e32 v18, 0x7f, v0
	v_mov_b32_e32 v28, 0x7f800001
	s_mov_b32 s17, exec_lo
	s_delay_alu instid0(VALU_DEP_2)
	v_cmpx_ne_u32_e32 0x7f, v18
	s_cbranch_execz .LBB362_1274
; %bb.1271:                             ;   in Loop: Header=BB362_806 Depth=1
	v_lshrrev_b32_e32 v22, 3, v18
	v_cmp_gt_u32_e64 s0, 8, v18
	v_mov_b64_e32 v[18:19], v[0:1]
	s_and_saveexec_b32 s18, s0
; %bb.1272:                             ;   in Loop: Header=BB362_806 Depth=1
	v_and_b32_e32 v2, 7, v0
	s_delay_alu instid0(VALU_DEP_1) | instskip(NEXT) | instid1(VALU_DEP_1)
	v_clz_i32_u32_e32 v2, v2
	v_min_u32_e32 v2, 32, v2
	s_delay_alu instid0(VALU_DEP_1) | instskip(SKIP_1) | instid1(VALU_DEP_2)
	v_subrev_nc_u32_e32 v3, 28, v2
	v_sub_nc_u32_e32 v22, 29, v2
	v_lshlrev_b64_e32 v[18:19], v3, v[0:1]
; %bb.1273:                             ;   in Loop: Header=BB362_806 Depth=1
	s_or_b32 exec_lo, exec_lo, s18
	s_delay_alu instid0(VALU_DEP_1) | instskip(NEXT) | instid1(VALU_DEP_3)
	v_dual_lshlrev_b32 v2, 20, v18 :: v_dual_lshlrev_b32 v3, 24, v0
	v_lshl_add_u32 v4, v22, 23, 0x3c000000
	s_delay_alu instid0(VALU_DEP_2) | instskip(NEXT) | instid1(VALU_DEP_3)
	v_and_b32_e32 v2, 0x700000, v2
	v_and_b32_e32 v3, 0x80000000, v3
	s_delay_alu instid0(VALU_DEP_1)
	v_or3_b32 v28, v2, v3, v4
.LBB362_1274:                           ;   in Loop: Header=BB362_806 Depth=1
	s_or_b32 exec_lo, exec_lo, s17
.LBB362_1275:                           ;   in Loop: Header=BB362_806 Depth=1
	s_delay_alu instid0(SALU_CYCLE_1)
	s_or_b32 exec_lo, exec_lo, s16
.LBB362_1276:                           ;   in Loop: Header=BB362_806 Depth=1
	s_delay_alu instid0(SALU_CYCLE_1) | instskip(SKIP_2) | instid1(VALU_DEP_1)
	s_or_b32 exec_lo, exec_lo, s15
	v_lshrrev_b16 v18, 8, v0
	s_mov_b32 s15, exec_lo
	v_cmpx_ne_u16_e32 0, v18
	s_cbranch_execz .LBB362_1284
; %bb.1277:                             ;   in Loop: Header=BB362_806 Depth=1
	v_bfrev_b32_e32 v29, 1
	s_mov_b32 s16, exec_lo
	v_cmpx_ne_u16_e32 0x80, v18
	s_cbranch_execz .LBB362_1283
; %bb.1278:                             ;   in Loop: Header=BB362_806 Depth=1
	v_and_b32_e32 v18, 0xffff, v18
	v_mov_b32_e32 v29, 0x7f800001
	s_mov_b32 s17, exec_lo
	s_delay_alu instid0(VALU_DEP_2) | instskip(NEXT) | instid1(VALU_DEP_1)
	v_and_b32_e32 v19, 0x7f, v18
	v_cmpx_ne_u32_e32 0x7f, v19
	s_cbranch_execz .LBB362_1282
; %bb.1279:                             ;   in Loop: Header=BB362_806 Depth=1
	v_dual_lshrrev_b32 v18, 3, v19 :: v_dual_bitop2_b32 v22, 7, v18 bitop3:0x40
	s_mov_b32 s18, exec_lo
	v_cmpx_gt_u32_e32 8, v19
; %bb.1280:                             ;   in Loop: Header=BB362_806 Depth=1
	s_delay_alu instid0(VALU_DEP_2) | instskip(NEXT) | instid1(VALU_DEP_1)
	v_clz_i32_u32_e32 v2, v22
	v_min_u32_e32 v2, 32, v2
	s_delay_alu instid0(VALU_DEP_1) | instskip(NEXT) | instid1(VALU_DEP_1)
	v_subrev_nc_u32_e32 v3, 28, v2
	v_lshlrev_b64_e32 v[32:33], v3, v[22:23]
	s_delay_alu instid0(VALU_DEP_1)
	v_dual_sub_nc_u32 v18, 29, v2 :: v_dual_bitop2_b32 v22, 7, v32 bitop3:0x40
; %bb.1281:                             ;   in Loop: Header=BB362_806 Depth=1
	s_or_b32 exec_lo, exec_lo, s18
	s_delay_alu instid0(VALU_DEP_1) | instskip(NEXT) | instid1(VALU_DEP_2)
	v_dual_lshlrev_b32 v2, 16, v0 :: v_dual_lshlrev_b32 v3, 20, v22
	v_lshl_add_u32 v4, v18, 23, 0x3c000000
	s_delay_alu instid0(VALU_DEP_2) | instskip(NEXT) | instid1(VALU_DEP_1)
	v_and_b32_e32 v2, 0x80000000, v2
	v_or3_b32 v29, v3, v2, v4
.LBB362_1282:                           ;   in Loop: Header=BB362_806 Depth=1
	s_or_b32 exec_lo, exec_lo, s17
.LBB362_1283:                           ;   in Loop: Header=BB362_806 Depth=1
	s_delay_alu instid0(SALU_CYCLE_1)
	s_or_b32 exec_lo, exec_lo, s16
.LBB362_1284:                           ;   in Loop: Header=BB362_806 Depth=1
	s_delay_alu instid0(SALU_CYCLE_1) | instskip(SKIP_3) | instid1(VALU_DEP_2)
	s_or_b32 exec_lo, exec_lo, s15
	v_dual_mov_b32 v33, 0 :: v_dual_lshrrev_b32 v18, 16, v0
	v_mov_b32_e32 v32, 0
	s_mov_b32 s15, exec_lo
	v_and_b32_e32 v19, 0xff, v18
	s_delay_alu instid0(VALU_DEP_1)
	v_cmpx_ne_u16_e32 0, v19
	s_cbranch_execz .LBB362_1292
; %bb.1285:                             ;   in Loop: Header=BB362_806 Depth=1
	v_bfrev_b32_e32 v32, 1
	s_mov_b32 s16, exec_lo
	v_cmpx_ne_u16_e32 0x80, v19
	s_cbranch_execz .LBB362_1291
; %bb.1286:                             ;   in Loop: Header=BB362_806 Depth=1
	v_bfe_u32 v34, v0, 16, 7
	v_mov_b32_e32 v32, 0x7f800001
	s_mov_b32 s17, exec_lo
	s_delay_alu instid0(VALU_DEP_2)
	v_cmpx_ne_u32_e32 0x7f, v34
	s_cbranch_execz .LBB362_1290
; %bb.1287:                             ;   in Loop: Header=BB362_806 Depth=1
	v_and_b32_e32 v22, 7, v18
	v_lshrrev_b32_e32 v19, 3, v34
	s_mov_b32 s18, exec_lo
	v_cmpx_gt_u32_e32 8, v34
; %bb.1288:                             ;   in Loop: Header=BB362_806 Depth=1
	s_delay_alu instid0(VALU_DEP_3) | instskip(NEXT) | instid1(VALU_DEP_1)
	v_clz_i32_u32_e32 v2, v22
	v_min_u32_e32 v2, 32, v2
	s_delay_alu instid0(VALU_DEP_1) | instskip(NEXT) | instid1(VALU_DEP_1)
	v_subrev_nc_u32_e32 v3, 28, v2
	v_lshlrev_b64_e32 v[48:49], v3, v[22:23]
	s_delay_alu instid0(VALU_DEP_1)
	v_dual_sub_nc_u32 v19, 29, v2 :: v_dual_bitop2_b32 v22, 7, v48 bitop3:0x40
; %bb.1289:                             ;   in Loop: Header=BB362_806 Depth=1
	s_or_b32 exec_lo, exec_lo, s18
	v_lshlrev_b32_e32 v2, 24, v18
	s_delay_alu instid0(VALU_DEP_2) | instskip(NEXT) | instid1(VALU_DEP_3)
	v_lshlrev_b32_e32 v3, 20, v22
	v_lshl_add_u32 v4, v19, 23, 0x3c000000
	s_delay_alu instid0(VALU_DEP_3) | instskip(NEXT) | instid1(VALU_DEP_1)
	v_and_b32_e32 v2, 0x80000000, v2
	v_or3_b32 v32, v3, v2, v4
.LBB362_1290:                           ;   in Loop: Header=BB362_806 Depth=1
	s_or_b32 exec_lo, exec_lo, s17
.LBB362_1291:                           ;   in Loop: Header=BB362_806 Depth=1
	s_delay_alu instid0(SALU_CYCLE_1)
	s_or_b32 exec_lo, exec_lo, s16
.LBB362_1292:                           ;   in Loop: Header=BB362_806 Depth=1
	s_delay_alu instid0(SALU_CYCLE_1) | instskip(NEXT) | instid1(SALU_CYCLE_1)
	s_or_b32 exec_lo, exec_lo, s15
	s_mov_b32 s15, exec_lo
	v_cmpx_lt_u32_e32 0xffffff, v0
	s_cbranch_execz .LBB362_1300
; %bb.1293:                             ;   in Loop: Header=BB362_806 Depth=1
	v_lshrrev_b32_e32 v18, 24, v0
	v_bfrev_b32_e32 v33, 1
	s_mov_b32 s16, exec_lo
	s_delay_alu instid0(VALU_DEP_2)
	v_cmpx_ne_u32_e32 0x80, v18
	s_cbranch_execz .LBB362_1299
; %bb.1294:                             ;   in Loop: Header=BB362_806 Depth=1
	v_bfe_u32 v34, v0, 24, 7
	v_mov_b32_e32 v33, 0x7f800001
	s_mov_b32 s17, exec_lo
	s_delay_alu instid0(VALU_DEP_2)
	v_cmpx_ne_u32_e32 0x7f, v34
	s_cbranch_execz .LBB362_1298
; %bb.1295:                             ;   in Loop: Header=BB362_806 Depth=1
	v_and_b32_e32 v22, 7, v18
	v_lshrrev_b32_e32 v19, 3, v34
	s_mov_b32 s18, exec_lo
	v_cmpx_gt_u32_e32 8, v34
; %bb.1296:                             ;   in Loop: Header=BB362_806 Depth=1
	s_delay_alu instid0(VALU_DEP_3) | instskip(NEXT) | instid1(VALU_DEP_1)
	v_clz_i32_u32_e32 v2, v22
	v_min_u32_e32 v2, 32, v2
	s_delay_alu instid0(VALU_DEP_1) | instskip(NEXT) | instid1(VALU_DEP_1)
	v_subrev_nc_u32_e32 v3, 28, v2
	v_lshlrev_b64_e32 v[48:49], v3, v[22:23]
	s_delay_alu instid0(VALU_DEP_1)
	v_dual_sub_nc_u32 v19, 29, v2 :: v_dual_bitop2_b32 v22, 7, v48 bitop3:0x40
; %bb.1297:                             ;   in Loop: Header=BB362_806 Depth=1
	s_or_b32 exec_lo, exec_lo, s18
	v_lshlrev_b32_e32 v2, 24, v18
	s_delay_alu instid0(VALU_DEP_2) | instskip(NEXT) | instid1(VALU_DEP_3)
	v_lshlrev_b32_e32 v3, 20, v22
	v_lshl_add_u32 v4, v19, 23, 0x3c000000
	s_delay_alu instid0(VALU_DEP_3) | instskip(NEXT) | instid1(VALU_DEP_1)
	v_and_b32_e32 v2, 0x80000000, v2
	v_or3_b32 v33, v3, v2, v4
.LBB362_1298:                           ;   in Loop: Header=BB362_806 Depth=1
	s_or_b32 exec_lo, exec_lo, s17
.LBB362_1299:                           ;   in Loop: Header=BB362_806 Depth=1
	s_delay_alu instid0(SALU_CYCLE_1)
	s_or_b32 exec_lo, exec_lo, s16
.LBB362_1300:                           ;   in Loop: Header=BB362_806 Depth=1
	s_delay_alu instid0(SALU_CYCLE_1) | instskip(SKIP_4) | instid1(VALU_DEP_3)
	s_or_b32 exec_lo, exec_lo, s15
	v_and_b32_e32 v18, 0xff, v1
	v_dual_mov_b32 v22, v1 :: v_dual_mov_b32 v39, 0
	v_mov_b32_e32 v34, 0
	s_mov_b32 s15, exec_lo
	v_cmpx_ne_u16_e32 0, v18
	s_cbranch_execz .LBB362_1308
; %bb.1301:                             ;   in Loop: Header=BB362_806 Depth=1
	v_bfrev_b32_e32 v34, 1
	s_mov_b32 s16, exec_lo
	v_cmpx_ne_u16_e32 0x80, v18
	s_cbranch_execz .LBB362_1307
; %bb.1302:                             ;   in Loop: Header=BB362_806 Depth=1
	v_and_b32_e32 v18, 0x7f, v1
	v_mov_b32_e32 v34, 0x7f800001
	s_mov_b32 s17, exec_lo
	s_delay_alu instid0(VALU_DEP_2)
	v_cmpx_ne_u32_e32 0x7f, v18
	s_cbranch_execz .LBB362_1306
; %bb.1303:                             ;   in Loop: Header=BB362_806 Depth=1
	v_lshrrev_b32_e32 v34, 3, v18
	v_cmp_gt_u32_e64 s0, 8, v18
	v_mov_b64_e32 v[18:19], v[22:23]
	s_and_saveexec_b32 s18, s0
; %bb.1304:                             ;   in Loop: Header=BB362_806 Depth=1
	v_and_b32_e32 v2, 7, v1
	s_delay_alu instid0(VALU_DEP_1) | instskip(NEXT) | instid1(VALU_DEP_1)
	v_clz_i32_u32_e32 v2, v2
	v_min_u32_e32 v2, 32, v2
	s_delay_alu instid0(VALU_DEP_1) | instskip(SKIP_1) | instid1(VALU_DEP_2)
	v_subrev_nc_u32_e32 v3, 28, v2
	v_sub_nc_u32_e32 v34, 29, v2
	v_lshlrev_b64_e32 v[18:19], v3, v[22:23]
; %bb.1305:                             ;   in Loop: Header=BB362_806 Depth=1
	s_or_b32 exec_lo, exec_lo, s18
	s_delay_alu instid0(VALU_DEP_1) | instskip(SKIP_2) | instid1(VALU_DEP_3)
	v_lshlrev_b32_e32 v2, 20, v18
	v_lshlrev_b32_e32 v3, 24, v22
	v_lshl_add_u32 v4, v34, 23, 0x3c000000
	v_and_b32_e32 v2, 0x700000, v2
	s_delay_alu instid0(VALU_DEP_3) | instskip(NEXT) | instid1(VALU_DEP_1)
	v_and_b32_e32 v3, 0x80000000, v3
	v_or3_b32 v34, v2, v3, v4
.LBB362_1306:                           ;   in Loop: Header=BB362_806 Depth=1
	s_or_b32 exec_lo, exec_lo, s17
.LBB362_1307:                           ;   in Loop: Header=BB362_806 Depth=1
	s_delay_alu instid0(SALU_CYCLE_1)
	s_or_b32 exec_lo, exec_lo, s16
.LBB362_1308:                           ;   in Loop: Header=BB362_806 Depth=1
	s_delay_alu instid0(SALU_CYCLE_1) | instskip(SKIP_2) | instid1(VALU_DEP_1)
	s_or_b32 exec_lo, exec_lo, s15
	v_lshrrev_b16 v18, 8, v22
	s_mov_b32 s15, exec_lo
	v_cmpx_ne_u16_e32 0, v18
	s_cbranch_execz .LBB362_1316
; %bb.1309:                             ;   in Loop: Header=BB362_806 Depth=1
	v_bfrev_b32_e32 v39, 1
	s_mov_b32 s16, exec_lo
	v_cmpx_ne_u16_e32 0x80, v18
	s_cbranch_execz .LBB362_1315
; %bb.1310:                             ;   in Loop: Header=BB362_806 Depth=1
	v_and_b32_e32 v18, 0xffff, v18
	v_mov_b32_e32 v39, 0x7f800001
	s_mov_b32 s17, exec_lo
	s_delay_alu instid0(VALU_DEP_2) | instskip(NEXT) | instid1(VALU_DEP_1)
	v_and_b32_e32 v48, 0x7f, v18
	v_cmpx_ne_u32_e32 0x7f, v48
	s_cbranch_execz .LBB362_1314
; %bb.1311:                             ;   in Loop: Header=BB362_806 Depth=1
	v_dual_mov_b32 v19, v23 :: v_dual_bitop2_b32 v18, 7, v18 bitop3:0x40
	v_lshrrev_b32_e32 v39, 3, v48
	s_mov_b32 s18, exec_lo
	v_cmpx_gt_u32_e32 8, v48
; %bb.1312:                             ;   in Loop: Header=BB362_806 Depth=1
	s_delay_alu instid0(VALU_DEP_3) | instskip(NEXT) | instid1(VALU_DEP_1)
	v_clz_i32_u32_e32 v2, v18
	v_min_u32_e32 v2, 32, v2
	s_delay_alu instid0(VALU_DEP_1) | instskip(SKIP_1) | instid1(VALU_DEP_2)
	v_subrev_nc_u32_e32 v3, 28, v2
	v_sub_nc_u32_e32 v39, 29, v2
	v_lshlrev_b64_e32 v[18:19], v3, v[18:19]
	s_delay_alu instid0(VALU_DEP_1)
	v_and_b32_e32 v18, 7, v18
; %bb.1313:                             ;   in Loop: Header=BB362_806 Depth=1
	s_or_b32 exec_lo, exec_lo, s18
	v_lshlrev_b32_e32 v2, 16, v22
	s_delay_alu instid0(VALU_DEP_2) | instskip(SKIP_1) | instid1(VALU_DEP_3)
	v_lshlrev_b32_e32 v3, 20, v18
	v_lshl_add_u32 v4, v39, 23, 0x3c000000
	v_and_b32_e32 v2, 0x80000000, v2
	s_delay_alu instid0(VALU_DEP_1)
	v_or3_b32 v39, v3, v2, v4
.LBB362_1314:                           ;   in Loop: Header=BB362_806 Depth=1
	s_or_b32 exec_lo, exec_lo, s17
.LBB362_1315:                           ;   in Loop: Header=BB362_806 Depth=1
	s_delay_alu instid0(SALU_CYCLE_1)
	s_or_b32 exec_lo, exec_lo, s16
.LBB362_1316:                           ;   in Loop: Header=BB362_806 Depth=1
	s_delay_alu instid0(SALU_CYCLE_1) | instskip(SKIP_3) | instid1(VALU_DEP_2)
	s_or_b32 exec_lo, exec_lo, s15
	v_dual_lshrrev_b32 v48, 16, v1 :: v_dual_mov_b32 v18, 0
	v_mov_b32_e32 v19, 0
	s_mov_b32 s15, exec_lo
	v_and_b32_e32 v22, 0xff, v48
	s_delay_alu instid0(VALU_DEP_1)
	v_cmpx_ne_u16_e32 0, v22
	s_cbranch_execz .LBB362_1324
; %bb.1317:                             ;   in Loop: Header=BB362_806 Depth=1
	v_bfrev_b32_e32 v19, 1
	s_mov_b32 s16, exec_lo
	v_cmpx_ne_u16_e32 0x80, v22
	s_cbranch_execz .LBB362_1323
; %bb.1318:                             ;   in Loop: Header=BB362_806 Depth=1
	v_bfe_u32 v49, v1, 16, 7
	v_mov_b32_e32 v19, 0x7f800001
	s_mov_b32 s17, exec_lo
	s_delay_alu instid0(VALU_DEP_2)
	v_cmpx_ne_u32_e32 0x7f, v49
	s_cbranch_execz .LBB362_1322
; %bb.1319:                             ;   in Loop: Header=BB362_806 Depth=1
	v_dual_lshrrev_b32 v19, 3, v49 :: v_dual_bitop2_b32 v22, 7, v48 bitop3:0x40
	s_mov_b32 s18, exec_lo
	v_cmpx_gt_u32_e32 8, v49
; %bb.1320:                             ;   in Loop: Header=BB362_806 Depth=1
	s_delay_alu instid0(VALU_DEP_2) | instskip(NEXT) | instid1(VALU_DEP_1)
	v_clz_i32_u32_e32 v2, v22
	v_min_u32_e32 v2, 32, v2
	s_delay_alu instid0(VALU_DEP_1) | instskip(SKIP_1) | instid1(VALU_DEP_2)
	v_subrev_nc_u32_e32 v3, 28, v2
	v_sub_nc_u32_e32 v19, 29, v2
	v_lshlrev_b64_e32 v[50:51], v3, v[22:23]
	s_delay_alu instid0(VALU_DEP_1)
	v_and_b32_e32 v22, 7, v50
; %bb.1321:                             ;   in Loop: Header=BB362_806 Depth=1
	s_or_b32 exec_lo, exec_lo, s18
	s_delay_alu instid0(VALU_DEP_1) | instskip(SKIP_1) | instid1(VALU_DEP_2)
	v_dual_lshlrev_b32 v2, 24, v48 :: v_dual_lshlrev_b32 v3, 20, v22
	v_lshl_add_u32 v4, v19, 23, 0x3c000000
	v_and_b32_e32 v2, 0x80000000, v2
	s_delay_alu instid0(VALU_DEP_1)
	v_or3_b32 v19, v3, v2, v4
.LBB362_1322:                           ;   in Loop: Header=BB362_806 Depth=1
	s_or_b32 exec_lo, exec_lo, s17
.LBB362_1323:                           ;   in Loop: Header=BB362_806 Depth=1
	s_delay_alu instid0(SALU_CYCLE_1)
	s_or_b32 exec_lo, exec_lo, s16
.LBB362_1324:                           ;   in Loop: Header=BB362_806 Depth=1
	s_delay_alu instid0(SALU_CYCLE_1) | instskip(NEXT) | instid1(SALU_CYCLE_1)
	s_or_b32 exec_lo, exec_lo, s15
	s_mov_b32 s15, exec_lo
	v_cmpx_lt_u64_e64 s[2:3], v[0:1]
	s_cbranch_execz .LBB362_1332
; %bb.1325:                             ;   in Loop: Header=BB362_806 Depth=1
	v_lshrrev_b32_e32 v0, 24, v1
	v_bfrev_b32_e32 v18, 1
	s_mov_b32 s16, exec_lo
	s_delay_alu instid0(VALU_DEP_2)
	v_cmpx_ne_u32_e32 0x80, v0
	s_cbranch_execz .LBB362_1331
; %bb.1326:                             ;   in Loop: Header=BB362_806 Depth=1
	v_bfe_u32 v48, v1, 24, 7
	v_mov_b32_e32 v18, 0x7f800001
	s_mov_b32 s17, exec_lo
	s_delay_alu instid0(VALU_DEP_2)
	v_cmpx_ne_u32_e32 0x7f, v48
	s_cbranch_execz .LBB362_1330
; %bb.1327:                             ;   in Loop: Header=BB362_806 Depth=1
	v_and_b32_e32 v22, 7, v0
	v_lshrrev_b32_e32 v1, 3, v48
	s_mov_b32 s18, exec_lo
	v_cmpx_gt_u32_e32 8, v48
; %bb.1328:                             ;   in Loop: Header=BB362_806 Depth=1
	s_delay_alu instid0(VALU_DEP_3) | instskip(NEXT) | instid1(VALU_DEP_1)
	v_clz_i32_u32_e32 v1, v22
	v_min_u32_e32 v1, 32, v1
	s_delay_alu instid0(VALU_DEP_1) | instskip(NEXT) | instid1(VALU_DEP_1)
	v_subrev_nc_u32_e32 v2, 28, v1
	v_lshlrev_b64_e32 v[48:49], v2, v[22:23]
	s_delay_alu instid0(VALU_DEP_1)
	v_dual_sub_nc_u32 v1, 29, v1 :: v_dual_bitop2_b32 v22, 7, v48 bitop3:0x40
; %bb.1329:                             ;   in Loop: Header=BB362_806 Depth=1
	s_or_b32 exec_lo, exec_lo, s18
	s_delay_alu instid0(VALU_DEP_1) | instskip(NEXT) | instid1(VALU_DEP_2)
	v_dual_lshlrev_b32 v0, 24, v0 :: v_dual_lshlrev_b32 v2, 20, v22
	v_lshl_add_u32 v1, v1, 23, 0x3c000000
	s_delay_alu instid0(VALU_DEP_2) | instskip(NEXT) | instid1(VALU_DEP_1)
	v_and_b32_e32 v0, 0x80000000, v0
	v_or3_b32 v18, v2, v0, v1
.LBB362_1330:                           ;   in Loop: Header=BB362_806 Depth=1
	s_or_b32 exec_lo, exec_lo, s17
.LBB362_1331:                           ;   in Loop: Header=BB362_806 Depth=1
	s_delay_alu instid0(SALU_CYCLE_1)
	s_or_b32 exec_lo, exec_lo, s16
.LBB362_1332:                           ;   in Loop: Header=BB362_806 Depth=1
	s_delay_alu instid0(SALU_CYCLE_1)
	s_or_b32 exec_lo, exec_lo, s15
	v_fma_mixlo_bf16 v88, v35, v39, 0
	v_fma_mixlo_bf16 v89, v35, v34, 0
	;; [unrolled: 1-line block ×8, first 2 shown]
	s_and_saveexec_b32 s15, vcc_lo
	s_cbranch_execz .LBB362_1334
; %bb.1333:                             ;   in Loop: Header=BB362_806 Depth=1
	v_cmp_lt_i32_e64 s0, v81, v118
	s_delay_alu instid0(VALU_DEP_1) | instskip(SKIP_1) | instid1(VALU_DEP_1)
	v_cndmask_b32_e64 v95, 0, v95, s0
	v_cmp_lt_i32_e64 s0, v85, v118
	v_cndmask_b32_e64 v94, 0, v94, s0
	v_cmp_lt_i32_e64 s0, v84, v118
	s_delay_alu instid0(VALU_DEP_1) | instskip(SKIP_1) | instid1(VALU_DEP_1)
	v_cndmask_b32_e64 v93, 0, v93, s0
	v_cmp_lt_i32_e64 s0, v83, v118
	v_cndmask_b32_e64 v92, 0, v92, s0
	;; [unrolled: 5-line block ×4, first 2 shown]
.LBB362_1334:                           ;   in Loop: Header=BB362_806 Depth=1
	s_or_b32 exec_lo, exec_lo, s15
	flat_load_b64 v[0:1], v[30:31] offset:2048
	v_dual_mov_b32 v29, 0 :: v_dual_mov_b32 v28, 0
	s_mov_b32 s15, exec_lo
	s_wait_loadcnt_dscnt 0x0
	v_and_b32_e32 v18, 0xff, v0
	s_wait_xcnt 0x0
	s_delay_alu instid0(VALU_DEP_1)
	v_cmpx_ne_u16_e32 0, v18
	s_cbranch_execz .LBB362_1342
; %bb.1335:                             ;   in Loop: Header=BB362_806 Depth=1
	v_bfrev_b32_e32 v28, 1
	s_mov_b32 s16, exec_lo
	v_cmpx_ne_u16_e32 0x80, v18
	s_cbranch_execz .LBB362_1341
; %bb.1336:                             ;   in Loop: Header=BB362_806 Depth=1
	v_and_b32_e32 v18, 0x7f, v0
	v_mov_b32_e32 v28, 0x7f800001
	s_mov_b32 s17, exec_lo
	s_delay_alu instid0(VALU_DEP_2)
	v_cmpx_ne_u32_e32 0x7f, v18
	s_cbranch_execz .LBB362_1340
; %bb.1337:                             ;   in Loop: Header=BB362_806 Depth=1
	v_lshrrev_b32_e32 v22, 3, v18
	v_cmp_gt_u32_e64 s0, 8, v18
	v_mov_b64_e32 v[18:19], v[0:1]
	s_and_saveexec_b32 s18, s0
; %bb.1338:                             ;   in Loop: Header=BB362_806 Depth=1
	v_and_b32_e32 v2, 7, v0
	s_delay_alu instid0(VALU_DEP_1) | instskip(NEXT) | instid1(VALU_DEP_1)
	v_clz_i32_u32_e32 v2, v2
	v_min_u32_e32 v2, 32, v2
	s_delay_alu instid0(VALU_DEP_1) | instskip(SKIP_1) | instid1(VALU_DEP_2)
	v_subrev_nc_u32_e32 v3, 28, v2
	v_sub_nc_u32_e32 v22, 29, v2
	v_lshlrev_b64_e32 v[18:19], v3, v[0:1]
; %bb.1339:                             ;   in Loop: Header=BB362_806 Depth=1
	s_or_b32 exec_lo, exec_lo, s18
	s_delay_alu instid0(VALU_DEP_1) | instskip(NEXT) | instid1(VALU_DEP_3)
	v_dual_lshlrev_b32 v2, 20, v18 :: v_dual_lshlrev_b32 v3, 24, v0
	v_lshl_add_u32 v4, v22, 23, 0x3c000000
	s_delay_alu instid0(VALU_DEP_2) | instskip(NEXT) | instid1(VALU_DEP_3)
	v_and_b32_e32 v2, 0x700000, v2
	v_and_b32_e32 v3, 0x80000000, v3
	s_delay_alu instid0(VALU_DEP_1)
	v_or3_b32 v28, v2, v3, v4
.LBB362_1340:                           ;   in Loop: Header=BB362_806 Depth=1
	s_or_b32 exec_lo, exec_lo, s17
.LBB362_1341:                           ;   in Loop: Header=BB362_806 Depth=1
	s_delay_alu instid0(SALU_CYCLE_1)
	s_or_b32 exec_lo, exec_lo, s16
.LBB362_1342:                           ;   in Loop: Header=BB362_806 Depth=1
	s_delay_alu instid0(SALU_CYCLE_1) | instskip(SKIP_2) | instid1(VALU_DEP_1)
	s_or_b32 exec_lo, exec_lo, s15
	v_lshrrev_b16 v18, 8, v0
	s_mov_b32 s15, exec_lo
	v_cmpx_ne_u16_e32 0, v18
	s_cbranch_execz .LBB362_1350
; %bb.1343:                             ;   in Loop: Header=BB362_806 Depth=1
	v_bfrev_b32_e32 v29, 1
	s_mov_b32 s16, exec_lo
	v_cmpx_ne_u16_e32 0x80, v18
	s_cbranch_execz .LBB362_1349
; %bb.1344:                             ;   in Loop: Header=BB362_806 Depth=1
	v_and_b32_e32 v18, 0xffff, v18
	v_mov_b32_e32 v29, 0x7f800001
	s_mov_b32 s17, exec_lo
	s_delay_alu instid0(VALU_DEP_2) | instskip(NEXT) | instid1(VALU_DEP_1)
	v_and_b32_e32 v19, 0x7f, v18
	v_cmpx_ne_u32_e32 0x7f, v19
	s_cbranch_execz .LBB362_1348
; %bb.1345:                             ;   in Loop: Header=BB362_806 Depth=1
	v_dual_lshrrev_b32 v18, 3, v19 :: v_dual_bitop2_b32 v22, 7, v18 bitop3:0x40
	s_mov_b32 s18, exec_lo
	v_cmpx_gt_u32_e32 8, v19
; %bb.1346:                             ;   in Loop: Header=BB362_806 Depth=1
	s_delay_alu instid0(VALU_DEP_2) | instskip(NEXT) | instid1(VALU_DEP_1)
	v_clz_i32_u32_e32 v2, v22
	v_min_u32_e32 v2, 32, v2
	s_delay_alu instid0(VALU_DEP_1) | instskip(NEXT) | instid1(VALU_DEP_1)
	v_subrev_nc_u32_e32 v3, 28, v2
	v_lshlrev_b64_e32 v[32:33], v3, v[22:23]
	s_delay_alu instid0(VALU_DEP_1)
	v_dual_sub_nc_u32 v18, 29, v2 :: v_dual_bitop2_b32 v22, 7, v32 bitop3:0x40
; %bb.1347:                             ;   in Loop: Header=BB362_806 Depth=1
	s_or_b32 exec_lo, exec_lo, s18
	s_delay_alu instid0(VALU_DEP_1) | instskip(NEXT) | instid1(VALU_DEP_2)
	v_dual_lshlrev_b32 v2, 16, v0 :: v_dual_lshlrev_b32 v3, 20, v22
	v_lshl_add_u32 v4, v18, 23, 0x3c000000
	s_delay_alu instid0(VALU_DEP_2) | instskip(NEXT) | instid1(VALU_DEP_1)
	v_and_b32_e32 v2, 0x80000000, v2
	v_or3_b32 v29, v3, v2, v4
.LBB362_1348:                           ;   in Loop: Header=BB362_806 Depth=1
	s_or_b32 exec_lo, exec_lo, s17
.LBB362_1349:                           ;   in Loop: Header=BB362_806 Depth=1
	s_delay_alu instid0(SALU_CYCLE_1)
	s_or_b32 exec_lo, exec_lo, s16
.LBB362_1350:                           ;   in Loop: Header=BB362_806 Depth=1
	s_delay_alu instid0(SALU_CYCLE_1) | instskip(SKIP_3) | instid1(VALU_DEP_2)
	s_or_b32 exec_lo, exec_lo, s15
	v_dual_mov_b32 v33, 0 :: v_dual_lshrrev_b32 v18, 16, v0
	v_mov_b32_e32 v32, 0
	s_mov_b32 s15, exec_lo
	v_and_b32_e32 v19, 0xff, v18
	s_delay_alu instid0(VALU_DEP_1)
	v_cmpx_ne_u16_e32 0, v19
	s_cbranch_execz .LBB362_1358
; %bb.1351:                             ;   in Loop: Header=BB362_806 Depth=1
	v_bfrev_b32_e32 v32, 1
	s_mov_b32 s16, exec_lo
	v_cmpx_ne_u16_e32 0x80, v19
	s_cbranch_execz .LBB362_1357
; %bb.1352:                             ;   in Loop: Header=BB362_806 Depth=1
	v_bfe_u32 v34, v0, 16, 7
	v_mov_b32_e32 v32, 0x7f800001
	s_mov_b32 s17, exec_lo
	s_delay_alu instid0(VALU_DEP_2)
	v_cmpx_ne_u32_e32 0x7f, v34
	s_cbranch_execz .LBB362_1356
; %bb.1353:                             ;   in Loop: Header=BB362_806 Depth=1
	v_and_b32_e32 v22, 7, v18
	v_lshrrev_b32_e32 v19, 3, v34
	s_mov_b32 s18, exec_lo
	v_cmpx_gt_u32_e32 8, v34
; %bb.1354:                             ;   in Loop: Header=BB362_806 Depth=1
	s_delay_alu instid0(VALU_DEP_3) | instskip(NEXT) | instid1(VALU_DEP_1)
	v_clz_i32_u32_e32 v2, v22
	v_min_u32_e32 v2, 32, v2
	s_delay_alu instid0(VALU_DEP_1) | instskip(NEXT) | instid1(VALU_DEP_1)
	v_subrev_nc_u32_e32 v3, 28, v2
	v_lshlrev_b64_e32 v[48:49], v3, v[22:23]
	s_delay_alu instid0(VALU_DEP_1)
	v_dual_sub_nc_u32 v19, 29, v2 :: v_dual_bitop2_b32 v22, 7, v48 bitop3:0x40
; %bb.1355:                             ;   in Loop: Header=BB362_806 Depth=1
	s_or_b32 exec_lo, exec_lo, s18
	v_lshlrev_b32_e32 v2, 24, v18
	s_delay_alu instid0(VALU_DEP_2) | instskip(NEXT) | instid1(VALU_DEP_3)
	v_lshlrev_b32_e32 v3, 20, v22
	v_lshl_add_u32 v4, v19, 23, 0x3c000000
	s_delay_alu instid0(VALU_DEP_3) | instskip(NEXT) | instid1(VALU_DEP_1)
	v_and_b32_e32 v2, 0x80000000, v2
	v_or3_b32 v32, v3, v2, v4
.LBB362_1356:                           ;   in Loop: Header=BB362_806 Depth=1
	s_or_b32 exec_lo, exec_lo, s17
.LBB362_1357:                           ;   in Loop: Header=BB362_806 Depth=1
	s_delay_alu instid0(SALU_CYCLE_1)
	s_or_b32 exec_lo, exec_lo, s16
.LBB362_1358:                           ;   in Loop: Header=BB362_806 Depth=1
	s_delay_alu instid0(SALU_CYCLE_1) | instskip(NEXT) | instid1(SALU_CYCLE_1)
	s_or_b32 exec_lo, exec_lo, s15
	s_mov_b32 s15, exec_lo
	v_cmpx_lt_u32_e32 0xffffff, v0
	s_cbranch_execz .LBB362_1366
; %bb.1359:                             ;   in Loop: Header=BB362_806 Depth=1
	v_lshrrev_b32_e32 v18, 24, v0
	v_bfrev_b32_e32 v33, 1
	s_mov_b32 s16, exec_lo
	s_delay_alu instid0(VALU_DEP_2)
	v_cmpx_ne_u32_e32 0x80, v18
	s_cbranch_execz .LBB362_1365
; %bb.1360:                             ;   in Loop: Header=BB362_806 Depth=1
	v_bfe_u32 v34, v0, 24, 7
	v_mov_b32_e32 v33, 0x7f800001
	s_mov_b32 s17, exec_lo
	s_delay_alu instid0(VALU_DEP_2)
	v_cmpx_ne_u32_e32 0x7f, v34
	s_cbranch_execz .LBB362_1364
; %bb.1361:                             ;   in Loop: Header=BB362_806 Depth=1
	v_and_b32_e32 v22, 7, v18
	v_lshrrev_b32_e32 v19, 3, v34
	s_mov_b32 s18, exec_lo
	v_cmpx_gt_u32_e32 8, v34
; %bb.1362:                             ;   in Loop: Header=BB362_806 Depth=1
	s_delay_alu instid0(VALU_DEP_3) | instskip(NEXT) | instid1(VALU_DEP_1)
	v_clz_i32_u32_e32 v2, v22
	v_min_u32_e32 v2, 32, v2
	s_delay_alu instid0(VALU_DEP_1) | instskip(NEXT) | instid1(VALU_DEP_1)
	v_subrev_nc_u32_e32 v3, 28, v2
	v_lshlrev_b64_e32 v[48:49], v3, v[22:23]
	s_delay_alu instid0(VALU_DEP_1)
	v_dual_sub_nc_u32 v19, 29, v2 :: v_dual_bitop2_b32 v22, 7, v48 bitop3:0x40
; %bb.1363:                             ;   in Loop: Header=BB362_806 Depth=1
	s_or_b32 exec_lo, exec_lo, s18
	v_lshlrev_b32_e32 v2, 24, v18
	s_delay_alu instid0(VALU_DEP_2) | instskip(NEXT) | instid1(VALU_DEP_3)
	v_lshlrev_b32_e32 v3, 20, v22
	v_lshl_add_u32 v4, v19, 23, 0x3c000000
	s_delay_alu instid0(VALU_DEP_3) | instskip(NEXT) | instid1(VALU_DEP_1)
	v_and_b32_e32 v2, 0x80000000, v2
	v_or3_b32 v33, v3, v2, v4
.LBB362_1364:                           ;   in Loop: Header=BB362_806 Depth=1
	s_or_b32 exec_lo, exec_lo, s17
.LBB362_1365:                           ;   in Loop: Header=BB362_806 Depth=1
	s_delay_alu instid0(SALU_CYCLE_1)
	s_or_b32 exec_lo, exec_lo, s16
.LBB362_1366:                           ;   in Loop: Header=BB362_806 Depth=1
	s_delay_alu instid0(SALU_CYCLE_1) | instskip(SKIP_4) | instid1(VALU_DEP_3)
	s_or_b32 exec_lo, exec_lo, s15
	v_and_b32_e32 v18, 0xff, v1
	v_dual_mov_b32 v22, v1 :: v_dual_mov_b32 v39, 0
	v_mov_b32_e32 v34, 0
	s_mov_b32 s15, exec_lo
	v_cmpx_ne_u16_e32 0, v18
	s_cbranch_execz .LBB362_1374
; %bb.1367:                             ;   in Loop: Header=BB362_806 Depth=1
	v_bfrev_b32_e32 v34, 1
	s_mov_b32 s16, exec_lo
	v_cmpx_ne_u16_e32 0x80, v18
	s_cbranch_execz .LBB362_1373
; %bb.1368:                             ;   in Loop: Header=BB362_806 Depth=1
	v_and_b32_e32 v18, 0x7f, v1
	v_mov_b32_e32 v34, 0x7f800001
	s_mov_b32 s17, exec_lo
	s_delay_alu instid0(VALU_DEP_2)
	v_cmpx_ne_u32_e32 0x7f, v18
	s_cbranch_execz .LBB362_1372
; %bb.1369:                             ;   in Loop: Header=BB362_806 Depth=1
	v_lshrrev_b32_e32 v34, 3, v18
	v_cmp_gt_u32_e64 s0, 8, v18
	v_mov_b64_e32 v[18:19], v[22:23]
	s_and_saveexec_b32 s18, s0
; %bb.1370:                             ;   in Loop: Header=BB362_806 Depth=1
	v_and_b32_e32 v2, 7, v1
	s_delay_alu instid0(VALU_DEP_1) | instskip(NEXT) | instid1(VALU_DEP_1)
	v_clz_i32_u32_e32 v2, v2
	v_min_u32_e32 v2, 32, v2
	s_delay_alu instid0(VALU_DEP_1) | instskip(SKIP_1) | instid1(VALU_DEP_2)
	v_subrev_nc_u32_e32 v3, 28, v2
	v_sub_nc_u32_e32 v34, 29, v2
	v_lshlrev_b64_e32 v[18:19], v3, v[22:23]
; %bb.1371:                             ;   in Loop: Header=BB362_806 Depth=1
	s_or_b32 exec_lo, exec_lo, s18
	s_delay_alu instid0(VALU_DEP_1) | instskip(SKIP_2) | instid1(VALU_DEP_3)
	v_lshlrev_b32_e32 v2, 20, v18
	v_lshlrev_b32_e32 v3, 24, v22
	v_lshl_add_u32 v4, v34, 23, 0x3c000000
	v_and_b32_e32 v2, 0x700000, v2
	s_delay_alu instid0(VALU_DEP_3) | instskip(NEXT) | instid1(VALU_DEP_1)
	v_and_b32_e32 v3, 0x80000000, v3
	v_or3_b32 v34, v2, v3, v4
.LBB362_1372:                           ;   in Loop: Header=BB362_806 Depth=1
	s_or_b32 exec_lo, exec_lo, s17
.LBB362_1373:                           ;   in Loop: Header=BB362_806 Depth=1
	s_delay_alu instid0(SALU_CYCLE_1)
	s_or_b32 exec_lo, exec_lo, s16
.LBB362_1374:                           ;   in Loop: Header=BB362_806 Depth=1
	s_delay_alu instid0(SALU_CYCLE_1) | instskip(SKIP_2) | instid1(VALU_DEP_1)
	s_or_b32 exec_lo, exec_lo, s15
	v_lshrrev_b16 v18, 8, v22
	s_mov_b32 s15, exec_lo
	v_cmpx_ne_u16_e32 0, v18
	s_cbranch_execz .LBB362_1382
; %bb.1375:                             ;   in Loop: Header=BB362_806 Depth=1
	v_bfrev_b32_e32 v39, 1
	s_mov_b32 s16, exec_lo
	v_cmpx_ne_u16_e32 0x80, v18
	s_cbranch_execz .LBB362_1381
; %bb.1376:                             ;   in Loop: Header=BB362_806 Depth=1
	v_and_b32_e32 v18, 0xffff, v18
	v_mov_b32_e32 v39, 0x7f800001
	s_mov_b32 s17, exec_lo
	s_delay_alu instid0(VALU_DEP_2) | instskip(NEXT) | instid1(VALU_DEP_1)
	v_and_b32_e32 v48, 0x7f, v18
	v_cmpx_ne_u32_e32 0x7f, v48
	s_cbranch_execz .LBB362_1380
; %bb.1377:                             ;   in Loop: Header=BB362_806 Depth=1
	v_dual_mov_b32 v19, v23 :: v_dual_bitop2_b32 v18, 7, v18 bitop3:0x40
	v_lshrrev_b32_e32 v39, 3, v48
	s_mov_b32 s18, exec_lo
	v_cmpx_gt_u32_e32 8, v48
; %bb.1378:                             ;   in Loop: Header=BB362_806 Depth=1
	s_delay_alu instid0(VALU_DEP_3) | instskip(NEXT) | instid1(VALU_DEP_1)
	v_clz_i32_u32_e32 v2, v18
	v_min_u32_e32 v2, 32, v2
	s_delay_alu instid0(VALU_DEP_1) | instskip(SKIP_1) | instid1(VALU_DEP_2)
	v_subrev_nc_u32_e32 v3, 28, v2
	v_sub_nc_u32_e32 v39, 29, v2
	v_lshlrev_b64_e32 v[18:19], v3, v[18:19]
	s_delay_alu instid0(VALU_DEP_1)
	v_and_b32_e32 v18, 7, v18
; %bb.1379:                             ;   in Loop: Header=BB362_806 Depth=1
	s_or_b32 exec_lo, exec_lo, s18
	v_lshlrev_b32_e32 v2, 16, v22
	s_delay_alu instid0(VALU_DEP_2) | instskip(SKIP_1) | instid1(VALU_DEP_3)
	v_lshlrev_b32_e32 v3, 20, v18
	v_lshl_add_u32 v4, v39, 23, 0x3c000000
	v_and_b32_e32 v2, 0x80000000, v2
	s_delay_alu instid0(VALU_DEP_1)
	v_or3_b32 v39, v3, v2, v4
.LBB362_1380:                           ;   in Loop: Header=BB362_806 Depth=1
	s_or_b32 exec_lo, exec_lo, s17
.LBB362_1381:                           ;   in Loop: Header=BB362_806 Depth=1
	s_delay_alu instid0(SALU_CYCLE_1)
	s_or_b32 exec_lo, exec_lo, s16
.LBB362_1382:                           ;   in Loop: Header=BB362_806 Depth=1
	s_delay_alu instid0(SALU_CYCLE_1) | instskip(SKIP_3) | instid1(VALU_DEP_2)
	s_or_b32 exec_lo, exec_lo, s15
	v_dual_lshrrev_b32 v48, 16, v1 :: v_dual_mov_b32 v18, 0
	v_mov_b32_e32 v19, 0
	s_mov_b32 s15, exec_lo
	v_and_b32_e32 v22, 0xff, v48
	s_delay_alu instid0(VALU_DEP_1)
	v_cmpx_ne_u16_e32 0, v22
	s_cbranch_execz .LBB362_1390
; %bb.1383:                             ;   in Loop: Header=BB362_806 Depth=1
	v_bfrev_b32_e32 v19, 1
	s_mov_b32 s16, exec_lo
	v_cmpx_ne_u16_e32 0x80, v22
	s_cbranch_execz .LBB362_1389
; %bb.1384:                             ;   in Loop: Header=BB362_806 Depth=1
	v_bfe_u32 v49, v1, 16, 7
	v_mov_b32_e32 v19, 0x7f800001
	s_mov_b32 s17, exec_lo
	s_delay_alu instid0(VALU_DEP_2)
	v_cmpx_ne_u32_e32 0x7f, v49
	s_cbranch_execz .LBB362_1388
; %bb.1385:                             ;   in Loop: Header=BB362_806 Depth=1
	v_dual_lshrrev_b32 v19, 3, v49 :: v_dual_bitop2_b32 v22, 7, v48 bitop3:0x40
	s_mov_b32 s18, exec_lo
	v_cmpx_gt_u32_e32 8, v49
; %bb.1386:                             ;   in Loop: Header=BB362_806 Depth=1
	s_delay_alu instid0(VALU_DEP_2) | instskip(NEXT) | instid1(VALU_DEP_1)
	v_clz_i32_u32_e32 v2, v22
	v_min_u32_e32 v2, 32, v2
	s_delay_alu instid0(VALU_DEP_1) | instskip(SKIP_1) | instid1(VALU_DEP_2)
	v_subrev_nc_u32_e32 v3, 28, v2
	v_sub_nc_u32_e32 v19, 29, v2
	v_lshlrev_b64_e32 v[50:51], v3, v[22:23]
	s_delay_alu instid0(VALU_DEP_1)
	v_and_b32_e32 v22, 7, v50
; %bb.1387:                             ;   in Loop: Header=BB362_806 Depth=1
	s_or_b32 exec_lo, exec_lo, s18
	s_delay_alu instid0(VALU_DEP_1) | instskip(SKIP_1) | instid1(VALU_DEP_2)
	v_dual_lshlrev_b32 v2, 24, v48 :: v_dual_lshlrev_b32 v3, 20, v22
	v_lshl_add_u32 v4, v19, 23, 0x3c000000
	v_and_b32_e32 v2, 0x80000000, v2
	s_delay_alu instid0(VALU_DEP_1)
	v_or3_b32 v19, v3, v2, v4
.LBB362_1388:                           ;   in Loop: Header=BB362_806 Depth=1
	s_or_b32 exec_lo, exec_lo, s17
.LBB362_1389:                           ;   in Loop: Header=BB362_806 Depth=1
	s_delay_alu instid0(SALU_CYCLE_1)
	s_or_b32 exec_lo, exec_lo, s16
.LBB362_1390:                           ;   in Loop: Header=BB362_806 Depth=1
	s_delay_alu instid0(SALU_CYCLE_1) | instskip(NEXT) | instid1(SALU_CYCLE_1)
	s_or_b32 exec_lo, exec_lo, s15
	s_mov_b32 s15, exec_lo
	v_cmpx_lt_u64_e64 s[2:3], v[0:1]
	s_cbranch_execz .LBB362_1398
; %bb.1391:                             ;   in Loop: Header=BB362_806 Depth=1
	v_lshrrev_b32_e32 v0, 24, v1
	v_bfrev_b32_e32 v18, 1
	s_mov_b32 s16, exec_lo
	s_delay_alu instid0(VALU_DEP_2)
	v_cmpx_ne_u32_e32 0x80, v0
	s_cbranch_execz .LBB362_1397
; %bb.1392:                             ;   in Loop: Header=BB362_806 Depth=1
	v_bfe_u32 v48, v1, 24, 7
	v_mov_b32_e32 v18, 0x7f800001
	s_mov_b32 s17, exec_lo
	s_delay_alu instid0(VALU_DEP_2)
	v_cmpx_ne_u32_e32 0x7f, v48
	s_cbranch_execz .LBB362_1396
; %bb.1393:                             ;   in Loop: Header=BB362_806 Depth=1
	v_and_b32_e32 v22, 7, v0
	v_lshrrev_b32_e32 v1, 3, v48
	s_mov_b32 s18, exec_lo
	v_cmpx_gt_u32_e32 8, v48
; %bb.1394:                             ;   in Loop: Header=BB362_806 Depth=1
	s_delay_alu instid0(VALU_DEP_3) | instskip(NEXT) | instid1(VALU_DEP_1)
	v_clz_i32_u32_e32 v1, v22
	v_min_u32_e32 v1, 32, v1
	s_delay_alu instid0(VALU_DEP_1) | instskip(NEXT) | instid1(VALU_DEP_1)
	v_subrev_nc_u32_e32 v2, 28, v1
	v_lshlrev_b64_e32 v[48:49], v2, v[22:23]
	s_delay_alu instid0(VALU_DEP_1)
	v_dual_sub_nc_u32 v1, 29, v1 :: v_dual_bitop2_b32 v22, 7, v48 bitop3:0x40
; %bb.1395:                             ;   in Loop: Header=BB362_806 Depth=1
	s_or_b32 exec_lo, exec_lo, s18
	s_delay_alu instid0(VALU_DEP_1) | instskip(NEXT) | instid1(VALU_DEP_2)
	v_dual_lshlrev_b32 v0, 24, v0 :: v_dual_lshlrev_b32 v2, 20, v22
	v_lshl_add_u32 v1, v1, 23, 0x3c000000
	s_delay_alu instid0(VALU_DEP_2) | instskip(NEXT) | instid1(VALU_DEP_1)
	v_and_b32_e32 v0, 0x80000000, v0
	v_or3_b32 v18, v2, v0, v1
.LBB362_1396:                           ;   in Loop: Header=BB362_806 Depth=1
	s_or_b32 exec_lo, exec_lo, s17
.LBB362_1397:                           ;   in Loop: Header=BB362_806 Depth=1
	s_delay_alu instid0(SALU_CYCLE_1)
	s_or_b32 exec_lo, exec_lo, s16
.LBB362_1398:                           ;   in Loop: Header=BB362_806 Depth=1
	s_delay_alu instid0(SALU_CYCLE_1)
	s_or_b32 exec_lo, exec_lo, s15
	v_fma_mixlo_bf16 v104, v35, v39, 0
	v_fma_mixlo_bf16 v105, v35, v34, 0
	;; [unrolled: 1-line block ×8, first 2 shown]
	s_and_saveexec_b32 s15, vcc_lo
	s_cbranch_execz .LBB362_1400
; %bb.1399:                             ;   in Loop: Header=BB362_806 Depth=1
	v_cmp_lt_i32_e64 s0, v81, v118
	s_delay_alu instid0(VALU_DEP_1) | instskip(SKIP_1) | instid1(VALU_DEP_1)
	v_cndmask_b32_e64 v111, 0, v111, s0
	v_cmp_lt_i32_e64 s0, v85, v118
	v_cndmask_b32_e64 v110, 0, v110, s0
	v_cmp_lt_i32_e64 s0, v84, v118
	s_delay_alu instid0(VALU_DEP_1) | instskip(SKIP_1) | instid1(VALU_DEP_1)
	v_cndmask_b32_e64 v109, 0, v109, s0
	v_cmp_lt_i32_e64 s0, v83, v118
	v_cndmask_b32_e64 v108, 0, v108, s0
	;; [unrolled: 5-line block ×4, first 2 shown]
.LBB362_1400:                           ;   in Loop: Header=BB362_806 Depth=1
	s_or_b32 exec_lo, exec_lo, s15
	flat_load_b64 v[0:1], v[30:31] offset:2304
	v_dual_mov_b32 v29, 0 :: v_dual_mov_b32 v28, 0
	s_mov_b32 s15, exec_lo
	s_wait_loadcnt_dscnt 0x0
	v_and_b32_e32 v18, 0xff, v0
	s_wait_xcnt 0x0
	s_delay_alu instid0(VALU_DEP_1)
	v_cmpx_ne_u16_e32 0, v18
	s_cbranch_execz .LBB362_1408
; %bb.1401:                             ;   in Loop: Header=BB362_806 Depth=1
	v_bfrev_b32_e32 v28, 1
	s_mov_b32 s16, exec_lo
	v_cmpx_ne_u16_e32 0x80, v18
	s_cbranch_execz .LBB362_1407
; %bb.1402:                             ;   in Loop: Header=BB362_806 Depth=1
	v_and_b32_e32 v18, 0x7f, v0
	v_mov_b32_e32 v28, 0x7f800001
	s_mov_b32 s17, exec_lo
	s_delay_alu instid0(VALU_DEP_2)
	v_cmpx_ne_u32_e32 0x7f, v18
	s_cbranch_execz .LBB362_1406
; %bb.1403:                             ;   in Loop: Header=BB362_806 Depth=1
	v_lshrrev_b32_e32 v22, 3, v18
	v_cmp_gt_u32_e64 s0, 8, v18
	v_mov_b64_e32 v[18:19], v[0:1]
	s_and_saveexec_b32 s18, s0
; %bb.1404:                             ;   in Loop: Header=BB362_806 Depth=1
	v_and_b32_e32 v2, 7, v0
	s_delay_alu instid0(VALU_DEP_1) | instskip(NEXT) | instid1(VALU_DEP_1)
	v_clz_i32_u32_e32 v2, v2
	v_min_u32_e32 v2, 32, v2
	s_delay_alu instid0(VALU_DEP_1) | instskip(SKIP_1) | instid1(VALU_DEP_2)
	v_subrev_nc_u32_e32 v3, 28, v2
	v_sub_nc_u32_e32 v22, 29, v2
	v_lshlrev_b64_e32 v[18:19], v3, v[0:1]
; %bb.1405:                             ;   in Loop: Header=BB362_806 Depth=1
	s_or_b32 exec_lo, exec_lo, s18
	s_delay_alu instid0(VALU_DEP_1) | instskip(NEXT) | instid1(VALU_DEP_3)
	v_dual_lshlrev_b32 v2, 20, v18 :: v_dual_lshlrev_b32 v3, 24, v0
	v_lshl_add_u32 v4, v22, 23, 0x3c000000
	s_delay_alu instid0(VALU_DEP_2) | instskip(NEXT) | instid1(VALU_DEP_3)
	v_and_b32_e32 v2, 0x700000, v2
	v_and_b32_e32 v3, 0x80000000, v3
	s_delay_alu instid0(VALU_DEP_1)
	v_or3_b32 v28, v2, v3, v4
.LBB362_1406:                           ;   in Loop: Header=BB362_806 Depth=1
	s_or_b32 exec_lo, exec_lo, s17
.LBB362_1407:                           ;   in Loop: Header=BB362_806 Depth=1
	s_delay_alu instid0(SALU_CYCLE_1)
	s_or_b32 exec_lo, exec_lo, s16
.LBB362_1408:                           ;   in Loop: Header=BB362_806 Depth=1
	s_delay_alu instid0(SALU_CYCLE_1) | instskip(SKIP_2) | instid1(VALU_DEP_1)
	s_or_b32 exec_lo, exec_lo, s15
	v_lshrrev_b16 v18, 8, v0
	s_mov_b32 s15, exec_lo
	v_cmpx_ne_u16_e32 0, v18
	s_cbranch_execz .LBB362_1416
; %bb.1409:                             ;   in Loop: Header=BB362_806 Depth=1
	v_bfrev_b32_e32 v29, 1
	s_mov_b32 s16, exec_lo
	v_cmpx_ne_u16_e32 0x80, v18
	s_cbranch_execz .LBB362_1415
; %bb.1410:                             ;   in Loop: Header=BB362_806 Depth=1
	v_and_b32_e32 v18, 0xffff, v18
	v_mov_b32_e32 v29, 0x7f800001
	s_mov_b32 s17, exec_lo
	s_delay_alu instid0(VALU_DEP_2) | instskip(NEXT) | instid1(VALU_DEP_1)
	v_and_b32_e32 v19, 0x7f, v18
	v_cmpx_ne_u32_e32 0x7f, v19
	s_cbranch_execz .LBB362_1414
; %bb.1411:                             ;   in Loop: Header=BB362_806 Depth=1
	v_dual_lshrrev_b32 v18, 3, v19 :: v_dual_bitop2_b32 v22, 7, v18 bitop3:0x40
	s_mov_b32 s18, exec_lo
	v_cmpx_gt_u32_e32 8, v19
; %bb.1412:                             ;   in Loop: Header=BB362_806 Depth=1
	s_delay_alu instid0(VALU_DEP_2) | instskip(NEXT) | instid1(VALU_DEP_1)
	v_clz_i32_u32_e32 v2, v22
	v_min_u32_e32 v2, 32, v2
	s_delay_alu instid0(VALU_DEP_1) | instskip(NEXT) | instid1(VALU_DEP_1)
	v_subrev_nc_u32_e32 v3, 28, v2
	v_lshlrev_b64_e32 v[32:33], v3, v[22:23]
	s_delay_alu instid0(VALU_DEP_1)
	v_dual_sub_nc_u32 v18, 29, v2 :: v_dual_bitop2_b32 v22, 7, v32 bitop3:0x40
; %bb.1413:                             ;   in Loop: Header=BB362_806 Depth=1
	s_or_b32 exec_lo, exec_lo, s18
	s_delay_alu instid0(VALU_DEP_1) | instskip(NEXT) | instid1(VALU_DEP_2)
	v_dual_lshlrev_b32 v2, 16, v0 :: v_dual_lshlrev_b32 v3, 20, v22
	v_lshl_add_u32 v4, v18, 23, 0x3c000000
	s_delay_alu instid0(VALU_DEP_2) | instskip(NEXT) | instid1(VALU_DEP_1)
	v_and_b32_e32 v2, 0x80000000, v2
	v_or3_b32 v29, v3, v2, v4
.LBB362_1414:                           ;   in Loop: Header=BB362_806 Depth=1
	s_or_b32 exec_lo, exec_lo, s17
.LBB362_1415:                           ;   in Loop: Header=BB362_806 Depth=1
	s_delay_alu instid0(SALU_CYCLE_1)
	s_or_b32 exec_lo, exec_lo, s16
.LBB362_1416:                           ;   in Loop: Header=BB362_806 Depth=1
	s_delay_alu instid0(SALU_CYCLE_1) | instskip(SKIP_3) | instid1(VALU_DEP_2)
	s_or_b32 exec_lo, exec_lo, s15
	v_dual_mov_b32 v33, 0 :: v_dual_lshrrev_b32 v18, 16, v0
	v_mov_b32_e32 v32, 0
	s_mov_b32 s15, exec_lo
	v_and_b32_e32 v19, 0xff, v18
	s_delay_alu instid0(VALU_DEP_1)
	v_cmpx_ne_u16_e32 0, v19
	s_cbranch_execz .LBB362_1424
; %bb.1417:                             ;   in Loop: Header=BB362_806 Depth=1
	v_bfrev_b32_e32 v32, 1
	s_mov_b32 s16, exec_lo
	v_cmpx_ne_u16_e32 0x80, v19
	s_cbranch_execz .LBB362_1423
; %bb.1418:                             ;   in Loop: Header=BB362_806 Depth=1
	v_bfe_u32 v34, v0, 16, 7
	v_mov_b32_e32 v32, 0x7f800001
	s_mov_b32 s17, exec_lo
	s_delay_alu instid0(VALU_DEP_2)
	v_cmpx_ne_u32_e32 0x7f, v34
	s_cbranch_execz .LBB362_1422
; %bb.1419:                             ;   in Loop: Header=BB362_806 Depth=1
	v_and_b32_e32 v22, 7, v18
	v_lshrrev_b32_e32 v19, 3, v34
	s_mov_b32 s18, exec_lo
	v_cmpx_gt_u32_e32 8, v34
; %bb.1420:                             ;   in Loop: Header=BB362_806 Depth=1
	s_delay_alu instid0(VALU_DEP_3) | instskip(NEXT) | instid1(VALU_DEP_1)
	v_clz_i32_u32_e32 v2, v22
	v_min_u32_e32 v2, 32, v2
	s_delay_alu instid0(VALU_DEP_1) | instskip(NEXT) | instid1(VALU_DEP_1)
	v_subrev_nc_u32_e32 v3, 28, v2
	v_lshlrev_b64_e32 v[48:49], v3, v[22:23]
	s_delay_alu instid0(VALU_DEP_1)
	v_dual_sub_nc_u32 v19, 29, v2 :: v_dual_bitop2_b32 v22, 7, v48 bitop3:0x40
; %bb.1421:                             ;   in Loop: Header=BB362_806 Depth=1
	s_or_b32 exec_lo, exec_lo, s18
	v_lshlrev_b32_e32 v2, 24, v18
	s_delay_alu instid0(VALU_DEP_2) | instskip(NEXT) | instid1(VALU_DEP_3)
	v_lshlrev_b32_e32 v3, 20, v22
	v_lshl_add_u32 v4, v19, 23, 0x3c000000
	s_delay_alu instid0(VALU_DEP_3) | instskip(NEXT) | instid1(VALU_DEP_1)
	v_and_b32_e32 v2, 0x80000000, v2
	v_or3_b32 v32, v3, v2, v4
.LBB362_1422:                           ;   in Loop: Header=BB362_806 Depth=1
	s_or_b32 exec_lo, exec_lo, s17
.LBB362_1423:                           ;   in Loop: Header=BB362_806 Depth=1
	s_delay_alu instid0(SALU_CYCLE_1)
	s_or_b32 exec_lo, exec_lo, s16
.LBB362_1424:                           ;   in Loop: Header=BB362_806 Depth=1
	s_delay_alu instid0(SALU_CYCLE_1) | instskip(NEXT) | instid1(SALU_CYCLE_1)
	s_or_b32 exec_lo, exec_lo, s15
	s_mov_b32 s15, exec_lo
	v_cmpx_lt_u32_e32 0xffffff, v0
	s_cbranch_execz .LBB362_1432
; %bb.1425:                             ;   in Loop: Header=BB362_806 Depth=1
	v_lshrrev_b32_e32 v18, 24, v0
	v_bfrev_b32_e32 v33, 1
	s_mov_b32 s16, exec_lo
	s_delay_alu instid0(VALU_DEP_2)
	v_cmpx_ne_u32_e32 0x80, v18
	s_cbranch_execz .LBB362_1431
; %bb.1426:                             ;   in Loop: Header=BB362_806 Depth=1
	v_bfe_u32 v34, v0, 24, 7
	v_mov_b32_e32 v33, 0x7f800001
	s_mov_b32 s17, exec_lo
	s_delay_alu instid0(VALU_DEP_2)
	v_cmpx_ne_u32_e32 0x7f, v34
	s_cbranch_execz .LBB362_1430
; %bb.1427:                             ;   in Loop: Header=BB362_806 Depth=1
	v_and_b32_e32 v22, 7, v18
	v_lshrrev_b32_e32 v19, 3, v34
	s_mov_b32 s18, exec_lo
	v_cmpx_gt_u32_e32 8, v34
; %bb.1428:                             ;   in Loop: Header=BB362_806 Depth=1
	s_delay_alu instid0(VALU_DEP_3) | instskip(NEXT) | instid1(VALU_DEP_1)
	v_clz_i32_u32_e32 v2, v22
	v_min_u32_e32 v2, 32, v2
	s_delay_alu instid0(VALU_DEP_1) | instskip(NEXT) | instid1(VALU_DEP_1)
	v_subrev_nc_u32_e32 v3, 28, v2
	v_lshlrev_b64_e32 v[48:49], v3, v[22:23]
	s_delay_alu instid0(VALU_DEP_1)
	v_dual_sub_nc_u32 v19, 29, v2 :: v_dual_bitop2_b32 v22, 7, v48 bitop3:0x40
; %bb.1429:                             ;   in Loop: Header=BB362_806 Depth=1
	s_or_b32 exec_lo, exec_lo, s18
	v_lshlrev_b32_e32 v2, 24, v18
	s_delay_alu instid0(VALU_DEP_2) | instskip(NEXT) | instid1(VALU_DEP_3)
	v_lshlrev_b32_e32 v3, 20, v22
	v_lshl_add_u32 v4, v19, 23, 0x3c000000
	s_delay_alu instid0(VALU_DEP_3) | instskip(NEXT) | instid1(VALU_DEP_1)
	v_and_b32_e32 v2, 0x80000000, v2
	v_or3_b32 v33, v3, v2, v4
.LBB362_1430:                           ;   in Loop: Header=BB362_806 Depth=1
	s_or_b32 exec_lo, exec_lo, s17
.LBB362_1431:                           ;   in Loop: Header=BB362_806 Depth=1
	s_delay_alu instid0(SALU_CYCLE_1)
	s_or_b32 exec_lo, exec_lo, s16
.LBB362_1432:                           ;   in Loop: Header=BB362_806 Depth=1
	s_delay_alu instid0(SALU_CYCLE_1) | instskip(SKIP_4) | instid1(VALU_DEP_3)
	s_or_b32 exec_lo, exec_lo, s15
	v_and_b32_e32 v18, 0xff, v1
	v_dual_mov_b32 v22, v1 :: v_dual_mov_b32 v39, 0
	v_mov_b32_e32 v34, 0
	s_mov_b32 s15, exec_lo
	v_cmpx_ne_u16_e32 0, v18
	s_cbranch_execz .LBB362_1440
; %bb.1433:                             ;   in Loop: Header=BB362_806 Depth=1
	v_bfrev_b32_e32 v34, 1
	s_mov_b32 s16, exec_lo
	v_cmpx_ne_u16_e32 0x80, v18
	s_cbranch_execz .LBB362_1439
; %bb.1434:                             ;   in Loop: Header=BB362_806 Depth=1
	v_and_b32_e32 v18, 0x7f, v1
	v_mov_b32_e32 v34, 0x7f800001
	s_mov_b32 s17, exec_lo
	s_delay_alu instid0(VALU_DEP_2)
	v_cmpx_ne_u32_e32 0x7f, v18
	s_cbranch_execz .LBB362_1438
; %bb.1435:                             ;   in Loop: Header=BB362_806 Depth=1
	v_lshrrev_b32_e32 v34, 3, v18
	v_cmp_gt_u32_e64 s0, 8, v18
	v_mov_b64_e32 v[18:19], v[22:23]
	s_and_saveexec_b32 s18, s0
; %bb.1436:                             ;   in Loop: Header=BB362_806 Depth=1
	v_and_b32_e32 v2, 7, v1
	s_delay_alu instid0(VALU_DEP_1) | instskip(NEXT) | instid1(VALU_DEP_1)
	v_clz_i32_u32_e32 v2, v2
	v_min_u32_e32 v2, 32, v2
	s_delay_alu instid0(VALU_DEP_1) | instskip(SKIP_1) | instid1(VALU_DEP_2)
	v_subrev_nc_u32_e32 v3, 28, v2
	v_sub_nc_u32_e32 v34, 29, v2
	v_lshlrev_b64_e32 v[18:19], v3, v[22:23]
; %bb.1437:                             ;   in Loop: Header=BB362_806 Depth=1
	s_or_b32 exec_lo, exec_lo, s18
	s_delay_alu instid0(VALU_DEP_1) | instskip(SKIP_2) | instid1(VALU_DEP_3)
	v_lshlrev_b32_e32 v2, 20, v18
	v_lshlrev_b32_e32 v3, 24, v22
	v_lshl_add_u32 v4, v34, 23, 0x3c000000
	v_and_b32_e32 v2, 0x700000, v2
	s_delay_alu instid0(VALU_DEP_3) | instskip(NEXT) | instid1(VALU_DEP_1)
	v_and_b32_e32 v3, 0x80000000, v3
	v_or3_b32 v34, v2, v3, v4
.LBB362_1438:                           ;   in Loop: Header=BB362_806 Depth=1
	s_or_b32 exec_lo, exec_lo, s17
.LBB362_1439:                           ;   in Loop: Header=BB362_806 Depth=1
	s_delay_alu instid0(SALU_CYCLE_1)
	s_or_b32 exec_lo, exec_lo, s16
.LBB362_1440:                           ;   in Loop: Header=BB362_806 Depth=1
	s_delay_alu instid0(SALU_CYCLE_1) | instskip(SKIP_2) | instid1(VALU_DEP_1)
	s_or_b32 exec_lo, exec_lo, s15
	v_lshrrev_b16 v18, 8, v22
	s_mov_b32 s15, exec_lo
	v_cmpx_ne_u16_e32 0, v18
	s_cbranch_execz .LBB362_1448
; %bb.1441:                             ;   in Loop: Header=BB362_806 Depth=1
	v_bfrev_b32_e32 v39, 1
	s_mov_b32 s16, exec_lo
	v_cmpx_ne_u16_e32 0x80, v18
	s_cbranch_execz .LBB362_1447
; %bb.1442:                             ;   in Loop: Header=BB362_806 Depth=1
	v_and_b32_e32 v18, 0xffff, v18
	v_mov_b32_e32 v39, 0x7f800001
	s_mov_b32 s17, exec_lo
	s_delay_alu instid0(VALU_DEP_2) | instskip(NEXT) | instid1(VALU_DEP_1)
	v_and_b32_e32 v48, 0x7f, v18
	v_cmpx_ne_u32_e32 0x7f, v48
	s_cbranch_execz .LBB362_1446
; %bb.1443:                             ;   in Loop: Header=BB362_806 Depth=1
	v_dual_mov_b32 v19, v23 :: v_dual_bitop2_b32 v18, 7, v18 bitop3:0x40
	v_lshrrev_b32_e32 v39, 3, v48
	s_mov_b32 s18, exec_lo
	v_cmpx_gt_u32_e32 8, v48
; %bb.1444:                             ;   in Loop: Header=BB362_806 Depth=1
	s_delay_alu instid0(VALU_DEP_3) | instskip(NEXT) | instid1(VALU_DEP_1)
	v_clz_i32_u32_e32 v2, v18
	v_min_u32_e32 v2, 32, v2
	s_delay_alu instid0(VALU_DEP_1) | instskip(SKIP_1) | instid1(VALU_DEP_2)
	v_subrev_nc_u32_e32 v3, 28, v2
	v_sub_nc_u32_e32 v39, 29, v2
	v_lshlrev_b64_e32 v[18:19], v3, v[18:19]
	s_delay_alu instid0(VALU_DEP_1)
	v_and_b32_e32 v18, 7, v18
; %bb.1445:                             ;   in Loop: Header=BB362_806 Depth=1
	s_or_b32 exec_lo, exec_lo, s18
	v_lshlrev_b32_e32 v2, 16, v22
	s_delay_alu instid0(VALU_DEP_2) | instskip(SKIP_1) | instid1(VALU_DEP_3)
	v_lshlrev_b32_e32 v3, 20, v18
	v_lshl_add_u32 v4, v39, 23, 0x3c000000
	v_and_b32_e32 v2, 0x80000000, v2
	s_delay_alu instid0(VALU_DEP_1)
	v_or3_b32 v39, v3, v2, v4
.LBB362_1446:                           ;   in Loop: Header=BB362_806 Depth=1
	s_or_b32 exec_lo, exec_lo, s17
.LBB362_1447:                           ;   in Loop: Header=BB362_806 Depth=1
	s_delay_alu instid0(SALU_CYCLE_1)
	s_or_b32 exec_lo, exec_lo, s16
.LBB362_1448:                           ;   in Loop: Header=BB362_806 Depth=1
	s_delay_alu instid0(SALU_CYCLE_1) | instskip(SKIP_3) | instid1(VALU_DEP_2)
	s_or_b32 exec_lo, exec_lo, s15
	v_dual_lshrrev_b32 v48, 16, v1 :: v_dual_mov_b32 v18, 0
	v_mov_b32_e32 v19, 0
	s_mov_b32 s15, exec_lo
	v_and_b32_e32 v22, 0xff, v48
	s_delay_alu instid0(VALU_DEP_1)
	v_cmpx_ne_u16_e32 0, v22
	s_cbranch_execz .LBB362_1456
; %bb.1449:                             ;   in Loop: Header=BB362_806 Depth=1
	v_bfrev_b32_e32 v19, 1
	s_mov_b32 s16, exec_lo
	v_cmpx_ne_u16_e32 0x80, v22
	s_cbranch_execz .LBB362_1455
; %bb.1450:                             ;   in Loop: Header=BB362_806 Depth=1
	v_bfe_u32 v49, v1, 16, 7
	v_mov_b32_e32 v19, 0x7f800001
	s_mov_b32 s17, exec_lo
	s_delay_alu instid0(VALU_DEP_2)
	v_cmpx_ne_u32_e32 0x7f, v49
	s_cbranch_execz .LBB362_1454
; %bb.1451:                             ;   in Loop: Header=BB362_806 Depth=1
	v_dual_lshrrev_b32 v19, 3, v49 :: v_dual_bitop2_b32 v22, 7, v48 bitop3:0x40
	s_mov_b32 s18, exec_lo
	v_cmpx_gt_u32_e32 8, v49
; %bb.1452:                             ;   in Loop: Header=BB362_806 Depth=1
	s_delay_alu instid0(VALU_DEP_2) | instskip(NEXT) | instid1(VALU_DEP_1)
	v_clz_i32_u32_e32 v2, v22
	v_min_u32_e32 v2, 32, v2
	s_delay_alu instid0(VALU_DEP_1) | instskip(SKIP_1) | instid1(VALU_DEP_2)
	v_subrev_nc_u32_e32 v3, 28, v2
	v_sub_nc_u32_e32 v19, 29, v2
	v_lshlrev_b64_e32 v[50:51], v3, v[22:23]
	s_delay_alu instid0(VALU_DEP_1)
	v_and_b32_e32 v22, 7, v50
; %bb.1453:                             ;   in Loop: Header=BB362_806 Depth=1
	s_or_b32 exec_lo, exec_lo, s18
	s_delay_alu instid0(VALU_DEP_1) | instskip(SKIP_1) | instid1(VALU_DEP_2)
	v_dual_lshlrev_b32 v2, 24, v48 :: v_dual_lshlrev_b32 v3, 20, v22
	v_lshl_add_u32 v4, v19, 23, 0x3c000000
	v_and_b32_e32 v2, 0x80000000, v2
	s_delay_alu instid0(VALU_DEP_1)
	v_or3_b32 v19, v3, v2, v4
.LBB362_1454:                           ;   in Loop: Header=BB362_806 Depth=1
	s_or_b32 exec_lo, exec_lo, s17
.LBB362_1455:                           ;   in Loop: Header=BB362_806 Depth=1
	s_delay_alu instid0(SALU_CYCLE_1)
	s_or_b32 exec_lo, exec_lo, s16
.LBB362_1456:                           ;   in Loop: Header=BB362_806 Depth=1
	s_delay_alu instid0(SALU_CYCLE_1) | instskip(NEXT) | instid1(SALU_CYCLE_1)
	s_or_b32 exec_lo, exec_lo, s15
	s_mov_b32 s15, exec_lo
	v_cmpx_lt_u64_e64 s[2:3], v[0:1]
	s_cbranch_execz .LBB362_1464
; %bb.1457:                             ;   in Loop: Header=BB362_806 Depth=1
	v_lshrrev_b32_e32 v0, 24, v1
	v_bfrev_b32_e32 v18, 1
	s_mov_b32 s16, exec_lo
	s_delay_alu instid0(VALU_DEP_2)
	v_cmpx_ne_u32_e32 0x80, v0
	s_cbranch_execz .LBB362_1463
; %bb.1458:                             ;   in Loop: Header=BB362_806 Depth=1
	v_bfe_u32 v48, v1, 24, 7
	v_mov_b32_e32 v18, 0x7f800001
	s_mov_b32 s17, exec_lo
	s_delay_alu instid0(VALU_DEP_2)
	v_cmpx_ne_u32_e32 0x7f, v48
	s_cbranch_execz .LBB362_1462
; %bb.1459:                             ;   in Loop: Header=BB362_806 Depth=1
	v_and_b32_e32 v22, 7, v0
	v_lshrrev_b32_e32 v1, 3, v48
	s_mov_b32 s18, exec_lo
	v_cmpx_gt_u32_e32 8, v48
; %bb.1460:                             ;   in Loop: Header=BB362_806 Depth=1
	s_delay_alu instid0(VALU_DEP_3) | instskip(NEXT) | instid1(VALU_DEP_1)
	v_clz_i32_u32_e32 v1, v22
	v_min_u32_e32 v1, 32, v1
	s_delay_alu instid0(VALU_DEP_1) | instskip(NEXT) | instid1(VALU_DEP_1)
	v_subrev_nc_u32_e32 v2, 28, v1
	v_lshlrev_b64_e32 v[48:49], v2, v[22:23]
	s_delay_alu instid0(VALU_DEP_1)
	v_dual_sub_nc_u32 v1, 29, v1 :: v_dual_bitop2_b32 v22, 7, v48 bitop3:0x40
; %bb.1461:                             ;   in Loop: Header=BB362_806 Depth=1
	s_or_b32 exec_lo, exec_lo, s18
	s_delay_alu instid0(VALU_DEP_1) | instskip(NEXT) | instid1(VALU_DEP_2)
	v_dual_lshlrev_b32 v0, 24, v0 :: v_dual_lshlrev_b32 v2, 20, v22
	v_lshl_add_u32 v1, v1, 23, 0x3c000000
	s_delay_alu instid0(VALU_DEP_2) | instskip(NEXT) | instid1(VALU_DEP_1)
	v_and_b32_e32 v0, 0x80000000, v0
	v_or3_b32 v18, v2, v0, v1
.LBB362_1462:                           ;   in Loop: Header=BB362_806 Depth=1
	s_or_b32 exec_lo, exec_lo, s17
.LBB362_1463:                           ;   in Loop: Header=BB362_806 Depth=1
	s_delay_alu instid0(SALU_CYCLE_1)
	s_or_b32 exec_lo, exec_lo, s16
.LBB362_1464:                           ;   in Loop: Header=BB362_806 Depth=1
	s_delay_alu instid0(SALU_CYCLE_1)
	s_or_b32 exec_lo, exec_lo, s15
	v_fma_mixlo_bf16 v120, v35, v39, 0
	v_fma_mixlo_bf16 v121, v35, v34, 0
	;; [unrolled: 1-line block ×8, first 2 shown]
	s_and_saveexec_b32 s15, vcc_lo
	s_cbranch_execz .LBB362_1466
; %bb.1465:                             ;   in Loop: Header=BB362_806 Depth=1
	v_cmp_lt_i32_e64 s0, v81, v118
	s_delay_alu instid0(VALU_DEP_1) | instskip(SKIP_1) | instid1(VALU_DEP_1)
	v_cndmask_b32_e64 v127, 0, v127, s0
	v_cmp_lt_i32_e64 s0, v85, v118
	v_cndmask_b32_e64 v126, 0, v126, s0
	v_cmp_lt_i32_e64 s0, v84, v118
	s_delay_alu instid0(VALU_DEP_1) | instskip(SKIP_1) | instid1(VALU_DEP_1)
	v_cndmask_b32_e64 v125, 0, v125, s0
	v_cmp_lt_i32_e64 s0, v83, v118
	v_cndmask_b32_e64 v124, 0, v124, s0
	;; [unrolled: 5-line block ×4, first 2 shown]
.LBB362_1466:                           ;   in Loop: Header=BB362_806 Depth=1
	s_or_b32 exec_lo, exec_lo, s15
	flat_load_b64 v[0:1], v[30:31] offset:2560
	v_dual_mov_b32 v29, 0 :: v_dual_mov_b32 v28, 0
	s_mov_b32 s15, exec_lo
	s_wait_loadcnt_dscnt 0x0
	v_and_b32_e32 v18, 0xff, v0
	s_wait_xcnt 0x0
	s_delay_alu instid0(VALU_DEP_1)
	v_cmpx_ne_u16_e32 0, v18
	s_cbranch_execz .LBB362_1474
; %bb.1467:                             ;   in Loop: Header=BB362_806 Depth=1
	v_bfrev_b32_e32 v28, 1
	s_mov_b32 s16, exec_lo
	v_cmpx_ne_u16_e32 0x80, v18
	s_cbranch_execz .LBB362_1473
; %bb.1468:                             ;   in Loop: Header=BB362_806 Depth=1
	v_and_b32_e32 v18, 0x7f, v0
	v_mov_b32_e32 v28, 0x7f800001
	s_mov_b32 s17, exec_lo
	s_delay_alu instid0(VALU_DEP_2)
	v_cmpx_ne_u32_e32 0x7f, v18
	s_cbranch_execz .LBB362_1472
; %bb.1469:                             ;   in Loop: Header=BB362_806 Depth=1
	v_lshrrev_b32_e32 v22, 3, v18
	v_cmp_gt_u32_e64 s0, 8, v18
	v_mov_b64_e32 v[18:19], v[0:1]
	s_and_saveexec_b32 s18, s0
; %bb.1470:                             ;   in Loop: Header=BB362_806 Depth=1
	v_and_b32_e32 v2, 7, v0
	s_delay_alu instid0(VALU_DEP_1) | instskip(NEXT) | instid1(VALU_DEP_1)
	v_clz_i32_u32_e32 v2, v2
	v_min_u32_e32 v2, 32, v2
	s_delay_alu instid0(VALU_DEP_1) | instskip(SKIP_1) | instid1(VALU_DEP_2)
	v_subrev_nc_u32_e32 v3, 28, v2
	v_sub_nc_u32_e32 v22, 29, v2
	v_lshlrev_b64_e32 v[18:19], v3, v[0:1]
; %bb.1471:                             ;   in Loop: Header=BB362_806 Depth=1
	s_or_b32 exec_lo, exec_lo, s18
	s_delay_alu instid0(VALU_DEP_1) | instskip(NEXT) | instid1(VALU_DEP_3)
	v_dual_lshlrev_b32 v2, 20, v18 :: v_dual_lshlrev_b32 v3, 24, v0
	v_lshl_add_u32 v4, v22, 23, 0x3c000000
	s_delay_alu instid0(VALU_DEP_2) | instskip(NEXT) | instid1(VALU_DEP_3)
	v_and_b32_e32 v2, 0x700000, v2
	v_and_b32_e32 v3, 0x80000000, v3
	s_delay_alu instid0(VALU_DEP_1)
	v_or3_b32 v28, v2, v3, v4
.LBB362_1472:                           ;   in Loop: Header=BB362_806 Depth=1
	s_or_b32 exec_lo, exec_lo, s17
.LBB362_1473:                           ;   in Loop: Header=BB362_806 Depth=1
	s_delay_alu instid0(SALU_CYCLE_1)
	s_or_b32 exec_lo, exec_lo, s16
.LBB362_1474:                           ;   in Loop: Header=BB362_806 Depth=1
	s_delay_alu instid0(SALU_CYCLE_1) | instskip(SKIP_2) | instid1(VALU_DEP_1)
	s_or_b32 exec_lo, exec_lo, s15
	v_lshrrev_b16 v18, 8, v0
	s_mov_b32 s15, exec_lo
	v_cmpx_ne_u16_e32 0, v18
	s_cbranch_execz .LBB362_1482
; %bb.1475:                             ;   in Loop: Header=BB362_806 Depth=1
	v_bfrev_b32_e32 v29, 1
	s_mov_b32 s16, exec_lo
	v_cmpx_ne_u16_e32 0x80, v18
	s_cbranch_execz .LBB362_1481
; %bb.1476:                             ;   in Loop: Header=BB362_806 Depth=1
	v_and_b32_e32 v18, 0xffff, v18
	v_mov_b32_e32 v29, 0x7f800001
	s_mov_b32 s17, exec_lo
	s_delay_alu instid0(VALU_DEP_2) | instskip(NEXT) | instid1(VALU_DEP_1)
	v_and_b32_e32 v19, 0x7f, v18
	v_cmpx_ne_u32_e32 0x7f, v19
	s_cbranch_execz .LBB362_1480
; %bb.1477:                             ;   in Loop: Header=BB362_806 Depth=1
	v_dual_lshrrev_b32 v18, 3, v19 :: v_dual_bitop2_b32 v22, 7, v18 bitop3:0x40
	s_mov_b32 s18, exec_lo
	v_cmpx_gt_u32_e32 8, v19
; %bb.1478:                             ;   in Loop: Header=BB362_806 Depth=1
	s_delay_alu instid0(VALU_DEP_2) | instskip(NEXT) | instid1(VALU_DEP_1)
	v_clz_i32_u32_e32 v2, v22
	v_min_u32_e32 v2, 32, v2
	s_delay_alu instid0(VALU_DEP_1) | instskip(NEXT) | instid1(VALU_DEP_1)
	v_subrev_nc_u32_e32 v3, 28, v2
	v_lshlrev_b64_e32 v[32:33], v3, v[22:23]
	s_delay_alu instid0(VALU_DEP_1)
	v_dual_sub_nc_u32 v18, 29, v2 :: v_dual_bitop2_b32 v22, 7, v32 bitop3:0x40
; %bb.1479:                             ;   in Loop: Header=BB362_806 Depth=1
	s_or_b32 exec_lo, exec_lo, s18
	s_delay_alu instid0(VALU_DEP_1) | instskip(NEXT) | instid1(VALU_DEP_2)
	v_dual_lshlrev_b32 v2, 16, v0 :: v_dual_lshlrev_b32 v3, 20, v22
	v_lshl_add_u32 v4, v18, 23, 0x3c000000
	s_delay_alu instid0(VALU_DEP_2) | instskip(NEXT) | instid1(VALU_DEP_1)
	v_and_b32_e32 v2, 0x80000000, v2
	v_or3_b32 v29, v3, v2, v4
.LBB362_1480:                           ;   in Loop: Header=BB362_806 Depth=1
	s_or_b32 exec_lo, exec_lo, s17
.LBB362_1481:                           ;   in Loop: Header=BB362_806 Depth=1
	s_delay_alu instid0(SALU_CYCLE_1)
	s_or_b32 exec_lo, exec_lo, s16
.LBB362_1482:                           ;   in Loop: Header=BB362_806 Depth=1
	s_delay_alu instid0(SALU_CYCLE_1) | instskip(SKIP_3) | instid1(VALU_DEP_2)
	s_or_b32 exec_lo, exec_lo, s15
	v_dual_mov_b32 v39, 0 :: v_dual_lshrrev_b32 v18, 16, v0
	v_mov_b32_e32 v34, 0
	s_mov_b32 s15, exec_lo
	v_and_b32_e32 v19, 0xff, v18
	s_delay_alu instid0(VALU_DEP_1)
	v_cmpx_ne_u16_e32 0, v19
	s_cbranch_execz .LBB362_1490
; %bb.1483:                             ;   in Loop: Header=BB362_806 Depth=1
	v_bfrev_b32_e32 v34, 1
	s_mov_b32 s16, exec_lo
	v_cmpx_ne_u16_e32 0x80, v19
	s_cbranch_execz .LBB362_1489
; %bb.1484:                             ;   in Loop: Header=BB362_806 Depth=1
	v_bfe_u32 v32, v0, 16, 7
	v_mov_b32_e32 v34, 0x7f800001
	s_mov_b32 s17, exec_lo
	s_delay_alu instid0(VALU_DEP_2)
	v_cmpx_ne_u32_e32 0x7f, v32
	s_cbranch_execz .LBB362_1488
; %bb.1485:                             ;   in Loop: Header=BB362_806 Depth=1
	v_dual_lshrrev_b32 v19, 3, v32 :: v_dual_bitop2_b32 v22, 7, v18 bitop3:0x40
	s_mov_b32 s18, exec_lo
	v_cmpx_gt_u32_e32 8, v32
; %bb.1486:                             ;   in Loop: Header=BB362_806 Depth=1
	s_delay_alu instid0(VALU_DEP_2) | instskip(NEXT) | instid1(VALU_DEP_1)
	v_clz_i32_u32_e32 v2, v22
	v_min_u32_e32 v2, 32, v2
	s_delay_alu instid0(VALU_DEP_1) | instskip(NEXT) | instid1(VALU_DEP_1)
	v_subrev_nc_u32_e32 v3, 28, v2
	v_lshlrev_b64_e32 v[32:33], v3, v[22:23]
	s_delay_alu instid0(VALU_DEP_1)
	v_dual_sub_nc_u32 v19, 29, v2 :: v_dual_bitop2_b32 v22, 7, v32 bitop3:0x40
; %bb.1487:                             ;   in Loop: Header=BB362_806 Depth=1
	s_or_b32 exec_lo, exec_lo, s18
	v_lshlrev_b32_e32 v2, 24, v18
	s_delay_alu instid0(VALU_DEP_2) | instskip(NEXT) | instid1(VALU_DEP_3)
	v_lshlrev_b32_e32 v3, 20, v22
	v_lshl_add_u32 v4, v19, 23, 0x3c000000
	s_delay_alu instid0(VALU_DEP_3) | instskip(NEXT) | instid1(VALU_DEP_1)
	v_and_b32_e32 v2, 0x80000000, v2
	v_or3_b32 v34, v3, v2, v4
.LBB362_1488:                           ;   in Loop: Header=BB362_806 Depth=1
	s_or_b32 exec_lo, exec_lo, s17
.LBB362_1489:                           ;   in Loop: Header=BB362_806 Depth=1
	s_delay_alu instid0(SALU_CYCLE_1)
	s_or_b32 exec_lo, exec_lo, s16
.LBB362_1490:                           ;   in Loop: Header=BB362_806 Depth=1
	s_delay_alu instid0(SALU_CYCLE_1) | instskip(NEXT) | instid1(SALU_CYCLE_1)
	s_or_b32 exec_lo, exec_lo, s15
	s_mov_b32 s15, exec_lo
	v_cmpx_lt_u32_e32 0xffffff, v0
	s_cbranch_execz .LBB362_1498
; %bb.1491:                             ;   in Loop: Header=BB362_806 Depth=1
	v_lshrrev_b32_e32 v18, 24, v0
	v_bfrev_b32_e32 v39, 1
	s_mov_b32 s16, exec_lo
	s_delay_alu instid0(VALU_DEP_2)
	v_cmpx_ne_u32_e32 0x80, v18
	s_cbranch_execz .LBB362_1497
; %bb.1492:                             ;   in Loop: Header=BB362_806 Depth=1
	v_bfe_u32 v32, v0, 24, 7
	v_mov_b32_e32 v39, 0x7f800001
	s_mov_b32 s17, exec_lo
	s_delay_alu instid0(VALU_DEP_2)
	v_cmpx_ne_u32_e32 0x7f, v32
	s_cbranch_execz .LBB362_1496
; %bb.1493:                             ;   in Loop: Header=BB362_806 Depth=1
	v_dual_lshrrev_b32 v19, 3, v32 :: v_dual_bitop2_b32 v22, 7, v18 bitop3:0x40
	s_mov_b32 s18, exec_lo
	v_cmpx_gt_u32_e32 8, v32
; %bb.1494:                             ;   in Loop: Header=BB362_806 Depth=1
	s_delay_alu instid0(VALU_DEP_2) | instskip(NEXT) | instid1(VALU_DEP_1)
	v_clz_i32_u32_e32 v2, v22
	v_min_u32_e32 v2, 32, v2
	s_delay_alu instid0(VALU_DEP_1) | instskip(NEXT) | instid1(VALU_DEP_1)
	v_subrev_nc_u32_e32 v3, 28, v2
	v_lshlrev_b64_e32 v[32:33], v3, v[22:23]
	s_delay_alu instid0(VALU_DEP_1)
	v_dual_sub_nc_u32 v19, 29, v2 :: v_dual_bitop2_b32 v22, 7, v32 bitop3:0x40
; %bb.1495:                             ;   in Loop: Header=BB362_806 Depth=1
	s_or_b32 exec_lo, exec_lo, s18
	v_lshlrev_b32_e32 v2, 24, v18
	s_delay_alu instid0(VALU_DEP_2) | instskip(NEXT) | instid1(VALU_DEP_3)
	v_lshlrev_b32_e32 v3, 20, v22
	v_lshl_add_u32 v4, v19, 23, 0x3c000000
	s_delay_alu instid0(VALU_DEP_3) | instskip(NEXT) | instid1(VALU_DEP_1)
	v_and_b32_e32 v2, 0x80000000, v2
	v_or3_b32 v39, v3, v2, v4
.LBB362_1496:                           ;   in Loop: Header=BB362_806 Depth=1
	s_or_b32 exec_lo, exec_lo, s17
.LBB362_1497:                           ;   in Loop: Header=BB362_806 Depth=1
	s_delay_alu instid0(SALU_CYCLE_1)
	s_or_b32 exec_lo, exec_lo, s16
.LBB362_1498:                           ;   in Loop: Header=BB362_806 Depth=1
	s_delay_alu instid0(SALU_CYCLE_1) | instskip(SKIP_4) | instid1(VALU_DEP_3)
	s_or_b32 exec_lo, exec_lo, s15
	v_and_b32_e32 v18, 0xff, v1
	v_dual_mov_b32 v22, v1 :: v_dual_mov_b32 v32, 0
	v_mov_b32_e32 v33, 0
	s_mov_b32 s15, exec_lo
	v_cmpx_ne_u16_e32 0, v18
	s_cbranch_execz .LBB362_1506
; %bb.1499:                             ;   in Loop: Header=BB362_806 Depth=1
	v_bfrev_b32_e32 v33, 1
	s_mov_b32 s16, exec_lo
	v_cmpx_ne_u16_e32 0x80, v18
	s_cbranch_execz .LBB362_1505
; %bb.1500:                             ;   in Loop: Header=BB362_806 Depth=1
	v_and_b32_e32 v18, 0x7f, v1
	v_mov_b32_e32 v33, 0x7f800001
	s_mov_b32 s17, exec_lo
	s_delay_alu instid0(VALU_DEP_2)
	v_cmpx_ne_u32_e32 0x7f, v18
	s_cbranch_execz .LBB362_1504
; %bb.1501:                             ;   in Loop: Header=BB362_806 Depth=1
	v_lshrrev_b32_e32 v33, 3, v18
	v_cmp_gt_u32_e64 s0, 8, v18
	v_mov_b64_e32 v[18:19], v[22:23]
	s_and_saveexec_b32 s18, s0
; %bb.1502:                             ;   in Loop: Header=BB362_806 Depth=1
	v_and_b32_e32 v2, 7, v1
	s_delay_alu instid0(VALU_DEP_1) | instskip(NEXT) | instid1(VALU_DEP_1)
	v_clz_i32_u32_e32 v2, v2
	v_min_u32_e32 v2, 32, v2
	s_delay_alu instid0(VALU_DEP_1) | instskip(SKIP_1) | instid1(VALU_DEP_2)
	v_subrev_nc_u32_e32 v3, 28, v2
	v_sub_nc_u32_e32 v33, 29, v2
	v_lshlrev_b64_e32 v[18:19], v3, v[22:23]
; %bb.1503:                             ;   in Loop: Header=BB362_806 Depth=1
	s_or_b32 exec_lo, exec_lo, s18
	s_delay_alu instid0(VALU_DEP_1) | instskip(SKIP_2) | instid1(VALU_DEP_3)
	v_lshlrev_b32_e32 v2, 20, v18
	v_lshlrev_b32_e32 v3, 24, v22
	v_lshl_add_u32 v4, v33, 23, 0x3c000000
	v_and_b32_e32 v2, 0x700000, v2
	s_delay_alu instid0(VALU_DEP_3) | instskip(NEXT) | instid1(VALU_DEP_1)
	v_and_b32_e32 v3, 0x80000000, v3
	v_or3_b32 v33, v2, v3, v4
.LBB362_1504:                           ;   in Loop: Header=BB362_806 Depth=1
	s_or_b32 exec_lo, exec_lo, s17
.LBB362_1505:                           ;   in Loop: Header=BB362_806 Depth=1
	s_delay_alu instid0(SALU_CYCLE_1)
	s_or_b32 exec_lo, exec_lo, s16
.LBB362_1506:                           ;   in Loop: Header=BB362_806 Depth=1
	s_delay_alu instid0(SALU_CYCLE_1) | instskip(SKIP_2) | instid1(VALU_DEP_1)
	s_or_b32 exec_lo, exec_lo, s15
	v_lshrrev_b16 v18, 8, v22
	s_mov_b32 s15, exec_lo
	v_cmpx_ne_u16_e32 0, v18
	s_cbranch_execz .LBB362_1514
; %bb.1507:                             ;   in Loop: Header=BB362_806 Depth=1
	v_bfrev_b32_e32 v32, 1
	s_mov_b32 s16, exec_lo
	v_cmpx_ne_u16_e32 0x80, v18
	s_cbranch_execz .LBB362_1513
; %bb.1508:                             ;   in Loop: Header=BB362_806 Depth=1
	v_and_b32_e32 v18, 0xffff, v18
	v_mov_b32_e32 v32, 0x7f800001
	s_mov_b32 s17, exec_lo
	s_delay_alu instid0(VALU_DEP_2) | instskip(NEXT) | instid1(VALU_DEP_1)
	v_and_b32_e32 v48, 0x7f, v18
	v_cmpx_ne_u32_e32 0x7f, v48
	s_cbranch_execz .LBB362_1512
; %bb.1509:                             ;   in Loop: Header=BB362_806 Depth=1
	v_dual_mov_b32 v19, v23 :: v_dual_bitop2_b32 v18, 7, v18 bitop3:0x40
	v_lshrrev_b32_e32 v32, 3, v48
	s_mov_b32 s18, exec_lo
	v_cmpx_gt_u32_e32 8, v48
; %bb.1510:                             ;   in Loop: Header=BB362_806 Depth=1
	s_delay_alu instid0(VALU_DEP_3) | instskip(NEXT) | instid1(VALU_DEP_1)
	v_clz_i32_u32_e32 v2, v18
	v_min_u32_e32 v2, 32, v2
	s_delay_alu instid0(VALU_DEP_1) | instskip(SKIP_1) | instid1(VALU_DEP_2)
	v_subrev_nc_u32_e32 v3, 28, v2
	v_sub_nc_u32_e32 v32, 29, v2
	v_lshlrev_b64_e32 v[18:19], v3, v[18:19]
	s_delay_alu instid0(VALU_DEP_1)
	v_and_b32_e32 v18, 7, v18
; %bb.1511:                             ;   in Loop: Header=BB362_806 Depth=1
	s_or_b32 exec_lo, exec_lo, s18
	v_lshlrev_b32_e32 v2, 16, v22
	s_delay_alu instid0(VALU_DEP_2) | instskip(SKIP_1) | instid1(VALU_DEP_3)
	v_lshlrev_b32_e32 v3, 20, v18
	v_lshl_add_u32 v4, v32, 23, 0x3c000000
	v_and_b32_e32 v2, 0x80000000, v2
	s_delay_alu instid0(VALU_DEP_1)
	v_or3_b32 v32, v3, v2, v4
.LBB362_1512:                           ;   in Loop: Header=BB362_806 Depth=1
	s_or_b32 exec_lo, exec_lo, s17
.LBB362_1513:                           ;   in Loop: Header=BB362_806 Depth=1
	s_delay_alu instid0(SALU_CYCLE_1)
	s_or_b32 exec_lo, exec_lo, s16
.LBB362_1514:                           ;   in Loop: Header=BB362_806 Depth=1
	s_delay_alu instid0(SALU_CYCLE_1) | instskip(SKIP_3) | instid1(VALU_DEP_2)
	s_or_b32 exec_lo, exec_lo, s15
	v_dual_lshrrev_b32 v48, 16, v1 :: v_dual_mov_b32 v18, 0
	v_mov_b32_e32 v19, 0
	s_mov_b32 s15, exec_lo
	v_and_b32_e32 v22, 0xff, v48
	s_delay_alu instid0(VALU_DEP_1)
	v_cmpx_ne_u16_e32 0, v22
	s_cbranch_execz .LBB362_1522
; %bb.1515:                             ;   in Loop: Header=BB362_806 Depth=1
	v_bfrev_b32_e32 v19, 1
	s_mov_b32 s16, exec_lo
	v_cmpx_ne_u16_e32 0x80, v22
	s_cbranch_execz .LBB362_1521
; %bb.1516:                             ;   in Loop: Header=BB362_806 Depth=1
	v_bfe_u32 v49, v1, 16, 7
	v_mov_b32_e32 v19, 0x7f800001
	s_mov_b32 s17, exec_lo
	s_delay_alu instid0(VALU_DEP_2)
	v_cmpx_ne_u32_e32 0x7f, v49
	s_cbranch_execz .LBB362_1520
; %bb.1517:                             ;   in Loop: Header=BB362_806 Depth=1
	v_dual_lshrrev_b32 v19, 3, v49 :: v_dual_bitop2_b32 v22, 7, v48 bitop3:0x40
	s_mov_b32 s18, exec_lo
	v_cmpx_gt_u32_e32 8, v49
; %bb.1518:                             ;   in Loop: Header=BB362_806 Depth=1
	s_delay_alu instid0(VALU_DEP_2) | instskip(NEXT) | instid1(VALU_DEP_1)
	v_clz_i32_u32_e32 v2, v22
	v_min_u32_e32 v2, 32, v2
	s_delay_alu instid0(VALU_DEP_1) | instskip(SKIP_1) | instid1(VALU_DEP_2)
	v_subrev_nc_u32_e32 v3, 28, v2
	v_sub_nc_u32_e32 v19, 29, v2
	v_lshlrev_b64_e32 v[50:51], v3, v[22:23]
	s_delay_alu instid0(VALU_DEP_1)
	v_and_b32_e32 v22, 7, v50
; %bb.1519:                             ;   in Loop: Header=BB362_806 Depth=1
	s_or_b32 exec_lo, exec_lo, s18
	s_delay_alu instid0(VALU_DEP_1) | instskip(SKIP_1) | instid1(VALU_DEP_2)
	v_dual_lshlrev_b32 v2, 24, v48 :: v_dual_lshlrev_b32 v3, 20, v22
	v_lshl_add_u32 v4, v19, 23, 0x3c000000
	v_and_b32_e32 v2, 0x80000000, v2
	s_delay_alu instid0(VALU_DEP_1)
	v_or3_b32 v19, v3, v2, v4
.LBB362_1520:                           ;   in Loop: Header=BB362_806 Depth=1
	s_or_b32 exec_lo, exec_lo, s17
.LBB362_1521:                           ;   in Loop: Header=BB362_806 Depth=1
	s_delay_alu instid0(SALU_CYCLE_1)
	s_or_b32 exec_lo, exec_lo, s16
.LBB362_1522:                           ;   in Loop: Header=BB362_806 Depth=1
	s_delay_alu instid0(SALU_CYCLE_1) | instskip(NEXT) | instid1(SALU_CYCLE_1)
	s_or_b32 exec_lo, exec_lo, s15
	s_mov_b32 s15, exec_lo
	v_cmpx_lt_u64_e64 s[2:3], v[0:1]
	s_cbranch_execz .LBB362_1530
; %bb.1523:                             ;   in Loop: Header=BB362_806 Depth=1
	v_lshrrev_b32_e32 v0, 24, v1
	v_bfrev_b32_e32 v18, 1
	s_mov_b32 s16, exec_lo
	s_delay_alu instid0(VALU_DEP_2)
	v_cmpx_ne_u32_e32 0x80, v0
	s_cbranch_execz .LBB362_1529
; %bb.1524:                             ;   in Loop: Header=BB362_806 Depth=1
	v_bfe_u32 v48, v1, 24, 7
	v_mov_b32_e32 v18, 0x7f800001
	s_mov_b32 s17, exec_lo
	s_delay_alu instid0(VALU_DEP_2)
	v_cmpx_ne_u32_e32 0x7f, v48
	s_cbranch_execz .LBB362_1528
; %bb.1525:                             ;   in Loop: Header=BB362_806 Depth=1
	v_and_b32_e32 v22, 7, v0
	v_lshrrev_b32_e32 v1, 3, v48
	s_mov_b32 s18, exec_lo
	v_cmpx_gt_u32_e32 8, v48
; %bb.1526:                             ;   in Loop: Header=BB362_806 Depth=1
	s_delay_alu instid0(VALU_DEP_3) | instskip(NEXT) | instid1(VALU_DEP_1)
	v_clz_i32_u32_e32 v1, v22
	v_min_u32_e32 v1, 32, v1
	s_delay_alu instid0(VALU_DEP_1) | instskip(NEXT) | instid1(VALU_DEP_1)
	v_subrev_nc_u32_e32 v2, 28, v1
	v_lshlrev_b64_e32 v[48:49], v2, v[22:23]
	s_delay_alu instid0(VALU_DEP_1)
	v_dual_sub_nc_u32 v1, 29, v1 :: v_dual_bitop2_b32 v22, 7, v48 bitop3:0x40
; %bb.1527:                             ;   in Loop: Header=BB362_806 Depth=1
	s_or_b32 exec_lo, exec_lo, s18
	s_delay_alu instid0(VALU_DEP_1) | instskip(NEXT) | instid1(VALU_DEP_2)
	v_dual_lshlrev_b32 v0, 24, v0 :: v_dual_lshlrev_b32 v2, 20, v22
	v_lshl_add_u32 v1, v1, 23, 0x3c000000
	s_delay_alu instid0(VALU_DEP_2) | instskip(NEXT) | instid1(VALU_DEP_1)
	v_and_b32_e32 v0, 0x80000000, v0
	v_or3_b32 v18, v2, v0, v1
.LBB362_1528:                           ;   in Loop: Header=BB362_806 Depth=1
	s_or_b32 exec_lo, exec_lo, s17
.LBB362_1529:                           ;   in Loop: Header=BB362_806 Depth=1
	s_delay_alu instid0(SALU_CYCLE_1)
	s_or_b32 exec_lo, exec_lo, s16
.LBB362_1530:                           ;   in Loop: Header=BB362_806 Depth=1
	s_delay_alu instid0(SALU_CYCLE_1)
	s_or_b32 exec_lo, exec_lo, s15
	v_fma_mixlo_bf16 v32, v35, v32, 0
	v_fma_mixlo_bf16 v33, v35, v33, 0
	;; [unrolled: 1-line block ×8, first 2 shown]
	s_and_saveexec_b32 s15, vcc_lo
	s_cbranch_execz .LBB362_1532
; %bb.1531:                             ;   in Loop: Header=BB362_806 Depth=1
	v_cmp_lt_i32_e64 s0, v81, v118
	s_delay_alu instid0(VALU_DEP_1) | instskip(SKIP_1) | instid1(VALU_DEP_1)
	v_cndmask_b32_e64 v49, 0, v49, s0
	v_cmp_lt_i32_e64 s0, v85, v118
	v_cndmask_b32_e64 v48, 0, v48, s0
	v_cmp_lt_i32_e64 s0, v84, v118
	s_delay_alu instid0(VALU_DEP_1) | instskip(SKIP_1) | instid1(VALU_DEP_1)
	v_cndmask_b32_e64 v39, 0, v39, s0
	v_cmp_lt_i32_e64 s0, v83, v118
	v_cndmask_b32_e64 v119, 0, v119, s0
	;; [unrolled: 5-line block ×4, first 2 shown]
.LBB362_1532:                           ;   in Loop: Header=BB362_806 Depth=1
	s_or_b32 exec_lo, exec_lo, s15
	flat_load_b64 v[0:1], v[30:31] offset:2816
	s_wait_xcnt 0x0
	v_dual_mov_b32 v31, 0 :: v_dual_mov_b32 v34, 0
	s_mov_b32 s15, exec_lo
	s_wait_loadcnt_dscnt 0x0
	v_and_b32_e32 v18, 0xff, v0
	s_delay_alu instid0(VALU_DEP_1)
	v_cmpx_ne_u16_e32 0, v18
	s_cbranch_execz .LBB362_1540
; %bb.1533:                             ;   in Loop: Header=BB362_806 Depth=1
	v_bfrev_b32_e32 v34, 1
	s_mov_b32 s16, exec_lo
	v_cmpx_ne_u16_e32 0x80, v18
	s_cbranch_execz .LBB362_1539
; %bb.1534:                             ;   in Loop: Header=BB362_806 Depth=1
	v_and_b32_e32 v18, 0x7f, v0
	v_mov_b32_e32 v34, 0x7f800001
	s_mov_b32 s17, exec_lo
	s_delay_alu instid0(VALU_DEP_2)
	v_cmpx_ne_u32_e32 0x7f, v18
	s_cbranch_execz .LBB362_1538
; %bb.1535:                             ;   in Loop: Header=BB362_806 Depth=1
	v_lshrrev_b32_e32 v22, 3, v18
	v_cmp_gt_u32_e64 s0, 8, v18
	v_mov_b64_e32 v[18:19], v[0:1]
	s_and_saveexec_b32 s18, s0
; %bb.1536:                             ;   in Loop: Header=BB362_806 Depth=1
	v_and_b32_e32 v2, 7, v0
	s_delay_alu instid0(VALU_DEP_1) | instskip(NEXT) | instid1(VALU_DEP_1)
	v_clz_i32_u32_e32 v2, v2
	v_min_u32_e32 v2, 32, v2
	s_delay_alu instid0(VALU_DEP_1) | instskip(SKIP_1) | instid1(VALU_DEP_2)
	v_subrev_nc_u32_e32 v3, 28, v2
	v_sub_nc_u32_e32 v22, 29, v2
	v_lshlrev_b64_e32 v[18:19], v3, v[0:1]
; %bb.1537:                             ;   in Loop: Header=BB362_806 Depth=1
	s_or_b32 exec_lo, exec_lo, s18
	s_delay_alu instid0(VALU_DEP_1) | instskip(NEXT) | instid1(VALU_DEP_3)
	v_dual_lshlrev_b32 v2, 20, v18 :: v_dual_lshlrev_b32 v3, 24, v0
	v_lshl_add_u32 v4, v22, 23, 0x3c000000
	s_delay_alu instid0(VALU_DEP_2) | instskip(NEXT) | instid1(VALU_DEP_3)
	v_and_b32_e32 v2, 0x700000, v2
	v_and_b32_e32 v3, 0x80000000, v3
	s_delay_alu instid0(VALU_DEP_1)
	v_or3_b32 v34, v2, v3, v4
.LBB362_1538:                           ;   in Loop: Header=BB362_806 Depth=1
	s_or_b32 exec_lo, exec_lo, s17
.LBB362_1539:                           ;   in Loop: Header=BB362_806 Depth=1
	s_delay_alu instid0(SALU_CYCLE_1)
	s_or_b32 exec_lo, exec_lo, s16
.LBB362_1540:                           ;   in Loop: Header=BB362_806 Depth=1
	s_delay_alu instid0(SALU_CYCLE_1) | instskip(SKIP_2) | instid1(VALU_DEP_1)
	s_or_b32 exec_lo, exec_lo, s15
	v_lshrrev_b16 v18, 8, v0
	s_mov_b32 s15, exec_lo
	v_cmpx_ne_u16_e32 0, v18
	s_cbranch_execz .LBB362_1548
; %bb.1541:                             ;   in Loop: Header=BB362_806 Depth=1
	v_bfrev_b32_e32 v31, 1
	s_mov_b32 s16, exec_lo
	v_cmpx_ne_u16_e32 0x80, v18
	s_cbranch_execz .LBB362_1547
; %bb.1542:                             ;   in Loop: Header=BB362_806 Depth=1
	v_and_b32_e32 v18, 0xffff, v18
	v_mov_b32_e32 v31, 0x7f800001
	s_mov_b32 s17, exec_lo
	s_delay_alu instid0(VALU_DEP_2) | instskip(NEXT) | instid1(VALU_DEP_1)
	v_and_b32_e32 v19, 0x7f, v18
	v_cmpx_ne_u32_e32 0x7f, v19
	s_cbranch_execz .LBB362_1546
; %bb.1543:                             ;   in Loop: Header=BB362_806 Depth=1
	v_dual_lshrrev_b32 v18, 3, v19 :: v_dual_bitop2_b32 v22, 7, v18 bitop3:0x40
	s_mov_b32 s18, exec_lo
	v_cmpx_gt_u32_e32 8, v19
; %bb.1544:                             ;   in Loop: Header=BB362_806 Depth=1
	s_delay_alu instid0(VALU_DEP_2) | instskip(NEXT) | instid1(VALU_DEP_1)
	v_clz_i32_u32_e32 v2, v22
	v_min_u32_e32 v2, 32, v2
	s_delay_alu instid0(VALU_DEP_1) | instskip(SKIP_1) | instid1(VALU_DEP_2)
	v_subrev_nc_u32_e32 v3, 28, v2
	v_sub_nc_u32_e32 v18, 29, v2
	v_lshlrev_b64_e32 v[30:31], v3, v[22:23]
	s_delay_alu instid0(VALU_DEP_1)
	v_and_b32_e32 v22, 7, v30
; %bb.1545:                             ;   in Loop: Header=BB362_806 Depth=1
	s_or_b32 exec_lo, exec_lo, s18
	s_delay_alu instid0(VALU_DEP_1) | instskip(SKIP_1) | instid1(VALU_DEP_2)
	v_dual_lshlrev_b32 v2, 16, v0 :: v_dual_lshlrev_b32 v3, 20, v22
	v_lshl_add_u32 v4, v18, 23, 0x3c000000
	v_and_b32_e32 v2, 0x80000000, v2
	s_delay_alu instid0(VALU_DEP_1)
	v_or3_b32 v31, v3, v2, v4
.LBB362_1546:                           ;   in Loop: Header=BB362_806 Depth=1
	s_or_b32 exec_lo, exec_lo, s17
.LBB362_1547:                           ;   in Loop: Header=BB362_806 Depth=1
	s_delay_alu instid0(SALU_CYCLE_1)
	s_or_b32 exec_lo, exec_lo, s16
.LBB362_1548:                           ;   in Loop: Header=BB362_806 Depth=1
	s_delay_alu instid0(SALU_CYCLE_1) | instskip(SKIP_3) | instid1(VALU_DEP_2)
	s_or_b32 exec_lo, exec_lo, s15
	v_dual_lshrrev_b32 v18, 16, v0 :: v_dual_mov_b32 v50, 0
	v_mov_b32_e32 v30, 0
	s_mov_b32 s15, exec_lo
	v_and_b32_e32 v19, 0xff, v18
	s_delay_alu instid0(VALU_DEP_1)
	v_cmpx_ne_u16_e32 0, v19
	s_cbranch_execz .LBB362_1556
; %bb.1549:                             ;   in Loop: Header=BB362_806 Depth=1
	v_bfrev_b32_e32 v30, 1
	s_mov_b32 s16, exec_lo
	v_cmpx_ne_u16_e32 0x80, v19
	s_cbranch_execz .LBB362_1555
; %bb.1550:                             ;   in Loop: Header=BB362_806 Depth=1
	v_bfe_u32 v51, v0, 16, 7
	v_mov_b32_e32 v30, 0x7f800001
	s_mov_b32 s17, exec_lo
	s_delay_alu instid0(VALU_DEP_2)
	v_cmpx_ne_u32_e32 0x7f, v51
	s_cbranch_execz .LBB362_1554
; %bb.1551:                             ;   in Loop: Header=BB362_806 Depth=1
	v_dual_lshrrev_b32 v19, 3, v51 :: v_dual_bitop2_b32 v22, 7, v18 bitop3:0x40
	s_mov_b32 s18, exec_lo
	v_cmpx_gt_u32_e32 8, v51
; %bb.1552:                             ;   in Loop: Header=BB362_806 Depth=1
	s_delay_alu instid0(VALU_DEP_2) | instskip(NEXT) | instid1(VALU_DEP_1)
	v_clz_i32_u32_e32 v2, v22
	v_min_u32_e32 v2, 32, v2
	s_delay_alu instid0(VALU_DEP_1) | instskip(NEXT) | instid1(VALU_DEP_1)
	v_subrev_nc_u32_e32 v3, 28, v2
	v_lshlrev_b64_e32 v[52:53], v3, v[22:23]
	s_delay_alu instid0(VALU_DEP_1)
	v_dual_sub_nc_u32 v19, 29, v2 :: v_dual_bitop2_b32 v22, 7, v52 bitop3:0x40
; %bb.1553:                             ;   in Loop: Header=BB362_806 Depth=1
	s_or_b32 exec_lo, exec_lo, s18
	v_lshlrev_b32_e32 v2, 24, v18
	s_delay_alu instid0(VALU_DEP_2) | instskip(NEXT) | instid1(VALU_DEP_3)
	v_lshlrev_b32_e32 v3, 20, v22
	v_lshl_add_u32 v4, v19, 23, 0x3c000000
	s_delay_alu instid0(VALU_DEP_3) | instskip(NEXT) | instid1(VALU_DEP_1)
	v_and_b32_e32 v2, 0x80000000, v2
	v_or3_b32 v30, v3, v2, v4
.LBB362_1554:                           ;   in Loop: Header=BB362_806 Depth=1
	s_or_b32 exec_lo, exec_lo, s17
.LBB362_1555:                           ;   in Loop: Header=BB362_806 Depth=1
	s_delay_alu instid0(SALU_CYCLE_1)
	s_or_b32 exec_lo, exec_lo, s16
.LBB362_1556:                           ;   in Loop: Header=BB362_806 Depth=1
	s_delay_alu instid0(SALU_CYCLE_1) | instskip(NEXT) | instid1(SALU_CYCLE_1)
	s_or_b32 exec_lo, exec_lo, s15
	s_mov_b32 s15, exec_lo
	v_cmpx_lt_u32_e32 0xffffff, v0
	s_cbranch_execz .LBB362_1564
; %bb.1557:                             ;   in Loop: Header=BB362_806 Depth=1
	v_lshrrev_b32_e32 v18, 24, v0
	v_bfrev_b32_e32 v50, 1
	s_mov_b32 s16, exec_lo
	s_delay_alu instid0(VALU_DEP_2)
	v_cmpx_ne_u32_e32 0x80, v18
	s_cbranch_execz .LBB362_1563
; %bb.1558:                             ;   in Loop: Header=BB362_806 Depth=1
	v_bfe_u32 v51, v0, 24, 7
	v_mov_b32_e32 v50, 0x7f800001
	s_mov_b32 s17, exec_lo
	s_delay_alu instid0(VALU_DEP_2)
	v_cmpx_ne_u32_e32 0x7f, v51
	s_cbranch_execz .LBB362_1562
; %bb.1559:                             ;   in Loop: Header=BB362_806 Depth=1
	v_dual_lshrrev_b32 v19, 3, v51 :: v_dual_bitop2_b32 v22, 7, v18 bitop3:0x40
	s_mov_b32 s18, exec_lo
	v_cmpx_gt_u32_e32 8, v51
; %bb.1560:                             ;   in Loop: Header=BB362_806 Depth=1
	s_delay_alu instid0(VALU_DEP_2) | instskip(NEXT) | instid1(VALU_DEP_1)
	v_clz_i32_u32_e32 v2, v22
	v_min_u32_e32 v2, 32, v2
	s_delay_alu instid0(VALU_DEP_1) | instskip(SKIP_1) | instid1(VALU_DEP_2)
	v_subrev_nc_u32_e32 v3, 28, v2
	v_sub_nc_u32_e32 v19, 29, v2
	v_lshlrev_b64_e32 v[50:51], v3, v[22:23]
	s_delay_alu instid0(VALU_DEP_1)
	v_and_b32_e32 v22, 7, v50
; %bb.1561:                             ;   in Loop: Header=BB362_806 Depth=1
	s_or_b32 exec_lo, exec_lo, s18
	v_lshlrev_b32_e32 v2, 24, v18
	s_delay_alu instid0(VALU_DEP_2) | instskip(SKIP_1) | instid1(VALU_DEP_3)
	v_lshlrev_b32_e32 v3, 20, v22
	v_lshl_add_u32 v4, v19, 23, 0x3c000000
	v_and_b32_e32 v2, 0x80000000, v2
	s_delay_alu instid0(VALU_DEP_1)
	v_or3_b32 v50, v3, v2, v4
.LBB362_1562:                           ;   in Loop: Header=BB362_806 Depth=1
	s_or_b32 exec_lo, exec_lo, s17
.LBB362_1563:                           ;   in Loop: Header=BB362_806 Depth=1
	s_delay_alu instid0(SALU_CYCLE_1)
	s_or_b32 exec_lo, exec_lo, s16
.LBB362_1564:                           ;   in Loop: Header=BB362_806 Depth=1
	s_delay_alu instid0(SALU_CYCLE_1) | instskip(SKIP_4) | instid1(VALU_DEP_3)
	s_or_b32 exec_lo, exec_lo, s15
	v_and_b32_e32 v18, 0xff, v1
	v_dual_mov_b32 v22, v1 :: v_dual_mov_b32 v52, 0
	v_mov_b32_e32 v51, 0
	s_mov_b32 s15, exec_lo
	v_cmpx_ne_u16_e32 0, v18
	s_cbranch_execz .LBB362_1572
; %bb.1565:                             ;   in Loop: Header=BB362_806 Depth=1
	v_bfrev_b32_e32 v51, 1
	s_mov_b32 s16, exec_lo
	v_cmpx_ne_u16_e32 0x80, v18
	s_cbranch_execz .LBB362_1571
; %bb.1566:                             ;   in Loop: Header=BB362_806 Depth=1
	v_and_b32_e32 v18, 0x7f, v1
	v_mov_b32_e32 v51, 0x7f800001
	s_mov_b32 s17, exec_lo
	s_delay_alu instid0(VALU_DEP_2)
	v_cmpx_ne_u32_e32 0x7f, v18
	s_cbranch_execz .LBB362_1570
; %bb.1567:                             ;   in Loop: Header=BB362_806 Depth=1
	v_lshrrev_b32_e32 v51, 3, v18
	v_cmp_gt_u32_e64 s0, 8, v18
	v_mov_b64_e32 v[18:19], v[22:23]
	s_and_saveexec_b32 s18, s0
; %bb.1568:                             ;   in Loop: Header=BB362_806 Depth=1
	v_and_b32_e32 v2, 7, v1
	s_delay_alu instid0(VALU_DEP_1) | instskip(NEXT) | instid1(VALU_DEP_1)
	v_clz_i32_u32_e32 v2, v2
	v_min_u32_e32 v2, 32, v2
	s_delay_alu instid0(VALU_DEP_1) | instskip(SKIP_1) | instid1(VALU_DEP_2)
	v_subrev_nc_u32_e32 v3, 28, v2
	v_sub_nc_u32_e32 v51, 29, v2
	v_lshlrev_b64_e32 v[18:19], v3, v[22:23]
; %bb.1569:                             ;   in Loop: Header=BB362_806 Depth=1
	s_or_b32 exec_lo, exec_lo, s18
	s_delay_alu instid0(VALU_DEP_1) | instskip(SKIP_2) | instid1(VALU_DEP_3)
	v_lshlrev_b32_e32 v2, 20, v18
	v_lshlrev_b32_e32 v3, 24, v22
	v_lshl_add_u32 v4, v51, 23, 0x3c000000
	v_and_b32_e32 v2, 0x700000, v2
	s_delay_alu instid0(VALU_DEP_3) | instskip(NEXT) | instid1(VALU_DEP_1)
	v_and_b32_e32 v3, 0x80000000, v3
	v_or3_b32 v51, v2, v3, v4
.LBB362_1570:                           ;   in Loop: Header=BB362_806 Depth=1
	s_or_b32 exec_lo, exec_lo, s17
.LBB362_1571:                           ;   in Loop: Header=BB362_806 Depth=1
	s_delay_alu instid0(SALU_CYCLE_1)
	s_or_b32 exec_lo, exec_lo, s16
.LBB362_1572:                           ;   in Loop: Header=BB362_806 Depth=1
	s_delay_alu instid0(SALU_CYCLE_1) | instskip(SKIP_2) | instid1(VALU_DEP_1)
	s_or_b32 exec_lo, exec_lo, s15
	v_lshrrev_b16 v18, 8, v22
	s_mov_b32 s15, exec_lo
	v_cmpx_ne_u16_e32 0, v18
	s_cbranch_execz .LBB362_1580
; %bb.1573:                             ;   in Loop: Header=BB362_806 Depth=1
	v_bfrev_b32_e32 v52, 1
	s_mov_b32 s16, exec_lo
	v_cmpx_ne_u16_e32 0x80, v18
	s_cbranch_execz .LBB362_1579
; %bb.1574:                             ;   in Loop: Header=BB362_806 Depth=1
	v_and_b32_e32 v18, 0xffff, v18
	v_mov_b32_e32 v52, 0x7f800001
	s_mov_b32 s17, exec_lo
	s_delay_alu instid0(VALU_DEP_2) | instskip(NEXT) | instid1(VALU_DEP_1)
	v_and_b32_e32 v53, 0x7f, v18
	v_cmpx_ne_u32_e32 0x7f, v53
	s_cbranch_execz .LBB362_1578
; %bb.1575:                             ;   in Loop: Header=BB362_806 Depth=1
	v_dual_mov_b32 v19, v23 :: v_dual_bitop2_b32 v18, 7, v18 bitop3:0x40
	v_lshrrev_b32_e32 v52, 3, v53
	s_mov_b32 s18, exec_lo
	v_cmpx_gt_u32_e32 8, v53
; %bb.1576:                             ;   in Loop: Header=BB362_806 Depth=1
	s_delay_alu instid0(VALU_DEP_3) | instskip(NEXT) | instid1(VALU_DEP_1)
	v_clz_i32_u32_e32 v2, v18
	v_min_u32_e32 v2, 32, v2
	s_delay_alu instid0(VALU_DEP_1) | instskip(SKIP_1) | instid1(VALU_DEP_2)
	v_subrev_nc_u32_e32 v3, 28, v2
	v_sub_nc_u32_e32 v52, 29, v2
	v_lshlrev_b64_e32 v[18:19], v3, v[18:19]
	s_delay_alu instid0(VALU_DEP_1)
	v_and_b32_e32 v18, 7, v18
; %bb.1577:                             ;   in Loop: Header=BB362_806 Depth=1
	s_or_b32 exec_lo, exec_lo, s18
	v_lshlrev_b32_e32 v2, 16, v22
	s_delay_alu instid0(VALU_DEP_2) | instskip(SKIP_1) | instid1(VALU_DEP_3)
	v_lshlrev_b32_e32 v3, 20, v18
	v_lshl_add_u32 v4, v52, 23, 0x3c000000
	v_and_b32_e32 v2, 0x80000000, v2
	s_delay_alu instid0(VALU_DEP_1)
	v_or3_b32 v52, v3, v2, v4
.LBB362_1578:                           ;   in Loop: Header=BB362_806 Depth=1
	s_or_b32 exec_lo, exec_lo, s17
.LBB362_1579:                           ;   in Loop: Header=BB362_806 Depth=1
	s_delay_alu instid0(SALU_CYCLE_1)
	s_or_b32 exec_lo, exec_lo, s16
.LBB362_1580:                           ;   in Loop: Header=BB362_806 Depth=1
	s_delay_alu instid0(SALU_CYCLE_1) | instskip(SKIP_3) | instid1(VALU_DEP_2)
	s_or_b32 exec_lo, exec_lo, s15
	v_dual_mov_b32 v18, 0 :: v_dual_lshrrev_b32 v19, 16, v1
	v_mov_b32_e32 v53, 0
	s_mov_b32 s15, exec_lo
	v_and_b32_e32 v22, 0xff, v19
	s_delay_alu instid0(VALU_DEP_1)
	v_cmpx_ne_u16_e32 0, v22
	s_cbranch_execz .LBB362_1588
; %bb.1581:                             ;   in Loop: Header=BB362_806 Depth=1
	v_bfrev_b32_e32 v53, 1
	s_mov_b32 s16, exec_lo
	v_cmpx_ne_u16_e32 0x80, v22
	s_cbranch_execz .LBB362_1587
; %bb.1582:                             ;   in Loop: Header=BB362_806 Depth=1
	v_mov_b32_e32 v5, v54
	v_bfe_u32 v54, v1, 16, 7
	v_mov_b32_e32 v53, 0x7f800001
	s_mov_b32 s17, exec_lo
	s_delay_alu instid0(VALU_DEP_2)
	v_cmpx_ne_u32_e32 0x7f, v54
	s_cbranch_execz .LBB362_1586
; %bb.1583:                             ;   in Loop: Header=BB362_806 Depth=1
	v_dual_lshrrev_b32 v53, 3, v54 :: v_dual_bitop2_b32 v22, 7, v19 bitop3:0x40
	s_mov_b32 s18, exec_lo
	v_cmpx_gt_u32_e32 8, v54
; %bb.1584:                             ;   in Loop: Header=BB362_806 Depth=1
	s_delay_alu instid0(VALU_DEP_2) | instskip(NEXT) | instid1(VALU_DEP_1)
	v_clz_i32_u32_e32 v2, v22
	v_min_u32_e32 v4, 32, v2
	s_delay_alu instid0(VALU_DEP_1) | instskip(NEXT) | instid1(VALU_DEP_1)
	v_subrev_nc_u32_e32 v2, 28, v4
	v_lshlrev_b64_e32 v[2:3], v2, v[22:23]
	s_delay_alu instid0(VALU_DEP_1)
	v_dual_sub_nc_u32 v53, 29, v4 :: v_dual_bitop2_b32 v22, 7, v2 bitop3:0x40
; %bb.1585:                             ;   in Loop: Header=BB362_806 Depth=1
	s_or_b32 exec_lo, exec_lo, s18
	s_delay_alu instid0(VALU_DEP_1) | instskip(NEXT) | instid1(VALU_DEP_2)
	v_dual_lshlrev_b32 v2, 24, v19 :: v_dual_lshlrev_b32 v3, 20, v22
	v_lshl_add_u32 v4, v53, 23, 0x3c000000
	s_delay_alu instid0(VALU_DEP_2) | instskip(NEXT) | instid1(VALU_DEP_1)
	v_and_b32_e32 v2, 0x80000000, v2
	v_or3_b32 v53, v3, v2, v4
.LBB362_1586:                           ;   in Loop: Header=BB362_806 Depth=1
	s_or_b32 exec_lo, exec_lo, s17
	v_mov_b32_e32 v54, v5
.LBB362_1587:                           ;   in Loop: Header=BB362_806 Depth=1
	s_or_b32 exec_lo, exec_lo, s16
.LBB362_1588:                           ;   in Loop: Header=BB362_806 Depth=1
	s_delay_alu instid0(SALU_CYCLE_1) | instskip(NEXT) | instid1(SALU_CYCLE_1)
	s_or_b32 exec_lo, exec_lo, s15
	s_mov_b32 s15, exec_lo
	v_cmpx_lt_u64_e64 s[2:3], v[0:1]
	s_cbranch_execz .LBB362_1596
; %bb.1589:                             ;   in Loop: Header=BB362_806 Depth=1
	v_lshrrev_b32_e32 v0, 24, v1
	v_bfrev_b32_e32 v18, 1
	s_mov_b32 s16, exec_lo
	s_delay_alu instid0(VALU_DEP_2)
	v_cmpx_ne_u32_e32 0x80, v0
	s_cbranch_execz .LBB362_1595
; %bb.1590:                             ;   in Loop: Header=BB362_806 Depth=1
	v_bfe_u32 v19, v1, 24, 7
	v_mov_b32_e32 v18, 0x7f800001
	s_mov_b32 s17, exec_lo
	s_delay_alu instid0(VALU_DEP_2)
	v_cmpx_ne_u32_e32 0x7f, v19
	s_cbranch_execz .LBB362_1594
; %bb.1591:                             ;   in Loop: Header=BB362_806 Depth=1
	v_dual_lshrrev_b32 v1, 3, v19 :: v_dual_bitop2_b32 v22, 7, v0 bitop3:0x40
	s_mov_b32 s18, exec_lo
	v_cmpx_gt_u32_e32 8, v19
; %bb.1592:                             ;   in Loop: Header=BB362_806 Depth=1
	s_delay_alu instid0(VALU_DEP_2) | instskip(NEXT) | instid1(VALU_DEP_1)
	v_clz_i32_u32_e32 v1, v22
	v_min_u32_e32 v1, 32, v1
	s_delay_alu instid0(VALU_DEP_1) | instskip(NEXT) | instid1(VALU_DEP_1)
	v_subrev_nc_u32_e32 v2, 28, v1
	v_lshlrev_b64_e32 v[2:3], v2, v[22:23]
	s_delay_alu instid0(VALU_DEP_1)
	v_dual_sub_nc_u32 v1, 29, v1 :: v_dual_bitop2_b32 v22, 7, v2 bitop3:0x40
; %bb.1593:                             ;   in Loop: Header=BB362_806 Depth=1
	s_or_b32 exec_lo, exec_lo, s18
	s_delay_alu instid0(VALU_DEP_1) | instskip(NEXT) | instid1(VALU_DEP_2)
	v_dual_lshlrev_b32 v0, 24, v0 :: v_dual_lshlrev_b32 v2, 20, v22
	v_lshl_add_u32 v1, v1, 23, 0x3c000000
	s_delay_alu instid0(VALU_DEP_2) | instskip(NEXT) | instid1(VALU_DEP_1)
	v_and_b32_e32 v0, 0x80000000, v0
	v_or3_b32 v18, v2, v0, v1
.LBB362_1594:                           ;   in Loop: Header=BB362_806 Depth=1
	s_or_b32 exec_lo, exec_lo, s17
.LBB362_1595:                           ;   in Loop: Header=BB362_806 Depth=1
	s_delay_alu instid0(SALU_CYCLE_1)
	s_or_b32 exec_lo, exec_lo, s16
.LBB362_1596:                           ;   in Loop: Header=BB362_806 Depth=1
	s_delay_alu instid0(SALU_CYCLE_1)
	s_or_b32 exec_lo, exec_lo, s15
	v_fma_mixlo_bf16 v1, v35, v52, 0
	v_fma_mixlo_bf16 v19, v35, v51, 0
	;; [unrolled: 1-line block ×8, first 2 shown]
	s_and_saveexec_b32 s0, vcc_lo
	s_cbranch_execz .LBB362_805
; %bb.1597:                             ;   in Loop: Header=BB362_806 Depth=1
	v_cmp_lt_i32_e32 vcc_lo, v81, v118
	v_cndmask_b32_e32 v34, 0, v34, vcc_lo
	v_cmp_lt_i32_e32 vcc_lo, v85, v118
	v_cndmask_b32_e32 v31, 0, v31, vcc_lo
	;; [unrolled: 2-line block ×8, first 2 shown]
	s_branch .LBB362_805
.LBB362_1598:
	s_or_b32 exec_lo, exec_lo, s14
	s_clause 0x2
	scratch_load_b32 v30, off, s32 offset:276
	scratch_load_b32 v28, off, s32 offset:284
	;; [unrolled: 1-line block ×3, first 2 shown]
	v_mov_b64_e32 v[0:1], s[6:7]
.LBB362_1599:
	s_wait_xcnt 0x0
	s_or_b32 exec_lo, exec_lo, s1
	s_delay_alu instid0(VALU_DEP_1)
	v_lshl_add_u64 v[0:1], v[0:1], 2, s[8:9]
	s_wait_loadcnt 0x0
	s_wait_storecnt 0x0
	s_barrier_signal -1
	s_barrier_wait -1
	global_load_b32 v18, v[0:1], off
	s_wait_xcnt 0x0
	ds_bpermute_b32 v0, v28, v26
	ds_bpermute_b32 v1, v28, v27
	;; [unrolled: 1-line block ×12, first 2 shown]
	s_mov_b32 s0, exec_lo
	s_wait_dscnt 0xa
	v_pk_add_f32 v[0:1], v[26:27], v[0:1]
	s_wait_dscnt 0x8
	v_pk_add_f32 v[14:15], v[14:15], v[8:9]
	;; [unrolled: 2-line block ×3, first 2 shown]
	ds_bpermute_b32 v22, v30, v0
	ds_bpermute_b32 v23, v30, v1
	;; [unrolled: 1-line block ×4, first 2 shown]
	s_wait_dscnt 0x8
	v_pk_add_f32 v[4:5], v[20:21], v[4:5]
	s_wait_dscnt 0x6
	v_pk_add_f32 v[16:17], v[16:17], v[6:7]
	ds_bpermute_b32 v20, v30, v2
	ds_bpermute_b32 v21, v30, v3
	s_wait_dscnt 0x6
	v_pk_add_f32 v[10:11], v[12:13], v[10:11]
	ds_bpermute_b32 v24, v30, v4
	ds_bpermute_b32 v25, v30, v5
	;; [unrolled: 1-line block ×6, first 2 shown]
	s_wait_dscnt 0xa
	v_pk_add_f32 v[8:9], v[0:1], v[22:23]
	scratch_load_b32 v0, off, s32 offset:576 ; 4-byte Folded Reload
	s_wait_dscnt 0x6
	v_pk_add_f32 v[6:7], v[2:3], v[20:21]
	s_wait_dscnt 0x4
	v_pk_add_f32 v[4:5], v[4:5], v[24:25]
	;; [unrolled: 2-line block ×3, first 2 shown]
	s_wait_loadcnt 0x0
	v_and_b32_e32 v19, 0x3c3, v0
	v_pk_add_f32 v[0:1], v[14:15], v[28:29]
	scratch_load_b32 v14, off, s32 offset:572 ; 4-byte Folded Reload
	s_wait_loadcnt 0x0
	v_and_b32_e32 v14, 28, v14
	v_cmpx_ne_u32_e32 64, v19
	s_xor_b32 s0, exec_lo, s0
	s_delay_alu instid0(SALU_CYCLE_1)
	s_or_saveexec_b32 s0, s0
	s_wait_dscnt 0x0
	v_pk_add_f32 v[10:11], v[10:11], v[12:13]
	scratch_load_b32 v12, off, s32 offset:572 th:TH_LOAD_LU ; 4-byte Folded Reload
	v_add_nc_u32_e32 v13, v18, v14
	scratch_load_b32 v14, off, s32 offset:580 th:TH_LOAD_LU ; 4-byte Folded Reload
	s_wait_loadcnt 0x1
	v_lshrrev_b32_e32 v12, 2, v12
	s_wait_loadcnt 0x0
	v_mul_u32_u24_e32 v14, 0x180, v14
	s_xor_b32 exec_lo, exec_lo, s0
	s_cbranch_execz .LBB362_1601
; %bb.1600:
	s_delay_alu instid0(VALU_DEP_1) | instskip(NEXT) | instid1(VALU_DEP_1)
	v_add_nc_u32_e32 v15, v13, v14
	v_add_nc_u32_e32 v16, 0xfffffd00, v15
	;; [unrolled: 1-line block ×13, first 2 shown]
	ds_store_b32 v16, v8
	ds_store_b32 v17, v9
	ds_store_b32 v19, v6
	ds_store_b32 v20, v7
	ds_store_b32 v21, v4
	ds_store_b32 v22, v5
	ds_store_b32 v23, v2
	ds_store_b32 v24, v3
	ds_store_b32 v25, v0
	ds_store_b32 v26, v1
	ds_store_b32 v27, v10
	ds_store_b32 v15, v11
.LBB362_1601:
	s_or_b32 exec_lo, exec_lo, s0
	scratch_load_b32 v15, off, s32 offset:576 ; 4-byte Folded Reload
	v_lshlrev_b32_e32 v12, 2, v12
	s_mov_b32 s1, exec_lo
	v_cmp_eq_u32_e32 vcc_lo, 0, v31
	s_wait_loadcnt_dscnt 0x0
	s_barrier_signal -1
	v_add3_u32 v12, v18, v14, v12
	s_barrier_wait -1
	v_cmpx_gt_u32_e32 64, v15
	s_cbranch_execz .LBB362_1616
; %bb.1602:
	s_and_saveexec_b32 s0, vcc_lo
	s_cbranch_execnz .LBB362_1636
; %bb.1603:
	s_or_b32 exec_lo, exec_lo, s0
	s_and_saveexec_b32 s0, vcc_lo
	s_cbranch_execnz .LBB362_1637
.LBB362_1604:
	s_or_b32 exec_lo, exec_lo, s0
	s_and_saveexec_b32 s0, vcc_lo
	s_cbranch_execnz .LBB362_1638
.LBB362_1605:
	s_or_b32 exec_lo, exec_lo, s0
	s_and_saveexec_b32 s0, vcc_lo
	s_cbranch_execnz .LBB362_1639
.LBB362_1606:
	s_or_b32 exec_lo, exec_lo, s0
	s_and_saveexec_b32 s0, vcc_lo
	s_cbranch_execnz .LBB362_1640
.LBB362_1607:
	s_or_b32 exec_lo, exec_lo, s0
	s_and_saveexec_b32 s0, vcc_lo
	s_cbranch_execnz .LBB362_1641
.LBB362_1608:
	s_or_b32 exec_lo, exec_lo, s0
	s_and_saveexec_b32 s0, vcc_lo
	s_cbranch_execnz .LBB362_1642
.LBB362_1609:
	s_or_b32 exec_lo, exec_lo, s0
	s_and_saveexec_b32 s0, vcc_lo
	s_cbranch_execnz .LBB362_1643
.LBB362_1610:
	s_or_b32 exec_lo, exec_lo, s0
	s_and_saveexec_b32 s0, vcc_lo
	s_cbranch_execnz .LBB362_1644
.LBB362_1611:
	s_or_b32 exec_lo, exec_lo, s0
	s_and_saveexec_b32 s0, vcc_lo
	s_cbranch_execnz .LBB362_1645
.LBB362_1612:
	s_or_b32 exec_lo, exec_lo, s0
	s_and_saveexec_b32 s0, vcc_lo
	s_cbranch_execnz .LBB362_1646
.LBB362_1613:
	s_or_b32 exec_lo, exec_lo, s0
	s_and_saveexec_b32 s0, vcc_lo
	s_cbranch_execz .LBB362_1615
.LBB362_1614:
	ds_load_b32 v14, v12 offset:352
	s_wait_dscnt 0x0
	v_add_f32_e32 v11, v14, v11
.LBB362_1615:
	s_or_b32 exec_lo, exec_lo, s0
.LBB362_1616:
	s_delay_alu instid0(SALU_CYCLE_1) | instskip(SKIP_4) | instid1(VALU_DEP_1)
	s_or_b32 exec_lo, exec_lo, s1
	v_and_b32_e32 v14, 0x3e3, v15
	s_mov_b32 s1, exec_lo
	s_barrier_signal -1
	s_barrier_wait -1
	v_cmpx_eq_u32_e32 32, v14
	s_cbranch_execz .LBB362_1618
; %bb.1617:
	ds_store_2addr_b32 v13, v8, v9 offset1:8
	ds_store_2addr_b32 v13, v6, v7 offset0:16 offset1:24
	ds_store_2addr_b32 v13, v4, v5 offset0:32 offset1:40
	ds_store_2addr_b32 v13, v2, v3 offset0:48 offset1:56
	ds_store_2addr_b32 v13, v0, v1 offset0:64 offset1:72
	ds_store_2addr_b32 v13, v10, v11 offset0:80 offset1:88
.LBB362_1618:
	s_or_b32 exec_lo, exec_lo, s1
	s_delay_alu instid0(SALU_CYCLE_1)
	s_mov_b32 s1, exec_lo
	s_wait_dscnt 0x0
	s_barrier_signal -1
	s_barrier_wait -1
	v_cmpx_gt_u32_e32 32, v15
	s_cbranch_execz .LBB362_1633
; %bb.1619:
	s_and_saveexec_b32 s0, vcc_lo
	s_cbranch_execnz .LBB362_1647
; %bb.1620:
	s_or_b32 exec_lo, exec_lo, s0
	s_and_saveexec_b32 s0, vcc_lo
	s_cbranch_execnz .LBB362_1648
.LBB362_1621:
	s_or_b32 exec_lo, exec_lo, s0
	s_and_saveexec_b32 s0, vcc_lo
	s_cbranch_execnz .LBB362_1649
.LBB362_1622:
	s_or_b32 exec_lo, exec_lo, s0
	s_and_saveexec_b32 s0, vcc_lo
	s_cbranch_execnz .LBB362_1650
.LBB362_1623:
	s_or_b32 exec_lo, exec_lo, s0
	s_and_saveexec_b32 s0, vcc_lo
	s_cbranch_execnz .LBB362_1651
.LBB362_1624:
	s_or_b32 exec_lo, exec_lo, s0
	s_and_saveexec_b32 s0, vcc_lo
	s_cbranch_execnz .LBB362_1652
.LBB362_1625:
	s_or_b32 exec_lo, exec_lo, s0
	s_and_saveexec_b32 s0, vcc_lo
	s_cbranch_execnz .LBB362_1653
.LBB362_1626:
	s_or_b32 exec_lo, exec_lo, s0
	s_and_saveexec_b32 s0, vcc_lo
	s_cbranch_execnz .LBB362_1654
.LBB362_1627:
	s_or_b32 exec_lo, exec_lo, s0
	s_and_saveexec_b32 s0, vcc_lo
	s_cbranch_execnz .LBB362_1655
.LBB362_1628:
	s_or_b32 exec_lo, exec_lo, s0
	s_and_saveexec_b32 s0, vcc_lo
	s_cbranch_execnz .LBB362_1656
.LBB362_1629:
	s_or_b32 exec_lo, exec_lo, s0
	s_and_saveexec_b32 s0, vcc_lo
	s_cbranch_execnz .LBB362_1657
.LBB362_1630:
	s_or_b32 exec_lo, exec_lo, s0
	s_and_saveexec_b32 s0, vcc_lo
	s_cbranch_execz .LBB362_1632
.LBB362_1631:
	ds_load_b32 v12, v12 offset:352
	s_wait_dscnt 0x0
	v_add_f32_e32 v11, v12, v11
.LBB362_1632:
	s_or_b32 exec_lo, exec_lo, s0
.LBB362_1633:
	s_delay_alu instid0(SALU_CYCLE_1)
	s_or_b32 exec_lo, exec_lo, s1
	s_mov_b32 s1, 0
	s_mov_b32 s2, exec_lo
	s_barrier_signal -1
	s_barrier_wait -1
	v_cmpx_eq_u32_e32 0, v14
	s_cbranch_execz .LBB362_1635
; %bb.1634:
	scratch_load_b64 v[12:13], off, s32 offset:584 th:TH_LOAD_LU ; 8-byte Folded Reload
	s_and_b32 s0, 0xffff, s13
	v_dual_mov_b32 v15, 0 :: v_dual_lshrrev_b32 v14, 1, v15
	s_cmp_lg_u32 s0, 0
	s_cselect_b32 s0, -1, 0
	s_delay_alu instid0(SALU_CYCLE_1)
	s_cmp_lg_u32 s0, 0
	s_wait_kmcnt 0x0
	s_add_co_ci_u32 s0, s5, 0
	s_bfe_u32 s8, ttmp6, 0x40014
	s_mul_i32 s5, s0, s11
	s_lshr_b32 s3, ttmp7, 16
	s_mul_i32 s5, s5, s12
	s_add_co_i32 s8, s8, 1
	s_mul_i32 s6, s5, 0x60
	s_bfe_u32 s9, ttmp6, 0x40008
	s_ashr_i32 s7, s6, 31
	s_mul_i32 s4, s4, s0
	s_mul_i32 s0, s3, s8
	s_ashr_i32 s5, s4, 31
	s_add_co_i32 s9, s9, s0
	s_cmp_eq_u32 s10, 0
	s_cselect_b32 s0, s3, s9
	s_delay_alu instid0(SALU_CYCLE_1) | instskip(NEXT) | instid1(SALU_CYCLE_1)
	s_mulk_i32 s0, 0xc0
	v_cvt_pk_bf16_f32 v16, v4, s0
	v_cvt_pk_bf16_f32 v17, v5, s0
	;; [unrolled: 1-line block ×12, first 2 shown]
	s_wait_loadcnt 0x0
	v_lshl_add_u64 v[12:13], s[6:7], 1, v[12:13]
	s_delay_alu instid0(VALU_DEP_1) | instskip(NEXT) | instid1(VALU_DEP_1)
	v_lshl_add_u64 v[12:13], s[4:5], 1, v[12:13]
	v_add_nc_u64_e32 v[12:13], s[0:1], v[12:13]
	s_delay_alu instid0(VALU_DEP_1)
	v_add_nc_u64_e32 v[4:5], v[12:13], v[14:15]
	s_clause 0xb
	flat_store_b16 v[4:5], v8
	flat_store_b16 v[4:5], v9 offset:16
	flat_store_b16 v[4:5], v6 offset:32
	;; [unrolled: 1-line block ×11, first 2 shown]
.LBB362_1635:
	s_wait_xcnt 0x0
	s_or_b32 exec_lo, exec_lo, s2
	s_clause 0x2f
	scratch_load_b32 v127, off, s32
	scratch_load_b32 v126, off, s32 offset:4
	scratch_load_b32 v125, off, s32 offset:8
	;; [unrolled: 1-line block ×47, first 2 shown]
	s_wait_loadcnt_dscnt 0x0
	s_wait_kmcnt 0x0
	s_set_pc_i64 s[30:31]
.LBB362_1636:
	ds_load_b32 v14, v12
	s_wait_dscnt 0x0
	v_add_f32_e32 v8, v14, v8
	s_or_b32 exec_lo, exec_lo, s0
	s_and_saveexec_b32 s0, vcc_lo
	s_cbranch_execz .LBB362_1604
.LBB362_1637:
	ds_load_b32 v14, v12 offset:32
	s_wait_dscnt 0x0
	v_add_f32_e32 v9, v14, v9
	s_or_b32 exec_lo, exec_lo, s0
	s_and_saveexec_b32 s0, vcc_lo
	s_cbranch_execz .LBB362_1605
.LBB362_1638:
	ds_load_b32 v14, v12 offset:64
	s_wait_dscnt 0x0
	v_add_f32_e32 v6, v14, v6
	s_or_b32 exec_lo, exec_lo, s0
	s_and_saveexec_b32 s0, vcc_lo
	s_cbranch_execz .LBB362_1606
.LBB362_1639:
	ds_load_b32 v14, v12 offset:96
	s_wait_dscnt 0x0
	v_add_f32_e32 v7, v14, v7
	s_or_b32 exec_lo, exec_lo, s0
	s_and_saveexec_b32 s0, vcc_lo
	s_cbranch_execz .LBB362_1607
.LBB362_1640:
	ds_load_b32 v14, v12 offset:128
	s_wait_dscnt 0x0
	v_add_f32_e32 v4, v14, v4
	s_or_b32 exec_lo, exec_lo, s0
	s_and_saveexec_b32 s0, vcc_lo
	s_cbranch_execz .LBB362_1608
.LBB362_1641:
	ds_load_b32 v14, v12 offset:160
	s_wait_dscnt 0x0
	v_add_f32_e32 v5, v14, v5
	s_or_b32 exec_lo, exec_lo, s0
	s_and_saveexec_b32 s0, vcc_lo
	s_cbranch_execz .LBB362_1609
.LBB362_1642:
	ds_load_b32 v14, v12 offset:192
	s_wait_dscnt 0x0
	v_add_f32_e32 v2, v14, v2
	s_or_b32 exec_lo, exec_lo, s0
	s_and_saveexec_b32 s0, vcc_lo
	s_cbranch_execz .LBB362_1610
.LBB362_1643:
	ds_load_b32 v14, v12 offset:224
	s_wait_dscnt 0x0
	v_add_f32_e32 v3, v14, v3
	s_or_b32 exec_lo, exec_lo, s0
	s_and_saveexec_b32 s0, vcc_lo
	s_cbranch_execz .LBB362_1611
.LBB362_1644:
	ds_load_b32 v14, v12 offset:256
	s_wait_dscnt 0x0
	v_add_f32_e32 v0, v14, v0
	s_or_b32 exec_lo, exec_lo, s0
	s_and_saveexec_b32 s0, vcc_lo
	s_cbranch_execz .LBB362_1612
.LBB362_1645:
	ds_load_b32 v14, v12 offset:288
	s_wait_dscnt 0x0
	v_add_f32_e32 v1, v14, v1
	s_or_b32 exec_lo, exec_lo, s0
	s_and_saveexec_b32 s0, vcc_lo
	s_cbranch_execz .LBB362_1613
.LBB362_1646:
	ds_load_b32 v14, v12 offset:320
	s_wait_dscnt 0x0
	v_add_f32_e32 v10, v14, v10
	s_or_b32 exec_lo, exec_lo, s0
	s_and_saveexec_b32 s0, vcc_lo
	s_cbranch_execnz .LBB362_1614
	s_branch .LBB362_1615
.LBB362_1647:
	ds_load_b32 v13, v12
	s_wait_dscnt 0x0
	v_add_f32_e32 v8, v13, v8
	s_or_b32 exec_lo, exec_lo, s0
	s_and_saveexec_b32 s0, vcc_lo
	s_cbranch_execz .LBB362_1621
.LBB362_1648:
	ds_load_b32 v13, v12 offset:32
	s_wait_dscnt 0x0
	v_add_f32_e32 v9, v13, v9
	s_or_b32 exec_lo, exec_lo, s0
	s_and_saveexec_b32 s0, vcc_lo
	s_cbranch_execz .LBB362_1622
.LBB362_1649:
	ds_load_b32 v13, v12 offset:64
	s_wait_dscnt 0x0
	v_add_f32_e32 v6, v13, v6
	s_or_b32 exec_lo, exec_lo, s0
	s_and_saveexec_b32 s0, vcc_lo
	s_cbranch_execz .LBB362_1623
.LBB362_1650:
	ds_load_b32 v13, v12 offset:96
	s_wait_dscnt 0x0
	v_add_f32_e32 v7, v13, v7
	s_or_b32 exec_lo, exec_lo, s0
	s_and_saveexec_b32 s0, vcc_lo
	s_cbranch_execz .LBB362_1624
.LBB362_1651:
	ds_load_b32 v13, v12 offset:128
	s_wait_dscnt 0x0
	v_add_f32_e32 v4, v13, v4
	s_or_b32 exec_lo, exec_lo, s0
	s_and_saveexec_b32 s0, vcc_lo
	s_cbranch_execz .LBB362_1625
.LBB362_1652:
	ds_load_b32 v13, v12 offset:160
	s_wait_dscnt 0x0
	v_add_f32_e32 v5, v13, v5
	s_or_b32 exec_lo, exec_lo, s0
	s_and_saveexec_b32 s0, vcc_lo
	s_cbranch_execz .LBB362_1626
.LBB362_1653:
	ds_load_b32 v13, v12 offset:192
	s_wait_dscnt 0x0
	v_add_f32_e32 v2, v13, v2
	s_or_b32 exec_lo, exec_lo, s0
	s_and_saveexec_b32 s0, vcc_lo
	s_cbranch_execz .LBB362_1627
.LBB362_1654:
	ds_load_b32 v13, v12 offset:224
	s_wait_dscnt 0x0
	v_add_f32_e32 v3, v13, v3
	s_or_b32 exec_lo, exec_lo, s0
	s_and_saveexec_b32 s0, vcc_lo
	s_cbranch_execz .LBB362_1628
.LBB362_1655:
	ds_load_b32 v13, v12 offset:256
	s_wait_dscnt 0x0
	v_add_f32_e32 v0, v13, v0
	s_or_b32 exec_lo, exec_lo, s0
	s_and_saveexec_b32 s0, vcc_lo
	s_cbranch_execz .LBB362_1629
.LBB362_1656:
	ds_load_b32 v13, v12 offset:288
	s_wait_dscnt 0x0
	v_add_f32_e32 v1, v13, v1
	s_or_b32 exec_lo, exec_lo, s0
	s_and_saveexec_b32 s0, vcc_lo
	s_cbranch_execz .LBB362_1630
.LBB362_1657:
	ds_load_b32 v13, v12 offset:320
	s_wait_dscnt 0x0
	v_add_f32_e32 v10, v13, v10
	s_or_b32 exec_lo, exec_lo, s0
	s_and_saveexec_b32 s0, vcc_lo
	s_cbranch_execnz .LBB362_1631
	s_branch .LBB362_1632
.Lfunc_end362:
	.size	_ZN4vllm22paged_attention_kernelI14__hip_bfloat16hLi96ELi32ELi128ELNS_18Fp8KVCacheDataTypeE1ELb0ELi0EEEvPfS3_PT_PKS4_PKT0_SA_ifPKiSC_iPKfiiiSE_SE_iiiii, .Lfunc_end362-_ZN4vllm22paged_attention_kernelI14__hip_bfloat16hLi96ELi32ELi128ELNS_18Fp8KVCacheDataTypeE1ELb0ELi0EEEvPfS3_PT_PKS4_PKT0_SA_ifPKiSC_iPKfiiiSE_SE_iiiii
                                        ; -- End function
	.set .L_ZN4vllm22paged_attention_kernelI14__hip_bfloat16hLi96ELi32ELi128ELNS_18Fp8KVCacheDataTypeE1ELb0ELi0EEEvPfS3_PT_PKS4_PKT0_SA_ifPKiSC_iPKfiiiSE_SE_iiiii.num_vgpr, 128
	.set .L_ZN4vllm22paged_attention_kernelI14__hip_bfloat16hLi96ELi32ELi128ELNS_18Fp8KVCacheDataTypeE1ELb0ELi0EEEvPfS3_PT_PKS4_PKT0_SA_ifPKiSC_iPKfiiiSE_SE_iiiii.num_agpr, 0
	.set .L_ZN4vllm22paged_attention_kernelI14__hip_bfloat16hLi96ELi32ELi128ELNS_18Fp8KVCacheDataTypeE1ELb0ELi0EEEvPfS3_PT_PKS4_PKT0_SA_ifPKiSC_iPKfiiiSE_SE_iiiii.numbered_sgpr, 33
	.set .L_ZN4vllm22paged_attention_kernelI14__hip_bfloat16hLi96ELi32ELi128ELNS_18Fp8KVCacheDataTypeE1ELb0ELi0EEEvPfS3_PT_PKS4_PKT0_SA_ifPKiSC_iPKfiiiSE_SE_iiiii.num_named_barrier, 0
	.set .L_ZN4vllm22paged_attention_kernelI14__hip_bfloat16hLi96ELi32ELi128ELNS_18Fp8KVCacheDataTypeE1ELb0ELi0EEEvPfS3_PT_PKS4_PKT0_SA_ifPKiSC_iPKfiiiSE_SE_iiiii.private_seg_size, 644
	.set .L_ZN4vllm22paged_attention_kernelI14__hip_bfloat16hLi96ELi32ELi128ELNS_18Fp8KVCacheDataTypeE1ELb0ELi0EEEvPfS3_PT_PKS4_PKT0_SA_ifPKiSC_iPKfiiiSE_SE_iiiii.uses_vcc, 1
	.set .L_ZN4vllm22paged_attention_kernelI14__hip_bfloat16hLi96ELi32ELi128ELNS_18Fp8KVCacheDataTypeE1ELb0ELi0EEEvPfS3_PT_PKS4_PKT0_SA_ifPKiSC_iPKfiiiSE_SE_iiiii.uses_flat_scratch, 1
	.set .L_ZN4vllm22paged_attention_kernelI14__hip_bfloat16hLi96ELi32ELi128ELNS_18Fp8KVCacheDataTypeE1ELb0ELi0EEEvPfS3_PT_PKS4_PKT0_SA_ifPKiSC_iPKfiiiSE_SE_iiiii.has_dyn_sized_stack, 0
	.set .L_ZN4vllm22paged_attention_kernelI14__hip_bfloat16hLi96ELi32ELi128ELNS_18Fp8KVCacheDataTypeE1ELb0ELi0EEEvPfS3_PT_PKS4_PKT0_SA_ifPKiSC_iPKfiiiSE_SE_iiiii.has_recursion, 0
	.set .L_ZN4vllm22paged_attention_kernelI14__hip_bfloat16hLi96ELi32ELi128ELNS_18Fp8KVCacheDataTypeE1ELb0ELi0EEEvPfS3_PT_PKS4_PKT0_SA_ifPKiSC_iPKfiiiSE_SE_iiiii.has_indirect_call, 0
	.section	.AMDGPU.csdata,"",@progbits
; Function info:
; codeLenInByte = 58612
; TotalNumSgprs: 35
; NumVgprs: 128
; ScratchSize: 644
; MemoryBound: 0
	.section	.text._ZN4vllm25paged_attention_v1_kernelI14__hip_bfloat16hLi96ELi32ELi128ELNS_18Fp8KVCacheDataTypeE1ELb0EEEvPT_PKS3_PKT0_S9_ifPKiSB_iPKfiiiSD_SD_iiiii,"axG",@progbits,_ZN4vllm25paged_attention_v1_kernelI14__hip_bfloat16hLi96ELi32ELi128ELNS_18Fp8KVCacheDataTypeE1ELb0EEEvPT_PKS3_PKT0_S9_ifPKiSB_iPKfiiiSD_SD_iiiii,comdat
	.protected	_ZN4vllm25paged_attention_v1_kernelI14__hip_bfloat16hLi96ELi32ELi128ELNS_18Fp8KVCacheDataTypeE1ELb0EEEvPT_PKS3_PKT0_S9_ifPKiSB_iPKfiiiSD_SD_iiiii ; -- Begin function _ZN4vllm25paged_attention_v1_kernelI14__hip_bfloat16hLi96ELi32ELi128ELNS_18Fp8KVCacheDataTypeE1ELb0EEEvPT_PKS3_PKT0_S9_ifPKiSB_iPKfiiiSD_SD_iiiii
	.globl	_ZN4vllm25paged_attention_v1_kernelI14__hip_bfloat16hLi96ELi32ELi128ELNS_18Fp8KVCacheDataTypeE1ELb0EEEvPT_PKS3_PKT0_S9_ifPKiSB_iPKfiiiSD_SD_iiiii
	.p2align	8
	.type	_ZN4vllm25paged_attention_v1_kernelI14__hip_bfloat16hLi96ELi32ELi128ELNS_18Fp8KVCacheDataTypeE1ELb0EEEvPT_PKS3_PKT0_S9_ifPKiSB_iPKfiiiSD_SD_iiiii,@function
_ZN4vllm25paged_attention_v1_kernelI14__hip_bfloat16hLi96ELi32ELi128ELNS_18Fp8KVCacheDataTypeE1ELb0EEEvPT_PKS3_PKT0_S9_ifPKiSB_iPKfiiiSD_SD_iiiii: ; @_ZN4vllm25paged_attention_v1_kernelI14__hip_bfloat16hLi96ELi32ELi128ELNS_18Fp8KVCacheDataTypeE1ELb0EEEvPT_PKS3_PKT0_S9_ifPKiSB_iPKfiiiSD_SD_iiiii
; %bb.0:
	s_clause 0x5
	s_load_b256 s[12:19], s[0:1], 0x0
	s_load_b128 s[4:7], s[0:1], 0x20
	s_load_b96 s[20:22], s[0:1], 0x30
	s_load_b64 s[10:11], s[0:1], 0x40
	s_load_b96 s[28:30], s[0:1], 0x48
	s_load_b128 s[24:27], s[0:1], 0x58
	v_mov_b32_e32 v31, v0
	s_get_pc_i64 s[2:3]
	s_add_nc_u64 s[2:3], s[2:3], _ZN4vllm22paged_attention_kernelI14__hip_bfloat16hLi96ELi32ELi128ELNS_18Fp8KVCacheDataTypeE1ELb0ELi0EEEvPfS3_PT_PKS4_PKT0_SA_ifPKiSC_iPKfiiiSE_SE_iiiii@rel64+4
	s_add_nc_u64 s[8:9], s[0:1], 0x80
	s_mov_b32 s32, 0
	s_wait_kmcnt 0x0
	v_dual_mov_b32 v0, s12 :: v_dual_mov_b32 v1, s13
	v_dual_mov_b32 v2, s14 :: v_dual_mov_b32 v3, s15
	;; [unrolled: 1-line block ×12, first 2 shown]
	s_mov_b32 s15, 14
	s_swap_pc_i64 s[30:31], s[2:3]
	s_endpgm
	.section	.rodata,"a",@progbits
	.p2align	6, 0x0
	.amdhsa_kernel _ZN4vllm25paged_attention_v1_kernelI14__hip_bfloat16hLi96ELi32ELi128ELNS_18Fp8KVCacheDataTypeE1ELb0EEEvPT_PKS3_PKT0_S9_ifPKiSB_iPKfiiiSD_SD_iiiii
		.amdhsa_group_segment_fixed_size 224
		.amdhsa_private_segment_fixed_size 644
		.amdhsa_kernarg_size 384
		.amdhsa_user_sgpr_count 2
		.amdhsa_user_sgpr_dispatch_ptr 0
		.amdhsa_user_sgpr_queue_ptr 0
		.amdhsa_user_sgpr_kernarg_segment_ptr 1
		.amdhsa_user_sgpr_dispatch_id 0
		.amdhsa_user_sgpr_kernarg_preload_length 0
		.amdhsa_user_sgpr_kernarg_preload_offset 0
		.amdhsa_user_sgpr_private_segment_size 0
		.amdhsa_wavefront_size32 1
		.amdhsa_uses_dynamic_stack 0
		.amdhsa_enable_private_segment 1
		.amdhsa_system_sgpr_workgroup_id_x 1
		.amdhsa_system_sgpr_workgroup_id_y 1
		.amdhsa_system_sgpr_workgroup_id_z 1
		.amdhsa_system_sgpr_workgroup_info 0
		.amdhsa_system_vgpr_workitem_id 0
		.amdhsa_next_free_vgpr 128
		.amdhsa_next_free_sgpr 33
		.amdhsa_named_barrier_count 0
		.amdhsa_reserve_vcc 1
		.amdhsa_float_round_mode_32 0
		.amdhsa_float_round_mode_16_64 0
		.amdhsa_float_denorm_mode_32 3
		.amdhsa_float_denorm_mode_16_64 3
		.amdhsa_fp16_overflow 0
		.amdhsa_memory_ordered 1
		.amdhsa_forward_progress 1
		.amdhsa_inst_pref_size 2
		.amdhsa_round_robin_scheduling 0
		.amdhsa_exception_fp_ieee_invalid_op 0
		.amdhsa_exception_fp_denorm_src 0
		.amdhsa_exception_fp_ieee_div_zero 0
		.amdhsa_exception_fp_ieee_overflow 0
		.amdhsa_exception_fp_ieee_underflow 0
		.amdhsa_exception_fp_ieee_inexact 0
		.amdhsa_exception_int_div_zero 0
	.end_amdhsa_kernel
	.section	.text._ZN4vllm25paged_attention_v1_kernelI14__hip_bfloat16hLi96ELi32ELi128ELNS_18Fp8KVCacheDataTypeE1ELb0EEEvPT_PKS3_PKT0_S9_ifPKiSB_iPKfiiiSD_SD_iiiii,"axG",@progbits,_ZN4vllm25paged_attention_v1_kernelI14__hip_bfloat16hLi96ELi32ELi128ELNS_18Fp8KVCacheDataTypeE1ELb0EEEvPT_PKS3_PKT0_S9_ifPKiSB_iPKfiiiSD_SD_iiiii,comdat
.Lfunc_end363:
	.size	_ZN4vllm25paged_attention_v1_kernelI14__hip_bfloat16hLi96ELi32ELi128ELNS_18Fp8KVCacheDataTypeE1ELb0EEEvPT_PKS3_PKT0_S9_ifPKiSB_iPKfiiiSD_SD_iiiii, .Lfunc_end363-_ZN4vllm25paged_attention_v1_kernelI14__hip_bfloat16hLi96ELi32ELi128ELNS_18Fp8KVCacheDataTypeE1ELb0EEEvPT_PKS3_PKT0_S9_ifPKiSB_iPKfiiiSD_SD_iiiii
                                        ; -- End function
	.set _ZN4vllm25paged_attention_v1_kernelI14__hip_bfloat16hLi96ELi32ELi128ELNS_18Fp8KVCacheDataTypeE1ELb0EEEvPT_PKS3_PKT0_S9_ifPKiSB_iPKfiiiSD_SD_iiiii.num_vgpr, max(32, .L_ZN4vllm22paged_attention_kernelI14__hip_bfloat16hLi96ELi32ELi128ELNS_18Fp8KVCacheDataTypeE1ELb0ELi0EEEvPfS3_PT_PKS4_PKT0_SA_ifPKiSC_iPKfiiiSE_SE_iiiii.num_vgpr)
	.set _ZN4vllm25paged_attention_v1_kernelI14__hip_bfloat16hLi96ELi32ELi128ELNS_18Fp8KVCacheDataTypeE1ELb0EEEvPT_PKS3_PKT0_S9_ifPKiSB_iPKfiiiSD_SD_iiiii.num_agpr, max(0, .L_ZN4vllm22paged_attention_kernelI14__hip_bfloat16hLi96ELi32ELi128ELNS_18Fp8KVCacheDataTypeE1ELb0ELi0EEEvPfS3_PT_PKS4_PKT0_SA_ifPKiSC_iPKfiiiSE_SE_iiiii.num_agpr)
	.set _ZN4vllm25paged_attention_v1_kernelI14__hip_bfloat16hLi96ELi32ELi128ELNS_18Fp8KVCacheDataTypeE1ELb0EEEvPT_PKS3_PKT0_S9_ifPKiSB_iPKfiiiSD_SD_iiiii.numbered_sgpr, max(33, .L_ZN4vllm22paged_attention_kernelI14__hip_bfloat16hLi96ELi32ELi128ELNS_18Fp8KVCacheDataTypeE1ELb0ELi0EEEvPfS3_PT_PKS4_PKT0_SA_ifPKiSC_iPKfiiiSE_SE_iiiii.numbered_sgpr)
	.set _ZN4vllm25paged_attention_v1_kernelI14__hip_bfloat16hLi96ELi32ELi128ELNS_18Fp8KVCacheDataTypeE1ELb0EEEvPT_PKS3_PKT0_S9_ifPKiSB_iPKfiiiSD_SD_iiiii.num_named_barrier, max(0, .L_ZN4vllm22paged_attention_kernelI14__hip_bfloat16hLi96ELi32ELi128ELNS_18Fp8KVCacheDataTypeE1ELb0ELi0EEEvPfS3_PT_PKS4_PKT0_SA_ifPKiSC_iPKfiiiSE_SE_iiiii.num_named_barrier)
	.set _ZN4vllm25paged_attention_v1_kernelI14__hip_bfloat16hLi96ELi32ELi128ELNS_18Fp8KVCacheDataTypeE1ELb0EEEvPT_PKS3_PKT0_S9_ifPKiSB_iPKfiiiSD_SD_iiiii.private_seg_size, 0+max(.L_ZN4vllm22paged_attention_kernelI14__hip_bfloat16hLi96ELi32ELi128ELNS_18Fp8KVCacheDataTypeE1ELb0ELi0EEEvPfS3_PT_PKS4_PKT0_SA_ifPKiSC_iPKfiiiSE_SE_iiiii.private_seg_size)
	.set _ZN4vllm25paged_attention_v1_kernelI14__hip_bfloat16hLi96ELi32ELi128ELNS_18Fp8KVCacheDataTypeE1ELb0EEEvPT_PKS3_PKT0_S9_ifPKiSB_iPKfiiiSD_SD_iiiii.uses_vcc, or(1, .L_ZN4vllm22paged_attention_kernelI14__hip_bfloat16hLi96ELi32ELi128ELNS_18Fp8KVCacheDataTypeE1ELb0ELi0EEEvPfS3_PT_PKS4_PKT0_SA_ifPKiSC_iPKfiiiSE_SE_iiiii.uses_vcc)
	.set _ZN4vllm25paged_attention_v1_kernelI14__hip_bfloat16hLi96ELi32ELi128ELNS_18Fp8KVCacheDataTypeE1ELb0EEEvPT_PKS3_PKT0_S9_ifPKiSB_iPKfiiiSD_SD_iiiii.uses_flat_scratch, or(0, .L_ZN4vllm22paged_attention_kernelI14__hip_bfloat16hLi96ELi32ELi128ELNS_18Fp8KVCacheDataTypeE1ELb0ELi0EEEvPfS3_PT_PKS4_PKT0_SA_ifPKiSC_iPKfiiiSE_SE_iiiii.uses_flat_scratch)
	.set _ZN4vllm25paged_attention_v1_kernelI14__hip_bfloat16hLi96ELi32ELi128ELNS_18Fp8KVCacheDataTypeE1ELb0EEEvPT_PKS3_PKT0_S9_ifPKiSB_iPKfiiiSD_SD_iiiii.has_dyn_sized_stack, or(0, .L_ZN4vllm22paged_attention_kernelI14__hip_bfloat16hLi96ELi32ELi128ELNS_18Fp8KVCacheDataTypeE1ELb0ELi0EEEvPfS3_PT_PKS4_PKT0_SA_ifPKiSC_iPKfiiiSE_SE_iiiii.has_dyn_sized_stack)
	.set _ZN4vllm25paged_attention_v1_kernelI14__hip_bfloat16hLi96ELi32ELi128ELNS_18Fp8KVCacheDataTypeE1ELb0EEEvPT_PKS3_PKT0_S9_ifPKiSB_iPKfiiiSD_SD_iiiii.has_recursion, or(0, .L_ZN4vllm22paged_attention_kernelI14__hip_bfloat16hLi96ELi32ELi128ELNS_18Fp8KVCacheDataTypeE1ELb0ELi0EEEvPfS3_PT_PKS4_PKT0_SA_ifPKiSC_iPKfiiiSE_SE_iiiii.has_recursion)
	.set _ZN4vllm25paged_attention_v1_kernelI14__hip_bfloat16hLi96ELi32ELi128ELNS_18Fp8KVCacheDataTypeE1ELb0EEEvPT_PKS3_PKT0_S9_ifPKiSB_iPKfiiiSD_SD_iiiii.has_indirect_call, or(0, .L_ZN4vllm22paged_attention_kernelI14__hip_bfloat16hLi96ELi32ELi128ELNS_18Fp8KVCacheDataTypeE1ELb0ELi0EEEvPfS3_PT_PKS4_PKT0_SA_ifPKiSC_iPKfiiiSE_SE_iiiii.has_indirect_call)
	.section	.AMDGPU.csdata,"",@progbits
; Kernel info:
; codeLenInByte = 196
; TotalNumSgprs: 35
; NumVgprs: 128
; ScratchSize: 644
; MemoryBound: 0
; FloatMode: 240
; IeeeMode: 1
; LDSByteSize: 224 bytes/workgroup (compile time only)
; SGPRBlocks: 0
; VGPRBlocks: 7
; NumSGPRsForWavesPerEU: 35
; NumVGPRsForWavesPerEU: 128
; NamedBarCnt: 0
; Occupancy: 8
; WaveLimiterHint : 1
; COMPUTE_PGM_RSRC2:SCRATCH_EN: 1
; COMPUTE_PGM_RSRC2:USER_SGPR: 2
; COMPUTE_PGM_RSRC2:TRAP_HANDLER: 0
; COMPUTE_PGM_RSRC2:TGID_X_EN: 1
; COMPUTE_PGM_RSRC2:TGID_Y_EN: 1
; COMPUTE_PGM_RSRC2:TGID_Z_EN: 1
; COMPUTE_PGM_RSRC2:TIDIG_COMP_CNT: 0
	.text
	.p2align	2                               ; -- Begin function _ZN4vllm22paged_attention_kernelI14__hip_bfloat16hLi112ELi32ELi128ELNS_18Fp8KVCacheDataTypeE1ELb0ELi0EEEvPfS3_PT_PKS4_PKT0_SA_ifPKiSC_iPKfiiiSE_SE_iiiii
	.type	_ZN4vllm22paged_attention_kernelI14__hip_bfloat16hLi112ELi32ELi128ELNS_18Fp8KVCacheDataTypeE1ELb0ELi0EEEvPfS3_PT_PKS4_PKT0_SA_ifPKiSC_iPKfiiiSE_SE_iiiii,@function
_ZN4vllm22paged_attention_kernelI14__hip_bfloat16hLi112ELi32ELi128ELNS_18Fp8KVCacheDataTypeE1ELb0ELi0EEEvPfS3_PT_PKS4_PKT0_SA_ifPKiSC_iPKfiiiSE_SE_iiiii: ; @_ZN4vllm22paged_attention_kernelI14__hip_bfloat16hLi112ELi32ELi128ELNS_18Fp8KVCacheDataTypeE1ELb0ELi0EEEvPfS3_PT_PKS4_PKT0_SA_ifPKiSC_iPKfiiiSE_SE_iiiii
; %bb.0:
	s_wait_loadcnt_dscnt 0x0
	s_wait_kmcnt 0x0
	s_clause 0x2f
	scratch_store_b32 off, v40, s32 offset:188
	; meta instruction
	scratch_store_b32 off, v41, s32 offset:184
	; meta instruction
	;; [unrolled: 2-line block ×47, first 2 shown]
	scratch_store_b32 off, v127, s32
	s_bfe_u32 s0, ttmp6, 0x4000c
	s_bfe_u32 s2, ttmp6, 0x40010
	s_add_co_i32 s0, s0, 1
	s_and_b32 s1, ttmp6, 15
	s_mul_i32 s0, ttmp9, s0
	s_and_b32 s3, ttmp7, 0xffff
	s_add_co_i32 s2, s2, 1
	s_add_co_i32 s0, s1, s0
	s_mul_i32 s1, s3, s2
	s_bfe_u32 s2, ttmp6, 0x40004
	s_getreg_b32 s10, hwreg(HW_REG_IB_STS2, 6, 4)
	s_add_co_i32 s2, s2, s1
	s_cmp_eq_u32 s10, 0
	s_mov_b32 s1, 0
	s_cselect_b32 s11, s3, s2
	s_cselect_b32 s2, ttmp9, s0
	s_lshl_b32 s0, s11, 2
	v_dual_mov_b32 v33, v7 :: v_dual_mov_b32 v32, v6
	v_add_nc_u64_e32 v[6:7], s[0:1], v[12:13]
	s_clause 0x3
	scratch_store_b64 off, v[20:21], s32 offset:208
	scratch_store_b64 off, v[18:19], s32 offset:364
	scratch_store_b32 off, v9, s32 offset:216
	scratch_store_b64 off, v[0:1], s32 offset:712
	s_wait_xcnt 0x0
	v_mov_b32_e32 v1, 0
	s_clause 0x1
	s_load_u16 s0, s[8:9], 0x12
	s_load_b32 s3, s[8:9], 0x0
	v_dual_mov_b32 v25, v16 :: v_dual_mov_b32 v24, v15
	flat_load_b32 v106, v[6:7]
	s_wait_xcnt 0x0
	v_sub_nc_u32_e32 v6, 0, v8
	global_load_u16 v0, v1, s[8:9] offset:22
	s_mov_b32 s6, s15
	s_mov_b32 s4, exec_lo
	v_max_i32_e32 v6, v8, v6
	s_delay_alu instid0(VALU_DEP_1) | instskip(NEXT) | instid1(VALU_DEP_1)
	v_cvt_f32_u32_e32 v7, v6
	v_rcp_iflag_f32_e32 v7, v7
	s_wait_kmcnt 0x0
	s_cmp_lg_u32 s0, 0
	s_cselect_b32 s0, -1, 0
	s_delay_alu instid0(SALU_CYCLE_1) | instskip(SKIP_1) | instid1(TRANS32_DEP_1)
	s_cmp_lg_u32 s0, 0
	v_nop
	v_mul_f32_e32 v7, 0x4f7ffffe, v7
	v_sub_nc_u32_e32 v9, 0, v6
	s_add_co_ci_u32 s12, s3, 0
	s_delay_alu instid0(SALU_CYCLE_1) | instskip(NEXT) | instid1(VALU_DEP_2)
	s_abs_i32 s0, s12
	v_cvt_u32_f32_e32 v7, v7
	s_delay_alu instid0(VALU_DEP_1) | instskip(NEXT) | instid1(VALU_DEP_1)
	v_mul_lo_u32 v9, v9, v7
	v_mul_hi_u32 v9, v7, v9
	s_delay_alu instid0(VALU_DEP_1) | instskip(NEXT) | instid1(VALU_DEP_1)
	v_add_nc_u32_e32 v7, v7, v9
	v_mul_hi_u32 v7, s0, v7
	s_delay_alu instid0(VALU_DEP_1) | instskip(NEXT) | instid1(VALU_DEP_1)
	v_mul_lo_u32 v9, v7, v6
	v_dual_add_nc_u32 v12, 1, v7 :: v_dual_sub_nc_u32 v9, s0, v9
	s_abs_i32 s0, s2
	s_delay_alu instid0(VALU_DEP_1) | instskip(NEXT) | instid1(VALU_DEP_2)
	v_cmp_ge_u32_e32 vcc_lo, v9, v6
	v_dual_sub_nc_u32 v13, v9, v6 :: v_dual_cndmask_b32 v7, v7, v12, vcc_lo
	s_delay_alu instid0(VALU_DEP_1) | instskip(NEXT) | instid1(VALU_DEP_1)
	v_dual_cndmask_b32 v9, v9, v13, vcc_lo :: v_dual_bitop2_b32 v8, s12, v8 bitop3:0x14
	v_dual_add_nc_u32 v12, 1, v7 :: v_dual_ashrrev_i32 v8, 31, v8
	s_delay_alu instid0(VALU_DEP_2) | instskip(NEXT) | instid1(VALU_DEP_2)
	v_cmp_ge_u32_e32 vcc_lo, v9, v6
	v_cndmask_b32_e32 v6, v7, v12, vcc_lo
	s_delay_alu instid0(VALU_DEP_1) | instskip(NEXT) | instid1(VALU_DEP_1)
	v_xor_b32_e32 v6, v6, v8
	v_sub_nc_u32_e32 v7, v6, v8
	s_delay_alu instid0(VALU_DEP_1) | instskip(NEXT) | instid1(VALU_DEP_1)
	v_sub_nc_u32_e32 v6, 0, v7
	v_max_i32_e32 v6, v7, v6
	s_delay_alu instid0(VALU_DEP_1) | instskip(SKIP_1) | instid1(VALU_DEP_2)
	v_cvt_f32_u32_e32 v8, v6
	v_sub_nc_u32_e32 v9, 0, v6
	v_rcp_iflag_f32_e32 v8, v8
	v_nop
	s_delay_alu instid0(TRANS32_DEP_1) | instskip(NEXT) | instid1(VALU_DEP_1)
	v_mul_f32_e32 v8, 0x4f7ffffe, v8
	v_cvt_u32_f32_e32 v8, v8
	s_delay_alu instid0(VALU_DEP_1) | instskip(NEXT) | instid1(VALU_DEP_1)
	v_mul_lo_u32 v9, v9, v8
	v_mul_hi_u32 v9, v8, v9
	s_wait_loadcnt 0x0
	v_readfirstlane_b32 s13, v0
	s_delay_alu instid0(VALU_DEP_2)
	v_dual_add_nc_u32 v0, v8, v9 :: v_dual_mov_b32 v8, v1
	scratch_store_b32 off, v8, s32 offset:204 ; 4-byte Folded Spill
	s_wait_xcnt 0x0
	v_cmpx_ne_u64_e32 0, v[24:25]
	s_cbranch_execz .LBB364_2
; %bb.1:
	s_ashr_i32 s3, s2, 31
	s_delay_alu instid0(SALU_CYCLE_1)
	v_lshl_add_u64 v[8:9], s[2:3], 2, v[24:25]
	flat_load_b32 v8, v[8:9]
	s_wait_loadcnt_dscnt 0x0
	scratch_store_b32 off, v8, s32 offset:204 ; 4-byte Folded Spill
.LBB364_2:
	s_wait_xcnt 0x0
	s_or_b32 exec_lo, exec_lo, s4
	v_mul_u64_e32 v[0:1], s[0:1], v[0:1]
	v_and_b32_e32 v24, 0x3ff, v31
	v_ashrrev_i32_e32 v0, 31, v7
	s_ashr_i32 s1, s2, 31
	s_mul_i32 s4, s2, 0x70
	s_mov_b32 s2, exec_lo
	v_cmpx_gt_u32_e32 14, v24
	s_cbranch_execz .LBB364_4
; %bb.3:
	v_mul_lo_u32 v8, v17, s11
	s_ashr_i32 s5, s4, 31
	v_dual_mov_b32 v13, 0 :: v_dual_lshlrev_b32 v12, 4, v24
	s_delay_alu instid0(VALU_DEP_2) | instskip(NEXT) | instid1(VALU_DEP_1)
	v_ashrrev_i32_e32 v9, 31, v8
	v_lshl_add_u64 v[2:3], v[8:9], 1, v[2:3]
	s_delay_alu instid0(VALU_DEP_1) | instskip(NEXT) | instid1(VALU_DEP_1)
	v_lshl_add_u64 v[2:3], s[4:5], 1, v[2:3]
	v_add_nc_u64_e32 v[2:3], v[2:3], v[12:13]
	flat_load_b128 v[26:29], v[2:3]
	s_wait_loadcnt_dscnt 0x0
	ds_store_b128 v12, v[26:29]
.LBB364_4:
	s_wait_xcnt 0x0
	s_or_b32 exec_lo, exec_lo, s2
	s_delay_alu instid0(VALU_DEP_4)
	v_mul_lo_u32 v2, v1, v6
	s_load_b32 s5, s[8:9], 0x8
	v_mul_lo_u32 v34, v14, s11
	v_mov_b32_e32 v9, 0xff7fffff
	s_wait_xcnt 0x0
	s_get_pc_i64 s[8:9]
	s_add_nc_u64 s[8:9], s[8:9], llvm.amdgcn.dynlds.offset.table@rel64+4
	v_dual_add_nc_u32 v3, 1, v1 :: v_dual_bitop2_b32 v0, s1, v0 bitop3:0x14
	s_delay_alu instid0(VALU_DEP_4) | instskip(NEXT) | instid1(VALU_DEP_1)
	v_dual_lshrrev_b32 v39, 3, v24 :: v_dual_sub_nc_u32 v2, s0, v2
	v_cmp_ge_u32_e32 vcc_lo, v2, v6
	s_delay_alu instid0(VALU_DEP_3) | instskip(SKIP_1) | instid1(VALU_DEP_1)
	v_dual_sub_nc_u32 v7, v2, v6 :: v_dual_cndmask_b32 v1, v1, v3, vcc_lo
	s_wait_dscnt 0x0
	v_dual_cndmask_b32 v2, v2, v7 :: v_dual_add_nc_u32 v7, 31, v106
	s_delay_alu instid0(VALU_DEP_2) | instskip(NEXT) | instid1(VALU_DEP_2)
	v_add_nc_u32_e32 v3, 1, v1
	v_cmp_ge_u32_e32 vcc_lo, v2, v6
	s_delay_alu instid0(VALU_DEP_3) | instskip(NEXT) | instid1(VALU_DEP_1)
	v_ashrrev_i32_e32 v2, 31, v7
	v_dual_cndmask_b32 v1, v1, v3 :: v_dual_lshrrev_b32 v2, 27, v2
	s_delay_alu instid0(VALU_DEP_1) | instskip(NEXT) | instid1(VALU_DEP_1)
	v_xor_b32_e32 v1, v1, v0
	v_dual_sub_nc_u32 v0, v1, v0 :: v_dual_add_nc_u32 v1, v7, v2
	v_and_b32_e32 v2, 31, v24
	s_delay_alu instid0(VALU_DEP_2) | instskip(NEXT) | instid1(VALU_DEP_3)
	v_mul_lo_u32 v48, v0, v19
	v_dual_lshrrev_b32 v0, 5, v24 :: v_dual_ashrrev_i32 v1, 5, v1
	v_ashrrev_i32_e32 v35, 31, v34
	s_delay_alu instid0(VALU_DEP_4)
	v_lshlrev_b32_e32 v37, 2, v2
	s_clause 0x1
	scratch_store_b32 off, v0, s32 offset:704
	scratch_store_b32 off, v1, s32 offset:192
	v_cmp_ge_i32_e64 s0, v0, v1
	v_cmp_lt_i32_e32 vcc_lo, v0, v1
	scratch_store_b32 off, v2, s32 offset:700 ; 4-byte Folded Spill
	s_wait_storecnt 0x0
	v_ashrrev_i32_e32 v49, 31, v48
	s_barrier_signal -1
	s_barrier_wait -1
	s_wait_xcnt 0x0
	s_mov_b32 s14, exec_lo
	s_delay_alu instid0(SALU_CYCLE_1)
	s_and_b32 s1, s14, vcc_lo
	scratch_store_b32 off, v24, s32 offset:708 ; 4-byte Folded Spill
	s_wait_xcnt 0x0
	s_mov_b32 exec_lo, s1
	s_cbranch_execz .LBB364_904
; %bb.5:
	v_mov_b32_e32 v17, 0
	s_clause 0x1
	scratch_store_b64 off, v[32:33], s32 offset:736
	scratch_store_b64 off, v[22:23], s32 offset:728
	s_ashr_i32 s7, s6, 31
	ds_load_b128 v[0:3], v17
	ds_load_b128 v[6:9], v17 offset:16
	ds_load_b128 v[18:21], v17 offset:32
	;; [unrolled: 1-line block ×4, first 2 shown]
	s_lshl_b64 s[2:3], s[6:7], 2
	s_mov_b32 s7, 0
	s_add_nc_u64 s[2:3], s[8:9], s[2:3]
	scratch_store_b64 off, v[48:49], s32 offset:752 ; 8-byte Folded Spill
	s_load_b32 s1, s[2:3], 0x0
	s_wait_xcnt 0x0
	s_mov_b64 s[2:3], 0xffffffffffffff
	s_wait_dscnt 0x4
	v_and_b32_e32 v23, 0xffff0000, v0
	v_dual_lshlrev_b32 v22, 16, v0 :: v_dual_lshlrev_b32 v0, 16, v2
	ds_load_b128 v[24:27], v17 offset:80
	scratch_store_b64 off, v[22:23], s32 offset:220 ; 8-byte Folded Spill
	s_wait_xcnt 0x0
	v_and_b32_e32 v23, 0xffff0000, v1
	v_lshlrev_b32_e32 v22, 16, v1
	v_and_b32_e32 v1, 0xffff0000, v2
	s_clause 0x1
	scratch_store_b64 off, v[22:23], s32 offset:228
	scratch_store_b64 off, v[0:1], s32 offset:236
	s_wait_xcnt 0x0
	v_and_b32_e32 v1, 0xffff0000, v3
	v_lshlrev_b32_e32 v0, 16, v3
	scratch_store_b64 off, v[0:1], s32 offset:244 ; 8-byte Folded Spill
	s_wait_dscnt 0x4
	s_wait_xcnt 0x0
	v_and_b32_e32 v1, 0xffff0000, v6
	s_wait_dscnt 0x2
	v_dual_lshlrev_b32 v0, 16, v6 :: v_dual_lshlrev_b32 v6, 16, v15
	scratch_store_b64 off, v[0:1], s32 offset:252 ; 8-byte Folded Spill
	s_wait_xcnt 0x0
	v_and_b32_e32 v1, 0xffff0000, v7
	v_lshlrev_b32_e32 v0, 16, v7
	v_and_b32_e32 v7, 0xffff0000, v15
	s_clause 0x1
	scratch_store_b64 off, v[0:1], s32 offset:260
	scratch_store_b64 off, v[6:7], s32 offset:340
	s_wait_xcnt 0x1
	v_and_b32_e32 v1, 0xffff0000, v8
	v_lshlrev_b32_e32 v0, 16, v8
	s_wait_dscnt 0x1
	s_wait_xcnt 0x0
	v_and_b32_e32 v7, 0xffff0000, v28
	v_lshlrev_b32_e32 v6, 16, v28
	scratch_store_b64 off, v[0:1], s32 offset:268 ; 8-byte Folded Spill
	s_wait_xcnt 0x0
	v_and_b32_e32 v1, 0xffff0000, v9
	v_lshlrev_b32_e32 v0, 16, v9
	scratch_store_b64 off, v[6:7], s32 offset:348 ; 8-byte Folded Spill
	;; [unrolled: 4-line block ×8, first 2 shown]
	s_wait_xcnt 0x0
	v_and_b32_e32 v1, 0xffff0000, v12
	v_dual_lshlrev_b32 v0, 16, v12 :: v_dual_lshlrev_b32 v12, 16, v31
	scratch_store_b64 off, v[0:1], s32 offset:316 ; 8-byte Folded Spill
	s_wait_xcnt 0x0
	v_and_b32_e32 v1, 0xffff0000, v13
	v_lshlrev_b32_e32 v0, 16, v13
	v_and_b32_e32 v13, 0xffff0000, v31
	scratch_store_b64 off, v[0:1], s32 offset:324 ; 8-byte Folded Spill
	s_wait_xcnt 0x0
	v_and_b32_e32 v1, 0xffff0000, v14
	v_lshlrev_b32_e32 v0, 16, v14
	scratch_store_b64 off, v[0:1], s32 offset:332 ; 8-byte Folded Spill
	s_wait_xcnt 0x0
	ds_load_b128 v[0:3], v17 offset:96
	s_wait_dscnt 0x1
	v_and_b32_e32 v19, 0xffff0000, v27
	v_lshlrev_b32_e32 v18, 16, v27
	scratch_store_b64 off, v[12:13], s32 offset:388 ; 8-byte Folded Spill
	s_wait_xcnt 0x0
	v_and_b32_e32 v13, 0xffff0000, v24
	v_lshlrev_b32_e32 v12, 16, v24
	scratch_store_b64 off, v[6:7], s32 offset:372 ; 8-byte Folded Spill
	s_wait_xcnt 0x0
	ds_load_b128 v[6:9], v17 offset:112
	scratch_store_b64 off, v[18:19], s32 offset:428 ; 8-byte Folded Spill
	s_wait_dscnt 0x1
	s_wait_xcnt 0x0
	v_and_b32_e32 v19, 0xffff0000, v0
	v_dual_lshlrev_b32 v18, 16, v0 :: v_dual_lshlrev_b32 v0, 16, v2
	scratch_store_b64 off, v[12:13], s32 offset:404 ; 8-byte Folded Spill
	s_wait_xcnt 0x0
	v_and_b32_e32 v13, 0xffff0000, v25
	v_lshlrev_b32_e32 v12, 16, v25
	scratch_store_b64 off, v[18:19], s32 offset:436 ; 8-byte Folded Spill
	s_wait_xcnt 0x0
	v_and_b32_e32 v19, 0xffff0000, v1
	v_lshlrev_b32_e32 v18, 16, v1
	v_and_b32_e32 v1, 0xffff0000, v2
	scratch_store_b64 off, v[12:13], s32 offset:412 ; 8-byte Folded Spill
	s_wait_xcnt 0x0
	v_and_b32_e32 v13, 0xffff0000, v26
	v_lshlrev_b32_e32 v12, 16, v26
	scratch_store_b64 off, v[0:1], s32 offset:452 ; 8-byte Folded Spill
	s_wait_xcnt 0x0
	v_and_b32_e32 v1, 0xffff0000, v3
	scratch_store_b64 off, v[12:13], s32 offset:420 ; 8-byte Folded Spill
	s_wait_xcnt 0x0
	ds_load_b128 v[12:15], v17 offset:128
	v_lshlrev_b32_e32 v0, 16, v3
	scratch_store_b64 off, v[18:19], s32 offset:444 ; 8-byte Folded Spill
	s_wait_xcnt 0x0
	ds_load_b128 v[18:21], v17 offset:144
	scratch_store_b64 off, v[0:1], s32 offset:460 ; 8-byte Folded Spill
	s_wait_dscnt 0x2
	s_wait_xcnt 0x0
	v_and_b32_e32 v1, 0xffff0000, v6
	v_dual_lshlrev_b32 v0, 16, v6 :: v_dual_lshlrev_b32 v6, 16, v9
	scratch_store_b64 off, v[0:1], s32 offset:468 ; 8-byte Folded Spill
	s_wait_xcnt 0x0
	v_and_b32_e32 v1, 0xffff0000, v7
	v_lshlrev_b32_e32 v0, 16, v7
	v_and_b32_e32 v7, 0xffff0000, v9
	s_clause 0x1
	scratch_store_b64 off, v[0:1], s32 offset:476
	scratch_store_b64 off, v[6:7], s32 offset:492
	s_wait_xcnt 0x1
	v_and_b32_e32 v1, 0xffff0000, v8
	v_lshlrev_b32_e32 v0, 16, v8
	s_wait_dscnt 0x1
	s_wait_xcnt 0x0
	v_and_b32_e32 v7, 0xffff0000, v12
	v_dual_lshlrev_b32 v6, 16, v12 :: v_dual_lshlrev_b32 v12, 16, v15
	scratch_store_b64 off, v[0:1], s32 offset:484 ; 8-byte Folded Spill
	s_wait_xcnt 0x0
	ds_load_b128 v[0:3], v17 offset:160
	scratch_store_b64 off, v[6:7], s32 offset:500 ; 8-byte Folded Spill
	s_wait_xcnt 0x0
	v_and_b32_e32 v7, 0xffff0000, v13
	v_lshlrev_b32_e32 v6, 16, v13
	v_and_b32_e32 v13, 0xffff0000, v15
	s_clause 0x1
	scratch_store_b64 off, v[6:7], s32 offset:508
	scratch_store_b64 off, v[12:13], s32 offset:524
	s_wait_xcnt 0x1
	v_and_b32_e32 v7, 0xffff0000, v14
	v_lshlrev_b32_e32 v6, 16, v14
	s_wait_dscnt 0x1
	s_wait_xcnt 0x0
	v_and_b32_e32 v13, 0xffff0000, v18
	v_dual_lshlrev_b32 v12, 16, v18 :: v_dual_lshlrev_b32 v18, 16, v21
	scratch_store_b64 off, v[6:7], s32 offset:516 ; 8-byte Folded Spill
	s_wait_xcnt 0x0
	ds_load_b128 v[6:9], v17 offset:176
	;; [unrolled: 18-line block ×3, first 2 shown]
	scratch_store_b64 off, v[18:19], s32 offset:564 ; 8-byte Folded Spill
	s_wait_xcnt 0x0
	v_and_b32_e32 v19, 0xffff0000, v1
	v_lshlrev_b32_e32 v18, 16, v1
	v_and_b32_e32 v1, 0xffff0000, v2
	s_clause 0x2
	scratch_load_b32 v2, off, s32 offset:700
	scratch_store_b64 off, v[18:19], s32 offset:572
	scratch_store_b64 off, v[0:1], s32 offset:580
	s_wait_xcnt 0x0
	v_and_b32_e32 v1, 0xffff0000, v3
	v_lshlrev_b32_e32 v0, 16, v3
	ds_load_b128 v[18:21], v17 offset:208
	s_wait_loadcnt 0x0
	v_lshlrev_b32_e32 v16, 4, v2
	scratch_store_b64 off, v[0:1], s32 offset:588 ; 8-byte Folded Spill
	s_wait_dscnt 0x2
	s_wait_xcnt 0x0
	v_and_b32_e32 v1, 0xffff0000, v6
	v_lshlrev_b32_e32 v0, 16, v6
	scratch_store_b64 off, v[0:1], s32 offset:596 ; 8-byte Folded Spill
	s_wait_xcnt 0x0
	v_and_b32_e32 v1, 0xffff0000, v7
	v_lshlrev_b32_e32 v0, 16, v7
	scratch_store_b64 off, v[0:1], s32 offset:604 ; 8-byte Folded Spill
	;; [unrolled: 4-line block ×3, first 2 shown]
	s_wait_xcnt 0x0
	v_and_b32_e32 v1, 0xffff0000, v9
	v_dual_mov_b32 v9, 0xff7fffff :: v_dual_lshlrev_b32 v0, 16, v9
	scratch_store_b64 off, v[0:1], s32 offset:620 ; 8-byte Folded Spill
	s_wait_dscnt 0x1
	s_wait_xcnt 0x0
	v_and_b32_e32 v1, 0xffff0000, v12
	v_lshlrev_b32_e32 v0, 16, v12
	scratch_store_b64 off, v[0:1], s32 offset:628 ; 8-byte Folded Spill
	s_wait_xcnt 0x0
	v_and_b32_e32 v1, 0xffff0000, v13
	v_lshlrev_b32_e32 v0, 16, v13
	scratch_store_b64 off, v[0:1], s32 offset:636 ; 8-byte Folded Spill
	s_wait_xcnt 0x0
	v_and_b32_e32 v1, 0xffff0000, v14
	v_lshlrev_b32_e32 v0, 16, v14
	scratch_store_b64 off, v[0:1], s32 offset:644 ; 8-byte Folded Spill
	s_wait_xcnt 0x0
	v_and_b32_e32 v1, 0xffff0000, v15
	v_lshlrev_b32_e32 v0, 16, v15
	scratch_store_b64 off, v[0:1], s32 offset:652 ; 8-byte Folded Spill
	s_wait_dscnt 0x0
	s_wait_xcnt 0x0
	v_and_b32_e32 v1, 0xffff0000, v18
	v_lshlrev_b32_e32 v0, 16, v18
	scratch_store_b64 off, v[0:1], s32 offset:660 ; 8-byte Folded Spill
	s_wait_xcnt 0x0
	v_and_b32_e32 v1, 0xffff0000, v19
	v_lshlrev_b32_e32 v0, 16, v19
	scratch_store_b64 off, v[0:1], s32 offset:668 ; 8-byte Folded Spill
	;; [unrolled: 4-line block ×4, first 2 shown]
	s_wait_xcnt 0x0
	v_add_nc_u64_e32 v[0:1], v[4:5], v[48:49]
	s_delay_alu instid0(VALU_DEP_1)
	v_add_nc_u64_e32 v[0:1], v[0:1], v[16:17]
	s_clause 0x3
	scratch_store_b64 off, v[0:1], s32 offset:692
	scratch_store_b32 off, v39, s32 offset:760
	scratch_load_b32 v0, off, s32 offset:204
	scratch_load_b32 v110, off, s32 offset:704
	v_and_b32_e32 v16, 0x7c, v39
	s_clause 0x2
	scratch_store_b64 off, v[34:35], s32 offset:744
	scratch_store_b64 off, v[10:11], s32 offset:720
	scratch_store_b32 off, v37, s32 offset:764
	s_wait_loadcnt 0x1
	v_cmp_neq_f32_e32 vcc_lo, 0, v0
	v_lshl_add_u64 v[0:1], v[34:35], 2, v[16:17]
	s_wait_loadcnt 0x0
	v_lshl_or_b32 v109, v110, 5, v2
	s_delay_alu instid0(VALU_DEP_2) | instskip(SKIP_2) | instid1(VALU_DEP_1)
	v_add_nc_u64_e32 v[4:5], v[10:11], v[0:1]
	v_lshl_or_b32 v0, v110, 7, v37
	s_wait_kmcnt 0x0
	v_add_nc_u32_e32 v108, s1, v0
	s_branch .LBB364_10
.LBB364_6:                              ;   in Loop: Header=BB364_10 Depth=1
	s_or_b32 exec_lo, exec_lo, s18
	s_delay_alu instid0(VALU_DEP_1) | instskip(NEXT) | instid1(VALU_DEP_2)
	v_dual_lshlrev_b32 v6, 24, v21 :: v_dual_lshlrev_b32 v7, 20, v16
	v_lshl_add_u32 v16, v90, 23, 0x3c000000
	s_delay_alu instid0(VALU_DEP_2) | instskip(NEXT) | instid1(VALU_DEP_1)
	v_and_b32_e32 v6, 0x80000000, v6
	v_or3_b32 v95, v7, v6, v16
.LBB364_7:                              ;   in Loop: Header=BB364_10 Depth=1
	s_or_b32 exec_lo, exec_lo, s17
.LBB364_8:                              ;   in Loop: Header=BB364_10 Depth=1
	s_delay_alu instid0(SALU_CYCLE_1)
	s_or_b32 exec_lo, exec_lo, s16
.LBB364_9:                              ;   in Loop: Header=BB364_10 Depth=1
	s_delay_alu instid0(SALU_CYCLE_1)
	s_or_b32 exec_lo, exec_lo, s15
	v_pk_mul_f32 v[90:91], v[8:9], v[72:73] op_sel_hi:[0,1]
	v_pk_mul_f32 v[72:73], v[8:9], v[88:89] op_sel_hi:[0,1]
	;; [unrolled: 1-line block ×18, first 2 shown]
	v_fma_mixlo_bf16 v80, v8, v122, 0
	v_fma_mixlo_bf16 v83, v8, v123, 0
	v_pk_mul_f32 v[122:123], v[8:9], v[52:53] op_sel_hi:[0,1]
	v_pk_mul_f32 v[52:53], v[8:9], v[66:67] op_sel_hi:[0,1]
	;; [unrolled: 1-line block ×8, first 2 shown]
	v_cvt_pk_bf16_f32 v38, v48, v49
	scratch_load_b64 v[48:49], off, s32 offset:252 ; 8-byte Folded Reload
	v_pk_mul_f32 v[74:75], v[8:9], v[74:75] op_sel_hi:[0,1]
	v_pk_mul_f32 v[60:61], v[8:9], v[60:61] op_sel_hi:[0,1]
	;; [unrolled: 1-line block ×13, first 2 shown]
	v_fma_mixlo_bf16 v16, v8, v23, 0
	v_fma_mixlo_bf16 v23, v8, v0, 0
	;; [unrolled: 1-line block ×14, first 2 shown]
	v_pk_mul_f32 v[64:65], v[8:9], v[64:65] op_sel_hi:[0,1]
	v_pk_mul_f32 v[54:55], v[8:9], v[54:55] op_sel_hi:[0,1]
	;; [unrolled: 1-line block ×9, first 2 shown]
	v_cvt_pk_bf16_f32 v8, v34, v35
	v_and_b32_e32 v39, 0xffff0000, v38
	v_lshlrev_b32_e32 v38, 16, v38
	v_cmp_lt_i32_e64 s1, v109, v106
	v_lshlrev_b32_e32 v2, 16, v2
	v_and_b32_e32 v35, 0xffff0000, v8
	v_lshlrev_b32_e32 v34, 16, v8
	v_cvt_pk_bf16_f32 v8, v124, v125
	v_dual_lshlrev_b32 v3, 16, v3 :: v_dual_lshlrev_b32 v1, 16, v1
	v_dual_lshlrev_b32 v0, 16, v0 :: v_dual_add_nc_u32 v110, 4, v110
	s_wait_loadcnt 0x0
	v_pk_mul_f32 v[34:35], v[48:49], v[34:35]
	scratch_load_b64 v[48:49], off, s32 offset:220 ; 8-byte Folded Reload
	s_wait_loadcnt 0x0
	v_pk_fma_f32 v[48:49], v[48:49], v[38:39], v[34:35]
	scratch_load_b64 v[38:39], off, s32 offset:260 ; 8-byte Folded Reload
	v_cvt_pk_bf16_f32 v34, v32, v33
	v_and_b32_e32 v33, 0xffff0000, v8
	v_lshlrev_b32_e32 v32, 16, v8
	v_cvt_pk_bf16_f32 v8, v66, v67
	scratch_load_b64 v[66:67], off, s32 offset:268 ; 8-byte Folded Reload
	v_and_b32_e32 v35, 0xffff0000, v34
	v_lshlrev_b32_e32 v34, 16, v34
	s_wait_loadcnt 0x1
	v_pk_mul_f32 v[32:33], v[38:39], v[32:33]
	scratch_load_b64 v[38:39], off, s32 offset:228 ; 8-byte Folded Reload
	s_wait_loadcnt 0x0
	v_pk_fma_f32 v[38:39], v[38:39], v[34:35], v[32:33]
	v_cvt_pk_bf16_f32 v34, v126, v127
	v_and_b32_e32 v33, 0xffff0000, v8
	v_lshlrev_b32_e32 v32, 16, v8
	v_cvt_pk_bf16_f32 v8, v50, v51
	scratch_load_b64 v[50:51], off, s32 offset:276 ; 8-byte Folded Reload
	v_and_b32_e32 v35, 0xffff0000, v34
	v_lshlrev_b32_e32 v34, 16, v34
	v_pk_mul_f32 v[32:33], v[66:67], v[32:33]
	scratch_load_b64 v[66:67], off, s32 offset:236 ; 8-byte Folded Reload
	s_wait_loadcnt 0x0
	v_pk_fma_f32 v[34:35], v[66:67], v[34:35], v[32:33]
	v_cvt_pk_bf16_f32 v32, v6, v7
	v_and_b32_e32 v7, 0xffff0000, v8
	v_lshlrev_b32_e32 v6, 16, v8
	v_cvt_pk_bf16_f32 v8, v68, v69
	s_delay_alu instid0(VALU_DEP_4) | instskip(SKIP_1) | instid1(VALU_DEP_4)
	v_and_b32_e32 v33, 0xffff0000, v32
	v_lshlrev_b32_e32 v32, 16, v32
	v_pk_mul_f32 v[6:7], v[50:51], v[6:7]
	scratch_load_b64 v[50:51], off, s32 offset:244 ; 8-byte Folded Reload
	s_wait_loadcnt 0x0
	v_pk_fma_f32 v[32:33], v[50:51], v[32:33], v[6:7]
	v_cvt_pk_bf16_f32 v6, v122, v123
	s_delay_alu instid0(VALU_DEP_1)
	v_and_b32_e32 v51, 0xffff0000, v6
	v_lshlrev_b32_e32 v50, 16, v6
	scratch_load_b64 v[6:7], off, s32 offset:284 ; 8-byte Folded Reload
	s_wait_loadcnt 0x0
	v_pk_fma_f32 v[6:7], v[6:7], v[50:51], v[48:49]
	scratch_load_b64 v[50:51], off, s32 offset:316 ; 8-byte Folded Reload
	v_lshlrev_b32_e32 v48, 16, v20
	v_lshlrev_b32_e32 v49, 16, v120
	s_wait_loadcnt 0x0
	s_delay_alu instid0(VALU_DEP_1) | instskip(SKIP_4) | instid1(VALU_DEP_1)
	v_pk_fma_f32 v[6:7], v[48:49], v[50:51], v[6:7]
	v_lshlrev_b32_e32 v48, 16, v21
	scratch_load_b64 v[20:21], off, s32 offset:348 ; 8-byte Folded Reload
	v_lshlrev_b32_e32 v49, 16, v111
	s_wait_loadcnt 0x0
	v_pk_fma_f32 v[6:7], v[20:21], v[48:49], v[6:7]
	scratch_load_b64 v[48:49], off, s32 offset:404 ; 8-byte Folded Reload
	v_and_b32_e32 v21, 0xffff0000, v8
	v_lshlrev_b32_e32 v20, 16, v8
	v_cvt_pk_bf16_f32 v8, v84, v85
	s_wait_loadcnt 0x0
	s_delay_alu instid0(VALU_DEP_2)
	v_pk_fma_f32 v[6:7], v[48:49], v[20:21], v[6:7]
	scratch_load_b64 v[48:49], off, s32 offset:436 ; 8-byte Folded Reload
	v_and_b32_e32 v21, 0xffff0000, v8
	v_lshlrev_b32_e32 v20, 16, v8
	v_cvt_pk_bf16_f32 v8, v96, v97
	s_wait_loadcnt 0x0
	s_delay_alu instid0(VALU_DEP_2)
	;; [unrolled: 7-line block ×7, first 2 shown]
	v_pk_fma_f32 v[6:7], v[48:49], v[20:21], v[6:7]
	scratch_load_b64 v[48:49], off, s32 offset:628 ; 8-byte Folded Reload
	v_and_b32_e32 v21, 0xffff0000, v8
	v_lshlrev_b32_e32 v20, 16, v8
	v_cvt_pk_bf16_f32 v8, v36, v37
	scratch_load_b64 v[36:37], off, s32 offset:660 ; 8-byte Folded Reload
	s_wait_loadcnt 0x1
	v_pk_fma_f32 v[6:7], v[48:49], v[20:21], v[6:7]
	v_and_b32_e32 v21, 0xffff0000, v8
	v_lshlrev_b32_e32 v20, 16, v8
	v_cvt_pk_bf16_f32 v8, v70, v71
	s_wait_loadcnt 0x0
	s_delay_alu instid0(VALU_DEP_2) | instskip(SKIP_2) | instid1(VALU_DEP_1)
	v_pk_fma_f32 v[36:37], v[36:37], v[20:21], v[6:7]
	scratch_load_b64 v[20:21], off, s32 offset:292 ; 8-byte Folded Reload
	v_cvt_pk_bf16_f32 v6, v54, v55
	v_and_b32_e32 v7, 0xffff0000, v6
	v_lshlrev_b32_e32 v6, 16, v6
	s_wait_loadcnt 0x0
	s_delay_alu instid0(VALU_DEP_1) | instskip(SKIP_4) | instid1(VALU_DEP_1)
	v_pk_fma_f32 v[6:7], v[20:21], v[6:7], v[38:39]
	scratch_load_b64 v[38:39], off, s32 offset:324 ; 8-byte Folded Reload
	v_lshlrev_b32_e32 v20, 16, v107
	v_lshlrev_b32_e32 v21, 16, v83
	s_wait_loadcnt 0x0
	v_pk_fma_f32 v[6:7], v[20:21], v[38:39], v[6:7]
	scratch_load_b64 v[38:39], off, s32 offset:356 ; 8-byte Folded Reload
	v_dual_lshlrev_b32 v21, 16, v81 :: v_dual_lshlrev_b32 v20, 16, v82
	s_wait_loadcnt 0x0
	s_delay_alu instid0(VALU_DEP_1)
	v_pk_fma_f32 v[6:7], v[38:39], v[20:21], v[6:7]
	scratch_load_b64 v[38:39], off, s32 offset:412 ; 8-byte Folded Reload
	v_and_b32_e32 v21, 0xffff0000, v8
	v_lshlrev_b32_e32 v20, 16, v8
	v_cvt_pk_bf16_f32 v8, v86, v87
	s_wait_loadcnt 0x0
	s_delay_alu instid0(VALU_DEP_2)
	v_pk_fma_f32 v[6:7], v[38:39], v[20:21], v[6:7]
	scratch_load_b64 v[38:39], off, s32 offset:444 ; 8-byte Folded Reload
	v_and_b32_e32 v21, 0xffff0000, v8
	v_lshlrev_b32_e32 v20, 16, v8
	v_cvt_pk_bf16_f32 v8, v100, v101
	s_wait_loadcnt 0x0
	s_delay_alu instid0(VALU_DEP_2)
	;; [unrolled: 7-line block ×6, first 2 shown]
	v_pk_fma_f32 v[6:7], v[38:39], v[20:21], v[6:7]
	scratch_load_b64 v[38:39], off, s32 offset:604 ; 8-byte Folded Reload
	v_and_b32_e32 v21, 0xffff0000, v8
	v_lshlrev_b32_e32 v20, 16, v8
	v_cvt_pk_bf16_f32 v8, v74, v75
	s_wait_loadcnt 0x0
	s_delay_alu instid0(VALU_DEP_2) | instskip(SKIP_4) | instid1(VALU_DEP_1)
	v_pk_fma_f32 v[6:7], v[38:39], v[20:21], v[6:7]
	scratch_load_b64 v[38:39], off, s32 offset:636 ; 8-byte Folded Reload
	v_and_b32_e32 v21, 0xffff0000, v8
	v_lshlrev_b32_e32 v20, 16, v8
	v_cvt_pk_bf16_f32 v8, v18, v19
	v_and_b32_e32 v19, 0xffff0000, v8
	v_lshlrev_b32_e32 v18, 16, v8
	v_cvt_pk_bf16_f32 v8, v64, v65
	s_wait_loadcnt 0x0
	v_pk_fma_f32 v[6:7], v[38:39], v[20:21], v[6:7]
	scratch_load_b64 v[20:21], off, s32 offset:668 ; 8-byte Folded Reload
	s_wait_loadcnt 0x0
	v_pk_fma_f32 v[6:7], v[20:21], v[18:19], v[6:7]
	scratch_load_b64 v[20:21], off, s32 offset:300 ; 8-byte Folded Reload
	v_and_b32_e32 v19, 0xffff0000, v8
	v_lshlrev_b32_e32 v18, 16, v8
	v_cvt_pk_bf16_f32 v8, v30, v31
	s_wait_loadcnt 0x0
	s_delay_alu instid0(VALU_DEP_2) | instskip(SKIP_3) | instid1(VALU_DEP_1)
	v_pk_fma_f32 v[18:19], v[20:21], v[18:19], v[34:35]
	scratch_load_b64 v[34:35], off, s32 offset:332 ; 8-byte Folded Reload
	v_dual_lshlrev_b32 v20, 16, v80 :: v_dual_lshlrev_b32 v21, 16, v22
	s_wait_loadcnt 0x0
	v_pk_fma_f32 v[18:19], v[20:21], v[34:35], v[18:19]
	v_lshlrev_b32_e32 v20, 16, v23
	scratch_load_b64 v[22:23], off, s32 offset:372 ; 8-byte Folded Reload
	v_lshlrev_b32_e32 v21, 16, v16
	s_wait_loadcnt 0x0
	s_delay_alu instid0(VALU_DEP_1)
	v_pk_fma_f32 v[18:19], v[22:23], v[20:21], v[18:19]
	scratch_load_b64 v[22:23], off, s32 offset:420 ; 8-byte Folded Reload
	v_and_b32_e32 v21, 0xffff0000, v8
	v_lshlrev_b32_e32 v20, 16, v8
	v_cvt_pk_bf16_f32 v8, v28, v29
	s_wait_loadcnt 0x0
	s_delay_alu instid0(VALU_DEP_2)
	v_pk_fma_f32 v[18:19], v[22:23], v[20:21], v[18:19]
	scratch_load_b64 v[22:23], off, s32 offset:452 ; 8-byte Folded Reload
	v_and_b32_e32 v21, 0xffff0000, v8
	v_lshlrev_b32_e32 v20, 16, v8
	v_cvt_pk_bf16_f32 v8, v98, v99
	s_wait_loadcnt 0x0
	s_delay_alu instid0(VALU_DEP_2)
	;; [unrolled: 7-line block ×6, first 2 shown]
	v_pk_fma_f32 v[18:19], v[22:23], v[20:21], v[18:19]
	scratch_load_b64 v[22:23], off, s32 offset:612 ; 8-byte Folded Reload
	v_and_b32_e32 v21, 0xffff0000, v8
	v_lshlrev_b32_e32 v20, 16, v8
	v_cvt_pk_bf16_f32 v8, v76, v77
	s_wait_loadcnt 0x0
	s_delay_alu instid0(VALU_DEP_2) | instskip(SKIP_4) | instid1(VALU_DEP_1)
	v_pk_fma_f32 v[18:19], v[22:23], v[20:21], v[18:19]
	scratch_load_b64 v[22:23], off, s32 offset:644 ; 8-byte Folded Reload
	v_and_b32_e32 v21, 0xffff0000, v8
	v_lshlrev_b32_e32 v20, 16, v8
	v_cvt_pk_bf16_f32 v8, v10, v11
	v_and_b32_e32 v11, 0xffff0000, v8
	v_lshlrev_b32_e32 v10, 16, v8
	v_cvt_pk_bf16_f32 v8, v52, v53
	s_wait_loadcnt 0x0
	v_pk_fma_f32 v[18:19], v[22:23], v[20:21], v[18:19]
	scratch_load_b64 v[20:21], off, s32 offset:676 ; 8-byte Folded Reload
	s_wait_loadcnt 0x0
	v_pk_fma_f32 v[10:11], v[20:21], v[10:11], v[18:19]
	scratch_load_b64 v[20:21], off, s32 offset:308 ; 8-byte Folded Reload
	v_and_b32_e32 v19, 0xffff0000, v8
	v_lshlrev_b32_e32 v18, 16, v8
	s_wait_loadcnt 0x0
	s_delay_alu instid0(VALU_DEP_1)
	v_pk_fma_f32 v[18:19], v[20:21], v[18:19], v[32:33]
	scratch_load_b64 v[20:21], off, s32 offset:340 ; 8-byte Folded Reload
	s_wait_loadcnt 0x0
	v_pk_fma_f32 v[2:3], v[2:3], v[20:21], v[18:19]
	scratch_load_b64 v[18:19], off, s32 offset:388 ; 8-byte Folded Reload
	s_wait_loadcnt 0x0
	v_pk_fma_f32 v[0:1], v[18:19], v[0:1], v[2:3]
	v_cvt_pk_bf16_f32 v2, v14, v15
	scratch_load_b64 v[14:15], off, s32 offset:428 ; 8-byte Folded Reload
	v_and_b32_e32 v3, 0xffff0000, v2
	v_lshlrev_b32_e32 v2, 16, v2
	s_wait_loadcnt 0x0
	s_delay_alu instid0(VALU_DEP_1)
	v_pk_fma_f32 v[0:1], v[14:15], v[2:3], v[0:1]
	v_cvt_pk_bf16_f32 v2, v12, v13
	scratch_load_b64 v[12:13], off, s32 offset:460 ; 8-byte Folded Reload
	v_and_b32_e32 v3, 0xffff0000, v2
	v_lshlrev_b32_e32 v2, 16, v2
	s_wait_loadcnt 0x0
	s_delay_alu instid0(VALU_DEP_1) | instskip(SKIP_2) | instid1(VALU_DEP_1)
	v_pk_fma_f32 v[0:1], v[12:13], v[2:3], v[0:1]
	scratch_load_b64 v[12:13], off, s32 offset:492 ; 8-byte Folded Reload
	v_cvt_pk_bf16_f32 v2, v26, v27
	v_and_b32_e32 v3, 0xffff0000, v2
	v_lshlrev_b32_e32 v2, 16, v2
	s_wait_loadcnt 0x0
	s_delay_alu instid0(VALU_DEP_1) | instskip(SKIP_2) | instid1(VALU_DEP_1)
	v_pk_fma_f32 v[0:1], v[12:13], v[2:3], v[0:1]
	scratch_load_b64 v[12:13], off, s32 offset:524 ; 8-byte Folded Reload
	v_cvt_pk_bf16_f32 v2, v24, v25
	;; [unrolled: 7-line block ×6, first 2 shown]
	v_and_b32_e32 v3, 0xffff0000, v2
	v_lshlrev_b32_e32 v2, 16, v2
	s_wait_loadcnt 0x0
	s_delay_alu instid0(VALU_DEP_1) | instskip(SKIP_1) | instid1(VALU_DEP_1)
	v_pk_fma_f32 v[0:1], v[12:13], v[2:3], v[0:1]
	v_add_f32_e32 v2, v36, v37
	v_add_f32_e32 v2, v2, v6
	s_delay_alu instid0(VALU_DEP_1)
	v_add_f32_e32 v6, v7, v2
	v_cvt_pk_bf16_f32 v2, v4, v5
	scratch_load_b64 v[4:5], off, s32 offset:684 ; 8-byte Folded Reload
	v_and_b32_e32 v3, 0xffff0000, v2
	v_lshlrev_b32_e32 v2, 16, v2
	s_wait_loadcnt 0x0
	s_delay_alu instid0(VALU_DEP_1) | instskip(SKIP_3) | instid1(VALU_DEP_1)
	v_pk_fma_f32 v[0:1], v[4:5], v[2:3], v[0:1]
	v_add_f32_e32 v2, v10, v6
	scratch_load_b64 v[4:5], off, s32 offset:196 th:TH_LOAD_LU ; 8-byte Folded Reload
	v_add_f32_e32 v2, v11, v2
	v_add_f32_e32 v0, v0, v2
	scratch_load_b32 v2, off, s32 offset:204 ; 4-byte Folded Reload
	v_dual_add_f32 v0, v1, v0 :: v_dual_sub_nc_u32 v1, 1, v106
	s_delay_alu instid0(VALU_DEP_1) | instskip(SKIP_1) | instid1(VALU_DEP_2)
	v_add_nc_u32_e32 v1, v1, v109
	v_add_nc_u32_e32 v109, 0x80, v109
	v_cvt_f32_i32_e32 v1, v1
	s_wait_loadcnt 0x1
	v_add_nc_u64_e32 v[4:5], 16, v[4:5]
	s_wait_loadcnt 0x0
	s_delay_alu instid0(VALU_DEP_2) | instskip(SKIP_3) | instid1(VALU_DEP_1)
	v_mul_f32_e32 v1, v2, v1
	scratch_load_b32 v2, off, s32 offset:216 ; 4-byte Folded Reload
	v_cndmask_b32_e32 v1, 0, v1, vcc_lo
	s_wait_loadcnt 0x0
	v_fmac_f32_e32 v1, v2, v0
	s_delay_alu instid0(VALU_DEP_1) | instskip(SKIP_3) | instid1(VALU_DEP_2)
	v_cndmask_b32_e64 v0, 0, v1, s1
	ds_store_b32 v108, v0
	v_max_num_f32_e32 v0, v9, v9
	v_add_nc_u32_e32 v108, 0x200, v108
	v_max_num_f32_e32 v0, v0, v1
	s_delay_alu instid0(VALU_DEP_1)
	v_cndmask_b32_e64 v9, v9, v0, s1
	scratch_load_b32 v0, off, s32 offset:192 ; 4-byte Folded Reload
	s_wait_loadcnt 0x0
	v_cmp_ge_i32_e64 s1, v110, v0
	s_or_b32 s7, s1, s7
	s_wait_xcnt 0x0
	s_and_not1_b32 exec_lo, exec_lo, s7
	s_cbranch_execz .LBB364_903
.LBB364_10:                             ; =>This Inner Loop Header: Depth=1
	scratch_store_b64 off, v[4:5], s32 offset:196 ; 8-byte Folded Spill
	flat_load_b32 v0, v[4:5]
	s_clause 0x1
	scratch_load_b64 v[2:3], off, s32 offset:364
	scratch_load_b64 v[4:5], off, s32 offset:692
	v_mov_b32_e32 v10, 0
	s_mov_b32 s15, exec_lo
	s_wait_loadcnt_dscnt 0x0
	v_mad_nc_i64_i32 v[38:39], v0, v2, v[4:5]
	flat_load_b64 v[12:13], v[38:39]
	scratch_load_b64 v[0:1], off, s32 offset:208 ; 8-byte Folded Reload
	s_wait_loadcnt 0x0
	flat_load_b32 v8, v[0:1]
	s_wait_dscnt 0x1
	s_wait_xcnt 0x0
	v_and_b32_e32 v0, 0xff, v12
	s_delay_alu instid0(VALU_DEP_1)
	v_cmpx_ne_u16_e32 0, v0
	s_cbranch_execz .LBB364_18
; %bb.11:                               ;   in Loop: Header=BB364_10 Depth=1
	v_bfrev_b32_e32 v10, 1
	s_mov_b32 s16, exec_lo
	v_cmpx_ne_u16_e32 0x80, v0
	s_cbranch_execz .LBB364_17
; %bb.12:                               ;   in Loop: Header=BB364_10 Depth=1
	v_and_b32_e32 v1, 0x7f, v12
	v_mov_b32_e32 v10, 0x7f800001
	s_mov_b32 s17, exec_lo
	s_delay_alu instid0(VALU_DEP_2)
	v_cmpx_ne_u32_e32 0x7f, v1
	s_cbranch_execz .LBB364_16
; %bb.13:                               ;   in Loop: Header=BB364_10 Depth=1
	v_mov_b64_e32 v[4:5], v[12:13]
	v_lshrrev_b32_e32 v0, 3, v1
	s_mov_b32 s18, exec_lo
	v_cmpx_gt_u32_e32 8, v1
; %bb.14:                               ;   in Loop: Header=BB364_10 Depth=1
	v_and_b32_e32 v0, 7, v12
	s_delay_alu instid0(VALU_DEP_1) | instskip(NEXT) | instid1(VALU_DEP_1)
	v_clz_i32_u32_e32 v0, v0
	v_min_u32_e32 v0, 32, v0
	s_delay_alu instid0(VALU_DEP_1) | instskip(SKIP_1) | instid1(VALU_DEP_2)
	v_subrev_nc_u32_e32 v1, 28, v0
	v_sub_nc_u32_e32 v0, 29, v0
	v_lshlrev_b64_e32 v[4:5], v1, v[12:13]
; %bb.15:                               ;   in Loop: Header=BB364_10 Depth=1
	s_or_b32 exec_lo, exec_lo, s18
	s_delay_alu instid0(VALU_DEP_1) | instskip(SKIP_2) | instid1(VALU_DEP_3)
	v_lshlrev_b32_e32 v1, 20, v4
	v_lshlrev_b32_e32 v2, 24, v12
	v_lshl_add_u32 v0, v0, 23, 0x3c000000
	v_and_b32_e32 v1, 0x700000, v1
	s_delay_alu instid0(VALU_DEP_3) | instskip(NEXT) | instid1(VALU_DEP_1)
	v_and_b32_e32 v2, 0x80000000, v2
	v_or3_b32 v10, v1, v2, v0
.LBB364_16:                             ;   in Loop: Header=BB364_10 Depth=1
	s_or_b32 exec_lo, exec_lo, s17
.LBB364_17:                             ;   in Loop: Header=BB364_10 Depth=1
	s_delay_alu instid0(SALU_CYCLE_1)
	s_or_b32 exec_lo, exec_lo, s16
.LBB364_18:                             ;   in Loop: Header=BB364_10 Depth=1
	s_delay_alu instid0(SALU_CYCLE_1) | instskip(SKIP_3) | instid1(VALU_DEP_2)
	s_or_b32 exec_lo, exec_lo, s15
	v_lshrrev_b16 v0, 8, v12
	v_dual_mov_b32 v32, 0 :: v_dual_mov_b32 v11, 0
	s_mov_b32 s15, exec_lo
	v_cmpx_ne_u16_e32 0, v0
	s_cbranch_execz .LBB364_26
; %bb.19:                               ;   in Loop: Header=BB364_10 Depth=1
	v_bfrev_b32_e32 v11, 1
	s_mov_b32 s16, exec_lo
	v_cmpx_ne_u16_e32 0x80, v0
	s_cbranch_execz .LBB364_25
; %bb.20:                               ;   in Loop: Header=BB364_10 Depth=1
	v_and_b32_e32 v0, 0xffff, v0
	v_mov_b32_e32 v11, 0x7f800001
	s_mov_b32 s17, exec_lo
	s_delay_alu instid0(VALU_DEP_2) | instskip(NEXT) | instid1(VALU_DEP_1)
	v_and_b32_e32 v1, 0x7f, v0
	v_cmpx_ne_u32_e32 0x7f, v1
	s_cbranch_execz .LBB364_24
; %bb.21:                               ;   in Loop: Header=BB364_10 Depth=1
	v_dual_lshrrev_b32 v0, 3, v1 :: v_dual_bitop2_b32 v16, 7, v0 bitop3:0x40
	s_mov_b32 s18, exec_lo
	v_cmpx_gt_u32_e32 8, v1
; %bb.22:                               ;   in Loop: Header=BB364_10 Depth=1
	s_delay_alu instid0(VALU_DEP_2) | instskip(NEXT) | instid1(VALU_DEP_1)
	v_clz_i32_u32_e32 v0, v16
	v_min_u32_e32 v0, 32, v0
	s_delay_alu instid0(VALU_DEP_1) | instskip(NEXT) | instid1(VALU_DEP_1)
	v_subrev_nc_u32_e32 v1, 28, v0
	v_lshlrev_b64_e32 v[2:3], v1, v[16:17]
	s_delay_alu instid0(VALU_DEP_1)
	v_dual_sub_nc_u32 v0, 29, v0 :: v_dual_bitop2_b32 v16, 7, v2 bitop3:0x40
; %bb.23:                               ;   in Loop: Header=BB364_10 Depth=1
	s_or_b32 exec_lo, exec_lo, s18
	v_lshlrev_b32_e32 v1, 16, v12
	s_delay_alu instid0(VALU_DEP_2) | instskip(NEXT) | instid1(VALU_DEP_3)
	v_lshlrev_b32_e32 v2, 20, v16
	v_lshl_add_u32 v0, v0, 23, 0x3c000000
	s_delay_alu instid0(VALU_DEP_3) | instskip(NEXT) | instid1(VALU_DEP_1)
	v_and_b32_e32 v1, 0x80000000, v1
	v_or3_b32 v11, v2, v1, v0
.LBB364_24:                             ;   in Loop: Header=BB364_10 Depth=1
	s_or_b32 exec_lo, exec_lo, s17
.LBB364_25:                             ;   in Loop: Header=BB364_10 Depth=1
	s_delay_alu instid0(SALU_CYCLE_1)
	s_or_b32 exec_lo, exec_lo, s16
.LBB364_26:                             ;   in Loop: Header=BB364_10 Depth=1
	s_delay_alu instid0(SALU_CYCLE_1) | instskip(SKIP_2) | instid1(VALU_DEP_1)
	s_or_b32 exec_lo, exec_lo, s15
	v_lshrrev_b32_e32 v0, 16, v12
	s_mov_b32 s15, exec_lo
	v_and_b32_e32 v1, 0xff, v0
	s_delay_alu instid0(VALU_DEP_1)
	v_cmpx_ne_u16_e32 0, v1
	s_cbranch_execz .LBB364_34
; %bb.27:                               ;   in Loop: Header=BB364_10 Depth=1
	v_bfrev_b32_e32 v32, 1
	s_mov_b32 s16, exec_lo
	v_cmpx_ne_u16_e32 0x80, v1
	s_cbranch_execz .LBB364_33
; %bb.28:                               ;   in Loop: Header=BB364_10 Depth=1
	v_bfe_u32 v2, v12, 16, 7
	v_mov_b32_e32 v32, 0x7f800001
	s_mov_b32 s17, exec_lo
	s_delay_alu instid0(VALU_DEP_2)
	v_cmpx_ne_u32_e32 0x7f, v2
	s_cbranch_execz .LBB364_32
; %bb.29:                               ;   in Loop: Header=BB364_10 Depth=1
	v_dual_lshrrev_b32 v1, 3, v2 :: v_dual_bitop2_b32 v16, 7, v0 bitop3:0x40
	s_mov_b32 s18, exec_lo
	v_cmpx_gt_u32_e32 8, v2
; %bb.30:                               ;   in Loop: Header=BB364_10 Depth=1
	s_delay_alu instid0(VALU_DEP_2) | instskip(NEXT) | instid1(VALU_DEP_1)
	v_clz_i32_u32_e32 v1, v16
	v_min_u32_e32 v1, 32, v1
	s_delay_alu instid0(VALU_DEP_1) | instskip(NEXT) | instid1(VALU_DEP_1)
	v_subrev_nc_u32_e32 v2, 28, v1
	v_lshlrev_b64_e32 v[2:3], v2, v[16:17]
	s_delay_alu instid0(VALU_DEP_1)
	v_dual_sub_nc_u32 v1, 29, v1 :: v_dual_bitop2_b32 v16, 7, v2 bitop3:0x40
; %bb.31:                               ;   in Loop: Header=BB364_10 Depth=1
	s_or_b32 exec_lo, exec_lo, s18
	v_lshlrev_b32_e32 v0, 24, v0
	s_delay_alu instid0(VALU_DEP_2) | instskip(NEXT) | instid1(VALU_DEP_3)
	v_lshlrev_b32_e32 v2, 20, v16
	v_lshl_add_u32 v1, v1, 23, 0x3c000000
	s_delay_alu instid0(VALU_DEP_3) | instskip(NEXT) | instid1(VALU_DEP_1)
	v_and_b32_e32 v0, 0x80000000, v0
	v_or3_b32 v32, v2, v0, v1
.LBB364_32:                             ;   in Loop: Header=BB364_10 Depth=1
	s_or_b32 exec_lo, exec_lo, s17
.LBB364_33:                             ;   in Loop: Header=BB364_10 Depth=1
	s_delay_alu instid0(SALU_CYCLE_1)
	s_or_b32 exec_lo, exec_lo, s16
.LBB364_34:                             ;   in Loop: Header=BB364_10 Depth=1
	s_delay_alu instid0(SALU_CYCLE_1)
	s_or_b32 exec_lo, exec_lo, s15
	v_dual_mov_b32 v4, 0 :: v_dual_mov_b32 v33, 0
	s_mov_b32 s15, exec_lo
	v_cmpx_lt_u32_e32 0xffffff, v12
	s_cbranch_execz .LBB364_42
; %bb.35:                               ;   in Loop: Header=BB364_10 Depth=1
	v_lshrrev_b32_e32 v0, 24, v12
	v_bfrev_b32_e32 v33, 1
	s_mov_b32 s16, exec_lo
	s_delay_alu instid0(VALU_DEP_2)
	v_cmpx_ne_u32_e32 0x80, v0
	s_cbranch_execz .LBB364_41
; %bb.36:                               ;   in Loop: Header=BB364_10 Depth=1
	v_bfe_u32 v2, v12, 24, 7
	v_mov_b32_e32 v33, 0x7f800001
	s_mov_b32 s17, exec_lo
	s_delay_alu instid0(VALU_DEP_2)
	v_cmpx_ne_u32_e32 0x7f, v2
	s_cbranch_execz .LBB364_40
; %bb.37:                               ;   in Loop: Header=BB364_10 Depth=1
	v_dual_lshrrev_b32 v1, 3, v2 :: v_dual_bitop2_b32 v16, 7, v0 bitop3:0x40
	s_mov_b32 s18, exec_lo
	v_cmpx_gt_u32_e32 8, v2
; %bb.38:                               ;   in Loop: Header=BB364_10 Depth=1
	s_delay_alu instid0(VALU_DEP_2) | instskip(NEXT) | instid1(VALU_DEP_1)
	v_clz_i32_u32_e32 v1, v16
	v_min_u32_e32 v1, 32, v1
	s_delay_alu instid0(VALU_DEP_1) | instskip(NEXT) | instid1(VALU_DEP_1)
	v_subrev_nc_u32_e32 v2, 28, v1
	v_lshlrev_b64_e32 v[2:3], v2, v[16:17]
	s_delay_alu instid0(VALU_DEP_1)
	v_dual_sub_nc_u32 v1, 29, v1 :: v_dual_bitop2_b32 v16, 7, v2 bitop3:0x40
; %bb.39:                               ;   in Loop: Header=BB364_10 Depth=1
	s_or_b32 exec_lo, exec_lo, s18
	v_lshlrev_b32_e32 v0, 24, v0
	s_delay_alu instid0(VALU_DEP_2) | instskip(NEXT) | instid1(VALU_DEP_3)
	v_lshlrev_b32_e32 v2, 20, v16
	v_lshl_add_u32 v1, v1, 23, 0x3c000000
	s_delay_alu instid0(VALU_DEP_3) | instskip(NEXT) | instid1(VALU_DEP_1)
	v_and_b32_e32 v0, 0x80000000, v0
	v_or3_b32 v33, v2, v0, v1
.LBB364_40:                             ;   in Loop: Header=BB364_10 Depth=1
	s_or_b32 exec_lo, exec_lo, s17
.LBB364_41:                             ;   in Loop: Header=BB364_10 Depth=1
	s_delay_alu instid0(SALU_CYCLE_1)
	s_or_b32 exec_lo, exec_lo, s16
.LBB364_42:                             ;   in Loop: Header=BB364_10 Depth=1
	s_delay_alu instid0(SALU_CYCLE_1) | instskip(SKIP_3) | instid1(VALU_DEP_2)
	s_or_b32 exec_lo, exec_lo, s15
	v_and_b32_e32 v0, 0xff, v13
	v_mov_b32_e32 v16, v13
	s_mov_b32 s15, exec_lo
	v_cmpx_ne_u16_e32 0, v0
	s_cbranch_execz .LBB364_50
; %bb.43:                               ;   in Loop: Header=BB364_10 Depth=1
	v_bfrev_b32_e32 v4, 1
	s_mov_b32 s16, exec_lo
	v_cmpx_ne_u16_e32 0x80, v0
	s_cbranch_execz .LBB364_49
; %bb.44:                               ;   in Loop: Header=BB364_10 Depth=1
	v_and_b32_e32 v1, 0x7f, v13
	v_mov_b32_e32 v4, 0x7f800001
	s_mov_b32 s17, exec_lo
	s_delay_alu instid0(VALU_DEP_2)
	v_cmpx_ne_u32_e32 0x7f, v1
	s_cbranch_execz .LBB364_48
; %bb.45:                               ;   in Loop: Header=BB364_10 Depth=1
	v_mov_b64_e32 v[4:5], v[16:17]
	v_lshrrev_b32_e32 v0, 3, v1
	s_mov_b32 s18, exec_lo
	v_cmpx_gt_u32_e32 8, v1
; %bb.46:                               ;   in Loop: Header=BB364_10 Depth=1
	v_and_b32_e32 v0, 7, v13
	s_delay_alu instid0(VALU_DEP_1) | instskip(NEXT) | instid1(VALU_DEP_1)
	v_clz_i32_u32_e32 v0, v0
	v_min_u32_e32 v0, 32, v0
	s_delay_alu instid0(VALU_DEP_1) | instskip(SKIP_1) | instid1(VALU_DEP_2)
	v_subrev_nc_u32_e32 v1, 28, v0
	v_sub_nc_u32_e32 v0, 29, v0
	v_lshlrev_b64_e32 v[4:5], v1, v[16:17]
; %bb.47:                               ;   in Loop: Header=BB364_10 Depth=1
	s_or_b32 exec_lo, exec_lo, s18
	s_delay_alu instid0(VALU_DEP_1) | instskip(SKIP_2) | instid1(VALU_DEP_3)
	v_lshlrev_b32_e32 v1, 20, v4
	v_lshlrev_b32_e32 v2, 24, v16
	v_lshl_add_u32 v0, v0, 23, 0x3c000000
	v_and_b32_e32 v1, 0x700000, v1
	s_delay_alu instid0(VALU_DEP_3) | instskip(NEXT) | instid1(VALU_DEP_1)
	v_and_b32_e32 v2, 0x80000000, v2
	v_or3_b32 v4, v1, v2, v0
.LBB364_48:                             ;   in Loop: Header=BB364_10 Depth=1
	s_or_b32 exec_lo, exec_lo, s17
.LBB364_49:                             ;   in Loop: Header=BB364_10 Depth=1
	s_delay_alu instid0(SALU_CYCLE_1)
	s_or_b32 exec_lo, exec_lo, s16
.LBB364_50:                             ;   in Loop: Header=BB364_10 Depth=1
	s_delay_alu instid0(SALU_CYCLE_1) | instskip(SKIP_3) | instid1(VALU_DEP_2)
	s_or_b32 exec_lo, exec_lo, s15
	v_lshrrev_b16 v0, 8, v16
	v_dual_mov_b32 v18, 0 :: v_dual_mov_b32 v5, 0
	s_mov_b32 s15, exec_lo
	v_cmpx_ne_u16_e32 0, v0
	s_cbranch_execz .LBB364_58
; %bb.51:                               ;   in Loop: Header=BB364_10 Depth=1
	v_bfrev_b32_e32 v5, 1
	s_mov_b32 s16, exec_lo
	v_cmpx_ne_u16_e32 0x80, v0
	s_cbranch_execz .LBB364_57
; %bb.52:                               ;   in Loop: Header=BB364_10 Depth=1
	v_and_b32_e32 v0, 0xffff, v0
	v_mov_b32_e32 v5, 0x7f800001
	s_mov_b32 s17, exec_lo
	s_delay_alu instid0(VALU_DEP_2) | instskip(NEXT) | instid1(VALU_DEP_1)
	v_and_b32_e32 v1, 0x7f, v0
	v_cmpx_ne_u32_e32 0x7f, v1
	s_cbranch_execz .LBB364_56
; %bb.53:                               ;   in Loop: Header=BB364_10 Depth=1
	v_dual_mov_b32 v15, v17 :: v_dual_bitop2_b32 v14, 7, v0 bitop3:0x40
	v_lshrrev_b32_e32 v0, 3, v1
	s_mov_b32 s18, exec_lo
	v_cmpx_gt_u32_e32 8, v1
; %bb.54:                               ;   in Loop: Header=BB364_10 Depth=1
	s_delay_alu instid0(VALU_DEP_3) | instskip(NEXT) | instid1(VALU_DEP_1)
	v_clz_i32_u32_e32 v0, v14
	v_min_u32_e32 v0, 32, v0
	s_delay_alu instid0(VALU_DEP_1) | instskip(NEXT) | instid1(VALU_DEP_1)
	v_subrev_nc_u32_e32 v1, 28, v0
	v_lshlrev_b64_e32 v[2:3], v1, v[14:15]
	s_delay_alu instid0(VALU_DEP_1)
	v_dual_sub_nc_u32 v0, 29, v0 :: v_dual_bitop2_b32 v14, 7, v2 bitop3:0x40
; %bb.55:                               ;   in Loop: Header=BB364_10 Depth=1
	s_or_b32 exec_lo, exec_lo, s18
	s_delay_alu instid0(VALU_DEP_1) | instskip(NEXT) | instid1(VALU_DEP_2)
	v_dual_lshlrev_b32 v1, 16, v16 :: v_dual_lshlrev_b32 v2, 20, v14
	v_lshl_add_u32 v0, v0, 23, 0x3c000000
	s_delay_alu instid0(VALU_DEP_2) | instskip(NEXT) | instid1(VALU_DEP_1)
	v_and_b32_e32 v1, 0x80000000, v1
	v_or3_b32 v5, v2, v1, v0
.LBB364_56:                             ;   in Loop: Header=BB364_10 Depth=1
	s_or_b32 exec_lo, exec_lo, s17
.LBB364_57:                             ;   in Loop: Header=BB364_10 Depth=1
	s_delay_alu instid0(SALU_CYCLE_1)
	s_or_b32 exec_lo, exec_lo, s16
.LBB364_58:                             ;   in Loop: Header=BB364_10 Depth=1
	s_delay_alu instid0(SALU_CYCLE_1) | instskip(SKIP_2) | instid1(VALU_DEP_1)
	s_or_b32 exec_lo, exec_lo, s15
	v_lshrrev_b32_e32 v0, 16, v13
	s_mov_b32 s15, exec_lo
	v_and_b32_e32 v1, 0xff, v0
	s_delay_alu instid0(VALU_DEP_1)
	v_cmpx_ne_u16_e32 0, v1
	s_cbranch_execz .LBB364_66
; %bb.59:                               ;   in Loop: Header=BB364_10 Depth=1
	v_bfrev_b32_e32 v18, 1
	s_mov_b32 s16, exec_lo
	v_cmpx_ne_u16_e32 0x80, v1
	s_cbranch_execz .LBB364_65
; %bb.60:                               ;   in Loop: Header=BB364_10 Depth=1
	v_bfe_u32 v2, v13, 16, 7
	v_mov_b32_e32 v18, 0x7f800001
	s_mov_b32 s17, exec_lo
	s_delay_alu instid0(VALU_DEP_2)
	v_cmpx_ne_u32_e32 0x7f, v2
	s_cbranch_execz .LBB364_64
; %bb.61:                               ;   in Loop: Header=BB364_10 Depth=1
	v_dual_lshrrev_b32 v1, 3, v2 :: v_dual_bitop2_b32 v16, 7, v0 bitop3:0x40
	s_mov_b32 s18, exec_lo
	v_cmpx_gt_u32_e32 8, v2
; %bb.62:                               ;   in Loop: Header=BB364_10 Depth=1
	s_delay_alu instid0(VALU_DEP_2) | instskip(NEXT) | instid1(VALU_DEP_1)
	v_clz_i32_u32_e32 v1, v16
	v_min_u32_e32 v1, 32, v1
	s_delay_alu instid0(VALU_DEP_1) | instskip(NEXT) | instid1(VALU_DEP_1)
	v_subrev_nc_u32_e32 v2, 28, v1
	v_lshlrev_b64_e32 v[2:3], v2, v[16:17]
	s_delay_alu instid0(VALU_DEP_1)
	v_dual_sub_nc_u32 v1, 29, v1 :: v_dual_bitop2_b32 v16, 7, v2 bitop3:0x40
; %bb.63:                               ;   in Loop: Header=BB364_10 Depth=1
	s_or_b32 exec_lo, exec_lo, s18
	v_lshlrev_b32_e32 v0, 24, v0
	s_delay_alu instid0(VALU_DEP_2) | instskip(NEXT) | instid1(VALU_DEP_3)
	v_lshlrev_b32_e32 v2, 20, v16
	v_lshl_add_u32 v1, v1, 23, 0x3c000000
	s_delay_alu instid0(VALU_DEP_3) | instskip(NEXT) | instid1(VALU_DEP_1)
	v_and_b32_e32 v0, 0x80000000, v0
	v_or3_b32 v18, v2, v0, v1
.LBB364_64:                             ;   in Loop: Header=BB364_10 Depth=1
	s_or_b32 exec_lo, exec_lo, s17
.LBB364_65:                             ;   in Loop: Header=BB364_10 Depth=1
	s_delay_alu instid0(SALU_CYCLE_1)
	s_or_b32 exec_lo, exec_lo, s16
.LBB364_66:                             ;   in Loop: Header=BB364_10 Depth=1
	s_delay_alu instid0(SALU_CYCLE_1)
	s_or_b32 exec_lo, exec_lo, s15
	v_dual_mov_b32 v34, 0 :: v_dual_mov_b32 v19, 0
	s_mov_b32 s15, exec_lo
	v_cmpx_lt_u64_e64 s[2:3], v[12:13]
	s_cbranch_execz .LBB364_74
; %bb.67:                               ;   in Loop: Header=BB364_10 Depth=1
	v_lshrrev_b32_e32 v0, 24, v13
	v_bfrev_b32_e32 v19, 1
	s_mov_b32 s16, exec_lo
	s_delay_alu instid0(VALU_DEP_2)
	v_cmpx_ne_u32_e32 0x80, v0
	s_cbranch_execz .LBB364_73
; %bb.68:                               ;   in Loop: Header=BB364_10 Depth=1
	v_bfe_u32 v2, v13, 24, 7
	v_mov_b32_e32 v19, 0x7f800001
	s_mov_b32 s17, exec_lo
	s_delay_alu instid0(VALU_DEP_2)
	v_cmpx_ne_u32_e32 0x7f, v2
	s_cbranch_execz .LBB364_72
; %bb.69:                               ;   in Loop: Header=BB364_10 Depth=1
	v_dual_lshrrev_b32 v1, 3, v2 :: v_dual_bitop2_b32 v16, 7, v0 bitop3:0x40
	s_mov_b32 s18, exec_lo
	v_cmpx_gt_u32_e32 8, v2
; %bb.70:                               ;   in Loop: Header=BB364_10 Depth=1
	s_delay_alu instid0(VALU_DEP_2) | instskip(NEXT) | instid1(VALU_DEP_1)
	v_clz_i32_u32_e32 v1, v16
	v_min_u32_e32 v1, 32, v1
	s_delay_alu instid0(VALU_DEP_1) | instskip(NEXT) | instid1(VALU_DEP_1)
	v_subrev_nc_u32_e32 v2, 28, v1
	v_lshlrev_b64_e32 v[2:3], v2, v[16:17]
	s_delay_alu instid0(VALU_DEP_1)
	v_dual_sub_nc_u32 v1, 29, v1 :: v_dual_bitop2_b32 v16, 7, v2 bitop3:0x40
; %bb.71:                               ;   in Loop: Header=BB364_10 Depth=1
	s_or_b32 exec_lo, exec_lo, s18
	v_lshlrev_b32_e32 v0, 24, v0
	s_delay_alu instid0(VALU_DEP_2) | instskip(NEXT) | instid1(VALU_DEP_3)
	v_lshlrev_b32_e32 v2, 20, v16
	v_lshl_add_u32 v1, v1, 23, 0x3c000000
	s_delay_alu instid0(VALU_DEP_3) | instskip(NEXT) | instid1(VALU_DEP_1)
	v_and_b32_e32 v0, 0x80000000, v0
	v_or3_b32 v19, v2, v0, v1
.LBB364_72:                             ;   in Loop: Header=BB364_10 Depth=1
	s_or_b32 exec_lo, exec_lo, s17
.LBB364_73:                             ;   in Loop: Header=BB364_10 Depth=1
	s_delay_alu instid0(SALU_CYCLE_1)
	s_or_b32 exec_lo, exec_lo, s16
.LBB364_74:                             ;   in Loop: Header=BB364_10 Depth=1
	s_delay_alu instid0(SALU_CYCLE_1)
	s_or_b32 exec_lo, exec_lo, s15
	flat_load_b64 v[12:13], v[38:39] offset:8
	s_mov_b32 s15, exec_lo
	s_wait_loadcnt_dscnt 0x0
	v_and_b32_e32 v0, 0xff, v12
	s_wait_xcnt 0x0
	s_delay_alu instid0(VALU_DEP_1)
	v_cmpx_ne_u16_e32 0, v0
	s_cbranch_execz .LBB364_82
; %bb.75:                               ;   in Loop: Header=BB364_10 Depth=1
	v_bfrev_b32_e32 v34, 1
	s_mov_b32 s16, exec_lo
	v_cmpx_ne_u16_e32 0x80, v0
	s_cbranch_execz .LBB364_81
; %bb.76:                               ;   in Loop: Header=BB364_10 Depth=1
	v_and_b32_e32 v1, 0x7f, v12
	v_mov_b32_e32 v34, 0x7f800001
	s_mov_b32 s17, exec_lo
	s_delay_alu instid0(VALU_DEP_2)
	v_cmpx_ne_u32_e32 0x7f, v1
	s_cbranch_execz .LBB364_80
; %bb.77:                               ;   in Loop: Header=BB364_10 Depth=1
	v_mov_b64_e32 v[14:15], v[12:13]
	v_lshrrev_b32_e32 v0, 3, v1
	s_mov_b32 s18, exec_lo
	v_cmpx_gt_u32_e32 8, v1
; %bb.78:                               ;   in Loop: Header=BB364_10 Depth=1
	v_and_b32_e32 v0, 7, v12
	s_delay_alu instid0(VALU_DEP_1) | instskip(NEXT) | instid1(VALU_DEP_1)
	v_clz_i32_u32_e32 v0, v0
	v_min_u32_e32 v0, 32, v0
	s_delay_alu instid0(VALU_DEP_1) | instskip(SKIP_1) | instid1(VALU_DEP_2)
	v_subrev_nc_u32_e32 v1, 28, v0
	v_sub_nc_u32_e32 v0, 29, v0
	v_lshlrev_b64_e32 v[14:15], v1, v[12:13]
; %bb.79:                               ;   in Loop: Header=BB364_10 Depth=1
	s_or_b32 exec_lo, exec_lo, s18
	s_delay_alu instid0(VALU_DEP_1) | instskip(NEXT) | instid1(VALU_DEP_3)
	v_dual_lshlrev_b32 v1, 20, v14 :: v_dual_lshlrev_b32 v2, 24, v12
	v_lshl_add_u32 v0, v0, 23, 0x3c000000
	s_delay_alu instid0(VALU_DEP_2) | instskip(NEXT) | instid1(VALU_DEP_3)
	v_and_b32_e32 v1, 0x700000, v1
	v_and_b32_e32 v2, 0x80000000, v2
	s_delay_alu instid0(VALU_DEP_1)
	v_or3_b32 v34, v1, v2, v0
.LBB364_80:                             ;   in Loop: Header=BB364_10 Depth=1
	s_or_b32 exec_lo, exec_lo, s17
.LBB364_81:                             ;   in Loop: Header=BB364_10 Depth=1
	s_delay_alu instid0(SALU_CYCLE_1)
	s_or_b32 exec_lo, exec_lo, s16
.LBB364_82:                             ;   in Loop: Header=BB364_10 Depth=1
	s_delay_alu instid0(SALU_CYCLE_1) | instskip(SKIP_3) | instid1(VALU_DEP_2)
	s_or_b32 exec_lo, exec_lo, s15
	v_lshrrev_b16 v0, 8, v12
	v_dual_mov_b32 v36, 0 :: v_dual_mov_b32 v35, 0
	s_mov_b32 s15, exec_lo
	v_cmpx_ne_u16_e32 0, v0
	s_cbranch_execz .LBB364_90
; %bb.83:                               ;   in Loop: Header=BB364_10 Depth=1
	v_bfrev_b32_e32 v35, 1
	s_mov_b32 s16, exec_lo
	v_cmpx_ne_u16_e32 0x80, v0
	s_cbranch_execz .LBB364_89
; %bb.84:                               ;   in Loop: Header=BB364_10 Depth=1
	v_and_b32_e32 v0, 0xffff, v0
	v_mov_b32_e32 v35, 0x7f800001
	s_mov_b32 s17, exec_lo
	s_delay_alu instid0(VALU_DEP_2) | instskip(NEXT) | instid1(VALU_DEP_1)
	v_and_b32_e32 v1, 0x7f, v0
	v_cmpx_ne_u32_e32 0x7f, v1
	s_cbranch_execz .LBB364_88
; %bb.85:                               ;   in Loop: Header=BB364_10 Depth=1
	v_dual_lshrrev_b32 v0, 3, v1 :: v_dual_bitop2_b32 v16, 7, v0 bitop3:0x40
	s_mov_b32 s18, exec_lo
	v_cmpx_gt_u32_e32 8, v1
; %bb.86:                               ;   in Loop: Header=BB364_10 Depth=1
	s_delay_alu instid0(VALU_DEP_2) | instskip(NEXT) | instid1(VALU_DEP_1)
	v_clz_i32_u32_e32 v0, v16
	v_min_u32_e32 v0, 32, v0
	s_delay_alu instid0(VALU_DEP_1) | instskip(NEXT) | instid1(VALU_DEP_1)
	v_subrev_nc_u32_e32 v1, 28, v0
	v_lshlrev_b64_e32 v[2:3], v1, v[16:17]
	s_delay_alu instid0(VALU_DEP_1)
	v_dual_sub_nc_u32 v0, 29, v0 :: v_dual_bitop2_b32 v16, 7, v2 bitop3:0x40
; %bb.87:                               ;   in Loop: Header=BB364_10 Depth=1
	s_or_b32 exec_lo, exec_lo, s18
	v_lshlrev_b32_e32 v1, 16, v12
	s_delay_alu instid0(VALU_DEP_2) | instskip(NEXT) | instid1(VALU_DEP_3)
	v_lshlrev_b32_e32 v2, 20, v16
	v_lshl_add_u32 v0, v0, 23, 0x3c000000
	s_delay_alu instid0(VALU_DEP_3) | instskip(NEXT) | instid1(VALU_DEP_1)
	v_and_b32_e32 v1, 0x80000000, v1
	v_or3_b32 v35, v2, v1, v0
.LBB364_88:                             ;   in Loop: Header=BB364_10 Depth=1
	s_or_b32 exec_lo, exec_lo, s17
.LBB364_89:                             ;   in Loop: Header=BB364_10 Depth=1
	s_delay_alu instid0(SALU_CYCLE_1)
	s_or_b32 exec_lo, exec_lo, s16
.LBB364_90:                             ;   in Loop: Header=BB364_10 Depth=1
	s_delay_alu instid0(SALU_CYCLE_1) | instskip(SKIP_2) | instid1(VALU_DEP_1)
	s_or_b32 exec_lo, exec_lo, s15
	v_lshrrev_b32_e32 v0, 16, v12
	s_mov_b32 s15, exec_lo
	v_and_b32_e32 v1, 0xff, v0
	s_delay_alu instid0(VALU_DEP_1)
	v_cmpx_ne_u16_e32 0, v1
	s_cbranch_execz .LBB364_98
; %bb.91:                               ;   in Loop: Header=BB364_10 Depth=1
	v_bfrev_b32_e32 v36, 1
	s_mov_b32 s16, exec_lo
	v_cmpx_ne_u16_e32 0x80, v1
	s_cbranch_execz .LBB364_97
; %bb.92:                               ;   in Loop: Header=BB364_10 Depth=1
	v_bfe_u32 v2, v12, 16, 7
	v_mov_b32_e32 v36, 0x7f800001
	s_mov_b32 s17, exec_lo
	s_delay_alu instid0(VALU_DEP_2)
	v_cmpx_ne_u32_e32 0x7f, v2
	s_cbranch_execz .LBB364_96
; %bb.93:                               ;   in Loop: Header=BB364_10 Depth=1
	v_dual_lshrrev_b32 v1, 3, v2 :: v_dual_bitop2_b32 v16, 7, v0 bitop3:0x40
	s_mov_b32 s18, exec_lo
	v_cmpx_gt_u32_e32 8, v2
; %bb.94:                               ;   in Loop: Header=BB364_10 Depth=1
	s_delay_alu instid0(VALU_DEP_2) | instskip(NEXT) | instid1(VALU_DEP_1)
	v_clz_i32_u32_e32 v1, v16
	v_min_u32_e32 v1, 32, v1
	s_delay_alu instid0(VALU_DEP_1) | instskip(NEXT) | instid1(VALU_DEP_1)
	v_subrev_nc_u32_e32 v2, 28, v1
	v_lshlrev_b64_e32 v[2:3], v2, v[16:17]
	s_delay_alu instid0(VALU_DEP_1)
	v_dual_sub_nc_u32 v1, 29, v1 :: v_dual_bitop2_b32 v16, 7, v2 bitop3:0x40
; %bb.95:                               ;   in Loop: Header=BB364_10 Depth=1
	s_or_b32 exec_lo, exec_lo, s18
	v_lshlrev_b32_e32 v0, 24, v0
	s_delay_alu instid0(VALU_DEP_2) | instskip(NEXT) | instid1(VALU_DEP_3)
	v_lshlrev_b32_e32 v2, 20, v16
	v_lshl_add_u32 v1, v1, 23, 0x3c000000
	s_delay_alu instid0(VALU_DEP_3) | instskip(NEXT) | instid1(VALU_DEP_1)
	v_and_b32_e32 v0, 0x80000000, v0
	v_or3_b32 v36, v2, v0, v1
.LBB364_96:                             ;   in Loop: Header=BB364_10 Depth=1
	s_or_b32 exec_lo, exec_lo, s17
.LBB364_97:                             ;   in Loop: Header=BB364_10 Depth=1
	s_delay_alu instid0(SALU_CYCLE_1)
	s_or_b32 exec_lo, exec_lo, s16
.LBB364_98:                             ;   in Loop: Header=BB364_10 Depth=1
	s_delay_alu instid0(SALU_CYCLE_1)
	s_or_b32 exec_lo, exec_lo, s15
	v_dual_mov_b32 v48, 0 :: v_dual_mov_b32 v37, 0
	s_mov_b32 s15, exec_lo
	v_cmpx_lt_u32_e32 0xffffff, v12
	s_cbranch_execz .LBB364_106
; %bb.99:                               ;   in Loop: Header=BB364_10 Depth=1
	v_lshrrev_b32_e32 v0, 24, v12
	v_bfrev_b32_e32 v37, 1
	s_mov_b32 s16, exec_lo
	s_delay_alu instid0(VALU_DEP_2)
	v_cmpx_ne_u32_e32 0x80, v0
	s_cbranch_execz .LBB364_105
; %bb.100:                              ;   in Loop: Header=BB364_10 Depth=1
	v_bfe_u32 v2, v12, 24, 7
	v_mov_b32_e32 v37, 0x7f800001
	s_mov_b32 s17, exec_lo
	s_delay_alu instid0(VALU_DEP_2)
	v_cmpx_ne_u32_e32 0x7f, v2
	s_cbranch_execz .LBB364_104
; %bb.101:                              ;   in Loop: Header=BB364_10 Depth=1
	v_dual_lshrrev_b32 v1, 3, v2 :: v_dual_bitop2_b32 v16, 7, v0 bitop3:0x40
	s_mov_b32 s18, exec_lo
	v_cmpx_gt_u32_e32 8, v2
; %bb.102:                              ;   in Loop: Header=BB364_10 Depth=1
	s_delay_alu instid0(VALU_DEP_2) | instskip(NEXT) | instid1(VALU_DEP_1)
	v_clz_i32_u32_e32 v1, v16
	v_min_u32_e32 v1, 32, v1
	s_delay_alu instid0(VALU_DEP_1) | instskip(NEXT) | instid1(VALU_DEP_1)
	v_subrev_nc_u32_e32 v2, 28, v1
	v_lshlrev_b64_e32 v[2:3], v2, v[16:17]
	s_delay_alu instid0(VALU_DEP_1)
	v_dual_sub_nc_u32 v1, 29, v1 :: v_dual_bitop2_b32 v16, 7, v2 bitop3:0x40
; %bb.103:                              ;   in Loop: Header=BB364_10 Depth=1
	s_or_b32 exec_lo, exec_lo, s18
	v_lshlrev_b32_e32 v0, 24, v0
	s_delay_alu instid0(VALU_DEP_2) | instskip(NEXT) | instid1(VALU_DEP_3)
	v_lshlrev_b32_e32 v2, 20, v16
	v_lshl_add_u32 v1, v1, 23, 0x3c000000
	s_delay_alu instid0(VALU_DEP_3) | instskip(NEXT) | instid1(VALU_DEP_1)
	v_and_b32_e32 v0, 0x80000000, v0
	v_or3_b32 v37, v2, v0, v1
.LBB364_104:                            ;   in Loop: Header=BB364_10 Depth=1
	s_or_b32 exec_lo, exec_lo, s17
.LBB364_105:                            ;   in Loop: Header=BB364_10 Depth=1
	s_delay_alu instid0(SALU_CYCLE_1)
	s_or_b32 exec_lo, exec_lo, s16
.LBB364_106:                            ;   in Loop: Header=BB364_10 Depth=1
	s_delay_alu instid0(SALU_CYCLE_1) | instskip(SKIP_3) | instid1(VALU_DEP_2)
	s_or_b32 exec_lo, exec_lo, s15
	v_and_b32_e32 v0, 0xff, v13
	v_mov_b32_e32 v16, v13
	s_mov_b32 s15, exec_lo
	v_cmpx_ne_u16_e32 0, v0
	s_cbranch_execz .LBB364_114
; %bb.107:                              ;   in Loop: Header=BB364_10 Depth=1
	v_bfrev_b32_e32 v48, 1
	s_mov_b32 s16, exec_lo
	v_cmpx_ne_u16_e32 0x80, v0
	s_cbranch_execz .LBB364_113
; %bb.108:                              ;   in Loop: Header=BB364_10 Depth=1
	v_and_b32_e32 v1, 0x7f, v13
	v_mov_b32_e32 v48, 0x7f800001
	s_mov_b32 s17, exec_lo
	s_delay_alu instid0(VALU_DEP_2)
	v_cmpx_ne_u32_e32 0x7f, v1
	s_cbranch_execz .LBB364_112
; %bb.109:                              ;   in Loop: Header=BB364_10 Depth=1
	v_mov_b64_e32 v[14:15], v[16:17]
	v_lshrrev_b32_e32 v0, 3, v1
	s_mov_b32 s18, exec_lo
	v_cmpx_gt_u32_e32 8, v1
; %bb.110:                              ;   in Loop: Header=BB364_10 Depth=1
	v_and_b32_e32 v0, 7, v13
	s_delay_alu instid0(VALU_DEP_1) | instskip(NEXT) | instid1(VALU_DEP_1)
	v_clz_i32_u32_e32 v0, v0
	v_min_u32_e32 v0, 32, v0
	s_delay_alu instid0(VALU_DEP_1) | instskip(SKIP_1) | instid1(VALU_DEP_2)
	v_subrev_nc_u32_e32 v1, 28, v0
	v_sub_nc_u32_e32 v0, 29, v0
	v_lshlrev_b64_e32 v[14:15], v1, v[16:17]
; %bb.111:                              ;   in Loop: Header=BB364_10 Depth=1
	s_or_b32 exec_lo, exec_lo, s18
	s_delay_alu instid0(VALU_DEP_1) | instskip(NEXT) | instid1(VALU_DEP_3)
	v_dual_lshlrev_b32 v1, 20, v14 :: v_dual_lshlrev_b32 v2, 24, v16
	v_lshl_add_u32 v0, v0, 23, 0x3c000000
	s_delay_alu instid0(VALU_DEP_2) | instskip(NEXT) | instid1(VALU_DEP_3)
	v_and_b32_e32 v1, 0x700000, v1
	v_and_b32_e32 v2, 0x80000000, v2
	s_delay_alu instid0(VALU_DEP_1)
	v_or3_b32 v48, v1, v2, v0
.LBB364_112:                            ;   in Loop: Header=BB364_10 Depth=1
	s_or_b32 exec_lo, exec_lo, s17
.LBB364_113:                            ;   in Loop: Header=BB364_10 Depth=1
	s_delay_alu instid0(SALU_CYCLE_1)
	s_or_b32 exec_lo, exec_lo, s16
.LBB364_114:                            ;   in Loop: Header=BB364_10 Depth=1
	s_delay_alu instid0(SALU_CYCLE_1) | instskip(SKIP_3) | instid1(VALU_DEP_2)
	s_or_b32 exec_lo, exec_lo, s15
	v_lshrrev_b16 v0, 8, v16
	v_dual_mov_b32 v50, 0 :: v_dual_mov_b32 v49, 0
	s_mov_b32 s15, exec_lo
	v_cmpx_ne_u16_e32 0, v0
	s_cbranch_execz .LBB364_122
; %bb.115:                              ;   in Loop: Header=BB364_10 Depth=1
	v_bfrev_b32_e32 v49, 1
	s_mov_b32 s16, exec_lo
	v_cmpx_ne_u16_e32 0x80, v0
	s_cbranch_execz .LBB364_121
; %bb.116:                              ;   in Loop: Header=BB364_10 Depth=1
	v_and_b32_e32 v0, 0xffff, v0
	v_mov_b32_e32 v49, 0x7f800001
	s_mov_b32 s17, exec_lo
	s_delay_alu instid0(VALU_DEP_2) | instskip(NEXT) | instid1(VALU_DEP_1)
	v_and_b32_e32 v1, 0x7f, v0
	v_cmpx_ne_u32_e32 0x7f, v1
	s_cbranch_execz .LBB364_120
; %bb.117:                              ;   in Loop: Header=BB364_10 Depth=1
	v_dual_mov_b32 v15, v17 :: v_dual_bitop2_b32 v14, 7, v0 bitop3:0x40
	v_lshrrev_b32_e32 v0, 3, v1
	s_mov_b32 s18, exec_lo
	v_cmpx_gt_u32_e32 8, v1
; %bb.118:                              ;   in Loop: Header=BB364_10 Depth=1
	s_delay_alu instid0(VALU_DEP_3) | instskip(NEXT) | instid1(VALU_DEP_1)
	v_clz_i32_u32_e32 v0, v14
	v_min_u32_e32 v0, 32, v0
	s_delay_alu instid0(VALU_DEP_1) | instskip(NEXT) | instid1(VALU_DEP_1)
	v_subrev_nc_u32_e32 v1, 28, v0
	v_lshlrev_b64_e32 v[2:3], v1, v[14:15]
	s_delay_alu instid0(VALU_DEP_1)
	v_dual_sub_nc_u32 v0, 29, v0 :: v_dual_bitop2_b32 v14, 7, v2 bitop3:0x40
; %bb.119:                              ;   in Loop: Header=BB364_10 Depth=1
	s_or_b32 exec_lo, exec_lo, s18
	s_delay_alu instid0(VALU_DEP_1) | instskip(NEXT) | instid1(VALU_DEP_2)
	v_dual_lshlrev_b32 v1, 16, v16 :: v_dual_lshlrev_b32 v2, 20, v14
	v_lshl_add_u32 v0, v0, 23, 0x3c000000
	s_delay_alu instid0(VALU_DEP_2) | instskip(NEXT) | instid1(VALU_DEP_1)
	v_and_b32_e32 v1, 0x80000000, v1
	v_or3_b32 v49, v2, v1, v0
.LBB364_120:                            ;   in Loop: Header=BB364_10 Depth=1
	s_or_b32 exec_lo, exec_lo, s17
.LBB364_121:                            ;   in Loop: Header=BB364_10 Depth=1
	s_delay_alu instid0(SALU_CYCLE_1)
	s_or_b32 exec_lo, exec_lo, s16
.LBB364_122:                            ;   in Loop: Header=BB364_10 Depth=1
	s_delay_alu instid0(SALU_CYCLE_1) | instskip(SKIP_2) | instid1(VALU_DEP_1)
	s_or_b32 exec_lo, exec_lo, s15
	v_lshrrev_b32_e32 v0, 16, v13
	s_mov_b32 s15, exec_lo
	v_and_b32_e32 v1, 0xff, v0
	s_delay_alu instid0(VALU_DEP_1)
	v_cmpx_ne_u16_e32 0, v1
	s_cbranch_execz .LBB364_130
; %bb.123:                              ;   in Loop: Header=BB364_10 Depth=1
	v_bfrev_b32_e32 v50, 1
	s_mov_b32 s16, exec_lo
	v_cmpx_ne_u16_e32 0x80, v1
	s_cbranch_execz .LBB364_129
; %bb.124:                              ;   in Loop: Header=BB364_10 Depth=1
	v_bfe_u32 v2, v13, 16, 7
	v_mov_b32_e32 v50, 0x7f800001
	s_mov_b32 s17, exec_lo
	s_delay_alu instid0(VALU_DEP_2)
	v_cmpx_ne_u32_e32 0x7f, v2
	s_cbranch_execz .LBB364_128
; %bb.125:                              ;   in Loop: Header=BB364_10 Depth=1
	v_dual_lshrrev_b32 v1, 3, v2 :: v_dual_bitop2_b32 v16, 7, v0 bitop3:0x40
	s_mov_b32 s18, exec_lo
	v_cmpx_gt_u32_e32 8, v2
; %bb.126:                              ;   in Loop: Header=BB364_10 Depth=1
	s_delay_alu instid0(VALU_DEP_2) | instskip(NEXT) | instid1(VALU_DEP_1)
	v_clz_i32_u32_e32 v1, v16
	v_min_u32_e32 v1, 32, v1
	s_delay_alu instid0(VALU_DEP_1) | instskip(NEXT) | instid1(VALU_DEP_1)
	v_subrev_nc_u32_e32 v2, 28, v1
	v_lshlrev_b64_e32 v[2:3], v2, v[16:17]
	s_delay_alu instid0(VALU_DEP_1)
	v_dual_sub_nc_u32 v1, 29, v1 :: v_dual_bitop2_b32 v16, 7, v2 bitop3:0x40
; %bb.127:                              ;   in Loop: Header=BB364_10 Depth=1
	s_or_b32 exec_lo, exec_lo, s18
	v_lshlrev_b32_e32 v0, 24, v0
	s_delay_alu instid0(VALU_DEP_2) | instskip(NEXT) | instid1(VALU_DEP_3)
	v_lshlrev_b32_e32 v2, 20, v16
	v_lshl_add_u32 v1, v1, 23, 0x3c000000
	s_delay_alu instid0(VALU_DEP_3) | instskip(NEXT) | instid1(VALU_DEP_1)
	v_and_b32_e32 v0, 0x80000000, v0
	v_or3_b32 v50, v2, v0, v1
.LBB364_128:                            ;   in Loop: Header=BB364_10 Depth=1
	s_or_b32 exec_lo, exec_lo, s17
.LBB364_129:                            ;   in Loop: Header=BB364_10 Depth=1
	s_delay_alu instid0(SALU_CYCLE_1)
	s_or_b32 exec_lo, exec_lo, s16
.LBB364_130:                            ;   in Loop: Header=BB364_10 Depth=1
	s_delay_alu instid0(SALU_CYCLE_1)
	s_or_b32 exec_lo, exec_lo, s15
	v_dual_mov_b32 v52, 0 :: v_dual_mov_b32 v51, 0
	s_mov_b32 s15, exec_lo
	v_cmpx_lt_u64_e64 s[2:3], v[12:13]
	s_cbranch_execz .LBB364_138
; %bb.131:                              ;   in Loop: Header=BB364_10 Depth=1
	v_lshrrev_b32_e32 v0, 24, v13
	v_bfrev_b32_e32 v51, 1
	s_mov_b32 s16, exec_lo
	s_delay_alu instid0(VALU_DEP_2)
	v_cmpx_ne_u32_e32 0x80, v0
	s_cbranch_execz .LBB364_137
; %bb.132:                              ;   in Loop: Header=BB364_10 Depth=1
	v_bfe_u32 v2, v13, 24, 7
	v_mov_b32_e32 v51, 0x7f800001
	s_mov_b32 s17, exec_lo
	s_delay_alu instid0(VALU_DEP_2)
	v_cmpx_ne_u32_e32 0x7f, v2
	s_cbranch_execz .LBB364_136
; %bb.133:                              ;   in Loop: Header=BB364_10 Depth=1
	v_dual_lshrrev_b32 v1, 3, v2 :: v_dual_bitop2_b32 v16, 7, v0 bitop3:0x40
	s_mov_b32 s18, exec_lo
	v_cmpx_gt_u32_e32 8, v2
; %bb.134:                              ;   in Loop: Header=BB364_10 Depth=1
	s_delay_alu instid0(VALU_DEP_2) | instskip(NEXT) | instid1(VALU_DEP_1)
	v_clz_i32_u32_e32 v1, v16
	v_min_u32_e32 v1, 32, v1
	s_delay_alu instid0(VALU_DEP_1) | instskip(NEXT) | instid1(VALU_DEP_1)
	v_subrev_nc_u32_e32 v2, 28, v1
	v_lshlrev_b64_e32 v[2:3], v2, v[16:17]
	s_delay_alu instid0(VALU_DEP_1)
	v_dual_sub_nc_u32 v1, 29, v1 :: v_dual_bitop2_b32 v16, 7, v2 bitop3:0x40
; %bb.135:                              ;   in Loop: Header=BB364_10 Depth=1
	s_or_b32 exec_lo, exec_lo, s18
	v_lshlrev_b32_e32 v0, 24, v0
	s_delay_alu instid0(VALU_DEP_2) | instskip(NEXT) | instid1(VALU_DEP_3)
	v_lshlrev_b32_e32 v2, 20, v16
	v_lshl_add_u32 v1, v1, 23, 0x3c000000
	s_delay_alu instid0(VALU_DEP_3) | instskip(NEXT) | instid1(VALU_DEP_1)
	v_and_b32_e32 v0, 0x80000000, v0
	v_or3_b32 v51, v2, v0, v1
.LBB364_136:                            ;   in Loop: Header=BB364_10 Depth=1
	s_or_b32 exec_lo, exec_lo, s17
.LBB364_137:                            ;   in Loop: Header=BB364_10 Depth=1
	s_delay_alu instid0(SALU_CYCLE_1)
	s_or_b32 exec_lo, exec_lo, s16
.LBB364_138:                            ;   in Loop: Header=BB364_10 Depth=1
	s_delay_alu instid0(SALU_CYCLE_1)
	s_or_b32 exec_lo, exec_lo, s15
	flat_load_b64 v[12:13], v[38:39] offset:512
	s_mov_b32 s15, exec_lo
	s_wait_loadcnt_dscnt 0x0
	v_and_b32_e32 v0, 0xff, v12
	s_wait_xcnt 0x0
	s_delay_alu instid0(VALU_DEP_1)
	v_cmpx_ne_u16_e32 0, v0
	s_cbranch_execz .LBB364_146
; %bb.139:                              ;   in Loop: Header=BB364_10 Depth=1
	v_bfrev_b32_e32 v52, 1
	s_mov_b32 s16, exec_lo
	v_cmpx_ne_u16_e32 0x80, v0
	s_cbranch_execz .LBB364_145
; %bb.140:                              ;   in Loop: Header=BB364_10 Depth=1
	v_and_b32_e32 v1, 0x7f, v12
	v_mov_b32_e32 v52, 0x7f800001
	s_mov_b32 s17, exec_lo
	s_delay_alu instid0(VALU_DEP_2)
	v_cmpx_ne_u32_e32 0x7f, v1
	s_cbranch_execz .LBB364_144
; %bb.141:                              ;   in Loop: Header=BB364_10 Depth=1
	v_mov_b64_e32 v[14:15], v[12:13]
	v_lshrrev_b32_e32 v0, 3, v1
	s_mov_b32 s18, exec_lo
	v_cmpx_gt_u32_e32 8, v1
; %bb.142:                              ;   in Loop: Header=BB364_10 Depth=1
	v_and_b32_e32 v0, 7, v12
	s_delay_alu instid0(VALU_DEP_1) | instskip(NEXT) | instid1(VALU_DEP_1)
	v_clz_i32_u32_e32 v0, v0
	v_min_u32_e32 v0, 32, v0
	s_delay_alu instid0(VALU_DEP_1) | instskip(SKIP_1) | instid1(VALU_DEP_2)
	v_subrev_nc_u32_e32 v1, 28, v0
	v_sub_nc_u32_e32 v0, 29, v0
	v_lshlrev_b64_e32 v[14:15], v1, v[12:13]
; %bb.143:                              ;   in Loop: Header=BB364_10 Depth=1
	s_or_b32 exec_lo, exec_lo, s18
	s_delay_alu instid0(VALU_DEP_1) | instskip(NEXT) | instid1(VALU_DEP_3)
	v_dual_lshlrev_b32 v1, 20, v14 :: v_dual_lshlrev_b32 v2, 24, v12
	v_lshl_add_u32 v0, v0, 23, 0x3c000000
	s_delay_alu instid0(VALU_DEP_2) | instskip(NEXT) | instid1(VALU_DEP_3)
	v_and_b32_e32 v1, 0x700000, v1
	v_and_b32_e32 v2, 0x80000000, v2
	s_delay_alu instid0(VALU_DEP_1)
	v_or3_b32 v52, v1, v2, v0
.LBB364_144:                            ;   in Loop: Header=BB364_10 Depth=1
	s_or_b32 exec_lo, exec_lo, s17
.LBB364_145:                            ;   in Loop: Header=BB364_10 Depth=1
	s_delay_alu instid0(SALU_CYCLE_1)
	s_or_b32 exec_lo, exec_lo, s16
.LBB364_146:                            ;   in Loop: Header=BB364_10 Depth=1
	s_delay_alu instid0(SALU_CYCLE_1) | instskip(SKIP_3) | instid1(VALU_DEP_2)
	s_or_b32 exec_lo, exec_lo, s15
	v_lshrrev_b16 v0, 8, v12
	v_dual_mov_b32 v54, 0 :: v_dual_mov_b32 v53, 0
	s_mov_b32 s15, exec_lo
	v_cmpx_ne_u16_e32 0, v0
	s_cbranch_execz .LBB364_154
; %bb.147:                              ;   in Loop: Header=BB364_10 Depth=1
	v_bfrev_b32_e32 v53, 1
	s_mov_b32 s16, exec_lo
	v_cmpx_ne_u16_e32 0x80, v0
	s_cbranch_execz .LBB364_153
; %bb.148:                              ;   in Loop: Header=BB364_10 Depth=1
	v_and_b32_e32 v0, 0xffff, v0
	v_mov_b32_e32 v53, 0x7f800001
	s_mov_b32 s17, exec_lo
	s_delay_alu instid0(VALU_DEP_2) | instskip(NEXT) | instid1(VALU_DEP_1)
	v_and_b32_e32 v1, 0x7f, v0
	v_cmpx_ne_u32_e32 0x7f, v1
	s_cbranch_execz .LBB364_152
; %bb.149:                              ;   in Loop: Header=BB364_10 Depth=1
	v_dual_lshrrev_b32 v0, 3, v1 :: v_dual_bitop2_b32 v16, 7, v0 bitop3:0x40
	s_mov_b32 s18, exec_lo
	v_cmpx_gt_u32_e32 8, v1
; %bb.150:                              ;   in Loop: Header=BB364_10 Depth=1
	s_delay_alu instid0(VALU_DEP_2) | instskip(NEXT) | instid1(VALU_DEP_1)
	v_clz_i32_u32_e32 v0, v16
	v_min_u32_e32 v0, 32, v0
	s_delay_alu instid0(VALU_DEP_1) | instskip(NEXT) | instid1(VALU_DEP_1)
	v_subrev_nc_u32_e32 v1, 28, v0
	v_lshlrev_b64_e32 v[2:3], v1, v[16:17]
	s_delay_alu instid0(VALU_DEP_1)
	v_dual_sub_nc_u32 v0, 29, v0 :: v_dual_bitop2_b32 v16, 7, v2 bitop3:0x40
; %bb.151:                              ;   in Loop: Header=BB364_10 Depth=1
	s_or_b32 exec_lo, exec_lo, s18
	v_lshlrev_b32_e32 v1, 16, v12
	s_delay_alu instid0(VALU_DEP_2) | instskip(NEXT) | instid1(VALU_DEP_3)
	v_lshlrev_b32_e32 v2, 20, v16
	v_lshl_add_u32 v0, v0, 23, 0x3c000000
	s_delay_alu instid0(VALU_DEP_3) | instskip(NEXT) | instid1(VALU_DEP_1)
	v_and_b32_e32 v1, 0x80000000, v1
	v_or3_b32 v53, v2, v1, v0
.LBB364_152:                            ;   in Loop: Header=BB364_10 Depth=1
	s_or_b32 exec_lo, exec_lo, s17
.LBB364_153:                            ;   in Loop: Header=BB364_10 Depth=1
	s_delay_alu instid0(SALU_CYCLE_1)
	s_or_b32 exec_lo, exec_lo, s16
.LBB364_154:                            ;   in Loop: Header=BB364_10 Depth=1
	s_delay_alu instid0(SALU_CYCLE_1) | instskip(SKIP_2) | instid1(VALU_DEP_1)
	s_or_b32 exec_lo, exec_lo, s15
	v_lshrrev_b32_e32 v0, 16, v12
	s_mov_b32 s15, exec_lo
	v_and_b32_e32 v1, 0xff, v0
	s_delay_alu instid0(VALU_DEP_1)
	v_cmpx_ne_u16_e32 0, v1
	s_cbranch_execz .LBB364_162
; %bb.155:                              ;   in Loop: Header=BB364_10 Depth=1
	v_bfrev_b32_e32 v54, 1
	s_mov_b32 s16, exec_lo
	v_cmpx_ne_u16_e32 0x80, v1
	s_cbranch_execz .LBB364_161
; %bb.156:                              ;   in Loop: Header=BB364_10 Depth=1
	v_bfe_u32 v2, v12, 16, 7
	v_mov_b32_e32 v54, 0x7f800001
	s_mov_b32 s17, exec_lo
	s_delay_alu instid0(VALU_DEP_2)
	v_cmpx_ne_u32_e32 0x7f, v2
	s_cbranch_execz .LBB364_160
; %bb.157:                              ;   in Loop: Header=BB364_10 Depth=1
	v_dual_lshrrev_b32 v1, 3, v2 :: v_dual_bitop2_b32 v16, 7, v0 bitop3:0x40
	s_mov_b32 s18, exec_lo
	v_cmpx_gt_u32_e32 8, v2
; %bb.158:                              ;   in Loop: Header=BB364_10 Depth=1
	s_delay_alu instid0(VALU_DEP_2) | instskip(NEXT) | instid1(VALU_DEP_1)
	v_clz_i32_u32_e32 v1, v16
	v_min_u32_e32 v1, 32, v1
	s_delay_alu instid0(VALU_DEP_1) | instskip(NEXT) | instid1(VALU_DEP_1)
	v_subrev_nc_u32_e32 v2, 28, v1
	v_lshlrev_b64_e32 v[2:3], v2, v[16:17]
	s_delay_alu instid0(VALU_DEP_1)
	v_dual_sub_nc_u32 v1, 29, v1 :: v_dual_bitop2_b32 v16, 7, v2 bitop3:0x40
; %bb.159:                              ;   in Loop: Header=BB364_10 Depth=1
	s_or_b32 exec_lo, exec_lo, s18
	v_lshlrev_b32_e32 v0, 24, v0
	s_delay_alu instid0(VALU_DEP_2) | instskip(NEXT) | instid1(VALU_DEP_3)
	v_lshlrev_b32_e32 v2, 20, v16
	v_lshl_add_u32 v1, v1, 23, 0x3c000000
	s_delay_alu instid0(VALU_DEP_3) | instskip(NEXT) | instid1(VALU_DEP_1)
	v_and_b32_e32 v0, 0x80000000, v0
	v_or3_b32 v54, v2, v0, v1
.LBB364_160:                            ;   in Loop: Header=BB364_10 Depth=1
	s_or_b32 exec_lo, exec_lo, s17
.LBB364_161:                            ;   in Loop: Header=BB364_10 Depth=1
	s_delay_alu instid0(SALU_CYCLE_1)
	s_or_b32 exec_lo, exec_lo, s16
.LBB364_162:                            ;   in Loop: Header=BB364_10 Depth=1
	s_delay_alu instid0(SALU_CYCLE_1)
	s_or_b32 exec_lo, exec_lo, s15
	v_dual_mov_b32 v64, 0 :: v_dual_mov_b32 v55, 0
	s_mov_b32 s15, exec_lo
	v_cmpx_lt_u32_e32 0xffffff, v12
	s_cbranch_execz .LBB364_170
; %bb.163:                              ;   in Loop: Header=BB364_10 Depth=1
	v_lshrrev_b32_e32 v0, 24, v12
	v_bfrev_b32_e32 v55, 1
	s_mov_b32 s16, exec_lo
	s_delay_alu instid0(VALU_DEP_2)
	v_cmpx_ne_u32_e32 0x80, v0
	s_cbranch_execz .LBB364_169
; %bb.164:                              ;   in Loop: Header=BB364_10 Depth=1
	v_bfe_u32 v2, v12, 24, 7
	v_mov_b32_e32 v55, 0x7f800001
	s_mov_b32 s17, exec_lo
	s_delay_alu instid0(VALU_DEP_2)
	v_cmpx_ne_u32_e32 0x7f, v2
	s_cbranch_execz .LBB364_168
; %bb.165:                              ;   in Loop: Header=BB364_10 Depth=1
	v_dual_lshrrev_b32 v1, 3, v2 :: v_dual_bitop2_b32 v16, 7, v0 bitop3:0x40
	s_mov_b32 s18, exec_lo
	v_cmpx_gt_u32_e32 8, v2
; %bb.166:                              ;   in Loop: Header=BB364_10 Depth=1
	s_delay_alu instid0(VALU_DEP_2) | instskip(NEXT) | instid1(VALU_DEP_1)
	v_clz_i32_u32_e32 v1, v16
	v_min_u32_e32 v1, 32, v1
	s_delay_alu instid0(VALU_DEP_1) | instskip(NEXT) | instid1(VALU_DEP_1)
	v_subrev_nc_u32_e32 v2, 28, v1
	v_lshlrev_b64_e32 v[2:3], v2, v[16:17]
	s_delay_alu instid0(VALU_DEP_1)
	v_dual_sub_nc_u32 v1, 29, v1 :: v_dual_bitop2_b32 v16, 7, v2 bitop3:0x40
; %bb.167:                              ;   in Loop: Header=BB364_10 Depth=1
	s_or_b32 exec_lo, exec_lo, s18
	v_lshlrev_b32_e32 v0, 24, v0
	s_delay_alu instid0(VALU_DEP_2) | instskip(NEXT) | instid1(VALU_DEP_3)
	v_lshlrev_b32_e32 v2, 20, v16
	v_lshl_add_u32 v1, v1, 23, 0x3c000000
	s_delay_alu instid0(VALU_DEP_3) | instskip(NEXT) | instid1(VALU_DEP_1)
	v_and_b32_e32 v0, 0x80000000, v0
	v_or3_b32 v55, v2, v0, v1
.LBB364_168:                            ;   in Loop: Header=BB364_10 Depth=1
	s_or_b32 exec_lo, exec_lo, s17
.LBB364_169:                            ;   in Loop: Header=BB364_10 Depth=1
	s_delay_alu instid0(SALU_CYCLE_1)
	s_or_b32 exec_lo, exec_lo, s16
.LBB364_170:                            ;   in Loop: Header=BB364_10 Depth=1
	s_delay_alu instid0(SALU_CYCLE_1) | instskip(SKIP_3) | instid1(VALU_DEP_2)
	s_or_b32 exec_lo, exec_lo, s15
	v_and_b32_e32 v0, 0xff, v13
	v_mov_b32_e32 v16, v13
	s_mov_b32 s15, exec_lo
	v_cmpx_ne_u16_e32 0, v0
	s_cbranch_execz .LBB364_178
; %bb.171:                              ;   in Loop: Header=BB364_10 Depth=1
	v_bfrev_b32_e32 v64, 1
	s_mov_b32 s16, exec_lo
	v_cmpx_ne_u16_e32 0x80, v0
	s_cbranch_execz .LBB364_177
; %bb.172:                              ;   in Loop: Header=BB364_10 Depth=1
	v_and_b32_e32 v1, 0x7f, v13
	v_mov_b32_e32 v64, 0x7f800001
	s_mov_b32 s17, exec_lo
	s_delay_alu instid0(VALU_DEP_2)
	v_cmpx_ne_u32_e32 0x7f, v1
	s_cbranch_execz .LBB364_176
; %bb.173:                              ;   in Loop: Header=BB364_10 Depth=1
	v_mov_b64_e32 v[14:15], v[16:17]
	v_lshrrev_b32_e32 v0, 3, v1
	s_mov_b32 s18, exec_lo
	v_cmpx_gt_u32_e32 8, v1
; %bb.174:                              ;   in Loop: Header=BB364_10 Depth=1
	v_and_b32_e32 v0, 7, v13
	s_delay_alu instid0(VALU_DEP_1) | instskip(NEXT) | instid1(VALU_DEP_1)
	v_clz_i32_u32_e32 v0, v0
	v_min_u32_e32 v0, 32, v0
	s_delay_alu instid0(VALU_DEP_1) | instskip(SKIP_1) | instid1(VALU_DEP_2)
	v_subrev_nc_u32_e32 v1, 28, v0
	v_sub_nc_u32_e32 v0, 29, v0
	v_lshlrev_b64_e32 v[14:15], v1, v[16:17]
; %bb.175:                              ;   in Loop: Header=BB364_10 Depth=1
	s_or_b32 exec_lo, exec_lo, s18
	s_delay_alu instid0(VALU_DEP_1) | instskip(NEXT) | instid1(VALU_DEP_3)
	v_dual_lshlrev_b32 v1, 20, v14 :: v_dual_lshlrev_b32 v2, 24, v16
	v_lshl_add_u32 v0, v0, 23, 0x3c000000
	s_delay_alu instid0(VALU_DEP_2) | instskip(NEXT) | instid1(VALU_DEP_3)
	v_and_b32_e32 v1, 0x700000, v1
	v_and_b32_e32 v2, 0x80000000, v2
	s_delay_alu instid0(VALU_DEP_1)
	v_or3_b32 v64, v1, v2, v0
.LBB364_176:                            ;   in Loop: Header=BB364_10 Depth=1
	s_or_b32 exec_lo, exec_lo, s17
.LBB364_177:                            ;   in Loop: Header=BB364_10 Depth=1
	s_delay_alu instid0(SALU_CYCLE_1)
	s_or_b32 exec_lo, exec_lo, s16
.LBB364_178:                            ;   in Loop: Header=BB364_10 Depth=1
	s_delay_alu instid0(SALU_CYCLE_1) | instskip(SKIP_3) | instid1(VALU_DEP_2)
	s_or_b32 exec_lo, exec_lo, s15
	v_lshrrev_b16 v0, 8, v16
	v_dual_mov_b32 v66, 0 :: v_dual_mov_b32 v65, 0
	s_mov_b32 s15, exec_lo
	v_cmpx_ne_u16_e32 0, v0
	s_cbranch_execz .LBB364_186
; %bb.179:                              ;   in Loop: Header=BB364_10 Depth=1
	v_bfrev_b32_e32 v65, 1
	s_mov_b32 s16, exec_lo
	v_cmpx_ne_u16_e32 0x80, v0
	s_cbranch_execz .LBB364_185
; %bb.180:                              ;   in Loop: Header=BB364_10 Depth=1
	v_and_b32_e32 v0, 0xffff, v0
	v_mov_b32_e32 v65, 0x7f800001
	s_mov_b32 s17, exec_lo
	s_delay_alu instid0(VALU_DEP_2) | instskip(NEXT) | instid1(VALU_DEP_1)
	v_and_b32_e32 v1, 0x7f, v0
	v_cmpx_ne_u32_e32 0x7f, v1
	s_cbranch_execz .LBB364_184
; %bb.181:                              ;   in Loop: Header=BB364_10 Depth=1
	v_dual_mov_b32 v15, v17 :: v_dual_bitop2_b32 v14, 7, v0 bitop3:0x40
	v_lshrrev_b32_e32 v0, 3, v1
	s_mov_b32 s18, exec_lo
	v_cmpx_gt_u32_e32 8, v1
; %bb.182:                              ;   in Loop: Header=BB364_10 Depth=1
	s_delay_alu instid0(VALU_DEP_3) | instskip(NEXT) | instid1(VALU_DEP_1)
	v_clz_i32_u32_e32 v0, v14
	v_min_u32_e32 v0, 32, v0
	s_delay_alu instid0(VALU_DEP_1) | instskip(NEXT) | instid1(VALU_DEP_1)
	v_subrev_nc_u32_e32 v1, 28, v0
	v_lshlrev_b64_e32 v[2:3], v1, v[14:15]
	s_delay_alu instid0(VALU_DEP_1)
	v_dual_sub_nc_u32 v0, 29, v0 :: v_dual_bitop2_b32 v14, 7, v2 bitop3:0x40
; %bb.183:                              ;   in Loop: Header=BB364_10 Depth=1
	s_or_b32 exec_lo, exec_lo, s18
	s_delay_alu instid0(VALU_DEP_1) | instskip(NEXT) | instid1(VALU_DEP_2)
	v_dual_lshlrev_b32 v1, 16, v16 :: v_dual_lshlrev_b32 v2, 20, v14
	v_lshl_add_u32 v0, v0, 23, 0x3c000000
	s_delay_alu instid0(VALU_DEP_2) | instskip(NEXT) | instid1(VALU_DEP_1)
	v_and_b32_e32 v1, 0x80000000, v1
	v_or3_b32 v65, v2, v1, v0
.LBB364_184:                            ;   in Loop: Header=BB364_10 Depth=1
	s_or_b32 exec_lo, exec_lo, s17
.LBB364_185:                            ;   in Loop: Header=BB364_10 Depth=1
	s_delay_alu instid0(SALU_CYCLE_1)
	s_or_b32 exec_lo, exec_lo, s16
.LBB364_186:                            ;   in Loop: Header=BB364_10 Depth=1
	s_delay_alu instid0(SALU_CYCLE_1) | instskip(SKIP_2) | instid1(VALU_DEP_1)
	s_or_b32 exec_lo, exec_lo, s15
	v_lshrrev_b32_e32 v0, 16, v13
	s_mov_b32 s15, exec_lo
	v_and_b32_e32 v1, 0xff, v0
	s_delay_alu instid0(VALU_DEP_1)
	v_cmpx_ne_u16_e32 0, v1
	s_cbranch_execz .LBB364_194
; %bb.187:                              ;   in Loop: Header=BB364_10 Depth=1
	v_bfrev_b32_e32 v66, 1
	s_mov_b32 s16, exec_lo
	v_cmpx_ne_u16_e32 0x80, v1
	s_cbranch_execz .LBB364_193
; %bb.188:                              ;   in Loop: Header=BB364_10 Depth=1
	v_bfe_u32 v2, v13, 16, 7
	v_mov_b32_e32 v66, 0x7f800001
	s_mov_b32 s17, exec_lo
	s_delay_alu instid0(VALU_DEP_2)
	v_cmpx_ne_u32_e32 0x7f, v2
	s_cbranch_execz .LBB364_192
; %bb.189:                              ;   in Loop: Header=BB364_10 Depth=1
	v_dual_lshrrev_b32 v1, 3, v2 :: v_dual_bitop2_b32 v16, 7, v0 bitop3:0x40
	s_mov_b32 s18, exec_lo
	v_cmpx_gt_u32_e32 8, v2
; %bb.190:                              ;   in Loop: Header=BB364_10 Depth=1
	s_delay_alu instid0(VALU_DEP_2) | instskip(NEXT) | instid1(VALU_DEP_1)
	v_clz_i32_u32_e32 v1, v16
	v_min_u32_e32 v1, 32, v1
	s_delay_alu instid0(VALU_DEP_1) | instskip(NEXT) | instid1(VALU_DEP_1)
	v_subrev_nc_u32_e32 v2, 28, v1
	v_lshlrev_b64_e32 v[2:3], v2, v[16:17]
	s_delay_alu instid0(VALU_DEP_1)
	v_dual_sub_nc_u32 v1, 29, v1 :: v_dual_bitop2_b32 v16, 7, v2 bitop3:0x40
; %bb.191:                              ;   in Loop: Header=BB364_10 Depth=1
	s_or_b32 exec_lo, exec_lo, s18
	v_lshlrev_b32_e32 v0, 24, v0
	s_delay_alu instid0(VALU_DEP_2) | instskip(NEXT) | instid1(VALU_DEP_3)
	v_lshlrev_b32_e32 v2, 20, v16
	v_lshl_add_u32 v1, v1, 23, 0x3c000000
	s_delay_alu instid0(VALU_DEP_3) | instskip(NEXT) | instid1(VALU_DEP_1)
	v_and_b32_e32 v0, 0x80000000, v0
	v_or3_b32 v66, v2, v0, v1
.LBB364_192:                            ;   in Loop: Header=BB364_10 Depth=1
	s_or_b32 exec_lo, exec_lo, s17
.LBB364_193:                            ;   in Loop: Header=BB364_10 Depth=1
	s_delay_alu instid0(SALU_CYCLE_1)
	s_or_b32 exec_lo, exec_lo, s16
.LBB364_194:                            ;   in Loop: Header=BB364_10 Depth=1
	s_delay_alu instid0(SALU_CYCLE_1)
	s_or_b32 exec_lo, exec_lo, s15
	v_dual_mov_b32 v20, 0 :: v_dual_mov_b32 v67, 0
	s_mov_b32 s15, exec_lo
	v_cmpx_lt_u64_e64 s[2:3], v[12:13]
	s_cbranch_execz .LBB364_202
; %bb.195:                              ;   in Loop: Header=BB364_10 Depth=1
	v_lshrrev_b32_e32 v0, 24, v13
	v_bfrev_b32_e32 v67, 1
	s_mov_b32 s16, exec_lo
	s_delay_alu instid0(VALU_DEP_2)
	v_cmpx_ne_u32_e32 0x80, v0
	s_cbranch_execz .LBB364_201
; %bb.196:                              ;   in Loop: Header=BB364_10 Depth=1
	v_bfe_u32 v2, v13, 24, 7
	v_mov_b32_e32 v67, 0x7f800001
	s_mov_b32 s17, exec_lo
	s_delay_alu instid0(VALU_DEP_2)
	v_cmpx_ne_u32_e32 0x7f, v2
	s_cbranch_execz .LBB364_200
; %bb.197:                              ;   in Loop: Header=BB364_10 Depth=1
	v_dual_lshrrev_b32 v1, 3, v2 :: v_dual_bitop2_b32 v16, 7, v0 bitop3:0x40
	s_mov_b32 s18, exec_lo
	v_cmpx_gt_u32_e32 8, v2
; %bb.198:                              ;   in Loop: Header=BB364_10 Depth=1
	s_delay_alu instid0(VALU_DEP_2) | instskip(NEXT) | instid1(VALU_DEP_1)
	v_clz_i32_u32_e32 v1, v16
	v_min_u32_e32 v1, 32, v1
	s_delay_alu instid0(VALU_DEP_1) | instskip(NEXT) | instid1(VALU_DEP_1)
	v_subrev_nc_u32_e32 v2, 28, v1
	v_lshlrev_b64_e32 v[2:3], v2, v[16:17]
	s_delay_alu instid0(VALU_DEP_1)
	v_dual_sub_nc_u32 v1, 29, v1 :: v_dual_bitop2_b32 v16, 7, v2 bitop3:0x40
; %bb.199:                              ;   in Loop: Header=BB364_10 Depth=1
	s_or_b32 exec_lo, exec_lo, s18
	v_lshlrev_b32_e32 v0, 24, v0
	s_delay_alu instid0(VALU_DEP_2) | instskip(NEXT) | instid1(VALU_DEP_3)
	v_lshlrev_b32_e32 v2, 20, v16
	v_lshl_add_u32 v1, v1, 23, 0x3c000000
	s_delay_alu instid0(VALU_DEP_3) | instskip(NEXT) | instid1(VALU_DEP_1)
	v_and_b32_e32 v0, 0x80000000, v0
	v_or3_b32 v67, v2, v0, v1
.LBB364_200:                            ;   in Loop: Header=BB364_10 Depth=1
	s_or_b32 exec_lo, exec_lo, s17
.LBB364_201:                            ;   in Loop: Header=BB364_10 Depth=1
	s_delay_alu instid0(SALU_CYCLE_1)
	s_or_b32 exec_lo, exec_lo, s16
.LBB364_202:                            ;   in Loop: Header=BB364_10 Depth=1
	s_delay_alu instid0(SALU_CYCLE_1)
	s_or_b32 exec_lo, exec_lo, s15
	flat_load_b64 v[12:13], v[38:39] offset:520
	s_mov_b32 s15, exec_lo
	s_wait_loadcnt_dscnt 0x0
	v_and_b32_e32 v0, 0xff, v12
	s_wait_xcnt 0x0
	s_delay_alu instid0(VALU_DEP_1)
	v_cmpx_ne_u16_e32 0, v0
	s_cbranch_execz .LBB364_210
; %bb.203:                              ;   in Loop: Header=BB364_10 Depth=1
	v_bfrev_b32_e32 v20, 1
	s_mov_b32 s16, exec_lo
	v_cmpx_ne_u16_e32 0x80, v0
	s_cbranch_execz .LBB364_209
; %bb.204:                              ;   in Loop: Header=BB364_10 Depth=1
	v_and_b32_e32 v1, 0x7f, v12
	v_mov_b32_e32 v20, 0x7f800001
	s_mov_b32 s17, exec_lo
	s_delay_alu instid0(VALU_DEP_2)
	v_cmpx_ne_u32_e32 0x7f, v1
	s_cbranch_execz .LBB364_208
; %bb.205:                              ;   in Loop: Header=BB364_10 Depth=1
	v_mov_b64_e32 v[14:15], v[12:13]
	v_lshrrev_b32_e32 v0, 3, v1
	s_mov_b32 s18, exec_lo
	v_cmpx_gt_u32_e32 8, v1
; %bb.206:                              ;   in Loop: Header=BB364_10 Depth=1
	v_and_b32_e32 v0, 7, v12
	s_delay_alu instid0(VALU_DEP_1) | instskip(NEXT) | instid1(VALU_DEP_1)
	v_clz_i32_u32_e32 v0, v0
	v_min_u32_e32 v0, 32, v0
	s_delay_alu instid0(VALU_DEP_1) | instskip(SKIP_1) | instid1(VALU_DEP_2)
	v_subrev_nc_u32_e32 v1, 28, v0
	v_sub_nc_u32_e32 v0, 29, v0
	v_lshlrev_b64_e32 v[14:15], v1, v[12:13]
; %bb.207:                              ;   in Loop: Header=BB364_10 Depth=1
	s_or_b32 exec_lo, exec_lo, s18
	s_delay_alu instid0(VALU_DEP_1) | instskip(NEXT) | instid1(VALU_DEP_3)
	v_dual_lshlrev_b32 v1, 20, v14 :: v_dual_lshlrev_b32 v2, 24, v12
	v_lshl_add_u32 v0, v0, 23, 0x3c000000
	s_delay_alu instid0(VALU_DEP_2) | instskip(NEXT) | instid1(VALU_DEP_3)
	v_and_b32_e32 v1, 0x700000, v1
	v_and_b32_e32 v2, 0x80000000, v2
	s_delay_alu instid0(VALU_DEP_1)
	v_or3_b32 v20, v1, v2, v0
.LBB364_208:                            ;   in Loop: Header=BB364_10 Depth=1
	s_or_b32 exec_lo, exec_lo, s17
.LBB364_209:                            ;   in Loop: Header=BB364_10 Depth=1
	s_delay_alu instid0(SALU_CYCLE_1)
	s_or_b32 exec_lo, exec_lo, s16
.LBB364_210:                            ;   in Loop: Header=BB364_10 Depth=1
	s_delay_alu instid0(SALU_CYCLE_1) | instskip(SKIP_3) | instid1(VALU_DEP_2)
	s_or_b32 exec_lo, exec_lo, s15
	v_lshrrev_b16 v0, 8, v12
	v_dual_mov_b32 v120, 0 :: v_dual_mov_b32 v121, 0
	s_mov_b32 s15, exec_lo
	v_cmpx_ne_u16_e32 0, v0
	s_cbranch_execz .LBB364_218
; %bb.211:                              ;   in Loop: Header=BB364_10 Depth=1
	v_bfrev_b32_e32 v121, 1
	s_mov_b32 s16, exec_lo
	v_cmpx_ne_u16_e32 0x80, v0
	s_cbranch_execz .LBB364_217
; %bb.212:                              ;   in Loop: Header=BB364_10 Depth=1
	v_and_b32_e32 v0, 0xffff, v0
	v_mov_b32_e32 v121, 0x7f800001
	s_mov_b32 s17, exec_lo
	s_delay_alu instid0(VALU_DEP_2) | instskip(NEXT) | instid1(VALU_DEP_1)
	v_and_b32_e32 v1, 0x7f, v0
	v_cmpx_ne_u32_e32 0x7f, v1
	s_cbranch_execz .LBB364_216
; %bb.213:                              ;   in Loop: Header=BB364_10 Depth=1
	v_dual_lshrrev_b32 v0, 3, v1 :: v_dual_bitop2_b32 v16, 7, v0 bitop3:0x40
	s_mov_b32 s18, exec_lo
	v_cmpx_gt_u32_e32 8, v1
; %bb.214:                              ;   in Loop: Header=BB364_10 Depth=1
	s_delay_alu instid0(VALU_DEP_2) | instskip(NEXT) | instid1(VALU_DEP_1)
	v_clz_i32_u32_e32 v0, v16
	v_min_u32_e32 v0, 32, v0
	s_delay_alu instid0(VALU_DEP_1) | instskip(NEXT) | instid1(VALU_DEP_1)
	v_subrev_nc_u32_e32 v1, 28, v0
	v_lshlrev_b64_e32 v[2:3], v1, v[16:17]
	s_delay_alu instid0(VALU_DEP_1)
	v_dual_sub_nc_u32 v0, 29, v0 :: v_dual_bitop2_b32 v16, 7, v2 bitop3:0x40
; %bb.215:                              ;   in Loop: Header=BB364_10 Depth=1
	s_or_b32 exec_lo, exec_lo, s18
	v_lshlrev_b32_e32 v1, 16, v12
	s_delay_alu instid0(VALU_DEP_2) | instskip(NEXT) | instid1(VALU_DEP_3)
	v_lshlrev_b32_e32 v2, 20, v16
	v_lshl_add_u32 v0, v0, 23, 0x3c000000
	s_delay_alu instid0(VALU_DEP_3) | instskip(NEXT) | instid1(VALU_DEP_1)
	v_and_b32_e32 v1, 0x80000000, v1
	v_or3_b32 v121, v2, v1, v0
.LBB364_216:                            ;   in Loop: Header=BB364_10 Depth=1
	s_or_b32 exec_lo, exec_lo, s17
.LBB364_217:                            ;   in Loop: Header=BB364_10 Depth=1
	s_delay_alu instid0(SALU_CYCLE_1)
	s_or_b32 exec_lo, exec_lo, s16
.LBB364_218:                            ;   in Loop: Header=BB364_10 Depth=1
	s_delay_alu instid0(SALU_CYCLE_1) | instskip(SKIP_2) | instid1(VALU_DEP_1)
	s_or_b32 exec_lo, exec_lo, s15
	v_lshrrev_b32_e32 v0, 16, v12
	s_mov_b32 s15, exec_lo
	v_and_b32_e32 v1, 0xff, v0
	s_delay_alu instid0(VALU_DEP_1)
	v_cmpx_ne_u16_e32 0, v1
	s_cbranch_execz .LBB364_226
; %bb.219:                              ;   in Loop: Header=BB364_10 Depth=1
	v_bfrev_b32_e32 v120, 1
	s_mov_b32 s16, exec_lo
	v_cmpx_ne_u16_e32 0x80, v1
	s_cbranch_execz .LBB364_225
; %bb.220:                              ;   in Loop: Header=BB364_10 Depth=1
	v_bfe_u32 v2, v12, 16, 7
	v_mov_b32_e32 v120, 0x7f800001
	s_mov_b32 s17, exec_lo
	s_delay_alu instid0(VALU_DEP_2)
	v_cmpx_ne_u32_e32 0x7f, v2
	s_cbranch_execz .LBB364_224
; %bb.221:                              ;   in Loop: Header=BB364_10 Depth=1
	v_dual_lshrrev_b32 v1, 3, v2 :: v_dual_bitop2_b32 v16, 7, v0 bitop3:0x40
	s_mov_b32 s18, exec_lo
	v_cmpx_gt_u32_e32 8, v2
; %bb.222:                              ;   in Loop: Header=BB364_10 Depth=1
	s_delay_alu instid0(VALU_DEP_2) | instskip(NEXT) | instid1(VALU_DEP_1)
	v_clz_i32_u32_e32 v1, v16
	v_min_u32_e32 v1, 32, v1
	s_delay_alu instid0(VALU_DEP_1) | instskip(NEXT) | instid1(VALU_DEP_1)
	v_subrev_nc_u32_e32 v2, 28, v1
	v_lshlrev_b64_e32 v[2:3], v2, v[16:17]
	s_delay_alu instid0(VALU_DEP_1)
	v_dual_sub_nc_u32 v1, 29, v1 :: v_dual_bitop2_b32 v16, 7, v2 bitop3:0x40
; %bb.223:                              ;   in Loop: Header=BB364_10 Depth=1
	s_or_b32 exec_lo, exec_lo, s18
	v_lshlrev_b32_e32 v0, 24, v0
	s_delay_alu instid0(VALU_DEP_2) | instskip(NEXT) | instid1(VALU_DEP_3)
	v_lshlrev_b32_e32 v2, 20, v16
	v_lshl_add_u32 v1, v1, 23, 0x3c000000
	s_delay_alu instid0(VALU_DEP_3) | instskip(NEXT) | instid1(VALU_DEP_1)
	v_and_b32_e32 v0, 0x80000000, v0
	v_or3_b32 v120, v2, v0, v1
.LBB364_224:                            ;   in Loop: Header=BB364_10 Depth=1
	s_or_b32 exec_lo, exec_lo, s17
.LBB364_225:                            ;   in Loop: Header=BB364_10 Depth=1
	s_delay_alu instid0(SALU_CYCLE_1)
	s_or_b32 exec_lo, exec_lo, s16
.LBB364_226:                            ;   in Loop: Header=BB364_10 Depth=1
	s_delay_alu instid0(SALU_CYCLE_1)
	s_or_b32 exec_lo, exec_lo, s15
	v_dual_mov_b32 v122, 0 :: v_dual_mov_b32 v123, 0
	s_mov_b32 s15, exec_lo
	v_cmpx_lt_u32_e32 0xffffff, v12
	s_cbranch_execz .LBB364_234
; %bb.227:                              ;   in Loop: Header=BB364_10 Depth=1
	v_lshrrev_b32_e32 v0, 24, v12
	v_bfrev_b32_e32 v123, 1
	s_mov_b32 s16, exec_lo
	s_delay_alu instid0(VALU_DEP_2)
	v_cmpx_ne_u32_e32 0x80, v0
	s_cbranch_execz .LBB364_233
; %bb.228:                              ;   in Loop: Header=BB364_10 Depth=1
	v_bfe_u32 v2, v12, 24, 7
	v_mov_b32_e32 v123, 0x7f800001
	s_mov_b32 s17, exec_lo
	s_delay_alu instid0(VALU_DEP_2)
	v_cmpx_ne_u32_e32 0x7f, v2
	s_cbranch_execz .LBB364_232
; %bb.229:                              ;   in Loop: Header=BB364_10 Depth=1
	v_dual_lshrrev_b32 v1, 3, v2 :: v_dual_bitop2_b32 v16, 7, v0 bitop3:0x40
	s_mov_b32 s18, exec_lo
	v_cmpx_gt_u32_e32 8, v2
; %bb.230:                              ;   in Loop: Header=BB364_10 Depth=1
	s_delay_alu instid0(VALU_DEP_2) | instskip(NEXT) | instid1(VALU_DEP_1)
	v_clz_i32_u32_e32 v1, v16
	v_min_u32_e32 v1, 32, v1
	s_delay_alu instid0(VALU_DEP_1) | instskip(NEXT) | instid1(VALU_DEP_1)
	v_subrev_nc_u32_e32 v2, 28, v1
	v_lshlrev_b64_e32 v[2:3], v2, v[16:17]
	s_delay_alu instid0(VALU_DEP_1)
	v_dual_sub_nc_u32 v1, 29, v1 :: v_dual_bitop2_b32 v16, 7, v2 bitop3:0x40
; %bb.231:                              ;   in Loop: Header=BB364_10 Depth=1
	s_or_b32 exec_lo, exec_lo, s18
	v_lshlrev_b32_e32 v0, 24, v0
	s_delay_alu instid0(VALU_DEP_2) | instskip(NEXT) | instid1(VALU_DEP_3)
	v_lshlrev_b32_e32 v2, 20, v16
	v_lshl_add_u32 v1, v1, 23, 0x3c000000
	s_delay_alu instid0(VALU_DEP_3) | instskip(NEXT) | instid1(VALU_DEP_1)
	v_and_b32_e32 v0, 0x80000000, v0
	v_or3_b32 v123, v2, v0, v1
.LBB364_232:                            ;   in Loop: Header=BB364_10 Depth=1
	s_or_b32 exec_lo, exec_lo, s17
.LBB364_233:                            ;   in Loop: Header=BB364_10 Depth=1
	s_delay_alu instid0(SALU_CYCLE_1)
	s_or_b32 exec_lo, exec_lo, s16
.LBB364_234:                            ;   in Loop: Header=BB364_10 Depth=1
	s_delay_alu instid0(SALU_CYCLE_1) | instskip(SKIP_3) | instid1(VALU_DEP_2)
	s_or_b32 exec_lo, exec_lo, s15
	v_and_b32_e32 v0, 0xff, v13
	v_mov_b32_e32 v16, v13
	s_mov_b32 s15, exec_lo
	v_cmpx_ne_u16_e32 0, v0
	s_cbranch_execz .LBB364_242
; %bb.235:                              ;   in Loop: Header=BB364_10 Depth=1
	v_bfrev_b32_e32 v122, 1
	s_mov_b32 s16, exec_lo
	v_cmpx_ne_u16_e32 0x80, v0
	s_cbranch_execz .LBB364_241
; %bb.236:                              ;   in Loop: Header=BB364_10 Depth=1
	v_and_b32_e32 v1, 0x7f, v13
	v_mov_b32_e32 v122, 0x7f800001
	s_mov_b32 s17, exec_lo
	s_delay_alu instid0(VALU_DEP_2)
	v_cmpx_ne_u32_e32 0x7f, v1
	s_cbranch_execz .LBB364_240
; %bb.237:                              ;   in Loop: Header=BB364_10 Depth=1
	v_mov_b64_e32 v[14:15], v[16:17]
	v_lshrrev_b32_e32 v0, 3, v1
	s_mov_b32 s18, exec_lo
	v_cmpx_gt_u32_e32 8, v1
; %bb.238:                              ;   in Loop: Header=BB364_10 Depth=1
	v_and_b32_e32 v0, 7, v13
	s_delay_alu instid0(VALU_DEP_1) | instskip(NEXT) | instid1(VALU_DEP_1)
	v_clz_i32_u32_e32 v0, v0
	v_min_u32_e32 v0, 32, v0
	s_delay_alu instid0(VALU_DEP_1) | instskip(SKIP_1) | instid1(VALU_DEP_2)
	v_subrev_nc_u32_e32 v1, 28, v0
	v_sub_nc_u32_e32 v0, 29, v0
	v_lshlrev_b64_e32 v[14:15], v1, v[16:17]
; %bb.239:                              ;   in Loop: Header=BB364_10 Depth=1
	s_or_b32 exec_lo, exec_lo, s18
	s_delay_alu instid0(VALU_DEP_1) | instskip(NEXT) | instid1(VALU_DEP_3)
	v_dual_lshlrev_b32 v1, 20, v14 :: v_dual_lshlrev_b32 v2, 24, v16
	v_lshl_add_u32 v0, v0, 23, 0x3c000000
	s_delay_alu instid0(VALU_DEP_2) | instskip(NEXT) | instid1(VALU_DEP_3)
	v_and_b32_e32 v1, 0x700000, v1
	v_and_b32_e32 v2, 0x80000000, v2
	s_delay_alu instid0(VALU_DEP_1)
	v_or3_b32 v122, v1, v2, v0
.LBB364_240:                            ;   in Loop: Header=BB364_10 Depth=1
	s_or_b32 exec_lo, exec_lo, s17
.LBB364_241:                            ;   in Loop: Header=BB364_10 Depth=1
	s_delay_alu instid0(SALU_CYCLE_1)
	s_or_b32 exec_lo, exec_lo, s16
.LBB364_242:                            ;   in Loop: Header=BB364_10 Depth=1
	s_delay_alu instid0(SALU_CYCLE_1) | instskip(SKIP_3) | instid1(VALU_DEP_2)
	s_or_b32 exec_lo, exec_lo, s15
	v_lshrrev_b16 v0, 8, v16
	v_dual_mov_b32 v124, 0 :: v_dual_mov_b32 v125, 0
	s_mov_b32 s15, exec_lo
	v_cmpx_ne_u16_e32 0, v0
	s_cbranch_execz .LBB364_250
; %bb.243:                              ;   in Loop: Header=BB364_10 Depth=1
	v_bfrev_b32_e32 v125, 1
	s_mov_b32 s16, exec_lo
	v_cmpx_ne_u16_e32 0x80, v0
	s_cbranch_execz .LBB364_249
; %bb.244:                              ;   in Loop: Header=BB364_10 Depth=1
	v_and_b32_e32 v0, 0xffff, v0
	v_mov_b32_e32 v125, 0x7f800001
	s_mov_b32 s17, exec_lo
	s_delay_alu instid0(VALU_DEP_2) | instskip(NEXT) | instid1(VALU_DEP_1)
	v_and_b32_e32 v1, 0x7f, v0
	v_cmpx_ne_u32_e32 0x7f, v1
	s_cbranch_execz .LBB364_248
; %bb.245:                              ;   in Loop: Header=BB364_10 Depth=1
	v_dual_mov_b32 v15, v17 :: v_dual_bitop2_b32 v14, 7, v0 bitop3:0x40
	v_lshrrev_b32_e32 v0, 3, v1
	s_mov_b32 s18, exec_lo
	v_cmpx_gt_u32_e32 8, v1
; %bb.246:                              ;   in Loop: Header=BB364_10 Depth=1
	s_delay_alu instid0(VALU_DEP_3) | instskip(NEXT) | instid1(VALU_DEP_1)
	v_clz_i32_u32_e32 v0, v14
	v_min_u32_e32 v0, 32, v0
	s_delay_alu instid0(VALU_DEP_1) | instskip(NEXT) | instid1(VALU_DEP_1)
	v_subrev_nc_u32_e32 v1, 28, v0
	v_lshlrev_b64_e32 v[2:3], v1, v[14:15]
	s_delay_alu instid0(VALU_DEP_1)
	v_dual_sub_nc_u32 v0, 29, v0 :: v_dual_bitop2_b32 v14, 7, v2 bitop3:0x40
; %bb.247:                              ;   in Loop: Header=BB364_10 Depth=1
	s_or_b32 exec_lo, exec_lo, s18
	s_delay_alu instid0(VALU_DEP_1) | instskip(NEXT) | instid1(VALU_DEP_2)
	v_dual_lshlrev_b32 v1, 16, v16 :: v_dual_lshlrev_b32 v2, 20, v14
	v_lshl_add_u32 v0, v0, 23, 0x3c000000
	s_delay_alu instid0(VALU_DEP_2) | instskip(NEXT) | instid1(VALU_DEP_1)
	v_and_b32_e32 v1, 0x80000000, v1
	v_or3_b32 v125, v2, v1, v0
.LBB364_248:                            ;   in Loop: Header=BB364_10 Depth=1
	s_or_b32 exec_lo, exec_lo, s17
.LBB364_249:                            ;   in Loop: Header=BB364_10 Depth=1
	s_delay_alu instid0(SALU_CYCLE_1)
	s_or_b32 exec_lo, exec_lo, s16
.LBB364_250:                            ;   in Loop: Header=BB364_10 Depth=1
	s_delay_alu instid0(SALU_CYCLE_1) | instskip(SKIP_2) | instid1(VALU_DEP_1)
	s_or_b32 exec_lo, exec_lo, s15
	v_lshrrev_b32_e32 v0, 16, v13
	s_mov_b32 s15, exec_lo
	v_and_b32_e32 v1, 0xff, v0
	s_delay_alu instid0(VALU_DEP_1)
	v_cmpx_ne_u16_e32 0, v1
	s_cbranch_execz .LBB364_258
; %bb.251:                              ;   in Loop: Header=BB364_10 Depth=1
	v_bfrev_b32_e32 v124, 1
	s_mov_b32 s16, exec_lo
	v_cmpx_ne_u16_e32 0x80, v1
	s_cbranch_execz .LBB364_257
; %bb.252:                              ;   in Loop: Header=BB364_10 Depth=1
	v_bfe_u32 v2, v13, 16, 7
	v_mov_b32_e32 v124, 0x7f800001
	s_mov_b32 s17, exec_lo
	s_delay_alu instid0(VALU_DEP_2)
	v_cmpx_ne_u32_e32 0x7f, v2
	s_cbranch_execz .LBB364_256
; %bb.253:                              ;   in Loop: Header=BB364_10 Depth=1
	v_dual_lshrrev_b32 v1, 3, v2 :: v_dual_bitop2_b32 v16, 7, v0 bitop3:0x40
	s_mov_b32 s18, exec_lo
	v_cmpx_gt_u32_e32 8, v2
; %bb.254:                              ;   in Loop: Header=BB364_10 Depth=1
	s_delay_alu instid0(VALU_DEP_2) | instskip(NEXT) | instid1(VALU_DEP_1)
	v_clz_i32_u32_e32 v1, v16
	v_min_u32_e32 v1, 32, v1
	s_delay_alu instid0(VALU_DEP_1) | instskip(NEXT) | instid1(VALU_DEP_1)
	v_subrev_nc_u32_e32 v2, 28, v1
	v_lshlrev_b64_e32 v[2:3], v2, v[16:17]
	s_delay_alu instid0(VALU_DEP_1)
	v_dual_sub_nc_u32 v1, 29, v1 :: v_dual_bitop2_b32 v16, 7, v2 bitop3:0x40
; %bb.255:                              ;   in Loop: Header=BB364_10 Depth=1
	s_or_b32 exec_lo, exec_lo, s18
	v_lshlrev_b32_e32 v0, 24, v0
	s_delay_alu instid0(VALU_DEP_2) | instskip(NEXT) | instid1(VALU_DEP_3)
	v_lshlrev_b32_e32 v2, 20, v16
	v_lshl_add_u32 v1, v1, 23, 0x3c000000
	s_delay_alu instid0(VALU_DEP_3) | instskip(NEXT) | instid1(VALU_DEP_1)
	v_and_b32_e32 v0, 0x80000000, v0
	v_or3_b32 v124, v2, v0, v1
.LBB364_256:                            ;   in Loop: Header=BB364_10 Depth=1
	s_or_b32 exec_lo, exec_lo, s17
.LBB364_257:                            ;   in Loop: Header=BB364_10 Depth=1
	s_delay_alu instid0(SALU_CYCLE_1)
	s_or_b32 exec_lo, exec_lo, s16
.LBB364_258:                            ;   in Loop: Header=BB364_10 Depth=1
	s_delay_alu instid0(SALU_CYCLE_1)
	s_or_b32 exec_lo, exec_lo, s15
	v_dual_mov_b32 v127, 0 :: v_dual_mov_b32 v126, 0
	s_mov_b32 s15, exec_lo
	v_cmpx_lt_u64_e64 s[2:3], v[12:13]
	s_cbranch_execz .LBB364_266
; %bb.259:                              ;   in Loop: Header=BB364_10 Depth=1
	v_lshrrev_b32_e32 v0, 24, v13
	v_bfrev_b32_e32 v126, 1
	s_mov_b32 s16, exec_lo
	s_delay_alu instid0(VALU_DEP_2)
	v_cmpx_ne_u32_e32 0x80, v0
	s_cbranch_execz .LBB364_265
; %bb.260:                              ;   in Loop: Header=BB364_10 Depth=1
	v_bfe_u32 v2, v13, 24, 7
	v_mov_b32_e32 v126, 0x7f800001
	s_mov_b32 s17, exec_lo
	s_delay_alu instid0(VALU_DEP_2)
	v_cmpx_ne_u32_e32 0x7f, v2
	s_cbranch_execz .LBB364_264
; %bb.261:                              ;   in Loop: Header=BB364_10 Depth=1
	v_dual_lshrrev_b32 v1, 3, v2 :: v_dual_bitop2_b32 v16, 7, v0 bitop3:0x40
	s_mov_b32 s18, exec_lo
	v_cmpx_gt_u32_e32 8, v2
; %bb.262:                              ;   in Loop: Header=BB364_10 Depth=1
	s_delay_alu instid0(VALU_DEP_2) | instskip(NEXT) | instid1(VALU_DEP_1)
	v_clz_i32_u32_e32 v1, v16
	v_min_u32_e32 v1, 32, v1
	s_delay_alu instid0(VALU_DEP_1) | instskip(NEXT) | instid1(VALU_DEP_1)
	v_subrev_nc_u32_e32 v2, 28, v1
	v_lshlrev_b64_e32 v[2:3], v2, v[16:17]
	s_delay_alu instid0(VALU_DEP_1)
	v_dual_sub_nc_u32 v1, 29, v1 :: v_dual_bitop2_b32 v16, 7, v2 bitop3:0x40
; %bb.263:                              ;   in Loop: Header=BB364_10 Depth=1
	s_or_b32 exec_lo, exec_lo, s18
	v_lshlrev_b32_e32 v0, 24, v0
	s_delay_alu instid0(VALU_DEP_2) | instskip(NEXT) | instid1(VALU_DEP_3)
	v_lshlrev_b32_e32 v2, 20, v16
	v_lshl_add_u32 v1, v1, 23, 0x3c000000
	s_delay_alu instid0(VALU_DEP_3) | instskip(NEXT) | instid1(VALU_DEP_1)
	v_and_b32_e32 v0, 0x80000000, v0
	v_or3_b32 v126, v2, v0, v1
.LBB364_264:                            ;   in Loop: Header=BB364_10 Depth=1
	s_or_b32 exec_lo, exec_lo, s17
.LBB364_265:                            ;   in Loop: Header=BB364_10 Depth=1
	s_delay_alu instid0(SALU_CYCLE_1)
	s_or_b32 exec_lo, exec_lo, s16
.LBB364_266:                            ;   in Loop: Header=BB364_10 Depth=1
	s_delay_alu instid0(SALU_CYCLE_1)
	s_or_b32 exec_lo, exec_lo, s15
	flat_load_b64 v[12:13], v[38:39] offset:1024
	s_mov_b32 s15, exec_lo
	s_wait_loadcnt_dscnt 0x0
	v_and_b32_e32 v0, 0xff, v12
	s_wait_xcnt 0x0
	s_delay_alu instid0(VALU_DEP_1)
	v_cmpx_ne_u16_e32 0, v0
	s_cbranch_execz .LBB364_274
; %bb.267:                              ;   in Loop: Header=BB364_10 Depth=1
	v_bfrev_b32_e32 v127, 1
	s_mov_b32 s16, exec_lo
	v_cmpx_ne_u16_e32 0x80, v0
	s_cbranch_execz .LBB364_273
; %bb.268:                              ;   in Loop: Header=BB364_10 Depth=1
	v_and_b32_e32 v1, 0x7f, v12
	v_mov_b32_e32 v127, 0x7f800001
	s_mov_b32 s17, exec_lo
	s_delay_alu instid0(VALU_DEP_2)
	v_cmpx_ne_u32_e32 0x7f, v1
	s_cbranch_execz .LBB364_272
; %bb.269:                              ;   in Loop: Header=BB364_10 Depth=1
	v_mov_b64_e32 v[14:15], v[12:13]
	v_lshrrev_b32_e32 v0, 3, v1
	s_mov_b32 s18, exec_lo
	v_cmpx_gt_u32_e32 8, v1
; %bb.270:                              ;   in Loop: Header=BB364_10 Depth=1
	v_and_b32_e32 v0, 7, v12
	s_delay_alu instid0(VALU_DEP_1) | instskip(NEXT) | instid1(VALU_DEP_1)
	v_clz_i32_u32_e32 v0, v0
	v_min_u32_e32 v0, 32, v0
	s_delay_alu instid0(VALU_DEP_1) | instskip(SKIP_1) | instid1(VALU_DEP_2)
	v_subrev_nc_u32_e32 v1, 28, v0
	v_sub_nc_u32_e32 v0, 29, v0
	v_lshlrev_b64_e32 v[14:15], v1, v[12:13]
; %bb.271:                              ;   in Loop: Header=BB364_10 Depth=1
	s_or_b32 exec_lo, exec_lo, s18
	s_delay_alu instid0(VALU_DEP_1) | instskip(NEXT) | instid1(VALU_DEP_3)
	v_dual_lshlrev_b32 v1, 20, v14 :: v_dual_lshlrev_b32 v2, 24, v12
	v_lshl_add_u32 v0, v0, 23, 0x3c000000
	s_delay_alu instid0(VALU_DEP_2) | instskip(NEXT) | instid1(VALU_DEP_3)
	v_and_b32_e32 v1, 0x700000, v1
	v_and_b32_e32 v2, 0x80000000, v2
	s_delay_alu instid0(VALU_DEP_1)
	v_or3_b32 v127, v1, v2, v0
.LBB364_272:                            ;   in Loop: Header=BB364_10 Depth=1
	s_or_b32 exec_lo, exec_lo, s17
.LBB364_273:                            ;   in Loop: Header=BB364_10 Depth=1
	s_delay_alu instid0(SALU_CYCLE_1)
	s_or_b32 exec_lo, exec_lo, s16
.LBB364_274:                            ;   in Loop: Header=BB364_10 Depth=1
	s_delay_alu instid0(SALU_CYCLE_1) | instskip(SKIP_3) | instid1(VALU_DEP_2)
	s_or_b32 exec_lo, exec_lo, s15
	v_lshrrev_b16 v0, 8, v12
	v_dual_mov_b32 v2, 0 :: v_dual_mov_b32 v3, 0
	s_mov_b32 s15, exec_lo
	v_cmpx_ne_u16_e32 0, v0
	s_cbranch_execz .LBB364_282
; %bb.275:                              ;   in Loop: Header=BB364_10 Depth=1
	v_bfrev_b32_e32 v3, 1
	s_mov_b32 s16, exec_lo
	v_cmpx_ne_u16_e32 0x80, v0
	s_cbranch_execz .LBB364_281
; %bb.276:                              ;   in Loop: Header=BB364_10 Depth=1
	v_and_b32_e32 v0, 0xffff, v0
	v_mov_b32_e32 v3, 0x7f800001
	s_mov_b32 s17, exec_lo
	s_delay_alu instid0(VALU_DEP_2) | instskip(NEXT) | instid1(VALU_DEP_1)
	v_and_b32_e32 v1, 0x7f, v0
	v_cmpx_ne_u32_e32 0x7f, v1
	s_cbranch_execz .LBB364_280
; %bb.277:                              ;   in Loop: Header=BB364_10 Depth=1
	v_dual_lshrrev_b32 v0, 3, v1 :: v_dual_bitop2_b32 v16, 7, v0 bitop3:0x40
	s_mov_b32 s18, exec_lo
	v_cmpx_gt_u32_e32 8, v1
; %bb.278:                              ;   in Loop: Header=BB364_10 Depth=1
	s_delay_alu instid0(VALU_DEP_2) | instskip(NEXT) | instid1(VALU_DEP_1)
	v_clz_i32_u32_e32 v0, v16
	v_min_u32_e32 v0, 32, v0
	s_delay_alu instid0(VALU_DEP_1) | instskip(NEXT) | instid1(VALU_DEP_1)
	v_subrev_nc_u32_e32 v1, 28, v0
	v_lshlrev_b64_e32 v[14:15], v1, v[16:17]
	s_delay_alu instid0(VALU_DEP_1)
	v_dual_sub_nc_u32 v0, 29, v0 :: v_dual_bitop2_b32 v16, 7, v14 bitop3:0x40
; %bb.279:                              ;   in Loop: Header=BB364_10 Depth=1
	s_or_b32 exec_lo, exec_lo, s18
	v_lshlrev_b32_e32 v1, 16, v12
	s_delay_alu instid0(VALU_DEP_2) | instskip(NEXT) | instid1(VALU_DEP_3)
	v_lshlrev_b32_e32 v3, 20, v16
	v_lshl_add_u32 v0, v0, 23, 0x3c000000
	s_delay_alu instid0(VALU_DEP_3) | instskip(NEXT) | instid1(VALU_DEP_1)
	v_and_b32_e32 v1, 0x80000000, v1
	v_or3_b32 v3, v3, v1, v0
.LBB364_280:                            ;   in Loop: Header=BB364_10 Depth=1
	s_or_b32 exec_lo, exec_lo, s17
.LBB364_281:                            ;   in Loop: Header=BB364_10 Depth=1
	s_delay_alu instid0(SALU_CYCLE_1)
	s_or_b32 exec_lo, exec_lo, s16
.LBB364_282:                            ;   in Loop: Header=BB364_10 Depth=1
	s_delay_alu instid0(SALU_CYCLE_1) | instskip(SKIP_2) | instid1(VALU_DEP_1)
	s_or_b32 exec_lo, exec_lo, s15
	v_lshrrev_b32_e32 v0, 16, v12
	s_mov_b32 s15, exec_lo
	v_and_b32_e32 v1, 0xff, v0
	s_delay_alu instid0(VALU_DEP_1)
	v_cmpx_ne_u16_e32 0, v1
	s_cbranch_execz .LBB364_290
; %bb.283:                              ;   in Loop: Header=BB364_10 Depth=1
	v_bfrev_b32_e32 v2, 1
	s_mov_b32 s16, exec_lo
	v_cmpx_ne_u16_e32 0x80, v1
	s_cbranch_execz .LBB364_289
; %bb.284:                              ;   in Loop: Header=BB364_10 Depth=1
	v_bfe_u32 v14, v12, 16, 7
	v_mov_b32_e32 v2, 0x7f800001
	s_mov_b32 s17, exec_lo
	s_delay_alu instid0(VALU_DEP_2)
	v_cmpx_ne_u32_e32 0x7f, v14
	s_cbranch_execz .LBB364_288
; %bb.285:                              ;   in Loop: Header=BB364_10 Depth=1
	v_dual_lshrrev_b32 v1, 3, v14 :: v_dual_bitop2_b32 v16, 7, v0 bitop3:0x40
	s_mov_b32 s18, exec_lo
	v_cmpx_gt_u32_e32 8, v14
; %bb.286:                              ;   in Loop: Header=BB364_10 Depth=1
	s_delay_alu instid0(VALU_DEP_2) | instskip(NEXT) | instid1(VALU_DEP_1)
	v_clz_i32_u32_e32 v1, v16
	v_min_u32_e32 v1, 32, v1
	s_delay_alu instid0(VALU_DEP_1) | instskip(NEXT) | instid1(VALU_DEP_1)
	v_subrev_nc_u32_e32 v2, 28, v1
	v_lshlrev_b64_e32 v[14:15], v2, v[16:17]
	s_delay_alu instid0(VALU_DEP_1)
	v_dual_sub_nc_u32 v1, 29, v1 :: v_dual_bitop2_b32 v16, 7, v14 bitop3:0x40
; %bb.287:                              ;   in Loop: Header=BB364_10 Depth=1
	s_or_b32 exec_lo, exec_lo, s18
	v_lshlrev_b32_e32 v0, 24, v0
	s_delay_alu instid0(VALU_DEP_2) | instskip(NEXT) | instid1(VALU_DEP_3)
	v_lshlrev_b32_e32 v2, 20, v16
	v_lshl_add_u32 v1, v1, 23, 0x3c000000
	s_delay_alu instid0(VALU_DEP_3) | instskip(NEXT) | instid1(VALU_DEP_1)
	v_and_b32_e32 v0, 0x80000000, v0
	v_or3_b32 v2, v2, v0, v1
.LBB364_288:                            ;   in Loop: Header=BB364_10 Depth=1
	s_or_b32 exec_lo, exec_lo, s17
.LBB364_289:                            ;   in Loop: Header=BB364_10 Depth=1
	s_delay_alu instid0(SALU_CYCLE_1)
	s_or_b32 exec_lo, exec_lo, s16
.LBB364_290:                            ;   in Loop: Header=BB364_10 Depth=1
	s_delay_alu instid0(SALU_CYCLE_1)
	s_or_b32 exec_lo, exec_lo, s15
	v_dual_mov_b32 v0, 0 :: v_dual_mov_b32 v1, 0
	s_mov_b32 s15, exec_lo
	v_cmpx_lt_u32_e32 0xffffff, v12
	s_cbranch_execz .LBB364_298
; %bb.291:                              ;   in Loop: Header=BB364_10 Depth=1
	v_lshrrev_b32_e32 v14, 24, v12
	v_bfrev_b32_e32 v1, 1
	s_mov_b32 s16, exec_lo
	s_delay_alu instid0(VALU_DEP_2)
	v_cmpx_ne_u32_e32 0x80, v14
	s_cbranch_execz .LBB364_297
; %bb.292:                              ;   in Loop: Header=BB364_10 Depth=1
	v_bfe_u32 v15, v12, 24, 7
	v_mov_b32_e32 v1, 0x7f800001
	s_mov_b32 s17, exec_lo
	s_delay_alu instid0(VALU_DEP_2)
	v_cmpx_ne_u32_e32 0x7f, v15
	s_cbranch_execz .LBB364_296
; %bb.293:                              ;   in Loop: Header=BB364_10 Depth=1
	v_dual_lshrrev_b32 v1, 3, v15 :: v_dual_bitop2_b32 v16, 7, v14 bitop3:0x40
	s_mov_b32 s18, exec_lo
	v_cmpx_gt_u32_e32 8, v15
; %bb.294:                              ;   in Loop: Header=BB364_10 Depth=1
	s_delay_alu instid0(VALU_DEP_2) | instskip(NEXT) | instid1(VALU_DEP_1)
	v_clz_i32_u32_e32 v1, v16
	v_min_u32_e32 v1, 32, v1
	s_delay_alu instid0(VALU_DEP_1) | instskip(NEXT) | instid1(VALU_DEP_1)
	v_subrev_nc_u32_e32 v6, 28, v1
	v_lshlrev_b64_e32 v[22:23], v6, v[16:17]
	s_delay_alu instid0(VALU_DEP_1)
	v_dual_sub_nc_u32 v1, 29, v1 :: v_dual_bitop2_b32 v16, 7, v22 bitop3:0x40
; %bb.295:                              ;   in Loop: Header=BB364_10 Depth=1
	s_or_b32 exec_lo, exec_lo, s18
	s_delay_alu instid0(VALU_DEP_1) | instskip(NEXT) | instid1(VALU_DEP_2)
	v_dual_lshlrev_b32 v6, 24, v14 :: v_dual_lshlrev_b32 v7, 20, v16
	v_lshl_add_u32 v1, v1, 23, 0x3c000000
	s_delay_alu instid0(VALU_DEP_2) | instskip(NEXT) | instid1(VALU_DEP_1)
	v_and_b32_e32 v6, 0x80000000, v6
	v_or3_b32 v1, v7, v6, v1
.LBB364_296:                            ;   in Loop: Header=BB364_10 Depth=1
	s_or_b32 exec_lo, exec_lo, s17
.LBB364_297:                            ;   in Loop: Header=BB364_10 Depth=1
	s_delay_alu instid0(SALU_CYCLE_1)
	s_or_b32 exec_lo, exec_lo, s16
.LBB364_298:                            ;   in Loop: Header=BB364_10 Depth=1
	s_delay_alu instid0(SALU_CYCLE_1) | instskip(SKIP_3) | instid1(VALU_DEP_2)
	s_or_b32 exec_lo, exec_lo, s15
	v_and_b32_e32 v14, 0xff, v13
	v_mov_b32_e32 v16, v13
	s_mov_b32 s15, exec_lo
	v_cmpx_ne_u16_e32 0, v14
	s_cbranch_execz .LBB364_306
; %bb.299:                              ;   in Loop: Header=BB364_10 Depth=1
	v_bfrev_b32_e32 v0, 1
	s_mov_b32 s16, exec_lo
	v_cmpx_ne_u16_e32 0x80, v14
	s_cbranch_execz .LBB364_305
; %bb.300:                              ;   in Loop: Header=BB364_10 Depth=1
	v_and_b32_e32 v14, 0x7f, v13
	v_mov_b32_e32 v0, 0x7f800001
	s_mov_b32 s17, exec_lo
	s_delay_alu instid0(VALU_DEP_2)
	v_cmpx_ne_u32_e32 0x7f, v14
	s_cbranch_execz .LBB364_304
; %bb.301:                              ;   in Loop: Header=BB364_10 Depth=1
	v_lshrrev_b32_e32 v0, 3, v14
	v_cmp_gt_u32_e64 s1, 8, v14
	v_mov_b64_e32 v[14:15], v[16:17]
	s_and_saveexec_b32 s18, s1
; %bb.302:                              ;   in Loop: Header=BB364_10 Depth=1
	v_and_b32_e32 v0, 7, v13
	s_delay_alu instid0(VALU_DEP_1) | instskip(NEXT) | instid1(VALU_DEP_1)
	v_clz_i32_u32_e32 v0, v0
	v_min_u32_e32 v0, 32, v0
	s_delay_alu instid0(VALU_DEP_1) | instskip(SKIP_1) | instid1(VALU_DEP_2)
	v_subrev_nc_u32_e32 v6, 28, v0
	v_sub_nc_u32_e32 v0, 29, v0
	v_lshlrev_b64_e32 v[14:15], v6, v[16:17]
; %bb.303:                              ;   in Loop: Header=BB364_10 Depth=1
	s_or_b32 exec_lo, exec_lo, s18
	s_delay_alu instid0(VALU_DEP_1) | instskip(NEXT) | instid1(VALU_DEP_3)
	v_dual_lshlrev_b32 v6, 20, v14 :: v_dual_lshlrev_b32 v7, 24, v16
	v_lshl_add_u32 v0, v0, 23, 0x3c000000
	s_delay_alu instid0(VALU_DEP_2) | instskip(NEXT) | instid1(VALU_DEP_3)
	v_and_b32_e32 v6, 0x700000, v6
	v_and_b32_e32 v7, 0x80000000, v7
	s_delay_alu instid0(VALU_DEP_1)
	v_or3_b32 v0, v6, v7, v0
.LBB364_304:                            ;   in Loop: Header=BB364_10 Depth=1
	s_or_b32 exec_lo, exec_lo, s17
.LBB364_305:                            ;   in Loop: Header=BB364_10 Depth=1
	s_delay_alu instid0(SALU_CYCLE_1)
	s_or_b32 exec_lo, exec_lo, s16
.LBB364_306:                            ;   in Loop: Header=BB364_10 Depth=1
	s_delay_alu instid0(SALU_CYCLE_1) | instskip(SKIP_3) | instid1(VALU_DEP_2)
	s_or_b32 exec_lo, exec_lo, s15
	v_lshrrev_b16 v14, 8, v16
	v_dual_mov_b32 v22, 0 :: v_dual_mov_b32 v23, 0
	s_mov_b32 s15, exec_lo
	v_cmpx_ne_u16_e32 0, v14
	s_cbranch_execz .LBB364_314
; %bb.307:                              ;   in Loop: Header=BB364_10 Depth=1
	v_bfrev_b32_e32 v23, 1
	s_mov_b32 s16, exec_lo
	v_cmpx_ne_u16_e32 0x80, v14
	s_cbranch_execz .LBB364_313
; %bb.308:                              ;   in Loop: Header=BB364_10 Depth=1
	v_and_b32_e32 v14, 0xffff, v14
	v_mov_b32_e32 v23, 0x7f800001
	s_mov_b32 s17, exec_lo
	s_delay_alu instid0(VALU_DEP_2) | instskip(NEXT) | instid1(VALU_DEP_1)
	v_and_b32_e32 v24, 0x7f, v14
	v_cmpx_ne_u32_e32 0x7f, v24
	s_cbranch_execz .LBB364_312
; %bb.309:                              ;   in Loop: Header=BB364_10 Depth=1
	v_dual_mov_b32 v15, v17 :: v_dual_bitop2_b32 v14, 7, v14 bitop3:0x40
	v_lshrrev_b32_e32 v21, 3, v24
	s_mov_b32 s18, exec_lo
	v_cmpx_gt_u32_e32 8, v24
; %bb.310:                              ;   in Loop: Header=BB364_10 Depth=1
	s_delay_alu instid0(VALU_DEP_3) | instskip(NEXT) | instid1(VALU_DEP_1)
	v_clz_i32_u32_e32 v6, v14
	v_min_u32_e32 v6, 32, v6
	s_delay_alu instid0(VALU_DEP_1) | instskip(SKIP_1) | instid1(VALU_DEP_2)
	v_subrev_nc_u32_e32 v7, 28, v6
	v_sub_nc_u32_e32 v21, 29, v6
	v_lshlrev_b64_e32 v[14:15], v7, v[14:15]
	s_delay_alu instid0(VALU_DEP_1)
	v_and_b32_e32 v14, 7, v14
; %bb.311:                              ;   in Loop: Header=BB364_10 Depth=1
	s_or_b32 exec_lo, exec_lo, s18
	s_delay_alu instid0(VALU_DEP_1) | instskip(SKIP_1) | instid1(VALU_DEP_2)
	v_dual_lshlrev_b32 v6, 16, v16 :: v_dual_lshlrev_b32 v7, 20, v14
	v_lshl_add_u32 v14, v21, 23, 0x3c000000
	v_and_b32_e32 v6, 0x80000000, v6
	s_delay_alu instid0(VALU_DEP_1)
	v_or3_b32 v23, v7, v6, v14
.LBB364_312:                            ;   in Loop: Header=BB364_10 Depth=1
	s_or_b32 exec_lo, exec_lo, s17
.LBB364_313:                            ;   in Loop: Header=BB364_10 Depth=1
	s_delay_alu instid0(SALU_CYCLE_1)
	s_or_b32 exec_lo, exec_lo, s16
.LBB364_314:                            ;   in Loop: Header=BB364_10 Depth=1
	s_delay_alu instid0(SALU_CYCLE_1) | instskip(SKIP_2) | instid1(VALU_DEP_1)
	s_or_b32 exec_lo, exec_lo, s15
	v_lshrrev_b32_e32 v14, 16, v13
	s_mov_b32 s15, exec_lo
	v_and_b32_e32 v15, 0xff, v14
	s_delay_alu instid0(VALU_DEP_1)
	v_cmpx_ne_u16_e32 0, v15
	s_cbranch_execz .LBB364_322
; %bb.315:                              ;   in Loop: Header=BB364_10 Depth=1
	v_bfrev_b32_e32 v22, 1
	s_mov_b32 s16, exec_lo
	v_cmpx_ne_u16_e32 0x80, v15
	s_cbranch_execz .LBB364_321
; %bb.316:                              ;   in Loop: Header=BB364_10 Depth=1
	v_bfe_u32 v21, v13, 16, 7
	v_mov_b32_e32 v22, 0x7f800001
	s_mov_b32 s17, exec_lo
	s_delay_alu instid0(VALU_DEP_2)
	v_cmpx_ne_u32_e32 0x7f, v21
	s_cbranch_execz .LBB364_320
; %bb.317:                              ;   in Loop: Header=BB364_10 Depth=1
	v_dual_lshrrev_b32 v15, 3, v21 :: v_dual_bitop2_b32 v16, 7, v14 bitop3:0x40
	s_mov_b32 s18, exec_lo
	v_cmpx_gt_u32_e32 8, v21
; %bb.318:                              ;   in Loop: Header=BB364_10 Depth=1
	s_delay_alu instid0(VALU_DEP_2) | instskip(NEXT) | instid1(VALU_DEP_1)
	v_clz_i32_u32_e32 v6, v16
	v_min_u32_e32 v6, 32, v6
	s_delay_alu instid0(VALU_DEP_1) | instskip(NEXT) | instid1(VALU_DEP_1)
	v_subrev_nc_u32_e32 v7, 28, v6
	v_lshlrev_b64_e32 v[24:25], v7, v[16:17]
	s_delay_alu instid0(VALU_DEP_1)
	v_dual_sub_nc_u32 v15, 29, v6 :: v_dual_bitop2_b32 v16, 7, v24 bitop3:0x40
; %bb.319:                              ;   in Loop: Header=BB364_10 Depth=1
	s_or_b32 exec_lo, exec_lo, s18
	s_delay_alu instid0(VALU_DEP_1) | instskip(NEXT) | instid1(VALU_DEP_2)
	v_dual_lshlrev_b32 v6, 24, v14 :: v_dual_lshlrev_b32 v7, 20, v16
	v_lshl_add_u32 v14, v15, 23, 0x3c000000
	s_delay_alu instid0(VALU_DEP_2) | instskip(NEXT) | instid1(VALU_DEP_1)
	v_and_b32_e32 v6, 0x80000000, v6
	v_or3_b32 v22, v7, v6, v14
.LBB364_320:                            ;   in Loop: Header=BB364_10 Depth=1
	s_or_b32 exec_lo, exec_lo, s17
.LBB364_321:                            ;   in Loop: Header=BB364_10 Depth=1
	s_delay_alu instid0(SALU_CYCLE_1)
	s_or_b32 exec_lo, exec_lo, s16
.LBB364_322:                            ;   in Loop: Header=BB364_10 Depth=1
	s_delay_alu instid0(SALU_CYCLE_1)
	s_or_b32 exec_lo, exec_lo, s15
	v_dual_mov_b32 v68, 0 :: v_dual_mov_b32 v107, 0
	s_mov_b32 s15, exec_lo
	v_cmpx_lt_u64_e64 s[2:3], v[12:13]
	s_cbranch_execz .LBB364_330
; %bb.323:                              ;   in Loop: Header=BB364_10 Depth=1
	v_lshrrev_b32_e32 v12, 24, v13
	v_bfrev_b32_e32 v107, 1
	s_mov_b32 s16, exec_lo
	s_delay_alu instid0(VALU_DEP_2)
	v_cmpx_ne_u32_e32 0x80, v12
	s_cbranch_execz .LBB364_329
; %bb.324:                              ;   in Loop: Header=BB364_10 Depth=1
	v_bfe_u32 v14, v13, 24, 7
	v_mov_b32_e32 v107, 0x7f800001
	s_mov_b32 s17, exec_lo
	s_delay_alu instid0(VALU_DEP_2)
	v_cmpx_ne_u32_e32 0x7f, v14
	s_cbranch_execz .LBB364_328
; %bb.325:                              ;   in Loop: Header=BB364_10 Depth=1
	v_dual_lshrrev_b32 v13, 3, v14 :: v_dual_bitop2_b32 v16, 7, v12 bitop3:0x40
	s_mov_b32 s18, exec_lo
	v_cmpx_gt_u32_e32 8, v14
; %bb.326:                              ;   in Loop: Header=BB364_10 Depth=1
	s_delay_alu instid0(VALU_DEP_2) | instskip(NEXT) | instid1(VALU_DEP_1)
	v_clz_i32_u32_e32 v6, v16
	v_min_u32_e32 v6, 32, v6
	s_delay_alu instid0(VALU_DEP_1) | instskip(SKIP_1) | instid1(VALU_DEP_2)
	v_subrev_nc_u32_e32 v7, 28, v6
	v_sub_nc_u32_e32 v13, 29, v6
	v_lshlrev_b64_e32 v[14:15], v7, v[16:17]
	s_delay_alu instid0(VALU_DEP_1)
	v_and_b32_e32 v16, 7, v14
; %bb.327:                              ;   in Loop: Header=BB364_10 Depth=1
	s_or_b32 exec_lo, exec_lo, s18
	v_lshlrev_b32_e32 v6, 24, v12
	s_delay_alu instid0(VALU_DEP_2) | instskip(SKIP_1) | instid1(VALU_DEP_3)
	v_lshlrev_b32_e32 v7, 20, v16
	v_lshl_add_u32 v12, v13, 23, 0x3c000000
	v_and_b32_e32 v6, 0x80000000, v6
	s_delay_alu instid0(VALU_DEP_1)
	v_or3_b32 v107, v7, v6, v12
.LBB364_328:                            ;   in Loop: Header=BB364_10 Depth=1
	s_or_b32 exec_lo, exec_lo, s17
.LBB364_329:                            ;   in Loop: Header=BB364_10 Depth=1
	s_delay_alu instid0(SALU_CYCLE_1)
	s_or_b32 exec_lo, exec_lo, s16
.LBB364_330:                            ;   in Loop: Header=BB364_10 Depth=1
	s_delay_alu instid0(SALU_CYCLE_1)
	s_or_b32 exec_lo, exec_lo, s15
	flat_load_b64 v[12:13], v[38:39] offset:1032
	s_mov_b32 s15, exec_lo
	s_wait_loadcnt_dscnt 0x0
	v_and_b32_e32 v14, 0xff, v12
	s_wait_xcnt 0x0
	s_delay_alu instid0(VALU_DEP_1)
	v_cmpx_ne_u16_e32 0, v14
	s_cbranch_execz .LBB364_338
; %bb.331:                              ;   in Loop: Header=BB364_10 Depth=1
	v_bfrev_b32_e32 v68, 1
	s_mov_b32 s16, exec_lo
	v_cmpx_ne_u16_e32 0x80, v14
	s_cbranch_execz .LBB364_337
; %bb.332:                              ;   in Loop: Header=BB364_10 Depth=1
	v_and_b32_e32 v14, 0x7f, v12
	v_mov_b32_e32 v68, 0x7f800001
	s_mov_b32 s17, exec_lo
	s_delay_alu instid0(VALU_DEP_2)
	v_cmpx_ne_u32_e32 0x7f, v14
	s_cbranch_execz .LBB364_336
; %bb.333:                              ;   in Loop: Header=BB364_10 Depth=1
	v_lshrrev_b32_e32 v16, 3, v14
	v_cmp_gt_u32_e64 s1, 8, v14
	v_mov_b64_e32 v[14:15], v[12:13]
	s_and_saveexec_b32 s18, s1
; %bb.334:                              ;   in Loop: Header=BB364_10 Depth=1
	v_and_b32_e32 v6, 7, v12
	s_delay_alu instid0(VALU_DEP_1) | instskip(NEXT) | instid1(VALU_DEP_1)
	v_clz_i32_u32_e32 v6, v6
	v_min_u32_e32 v6, 32, v6
	s_delay_alu instid0(VALU_DEP_1) | instskip(SKIP_1) | instid1(VALU_DEP_2)
	v_subrev_nc_u32_e32 v7, 28, v6
	v_sub_nc_u32_e32 v16, 29, v6
	v_lshlrev_b64_e32 v[14:15], v7, v[12:13]
; %bb.335:                              ;   in Loop: Header=BB364_10 Depth=1
	s_or_b32 exec_lo, exec_lo, s18
	s_delay_alu instid0(VALU_DEP_1) | instskip(NEXT) | instid1(VALU_DEP_3)
	v_dual_lshlrev_b32 v6, 20, v14 :: v_dual_lshlrev_b32 v7, 24, v12
	v_lshl_add_u32 v14, v16, 23, 0x3c000000
	s_delay_alu instid0(VALU_DEP_2) | instskip(NEXT) | instid1(VALU_DEP_3)
	v_and_b32_e32 v6, 0x700000, v6
	v_and_b32_e32 v7, 0x80000000, v7
	s_delay_alu instid0(VALU_DEP_1)
	v_or3_b32 v68, v6, v7, v14
.LBB364_336:                            ;   in Loop: Header=BB364_10 Depth=1
	s_or_b32 exec_lo, exec_lo, s17
.LBB364_337:                            ;   in Loop: Header=BB364_10 Depth=1
	s_delay_alu instid0(SALU_CYCLE_1)
	s_or_b32 exec_lo, exec_lo, s16
.LBB364_338:                            ;   in Loop: Header=BB364_10 Depth=1
	s_delay_alu instid0(SALU_CYCLE_1) | instskip(SKIP_3) | instid1(VALU_DEP_2)
	s_or_b32 exec_lo, exec_lo, s15
	v_lshrrev_b16 v14, 8, v12
	v_dual_mov_b32 v70, 0 :: v_dual_mov_b32 v69, 0
	s_mov_b32 s15, exec_lo
	v_cmpx_ne_u16_e32 0, v14
	s_cbranch_execz .LBB364_346
; %bb.339:                              ;   in Loop: Header=BB364_10 Depth=1
	v_bfrev_b32_e32 v69, 1
	s_mov_b32 s16, exec_lo
	v_cmpx_ne_u16_e32 0x80, v14
	s_cbranch_execz .LBB364_345
; %bb.340:                              ;   in Loop: Header=BB364_10 Depth=1
	v_and_b32_e32 v14, 0xffff, v14
	v_mov_b32_e32 v69, 0x7f800001
	s_mov_b32 s17, exec_lo
	s_delay_alu instid0(VALU_DEP_2) | instskip(NEXT) | instid1(VALU_DEP_1)
	v_and_b32_e32 v15, 0x7f, v14
	v_cmpx_ne_u32_e32 0x7f, v15
	s_cbranch_execz .LBB364_344
; %bb.341:                              ;   in Loop: Header=BB364_10 Depth=1
	v_dual_lshrrev_b32 v14, 3, v15 :: v_dual_bitop2_b32 v16, 7, v14 bitop3:0x40
	s_mov_b32 s18, exec_lo
	v_cmpx_gt_u32_e32 8, v15
; %bb.342:                              ;   in Loop: Header=BB364_10 Depth=1
	s_delay_alu instid0(VALU_DEP_2) | instskip(NEXT) | instid1(VALU_DEP_1)
	v_clz_i32_u32_e32 v6, v16
	v_min_u32_e32 v6, 32, v6
	s_delay_alu instid0(VALU_DEP_1) | instskip(NEXT) | instid1(VALU_DEP_1)
	v_subrev_nc_u32_e32 v7, 28, v6
	v_lshlrev_b64_e32 v[24:25], v7, v[16:17]
	s_delay_alu instid0(VALU_DEP_1)
	v_dual_sub_nc_u32 v14, 29, v6 :: v_dual_bitop2_b32 v16, 7, v24 bitop3:0x40
; %bb.343:                              ;   in Loop: Header=BB364_10 Depth=1
	s_or_b32 exec_lo, exec_lo, s18
	v_lshlrev_b32_e32 v6, 16, v12
	s_delay_alu instid0(VALU_DEP_2) | instskip(NEXT) | instid1(VALU_DEP_3)
	v_lshlrev_b32_e32 v7, 20, v16
	v_lshl_add_u32 v14, v14, 23, 0x3c000000
	s_delay_alu instid0(VALU_DEP_3) | instskip(NEXT) | instid1(VALU_DEP_1)
	v_and_b32_e32 v6, 0x80000000, v6
	v_or3_b32 v69, v7, v6, v14
.LBB364_344:                            ;   in Loop: Header=BB364_10 Depth=1
	s_or_b32 exec_lo, exec_lo, s17
.LBB364_345:                            ;   in Loop: Header=BB364_10 Depth=1
	s_delay_alu instid0(SALU_CYCLE_1)
	s_or_b32 exec_lo, exec_lo, s16
.LBB364_346:                            ;   in Loop: Header=BB364_10 Depth=1
	s_delay_alu instid0(SALU_CYCLE_1) | instskip(SKIP_2) | instid1(VALU_DEP_1)
	s_or_b32 exec_lo, exec_lo, s15
	v_lshrrev_b32_e32 v14, 16, v12
	s_mov_b32 s15, exec_lo
	v_and_b32_e32 v15, 0xff, v14
	s_delay_alu instid0(VALU_DEP_1)
	v_cmpx_ne_u16_e32 0, v15
	s_cbranch_execz .LBB364_354
; %bb.347:                              ;   in Loop: Header=BB364_10 Depth=1
	v_bfrev_b32_e32 v70, 1
	s_mov_b32 s16, exec_lo
	v_cmpx_ne_u16_e32 0x80, v15
	s_cbranch_execz .LBB364_353
; %bb.348:                              ;   in Loop: Header=BB364_10 Depth=1
	v_bfe_u32 v21, v12, 16, 7
	v_mov_b32_e32 v70, 0x7f800001
	s_mov_b32 s17, exec_lo
	s_delay_alu instid0(VALU_DEP_2)
	v_cmpx_ne_u32_e32 0x7f, v21
	s_cbranch_execz .LBB364_352
; %bb.349:                              ;   in Loop: Header=BB364_10 Depth=1
	v_dual_lshrrev_b32 v15, 3, v21 :: v_dual_bitop2_b32 v16, 7, v14 bitop3:0x40
	s_mov_b32 s18, exec_lo
	v_cmpx_gt_u32_e32 8, v21
; %bb.350:                              ;   in Loop: Header=BB364_10 Depth=1
	s_delay_alu instid0(VALU_DEP_2) | instskip(NEXT) | instid1(VALU_DEP_1)
	v_clz_i32_u32_e32 v6, v16
	v_min_u32_e32 v6, 32, v6
	s_delay_alu instid0(VALU_DEP_1) | instskip(NEXT) | instid1(VALU_DEP_1)
	v_subrev_nc_u32_e32 v7, 28, v6
	v_lshlrev_b64_e32 v[24:25], v7, v[16:17]
	s_delay_alu instid0(VALU_DEP_1)
	v_dual_sub_nc_u32 v15, 29, v6 :: v_dual_bitop2_b32 v16, 7, v24 bitop3:0x40
; %bb.351:                              ;   in Loop: Header=BB364_10 Depth=1
	s_or_b32 exec_lo, exec_lo, s18
	s_delay_alu instid0(VALU_DEP_1) | instskip(NEXT) | instid1(VALU_DEP_2)
	v_dual_lshlrev_b32 v6, 24, v14 :: v_dual_lshlrev_b32 v7, 20, v16
	v_lshl_add_u32 v14, v15, 23, 0x3c000000
	s_delay_alu instid0(VALU_DEP_2) | instskip(NEXT) | instid1(VALU_DEP_1)
	v_and_b32_e32 v6, 0x80000000, v6
	v_or3_b32 v70, v7, v6, v14
.LBB364_352:                            ;   in Loop: Header=BB364_10 Depth=1
	s_or_b32 exec_lo, exec_lo, s17
.LBB364_353:                            ;   in Loop: Header=BB364_10 Depth=1
	s_delay_alu instid0(SALU_CYCLE_1)
	s_or_b32 exec_lo, exec_lo, s16
.LBB364_354:                            ;   in Loop: Header=BB364_10 Depth=1
	s_delay_alu instid0(SALU_CYCLE_1)
	s_or_b32 exec_lo, exec_lo, s15
	v_dual_mov_b32 v80, 0 :: v_dual_mov_b32 v71, 0
	s_mov_b32 s15, exec_lo
	v_cmpx_lt_u32_e32 0xffffff, v12
	s_cbranch_execz .LBB364_362
; %bb.355:                              ;   in Loop: Header=BB364_10 Depth=1
	v_lshrrev_b32_e32 v14, 24, v12
	v_bfrev_b32_e32 v71, 1
	s_mov_b32 s16, exec_lo
	s_delay_alu instid0(VALU_DEP_2)
	v_cmpx_ne_u32_e32 0x80, v14
	s_cbranch_execz .LBB364_361
; %bb.356:                              ;   in Loop: Header=BB364_10 Depth=1
	v_bfe_u32 v21, v12, 24, 7
	v_mov_b32_e32 v71, 0x7f800001
	s_mov_b32 s17, exec_lo
	s_delay_alu instid0(VALU_DEP_2)
	v_cmpx_ne_u32_e32 0x7f, v21
	s_cbranch_execz .LBB364_360
; %bb.357:                              ;   in Loop: Header=BB364_10 Depth=1
	v_dual_lshrrev_b32 v15, 3, v21 :: v_dual_bitop2_b32 v16, 7, v14 bitop3:0x40
	s_mov_b32 s18, exec_lo
	v_cmpx_gt_u32_e32 8, v21
; %bb.358:                              ;   in Loop: Header=BB364_10 Depth=1
	s_delay_alu instid0(VALU_DEP_2) | instskip(NEXT) | instid1(VALU_DEP_1)
	v_clz_i32_u32_e32 v6, v16
	v_min_u32_e32 v6, 32, v6
	s_delay_alu instid0(VALU_DEP_1) | instskip(NEXT) | instid1(VALU_DEP_1)
	v_subrev_nc_u32_e32 v7, 28, v6
	v_lshlrev_b64_e32 v[24:25], v7, v[16:17]
	s_delay_alu instid0(VALU_DEP_1)
	v_dual_sub_nc_u32 v15, 29, v6 :: v_dual_bitop2_b32 v16, 7, v24 bitop3:0x40
; %bb.359:                              ;   in Loop: Header=BB364_10 Depth=1
	s_or_b32 exec_lo, exec_lo, s18
	s_delay_alu instid0(VALU_DEP_1) | instskip(NEXT) | instid1(VALU_DEP_2)
	v_dual_lshlrev_b32 v6, 24, v14 :: v_dual_lshlrev_b32 v7, 20, v16
	v_lshl_add_u32 v14, v15, 23, 0x3c000000
	s_delay_alu instid0(VALU_DEP_2) | instskip(NEXT) | instid1(VALU_DEP_1)
	v_and_b32_e32 v6, 0x80000000, v6
	v_or3_b32 v71, v7, v6, v14
.LBB364_360:                            ;   in Loop: Header=BB364_10 Depth=1
	s_or_b32 exec_lo, exec_lo, s17
.LBB364_361:                            ;   in Loop: Header=BB364_10 Depth=1
	s_delay_alu instid0(SALU_CYCLE_1)
	s_or_b32 exec_lo, exec_lo, s16
.LBB364_362:                            ;   in Loop: Header=BB364_10 Depth=1
	s_delay_alu instid0(SALU_CYCLE_1) | instskip(SKIP_3) | instid1(VALU_DEP_2)
	s_or_b32 exec_lo, exec_lo, s15
	v_and_b32_e32 v14, 0xff, v13
	v_mov_b32_e32 v16, v13
	s_mov_b32 s15, exec_lo
	v_cmpx_ne_u16_e32 0, v14
	s_cbranch_execz .LBB364_370
; %bb.363:                              ;   in Loop: Header=BB364_10 Depth=1
	v_bfrev_b32_e32 v80, 1
	s_mov_b32 s16, exec_lo
	v_cmpx_ne_u16_e32 0x80, v14
	s_cbranch_execz .LBB364_369
; %bb.364:                              ;   in Loop: Header=BB364_10 Depth=1
	v_and_b32_e32 v14, 0x7f, v13
	v_mov_b32_e32 v80, 0x7f800001
	s_mov_b32 s17, exec_lo
	s_delay_alu instid0(VALU_DEP_2)
	v_cmpx_ne_u32_e32 0x7f, v14
	s_cbranch_execz .LBB364_368
; %bb.365:                              ;   in Loop: Header=BB364_10 Depth=1
	v_lshrrev_b32_e32 v21, 3, v14
	v_cmp_gt_u32_e64 s1, 8, v14
	v_mov_b64_e32 v[14:15], v[16:17]
	s_and_saveexec_b32 s18, s1
; %bb.366:                              ;   in Loop: Header=BB364_10 Depth=1
	v_and_b32_e32 v6, 7, v13
	s_delay_alu instid0(VALU_DEP_1) | instskip(NEXT) | instid1(VALU_DEP_1)
	v_clz_i32_u32_e32 v6, v6
	v_min_u32_e32 v6, 32, v6
	s_delay_alu instid0(VALU_DEP_1) | instskip(SKIP_1) | instid1(VALU_DEP_2)
	v_subrev_nc_u32_e32 v7, 28, v6
	v_sub_nc_u32_e32 v21, 29, v6
	v_lshlrev_b64_e32 v[14:15], v7, v[16:17]
; %bb.367:                              ;   in Loop: Header=BB364_10 Depth=1
	s_or_b32 exec_lo, exec_lo, s18
	s_delay_alu instid0(VALU_DEP_1) | instskip(NEXT) | instid1(VALU_DEP_3)
	v_dual_lshlrev_b32 v6, 20, v14 :: v_dual_lshlrev_b32 v7, 24, v16
	v_lshl_add_u32 v14, v21, 23, 0x3c000000
	s_delay_alu instid0(VALU_DEP_2) | instskip(NEXT) | instid1(VALU_DEP_3)
	v_and_b32_e32 v6, 0x700000, v6
	v_and_b32_e32 v7, 0x80000000, v7
	s_delay_alu instid0(VALU_DEP_1)
	v_or3_b32 v80, v6, v7, v14
.LBB364_368:                            ;   in Loop: Header=BB364_10 Depth=1
	s_or_b32 exec_lo, exec_lo, s17
.LBB364_369:                            ;   in Loop: Header=BB364_10 Depth=1
	s_delay_alu instid0(SALU_CYCLE_1)
	s_or_b32 exec_lo, exec_lo, s16
.LBB364_370:                            ;   in Loop: Header=BB364_10 Depth=1
	s_delay_alu instid0(SALU_CYCLE_1) | instskip(SKIP_3) | instid1(VALU_DEP_2)
	s_or_b32 exec_lo, exec_lo, s15
	v_lshrrev_b16 v14, 8, v16
	v_dual_mov_b32 v82, 0 :: v_dual_mov_b32 v81, 0
	s_mov_b32 s15, exec_lo
	v_cmpx_ne_u16_e32 0, v14
	s_cbranch_execz .LBB364_378
; %bb.371:                              ;   in Loop: Header=BB364_10 Depth=1
	v_bfrev_b32_e32 v81, 1
	s_mov_b32 s16, exec_lo
	v_cmpx_ne_u16_e32 0x80, v14
	s_cbranch_execz .LBB364_377
; %bb.372:                              ;   in Loop: Header=BB364_10 Depth=1
	v_and_b32_e32 v14, 0xffff, v14
	v_mov_b32_e32 v81, 0x7f800001
	s_mov_b32 s17, exec_lo
	s_delay_alu instid0(VALU_DEP_2) | instskip(NEXT) | instid1(VALU_DEP_1)
	v_and_b32_e32 v24, 0x7f, v14
	v_cmpx_ne_u32_e32 0x7f, v24
	s_cbranch_execz .LBB364_376
; %bb.373:                              ;   in Loop: Header=BB364_10 Depth=1
	v_dual_mov_b32 v15, v17 :: v_dual_bitop2_b32 v14, 7, v14 bitop3:0x40
	v_lshrrev_b32_e32 v21, 3, v24
	s_mov_b32 s18, exec_lo
	v_cmpx_gt_u32_e32 8, v24
; %bb.374:                              ;   in Loop: Header=BB364_10 Depth=1
	s_delay_alu instid0(VALU_DEP_3) | instskip(NEXT) | instid1(VALU_DEP_1)
	v_clz_i32_u32_e32 v6, v14
	v_min_u32_e32 v6, 32, v6
	s_delay_alu instid0(VALU_DEP_1) | instskip(SKIP_1) | instid1(VALU_DEP_2)
	v_subrev_nc_u32_e32 v7, 28, v6
	v_sub_nc_u32_e32 v21, 29, v6
	v_lshlrev_b64_e32 v[14:15], v7, v[14:15]
	s_delay_alu instid0(VALU_DEP_1)
	v_and_b32_e32 v14, 7, v14
; %bb.375:                              ;   in Loop: Header=BB364_10 Depth=1
	s_or_b32 exec_lo, exec_lo, s18
	s_delay_alu instid0(VALU_DEP_1) | instskip(SKIP_1) | instid1(VALU_DEP_2)
	v_dual_lshlrev_b32 v6, 16, v16 :: v_dual_lshlrev_b32 v7, 20, v14
	v_lshl_add_u32 v14, v21, 23, 0x3c000000
	v_and_b32_e32 v6, 0x80000000, v6
	s_delay_alu instid0(VALU_DEP_1)
	v_or3_b32 v81, v7, v6, v14
.LBB364_376:                            ;   in Loop: Header=BB364_10 Depth=1
	s_or_b32 exec_lo, exec_lo, s17
.LBB364_377:                            ;   in Loop: Header=BB364_10 Depth=1
	s_delay_alu instid0(SALU_CYCLE_1)
	s_or_b32 exec_lo, exec_lo, s16
.LBB364_378:                            ;   in Loop: Header=BB364_10 Depth=1
	s_delay_alu instid0(SALU_CYCLE_1) | instskip(SKIP_2) | instid1(VALU_DEP_1)
	s_or_b32 exec_lo, exec_lo, s15
	v_lshrrev_b32_e32 v14, 16, v13
	s_mov_b32 s15, exec_lo
	v_and_b32_e32 v15, 0xff, v14
	s_delay_alu instid0(VALU_DEP_1)
	v_cmpx_ne_u16_e32 0, v15
	s_cbranch_execz .LBB364_386
; %bb.379:                              ;   in Loop: Header=BB364_10 Depth=1
	v_bfrev_b32_e32 v82, 1
	s_mov_b32 s16, exec_lo
	v_cmpx_ne_u16_e32 0x80, v15
	s_cbranch_execz .LBB364_385
; %bb.380:                              ;   in Loop: Header=BB364_10 Depth=1
	v_bfe_u32 v21, v13, 16, 7
	v_mov_b32_e32 v82, 0x7f800001
	s_mov_b32 s17, exec_lo
	s_delay_alu instid0(VALU_DEP_2)
	v_cmpx_ne_u32_e32 0x7f, v21
	s_cbranch_execz .LBB364_384
; %bb.381:                              ;   in Loop: Header=BB364_10 Depth=1
	v_dual_lshrrev_b32 v15, 3, v21 :: v_dual_bitop2_b32 v16, 7, v14 bitop3:0x40
	s_mov_b32 s18, exec_lo
	v_cmpx_gt_u32_e32 8, v21
; %bb.382:                              ;   in Loop: Header=BB364_10 Depth=1
	s_delay_alu instid0(VALU_DEP_2) | instskip(NEXT) | instid1(VALU_DEP_1)
	v_clz_i32_u32_e32 v6, v16
	v_min_u32_e32 v6, 32, v6
	s_delay_alu instid0(VALU_DEP_1) | instskip(NEXT) | instid1(VALU_DEP_1)
	v_subrev_nc_u32_e32 v7, 28, v6
	v_lshlrev_b64_e32 v[24:25], v7, v[16:17]
	s_delay_alu instid0(VALU_DEP_1)
	v_dual_sub_nc_u32 v15, 29, v6 :: v_dual_bitop2_b32 v16, 7, v24 bitop3:0x40
; %bb.383:                              ;   in Loop: Header=BB364_10 Depth=1
	s_or_b32 exec_lo, exec_lo, s18
	s_delay_alu instid0(VALU_DEP_1) | instskip(NEXT) | instid1(VALU_DEP_2)
	v_dual_lshlrev_b32 v6, 24, v14 :: v_dual_lshlrev_b32 v7, 20, v16
	v_lshl_add_u32 v14, v15, 23, 0x3c000000
	s_delay_alu instid0(VALU_DEP_2) | instskip(NEXT) | instid1(VALU_DEP_1)
	v_and_b32_e32 v6, 0x80000000, v6
	v_or3_b32 v82, v7, v6, v14
.LBB364_384:                            ;   in Loop: Header=BB364_10 Depth=1
	s_or_b32 exec_lo, exec_lo, s17
.LBB364_385:                            ;   in Loop: Header=BB364_10 Depth=1
	s_delay_alu instid0(SALU_CYCLE_1)
	s_or_b32 exec_lo, exec_lo, s16
.LBB364_386:                            ;   in Loop: Header=BB364_10 Depth=1
	s_delay_alu instid0(SALU_CYCLE_1)
	s_or_b32 exec_lo, exec_lo, s15
	v_dual_mov_b32 v84, 0 :: v_dual_mov_b32 v83, 0
	s_mov_b32 s15, exec_lo
	v_cmpx_lt_u64_e64 s[2:3], v[12:13]
	s_cbranch_execz .LBB364_394
; %bb.387:                              ;   in Loop: Header=BB364_10 Depth=1
	v_lshrrev_b32_e32 v12, 24, v13
	v_bfrev_b32_e32 v83, 1
	s_mov_b32 s16, exec_lo
	s_delay_alu instid0(VALU_DEP_2)
	v_cmpx_ne_u32_e32 0x80, v12
	s_cbranch_execz .LBB364_393
; %bb.388:                              ;   in Loop: Header=BB364_10 Depth=1
	v_bfe_u32 v14, v13, 24, 7
	v_mov_b32_e32 v83, 0x7f800001
	s_mov_b32 s17, exec_lo
	s_delay_alu instid0(VALU_DEP_2)
	v_cmpx_ne_u32_e32 0x7f, v14
	s_cbranch_execz .LBB364_392
; %bb.389:                              ;   in Loop: Header=BB364_10 Depth=1
	v_dual_lshrrev_b32 v13, 3, v14 :: v_dual_bitop2_b32 v16, 7, v12 bitop3:0x40
	s_mov_b32 s18, exec_lo
	v_cmpx_gt_u32_e32 8, v14
; %bb.390:                              ;   in Loop: Header=BB364_10 Depth=1
	s_delay_alu instid0(VALU_DEP_2) | instskip(NEXT) | instid1(VALU_DEP_1)
	v_clz_i32_u32_e32 v6, v16
	v_min_u32_e32 v6, 32, v6
	s_delay_alu instid0(VALU_DEP_1) | instskip(SKIP_1) | instid1(VALU_DEP_2)
	v_subrev_nc_u32_e32 v7, 28, v6
	v_sub_nc_u32_e32 v13, 29, v6
	v_lshlrev_b64_e32 v[14:15], v7, v[16:17]
	s_delay_alu instid0(VALU_DEP_1)
	v_and_b32_e32 v16, 7, v14
; %bb.391:                              ;   in Loop: Header=BB364_10 Depth=1
	s_or_b32 exec_lo, exec_lo, s18
	v_lshlrev_b32_e32 v6, 24, v12
	s_delay_alu instid0(VALU_DEP_2) | instskip(SKIP_1) | instid1(VALU_DEP_3)
	v_lshlrev_b32_e32 v7, 20, v16
	v_lshl_add_u32 v12, v13, 23, 0x3c000000
	v_and_b32_e32 v6, 0x80000000, v6
	s_delay_alu instid0(VALU_DEP_1)
	v_or3_b32 v83, v7, v6, v12
.LBB364_392:                            ;   in Loop: Header=BB364_10 Depth=1
	s_or_b32 exec_lo, exec_lo, s17
.LBB364_393:                            ;   in Loop: Header=BB364_10 Depth=1
	s_delay_alu instid0(SALU_CYCLE_1)
	s_or_b32 exec_lo, exec_lo, s16
.LBB364_394:                            ;   in Loop: Header=BB364_10 Depth=1
	s_delay_alu instid0(SALU_CYCLE_1)
	s_or_b32 exec_lo, exec_lo, s15
	flat_load_b64 v[24:25], v[38:39] offset:1536
	s_mov_b32 s15, exec_lo
	s_wait_loadcnt_dscnt 0x0
	v_and_b32_e32 v12, 0xff, v24
	s_wait_xcnt 0x0
	s_delay_alu instid0(VALU_DEP_1)
	v_cmpx_ne_u16_e32 0, v12
	s_cbranch_execz .LBB364_402
; %bb.395:                              ;   in Loop: Header=BB364_10 Depth=1
	v_bfrev_b32_e32 v84, 1
	s_mov_b32 s16, exec_lo
	v_cmpx_ne_u16_e32 0x80, v12
	s_cbranch_execz .LBB364_401
; %bb.396:                              ;   in Loop: Header=BB364_10 Depth=1
	v_and_b32_e32 v12, 0x7f, v24
	v_mov_b32_e32 v84, 0x7f800001
	s_mov_b32 s17, exec_lo
	s_delay_alu instid0(VALU_DEP_2)
	v_cmpx_ne_u32_e32 0x7f, v12
	s_cbranch_execz .LBB364_400
; %bb.397:                              ;   in Loop: Header=BB364_10 Depth=1
	v_lshrrev_b32_e32 v14, 3, v12
	v_cmp_gt_u32_e64 s1, 8, v12
	v_mov_b64_e32 v[12:13], v[24:25]
	s_and_saveexec_b32 s18, s1
; %bb.398:                              ;   in Loop: Header=BB364_10 Depth=1
	v_and_b32_e32 v6, 7, v24
	s_delay_alu instid0(VALU_DEP_1) | instskip(NEXT) | instid1(VALU_DEP_1)
	v_clz_i32_u32_e32 v6, v6
	v_min_u32_e32 v6, 32, v6
	s_delay_alu instid0(VALU_DEP_1) | instskip(SKIP_1) | instid1(VALU_DEP_2)
	v_subrev_nc_u32_e32 v7, 28, v6
	v_sub_nc_u32_e32 v14, 29, v6
	v_lshlrev_b64_e32 v[12:13], v7, v[24:25]
; %bb.399:                              ;   in Loop: Header=BB364_10 Depth=1
	s_or_b32 exec_lo, exec_lo, s18
	s_delay_alu instid0(VALU_DEP_1) | instskip(SKIP_2) | instid1(VALU_DEP_3)
	v_lshlrev_b32_e32 v6, 20, v12
	v_lshlrev_b32_e32 v7, 24, v24
	v_lshl_add_u32 v12, v14, 23, 0x3c000000
	v_and_b32_e32 v6, 0x700000, v6
	s_delay_alu instid0(VALU_DEP_3) | instskip(NEXT) | instid1(VALU_DEP_1)
	v_and_b32_e32 v7, 0x80000000, v7
	v_or3_b32 v84, v6, v7, v12
.LBB364_400:                            ;   in Loop: Header=BB364_10 Depth=1
	s_or_b32 exec_lo, exec_lo, s17
.LBB364_401:                            ;   in Loop: Header=BB364_10 Depth=1
	s_delay_alu instid0(SALU_CYCLE_1)
	s_or_b32 exec_lo, exec_lo, s16
.LBB364_402:                            ;   in Loop: Header=BB364_10 Depth=1
	s_delay_alu instid0(SALU_CYCLE_1) | instskip(SKIP_3) | instid1(VALU_DEP_2)
	s_or_b32 exec_lo, exec_lo, s15
	v_lshrrev_b16 v13, 8, v24
	v_dual_mov_b32 v12, 0 :: v_dual_mov_b32 v85, 0
	s_mov_b32 s15, exec_lo
	v_cmpx_ne_u16_e32 0, v13
	s_cbranch_execz .LBB364_410
; %bb.403:                              ;   in Loop: Header=BB364_10 Depth=1
	v_bfrev_b32_e32 v85, 1
	s_mov_b32 s16, exec_lo
	v_cmpx_ne_u16_e32 0x80, v13
	s_cbranch_execz .LBB364_409
; %bb.404:                              ;   in Loop: Header=BB364_10 Depth=1
	v_and_b32_e32 v13, 0xffff, v13
	v_mov_b32_e32 v85, 0x7f800001
	s_mov_b32 s17, exec_lo
	s_delay_alu instid0(VALU_DEP_2) | instskip(NEXT) | instid1(VALU_DEP_1)
	v_and_b32_e32 v14, 0x7f, v13
	v_cmpx_ne_u32_e32 0x7f, v14
	s_cbranch_execz .LBB364_408
; %bb.405:                              ;   in Loop: Header=BB364_10 Depth=1
	v_dual_lshrrev_b32 v13, 3, v14 :: v_dual_bitop2_b32 v16, 7, v13 bitop3:0x40
	s_mov_b32 s18, exec_lo
	v_cmpx_gt_u32_e32 8, v14
; %bb.406:                              ;   in Loop: Header=BB364_10 Depth=1
	s_delay_alu instid0(VALU_DEP_2) | instskip(NEXT) | instid1(VALU_DEP_1)
	v_clz_i32_u32_e32 v6, v16
	v_min_u32_e32 v6, 32, v6
	s_delay_alu instid0(VALU_DEP_1) | instskip(SKIP_1) | instid1(VALU_DEP_2)
	v_subrev_nc_u32_e32 v7, 28, v6
	v_sub_nc_u32_e32 v13, 29, v6
	v_lshlrev_b64_e32 v[14:15], v7, v[16:17]
	s_delay_alu instid0(VALU_DEP_1)
	v_and_b32_e32 v16, 7, v14
; %bb.407:                              ;   in Loop: Header=BB364_10 Depth=1
	s_or_b32 exec_lo, exec_lo, s18
	v_lshlrev_b32_e32 v6, 16, v24
	s_delay_alu instid0(VALU_DEP_2) | instskip(SKIP_1) | instid1(VALU_DEP_3)
	v_lshlrev_b32_e32 v7, 20, v16
	v_lshl_add_u32 v13, v13, 23, 0x3c000000
	v_and_b32_e32 v6, 0x80000000, v6
	s_delay_alu instid0(VALU_DEP_1)
	v_or3_b32 v85, v7, v6, v13
.LBB364_408:                            ;   in Loop: Header=BB364_10 Depth=1
	s_or_b32 exec_lo, exec_lo, s17
.LBB364_409:                            ;   in Loop: Header=BB364_10 Depth=1
	s_delay_alu instid0(SALU_CYCLE_1)
	s_or_b32 exec_lo, exec_lo, s16
.LBB364_410:                            ;   in Loop: Header=BB364_10 Depth=1
	s_delay_alu instid0(SALU_CYCLE_1) | instskip(SKIP_2) | instid1(VALU_DEP_1)
	s_or_b32 exec_lo, exec_lo, s15
	v_lshrrev_b32_e32 v13, 16, v24
	s_mov_b32 s15, exec_lo
	v_and_b32_e32 v14, 0xff, v13
	s_delay_alu instid0(VALU_DEP_1)
	v_cmpx_ne_u16_e32 0, v14
	s_cbranch_execz .LBB364_418
; %bb.411:                              ;   in Loop: Header=BB364_10 Depth=1
	v_bfrev_b32_e32 v12, 1
	s_mov_b32 s16, exec_lo
	v_cmpx_ne_u16_e32 0x80, v14
	s_cbranch_execz .LBB364_417
; %bb.412:                              ;   in Loop: Header=BB364_10 Depth=1
	v_bfe_u32 v14, v24, 16, 7
	v_mov_b32_e32 v12, 0x7f800001
	s_mov_b32 s17, exec_lo
	s_delay_alu instid0(VALU_DEP_2)
	v_cmpx_ne_u32_e32 0x7f, v14
	s_cbranch_execz .LBB364_416
; %bb.413:                              ;   in Loop: Header=BB364_10 Depth=1
	v_dual_lshrrev_b32 v12, 3, v14 :: v_dual_bitop2_b32 v16, 7, v13 bitop3:0x40
	s_mov_b32 s18, exec_lo
	v_cmpx_gt_u32_e32 8, v14
; %bb.414:                              ;   in Loop: Header=BB364_10 Depth=1
	s_delay_alu instid0(VALU_DEP_2) | instskip(NEXT) | instid1(VALU_DEP_1)
	v_clz_i32_u32_e32 v6, v16
	v_min_u32_e32 v6, 32, v6
	s_delay_alu instid0(VALU_DEP_1) | instskip(SKIP_1) | instid1(VALU_DEP_2)
	v_subrev_nc_u32_e32 v7, 28, v6
	v_sub_nc_u32_e32 v12, 29, v6
	v_lshlrev_b64_e32 v[14:15], v7, v[16:17]
	s_delay_alu instid0(VALU_DEP_1)
	v_and_b32_e32 v16, 7, v14
; %bb.415:                              ;   in Loop: Header=BB364_10 Depth=1
	s_or_b32 exec_lo, exec_lo, s18
	s_delay_alu instid0(VALU_DEP_1) | instskip(SKIP_1) | instid1(VALU_DEP_2)
	v_dual_lshlrev_b32 v6, 24, v13 :: v_dual_lshlrev_b32 v7, 20, v16
	v_lshl_add_u32 v12, v12, 23, 0x3c000000
	v_and_b32_e32 v6, 0x80000000, v6
	s_delay_alu instid0(VALU_DEP_1)
	v_or3_b32 v12, v7, v6, v12
.LBB364_416:                            ;   in Loop: Header=BB364_10 Depth=1
	s_or_b32 exec_lo, exec_lo, s17
.LBB364_417:                            ;   in Loop: Header=BB364_10 Depth=1
	s_delay_alu instid0(SALU_CYCLE_1)
	s_or_b32 exec_lo, exec_lo, s16
.LBB364_418:                            ;   in Loop: Header=BB364_10 Depth=1
	s_delay_alu instid0(SALU_CYCLE_1)
	s_or_b32 exec_lo, exec_lo, s15
	v_dual_mov_b32 v86, 0 :: v_dual_mov_b32 v13, 0
	s_mov_b32 s15, exec_lo
	v_cmpx_lt_u32_e32 0xffffff, v24
	s_cbranch_execz .LBB364_426
; %bb.419:                              ;   in Loop: Header=BB364_10 Depth=1
	v_lshrrev_b32_e32 v14, 24, v24
	v_bfrev_b32_e32 v13, 1
	s_mov_b32 s16, exec_lo
	s_delay_alu instid0(VALU_DEP_2)
	v_cmpx_ne_u32_e32 0x80, v14
	s_cbranch_execz .LBB364_425
; %bb.420:                              ;   in Loop: Header=BB364_10 Depth=1
	v_bfe_u32 v15, v24, 24, 7
	v_mov_b32_e32 v13, 0x7f800001
	s_mov_b32 s17, exec_lo
	s_delay_alu instid0(VALU_DEP_2)
	v_cmpx_ne_u32_e32 0x7f, v15
	s_cbranch_execz .LBB364_424
; %bb.421:                              ;   in Loop: Header=BB364_10 Depth=1
	v_dual_lshrrev_b32 v13, 3, v15 :: v_dual_bitop2_b32 v16, 7, v14 bitop3:0x40
	s_mov_b32 s18, exec_lo
	v_cmpx_gt_u32_e32 8, v15
; %bb.422:                              ;   in Loop: Header=BB364_10 Depth=1
	s_delay_alu instid0(VALU_DEP_2) | instskip(NEXT) | instid1(VALU_DEP_1)
	v_clz_i32_u32_e32 v6, v16
	v_min_u32_e32 v6, 32, v6
	s_delay_alu instid0(VALU_DEP_1) | instskip(SKIP_1) | instid1(VALU_DEP_2)
	v_subrev_nc_u32_e32 v7, 28, v6
	v_sub_nc_u32_e32 v13, 29, v6
	v_lshlrev_b64_e32 v[26:27], v7, v[16:17]
	s_delay_alu instid0(VALU_DEP_1)
	v_and_b32_e32 v16, 7, v26
; %bb.423:                              ;   in Loop: Header=BB364_10 Depth=1
	s_or_b32 exec_lo, exec_lo, s18
	s_delay_alu instid0(VALU_DEP_1) | instskip(SKIP_1) | instid1(VALU_DEP_2)
	v_dual_lshlrev_b32 v6, 24, v14 :: v_dual_lshlrev_b32 v7, 20, v16
	v_lshl_add_u32 v13, v13, 23, 0x3c000000
	v_and_b32_e32 v6, 0x80000000, v6
	s_delay_alu instid0(VALU_DEP_1)
	v_or3_b32 v13, v7, v6, v13
.LBB364_424:                            ;   in Loop: Header=BB364_10 Depth=1
	s_or_b32 exec_lo, exec_lo, s17
.LBB364_425:                            ;   in Loop: Header=BB364_10 Depth=1
	s_delay_alu instid0(SALU_CYCLE_1)
	s_or_b32 exec_lo, exec_lo, s16
.LBB364_426:                            ;   in Loop: Header=BB364_10 Depth=1
	s_delay_alu instid0(SALU_CYCLE_1) | instskip(SKIP_3) | instid1(VALU_DEP_2)
	s_or_b32 exec_lo, exec_lo, s15
	v_and_b32_e32 v14, 0xff, v25
	v_mov_b32_e32 v16, v25
	s_mov_b32 s15, exec_lo
	v_cmpx_ne_u16_e32 0, v14
	s_cbranch_execz .LBB364_434
; %bb.427:                              ;   in Loop: Header=BB364_10 Depth=1
	v_bfrev_b32_e32 v86, 1
	s_mov_b32 s16, exec_lo
	v_cmpx_ne_u16_e32 0x80, v14
	s_cbranch_execz .LBB364_433
; %bb.428:                              ;   in Loop: Header=BB364_10 Depth=1
	v_and_b32_e32 v14, 0x7f, v25
	v_mov_b32_e32 v86, 0x7f800001
	s_mov_b32 s17, exec_lo
	s_delay_alu instid0(VALU_DEP_2)
	v_cmpx_ne_u32_e32 0x7f, v14
	s_cbranch_execz .LBB364_432
; %bb.429:                              ;   in Loop: Header=BB364_10 Depth=1
	v_lshrrev_b32_e32 v21, 3, v14
	v_cmp_gt_u32_e64 s1, 8, v14
	v_mov_b64_e32 v[14:15], v[16:17]
	s_and_saveexec_b32 s18, s1
; %bb.430:                              ;   in Loop: Header=BB364_10 Depth=1
	v_and_b32_e32 v6, 7, v25
	s_delay_alu instid0(VALU_DEP_1) | instskip(NEXT) | instid1(VALU_DEP_1)
	v_clz_i32_u32_e32 v6, v6
	v_min_u32_e32 v6, 32, v6
	s_delay_alu instid0(VALU_DEP_1) | instskip(SKIP_1) | instid1(VALU_DEP_2)
	v_subrev_nc_u32_e32 v7, 28, v6
	v_sub_nc_u32_e32 v21, 29, v6
	v_lshlrev_b64_e32 v[14:15], v7, v[16:17]
; %bb.431:                              ;   in Loop: Header=BB364_10 Depth=1
	s_or_b32 exec_lo, exec_lo, s18
	s_delay_alu instid0(VALU_DEP_1) | instskip(NEXT) | instid1(VALU_DEP_3)
	v_dual_lshlrev_b32 v6, 20, v14 :: v_dual_lshlrev_b32 v7, 24, v16
	v_lshl_add_u32 v14, v21, 23, 0x3c000000
	s_delay_alu instid0(VALU_DEP_2) | instskip(NEXT) | instid1(VALU_DEP_3)
	v_and_b32_e32 v6, 0x700000, v6
	v_and_b32_e32 v7, 0x80000000, v7
	s_delay_alu instid0(VALU_DEP_1)
	v_or3_b32 v86, v6, v7, v14
.LBB364_432:                            ;   in Loop: Header=BB364_10 Depth=1
	s_or_b32 exec_lo, exec_lo, s17
.LBB364_433:                            ;   in Loop: Header=BB364_10 Depth=1
	s_delay_alu instid0(SALU_CYCLE_1)
	s_or_b32 exec_lo, exec_lo, s16
.LBB364_434:                            ;   in Loop: Header=BB364_10 Depth=1
	s_delay_alu instid0(SALU_CYCLE_1) | instskip(SKIP_3) | instid1(VALU_DEP_2)
	s_or_b32 exec_lo, exec_lo, s15
	v_lshrrev_b16 v15, 8, v16
	v_dual_mov_b32 v14, 0 :: v_dual_mov_b32 v87, 0
	s_mov_b32 s15, exec_lo
	v_cmpx_ne_u16_e32 0, v15
	s_cbranch_execz .LBB364_442
; %bb.435:                              ;   in Loop: Header=BB364_10 Depth=1
	v_bfrev_b32_e32 v87, 1
	s_mov_b32 s16, exec_lo
	v_cmpx_ne_u16_e32 0x80, v15
	s_cbranch_execz .LBB364_441
; %bb.436:                              ;   in Loop: Header=BB364_10 Depth=1
	v_and_b32_e32 v15, 0xffff, v15
	v_mov_b32_e32 v87, 0x7f800001
	s_mov_b32 s17, exec_lo
	s_delay_alu instid0(VALU_DEP_2) | instskip(NEXT) | instid1(VALU_DEP_1)
	v_and_b32_e32 v21, 0x7f, v15
	v_cmpx_ne_u32_e32 0x7f, v21
	s_cbranch_execz .LBB364_440
; %bb.437:                              ;   in Loop: Header=BB364_10 Depth=1
	v_dual_mov_b32 v27, v17 :: v_dual_bitop2_b32 v26, 7, v15 bitop3:0x40
	v_lshrrev_b32_e32 v15, 3, v21
	s_mov_b32 s18, exec_lo
	v_cmpx_gt_u32_e32 8, v21
; %bb.438:                              ;   in Loop: Header=BB364_10 Depth=1
	s_delay_alu instid0(VALU_DEP_3) | instskip(NEXT) | instid1(VALU_DEP_1)
	v_clz_i32_u32_e32 v6, v26
	v_min_u32_e32 v6, 32, v6
	s_delay_alu instid0(VALU_DEP_1) | instskip(SKIP_1) | instid1(VALU_DEP_2)
	v_subrev_nc_u32_e32 v7, 28, v6
	v_sub_nc_u32_e32 v15, 29, v6
	v_lshlrev_b64_e32 v[26:27], v7, v[26:27]
	s_delay_alu instid0(VALU_DEP_1)
	v_and_b32_e32 v26, 7, v26
; %bb.439:                              ;   in Loop: Header=BB364_10 Depth=1
	s_or_b32 exec_lo, exec_lo, s18
	s_delay_alu instid0(VALU_DEP_1) | instskip(SKIP_1) | instid1(VALU_DEP_2)
	v_dual_lshlrev_b32 v6, 16, v16 :: v_dual_lshlrev_b32 v7, 20, v26
	v_lshl_add_u32 v15, v15, 23, 0x3c000000
	v_and_b32_e32 v6, 0x80000000, v6
	s_delay_alu instid0(VALU_DEP_1)
	v_or3_b32 v87, v7, v6, v15
.LBB364_440:                            ;   in Loop: Header=BB364_10 Depth=1
	s_or_b32 exec_lo, exec_lo, s17
.LBB364_441:                            ;   in Loop: Header=BB364_10 Depth=1
	s_delay_alu instid0(SALU_CYCLE_1)
	s_or_b32 exec_lo, exec_lo, s16
.LBB364_442:                            ;   in Loop: Header=BB364_10 Depth=1
	s_delay_alu instid0(SALU_CYCLE_1) | instskip(SKIP_2) | instid1(VALU_DEP_1)
	s_or_b32 exec_lo, exec_lo, s15
	v_lshrrev_b32_e32 v15, 16, v25
	s_mov_b32 s15, exec_lo
	v_and_b32_e32 v16, 0xff, v15
	s_delay_alu instid0(VALU_DEP_1)
	v_cmpx_ne_u16_e32 0, v16
	s_cbranch_execz .LBB364_450
; %bb.443:                              ;   in Loop: Header=BB364_10 Depth=1
	v_bfrev_b32_e32 v14, 1
	s_mov_b32 s16, exec_lo
	v_cmpx_ne_u16_e32 0x80, v16
	s_cbranch_execz .LBB364_449
; %bb.444:                              ;   in Loop: Header=BB364_10 Depth=1
	v_bfe_u32 v21, v25, 16, 7
	v_mov_b32_e32 v14, 0x7f800001
	s_mov_b32 s17, exec_lo
	s_delay_alu instid0(VALU_DEP_2)
	v_cmpx_ne_u32_e32 0x7f, v21
	s_cbranch_execz .LBB364_448
; %bb.445:                              ;   in Loop: Header=BB364_10 Depth=1
	v_dual_lshrrev_b32 v14, 3, v21 :: v_dual_bitop2_b32 v16, 7, v15 bitop3:0x40
	s_mov_b32 s18, exec_lo
	v_cmpx_gt_u32_e32 8, v21
; %bb.446:                              ;   in Loop: Header=BB364_10 Depth=1
	s_delay_alu instid0(VALU_DEP_2) | instskip(NEXT) | instid1(VALU_DEP_1)
	v_clz_i32_u32_e32 v6, v16
	v_min_u32_e32 v6, 32, v6
	s_delay_alu instid0(VALU_DEP_1) | instskip(SKIP_1) | instid1(VALU_DEP_2)
	v_subrev_nc_u32_e32 v7, 28, v6
	v_sub_nc_u32_e32 v14, 29, v6
	v_lshlrev_b64_e32 v[26:27], v7, v[16:17]
	s_delay_alu instid0(VALU_DEP_1)
	v_and_b32_e32 v16, 7, v26
; %bb.447:                              ;   in Loop: Header=BB364_10 Depth=1
	s_or_b32 exec_lo, exec_lo, s18
	s_delay_alu instid0(VALU_DEP_1) | instskip(SKIP_1) | instid1(VALU_DEP_2)
	v_dual_lshlrev_b32 v6, 24, v15 :: v_dual_lshlrev_b32 v7, 20, v16
	v_lshl_add_u32 v14, v14, 23, 0x3c000000
	v_and_b32_e32 v6, 0x80000000, v6
	s_delay_alu instid0(VALU_DEP_1)
	v_or3_b32 v14, v7, v6, v14
.LBB364_448:                            ;   in Loop: Header=BB364_10 Depth=1
	s_or_b32 exec_lo, exec_lo, s17
.LBB364_449:                            ;   in Loop: Header=BB364_10 Depth=1
	s_delay_alu instid0(SALU_CYCLE_1)
	s_or_b32 exec_lo, exec_lo, s16
.LBB364_450:                            ;   in Loop: Header=BB364_10 Depth=1
	s_delay_alu instid0(SALU_CYCLE_1)
	s_or_b32 exec_lo, exec_lo, s15
	v_dual_mov_b32 v96, 0 :: v_dual_mov_b32 v15, 0
	s_mov_b32 s15, exec_lo
	v_cmpx_lt_u64_e64 s[2:3], v[24:25]
	s_cbranch_execz .LBB364_458
; %bb.451:                              ;   in Loop: Header=BB364_10 Depth=1
	v_lshrrev_b32_e32 v21, 24, v25
	v_bfrev_b32_e32 v15, 1
	s_mov_b32 s16, exec_lo
	s_delay_alu instid0(VALU_DEP_2)
	v_cmpx_ne_u32_e32 0x80, v21
	s_cbranch_execz .LBB364_457
; %bb.452:                              ;   in Loop: Header=BB364_10 Depth=1
	v_bfe_u32 v24, v25, 24, 7
	v_mov_b32_e32 v15, 0x7f800001
	s_mov_b32 s17, exec_lo
	s_delay_alu instid0(VALU_DEP_2)
	v_cmpx_ne_u32_e32 0x7f, v24
	s_cbranch_execz .LBB364_456
; %bb.453:                              ;   in Loop: Header=BB364_10 Depth=1
	v_dual_lshrrev_b32 v15, 3, v24 :: v_dual_bitop2_b32 v16, 7, v21 bitop3:0x40
	s_mov_b32 s18, exec_lo
	v_cmpx_gt_u32_e32 8, v24
; %bb.454:                              ;   in Loop: Header=BB364_10 Depth=1
	s_delay_alu instid0(VALU_DEP_2) | instskip(NEXT) | instid1(VALU_DEP_1)
	v_clz_i32_u32_e32 v6, v16
	v_min_u32_e32 v6, 32, v6
	s_delay_alu instid0(VALU_DEP_1) | instskip(NEXT) | instid1(VALU_DEP_1)
	v_subrev_nc_u32_e32 v7, 28, v6
	v_lshlrev_b64_e32 v[24:25], v7, v[16:17]
	s_delay_alu instid0(VALU_DEP_1)
	v_dual_sub_nc_u32 v15, 29, v6 :: v_dual_bitop2_b32 v16, 7, v24 bitop3:0x40
; %bb.455:                              ;   in Loop: Header=BB364_10 Depth=1
	s_or_b32 exec_lo, exec_lo, s18
	s_delay_alu instid0(VALU_DEP_1) | instskip(NEXT) | instid1(VALU_DEP_2)
	v_dual_lshlrev_b32 v6, 24, v21 :: v_dual_lshlrev_b32 v7, 20, v16
	v_lshl_add_u32 v15, v15, 23, 0x3c000000
	s_delay_alu instid0(VALU_DEP_2) | instskip(NEXT) | instid1(VALU_DEP_1)
	v_and_b32_e32 v6, 0x80000000, v6
	v_or3_b32 v15, v7, v6, v15
.LBB364_456:                            ;   in Loop: Header=BB364_10 Depth=1
	s_or_b32 exec_lo, exec_lo, s17
.LBB364_457:                            ;   in Loop: Header=BB364_10 Depth=1
	s_delay_alu instid0(SALU_CYCLE_1)
	s_or_b32 exec_lo, exec_lo, s16
.LBB364_458:                            ;   in Loop: Header=BB364_10 Depth=1
	s_delay_alu instid0(SALU_CYCLE_1)
	s_or_b32 exec_lo, exec_lo, s15
	flat_load_b64 v[24:25], v[38:39] offset:1544
	s_mov_b32 s15, exec_lo
	s_wait_loadcnt_dscnt 0x0
	v_and_b32_e32 v16, 0xff, v24
	s_wait_xcnt 0x0
	s_delay_alu instid0(VALU_DEP_1)
	v_cmpx_ne_u16_e32 0, v16
	s_cbranch_execz .LBB364_466
; %bb.459:                              ;   in Loop: Header=BB364_10 Depth=1
	v_bfrev_b32_e32 v96, 1
	s_mov_b32 s16, exec_lo
	v_cmpx_ne_u16_e32 0x80, v16
	s_cbranch_execz .LBB364_465
; %bb.460:                              ;   in Loop: Header=BB364_10 Depth=1
	v_and_b32_e32 v21, 0x7f, v24
	v_mov_b32_e32 v96, 0x7f800001
	s_mov_b32 s17, exec_lo
	s_delay_alu instid0(VALU_DEP_2)
	v_cmpx_ne_u32_e32 0x7f, v21
	s_cbranch_execz .LBB364_464
; %bb.461:                              ;   in Loop: Header=BB364_10 Depth=1
	v_mov_b64_e32 v[26:27], v[24:25]
	v_lshrrev_b32_e32 v16, 3, v21
	s_mov_b32 s18, exec_lo
	v_cmpx_gt_u32_e32 8, v21
; %bb.462:                              ;   in Loop: Header=BB364_10 Depth=1
	v_and_b32_e32 v6, 7, v24
	s_delay_alu instid0(VALU_DEP_1) | instskip(NEXT) | instid1(VALU_DEP_1)
	v_clz_i32_u32_e32 v6, v6
	v_min_u32_e32 v6, 32, v6
	s_delay_alu instid0(VALU_DEP_1) | instskip(SKIP_1) | instid1(VALU_DEP_2)
	v_subrev_nc_u32_e32 v7, 28, v6
	v_sub_nc_u32_e32 v16, 29, v6
	v_lshlrev_b64_e32 v[26:27], v7, v[24:25]
; %bb.463:                              ;   in Loop: Header=BB364_10 Depth=1
	s_or_b32 exec_lo, exec_lo, s18
	s_delay_alu instid0(VALU_DEP_1) | instskip(NEXT) | instid1(VALU_DEP_3)
	v_dual_lshlrev_b32 v6, 20, v26 :: v_dual_lshlrev_b32 v7, 24, v24
	v_lshl_add_u32 v16, v16, 23, 0x3c000000
	s_delay_alu instid0(VALU_DEP_2) | instskip(NEXT) | instid1(VALU_DEP_3)
	v_and_b32_e32 v6, 0x700000, v6
	v_and_b32_e32 v7, 0x80000000, v7
	s_delay_alu instid0(VALU_DEP_1)
	v_or3_b32 v96, v6, v7, v16
.LBB364_464:                            ;   in Loop: Header=BB364_10 Depth=1
	s_or_b32 exec_lo, exec_lo, s17
.LBB364_465:                            ;   in Loop: Header=BB364_10 Depth=1
	s_delay_alu instid0(SALU_CYCLE_1)
	s_or_b32 exec_lo, exec_lo, s16
.LBB364_466:                            ;   in Loop: Header=BB364_10 Depth=1
	s_delay_alu instid0(SALU_CYCLE_1) | instskip(SKIP_3) | instid1(VALU_DEP_2)
	s_or_b32 exec_lo, exec_lo, s15
	v_lshrrev_b16 v16, 8, v24
	v_dual_mov_b32 v28, 0 :: v_dual_mov_b32 v97, 0
	s_mov_b32 s15, exec_lo
	v_cmpx_ne_u16_e32 0, v16
	s_cbranch_execz .LBB364_474
; %bb.467:                              ;   in Loop: Header=BB364_10 Depth=1
	v_bfrev_b32_e32 v97, 1
	s_mov_b32 s16, exec_lo
	v_cmpx_ne_u16_e32 0x80, v16
	s_cbranch_execz .LBB364_473
; %bb.468:                              ;   in Loop: Header=BB364_10 Depth=1
	v_and_b32_e32 v16, 0xffff, v16
	v_mov_b32_e32 v97, 0x7f800001
	s_mov_b32 s17, exec_lo
	s_delay_alu instid0(VALU_DEP_2) | instskip(NEXT) | instid1(VALU_DEP_1)
	v_and_b32_e32 v26, 0x7f, v16
	v_cmpx_ne_u32_e32 0x7f, v26
	s_cbranch_execz .LBB364_472
; %bb.469:                              ;   in Loop: Header=BB364_10 Depth=1
	v_dual_lshrrev_b32 v21, 3, v26 :: v_dual_bitop2_b32 v16, 7, v16 bitop3:0x40
	s_mov_b32 s18, exec_lo
	v_cmpx_gt_u32_e32 8, v26
; %bb.470:                              ;   in Loop: Header=BB364_10 Depth=1
	s_delay_alu instid0(VALU_DEP_2) | instskip(NEXT) | instid1(VALU_DEP_1)
	v_clz_i32_u32_e32 v6, v16
	v_min_u32_e32 v6, 32, v6
	s_delay_alu instid0(VALU_DEP_1) | instskip(SKIP_1) | instid1(VALU_DEP_2)
	v_subrev_nc_u32_e32 v7, 28, v6
	v_sub_nc_u32_e32 v21, 29, v6
	v_lshlrev_b64_e32 v[26:27], v7, v[16:17]
	s_delay_alu instid0(VALU_DEP_1)
	v_and_b32_e32 v16, 7, v26
; %bb.471:                              ;   in Loop: Header=BB364_10 Depth=1
	s_or_b32 exec_lo, exec_lo, s18
	v_lshlrev_b32_e32 v6, 16, v24
	s_delay_alu instid0(VALU_DEP_2) | instskip(SKIP_1) | instid1(VALU_DEP_3)
	v_lshlrev_b32_e32 v7, 20, v16
	v_lshl_add_u32 v16, v21, 23, 0x3c000000
	v_and_b32_e32 v6, 0x80000000, v6
	s_delay_alu instid0(VALU_DEP_1)
	v_or3_b32 v97, v7, v6, v16
.LBB364_472:                            ;   in Loop: Header=BB364_10 Depth=1
	s_or_b32 exec_lo, exec_lo, s17
.LBB364_473:                            ;   in Loop: Header=BB364_10 Depth=1
	s_delay_alu instid0(SALU_CYCLE_1)
	s_or_b32 exec_lo, exec_lo, s16
.LBB364_474:                            ;   in Loop: Header=BB364_10 Depth=1
	s_delay_alu instid0(SALU_CYCLE_1) | instskip(SKIP_2) | instid1(VALU_DEP_1)
	s_or_b32 exec_lo, exec_lo, s15
	v_lshrrev_b32_e32 v21, 16, v24
	s_mov_b32 s15, exec_lo
	v_and_b32_e32 v16, 0xff, v21
	s_delay_alu instid0(VALU_DEP_1)
	v_cmpx_ne_u16_e32 0, v16
	s_cbranch_execz .LBB364_482
; %bb.475:                              ;   in Loop: Header=BB364_10 Depth=1
	v_bfrev_b32_e32 v28, 1
	s_mov_b32 s16, exec_lo
	v_cmpx_ne_u16_e32 0x80, v16
	s_cbranch_execz .LBB364_481
; %bb.476:                              ;   in Loop: Header=BB364_10 Depth=1
	v_bfe_u32 v27, v24, 16, 7
	v_mov_b32_e32 v28, 0x7f800001
	s_mov_b32 s17, exec_lo
	s_delay_alu instid0(VALU_DEP_2)
	v_cmpx_ne_u32_e32 0x7f, v27
	s_cbranch_execz .LBB364_480
; %bb.477:                              ;   in Loop: Header=BB364_10 Depth=1
	v_dual_lshrrev_b32 v26, 3, v27 :: v_dual_bitop2_b32 v16, 7, v21 bitop3:0x40
	s_mov_b32 s18, exec_lo
	v_cmpx_gt_u32_e32 8, v27
; %bb.478:                              ;   in Loop: Header=BB364_10 Depth=1
	s_delay_alu instid0(VALU_DEP_2) | instskip(NEXT) | instid1(VALU_DEP_1)
	v_clz_i32_u32_e32 v6, v16
	v_min_u32_e32 v6, 32, v6
	s_delay_alu instid0(VALU_DEP_1) | instskip(NEXT) | instid1(VALU_DEP_1)
	v_subrev_nc_u32_e32 v7, 28, v6
	v_lshlrev_b64_e32 v[28:29], v7, v[16:17]
	s_delay_alu instid0(VALU_DEP_1)
	v_dual_sub_nc_u32 v26, 29, v6 :: v_dual_bitop2_b32 v16, 7, v28 bitop3:0x40
; %bb.479:                              ;   in Loop: Header=BB364_10 Depth=1
	s_or_b32 exec_lo, exec_lo, s18
	s_delay_alu instid0(VALU_DEP_1) | instskip(NEXT) | instid1(VALU_DEP_2)
	v_dual_lshlrev_b32 v6, 24, v21 :: v_dual_lshlrev_b32 v7, 20, v16
	v_lshl_add_u32 v16, v26, 23, 0x3c000000
	s_delay_alu instid0(VALU_DEP_2) | instskip(NEXT) | instid1(VALU_DEP_1)
	v_and_b32_e32 v6, 0x80000000, v6
	v_or3_b32 v28, v7, v6, v16
.LBB364_480:                            ;   in Loop: Header=BB364_10 Depth=1
	s_or_b32 exec_lo, exec_lo, s17
.LBB364_481:                            ;   in Loop: Header=BB364_10 Depth=1
	s_delay_alu instid0(SALU_CYCLE_1)
	s_or_b32 exec_lo, exec_lo, s16
.LBB364_482:                            ;   in Loop: Header=BB364_10 Depth=1
	s_delay_alu instid0(SALU_CYCLE_1)
	s_or_b32 exec_lo, exec_lo, s15
	v_dual_mov_b32 v98, 0 :: v_dual_mov_b32 v29, 0
	s_mov_b32 s15, exec_lo
	v_cmpx_lt_u32_e32 0xffffff, v24
	s_cbranch_execz .LBB364_490
; %bb.483:                              ;   in Loop: Header=BB364_10 Depth=1
	v_lshrrev_b32_e32 v21, 24, v24
	v_bfrev_b32_e32 v29, 1
	s_mov_b32 s16, exec_lo
	s_delay_alu instid0(VALU_DEP_2)
	v_cmpx_ne_u32_e32 0x80, v21
	s_cbranch_execz .LBB364_489
; %bb.484:                              ;   in Loop: Header=BB364_10 Depth=1
	v_bfe_u32 v27, v24, 24, 7
	v_mov_b32_e32 v29, 0x7f800001
	s_mov_b32 s17, exec_lo
	s_delay_alu instid0(VALU_DEP_2)
	v_cmpx_ne_u32_e32 0x7f, v27
	s_cbranch_execz .LBB364_488
; %bb.485:                              ;   in Loop: Header=BB364_10 Depth=1
	v_dual_lshrrev_b32 v26, 3, v27 :: v_dual_bitop2_b32 v16, 7, v21 bitop3:0x40
	s_mov_b32 s18, exec_lo
	v_cmpx_gt_u32_e32 8, v27
; %bb.486:                              ;   in Loop: Header=BB364_10 Depth=1
	s_delay_alu instid0(VALU_DEP_2) | instskip(NEXT) | instid1(VALU_DEP_1)
	v_clz_i32_u32_e32 v6, v16
	v_min_u32_e32 v6, 32, v6
	s_delay_alu instid0(VALU_DEP_1) | instskip(SKIP_1) | instid1(VALU_DEP_2)
	v_subrev_nc_u32_e32 v7, 28, v6
	v_sub_nc_u32_e32 v26, 29, v6
	v_lshlrev_b64_e32 v[30:31], v7, v[16:17]
	s_delay_alu instid0(VALU_DEP_1)
	v_and_b32_e32 v16, 7, v30
; %bb.487:                              ;   in Loop: Header=BB364_10 Depth=1
	s_or_b32 exec_lo, exec_lo, s18
	s_delay_alu instid0(VALU_DEP_1) | instskip(SKIP_1) | instid1(VALU_DEP_2)
	v_dual_lshlrev_b32 v6, 24, v21 :: v_dual_lshlrev_b32 v7, 20, v16
	v_lshl_add_u32 v16, v26, 23, 0x3c000000
	v_and_b32_e32 v6, 0x80000000, v6
	s_delay_alu instid0(VALU_DEP_1)
	v_or3_b32 v29, v7, v6, v16
.LBB364_488:                            ;   in Loop: Header=BB364_10 Depth=1
	s_or_b32 exec_lo, exec_lo, s17
.LBB364_489:                            ;   in Loop: Header=BB364_10 Depth=1
	s_delay_alu instid0(SALU_CYCLE_1)
	s_or_b32 exec_lo, exec_lo, s16
.LBB364_490:                            ;   in Loop: Header=BB364_10 Depth=1
	s_delay_alu instid0(SALU_CYCLE_1) | instskip(SKIP_3) | instid1(VALU_DEP_2)
	s_or_b32 exec_lo, exec_lo, s15
	v_and_b32_e32 v21, 0xff, v25
	v_mov_b32_e32 v16, v25
	s_mov_b32 s15, exec_lo
	v_cmpx_ne_u16_e32 0, v21
	s_cbranch_execz .LBB364_498
; %bb.491:                              ;   in Loop: Header=BB364_10 Depth=1
	v_bfrev_b32_e32 v98, 1
	s_mov_b32 s16, exec_lo
	v_cmpx_ne_u16_e32 0x80, v21
	s_cbranch_execz .LBB364_497
; %bb.492:                              ;   in Loop: Header=BB364_10 Depth=1
	v_and_b32_e32 v26, 0x7f, v25
	v_mov_b32_e32 v98, 0x7f800001
	s_mov_b32 s17, exec_lo
	s_delay_alu instid0(VALU_DEP_2)
	v_cmpx_ne_u32_e32 0x7f, v26
	s_cbranch_execz .LBB364_496
; %bb.493:                              ;   in Loop: Header=BB364_10 Depth=1
	v_lshrrev_b32_e32 v21, 3, v26
	v_cmp_gt_u32_e64 s1, 8, v26
	v_mov_b64_e32 v[26:27], v[16:17]
	s_and_saveexec_b32 s18, s1
; %bb.494:                              ;   in Loop: Header=BB364_10 Depth=1
	v_and_b32_e32 v6, 7, v25
	s_delay_alu instid0(VALU_DEP_1) | instskip(NEXT) | instid1(VALU_DEP_1)
	v_clz_i32_u32_e32 v6, v6
	v_min_u32_e32 v6, 32, v6
	s_delay_alu instid0(VALU_DEP_1) | instskip(SKIP_1) | instid1(VALU_DEP_2)
	v_subrev_nc_u32_e32 v7, 28, v6
	v_sub_nc_u32_e32 v21, 29, v6
	v_lshlrev_b64_e32 v[26:27], v7, v[16:17]
; %bb.495:                              ;   in Loop: Header=BB364_10 Depth=1
	s_or_b32 exec_lo, exec_lo, s18
	s_delay_alu instid0(VALU_DEP_1) | instskip(NEXT) | instid1(VALU_DEP_3)
	v_dual_lshlrev_b32 v6, 20, v26 :: v_dual_lshlrev_b32 v7, 24, v16
	v_lshl_add_u32 v21, v21, 23, 0x3c000000
	s_delay_alu instid0(VALU_DEP_2) | instskip(NEXT) | instid1(VALU_DEP_3)
	v_and_b32_e32 v6, 0x700000, v6
	v_and_b32_e32 v7, 0x80000000, v7
	s_delay_alu instid0(VALU_DEP_1)
	v_or3_b32 v98, v6, v7, v21
.LBB364_496:                            ;   in Loop: Header=BB364_10 Depth=1
	s_or_b32 exec_lo, exec_lo, s17
.LBB364_497:                            ;   in Loop: Header=BB364_10 Depth=1
	s_delay_alu instid0(SALU_CYCLE_1)
	s_or_b32 exec_lo, exec_lo, s16
.LBB364_498:                            ;   in Loop: Header=BB364_10 Depth=1
	s_delay_alu instid0(SALU_CYCLE_1) | instskip(SKIP_3) | instid1(VALU_DEP_2)
	s_or_b32 exec_lo, exec_lo, s15
	v_lshrrev_b16 v21, 8, v16
	v_dual_mov_b32 v30, 0 :: v_dual_mov_b32 v99, 0
	s_mov_b32 s15, exec_lo
	v_cmpx_ne_u16_e32 0, v21
	s_cbranch_execz .LBB364_506
; %bb.499:                              ;   in Loop: Header=BB364_10 Depth=1
	v_bfrev_b32_e32 v99, 1
	s_mov_b32 s16, exec_lo
	v_cmpx_ne_u16_e32 0x80, v21
	s_cbranch_execz .LBB364_505
; %bb.500:                              ;   in Loop: Header=BB364_10 Depth=1
	v_and_b32_e32 v21, 0xffff, v21
	v_mov_b32_e32 v99, 0x7f800001
	s_mov_b32 s17, exec_lo
	s_delay_alu instid0(VALU_DEP_2) | instskip(NEXT) | instid1(VALU_DEP_1)
	v_and_b32_e32 v31, 0x7f, v21
	v_cmpx_ne_u32_e32 0x7f, v31
	s_cbranch_execz .LBB364_504
; %bb.501:                              ;   in Loop: Header=BB364_10 Depth=1
	v_dual_mov_b32 v27, v17 :: v_dual_bitop2_b32 v26, 7, v21 bitop3:0x40
	v_lshrrev_b32_e32 v21, 3, v31
	s_mov_b32 s18, exec_lo
	v_cmpx_gt_u32_e32 8, v31
; %bb.502:                              ;   in Loop: Header=BB364_10 Depth=1
	s_delay_alu instid0(VALU_DEP_3) | instskip(NEXT) | instid1(VALU_DEP_1)
	v_clz_i32_u32_e32 v6, v26
	v_min_u32_e32 v6, 32, v6
	s_delay_alu instid0(VALU_DEP_1) | instskip(SKIP_1) | instid1(VALU_DEP_2)
	v_subrev_nc_u32_e32 v7, 28, v6
	v_sub_nc_u32_e32 v21, 29, v6
	v_lshlrev_b64_e32 v[26:27], v7, v[26:27]
	s_delay_alu instid0(VALU_DEP_1)
	v_and_b32_e32 v26, 7, v26
; %bb.503:                              ;   in Loop: Header=BB364_10 Depth=1
	s_or_b32 exec_lo, exec_lo, s18
	s_delay_alu instid0(VALU_DEP_1) | instskip(SKIP_1) | instid1(VALU_DEP_2)
	v_dual_lshlrev_b32 v6, 16, v16 :: v_dual_lshlrev_b32 v7, 20, v26
	v_lshl_add_u32 v16, v21, 23, 0x3c000000
	v_and_b32_e32 v6, 0x80000000, v6
	s_delay_alu instid0(VALU_DEP_1)
	v_or3_b32 v99, v7, v6, v16
.LBB364_504:                            ;   in Loop: Header=BB364_10 Depth=1
	s_or_b32 exec_lo, exec_lo, s17
.LBB364_505:                            ;   in Loop: Header=BB364_10 Depth=1
	s_delay_alu instid0(SALU_CYCLE_1)
	s_or_b32 exec_lo, exec_lo, s16
.LBB364_506:                            ;   in Loop: Header=BB364_10 Depth=1
	s_delay_alu instid0(SALU_CYCLE_1) | instskip(SKIP_2) | instid1(VALU_DEP_1)
	s_or_b32 exec_lo, exec_lo, s15
	v_lshrrev_b32_e32 v21, 16, v25
	s_mov_b32 s15, exec_lo
	v_and_b32_e32 v16, 0xff, v21
	s_delay_alu instid0(VALU_DEP_1)
	v_cmpx_ne_u16_e32 0, v16
	s_cbranch_execz .LBB364_514
; %bb.507:                              ;   in Loop: Header=BB364_10 Depth=1
	v_bfrev_b32_e32 v30, 1
	s_mov_b32 s16, exec_lo
	v_cmpx_ne_u16_e32 0x80, v16
	s_cbranch_execz .LBB364_513
; %bb.508:                              ;   in Loop: Header=BB364_10 Depth=1
	v_bfe_u32 v27, v25, 16, 7
	v_mov_b32_e32 v30, 0x7f800001
	s_mov_b32 s17, exec_lo
	s_delay_alu instid0(VALU_DEP_2)
	v_cmpx_ne_u32_e32 0x7f, v27
	s_cbranch_execz .LBB364_512
; %bb.509:                              ;   in Loop: Header=BB364_10 Depth=1
	v_dual_lshrrev_b32 v26, 3, v27 :: v_dual_bitop2_b32 v16, 7, v21 bitop3:0x40
	s_mov_b32 s18, exec_lo
	v_cmpx_gt_u32_e32 8, v27
; %bb.510:                              ;   in Loop: Header=BB364_10 Depth=1
	s_delay_alu instid0(VALU_DEP_2) | instskip(NEXT) | instid1(VALU_DEP_1)
	v_clz_i32_u32_e32 v6, v16
	v_min_u32_e32 v6, 32, v6
	s_delay_alu instid0(VALU_DEP_1) | instskip(SKIP_1) | instid1(VALU_DEP_2)
	v_subrev_nc_u32_e32 v7, 28, v6
	v_sub_nc_u32_e32 v26, 29, v6
	v_lshlrev_b64_e32 v[30:31], v7, v[16:17]
	s_delay_alu instid0(VALU_DEP_1)
	v_and_b32_e32 v16, 7, v30
; %bb.511:                              ;   in Loop: Header=BB364_10 Depth=1
	s_or_b32 exec_lo, exec_lo, s18
	s_delay_alu instid0(VALU_DEP_1) | instskip(SKIP_1) | instid1(VALU_DEP_2)
	v_dual_lshlrev_b32 v6, 24, v21 :: v_dual_lshlrev_b32 v7, 20, v16
	v_lshl_add_u32 v16, v26, 23, 0x3c000000
	v_and_b32_e32 v6, 0x80000000, v6
	s_delay_alu instid0(VALU_DEP_1)
	v_or3_b32 v30, v7, v6, v16
.LBB364_512:                            ;   in Loop: Header=BB364_10 Depth=1
	s_or_b32 exec_lo, exec_lo, s17
.LBB364_513:                            ;   in Loop: Header=BB364_10 Depth=1
	s_delay_alu instid0(SALU_CYCLE_1)
	s_or_b32 exec_lo, exec_lo, s16
.LBB364_514:                            ;   in Loop: Header=BB364_10 Depth=1
	s_delay_alu instid0(SALU_CYCLE_1)
	s_or_b32 exec_lo, exec_lo, s15
	v_dual_mov_b32 v100, 0 :: v_dual_mov_b32 v31, 0
	s_mov_b32 s15, exec_lo
	v_cmpx_lt_u64_e64 s[2:3], v[24:25]
	s_cbranch_execz .LBB364_522
; %bb.515:                              ;   in Loop: Header=BB364_10 Depth=1
	v_lshrrev_b32_e32 v21, 24, v25
	v_bfrev_b32_e32 v31, 1
	s_mov_b32 s16, exec_lo
	s_delay_alu instid0(VALU_DEP_2)
	v_cmpx_ne_u32_e32 0x80, v21
	s_cbranch_execz .LBB364_521
; %bb.516:                              ;   in Loop: Header=BB364_10 Depth=1
	v_bfe_u32 v25, v25, 24, 7
	v_mov_b32_e32 v31, 0x7f800001
	s_mov_b32 s17, exec_lo
	s_delay_alu instid0(VALU_DEP_2)
	v_cmpx_ne_u32_e32 0x7f, v25
	s_cbranch_execz .LBB364_520
; %bb.517:                              ;   in Loop: Header=BB364_10 Depth=1
	v_and_b32_e32 v16, 7, v21
	v_lshrrev_b32_e32 v24, 3, v25
	s_mov_b32 s18, exec_lo
	v_cmpx_gt_u32_e32 8, v25
; %bb.518:                              ;   in Loop: Header=BB364_10 Depth=1
	s_delay_alu instid0(VALU_DEP_3) | instskip(NEXT) | instid1(VALU_DEP_1)
	v_clz_i32_u32_e32 v6, v16
	v_min_u32_e32 v6, 32, v6
	s_delay_alu instid0(VALU_DEP_1) | instskip(SKIP_1) | instid1(VALU_DEP_2)
	v_subrev_nc_u32_e32 v7, 28, v6
	v_sub_nc_u32_e32 v24, 29, v6
	v_lshlrev_b64_e32 v[26:27], v7, v[16:17]
	s_delay_alu instid0(VALU_DEP_1)
	v_and_b32_e32 v16, 7, v26
; %bb.519:                              ;   in Loop: Header=BB364_10 Depth=1
	s_or_b32 exec_lo, exec_lo, s18
	s_delay_alu instid0(VALU_DEP_1) | instskip(SKIP_1) | instid1(VALU_DEP_2)
	v_dual_lshlrev_b32 v6, 24, v21 :: v_dual_lshlrev_b32 v7, 20, v16
	v_lshl_add_u32 v16, v24, 23, 0x3c000000
	v_and_b32_e32 v6, 0x80000000, v6
	s_delay_alu instid0(VALU_DEP_1)
	v_or3_b32 v31, v7, v6, v16
.LBB364_520:                            ;   in Loop: Header=BB364_10 Depth=1
	s_or_b32 exec_lo, exec_lo, s17
.LBB364_521:                            ;   in Loop: Header=BB364_10 Depth=1
	s_delay_alu instid0(SALU_CYCLE_1)
	s_or_b32 exec_lo, exec_lo, s16
.LBB364_522:                            ;   in Loop: Header=BB364_10 Depth=1
	s_delay_alu instid0(SALU_CYCLE_1)
	s_or_b32 exec_lo, exec_lo, s15
	flat_load_b64 v[112:113], v[38:39] offset:2048
	s_mov_b32 s15, exec_lo
	s_wait_loadcnt_dscnt 0x0
	v_and_b32_e32 v16, 0xff, v112
	s_wait_xcnt 0x0
	s_delay_alu instid0(VALU_DEP_1)
	v_cmpx_ne_u16_e32 0, v16
	s_cbranch_execz .LBB364_530
; %bb.523:                              ;   in Loop: Header=BB364_10 Depth=1
	v_bfrev_b32_e32 v100, 1
	s_mov_b32 s16, exec_lo
	v_cmpx_ne_u16_e32 0x80, v16
	s_cbranch_execz .LBB364_529
; %bb.524:                              ;   in Loop: Header=BB364_10 Depth=1
	v_and_b32_e32 v21, 0x7f, v112
	v_mov_b32_e32 v100, 0x7f800001
	s_mov_b32 s17, exec_lo
	s_delay_alu instid0(VALU_DEP_2)
	v_cmpx_ne_u32_e32 0x7f, v21
	s_cbranch_execz .LBB364_528
; %bb.525:                              ;   in Loop: Header=BB364_10 Depth=1
	v_mov_b64_e32 v[24:25], v[112:113]
	v_lshrrev_b32_e32 v16, 3, v21
	s_mov_b32 s18, exec_lo
	v_cmpx_gt_u32_e32 8, v21
; %bb.526:                              ;   in Loop: Header=BB364_10 Depth=1
	v_and_b32_e32 v6, 7, v112
	s_delay_alu instid0(VALU_DEP_1) | instskip(NEXT) | instid1(VALU_DEP_1)
	v_clz_i32_u32_e32 v6, v6
	v_min_u32_e32 v6, 32, v6
	s_delay_alu instid0(VALU_DEP_1) | instskip(SKIP_1) | instid1(VALU_DEP_2)
	v_subrev_nc_u32_e32 v7, 28, v6
	v_sub_nc_u32_e32 v16, 29, v6
	v_lshlrev_b64_e32 v[24:25], v7, v[112:113]
; %bb.527:                              ;   in Loop: Header=BB364_10 Depth=1
	s_or_b32 exec_lo, exec_lo, s18
	s_delay_alu instid0(VALU_DEP_1) | instskip(SKIP_2) | instid1(VALU_DEP_3)
	v_lshlrev_b32_e32 v6, 20, v24
	v_lshlrev_b32_e32 v7, 24, v112
	v_lshl_add_u32 v16, v16, 23, 0x3c000000
	v_and_b32_e32 v6, 0x700000, v6
	s_delay_alu instid0(VALU_DEP_3) | instskip(NEXT) | instid1(VALU_DEP_1)
	v_and_b32_e32 v7, 0x80000000, v7
	v_or3_b32 v100, v6, v7, v16
.LBB364_528:                            ;   in Loop: Header=BB364_10 Depth=1
	s_or_b32 exec_lo, exec_lo, s17
.LBB364_529:                            ;   in Loop: Header=BB364_10 Depth=1
	s_delay_alu instid0(SALU_CYCLE_1)
	s_or_b32 exec_lo, exec_lo, s16
.LBB364_530:                            ;   in Loop: Header=BB364_10 Depth=1
	s_delay_alu instid0(SALU_CYCLE_1) | instskip(SKIP_3) | instid1(VALU_DEP_2)
	s_or_b32 exec_lo, exec_lo, s15
	v_lshrrev_b16 v16, 8, v112
	v_dual_mov_b32 v24, 0 :: v_dual_mov_b32 v101, 0
	s_mov_b32 s15, exec_lo
	v_cmpx_ne_u16_e32 0, v16
	s_cbranch_execz .LBB364_538
; %bb.531:                              ;   in Loop: Header=BB364_10 Depth=1
	v_bfrev_b32_e32 v101, 1
	s_mov_b32 s16, exec_lo
	v_cmpx_ne_u16_e32 0x80, v16
	s_cbranch_execz .LBB364_537
; %bb.532:                              ;   in Loop: Header=BB364_10 Depth=1
	v_and_b32_e32 v16, 0xffff, v16
	v_mov_b32_e32 v101, 0x7f800001
	s_mov_b32 s17, exec_lo
	s_delay_alu instid0(VALU_DEP_2) | instskip(NEXT) | instid1(VALU_DEP_1)
	v_and_b32_e32 v25, 0x7f, v16
	v_cmpx_ne_u32_e32 0x7f, v25
	s_cbranch_execz .LBB364_536
; %bb.533:                              ;   in Loop: Header=BB364_10 Depth=1
	v_dual_lshrrev_b32 v21, 3, v25 :: v_dual_bitop2_b32 v16, 7, v16 bitop3:0x40
	s_mov_b32 s18, exec_lo
	v_cmpx_gt_u32_e32 8, v25
; %bb.534:                              ;   in Loop: Header=BB364_10 Depth=1
	s_delay_alu instid0(VALU_DEP_2) | instskip(NEXT) | instid1(VALU_DEP_1)
	v_clz_i32_u32_e32 v6, v16
	v_min_u32_e32 v6, 32, v6
	s_delay_alu instid0(VALU_DEP_1) | instskip(SKIP_1) | instid1(VALU_DEP_2)
	v_subrev_nc_u32_e32 v7, 28, v6
	v_sub_nc_u32_e32 v21, 29, v6
	v_lshlrev_b64_e32 v[26:27], v7, v[16:17]
	s_delay_alu instid0(VALU_DEP_1)
	v_and_b32_e32 v16, 7, v26
; %bb.535:                              ;   in Loop: Header=BB364_10 Depth=1
	s_or_b32 exec_lo, exec_lo, s18
	v_lshlrev_b32_e32 v6, 16, v112
	s_delay_alu instid0(VALU_DEP_2) | instskip(SKIP_1) | instid1(VALU_DEP_3)
	v_lshlrev_b32_e32 v7, 20, v16
	v_lshl_add_u32 v16, v21, 23, 0x3c000000
	v_and_b32_e32 v6, 0x80000000, v6
	s_delay_alu instid0(VALU_DEP_1)
	v_or3_b32 v101, v7, v6, v16
.LBB364_536:                            ;   in Loop: Header=BB364_10 Depth=1
	s_or_b32 exec_lo, exec_lo, s17
.LBB364_537:                            ;   in Loop: Header=BB364_10 Depth=1
	s_delay_alu instid0(SALU_CYCLE_1)
	s_or_b32 exec_lo, exec_lo, s16
.LBB364_538:                            ;   in Loop: Header=BB364_10 Depth=1
	s_delay_alu instid0(SALU_CYCLE_1) | instskip(SKIP_2) | instid1(VALU_DEP_1)
	s_or_b32 exec_lo, exec_lo, s15
	v_lshrrev_b32_e32 v21, 16, v112
	s_mov_b32 s15, exec_lo
	v_and_b32_e32 v16, 0xff, v21
	s_delay_alu instid0(VALU_DEP_1)
	v_cmpx_ne_u16_e32 0, v16
	s_cbranch_execz .LBB364_546
; %bb.539:                              ;   in Loop: Header=BB364_10 Depth=1
	v_bfrev_b32_e32 v24, 1
	s_mov_b32 s16, exec_lo
	v_cmpx_ne_u16_e32 0x80, v16
	s_cbranch_execz .LBB364_545
; %bb.540:                              ;   in Loop: Header=BB364_10 Depth=1
	v_bfe_u32 v25, v112, 16, 7
	v_mov_b32_e32 v24, 0x7f800001
	s_mov_b32 s17, exec_lo
	s_delay_alu instid0(VALU_DEP_2)
	v_cmpx_ne_u32_e32 0x7f, v25
	s_cbranch_execz .LBB364_544
; %bb.541:                              ;   in Loop: Header=BB364_10 Depth=1
	v_and_b32_e32 v16, 7, v21
	v_lshrrev_b32_e32 v24, 3, v25
	s_mov_b32 s18, exec_lo
	v_cmpx_gt_u32_e32 8, v25
; %bb.542:                              ;   in Loop: Header=BB364_10 Depth=1
	s_delay_alu instid0(VALU_DEP_3) | instskip(NEXT) | instid1(VALU_DEP_1)
	v_clz_i32_u32_e32 v6, v16
	v_min_u32_e32 v6, 32, v6
	s_delay_alu instid0(VALU_DEP_1) | instskip(SKIP_1) | instid1(VALU_DEP_2)
	v_subrev_nc_u32_e32 v7, 28, v6
	v_sub_nc_u32_e32 v24, 29, v6
	v_lshlrev_b64_e32 v[26:27], v7, v[16:17]
	s_delay_alu instid0(VALU_DEP_1)
	v_and_b32_e32 v16, 7, v26
; %bb.543:                              ;   in Loop: Header=BB364_10 Depth=1
	s_or_b32 exec_lo, exec_lo, s18
	s_delay_alu instid0(VALU_DEP_1) | instskip(SKIP_1) | instid1(VALU_DEP_2)
	v_dual_lshlrev_b32 v6, 24, v21 :: v_dual_lshlrev_b32 v7, 20, v16
	v_lshl_add_u32 v16, v24, 23, 0x3c000000
	v_and_b32_e32 v6, 0x80000000, v6
	s_delay_alu instid0(VALU_DEP_1)
	v_or3_b32 v24, v7, v6, v16
.LBB364_544:                            ;   in Loop: Header=BB364_10 Depth=1
	s_or_b32 exec_lo, exec_lo, s17
.LBB364_545:                            ;   in Loop: Header=BB364_10 Depth=1
	s_delay_alu instid0(SALU_CYCLE_1)
	s_or_b32 exec_lo, exec_lo, s16
.LBB364_546:                            ;   in Loop: Header=BB364_10 Depth=1
	s_delay_alu instid0(SALU_CYCLE_1)
	s_or_b32 exec_lo, exec_lo, s15
	v_dual_mov_b32 v102, 0 :: v_dual_mov_b32 v25, 0
	s_mov_b32 s15, exec_lo
	v_cmpx_lt_u32_e32 0xffffff, v112
	s_cbranch_execz .LBB364_554
; %bb.547:                              ;   in Loop: Header=BB364_10 Depth=1
	v_lshrrev_b32_e32 v21, 24, v112
	v_bfrev_b32_e32 v25, 1
	s_mov_b32 s16, exec_lo
	s_delay_alu instid0(VALU_DEP_2)
	v_cmpx_ne_u32_e32 0x80, v21
	s_cbranch_execz .LBB364_553
; %bb.548:                              ;   in Loop: Header=BB364_10 Depth=1
	v_bfe_u32 v26, v112, 24, 7
	v_mov_b32_e32 v25, 0x7f800001
	s_mov_b32 s17, exec_lo
	s_delay_alu instid0(VALU_DEP_2)
	v_cmpx_ne_u32_e32 0x7f, v26
	s_cbranch_execz .LBB364_552
; %bb.549:                              ;   in Loop: Header=BB364_10 Depth=1
	v_dual_lshrrev_b32 v25, 3, v26 :: v_dual_bitop2_b32 v16, 7, v21 bitop3:0x40
	s_mov_b32 s18, exec_lo
	v_cmpx_gt_u32_e32 8, v26
; %bb.550:                              ;   in Loop: Header=BB364_10 Depth=1
	s_delay_alu instid0(VALU_DEP_2) | instskip(NEXT) | instid1(VALU_DEP_1)
	v_clz_i32_u32_e32 v6, v16
	v_min_u32_e32 v6, 32, v6
	s_delay_alu instid0(VALU_DEP_1) | instskip(SKIP_1) | instid1(VALU_DEP_2)
	v_subrev_nc_u32_e32 v7, 28, v6
	v_sub_nc_u32_e32 v25, 29, v6
	v_lshlrev_b64_e32 v[26:27], v7, v[16:17]
	s_delay_alu instid0(VALU_DEP_1)
	v_and_b32_e32 v16, 7, v26
; %bb.551:                              ;   in Loop: Header=BB364_10 Depth=1
	s_or_b32 exec_lo, exec_lo, s18
	s_delay_alu instid0(VALU_DEP_1) | instskip(SKIP_1) | instid1(VALU_DEP_2)
	v_dual_lshlrev_b32 v6, 24, v21 :: v_dual_lshlrev_b32 v7, 20, v16
	v_lshl_add_u32 v16, v25, 23, 0x3c000000
	v_and_b32_e32 v6, 0x80000000, v6
	s_delay_alu instid0(VALU_DEP_1)
	v_or3_b32 v25, v7, v6, v16
.LBB364_552:                            ;   in Loop: Header=BB364_10 Depth=1
	s_or_b32 exec_lo, exec_lo, s17
.LBB364_553:                            ;   in Loop: Header=BB364_10 Depth=1
	s_delay_alu instid0(SALU_CYCLE_1)
	s_or_b32 exec_lo, exec_lo, s16
.LBB364_554:                            ;   in Loop: Header=BB364_10 Depth=1
	s_delay_alu instid0(SALU_CYCLE_1) | instskip(SKIP_3) | instid1(VALU_DEP_2)
	s_or_b32 exec_lo, exec_lo, s15
	v_and_b32_e32 v21, 0xff, v113
	v_mov_b32_e32 v16, v113
	s_mov_b32 s15, exec_lo
	v_cmpx_ne_u16_e32 0, v21
	s_cbranch_execz .LBB364_562
; %bb.555:                              ;   in Loop: Header=BB364_10 Depth=1
	v_bfrev_b32_e32 v102, 1
	s_mov_b32 s16, exec_lo
	v_cmpx_ne_u16_e32 0x80, v21
	s_cbranch_execz .LBB364_561
; %bb.556:                              ;   in Loop: Header=BB364_10 Depth=1
	v_and_b32_e32 v26, 0x7f, v113
	v_mov_b32_e32 v102, 0x7f800001
	s_mov_b32 s17, exec_lo
	s_delay_alu instid0(VALU_DEP_2)
	v_cmpx_ne_u32_e32 0x7f, v26
	s_cbranch_execz .LBB364_560
; %bb.557:                              ;   in Loop: Header=BB364_10 Depth=1
	v_lshrrev_b32_e32 v21, 3, v26
	v_cmp_gt_u32_e64 s1, 8, v26
	v_mov_b64_e32 v[26:27], v[16:17]
	s_and_saveexec_b32 s18, s1
; %bb.558:                              ;   in Loop: Header=BB364_10 Depth=1
	v_and_b32_e32 v6, 7, v113
	s_delay_alu instid0(VALU_DEP_1) | instskip(NEXT) | instid1(VALU_DEP_1)
	v_clz_i32_u32_e32 v6, v6
	v_min_u32_e32 v6, 32, v6
	s_delay_alu instid0(VALU_DEP_1) | instskip(SKIP_1) | instid1(VALU_DEP_2)
	v_subrev_nc_u32_e32 v7, 28, v6
	v_sub_nc_u32_e32 v21, 29, v6
	v_lshlrev_b64_e32 v[26:27], v7, v[16:17]
; %bb.559:                              ;   in Loop: Header=BB364_10 Depth=1
	s_or_b32 exec_lo, exec_lo, s18
	s_delay_alu instid0(VALU_DEP_1) | instskip(NEXT) | instid1(VALU_DEP_3)
	v_dual_lshlrev_b32 v6, 20, v26 :: v_dual_lshlrev_b32 v7, 24, v16
	v_lshl_add_u32 v21, v21, 23, 0x3c000000
	s_delay_alu instid0(VALU_DEP_2) | instskip(NEXT) | instid1(VALU_DEP_3)
	v_and_b32_e32 v6, 0x700000, v6
	v_and_b32_e32 v7, 0x80000000, v7
	s_delay_alu instid0(VALU_DEP_1)
	v_or3_b32 v102, v6, v7, v21
.LBB364_560:                            ;   in Loop: Header=BB364_10 Depth=1
	s_or_b32 exec_lo, exec_lo, s17
.LBB364_561:                            ;   in Loop: Header=BB364_10 Depth=1
	s_delay_alu instid0(SALU_CYCLE_1)
	s_or_b32 exec_lo, exec_lo, s16
.LBB364_562:                            ;   in Loop: Header=BB364_10 Depth=1
	s_delay_alu instid0(SALU_CYCLE_1) | instskip(SKIP_3) | instid1(VALU_DEP_2)
	s_or_b32 exec_lo, exec_lo, s15
	v_lshrrev_b16 v21, 8, v16
	v_dual_mov_b32 v26, 0 :: v_dual_mov_b32 v103, 0
	s_mov_b32 s15, exec_lo
	v_cmpx_ne_u16_e32 0, v21
	s_cbranch_execz .LBB364_570
; %bb.563:                              ;   in Loop: Header=BB364_10 Depth=1
	v_bfrev_b32_e32 v103, 1
	s_mov_b32 s16, exec_lo
	v_cmpx_ne_u16_e32 0x80, v21
	s_cbranch_execz .LBB364_569
; %bb.564:                              ;   in Loop: Header=BB364_10 Depth=1
	v_and_b32_e32 v21, 0xffff, v21
	v_mov_b32_e32 v103, 0x7f800001
	s_mov_b32 s17, exec_lo
	s_delay_alu instid0(VALU_DEP_2) | instskip(NEXT) | instid1(VALU_DEP_1)
	v_and_b32_e32 v27, 0x7f, v21
	v_cmpx_ne_u32_e32 0x7f, v27
	s_cbranch_execz .LBB364_568
; %bb.565:                              ;   in Loop: Header=BB364_10 Depth=1
	v_dual_mov_b32 v115, v17 :: v_dual_bitop2_b32 v114, 7, v21 bitop3:0x40
	v_lshrrev_b32_e32 v21, 3, v27
	s_mov_b32 s18, exec_lo
	v_cmpx_gt_u32_e32 8, v27
; %bb.566:                              ;   in Loop: Header=BB364_10 Depth=1
	s_delay_alu instid0(VALU_DEP_3) | instskip(NEXT) | instid1(VALU_DEP_1)
	v_clz_i32_u32_e32 v6, v114
	v_min_u32_e32 v6, 32, v6
	s_delay_alu instid0(VALU_DEP_1) | instskip(SKIP_1) | instid1(VALU_DEP_2)
	v_subrev_nc_u32_e32 v7, 28, v6
	v_sub_nc_u32_e32 v21, 29, v6
	v_lshlrev_b64_e32 v[114:115], v7, v[114:115]
	s_delay_alu instid0(VALU_DEP_1)
	v_and_b32_e32 v114, 7, v114
; %bb.567:                              ;   in Loop: Header=BB364_10 Depth=1
	s_or_b32 exec_lo, exec_lo, s18
	s_delay_alu instid0(VALU_DEP_1) | instskip(SKIP_1) | instid1(VALU_DEP_2)
	v_dual_lshlrev_b32 v6, 16, v16 :: v_dual_lshlrev_b32 v7, 20, v114
	v_lshl_add_u32 v16, v21, 23, 0x3c000000
	v_and_b32_e32 v6, 0x80000000, v6
	s_delay_alu instid0(VALU_DEP_1)
	v_or3_b32 v103, v7, v6, v16
.LBB364_568:                            ;   in Loop: Header=BB364_10 Depth=1
	s_or_b32 exec_lo, exec_lo, s17
.LBB364_569:                            ;   in Loop: Header=BB364_10 Depth=1
	s_delay_alu instid0(SALU_CYCLE_1)
	s_or_b32 exec_lo, exec_lo, s16
.LBB364_570:                            ;   in Loop: Header=BB364_10 Depth=1
	s_delay_alu instid0(SALU_CYCLE_1) | instskip(SKIP_2) | instid1(VALU_DEP_1)
	s_or_b32 exec_lo, exec_lo, s15
	v_lshrrev_b32_e32 v21, 16, v113
	s_mov_b32 s15, exec_lo
	v_and_b32_e32 v16, 0xff, v21
	s_delay_alu instid0(VALU_DEP_1)
	v_cmpx_ne_u16_e32 0, v16
	s_cbranch_execz .LBB364_578
; %bb.571:                              ;   in Loop: Header=BB364_10 Depth=1
	v_bfrev_b32_e32 v26, 1
	s_mov_b32 s16, exec_lo
	v_cmpx_ne_u16_e32 0x80, v16
	s_cbranch_execz .LBB364_577
; %bb.572:                              ;   in Loop: Header=BB364_10 Depth=1
	v_bfe_u32 v27, v113, 16, 7
	v_mov_b32_e32 v26, 0x7f800001
	s_mov_b32 s17, exec_lo
	s_delay_alu instid0(VALU_DEP_2)
	v_cmpx_ne_u32_e32 0x7f, v27
	s_cbranch_execz .LBB364_576
; %bb.573:                              ;   in Loop: Header=BB364_10 Depth=1
	v_dual_lshrrev_b32 v26, 3, v27 :: v_dual_bitop2_b32 v16, 7, v21 bitop3:0x40
	s_mov_b32 s18, exec_lo
	v_cmpx_gt_u32_e32 8, v27
; %bb.574:                              ;   in Loop: Header=BB364_10 Depth=1
	s_delay_alu instid0(VALU_DEP_2) | instskip(NEXT) | instid1(VALU_DEP_1)
	v_clz_i32_u32_e32 v6, v16
	v_min_u32_e32 v6, 32, v6
	s_delay_alu instid0(VALU_DEP_1) | instskip(SKIP_1) | instid1(VALU_DEP_2)
	v_subrev_nc_u32_e32 v7, 28, v6
	v_sub_nc_u32_e32 v26, 29, v6
	v_lshlrev_b64_e32 v[114:115], v7, v[16:17]
	s_delay_alu instid0(VALU_DEP_1)
	v_and_b32_e32 v16, 7, v114
; %bb.575:                              ;   in Loop: Header=BB364_10 Depth=1
	s_or_b32 exec_lo, exec_lo, s18
	s_delay_alu instid0(VALU_DEP_1) | instskip(SKIP_1) | instid1(VALU_DEP_2)
	v_dual_lshlrev_b32 v6, 24, v21 :: v_dual_lshlrev_b32 v7, 20, v16
	v_lshl_add_u32 v16, v26, 23, 0x3c000000
	v_and_b32_e32 v6, 0x80000000, v6
	s_delay_alu instid0(VALU_DEP_1)
	v_or3_b32 v26, v7, v6, v16
.LBB364_576:                            ;   in Loop: Header=BB364_10 Depth=1
	s_or_b32 exec_lo, exec_lo, s17
.LBB364_577:                            ;   in Loop: Header=BB364_10 Depth=1
	s_delay_alu instid0(SALU_CYCLE_1)
	s_or_b32 exec_lo, exec_lo, s16
.LBB364_578:                            ;   in Loop: Header=BB364_10 Depth=1
	s_delay_alu instid0(SALU_CYCLE_1)
	s_or_b32 exec_lo, exec_lo, s15
	v_cmp_lt_u64_e64 s1, s[2:3], v[112:113]
	v_dual_mov_b32 v112, 0 :: v_dual_mov_b32 v27, 0
	s_and_saveexec_b32 s15, s1
	s_cbranch_execz .LBB364_586
; %bb.579:                              ;   in Loop: Header=BB364_10 Depth=1
	v_lshrrev_b32_e32 v21, 24, v113
	v_bfrev_b32_e32 v27, 1
	s_mov_b32 s16, exec_lo
	s_delay_alu instid0(VALU_DEP_2)
	v_cmpx_ne_u32_e32 0x80, v21
	s_cbranch_execz .LBB364_585
; %bb.580:                              ;   in Loop: Header=BB364_10 Depth=1
	v_bfe_u32 v113, v113, 24, 7
	v_mov_b32_e32 v27, 0x7f800001
	s_mov_b32 s17, exec_lo
	s_delay_alu instid0(VALU_DEP_2)
	v_cmpx_ne_u32_e32 0x7f, v113
	s_cbranch_execz .LBB364_584
; %bb.581:                              ;   in Loop: Header=BB364_10 Depth=1
	v_and_b32_e32 v16, 7, v21
	v_lshrrev_b32_e32 v27, 3, v113
	s_mov_b32 s18, exec_lo
	v_cmpx_gt_u32_e32 8, v113
; %bb.582:                              ;   in Loop: Header=BB364_10 Depth=1
	s_delay_alu instid0(VALU_DEP_3) | instskip(NEXT) | instid1(VALU_DEP_1)
	v_clz_i32_u32_e32 v6, v16
	v_min_u32_e32 v6, 32, v6
	s_delay_alu instid0(VALU_DEP_1) | instskip(SKIP_1) | instid1(VALU_DEP_2)
	v_subrev_nc_u32_e32 v7, 28, v6
	v_sub_nc_u32_e32 v27, 29, v6
	v_lshlrev_b64_e32 v[114:115], v7, v[16:17]
	s_delay_alu instid0(VALU_DEP_1)
	v_and_b32_e32 v16, 7, v114
; %bb.583:                              ;   in Loop: Header=BB364_10 Depth=1
	s_or_b32 exec_lo, exec_lo, s18
	s_delay_alu instid0(VALU_DEP_1) | instskip(SKIP_1) | instid1(VALU_DEP_2)
	v_dual_lshlrev_b32 v6, 24, v21 :: v_dual_lshlrev_b32 v7, 20, v16
	v_lshl_add_u32 v16, v27, 23, 0x3c000000
	v_and_b32_e32 v6, 0x80000000, v6
	s_delay_alu instid0(VALU_DEP_1)
	v_or3_b32 v27, v7, v6, v16
.LBB364_584:                            ;   in Loop: Header=BB364_10 Depth=1
	s_or_b32 exec_lo, exec_lo, s17
.LBB364_585:                            ;   in Loop: Header=BB364_10 Depth=1
	s_delay_alu instid0(SALU_CYCLE_1)
	s_or_b32 exec_lo, exec_lo, s16
.LBB364_586:                            ;   in Loop: Header=BB364_10 Depth=1
	s_delay_alu instid0(SALU_CYCLE_1)
	s_or_b32 exec_lo, exec_lo, s15
	flat_load_b64 v[40:41], v[38:39] offset:2056
	s_mov_b32 s15, exec_lo
	s_wait_loadcnt_dscnt 0x0
	v_and_b32_e32 v16, 0xff, v40
	s_wait_xcnt 0x0
	s_delay_alu instid0(VALU_DEP_1)
	v_cmpx_ne_u16_e32 0, v16
	s_cbranch_execz .LBB364_594
; %bb.587:                              ;   in Loop: Header=BB364_10 Depth=1
	v_bfrev_b32_e32 v112, 1
	s_mov_b32 s16, exec_lo
	v_cmpx_ne_u16_e32 0x80, v16
	s_cbranch_execz .LBB364_593
; %bb.588:                              ;   in Loop: Header=BB364_10 Depth=1
	v_and_b32_e32 v21, 0x7f, v40
	v_mov_b32_e32 v112, 0x7f800001
	s_mov_b32 s17, exec_lo
	s_delay_alu instid0(VALU_DEP_2)
	v_cmpx_ne_u32_e32 0x7f, v21
	s_cbranch_execz .LBB364_592
; %bb.589:                              ;   in Loop: Header=BB364_10 Depth=1
	v_mov_b64_e32 v[112:113], v[40:41]
	v_lshrrev_b32_e32 v16, 3, v21
	s_mov_b32 s18, exec_lo
	v_cmpx_gt_u32_e32 8, v21
; %bb.590:                              ;   in Loop: Header=BB364_10 Depth=1
	v_and_b32_e32 v6, 7, v40
	s_delay_alu instid0(VALU_DEP_1) | instskip(NEXT) | instid1(VALU_DEP_1)
	v_clz_i32_u32_e32 v6, v6
	v_min_u32_e32 v6, 32, v6
	s_delay_alu instid0(VALU_DEP_1) | instskip(SKIP_1) | instid1(VALU_DEP_2)
	v_subrev_nc_u32_e32 v7, 28, v6
	v_sub_nc_u32_e32 v16, 29, v6
	v_lshlrev_b64_e32 v[112:113], v7, v[40:41]
; %bb.591:                              ;   in Loop: Header=BB364_10 Depth=1
	s_or_b32 exec_lo, exec_lo, s18
	s_delay_alu instid0(VALU_DEP_1) | instskip(SKIP_2) | instid1(VALU_DEP_3)
	v_lshlrev_b32_e32 v6, 20, v112
	v_lshlrev_b32_e32 v7, 24, v40
	v_lshl_add_u32 v16, v16, 23, 0x3c000000
	v_and_b32_e32 v6, 0x700000, v6
	s_delay_alu instid0(VALU_DEP_3) | instskip(NEXT) | instid1(VALU_DEP_1)
	v_and_b32_e32 v7, 0x80000000, v7
	v_or3_b32 v112, v6, v7, v16
.LBB364_592:                            ;   in Loop: Header=BB364_10 Depth=1
	s_or_b32 exec_lo, exec_lo, s17
.LBB364_593:                            ;   in Loop: Header=BB364_10 Depth=1
	s_delay_alu instid0(SALU_CYCLE_1)
	s_or_b32 exec_lo, exec_lo, s16
.LBB364_594:                            ;   in Loop: Header=BB364_10 Depth=1
	s_delay_alu instid0(SALU_CYCLE_1) | instskip(SKIP_3) | instid1(VALU_DEP_2)
	s_or_b32 exec_lo, exec_lo, s15
	v_lshrrev_b16 v16, 8, v40
	v_dual_mov_b32 v114, 0 :: v_dual_mov_b32 v113, 0
	s_mov_b32 s15, exec_lo
	v_cmpx_ne_u16_e32 0, v16
	s_cbranch_execz .LBB364_602
; %bb.595:                              ;   in Loop: Header=BB364_10 Depth=1
	v_bfrev_b32_e32 v113, 1
	s_mov_b32 s16, exec_lo
	v_cmpx_ne_u16_e32 0x80, v16
	s_cbranch_execz .LBB364_601
; %bb.596:                              ;   in Loop: Header=BB364_10 Depth=1
	v_and_b32_e32 v16, 0xffff, v16
	v_mov_b32_e32 v113, 0x7f800001
	s_mov_b32 s17, exec_lo
	s_delay_alu instid0(VALU_DEP_2) | instskip(NEXT) | instid1(VALU_DEP_1)
	v_and_b32_e32 v115, 0x7f, v16
	v_cmpx_ne_u32_e32 0x7f, v115
	s_cbranch_execz .LBB364_600
; %bb.597:                              ;   in Loop: Header=BB364_10 Depth=1
	v_dual_lshrrev_b32 v21, 3, v115 :: v_dual_bitop2_b32 v16, 7, v16 bitop3:0x40
	s_mov_b32 s18, exec_lo
	v_cmpx_gt_u32_e32 8, v115
; %bb.598:                              ;   in Loop: Header=BB364_10 Depth=1
	s_delay_alu instid0(VALU_DEP_2) | instskip(NEXT) | instid1(VALU_DEP_1)
	v_clz_i32_u32_e32 v6, v16
	v_min_u32_e32 v6, 32, v6
	s_delay_alu instid0(VALU_DEP_1) | instskip(NEXT) | instid1(VALU_DEP_1)
	v_subrev_nc_u32_e32 v7, 28, v6
	v_lshlrev_b64_e32 v[116:117], v7, v[16:17]
	s_delay_alu instid0(VALU_DEP_1)
	v_dual_sub_nc_u32 v21, 29, v6 :: v_dual_bitop2_b32 v16, 7, v116 bitop3:0x40
; %bb.599:                              ;   in Loop: Header=BB364_10 Depth=1
	s_or_b32 exec_lo, exec_lo, s18
	v_lshlrev_b32_e32 v6, 16, v40
	s_delay_alu instid0(VALU_DEP_2) | instskip(NEXT) | instid1(VALU_DEP_3)
	v_lshlrev_b32_e32 v7, 20, v16
	v_lshl_add_u32 v16, v21, 23, 0x3c000000
	s_delay_alu instid0(VALU_DEP_3) | instskip(NEXT) | instid1(VALU_DEP_1)
	v_and_b32_e32 v6, 0x80000000, v6
	v_or3_b32 v113, v7, v6, v16
.LBB364_600:                            ;   in Loop: Header=BB364_10 Depth=1
	s_or_b32 exec_lo, exec_lo, s17
.LBB364_601:                            ;   in Loop: Header=BB364_10 Depth=1
	s_delay_alu instid0(SALU_CYCLE_1)
	s_or_b32 exec_lo, exec_lo, s16
.LBB364_602:                            ;   in Loop: Header=BB364_10 Depth=1
	s_delay_alu instid0(SALU_CYCLE_1) | instskip(SKIP_2) | instid1(VALU_DEP_1)
	s_or_b32 exec_lo, exec_lo, s15
	v_lshrrev_b32_e32 v21, 16, v40
	s_mov_b32 s15, exec_lo
	v_and_b32_e32 v16, 0xff, v21
	s_delay_alu instid0(VALU_DEP_1)
	v_cmpx_ne_u16_e32 0, v16
	s_cbranch_execz .LBB364_610
; %bb.603:                              ;   in Loop: Header=BB364_10 Depth=1
	v_bfrev_b32_e32 v114, 1
	s_mov_b32 s16, exec_lo
	v_cmpx_ne_u16_e32 0x80, v16
	s_cbranch_execz .LBB364_609
; %bb.604:                              ;   in Loop: Header=BB364_10 Depth=1
	v_bfe_u32 v115, v40, 16, 7
	v_mov_b32_e32 v114, 0x7f800001
	s_mov_b32 s17, exec_lo
	s_delay_alu instid0(VALU_DEP_2)
	v_cmpx_ne_u32_e32 0x7f, v115
	s_cbranch_execz .LBB364_608
; %bb.605:                              ;   in Loop: Header=BB364_10 Depth=1
	v_dual_lshrrev_b32 v114, 3, v115 :: v_dual_bitop2_b32 v16, 7, v21 bitop3:0x40
	s_mov_b32 s18, exec_lo
	v_cmpx_gt_u32_e32 8, v115
; %bb.606:                              ;   in Loop: Header=BB364_10 Depth=1
	s_delay_alu instid0(VALU_DEP_2) | instskip(NEXT) | instid1(VALU_DEP_1)
	v_clz_i32_u32_e32 v6, v16
	v_min_u32_e32 v6, 32, v6
	s_delay_alu instid0(VALU_DEP_1) | instskip(NEXT) | instid1(VALU_DEP_1)
	v_subrev_nc_u32_e32 v7, 28, v6
	v_lshlrev_b64_e32 v[116:117], v7, v[16:17]
	s_delay_alu instid0(VALU_DEP_1)
	v_dual_sub_nc_u32 v114, 29, v6 :: v_dual_bitop2_b32 v16, 7, v116 bitop3:0x40
; %bb.607:                              ;   in Loop: Header=BB364_10 Depth=1
	s_or_b32 exec_lo, exec_lo, s18
	s_delay_alu instid0(VALU_DEP_1) | instskip(NEXT) | instid1(VALU_DEP_2)
	v_dual_lshlrev_b32 v6, 24, v21 :: v_dual_lshlrev_b32 v7, 20, v16
	v_lshl_add_u32 v16, v114, 23, 0x3c000000
	s_delay_alu instid0(VALU_DEP_2) | instskip(NEXT) | instid1(VALU_DEP_1)
	v_and_b32_e32 v6, 0x80000000, v6
	v_or3_b32 v114, v7, v6, v16
.LBB364_608:                            ;   in Loop: Header=BB364_10 Depth=1
	s_or_b32 exec_lo, exec_lo, s17
.LBB364_609:                            ;   in Loop: Header=BB364_10 Depth=1
	s_delay_alu instid0(SALU_CYCLE_1)
	s_or_b32 exec_lo, exec_lo, s16
.LBB364_610:                            ;   in Loop: Header=BB364_10 Depth=1
	s_delay_alu instid0(SALU_CYCLE_1)
	s_or_b32 exec_lo, exec_lo, s15
	v_dual_mov_b32 v116, 0 :: v_dual_mov_b32 v115, 0
	s_mov_b32 s15, exec_lo
	v_cmpx_lt_u32_e32 0xffffff, v40
	s_cbranch_execz .LBB364_618
; %bb.611:                              ;   in Loop: Header=BB364_10 Depth=1
	v_lshrrev_b32_e32 v21, 24, v40
	v_bfrev_b32_e32 v115, 1
	s_mov_b32 s16, exec_lo
	s_delay_alu instid0(VALU_DEP_2)
	v_cmpx_ne_u32_e32 0x80, v21
	s_cbranch_execz .LBB364_617
; %bb.612:                              ;   in Loop: Header=BB364_10 Depth=1
	v_bfe_u32 v117, v40, 24, 7
	v_mov_b32_e32 v115, 0x7f800001
	s_mov_b32 s17, exec_lo
	s_delay_alu instid0(VALU_DEP_2)
	v_cmpx_ne_u32_e32 0x7f, v117
	s_cbranch_execz .LBB364_616
; %bb.613:                              ;   in Loop: Header=BB364_10 Depth=1
	v_and_b32_e32 v16, 7, v21
	v_lshrrev_b32_e32 v115, 3, v117
	s_mov_b32 s18, exec_lo
	v_cmpx_gt_u32_e32 8, v117
; %bb.614:                              ;   in Loop: Header=BB364_10 Depth=1
	s_delay_alu instid0(VALU_DEP_3) | instskip(NEXT) | instid1(VALU_DEP_1)
	v_clz_i32_u32_e32 v6, v16
	v_min_u32_e32 v6, 32, v6
	s_delay_alu instid0(VALU_DEP_1) | instskip(SKIP_1) | instid1(VALU_DEP_2)
	v_subrev_nc_u32_e32 v7, 28, v6
	v_sub_nc_u32_e32 v115, 29, v6
	v_lshlrev_b64_e32 v[118:119], v7, v[16:17]
	s_delay_alu instid0(VALU_DEP_1)
	v_and_b32_e32 v16, 7, v118
; %bb.615:                              ;   in Loop: Header=BB364_10 Depth=1
	s_or_b32 exec_lo, exec_lo, s18
	s_delay_alu instid0(VALU_DEP_1) | instskip(SKIP_1) | instid1(VALU_DEP_2)
	v_dual_lshlrev_b32 v6, 24, v21 :: v_dual_lshlrev_b32 v7, 20, v16
	v_lshl_add_u32 v16, v115, 23, 0x3c000000
	v_and_b32_e32 v6, 0x80000000, v6
	s_delay_alu instid0(VALU_DEP_1)
	v_or3_b32 v115, v7, v6, v16
.LBB364_616:                            ;   in Loop: Header=BB364_10 Depth=1
	s_or_b32 exec_lo, exec_lo, s17
.LBB364_617:                            ;   in Loop: Header=BB364_10 Depth=1
	s_delay_alu instid0(SALU_CYCLE_1)
	s_or_b32 exec_lo, exec_lo, s16
.LBB364_618:                            ;   in Loop: Header=BB364_10 Depth=1
	s_delay_alu instid0(SALU_CYCLE_1) | instskip(SKIP_3) | instid1(VALU_DEP_2)
	s_or_b32 exec_lo, exec_lo, s15
	v_and_b32_e32 v21, 0xff, v41
	v_mov_b32_e32 v16, v41
	s_mov_b32 s15, exec_lo
	v_cmpx_ne_u16_e32 0, v21
	s_cbranch_execz .LBB364_626
; %bb.619:                              ;   in Loop: Header=BB364_10 Depth=1
	v_bfrev_b32_e32 v116, 1
	s_mov_b32 s16, exec_lo
	v_cmpx_ne_u16_e32 0x80, v21
	s_cbranch_execz .LBB364_625
; %bb.620:                              ;   in Loop: Header=BB364_10 Depth=1
	v_and_b32_e32 v117, 0x7f, v41
	v_mov_b32_e32 v116, 0x7f800001
	s_mov_b32 s17, exec_lo
	s_delay_alu instid0(VALU_DEP_2)
	v_cmpx_ne_u32_e32 0x7f, v117
	s_cbranch_execz .LBB364_624
; %bb.621:                              ;   in Loop: Header=BB364_10 Depth=1
	v_lshrrev_b32_e32 v21, 3, v117
	v_cmp_gt_u32_e64 s1, 8, v117
	v_mov_b64_e32 v[116:117], v[16:17]
	s_and_saveexec_b32 s18, s1
; %bb.622:                              ;   in Loop: Header=BB364_10 Depth=1
	v_and_b32_e32 v6, 7, v41
	s_delay_alu instid0(VALU_DEP_1) | instskip(NEXT) | instid1(VALU_DEP_1)
	v_clz_i32_u32_e32 v6, v6
	v_min_u32_e32 v6, 32, v6
	s_delay_alu instid0(VALU_DEP_1) | instskip(SKIP_1) | instid1(VALU_DEP_2)
	v_subrev_nc_u32_e32 v7, 28, v6
	v_sub_nc_u32_e32 v21, 29, v6
	v_lshlrev_b64_e32 v[116:117], v7, v[16:17]
; %bb.623:                              ;   in Loop: Header=BB364_10 Depth=1
	s_or_b32 exec_lo, exec_lo, s18
	s_delay_alu instid0(VALU_DEP_1) | instskip(SKIP_2) | instid1(VALU_DEP_3)
	v_lshlrev_b32_e32 v6, 20, v116
	v_lshlrev_b32_e32 v7, 24, v16
	v_lshl_add_u32 v21, v21, 23, 0x3c000000
	v_and_b32_e32 v6, 0x700000, v6
	s_delay_alu instid0(VALU_DEP_3) | instskip(NEXT) | instid1(VALU_DEP_1)
	v_and_b32_e32 v7, 0x80000000, v7
	v_or3_b32 v116, v6, v7, v21
.LBB364_624:                            ;   in Loop: Header=BB364_10 Depth=1
	s_or_b32 exec_lo, exec_lo, s17
.LBB364_625:                            ;   in Loop: Header=BB364_10 Depth=1
	s_delay_alu instid0(SALU_CYCLE_1)
	s_or_b32 exec_lo, exec_lo, s16
.LBB364_626:                            ;   in Loop: Header=BB364_10 Depth=1
	s_delay_alu instid0(SALU_CYCLE_1) | instskip(SKIP_3) | instid1(VALU_DEP_2)
	s_or_b32 exec_lo, exec_lo, s15
	v_lshrrev_b16 v21, 8, v16
	v_dual_mov_b32 v118, 0 :: v_dual_mov_b32 v117, 0
	s_mov_b32 s15, exec_lo
	v_cmpx_ne_u16_e32 0, v21
	s_cbranch_execz .LBB364_634
; %bb.627:                              ;   in Loop: Header=BB364_10 Depth=1
	v_bfrev_b32_e32 v117, 1
	s_mov_b32 s16, exec_lo
	v_cmpx_ne_u16_e32 0x80, v21
	s_cbranch_execz .LBB364_633
; %bb.628:                              ;   in Loop: Header=BB364_10 Depth=1
	v_and_b32_e32 v21, 0xffff, v21
	v_mov_b32_e32 v117, 0x7f800001
	s_mov_b32 s17, exec_lo
	s_delay_alu instid0(VALU_DEP_2) | instskip(NEXT) | instid1(VALU_DEP_1)
	v_and_b32_e32 v119, 0x7f, v21
	v_cmpx_ne_u32_e32 0x7f, v119
	s_cbranch_execz .LBB364_632
; %bb.629:                              ;   in Loop: Header=BB364_10 Depth=1
	v_dual_mov_b32 v43, v17 :: v_dual_bitop2_b32 v42, 7, v21 bitop3:0x40
	v_lshrrev_b32_e32 v21, 3, v119
	s_mov_b32 s18, exec_lo
	v_cmpx_gt_u32_e32 8, v119
; %bb.630:                              ;   in Loop: Header=BB364_10 Depth=1
	s_delay_alu instid0(VALU_DEP_3) | instskip(NEXT) | instid1(VALU_DEP_1)
	v_clz_i32_u32_e32 v6, v42
	v_min_u32_e32 v6, 32, v6
	s_delay_alu instid0(VALU_DEP_1) | instskip(SKIP_1) | instid1(VALU_DEP_2)
	v_subrev_nc_u32_e32 v7, 28, v6
	v_sub_nc_u32_e32 v21, 29, v6
	v_lshlrev_b64_e32 v[42:43], v7, v[42:43]
	s_delay_alu instid0(VALU_DEP_1)
	v_and_b32_e32 v42, 7, v42
; %bb.631:                              ;   in Loop: Header=BB364_10 Depth=1
	s_or_b32 exec_lo, exec_lo, s18
	s_delay_alu instid0(VALU_DEP_1) | instskip(SKIP_1) | instid1(VALU_DEP_2)
	v_dual_lshlrev_b32 v6, 16, v16 :: v_dual_lshlrev_b32 v7, 20, v42
	v_lshl_add_u32 v16, v21, 23, 0x3c000000
	v_and_b32_e32 v6, 0x80000000, v6
	s_delay_alu instid0(VALU_DEP_1)
	v_or3_b32 v117, v7, v6, v16
.LBB364_632:                            ;   in Loop: Header=BB364_10 Depth=1
	s_or_b32 exec_lo, exec_lo, s17
.LBB364_633:                            ;   in Loop: Header=BB364_10 Depth=1
	s_delay_alu instid0(SALU_CYCLE_1)
	s_or_b32 exec_lo, exec_lo, s16
.LBB364_634:                            ;   in Loop: Header=BB364_10 Depth=1
	s_delay_alu instid0(SALU_CYCLE_1) | instskip(SKIP_2) | instid1(VALU_DEP_1)
	s_or_b32 exec_lo, exec_lo, s15
	v_lshrrev_b32_e32 v21, 16, v41
	s_mov_b32 s15, exec_lo
	v_and_b32_e32 v16, 0xff, v21
	s_delay_alu instid0(VALU_DEP_1)
	v_cmpx_ne_u16_e32 0, v16
	s_cbranch_execz .LBB364_642
; %bb.635:                              ;   in Loop: Header=BB364_10 Depth=1
	v_bfrev_b32_e32 v118, 1
	s_mov_b32 s16, exec_lo
	v_cmpx_ne_u16_e32 0x80, v16
	s_cbranch_execz .LBB364_641
; %bb.636:                              ;   in Loop: Header=BB364_10 Depth=1
	v_bfe_u32 v119, v41, 16, 7
	v_mov_b32_e32 v118, 0x7f800001
	s_mov_b32 s17, exec_lo
	s_delay_alu instid0(VALU_DEP_2)
	v_cmpx_ne_u32_e32 0x7f, v119
	s_cbranch_execz .LBB364_640
; %bb.637:                              ;   in Loop: Header=BB364_10 Depth=1
	v_dual_lshrrev_b32 v118, 3, v119 :: v_dual_bitop2_b32 v16, 7, v21 bitop3:0x40
	s_mov_b32 s18, exec_lo
	v_cmpx_gt_u32_e32 8, v119
; %bb.638:                              ;   in Loop: Header=BB364_10 Depth=1
	s_delay_alu instid0(VALU_DEP_2) | instskip(NEXT) | instid1(VALU_DEP_1)
	v_clz_i32_u32_e32 v6, v16
	v_min_u32_e32 v6, 32, v6
	s_delay_alu instid0(VALU_DEP_1) | instskip(SKIP_1) | instid1(VALU_DEP_2)
	v_subrev_nc_u32_e32 v7, 28, v6
	v_sub_nc_u32_e32 v118, 29, v6
	v_lshlrev_b64_e32 v[42:43], v7, v[16:17]
	s_delay_alu instid0(VALU_DEP_1)
	v_and_b32_e32 v16, 7, v42
; %bb.639:                              ;   in Loop: Header=BB364_10 Depth=1
	s_or_b32 exec_lo, exec_lo, s18
	s_delay_alu instid0(VALU_DEP_1) | instskip(SKIP_1) | instid1(VALU_DEP_2)
	v_dual_lshlrev_b32 v6, 24, v21 :: v_dual_lshlrev_b32 v7, 20, v16
	v_lshl_add_u32 v16, v118, 23, 0x3c000000
	v_and_b32_e32 v6, 0x80000000, v6
	s_delay_alu instid0(VALU_DEP_1)
	v_or3_b32 v118, v7, v6, v16
.LBB364_640:                            ;   in Loop: Header=BB364_10 Depth=1
	s_or_b32 exec_lo, exec_lo, s17
.LBB364_641:                            ;   in Loop: Header=BB364_10 Depth=1
	s_delay_alu instid0(SALU_CYCLE_1)
	s_or_b32 exec_lo, exec_lo, s16
.LBB364_642:                            ;   in Loop: Header=BB364_10 Depth=1
	s_delay_alu instid0(SALU_CYCLE_1)
	s_or_b32 exec_lo, exec_lo, s15
	v_cmp_lt_u64_e64 s1, s[2:3], v[40:41]
	v_dual_mov_b32 v40, 0 :: v_dual_mov_b32 v119, 0
	s_and_saveexec_b32 s15, s1
	s_cbranch_execz .LBB364_650
; %bb.643:                              ;   in Loop: Header=BB364_10 Depth=1
	v_lshrrev_b32_e32 v21, 24, v41
	v_bfrev_b32_e32 v119, 1
	s_mov_b32 s16, exec_lo
	s_delay_alu instid0(VALU_DEP_2)
	v_cmpx_ne_u32_e32 0x80, v21
	s_cbranch_execz .LBB364_649
; %bb.644:                              ;   in Loop: Header=BB364_10 Depth=1
	v_bfe_u32 v41, v41, 24, 7
	v_mov_b32_e32 v119, 0x7f800001
	s_mov_b32 s17, exec_lo
	s_delay_alu instid0(VALU_DEP_2)
	v_cmpx_ne_u32_e32 0x7f, v41
	s_cbranch_execz .LBB364_648
; %bb.645:                              ;   in Loop: Header=BB364_10 Depth=1
	v_and_b32_e32 v16, 7, v21
	v_lshrrev_b32_e32 v119, 3, v41
	s_mov_b32 s18, exec_lo
	v_cmpx_gt_u32_e32 8, v41
; %bb.646:                              ;   in Loop: Header=BB364_10 Depth=1
	s_delay_alu instid0(VALU_DEP_3) | instskip(NEXT) | instid1(VALU_DEP_1)
	v_clz_i32_u32_e32 v6, v16
	v_min_u32_e32 v6, 32, v6
	s_delay_alu instid0(VALU_DEP_1) | instskip(SKIP_1) | instid1(VALU_DEP_2)
	v_subrev_nc_u32_e32 v7, 28, v6
	v_sub_nc_u32_e32 v119, 29, v6
	v_lshlrev_b64_e32 v[42:43], v7, v[16:17]
	s_delay_alu instid0(VALU_DEP_1)
	v_and_b32_e32 v16, 7, v42
; %bb.647:                              ;   in Loop: Header=BB364_10 Depth=1
	s_or_b32 exec_lo, exec_lo, s18
	s_delay_alu instid0(VALU_DEP_1) | instskip(SKIP_1) | instid1(VALU_DEP_2)
	v_dual_lshlrev_b32 v6, 24, v21 :: v_dual_lshlrev_b32 v7, 20, v16
	v_lshl_add_u32 v16, v119, 23, 0x3c000000
	v_and_b32_e32 v6, 0x80000000, v6
	s_delay_alu instid0(VALU_DEP_1)
	v_or3_b32 v119, v7, v6, v16
.LBB364_648:                            ;   in Loop: Header=BB364_10 Depth=1
	s_or_b32 exec_lo, exec_lo, s17
.LBB364_649:                            ;   in Loop: Header=BB364_10 Depth=1
	s_delay_alu instid0(SALU_CYCLE_1)
	s_or_b32 exec_lo, exec_lo, s16
.LBB364_650:                            ;   in Loop: Header=BB364_10 Depth=1
	s_delay_alu instid0(SALU_CYCLE_1)
	s_or_b32 exec_lo, exec_lo, s15
	flat_load_b64 v[56:57], v[38:39] offset:2560
	s_mov_b32 s15, exec_lo
	s_wait_loadcnt_dscnt 0x0
	v_and_b32_e32 v16, 0xff, v56
	s_wait_xcnt 0x0
	s_delay_alu instid0(VALU_DEP_1)
	v_cmpx_ne_u16_e32 0, v16
	s_cbranch_execz .LBB364_658
; %bb.651:                              ;   in Loop: Header=BB364_10 Depth=1
	v_bfrev_b32_e32 v40, 1
	s_mov_b32 s16, exec_lo
	v_cmpx_ne_u16_e32 0x80, v16
	s_cbranch_execz .LBB364_657
; %bb.652:                              ;   in Loop: Header=BB364_10 Depth=1
	v_and_b32_e32 v21, 0x7f, v56
	v_mov_b32_e32 v40, 0x7f800001
	s_mov_b32 s17, exec_lo
	s_delay_alu instid0(VALU_DEP_2)
	v_cmpx_ne_u32_e32 0x7f, v21
	s_cbranch_execz .LBB364_656
; %bb.653:                              ;   in Loop: Header=BB364_10 Depth=1
	v_mov_b64_e32 v[40:41], v[56:57]
	v_lshrrev_b32_e32 v16, 3, v21
	s_mov_b32 s18, exec_lo
	v_cmpx_gt_u32_e32 8, v21
; %bb.654:                              ;   in Loop: Header=BB364_10 Depth=1
	v_and_b32_e32 v6, 7, v56
	s_delay_alu instid0(VALU_DEP_1) | instskip(NEXT) | instid1(VALU_DEP_1)
	v_clz_i32_u32_e32 v6, v6
	v_min_u32_e32 v6, 32, v6
	s_delay_alu instid0(VALU_DEP_1) | instskip(SKIP_1) | instid1(VALU_DEP_2)
	v_subrev_nc_u32_e32 v7, 28, v6
	v_sub_nc_u32_e32 v16, 29, v6
	v_lshlrev_b64_e32 v[40:41], v7, v[56:57]
; %bb.655:                              ;   in Loop: Header=BB364_10 Depth=1
	s_or_b32 exec_lo, exec_lo, s18
	s_delay_alu instid0(VALU_DEP_1) | instskip(SKIP_2) | instid1(VALU_DEP_3)
	v_lshlrev_b32_e32 v6, 20, v40
	v_lshlrev_b32_e32 v7, 24, v56
	v_lshl_add_u32 v16, v16, 23, 0x3c000000
	v_and_b32_e32 v6, 0x700000, v6
	s_delay_alu instid0(VALU_DEP_3) | instskip(NEXT) | instid1(VALU_DEP_1)
	v_and_b32_e32 v7, 0x80000000, v7
	v_or3_b32 v40, v6, v7, v16
.LBB364_656:                            ;   in Loop: Header=BB364_10 Depth=1
	s_or_b32 exec_lo, exec_lo, s17
.LBB364_657:                            ;   in Loop: Header=BB364_10 Depth=1
	s_delay_alu instid0(SALU_CYCLE_1)
	s_or_b32 exec_lo, exec_lo, s16
.LBB364_658:                            ;   in Loop: Header=BB364_10 Depth=1
	s_delay_alu instid0(SALU_CYCLE_1) | instskip(SKIP_3) | instid1(VALU_DEP_2)
	s_or_b32 exec_lo, exec_lo, s15
	v_lshrrev_b16 v16, 8, v56
	v_dual_mov_b32 v42, 0 :: v_dual_mov_b32 v41, 0
	s_mov_b32 s15, exec_lo
	v_cmpx_ne_u16_e32 0, v16
	s_cbranch_execz .LBB364_666
; %bb.659:                              ;   in Loop: Header=BB364_10 Depth=1
	v_bfrev_b32_e32 v41, 1
	s_mov_b32 s16, exec_lo
	v_cmpx_ne_u16_e32 0x80, v16
	s_cbranch_execz .LBB364_665
; %bb.660:                              ;   in Loop: Header=BB364_10 Depth=1
	v_and_b32_e32 v16, 0xffff, v16
	v_mov_b32_e32 v41, 0x7f800001
	s_mov_b32 s17, exec_lo
	s_delay_alu instid0(VALU_DEP_2) | instskip(NEXT) | instid1(VALU_DEP_1)
	v_and_b32_e32 v43, 0x7f, v16
	v_cmpx_ne_u32_e32 0x7f, v43
	s_cbranch_execz .LBB364_664
; %bb.661:                              ;   in Loop: Header=BB364_10 Depth=1
	v_dual_lshrrev_b32 v21, 3, v43 :: v_dual_bitop2_b32 v16, 7, v16 bitop3:0x40
	s_mov_b32 s18, exec_lo
	v_cmpx_gt_u32_e32 8, v43
; %bb.662:                              ;   in Loop: Header=BB364_10 Depth=1
	s_delay_alu instid0(VALU_DEP_2) | instskip(NEXT) | instid1(VALU_DEP_1)
	v_clz_i32_u32_e32 v6, v16
	v_min_u32_e32 v6, 32, v6
	s_delay_alu instid0(VALU_DEP_1) | instskip(NEXT) | instid1(VALU_DEP_1)
	v_subrev_nc_u32_e32 v7, 28, v6
	v_lshlrev_b64_e32 v[44:45], v7, v[16:17]
	s_delay_alu instid0(VALU_DEP_1)
	v_dual_sub_nc_u32 v21, 29, v6 :: v_dual_bitop2_b32 v16, 7, v44 bitop3:0x40
; %bb.663:                              ;   in Loop: Header=BB364_10 Depth=1
	s_or_b32 exec_lo, exec_lo, s18
	v_lshlrev_b32_e32 v6, 16, v56
	s_delay_alu instid0(VALU_DEP_2) | instskip(NEXT) | instid1(VALU_DEP_3)
	v_lshlrev_b32_e32 v7, 20, v16
	v_lshl_add_u32 v16, v21, 23, 0x3c000000
	s_delay_alu instid0(VALU_DEP_3) | instskip(NEXT) | instid1(VALU_DEP_1)
	v_and_b32_e32 v6, 0x80000000, v6
	v_or3_b32 v41, v7, v6, v16
.LBB364_664:                            ;   in Loop: Header=BB364_10 Depth=1
	s_or_b32 exec_lo, exec_lo, s17
.LBB364_665:                            ;   in Loop: Header=BB364_10 Depth=1
	s_delay_alu instid0(SALU_CYCLE_1)
	s_or_b32 exec_lo, exec_lo, s16
.LBB364_666:                            ;   in Loop: Header=BB364_10 Depth=1
	s_delay_alu instid0(SALU_CYCLE_1) | instskip(SKIP_2) | instid1(VALU_DEP_1)
	s_or_b32 exec_lo, exec_lo, s15
	v_lshrrev_b32_e32 v21, 16, v56
	s_mov_b32 s15, exec_lo
	v_and_b32_e32 v16, 0xff, v21
	s_delay_alu instid0(VALU_DEP_1)
	v_cmpx_ne_u16_e32 0, v16
	s_cbranch_execz .LBB364_674
; %bb.667:                              ;   in Loop: Header=BB364_10 Depth=1
	v_bfrev_b32_e32 v42, 1
	s_mov_b32 s16, exec_lo
	v_cmpx_ne_u16_e32 0x80, v16
	s_cbranch_execz .LBB364_673
; %bb.668:                              ;   in Loop: Header=BB364_10 Depth=1
	v_bfe_u32 v43, v56, 16, 7
	v_mov_b32_e32 v42, 0x7f800001
	s_mov_b32 s17, exec_lo
	s_delay_alu instid0(VALU_DEP_2)
	v_cmpx_ne_u32_e32 0x7f, v43
	s_cbranch_execz .LBB364_672
; %bb.669:                              ;   in Loop: Header=BB364_10 Depth=1
	v_dual_lshrrev_b32 v42, 3, v43 :: v_dual_bitop2_b32 v16, 7, v21 bitop3:0x40
	s_mov_b32 s18, exec_lo
	v_cmpx_gt_u32_e32 8, v43
; %bb.670:                              ;   in Loop: Header=BB364_10 Depth=1
	s_delay_alu instid0(VALU_DEP_2) | instskip(NEXT) | instid1(VALU_DEP_1)
	v_clz_i32_u32_e32 v6, v16
	v_min_u32_e32 v6, 32, v6
	s_delay_alu instid0(VALU_DEP_1) | instskip(NEXT) | instid1(VALU_DEP_1)
	v_subrev_nc_u32_e32 v7, 28, v6
	v_lshlrev_b64_e32 v[44:45], v7, v[16:17]
	s_delay_alu instid0(VALU_DEP_1)
	v_dual_sub_nc_u32 v42, 29, v6 :: v_dual_bitop2_b32 v16, 7, v44 bitop3:0x40
; %bb.671:                              ;   in Loop: Header=BB364_10 Depth=1
	s_or_b32 exec_lo, exec_lo, s18
	s_delay_alu instid0(VALU_DEP_1) | instskip(NEXT) | instid1(VALU_DEP_2)
	v_dual_lshlrev_b32 v6, 24, v21 :: v_dual_lshlrev_b32 v7, 20, v16
	v_lshl_add_u32 v16, v42, 23, 0x3c000000
	s_delay_alu instid0(VALU_DEP_2) | instskip(NEXT) | instid1(VALU_DEP_1)
	v_and_b32_e32 v6, 0x80000000, v6
	v_or3_b32 v42, v7, v6, v16
.LBB364_672:                            ;   in Loop: Header=BB364_10 Depth=1
	s_or_b32 exec_lo, exec_lo, s17
.LBB364_673:                            ;   in Loop: Header=BB364_10 Depth=1
	s_delay_alu instid0(SALU_CYCLE_1)
	s_or_b32 exec_lo, exec_lo, s16
.LBB364_674:                            ;   in Loop: Header=BB364_10 Depth=1
	s_delay_alu instid0(SALU_CYCLE_1)
	s_or_b32 exec_lo, exec_lo, s15
	v_dual_mov_b32 v44, 0 :: v_dual_mov_b32 v43, 0
	s_mov_b32 s15, exec_lo
	v_cmpx_lt_u32_e32 0xffffff, v56
	s_cbranch_execz .LBB364_682
; %bb.675:                              ;   in Loop: Header=BB364_10 Depth=1
	v_lshrrev_b32_e32 v21, 24, v56
	v_bfrev_b32_e32 v43, 1
	s_mov_b32 s16, exec_lo
	s_delay_alu instid0(VALU_DEP_2)
	v_cmpx_ne_u32_e32 0x80, v21
	s_cbranch_execz .LBB364_681
; %bb.676:                              ;   in Loop: Header=BB364_10 Depth=1
	v_bfe_u32 v45, v56, 24, 7
	v_mov_b32_e32 v43, 0x7f800001
	s_mov_b32 s17, exec_lo
	s_delay_alu instid0(VALU_DEP_2)
	v_cmpx_ne_u32_e32 0x7f, v45
	s_cbranch_execz .LBB364_680
; %bb.677:                              ;   in Loop: Header=BB364_10 Depth=1
	v_and_b32_e32 v16, 7, v21
	v_lshrrev_b32_e32 v43, 3, v45
	s_mov_b32 s18, exec_lo
	v_cmpx_gt_u32_e32 8, v45
; %bb.678:                              ;   in Loop: Header=BB364_10 Depth=1
	s_delay_alu instid0(VALU_DEP_3) | instskip(NEXT) | instid1(VALU_DEP_1)
	v_clz_i32_u32_e32 v6, v16
	v_min_u32_e32 v6, 32, v6
	s_delay_alu instid0(VALU_DEP_1) | instskip(SKIP_1) | instid1(VALU_DEP_2)
	v_subrev_nc_u32_e32 v7, 28, v6
	v_sub_nc_u32_e32 v43, 29, v6
	v_lshlrev_b64_e32 v[46:47], v7, v[16:17]
	s_delay_alu instid0(VALU_DEP_1)
	v_and_b32_e32 v16, 7, v46
; %bb.679:                              ;   in Loop: Header=BB364_10 Depth=1
	s_or_b32 exec_lo, exec_lo, s18
	s_delay_alu instid0(VALU_DEP_1) | instskip(SKIP_1) | instid1(VALU_DEP_2)
	v_dual_lshlrev_b32 v6, 24, v21 :: v_dual_lshlrev_b32 v7, 20, v16
	v_lshl_add_u32 v16, v43, 23, 0x3c000000
	v_and_b32_e32 v6, 0x80000000, v6
	s_delay_alu instid0(VALU_DEP_1)
	v_or3_b32 v43, v7, v6, v16
.LBB364_680:                            ;   in Loop: Header=BB364_10 Depth=1
	s_or_b32 exec_lo, exec_lo, s17
.LBB364_681:                            ;   in Loop: Header=BB364_10 Depth=1
	s_delay_alu instid0(SALU_CYCLE_1)
	s_or_b32 exec_lo, exec_lo, s16
.LBB364_682:                            ;   in Loop: Header=BB364_10 Depth=1
	s_delay_alu instid0(SALU_CYCLE_1) | instskip(SKIP_3) | instid1(VALU_DEP_2)
	s_or_b32 exec_lo, exec_lo, s15
	v_and_b32_e32 v21, 0xff, v57
	v_mov_b32_e32 v16, v57
	s_mov_b32 s15, exec_lo
	v_cmpx_ne_u16_e32 0, v21
	s_cbranch_execz .LBB364_690
; %bb.683:                              ;   in Loop: Header=BB364_10 Depth=1
	v_bfrev_b32_e32 v44, 1
	s_mov_b32 s16, exec_lo
	v_cmpx_ne_u16_e32 0x80, v21
	s_cbranch_execz .LBB364_689
; %bb.684:                              ;   in Loop: Header=BB364_10 Depth=1
	v_and_b32_e32 v45, 0x7f, v57
	v_mov_b32_e32 v44, 0x7f800001
	s_mov_b32 s17, exec_lo
	s_delay_alu instid0(VALU_DEP_2)
	v_cmpx_ne_u32_e32 0x7f, v45
	s_cbranch_execz .LBB364_688
; %bb.685:                              ;   in Loop: Header=BB364_10 Depth=1
	v_lshrrev_b32_e32 v21, 3, v45
	v_cmp_gt_u32_e64 s1, 8, v45
	v_mov_b64_e32 v[44:45], v[16:17]
	s_and_saveexec_b32 s18, s1
; %bb.686:                              ;   in Loop: Header=BB364_10 Depth=1
	v_and_b32_e32 v6, 7, v57
	s_delay_alu instid0(VALU_DEP_1) | instskip(NEXT) | instid1(VALU_DEP_1)
	v_clz_i32_u32_e32 v6, v6
	v_min_u32_e32 v6, 32, v6
	s_delay_alu instid0(VALU_DEP_1) | instskip(SKIP_1) | instid1(VALU_DEP_2)
	v_subrev_nc_u32_e32 v7, 28, v6
	v_sub_nc_u32_e32 v21, 29, v6
	v_lshlrev_b64_e32 v[44:45], v7, v[16:17]
; %bb.687:                              ;   in Loop: Header=BB364_10 Depth=1
	s_or_b32 exec_lo, exec_lo, s18
	s_delay_alu instid0(VALU_DEP_1) | instskip(SKIP_2) | instid1(VALU_DEP_3)
	v_lshlrev_b32_e32 v6, 20, v44
	v_lshlrev_b32_e32 v7, 24, v16
	v_lshl_add_u32 v21, v21, 23, 0x3c000000
	v_and_b32_e32 v6, 0x700000, v6
	s_delay_alu instid0(VALU_DEP_3) | instskip(NEXT) | instid1(VALU_DEP_1)
	v_and_b32_e32 v7, 0x80000000, v7
	v_or3_b32 v44, v6, v7, v21
.LBB364_688:                            ;   in Loop: Header=BB364_10 Depth=1
	s_or_b32 exec_lo, exec_lo, s17
.LBB364_689:                            ;   in Loop: Header=BB364_10 Depth=1
	s_delay_alu instid0(SALU_CYCLE_1)
	s_or_b32 exec_lo, exec_lo, s16
.LBB364_690:                            ;   in Loop: Header=BB364_10 Depth=1
	s_delay_alu instid0(SALU_CYCLE_1) | instskip(SKIP_3) | instid1(VALU_DEP_2)
	s_or_b32 exec_lo, exec_lo, s15
	v_lshrrev_b16 v21, 8, v16
	v_dual_mov_b32 v46, 0 :: v_dual_mov_b32 v45, 0
	s_mov_b32 s15, exec_lo
	v_cmpx_ne_u16_e32 0, v21
	s_cbranch_execz .LBB364_698
; %bb.691:                              ;   in Loop: Header=BB364_10 Depth=1
	v_bfrev_b32_e32 v45, 1
	s_mov_b32 s16, exec_lo
	v_cmpx_ne_u16_e32 0x80, v21
	s_cbranch_execz .LBB364_697
; %bb.692:                              ;   in Loop: Header=BB364_10 Depth=1
	v_and_b32_e32 v21, 0xffff, v21
	v_mov_b32_e32 v45, 0x7f800001
	s_mov_b32 s17, exec_lo
	s_delay_alu instid0(VALU_DEP_2) | instskip(NEXT) | instid1(VALU_DEP_1)
	v_and_b32_e32 v47, 0x7f, v21
	v_cmpx_ne_u32_e32 0x7f, v47
	s_cbranch_execz .LBB364_696
; %bb.693:                              ;   in Loop: Header=BB364_10 Depth=1
	v_dual_mov_b32 v59, v17 :: v_dual_bitop2_b32 v58, 7, v21 bitop3:0x40
	v_lshrrev_b32_e32 v21, 3, v47
	s_mov_b32 s18, exec_lo
	v_cmpx_gt_u32_e32 8, v47
; %bb.694:                              ;   in Loop: Header=BB364_10 Depth=1
	s_delay_alu instid0(VALU_DEP_3) | instskip(NEXT) | instid1(VALU_DEP_1)
	v_clz_i32_u32_e32 v6, v58
	v_min_u32_e32 v6, 32, v6
	s_delay_alu instid0(VALU_DEP_1) | instskip(SKIP_1) | instid1(VALU_DEP_2)
	v_subrev_nc_u32_e32 v7, 28, v6
	v_sub_nc_u32_e32 v21, 29, v6
	v_lshlrev_b64_e32 v[58:59], v7, v[58:59]
	s_delay_alu instid0(VALU_DEP_1)
	v_and_b32_e32 v58, 7, v58
; %bb.695:                              ;   in Loop: Header=BB364_10 Depth=1
	s_or_b32 exec_lo, exec_lo, s18
	s_delay_alu instid0(VALU_DEP_1) | instskip(SKIP_1) | instid1(VALU_DEP_2)
	v_dual_lshlrev_b32 v6, 16, v16 :: v_dual_lshlrev_b32 v7, 20, v58
	v_lshl_add_u32 v16, v21, 23, 0x3c000000
	v_and_b32_e32 v6, 0x80000000, v6
	s_delay_alu instid0(VALU_DEP_1)
	v_or3_b32 v45, v7, v6, v16
.LBB364_696:                            ;   in Loop: Header=BB364_10 Depth=1
	s_or_b32 exec_lo, exec_lo, s17
.LBB364_697:                            ;   in Loop: Header=BB364_10 Depth=1
	s_delay_alu instid0(SALU_CYCLE_1)
	s_or_b32 exec_lo, exec_lo, s16
.LBB364_698:                            ;   in Loop: Header=BB364_10 Depth=1
	s_delay_alu instid0(SALU_CYCLE_1) | instskip(SKIP_2) | instid1(VALU_DEP_1)
	s_or_b32 exec_lo, exec_lo, s15
	v_lshrrev_b32_e32 v21, 16, v57
	s_mov_b32 s15, exec_lo
	v_and_b32_e32 v16, 0xff, v21
	s_delay_alu instid0(VALU_DEP_1)
	v_cmpx_ne_u16_e32 0, v16
	s_cbranch_execz .LBB364_706
; %bb.699:                              ;   in Loop: Header=BB364_10 Depth=1
	v_bfrev_b32_e32 v46, 1
	s_mov_b32 s16, exec_lo
	v_cmpx_ne_u16_e32 0x80, v16
	s_cbranch_execz .LBB364_705
; %bb.700:                              ;   in Loop: Header=BB364_10 Depth=1
	v_bfe_u32 v47, v57, 16, 7
	v_mov_b32_e32 v46, 0x7f800001
	s_mov_b32 s17, exec_lo
	s_delay_alu instid0(VALU_DEP_2)
	v_cmpx_ne_u32_e32 0x7f, v47
	s_cbranch_execz .LBB364_704
; %bb.701:                              ;   in Loop: Header=BB364_10 Depth=1
	v_dual_lshrrev_b32 v46, 3, v47 :: v_dual_bitop2_b32 v16, 7, v21 bitop3:0x40
	s_mov_b32 s18, exec_lo
	v_cmpx_gt_u32_e32 8, v47
; %bb.702:                              ;   in Loop: Header=BB364_10 Depth=1
	s_delay_alu instid0(VALU_DEP_2) | instskip(NEXT) | instid1(VALU_DEP_1)
	v_clz_i32_u32_e32 v6, v16
	v_min_u32_e32 v6, 32, v6
	s_delay_alu instid0(VALU_DEP_1) | instskip(SKIP_1) | instid1(VALU_DEP_2)
	v_subrev_nc_u32_e32 v7, 28, v6
	v_sub_nc_u32_e32 v46, 29, v6
	v_lshlrev_b64_e32 v[58:59], v7, v[16:17]
	s_delay_alu instid0(VALU_DEP_1)
	v_and_b32_e32 v16, 7, v58
; %bb.703:                              ;   in Loop: Header=BB364_10 Depth=1
	s_or_b32 exec_lo, exec_lo, s18
	s_delay_alu instid0(VALU_DEP_1) | instskip(SKIP_1) | instid1(VALU_DEP_2)
	v_dual_lshlrev_b32 v6, 24, v21 :: v_dual_lshlrev_b32 v7, 20, v16
	v_lshl_add_u32 v16, v46, 23, 0x3c000000
	v_and_b32_e32 v6, 0x80000000, v6
	s_delay_alu instid0(VALU_DEP_1)
	v_or3_b32 v46, v7, v6, v16
.LBB364_704:                            ;   in Loop: Header=BB364_10 Depth=1
	s_or_b32 exec_lo, exec_lo, s17
.LBB364_705:                            ;   in Loop: Header=BB364_10 Depth=1
	s_delay_alu instid0(SALU_CYCLE_1)
	s_or_b32 exec_lo, exec_lo, s16
.LBB364_706:                            ;   in Loop: Header=BB364_10 Depth=1
	s_delay_alu instid0(SALU_CYCLE_1)
	s_or_b32 exec_lo, exec_lo, s15
	v_cmp_lt_u64_e64 s1, s[2:3], v[56:57]
	v_dual_mov_b32 v56, 0 :: v_dual_mov_b32 v47, 0
	s_and_saveexec_b32 s15, s1
	s_cbranch_execz .LBB364_714
; %bb.707:                              ;   in Loop: Header=BB364_10 Depth=1
	v_lshrrev_b32_e32 v21, 24, v57
	v_bfrev_b32_e32 v47, 1
	s_mov_b32 s16, exec_lo
	s_delay_alu instid0(VALU_DEP_2)
	v_cmpx_ne_u32_e32 0x80, v21
	s_cbranch_execz .LBB364_713
; %bb.708:                              ;   in Loop: Header=BB364_10 Depth=1
	v_bfe_u32 v57, v57, 24, 7
	v_mov_b32_e32 v47, 0x7f800001
	s_mov_b32 s17, exec_lo
	s_delay_alu instid0(VALU_DEP_2)
	v_cmpx_ne_u32_e32 0x7f, v57
	s_cbranch_execz .LBB364_712
; %bb.709:                              ;   in Loop: Header=BB364_10 Depth=1
	v_and_b32_e32 v16, 7, v21
	v_lshrrev_b32_e32 v47, 3, v57
	s_mov_b32 s18, exec_lo
	v_cmpx_gt_u32_e32 8, v57
; %bb.710:                              ;   in Loop: Header=BB364_10 Depth=1
	s_delay_alu instid0(VALU_DEP_3) | instskip(NEXT) | instid1(VALU_DEP_1)
	v_clz_i32_u32_e32 v6, v16
	v_min_u32_e32 v6, 32, v6
	s_delay_alu instid0(VALU_DEP_1) | instskip(SKIP_1) | instid1(VALU_DEP_2)
	v_subrev_nc_u32_e32 v7, 28, v6
	v_sub_nc_u32_e32 v47, 29, v6
	v_lshlrev_b64_e32 v[58:59], v7, v[16:17]
	s_delay_alu instid0(VALU_DEP_1)
	v_and_b32_e32 v16, 7, v58
; %bb.711:                              ;   in Loop: Header=BB364_10 Depth=1
	s_or_b32 exec_lo, exec_lo, s18
	s_delay_alu instid0(VALU_DEP_1) | instskip(SKIP_1) | instid1(VALU_DEP_2)
	v_dual_lshlrev_b32 v6, 24, v21 :: v_dual_lshlrev_b32 v7, 20, v16
	v_lshl_add_u32 v16, v47, 23, 0x3c000000
	v_and_b32_e32 v6, 0x80000000, v6
	s_delay_alu instid0(VALU_DEP_1)
	v_or3_b32 v47, v7, v6, v16
.LBB364_712:                            ;   in Loop: Header=BB364_10 Depth=1
	s_or_b32 exec_lo, exec_lo, s17
.LBB364_713:                            ;   in Loop: Header=BB364_10 Depth=1
	s_delay_alu instid0(SALU_CYCLE_1)
	s_or_b32 exec_lo, exec_lo, s16
.LBB364_714:                            ;   in Loop: Header=BB364_10 Depth=1
	s_delay_alu instid0(SALU_CYCLE_1)
	s_or_b32 exec_lo, exec_lo, s15
	flat_load_b64 v[72:73], v[38:39] offset:2568
	s_mov_b32 s15, exec_lo
	s_wait_loadcnt_dscnt 0x0
	v_and_b32_e32 v16, 0xff, v72
	s_wait_xcnt 0x0
	s_delay_alu instid0(VALU_DEP_1)
	v_cmpx_ne_u16_e32 0, v16
	s_cbranch_execz .LBB364_722
; %bb.715:                              ;   in Loop: Header=BB364_10 Depth=1
	v_bfrev_b32_e32 v56, 1
	s_mov_b32 s16, exec_lo
	v_cmpx_ne_u16_e32 0x80, v16
	s_cbranch_execz .LBB364_721
; %bb.716:                              ;   in Loop: Header=BB364_10 Depth=1
	v_and_b32_e32 v21, 0x7f, v72
	v_mov_b32_e32 v56, 0x7f800001
	s_mov_b32 s17, exec_lo
	s_delay_alu instid0(VALU_DEP_2)
	v_cmpx_ne_u32_e32 0x7f, v21
	s_cbranch_execz .LBB364_720
; %bb.717:                              ;   in Loop: Header=BB364_10 Depth=1
	v_mov_b64_e32 v[56:57], v[72:73]
	v_lshrrev_b32_e32 v16, 3, v21
	s_mov_b32 s18, exec_lo
	v_cmpx_gt_u32_e32 8, v21
; %bb.718:                              ;   in Loop: Header=BB364_10 Depth=1
	v_and_b32_e32 v6, 7, v72
	s_delay_alu instid0(VALU_DEP_1) | instskip(NEXT) | instid1(VALU_DEP_1)
	v_clz_i32_u32_e32 v6, v6
	v_min_u32_e32 v6, 32, v6
	s_delay_alu instid0(VALU_DEP_1) | instskip(SKIP_1) | instid1(VALU_DEP_2)
	v_subrev_nc_u32_e32 v7, 28, v6
	v_sub_nc_u32_e32 v16, 29, v6
	v_lshlrev_b64_e32 v[56:57], v7, v[72:73]
; %bb.719:                              ;   in Loop: Header=BB364_10 Depth=1
	s_or_b32 exec_lo, exec_lo, s18
	s_delay_alu instid0(VALU_DEP_1) | instskip(SKIP_2) | instid1(VALU_DEP_3)
	v_lshlrev_b32_e32 v6, 20, v56
	v_lshlrev_b32_e32 v7, 24, v72
	v_lshl_add_u32 v16, v16, 23, 0x3c000000
	v_and_b32_e32 v6, 0x700000, v6
	s_delay_alu instid0(VALU_DEP_3) | instskip(NEXT) | instid1(VALU_DEP_1)
	v_and_b32_e32 v7, 0x80000000, v7
	v_or3_b32 v56, v6, v7, v16
.LBB364_720:                            ;   in Loop: Header=BB364_10 Depth=1
	s_or_b32 exec_lo, exec_lo, s17
.LBB364_721:                            ;   in Loop: Header=BB364_10 Depth=1
	s_delay_alu instid0(SALU_CYCLE_1)
	s_or_b32 exec_lo, exec_lo, s16
.LBB364_722:                            ;   in Loop: Header=BB364_10 Depth=1
	s_delay_alu instid0(SALU_CYCLE_1) | instskip(SKIP_3) | instid1(VALU_DEP_2)
	s_or_b32 exec_lo, exec_lo, s15
	v_lshrrev_b16 v16, 8, v72
	v_dual_mov_b32 v58, 0 :: v_dual_mov_b32 v57, 0
	s_mov_b32 s15, exec_lo
	v_cmpx_ne_u16_e32 0, v16
	s_cbranch_execz .LBB364_730
; %bb.723:                              ;   in Loop: Header=BB364_10 Depth=1
	v_bfrev_b32_e32 v57, 1
	s_mov_b32 s16, exec_lo
	v_cmpx_ne_u16_e32 0x80, v16
	s_cbranch_execz .LBB364_729
; %bb.724:                              ;   in Loop: Header=BB364_10 Depth=1
	v_and_b32_e32 v16, 0xffff, v16
	v_mov_b32_e32 v57, 0x7f800001
	s_mov_b32 s17, exec_lo
	s_delay_alu instid0(VALU_DEP_2) | instskip(NEXT) | instid1(VALU_DEP_1)
	v_and_b32_e32 v59, 0x7f, v16
	v_cmpx_ne_u32_e32 0x7f, v59
	s_cbranch_execz .LBB364_728
; %bb.725:                              ;   in Loop: Header=BB364_10 Depth=1
	v_dual_lshrrev_b32 v21, 3, v59 :: v_dual_bitop2_b32 v16, 7, v16 bitop3:0x40
	s_mov_b32 s18, exec_lo
	v_cmpx_gt_u32_e32 8, v59
; %bb.726:                              ;   in Loop: Header=BB364_10 Depth=1
	s_delay_alu instid0(VALU_DEP_2) | instskip(NEXT) | instid1(VALU_DEP_1)
	v_clz_i32_u32_e32 v6, v16
	v_min_u32_e32 v6, 32, v6
	s_delay_alu instid0(VALU_DEP_1) | instskip(NEXT) | instid1(VALU_DEP_1)
	v_subrev_nc_u32_e32 v7, 28, v6
	v_lshlrev_b64_e32 v[60:61], v7, v[16:17]
	s_delay_alu instid0(VALU_DEP_1)
	v_dual_sub_nc_u32 v21, 29, v6 :: v_dual_bitop2_b32 v16, 7, v60 bitop3:0x40
; %bb.727:                              ;   in Loop: Header=BB364_10 Depth=1
	s_or_b32 exec_lo, exec_lo, s18
	v_lshlrev_b32_e32 v6, 16, v72
	s_delay_alu instid0(VALU_DEP_2) | instskip(NEXT) | instid1(VALU_DEP_3)
	v_lshlrev_b32_e32 v7, 20, v16
	v_lshl_add_u32 v16, v21, 23, 0x3c000000
	s_delay_alu instid0(VALU_DEP_3) | instskip(NEXT) | instid1(VALU_DEP_1)
	v_and_b32_e32 v6, 0x80000000, v6
	v_or3_b32 v57, v7, v6, v16
.LBB364_728:                            ;   in Loop: Header=BB364_10 Depth=1
	s_or_b32 exec_lo, exec_lo, s17
.LBB364_729:                            ;   in Loop: Header=BB364_10 Depth=1
	s_delay_alu instid0(SALU_CYCLE_1)
	s_or_b32 exec_lo, exec_lo, s16
.LBB364_730:                            ;   in Loop: Header=BB364_10 Depth=1
	s_delay_alu instid0(SALU_CYCLE_1) | instskip(SKIP_2) | instid1(VALU_DEP_1)
	s_or_b32 exec_lo, exec_lo, s15
	v_lshrrev_b32_e32 v21, 16, v72
	s_mov_b32 s15, exec_lo
	v_and_b32_e32 v16, 0xff, v21
	s_delay_alu instid0(VALU_DEP_1)
	v_cmpx_ne_u16_e32 0, v16
	s_cbranch_execz .LBB364_738
; %bb.731:                              ;   in Loop: Header=BB364_10 Depth=1
	v_bfrev_b32_e32 v58, 1
	s_mov_b32 s16, exec_lo
	v_cmpx_ne_u16_e32 0x80, v16
	s_cbranch_execz .LBB364_737
; %bb.732:                              ;   in Loop: Header=BB364_10 Depth=1
	v_bfe_u32 v59, v72, 16, 7
	v_mov_b32_e32 v58, 0x7f800001
	s_mov_b32 s17, exec_lo
	s_delay_alu instid0(VALU_DEP_2)
	v_cmpx_ne_u32_e32 0x7f, v59
	s_cbranch_execz .LBB364_736
; %bb.733:                              ;   in Loop: Header=BB364_10 Depth=1
	v_dual_lshrrev_b32 v58, 3, v59 :: v_dual_bitop2_b32 v16, 7, v21 bitop3:0x40
	s_mov_b32 s18, exec_lo
	v_cmpx_gt_u32_e32 8, v59
; %bb.734:                              ;   in Loop: Header=BB364_10 Depth=1
	s_delay_alu instid0(VALU_DEP_2) | instskip(NEXT) | instid1(VALU_DEP_1)
	v_clz_i32_u32_e32 v6, v16
	v_min_u32_e32 v6, 32, v6
	s_delay_alu instid0(VALU_DEP_1) | instskip(NEXT) | instid1(VALU_DEP_1)
	v_subrev_nc_u32_e32 v7, 28, v6
	v_lshlrev_b64_e32 v[60:61], v7, v[16:17]
	s_delay_alu instid0(VALU_DEP_1)
	v_dual_sub_nc_u32 v58, 29, v6 :: v_dual_bitop2_b32 v16, 7, v60 bitop3:0x40
; %bb.735:                              ;   in Loop: Header=BB364_10 Depth=1
	s_or_b32 exec_lo, exec_lo, s18
	s_delay_alu instid0(VALU_DEP_1) | instskip(NEXT) | instid1(VALU_DEP_2)
	v_dual_lshlrev_b32 v6, 24, v21 :: v_dual_lshlrev_b32 v7, 20, v16
	v_lshl_add_u32 v16, v58, 23, 0x3c000000
	s_delay_alu instid0(VALU_DEP_2) | instskip(NEXT) | instid1(VALU_DEP_1)
	v_and_b32_e32 v6, 0x80000000, v6
	v_or3_b32 v58, v7, v6, v16
.LBB364_736:                            ;   in Loop: Header=BB364_10 Depth=1
	s_or_b32 exec_lo, exec_lo, s17
.LBB364_737:                            ;   in Loop: Header=BB364_10 Depth=1
	s_delay_alu instid0(SALU_CYCLE_1)
	s_or_b32 exec_lo, exec_lo, s16
.LBB364_738:                            ;   in Loop: Header=BB364_10 Depth=1
	s_delay_alu instid0(SALU_CYCLE_1)
	s_or_b32 exec_lo, exec_lo, s15
	v_dual_mov_b32 v60, 0 :: v_dual_mov_b32 v59, 0
	s_mov_b32 s15, exec_lo
	v_cmpx_lt_u32_e32 0xffffff, v72
	s_cbranch_execz .LBB364_746
; %bb.739:                              ;   in Loop: Header=BB364_10 Depth=1
	v_lshrrev_b32_e32 v21, 24, v72
	v_bfrev_b32_e32 v59, 1
	s_mov_b32 s16, exec_lo
	s_delay_alu instid0(VALU_DEP_2)
	v_cmpx_ne_u32_e32 0x80, v21
	s_cbranch_execz .LBB364_745
; %bb.740:                              ;   in Loop: Header=BB364_10 Depth=1
	v_bfe_u32 v61, v72, 24, 7
	v_mov_b32_e32 v59, 0x7f800001
	s_mov_b32 s17, exec_lo
	s_delay_alu instid0(VALU_DEP_2)
	v_cmpx_ne_u32_e32 0x7f, v61
	s_cbranch_execz .LBB364_744
; %bb.741:                              ;   in Loop: Header=BB364_10 Depth=1
	v_and_b32_e32 v16, 7, v21
	v_lshrrev_b32_e32 v59, 3, v61
	s_mov_b32 s18, exec_lo
	v_cmpx_gt_u32_e32 8, v61
; %bb.742:                              ;   in Loop: Header=BB364_10 Depth=1
	s_delay_alu instid0(VALU_DEP_3) | instskip(NEXT) | instid1(VALU_DEP_1)
	v_clz_i32_u32_e32 v6, v16
	v_min_u32_e32 v6, 32, v6
	s_delay_alu instid0(VALU_DEP_1) | instskip(SKIP_1) | instid1(VALU_DEP_2)
	v_subrev_nc_u32_e32 v7, 28, v6
	v_sub_nc_u32_e32 v59, 29, v6
	v_lshlrev_b64_e32 v[62:63], v7, v[16:17]
	s_delay_alu instid0(VALU_DEP_1)
	v_and_b32_e32 v16, 7, v62
; %bb.743:                              ;   in Loop: Header=BB364_10 Depth=1
	s_or_b32 exec_lo, exec_lo, s18
	s_delay_alu instid0(VALU_DEP_1) | instskip(SKIP_1) | instid1(VALU_DEP_2)
	v_dual_lshlrev_b32 v6, 24, v21 :: v_dual_lshlrev_b32 v7, 20, v16
	v_lshl_add_u32 v16, v59, 23, 0x3c000000
	v_and_b32_e32 v6, 0x80000000, v6
	s_delay_alu instid0(VALU_DEP_1)
	v_or3_b32 v59, v7, v6, v16
.LBB364_744:                            ;   in Loop: Header=BB364_10 Depth=1
	s_or_b32 exec_lo, exec_lo, s17
.LBB364_745:                            ;   in Loop: Header=BB364_10 Depth=1
	s_delay_alu instid0(SALU_CYCLE_1)
	s_or_b32 exec_lo, exec_lo, s16
.LBB364_746:                            ;   in Loop: Header=BB364_10 Depth=1
	s_delay_alu instid0(SALU_CYCLE_1) | instskip(SKIP_3) | instid1(VALU_DEP_2)
	s_or_b32 exec_lo, exec_lo, s15
	v_and_b32_e32 v21, 0xff, v73
	v_mov_b32_e32 v16, v73
	s_mov_b32 s15, exec_lo
	v_cmpx_ne_u16_e32 0, v21
	s_cbranch_execz .LBB364_754
; %bb.747:                              ;   in Loop: Header=BB364_10 Depth=1
	v_bfrev_b32_e32 v60, 1
	s_mov_b32 s16, exec_lo
	v_cmpx_ne_u16_e32 0x80, v21
	s_cbranch_execz .LBB364_753
; %bb.748:                              ;   in Loop: Header=BB364_10 Depth=1
	v_and_b32_e32 v61, 0x7f, v73
	v_mov_b32_e32 v60, 0x7f800001
	s_mov_b32 s17, exec_lo
	s_delay_alu instid0(VALU_DEP_2)
	v_cmpx_ne_u32_e32 0x7f, v61
	s_cbranch_execz .LBB364_752
; %bb.749:                              ;   in Loop: Header=BB364_10 Depth=1
	v_lshrrev_b32_e32 v21, 3, v61
	v_cmp_gt_u32_e64 s1, 8, v61
	v_mov_b64_e32 v[60:61], v[16:17]
	s_and_saveexec_b32 s18, s1
; %bb.750:                              ;   in Loop: Header=BB364_10 Depth=1
	v_and_b32_e32 v6, 7, v73
	s_delay_alu instid0(VALU_DEP_1) | instskip(NEXT) | instid1(VALU_DEP_1)
	v_clz_i32_u32_e32 v6, v6
	v_min_u32_e32 v6, 32, v6
	s_delay_alu instid0(VALU_DEP_1) | instskip(SKIP_1) | instid1(VALU_DEP_2)
	v_subrev_nc_u32_e32 v7, 28, v6
	v_sub_nc_u32_e32 v21, 29, v6
	v_lshlrev_b64_e32 v[60:61], v7, v[16:17]
; %bb.751:                              ;   in Loop: Header=BB364_10 Depth=1
	s_or_b32 exec_lo, exec_lo, s18
	s_delay_alu instid0(VALU_DEP_1) | instskip(SKIP_2) | instid1(VALU_DEP_3)
	v_lshlrev_b32_e32 v6, 20, v60
	v_lshlrev_b32_e32 v7, 24, v16
	v_lshl_add_u32 v21, v21, 23, 0x3c000000
	v_and_b32_e32 v6, 0x700000, v6
	s_delay_alu instid0(VALU_DEP_3) | instskip(NEXT) | instid1(VALU_DEP_1)
	v_and_b32_e32 v7, 0x80000000, v7
	v_or3_b32 v60, v6, v7, v21
.LBB364_752:                            ;   in Loop: Header=BB364_10 Depth=1
	s_or_b32 exec_lo, exec_lo, s17
.LBB364_753:                            ;   in Loop: Header=BB364_10 Depth=1
	s_delay_alu instid0(SALU_CYCLE_1)
	s_or_b32 exec_lo, exec_lo, s16
.LBB364_754:                            ;   in Loop: Header=BB364_10 Depth=1
	s_delay_alu instid0(SALU_CYCLE_1) | instskip(SKIP_3) | instid1(VALU_DEP_2)
	s_or_b32 exec_lo, exec_lo, s15
	v_lshrrev_b16 v21, 8, v16
	v_dual_mov_b32 v62, 0 :: v_dual_mov_b32 v61, 0
	s_mov_b32 s15, exec_lo
	v_cmpx_ne_u16_e32 0, v21
	s_cbranch_execz .LBB364_762
; %bb.755:                              ;   in Loop: Header=BB364_10 Depth=1
	v_bfrev_b32_e32 v61, 1
	s_mov_b32 s16, exec_lo
	v_cmpx_ne_u16_e32 0x80, v21
	s_cbranch_execz .LBB364_761
; %bb.756:                              ;   in Loop: Header=BB364_10 Depth=1
	v_and_b32_e32 v21, 0xffff, v21
	v_mov_b32_e32 v61, 0x7f800001
	s_mov_b32 s17, exec_lo
	s_delay_alu instid0(VALU_DEP_2) | instskip(NEXT) | instid1(VALU_DEP_1)
	v_and_b32_e32 v63, 0x7f, v21
	v_cmpx_ne_u32_e32 0x7f, v63
	s_cbranch_execz .LBB364_760
; %bb.757:                              ;   in Loop: Header=BB364_10 Depth=1
	v_dual_mov_b32 v75, v17 :: v_dual_bitop2_b32 v74, 7, v21 bitop3:0x40
	v_lshrrev_b32_e32 v21, 3, v63
	s_mov_b32 s18, exec_lo
	v_cmpx_gt_u32_e32 8, v63
; %bb.758:                              ;   in Loop: Header=BB364_10 Depth=1
	s_delay_alu instid0(VALU_DEP_3) | instskip(NEXT) | instid1(VALU_DEP_1)
	v_clz_i32_u32_e32 v6, v74
	v_min_u32_e32 v6, 32, v6
	s_delay_alu instid0(VALU_DEP_1) | instskip(SKIP_1) | instid1(VALU_DEP_2)
	v_subrev_nc_u32_e32 v7, 28, v6
	v_sub_nc_u32_e32 v21, 29, v6
	v_lshlrev_b64_e32 v[74:75], v7, v[74:75]
	s_delay_alu instid0(VALU_DEP_1)
	v_and_b32_e32 v74, 7, v74
; %bb.759:                              ;   in Loop: Header=BB364_10 Depth=1
	s_or_b32 exec_lo, exec_lo, s18
	s_delay_alu instid0(VALU_DEP_1) | instskip(SKIP_1) | instid1(VALU_DEP_2)
	v_dual_lshlrev_b32 v6, 16, v16 :: v_dual_lshlrev_b32 v7, 20, v74
	v_lshl_add_u32 v16, v21, 23, 0x3c000000
	v_and_b32_e32 v6, 0x80000000, v6
	s_delay_alu instid0(VALU_DEP_1)
	v_or3_b32 v61, v7, v6, v16
.LBB364_760:                            ;   in Loop: Header=BB364_10 Depth=1
	s_or_b32 exec_lo, exec_lo, s17
.LBB364_761:                            ;   in Loop: Header=BB364_10 Depth=1
	s_delay_alu instid0(SALU_CYCLE_1)
	s_or_b32 exec_lo, exec_lo, s16
.LBB364_762:                            ;   in Loop: Header=BB364_10 Depth=1
	s_delay_alu instid0(SALU_CYCLE_1) | instskip(SKIP_2) | instid1(VALU_DEP_1)
	s_or_b32 exec_lo, exec_lo, s15
	v_lshrrev_b32_e32 v21, 16, v73
	s_mov_b32 s15, exec_lo
	v_and_b32_e32 v16, 0xff, v21
	s_delay_alu instid0(VALU_DEP_1)
	v_cmpx_ne_u16_e32 0, v16
	s_cbranch_execz .LBB364_770
; %bb.763:                              ;   in Loop: Header=BB364_10 Depth=1
	v_bfrev_b32_e32 v62, 1
	s_mov_b32 s16, exec_lo
	v_cmpx_ne_u16_e32 0x80, v16
	s_cbranch_execz .LBB364_769
; %bb.764:                              ;   in Loop: Header=BB364_10 Depth=1
	v_bfe_u32 v63, v73, 16, 7
	v_mov_b32_e32 v62, 0x7f800001
	s_mov_b32 s17, exec_lo
	s_delay_alu instid0(VALU_DEP_2)
	v_cmpx_ne_u32_e32 0x7f, v63
	s_cbranch_execz .LBB364_768
; %bb.765:                              ;   in Loop: Header=BB364_10 Depth=1
	v_dual_lshrrev_b32 v62, 3, v63 :: v_dual_bitop2_b32 v16, 7, v21 bitop3:0x40
	s_mov_b32 s18, exec_lo
	v_cmpx_gt_u32_e32 8, v63
; %bb.766:                              ;   in Loop: Header=BB364_10 Depth=1
	s_delay_alu instid0(VALU_DEP_2) | instskip(NEXT) | instid1(VALU_DEP_1)
	v_clz_i32_u32_e32 v6, v16
	v_min_u32_e32 v6, 32, v6
	s_delay_alu instid0(VALU_DEP_1) | instskip(SKIP_1) | instid1(VALU_DEP_2)
	v_subrev_nc_u32_e32 v7, 28, v6
	v_sub_nc_u32_e32 v62, 29, v6
	v_lshlrev_b64_e32 v[74:75], v7, v[16:17]
	s_delay_alu instid0(VALU_DEP_1)
	v_and_b32_e32 v16, 7, v74
; %bb.767:                              ;   in Loop: Header=BB364_10 Depth=1
	s_or_b32 exec_lo, exec_lo, s18
	s_delay_alu instid0(VALU_DEP_1) | instskip(SKIP_1) | instid1(VALU_DEP_2)
	v_dual_lshlrev_b32 v6, 24, v21 :: v_dual_lshlrev_b32 v7, 20, v16
	v_lshl_add_u32 v16, v62, 23, 0x3c000000
	v_and_b32_e32 v6, 0x80000000, v6
	s_delay_alu instid0(VALU_DEP_1)
	v_or3_b32 v62, v7, v6, v16
.LBB364_768:                            ;   in Loop: Header=BB364_10 Depth=1
	s_or_b32 exec_lo, exec_lo, s17
.LBB364_769:                            ;   in Loop: Header=BB364_10 Depth=1
	s_delay_alu instid0(SALU_CYCLE_1)
	s_or_b32 exec_lo, exec_lo, s16
.LBB364_770:                            ;   in Loop: Header=BB364_10 Depth=1
	s_delay_alu instid0(SALU_CYCLE_1)
	s_or_b32 exec_lo, exec_lo, s15
	v_cmp_lt_u64_e64 s1, s[2:3], v[72:73]
	v_dual_mov_b32 v72, 0 :: v_dual_mov_b32 v63, 0
	s_and_saveexec_b32 s15, s1
	s_cbranch_execz .LBB364_778
; %bb.771:                              ;   in Loop: Header=BB364_10 Depth=1
	v_lshrrev_b32_e32 v21, 24, v73
	v_bfrev_b32_e32 v63, 1
	s_mov_b32 s16, exec_lo
	s_delay_alu instid0(VALU_DEP_2)
	v_cmpx_ne_u32_e32 0x80, v21
	s_cbranch_execz .LBB364_777
; %bb.772:                              ;   in Loop: Header=BB364_10 Depth=1
	v_bfe_u32 v73, v73, 24, 7
	v_mov_b32_e32 v63, 0x7f800001
	s_mov_b32 s17, exec_lo
	s_delay_alu instid0(VALU_DEP_2)
	v_cmpx_ne_u32_e32 0x7f, v73
	s_cbranch_execz .LBB364_776
; %bb.773:                              ;   in Loop: Header=BB364_10 Depth=1
	v_and_b32_e32 v16, 7, v21
	v_lshrrev_b32_e32 v63, 3, v73
	s_mov_b32 s18, exec_lo
	v_cmpx_gt_u32_e32 8, v73
; %bb.774:                              ;   in Loop: Header=BB364_10 Depth=1
	s_delay_alu instid0(VALU_DEP_3) | instskip(NEXT) | instid1(VALU_DEP_1)
	v_clz_i32_u32_e32 v6, v16
	v_min_u32_e32 v6, 32, v6
	s_delay_alu instid0(VALU_DEP_1) | instskip(SKIP_1) | instid1(VALU_DEP_2)
	v_subrev_nc_u32_e32 v7, 28, v6
	v_sub_nc_u32_e32 v63, 29, v6
	v_lshlrev_b64_e32 v[74:75], v7, v[16:17]
	s_delay_alu instid0(VALU_DEP_1)
	v_and_b32_e32 v16, 7, v74
; %bb.775:                              ;   in Loop: Header=BB364_10 Depth=1
	s_or_b32 exec_lo, exec_lo, s18
	s_delay_alu instid0(VALU_DEP_1) | instskip(SKIP_1) | instid1(VALU_DEP_2)
	v_dual_lshlrev_b32 v6, 24, v21 :: v_dual_lshlrev_b32 v7, 20, v16
	v_lshl_add_u32 v16, v63, 23, 0x3c000000
	v_and_b32_e32 v6, 0x80000000, v6
	s_delay_alu instid0(VALU_DEP_1)
	v_or3_b32 v63, v7, v6, v16
.LBB364_776:                            ;   in Loop: Header=BB364_10 Depth=1
	s_or_b32 exec_lo, exec_lo, s17
.LBB364_777:                            ;   in Loop: Header=BB364_10 Depth=1
	s_delay_alu instid0(SALU_CYCLE_1)
	s_or_b32 exec_lo, exec_lo, s16
.LBB364_778:                            ;   in Loop: Header=BB364_10 Depth=1
	s_delay_alu instid0(SALU_CYCLE_1)
	s_or_b32 exec_lo, exec_lo, s15
	flat_load_b64 v[78:79], v[38:39] offset:3072
	s_mov_b32 s15, exec_lo
	s_wait_loadcnt_dscnt 0x0
	v_and_b32_e32 v16, 0xff, v78
	s_wait_xcnt 0x0
	s_delay_alu instid0(VALU_DEP_1)
	v_cmpx_ne_u16_e32 0, v16
	s_cbranch_execz .LBB364_786
; %bb.779:                              ;   in Loop: Header=BB364_10 Depth=1
	v_bfrev_b32_e32 v72, 1
	s_mov_b32 s16, exec_lo
	v_cmpx_ne_u16_e32 0x80, v16
	s_cbranch_execz .LBB364_785
; %bb.780:                              ;   in Loop: Header=BB364_10 Depth=1
	v_and_b32_e32 v21, 0x7f, v78
	v_mov_b32_e32 v72, 0x7f800001
	s_mov_b32 s17, exec_lo
	s_delay_alu instid0(VALU_DEP_2)
	v_cmpx_ne_u32_e32 0x7f, v21
	s_cbranch_execz .LBB364_784
; %bb.781:                              ;   in Loop: Header=BB364_10 Depth=1
	v_mov_b64_e32 v[72:73], v[78:79]
	v_lshrrev_b32_e32 v16, 3, v21
	s_mov_b32 s18, exec_lo
	v_cmpx_gt_u32_e32 8, v21
; %bb.782:                              ;   in Loop: Header=BB364_10 Depth=1
	v_and_b32_e32 v6, 7, v78
	s_delay_alu instid0(VALU_DEP_1) | instskip(NEXT) | instid1(VALU_DEP_1)
	v_clz_i32_u32_e32 v6, v6
	v_min_u32_e32 v6, 32, v6
	s_delay_alu instid0(VALU_DEP_1) | instskip(SKIP_1) | instid1(VALU_DEP_2)
	v_subrev_nc_u32_e32 v7, 28, v6
	v_sub_nc_u32_e32 v16, 29, v6
	v_lshlrev_b64_e32 v[72:73], v7, v[78:79]
; %bb.783:                              ;   in Loop: Header=BB364_10 Depth=1
	s_or_b32 exec_lo, exec_lo, s18
	s_delay_alu instid0(VALU_DEP_1) | instskip(NEXT) | instid1(VALU_DEP_3)
	v_dual_lshlrev_b32 v6, 20, v72 :: v_dual_lshlrev_b32 v7, 24, v78
	v_lshl_add_u32 v16, v16, 23, 0x3c000000
	s_delay_alu instid0(VALU_DEP_2) | instskip(NEXT) | instid1(VALU_DEP_3)
	v_and_b32_e32 v6, 0x700000, v6
	v_and_b32_e32 v7, 0x80000000, v7
	s_delay_alu instid0(VALU_DEP_1)
	v_or3_b32 v72, v6, v7, v16
.LBB364_784:                            ;   in Loop: Header=BB364_10 Depth=1
	s_or_b32 exec_lo, exec_lo, s17
.LBB364_785:                            ;   in Loop: Header=BB364_10 Depth=1
	s_delay_alu instid0(SALU_CYCLE_1)
	s_or_b32 exec_lo, exec_lo, s16
.LBB364_786:                            ;   in Loop: Header=BB364_10 Depth=1
	s_delay_alu instid0(SALU_CYCLE_1) | instskip(SKIP_3) | instid1(VALU_DEP_2)
	s_or_b32 exec_lo, exec_lo, s15
	v_lshrrev_b16 v16, 8, v78
	v_dual_mov_b32 v74, 0 :: v_dual_mov_b32 v73, 0
	s_mov_b32 s15, exec_lo
	v_cmpx_ne_u16_e32 0, v16
	s_cbranch_execz .LBB364_794
; %bb.787:                              ;   in Loop: Header=BB364_10 Depth=1
	v_bfrev_b32_e32 v73, 1
	s_mov_b32 s16, exec_lo
	v_cmpx_ne_u16_e32 0x80, v16
	s_cbranch_execz .LBB364_793
; %bb.788:                              ;   in Loop: Header=BB364_10 Depth=1
	v_and_b32_e32 v16, 0xffff, v16
	v_mov_b32_e32 v73, 0x7f800001
	s_mov_b32 s17, exec_lo
	s_delay_alu instid0(VALU_DEP_2) | instskip(NEXT) | instid1(VALU_DEP_1)
	v_and_b32_e32 v75, 0x7f, v16
	v_cmpx_ne_u32_e32 0x7f, v75
	s_cbranch_execz .LBB364_792
; %bb.789:                              ;   in Loop: Header=BB364_10 Depth=1
	v_dual_lshrrev_b32 v21, 3, v75 :: v_dual_bitop2_b32 v16, 7, v16 bitop3:0x40
	s_mov_b32 s18, exec_lo
	v_cmpx_gt_u32_e32 8, v75
; %bb.790:                              ;   in Loop: Header=BB364_10 Depth=1
	s_delay_alu instid0(VALU_DEP_2) | instskip(NEXT) | instid1(VALU_DEP_1)
	v_clz_i32_u32_e32 v6, v16
	v_min_u32_e32 v6, 32, v6
	s_delay_alu instid0(VALU_DEP_1) | instskip(NEXT) | instid1(VALU_DEP_1)
	v_subrev_nc_u32_e32 v7, 28, v6
	v_lshlrev_b64_e32 v[76:77], v7, v[16:17]
	s_delay_alu instid0(VALU_DEP_1)
	v_dual_sub_nc_u32 v21, 29, v6 :: v_dual_bitop2_b32 v16, 7, v76 bitop3:0x40
; %bb.791:                              ;   in Loop: Header=BB364_10 Depth=1
	s_or_b32 exec_lo, exec_lo, s18
	s_delay_alu instid0(VALU_DEP_1) | instskip(NEXT) | instid1(VALU_DEP_2)
	v_dual_lshlrev_b32 v6, 16, v78 :: v_dual_lshlrev_b32 v7, 20, v16
	v_lshl_add_u32 v16, v21, 23, 0x3c000000
	s_delay_alu instid0(VALU_DEP_2) | instskip(NEXT) | instid1(VALU_DEP_1)
	v_and_b32_e32 v6, 0x80000000, v6
	v_or3_b32 v73, v7, v6, v16
.LBB364_792:                            ;   in Loop: Header=BB364_10 Depth=1
	s_or_b32 exec_lo, exec_lo, s17
.LBB364_793:                            ;   in Loop: Header=BB364_10 Depth=1
	s_delay_alu instid0(SALU_CYCLE_1)
	s_or_b32 exec_lo, exec_lo, s16
.LBB364_794:                            ;   in Loop: Header=BB364_10 Depth=1
	s_delay_alu instid0(SALU_CYCLE_1) | instskip(SKIP_2) | instid1(VALU_DEP_1)
	s_or_b32 exec_lo, exec_lo, s15
	v_lshrrev_b32_e32 v21, 16, v78
	s_mov_b32 s15, exec_lo
	v_and_b32_e32 v16, 0xff, v21
	s_delay_alu instid0(VALU_DEP_1)
	v_cmpx_ne_u16_e32 0, v16
	s_cbranch_execz .LBB364_802
; %bb.795:                              ;   in Loop: Header=BB364_10 Depth=1
	v_bfrev_b32_e32 v74, 1
	s_mov_b32 s16, exec_lo
	v_cmpx_ne_u16_e32 0x80, v16
	s_cbranch_execz .LBB364_801
; %bb.796:                              ;   in Loop: Header=BB364_10 Depth=1
	v_bfe_u32 v75, v78, 16, 7
	v_mov_b32_e32 v74, 0x7f800001
	s_mov_b32 s17, exec_lo
	s_delay_alu instid0(VALU_DEP_2)
	v_cmpx_ne_u32_e32 0x7f, v75
	s_cbranch_execz .LBB364_800
; %bb.797:                              ;   in Loop: Header=BB364_10 Depth=1
	v_dual_lshrrev_b32 v74, 3, v75 :: v_dual_bitop2_b32 v16, 7, v21 bitop3:0x40
	s_mov_b32 s18, exec_lo
	v_cmpx_gt_u32_e32 8, v75
; %bb.798:                              ;   in Loop: Header=BB364_10 Depth=1
	s_delay_alu instid0(VALU_DEP_2) | instskip(NEXT) | instid1(VALU_DEP_1)
	v_clz_i32_u32_e32 v6, v16
	v_min_u32_e32 v6, 32, v6
	s_delay_alu instid0(VALU_DEP_1) | instskip(NEXT) | instid1(VALU_DEP_1)
	v_subrev_nc_u32_e32 v7, 28, v6
	v_lshlrev_b64_e32 v[76:77], v7, v[16:17]
	s_delay_alu instid0(VALU_DEP_1)
	v_dual_sub_nc_u32 v74, 29, v6 :: v_dual_bitop2_b32 v16, 7, v76 bitop3:0x40
; %bb.799:                              ;   in Loop: Header=BB364_10 Depth=1
	s_or_b32 exec_lo, exec_lo, s18
	s_delay_alu instid0(VALU_DEP_1) | instskip(NEXT) | instid1(VALU_DEP_2)
	v_dual_lshlrev_b32 v6, 24, v21 :: v_dual_lshlrev_b32 v7, 20, v16
	v_lshl_add_u32 v16, v74, 23, 0x3c000000
	s_delay_alu instid0(VALU_DEP_2) | instskip(NEXT) | instid1(VALU_DEP_1)
	v_and_b32_e32 v6, 0x80000000, v6
	v_or3_b32 v74, v7, v6, v16
.LBB364_800:                            ;   in Loop: Header=BB364_10 Depth=1
	s_or_b32 exec_lo, exec_lo, s17
.LBB364_801:                            ;   in Loop: Header=BB364_10 Depth=1
	s_delay_alu instid0(SALU_CYCLE_1)
	s_or_b32 exec_lo, exec_lo, s16
.LBB364_802:                            ;   in Loop: Header=BB364_10 Depth=1
	s_delay_alu instid0(SALU_CYCLE_1)
	s_or_b32 exec_lo, exec_lo, s15
	v_dual_mov_b32 v76, 0 :: v_dual_mov_b32 v75, 0
	s_mov_b32 s15, exec_lo
	v_cmpx_lt_u32_e32 0xffffff, v78
	s_cbranch_execz .LBB364_810
; %bb.803:                              ;   in Loop: Header=BB364_10 Depth=1
	v_lshrrev_b32_e32 v21, 24, v78
	v_bfrev_b32_e32 v75, 1
	s_mov_b32 s16, exec_lo
	s_delay_alu instid0(VALU_DEP_2)
	v_cmpx_ne_u32_e32 0x80, v21
	s_cbranch_execz .LBB364_809
; %bb.804:                              ;   in Loop: Header=BB364_10 Depth=1
	v_bfe_u32 v77, v78, 24, 7
	v_mov_b32_e32 v75, 0x7f800001
	s_mov_b32 s17, exec_lo
	s_delay_alu instid0(VALU_DEP_2)
	v_cmpx_ne_u32_e32 0x7f, v77
	s_cbranch_execz .LBB364_808
; %bb.805:                              ;   in Loop: Header=BB364_10 Depth=1
	v_and_b32_e32 v16, 7, v21
	v_lshrrev_b32_e32 v75, 3, v77
	s_mov_b32 s18, exec_lo
	v_cmpx_gt_u32_e32 8, v77
; %bb.806:                              ;   in Loop: Header=BB364_10 Depth=1
	s_delay_alu instid0(VALU_DEP_3) | instskip(NEXT) | instid1(VALU_DEP_1)
	v_clz_i32_u32_e32 v6, v16
	v_min_u32_e32 v6, 32, v6
	s_delay_alu instid0(VALU_DEP_1) | instskip(NEXT) | instid1(VALU_DEP_1)
	v_subrev_nc_u32_e32 v7, 28, v6
	v_lshlrev_b64_e32 v[88:89], v7, v[16:17]
	s_delay_alu instid0(VALU_DEP_1)
	v_dual_sub_nc_u32 v75, 29, v6 :: v_dual_bitop2_b32 v16, 7, v88 bitop3:0x40
; %bb.807:                              ;   in Loop: Header=BB364_10 Depth=1
	s_or_b32 exec_lo, exec_lo, s18
	s_delay_alu instid0(VALU_DEP_1) | instskip(NEXT) | instid1(VALU_DEP_2)
	v_dual_lshlrev_b32 v6, 24, v21 :: v_dual_lshlrev_b32 v7, 20, v16
	v_lshl_add_u32 v16, v75, 23, 0x3c000000
	s_delay_alu instid0(VALU_DEP_2) | instskip(NEXT) | instid1(VALU_DEP_1)
	v_and_b32_e32 v6, 0x80000000, v6
	v_or3_b32 v75, v7, v6, v16
.LBB364_808:                            ;   in Loop: Header=BB364_10 Depth=1
	s_or_b32 exec_lo, exec_lo, s17
.LBB364_809:                            ;   in Loop: Header=BB364_10 Depth=1
	s_delay_alu instid0(SALU_CYCLE_1)
	s_or_b32 exec_lo, exec_lo, s16
.LBB364_810:                            ;   in Loop: Header=BB364_10 Depth=1
	s_delay_alu instid0(SALU_CYCLE_1) | instskip(SKIP_3) | instid1(VALU_DEP_2)
	s_or_b32 exec_lo, exec_lo, s15
	v_and_b32_e32 v21, 0xff, v79
	v_mov_b32_e32 v16, v79
	s_mov_b32 s15, exec_lo
	v_cmpx_ne_u16_e32 0, v21
	s_cbranch_execz .LBB364_818
; %bb.811:                              ;   in Loop: Header=BB364_10 Depth=1
	v_bfrev_b32_e32 v76, 1
	s_mov_b32 s16, exec_lo
	v_cmpx_ne_u16_e32 0x80, v21
	s_cbranch_execz .LBB364_817
; %bb.812:                              ;   in Loop: Header=BB364_10 Depth=1
	v_and_b32_e32 v77, 0x7f, v79
	v_mov_b32_e32 v76, 0x7f800001
	s_mov_b32 s17, exec_lo
	s_delay_alu instid0(VALU_DEP_2)
	v_cmpx_ne_u32_e32 0x7f, v77
	s_cbranch_execz .LBB364_816
; %bb.813:                              ;   in Loop: Header=BB364_10 Depth=1
	v_lshrrev_b32_e32 v21, 3, v77
	v_cmp_gt_u32_e64 s1, 8, v77
	v_mov_b64_e32 v[76:77], v[16:17]
	s_and_saveexec_b32 s18, s1
; %bb.814:                              ;   in Loop: Header=BB364_10 Depth=1
	v_and_b32_e32 v6, 7, v79
	s_delay_alu instid0(VALU_DEP_1) | instskip(NEXT) | instid1(VALU_DEP_1)
	v_clz_i32_u32_e32 v6, v6
	v_min_u32_e32 v6, 32, v6
	s_delay_alu instid0(VALU_DEP_1) | instskip(SKIP_1) | instid1(VALU_DEP_2)
	v_subrev_nc_u32_e32 v7, 28, v6
	v_sub_nc_u32_e32 v21, 29, v6
	v_lshlrev_b64_e32 v[76:77], v7, v[16:17]
; %bb.815:                              ;   in Loop: Header=BB364_10 Depth=1
	s_or_b32 exec_lo, exec_lo, s18
	s_delay_alu instid0(VALU_DEP_1) | instskip(SKIP_2) | instid1(VALU_DEP_3)
	v_lshlrev_b32_e32 v6, 20, v76
	v_lshlrev_b32_e32 v7, 24, v16
	v_lshl_add_u32 v21, v21, 23, 0x3c000000
	v_and_b32_e32 v6, 0x700000, v6
	s_delay_alu instid0(VALU_DEP_3) | instskip(NEXT) | instid1(VALU_DEP_1)
	v_and_b32_e32 v7, 0x80000000, v7
	v_or3_b32 v76, v6, v7, v21
.LBB364_816:                            ;   in Loop: Header=BB364_10 Depth=1
	s_or_b32 exec_lo, exec_lo, s17
.LBB364_817:                            ;   in Loop: Header=BB364_10 Depth=1
	s_delay_alu instid0(SALU_CYCLE_1)
	s_or_b32 exec_lo, exec_lo, s16
.LBB364_818:                            ;   in Loop: Header=BB364_10 Depth=1
	s_delay_alu instid0(SALU_CYCLE_1) | instskip(SKIP_3) | instid1(VALU_DEP_2)
	s_or_b32 exec_lo, exec_lo, s15
	v_lshrrev_b16 v21, 8, v16
	v_dual_mov_b32 v88, 0 :: v_dual_mov_b32 v77, 0
	s_mov_b32 s15, exec_lo
	v_cmpx_ne_u16_e32 0, v21
	s_cbranch_execz .LBB364_826
; %bb.819:                              ;   in Loop: Header=BB364_10 Depth=1
	v_bfrev_b32_e32 v77, 1
	s_mov_b32 s16, exec_lo
	v_cmpx_ne_u16_e32 0x80, v21
	s_cbranch_execz .LBB364_825
; %bb.820:                              ;   in Loop: Header=BB364_10 Depth=1
	v_and_b32_e32 v21, 0xffff, v21
	v_mov_b32_e32 v77, 0x7f800001
	s_mov_b32 s17, exec_lo
	s_delay_alu instid0(VALU_DEP_2) | instskip(NEXT) | instid1(VALU_DEP_1)
	v_and_b32_e32 v89, 0x7f, v21
	v_cmpx_ne_u32_e32 0x7f, v89
	s_cbranch_execz .LBB364_824
; %bb.821:                              ;   in Loop: Header=BB364_10 Depth=1
	v_dual_mov_b32 v91, v17 :: v_dual_bitop2_b32 v90, 7, v21 bitop3:0x40
	v_lshrrev_b32_e32 v21, 3, v89
	s_mov_b32 s18, exec_lo
	v_cmpx_gt_u32_e32 8, v89
; %bb.822:                              ;   in Loop: Header=BB364_10 Depth=1
	s_delay_alu instid0(VALU_DEP_3) | instskip(NEXT) | instid1(VALU_DEP_1)
	v_clz_i32_u32_e32 v6, v90
	v_min_u32_e32 v6, 32, v6
	s_delay_alu instid0(VALU_DEP_1) | instskip(SKIP_1) | instid1(VALU_DEP_2)
	v_subrev_nc_u32_e32 v7, 28, v6
	v_sub_nc_u32_e32 v21, 29, v6
	v_lshlrev_b64_e32 v[90:91], v7, v[90:91]
	s_delay_alu instid0(VALU_DEP_1)
	v_and_b32_e32 v90, 7, v90
; %bb.823:                              ;   in Loop: Header=BB364_10 Depth=1
	s_or_b32 exec_lo, exec_lo, s18
	s_delay_alu instid0(VALU_DEP_1) | instskip(SKIP_1) | instid1(VALU_DEP_2)
	v_dual_lshlrev_b32 v6, 16, v16 :: v_dual_lshlrev_b32 v7, 20, v90
	v_lshl_add_u32 v16, v21, 23, 0x3c000000
	v_and_b32_e32 v6, 0x80000000, v6
	s_delay_alu instid0(VALU_DEP_1)
	v_or3_b32 v77, v7, v6, v16
.LBB364_824:                            ;   in Loop: Header=BB364_10 Depth=1
	s_or_b32 exec_lo, exec_lo, s17
.LBB364_825:                            ;   in Loop: Header=BB364_10 Depth=1
	s_delay_alu instid0(SALU_CYCLE_1)
	s_or_b32 exec_lo, exec_lo, s16
.LBB364_826:                            ;   in Loop: Header=BB364_10 Depth=1
	s_delay_alu instid0(SALU_CYCLE_1) | instskip(SKIP_2) | instid1(VALU_DEP_1)
	s_or_b32 exec_lo, exec_lo, s15
	v_lshrrev_b32_e32 v21, 16, v79
	s_mov_b32 s15, exec_lo
	v_and_b32_e32 v16, 0xff, v21
	s_delay_alu instid0(VALU_DEP_1)
	v_cmpx_ne_u16_e32 0, v16
	s_cbranch_execz .LBB364_834
; %bb.827:                              ;   in Loop: Header=BB364_10 Depth=1
	v_bfrev_b32_e32 v88, 1
	s_mov_b32 s16, exec_lo
	v_cmpx_ne_u16_e32 0x80, v16
	s_cbranch_execz .LBB364_833
; %bb.828:                              ;   in Loop: Header=BB364_10 Depth=1
	v_bfe_u32 v89, v79, 16, 7
	v_mov_b32_e32 v88, 0x7f800001
	s_mov_b32 s17, exec_lo
	s_delay_alu instid0(VALU_DEP_2)
	v_cmpx_ne_u32_e32 0x7f, v89
	s_cbranch_execz .LBB364_832
; %bb.829:                              ;   in Loop: Header=BB364_10 Depth=1
	v_and_b32_e32 v16, 7, v21
	v_lshrrev_b32_e32 v88, 3, v89
	s_mov_b32 s18, exec_lo
	v_cmpx_gt_u32_e32 8, v89
; %bb.830:                              ;   in Loop: Header=BB364_10 Depth=1
	s_delay_alu instid0(VALU_DEP_3) | instskip(NEXT) | instid1(VALU_DEP_1)
	v_clz_i32_u32_e32 v6, v16
	v_min_u32_e32 v6, 32, v6
	s_delay_alu instid0(VALU_DEP_1) | instskip(SKIP_1) | instid1(VALU_DEP_2)
	v_subrev_nc_u32_e32 v7, 28, v6
	v_sub_nc_u32_e32 v88, 29, v6
	v_lshlrev_b64_e32 v[90:91], v7, v[16:17]
	s_delay_alu instid0(VALU_DEP_1)
	v_and_b32_e32 v16, 7, v90
; %bb.831:                              ;   in Loop: Header=BB364_10 Depth=1
	s_or_b32 exec_lo, exec_lo, s18
	s_delay_alu instid0(VALU_DEP_1) | instskip(SKIP_1) | instid1(VALU_DEP_2)
	v_dual_lshlrev_b32 v6, 24, v21 :: v_dual_lshlrev_b32 v7, 20, v16
	v_lshl_add_u32 v16, v88, 23, 0x3c000000
	v_and_b32_e32 v6, 0x80000000, v6
	s_delay_alu instid0(VALU_DEP_1)
	v_or3_b32 v88, v7, v6, v16
.LBB364_832:                            ;   in Loop: Header=BB364_10 Depth=1
	s_or_b32 exec_lo, exec_lo, s17
.LBB364_833:                            ;   in Loop: Header=BB364_10 Depth=1
	s_delay_alu instid0(SALU_CYCLE_1)
	s_or_b32 exec_lo, exec_lo, s16
.LBB364_834:                            ;   in Loop: Header=BB364_10 Depth=1
	s_delay_alu instid0(SALU_CYCLE_1)
	s_or_b32 exec_lo, exec_lo, s15
	v_cmp_lt_u64_e64 s1, s[2:3], v[78:79]
	v_dual_mov_b32 v78, 0 :: v_dual_mov_b32 v89, 0
	s_and_saveexec_b32 s15, s1
	s_cbranch_execz .LBB364_842
; %bb.835:                              ;   in Loop: Header=BB364_10 Depth=1
	v_lshrrev_b32_e32 v21, 24, v79
	v_bfrev_b32_e32 v89, 1
	s_mov_b32 s16, exec_lo
	s_delay_alu instid0(VALU_DEP_2)
	v_cmpx_ne_u32_e32 0x80, v21
	s_cbranch_execz .LBB364_841
; %bb.836:                              ;   in Loop: Header=BB364_10 Depth=1
	v_bfe_u32 v90, v79, 24, 7
	v_mov_b32_e32 v89, 0x7f800001
	s_mov_b32 s17, exec_lo
	s_delay_alu instid0(VALU_DEP_2)
	v_cmpx_ne_u32_e32 0x7f, v90
	s_cbranch_execz .LBB364_840
; %bb.837:                              ;   in Loop: Header=BB364_10 Depth=1
	v_dual_lshrrev_b32 v79, 3, v90 :: v_dual_bitop2_b32 v16, 7, v21 bitop3:0x40
	s_mov_b32 s18, exec_lo
	v_cmpx_gt_u32_e32 8, v90
; %bb.838:                              ;   in Loop: Header=BB364_10 Depth=1
	s_delay_alu instid0(VALU_DEP_2) | instskip(NEXT) | instid1(VALU_DEP_1)
	v_clz_i32_u32_e32 v6, v16
	v_min_u32_e32 v6, 32, v6
	s_delay_alu instid0(VALU_DEP_1) | instskip(SKIP_1) | instid1(VALU_DEP_2)
	v_subrev_nc_u32_e32 v7, 28, v6
	v_sub_nc_u32_e32 v79, 29, v6
	v_lshlrev_b64_e32 v[90:91], v7, v[16:17]
	s_delay_alu instid0(VALU_DEP_1)
	v_and_b32_e32 v16, 7, v90
; %bb.839:                              ;   in Loop: Header=BB364_10 Depth=1
	s_or_b32 exec_lo, exec_lo, s18
	s_delay_alu instid0(VALU_DEP_1) | instskip(SKIP_1) | instid1(VALU_DEP_2)
	v_dual_lshlrev_b32 v6, 24, v21 :: v_dual_lshlrev_b32 v7, 20, v16
	v_lshl_add_u32 v16, v79, 23, 0x3c000000
	v_and_b32_e32 v6, 0x80000000, v6
	s_delay_alu instid0(VALU_DEP_1)
	v_or3_b32 v89, v7, v6, v16
.LBB364_840:                            ;   in Loop: Header=BB364_10 Depth=1
	s_or_b32 exec_lo, exec_lo, s17
.LBB364_841:                            ;   in Loop: Header=BB364_10 Depth=1
	s_delay_alu instid0(SALU_CYCLE_1)
	s_or_b32 exec_lo, exec_lo, s16
.LBB364_842:                            ;   in Loop: Header=BB364_10 Depth=1
	s_delay_alu instid0(SALU_CYCLE_1)
	s_or_b32 exec_lo, exec_lo, s15
	flat_load_b64 v[90:91], v[38:39] offset:3080
	s_mov_b32 s15, exec_lo
	s_wait_loadcnt_dscnt 0x0
	v_and_b32_e32 v16, 0xff, v90
	s_wait_xcnt 0x0
	s_delay_alu instid0(VALU_DEP_1)
	v_cmpx_ne_u16_e32 0, v16
	s_cbranch_execz .LBB364_850
; %bb.843:                              ;   in Loop: Header=BB364_10 Depth=1
	v_bfrev_b32_e32 v78, 1
	s_mov_b32 s16, exec_lo
	v_cmpx_ne_u16_e32 0x80, v16
	s_cbranch_execz .LBB364_849
; %bb.844:                              ;   in Loop: Header=BB364_10 Depth=1
	v_and_b32_e32 v21, 0x7f, v90
	v_mov_b32_e32 v78, 0x7f800001
	s_mov_b32 s17, exec_lo
	s_delay_alu instid0(VALU_DEP_2)
	v_cmpx_ne_u32_e32 0x7f, v21
	s_cbranch_execz .LBB364_848
; %bb.845:                              ;   in Loop: Header=BB364_10 Depth=1
	v_mov_b64_e32 v[38:39], v[90:91]
	v_lshrrev_b32_e32 v16, 3, v21
	s_mov_b32 s18, exec_lo
	v_cmpx_gt_u32_e32 8, v21
; %bb.846:                              ;   in Loop: Header=BB364_10 Depth=1
	v_and_b32_e32 v6, 7, v90
	s_delay_alu instid0(VALU_DEP_1) | instskip(NEXT) | instid1(VALU_DEP_1)
	v_clz_i32_u32_e32 v6, v6
	v_min_u32_e32 v6, 32, v6
	s_delay_alu instid0(VALU_DEP_1) | instskip(SKIP_1) | instid1(VALU_DEP_2)
	v_subrev_nc_u32_e32 v7, 28, v6
	v_sub_nc_u32_e32 v16, 29, v6
	v_lshlrev_b64_e32 v[38:39], v7, v[90:91]
; %bb.847:                              ;   in Loop: Header=BB364_10 Depth=1
	s_or_b32 exec_lo, exec_lo, s18
	s_delay_alu instid0(VALU_DEP_1) | instskip(SKIP_2) | instid1(VALU_DEP_3)
	v_lshlrev_b32_e32 v6, 20, v38
	v_lshlrev_b32_e32 v7, 24, v90
	v_lshl_add_u32 v16, v16, 23, 0x3c000000
	v_and_b32_e32 v6, 0x700000, v6
	s_delay_alu instid0(VALU_DEP_3) | instskip(NEXT) | instid1(VALU_DEP_1)
	v_and_b32_e32 v7, 0x80000000, v7
	v_or3_b32 v78, v6, v7, v16
.LBB364_848:                            ;   in Loop: Header=BB364_10 Depth=1
	s_or_b32 exec_lo, exec_lo, s17
.LBB364_849:                            ;   in Loop: Header=BB364_10 Depth=1
	s_delay_alu instid0(SALU_CYCLE_1)
	s_or_b32 exec_lo, exec_lo, s16
.LBB364_850:                            ;   in Loop: Header=BB364_10 Depth=1
	s_delay_alu instid0(SALU_CYCLE_1) | instskip(SKIP_3) | instid1(VALU_DEP_2)
	s_or_b32 exec_lo, exec_lo, s15
	v_lshrrev_b16 v16, 8, v90
	v_dual_mov_b32 v38, 0 :: v_dual_mov_b32 v79, 0
	s_mov_b32 s15, exec_lo
	v_cmpx_ne_u16_e32 0, v16
	s_cbranch_execz .LBB364_858
; %bb.851:                              ;   in Loop: Header=BB364_10 Depth=1
	v_bfrev_b32_e32 v79, 1
	s_mov_b32 s16, exec_lo
	v_cmpx_ne_u16_e32 0x80, v16
	s_cbranch_execz .LBB364_857
; %bb.852:                              ;   in Loop: Header=BB364_10 Depth=1
	v_and_b32_e32 v16, 0xffff, v16
	v_mov_b32_e32 v79, 0x7f800001
	s_mov_b32 s17, exec_lo
	s_delay_alu instid0(VALU_DEP_2) | instskip(NEXT) | instid1(VALU_DEP_1)
	v_and_b32_e32 v39, 0x7f, v16
	v_cmpx_ne_u32_e32 0x7f, v39
	s_cbranch_execz .LBB364_856
; %bb.853:                              ;   in Loop: Header=BB364_10 Depth=1
	v_dual_lshrrev_b32 v21, 3, v39 :: v_dual_bitop2_b32 v16, 7, v16 bitop3:0x40
	s_mov_b32 s18, exec_lo
	v_cmpx_gt_u32_e32 8, v39
; %bb.854:                              ;   in Loop: Header=BB364_10 Depth=1
	s_delay_alu instid0(VALU_DEP_2) | instskip(NEXT) | instid1(VALU_DEP_1)
	v_clz_i32_u32_e32 v6, v16
	v_min_u32_e32 v6, 32, v6
	s_delay_alu instid0(VALU_DEP_1) | instskip(NEXT) | instid1(VALU_DEP_1)
	v_subrev_nc_u32_e32 v7, 28, v6
	v_lshlrev_b64_e32 v[92:93], v7, v[16:17]
	s_delay_alu instid0(VALU_DEP_1)
	v_dual_sub_nc_u32 v21, 29, v6 :: v_dual_bitop2_b32 v16, 7, v92 bitop3:0x40
; %bb.855:                              ;   in Loop: Header=BB364_10 Depth=1
	s_or_b32 exec_lo, exec_lo, s18
	s_delay_alu instid0(VALU_DEP_1) | instskip(NEXT) | instid1(VALU_DEP_2)
	v_dual_lshlrev_b32 v6, 16, v90 :: v_dual_lshlrev_b32 v7, 20, v16
	v_lshl_add_u32 v16, v21, 23, 0x3c000000
	s_delay_alu instid0(VALU_DEP_2) | instskip(NEXT) | instid1(VALU_DEP_1)
	v_and_b32_e32 v6, 0x80000000, v6
	v_or3_b32 v79, v7, v6, v16
.LBB364_856:                            ;   in Loop: Header=BB364_10 Depth=1
	s_or_b32 exec_lo, exec_lo, s17
.LBB364_857:                            ;   in Loop: Header=BB364_10 Depth=1
	s_delay_alu instid0(SALU_CYCLE_1)
	s_or_b32 exec_lo, exec_lo, s16
.LBB364_858:                            ;   in Loop: Header=BB364_10 Depth=1
	s_delay_alu instid0(SALU_CYCLE_1) | instskip(SKIP_2) | instid1(VALU_DEP_1)
	s_or_b32 exec_lo, exec_lo, s15
	v_lshrrev_b32_e32 v21, 16, v90
	s_mov_b32 s15, exec_lo
	v_and_b32_e32 v16, 0xff, v21
	s_delay_alu instid0(VALU_DEP_1)
	v_cmpx_ne_u16_e32 0, v16
	s_cbranch_execz .LBB364_866
; %bb.859:                              ;   in Loop: Header=BB364_10 Depth=1
	v_bfrev_b32_e32 v38, 1
	s_mov_b32 s16, exec_lo
	v_cmpx_ne_u16_e32 0x80, v16
	s_cbranch_execz .LBB364_865
; %bb.860:                              ;   in Loop: Header=BB364_10 Depth=1
	v_bfe_u32 v39, v90, 16, 7
	v_mov_b32_e32 v38, 0x7f800001
	s_mov_b32 s17, exec_lo
	s_delay_alu instid0(VALU_DEP_2)
	v_cmpx_ne_u32_e32 0x7f, v39
	s_cbranch_execz .LBB364_864
; %bb.861:                              ;   in Loop: Header=BB364_10 Depth=1
	v_dual_lshrrev_b32 v38, 3, v39 :: v_dual_bitop2_b32 v16, 7, v21 bitop3:0x40
	s_mov_b32 s18, exec_lo
	v_cmpx_gt_u32_e32 8, v39
; %bb.862:                              ;   in Loop: Header=BB364_10 Depth=1
	s_delay_alu instid0(VALU_DEP_2) | instskip(NEXT) | instid1(VALU_DEP_1)
	v_clz_i32_u32_e32 v6, v16
	v_min_u32_e32 v6, 32, v6
	s_delay_alu instid0(VALU_DEP_1) | instskip(NEXT) | instid1(VALU_DEP_1)
	v_subrev_nc_u32_e32 v7, 28, v6
	v_lshlrev_b64_e32 v[92:93], v7, v[16:17]
	s_delay_alu instid0(VALU_DEP_1)
	v_dual_sub_nc_u32 v38, 29, v6 :: v_dual_bitop2_b32 v16, 7, v92 bitop3:0x40
; %bb.863:                              ;   in Loop: Header=BB364_10 Depth=1
	s_or_b32 exec_lo, exec_lo, s18
	s_delay_alu instid0(VALU_DEP_1) | instskip(NEXT) | instid1(VALU_DEP_2)
	v_dual_lshlrev_b32 v6, 24, v21 :: v_dual_lshlrev_b32 v7, 20, v16
	v_lshl_add_u32 v16, v38, 23, 0x3c000000
	s_delay_alu instid0(VALU_DEP_2) | instskip(NEXT) | instid1(VALU_DEP_1)
	v_and_b32_e32 v6, 0x80000000, v6
	v_or3_b32 v38, v7, v6, v16
.LBB364_864:                            ;   in Loop: Header=BB364_10 Depth=1
	s_or_b32 exec_lo, exec_lo, s17
.LBB364_865:                            ;   in Loop: Header=BB364_10 Depth=1
	s_delay_alu instid0(SALU_CYCLE_1)
	s_or_b32 exec_lo, exec_lo, s16
.LBB364_866:                            ;   in Loop: Header=BB364_10 Depth=1
	s_delay_alu instid0(SALU_CYCLE_1)
	s_or_b32 exec_lo, exec_lo, s15
	v_dual_mov_b32 v92, 0 :: v_dual_mov_b32 v39, 0
	s_mov_b32 s15, exec_lo
	v_cmpx_lt_u32_e32 0xffffff, v90
	s_cbranch_execz .LBB364_874
; %bb.867:                              ;   in Loop: Header=BB364_10 Depth=1
	v_lshrrev_b32_e32 v21, 24, v90
	v_bfrev_b32_e32 v39, 1
	s_mov_b32 s16, exec_lo
	s_delay_alu instid0(VALU_DEP_2)
	v_cmpx_ne_u32_e32 0x80, v21
	s_cbranch_execz .LBB364_873
; %bb.868:                              ;   in Loop: Header=BB364_10 Depth=1
	v_bfe_u32 v93, v90, 24, 7
	v_mov_b32_e32 v39, 0x7f800001
	s_mov_b32 s17, exec_lo
	s_delay_alu instid0(VALU_DEP_2)
	v_cmpx_ne_u32_e32 0x7f, v93
	s_cbranch_execz .LBB364_872
; %bb.869:                              ;   in Loop: Header=BB364_10 Depth=1
	v_and_b32_e32 v16, 7, v21
	v_lshrrev_b32_e32 v39, 3, v93
	s_mov_b32 s18, exec_lo
	v_cmpx_gt_u32_e32 8, v93
; %bb.870:                              ;   in Loop: Header=BB364_10 Depth=1
	s_delay_alu instid0(VALU_DEP_3) | instskip(NEXT) | instid1(VALU_DEP_1)
	v_clz_i32_u32_e32 v6, v16
	v_min_u32_e32 v6, 32, v6
	s_delay_alu instid0(VALU_DEP_1) | instskip(SKIP_1) | instid1(VALU_DEP_2)
	v_subrev_nc_u32_e32 v7, 28, v6
	v_sub_nc_u32_e32 v39, 29, v6
	v_lshlrev_b64_e32 v[94:95], v7, v[16:17]
	s_delay_alu instid0(VALU_DEP_1)
	v_and_b32_e32 v16, 7, v94
; %bb.871:                              ;   in Loop: Header=BB364_10 Depth=1
	s_or_b32 exec_lo, exec_lo, s18
	s_delay_alu instid0(VALU_DEP_1) | instskip(SKIP_1) | instid1(VALU_DEP_2)
	v_dual_lshlrev_b32 v6, 24, v21 :: v_dual_lshlrev_b32 v7, 20, v16
	v_lshl_add_u32 v16, v39, 23, 0x3c000000
	v_and_b32_e32 v6, 0x80000000, v6
	s_delay_alu instid0(VALU_DEP_1)
	v_or3_b32 v39, v7, v6, v16
.LBB364_872:                            ;   in Loop: Header=BB364_10 Depth=1
	s_or_b32 exec_lo, exec_lo, s17
.LBB364_873:                            ;   in Loop: Header=BB364_10 Depth=1
	s_delay_alu instid0(SALU_CYCLE_1)
	s_or_b32 exec_lo, exec_lo, s16
.LBB364_874:                            ;   in Loop: Header=BB364_10 Depth=1
	s_delay_alu instid0(SALU_CYCLE_1) | instskip(SKIP_3) | instid1(VALU_DEP_2)
	s_or_b32 exec_lo, exec_lo, s15
	v_and_b32_e32 v21, 0xff, v91
	v_mov_b32_e32 v16, v91
	s_mov_b32 s15, exec_lo
	v_cmpx_ne_u16_e32 0, v21
	s_cbranch_execz .LBB364_882
; %bb.875:                              ;   in Loop: Header=BB364_10 Depth=1
	v_bfrev_b32_e32 v92, 1
	s_mov_b32 s16, exec_lo
	v_cmpx_ne_u16_e32 0x80, v21
	s_cbranch_execz .LBB364_881
; %bb.876:                              ;   in Loop: Header=BB364_10 Depth=1
	v_and_b32_e32 v93, 0x7f, v91
	v_mov_b32_e32 v92, 0x7f800001
	s_mov_b32 s17, exec_lo
	s_delay_alu instid0(VALU_DEP_2)
	v_cmpx_ne_u32_e32 0x7f, v93
	s_cbranch_execz .LBB364_880
; %bb.877:                              ;   in Loop: Header=BB364_10 Depth=1
	v_lshrrev_b32_e32 v21, 3, v93
	v_cmp_gt_u32_e64 s1, 8, v93
	v_mov_b64_e32 v[92:93], v[16:17]
	s_and_saveexec_b32 s18, s1
; %bb.878:                              ;   in Loop: Header=BB364_10 Depth=1
	v_and_b32_e32 v6, 7, v91
	s_delay_alu instid0(VALU_DEP_1) | instskip(NEXT) | instid1(VALU_DEP_1)
	v_clz_i32_u32_e32 v6, v6
	v_min_u32_e32 v6, 32, v6
	s_delay_alu instid0(VALU_DEP_1) | instskip(SKIP_1) | instid1(VALU_DEP_2)
	v_subrev_nc_u32_e32 v7, 28, v6
	v_sub_nc_u32_e32 v21, 29, v6
	v_lshlrev_b64_e32 v[92:93], v7, v[16:17]
; %bb.879:                              ;   in Loop: Header=BB364_10 Depth=1
	s_or_b32 exec_lo, exec_lo, s18
	s_delay_alu instid0(VALU_DEP_1) | instskip(SKIP_2) | instid1(VALU_DEP_3)
	v_lshlrev_b32_e32 v6, 20, v92
	v_lshlrev_b32_e32 v7, 24, v16
	v_lshl_add_u32 v21, v21, 23, 0x3c000000
	v_and_b32_e32 v6, 0x700000, v6
	s_delay_alu instid0(VALU_DEP_3) | instskip(NEXT) | instid1(VALU_DEP_1)
	v_and_b32_e32 v7, 0x80000000, v7
	v_or3_b32 v92, v6, v7, v21
.LBB364_880:                            ;   in Loop: Header=BB364_10 Depth=1
	s_or_b32 exec_lo, exec_lo, s17
.LBB364_881:                            ;   in Loop: Header=BB364_10 Depth=1
	s_delay_alu instid0(SALU_CYCLE_1)
	s_or_b32 exec_lo, exec_lo, s16
.LBB364_882:                            ;   in Loop: Header=BB364_10 Depth=1
	s_delay_alu instid0(SALU_CYCLE_1) | instskip(SKIP_3) | instid1(VALU_DEP_2)
	s_or_b32 exec_lo, exec_lo, s15
	v_lshrrev_b16 v21, 8, v16
	v_dual_mov_b32 v94, 0 :: v_dual_mov_b32 v93, 0
	s_mov_b32 s15, exec_lo
	v_cmpx_ne_u16_e32 0, v21
	s_cbranch_execz .LBB364_890
; %bb.883:                              ;   in Loop: Header=BB364_10 Depth=1
	v_bfrev_b32_e32 v93, 1
	s_mov_b32 s16, exec_lo
	v_cmpx_ne_u16_e32 0x80, v21
	s_cbranch_execz .LBB364_889
; %bb.884:                              ;   in Loop: Header=BB364_10 Depth=1
	v_and_b32_e32 v21, 0xffff, v21
	v_mov_b32_e32 v93, 0x7f800001
	s_mov_b32 s17, exec_lo
	s_delay_alu instid0(VALU_DEP_2) | instskip(NEXT) | instid1(VALU_DEP_1)
	v_and_b32_e32 v95, 0x7f, v21
	v_cmpx_ne_u32_e32 0x7f, v95
	s_cbranch_execz .LBB364_888
; %bb.885:                              ;   in Loop: Header=BB364_10 Depth=1
	v_dual_mov_b32 v105, v17 :: v_dual_bitop2_b32 v104, 7, v21 bitop3:0x40
	v_lshrrev_b32_e32 v21, 3, v95
	s_mov_b32 s18, exec_lo
	v_cmpx_gt_u32_e32 8, v95
; %bb.886:                              ;   in Loop: Header=BB364_10 Depth=1
	s_delay_alu instid0(VALU_DEP_3) | instskip(NEXT) | instid1(VALU_DEP_1)
	v_clz_i32_u32_e32 v6, v104
	v_min_u32_e32 v6, 32, v6
	s_delay_alu instid0(VALU_DEP_1) | instskip(NEXT) | instid1(VALU_DEP_1)
	v_subrev_nc_u32_e32 v7, 28, v6
	v_lshlrev_b64_e32 v[104:105], v7, v[104:105]
	s_delay_alu instid0(VALU_DEP_1)
	v_dual_sub_nc_u32 v21, 29, v6 :: v_dual_bitop2_b32 v104, 7, v104 bitop3:0x40
; %bb.887:                              ;   in Loop: Header=BB364_10 Depth=1
	s_or_b32 exec_lo, exec_lo, s18
	v_lshlrev_b32_e32 v6, 16, v16
	s_delay_alu instid0(VALU_DEP_2) | instskip(NEXT) | instid1(VALU_DEP_3)
	v_lshlrev_b32_e32 v7, 20, v104
	v_lshl_add_u32 v16, v21, 23, 0x3c000000
	s_delay_alu instid0(VALU_DEP_3) | instskip(NEXT) | instid1(VALU_DEP_1)
	v_and_b32_e32 v6, 0x80000000, v6
	v_or3_b32 v93, v7, v6, v16
.LBB364_888:                            ;   in Loop: Header=BB364_10 Depth=1
	s_or_b32 exec_lo, exec_lo, s17
.LBB364_889:                            ;   in Loop: Header=BB364_10 Depth=1
	s_delay_alu instid0(SALU_CYCLE_1)
	s_or_b32 exec_lo, exec_lo, s16
.LBB364_890:                            ;   in Loop: Header=BB364_10 Depth=1
	s_delay_alu instid0(SALU_CYCLE_1) | instskip(SKIP_2) | instid1(VALU_DEP_1)
	s_or_b32 exec_lo, exec_lo, s15
	v_lshrrev_b32_e32 v21, 16, v91
	s_mov_b32 s15, exec_lo
	v_and_b32_e32 v16, 0xff, v21
	s_delay_alu instid0(VALU_DEP_1)
	v_cmpx_ne_u16_e32 0, v16
	s_cbranch_execz .LBB364_898
; %bb.891:                              ;   in Loop: Header=BB364_10 Depth=1
	v_bfrev_b32_e32 v94, 1
	s_mov_b32 s16, exec_lo
	v_cmpx_ne_u16_e32 0x80, v16
	s_cbranch_execz .LBB364_897
; %bb.892:                              ;   in Loop: Header=BB364_10 Depth=1
	v_bfe_u32 v95, v91, 16, 7
	v_mov_b32_e32 v94, 0x7f800001
	s_mov_b32 s17, exec_lo
	s_delay_alu instid0(VALU_DEP_2)
	v_cmpx_ne_u32_e32 0x7f, v95
	s_cbranch_execz .LBB364_896
; %bb.893:                              ;   in Loop: Header=BB364_10 Depth=1
	v_dual_lshrrev_b32 v94, 3, v95 :: v_dual_bitop2_b32 v16, 7, v21 bitop3:0x40
	s_mov_b32 s18, exec_lo
	v_cmpx_gt_u32_e32 8, v95
; %bb.894:                              ;   in Loop: Header=BB364_10 Depth=1
	s_delay_alu instid0(VALU_DEP_2) | instskip(NEXT) | instid1(VALU_DEP_1)
	v_clz_i32_u32_e32 v6, v16
	v_min_u32_e32 v6, 32, v6
	s_delay_alu instid0(VALU_DEP_1) | instskip(NEXT) | instid1(VALU_DEP_1)
	v_subrev_nc_u32_e32 v7, 28, v6
	v_lshlrev_b64_e32 v[104:105], v7, v[16:17]
	s_delay_alu instid0(VALU_DEP_1)
	v_dual_sub_nc_u32 v94, 29, v6 :: v_dual_bitop2_b32 v16, 7, v104 bitop3:0x40
; %bb.895:                              ;   in Loop: Header=BB364_10 Depth=1
	s_or_b32 exec_lo, exec_lo, s18
	s_delay_alu instid0(VALU_DEP_1) | instskip(NEXT) | instid1(VALU_DEP_2)
	v_dual_lshlrev_b32 v6, 24, v21 :: v_dual_lshlrev_b32 v7, 20, v16
	v_lshl_add_u32 v16, v94, 23, 0x3c000000
	s_delay_alu instid0(VALU_DEP_2) | instskip(NEXT) | instid1(VALU_DEP_1)
	v_and_b32_e32 v6, 0x80000000, v6
	v_or3_b32 v94, v7, v6, v16
.LBB364_896:                            ;   in Loop: Header=BB364_10 Depth=1
	s_or_b32 exec_lo, exec_lo, s17
.LBB364_897:                            ;   in Loop: Header=BB364_10 Depth=1
	s_delay_alu instid0(SALU_CYCLE_1)
	s_or_b32 exec_lo, exec_lo, s16
.LBB364_898:                            ;   in Loop: Header=BB364_10 Depth=1
	s_delay_alu instid0(SALU_CYCLE_1)
	s_or_b32 exec_lo, exec_lo, s15
	v_mov_b32_e32 v95, 0
	s_mov_b32 s15, exec_lo
	v_cmpx_lt_u64_e64 s[2:3], v[90:91]
	s_cbranch_execz .LBB364_9
; %bb.899:                              ;   in Loop: Header=BB364_10 Depth=1
	v_lshrrev_b32_e32 v21, 24, v91
	v_bfrev_b32_e32 v95, 1
	s_mov_b32 s16, exec_lo
	s_delay_alu instid0(VALU_DEP_2)
	v_cmpx_ne_u32_e32 0x80, v21
	s_cbranch_execz .LBB364_8
; %bb.900:                              ;   in Loop: Header=BB364_10 Depth=1
	v_bfe_u32 v91, v91, 24, 7
	v_mov_b32_e32 v95, 0x7f800001
	s_mov_b32 s17, exec_lo
	s_delay_alu instid0(VALU_DEP_2)
	v_cmpx_ne_u32_e32 0x7f, v91
	s_cbranch_execz .LBB364_7
; %bb.901:                              ;   in Loop: Header=BB364_10 Depth=1
	v_dual_lshrrev_b32 v90, 3, v91 :: v_dual_bitop2_b32 v16, 7, v21 bitop3:0x40
	s_mov_b32 s18, exec_lo
	v_cmpx_gt_u32_e32 8, v91
	s_cbranch_execz .LBB364_6
; %bb.902:                              ;   in Loop: Header=BB364_10 Depth=1
	s_delay_alu instid0(VALU_DEP_2) | instskip(NEXT) | instid1(VALU_DEP_1)
	v_clz_i32_u32_e32 v6, v16
	v_min_u32_e32 v6, 32, v6
	s_delay_alu instid0(VALU_DEP_1) | instskip(NEXT) | instid1(VALU_DEP_1)
	v_subrev_nc_u32_e32 v7, 28, v6
	v_lshlrev_b64_e32 v[104:105], v7, v[16:17]
	s_delay_alu instid0(VALU_DEP_1)
	v_dual_sub_nc_u32 v90, 29, v6 :: v_dual_bitop2_b32 v16, 7, v104 bitop3:0x40
	s_branch .LBB364_6
.LBB364_903:
	s_or_b32 exec_lo, exec_lo, s7
	s_clause 0x7
	scratch_load_b32 v24, off, s32 offset:708
	scratch_load_b64 v[10:11], off, s32 offset:720
	scratch_load_b64 v[22:23], off, s32 offset:728
	;; [unrolled: 1-line block ×5, first 2 shown]
	scratch_load_b32 v39, off, s32 offset:760
	scratch_load_b32 v37, off, s32 offset:764
.LBB364_904:
	s_wait_xcnt 0x0
	s_or_b32 exec_lo, exec_lo, s14
	v_mbcnt_lo_u32_b32 v2, -1, 0
	s_delay_alu instid0(VALU_DEP_1) | instskip(SKIP_1) | instid1(VALU_DEP_2)
	v_dual_max_num_f32 v4, v9, v9 :: v_dual_bitop2_b32 v0, 16, v2 bitop3:0x14
	v_xor_b32_e32 v3, 8, v2
	v_cmp_gt_i32_e32 vcc_lo, 32, v0
	v_cndmask_b32_e32 v0, v2, v0, vcc_lo
	s_delay_alu instid0(VALU_DEP_3) | instskip(NEXT) | instid1(VALU_DEP_2)
	v_cmp_gt_i32_e32 vcc_lo, 32, v3
	v_dual_cndmask_b32 v3, v2, v3 :: v_dual_lshlrev_b32 v0, 2, v0
	ds_bpermute_b32 v1, v0, v9
	s_wait_dscnt 0x0
	v_dual_max_num_f32 v5, v1, v1 :: v_dual_lshlrev_b32 v1, 2, v3
	s_delay_alu instid0(VALU_DEP_1) | instskip(SKIP_4) | instid1(VALU_DEP_1)
	v_dual_max_num_f32 v4, v4, v5 :: v_dual_bitop2_b32 v5, 4, v2 bitop3:0x14
	ds_bpermute_b32 v3, v1, v4
	v_cmp_gt_i32_e32 vcc_lo, 32, v5
	s_wait_dscnt 0x0
	v_dual_cndmask_b32 v5, v2, v5 :: v_dual_max_num_f32 v6, v3, v3
	v_dual_max_num_f32 v4, v4, v6 :: v_dual_lshlrev_b32 v3, 2, v5
	ds_bpermute_b32 v5, v3, v4
	s_wait_dscnt 0x0
	v_dual_max_num_f32 v5, v5, v5 :: v_dual_bitop2_b32 v6, 2, v2 bitop3:0x14
	s_delay_alu instid0(VALU_DEP_1) | instskip(NEXT) | instid1(VALU_DEP_2)
	v_cmp_gt_i32_e32 vcc_lo, 32, v6
	v_dual_max_num_f32 v4, v4, v5 :: v_dual_cndmask_b32 v6, v2, v6, vcc_lo
	s_delay_alu instid0(VALU_DEP_1) | instskip(SKIP_3) | instid1(VALU_DEP_1)
	v_lshlrev_b32_e32 v30, 2, v6
	ds_bpermute_b32 v5, v30, v4
	s_wait_dscnt 0x0
	v_dual_max_num_f32 v5, v5, v5 :: v_dual_bitop2_b32 v6, 1, v2 bitop3:0x14
	v_cmp_gt_i32_e32 vcc_lo, 32, v6
	s_delay_alu instid0(VALU_DEP_2)
	v_dual_cndmask_b32 v6, v2, v6, vcc_lo :: v_dual_max_num_f32 v2, v4, v5
	scratch_load_b32 v4, off, s32 offset:700 ; 4-byte Folded Reload
	s_wait_loadcnt 0x0
	v_cmp_eq_u32_e32 vcc_lo, 0, v4
	scratch_load_b32 v4, off, s32 offset:704 ; 4-byte Folded Reload
	s_wait_loadcnt 0x0
	v_dual_lshlrev_b32 v4, 2, v4 :: v_dual_lshlrev_b32 v36, 2, v6
	ds_bpermute_b32 v5, v36, v2
	s_wait_xcnt 0x0
	s_and_saveexec_b32 s1, vcc_lo
	s_cbranch_execz .LBB364_906
; %bb.905:
	s_wait_dscnt 0x0
	v_dual_max_num_f32 v5, v5, v5 :: v_dual_max_num_f32 v2, v2, v2
	s_delay_alu instid0(VALU_DEP_1)
	v_max_num_f32_e32 v2, v2, v5
	ds_store_b32 v4, v2 offset:224
.LBB364_906:
	s_or_b32 exec_lo, exec_lo, s1
	scratch_load_b32 v2, off, s32 offset:700 ; 4-byte Folded Reload
	s_wait_storecnt 0x0
	s_wait_loadcnt_dscnt 0x0
	s_barrier_signal -1
	s_barrier_wait -1
	v_cmp_gt_u32_e64 s1, 4, v2
	v_mov_b32_e32 v2, 0xff7fffff
	s_and_saveexec_b32 s2, s1
; %bb.907:
	ds_load_b32 v2, v37 offset:224
; %bb.908:
	s_or_b32 exec_lo, exec_lo, s2
	s_wait_dscnt 0x0
	ds_bpermute_b32 v5, v30, v2
	s_wait_dscnt 0x0
	v_dual_max_num_f32 v2, v2, v2 :: v_dual_max_num_f32 v5, v5, v5
	s_delay_alu instid0(VALU_DEP_1) | instskip(SKIP_3) | instid1(VALU_DEP_1)
	v_max_num_f32_e32 v2, v2, v5
	ds_bpermute_b32 v5, v36, v2
	s_wait_dscnt 0x0
	v_max_num_f32_e32 v5, v5, v5
	v_dual_max_num_f32 v2, v2, v5 :: v_dual_mov_b32 v5, 0
	ds_bpermute_b32 v6, v5, v2
	scratch_load_b32 v2, off, s32 offset:192 ; 4-byte Folded Reload
	s_wait_loadcnt 0x0
	v_lshlrev_b32_e32 v2, 5, v2
	s_delay_alu instid0(VALU_DEP_1) | instskip(NEXT) | instid1(VALU_DEP_1)
	v_min_i32_e32 v2, v2, v106
	v_cmp_lt_i32_e64 s2, v24, v2
	s_and_saveexec_b32 s14, s2
	s_cbranch_execz .LBB364_912
; %bb.909:
	s_ashr_i32 s7, s6, 31
	v_dual_mov_b32 v5, 0 :: v_dual_mov_b32 v8, v24
	s_lshl_b64 s[16:17], s[6:7], 2
	s_mov_b32 s7, 0
	s_add_nc_u64 s[16:17], s[8:9], s[16:17]
	s_load_b32 s3, s[16:17], 0x0
	s_wait_kmcnt 0x0
	v_lshl_add_u32 v7, v24, 2, s3
.LBB364_910:                            ; =>This Inner Loop Header: Depth=1
	ds_load_b32 v9, v7
	v_add_nc_u32_e32 v8, 0x80, v8
	s_delay_alu instid0(VALU_DEP_1) | instskip(SKIP_3) | instid1(VALU_DEP_1)
	v_cmp_ge_i32_e64 s3, v8, v2
	s_or_b32 s7, s3, s7
	s_wait_dscnt 0x0
	v_sub_f32_e32 v9, v9, v6
	v_mul_f32_e32 v9, 0x3fb8aa3b, v9
	s_delay_alu instid0(VALU_DEP_1)
	v_exp_f32_e32 v9, v9
	ds_store_b32 v7, v9
	v_nop
	v_add_f32_e32 v5, v5, v9
	v_add_nc_u32_e32 v7, 0x200, v7
	s_and_not1_b32 exec_lo, exec_lo, s7
	s_cbranch_execnz .LBB364_910
; %bb.911:
	s_or_b32 exec_lo, exec_lo, s7
.LBB364_912:
	s_delay_alu instid0(SALU_CYCLE_1)
	s_or_b32 exec_lo, exec_lo, s14
	ds_bpermute_b32 v0, v0, v5
	s_wait_dscnt 0x0
	v_add_f32_e32 v0, v5, v0
	ds_bpermute_b32 v1, v1, v0
	s_wait_dscnt 0x0
	v_add_f32_e32 v0, v0, v1
	;; [unrolled: 3-line block ×5, first 2 shown]
	s_and_saveexec_b32 s3, vcc_lo
; %bb.913:
	ds_store_b32 v4, v0 offset:240
; %bb.914:
	s_or_b32 exec_lo, exec_lo, s3
	s_wait_dscnt 0x0
	s_barrier_signal -1
	s_barrier_wait -1
	s_and_saveexec_b32 s3, s1
; %bb.915:
	ds_load_b32 v0, v37 offset:240
; %bb.916:
	s_or_b32 exec_lo, exec_lo, s3
	s_wait_dscnt 0x0
	ds_bpermute_b32 v1, v30, v0
	s_wait_dscnt 0x0
	v_add_f32_e32 v0, v0, v1
	ds_bpermute_b32 v1, v36, v0
	s_wait_dscnt 0x0
	v_dual_add_f32 v0, v0, v1 :: v_dual_mov_b32 v1, 0
	ds_bpermute_b32 v0, v1, v0
	s_and_saveexec_b32 s1, s2
	s_cbranch_execz .LBB364_929
; %bb.917:
	s_wait_dscnt 0x0
	v_add_f32_e32 v0, 0x358637bd, v0
	s_mov_b32 s3, -1
	s_mov_b32 s2, exec_lo
	s_delay_alu instid0(VALU_DEP_1) | instskip(SKIP_1) | instid1(VALU_DEP_2)
	v_div_scale_f32 v1, null, v0, v0, 1.0
	v_div_scale_f32 v5, vcc_lo, 1.0, v0, 1.0
	v_rcp_f32_e32 v4, v1
	v_nop
	s_delay_alu instid0(TRANS32_DEP_1) | instskip(NEXT) | instid1(VALU_DEP_1)
	v_fma_f32 v3, -v1, v4, 1.0
	v_fmac_f32_e32 v4, v3, v4
	s_delay_alu instid0(VALU_DEP_1) | instskip(NEXT) | instid1(VALU_DEP_1)
	v_mul_f32_e32 v6, v5, v4
	v_fma_f32 v3, -v1, v6, v5
	s_delay_alu instid0(VALU_DEP_1) | instskip(SKIP_1) | instid1(VALU_DEP_2)
	v_fmac_f32_e32 v6, v3, v4
	v_xad_u32 v3, v24, -1, v2
	v_fma_f32 v1, -v1, v6, v5
	s_delay_alu instid0(VALU_DEP_1) | instskip(NEXT) | instid1(VALU_DEP_1)
	v_div_fmas_f32 v1, v1, v4, v6
	v_div_fixup_f32 v0, v1, v0, 1.0
	v_mov_b32_e32 v1, v24
	v_cmpx_lt_u32_e32 0x7f, v3
	s_cbranch_execz .LBB364_926
; %bb.918:
	s_delay_alu instid0(VALU_DEP_3) | instskip(NEXT) | instid1(VALU_DEP_1)
	v_dual_lshrrev_b32 v3, 7, v3 :: v_dual_mov_b32 v1, v0
	v_dual_mov_b32 v7, 0 :: v_dual_add_nc_u32 v4, -1, v3
	s_delay_alu instid0(VALU_DEP_1) | instskip(SKIP_1) | instid1(VALU_DEP_2)
	v_lshrrev_b32_e32 v5, 1, v4
	v_cmp_lt_u32_e32 vcc_lo, 13, v4
	v_add_nc_u32_e32 v4, 1, v5
	s_and_saveexec_b32 s3, vcc_lo
	s_cbranch_execz .LBB364_922
; %bb.919:
	s_ashr_i32 s7, s6, 31
	s_delay_alu instid0(VALU_DEP_1) | instskip(SKIP_1) | instid1(SALU_CYCLE_1)
	v_and_b32_e32 v5, -8, v4
	s_lshl_b64 s[14:15], s[6:7], 2
	s_add_nc_u64 s[14:15], s[8:9], s[14:15]
	s_load_b32 s7, s[14:15], 0x0
	s_wait_xcnt 0x0
	s_mov_b32 s14, 0
	s_wait_kmcnt 0x0
	v_lshl_add_u32 v6, v24, 2, s7
	s_mov_b32 s7, 0
.LBB364_920:                            ; =>This Inner Loop Header: Depth=1
	ds_load_2addr_stride64_b32 v[8:9], v6 offset1:2
	ds_load_2addr_stride64_b32 v[26:27], v6 offset0:4 offset1:6
	ds_load_2addr_stride64_b32 v[12:13], v6 offset0:8 offset1:10
	;; [unrolled: 1-line block ×7, first 2 shown]
	s_add_co_i32 s14, s14, 16
	s_delay_alu instid0(SALU_CYCLE_1) | instskip(NEXT) | instid1(VALU_DEP_1)
	v_dual_add_nc_u32 v5, -8, v5 :: v_dual_mov_b32 v7, s14
	v_cmp_eq_u32_e32 vcc_lo, 0, v5
	s_or_b32 s7, vcc_lo, s7
	s_wait_dscnt 0x7
	v_pk_mul_f32 v[8:9], v[0:1], v[8:9]
	s_wait_dscnt 0x6
	v_pk_mul_f32 v[26:27], v[0:1], v[26:27]
	;; [unrolled: 2-line block ×8, first 2 shown]
	ds_store_2addr_stride64_b32 v6, v8, v9 offset1:2
	ds_store_2addr_stride64_b32 v6, v26, v27 offset0:4 offset1:6
	ds_store_2addr_stride64_b32 v6, v12, v13 offset0:8 offset1:10
	;; [unrolled: 1-line block ×7, first 2 shown]
	v_add_nc_u32_e32 v6, 0x2000, v6
	s_and_not1_b32 exec_lo, exec_lo, s7
	s_cbranch_execnz .LBB364_920
; %bb.921:
	s_or_b32 exec_lo, exec_lo, s7
.LBB364_922:
	s_delay_alu instid0(SALU_CYCLE_1) | instskip(NEXT) | instid1(VALU_DEP_1)
	s_or_b32 exec_lo, exec_lo, s3
	v_and_b32_e32 v4, 7, v4
	s_mov_b32 s14, 0
	s_mov_b32 s3, exec_lo
	s_delay_alu instid0(VALU_DEP_1)
	v_cmpx_ne_u32_e32 0, v4
	s_cbranch_execz .LBB364_925
; %bb.923:
	s_ashr_i32 s7, s6, 31
	v_dual_lshlrev_b32 v5, 9, v7 :: v_dual_lshlrev_b32 v6, 2, v24
	s_lshl_b64 s[16:17], s[6:7], 2
	s_delay_alu instid0(SALU_CYCLE_1)
	s_add_nc_u64 s[16:17], s[8:9], s[16:17]
	s_load_b32 s7, s[16:17], 0x0
	s_wait_kmcnt 0x0
	v_add3_u32 v5, v5, v6, s7
.LBB364_924:                            ; =>This Inner Loop Header: Depth=1
	ds_load_2addr_stride64_b32 v[6:7], v5 offset1:2
	v_add_nc_u32_e32 v4, -1, v4
	s_delay_alu instid0(VALU_DEP_1)
	v_cmp_eq_u32_e32 vcc_lo, 0, v4
	s_or_b32 s14, vcc_lo, s14
	s_wait_dscnt 0x0
	v_pk_mul_f32 v[6:7], v[0:1], v[6:7]
	ds_store_2addr_stride64_b32 v5, v6, v7 offset1:2
	v_add_nc_u32_e32 v5, 0x400, v5
	s_and_not1_b32 exec_lo, exec_lo, s14
	s_cbranch_execnz .LBB364_924
.LBB364_925:
	s_or_b32 exec_lo, exec_lo, s3
	v_add_nc_u32_e32 v1, 1, v3
	s_delay_alu instid0(VALU_DEP_1) | instskip(NEXT) | instid1(VALU_DEP_1)
	v_and_b32_e32 v3, 0x3fffffe, v1
	v_cmp_ne_u32_e32 vcc_lo, v1, v3
	v_lshl_add_u32 v1, v3, 7, v24
	s_or_not1_b32 s3, vcc_lo, exec_lo
.LBB364_926:
	s_or_b32 exec_lo, exec_lo, s2
	s_delay_alu instid0(SALU_CYCLE_1)
	s_and_b32 exec_lo, exec_lo, s3
	s_cbranch_execz .LBB364_929
; %bb.927:
	s_ashr_i32 s7, s6, 31
	s_delay_alu instid0(SALU_CYCLE_1) | instskip(NEXT) | instid1(SALU_CYCLE_1)
	s_lshl_b64 s[2:3], s[6:7], 2
	s_add_nc_u64 s[2:3], s[8:9], s[2:3]
	s_load_b32 s2, s[2:3], 0x0
	s_wait_kmcnt 0x0
	v_lshl_add_u32 v3, v1, 2, s2
	s_mov_b32 s2, 0
.LBB364_928:                            ; =>This Inner Loop Header: Depth=1
	ds_load_b32 v4, v3
	s_wait_dscnt 0x0
	v_dual_mul_f32 v4, v0, v4 :: v_dual_add_nc_u32 v1, 0x80, v1
	s_delay_alu instid0(VALU_DEP_1) | instskip(SKIP_3) | instid1(SALU_CYCLE_1)
	v_cmp_ge_i32_e32 vcc_lo, v1, v2
	ds_store_b32 v3, v4
	v_add_nc_u32_e32 v3, 0x200, v3
	s_or_b32 s2, vcc_lo, s2
	s_and_not1_b32 exec_lo, exec_lo, s2
	s_cbranch_execnz .LBB364_928
.LBB364_929:
	s_or_b32 exec_lo, exec_lo, s1
	s_wait_dscnt 0x0
	s_barrier_signal -1
	s_barrier_wait -1
	s_and_saveexec_b32 s1, s0
	s_delay_alu instid0(SALU_CYCLE_1)
	s_xor_b32 s0, exec_lo, s1
	s_cbranch_execz .LBB364_931
; %bb.930:
	s_ashr_i32 s7, s6, 31
                                        ; implicit-def: $vgpr0
                                        ; implicit-def: $vgpr106
                                        ; kill: killed $vgpr0
                                        ; implicit-def: $vgpr0
	scratch_store_b64 off, v[0:1], s32 offset:364 ; 8-byte Folded Spill
                                        ; implicit-def: $vgpr34_vgpr35
                                        ; implicit-def: $vgpr22_vgpr23
                                        ; implicit-def: $vgpr10_vgpr11
                                        ; implicit-def: $vgpr32_vgpr33
                                        ; implicit-def: $vgpr48
                                        ; implicit-def: $vgpr39
.LBB364_931:
	s_wait_xcnt 0x0
	s_or_saveexec_b32 s1, s0
	v_mov_b64_e32 v[0:1], s[6:7]
	v_dual_mov_b32 v13, 0 :: v_dual_bitop2_b32 v38, 3, v24 bitop3:0x40
	v_dual_mov_b32 v12, 0 :: v_dual_mov_b32 v15, 0
	v_dual_mov_b32 v14, 0 :: v_dual_mov_b32 v17, 0
	;; [unrolled: 1-line block ×6, first 2 shown]
	v_mov_b32_e32 v28, 0
	s_xor_b32 exec_lo, exec_lo, s1
	s_cbranch_execz .LBB364_1859
; %bb.932:
	s_clause 0x2
	scratch_store_b32 off, v30, s32 offset:412
	scratch_store_b32 off, v36, s32 offset:404
	scratch_load_b32 v0, off, s32 offset:708
	flat_load_b32 v37, v[22:23]
	s_ashr_i32 s7, s6, 31
	scratch_store_b32 off, v38, s32 offset:420 ; 4-byte Folded Spill
	s_lshl_b64 s[2:3], s[6:7], 2
	v_dual_mov_b32 v13, 0 :: v_dual_mov_b32 v12, 0
	s_add_nc_u64 s[2:3], s[8:9], s[2:3]
	v_dual_mov_b32 v15, 0 :: v_dual_mov_b32 v14, 0
	s_load_b32 s0, s[2:3], 0x0
	v_dual_mov_b32 v17, 0 :: v_dual_mov_b32 v16, 0
	v_dual_mov_b32 v21, 0 :: v_dual_mov_b32 v20, 0
	;; [unrolled: 1-line block ×5, first 2 shown]
	s_wait_xcnt 0x0
	s_mov_b64 s[2:3], 0xffffffffffffff
	s_mov_b32 s14, 0
	s_wait_loadcnt 0x1
	v_dual_mov_b32 v23, 0 :: v_dual_lshlrev_b32 v2, 3, v0
	v_add_nc_u64_e32 v[0:1], v[32:33], v[48:49]
	scratch_load_b32 v48, off, s32 offset:704 ; 4-byte Folded Reload
	v_lshlrev_b32_e32 v3, 5, v38
	v_and_b32_e32 v22, 0xf8, v2
	s_delay_alu instid0(VALU_DEP_1) | instskip(SKIP_1) | instid1(VALU_DEP_1)
	v_add_nc_u64_e32 v[100:101], v[0:1], v[22:23]
	v_and_b32_e32 v22, 0x7c, v39
	v_lshl_add_u64 v[0:1], v[34:35], 2, v[22:23]
	s_delay_alu instid0(VALU_DEP_1) | instskip(SKIP_4) | instid1(VALU_DEP_1)
	v_add_nc_u64_e32 v[10:11], v[10:11], v[0:1]
	s_wait_loadcnt 0x0
	v_lshlrev_b32_e32 v4, 5, v48
	v_lshl_or_b32 v3, v48, 7, v3
	s_wait_kmcnt 0x0
	v_dual_add_nc_u32 v39, s0, v3 :: v_dual_bitop2_b32 v2, 24, v2 bitop3:0x40
	s_delay_alu instid0(VALU_DEP_1)
	v_or3_b32 v38, v4, v2, 7
	s_branch .LBB364_934
.LBB364_933:                            ;   in Loop: Header=BB364_934 Depth=1
	s_or_b32 exec_lo, exec_lo, s0
	scratch_load_b128 v[82:85], off, s32 offset:388 th:TH_LOAD_LU ; 16-byte Folded Reload
	v_perm_b32 v9, v9, v96, 0x5040100
	v_perm_b32 v5, v5, v8, 0x5040100
	;; [unrolled: 1-line block ×6, first 2 shown]
	v_add_nc_u32_e32 v48, 4, v48
	v_add_nc_u64_e32 v[10:11], 16, v[10:11]
	v_add_nc_u32_e32 v39, 0x200, v39
	v_add_nc_u32_e32 v38, 0x80, v38
	s_wait_loadcnt 0x0
	v_cvt_pk_bf16_f32 v7, v82, v83
	v_cvt_pk_bf16_f32 v6, v84, v85
	scratch_load_b128 v[82:85], off, s32 offset:372 th:TH_LOAD_LU ; 16-byte Folded Reload
	v_pk_mul_bf16 v9, v7, v9
	v_pk_mul_bf16 v5, v6, v5
	s_wait_loadcnt 0x0
	v_cvt_pk_bf16_f32 v3, v82, v83
	v_cvt_pk_bf16_f32 v2, v84, v85
	s_delay_alu instid0(VALU_DEP_2) | instskip(SKIP_2) | instid1(VALU_DEP_4)
	v_pk_mul_bf16 v8, v3, v8
	v_lshlrev_b32_e32 v70, 16, v9
	v_and_b32_e32 v9, 0xffff0000, v9
	v_pk_mul_bf16 v4, v2, v4
	s_delay_alu instid0(VALU_DEP_2) | instskip(SKIP_2) | instid1(VALU_DEP_1)
	v_add_f32_e32 v9, v70, v9
	v_lshlrev_b32_e32 v70, 16, v5
	v_and_b32_e32 v5, 0xffff0000, v5
	v_add_f32_e32 v5, v70, v5
	s_delay_alu instid0(VALU_DEP_1) | instskip(SKIP_1) | instid1(VALU_DEP_1)
	v_dual_add_f32 v5, v9, v5 :: v_dual_lshlrev_b32 v9, 16, v8
	v_and_b32_e32 v8, 0xffff0000, v8
	v_add_f32_e32 v8, v9, v8
	v_perm_b32 v9, v65, v64, 0x5040100
	s_delay_alu instid0(VALU_DEP_2) | instskip(SKIP_2) | instid1(VALU_DEP_4)
	v_add_f32_e32 v5, v5, v8
	v_lshlrev_b32_e32 v8, 16, v4
	v_and_b32_e32 v4, 0xffff0000, v4
	v_pk_mul_bf16 v9, v2, v9
	s_delay_alu instid0(VALU_DEP_2) | instskip(SKIP_1) | instid1(VALU_DEP_2)
	v_add_f32_e32 v4, v8, v4
	v_perm_b32 v8, v54, v55, 0x5040100
	v_add_f32_e32 v4, v5, v4
	v_perm_b32 v5, v66, v67, 0x5040100
	s_delay_alu instid0(VALU_DEP_3) | instskip(NEXT) | instid1(VALU_DEP_3)
	v_pk_mul_bf16 v8, v3, v8
	v_add_f32_e32 v12, v12, v4
	v_perm_b32 v4, v68, v69, 0x5040100
	s_delay_alu instid0(VALU_DEP_4) | instskip(NEXT) | instid1(VALU_DEP_2)
	v_pk_mul_bf16 v5, v6, v5
	v_pk_mul_bf16 v4, v7, v4
	s_delay_alu instid0(VALU_DEP_1) | instskip(SKIP_1) | instid1(VALU_DEP_1)
	v_lshlrev_b32_e32 v54, 16, v4
	v_and_b32_e32 v4, 0xffff0000, v4
	v_dual_add_f32 v4, v54, v4 :: v_dual_lshlrev_b32 v54, 16, v5
	v_and_b32_e32 v5, 0xffff0000, v5
	s_delay_alu instid0(VALU_DEP_1) | instskip(NEXT) | instid1(VALU_DEP_1)
	v_add_f32_e32 v5, v54, v5
	v_dual_add_f32 v4, v4, v5 :: v_dual_lshlrev_b32 v5, 16, v8
	v_and_b32_e32 v8, 0xffff0000, v8
	s_delay_alu instid0(VALU_DEP_1) | instskip(SKIP_1) | instid1(VALU_DEP_2)
	v_add_f32_e32 v5, v5, v8
	v_and_b32_e32 v8, 0xffff0000, v9
	v_add_f32_e32 v4, v4, v5
	v_lshlrev_b32_e32 v5, 16, v9
	v_perm_b32 v9, v35, v34, 0x5040100
	s_delay_alu instid0(VALU_DEP_2) | instskip(SKIP_1) | instid1(VALU_DEP_3)
	v_add_f32_e32 v5, v5, v8
	v_perm_b32 v8, v30, v31, 0x5040100
	v_pk_mul_bf16 v9, v2, v9
	s_delay_alu instid0(VALU_DEP_3) | instskip(SKIP_1) | instid1(VALU_DEP_4)
	v_add_f32_e32 v4, v4, v5
	v_perm_b32 v5, v49, v50, 0x5040100
	v_pk_mul_bf16 v8, v3, v8
	s_delay_alu instid0(VALU_DEP_3) | instskip(SKIP_1) | instid1(VALU_DEP_4)
	v_add_f32_e32 v15, v15, v4
	v_perm_b32 v4, v51, v52, 0x5040100
	v_pk_mul_bf16 v5, v6, v5
	s_delay_alu instid0(VALU_DEP_2) | instskip(NEXT) | instid1(VALU_DEP_1)
	v_pk_mul_bf16 v4, v7, v4
	v_lshlrev_b32_e32 v30, 16, v4
	v_and_b32_e32 v4, 0xffff0000, v4
	s_delay_alu instid0(VALU_DEP_1) | instskip(SKIP_1) | instid1(VALU_DEP_1)
	v_dual_add_f32 v4, v30, v4 :: v_dual_lshlrev_b32 v30, 16, v5
	v_and_b32_e32 v5, 0xffff0000, v5
	v_add_f32_e32 v5, v30, v5
	s_delay_alu instid0(VALU_DEP_1) | instskip(SKIP_1) | instid1(VALU_DEP_1)
	v_dual_add_f32 v4, v4, v5 :: v_dual_lshlrev_b32 v5, 16, v8
	v_and_b32_e32 v8, 0xffff0000, v8
	v_add_f32_e32 v5, v5, v8
	v_and_b32_e32 v8, 0xffff0000, v9
	s_delay_alu instid0(VALU_DEP_2) | instskip(SKIP_2) | instid1(VALU_DEP_2)
	v_add_f32_e32 v4, v4, v5
	v_lshlrev_b32_e32 v5, 16, v9
	v_perm_b32 v9, v124, v123, 0x5040100
	v_add_f32_e32 v5, v5, v8
	v_perm_b32 v8, v121, v122, 0x5040100
	s_delay_alu instid0(VALU_DEP_3) | instskip(NEXT) | instid1(VALU_DEP_3)
	v_pk_mul_bf16 v9, v2, v9
	v_add_f32_e32 v4, v4, v5
	v_perm_b32 v5, v125, v126, 0x5040100
	s_delay_alu instid0(VALU_DEP_4) | instskip(NEXT) | instid1(VALU_DEP_3)
	v_pk_mul_bf16 v8, v3, v8
	v_add_f32_e32 v14, v14, v4
	v_perm_b32 v4, v127, v36, 0x5040100
	s_delay_alu instid0(VALU_DEP_4) | instskip(NEXT) | instid1(VALU_DEP_2)
	v_pk_mul_bf16 v5, v6, v5
	v_pk_mul_bf16 v4, v7, v4
	s_delay_alu instid0(VALU_DEP_1) | instskip(SKIP_1) | instid1(VALU_DEP_1)
	v_lshlrev_b32_e32 v30, 16, v4
	v_and_b32_e32 v4, 0xffff0000, v4
	v_dual_add_f32 v4, v30, v4 :: v_dual_lshlrev_b32 v30, 16, v5
	v_and_b32_e32 v5, 0xffff0000, v5
	s_delay_alu instid0(VALU_DEP_1) | instskip(NEXT) | instid1(VALU_DEP_1)
	v_add_f32_e32 v5, v30, v5
	v_dual_add_f32 v4, v4, v5 :: v_dual_lshlrev_b32 v5, 16, v8
	v_and_b32_e32 v8, 0xffff0000, v8
	s_delay_alu instid0(VALU_DEP_1) | instskip(SKIP_1) | instid1(VALU_DEP_2)
	v_add_f32_e32 v5, v5, v8
	v_and_b32_e32 v8, 0xffff0000, v9
	v_add_f32_e32 v4, v4, v5
	v_lshlrev_b32_e32 v5, 16, v9
	v_perm_b32 v9, v108, v107, 0x5040100
	s_delay_alu instid0(VALU_DEP_2) | instskip(SKIP_1) | instid1(VALU_DEP_3)
	v_add_f32_e32 v5, v5, v8
	v_perm_b32 v8, v104, v105, 0x5040100
	v_pk_mul_bf16 v9, v2, v9
	s_delay_alu instid0(VALU_DEP_3) | instskip(SKIP_1) | instid1(VALU_DEP_4)
	v_add_f32_e32 v4, v4, v5
	v_perm_b32 v5, v109, v110, 0x5040100
	v_pk_mul_bf16 v8, v3, v8
	s_delay_alu instid0(VALU_DEP_3) | instskip(SKIP_1) | instid1(VALU_DEP_4)
	v_add_f32_e32 v17, v17, v4
	v_perm_b32 v4, v111, v120, 0x5040100
	v_pk_mul_bf16 v5, v6, v5
	s_delay_alu instid0(VALU_DEP_2) | instskip(NEXT) | instid1(VALU_DEP_1)
	v_pk_mul_bf16 v4, v7, v4
	v_lshlrev_b32_e32 v30, 16, v4
	v_and_b32_e32 v4, 0xffff0000, v4
	s_delay_alu instid0(VALU_DEP_1) | instskip(SKIP_1) | instid1(VALU_DEP_1)
	v_dual_add_f32 v4, v30, v4 :: v_dual_lshlrev_b32 v30, 16, v5
	v_and_b32_e32 v5, 0xffff0000, v5
	v_add_f32_e32 v5, v30, v5
	s_delay_alu instid0(VALU_DEP_1) | instskip(SKIP_1) | instid1(VALU_DEP_1)
	v_dual_add_f32 v4, v4, v5 :: v_dual_lshlrev_b32 v5, 16, v8
	v_and_b32_e32 v8, 0xffff0000, v8
	v_add_f32_e32 v5, v5, v8
	v_and_b32_e32 v8, 0xffff0000, v9
	s_delay_alu instid0(VALU_DEP_2) | instskip(SKIP_2) | instid1(VALU_DEP_2)
	v_add_f32_e32 v4, v4, v5
	v_lshlrev_b32_e32 v5, 16, v9
	v_perm_b32 v9, v91, v90, 0x5040100
	v_add_f32_e32 v5, v5, v8
	v_perm_b32 v8, v88, v89, 0x5040100
	s_delay_alu instid0(VALU_DEP_3) | instskip(NEXT) | instid1(VALU_DEP_3)
	v_pk_mul_bf16 v9, v2, v9
	v_add_f32_e32 v4, v4, v5
	v_perm_b32 v5, v92, v93, 0x5040100
	s_delay_alu instid0(VALU_DEP_4) | instskip(NEXT) | instid1(VALU_DEP_3)
	;; [unrolled: 57-line block ×4, first 2 shown]
	v_pk_mul_bf16 v8, v3, v8
	v_add_f32_e32 v24, v24, v4
	v_perm_b32 v4, v118, v119, 0x5040100
	s_delay_alu instid0(VALU_DEP_4) | instskip(NEXT) | instid1(VALU_DEP_2)
	v_pk_mul_bf16 v5, v6, v5
	v_pk_mul_bf16 v4, v7, v4
	s_delay_alu instid0(VALU_DEP_1) | instskip(SKIP_1) | instid1(VALU_DEP_1)
	v_lshlrev_b32_e32 v30, 16, v4
	v_and_b32_e32 v4, 0xffff0000, v4
	v_dual_add_f32 v4, v30, v4 :: v_dual_lshlrev_b32 v30, 16, v5
	v_and_b32_e32 v5, 0xffff0000, v5
	s_delay_alu instid0(VALU_DEP_1) | instskip(NEXT) | instid1(VALU_DEP_1)
	v_add_f32_e32 v5, v30, v5
	v_dual_add_f32 v4, v4, v5 :: v_dual_lshlrev_b32 v5, 16, v8
	v_and_b32_e32 v8, 0xffff0000, v8
	s_delay_alu instid0(VALU_DEP_1) | instskip(SKIP_1) | instid1(VALU_DEP_2)
	v_add_f32_e32 v5, v5, v8
	v_and_b32_e32 v8, 0xffff0000, v9
	v_add_f32_e32 v4, v4, v5
	v_lshlrev_b32_e32 v5, 16, v9
	s_delay_alu instid0(VALU_DEP_1) | instskip(NEXT) | instid1(VALU_DEP_1)
	v_add_f32_e32 v5, v5, v8
	v_add_f32_e32 v4, v4, v5
	s_clause 0x1
	scratch_load_b32 v5, off, s32 offset:348 th:TH_LOAD_LU
	scratch_load_b32 v8, off, s32 offset:356 th:TH_LOAD_LU
	v_add_f32_e32 v27, v27, v4
	v_perm_b32 v4, v102, v103, 0x5040100
	s_delay_alu instid0(VALU_DEP_1)
	v_pk_mul_bf16 v4, v7, v4
	s_wait_loadcnt 0x0
	v_perm_b32 v5, v5, v8, 0x5040100
	s_clause 0x1
	scratch_load_b32 v8, off, s32 offset:316 th:TH_LOAD_LU
	scratch_load_b32 v9, off, s32 offset:324 th:TH_LOAD_LU
	v_pk_mul_bf16 v5, v6, v5
	s_wait_loadcnt 0x0
	v_perm_b32 v8, v8, v9, 0x5040100
	s_clause 0x1
	scratch_load_b32 v9, off, s32 offset:332 th:TH_LOAD_LU
	scratch_load_b32 v30, off, s32 offset:340 th:TH_LOAD_LU
	v_pk_mul_bf16 v8, v3, v8
	s_wait_loadcnt 0x0
	v_perm_b32 v9, v30, v9, 0x5040100
	v_lshlrev_b32_e32 v30, 16, v4
	v_and_b32_e32 v4, 0xffff0000, v4
	s_delay_alu instid0(VALU_DEP_3) | instskip(NEXT) | instid1(VALU_DEP_2)
	v_pk_mul_bf16 v9, v2, v9
	v_dual_add_f32 v4, v30, v4 :: v_dual_lshlrev_b32 v30, 16, v5
	v_and_b32_e32 v5, 0xffff0000, v5
	s_delay_alu instid0(VALU_DEP_1) | instskip(NEXT) | instid1(VALU_DEP_1)
	v_add_f32_e32 v5, v30, v5
	v_dual_add_f32 v4, v4, v5 :: v_dual_lshlrev_b32 v5, 16, v8
	v_and_b32_e32 v8, 0xffff0000, v8
	s_delay_alu instid0(VALU_DEP_1) | instskip(SKIP_1) | instid1(VALU_DEP_2)
	v_add_f32_e32 v5, v5, v8
	v_and_b32_e32 v8, 0xffff0000, v9
	v_add_f32_e32 v4, v4, v5
	v_lshlrev_b32_e32 v5, 16, v9
	s_delay_alu instid0(VALU_DEP_1) | instskip(NEXT) | instid1(VALU_DEP_1)
	v_add_f32_e32 v5, v5, v8
	v_add_f32_e32 v4, v4, v5
	s_delay_alu instid0(VALU_DEP_1)
	v_add_f32_e32 v26, v26, v4
	s_clause 0x1
	scratch_load_b32 v4, off, s32 offset:300 th:TH_LOAD_LU
	scratch_load_b32 v5, off, s32 offset:308 th:TH_LOAD_LU
	s_wait_loadcnt 0x0
	v_perm_b32 v4, v4, v5, 0x5040100
	s_clause 0x1
	scratch_load_b32 v5, off, s32 offset:284 th:TH_LOAD_LU
	scratch_load_b32 v8, off, s32 offset:292 th:TH_LOAD_LU
	v_pk_mul_bf16 v4, v7, v4
	s_wait_loadcnt 0x0
	v_perm_b32 v5, v5, v8, 0x5040100
	s_clause 0x1
	scratch_load_b32 v8, off, s32 offset:252 th:TH_LOAD_LU
	scratch_load_b32 v9, off, s32 offset:260 th:TH_LOAD_LU
	v_pk_mul_bf16 v5, v6, v5
	;; [unrolled: 6-line block ×3, first 2 shown]
	s_wait_loadcnt 0x0
	v_perm_b32 v9, v30, v9, 0x5040100
	v_lshlrev_b32_e32 v30, 16, v4
	v_and_b32_e32 v4, 0xffff0000, v4
	s_delay_alu instid0(VALU_DEP_3) | instskip(NEXT) | instid1(VALU_DEP_2)
	v_pk_mul_bf16 v9, v2, v9
	v_dual_add_f32 v4, v30, v4 :: v_dual_lshlrev_b32 v30, 16, v5
	v_and_b32_e32 v5, 0xffff0000, v5
	s_delay_alu instid0(VALU_DEP_1) | instskip(NEXT) | instid1(VALU_DEP_1)
	v_add_f32_e32 v5, v30, v5
	v_dual_add_f32 v4, v4, v5 :: v_dual_lshlrev_b32 v5, 16, v8
	v_and_b32_e32 v8, 0xffff0000, v8
	s_delay_alu instid0(VALU_DEP_1) | instskip(SKIP_1) | instid1(VALU_DEP_2)
	v_add_f32_e32 v5, v5, v8
	v_and_b32_e32 v8, 0xffff0000, v9
	v_add_f32_e32 v4, v4, v5
	v_lshlrev_b32_e32 v5, 16, v9
	s_delay_alu instid0(VALU_DEP_1) | instskip(NEXT) | instid1(VALU_DEP_1)
	v_add_f32_e32 v5, v5, v8
	v_add_f32_e32 v4, v4, v5
	s_delay_alu instid0(VALU_DEP_1)
	v_add_f32_e32 v29, v29, v4
	s_clause 0x1
	scratch_load_b32 v4, off, s32 offset:236 th:TH_LOAD_LU
	scratch_load_b32 v5, off, s32 offset:244 th:TH_LOAD_LU
	s_wait_loadcnt 0x0
	v_perm_b32 v4, v4, v5, 0x5040100
	s_clause 0x1
	scratch_load_b32 v5, off, s32 offset:220 th:TH_LOAD_LU
	scratch_load_b32 v8, off, s32 offset:228 th:TH_LOAD_LU
	v_pk_mul_bf16 v4, v7, v4
	s_wait_loadcnt 0x0
	v_perm_b32 v5, v5, v8, 0x5040100
	s_clause 0x1
	scratch_load_b32 v8, off, s32 offset:196 th:TH_LOAD_LU
	scratch_load_b32 v9, off, s32 offset:204 th:TH_LOAD_LU
	v_pk_mul_bf16 v5, v6, v5
	;; [unrolled: 6-line block ×3, first 2 shown]
	s_wait_loadcnt 0x0
	v_perm_b32 v9, v30, v9, 0x5040100
	v_lshlrev_b32_e32 v30, 16, v4
	v_and_b32_e32 v4, 0xffff0000, v4
	s_delay_alu instid0(VALU_DEP_3) | instskip(NEXT) | instid1(VALU_DEP_2)
	v_pk_mul_bf16 v9, v2, v9
	v_dual_add_f32 v4, v30, v4 :: v_dual_lshlrev_b32 v30, 16, v5
	v_and_b32_e32 v5, 0xffff0000, v5
	s_delay_alu instid0(VALU_DEP_1) | instskip(NEXT) | instid1(VALU_DEP_1)
	v_add_f32_e32 v5, v30, v5
	v_dual_add_f32 v4, v4, v5 :: v_dual_lshlrev_b32 v5, 16, v8
	v_and_b32_e32 v8, 0xffff0000, v8
	s_delay_alu instid0(VALU_DEP_1) | instskip(SKIP_1) | instid1(VALU_DEP_2)
	v_add_f32_e32 v5, v5, v8
	v_and_b32_e32 v8, 0xffff0000, v9
	v_add_f32_e32 v4, v4, v5
	v_lshlrev_b32_e32 v5, 16, v9
	s_delay_alu instid0(VALU_DEP_1) | instskip(NEXT) | instid1(VALU_DEP_1)
	v_add_f32_e32 v5, v5, v8
	v_add_f32_e32 v4, v4, v5
	v_perm_b32 v5, v22, v32, 0x5040100
	s_delay_alu instid0(VALU_DEP_1) | instskip(SKIP_1) | instid1(VALU_DEP_2)
	v_pk_mul_bf16 v5, v6, v5
	v_pk_mul_bf16 v6, v3, v1
	v_dual_add_f32 v28, v28, v4 :: v_dual_lshlrev_b32 v3, 16, v5
	v_perm_b32 v4, v33, v53, 0x5040100
	v_and_b32_e32 v1, 0xffff0000, v5
	s_delay_alu instid0(VALU_DEP_2) | instskip(SKIP_1) | instid1(VALU_DEP_2)
	v_pk_mul_bf16 v4, v7, v4
	v_pk_mul_bf16 v7, v2, v0
	v_and_b32_e32 v0, 0xffff0000, v4
	s_delay_alu instid0(VALU_DEP_2) | instskip(SKIP_1) | instid1(VALU_DEP_2)
	v_dual_lshlrev_b32 v2, 16, v4 :: v_dual_lshlrev_b32 v5, 16, v7
	v_lshlrev_b32_e32 v4, 16, v6
	v_pk_add_f32 v[0:1], v[2:3], v[0:1]
	v_and_b32_e32 v2, 0xffff0000, v6
	v_and_b32_e32 v3, 0xffff0000, v7
	s_delay_alu instid0(VALU_DEP_3) | instskip(NEXT) | instid1(VALU_DEP_2)
	v_add_f32_e32 v0, v0, v1
	v_pk_add_f32 v[2:3], v[4:5], v[2:3]
	s_delay_alu instid0(VALU_DEP_1) | instskip(NEXT) | instid1(VALU_DEP_1)
	v_add_f32_e32 v0, v0, v2
	v_add_f32_e32 v0, v0, v3
	s_delay_alu instid0(VALU_DEP_1)
	v_add_f32_e32 v13, v13, v0
	scratch_load_b32 v0, off, s32 offset:192 ; 4-byte Folded Reload
	s_wait_loadcnt 0x0
	v_cmp_ge_i32_e32 vcc_lo, v48, v0
	s_or_b32 s14, vcc_lo, s14
	s_wait_xcnt 0x0
	s_and_not1_b32 exec_lo, exec_lo, s14
	s_cbranch_execz .LBB364_1858
.LBB364_934:                            ; =>This Inner Loop Header: Depth=1
	flat_load_b32 v0, v[10:11]
	scratch_load_b64 v[2:3], off, s32 offset:364 ; 8-byte Folded Reload
	s_mov_b32 s0, exec_lo
	s_wait_loadcnt_dscnt 0x0
	v_mad_nc_i64_i32 v[0:1], v0, v2, v[100:101]
	ds_load_2addr_b64 v[2:5], v39 offset1:1
	flat_load_b64 v[18:19], v[0:1]
	s_wait_dscnt 0x1
	scratch_store_b128 off, v[2:5], s32 offset:388 ; 16-byte Folded Spill
	s_wait_xcnt 0x0
	ds_load_2addr_b64 v[2:5], v39 offset0:2 offset1:3
	s_wait_dscnt 0x0
	scratch_store_b128 off, v[2:5], s32 offset:372 ; 16-byte Folded Spill
	s_wait_xcnt 0x0
	v_mov_b32_e32 v2, 0
	s_wait_loadcnt 0x0
	v_and_b32_e32 v3, 0xff, v18
	s_delay_alu instid0(VALU_DEP_1)
	v_cmpx_ne_u16_e32 0, v3
	s_cbranch_execz .LBB364_942
; %bb.935:                              ;   in Loop: Header=BB364_934 Depth=1
	v_bfrev_b32_e32 v2, 1
	s_mov_b32 s15, exec_lo
	v_cmpx_ne_u16_e32 0x80, v3
	s_cbranch_execz .LBB364_941
; %bb.936:                              ;   in Loop: Header=BB364_934 Depth=1
	v_and_b32_e32 v3, 0x7f, v18
	v_mov_b32_e32 v2, 0x7f800001
	s_mov_b32 s16, exec_lo
	s_delay_alu instid0(VALU_DEP_2)
	v_cmpx_ne_u32_e32 0x7f, v3
	s_cbranch_execz .LBB364_940
; %bb.937:                              ;   in Loop: Header=BB364_934 Depth=1
	v_mov_b64_e32 v[32:33], v[18:19]
	v_lshrrev_b32_e32 v2, 3, v3
	s_mov_b32 s17, exec_lo
	v_cmpx_gt_u32_e32 8, v3
; %bb.938:                              ;   in Loop: Header=BB364_934 Depth=1
	v_and_b32_e32 v2, 7, v18
	s_delay_alu instid0(VALU_DEP_1) | instskip(NEXT) | instid1(VALU_DEP_1)
	v_clz_i32_u32_e32 v2, v2
	v_min_u32_e32 v2, 32, v2
	s_delay_alu instid0(VALU_DEP_1) | instskip(SKIP_1) | instid1(VALU_DEP_2)
	v_subrev_nc_u32_e32 v3, 28, v2
	v_sub_nc_u32_e32 v2, 29, v2
	v_lshlrev_b64_e32 v[32:33], v3, v[18:19]
; %bb.939:                              ;   in Loop: Header=BB364_934 Depth=1
	s_or_b32 exec_lo, exec_lo, s17
	s_delay_alu instid0(VALU_DEP_1) | instskip(NEXT) | instid1(VALU_DEP_3)
	v_dual_lshlrev_b32 v3, 20, v32 :: v_dual_lshlrev_b32 v4, 24, v18
	v_lshl_add_u32 v2, v2, 23, 0x3c000000
	s_delay_alu instid0(VALU_DEP_2) | instskip(NEXT) | instid1(VALU_DEP_3)
	v_and_b32_e32 v3, 0x700000, v3
	v_and_b32_e32 v4, 0x80000000, v4
	s_delay_alu instid0(VALU_DEP_1)
	v_or3_b32 v2, v3, v4, v2
.LBB364_940:                            ;   in Loop: Header=BB364_934 Depth=1
	s_or_b32 exec_lo, exec_lo, s16
.LBB364_941:                            ;   in Loop: Header=BB364_934 Depth=1
	s_delay_alu instid0(SALU_CYCLE_1)
	s_or_b32 exec_lo, exec_lo, s15
.LBB364_942:                            ;   in Loop: Header=BB364_934 Depth=1
	s_delay_alu instid0(SALU_CYCLE_1) | instskip(SKIP_3) | instid1(VALU_DEP_2)
	s_or_b32 exec_lo, exec_lo, s0
	v_lshrrev_b16 v5, 8, v18
	v_dual_mov_b32 v3, 0 :: v_dual_mov_b32 v4, 0
	s_mov_b32 s0, exec_lo
	v_cmpx_ne_u16_e32 0, v5
	s_cbranch_execz .LBB364_950
; %bb.943:                              ;   in Loop: Header=BB364_934 Depth=1
	v_bfrev_b32_e32 v4, 1
	s_mov_b32 s15, exec_lo
	v_cmpx_ne_u16_e32 0x80, v5
	s_cbranch_execz .LBB364_949
; %bb.944:                              ;   in Loop: Header=BB364_934 Depth=1
	v_and_b32_e32 v6, 0xffff, v5
	v_mov_b32_e32 v4, 0x7f800001
	s_mov_b32 s16, exec_lo
	s_delay_alu instid0(VALU_DEP_2) | instskip(NEXT) | instid1(VALU_DEP_1)
	v_and_b32_e32 v5, 0x7f, v6
	v_cmpx_ne_u32_e32 0x7f, v5
	s_cbranch_execz .LBB364_948
; %bb.945:                              ;   in Loop: Header=BB364_934 Depth=1
	v_dual_lshrrev_b32 v4, 3, v5 :: v_dual_bitop2_b32 v22, 7, v6 bitop3:0x40
	s_mov_b32 s17, exec_lo
	v_cmpx_gt_u32_e32 8, v5
; %bb.946:                              ;   in Loop: Header=BB364_934 Depth=1
	s_delay_alu instid0(VALU_DEP_2) | instskip(NEXT) | instid1(VALU_DEP_1)
	v_clz_i32_u32_e32 v4, v22
	v_min_u32_e32 v4, 32, v4
	s_delay_alu instid0(VALU_DEP_1) | instskip(NEXT) | instid1(VALU_DEP_1)
	v_subrev_nc_u32_e32 v5, 28, v4
	v_lshlrev_b64_e32 v[6:7], v5, v[22:23]
	s_delay_alu instid0(VALU_DEP_1)
	v_dual_sub_nc_u32 v4, 29, v4 :: v_dual_bitop2_b32 v22, 7, v6 bitop3:0x40
; %bb.947:                              ;   in Loop: Header=BB364_934 Depth=1
	s_or_b32 exec_lo, exec_lo, s17
	v_lshlrev_b32_e32 v5, 16, v18
	s_delay_alu instid0(VALU_DEP_2) | instskip(NEXT) | instid1(VALU_DEP_3)
	v_lshlrev_b32_e32 v6, 20, v22
	v_lshl_add_u32 v4, v4, 23, 0x3c000000
	s_delay_alu instid0(VALU_DEP_3) | instskip(NEXT) | instid1(VALU_DEP_1)
	v_and_b32_e32 v5, 0x80000000, v5
	v_or3_b32 v4, v6, v5, v4
.LBB364_948:                            ;   in Loop: Header=BB364_934 Depth=1
	s_or_b32 exec_lo, exec_lo, s16
.LBB364_949:                            ;   in Loop: Header=BB364_934 Depth=1
	s_delay_alu instid0(SALU_CYCLE_1)
	s_or_b32 exec_lo, exec_lo, s15
.LBB364_950:                            ;   in Loop: Header=BB364_934 Depth=1
	s_delay_alu instid0(SALU_CYCLE_1) | instskip(SKIP_2) | instid1(VALU_DEP_1)
	s_or_b32 exec_lo, exec_lo, s0
	v_lshrrev_b32_e32 v5, 16, v18
	s_mov_b32 s0, exec_lo
	v_and_b32_e32 v6, 0xff, v5
	s_delay_alu instid0(VALU_DEP_1)
	v_cmpx_ne_u16_e32 0, v6
	s_cbranch_execz .LBB364_958
; %bb.951:                              ;   in Loop: Header=BB364_934 Depth=1
	v_bfrev_b32_e32 v3, 1
	s_mov_b32 s15, exec_lo
	v_cmpx_ne_u16_e32 0x80, v6
	s_cbranch_execz .LBB364_957
; %bb.952:                              ;   in Loop: Header=BB364_934 Depth=1
	v_bfe_u32 v6, v18, 16, 7
	v_mov_b32_e32 v3, 0x7f800001
	s_mov_b32 s16, exec_lo
	s_delay_alu instid0(VALU_DEP_2)
	v_cmpx_ne_u32_e32 0x7f, v6
	s_cbranch_execz .LBB364_956
; %bb.953:                              ;   in Loop: Header=BB364_934 Depth=1
	v_dual_lshrrev_b32 v3, 3, v6 :: v_dual_bitop2_b32 v22, 7, v5 bitop3:0x40
	s_mov_b32 s17, exec_lo
	v_cmpx_gt_u32_e32 8, v6
; %bb.954:                              ;   in Loop: Header=BB364_934 Depth=1
	s_delay_alu instid0(VALU_DEP_2) | instskip(NEXT) | instid1(VALU_DEP_1)
	v_clz_i32_u32_e32 v3, v22
	v_min_u32_e32 v3, 32, v3
	s_delay_alu instid0(VALU_DEP_1) | instskip(NEXT) | instid1(VALU_DEP_1)
	v_subrev_nc_u32_e32 v6, 28, v3
	v_lshlrev_b64_e32 v[6:7], v6, v[22:23]
	s_delay_alu instid0(VALU_DEP_1)
	v_dual_sub_nc_u32 v3, 29, v3 :: v_dual_bitop2_b32 v22, 7, v6 bitop3:0x40
; %bb.955:                              ;   in Loop: Header=BB364_934 Depth=1
	s_or_b32 exec_lo, exec_lo, s17
	s_delay_alu instid0(VALU_DEP_1) | instskip(NEXT) | instid1(VALU_DEP_2)
	v_dual_lshlrev_b32 v5, 24, v5 :: v_dual_lshlrev_b32 v6, 20, v22
	v_lshl_add_u32 v3, v3, 23, 0x3c000000
	s_delay_alu instid0(VALU_DEP_2) | instskip(NEXT) | instid1(VALU_DEP_1)
	v_and_b32_e32 v5, 0x80000000, v5
	v_or3_b32 v3, v6, v5, v3
.LBB364_956:                            ;   in Loop: Header=BB364_934 Depth=1
	s_or_b32 exec_lo, exec_lo, s16
.LBB364_957:                            ;   in Loop: Header=BB364_934 Depth=1
	s_delay_alu instid0(SALU_CYCLE_1)
	s_or_b32 exec_lo, exec_lo, s15
.LBB364_958:                            ;   in Loop: Header=BB364_934 Depth=1
	s_delay_alu instid0(SALU_CYCLE_1)
	s_or_b32 exec_lo, exec_lo, s0
	v_dual_mov_b32 v5, 0 :: v_dual_mov_b32 v6, 0
	s_mov_b32 s0, exec_lo
	v_cmpx_lt_u32_e32 0xffffff, v18
	s_cbranch_execz .LBB364_966
; %bb.959:                              ;   in Loop: Header=BB364_934 Depth=1
	v_lshrrev_b32_e32 v7, 24, v18
	v_bfrev_b32_e32 v6, 1
	s_mov_b32 s15, exec_lo
	s_delay_alu instid0(VALU_DEP_2)
	v_cmpx_ne_u32_e32 0x80, v7
	s_cbranch_execz .LBB364_965
; %bb.960:                              ;   in Loop: Header=BB364_934 Depth=1
	v_bfe_u32 v8, v18, 24, 7
	v_mov_b32_e32 v6, 0x7f800001
	s_mov_b32 s16, exec_lo
	s_delay_alu instid0(VALU_DEP_2)
	v_cmpx_ne_u32_e32 0x7f, v8
	s_cbranch_execz .LBB364_964
; %bb.961:                              ;   in Loop: Header=BB364_934 Depth=1
	v_dual_lshrrev_b32 v6, 3, v8 :: v_dual_bitop2_b32 v22, 7, v7 bitop3:0x40
	s_mov_b32 s17, exec_lo
	v_cmpx_gt_u32_e32 8, v8
; %bb.962:                              ;   in Loop: Header=BB364_934 Depth=1
	s_delay_alu instid0(VALU_DEP_2) | instskip(NEXT) | instid1(VALU_DEP_1)
	v_clz_i32_u32_e32 v6, v22
	v_min_u32_e32 v6, 32, v6
	s_delay_alu instid0(VALU_DEP_1) | instskip(NEXT) | instid1(VALU_DEP_1)
	v_subrev_nc_u32_e32 v8, 28, v6
	v_lshlrev_b64_e32 v[8:9], v8, v[22:23]
	s_delay_alu instid0(VALU_DEP_1)
	v_dual_sub_nc_u32 v6, 29, v6 :: v_dual_bitop2_b32 v22, 7, v8 bitop3:0x40
; %bb.963:                              ;   in Loop: Header=BB364_934 Depth=1
	s_or_b32 exec_lo, exec_lo, s17
	s_delay_alu instid0(VALU_DEP_1) | instskip(NEXT) | instid1(VALU_DEP_2)
	v_dual_lshlrev_b32 v7, 24, v7 :: v_dual_lshlrev_b32 v8, 20, v22
	v_lshl_add_u32 v6, v6, 23, 0x3c000000
	s_delay_alu instid0(VALU_DEP_2) | instskip(NEXT) | instid1(VALU_DEP_1)
	v_and_b32_e32 v7, 0x80000000, v7
	v_or3_b32 v6, v8, v7, v6
.LBB364_964:                            ;   in Loop: Header=BB364_934 Depth=1
	s_or_b32 exec_lo, exec_lo, s16
.LBB364_965:                            ;   in Loop: Header=BB364_934 Depth=1
	s_delay_alu instid0(SALU_CYCLE_1)
	s_or_b32 exec_lo, exec_lo, s15
.LBB364_966:                            ;   in Loop: Header=BB364_934 Depth=1
	s_delay_alu instid0(SALU_CYCLE_1) | instskip(SKIP_3) | instid1(VALU_DEP_2)
	s_or_b32 exec_lo, exec_lo, s0
	v_and_b32_e32 v7, 0xff, v19
	v_mov_b32_e32 v22, v19
	s_mov_b32 s0, exec_lo
	v_cmpx_ne_u16_e32 0, v7
	s_cbranch_execz .LBB364_974
; %bb.967:                              ;   in Loop: Header=BB364_934 Depth=1
	v_bfrev_b32_e32 v5, 1
	s_mov_b32 s15, exec_lo
	v_cmpx_ne_u16_e32 0x80, v7
	s_cbranch_execz .LBB364_973
; %bb.968:                              ;   in Loop: Header=BB364_934 Depth=1
	v_and_b32_e32 v7, 0x7f, v19
	v_mov_b32_e32 v5, 0x7f800001
	s_mov_b32 s16, exec_lo
	s_delay_alu instid0(VALU_DEP_2)
	v_cmpx_ne_u32_e32 0x7f, v7
	s_cbranch_execz .LBB364_972
; %bb.969:                              ;   in Loop: Header=BB364_934 Depth=1
	v_mov_b64_e32 v[32:33], v[22:23]
	v_lshrrev_b32_e32 v5, 3, v7
	s_mov_b32 s17, exec_lo
	v_cmpx_gt_u32_e32 8, v7
; %bb.970:                              ;   in Loop: Header=BB364_934 Depth=1
	v_and_b32_e32 v5, 7, v19
	s_delay_alu instid0(VALU_DEP_1) | instskip(NEXT) | instid1(VALU_DEP_1)
	v_clz_i32_u32_e32 v5, v5
	v_min_u32_e32 v5, 32, v5
	s_delay_alu instid0(VALU_DEP_1) | instskip(SKIP_1) | instid1(VALU_DEP_2)
	v_subrev_nc_u32_e32 v7, 28, v5
	v_sub_nc_u32_e32 v5, 29, v5
	v_lshlrev_b64_e32 v[32:33], v7, v[22:23]
; %bb.971:                              ;   in Loop: Header=BB364_934 Depth=1
	s_or_b32 exec_lo, exec_lo, s17
	s_delay_alu instid0(VALU_DEP_1) | instskip(NEXT) | instid1(VALU_DEP_3)
	v_dual_lshlrev_b32 v7, 20, v32 :: v_dual_lshlrev_b32 v8, 24, v22
	v_lshl_add_u32 v5, v5, 23, 0x3c000000
	s_delay_alu instid0(VALU_DEP_2) | instskip(NEXT) | instid1(VALU_DEP_3)
	v_and_b32_e32 v7, 0x700000, v7
	v_and_b32_e32 v8, 0x80000000, v8
	s_delay_alu instid0(VALU_DEP_1)
	v_or3_b32 v5, v7, v8, v5
.LBB364_972:                            ;   in Loop: Header=BB364_934 Depth=1
	s_or_b32 exec_lo, exec_lo, s16
.LBB364_973:                            ;   in Loop: Header=BB364_934 Depth=1
	s_delay_alu instid0(SALU_CYCLE_1)
	s_or_b32 exec_lo, exec_lo, s15
.LBB364_974:                            ;   in Loop: Header=BB364_934 Depth=1
	s_delay_alu instid0(SALU_CYCLE_1) | instskip(SKIP_3) | instid1(VALU_DEP_2)
	s_or_b32 exec_lo, exec_lo, s0
	v_lshrrev_b16 v9, 8, v22
	v_dual_mov_b32 v7, 0 :: v_dual_mov_b32 v8, 0
	s_mov_b32 s0, exec_lo
	v_cmpx_ne_u16_e32 0, v9
	s_cbranch_execz .LBB364_982
; %bb.975:                              ;   in Loop: Header=BB364_934 Depth=1
	v_bfrev_b32_e32 v8, 1
	s_mov_b32 s15, exec_lo
	v_cmpx_ne_u16_e32 0x80, v9
	s_cbranch_execz .LBB364_981
; %bb.976:                              ;   in Loop: Header=BB364_934 Depth=1
	v_and_b32_e32 v30, 0xffff, v9
	v_mov_b32_e32 v8, 0x7f800001
	s_mov_b32 s16, exec_lo
	s_delay_alu instid0(VALU_DEP_2) | instskip(NEXT) | instid1(VALU_DEP_1)
	v_and_b32_e32 v9, 0x7f, v30
	v_cmpx_ne_u32_e32 0x7f, v9
	s_cbranch_execz .LBB364_980
; %bb.977:                              ;   in Loop: Header=BB364_934 Depth=1
	v_dual_mov_b32 v33, v23 :: v_dual_bitop2_b32 v32, 7, v30 bitop3:0x40
	v_lshrrev_b32_e32 v8, 3, v9
	s_mov_b32 s17, exec_lo
	v_cmpx_gt_u32_e32 8, v9
; %bb.978:                              ;   in Loop: Header=BB364_934 Depth=1
	s_delay_alu instid0(VALU_DEP_3) | instskip(NEXT) | instid1(VALU_DEP_1)
	v_clz_i32_u32_e32 v8, v32
	v_min_u32_e32 v8, 32, v8
	s_delay_alu instid0(VALU_DEP_1) | instskip(NEXT) | instid1(VALU_DEP_1)
	v_subrev_nc_u32_e32 v9, 28, v8
	v_lshlrev_b64_e32 v[30:31], v9, v[32:33]
	s_delay_alu instid0(VALU_DEP_1)
	v_dual_sub_nc_u32 v8, 29, v8 :: v_dual_bitop2_b32 v32, 7, v30 bitop3:0x40
; %bb.979:                              ;   in Loop: Header=BB364_934 Depth=1
	s_or_b32 exec_lo, exec_lo, s17
	s_delay_alu instid0(VALU_DEP_1) | instskip(NEXT) | instid1(VALU_DEP_2)
	v_dual_lshlrev_b32 v9, 16, v22 :: v_dual_lshlrev_b32 v22, 20, v32
	v_lshl_add_u32 v8, v8, 23, 0x3c000000
	s_delay_alu instid0(VALU_DEP_2) | instskip(NEXT) | instid1(VALU_DEP_1)
	v_and_b32_e32 v9, 0x80000000, v9
	v_or3_b32 v8, v22, v9, v8
.LBB364_980:                            ;   in Loop: Header=BB364_934 Depth=1
	s_or_b32 exec_lo, exec_lo, s16
.LBB364_981:                            ;   in Loop: Header=BB364_934 Depth=1
	s_delay_alu instid0(SALU_CYCLE_1)
	s_or_b32 exec_lo, exec_lo, s15
.LBB364_982:                            ;   in Loop: Header=BB364_934 Depth=1
	s_delay_alu instid0(SALU_CYCLE_1) | instskip(SKIP_2) | instid1(VALU_DEP_1)
	s_or_b32 exec_lo, exec_lo, s0
	v_lshrrev_b32_e32 v9, 16, v19
	s_mov_b32 s0, exec_lo
	v_and_b32_e32 v22, 0xff, v9
	s_delay_alu instid0(VALU_DEP_1)
	v_cmpx_ne_u16_e32 0, v22
	s_cbranch_execz .LBB364_990
; %bb.983:                              ;   in Loop: Header=BB364_934 Depth=1
	v_bfrev_b32_e32 v7, 1
	s_mov_b32 s15, exec_lo
	v_cmpx_ne_u16_e32 0x80, v22
	s_cbranch_execz .LBB364_989
; %bb.984:                              ;   in Loop: Header=BB364_934 Depth=1
	v_bfe_u32 v30, v19, 16, 7
	v_mov_b32_e32 v7, 0x7f800001
	s_mov_b32 s16, exec_lo
	s_delay_alu instid0(VALU_DEP_2)
	v_cmpx_ne_u32_e32 0x7f, v30
	s_cbranch_execz .LBB364_988
; %bb.985:                              ;   in Loop: Header=BB364_934 Depth=1
	v_dual_lshrrev_b32 v7, 3, v30 :: v_dual_bitop2_b32 v22, 7, v9 bitop3:0x40
	s_mov_b32 s17, exec_lo
	v_cmpx_gt_u32_e32 8, v30
; %bb.986:                              ;   in Loop: Header=BB364_934 Depth=1
	s_delay_alu instid0(VALU_DEP_2) | instskip(NEXT) | instid1(VALU_DEP_1)
	v_clz_i32_u32_e32 v7, v22
	v_min_u32_e32 v7, 32, v7
	s_delay_alu instid0(VALU_DEP_1) | instskip(NEXT) | instid1(VALU_DEP_1)
	v_subrev_nc_u32_e32 v30, 28, v7
	v_lshlrev_b64_e32 v[30:31], v30, v[22:23]
	s_delay_alu instid0(VALU_DEP_1)
	v_dual_sub_nc_u32 v7, 29, v7 :: v_dual_bitop2_b32 v22, 7, v30 bitop3:0x40
; %bb.987:                              ;   in Loop: Header=BB364_934 Depth=1
	s_or_b32 exec_lo, exec_lo, s17
	s_delay_alu instid0(VALU_DEP_1) | instskip(NEXT) | instid1(VALU_DEP_2)
	v_dual_lshlrev_b32 v9, 24, v9 :: v_dual_lshlrev_b32 v22, 20, v22
	v_lshl_add_u32 v7, v7, 23, 0x3c000000
	s_delay_alu instid0(VALU_DEP_2) | instskip(NEXT) | instid1(VALU_DEP_1)
	v_and_b32_e32 v9, 0x80000000, v9
	v_or3_b32 v7, v22, v9, v7
.LBB364_988:                            ;   in Loop: Header=BB364_934 Depth=1
	s_or_b32 exec_lo, exec_lo, s16
.LBB364_989:                            ;   in Loop: Header=BB364_934 Depth=1
	s_delay_alu instid0(SALU_CYCLE_1)
	s_or_b32 exec_lo, exec_lo, s15
.LBB364_990:                            ;   in Loop: Header=BB364_934 Depth=1
	s_delay_alu instid0(SALU_CYCLE_1)
	s_or_b32 exec_lo, exec_lo, s0
	v_cmp_lt_u64_e32 vcc_lo, s[2:3], v[18:19]
	v_mov_b32_e32 v18, 0
	s_and_saveexec_b32 s0, vcc_lo
	s_cbranch_execz .LBB364_998
; %bb.991:                              ;   in Loop: Header=BB364_934 Depth=1
	v_lshrrev_b32_e32 v9, 24, v19
	v_bfrev_b32_e32 v18, 1
	s_mov_b32 s15, exec_lo
	s_delay_alu instid0(VALU_DEP_2)
	v_cmpx_ne_u32_e32 0x80, v9
	s_cbranch_execz .LBB364_997
; %bb.992:                              ;   in Loop: Header=BB364_934 Depth=1
	v_bfe_u32 v19, v19, 24, 7
	v_mov_b32_e32 v18, 0x7f800001
	s_mov_b32 s16, exec_lo
	s_delay_alu instid0(VALU_DEP_2)
	v_cmpx_ne_u32_e32 0x7f, v19
	s_cbranch_execz .LBB364_996
; %bb.993:                              ;   in Loop: Header=BB364_934 Depth=1
	v_dual_lshrrev_b32 v18, 3, v19 :: v_dual_bitop2_b32 v22, 7, v9 bitop3:0x40
	s_mov_b32 s17, exec_lo
	v_cmpx_gt_u32_e32 8, v19
; %bb.994:                              ;   in Loop: Header=BB364_934 Depth=1
	s_delay_alu instid0(VALU_DEP_2) | instskip(NEXT) | instid1(VALU_DEP_1)
	v_clz_i32_u32_e32 v18, v22
	v_min_u32_e32 v18, 32, v18
	s_delay_alu instid0(VALU_DEP_1) | instskip(SKIP_1) | instid1(VALU_DEP_2)
	v_subrev_nc_u32_e32 v19, 28, v18
	v_sub_nc_u32_e32 v18, 29, v18
	v_lshlrev_b64_e32 v[30:31], v19, v[22:23]
	s_delay_alu instid0(VALU_DEP_1)
	v_and_b32_e32 v22, 7, v30
; %bb.995:                              ;   in Loop: Header=BB364_934 Depth=1
	s_or_b32 exec_lo, exec_lo, s17
	s_delay_alu instid0(VALU_DEP_1) | instskip(SKIP_1) | instid1(VALU_DEP_2)
	v_dual_lshlrev_b32 v9, 24, v9 :: v_dual_lshlrev_b32 v19, 20, v22
	v_lshl_add_u32 v18, v18, 23, 0x3c000000
	v_and_b32_e32 v9, 0x80000000, v9
	s_delay_alu instid0(VALU_DEP_1)
	v_or3_b32 v18, v19, v9, v18
.LBB364_996:                            ;   in Loop: Header=BB364_934 Depth=1
	s_or_b32 exec_lo, exec_lo, s16
.LBB364_997:                            ;   in Loop: Header=BB364_934 Depth=1
	s_delay_alu instid0(SALU_CYCLE_1)
	s_or_b32 exec_lo, exec_lo, s15
.LBB364_998:                            ;   in Loop: Header=BB364_934 Depth=1
	s_delay_alu instid0(SALU_CYCLE_1)
	s_or_b32 exec_lo, exec_lo, s0
	scratch_load_b32 v9, off, s32 offset:192 ; 4-byte Folded Reload
	v_fma_mixlo_bf16 v8, v37, v8, 0
	v_fma_mixlo_bf16 v5, v37, v5, 0
	;; [unrolled: 1-line block ×4, first 2 shown]
	v_dual_add_nc_u32 v87, -6, v38 :: v_dual_add_nc_u32 v86, -5, v38
	s_clause 0x1
	scratch_store_b32 off, v8, s32 offset:196
	scratch_store_b32 off, v2, s32 offset:244
	s_wait_xcnt 0x0
	v_fma_mixlo_bf16 v2, v37, v7, 0
	scratch_store_b32 off, v5, s32 offset:204 ; 4-byte Folded Spill
	s_wait_xcnt 0x0
	v_fma_mixlo_bf16 v5, v37, v6, 0
	v_dual_add_nc_u32 v85, -4, v38 :: v_dual_add_nc_u32 v84, -3, v38
	scratch_store_b32 off, v2, s32 offset:208 ; 4-byte Folded Spill
	s_wait_xcnt 0x0
	v_fma_mixlo_bf16 v2, v37, v18, 0
	s_clause 0x1
	scratch_store_b32 off, v5, s32 offset:220
	scratch_store_b32 off, v3, s32 offset:228
	s_wait_xcnt 0x0
	v_fma_mixlo_bf16 v3, v37, v4, 0
	v_dual_add_nc_u32 v82, -2, v38 :: v_dual_add_nc_u32 v81, -1, v38
	scratch_store_b32 off, v2, s32 offset:216 ; 4-byte Folded Spill
	v_add_nc_u32_e32 v83, -7, v38
	scratch_store_b32 off, v3, s32 offset:236 ; 4-byte Folded Spill
	s_wait_loadcnt 0x0
	v_add_nc_u32_e32 v9, -1, v9
	s_delay_alu instid0(VALU_DEP_1)
	v_cmp_eq_u32_e32 vcc_lo, v9, v48
	s_wait_xcnt 0x0
	s_and_saveexec_b32 s15, vcc_lo
	s_cbranch_execz .LBB364_1000
; %bb.999:                              ;   in Loop: Header=BB364_934 Depth=1
	scratch_load_b32 v2, off, s32 offset:244 ; 4-byte Folded Reload
	v_cmp_lt_i32_e64 s0, v83, v106
	s_wait_loadcnt 0x0
	s_delay_alu instid0(VALU_DEP_1)
	v_cndmask_b32_e64 v2, 0, v2, s0
	v_cmp_lt_i32_e64 s0, v87, v106
	s_clause 0x1
	scratch_store_b32 off, v2, s32 offset:244
	scratch_load_b32 v2, off, s32 offset:236
	s_wait_loadcnt 0x0
	v_cndmask_b32_e64 v2, 0, v2, s0
	v_cmp_lt_i32_e64 s0, v86, v106
	s_clause 0x1
	scratch_store_b32 off, v2, s32 offset:236
	scratch_load_b32 v2, off, s32 offset:228
	s_wait_loadcnt 0x0
	;; [unrolled: 6-line block ×7, first 2 shown]
	v_cndmask_b32_e64 v2, 0, v2, s0
	scratch_store_b32 off, v2, s32 offset:216 ; 4-byte Folded Spill
.LBB364_1000:                           ;   in Loop: Header=BB364_934 Depth=1
	s_wait_xcnt 0x0
	s_or_b32 exec_lo, exec_lo, s15
	flat_load_b64 v[18:19], v[0:1] offset:256
	v_dual_mov_b32 v3, 0 :: v_dual_mov_b32 v2, 0
	s_mov_b32 s15, exec_lo
	s_wait_loadcnt_dscnt 0x0
	v_and_b32_e32 v4, 0xff, v18
	s_wait_xcnt 0x0
	s_delay_alu instid0(VALU_DEP_1)
	v_cmpx_ne_u16_e32 0, v4
	s_cbranch_execz .LBB364_1008
; %bb.1001:                             ;   in Loop: Header=BB364_934 Depth=1
	v_bfrev_b32_e32 v2, 1
	s_mov_b32 s16, exec_lo
	v_cmpx_ne_u16_e32 0x80, v4
	s_cbranch_execz .LBB364_1007
; %bb.1002:                             ;   in Loop: Header=BB364_934 Depth=1
	v_and_b32_e32 v4, 0x7f, v18
	v_mov_b32_e32 v2, 0x7f800001
	s_mov_b32 s17, exec_lo
	s_delay_alu instid0(VALU_DEP_2)
	v_cmpx_ne_u32_e32 0x7f, v4
	s_cbranch_execz .LBB364_1006
; %bb.1003:                             ;   in Loop: Header=BB364_934 Depth=1
	v_mov_b64_e32 v[32:33], v[18:19]
	v_lshrrev_b32_e32 v2, 3, v4
	s_mov_b32 s18, exec_lo
	v_cmpx_gt_u32_e32 8, v4
; %bb.1004:                             ;   in Loop: Header=BB364_934 Depth=1
	v_and_b32_e32 v2, 7, v18
	s_delay_alu instid0(VALU_DEP_1) | instskip(NEXT) | instid1(VALU_DEP_1)
	v_clz_i32_u32_e32 v2, v2
	v_min_u32_e32 v2, 32, v2
	s_delay_alu instid0(VALU_DEP_1) | instskip(SKIP_1) | instid1(VALU_DEP_2)
	v_subrev_nc_u32_e32 v4, 28, v2
	v_sub_nc_u32_e32 v2, 29, v2
	v_lshlrev_b64_e32 v[32:33], v4, v[18:19]
; %bb.1005:                             ;   in Loop: Header=BB364_934 Depth=1
	s_or_b32 exec_lo, exec_lo, s18
	s_delay_alu instid0(VALU_DEP_1) | instskip(NEXT) | instid1(VALU_DEP_3)
	v_dual_lshlrev_b32 v4, 20, v32 :: v_dual_lshlrev_b32 v5, 24, v18
	v_lshl_add_u32 v2, v2, 23, 0x3c000000
	s_delay_alu instid0(VALU_DEP_2) | instskip(NEXT) | instid1(VALU_DEP_3)
	v_and_b32_e32 v4, 0x700000, v4
	v_and_b32_e32 v5, 0x80000000, v5
	s_delay_alu instid0(VALU_DEP_1)
	v_or3_b32 v2, v4, v5, v2
.LBB364_1006:                           ;   in Loop: Header=BB364_934 Depth=1
	s_or_b32 exec_lo, exec_lo, s17
.LBB364_1007:                           ;   in Loop: Header=BB364_934 Depth=1
	s_delay_alu instid0(SALU_CYCLE_1)
	s_or_b32 exec_lo, exec_lo, s16
.LBB364_1008:                           ;   in Loop: Header=BB364_934 Depth=1
	s_delay_alu instid0(SALU_CYCLE_1) | instskip(SKIP_2) | instid1(VALU_DEP_1)
	s_or_b32 exec_lo, exec_lo, s15
	v_lshrrev_b16 v4, 8, v18
	s_mov_b32 s15, exec_lo
	v_cmpx_ne_u16_e32 0, v4
	s_cbranch_execz .LBB364_1016
; %bb.1009:                             ;   in Loop: Header=BB364_934 Depth=1
	v_bfrev_b32_e32 v3, 1
	s_mov_b32 s16, exec_lo
	v_cmpx_ne_u16_e32 0x80, v4
	s_cbranch_execz .LBB364_1015
; %bb.1010:                             ;   in Loop: Header=BB364_934 Depth=1
	v_and_b32_e32 v5, 0xffff, v4
	v_mov_b32_e32 v3, 0x7f800001
	s_mov_b32 s17, exec_lo
	s_delay_alu instid0(VALU_DEP_2) | instskip(NEXT) | instid1(VALU_DEP_1)
	v_and_b32_e32 v4, 0x7f, v5
	v_cmpx_ne_u32_e32 0x7f, v4
	s_cbranch_execz .LBB364_1014
; %bb.1011:                             ;   in Loop: Header=BB364_934 Depth=1
	v_dual_lshrrev_b32 v3, 3, v4 :: v_dual_bitop2_b32 v22, 7, v5 bitop3:0x40
	s_mov_b32 s18, exec_lo
	v_cmpx_gt_u32_e32 8, v4
; %bb.1012:                             ;   in Loop: Header=BB364_934 Depth=1
	s_delay_alu instid0(VALU_DEP_2) | instskip(NEXT) | instid1(VALU_DEP_1)
	v_clz_i32_u32_e32 v3, v22
	v_min_u32_e32 v3, 32, v3
	s_delay_alu instid0(VALU_DEP_1) | instskip(NEXT) | instid1(VALU_DEP_1)
	v_subrev_nc_u32_e32 v4, 28, v3
	v_lshlrev_b64_e32 v[4:5], v4, v[22:23]
	s_delay_alu instid0(VALU_DEP_1)
	v_dual_sub_nc_u32 v3, 29, v3 :: v_dual_bitop2_b32 v22, 7, v4 bitop3:0x40
; %bb.1013:                             ;   in Loop: Header=BB364_934 Depth=1
	s_or_b32 exec_lo, exec_lo, s18
	v_lshlrev_b32_e32 v4, 16, v18
	s_delay_alu instid0(VALU_DEP_2) | instskip(NEXT) | instid1(VALU_DEP_3)
	v_lshlrev_b32_e32 v5, 20, v22
	v_lshl_add_u32 v3, v3, 23, 0x3c000000
	s_delay_alu instid0(VALU_DEP_3) | instskip(NEXT) | instid1(VALU_DEP_1)
	v_and_b32_e32 v4, 0x80000000, v4
	v_or3_b32 v3, v5, v4, v3
.LBB364_1014:                           ;   in Loop: Header=BB364_934 Depth=1
	s_or_b32 exec_lo, exec_lo, s17
.LBB364_1015:                           ;   in Loop: Header=BB364_934 Depth=1
	s_delay_alu instid0(SALU_CYCLE_1)
	s_or_b32 exec_lo, exec_lo, s16
.LBB364_1016:                           ;   in Loop: Header=BB364_934 Depth=1
	s_delay_alu instid0(SALU_CYCLE_1) | instskip(SKIP_3) | instid1(VALU_DEP_2)
	s_or_b32 exec_lo, exec_lo, s15
	v_dual_mov_b32 v5, 0 :: v_dual_lshrrev_b32 v6, 16, v18
	v_mov_b32_e32 v4, 0
	s_mov_b32 s15, exec_lo
	v_and_b32_e32 v7, 0xff, v6
	s_delay_alu instid0(VALU_DEP_1)
	v_cmpx_ne_u16_e32 0, v7
	s_cbranch_execz .LBB364_1024
; %bb.1017:                             ;   in Loop: Header=BB364_934 Depth=1
	v_bfrev_b32_e32 v4, 1
	s_mov_b32 s16, exec_lo
	v_cmpx_ne_u16_e32 0x80, v7
	s_cbranch_execz .LBB364_1023
; %bb.1018:                             ;   in Loop: Header=BB364_934 Depth=1
	v_bfe_u32 v7, v18, 16, 7
	v_mov_b32_e32 v4, 0x7f800001
	s_mov_b32 s17, exec_lo
	s_delay_alu instid0(VALU_DEP_2)
	v_cmpx_ne_u32_e32 0x7f, v7
	s_cbranch_execz .LBB364_1022
; %bb.1019:                             ;   in Loop: Header=BB364_934 Depth=1
	v_dual_lshrrev_b32 v4, 3, v7 :: v_dual_bitop2_b32 v22, 7, v6 bitop3:0x40
	s_mov_b32 s18, exec_lo
	v_cmpx_gt_u32_e32 8, v7
; %bb.1020:                             ;   in Loop: Header=BB364_934 Depth=1
	s_delay_alu instid0(VALU_DEP_2) | instskip(NEXT) | instid1(VALU_DEP_1)
	v_clz_i32_u32_e32 v4, v22
	v_min_u32_e32 v4, 32, v4
	s_delay_alu instid0(VALU_DEP_1) | instskip(SKIP_1) | instid1(VALU_DEP_2)
	v_subrev_nc_u32_e32 v7, 28, v4
	v_sub_nc_u32_e32 v4, 29, v4
	v_lshlrev_b64_e32 v[8:9], v7, v[22:23]
	s_delay_alu instid0(VALU_DEP_1)
	v_and_b32_e32 v22, 7, v8
; %bb.1021:                             ;   in Loop: Header=BB364_934 Depth=1
	s_or_b32 exec_lo, exec_lo, s18
	v_lshlrev_b32_e32 v6, 24, v6
	s_delay_alu instid0(VALU_DEP_2) | instskip(SKIP_1) | instid1(VALU_DEP_3)
	v_lshlrev_b32_e32 v7, 20, v22
	v_lshl_add_u32 v4, v4, 23, 0x3c000000
	v_and_b32_e32 v6, 0x80000000, v6
	s_delay_alu instid0(VALU_DEP_1)
	v_or3_b32 v4, v7, v6, v4
.LBB364_1022:                           ;   in Loop: Header=BB364_934 Depth=1
	s_or_b32 exec_lo, exec_lo, s17
.LBB364_1023:                           ;   in Loop: Header=BB364_934 Depth=1
	s_delay_alu instid0(SALU_CYCLE_1)
	s_or_b32 exec_lo, exec_lo, s16
.LBB364_1024:                           ;   in Loop: Header=BB364_934 Depth=1
	s_delay_alu instid0(SALU_CYCLE_1) | instskip(NEXT) | instid1(SALU_CYCLE_1)
	s_or_b32 exec_lo, exec_lo, s15
	s_mov_b32 s15, exec_lo
	v_cmpx_lt_u32_e32 0xffffff, v18
	s_cbranch_execz .LBB364_1032
; %bb.1025:                             ;   in Loop: Header=BB364_934 Depth=1
	v_lshrrev_b32_e32 v6, 24, v18
	v_bfrev_b32_e32 v5, 1
	s_mov_b32 s16, exec_lo
	s_delay_alu instid0(VALU_DEP_2)
	v_cmpx_ne_u32_e32 0x80, v6
	s_cbranch_execz .LBB364_1031
; %bb.1026:                             ;   in Loop: Header=BB364_934 Depth=1
	v_bfe_u32 v7, v18, 24, 7
	v_mov_b32_e32 v5, 0x7f800001
	s_mov_b32 s17, exec_lo
	s_delay_alu instid0(VALU_DEP_2)
	v_cmpx_ne_u32_e32 0x7f, v7
	s_cbranch_execz .LBB364_1030
; %bb.1027:                             ;   in Loop: Header=BB364_934 Depth=1
	v_dual_lshrrev_b32 v5, 3, v7 :: v_dual_bitop2_b32 v22, 7, v6 bitop3:0x40
	s_mov_b32 s18, exec_lo
	v_cmpx_gt_u32_e32 8, v7
; %bb.1028:                             ;   in Loop: Header=BB364_934 Depth=1
	s_delay_alu instid0(VALU_DEP_2) | instskip(NEXT) | instid1(VALU_DEP_1)
	v_clz_i32_u32_e32 v5, v22
	v_min_u32_e32 v5, 32, v5
	s_delay_alu instid0(VALU_DEP_1) | instskip(NEXT) | instid1(VALU_DEP_1)
	v_subrev_nc_u32_e32 v7, 28, v5
	v_lshlrev_b64_e32 v[8:9], v7, v[22:23]
	s_delay_alu instid0(VALU_DEP_1)
	v_dual_sub_nc_u32 v5, 29, v5 :: v_dual_bitop2_b32 v22, 7, v8 bitop3:0x40
; %bb.1029:                             ;   in Loop: Header=BB364_934 Depth=1
	s_or_b32 exec_lo, exec_lo, s18
	v_lshlrev_b32_e32 v6, 24, v6
	s_delay_alu instid0(VALU_DEP_2) | instskip(NEXT) | instid1(VALU_DEP_3)
	v_lshlrev_b32_e32 v7, 20, v22
	v_lshl_add_u32 v5, v5, 23, 0x3c000000
	s_delay_alu instid0(VALU_DEP_3) | instskip(NEXT) | instid1(VALU_DEP_1)
	v_and_b32_e32 v6, 0x80000000, v6
	v_or3_b32 v5, v7, v6, v5
.LBB364_1030:                           ;   in Loop: Header=BB364_934 Depth=1
	s_or_b32 exec_lo, exec_lo, s17
.LBB364_1031:                           ;   in Loop: Header=BB364_934 Depth=1
	s_delay_alu instid0(SALU_CYCLE_1)
	s_or_b32 exec_lo, exec_lo, s16
.LBB364_1032:                           ;   in Loop: Header=BB364_934 Depth=1
	s_delay_alu instid0(SALU_CYCLE_1) | instskip(SKIP_4) | instid1(VALU_DEP_3)
	s_or_b32 exec_lo, exec_lo, s15
	v_and_b32_e32 v8, 0xff, v19
	v_dual_mov_b32 v22, v19 :: v_dual_mov_b32 v7, 0
	v_mov_b32_e32 v6, 0
	s_mov_b32 s15, exec_lo
	v_cmpx_ne_u16_e32 0, v8
	s_cbranch_execz .LBB364_1040
; %bb.1033:                             ;   in Loop: Header=BB364_934 Depth=1
	v_bfrev_b32_e32 v6, 1
	s_mov_b32 s16, exec_lo
	v_cmpx_ne_u16_e32 0x80, v8
	s_cbranch_execz .LBB364_1039
; %bb.1034:                             ;   in Loop: Header=BB364_934 Depth=1
	v_and_b32_e32 v8, 0x7f, v19
	v_mov_b32_e32 v6, 0x7f800001
	s_mov_b32 s17, exec_lo
	s_delay_alu instid0(VALU_DEP_2)
	v_cmpx_ne_u32_e32 0x7f, v8
	s_cbranch_execz .LBB364_1038
; %bb.1035:                             ;   in Loop: Header=BB364_934 Depth=1
	v_mov_b64_e32 v[32:33], v[22:23]
	v_lshrrev_b32_e32 v6, 3, v8
	s_mov_b32 s18, exec_lo
	v_cmpx_gt_u32_e32 8, v8
; %bb.1036:                             ;   in Loop: Header=BB364_934 Depth=1
	v_and_b32_e32 v6, 7, v19
	s_delay_alu instid0(VALU_DEP_1) | instskip(NEXT) | instid1(VALU_DEP_1)
	v_clz_i32_u32_e32 v6, v6
	v_min_u32_e32 v6, 32, v6
	s_delay_alu instid0(VALU_DEP_1) | instskip(SKIP_1) | instid1(VALU_DEP_2)
	v_subrev_nc_u32_e32 v8, 28, v6
	v_sub_nc_u32_e32 v6, 29, v6
	v_lshlrev_b64_e32 v[32:33], v8, v[22:23]
; %bb.1037:                             ;   in Loop: Header=BB364_934 Depth=1
	s_or_b32 exec_lo, exec_lo, s18
	s_delay_alu instid0(VALU_DEP_1) | instskip(NEXT) | instid1(VALU_DEP_3)
	v_dual_lshlrev_b32 v8, 20, v32 :: v_dual_lshlrev_b32 v9, 24, v22
	v_lshl_add_u32 v6, v6, 23, 0x3c000000
	s_delay_alu instid0(VALU_DEP_2) | instskip(NEXT) | instid1(VALU_DEP_3)
	v_and_b32_e32 v8, 0x700000, v8
	v_and_b32_e32 v9, 0x80000000, v9
	s_delay_alu instid0(VALU_DEP_1)
	v_or3_b32 v6, v8, v9, v6
.LBB364_1038:                           ;   in Loop: Header=BB364_934 Depth=1
	s_or_b32 exec_lo, exec_lo, s17
.LBB364_1039:                           ;   in Loop: Header=BB364_934 Depth=1
	s_delay_alu instid0(SALU_CYCLE_1)
	s_or_b32 exec_lo, exec_lo, s16
.LBB364_1040:                           ;   in Loop: Header=BB364_934 Depth=1
	s_delay_alu instid0(SALU_CYCLE_1) | instskip(SKIP_2) | instid1(VALU_DEP_1)
	s_or_b32 exec_lo, exec_lo, s15
	v_lshrrev_b16 v8, 8, v22
	s_mov_b32 s15, exec_lo
	v_cmpx_ne_u16_e32 0, v8
	s_cbranch_execz .LBB364_1048
; %bb.1041:                             ;   in Loop: Header=BB364_934 Depth=1
	v_bfrev_b32_e32 v7, 1
	s_mov_b32 s16, exec_lo
	v_cmpx_ne_u16_e32 0x80, v8
	s_cbranch_execz .LBB364_1047
; %bb.1042:                             ;   in Loop: Header=BB364_934 Depth=1
	v_and_b32_e32 v9, 0xffff, v8
	v_mov_b32_e32 v7, 0x7f800001
	s_mov_b32 s17, exec_lo
	s_delay_alu instid0(VALU_DEP_2) | instskip(NEXT) | instid1(VALU_DEP_1)
	v_and_b32_e32 v8, 0x7f, v9
	v_cmpx_ne_u32_e32 0x7f, v8
	s_cbranch_execz .LBB364_1046
; %bb.1043:                             ;   in Loop: Header=BB364_934 Depth=1
	v_dual_mov_b32 v33, v23 :: v_dual_bitop2_b32 v32, 7, v9 bitop3:0x40
	v_lshrrev_b32_e32 v7, 3, v8
	s_mov_b32 s18, exec_lo
	v_cmpx_gt_u32_e32 8, v8
; %bb.1044:                             ;   in Loop: Header=BB364_934 Depth=1
	s_delay_alu instid0(VALU_DEP_3) | instskip(NEXT) | instid1(VALU_DEP_1)
	v_clz_i32_u32_e32 v7, v32
	v_min_u32_e32 v7, 32, v7
	s_delay_alu instid0(VALU_DEP_1) | instskip(NEXT) | instid1(VALU_DEP_1)
	v_subrev_nc_u32_e32 v8, 28, v7
	v_lshlrev_b64_e32 v[8:9], v8, v[32:33]
	s_delay_alu instid0(VALU_DEP_1)
	v_dual_sub_nc_u32 v7, 29, v7 :: v_dual_bitop2_b32 v32, 7, v8 bitop3:0x40
; %bb.1045:                             ;   in Loop: Header=BB364_934 Depth=1
	s_or_b32 exec_lo, exec_lo, s18
	s_delay_alu instid0(VALU_DEP_1) | instskip(NEXT) | instid1(VALU_DEP_2)
	v_dual_lshlrev_b32 v8, 16, v22 :: v_dual_lshlrev_b32 v9, 20, v32
	v_lshl_add_u32 v7, v7, 23, 0x3c000000
	s_delay_alu instid0(VALU_DEP_2) | instskip(NEXT) | instid1(VALU_DEP_1)
	v_and_b32_e32 v8, 0x80000000, v8
	v_or3_b32 v7, v9, v8, v7
.LBB364_1046:                           ;   in Loop: Header=BB364_934 Depth=1
	s_or_b32 exec_lo, exec_lo, s17
.LBB364_1047:                           ;   in Loop: Header=BB364_934 Depth=1
	s_delay_alu instid0(SALU_CYCLE_1)
	s_or_b32 exec_lo, exec_lo, s16
.LBB364_1048:                           ;   in Loop: Header=BB364_934 Depth=1
	s_delay_alu instid0(SALU_CYCLE_1) | instskip(SKIP_3) | instid1(VALU_DEP_2)
	s_or_b32 exec_lo, exec_lo, s15
	v_dual_lshrrev_b32 v30, 16, v19 :: v_dual_mov_b32 v8, 0
	v_mov_b32_e32 v9, 0
	s_mov_b32 s15, exec_lo
	v_and_b32_e32 v22, 0xff, v30
	s_delay_alu instid0(VALU_DEP_1)
	v_cmpx_ne_u16_e32 0, v22
	s_cbranch_execz .LBB364_1056
; %bb.1049:                             ;   in Loop: Header=BB364_934 Depth=1
	v_bfrev_b32_e32 v9, 1
	s_mov_b32 s16, exec_lo
	v_cmpx_ne_u16_e32 0x80, v22
	s_cbranch_execz .LBB364_1055
; %bb.1050:                             ;   in Loop: Header=BB364_934 Depth=1
	v_bfe_u32 v31, v19, 16, 7
	v_mov_b32_e32 v9, 0x7f800001
	s_mov_b32 s17, exec_lo
	s_delay_alu instid0(VALU_DEP_2)
	v_cmpx_ne_u32_e32 0x7f, v31
	s_cbranch_execz .LBB364_1054
; %bb.1051:                             ;   in Loop: Header=BB364_934 Depth=1
	v_dual_lshrrev_b32 v9, 3, v31 :: v_dual_bitop2_b32 v22, 7, v30 bitop3:0x40
	s_mov_b32 s18, exec_lo
	v_cmpx_gt_u32_e32 8, v31
; %bb.1052:                             ;   in Loop: Header=BB364_934 Depth=1
	s_delay_alu instid0(VALU_DEP_2) | instskip(NEXT) | instid1(VALU_DEP_1)
	v_clz_i32_u32_e32 v9, v22
	v_min_u32_e32 v9, 32, v9
	s_delay_alu instid0(VALU_DEP_1) | instskip(NEXT) | instid1(VALU_DEP_1)
	v_subrev_nc_u32_e32 v31, 28, v9
	v_lshlrev_b64_e32 v[32:33], v31, v[22:23]
	s_delay_alu instid0(VALU_DEP_1)
	v_dual_sub_nc_u32 v9, 29, v9 :: v_dual_bitop2_b32 v22, 7, v32 bitop3:0x40
; %bb.1053:                             ;   in Loop: Header=BB364_934 Depth=1
	s_or_b32 exec_lo, exec_lo, s18
	v_lshlrev_b32_e32 v30, 24, v30
	s_delay_alu instid0(VALU_DEP_2) | instskip(NEXT) | instid1(VALU_DEP_3)
	v_lshlrev_b32_e32 v22, 20, v22
	v_lshl_add_u32 v9, v9, 23, 0x3c000000
	s_delay_alu instid0(VALU_DEP_3) | instskip(NEXT) | instid1(VALU_DEP_1)
	v_and_b32_e32 v30, 0x80000000, v30
	v_or3_b32 v9, v22, v30, v9
.LBB364_1054:                           ;   in Loop: Header=BB364_934 Depth=1
	s_or_b32 exec_lo, exec_lo, s17
.LBB364_1055:                           ;   in Loop: Header=BB364_934 Depth=1
	s_delay_alu instid0(SALU_CYCLE_1)
	s_or_b32 exec_lo, exec_lo, s16
.LBB364_1056:                           ;   in Loop: Header=BB364_934 Depth=1
	s_delay_alu instid0(SALU_CYCLE_1) | instskip(NEXT) | instid1(SALU_CYCLE_1)
	s_or_b32 exec_lo, exec_lo, s15
	s_mov_b32 s15, exec_lo
	v_cmpx_lt_u64_e64 s[2:3], v[18:19]
	s_cbranch_execz .LBB364_1064
; %bb.1057:                             ;   in Loop: Header=BB364_934 Depth=1
	v_lshrrev_b32_e32 v18, 24, v19
	v_bfrev_b32_e32 v8, 1
	s_mov_b32 s16, exec_lo
	s_delay_alu instid0(VALU_DEP_2)
	v_cmpx_ne_u32_e32 0x80, v18
	s_cbranch_execz .LBB364_1063
; %bb.1058:                             ;   in Loop: Header=BB364_934 Depth=1
	v_bfe_u32 v19, v19, 24, 7
	v_mov_b32_e32 v8, 0x7f800001
	s_mov_b32 s17, exec_lo
	s_delay_alu instid0(VALU_DEP_2)
	v_cmpx_ne_u32_e32 0x7f, v19
	s_cbranch_execz .LBB364_1062
; %bb.1059:                             ;   in Loop: Header=BB364_934 Depth=1
	v_dual_lshrrev_b32 v8, 3, v19 :: v_dual_bitop2_b32 v22, 7, v18 bitop3:0x40
	s_mov_b32 s18, exec_lo
	v_cmpx_gt_u32_e32 8, v19
; %bb.1060:                             ;   in Loop: Header=BB364_934 Depth=1
	s_delay_alu instid0(VALU_DEP_2) | instskip(NEXT) | instid1(VALU_DEP_1)
	v_clz_i32_u32_e32 v8, v22
	v_min_u32_e32 v8, 32, v8
	s_delay_alu instid0(VALU_DEP_1) | instskip(NEXT) | instid1(VALU_DEP_1)
	v_subrev_nc_u32_e32 v19, 28, v8
	v_lshlrev_b64_e32 v[30:31], v19, v[22:23]
	s_delay_alu instid0(VALU_DEP_1)
	v_dual_sub_nc_u32 v8, 29, v8 :: v_dual_bitop2_b32 v22, 7, v30 bitop3:0x40
; %bb.1061:                             ;   in Loop: Header=BB364_934 Depth=1
	s_or_b32 exec_lo, exec_lo, s18
	v_lshlrev_b32_e32 v18, 24, v18
	s_delay_alu instid0(VALU_DEP_2) | instskip(NEXT) | instid1(VALU_DEP_3)
	v_lshlrev_b32_e32 v19, 20, v22
	v_lshl_add_u32 v8, v8, 23, 0x3c000000
	s_delay_alu instid0(VALU_DEP_3) | instskip(NEXT) | instid1(VALU_DEP_1)
	v_and_b32_e32 v18, 0x80000000, v18
	v_or3_b32 v8, v19, v18, v8
.LBB364_1062:                           ;   in Loop: Header=BB364_934 Depth=1
	s_or_b32 exec_lo, exec_lo, s17
.LBB364_1063:                           ;   in Loop: Header=BB364_934 Depth=1
	s_delay_alu instid0(SALU_CYCLE_1)
	s_or_b32 exec_lo, exec_lo, s16
.LBB364_1064:                           ;   in Loop: Header=BB364_934 Depth=1
	s_delay_alu instid0(SALU_CYCLE_1)
	s_or_b32 exec_lo, exec_lo, s15
	v_fma_mixlo_bf16 v2, v37, v2, 0
	v_fma_mixlo_bf16 v7, v37, v7, 0
	;; [unrolled: 1-line block ×5, first 2 shown]
	scratch_store_b32 off, v2, s32 offset:308 ; 4-byte Folded Spill
	s_wait_xcnt 0x0
	v_fma_mixlo_bf16 v2, v37, v9, 0
	s_clause 0x1
	scratch_store_b32 off, v7, s32 offset:252
	scratch_store_b32 off, v6, s32 offset:260
	v_fma_mixlo_bf16 v3, v37, v3, 0
	s_clause 0x1
	scratch_store_b32 off, v5, s32 offset:284
	scratch_store_b32 off, v2, s32 offset:268
	s_wait_xcnt 0x0
	v_fma_mixlo_bf16 v2, v37, v8, 0
	s_clause 0x2
	scratch_store_b32 off, v4, s32 offset:292
	scratch_store_b32 off, v3, s32 offset:300
	;; [unrolled: 1-line block ×3, first 2 shown]
	s_wait_xcnt 0x0
	s_and_saveexec_b32 s15, vcc_lo
	s_cbranch_execz .LBB364_1066
; %bb.1065:                             ;   in Loop: Header=BB364_934 Depth=1
	scratch_load_b32 v2, off, s32 offset:308 ; 4-byte Folded Reload
	v_cmp_lt_i32_e64 s0, v83, v106
	s_wait_loadcnt 0x0
	s_delay_alu instid0(VALU_DEP_1)
	v_cndmask_b32_e64 v2, 0, v2, s0
	v_cmp_lt_i32_e64 s0, v87, v106
	s_clause 0x1
	scratch_store_b32 off, v2, s32 offset:308
	scratch_load_b32 v2, off, s32 offset:300
	s_wait_loadcnt 0x0
	v_cndmask_b32_e64 v2, 0, v2, s0
	v_cmp_lt_i32_e64 s0, v86, v106
	s_clause 0x1
	scratch_store_b32 off, v2, s32 offset:300
	scratch_load_b32 v2, off, s32 offset:292
	s_wait_loadcnt 0x0
	;; [unrolled: 6-line block ×7, first 2 shown]
	v_cndmask_b32_e64 v2, 0, v2, s0
	scratch_store_b32 off, v2, s32 offset:276 ; 4-byte Folded Spill
.LBB364_1066:                           ;   in Loop: Header=BB364_934 Depth=1
	s_wait_xcnt 0x0
	s_or_b32 exec_lo, exec_lo, s15
	flat_load_b64 v[18:19], v[0:1] offset:512
	v_dual_mov_b32 v3, 0 :: v_dual_mov_b32 v2, 0
	s_mov_b32 s15, exec_lo
	s_wait_loadcnt_dscnt 0x0
	v_and_b32_e32 v4, 0xff, v18
	s_wait_xcnt 0x0
	s_delay_alu instid0(VALU_DEP_1)
	v_cmpx_ne_u16_e32 0, v4
	s_cbranch_execz .LBB364_1074
; %bb.1067:                             ;   in Loop: Header=BB364_934 Depth=1
	v_bfrev_b32_e32 v2, 1
	s_mov_b32 s16, exec_lo
	v_cmpx_ne_u16_e32 0x80, v4
	s_cbranch_execz .LBB364_1073
; %bb.1068:                             ;   in Loop: Header=BB364_934 Depth=1
	v_and_b32_e32 v4, 0x7f, v18
	v_mov_b32_e32 v2, 0x7f800001
	s_mov_b32 s17, exec_lo
	s_delay_alu instid0(VALU_DEP_2)
	v_cmpx_ne_u32_e32 0x7f, v4
	s_cbranch_execz .LBB364_1072
; %bb.1069:                             ;   in Loop: Header=BB364_934 Depth=1
	v_mov_b64_e32 v[32:33], v[18:19]
	v_lshrrev_b32_e32 v2, 3, v4
	s_mov_b32 s18, exec_lo
	v_cmpx_gt_u32_e32 8, v4
; %bb.1070:                             ;   in Loop: Header=BB364_934 Depth=1
	v_and_b32_e32 v2, 7, v18
	s_delay_alu instid0(VALU_DEP_1) | instskip(NEXT) | instid1(VALU_DEP_1)
	v_clz_i32_u32_e32 v2, v2
	v_min_u32_e32 v2, 32, v2
	s_delay_alu instid0(VALU_DEP_1) | instskip(SKIP_1) | instid1(VALU_DEP_2)
	v_subrev_nc_u32_e32 v4, 28, v2
	v_sub_nc_u32_e32 v2, 29, v2
	v_lshlrev_b64_e32 v[32:33], v4, v[18:19]
; %bb.1071:                             ;   in Loop: Header=BB364_934 Depth=1
	s_or_b32 exec_lo, exec_lo, s18
	s_delay_alu instid0(VALU_DEP_1) | instskip(NEXT) | instid1(VALU_DEP_3)
	v_dual_lshlrev_b32 v4, 20, v32 :: v_dual_lshlrev_b32 v5, 24, v18
	v_lshl_add_u32 v2, v2, 23, 0x3c000000
	s_delay_alu instid0(VALU_DEP_2) | instskip(NEXT) | instid1(VALU_DEP_3)
	v_and_b32_e32 v4, 0x700000, v4
	v_and_b32_e32 v5, 0x80000000, v5
	s_delay_alu instid0(VALU_DEP_1)
	v_or3_b32 v2, v4, v5, v2
.LBB364_1072:                           ;   in Loop: Header=BB364_934 Depth=1
	s_or_b32 exec_lo, exec_lo, s17
.LBB364_1073:                           ;   in Loop: Header=BB364_934 Depth=1
	s_delay_alu instid0(SALU_CYCLE_1)
	s_or_b32 exec_lo, exec_lo, s16
.LBB364_1074:                           ;   in Loop: Header=BB364_934 Depth=1
	s_delay_alu instid0(SALU_CYCLE_1) | instskip(SKIP_2) | instid1(VALU_DEP_1)
	s_or_b32 exec_lo, exec_lo, s15
	v_lshrrev_b16 v4, 8, v18
	s_mov_b32 s15, exec_lo
	v_cmpx_ne_u16_e32 0, v4
	s_cbranch_execz .LBB364_1082
; %bb.1075:                             ;   in Loop: Header=BB364_934 Depth=1
	v_bfrev_b32_e32 v3, 1
	s_mov_b32 s16, exec_lo
	v_cmpx_ne_u16_e32 0x80, v4
	s_cbranch_execz .LBB364_1081
; %bb.1076:                             ;   in Loop: Header=BB364_934 Depth=1
	v_and_b32_e32 v5, 0xffff, v4
	v_mov_b32_e32 v3, 0x7f800001
	s_mov_b32 s17, exec_lo
	s_delay_alu instid0(VALU_DEP_2) | instskip(NEXT) | instid1(VALU_DEP_1)
	v_and_b32_e32 v4, 0x7f, v5
	v_cmpx_ne_u32_e32 0x7f, v4
	s_cbranch_execz .LBB364_1080
; %bb.1077:                             ;   in Loop: Header=BB364_934 Depth=1
	v_dual_lshrrev_b32 v3, 3, v4 :: v_dual_bitop2_b32 v22, 7, v5 bitop3:0x40
	s_mov_b32 s18, exec_lo
	v_cmpx_gt_u32_e32 8, v4
; %bb.1078:                             ;   in Loop: Header=BB364_934 Depth=1
	s_delay_alu instid0(VALU_DEP_2) | instskip(NEXT) | instid1(VALU_DEP_1)
	v_clz_i32_u32_e32 v3, v22
	v_min_u32_e32 v3, 32, v3
	s_delay_alu instid0(VALU_DEP_1) | instskip(NEXT) | instid1(VALU_DEP_1)
	v_subrev_nc_u32_e32 v4, 28, v3
	v_lshlrev_b64_e32 v[4:5], v4, v[22:23]
	s_delay_alu instid0(VALU_DEP_1)
	v_dual_sub_nc_u32 v3, 29, v3 :: v_dual_bitop2_b32 v22, 7, v4 bitop3:0x40
; %bb.1079:                             ;   in Loop: Header=BB364_934 Depth=1
	s_or_b32 exec_lo, exec_lo, s18
	v_lshlrev_b32_e32 v4, 16, v18
	s_delay_alu instid0(VALU_DEP_2) | instskip(NEXT) | instid1(VALU_DEP_3)
	v_lshlrev_b32_e32 v5, 20, v22
	v_lshl_add_u32 v3, v3, 23, 0x3c000000
	s_delay_alu instid0(VALU_DEP_3) | instskip(NEXT) | instid1(VALU_DEP_1)
	v_and_b32_e32 v4, 0x80000000, v4
	v_or3_b32 v3, v5, v4, v3
.LBB364_1080:                           ;   in Loop: Header=BB364_934 Depth=1
	s_or_b32 exec_lo, exec_lo, s17
.LBB364_1081:                           ;   in Loop: Header=BB364_934 Depth=1
	s_delay_alu instid0(SALU_CYCLE_1)
	s_or_b32 exec_lo, exec_lo, s16
.LBB364_1082:                           ;   in Loop: Header=BB364_934 Depth=1
	s_delay_alu instid0(SALU_CYCLE_1) | instskip(SKIP_3) | instid1(VALU_DEP_2)
	s_or_b32 exec_lo, exec_lo, s15
	v_dual_mov_b32 v5, 0 :: v_dual_lshrrev_b32 v6, 16, v18
	v_mov_b32_e32 v4, 0
	s_mov_b32 s15, exec_lo
	v_and_b32_e32 v7, 0xff, v6
	s_delay_alu instid0(VALU_DEP_1)
	v_cmpx_ne_u16_e32 0, v7
	s_cbranch_execz .LBB364_1090
; %bb.1083:                             ;   in Loop: Header=BB364_934 Depth=1
	v_bfrev_b32_e32 v4, 1
	s_mov_b32 s16, exec_lo
	v_cmpx_ne_u16_e32 0x80, v7
	s_cbranch_execz .LBB364_1089
; %bb.1084:                             ;   in Loop: Header=BB364_934 Depth=1
	v_bfe_u32 v7, v18, 16, 7
	v_mov_b32_e32 v4, 0x7f800001
	s_mov_b32 s17, exec_lo
	s_delay_alu instid0(VALU_DEP_2)
	v_cmpx_ne_u32_e32 0x7f, v7
	s_cbranch_execz .LBB364_1088
; %bb.1085:                             ;   in Loop: Header=BB364_934 Depth=1
	v_dual_lshrrev_b32 v4, 3, v7 :: v_dual_bitop2_b32 v22, 7, v6 bitop3:0x40
	s_mov_b32 s18, exec_lo
	v_cmpx_gt_u32_e32 8, v7
; %bb.1086:                             ;   in Loop: Header=BB364_934 Depth=1
	s_delay_alu instid0(VALU_DEP_2) | instskip(NEXT) | instid1(VALU_DEP_1)
	v_clz_i32_u32_e32 v4, v22
	v_min_u32_e32 v4, 32, v4
	s_delay_alu instid0(VALU_DEP_1) | instskip(SKIP_1) | instid1(VALU_DEP_2)
	v_subrev_nc_u32_e32 v7, 28, v4
	v_sub_nc_u32_e32 v4, 29, v4
	v_lshlrev_b64_e32 v[8:9], v7, v[22:23]
	s_delay_alu instid0(VALU_DEP_1)
	v_and_b32_e32 v22, 7, v8
; %bb.1087:                             ;   in Loop: Header=BB364_934 Depth=1
	s_or_b32 exec_lo, exec_lo, s18
	v_lshlrev_b32_e32 v6, 24, v6
	s_delay_alu instid0(VALU_DEP_2) | instskip(SKIP_1) | instid1(VALU_DEP_3)
	v_lshlrev_b32_e32 v7, 20, v22
	v_lshl_add_u32 v4, v4, 23, 0x3c000000
	v_and_b32_e32 v6, 0x80000000, v6
	s_delay_alu instid0(VALU_DEP_1)
	v_or3_b32 v4, v7, v6, v4
.LBB364_1088:                           ;   in Loop: Header=BB364_934 Depth=1
	s_or_b32 exec_lo, exec_lo, s17
.LBB364_1089:                           ;   in Loop: Header=BB364_934 Depth=1
	s_delay_alu instid0(SALU_CYCLE_1)
	s_or_b32 exec_lo, exec_lo, s16
.LBB364_1090:                           ;   in Loop: Header=BB364_934 Depth=1
	s_delay_alu instid0(SALU_CYCLE_1) | instskip(NEXT) | instid1(SALU_CYCLE_1)
	s_or_b32 exec_lo, exec_lo, s15
	s_mov_b32 s15, exec_lo
	v_cmpx_lt_u32_e32 0xffffff, v18
	s_cbranch_execz .LBB364_1098
; %bb.1091:                             ;   in Loop: Header=BB364_934 Depth=1
	v_lshrrev_b32_e32 v6, 24, v18
	v_bfrev_b32_e32 v5, 1
	s_mov_b32 s16, exec_lo
	s_delay_alu instid0(VALU_DEP_2)
	v_cmpx_ne_u32_e32 0x80, v6
	s_cbranch_execz .LBB364_1097
; %bb.1092:                             ;   in Loop: Header=BB364_934 Depth=1
	v_bfe_u32 v7, v18, 24, 7
	v_mov_b32_e32 v5, 0x7f800001
	s_mov_b32 s17, exec_lo
	s_delay_alu instid0(VALU_DEP_2)
	v_cmpx_ne_u32_e32 0x7f, v7
	s_cbranch_execz .LBB364_1096
; %bb.1093:                             ;   in Loop: Header=BB364_934 Depth=1
	v_dual_lshrrev_b32 v5, 3, v7 :: v_dual_bitop2_b32 v22, 7, v6 bitop3:0x40
	s_mov_b32 s18, exec_lo
	v_cmpx_gt_u32_e32 8, v7
; %bb.1094:                             ;   in Loop: Header=BB364_934 Depth=1
	s_delay_alu instid0(VALU_DEP_2) | instskip(NEXT) | instid1(VALU_DEP_1)
	v_clz_i32_u32_e32 v5, v22
	v_min_u32_e32 v5, 32, v5
	s_delay_alu instid0(VALU_DEP_1) | instskip(NEXT) | instid1(VALU_DEP_1)
	v_subrev_nc_u32_e32 v7, 28, v5
	v_lshlrev_b64_e32 v[8:9], v7, v[22:23]
	s_delay_alu instid0(VALU_DEP_1)
	v_dual_sub_nc_u32 v5, 29, v5 :: v_dual_bitop2_b32 v22, 7, v8 bitop3:0x40
; %bb.1095:                             ;   in Loop: Header=BB364_934 Depth=1
	s_or_b32 exec_lo, exec_lo, s18
	v_lshlrev_b32_e32 v6, 24, v6
	s_delay_alu instid0(VALU_DEP_2) | instskip(NEXT) | instid1(VALU_DEP_3)
	v_lshlrev_b32_e32 v7, 20, v22
	v_lshl_add_u32 v5, v5, 23, 0x3c000000
	s_delay_alu instid0(VALU_DEP_3) | instskip(NEXT) | instid1(VALU_DEP_1)
	v_and_b32_e32 v6, 0x80000000, v6
	v_or3_b32 v5, v7, v6, v5
.LBB364_1096:                           ;   in Loop: Header=BB364_934 Depth=1
	s_or_b32 exec_lo, exec_lo, s17
.LBB364_1097:                           ;   in Loop: Header=BB364_934 Depth=1
	s_delay_alu instid0(SALU_CYCLE_1)
	s_or_b32 exec_lo, exec_lo, s16
.LBB364_1098:                           ;   in Loop: Header=BB364_934 Depth=1
	s_delay_alu instid0(SALU_CYCLE_1) | instskip(SKIP_4) | instid1(VALU_DEP_3)
	s_or_b32 exec_lo, exec_lo, s15
	v_and_b32_e32 v8, 0xff, v19
	v_dual_mov_b32 v22, v19 :: v_dual_mov_b32 v7, 0
	v_mov_b32_e32 v6, 0
	s_mov_b32 s15, exec_lo
	v_cmpx_ne_u16_e32 0, v8
	s_cbranch_execz .LBB364_1106
; %bb.1099:                             ;   in Loop: Header=BB364_934 Depth=1
	v_bfrev_b32_e32 v6, 1
	s_mov_b32 s16, exec_lo
	v_cmpx_ne_u16_e32 0x80, v8
	s_cbranch_execz .LBB364_1105
; %bb.1100:                             ;   in Loop: Header=BB364_934 Depth=1
	v_and_b32_e32 v8, 0x7f, v19
	v_mov_b32_e32 v6, 0x7f800001
	s_mov_b32 s17, exec_lo
	s_delay_alu instid0(VALU_DEP_2)
	v_cmpx_ne_u32_e32 0x7f, v8
	s_cbranch_execz .LBB364_1104
; %bb.1101:                             ;   in Loop: Header=BB364_934 Depth=1
	v_mov_b64_e32 v[32:33], v[22:23]
	v_lshrrev_b32_e32 v6, 3, v8
	s_mov_b32 s18, exec_lo
	v_cmpx_gt_u32_e32 8, v8
; %bb.1102:                             ;   in Loop: Header=BB364_934 Depth=1
	v_and_b32_e32 v6, 7, v19
	s_delay_alu instid0(VALU_DEP_1) | instskip(NEXT) | instid1(VALU_DEP_1)
	v_clz_i32_u32_e32 v6, v6
	v_min_u32_e32 v6, 32, v6
	s_delay_alu instid0(VALU_DEP_1) | instskip(SKIP_1) | instid1(VALU_DEP_2)
	v_subrev_nc_u32_e32 v8, 28, v6
	v_sub_nc_u32_e32 v6, 29, v6
	v_lshlrev_b64_e32 v[32:33], v8, v[22:23]
; %bb.1103:                             ;   in Loop: Header=BB364_934 Depth=1
	s_or_b32 exec_lo, exec_lo, s18
	s_delay_alu instid0(VALU_DEP_1) | instskip(NEXT) | instid1(VALU_DEP_3)
	v_dual_lshlrev_b32 v8, 20, v32 :: v_dual_lshlrev_b32 v9, 24, v22
	v_lshl_add_u32 v6, v6, 23, 0x3c000000
	s_delay_alu instid0(VALU_DEP_2) | instskip(NEXT) | instid1(VALU_DEP_3)
	v_and_b32_e32 v8, 0x700000, v8
	v_and_b32_e32 v9, 0x80000000, v9
	s_delay_alu instid0(VALU_DEP_1)
	v_or3_b32 v6, v8, v9, v6
.LBB364_1104:                           ;   in Loop: Header=BB364_934 Depth=1
	s_or_b32 exec_lo, exec_lo, s17
.LBB364_1105:                           ;   in Loop: Header=BB364_934 Depth=1
	s_delay_alu instid0(SALU_CYCLE_1)
	s_or_b32 exec_lo, exec_lo, s16
.LBB364_1106:                           ;   in Loop: Header=BB364_934 Depth=1
	s_delay_alu instid0(SALU_CYCLE_1) | instskip(SKIP_2) | instid1(VALU_DEP_1)
	s_or_b32 exec_lo, exec_lo, s15
	v_lshrrev_b16 v8, 8, v22
	s_mov_b32 s15, exec_lo
	v_cmpx_ne_u16_e32 0, v8
	s_cbranch_execz .LBB364_1114
; %bb.1107:                             ;   in Loop: Header=BB364_934 Depth=1
	v_bfrev_b32_e32 v7, 1
	s_mov_b32 s16, exec_lo
	v_cmpx_ne_u16_e32 0x80, v8
	s_cbranch_execz .LBB364_1113
; %bb.1108:                             ;   in Loop: Header=BB364_934 Depth=1
	v_and_b32_e32 v9, 0xffff, v8
	v_mov_b32_e32 v7, 0x7f800001
	s_mov_b32 s17, exec_lo
	s_delay_alu instid0(VALU_DEP_2) | instskip(NEXT) | instid1(VALU_DEP_1)
	v_and_b32_e32 v8, 0x7f, v9
	v_cmpx_ne_u32_e32 0x7f, v8
	s_cbranch_execz .LBB364_1112
; %bb.1109:                             ;   in Loop: Header=BB364_934 Depth=1
	v_dual_mov_b32 v33, v23 :: v_dual_bitop2_b32 v32, 7, v9 bitop3:0x40
	v_lshrrev_b32_e32 v7, 3, v8
	s_mov_b32 s18, exec_lo
	v_cmpx_gt_u32_e32 8, v8
; %bb.1110:                             ;   in Loop: Header=BB364_934 Depth=1
	s_delay_alu instid0(VALU_DEP_3) | instskip(NEXT) | instid1(VALU_DEP_1)
	v_clz_i32_u32_e32 v7, v32
	v_min_u32_e32 v7, 32, v7
	s_delay_alu instid0(VALU_DEP_1) | instskip(NEXT) | instid1(VALU_DEP_1)
	v_subrev_nc_u32_e32 v8, 28, v7
	v_lshlrev_b64_e32 v[8:9], v8, v[32:33]
	s_delay_alu instid0(VALU_DEP_1)
	v_dual_sub_nc_u32 v7, 29, v7 :: v_dual_bitop2_b32 v32, 7, v8 bitop3:0x40
; %bb.1111:                             ;   in Loop: Header=BB364_934 Depth=1
	s_or_b32 exec_lo, exec_lo, s18
	s_delay_alu instid0(VALU_DEP_1) | instskip(NEXT) | instid1(VALU_DEP_2)
	v_dual_lshlrev_b32 v8, 16, v22 :: v_dual_lshlrev_b32 v9, 20, v32
	v_lshl_add_u32 v7, v7, 23, 0x3c000000
	s_delay_alu instid0(VALU_DEP_2) | instskip(NEXT) | instid1(VALU_DEP_1)
	v_and_b32_e32 v8, 0x80000000, v8
	v_or3_b32 v7, v9, v8, v7
.LBB364_1112:                           ;   in Loop: Header=BB364_934 Depth=1
	s_or_b32 exec_lo, exec_lo, s17
.LBB364_1113:                           ;   in Loop: Header=BB364_934 Depth=1
	s_delay_alu instid0(SALU_CYCLE_1)
	s_or_b32 exec_lo, exec_lo, s16
.LBB364_1114:                           ;   in Loop: Header=BB364_934 Depth=1
	s_delay_alu instid0(SALU_CYCLE_1) | instskip(SKIP_3) | instid1(VALU_DEP_2)
	s_or_b32 exec_lo, exec_lo, s15
	v_dual_lshrrev_b32 v30, 16, v19 :: v_dual_mov_b32 v8, 0
	v_mov_b32_e32 v9, 0
	s_mov_b32 s15, exec_lo
	v_and_b32_e32 v22, 0xff, v30
	s_delay_alu instid0(VALU_DEP_1)
	v_cmpx_ne_u16_e32 0, v22
	s_cbranch_execz .LBB364_1122
; %bb.1115:                             ;   in Loop: Header=BB364_934 Depth=1
	v_bfrev_b32_e32 v9, 1
	s_mov_b32 s16, exec_lo
	v_cmpx_ne_u16_e32 0x80, v22
	s_cbranch_execz .LBB364_1121
; %bb.1116:                             ;   in Loop: Header=BB364_934 Depth=1
	v_bfe_u32 v31, v19, 16, 7
	v_mov_b32_e32 v9, 0x7f800001
	s_mov_b32 s17, exec_lo
	s_delay_alu instid0(VALU_DEP_2)
	v_cmpx_ne_u32_e32 0x7f, v31
	s_cbranch_execz .LBB364_1120
; %bb.1117:                             ;   in Loop: Header=BB364_934 Depth=1
	v_dual_lshrrev_b32 v9, 3, v31 :: v_dual_bitop2_b32 v22, 7, v30 bitop3:0x40
	s_mov_b32 s18, exec_lo
	v_cmpx_gt_u32_e32 8, v31
; %bb.1118:                             ;   in Loop: Header=BB364_934 Depth=1
	s_delay_alu instid0(VALU_DEP_2) | instskip(NEXT) | instid1(VALU_DEP_1)
	v_clz_i32_u32_e32 v9, v22
	v_min_u32_e32 v9, 32, v9
	s_delay_alu instid0(VALU_DEP_1) | instskip(NEXT) | instid1(VALU_DEP_1)
	v_subrev_nc_u32_e32 v31, 28, v9
	v_lshlrev_b64_e32 v[32:33], v31, v[22:23]
	s_delay_alu instid0(VALU_DEP_1)
	v_dual_sub_nc_u32 v9, 29, v9 :: v_dual_bitop2_b32 v22, 7, v32 bitop3:0x40
; %bb.1119:                             ;   in Loop: Header=BB364_934 Depth=1
	s_or_b32 exec_lo, exec_lo, s18
	v_lshlrev_b32_e32 v30, 24, v30
	s_delay_alu instid0(VALU_DEP_2) | instskip(NEXT) | instid1(VALU_DEP_3)
	v_lshlrev_b32_e32 v22, 20, v22
	v_lshl_add_u32 v9, v9, 23, 0x3c000000
	s_delay_alu instid0(VALU_DEP_3) | instskip(NEXT) | instid1(VALU_DEP_1)
	v_and_b32_e32 v30, 0x80000000, v30
	v_or3_b32 v9, v22, v30, v9
.LBB364_1120:                           ;   in Loop: Header=BB364_934 Depth=1
	s_or_b32 exec_lo, exec_lo, s17
.LBB364_1121:                           ;   in Loop: Header=BB364_934 Depth=1
	s_delay_alu instid0(SALU_CYCLE_1)
	s_or_b32 exec_lo, exec_lo, s16
.LBB364_1122:                           ;   in Loop: Header=BB364_934 Depth=1
	s_delay_alu instid0(SALU_CYCLE_1) | instskip(NEXT) | instid1(SALU_CYCLE_1)
	s_or_b32 exec_lo, exec_lo, s15
	s_mov_b32 s15, exec_lo
	v_cmpx_lt_u64_e64 s[2:3], v[18:19]
	s_cbranch_execz .LBB364_1130
; %bb.1123:                             ;   in Loop: Header=BB364_934 Depth=1
	v_lshrrev_b32_e32 v18, 24, v19
	v_bfrev_b32_e32 v8, 1
	s_mov_b32 s16, exec_lo
	s_delay_alu instid0(VALU_DEP_2)
	v_cmpx_ne_u32_e32 0x80, v18
	s_cbranch_execz .LBB364_1129
; %bb.1124:                             ;   in Loop: Header=BB364_934 Depth=1
	v_bfe_u32 v19, v19, 24, 7
	v_mov_b32_e32 v8, 0x7f800001
	s_mov_b32 s17, exec_lo
	s_delay_alu instid0(VALU_DEP_2)
	v_cmpx_ne_u32_e32 0x7f, v19
	s_cbranch_execz .LBB364_1128
; %bb.1125:                             ;   in Loop: Header=BB364_934 Depth=1
	v_dual_lshrrev_b32 v8, 3, v19 :: v_dual_bitop2_b32 v22, 7, v18 bitop3:0x40
	s_mov_b32 s18, exec_lo
	v_cmpx_gt_u32_e32 8, v19
; %bb.1126:                             ;   in Loop: Header=BB364_934 Depth=1
	s_delay_alu instid0(VALU_DEP_2) | instskip(NEXT) | instid1(VALU_DEP_1)
	v_clz_i32_u32_e32 v8, v22
	v_min_u32_e32 v8, 32, v8
	s_delay_alu instid0(VALU_DEP_1) | instskip(NEXT) | instid1(VALU_DEP_1)
	v_subrev_nc_u32_e32 v19, 28, v8
	v_lshlrev_b64_e32 v[30:31], v19, v[22:23]
	s_delay_alu instid0(VALU_DEP_1)
	v_dual_sub_nc_u32 v8, 29, v8 :: v_dual_bitop2_b32 v22, 7, v30 bitop3:0x40
; %bb.1127:                             ;   in Loop: Header=BB364_934 Depth=1
	s_or_b32 exec_lo, exec_lo, s18
	v_lshlrev_b32_e32 v18, 24, v18
	s_delay_alu instid0(VALU_DEP_2) | instskip(NEXT) | instid1(VALU_DEP_3)
	v_lshlrev_b32_e32 v19, 20, v22
	v_lshl_add_u32 v8, v8, 23, 0x3c000000
	s_delay_alu instid0(VALU_DEP_3) | instskip(NEXT) | instid1(VALU_DEP_1)
	v_and_b32_e32 v18, 0x80000000, v18
	v_or3_b32 v8, v19, v18, v8
.LBB364_1128:                           ;   in Loop: Header=BB364_934 Depth=1
	s_or_b32 exec_lo, exec_lo, s17
.LBB364_1129:                           ;   in Loop: Header=BB364_934 Depth=1
	s_delay_alu instid0(SALU_CYCLE_1)
	s_or_b32 exec_lo, exec_lo, s16
.LBB364_1130:                           ;   in Loop: Header=BB364_934 Depth=1
	s_delay_alu instid0(SALU_CYCLE_1)
	s_or_b32 exec_lo, exec_lo, s15
	v_fma_mixlo_bf16 v7, v37, v7, 0
	v_fma_mixlo_bf16 v6, v37, v6, 0
	;; [unrolled: 1-line block ×5, first 2 shown]
	s_clause 0x2
	scratch_store_b32 off, v7, s32 offset:316
	scratch_store_b32 off, v6, s32 offset:324
	scratch_store_b32 off, v5, s32 offset:348
	v_fma_mixlo_bf16 v4, v37, v4, 0
	v_fma_mixlo_bf16 v102, v37, v3, 0
	scratch_store_b32 off, v2, s32 offset:332 ; 4-byte Folded Spill
	s_wait_xcnt 0x0
	v_fma_mixlo_bf16 v2, v37, v8, 0
	s_clause 0x1
	scratch_store_b32 off, v4, s32 offset:356
	scratch_store_b32 off, v2, s32 offset:340
	s_wait_xcnt 0x0
	s_and_saveexec_b32 s15, vcc_lo
	s_cbranch_execz .LBB364_1132
; %bb.1131:                             ;   in Loop: Header=BB364_934 Depth=1
	scratch_load_b32 v2, off, s32 offset:356 ; 4-byte Folded Reload
	v_cmp_lt_i32_e64 s0, v83, v106
	s_delay_alu instid0(VALU_DEP_1) | instskip(SKIP_1) | instid1(VALU_DEP_1)
	v_cndmask_b32_e64 v103, 0, v103, s0
	v_cmp_lt_i32_e64 s0, v87, v106
	v_cndmask_b32_e64 v102, 0, v102, s0
	v_cmp_lt_i32_e64 s0, v86, v106
	s_wait_loadcnt 0x0
	s_delay_alu instid0(VALU_DEP_1)
	v_cndmask_b32_e64 v2, 0, v2, s0
	v_cmp_lt_i32_e64 s0, v85, v106
	s_clause 0x1
	scratch_store_b32 off, v2, s32 offset:356
	scratch_load_b32 v2, off, s32 offset:348
	s_wait_loadcnt 0x0
	v_cndmask_b32_e64 v2, 0, v2, s0
	v_cmp_lt_i32_e64 s0, v84, v106
	s_clause 0x1
	scratch_store_b32 off, v2, s32 offset:348
	scratch_load_b32 v2, off, s32 offset:324
	s_wait_loadcnt 0x0
	;; [unrolled: 6-line block ×5, first 2 shown]
	v_cndmask_b32_e64 v2, 0, v2, s0
	scratch_store_b32 off, v2, s32 offset:340 ; 4-byte Folded Spill
.LBB364_1132:                           ;   in Loop: Header=BB364_934 Depth=1
	s_wait_xcnt 0x0
	s_or_b32 exec_lo, exec_lo, s15
	flat_load_b64 v[18:19], v[0:1] offset:768
	v_dual_mov_b32 v3, 0 :: v_dual_mov_b32 v2, 0
	s_mov_b32 s15, exec_lo
	s_wait_loadcnt_dscnt 0x0
	v_and_b32_e32 v4, 0xff, v18
	s_wait_xcnt 0x0
	s_delay_alu instid0(VALU_DEP_1)
	v_cmpx_ne_u16_e32 0, v4
	s_cbranch_execz .LBB364_1140
; %bb.1133:                             ;   in Loop: Header=BB364_934 Depth=1
	v_bfrev_b32_e32 v2, 1
	s_mov_b32 s16, exec_lo
	v_cmpx_ne_u16_e32 0x80, v4
	s_cbranch_execz .LBB364_1139
; %bb.1134:                             ;   in Loop: Header=BB364_934 Depth=1
	v_and_b32_e32 v4, 0x7f, v18
	v_mov_b32_e32 v2, 0x7f800001
	s_mov_b32 s17, exec_lo
	s_delay_alu instid0(VALU_DEP_2)
	v_cmpx_ne_u32_e32 0x7f, v4
	s_cbranch_execz .LBB364_1138
; %bb.1135:                             ;   in Loop: Header=BB364_934 Depth=1
	v_mov_b64_e32 v[32:33], v[18:19]
	v_lshrrev_b32_e32 v2, 3, v4
	s_mov_b32 s18, exec_lo
	v_cmpx_gt_u32_e32 8, v4
; %bb.1136:                             ;   in Loop: Header=BB364_934 Depth=1
	v_and_b32_e32 v2, 7, v18
	s_delay_alu instid0(VALU_DEP_1) | instskip(NEXT) | instid1(VALU_DEP_1)
	v_clz_i32_u32_e32 v2, v2
	v_min_u32_e32 v2, 32, v2
	s_delay_alu instid0(VALU_DEP_1) | instskip(SKIP_1) | instid1(VALU_DEP_2)
	v_subrev_nc_u32_e32 v4, 28, v2
	v_sub_nc_u32_e32 v2, 29, v2
	v_lshlrev_b64_e32 v[32:33], v4, v[18:19]
; %bb.1137:                             ;   in Loop: Header=BB364_934 Depth=1
	s_or_b32 exec_lo, exec_lo, s18
	s_delay_alu instid0(VALU_DEP_1) | instskip(NEXT) | instid1(VALU_DEP_3)
	v_dual_lshlrev_b32 v4, 20, v32 :: v_dual_lshlrev_b32 v5, 24, v18
	v_lshl_add_u32 v2, v2, 23, 0x3c000000
	s_delay_alu instid0(VALU_DEP_2) | instskip(NEXT) | instid1(VALU_DEP_3)
	v_and_b32_e32 v4, 0x700000, v4
	v_and_b32_e32 v5, 0x80000000, v5
	s_delay_alu instid0(VALU_DEP_1)
	v_or3_b32 v2, v4, v5, v2
.LBB364_1138:                           ;   in Loop: Header=BB364_934 Depth=1
	s_or_b32 exec_lo, exec_lo, s17
.LBB364_1139:                           ;   in Loop: Header=BB364_934 Depth=1
	s_delay_alu instid0(SALU_CYCLE_1)
	s_or_b32 exec_lo, exec_lo, s16
.LBB364_1140:                           ;   in Loop: Header=BB364_934 Depth=1
	s_delay_alu instid0(SALU_CYCLE_1) | instskip(SKIP_2) | instid1(VALU_DEP_1)
	s_or_b32 exec_lo, exec_lo, s15
	v_lshrrev_b16 v4, 8, v18
	s_mov_b32 s15, exec_lo
	v_cmpx_ne_u16_e32 0, v4
	s_cbranch_execz .LBB364_1148
; %bb.1141:                             ;   in Loop: Header=BB364_934 Depth=1
	v_bfrev_b32_e32 v3, 1
	s_mov_b32 s16, exec_lo
	v_cmpx_ne_u16_e32 0x80, v4
	s_cbranch_execz .LBB364_1147
; %bb.1142:                             ;   in Loop: Header=BB364_934 Depth=1
	v_and_b32_e32 v5, 0xffff, v4
	v_mov_b32_e32 v3, 0x7f800001
	s_mov_b32 s17, exec_lo
	s_delay_alu instid0(VALU_DEP_2) | instskip(NEXT) | instid1(VALU_DEP_1)
	v_and_b32_e32 v4, 0x7f, v5
	v_cmpx_ne_u32_e32 0x7f, v4
	s_cbranch_execz .LBB364_1146
; %bb.1143:                             ;   in Loop: Header=BB364_934 Depth=1
	v_dual_lshrrev_b32 v3, 3, v4 :: v_dual_bitop2_b32 v22, 7, v5 bitop3:0x40
	s_mov_b32 s18, exec_lo
	v_cmpx_gt_u32_e32 8, v4
; %bb.1144:                             ;   in Loop: Header=BB364_934 Depth=1
	s_delay_alu instid0(VALU_DEP_2) | instskip(NEXT) | instid1(VALU_DEP_1)
	v_clz_i32_u32_e32 v3, v22
	v_min_u32_e32 v3, 32, v3
	s_delay_alu instid0(VALU_DEP_1) | instskip(NEXT) | instid1(VALU_DEP_1)
	v_subrev_nc_u32_e32 v4, 28, v3
	v_lshlrev_b64_e32 v[4:5], v4, v[22:23]
	s_delay_alu instid0(VALU_DEP_1)
	v_dual_sub_nc_u32 v3, 29, v3 :: v_dual_bitop2_b32 v22, 7, v4 bitop3:0x40
; %bb.1145:                             ;   in Loop: Header=BB364_934 Depth=1
	s_or_b32 exec_lo, exec_lo, s18
	v_lshlrev_b32_e32 v4, 16, v18
	s_delay_alu instid0(VALU_DEP_2) | instskip(NEXT) | instid1(VALU_DEP_3)
	v_lshlrev_b32_e32 v5, 20, v22
	v_lshl_add_u32 v3, v3, 23, 0x3c000000
	s_delay_alu instid0(VALU_DEP_3) | instskip(NEXT) | instid1(VALU_DEP_1)
	v_and_b32_e32 v4, 0x80000000, v4
	v_or3_b32 v3, v5, v4, v3
.LBB364_1146:                           ;   in Loop: Header=BB364_934 Depth=1
	s_or_b32 exec_lo, exec_lo, s17
.LBB364_1147:                           ;   in Loop: Header=BB364_934 Depth=1
	s_delay_alu instid0(SALU_CYCLE_1)
	s_or_b32 exec_lo, exec_lo, s16
.LBB364_1148:                           ;   in Loop: Header=BB364_934 Depth=1
	s_delay_alu instid0(SALU_CYCLE_1) | instskip(SKIP_3) | instid1(VALU_DEP_2)
	s_or_b32 exec_lo, exec_lo, s15
	v_dual_mov_b32 v5, 0 :: v_dual_lshrrev_b32 v6, 16, v18
	v_mov_b32_e32 v4, 0
	s_mov_b32 s15, exec_lo
	v_and_b32_e32 v7, 0xff, v6
	s_delay_alu instid0(VALU_DEP_1)
	v_cmpx_ne_u16_e32 0, v7
	s_cbranch_execz .LBB364_1156
; %bb.1149:                             ;   in Loop: Header=BB364_934 Depth=1
	v_bfrev_b32_e32 v4, 1
	s_mov_b32 s16, exec_lo
	v_cmpx_ne_u16_e32 0x80, v7
	s_cbranch_execz .LBB364_1155
; %bb.1150:                             ;   in Loop: Header=BB364_934 Depth=1
	v_bfe_u32 v7, v18, 16, 7
	v_mov_b32_e32 v4, 0x7f800001
	s_mov_b32 s17, exec_lo
	s_delay_alu instid0(VALU_DEP_2)
	v_cmpx_ne_u32_e32 0x7f, v7
	s_cbranch_execz .LBB364_1154
; %bb.1151:                             ;   in Loop: Header=BB364_934 Depth=1
	v_dual_lshrrev_b32 v4, 3, v7 :: v_dual_bitop2_b32 v22, 7, v6 bitop3:0x40
	s_mov_b32 s18, exec_lo
	v_cmpx_gt_u32_e32 8, v7
; %bb.1152:                             ;   in Loop: Header=BB364_934 Depth=1
	s_delay_alu instid0(VALU_DEP_2) | instskip(NEXT) | instid1(VALU_DEP_1)
	v_clz_i32_u32_e32 v4, v22
	v_min_u32_e32 v4, 32, v4
	s_delay_alu instid0(VALU_DEP_1) | instskip(SKIP_1) | instid1(VALU_DEP_2)
	v_subrev_nc_u32_e32 v7, 28, v4
	v_sub_nc_u32_e32 v4, 29, v4
	v_lshlrev_b64_e32 v[8:9], v7, v[22:23]
	s_delay_alu instid0(VALU_DEP_1)
	v_and_b32_e32 v22, 7, v8
; %bb.1153:                             ;   in Loop: Header=BB364_934 Depth=1
	s_or_b32 exec_lo, exec_lo, s18
	v_lshlrev_b32_e32 v6, 24, v6
	s_delay_alu instid0(VALU_DEP_2) | instskip(SKIP_1) | instid1(VALU_DEP_3)
	v_lshlrev_b32_e32 v7, 20, v22
	v_lshl_add_u32 v4, v4, 23, 0x3c000000
	v_and_b32_e32 v6, 0x80000000, v6
	s_delay_alu instid0(VALU_DEP_1)
	v_or3_b32 v4, v7, v6, v4
.LBB364_1154:                           ;   in Loop: Header=BB364_934 Depth=1
	s_or_b32 exec_lo, exec_lo, s17
.LBB364_1155:                           ;   in Loop: Header=BB364_934 Depth=1
	s_delay_alu instid0(SALU_CYCLE_1)
	s_or_b32 exec_lo, exec_lo, s16
.LBB364_1156:                           ;   in Loop: Header=BB364_934 Depth=1
	s_delay_alu instid0(SALU_CYCLE_1) | instskip(NEXT) | instid1(SALU_CYCLE_1)
	s_or_b32 exec_lo, exec_lo, s15
	s_mov_b32 s15, exec_lo
	v_cmpx_lt_u32_e32 0xffffff, v18
	s_cbranch_execz .LBB364_1164
; %bb.1157:                             ;   in Loop: Header=BB364_934 Depth=1
	v_lshrrev_b32_e32 v6, 24, v18
	v_bfrev_b32_e32 v5, 1
	s_mov_b32 s16, exec_lo
	s_delay_alu instid0(VALU_DEP_2)
	v_cmpx_ne_u32_e32 0x80, v6
	s_cbranch_execz .LBB364_1163
; %bb.1158:                             ;   in Loop: Header=BB364_934 Depth=1
	v_bfe_u32 v7, v18, 24, 7
	v_mov_b32_e32 v5, 0x7f800001
	s_mov_b32 s17, exec_lo
	s_delay_alu instid0(VALU_DEP_2)
	v_cmpx_ne_u32_e32 0x7f, v7
	s_cbranch_execz .LBB364_1162
; %bb.1159:                             ;   in Loop: Header=BB364_934 Depth=1
	v_dual_lshrrev_b32 v5, 3, v7 :: v_dual_bitop2_b32 v22, 7, v6 bitop3:0x40
	s_mov_b32 s18, exec_lo
	v_cmpx_gt_u32_e32 8, v7
; %bb.1160:                             ;   in Loop: Header=BB364_934 Depth=1
	s_delay_alu instid0(VALU_DEP_2) | instskip(NEXT) | instid1(VALU_DEP_1)
	v_clz_i32_u32_e32 v5, v22
	v_min_u32_e32 v5, 32, v5
	s_delay_alu instid0(VALU_DEP_1) | instskip(NEXT) | instid1(VALU_DEP_1)
	v_subrev_nc_u32_e32 v7, 28, v5
	v_lshlrev_b64_e32 v[8:9], v7, v[22:23]
	s_delay_alu instid0(VALU_DEP_1)
	v_dual_sub_nc_u32 v5, 29, v5 :: v_dual_bitop2_b32 v22, 7, v8 bitop3:0x40
; %bb.1161:                             ;   in Loop: Header=BB364_934 Depth=1
	s_or_b32 exec_lo, exec_lo, s18
	v_lshlrev_b32_e32 v6, 24, v6
	s_delay_alu instid0(VALU_DEP_2) | instskip(NEXT) | instid1(VALU_DEP_3)
	v_lshlrev_b32_e32 v7, 20, v22
	v_lshl_add_u32 v5, v5, 23, 0x3c000000
	s_delay_alu instid0(VALU_DEP_3) | instskip(NEXT) | instid1(VALU_DEP_1)
	v_and_b32_e32 v6, 0x80000000, v6
	v_or3_b32 v5, v7, v6, v5
.LBB364_1162:                           ;   in Loop: Header=BB364_934 Depth=1
	s_or_b32 exec_lo, exec_lo, s17
.LBB364_1163:                           ;   in Loop: Header=BB364_934 Depth=1
	s_delay_alu instid0(SALU_CYCLE_1)
	s_or_b32 exec_lo, exec_lo, s16
.LBB364_1164:                           ;   in Loop: Header=BB364_934 Depth=1
	s_delay_alu instid0(SALU_CYCLE_1) | instskip(SKIP_4) | instid1(VALU_DEP_3)
	s_or_b32 exec_lo, exec_lo, s15
	v_and_b32_e32 v8, 0xff, v19
	v_dual_mov_b32 v22, v19 :: v_dual_mov_b32 v7, 0
	v_mov_b32_e32 v6, 0
	s_mov_b32 s15, exec_lo
	v_cmpx_ne_u16_e32 0, v8
	s_cbranch_execz .LBB364_1172
; %bb.1165:                             ;   in Loop: Header=BB364_934 Depth=1
	v_bfrev_b32_e32 v6, 1
	s_mov_b32 s16, exec_lo
	v_cmpx_ne_u16_e32 0x80, v8
	s_cbranch_execz .LBB364_1171
; %bb.1166:                             ;   in Loop: Header=BB364_934 Depth=1
	v_and_b32_e32 v8, 0x7f, v19
	v_mov_b32_e32 v6, 0x7f800001
	s_mov_b32 s17, exec_lo
	s_delay_alu instid0(VALU_DEP_2)
	v_cmpx_ne_u32_e32 0x7f, v8
	s_cbranch_execz .LBB364_1170
; %bb.1167:                             ;   in Loop: Header=BB364_934 Depth=1
	v_mov_b64_e32 v[32:33], v[22:23]
	v_lshrrev_b32_e32 v6, 3, v8
	s_mov_b32 s18, exec_lo
	v_cmpx_gt_u32_e32 8, v8
; %bb.1168:                             ;   in Loop: Header=BB364_934 Depth=1
	v_and_b32_e32 v6, 7, v19
	s_delay_alu instid0(VALU_DEP_1) | instskip(NEXT) | instid1(VALU_DEP_1)
	v_clz_i32_u32_e32 v6, v6
	v_min_u32_e32 v6, 32, v6
	s_delay_alu instid0(VALU_DEP_1) | instskip(SKIP_1) | instid1(VALU_DEP_2)
	v_subrev_nc_u32_e32 v8, 28, v6
	v_sub_nc_u32_e32 v6, 29, v6
	v_lshlrev_b64_e32 v[32:33], v8, v[22:23]
; %bb.1169:                             ;   in Loop: Header=BB364_934 Depth=1
	s_or_b32 exec_lo, exec_lo, s18
	s_delay_alu instid0(VALU_DEP_1) | instskip(NEXT) | instid1(VALU_DEP_3)
	v_dual_lshlrev_b32 v8, 20, v32 :: v_dual_lshlrev_b32 v9, 24, v22
	v_lshl_add_u32 v6, v6, 23, 0x3c000000
	s_delay_alu instid0(VALU_DEP_2) | instskip(NEXT) | instid1(VALU_DEP_3)
	v_and_b32_e32 v8, 0x700000, v8
	v_and_b32_e32 v9, 0x80000000, v9
	s_delay_alu instid0(VALU_DEP_1)
	v_or3_b32 v6, v8, v9, v6
.LBB364_1170:                           ;   in Loop: Header=BB364_934 Depth=1
	s_or_b32 exec_lo, exec_lo, s17
.LBB364_1171:                           ;   in Loop: Header=BB364_934 Depth=1
	s_delay_alu instid0(SALU_CYCLE_1)
	s_or_b32 exec_lo, exec_lo, s16
.LBB364_1172:                           ;   in Loop: Header=BB364_934 Depth=1
	s_delay_alu instid0(SALU_CYCLE_1) | instskip(SKIP_2) | instid1(VALU_DEP_1)
	s_or_b32 exec_lo, exec_lo, s15
	v_lshrrev_b16 v8, 8, v22
	s_mov_b32 s15, exec_lo
	v_cmpx_ne_u16_e32 0, v8
	s_cbranch_execz .LBB364_1180
; %bb.1173:                             ;   in Loop: Header=BB364_934 Depth=1
	v_bfrev_b32_e32 v7, 1
	s_mov_b32 s16, exec_lo
	v_cmpx_ne_u16_e32 0x80, v8
	s_cbranch_execz .LBB364_1179
; %bb.1174:                             ;   in Loop: Header=BB364_934 Depth=1
	v_and_b32_e32 v9, 0xffff, v8
	v_mov_b32_e32 v7, 0x7f800001
	s_mov_b32 s17, exec_lo
	s_delay_alu instid0(VALU_DEP_2) | instskip(NEXT) | instid1(VALU_DEP_1)
	v_and_b32_e32 v8, 0x7f, v9
	v_cmpx_ne_u32_e32 0x7f, v8
	s_cbranch_execz .LBB364_1178
; %bb.1175:                             ;   in Loop: Header=BB364_934 Depth=1
	v_dual_mov_b32 v33, v23 :: v_dual_bitop2_b32 v32, 7, v9 bitop3:0x40
	v_lshrrev_b32_e32 v7, 3, v8
	s_mov_b32 s18, exec_lo
	v_cmpx_gt_u32_e32 8, v8
; %bb.1176:                             ;   in Loop: Header=BB364_934 Depth=1
	s_delay_alu instid0(VALU_DEP_3) | instskip(NEXT) | instid1(VALU_DEP_1)
	v_clz_i32_u32_e32 v7, v32
	v_min_u32_e32 v7, 32, v7
	s_delay_alu instid0(VALU_DEP_1) | instskip(NEXT) | instid1(VALU_DEP_1)
	v_subrev_nc_u32_e32 v8, 28, v7
	v_lshlrev_b64_e32 v[8:9], v8, v[32:33]
	s_delay_alu instid0(VALU_DEP_1)
	v_dual_sub_nc_u32 v7, 29, v7 :: v_dual_bitop2_b32 v32, 7, v8 bitop3:0x40
; %bb.1177:                             ;   in Loop: Header=BB364_934 Depth=1
	s_or_b32 exec_lo, exec_lo, s18
	s_delay_alu instid0(VALU_DEP_1) | instskip(NEXT) | instid1(VALU_DEP_2)
	v_dual_lshlrev_b32 v8, 16, v22 :: v_dual_lshlrev_b32 v9, 20, v32
	v_lshl_add_u32 v7, v7, 23, 0x3c000000
	s_delay_alu instid0(VALU_DEP_2) | instskip(NEXT) | instid1(VALU_DEP_1)
	v_and_b32_e32 v8, 0x80000000, v8
	v_or3_b32 v7, v9, v8, v7
.LBB364_1178:                           ;   in Loop: Header=BB364_934 Depth=1
	s_or_b32 exec_lo, exec_lo, s17
.LBB364_1179:                           ;   in Loop: Header=BB364_934 Depth=1
	s_delay_alu instid0(SALU_CYCLE_1)
	s_or_b32 exec_lo, exec_lo, s16
.LBB364_1180:                           ;   in Loop: Header=BB364_934 Depth=1
	s_delay_alu instid0(SALU_CYCLE_1) | instskip(SKIP_3) | instid1(VALU_DEP_2)
	s_or_b32 exec_lo, exec_lo, s15
	v_dual_lshrrev_b32 v30, 16, v19 :: v_dual_mov_b32 v8, 0
	v_mov_b32_e32 v9, 0
	s_mov_b32 s15, exec_lo
	v_and_b32_e32 v22, 0xff, v30
	s_delay_alu instid0(VALU_DEP_1)
	v_cmpx_ne_u16_e32 0, v22
	s_cbranch_execz .LBB364_1188
; %bb.1181:                             ;   in Loop: Header=BB364_934 Depth=1
	v_bfrev_b32_e32 v9, 1
	s_mov_b32 s16, exec_lo
	v_cmpx_ne_u16_e32 0x80, v22
	s_cbranch_execz .LBB364_1187
; %bb.1182:                             ;   in Loop: Header=BB364_934 Depth=1
	v_bfe_u32 v31, v19, 16, 7
	v_mov_b32_e32 v9, 0x7f800001
	s_mov_b32 s17, exec_lo
	s_delay_alu instid0(VALU_DEP_2)
	v_cmpx_ne_u32_e32 0x7f, v31
	s_cbranch_execz .LBB364_1186
; %bb.1183:                             ;   in Loop: Header=BB364_934 Depth=1
	v_dual_lshrrev_b32 v9, 3, v31 :: v_dual_bitop2_b32 v22, 7, v30 bitop3:0x40
	s_mov_b32 s18, exec_lo
	v_cmpx_gt_u32_e32 8, v31
; %bb.1184:                             ;   in Loop: Header=BB364_934 Depth=1
	s_delay_alu instid0(VALU_DEP_2) | instskip(NEXT) | instid1(VALU_DEP_1)
	v_clz_i32_u32_e32 v9, v22
	v_min_u32_e32 v9, 32, v9
	s_delay_alu instid0(VALU_DEP_1) | instskip(NEXT) | instid1(VALU_DEP_1)
	v_subrev_nc_u32_e32 v31, 28, v9
	v_lshlrev_b64_e32 v[32:33], v31, v[22:23]
	s_delay_alu instid0(VALU_DEP_1)
	v_dual_sub_nc_u32 v9, 29, v9 :: v_dual_bitop2_b32 v22, 7, v32 bitop3:0x40
; %bb.1185:                             ;   in Loop: Header=BB364_934 Depth=1
	s_or_b32 exec_lo, exec_lo, s18
	v_lshlrev_b32_e32 v30, 24, v30
	s_delay_alu instid0(VALU_DEP_2) | instskip(NEXT) | instid1(VALU_DEP_3)
	v_lshlrev_b32_e32 v22, 20, v22
	v_lshl_add_u32 v9, v9, 23, 0x3c000000
	s_delay_alu instid0(VALU_DEP_3) | instskip(NEXT) | instid1(VALU_DEP_1)
	v_and_b32_e32 v30, 0x80000000, v30
	v_or3_b32 v9, v22, v30, v9
.LBB364_1186:                           ;   in Loop: Header=BB364_934 Depth=1
	s_or_b32 exec_lo, exec_lo, s17
.LBB364_1187:                           ;   in Loop: Header=BB364_934 Depth=1
	s_delay_alu instid0(SALU_CYCLE_1)
	s_or_b32 exec_lo, exec_lo, s16
.LBB364_1188:                           ;   in Loop: Header=BB364_934 Depth=1
	s_delay_alu instid0(SALU_CYCLE_1) | instskip(NEXT) | instid1(SALU_CYCLE_1)
	s_or_b32 exec_lo, exec_lo, s15
	s_mov_b32 s15, exec_lo
	v_cmpx_lt_u64_e64 s[2:3], v[18:19]
	s_cbranch_execz .LBB364_1196
; %bb.1189:                             ;   in Loop: Header=BB364_934 Depth=1
	v_lshrrev_b32_e32 v18, 24, v19
	v_bfrev_b32_e32 v8, 1
	s_mov_b32 s16, exec_lo
	s_delay_alu instid0(VALU_DEP_2)
	v_cmpx_ne_u32_e32 0x80, v18
	s_cbranch_execz .LBB364_1195
; %bb.1190:                             ;   in Loop: Header=BB364_934 Depth=1
	v_bfe_u32 v19, v19, 24, 7
	v_mov_b32_e32 v8, 0x7f800001
	s_mov_b32 s17, exec_lo
	s_delay_alu instid0(VALU_DEP_2)
	v_cmpx_ne_u32_e32 0x7f, v19
	s_cbranch_execz .LBB364_1194
; %bb.1191:                             ;   in Loop: Header=BB364_934 Depth=1
	v_dual_lshrrev_b32 v8, 3, v19 :: v_dual_bitop2_b32 v22, 7, v18 bitop3:0x40
	s_mov_b32 s18, exec_lo
	v_cmpx_gt_u32_e32 8, v19
; %bb.1192:                             ;   in Loop: Header=BB364_934 Depth=1
	s_delay_alu instid0(VALU_DEP_2) | instskip(NEXT) | instid1(VALU_DEP_1)
	v_clz_i32_u32_e32 v8, v22
	v_min_u32_e32 v8, 32, v8
	s_delay_alu instid0(VALU_DEP_1) | instskip(NEXT) | instid1(VALU_DEP_1)
	v_subrev_nc_u32_e32 v19, 28, v8
	v_lshlrev_b64_e32 v[30:31], v19, v[22:23]
	s_delay_alu instid0(VALU_DEP_1)
	v_dual_sub_nc_u32 v8, 29, v8 :: v_dual_bitop2_b32 v22, 7, v30 bitop3:0x40
; %bb.1193:                             ;   in Loop: Header=BB364_934 Depth=1
	s_or_b32 exec_lo, exec_lo, s18
	v_lshlrev_b32_e32 v18, 24, v18
	s_delay_alu instid0(VALU_DEP_2) | instskip(NEXT) | instid1(VALU_DEP_3)
	v_lshlrev_b32_e32 v19, 20, v22
	v_lshl_add_u32 v8, v8, 23, 0x3c000000
	s_delay_alu instid0(VALU_DEP_3) | instskip(NEXT) | instid1(VALU_DEP_1)
	v_and_b32_e32 v18, 0x80000000, v18
	v_or3_b32 v8, v19, v18, v8
.LBB364_1194:                           ;   in Loop: Header=BB364_934 Depth=1
	s_or_b32 exec_lo, exec_lo, s17
.LBB364_1195:                           ;   in Loop: Header=BB364_934 Depth=1
	s_delay_alu instid0(SALU_CYCLE_1)
	s_or_b32 exec_lo, exec_lo, s16
.LBB364_1196:                           ;   in Loop: Header=BB364_934 Depth=1
	s_delay_alu instid0(SALU_CYCLE_1)
	s_or_b32 exec_lo, exec_lo, s15
	v_fma_mixlo_bf16 v112, v37, v7, 0
	v_fma_mixlo_bf16 v113, v37, v6, 0
	;; [unrolled: 1-line block ×8, first 2 shown]
	s_and_saveexec_b32 s15, vcc_lo
	s_cbranch_execz .LBB364_1198
; %bb.1197:                             ;   in Loop: Header=BB364_934 Depth=1
	v_cmp_lt_i32_e64 s0, v83, v106
	s_delay_alu instid0(VALU_DEP_1) | instskip(SKIP_1) | instid1(VALU_DEP_1)
	v_cndmask_b32_e64 v119, 0, v119, s0
	v_cmp_lt_i32_e64 s0, v87, v106
	v_cndmask_b32_e64 v118, 0, v118, s0
	v_cmp_lt_i32_e64 s0, v86, v106
	s_delay_alu instid0(VALU_DEP_1) | instskip(SKIP_1) | instid1(VALU_DEP_1)
	v_cndmask_b32_e64 v117, 0, v117, s0
	v_cmp_lt_i32_e64 s0, v85, v106
	v_cndmask_b32_e64 v116, 0, v116, s0
	;; [unrolled: 5-line block ×4, first 2 shown]
.LBB364_1198:                           ;   in Loop: Header=BB364_934 Depth=1
	s_or_b32 exec_lo, exec_lo, s15
	flat_load_b64 v[18:19], v[0:1] offset:1024
	v_dual_mov_b32 v3, 0 :: v_dual_mov_b32 v2, 0
	s_mov_b32 s15, exec_lo
	s_wait_loadcnt_dscnt 0x0
	v_and_b32_e32 v4, 0xff, v18
	s_wait_xcnt 0x0
	s_delay_alu instid0(VALU_DEP_1)
	v_cmpx_ne_u16_e32 0, v4
	s_cbranch_execz .LBB364_1206
; %bb.1199:                             ;   in Loop: Header=BB364_934 Depth=1
	v_bfrev_b32_e32 v2, 1
	s_mov_b32 s16, exec_lo
	v_cmpx_ne_u16_e32 0x80, v4
	s_cbranch_execz .LBB364_1205
; %bb.1200:                             ;   in Loop: Header=BB364_934 Depth=1
	v_and_b32_e32 v4, 0x7f, v18
	v_mov_b32_e32 v2, 0x7f800001
	s_mov_b32 s17, exec_lo
	s_delay_alu instid0(VALU_DEP_2)
	v_cmpx_ne_u32_e32 0x7f, v4
	s_cbranch_execz .LBB364_1204
; %bb.1201:                             ;   in Loop: Header=BB364_934 Depth=1
	v_mov_b64_e32 v[32:33], v[18:19]
	v_lshrrev_b32_e32 v2, 3, v4
	s_mov_b32 s18, exec_lo
	v_cmpx_gt_u32_e32 8, v4
; %bb.1202:                             ;   in Loop: Header=BB364_934 Depth=1
	v_and_b32_e32 v2, 7, v18
	s_delay_alu instid0(VALU_DEP_1) | instskip(NEXT) | instid1(VALU_DEP_1)
	v_clz_i32_u32_e32 v2, v2
	v_min_u32_e32 v2, 32, v2
	s_delay_alu instid0(VALU_DEP_1) | instskip(SKIP_1) | instid1(VALU_DEP_2)
	v_subrev_nc_u32_e32 v4, 28, v2
	v_sub_nc_u32_e32 v2, 29, v2
	v_lshlrev_b64_e32 v[32:33], v4, v[18:19]
; %bb.1203:                             ;   in Loop: Header=BB364_934 Depth=1
	s_or_b32 exec_lo, exec_lo, s18
	s_delay_alu instid0(VALU_DEP_1) | instskip(NEXT) | instid1(VALU_DEP_3)
	v_dual_lshlrev_b32 v4, 20, v32 :: v_dual_lshlrev_b32 v5, 24, v18
	v_lshl_add_u32 v2, v2, 23, 0x3c000000
	s_delay_alu instid0(VALU_DEP_2) | instskip(NEXT) | instid1(VALU_DEP_3)
	v_and_b32_e32 v4, 0x700000, v4
	v_and_b32_e32 v5, 0x80000000, v5
	s_delay_alu instid0(VALU_DEP_1)
	v_or3_b32 v2, v4, v5, v2
.LBB364_1204:                           ;   in Loop: Header=BB364_934 Depth=1
	s_or_b32 exec_lo, exec_lo, s17
.LBB364_1205:                           ;   in Loop: Header=BB364_934 Depth=1
	s_delay_alu instid0(SALU_CYCLE_1)
	s_or_b32 exec_lo, exec_lo, s16
.LBB364_1206:                           ;   in Loop: Header=BB364_934 Depth=1
	s_delay_alu instid0(SALU_CYCLE_1) | instskip(SKIP_2) | instid1(VALU_DEP_1)
	s_or_b32 exec_lo, exec_lo, s15
	v_lshrrev_b16 v4, 8, v18
	s_mov_b32 s15, exec_lo
	v_cmpx_ne_u16_e32 0, v4
	s_cbranch_execz .LBB364_1214
; %bb.1207:                             ;   in Loop: Header=BB364_934 Depth=1
	v_bfrev_b32_e32 v3, 1
	s_mov_b32 s16, exec_lo
	v_cmpx_ne_u16_e32 0x80, v4
	s_cbranch_execz .LBB364_1213
; %bb.1208:                             ;   in Loop: Header=BB364_934 Depth=1
	v_and_b32_e32 v5, 0xffff, v4
	v_mov_b32_e32 v3, 0x7f800001
	s_mov_b32 s17, exec_lo
	s_delay_alu instid0(VALU_DEP_2) | instskip(NEXT) | instid1(VALU_DEP_1)
	v_and_b32_e32 v4, 0x7f, v5
	v_cmpx_ne_u32_e32 0x7f, v4
	s_cbranch_execz .LBB364_1212
; %bb.1209:                             ;   in Loop: Header=BB364_934 Depth=1
	v_dual_lshrrev_b32 v3, 3, v4 :: v_dual_bitop2_b32 v22, 7, v5 bitop3:0x40
	s_mov_b32 s18, exec_lo
	v_cmpx_gt_u32_e32 8, v4
; %bb.1210:                             ;   in Loop: Header=BB364_934 Depth=1
	s_delay_alu instid0(VALU_DEP_2) | instskip(NEXT) | instid1(VALU_DEP_1)
	v_clz_i32_u32_e32 v3, v22
	v_min_u32_e32 v3, 32, v3
	s_delay_alu instid0(VALU_DEP_1) | instskip(NEXT) | instid1(VALU_DEP_1)
	v_subrev_nc_u32_e32 v4, 28, v3
	v_lshlrev_b64_e32 v[4:5], v4, v[22:23]
	s_delay_alu instid0(VALU_DEP_1)
	v_dual_sub_nc_u32 v3, 29, v3 :: v_dual_bitop2_b32 v22, 7, v4 bitop3:0x40
; %bb.1211:                             ;   in Loop: Header=BB364_934 Depth=1
	s_or_b32 exec_lo, exec_lo, s18
	v_lshlrev_b32_e32 v4, 16, v18
	s_delay_alu instid0(VALU_DEP_2) | instskip(NEXT) | instid1(VALU_DEP_3)
	v_lshlrev_b32_e32 v5, 20, v22
	v_lshl_add_u32 v3, v3, 23, 0x3c000000
	s_delay_alu instid0(VALU_DEP_3) | instskip(NEXT) | instid1(VALU_DEP_1)
	v_and_b32_e32 v4, 0x80000000, v4
	v_or3_b32 v3, v5, v4, v3
.LBB364_1212:                           ;   in Loop: Header=BB364_934 Depth=1
	s_or_b32 exec_lo, exec_lo, s17
.LBB364_1213:                           ;   in Loop: Header=BB364_934 Depth=1
	s_delay_alu instid0(SALU_CYCLE_1)
	s_or_b32 exec_lo, exec_lo, s16
.LBB364_1214:                           ;   in Loop: Header=BB364_934 Depth=1
	s_delay_alu instid0(SALU_CYCLE_1) | instskip(SKIP_3) | instid1(VALU_DEP_2)
	s_or_b32 exec_lo, exec_lo, s15
	v_dual_mov_b32 v5, 0 :: v_dual_lshrrev_b32 v6, 16, v18
	v_mov_b32_e32 v4, 0
	s_mov_b32 s15, exec_lo
	v_and_b32_e32 v7, 0xff, v6
	s_delay_alu instid0(VALU_DEP_1)
	v_cmpx_ne_u16_e32 0, v7
	s_cbranch_execz .LBB364_1222
; %bb.1215:                             ;   in Loop: Header=BB364_934 Depth=1
	v_bfrev_b32_e32 v4, 1
	s_mov_b32 s16, exec_lo
	v_cmpx_ne_u16_e32 0x80, v7
	s_cbranch_execz .LBB364_1221
; %bb.1216:                             ;   in Loop: Header=BB364_934 Depth=1
	v_bfe_u32 v7, v18, 16, 7
	v_mov_b32_e32 v4, 0x7f800001
	s_mov_b32 s17, exec_lo
	s_delay_alu instid0(VALU_DEP_2)
	v_cmpx_ne_u32_e32 0x7f, v7
	s_cbranch_execz .LBB364_1220
; %bb.1217:                             ;   in Loop: Header=BB364_934 Depth=1
	v_dual_lshrrev_b32 v4, 3, v7 :: v_dual_bitop2_b32 v22, 7, v6 bitop3:0x40
	s_mov_b32 s18, exec_lo
	v_cmpx_gt_u32_e32 8, v7
; %bb.1218:                             ;   in Loop: Header=BB364_934 Depth=1
	s_delay_alu instid0(VALU_DEP_2) | instskip(NEXT) | instid1(VALU_DEP_1)
	v_clz_i32_u32_e32 v4, v22
	v_min_u32_e32 v4, 32, v4
	s_delay_alu instid0(VALU_DEP_1) | instskip(SKIP_1) | instid1(VALU_DEP_2)
	v_subrev_nc_u32_e32 v7, 28, v4
	v_sub_nc_u32_e32 v4, 29, v4
	v_lshlrev_b64_e32 v[8:9], v7, v[22:23]
	s_delay_alu instid0(VALU_DEP_1)
	v_and_b32_e32 v22, 7, v8
; %bb.1219:                             ;   in Loop: Header=BB364_934 Depth=1
	s_or_b32 exec_lo, exec_lo, s18
	v_lshlrev_b32_e32 v6, 24, v6
	s_delay_alu instid0(VALU_DEP_2) | instskip(SKIP_1) | instid1(VALU_DEP_3)
	v_lshlrev_b32_e32 v7, 20, v22
	v_lshl_add_u32 v4, v4, 23, 0x3c000000
	v_and_b32_e32 v6, 0x80000000, v6
	s_delay_alu instid0(VALU_DEP_1)
	v_or3_b32 v4, v7, v6, v4
.LBB364_1220:                           ;   in Loop: Header=BB364_934 Depth=1
	s_or_b32 exec_lo, exec_lo, s17
.LBB364_1221:                           ;   in Loop: Header=BB364_934 Depth=1
	s_delay_alu instid0(SALU_CYCLE_1)
	s_or_b32 exec_lo, exec_lo, s16
.LBB364_1222:                           ;   in Loop: Header=BB364_934 Depth=1
	s_delay_alu instid0(SALU_CYCLE_1) | instskip(NEXT) | instid1(SALU_CYCLE_1)
	s_or_b32 exec_lo, exec_lo, s15
	s_mov_b32 s15, exec_lo
	v_cmpx_lt_u32_e32 0xffffff, v18
	s_cbranch_execz .LBB364_1230
; %bb.1223:                             ;   in Loop: Header=BB364_934 Depth=1
	v_lshrrev_b32_e32 v6, 24, v18
	v_bfrev_b32_e32 v5, 1
	s_mov_b32 s16, exec_lo
	s_delay_alu instid0(VALU_DEP_2)
	v_cmpx_ne_u32_e32 0x80, v6
	s_cbranch_execz .LBB364_1229
; %bb.1224:                             ;   in Loop: Header=BB364_934 Depth=1
	v_bfe_u32 v7, v18, 24, 7
	v_mov_b32_e32 v5, 0x7f800001
	s_mov_b32 s17, exec_lo
	s_delay_alu instid0(VALU_DEP_2)
	v_cmpx_ne_u32_e32 0x7f, v7
	s_cbranch_execz .LBB364_1228
; %bb.1225:                             ;   in Loop: Header=BB364_934 Depth=1
	v_dual_lshrrev_b32 v5, 3, v7 :: v_dual_bitop2_b32 v22, 7, v6 bitop3:0x40
	s_mov_b32 s18, exec_lo
	v_cmpx_gt_u32_e32 8, v7
; %bb.1226:                             ;   in Loop: Header=BB364_934 Depth=1
	s_delay_alu instid0(VALU_DEP_2) | instskip(NEXT) | instid1(VALU_DEP_1)
	v_clz_i32_u32_e32 v5, v22
	v_min_u32_e32 v5, 32, v5
	s_delay_alu instid0(VALU_DEP_1) | instskip(NEXT) | instid1(VALU_DEP_1)
	v_subrev_nc_u32_e32 v7, 28, v5
	v_lshlrev_b64_e32 v[8:9], v7, v[22:23]
	s_delay_alu instid0(VALU_DEP_1)
	v_dual_sub_nc_u32 v5, 29, v5 :: v_dual_bitop2_b32 v22, 7, v8 bitop3:0x40
; %bb.1227:                             ;   in Loop: Header=BB364_934 Depth=1
	s_or_b32 exec_lo, exec_lo, s18
	v_lshlrev_b32_e32 v6, 24, v6
	s_delay_alu instid0(VALU_DEP_2) | instskip(NEXT) | instid1(VALU_DEP_3)
	v_lshlrev_b32_e32 v7, 20, v22
	v_lshl_add_u32 v5, v5, 23, 0x3c000000
	s_delay_alu instid0(VALU_DEP_3) | instskip(NEXT) | instid1(VALU_DEP_1)
	v_and_b32_e32 v6, 0x80000000, v6
	v_or3_b32 v5, v7, v6, v5
.LBB364_1228:                           ;   in Loop: Header=BB364_934 Depth=1
	s_or_b32 exec_lo, exec_lo, s17
.LBB364_1229:                           ;   in Loop: Header=BB364_934 Depth=1
	s_delay_alu instid0(SALU_CYCLE_1)
	s_or_b32 exec_lo, exec_lo, s16
.LBB364_1230:                           ;   in Loop: Header=BB364_934 Depth=1
	s_delay_alu instid0(SALU_CYCLE_1) | instskip(SKIP_4) | instid1(VALU_DEP_3)
	s_or_b32 exec_lo, exec_lo, s15
	v_and_b32_e32 v8, 0xff, v19
	v_dual_mov_b32 v22, v19 :: v_dual_mov_b32 v7, 0
	v_mov_b32_e32 v6, 0
	s_mov_b32 s15, exec_lo
	v_cmpx_ne_u16_e32 0, v8
	s_cbranch_execz .LBB364_1238
; %bb.1231:                             ;   in Loop: Header=BB364_934 Depth=1
	v_bfrev_b32_e32 v6, 1
	s_mov_b32 s16, exec_lo
	v_cmpx_ne_u16_e32 0x80, v8
	s_cbranch_execz .LBB364_1237
; %bb.1232:                             ;   in Loop: Header=BB364_934 Depth=1
	v_and_b32_e32 v8, 0x7f, v19
	v_mov_b32_e32 v6, 0x7f800001
	s_mov_b32 s17, exec_lo
	s_delay_alu instid0(VALU_DEP_2)
	v_cmpx_ne_u32_e32 0x7f, v8
	s_cbranch_execz .LBB364_1236
; %bb.1233:                             ;   in Loop: Header=BB364_934 Depth=1
	v_mov_b64_e32 v[32:33], v[22:23]
	v_lshrrev_b32_e32 v6, 3, v8
	s_mov_b32 s18, exec_lo
	v_cmpx_gt_u32_e32 8, v8
; %bb.1234:                             ;   in Loop: Header=BB364_934 Depth=1
	v_and_b32_e32 v6, 7, v19
	s_delay_alu instid0(VALU_DEP_1) | instskip(NEXT) | instid1(VALU_DEP_1)
	v_clz_i32_u32_e32 v6, v6
	v_min_u32_e32 v6, 32, v6
	s_delay_alu instid0(VALU_DEP_1) | instskip(SKIP_1) | instid1(VALU_DEP_2)
	v_subrev_nc_u32_e32 v8, 28, v6
	v_sub_nc_u32_e32 v6, 29, v6
	v_lshlrev_b64_e32 v[32:33], v8, v[22:23]
; %bb.1235:                             ;   in Loop: Header=BB364_934 Depth=1
	s_or_b32 exec_lo, exec_lo, s18
	s_delay_alu instid0(VALU_DEP_1) | instskip(NEXT) | instid1(VALU_DEP_3)
	v_dual_lshlrev_b32 v8, 20, v32 :: v_dual_lshlrev_b32 v9, 24, v22
	v_lshl_add_u32 v6, v6, 23, 0x3c000000
	s_delay_alu instid0(VALU_DEP_2) | instskip(NEXT) | instid1(VALU_DEP_3)
	v_and_b32_e32 v8, 0x700000, v8
	v_and_b32_e32 v9, 0x80000000, v9
	s_delay_alu instid0(VALU_DEP_1)
	v_or3_b32 v6, v8, v9, v6
.LBB364_1236:                           ;   in Loop: Header=BB364_934 Depth=1
	s_or_b32 exec_lo, exec_lo, s17
.LBB364_1237:                           ;   in Loop: Header=BB364_934 Depth=1
	s_delay_alu instid0(SALU_CYCLE_1)
	s_or_b32 exec_lo, exec_lo, s16
.LBB364_1238:                           ;   in Loop: Header=BB364_934 Depth=1
	s_delay_alu instid0(SALU_CYCLE_1) | instskip(SKIP_2) | instid1(VALU_DEP_1)
	s_or_b32 exec_lo, exec_lo, s15
	v_lshrrev_b16 v8, 8, v22
	s_mov_b32 s15, exec_lo
	v_cmpx_ne_u16_e32 0, v8
	s_cbranch_execz .LBB364_1246
; %bb.1239:                             ;   in Loop: Header=BB364_934 Depth=1
	v_bfrev_b32_e32 v7, 1
	s_mov_b32 s16, exec_lo
	v_cmpx_ne_u16_e32 0x80, v8
	s_cbranch_execz .LBB364_1245
; %bb.1240:                             ;   in Loop: Header=BB364_934 Depth=1
	v_and_b32_e32 v9, 0xffff, v8
	v_mov_b32_e32 v7, 0x7f800001
	s_mov_b32 s17, exec_lo
	s_delay_alu instid0(VALU_DEP_2) | instskip(NEXT) | instid1(VALU_DEP_1)
	v_and_b32_e32 v8, 0x7f, v9
	v_cmpx_ne_u32_e32 0x7f, v8
	s_cbranch_execz .LBB364_1244
; %bb.1241:                             ;   in Loop: Header=BB364_934 Depth=1
	v_dual_mov_b32 v33, v23 :: v_dual_bitop2_b32 v32, 7, v9 bitop3:0x40
	v_lshrrev_b32_e32 v7, 3, v8
	s_mov_b32 s18, exec_lo
	v_cmpx_gt_u32_e32 8, v8
; %bb.1242:                             ;   in Loop: Header=BB364_934 Depth=1
	s_delay_alu instid0(VALU_DEP_3) | instskip(NEXT) | instid1(VALU_DEP_1)
	v_clz_i32_u32_e32 v7, v32
	v_min_u32_e32 v7, 32, v7
	s_delay_alu instid0(VALU_DEP_1) | instskip(NEXT) | instid1(VALU_DEP_1)
	v_subrev_nc_u32_e32 v8, 28, v7
	v_lshlrev_b64_e32 v[8:9], v8, v[32:33]
	s_delay_alu instid0(VALU_DEP_1)
	v_dual_sub_nc_u32 v7, 29, v7 :: v_dual_bitop2_b32 v32, 7, v8 bitop3:0x40
; %bb.1243:                             ;   in Loop: Header=BB364_934 Depth=1
	s_or_b32 exec_lo, exec_lo, s18
	s_delay_alu instid0(VALU_DEP_1) | instskip(NEXT) | instid1(VALU_DEP_2)
	v_dual_lshlrev_b32 v8, 16, v22 :: v_dual_lshlrev_b32 v9, 20, v32
	v_lshl_add_u32 v7, v7, 23, 0x3c000000
	s_delay_alu instid0(VALU_DEP_2) | instskip(NEXT) | instid1(VALU_DEP_1)
	v_and_b32_e32 v8, 0x80000000, v8
	v_or3_b32 v7, v9, v8, v7
.LBB364_1244:                           ;   in Loop: Header=BB364_934 Depth=1
	s_or_b32 exec_lo, exec_lo, s17
.LBB364_1245:                           ;   in Loop: Header=BB364_934 Depth=1
	s_delay_alu instid0(SALU_CYCLE_1)
	s_or_b32 exec_lo, exec_lo, s16
.LBB364_1246:                           ;   in Loop: Header=BB364_934 Depth=1
	s_delay_alu instid0(SALU_CYCLE_1) | instskip(SKIP_3) | instid1(VALU_DEP_2)
	s_or_b32 exec_lo, exec_lo, s15
	v_dual_lshrrev_b32 v30, 16, v19 :: v_dual_mov_b32 v8, 0
	v_mov_b32_e32 v9, 0
	s_mov_b32 s15, exec_lo
	v_and_b32_e32 v22, 0xff, v30
	s_delay_alu instid0(VALU_DEP_1)
	v_cmpx_ne_u16_e32 0, v22
	s_cbranch_execz .LBB364_1254
; %bb.1247:                             ;   in Loop: Header=BB364_934 Depth=1
	v_bfrev_b32_e32 v9, 1
	s_mov_b32 s16, exec_lo
	v_cmpx_ne_u16_e32 0x80, v22
	s_cbranch_execz .LBB364_1253
; %bb.1248:                             ;   in Loop: Header=BB364_934 Depth=1
	v_bfe_u32 v31, v19, 16, 7
	v_mov_b32_e32 v9, 0x7f800001
	s_mov_b32 s17, exec_lo
	s_delay_alu instid0(VALU_DEP_2)
	v_cmpx_ne_u32_e32 0x7f, v31
	s_cbranch_execz .LBB364_1252
; %bb.1249:                             ;   in Loop: Header=BB364_934 Depth=1
	v_dual_lshrrev_b32 v9, 3, v31 :: v_dual_bitop2_b32 v22, 7, v30 bitop3:0x40
	s_mov_b32 s18, exec_lo
	v_cmpx_gt_u32_e32 8, v31
; %bb.1250:                             ;   in Loop: Header=BB364_934 Depth=1
	s_delay_alu instid0(VALU_DEP_2) | instskip(NEXT) | instid1(VALU_DEP_1)
	v_clz_i32_u32_e32 v9, v22
	v_min_u32_e32 v9, 32, v9
	s_delay_alu instid0(VALU_DEP_1) | instskip(NEXT) | instid1(VALU_DEP_1)
	v_subrev_nc_u32_e32 v31, 28, v9
	v_lshlrev_b64_e32 v[32:33], v31, v[22:23]
	s_delay_alu instid0(VALU_DEP_1)
	v_dual_sub_nc_u32 v9, 29, v9 :: v_dual_bitop2_b32 v22, 7, v32 bitop3:0x40
; %bb.1251:                             ;   in Loop: Header=BB364_934 Depth=1
	s_or_b32 exec_lo, exec_lo, s18
	v_lshlrev_b32_e32 v30, 24, v30
	s_delay_alu instid0(VALU_DEP_2) | instskip(NEXT) | instid1(VALU_DEP_3)
	v_lshlrev_b32_e32 v22, 20, v22
	v_lshl_add_u32 v9, v9, 23, 0x3c000000
	s_delay_alu instid0(VALU_DEP_3) | instskip(NEXT) | instid1(VALU_DEP_1)
	v_and_b32_e32 v30, 0x80000000, v30
	v_or3_b32 v9, v22, v30, v9
.LBB364_1252:                           ;   in Loop: Header=BB364_934 Depth=1
	s_or_b32 exec_lo, exec_lo, s17
.LBB364_1253:                           ;   in Loop: Header=BB364_934 Depth=1
	s_delay_alu instid0(SALU_CYCLE_1)
	s_or_b32 exec_lo, exec_lo, s16
.LBB364_1254:                           ;   in Loop: Header=BB364_934 Depth=1
	s_delay_alu instid0(SALU_CYCLE_1) | instskip(NEXT) | instid1(SALU_CYCLE_1)
	s_or_b32 exec_lo, exec_lo, s15
	s_mov_b32 s15, exec_lo
	v_cmpx_lt_u64_e64 s[2:3], v[18:19]
	s_cbranch_execz .LBB364_1262
; %bb.1255:                             ;   in Loop: Header=BB364_934 Depth=1
	v_lshrrev_b32_e32 v18, 24, v19
	v_bfrev_b32_e32 v8, 1
	s_mov_b32 s16, exec_lo
	s_delay_alu instid0(VALU_DEP_2)
	v_cmpx_ne_u32_e32 0x80, v18
	s_cbranch_execz .LBB364_1261
; %bb.1256:                             ;   in Loop: Header=BB364_934 Depth=1
	v_bfe_u32 v19, v19, 24, 7
	v_mov_b32_e32 v8, 0x7f800001
	s_mov_b32 s17, exec_lo
	s_delay_alu instid0(VALU_DEP_2)
	v_cmpx_ne_u32_e32 0x7f, v19
	s_cbranch_execz .LBB364_1260
; %bb.1257:                             ;   in Loop: Header=BB364_934 Depth=1
	v_dual_lshrrev_b32 v8, 3, v19 :: v_dual_bitop2_b32 v22, 7, v18 bitop3:0x40
	s_mov_b32 s18, exec_lo
	v_cmpx_gt_u32_e32 8, v19
; %bb.1258:                             ;   in Loop: Header=BB364_934 Depth=1
	s_delay_alu instid0(VALU_DEP_2) | instskip(NEXT) | instid1(VALU_DEP_1)
	v_clz_i32_u32_e32 v8, v22
	v_min_u32_e32 v8, 32, v8
	s_delay_alu instid0(VALU_DEP_1) | instskip(NEXT) | instid1(VALU_DEP_1)
	v_subrev_nc_u32_e32 v19, 28, v8
	v_lshlrev_b64_e32 v[30:31], v19, v[22:23]
	s_delay_alu instid0(VALU_DEP_1)
	v_dual_sub_nc_u32 v8, 29, v8 :: v_dual_bitop2_b32 v22, 7, v30 bitop3:0x40
; %bb.1259:                             ;   in Loop: Header=BB364_934 Depth=1
	s_or_b32 exec_lo, exec_lo, s18
	v_lshlrev_b32_e32 v18, 24, v18
	s_delay_alu instid0(VALU_DEP_2) | instskip(NEXT) | instid1(VALU_DEP_3)
	v_lshlrev_b32_e32 v19, 20, v22
	v_lshl_add_u32 v8, v8, 23, 0x3c000000
	s_delay_alu instid0(VALU_DEP_3) | instskip(NEXT) | instid1(VALU_DEP_1)
	v_and_b32_e32 v18, 0x80000000, v18
	v_or3_b32 v8, v19, v18, v8
.LBB364_1260:                           ;   in Loop: Header=BB364_934 Depth=1
	s_or_b32 exec_lo, exec_lo, s17
.LBB364_1261:                           ;   in Loop: Header=BB364_934 Depth=1
	s_delay_alu instid0(SALU_CYCLE_1)
	s_or_b32 exec_lo, exec_lo, s16
.LBB364_1262:                           ;   in Loop: Header=BB364_934 Depth=1
	s_delay_alu instid0(SALU_CYCLE_1)
	s_or_b32 exec_lo, exec_lo, s15
	v_fma_mixlo_bf16 v40, v37, v7, 0
	v_fma_mixlo_bf16 v41, v37, v6, 0
	v_fma_mixlo_bf16 v44, v37, v5, 0
	v_fma_mixlo_bf16 v45, v37, v4, 0
	v_fma_mixlo_bf16 v46, v37, v3, 0
	v_fma_mixlo_bf16 v47, v37, v2, 0
	v_fma_mixlo_bf16 v42, v37, v9, 0
	v_fma_mixlo_bf16 v43, v37, v8, 0
	s_and_saveexec_b32 s15, vcc_lo
	s_cbranch_execz .LBB364_1264
; %bb.1263:                             ;   in Loop: Header=BB364_934 Depth=1
	v_cmp_lt_i32_e64 s0, v83, v106
	s_delay_alu instid0(VALU_DEP_1) | instskip(SKIP_1) | instid1(VALU_DEP_1)
	v_cndmask_b32_e64 v47, 0, v47, s0
	v_cmp_lt_i32_e64 s0, v87, v106
	v_cndmask_b32_e64 v46, 0, v46, s0
	v_cmp_lt_i32_e64 s0, v86, v106
	s_delay_alu instid0(VALU_DEP_1) | instskip(SKIP_1) | instid1(VALU_DEP_1)
	v_cndmask_b32_e64 v45, 0, v45, s0
	v_cmp_lt_i32_e64 s0, v85, v106
	v_cndmask_b32_e64 v44, 0, v44, s0
	;; [unrolled: 5-line block ×4, first 2 shown]
.LBB364_1264:                           ;   in Loop: Header=BB364_934 Depth=1
	s_or_b32 exec_lo, exec_lo, s15
	flat_load_b64 v[18:19], v[0:1] offset:1280
	v_dual_mov_b32 v3, 0 :: v_dual_mov_b32 v2, 0
	s_mov_b32 s15, exec_lo
	s_wait_loadcnt_dscnt 0x0
	v_and_b32_e32 v4, 0xff, v18
	s_wait_xcnt 0x0
	s_delay_alu instid0(VALU_DEP_1)
	v_cmpx_ne_u16_e32 0, v4
	s_cbranch_execz .LBB364_1272
; %bb.1265:                             ;   in Loop: Header=BB364_934 Depth=1
	v_bfrev_b32_e32 v2, 1
	s_mov_b32 s16, exec_lo
	v_cmpx_ne_u16_e32 0x80, v4
	s_cbranch_execz .LBB364_1271
; %bb.1266:                             ;   in Loop: Header=BB364_934 Depth=1
	v_and_b32_e32 v4, 0x7f, v18
	v_mov_b32_e32 v2, 0x7f800001
	s_mov_b32 s17, exec_lo
	s_delay_alu instid0(VALU_DEP_2)
	v_cmpx_ne_u32_e32 0x7f, v4
	s_cbranch_execz .LBB364_1270
; %bb.1267:                             ;   in Loop: Header=BB364_934 Depth=1
	v_mov_b64_e32 v[32:33], v[18:19]
	v_lshrrev_b32_e32 v2, 3, v4
	s_mov_b32 s18, exec_lo
	v_cmpx_gt_u32_e32 8, v4
; %bb.1268:                             ;   in Loop: Header=BB364_934 Depth=1
	v_and_b32_e32 v2, 7, v18
	s_delay_alu instid0(VALU_DEP_1) | instskip(NEXT) | instid1(VALU_DEP_1)
	v_clz_i32_u32_e32 v2, v2
	v_min_u32_e32 v2, 32, v2
	s_delay_alu instid0(VALU_DEP_1) | instskip(SKIP_1) | instid1(VALU_DEP_2)
	v_subrev_nc_u32_e32 v4, 28, v2
	v_sub_nc_u32_e32 v2, 29, v2
	v_lshlrev_b64_e32 v[32:33], v4, v[18:19]
; %bb.1269:                             ;   in Loop: Header=BB364_934 Depth=1
	s_or_b32 exec_lo, exec_lo, s18
	s_delay_alu instid0(VALU_DEP_1) | instskip(NEXT) | instid1(VALU_DEP_3)
	v_dual_lshlrev_b32 v4, 20, v32 :: v_dual_lshlrev_b32 v5, 24, v18
	v_lshl_add_u32 v2, v2, 23, 0x3c000000
	s_delay_alu instid0(VALU_DEP_2) | instskip(NEXT) | instid1(VALU_DEP_3)
	v_and_b32_e32 v4, 0x700000, v4
	v_and_b32_e32 v5, 0x80000000, v5
	s_delay_alu instid0(VALU_DEP_1)
	v_or3_b32 v2, v4, v5, v2
.LBB364_1270:                           ;   in Loop: Header=BB364_934 Depth=1
	s_or_b32 exec_lo, exec_lo, s17
.LBB364_1271:                           ;   in Loop: Header=BB364_934 Depth=1
	s_delay_alu instid0(SALU_CYCLE_1)
	s_or_b32 exec_lo, exec_lo, s16
.LBB364_1272:                           ;   in Loop: Header=BB364_934 Depth=1
	s_delay_alu instid0(SALU_CYCLE_1) | instskip(SKIP_2) | instid1(VALU_DEP_1)
	s_or_b32 exec_lo, exec_lo, s15
	v_lshrrev_b16 v4, 8, v18
	s_mov_b32 s15, exec_lo
	v_cmpx_ne_u16_e32 0, v4
	s_cbranch_execz .LBB364_1280
; %bb.1273:                             ;   in Loop: Header=BB364_934 Depth=1
	v_bfrev_b32_e32 v3, 1
	s_mov_b32 s16, exec_lo
	v_cmpx_ne_u16_e32 0x80, v4
	s_cbranch_execz .LBB364_1279
; %bb.1274:                             ;   in Loop: Header=BB364_934 Depth=1
	v_and_b32_e32 v5, 0xffff, v4
	v_mov_b32_e32 v3, 0x7f800001
	s_mov_b32 s17, exec_lo
	s_delay_alu instid0(VALU_DEP_2) | instskip(NEXT) | instid1(VALU_DEP_1)
	v_and_b32_e32 v4, 0x7f, v5
	v_cmpx_ne_u32_e32 0x7f, v4
	s_cbranch_execz .LBB364_1278
; %bb.1275:                             ;   in Loop: Header=BB364_934 Depth=1
	v_dual_lshrrev_b32 v3, 3, v4 :: v_dual_bitop2_b32 v22, 7, v5 bitop3:0x40
	s_mov_b32 s18, exec_lo
	v_cmpx_gt_u32_e32 8, v4
; %bb.1276:                             ;   in Loop: Header=BB364_934 Depth=1
	s_delay_alu instid0(VALU_DEP_2) | instskip(NEXT) | instid1(VALU_DEP_1)
	v_clz_i32_u32_e32 v3, v22
	v_min_u32_e32 v3, 32, v3
	s_delay_alu instid0(VALU_DEP_1) | instskip(NEXT) | instid1(VALU_DEP_1)
	v_subrev_nc_u32_e32 v4, 28, v3
	v_lshlrev_b64_e32 v[4:5], v4, v[22:23]
	s_delay_alu instid0(VALU_DEP_1)
	v_dual_sub_nc_u32 v3, 29, v3 :: v_dual_bitop2_b32 v22, 7, v4 bitop3:0x40
; %bb.1277:                             ;   in Loop: Header=BB364_934 Depth=1
	s_or_b32 exec_lo, exec_lo, s18
	v_lshlrev_b32_e32 v4, 16, v18
	s_delay_alu instid0(VALU_DEP_2) | instskip(NEXT) | instid1(VALU_DEP_3)
	v_lshlrev_b32_e32 v5, 20, v22
	v_lshl_add_u32 v3, v3, 23, 0x3c000000
	s_delay_alu instid0(VALU_DEP_3) | instskip(NEXT) | instid1(VALU_DEP_1)
	v_and_b32_e32 v4, 0x80000000, v4
	v_or3_b32 v3, v5, v4, v3
.LBB364_1278:                           ;   in Loop: Header=BB364_934 Depth=1
	s_or_b32 exec_lo, exec_lo, s17
.LBB364_1279:                           ;   in Loop: Header=BB364_934 Depth=1
	s_delay_alu instid0(SALU_CYCLE_1)
	s_or_b32 exec_lo, exec_lo, s16
.LBB364_1280:                           ;   in Loop: Header=BB364_934 Depth=1
	s_delay_alu instid0(SALU_CYCLE_1) | instskip(SKIP_3) | instid1(VALU_DEP_2)
	s_or_b32 exec_lo, exec_lo, s15
	v_dual_mov_b32 v5, 0 :: v_dual_lshrrev_b32 v6, 16, v18
	v_mov_b32_e32 v4, 0
	s_mov_b32 s15, exec_lo
	v_and_b32_e32 v7, 0xff, v6
	s_delay_alu instid0(VALU_DEP_1)
	v_cmpx_ne_u16_e32 0, v7
	s_cbranch_execz .LBB364_1288
; %bb.1281:                             ;   in Loop: Header=BB364_934 Depth=1
	v_bfrev_b32_e32 v4, 1
	s_mov_b32 s16, exec_lo
	v_cmpx_ne_u16_e32 0x80, v7
	s_cbranch_execz .LBB364_1287
; %bb.1282:                             ;   in Loop: Header=BB364_934 Depth=1
	v_bfe_u32 v7, v18, 16, 7
	v_mov_b32_e32 v4, 0x7f800001
	s_mov_b32 s17, exec_lo
	s_delay_alu instid0(VALU_DEP_2)
	v_cmpx_ne_u32_e32 0x7f, v7
	s_cbranch_execz .LBB364_1286
; %bb.1283:                             ;   in Loop: Header=BB364_934 Depth=1
	v_dual_lshrrev_b32 v4, 3, v7 :: v_dual_bitop2_b32 v22, 7, v6 bitop3:0x40
	s_mov_b32 s18, exec_lo
	v_cmpx_gt_u32_e32 8, v7
; %bb.1284:                             ;   in Loop: Header=BB364_934 Depth=1
	s_delay_alu instid0(VALU_DEP_2) | instskip(NEXT) | instid1(VALU_DEP_1)
	v_clz_i32_u32_e32 v4, v22
	v_min_u32_e32 v4, 32, v4
	s_delay_alu instid0(VALU_DEP_1) | instskip(SKIP_1) | instid1(VALU_DEP_2)
	v_subrev_nc_u32_e32 v7, 28, v4
	v_sub_nc_u32_e32 v4, 29, v4
	v_lshlrev_b64_e32 v[8:9], v7, v[22:23]
	s_delay_alu instid0(VALU_DEP_1)
	v_and_b32_e32 v22, 7, v8
; %bb.1285:                             ;   in Loop: Header=BB364_934 Depth=1
	s_or_b32 exec_lo, exec_lo, s18
	v_lshlrev_b32_e32 v6, 24, v6
	s_delay_alu instid0(VALU_DEP_2) | instskip(SKIP_1) | instid1(VALU_DEP_3)
	v_lshlrev_b32_e32 v7, 20, v22
	v_lshl_add_u32 v4, v4, 23, 0x3c000000
	v_and_b32_e32 v6, 0x80000000, v6
	s_delay_alu instid0(VALU_DEP_1)
	v_or3_b32 v4, v7, v6, v4
.LBB364_1286:                           ;   in Loop: Header=BB364_934 Depth=1
	s_or_b32 exec_lo, exec_lo, s17
.LBB364_1287:                           ;   in Loop: Header=BB364_934 Depth=1
	s_delay_alu instid0(SALU_CYCLE_1)
	s_or_b32 exec_lo, exec_lo, s16
.LBB364_1288:                           ;   in Loop: Header=BB364_934 Depth=1
	s_delay_alu instid0(SALU_CYCLE_1) | instskip(NEXT) | instid1(SALU_CYCLE_1)
	s_or_b32 exec_lo, exec_lo, s15
	s_mov_b32 s15, exec_lo
	v_cmpx_lt_u32_e32 0xffffff, v18
	s_cbranch_execz .LBB364_1296
; %bb.1289:                             ;   in Loop: Header=BB364_934 Depth=1
	v_lshrrev_b32_e32 v6, 24, v18
	v_bfrev_b32_e32 v5, 1
	s_mov_b32 s16, exec_lo
	s_delay_alu instid0(VALU_DEP_2)
	v_cmpx_ne_u32_e32 0x80, v6
	s_cbranch_execz .LBB364_1295
; %bb.1290:                             ;   in Loop: Header=BB364_934 Depth=1
	v_bfe_u32 v7, v18, 24, 7
	v_mov_b32_e32 v5, 0x7f800001
	s_mov_b32 s17, exec_lo
	s_delay_alu instid0(VALU_DEP_2)
	v_cmpx_ne_u32_e32 0x7f, v7
	s_cbranch_execz .LBB364_1294
; %bb.1291:                             ;   in Loop: Header=BB364_934 Depth=1
	v_dual_lshrrev_b32 v5, 3, v7 :: v_dual_bitop2_b32 v22, 7, v6 bitop3:0x40
	s_mov_b32 s18, exec_lo
	v_cmpx_gt_u32_e32 8, v7
; %bb.1292:                             ;   in Loop: Header=BB364_934 Depth=1
	s_delay_alu instid0(VALU_DEP_2) | instskip(NEXT) | instid1(VALU_DEP_1)
	v_clz_i32_u32_e32 v5, v22
	v_min_u32_e32 v5, 32, v5
	s_delay_alu instid0(VALU_DEP_1) | instskip(NEXT) | instid1(VALU_DEP_1)
	v_subrev_nc_u32_e32 v7, 28, v5
	v_lshlrev_b64_e32 v[8:9], v7, v[22:23]
	s_delay_alu instid0(VALU_DEP_1)
	v_dual_sub_nc_u32 v5, 29, v5 :: v_dual_bitop2_b32 v22, 7, v8 bitop3:0x40
; %bb.1293:                             ;   in Loop: Header=BB364_934 Depth=1
	s_or_b32 exec_lo, exec_lo, s18
	v_lshlrev_b32_e32 v6, 24, v6
	s_delay_alu instid0(VALU_DEP_2) | instskip(NEXT) | instid1(VALU_DEP_3)
	v_lshlrev_b32_e32 v7, 20, v22
	v_lshl_add_u32 v5, v5, 23, 0x3c000000
	s_delay_alu instid0(VALU_DEP_3) | instskip(NEXT) | instid1(VALU_DEP_1)
	v_and_b32_e32 v6, 0x80000000, v6
	v_or3_b32 v5, v7, v6, v5
.LBB364_1294:                           ;   in Loop: Header=BB364_934 Depth=1
	s_or_b32 exec_lo, exec_lo, s17
.LBB364_1295:                           ;   in Loop: Header=BB364_934 Depth=1
	s_delay_alu instid0(SALU_CYCLE_1)
	s_or_b32 exec_lo, exec_lo, s16
.LBB364_1296:                           ;   in Loop: Header=BB364_934 Depth=1
	s_delay_alu instid0(SALU_CYCLE_1) | instskip(SKIP_4) | instid1(VALU_DEP_3)
	s_or_b32 exec_lo, exec_lo, s15
	v_and_b32_e32 v8, 0xff, v19
	v_dual_mov_b32 v22, v19 :: v_dual_mov_b32 v7, 0
	v_mov_b32_e32 v6, 0
	s_mov_b32 s15, exec_lo
	v_cmpx_ne_u16_e32 0, v8
	s_cbranch_execz .LBB364_1304
; %bb.1297:                             ;   in Loop: Header=BB364_934 Depth=1
	v_bfrev_b32_e32 v6, 1
	s_mov_b32 s16, exec_lo
	v_cmpx_ne_u16_e32 0x80, v8
	s_cbranch_execz .LBB364_1303
; %bb.1298:                             ;   in Loop: Header=BB364_934 Depth=1
	v_and_b32_e32 v8, 0x7f, v19
	v_mov_b32_e32 v6, 0x7f800001
	s_mov_b32 s17, exec_lo
	s_delay_alu instid0(VALU_DEP_2)
	v_cmpx_ne_u32_e32 0x7f, v8
	s_cbranch_execz .LBB364_1302
; %bb.1299:                             ;   in Loop: Header=BB364_934 Depth=1
	v_mov_b64_e32 v[32:33], v[22:23]
	v_lshrrev_b32_e32 v6, 3, v8
	s_mov_b32 s18, exec_lo
	v_cmpx_gt_u32_e32 8, v8
; %bb.1300:                             ;   in Loop: Header=BB364_934 Depth=1
	v_and_b32_e32 v6, 7, v19
	s_delay_alu instid0(VALU_DEP_1) | instskip(NEXT) | instid1(VALU_DEP_1)
	v_clz_i32_u32_e32 v6, v6
	v_min_u32_e32 v6, 32, v6
	s_delay_alu instid0(VALU_DEP_1) | instskip(SKIP_1) | instid1(VALU_DEP_2)
	v_subrev_nc_u32_e32 v8, 28, v6
	v_sub_nc_u32_e32 v6, 29, v6
	v_lshlrev_b64_e32 v[32:33], v8, v[22:23]
; %bb.1301:                             ;   in Loop: Header=BB364_934 Depth=1
	s_or_b32 exec_lo, exec_lo, s18
	s_delay_alu instid0(VALU_DEP_1) | instskip(NEXT) | instid1(VALU_DEP_3)
	v_dual_lshlrev_b32 v8, 20, v32 :: v_dual_lshlrev_b32 v9, 24, v22
	v_lshl_add_u32 v6, v6, 23, 0x3c000000
	s_delay_alu instid0(VALU_DEP_2) | instskip(NEXT) | instid1(VALU_DEP_3)
	v_and_b32_e32 v8, 0x700000, v8
	v_and_b32_e32 v9, 0x80000000, v9
	s_delay_alu instid0(VALU_DEP_1)
	v_or3_b32 v6, v8, v9, v6
.LBB364_1302:                           ;   in Loop: Header=BB364_934 Depth=1
	s_or_b32 exec_lo, exec_lo, s17
.LBB364_1303:                           ;   in Loop: Header=BB364_934 Depth=1
	s_delay_alu instid0(SALU_CYCLE_1)
	s_or_b32 exec_lo, exec_lo, s16
.LBB364_1304:                           ;   in Loop: Header=BB364_934 Depth=1
	s_delay_alu instid0(SALU_CYCLE_1) | instskip(SKIP_2) | instid1(VALU_DEP_1)
	s_or_b32 exec_lo, exec_lo, s15
	v_lshrrev_b16 v8, 8, v22
	s_mov_b32 s15, exec_lo
	v_cmpx_ne_u16_e32 0, v8
	s_cbranch_execz .LBB364_1312
; %bb.1305:                             ;   in Loop: Header=BB364_934 Depth=1
	v_bfrev_b32_e32 v7, 1
	s_mov_b32 s16, exec_lo
	v_cmpx_ne_u16_e32 0x80, v8
	s_cbranch_execz .LBB364_1311
; %bb.1306:                             ;   in Loop: Header=BB364_934 Depth=1
	v_and_b32_e32 v9, 0xffff, v8
	v_mov_b32_e32 v7, 0x7f800001
	s_mov_b32 s17, exec_lo
	s_delay_alu instid0(VALU_DEP_2) | instskip(NEXT) | instid1(VALU_DEP_1)
	v_and_b32_e32 v8, 0x7f, v9
	v_cmpx_ne_u32_e32 0x7f, v8
	s_cbranch_execz .LBB364_1310
; %bb.1307:                             ;   in Loop: Header=BB364_934 Depth=1
	v_dual_mov_b32 v33, v23 :: v_dual_bitop2_b32 v32, 7, v9 bitop3:0x40
	v_lshrrev_b32_e32 v7, 3, v8
	s_mov_b32 s18, exec_lo
	v_cmpx_gt_u32_e32 8, v8
; %bb.1308:                             ;   in Loop: Header=BB364_934 Depth=1
	s_delay_alu instid0(VALU_DEP_3) | instskip(NEXT) | instid1(VALU_DEP_1)
	v_clz_i32_u32_e32 v7, v32
	v_min_u32_e32 v7, 32, v7
	s_delay_alu instid0(VALU_DEP_1) | instskip(NEXT) | instid1(VALU_DEP_1)
	v_subrev_nc_u32_e32 v8, 28, v7
	v_lshlrev_b64_e32 v[8:9], v8, v[32:33]
	s_delay_alu instid0(VALU_DEP_1)
	v_dual_sub_nc_u32 v7, 29, v7 :: v_dual_bitop2_b32 v32, 7, v8 bitop3:0x40
; %bb.1309:                             ;   in Loop: Header=BB364_934 Depth=1
	s_or_b32 exec_lo, exec_lo, s18
	s_delay_alu instid0(VALU_DEP_1) | instskip(NEXT) | instid1(VALU_DEP_2)
	v_dual_lshlrev_b32 v8, 16, v22 :: v_dual_lshlrev_b32 v9, 20, v32
	v_lshl_add_u32 v7, v7, 23, 0x3c000000
	s_delay_alu instid0(VALU_DEP_2) | instskip(NEXT) | instid1(VALU_DEP_1)
	v_and_b32_e32 v8, 0x80000000, v8
	v_or3_b32 v7, v9, v8, v7
.LBB364_1310:                           ;   in Loop: Header=BB364_934 Depth=1
	s_or_b32 exec_lo, exec_lo, s17
.LBB364_1311:                           ;   in Loop: Header=BB364_934 Depth=1
	s_delay_alu instid0(SALU_CYCLE_1)
	s_or_b32 exec_lo, exec_lo, s16
.LBB364_1312:                           ;   in Loop: Header=BB364_934 Depth=1
	s_delay_alu instid0(SALU_CYCLE_1) | instskip(SKIP_3) | instid1(VALU_DEP_2)
	s_or_b32 exec_lo, exec_lo, s15
	v_dual_lshrrev_b32 v30, 16, v19 :: v_dual_mov_b32 v8, 0
	v_mov_b32_e32 v9, 0
	s_mov_b32 s15, exec_lo
	v_and_b32_e32 v22, 0xff, v30
	s_delay_alu instid0(VALU_DEP_1)
	v_cmpx_ne_u16_e32 0, v22
	s_cbranch_execz .LBB364_1320
; %bb.1313:                             ;   in Loop: Header=BB364_934 Depth=1
	v_bfrev_b32_e32 v9, 1
	s_mov_b32 s16, exec_lo
	v_cmpx_ne_u16_e32 0x80, v22
	s_cbranch_execz .LBB364_1319
; %bb.1314:                             ;   in Loop: Header=BB364_934 Depth=1
	v_bfe_u32 v31, v19, 16, 7
	v_mov_b32_e32 v9, 0x7f800001
	s_mov_b32 s17, exec_lo
	s_delay_alu instid0(VALU_DEP_2)
	v_cmpx_ne_u32_e32 0x7f, v31
	s_cbranch_execz .LBB364_1318
; %bb.1315:                             ;   in Loop: Header=BB364_934 Depth=1
	v_dual_lshrrev_b32 v9, 3, v31 :: v_dual_bitop2_b32 v22, 7, v30 bitop3:0x40
	s_mov_b32 s18, exec_lo
	v_cmpx_gt_u32_e32 8, v31
; %bb.1316:                             ;   in Loop: Header=BB364_934 Depth=1
	s_delay_alu instid0(VALU_DEP_2) | instskip(NEXT) | instid1(VALU_DEP_1)
	v_clz_i32_u32_e32 v9, v22
	v_min_u32_e32 v9, 32, v9
	s_delay_alu instid0(VALU_DEP_1) | instskip(NEXT) | instid1(VALU_DEP_1)
	v_subrev_nc_u32_e32 v31, 28, v9
	v_lshlrev_b64_e32 v[32:33], v31, v[22:23]
	s_delay_alu instid0(VALU_DEP_1)
	v_dual_sub_nc_u32 v9, 29, v9 :: v_dual_bitop2_b32 v22, 7, v32 bitop3:0x40
; %bb.1317:                             ;   in Loop: Header=BB364_934 Depth=1
	s_or_b32 exec_lo, exec_lo, s18
	v_lshlrev_b32_e32 v30, 24, v30
	s_delay_alu instid0(VALU_DEP_2) | instskip(NEXT) | instid1(VALU_DEP_3)
	v_lshlrev_b32_e32 v22, 20, v22
	v_lshl_add_u32 v9, v9, 23, 0x3c000000
	s_delay_alu instid0(VALU_DEP_3) | instskip(NEXT) | instid1(VALU_DEP_1)
	v_and_b32_e32 v30, 0x80000000, v30
	v_or3_b32 v9, v22, v30, v9
.LBB364_1318:                           ;   in Loop: Header=BB364_934 Depth=1
	s_or_b32 exec_lo, exec_lo, s17
.LBB364_1319:                           ;   in Loop: Header=BB364_934 Depth=1
	s_delay_alu instid0(SALU_CYCLE_1)
	s_or_b32 exec_lo, exec_lo, s16
.LBB364_1320:                           ;   in Loop: Header=BB364_934 Depth=1
	s_delay_alu instid0(SALU_CYCLE_1) | instskip(NEXT) | instid1(SALU_CYCLE_1)
	s_or_b32 exec_lo, exec_lo, s15
	s_mov_b32 s15, exec_lo
	v_cmpx_lt_u64_e64 s[2:3], v[18:19]
	s_cbranch_execz .LBB364_1328
; %bb.1321:                             ;   in Loop: Header=BB364_934 Depth=1
	v_lshrrev_b32_e32 v18, 24, v19
	v_bfrev_b32_e32 v8, 1
	s_mov_b32 s16, exec_lo
	s_delay_alu instid0(VALU_DEP_2)
	v_cmpx_ne_u32_e32 0x80, v18
	s_cbranch_execz .LBB364_1327
; %bb.1322:                             ;   in Loop: Header=BB364_934 Depth=1
	v_bfe_u32 v19, v19, 24, 7
	v_mov_b32_e32 v8, 0x7f800001
	s_mov_b32 s17, exec_lo
	s_delay_alu instid0(VALU_DEP_2)
	v_cmpx_ne_u32_e32 0x7f, v19
	s_cbranch_execz .LBB364_1326
; %bb.1323:                             ;   in Loop: Header=BB364_934 Depth=1
	v_dual_lshrrev_b32 v8, 3, v19 :: v_dual_bitop2_b32 v22, 7, v18 bitop3:0x40
	s_mov_b32 s18, exec_lo
	v_cmpx_gt_u32_e32 8, v19
; %bb.1324:                             ;   in Loop: Header=BB364_934 Depth=1
	s_delay_alu instid0(VALU_DEP_2) | instskip(NEXT) | instid1(VALU_DEP_1)
	v_clz_i32_u32_e32 v8, v22
	v_min_u32_e32 v8, 32, v8
	s_delay_alu instid0(VALU_DEP_1) | instskip(NEXT) | instid1(VALU_DEP_1)
	v_subrev_nc_u32_e32 v19, 28, v8
	v_lshlrev_b64_e32 v[30:31], v19, v[22:23]
	s_delay_alu instid0(VALU_DEP_1)
	v_dual_sub_nc_u32 v8, 29, v8 :: v_dual_bitop2_b32 v22, 7, v30 bitop3:0x40
; %bb.1325:                             ;   in Loop: Header=BB364_934 Depth=1
	s_or_b32 exec_lo, exec_lo, s18
	v_lshlrev_b32_e32 v18, 24, v18
	s_delay_alu instid0(VALU_DEP_2) | instskip(NEXT) | instid1(VALU_DEP_3)
	v_lshlrev_b32_e32 v19, 20, v22
	v_lshl_add_u32 v8, v8, 23, 0x3c000000
	s_delay_alu instid0(VALU_DEP_3) | instskip(NEXT) | instid1(VALU_DEP_1)
	v_and_b32_e32 v18, 0x80000000, v18
	v_or3_b32 v8, v19, v18, v8
.LBB364_1326:                           ;   in Loop: Header=BB364_934 Depth=1
	s_or_b32 exec_lo, exec_lo, s17
.LBB364_1327:                           ;   in Loop: Header=BB364_934 Depth=1
	s_delay_alu instid0(SALU_CYCLE_1)
	s_or_b32 exec_lo, exec_lo, s16
.LBB364_1328:                           ;   in Loop: Header=BB364_934 Depth=1
	s_delay_alu instid0(SALU_CYCLE_1)
	s_or_b32 exec_lo, exec_lo, s15
	v_fma_mixlo_bf16 v56, v37, v7, 0
	v_fma_mixlo_bf16 v57, v37, v6, 0
	;; [unrolled: 1-line block ×8, first 2 shown]
	s_and_saveexec_b32 s15, vcc_lo
	s_cbranch_execz .LBB364_1330
; %bb.1329:                             ;   in Loop: Header=BB364_934 Depth=1
	v_cmp_lt_i32_e64 s0, v83, v106
	s_delay_alu instid0(VALU_DEP_1) | instskip(SKIP_1) | instid1(VALU_DEP_1)
	v_cndmask_b32_e64 v63, 0, v63, s0
	v_cmp_lt_i32_e64 s0, v87, v106
	v_cndmask_b32_e64 v62, 0, v62, s0
	v_cmp_lt_i32_e64 s0, v86, v106
	s_delay_alu instid0(VALU_DEP_1) | instskip(SKIP_1) | instid1(VALU_DEP_1)
	v_cndmask_b32_e64 v61, 0, v61, s0
	v_cmp_lt_i32_e64 s0, v85, v106
	v_cndmask_b32_e64 v60, 0, v60, s0
	;; [unrolled: 5-line block ×4, first 2 shown]
.LBB364_1330:                           ;   in Loop: Header=BB364_934 Depth=1
	s_or_b32 exec_lo, exec_lo, s15
	flat_load_b64 v[18:19], v[0:1] offset:1536
	v_dual_mov_b32 v3, 0 :: v_dual_mov_b32 v2, 0
	s_mov_b32 s15, exec_lo
	s_wait_loadcnt_dscnt 0x0
	v_and_b32_e32 v4, 0xff, v18
	s_wait_xcnt 0x0
	s_delay_alu instid0(VALU_DEP_1)
	v_cmpx_ne_u16_e32 0, v4
	s_cbranch_execz .LBB364_1338
; %bb.1331:                             ;   in Loop: Header=BB364_934 Depth=1
	v_bfrev_b32_e32 v2, 1
	s_mov_b32 s16, exec_lo
	v_cmpx_ne_u16_e32 0x80, v4
	s_cbranch_execz .LBB364_1337
; %bb.1332:                             ;   in Loop: Header=BB364_934 Depth=1
	v_and_b32_e32 v4, 0x7f, v18
	v_mov_b32_e32 v2, 0x7f800001
	s_mov_b32 s17, exec_lo
	s_delay_alu instid0(VALU_DEP_2)
	v_cmpx_ne_u32_e32 0x7f, v4
	s_cbranch_execz .LBB364_1336
; %bb.1333:                             ;   in Loop: Header=BB364_934 Depth=1
	v_mov_b64_e32 v[32:33], v[18:19]
	v_lshrrev_b32_e32 v2, 3, v4
	s_mov_b32 s18, exec_lo
	v_cmpx_gt_u32_e32 8, v4
; %bb.1334:                             ;   in Loop: Header=BB364_934 Depth=1
	v_and_b32_e32 v2, 7, v18
	s_delay_alu instid0(VALU_DEP_1) | instskip(NEXT) | instid1(VALU_DEP_1)
	v_clz_i32_u32_e32 v2, v2
	v_min_u32_e32 v2, 32, v2
	s_delay_alu instid0(VALU_DEP_1) | instskip(SKIP_1) | instid1(VALU_DEP_2)
	v_subrev_nc_u32_e32 v4, 28, v2
	v_sub_nc_u32_e32 v2, 29, v2
	v_lshlrev_b64_e32 v[32:33], v4, v[18:19]
; %bb.1335:                             ;   in Loop: Header=BB364_934 Depth=1
	s_or_b32 exec_lo, exec_lo, s18
	s_delay_alu instid0(VALU_DEP_1) | instskip(NEXT) | instid1(VALU_DEP_3)
	v_dual_lshlrev_b32 v4, 20, v32 :: v_dual_lshlrev_b32 v5, 24, v18
	v_lshl_add_u32 v2, v2, 23, 0x3c000000
	s_delay_alu instid0(VALU_DEP_2) | instskip(NEXT) | instid1(VALU_DEP_3)
	v_and_b32_e32 v4, 0x700000, v4
	v_and_b32_e32 v5, 0x80000000, v5
	s_delay_alu instid0(VALU_DEP_1)
	v_or3_b32 v2, v4, v5, v2
.LBB364_1336:                           ;   in Loop: Header=BB364_934 Depth=1
	s_or_b32 exec_lo, exec_lo, s17
.LBB364_1337:                           ;   in Loop: Header=BB364_934 Depth=1
	s_delay_alu instid0(SALU_CYCLE_1)
	s_or_b32 exec_lo, exec_lo, s16
.LBB364_1338:                           ;   in Loop: Header=BB364_934 Depth=1
	s_delay_alu instid0(SALU_CYCLE_1) | instskip(SKIP_2) | instid1(VALU_DEP_1)
	s_or_b32 exec_lo, exec_lo, s15
	v_lshrrev_b16 v4, 8, v18
	s_mov_b32 s15, exec_lo
	v_cmpx_ne_u16_e32 0, v4
	s_cbranch_execz .LBB364_1346
; %bb.1339:                             ;   in Loop: Header=BB364_934 Depth=1
	v_bfrev_b32_e32 v3, 1
	s_mov_b32 s16, exec_lo
	v_cmpx_ne_u16_e32 0x80, v4
	s_cbranch_execz .LBB364_1345
; %bb.1340:                             ;   in Loop: Header=BB364_934 Depth=1
	v_and_b32_e32 v5, 0xffff, v4
	v_mov_b32_e32 v3, 0x7f800001
	s_mov_b32 s17, exec_lo
	s_delay_alu instid0(VALU_DEP_2) | instskip(NEXT) | instid1(VALU_DEP_1)
	v_and_b32_e32 v4, 0x7f, v5
	v_cmpx_ne_u32_e32 0x7f, v4
	s_cbranch_execz .LBB364_1344
; %bb.1341:                             ;   in Loop: Header=BB364_934 Depth=1
	v_dual_lshrrev_b32 v3, 3, v4 :: v_dual_bitop2_b32 v22, 7, v5 bitop3:0x40
	s_mov_b32 s18, exec_lo
	v_cmpx_gt_u32_e32 8, v4
; %bb.1342:                             ;   in Loop: Header=BB364_934 Depth=1
	s_delay_alu instid0(VALU_DEP_2) | instskip(NEXT) | instid1(VALU_DEP_1)
	v_clz_i32_u32_e32 v3, v22
	v_min_u32_e32 v3, 32, v3
	s_delay_alu instid0(VALU_DEP_1) | instskip(NEXT) | instid1(VALU_DEP_1)
	v_subrev_nc_u32_e32 v4, 28, v3
	v_lshlrev_b64_e32 v[4:5], v4, v[22:23]
	s_delay_alu instid0(VALU_DEP_1)
	v_dual_sub_nc_u32 v3, 29, v3 :: v_dual_bitop2_b32 v22, 7, v4 bitop3:0x40
; %bb.1343:                             ;   in Loop: Header=BB364_934 Depth=1
	s_or_b32 exec_lo, exec_lo, s18
	v_lshlrev_b32_e32 v4, 16, v18
	s_delay_alu instid0(VALU_DEP_2) | instskip(NEXT) | instid1(VALU_DEP_3)
	v_lshlrev_b32_e32 v5, 20, v22
	v_lshl_add_u32 v3, v3, 23, 0x3c000000
	s_delay_alu instid0(VALU_DEP_3) | instskip(NEXT) | instid1(VALU_DEP_1)
	v_and_b32_e32 v4, 0x80000000, v4
	v_or3_b32 v3, v5, v4, v3
.LBB364_1344:                           ;   in Loop: Header=BB364_934 Depth=1
	s_or_b32 exec_lo, exec_lo, s17
.LBB364_1345:                           ;   in Loop: Header=BB364_934 Depth=1
	s_delay_alu instid0(SALU_CYCLE_1)
	s_or_b32 exec_lo, exec_lo, s16
.LBB364_1346:                           ;   in Loop: Header=BB364_934 Depth=1
	s_delay_alu instid0(SALU_CYCLE_1) | instskip(SKIP_3) | instid1(VALU_DEP_2)
	s_or_b32 exec_lo, exec_lo, s15
	v_dual_mov_b32 v5, 0 :: v_dual_lshrrev_b32 v6, 16, v18
	v_mov_b32_e32 v4, 0
	s_mov_b32 s15, exec_lo
	v_and_b32_e32 v7, 0xff, v6
	s_delay_alu instid0(VALU_DEP_1)
	v_cmpx_ne_u16_e32 0, v7
	s_cbranch_execz .LBB364_1354
; %bb.1347:                             ;   in Loop: Header=BB364_934 Depth=1
	v_bfrev_b32_e32 v4, 1
	s_mov_b32 s16, exec_lo
	v_cmpx_ne_u16_e32 0x80, v7
	s_cbranch_execz .LBB364_1353
; %bb.1348:                             ;   in Loop: Header=BB364_934 Depth=1
	v_bfe_u32 v7, v18, 16, 7
	v_mov_b32_e32 v4, 0x7f800001
	s_mov_b32 s17, exec_lo
	s_delay_alu instid0(VALU_DEP_2)
	v_cmpx_ne_u32_e32 0x7f, v7
	s_cbranch_execz .LBB364_1352
; %bb.1349:                             ;   in Loop: Header=BB364_934 Depth=1
	v_dual_lshrrev_b32 v4, 3, v7 :: v_dual_bitop2_b32 v22, 7, v6 bitop3:0x40
	s_mov_b32 s18, exec_lo
	v_cmpx_gt_u32_e32 8, v7
; %bb.1350:                             ;   in Loop: Header=BB364_934 Depth=1
	s_delay_alu instid0(VALU_DEP_2) | instskip(NEXT) | instid1(VALU_DEP_1)
	v_clz_i32_u32_e32 v4, v22
	v_min_u32_e32 v4, 32, v4
	s_delay_alu instid0(VALU_DEP_1) | instskip(SKIP_1) | instid1(VALU_DEP_2)
	v_subrev_nc_u32_e32 v7, 28, v4
	v_sub_nc_u32_e32 v4, 29, v4
	v_lshlrev_b64_e32 v[8:9], v7, v[22:23]
	s_delay_alu instid0(VALU_DEP_1)
	v_and_b32_e32 v22, 7, v8
; %bb.1351:                             ;   in Loop: Header=BB364_934 Depth=1
	s_or_b32 exec_lo, exec_lo, s18
	v_lshlrev_b32_e32 v6, 24, v6
	s_delay_alu instid0(VALU_DEP_2) | instskip(SKIP_1) | instid1(VALU_DEP_3)
	v_lshlrev_b32_e32 v7, 20, v22
	v_lshl_add_u32 v4, v4, 23, 0x3c000000
	v_and_b32_e32 v6, 0x80000000, v6
	s_delay_alu instid0(VALU_DEP_1)
	v_or3_b32 v4, v7, v6, v4
.LBB364_1352:                           ;   in Loop: Header=BB364_934 Depth=1
	s_or_b32 exec_lo, exec_lo, s17
.LBB364_1353:                           ;   in Loop: Header=BB364_934 Depth=1
	s_delay_alu instid0(SALU_CYCLE_1)
	s_or_b32 exec_lo, exec_lo, s16
.LBB364_1354:                           ;   in Loop: Header=BB364_934 Depth=1
	s_delay_alu instid0(SALU_CYCLE_1) | instskip(NEXT) | instid1(SALU_CYCLE_1)
	s_or_b32 exec_lo, exec_lo, s15
	s_mov_b32 s15, exec_lo
	v_cmpx_lt_u32_e32 0xffffff, v18
	s_cbranch_execz .LBB364_1362
; %bb.1355:                             ;   in Loop: Header=BB364_934 Depth=1
	v_lshrrev_b32_e32 v6, 24, v18
	v_bfrev_b32_e32 v5, 1
	s_mov_b32 s16, exec_lo
	s_delay_alu instid0(VALU_DEP_2)
	v_cmpx_ne_u32_e32 0x80, v6
	s_cbranch_execz .LBB364_1361
; %bb.1356:                             ;   in Loop: Header=BB364_934 Depth=1
	v_bfe_u32 v7, v18, 24, 7
	v_mov_b32_e32 v5, 0x7f800001
	s_mov_b32 s17, exec_lo
	s_delay_alu instid0(VALU_DEP_2)
	v_cmpx_ne_u32_e32 0x7f, v7
	s_cbranch_execz .LBB364_1360
; %bb.1357:                             ;   in Loop: Header=BB364_934 Depth=1
	v_dual_lshrrev_b32 v5, 3, v7 :: v_dual_bitop2_b32 v22, 7, v6 bitop3:0x40
	s_mov_b32 s18, exec_lo
	v_cmpx_gt_u32_e32 8, v7
; %bb.1358:                             ;   in Loop: Header=BB364_934 Depth=1
	s_delay_alu instid0(VALU_DEP_2) | instskip(NEXT) | instid1(VALU_DEP_1)
	v_clz_i32_u32_e32 v5, v22
	v_min_u32_e32 v5, 32, v5
	s_delay_alu instid0(VALU_DEP_1) | instskip(NEXT) | instid1(VALU_DEP_1)
	v_subrev_nc_u32_e32 v7, 28, v5
	v_lshlrev_b64_e32 v[8:9], v7, v[22:23]
	s_delay_alu instid0(VALU_DEP_1)
	v_dual_sub_nc_u32 v5, 29, v5 :: v_dual_bitop2_b32 v22, 7, v8 bitop3:0x40
; %bb.1359:                             ;   in Loop: Header=BB364_934 Depth=1
	s_or_b32 exec_lo, exec_lo, s18
	v_lshlrev_b32_e32 v6, 24, v6
	s_delay_alu instid0(VALU_DEP_2) | instskip(NEXT) | instid1(VALU_DEP_3)
	v_lshlrev_b32_e32 v7, 20, v22
	v_lshl_add_u32 v5, v5, 23, 0x3c000000
	s_delay_alu instid0(VALU_DEP_3) | instskip(NEXT) | instid1(VALU_DEP_1)
	v_and_b32_e32 v6, 0x80000000, v6
	v_or3_b32 v5, v7, v6, v5
.LBB364_1360:                           ;   in Loop: Header=BB364_934 Depth=1
	s_or_b32 exec_lo, exec_lo, s17
.LBB364_1361:                           ;   in Loop: Header=BB364_934 Depth=1
	s_delay_alu instid0(SALU_CYCLE_1)
	s_or_b32 exec_lo, exec_lo, s16
.LBB364_1362:                           ;   in Loop: Header=BB364_934 Depth=1
	s_delay_alu instid0(SALU_CYCLE_1) | instskip(SKIP_4) | instid1(VALU_DEP_3)
	s_or_b32 exec_lo, exec_lo, s15
	v_and_b32_e32 v8, 0xff, v19
	v_dual_mov_b32 v22, v19 :: v_dual_mov_b32 v7, 0
	v_mov_b32_e32 v6, 0
	s_mov_b32 s15, exec_lo
	v_cmpx_ne_u16_e32 0, v8
	s_cbranch_execz .LBB364_1370
; %bb.1363:                             ;   in Loop: Header=BB364_934 Depth=1
	v_bfrev_b32_e32 v6, 1
	s_mov_b32 s16, exec_lo
	v_cmpx_ne_u16_e32 0x80, v8
	s_cbranch_execz .LBB364_1369
; %bb.1364:                             ;   in Loop: Header=BB364_934 Depth=1
	v_and_b32_e32 v8, 0x7f, v19
	v_mov_b32_e32 v6, 0x7f800001
	s_mov_b32 s17, exec_lo
	s_delay_alu instid0(VALU_DEP_2)
	v_cmpx_ne_u32_e32 0x7f, v8
	s_cbranch_execz .LBB364_1368
; %bb.1365:                             ;   in Loop: Header=BB364_934 Depth=1
	v_mov_b64_e32 v[32:33], v[22:23]
	v_lshrrev_b32_e32 v6, 3, v8
	s_mov_b32 s18, exec_lo
	v_cmpx_gt_u32_e32 8, v8
; %bb.1366:                             ;   in Loop: Header=BB364_934 Depth=1
	v_and_b32_e32 v6, 7, v19
	s_delay_alu instid0(VALU_DEP_1) | instskip(NEXT) | instid1(VALU_DEP_1)
	v_clz_i32_u32_e32 v6, v6
	v_min_u32_e32 v6, 32, v6
	s_delay_alu instid0(VALU_DEP_1) | instskip(SKIP_1) | instid1(VALU_DEP_2)
	v_subrev_nc_u32_e32 v8, 28, v6
	v_sub_nc_u32_e32 v6, 29, v6
	v_lshlrev_b64_e32 v[32:33], v8, v[22:23]
; %bb.1367:                             ;   in Loop: Header=BB364_934 Depth=1
	s_or_b32 exec_lo, exec_lo, s18
	s_delay_alu instid0(VALU_DEP_1) | instskip(NEXT) | instid1(VALU_DEP_3)
	v_dual_lshlrev_b32 v8, 20, v32 :: v_dual_lshlrev_b32 v9, 24, v22
	v_lshl_add_u32 v6, v6, 23, 0x3c000000
	s_delay_alu instid0(VALU_DEP_2) | instskip(NEXT) | instid1(VALU_DEP_3)
	v_and_b32_e32 v8, 0x700000, v8
	v_and_b32_e32 v9, 0x80000000, v9
	s_delay_alu instid0(VALU_DEP_1)
	v_or3_b32 v6, v8, v9, v6
.LBB364_1368:                           ;   in Loop: Header=BB364_934 Depth=1
	s_or_b32 exec_lo, exec_lo, s17
.LBB364_1369:                           ;   in Loop: Header=BB364_934 Depth=1
	s_delay_alu instid0(SALU_CYCLE_1)
	s_or_b32 exec_lo, exec_lo, s16
.LBB364_1370:                           ;   in Loop: Header=BB364_934 Depth=1
	s_delay_alu instid0(SALU_CYCLE_1) | instskip(SKIP_2) | instid1(VALU_DEP_1)
	s_or_b32 exec_lo, exec_lo, s15
	v_lshrrev_b16 v8, 8, v22
	s_mov_b32 s15, exec_lo
	v_cmpx_ne_u16_e32 0, v8
	s_cbranch_execz .LBB364_1378
; %bb.1371:                             ;   in Loop: Header=BB364_934 Depth=1
	v_bfrev_b32_e32 v7, 1
	s_mov_b32 s16, exec_lo
	v_cmpx_ne_u16_e32 0x80, v8
	s_cbranch_execz .LBB364_1377
; %bb.1372:                             ;   in Loop: Header=BB364_934 Depth=1
	v_and_b32_e32 v9, 0xffff, v8
	v_mov_b32_e32 v7, 0x7f800001
	s_mov_b32 s17, exec_lo
	s_delay_alu instid0(VALU_DEP_2) | instskip(NEXT) | instid1(VALU_DEP_1)
	v_and_b32_e32 v8, 0x7f, v9
	v_cmpx_ne_u32_e32 0x7f, v8
	s_cbranch_execz .LBB364_1376
; %bb.1373:                             ;   in Loop: Header=BB364_934 Depth=1
	v_dual_mov_b32 v33, v23 :: v_dual_bitop2_b32 v32, 7, v9 bitop3:0x40
	v_lshrrev_b32_e32 v7, 3, v8
	s_mov_b32 s18, exec_lo
	v_cmpx_gt_u32_e32 8, v8
; %bb.1374:                             ;   in Loop: Header=BB364_934 Depth=1
	s_delay_alu instid0(VALU_DEP_3) | instskip(NEXT) | instid1(VALU_DEP_1)
	v_clz_i32_u32_e32 v7, v32
	v_min_u32_e32 v7, 32, v7
	s_delay_alu instid0(VALU_DEP_1) | instskip(NEXT) | instid1(VALU_DEP_1)
	v_subrev_nc_u32_e32 v8, 28, v7
	v_lshlrev_b64_e32 v[8:9], v8, v[32:33]
	s_delay_alu instid0(VALU_DEP_1)
	v_dual_sub_nc_u32 v7, 29, v7 :: v_dual_bitop2_b32 v32, 7, v8 bitop3:0x40
; %bb.1375:                             ;   in Loop: Header=BB364_934 Depth=1
	s_or_b32 exec_lo, exec_lo, s18
	s_delay_alu instid0(VALU_DEP_1) | instskip(NEXT) | instid1(VALU_DEP_2)
	v_dual_lshlrev_b32 v8, 16, v22 :: v_dual_lshlrev_b32 v9, 20, v32
	v_lshl_add_u32 v7, v7, 23, 0x3c000000
	s_delay_alu instid0(VALU_DEP_2) | instskip(NEXT) | instid1(VALU_DEP_1)
	v_and_b32_e32 v8, 0x80000000, v8
	v_or3_b32 v7, v9, v8, v7
.LBB364_1376:                           ;   in Loop: Header=BB364_934 Depth=1
	s_or_b32 exec_lo, exec_lo, s17
.LBB364_1377:                           ;   in Loop: Header=BB364_934 Depth=1
	s_delay_alu instid0(SALU_CYCLE_1)
	s_or_b32 exec_lo, exec_lo, s16
.LBB364_1378:                           ;   in Loop: Header=BB364_934 Depth=1
	s_delay_alu instid0(SALU_CYCLE_1) | instskip(SKIP_3) | instid1(VALU_DEP_2)
	s_or_b32 exec_lo, exec_lo, s15
	v_dual_lshrrev_b32 v30, 16, v19 :: v_dual_mov_b32 v8, 0
	v_mov_b32_e32 v9, 0
	s_mov_b32 s15, exec_lo
	v_and_b32_e32 v22, 0xff, v30
	s_delay_alu instid0(VALU_DEP_1)
	v_cmpx_ne_u16_e32 0, v22
	s_cbranch_execz .LBB364_1386
; %bb.1379:                             ;   in Loop: Header=BB364_934 Depth=1
	v_bfrev_b32_e32 v9, 1
	s_mov_b32 s16, exec_lo
	v_cmpx_ne_u16_e32 0x80, v22
	s_cbranch_execz .LBB364_1385
; %bb.1380:                             ;   in Loop: Header=BB364_934 Depth=1
	v_bfe_u32 v31, v19, 16, 7
	v_mov_b32_e32 v9, 0x7f800001
	s_mov_b32 s17, exec_lo
	s_delay_alu instid0(VALU_DEP_2)
	v_cmpx_ne_u32_e32 0x7f, v31
	s_cbranch_execz .LBB364_1384
; %bb.1381:                             ;   in Loop: Header=BB364_934 Depth=1
	v_dual_lshrrev_b32 v9, 3, v31 :: v_dual_bitop2_b32 v22, 7, v30 bitop3:0x40
	s_mov_b32 s18, exec_lo
	v_cmpx_gt_u32_e32 8, v31
; %bb.1382:                             ;   in Loop: Header=BB364_934 Depth=1
	s_delay_alu instid0(VALU_DEP_2) | instskip(NEXT) | instid1(VALU_DEP_1)
	v_clz_i32_u32_e32 v9, v22
	v_min_u32_e32 v9, 32, v9
	s_delay_alu instid0(VALU_DEP_1) | instskip(NEXT) | instid1(VALU_DEP_1)
	v_subrev_nc_u32_e32 v31, 28, v9
	v_lshlrev_b64_e32 v[32:33], v31, v[22:23]
	s_delay_alu instid0(VALU_DEP_1)
	v_dual_sub_nc_u32 v9, 29, v9 :: v_dual_bitop2_b32 v22, 7, v32 bitop3:0x40
; %bb.1383:                             ;   in Loop: Header=BB364_934 Depth=1
	s_or_b32 exec_lo, exec_lo, s18
	v_lshlrev_b32_e32 v30, 24, v30
	s_delay_alu instid0(VALU_DEP_2) | instskip(NEXT) | instid1(VALU_DEP_3)
	v_lshlrev_b32_e32 v22, 20, v22
	v_lshl_add_u32 v9, v9, 23, 0x3c000000
	s_delay_alu instid0(VALU_DEP_3) | instskip(NEXT) | instid1(VALU_DEP_1)
	v_and_b32_e32 v30, 0x80000000, v30
	v_or3_b32 v9, v22, v30, v9
.LBB364_1384:                           ;   in Loop: Header=BB364_934 Depth=1
	s_or_b32 exec_lo, exec_lo, s17
.LBB364_1385:                           ;   in Loop: Header=BB364_934 Depth=1
	s_delay_alu instid0(SALU_CYCLE_1)
	s_or_b32 exec_lo, exec_lo, s16
.LBB364_1386:                           ;   in Loop: Header=BB364_934 Depth=1
	s_delay_alu instid0(SALU_CYCLE_1) | instskip(NEXT) | instid1(SALU_CYCLE_1)
	s_or_b32 exec_lo, exec_lo, s15
	s_mov_b32 s15, exec_lo
	v_cmpx_lt_u64_e64 s[2:3], v[18:19]
	s_cbranch_execz .LBB364_1394
; %bb.1387:                             ;   in Loop: Header=BB364_934 Depth=1
	v_lshrrev_b32_e32 v18, 24, v19
	v_bfrev_b32_e32 v8, 1
	s_mov_b32 s16, exec_lo
	s_delay_alu instid0(VALU_DEP_2)
	v_cmpx_ne_u32_e32 0x80, v18
	s_cbranch_execz .LBB364_1393
; %bb.1388:                             ;   in Loop: Header=BB364_934 Depth=1
	v_bfe_u32 v19, v19, 24, 7
	v_mov_b32_e32 v8, 0x7f800001
	s_mov_b32 s17, exec_lo
	s_delay_alu instid0(VALU_DEP_2)
	v_cmpx_ne_u32_e32 0x7f, v19
	s_cbranch_execz .LBB364_1392
; %bb.1389:                             ;   in Loop: Header=BB364_934 Depth=1
	v_dual_lshrrev_b32 v8, 3, v19 :: v_dual_bitop2_b32 v22, 7, v18 bitop3:0x40
	s_mov_b32 s18, exec_lo
	v_cmpx_gt_u32_e32 8, v19
; %bb.1390:                             ;   in Loop: Header=BB364_934 Depth=1
	s_delay_alu instid0(VALU_DEP_2) | instskip(NEXT) | instid1(VALU_DEP_1)
	v_clz_i32_u32_e32 v8, v22
	v_min_u32_e32 v8, 32, v8
	s_delay_alu instid0(VALU_DEP_1) | instskip(NEXT) | instid1(VALU_DEP_1)
	v_subrev_nc_u32_e32 v19, 28, v8
	v_lshlrev_b64_e32 v[30:31], v19, v[22:23]
	s_delay_alu instid0(VALU_DEP_1)
	v_dual_sub_nc_u32 v8, 29, v8 :: v_dual_bitop2_b32 v22, 7, v30 bitop3:0x40
; %bb.1391:                             ;   in Loop: Header=BB364_934 Depth=1
	s_or_b32 exec_lo, exec_lo, s18
	v_lshlrev_b32_e32 v18, 24, v18
	s_delay_alu instid0(VALU_DEP_2) | instskip(NEXT) | instid1(VALU_DEP_3)
	v_lshlrev_b32_e32 v19, 20, v22
	v_lshl_add_u32 v8, v8, 23, 0x3c000000
	s_delay_alu instid0(VALU_DEP_3) | instskip(NEXT) | instid1(VALU_DEP_1)
	v_and_b32_e32 v18, 0x80000000, v18
	v_or3_b32 v8, v19, v18, v8
.LBB364_1392:                           ;   in Loop: Header=BB364_934 Depth=1
	s_or_b32 exec_lo, exec_lo, s17
.LBB364_1393:                           ;   in Loop: Header=BB364_934 Depth=1
	s_delay_alu instid0(SALU_CYCLE_1)
	s_or_b32 exec_lo, exec_lo, s16
.LBB364_1394:                           ;   in Loop: Header=BB364_934 Depth=1
	s_delay_alu instid0(SALU_CYCLE_1)
	s_or_b32 exec_lo, exec_lo, s15
	v_fma_mixlo_bf16 v72, v37, v7, 0
	v_fma_mixlo_bf16 v73, v37, v6, 0
	;; [unrolled: 1-line block ×8, first 2 shown]
	s_and_saveexec_b32 s15, vcc_lo
	s_cbranch_execz .LBB364_1396
; %bb.1395:                             ;   in Loop: Header=BB364_934 Depth=1
	v_cmp_lt_i32_e64 s0, v83, v106
	s_delay_alu instid0(VALU_DEP_1) | instskip(SKIP_1) | instid1(VALU_DEP_1)
	v_cndmask_b32_e64 v79, 0, v79, s0
	v_cmp_lt_i32_e64 s0, v87, v106
	v_cndmask_b32_e64 v78, 0, v78, s0
	v_cmp_lt_i32_e64 s0, v86, v106
	s_delay_alu instid0(VALU_DEP_1) | instskip(SKIP_1) | instid1(VALU_DEP_1)
	v_cndmask_b32_e64 v77, 0, v77, s0
	v_cmp_lt_i32_e64 s0, v85, v106
	v_cndmask_b32_e64 v76, 0, v76, s0
	;; [unrolled: 5-line block ×4, first 2 shown]
.LBB364_1396:                           ;   in Loop: Header=BB364_934 Depth=1
	s_or_b32 exec_lo, exec_lo, s15
	flat_load_b64 v[18:19], v[0:1] offset:1792
	v_dual_mov_b32 v3, 0 :: v_dual_mov_b32 v2, 0
	s_mov_b32 s15, exec_lo
	s_wait_loadcnt_dscnt 0x0
	v_and_b32_e32 v4, 0xff, v18
	s_wait_xcnt 0x0
	s_delay_alu instid0(VALU_DEP_1)
	v_cmpx_ne_u16_e32 0, v4
	s_cbranch_execz .LBB364_1404
; %bb.1397:                             ;   in Loop: Header=BB364_934 Depth=1
	v_bfrev_b32_e32 v2, 1
	s_mov_b32 s16, exec_lo
	v_cmpx_ne_u16_e32 0x80, v4
	s_cbranch_execz .LBB364_1403
; %bb.1398:                             ;   in Loop: Header=BB364_934 Depth=1
	v_and_b32_e32 v4, 0x7f, v18
	v_mov_b32_e32 v2, 0x7f800001
	s_mov_b32 s17, exec_lo
	s_delay_alu instid0(VALU_DEP_2)
	v_cmpx_ne_u32_e32 0x7f, v4
	s_cbranch_execz .LBB364_1402
; %bb.1399:                             ;   in Loop: Header=BB364_934 Depth=1
	v_mov_b64_e32 v[32:33], v[18:19]
	v_lshrrev_b32_e32 v2, 3, v4
	s_mov_b32 s18, exec_lo
	v_cmpx_gt_u32_e32 8, v4
; %bb.1400:                             ;   in Loop: Header=BB364_934 Depth=1
	v_and_b32_e32 v2, 7, v18
	s_delay_alu instid0(VALU_DEP_1) | instskip(NEXT) | instid1(VALU_DEP_1)
	v_clz_i32_u32_e32 v2, v2
	v_min_u32_e32 v2, 32, v2
	s_delay_alu instid0(VALU_DEP_1) | instskip(SKIP_1) | instid1(VALU_DEP_2)
	v_subrev_nc_u32_e32 v4, 28, v2
	v_sub_nc_u32_e32 v2, 29, v2
	v_lshlrev_b64_e32 v[32:33], v4, v[18:19]
; %bb.1401:                             ;   in Loop: Header=BB364_934 Depth=1
	s_or_b32 exec_lo, exec_lo, s18
	s_delay_alu instid0(VALU_DEP_1) | instskip(NEXT) | instid1(VALU_DEP_3)
	v_dual_lshlrev_b32 v4, 20, v32 :: v_dual_lshlrev_b32 v5, 24, v18
	v_lshl_add_u32 v2, v2, 23, 0x3c000000
	s_delay_alu instid0(VALU_DEP_2) | instskip(NEXT) | instid1(VALU_DEP_3)
	v_and_b32_e32 v4, 0x700000, v4
	v_and_b32_e32 v5, 0x80000000, v5
	s_delay_alu instid0(VALU_DEP_1)
	v_or3_b32 v2, v4, v5, v2
.LBB364_1402:                           ;   in Loop: Header=BB364_934 Depth=1
	s_or_b32 exec_lo, exec_lo, s17
.LBB364_1403:                           ;   in Loop: Header=BB364_934 Depth=1
	s_delay_alu instid0(SALU_CYCLE_1)
	s_or_b32 exec_lo, exec_lo, s16
.LBB364_1404:                           ;   in Loop: Header=BB364_934 Depth=1
	s_delay_alu instid0(SALU_CYCLE_1) | instskip(SKIP_2) | instid1(VALU_DEP_1)
	s_or_b32 exec_lo, exec_lo, s15
	v_lshrrev_b16 v4, 8, v18
	s_mov_b32 s15, exec_lo
	v_cmpx_ne_u16_e32 0, v4
	s_cbranch_execz .LBB364_1412
; %bb.1405:                             ;   in Loop: Header=BB364_934 Depth=1
	v_bfrev_b32_e32 v3, 1
	s_mov_b32 s16, exec_lo
	v_cmpx_ne_u16_e32 0x80, v4
	s_cbranch_execz .LBB364_1411
; %bb.1406:                             ;   in Loop: Header=BB364_934 Depth=1
	v_and_b32_e32 v5, 0xffff, v4
	v_mov_b32_e32 v3, 0x7f800001
	s_mov_b32 s17, exec_lo
	s_delay_alu instid0(VALU_DEP_2) | instskip(NEXT) | instid1(VALU_DEP_1)
	v_and_b32_e32 v4, 0x7f, v5
	v_cmpx_ne_u32_e32 0x7f, v4
	s_cbranch_execz .LBB364_1410
; %bb.1407:                             ;   in Loop: Header=BB364_934 Depth=1
	v_dual_lshrrev_b32 v3, 3, v4 :: v_dual_bitop2_b32 v22, 7, v5 bitop3:0x40
	s_mov_b32 s18, exec_lo
	v_cmpx_gt_u32_e32 8, v4
; %bb.1408:                             ;   in Loop: Header=BB364_934 Depth=1
	s_delay_alu instid0(VALU_DEP_2) | instskip(NEXT) | instid1(VALU_DEP_1)
	v_clz_i32_u32_e32 v3, v22
	v_min_u32_e32 v3, 32, v3
	s_delay_alu instid0(VALU_DEP_1) | instskip(NEXT) | instid1(VALU_DEP_1)
	v_subrev_nc_u32_e32 v4, 28, v3
	v_lshlrev_b64_e32 v[4:5], v4, v[22:23]
	s_delay_alu instid0(VALU_DEP_1)
	v_dual_sub_nc_u32 v3, 29, v3 :: v_dual_bitop2_b32 v22, 7, v4 bitop3:0x40
; %bb.1409:                             ;   in Loop: Header=BB364_934 Depth=1
	s_or_b32 exec_lo, exec_lo, s18
	v_lshlrev_b32_e32 v4, 16, v18
	s_delay_alu instid0(VALU_DEP_2) | instskip(NEXT) | instid1(VALU_DEP_3)
	v_lshlrev_b32_e32 v5, 20, v22
	v_lshl_add_u32 v3, v3, 23, 0x3c000000
	s_delay_alu instid0(VALU_DEP_3) | instskip(NEXT) | instid1(VALU_DEP_1)
	v_and_b32_e32 v4, 0x80000000, v4
	v_or3_b32 v3, v5, v4, v3
.LBB364_1410:                           ;   in Loop: Header=BB364_934 Depth=1
	s_or_b32 exec_lo, exec_lo, s17
.LBB364_1411:                           ;   in Loop: Header=BB364_934 Depth=1
	s_delay_alu instid0(SALU_CYCLE_1)
	s_or_b32 exec_lo, exec_lo, s16
.LBB364_1412:                           ;   in Loop: Header=BB364_934 Depth=1
	s_delay_alu instid0(SALU_CYCLE_1) | instskip(SKIP_3) | instid1(VALU_DEP_2)
	s_or_b32 exec_lo, exec_lo, s15
	v_dual_mov_b32 v5, 0 :: v_dual_lshrrev_b32 v6, 16, v18
	v_mov_b32_e32 v4, 0
	s_mov_b32 s15, exec_lo
	v_and_b32_e32 v7, 0xff, v6
	s_delay_alu instid0(VALU_DEP_1)
	v_cmpx_ne_u16_e32 0, v7
	s_cbranch_execz .LBB364_1420
; %bb.1413:                             ;   in Loop: Header=BB364_934 Depth=1
	v_bfrev_b32_e32 v4, 1
	s_mov_b32 s16, exec_lo
	v_cmpx_ne_u16_e32 0x80, v7
	s_cbranch_execz .LBB364_1419
; %bb.1414:                             ;   in Loop: Header=BB364_934 Depth=1
	v_bfe_u32 v7, v18, 16, 7
	v_mov_b32_e32 v4, 0x7f800001
	s_mov_b32 s17, exec_lo
	s_delay_alu instid0(VALU_DEP_2)
	v_cmpx_ne_u32_e32 0x7f, v7
	s_cbranch_execz .LBB364_1418
; %bb.1415:                             ;   in Loop: Header=BB364_934 Depth=1
	v_dual_lshrrev_b32 v4, 3, v7 :: v_dual_bitop2_b32 v22, 7, v6 bitop3:0x40
	s_mov_b32 s18, exec_lo
	v_cmpx_gt_u32_e32 8, v7
; %bb.1416:                             ;   in Loop: Header=BB364_934 Depth=1
	s_delay_alu instid0(VALU_DEP_2) | instskip(NEXT) | instid1(VALU_DEP_1)
	v_clz_i32_u32_e32 v4, v22
	v_min_u32_e32 v4, 32, v4
	s_delay_alu instid0(VALU_DEP_1) | instskip(SKIP_1) | instid1(VALU_DEP_2)
	v_subrev_nc_u32_e32 v7, 28, v4
	v_sub_nc_u32_e32 v4, 29, v4
	v_lshlrev_b64_e32 v[8:9], v7, v[22:23]
	s_delay_alu instid0(VALU_DEP_1)
	v_and_b32_e32 v22, 7, v8
; %bb.1417:                             ;   in Loop: Header=BB364_934 Depth=1
	s_or_b32 exec_lo, exec_lo, s18
	v_lshlrev_b32_e32 v6, 24, v6
	s_delay_alu instid0(VALU_DEP_2) | instskip(SKIP_1) | instid1(VALU_DEP_3)
	v_lshlrev_b32_e32 v7, 20, v22
	v_lshl_add_u32 v4, v4, 23, 0x3c000000
	v_and_b32_e32 v6, 0x80000000, v6
	s_delay_alu instid0(VALU_DEP_1)
	v_or3_b32 v4, v7, v6, v4
.LBB364_1418:                           ;   in Loop: Header=BB364_934 Depth=1
	s_or_b32 exec_lo, exec_lo, s17
.LBB364_1419:                           ;   in Loop: Header=BB364_934 Depth=1
	s_delay_alu instid0(SALU_CYCLE_1)
	s_or_b32 exec_lo, exec_lo, s16
.LBB364_1420:                           ;   in Loop: Header=BB364_934 Depth=1
	s_delay_alu instid0(SALU_CYCLE_1) | instskip(NEXT) | instid1(SALU_CYCLE_1)
	s_or_b32 exec_lo, exec_lo, s15
	s_mov_b32 s15, exec_lo
	v_cmpx_lt_u32_e32 0xffffff, v18
	s_cbranch_execz .LBB364_1428
; %bb.1421:                             ;   in Loop: Header=BB364_934 Depth=1
	v_lshrrev_b32_e32 v6, 24, v18
	v_bfrev_b32_e32 v5, 1
	s_mov_b32 s16, exec_lo
	s_delay_alu instid0(VALU_DEP_2)
	v_cmpx_ne_u32_e32 0x80, v6
	s_cbranch_execz .LBB364_1427
; %bb.1422:                             ;   in Loop: Header=BB364_934 Depth=1
	v_bfe_u32 v7, v18, 24, 7
	v_mov_b32_e32 v5, 0x7f800001
	s_mov_b32 s17, exec_lo
	s_delay_alu instid0(VALU_DEP_2)
	v_cmpx_ne_u32_e32 0x7f, v7
	s_cbranch_execz .LBB364_1426
; %bb.1423:                             ;   in Loop: Header=BB364_934 Depth=1
	v_dual_lshrrev_b32 v5, 3, v7 :: v_dual_bitop2_b32 v22, 7, v6 bitop3:0x40
	s_mov_b32 s18, exec_lo
	v_cmpx_gt_u32_e32 8, v7
; %bb.1424:                             ;   in Loop: Header=BB364_934 Depth=1
	s_delay_alu instid0(VALU_DEP_2) | instskip(NEXT) | instid1(VALU_DEP_1)
	v_clz_i32_u32_e32 v5, v22
	v_min_u32_e32 v5, 32, v5
	s_delay_alu instid0(VALU_DEP_1) | instskip(NEXT) | instid1(VALU_DEP_1)
	v_subrev_nc_u32_e32 v7, 28, v5
	v_lshlrev_b64_e32 v[8:9], v7, v[22:23]
	s_delay_alu instid0(VALU_DEP_1)
	v_dual_sub_nc_u32 v5, 29, v5 :: v_dual_bitop2_b32 v22, 7, v8 bitop3:0x40
; %bb.1425:                             ;   in Loop: Header=BB364_934 Depth=1
	s_or_b32 exec_lo, exec_lo, s18
	v_lshlrev_b32_e32 v6, 24, v6
	s_delay_alu instid0(VALU_DEP_2) | instskip(NEXT) | instid1(VALU_DEP_3)
	v_lshlrev_b32_e32 v7, 20, v22
	v_lshl_add_u32 v5, v5, 23, 0x3c000000
	s_delay_alu instid0(VALU_DEP_3) | instskip(NEXT) | instid1(VALU_DEP_1)
	v_and_b32_e32 v6, 0x80000000, v6
	v_or3_b32 v5, v7, v6, v5
.LBB364_1426:                           ;   in Loop: Header=BB364_934 Depth=1
	s_or_b32 exec_lo, exec_lo, s17
.LBB364_1427:                           ;   in Loop: Header=BB364_934 Depth=1
	s_delay_alu instid0(SALU_CYCLE_1)
	s_or_b32 exec_lo, exec_lo, s16
.LBB364_1428:                           ;   in Loop: Header=BB364_934 Depth=1
	s_delay_alu instid0(SALU_CYCLE_1) | instskip(SKIP_4) | instid1(VALU_DEP_3)
	s_or_b32 exec_lo, exec_lo, s15
	v_and_b32_e32 v8, 0xff, v19
	v_dual_mov_b32 v22, v19 :: v_dual_mov_b32 v7, 0
	v_mov_b32_e32 v6, 0
	s_mov_b32 s15, exec_lo
	v_cmpx_ne_u16_e32 0, v8
	s_cbranch_execz .LBB364_1436
; %bb.1429:                             ;   in Loop: Header=BB364_934 Depth=1
	v_bfrev_b32_e32 v6, 1
	s_mov_b32 s16, exec_lo
	v_cmpx_ne_u16_e32 0x80, v8
	s_cbranch_execz .LBB364_1435
; %bb.1430:                             ;   in Loop: Header=BB364_934 Depth=1
	v_and_b32_e32 v8, 0x7f, v19
	v_mov_b32_e32 v6, 0x7f800001
	s_mov_b32 s17, exec_lo
	s_delay_alu instid0(VALU_DEP_2)
	v_cmpx_ne_u32_e32 0x7f, v8
	s_cbranch_execz .LBB364_1434
; %bb.1431:                             ;   in Loop: Header=BB364_934 Depth=1
	v_mov_b64_e32 v[32:33], v[22:23]
	v_lshrrev_b32_e32 v6, 3, v8
	s_mov_b32 s18, exec_lo
	v_cmpx_gt_u32_e32 8, v8
; %bb.1432:                             ;   in Loop: Header=BB364_934 Depth=1
	v_and_b32_e32 v6, 7, v19
	s_delay_alu instid0(VALU_DEP_1) | instskip(NEXT) | instid1(VALU_DEP_1)
	v_clz_i32_u32_e32 v6, v6
	v_min_u32_e32 v6, 32, v6
	s_delay_alu instid0(VALU_DEP_1) | instskip(SKIP_1) | instid1(VALU_DEP_2)
	v_subrev_nc_u32_e32 v8, 28, v6
	v_sub_nc_u32_e32 v6, 29, v6
	v_lshlrev_b64_e32 v[32:33], v8, v[22:23]
; %bb.1433:                             ;   in Loop: Header=BB364_934 Depth=1
	s_or_b32 exec_lo, exec_lo, s18
	s_delay_alu instid0(VALU_DEP_1) | instskip(NEXT) | instid1(VALU_DEP_3)
	v_dual_lshlrev_b32 v8, 20, v32 :: v_dual_lshlrev_b32 v9, 24, v22
	v_lshl_add_u32 v6, v6, 23, 0x3c000000
	s_delay_alu instid0(VALU_DEP_2) | instskip(NEXT) | instid1(VALU_DEP_3)
	v_and_b32_e32 v8, 0x700000, v8
	v_and_b32_e32 v9, 0x80000000, v9
	s_delay_alu instid0(VALU_DEP_1)
	v_or3_b32 v6, v8, v9, v6
.LBB364_1434:                           ;   in Loop: Header=BB364_934 Depth=1
	s_or_b32 exec_lo, exec_lo, s17
.LBB364_1435:                           ;   in Loop: Header=BB364_934 Depth=1
	s_delay_alu instid0(SALU_CYCLE_1)
	s_or_b32 exec_lo, exec_lo, s16
.LBB364_1436:                           ;   in Loop: Header=BB364_934 Depth=1
	s_delay_alu instid0(SALU_CYCLE_1) | instskip(SKIP_2) | instid1(VALU_DEP_1)
	s_or_b32 exec_lo, exec_lo, s15
	v_lshrrev_b16 v8, 8, v22
	s_mov_b32 s15, exec_lo
	v_cmpx_ne_u16_e32 0, v8
	s_cbranch_execz .LBB364_1444
; %bb.1437:                             ;   in Loop: Header=BB364_934 Depth=1
	v_bfrev_b32_e32 v7, 1
	s_mov_b32 s16, exec_lo
	v_cmpx_ne_u16_e32 0x80, v8
	s_cbranch_execz .LBB364_1443
; %bb.1438:                             ;   in Loop: Header=BB364_934 Depth=1
	v_and_b32_e32 v9, 0xffff, v8
	v_mov_b32_e32 v7, 0x7f800001
	s_mov_b32 s17, exec_lo
	s_delay_alu instid0(VALU_DEP_2) | instskip(NEXT) | instid1(VALU_DEP_1)
	v_and_b32_e32 v8, 0x7f, v9
	v_cmpx_ne_u32_e32 0x7f, v8
	s_cbranch_execz .LBB364_1442
; %bb.1439:                             ;   in Loop: Header=BB364_934 Depth=1
	v_dual_mov_b32 v33, v23 :: v_dual_bitop2_b32 v32, 7, v9 bitop3:0x40
	v_lshrrev_b32_e32 v7, 3, v8
	s_mov_b32 s18, exec_lo
	v_cmpx_gt_u32_e32 8, v8
; %bb.1440:                             ;   in Loop: Header=BB364_934 Depth=1
	s_delay_alu instid0(VALU_DEP_3) | instskip(NEXT) | instid1(VALU_DEP_1)
	v_clz_i32_u32_e32 v7, v32
	v_min_u32_e32 v7, 32, v7
	s_delay_alu instid0(VALU_DEP_1) | instskip(NEXT) | instid1(VALU_DEP_1)
	v_subrev_nc_u32_e32 v8, 28, v7
	v_lshlrev_b64_e32 v[8:9], v8, v[32:33]
	s_delay_alu instid0(VALU_DEP_1)
	v_dual_sub_nc_u32 v7, 29, v7 :: v_dual_bitop2_b32 v32, 7, v8 bitop3:0x40
; %bb.1441:                             ;   in Loop: Header=BB364_934 Depth=1
	s_or_b32 exec_lo, exec_lo, s18
	s_delay_alu instid0(VALU_DEP_1) | instskip(NEXT) | instid1(VALU_DEP_2)
	v_dual_lshlrev_b32 v8, 16, v22 :: v_dual_lshlrev_b32 v9, 20, v32
	v_lshl_add_u32 v7, v7, 23, 0x3c000000
	s_delay_alu instid0(VALU_DEP_2) | instskip(NEXT) | instid1(VALU_DEP_1)
	v_and_b32_e32 v8, 0x80000000, v8
	v_or3_b32 v7, v9, v8, v7
.LBB364_1442:                           ;   in Loop: Header=BB364_934 Depth=1
	s_or_b32 exec_lo, exec_lo, s17
.LBB364_1443:                           ;   in Loop: Header=BB364_934 Depth=1
	s_delay_alu instid0(SALU_CYCLE_1)
	s_or_b32 exec_lo, exec_lo, s16
.LBB364_1444:                           ;   in Loop: Header=BB364_934 Depth=1
	s_delay_alu instid0(SALU_CYCLE_1) | instskip(SKIP_3) | instid1(VALU_DEP_2)
	s_or_b32 exec_lo, exec_lo, s15
	v_dual_lshrrev_b32 v30, 16, v19 :: v_dual_mov_b32 v8, 0
	v_mov_b32_e32 v9, 0
	s_mov_b32 s15, exec_lo
	v_and_b32_e32 v22, 0xff, v30
	s_delay_alu instid0(VALU_DEP_1)
	v_cmpx_ne_u16_e32 0, v22
	s_cbranch_execz .LBB364_1452
; %bb.1445:                             ;   in Loop: Header=BB364_934 Depth=1
	v_bfrev_b32_e32 v9, 1
	s_mov_b32 s16, exec_lo
	v_cmpx_ne_u16_e32 0x80, v22
	s_cbranch_execz .LBB364_1451
; %bb.1446:                             ;   in Loop: Header=BB364_934 Depth=1
	v_bfe_u32 v31, v19, 16, 7
	v_mov_b32_e32 v9, 0x7f800001
	s_mov_b32 s17, exec_lo
	s_delay_alu instid0(VALU_DEP_2)
	v_cmpx_ne_u32_e32 0x7f, v31
	s_cbranch_execz .LBB364_1450
; %bb.1447:                             ;   in Loop: Header=BB364_934 Depth=1
	v_dual_lshrrev_b32 v9, 3, v31 :: v_dual_bitop2_b32 v22, 7, v30 bitop3:0x40
	s_mov_b32 s18, exec_lo
	v_cmpx_gt_u32_e32 8, v31
; %bb.1448:                             ;   in Loop: Header=BB364_934 Depth=1
	s_delay_alu instid0(VALU_DEP_2) | instskip(NEXT) | instid1(VALU_DEP_1)
	v_clz_i32_u32_e32 v9, v22
	v_min_u32_e32 v9, 32, v9
	s_delay_alu instid0(VALU_DEP_1) | instskip(NEXT) | instid1(VALU_DEP_1)
	v_subrev_nc_u32_e32 v31, 28, v9
	v_lshlrev_b64_e32 v[32:33], v31, v[22:23]
	s_delay_alu instid0(VALU_DEP_1)
	v_dual_sub_nc_u32 v9, 29, v9 :: v_dual_bitop2_b32 v22, 7, v32 bitop3:0x40
; %bb.1449:                             ;   in Loop: Header=BB364_934 Depth=1
	s_or_b32 exec_lo, exec_lo, s18
	v_lshlrev_b32_e32 v30, 24, v30
	s_delay_alu instid0(VALU_DEP_2) | instskip(NEXT) | instid1(VALU_DEP_3)
	v_lshlrev_b32_e32 v22, 20, v22
	v_lshl_add_u32 v9, v9, 23, 0x3c000000
	s_delay_alu instid0(VALU_DEP_3) | instskip(NEXT) | instid1(VALU_DEP_1)
	v_and_b32_e32 v30, 0x80000000, v30
	v_or3_b32 v9, v22, v30, v9
.LBB364_1450:                           ;   in Loop: Header=BB364_934 Depth=1
	s_or_b32 exec_lo, exec_lo, s17
.LBB364_1451:                           ;   in Loop: Header=BB364_934 Depth=1
	s_delay_alu instid0(SALU_CYCLE_1)
	s_or_b32 exec_lo, exec_lo, s16
.LBB364_1452:                           ;   in Loop: Header=BB364_934 Depth=1
	s_delay_alu instid0(SALU_CYCLE_1) | instskip(NEXT) | instid1(SALU_CYCLE_1)
	s_or_b32 exec_lo, exec_lo, s15
	s_mov_b32 s15, exec_lo
	v_cmpx_lt_u64_e64 s[2:3], v[18:19]
	s_cbranch_execz .LBB364_1460
; %bb.1453:                             ;   in Loop: Header=BB364_934 Depth=1
	v_lshrrev_b32_e32 v18, 24, v19
	v_bfrev_b32_e32 v8, 1
	s_mov_b32 s16, exec_lo
	s_delay_alu instid0(VALU_DEP_2)
	v_cmpx_ne_u32_e32 0x80, v18
	s_cbranch_execz .LBB364_1459
; %bb.1454:                             ;   in Loop: Header=BB364_934 Depth=1
	v_bfe_u32 v19, v19, 24, 7
	v_mov_b32_e32 v8, 0x7f800001
	s_mov_b32 s17, exec_lo
	s_delay_alu instid0(VALU_DEP_2)
	v_cmpx_ne_u32_e32 0x7f, v19
	s_cbranch_execz .LBB364_1458
; %bb.1455:                             ;   in Loop: Header=BB364_934 Depth=1
	v_dual_lshrrev_b32 v8, 3, v19 :: v_dual_bitop2_b32 v22, 7, v18 bitop3:0x40
	s_mov_b32 s18, exec_lo
	v_cmpx_gt_u32_e32 8, v19
; %bb.1456:                             ;   in Loop: Header=BB364_934 Depth=1
	s_delay_alu instid0(VALU_DEP_2) | instskip(NEXT) | instid1(VALU_DEP_1)
	v_clz_i32_u32_e32 v8, v22
	v_min_u32_e32 v8, 32, v8
	s_delay_alu instid0(VALU_DEP_1) | instskip(NEXT) | instid1(VALU_DEP_1)
	v_subrev_nc_u32_e32 v19, 28, v8
	v_lshlrev_b64_e32 v[30:31], v19, v[22:23]
	s_delay_alu instid0(VALU_DEP_1)
	v_dual_sub_nc_u32 v8, 29, v8 :: v_dual_bitop2_b32 v22, 7, v30 bitop3:0x40
; %bb.1457:                             ;   in Loop: Header=BB364_934 Depth=1
	s_or_b32 exec_lo, exec_lo, s18
	v_lshlrev_b32_e32 v18, 24, v18
	s_delay_alu instid0(VALU_DEP_2) | instskip(NEXT) | instid1(VALU_DEP_3)
	v_lshlrev_b32_e32 v19, 20, v22
	v_lshl_add_u32 v8, v8, 23, 0x3c000000
	s_delay_alu instid0(VALU_DEP_3) | instskip(NEXT) | instid1(VALU_DEP_1)
	v_and_b32_e32 v18, 0x80000000, v18
	v_or3_b32 v8, v19, v18, v8
.LBB364_1458:                           ;   in Loop: Header=BB364_934 Depth=1
	s_or_b32 exec_lo, exec_lo, s17
.LBB364_1459:                           ;   in Loop: Header=BB364_934 Depth=1
	s_delay_alu instid0(SALU_CYCLE_1)
	s_or_b32 exec_lo, exec_lo, s16
.LBB364_1460:                           ;   in Loop: Header=BB364_934 Depth=1
	s_delay_alu instid0(SALU_CYCLE_1)
	s_or_b32 exec_lo, exec_lo, s15
	v_fma_mixlo_bf16 v88, v37, v7, 0
	v_fma_mixlo_bf16 v89, v37, v6, 0
	;; [unrolled: 1-line block ×8, first 2 shown]
	s_and_saveexec_b32 s15, vcc_lo
	s_cbranch_execz .LBB364_1462
; %bb.1461:                             ;   in Loop: Header=BB364_934 Depth=1
	v_cmp_lt_i32_e64 s0, v83, v106
	s_delay_alu instid0(VALU_DEP_1) | instskip(SKIP_1) | instid1(VALU_DEP_1)
	v_cndmask_b32_e64 v95, 0, v95, s0
	v_cmp_lt_i32_e64 s0, v87, v106
	v_cndmask_b32_e64 v94, 0, v94, s0
	v_cmp_lt_i32_e64 s0, v86, v106
	s_delay_alu instid0(VALU_DEP_1) | instskip(SKIP_1) | instid1(VALU_DEP_1)
	v_cndmask_b32_e64 v93, 0, v93, s0
	v_cmp_lt_i32_e64 s0, v85, v106
	v_cndmask_b32_e64 v92, 0, v92, s0
	;; [unrolled: 5-line block ×4, first 2 shown]
.LBB364_1462:                           ;   in Loop: Header=BB364_934 Depth=1
	s_or_b32 exec_lo, exec_lo, s15
	flat_load_b64 v[18:19], v[0:1] offset:2048
	v_dual_mov_b32 v3, 0 :: v_dual_mov_b32 v2, 0
	s_mov_b32 s15, exec_lo
	s_wait_loadcnt_dscnt 0x0
	v_and_b32_e32 v4, 0xff, v18
	s_wait_xcnt 0x0
	s_delay_alu instid0(VALU_DEP_1)
	v_cmpx_ne_u16_e32 0, v4
	s_cbranch_execz .LBB364_1470
; %bb.1463:                             ;   in Loop: Header=BB364_934 Depth=1
	v_bfrev_b32_e32 v2, 1
	s_mov_b32 s16, exec_lo
	v_cmpx_ne_u16_e32 0x80, v4
	s_cbranch_execz .LBB364_1469
; %bb.1464:                             ;   in Loop: Header=BB364_934 Depth=1
	v_and_b32_e32 v4, 0x7f, v18
	v_mov_b32_e32 v2, 0x7f800001
	s_mov_b32 s17, exec_lo
	s_delay_alu instid0(VALU_DEP_2)
	v_cmpx_ne_u32_e32 0x7f, v4
	s_cbranch_execz .LBB364_1468
; %bb.1465:                             ;   in Loop: Header=BB364_934 Depth=1
	v_mov_b64_e32 v[32:33], v[18:19]
	v_lshrrev_b32_e32 v2, 3, v4
	s_mov_b32 s18, exec_lo
	v_cmpx_gt_u32_e32 8, v4
; %bb.1466:                             ;   in Loop: Header=BB364_934 Depth=1
	v_and_b32_e32 v2, 7, v18
	s_delay_alu instid0(VALU_DEP_1) | instskip(NEXT) | instid1(VALU_DEP_1)
	v_clz_i32_u32_e32 v2, v2
	v_min_u32_e32 v2, 32, v2
	s_delay_alu instid0(VALU_DEP_1) | instskip(SKIP_1) | instid1(VALU_DEP_2)
	v_subrev_nc_u32_e32 v4, 28, v2
	v_sub_nc_u32_e32 v2, 29, v2
	v_lshlrev_b64_e32 v[32:33], v4, v[18:19]
; %bb.1467:                             ;   in Loop: Header=BB364_934 Depth=1
	s_or_b32 exec_lo, exec_lo, s18
	s_delay_alu instid0(VALU_DEP_1) | instskip(NEXT) | instid1(VALU_DEP_3)
	v_dual_lshlrev_b32 v4, 20, v32 :: v_dual_lshlrev_b32 v5, 24, v18
	v_lshl_add_u32 v2, v2, 23, 0x3c000000
	s_delay_alu instid0(VALU_DEP_2) | instskip(NEXT) | instid1(VALU_DEP_3)
	v_and_b32_e32 v4, 0x700000, v4
	v_and_b32_e32 v5, 0x80000000, v5
	s_delay_alu instid0(VALU_DEP_1)
	v_or3_b32 v2, v4, v5, v2
.LBB364_1468:                           ;   in Loop: Header=BB364_934 Depth=1
	s_or_b32 exec_lo, exec_lo, s17
.LBB364_1469:                           ;   in Loop: Header=BB364_934 Depth=1
	s_delay_alu instid0(SALU_CYCLE_1)
	s_or_b32 exec_lo, exec_lo, s16
.LBB364_1470:                           ;   in Loop: Header=BB364_934 Depth=1
	s_delay_alu instid0(SALU_CYCLE_1) | instskip(SKIP_2) | instid1(VALU_DEP_1)
	s_or_b32 exec_lo, exec_lo, s15
	v_lshrrev_b16 v4, 8, v18
	s_mov_b32 s15, exec_lo
	v_cmpx_ne_u16_e32 0, v4
	s_cbranch_execz .LBB364_1478
; %bb.1471:                             ;   in Loop: Header=BB364_934 Depth=1
	v_bfrev_b32_e32 v3, 1
	s_mov_b32 s16, exec_lo
	v_cmpx_ne_u16_e32 0x80, v4
	s_cbranch_execz .LBB364_1477
; %bb.1472:                             ;   in Loop: Header=BB364_934 Depth=1
	v_and_b32_e32 v5, 0xffff, v4
	v_mov_b32_e32 v3, 0x7f800001
	s_mov_b32 s17, exec_lo
	s_delay_alu instid0(VALU_DEP_2) | instskip(NEXT) | instid1(VALU_DEP_1)
	v_and_b32_e32 v4, 0x7f, v5
	v_cmpx_ne_u32_e32 0x7f, v4
	s_cbranch_execz .LBB364_1476
; %bb.1473:                             ;   in Loop: Header=BB364_934 Depth=1
	v_dual_lshrrev_b32 v3, 3, v4 :: v_dual_bitop2_b32 v22, 7, v5 bitop3:0x40
	s_mov_b32 s18, exec_lo
	v_cmpx_gt_u32_e32 8, v4
; %bb.1474:                             ;   in Loop: Header=BB364_934 Depth=1
	s_delay_alu instid0(VALU_DEP_2) | instskip(NEXT) | instid1(VALU_DEP_1)
	v_clz_i32_u32_e32 v3, v22
	v_min_u32_e32 v3, 32, v3
	s_delay_alu instid0(VALU_DEP_1) | instskip(NEXT) | instid1(VALU_DEP_1)
	v_subrev_nc_u32_e32 v4, 28, v3
	v_lshlrev_b64_e32 v[4:5], v4, v[22:23]
	s_delay_alu instid0(VALU_DEP_1)
	v_dual_sub_nc_u32 v3, 29, v3 :: v_dual_bitop2_b32 v22, 7, v4 bitop3:0x40
; %bb.1475:                             ;   in Loop: Header=BB364_934 Depth=1
	s_or_b32 exec_lo, exec_lo, s18
	v_lshlrev_b32_e32 v4, 16, v18
	s_delay_alu instid0(VALU_DEP_2) | instskip(NEXT) | instid1(VALU_DEP_3)
	v_lshlrev_b32_e32 v5, 20, v22
	v_lshl_add_u32 v3, v3, 23, 0x3c000000
	s_delay_alu instid0(VALU_DEP_3) | instskip(NEXT) | instid1(VALU_DEP_1)
	v_and_b32_e32 v4, 0x80000000, v4
	v_or3_b32 v3, v5, v4, v3
.LBB364_1476:                           ;   in Loop: Header=BB364_934 Depth=1
	s_or_b32 exec_lo, exec_lo, s17
.LBB364_1477:                           ;   in Loop: Header=BB364_934 Depth=1
	s_delay_alu instid0(SALU_CYCLE_1)
	s_or_b32 exec_lo, exec_lo, s16
.LBB364_1478:                           ;   in Loop: Header=BB364_934 Depth=1
	s_delay_alu instid0(SALU_CYCLE_1) | instskip(SKIP_3) | instid1(VALU_DEP_2)
	s_or_b32 exec_lo, exec_lo, s15
	v_dual_mov_b32 v5, 0 :: v_dual_lshrrev_b32 v6, 16, v18
	v_mov_b32_e32 v4, 0
	s_mov_b32 s15, exec_lo
	v_and_b32_e32 v7, 0xff, v6
	s_delay_alu instid0(VALU_DEP_1)
	v_cmpx_ne_u16_e32 0, v7
	s_cbranch_execz .LBB364_1486
; %bb.1479:                             ;   in Loop: Header=BB364_934 Depth=1
	v_bfrev_b32_e32 v4, 1
	s_mov_b32 s16, exec_lo
	v_cmpx_ne_u16_e32 0x80, v7
	s_cbranch_execz .LBB364_1485
; %bb.1480:                             ;   in Loop: Header=BB364_934 Depth=1
	v_bfe_u32 v7, v18, 16, 7
	v_mov_b32_e32 v4, 0x7f800001
	s_mov_b32 s17, exec_lo
	s_delay_alu instid0(VALU_DEP_2)
	v_cmpx_ne_u32_e32 0x7f, v7
	s_cbranch_execz .LBB364_1484
; %bb.1481:                             ;   in Loop: Header=BB364_934 Depth=1
	v_dual_lshrrev_b32 v4, 3, v7 :: v_dual_bitop2_b32 v22, 7, v6 bitop3:0x40
	s_mov_b32 s18, exec_lo
	v_cmpx_gt_u32_e32 8, v7
; %bb.1482:                             ;   in Loop: Header=BB364_934 Depth=1
	s_delay_alu instid0(VALU_DEP_2) | instskip(NEXT) | instid1(VALU_DEP_1)
	v_clz_i32_u32_e32 v4, v22
	v_min_u32_e32 v4, 32, v4
	s_delay_alu instid0(VALU_DEP_1) | instskip(SKIP_1) | instid1(VALU_DEP_2)
	v_subrev_nc_u32_e32 v7, 28, v4
	v_sub_nc_u32_e32 v4, 29, v4
	v_lshlrev_b64_e32 v[8:9], v7, v[22:23]
	s_delay_alu instid0(VALU_DEP_1)
	v_and_b32_e32 v22, 7, v8
; %bb.1483:                             ;   in Loop: Header=BB364_934 Depth=1
	s_or_b32 exec_lo, exec_lo, s18
	v_lshlrev_b32_e32 v6, 24, v6
	s_delay_alu instid0(VALU_DEP_2) | instskip(SKIP_1) | instid1(VALU_DEP_3)
	v_lshlrev_b32_e32 v7, 20, v22
	v_lshl_add_u32 v4, v4, 23, 0x3c000000
	v_and_b32_e32 v6, 0x80000000, v6
	s_delay_alu instid0(VALU_DEP_1)
	v_or3_b32 v4, v7, v6, v4
.LBB364_1484:                           ;   in Loop: Header=BB364_934 Depth=1
	s_or_b32 exec_lo, exec_lo, s17
.LBB364_1485:                           ;   in Loop: Header=BB364_934 Depth=1
	s_delay_alu instid0(SALU_CYCLE_1)
	s_or_b32 exec_lo, exec_lo, s16
.LBB364_1486:                           ;   in Loop: Header=BB364_934 Depth=1
	s_delay_alu instid0(SALU_CYCLE_1) | instskip(NEXT) | instid1(SALU_CYCLE_1)
	s_or_b32 exec_lo, exec_lo, s15
	s_mov_b32 s15, exec_lo
	v_cmpx_lt_u32_e32 0xffffff, v18
	s_cbranch_execz .LBB364_1494
; %bb.1487:                             ;   in Loop: Header=BB364_934 Depth=1
	v_lshrrev_b32_e32 v6, 24, v18
	v_bfrev_b32_e32 v5, 1
	s_mov_b32 s16, exec_lo
	s_delay_alu instid0(VALU_DEP_2)
	v_cmpx_ne_u32_e32 0x80, v6
	s_cbranch_execz .LBB364_1493
; %bb.1488:                             ;   in Loop: Header=BB364_934 Depth=1
	v_bfe_u32 v7, v18, 24, 7
	v_mov_b32_e32 v5, 0x7f800001
	s_mov_b32 s17, exec_lo
	s_delay_alu instid0(VALU_DEP_2)
	v_cmpx_ne_u32_e32 0x7f, v7
	s_cbranch_execz .LBB364_1492
; %bb.1489:                             ;   in Loop: Header=BB364_934 Depth=1
	v_dual_lshrrev_b32 v5, 3, v7 :: v_dual_bitop2_b32 v22, 7, v6 bitop3:0x40
	s_mov_b32 s18, exec_lo
	v_cmpx_gt_u32_e32 8, v7
; %bb.1490:                             ;   in Loop: Header=BB364_934 Depth=1
	s_delay_alu instid0(VALU_DEP_2) | instskip(NEXT) | instid1(VALU_DEP_1)
	v_clz_i32_u32_e32 v5, v22
	v_min_u32_e32 v5, 32, v5
	s_delay_alu instid0(VALU_DEP_1) | instskip(NEXT) | instid1(VALU_DEP_1)
	v_subrev_nc_u32_e32 v7, 28, v5
	v_lshlrev_b64_e32 v[8:9], v7, v[22:23]
	s_delay_alu instid0(VALU_DEP_1)
	v_dual_sub_nc_u32 v5, 29, v5 :: v_dual_bitop2_b32 v22, 7, v8 bitop3:0x40
; %bb.1491:                             ;   in Loop: Header=BB364_934 Depth=1
	s_or_b32 exec_lo, exec_lo, s18
	v_lshlrev_b32_e32 v6, 24, v6
	s_delay_alu instid0(VALU_DEP_2) | instskip(NEXT) | instid1(VALU_DEP_3)
	v_lshlrev_b32_e32 v7, 20, v22
	v_lshl_add_u32 v5, v5, 23, 0x3c000000
	s_delay_alu instid0(VALU_DEP_3) | instskip(NEXT) | instid1(VALU_DEP_1)
	v_and_b32_e32 v6, 0x80000000, v6
	v_or3_b32 v5, v7, v6, v5
.LBB364_1492:                           ;   in Loop: Header=BB364_934 Depth=1
	s_or_b32 exec_lo, exec_lo, s17
.LBB364_1493:                           ;   in Loop: Header=BB364_934 Depth=1
	s_delay_alu instid0(SALU_CYCLE_1)
	s_or_b32 exec_lo, exec_lo, s16
.LBB364_1494:                           ;   in Loop: Header=BB364_934 Depth=1
	s_delay_alu instid0(SALU_CYCLE_1) | instskip(SKIP_4) | instid1(VALU_DEP_3)
	s_or_b32 exec_lo, exec_lo, s15
	v_and_b32_e32 v8, 0xff, v19
	v_dual_mov_b32 v22, v19 :: v_dual_mov_b32 v7, 0
	v_mov_b32_e32 v6, 0
	s_mov_b32 s15, exec_lo
	v_cmpx_ne_u16_e32 0, v8
	s_cbranch_execz .LBB364_1502
; %bb.1495:                             ;   in Loop: Header=BB364_934 Depth=1
	v_bfrev_b32_e32 v6, 1
	s_mov_b32 s16, exec_lo
	v_cmpx_ne_u16_e32 0x80, v8
	s_cbranch_execz .LBB364_1501
; %bb.1496:                             ;   in Loop: Header=BB364_934 Depth=1
	v_and_b32_e32 v8, 0x7f, v19
	v_mov_b32_e32 v6, 0x7f800001
	s_mov_b32 s17, exec_lo
	s_delay_alu instid0(VALU_DEP_2)
	v_cmpx_ne_u32_e32 0x7f, v8
	s_cbranch_execz .LBB364_1500
; %bb.1497:                             ;   in Loop: Header=BB364_934 Depth=1
	v_mov_b64_e32 v[32:33], v[22:23]
	v_lshrrev_b32_e32 v6, 3, v8
	s_mov_b32 s18, exec_lo
	v_cmpx_gt_u32_e32 8, v8
; %bb.1498:                             ;   in Loop: Header=BB364_934 Depth=1
	v_and_b32_e32 v6, 7, v19
	s_delay_alu instid0(VALU_DEP_1) | instskip(NEXT) | instid1(VALU_DEP_1)
	v_clz_i32_u32_e32 v6, v6
	v_min_u32_e32 v6, 32, v6
	s_delay_alu instid0(VALU_DEP_1) | instskip(SKIP_1) | instid1(VALU_DEP_2)
	v_subrev_nc_u32_e32 v8, 28, v6
	v_sub_nc_u32_e32 v6, 29, v6
	v_lshlrev_b64_e32 v[32:33], v8, v[22:23]
; %bb.1499:                             ;   in Loop: Header=BB364_934 Depth=1
	s_or_b32 exec_lo, exec_lo, s18
	s_delay_alu instid0(VALU_DEP_1) | instskip(NEXT) | instid1(VALU_DEP_3)
	v_dual_lshlrev_b32 v8, 20, v32 :: v_dual_lshlrev_b32 v9, 24, v22
	v_lshl_add_u32 v6, v6, 23, 0x3c000000
	s_delay_alu instid0(VALU_DEP_2) | instskip(NEXT) | instid1(VALU_DEP_3)
	v_and_b32_e32 v8, 0x700000, v8
	v_and_b32_e32 v9, 0x80000000, v9
	s_delay_alu instid0(VALU_DEP_1)
	v_or3_b32 v6, v8, v9, v6
.LBB364_1500:                           ;   in Loop: Header=BB364_934 Depth=1
	s_or_b32 exec_lo, exec_lo, s17
.LBB364_1501:                           ;   in Loop: Header=BB364_934 Depth=1
	s_delay_alu instid0(SALU_CYCLE_1)
	s_or_b32 exec_lo, exec_lo, s16
.LBB364_1502:                           ;   in Loop: Header=BB364_934 Depth=1
	s_delay_alu instid0(SALU_CYCLE_1) | instskip(SKIP_2) | instid1(VALU_DEP_1)
	s_or_b32 exec_lo, exec_lo, s15
	v_lshrrev_b16 v8, 8, v22
	s_mov_b32 s15, exec_lo
	v_cmpx_ne_u16_e32 0, v8
	s_cbranch_execz .LBB364_1510
; %bb.1503:                             ;   in Loop: Header=BB364_934 Depth=1
	v_bfrev_b32_e32 v7, 1
	s_mov_b32 s16, exec_lo
	v_cmpx_ne_u16_e32 0x80, v8
	s_cbranch_execz .LBB364_1509
; %bb.1504:                             ;   in Loop: Header=BB364_934 Depth=1
	v_and_b32_e32 v9, 0xffff, v8
	v_mov_b32_e32 v7, 0x7f800001
	s_mov_b32 s17, exec_lo
	s_delay_alu instid0(VALU_DEP_2) | instskip(NEXT) | instid1(VALU_DEP_1)
	v_and_b32_e32 v8, 0x7f, v9
	v_cmpx_ne_u32_e32 0x7f, v8
	s_cbranch_execz .LBB364_1508
; %bb.1505:                             ;   in Loop: Header=BB364_934 Depth=1
	v_dual_mov_b32 v33, v23 :: v_dual_bitop2_b32 v32, 7, v9 bitop3:0x40
	v_lshrrev_b32_e32 v7, 3, v8
	s_mov_b32 s18, exec_lo
	v_cmpx_gt_u32_e32 8, v8
; %bb.1506:                             ;   in Loop: Header=BB364_934 Depth=1
	s_delay_alu instid0(VALU_DEP_3) | instskip(NEXT) | instid1(VALU_DEP_1)
	v_clz_i32_u32_e32 v7, v32
	v_min_u32_e32 v7, 32, v7
	s_delay_alu instid0(VALU_DEP_1) | instskip(NEXT) | instid1(VALU_DEP_1)
	v_subrev_nc_u32_e32 v8, 28, v7
	v_lshlrev_b64_e32 v[8:9], v8, v[32:33]
	s_delay_alu instid0(VALU_DEP_1)
	v_dual_sub_nc_u32 v7, 29, v7 :: v_dual_bitop2_b32 v32, 7, v8 bitop3:0x40
; %bb.1507:                             ;   in Loop: Header=BB364_934 Depth=1
	s_or_b32 exec_lo, exec_lo, s18
	s_delay_alu instid0(VALU_DEP_1) | instskip(NEXT) | instid1(VALU_DEP_2)
	v_dual_lshlrev_b32 v8, 16, v22 :: v_dual_lshlrev_b32 v9, 20, v32
	v_lshl_add_u32 v7, v7, 23, 0x3c000000
	s_delay_alu instid0(VALU_DEP_2) | instskip(NEXT) | instid1(VALU_DEP_1)
	v_and_b32_e32 v8, 0x80000000, v8
	v_or3_b32 v7, v9, v8, v7
.LBB364_1508:                           ;   in Loop: Header=BB364_934 Depth=1
	s_or_b32 exec_lo, exec_lo, s17
.LBB364_1509:                           ;   in Loop: Header=BB364_934 Depth=1
	s_delay_alu instid0(SALU_CYCLE_1)
	s_or_b32 exec_lo, exec_lo, s16
.LBB364_1510:                           ;   in Loop: Header=BB364_934 Depth=1
	s_delay_alu instid0(SALU_CYCLE_1) | instskip(SKIP_3) | instid1(VALU_DEP_2)
	s_or_b32 exec_lo, exec_lo, s15
	v_dual_lshrrev_b32 v30, 16, v19 :: v_dual_mov_b32 v8, 0
	v_mov_b32_e32 v9, 0
	s_mov_b32 s15, exec_lo
	v_and_b32_e32 v22, 0xff, v30
	s_delay_alu instid0(VALU_DEP_1)
	v_cmpx_ne_u16_e32 0, v22
	s_cbranch_execz .LBB364_1518
; %bb.1511:                             ;   in Loop: Header=BB364_934 Depth=1
	v_bfrev_b32_e32 v9, 1
	s_mov_b32 s16, exec_lo
	v_cmpx_ne_u16_e32 0x80, v22
	s_cbranch_execz .LBB364_1517
; %bb.1512:                             ;   in Loop: Header=BB364_934 Depth=1
	v_bfe_u32 v31, v19, 16, 7
	v_mov_b32_e32 v9, 0x7f800001
	s_mov_b32 s17, exec_lo
	s_delay_alu instid0(VALU_DEP_2)
	v_cmpx_ne_u32_e32 0x7f, v31
	s_cbranch_execz .LBB364_1516
; %bb.1513:                             ;   in Loop: Header=BB364_934 Depth=1
	v_dual_lshrrev_b32 v9, 3, v31 :: v_dual_bitop2_b32 v22, 7, v30 bitop3:0x40
	s_mov_b32 s18, exec_lo
	v_cmpx_gt_u32_e32 8, v31
; %bb.1514:                             ;   in Loop: Header=BB364_934 Depth=1
	s_delay_alu instid0(VALU_DEP_2) | instskip(NEXT) | instid1(VALU_DEP_1)
	v_clz_i32_u32_e32 v9, v22
	v_min_u32_e32 v9, 32, v9
	s_delay_alu instid0(VALU_DEP_1) | instskip(NEXT) | instid1(VALU_DEP_1)
	v_subrev_nc_u32_e32 v31, 28, v9
	v_lshlrev_b64_e32 v[32:33], v31, v[22:23]
	s_delay_alu instid0(VALU_DEP_1)
	v_dual_sub_nc_u32 v9, 29, v9 :: v_dual_bitop2_b32 v22, 7, v32 bitop3:0x40
; %bb.1515:                             ;   in Loop: Header=BB364_934 Depth=1
	s_or_b32 exec_lo, exec_lo, s18
	v_lshlrev_b32_e32 v30, 24, v30
	s_delay_alu instid0(VALU_DEP_2) | instskip(NEXT) | instid1(VALU_DEP_3)
	v_lshlrev_b32_e32 v22, 20, v22
	v_lshl_add_u32 v9, v9, 23, 0x3c000000
	s_delay_alu instid0(VALU_DEP_3) | instskip(NEXT) | instid1(VALU_DEP_1)
	v_and_b32_e32 v30, 0x80000000, v30
	v_or3_b32 v9, v22, v30, v9
.LBB364_1516:                           ;   in Loop: Header=BB364_934 Depth=1
	s_or_b32 exec_lo, exec_lo, s17
.LBB364_1517:                           ;   in Loop: Header=BB364_934 Depth=1
	s_delay_alu instid0(SALU_CYCLE_1)
	s_or_b32 exec_lo, exec_lo, s16
.LBB364_1518:                           ;   in Loop: Header=BB364_934 Depth=1
	s_delay_alu instid0(SALU_CYCLE_1) | instskip(NEXT) | instid1(SALU_CYCLE_1)
	s_or_b32 exec_lo, exec_lo, s15
	s_mov_b32 s15, exec_lo
	v_cmpx_lt_u64_e64 s[2:3], v[18:19]
	s_cbranch_execz .LBB364_1526
; %bb.1519:                             ;   in Loop: Header=BB364_934 Depth=1
	v_lshrrev_b32_e32 v18, 24, v19
	v_bfrev_b32_e32 v8, 1
	s_mov_b32 s16, exec_lo
	s_delay_alu instid0(VALU_DEP_2)
	v_cmpx_ne_u32_e32 0x80, v18
	s_cbranch_execz .LBB364_1525
; %bb.1520:                             ;   in Loop: Header=BB364_934 Depth=1
	v_bfe_u32 v19, v19, 24, 7
	v_mov_b32_e32 v8, 0x7f800001
	s_mov_b32 s17, exec_lo
	s_delay_alu instid0(VALU_DEP_2)
	v_cmpx_ne_u32_e32 0x7f, v19
	s_cbranch_execz .LBB364_1524
; %bb.1521:                             ;   in Loop: Header=BB364_934 Depth=1
	v_dual_lshrrev_b32 v8, 3, v19 :: v_dual_bitop2_b32 v22, 7, v18 bitop3:0x40
	s_mov_b32 s18, exec_lo
	v_cmpx_gt_u32_e32 8, v19
; %bb.1522:                             ;   in Loop: Header=BB364_934 Depth=1
	s_delay_alu instid0(VALU_DEP_2) | instskip(NEXT) | instid1(VALU_DEP_1)
	v_clz_i32_u32_e32 v8, v22
	v_min_u32_e32 v8, 32, v8
	s_delay_alu instid0(VALU_DEP_1) | instskip(NEXT) | instid1(VALU_DEP_1)
	v_subrev_nc_u32_e32 v19, 28, v8
	v_lshlrev_b64_e32 v[30:31], v19, v[22:23]
	s_delay_alu instid0(VALU_DEP_1)
	v_dual_sub_nc_u32 v8, 29, v8 :: v_dual_bitop2_b32 v22, 7, v30 bitop3:0x40
; %bb.1523:                             ;   in Loop: Header=BB364_934 Depth=1
	s_or_b32 exec_lo, exec_lo, s18
	v_lshlrev_b32_e32 v18, 24, v18
	s_delay_alu instid0(VALU_DEP_2) | instskip(NEXT) | instid1(VALU_DEP_3)
	v_lshlrev_b32_e32 v19, 20, v22
	v_lshl_add_u32 v8, v8, 23, 0x3c000000
	s_delay_alu instid0(VALU_DEP_3) | instskip(NEXT) | instid1(VALU_DEP_1)
	v_and_b32_e32 v18, 0x80000000, v18
	v_or3_b32 v8, v19, v18, v8
.LBB364_1524:                           ;   in Loop: Header=BB364_934 Depth=1
	s_or_b32 exec_lo, exec_lo, s17
.LBB364_1525:                           ;   in Loop: Header=BB364_934 Depth=1
	s_delay_alu instid0(SALU_CYCLE_1)
	s_or_b32 exec_lo, exec_lo, s16
.LBB364_1526:                           ;   in Loop: Header=BB364_934 Depth=1
	s_delay_alu instid0(SALU_CYCLE_1)
	s_or_b32 exec_lo, exec_lo, s15
	v_fma_mixlo_bf16 v104, v37, v7, 0
	v_fma_mixlo_bf16 v105, v37, v6, 0
	;; [unrolled: 1-line block ×8, first 2 shown]
	s_and_saveexec_b32 s15, vcc_lo
	s_cbranch_execz .LBB364_1528
; %bb.1527:                             ;   in Loop: Header=BB364_934 Depth=1
	v_cmp_lt_i32_e64 s0, v83, v106
	s_delay_alu instid0(VALU_DEP_1) | instskip(SKIP_1) | instid1(VALU_DEP_1)
	v_cndmask_b32_e64 v120, 0, v120, s0
	v_cmp_lt_i32_e64 s0, v87, v106
	v_cndmask_b32_e64 v111, 0, v111, s0
	v_cmp_lt_i32_e64 s0, v86, v106
	s_delay_alu instid0(VALU_DEP_1) | instskip(SKIP_1) | instid1(VALU_DEP_1)
	v_cndmask_b32_e64 v110, 0, v110, s0
	v_cmp_lt_i32_e64 s0, v85, v106
	v_cndmask_b32_e64 v109, 0, v109, s0
	;; [unrolled: 5-line block ×4, first 2 shown]
.LBB364_1528:                           ;   in Loop: Header=BB364_934 Depth=1
	s_or_b32 exec_lo, exec_lo, s15
	flat_load_b64 v[18:19], v[0:1] offset:2304
	v_dual_mov_b32 v3, 0 :: v_dual_mov_b32 v2, 0
	s_mov_b32 s15, exec_lo
	s_wait_loadcnt_dscnt 0x0
	v_and_b32_e32 v4, 0xff, v18
	s_wait_xcnt 0x0
	s_delay_alu instid0(VALU_DEP_1)
	v_cmpx_ne_u16_e32 0, v4
	s_cbranch_execz .LBB364_1536
; %bb.1529:                             ;   in Loop: Header=BB364_934 Depth=1
	v_bfrev_b32_e32 v2, 1
	s_mov_b32 s16, exec_lo
	v_cmpx_ne_u16_e32 0x80, v4
	s_cbranch_execz .LBB364_1535
; %bb.1530:                             ;   in Loop: Header=BB364_934 Depth=1
	v_and_b32_e32 v4, 0x7f, v18
	v_mov_b32_e32 v2, 0x7f800001
	s_mov_b32 s17, exec_lo
	s_delay_alu instid0(VALU_DEP_2)
	v_cmpx_ne_u32_e32 0x7f, v4
	s_cbranch_execz .LBB364_1534
; %bb.1531:                             ;   in Loop: Header=BB364_934 Depth=1
	v_mov_b64_e32 v[32:33], v[18:19]
	v_lshrrev_b32_e32 v2, 3, v4
	s_mov_b32 s18, exec_lo
	v_cmpx_gt_u32_e32 8, v4
; %bb.1532:                             ;   in Loop: Header=BB364_934 Depth=1
	v_and_b32_e32 v2, 7, v18
	s_delay_alu instid0(VALU_DEP_1) | instskip(NEXT) | instid1(VALU_DEP_1)
	v_clz_i32_u32_e32 v2, v2
	v_min_u32_e32 v2, 32, v2
	s_delay_alu instid0(VALU_DEP_1) | instskip(SKIP_1) | instid1(VALU_DEP_2)
	v_subrev_nc_u32_e32 v4, 28, v2
	v_sub_nc_u32_e32 v2, 29, v2
	v_lshlrev_b64_e32 v[32:33], v4, v[18:19]
; %bb.1533:                             ;   in Loop: Header=BB364_934 Depth=1
	s_or_b32 exec_lo, exec_lo, s18
	s_delay_alu instid0(VALU_DEP_1) | instskip(NEXT) | instid1(VALU_DEP_3)
	v_dual_lshlrev_b32 v4, 20, v32 :: v_dual_lshlrev_b32 v5, 24, v18
	v_lshl_add_u32 v2, v2, 23, 0x3c000000
	s_delay_alu instid0(VALU_DEP_2) | instskip(NEXT) | instid1(VALU_DEP_3)
	v_and_b32_e32 v4, 0x700000, v4
	v_and_b32_e32 v5, 0x80000000, v5
	s_delay_alu instid0(VALU_DEP_1)
	v_or3_b32 v2, v4, v5, v2
.LBB364_1534:                           ;   in Loop: Header=BB364_934 Depth=1
	s_or_b32 exec_lo, exec_lo, s17
.LBB364_1535:                           ;   in Loop: Header=BB364_934 Depth=1
	s_delay_alu instid0(SALU_CYCLE_1)
	s_or_b32 exec_lo, exec_lo, s16
.LBB364_1536:                           ;   in Loop: Header=BB364_934 Depth=1
	s_delay_alu instid0(SALU_CYCLE_1) | instskip(SKIP_2) | instid1(VALU_DEP_1)
	s_or_b32 exec_lo, exec_lo, s15
	v_lshrrev_b16 v4, 8, v18
	s_mov_b32 s15, exec_lo
	v_cmpx_ne_u16_e32 0, v4
	s_cbranch_execz .LBB364_1544
; %bb.1537:                             ;   in Loop: Header=BB364_934 Depth=1
	v_bfrev_b32_e32 v3, 1
	s_mov_b32 s16, exec_lo
	v_cmpx_ne_u16_e32 0x80, v4
	s_cbranch_execz .LBB364_1543
; %bb.1538:                             ;   in Loop: Header=BB364_934 Depth=1
	v_and_b32_e32 v5, 0xffff, v4
	v_mov_b32_e32 v3, 0x7f800001
	s_mov_b32 s17, exec_lo
	s_delay_alu instid0(VALU_DEP_2) | instskip(NEXT) | instid1(VALU_DEP_1)
	v_and_b32_e32 v4, 0x7f, v5
	v_cmpx_ne_u32_e32 0x7f, v4
	s_cbranch_execz .LBB364_1542
; %bb.1539:                             ;   in Loop: Header=BB364_934 Depth=1
	v_dual_lshrrev_b32 v3, 3, v4 :: v_dual_bitop2_b32 v22, 7, v5 bitop3:0x40
	s_mov_b32 s18, exec_lo
	v_cmpx_gt_u32_e32 8, v4
; %bb.1540:                             ;   in Loop: Header=BB364_934 Depth=1
	s_delay_alu instid0(VALU_DEP_2) | instskip(NEXT) | instid1(VALU_DEP_1)
	v_clz_i32_u32_e32 v3, v22
	v_min_u32_e32 v3, 32, v3
	s_delay_alu instid0(VALU_DEP_1) | instskip(NEXT) | instid1(VALU_DEP_1)
	v_subrev_nc_u32_e32 v4, 28, v3
	v_lshlrev_b64_e32 v[4:5], v4, v[22:23]
	s_delay_alu instid0(VALU_DEP_1)
	v_dual_sub_nc_u32 v3, 29, v3 :: v_dual_bitop2_b32 v22, 7, v4 bitop3:0x40
; %bb.1541:                             ;   in Loop: Header=BB364_934 Depth=1
	s_or_b32 exec_lo, exec_lo, s18
	v_lshlrev_b32_e32 v4, 16, v18
	s_delay_alu instid0(VALU_DEP_2) | instskip(NEXT) | instid1(VALU_DEP_3)
	v_lshlrev_b32_e32 v5, 20, v22
	v_lshl_add_u32 v3, v3, 23, 0x3c000000
	s_delay_alu instid0(VALU_DEP_3) | instskip(NEXT) | instid1(VALU_DEP_1)
	v_and_b32_e32 v4, 0x80000000, v4
	v_or3_b32 v3, v5, v4, v3
.LBB364_1542:                           ;   in Loop: Header=BB364_934 Depth=1
	s_or_b32 exec_lo, exec_lo, s17
.LBB364_1543:                           ;   in Loop: Header=BB364_934 Depth=1
	s_delay_alu instid0(SALU_CYCLE_1)
	s_or_b32 exec_lo, exec_lo, s16
.LBB364_1544:                           ;   in Loop: Header=BB364_934 Depth=1
	s_delay_alu instid0(SALU_CYCLE_1) | instskip(SKIP_3) | instid1(VALU_DEP_2)
	s_or_b32 exec_lo, exec_lo, s15
	v_dual_mov_b32 v5, 0 :: v_dual_lshrrev_b32 v6, 16, v18
	v_mov_b32_e32 v4, 0
	s_mov_b32 s15, exec_lo
	v_and_b32_e32 v7, 0xff, v6
	s_delay_alu instid0(VALU_DEP_1)
	v_cmpx_ne_u16_e32 0, v7
	s_cbranch_execz .LBB364_1552
; %bb.1545:                             ;   in Loop: Header=BB364_934 Depth=1
	v_bfrev_b32_e32 v4, 1
	s_mov_b32 s16, exec_lo
	v_cmpx_ne_u16_e32 0x80, v7
	s_cbranch_execz .LBB364_1551
; %bb.1546:                             ;   in Loop: Header=BB364_934 Depth=1
	v_bfe_u32 v7, v18, 16, 7
	v_mov_b32_e32 v4, 0x7f800001
	s_mov_b32 s17, exec_lo
	s_delay_alu instid0(VALU_DEP_2)
	v_cmpx_ne_u32_e32 0x7f, v7
	s_cbranch_execz .LBB364_1550
; %bb.1547:                             ;   in Loop: Header=BB364_934 Depth=1
	v_dual_lshrrev_b32 v4, 3, v7 :: v_dual_bitop2_b32 v22, 7, v6 bitop3:0x40
	s_mov_b32 s18, exec_lo
	v_cmpx_gt_u32_e32 8, v7
; %bb.1548:                             ;   in Loop: Header=BB364_934 Depth=1
	s_delay_alu instid0(VALU_DEP_2) | instskip(NEXT) | instid1(VALU_DEP_1)
	v_clz_i32_u32_e32 v4, v22
	v_min_u32_e32 v4, 32, v4
	s_delay_alu instid0(VALU_DEP_1) | instskip(SKIP_1) | instid1(VALU_DEP_2)
	v_subrev_nc_u32_e32 v7, 28, v4
	v_sub_nc_u32_e32 v4, 29, v4
	v_lshlrev_b64_e32 v[8:9], v7, v[22:23]
	s_delay_alu instid0(VALU_DEP_1)
	v_and_b32_e32 v22, 7, v8
; %bb.1549:                             ;   in Loop: Header=BB364_934 Depth=1
	s_or_b32 exec_lo, exec_lo, s18
	v_lshlrev_b32_e32 v6, 24, v6
	s_delay_alu instid0(VALU_DEP_2) | instskip(SKIP_1) | instid1(VALU_DEP_3)
	v_lshlrev_b32_e32 v7, 20, v22
	v_lshl_add_u32 v4, v4, 23, 0x3c000000
	v_and_b32_e32 v6, 0x80000000, v6
	s_delay_alu instid0(VALU_DEP_1)
	v_or3_b32 v4, v7, v6, v4
.LBB364_1550:                           ;   in Loop: Header=BB364_934 Depth=1
	s_or_b32 exec_lo, exec_lo, s17
.LBB364_1551:                           ;   in Loop: Header=BB364_934 Depth=1
	s_delay_alu instid0(SALU_CYCLE_1)
	s_or_b32 exec_lo, exec_lo, s16
.LBB364_1552:                           ;   in Loop: Header=BB364_934 Depth=1
	s_delay_alu instid0(SALU_CYCLE_1) | instskip(NEXT) | instid1(SALU_CYCLE_1)
	s_or_b32 exec_lo, exec_lo, s15
	s_mov_b32 s15, exec_lo
	v_cmpx_lt_u32_e32 0xffffff, v18
	s_cbranch_execz .LBB364_1560
; %bb.1553:                             ;   in Loop: Header=BB364_934 Depth=1
	v_lshrrev_b32_e32 v6, 24, v18
	v_bfrev_b32_e32 v5, 1
	s_mov_b32 s16, exec_lo
	s_delay_alu instid0(VALU_DEP_2)
	v_cmpx_ne_u32_e32 0x80, v6
	s_cbranch_execz .LBB364_1559
; %bb.1554:                             ;   in Loop: Header=BB364_934 Depth=1
	v_bfe_u32 v7, v18, 24, 7
	v_mov_b32_e32 v5, 0x7f800001
	s_mov_b32 s17, exec_lo
	s_delay_alu instid0(VALU_DEP_2)
	v_cmpx_ne_u32_e32 0x7f, v7
	s_cbranch_execz .LBB364_1558
; %bb.1555:                             ;   in Loop: Header=BB364_934 Depth=1
	v_dual_lshrrev_b32 v5, 3, v7 :: v_dual_bitop2_b32 v22, 7, v6 bitop3:0x40
	s_mov_b32 s18, exec_lo
	v_cmpx_gt_u32_e32 8, v7
; %bb.1556:                             ;   in Loop: Header=BB364_934 Depth=1
	s_delay_alu instid0(VALU_DEP_2) | instskip(NEXT) | instid1(VALU_DEP_1)
	v_clz_i32_u32_e32 v5, v22
	v_min_u32_e32 v5, 32, v5
	s_delay_alu instid0(VALU_DEP_1) | instskip(NEXT) | instid1(VALU_DEP_1)
	v_subrev_nc_u32_e32 v7, 28, v5
	v_lshlrev_b64_e32 v[8:9], v7, v[22:23]
	s_delay_alu instid0(VALU_DEP_1)
	v_dual_sub_nc_u32 v5, 29, v5 :: v_dual_bitop2_b32 v22, 7, v8 bitop3:0x40
; %bb.1557:                             ;   in Loop: Header=BB364_934 Depth=1
	s_or_b32 exec_lo, exec_lo, s18
	v_lshlrev_b32_e32 v6, 24, v6
	s_delay_alu instid0(VALU_DEP_2) | instskip(NEXT) | instid1(VALU_DEP_3)
	v_lshlrev_b32_e32 v7, 20, v22
	v_lshl_add_u32 v5, v5, 23, 0x3c000000
	s_delay_alu instid0(VALU_DEP_3) | instskip(NEXT) | instid1(VALU_DEP_1)
	v_and_b32_e32 v6, 0x80000000, v6
	v_or3_b32 v5, v7, v6, v5
.LBB364_1558:                           ;   in Loop: Header=BB364_934 Depth=1
	s_or_b32 exec_lo, exec_lo, s17
.LBB364_1559:                           ;   in Loop: Header=BB364_934 Depth=1
	s_delay_alu instid0(SALU_CYCLE_1)
	s_or_b32 exec_lo, exec_lo, s16
.LBB364_1560:                           ;   in Loop: Header=BB364_934 Depth=1
	s_delay_alu instid0(SALU_CYCLE_1) | instskip(SKIP_4) | instid1(VALU_DEP_3)
	s_or_b32 exec_lo, exec_lo, s15
	v_and_b32_e32 v8, 0xff, v19
	v_dual_mov_b32 v22, v19 :: v_dual_mov_b32 v7, 0
	v_mov_b32_e32 v6, 0
	s_mov_b32 s15, exec_lo
	v_cmpx_ne_u16_e32 0, v8
	s_cbranch_execz .LBB364_1568
; %bb.1561:                             ;   in Loop: Header=BB364_934 Depth=1
	v_bfrev_b32_e32 v6, 1
	s_mov_b32 s16, exec_lo
	v_cmpx_ne_u16_e32 0x80, v8
	s_cbranch_execz .LBB364_1567
; %bb.1562:                             ;   in Loop: Header=BB364_934 Depth=1
	v_and_b32_e32 v8, 0x7f, v19
	v_mov_b32_e32 v6, 0x7f800001
	s_mov_b32 s17, exec_lo
	s_delay_alu instid0(VALU_DEP_2)
	v_cmpx_ne_u32_e32 0x7f, v8
	s_cbranch_execz .LBB364_1566
; %bb.1563:                             ;   in Loop: Header=BB364_934 Depth=1
	v_mov_b64_e32 v[32:33], v[22:23]
	v_lshrrev_b32_e32 v6, 3, v8
	s_mov_b32 s18, exec_lo
	v_cmpx_gt_u32_e32 8, v8
; %bb.1564:                             ;   in Loop: Header=BB364_934 Depth=1
	v_and_b32_e32 v6, 7, v19
	s_delay_alu instid0(VALU_DEP_1) | instskip(NEXT) | instid1(VALU_DEP_1)
	v_clz_i32_u32_e32 v6, v6
	v_min_u32_e32 v6, 32, v6
	s_delay_alu instid0(VALU_DEP_1) | instskip(SKIP_1) | instid1(VALU_DEP_2)
	v_subrev_nc_u32_e32 v8, 28, v6
	v_sub_nc_u32_e32 v6, 29, v6
	v_lshlrev_b64_e32 v[32:33], v8, v[22:23]
; %bb.1565:                             ;   in Loop: Header=BB364_934 Depth=1
	s_or_b32 exec_lo, exec_lo, s18
	s_delay_alu instid0(VALU_DEP_1) | instskip(NEXT) | instid1(VALU_DEP_3)
	v_dual_lshlrev_b32 v8, 20, v32 :: v_dual_lshlrev_b32 v9, 24, v22
	v_lshl_add_u32 v6, v6, 23, 0x3c000000
	s_delay_alu instid0(VALU_DEP_2) | instskip(NEXT) | instid1(VALU_DEP_3)
	v_and_b32_e32 v8, 0x700000, v8
	v_and_b32_e32 v9, 0x80000000, v9
	s_delay_alu instid0(VALU_DEP_1)
	v_or3_b32 v6, v8, v9, v6
.LBB364_1566:                           ;   in Loop: Header=BB364_934 Depth=1
	s_or_b32 exec_lo, exec_lo, s17
.LBB364_1567:                           ;   in Loop: Header=BB364_934 Depth=1
	s_delay_alu instid0(SALU_CYCLE_1)
	s_or_b32 exec_lo, exec_lo, s16
.LBB364_1568:                           ;   in Loop: Header=BB364_934 Depth=1
	s_delay_alu instid0(SALU_CYCLE_1) | instskip(SKIP_2) | instid1(VALU_DEP_1)
	s_or_b32 exec_lo, exec_lo, s15
	v_lshrrev_b16 v8, 8, v22
	s_mov_b32 s15, exec_lo
	v_cmpx_ne_u16_e32 0, v8
	s_cbranch_execz .LBB364_1576
; %bb.1569:                             ;   in Loop: Header=BB364_934 Depth=1
	v_bfrev_b32_e32 v7, 1
	s_mov_b32 s16, exec_lo
	v_cmpx_ne_u16_e32 0x80, v8
	s_cbranch_execz .LBB364_1575
; %bb.1570:                             ;   in Loop: Header=BB364_934 Depth=1
	v_and_b32_e32 v9, 0xffff, v8
	v_mov_b32_e32 v7, 0x7f800001
	s_mov_b32 s17, exec_lo
	s_delay_alu instid0(VALU_DEP_2) | instskip(NEXT) | instid1(VALU_DEP_1)
	v_and_b32_e32 v8, 0x7f, v9
	v_cmpx_ne_u32_e32 0x7f, v8
	s_cbranch_execz .LBB364_1574
; %bb.1571:                             ;   in Loop: Header=BB364_934 Depth=1
	v_dual_mov_b32 v33, v23 :: v_dual_bitop2_b32 v32, 7, v9 bitop3:0x40
	v_lshrrev_b32_e32 v7, 3, v8
	s_mov_b32 s18, exec_lo
	v_cmpx_gt_u32_e32 8, v8
; %bb.1572:                             ;   in Loop: Header=BB364_934 Depth=1
	s_delay_alu instid0(VALU_DEP_3) | instskip(NEXT) | instid1(VALU_DEP_1)
	v_clz_i32_u32_e32 v7, v32
	v_min_u32_e32 v7, 32, v7
	s_delay_alu instid0(VALU_DEP_1) | instskip(NEXT) | instid1(VALU_DEP_1)
	v_subrev_nc_u32_e32 v8, 28, v7
	v_lshlrev_b64_e32 v[8:9], v8, v[32:33]
	s_delay_alu instid0(VALU_DEP_1)
	v_dual_sub_nc_u32 v7, 29, v7 :: v_dual_bitop2_b32 v32, 7, v8 bitop3:0x40
; %bb.1573:                             ;   in Loop: Header=BB364_934 Depth=1
	s_or_b32 exec_lo, exec_lo, s18
	s_delay_alu instid0(VALU_DEP_1) | instskip(NEXT) | instid1(VALU_DEP_2)
	v_dual_lshlrev_b32 v8, 16, v22 :: v_dual_lshlrev_b32 v9, 20, v32
	v_lshl_add_u32 v7, v7, 23, 0x3c000000
	s_delay_alu instid0(VALU_DEP_2) | instskip(NEXT) | instid1(VALU_DEP_1)
	v_and_b32_e32 v8, 0x80000000, v8
	v_or3_b32 v7, v9, v8, v7
.LBB364_1574:                           ;   in Loop: Header=BB364_934 Depth=1
	s_or_b32 exec_lo, exec_lo, s17
.LBB364_1575:                           ;   in Loop: Header=BB364_934 Depth=1
	s_delay_alu instid0(SALU_CYCLE_1)
	s_or_b32 exec_lo, exec_lo, s16
.LBB364_1576:                           ;   in Loop: Header=BB364_934 Depth=1
	s_delay_alu instid0(SALU_CYCLE_1) | instskip(SKIP_3) | instid1(VALU_DEP_2)
	s_or_b32 exec_lo, exec_lo, s15
	v_dual_lshrrev_b32 v30, 16, v19 :: v_dual_mov_b32 v8, 0
	v_mov_b32_e32 v9, 0
	s_mov_b32 s15, exec_lo
	v_and_b32_e32 v22, 0xff, v30
	s_delay_alu instid0(VALU_DEP_1)
	v_cmpx_ne_u16_e32 0, v22
	s_cbranch_execz .LBB364_1584
; %bb.1577:                             ;   in Loop: Header=BB364_934 Depth=1
	v_bfrev_b32_e32 v9, 1
	s_mov_b32 s16, exec_lo
	v_cmpx_ne_u16_e32 0x80, v22
	s_cbranch_execz .LBB364_1583
; %bb.1578:                             ;   in Loop: Header=BB364_934 Depth=1
	v_bfe_u32 v31, v19, 16, 7
	v_mov_b32_e32 v9, 0x7f800001
	s_mov_b32 s17, exec_lo
	s_delay_alu instid0(VALU_DEP_2)
	v_cmpx_ne_u32_e32 0x7f, v31
	s_cbranch_execz .LBB364_1582
; %bb.1579:                             ;   in Loop: Header=BB364_934 Depth=1
	v_dual_lshrrev_b32 v9, 3, v31 :: v_dual_bitop2_b32 v22, 7, v30 bitop3:0x40
	s_mov_b32 s18, exec_lo
	v_cmpx_gt_u32_e32 8, v31
; %bb.1580:                             ;   in Loop: Header=BB364_934 Depth=1
	s_delay_alu instid0(VALU_DEP_2) | instskip(NEXT) | instid1(VALU_DEP_1)
	v_clz_i32_u32_e32 v9, v22
	v_min_u32_e32 v9, 32, v9
	s_delay_alu instid0(VALU_DEP_1) | instskip(NEXT) | instid1(VALU_DEP_1)
	v_subrev_nc_u32_e32 v31, 28, v9
	v_lshlrev_b64_e32 v[32:33], v31, v[22:23]
	s_delay_alu instid0(VALU_DEP_1)
	v_dual_sub_nc_u32 v9, 29, v9 :: v_dual_bitop2_b32 v22, 7, v32 bitop3:0x40
; %bb.1581:                             ;   in Loop: Header=BB364_934 Depth=1
	s_or_b32 exec_lo, exec_lo, s18
	v_lshlrev_b32_e32 v30, 24, v30
	s_delay_alu instid0(VALU_DEP_2) | instskip(NEXT) | instid1(VALU_DEP_3)
	v_lshlrev_b32_e32 v22, 20, v22
	v_lshl_add_u32 v9, v9, 23, 0x3c000000
	s_delay_alu instid0(VALU_DEP_3) | instskip(NEXT) | instid1(VALU_DEP_1)
	v_and_b32_e32 v30, 0x80000000, v30
	v_or3_b32 v9, v22, v30, v9
.LBB364_1582:                           ;   in Loop: Header=BB364_934 Depth=1
	s_or_b32 exec_lo, exec_lo, s17
.LBB364_1583:                           ;   in Loop: Header=BB364_934 Depth=1
	s_delay_alu instid0(SALU_CYCLE_1)
	s_or_b32 exec_lo, exec_lo, s16
.LBB364_1584:                           ;   in Loop: Header=BB364_934 Depth=1
	s_delay_alu instid0(SALU_CYCLE_1) | instskip(NEXT) | instid1(SALU_CYCLE_1)
	s_or_b32 exec_lo, exec_lo, s15
	s_mov_b32 s15, exec_lo
	v_cmpx_lt_u64_e64 s[2:3], v[18:19]
	s_cbranch_execz .LBB364_1592
; %bb.1585:                             ;   in Loop: Header=BB364_934 Depth=1
	v_lshrrev_b32_e32 v18, 24, v19
	v_bfrev_b32_e32 v8, 1
	s_mov_b32 s16, exec_lo
	s_delay_alu instid0(VALU_DEP_2)
	v_cmpx_ne_u32_e32 0x80, v18
	s_cbranch_execz .LBB364_1591
; %bb.1586:                             ;   in Loop: Header=BB364_934 Depth=1
	v_bfe_u32 v19, v19, 24, 7
	v_mov_b32_e32 v8, 0x7f800001
	s_mov_b32 s17, exec_lo
	s_delay_alu instid0(VALU_DEP_2)
	v_cmpx_ne_u32_e32 0x7f, v19
	s_cbranch_execz .LBB364_1590
; %bb.1587:                             ;   in Loop: Header=BB364_934 Depth=1
	v_dual_lshrrev_b32 v8, 3, v19 :: v_dual_bitop2_b32 v22, 7, v18 bitop3:0x40
	s_mov_b32 s18, exec_lo
	v_cmpx_gt_u32_e32 8, v19
; %bb.1588:                             ;   in Loop: Header=BB364_934 Depth=1
	s_delay_alu instid0(VALU_DEP_2) | instskip(NEXT) | instid1(VALU_DEP_1)
	v_clz_i32_u32_e32 v8, v22
	v_min_u32_e32 v8, 32, v8
	s_delay_alu instid0(VALU_DEP_1) | instskip(NEXT) | instid1(VALU_DEP_1)
	v_subrev_nc_u32_e32 v19, 28, v8
	v_lshlrev_b64_e32 v[30:31], v19, v[22:23]
	s_delay_alu instid0(VALU_DEP_1)
	v_dual_sub_nc_u32 v8, 29, v8 :: v_dual_bitop2_b32 v22, 7, v30 bitop3:0x40
; %bb.1589:                             ;   in Loop: Header=BB364_934 Depth=1
	s_or_b32 exec_lo, exec_lo, s18
	v_lshlrev_b32_e32 v18, 24, v18
	s_delay_alu instid0(VALU_DEP_2) | instskip(NEXT) | instid1(VALU_DEP_3)
	v_lshlrev_b32_e32 v19, 20, v22
	v_lshl_add_u32 v8, v8, 23, 0x3c000000
	s_delay_alu instid0(VALU_DEP_3) | instskip(NEXT) | instid1(VALU_DEP_1)
	v_and_b32_e32 v18, 0x80000000, v18
	v_or3_b32 v8, v19, v18, v8
.LBB364_1590:                           ;   in Loop: Header=BB364_934 Depth=1
	s_or_b32 exec_lo, exec_lo, s17
.LBB364_1591:                           ;   in Loop: Header=BB364_934 Depth=1
	s_delay_alu instid0(SALU_CYCLE_1)
	s_or_b32 exec_lo, exec_lo, s16
.LBB364_1592:                           ;   in Loop: Header=BB364_934 Depth=1
	s_delay_alu instid0(SALU_CYCLE_1)
	s_or_b32 exec_lo, exec_lo, s15
	v_fma_mixlo_bf16 v121, v37, v7, 0
	v_fma_mixlo_bf16 v122, v37, v6, 0
	;; [unrolled: 1-line block ×8, first 2 shown]
	s_and_saveexec_b32 s15, vcc_lo
	s_cbranch_execz .LBB364_1594
; %bb.1593:                             ;   in Loop: Header=BB364_934 Depth=1
	v_cmp_lt_i32_e64 s0, v83, v106
	s_delay_alu instid0(VALU_DEP_1) | instskip(SKIP_1) | instid1(VALU_DEP_1)
	v_cndmask_b32_e64 v36, 0, v36, s0
	v_cmp_lt_i32_e64 s0, v87, v106
	v_cndmask_b32_e64 v127, 0, v127, s0
	v_cmp_lt_i32_e64 s0, v86, v106
	s_delay_alu instid0(VALU_DEP_1) | instskip(SKIP_1) | instid1(VALU_DEP_1)
	v_cndmask_b32_e64 v126, 0, v126, s0
	v_cmp_lt_i32_e64 s0, v85, v106
	v_cndmask_b32_e64 v125, 0, v125, s0
	;; [unrolled: 5-line block ×4, first 2 shown]
.LBB364_1594:                           ;   in Loop: Header=BB364_934 Depth=1
	s_or_b32 exec_lo, exec_lo, s15
	flat_load_b64 v[18:19], v[0:1] offset:2560
	v_dual_mov_b32 v3, 0 :: v_dual_mov_b32 v2, 0
	s_mov_b32 s15, exec_lo
	s_wait_loadcnt_dscnt 0x0
	v_and_b32_e32 v4, 0xff, v18
	s_wait_xcnt 0x0
	s_delay_alu instid0(VALU_DEP_1)
	v_cmpx_ne_u16_e32 0, v4
	s_cbranch_execz .LBB364_1602
; %bb.1595:                             ;   in Loop: Header=BB364_934 Depth=1
	v_bfrev_b32_e32 v2, 1
	s_mov_b32 s16, exec_lo
	v_cmpx_ne_u16_e32 0x80, v4
	s_cbranch_execz .LBB364_1601
; %bb.1596:                             ;   in Loop: Header=BB364_934 Depth=1
	v_and_b32_e32 v4, 0x7f, v18
	v_mov_b32_e32 v2, 0x7f800001
	s_mov_b32 s17, exec_lo
	s_delay_alu instid0(VALU_DEP_2)
	v_cmpx_ne_u32_e32 0x7f, v4
	s_cbranch_execz .LBB364_1600
; %bb.1597:                             ;   in Loop: Header=BB364_934 Depth=1
	v_mov_b64_e32 v[32:33], v[18:19]
	v_lshrrev_b32_e32 v2, 3, v4
	s_mov_b32 s18, exec_lo
	v_cmpx_gt_u32_e32 8, v4
; %bb.1598:                             ;   in Loop: Header=BB364_934 Depth=1
	v_and_b32_e32 v2, 7, v18
	s_delay_alu instid0(VALU_DEP_1) | instskip(NEXT) | instid1(VALU_DEP_1)
	v_clz_i32_u32_e32 v2, v2
	v_min_u32_e32 v2, 32, v2
	s_delay_alu instid0(VALU_DEP_1) | instskip(SKIP_1) | instid1(VALU_DEP_2)
	v_subrev_nc_u32_e32 v4, 28, v2
	v_sub_nc_u32_e32 v2, 29, v2
	v_lshlrev_b64_e32 v[32:33], v4, v[18:19]
; %bb.1599:                             ;   in Loop: Header=BB364_934 Depth=1
	s_or_b32 exec_lo, exec_lo, s18
	s_delay_alu instid0(VALU_DEP_1) | instskip(NEXT) | instid1(VALU_DEP_3)
	v_dual_lshlrev_b32 v4, 20, v32 :: v_dual_lshlrev_b32 v5, 24, v18
	v_lshl_add_u32 v2, v2, 23, 0x3c000000
	s_delay_alu instid0(VALU_DEP_2) | instskip(NEXT) | instid1(VALU_DEP_3)
	v_and_b32_e32 v4, 0x700000, v4
	v_and_b32_e32 v5, 0x80000000, v5
	s_delay_alu instid0(VALU_DEP_1)
	v_or3_b32 v2, v4, v5, v2
.LBB364_1600:                           ;   in Loop: Header=BB364_934 Depth=1
	s_or_b32 exec_lo, exec_lo, s17
.LBB364_1601:                           ;   in Loop: Header=BB364_934 Depth=1
	s_delay_alu instid0(SALU_CYCLE_1)
	s_or_b32 exec_lo, exec_lo, s16
.LBB364_1602:                           ;   in Loop: Header=BB364_934 Depth=1
	s_delay_alu instid0(SALU_CYCLE_1) | instskip(SKIP_2) | instid1(VALU_DEP_1)
	s_or_b32 exec_lo, exec_lo, s15
	v_lshrrev_b16 v4, 8, v18
	s_mov_b32 s15, exec_lo
	v_cmpx_ne_u16_e32 0, v4
	s_cbranch_execz .LBB364_1610
; %bb.1603:                             ;   in Loop: Header=BB364_934 Depth=1
	v_bfrev_b32_e32 v3, 1
	s_mov_b32 s16, exec_lo
	v_cmpx_ne_u16_e32 0x80, v4
	s_cbranch_execz .LBB364_1609
; %bb.1604:                             ;   in Loop: Header=BB364_934 Depth=1
	v_and_b32_e32 v5, 0xffff, v4
	v_mov_b32_e32 v3, 0x7f800001
	s_mov_b32 s17, exec_lo
	s_delay_alu instid0(VALU_DEP_2) | instskip(NEXT) | instid1(VALU_DEP_1)
	v_and_b32_e32 v4, 0x7f, v5
	v_cmpx_ne_u32_e32 0x7f, v4
	s_cbranch_execz .LBB364_1608
; %bb.1605:                             ;   in Loop: Header=BB364_934 Depth=1
	v_dual_lshrrev_b32 v3, 3, v4 :: v_dual_bitop2_b32 v22, 7, v5 bitop3:0x40
	s_mov_b32 s18, exec_lo
	v_cmpx_gt_u32_e32 8, v4
; %bb.1606:                             ;   in Loop: Header=BB364_934 Depth=1
	s_delay_alu instid0(VALU_DEP_2) | instskip(NEXT) | instid1(VALU_DEP_1)
	v_clz_i32_u32_e32 v3, v22
	v_min_u32_e32 v3, 32, v3
	s_delay_alu instid0(VALU_DEP_1) | instskip(NEXT) | instid1(VALU_DEP_1)
	v_subrev_nc_u32_e32 v4, 28, v3
	v_lshlrev_b64_e32 v[4:5], v4, v[22:23]
	s_delay_alu instid0(VALU_DEP_1)
	v_dual_sub_nc_u32 v3, 29, v3 :: v_dual_bitop2_b32 v22, 7, v4 bitop3:0x40
; %bb.1607:                             ;   in Loop: Header=BB364_934 Depth=1
	s_or_b32 exec_lo, exec_lo, s18
	v_lshlrev_b32_e32 v4, 16, v18
	s_delay_alu instid0(VALU_DEP_2) | instskip(NEXT) | instid1(VALU_DEP_3)
	v_lshlrev_b32_e32 v5, 20, v22
	v_lshl_add_u32 v3, v3, 23, 0x3c000000
	s_delay_alu instid0(VALU_DEP_3) | instskip(NEXT) | instid1(VALU_DEP_1)
	v_and_b32_e32 v4, 0x80000000, v4
	v_or3_b32 v3, v5, v4, v3
.LBB364_1608:                           ;   in Loop: Header=BB364_934 Depth=1
	s_or_b32 exec_lo, exec_lo, s17
.LBB364_1609:                           ;   in Loop: Header=BB364_934 Depth=1
	s_delay_alu instid0(SALU_CYCLE_1)
	s_or_b32 exec_lo, exec_lo, s16
.LBB364_1610:                           ;   in Loop: Header=BB364_934 Depth=1
	s_delay_alu instid0(SALU_CYCLE_1) | instskip(SKIP_3) | instid1(VALU_DEP_2)
	s_or_b32 exec_lo, exec_lo, s15
	v_dual_mov_b32 v5, 0 :: v_dual_lshrrev_b32 v6, 16, v18
	v_mov_b32_e32 v4, 0
	s_mov_b32 s15, exec_lo
	v_and_b32_e32 v7, 0xff, v6
	s_delay_alu instid0(VALU_DEP_1)
	v_cmpx_ne_u16_e32 0, v7
	s_cbranch_execz .LBB364_1618
; %bb.1611:                             ;   in Loop: Header=BB364_934 Depth=1
	v_bfrev_b32_e32 v4, 1
	s_mov_b32 s16, exec_lo
	v_cmpx_ne_u16_e32 0x80, v7
	s_cbranch_execz .LBB364_1617
; %bb.1612:                             ;   in Loop: Header=BB364_934 Depth=1
	v_bfe_u32 v7, v18, 16, 7
	v_mov_b32_e32 v4, 0x7f800001
	s_mov_b32 s17, exec_lo
	s_delay_alu instid0(VALU_DEP_2)
	v_cmpx_ne_u32_e32 0x7f, v7
	s_cbranch_execz .LBB364_1616
; %bb.1613:                             ;   in Loop: Header=BB364_934 Depth=1
	v_dual_lshrrev_b32 v4, 3, v7 :: v_dual_bitop2_b32 v22, 7, v6 bitop3:0x40
	s_mov_b32 s18, exec_lo
	v_cmpx_gt_u32_e32 8, v7
; %bb.1614:                             ;   in Loop: Header=BB364_934 Depth=1
	s_delay_alu instid0(VALU_DEP_2) | instskip(NEXT) | instid1(VALU_DEP_1)
	v_clz_i32_u32_e32 v4, v22
	v_min_u32_e32 v4, 32, v4
	s_delay_alu instid0(VALU_DEP_1) | instskip(SKIP_1) | instid1(VALU_DEP_2)
	v_subrev_nc_u32_e32 v7, 28, v4
	v_sub_nc_u32_e32 v4, 29, v4
	v_lshlrev_b64_e32 v[8:9], v7, v[22:23]
	s_delay_alu instid0(VALU_DEP_1)
	v_and_b32_e32 v22, 7, v8
; %bb.1615:                             ;   in Loop: Header=BB364_934 Depth=1
	s_or_b32 exec_lo, exec_lo, s18
	v_lshlrev_b32_e32 v6, 24, v6
	s_delay_alu instid0(VALU_DEP_2) | instskip(SKIP_1) | instid1(VALU_DEP_3)
	v_lshlrev_b32_e32 v7, 20, v22
	v_lshl_add_u32 v4, v4, 23, 0x3c000000
	v_and_b32_e32 v6, 0x80000000, v6
	s_delay_alu instid0(VALU_DEP_1)
	v_or3_b32 v4, v7, v6, v4
.LBB364_1616:                           ;   in Loop: Header=BB364_934 Depth=1
	s_or_b32 exec_lo, exec_lo, s17
.LBB364_1617:                           ;   in Loop: Header=BB364_934 Depth=1
	s_delay_alu instid0(SALU_CYCLE_1)
	s_or_b32 exec_lo, exec_lo, s16
.LBB364_1618:                           ;   in Loop: Header=BB364_934 Depth=1
	s_delay_alu instid0(SALU_CYCLE_1) | instskip(NEXT) | instid1(SALU_CYCLE_1)
	s_or_b32 exec_lo, exec_lo, s15
	s_mov_b32 s15, exec_lo
	v_cmpx_lt_u32_e32 0xffffff, v18
	s_cbranch_execz .LBB364_1626
; %bb.1619:                             ;   in Loop: Header=BB364_934 Depth=1
	v_lshrrev_b32_e32 v6, 24, v18
	v_bfrev_b32_e32 v5, 1
	s_mov_b32 s16, exec_lo
	s_delay_alu instid0(VALU_DEP_2)
	v_cmpx_ne_u32_e32 0x80, v6
	s_cbranch_execz .LBB364_1625
; %bb.1620:                             ;   in Loop: Header=BB364_934 Depth=1
	v_bfe_u32 v7, v18, 24, 7
	v_mov_b32_e32 v5, 0x7f800001
	s_mov_b32 s17, exec_lo
	s_delay_alu instid0(VALU_DEP_2)
	v_cmpx_ne_u32_e32 0x7f, v7
	s_cbranch_execz .LBB364_1624
; %bb.1621:                             ;   in Loop: Header=BB364_934 Depth=1
	v_dual_lshrrev_b32 v5, 3, v7 :: v_dual_bitop2_b32 v22, 7, v6 bitop3:0x40
	s_mov_b32 s18, exec_lo
	v_cmpx_gt_u32_e32 8, v7
; %bb.1622:                             ;   in Loop: Header=BB364_934 Depth=1
	s_delay_alu instid0(VALU_DEP_2) | instskip(NEXT) | instid1(VALU_DEP_1)
	v_clz_i32_u32_e32 v5, v22
	v_min_u32_e32 v5, 32, v5
	s_delay_alu instid0(VALU_DEP_1) | instskip(NEXT) | instid1(VALU_DEP_1)
	v_subrev_nc_u32_e32 v7, 28, v5
	v_lshlrev_b64_e32 v[8:9], v7, v[22:23]
	s_delay_alu instid0(VALU_DEP_1)
	v_dual_sub_nc_u32 v5, 29, v5 :: v_dual_bitop2_b32 v22, 7, v8 bitop3:0x40
; %bb.1623:                             ;   in Loop: Header=BB364_934 Depth=1
	s_or_b32 exec_lo, exec_lo, s18
	v_lshlrev_b32_e32 v6, 24, v6
	s_delay_alu instid0(VALU_DEP_2) | instskip(NEXT) | instid1(VALU_DEP_3)
	v_lshlrev_b32_e32 v7, 20, v22
	v_lshl_add_u32 v5, v5, 23, 0x3c000000
	s_delay_alu instid0(VALU_DEP_3) | instskip(NEXT) | instid1(VALU_DEP_1)
	v_and_b32_e32 v6, 0x80000000, v6
	v_or3_b32 v5, v7, v6, v5
.LBB364_1624:                           ;   in Loop: Header=BB364_934 Depth=1
	s_or_b32 exec_lo, exec_lo, s17
.LBB364_1625:                           ;   in Loop: Header=BB364_934 Depth=1
	s_delay_alu instid0(SALU_CYCLE_1)
	s_or_b32 exec_lo, exec_lo, s16
.LBB364_1626:                           ;   in Loop: Header=BB364_934 Depth=1
	s_delay_alu instid0(SALU_CYCLE_1) | instskip(SKIP_4) | instid1(VALU_DEP_3)
	s_or_b32 exec_lo, exec_lo, s15
	v_and_b32_e32 v8, 0xff, v19
	v_dual_mov_b32 v22, v19 :: v_dual_mov_b32 v7, 0
	v_mov_b32_e32 v6, 0
	s_mov_b32 s15, exec_lo
	v_cmpx_ne_u16_e32 0, v8
	s_cbranch_execz .LBB364_1634
; %bb.1627:                             ;   in Loop: Header=BB364_934 Depth=1
	v_bfrev_b32_e32 v6, 1
	s_mov_b32 s16, exec_lo
	v_cmpx_ne_u16_e32 0x80, v8
	s_cbranch_execz .LBB364_1633
; %bb.1628:                             ;   in Loop: Header=BB364_934 Depth=1
	v_and_b32_e32 v8, 0x7f, v19
	v_mov_b32_e32 v6, 0x7f800001
	s_mov_b32 s17, exec_lo
	s_delay_alu instid0(VALU_DEP_2)
	v_cmpx_ne_u32_e32 0x7f, v8
	s_cbranch_execz .LBB364_1632
; %bb.1629:                             ;   in Loop: Header=BB364_934 Depth=1
	v_mov_b64_e32 v[32:33], v[22:23]
	v_lshrrev_b32_e32 v6, 3, v8
	s_mov_b32 s18, exec_lo
	v_cmpx_gt_u32_e32 8, v8
; %bb.1630:                             ;   in Loop: Header=BB364_934 Depth=1
	v_and_b32_e32 v6, 7, v19
	s_delay_alu instid0(VALU_DEP_1) | instskip(NEXT) | instid1(VALU_DEP_1)
	v_clz_i32_u32_e32 v6, v6
	v_min_u32_e32 v6, 32, v6
	s_delay_alu instid0(VALU_DEP_1) | instskip(SKIP_1) | instid1(VALU_DEP_2)
	v_subrev_nc_u32_e32 v8, 28, v6
	v_sub_nc_u32_e32 v6, 29, v6
	v_lshlrev_b64_e32 v[32:33], v8, v[22:23]
; %bb.1631:                             ;   in Loop: Header=BB364_934 Depth=1
	s_or_b32 exec_lo, exec_lo, s18
	s_delay_alu instid0(VALU_DEP_1) | instskip(NEXT) | instid1(VALU_DEP_3)
	v_dual_lshlrev_b32 v8, 20, v32 :: v_dual_lshlrev_b32 v9, 24, v22
	v_lshl_add_u32 v6, v6, 23, 0x3c000000
	s_delay_alu instid0(VALU_DEP_2) | instskip(NEXT) | instid1(VALU_DEP_3)
	v_and_b32_e32 v8, 0x700000, v8
	v_and_b32_e32 v9, 0x80000000, v9
	s_delay_alu instid0(VALU_DEP_1)
	v_or3_b32 v6, v8, v9, v6
.LBB364_1632:                           ;   in Loop: Header=BB364_934 Depth=1
	s_or_b32 exec_lo, exec_lo, s17
.LBB364_1633:                           ;   in Loop: Header=BB364_934 Depth=1
	s_delay_alu instid0(SALU_CYCLE_1)
	s_or_b32 exec_lo, exec_lo, s16
.LBB364_1634:                           ;   in Loop: Header=BB364_934 Depth=1
	s_delay_alu instid0(SALU_CYCLE_1) | instskip(SKIP_2) | instid1(VALU_DEP_1)
	s_or_b32 exec_lo, exec_lo, s15
	v_lshrrev_b16 v8, 8, v22
	s_mov_b32 s15, exec_lo
	v_cmpx_ne_u16_e32 0, v8
	s_cbranch_execz .LBB364_1642
; %bb.1635:                             ;   in Loop: Header=BB364_934 Depth=1
	v_bfrev_b32_e32 v7, 1
	s_mov_b32 s16, exec_lo
	v_cmpx_ne_u16_e32 0x80, v8
	s_cbranch_execz .LBB364_1641
; %bb.1636:                             ;   in Loop: Header=BB364_934 Depth=1
	v_and_b32_e32 v9, 0xffff, v8
	v_mov_b32_e32 v7, 0x7f800001
	s_mov_b32 s17, exec_lo
	s_delay_alu instid0(VALU_DEP_2) | instskip(NEXT) | instid1(VALU_DEP_1)
	v_and_b32_e32 v8, 0x7f, v9
	v_cmpx_ne_u32_e32 0x7f, v8
	s_cbranch_execz .LBB364_1640
; %bb.1637:                             ;   in Loop: Header=BB364_934 Depth=1
	v_dual_mov_b32 v33, v23 :: v_dual_bitop2_b32 v32, 7, v9 bitop3:0x40
	v_lshrrev_b32_e32 v7, 3, v8
	s_mov_b32 s18, exec_lo
	v_cmpx_gt_u32_e32 8, v8
; %bb.1638:                             ;   in Loop: Header=BB364_934 Depth=1
	s_delay_alu instid0(VALU_DEP_3) | instskip(NEXT) | instid1(VALU_DEP_1)
	v_clz_i32_u32_e32 v7, v32
	v_min_u32_e32 v7, 32, v7
	s_delay_alu instid0(VALU_DEP_1) | instskip(NEXT) | instid1(VALU_DEP_1)
	v_subrev_nc_u32_e32 v8, 28, v7
	v_lshlrev_b64_e32 v[8:9], v8, v[32:33]
	s_delay_alu instid0(VALU_DEP_1)
	v_dual_sub_nc_u32 v7, 29, v7 :: v_dual_bitop2_b32 v32, 7, v8 bitop3:0x40
; %bb.1639:                             ;   in Loop: Header=BB364_934 Depth=1
	s_or_b32 exec_lo, exec_lo, s18
	s_delay_alu instid0(VALU_DEP_1) | instskip(NEXT) | instid1(VALU_DEP_2)
	v_dual_lshlrev_b32 v8, 16, v22 :: v_dual_lshlrev_b32 v9, 20, v32
	v_lshl_add_u32 v7, v7, 23, 0x3c000000
	s_delay_alu instid0(VALU_DEP_2) | instskip(NEXT) | instid1(VALU_DEP_1)
	v_and_b32_e32 v8, 0x80000000, v8
	v_or3_b32 v7, v9, v8, v7
.LBB364_1640:                           ;   in Loop: Header=BB364_934 Depth=1
	s_or_b32 exec_lo, exec_lo, s17
.LBB364_1641:                           ;   in Loop: Header=BB364_934 Depth=1
	s_delay_alu instid0(SALU_CYCLE_1)
	s_or_b32 exec_lo, exec_lo, s16
.LBB364_1642:                           ;   in Loop: Header=BB364_934 Depth=1
	s_delay_alu instid0(SALU_CYCLE_1) | instskip(SKIP_3) | instid1(VALU_DEP_2)
	s_or_b32 exec_lo, exec_lo, s15
	v_dual_lshrrev_b32 v30, 16, v19 :: v_dual_mov_b32 v8, 0
	v_mov_b32_e32 v9, 0
	s_mov_b32 s15, exec_lo
	v_and_b32_e32 v22, 0xff, v30
	s_delay_alu instid0(VALU_DEP_1)
	v_cmpx_ne_u16_e32 0, v22
	s_cbranch_execz .LBB364_1650
; %bb.1643:                             ;   in Loop: Header=BB364_934 Depth=1
	v_bfrev_b32_e32 v9, 1
	s_mov_b32 s16, exec_lo
	v_cmpx_ne_u16_e32 0x80, v22
	s_cbranch_execz .LBB364_1649
; %bb.1644:                             ;   in Loop: Header=BB364_934 Depth=1
	v_bfe_u32 v31, v19, 16, 7
	v_mov_b32_e32 v9, 0x7f800001
	s_mov_b32 s17, exec_lo
	s_delay_alu instid0(VALU_DEP_2)
	v_cmpx_ne_u32_e32 0x7f, v31
	s_cbranch_execz .LBB364_1648
; %bb.1645:                             ;   in Loop: Header=BB364_934 Depth=1
	v_dual_lshrrev_b32 v9, 3, v31 :: v_dual_bitop2_b32 v22, 7, v30 bitop3:0x40
	s_mov_b32 s18, exec_lo
	v_cmpx_gt_u32_e32 8, v31
; %bb.1646:                             ;   in Loop: Header=BB364_934 Depth=1
	s_delay_alu instid0(VALU_DEP_2) | instskip(NEXT) | instid1(VALU_DEP_1)
	v_clz_i32_u32_e32 v9, v22
	v_min_u32_e32 v9, 32, v9
	s_delay_alu instid0(VALU_DEP_1) | instskip(NEXT) | instid1(VALU_DEP_1)
	v_subrev_nc_u32_e32 v31, 28, v9
	v_lshlrev_b64_e32 v[32:33], v31, v[22:23]
	s_delay_alu instid0(VALU_DEP_1)
	v_dual_sub_nc_u32 v9, 29, v9 :: v_dual_bitop2_b32 v22, 7, v32 bitop3:0x40
; %bb.1647:                             ;   in Loop: Header=BB364_934 Depth=1
	s_or_b32 exec_lo, exec_lo, s18
	v_lshlrev_b32_e32 v30, 24, v30
	s_delay_alu instid0(VALU_DEP_2) | instskip(NEXT) | instid1(VALU_DEP_3)
	v_lshlrev_b32_e32 v22, 20, v22
	v_lshl_add_u32 v9, v9, 23, 0x3c000000
	s_delay_alu instid0(VALU_DEP_3) | instskip(NEXT) | instid1(VALU_DEP_1)
	v_and_b32_e32 v30, 0x80000000, v30
	v_or3_b32 v9, v22, v30, v9
.LBB364_1648:                           ;   in Loop: Header=BB364_934 Depth=1
	s_or_b32 exec_lo, exec_lo, s17
.LBB364_1649:                           ;   in Loop: Header=BB364_934 Depth=1
	s_delay_alu instid0(SALU_CYCLE_1)
	s_or_b32 exec_lo, exec_lo, s16
.LBB364_1650:                           ;   in Loop: Header=BB364_934 Depth=1
	s_delay_alu instid0(SALU_CYCLE_1) | instskip(NEXT) | instid1(SALU_CYCLE_1)
	s_or_b32 exec_lo, exec_lo, s15
	s_mov_b32 s15, exec_lo
	v_cmpx_lt_u64_e64 s[2:3], v[18:19]
	s_cbranch_execz .LBB364_1658
; %bb.1651:                             ;   in Loop: Header=BB364_934 Depth=1
	v_lshrrev_b32_e32 v18, 24, v19
	v_bfrev_b32_e32 v8, 1
	s_mov_b32 s16, exec_lo
	s_delay_alu instid0(VALU_DEP_2)
	v_cmpx_ne_u32_e32 0x80, v18
	s_cbranch_execz .LBB364_1657
; %bb.1652:                             ;   in Loop: Header=BB364_934 Depth=1
	v_bfe_u32 v19, v19, 24, 7
	v_mov_b32_e32 v8, 0x7f800001
	s_mov_b32 s17, exec_lo
	s_delay_alu instid0(VALU_DEP_2)
	v_cmpx_ne_u32_e32 0x7f, v19
	s_cbranch_execz .LBB364_1656
; %bb.1653:                             ;   in Loop: Header=BB364_934 Depth=1
	v_dual_lshrrev_b32 v8, 3, v19 :: v_dual_bitop2_b32 v22, 7, v18 bitop3:0x40
	s_mov_b32 s18, exec_lo
	v_cmpx_gt_u32_e32 8, v19
; %bb.1654:                             ;   in Loop: Header=BB364_934 Depth=1
	s_delay_alu instid0(VALU_DEP_2) | instskip(NEXT) | instid1(VALU_DEP_1)
	v_clz_i32_u32_e32 v8, v22
	v_min_u32_e32 v8, 32, v8
	s_delay_alu instid0(VALU_DEP_1) | instskip(NEXT) | instid1(VALU_DEP_1)
	v_subrev_nc_u32_e32 v19, 28, v8
	v_lshlrev_b64_e32 v[30:31], v19, v[22:23]
	s_delay_alu instid0(VALU_DEP_1)
	v_dual_sub_nc_u32 v8, 29, v8 :: v_dual_bitop2_b32 v22, 7, v30 bitop3:0x40
; %bb.1655:                             ;   in Loop: Header=BB364_934 Depth=1
	s_or_b32 exec_lo, exec_lo, s18
	v_lshlrev_b32_e32 v18, 24, v18
	s_delay_alu instid0(VALU_DEP_2) | instskip(NEXT) | instid1(VALU_DEP_3)
	v_lshlrev_b32_e32 v19, 20, v22
	v_lshl_add_u32 v8, v8, 23, 0x3c000000
	s_delay_alu instid0(VALU_DEP_3) | instskip(NEXT) | instid1(VALU_DEP_1)
	v_and_b32_e32 v18, 0x80000000, v18
	v_or3_b32 v8, v19, v18, v8
.LBB364_1656:                           ;   in Loop: Header=BB364_934 Depth=1
	s_or_b32 exec_lo, exec_lo, s17
.LBB364_1657:                           ;   in Loop: Header=BB364_934 Depth=1
	s_delay_alu instid0(SALU_CYCLE_1)
	s_or_b32 exec_lo, exec_lo, s16
.LBB364_1658:                           ;   in Loop: Header=BB364_934 Depth=1
	s_delay_alu instid0(SALU_CYCLE_1)
	s_or_b32 exec_lo, exec_lo, s15
	v_fma_mixlo_bf16 v30, v37, v7, 0
	v_fma_mixlo_bf16 v31, v37, v6, 0
	;; [unrolled: 1-line block ×8, first 2 shown]
	s_and_saveexec_b32 s15, vcc_lo
	s_cbranch_execz .LBB364_1660
; %bb.1659:                             ;   in Loop: Header=BB364_934 Depth=1
	v_cmp_lt_i32_e64 s0, v83, v106
	s_delay_alu instid0(VALU_DEP_1) | instskip(SKIP_1) | instid1(VALU_DEP_1)
	v_cndmask_b32_e64 v52, 0, v52, s0
	v_cmp_lt_i32_e64 s0, v87, v106
	v_cndmask_b32_e64 v51, 0, v51, s0
	v_cmp_lt_i32_e64 s0, v86, v106
	s_delay_alu instid0(VALU_DEP_1) | instskip(SKIP_1) | instid1(VALU_DEP_1)
	v_cndmask_b32_e64 v50, 0, v50, s0
	v_cmp_lt_i32_e64 s0, v85, v106
	v_cndmask_b32_e64 v49, 0, v49, s0
	;; [unrolled: 5-line block ×4, first 2 shown]
.LBB364_1660:                           ;   in Loop: Header=BB364_934 Depth=1
	s_or_b32 exec_lo, exec_lo, s15
	flat_load_b64 v[18:19], v[0:1] offset:2816
	v_dual_mov_b32 v3, 0 :: v_dual_mov_b32 v2, 0
	s_mov_b32 s15, exec_lo
	s_wait_loadcnt_dscnt 0x0
	v_and_b32_e32 v4, 0xff, v18
	s_wait_xcnt 0x0
	s_delay_alu instid0(VALU_DEP_1)
	v_cmpx_ne_u16_e32 0, v4
	s_cbranch_execz .LBB364_1668
; %bb.1661:                             ;   in Loop: Header=BB364_934 Depth=1
	v_bfrev_b32_e32 v2, 1
	s_mov_b32 s16, exec_lo
	v_cmpx_ne_u16_e32 0x80, v4
	s_cbranch_execz .LBB364_1667
; %bb.1662:                             ;   in Loop: Header=BB364_934 Depth=1
	v_and_b32_e32 v4, 0x7f, v18
	v_mov_b32_e32 v2, 0x7f800001
	s_mov_b32 s17, exec_lo
	s_delay_alu instid0(VALU_DEP_2)
	v_cmpx_ne_u32_e32 0x7f, v4
	s_cbranch_execz .LBB364_1666
; %bb.1663:                             ;   in Loop: Header=BB364_934 Depth=1
	v_mov_b64_e32 v[32:33], v[18:19]
	v_lshrrev_b32_e32 v2, 3, v4
	s_mov_b32 s18, exec_lo
	v_cmpx_gt_u32_e32 8, v4
; %bb.1664:                             ;   in Loop: Header=BB364_934 Depth=1
	v_and_b32_e32 v2, 7, v18
	s_delay_alu instid0(VALU_DEP_1) | instskip(NEXT) | instid1(VALU_DEP_1)
	v_clz_i32_u32_e32 v2, v2
	v_min_u32_e32 v2, 32, v2
	s_delay_alu instid0(VALU_DEP_1) | instskip(SKIP_1) | instid1(VALU_DEP_2)
	v_subrev_nc_u32_e32 v4, 28, v2
	v_sub_nc_u32_e32 v2, 29, v2
	v_lshlrev_b64_e32 v[32:33], v4, v[18:19]
; %bb.1665:                             ;   in Loop: Header=BB364_934 Depth=1
	s_or_b32 exec_lo, exec_lo, s18
	s_delay_alu instid0(VALU_DEP_1) | instskip(NEXT) | instid1(VALU_DEP_3)
	v_dual_lshlrev_b32 v4, 20, v32 :: v_dual_lshlrev_b32 v5, 24, v18
	v_lshl_add_u32 v2, v2, 23, 0x3c000000
	s_delay_alu instid0(VALU_DEP_2) | instskip(NEXT) | instid1(VALU_DEP_3)
	v_and_b32_e32 v4, 0x700000, v4
	v_and_b32_e32 v5, 0x80000000, v5
	s_delay_alu instid0(VALU_DEP_1)
	v_or3_b32 v2, v4, v5, v2
.LBB364_1666:                           ;   in Loop: Header=BB364_934 Depth=1
	s_or_b32 exec_lo, exec_lo, s17
.LBB364_1667:                           ;   in Loop: Header=BB364_934 Depth=1
	s_delay_alu instid0(SALU_CYCLE_1)
	s_or_b32 exec_lo, exec_lo, s16
.LBB364_1668:                           ;   in Loop: Header=BB364_934 Depth=1
	s_delay_alu instid0(SALU_CYCLE_1) | instskip(SKIP_2) | instid1(VALU_DEP_1)
	s_or_b32 exec_lo, exec_lo, s15
	v_lshrrev_b16 v4, 8, v18
	s_mov_b32 s15, exec_lo
	v_cmpx_ne_u16_e32 0, v4
	s_cbranch_execz .LBB364_1676
; %bb.1669:                             ;   in Loop: Header=BB364_934 Depth=1
	v_bfrev_b32_e32 v3, 1
	s_mov_b32 s16, exec_lo
	v_cmpx_ne_u16_e32 0x80, v4
	s_cbranch_execz .LBB364_1675
; %bb.1670:                             ;   in Loop: Header=BB364_934 Depth=1
	v_and_b32_e32 v5, 0xffff, v4
	v_mov_b32_e32 v3, 0x7f800001
	s_mov_b32 s17, exec_lo
	s_delay_alu instid0(VALU_DEP_2) | instskip(NEXT) | instid1(VALU_DEP_1)
	v_and_b32_e32 v4, 0x7f, v5
	v_cmpx_ne_u32_e32 0x7f, v4
	s_cbranch_execz .LBB364_1674
; %bb.1671:                             ;   in Loop: Header=BB364_934 Depth=1
	v_dual_lshrrev_b32 v3, 3, v4 :: v_dual_bitop2_b32 v22, 7, v5 bitop3:0x40
	s_mov_b32 s18, exec_lo
	v_cmpx_gt_u32_e32 8, v4
; %bb.1672:                             ;   in Loop: Header=BB364_934 Depth=1
	s_delay_alu instid0(VALU_DEP_2) | instskip(NEXT) | instid1(VALU_DEP_1)
	v_clz_i32_u32_e32 v3, v22
	v_min_u32_e32 v3, 32, v3
	s_delay_alu instid0(VALU_DEP_1) | instskip(NEXT) | instid1(VALU_DEP_1)
	v_subrev_nc_u32_e32 v4, 28, v3
	v_lshlrev_b64_e32 v[4:5], v4, v[22:23]
	s_delay_alu instid0(VALU_DEP_1)
	v_dual_sub_nc_u32 v3, 29, v3 :: v_dual_bitop2_b32 v22, 7, v4 bitop3:0x40
; %bb.1673:                             ;   in Loop: Header=BB364_934 Depth=1
	s_or_b32 exec_lo, exec_lo, s18
	v_lshlrev_b32_e32 v4, 16, v18
	s_delay_alu instid0(VALU_DEP_2) | instskip(NEXT) | instid1(VALU_DEP_3)
	v_lshlrev_b32_e32 v5, 20, v22
	v_lshl_add_u32 v3, v3, 23, 0x3c000000
	s_delay_alu instid0(VALU_DEP_3) | instskip(NEXT) | instid1(VALU_DEP_1)
	v_and_b32_e32 v4, 0x80000000, v4
	v_or3_b32 v3, v5, v4, v3
.LBB364_1674:                           ;   in Loop: Header=BB364_934 Depth=1
	s_or_b32 exec_lo, exec_lo, s17
.LBB364_1675:                           ;   in Loop: Header=BB364_934 Depth=1
	s_delay_alu instid0(SALU_CYCLE_1)
	s_or_b32 exec_lo, exec_lo, s16
.LBB364_1676:                           ;   in Loop: Header=BB364_934 Depth=1
	s_delay_alu instid0(SALU_CYCLE_1) | instskip(SKIP_3) | instid1(VALU_DEP_2)
	s_or_b32 exec_lo, exec_lo, s15
	v_dual_mov_b32 v5, 0 :: v_dual_lshrrev_b32 v6, 16, v18
	v_mov_b32_e32 v4, 0
	s_mov_b32 s15, exec_lo
	v_and_b32_e32 v7, 0xff, v6
	s_delay_alu instid0(VALU_DEP_1)
	v_cmpx_ne_u16_e32 0, v7
	s_cbranch_execz .LBB364_1684
; %bb.1677:                             ;   in Loop: Header=BB364_934 Depth=1
	v_bfrev_b32_e32 v4, 1
	s_mov_b32 s16, exec_lo
	v_cmpx_ne_u16_e32 0x80, v7
	s_cbranch_execz .LBB364_1683
; %bb.1678:                             ;   in Loop: Header=BB364_934 Depth=1
	v_bfe_u32 v7, v18, 16, 7
	v_mov_b32_e32 v4, 0x7f800001
	s_mov_b32 s17, exec_lo
	s_delay_alu instid0(VALU_DEP_2)
	v_cmpx_ne_u32_e32 0x7f, v7
	s_cbranch_execz .LBB364_1682
; %bb.1679:                             ;   in Loop: Header=BB364_934 Depth=1
	v_dual_lshrrev_b32 v4, 3, v7 :: v_dual_bitop2_b32 v22, 7, v6 bitop3:0x40
	s_mov_b32 s18, exec_lo
	v_cmpx_gt_u32_e32 8, v7
; %bb.1680:                             ;   in Loop: Header=BB364_934 Depth=1
	s_delay_alu instid0(VALU_DEP_2) | instskip(NEXT) | instid1(VALU_DEP_1)
	v_clz_i32_u32_e32 v4, v22
	v_min_u32_e32 v4, 32, v4
	s_delay_alu instid0(VALU_DEP_1) | instskip(SKIP_1) | instid1(VALU_DEP_2)
	v_subrev_nc_u32_e32 v7, 28, v4
	v_sub_nc_u32_e32 v4, 29, v4
	v_lshlrev_b64_e32 v[8:9], v7, v[22:23]
	s_delay_alu instid0(VALU_DEP_1)
	v_and_b32_e32 v22, 7, v8
; %bb.1681:                             ;   in Loop: Header=BB364_934 Depth=1
	s_or_b32 exec_lo, exec_lo, s18
	v_lshlrev_b32_e32 v6, 24, v6
	s_delay_alu instid0(VALU_DEP_2) | instskip(SKIP_1) | instid1(VALU_DEP_3)
	v_lshlrev_b32_e32 v7, 20, v22
	v_lshl_add_u32 v4, v4, 23, 0x3c000000
	v_and_b32_e32 v6, 0x80000000, v6
	s_delay_alu instid0(VALU_DEP_1)
	v_or3_b32 v4, v7, v6, v4
.LBB364_1682:                           ;   in Loop: Header=BB364_934 Depth=1
	s_or_b32 exec_lo, exec_lo, s17
.LBB364_1683:                           ;   in Loop: Header=BB364_934 Depth=1
	s_delay_alu instid0(SALU_CYCLE_1)
	s_or_b32 exec_lo, exec_lo, s16
.LBB364_1684:                           ;   in Loop: Header=BB364_934 Depth=1
	s_delay_alu instid0(SALU_CYCLE_1) | instskip(NEXT) | instid1(SALU_CYCLE_1)
	s_or_b32 exec_lo, exec_lo, s15
	s_mov_b32 s15, exec_lo
	v_cmpx_lt_u32_e32 0xffffff, v18
	s_cbranch_execz .LBB364_1692
; %bb.1685:                             ;   in Loop: Header=BB364_934 Depth=1
	v_lshrrev_b32_e32 v6, 24, v18
	v_bfrev_b32_e32 v5, 1
	s_mov_b32 s16, exec_lo
	s_delay_alu instid0(VALU_DEP_2)
	v_cmpx_ne_u32_e32 0x80, v6
	s_cbranch_execz .LBB364_1691
; %bb.1686:                             ;   in Loop: Header=BB364_934 Depth=1
	v_bfe_u32 v7, v18, 24, 7
	v_mov_b32_e32 v5, 0x7f800001
	s_mov_b32 s17, exec_lo
	s_delay_alu instid0(VALU_DEP_2)
	v_cmpx_ne_u32_e32 0x7f, v7
	s_cbranch_execz .LBB364_1690
; %bb.1687:                             ;   in Loop: Header=BB364_934 Depth=1
	v_dual_lshrrev_b32 v5, 3, v7 :: v_dual_bitop2_b32 v22, 7, v6 bitop3:0x40
	s_mov_b32 s18, exec_lo
	v_cmpx_gt_u32_e32 8, v7
; %bb.1688:                             ;   in Loop: Header=BB364_934 Depth=1
	s_delay_alu instid0(VALU_DEP_2) | instskip(NEXT) | instid1(VALU_DEP_1)
	v_clz_i32_u32_e32 v5, v22
	v_min_u32_e32 v5, 32, v5
	s_delay_alu instid0(VALU_DEP_1) | instskip(NEXT) | instid1(VALU_DEP_1)
	v_subrev_nc_u32_e32 v7, 28, v5
	v_lshlrev_b64_e32 v[8:9], v7, v[22:23]
	s_delay_alu instid0(VALU_DEP_1)
	v_dual_sub_nc_u32 v5, 29, v5 :: v_dual_bitop2_b32 v22, 7, v8 bitop3:0x40
; %bb.1689:                             ;   in Loop: Header=BB364_934 Depth=1
	s_or_b32 exec_lo, exec_lo, s18
	v_lshlrev_b32_e32 v6, 24, v6
	s_delay_alu instid0(VALU_DEP_2) | instskip(NEXT) | instid1(VALU_DEP_3)
	v_lshlrev_b32_e32 v7, 20, v22
	v_lshl_add_u32 v5, v5, 23, 0x3c000000
	s_delay_alu instid0(VALU_DEP_3) | instskip(NEXT) | instid1(VALU_DEP_1)
	v_and_b32_e32 v6, 0x80000000, v6
	v_or3_b32 v5, v7, v6, v5
.LBB364_1690:                           ;   in Loop: Header=BB364_934 Depth=1
	s_or_b32 exec_lo, exec_lo, s17
.LBB364_1691:                           ;   in Loop: Header=BB364_934 Depth=1
	s_delay_alu instid0(SALU_CYCLE_1)
	s_or_b32 exec_lo, exec_lo, s16
.LBB364_1692:                           ;   in Loop: Header=BB364_934 Depth=1
	s_delay_alu instid0(SALU_CYCLE_1) | instskip(SKIP_4) | instid1(VALU_DEP_3)
	s_or_b32 exec_lo, exec_lo, s15
	v_and_b32_e32 v8, 0xff, v19
	v_dual_mov_b32 v22, v19 :: v_dual_mov_b32 v7, 0
	v_mov_b32_e32 v6, 0
	s_mov_b32 s15, exec_lo
	v_cmpx_ne_u16_e32 0, v8
	s_cbranch_execz .LBB364_1700
; %bb.1693:                             ;   in Loop: Header=BB364_934 Depth=1
	v_bfrev_b32_e32 v6, 1
	s_mov_b32 s16, exec_lo
	v_cmpx_ne_u16_e32 0x80, v8
	s_cbranch_execz .LBB364_1699
; %bb.1694:                             ;   in Loop: Header=BB364_934 Depth=1
	v_and_b32_e32 v8, 0x7f, v19
	v_mov_b32_e32 v6, 0x7f800001
	s_mov_b32 s17, exec_lo
	s_delay_alu instid0(VALU_DEP_2)
	v_cmpx_ne_u32_e32 0x7f, v8
	s_cbranch_execz .LBB364_1698
; %bb.1695:                             ;   in Loop: Header=BB364_934 Depth=1
	v_mov_b64_e32 v[32:33], v[22:23]
	v_lshrrev_b32_e32 v6, 3, v8
	s_mov_b32 s18, exec_lo
	v_cmpx_gt_u32_e32 8, v8
; %bb.1696:                             ;   in Loop: Header=BB364_934 Depth=1
	v_and_b32_e32 v6, 7, v19
	s_delay_alu instid0(VALU_DEP_1) | instskip(NEXT) | instid1(VALU_DEP_1)
	v_clz_i32_u32_e32 v6, v6
	v_min_u32_e32 v6, 32, v6
	s_delay_alu instid0(VALU_DEP_1) | instskip(SKIP_1) | instid1(VALU_DEP_2)
	v_subrev_nc_u32_e32 v8, 28, v6
	v_sub_nc_u32_e32 v6, 29, v6
	v_lshlrev_b64_e32 v[32:33], v8, v[22:23]
; %bb.1697:                             ;   in Loop: Header=BB364_934 Depth=1
	s_or_b32 exec_lo, exec_lo, s18
	s_delay_alu instid0(VALU_DEP_1) | instskip(NEXT) | instid1(VALU_DEP_3)
	v_dual_lshlrev_b32 v8, 20, v32 :: v_dual_lshlrev_b32 v9, 24, v22
	v_lshl_add_u32 v6, v6, 23, 0x3c000000
	s_delay_alu instid0(VALU_DEP_2) | instskip(NEXT) | instid1(VALU_DEP_3)
	v_and_b32_e32 v8, 0x700000, v8
	v_and_b32_e32 v9, 0x80000000, v9
	s_delay_alu instid0(VALU_DEP_1)
	v_or3_b32 v6, v8, v9, v6
.LBB364_1698:                           ;   in Loop: Header=BB364_934 Depth=1
	s_or_b32 exec_lo, exec_lo, s17
.LBB364_1699:                           ;   in Loop: Header=BB364_934 Depth=1
	s_delay_alu instid0(SALU_CYCLE_1)
	s_or_b32 exec_lo, exec_lo, s16
.LBB364_1700:                           ;   in Loop: Header=BB364_934 Depth=1
	s_delay_alu instid0(SALU_CYCLE_1) | instskip(SKIP_2) | instid1(VALU_DEP_1)
	s_or_b32 exec_lo, exec_lo, s15
	v_lshrrev_b16 v8, 8, v22
	s_mov_b32 s15, exec_lo
	v_cmpx_ne_u16_e32 0, v8
	s_cbranch_execz .LBB364_1708
; %bb.1701:                             ;   in Loop: Header=BB364_934 Depth=1
	v_bfrev_b32_e32 v7, 1
	s_mov_b32 s16, exec_lo
	v_cmpx_ne_u16_e32 0x80, v8
	s_cbranch_execz .LBB364_1707
; %bb.1702:                             ;   in Loop: Header=BB364_934 Depth=1
	v_and_b32_e32 v9, 0xffff, v8
	v_mov_b32_e32 v7, 0x7f800001
	s_mov_b32 s17, exec_lo
	s_delay_alu instid0(VALU_DEP_2) | instskip(NEXT) | instid1(VALU_DEP_1)
	v_and_b32_e32 v8, 0x7f, v9
	v_cmpx_ne_u32_e32 0x7f, v8
	s_cbranch_execz .LBB364_1706
; %bb.1703:                             ;   in Loop: Header=BB364_934 Depth=1
	v_dual_mov_b32 v33, v23 :: v_dual_bitop2_b32 v32, 7, v9 bitop3:0x40
	v_lshrrev_b32_e32 v7, 3, v8
	s_mov_b32 s18, exec_lo
	v_cmpx_gt_u32_e32 8, v8
; %bb.1704:                             ;   in Loop: Header=BB364_934 Depth=1
	s_delay_alu instid0(VALU_DEP_3) | instskip(NEXT) | instid1(VALU_DEP_1)
	v_clz_i32_u32_e32 v7, v32
	v_min_u32_e32 v7, 32, v7
	s_delay_alu instid0(VALU_DEP_1) | instskip(NEXT) | instid1(VALU_DEP_1)
	v_subrev_nc_u32_e32 v8, 28, v7
	v_lshlrev_b64_e32 v[8:9], v8, v[32:33]
	s_delay_alu instid0(VALU_DEP_1)
	v_dual_sub_nc_u32 v7, 29, v7 :: v_dual_bitop2_b32 v32, 7, v8 bitop3:0x40
; %bb.1705:                             ;   in Loop: Header=BB364_934 Depth=1
	s_or_b32 exec_lo, exec_lo, s18
	s_delay_alu instid0(VALU_DEP_1) | instskip(NEXT) | instid1(VALU_DEP_2)
	v_dual_lshlrev_b32 v8, 16, v22 :: v_dual_lshlrev_b32 v9, 20, v32
	v_lshl_add_u32 v7, v7, 23, 0x3c000000
	s_delay_alu instid0(VALU_DEP_2) | instskip(NEXT) | instid1(VALU_DEP_1)
	v_and_b32_e32 v8, 0x80000000, v8
	v_or3_b32 v7, v9, v8, v7
.LBB364_1706:                           ;   in Loop: Header=BB364_934 Depth=1
	s_or_b32 exec_lo, exec_lo, s17
.LBB364_1707:                           ;   in Loop: Header=BB364_934 Depth=1
	s_delay_alu instid0(SALU_CYCLE_1)
	s_or_b32 exec_lo, exec_lo, s16
.LBB364_1708:                           ;   in Loop: Header=BB364_934 Depth=1
	s_delay_alu instid0(SALU_CYCLE_1) | instskip(SKIP_3) | instid1(VALU_DEP_2)
	s_or_b32 exec_lo, exec_lo, s15
	v_dual_lshrrev_b32 v32, 16, v19 :: v_dual_mov_b32 v8, 0
	v_mov_b32_e32 v9, 0
	s_mov_b32 s15, exec_lo
	v_and_b32_e32 v22, 0xff, v32
	s_delay_alu instid0(VALU_DEP_1)
	v_cmpx_ne_u16_e32 0, v22
	s_cbranch_execz .LBB364_1716
; %bb.1709:                             ;   in Loop: Header=BB364_934 Depth=1
	v_bfrev_b32_e32 v9, 1
	s_mov_b32 s16, exec_lo
	v_cmpx_ne_u16_e32 0x80, v22
	s_cbranch_execz .LBB364_1715
; %bb.1710:                             ;   in Loop: Header=BB364_934 Depth=1
	v_bfe_u32 v33, v19, 16, 7
	v_mov_b32_e32 v9, 0x7f800001
	s_mov_b32 s17, exec_lo
	s_delay_alu instid0(VALU_DEP_2)
	v_cmpx_ne_u32_e32 0x7f, v33
	s_cbranch_execz .LBB364_1714
; %bb.1711:                             ;   in Loop: Header=BB364_934 Depth=1
	v_dual_lshrrev_b32 v9, 3, v33 :: v_dual_bitop2_b32 v22, 7, v32 bitop3:0x40
	s_mov_b32 s18, exec_lo
	v_cmpx_gt_u32_e32 8, v33
; %bb.1712:                             ;   in Loop: Header=BB364_934 Depth=1
	s_delay_alu instid0(VALU_DEP_2) | instskip(NEXT) | instid1(VALU_DEP_1)
	v_clz_i32_u32_e32 v9, v22
	v_min_u32_e32 v9, 32, v9
	s_delay_alu instid0(VALU_DEP_1) | instskip(NEXT) | instid1(VALU_DEP_1)
	v_subrev_nc_u32_e32 v33, 28, v9
	v_lshlrev_b64_e32 v[54:55], v33, v[22:23]
	s_delay_alu instid0(VALU_DEP_1)
	v_dual_sub_nc_u32 v9, 29, v9 :: v_dual_bitop2_b32 v22, 7, v54 bitop3:0x40
; %bb.1713:                             ;   in Loop: Header=BB364_934 Depth=1
	s_or_b32 exec_lo, exec_lo, s18
	s_delay_alu instid0(VALU_DEP_1) | instskip(NEXT) | instid1(VALU_DEP_2)
	v_dual_lshlrev_b32 v32, 24, v32 :: v_dual_lshlrev_b32 v22, 20, v22
	v_lshl_add_u32 v9, v9, 23, 0x3c000000
	s_delay_alu instid0(VALU_DEP_2) | instskip(NEXT) | instid1(VALU_DEP_1)
	v_and_b32_e32 v32, 0x80000000, v32
	v_or3_b32 v9, v22, v32, v9
.LBB364_1714:                           ;   in Loop: Header=BB364_934 Depth=1
	s_or_b32 exec_lo, exec_lo, s17
.LBB364_1715:                           ;   in Loop: Header=BB364_934 Depth=1
	s_delay_alu instid0(SALU_CYCLE_1)
	s_or_b32 exec_lo, exec_lo, s16
.LBB364_1716:                           ;   in Loop: Header=BB364_934 Depth=1
	s_delay_alu instid0(SALU_CYCLE_1) | instskip(NEXT) | instid1(SALU_CYCLE_1)
	s_or_b32 exec_lo, exec_lo, s15
	s_mov_b32 s15, exec_lo
	v_cmpx_lt_u64_e64 s[2:3], v[18:19]
	s_cbranch_execz .LBB364_1724
; %bb.1717:                             ;   in Loop: Header=BB364_934 Depth=1
	v_lshrrev_b32_e32 v18, 24, v19
	v_bfrev_b32_e32 v8, 1
	s_mov_b32 s16, exec_lo
	s_delay_alu instid0(VALU_DEP_2)
	v_cmpx_ne_u32_e32 0x80, v18
	s_cbranch_execz .LBB364_1723
; %bb.1718:                             ;   in Loop: Header=BB364_934 Depth=1
	v_bfe_u32 v19, v19, 24, 7
	v_mov_b32_e32 v8, 0x7f800001
	s_mov_b32 s17, exec_lo
	s_delay_alu instid0(VALU_DEP_2)
	v_cmpx_ne_u32_e32 0x7f, v19
	s_cbranch_execz .LBB364_1722
; %bb.1719:                             ;   in Loop: Header=BB364_934 Depth=1
	v_dual_lshrrev_b32 v8, 3, v19 :: v_dual_bitop2_b32 v22, 7, v18 bitop3:0x40
	s_mov_b32 s18, exec_lo
	v_cmpx_gt_u32_e32 8, v19
; %bb.1720:                             ;   in Loop: Header=BB364_934 Depth=1
	s_delay_alu instid0(VALU_DEP_2) | instskip(NEXT) | instid1(VALU_DEP_1)
	v_clz_i32_u32_e32 v8, v22
	v_min_u32_e32 v8, 32, v8
	s_delay_alu instid0(VALU_DEP_1) | instskip(SKIP_1) | instid1(VALU_DEP_2)
	v_subrev_nc_u32_e32 v19, 28, v8
	v_sub_nc_u32_e32 v8, 29, v8
	v_lshlrev_b64_e32 v[32:33], v19, v[22:23]
	s_delay_alu instid0(VALU_DEP_1)
	v_and_b32_e32 v22, 7, v32
; %bb.1721:                             ;   in Loop: Header=BB364_934 Depth=1
	s_or_b32 exec_lo, exec_lo, s18
	v_lshlrev_b32_e32 v18, 24, v18
	s_delay_alu instid0(VALU_DEP_2) | instskip(SKIP_1) | instid1(VALU_DEP_3)
	v_lshlrev_b32_e32 v19, 20, v22
	v_lshl_add_u32 v8, v8, 23, 0x3c000000
	v_and_b32_e32 v18, 0x80000000, v18
	s_delay_alu instid0(VALU_DEP_1)
	v_or3_b32 v8, v19, v18, v8
.LBB364_1722:                           ;   in Loop: Header=BB364_934 Depth=1
	s_or_b32 exec_lo, exec_lo, s17
.LBB364_1723:                           ;   in Loop: Header=BB364_934 Depth=1
	s_delay_alu instid0(SALU_CYCLE_1)
	s_or_b32 exec_lo, exec_lo, s16
.LBB364_1724:                           ;   in Loop: Header=BB364_934 Depth=1
	s_delay_alu instid0(SALU_CYCLE_1)
	s_or_b32 exec_lo, exec_lo, s15
	v_fma_mixlo_bf16 v54, v37, v7, 0
	v_fma_mixlo_bf16 v55, v37, v6, 0
	;; [unrolled: 1-line block ×8, first 2 shown]
	s_and_saveexec_b32 s15, vcc_lo
	s_cbranch_execz .LBB364_1726
; %bb.1725:                             ;   in Loop: Header=BB364_934 Depth=1
	v_cmp_lt_i32_e64 s0, v83, v106
	s_delay_alu instid0(VALU_DEP_1) | instskip(SKIP_1) | instid1(VALU_DEP_1)
	v_cndmask_b32_e64 v69, 0, v69, s0
	v_cmp_lt_i32_e64 s0, v87, v106
	v_cndmask_b32_e64 v68, 0, v68, s0
	v_cmp_lt_i32_e64 s0, v86, v106
	s_delay_alu instid0(VALU_DEP_1) | instskip(SKIP_1) | instid1(VALU_DEP_1)
	v_cndmask_b32_e64 v67, 0, v67, s0
	v_cmp_lt_i32_e64 s0, v85, v106
	v_cndmask_b32_e64 v66, 0, v66, s0
	;; [unrolled: 5-line block ×4, first 2 shown]
.LBB364_1726:                           ;   in Loop: Header=BB364_934 Depth=1
	s_or_b32 exec_lo, exec_lo, s15
	flat_load_b64 v[18:19], v[0:1] offset:3072
	v_dual_mov_b32 v3, 0 :: v_dual_mov_b32 v2, 0
	s_mov_b32 s15, exec_lo
	s_wait_loadcnt_dscnt 0x0
	v_and_b32_e32 v4, 0xff, v18
	s_wait_xcnt 0x0
	s_delay_alu instid0(VALU_DEP_1)
	v_cmpx_ne_u16_e32 0, v4
	s_cbranch_execz .LBB364_1734
; %bb.1727:                             ;   in Loop: Header=BB364_934 Depth=1
	v_bfrev_b32_e32 v2, 1
	s_mov_b32 s16, exec_lo
	v_cmpx_ne_u16_e32 0x80, v4
	s_cbranch_execz .LBB364_1733
; %bb.1728:                             ;   in Loop: Header=BB364_934 Depth=1
	v_and_b32_e32 v4, 0x7f, v18
	v_mov_b32_e32 v2, 0x7f800001
	s_mov_b32 s17, exec_lo
	s_delay_alu instid0(VALU_DEP_2)
	v_cmpx_ne_u32_e32 0x7f, v4
	s_cbranch_execz .LBB364_1732
; %bb.1729:                             ;   in Loop: Header=BB364_934 Depth=1
	v_mov_b64_e32 v[32:33], v[18:19]
	v_lshrrev_b32_e32 v2, 3, v4
	s_mov_b32 s18, exec_lo
	v_cmpx_gt_u32_e32 8, v4
; %bb.1730:                             ;   in Loop: Header=BB364_934 Depth=1
	v_and_b32_e32 v2, 7, v18
	s_delay_alu instid0(VALU_DEP_1) | instskip(NEXT) | instid1(VALU_DEP_1)
	v_clz_i32_u32_e32 v2, v2
	v_min_u32_e32 v2, 32, v2
	s_delay_alu instid0(VALU_DEP_1) | instskip(SKIP_1) | instid1(VALU_DEP_2)
	v_subrev_nc_u32_e32 v4, 28, v2
	v_sub_nc_u32_e32 v2, 29, v2
	v_lshlrev_b64_e32 v[32:33], v4, v[18:19]
; %bb.1731:                             ;   in Loop: Header=BB364_934 Depth=1
	s_or_b32 exec_lo, exec_lo, s18
	s_delay_alu instid0(VALU_DEP_1) | instskip(NEXT) | instid1(VALU_DEP_3)
	v_dual_lshlrev_b32 v4, 20, v32 :: v_dual_lshlrev_b32 v5, 24, v18
	v_lshl_add_u32 v2, v2, 23, 0x3c000000
	s_delay_alu instid0(VALU_DEP_2) | instskip(NEXT) | instid1(VALU_DEP_3)
	v_and_b32_e32 v4, 0x700000, v4
	v_and_b32_e32 v5, 0x80000000, v5
	s_delay_alu instid0(VALU_DEP_1)
	v_or3_b32 v2, v4, v5, v2
.LBB364_1732:                           ;   in Loop: Header=BB364_934 Depth=1
	s_or_b32 exec_lo, exec_lo, s17
.LBB364_1733:                           ;   in Loop: Header=BB364_934 Depth=1
	s_delay_alu instid0(SALU_CYCLE_1)
	s_or_b32 exec_lo, exec_lo, s16
.LBB364_1734:                           ;   in Loop: Header=BB364_934 Depth=1
	s_delay_alu instid0(SALU_CYCLE_1) | instskip(SKIP_2) | instid1(VALU_DEP_1)
	s_or_b32 exec_lo, exec_lo, s15
	v_lshrrev_b16 v4, 8, v18
	s_mov_b32 s15, exec_lo
	v_cmpx_ne_u16_e32 0, v4
	s_cbranch_execz .LBB364_1742
; %bb.1735:                             ;   in Loop: Header=BB364_934 Depth=1
	v_bfrev_b32_e32 v3, 1
	s_mov_b32 s16, exec_lo
	v_cmpx_ne_u16_e32 0x80, v4
	s_cbranch_execz .LBB364_1741
; %bb.1736:                             ;   in Loop: Header=BB364_934 Depth=1
	v_and_b32_e32 v5, 0xffff, v4
	v_mov_b32_e32 v3, 0x7f800001
	s_mov_b32 s17, exec_lo
	s_delay_alu instid0(VALU_DEP_2) | instskip(NEXT) | instid1(VALU_DEP_1)
	v_and_b32_e32 v4, 0x7f, v5
	v_cmpx_ne_u32_e32 0x7f, v4
	s_cbranch_execz .LBB364_1740
; %bb.1737:                             ;   in Loop: Header=BB364_934 Depth=1
	v_dual_lshrrev_b32 v3, 3, v4 :: v_dual_bitop2_b32 v22, 7, v5 bitop3:0x40
	s_mov_b32 s18, exec_lo
	v_cmpx_gt_u32_e32 8, v4
; %bb.1738:                             ;   in Loop: Header=BB364_934 Depth=1
	s_delay_alu instid0(VALU_DEP_2) | instskip(NEXT) | instid1(VALU_DEP_1)
	v_clz_i32_u32_e32 v3, v22
	v_min_u32_e32 v3, 32, v3
	s_delay_alu instid0(VALU_DEP_1) | instskip(NEXT) | instid1(VALU_DEP_1)
	v_subrev_nc_u32_e32 v4, 28, v3
	v_lshlrev_b64_e32 v[4:5], v4, v[22:23]
	s_delay_alu instid0(VALU_DEP_1)
	v_dual_sub_nc_u32 v3, 29, v3 :: v_dual_bitop2_b32 v22, 7, v4 bitop3:0x40
; %bb.1739:                             ;   in Loop: Header=BB364_934 Depth=1
	s_or_b32 exec_lo, exec_lo, s18
	v_lshlrev_b32_e32 v4, 16, v18
	s_delay_alu instid0(VALU_DEP_2) | instskip(NEXT) | instid1(VALU_DEP_3)
	v_lshlrev_b32_e32 v5, 20, v22
	v_lshl_add_u32 v3, v3, 23, 0x3c000000
	s_delay_alu instid0(VALU_DEP_3) | instskip(NEXT) | instid1(VALU_DEP_1)
	v_and_b32_e32 v4, 0x80000000, v4
	v_or3_b32 v3, v5, v4, v3
.LBB364_1740:                           ;   in Loop: Header=BB364_934 Depth=1
	s_or_b32 exec_lo, exec_lo, s17
.LBB364_1741:                           ;   in Loop: Header=BB364_934 Depth=1
	s_delay_alu instid0(SALU_CYCLE_1)
	s_or_b32 exec_lo, exec_lo, s16
.LBB364_1742:                           ;   in Loop: Header=BB364_934 Depth=1
	s_delay_alu instid0(SALU_CYCLE_1) | instskip(SKIP_3) | instid1(VALU_DEP_2)
	s_or_b32 exec_lo, exec_lo, s15
	v_dual_mov_b32 v5, 0 :: v_dual_lshrrev_b32 v6, 16, v18
	v_mov_b32_e32 v4, 0
	s_mov_b32 s15, exec_lo
	v_and_b32_e32 v7, 0xff, v6
	s_delay_alu instid0(VALU_DEP_1)
	v_cmpx_ne_u16_e32 0, v7
	s_cbranch_execz .LBB364_1750
; %bb.1743:                             ;   in Loop: Header=BB364_934 Depth=1
	v_bfrev_b32_e32 v4, 1
	s_mov_b32 s16, exec_lo
	v_cmpx_ne_u16_e32 0x80, v7
	s_cbranch_execz .LBB364_1749
; %bb.1744:                             ;   in Loop: Header=BB364_934 Depth=1
	v_bfe_u32 v7, v18, 16, 7
	v_mov_b32_e32 v4, 0x7f800001
	s_mov_b32 s17, exec_lo
	s_delay_alu instid0(VALU_DEP_2)
	v_cmpx_ne_u32_e32 0x7f, v7
	s_cbranch_execz .LBB364_1748
; %bb.1745:                             ;   in Loop: Header=BB364_934 Depth=1
	v_dual_lshrrev_b32 v4, 3, v7 :: v_dual_bitop2_b32 v22, 7, v6 bitop3:0x40
	s_mov_b32 s18, exec_lo
	v_cmpx_gt_u32_e32 8, v7
; %bb.1746:                             ;   in Loop: Header=BB364_934 Depth=1
	s_delay_alu instid0(VALU_DEP_2) | instskip(NEXT) | instid1(VALU_DEP_1)
	v_clz_i32_u32_e32 v4, v22
	v_min_u32_e32 v4, 32, v4
	s_delay_alu instid0(VALU_DEP_1) | instskip(SKIP_1) | instid1(VALU_DEP_2)
	v_subrev_nc_u32_e32 v7, 28, v4
	v_sub_nc_u32_e32 v4, 29, v4
	v_lshlrev_b64_e32 v[8:9], v7, v[22:23]
	s_delay_alu instid0(VALU_DEP_1)
	v_and_b32_e32 v22, 7, v8
; %bb.1747:                             ;   in Loop: Header=BB364_934 Depth=1
	s_or_b32 exec_lo, exec_lo, s18
	v_lshlrev_b32_e32 v6, 24, v6
	s_delay_alu instid0(VALU_DEP_2) | instskip(SKIP_1) | instid1(VALU_DEP_3)
	v_lshlrev_b32_e32 v7, 20, v22
	v_lshl_add_u32 v4, v4, 23, 0x3c000000
	v_and_b32_e32 v6, 0x80000000, v6
	s_delay_alu instid0(VALU_DEP_1)
	v_or3_b32 v4, v7, v6, v4
.LBB364_1748:                           ;   in Loop: Header=BB364_934 Depth=1
	s_or_b32 exec_lo, exec_lo, s17
.LBB364_1749:                           ;   in Loop: Header=BB364_934 Depth=1
	s_delay_alu instid0(SALU_CYCLE_1)
	s_or_b32 exec_lo, exec_lo, s16
.LBB364_1750:                           ;   in Loop: Header=BB364_934 Depth=1
	s_delay_alu instid0(SALU_CYCLE_1) | instskip(NEXT) | instid1(SALU_CYCLE_1)
	s_or_b32 exec_lo, exec_lo, s15
	s_mov_b32 s15, exec_lo
	v_cmpx_lt_u32_e32 0xffffff, v18
	s_cbranch_execz .LBB364_1758
; %bb.1751:                             ;   in Loop: Header=BB364_934 Depth=1
	v_lshrrev_b32_e32 v6, 24, v18
	v_bfrev_b32_e32 v5, 1
	s_mov_b32 s16, exec_lo
	s_delay_alu instid0(VALU_DEP_2)
	v_cmpx_ne_u32_e32 0x80, v6
	s_cbranch_execz .LBB364_1757
; %bb.1752:                             ;   in Loop: Header=BB364_934 Depth=1
	v_bfe_u32 v7, v18, 24, 7
	v_mov_b32_e32 v5, 0x7f800001
	s_mov_b32 s17, exec_lo
	s_delay_alu instid0(VALU_DEP_2)
	v_cmpx_ne_u32_e32 0x7f, v7
	s_cbranch_execz .LBB364_1756
; %bb.1753:                             ;   in Loop: Header=BB364_934 Depth=1
	v_dual_lshrrev_b32 v5, 3, v7 :: v_dual_bitop2_b32 v22, 7, v6 bitop3:0x40
	s_mov_b32 s18, exec_lo
	v_cmpx_gt_u32_e32 8, v7
; %bb.1754:                             ;   in Loop: Header=BB364_934 Depth=1
	s_delay_alu instid0(VALU_DEP_2) | instskip(NEXT) | instid1(VALU_DEP_1)
	v_clz_i32_u32_e32 v5, v22
	v_min_u32_e32 v5, 32, v5
	s_delay_alu instid0(VALU_DEP_1) | instskip(NEXT) | instid1(VALU_DEP_1)
	v_subrev_nc_u32_e32 v7, 28, v5
	v_lshlrev_b64_e32 v[8:9], v7, v[22:23]
	s_delay_alu instid0(VALU_DEP_1)
	v_dual_sub_nc_u32 v5, 29, v5 :: v_dual_bitop2_b32 v22, 7, v8 bitop3:0x40
; %bb.1755:                             ;   in Loop: Header=BB364_934 Depth=1
	s_or_b32 exec_lo, exec_lo, s18
	v_lshlrev_b32_e32 v6, 24, v6
	s_delay_alu instid0(VALU_DEP_2) | instskip(NEXT) | instid1(VALU_DEP_3)
	v_lshlrev_b32_e32 v7, 20, v22
	v_lshl_add_u32 v5, v5, 23, 0x3c000000
	s_delay_alu instid0(VALU_DEP_3) | instskip(NEXT) | instid1(VALU_DEP_1)
	v_and_b32_e32 v6, 0x80000000, v6
	v_or3_b32 v5, v7, v6, v5
.LBB364_1756:                           ;   in Loop: Header=BB364_934 Depth=1
	s_or_b32 exec_lo, exec_lo, s17
.LBB364_1757:                           ;   in Loop: Header=BB364_934 Depth=1
	s_delay_alu instid0(SALU_CYCLE_1)
	s_or_b32 exec_lo, exec_lo, s16
.LBB364_1758:                           ;   in Loop: Header=BB364_934 Depth=1
	s_delay_alu instid0(SALU_CYCLE_1) | instskip(SKIP_4) | instid1(VALU_DEP_3)
	s_or_b32 exec_lo, exec_lo, s15
	v_and_b32_e32 v8, 0xff, v19
	v_dual_mov_b32 v22, v19 :: v_dual_mov_b32 v7, 0
	v_mov_b32_e32 v6, 0
	s_mov_b32 s15, exec_lo
	v_cmpx_ne_u16_e32 0, v8
	s_cbranch_execz .LBB364_1766
; %bb.1759:                             ;   in Loop: Header=BB364_934 Depth=1
	v_bfrev_b32_e32 v6, 1
	s_mov_b32 s16, exec_lo
	v_cmpx_ne_u16_e32 0x80, v8
	s_cbranch_execz .LBB364_1765
; %bb.1760:                             ;   in Loop: Header=BB364_934 Depth=1
	v_and_b32_e32 v8, 0x7f, v19
	v_mov_b32_e32 v6, 0x7f800001
	s_mov_b32 s17, exec_lo
	s_delay_alu instid0(VALU_DEP_2)
	v_cmpx_ne_u32_e32 0x7f, v8
	s_cbranch_execz .LBB364_1764
; %bb.1761:                             ;   in Loop: Header=BB364_934 Depth=1
	v_mov_b64_e32 v[32:33], v[22:23]
	v_lshrrev_b32_e32 v6, 3, v8
	s_mov_b32 s18, exec_lo
	v_cmpx_gt_u32_e32 8, v8
; %bb.1762:                             ;   in Loop: Header=BB364_934 Depth=1
	v_and_b32_e32 v6, 7, v19
	s_delay_alu instid0(VALU_DEP_1) | instskip(NEXT) | instid1(VALU_DEP_1)
	v_clz_i32_u32_e32 v6, v6
	v_min_u32_e32 v6, 32, v6
	s_delay_alu instid0(VALU_DEP_1) | instskip(SKIP_1) | instid1(VALU_DEP_2)
	v_subrev_nc_u32_e32 v8, 28, v6
	v_sub_nc_u32_e32 v6, 29, v6
	v_lshlrev_b64_e32 v[32:33], v8, v[22:23]
; %bb.1763:                             ;   in Loop: Header=BB364_934 Depth=1
	s_or_b32 exec_lo, exec_lo, s18
	s_delay_alu instid0(VALU_DEP_1) | instskip(NEXT) | instid1(VALU_DEP_3)
	v_dual_lshlrev_b32 v8, 20, v32 :: v_dual_lshlrev_b32 v9, 24, v22
	v_lshl_add_u32 v6, v6, 23, 0x3c000000
	s_delay_alu instid0(VALU_DEP_2) | instskip(NEXT) | instid1(VALU_DEP_3)
	v_and_b32_e32 v8, 0x700000, v8
	v_and_b32_e32 v9, 0x80000000, v9
	s_delay_alu instid0(VALU_DEP_1)
	v_or3_b32 v6, v8, v9, v6
.LBB364_1764:                           ;   in Loop: Header=BB364_934 Depth=1
	s_or_b32 exec_lo, exec_lo, s17
.LBB364_1765:                           ;   in Loop: Header=BB364_934 Depth=1
	s_delay_alu instid0(SALU_CYCLE_1)
	s_or_b32 exec_lo, exec_lo, s16
.LBB364_1766:                           ;   in Loop: Header=BB364_934 Depth=1
	s_delay_alu instid0(SALU_CYCLE_1) | instskip(SKIP_2) | instid1(VALU_DEP_1)
	s_or_b32 exec_lo, exec_lo, s15
	v_lshrrev_b16 v8, 8, v22
	s_mov_b32 s15, exec_lo
	v_cmpx_ne_u16_e32 0, v8
	s_cbranch_execz .LBB364_1774
; %bb.1767:                             ;   in Loop: Header=BB364_934 Depth=1
	v_bfrev_b32_e32 v7, 1
	s_mov_b32 s16, exec_lo
	v_cmpx_ne_u16_e32 0x80, v8
	s_cbranch_execz .LBB364_1773
; %bb.1768:                             ;   in Loop: Header=BB364_934 Depth=1
	v_and_b32_e32 v9, 0xffff, v8
	v_mov_b32_e32 v7, 0x7f800001
	s_mov_b32 s17, exec_lo
	s_delay_alu instid0(VALU_DEP_2) | instskip(NEXT) | instid1(VALU_DEP_1)
	v_and_b32_e32 v8, 0x7f, v9
	v_cmpx_ne_u32_e32 0x7f, v8
	s_cbranch_execz .LBB364_1772
; %bb.1769:                             ;   in Loop: Header=BB364_934 Depth=1
	v_dual_mov_b32 v33, v23 :: v_dual_bitop2_b32 v32, 7, v9 bitop3:0x40
	v_lshrrev_b32_e32 v7, 3, v8
	s_mov_b32 s18, exec_lo
	v_cmpx_gt_u32_e32 8, v8
; %bb.1770:                             ;   in Loop: Header=BB364_934 Depth=1
	s_delay_alu instid0(VALU_DEP_3) | instskip(NEXT) | instid1(VALU_DEP_1)
	v_clz_i32_u32_e32 v7, v32
	v_min_u32_e32 v7, 32, v7
	s_delay_alu instid0(VALU_DEP_1) | instskip(NEXT) | instid1(VALU_DEP_1)
	v_subrev_nc_u32_e32 v8, 28, v7
	v_lshlrev_b64_e32 v[8:9], v8, v[32:33]
	s_delay_alu instid0(VALU_DEP_1)
	v_dual_sub_nc_u32 v7, 29, v7 :: v_dual_bitop2_b32 v32, 7, v8 bitop3:0x40
; %bb.1771:                             ;   in Loop: Header=BB364_934 Depth=1
	s_or_b32 exec_lo, exec_lo, s18
	s_delay_alu instid0(VALU_DEP_1) | instskip(NEXT) | instid1(VALU_DEP_2)
	v_dual_lshlrev_b32 v8, 16, v22 :: v_dual_lshlrev_b32 v9, 20, v32
	v_lshl_add_u32 v7, v7, 23, 0x3c000000
	s_delay_alu instid0(VALU_DEP_2) | instskip(NEXT) | instid1(VALU_DEP_1)
	v_and_b32_e32 v8, 0x80000000, v8
	v_or3_b32 v7, v9, v8, v7
.LBB364_1772:                           ;   in Loop: Header=BB364_934 Depth=1
	s_or_b32 exec_lo, exec_lo, s17
.LBB364_1773:                           ;   in Loop: Header=BB364_934 Depth=1
	s_delay_alu instid0(SALU_CYCLE_1)
	s_or_b32 exec_lo, exec_lo, s16
.LBB364_1774:                           ;   in Loop: Header=BB364_934 Depth=1
	s_delay_alu instid0(SALU_CYCLE_1) | instskip(SKIP_3) | instid1(VALU_DEP_2)
	s_or_b32 exec_lo, exec_lo, s15
	v_dual_lshrrev_b32 v8, 16, v19 :: v_dual_mov_b32 v32, 0
	v_mov_b32_e32 v33, 0
	s_mov_b32 s15, exec_lo
	v_and_b32_e32 v9, 0xff, v8
	s_delay_alu instid0(VALU_DEP_1)
	v_cmpx_ne_u16_e32 0, v9
	s_cbranch_execz .LBB364_1782
; %bb.1775:                             ;   in Loop: Header=BB364_934 Depth=1
	v_bfrev_b32_e32 v33, 1
	s_mov_b32 s16, exec_lo
	v_cmpx_ne_u16_e32 0x80, v9
	s_cbranch_execz .LBB364_1781
; %bb.1776:                             ;   in Loop: Header=BB364_934 Depth=1
	v_bfe_u32 v53, v19, 16, 7
	v_mov_b32_e32 v33, 0x7f800001
	s_mov_b32 s17, exec_lo
	s_delay_alu instid0(VALU_DEP_2)
	v_cmpx_ne_u32_e32 0x7f, v53
	s_cbranch_execz .LBB364_1780
; %bb.1777:                             ;   in Loop: Header=BB364_934 Depth=1
	v_dual_lshrrev_b32 v9, 3, v53 :: v_dual_bitop2_b32 v22, 7, v8 bitop3:0x40
	s_mov_b32 s18, exec_lo
	v_cmpx_gt_u32_e32 8, v53
; %bb.1778:                             ;   in Loop: Header=BB364_934 Depth=1
	s_delay_alu instid0(VALU_DEP_2) | instskip(NEXT) | instid1(VALU_DEP_1)
	v_clz_i32_u32_e32 v9, v22
	v_min_u32_e32 v9, 32, v9
	s_delay_alu instid0(VALU_DEP_1) | instskip(NEXT) | instid1(VALU_DEP_1)
	v_subrev_nc_u32_e32 v33, 28, v9
	v_lshlrev_b64_e32 v[70:71], v33, v[22:23]
	s_delay_alu instid0(VALU_DEP_1)
	v_dual_sub_nc_u32 v9, 29, v9 :: v_dual_bitop2_b32 v22, 7, v70 bitop3:0x40
; %bb.1779:                             ;   in Loop: Header=BB364_934 Depth=1
	s_or_b32 exec_lo, exec_lo, s18
	s_delay_alu instid0(VALU_DEP_1) | instskip(NEXT) | instid1(VALU_DEP_2)
	v_dual_lshlrev_b32 v8, 24, v8 :: v_dual_lshlrev_b32 v22, 20, v22
	v_lshl_add_u32 v9, v9, 23, 0x3c000000
	s_delay_alu instid0(VALU_DEP_2) | instskip(NEXT) | instid1(VALU_DEP_1)
	v_and_b32_e32 v8, 0x80000000, v8
	v_or3_b32 v33, v22, v8, v9
.LBB364_1780:                           ;   in Loop: Header=BB364_934 Depth=1
	s_or_b32 exec_lo, exec_lo, s17
.LBB364_1781:                           ;   in Loop: Header=BB364_934 Depth=1
	s_delay_alu instid0(SALU_CYCLE_1)
	s_or_b32 exec_lo, exec_lo, s16
.LBB364_1782:                           ;   in Loop: Header=BB364_934 Depth=1
	s_delay_alu instid0(SALU_CYCLE_1) | instskip(NEXT) | instid1(SALU_CYCLE_1)
	s_or_b32 exec_lo, exec_lo, s15
	s_mov_b32 s15, exec_lo
	v_cmpx_lt_u64_e64 s[2:3], v[18:19]
	s_cbranch_execz .LBB364_1790
; %bb.1783:                             ;   in Loop: Header=BB364_934 Depth=1
	v_lshrrev_b32_e32 v8, 24, v19
	v_bfrev_b32_e32 v32, 1
	s_mov_b32 s16, exec_lo
	s_delay_alu instid0(VALU_DEP_2)
	v_cmpx_ne_u32_e32 0x80, v8
	s_cbranch_execz .LBB364_1789
; %bb.1784:                             ;   in Loop: Header=BB364_934 Depth=1
	v_bfe_u32 v18, v19, 24, 7
	v_mov_b32_e32 v32, 0x7f800001
	s_mov_b32 s17, exec_lo
	s_delay_alu instid0(VALU_DEP_2)
	v_cmpx_ne_u32_e32 0x7f, v18
	s_cbranch_execz .LBB364_1788
; %bb.1785:                             ;   in Loop: Header=BB364_934 Depth=1
	v_dual_lshrrev_b32 v9, 3, v18 :: v_dual_bitop2_b32 v22, 7, v8 bitop3:0x40
	s_mov_b32 s18, exec_lo
	v_cmpx_gt_u32_e32 8, v18
; %bb.1786:                             ;   in Loop: Header=BB364_934 Depth=1
	s_delay_alu instid0(VALU_DEP_2) | instskip(NEXT) | instid1(VALU_DEP_1)
	v_clz_i32_u32_e32 v9, v22
	v_min_u32_e32 v9, 32, v9
	s_delay_alu instid0(VALU_DEP_1) | instskip(NEXT) | instid1(VALU_DEP_1)
	v_subrev_nc_u32_e32 v18, 28, v9
	v_lshlrev_b64_e32 v[18:19], v18, v[22:23]
	s_delay_alu instid0(VALU_DEP_1)
	v_dual_sub_nc_u32 v9, 29, v9 :: v_dual_bitop2_b32 v22, 7, v18 bitop3:0x40
; %bb.1787:                             ;   in Loop: Header=BB364_934 Depth=1
	s_or_b32 exec_lo, exec_lo, s18
	s_delay_alu instid0(VALU_DEP_1) | instskip(NEXT) | instid1(VALU_DEP_2)
	v_dual_lshlrev_b32 v8, 24, v8 :: v_dual_lshlrev_b32 v18, 20, v22
	v_lshl_add_u32 v9, v9, 23, 0x3c000000
	s_delay_alu instid0(VALU_DEP_2) | instskip(NEXT) | instid1(VALU_DEP_1)
	v_and_b32_e32 v8, 0x80000000, v8
	v_or3_b32 v32, v18, v8, v9
.LBB364_1788:                           ;   in Loop: Header=BB364_934 Depth=1
	s_or_b32 exec_lo, exec_lo, s17
.LBB364_1789:                           ;   in Loop: Header=BB364_934 Depth=1
	s_delay_alu instid0(SALU_CYCLE_1)
	s_or_b32 exec_lo, exec_lo, s16
.LBB364_1790:                           ;   in Loop: Header=BB364_934 Depth=1
	s_delay_alu instid0(SALU_CYCLE_1)
	s_or_b32 exec_lo, exec_lo, s15
	v_fma_mixlo_bf16 v70, v37, v7, 0
	v_fma_mixlo_bf16 v71, v37, v6, 0
	;; [unrolled: 1-line block ×8, first 2 shown]
	s_and_saveexec_b32 s15, vcc_lo
	s_cbranch_execz .LBB364_1792
; %bb.1791:                             ;   in Loop: Header=BB364_934 Depth=1
	v_cmp_lt_i32_e64 s0, v83, v106
	s_delay_alu instid0(VALU_DEP_1) | instskip(SKIP_1) | instid1(VALU_DEP_1)
	v_cndmask_b32_e64 v96, 0, v96, s0
	v_cmp_lt_i32_e64 s0, v87, v106
	v_cndmask_b32_e64 v9, 0, v9, s0
	v_cmp_lt_i32_e64 s0, v86, v106
	s_delay_alu instid0(VALU_DEP_1) | instskip(SKIP_1) | instid1(VALU_DEP_1)
	v_cndmask_b32_e64 v8, 0, v8, s0
	v_cmp_lt_i32_e64 s0, v85, v106
	v_cndmask_b32_e64 v5, 0, v5, s0
	;; [unrolled: 5-line block ×4, first 2 shown]
.LBB364_1792:                           ;   in Loop: Header=BB364_934 Depth=1
	s_or_b32 exec_lo, exec_lo, s15
	flat_load_b64 v[0:1], v[0:1] offset:3328
	v_dual_mov_b32 v3, 0 :: v_dual_mov_b32 v2, 0
	s_mov_b32 s15, exec_lo
	s_wait_loadcnt_dscnt 0x0
	v_and_b32_e32 v6, 0xff, v0
	s_wait_xcnt 0x0
	s_delay_alu instid0(VALU_DEP_1)
	v_cmpx_ne_u16_e32 0, v6
	s_cbranch_execz .LBB364_1800
; %bb.1793:                             ;   in Loop: Header=BB364_934 Depth=1
	v_bfrev_b32_e32 v2, 1
	s_mov_b32 s16, exec_lo
	v_cmpx_ne_u16_e32 0x80, v6
	s_cbranch_execz .LBB364_1799
; %bb.1794:                             ;   in Loop: Header=BB364_934 Depth=1
	v_and_b32_e32 v6, 0x7f, v0
	v_mov_b32_e32 v2, 0x7f800001
	s_mov_b32 s17, exec_lo
	s_delay_alu instid0(VALU_DEP_2)
	v_cmpx_ne_u32_e32 0x7f, v6
	s_cbranch_execz .LBB364_1798
; %bb.1795:                             ;   in Loop: Header=BB364_934 Depth=1
	v_mov_b64_e32 v[18:19], v[0:1]
	v_lshrrev_b32_e32 v2, 3, v6
	s_mov_b32 s18, exec_lo
	v_cmpx_gt_u32_e32 8, v6
; %bb.1796:                             ;   in Loop: Header=BB364_934 Depth=1
	v_and_b32_e32 v2, 7, v0
	s_delay_alu instid0(VALU_DEP_1) | instskip(NEXT) | instid1(VALU_DEP_1)
	v_clz_i32_u32_e32 v2, v2
	v_min_u32_e32 v2, 32, v2
	s_delay_alu instid0(VALU_DEP_1) | instskip(SKIP_1) | instid1(VALU_DEP_2)
	v_subrev_nc_u32_e32 v6, 28, v2
	v_sub_nc_u32_e32 v2, 29, v2
	v_lshlrev_b64_e32 v[18:19], v6, v[0:1]
; %bb.1797:                             ;   in Loop: Header=BB364_934 Depth=1
	s_or_b32 exec_lo, exec_lo, s18
	s_delay_alu instid0(VALU_DEP_1) | instskip(NEXT) | instid1(VALU_DEP_3)
	v_dual_lshlrev_b32 v6, 20, v18 :: v_dual_lshlrev_b32 v7, 24, v0
	v_lshl_add_u32 v2, v2, 23, 0x3c000000
	s_delay_alu instid0(VALU_DEP_2) | instskip(NEXT) | instid1(VALU_DEP_3)
	v_and_b32_e32 v6, 0x700000, v6
	v_and_b32_e32 v7, 0x80000000, v7
	s_delay_alu instid0(VALU_DEP_1)
	v_or3_b32 v2, v6, v7, v2
.LBB364_1798:                           ;   in Loop: Header=BB364_934 Depth=1
	s_or_b32 exec_lo, exec_lo, s17
.LBB364_1799:                           ;   in Loop: Header=BB364_934 Depth=1
	s_delay_alu instid0(SALU_CYCLE_1)
	s_or_b32 exec_lo, exec_lo, s16
.LBB364_1800:                           ;   in Loop: Header=BB364_934 Depth=1
	s_delay_alu instid0(SALU_CYCLE_1) | instskip(SKIP_2) | instid1(VALU_DEP_1)
	s_or_b32 exec_lo, exec_lo, s15
	v_lshrrev_b16 v6, 8, v0
	s_mov_b32 s15, exec_lo
	v_cmpx_ne_u16_e32 0, v6
	s_cbranch_execz .LBB364_1808
; %bb.1801:                             ;   in Loop: Header=BB364_934 Depth=1
	v_bfrev_b32_e32 v3, 1
	s_mov_b32 s16, exec_lo
	v_cmpx_ne_u16_e32 0x80, v6
	s_cbranch_execz .LBB364_1807
; %bb.1802:                             ;   in Loop: Header=BB364_934 Depth=1
	v_and_b32_e32 v7, 0xffff, v6
	v_mov_b32_e32 v3, 0x7f800001
	s_mov_b32 s17, exec_lo
	s_delay_alu instid0(VALU_DEP_2) | instskip(NEXT) | instid1(VALU_DEP_1)
	v_and_b32_e32 v6, 0x7f, v7
	v_cmpx_ne_u32_e32 0x7f, v6
	s_cbranch_execz .LBB364_1806
; %bb.1803:                             ;   in Loop: Header=BB364_934 Depth=1
	v_dual_lshrrev_b32 v3, 3, v6 :: v_dual_bitop2_b32 v22, 7, v7 bitop3:0x40
	s_mov_b32 s18, exec_lo
	v_cmpx_gt_u32_e32 8, v6
; %bb.1804:                             ;   in Loop: Header=BB364_934 Depth=1
	s_delay_alu instid0(VALU_DEP_2) | instskip(NEXT) | instid1(VALU_DEP_1)
	v_clz_i32_u32_e32 v3, v22
	v_min_u32_e32 v3, 32, v3
	s_delay_alu instid0(VALU_DEP_1) | instskip(NEXT) | instid1(VALU_DEP_1)
	v_subrev_nc_u32_e32 v6, 28, v3
	v_lshlrev_b64_e32 v[6:7], v6, v[22:23]
	s_delay_alu instid0(VALU_DEP_1)
	v_dual_sub_nc_u32 v3, 29, v3 :: v_dual_bitop2_b32 v22, 7, v6 bitop3:0x40
; %bb.1805:                             ;   in Loop: Header=BB364_934 Depth=1
	s_or_b32 exec_lo, exec_lo, s18
	s_delay_alu instid0(VALU_DEP_1) | instskip(NEXT) | instid1(VALU_DEP_2)
	v_dual_lshlrev_b32 v6, 16, v0 :: v_dual_lshlrev_b32 v7, 20, v22
	v_lshl_add_u32 v3, v3, 23, 0x3c000000
	s_delay_alu instid0(VALU_DEP_2) | instskip(NEXT) | instid1(VALU_DEP_1)
	v_and_b32_e32 v6, 0x80000000, v6
	v_or3_b32 v3, v7, v6, v3
.LBB364_1806:                           ;   in Loop: Header=BB364_934 Depth=1
	s_or_b32 exec_lo, exec_lo, s17
.LBB364_1807:                           ;   in Loop: Header=BB364_934 Depth=1
	s_delay_alu instid0(SALU_CYCLE_1)
	s_or_b32 exec_lo, exec_lo, s16
.LBB364_1808:                           ;   in Loop: Header=BB364_934 Depth=1
	s_delay_alu instid0(SALU_CYCLE_1) | instskip(SKIP_3) | instid1(VALU_DEP_2)
	s_or_b32 exec_lo, exec_lo, s15
	v_dual_mov_b32 v7, 0 :: v_dual_lshrrev_b32 v18, 16, v0
	v_mov_b32_e32 v6, 0
	s_mov_b32 s15, exec_lo
	v_and_b32_e32 v19, 0xff, v18
	s_delay_alu instid0(VALU_DEP_1)
	v_cmpx_ne_u16_e32 0, v19
	s_cbranch_execz .LBB364_1816
; %bb.1809:                             ;   in Loop: Header=BB364_934 Depth=1
	v_bfrev_b32_e32 v6, 1
	s_mov_b32 s16, exec_lo
	v_cmpx_ne_u16_e32 0x80, v19
	s_cbranch_execz .LBB364_1815
; %bb.1810:                             ;   in Loop: Header=BB364_934 Depth=1
	v_bfe_u32 v19, v0, 16, 7
	v_mov_b32_e32 v6, 0x7f800001
	s_mov_b32 s17, exec_lo
	s_delay_alu instid0(VALU_DEP_2)
	v_cmpx_ne_u32_e32 0x7f, v19
	s_cbranch_execz .LBB364_1814
; %bb.1811:                             ;   in Loop: Header=BB364_934 Depth=1
	v_dual_lshrrev_b32 v6, 3, v19 :: v_dual_bitop2_b32 v22, 7, v18 bitop3:0x40
	s_mov_b32 s18, exec_lo
	v_cmpx_gt_u32_e32 8, v19
; %bb.1812:                             ;   in Loop: Header=BB364_934 Depth=1
	s_delay_alu instid0(VALU_DEP_2) | instskip(NEXT) | instid1(VALU_DEP_1)
	v_clz_i32_u32_e32 v6, v22
	v_min_u32_e32 v6, 32, v6
	s_delay_alu instid0(VALU_DEP_1) | instskip(NEXT) | instid1(VALU_DEP_1)
	v_subrev_nc_u32_e32 v19, 28, v6
	v_lshlrev_b64_e32 v[32:33], v19, v[22:23]
	s_delay_alu instid0(VALU_DEP_1)
	v_dual_sub_nc_u32 v6, 29, v6 :: v_dual_bitop2_b32 v22, 7, v32 bitop3:0x40
; %bb.1813:                             ;   in Loop: Header=BB364_934 Depth=1
	s_or_b32 exec_lo, exec_lo, s18
	v_lshlrev_b32_e32 v18, 24, v18
	s_delay_alu instid0(VALU_DEP_2) | instskip(NEXT) | instid1(VALU_DEP_3)
	v_lshlrev_b32_e32 v19, 20, v22
	v_lshl_add_u32 v6, v6, 23, 0x3c000000
	s_delay_alu instid0(VALU_DEP_3) | instskip(NEXT) | instid1(VALU_DEP_1)
	v_and_b32_e32 v18, 0x80000000, v18
	v_or3_b32 v6, v19, v18, v6
.LBB364_1814:                           ;   in Loop: Header=BB364_934 Depth=1
	s_or_b32 exec_lo, exec_lo, s17
.LBB364_1815:                           ;   in Loop: Header=BB364_934 Depth=1
	s_delay_alu instid0(SALU_CYCLE_1)
	s_or_b32 exec_lo, exec_lo, s16
.LBB364_1816:                           ;   in Loop: Header=BB364_934 Depth=1
	s_delay_alu instid0(SALU_CYCLE_1) | instskip(NEXT) | instid1(SALU_CYCLE_1)
	s_or_b32 exec_lo, exec_lo, s15
	s_mov_b32 s15, exec_lo
	v_cmpx_lt_u32_e32 0xffffff, v0
	s_cbranch_execz .LBB364_1824
; %bb.1817:                             ;   in Loop: Header=BB364_934 Depth=1
	v_lshrrev_b32_e32 v18, 24, v0
	v_bfrev_b32_e32 v7, 1
	s_mov_b32 s16, exec_lo
	s_delay_alu instid0(VALU_DEP_2)
	v_cmpx_ne_u32_e32 0x80, v18
	s_cbranch_execz .LBB364_1823
; %bb.1818:                             ;   in Loop: Header=BB364_934 Depth=1
	v_bfe_u32 v19, v0, 24, 7
	v_mov_b32_e32 v7, 0x7f800001
	s_mov_b32 s17, exec_lo
	s_delay_alu instid0(VALU_DEP_2)
	v_cmpx_ne_u32_e32 0x7f, v19
	s_cbranch_execz .LBB364_1822
; %bb.1819:                             ;   in Loop: Header=BB364_934 Depth=1
	v_dual_lshrrev_b32 v7, 3, v19 :: v_dual_bitop2_b32 v22, 7, v18 bitop3:0x40
	s_mov_b32 s18, exec_lo
	v_cmpx_gt_u32_e32 8, v19
; %bb.1820:                             ;   in Loop: Header=BB364_934 Depth=1
	s_delay_alu instid0(VALU_DEP_2) | instskip(NEXT) | instid1(VALU_DEP_1)
	v_clz_i32_u32_e32 v7, v22
	v_min_u32_e32 v7, 32, v7
	s_delay_alu instid0(VALU_DEP_1) | instskip(NEXT) | instid1(VALU_DEP_1)
	v_subrev_nc_u32_e32 v19, 28, v7
	v_lshlrev_b64_e32 v[32:33], v19, v[22:23]
	s_delay_alu instid0(VALU_DEP_1)
	v_dual_sub_nc_u32 v7, 29, v7 :: v_dual_bitop2_b32 v22, 7, v32 bitop3:0x40
; %bb.1821:                             ;   in Loop: Header=BB364_934 Depth=1
	s_or_b32 exec_lo, exec_lo, s18
	v_lshlrev_b32_e32 v18, 24, v18
	s_delay_alu instid0(VALU_DEP_2) | instskip(NEXT) | instid1(VALU_DEP_3)
	v_lshlrev_b32_e32 v19, 20, v22
	v_lshl_add_u32 v7, v7, 23, 0x3c000000
	s_delay_alu instid0(VALU_DEP_3) | instskip(NEXT) | instid1(VALU_DEP_1)
	v_and_b32_e32 v18, 0x80000000, v18
	v_or3_b32 v7, v19, v18, v7
.LBB364_1822:                           ;   in Loop: Header=BB364_934 Depth=1
	s_or_b32 exec_lo, exec_lo, s17
.LBB364_1823:                           ;   in Loop: Header=BB364_934 Depth=1
	s_delay_alu instid0(SALU_CYCLE_1)
	s_or_b32 exec_lo, exec_lo, s16
.LBB364_1824:                           ;   in Loop: Header=BB364_934 Depth=1
	s_delay_alu instid0(SALU_CYCLE_1) | instskip(SKIP_4) | instid1(VALU_DEP_3)
	s_or_b32 exec_lo, exec_lo, s15
	v_and_b32_e32 v18, 0xff, v1
	v_dual_mov_b32 v22, v1 :: v_dual_mov_b32 v33, 0
	v_mov_b32_e32 v32, 0
	s_mov_b32 s15, exec_lo
	v_cmpx_ne_u16_e32 0, v18
	s_cbranch_execz .LBB364_1832
; %bb.1825:                             ;   in Loop: Header=BB364_934 Depth=1
	v_bfrev_b32_e32 v32, 1
	s_mov_b32 s16, exec_lo
	v_cmpx_ne_u16_e32 0x80, v18
	s_cbranch_execz .LBB364_1831
; %bb.1826:                             ;   in Loop: Header=BB364_934 Depth=1
	v_and_b32_e32 v18, 0x7f, v1
	v_mov_b32_e32 v32, 0x7f800001
	s_mov_b32 s17, exec_lo
	s_delay_alu instid0(VALU_DEP_2)
	v_cmpx_ne_u32_e32 0x7f, v18
	s_cbranch_execz .LBB364_1830
; %bb.1827:                             ;   in Loop: Header=BB364_934 Depth=1
	v_lshrrev_b32_e32 v32, 3, v18
	v_cmp_gt_u32_e64 s0, 8, v18
	v_mov_b64_e32 v[18:19], v[22:23]
	s_and_saveexec_b32 s18, s0
; %bb.1828:                             ;   in Loop: Header=BB364_934 Depth=1
	v_and_b32_e32 v18, 7, v1
	s_delay_alu instid0(VALU_DEP_1) | instskip(NEXT) | instid1(VALU_DEP_1)
	v_clz_i32_u32_e32 v18, v18
	v_min_u32_e32 v32, 32, v18
	s_delay_alu instid0(VALU_DEP_1) | instskip(SKIP_1) | instid1(VALU_DEP_2)
	v_subrev_nc_u32_e32 v18, 28, v32
	v_sub_nc_u32_e32 v32, 29, v32
	v_lshlrev_b64_e32 v[18:19], v18, v[22:23]
; %bb.1829:                             ;   in Loop: Header=BB364_934 Depth=1
	s_or_b32 exec_lo, exec_lo, s18
	s_delay_alu instid0(VALU_DEP_1) | instskip(SKIP_2) | instid1(VALU_DEP_3)
	v_lshlrev_b32_e32 v18, 20, v18
	v_lshlrev_b32_e32 v19, 24, v22
	v_lshl_add_u32 v32, v32, 23, 0x3c000000
	v_and_b32_e32 v18, 0x700000, v18
	s_delay_alu instid0(VALU_DEP_3) | instskip(NEXT) | instid1(VALU_DEP_1)
	v_and_b32_e32 v19, 0x80000000, v19
	v_or3_b32 v32, v18, v19, v32
.LBB364_1830:                           ;   in Loop: Header=BB364_934 Depth=1
	s_or_b32 exec_lo, exec_lo, s17
.LBB364_1831:                           ;   in Loop: Header=BB364_934 Depth=1
	s_delay_alu instid0(SALU_CYCLE_1)
	s_or_b32 exec_lo, exec_lo, s16
.LBB364_1832:                           ;   in Loop: Header=BB364_934 Depth=1
	s_delay_alu instid0(SALU_CYCLE_1) | instskip(SKIP_2) | instid1(VALU_DEP_1)
	s_or_b32 exec_lo, exec_lo, s15
	v_lshrrev_b16 v18, 8, v22
	s_mov_b32 s15, exec_lo
	v_cmpx_ne_u16_e32 0, v18
	s_cbranch_execz .LBB364_1840
; %bb.1833:                             ;   in Loop: Header=BB364_934 Depth=1
	v_bfrev_b32_e32 v33, 1
	s_mov_b32 s16, exec_lo
	v_cmpx_ne_u16_e32 0x80, v18
	s_cbranch_execz .LBB364_1839
; %bb.1834:                             ;   in Loop: Header=BB364_934 Depth=1
	v_and_b32_e32 v18, 0xffff, v18
	v_mov_b32_e32 v33, 0x7f800001
	s_mov_b32 s17, exec_lo
	s_delay_alu instid0(VALU_DEP_2) | instskip(NEXT) | instid1(VALU_DEP_1)
	v_and_b32_e32 v53, 0x7f, v18
	v_cmpx_ne_u32_e32 0x7f, v53
	s_cbranch_execz .LBB364_1838
; %bb.1835:                             ;   in Loop: Header=BB364_934 Depth=1
	v_dual_mov_b32 v19, v23 :: v_dual_bitop2_b32 v18, 7, v18 bitop3:0x40
	v_lshrrev_b32_e32 v33, 3, v53
	s_mov_b32 s18, exec_lo
	v_cmpx_gt_u32_e32 8, v53
; %bb.1836:                             ;   in Loop: Header=BB364_934 Depth=1
	s_delay_alu instid0(VALU_DEP_3) | instskip(NEXT) | instid1(VALU_DEP_1)
	v_clz_i32_u32_e32 v33, v18
	v_min_u32_e32 v33, 32, v33
	s_delay_alu instid0(VALU_DEP_1) | instskip(NEXT) | instid1(VALU_DEP_1)
	v_subrev_nc_u32_e32 v53, 28, v33
	v_lshlrev_b64_e32 v[18:19], v53, v[18:19]
	s_delay_alu instid0(VALU_DEP_1)
	v_dual_sub_nc_u32 v33, 29, v33 :: v_dual_bitop2_b32 v18, 7, v18 bitop3:0x40
; %bb.1837:                             ;   in Loop: Header=BB364_934 Depth=1
	s_or_b32 exec_lo, exec_lo, s18
	v_lshlrev_b32_e32 v19, 16, v22
	s_delay_alu instid0(VALU_DEP_2) | instskip(NEXT) | instid1(VALU_DEP_3)
	v_lshlrev_b32_e32 v18, 20, v18
	v_lshl_add_u32 v22, v33, 23, 0x3c000000
	s_delay_alu instid0(VALU_DEP_3) | instskip(NEXT) | instid1(VALU_DEP_1)
	v_and_b32_e32 v19, 0x80000000, v19
	v_or3_b32 v33, v18, v19, v22
.LBB364_1838:                           ;   in Loop: Header=BB364_934 Depth=1
	s_or_b32 exec_lo, exec_lo, s17
.LBB364_1839:                           ;   in Loop: Header=BB364_934 Depth=1
	s_delay_alu instid0(SALU_CYCLE_1)
	s_or_b32 exec_lo, exec_lo, s16
.LBB364_1840:                           ;   in Loop: Header=BB364_934 Depth=1
	s_delay_alu instid0(SALU_CYCLE_1) | instskip(SKIP_3) | instid1(VALU_DEP_2)
	s_or_b32 exec_lo, exec_lo, s15
	v_dual_mov_b32 v18, 0 :: v_dual_lshrrev_b32 v19, 16, v1
	v_mov_b32_e32 v97, 0
	s_mov_b32 s15, exec_lo
	v_and_b32_e32 v22, 0xff, v19
	s_delay_alu instid0(VALU_DEP_1)
	v_cmpx_ne_u16_e32 0, v22
	s_cbranch_execz .LBB364_1848
; %bb.1841:                             ;   in Loop: Header=BB364_934 Depth=1
	v_bfrev_b32_e32 v97, 1
	s_mov_b32 s16, exec_lo
	v_cmpx_ne_u16_e32 0x80, v22
	s_cbranch_execz .LBB364_1847
; %bb.1842:                             ;   in Loop: Header=BB364_934 Depth=1
	v_bfe_u32 v98, v1, 16, 7
	v_mov_b32_e32 v97, 0x7f800001
	s_mov_b32 s17, exec_lo
	s_delay_alu instid0(VALU_DEP_2)
	v_cmpx_ne_u32_e32 0x7f, v98
	s_cbranch_execz .LBB364_1846
; %bb.1843:                             ;   in Loop: Header=BB364_934 Depth=1
	v_dual_lshrrev_b32 v53, 3, v98 :: v_dual_bitop2_b32 v22, 7, v19 bitop3:0x40
	s_mov_b32 s18, exec_lo
	v_cmpx_gt_u32_e32 8, v98
; %bb.1844:                             ;   in Loop: Header=BB364_934 Depth=1
	s_delay_alu instid0(VALU_DEP_2) | instskip(NEXT) | instid1(VALU_DEP_1)
	v_clz_i32_u32_e32 v53, v22
	v_min_u32_e32 v53, 32, v53
	s_delay_alu instid0(VALU_DEP_1) | instskip(NEXT) | instid1(VALU_DEP_1)
	v_subrev_nc_u32_e32 v97, 28, v53
	v_lshlrev_b64_e32 v[98:99], v97, v[22:23]
	s_delay_alu instid0(VALU_DEP_1)
	v_dual_sub_nc_u32 v53, 29, v53 :: v_dual_bitop2_b32 v22, 7, v98 bitop3:0x40
; %bb.1845:                             ;   in Loop: Header=BB364_934 Depth=1
	s_or_b32 exec_lo, exec_lo, s18
	s_delay_alu instid0(VALU_DEP_1) | instskip(NEXT) | instid1(VALU_DEP_2)
	v_dual_lshlrev_b32 v19, 24, v19 :: v_dual_lshlrev_b32 v22, 20, v22
	v_lshl_add_u32 v53, v53, 23, 0x3c000000
	s_delay_alu instid0(VALU_DEP_2) | instskip(NEXT) | instid1(VALU_DEP_1)
	v_and_b32_e32 v19, 0x80000000, v19
	v_or3_b32 v97, v22, v19, v53
.LBB364_1846:                           ;   in Loop: Header=BB364_934 Depth=1
	s_or_b32 exec_lo, exec_lo, s17
.LBB364_1847:                           ;   in Loop: Header=BB364_934 Depth=1
	s_delay_alu instid0(SALU_CYCLE_1)
	s_or_b32 exec_lo, exec_lo, s16
.LBB364_1848:                           ;   in Loop: Header=BB364_934 Depth=1
	s_delay_alu instid0(SALU_CYCLE_1) | instskip(NEXT) | instid1(SALU_CYCLE_1)
	s_or_b32 exec_lo, exec_lo, s15
	s_mov_b32 s15, exec_lo
	v_cmpx_lt_u64_e64 s[2:3], v[0:1]
	s_cbranch_execz .LBB364_1856
; %bb.1849:                             ;   in Loop: Header=BB364_934 Depth=1
	v_lshrrev_b32_e32 v0, 24, v1
	v_bfrev_b32_e32 v18, 1
	s_mov_b32 s16, exec_lo
	s_delay_alu instid0(VALU_DEP_2)
	v_cmpx_ne_u32_e32 0x80, v0
	s_cbranch_execz .LBB364_1855
; %bb.1850:                             ;   in Loop: Header=BB364_934 Depth=1
	v_bfe_u32 v19, v1, 24, 7
	v_mov_b32_e32 v18, 0x7f800001
	s_mov_b32 s17, exec_lo
	s_delay_alu instid0(VALU_DEP_2)
	v_cmpx_ne_u32_e32 0x7f, v19
	s_cbranch_execz .LBB364_1854
; %bb.1851:                             ;   in Loop: Header=BB364_934 Depth=1
	v_dual_lshrrev_b32 v1, 3, v19 :: v_dual_bitop2_b32 v22, 7, v0 bitop3:0x40
	s_mov_b32 s18, exec_lo
	v_cmpx_gt_u32_e32 8, v19
; %bb.1852:                             ;   in Loop: Header=BB364_934 Depth=1
	s_delay_alu instid0(VALU_DEP_2) | instskip(NEXT) | instid1(VALU_DEP_1)
	v_clz_i32_u32_e32 v1, v22
	v_min_u32_e32 v1, 32, v1
	s_delay_alu instid0(VALU_DEP_1) | instskip(NEXT) | instid1(VALU_DEP_1)
	v_subrev_nc_u32_e32 v18, 28, v1
	v_lshlrev_b64_e32 v[18:19], v18, v[22:23]
	s_delay_alu instid0(VALU_DEP_1)
	v_dual_sub_nc_u32 v1, 29, v1 :: v_dual_bitop2_b32 v22, 7, v18 bitop3:0x40
; %bb.1853:                             ;   in Loop: Header=BB364_934 Depth=1
	s_or_b32 exec_lo, exec_lo, s18
	s_delay_alu instid0(VALU_DEP_1) | instskip(NEXT) | instid1(VALU_DEP_2)
	v_dual_lshlrev_b32 v0, 24, v0 :: v_dual_lshlrev_b32 v18, 20, v22
	v_lshl_add_u32 v1, v1, 23, 0x3c000000
	s_delay_alu instid0(VALU_DEP_2) | instskip(NEXT) | instid1(VALU_DEP_1)
	v_and_b32_e32 v0, 0x80000000, v0
	v_or3_b32 v18, v18, v0, v1
.LBB364_1854:                           ;   in Loop: Header=BB364_934 Depth=1
	s_or_b32 exec_lo, exec_lo, s17
.LBB364_1855:                           ;   in Loop: Header=BB364_934 Depth=1
	s_delay_alu instid0(SALU_CYCLE_1)
	s_or_b32 exec_lo, exec_lo, s16
.LBB364_1856:                           ;   in Loop: Header=BB364_934 Depth=1
	s_delay_alu instid0(SALU_CYCLE_1)
	s_or_b32 exec_lo, exec_lo, s15
	v_fma_mixlo_bf16 v1, v37, v33, 0
	v_fma_mixlo_bf16 v19, v37, v32, 0
	;; [unrolled: 1-line block ×8, first 2 shown]
	s_and_saveexec_b32 s0, vcc_lo
	s_cbranch_execz .LBB364_933
; %bb.1857:                             ;   in Loop: Header=BB364_934 Depth=1
	v_cmp_lt_i32_e32 vcc_lo, v83, v106
	v_cndmask_b32_e32 v53, 0, v53, vcc_lo
	v_cmp_lt_i32_e32 vcc_lo, v87, v106
	v_cndmask_b32_e32 v33, 0, v33, vcc_lo
	;; [unrolled: 2-line block ×8, first 2 shown]
	s_branch .LBB364_933
.LBB364_1858:
	s_or_b32 exec_lo, exec_lo, s14
	s_clause 0x2
	scratch_load_b32 v36, off, s32 offset:404
	scratch_load_b32 v30, off, s32 offset:412
	;; [unrolled: 1-line block ×3, first 2 shown]
	v_mov_b64_e32 v[0:1], s[6:7]
.LBB364_1859:
	s_wait_xcnt 0x0
	s_or_b32 exec_lo, exec_lo, s1
	s_delay_alu instid0(VALU_DEP_1)
	v_lshl_add_u64 v[0:1], v[0:1], 2, s[8:9]
	s_wait_loadcnt 0x0
	s_wait_storecnt 0x0
	s_barrier_signal -1
	s_barrier_wait -1
	global_load_b32 v18, v[0:1], off
	s_wait_xcnt 0x0
	ds_bpermute_b32 v0, v30, v28
	ds_bpermute_b32 v1, v30, v29
	;; [unrolled: 1-line block ×14, first 2 shown]
	s_mov_b32 s0, exec_lo
	s_wait_dscnt 0xc
	v_pk_add_f32 v[0:1], v[28:29], v[0:1]
	s_wait_dscnt 0xa
	v_pk_add_f32 v[2:3], v[26:27], v[2:3]
	;; [unrolled: 2-line block ×3, first 2 shown]
	ds_bpermute_b32 v26, v36, v0
	s_wait_dscnt 0x7
	v_pk_add_f32 v[4:5], v[24:25], v[4:5]
	ds_bpermute_b32 v27, v36, v1
	ds_bpermute_b32 v24, v36, v2
	;; [unrolled: 1-line block ×5, first 2 shown]
	s_wait_dscnt 0xa
	v_pk_add_f32 v[28:29], v[14:15], v[10:11]
	s_wait_dscnt 0x8
	v_pk_add_f32 v[20:21], v[20:21], v[6:7]
	ds_bpermute_b32 v6, v36, v4
	ds_bpermute_b32 v7, v36, v5
	s_wait_dscnt 0x8
	v_pk_add_f32 v[12:13], v[12:13], v[22:23]
	ds_bpermute_b32 v34, v36, v28
	ds_bpermute_b32 v30, v36, v20
	;; [unrolled: 1-line block ×6, first 2 shown]
	s_wait_dscnt 0xc
	v_pk_add_f32 v[10:11], v[0:1], v[26:27]
	scratch_load_b32 v27, off, s32 offset:708 ; 4-byte Folded Reload
	s_wait_dscnt 0xa
	v_pk_add_f32 v[8:9], v[2:3], v[24:25]
	s_wait_dscnt 0x8
	v_pk_add_f32 v[2:3], v[16:17], v[32:33]
	scratch_load_b32 v16, off, s32 offset:700 ; 4-byte Folded Reload
	s_wait_dscnt 0x6
	v_pk_add_f32 v[6:7], v[4:5], v[6:7]
	s_wait_dscnt 0x3
	v_pk_add_f32 v[4:5], v[20:21], v[30:31]
	;; [unrolled: 2-line block ×3, first 2 shown]
	s_wait_loadcnt 0x1
	v_and_b32_e32 v19, 0x3c3, v27
	s_wait_loadcnt 0x0
	v_and_b32_e32 v16, 28, v16
	s_delay_alu instid0(VALU_DEP_2) | instskip(SKIP_1) | instid1(SALU_CYCLE_1)
	v_cmpx_ne_u32_e32 64, v19
	s_xor_b32 s0, exec_lo, s0
	s_or_saveexec_b32 s0, s0
	s_wait_dscnt 0x0
	v_pk_add_f32 v[12:13], v[12:13], v[14:15]
	scratch_load_b32 v14, off, s32 offset:700 th:TH_LOAD_LU ; 4-byte Folded Reload
	v_add_nc_u32_e32 v15, v18, v16
	scratch_load_b32 v16, off, s32 offset:704 th:TH_LOAD_LU ; 4-byte Folded Reload
	s_wait_loadcnt 0x1
	v_lshrrev_b32_e32 v14, 2, v14
	s_wait_loadcnt 0x0
	v_mul_u32_u24_e32 v16, 0x1c0, v16
	s_xor_b32 exec_lo, exec_lo, s0
	s_cbranch_execz .LBB364_1861
; %bb.1860:
	s_delay_alu instid0(VALU_DEP_1) | instskip(NEXT) | instid1(VALU_DEP_1)
	v_add_nc_u32_e32 v17, v15, v16
	v_add_nc_u32_e32 v19, 0xfffffc80, v17
	;; [unrolled: 1-line block ×9, first 2 shown]
	ds_store_b32 v19, v10
	ds_store_b32 v20, v11
	;; [unrolled: 1-line block ×8, first 2 shown]
	v_add_nc_u32_e32 v19, 0xfffffd80, v17
	v_add_nc_u32_e32 v20, 0xfffffda0, v17
	;; [unrolled: 1-line block ×6, first 2 shown]
	ds_store_b32 v19, v2
	ds_store_b32 v20, v3
	;; [unrolled: 1-line block ×6, first 2 shown]
.LBB364_1861:
	s_or_b32 exec_lo, exec_lo, s0
	v_lshlrev_b32_e32 v14, 2, v14
	s_mov_b32 s1, exec_lo
	v_cmp_eq_u32_e32 vcc_lo, 0, v38
	s_wait_dscnt 0x0
	s_barrier_signal -1
	v_add3_u32 v14, v18, v16, v14
	s_barrier_wait -1
	v_cmpx_gt_u32_e32 64, v27
	s_cbranch_execz .LBB364_1878
; %bb.1862:
	s_and_saveexec_b32 s0, vcc_lo
	s_cbranch_execnz .LBB364_1900
; %bb.1863:
	s_or_b32 exec_lo, exec_lo, s0
	s_and_saveexec_b32 s0, vcc_lo
	s_cbranch_execnz .LBB364_1901
.LBB364_1864:
	s_or_b32 exec_lo, exec_lo, s0
	s_and_saveexec_b32 s0, vcc_lo
	s_cbranch_execnz .LBB364_1902
.LBB364_1865:
	s_or_b32 exec_lo, exec_lo, s0
	s_and_saveexec_b32 s0, vcc_lo
	s_cbranch_execnz .LBB364_1903
.LBB364_1866:
	s_or_b32 exec_lo, exec_lo, s0
	s_and_saveexec_b32 s0, vcc_lo
	s_cbranch_execnz .LBB364_1904
.LBB364_1867:
	s_or_b32 exec_lo, exec_lo, s0
	s_and_saveexec_b32 s0, vcc_lo
	s_cbranch_execnz .LBB364_1905
.LBB364_1868:
	s_or_b32 exec_lo, exec_lo, s0
	s_and_saveexec_b32 s0, vcc_lo
	s_cbranch_execnz .LBB364_1906
.LBB364_1869:
	s_or_b32 exec_lo, exec_lo, s0
	s_and_saveexec_b32 s0, vcc_lo
	s_cbranch_execnz .LBB364_1907
.LBB364_1870:
	s_or_b32 exec_lo, exec_lo, s0
	s_and_saveexec_b32 s0, vcc_lo
	s_cbranch_execnz .LBB364_1908
.LBB364_1871:
	s_or_b32 exec_lo, exec_lo, s0
	s_and_saveexec_b32 s0, vcc_lo
	s_cbranch_execnz .LBB364_1909
.LBB364_1872:
	s_or_b32 exec_lo, exec_lo, s0
	s_and_saveexec_b32 s0, vcc_lo
	s_cbranch_execnz .LBB364_1910
.LBB364_1873:
	s_or_b32 exec_lo, exec_lo, s0
	s_and_saveexec_b32 s0, vcc_lo
	s_cbranch_execnz .LBB364_1911
.LBB364_1874:
	s_or_b32 exec_lo, exec_lo, s0
	s_and_saveexec_b32 s0, vcc_lo
	s_cbranch_execnz .LBB364_1912
.LBB364_1875:
	s_or_b32 exec_lo, exec_lo, s0
	s_and_saveexec_b32 s0, vcc_lo
	s_cbranch_execz .LBB364_1877
.LBB364_1876:
	ds_load_b32 v16, v14 offset:416
	s_wait_dscnt 0x0
	v_add_f32_e32 v13, v16, v13
.LBB364_1877:
	s_or_b32 exec_lo, exec_lo, s0
.LBB364_1878:
	s_delay_alu instid0(SALU_CYCLE_1) | instskip(SKIP_4) | instid1(VALU_DEP_1)
	s_or_b32 exec_lo, exec_lo, s1
	v_and_b32_e32 v16, 0x3e3, v27
	s_mov_b32 s1, exec_lo
	s_barrier_signal -1
	s_barrier_wait -1
	v_cmpx_eq_u32_e32 32, v16
	s_cbranch_execz .LBB364_1880
; %bb.1879:
	ds_store_2addr_b32 v15, v10, v11 offset1:8
	ds_store_2addr_b32 v15, v8, v9 offset0:16 offset1:24
	ds_store_2addr_b32 v15, v6, v7 offset0:32 offset1:40
	;; [unrolled: 1-line block ×6, first 2 shown]
.LBB364_1880:
	s_or_b32 exec_lo, exec_lo, s1
	s_delay_alu instid0(SALU_CYCLE_1)
	s_mov_b32 s1, exec_lo
	s_wait_dscnt 0x0
	s_barrier_signal -1
	s_barrier_wait -1
	v_cmpx_gt_u32_e32 32, v27
	s_cbranch_execz .LBB364_1897
; %bb.1881:
	s_and_saveexec_b32 s0, vcc_lo
	s_cbranch_execnz .LBB364_1913
; %bb.1882:
	s_or_b32 exec_lo, exec_lo, s0
	s_and_saveexec_b32 s0, vcc_lo
	s_cbranch_execnz .LBB364_1914
.LBB364_1883:
	s_or_b32 exec_lo, exec_lo, s0
	s_and_saveexec_b32 s0, vcc_lo
	s_cbranch_execnz .LBB364_1915
.LBB364_1884:
	s_or_b32 exec_lo, exec_lo, s0
	s_and_saveexec_b32 s0, vcc_lo
	s_cbranch_execnz .LBB364_1916
.LBB364_1885:
	s_or_b32 exec_lo, exec_lo, s0
	s_and_saveexec_b32 s0, vcc_lo
	s_cbranch_execnz .LBB364_1917
.LBB364_1886:
	s_or_b32 exec_lo, exec_lo, s0
	s_and_saveexec_b32 s0, vcc_lo
	s_cbranch_execnz .LBB364_1918
.LBB364_1887:
	s_or_b32 exec_lo, exec_lo, s0
	s_and_saveexec_b32 s0, vcc_lo
	s_cbranch_execnz .LBB364_1919
.LBB364_1888:
	s_or_b32 exec_lo, exec_lo, s0
	s_and_saveexec_b32 s0, vcc_lo
	s_cbranch_execnz .LBB364_1920
.LBB364_1889:
	s_or_b32 exec_lo, exec_lo, s0
	s_and_saveexec_b32 s0, vcc_lo
	s_cbranch_execnz .LBB364_1921
.LBB364_1890:
	s_or_b32 exec_lo, exec_lo, s0
	s_and_saveexec_b32 s0, vcc_lo
	s_cbranch_execnz .LBB364_1922
.LBB364_1891:
	s_or_b32 exec_lo, exec_lo, s0
	s_and_saveexec_b32 s0, vcc_lo
	s_cbranch_execnz .LBB364_1923
.LBB364_1892:
	s_or_b32 exec_lo, exec_lo, s0
	s_and_saveexec_b32 s0, vcc_lo
	s_cbranch_execnz .LBB364_1924
.LBB364_1893:
	s_or_b32 exec_lo, exec_lo, s0
	s_and_saveexec_b32 s0, vcc_lo
	s_cbranch_execnz .LBB364_1925
.LBB364_1894:
	s_or_b32 exec_lo, exec_lo, s0
	s_and_saveexec_b32 s0, vcc_lo
	s_cbranch_execz .LBB364_1896
.LBB364_1895:
	ds_load_b32 v14, v14 offset:416
	s_wait_dscnt 0x0
	v_add_f32_e32 v13, v14, v13
.LBB364_1896:
	s_or_b32 exec_lo, exec_lo, s0
.LBB364_1897:
	s_delay_alu instid0(SALU_CYCLE_1)
	s_or_b32 exec_lo, exec_lo, s1
	s_mov_b32 s1, 0
	s_mov_b32 s2, exec_lo
	s_barrier_signal -1
	s_barrier_wait -1
	v_cmpx_eq_u32_e32 0, v16
	s_cbranch_execz .LBB364_1899
; %bb.1898:
	scratch_load_b64 v[14:15], off, s32 offset:712 th:TH_LOAD_LU ; 8-byte Folded Reload
	s_and_b32 s0, 0xffff, s13
	v_dual_mov_b32 v17, 0 :: v_dual_lshrrev_b32 v16, 1, v27
	s_cmp_lg_u32 s0, 0
	s_cselect_b32 s0, -1, 0
	s_delay_alu instid0(SALU_CYCLE_1)
	s_cmp_lg_u32 s0, 0
	s_wait_kmcnt 0x0
	s_add_co_ci_u32 s0, s5, 0
	s_bfe_u32 s8, ttmp6, 0x40014
	s_mul_i32 s5, s0, s11
	s_lshr_b32 s3, ttmp7, 16
	s_mul_i32 s5, s5, s12
	s_add_co_i32 s8, s8, 1
	s_mul_i32 s6, s5, 0x70
	s_bfe_u32 s9, ttmp6, 0x40008
	s_ashr_i32 s7, s6, 31
	s_mul_i32 s4, s4, s0
	s_mul_i32 s0, s3, s8
	s_ashr_i32 s5, s4, 31
	s_add_co_i32 s9, s9, s0
	s_cmp_eq_u32 s10, 0
	s_cselect_b32 s0, s3, s9
	s_delay_alu instid0(SALU_CYCLE_1) | instskip(NEXT) | instid1(SALU_CYCLE_1)
	s_mulk_i32 s0, 0xe0
	v_cvt_pk_bf16_f32 v18, v10, s0
	v_cvt_pk_bf16_f32 v19, v11, s0
	;; [unrolled: 1-line block ×12, first 2 shown]
	s_wait_loadcnt 0x0
	v_lshl_add_u64 v[14:15], s[6:7], 1, v[14:15]
	s_delay_alu instid0(VALU_DEP_1) | instskip(NEXT) | instid1(VALU_DEP_1)
	v_lshl_add_u64 v[14:15], s[4:5], 1, v[14:15]
	v_add_nc_u64_e32 v[14:15], s[0:1], v[14:15]
	s_delay_alu instid0(VALU_DEP_1)
	v_add_nc_u64_e32 v[10:11], v[14:15], v[16:17]
	s_clause 0x7
	flat_store_b16 v[10:11], v18
	flat_store_b16 v[10:11], v19 offset:16
	flat_store_b16 v[10:11], v8 offset:32
	;; [unrolled: 1-line block ×7, first 2 shown]
	s_wait_xcnt 0x1
	v_cvt_pk_bf16_f32 v4, v12, s0
	s_wait_xcnt 0x0
	v_cvt_pk_bf16_f32 v5, v13, s0
	s_clause 0x5
	flat_store_b16 v[10:11], v2 offset:128
	flat_store_b16 v[10:11], v3 offset:144
	;; [unrolled: 1-line block ×6, first 2 shown]
.LBB364_1899:
	s_wait_xcnt 0x0
	s_or_b32 exec_lo, exec_lo, s2
	s_clause 0x2f
	scratch_load_b32 v127, off, s32
	scratch_load_b32 v126, off, s32 offset:4
	scratch_load_b32 v125, off, s32 offset:8
	;; [unrolled: 1-line block ×47, first 2 shown]
	s_wait_loadcnt_dscnt 0x0
	s_wait_kmcnt 0x0
	s_set_pc_i64 s[30:31]
.LBB364_1900:
	ds_load_b32 v16, v14
	s_wait_dscnt 0x0
	v_add_f32_e32 v10, v16, v10
	s_or_b32 exec_lo, exec_lo, s0
	s_and_saveexec_b32 s0, vcc_lo
	s_cbranch_execz .LBB364_1864
.LBB364_1901:
	ds_load_b32 v16, v14 offset:32
	s_wait_dscnt 0x0
	v_add_f32_e32 v11, v16, v11
	s_or_b32 exec_lo, exec_lo, s0
	s_and_saveexec_b32 s0, vcc_lo
	s_cbranch_execz .LBB364_1865
.LBB364_1902:
	ds_load_b32 v16, v14 offset:64
	s_wait_dscnt 0x0
	v_add_f32_e32 v8, v16, v8
	s_or_b32 exec_lo, exec_lo, s0
	s_and_saveexec_b32 s0, vcc_lo
	s_cbranch_execz .LBB364_1866
.LBB364_1903:
	ds_load_b32 v16, v14 offset:96
	s_wait_dscnt 0x0
	v_add_f32_e32 v9, v16, v9
	s_or_b32 exec_lo, exec_lo, s0
	s_and_saveexec_b32 s0, vcc_lo
	s_cbranch_execz .LBB364_1867
.LBB364_1904:
	ds_load_b32 v16, v14 offset:128
	s_wait_dscnt 0x0
	v_add_f32_e32 v6, v16, v6
	s_or_b32 exec_lo, exec_lo, s0
	s_and_saveexec_b32 s0, vcc_lo
	s_cbranch_execz .LBB364_1868
.LBB364_1905:
	ds_load_b32 v16, v14 offset:160
	s_wait_dscnt 0x0
	v_add_f32_e32 v7, v16, v7
	s_or_b32 exec_lo, exec_lo, s0
	s_and_saveexec_b32 s0, vcc_lo
	s_cbranch_execz .LBB364_1869
.LBB364_1906:
	ds_load_b32 v16, v14 offset:192
	s_wait_dscnt 0x0
	v_add_f32_e32 v4, v16, v4
	s_or_b32 exec_lo, exec_lo, s0
	s_and_saveexec_b32 s0, vcc_lo
	s_cbranch_execz .LBB364_1870
.LBB364_1907:
	ds_load_b32 v16, v14 offset:224
	s_wait_dscnt 0x0
	v_add_f32_e32 v5, v16, v5
	s_or_b32 exec_lo, exec_lo, s0
	s_and_saveexec_b32 s0, vcc_lo
	s_cbranch_execz .LBB364_1871
.LBB364_1908:
	ds_load_b32 v16, v14 offset:256
	s_wait_dscnt 0x0
	v_add_f32_e32 v2, v16, v2
	s_or_b32 exec_lo, exec_lo, s0
	s_and_saveexec_b32 s0, vcc_lo
	s_cbranch_execz .LBB364_1872
.LBB364_1909:
	ds_load_b32 v16, v14 offset:288
	s_wait_dscnt 0x0
	v_add_f32_e32 v3, v16, v3
	s_or_b32 exec_lo, exec_lo, s0
	s_and_saveexec_b32 s0, vcc_lo
	s_cbranch_execz .LBB364_1873
.LBB364_1910:
	ds_load_b32 v16, v14 offset:320
	s_wait_dscnt 0x0
	v_add_f32_e32 v0, v16, v0
	s_or_b32 exec_lo, exec_lo, s0
	s_and_saveexec_b32 s0, vcc_lo
	s_cbranch_execz .LBB364_1874
.LBB364_1911:
	ds_load_b32 v16, v14 offset:352
	s_wait_dscnt 0x0
	v_add_f32_e32 v1, v16, v1
	s_or_b32 exec_lo, exec_lo, s0
	s_and_saveexec_b32 s0, vcc_lo
	s_cbranch_execz .LBB364_1875
.LBB364_1912:
	ds_load_b32 v16, v14 offset:384
	s_wait_dscnt 0x0
	v_add_f32_e32 v12, v16, v12
	s_or_b32 exec_lo, exec_lo, s0
	s_and_saveexec_b32 s0, vcc_lo
	s_cbranch_execnz .LBB364_1876
	s_branch .LBB364_1877
.LBB364_1913:
	ds_load_b32 v15, v14
	s_wait_dscnt 0x0
	v_add_f32_e32 v10, v15, v10
	s_or_b32 exec_lo, exec_lo, s0
	s_and_saveexec_b32 s0, vcc_lo
	s_cbranch_execz .LBB364_1883
.LBB364_1914:
	ds_load_b32 v15, v14 offset:32
	s_wait_dscnt 0x0
	v_add_f32_e32 v11, v15, v11
	s_or_b32 exec_lo, exec_lo, s0
	s_and_saveexec_b32 s0, vcc_lo
	s_cbranch_execz .LBB364_1884
.LBB364_1915:
	ds_load_b32 v15, v14 offset:64
	s_wait_dscnt 0x0
	v_add_f32_e32 v8, v15, v8
	s_or_b32 exec_lo, exec_lo, s0
	s_and_saveexec_b32 s0, vcc_lo
	s_cbranch_execz .LBB364_1885
.LBB364_1916:
	ds_load_b32 v15, v14 offset:96
	s_wait_dscnt 0x0
	v_add_f32_e32 v9, v15, v9
	s_or_b32 exec_lo, exec_lo, s0
	s_and_saveexec_b32 s0, vcc_lo
	s_cbranch_execz .LBB364_1886
.LBB364_1917:
	ds_load_b32 v15, v14 offset:128
	s_wait_dscnt 0x0
	v_add_f32_e32 v6, v15, v6
	s_or_b32 exec_lo, exec_lo, s0
	s_and_saveexec_b32 s0, vcc_lo
	s_cbranch_execz .LBB364_1887
.LBB364_1918:
	ds_load_b32 v15, v14 offset:160
	s_wait_dscnt 0x0
	v_add_f32_e32 v7, v15, v7
	s_or_b32 exec_lo, exec_lo, s0
	s_and_saveexec_b32 s0, vcc_lo
	s_cbranch_execz .LBB364_1888
.LBB364_1919:
	ds_load_b32 v15, v14 offset:192
	s_wait_dscnt 0x0
	v_add_f32_e32 v4, v15, v4
	s_or_b32 exec_lo, exec_lo, s0
	s_and_saveexec_b32 s0, vcc_lo
	s_cbranch_execz .LBB364_1889
.LBB364_1920:
	ds_load_b32 v15, v14 offset:224
	s_wait_dscnt 0x0
	v_add_f32_e32 v5, v15, v5
	s_or_b32 exec_lo, exec_lo, s0
	s_and_saveexec_b32 s0, vcc_lo
	s_cbranch_execz .LBB364_1890
.LBB364_1921:
	ds_load_b32 v15, v14 offset:256
	s_wait_dscnt 0x0
	v_add_f32_e32 v2, v15, v2
	s_or_b32 exec_lo, exec_lo, s0
	s_and_saveexec_b32 s0, vcc_lo
	s_cbranch_execz .LBB364_1891
.LBB364_1922:
	ds_load_b32 v15, v14 offset:288
	s_wait_dscnt 0x0
	v_add_f32_e32 v3, v15, v3
	s_or_b32 exec_lo, exec_lo, s0
	s_and_saveexec_b32 s0, vcc_lo
	s_cbranch_execz .LBB364_1892
.LBB364_1923:
	ds_load_b32 v15, v14 offset:320
	s_wait_dscnt 0x0
	v_add_f32_e32 v0, v15, v0
	s_or_b32 exec_lo, exec_lo, s0
	s_and_saveexec_b32 s0, vcc_lo
	s_cbranch_execz .LBB364_1893
.LBB364_1924:
	ds_load_b32 v15, v14 offset:352
	s_wait_dscnt 0x0
	v_add_f32_e32 v1, v15, v1
	s_or_b32 exec_lo, exec_lo, s0
	s_and_saveexec_b32 s0, vcc_lo
	s_cbranch_execz .LBB364_1894
.LBB364_1925:
	ds_load_b32 v15, v14 offset:384
	s_wait_dscnt 0x0
	v_add_f32_e32 v12, v15, v12
	s_or_b32 exec_lo, exec_lo, s0
	s_and_saveexec_b32 s0, vcc_lo
	s_cbranch_execnz .LBB364_1895
	s_branch .LBB364_1896
.Lfunc_end364:
	.size	_ZN4vllm22paged_attention_kernelI14__hip_bfloat16hLi112ELi32ELi128ELNS_18Fp8KVCacheDataTypeE1ELb0ELi0EEEvPfS3_PT_PKS4_PKT0_SA_ifPKiSC_iPKfiiiSE_SE_iiiii, .Lfunc_end364-_ZN4vllm22paged_attention_kernelI14__hip_bfloat16hLi112ELi32ELi128ELNS_18Fp8KVCacheDataTypeE1ELb0ELi0EEEvPfS3_PT_PKS4_PKT0_SA_ifPKiSC_iPKfiiiSE_SE_iiiii
                                        ; -- End function
	.set .L_ZN4vllm22paged_attention_kernelI14__hip_bfloat16hLi112ELi32ELi128ELNS_18Fp8KVCacheDataTypeE1ELb0ELi0EEEvPfS3_PT_PKS4_PKT0_SA_ifPKiSC_iPKfiiiSE_SE_iiiii.num_vgpr, 128
	.set .L_ZN4vllm22paged_attention_kernelI14__hip_bfloat16hLi112ELi32ELi128ELNS_18Fp8KVCacheDataTypeE1ELb0ELi0EEEvPfS3_PT_PKS4_PKT0_SA_ifPKiSC_iPKfiiiSE_SE_iiiii.num_agpr, 0
	.set .L_ZN4vllm22paged_attention_kernelI14__hip_bfloat16hLi112ELi32ELi128ELNS_18Fp8KVCacheDataTypeE1ELb0ELi0EEEvPfS3_PT_PKS4_PKT0_SA_ifPKiSC_iPKfiiiSE_SE_iiiii.numbered_sgpr, 33
	.set .L_ZN4vllm22paged_attention_kernelI14__hip_bfloat16hLi112ELi32ELi128ELNS_18Fp8KVCacheDataTypeE1ELb0ELi0EEEvPfS3_PT_PKS4_PKT0_SA_ifPKiSC_iPKfiiiSE_SE_iiiii.num_named_barrier, 0
	.set .L_ZN4vllm22paged_attention_kernelI14__hip_bfloat16hLi112ELi32ELi128ELNS_18Fp8KVCacheDataTypeE1ELb0ELi0EEEvPfS3_PT_PKS4_PKT0_SA_ifPKiSC_iPKfiiiSE_SE_iiiii.private_seg_size, 772
	.set .L_ZN4vllm22paged_attention_kernelI14__hip_bfloat16hLi112ELi32ELi128ELNS_18Fp8KVCacheDataTypeE1ELb0ELi0EEEvPfS3_PT_PKS4_PKT0_SA_ifPKiSC_iPKfiiiSE_SE_iiiii.uses_vcc, 1
	.set .L_ZN4vllm22paged_attention_kernelI14__hip_bfloat16hLi112ELi32ELi128ELNS_18Fp8KVCacheDataTypeE1ELb0ELi0EEEvPfS3_PT_PKS4_PKT0_SA_ifPKiSC_iPKfiiiSE_SE_iiiii.uses_flat_scratch, 1
	.set .L_ZN4vllm22paged_attention_kernelI14__hip_bfloat16hLi112ELi32ELi128ELNS_18Fp8KVCacheDataTypeE1ELb0ELi0EEEvPfS3_PT_PKS4_PKT0_SA_ifPKiSC_iPKfiiiSE_SE_iiiii.has_dyn_sized_stack, 0
	.set .L_ZN4vllm22paged_attention_kernelI14__hip_bfloat16hLi112ELi32ELi128ELNS_18Fp8KVCacheDataTypeE1ELb0ELi0EEEvPfS3_PT_PKS4_PKT0_SA_ifPKiSC_iPKfiiiSE_SE_iiiii.has_recursion, 0
	.set .L_ZN4vllm22paged_attention_kernelI14__hip_bfloat16hLi112ELi32ELi128ELNS_18Fp8KVCacheDataTypeE1ELb0ELi0EEEvPfS3_PT_PKS4_PKT0_SA_ifPKiSC_iPKfiiiSE_SE_iiiii.has_indirect_call, 0
	.section	.AMDGPU.csdata,"",@progbits
; Function info:
; codeLenInByte = 68536
; TotalNumSgprs: 35
; NumVgprs: 128
; ScratchSize: 772
; MemoryBound: 0
	.section	.text._ZN4vllm25paged_attention_v1_kernelI14__hip_bfloat16hLi112ELi32ELi128ELNS_18Fp8KVCacheDataTypeE1ELb0EEEvPT_PKS3_PKT0_S9_ifPKiSB_iPKfiiiSD_SD_iiiii,"axG",@progbits,_ZN4vllm25paged_attention_v1_kernelI14__hip_bfloat16hLi112ELi32ELi128ELNS_18Fp8KVCacheDataTypeE1ELb0EEEvPT_PKS3_PKT0_S9_ifPKiSB_iPKfiiiSD_SD_iiiii,comdat
	.protected	_ZN4vllm25paged_attention_v1_kernelI14__hip_bfloat16hLi112ELi32ELi128ELNS_18Fp8KVCacheDataTypeE1ELb0EEEvPT_PKS3_PKT0_S9_ifPKiSB_iPKfiiiSD_SD_iiiii ; -- Begin function _ZN4vllm25paged_attention_v1_kernelI14__hip_bfloat16hLi112ELi32ELi128ELNS_18Fp8KVCacheDataTypeE1ELb0EEEvPT_PKS3_PKT0_S9_ifPKiSB_iPKfiiiSD_SD_iiiii
	.globl	_ZN4vllm25paged_attention_v1_kernelI14__hip_bfloat16hLi112ELi32ELi128ELNS_18Fp8KVCacheDataTypeE1ELb0EEEvPT_PKS3_PKT0_S9_ifPKiSB_iPKfiiiSD_SD_iiiii
	.p2align	8
	.type	_ZN4vllm25paged_attention_v1_kernelI14__hip_bfloat16hLi112ELi32ELi128ELNS_18Fp8KVCacheDataTypeE1ELb0EEEvPT_PKS3_PKT0_S9_ifPKiSB_iPKfiiiSD_SD_iiiii,@function
_ZN4vllm25paged_attention_v1_kernelI14__hip_bfloat16hLi112ELi32ELi128ELNS_18Fp8KVCacheDataTypeE1ELb0EEEvPT_PKS3_PKT0_S9_ifPKiSB_iPKfiiiSD_SD_iiiii: ; @_ZN4vllm25paged_attention_v1_kernelI14__hip_bfloat16hLi112ELi32ELi128ELNS_18Fp8KVCacheDataTypeE1ELb0EEEvPT_PKS3_PKT0_S9_ifPKiSB_iPKfiiiSD_SD_iiiii
; %bb.0:
	s_clause 0x5
	s_load_b256 s[12:19], s[0:1], 0x0
	s_load_b128 s[4:7], s[0:1], 0x20
	s_load_b96 s[20:22], s[0:1], 0x30
	s_load_b64 s[10:11], s[0:1], 0x40
	s_load_b96 s[28:30], s[0:1], 0x48
	s_load_b128 s[24:27], s[0:1], 0x58
	v_mov_b32_e32 v31, v0
	s_get_pc_i64 s[2:3]
	s_add_nc_u64 s[2:3], s[2:3], _ZN4vllm22paged_attention_kernelI14__hip_bfloat16hLi112ELi32ELi128ELNS_18Fp8KVCacheDataTypeE1ELb0ELi0EEEvPfS3_PT_PKS4_PKT0_SA_ifPKiSC_iPKfiiiSE_SE_iiiii@rel64+4
	s_add_nc_u64 s[8:9], s[0:1], 0x80
	s_mov_b32 s32, 0
	s_wait_kmcnt 0x0
	v_dual_mov_b32 v0, s12 :: v_dual_mov_b32 v1, s13
	v_dual_mov_b32 v2, s14 :: v_dual_mov_b32 v3, s15
	;; [unrolled: 1-line block ×12, first 2 shown]
	s_mov_b32 s15, 0
	s_swap_pc_i64 s[30:31], s[2:3]
	s_endpgm
	.section	.rodata,"a",@progbits
	.p2align	6, 0x0
	.amdhsa_kernel _ZN4vllm25paged_attention_v1_kernelI14__hip_bfloat16hLi112ELi32ELi128ELNS_18Fp8KVCacheDataTypeE1ELb0EEEvPT_PKS3_PKT0_S9_ifPKiSB_iPKfiiiSD_SD_iiiii
		.amdhsa_group_segment_fixed_size 256
		.amdhsa_private_segment_fixed_size 772
		.amdhsa_kernarg_size 384
		.amdhsa_user_sgpr_count 2
		.amdhsa_user_sgpr_dispatch_ptr 0
		.amdhsa_user_sgpr_queue_ptr 0
		.amdhsa_user_sgpr_kernarg_segment_ptr 1
		.amdhsa_user_sgpr_dispatch_id 0
		.amdhsa_user_sgpr_kernarg_preload_length 0
		.amdhsa_user_sgpr_kernarg_preload_offset 0
		.amdhsa_user_sgpr_private_segment_size 0
		.amdhsa_wavefront_size32 1
		.amdhsa_uses_dynamic_stack 0
		.amdhsa_enable_private_segment 1
		.amdhsa_system_sgpr_workgroup_id_x 1
		.amdhsa_system_sgpr_workgroup_id_y 1
		.amdhsa_system_sgpr_workgroup_id_z 1
		.amdhsa_system_sgpr_workgroup_info 0
		.amdhsa_system_vgpr_workitem_id 0
		.amdhsa_next_free_vgpr 128
		.amdhsa_next_free_sgpr 33
		.amdhsa_named_barrier_count 0
		.amdhsa_reserve_vcc 1
		.amdhsa_float_round_mode_32 0
		.amdhsa_float_round_mode_16_64 0
		.amdhsa_float_denorm_mode_32 3
		.amdhsa_float_denorm_mode_16_64 3
		.amdhsa_fp16_overflow 0
		.amdhsa_memory_ordered 1
		.amdhsa_forward_progress 1
		.amdhsa_inst_pref_size 2
		.amdhsa_round_robin_scheduling 0
		.amdhsa_exception_fp_ieee_invalid_op 0
		.amdhsa_exception_fp_denorm_src 0
		.amdhsa_exception_fp_ieee_div_zero 0
		.amdhsa_exception_fp_ieee_overflow 0
		.amdhsa_exception_fp_ieee_underflow 0
		.amdhsa_exception_fp_ieee_inexact 0
		.amdhsa_exception_int_div_zero 0
	.end_amdhsa_kernel
	.section	.text._ZN4vllm25paged_attention_v1_kernelI14__hip_bfloat16hLi112ELi32ELi128ELNS_18Fp8KVCacheDataTypeE1ELb0EEEvPT_PKS3_PKT0_S9_ifPKiSB_iPKfiiiSD_SD_iiiii,"axG",@progbits,_ZN4vllm25paged_attention_v1_kernelI14__hip_bfloat16hLi112ELi32ELi128ELNS_18Fp8KVCacheDataTypeE1ELb0EEEvPT_PKS3_PKT0_S9_ifPKiSB_iPKfiiiSD_SD_iiiii,comdat
.Lfunc_end365:
	.size	_ZN4vllm25paged_attention_v1_kernelI14__hip_bfloat16hLi112ELi32ELi128ELNS_18Fp8KVCacheDataTypeE1ELb0EEEvPT_PKS3_PKT0_S9_ifPKiSB_iPKfiiiSD_SD_iiiii, .Lfunc_end365-_ZN4vllm25paged_attention_v1_kernelI14__hip_bfloat16hLi112ELi32ELi128ELNS_18Fp8KVCacheDataTypeE1ELb0EEEvPT_PKS3_PKT0_S9_ifPKiSB_iPKfiiiSD_SD_iiiii
                                        ; -- End function
	.set _ZN4vllm25paged_attention_v1_kernelI14__hip_bfloat16hLi112ELi32ELi128ELNS_18Fp8KVCacheDataTypeE1ELb0EEEvPT_PKS3_PKT0_S9_ifPKiSB_iPKfiiiSD_SD_iiiii.num_vgpr, max(32, .L_ZN4vllm22paged_attention_kernelI14__hip_bfloat16hLi112ELi32ELi128ELNS_18Fp8KVCacheDataTypeE1ELb0ELi0EEEvPfS3_PT_PKS4_PKT0_SA_ifPKiSC_iPKfiiiSE_SE_iiiii.num_vgpr)
	.set _ZN4vllm25paged_attention_v1_kernelI14__hip_bfloat16hLi112ELi32ELi128ELNS_18Fp8KVCacheDataTypeE1ELb0EEEvPT_PKS3_PKT0_S9_ifPKiSB_iPKfiiiSD_SD_iiiii.num_agpr, max(0, .L_ZN4vllm22paged_attention_kernelI14__hip_bfloat16hLi112ELi32ELi128ELNS_18Fp8KVCacheDataTypeE1ELb0ELi0EEEvPfS3_PT_PKS4_PKT0_SA_ifPKiSC_iPKfiiiSE_SE_iiiii.num_agpr)
	.set _ZN4vllm25paged_attention_v1_kernelI14__hip_bfloat16hLi112ELi32ELi128ELNS_18Fp8KVCacheDataTypeE1ELb0EEEvPT_PKS3_PKT0_S9_ifPKiSB_iPKfiiiSD_SD_iiiii.numbered_sgpr, max(33, .L_ZN4vllm22paged_attention_kernelI14__hip_bfloat16hLi112ELi32ELi128ELNS_18Fp8KVCacheDataTypeE1ELb0ELi0EEEvPfS3_PT_PKS4_PKT0_SA_ifPKiSC_iPKfiiiSE_SE_iiiii.numbered_sgpr)
	.set _ZN4vllm25paged_attention_v1_kernelI14__hip_bfloat16hLi112ELi32ELi128ELNS_18Fp8KVCacheDataTypeE1ELb0EEEvPT_PKS3_PKT0_S9_ifPKiSB_iPKfiiiSD_SD_iiiii.num_named_barrier, max(0, .L_ZN4vllm22paged_attention_kernelI14__hip_bfloat16hLi112ELi32ELi128ELNS_18Fp8KVCacheDataTypeE1ELb0ELi0EEEvPfS3_PT_PKS4_PKT0_SA_ifPKiSC_iPKfiiiSE_SE_iiiii.num_named_barrier)
	.set _ZN4vllm25paged_attention_v1_kernelI14__hip_bfloat16hLi112ELi32ELi128ELNS_18Fp8KVCacheDataTypeE1ELb0EEEvPT_PKS3_PKT0_S9_ifPKiSB_iPKfiiiSD_SD_iiiii.private_seg_size, 0+max(.L_ZN4vllm22paged_attention_kernelI14__hip_bfloat16hLi112ELi32ELi128ELNS_18Fp8KVCacheDataTypeE1ELb0ELi0EEEvPfS3_PT_PKS4_PKT0_SA_ifPKiSC_iPKfiiiSE_SE_iiiii.private_seg_size)
	.set _ZN4vllm25paged_attention_v1_kernelI14__hip_bfloat16hLi112ELi32ELi128ELNS_18Fp8KVCacheDataTypeE1ELb0EEEvPT_PKS3_PKT0_S9_ifPKiSB_iPKfiiiSD_SD_iiiii.uses_vcc, or(1, .L_ZN4vllm22paged_attention_kernelI14__hip_bfloat16hLi112ELi32ELi128ELNS_18Fp8KVCacheDataTypeE1ELb0ELi0EEEvPfS3_PT_PKS4_PKT0_SA_ifPKiSC_iPKfiiiSE_SE_iiiii.uses_vcc)
	.set _ZN4vllm25paged_attention_v1_kernelI14__hip_bfloat16hLi112ELi32ELi128ELNS_18Fp8KVCacheDataTypeE1ELb0EEEvPT_PKS3_PKT0_S9_ifPKiSB_iPKfiiiSD_SD_iiiii.uses_flat_scratch, or(0, .L_ZN4vllm22paged_attention_kernelI14__hip_bfloat16hLi112ELi32ELi128ELNS_18Fp8KVCacheDataTypeE1ELb0ELi0EEEvPfS3_PT_PKS4_PKT0_SA_ifPKiSC_iPKfiiiSE_SE_iiiii.uses_flat_scratch)
	.set _ZN4vllm25paged_attention_v1_kernelI14__hip_bfloat16hLi112ELi32ELi128ELNS_18Fp8KVCacheDataTypeE1ELb0EEEvPT_PKS3_PKT0_S9_ifPKiSB_iPKfiiiSD_SD_iiiii.has_dyn_sized_stack, or(0, .L_ZN4vllm22paged_attention_kernelI14__hip_bfloat16hLi112ELi32ELi128ELNS_18Fp8KVCacheDataTypeE1ELb0ELi0EEEvPfS3_PT_PKS4_PKT0_SA_ifPKiSC_iPKfiiiSE_SE_iiiii.has_dyn_sized_stack)
	.set _ZN4vllm25paged_attention_v1_kernelI14__hip_bfloat16hLi112ELi32ELi128ELNS_18Fp8KVCacheDataTypeE1ELb0EEEvPT_PKS3_PKT0_S9_ifPKiSB_iPKfiiiSD_SD_iiiii.has_recursion, or(0, .L_ZN4vllm22paged_attention_kernelI14__hip_bfloat16hLi112ELi32ELi128ELNS_18Fp8KVCacheDataTypeE1ELb0ELi0EEEvPfS3_PT_PKS4_PKT0_SA_ifPKiSC_iPKfiiiSE_SE_iiiii.has_recursion)
	.set _ZN4vllm25paged_attention_v1_kernelI14__hip_bfloat16hLi112ELi32ELi128ELNS_18Fp8KVCacheDataTypeE1ELb0EEEvPT_PKS3_PKT0_S9_ifPKiSB_iPKfiiiSD_SD_iiiii.has_indirect_call, or(0, .L_ZN4vllm22paged_attention_kernelI14__hip_bfloat16hLi112ELi32ELi128ELNS_18Fp8KVCacheDataTypeE1ELb0ELi0EEEvPfS3_PT_PKS4_PKT0_SA_ifPKiSC_iPKfiiiSE_SE_iiiii.has_indirect_call)
	.section	.AMDGPU.csdata,"",@progbits
; Kernel info:
; codeLenInByte = 196
; TotalNumSgprs: 35
; NumVgprs: 128
; ScratchSize: 772
; MemoryBound: 0
; FloatMode: 240
; IeeeMode: 1
; LDSByteSize: 256 bytes/workgroup (compile time only)
; SGPRBlocks: 0
; VGPRBlocks: 7
; NumSGPRsForWavesPerEU: 35
; NumVGPRsForWavesPerEU: 128
; NamedBarCnt: 0
; Occupancy: 8
; WaveLimiterHint : 1
; COMPUTE_PGM_RSRC2:SCRATCH_EN: 1
; COMPUTE_PGM_RSRC2:USER_SGPR: 2
; COMPUTE_PGM_RSRC2:TRAP_HANDLER: 0
; COMPUTE_PGM_RSRC2:TGID_X_EN: 1
; COMPUTE_PGM_RSRC2:TGID_Y_EN: 1
; COMPUTE_PGM_RSRC2:TGID_Z_EN: 1
; COMPUTE_PGM_RSRC2:TIDIG_COMP_CNT: 0
	.text
	.p2align	2                               ; -- Begin function _ZN4vllm22paged_attention_kernelI14__hip_bfloat16hLi120ELi32ELi128ELNS_18Fp8KVCacheDataTypeE1ELb0ELi0EEEvPfS3_PT_PKS4_PKT0_SA_ifPKiSC_iPKfiiiSE_SE_iiiii
	.type	_ZN4vllm22paged_attention_kernelI14__hip_bfloat16hLi120ELi32ELi128ELNS_18Fp8KVCacheDataTypeE1ELb0ELi0EEEvPfS3_PT_PKS4_PKT0_SA_ifPKiSC_iPKfiiiSE_SE_iiiii,@function
_ZN4vllm22paged_attention_kernelI14__hip_bfloat16hLi120ELi32ELi128ELNS_18Fp8KVCacheDataTypeE1ELb0ELi0EEEvPfS3_PT_PKS4_PKT0_SA_ifPKiSC_iPKfiiiSE_SE_iiiii: ; @_ZN4vllm22paged_attention_kernelI14__hip_bfloat16hLi120ELi32ELi128ELNS_18Fp8KVCacheDataTypeE1ELb0ELi0EEEvPfS3_PT_PKS4_PKT0_SA_ifPKiSC_iPKfiiiSE_SE_iiiii
; %bb.0:
	s_wait_loadcnt_dscnt 0x0
	s_wait_kmcnt 0x0
	s_clause 0x2f
	scratch_store_b32 off, v40, s32 offset:188
	; meta instruction
	scratch_store_b32 off, v41, s32 offset:184
	; meta instruction
	;; [unrolled: 2-line block ×47, first 2 shown]
	scratch_store_b32 off, v127, s32
	s_bfe_u32 s0, ttmp6, 0x4000c
	s_bfe_u32 s2, ttmp6, 0x40010
	s_add_co_i32 s0, s0, 1
	s_and_b32 s1, ttmp6, 15
	s_mul_i32 s0, ttmp9, s0
	s_and_b32 s3, ttmp7, 0xffff
	s_add_co_i32 s2, s2, 1
	s_add_co_i32 s0, s1, s0
	s_mul_i32 s1, s3, s2
	s_bfe_u32 s2, ttmp6, 0x40004
	s_getreg_b32 s10, hwreg(HW_REG_IB_STS2, 6, 4)
	s_add_co_i32 s2, s2, s1
	s_cmp_eq_u32 s10, 0
	s_mov_b32 s1, 0
	s_cselect_b32 s11, s3, s2
	s_cselect_b32 s2, ttmp9, s0
	s_lshl_b32 s0, s11, 2
	s_clause 0x6
	scratch_store_b64 off, v[22:23], s32 offset:836
	scratch_store_b64 off, v[20:21], s32 offset:260
	;; [unrolled: 1-line block ×4, first 2 shown]
	scratch_store_b32 off, v9, s32 offset:268
	scratch_store_b64 off, v[6:7], s32 offset:844
	scratch_store_b64 off, v[0:1], s32 offset:828
	s_wait_xcnt 0x1
	v_add_nc_u64_e32 v[6:7], s[0:1], v[12:13]
	s_wait_xcnt 0x0
	v_mov_b32_e32 v1, 0
	s_clause 0x1
	s_load_u16 s0, s[8:9], 0x12
	s_load_b32 s3, s[8:9], 0x0
	v_dual_mov_b32 v25, v16 :: v_dual_mov_b32 v24, v15
	s_mov_b32 s6, s15
	flat_load_b32 v34, v[6:7]
	s_wait_xcnt 0x0
	v_sub_nc_u32_e32 v6, 0, v8
	global_load_u16 v0, v1, s[8:9] offset:22
	s_mov_b32 s4, exec_lo
	v_max_i32_e32 v6, v8, v6
	s_delay_alu instid0(VALU_DEP_1) | instskip(SKIP_2) | instid1(VALU_DEP_1)
	v_cvt_f32_u32_e32 v7, v6
	s_wait_kmcnt 0x0
	s_cmp_lg_u32 s0, 0
	v_rcp_iflag_f32_e32 v7, v7
	s_cselect_b32 s0, -1, 0
	s_delay_alu instid0(SALU_CYCLE_1) | instskip(SKIP_2) | instid1(TRANS32_DEP_1)
	s_cmp_lg_u32 s0, 0
	s_add_co_ci_u32 s12, s3, 0
	v_nop
	v_mul_f32_e32 v7, 0x4f7ffffe, v7
	v_sub_nc_u32_e32 v9, 0, v6
	s_abs_i32 s0, s12
	v_xor_b32_e32 v8, s12, v8
	s_delay_alu instid0(VALU_DEP_3) | instskip(NEXT) | instid1(VALU_DEP_2)
	v_cvt_u32_f32_e32 v7, v7
	v_ashrrev_i32_e32 v8, 31, v8
	s_delay_alu instid0(VALU_DEP_2) | instskip(NEXT) | instid1(VALU_DEP_1)
	v_mul_lo_u32 v9, v9, v7
	v_mul_hi_u32 v9, v7, v9
	s_delay_alu instid0(VALU_DEP_1) | instskip(NEXT) | instid1(VALU_DEP_1)
	v_add_nc_u32_e32 v7, v7, v9
	v_mul_hi_u32 v7, s0, v7
	s_delay_alu instid0(VALU_DEP_1) | instskip(NEXT) | instid1(VALU_DEP_1)
	v_mul_lo_u32 v9, v7, v6
	v_dual_add_nc_u32 v10, 1, v7 :: v_dual_sub_nc_u32 v9, s0, v9
	s_abs_i32 s0, s2
	s_delay_alu instid0(VALU_DEP_1) | instskip(SKIP_1) | instid1(VALU_DEP_2)
	v_sub_nc_u32_e32 v11, v9, v6
	v_cmp_ge_u32_e32 vcc_lo, v9, v6
	v_dual_cndmask_b32 v7, v7, v10, vcc_lo :: v_dual_cndmask_b32 v9, v9, v11, vcc_lo
	s_delay_alu instid0(VALU_DEP_1) | instskip(NEXT) | instid1(VALU_DEP_2)
	v_add_nc_u32_e32 v10, 1, v7
	v_cmp_ge_u32_e32 vcc_lo, v9, v6
	s_delay_alu instid0(VALU_DEP_2) | instskip(NEXT) | instid1(VALU_DEP_1)
	v_cndmask_b32_e32 v6, v7, v10, vcc_lo
	v_xor_b32_e32 v6, v6, v8
	s_delay_alu instid0(VALU_DEP_1) | instskip(NEXT) | instid1(VALU_DEP_1)
	v_sub_nc_u32_e32 v7, v6, v8
	v_sub_nc_u32_e32 v6, 0, v7
	s_delay_alu instid0(VALU_DEP_1) | instskip(NEXT) | instid1(VALU_DEP_1)
	v_max_i32_e32 v6, v7, v6
	v_cvt_f32_u32_e32 v8, v6
	v_sub_nc_u32_e32 v9, 0, v6
	s_delay_alu instid0(VALU_DEP_2) | instskip(SKIP_1) | instid1(TRANS32_DEP_1)
	v_rcp_iflag_f32_e32 v8, v8
	v_nop
	v_mul_f32_e32 v8, 0x4f7ffffe, v8
	s_delay_alu instid0(VALU_DEP_1) | instskip(NEXT) | instid1(VALU_DEP_1)
	v_cvt_u32_f32_e32 v8, v8
	v_mul_lo_u32 v9, v9, v8
	s_delay_alu instid0(VALU_DEP_1) | instskip(SKIP_2) | instid1(VALU_DEP_2)
	v_mul_hi_u32 v9, v8, v9
	s_wait_loadcnt 0x0
	v_readfirstlane_b32 s13, v0
	v_dual_add_nc_u32 v0, v8, v9 :: v_dual_mov_b32 v8, v1
	scratch_store_b32 off, v8, s32 offset:256 ; 4-byte Folded Spill
	s_wait_xcnt 0x0
	v_cmpx_ne_u64_e32 0, v[24:25]
	s_cbranch_execz .LBB366_2
; %bb.1:
	s_ashr_i32 s3, s2, 31
	s_delay_alu instid0(SALU_CYCLE_1)
	v_lshl_add_u64 v[8:9], s[2:3], 2, v[24:25]
	flat_load_b32 v8, v[8:9]
	s_wait_loadcnt_dscnt 0x0
	scratch_store_b32 off, v8, s32 offset:256 ; 4-byte Folded Spill
.LBB366_2:
	s_wait_xcnt 0x0
	s_or_b32 exec_lo, exec_lo, s4
	v_mul_u64_e32 v[0:1], s[0:1], v[0:1]
	v_and_b32_e32 v24, 0x3ff, v31
	v_ashrrev_i32_e32 v0, 31, v7
	s_ashr_i32 s1, s2, 31
	s_mul_i32 s4, s2, 0x78
	s_mov_b32 s2, exec_lo
	v_cmpx_gt_u32_e32 15, v24
	s_cbranch_execz .LBB366_4
; %bb.3:
	v_mul_lo_u32 v8, v17, s11
	s_ashr_i32 s5, s4, 31
	v_dual_mov_b32 v13, 0 :: v_dual_lshlrev_b32 v12, 4, v24
	s_delay_alu instid0(VALU_DEP_2) | instskip(NEXT) | instid1(VALU_DEP_1)
	v_ashrrev_i32_e32 v9, 31, v8
	v_lshl_add_u64 v[2:3], v[8:9], 1, v[2:3]
	s_delay_alu instid0(VALU_DEP_1) | instskip(NEXT) | instid1(VALU_DEP_1)
	v_lshl_add_u64 v[2:3], s[4:5], 1, v[2:3]
	v_add_nc_u64_e32 v[2:3], v[2:3], v[12:13]
	flat_load_b128 v[8:11], v[2:3]
	s_wait_loadcnt_dscnt 0x0
	ds_store_b128 v12, v[8:11]
.LBB366_4:
	s_wait_xcnt 0x0
	s_or_b32 exec_lo, exec_lo, s2
	s_delay_alu instid0(VALU_DEP_4)
	v_mul_lo_u32 v2, v1, v6
	s_load_b32 s5, s[8:9], 0x8
	s_wait_xcnt 0x0
	s_get_pc_i64 s[8:9]
	s_add_nc_u64 s[8:9], s[8:9], llvm.amdgcn.dynlds.offset.table@rel64+4
	v_dual_add_nc_u32 v3, 1, v1 :: v_dual_bitop2_b32 v0, s1, v0 bitop3:0x14
	v_mov_b32_e32 v10, 0xff7fffff
	s_delay_alu instid0(VALU_DEP_3) | instskip(NEXT) | instid1(VALU_DEP_1)
	v_sub_nc_u32_e32 v2, s0, v2
	v_cmp_ge_u32_e32 vcc_lo, v2, v6
	s_delay_alu instid0(VALU_DEP_4) | instskip(SKIP_1) | instid1(VALU_DEP_1)
	v_dual_sub_nc_u32 v7, v2, v6 :: v_dual_cndmask_b32 v1, v1, v3, vcc_lo
	s_wait_dscnt 0x0
	v_dual_cndmask_b32 v2, v2, v7 :: v_dual_add_nc_u32 v7, 31, v34
	s_delay_alu instid0(VALU_DEP_2) | instskip(NEXT) | instid1(VALU_DEP_2)
	v_add_nc_u32_e32 v3, 1, v1
	v_cmp_ge_u32_e32 vcc_lo, v2, v6
	s_delay_alu instid0(VALU_DEP_3) | instskip(SKIP_1) | instid1(VALU_DEP_2)
	v_ashrrev_i32_e32 v2, 31, v7
	v_mul_lo_u32 v6, v14, s11
	v_dual_cndmask_b32 v1, v1, v3 :: v_dual_lshrrev_b32 v2, 27, v2
	v_lshrrev_b32_e32 v3, 3, v24
	s_delay_alu instid0(VALU_DEP_2) | instskip(NEXT) | instid1(VALU_DEP_1)
	v_xor_b32_e32 v1, v1, v0
	v_dual_sub_nc_u32 v0, v1, v0 :: v_dual_add_nc_u32 v1, v7, v2
	v_dual_ashrrev_i32 v7, 31, v6 :: v_dual_bitop2_b32 v2, 31, v24 bitop3:0x40
	scratch_store_b32 off, v3, s32 offset:824 ; 4-byte Folded Spill
	v_mul_lo_u32 v8, v0, v19
	v_dual_lshrrev_b32 v0, 5, v24 :: v_dual_ashrrev_i32 v1, 5, v1
	s_clause 0x2
	scratch_store_b64 off, v[6:7], s32 offset:816
	scratch_store_b32 off, v0, s32 offset:792
	scratch_store_b32 off, v1, s32 offset:200
	v_cmp_ge_i32_e64 s0, v0, v1
	v_cmp_lt_i32_e32 vcc_lo, v0, v1
	v_dual_lshlrev_b32 v22, 2, v2 :: v_dual_ashrrev_i32 v9, 31, v8
	s_clause 0x1
	scratch_store_b64 off, v[8:9], s32 offset:800
	scratch_store_b32 off, v2, s32 offset:788
	s_wait_storecnt 0x0
	s_barrier_signal -1
	s_barrier_wait -1
	s_wait_xcnt 0x0
	s_mov_b32 s14, exec_lo
	s_delay_alu instid0(SALU_CYCLE_1)
	s_and_b32 s1, s14, vcc_lo
	scratch_store_b32 off, v24, s32 offset:796 ; 4-byte Folded Spill
	s_wait_xcnt 0x0
	s_mov_b32 exec_lo, s1
	s_cbranch_execz .LBB366_968
; %bb.5:
	v_mov_b32_e32 v17, 0
	scratch_store_b32 off, v34, s32 offset:272 ; 4-byte Folded Spill
	s_ashr_i32 s7, s6, 31
	ds_load_b128 v[0:3], v17
	ds_load_b128 v[6:9], v17 offset:16
	ds_load_b128 v[18:21], v17 offset:32
	;; [unrolled: 1-line block ×4, first 2 shown]
	s_lshl_b64 s[2:3], s[6:7], 2
	s_mov_b32 s7, 0
	s_add_nc_u64 s[2:3], s[8:9], s[2:3]
	scratch_store_b32 off, v22, s32 offset:852 ; 4-byte Folded Spill
	s_load_b32 s1, s[2:3], 0x0
	s_wait_xcnt 0x0
	s_mov_b64 s[2:3], 0xffffffffffffff
	scratch_load_b32 v23, off, s32 offset:792 ; 4-byte Folded Reload
	s_wait_dscnt 0x4
	v_and_b32_e32 v11, 0xffff0000, v0
	s_wait_dscnt 0x3
	v_dual_lshlrev_b32 v10, 16, v0 :: v_dual_lshlrev_b32 v0, 16, v7
	ds_load_b128 v[24:27], v17 offset:80
	scratch_store_b64 off, v[10:11], s32 offset:276 ; 8-byte Folded Spill
	s_wait_xcnt 0x0
	v_and_b32_e32 v11, 0xffff0000, v6
	s_wait_dscnt 0x2
	v_dual_lshlrev_b32 v10, 16, v6 :: v_dual_lshlrev_b32 v6, 16, v15
	scratch_store_b64 off, v[10:11], s32 offset:284 ; 8-byte Folded Spill
	s_wait_xcnt 0x0
	v_and_b32_e32 v11, 0xffff0000, v1
	v_lshlrev_b32_e32 v10, 16, v1
	v_and_b32_e32 v1, 0xffff0000, v7
	v_and_b32_e32 v7, 0xffff0000, v15
	s_clause 0x2
	scratch_store_b64 off, v[10:11], s32 offset:292
	scratch_store_b64 off, v[0:1], s32 offset:300
	;; [unrolled: 1-line block ×3, first 2 shown]
	s_wait_xcnt 0x1
	v_and_b32_e32 v1, 0xffff0000, v2
	v_lshlrev_b32_e32 v0, 16, v2
	s_wait_dscnt 0x1
	s_wait_xcnt 0x0
	v_and_b32_e32 v7, 0xffff0000, v28
	v_lshlrev_b32_e32 v6, 16, v28
	v_and_b32_e32 v11, 0xffff0000, v31
	v_lshlrev_b32_e32 v10, 16, v31
	scratch_store_b64 off, v[0:1], s32 offset:308 ; 8-byte Folded Spill
	s_wait_xcnt 0x0
	v_and_b32_e32 v1, 0xffff0000, v8
	v_lshlrev_b32_e32 v0, 16, v8
	scratch_store_b64 off, v[6:7], s32 offset:428 ; 8-byte Folded Spill
	s_wait_xcnt 0x0
	;; [unrolled: 4-line block ×9, first 2 shown]
	v_and_b32_e32 v1, 0xffff0000, v21
	v_lshlrev_b32_e32 v0, 16, v21
	ds_load_b128 v[18:21], v17 offset:144
	scratch_store_b64 off, v[0:1], s32 offset:364 ; 8-byte Folded Spill
	s_wait_xcnt 0x0
	v_and_b32_e32 v1, 0xffff0000, v12
	v_lshlrev_b32_e32 v0, 16, v12
	scratch_store_b64 off, v[0:1], s32 offset:372 ; 8-byte Folded Spill
	s_wait_xcnt 0x0
	v_and_b32_e32 v1, 0xffff0000, v13
	v_lshlrev_b32_e32 v0, 16, v13
	;; [unrolled: 4-line block ×3, first 2 shown]
	scratch_store_b64 off, v[0:1], s32 offset:404 ; 8-byte Folded Spill
	s_wait_xcnt 0x0
	ds_load_b128 v[0:3], v17 offset:96
	s_wait_dscnt 0x2
	v_and_b32_e32 v15, 0xffff0000, v27
	v_lshlrev_b32_e32 v14, 16, v27
	scratch_store_b64 off, v[10:11], s32 offset:452 ; 8-byte Folded Spill
	s_wait_xcnt 0x0
	v_and_b32_e32 v11, 0xffff0000, v24
	v_lshlrev_b32_e32 v10, 16, v24
	scratch_store_b64 off, v[6:7], s32 offset:444 ; 8-byte Folded Spill
	s_wait_xcnt 0x0
	ds_load_b128 v[6:9], v17 offset:112
	scratch_store_b64 off, v[14:15], s32 offset:484 ; 8-byte Folded Spill
	s_wait_dscnt 0x1
	s_wait_xcnt 0x0
	v_and_b32_e32 v15, 0xffff0000, v0
	v_lshlrev_b32_e32 v14, 16, v0
	scratch_store_b64 off, v[10:11], s32 offset:460 ; 8-byte Folded Spill
	s_wait_xcnt 0x0
	v_and_b32_e32 v11, 0xffff0000, v25
	v_dual_lshlrev_b32 v10, 16, v25 :: v_dual_lshlrev_b32 v0, 16, v2
	scratch_store_b64 off, v[14:15], s32 offset:492 ; 8-byte Folded Spill
	s_wait_xcnt 0x0
	v_and_b32_e32 v15, 0xffff0000, v1
	v_lshlrev_b32_e32 v14, 16, v1
	scratch_store_b64 off, v[10:11], s32 offset:468 ; 8-byte Folded Spill
	s_wait_xcnt 0x0
	v_and_b32_e32 v11, 0xffff0000, v26
	v_lshlrev_b32_e32 v10, 16, v26
	v_and_b32_e32 v1, 0xffff0000, v2
	s_clause 0x1
	scratch_store_b64 off, v[10:11], s32 offset:476
	scratch_store_b64 off, v[0:1], s32 offset:508
	s_wait_xcnt 0x1
	ds_load_b128 v[10:13], v17 offset:128
	s_wait_xcnt 0x0
	v_and_b32_e32 v1, 0xffff0000, v3
	v_lshlrev_b32_e32 v0, 16, v3
	s_clause 0x1
	scratch_store_b64 off, v[14:15], s32 offset:500
	scratch_store_b64 off, v[0:1], s32 offset:516
	s_wait_dscnt 0x1
	s_wait_xcnt 0x0
	v_and_b32_e32 v1, 0xffff0000, v6
	v_dual_lshlrev_b32 v0, 16, v6 :: v_dual_lshlrev_b32 v6, 16, v9
	scratch_store_b64 off, v[0:1], s32 offset:524 ; 8-byte Folded Spill
	s_wait_xcnt 0x0
	v_and_b32_e32 v1, 0xffff0000, v7
	v_lshlrev_b32_e32 v0, 16, v7
	v_and_b32_e32 v7, 0xffff0000, v9
	s_clause 0x1
	scratch_store_b64 off, v[0:1], s32 offset:532
	scratch_store_b64 off, v[6:7], s32 offset:548
	s_wait_xcnt 0x1
	v_and_b32_e32 v1, 0xffff0000, v8
	v_lshlrev_b32_e32 v0, 16, v8
	s_wait_dscnt 0x0
	s_wait_xcnt 0x0
	v_and_b32_e32 v7, 0xffff0000, v10
	v_dual_lshlrev_b32 v6, 16, v10 :: v_dual_lshlrev_b32 v10, 16, v13
	scratch_store_b64 off, v[0:1], s32 offset:540 ; 8-byte Folded Spill
	s_wait_xcnt 0x0
	ds_load_b128 v[0:3], v17 offset:160
	v_and_b32_e32 v15, 0xffff0000, v21
	v_lshlrev_b32_e32 v14, 16, v21
	scratch_store_b64 off, v[6:7], s32 offset:556 ; 8-byte Folded Spill
	s_wait_xcnt 0x0
	v_and_b32_e32 v7, 0xffff0000, v11
	v_lshlrev_b32_e32 v6, 16, v11
	v_and_b32_e32 v11, 0xffff0000, v13
	s_clause 0x1
	scratch_store_b64 off, v[14:15], s32 offset:612
	scratch_store_b64 off, v[6:7], s32 offset:564
	s_wait_xcnt 0x0
	v_and_b32_e32 v7, 0xffff0000, v12
	v_lshlrev_b32_e32 v6, 16, v12
	s_wait_dscnt 0x0
	v_and_b32_e32 v15, 0xffff0000, v0
	v_lshlrev_b32_e32 v14, 16, v0
	scratch_store_b64 off, v[10:11], s32 offset:580 ; 8-byte Folded Spill
	s_wait_xcnt 0x0
	v_and_b32_e32 v11, 0xffff0000, v18
	v_lshlrev_b32_e32 v10, 16, v18
	scratch_store_b64 off, v[6:7], s32 offset:572 ; 8-byte Folded Spill
	s_wait_xcnt 0x0
	ds_load_b128 v[6:9], v17 offset:176
	scratch_store_b64 off, v[14:15], s32 offset:620 ; 8-byte Folded Spill
	s_wait_xcnt 0x0
	v_and_b32_e32 v15, 0xffff0000, v1
	v_lshlrev_b32_e32 v14, 16, v1
	scratch_store_b64 off, v[10:11], s32 offset:588 ; 8-byte Folded Spill
	s_wait_xcnt 0x0
	v_and_b32_e32 v11, 0xffff0000, v19
	v_dual_lshlrev_b32 v10, 16, v19 :: v_dual_lshlrev_b32 v0, 16, v2
	v_and_b32_e32 v1, 0xffff0000, v2
	scratch_store_b64 off, v[10:11], s32 offset:596 ; 8-byte Folded Spill
	s_wait_xcnt 0x0
	v_and_b32_e32 v11, 0xffff0000, v20
	v_lshlrev_b32_e32 v10, 16, v20
	scratch_store_b64 off, v[0:1], s32 offset:636 ; 8-byte Folded Spill
	s_wait_xcnt 0x0
	v_and_b32_e32 v1, 0xffff0000, v3
	v_lshlrev_b32_e32 v0, 16, v3
	ds_load_b128 v[18:21], v17 offset:208
	scratch_store_b64 off, v[10:11], s32 offset:604 ; 8-byte Folded Spill
	s_wait_xcnt 0x0
	ds_load_b128 v[10:13], v17 offset:192
	scratch_store_b64 off, v[0:1], s32 offset:644 ; 8-byte Folded Spill
	s_wait_dscnt 0x2
	s_wait_xcnt 0x0
	v_and_b32_e32 v1, 0xffff0000, v6
	v_lshlrev_b32_e32 v0, 16, v6
	s_clause 0x1
	scratch_store_b64 off, v[14:15], s32 offset:628
	scratch_store_b64 off, v[0:1], s32 offset:652
	s_wait_xcnt 0x0
	v_and_b32_e32 v1, 0xffff0000, v7
	v_lshlrev_b32_e32 v0, 16, v7
	scratch_store_b64 off, v[0:1], s32 offset:660 ; 8-byte Folded Spill
	s_wait_xcnt 0x0
	v_and_b32_e32 v1, 0xffff0000, v8
	v_lshlrev_b32_e32 v0, 16, v8
	scratch_store_b64 off, v[0:1], s32 offset:668 ; 8-byte Folded Spill
	s_wait_xcnt 0x0
	v_and_b32_e32 v1, 0xffff0000, v9
	v_lshlrev_b32_e32 v0, 16, v9
	scratch_store_b64 off, v[0:1], s32 offset:676 ; 8-byte Folded Spill
	s_wait_dscnt 0x0
	s_wait_xcnt 0x0
	v_and_b32_e32 v1, 0xffff0000, v10
	v_lshlrev_b32_e32 v0, 16, v10
	v_mov_b32_e32 v10, 0xff7fffff
	scratch_store_b64 off, v[0:1], s32 offset:684 ; 8-byte Folded Spill
	s_wait_xcnt 0x0
	v_and_b32_e32 v1, 0xffff0000, v11
	v_lshlrev_b32_e32 v0, 16, v11
	scratch_store_b64 off, v[0:1], s32 offset:692 ; 8-byte Folded Spill
	s_wait_xcnt 0x0
	v_and_b32_e32 v1, 0xffff0000, v12
	v_lshlrev_b32_e32 v0, 16, v12
	;; [unrolled: 4-line block ×7, first 2 shown]
	scratch_store_b64 off, v[0:1], s32 offset:740 ; 8-byte Folded Spill
	s_wait_xcnt 0x0
	ds_load_b128 v[0:3], v17 offset:224
	s_wait_dscnt 0x0
	v_and_b32_e32 v7, 0xffff0000, v0
	v_dual_lshlrev_b32 v6, 16, v0 :: v_dual_lshlrev_b32 v0, 16, v2
	scratch_store_b64 off, v[6:7], s32 offset:748 ; 8-byte Folded Spill
	s_wait_xcnt 0x0
	v_and_b32_e32 v7, 0xffff0000, v1
	v_lshlrev_b32_e32 v6, 16, v1
	v_and_b32_e32 v1, 0xffff0000, v2
	s_clause 0x2
	scratch_load_b32 v2, off, s32 offset:788
	scratch_store_b64 off, v[6:7], s32 offset:756
	scratch_store_b64 off, v[0:1], s32 offset:764
	s_wait_xcnt 0x0
	v_and_b32_e32 v1, 0xffff0000, v3
	v_lshlrev_b32_e32 v0, 16, v3
	s_clause 0x1
	scratch_store_b64 off, v[0:1], s32 offset:772
	scratch_load_b64 v[0:1], off, s32 offset:800
	s_wait_loadcnt 0x1
	v_lshlrev_b32_e32 v16, 4, v2
	v_lshl_or_b32 v18, v23, 5, v2
	s_wait_loadcnt 0x0
	v_add_nc_u64_e32 v[0:1], v[4:5], v[0:1]
	scratch_load_b64 v[4:5], off, s32 offset:808 ; 8-byte Folded Reload
	v_add_nc_u64_e32 v[0:1], v[0:1], v[16:17]
	s_clause 0x1
	scratch_store_b64 off, v[0:1], s32 offset:780
	scratch_load_b32 v0, off, s32 offset:824
	s_wait_loadcnt 0x0
	v_and_b32_e32 v16, 0x7c, v0
	scratch_load_b32 v0, off, s32 offset:256 ; 4-byte Folded Reload
	s_wait_loadcnt 0x0
	v_cmp_neq_f32_e32 vcc_lo, 0, v0
	scratch_load_b64 v[0:1], off, s32 offset:816 ; 8-byte Folded Reload
	s_wait_loadcnt 0x0
	v_lshl_add_u64 v[0:1], v[0:1], 2, v[16:17]
	s_delay_alu instid0(VALU_DEP_1) | instskip(SKIP_2) | instid1(VALU_DEP_1)
	v_add_nc_u64_e32 v[4:5], v[4:5], v[0:1]
	v_lshl_or_b32 v0, v23, 7, v22
	s_wait_kmcnt 0x0
	v_add_nc_u32_e32 v34, s1, v0
	s_branch .LBB366_10
.LBB366_6:                              ;   in Loop: Header=BB366_10 Depth=1
	s_or_b32 exec_lo, exec_lo, s18
	s_delay_alu instid0(VALU_DEP_1) | instskip(NEXT) | instid1(VALU_DEP_2)
	v_dual_lshlrev_b32 v2, 24, v2 :: v_dual_lshlrev_b32 v6, 20, v16
	v_lshl_add_u32 v3, v3, 23, 0x3c000000
	s_delay_alu instid0(VALU_DEP_2) | instskip(NEXT) | instid1(VALU_DEP_1)
	v_and_b32_e32 v2, 0x80000000, v2
	v_or3_b32 v127, v6, v2, v3
.LBB366_7:                              ;   in Loop: Header=BB366_10 Depth=1
	s_or_b32 exec_lo, exec_lo, s17
.LBB366_8:                              ;   in Loop: Header=BB366_10 Depth=1
	s_delay_alu instid0(SALU_CYCLE_1)
	s_or_b32 exec_lo, exec_lo, s16
	v_dual_mov_b32 v34, v26 :: v_dual_mov_b32 v18, v27
	v_mov_b32_e32 v23, v35
.LBB366_9:                              ;   in Loop: Header=BB366_10 Depth=1
	s_or_b32 exec_lo, exec_lo, s15
	v_pk_mul_f32 v[124:125], v[4:5], v[104:105] op_sel_hi:[0,1]
	v_pk_mul_f32 v[104:105], v[4:5], v[78:79] op_sel_hi:[0,1]
	;; [unrolled: 1-line block ×5, first 2 shown]
	v_fma_mixlo_bf16 v25, v4, v0, 0
	scratch_load_b32 v0, off, s32 offset:220 th:TH_LOAD_LU ; 4-byte Folded Reload
	v_pk_mul_f32 v[2:3], v[4:5], v[120:121] op_sel_hi:[0,1]
	v_pk_mul_f32 v[120:121], v[4:5], v[88:89] op_sel_hi:[0,1]
	;; [unrolled: 1-line block ×5, first 2 shown]
	v_fma_mixlo_bf16 v24, v4, v22, 0
	v_pk_mul_f32 v[108:109], v[4:5], v[108:109] op_sel_hi:[0,1]
	v_pk_mul_f32 v[106:107], v[4:5], v[106:107] op_sel_hi:[0,1]
	scratch_store_b64 off, v[2:3], s32 offset:240 ; 8-byte Folded Spill
	v_pk_mul_f32 v[92:93], v[4:5], v[92:93] op_sel_hi:[0,1]
	v_pk_mul_f32 v[90:91], v[4:5], v[90:91] op_sel_hi:[0,1]
	s_wait_xcnt 0x0
	v_pk_mul_f32 v[2:3], v[4:5], v[94:95] op_sel_hi:[0,1]
	v_pk_mul_f32 v[76:77], v[4:5], v[76:77] op_sel_hi:[0,1]
	;; [unrolled: 1-line block ×18, first 2 shown]
	v_fma_mixlo_bf16 v7, v4, v11, 0
	v_fma_mixlo_bf16 v11, v4, v5, 0
	v_fma_mixlo_bf16 v10, v4, v1, 0
	scratch_store_b64 off, v[2:3], s32 offset:248 ; 8-byte Folded Spill
	v_fma_mixlo_bf16 v35, v4, v13, 0
	s_wait_xcnt 0x0
	v_fma_mixlo_bf16 v2, v4, v12, 0
	v_fma_mixlo_bf16 v19, v4, v19, 0
	;; [unrolled: 1-line block ×4, first 2 shown]
	v_lshlrev_b32_e32 v7, 16, v7
	v_add_nc_u32_e32 v23, 4, v23
	s_wait_loadcnt 0x0
	v_fma_mixlo_bf16 v21, v4, v0, 0
	scratch_load_b32 v0, off, s32 offset:208 th:TH_LOAD_LU ; 4-byte Folded Reload
	s_wait_loadcnt 0x0
	v_fma_mixlo_bf16 v22, v4, v0, 0
	scratch_load_b32 v0, off, s32 offset:212 th:TH_LOAD_LU ; 4-byte Folded Reload
	;; [unrolled: 3-line block ×3, first 2 shown]
	v_pk_mul_f32 v[12:13], v[4:5], v[14:15] op_sel_hi:[0,1]
	v_pk_mul_f32 v[14:15], v[4:5], v[54:55] op_sel_hi:[0,1]
	scratch_load_b64 v[54:55], off, s32 offset:284 ; 8-byte Folded Reload
	v_pk_mul_f32 v[30:31], v[4:5], v[50:51] op_sel_hi:[0,1]
	v_pk_mul_f32 v[28:29], v[4:5], v[86:87] op_sel_hi:[0,1]
	;; [unrolled: 1-line block ×10, first 2 shown]
	v_cvt_pk_bf16_f32 v36, v36, v37
	v_pk_mul_f32 v[66:67], v[4:5], v[66:67] op_sel_hi:[0,1]
	v_cvt_pk_bf16_f32 v52, v52, v53
	v_pk_mul_f32 v[8:9], v[4:5], v[64:65] op_sel_hi:[0,1]
	v_pk_mul_f32 v[84:85], v[4:5], v[84:85] op_sel_hi:[0,1]
	;; [unrolled: 1-line block ×3, first 2 shown]
	s_delay_alu instid0(VALU_DEP_4) | instskip(SKIP_2) | instid1(VALU_DEP_1)
	v_and_b32_e32 v53, 0xffff0000, v52
	v_lshlrev_b32_e32 v52, 16, v52
	v_cvt_pk_bf16_f32 v8, v8, v9
	v_and_b32_e32 v9, 0xffff0000, v8
	v_lshlrev_b32_e32 v8, 16, v8
	s_wait_loadcnt 0x1
	v_fma_mixlo_bf16 v6, v4, v0, 0
	scratch_load_b32 v0, off, s32 offset:216 th:TH_LOAD_LU ; 4-byte Folded Reload
	s_wait_loadcnt 0x0
	v_fma_mixlo_bf16 v16, v4, v0, 0
	scratch_load_b32 v0, off, s32 offset:224 th:TH_LOAD_LU ; 4-byte Folded Reload
	s_wait_loadcnt 0x0
	v_fma_mixlo_bf16 v20, v4, v0, 0
	scratch_load_b64 v[0:1], off, s32 offset:192 th:TH_LOAD_LU ; 8-byte Folded Reload
	s_wait_loadcnt 0x0
	v_pk_mul_f32 v[50:51], v[4:5], v[0:1] op_sel_hi:[0,1]
	v_pk_mul_f32 v[0:1], v[4:5], v[38:39] op_sel_hi:[0,1]
	;; [unrolled: 1-line block ×4, first 2 shown]
	s_delay_alu instid0(VALU_DEP_4) | instskip(NEXT) | instid1(VALU_DEP_1)
	v_cvt_pk_bf16_f32 v50, v50, v51
	v_and_b32_e32 v51, 0xffff0000, v50
	v_lshlrev_b32_e32 v50, 16, v50
	s_delay_alu instid0(VALU_DEP_1)
	v_pk_mul_f32 v[50:51], v[54:55], v[50:51]
	scratch_load_b64 v[54:55], off, s32 offset:276 ; 8-byte Folded Reload
	s_wait_loadcnt 0x0
	v_pk_fma_f32 v[50:51], v[54:55], v[52:53], v[50:51]
	scratch_load_b64 v[54:55], off, s32 offset:340 ; 8-byte Folded Reload
	v_cvt_pk_bf16_f32 v52, v86, v87
	s_delay_alu instid0(VALU_DEP_1) | instskip(SKIP_2) | instid1(VALU_DEP_1)
	v_and_b32_e32 v53, 0xffff0000, v52
	v_lshlrev_b32_e32 v52, 16, v52
	s_wait_loadcnt 0x0
	v_pk_fma_f32 v[52:53], v[54:55], v[52:53], v[50:51]
	v_cvt_pk_bf16_f32 v50, v0, v1
	v_and_b32_e32 v1, 0xffff0000, v36
	v_lshlrev_b32_e32 v0, 16, v36
	s_delay_alu instid0(VALU_DEP_3)
	v_and_b32_e32 v37, 0xffff0000, v50
	v_lshlrev_b32_e32 v36, 16, v50
	scratch_load_b64 v[50:51], off, s32 offset:300 ; 8-byte Folded Reload
	s_wait_loadcnt 0x0
	v_pk_mul_f32 v[0:1], v[50:51], v[0:1]
	scratch_load_b64 v[50:51], off, s32 offset:292 ; 8-byte Folded Reload
	s_wait_loadcnt 0x0
	v_pk_fma_f32 v[0:1], v[50:51], v[36:37], v[0:1]
	scratch_load_b64 v[50:51], off, s32 offset:348 ; 8-byte Folded Reload
	v_cvt_pk_bf16_f32 v36, v70, v71
	s_delay_alu instid0(VALU_DEP_1) | instskip(SKIP_2) | instid1(VALU_DEP_1)
	v_and_b32_e32 v37, 0xffff0000, v36
	v_lshlrev_b32_e32 v36, 16, v36
	s_wait_loadcnt 0x0
	v_pk_fma_f32 v[50:51], v[50:51], v[36:37], v[0:1]
	v_cvt_pk_bf16_f32 v36, v48, v49
	scratch_load_b64 v[48:49], off, s32 offset:316 ; 8-byte Folded Reload
	v_cvt_pk_bf16_f32 v0, v82, v83
	v_and_b32_e32 v37, 0xffff0000, v36
	v_lshlrev_b32_e32 v36, 16, v36
	s_delay_alu instid0(VALU_DEP_3) | instskip(SKIP_2) | instid1(VALU_DEP_1)
	v_and_b32_e32 v1, 0xffff0000, v0
	v_lshlrev_b32_e32 v0, 16, v0
	s_wait_loadcnt 0x0
	v_pk_mul_f32 v[0:1], v[48:49], v[0:1]
	scratch_load_b64 v[48:49], off, s32 offset:308 ; 8-byte Folded Reload
	s_wait_loadcnt 0x0
	v_pk_fma_f32 v[0:1], v[48:49], v[36:37], v[0:1]
	scratch_load_b64 v[48:49], off, s32 offset:356 ; 8-byte Folded Reload
	v_cvt_pk_bf16_f32 v36, v80, v81
	s_delay_alu instid0(VALU_DEP_1) | instskip(SKIP_2) | instid1(VALU_DEP_1)
	v_and_b32_e32 v37, 0xffff0000, v36
	v_lshlrev_b32_e32 v36, 16, v36
	s_wait_loadcnt 0x0
	v_pk_fma_f32 v[48:49], v[48:49], v[36:37], v[0:1]
	scratch_load_b64 v[36:37], off, s32 offset:332 ; 8-byte Folded Reload
	v_cvt_pk_bf16_f32 v0, v66, v67
	s_delay_alu instid0(VALU_DEP_1) | instskip(SKIP_2) | instid1(VALU_DEP_1)
	v_and_b32_e32 v1, 0xffff0000, v0
	v_lshlrev_b32_e32 v0, 16, v0
	s_wait_loadcnt 0x0
	v_pk_mul_f32 v[0:1], v[36:37], v[0:1]
	scratch_load_b64 v[36:37], off, s32 offset:324 ; 8-byte Folded Reload
	s_wait_loadcnt 0x0
	v_pk_fma_f32 v[0:1], v[36:37], v[8:9], v[0:1]
	scratch_load_b64 v[36:37], off, s32 offset:364 ; 8-byte Folded Reload
	v_cvt_pk_bf16_f32 v8, v68, v69
	s_delay_alu instid0(VALU_DEP_1) | instskip(SKIP_2) | instid1(VALU_DEP_1)
	v_and_b32_e32 v9, 0xffff0000, v8
	v_lshlrev_b32_e32 v8, 16, v8
	s_wait_loadcnt 0x0
	v_pk_fma_f32 v[36:37], v[36:37], v[8:9], v[0:1]
	v_cvt_pk_bf16_f32 v0, v84, v85
	v_lshlrev_b32_e32 v8, 16, v2
	v_dual_lshlrev_b32 v9, 16, v6 :: v_dual_lshlrev_b32 v6, 16, v11
	v_cvt_pk_bf16_f32 v2, v26, v27
	s_delay_alu instid0(VALU_DEP_4)
	v_and_b32_e32 v55, 0xffff0000, v0
	v_lshlrev_b32_e32 v54, 16, v0
	scratch_load_b64 v[0:1], off, s32 offset:372 ; 8-byte Folded Reload
	v_lshlrev_b32_e32 v11, 16, v24
	v_and_b32_e32 v3, 0xffff0000, v2
	v_lshlrev_b32_e32 v2, 16, v2
	s_wait_loadcnt 0x0
	v_pk_fma_f32 v[0:1], v[0:1], v[54:55], v[52:53]
	scratch_load_b64 v[52:53], off, s32 offset:428 ; 8-byte Folded Reload
	s_wait_loadcnt 0x0
	v_pk_fma_f32 v[0:1], v[8:9], v[52:53], v[0:1]
	scratch_load_b64 v[8:9], off, s32 offset:460 ; 8-byte Folded Reload
	s_wait_loadcnt 0x0
	v_pk_fma_f32 v[0:1], v[8:9], v[6:7], v[0:1]
	scratch_load_b64 v[8:9], off, s32 offset:492 ; 8-byte Folded Reload
	v_cvt_pk_bf16_f32 v6, v96, v97
	s_delay_alu instid0(VALU_DEP_1) | instskip(SKIP_2) | instid1(VALU_DEP_1)
	v_and_b32_e32 v7, 0xffff0000, v6
	v_lshlrev_b32_e32 v6, 16, v6
	s_wait_loadcnt 0x0
	v_pk_fma_f32 v[0:1], v[8:9], v[6:7], v[0:1]
	s_clause 0x1
	scratch_load_b64 v[6:7], off, s32 offset:524
	scratch_load_b64 v[8:9], off, s32 offset:436
	s_wait_loadcnt 0x1
	v_pk_fma_f32 v[0:1], v[6:7], v[2:3], v[0:1]
	scratch_load_b64 v[6:7], off, s32 offset:556 ; 8-byte Folded Reload
	v_cvt_pk_bf16_f32 v2, v46, v47
	s_delay_alu instid0(VALU_DEP_1) | instskip(SKIP_2) | instid1(VALU_DEP_1)
	v_and_b32_e32 v3, 0xffff0000, v2
	v_lshlrev_b32_e32 v2, 16, v2
	s_wait_loadcnt 0x0
	v_pk_fma_f32 v[0:1], v[6:7], v[2:3], v[0:1]
	scratch_load_b64 v[6:7], off, s32 offset:588 ; 8-byte Folded Reload
	v_cvt_pk_bf16_f32 v2, v62, v63
	s_delay_alu instid0(VALU_DEP_1) | instskip(SKIP_2) | instid1(VALU_DEP_1)
	v_and_b32_e32 v3, 0xffff0000, v2
	v_lshlrev_b32_e32 v2, 16, v2
	;; [unrolled: 7-line block ×7, first 2 shown]
	s_wait_loadcnt 0x0
	v_pk_fma_f32 v[2:3], v[6:7], v[2:3], v[0:1]
	scratch_load_b64 v[6:7], off, s32 offset:388 ; 8-byte Folded Reload
	v_cvt_pk_bf16_f32 v0, v30, v31
	v_add_f32_e32 v2, v2, v3
	scratch_load_b32 v3, off, s32 offset:272 ; 4-byte Folded Reload
	v_and_b32_e32 v1, 0xffff0000, v0
	v_lshlrev_b32_e32 v0, 16, v0
	s_wait_loadcnt 0x1
	s_delay_alu instid0(VALU_DEP_1) | instskip(SKIP_3) | instid1(VALU_DEP_2)
	v_pk_fma_f32 v[0:1], v[6:7], v[0:1], v[50:51]
	v_dual_lshlrev_b32 v6, 16, v19 :: v_dual_lshlrev_b32 v7, 16, v5
	s_wait_loadcnt 0x0
	v_cmp_lt_i32_e64 s1, v18, v3
	v_pk_fma_f32 v[0:1], v[6:7], v[8:9], v[0:1]
	scratch_load_b64 v[8:9], off, s32 offset:468 ; 8-byte Folded Reload
	v_dual_lshlrev_b32 v7, 16, v33 :: v_dual_lshlrev_b32 v6, 16, v35
	s_wait_loadcnt 0x0
	s_delay_alu instid0(VALU_DEP_1) | instskip(SKIP_2) | instid1(VALU_DEP_1)
	v_pk_fma_f32 v[0:1], v[8:9], v[6:7], v[0:1]
	scratch_load_b64 v[8:9], off, s32 offset:500 ; 8-byte Folded Reload
	v_cvt_pk_bf16_f32 v6, v100, v101
	v_and_b32_e32 v7, 0xffff0000, v6
	v_lshlrev_b32_e32 v6, 16, v6
	s_wait_loadcnt 0x0
	s_delay_alu instid0(VALU_DEP_1) | instskip(SKIP_2) | instid1(VALU_DEP_1)
	v_pk_fma_f32 v[0:1], v[8:9], v[6:7], v[0:1]
	scratch_load_b64 v[8:9], off, s32 offset:532 ; 8-byte Folded Reload
	v_cvt_pk_bf16_f32 v6, v118, v119
	v_and_b32_e32 v7, 0xffff0000, v6
	v_lshlrev_b32_e32 v6, 16, v6
	;; [unrolled: 7-line block ×8, first 2 shown]
	s_wait_loadcnt 0x0
	s_delay_alu instid0(VALU_DEP_1)
	v_pk_fma_f32 v[0:1], v[8:9], v[6:7], v[0:1]
	scratch_load_b64 v[8:9], off, s32 offset:756 ; 8-byte Folded Reload
	v_cvt_pk_bf16_f32 v6, v14, v15
	s_clause 0x1
	scratch_load_b64 v[14:15], off, s32 offset:444
	scratch_load_b64 v[4:5], off, s32 offset:248 th:TH_LOAD_LU
	v_and_b32_e32 v7, 0xffff0000, v6
	v_lshlrev_b32_e32 v6, 16, v6
	s_wait_loadcnt 0x2
	s_delay_alu instid0(VALU_DEP_1) | instskip(SKIP_3) | instid1(VALU_DEP_2)
	v_pk_fma_f32 v[0:1], v[8:9], v[6:7], v[0:1]
	scratch_load_b64 v[8:9], off, s32 offset:404 ; 8-byte Folded Reload
	v_cvt_pk_bf16_f32 v6, v28, v29
	v_add_f32_e32 v0, v2, v0
	v_and_b32_e32 v7, 0xffff0000, v6
	s_delay_alu instid0(VALU_DEP_2) | instskip(SKIP_1) | instid1(VALU_DEP_1)
	v_dual_lshlrev_b32 v6, 16, v6 :: v_dual_add_f32 v2, v1, v0
	v_cvt_pk_bf16_f32 v0, v110, v111
	v_and_b32_e32 v1, 0xffff0000, v0
	v_lshlrev_b32_e32 v0, 16, v0
	s_wait_loadcnt 0x0
	v_pk_fma_f32 v[6:7], v[8:9], v[6:7], v[48:49]
	v_dual_lshlrev_b32 v8, 16, v22 :: v_dual_lshlrev_b32 v9, 16, v21
	s_delay_alu instid0(VALU_DEP_1) | instskip(SKIP_4) | instid1(VALU_DEP_2)
	v_pk_fma_f32 v[6:7], v[8:9], v[14:15], v[6:7]
	scratch_load_b64 v[14:15], off, s32 offset:476 ; 8-byte Folded Reload
	v_dual_lshlrev_b32 v9, 16, v10 :: v_dual_lshlrev_b32 v8, 16, v32
	v_lshlrev_b32_e32 v10, 16, v25
	s_wait_loadcnt 0x0
	v_pk_fma_f32 v[6:7], v[14:15], v[8:9], v[6:7]
	scratch_load_b64 v[14:15], off, s32 offset:508 ; 8-byte Folded Reload
	v_cvt_pk_bf16_f32 v8, v98, v99
	s_delay_alu instid0(VALU_DEP_1) | instskip(SKIP_2) | instid1(VALU_DEP_1)
	v_and_b32_e32 v9, 0xffff0000, v8
	v_lshlrev_b32_e32 v8, 16, v8
	s_wait_loadcnt 0x0
	v_pk_fma_f32 v[6:7], v[14:15], v[8:9], v[6:7]
	scratch_load_b64 v[14:15], off, s32 offset:540 ; 8-byte Folded Reload
	v_cvt_pk_bf16_f32 v8, v102, v103
	s_delay_alu instid0(VALU_DEP_1) | instskip(SKIP_2) | instid1(VALU_DEP_1)
	v_and_b32_e32 v9, 0xffff0000, v8
	;; [unrolled: 7-line block ×9, first 2 shown]
	v_lshlrev_b32_e32 v8, 16, v8
	s_wait_loadcnt 0x0
	v_pk_fma_f32 v[6:7], v[14:15], v[8:9], v[6:7]
	v_cvt_pk_bf16_f32 v8, v12, v13
	s_clause 0x1
	scratch_load_b64 v[12:13], off, s32 offset:420
	scratch_load_b64 v[14:15], off, s32 offset:452
	v_add_f32_e32 v2, v6, v2
	v_and_b32_e32 v9, 0xffff0000, v8
	s_delay_alu instid0(VALU_DEP_2) | instskip(SKIP_1) | instid1(VALU_DEP_1)
	v_dual_lshlrev_b32 v8, 16, v8 :: v_dual_add_f32 v2, v7, v2
	s_wait_loadcnt 0x1
	v_pk_fma_f32 v[8:9], v[12:13], v[8:9], v[36:37]
	v_lshlrev_b32_e32 v12, 16, v16
	v_lshlrev_b32_e32 v13, 16, v20
	s_wait_loadcnt 0x0
	s_delay_alu instid0(VALU_DEP_1)
	v_pk_fma_f32 v[8:9], v[12:13], v[14:15], v[8:9]
	scratch_load_b64 v[12:13], off, s32 offset:484 ; 8-byte Folded Reload
	s_wait_loadcnt 0x0
	v_pk_fma_f32 v[8:9], v[12:13], v[10:11], v[8:9]
	scratch_load_b64 v[12:13], off, s32 offset:516 ; 8-byte Folded Reload
	v_cvt_pk_bf16_f32 v10, v112, v113
	s_delay_alu instid0(VALU_DEP_1) | instskip(SKIP_2) | instid1(VALU_DEP_1)
	v_and_b32_e32 v11, 0xffff0000, v10
	v_lshlrev_b32_e32 v10, 16, v10
	s_wait_loadcnt 0x0
	v_pk_fma_f32 v[8:9], v[12:13], v[10:11], v[8:9]
	scratch_load_b64 v[12:13], off, s32 offset:548 ; 8-byte Folded Reload
	v_cvt_pk_bf16_f32 v10, v40, v41
	s_delay_alu instid0(VALU_DEP_1) | instskip(SKIP_2) | instid1(VALU_DEP_1)
	v_and_b32_e32 v11, 0xffff0000, v10
	v_lshlrev_b32_e32 v10, 16, v10
	;; [unrolled: 7-line block ×6, first 2 shown]
	s_wait_loadcnt 0x0
	v_pk_fma_f32 v[8:9], v[12:13], v[10:11], v[8:9]
	scratch_load_b64 v[12:13], off, s32 offset:708 ; 8-byte Folded Reload
	v_cvt_pk_bf16_f32 v10, v4, v5
	scratch_load_b64 v[4:5], off, s32 offset:240 th:TH_LOAD_LU ; 8-byte Folded Reload
	v_and_b32_e32 v11, 0xffff0000, v10
	v_lshlrev_b32_e32 v10, 16, v10
	s_wait_loadcnt 0x1
	s_delay_alu instid0(VALU_DEP_1)
	v_pk_fma_f32 v[8:9], v[12:13], v[10:11], v[8:9]
	scratch_load_b64 v[12:13], off, s32 offset:740 ; 8-byte Folded Reload
	s_wait_loadcnt 0x1
	v_cvt_pk_bf16_f32 v10, v4, v5
	scratch_load_b64 v[4:5], off, s32 offset:772 ; 8-byte Folded Reload
	v_and_b32_e32 v11, 0xffff0000, v10
	v_lshlrev_b32_e32 v10, 16, v10
	s_wait_loadcnt 0x1
	s_delay_alu instid0(VALU_DEP_1)
	v_pk_fma_f32 v[8:9], v[12:13], v[10:11], v[8:9]
	scratch_load_b32 v10, off, s32 offset:228 th:TH_LOAD_LU ; 4-byte Folded Reload
	s_wait_loadcnt 0x1
	v_pk_fma_f32 v[0:1], v[4:5], v[0:1], v[8:9]
	scratch_load_b64 v[4:5], off, s32 offset:232 th:TH_LOAD_LU ; 8-byte Folded Reload
	v_add_f32_e32 v0, v0, v2
	scratch_load_b32 v2, off, s32 offset:256 ; 4-byte Folded Reload
	v_dual_add_f32 v0, v1, v0 :: v_dual_sub_nc_u32 v1, 1, v3
	s_delay_alu instid0(VALU_DEP_1) | instskip(SKIP_1) | instid1(VALU_DEP_2)
	v_add_nc_u32_e32 v1, v1, v18
	v_add_nc_u32_e32 v18, 0x80, v18
	v_cvt_f32_i32_e32 v1, v1
	s_wait_loadcnt 0x1
	v_add_nc_u64_e32 v[4:5], 16, v[4:5]
	s_wait_loadcnt 0x0
	s_delay_alu instid0(VALU_DEP_2) | instskip(SKIP_3) | instid1(VALU_DEP_1)
	v_mul_f32_e32 v1, v2, v1
	scratch_load_b32 v2, off, s32 offset:268 ; 4-byte Folded Reload
	v_cndmask_b32_e32 v1, 0, v1, vcc_lo
	s_wait_loadcnt 0x0
	v_fmac_f32_e32 v1, v2, v0
	v_max_num_f32_e32 v0, v10, v10
	s_delay_alu instid0(VALU_DEP_1) | instskip(NEXT) | instid1(VALU_DEP_1)
	v_dual_max_num_f32 v0, v0, v1 :: v_dual_cndmask_b32 v1, 0, v1, s1
	v_cndmask_b32_e64 v10, v10, v0, s1
	scratch_load_b32 v0, off, s32 offset:200 ; 4-byte Folded Reload
	ds_store_b32 v34, v1
	v_add_nc_u32_e32 v34, 0x200, v34
	s_wait_loadcnt 0x0
	v_cmp_ge_i32_e64 s1, v23, v0
	s_or_b32 s7, s1, s7
	s_wait_xcnt 0x0
	s_and_not1_b32 exec_lo, exec_lo, s7
	s_cbranch_execz .LBB366_967
.LBB366_10:                             ; =>This Inner Loop Header: Depth=1
	scratch_store_b64 off, v[4:5], s32 offset:232 ; 8-byte Folded Spill
	flat_load_b32 v0, v[4:5]
	s_clause 0x1
	scratch_load_b64 v[2:3], off, s32 offset:380
	scratch_load_b64 v[4:5], off, s32 offset:780
	v_dual_mov_b32 v35, v23 :: v_dual_mov_b32 v27, v18
	v_dual_mov_b32 v26, v34 :: v_dual_mov_b32 v8, 0
	s_mov_b32 s15, exec_lo
	s_wait_loadcnt_dscnt 0x0
	v_mad_nc_i64_i32 v[54:55], v0, v2, v[4:5]
	flat_load_b64 v[12:13], v[54:55]
	scratch_load_b64 v[0:1], off, s32 offset:260 ; 8-byte Folded Reload
	s_wait_loadcnt 0x0
	flat_load_b32 v4, v[0:1]
	s_wait_dscnt 0x1
	s_wait_xcnt 0x0
	v_and_b32_e32 v0, 0xff, v12
	s_delay_alu instid0(VALU_DEP_1)
	v_cmpx_ne_u16_e32 0, v0
	s_cbranch_execz .LBB366_18
; %bb.11:                               ;   in Loop: Header=BB366_10 Depth=1
	v_bfrev_b32_e32 v8, 1
	s_mov_b32 s16, exec_lo
	v_cmpx_ne_u16_e32 0x80, v0
	s_cbranch_execz .LBB366_17
; %bb.12:                               ;   in Loop: Header=BB366_10 Depth=1
	v_and_b32_e32 v1, 0x7f, v12
	v_mov_b32_e32 v8, 0x7f800001
	s_mov_b32 s17, exec_lo
	s_delay_alu instid0(VALU_DEP_2)
	v_cmpx_ne_u32_e32 0x7f, v1
	s_cbranch_execz .LBB366_16
; %bb.13:                               ;   in Loop: Header=BB366_10 Depth=1
	v_mov_b64_e32 v[2:3], v[12:13]
	v_lshrrev_b32_e32 v0, 3, v1
	s_mov_b32 s18, exec_lo
	v_cmpx_gt_u32_e32 8, v1
; %bb.14:                               ;   in Loop: Header=BB366_10 Depth=1
	v_and_b32_e32 v0, 7, v12
	s_delay_alu instid0(VALU_DEP_1) | instskip(NEXT) | instid1(VALU_DEP_1)
	v_clz_i32_u32_e32 v0, v0
	v_min_u32_e32 v0, 32, v0
	s_delay_alu instid0(VALU_DEP_1) | instskip(SKIP_1) | instid1(VALU_DEP_2)
	v_subrev_nc_u32_e32 v1, 28, v0
	v_sub_nc_u32_e32 v0, 29, v0
	v_lshlrev_b64_e32 v[2:3], v1, v[12:13]
; %bb.15:                               ;   in Loop: Header=BB366_10 Depth=1
	s_or_b32 exec_lo, exec_lo, s18
	s_delay_alu instid0(VALU_DEP_1) | instskip(NEXT) | instid1(VALU_DEP_3)
	v_dual_lshlrev_b32 v1, 20, v2 :: v_dual_lshlrev_b32 v2, 24, v12
	v_lshl_add_u32 v0, v0, 23, 0x3c000000
	s_delay_alu instid0(VALU_DEP_2) | instskip(NEXT) | instid1(VALU_DEP_3)
	v_and_b32_e32 v1, 0x700000, v1
	v_and_b32_e32 v2, 0x80000000, v2
	s_delay_alu instid0(VALU_DEP_1)
	v_or3_b32 v8, v1, v2, v0
.LBB366_16:                             ;   in Loop: Header=BB366_10 Depth=1
	s_or_b32 exec_lo, exec_lo, s17
.LBB366_17:                             ;   in Loop: Header=BB366_10 Depth=1
	s_delay_alu instid0(SALU_CYCLE_1)
	s_or_b32 exec_lo, exec_lo, s16
.LBB366_18:                             ;   in Loop: Header=BB366_10 Depth=1
	s_delay_alu instid0(SALU_CYCLE_1) | instskip(SKIP_3) | instid1(VALU_DEP_2)
	s_or_b32 exec_lo, exec_lo, s15
	v_lshrrev_b16 v0, 8, v12
	v_dual_mov_b32 v38, 0 :: v_dual_mov_b32 v9, 0
	s_mov_b32 s15, exec_lo
	v_cmpx_ne_u16_e32 0, v0
	s_cbranch_execz .LBB366_26
; %bb.19:                               ;   in Loop: Header=BB366_10 Depth=1
	v_bfrev_b32_e32 v9, 1
	s_mov_b32 s16, exec_lo
	v_cmpx_ne_u16_e32 0x80, v0
	s_cbranch_execz .LBB366_25
; %bb.20:                               ;   in Loop: Header=BB366_10 Depth=1
	v_and_b32_e32 v0, 0xffff, v0
	v_mov_b32_e32 v9, 0x7f800001
	s_mov_b32 s17, exec_lo
	s_delay_alu instid0(VALU_DEP_2) | instskip(NEXT) | instid1(VALU_DEP_1)
	v_and_b32_e32 v1, 0x7f, v0
	v_cmpx_ne_u32_e32 0x7f, v1
	s_cbranch_execz .LBB366_24
; %bb.21:                               ;   in Loop: Header=BB366_10 Depth=1
	v_dual_lshrrev_b32 v0, 3, v1 :: v_dual_bitop2_b32 v16, 7, v0 bitop3:0x40
	s_mov_b32 s18, exec_lo
	v_cmpx_gt_u32_e32 8, v1
; %bb.22:                               ;   in Loop: Header=BB366_10 Depth=1
	s_delay_alu instid0(VALU_DEP_2) | instskip(NEXT) | instid1(VALU_DEP_1)
	v_clz_i32_u32_e32 v0, v16
	v_min_u32_e32 v0, 32, v0
	s_delay_alu instid0(VALU_DEP_1) | instskip(NEXT) | instid1(VALU_DEP_1)
	v_subrev_nc_u32_e32 v1, 28, v0
	v_lshlrev_b64_e32 v[2:3], v1, v[16:17]
	s_delay_alu instid0(VALU_DEP_1)
	v_dual_sub_nc_u32 v0, 29, v0 :: v_dual_bitop2_b32 v16, 7, v2 bitop3:0x40
; %bb.23:                               ;   in Loop: Header=BB366_10 Depth=1
	s_or_b32 exec_lo, exec_lo, s18
	v_lshlrev_b32_e32 v1, 16, v12
	s_delay_alu instid0(VALU_DEP_2) | instskip(NEXT) | instid1(VALU_DEP_3)
	v_lshlrev_b32_e32 v2, 20, v16
	v_lshl_add_u32 v0, v0, 23, 0x3c000000
	s_delay_alu instid0(VALU_DEP_3) | instskip(NEXT) | instid1(VALU_DEP_1)
	v_and_b32_e32 v1, 0x80000000, v1
	v_or3_b32 v9, v2, v1, v0
.LBB366_24:                             ;   in Loop: Header=BB366_10 Depth=1
	s_or_b32 exec_lo, exec_lo, s17
.LBB366_25:                             ;   in Loop: Header=BB366_10 Depth=1
	s_delay_alu instid0(SALU_CYCLE_1)
	s_or_b32 exec_lo, exec_lo, s16
.LBB366_26:                             ;   in Loop: Header=BB366_10 Depth=1
	s_delay_alu instid0(SALU_CYCLE_1) | instskip(SKIP_2) | instid1(VALU_DEP_1)
	s_or_b32 exec_lo, exec_lo, s15
	v_lshrrev_b32_e32 v0, 16, v12
	s_mov_b32 s15, exec_lo
	v_and_b32_e32 v1, 0xff, v0
	s_delay_alu instid0(VALU_DEP_1)
	v_cmpx_ne_u16_e32 0, v1
	s_cbranch_execz .LBB366_34
; %bb.27:                               ;   in Loop: Header=BB366_10 Depth=1
	v_bfrev_b32_e32 v38, 1
	s_mov_b32 s16, exec_lo
	v_cmpx_ne_u16_e32 0x80, v1
	s_cbranch_execz .LBB366_33
; %bb.28:                               ;   in Loop: Header=BB366_10 Depth=1
	v_bfe_u32 v2, v12, 16, 7
	v_mov_b32_e32 v38, 0x7f800001
	s_mov_b32 s17, exec_lo
	s_delay_alu instid0(VALU_DEP_2)
	v_cmpx_ne_u32_e32 0x7f, v2
	s_cbranch_execz .LBB366_32
; %bb.29:                               ;   in Loop: Header=BB366_10 Depth=1
	v_dual_lshrrev_b32 v1, 3, v2 :: v_dual_bitop2_b32 v16, 7, v0 bitop3:0x40
	s_mov_b32 s18, exec_lo
	v_cmpx_gt_u32_e32 8, v2
; %bb.30:                               ;   in Loop: Header=BB366_10 Depth=1
	s_delay_alu instid0(VALU_DEP_2) | instskip(NEXT) | instid1(VALU_DEP_1)
	v_clz_i32_u32_e32 v1, v16
	v_min_u32_e32 v1, 32, v1
	s_delay_alu instid0(VALU_DEP_1) | instskip(NEXT) | instid1(VALU_DEP_1)
	v_subrev_nc_u32_e32 v2, 28, v1
	v_lshlrev_b64_e32 v[2:3], v2, v[16:17]
	s_delay_alu instid0(VALU_DEP_1)
	v_dual_sub_nc_u32 v1, 29, v1 :: v_dual_bitop2_b32 v16, 7, v2 bitop3:0x40
; %bb.31:                               ;   in Loop: Header=BB366_10 Depth=1
	s_or_b32 exec_lo, exec_lo, s18
	v_lshlrev_b32_e32 v0, 24, v0
	s_delay_alu instid0(VALU_DEP_2) | instskip(NEXT) | instid1(VALU_DEP_3)
	v_lshlrev_b32_e32 v2, 20, v16
	v_lshl_add_u32 v1, v1, 23, 0x3c000000
	s_delay_alu instid0(VALU_DEP_3) | instskip(NEXT) | instid1(VALU_DEP_1)
	v_and_b32_e32 v0, 0x80000000, v0
	v_or3_b32 v38, v2, v0, v1
.LBB366_32:                             ;   in Loop: Header=BB366_10 Depth=1
	s_or_b32 exec_lo, exec_lo, s17
.LBB366_33:                             ;   in Loop: Header=BB366_10 Depth=1
	s_delay_alu instid0(SALU_CYCLE_1)
	s_or_b32 exec_lo, exec_lo, s16
.LBB366_34:                             ;   in Loop: Header=BB366_10 Depth=1
	s_delay_alu instid0(SALU_CYCLE_1)
	s_or_b32 exec_lo, exec_lo, s15
	v_dual_mov_b32 v52, 0 :: v_dual_mov_b32 v39, 0
	s_mov_b32 s15, exec_lo
	v_cmpx_lt_u32_e32 0xffffff, v12
	s_cbranch_execz .LBB366_42
; %bb.35:                               ;   in Loop: Header=BB366_10 Depth=1
	v_lshrrev_b32_e32 v0, 24, v12
	v_bfrev_b32_e32 v39, 1
	s_mov_b32 s16, exec_lo
	s_delay_alu instid0(VALU_DEP_2)
	v_cmpx_ne_u32_e32 0x80, v0
	s_cbranch_execz .LBB366_41
; %bb.36:                               ;   in Loop: Header=BB366_10 Depth=1
	v_bfe_u32 v2, v12, 24, 7
	v_mov_b32_e32 v39, 0x7f800001
	s_mov_b32 s17, exec_lo
	s_delay_alu instid0(VALU_DEP_2)
	v_cmpx_ne_u32_e32 0x7f, v2
	s_cbranch_execz .LBB366_40
; %bb.37:                               ;   in Loop: Header=BB366_10 Depth=1
	v_dual_lshrrev_b32 v1, 3, v2 :: v_dual_bitop2_b32 v16, 7, v0 bitop3:0x40
	s_mov_b32 s18, exec_lo
	v_cmpx_gt_u32_e32 8, v2
; %bb.38:                               ;   in Loop: Header=BB366_10 Depth=1
	s_delay_alu instid0(VALU_DEP_2) | instskip(NEXT) | instid1(VALU_DEP_1)
	v_clz_i32_u32_e32 v1, v16
	v_min_u32_e32 v1, 32, v1
	s_delay_alu instid0(VALU_DEP_1) | instskip(NEXT) | instid1(VALU_DEP_1)
	v_subrev_nc_u32_e32 v2, 28, v1
	v_lshlrev_b64_e32 v[2:3], v2, v[16:17]
	s_delay_alu instid0(VALU_DEP_1)
	v_dual_sub_nc_u32 v1, 29, v1 :: v_dual_bitop2_b32 v16, 7, v2 bitop3:0x40
; %bb.39:                               ;   in Loop: Header=BB366_10 Depth=1
	s_or_b32 exec_lo, exec_lo, s18
	v_lshlrev_b32_e32 v0, 24, v0
	s_delay_alu instid0(VALU_DEP_2) | instskip(NEXT) | instid1(VALU_DEP_3)
	v_lshlrev_b32_e32 v2, 20, v16
	v_lshl_add_u32 v1, v1, 23, 0x3c000000
	s_delay_alu instid0(VALU_DEP_3) | instskip(NEXT) | instid1(VALU_DEP_1)
	v_and_b32_e32 v0, 0x80000000, v0
	v_or3_b32 v39, v2, v0, v1
.LBB366_40:                             ;   in Loop: Header=BB366_10 Depth=1
	s_or_b32 exec_lo, exec_lo, s17
.LBB366_41:                             ;   in Loop: Header=BB366_10 Depth=1
	s_delay_alu instid0(SALU_CYCLE_1)
	s_or_b32 exec_lo, exec_lo, s16
.LBB366_42:                             ;   in Loop: Header=BB366_10 Depth=1
	s_delay_alu instid0(SALU_CYCLE_1) | instskip(SKIP_3) | instid1(VALU_DEP_2)
	s_or_b32 exec_lo, exec_lo, s15
	v_and_b32_e32 v0, 0xff, v13
	v_mov_b32_e32 v16, v13
	s_mov_b32 s15, exec_lo
	v_cmpx_ne_u16_e32 0, v0
	s_cbranch_execz .LBB366_50
; %bb.43:                               ;   in Loop: Header=BB366_10 Depth=1
	v_bfrev_b32_e32 v52, 1
	s_mov_b32 s16, exec_lo
	v_cmpx_ne_u16_e32 0x80, v0
	s_cbranch_execz .LBB366_49
; %bb.44:                               ;   in Loop: Header=BB366_10 Depth=1
	v_and_b32_e32 v1, 0x7f, v13
	v_mov_b32_e32 v52, 0x7f800001
	s_mov_b32 s17, exec_lo
	s_delay_alu instid0(VALU_DEP_2)
	v_cmpx_ne_u32_e32 0x7f, v1
	s_cbranch_execz .LBB366_48
; %bb.45:                               ;   in Loop: Header=BB366_10 Depth=1
	v_mov_b64_e32 v[2:3], v[16:17]
	v_lshrrev_b32_e32 v0, 3, v1
	s_mov_b32 s18, exec_lo
	v_cmpx_gt_u32_e32 8, v1
; %bb.46:                               ;   in Loop: Header=BB366_10 Depth=1
	v_and_b32_e32 v0, 7, v13
	s_delay_alu instid0(VALU_DEP_1) | instskip(NEXT) | instid1(VALU_DEP_1)
	v_clz_i32_u32_e32 v0, v0
	v_min_u32_e32 v0, 32, v0
	s_delay_alu instid0(VALU_DEP_1) | instskip(SKIP_1) | instid1(VALU_DEP_2)
	v_subrev_nc_u32_e32 v1, 28, v0
	v_sub_nc_u32_e32 v0, 29, v0
	v_lshlrev_b64_e32 v[2:3], v1, v[16:17]
; %bb.47:                               ;   in Loop: Header=BB366_10 Depth=1
	s_or_b32 exec_lo, exec_lo, s18
	s_delay_alu instid0(VALU_DEP_1) | instskip(NEXT) | instid1(VALU_DEP_3)
	v_dual_lshlrev_b32 v1, 20, v2 :: v_dual_lshlrev_b32 v2, 24, v16
	v_lshl_add_u32 v0, v0, 23, 0x3c000000
	s_delay_alu instid0(VALU_DEP_2) | instskip(NEXT) | instid1(VALU_DEP_3)
	v_and_b32_e32 v1, 0x700000, v1
	v_and_b32_e32 v2, 0x80000000, v2
	s_delay_alu instid0(VALU_DEP_1)
	v_or3_b32 v52, v1, v2, v0
.LBB366_48:                             ;   in Loop: Header=BB366_10 Depth=1
	s_or_b32 exec_lo, exec_lo, s17
.LBB366_49:                             ;   in Loop: Header=BB366_10 Depth=1
	s_delay_alu instid0(SALU_CYCLE_1)
	s_or_b32 exec_lo, exec_lo, s16
.LBB366_50:                             ;   in Loop: Header=BB366_10 Depth=1
	s_delay_alu instid0(SALU_CYCLE_1) | instskip(SKIP_3) | instid1(VALU_DEP_2)
	s_or_b32 exec_lo, exec_lo, s15
	v_lshrrev_b16 v0, 8, v16
	v_dual_mov_b32 v64, 0 :: v_dual_mov_b32 v53, 0
	s_mov_b32 s15, exec_lo
	v_cmpx_ne_u16_e32 0, v0
	s_cbranch_execz .LBB366_58
; %bb.51:                               ;   in Loop: Header=BB366_10 Depth=1
	v_bfrev_b32_e32 v53, 1
	s_mov_b32 s16, exec_lo
	v_cmpx_ne_u16_e32 0x80, v0
	s_cbranch_execz .LBB366_57
; %bb.52:                               ;   in Loop: Header=BB366_10 Depth=1
	v_and_b32_e32 v0, 0xffff, v0
	v_mov_b32_e32 v53, 0x7f800001
	s_mov_b32 s17, exec_lo
	s_delay_alu instid0(VALU_DEP_2) | instskip(NEXT) | instid1(VALU_DEP_1)
	v_and_b32_e32 v1, 0x7f, v0
	v_cmpx_ne_u32_e32 0x7f, v1
	s_cbranch_execz .LBB366_56
; %bb.53:                               ;   in Loop: Header=BB366_10 Depth=1
	v_dual_mov_b32 v3, v17 :: v_dual_bitop2_b32 v2, 7, v0 bitop3:0x40
	v_lshrrev_b32_e32 v0, 3, v1
	s_mov_b32 s18, exec_lo
	v_cmpx_gt_u32_e32 8, v1
; %bb.54:                               ;   in Loop: Header=BB366_10 Depth=1
	s_delay_alu instid0(VALU_DEP_3) | instskip(NEXT) | instid1(VALU_DEP_1)
	v_clz_i32_u32_e32 v0, v2
	v_min_u32_e32 v0, 32, v0
	s_delay_alu instid0(VALU_DEP_1) | instskip(NEXT) | instid1(VALU_DEP_1)
	v_subrev_nc_u32_e32 v1, 28, v0
	v_lshlrev_b64_e32 v[2:3], v1, v[2:3]
	s_delay_alu instid0(VALU_DEP_1)
	v_dual_sub_nc_u32 v0, 29, v0 :: v_dual_bitop2_b32 v2, 7, v2 bitop3:0x40
; %bb.55:                               ;   in Loop: Header=BB366_10 Depth=1
	s_or_b32 exec_lo, exec_lo, s18
	s_delay_alu instid0(VALU_DEP_1) | instskip(NEXT) | instid1(VALU_DEP_2)
	v_dual_lshlrev_b32 v1, 16, v16 :: v_dual_lshlrev_b32 v2, 20, v2
	v_lshl_add_u32 v0, v0, 23, 0x3c000000
	s_delay_alu instid0(VALU_DEP_2) | instskip(NEXT) | instid1(VALU_DEP_1)
	v_and_b32_e32 v1, 0x80000000, v1
	v_or3_b32 v53, v2, v1, v0
.LBB366_56:                             ;   in Loop: Header=BB366_10 Depth=1
	s_or_b32 exec_lo, exec_lo, s17
.LBB366_57:                             ;   in Loop: Header=BB366_10 Depth=1
	s_delay_alu instid0(SALU_CYCLE_1)
	s_or_b32 exec_lo, exec_lo, s16
.LBB366_58:                             ;   in Loop: Header=BB366_10 Depth=1
	s_delay_alu instid0(SALU_CYCLE_1) | instskip(SKIP_2) | instid1(VALU_DEP_1)
	s_or_b32 exec_lo, exec_lo, s15
	v_lshrrev_b32_e32 v0, 16, v13
	s_mov_b32 s15, exec_lo
	v_and_b32_e32 v1, 0xff, v0
	s_delay_alu instid0(VALU_DEP_1)
	v_cmpx_ne_u16_e32 0, v1
	s_cbranch_execz .LBB366_66
; %bb.59:                               ;   in Loop: Header=BB366_10 Depth=1
	v_bfrev_b32_e32 v64, 1
	s_mov_b32 s16, exec_lo
	v_cmpx_ne_u16_e32 0x80, v1
	s_cbranch_execz .LBB366_65
; %bb.60:                               ;   in Loop: Header=BB366_10 Depth=1
	v_bfe_u32 v2, v13, 16, 7
	v_mov_b32_e32 v64, 0x7f800001
	s_mov_b32 s17, exec_lo
	s_delay_alu instid0(VALU_DEP_2)
	v_cmpx_ne_u32_e32 0x7f, v2
	s_cbranch_execz .LBB366_64
; %bb.61:                               ;   in Loop: Header=BB366_10 Depth=1
	v_dual_lshrrev_b32 v1, 3, v2 :: v_dual_bitop2_b32 v16, 7, v0 bitop3:0x40
	s_mov_b32 s18, exec_lo
	v_cmpx_gt_u32_e32 8, v2
; %bb.62:                               ;   in Loop: Header=BB366_10 Depth=1
	s_delay_alu instid0(VALU_DEP_2) | instskip(NEXT) | instid1(VALU_DEP_1)
	v_clz_i32_u32_e32 v1, v16
	v_min_u32_e32 v1, 32, v1
	s_delay_alu instid0(VALU_DEP_1) | instskip(NEXT) | instid1(VALU_DEP_1)
	v_subrev_nc_u32_e32 v2, 28, v1
	v_lshlrev_b64_e32 v[2:3], v2, v[16:17]
	s_delay_alu instid0(VALU_DEP_1)
	v_dual_sub_nc_u32 v1, 29, v1 :: v_dual_bitop2_b32 v16, 7, v2 bitop3:0x40
; %bb.63:                               ;   in Loop: Header=BB366_10 Depth=1
	s_or_b32 exec_lo, exec_lo, s18
	v_lshlrev_b32_e32 v0, 24, v0
	s_delay_alu instid0(VALU_DEP_2) | instskip(NEXT) | instid1(VALU_DEP_3)
	v_lshlrev_b32_e32 v2, 20, v16
	v_lshl_add_u32 v1, v1, 23, 0x3c000000
	s_delay_alu instid0(VALU_DEP_3) | instskip(NEXT) | instid1(VALU_DEP_1)
	v_and_b32_e32 v0, 0x80000000, v0
	v_or3_b32 v64, v2, v0, v1
.LBB366_64:                             ;   in Loop: Header=BB366_10 Depth=1
	s_or_b32 exec_lo, exec_lo, s17
.LBB366_65:                             ;   in Loop: Header=BB366_10 Depth=1
	s_delay_alu instid0(SALU_CYCLE_1)
	s_or_b32 exec_lo, exec_lo, s16
.LBB366_66:                             ;   in Loop: Header=BB366_10 Depth=1
	s_delay_alu instid0(SALU_CYCLE_1)
	s_or_b32 exec_lo, exec_lo, s15
	v_dual_mov_b32 v6, 0 :: v_dual_mov_b32 v65, 0
	s_mov_b32 s15, exec_lo
	v_cmpx_lt_u64_e64 s[2:3], v[12:13]
	s_cbranch_execz .LBB366_74
; %bb.67:                               ;   in Loop: Header=BB366_10 Depth=1
	v_lshrrev_b32_e32 v0, 24, v13
	v_bfrev_b32_e32 v65, 1
	s_mov_b32 s16, exec_lo
	s_delay_alu instid0(VALU_DEP_2)
	v_cmpx_ne_u32_e32 0x80, v0
	s_cbranch_execz .LBB366_73
; %bb.68:                               ;   in Loop: Header=BB366_10 Depth=1
	v_bfe_u32 v2, v13, 24, 7
	v_mov_b32_e32 v65, 0x7f800001
	s_mov_b32 s17, exec_lo
	s_delay_alu instid0(VALU_DEP_2)
	v_cmpx_ne_u32_e32 0x7f, v2
	s_cbranch_execz .LBB366_72
; %bb.69:                               ;   in Loop: Header=BB366_10 Depth=1
	v_dual_lshrrev_b32 v1, 3, v2 :: v_dual_bitop2_b32 v16, 7, v0 bitop3:0x40
	s_mov_b32 s18, exec_lo
	v_cmpx_gt_u32_e32 8, v2
; %bb.70:                               ;   in Loop: Header=BB366_10 Depth=1
	s_delay_alu instid0(VALU_DEP_2) | instskip(NEXT) | instid1(VALU_DEP_1)
	v_clz_i32_u32_e32 v1, v16
	v_min_u32_e32 v1, 32, v1
	s_delay_alu instid0(VALU_DEP_1) | instskip(NEXT) | instid1(VALU_DEP_1)
	v_subrev_nc_u32_e32 v2, 28, v1
	v_lshlrev_b64_e32 v[2:3], v2, v[16:17]
	s_delay_alu instid0(VALU_DEP_1)
	v_dual_sub_nc_u32 v1, 29, v1 :: v_dual_bitop2_b32 v16, 7, v2 bitop3:0x40
; %bb.71:                               ;   in Loop: Header=BB366_10 Depth=1
	s_or_b32 exec_lo, exec_lo, s18
	v_lshlrev_b32_e32 v0, 24, v0
	s_delay_alu instid0(VALU_DEP_2) | instskip(NEXT) | instid1(VALU_DEP_3)
	v_lshlrev_b32_e32 v2, 20, v16
	v_lshl_add_u32 v1, v1, 23, 0x3c000000
	s_delay_alu instid0(VALU_DEP_3) | instskip(NEXT) | instid1(VALU_DEP_1)
	v_and_b32_e32 v0, 0x80000000, v0
	v_or3_b32 v65, v2, v0, v1
.LBB366_72:                             ;   in Loop: Header=BB366_10 Depth=1
	s_or_b32 exec_lo, exec_lo, s17
.LBB366_73:                             ;   in Loop: Header=BB366_10 Depth=1
	s_delay_alu instid0(SALU_CYCLE_1)
	s_or_b32 exec_lo, exec_lo, s16
.LBB366_74:                             ;   in Loop: Header=BB366_10 Depth=1
	s_delay_alu instid0(SALU_CYCLE_1)
	s_or_b32 exec_lo, exec_lo, s15
	flat_load_b64 v[12:13], v[54:55] offset:8
	s_mov_b32 s15, exec_lo
	s_wait_loadcnt_dscnt 0x0
	v_and_b32_e32 v0, 0xff, v12
	s_wait_xcnt 0x0
	s_delay_alu instid0(VALU_DEP_1)
	v_cmpx_ne_u16_e32 0, v0
	s_cbranch_execz .LBB366_82
; %bb.75:                               ;   in Loop: Header=BB366_10 Depth=1
	v_bfrev_b32_e32 v6, 1
	s_mov_b32 s16, exec_lo
	v_cmpx_ne_u16_e32 0x80, v0
	s_cbranch_execz .LBB366_81
; %bb.76:                               ;   in Loop: Header=BB366_10 Depth=1
	v_and_b32_e32 v1, 0x7f, v12
	v_mov_b32_e32 v6, 0x7f800001
	s_mov_b32 s17, exec_lo
	s_delay_alu instid0(VALU_DEP_2)
	v_cmpx_ne_u32_e32 0x7f, v1
	s_cbranch_execz .LBB366_80
; %bb.77:                               ;   in Loop: Header=BB366_10 Depth=1
	v_mov_b64_e32 v[2:3], v[12:13]
	v_lshrrev_b32_e32 v0, 3, v1
	s_mov_b32 s18, exec_lo
	v_cmpx_gt_u32_e32 8, v1
; %bb.78:                               ;   in Loop: Header=BB366_10 Depth=1
	v_and_b32_e32 v0, 7, v12
	s_delay_alu instid0(VALU_DEP_1) | instskip(NEXT) | instid1(VALU_DEP_1)
	v_clz_i32_u32_e32 v0, v0
	v_min_u32_e32 v0, 32, v0
	s_delay_alu instid0(VALU_DEP_1) | instskip(SKIP_1) | instid1(VALU_DEP_2)
	v_subrev_nc_u32_e32 v1, 28, v0
	v_sub_nc_u32_e32 v0, 29, v0
	v_lshlrev_b64_e32 v[2:3], v1, v[12:13]
; %bb.79:                               ;   in Loop: Header=BB366_10 Depth=1
	s_or_b32 exec_lo, exec_lo, s18
	s_delay_alu instid0(VALU_DEP_1) | instskip(NEXT) | instid1(VALU_DEP_3)
	v_dual_lshlrev_b32 v1, 20, v2 :: v_dual_lshlrev_b32 v2, 24, v12
	v_lshl_add_u32 v0, v0, 23, 0x3c000000
	s_delay_alu instid0(VALU_DEP_2) | instskip(NEXT) | instid1(VALU_DEP_3)
	v_and_b32_e32 v1, 0x700000, v1
	v_and_b32_e32 v2, 0x80000000, v2
	s_delay_alu instid0(VALU_DEP_1)
	v_or3_b32 v6, v1, v2, v0
.LBB366_80:                             ;   in Loop: Header=BB366_10 Depth=1
	s_or_b32 exec_lo, exec_lo, s17
.LBB366_81:                             ;   in Loop: Header=BB366_10 Depth=1
	s_delay_alu instid0(SALU_CYCLE_1)
	s_or_b32 exec_lo, exec_lo, s16
.LBB366_82:                             ;   in Loop: Header=BB366_10 Depth=1
	s_delay_alu instid0(SALU_CYCLE_1)
	s_or_b32 exec_lo, exec_lo, s15
	v_lshrrev_b16 v0, 8, v12
	v_dual_mov_b32 v48, 0 :: v_dual_mov_b32 v7, 0
	s_mov_b32 s15, exec_lo
	scratch_store_b64 off, v[6:7], s32 offset:192 ; 8-byte Folded Spill
	s_wait_xcnt 0x0
	v_cmpx_ne_u16_e32 0, v0
	s_cbranch_execz .LBB366_90
; %bb.83:                               ;   in Loop: Header=BB366_10 Depth=1
	scratch_load_b64 v[2:3], off, s32 offset:192 ; 8-byte Folded Reload
	s_wait_loadcnt 0x0
	v_bfrev_b32_e32 v3, 1
	s_mov_b32 s16, exec_lo
	scratch_store_b64 off, v[2:3], s32 offset:192 ; 8-byte Folded Spill
	s_wait_xcnt 0x0
	v_cmpx_ne_u16_e32 0x80, v0
	s_cbranch_execz .LBB366_89
; %bb.84:                               ;   in Loop: Header=BB366_10 Depth=1
	scratch_load_b64 v[2:3], off, s32 offset:192 ; 8-byte Folded Reload
	v_and_b32_e32 v0, 0xffff, v0
	s_wait_loadcnt 0x0
	v_mov_b32_e32 v3, 0x7f800001
	s_mov_b32 s17, exec_lo
	s_delay_alu instid0(VALU_DEP_2)
	v_and_b32_e32 v1, 0x7f, v0
	scratch_store_b64 off, v[2:3], s32 offset:192 ; 8-byte Folded Spill
	s_wait_xcnt 0x0
	v_cmpx_ne_u32_e32 0x7f, v1
	s_cbranch_execz .LBB366_88
; %bb.85:                               ;   in Loop: Header=BB366_10 Depth=1
	v_dual_lshrrev_b32 v0, 3, v1 :: v_dual_bitop2_b32 v16, 7, v0 bitop3:0x40
	s_mov_b32 s18, exec_lo
	v_cmpx_gt_u32_e32 8, v1
; %bb.86:                               ;   in Loop: Header=BB366_10 Depth=1
	s_delay_alu instid0(VALU_DEP_2) | instskip(NEXT) | instid1(VALU_DEP_1)
	v_clz_i32_u32_e32 v0, v16
	v_min_u32_e32 v0, 32, v0
	s_delay_alu instid0(VALU_DEP_1) | instskip(NEXT) | instid1(VALU_DEP_1)
	v_subrev_nc_u32_e32 v1, 28, v0
	v_lshlrev_b64_e32 v[2:3], v1, v[16:17]
	s_delay_alu instid0(VALU_DEP_1)
	v_dual_sub_nc_u32 v0, 29, v0 :: v_dual_bitop2_b32 v16, 7, v2 bitop3:0x40
; %bb.87:                               ;   in Loop: Header=BB366_10 Depth=1
	s_or_b32 exec_lo, exec_lo, s18
	scratch_load_b64 v[6:7], off, s32 offset:192 ; 8-byte Folded Reload
	v_lshlrev_b32_e32 v1, 16, v12
	v_lshlrev_b32_e32 v2, 20, v16
	v_lshl_add_u32 v0, v0, 23, 0x3c000000
	s_delay_alu instid0(VALU_DEP_3) | instskip(SKIP_1) | instid1(VALU_DEP_1)
	v_and_b32_e32 v1, 0x80000000, v1
	s_wait_loadcnt 0x0
	v_or3_b32 v7, v2, v1, v0
	scratch_store_b64 off, v[6:7], s32 offset:192 ; 8-byte Folded Spill
.LBB366_88:                             ;   in Loop: Header=BB366_10 Depth=1
	s_wait_xcnt 0x0
	s_or_b32 exec_lo, exec_lo, s17
.LBB366_89:                             ;   in Loop: Header=BB366_10 Depth=1
	s_delay_alu instid0(SALU_CYCLE_1)
	s_or_b32 exec_lo, exec_lo, s16
.LBB366_90:                             ;   in Loop: Header=BB366_10 Depth=1
	s_delay_alu instid0(SALU_CYCLE_1) | instskip(SKIP_2) | instid1(VALU_DEP_1)
	s_or_b32 exec_lo, exec_lo, s15
	v_lshrrev_b32_e32 v0, 16, v12
	s_mov_b32 s15, exec_lo
	v_and_b32_e32 v1, 0xff, v0
	s_delay_alu instid0(VALU_DEP_1)
	v_cmpx_ne_u16_e32 0, v1
	s_cbranch_execz .LBB366_98
; %bb.91:                               ;   in Loop: Header=BB366_10 Depth=1
	v_bfrev_b32_e32 v48, 1
	s_mov_b32 s16, exec_lo
	v_cmpx_ne_u16_e32 0x80, v1
	s_cbranch_execz .LBB366_97
; %bb.92:                               ;   in Loop: Header=BB366_10 Depth=1
	v_bfe_u32 v2, v12, 16, 7
	v_mov_b32_e32 v48, 0x7f800001
	s_mov_b32 s17, exec_lo
	s_delay_alu instid0(VALU_DEP_2)
	v_cmpx_ne_u32_e32 0x7f, v2
	s_cbranch_execz .LBB366_96
; %bb.93:                               ;   in Loop: Header=BB366_10 Depth=1
	v_dual_lshrrev_b32 v1, 3, v2 :: v_dual_bitop2_b32 v16, 7, v0 bitop3:0x40
	s_mov_b32 s18, exec_lo
	v_cmpx_gt_u32_e32 8, v2
; %bb.94:                               ;   in Loop: Header=BB366_10 Depth=1
	s_delay_alu instid0(VALU_DEP_2) | instskip(NEXT) | instid1(VALU_DEP_1)
	v_clz_i32_u32_e32 v1, v16
	v_min_u32_e32 v1, 32, v1
	s_delay_alu instid0(VALU_DEP_1) | instskip(NEXT) | instid1(VALU_DEP_1)
	v_subrev_nc_u32_e32 v2, 28, v1
	v_lshlrev_b64_e32 v[2:3], v2, v[16:17]
	s_delay_alu instid0(VALU_DEP_1)
	v_dual_sub_nc_u32 v1, 29, v1 :: v_dual_bitop2_b32 v16, 7, v2 bitop3:0x40
; %bb.95:                               ;   in Loop: Header=BB366_10 Depth=1
	s_or_b32 exec_lo, exec_lo, s18
	v_lshlrev_b32_e32 v0, 24, v0
	s_delay_alu instid0(VALU_DEP_2) | instskip(NEXT) | instid1(VALU_DEP_3)
	v_lshlrev_b32_e32 v2, 20, v16
	v_lshl_add_u32 v1, v1, 23, 0x3c000000
	s_delay_alu instid0(VALU_DEP_3) | instskip(NEXT) | instid1(VALU_DEP_1)
	v_and_b32_e32 v0, 0x80000000, v0
	v_or3_b32 v48, v2, v0, v1
.LBB366_96:                             ;   in Loop: Header=BB366_10 Depth=1
	s_or_b32 exec_lo, exec_lo, s17
.LBB366_97:                             ;   in Loop: Header=BB366_10 Depth=1
	s_delay_alu instid0(SALU_CYCLE_1)
	s_or_b32 exec_lo, exec_lo, s16
.LBB366_98:                             ;   in Loop: Header=BB366_10 Depth=1
	s_delay_alu instid0(SALU_CYCLE_1)
	s_or_b32 exec_lo, exec_lo, s15
	v_dual_mov_b32 v36, 0 :: v_dual_mov_b32 v49, 0
	s_mov_b32 s15, exec_lo
	v_cmpx_lt_u32_e32 0xffffff, v12
	s_cbranch_execz .LBB366_106
; %bb.99:                               ;   in Loop: Header=BB366_10 Depth=1
	v_lshrrev_b32_e32 v0, 24, v12
	v_bfrev_b32_e32 v49, 1
	s_mov_b32 s16, exec_lo
	s_delay_alu instid0(VALU_DEP_2)
	v_cmpx_ne_u32_e32 0x80, v0
	s_cbranch_execz .LBB366_105
; %bb.100:                              ;   in Loop: Header=BB366_10 Depth=1
	v_bfe_u32 v2, v12, 24, 7
	v_mov_b32_e32 v49, 0x7f800001
	s_mov_b32 s17, exec_lo
	s_delay_alu instid0(VALU_DEP_2)
	v_cmpx_ne_u32_e32 0x7f, v2
	s_cbranch_execz .LBB366_104
; %bb.101:                              ;   in Loop: Header=BB366_10 Depth=1
	v_dual_lshrrev_b32 v1, 3, v2 :: v_dual_bitop2_b32 v16, 7, v0 bitop3:0x40
	s_mov_b32 s18, exec_lo
	v_cmpx_gt_u32_e32 8, v2
; %bb.102:                              ;   in Loop: Header=BB366_10 Depth=1
	s_delay_alu instid0(VALU_DEP_2) | instskip(NEXT) | instid1(VALU_DEP_1)
	v_clz_i32_u32_e32 v1, v16
	v_min_u32_e32 v1, 32, v1
	s_delay_alu instid0(VALU_DEP_1) | instskip(NEXT) | instid1(VALU_DEP_1)
	v_subrev_nc_u32_e32 v2, 28, v1
	v_lshlrev_b64_e32 v[2:3], v2, v[16:17]
	s_delay_alu instid0(VALU_DEP_1)
	v_dual_sub_nc_u32 v1, 29, v1 :: v_dual_bitop2_b32 v16, 7, v2 bitop3:0x40
; %bb.103:                              ;   in Loop: Header=BB366_10 Depth=1
	s_or_b32 exec_lo, exec_lo, s18
	v_lshlrev_b32_e32 v0, 24, v0
	s_delay_alu instid0(VALU_DEP_2) | instskip(NEXT) | instid1(VALU_DEP_3)
	v_lshlrev_b32_e32 v2, 20, v16
	v_lshl_add_u32 v1, v1, 23, 0x3c000000
	s_delay_alu instid0(VALU_DEP_3) | instskip(NEXT) | instid1(VALU_DEP_1)
	v_and_b32_e32 v0, 0x80000000, v0
	v_or3_b32 v49, v2, v0, v1
.LBB366_104:                            ;   in Loop: Header=BB366_10 Depth=1
	s_or_b32 exec_lo, exec_lo, s17
.LBB366_105:                            ;   in Loop: Header=BB366_10 Depth=1
	s_delay_alu instid0(SALU_CYCLE_1)
	s_or_b32 exec_lo, exec_lo, s16
.LBB366_106:                            ;   in Loop: Header=BB366_10 Depth=1
	s_delay_alu instid0(SALU_CYCLE_1) | instskip(SKIP_3) | instid1(VALU_DEP_2)
	s_or_b32 exec_lo, exec_lo, s15
	v_and_b32_e32 v0, 0xff, v13
	v_mov_b32_e32 v16, v13
	s_mov_b32 s15, exec_lo
	v_cmpx_ne_u16_e32 0, v0
	s_cbranch_execz .LBB366_114
; %bb.107:                              ;   in Loop: Header=BB366_10 Depth=1
	v_bfrev_b32_e32 v36, 1
	s_mov_b32 s16, exec_lo
	v_cmpx_ne_u16_e32 0x80, v0
	s_cbranch_execz .LBB366_113
; %bb.108:                              ;   in Loop: Header=BB366_10 Depth=1
	v_and_b32_e32 v1, 0x7f, v13
	v_mov_b32_e32 v36, 0x7f800001
	s_mov_b32 s17, exec_lo
	s_delay_alu instid0(VALU_DEP_2)
	v_cmpx_ne_u32_e32 0x7f, v1
	s_cbranch_execz .LBB366_112
; %bb.109:                              ;   in Loop: Header=BB366_10 Depth=1
	v_mov_b64_e32 v[2:3], v[16:17]
	v_lshrrev_b32_e32 v0, 3, v1
	s_mov_b32 s18, exec_lo
	v_cmpx_gt_u32_e32 8, v1
; %bb.110:                              ;   in Loop: Header=BB366_10 Depth=1
	v_and_b32_e32 v0, 7, v13
	s_delay_alu instid0(VALU_DEP_1) | instskip(NEXT) | instid1(VALU_DEP_1)
	v_clz_i32_u32_e32 v0, v0
	v_min_u32_e32 v0, 32, v0
	s_delay_alu instid0(VALU_DEP_1) | instskip(SKIP_1) | instid1(VALU_DEP_2)
	v_subrev_nc_u32_e32 v1, 28, v0
	v_sub_nc_u32_e32 v0, 29, v0
	v_lshlrev_b64_e32 v[2:3], v1, v[16:17]
; %bb.111:                              ;   in Loop: Header=BB366_10 Depth=1
	s_or_b32 exec_lo, exec_lo, s18
	s_delay_alu instid0(VALU_DEP_1) | instskip(NEXT) | instid1(VALU_DEP_3)
	v_dual_lshlrev_b32 v1, 20, v2 :: v_dual_lshlrev_b32 v2, 24, v16
	v_lshl_add_u32 v0, v0, 23, 0x3c000000
	s_delay_alu instid0(VALU_DEP_2) | instskip(NEXT) | instid1(VALU_DEP_3)
	v_and_b32_e32 v1, 0x700000, v1
	v_and_b32_e32 v2, 0x80000000, v2
	s_delay_alu instid0(VALU_DEP_1)
	v_or3_b32 v36, v1, v2, v0
.LBB366_112:                            ;   in Loop: Header=BB366_10 Depth=1
	s_or_b32 exec_lo, exec_lo, s17
.LBB366_113:                            ;   in Loop: Header=BB366_10 Depth=1
	s_delay_alu instid0(SALU_CYCLE_1)
	s_or_b32 exec_lo, exec_lo, s16
.LBB366_114:                            ;   in Loop: Header=BB366_10 Depth=1
	s_delay_alu instid0(SALU_CYCLE_1) | instskip(SKIP_3) | instid1(VALU_DEP_2)
	s_or_b32 exec_lo, exec_lo, s15
	v_lshrrev_b16 v0, 8, v16
	v_dual_mov_b32 v66, 0 :: v_dual_mov_b32 v37, 0
	s_mov_b32 s15, exec_lo
	v_cmpx_ne_u16_e32 0, v0
	s_cbranch_execz .LBB366_122
; %bb.115:                              ;   in Loop: Header=BB366_10 Depth=1
	v_bfrev_b32_e32 v37, 1
	s_mov_b32 s16, exec_lo
	v_cmpx_ne_u16_e32 0x80, v0
	s_cbranch_execz .LBB366_121
; %bb.116:                              ;   in Loop: Header=BB366_10 Depth=1
	v_and_b32_e32 v0, 0xffff, v0
	v_mov_b32_e32 v37, 0x7f800001
	s_mov_b32 s17, exec_lo
	s_delay_alu instid0(VALU_DEP_2) | instskip(NEXT) | instid1(VALU_DEP_1)
	v_and_b32_e32 v1, 0x7f, v0
	v_cmpx_ne_u32_e32 0x7f, v1
	s_cbranch_execz .LBB366_120
; %bb.117:                              ;   in Loop: Header=BB366_10 Depth=1
	v_dual_mov_b32 v3, v17 :: v_dual_bitop2_b32 v2, 7, v0 bitop3:0x40
	v_lshrrev_b32_e32 v0, 3, v1
	s_mov_b32 s18, exec_lo
	v_cmpx_gt_u32_e32 8, v1
; %bb.118:                              ;   in Loop: Header=BB366_10 Depth=1
	s_delay_alu instid0(VALU_DEP_3) | instskip(NEXT) | instid1(VALU_DEP_1)
	v_clz_i32_u32_e32 v0, v2
	v_min_u32_e32 v0, 32, v0
	s_delay_alu instid0(VALU_DEP_1) | instskip(NEXT) | instid1(VALU_DEP_1)
	v_subrev_nc_u32_e32 v1, 28, v0
	v_lshlrev_b64_e32 v[2:3], v1, v[2:3]
	s_delay_alu instid0(VALU_DEP_1)
	v_dual_sub_nc_u32 v0, 29, v0 :: v_dual_bitop2_b32 v2, 7, v2 bitop3:0x40
; %bb.119:                              ;   in Loop: Header=BB366_10 Depth=1
	s_or_b32 exec_lo, exec_lo, s18
	s_delay_alu instid0(VALU_DEP_1) | instskip(NEXT) | instid1(VALU_DEP_2)
	v_dual_lshlrev_b32 v1, 16, v16 :: v_dual_lshlrev_b32 v2, 20, v2
	v_lshl_add_u32 v0, v0, 23, 0x3c000000
	s_delay_alu instid0(VALU_DEP_2) | instskip(NEXT) | instid1(VALU_DEP_1)
	v_and_b32_e32 v1, 0x80000000, v1
	v_or3_b32 v37, v2, v1, v0
.LBB366_120:                            ;   in Loop: Header=BB366_10 Depth=1
	s_or_b32 exec_lo, exec_lo, s17
.LBB366_121:                            ;   in Loop: Header=BB366_10 Depth=1
	s_delay_alu instid0(SALU_CYCLE_1)
	s_or_b32 exec_lo, exec_lo, s16
.LBB366_122:                            ;   in Loop: Header=BB366_10 Depth=1
	s_delay_alu instid0(SALU_CYCLE_1) | instskip(SKIP_2) | instid1(VALU_DEP_1)
	s_or_b32 exec_lo, exec_lo, s15
	v_lshrrev_b32_e32 v0, 16, v13
	s_mov_b32 s15, exec_lo
	v_and_b32_e32 v1, 0xff, v0
	s_delay_alu instid0(VALU_DEP_1)
	v_cmpx_ne_u16_e32 0, v1
	s_cbranch_execz .LBB366_130
; %bb.123:                              ;   in Loop: Header=BB366_10 Depth=1
	v_bfrev_b32_e32 v66, 1
	s_mov_b32 s16, exec_lo
	v_cmpx_ne_u16_e32 0x80, v1
	s_cbranch_execz .LBB366_129
; %bb.124:                              ;   in Loop: Header=BB366_10 Depth=1
	v_bfe_u32 v2, v13, 16, 7
	v_mov_b32_e32 v66, 0x7f800001
	s_mov_b32 s17, exec_lo
	s_delay_alu instid0(VALU_DEP_2)
	v_cmpx_ne_u32_e32 0x7f, v2
	s_cbranch_execz .LBB366_128
; %bb.125:                              ;   in Loop: Header=BB366_10 Depth=1
	v_dual_lshrrev_b32 v1, 3, v2 :: v_dual_bitop2_b32 v16, 7, v0 bitop3:0x40
	s_mov_b32 s18, exec_lo
	v_cmpx_gt_u32_e32 8, v2
; %bb.126:                              ;   in Loop: Header=BB366_10 Depth=1
	s_delay_alu instid0(VALU_DEP_2) | instskip(NEXT) | instid1(VALU_DEP_1)
	v_clz_i32_u32_e32 v1, v16
	v_min_u32_e32 v1, 32, v1
	s_delay_alu instid0(VALU_DEP_1) | instskip(NEXT) | instid1(VALU_DEP_1)
	v_subrev_nc_u32_e32 v2, 28, v1
	v_lshlrev_b64_e32 v[2:3], v2, v[16:17]
	s_delay_alu instid0(VALU_DEP_1)
	v_dual_sub_nc_u32 v1, 29, v1 :: v_dual_bitop2_b32 v16, 7, v2 bitop3:0x40
; %bb.127:                              ;   in Loop: Header=BB366_10 Depth=1
	s_or_b32 exec_lo, exec_lo, s18
	v_lshlrev_b32_e32 v0, 24, v0
	s_delay_alu instid0(VALU_DEP_2) | instskip(NEXT) | instid1(VALU_DEP_3)
	v_lshlrev_b32_e32 v2, 20, v16
	v_lshl_add_u32 v1, v1, 23, 0x3c000000
	s_delay_alu instid0(VALU_DEP_3) | instskip(NEXT) | instid1(VALU_DEP_1)
	v_and_b32_e32 v0, 0x80000000, v0
	v_or3_b32 v66, v2, v0, v1
.LBB366_128:                            ;   in Loop: Header=BB366_10 Depth=1
	s_or_b32 exec_lo, exec_lo, s17
.LBB366_129:                            ;   in Loop: Header=BB366_10 Depth=1
	s_delay_alu instid0(SALU_CYCLE_1)
	s_or_b32 exec_lo, exec_lo, s16
.LBB366_130:                            ;   in Loop: Header=BB366_10 Depth=1
	s_delay_alu instid0(SALU_CYCLE_1)
	s_or_b32 exec_lo, exec_lo, s15
	v_dual_mov_b32 v68, 0 :: v_dual_mov_b32 v67, 0
	s_mov_b32 s15, exec_lo
	v_cmpx_lt_u64_e64 s[2:3], v[12:13]
	s_cbranch_execz .LBB366_138
; %bb.131:                              ;   in Loop: Header=BB366_10 Depth=1
	v_lshrrev_b32_e32 v0, 24, v13
	v_bfrev_b32_e32 v67, 1
	s_mov_b32 s16, exec_lo
	s_delay_alu instid0(VALU_DEP_2)
	v_cmpx_ne_u32_e32 0x80, v0
	s_cbranch_execz .LBB366_137
; %bb.132:                              ;   in Loop: Header=BB366_10 Depth=1
	v_bfe_u32 v2, v13, 24, 7
	v_mov_b32_e32 v67, 0x7f800001
	s_mov_b32 s17, exec_lo
	s_delay_alu instid0(VALU_DEP_2)
	v_cmpx_ne_u32_e32 0x7f, v2
	s_cbranch_execz .LBB366_136
; %bb.133:                              ;   in Loop: Header=BB366_10 Depth=1
	v_dual_lshrrev_b32 v1, 3, v2 :: v_dual_bitop2_b32 v16, 7, v0 bitop3:0x40
	s_mov_b32 s18, exec_lo
	v_cmpx_gt_u32_e32 8, v2
; %bb.134:                              ;   in Loop: Header=BB366_10 Depth=1
	s_delay_alu instid0(VALU_DEP_2) | instskip(NEXT) | instid1(VALU_DEP_1)
	v_clz_i32_u32_e32 v1, v16
	v_min_u32_e32 v1, 32, v1
	s_delay_alu instid0(VALU_DEP_1) | instskip(NEXT) | instid1(VALU_DEP_1)
	v_subrev_nc_u32_e32 v2, 28, v1
	v_lshlrev_b64_e32 v[2:3], v2, v[16:17]
	s_delay_alu instid0(VALU_DEP_1)
	v_dual_sub_nc_u32 v1, 29, v1 :: v_dual_bitop2_b32 v16, 7, v2 bitop3:0x40
; %bb.135:                              ;   in Loop: Header=BB366_10 Depth=1
	s_or_b32 exec_lo, exec_lo, s18
	v_lshlrev_b32_e32 v0, 24, v0
	s_delay_alu instid0(VALU_DEP_2) | instskip(NEXT) | instid1(VALU_DEP_3)
	v_lshlrev_b32_e32 v2, 20, v16
	v_lshl_add_u32 v1, v1, 23, 0x3c000000
	s_delay_alu instid0(VALU_DEP_3) | instskip(NEXT) | instid1(VALU_DEP_1)
	v_and_b32_e32 v0, 0x80000000, v0
	v_or3_b32 v67, v2, v0, v1
.LBB366_136:                            ;   in Loop: Header=BB366_10 Depth=1
	s_or_b32 exec_lo, exec_lo, s17
.LBB366_137:                            ;   in Loop: Header=BB366_10 Depth=1
	s_delay_alu instid0(SALU_CYCLE_1)
	s_or_b32 exec_lo, exec_lo, s16
.LBB366_138:                            ;   in Loop: Header=BB366_10 Depth=1
	s_delay_alu instid0(SALU_CYCLE_1)
	s_or_b32 exec_lo, exec_lo, s15
	flat_load_b64 v[12:13], v[54:55] offset:512
	s_mov_b32 s15, exec_lo
	s_wait_loadcnt_dscnt 0x0
	v_and_b32_e32 v0, 0xff, v12
	s_wait_xcnt 0x0
	s_delay_alu instid0(VALU_DEP_1)
	v_cmpx_ne_u16_e32 0, v0
	s_cbranch_execz .LBB366_146
; %bb.139:                              ;   in Loop: Header=BB366_10 Depth=1
	v_bfrev_b32_e32 v68, 1
	s_mov_b32 s16, exec_lo
	v_cmpx_ne_u16_e32 0x80, v0
	s_cbranch_execz .LBB366_145
; %bb.140:                              ;   in Loop: Header=BB366_10 Depth=1
	v_and_b32_e32 v1, 0x7f, v12
	v_mov_b32_e32 v68, 0x7f800001
	s_mov_b32 s17, exec_lo
	s_delay_alu instid0(VALU_DEP_2)
	v_cmpx_ne_u32_e32 0x7f, v1
	s_cbranch_execz .LBB366_144
; %bb.141:                              ;   in Loop: Header=BB366_10 Depth=1
	v_mov_b64_e32 v[2:3], v[12:13]
	v_lshrrev_b32_e32 v0, 3, v1
	s_mov_b32 s18, exec_lo
	v_cmpx_gt_u32_e32 8, v1
; %bb.142:                              ;   in Loop: Header=BB366_10 Depth=1
	v_and_b32_e32 v0, 7, v12
	s_delay_alu instid0(VALU_DEP_1) | instskip(NEXT) | instid1(VALU_DEP_1)
	v_clz_i32_u32_e32 v0, v0
	v_min_u32_e32 v0, 32, v0
	s_delay_alu instid0(VALU_DEP_1) | instskip(SKIP_1) | instid1(VALU_DEP_2)
	v_subrev_nc_u32_e32 v1, 28, v0
	v_sub_nc_u32_e32 v0, 29, v0
	v_lshlrev_b64_e32 v[2:3], v1, v[12:13]
; %bb.143:                              ;   in Loop: Header=BB366_10 Depth=1
	s_or_b32 exec_lo, exec_lo, s18
	s_delay_alu instid0(VALU_DEP_1) | instskip(NEXT) | instid1(VALU_DEP_3)
	v_dual_lshlrev_b32 v1, 20, v2 :: v_dual_lshlrev_b32 v2, 24, v12
	v_lshl_add_u32 v0, v0, 23, 0x3c000000
	s_delay_alu instid0(VALU_DEP_2) | instskip(NEXT) | instid1(VALU_DEP_3)
	v_and_b32_e32 v1, 0x700000, v1
	v_and_b32_e32 v2, 0x80000000, v2
	s_delay_alu instid0(VALU_DEP_1)
	v_or3_b32 v68, v1, v2, v0
.LBB366_144:                            ;   in Loop: Header=BB366_10 Depth=1
	s_or_b32 exec_lo, exec_lo, s17
.LBB366_145:                            ;   in Loop: Header=BB366_10 Depth=1
	s_delay_alu instid0(SALU_CYCLE_1)
	s_or_b32 exec_lo, exec_lo, s16
.LBB366_146:                            ;   in Loop: Header=BB366_10 Depth=1
	s_delay_alu instid0(SALU_CYCLE_1) | instskip(SKIP_3) | instid1(VALU_DEP_2)
	s_or_b32 exec_lo, exec_lo, s15
	v_lshrrev_b16 v0, 8, v12
	v_dual_mov_b32 v70, 0 :: v_dual_mov_b32 v69, 0
	s_mov_b32 s15, exec_lo
	v_cmpx_ne_u16_e32 0, v0
	s_cbranch_execz .LBB366_154
; %bb.147:                              ;   in Loop: Header=BB366_10 Depth=1
	v_bfrev_b32_e32 v69, 1
	s_mov_b32 s16, exec_lo
	v_cmpx_ne_u16_e32 0x80, v0
	s_cbranch_execz .LBB366_153
; %bb.148:                              ;   in Loop: Header=BB366_10 Depth=1
	v_and_b32_e32 v0, 0xffff, v0
	v_mov_b32_e32 v69, 0x7f800001
	s_mov_b32 s17, exec_lo
	s_delay_alu instid0(VALU_DEP_2) | instskip(NEXT) | instid1(VALU_DEP_1)
	v_and_b32_e32 v1, 0x7f, v0
	v_cmpx_ne_u32_e32 0x7f, v1
	s_cbranch_execz .LBB366_152
; %bb.149:                              ;   in Loop: Header=BB366_10 Depth=1
	v_dual_lshrrev_b32 v0, 3, v1 :: v_dual_bitop2_b32 v16, 7, v0 bitop3:0x40
	s_mov_b32 s18, exec_lo
	v_cmpx_gt_u32_e32 8, v1
; %bb.150:                              ;   in Loop: Header=BB366_10 Depth=1
	s_delay_alu instid0(VALU_DEP_2) | instskip(NEXT) | instid1(VALU_DEP_1)
	v_clz_i32_u32_e32 v0, v16
	v_min_u32_e32 v0, 32, v0
	s_delay_alu instid0(VALU_DEP_1) | instskip(NEXT) | instid1(VALU_DEP_1)
	v_subrev_nc_u32_e32 v1, 28, v0
	v_lshlrev_b64_e32 v[2:3], v1, v[16:17]
	s_delay_alu instid0(VALU_DEP_1)
	v_dual_sub_nc_u32 v0, 29, v0 :: v_dual_bitop2_b32 v16, 7, v2 bitop3:0x40
; %bb.151:                              ;   in Loop: Header=BB366_10 Depth=1
	s_or_b32 exec_lo, exec_lo, s18
	v_lshlrev_b32_e32 v1, 16, v12
	s_delay_alu instid0(VALU_DEP_2) | instskip(NEXT) | instid1(VALU_DEP_3)
	v_lshlrev_b32_e32 v2, 20, v16
	v_lshl_add_u32 v0, v0, 23, 0x3c000000
	s_delay_alu instid0(VALU_DEP_3) | instskip(NEXT) | instid1(VALU_DEP_1)
	v_and_b32_e32 v1, 0x80000000, v1
	v_or3_b32 v69, v2, v1, v0
.LBB366_152:                            ;   in Loop: Header=BB366_10 Depth=1
	s_or_b32 exec_lo, exec_lo, s17
.LBB366_153:                            ;   in Loop: Header=BB366_10 Depth=1
	s_delay_alu instid0(SALU_CYCLE_1)
	s_or_b32 exec_lo, exec_lo, s16
.LBB366_154:                            ;   in Loop: Header=BB366_10 Depth=1
	s_delay_alu instid0(SALU_CYCLE_1) | instskip(SKIP_2) | instid1(VALU_DEP_1)
	s_or_b32 exec_lo, exec_lo, s15
	v_lshrrev_b32_e32 v0, 16, v12
	s_mov_b32 s15, exec_lo
	v_and_b32_e32 v1, 0xff, v0
	s_delay_alu instid0(VALU_DEP_1)
	v_cmpx_ne_u16_e32 0, v1
	s_cbranch_execz .LBB366_162
; %bb.155:                              ;   in Loop: Header=BB366_10 Depth=1
	v_bfrev_b32_e32 v70, 1
	s_mov_b32 s16, exec_lo
	v_cmpx_ne_u16_e32 0x80, v1
	s_cbranch_execz .LBB366_161
; %bb.156:                              ;   in Loop: Header=BB366_10 Depth=1
	v_bfe_u32 v2, v12, 16, 7
	v_mov_b32_e32 v70, 0x7f800001
	s_mov_b32 s17, exec_lo
	s_delay_alu instid0(VALU_DEP_2)
	v_cmpx_ne_u32_e32 0x7f, v2
	s_cbranch_execz .LBB366_160
; %bb.157:                              ;   in Loop: Header=BB366_10 Depth=1
	v_dual_lshrrev_b32 v1, 3, v2 :: v_dual_bitop2_b32 v16, 7, v0 bitop3:0x40
	s_mov_b32 s18, exec_lo
	v_cmpx_gt_u32_e32 8, v2
; %bb.158:                              ;   in Loop: Header=BB366_10 Depth=1
	s_delay_alu instid0(VALU_DEP_2) | instskip(NEXT) | instid1(VALU_DEP_1)
	v_clz_i32_u32_e32 v1, v16
	v_min_u32_e32 v1, 32, v1
	s_delay_alu instid0(VALU_DEP_1) | instskip(NEXT) | instid1(VALU_DEP_1)
	v_subrev_nc_u32_e32 v2, 28, v1
	v_lshlrev_b64_e32 v[2:3], v2, v[16:17]
	s_delay_alu instid0(VALU_DEP_1)
	v_dual_sub_nc_u32 v1, 29, v1 :: v_dual_bitop2_b32 v16, 7, v2 bitop3:0x40
; %bb.159:                              ;   in Loop: Header=BB366_10 Depth=1
	s_or_b32 exec_lo, exec_lo, s18
	v_lshlrev_b32_e32 v0, 24, v0
	s_delay_alu instid0(VALU_DEP_2) | instskip(NEXT) | instid1(VALU_DEP_3)
	v_lshlrev_b32_e32 v2, 20, v16
	v_lshl_add_u32 v1, v1, 23, 0x3c000000
	s_delay_alu instid0(VALU_DEP_3) | instskip(NEXT) | instid1(VALU_DEP_1)
	v_and_b32_e32 v0, 0x80000000, v0
	v_or3_b32 v70, v2, v0, v1
.LBB366_160:                            ;   in Loop: Header=BB366_10 Depth=1
	s_or_b32 exec_lo, exec_lo, s17
.LBB366_161:                            ;   in Loop: Header=BB366_10 Depth=1
	s_delay_alu instid0(SALU_CYCLE_1)
	s_or_b32 exec_lo, exec_lo, s16
.LBB366_162:                            ;   in Loop: Header=BB366_10 Depth=1
	s_delay_alu instid0(SALU_CYCLE_1)
	s_or_b32 exec_lo, exec_lo, s15
	v_dual_mov_b32 v80, 0 :: v_dual_mov_b32 v71, 0
	s_mov_b32 s15, exec_lo
	v_cmpx_lt_u32_e32 0xffffff, v12
	s_cbranch_execz .LBB366_170
; %bb.163:                              ;   in Loop: Header=BB366_10 Depth=1
	v_lshrrev_b32_e32 v0, 24, v12
	v_bfrev_b32_e32 v71, 1
	s_mov_b32 s16, exec_lo
	s_delay_alu instid0(VALU_DEP_2)
	v_cmpx_ne_u32_e32 0x80, v0
	s_cbranch_execz .LBB366_169
; %bb.164:                              ;   in Loop: Header=BB366_10 Depth=1
	v_bfe_u32 v2, v12, 24, 7
	v_mov_b32_e32 v71, 0x7f800001
	s_mov_b32 s17, exec_lo
	s_delay_alu instid0(VALU_DEP_2)
	v_cmpx_ne_u32_e32 0x7f, v2
	s_cbranch_execz .LBB366_168
; %bb.165:                              ;   in Loop: Header=BB366_10 Depth=1
	v_dual_lshrrev_b32 v1, 3, v2 :: v_dual_bitop2_b32 v16, 7, v0 bitop3:0x40
	s_mov_b32 s18, exec_lo
	v_cmpx_gt_u32_e32 8, v2
; %bb.166:                              ;   in Loop: Header=BB366_10 Depth=1
	s_delay_alu instid0(VALU_DEP_2) | instskip(NEXT) | instid1(VALU_DEP_1)
	v_clz_i32_u32_e32 v1, v16
	v_min_u32_e32 v1, 32, v1
	s_delay_alu instid0(VALU_DEP_1) | instskip(NEXT) | instid1(VALU_DEP_1)
	v_subrev_nc_u32_e32 v2, 28, v1
	v_lshlrev_b64_e32 v[2:3], v2, v[16:17]
	s_delay_alu instid0(VALU_DEP_1)
	v_dual_sub_nc_u32 v1, 29, v1 :: v_dual_bitop2_b32 v16, 7, v2 bitop3:0x40
; %bb.167:                              ;   in Loop: Header=BB366_10 Depth=1
	s_or_b32 exec_lo, exec_lo, s18
	v_lshlrev_b32_e32 v0, 24, v0
	s_delay_alu instid0(VALU_DEP_2) | instskip(NEXT) | instid1(VALU_DEP_3)
	v_lshlrev_b32_e32 v2, 20, v16
	v_lshl_add_u32 v1, v1, 23, 0x3c000000
	s_delay_alu instid0(VALU_DEP_3) | instskip(NEXT) | instid1(VALU_DEP_1)
	v_and_b32_e32 v0, 0x80000000, v0
	v_or3_b32 v71, v2, v0, v1
.LBB366_168:                            ;   in Loop: Header=BB366_10 Depth=1
	s_or_b32 exec_lo, exec_lo, s17
.LBB366_169:                            ;   in Loop: Header=BB366_10 Depth=1
	s_delay_alu instid0(SALU_CYCLE_1)
	s_or_b32 exec_lo, exec_lo, s16
.LBB366_170:                            ;   in Loop: Header=BB366_10 Depth=1
	s_delay_alu instid0(SALU_CYCLE_1) | instskip(SKIP_3) | instid1(VALU_DEP_2)
	s_or_b32 exec_lo, exec_lo, s15
	v_and_b32_e32 v0, 0xff, v13
	v_mov_b32_e32 v16, v13
	s_mov_b32 s15, exec_lo
	v_cmpx_ne_u16_e32 0, v0
	s_cbranch_execz .LBB366_178
; %bb.171:                              ;   in Loop: Header=BB366_10 Depth=1
	v_bfrev_b32_e32 v80, 1
	s_mov_b32 s16, exec_lo
	v_cmpx_ne_u16_e32 0x80, v0
	s_cbranch_execz .LBB366_177
; %bb.172:                              ;   in Loop: Header=BB366_10 Depth=1
	v_and_b32_e32 v1, 0x7f, v13
	v_mov_b32_e32 v80, 0x7f800001
	s_mov_b32 s17, exec_lo
	s_delay_alu instid0(VALU_DEP_2)
	v_cmpx_ne_u32_e32 0x7f, v1
	s_cbranch_execz .LBB366_176
; %bb.173:                              ;   in Loop: Header=BB366_10 Depth=1
	v_mov_b64_e32 v[2:3], v[16:17]
	v_lshrrev_b32_e32 v0, 3, v1
	s_mov_b32 s18, exec_lo
	v_cmpx_gt_u32_e32 8, v1
; %bb.174:                              ;   in Loop: Header=BB366_10 Depth=1
	v_and_b32_e32 v0, 7, v13
	s_delay_alu instid0(VALU_DEP_1) | instskip(NEXT) | instid1(VALU_DEP_1)
	v_clz_i32_u32_e32 v0, v0
	v_min_u32_e32 v0, 32, v0
	s_delay_alu instid0(VALU_DEP_1) | instskip(SKIP_1) | instid1(VALU_DEP_2)
	v_subrev_nc_u32_e32 v1, 28, v0
	v_sub_nc_u32_e32 v0, 29, v0
	v_lshlrev_b64_e32 v[2:3], v1, v[16:17]
; %bb.175:                              ;   in Loop: Header=BB366_10 Depth=1
	s_or_b32 exec_lo, exec_lo, s18
	s_delay_alu instid0(VALU_DEP_1) | instskip(NEXT) | instid1(VALU_DEP_3)
	v_dual_lshlrev_b32 v1, 20, v2 :: v_dual_lshlrev_b32 v2, 24, v16
	v_lshl_add_u32 v0, v0, 23, 0x3c000000
	s_delay_alu instid0(VALU_DEP_2) | instskip(NEXT) | instid1(VALU_DEP_3)
	v_and_b32_e32 v1, 0x700000, v1
	v_and_b32_e32 v2, 0x80000000, v2
	s_delay_alu instid0(VALU_DEP_1)
	v_or3_b32 v80, v1, v2, v0
.LBB366_176:                            ;   in Loop: Header=BB366_10 Depth=1
	s_or_b32 exec_lo, exec_lo, s17
.LBB366_177:                            ;   in Loop: Header=BB366_10 Depth=1
	s_delay_alu instid0(SALU_CYCLE_1)
	s_or_b32 exec_lo, exec_lo, s16
.LBB366_178:                            ;   in Loop: Header=BB366_10 Depth=1
	s_delay_alu instid0(SALU_CYCLE_1) | instskip(SKIP_3) | instid1(VALU_DEP_2)
	s_or_b32 exec_lo, exec_lo, s15
	v_lshrrev_b16 v0, 8, v16
	v_dual_mov_b32 v82, 0 :: v_dual_mov_b32 v81, 0
	s_mov_b32 s15, exec_lo
	v_cmpx_ne_u16_e32 0, v0
	s_cbranch_execz .LBB366_186
; %bb.179:                              ;   in Loop: Header=BB366_10 Depth=1
	v_bfrev_b32_e32 v81, 1
	s_mov_b32 s16, exec_lo
	v_cmpx_ne_u16_e32 0x80, v0
	s_cbranch_execz .LBB366_185
; %bb.180:                              ;   in Loop: Header=BB366_10 Depth=1
	v_and_b32_e32 v0, 0xffff, v0
	v_mov_b32_e32 v81, 0x7f800001
	s_mov_b32 s17, exec_lo
	s_delay_alu instid0(VALU_DEP_2) | instskip(NEXT) | instid1(VALU_DEP_1)
	v_and_b32_e32 v1, 0x7f, v0
	v_cmpx_ne_u32_e32 0x7f, v1
	s_cbranch_execz .LBB366_184
; %bb.181:                              ;   in Loop: Header=BB366_10 Depth=1
	v_dual_mov_b32 v3, v17 :: v_dual_bitop2_b32 v2, 7, v0 bitop3:0x40
	v_lshrrev_b32_e32 v0, 3, v1
	s_mov_b32 s18, exec_lo
	v_cmpx_gt_u32_e32 8, v1
; %bb.182:                              ;   in Loop: Header=BB366_10 Depth=1
	s_delay_alu instid0(VALU_DEP_3) | instskip(NEXT) | instid1(VALU_DEP_1)
	v_clz_i32_u32_e32 v0, v2
	v_min_u32_e32 v0, 32, v0
	s_delay_alu instid0(VALU_DEP_1) | instskip(NEXT) | instid1(VALU_DEP_1)
	v_subrev_nc_u32_e32 v1, 28, v0
	v_lshlrev_b64_e32 v[2:3], v1, v[2:3]
	s_delay_alu instid0(VALU_DEP_1)
	v_dual_sub_nc_u32 v0, 29, v0 :: v_dual_bitop2_b32 v2, 7, v2 bitop3:0x40
; %bb.183:                              ;   in Loop: Header=BB366_10 Depth=1
	s_or_b32 exec_lo, exec_lo, s18
	s_delay_alu instid0(VALU_DEP_1) | instskip(NEXT) | instid1(VALU_DEP_2)
	v_dual_lshlrev_b32 v1, 16, v16 :: v_dual_lshlrev_b32 v2, 20, v2
	v_lshl_add_u32 v0, v0, 23, 0x3c000000
	s_delay_alu instid0(VALU_DEP_2) | instskip(NEXT) | instid1(VALU_DEP_1)
	v_and_b32_e32 v1, 0x80000000, v1
	v_or3_b32 v81, v2, v1, v0
.LBB366_184:                            ;   in Loop: Header=BB366_10 Depth=1
	s_or_b32 exec_lo, exec_lo, s17
.LBB366_185:                            ;   in Loop: Header=BB366_10 Depth=1
	s_delay_alu instid0(SALU_CYCLE_1)
	s_or_b32 exec_lo, exec_lo, s16
.LBB366_186:                            ;   in Loop: Header=BB366_10 Depth=1
	s_delay_alu instid0(SALU_CYCLE_1) | instskip(SKIP_2) | instid1(VALU_DEP_1)
	s_or_b32 exec_lo, exec_lo, s15
	v_lshrrev_b32_e32 v0, 16, v13
	s_mov_b32 s15, exec_lo
	v_and_b32_e32 v1, 0xff, v0
	s_delay_alu instid0(VALU_DEP_1)
	v_cmpx_ne_u16_e32 0, v1
	s_cbranch_execz .LBB366_194
; %bb.187:                              ;   in Loop: Header=BB366_10 Depth=1
	v_bfrev_b32_e32 v82, 1
	s_mov_b32 s16, exec_lo
	v_cmpx_ne_u16_e32 0x80, v1
	s_cbranch_execz .LBB366_193
; %bb.188:                              ;   in Loop: Header=BB366_10 Depth=1
	v_bfe_u32 v2, v13, 16, 7
	v_mov_b32_e32 v82, 0x7f800001
	s_mov_b32 s17, exec_lo
	s_delay_alu instid0(VALU_DEP_2)
	v_cmpx_ne_u32_e32 0x7f, v2
	s_cbranch_execz .LBB366_192
; %bb.189:                              ;   in Loop: Header=BB366_10 Depth=1
	v_dual_lshrrev_b32 v1, 3, v2 :: v_dual_bitop2_b32 v16, 7, v0 bitop3:0x40
	s_mov_b32 s18, exec_lo
	v_cmpx_gt_u32_e32 8, v2
; %bb.190:                              ;   in Loop: Header=BB366_10 Depth=1
	s_delay_alu instid0(VALU_DEP_2) | instskip(NEXT) | instid1(VALU_DEP_1)
	v_clz_i32_u32_e32 v1, v16
	v_min_u32_e32 v1, 32, v1
	s_delay_alu instid0(VALU_DEP_1) | instskip(NEXT) | instid1(VALU_DEP_1)
	v_subrev_nc_u32_e32 v2, 28, v1
	v_lshlrev_b64_e32 v[2:3], v2, v[16:17]
	s_delay_alu instid0(VALU_DEP_1)
	v_dual_sub_nc_u32 v1, 29, v1 :: v_dual_bitop2_b32 v16, 7, v2 bitop3:0x40
; %bb.191:                              ;   in Loop: Header=BB366_10 Depth=1
	s_or_b32 exec_lo, exec_lo, s18
	v_lshlrev_b32_e32 v0, 24, v0
	s_delay_alu instid0(VALU_DEP_2) | instskip(NEXT) | instid1(VALU_DEP_3)
	v_lshlrev_b32_e32 v2, 20, v16
	v_lshl_add_u32 v1, v1, 23, 0x3c000000
	s_delay_alu instid0(VALU_DEP_3) | instskip(NEXT) | instid1(VALU_DEP_1)
	v_and_b32_e32 v0, 0x80000000, v0
	v_or3_b32 v82, v2, v0, v1
.LBB366_192:                            ;   in Loop: Header=BB366_10 Depth=1
	s_or_b32 exec_lo, exec_lo, s17
.LBB366_193:                            ;   in Loop: Header=BB366_10 Depth=1
	s_delay_alu instid0(SALU_CYCLE_1)
	s_or_b32 exec_lo, exec_lo, s16
.LBB366_194:                            ;   in Loop: Header=BB366_10 Depth=1
	s_delay_alu instid0(SALU_CYCLE_1)
	s_or_b32 exec_lo, exec_lo, s15
	v_dual_mov_b32 v84, 0 :: v_dual_mov_b32 v83, 0
	s_mov_b32 s15, exec_lo
	v_cmpx_lt_u64_e64 s[2:3], v[12:13]
	s_cbranch_execz .LBB366_202
; %bb.195:                              ;   in Loop: Header=BB366_10 Depth=1
	v_lshrrev_b32_e32 v0, 24, v13
	v_bfrev_b32_e32 v83, 1
	s_mov_b32 s16, exec_lo
	s_delay_alu instid0(VALU_DEP_2)
	v_cmpx_ne_u32_e32 0x80, v0
	s_cbranch_execz .LBB366_201
; %bb.196:                              ;   in Loop: Header=BB366_10 Depth=1
	v_bfe_u32 v2, v13, 24, 7
	v_mov_b32_e32 v83, 0x7f800001
	s_mov_b32 s17, exec_lo
	s_delay_alu instid0(VALU_DEP_2)
	v_cmpx_ne_u32_e32 0x7f, v2
	s_cbranch_execz .LBB366_200
; %bb.197:                              ;   in Loop: Header=BB366_10 Depth=1
	v_dual_lshrrev_b32 v1, 3, v2 :: v_dual_bitop2_b32 v16, 7, v0 bitop3:0x40
	s_mov_b32 s18, exec_lo
	v_cmpx_gt_u32_e32 8, v2
; %bb.198:                              ;   in Loop: Header=BB366_10 Depth=1
	s_delay_alu instid0(VALU_DEP_2) | instskip(NEXT) | instid1(VALU_DEP_1)
	v_clz_i32_u32_e32 v1, v16
	v_min_u32_e32 v1, 32, v1
	s_delay_alu instid0(VALU_DEP_1) | instskip(NEXT) | instid1(VALU_DEP_1)
	v_subrev_nc_u32_e32 v2, 28, v1
	v_lshlrev_b64_e32 v[2:3], v2, v[16:17]
	s_delay_alu instid0(VALU_DEP_1)
	v_dual_sub_nc_u32 v1, 29, v1 :: v_dual_bitop2_b32 v16, 7, v2 bitop3:0x40
; %bb.199:                              ;   in Loop: Header=BB366_10 Depth=1
	s_or_b32 exec_lo, exec_lo, s18
	v_lshlrev_b32_e32 v0, 24, v0
	s_delay_alu instid0(VALU_DEP_2) | instskip(NEXT) | instid1(VALU_DEP_3)
	v_lshlrev_b32_e32 v2, 20, v16
	v_lshl_add_u32 v1, v1, 23, 0x3c000000
	s_delay_alu instid0(VALU_DEP_3) | instskip(NEXT) | instid1(VALU_DEP_1)
	v_and_b32_e32 v0, 0x80000000, v0
	v_or3_b32 v83, v2, v0, v1
.LBB366_200:                            ;   in Loop: Header=BB366_10 Depth=1
	s_or_b32 exec_lo, exec_lo, s17
.LBB366_201:                            ;   in Loop: Header=BB366_10 Depth=1
	s_delay_alu instid0(SALU_CYCLE_1)
	s_or_b32 exec_lo, exec_lo, s16
.LBB366_202:                            ;   in Loop: Header=BB366_10 Depth=1
	s_delay_alu instid0(SALU_CYCLE_1)
	s_or_b32 exec_lo, exec_lo, s15
	flat_load_b64 v[24:25], v[54:55] offset:520
	s_mov_b32 s15, exec_lo
	s_wait_loadcnt_dscnt 0x0
	v_and_b32_e32 v0, 0xff, v24
	s_wait_xcnt 0x0
	s_delay_alu instid0(VALU_DEP_1)
	v_cmpx_ne_u16_e32 0, v0
	s_cbranch_execz .LBB366_210
; %bb.203:                              ;   in Loop: Header=BB366_10 Depth=1
	v_bfrev_b32_e32 v84, 1
	s_mov_b32 s16, exec_lo
	v_cmpx_ne_u16_e32 0x80, v0
	s_cbranch_execz .LBB366_209
; %bb.204:                              ;   in Loop: Header=BB366_10 Depth=1
	v_and_b32_e32 v1, 0x7f, v24
	v_mov_b32_e32 v84, 0x7f800001
	s_mov_b32 s17, exec_lo
	s_delay_alu instid0(VALU_DEP_2)
	v_cmpx_ne_u32_e32 0x7f, v1
	s_cbranch_execz .LBB366_208
; %bb.205:                              ;   in Loop: Header=BB366_10 Depth=1
	v_mov_b64_e32 v[2:3], v[24:25]
	v_lshrrev_b32_e32 v0, 3, v1
	s_mov_b32 s18, exec_lo
	v_cmpx_gt_u32_e32 8, v1
; %bb.206:                              ;   in Loop: Header=BB366_10 Depth=1
	v_and_b32_e32 v0, 7, v24
	s_delay_alu instid0(VALU_DEP_1) | instskip(NEXT) | instid1(VALU_DEP_1)
	v_clz_i32_u32_e32 v0, v0
	v_min_u32_e32 v0, 32, v0
	s_delay_alu instid0(VALU_DEP_1) | instskip(SKIP_1) | instid1(VALU_DEP_2)
	v_subrev_nc_u32_e32 v1, 28, v0
	v_sub_nc_u32_e32 v0, 29, v0
	v_lshlrev_b64_e32 v[2:3], v1, v[24:25]
; %bb.207:                              ;   in Loop: Header=BB366_10 Depth=1
	s_or_b32 exec_lo, exec_lo, s18
	s_delay_alu instid0(VALU_DEP_1) | instskip(NEXT) | instid1(VALU_DEP_3)
	v_dual_lshlrev_b32 v1, 20, v2 :: v_dual_lshlrev_b32 v2, 24, v24
	v_lshl_add_u32 v0, v0, 23, 0x3c000000
	s_delay_alu instid0(VALU_DEP_2) | instskip(NEXT) | instid1(VALU_DEP_3)
	v_and_b32_e32 v1, 0x700000, v1
	v_and_b32_e32 v2, 0x80000000, v2
	s_delay_alu instid0(VALU_DEP_1)
	v_or3_b32 v84, v1, v2, v0
.LBB366_208:                            ;   in Loop: Header=BB366_10 Depth=1
	s_or_b32 exec_lo, exec_lo, s17
.LBB366_209:                            ;   in Loop: Header=BB366_10 Depth=1
	s_delay_alu instid0(SALU_CYCLE_1)
	s_or_b32 exec_lo, exec_lo, s16
.LBB366_210:                            ;   in Loop: Header=BB366_10 Depth=1
	s_delay_alu instid0(SALU_CYCLE_1) | instskip(SKIP_3) | instid1(VALU_DEP_2)
	s_or_b32 exec_lo, exec_lo, s15
	v_lshrrev_b16 v0, 8, v24
	v_dual_mov_b32 v50, 0 :: v_dual_mov_b32 v85, 0
	s_mov_b32 s15, exec_lo
	v_cmpx_ne_u16_e32 0, v0
	s_cbranch_execz .LBB366_218
; %bb.211:                              ;   in Loop: Header=BB366_10 Depth=1
	v_bfrev_b32_e32 v85, 1
	s_mov_b32 s16, exec_lo
	v_cmpx_ne_u16_e32 0x80, v0
	s_cbranch_execz .LBB366_217
; %bb.212:                              ;   in Loop: Header=BB366_10 Depth=1
	v_and_b32_e32 v0, 0xffff, v0
	v_mov_b32_e32 v85, 0x7f800001
	s_mov_b32 s17, exec_lo
	s_delay_alu instid0(VALU_DEP_2) | instskip(NEXT) | instid1(VALU_DEP_1)
	v_and_b32_e32 v1, 0x7f, v0
	v_cmpx_ne_u32_e32 0x7f, v1
	s_cbranch_execz .LBB366_216
; %bb.213:                              ;   in Loop: Header=BB366_10 Depth=1
	v_dual_lshrrev_b32 v0, 3, v1 :: v_dual_bitop2_b32 v16, 7, v0 bitop3:0x40
	s_mov_b32 s18, exec_lo
	v_cmpx_gt_u32_e32 8, v1
; %bb.214:                              ;   in Loop: Header=BB366_10 Depth=1
	s_delay_alu instid0(VALU_DEP_2) | instskip(NEXT) | instid1(VALU_DEP_1)
	v_clz_i32_u32_e32 v0, v16
	v_min_u32_e32 v0, 32, v0
	s_delay_alu instid0(VALU_DEP_1) | instskip(NEXT) | instid1(VALU_DEP_1)
	v_subrev_nc_u32_e32 v1, 28, v0
	v_lshlrev_b64_e32 v[2:3], v1, v[16:17]
	s_delay_alu instid0(VALU_DEP_1)
	v_dual_sub_nc_u32 v0, 29, v0 :: v_dual_bitop2_b32 v16, 7, v2 bitop3:0x40
; %bb.215:                              ;   in Loop: Header=BB366_10 Depth=1
	s_or_b32 exec_lo, exec_lo, s18
	v_lshlrev_b32_e32 v1, 16, v24
	s_delay_alu instid0(VALU_DEP_2) | instskip(NEXT) | instid1(VALU_DEP_3)
	v_lshlrev_b32_e32 v2, 20, v16
	v_lshl_add_u32 v0, v0, 23, 0x3c000000
	s_delay_alu instid0(VALU_DEP_3) | instskip(NEXT) | instid1(VALU_DEP_1)
	v_and_b32_e32 v1, 0x80000000, v1
	v_or3_b32 v85, v2, v1, v0
.LBB366_216:                            ;   in Loop: Header=BB366_10 Depth=1
	s_or_b32 exec_lo, exec_lo, s17
.LBB366_217:                            ;   in Loop: Header=BB366_10 Depth=1
	s_delay_alu instid0(SALU_CYCLE_1)
	s_or_b32 exec_lo, exec_lo, s16
.LBB366_218:                            ;   in Loop: Header=BB366_10 Depth=1
	s_delay_alu instid0(SALU_CYCLE_1) | instskip(SKIP_2) | instid1(VALU_DEP_1)
	s_or_b32 exec_lo, exec_lo, s15
	v_lshrrev_b32_e32 v0, 16, v24
	s_mov_b32 s15, exec_lo
	v_and_b32_e32 v1, 0xff, v0
	s_delay_alu instid0(VALU_DEP_1)
	v_cmpx_ne_u16_e32 0, v1
	s_cbranch_execz .LBB366_226
; %bb.219:                              ;   in Loop: Header=BB366_10 Depth=1
	v_bfrev_b32_e32 v50, 1
	s_mov_b32 s16, exec_lo
	v_cmpx_ne_u16_e32 0x80, v1
	s_cbranch_execz .LBB366_225
; %bb.220:                              ;   in Loop: Header=BB366_10 Depth=1
	v_bfe_u32 v2, v24, 16, 7
	v_mov_b32_e32 v50, 0x7f800001
	s_mov_b32 s17, exec_lo
	s_delay_alu instid0(VALU_DEP_2)
	v_cmpx_ne_u32_e32 0x7f, v2
	s_cbranch_execz .LBB366_224
; %bb.221:                              ;   in Loop: Header=BB366_10 Depth=1
	v_dual_lshrrev_b32 v1, 3, v2 :: v_dual_bitop2_b32 v16, 7, v0 bitop3:0x40
	s_mov_b32 s18, exec_lo
	v_cmpx_gt_u32_e32 8, v2
; %bb.222:                              ;   in Loop: Header=BB366_10 Depth=1
	s_delay_alu instid0(VALU_DEP_2) | instskip(NEXT) | instid1(VALU_DEP_1)
	v_clz_i32_u32_e32 v1, v16
	v_min_u32_e32 v1, 32, v1
	s_delay_alu instid0(VALU_DEP_1) | instskip(NEXT) | instid1(VALU_DEP_1)
	v_subrev_nc_u32_e32 v2, 28, v1
	v_lshlrev_b64_e32 v[2:3], v2, v[16:17]
	s_delay_alu instid0(VALU_DEP_1)
	v_dual_sub_nc_u32 v1, 29, v1 :: v_dual_bitop2_b32 v16, 7, v2 bitop3:0x40
; %bb.223:                              ;   in Loop: Header=BB366_10 Depth=1
	s_or_b32 exec_lo, exec_lo, s18
	v_lshlrev_b32_e32 v0, 24, v0
	s_delay_alu instid0(VALU_DEP_2) | instskip(NEXT) | instid1(VALU_DEP_3)
	v_lshlrev_b32_e32 v2, 20, v16
	v_lshl_add_u32 v1, v1, 23, 0x3c000000
	s_delay_alu instid0(VALU_DEP_3) | instskip(NEXT) | instid1(VALU_DEP_1)
	v_and_b32_e32 v0, 0x80000000, v0
	v_or3_b32 v50, v2, v0, v1
.LBB366_224:                            ;   in Loop: Header=BB366_10 Depth=1
	s_or_b32 exec_lo, exec_lo, s17
.LBB366_225:                            ;   in Loop: Header=BB366_10 Depth=1
	s_delay_alu instid0(SALU_CYCLE_1)
	s_or_b32 exec_lo, exec_lo, s16
.LBB366_226:                            ;   in Loop: Header=BB366_10 Depth=1
	s_delay_alu instid0(SALU_CYCLE_1)
	s_or_b32 exec_lo, exec_lo, s15
	v_dual_mov_b32 v86, 0 :: v_dual_mov_b32 v51, 0
	s_mov_b32 s15, exec_lo
	v_cmpx_lt_u32_e32 0xffffff, v24
	s_cbranch_execz .LBB366_234
; %bb.227:                              ;   in Loop: Header=BB366_10 Depth=1
	v_lshrrev_b32_e32 v0, 24, v24
	v_bfrev_b32_e32 v51, 1
	s_mov_b32 s16, exec_lo
	s_delay_alu instid0(VALU_DEP_2)
	v_cmpx_ne_u32_e32 0x80, v0
	s_cbranch_execz .LBB366_233
; %bb.228:                              ;   in Loop: Header=BB366_10 Depth=1
	v_bfe_u32 v2, v24, 24, 7
	v_mov_b32_e32 v51, 0x7f800001
	s_mov_b32 s17, exec_lo
	s_delay_alu instid0(VALU_DEP_2)
	v_cmpx_ne_u32_e32 0x7f, v2
	s_cbranch_execz .LBB366_232
; %bb.229:                              ;   in Loop: Header=BB366_10 Depth=1
	v_dual_lshrrev_b32 v1, 3, v2 :: v_dual_bitop2_b32 v16, 7, v0 bitop3:0x40
	s_mov_b32 s18, exec_lo
	v_cmpx_gt_u32_e32 8, v2
; %bb.230:                              ;   in Loop: Header=BB366_10 Depth=1
	s_delay_alu instid0(VALU_DEP_2) | instskip(NEXT) | instid1(VALU_DEP_1)
	v_clz_i32_u32_e32 v1, v16
	v_min_u32_e32 v1, 32, v1
	s_delay_alu instid0(VALU_DEP_1) | instskip(NEXT) | instid1(VALU_DEP_1)
	v_subrev_nc_u32_e32 v2, 28, v1
	v_lshlrev_b64_e32 v[2:3], v2, v[16:17]
	s_delay_alu instid0(VALU_DEP_1)
	v_dual_sub_nc_u32 v1, 29, v1 :: v_dual_bitop2_b32 v16, 7, v2 bitop3:0x40
; %bb.231:                              ;   in Loop: Header=BB366_10 Depth=1
	s_or_b32 exec_lo, exec_lo, s18
	v_lshlrev_b32_e32 v0, 24, v0
	s_delay_alu instid0(VALU_DEP_2) | instskip(NEXT) | instid1(VALU_DEP_3)
	v_lshlrev_b32_e32 v2, 20, v16
	v_lshl_add_u32 v1, v1, 23, 0x3c000000
	s_delay_alu instid0(VALU_DEP_3) | instskip(NEXT) | instid1(VALU_DEP_1)
	v_and_b32_e32 v0, 0x80000000, v0
	v_or3_b32 v51, v2, v0, v1
.LBB366_232:                            ;   in Loop: Header=BB366_10 Depth=1
	s_or_b32 exec_lo, exec_lo, s17
.LBB366_233:                            ;   in Loop: Header=BB366_10 Depth=1
	s_delay_alu instid0(SALU_CYCLE_1)
	s_or_b32 exec_lo, exec_lo, s16
.LBB366_234:                            ;   in Loop: Header=BB366_10 Depth=1
	s_delay_alu instid0(SALU_CYCLE_1) | instskip(SKIP_3) | instid1(VALU_DEP_2)
	s_or_b32 exec_lo, exec_lo, s15
	v_and_b32_e32 v0, 0xff, v25
	v_mov_b32_e32 v16, v25
	s_mov_b32 s15, exec_lo
	v_cmpx_ne_u16_e32 0, v0
	s_cbranch_execz .LBB366_242
; %bb.235:                              ;   in Loop: Header=BB366_10 Depth=1
	v_bfrev_b32_e32 v86, 1
	s_mov_b32 s16, exec_lo
	v_cmpx_ne_u16_e32 0x80, v0
	s_cbranch_execz .LBB366_241
; %bb.236:                              ;   in Loop: Header=BB366_10 Depth=1
	v_and_b32_e32 v1, 0x7f, v25
	v_mov_b32_e32 v86, 0x7f800001
	s_mov_b32 s17, exec_lo
	s_delay_alu instid0(VALU_DEP_2)
	v_cmpx_ne_u32_e32 0x7f, v1
	s_cbranch_execz .LBB366_240
; %bb.237:                              ;   in Loop: Header=BB366_10 Depth=1
	v_mov_b64_e32 v[2:3], v[16:17]
	v_lshrrev_b32_e32 v0, 3, v1
	s_mov_b32 s18, exec_lo
	v_cmpx_gt_u32_e32 8, v1
; %bb.238:                              ;   in Loop: Header=BB366_10 Depth=1
	v_and_b32_e32 v0, 7, v25
	s_delay_alu instid0(VALU_DEP_1) | instskip(NEXT) | instid1(VALU_DEP_1)
	v_clz_i32_u32_e32 v0, v0
	v_min_u32_e32 v0, 32, v0
	s_delay_alu instid0(VALU_DEP_1) | instskip(SKIP_1) | instid1(VALU_DEP_2)
	v_subrev_nc_u32_e32 v1, 28, v0
	v_sub_nc_u32_e32 v0, 29, v0
	v_lshlrev_b64_e32 v[2:3], v1, v[16:17]
; %bb.239:                              ;   in Loop: Header=BB366_10 Depth=1
	s_or_b32 exec_lo, exec_lo, s18
	s_delay_alu instid0(VALU_DEP_1) | instskip(NEXT) | instid1(VALU_DEP_3)
	v_dual_lshlrev_b32 v1, 20, v2 :: v_dual_lshlrev_b32 v2, 24, v16
	v_lshl_add_u32 v0, v0, 23, 0x3c000000
	s_delay_alu instid0(VALU_DEP_2) | instskip(NEXT) | instid1(VALU_DEP_3)
	v_and_b32_e32 v1, 0x700000, v1
	v_and_b32_e32 v2, 0x80000000, v2
	s_delay_alu instid0(VALU_DEP_1)
	v_or3_b32 v86, v1, v2, v0
.LBB366_240:                            ;   in Loop: Header=BB366_10 Depth=1
	s_or_b32 exec_lo, exec_lo, s17
.LBB366_241:                            ;   in Loop: Header=BB366_10 Depth=1
	s_delay_alu instid0(SALU_CYCLE_1)
	s_or_b32 exec_lo, exec_lo, s16
.LBB366_242:                            ;   in Loop: Header=BB366_10 Depth=1
	s_delay_alu instid0(SALU_CYCLE_1) | instskip(SKIP_3) | instid1(VALU_DEP_2)
	s_or_b32 exec_lo, exec_lo, s15
	v_lshrrev_b16 v0, 8, v16
	v_dual_mov_b32 v14, 0 :: v_dual_mov_b32 v87, 0
	s_mov_b32 s15, exec_lo
	v_cmpx_ne_u16_e32 0, v0
	s_cbranch_execz .LBB366_250
; %bb.243:                              ;   in Loop: Header=BB366_10 Depth=1
	v_bfrev_b32_e32 v87, 1
	s_mov_b32 s16, exec_lo
	v_cmpx_ne_u16_e32 0x80, v0
	s_cbranch_execz .LBB366_249
; %bb.244:                              ;   in Loop: Header=BB366_10 Depth=1
	v_and_b32_e32 v0, 0xffff, v0
	v_mov_b32_e32 v87, 0x7f800001
	s_mov_b32 s17, exec_lo
	s_delay_alu instid0(VALU_DEP_2) | instskip(NEXT) | instid1(VALU_DEP_1)
	v_and_b32_e32 v1, 0x7f, v0
	v_cmpx_ne_u32_e32 0x7f, v1
	s_cbranch_execz .LBB366_248
; %bb.245:                              ;   in Loop: Header=BB366_10 Depth=1
	v_dual_mov_b32 v3, v17 :: v_dual_bitop2_b32 v2, 7, v0 bitop3:0x40
	v_lshrrev_b32_e32 v0, 3, v1
	s_mov_b32 s18, exec_lo
	v_cmpx_gt_u32_e32 8, v1
; %bb.246:                              ;   in Loop: Header=BB366_10 Depth=1
	s_delay_alu instid0(VALU_DEP_3) | instskip(NEXT) | instid1(VALU_DEP_1)
	v_clz_i32_u32_e32 v0, v2
	v_min_u32_e32 v0, 32, v0
	s_delay_alu instid0(VALU_DEP_1) | instskip(NEXT) | instid1(VALU_DEP_1)
	v_subrev_nc_u32_e32 v1, 28, v0
	v_lshlrev_b64_e32 v[2:3], v1, v[2:3]
	s_delay_alu instid0(VALU_DEP_1)
	v_dual_sub_nc_u32 v0, 29, v0 :: v_dual_bitop2_b32 v2, 7, v2 bitop3:0x40
; %bb.247:                              ;   in Loop: Header=BB366_10 Depth=1
	s_or_b32 exec_lo, exec_lo, s18
	s_delay_alu instid0(VALU_DEP_1) | instskip(NEXT) | instid1(VALU_DEP_2)
	v_dual_lshlrev_b32 v1, 16, v16 :: v_dual_lshlrev_b32 v2, 20, v2
	v_lshl_add_u32 v0, v0, 23, 0x3c000000
	s_delay_alu instid0(VALU_DEP_2) | instskip(NEXT) | instid1(VALU_DEP_1)
	v_and_b32_e32 v1, 0x80000000, v1
	v_or3_b32 v87, v2, v1, v0
.LBB366_248:                            ;   in Loop: Header=BB366_10 Depth=1
	s_or_b32 exec_lo, exec_lo, s17
.LBB366_249:                            ;   in Loop: Header=BB366_10 Depth=1
	s_delay_alu instid0(SALU_CYCLE_1)
	s_or_b32 exec_lo, exec_lo, s16
.LBB366_250:                            ;   in Loop: Header=BB366_10 Depth=1
	s_delay_alu instid0(SALU_CYCLE_1) | instskip(SKIP_2) | instid1(VALU_DEP_1)
	s_or_b32 exec_lo, exec_lo, s15
	v_lshrrev_b32_e32 v0, 16, v25
	s_mov_b32 s15, exec_lo
	v_and_b32_e32 v1, 0xff, v0
	s_delay_alu instid0(VALU_DEP_1)
	v_cmpx_ne_u16_e32 0, v1
	s_cbranch_execz .LBB366_258
; %bb.251:                              ;   in Loop: Header=BB366_10 Depth=1
	v_bfrev_b32_e32 v14, 1
	s_mov_b32 s16, exec_lo
	v_cmpx_ne_u16_e32 0x80, v1
	s_cbranch_execz .LBB366_257
; %bb.252:                              ;   in Loop: Header=BB366_10 Depth=1
	v_bfe_u32 v2, v25, 16, 7
	v_mov_b32_e32 v14, 0x7f800001
	s_mov_b32 s17, exec_lo
	s_delay_alu instid0(VALU_DEP_2)
	v_cmpx_ne_u32_e32 0x7f, v2
	s_cbranch_execz .LBB366_256
; %bb.253:                              ;   in Loop: Header=BB366_10 Depth=1
	v_dual_lshrrev_b32 v1, 3, v2 :: v_dual_bitop2_b32 v16, 7, v0 bitop3:0x40
	s_mov_b32 s18, exec_lo
	v_cmpx_gt_u32_e32 8, v2
; %bb.254:                              ;   in Loop: Header=BB366_10 Depth=1
	s_delay_alu instid0(VALU_DEP_2) | instskip(NEXT) | instid1(VALU_DEP_1)
	v_clz_i32_u32_e32 v1, v16
	v_min_u32_e32 v1, 32, v1
	s_delay_alu instid0(VALU_DEP_1) | instskip(NEXT) | instid1(VALU_DEP_1)
	v_subrev_nc_u32_e32 v2, 28, v1
	v_lshlrev_b64_e32 v[2:3], v2, v[16:17]
	s_delay_alu instid0(VALU_DEP_1)
	v_dual_sub_nc_u32 v1, 29, v1 :: v_dual_bitop2_b32 v16, 7, v2 bitop3:0x40
; %bb.255:                              ;   in Loop: Header=BB366_10 Depth=1
	s_or_b32 exec_lo, exec_lo, s18
	v_lshlrev_b32_e32 v0, 24, v0
	s_delay_alu instid0(VALU_DEP_2) | instskip(NEXT) | instid1(VALU_DEP_3)
	v_lshlrev_b32_e32 v2, 20, v16
	v_lshl_add_u32 v1, v1, 23, 0x3c000000
	s_delay_alu instid0(VALU_DEP_3) | instskip(NEXT) | instid1(VALU_DEP_1)
	v_and_b32_e32 v0, 0x80000000, v0
	v_or3_b32 v14, v2, v0, v1
.LBB366_256:                            ;   in Loop: Header=BB366_10 Depth=1
	s_or_b32 exec_lo, exec_lo, s17
.LBB366_257:                            ;   in Loop: Header=BB366_10 Depth=1
	s_delay_alu instid0(SALU_CYCLE_1)
	s_or_b32 exec_lo, exec_lo, s16
.LBB366_258:                            ;   in Loop: Header=BB366_10 Depth=1
	s_delay_alu instid0(SALU_CYCLE_1)
	s_or_b32 exec_lo, exec_lo, s15
	v_dual_mov_b32 v12, 0 :: v_dual_mov_b32 v15, 0
	s_mov_b32 s15, exec_lo
	v_cmpx_lt_u64_e64 s[2:3], v[24:25]
	s_cbranch_execz .LBB366_266
; %bb.259:                              ;   in Loop: Header=BB366_10 Depth=1
	v_lshrrev_b32_e32 v0, 24, v25
	v_bfrev_b32_e32 v15, 1
	s_mov_b32 s16, exec_lo
	s_delay_alu instid0(VALU_DEP_2)
	v_cmpx_ne_u32_e32 0x80, v0
	s_cbranch_execz .LBB366_265
; %bb.260:                              ;   in Loop: Header=BB366_10 Depth=1
	v_bfe_u32 v2, v25, 24, 7
	v_mov_b32_e32 v15, 0x7f800001
	s_mov_b32 s17, exec_lo
	s_delay_alu instid0(VALU_DEP_2)
	v_cmpx_ne_u32_e32 0x7f, v2
	s_cbranch_execz .LBB366_264
; %bb.261:                              ;   in Loop: Header=BB366_10 Depth=1
	v_dual_lshrrev_b32 v1, 3, v2 :: v_dual_bitop2_b32 v16, 7, v0 bitop3:0x40
	s_mov_b32 s18, exec_lo
	v_cmpx_gt_u32_e32 8, v2
; %bb.262:                              ;   in Loop: Header=BB366_10 Depth=1
	s_delay_alu instid0(VALU_DEP_2) | instskip(NEXT) | instid1(VALU_DEP_1)
	v_clz_i32_u32_e32 v1, v16
	v_min_u32_e32 v1, 32, v1
	s_delay_alu instid0(VALU_DEP_1) | instskip(NEXT) | instid1(VALU_DEP_1)
	v_subrev_nc_u32_e32 v2, 28, v1
	v_lshlrev_b64_e32 v[2:3], v2, v[16:17]
	s_delay_alu instid0(VALU_DEP_1)
	v_dual_sub_nc_u32 v1, 29, v1 :: v_dual_bitop2_b32 v16, 7, v2 bitop3:0x40
; %bb.263:                              ;   in Loop: Header=BB366_10 Depth=1
	s_or_b32 exec_lo, exec_lo, s18
	v_lshlrev_b32_e32 v0, 24, v0
	s_delay_alu instid0(VALU_DEP_2) | instskip(NEXT) | instid1(VALU_DEP_3)
	v_lshlrev_b32_e32 v2, 20, v16
	v_lshl_add_u32 v1, v1, 23, 0x3c000000
	s_delay_alu instid0(VALU_DEP_3) | instskip(NEXT) | instid1(VALU_DEP_1)
	v_and_b32_e32 v0, 0x80000000, v0
	v_or3_b32 v15, v2, v0, v1
.LBB366_264:                            ;   in Loop: Header=BB366_10 Depth=1
	s_or_b32 exec_lo, exec_lo, s17
.LBB366_265:                            ;   in Loop: Header=BB366_10 Depth=1
	s_delay_alu instid0(SALU_CYCLE_1)
	s_or_b32 exec_lo, exec_lo, s16
.LBB366_266:                            ;   in Loop: Header=BB366_10 Depth=1
	s_delay_alu instid0(SALU_CYCLE_1)
	s_or_b32 exec_lo, exec_lo, s15
	flat_load_b64 v[24:25], v[54:55] offset:1024
	s_mov_b32 s15, exec_lo
	s_wait_loadcnt_dscnt 0x0
	v_and_b32_e32 v0, 0xff, v24
	s_wait_xcnt 0x0
	s_delay_alu instid0(VALU_DEP_1)
	v_cmpx_ne_u16_e32 0, v0
	s_cbranch_execz .LBB366_274
; %bb.267:                              ;   in Loop: Header=BB366_10 Depth=1
	v_bfrev_b32_e32 v12, 1
	s_mov_b32 s16, exec_lo
	v_cmpx_ne_u16_e32 0x80, v0
	s_cbranch_execz .LBB366_273
; %bb.268:                              ;   in Loop: Header=BB366_10 Depth=1
	v_and_b32_e32 v1, 0x7f, v24
	v_mov_b32_e32 v12, 0x7f800001
	s_mov_b32 s17, exec_lo
	s_delay_alu instid0(VALU_DEP_2)
	v_cmpx_ne_u32_e32 0x7f, v1
	s_cbranch_execz .LBB366_272
; %bb.269:                              ;   in Loop: Header=BB366_10 Depth=1
	v_mov_b64_e32 v[2:3], v[24:25]
	v_lshrrev_b32_e32 v0, 3, v1
	s_mov_b32 s18, exec_lo
	v_cmpx_gt_u32_e32 8, v1
; %bb.270:                              ;   in Loop: Header=BB366_10 Depth=1
	v_and_b32_e32 v0, 7, v24
	s_delay_alu instid0(VALU_DEP_1) | instskip(NEXT) | instid1(VALU_DEP_1)
	v_clz_i32_u32_e32 v0, v0
	v_min_u32_e32 v0, 32, v0
	s_delay_alu instid0(VALU_DEP_1) | instskip(SKIP_1) | instid1(VALU_DEP_2)
	v_subrev_nc_u32_e32 v1, 28, v0
	v_sub_nc_u32_e32 v0, 29, v0
	v_lshlrev_b64_e32 v[2:3], v1, v[24:25]
; %bb.271:                              ;   in Loop: Header=BB366_10 Depth=1
	s_or_b32 exec_lo, exec_lo, s18
	s_delay_alu instid0(VALU_DEP_1) | instskip(NEXT) | instid1(VALU_DEP_3)
	v_dual_lshlrev_b32 v1, 20, v2 :: v_dual_lshlrev_b32 v2, 24, v24
	v_lshl_add_u32 v0, v0, 23, 0x3c000000
	s_delay_alu instid0(VALU_DEP_2) | instskip(NEXT) | instid1(VALU_DEP_3)
	v_and_b32_e32 v1, 0x700000, v1
	v_and_b32_e32 v2, 0x80000000, v2
	s_delay_alu instid0(VALU_DEP_1)
	v_or3_b32 v12, v1, v2, v0
.LBB366_272:                            ;   in Loop: Header=BB366_10 Depth=1
	s_or_b32 exec_lo, exec_lo, s17
.LBB366_273:                            ;   in Loop: Header=BB366_10 Depth=1
	s_delay_alu instid0(SALU_CYCLE_1)
	s_or_b32 exec_lo, exec_lo, s16
.LBB366_274:                            ;   in Loop: Header=BB366_10 Depth=1
	s_delay_alu instid0(SALU_CYCLE_1)
	s_or_b32 exec_lo, exec_lo, s15
	v_lshrrev_b16 v0, 8, v24
	v_dual_mov_b32 v19, 0 :: v_dual_mov_b32 v1, 0
	s_mov_b32 s15, exec_lo
	scratch_store_b32 off, v1, s32 offset:204 ; 4-byte Folded Spill
	s_wait_xcnt 0x0
	v_cmpx_ne_u16_e32 0, v0
	s_cbranch_execz .LBB366_282
; %bb.275:                              ;   in Loop: Header=BB366_10 Depth=1
	v_bfrev_b32_e32 v1, 1
	s_mov_b32 s16, exec_lo
	scratch_store_b32 off, v1, s32 offset:204 ; 4-byte Folded Spill
	s_wait_xcnt 0x0
	v_cmpx_ne_u16_e32 0x80, v0
	s_cbranch_execz .LBB366_281
; %bb.276:                              ;   in Loop: Header=BB366_10 Depth=1
	v_and_b32_e32 v0, 0xffff, v0
	v_mov_b32_e32 v2, 0x7f800001
	s_mov_b32 s17, exec_lo
	s_delay_alu instid0(VALU_DEP_2)
	v_and_b32_e32 v1, 0x7f, v0
	scratch_store_b32 off, v2, s32 offset:204 ; 4-byte Folded Spill
	s_wait_xcnt 0x0
	v_cmpx_ne_u32_e32 0x7f, v1
	s_cbranch_execz .LBB366_280
; %bb.277:                              ;   in Loop: Header=BB366_10 Depth=1
	v_dual_lshrrev_b32 v0, 3, v1 :: v_dual_bitop2_b32 v16, 7, v0 bitop3:0x40
	s_mov_b32 s18, exec_lo
	v_cmpx_gt_u32_e32 8, v1
; %bb.278:                              ;   in Loop: Header=BB366_10 Depth=1
	s_delay_alu instid0(VALU_DEP_2) | instskip(NEXT) | instid1(VALU_DEP_1)
	v_clz_i32_u32_e32 v0, v16
	v_min_u32_e32 v0, 32, v0
	s_delay_alu instid0(VALU_DEP_1) | instskip(NEXT) | instid1(VALU_DEP_1)
	v_subrev_nc_u32_e32 v1, 28, v0
	v_lshlrev_b64_e32 v[2:3], v1, v[16:17]
	s_delay_alu instid0(VALU_DEP_1)
	v_dual_sub_nc_u32 v0, 29, v0 :: v_dual_bitop2_b32 v16, 7, v2 bitop3:0x40
; %bb.279:                              ;   in Loop: Header=BB366_10 Depth=1
	s_or_b32 exec_lo, exec_lo, s18
	v_lshlrev_b32_e32 v1, 16, v24
	s_delay_alu instid0(VALU_DEP_2) | instskip(NEXT) | instid1(VALU_DEP_3)
	v_lshlrev_b32_e32 v2, 20, v16
	v_lshl_add_u32 v0, v0, 23, 0x3c000000
	s_delay_alu instid0(VALU_DEP_3) | instskip(NEXT) | instid1(VALU_DEP_1)
	v_and_b32_e32 v1, 0x80000000, v1
	v_or3_b32 v0, v2, v1, v0
	scratch_store_b32 off, v0, s32 offset:204 ; 4-byte Folded Spill
.LBB366_280:                            ;   in Loop: Header=BB366_10 Depth=1
	s_wait_xcnt 0x0
	s_or_b32 exec_lo, exec_lo, s17
.LBB366_281:                            ;   in Loop: Header=BB366_10 Depth=1
	s_delay_alu instid0(SALU_CYCLE_1)
	s_or_b32 exec_lo, exec_lo, s16
.LBB366_282:                            ;   in Loop: Header=BB366_10 Depth=1
	s_delay_alu instid0(SALU_CYCLE_1) | instskip(SKIP_2) | instid1(VALU_DEP_1)
	s_or_b32 exec_lo, exec_lo, s15
	v_lshrrev_b32_e32 v0, 16, v24
	s_mov_b32 s15, exec_lo
	v_and_b32_e32 v1, 0xff, v0
	s_delay_alu instid0(VALU_DEP_1)
	v_cmpx_ne_u16_e32 0, v1
	s_cbranch_execz .LBB366_290
; %bb.283:                              ;   in Loop: Header=BB366_10 Depth=1
	v_bfrev_b32_e32 v19, 1
	s_mov_b32 s16, exec_lo
	v_cmpx_ne_u16_e32 0x80, v1
	s_cbranch_execz .LBB366_289
; %bb.284:                              ;   in Loop: Header=BB366_10 Depth=1
	v_bfe_u32 v2, v24, 16, 7
	v_mov_b32_e32 v19, 0x7f800001
	s_mov_b32 s17, exec_lo
	s_delay_alu instid0(VALU_DEP_2)
	v_cmpx_ne_u32_e32 0x7f, v2
	s_cbranch_execz .LBB366_288
; %bb.285:                              ;   in Loop: Header=BB366_10 Depth=1
	v_dual_lshrrev_b32 v1, 3, v2 :: v_dual_bitop2_b32 v16, 7, v0 bitop3:0x40
	s_mov_b32 s18, exec_lo
	v_cmpx_gt_u32_e32 8, v2
; %bb.286:                              ;   in Loop: Header=BB366_10 Depth=1
	s_delay_alu instid0(VALU_DEP_2) | instskip(NEXT) | instid1(VALU_DEP_1)
	v_clz_i32_u32_e32 v1, v16
	v_min_u32_e32 v1, 32, v1
	s_delay_alu instid0(VALU_DEP_1) | instskip(NEXT) | instid1(VALU_DEP_1)
	v_subrev_nc_u32_e32 v2, 28, v1
	v_lshlrev_b64_e32 v[2:3], v2, v[16:17]
	s_delay_alu instid0(VALU_DEP_1)
	v_dual_sub_nc_u32 v1, 29, v1 :: v_dual_bitop2_b32 v16, 7, v2 bitop3:0x40
; %bb.287:                              ;   in Loop: Header=BB366_10 Depth=1
	s_or_b32 exec_lo, exec_lo, s18
	v_lshlrev_b32_e32 v0, 24, v0
	s_delay_alu instid0(VALU_DEP_2) | instskip(NEXT) | instid1(VALU_DEP_3)
	v_lshlrev_b32_e32 v2, 20, v16
	v_lshl_add_u32 v1, v1, 23, 0x3c000000
	s_delay_alu instid0(VALU_DEP_3) | instskip(NEXT) | instid1(VALU_DEP_1)
	v_and_b32_e32 v0, 0x80000000, v0
	v_or3_b32 v19, v2, v0, v1
.LBB366_288:                            ;   in Loop: Header=BB366_10 Depth=1
	s_or_b32 exec_lo, exec_lo, s17
.LBB366_289:                            ;   in Loop: Header=BB366_10 Depth=1
	s_delay_alu instid0(SALU_CYCLE_1)
	s_or_b32 exec_lo, exec_lo, s16
.LBB366_290:                            ;   in Loop: Header=BB366_10 Depth=1
	s_delay_alu instid0(SALU_CYCLE_1)
	s_or_b32 exec_lo, exec_lo, s15
	v_mov_b32_e32 v0, 0
	s_mov_b32 s15, exec_lo
	scratch_store_b32 off, v0, s32 offset:208 ; 4-byte Folded Spill
	s_wait_xcnt 0x0
	v_mov_b32_e32 v0, 0
	scratch_store_b32 off, v0, s32 offset:212 ; 4-byte Folded Spill
	s_wait_xcnt 0x0
	v_cmpx_lt_u32_e32 0xffffff, v24
	s_cbranch_execz .LBB366_298
; %bb.291:                              ;   in Loop: Header=BB366_10 Depth=1
	v_lshrrev_b32_e32 v0, 24, v24
	v_bfrev_b32_e32 v1, 1
	s_mov_b32 s16, exec_lo
	scratch_store_b32 off, v1, s32 offset:212 ; 4-byte Folded Spill
	s_wait_xcnt 0x0
	v_cmpx_ne_u32_e32 0x80, v0
	s_cbranch_execz .LBB366_297
; %bb.292:                              ;   in Loop: Header=BB366_10 Depth=1
	v_bfe_u32 v2, v24, 24, 7
	v_mov_b32_e32 v1, 0x7f800001
	s_mov_b32 s17, exec_lo
	scratch_store_b32 off, v1, s32 offset:212 ; 4-byte Folded Spill
	s_wait_xcnt 0x0
	v_cmpx_ne_u32_e32 0x7f, v2
	s_cbranch_execz .LBB366_296
; %bb.293:                              ;   in Loop: Header=BB366_10 Depth=1
	v_dual_lshrrev_b32 v1, 3, v2 :: v_dual_bitop2_b32 v16, 7, v0 bitop3:0x40
	s_mov_b32 s18, exec_lo
	v_cmpx_gt_u32_e32 8, v2
; %bb.294:                              ;   in Loop: Header=BB366_10 Depth=1
	s_delay_alu instid0(VALU_DEP_2) | instskip(NEXT) | instid1(VALU_DEP_1)
	v_clz_i32_u32_e32 v1, v16
	v_min_u32_e32 v1, 32, v1
	s_delay_alu instid0(VALU_DEP_1) | instskip(NEXT) | instid1(VALU_DEP_1)
	v_subrev_nc_u32_e32 v2, 28, v1
	v_lshlrev_b64_e32 v[2:3], v2, v[16:17]
	s_delay_alu instid0(VALU_DEP_1)
	v_dual_sub_nc_u32 v1, 29, v1 :: v_dual_bitop2_b32 v16, 7, v2 bitop3:0x40
; %bb.295:                              ;   in Loop: Header=BB366_10 Depth=1
	s_or_b32 exec_lo, exec_lo, s18
	v_lshlrev_b32_e32 v0, 24, v0
	s_delay_alu instid0(VALU_DEP_2) | instskip(NEXT) | instid1(VALU_DEP_3)
	v_lshlrev_b32_e32 v2, 20, v16
	v_lshl_add_u32 v1, v1, 23, 0x3c000000
	s_delay_alu instid0(VALU_DEP_3) | instskip(NEXT) | instid1(VALU_DEP_1)
	v_and_b32_e32 v0, 0x80000000, v0
	v_or3_b32 v0, v2, v0, v1
	scratch_store_b32 off, v0, s32 offset:212 ; 4-byte Folded Spill
.LBB366_296:                            ;   in Loop: Header=BB366_10 Depth=1
	s_wait_xcnt 0x0
	s_or_b32 exec_lo, exec_lo, s17
.LBB366_297:                            ;   in Loop: Header=BB366_10 Depth=1
	s_delay_alu instid0(SALU_CYCLE_1)
	s_or_b32 exec_lo, exec_lo, s16
.LBB366_298:                            ;   in Loop: Header=BB366_10 Depth=1
	s_delay_alu instid0(SALU_CYCLE_1) | instskip(SKIP_3) | instid1(VALU_DEP_2)
	s_or_b32 exec_lo, exec_lo, s15
	v_and_b32_e32 v0, 0xff, v25
	v_mov_b32_e32 v16, v25
	s_mov_b32 s15, exec_lo
	v_cmpx_ne_u16_e32 0, v0
	s_cbranch_execz .LBB366_306
; %bb.299:                              ;   in Loop: Header=BB366_10 Depth=1
	v_cmp_ne_u16_e64 s1, 0x80, v0
	v_bfrev_b32_e32 v0, 1
	scratch_store_b32 off, v0, s32 offset:208 ; 4-byte Folded Spill
	s_wait_xcnt 0x0
	s_and_saveexec_b32 s16, s1
	s_cbranch_execz .LBB366_305
; %bb.300:                              ;   in Loop: Header=BB366_10 Depth=1
	v_and_b32_e32 v1, 0x7f, v25
	v_mov_b32_e32 v0, 0x7f800001
	s_mov_b32 s17, exec_lo
	scratch_store_b32 off, v0, s32 offset:208 ; 4-byte Folded Spill
	s_wait_xcnt 0x0
	v_cmpx_ne_u32_e32 0x7f, v1
	s_cbranch_execz .LBB366_304
; %bb.301:                              ;   in Loop: Header=BB366_10 Depth=1
	v_mov_b64_e32 v[2:3], v[16:17]
	v_lshrrev_b32_e32 v0, 3, v1
	s_mov_b32 s18, exec_lo
	v_cmpx_gt_u32_e32 8, v1
; %bb.302:                              ;   in Loop: Header=BB366_10 Depth=1
	v_and_b32_e32 v0, 7, v25
	s_delay_alu instid0(VALU_DEP_1) | instskip(NEXT) | instid1(VALU_DEP_1)
	v_clz_i32_u32_e32 v0, v0
	v_min_u32_e32 v0, 32, v0
	s_delay_alu instid0(VALU_DEP_1) | instskip(SKIP_1) | instid1(VALU_DEP_2)
	v_subrev_nc_u32_e32 v1, 28, v0
	v_sub_nc_u32_e32 v0, 29, v0
	v_lshlrev_b64_e32 v[2:3], v1, v[16:17]
; %bb.303:                              ;   in Loop: Header=BB366_10 Depth=1
	s_or_b32 exec_lo, exec_lo, s18
	s_delay_alu instid0(VALU_DEP_1) | instskip(NEXT) | instid1(VALU_DEP_3)
	v_dual_lshlrev_b32 v1, 20, v2 :: v_dual_lshlrev_b32 v2, 24, v16
	v_lshl_add_u32 v0, v0, 23, 0x3c000000
	s_delay_alu instid0(VALU_DEP_2) | instskip(NEXT) | instid1(VALU_DEP_3)
	v_and_b32_e32 v1, 0x700000, v1
	v_and_b32_e32 v2, 0x80000000, v2
	s_delay_alu instid0(VALU_DEP_1)
	v_or3_b32 v0, v1, v2, v0
	scratch_store_b32 off, v0, s32 offset:208 ; 4-byte Folded Spill
.LBB366_304:                            ;   in Loop: Header=BB366_10 Depth=1
	s_wait_xcnt 0x0
	s_or_b32 exec_lo, exec_lo, s17
.LBB366_305:                            ;   in Loop: Header=BB366_10 Depth=1
	s_delay_alu instid0(SALU_CYCLE_1)
	s_or_b32 exec_lo, exec_lo, s16
.LBB366_306:                            ;   in Loop: Header=BB366_10 Depth=1
	s_delay_alu instid0(SALU_CYCLE_1)
	s_or_b32 exec_lo, exec_lo, s15
	v_mov_b32_e32 v1, 0
	v_lshrrev_b16 v0, 8, v16
	s_mov_b32 s15, exec_lo
	scratch_store_b32 off, v1, s32 offset:216 ; 4-byte Folded Spill
	s_wait_xcnt 0x0
	v_mov_b32_e32 v1, 0
	scratch_store_b32 off, v1, s32 offset:220 ; 4-byte Folded Spill
	s_wait_xcnt 0x0
	v_cmpx_ne_u16_e32 0, v0
	s_cbranch_execz .LBB366_314
; %bb.307:                              ;   in Loop: Header=BB366_10 Depth=1
	v_bfrev_b32_e32 v1, 1
	s_mov_b32 s16, exec_lo
	scratch_store_b32 off, v1, s32 offset:220 ; 4-byte Folded Spill
	s_wait_xcnt 0x0
	v_cmpx_ne_u16_e32 0x80, v0
	s_cbranch_execz .LBB366_313
; %bb.308:                              ;   in Loop: Header=BB366_10 Depth=1
	v_and_b32_e32 v0, 0xffff, v0
	v_mov_b32_e32 v2, 0x7f800001
	s_mov_b32 s17, exec_lo
	s_delay_alu instid0(VALU_DEP_2)
	v_and_b32_e32 v1, 0x7f, v0
	scratch_store_b32 off, v2, s32 offset:220 ; 4-byte Folded Spill
	s_wait_xcnt 0x0
	v_cmpx_ne_u32_e32 0x7f, v1
	s_cbranch_execz .LBB366_312
; %bb.309:                              ;   in Loop: Header=BB366_10 Depth=1
	v_dual_mov_b32 v3, v17 :: v_dual_bitop2_b32 v2, 7, v0 bitop3:0x40
	v_lshrrev_b32_e32 v0, 3, v1
	s_mov_b32 s18, exec_lo
	v_cmpx_gt_u32_e32 8, v1
; %bb.310:                              ;   in Loop: Header=BB366_10 Depth=1
	s_delay_alu instid0(VALU_DEP_3) | instskip(NEXT) | instid1(VALU_DEP_1)
	v_clz_i32_u32_e32 v0, v2
	v_min_u32_e32 v0, 32, v0
	s_delay_alu instid0(VALU_DEP_1) | instskip(NEXT) | instid1(VALU_DEP_1)
	v_subrev_nc_u32_e32 v1, 28, v0
	v_lshlrev_b64_e32 v[2:3], v1, v[2:3]
	s_delay_alu instid0(VALU_DEP_1)
	v_dual_sub_nc_u32 v0, 29, v0 :: v_dual_bitop2_b32 v2, 7, v2 bitop3:0x40
; %bb.311:                              ;   in Loop: Header=BB366_10 Depth=1
	s_or_b32 exec_lo, exec_lo, s18
	s_delay_alu instid0(VALU_DEP_1) | instskip(NEXT) | instid1(VALU_DEP_2)
	v_dual_lshlrev_b32 v1, 16, v16 :: v_dual_lshlrev_b32 v2, 20, v2
	v_lshl_add_u32 v0, v0, 23, 0x3c000000
	s_delay_alu instid0(VALU_DEP_2) | instskip(NEXT) | instid1(VALU_DEP_1)
	v_and_b32_e32 v1, 0x80000000, v1
	v_or3_b32 v0, v2, v1, v0
	scratch_store_b32 off, v0, s32 offset:220 ; 4-byte Folded Spill
.LBB366_312:                            ;   in Loop: Header=BB366_10 Depth=1
	s_wait_xcnt 0x0
	s_or_b32 exec_lo, exec_lo, s17
.LBB366_313:                            ;   in Loop: Header=BB366_10 Depth=1
	s_delay_alu instid0(SALU_CYCLE_1)
	s_or_b32 exec_lo, exec_lo, s16
.LBB366_314:                            ;   in Loop: Header=BB366_10 Depth=1
	s_delay_alu instid0(SALU_CYCLE_1) | instskip(SKIP_2) | instid1(VALU_DEP_1)
	s_or_b32 exec_lo, exec_lo, s15
	v_lshrrev_b32_e32 v0, 16, v25
	s_mov_b32 s15, exec_lo
	v_and_b32_e32 v1, 0xff, v0
	s_delay_alu instid0(VALU_DEP_1)
	v_cmpx_ne_u16_e32 0, v1
	s_cbranch_execz .LBB366_322
; %bb.315:                              ;   in Loop: Header=BB366_10 Depth=1
	v_cmp_ne_u16_e64 s1, 0x80, v1
	v_bfrev_b32_e32 v1, 1
	scratch_store_b32 off, v1, s32 offset:216 ; 4-byte Folded Spill
	s_wait_xcnt 0x0
	s_and_saveexec_b32 s16, s1
	s_cbranch_execz .LBB366_321
; %bb.316:                              ;   in Loop: Header=BB366_10 Depth=1
	v_bfe_u32 v2, v25, 16, 7
	v_mov_b32_e32 v1, 0x7f800001
	s_mov_b32 s17, exec_lo
	scratch_store_b32 off, v1, s32 offset:216 ; 4-byte Folded Spill
	s_wait_xcnt 0x0
	v_cmpx_ne_u32_e32 0x7f, v2
	s_cbranch_execz .LBB366_320
; %bb.317:                              ;   in Loop: Header=BB366_10 Depth=1
	v_dual_lshrrev_b32 v1, 3, v2 :: v_dual_bitop2_b32 v16, 7, v0 bitop3:0x40
	s_mov_b32 s18, exec_lo
	v_cmpx_gt_u32_e32 8, v2
; %bb.318:                              ;   in Loop: Header=BB366_10 Depth=1
	s_delay_alu instid0(VALU_DEP_2) | instskip(NEXT) | instid1(VALU_DEP_1)
	v_clz_i32_u32_e32 v1, v16
	v_min_u32_e32 v1, 32, v1
	s_delay_alu instid0(VALU_DEP_1) | instskip(NEXT) | instid1(VALU_DEP_1)
	v_subrev_nc_u32_e32 v2, 28, v1
	v_lshlrev_b64_e32 v[2:3], v2, v[16:17]
	s_delay_alu instid0(VALU_DEP_1)
	v_dual_sub_nc_u32 v1, 29, v1 :: v_dual_bitop2_b32 v16, 7, v2 bitop3:0x40
; %bb.319:                              ;   in Loop: Header=BB366_10 Depth=1
	s_or_b32 exec_lo, exec_lo, s18
	v_lshlrev_b32_e32 v0, 24, v0
	s_delay_alu instid0(VALU_DEP_2) | instskip(NEXT) | instid1(VALU_DEP_3)
	v_lshlrev_b32_e32 v2, 20, v16
	v_lshl_add_u32 v1, v1, 23, 0x3c000000
	s_delay_alu instid0(VALU_DEP_3) | instskip(NEXT) | instid1(VALU_DEP_1)
	v_and_b32_e32 v0, 0x80000000, v0
	v_or3_b32 v0, v2, v0, v1
	scratch_store_b32 off, v0, s32 offset:216 ; 4-byte Folded Spill
.LBB366_320:                            ;   in Loop: Header=BB366_10 Depth=1
	s_wait_xcnt 0x0
	s_or_b32 exec_lo, exec_lo, s17
.LBB366_321:                            ;   in Loop: Header=BB366_10 Depth=1
	s_delay_alu instid0(SALU_CYCLE_1)
	s_or_b32 exec_lo, exec_lo, s16
.LBB366_322:                            ;   in Loop: Header=BB366_10 Depth=1
	s_delay_alu instid0(SALU_CYCLE_1)
	s_or_b32 exec_lo, exec_lo, s15
	v_dual_mov_b32 v5, 0 :: v_dual_mov_b32 v0, 0
	s_mov_b32 s15, exec_lo
	scratch_store_b32 off, v0, s32 offset:224 ; 4-byte Folded Spill
	s_wait_xcnt 0x0
	v_cmpx_lt_u64_e64 s[2:3], v[24:25]
	s_cbranch_execz .LBB366_330
; %bb.323:                              ;   in Loop: Header=BB366_10 Depth=1
	v_lshrrev_b32_e32 v0, 24, v25
	v_bfrev_b32_e32 v1, 1
	s_mov_b32 s16, exec_lo
	scratch_store_b32 off, v1, s32 offset:224 ; 4-byte Folded Spill
	s_wait_xcnt 0x0
	v_cmpx_ne_u32_e32 0x80, v0
	s_cbranch_execz .LBB366_329
; %bb.324:                              ;   in Loop: Header=BB366_10 Depth=1
	v_bfe_u32 v2, v25, 24, 7
	v_mov_b32_e32 v1, 0x7f800001
	s_mov_b32 s17, exec_lo
	s_delay_alu instid0(VALU_DEP_2)
	v_cmpx_ne_u32_e32 0x7f, v2
	s_cbranch_execz .LBB366_328
; %bb.325:                              ;   in Loop: Header=BB366_10 Depth=1
	v_dual_lshrrev_b32 v1, 3, v2 :: v_dual_bitop2_b32 v16, 7, v0 bitop3:0x40
	s_mov_b32 s18, exec_lo
	v_cmpx_gt_u32_e32 8, v2
; %bb.326:                              ;   in Loop: Header=BB366_10 Depth=1
	s_delay_alu instid0(VALU_DEP_2) | instskip(NEXT) | instid1(VALU_DEP_1)
	v_clz_i32_u32_e32 v1, v16
	v_min_u32_e32 v1, 32, v1
	s_delay_alu instid0(VALU_DEP_1) | instskip(NEXT) | instid1(VALU_DEP_1)
	v_subrev_nc_u32_e32 v2, 28, v1
	v_lshlrev_b64_e32 v[2:3], v2, v[16:17]
	s_delay_alu instid0(VALU_DEP_1)
	v_dual_sub_nc_u32 v1, 29, v1 :: v_dual_bitop2_b32 v16, 7, v2 bitop3:0x40
; %bb.327:                              ;   in Loop: Header=BB366_10 Depth=1
	s_or_b32 exec_lo, exec_lo, s18
	v_lshlrev_b32_e32 v0, 24, v0
	s_delay_alu instid0(VALU_DEP_2) | instskip(NEXT) | instid1(VALU_DEP_3)
	v_lshlrev_b32_e32 v2, 20, v16
	v_lshl_add_u32 v1, v1, 23, 0x3c000000
	s_delay_alu instid0(VALU_DEP_3) | instskip(NEXT) | instid1(VALU_DEP_1)
	v_and_b32_e32 v0, 0x80000000, v0
	v_or3_b32 v1, v2, v0, v1
.LBB366_328:                            ;   in Loop: Header=BB366_10 Depth=1
	s_or_b32 exec_lo, exec_lo, s17
	scratch_store_b32 off, v1, s32 offset:224 ; 4-byte Folded Spill
.LBB366_329:                            ;   in Loop: Header=BB366_10 Depth=1
	s_wait_xcnt 0x0
	s_or_b32 exec_lo, exec_lo, s16
.LBB366_330:                            ;   in Loop: Header=BB366_10 Depth=1
	s_delay_alu instid0(SALU_CYCLE_1)
	s_or_b32 exec_lo, exec_lo, s15
	flat_load_b64 v[24:25], v[54:55] offset:1032
	s_mov_b32 s15, exec_lo
	s_wait_loadcnt_dscnt 0x0
	v_and_b32_e32 v0, 0xff, v24
	s_wait_xcnt 0x0
	s_delay_alu instid0(VALU_DEP_1)
	v_cmpx_ne_u16_e32 0, v0
	s_cbranch_execz .LBB366_338
; %bb.331:                              ;   in Loop: Header=BB366_10 Depth=1
	v_bfrev_b32_e32 v5, 1
	s_mov_b32 s16, exec_lo
	v_cmpx_ne_u16_e32 0x80, v0
	s_cbranch_execz .LBB366_337
; %bb.332:                              ;   in Loop: Header=BB366_10 Depth=1
	v_and_b32_e32 v1, 0x7f, v24
	v_mov_b32_e32 v5, 0x7f800001
	s_mov_b32 s17, exec_lo
	s_delay_alu instid0(VALU_DEP_2)
	v_cmpx_ne_u32_e32 0x7f, v1
	s_cbranch_execz .LBB366_336
; %bb.333:                              ;   in Loop: Header=BB366_10 Depth=1
	v_mov_b64_e32 v[2:3], v[24:25]
	v_lshrrev_b32_e32 v0, 3, v1
	s_mov_b32 s18, exec_lo
	v_cmpx_gt_u32_e32 8, v1
; %bb.334:                              ;   in Loop: Header=BB366_10 Depth=1
	v_and_b32_e32 v0, 7, v24
	s_delay_alu instid0(VALU_DEP_1) | instskip(NEXT) | instid1(VALU_DEP_1)
	v_clz_i32_u32_e32 v0, v0
	v_min_u32_e32 v0, 32, v0
	s_delay_alu instid0(VALU_DEP_1) | instskip(SKIP_1) | instid1(VALU_DEP_2)
	v_subrev_nc_u32_e32 v1, 28, v0
	v_sub_nc_u32_e32 v0, 29, v0
	v_lshlrev_b64_e32 v[2:3], v1, v[24:25]
; %bb.335:                              ;   in Loop: Header=BB366_10 Depth=1
	s_or_b32 exec_lo, exec_lo, s18
	s_delay_alu instid0(VALU_DEP_1) | instskip(NEXT) | instid1(VALU_DEP_3)
	v_dual_lshlrev_b32 v1, 20, v2 :: v_dual_lshlrev_b32 v2, 24, v24
	v_lshl_add_u32 v0, v0, 23, 0x3c000000
	s_delay_alu instid0(VALU_DEP_2) | instskip(NEXT) | instid1(VALU_DEP_3)
	v_and_b32_e32 v1, 0x700000, v1
	v_and_b32_e32 v2, 0x80000000, v2
	s_delay_alu instid0(VALU_DEP_1)
	v_or3_b32 v5, v1, v2, v0
.LBB366_336:                            ;   in Loop: Header=BB366_10 Depth=1
	s_or_b32 exec_lo, exec_lo, s17
.LBB366_337:                            ;   in Loop: Header=BB366_10 Depth=1
	s_delay_alu instid0(SALU_CYCLE_1)
	s_or_b32 exec_lo, exec_lo, s16
.LBB366_338:                            ;   in Loop: Header=BB366_10 Depth=1
	s_delay_alu instid0(SALU_CYCLE_1) | instskip(SKIP_3) | instid1(VALU_DEP_2)
	s_or_b32 exec_lo, exec_lo, s15
	v_lshrrev_b16 v0, 8, v24
	v_dual_mov_b32 v13, 0 :: v_dual_mov_b32 v11, 0
	s_mov_b32 s15, exec_lo
	v_cmpx_ne_u16_e32 0, v0
	s_cbranch_execz .LBB366_346
; %bb.339:                              ;   in Loop: Header=BB366_10 Depth=1
	v_bfrev_b32_e32 v11, 1
	s_mov_b32 s16, exec_lo
	v_cmpx_ne_u16_e32 0x80, v0
	s_cbranch_execz .LBB366_345
; %bb.340:                              ;   in Loop: Header=BB366_10 Depth=1
	v_and_b32_e32 v0, 0xffff, v0
	v_mov_b32_e32 v11, 0x7f800001
	s_mov_b32 s17, exec_lo
	s_delay_alu instid0(VALU_DEP_2) | instskip(NEXT) | instid1(VALU_DEP_1)
	v_and_b32_e32 v1, 0x7f, v0
	v_cmpx_ne_u32_e32 0x7f, v1
	s_cbranch_execz .LBB366_344
; %bb.341:                              ;   in Loop: Header=BB366_10 Depth=1
	v_dual_lshrrev_b32 v0, 3, v1 :: v_dual_bitop2_b32 v16, 7, v0 bitop3:0x40
	s_mov_b32 s18, exec_lo
	v_cmpx_gt_u32_e32 8, v1
; %bb.342:                              ;   in Loop: Header=BB366_10 Depth=1
	s_delay_alu instid0(VALU_DEP_2) | instskip(NEXT) | instid1(VALU_DEP_1)
	v_clz_i32_u32_e32 v0, v16
	v_min_u32_e32 v0, 32, v0
	s_delay_alu instid0(VALU_DEP_1) | instskip(NEXT) | instid1(VALU_DEP_1)
	v_subrev_nc_u32_e32 v1, 28, v0
	v_lshlrev_b64_e32 v[2:3], v1, v[16:17]
	s_delay_alu instid0(VALU_DEP_1)
	v_dual_sub_nc_u32 v0, 29, v0 :: v_dual_bitop2_b32 v16, 7, v2 bitop3:0x40
; %bb.343:                              ;   in Loop: Header=BB366_10 Depth=1
	s_or_b32 exec_lo, exec_lo, s18
	v_lshlrev_b32_e32 v1, 16, v24
	s_delay_alu instid0(VALU_DEP_2) | instskip(NEXT) | instid1(VALU_DEP_3)
	v_lshlrev_b32_e32 v2, 20, v16
	v_lshl_add_u32 v0, v0, 23, 0x3c000000
	s_delay_alu instid0(VALU_DEP_3) | instskip(NEXT) | instid1(VALU_DEP_1)
	v_and_b32_e32 v1, 0x80000000, v1
	v_or3_b32 v11, v2, v1, v0
.LBB366_344:                            ;   in Loop: Header=BB366_10 Depth=1
	s_or_b32 exec_lo, exec_lo, s17
.LBB366_345:                            ;   in Loop: Header=BB366_10 Depth=1
	s_delay_alu instid0(SALU_CYCLE_1)
	s_or_b32 exec_lo, exec_lo, s16
.LBB366_346:                            ;   in Loop: Header=BB366_10 Depth=1
	s_delay_alu instid0(SALU_CYCLE_1) | instskip(SKIP_2) | instid1(VALU_DEP_1)
	s_or_b32 exec_lo, exec_lo, s15
	v_lshrrev_b32_e32 v0, 16, v24
	s_mov_b32 s15, exec_lo
	v_and_b32_e32 v1, 0xff, v0
	s_delay_alu instid0(VALU_DEP_1)
	v_cmpx_ne_u16_e32 0, v1
	s_cbranch_execz .LBB366_354
; %bb.347:                              ;   in Loop: Header=BB366_10 Depth=1
	v_bfrev_b32_e32 v13, 1
	s_mov_b32 s16, exec_lo
	v_cmpx_ne_u16_e32 0x80, v1
	s_cbranch_execz .LBB366_353
; %bb.348:                              ;   in Loop: Header=BB366_10 Depth=1
	v_bfe_u32 v2, v24, 16, 7
	v_mov_b32_e32 v13, 0x7f800001
	s_mov_b32 s17, exec_lo
	s_delay_alu instid0(VALU_DEP_2)
	v_cmpx_ne_u32_e32 0x7f, v2
	s_cbranch_execz .LBB366_352
; %bb.349:                              ;   in Loop: Header=BB366_10 Depth=1
	v_dual_lshrrev_b32 v1, 3, v2 :: v_dual_bitop2_b32 v16, 7, v0 bitop3:0x40
	s_mov_b32 s18, exec_lo
	v_cmpx_gt_u32_e32 8, v2
; %bb.350:                              ;   in Loop: Header=BB366_10 Depth=1
	s_delay_alu instid0(VALU_DEP_2) | instskip(NEXT) | instid1(VALU_DEP_1)
	v_clz_i32_u32_e32 v1, v16
	v_min_u32_e32 v1, 32, v1
	s_delay_alu instid0(VALU_DEP_1) | instskip(NEXT) | instid1(VALU_DEP_1)
	v_subrev_nc_u32_e32 v2, 28, v1
	v_lshlrev_b64_e32 v[2:3], v2, v[16:17]
	s_delay_alu instid0(VALU_DEP_1)
	v_dual_sub_nc_u32 v1, 29, v1 :: v_dual_bitop2_b32 v16, 7, v2 bitop3:0x40
; %bb.351:                              ;   in Loop: Header=BB366_10 Depth=1
	s_or_b32 exec_lo, exec_lo, s18
	v_lshlrev_b32_e32 v0, 24, v0
	s_delay_alu instid0(VALU_DEP_2) | instskip(NEXT) | instid1(VALU_DEP_3)
	v_lshlrev_b32_e32 v2, 20, v16
	v_lshl_add_u32 v1, v1, 23, 0x3c000000
	s_delay_alu instid0(VALU_DEP_3) | instskip(NEXT) | instid1(VALU_DEP_1)
	v_and_b32_e32 v0, 0x80000000, v0
	v_or3_b32 v13, v2, v0, v1
.LBB366_352:                            ;   in Loop: Header=BB366_10 Depth=1
	s_or_b32 exec_lo, exec_lo, s17
.LBB366_353:                            ;   in Loop: Header=BB366_10 Depth=1
	s_delay_alu instid0(SALU_CYCLE_1)
	s_or_b32 exec_lo, exec_lo, s16
.LBB366_354:                            ;   in Loop: Header=BB366_10 Depth=1
	s_delay_alu instid0(SALU_CYCLE_1)
	s_or_b32 exec_lo, exec_lo, s15
	v_dual_mov_b32 v32, 0 :: v_dual_mov_b32 v33, 0
	s_mov_b32 s15, exec_lo
	v_cmpx_lt_u32_e32 0xffffff, v24
	s_cbranch_execz .LBB366_362
; %bb.355:                              ;   in Loop: Header=BB366_10 Depth=1
	v_lshrrev_b32_e32 v0, 24, v24
	v_bfrev_b32_e32 v33, 1
	s_mov_b32 s16, exec_lo
	s_delay_alu instid0(VALU_DEP_2)
	v_cmpx_ne_u32_e32 0x80, v0
	s_cbranch_execz .LBB366_361
; %bb.356:                              ;   in Loop: Header=BB366_10 Depth=1
	v_bfe_u32 v2, v24, 24, 7
	v_mov_b32_e32 v33, 0x7f800001
	s_mov_b32 s17, exec_lo
	s_delay_alu instid0(VALU_DEP_2)
	v_cmpx_ne_u32_e32 0x7f, v2
	s_cbranch_execz .LBB366_360
; %bb.357:                              ;   in Loop: Header=BB366_10 Depth=1
	v_dual_lshrrev_b32 v1, 3, v2 :: v_dual_bitop2_b32 v16, 7, v0 bitop3:0x40
	s_mov_b32 s18, exec_lo
	v_cmpx_gt_u32_e32 8, v2
; %bb.358:                              ;   in Loop: Header=BB366_10 Depth=1
	s_delay_alu instid0(VALU_DEP_2) | instskip(NEXT) | instid1(VALU_DEP_1)
	v_clz_i32_u32_e32 v1, v16
	v_min_u32_e32 v1, 32, v1
	s_delay_alu instid0(VALU_DEP_1) | instskip(NEXT) | instid1(VALU_DEP_1)
	v_subrev_nc_u32_e32 v2, 28, v1
	v_lshlrev_b64_e32 v[2:3], v2, v[16:17]
	s_delay_alu instid0(VALU_DEP_1)
	v_dual_sub_nc_u32 v1, 29, v1 :: v_dual_bitop2_b32 v16, 7, v2 bitop3:0x40
; %bb.359:                              ;   in Loop: Header=BB366_10 Depth=1
	s_or_b32 exec_lo, exec_lo, s18
	v_lshlrev_b32_e32 v0, 24, v0
	s_delay_alu instid0(VALU_DEP_2) | instskip(NEXT) | instid1(VALU_DEP_3)
	v_lshlrev_b32_e32 v2, 20, v16
	v_lshl_add_u32 v1, v1, 23, 0x3c000000
	s_delay_alu instid0(VALU_DEP_3) | instskip(NEXT) | instid1(VALU_DEP_1)
	v_and_b32_e32 v0, 0x80000000, v0
	v_or3_b32 v33, v2, v0, v1
.LBB366_360:                            ;   in Loop: Header=BB366_10 Depth=1
	s_or_b32 exec_lo, exec_lo, s17
.LBB366_361:                            ;   in Loop: Header=BB366_10 Depth=1
	s_delay_alu instid0(SALU_CYCLE_1)
	s_or_b32 exec_lo, exec_lo, s16
.LBB366_362:                            ;   in Loop: Header=BB366_10 Depth=1
	s_delay_alu instid0(SALU_CYCLE_1) | instskip(SKIP_3) | instid1(VALU_DEP_2)
	s_or_b32 exec_lo, exec_lo, s15
	v_and_b32_e32 v0, 0xff, v25
	v_mov_b32_e32 v16, v25
	s_mov_b32 s15, exec_lo
	v_cmpx_ne_u16_e32 0, v0
	s_cbranch_execz .LBB366_370
; %bb.363:                              ;   in Loop: Header=BB366_10 Depth=1
	v_bfrev_b32_e32 v32, 1
	s_mov_b32 s16, exec_lo
	v_cmpx_ne_u16_e32 0x80, v0
	s_cbranch_execz .LBB366_369
; %bb.364:                              ;   in Loop: Header=BB366_10 Depth=1
	v_and_b32_e32 v1, 0x7f, v25
	v_mov_b32_e32 v32, 0x7f800001
	s_mov_b32 s17, exec_lo
	s_delay_alu instid0(VALU_DEP_2)
	v_cmpx_ne_u32_e32 0x7f, v1
	s_cbranch_execz .LBB366_368
; %bb.365:                              ;   in Loop: Header=BB366_10 Depth=1
	v_mov_b64_e32 v[2:3], v[16:17]
	v_lshrrev_b32_e32 v0, 3, v1
	s_mov_b32 s18, exec_lo
	v_cmpx_gt_u32_e32 8, v1
; %bb.366:                              ;   in Loop: Header=BB366_10 Depth=1
	v_and_b32_e32 v0, 7, v25
	s_delay_alu instid0(VALU_DEP_1) | instskip(NEXT) | instid1(VALU_DEP_1)
	v_clz_i32_u32_e32 v0, v0
	v_min_u32_e32 v0, 32, v0
	s_delay_alu instid0(VALU_DEP_1) | instskip(SKIP_1) | instid1(VALU_DEP_2)
	v_subrev_nc_u32_e32 v1, 28, v0
	v_sub_nc_u32_e32 v0, 29, v0
	v_lshlrev_b64_e32 v[2:3], v1, v[16:17]
; %bb.367:                              ;   in Loop: Header=BB366_10 Depth=1
	s_or_b32 exec_lo, exec_lo, s18
	s_delay_alu instid0(VALU_DEP_1) | instskip(NEXT) | instid1(VALU_DEP_3)
	v_dual_lshlrev_b32 v1, 20, v2 :: v_dual_lshlrev_b32 v2, 24, v16
	v_lshl_add_u32 v0, v0, 23, 0x3c000000
	s_delay_alu instid0(VALU_DEP_2) | instskip(NEXT) | instid1(VALU_DEP_3)
	v_and_b32_e32 v1, 0x700000, v1
	v_and_b32_e32 v2, 0x80000000, v2
	s_delay_alu instid0(VALU_DEP_1)
	v_or3_b32 v32, v1, v2, v0
.LBB366_368:                            ;   in Loop: Header=BB366_10 Depth=1
	s_or_b32 exec_lo, exec_lo, s17
.LBB366_369:                            ;   in Loop: Header=BB366_10 Depth=1
	s_delay_alu instid0(SALU_CYCLE_1)
	s_or_b32 exec_lo, exec_lo, s16
.LBB366_370:                            ;   in Loop: Header=BB366_10 Depth=1
	s_delay_alu instid0(SALU_CYCLE_1) | instskip(SKIP_3) | instid1(VALU_DEP_2)
	s_or_b32 exec_lo, exec_lo, s15
	v_lshrrev_b16 v2, 8, v16
	v_dual_mov_b32 v0, 0 :: v_dual_mov_b32 v1, 0
	s_mov_b32 s15, exec_lo
	v_cmpx_ne_u16_e32 0, v2
	s_cbranch_execz .LBB366_378
; %bb.371:                              ;   in Loop: Header=BB366_10 Depth=1
	v_bfrev_b32_e32 v1, 1
	s_mov_b32 s16, exec_lo
	v_cmpx_ne_u16_e32 0x80, v2
	s_cbranch_execz .LBB366_377
; %bb.372:                              ;   in Loop: Header=BB366_10 Depth=1
	v_and_b32_e32 v2, 0xffff, v2
	v_mov_b32_e32 v1, 0x7f800001
	s_mov_b32 s17, exec_lo
	s_delay_alu instid0(VALU_DEP_2) | instskip(NEXT) | instid1(VALU_DEP_1)
	v_and_b32_e32 v6, 0x7f, v2
	v_cmpx_ne_u32_e32 0x7f, v6
	s_cbranch_execz .LBB366_376
; %bb.373:                              ;   in Loop: Header=BB366_10 Depth=1
	v_dual_mov_b32 v3, v17 :: v_dual_bitop2_b32 v2, 7, v2 bitop3:0x40
	v_lshrrev_b32_e32 v1, 3, v6
	s_mov_b32 s18, exec_lo
	v_cmpx_gt_u32_e32 8, v6
; %bb.374:                              ;   in Loop: Header=BB366_10 Depth=1
	s_delay_alu instid0(VALU_DEP_3) | instskip(NEXT) | instid1(VALU_DEP_1)
	v_clz_i32_u32_e32 v1, v2
	v_min_u32_e32 v1, 32, v1
	s_delay_alu instid0(VALU_DEP_1) | instskip(NEXT) | instid1(VALU_DEP_1)
	v_subrev_nc_u32_e32 v6, 28, v1
	v_lshlrev_b64_e32 v[2:3], v6, v[2:3]
	s_delay_alu instid0(VALU_DEP_1)
	v_dual_sub_nc_u32 v1, 29, v1 :: v_dual_bitop2_b32 v2, 7, v2 bitop3:0x40
; %bb.375:                              ;   in Loop: Header=BB366_10 Depth=1
	s_or_b32 exec_lo, exec_lo, s18
	s_delay_alu instid0(VALU_DEP_1) | instskip(NEXT) | instid1(VALU_DEP_2)
	v_dual_lshlrev_b32 v3, 16, v16 :: v_dual_lshlrev_b32 v2, 20, v2
	v_lshl_add_u32 v1, v1, 23, 0x3c000000
	s_delay_alu instid0(VALU_DEP_2) | instskip(NEXT) | instid1(VALU_DEP_1)
	v_and_b32_e32 v3, 0x80000000, v3
	v_or3_b32 v1, v2, v3, v1
.LBB366_376:                            ;   in Loop: Header=BB366_10 Depth=1
	s_or_b32 exec_lo, exec_lo, s17
.LBB366_377:                            ;   in Loop: Header=BB366_10 Depth=1
	s_delay_alu instid0(SALU_CYCLE_1)
	s_or_b32 exec_lo, exec_lo, s16
.LBB366_378:                            ;   in Loop: Header=BB366_10 Depth=1
	s_delay_alu instid0(SALU_CYCLE_1) | instskip(SKIP_2) | instid1(VALU_DEP_1)
	s_or_b32 exec_lo, exec_lo, s15
	v_lshrrev_b32_e32 v2, 16, v25
	s_mov_b32 s15, exec_lo
	v_and_b32_e32 v3, 0xff, v2
	s_delay_alu instid0(VALU_DEP_1)
	v_cmpx_ne_u16_e32 0, v3
	s_cbranch_execz .LBB366_386
; %bb.379:                              ;   in Loop: Header=BB366_10 Depth=1
	v_bfrev_b32_e32 v0, 1
	s_mov_b32 s16, exec_lo
	v_cmpx_ne_u16_e32 0x80, v3
	s_cbranch_execz .LBB366_385
; %bb.380:                              ;   in Loop: Header=BB366_10 Depth=1
	v_bfe_u32 v3, v25, 16, 7
	v_mov_b32_e32 v0, 0x7f800001
	s_mov_b32 s17, exec_lo
	s_delay_alu instid0(VALU_DEP_2)
	v_cmpx_ne_u32_e32 0x7f, v3
	s_cbranch_execz .LBB366_384
; %bb.381:                              ;   in Loop: Header=BB366_10 Depth=1
	v_dual_lshrrev_b32 v0, 3, v3 :: v_dual_bitop2_b32 v16, 7, v2 bitop3:0x40
	s_mov_b32 s18, exec_lo
	v_cmpx_gt_u32_e32 8, v3
; %bb.382:                              ;   in Loop: Header=BB366_10 Depth=1
	s_delay_alu instid0(VALU_DEP_2) | instskip(NEXT) | instid1(VALU_DEP_1)
	v_clz_i32_u32_e32 v0, v16
	v_min_u32_e32 v0, 32, v0
	s_delay_alu instid0(VALU_DEP_1) | instskip(NEXT) | instid1(VALU_DEP_1)
	v_subrev_nc_u32_e32 v3, 28, v0
	v_lshlrev_b64_e32 v[6:7], v3, v[16:17]
	s_delay_alu instid0(VALU_DEP_1)
	v_dual_sub_nc_u32 v0, 29, v0 :: v_dual_bitop2_b32 v16, 7, v6 bitop3:0x40
; %bb.383:                              ;   in Loop: Header=BB366_10 Depth=1
	s_or_b32 exec_lo, exec_lo, s18
	s_delay_alu instid0(VALU_DEP_1) | instskip(NEXT) | instid1(VALU_DEP_2)
	v_dual_lshlrev_b32 v2, 24, v2 :: v_dual_lshlrev_b32 v3, 20, v16
	v_lshl_add_u32 v0, v0, 23, 0x3c000000
	s_delay_alu instid0(VALU_DEP_2) | instskip(NEXT) | instid1(VALU_DEP_1)
	v_and_b32_e32 v2, 0x80000000, v2
	v_or3_b32 v0, v3, v2, v0
.LBB366_384:                            ;   in Loop: Header=BB366_10 Depth=1
	s_or_b32 exec_lo, exec_lo, s17
.LBB366_385:                            ;   in Loop: Header=BB366_10 Depth=1
	s_delay_alu instid0(SALU_CYCLE_1)
	s_or_b32 exec_lo, exec_lo, s16
.LBB366_386:                            ;   in Loop: Header=BB366_10 Depth=1
	s_delay_alu instid0(SALU_CYCLE_1)
	s_or_b32 exec_lo, exec_lo, s15
	v_dual_mov_b32 v96, 0 :: v_dual_mov_b32 v22, 0
	s_mov_b32 s15, exec_lo
	v_cmpx_lt_u64_e64 s[2:3], v[24:25]
	s_cbranch_execz .LBB366_394
; %bb.387:                              ;   in Loop: Header=BB366_10 Depth=1
	v_lshrrev_b32_e32 v2, 24, v25
	v_bfrev_b32_e32 v22, 1
	s_mov_b32 s16, exec_lo
	s_delay_alu instid0(VALU_DEP_2)
	v_cmpx_ne_u32_e32 0x80, v2
	s_cbranch_execz .LBB366_393
; %bb.388:                              ;   in Loop: Header=BB366_10 Depth=1
	v_bfe_u32 v6, v25, 24, 7
	v_mov_b32_e32 v22, 0x7f800001
	s_mov_b32 s17, exec_lo
	s_delay_alu instid0(VALU_DEP_2)
	v_cmpx_ne_u32_e32 0x7f, v6
	s_cbranch_execz .LBB366_392
; %bb.389:                              ;   in Loop: Header=BB366_10 Depth=1
	v_and_b32_e32 v16, 7, v2
	v_lshrrev_b32_e32 v3, 3, v6
	s_mov_b32 s18, exec_lo
	v_cmpx_gt_u32_e32 8, v6
; %bb.390:                              ;   in Loop: Header=BB366_10 Depth=1
	s_delay_alu instid0(VALU_DEP_3) | instskip(NEXT) | instid1(VALU_DEP_1)
	v_clz_i32_u32_e32 v3, v16
	v_min_u32_e32 v3, 32, v3
	s_delay_alu instid0(VALU_DEP_1) | instskip(NEXT) | instid1(VALU_DEP_1)
	v_subrev_nc_u32_e32 v6, 28, v3
	v_lshlrev_b64_e32 v[6:7], v6, v[16:17]
	s_delay_alu instid0(VALU_DEP_1)
	v_dual_sub_nc_u32 v3, 29, v3 :: v_dual_bitop2_b32 v16, 7, v6 bitop3:0x40
; %bb.391:                              ;   in Loop: Header=BB366_10 Depth=1
	s_or_b32 exec_lo, exec_lo, s18
	s_delay_alu instid0(VALU_DEP_1) | instskip(NEXT) | instid1(VALU_DEP_2)
	v_dual_lshlrev_b32 v2, 24, v2 :: v_dual_lshlrev_b32 v6, 20, v16
	v_lshl_add_u32 v3, v3, 23, 0x3c000000
	s_delay_alu instid0(VALU_DEP_2) | instskip(NEXT) | instid1(VALU_DEP_1)
	v_and_b32_e32 v2, 0x80000000, v2
	v_or3_b32 v22, v6, v2, v3
.LBB366_392:                            ;   in Loop: Header=BB366_10 Depth=1
	s_or_b32 exec_lo, exec_lo, s17
.LBB366_393:                            ;   in Loop: Header=BB366_10 Depth=1
	s_delay_alu instid0(SALU_CYCLE_1)
	s_or_b32 exec_lo, exec_lo, s16
.LBB366_394:                            ;   in Loop: Header=BB366_10 Depth=1
	s_delay_alu instid0(SALU_CYCLE_1)
	s_or_b32 exec_lo, exec_lo, s15
	flat_load_b64 v[24:25], v[54:55] offset:1536
	s_mov_b32 s15, exec_lo
	s_wait_loadcnt_dscnt 0x0
	v_and_b32_e32 v2, 0xff, v24
	s_wait_xcnt 0x0
	s_delay_alu instid0(VALU_DEP_1)
	v_cmpx_ne_u16_e32 0, v2
	s_cbranch_execz .LBB366_402
; %bb.395:                              ;   in Loop: Header=BB366_10 Depth=1
	v_bfrev_b32_e32 v96, 1
	s_mov_b32 s16, exec_lo
	v_cmpx_ne_u16_e32 0x80, v2
	s_cbranch_execz .LBB366_401
; %bb.396:                              ;   in Loop: Header=BB366_10 Depth=1
	v_and_b32_e32 v2, 0x7f, v24
	v_mov_b32_e32 v96, 0x7f800001
	s_mov_b32 s17, exec_lo
	s_delay_alu instid0(VALU_DEP_2)
	v_cmpx_ne_u32_e32 0x7f, v2
	s_cbranch_execz .LBB366_400
; %bb.397:                              ;   in Loop: Header=BB366_10 Depth=1
	v_lshrrev_b32_e32 v6, 3, v2
	v_cmp_gt_u32_e64 s1, 8, v2
	v_mov_b64_e32 v[2:3], v[24:25]
	s_and_saveexec_b32 s18, s1
; %bb.398:                              ;   in Loop: Header=BB366_10 Depth=1
	v_and_b32_e32 v2, 7, v24
	s_delay_alu instid0(VALU_DEP_1) | instskip(NEXT) | instid1(VALU_DEP_1)
	v_clz_i32_u32_e32 v2, v2
	v_min_u32_e32 v6, 32, v2
	s_delay_alu instid0(VALU_DEP_1) | instskip(SKIP_1) | instid1(VALU_DEP_2)
	v_subrev_nc_u32_e32 v2, 28, v6
	v_sub_nc_u32_e32 v6, 29, v6
	v_lshlrev_b64_e32 v[2:3], v2, v[24:25]
; %bb.399:                              ;   in Loop: Header=BB366_10 Depth=1
	s_or_b32 exec_lo, exec_lo, s18
	s_delay_alu instid0(VALU_DEP_1) | instskip(NEXT) | instid1(VALU_DEP_3)
	v_dual_lshlrev_b32 v2, 20, v2 :: v_dual_lshlrev_b32 v3, 24, v24
	v_lshl_add_u32 v6, v6, 23, 0x3c000000
	s_delay_alu instid0(VALU_DEP_2) | instskip(NEXT) | instid1(VALU_DEP_3)
	v_and_b32_e32 v2, 0x700000, v2
	v_and_b32_e32 v3, 0x80000000, v3
	s_delay_alu instid0(VALU_DEP_1)
	v_or3_b32 v96, v2, v3, v6
.LBB366_400:                            ;   in Loop: Header=BB366_10 Depth=1
	s_or_b32 exec_lo, exec_lo, s17
.LBB366_401:                            ;   in Loop: Header=BB366_10 Depth=1
	s_delay_alu instid0(SALU_CYCLE_1)
	s_or_b32 exec_lo, exec_lo, s16
.LBB366_402:                            ;   in Loop: Header=BB366_10 Depth=1
	s_delay_alu instid0(SALU_CYCLE_1) | instskip(SKIP_3) | instid1(VALU_DEP_2)
	s_or_b32 exec_lo, exec_lo, s15
	v_lshrrev_b16 v2, 8, v24
	v_dual_mov_b32 v28, 0 :: v_dual_mov_b32 v97, 0
	s_mov_b32 s15, exec_lo
	v_cmpx_ne_u16_e32 0, v2
	s_cbranch_execz .LBB366_410
; %bb.403:                              ;   in Loop: Header=BB366_10 Depth=1
	v_bfrev_b32_e32 v97, 1
	s_mov_b32 s16, exec_lo
	v_cmpx_ne_u16_e32 0x80, v2
	s_cbranch_execz .LBB366_409
; %bb.404:                              ;   in Loop: Header=BB366_10 Depth=1
	v_and_b32_e32 v2, 0xffff, v2
	v_mov_b32_e32 v97, 0x7f800001
	s_mov_b32 s17, exec_lo
	s_delay_alu instid0(VALU_DEP_2) | instskip(NEXT) | instid1(VALU_DEP_1)
	v_and_b32_e32 v3, 0x7f, v2
	v_cmpx_ne_u32_e32 0x7f, v3
	s_cbranch_execz .LBB366_408
; %bb.405:                              ;   in Loop: Header=BB366_10 Depth=1
	v_dual_lshrrev_b32 v2, 3, v3 :: v_dual_bitop2_b32 v16, 7, v2 bitop3:0x40
	s_mov_b32 s18, exec_lo
	v_cmpx_gt_u32_e32 8, v3
; %bb.406:                              ;   in Loop: Header=BB366_10 Depth=1
	s_delay_alu instid0(VALU_DEP_2) | instskip(NEXT) | instid1(VALU_DEP_1)
	v_clz_i32_u32_e32 v2, v16
	v_min_u32_e32 v2, 32, v2
	s_delay_alu instid0(VALU_DEP_1) | instskip(SKIP_1) | instid1(VALU_DEP_2)
	v_subrev_nc_u32_e32 v3, 28, v2
	v_sub_nc_u32_e32 v2, 29, v2
	v_lshlrev_b64_e32 v[6:7], v3, v[16:17]
	s_delay_alu instid0(VALU_DEP_1)
	v_and_b32_e32 v16, 7, v6
; %bb.407:                              ;   in Loop: Header=BB366_10 Depth=1
	s_or_b32 exec_lo, exec_lo, s18
	v_lshlrev_b32_e32 v3, 16, v24
	s_delay_alu instid0(VALU_DEP_2) | instskip(SKIP_1) | instid1(VALU_DEP_3)
	v_lshlrev_b32_e32 v6, 20, v16
	v_lshl_add_u32 v2, v2, 23, 0x3c000000
	v_and_b32_e32 v3, 0x80000000, v3
	s_delay_alu instid0(VALU_DEP_1)
	v_or3_b32 v97, v6, v3, v2
.LBB366_408:                            ;   in Loop: Header=BB366_10 Depth=1
	s_or_b32 exec_lo, exec_lo, s17
.LBB366_409:                            ;   in Loop: Header=BB366_10 Depth=1
	s_delay_alu instid0(SALU_CYCLE_1)
	s_or_b32 exec_lo, exec_lo, s16
.LBB366_410:                            ;   in Loop: Header=BB366_10 Depth=1
	s_delay_alu instid0(SALU_CYCLE_1) | instskip(SKIP_2) | instid1(VALU_DEP_1)
	s_or_b32 exec_lo, exec_lo, s15
	v_lshrrev_b32_e32 v2, 16, v24
	s_mov_b32 s15, exec_lo
	v_and_b32_e32 v3, 0xff, v2
	s_delay_alu instid0(VALU_DEP_1)
	v_cmpx_ne_u16_e32 0, v3
	s_cbranch_execz .LBB366_418
; %bb.411:                              ;   in Loop: Header=BB366_10 Depth=1
	v_bfrev_b32_e32 v28, 1
	s_mov_b32 s16, exec_lo
	v_cmpx_ne_u16_e32 0x80, v3
	s_cbranch_execz .LBB366_417
; %bb.412:                              ;   in Loop: Header=BB366_10 Depth=1
	v_bfe_u32 v6, v24, 16, 7
	v_mov_b32_e32 v28, 0x7f800001
	s_mov_b32 s17, exec_lo
	s_delay_alu instid0(VALU_DEP_2)
	v_cmpx_ne_u32_e32 0x7f, v6
	s_cbranch_execz .LBB366_416
; %bb.413:                              ;   in Loop: Header=BB366_10 Depth=1
	v_and_b32_e32 v16, 7, v2
	v_lshrrev_b32_e32 v3, 3, v6
	s_mov_b32 s18, exec_lo
	v_cmpx_gt_u32_e32 8, v6
; %bb.414:                              ;   in Loop: Header=BB366_10 Depth=1
	s_delay_alu instid0(VALU_DEP_3) | instskip(NEXT) | instid1(VALU_DEP_1)
	v_clz_i32_u32_e32 v3, v16
	v_min_u32_e32 v3, 32, v3
	s_delay_alu instid0(VALU_DEP_1) | instskip(NEXT) | instid1(VALU_DEP_1)
	v_subrev_nc_u32_e32 v6, 28, v3
	v_lshlrev_b64_e32 v[6:7], v6, v[16:17]
	s_delay_alu instid0(VALU_DEP_1)
	v_dual_sub_nc_u32 v3, 29, v3 :: v_dual_bitop2_b32 v16, 7, v6 bitop3:0x40
; %bb.415:                              ;   in Loop: Header=BB366_10 Depth=1
	s_or_b32 exec_lo, exec_lo, s18
	s_delay_alu instid0(VALU_DEP_1) | instskip(NEXT) | instid1(VALU_DEP_2)
	v_dual_lshlrev_b32 v2, 24, v2 :: v_dual_lshlrev_b32 v6, 20, v16
	v_lshl_add_u32 v3, v3, 23, 0x3c000000
	s_delay_alu instid0(VALU_DEP_2) | instskip(NEXT) | instid1(VALU_DEP_1)
	v_and_b32_e32 v2, 0x80000000, v2
	v_or3_b32 v28, v6, v2, v3
.LBB366_416:                            ;   in Loop: Header=BB366_10 Depth=1
	s_or_b32 exec_lo, exec_lo, s17
.LBB366_417:                            ;   in Loop: Header=BB366_10 Depth=1
	s_delay_alu instid0(SALU_CYCLE_1)
	s_or_b32 exec_lo, exec_lo, s16
.LBB366_418:                            ;   in Loop: Header=BB366_10 Depth=1
	s_delay_alu instid0(SALU_CYCLE_1)
	s_or_b32 exec_lo, exec_lo, s15
	v_dual_mov_b32 v98, 0 :: v_dual_mov_b32 v29, 0
	s_mov_b32 s15, exec_lo
	v_cmpx_lt_u32_e32 0xffffff, v24
	s_cbranch_execz .LBB366_426
; %bb.419:                              ;   in Loop: Header=BB366_10 Depth=1
	v_lshrrev_b32_e32 v2, 24, v24
	v_bfrev_b32_e32 v29, 1
	s_mov_b32 s16, exec_lo
	s_delay_alu instid0(VALU_DEP_2)
	v_cmpx_ne_u32_e32 0x80, v2
	s_cbranch_execz .LBB366_425
; %bb.420:                              ;   in Loop: Header=BB366_10 Depth=1
	v_bfe_u32 v6, v24, 24, 7
	v_mov_b32_e32 v29, 0x7f800001
	s_mov_b32 s17, exec_lo
	s_delay_alu instid0(VALU_DEP_2)
	v_cmpx_ne_u32_e32 0x7f, v6
	s_cbranch_execz .LBB366_424
; %bb.421:                              ;   in Loop: Header=BB366_10 Depth=1
	v_and_b32_e32 v16, 7, v2
	v_lshrrev_b32_e32 v3, 3, v6
	s_mov_b32 s18, exec_lo
	v_cmpx_gt_u32_e32 8, v6
; %bb.422:                              ;   in Loop: Header=BB366_10 Depth=1
	s_delay_alu instid0(VALU_DEP_3) | instskip(NEXT) | instid1(VALU_DEP_1)
	v_clz_i32_u32_e32 v3, v16
	v_min_u32_e32 v3, 32, v3
	s_delay_alu instid0(VALU_DEP_1) | instskip(NEXT) | instid1(VALU_DEP_1)
	v_subrev_nc_u32_e32 v6, 28, v3
	v_lshlrev_b64_e32 v[6:7], v6, v[16:17]
	s_delay_alu instid0(VALU_DEP_1)
	v_dual_sub_nc_u32 v3, 29, v3 :: v_dual_bitop2_b32 v16, 7, v6 bitop3:0x40
; %bb.423:                              ;   in Loop: Header=BB366_10 Depth=1
	s_or_b32 exec_lo, exec_lo, s18
	s_delay_alu instid0(VALU_DEP_1) | instskip(NEXT) | instid1(VALU_DEP_2)
	v_dual_lshlrev_b32 v2, 24, v2 :: v_dual_lshlrev_b32 v6, 20, v16
	v_lshl_add_u32 v3, v3, 23, 0x3c000000
	s_delay_alu instid0(VALU_DEP_2) | instskip(NEXT) | instid1(VALU_DEP_1)
	v_and_b32_e32 v2, 0x80000000, v2
	v_or3_b32 v29, v6, v2, v3
.LBB366_424:                            ;   in Loop: Header=BB366_10 Depth=1
	s_or_b32 exec_lo, exec_lo, s17
.LBB366_425:                            ;   in Loop: Header=BB366_10 Depth=1
	s_delay_alu instid0(SALU_CYCLE_1)
	s_or_b32 exec_lo, exec_lo, s16
.LBB366_426:                            ;   in Loop: Header=BB366_10 Depth=1
	s_delay_alu instid0(SALU_CYCLE_1) | instskip(SKIP_3) | instid1(VALU_DEP_2)
	s_or_b32 exec_lo, exec_lo, s15
	v_and_b32_e32 v2, 0xff, v25
	v_mov_b32_e32 v16, v25
	s_mov_b32 s15, exec_lo
	v_cmpx_ne_u16_e32 0, v2
	s_cbranch_execz .LBB366_434
; %bb.427:                              ;   in Loop: Header=BB366_10 Depth=1
	v_bfrev_b32_e32 v98, 1
	s_mov_b32 s16, exec_lo
	v_cmpx_ne_u16_e32 0x80, v2
	s_cbranch_execz .LBB366_433
; %bb.428:                              ;   in Loop: Header=BB366_10 Depth=1
	v_and_b32_e32 v2, 0x7f, v25
	v_mov_b32_e32 v98, 0x7f800001
	s_mov_b32 s17, exec_lo
	s_delay_alu instid0(VALU_DEP_2)
	v_cmpx_ne_u32_e32 0x7f, v2
	s_cbranch_execz .LBB366_432
; %bb.429:                              ;   in Loop: Header=BB366_10 Depth=1
	v_lshrrev_b32_e32 v6, 3, v2
	v_cmp_gt_u32_e64 s1, 8, v2
	v_mov_b64_e32 v[2:3], v[16:17]
	s_and_saveexec_b32 s18, s1
; %bb.430:                              ;   in Loop: Header=BB366_10 Depth=1
	v_and_b32_e32 v2, 7, v25
	s_delay_alu instid0(VALU_DEP_1) | instskip(NEXT) | instid1(VALU_DEP_1)
	v_clz_i32_u32_e32 v2, v2
	v_min_u32_e32 v6, 32, v2
	s_delay_alu instid0(VALU_DEP_1) | instskip(SKIP_1) | instid1(VALU_DEP_2)
	v_subrev_nc_u32_e32 v2, 28, v6
	v_sub_nc_u32_e32 v6, 29, v6
	v_lshlrev_b64_e32 v[2:3], v2, v[16:17]
; %bb.431:                              ;   in Loop: Header=BB366_10 Depth=1
	s_or_b32 exec_lo, exec_lo, s18
	s_delay_alu instid0(VALU_DEP_1) | instskip(NEXT) | instid1(VALU_DEP_3)
	v_dual_lshlrev_b32 v2, 20, v2 :: v_dual_lshlrev_b32 v3, 24, v16
	v_lshl_add_u32 v6, v6, 23, 0x3c000000
	s_delay_alu instid0(VALU_DEP_2) | instskip(NEXT) | instid1(VALU_DEP_3)
	v_and_b32_e32 v2, 0x700000, v2
	v_and_b32_e32 v3, 0x80000000, v3
	s_delay_alu instid0(VALU_DEP_1)
	v_or3_b32 v98, v2, v3, v6
.LBB366_432:                            ;   in Loop: Header=BB366_10 Depth=1
	s_or_b32 exec_lo, exec_lo, s17
.LBB366_433:                            ;   in Loop: Header=BB366_10 Depth=1
	s_delay_alu instid0(SALU_CYCLE_1)
	s_or_b32 exec_lo, exec_lo, s16
.LBB366_434:                            ;   in Loop: Header=BB366_10 Depth=1
	s_delay_alu instid0(SALU_CYCLE_1) | instskip(SKIP_3) | instid1(VALU_DEP_2)
	s_or_b32 exec_lo, exec_lo, s15
	v_lshrrev_b16 v2, 8, v16
	v_dual_mov_b32 v30, 0 :: v_dual_mov_b32 v99, 0
	s_mov_b32 s15, exec_lo
	v_cmpx_ne_u16_e32 0, v2
	s_cbranch_execz .LBB366_442
; %bb.435:                              ;   in Loop: Header=BB366_10 Depth=1
	v_bfrev_b32_e32 v99, 1
	s_mov_b32 s16, exec_lo
	v_cmpx_ne_u16_e32 0x80, v2
	s_cbranch_execz .LBB366_441
; %bb.436:                              ;   in Loop: Header=BB366_10 Depth=1
	v_and_b32_e32 v2, 0xffff, v2
	v_mov_b32_e32 v99, 0x7f800001
	s_mov_b32 s17, exec_lo
	s_delay_alu instid0(VALU_DEP_2) | instskip(NEXT) | instid1(VALU_DEP_1)
	v_and_b32_e32 v7, 0x7f, v2
	v_cmpx_ne_u32_e32 0x7f, v7
	s_cbranch_execz .LBB366_440
; %bb.437:                              ;   in Loop: Header=BB366_10 Depth=1
	v_dual_mov_b32 v3, v17 :: v_dual_bitop2_b32 v2, 7, v2 bitop3:0x40
	v_lshrrev_b32_e32 v6, 3, v7
	s_mov_b32 s18, exec_lo
	v_cmpx_gt_u32_e32 8, v7
; %bb.438:                              ;   in Loop: Header=BB366_10 Depth=1
	s_delay_alu instid0(VALU_DEP_3) | instskip(NEXT) | instid1(VALU_DEP_1)
	v_clz_i32_u32_e32 v6, v2
	v_min_u32_e32 v6, 32, v6
	s_delay_alu instid0(VALU_DEP_1) | instskip(SKIP_1) | instid1(VALU_DEP_2)
	v_subrev_nc_u32_e32 v7, 28, v6
	v_sub_nc_u32_e32 v6, 29, v6
	v_lshlrev_b64_e32 v[2:3], v7, v[2:3]
	s_delay_alu instid0(VALU_DEP_1)
	v_and_b32_e32 v2, 7, v2
; %bb.439:                              ;   in Loop: Header=BB366_10 Depth=1
	s_or_b32 exec_lo, exec_lo, s18
	s_delay_alu instid0(VALU_DEP_1) | instskip(SKIP_1) | instid1(VALU_DEP_2)
	v_dual_lshlrev_b32 v3, 16, v16 :: v_dual_lshlrev_b32 v2, 20, v2
	v_lshl_add_u32 v6, v6, 23, 0x3c000000
	v_and_b32_e32 v3, 0x80000000, v3
	s_delay_alu instid0(VALU_DEP_1)
	v_or3_b32 v99, v2, v3, v6
.LBB366_440:                            ;   in Loop: Header=BB366_10 Depth=1
	s_or_b32 exec_lo, exec_lo, s17
.LBB366_441:                            ;   in Loop: Header=BB366_10 Depth=1
	s_delay_alu instid0(SALU_CYCLE_1)
	s_or_b32 exec_lo, exec_lo, s16
.LBB366_442:                            ;   in Loop: Header=BB366_10 Depth=1
	s_delay_alu instid0(SALU_CYCLE_1) | instskip(SKIP_2) | instid1(VALU_DEP_1)
	s_or_b32 exec_lo, exec_lo, s15
	v_lshrrev_b32_e32 v2, 16, v25
	s_mov_b32 s15, exec_lo
	v_and_b32_e32 v3, 0xff, v2
	s_delay_alu instid0(VALU_DEP_1)
	v_cmpx_ne_u16_e32 0, v3
	s_cbranch_execz .LBB366_450
; %bb.443:                              ;   in Loop: Header=BB366_10 Depth=1
	v_bfrev_b32_e32 v30, 1
	s_mov_b32 s16, exec_lo
	v_cmpx_ne_u16_e32 0x80, v3
	s_cbranch_execz .LBB366_449
; %bb.444:                              ;   in Loop: Header=BB366_10 Depth=1
	v_bfe_u32 v6, v25, 16, 7
	v_mov_b32_e32 v30, 0x7f800001
	s_mov_b32 s17, exec_lo
	s_delay_alu instid0(VALU_DEP_2)
	v_cmpx_ne_u32_e32 0x7f, v6
	s_cbranch_execz .LBB366_448
; %bb.445:                              ;   in Loop: Header=BB366_10 Depth=1
	v_and_b32_e32 v16, 7, v2
	v_lshrrev_b32_e32 v3, 3, v6
	s_mov_b32 s18, exec_lo
	v_cmpx_gt_u32_e32 8, v6
; %bb.446:                              ;   in Loop: Header=BB366_10 Depth=1
	s_delay_alu instid0(VALU_DEP_3) | instskip(NEXT) | instid1(VALU_DEP_1)
	v_clz_i32_u32_e32 v3, v16
	v_min_u32_e32 v3, 32, v3
	s_delay_alu instid0(VALU_DEP_1) | instskip(NEXT) | instid1(VALU_DEP_1)
	v_subrev_nc_u32_e32 v6, 28, v3
	v_lshlrev_b64_e32 v[6:7], v6, v[16:17]
	s_delay_alu instid0(VALU_DEP_1)
	v_dual_sub_nc_u32 v3, 29, v3 :: v_dual_bitop2_b32 v16, 7, v6 bitop3:0x40
; %bb.447:                              ;   in Loop: Header=BB366_10 Depth=1
	s_or_b32 exec_lo, exec_lo, s18
	s_delay_alu instid0(VALU_DEP_1) | instskip(NEXT) | instid1(VALU_DEP_2)
	v_dual_lshlrev_b32 v2, 24, v2 :: v_dual_lshlrev_b32 v6, 20, v16
	v_lshl_add_u32 v3, v3, 23, 0x3c000000
	s_delay_alu instid0(VALU_DEP_2) | instskip(NEXT) | instid1(VALU_DEP_1)
	v_and_b32_e32 v2, 0x80000000, v2
	v_or3_b32 v30, v6, v2, v3
.LBB366_448:                            ;   in Loop: Header=BB366_10 Depth=1
	s_or_b32 exec_lo, exec_lo, s17
.LBB366_449:                            ;   in Loop: Header=BB366_10 Depth=1
	s_delay_alu instid0(SALU_CYCLE_1)
	s_or_b32 exec_lo, exec_lo, s16
.LBB366_450:                            ;   in Loop: Header=BB366_10 Depth=1
	s_delay_alu instid0(SALU_CYCLE_1)
	s_or_b32 exec_lo, exec_lo, s15
	v_dual_mov_b32 v100, 0 :: v_dual_mov_b32 v31, 0
	s_mov_b32 s15, exec_lo
	v_cmpx_lt_u64_e64 s[2:3], v[24:25]
	s_cbranch_execz .LBB366_458
; %bb.451:                              ;   in Loop: Header=BB366_10 Depth=1
	v_lshrrev_b32_e32 v2, 24, v25
	v_bfrev_b32_e32 v31, 1
	s_mov_b32 s16, exec_lo
	s_delay_alu instid0(VALU_DEP_2)
	v_cmpx_ne_u32_e32 0x80, v2
	s_cbranch_execz .LBB366_457
; %bb.452:                              ;   in Loop: Header=BB366_10 Depth=1
	v_bfe_u32 v6, v25, 24, 7
	v_mov_b32_e32 v31, 0x7f800001
	s_mov_b32 s17, exec_lo
	s_delay_alu instid0(VALU_DEP_2)
	v_cmpx_ne_u32_e32 0x7f, v6
	s_cbranch_execz .LBB366_456
; %bb.453:                              ;   in Loop: Header=BB366_10 Depth=1
	v_and_b32_e32 v16, 7, v2
	v_lshrrev_b32_e32 v3, 3, v6
	s_mov_b32 s18, exec_lo
	v_cmpx_gt_u32_e32 8, v6
; %bb.454:                              ;   in Loop: Header=BB366_10 Depth=1
	s_delay_alu instid0(VALU_DEP_3) | instskip(NEXT) | instid1(VALU_DEP_1)
	v_clz_i32_u32_e32 v3, v16
	v_min_u32_e32 v3, 32, v3
	s_delay_alu instid0(VALU_DEP_1) | instskip(NEXT) | instid1(VALU_DEP_1)
	v_subrev_nc_u32_e32 v6, 28, v3
	v_lshlrev_b64_e32 v[6:7], v6, v[16:17]
	s_delay_alu instid0(VALU_DEP_1)
	v_dual_sub_nc_u32 v3, 29, v3 :: v_dual_bitop2_b32 v16, 7, v6 bitop3:0x40
; %bb.455:                              ;   in Loop: Header=BB366_10 Depth=1
	s_or_b32 exec_lo, exec_lo, s18
	s_delay_alu instid0(VALU_DEP_1) | instskip(NEXT) | instid1(VALU_DEP_2)
	v_dual_lshlrev_b32 v2, 24, v2 :: v_dual_lshlrev_b32 v6, 20, v16
	v_lshl_add_u32 v3, v3, 23, 0x3c000000
	s_delay_alu instid0(VALU_DEP_2) | instskip(NEXT) | instid1(VALU_DEP_1)
	v_and_b32_e32 v2, 0x80000000, v2
	v_or3_b32 v31, v6, v2, v3
.LBB366_456:                            ;   in Loop: Header=BB366_10 Depth=1
	s_or_b32 exec_lo, exec_lo, s17
.LBB366_457:                            ;   in Loop: Header=BB366_10 Depth=1
	s_delay_alu instid0(SALU_CYCLE_1)
	s_or_b32 exec_lo, exec_lo, s16
.LBB366_458:                            ;   in Loop: Header=BB366_10 Depth=1
	s_delay_alu instid0(SALU_CYCLE_1)
	s_or_b32 exec_lo, exec_lo, s15
	flat_load_b64 v[112:113], v[54:55] offset:1544
	s_mov_b32 s15, exec_lo
	s_wait_loadcnt_dscnt 0x0
	v_and_b32_e32 v2, 0xff, v112
	s_wait_xcnt 0x0
	s_delay_alu instid0(VALU_DEP_1)
	v_cmpx_ne_u16_e32 0, v2
	s_cbranch_execz .LBB366_466
; %bb.459:                              ;   in Loop: Header=BB366_10 Depth=1
	v_bfrev_b32_e32 v100, 1
	s_mov_b32 s16, exec_lo
	v_cmpx_ne_u16_e32 0x80, v2
	s_cbranch_execz .LBB366_465
; %bb.460:                              ;   in Loop: Header=BB366_10 Depth=1
	v_and_b32_e32 v2, 0x7f, v112
	v_mov_b32_e32 v100, 0x7f800001
	s_mov_b32 s17, exec_lo
	s_delay_alu instid0(VALU_DEP_2)
	v_cmpx_ne_u32_e32 0x7f, v2
	s_cbranch_execz .LBB366_464
; %bb.461:                              ;   in Loop: Header=BB366_10 Depth=1
	v_lshrrev_b32_e32 v6, 3, v2
	v_cmp_gt_u32_e64 s1, 8, v2
	v_mov_b64_e32 v[2:3], v[112:113]
	s_and_saveexec_b32 s18, s1
; %bb.462:                              ;   in Loop: Header=BB366_10 Depth=1
	v_and_b32_e32 v2, 7, v112
	s_delay_alu instid0(VALU_DEP_1) | instskip(NEXT) | instid1(VALU_DEP_1)
	v_clz_i32_u32_e32 v2, v2
	v_min_u32_e32 v6, 32, v2
	s_delay_alu instid0(VALU_DEP_1) | instskip(SKIP_1) | instid1(VALU_DEP_2)
	v_subrev_nc_u32_e32 v2, 28, v6
	v_sub_nc_u32_e32 v6, 29, v6
	v_lshlrev_b64_e32 v[2:3], v2, v[112:113]
; %bb.463:                              ;   in Loop: Header=BB366_10 Depth=1
	s_or_b32 exec_lo, exec_lo, s18
	s_delay_alu instid0(VALU_DEP_1) | instskip(NEXT) | instid1(VALU_DEP_3)
	v_dual_lshlrev_b32 v2, 20, v2 :: v_dual_lshlrev_b32 v3, 24, v112
	v_lshl_add_u32 v6, v6, 23, 0x3c000000
	s_delay_alu instid0(VALU_DEP_2) | instskip(NEXT) | instid1(VALU_DEP_3)
	v_and_b32_e32 v2, 0x700000, v2
	v_and_b32_e32 v3, 0x80000000, v3
	s_delay_alu instid0(VALU_DEP_1)
	v_or3_b32 v100, v2, v3, v6
.LBB366_464:                            ;   in Loop: Header=BB366_10 Depth=1
	s_or_b32 exec_lo, exec_lo, s17
.LBB366_465:                            ;   in Loop: Header=BB366_10 Depth=1
	s_delay_alu instid0(SALU_CYCLE_1)
	s_or_b32 exec_lo, exec_lo, s16
.LBB366_466:                            ;   in Loop: Header=BB366_10 Depth=1
	s_delay_alu instid0(SALU_CYCLE_1) | instskip(SKIP_3) | instid1(VALU_DEP_2)
	s_or_b32 exec_lo, exec_lo, s15
	v_lshrrev_b16 v2, 8, v112
	v_dual_mov_b32 v24, 0 :: v_dual_mov_b32 v101, 0
	s_mov_b32 s15, exec_lo
	v_cmpx_ne_u16_e32 0, v2
	s_cbranch_execz .LBB366_474
; %bb.467:                              ;   in Loop: Header=BB366_10 Depth=1
	v_bfrev_b32_e32 v101, 1
	s_mov_b32 s16, exec_lo
	v_cmpx_ne_u16_e32 0x80, v2
	s_cbranch_execz .LBB366_473
; %bb.468:                              ;   in Loop: Header=BB366_10 Depth=1
	v_and_b32_e32 v2, 0xffff, v2
	v_mov_b32_e32 v101, 0x7f800001
	s_mov_b32 s17, exec_lo
	s_delay_alu instid0(VALU_DEP_2) | instskip(NEXT) | instid1(VALU_DEP_1)
	v_and_b32_e32 v3, 0x7f, v2
	v_cmpx_ne_u32_e32 0x7f, v3
	s_cbranch_execz .LBB366_472
; %bb.469:                              ;   in Loop: Header=BB366_10 Depth=1
	v_dual_lshrrev_b32 v2, 3, v3 :: v_dual_bitop2_b32 v16, 7, v2 bitop3:0x40
	s_mov_b32 s18, exec_lo
	v_cmpx_gt_u32_e32 8, v3
; %bb.470:                              ;   in Loop: Header=BB366_10 Depth=1
	s_delay_alu instid0(VALU_DEP_2) | instskip(NEXT) | instid1(VALU_DEP_1)
	v_clz_i32_u32_e32 v2, v16
	v_min_u32_e32 v2, 32, v2
	s_delay_alu instid0(VALU_DEP_1) | instskip(SKIP_1) | instid1(VALU_DEP_2)
	v_subrev_nc_u32_e32 v3, 28, v2
	v_sub_nc_u32_e32 v2, 29, v2
	v_lshlrev_b64_e32 v[6:7], v3, v[16:17]
	s_delay_alu instid0(VALU_DEP_1)
	v_and_b32_e32 v16, 7, v6
; %bb.471:                              ;   in Loop: Header=BB366_10 Depth=1
	s_or_b32 exec_lo, exec_lo, s18
	v_lshlrev_b32_e32 v3, 16, v112
	s_delay_alu instid0(VALU_DEP_2) | instskip(SKIP_1) | instid1(VALU_DEP_3)
	v_lshlrev_b32_e32 v6, 20, v16
	v_lshl_add_u32 v2, v2, 23, 0x3c000000
	v_and_b32_e32 v3, 0x80000000, v3
	s_delay_alu instid0(VALU_DEP_1)
	v_or3_b32 v101, v6, v3, v2
.LBB366_472:                            ;   in Loop: Header=BB366_10 Depth=1
	s_or_b32 exec_lo, exec_lo, s17
.LBB366_473:                            ;   in Loop: Header=BB366_10 Depth=1
	s_delay_alu instid0(SALU_CYCLE_1)
	s_or_b32 exec_lo, exec_lo, s16
.LBB366_474:                            ;   in Loop: Header=BB366_10 Depth=1
	s_delay_alu instid0(SALU_CYCLE_1) | instskip(SKIP_2) | instid1(VALU_DEP_1)
	s_or_b32 exec_lo, exec_lo, s15
	v_lshrrev_b32_e32 v2, 16, v112
	s_mov_b32 s15, exec_lo
	v_and_b32_e32 v3, 0xff, v2
	s_delay_alu instid0(VALU_DEP_1)
	v_cmpx_ne_u16_e32 0, v3
	s_cbranch_execz .LBB366_482
; %bb.475:                              ;   in Loop: Header=BB366_10 Depth=1
	v_bfrev_b32_e32 v24, 1
	s_mov_b32 s16, exec_lo
	v_cmpx_ne_u16_e32 0x80, v3
	s_cbranch_execz .LBB366_481
; %bb.476:                              ;   in Loop: Header=BB366_10 Depth=1
	v_bfe_u32 v6, v112, 16, 7
	v_mov_b32_e32 v24, 0x7f800001
	s_mov_b32 s17, exec_lo
	s_delay_alu instid0(VALU_DEP_2)
	v_cmpx_ne_u32_e32 0x7f, v6
	s_cbranch_execz .LBB366_480
; %bb.477:                              ;   in Loop: Header=BB366_10 Depth=1
	v_and_b32_e32 v16, 7, v2
	v_lshrrev_b32_e32 v3, 3, v6
	s_mov_b32 s18, exec_lo
	v_cmpx_gt_u32_e32 8, v6
; %bb.478:                              ;   in Loop: Header=BB366_10 Depth=1
	s_delay_alu instid0(VALU_DEP_3) | instskip(NEXT) | instid1(VALU_DEP_1)
	v_clz_i32_u32_e32 v3, v16
	v_min_u32_e32 v3, 32, v3
	s_delay_alu instid0(VALU_DEP_1) | instskip(NEXT) | instid1(VALU_DEP_1)
	v_subrev_nc_u32_e32 v6, 28, v3
	v_lshlrev_b64_e32 v[6:7], v6, v[16:17]
	s_delay_alu instid0(VALU_DEP_1)
	v_dual_sub_nc_u32 v3, 29, v3 :: v_dual_bitop2_b32 v16, 7, v6 bitop3:0x40
; %bb.479:                              ;   in Loop: Header=BB366_10 Depth=1
	s_or_b32 exec_lo, exec_lo, s18
	s_delay_alu instid0(VALU_DEP_1) | instskip(NEXT) | instid1(VALU_DEP_2)
	v_dual_lshlrev_b32 v2, 24, v2 :: v_dual_lshlrev_b32 v6, 20, v16
	v_lshl_add_u32 v3, v3, 23, 0x3c000000
	s_delay_alu instid0(VALU_DEP_2) | instskip(NEXT) | instid1(VALU_DEP_1)
	v_and_b32_e32 v2, 0x80000000, v2
	v_or3_b32 v24, v6, v2, v3
.LBB366_480:                            ;   in Loop: Header=BB366_10 Depth=1
	s_or_b32 exec_lo, exec_lo, s17
.LBB366_481:                            ;   in Loop: Header=BB366_10 Depth=1
	s_delay_alu instid0(SALU_CYCLE_1)
	s_or_b32 exec_lo, exec_lo, s16
.LBB366_482:                            ;   in Loop: Header=BB366_10 Depth=1
	s_delay_alu instid0(SALU_CYCLE_1)
	s_or_b32 exec_lo, exec_lo, s15
	v_dual_mov_b32 v102, 0 :: v_dual_mov_b32 v25, 0
	s_mov_b32 s15, exec_lo
	v_cmpx_lt_u32_e32 0xffffff, v112
	s_cbranch_execz .LBB366_490
; %bb.483:                              ;   in Loop: Header=BB366_10 Depth=1
	v_lshrrev_b32_e32 v2, 24, v112
	v_bfrev_b32_e32 v25, 1
	s_mov_b32 s16, exec_lo
	s_delay_alu instid0(VALU_DEP_2)
	v_cmpx_ne_u32_e32 0x80, v2
	s_cbranch_execz .LBB366_489
; %bb.484:                              ;   in Loop: Header=BB366_10 Depth=1
	v_bfe_u32 v6, v112, 24, 7
	v_mov_b32_e32 v25, 0x7f800001
	s_mov_b32 s17, exec_lo
	s_delay_alu instid0(VALU_DEP_2)
	v_cmpx_ne_u32_e32 0x7f, v6
	s_cbranch_execz .LBB366_488
; %bb.485:                              ;   in Loop: Header=BB366_10 Depth=1
	v_and_b32_e32 v16, 7, v2
	v_lshrrev_b32_e32 v3, 3, v6
	s_mov_b32 s18, exec_lo
	v_cmpx_gt_u32_e32 8, v6
; %bb.486:                              ;   in Loop: Header=BB366_10 Depth=1
	s_delay_alu instid0(VALU_DEP_3) | instskip(NEXT) | instid1(VALU_DEP_1)
	v_clz_i32_u32_e32 v3, v16
	v_min_u32_e32 v3, 32, v3
	s_delay_alu instid0(VALU_DEP_1) | instskip(NEXT) | instid1(VALU_DEP_1)
	v_subrev_nc_u32_e32 v6, 28, v3
	v_lshlrev_b64_e32 v[6:7], v6, v[16:17]
	s_delay_alu instid0(VALU_DEP_1)
	v_dual_sub_nc_u32 v3, 29, v3 :: v_dual_bitop2_b32 v16, 7, v6 bitop3:0x40
; %bb.487:                              ;   in Loop: Header=BB366_10 Depth=1
	s_or_b32 exec_lo, exec_lo, s18
	s_delay_alu instid0(VALU_DEP_1) | instskip(NEXT) | instid1(VALU_DEP_2)
	v_dual_lshlrev_b32 v2, 24, v2 :: v_dual_lshlrev_b32 v6, 20, v16
	v_lshl_add_u32 v3, v3, 23, 0x3c000000
	s_delay_alu instid0(VALU_DEP_2) | instskip(NEXT) | instid1(VALU_DEP_1)
	v_and_b32_e32 v2, 0x80000000, v2
	v_or3_b32 v25, v6, v2, v3
.LBB366_488:                            ;   in Loop: Header=BB366_10 Depth=1
	s_or_b32 exec_lo, exec_lo, s17
.LBB366_489:                            ;   in Loop: Header=BB366_10 Depth=1
	s_delay_alu instid0(SALU_CYCLE_1)
	s_or_b32 exec_lo, exec_lo, s16
.LBB366_490:                            ;   in Loop: Header=BB366_10 Depth=1
	s_delay_alu instid0(SALU_CYCLE_1) | instskip(SKIP_3) | instid1(VALU_DEP_2)
	s_or_b32 exec_lo, exec_lo, s15
	v_and_b32_e32 v2, 0xff, v113
	v_mov_b32_e32 v16, v113
	s_mov_b32 s15, exec_lo
	v_cmpx_ne_u16_e32 0, v2
	s_cbranch_execz .LBB366_498
; %bb.491:                              ;   in Loop: Header=BB366_10 Depth=1
	v_bfrev_b32_e32 v102, 1
	s_mov_b32 s16, exec_lo
	v_cmpx_ne_u16_e32 0x80, v2
	s_cbranch_execz .LBB366_497
; %bb.492:                              ;   in Loop: Header=BB366_10 Depth=1
	v_and_b32_e32 v2, 0x7f, v113
	v_mov_b32_e32 v102, 0x7f800001
	s_mov_b32 s17, exec_lo
	s_delay_alu instid0(VALU_DEP_2)
	v_cmpx_ne_u32_e32 0x7f, v2
	s_cbranch_execz .LBB366_496
; %bb.493:                              ;   in Loop: Header=BB366_10 Depth=1
	v_lshrrev_b32_e32 v6, 3, v2
	v_cmp_gt_u32_e64 s1, 8, v2
	v_mov_b64_e32 v[2:3], v[16:17]
	s_and_saveexec_b32 s18, s1
; %bb.494:                              ;   in Loop: Header=BB366_10 Depth=1
	v_and_b32_e32 v2, 7, v113
	s_delay_alu instid0(VALU_DEP_1) | instskip(NEXT) | instid1(VALU_DEP_1)
	v_clz_i32_u32_e32 v2, v2
	v_min_u32_e32 v6, 32, v2
	s_delay_alu instid0(VALU_DEP_1) | instskip(SKIP_1) | instid1(VALU_DEP_2)
	v_subrev_nc_u32_e32 v2, 28, v6
	v_sub_nc_u32_e32 v6, 29, v6
	v_lshlrev_b64_e32 v[2:3], v2, v[16:17]
; %bb.495:                              ;   in Loop: Header=BB366_10 Depth=1
	s_or_b32 exec_lo, exec_lo, s18
	s_delay_alu instid0(VALU_DEP_1) | instskip(NEXT) | instid1(VALU_DEP_3)
	v_dual_lshlrev_b32 v2, 20, v2 :: v_dual_lshlrev_b32 v3, 24, v16
	v_lshl_add_u32 v6, v6, 23, 0x3c000000
	s_delay_alu instid0(VALU_DEP_2) | instskip(NEXT) | instid1(VALU_DEP_3)
	v_and_b32_e32 v2, 0x700000, v2
	v_and_b32_e32 v3, 0x80000000, v3
	s_delay_alu instid0(VALU_DEP_1)
	v_or3_b32 v102, v2, v3, v6
.LBB366_496:                            ;   in Loop: Header=BB366_10 Depth=1
	s_or_b32 exec_lo, exec_lo, s17
.LBB366_497:                            ;   in Loop: Header=BB366_10 Depth=1
	s_delay_alu instid0(SALU_CYCLE_1)
	s_or_b32 exec_lo, exec_lo, s16
.LBB366_498:                            ;   in Loop: Header=BB366_10 Depth=1
	s_delay_alu instid0(SALU_CYCLE_1) | instskip(SKIP_3) | instid1(VALU_DEP_2)
	s_or_b32 exec_lo, exec_lo, s15
	v_lshrrev_b16 v2, 8, v16
	v_dual_mov_b32 v20, 0 :: v_dual_mov_b32 v103, 0
	s_mov_b32 s15, exec_lo
	v_cmpx_ne_u16_e32 0, v2
	s_cbranch_execz .LBB366_506
; %bb.499:                              ;   in Loop: Header=BB366_10 Depth=1
	v_bfrev_b32_e32 v103, 1
	s_mov_b32 s16, exec_lo
	v_cmpx_ne_u16_e32 0x80, v2
	s_cbranch_execz .LBB366_505
; %bb.500:                              ;   in Loop: Header=BB366_10 Depth=1
	v_and_b32_e32 v2, 0xffff, v2
	v_mov_b32_e32 v103, 0x7f800001
	s_mov_b32 s17, exec_lo
	s_delay_alu instid0(VALU_DEP_2) | instskip(NEXT) | instid1(VALU_DEP_1)
	v_and_b32_e32 v7, 0x7f, v2
	v_cmpx_ne_u32_e32 0x7f, v7
	s_cbranch_execz .LBB366_504
; %bb.501:                              ;   in Loop: Header=BB366_10 Depth=1
	v_dual_mov_b32 v3, v17 :: v_dual_bitop2_b32 v2, 7, v2 bitop3:0x40
	v_lshrrev_b32_e32 v6, 3, v7
	s_mov_b32 s18, exec_lo
	v_cmpx_gt_u32_e32 8, v7
; %bb.502:                              ;   in Loop: Header=BB366_10 Depth=1
	s_delay_alu instid0(VALU_DEP_3) | instskip(NEXT) | instid1(VALU_DEP_1)
	v_clz_i32_u32_e32 v6, v2
	v_min_u32_e32 v6, 32, v6
	s_delay_alu instid0(VALU_DEP_1) | instskip(SKIP_1) | instid1(VALU_DEP_2)
	v_subrev_nc_u32_e32 v7, 28, v6
	v_sub_nc_u32_e32 v6, 29, v6
	v_lshlrev_b64_e32 v[2:3], v7, v[2:3]
	s_delay_alu instid0(VALU_DEP_1)
	v_and_b32_e32 v2, 7, v2
; %bb.503:                              ;   in Loop: Header=BB366_10 Depth=1
	s_or_b32 exec_lo, exec_lo, s18
	s_delay_alu instid0(VALU_DEP_1) | instskip(SKIP_1) | instid1(VALU_DEP_2)
	v_dual_lshlrev_b32 v3, 16, v16 :: v_dual_lshlrev_b32 v2, 20, v2
	v_lshl_add_u32 v6, v6, 23, 0x3c000000
	v_and_b32_e32 v3, 0x80000000, v3
	s_delay_alu instid0(VALU_DEP_1)
	v_or3_b32 v103, v2, v3, v6
.LBB366_504:                            ;   in Loop: Header=BB366_10 Depth=1
	s_or_b32 exec_lo, exec_lo, s17
.LBB366_505:                            ;   in Loop: Header=BB366_10 Depth=1
	s_delay_alu instid0(SALU_CYCLE_1)
	s_or_b32 exec_lo, exec_lo, s16
.LBB366_506:                            ;   in Loop: Header=BB366_10 Depth=1
	s_delay_alu instid0(SALU_CYCLE_1) | instskip(SKIP_2) | instid1(VALU_DEP_1)
	s_or_b32 exec_lo, exec_lo, s15
	v_lshrrev_b32_e32 v2, 16, v113
	s_mov_b32 s15, exec_lo
	v_and_b32_e32 v3, 0xff, v2
	s_delay_alu instid0(VALU_DEP_1)
	v_cmpx_ne_u16_e32 0, v3
	s_cbranch_execz .LBB366_514
; %bb.507:                              ;   in Loop: Header=BB366_10 Depth=1
	v_bfrev_b32_e32 v20, 1
	s_mov_b32 s16, exec_lo
	v_cmpx_ne_u16_e32 0x80, v3
	s_cbranch_execz .LBB366_513
; %bb.508:                              ;   in Loop: Header=BB366_10 Depth=1
	v_bfe_u32 v6, v113, 16, 7
	v_mov_b32_e32 v20, 0x7f800001
	s_mov_b32 s17, exec_lo
	s_delay_alu instid0(VALU_DEP_2)
	v_cmpx_ne_u32_e32 0x7f, v6
	s_cbranch_execz .LBB366_512
; %bb.509:                              ;   in Loop: Header=BB366_10 Depth=1
	v_and_b32_e32 v16, 7, v2
	v_lshrrev_b32_e32 v3, 3, v6
	s_mov_b32 s18, exec_lo
	v_cmpx_gt_u32_e32 8, v6
; %bb.510:                              ;   in Loop: Header=BB366_10 Depth=1
	s_delay_alu instid0(VALU_DEP_3) | instskip(NEXT) | instid1(VALU_DEP_1)
	v_clz_i32_u32_e32 v3, v16
	v_min_u32_e32 v3, 32, v3
	s_delay_alu instid0(VALU_DEP_1) | instskip(NEXT) | instid1(VALU_DEP_1)
	v_subrev_nc_u32_e32 v6, 28, v3
	v_lshlrev_b64_e32 v[6:7], v6, v[16:17]
	s_delay_alu instid0(VALU_DEP_1)
	v_dual_sub_nc_u32 v3, 29, v3 :: v_dual_bitop2_b32 v16, 7, v6 bitop3:0x40
; %bb.511:                              ;   in Loop: Header=BB366_10 Depth=1
	s_or_b32 exec_lo, exec_lo, s18
	s_delay_alu instid0(VALU_DEP_1) | instskip(NEXT) | instid1(VALU_DEP_2)
	v_dual_lshlrev_b32 v2, 24, v2 :: v_dual_lshlrev_b32 v6, 20, v16
	v_lshl_add_u32 v3, v3, 23, 0x3c000000
	s_delay_alu instid0(VALU_DEP_2) | instskip(NEXT) | instid1(VALU_DEP_1)
	v_and_b32_e32 v2, 0x80000000, v2
	v_or3_b32 v20, v6, v2, v3
.LBB366_512:                            ;   in Loop: Header=BB366_10 Depth=1
	s_or_b32 exec_lo, exec_lo, s17
.LBB366_513:                            ;   in Loop: Header=BB366_10 Depth=1
	s_delay_alu instid0(SALU_CYCLE_1)
	s_or_b32 exec_lo, exec_lo, s16
.LBB366_514:                            ;   in Loop: Header=BB366_10 Depth=1
	s_delay_alu instid0(SALU_CYCLE_1)
	s_or_b32 exec_lo, exec_lo, s15
	v_cmp_lt_u64_e64 s1, s[2:3], v[112:113]
	v_dual_mov_b32 v112, 0 :: v_dual_mov_b32 v21, 0
	s_and_saveexec_b32 s15, s1
	s_cbranch_execz .LBB366_522
; %bb.515:                              ;   in Loop: Header=BB366_10 Depth=1
	v_lshrrev_b32_e32 v2, 24, v113
	v_bfrev_b32_e32 v21, 1
	s_mov_b32 s16, exec_lo
	s_delay_alu instid0(VALU_DEP_2)
	v_cmpx_ne_u32_e32 0x80, v2
	s_cbranch_execz .LBB366_521
; %bb.516:                              ;   in Loop: Header=BB366_10 Depth=1
	v_bfe_u32 v6, v113, 24, 7
	v_mov_b32_e32 v21, 0x7f800001
	s_mov_b32 s17, exec_lo
	s_delay_alu instid0(VALU_DEP_2)
	v_cmpx_ne_u32_e32 0x7f, v6
	s_cbranch_execz .LBB366_520
; %bb.517:                              ;   in Loop: Header=BB366_10 Depth=1
	v_and_b32_e32 v16, 7, v2
	v_lshrrev_b32_e32 v3, 3, v6
	s_mov_b32 s18, exec_lo
	v_cmpx_gt_u32_e32 8, v6
; %bb.518:                              ;   in Loop: Header=BB366_10 Depth=1
	s_delay_alu instid0(VALU_DEP_3) | instskip(NEXT) | instid1(VALU_DEP_1)
	v_clz_i32_u32_e32 v3, v16
	v_min_u32_e32 v3, 32, v3
	s_delay_alu instid0(VALU_DEP_1) | instskip(NEXT) | instid1(VALU_DEP_1)
	v_subrev_nc_u32_e32 v6, 28, v3
	v_lshlrev_b64_e32 v[6:7], v6, v[16:17]
	s_delay_alu instid0(VALU_DEP_1)
	v_dual_sub_nc_u32 v3, 29, v3 :: v_dual_bitop2_b32 v16, 7, v6 bitop3:0x40
; %bb.519:                              ;   in Loop: Header=BB366_10 Depth=1
	s_or_b32 exec_lo, exec_lo, s18
	s_delay_alu instid0(VALU_DEP_1) | instskip(NEXT) | instid1(VALU_DEP_2)
	v_dual_lshlrev_b32 v2, 24, v2 :: v_dual_lshlrev_b32 v6, 20, v16
	v_lshl_add_u32 v3, v3, 23, 0x3c000000
	s_delay_alu instid0(VALU_DEP_2) | instskip(NEXT) | instid1(VALU_DEP_1)
	v_and_b32_e32 v2, 0x80000000, v2
	v_or3_b32 v21, v6, v2, v3
.LBB366_520:                            ;   in Loop: Header=BB366_10 Depth=1
	s_or_b32 exec_lo, exec_lo, s17
.LBB366_521:                            ;   in Loop: Header=BB366_10 Depth=1
	s_delay_alu instid0(SALU_CYCLE_1)
	s_or_b32 exec_lo, exec_lo, s16
.LBB366_522:                            ;   in Loop: Header=BB366_10 Depth=1
	s_delay_alu instid0(SALU_CYCLE_1)
	s_or_b32 exec_lo, exec_lo, s15
	flat_load_b64 v[40:41], v[54:55] offset:2048
	s_mov_b32 s15, exec_lo
	s_wait_loadcnt_dscnt 0x0
	v_and_b32_e32 v2, 0xff, v40
	s_wait_xcnt 0x0
	s_delay_alu instid0(VALU_DEP_1)
	v_cmpx_ne_u16_e32 0, v2
	s_cbranch_execz .LBB366_530
; %bb.523:                              ;   in Loop: Header=BB366_10 Depth=1
	v_bfrev_b32_e32 v112, 1
	s_mov_b32 s16, exec_lo
	v_cmpx_ne_u16_e32 0x80, v2
	s_cbranch_execz .LBB366_529
; %bb.524:                              ;   in Loop: Header=BB366_10 Depth=1
	v_and_b32_e32 v2, 0x7f, v40
	v_mov_b32_e32 v112, 0x7f800001
	s_mov_b32 s17, exec_lo
	s_delay_alu instid0(VALU_DEP_2)
	v_cmpx_ne_u32_e32 0x7f, v2
	s_cbranch_execz .LBB366_528
; %bb.525:                              ;   in Loop: Header=BB366_10 Depth=1
	v_lshrrev_b32_e32 v6, 3, v2
	v_cmp_gt_u32_e64 s1, 8, v2
	v_mov_b64_e32 v[2:3], v[40:41]
	s_and_saveexec_b32 s18, s1
; %bb.526:                              ;   in Loop: Header=BB366_10 Depth=1
	v_and_b32_e32 v2, 7, v40
	s_delay_alu instid0(VALU_DEP_1) | instskip(NEXT) | instid1(VALU_DEP_1)
	v_clz_i32_u32_e32 v2, v2
	v_min_u32_e32 v6, 32, v2
	s_delay_alu instid0(VALU_DEP_1) | instskip(SKIP_1) | instid1(VALU_DEP_2)
	v_subrev_nc_u32_e32 v2, 28, v6
	v_sub_nc_u32_e32 v6, 29, v6
	v_lshlrev_b64_e32 v[2:3], v2, v[40:41]
; %bb.527:                              ;   in Loop: Header=BB366_10 Depth=1
	s_or_b32 exec_lo, exec_lo, s18
	s_delay_alu instid0(VALU_DEP_1) | instskip(NEXT) | instid1(VALU_DEP_3)
	v_dual_lshlrev_b32 v2, 20, v2 :: v_dual_lshlrev_b32 v3, 24, v40
	v_lshl_add_u32 v6, v6, 23, 0x3c000000
	s_delay_alu instid0(VALU_DEP_2) | instskip(NEXT) | instid1(VALU_DEP_3)
	v_and_b32_e32 v2, 0x700000, v2
	v_and_b32_e32 v3, 0x80000000, v3
	s_delay_alu instid0(VALU_DEP_1)
	v_or3_b32 v112, v2, v3, v6
.LBB366_528:                            ;   in Loop: Header=BB366_10 Depth=1
	s_or_b32 exec_lo, exec_lo, s17
.LBB366_529:                            ;   in Loop: Header=BB366_10 Depth=1
	s_delay_alu instid0(SALU_CYCLE_1)
	s_or_b32 exec_lo, exec_lo, s16
.LBB366_530:                            ;   in Loop: Header=BB366_10 Depth=1
	s_delay_alu instid0(SALU_CYCLE_1) | instskip(SKIP_3) | instid1(VALU_DEP_2)
	s_or_b32 exec_lo, exec_lo, s15
	v_lshrrev_b16 v2, 8, v40
	v_dual_mov_b32 v114, 0 :: v_dual_mov_b32 v113, 0
	s_mov_b32 s15, exec_lo
	v_cmpx_ne_u16_e32 0, v2
	s_cbranch_execz .LBB366_538
; %bb.531:                              ;   in Loop: Header=BB366_10 Depth=1
	v_bfrev_b32_e32 v113, 1
	s_mov_b32 s16, exec_lo
	v_cmpx_ne_u16_e32 0x80, v2
	s_cbranch_execz .LBB366_537
; %bb.532:                              ;   in Loop: Header=BB366_10 Depth=1
	v_and_b32_e32 v2, 0xffff, v2
	v_mov_b32_e32 v113, 0x7f800001
	s_mov_b32 s17, exec_lo
	s_delay_alu instid0(VALU_DEP_2) | instskip(NEXT) | instid1(VALU_DEP_1)
	v_and_b32_e32 v3, 0x7f, v2
	v_cmpx_ne_u32_e32 0x7f, v3
	s_cbranch_execz .LBB366_536
; %bb.533:                              ;   in Loop: Header=BB366_10 Depth=1
	v_dual_lshrrev_b32 v2, 3, v3 :: v_dual_bitop2_b32 v16, 7, v2 bitop3:0x40
	s_mov_b32 s18, exec_lo
	v_cmpx_gt_u32_e32 8, v3
; %bb.534:                              ;   in Loop: Header=BB366_10 Depth=1
	s_delay_alu instid0(VALU_DEP_2) | instskip(NEXT) | instid1(VALU_DEP_1)
	v_clz_i32_u32_e32 v2, v16
	v_min_u32_e32 v2, 32, v2
	s_delay_alu instid0(VALU_DEP_1) | instskip(SKIP_1) | instid1(VALU_DEP_2)
	v_subrev_nc_u32_e32 v3, 28, v2
	v_sub_nc_u32_e32 v2, 29, v2
	v_lshlrev_b64_e32 v[6:7], v3, v[16:17]
	s_delay_alu instid0(VALU_DEP_1)
	v_and_b32_e32 v16, 7, v6
; %bb.535:                              ;   in Loop: Header=BB366_10 Depth=1
	s_or_b32 exec_lo, exec_lo, s18
	v_lshlrev_b32_e32 v3, 16, v40
	s_delay_alu instid0(VALU_DEP_2) | instskip(SKIP_1) | instid1(VALU_DEP_3)
	v_lshlrev_b32_e32 v6, 20, v16
	v_lshl_add_u32 v2, v2, 23, 0x3c000000
	v_and_b32_e32 v3, 0x80000000, v3
	s_delay_alu instid0(VALU_DEP_1)
	v_or3_b32 v113, v6, v3, v2
.LBB366_536:                            ;   in Loop: Header=BB366_10 Depth=1
	s_or_b32 exec_lo, exec_lo, s17
.LBB366_537:                            ;   in Loop: Header=BB366_10 Depth=1
	s_delay_alu instid0(SALU_CYCLE_1)
	s_or_b32 exec_lo, exec_lo, s16
.LBB366_538:                            ;   in Loop: Header=BB366_10 Depth=1
	s_delay_alu instid0(SALU_CYCLE_1) | instskip(SKIP_2) | instid1(VALU_DEP_1)
	s_or_b32 exec_lo, exec_lo, s15
	v_lshrrev_b32_e32 v2, 16, v40
	s_mov_b32 s15, exec_lo
	v_and_b32_e32 v3, 0xff, v2
	s_delay_alu instid0(VALU_DEP_1)
	v_cmpx_ne_u16_e32 0, v3
	s_cbranch_execz .LBB366_546
; %bb.539:                              ;   in Loop: Header=BB366_10 Depth=1
	v_bfrev_b32_e32 v114, 1
	s_mov_b32 s16, exec_lo
	v_cmpx_ne_u16_e32 0x80, v3
	s_cbranch_execz .LBB366_545
; %bb.540:                              ;   in Loop: Header=BB366_10 Depth=1
	v_bfe_u32 v6, v40, 16, 7
	v_mov_b32_e32 v114, 0x7f800001
	s_mov_b32 s17, exec_lo
	s_delay_alu instid0(VALU_DEP_2)
	v_cmpx_ne_u32_e32 0x7f, v6
	s_cbranch_execz .LBB366_544
; %bb.541:                              ;   in Loop: Header=BB366_10 Depth=1
	v_and_b32_e32 v16, 7, v2
	v_lshrrev_b32_e32 v3, 3, v6
	s_mov_b32 s18, exec_lo
	v_cmpx_gt_u32_e32 8, v6
; %bb.542:                              ;   in Loop: Header=BB366_10 Depth=1
	s_delay_alu instid0(VALU_DEP_3) | instskip(NEXT) | instid1(VALU_DEP_1)
	v_clz_i32_u32_e32 v3, v16
	v_min_u32_e32 v3, 32, v3
	s_delay_alu instid0(VALU_DEP_1) | instskip(NEXT) | instid1(VALU_DEP_1)
	v_subrev_nc_u32_e32 v6, 28, v3
	v_lshlrev_b64_e32 v[6:7], v6, v[16:17]
	s_delay_alu instid0(VALU_DEP_1)
	v_dual_sub_nc_u32 v3, 29, v3 :: v_dual_bitop2_b32 v16, 7, v6 bitop3:0x40
; %bb.543:                              ;   in Loop: Header=BB366_10 Depth=1
	s_or_b32 exec_lo, exec_lo, s18
	s_delay_alu instid0(VALU_DEP_1) | instskip(NEXT) | instid1(VALU_DEP_2)
	v_dual_lshlrev_b32 v2, 24, v2 :: v_dual_lshlrev_b32 v6, 20, v16
	v_lshl_add_u32 v3, v3, 23, 0x3c000000
	s_delay_alu instid0(VALU_DEP_2) | instskip(NEXT) | instid1(VALU_DEP_1)
	v_and_b32_e32 v2, 0x80000000, v2
	v_or3_b32 v114, v6, v2, v3
.LBB366_544:                            ;   in Loop: Header=BB366_10 Depth=1
	s_or_b32 exec_lo, exec_lo, s17
.LBB366_545:                            ;   in Loop: Header=BB366_10 Depth=1
	s_delay_alu instid0(SALU_CYCLE_1)
	s_or_b32 exec_lo, exec_lo, s16
.LBB366_546:                            ;   in Loop: Header=BB366_10 Depth=1
	s_delay_alu instid0(SALU_CYCLE_1)
	s_or_b32 exec_lo, exec_lo, s15
	v_dual_mov_b32 v116, 0 :: v_dual_mov_b32 v115, 0
	s_mov_b32 s15, exec_lo
	v_cmpx_lt_u32_e32 0xffffff, v40
	s_cbranch_execz .LBB366_554
; %bb.547:                              ;   in Loop: Header=BB366_10 Depth=1
	v_lshrrev_b32_e32 v2, 24, v40
	v_bfrev_b32_e32 v115, 1
	s_mov_b32 s16, exec_lo
	s_delay_alu instid0(VALU_DEP_2)
	v_cmpx_ne_u32_e32 0x80, v2
	s_cbranch_execz .LBB366_553
; %bb.548:                              ;   in Loop: Header=BB366_10 Depth=1
	v_bfe_u32 v6, v40, 24, 7
	v_mov_b32_e32 v115, 0x7f800001
	s_mov_b32 s17, exec_lo
	s_delay_alu instid0(VALU_DEP_2)
	v_cmpx_ne_u32_e32 0x7f, v6
	s_cbranch_execz .LBB366_552
; %bb.549:                              ;   in Loop: Header=BB366_10 Depth=1
	v_and_b32_e32 v16, 7, v2
	v_lshrrev_b32_e32 v3, 3, v6
	s_mov_b32 s18, exec_lo
	v_cmpx_gt_u32_e32 8, v6
; %bb.550:                              ;   in Loop: Header=BB366_10 Depth=1
	s_delay_alu instid0(VALU_DEP_3) | instskip(NEXT) | instid1(VALU_DEP_1)
	v_clz_i32_u32_e32 v3, v16
	v_min_u32_e32 v3, 32, v3
	s_delay_alu instid0(VALU_DEP_1) | instskip(NEXT) | instid1(VALU_DEP_1)
	v_subrev_nc_u32_e32 v6, 28, v3
	v_lshlrev_b64_e32 v[6:7], v6, v[16:17]
	s_delay_alu instid0(VALU_DEP_1)
	v_dual_sub_nc_u32 v3, 29, v3 :: v_dual_bitop2_b32 v16, 7, v6 bitop3:0x40
; %bb.551:                              ;   in Loop: Header=BB366_10 Depth=1
	s_or_b32 exec_lo, exec_lo, s18
	s_delay_alu instid0(VALU_DEP_1) | instskip(NEXT) | instid1(VALU_DEP_2)
	v_dual_lshlrev_b32 v2, 24, v2 :: v_dual_lshlrev_b32 v6, 20, v16
	v_lshl_add_u32 v3, v3, 23, 0x3c000000
	s_delay_alu instid0(VALU_DEP_2) | instskip(NEXT) | instid1(VALU_DEP_1)
	v_and_b32_e32 v2, 0x80000000, v2
	v_or3_b32 v115, v6, v2, v3
.LBB366_552:                            ;   in Loop: Header=BB366_10 Depth=1
	s_or_b32 exec_lo, exec_lo, s17
.LBB366_553:                            ;   in Loop: Header=BB366_10 Depth=1
	s_delay_alu instid0(SALU_CYCLE_1)
	s_or_b32 exec_lo, exec_lo, s16
.LBB366_554:                            ;   in Loop: Header=BB366_10 Depth=1
	s_delay_alu instid0(SALU_CYCLE_1) | instskip(SKIP_3) | instid1(VALU_DEP_2)
	s_or_b32 exec_lo, exec_lo, s15
	v_and_b32_e32 v2, 0xff, v41
	v_mov_b32_e32 v16, v41
	s_mov_b32 s15, exec_lo
	v_cmpx_ne_u16_e32 0, v2
	s_cbranch_execz .LBB366_562
; %bb.555:                              ;   in Loop: Header=BB366_10 Depth=1
	v_bfrev_b32_e32 v116, 1
	s_mov_b32 s16, exec_lo
	v_cmpx_ne_u16_e32 0x80, v2
	s_cbranch_execz .LBB366_561
; %bb.556:                              ;   in Loop: Header=BB366_10 Depth=1
	v_and_b32_e32 v2, 0x7f, v41
	v_mov_b32_e32 v116, 0x7f800001
	s_mov_b32 s17, exec_lo
	s_delay_alu instid0(VALU_DEP_2)
	v_cmpx_ne_u32_e32 0x7f, v2
	s_cbranch_execz .LBB366_560
; %bb.557:                              ;   in Loop: Header=BB366_10 Depth=1
	v_lshrrev_b32_e32 v6, 3, v2
	v_cmp_gt_u32_e64 s1, 8, v2
	v_mov_b64_e32 v[2:3], v[16:17]
	s_and_saveexec_b32 s18, s1
; %bb.558:                              ;   in Loop: Header=BB366_10 Depth=1
	v_and_b32_e32 v2, 7, v41
	s_delay_alu instid0(VALU_DEP_1) | instskip(NEXT) | instid1(VALU_DEP_1)
	v_clz_i32_u32_e32 v2, v2
	v_min_u32_e32 v6, 32, v2
	s_delay_alu instid0(VALU_DEP_1) | instskip(SKIP_1) | instid1(VALU_DEP_2)
	v_subrev_nc_u32_e32 v2, 28, v6
	v_sub_nc_u32_e32 v6, 29, v6
	v_lshlrev_b64_e32 v[2:3], v2, v[16:17]
; %bb.559:                              ;   in Loop: Header=BB366_10 Depth=1
	s_or_b32 exec_lo, exec_lo, s18
	s_delay_alu instid0(VALU_DEP_1) | instskip(NEXT) | instid1(VALU_DEP_3)
	v_dual_lshlrev_b32 v2, 20, v2 :: v_dual_lshlrev_b32 v3, 24, v16
	v_lshl_add_u32 v6, v6, 23, 0x3c000000
	s_delay_alu instid0(VALU_DEP_2) | instskip(NEXT) | instid1(VALU_DEP_3)
	v_and_b32_e32 v2, 0x700000, v2
	v_and_b32_e32 v3, 0x80000000, v3
	s_delay_alu instid0(VALU_DEP_1)
	v_or3_b32 v116, v2, v3, v6
.LBB366_560:                            ;   in Loop: Header=BB366_10 Depth=1
	s_or_b32 exec_lo, exec_lo, s17
.LBB366_561:                            ;   in Loop: Header=BB366_10 Depth=1
	s_delay_alu instid0(SALU_CYCLE_1)
	s_or_b32 exec_lo, exec_lo, s16
.LBB366_562:                            ;   in Loop: Header=BB366_10 Depth=1
	s_delay_alu instid0(SALU_CYCLE_1) | instskip(SKIP_3) | instid1(VALU_DEP_2)
	s_or_b32 exec_lo, exec_lo, s15
	v_lshrrev_b16 v2, 8, v16
	v_dual_mov_b32 v118, 0 :: v_dual_mov_b32 v117, 0
	s_mov_b32 s15, exec_lo
	v_cmpx_ne_u16_e32 0, v2
	s_cbranch_execz .LBB366_570
; %bb.563:                              ;   in Loop: Header=BB366_10 Depth=1
	v_bfrev_b32_e32 v117, 1
	s_mov_b32 s16, exec_lo
	v_cmpx_ne_u16_e32 0x80, v2
	s_cbranch_execz .LBB366_569
; %bb.564:                              ;   in Loop: Header=BB366_10 Depth=1
	v_and_b32_e32 v2, 0xffff, v2
	v_mov_b32_e32 v117, 0x7f800001
	s_mov_b32 s17, exec_lo
	s_delay_alu instid0(VALU_DEP_2) | instskip(NEXT) | instid1(VALU_DEP_1)
	v_and_b32_e32 v7, 0x7f, v2
	v_cmpx_ne_u32_e32 0x7f, v7
	s_cbranch_execz .LBB366_568
; %bb.565:                              ;   in Loop: Header=BB366_10 Depth=1
	v_dual_mov_b32 v3, v17 :: v_dual_bitop2_b32 v2, 7, v2 bitop3:0x40
	v_lshrrev_b32_e32 v6, 3, v7
	s_mov_b32 s18, exec_lo
	v_cmpx_gt_u32_e32 8, v7
; %bb.566:                              ;   in Loop: Header=BB366_10 Depth=1
	s_delay_alu instid0(VALU_DEP_3) | instskip(NEXT) | instid1(VALU_DEP_1)
	v_clz_i32_u32_e32 v6, v2
	v_min_u32_e32 v6, 32, v6
	s_delay_alu instid0(VALU_DEP_1) | instskip(SKIP_1) | instid1(VALU_DEP_2)
	v_subrev_nc_u32_e32 v7, 28, v6
	v_sub_nc_u32_e32 v6, 29, v6
	v_lshlrev_b64_e32 v[2:3], v7, v[2:3]
	s_delay_alu instid0(VALU_DEP_1)
	v_and_b32_e32 v2, 7, v2
; %bb.567:                              ;   in Loop: Header=BB366_10 Depth=1
	s_or_b32 exec_lo, exec_lo, s18
	s_delay_alu instid0(VALU_DEP_1) | instskip(SKIP_1) | instid1(VALU_DEP_2)
	v_dual_lshlrev_b32 v3, 16, v16 :: v_dual_lshlrev_b32 v2, 20, v2
	v_lshl_add_u32 v6, v6, 23, 0x3c000000
	v_and_b32_e32 v3, 0x80000000, v3
	s_delay_alu instid0(VALU_DEP_1)
	v_or3_b32 v117, v2, v3, v6
.LBB366_568:                            ;   in Loop: Header=BB366_10 Depth=1
	s_or_b32 exec_lo, exec_lo, s17
.LBB366_569:                            ;   in Loop: Header=BB366_10 Depth=1
	s_delay_alu instid0(SALU_CYCLE_1)
	s_or_b32 exec_lo, exec_lo, s16
.LBB366_570:                            ;   in Loop: Header=BB366_10 Depth=1
	s_delay_alu instid0(SALU_CYCLE_1) | instskip(SKIP_2) | instid1(VALU_DEP_1)
	s_or_b32 exec_lo, exec_lo, s15
	v_lshrrev_b32_e32 v2, 16, v41
	s_mov_b32 s15, exec_lo
	v_and_b32_e32 v3, 0xff, v2
	s_delay_alu instid0(VALU_DEP_1)
	v_cmpx_ne_u16_e32 0, v3
	s_cbranch_execz .LBB366_578
; %bb.571:                              ;   in Loop: Header=BB366_10 Depth=1
	v_bfrev_b32_e32 v118, 1
	s_mov_b32 s16, exec_lo
	v_cmpx_ne_u16_e32 0x80, v3
	s_cbranch_execz .LBB366_577
; %bb.572:                              ;   in Loop: Header=BB366_10 Depth=1
	v_bfe_u32 v6, v41, 16, 7
	v_mov_b32_e32 v118, 0x7f800001
	s_mov_b32 s17, exec_lo
	s_delay_alu instid0(VALU_DEP_2)
	v_cmpx_ne_u32_e32 0x7f, v6
	s_cbranch_execz .LBB366_576
; %bb.573:                              ;   in Loop: Header=BB366_10 Depth=1
	v_and_b32_e32 v16, 7, v2
	v_lshrrev_b32_e32 v3, 3, v6
	s_mov_b32 s18, exec_lo
	v_cmpx_gt_u32_e32 8, v6
; %bb.574:                              ;   in Loop: Header=BB366_10 Depth=1
	s_delay_alu instid0(VALU_DEP_3) | instskip(NEXT) | instid1(VALU_DEP_1)
	v_clz_i32_u32_e32 v3, v16
	v_min_u32_e32 v3, 32, v3
	s_delay_alu instid0(VALU_DEP_1) | instskip(NEXT) | instid1(VALU_DEP_1)
	v_subrev_nc_u32_e32 v6, 28, v3
	v_lshlrev_b64_e32 v[6:7], v6, v[16:17]
	s_delay_alu instid0(VALU_DEP_1)
	v_dual_sub_nc_u32 v3, 29, v3 :: v_dual_bitop2_b32 v16, 7, v6 bitop3:0x40
; %bb.575:                              ;   in Loop: Header=BB366_10 Depth=1
	s_or_b32 exec_lo, exec_lo, s18
	s_delay_alu instid0(VALU_DEP_1) | instskip(NEXT) | instid1(VALU_DEP_2)
	v_dual_lshlrev_b32 v2, 24, v2 :: v_dual_lshlrev_b32 v6, 20, v16
	v_lshl_add_u32 v3, v3, 23, 0x3c000000
	s_delay_alu instid0(VALU_DEP_2) | instskip(NEXT) | instid1(VALU_DEP_1)
	v_and_b32_e32 v2, 0x80000000, v2
	v_or3_b32 v118, v6, v2, v3
.LBB366_576:                            ;   in Loop: Header=BB366_10 Depth=1
	s_or_b32 exec_lo, exec_lo, s17
.LBB366_577:                            ;   in Loop: Header=BB366_10 Depth=1
	s_delay_alu instid0(SALU_CYCLE_1)
	s_or_b32 exec_lo, exec_lo, s16
.LBB366_578:                            ;   in Loop: Header=BB366_10 Depth=1
	s_delay_alu instid0(SALU_CYCLE_1)
	s_or_b32 exec_lo, exec_lo, s15
	v_cmp_lt_u64_e64 s1, s[2:3], v[40:41]
	v_dual_mov_b32 v40, 0 :: v_dual_mov_b32 v119, 0
	s_and_saveexec_b32 s15, s1
	s_cbranch_execz .LBB366_586
; %bb.579:                              ;   in Loop: Header=BB366_10 Depth=1
	v_lshrrev_b32_e32 v2, 24, v41
	v_bfrev_b32_e32 v119, 1
	s_mov_b32 s16, exec_lo
	s_delay_alu instid0(VALU_DEP_2)
	v_cmpx_ne_u32_e32 0x80, v2
	s_cbranch_execz .LBB366_585
; %bb.580:                              ;   in Loop: Header=BB366_10 Depth=1
	v_bfe_u32 v6, v41, 24, 7
	v_mov_b32_e32 v119, 0x7f800001
	s_mov_b32 s17, exec_lo
	s_delay_alu instid0(VALU_DEP_2)
	v_cmpx_ne_u32_e32 0x7f, v6
	s_cbranch_execz .LBB366_584
; %bb.581:                              ;   in Loop: Header=BB366_10 Depth=1
	v_and_b32_e32 v16, 7, v2
	v_lshrrev_b32_e32 v3, 3, v6
	s_mov_b32 s18, exec_lo
	v_cmpx_gt_u32_e32 8, v6
; %bb.582:                              ;   in Loop: Header=BB366_10 Depth=1
	s_delay_alu instid0(VALU_DEP_3) | instskip(NEXT) | instid1(VALU_DEP_1)
	v_clz_i32_u32_e32 v3, v16
	v_min_u32_e32 v3, 32, v3
	s_delay_alu instid0(VALU_DEP_1) | instskip(NEXT) | instid1(VALU_DEP_1)
	v_subrev_nc_u32_e32 v6, 28, v3
	v_lshlrev_b64_e32 v[6:7], v6, v[16:17]
	s_delay_alu instid0(VALU_DEP_1)
	v_dual_sub_nc_u32 v3, 29, v3 :: v_dual_bitop2_b32 v16, 7, v6 bitop3:0x40
; %bb.583:                              ;   in Loop: Header=BB366_10 Depth=1
	s_or_b32 exec_lo, exec_lo, s18
	s_delay_alu instid0(VALU_DEP_1) | instskip(NEXT) | instid1(VALU_DEP_2)
	v_dual_lshlrev_b32 v2, 24, v2 :: v_dual_lshlrev_b32 v6, 20, v16
	v_lshl_add_u32 v3, v3, 23, 0x3c000000
	s_delay_alu instid0(VALU_DEP_2) | instskip(NEXT) | instid1(VALU_DEP_1)
	v_and_b32_e32 v2, 0x80000000, v2
	v_or3_b32 v119, v6, v2, v3
.LBB366_584:                            ;   in Loop: Header=BB366_10 Depth=1
	s_or_b32 exec_lo, exec_lo, s17
.LBB366_585:                            ;   in Loop: Header=BB366_10 Depth=1
	s_delay_alu instid0(SALU_CYCLE_1)
	s_or_b32 exec_lo, exec_lo, s16
.LBB366_586:                            ;   in Loop: Header=BB366_10 Depth=1
	s_delay_alu instid0(SALU_CYCLE_1)
	s_or_b32 exec_lo, exec_lo, s15
	flat_load_b64 v[56:57], v[54:55] offset:2056
	s_mov_b32 s15, exec_lo
	s_wait_loadcnt_dscnt 0x0
	v_and_b32_e32 v2, 0xff, v56
	s_wait_xcnt 0x0
	s_delay_alu instid0(VALU_DEP_1)
	v_cmpx_ne_u16_e32 0, v2
	s_cbranch_execz .LBB366_594
; %bb.587:                              ;   in Loop: Header=BB366_10 Depth=1
	v_bfrev_b32_e32 v40, 1
	s_mov_b32 s16, exec_lo
	v_cmpx_ne_u16_e32 0x80, v2
	s_cbranch_execz .LBB366_593
; %bb.588:                              ;   in Loop: Header=BB366_10 Depth=1
	v_and_b32_e32 v2, 0x7f, v56
	v_mov_b32_e32 v40, 0x7f800001
	s_mov_b32 s17, exec_lo
	s_delay_alu instid0(VALU_DEP_2)
	v_cmpx_ne_u32_e32 0x7f, v2
	s_cbranch_execz .LBB366_592
; %bb.589:                              ;   in Loop: Header=BB366_10 Depth=1
	v_lshrrev_b32_e32 v6, 3, v2
	v_cmp_gt_u32_e64 s1, 8, v2
	v_mov_b64_e32 v[2:3], v[56:57]
	s_and_saveexec_b32 s18, s1
; %bb.590:                              ;   in Loop: Header=BB366_10 Depth=1
	v_and_b32_e32 v2, 7, v56
	s_delay_alu instid0(VALU_DEP_1) | instskip(NEXT) | instid1(VALU_DEP_1)
	v_clz_i32_u32_e32 v2, v2
	v_min_u32_e32 v6, 32, v2
	s_delay_alu instid0(VALU_DEP_1) | instskip(SKIP_1) | instid1(VALU_DEP_2)
	v_subrev_nc_u32_e32 v2, 28, v6
	v_sub_nc_u32_e32 v6, 29, v6
	v_lshlrev_b64_e32 v[2:3], v2, v[56:57]
; %bb.591:                              ;   in Loop: Header=BB366_10 Depth=1
	s_or_b32 exec_lo, exec_lo, s18
	s_delay_alu instid0(VALU_DEP_1) | instskip(NEXT) | instid1(VALU_DEP_3)
	v_dual_lshlrev_b32 v2, 20, v2 :: v_dual_lshlrev_b32 v3, 24, v56
	v_lshl_add_u32 v6, v6, 23, 0x3c000000
	s_delay_alu instid0(VALU_DEP_2) | instskip(NEXT) | instid1(VALU_DEP_3)
	v_and_b32_e32 v2, 0x700000, v2
	v_and_b32_e32 v3, 0x80000000, v3
	s_delay_alu instid0(VALU_DEP_1)
	v_or3_b32 v40, v2, v3, v6
.LBB366_592:                            ;   in Loop: Header=BB366_10 Depth=1
	s_or_b32 exec_lo, exec_lo, s17
.LBB366_593:                            ;   in Loop: Header=BB366_10 Depth=1
	s_delay_alu instid0(SALU_CYCLE_1)
	s_or_b32 exec_lo, exec_lo, s16
.LBB366_594:                            ;   in Loop: Header=BB366_10 Depth=1
	s_delay_alu instid0(SALU_CYCLE_1) | instskip(SKIP_3) | instid1(VALU_DEP_2)
	s_or_b32 exec_lo, exec_lo, s15
	v_lshrrev_b16 v2, 8, v56
	v_dual_mov_b32 v42, 0 :: v_dual_mov_b32 v41, 0
	s_mov_b32 s15, exec_lo
	v_cmpx_ne_u16_e32 0, v2
	s_cbranch_execz .LBB366_602
; %bb.595:                              ;   in Loop: Header=BB366_10 Depth=1
	v_bfrev_b32_e32 v41, 1
	s_mov_b32 s16, exec_lo
	v_cmpx_ne_u16_e32 0x80, v2
	s_cbranch_execz .LBB366_601
; %bb.596:                              ;   in Loop: Header=BB366_10 Depth=1
	v_and_b32_e32 v2, 0xffff, v2
	v_mov_b32_e32 v41, 0x7f800001
	s_mov_b32 s17, exec_lo
	s_delay_alu instid0(VALU_DEP_2) | instskip(NEXT) | instid1(VALU_DEP_1)
	v_and_b32_e32 v3, 0x7f, v2
	v_cmpx_ne_u32_e32 0x7f, v3
	s_cbranch_execz .LBB366_600
; %bb.597:                              ;   in Loop: Header=BB366_10 Depth=1
	v_dual_lshrrev_b32 v2, 3, v3 :: v_dual_bitop2_b32 v16, 7, v2 bitop3:0x40
	s_mov_b32 s18, exec_lo
	v_cmpx_gt_u32_e32 8, v3
; %bb.598:                              ;   in Loop: Header=BB366_10 Depth=1
	s_delay_alu instid0(VALU_DEP_2) | instskip(NEXT) | instid1(VALU_DEP_1)
	v_clz_i32_u32_e32 v2, v16
	v_min_u32_e32 v2, 32, v2
	s_delay_alu instid0(VALU_DEP_1) | instskip(SKIP_1) | instid1(VALU_DEP_2)
	v_subrev_nc_u32_e32 v3, 28, v2
	v_sub_nc_u32_e32 v2, 29, v2
	v_lshlrev_b64_e32 v[6:7], v3, v[16:17]
	s_delay_alu instid0(VALU_DEP_1)
	v_and_b32_e32 v16, 7, v6
; %bb.599:                              ;   in Loop: Header=BB366_10 Depth=1
	s_or_b32 exec_lo, exec_lo, s18
	v_lshlrev_b32_e32 v3, 16, v56
	s_delay_alu instid0(VALU_DEP_2) | instskip(SKIP_1) | instid1(VALU_DEP_3)
	v_lshlrev_b32_e32 v6, 20, v16
	v_lshl_add_u32 v2, v2, 23, 0x3c000000
	v_and_b32_e32 v3, 0x80000000, v3
	s_delay_alu instid0(VALU_DEP_1)
	v_or3_b32 v41, v6, v3, v2
.LBB366_600:                            ;   in Loop: Header=BB366_10 Depth=1
	s_or_b32 exec_lo, exec_lo, s17
.LBB366_601:                            ;   in Loop: Header=BB366_10 Depth=1
	s_delay_alu instid0(SALU_CYCLE_1)
	s_or_b32 exec_lo, exec_lo, s16
.LBB366_602:                            ;   in Loop: Header=BB366_10 Depth=1
	s_delay_alu instid0(SALU_CYCLE_1) | instskip(SKIP_2) | instid1(VALU_DEP_1)
	s_or_b32 exec_lo, exec_lo, s15
	v_lshrrev_b32_e32 v2, 16, v56
	s_mov_b32 s15, exec_lo
	v_and_b32_e32 v3, 0xff, v2
	s_delay_alu instid0(VALU_DEP_1)
	v_cmpx_ne_u16_e32 0, v3
	s_cbranch_execz .LBB366_610
; %bb.603:                              ;   in Loop: Header=BB366_10 Depth=1
	v_bfrev_b32_e32 v42, 1
	s_mov_b32 s16, exec_lo
	v_cmpx_ne_u16_e32 0x80, v3
	s_cbranch_execz .LBB366_609
; %bb.604:                              ;   in Loop: Header=BB366_10 Depth=1
	v_bfe_u32 v6, v56, 16, 7
	v_mov_b32_e32 v42, 0x7f800001
	s_mov_b32 s17, exec_lo
	s_delay_alu instid0(VALU_DEP_2)
	v_cmpx_ne_u32_e32 0x7f, v6
	s_cbranch_execz .LBB366_608
; %bb.605:                              ;   in Loop: Header=BB366_10 Depth=1
	v_and_b32_e32 v16, 7, v2
	v_lshrrev_b32_e32 v3, 3, v6
	s_mov_b32 s18, exec_lo
	v_cmpx_gt_u32_e32 8, v6
; %bb.606:                              ;   in Loop: Header=BB366_10 Depth=1
	s_delay_alu instid0(VALU_DEP_3) | instskip(NEXT) | instid1(VALU_DEP_1)
	v_clz_i32_u32_e32 v3, v16
	v_min_u32_e32 v3, 32, v3
	s_delay_alu instid0(VALU_DEP_1) | instskip(NEXT) | instid1(VALU_DEP_1)
	v_subrev_nc_u32_e32 v6, 28, v3
	v_lshlrev_b64_e32 v[6:7], v6, v[16:17]
	s_delay_alu instid0(VALU_DEP_1)
	v_dual_sub_nc_u32 v3, 29, v3 :: v_dual_bitop2_b32 v16, 7, v6 bitop3:0x40
; %bb.607:                              ;   in Loop: Header=BB366_10 Depth=1
	s_or_b32 exec_lo, exec_lo, s18
	s_delay_alu instid0(VALU_DEP_1) | instskip(NEXT) | instid1(VALU_DEP_2)
	v_dual_lshlrev_b32 v2, 24, v2 :: v_dual_lshlrev_b32 v6, 20, v16
	v_lshl_add_u32 v3, v3, 23, 0x3c000000
	s_delay_alu instid0(VALU_DEP_2) | instskip(NEXT) | instid1(VALU_DEP_1)
	v_and_b32_e32 v2, 0x80000000, v2
	v_or3_b32 v42, v6, v2, v3
.LBB366_608:                            ;   in Loop: Header=BB366_10 Depth=1
	s_or_b32 exec_lo, exec_lo, s17
.LBB366_609:                            ;   in Loop: Header=BB366_10 Depth=1
	s_delay_alu instid0(SALU_CYCLE_1)
	s_or_b32 exec_lo, exec_lo, s16
.LBB366_610:                            ;   in Loop: Header=BB366_10 Depth=1
	s_delay_alu instid0(SALU_CYCLE_1)
	s_or_b32 exec_lo, exec_lo, s15
	v_dual_mov_b32 v44, 0 :: v_dual_mov_b32 v43, 0
	s_mov_b32 s15, exec_lo
	v_cmpx_lt_u32_e32 0xffffff, v56
	s_cbranch_execz .LBB366_618
; %bb.611:                              ;   in Loop: Header=BB366_10 Depth=1
	v_lshrrev_b32_e32 v2, 24, v56
	v_bfrev_b32_e32 v43, 1
	s_mov_b32 s16, exec_lo
	s_delay_alu instid0(VALU_DEP_2)
	v_cmpx_ne_u32_e32 0x80, v2
	s_cbranch_execz .LBB366_617
; %bb.612:                              ;   in Loop: Header=BB366_10 Depth=1
	v_bfe_u32 v6, v56, 24, 7
	v_mov_b32_e32 v43, 0x7f800001
	s_mov_b32 s17, exec_lo
	s_delay_alu instid0(VALU_DEP_2)
	v_cmpx_ne_u32_e32 0x7f, v6
	s_cbranch_execz .LBB366_616
; %bb.613:                              ;   in Loop: Header=BB366_10 Depth=1
	v_and_b32_e32 v16, 7, v2
	v_lshrrev_b32_e32 v3, 3, v6
	s_mov_b32 s18, exec_lo
	v_cmpx_gt_u32_e32 8, v6
; %bb.614:                              ;   in Loop: Header=BB366_10 Depth=1
	s_delay_alu instid0(VALU_DEP_3) | instskip(NEXT) | instid1(VALU_DEP_1)
	v_clz_i32_u32_e32 v3, v16
	v_min_u32_e32 v3, 32, v3
	s_delay_alu instid0(VALU_DEP_1) | instskip(NEXT) | instid1(VALU_DEP_1)
	v_subrev_nc_u32_e32 v6, 28, v3
	v_lshlrev_b64_e32 v[6:7], v6, v[16:17]
	s_delay_alu instid0(VALU_DEP_1)
	v_dual_sub_nc_u32 v3, 29, v3 :: v_dual_bitop2_b32 v16, 7, v6 bitop3:0x40
; %bb.615:                              ;   in Loop: Header=BB366_10 Depth=1
	s_or_b32 exec_lo, exec_lo, s18
	s_delay_alu instid0(VALU_DEP_1) | instskip(NEXT) | instid1(VALU_DEP_2)
	v_dual_lshlrev_b32 v2, 24, v2 :: v_dual_lshlrev_b32 v6, 20, v16
	v_lshl_add_u32 v3, v3, 23, 0x3c000000
	s_delay_alu instid0(VALU_DEP_2) | instskip(NEXT) | instid1(VALU_DEP_1)
	v_and_b32_e32 v2, 0x80000000, v2
	v_or3_b32 v43, v6, v2, v3
.LBB366_616:                            ;   in Loop: Header=BB366_10 Depth=1
	s_or_b32 exec_lo, exec_lo, s17
.LBB366_617:                            ;   in Loop: Header=BB366_10 Depth=1
	s_delay_alu instid0(SALU_CYCLE_1)
	s_or_b32 exec_lo, exec_lo, s16
.LBB366_618:                            ;   in Loop: Header=BB366_10 Depth=1
	s_delay_alu instid0(SALU_CYCLE_1) | instskip(SKIP_3) | instid1(VALU_DEP_2)
	s_or_b32 exec_lo, exec_lo, s15
	v_and_b32_e32 v2, 0xff, v57
	v_mov_b32_e32 v16, v57
	s_mov_b32 s15, exec_lo
	v_cmpx_ne_u16_e32 0, v2
	s_cbranch_execz .LBB366_626
; %bb.619:                              ;   in Loop: Header=BB366_10 Depth=1
	v_bfrev_b32_e32 v44, 1
	s_mov_b32 s16, exec_lo
	v_cmpx_ne_u16_e32 0x80, v2
	s_cbranch_execz .LBB366_625
; %bb.620:                              ;   in Loop: Header=BB366_10 Depth=1
	v_and_b32_e32 v2, 0x7f, v57
	v_mov_b32_e32 v44, 0x7f800001
	s_mov_b32 s17, exec_lo
	s_delay_alu instid0(VALU_DEP_2)
	v_cmpx_ne_u32_e32 0x7f, v2
	s_cbranch_execz .LBB366_624
; %bb.621:                              ;   in Loop: Header=BB366_10 Depth=1
	v_lshrrev_b32_e32 v6, 3, v2
	v_cmp_gt_u32_e64 s1, 8, v2
	v_mov_b64_e32 v[2:3], v[16:17]
	s_and_saveexec_b32 s18, s1
; %bb.622:                              ;   in Loop: Header=BB366_10 Depth=1
	v_and_b32_e32 v2, 7, v57
	s_delay_alu instid0(VALU_DEP_1) | instskip(NEXT) | instid1(VALU_DEP_1)
	v_clz_i32_u32_e32 v2, v2
	v_min_u32_e32 v6, 32, v2
	s_delay_alu instid0(VALU_DEP_1) | instskip(SKIP_1) | instid1(VALU_DEP_2)
	v_subrev_nc_u32_e32 v2, 28, v6
	v_sub_nc_u32_e32 v6, 29, v6
	v_lshlrev_b64_e32 v[2:3], v2, v[16:17]
; %bb.623:                              ;   in Loop: Header=BB366_10 Depth=1
	s_or_b32 exec_lo, exec_lo, s18
	s_delay_alu instid0(VALU_DEP_1) | instskip(NEXT) | instid1(VALU_DEP_3)
	v_dual_lshlrev_b32 v2, 20, v2 :: v_dual_lshlrev_b32 v3, 24, v16
	v_lshl_add_u32 v6, v6, 23, 0x3c000000
	s_delay_alu instid0(VALU_DEP_2) | instskip(NEXT) | instid1(VALU_DEP_3)
	v_and_b32_e32 v2, 0x700000, v2
	v_and_b32_e32 v3, 0x80000000, v3
	s_delay_alu instid0(VALU_DEP_1)
	v_or3_b32 v44, v2, v3, v6
.LBB366_624:                            ;   in Loop: Header=BB366_10 Depth=1
	s_or_b32 exec_lo, exec_lo, s17
.LBB366_625:                            ;   in Loop: Header=BB366_10 Depth=1
	s_delay_alu instid0(SALU_CYCLE_1)
	s_or_b32 exec_lo, exec_lo, s16
.LBB366_626:                            ;   in Loop: Header=BB366_10 Depth=1
	s_delay_alu instid0(SALU_CYCLE_1) | instskip(SKIP_3) | instid1(VALU_DEP_2)
	s_or_b32 exec_lo, exec_lo, s15
	v_lshrrev_b16 v2, 8, v16
	v_dual_mov_b32 v46, 0 :: v_dual_mov_b32 v45, 0
	s_mov_b32 s15, exec_lo
	v_cmpx_ne_u16_e32 0, v2
	s_cbranch_execz .LBB366_634
; %bb.627:                              ;   in Loop: Header=BB366_10 Depth=1
	v_bfrev_b32_e32 v45, 1
	s_mov_b32 s16, exec_lo
	v_cmpx_ne_u16_e32 0x80, v2
	s_cbranch_execz .LBB366_633
; %bb.628:                              ;   in Loop: Header=BB366_10 Depth=1
	v_and_b32_e32 v2, 0xffff, v2
	v_mov_b32_e32 v45, 0x7f800001
	s_mov_b32 s17, exec_lo
	s_delay_alu instid0(VALU_DEP_2) | instskip(NEXT) | instid1(VALU_DEP_1)
	v_and_b32_e32 v7, 0x7f, v2
	v_cmpx_ne_u32_e32 0x7f, v7
	s_cbranch_execz .LBB366_632
; %bb.629:                              ;   in Loop: Header=BB366_10 Depth=1
	v_dual_mov_b32 v3, v17 :: v_dual_bitop2_b32 v2, 7, v2 bitop3:0x40
	v_lshrrev_b32_e32 v6, 3, v7
	s_mov_b32 s18, exec_lo
	v_cmpx_gt_u32_e32 8, v7
; %bb.630:                              ;   in Loop: Header=BB366_10 Depth=1
	s_delay_alu instid0(VALU_DEP_3) | instskip(NEXT) | instid1(VALU_DEP_1)
	v_clz_i32_u32_e32 v6, v2
	v_min_u32_e32 v6, 32, v6
	s_delay_alu instid0(VALU_DEP_1) | instskip(SKIP_1) | instid1(VALU_DEP_2)
	v_subrev_nc_u32_e32 v7, 28, v6
	v_sub_nc_u32_e32 v6, 29, v6
	v_lshlrev_b64_e32 v[2:3], v7, v[2:3]
	s_delay_alu instid0(VALU_DEP_1)
	v_and_b32_e32 v2, 7, v2
; %bb.631:                              ;   in Loop: Header=BB366_10 Depth=1
	s_or_b32 exec_lo, exec_lo, s18
	s_delay_alu instid0(VALU_DEP_1) | instskip(SKIP_1) | instid1(VALU_DEP_2)
	v_dual_lshlrev_b32 v3, 16, v16 :: v_dual_lshlrev_b32 v2, 20, v2
	v_lshl_add_u32 v6, v6, 23, 0x3c000000
	v_and_b32_e32 v3, 0x80000000, v3
	s_delay_alu instid0(VALU_DEP_1)
	v_or3_b32 v45, v2, v3, v6
.LBB366_632:                            ;   in Loop: Header=BB366_10 Depth=1
	s_or_b32 exec_lo, exec_lo, s17
.LBB366_633:                            ;   in Loop: Header=BB366_10 Depth=1
	s_delay_alu instid0(SALU_CYCLE_1)
	s_or_b32 exec_lo, exec_lo, s16
.LBB366_634:                            ;   in Loop: Header=BB366_10 Depth=1
	s_delay_alu instid0(SALU_CYCLE_1) | instskip(SKIP_2) | instid1(VALU_DEP_1)
	s_or_b32 exec_lo, exec_lo, s15
	v_lshrrev_b32_e32 v2, 16, v57
	s_mov_b32 s15, exec_lo
	v_and_b32_e32 v3, 0xff, v2
	s_delay_alu instid0(VALU_DEP_1)
	v_cmpx_ne_u16_e32 0, v3
	s_cbranch_execz .LBB366_642
; %bb.635:                              ;   in Loop: Header=BB366_10 Depth=1
	v_bfrev_b32_e32 v46, 1
	s_mov_b32 s16, exec_lo
	v_cmpx_ne_u16_e32 0x80, v3
	s_cbranch_execz .LBB366_641
; %bb.636:                              ;   in Loop: Header=BB366_10 Depth=1
	v_bfe_u32 v6, v57, 16, 7
	v_mov_b32_e32 v46, 0x7f800001
	s_mov_b32 s17, exec_lo
	s_delay_alu instid0(VALU_DEP_2)
	v_cmpx_ne_u32_e32 0x7f, v6
	s_cbranch_execz .LBB366_640
; %bb.637:                              ;   in Loop: Header=BB366_10 Depth=1
	v_and_b32_e32 v16, 7, v2
	v_lshrrev_b32_e32 v3, 3, v6
	s_mov_b32 s18, exec_lo
	v_cmpx_gt_u32_e32 8, v6
; %bb.638:                              ;   in Loop: Header=BB366_10 Depth=1
	s_delay_alu instid0(VALU_DEP_3) | instskip(NEXT) | instid1(VALU_DEP_1)
	v_clz_i32_u32_e32 v3, v16
	v_min_u32_e32 v3, 32, v3
	s_delay_alu instid0(VALU_DEP_1) | instskip(NEXT) | instid1(VALU_DEP_1)
	v_subrev_nc_u32_e32 v6, 28, v3
	v_lshlrev_b64_e32 v[6:7], v6, v[16:17]
	s_delay_alu instid0(VALU_DEP_1)
	v_dual_sub_nc_u32 v3, 29, v3 :: v_dual_bitop2_b32 v16, 7, v6 bitop3:0x40
; %bb.639:                              ;   in Loop: Header=BB366_10 Depth=1
	s_or_b32 exec_lo, exec_lo, s18
	s_delay_alu instid0(VALU_DEP_1) | instskip(NEXT) | instid1(VALU_DEP_2)
	v_dual_lshlrev_b32 v2, 24, v2 :: v_dual_lshlrev_b32 v6, 20, v16
	v_lshl_add_u32 v3, v3, 23, 0x3c000000
	s_delay_alu instid0(VALU_DEP_2) | instskip(NEXT) | instid1(VALU_DEP_1)
	v_and_b32_e32 v2, 0x80000000, v2
	v_or3_b32 v46, v6, v2, v3
.LBB366_640:                            ;   in Loop: Header=BB366_10 Depth=1
	s_or_b32 exec_lo, exec_lo, s17
.LBB366_641:                            ;   in Loop: Header=BB366_10 Depth=1
	s_delay_alu instid0(SALU_CYCLE_1)
	s_or_b32 exec_lo, exec_lo, s16
.LBB366_642:                            ;   in Loop: Header=BB366_10 Depth=1
	s_delay_alu instid0(SALU_CYCLE_1)
	s_or_b32 exec_lo, exec_lo, s15
	v_cmp_lt_u64_e64 s1, s[2:3], v[56:57]
	v_dual_mov_b32 v56, 0 :: v_dual_mov_b32 v47, 0
	s_and_saveexec_b32 s15, s1
	s_cbranch_execz .LBB366_650
; %bb.643:                              ;   in Loop: Header=BB366_10 Depth=1
	v_lshrrev_b32_e32 v2, 24, v57
	v_bfrev_b32_e32 v47, 1
	s_mov_b32 s16, exec_lo
	s_delay_alu instid0(VALU_DEP_2)
	v_cmpx_ne_u32_e32 0x80, v2
	s_cbranch_execz .LBB366_649
; %bb.644:                              ;   in Loop: Header=BB366_10 Depth=1
	v_bfe_u32 v6, v57, 24, 7
	v_mov_b32_e32 v47, 0x7f800001
	s_mov_b32 s17, exec_lo
	s_delay_alu instid0(VALU_DEP_2)
	v_cmpx_ne_u32_e32 0x7f, v6
	s_cbranch_execz .LBB366_648
; %bb.645:                              ;   in Loop: Header=BB366_10 Depth=1
	v_and_b32_e32 v16, 7, v2
	v_lshrrev_b32_e32 v3, 3, v6
	s_mov_b32 s18, exec_lo
	v_cmpx_gt_u32_e32 8, v6
; %bb.646:                              ;   in Loop: Header=BB366_10 Depth=1
	s_delay_alu instid0(VALU_DEP_3) | instskip(NEXT) | instid1(VALU_DEP_1)
	v_clz_i32_u32_e32 v3, v16
	v_min_u32_e32 v3, 32, v3
	s_delay_alu instid0(VALU_DEP_1) | instskip(NEXT) | instid1(VALU_DEP_1)
	v_subrev_nc_u32_e32 v6, 28, v3
	v_lshlrev_b64_e32 v[6:7], v6, v[16:17]
	s_delay_alu instid0(VALU_DEP_1)
	v_dual_sub_nc_u32 v3, 29, v3 :: v_dual_bitop2_b32 v16, 7, v6 bitop3:0x40
; %bb.647:                              ;   in Loop: Header=BB366_10 Depth=1
	s_or_b32 exec_lo, exec_lo, s18
	s_delay_alu instid0(VALU_DEP_1) | instskip(NEXT) | instid1(VALU_DEP_2)
	v_dual_lshlrev_b32 v2, 24, v2 :: v_dual_lshlrev_b32 v6, 20, v16
	v_lshl_add_u32 v3, v3, 23, 0x3c000000
	s_delay_alu instid0(VALU_DEP_2) | instskip(NEXT) | instid1(VALU_DEP_1)
	v_and_b32_e32 v2, 0x80000000, v2
	v_or3_b32 v47, v6, v2, v3
.LBB366_648:                            ;   in Loop: Header=BB366_10 Depth=1
	s_or_b32 exec_lo, exec_lo, s17
.LBB366_649:                            ;   in Loop: Header=BB366_10 Depth=1
	s_delay_alu instid0(SALU_CYCLE_1)
	s_or_b32 exec_lo, exec_lo, s16
.LBB366_650:                            ;   in Loop: Header=BB366_10 Depth=1
	s_delay_alu instid0(SALU_CYCLE_1)
	s_or_b32 exec_lo, exec_lo, s15
	flat_load_b64 v[72:73], v[54:55] offset:2560
	s_mov_b32 s15, exec_lo
	s_wait_loadcnt_dscnt 0x0
	v_and_b32_e32 v2, 0xff, v72
	s_wait_xcnt 0x0
	s_delay_alu instid0(VALU_DEP_1)
	v_cmpx_ne_u16_e32 0, v2
	s_cbranch_execz .LBB366_658
; %bb.651:                              ;   in Loop: Header=BB366_10 Depth=1
	v_bfrev_b32_e32 v56, 1
	s_mov_b32 s16, exec_lo
	v_cmpx_ne_u16_e32 0x80, v2
	s_cbranch_execz .LBB366_657
; %bb.652:                              ;   in Loop: Header=BB366_10 Depth=1
	v_and_b32_e32 v2, 0x7f, v72
	v_mov_b32_e32 v56, 0x7f800001
	s_mov_b32 s17, exec_lo
	s_delay_alu instid0(VALU_DEP_2)
	v_cmpx_ne_u32_e32 0x7f, v2
	s_cbranch_execz .LBB366_656
; %bb.653:                              ;   in Loop: Header=BB366_10 Depth=1
	v_lshrrev_b32_e32 v6, 3, v2
	v_cmp_gt_u32_e64 s1, 8, v2
	v_mov_b64_e32 v[2:3], v[72:73]
	s_and_saveexec_b32 s18, s1
; %bb.654:                              ;   in Loop: Header=BB366_10 Depth=1
	v_and_b32_e32 v2, 7, v72
	s_delay_alu instid0(VALU_DEP_1) | instskip(NEXT) | instid1(VALU_DEP_1)
	v_clz_i32_u32_e32 v2, v2
	v_min_u32_e32 v6, 32, v2
	s_delay_alu instid0(VALU_DEP_1) | instskip(SKIP_1) | instid1(VALU_DEP_2)
	v_subrev_nc_u32_e32 v2, 28, v6
	v_sub_nc_u32_e32 v6, 29, v6
	v_lshlrev_b64_e32 v[2:3], v2, v[72:73]
; %bb.655:                              ;   in Loop: Header=BB366_10 Depth=1
	s_or_b32 exec_lo, exec_lo, s18
	s_delay_alu instid0(VALU_DEP_1) | instskip(NEXT) | instid1(VALU_DEP_3)
	v_dual_lshlrev_b32 v2, 20, v2 :: v_dual_lshlrev_b32 v3, 24, v72
	v_lshl_add_u32 v6, v6, 23, 0x3c000000
	s_delay_alu instid0(VALU_DEP_2) | instskip(NEXT) | instid1(VALU_DEP_3)
	v_and_b32_e32 v2, 0x700000, v2
	v_and_b32_e32 v3, 0x80000000, v3
	s_delay_alu instid0(VALU_DEP_1)
	v_or3_b32 v56, v2, v3, v6
.LBB366_656:                            ;   in Loop: Header=BB366_10 Depth=1
	s_or_b32 exec_lo, exec_lo, s17
.LBB366_657:                            ;   in Loop: Header=BB366_10 Depth=1
	s_delay_alu instid0(SALU_CYCLE_1)
	s_or_b32 exec_lo, exec_lo, s16
.LBB366_658:                            ;   in Loop: Header=BB366_10 Depth=1
	s_delay_alu instid0(SALU_CYCLE_1) | instskip(SKIP_3) | instid1(VALU_DEP_2)
	s_or_b32 exec_lo, exec_lo, s15
	v_lshrrev_b16 v2, 8, v72
	v_dual_mov_b32 v58, 0 :: v_dual_mov_b32 v57, 0
	s_mov_b32 s15, exec_lo
	v_cmpx_ne_u16_e32 0, v2
	s_cbranch_execz .LBB366_666
; %bb.659:                              ;   in Loop: Header=BB366_10 Depth=1
	v_bfrev_b32_e32 v57, 1
	s_mov_b32 s16, exec_lo
	v_cmpx_ne_u16_e32 0x80, v2
	s_cbranch_execz .LBB366_665
; %bb.660:                              ;   in Loop: Header=BB366_10 Depth=1
	v_and_b32_e32 v2, 0xffff, v2
	v_mov_b32_e32 v57, 0x7f800001
	s_mov_b32 s17, exec_lo
	s_delay_alu instid0(VALU_DEP_2) | instskip(NEXT) | instid1(VALU_DEP_1)
	v_and_b32_e32 v3, 0x7f, v2
	v_cmpx_ne_u32_e32 0x7f, v3
	s_cbranch_execz .LBB366_664
; %bb.661:                              ;   in Loop: Header=BB366_10 Depth=1
	v_dual_lshrrev_b32 v2, 3, v3 :: v_dual_bitop2_b32 v16, 7, v2 bitop3:0x40
	s_mov_b32 s18, exec_lo
	v_cmpx_gt_u32_e32 8, v3
; %bb.662:                              ;   in Loop: Header=BB366_10 Depth=1
	s_delay_alu instid0(VALU_DEP_2) | instskip(NEXT) | instid1(VALU_DEP_1)
	v_clz_i32_u32_e32 v2, v16
	v_min_u32_e32 v2, 32, v2
	s_delay_alu instid0(VALU_DEP_1) | instskip(SKIP_1) | instid1(VALU_DEP_2)
	v_subrev_nc_u32_e32 v3, 28, v2
	v_sub_nc_u32_e32 v2, 29, v2
	v_lshlrev_b64_e32 v[6:7], v3, v[16:17]
	s_delay_alu instid0(VALU_DEP_1)
	v_and_b32_e32 v16, 7, v6
; %bb.663:                              ;   in Loop: Header=BB366_10 Depth=1
	s_or_b32 exec_lo, exec_lo, s18
	v_lshlrev_b32_e32 v3, 16, v72
	s_delay_alu instid0(VALU_DEP_2) | instskip(SKIP_1) | instid1(VALU_DEP_3)
	v_lshlrev_b32_e32 v6, 20, v16
	v_lshl_add_u32 v2, v2, 23, 0x3c000000
	v_and_b32_e32 v3, 0x80000000, v3
	s_delay_alu instid0(VALU_DEP_1)
	v_or3_b32 v57, v6, v3, v2
.LBB366_664:                            ;   in Loop: Header=BB366_10 Depth=1
	s_or_b32 exec_lo, exec_lo, s17
.LBB366_665:                            ;   in Loop: Header=BB366_10 Depth=1
	s_delay_alu instid0(SALU_CYCLE_1)
	s_or_b32 exec_lo, exec_lo, s16
.LBB366_666:                            ;   in Loop: Header=BB366_10 Depth=1
	s_delay_alu instid0(SALU_CYCLE_1) | instskip(SKIP_2) | instid1(VALU_DEP_1)
	s_or_b32 exec_lo, exec_lo, s15
	v_lshrrev_b32_e32 v2, 16, v72
	s_mov_b32 s15, exec_lo
	v_and_b32_e32 v3, 0xff, v2
	s_delay_alu instid0(VALU_DEP_1)
	v_cmpx_ne_u16_e32 0, v3
	s_cbranch_execz .LBB366_674
; %bb.667:                              ;   in Loop: Header=BB366_10 Depth=1
	v_bfrev_b32_e32 v58, 1
	s_mov_b32 s16, exec_lo
	v_cmpx_ne_u16_e32 0x80, v3
	s_cbranch_execz .LBB366_673
; %bb.668:                              ;   in Loop: Header=BB366_10 Depth=1
	v_bfe_u32 v6, v72, 16, 7
	v_mov_b32_e32 v58, 0x7f800001
	s_mov_b32 s17, exec_lo
	s_delay_alu instid0(VALU_DEP_2)
	v_cmpx_ne_u32_e32 0x7f, v6
	s_cbranch_execz .LBB366_672
; %bb.669:                              ;   in Loop: Header=BB366_10 Depth=1
	v_and_b32_e32 v16, 7, v2
	v_lshrrev_b32_e32 v3, 3, v6
	s_mov_b32 s18, exec_lo
	v_cmpx_gt_u32_e32 8, v6
; %bb.670:                              ;   in Loop: Header=BB366_10 Depth=1
	s_delay_alu instid0(VALU_DEP_3) | instskip(NEXT) | instid1(VALU_DEP_1)
	v_clz_i32_u32_e32 v3, v16
	v_min_u32_e32 v3, 32, v3
	s_delay_alu instid0(VALU_DEP_1) | instskip(NEXT) | instid1(VALU_DEP_1)
	v_subrev_nc_u32_e32 v6, 28, v3
	v_lshlrev_b64_e32 v[6:7], v6, v[16:17]
	s_delay_alu instid0(VALU_DEP_1)
	v_dual_sub_nc_u32 v3, 29, v3 :: v_dual_bitop2_b32 v16, 7, v6 bitop3:0x40
; %bb.671:                              ;   in Loop: Header=BB366_10 Depth=1
	s_or_b32 exec_lo, exec_lo, s18
	s_delay_alu instid0(VALU_DEP_1) | instskip(NEXT) | instid1(VALU_DEP_2)
	v_dual_lshlrev_b32 v2, 24, v2 :: v_dual_lshlrev_b32 v6, 20, v16
	v_lshl_add_u32 v3, v3, 23, 0x3c000000
	s_delay_alu instid0(VALU_DEP_2) | instskip(NEXT) | instid1(VALU_DEP_1)
	v_and_b32_e32 v2, 0x80000000, v2
	v_or3_b32 v58, v6, v2, v3
.LBB366_672:                            ;   in Loop: Header=BB366_10 Depth=1
	s_or_b32 exec_lo, exec_lo, s17
.LBB366_673:                            ;   in Loop: Header=BB366_10 Depth=1
	s_delay_alu instid0(SALU_CYCLE_1)
	s_or_b32 exec_lo, exec_lo, s16
.LBB366_674:                            ;   in Loop: Header=BB366_10 Depth=1
	s_delay_alu instid0(SALU_CYCLE_1)
	s_or_b32 exec_lo, exec_lo, s15
	v_dual_mov_b32 v60, 0 :: v_dual_mov_b32 v59, 0
	s_mov_b32 s15, exec_lo
	v_cmpx_lt_u32_e32 0xffffff, v72
	s_cbranch_execz .LBB366_682
; %bb.675:                              ;   in Loop: Header=BB366_10 Depth=1
	v_lshrrev_b32_e32 v2, 24, v72
	v_bfrev_b32_e32 v59, 1
	s_mov_b32 s16, exec_lo
	s_delay_alu instid0(VALU_DEP_2)
	v_cmpx_ne_u32_e32 0x80, v2
	s_cbranch_execz .LBB366_681
; %bb.676:                              ;   in Loop: Header=BB366_10 Depth=1
	v_bfe_u32 v6, v72, 24, 7
	v_mov_b32_e32 v59, 0x7f800001
	s_mov_b32 s17, exec_lo
	s_delay_alu instid0(VALU_DEP_2)
	v_cmpx_ne_u32_e32 0x7f, v6
	s_cbranch_execz .LBB366_680
; %bb.677:                              ;   in Loop: Header=BB366_10 Depth=1
	v_and_b32_e32 v16, 7, v2
	v_lshrrev_b32_e32 v3, 3, v6
	s_mov_b32 s18, exec_lo
	v_cmpx_gt_u32_e32 8, v6
; %bb.678:                              ;   in Loop: Header=BB366_10 Depth=1
	s_delay_alu instid0(VALU_DEP_3) | instskip(NEXT) | instid1(VALU_DEP_1)
	v_clz_i32_u32_e32 v3, v16
	v_min_u32_e32 v3, 32, v3
	s_delay_alu instid0(VALU_DEP_1) | instskip(NEXT) | instid1(VALU_DEP_1)
	v_subrev_nc_u32_e32 v6, 28, v3
	v_lshlrev_b64_e32 v[6:7], v6, v[16:17]
	s_delay_alu instid0(VALU_DEP_1)
	v_dual_sub_nc_u32 v3, 29, v3 :: v_dual_bitop2_b32 v16, 7, v6 bitop3:0x40
; %bb.679:                              ;   in Loop: Header=BB366_10 Depth=1
	s_or_b32 exec_lo, exec_lo, s18
	s_delay_alu instid0(VALU_DEP_1) | instskip(NEXT) | instid1(VALU_DEP_2)
	v_dual_lshlrev_b32 v2, 24, v2 :: v_dual_lshlrev_b32 v6, 20, v16
	v_lshl_add_u32 v3, v3, 23, 0x3c000000
	s_delay_alu instid0(VALU_DEP_2) | instskip(NEXT) | instid1(VALU_DEP_1)
	v_and_b32_e32 v2, 0x80000000, v2
	v_or3_b32 v59, v6, v2, v3
.LBB366_680:                            ;   in Loop: Header=BB366_10 Depth=1
	s_or_b32 exec_lo, exec_lo, s17
.LBB366_681:                            ;   in Loop: Header=BB366_10 Depth=1
	s_delay_alu instid0(SALU_CYCLE_1)
	s_or_b32 exec_lo, exec_lo, s16
.LBB366_682:                            ;   in Loop: Header=BB366_10 Depth=1
	s_delay_alu instid0(SALU_CYCLE_1) | instskip(SKIP_3) | instid1(VALU_DEP_2)
	s_or_b32 exec_lo, exec_lo, s15
	v_and_b32_e32 v2, 0xff, v73
	v_mov_b32_e32 v16, v73
	s_mov_b32 s15, exec_lo
	v_cmpx_ne_u16_e32 0, v2
	s_cbranch_execz .LBB366_690
; %bb.683:                              ;   in Loop: Header=BB366_10 Depth=1
	v_bfrev_b32_e32 v60, 1
	s_mov_b32 s16, exec_lo
	v_cmpx_ne_u16_e32 0x80, v2
	s_cbranch_execz .LBB366_689
; %bb.684:                              ;   in Loop: Header=BB366_10 Depth=1
	v_and_b32_e32 v2, 0x7f, v73
	v_mov_b32_e32 v60, 0x7f800001
	s_mov_b32 s17, exec_lo
	s_delay_alu instid0(VALU_DEP_2)
	v_cmpx_ne_u32_e32 0x7f, v2
	s_cbranch_execz .LBB366_688
; %bb.685:                              ;   in Loop: Header=BB366_10 Depth=1
	v_lshrrev_b32_e32 v6, 3, v2
	v_cmp_gt_u32_e64 s1, 8, v2
	v_mov_b64_e32 v[2:3], v[16:17]
	s_and_saveexec_b32 s18, s1
; %bb.686:                              ;   in Loop: Header=BB366_10 Depth=1
	v_and_b32_e32 v2, 7, v73
	s_delay_alu instid0(VALU_DEP_1) | instskip(NEXT) | instid1(VALU_DEP_1)
	v_clz_i32_u32_e32 v2, v2
	v_min_u32_e32 v6, 32, v2
	s_delay_alu instid0(VALU_DEP_1) | instskip(SKIP_1) | instid1(VALU_DEP_2)
	v_subrev_nc_u32_e32 v2, 28, v6
	v_sub_nc_u32_e32 v6, 29, v6
	v_lshlrev_b64_e32 v[2:3], v2, v[16:17]
; %bb.687:                              ;   in Loop: Header=BB366_10 Depth=1
	s_or_b32 exec_lo, exec_lo, s18
	s_delay_alu instid0(VALU_DEP_1) | instskip(NEXT) | instid1(VALU_DEP_3)
	v_dual_lshlrev_b32 v2, 20, v2 :: v_dual_lshlrev_b32 v3, 24, v16
	v_lshl_add_u32 v6, v6, 23, 0x3c000000
	s_delay_alu instid0(VALU_DEP_2) | instskip(NEXT) | instid1(VALU_DEP_3)
	v_and_b32_e32 v2, 0x700000, v2
	v_and_b32_e32 v3, 0x80000000, v3
	s_delay_alu instid0(VALU_DEP_1)
	v_or3_b32 v60, v2, v3, v6
.LBB366_688:                            ;   in Loop: Header=BB366_10 Depth=1
	s_or_b32 exec_lo, exec_lo, s17
.LBB366_689:                            ;   in Loop: Header=BB366_10 Depth=1
	s_delay_alu instid0(SALU_CYCLE_1)
	s_or_b32 exec_lo, exec_lo, s16
.LBB366_690:                            ;   in Loop: Header=BB366_10 Depth=1
	s_delay_alu instid0(SALU_CYCLE_1) | instskip(SKIP_3) | instid1(VALU_DEP_2)
	s_or_b32 exec_lo, exec_lo, s15
	v_lshrrev_b16 v2, 8, v16
	v_dual_mov_b32 v62, 0 :: v_dual_mov_b32 v61, 0
	s_mov_b32 s15, exec_lo
	v_cmpx_ne_u16_e32 0, v2
	s_cbranch_execz .LBB366_698
; %bb.691:                              ;   in Loop: Header=BB366_10 Depth=1
	v_bfrev_b32_e32 v61, 1
	s_mov_b32 s16, exec_lo
	v_cmpx_ne_u16_e32 0x80, v2
	s_cbranch_execz .LBB366_697
; %bb.692:                              ;   in Loop: Header=BB366_10 Depth=1
	v_and_b32_e32 v2, 0xffff, v2
	v_mov_b32_e32 v61, 0x7f800001
	s_mov_b32 s17, exec_lo
	s_delay_alu instid0(VALU_DEP_2) | instskip(NEXT) | instid1(VALU_DEP_1)
	v_and_b32_e32 v7, 0x7f, v2
	v_cmpx_ne_u32_e32 0x7f, v7
	s_cbranch_execz .LBB366_696
; %bb.693:                              ;   in Loop: Header=BB366_10 Depth=1
	v_dual_mov_b32 v3, v17 :: v_dual_bitop2_b32 v2, 7, v2 bitop3:0x40
	v_lshrrev_b32_e32 v6, 3, v7
	s_mov_b32 s18, exec_lo
	v_cmpx_gt_u32_e32 8, v7
; %bb.694:                              ;   in Loop: Header=BB366_10 Depth=1
	s_delay_alu instid0(VALU_DEP_3) | instskip(NEXT) | instid1(VALU_DEP_1)
	v_clz_i32_u32_e32 v6, v2
	v_min_u32_e32 v6, 32, v6
	s_delay_alu instid0(VALU_DEP_1) | instskip(SKIP_1) | instid1(VALU_DEP_2)
	v_subrev_nc_u32_e32 v7, 28, v6
	v_sub_nc_u32_e32 v6, 29, v6
	v_lshlrev_b64_e32 v[2:3], v7, v[2:3]
	s_delay_alu instid0(VALU_DEP_1)
	v_and_b32_e32 v2, 7, v2
; %bb.695:                              ;   in Loop: Header=BB366_10 Depth=1
	s_or_b32 exec_lo, exec_lo, s18
	s_delay_alu instid0(VALU_DEP_1) | instskip(SKIP_1) | instid1(VALU_DEP_2)
	v_dual_lshlrev_b32 v3, 16, v16 :: v_dual_lshlrev_b32 v2, 20, v2
	v_lshl_add_u32 v6, v6, 23, 0x3c000000
	v_and_b32_e32 v3, 0x80000000, v3
	s_delay_alu instid0(VALU_DEP_1)
	v_or3_b32 v61, v2, v3, v6
.LBB366_696:                            ;   in Loop: Header=BB366_10 Depth=1
	s_or_b32 exec_lo, exec_lo, s17
.LBB366_697:                            ;   in Loop: Header=BB366_10 Depth=1
	s_delay_alu instid0(SALU_CYCLE_1)
	s_or_b32 exec_lo, exec_lo, s16
.LBB366_698:                            ;   in Loop: Header=BB366_10 Depth=1
	s_delay_alu instid0(SALU_CYCLE_1) | instskip(SKIP_2) | instid1(VALU_DEP_1)
	s_or_b32 exec_lo, exec_lo, s15
	v_lshrrev_b32_e32 v2, 16, v73
	s_mov_b32 s15, exec_lo
	v_and_b32_e32 v3, 0xff, v2
	s_delay_alu instid0(VALU_DEP_1)
	v_cmpx_ne_u16_e32 0, v3
	s_cbranch_execz .LBB366_706
; %bb.699:                              ;   in Loop: Header=BB366_10 Depth=1
	v_bfrev_b32_e32 v62, 1
	s_mov_b32 s16, exec_lo
	v_cmpx_ne_u16_e32 0x80, v3
	s_cbranch_execz .LBB366_705
; %bb.700:                              ;   in Loop: Header=BB366_10 Depth=1
	v_bfe_u32 v6, v73, 16, 7
	v_mov_b32_e32 v62, 0x7f800001
	s_mov_b32 s17, exec_lo
	s_delay_alu instid0(VALU_DEP_2)
	v_cmpx_ne_u32_e32 0x7f, v6
	s_cbranch_execz .LBB366_704
; %bb.701:                              ;   in Loop: Header=BB366_10 Depth=1
	v_and_b32_e32 v16, 7, v2
	v_lshrrev_b32_e32 v3, 3, v6
	s_mov_b32 s18, exec_lo
	v_cmpx_gt_u32_e32 8, v6
; %bb.702:                              ;   in Loop: Header=BB366_10 Depth=1
	s_delay_alu instid0(VALU_DEP_3) | instskip(NEXT) | instid1(VALU_DEP_1)
	v_clz_i32_u32_e32 v3, v16
	v_min_u32_e32 v3, 32, v3
	s_delay_alu instid0(VALU_DEP_1) | instskip(NEXT) | instid1(VALU_DEP_1)
	v_subrev_nc_u32_e32 v6, 28, v3
	v_lshlrev_b64_e32 v[6:7], v6, v[16:17]
	s_delay_alu instid0(VALU_DEP_1)
	v_dual_sub_nc_u32 v3, 29, v3 :: v_dual_bitop2_b32 v16, 7, v6 bitop3:0x40
; %bb.703:                              ;   in Loop: Header=BB366_10 Depth=1
	s_or_b32 exec_lo, exec_lo, s18
	s_delay_alu instid0(VALU_DEP_1) | instskip(NEXT) | instid1(VALU_DEP_2)
	v_dual_lshlrev_b32 v2, 24, v2 :: v_dual_lshlrev_b32 v6, 20, v16
	v_lshl_add_u32 v3, v3, 23, 0x3c000000
	s_delay_alu instid0(VALU_DEP_2) | instskip(NEXT) | instid1(VALU_DEP_1)
	v_and_b32_e32 v2, 0x80000000, v2
	v_or3_b32 v62, v6, v2, v3
.LBB366_704:                            ;   in Loop: Header=BB366_10 Depth=1
	s_or_b32 exec_lo, exec_lo, s17
.LBB366_705:                            ;   in Loop: Header=BB366_10 Depth=1
	s_delay_alu instid0(SALU_CYCLE_1)
	s_or_b32 exec_lo, exec_lo, s16
.LBB366_706:                            ;   in Loop: Header=BB366_10 Depth=1
	s_delay_alu instid0(SALU_CYCLE_1)
	s_or_b32 exec_lo, exec_lo, s15
	v_cmp_lt_u64_e64 s1, s[2:3], v[72:73]
	v_dual_mov_b32 v72, 0 :: v_dual_mov_b32 v63, 0
	s_and_saveexec_b32 s15, s1
	s_cbranch_execz .LBB366_714
; %bb.707:                              ;   in Loop: Header=BB366_10 Depth=1
	v_lshrrev_b32_e32 v2, 24, v73
	v_bfrev_b32_e32 v63, 1
	s_mov_b32 s16, exec_lo
	s_delay_alu instid0(VALU_DEP_2)
	v_cmpx_ne_u32_e32 0x80, v2
	s_cbranch_execz .LBB366_713
; %bb.708:                              ;   in Loop: Header=BB366_10 Depth=1
	v_bfe_u32 v6, v73, 24, 7
	v_mov_b32_e32 v63, 0x7f800001
	s_mov_b32 s17, exec_lo
	s_delay_alu instid0(VALU_DEP_2)
	v_cmpx_ne_u32_e32 0x7f, v6
	s_cbranch_execz .LBB366_712
; %bb.709:                              ;   in Loop: Header=BB366_10 Depth=1
	v_and_b32_e32 v16, 7, v2
	v_lshrrev_b32_e32 v3, 3, v6
	s_mov_b32 s18, exec_lo
	v_cmpx_gt_u32_e32 8, v6
; %bb.710:                              ;   in Loop: Header=BB366_10 Depth=1
	s_delay_alu instid0(VALU_DEP_3) | instskip(NEXT) | instid1(VALU_DEP_1)
	v_clz_i32_u32_e32 v3, v16
	v_min_u32_e32 v3, 32, v3
	s_delay_alu instid0(VALU_DEP_1) | instskip(NEXT) | instid1(VALU_DEP_1)
	v_subrev_nc_u32_e32 v6, 28, v3
	v_lshlrev_b64_e32 v[6:7], v6, v[16:17]
	s_delay_alu instid0(VALU_DEP_1)
	v_dual_sub_nc_u32 v3, 29, v3 :: v_dual_bitop2_b32 v16, 7, v6 bitop3:0x40
; %bb.711:                              ;   in Loop: Header=BB366_10 Depth=1
	s_or_b32 exec_lo, exec_lo, s18
	s_delay_alu instid0(VALU_DEP_1) | instskip(NEXT) | instid1(VALU_DEP_2)
	v_dual_lshlrev_b32 v2, 24, v2 :: v_dual_lshlrev_b32 v6, 20, v16
	v_lshl_add_u32 v3, v3, 23, 0x3c000000
	s_delay_alu instid0(VALU_DEP_2) | instskip(NEXT) | instid1(VALU_DEP_1)
	v_and_b32_e32 v2, 0x80000000, v2
	v_or3_b32 v63, v6, v2, v3
.LBB366_712:                            ;   in Loop: Header=BB366_10 Depth=1
	s_or_b32 exec_lo, exec_lo, s17
.LBB366_713:                            ;   in Loop: Header=BB366_10 Depth=1
	s_delay_alu instid0(SALU_CYCLE_1)
	s_or_b32 exec_lo, exec_lo, s16
.LBB366_714:                            ;   in Loop: Header=BB366_10 Depth=1
	s_delay_alu instid0(SALU_CYCLE_1)
	s_or_b32 exec_lo, exec_lo, s15
	flat_load_b64 v[88:89], v[54:55] offset:2568
	s_mov_b32 s15, exec_lo
	s_wait_loadcnt_dscnt 0x0
	v_and_b32_e32 v2, 0xff, v88
	s_wait_xcnt 0x0
	s_delay_alu instid0(VALU_DEP_1)
	v_cmpx_ne_u16_e32 0, v2
	s_cbranch_execz .LBB366_722
; %bb.715:                              ;   in Loop: Header=BB366_10 Depth=1
	v_bfrev_b32_e32 v72, 1
	s_mov_b32 s16, exec_lo
	v_cmpx_ne_u16_e32 0x80, v2
	s_cbranch_execz .LBB366_721
; %bb.716:                              ;   in Loop: Header=BB366_10 Depth=1
	v_and_b32_e32 v2, 0x7f, v88
	v_mov_b32_e32 v72, 0x7f800001
	s_mov_b32 s17, exec_lo
	s_delay_alu instid0(VALU_DEP_2)
	v_cmpx_ne_u32_e32 0x7f, v2
	s_cbranch_execz .LBB366_720
; %bb.717:                              ;   in Loop: Header=BB366_10 Depth=1
	v_lshrrev_b32_e32 v6, 3, v2
	v_cmp_gt_u32_e64 s1, 8, v2
	v_mov_b64_e32 v[2:3], v[88:89]
	s_and_saveexec_b32 s18, s1
; %bb.718:                              ;   in Loop: Header=BB366_10 Depth=1
	v_and_b32_e32 v2, 7, v88
	s_delay_alu instid0(VALU_DEP_1) | instskip(NEXT) | instid1(VALU_DEP_1)
	v_clz_i32_u32_e32 v2, v2
	v_min_u32_e32 v6, 32, v2
	s_delay_alu instid0(VALU_DEP_1) | instskip(SKIP_1) | instid1(VALU_DEP_2)
	v_subrev_nc_u32_e32 v2, 28, v6
	v_sub_nc_u32_e32 v6, 29, v6
	v_lshlrev_b64_e32 v[2:3], v2, v[88:89]
; %bb.719:                              ;   in Loop: Header=BB366_10 Depth=1
	s_or_b32 exec_lo, exec_lo, s18
	s_delay_alu instid0(VALU_DEP_1) | instskip(NEXT) | instid1(VALU_DEP_3)
	v_dual_lshlrev_b32 v2, 20, v2 :: v_dual_lshlrev_b32 v3, 24, v88
	v_lshl_add_u32 v6, v6, 23, 0x3c000000
	s_delay_alu instid0(VALU_DEP_2) | instskip(NEXT) | instid1(VALU_DEP_3)
	v_and_b32_e32 v2, 0x700000, v2
	v_and_b32_e32 v3, 0x80000000, v3
	s_delay_alu instid0(VALU_DEP_1)
	v_or3_b32 v72, v2, v3, v6
.LBB366_720:                            ;   in Loop: Header=BB366_10 Depth=1
	s_or_b32 exec_lo, exec_lo, s17
.LBB366_721:                            ;   in Loop: Header=BB366_10 Depth=1
	s_delay_alu instid0(SALU_CYCLE_1)
	s_or_b32 exec_lo, exec_lo, s16
.LBB366_722:                            ;   in Loop: Header=BB366_10 Depth=1
	s_delay_alu instid0(SALU_CYCLE_1) | instskip(SKIP_3) | instid1(VALU_DEP_2)
	s_or_b32 exec_lo, exec_lo, s15
	v_lshrrev_b16 v2, 8, v88
	v_dual_mov_b32 v74, 0 :: v_dual_mov_b32 v73, 0
	s_mov_b32 s15, exec_lo
	v_cmpx_ne_u16_e32 0, v2
	s_cbranch_execz .LBB366_730
; %bb.723:                              ;   in Loop: Header=BB366_10 Depth=1
	v_bfrev_b32_e32 v73, 1
	s_mov_b32 s16, exec_lo
	v_cmpx_ne_u16_e32 0x80, v2
	s_cbranch_execz .LBB366_729
; %bb.724:                              ;   in Loop: Header=BB366_10 Depth=1
	v_and_b32_e32 v2, 0xffff, v2
	v_mov_b32_e32 v73, 0x7f800001
	s_mov_b32 s17, exec_lo
	s_delay_alu instid0(VALU_DEP_2) | instskip(NEXT) | instid1(VALU_DEP_1)
	v_and_b32_e32 v3, 0x7f, v2
	v_cmpx_ne_u32_e32 0x7f, v3
	s_cbranch_execz .LBB366_728
; %bb.725:                              ;   in Loop: Header=BB366_10 Depth=1
	v_dual_lshrrev_b32 v2, 3, v3 :: v_dual_bitop2_b32 v16, 7, v2 bitop3:0x40
	s_mov_b32 s18, exec_lo
	v_cmpx_gt_u32_e32 8, v3
; %bb.726:                              ;   in Loop: Header=BB366_10 Depth=1
	s_delay_alu instid0(VALU_DEP_2) | instskip(NEXT) | instid1(VALU_DEP_1)
	v_clz_i32_u32_e32 v2, v16
	v_min_u32_e32 v2, 32, v2
	s_delay_alu instid0(VALU_DEP_1) | instskip(SKIP_1) | instid1(VALU_DEP_2)
	v_subrev_nc_u32_e32 v3, 28, v2
	v_sub_nc_u32_e32 v2, 29, v2
	v_lshlrev_b64_e32 v[6:7], v3, v[16:17]
	s_delay_alu instid0(VALU_DEP_1)
	v_and_b32_e32 v16, 7, v6
; %bb.727:                              ;   in Loop: Header=BB366_10 Depth=1
	s_or_b32 exec_lo, exec_lo, s18
	v_lshlrev_b32_e32 v3, 16, v88
	s_delay_alu instid0(VALU_DEP_2) | instskip(SKIP_1) | instid1(VALU_DEP_3)
	v_lshlrev_b32_e32 v6, 20, v16
	v_lshl_add_u32 v2, v2, 23, 0x3c000000
	v_and_b32_e32 v3, 0x80000000, v3
	s_delay_alu instid0(VALU_DEP_1)
	v_or3_b32 v73, v6, v3, v2
.LBB366_728:                            ;   in Loop: Header=BB366_10 Depth=1
	s_or_b32 exec_lo, exec_lo, s17
.LBB366_729:                            ;   in Loop: Header=BB366_10 Depth=1
	s_delay_alu instid0(SALU_CYCLE_1)
	s_or_b32 exec_lo, exec_lo, s16
.LBB366_730:                            ;   in Loop: Header=BB366_10 Depth=1
	s_delay_alu instid0(SALU_CYCLE_1) | instskip(SKIP_2) | instid1(VALU_DEP_1)
	s_or_b32 exec_lo, exec_lo, s15
	v_lshrrev_b32_e32 v2, 16, v88
	s_mov_b32 s15, exec_lo
	v_and_b32_e32 v3, 0xff, v2
	s_delay_alu instid0(VALU_DEP_1)
	v_cmpx_ne_u16_e32 0, v3
	s_cbranch_execz .LBB366_738
; %bb.731:                              ;   in Loop: Header=BB366_10 Depth=1
	v_bfrev_b32_e32 v74, 1
	s_mov_b32 s16, exec_lo
	v_cmpx_ne_u16_e32 0x80, v3
	s_cbranch_execz .LBB366_737
; %bb.732:                              ;   in Loop: Header=BB366_10 Depth=1
	v_bfe_u32 v6, v88, 16, 7
	v_mov_b32_e32 v74, 0x7f800001
	s_mov_b32 s17, exec_lo
	s_delay_alu instid0(VALU_DEP_2)
	v_cmpx_ne_u32_e32 0x7f, v6
	s_cbranch_execz .LBB366_736
; %bb.733:                              ;   in Loop: Header=BB366_10 Depth=1
	v_and_b32_e32 v16, 7, v2
	v_lshrrev_b32_e32 v3, 3, v6
	s_mov_b32 s18, exec_lo
	v_cmpx_gt_u32_e32 8, v6
; %bb.734:                              ;   in Loop: Header=BB366_10 Depth=1
	s_delay_alu instid0(VALU_DEP_3) | instskip(NEXT) | instid1(VALU_DEP_1)
	v_clz_i32_u32_e32 v3, v16
	v_min_u32_e32 v3, 32, v3
	s_delay_alu instid0(VALU_DEP_1) | instskip(NEXT) | instid1(VALU_DEP_1)
	v_subrev_nc_u32_e32 v6, 28, v3
	v_lshlrev_b64_e32 v[6:7], v6, v[16:17]
	s_delay_alu instid0(VALU_DEP_1)
	v_dual_sub_nc_u32 v3, 29, v3 :: v_dual_bitop2_b32 v16, 7, v6 bitop3:0x40
; %bb.735:                              ;   in Loop: Header=BB366_10 Depth=1
	s_or_b32 exec_lo, exec_lo, s18
	s_delay_alu instid0(VALU_DEP_1) | instskip(NEXT) | instid1(VALU_DEP_2)
	v_dual_lshlrev_b32 v2, 24, v2 :: v_dual_lshlrev_b32 v6, 20, v16
	v_lshl_add_u32 v3, v3, 23, 0x3c000000
	s_delay_alu instid0(VALU_DEP_2) | instskip(NEXT) | instid1(VALU_DEP_1)
	v_and_b32_e32 v2, 0x80000000, v2
	v_or3_b32 v74, v6, v2, v3
.LBB366_736:                            ;   in Loop: Header=BB366_10 Depth=1
	s_or_b32 exec_lo, exec_lo, s17
.LBB366_737:                            ;   in Loop: Header=BB366_10 Depth=1
	s_delay_alu instid0(SALU_CYCLE_1)
	s_or_b32 exec_lo, exec_lo, s16
.LBB366_738:                            ;   in Loop: Header=BB366_10 Depth=1
	s_delay_alu instid0(SALU_CYCLE_1)
	s_or_b32 exec_lo, exec_lo, s15
	v_dual_mov_b32 v76, 0 :: v_dual_mov_b32 v75, 0
	s_mov_b32 s15, exec_lo
	v_cmpx_lt_u32_e32 0xffffff, v88
	s_cbranch_execz .LBB366_746
; %bb.739:                              ;   in Loop: Header=BB366_10 Depth=1
	v_lshrrev_b32_e32 v2, 24, v88
	v_bfrev_b32_e32 v75, 1
	s_mov_b32 s16, exec_lo
	s_delay_alu instid0(VALU_DEP_2)
	v_cmpx_ne_u32_e32 0x80, v2
	s_cbranch_execz .LBB366_745
; %bb.740:                              ;   in Loop: Header=BB366_10 Depth=1
	v_bfe_u32 v6, v88, 24, 7
	v_mov_b32_e32 v75, 0x7f800001
	s_mov_b32 s17, exec_lo
	s_delay_alu instid0(VALU_DEP_2)
	v_cmpx_ne_u32_e32 0x7f, v6
	s_cbranch_execz .LBB366_744
; %bb.741:                              ;   in Loop: Header=BB366_10 Depth=1
	v_and_b32_e32 v16, 7, v2
	v_lshrrev_b32_e32 v3, 3, v6
	s_mov_b32 s18, exec_lo
	v_cmpx_gt_u32_e32 8, v6
; %bb.742:                              ;   in Loop: Header=BB366_10 Depth=1
	s_delay_alu instid0(VALU_DEP_3) | instskip(NEXT) | instid1(VALU_DEP_1)
	v_clz_i32_u32_e32 v3, v16
	v_min_u32_e32 v3, 32, v3
	s_delay_alu instid0(VALU_DEP_1) | instskip(NEXT) | instid1(VALU_DEP_1)
	v_subrev_nc_u32_e32 v6, 28, v3
	v_lshlrev_b64_e32 v[6:7], v6, v[16:17]
	s_delay_alu instid0(VALU_DEP_1)
	v_dual_sub_nc_u32 v3, 29, v3 :: v_dual_bitop2_b32 v16, 7, v6 bitop3:0x40
; %bb.743:                              ;   in Loop: Header=BB366_10 Depth=1
	s_or_b32 exec_lo, exec_lo, s18
	s_delay_alu instid0(VALU_DEP_1) | instskip(NEXT) | instid1(VALU_DEP_2)
	v_dual_lshlrev_b32 v2, 24, v2 :: v_dual_lshlrev_b32 v6, 20, v16
	v_lshl_add_u32 v3, v3, 23, 0x3c000000
	s_delay_alu instid0(VALU_DEP_2) | instskip(NEXT) | instid1(VALU_DEP_1)
	v_and_b32_e32 v2, 0x80000000, v2
	v_or3_b32 v75, v6, v2, v3
.LBB366_744:                            ;   in Loop: Header=BB366_10 Depth=1
	s_or_b32 exec_lo, exec_lo, s17
.LBB366_745:                            ;   in Loop: Header=BB366_10 Depth=1
	s_delay_alu instid0(SALU_CYCLE_1)
	s_or_b32 exec_lo, exec_lo, s16
.LBB366_746:                            ;   in Loop: Header=BB366_10 Depth=1
	s_delay_alu instid0(SALU_CYCLE_1) | instskip(SKIP_3) | instid1(VALU_DEP_2)
	s_or_b32 exec_lo, exec_lo, s15
	v_and_b32_e32 v2, 0xff, v89
	v_mov_b32_e32 v16, v89
	s_mov_b32 s15, exec_lo
	v_cmpx_ne_u16_e32 0, v2
	s_cbranch_execz .LBB366_754
; %bb.747:                              ;   in Loop: Header=BB366_10 Depth=1
	v_bfrev_b32_e32 v76, 1
	s_mov_b32 s16, exec_lo
	v_cmpx_ne_u16_e32 0x80, v2
	s_cbranch_execz .LBB366_753
; %bb.748:                              ;   in Loop: Header=BB366_10 Depth=1
	v_and_b32_e32 v2, 0x7f, v89
	v_mov_b32_e32 v76, 0x7f800001
	s_mov_b32 s17, exec_lo
	s_delay_alu instid0(VALU_DEP_2)
	v_cmpx_ne_u32_e32 0x7f, v2
	s_cbranch_execz .LBB366_752
; %bb.749:                              ;   in Loop: Header=BB366_10 Depth=1
	v_lshrrev_b32_e32 v6, 3, v2
	v_cmp_gt_u32_e64 s1, 8, v2
	v_mov_b64_e32 v[2:3], v[16:17]
	s_and_saveexec_b32 s18, s1
; %bb.750:                              ;   in Loop: Header=BB366_10 Depth=1
	v_and_b32_e32 v2, 7, v89
	s_delay_alu instid0(VALU_DEP_1) | instskip(NEXT) | instid1(VALU_DEP_1)
	v_clz_i32_u32_e32 v2, v2
	v_min_u32_e32 v6, 32, v2
	s_delay_alu instid0(VALU_DEP_1) | instskip(SKIP_1) | instid1(VALU_DEP_2)
	v_subrev_nc_u32_e32 v2, 28, v6
	v_sub_nc_u32_e32 v6, 29, v6
	v_lshlrev_b64_e32 v[2:3], v2, v[16:17]
; %bb.751:                              ;   in Loop: Header=BB366_10 Depth=1
	s_or_b32 exec_lo, exec_lo, s18
	s_delay_alu instid0(VALU_DEP_1) | instskip(NEXT) | instid1(VALU_DEP_3)
	v_dual_lshlrev_b32 v2, 20, v2 :: v_dual_lshlrev_b32 v3, 24, v16
	v_lshl_add_u32 v6, v6, 23, 0x3c000000
	s_delay_alu instid0(VALU_DEP_2) | instskip(NEXT) | instid1(VALU_DEP_3)
	v_and_b32_e32 v2, 0x700000, v2
	v_and_b32_e32 v3, 0x80000000, v3
	s_delay_alu instid0(VALU_DEP_1)
	v_or3_b32 v76, v2, v3, v6
.LBB366_752:                            ;   in Loop: Header=BB366_10 Depth=1
	s_or_b32 exec_lo, exec_lo, s17
.LBB366_753:                            ;   in Loop: Header=BB366_10 Depth=1
	s_delay_alu instid0(SALU_CYCLE_1)
	s_or_b32 exec_lo, exec_lo, s16
.LBB366_754:                            ;   in Loop: Header=BB366_10 Depth=1
	s_delay_alu instid0(SALU_CYCLE_1) | instskip(SKIP_3) | instid1(VALU_DEP_2)
	s_or_b32 exec_lo, exec_lo, s15
	v_lshrrev_b16 v2, 8, v16
	v_dual_mov_b32 v78, 0 :: v_dual_mov_b32 v77, 0
	s_mov_b32 s15, exec_lo
	v_cmpx_ne_u16_e32 0, v2
	s_cbranch_execz .LBB366_762
; %bb.755:                              ;   in Loop: Header=BB366_10 Depth=1
	v_bfrev_b32_e32 v77, 1
	s_mov_b32 s16, exec_lo
	v_cmpx_ne_u16_e32 0x80, v2
	s_cbranch_execz .LBB366_761
; %bb.756:                              ;   in Loop: Header=BB366_10 Depth=1
	v_and_b32_e32 v2, 0xffff, v2
	v_mov_b32_e32 v77, 0x7f800001
	s_mov_b32 s17, exec_lo
	s_delay_alu instid0(VALU_DEP_2) | instskip(NEXT) | instid1(VALU_DEP_1)
	v_and_b32_e32 v7, 0x7f, v2
	v_cmpx_ne_u32_e32 0x7f, v7
	s_cbranch_execz .LBB366_760
; %bb.757:                              ;   in Loop: Header=BB366_10 Depth=1
	v_dual_mov_b32 v3, v17 :: v_dual_bitop2_b32 v2, 7, v2 bitop3:0x40
	v_lshrrev_b32_e32 v6, 3, v7
	s_mov_b32 s18, exec_lo
	v_cmpx_gt_u32_e32 8, v7
; %bb.758:                              ;   in Loop: Header=BB366_10 Depth=1
	s_delay_alu instid0(VALU_DEP_3) | instskip(NEXT) | instid1(VALU_DEP_1)
	v_clz_i32_u32_e32 v6, v2
	v_min_u32_e32 v6, 32, v6
	s_delay_alu instid0(VALU_DEP_1) | instskip(SKIP_1) | instid1(VALU_DEP_2)
	v_subrev_nc_u32_e32 v7, 28, v6
	v_sub_nc_u32_e32 v6, 29, v6
	v_lshlrev_b64_e32 v[2:3], v7, v[2:3]
	s_delay_alu instid0(VALU_DEP_1)
	v_and_b32_e32 v2, 7, v2
; %bb.759:                              ;   in Loop: Header=BB366_10 Depth=1
	s_or_b32 exec_lo, exec_lo, s18
	s_delay_alu instid0(VALU_DEP_1) | instskip(SKIP_1) | instid1(VALU_DEP_2)
	v_dual_lshlrev_b32 v3, 16, v16 :: v_dual_lshlrev_b32 v2, 20, v2
	v_lshl_add_u32 v6, v6, 23, 0x3c000000
	v_and_b32_e32 v3, 0x80000000, v3
	s_delay_alu instid0(VALU_DEP_1)
	v_or3_b32 v77, v2, v3, v6
.LBB366_760:                            ;   in Loop: Header=BB366_10 Depth=1
	s_or_b32 exec_lo, exec_lo, s17
.LBB366_761:                            ;   in Loop: Header=BB366_10 Depth=1
	s_delay_alu instid0(SALU_CYCLE_1)
	s_or_b32 exec_lo, exec_lo, s16
.LBB366_762:                            ;   in Loop: Header=BB366_10 Depth=1
	s_delay_alu instid0(SALU_CYCLE_1) | instskip(SKIP_2) | instid1(VALU_DEP_1)
	s_or_b32 exec_lo, exec_lo, s15
	v_lshrrev_b32_e32 v2, 16, v89
	s_mov_b32 s15, exec_lo
	v_and_b32_e32 v3, 0xff, v2
	s_delay_alu instid0(VALU_DEP_1)
	v_cmpx_ne_u16_e32 0, v3
	s_cbranch_execz .LBB366_770
; %bb.763:                              ;   in Loop: Header=BB366_10 Depth=1
	v_bfrev_b32_e32 v78, 1
	s_mov_b32 s16, exec_lo
	v_cmpx_ne_u16_e32 0x80, v3
	s_cbranch_execz .LBB366_769
; %bb.764:                              ;   in Loop: Header=BB366_10 Depth=1
	v_bfe_u32 v6, v89, 16, 7
	v_mov_b32_e32 v78, 0x7f800001
	s_mov_b32 s17, exec_lo
	s_delay_alu instid0(VALU_DEP_2)
	v_cmpx_ne_u32_e32 0x7f, v6
	s_cbranch_execz .LBB366_768
; %bb.765:                              ;   in Loop: Header=BB366_10 Depth=1
	v_and_b32_e32 v16, 7, v2
	v_lshrrev_b32_e32 v3, 3, v6
	s_mov_b32 s18, exec_lo
	v_cmpx_gt_u32_e32 8, v6
; %bb.766:                              ;   in Loop: Header=BB366_10 Depth=1
	s_delay_alu instid0(VALU_DEP_3) | instskip(NEXT) | instid1(VALU_DEP_1)
	v_clz_i32_u32_e32 v3, v16
	v_min_u32_e32 v3, 32, v3
	s_delay_alu instid0(VALU_DEP_1) | instskip(NEXT) | instid1(VALU_DEP_1)
	v_subrev_nc_u32_e32 v6, 28, v3
	v_lshlrev_b64_e32 v[6:7], v6, v[16:17]
	s_delay_alu instid0(VALU_DEP_1)
	v_dual_sub_nc_u32 v3, 29, v3 :: v_dual_bitop2_b32 v16, 7, v6 bitop3:0x40
; %bb.767:                              ;   in Loop: Header=BB366_10 Depth=1
	s_or_b32 exec_lo, exec_lo, s18
	s_delay_alu instid0(VALU_DEP_1) | instskip(NEXT) | instid1(VALU_DEP_2)
	v_dual_lshlrev_b32 v2, 24, v2 :: v_dual_lshlrev_b32 v6, 20, v16
	v_lshl_add_u32 v3, v3, 23, 0x3c000000
	s_delay_alu instid0(VALU_DEP_2) | instskip(NEXT) | instid1(VALU_DEP_1)
	v_and_b32_e32 v2, 0x80000000, v2
	v_or3_b32 v78, v6, v2, v3
.LBB366_768:                            ;   in Loop: Header=BB366_10 Depth=1
	s_or_b32 exec_lo, exec_lo, s17
.LBB366_769:                            ;   in Loop: Header=BB366_10 Depth=1
	s_delay_alu instid0(SALU_CYCLE_1)
	s_or_b32 exec_lo, exec_lo, s16
.LBB366_770:                            ;   in Loop: Header=BB366_10 Depth=1
	s_delay_alu instid0(SALU_CYCLE_1)
	s_or_b32 exec_lo, exec_lo, s15
	v_cmp_lt_u64_e64 s1, s[2:3], v[88:89]
	v_dual_mov_b32 v88, 0 :: v_dual_mov_b32 v79, 0
	s_and_saveexec_b32 s15, s1
	s_cbranch_execz .LBB366_778
; %bb.771:                              ;   in Loop: Header=BB366_10 Depth=1
	v_lshrrev_b32_e32 v2, 24, v89
	v_bfrev_b32_e32 v79, 1
	s_mov_b32 s16, exec_lo
	s_delay_alu instid0(VALU_DEP_2)
	v_cmpx_ne_u32_e32 0x80, v2
	s_cbranch_execz .LBB366_777
; %bb.772:                              ;   in Loop: Header=BB366_10 Depth=1
	v_bfe_u32 v6, v89, 24, 7
	v_mov_b32_e32 v79, 0x7f800001
	s_mov_b32 s17, exec_lo
	s_delay_alu instid0(VALU_DEP_2)
	v_cmpx_ne_u32_e32 0x7f, v6
	s_cbranch_execz .LBB366_776
; %bb.773:                              ;   in Loop: Header=BB366_10 Depth=1
	v_and_b32_e32 v16, 7, v2
	v_lshrrev_b32_e32 v3, 3, v6
	s_mov_b32 s18, exec_lo
	v_cmpx_gt_u32_e32 8, v6
; %bb.774:                              ;   in Loop: Header=BB366_10 Depth=1
	s_delay_alu instid0(VALU_DEP_3) | instskip(NEXT) | instid1(VALU_DEP_1)
	v_clz_i32_u32_e32 v3, v16
	v_min_u32_e32 v3, 32, v3
	s_delay_alu instid0(VALU_DEP_1) | instskip(NEXT) | instid1(VALU_DEP_1)
	v_subrev_nc_u32_e32 v6, 28, v3
	v_lshlrev_b64_e32 v[6:7], v6, v[16:17]
	s_delay_alu instid0(VALU_DEP_1)
	v_dual_sub_nc_u32 v3, 29, v3 :: v_dual_bitop2_b32 v16, 7, v6 bitop3:0x40
; %bb.775:                              ;   in Loop: Header=BB366_10 Depth=1
	s_or_b32 exec_lo, exec_lo, s18
	s_delay_alu instid0(VALU_DEP_1) | instskip(NEXT) | instid1(VALU_DEP_2)
	v_dual_lshlrev_b32 v2, 24, v2 :: v_dual_lshlrev_b32 v6, 20, v16
	v_lshl_add_u32 v3, v3, 23, 0x3c000000
	s_delay_alu instid0(VALU_DEP_2) | instskip(NEXT) | instid1(VALU_DEP_1)
	v_and_b32_e32 v2, 0x80000000, v2
	v_or3_b32 v79, v6, v2, v3
.LBB366_776:                            ;   in Loop: Header=BB366_10 Depth=1
	s_or_b32 exec_lo, exec_lo, s17
.LBB366_777:                            ;   in Loop: Header=BB366_10 Depth=1
	s_delay_alu instid0(SALU_CYCLE_1)
	s_or_b32 exec_lo, exec_lo, s16
.LBB366_778:                            ;   in Loop: Header=BB366_10 Depth=1
	s_delay_alu instid0(SALU_CYCLE_1)
	s_or_b32 exec_lo, exec_lo, s15
	flat_load_b64 v[104:105], v[54:55] offset:3072
	s_mov_b32 s15, exec_lo
	s_wait_loadcnt_dscnt 0x0
	v_and_b32_e32 v2, 0xff, v104
	s_wait_xcnt 0x0
	s_delay_alu instid0(VALU_DEP_1)
	v_cmpx_ne_u16_e32 0, v2
	s_cbranch_execz .LBB366_786
; %bb.779:                              ;   in Loop: Header=BB366_10 Depth=1
	v_bfrev_b32_e32 v88, 1
	s_mov_b32 s16, exec_lo
	v_cmpx_ne_u16_e32 0x80, v2
	s_cbranch_execz .LBB366_785
; %bb.780:                              ;   in Loop: Header=BB366_10 Depth=1
	v_and_b32_e32 v2, 0x7f, v104
	v_mov_b32_e32 v88, 0x7f800001
	s_mov_b32 s17, exec_lo
	s_delay_alu instid0(VALU_DEP_2)
	v_cmpx_ne_u32_e32 0x7f, v2
	s_cbranch_execz .LBB366_784
; %bb.781:                              ;   in Loop: Header=BB366_10 Depth=1
	v_lshrrev_b32_e32 v6, 3, v2
	v_cmp_gt_u32_e64 s1, 8, v2
	v_mov_b64_e32 v[2:3], v[104:105]
	s_and_saveexec_b32 s18, s1
; %bb.782:                              ;   in Loop: Header=BB366_10 Depth=1
	v_and_b32_e32 v2, 7, v104
	s_delay_alu instid0(VALU_DEP_1) | instskip(NEXT) | instid1(VALU_DEP_1)
	v_clz_i32_u32_e32 v2, v2
	v_min_u32_e32 v6, 32, v2
	s_delay_alu instid0(VALU_DEP_1) | instskip(SKIP_1) | instid1(VALU_DEP_2)
	v_subrev_nc_u32_e32 v2, 28, v6
	v_sub_nc_u32_e32 v6, 29, v6
	v_lshlrev_b64_e32 v[2:3], v2, v[104:105]
; %bb.783:                              ;   in Loop: Header=BB366_10 Depth=1
	s_or_b32 exec_lo, exec_lo, s18
	s_delay_alu instid0(VALU_DEP_1) | instskip(NEXT) | instid1(VALU_DEP_3)
	v_dual_lshlrev_b32 v2, 20, v2 :: v_dual_lshlrev_b32 v3, 24, v104
	v_lshl_add_u32 v6, v6, 23, 0x3c000000
	s_delay_alu instid0(VALU_DEP_2) | instskip(NEXT) | instid1(VALU_DEP_3)
	v_and_b32_e32 v2, 0x700000, v2
	v_and_b32_e32 v3, 0x80000000, v3
	s_delay_alu instid0(VALU_DEP_1)
	v_or3_b32 v88, v2, v3, v6
.LBB366_784:                            ;   in Loop: Header=BB366_10 Depth=1
	s_or_b32 exec_lo, exec_lo, s17
.LBB366_785:                            ;   in Loop: Header=BB366_10 Depth=1
	s_delay_alu instid0(SALU_CYCLE_1)
	s_or_b32 exec_lo, exec_lo, s16
.LBB366_786:                            ;   in Loop: Header=BB366_10 Depth=1
	s_delay_alu instid0(SALU_CYCLE_1) | instskip(SKIP_3) | instid1(VALU_DEP_2)
	s_or_b32 exec_lo, exec_lo, s15
	v_lshrrev_b16 v2, 8, v104
	v_dual_mov_b32 v90, 0 :: v_dual_mov_b32 v89, 0
	s_mov_b32 s15, exec_lo
	v_cmpx_ne_u16_e32 0, v2
	s_cbranch_execz .LBB366_794
; %bb.787:                              ;   in Loop: Header=BB366_10 Depth=1
	v_bfrev_b32_e32 v89, 1
	s_mov_b32 s16, exec_lo
	v_cmpx_ne_u16_e32 0x80, v2
	s_cbranch_execz .LBB366_793
; %bb.788:                              ;   in Loop: Header=BB366_10 Depth=1
	v_and_b32_e32 v2, 0xffff, v2
	v_mov_b32_e32 v89, 0x7f800001
	s_mov_b32 s17, exec_lo
	s_delay_alu instid0(VALU_DEP_2) | instskip(NEXT) | instid1(VALU_DEP_1)
	v_and_b32_e32 v3, 0x7f, v2
	v_cmpx_ne_u32_e32 0x7f, v3
	s_cbranch_execz .LBB366_792
; %bb.789:                              ;   in Loop: Header=BB366_10 Depth=1
	v_dual_lshrrev_b32 v2, 3, v3 :: v_dual_bitop2_b32 v16, 7, v2 bitop3:0x40
	s_mov_b32 s18, exec_lo
	v_cmpx_gt_u32_e32 8, v3
; %bb.790:                              ;   in Loop: Header=BB366_10 Depth=1
	s_delay_alu instid0(VALU_DEP_2) | instskip(NEXT) | instid1(VALU_DEP_1)
	v_clz_i32_u32_e32 v2, v16
	v_min_u32_e32 v2, 32, v2
	s_delay_alu instid0(VALU_DEP_1) | instskip(SKIP_1) | instid1(VALU_DEP_2)
	v_subrev_nc_u32_e32 v3, 28, v2
	v_sub_nc_u32_e32 v2, 29, v2
	v_lshlrev_b64_e32 v[6:7], v3, v[16:17]
	s_delay_alu instid0(VALU_DEP_1)
	v_and_b32_e32 v16, 7, v6
; %bb.791:                              ;   in Loop: Header=BB366_10 Depth=1
	s_or_b32 exec_lo, exec_lo, s18
	v_lshlrev_b32_e32 v3, 16, v104
	s_delay_alu instid0(VALU_DEP_2) | instskip(SKIP_1) | instid1(VALU_DEP_3)
	v_lshlrev_b32_e32 v6, 20, v16
	v_lshl_add_u32 v2, v2, 23, 0x3c000000
	v_and_b32_e32 v3, 0x80000000, v3
	s_delay_alu instid0(VALU_DEP_1)
	v_or3_b32 v89, v6, v3, v2
.LBB366_792:                            ;   in Loop: Header=BB366_10 Depth=1
	s_or_b32 exec_lo, exec_lo, s17
.LBB366_793:                            ;   in Loop: Header=BB366_10 Depth=1
	s_delay_alu instid0(SALU_CYCLE_1)
	s_or_b32 exec_lo, exec_lo, s16
.LBB366_794:                            ;   in Loop: Header=BB366_10 Depth=1
	s_delay_alu instid0(SALU_CYCLE_1) | instskip(SKIP_2) | instid1(VALU_DEP_1)
	s_or_b32 exec_lo, exec_lo, s15
	v_lshrrev_b32_e32 v2, 16, v104
	s_mov_b32 s15, exec_lo
	v_and_b32_e32 v3, 0xff, v2
	s_delay_alu instid0(VALU_DEP_1)
	v_cmpx_ne_u16_e32 0, v3
	s_cbranch_execz .LBB366_802
; %bb.795:                              ;   in Loop: Header=BB366_10 Depth=1
	v_bfrev_b32_e32 v90, 1
	s_mov_b32 s16, exec_lo
	v_cmpx_ne_u16_e32 0x80, v3
	s_cbranch_execz .LBB366_801
; %bb.796:                              ;   in Loop: Header=BB366_10 Depth=1
	v_bfe_u32 v6, v104, 16, 7
	v_mov_b32_e32 v90, 0x7f800001
	s_mov_b32 s17, exec_lo
	s_delay_alu instid0(VALU_DEP_2)
	v_cmpx_ne_u32_e32 0x7f, v6
	s_cbranch_execz .LBB366_800
; %bb.797:                              ;   in Loop: Header=BB366_10 Depth=1
	v_and_b32_e32 v16, 7, v2
	v_lshrrev_b32_e32 v3, 3, v6
	s_mov_b32 s18, exec_lo
	v_cmpx_gt_u32_e32 8, v6
; %bb.798:                              ;   in Loop: Header=BB366_10 Depth=1
	s_delay_alu instid0(VALU_DEP_3) | instskip(NEXT) | instid1(VALU_DEP_1)
	v_clz_i32_u32_e32 v3, v16
	v_min_u32_e32 v3, 32, v3
	s_delay_alu instid0(VALU_DEP_1) | instskip(NEXT) | instid1(VALU_DEP_1)
	v_subrev_nc_u32_e32 v6, 28, v3
	v_lshlrev_b64_e32 v[6:7], v6, v[16:17]
	s_delay_alu instid0(VALU_DEP_1)
	v_dual_sub_nc_u32 v3, 29, v3 :: v_dual_bitop2_b32 v16, 7, v6 bitop3:0x40
; %bb.799:                              ;   in Loop: Header=BB366_10 Depth=1
	s_or_b32 exec_lo, exec_lo, s18
	s_delay_alu instid0(VALU_DEP_1) | instskip(NEXT) | instid1(VALU_DEP_2)
	v_dual_lshlrev_b32 v2, 24, v2 :: v_dual_lshlrev_b32 v6, 20, v16
	v_lshl_add_u32 v3, v3, 23, 0x3c000000
	s_delay_alu instid0(VALU_DEP_2) | instskip(NEXT) | instid1(VALU_DEP_1)
	v_and_b32_e32 v2, 0x80000000, v2
	v_or3_b32 v90, v6, v2, v3
.LBB366_800:                            ;   in Loop: Header=BB366_10 Depth=1
	s_or_b32 exec_lo, exec_lo, s17
.LBB366_801:                            ;   in Loop: Header=BB366_10 Depth=1
	s_delay_alu instid0(SALU_CYCLE_1)
	s_or_b32 exec_lo, exec_lo, s16
.LBB366_802:                            ;   in Loop: Header=BB366_10 Depth=1
	s_delay_alu instid0(SALU_CYCLE_1)
	s_or_b32 exec_lo, exec_lo, s15
	v_dual_mov_b32 v92, 0 :: v_dual_mov_b32 v91, 0
	s_mov_b32 s15, exec_lo
	v_cmpx_lt_u32_e32 0xffffff, v104
	s_cbranch_execz .LBB366_810
; %bb.803:                              ;   in Loop: Header=BB366_10 Depth=1
	v_lshrrev_b32_e32 v2, 24, v104
	v_bfrev_b32_e32 v91, 1
	s_mov_b32 s16, exec_lo
	s_delay_alu instid0(VALU_DEP_2)
	v_cmpx_ne_u32_e32 0x80, v2
	s_cbranch_execz .LBB366_809
; %bb.804:                              ;   in Loop: Header=BB366_10 Depth=1
	v_bfe_u32 v6, v104, 24, 7
	v_mov_b32_e32 v91, 0x7f800001
	s_mov_b32 s17, exec_lo
	s_delay_alu instid0(VALU_DEP_2)
	v_cmpx_ne_u32_e32 0x7f, v6
	s_cbranch_execz .LBB366_808
; %bb.805:                              ;   in Loop: Header=BB366_10 Depth=1
	v_and_b32_e32 v16, 7, v2
	v_lshrrev_b32_e32 v3, 3, v6
	s_mov_b32 s18, exec_lo
	v_cmpx_gt_u32_e32 8, v6
; %bb.806:                              ;   in Loop: Header=BB366_10 Depth=1
	s_delay_alu instid0(VALU_DEP_3) | instskip(NEXT) | instid1(VALU_DEP_1)
	v_clz_i32_u32_e32 v3, v16
	v_min_u32_e32 v3, 32, v3
	s_delay_alu instid0(VALU_DEP_1) | instskip(NEXT) | instid1(VALU_DEP_1)
	v_subrev_nc_u32_e32 v6, 28, v3
	v_lshlrev_b64_e32 v[6:7], v6, v[16:17]
	s_delay_alu instid0(VALU_DEP_1)
	v_dual_sub_nc_u32 v3, 29, v3 :: v_dual_bitop2_b32 v16, 7, v6 bitop3:0x40
; %bb.807:                              ;   in Loop: Header=BB366_10 Depth=1
	s_or_b32 exec_lo, exec_lo, s18
	s_delay_alu instid0(VALU_DEP_1) | instskip(NEXT) | instid1(VALU_DEP_2)
	v_dual_lshlrev_b32 v2, 24, v2 :: v_dual_lshlrev_b32 v6, 20, v16
	v_lshl_add_u32 v3, v3, 23, 0x3c000000
	s_delay_alu instid0(VALU_DEP_2) | instskip(NEXT) | instid1(VALU_DEP_1)
	v_and_b32_e32 v2, 0x80000000, v2
	v_or3_b32 v91, v6, v2, v3
.LBB366_808:                            ;   in Loop: Header=BB366_10 Depth=1
	s_or_b32 exec_lo, exec_lo, s17
.LBB366_809:                            ;   in Loop: Header=BB366_10 Depth=1
	s_delay_alu instid0(SALU_CYCLE_1)
	s_or_b32 exec_lo, exec_lo, s16
.LBB366_810:                            ;   in Loop: Header=BB366_10 Depth=1
	s_delay_alu instid0(SALU_CYCLE_1) | instskip(SKIP_3) | instid1(VALU_DEP_2)
	s_or_b32 exec_lo, exec_lo, s15
	v_and_b32_e32 v2, 0xff, v105
	v_mov_b32_e32 v16, v105
	s_mov_b32 s15, exec_lo
	v_cmpx_ne_u16_e32 0, v2
	s_cbranch_execz .LBB366_818
; %bb.811:                              ;   in Loop: Header=BB366_10 Depth=1
	v_bfrev_b32_e32 v92, 1
	s_mov_b32 s16, exec_lo
	v_cmpx_ne_u16_e32 0x80, v2
	s_cbranch_execz .LBB366_817
; %bb.812:                              ;   in Loop: Header=BB366_10 Depth=1
	v_and_b32_e32 v2, 0x7f, v105
	v_mov_b32_e32 v92, 0x7f800001
	s_mov_b32 s17, exec_lo
	s_delay_alu instid0(VALU_DEP_2)
	v_cmpx_ne_u32_e32 0x7f, v2
	s_cbranch_execz .LBB366_816
; %bb.813:                              ;   in Loop: Header=BB366_10 Depth=1
	v_lshrrev_b32_e32 v6, 3, v2
	v_cmp_gt_u32_e64 s1, 8, v2
	v_mov_b64_e32 v[2:3], v[16:17]
	s_and_saveexec_b32 s18, s1
; %bb.814:                              ;   in Loop: Header=BB366_10 Depth=1
	v_and_b32_e32 v2, 7, v105
	s_delay_alu instid0(VALU_DEP_1) | instskip(NEXT) | instid1(VALU_DEP_1)
	v_clz_i32_u32_e32 v2, v2
	v_min_u32_e32 v6, 32, v2
	s_delay_alu instid0(VALU_DEP_1) | instskip(SKIP_1) | instid1(VALU_DEP_2)
	v_subrev_nc_u32_e32 v2, 28, v6
	v_sub_nc_u32_e32 v6, 29, v6
	v_lshlrev_b64_e32 v[2:3], v2, v[16:17]
; %bb.815:                              ;   in Loop: Header=BB366_10 Depth=1
	s_or_b32 exec_lo, exec_lo, s18
	s_delay_alu instid0(VALU_DEP_1) | instskip(NEXT) | instid1(VALU_DEP_3)
	v_dual_lshlrev_b32 v2, 20, v2 :: v_dual_lshlrev_b32 v3, 24, v16
	v_lshl_add_u32 v6, v6, 23, 0x3c000000
	s_delay_alu instid0(VALU_DEP_2) | instskip(NEXT) | instid1(VALU_DEP_3)
	v_and_b32_e32 v2, 0x700000, v2
	v_and_b32_e32 v3, 0x80000000, v3
	s_delay_alu instid0(VALU_DEP_1)
	v_or3_b32 v92, v2, v3, v6
.LBB366_816:                            ;   in Loop: Header=BB366_10 Depth=1
	s_or_b32 exec_lo, exec_lo, s17
.LBB366_817:                            ;   in Loop: Header=BB366_10 Depth=1
	s_delay_alu instid0(SALU_CYCLE_1)
	s_or_b32 exec_lo, exec_lo, s16
.LBB366_818:                            ;   in Loop: Header=BB366_10 Depth=1
	s_delay_alu instid0(SALU_CYCLE_1) | instskip(SKIP_3) | instid1(VALU_DEP_2)
	s_or_b32 exec_lo, exec_lo, s15
	v_lshrrev_b16 v2, 8, v16
	v_dual_mov_b32 v94, 0 :: v_dual_mov_b32 v93, 0
	s_mov_b32 s15, exec_lo
	v_cmpx_ne_u16_e32 0, v2
	s_cbranch_execz .LBB366_826
; %bb.819:                              ;   in Loop: Header=BB366_10 Depth=1
	v_bfrev_b32_e32 v93, 1
	s_mov_b32 s16, exec_lo
	v_cmpx_ne_u16_e32 0x80, v2
	s_cbranch_execz .LBB366_825
; %bb.820:                              ;   in Loop: Header=BB366_10 Depth=1
	v_and_b32_e32 v2, 0xffff, v2
	v_mov_b32_e32 v93, 0x7f800001
	s_mov_b32 s17, exec_lo
	s_delay_alu instid0(VALU_DEP_2) | instskip(NEXT) | instid1(VALU_DEP_1)
	v_and_b32_e32 v7, 0x7f, v2
	v_cmpx_ne_u32_e32 0x7f, v7
	s_cbranch_execz .LBB366_824
; %bb.821:                              ;   in Loop: Header=BB366_10 Depth=1
	v_dual_mov_b32 v3, v17 :: v_dual_bitop2_b32 v2, 7, v2 bitop3:0x40
	v_lshrrev_b32_e32 v6, 3, v7
	s_mov_b32 s18, exec_lo
	v_cmpx_gt_u32_e32 8, v7
; %bb.822:                              ;   in Loop: Header=BB366_10 Depth=1
	s_delay_alu instid0(VALU_DEP_3) | instskip(NEXT) | instid1(VALU_DEP_1)
	v_clz_i32_u32_e32 v6, v2
	v_min_u32_e32 v6, 32, v6
	s_delay_alu instid0(VALU_DEP_1) | instskip(SKIP_1) | instid1(VALU_DEP_2)
	v_subrev_nc_u32_e32 v7, 28, v6
	v_sub_nc_u32_e32 v6, 29, v6
	v_lshlrev_b64_e32 v[2:3], v7, v[2:3]
	s_delay_alu instid0(VALU_DEP_1)
	v_and_b32_e32 v2, 7, v2
; %bb.823:                              ;   in Loop: Header=BB366_10 Depth=1
	s_or_b32 exec_lo, exec_lo, s18
	s_delay_alu instid0(VALU_DEP_1) | instskip(SKIP_1) | instid1(VALU_DEP_2)
	v_dual_lshlrev_b32 v3, 16, v16 :: v_dual_lshlrev_b32 v2, 20, v2
	v_lshl_add_u32 v6, v6, 23, 0x3c000000
	v_and_b32_e32 v3, 0x80000000, v3
	s_delay_alu instid0(VALU_DEP_1)
	v_or3_b32 v93, v2, v3, v6
.LBB366_824:                            ;   in Loop: Header=BB366_10 Depth=1
	s_or_b32 exec_lo, exec_lo, s17
.LBB366_825:                            ;   in Loop: Header=BB366_10 Depth=1
	s_delay_alu instid0(SALU_CYCLE_1)
	s_or_b32 exec_lo, exec_lo, s16
.LBB366_826:                            ;   in Loop: Header=BB366_10 Depth=1
	s_delay_alu instid0(SALU_CYCLE_1) | instskip(SKIP_2) | instid1(VALU_DEP_1)
	s_or_b32 exec_lo, exec_lo, s15
	v_lshrrev_b32_e32 v2, 16, v105
	s_mov_b32 s15, exec_lo
	v_and_b32_e32 v3, 0xff, v2
	s_delay_alu instid0(VALU_DEP_1)
	v_cmpx_ne_u16_e32 0, v3
	s_cbranch_execz .LBB366_834
; %bb.827:                              ;   in Loop: Header=BB366_10 Depth=1
	v_bfrev_b32_e32 v94, 1
	s_mov_b32 s16, exec_lo
	v_cmpx_ne_u16_e32 0x80, v3
	s_cbranch_execz .LBB366_833
; %bb.828:                              ;   in Loop: Header=BB366_10 Depth=1
	v_bfe_u32 v6, v105, 16, 7
	v_mov_b32_e32 v94, 0x7f800001
	s_mov_b32 s17, exec_lo
	s_delay_alu instid0(VALU_DEP_2)
	v_cmpx_ne_u32_e32 0x7f, v6
	s_cbranch_execz .LBB366_832
; %bb.829:                              ;   in Loop: Header=BB366_10 Depth=1
	v_and_b32_e32 v16, 7, v2
	v_lshrrev_b32_e32 v3, 3, v6
	s_mov_b32 s18, exec_lo
	v_cmpx_gt_u32_e32 8, v6
; %bb.830:                              ;   in Loop: Header=BB366_10 Depth=1
	s_delay_alu instid0(VALU_DEP_3) | instskip(NEXT) | instid1(VALU_DEP_1)
	v_clz_i32_u32_e32 v3, v16
	v_min_u32_e32 v3, 32, v3
	s_delay_alu instid0(VALU_DEP_1) | instskip(NEXT) | instid1(VALU_DEP_1)
	v_subrev_nc_u32_e32 v6, 28, v3
	v_lshlrev_b64_e32 v[6:7], v6, v[16:17]
	s_delay_alu instid0(VALU_DEP_1)
	v_dual_sub_nc_u32 v3, 29, v3 :: v_dual_bitop2_b32 v16, 7, v6 bitop3:0x40
; %bb.831:                              ;   in Loop: Header=BB366_10 Depth=1
	s_or_b32 exec_lo, exec_lo, s18
	s_delay_alu instid0(VALU_DEP_1) | instskip(NEXT) | instid1(VALU_DEP_2)
	v_dual_lshlrev_b32 v2, 24, v2 :: v_dual_lshlrev_b32 v6, 20, v16
	v_lshl_add_u32 v3, v3, 23, 0x3c000000
	s_delay_alu instid0(VALU_DEP_2) | instskip(NEXT) | instid1(VALU_DEP_1)
	v_and_b32_e32 v2, 0x80000000, v2
	v_or3_b32 v94, v6, v2, v3
.LBB366_832:                            ;   in Loop: Header=BB366_10 Depth=1
	s_or_b32 exec_lo, exec_lo, s17
.LBB366_833:                            ;   in Loop: Header=BB366_10 Depth=1
	s_delay_alu instid0(SALU_CYCLE_1)
	s_or_b32 exec_lo, exec_lo, s16
.LBB366_834:                            ;   in Loop: Header=BB366_10 Depth=1
	s_delay_alu instid0(SALU_CYCLE_1)
	s_or_b32 exec_lo, exec_lo, s15
	v_cmp_lt_u64_e64 s1, s[2:3], v[104:105]
	v_dual_mov_b32 v104, 0 :: v_dual_mov_b32 v95, 0
	s_and_saveexec_b32 s15, s1
	s_cbranch_execz .LBB366_842
; %bb.835:                              ;   in Loop: Header=BB366_10 Depth=1
	v_lshrrev_b32_e32 v2, 24, v105
	v_bfrev_b32_e32 v95, 1
	s_mov_b32 s16, exec_lo
	s_delay_alu instid0(VALU_DEP_2)
	v_cmpx_ne_u32_e32 0x80, v2
	s_cbranch_execz .LBB366_841
; %bb.836:                              ;   in Loop: Header=BB366_10 Depth=1
	v_bfe_u32 v6, v105, 24, 7
	v_mov_b32_e32 v95, 0x7f800001
	s_mov_b32 s17, exec_lo
	s_delay_alu instid0(VALU_DEP_2)
	v_cmpx_ne_u32_e32 0x7f, v6
	s_cbranch_execz .LBB366_840
; %bb.837:                              ;   in Loop: Header=BB366_10 Depth=1
	v_and_b32_e32 v16, 7, v2
	v_lshrrev_b32_e32 v3, 3, v6
	s_mov_b32 s18, exec_lo
	v_cmpx_gt_u32_e32 8, v6
; %bb.838:                              ;   in Loop: Header=BB366_10 Depth=1
	s_delay_alu instid0(VALU_DEP_3) | instskip(NEXT) | instid1(VALU_DEP_1)
	v_clz_i32_u32_e32 v3, v16
	v_min_u32_e32 v3, 32, v3
	s_delay_alu instid0(VALU_DEP_1) | instskip(NEXT) | instid1(VALU_DEP_1)
	v_subrev_nc_u32_e32 v6, 28, v3
	v_lshlrev_b64_e32 v[6:7], v6, v[16:17]
	s_delay_alu instid0(VALU_DEP_1)
	v_dual_sub_nc_u32 v3, 29, v3 :: v_dual_bitop2_b32 v16, 7, v6 bitop3:0x40
; %bb.839:                              ;   in Loop: Header=BB366_10 Depth=1
	s_or_b32 exec_lo, exec_lo, s18
	s_delay_alu instid0(VALU_DEP_1) | instskip(NEXT) | instid1(VALU_DEP_2)
	v_dual_lshlrev_b32 v2, 24, v2 :: v_dual_lshlrev_b32 v6, 20, v16
	v_lshl_add_u32 v3, v3, 23, 0x3c000000
	s_delay_alu instid0(VALU_DEP_2) | instskip(NEXT) | instid1(VALU_DEP_1)
	v_and_b32_e32 v2, 0x80000000, v2
	v_or3_b32 v95, v6, v2, v3
.LBB366_840:                            ;   in Loop: Header=BB366_10 Depth=1
	s_or_b32 exec_lo, exec_lo, s17
.LBB366_841:                            ;   in Loop: Header=BB366_10 Depth=1
	s_delay_alu instid0(SALU_CYCLE_1)
	s_or_b32 exec_lo, exec_lo, s16
.LBB366_842:                            ;   in Loop: Header=BB366_10 Depth=1
	s_delay_alu instid0(SALU_CYCLE_1)
	s_or_b32 exec_lo, exec_lo, s15
	flat_load_b64 v[110:111], v[54:55] offset:3080
	s_mov_b32 s15, exec_lo
	s_wait_loadcnt_dscnt 0x0
	v_and_b32_e32 v2, 0xff, v110
	s_wait_xcnt 0x0
	s_delay_alu instid0(VALU_DEP_1)
	v_cmpx_ne_u16_e32 0, v2
	s_cbranch_execz .LBB366_850
; %bb.843:                              ;   in Loop: Header=BB366_10 Depth=1
	v_bfrev_b32_e32 v104, 1
	s_mov_b32 s16, exec_lo
	v_cmpx_ne_u16_e32 0x80, v2
	s_cbranch_execz .LBB366_849
; %bb.844:                              ;   in Loop: Header=BB366_10 Depth=1
	v_and_b32_e32 v2, 0x7f, v110
	v_mov_b32_e32 v104, 0x7f800001
	s_mov_b32 s17, exec_lo
	s_delay_alu instid0(VALU_DEP_2)
	v_cmpx_ne_u32_e32 0x7f, v2
	s_cbranch_execz .LBB366_848
; %bb.845:                              ;   in Loop: Header=BB366_10 Depth=1
	v_lshrrev_b32_e32 v6, 3, v2
	v_cmp_gt_u32_e64 s1, 8, v2
	v_mov_b64_e32 v[2:3], v[110:111]
	s_and_saveexec_b32 s18, s1
; %bb.846:                              ;   in Loop: Header=BB366_10 Depth=1
	v_and_b32_e32 v2, 7, v110
	s_delay_alu instid0(VALU_DEP_1) | instskip(NEXT) | instid1(VALU_DEP_1)
	v_clz_i32_u32_e32 v2, v2
	v_min_u32_e32 v6, 32, v2
	s_delay_alu instid0(VALU_DEP_1) | instskip(SKIP_1) | instid1(VALU_DEP_2)
	v_subrev_nc_u32_e32 v2, 28, v6
	v_sub_nc_u32_e32 v6, 29, v6
	v_lshlrev_b64_e32 v[2:3], v2, v[110:111]
; %bb.847:                              ;   in Loop: Header=BB366_10 Depth=1
	s_or_b32 exec_lo, exec_lo, s18
	s_delay_alu instid0(VALU_DEP_1) | instskip(SKIP_2) | instid1(VALU_DEP_3)
	v_lshlrev_b32_e32 v2, 20, v2
	v_lshlrev_b32_e32 v3, 24, v110
	v_lshl_add_u32 v6, v6, 23, 0x3c000000
	v_and_b32_e32 v2, 0x700000, v2
	s_delay_alu instid0(VALU_DEP_3) | instskip(NEXT) | instid1(VALU_DEP_1)
	v_and_b32_e32 v3, 0x80000000, v3
	v_or3_b32 v104, v2, v3, v6
.LBB366_848:                            ;   in Loop: Header=BB366_10 Depth=1
	s_or_b32 exec_lo, exec_lo, s17
.LBB366_849:                            ;   in Loop: Header=BB366_10 Depth=1
	s_delay_alu instid0(SALU_CYCLE_1)
	s_or_b32 exec_lo, exec_lo, s16
.LBB366_850:                            ;   in Loop: Header=BB366_10 Depth=1
	s_delay_alu instid0(SALU_CYCLE_1) | instskip(SKIP_3) | instid1(VALU_DEP_2)
	s_or_b32 exec_lo, exec_lo, s15
	v_lshrrev_b16 v2, 8, v110
	v_dual_mov_b32 v106, 0 :: v_dual_mov_b32 v105, 0
	s_mov_b32 s15, exec_lo
	v_cmpx_ne_u16_e32 0, v2
	s_cbranch_execz .LBB366_858
; %bb.851:                              ;   in Loop: Header=BB366_10 Depth=1
	v_bfrev_b32_e32 v105, 1
	s_mov_b32 s16, exec_lo
	v_cmpx_ne_u16_e32 0x80, v2
	s_cbranch_execz .LBB366_857
; %bb.852:                              ;   in Loop: Header=BB366_10 Depth=1
	v_and_b32_e32 v2, 0xffff, v2
	v_mov_b32_e32 v105, 0x7f800001
	s_mov_b32 s17, exec_lo
	s_delay_alu instid0(VALU_DEP_2) | instskip(NEXT) | instid1(VALU_DEP_1)
	v_and_b32_e32 v3, 0x7f, v2
	v_cmpx_ne_u32_e32 0x7f, v3
	s_cbranch_execz .LBB366_856
; %bb.853:                              ;   in Loop: Header=BB366_10 Depth=1
	v_dual_lshrrev_b32 v2, 3, v3 :: v_dual_bitop2_b32 v16, 7, v2 bitop3:0x40
	s_mov_b32 s18, exec_lo
	v_cmpx_gt_u32_e32 8, v3
; %bb.854:                              ;   in Loop: Header=BB366_10 Depth=1
	s_delay_alu instid0(VALU_DEP_2) | instskip(NEXT) | instid1(VALU_DEP_1)
	v_clz_i32_u32_e32 v2, v16
	v_min_u32_e32 v2, 32, v2
	s_delay_alu instid0(VALU_DEP_1) | instskip(SKIP_1) | instid1(VALU_DEP_2)
	v_subrev_nc_u32_e32 v3, 28, v2
	v_sub_nc_u32_e32 v2, 29, v2
	v_lshlrev_b64_e32 v[6:7], v3, v[16:17]
	s_delay_alu instid0(VALU_DEP_1)
	v_and_b32_e32 v16, 7, v6
; %bb.855:                              ;   in Loop: Header=BB366_10 Depth=1
	s_or_b32 exec_lo, exec_lo, s18
	s_delay_alu instid0(VALU_DEP_1) | instskip(SKIP_1) | instid1(VALU_DEP_2)
	v_dual_lshlrev_b32 v3, 16, v110 :: v_dual_lshlrev_b32 v6, 20, v16
	v_lshl_add_u32 v2, v2, 23, 0x3c000000
	v_and_b32_e32 v3, 0x80000000, v3
	s_delay_alu instid0(VALU_DEP_1)
	v_or3_b32 v105, v6, v3, v2
.LBB366_856:                            ;   in Loop: Header=BB366_10 Depth=1
	s_or_b32 exec_lo, exec_lo, s17
.LBB366_857:                            ;   in Loop: Header=BB366_10 Depth=1
	s_delay_alu instid0(SALU_CYCLE_1)
	s_or_b32 exec_lo, exec_lo, s16
.LBB366_858:                            ;   in Loop: Header=BB366_10 Depth=1
	s_delay_alu instid0(SALU_CYCLE_1) | instskip(SKIP_2) | instid1(VALU_DEP_1)
	s_or_b32 exec_lo, exec_lo, s15
	v_lshrrev_b32_e32 v2, 16, v110
	s_mov_b32 s15, exec_lo
	v_and_b32_e32 v3, 0xff, v2
	s_delay_alu instid0(VALU_DEP_1)
	v_cmpx_ne_u16_e32 0, v3
	s_cbranch_execz .LBB366_866
; %bb.859:                              ;   in Loop: Header=BB366_10 Depth=1
	v_bfrev_b32_e32 v106, 1
	s_mov_b32 s16, exec_lo
	v_cmpx_ne_u16_e32 0x80, v3
	s_cbranch_execz .LBB366_865
; %bb.860:                              ;   in Loop: Header=BB366_10 Depth=1
	v_bfe_u32 v6, v110, 16, 7
	v_mov_b32_e32 v106, 0x7f800001
	s_mov_b32 s17, exec_lo
	s_delay_alu instid0(VALU_DEP_2)
	v_cmpx_ne_u32_e32 0x7f, v6
	s_cbranch_execz .LBB366_864
; %bb.861:                              ;   in Loop: Header=BB366_10 Depth=1
	v_and_b32_e32 v16, 7, v2
	v_lshrrev_b32_e32 v3, 3, v6
	s_mov_b32 s18, exec_lo
	v_cmpx_gt_u32_e32 8, v6
; %bb.862:                              ;   in Loop: Header=BB366_10 Depth=1
	s_delay_alu instid0(VALU_DEP_3) | instskip(NEXT) | instid1(VALU_DEP_1)
	v_clz_i32_u32_e32 v3, v16
	v_min_u32_e32 v3, 32, v3
	s_delay_alu instid0(VALU_DEP_1) | instskip(NEXT) | instid1(VALU_DEP_1)
	v_subrev_nc_u32_e32 v6, 28, v3
	v_lshlrev_b64_e32 v[6:7], v6, v[16:17]
	s_delay_alu instid0(VALU_DEP_1)
	v_dual_sub_nc_u32 v3, 29, v3 :: v_dual_bitop2_b32 v16, 7, v6 bitop3:0x40
; %bb.863:                              ;   in Loop: Header=BB366_10 Depth=1
	s_or_b32 exec_lo, exec_lo, s18
	s_delay_alu instid0(VALU_DEP_1) | instskip(NEXT) | instid1(VALU_DEP_2)
	v_dual_lshlrev_b32 v2, 24, v2 :: v_dual_lshlrev_b32 v6, 20, v16
	v_lshl_add_u32 v3, v3, 23, 0x3c000000
	s_delay_alu instid0(VALU_DEP_2) | instskip(NEXT) | instid1(VALU_DEP_1)
	v_and_b32_e32 v2, 0x80000000, v2
	v_or3_b32 v106, v6, v2, v3
.LBB366_864:                            ;   in Loop: Header=BB366_10 Depth=1
	s_or_b32 exec_lo, exec_lo, s17
.LBB366_865:                            ;   in Loop: Header=BB366_10 Depth=1
	s_delay_alu instid0(SALU_CYCLE_1)
	s_or_b32 exec_lo, exec_lo, s16
.LBB366_866:                            ;   in Loop: Header=BB366_10 Depth=1
	s_delay_alu instid0(SALU_CYCLE_1)
	s_or_b32 exec_lo, exec_lo, s15
	v_dual_mov_b32 v108, 0 :: v_dual_mov_b32 v107, 0
	s_mov_b32 s15, exec_lo
	v_cmpx_lt_u32_e32 0xffffff, v110
	s_cbranch_execz .LBB366_874
; %bb.867:                              ;   in Loop: Header=BB366_10 Depth=1
	v_lshrrev_b32_e32 v2, 24, v110
	v_bfrev_b32_e32 v107, 1
	s_mov_b32 s16, exec_lo
	s_delay_alu instid0(VALU_DEP_2)
	v_cmpx_ne_u32_e32 0x80, v2
	s_cbranch_execz .LBB366_873
; %bb.868:                              ;   in Loop: Header=BB366_10 Depth=1
	v_bfe_u32 v6, v110, 24, 7
	v_mov_b32_e32 v107, 0x7f800001
	s_mov_b32 s17, exec_lo
	s_delay_alu instid0(VALU_DEP_2)
	v_cmpx_ne_u32_e32 0x7f, v6
	s_cbranch_execz .LBB366_872
; %bb.869:                              ;   in Loop: Header=BB366_10 Depth=1
	v_and_b32_e32 v16, 7, v2
	v_lshrrev_b32_e32 v3, 3, v6
	s_mov_b32 s18, exec_lo
	v_cmpx_gt_u32_e32 8, v6
; %bb.870:                              ;   in Loop: Header=BB366_10 Depth=1
	s_delay_alu instid0(VALU_DEP_3) | instskip(NEXT) | instid1(VALU_DEP_1)
	v_clz_i32_u32_e32 v3, v16
	v_min_u32_e32 v3, 32, v3
	s_delay_alu instid0(VALU_DEP_1) | instskip(NEXT) | instid1(VALU_DEP_1)
	v_subrev_nc_u32_e32 v6, 28, v3
	v_lshlrev_b64_e32 v[6:7], v6, v[16:17]
	s_delay_alu instid0(VALU_DEP_1)
	v_dual_sub_nc_u32 v3, 29, v3 :: v_dual_bitop2_b32 v16, 7, v6 bitop3:0x40
; %bb.871:                              ;   in Loop: Header=BB366_10 Depth=1
	s_or_b32 exec_lo, exec_lo, s18
	s_delay_alu instid0(VALU_DEP_1) | instskip(NEXT) | instid1(VALU_DEP_2)
	v_dual_lshlrev_b32 v2, 24, v2 :: v_dual_lshlrev_b32 v6, 20, v16
	v_lshl_add_u32 v3, v3, 23, 0x3c000000
	s_delay_alu instid0(VALU_DEP_2) | instskip(NEXT) | instid1(VALU_DEP_1)
	v_and_b32_e32 v2, 0x80000000, v2
	v_or3_b32 v107, v6, v2, v3
.LBB366_872:                            ;   in Loop: Header=BB366_10 Depth=1
	s_or_b32 exec_lo, exec_lo, s17
.LBB366_873:                            ;   in Loop: Header=BB366_10 Depth=1
	s_delay_alu instid0(SALU_CYCLE_1)
	s_or_b32 exec_lo, exec_lo, s16
.LBB366_874:                            ;   in Loop: Header=BB366_10 Depth=1
	s_delay_alu instid0(SALU_CYCLE_1) | instskip(SKIP_3) | instid1(VALU_DEP_2)
	s_or_b32 exec_lo, exec_lo, s15
	v_and_b32_e32 v2, 0xff, v111
	v_mov_b32_e32 v16, v111
	s_mov_b32 s15, exec_lo
	v_cmpx_ne_u16_e32 0, v2
	s_cbranch_execz .LBB366_882
; %bb.875:                              ;   in Loop: Header=BB366_10 Depth=1
	v_bfrev_b32_e32 v108, 1
	s_mov_b32 s16, exec_lo
	v_cmpx_ne_u16_e32 0x80, v2
	s_cbranch_execz .LBB366_881
; %bb.876:                              ;   in Loop: Header=BB366_10 Depth=1
	v_and_b32_e32 v2, 0x7f, v111
	v_mov_b32_e32 v108, 0x7f800001
	s_mov_b32 s17, exec_lo
	s_delay_alu instid0(VALU_DEP_2)
	v_cmpx_ne_u32_e32 0x7f, v2
	s_cbranch_execz .LBB366_880
; %bb.877:                              ;   in Loop: Header=BB366_10 Depth=1
	v_lshrrev_b32_e32 v6, 3, v2
	v_cmp_gt_u32_e64 s1, 8, v2
	v_mov_b64_e32 v[2:3], v[16:17]
	s_and_saveexec_b32 s18, s1
; %bb.878:                              ;   in Loop: Header=BB366_10 Depth=1
	v_and_b32_e32 v2, 7, v111
	s_delay_alu instid0(VALU_DEP_1) | instskip(NEXT) | instid1(VALU_DEP_1)
	v_clz_i32_u32_e32 v2, v2
	v_min_u32_e32 v6, 32, v2
	s_delay_alu instid0(VALU_DEP_1) | instskip(SKIP_1) | instid1(VALU_DEP_2)
	v_subrev_nc_u32_e32 v2, 28, v6
	v_sub_nc_u32_e32 v6, 29, v6
	v_lshlrev_b64_e32 v[2:3], v2, v[16:17]
; %bb.879:                              ;   in Loop: Header=BB366_10 Depth=1
	s_or_b32 exec_lo, exec_lo, s18
	s_delay_alu instid0(VALU_DEP_1) | instskip(NEXT) | instid1(VALU_DEP_3)
	v_dual_lshlrev_b32 v2, 20, v2 :: v_dual_lshlrev_b32 v3, 24, v16
	v_lshl_add_u32 v6, v6, 23, 0x3c000000
	s_delay_alu instid0(VALU_DEP_2) | instskip(NEXT) | instid1(VALU_DEP_3)
	v_and_b32_e32 v2, 0x700000, v2
	v_and_b32_e32 v3, 0x80000000, v3
	s_delay_alu instid0(VALU_DEP_1)
	v_or3_b32 v108, v2, v3, v6
.LBB366_880:                            ;   in Loop: Header=BB366_10 Depth=1
	s_or_b32 exec_lo, exec_lo, s17
.LBB366_881:                            ;   in Loop: Header=BB366_10 Depth=1
	s_delay_alu instid0(SALU_CYCLE_1)
	s_or_b32 exec_lo, exec_lo, s16
.LBB366_882:                            ;   in Loop: Header=BB366_10 Depth=1
	s_delay_alu instid0(SALU_CYCLE_1) | instskip(SKIP_3) | instid1(VALU_DEP_2)
	s_or_b32 exec_lo, exec_lo, s15
	v_lshrrev_b16 v2, 8, v16
	v_dual_mov_b32 v120, 0 :: v_dual_mov_b32 v109, 0
	s_mov_b32 s15, exec_lo
	v_cmpx_ne_u16_e32 0, v2
	s_cbranch_execz .LBB366_890
; %bb.883:                              ;   in Loop: Header=BB366_10 Depth=1
	v_bfrev_b32_e32 v109, 1
	s_mov_b32 s16, exec_lo
	v_cmpx_ne_u16_e32 0x80, v2
	s_cbranch_execz .LBB366_889
; %bb.884:                              ;   in Loop: Header=BB366_10 Depth=1
	v_and_b32_e32 v2, 0xffff, v2
	v_mov_b32_e32 v109, 0x7f800001
	s_mov_b32 s17, exec_lo
	s_delay_alu instid0(VALU_DEP_2) | instskip(NEXT) | instid1(VALU_DEP_1)
	v_and_b32_e32 v7, 0x7f, v2
	v_cmpx_ne_u32_e32 0x7f, v7
	s_cbranch_execz .LBB366_888
; %bb.885:                              ;   in Loop: Header=BB366_10 Depth=1
	v_dual_mov_b32 v3, v17 :: v_dual_bitop2_b32 v2, 7, v2 bitop3:0x40
	v_lshrrev_b32_e32 v6, 3, v7
	s_mov_b32 s18, exec_lo
	v_cmpx_gt_u32_e32 8, v7
; %bb.886:                              ;   in Loop: Header=BB366_10 Depth=1
	s_delay_alu instid0(VALU_DEP_3) | instskip(NEXT) | instid1(VALU_DEP_1)
	v_clz_i32_u32_e32 v6, v2
	v_min_u32_e32 v6, 32, v6
	s_delay_alu instid0(VALU_DEP_1) | instskip(SKIP_1) | instid1(VALU_DEP_2)
	v_subrev_nc_u32_e32 v7, 28, v6
	v_sub_nc_u32_e32 v6, 29, v6
	v_lshlrev_b64_e32 v[2:3], v7, v[2:3]
	s_delay_alu instid0(VALU_DEP_1)
	v_and_b32_e32 v2, 7, v2
; %bb.887:                              ;   in Loop: Header=BB366_10 Depth=1
	s_or_b32 exec_lo, exec_lo, s18
	s_delay_alu instid0(VALU_DEP_1) | instskip(SKIP_1) | instid1(VALU_DEP_2)
	v_dual_lshlrev_b32 v3, 16, v16 :: v_dual_lshlrev_b32 v2, 20, v2
	v_lshl_add_u32 v6, v6, 23, 0x3c000000
	v_and_b32_e32 v3, 0x80000000, v3
	s_delay_alu instid0(VALU_DEP_1)
	v_or3_b32 v109, v2, v3, v6
.LBB366_888:                            ;   in Loop: Header=BB366_10 Depth=1
	s_or_b32 exec_lo, exec_lo, s17
.LBB366_889:                            ;   in Loop: Header=BB366_10 Depth=1
	s_delay_alu instid0(SALU_CYCLE_1)
	s_or_b32 exec_lo, exec_lo, s16
.LBB366_890:                            ;   in Loop: Header=BB366_10 Depth=1
	s_delay_alu instid0(SALU_CYCLE_1) | instskip(SKIP_2) | instid1(VALU_DEP_1)
	s_or_b32 exec_lo, exec_lo, s15
	v_lshrrev_b32_e32 v2, 16, v111
	s_mov_b32 s15, exec_lo
	v_and_b32_e32 v3, 0xff, v2
	s_delay_alu instid0(VALU_DEP_1)
	v_cmpx_ne_u16_e32 0, v3
	s_cbranch_execz .LBB366_898
; %bb.891:                              ;   in Loop: Header=BB366_10 Depth=1
	v_bfrev_b32_e32 v120, 1
	s_mov_b32 s16, exec_lo
	v_cmpx_ne_u16_e32 0x80, v3
	s_cbranch_execz .LBB366_897
; %bb.892:                              ;   in Loop: Header=BB366_10 Depth=1
	v_bfe_u32 v6, v111, 16, 7
	v_mov_b32_e32 v120, 0x7f800001
	s_mov_b32 s17, exec_lo
	s_delay_alu instid0(VALU_DEP_2)
	v_cmpx_ne_u32_e32 0x7f, v6
	s_cbranch_execz .LBB366_896
; %bb.893:                              ;   in Loop: Header=BB366_10 Depth=1
	v_and_b32_e32 v16, 7, v2
	v_lshrrev_b32_e32 v3, 3, v6
	s_mov_b32 s18, exec_lo
	v_cmpx_gt_u32_e32 8, v6
; %bb.894:                              ;   in Loop: Header=BB366_10 Depth=1
	s_delay_alu instid0(VALU_DEP_3) | instskip(NEXT) | instid1(VALU_DEP_1)
	v_clz_i32_u32_e32 v3, v16
	v_min_u32_e32 v3, 32, v3
	s_delay_alu instid0(VALU_DEP_1) | instskip(NEXT) | instid1(VALU_DEP_1)
	v_subrev_nc_u32_e32 v6, 28, v3
	v_lshlrev_b64_e32 v[6:7], v6, v[16:17]
	s_delay_alu instid0(VALU_DEP_1)
	v_dual_sub_nc_u32 v3, 29, v3 :: v_dual_bitop2_b32 v16, 7, v6 bitop3:0x40
; %bb.895:                              ;   in Loop: Header=BB366_10 Depth=1
	s_or_b32 exec_lo, exec_lo, s18
	s_delay_alu instid0(VALU_DEP_1) | instskip(NEXT) | instid1(VALU_DEP_2)
	v_dual_lshlrev_b32 v2, 24, v2 :: v_dual_lshlrev_b32 v6, 20, v16
	v_lshl_add_u32 v3, v3, 23, 0x3c000000
	s_delay_alu instid0(VALU_DEP_2) | instskip(NEXT) | instid1(VALU_DEP_1)
	v_and_b32_e32 v2, 0x80000000, v2
	v_or3_b32 v120, v6, v2, v3
.LBB366_896:                            ;   in Loop: Header=BB366_10 Depth=1
	s_or_b32 exec_lo, exec_lo, s17
.LBB366_897:                            ;   in Loop: Header=BB366_10 Depth=1
	s_delay_alu instid0(SALU_CYCLE_1)
	s_or_b32 exec_lo, exec_lo, s16
.LBB366_898:                            ;   in Loop: Header=BB366_10 Depth=1
	s_delay_alu instid0(SALU_CYCLE_1)
	s_or_b32 exec_lo, exec_lo, s15
	v_cmp_lt_u64_e64 s1, s[2:3], v[110:111]
	v_dual_mov_b32 v110, 0 :: v_dual_mov_b32 v121, 0
	s_and_saveexec_b32 s15, s1
	s_cbranch_execz .LBB366_906
; %bb.899:                              ;   in Loop: Header=BB366_10 Depth=1
	v_lshrrev_b32_e32 v2, 24, v111
	v_bfrev_b32_e32 v121, 1
	s_mov_b32 s16, exec_lo
	s_delay_alu instid0(VALU_DEP_2)
	v_cmpx_ne_u32_e32 0x80, v2
	s_cbranch_execz .LBB366_905
; %bb.900:                              ;   in Loop: Header=BB366_10 Depth=1
	v_bfe_u32 v6, v111, 24, 7
	v_mov_b32_e32 v121, 0x7f800001
	s_mov_b32 s17, exec_lo
	s_delay_alu instid0(VALU_DEP_2)
	v_cmpx_ne_u32_e32 0x7f, v6
	s_cbranch_execz .LBB366_904
; %bb.901:                              ;   in Loop: Header=BB366_10 Depth=1
	v_and_b32_e32 v16, 7, v2
	v_lshrrev_b32_e32 v3, 3, v6
	s_mov_b32 s18, exec_lo
	v_cmpx_gt_u32_e32 8, v6
; %bb.902:                              ;   in Loop: Header=BB366_10 Depth=1
	s_delay_alu instid0(VALU_DEP_3) | instskip(NEXT) | instid1(VALU_DEP_1)
	v_clz_i32_u32_e32 v3, v16
	v_min_u32_e32 v3, 32, v3
	s_delay_alu instid0(VALU_DEP_1) | instskip(NEXT) | instid1(VALU_DEP_1)
	v_subrev_nc_u32_e32 v6, 28, v3
	v_lshlrev_b64_e32 v[6:7], v6, v[16:17]
	s_delay_alu instid0(VALU_DEP_1)
	v_dual_sub_nc_u32 v3, 29, v3 :: v_dual_bitop2_b32 v16, 7, v6 bitop3:0x40
; %bb.903:                              ;   in Loop: Header=BB366_10 Depth=1
	s_or_b32 exec_lo, exec_lo, s18
	s_delay_alu instid0(VALU_DEP_1) | instskip(NEXT) | instid1(VALU_DEP_2)
	v_dual_lshlrev_b32 v2, 24, v2 :: v_dual_lshlrev_b32 v6, 20, v16
	v_lshl_add_u32 v3, v3, 23, 0x3c000000
	s_delay_alu instid0(VALU_DEP_2) | instskip(NEXT) | instid1(VALU_DEP_1)
	v_and_b32_e32 v2, 0x80000000, v2
	v_or3_b32 v121, v6, v2, v3
.LBB366_904:                            ;   in Loop: Header=BB366_10 Depth=1
	s_or_b32 exec_lo, exec_lo, s17
.LBB366_905:                            ;   in Loop: Header=BB366_10 Depth=1
	s_delay_alu instid0(SALU_CYCLE_1)
	s_or_b32 exec_lo, exec_lo, s16
.LBB366_906:                            ;   in Loop: Header=BB366_10 Depth=1
	s_delay_alu instid0(SALU_CYCLE_1)
	s_or_b32 exec_lo, exec_lo, s15
	flat_load_b64 v[124:125], v[54:55] offset:3584
	s_mov_b32 s15, exec_lo
	s_wait_loadcnt_dscnt 0x0
	v_and_b32_e32 v2, 0xff, v124
	s_wait_xcnt 0x0
	s_delay_alu instid0(VALU_DEP_1)
	v_cmpx_ne_u16_e32 0, v2
	s_cbranch_execz .LBB366_914
; %bb.907:                              ;   in Loop: Header=BB366_10 Depth=1
	v_bfrev_b32_e32 v110, 1
	s_mov_b32 s16, exec_lo
	v_cmpx_ne_u16_e32 0x80, v2
	s_cbranch_execz .LBB366_913
; %bb.908:                              ;   in Loop: Header=BB366_10 Depth=1
	v_and_b32_e32 v2, 0x7f, v124
	v_mov_b32_e32 v110, 0x7f800001
	s_mov_b32 s17, exec_lo
	s_delay_alu instid0(VALU_DEP_2)
	v_cmpx_ne_u32_e32 0x7f, v2
	s_cbranch_execz .LBB366_912
; %bb.909:                              ;   in Loop: Header=BB366_10 Depth=1
	v_lshrrev_b32_e32 v6, 3, v2
	v_cmp_gt_u32_e64 s1, 8, v2
	v_mov_b64_e32 v[2:3], v[124:125]
	s_and_saveexec_b32 s18, s1
; %bb.910:                              ;   in Loop: Header=BB366_10 Depth=1
	v_and_b32_e32 v2, 7, v124
	s_delay_alu instid0(VALU_DEP_1) | instskip(NEXT) | instid1(VALU_DEP_1)
	v_clz_i32_u32_e32 v2, v2
	v_min_u32_e32 v6, 32, v2
	s_delay_alu instid0(VALU_DEP_1) | instskip(SKIP_1) | instid1(VALU_DEP_2)
	v_subrev_nc_u32_e32 v2, 28, v6
	v_sub_nc_u32_e32 v6, 29, v6
	v_lshlrev_b64_e32 v[2:3], v2, v[124:125]
; %bb.911:                              ;   in Loop: Header=BB366_10 Depth=1
	s_or_b32 exec_lo, exec_lo, s18
	s_delay_alu instid0(VALU_DEP_1) | instskip(NEXT) | instid1(VALU_DEP_3)
	v_dual_lshlrev_b32 v2, 20, v2 :: v_dual_lshlrev_b32 v3, 24, v124
	v_lshl_add_u32 v6, v6, 23, 0x3c000000
	s_delay_alu instid0(VALU_DEP_2) | instskip(NEXT) | instid1(VALU_DEP_3)
	v_and_b32_e32 v2, 0x700000, v2
	v_and_b32_e32 v3, 0x80000000, v3
	s_delay_alu instid0(VALU_DEP_1)
	v_or3_b32 v110, v2, v3, v6
.LBB366_912:                            ;   in Loop: Header=BB366_10 Depth=1
	s_or_b32 exec_lo, exec_lo, s17
.LBB366_913:                            ;   in Loop: Header=BB366_10 Depth=1
	s_delay_alu instid0(SALU_CYCLE_1)
	s_or_b32 exec_lo, exec_lo, s16
.LBB366_914:                            ;   in Loop: Header=BB366_10 Depth=1
	s_delay_alu instid0(SALU_CYCLE_1) | instskip(SKIP_3) | instid1(VALU_DEP_2)
	s_or_b32 exec_lo, exec_lo, s15
	v_lshrrev_b16 v2, 8, v124
	v_dual_mov_b32 v54, 0 :: v_dual_mov_b32 v111, 0
	s_mov_b32 s15, exec_lo
	v_cmpx_ne_u16_e32 0, v2
	s_cbranch_execz .LBB366_922
; %bb.915:                              ;   in Loop: Header=BB366_10 Depth=1
	v_bfrev_b32_e32 v111, 1
	s_mov_b32 s16, exec_lo
	v_cmpx_ne_u16_e32 0x80, v2
	s_cbranch_execz .LBB366_921
; %bb.916:                              ;   in Loop: Header=BB366_10 Depth=1
	v_and_b32_e32 v2, 0xffff, v2
	v_mov_b32_e32 v111, 0x7f800001
	s_mov_b32 s17, exec_lo
	s_delay_alu instid0(VALU_DEP_2) | instskip(NEXT) | instid1(VALU_DEP_1)
	v_and_b32_e32 v3, 0x7f, v2
	v_cmpx_ne_u32_e32 0x7f, v3
	s_cbranch_execz .LBB366_920
; %bb.917:                              ;   in Loop: Header=BB366_10 Depth=1
	v_dual_lshrrev_b32 v2, 3, v3 :: v_dual_bitop2_b32 v16, 7, v2 bitop3:0x40
	s_mov_b32 s18, exec_lo
	v_cmpx_gt_u32_e32 8, v3
; %bb.918:                              ;   in Loop: Header=BB366_10 Depth=1
	s_delay_alu instid0(VALU_DEP_2) | instskip(NEXT) | instid1(VALU_DEP_1)
	v_clz_i32_u32_e32 v2, v16
	v_min_u32_e32 v2, 32, v2
	s_delay_alu instid0(VALU_DEP_1) | instskip(SKIP_1) | instid1(VALU_DEP_2)
	v_subrev_nc_u32_e32 v3, 28, v2
	v_sub_nc_u32_e32 v2, 29, v2
	v_lshlrev_b64_e32 v[6:7], v3, v[16:17]
	s_delay_alu instid0(VALU_DEP_1)
	v_and_b32_e32 v16, 7, v6
; %bb.919:                              ;   in Loop: Header=BB366_10 Depth=1
	s_or_b32 exec_lo, exec_lo, s18
	v_lshlrev_b32_e32 v3, 16, v124
	s_delay_alu instid0(VALU_DEP_2) | instskip(SKIP_1) | instid1(VALU_DEP_3)
	v_lshlrev_b32_e32 v6, 20, v16
	v_lshl_add_u32 v2, v2, 23, 0x3c000000
	v_and_b32_e32 v3, 0x80000000, v3
	s_delay_alu instid0(VALU_DEP_1)
	v_or3_b32 v111, v6, v3, v2
.LBB366_920:                            ;   in Loop: Header=BB366_10 Depth=1
	s_or_b32 exec_lo, exec_lo, s17
.LBB366_921:                            ;   in Loop: Header=BB366_10 Depth=1
	s_delay_alu instid0(SALU_CYCLE_1)
	s_or_b32 exec_lo, exec_lo, s16
.LBB366_922:                            ;   in Loop: Header=BB366_10 Depth=1
	s_delay_alu instid0(SALU_CYCLE_1) | instskip(SKIP_2) | instid1(VALU_DEP_1)
	s_or_b32 exec_lo, exec_lo, s15
	v_lshrrev_b32_e32 v2, 16, v124
	s_mov_b32 s15, exec_lo
	v_and_b32_e32 v3, 0xff, v2
	s_delay_alu instid0(VALU_DEP_1)
	v_cmpx_ne_u16_e32 0, v3
	s_cbranch_execz .LBB366_930
; %bb.923:                              ;   in Loop: Header=BB366_10 Depth=1
	v_bfrev_b32_e32 v54, 1
	s_mov_b32 s16, exec_lo
	v_cmpx_ne_u16_e32 0x80, v3
	s_cbranch_execz .LBB366_929
; %bb.924:                              ;   in Loop: Header=BB366_10 Depth=1
	v_bfe_u32 v6, v124, 16, 7
	v_mov_b32_e32 v54, 0x7f800001
	s_mov_b32 s17, exec_lo
	s_delay_alu instid0(VALU_DEP_2)
	v_cmpx_ne_u32_e32 0x7f, v6
	s_cbranch_execz .LBB366_928
; %bb.925:                              ;   in Loop: Header=BB366_10 Depth=1
	v_and_b32_e32 v16, 7, v2
	v_lshrrev_b32_e32 v3, 3, v6
	s_mov_b32 s18, exec_lo
	v_cmpx_gt_u32_e32 8, v6
; %bb.926:                              ;   in Loop: Header=BB366_10 Depth=1
	s_delay_alu instid0(VALU_DEP_3) | instskip(NEXT) | instid1(VALU_DEP_1)
	v_clz_i32_u32_e32 v3, v16
	v_min_u32_e32 v3, 32, v3
	s_delay_alu instid0(VALU_DEP_1) | instskip(NEXT) | instid1(VALU_DEP_1)
	v_subrev_nc_u32_e32 v6, 28, v3
	v_lshlrev_b64_e32 v[6:7], v6, v[16:17]
	s_delay_alu instid0(VALU_DEP_1)
	v_dual_sub_nc_u32 v3, 29, v3 :: v_dual_bitop2_b32 v16, 7, v6 bitop3:0x40
; %bb.927:                              ;   in Loop: Header=BB366_10 Depth=1
	s_or_b32 exec_lo, exec_lo, s18
	s_delay_alu instid0(VALU_DEP_1) | instskip(NEXT) | instid1(VALU_DEP_2)
	v_dual_lshlrev_b32 v2, 24, v2 :: v_dual_lshlrev_b32 v6, 20, v16
	v_lshl_add_u32 v3, v3, 23, 0x3c000000
	s_delay_alu instid0(VALU_DEP_2) | instskip(NEXT) | instid1(VALU_DEP_1)
	v_and_b32_e32 v2, 0x80000000, v2
	v_or3_b32 v54, v6, v2, v3
.LBB366_928:                            ;   in Loop: Header=BB366_10 Depth=1
	s_or_b32 exec_lo, exec_lo, s17
.LBB366_929:                            ;   in Loop: Header=BB366_10 Depth=1
	s_delay_alu instid0(SALU_CYCLE_1)
	s_or_b32 exec_lo, exec_lo, s16
.LBB366_930:                            ;   in Loop: Header=BB366_10 Depth=1
	s_delay_alu instid0(SALU_CYCLE_1)
	s_or_b32 exec_lo, exec_lo, s15
	v_dual_mov_b32 v122, 0 :: v_dual_mov_b32 v55, 0
	s_mov_b32 s15, exec_lo
	v_cmpx_lt_u32_e32 0xffffff, v124
	s_cbranch_execz .LBB366_938
; %bb.931:                              ;   in Loop: Header=BB366_10 Depth=1
	v_lshrrev_b32_e32 v2, 24, v124
	v_bfrev_b32_e32 v55, 1
	s_mov_b32 s16, exec_lo
	s_delay_alu instid0(VALU_DEP_2)
	v_cmpx_ne_u32_e32 0x80, v2
	s_cbranch_execz .LBB366_937
; %bb.932:                              ;   in Loop: Header=BB366_10 Depth=1
	v_bfe_u32 v6, v124, 24, 7
	v_mov_b32_e32 v55, 0x7f800001
	s_mov_b32 s17, exec_lo
	s_delay_alu instid0(VALU_DEP_2)
	v_cmpx_ne_u32_e32 0x7f, v6
	s_cbranch_execz .LBB366_936
; %bb.933:                              ;   in Loop: Header=BB366_10 Depth=1
	v_and_b32_e32 v16, 7, v2
	v_lshrrev_b32_e32 v3, 3, v6
	s_mov_b32 s18, exec_lo
	v_cmpx_gt_u32_e32 8, v6
; %bb.934:                              ;   in Loop: Header=BB366_10 Depth=1
	s_delay_alu instid0(VALU_DEP_3) | instskip(NEXT) | instid1(VALU_DEP_1)
	v_clz_i32_u32_e32 v3, v16
	v_min_u32_e32 v3, 32, v3
	s_delay_alu instid0(VALU_DEP_1) | instskip(NEXT) | instid1(VALU_DEP_1)
	v_subrev_nc_u32_e32 v6, 28, v3
	v_lshlrev_b64_e32 v[6:7], v6, v[16:17]
	s_delay_alu instid0(VALU_DEP_1)
	v_dual_sub_nc_u32 v3, 29, v3 :: v_dual_bitop2_b32 v16, 7, v6 bitop3:0x40
; %bb.935:                              ;   in Loop: Header=BB366_10 Depth=1
	s_or_b32 exec_lo, exec_lo, s18
	s_delay_alu instid0(VALU_DEP_1) | instskip(NEXT) | instid1(VALU_DEP_2)
	v_dual_lshlrev_b32 v2, 24, v2 :: v_dual_lshlrev_b32 v6, 20, v16
	v_lshl_add_u32 v3, v3, 23, 0x3c000000
	s_delay_alu instid0(VALU_DEP_2) | instskip(NEXT) | instid1(VALU_DEP_1)
	v_and_b32_e32 v2, 0x80000000, v2
	v_or3_b32 v55, v6, v2, v3
.LBB366_936:                            ;   in Loop: Header=BB366_10 Depth=1
	s_or_b32 exec_lo, exec_lo, s17
.LBB366_937:                            ;   in Loop: Header=BB366_10 Depth=1
	s_delay_alu instid0(SALU_CYCLE_1)
	s_or_b32 exec_lo, exec_lo, s16
.LBB366_938:                            ;   in Loop: Header=BB366_10 Depth=1
	s_delay_alu instid0(SALU_CYCLE_1) | instskip(SKIP_3) | instid1(VALU_DEP_2)
	s_or_b32 exec_lo, exec_lo, s15
	v_and_b32_e32 v2, 0xff, v125
	v_mov_b32_e32 v16, v125
	s_mov_b32 s15, exec_lo
	v_cmpx_ne_u16_e32 0, v2
	s_cbranch_execz .LBB366_946
; %bb.939:                              ;   in Loop: Header=BB366_10 Depth=1
	v_bfrev_b32_e32 v122, 1
	s_mov_b32 s16, exec_lo
	v_cmpx_ne_u16_e32 0x80, v2
	s_cbranch_execz .LBB366_945
; %bb.940:                              ;   in Loop: Header=BB366_10 Depth=1
	v_and_b32_e32 v2, 0x7f, v125
	v_mov_b32_e32 v122, 0x7f800001
	s_mov_b32 s17, exec_lo
	s_delay_alu instid0(VALU_DEP_2)
	v_cmpx_ne_u32_e32 0x7f, v2
	s_cbranch_execz .LBB366_944
; %bb.941:                              ;   in Loop: Header=BB366_10 Depth=1
	v_lshrrev_b32_e32 v6, 3, v2
	v_cmp_gt_u32_e64 s1, 8, v2
	v_mov_b64_e32 v[2:3], v[16:17]
	s_and_saveexec_b32 s18, s1
; %bb.942:                              ;   in Loop: Header=BB366_10 Depth=1
	v_and_b32_e32 v2, 7, v125
	s_delay_alu instid0(VALU_DEP_1) | instskip(NEXT) | instid1(VALU_DEP_1)
	v_clz_i32_u32_e32 v2, v2
	v_min_u32_e32 v6, 32, v2
	s_delay_alu instid0(VALU_DEP_1) | instskip(SKIP_1) | instid1(VALU_DEP_2)
	v_subrev_nc_u32_e32 v2, 28, v6
	v_sub_nc_u32_e32 v6, 29, v6
	v_lshlrev_b64_e32 v[2:3], v2, v[16:17]
; %bb.943:                              ;   in Loop: Header=BB366_10 Depth=1
	s_or_b32 exec_lo, exec_lo, s18
	s_delay_alu instid0(VALU_DEP_1) | instskip(NEXT) | instid1(VALU_DEP_3)
	v_dual_lshlrev_b32 v2, 20, v2 :: v_dual_lshlrev_b32 v3, 24, v16
	v_lshl_add_u32 v6, v6, 23, 0x3c000000
	s_delay_alu instid0(VALU_DEP_2) | instskip(NEXT) | instid1(VALU_DEP_3)
	v_and_b32_e32 v2, 0x700000, v2
	v_and_b32_e32 v3, 0x80000000, v3
	s_delay_alu instid0(VALU_DEP_1)
	v_or3_b32 v122, v2, v3, v6
.LBB366_944:                            ;   in Loop: Header=BB366_10 Depth=1
	s_or_b32 exec_lo, exec_lo, s17
.LBB366_945:                            ;   in Loop: Header=BB366_10 Depth=1
	s_delay_alu instid0(SALU_CYCLE_1)
	s_or_b32 exec_lo, exec_lo, s16
.LBB366_946:                            ;   in Loop: Header=BB366_10 Depth=1
	s_delay_alu instid0(SALU_CYCLE_1) | instskip(SKIP_3) | instid1(VALU_DEP_2)
	s_or_b32 exec_lo, exec_lo, s15
	v_lshrrev_b16 v2, 8, v16
	v_dual_mov_b32 v126, 0 :: v_dual_mov_b32 v123, 0
	s_mov_b32 s15, exec_lo
	v_cmpx_ne_u16_e32 0, v2
	s_cbranch_execz .LBB366_954
; %bb.947:                              ;   in Loop: Header=BB366_10 Depth=1
	v_bfrev_b32_e32 v123, 1
	s_mov_b32 s16, exec_lo
	v_cmpx_ne_u16_e32 0x80, v2
	s_cbranch_execz .LBB366_953
; %bb.948:                              ;   in Loop: Header=BB366_10 Depth=1
	v_and_b32_e32 v2, 0xffff, v2
	v_mov_b32_e32 v123, 0x7f800001
	s_mov_b32 s17, exec_lo
	s_delay_alu instid0(VALU_DEP_2) | instskip(NEXT) | instid1(VALU_DEP_1)
	v_and_b32_e32 v7, 0x7f, v2
	v_cmpx_ne_u32_e32 0x7f, v7
	s_cbranch_execz .LBB366_952
; %bb.949:                              ;   in Loop: Header=BB366_10 Depth=1
	v_dual_mov_b32 v3, v17 :: v_dual_bitop2_b32 v2, 7, v2 bitop3:0x40
	v_lshrrev_b32_e32 v6, 3, v7
	s_mov_b32 s18, exec_lo
	v_cmpx_gt_u32_e32 8, v7
; %bb.950:                              ;   in Loop: Header=BB366_10 Depth=1
	s_delay_alu instid0(VALU_DEP_3) | instskip(NEXT) | instid1(VALU_DEP_1)
	v_clz_i32_u32_e32 v6, v2
	v_min_u32_e32 v6, 32, v6
	s_delay_alu instid0(VALU_DEP_1) | instskip(SKIP_1) | instid1(VALU_DEP_2)
	v_subrev_nc_u32_e32 v7, 28, v6
	v_sub_nc_u32_e32 v6, 29, v6
	v_lshlrev_b64_e32 v[2:3], v7, v[2:3]
	s_delay_alu instid0(VALU_DEP_1)
	v_and_b32_e32 v2, 7, v2
; %bb.951:                              ;   in Loop: Header=BB366_10 Depth=1
	s_or_b32 exec_lo, exec_lo, s18
	s_delay_alu instid0(VALU_DEP_1) | instskip(SKIP_1) | instid1(VALU_DEP_2)
	v_dual_lshlrev_b32 v3, 16, v16 :: v_dual_lshlrev_b32 v2, 20, v2
	v_lshl_add_u32 v6, v6, 23, 0x3c000000
	v_and_b32_e32 v3, 0x80000000, v3
	s_delay_alu instid0(VALU_DEP_1)
	v_or3_b32 v123, v2, v3, v6
.LBB366_952:                            ;   in Loop: Header=BB366_10 Depth=1
	s_or_b32 exec_lo, exec_lo, s17
.LBB366_953:                            ;   in Loop: Header=BB366_10 Depth=1
	s_delay_alu instid0(SALU_CYCLE_1)
	s_or_b32 exec_lo, exec_lo, s16
.LBB366_954:                            ;   in Loop: Header=BB366_10 Depth=1
	s_delay_alu instid0(SALU_CYCLE_1) | instskip(SKIP_2) | instid1(VALU_DEP_1)
	s_or_b32 exec_lo, exec_lo, s15
	v_lshrrev_b32_e32 v2, 16, v125
	s_mov_b32 s15, exec_lo
	v_and_b32_e32 v3, 0xff, v2
	s_delay_alu instid0(VALU_DEP_1)
	v_cmpx_ne_u16_e32 0, v3
	s_cbranch_execz .LBB366_962
; %bb.955:                              ;   in Loop: Header=BB366_10 Depth=1
	v_bfrev_b32_e32 v126, 1
	s_mov_b32 s16, exec_lo
	v_cmpx_ne_u16_e32 0x80, v3
	s_cbranch_execz .LBB366_961
; %bb.956:                              ;   in Loop: Header=BB366_10 Depth=1
	v_bfe_u32 v6, v125, 16, 7
	v_mov_b32_e32 v126, 0x7f800001
	s_mov_b32 s17, exec_lo
	s_delay_alu instid0(VALU_DEP_2)
	v_cmpx_ne_u32_e32 0x7f, v6
	s_cbranch_execz .LBB366_960
; %bb.957:                              ;   in Loop: Header=BB366_10 Depth=1
	v_and_b32_e32 v16, 7, v2
	v_lshrrev_b32_e32 v3, 3, v6
	s_mov_b32 s18, exec_lo
	v_cmpx_gt_u32_e32 8, v6
; %bb.958:                              ;   in Loop: Header=BB366_10 Depth=1
	s_delay_alu instid0(VALU_DEP_3) | instskip(NEXT) | instid1(VALU_DEP_1)
	v_clz_i32_u32_e32 v3, v16
	v_min_u32_e32 v3, 32, v3
	s_delay_alu instid0(VALU_DEP_1) | instskip(NEXT) | instid1(VALU_DEP_1)
	v_subrev_nc_u32_e32 v6, 28, v3
	v_lshlrev_b64_e32 v[6:7], v6, v[16:17]
	s_delay_alu instid0(VALU_DEP_1)
	v_dual_sub_nc_u32 v3, 29, v3 :: v_dual_bitop2_b32 v16, 7, v6 bitop3:0x40
; %bb.959:                              ;   in Loop: Header=BB366_10 Depth=1
	s_or_b32 exec_lo, exec_lo, s18
	s_delay_alu instid0(VALU_DEP_1) | instskip(NEXT) | instid1(VALU_DEP_2)
	v_dual_lshlrev_b32 v2, 24, v2 :: v_dual_lshlrev_b32 v6, 20, v16
	v_lshl_add_u32 v3, v3, 23, 0x3c000000
	s_delay_alu instid0(VALU_DEP_2) | instskip(NEXT) | instid1(VALU_DEP_1)
	v_and_b32_e32 v2, 0x80000000, v2
	v_or3_b32 v126, v6, v2, v3
.LBB366_960:                            ;   in Loop: Header=BB366_10 Depth=1
	s_or_b32 exec_lo, exec_lo, s17
.LBB366_961:                            ;   in Loop: Header=BB366_10 Depth=1
	s_delay_alu instid0(SALU_CYCLE_1)
	s_or_b32 exec_lo, exec_lo, s16
.LBB366_962:                            ;   in Loop: Header=BB366_10 Depth=1
	s_delay_alu instid0(SALU_CYCLE_1)
	s_or_b32 exec_lo, exec_lo, s15
	v_mov_b32_e32 v127, 0
	scratch_store_b32 off, v10, s32 offset:228 ; 4-byte Folded Spill
	v_cmp_lt_u64_e64 s1, s[2:3], v[124:125]
	s_wait_xcnt 0x0
	s_mov_b32 s15, exec_lo
	v_dual_mov_b32 v34, v26 :: v_dual_mov_b32 v18, v27
	v_mov_b32_e32 v23, v35
	s_and_b32 s1, s15, s1
	s_delay_alu instid0(SALU_CYCLE_1)
	s_mov_b32 exec_lo, s1
	s_cbranch_execz .LBB366_9
; %bb.963:                              ;   in Loop: Header=BB366_10 Depth=1
	v_lshrrev_b32_e32 v2, 24, v125
	v_bfrev_b32_e32 v127, 1
	s_mov_b32 s16, exec_lo
	s_delay_alu instid0(VALU_DEP_2)
	v_cmpx_ne_u32_e32 0x80, v2
	s_cbranch_execz .LBB366_8
; %bb.964:                              ;   in Loop: Header=BB366_10 Depth=1
	v_bfe_u32 v6, v125, 24, 7
	v_mov_b32_e32 v127, 0x7f800001
	s_mov_b32 s17, exec_lo
	s_delay_alu instid0(VALU_DEP_2)
	v_cmpx_ne_u32_e32 0x7f, v6
	s_cbranch_execz .LBB366_7
; %bb.965:                              ;   in Loop: Header=BB366_10 Depth=1
	v_and_b32_e32 v16, 7, v2
	v_lshrrev_b32_e32 v3, 3, v6
	s_mov_b32 s18, exec_lo
	v_cmpx_gt_u32_e32 8, v6
	s_cbranch_execz .LBB366_6
; %bb.966:                              ;   in Loop: Header=BB366_10 Depth=1
	v_clz_i32_u32_e32 v3, v16
	s_delay_alu instid0(VALU_DEP_1) | instskip(NEXT) | instid1(VALU_DEP_1)
	v_min_u32_e32 v3, 32, v3
	v_subrev_nc_u32_e32 v6, 28, v3
	s_delay_alu instid0(VALU_DEP_1) | instskip(NEXT) | instid1(VALU_DEP_1)
	v_lshlrev_b64_e32 v[6:7], v6, v[16:17]
	v_dual_sub_nc_u32 v3, 29, v3 :: v_dual_bitop2_b32 v16, 7, v6 bitop3:0x40
	s_branch .LBB366_6
.LBB366_967:
	s_or_b32 exec_lo, exec_lo, s7
	s_clause 0x2
	scratch_load_b32 v24, off, s32 offset:796
	scratch_load_b32 v22, off, s32 offset:852
	;; [unrolled: 1-line block ×3, first 2 shown]
.LBB366_968:
	s_wait_xcnt 0x0
	s_or_b32 exec_lo, exec_lo, s14
	v_mbcnt_lo_u32_b32 v2, -1, 0
	v_max_num_f32_e32 v4, v10, v10
	s_delay_alu instid0(VALU_DEP_2) | instskip(SKIP_1) | instid1(VALU_DEP_1)
	v_xor_b32_e32 v3, 8, v2
	v_xor_b32_e32 v0, 16, v2
	v_cmp_gt_i32_e32 vcc_lo, 32, v0
	v_cndmask_b32_e32 v0, v2, v0, vcc_lo
	s_delay_alu instid0(VALU_DEP_1) | instskip(SKIP_3) | instid1(VALU_DEP_1)
	v_lshlrev_b32_e32 v0, 2, v0
	ds_bpermute_b32 v1, v0, v10
	s_wait_dscnt 0x0
	v_max_num_f32_e32 v5, v1, v1
	v_max_num_f32_e32 v4, v4, v5
	v_cmp_gt_i32_e32 vcc_lo, 32, v3
	v_dual_cndmask_b32 v3, v2, v3, vcc_lo :: v_dual_bitop2_b32 v5, 4, v2 bitop3:0x14
	s_delay_alu instid0(VALU_DEP_1) | instskip(NEXT) | instid1(VALU_DEP_2)
	v_cmp_gt_i32_e32 vcc_lo, 32, v5
	v_lshlrev_b32_e32 v1, 2, v3
	ds_bpermute_b32 v3, v1, v4
	s_wait_dscnt 0x0
	v_dual_cndmask_b32 v5, v2, v5 :: v_dual_max_num_f32 v6, v3, v3
	s_delay_alu instid0(VALU_DEP_1) | instskip(SKIP_3) | instid1(VALU_DEP_1)
	v_dual_max_num_f32 v4, v4, v6 :: v_dual_lshlrev_b32 v3, 2, v5
	ds_bpermute_b32 v5, v3, v4
	s_wait_dscnt 0x0
	v_dual_max_num_f32 v5, v5, v5 :: v_dual_bitop2_b32 v6, 2, v2 bitop3:0x14
	v_cmp_gt_i32_e32 vcc_lo, 32, v6
	s_delay_alu instid0(VALU_DEP_2) | instskip(NEXT) | instid1(VALU_DEP_1)
	v_dual_max_num_f32 v4, v4, v5 :: v_dual_cndmask_b32 v6, v2, v6, vcc_lo
	v_lshlrev_b32_e32 v30, 2, v6
	ds_bpermute_b32 v5, v30, v4
	s_wait_dscnt 0x0
	v_dual_max_num_f32 v5, v5, v5 :: v_dual_bitop2_b32 v6, 1, v2 bitop3:0x14
	s_delay_alu instid0(VALU_DEP_1) | instskip(NEXT) | instid1(VALU_DEP_2)
	v_cmp_gt_i32_e32 vcc_lo, 32, v6
	v_dual_cndmask_b32 v6, v2, v6, vcc_lo :: v_dual_max_num_f32 v2, v4, v5
	scratch_load_b32 v4, off, s32 offset:788 ; 4-byte Folded Reload
	s_wait_loadcnt 0x0
	v_cmp_eq_u32_e32 vcc_lo, 0, v4
	scratch_load_b32 v4, off, s32 offset:792 ; 4-byte Folded Reload
	s_wait_loadcnt 0x0
	v_dual_lshlrev_b32 v4, 2, v4 :: v_dual_lshlrev_b32 v38, 2, v6
	ds_bpermute_b32 v5, v38, v2
	s_wait_xcnt 0x0
	s_and_saveexec_b32 s1, vcc_lo
	s_cbranch_execz .LBB366_970
; %bb.969:
	s_wait_dscnt 0x0
	v_dual_max_num_f32 v5, v5, v5 :: v_dual_max_num_f32 v2, v2, v2
	s_delay_alu instid0(VALU_DEP_1)
	v_max_num_f32_e32 v2, v2, v5
	ds_store_b32 v4, v2 offset:240
.LBB366_970:
	s_or_b32 exec_lo, exec_lo, s1
	scratch_load_b32 v2, off, s32 offset:788 ; 4-byte Folded Reload
	s_wait_storecnt 0x0
	s_wait_loadcnt_dscnt 0x0
	s_barrier_signal -1
	s_barrier_wait -1
	v_cmp_gt_u32_e64 s1, 4, v2
	v_mov_b32_e32 v2, 0xff7fffff
	s_and_saveexec_b32 s2, s1
; %bb.971:
	ds_load_b32 v2, v22 offset:240
; %bb.972:
	s_or_b32 exec_lo, exec_lo, s2
	s_wait_dscnt 0x0
	ds_bpermute_b32 v5, v30, v2
	s_wait_dscnt 0x0
	v_dual_max_num_f32 v2, v2, v2 :: v_dual_max_num_f32 v5, v5, v5
	s_delay_alu instid0(VALU_DEP_1) | instskip(SKIP_3) | instid1(VALU_DEP_1)
	v_max_num_f32_e32 v2, v2, v5
	ds_bpermute_b32 v5, v38, v2
	s_wait_dscnt 0x0
	v_max_num_f32_e32 v5, v5, v5
	v_dual_max_num_f32 v2, v2, v5 :: v_dual_mov_b32 v5, 0
	ds_bpermute_b32 v6, v5, v2
	scratch_load_b32 v2, off, s32 offset:200 ; 4-byte Folded Reload
	s_wait_loadcnt 0x0
	v_lshlrev_b32_e32 v2, 5, v2
	s_delay_alu instid0(VALU_DEP_1) | instskip(NEXT) | instid1(VALU_DEP_1)
	v_min_i32_e32 v2, v2, v34
	v_cmp_lt_i32_e64 s2, v24, v2
	s_and_saveexec_b32 s14, s2
	s_cbranch_execz .LBB366_976
; %bb.973:
	s_ashr_i32 s7, s6, 31
	v_dual_mov_b32 v5, 0 :: v_dual_mov_b32 v8, v24
	s_lshl_b64 s[16:17], s[6:7], 2
	s_mov_b32 s7, 0
	s_add_nc_u64 s[16:17], s[8:9], s[16:17]
	s_load_b32 s3, s[16:17], 0x0
	s_wait_kmcnt 0x0
	v_lshl_add_u32 v7, v24, 2, s3
.LBB366_974:                            ; =>This Inner Loop Header: Depth=1
	ds_load_b32 v9, v7
	v_add_nc_u32_e32 v8, 0x80, v8
	s_delay_alu instid0(VALU_DEP_1) | instskip(SKIP_3) | instid1(VALU_DEP_1)
	v_cmp_ge_i32_e64 s3, v8, v2
	s_or_b32 s7, s3, s7
	s_wait_dscnt 0x0
	v_sub_f32_e32 v9, v9, v6
	v_mul_f32_e32 v9, 0x3fb8aa3b, v9
	s_delay_alu instid0(VALU_DEP_1)
	v_exp_f32_e32 v9, v9
	ds_store_b32 v7, v9
	v_nop
	v_add_f32_e32 v5, v5, v9
	v_add_nc_u32_e32 v7, 0x200, v7
	s_and_not1_b32 exec_lo, exec_lo, s7
	s_cbranch_execnz .LBB366_974
; %bb.975:
	s_or_b32 exec_lo, exec_lo, s7
.LBB366_976:
	s_delay_alu instid0(SALU_CYCLE_1)
	s_or_b32 exec_lo, exec_lo, s14
	ds_bpermute_b32 v0, v0, v5
	s_wait_dscnt 0x0
	v_add_f32_e32 v0, v5, v0
	ds_bpermute_b32 v1, v1, v0
	s_wait_dscnt 0x0
	v_add_f32_e32 v0, v0, v1
	;; [unrolled: 3-line block ×5, first 2 shown]
	s_and_saveexec_b32 s3, vcc_lo
; %bb.977:
	ds_store_b32 v4, v0 offset:256
; %bb.978:
	s_or_b32 exec_lo, exec_lo, s3
	s_wait_dscnt 0x0
	s_barrier_signal -1
	s_barrier_wait -1
	s_and_saveexec_b32 s3, s1
; %bb.979:
	ds_load_b32 v0, v22 offset:256
; %bb.980:
	s_or_b32 exec_lo, exec_lo, s3
	s_wait_dscnt 0x0
	ds_bpermute_b32 v1, v30, v0
	s_wait_dscnt 0x0
	v_add_f32_e32 v0, v0, v1
	ds_bpermute_b32 v1, v38, v0
	s_wait_dscnt 0x0
	v_dual_add_f32 v0, v0, v1 :: v_dual_mov_b32 v1, 0
	ds_bpermute_b32 v0, v1, v0
	s_and_saveexec_b32 s1, s2
	s_cbranch_execz .LBB366_993
; %bb.981:
	s_wait_dscnt 0x0
	v_add_f32_e32 v0, 0x358637bd, v0
	s_mov_b32 s3, -1
	s_mov_b32 s2, exec_lo
	s_delay_alu instid0(VALU_DEP_1) | instskip(SKIP_1) | instid1(VALU_DEP_2)
	v_div_scale_f32 v1, null, v0, v0, 1.0
	v_div_scale_f32 v5, vcc_lo, 1.0, v0, 1.0
	v_rcp_f32_e32 v4, v1
	v_nop
	s_delay_alu instid0(TRANS32_DEP_1) | instskip(NEXT) | instid1(VALU_DEP_1)
	v_fma_f32 v3, -v1, v4, 1.0
	v_fmac_f32_e32 v4, v3, v4
	s_delay_alu instid0(VALU_DEP_1) | instskip(NEXT) | instid1(VALU_DEP_1)
	v_mul_f32_e32 v6, v5, v4
	v_fma_f32 v3, -v1, v6, v5
	s_delay_alu instid0(VALU_DEP_1) | instskip(SKIP_1) | instid1(VALU_DEP_2)
	v_fmac_f32_e32 v6, v3, v4
	v_xad_u32 v3, v24, -1, v2
	v_fma_f32 v1, -v1, v6, v5
	s_delay_alu instid0(VALU_DEP_1) | instskip(NEXT) | instid1(VALU_DEP_1)
	v_div_fmas_f32 v1, v1, v4, v6
	v_div_fixup_f32 v0, v1, v0, 1.0
	v_mov_b32_e32 v1, v24
	v_cmpx_lt_u32_e32 0x7f, v3
	s_cbranch_execz .LBB366_990
; %bb.982:
	s_delay_alu instid0(VALU_DEP_3) | instskip(NEXT) | instid1(VALU_DEP_1)
	v_dual_lshrrev_b32 v3, 7, v3 :: v_dual_mov_b32 v1, v0
	v_dual_mov_b32 v7, 0 :: v_dual_add_nc_u32 v4, -1, v3
	s_delay_alu instid0(VALU_DEP_1) | instskip(SKIP_1) | instid1(VALU_DEP_2)
	v_lshrrev_b32_e32 v5, 1, v4
	v_cmp_lt_u32_e32 vcc_lo, 13, v4
	v_add_nc_u32_e32 v4, 1, v5
	s_and_saveexec_b32 s3, vcc_lo
	s_cbranch_execz .LBB366_986
; %bb.983:
	s_ashr_i32 s7, s6, 31
	s_delay_alu instid0(VALU_DEP_1) | instskip(SKIP_1) | instid1(SALU_CYCLE_1)
	v_and_b32_e32 v5, -8, v4
	s_lshl_b64 s[14:15], s[6:7], 2
	s_add_nc_u64 s[14:15], s[8:9], s[14:15]
	s_load_b32 s7, s[14:15], 0x0
	s_wait_xcnt 0x0
	s_mov_b32 s14, 0
	s_wait_kmcnt 0x0
	v_lshl_add_u32 v6, v24, 2, s7
	s_mov_b32 s7, 0
.LBB366_984:                            ; =>This Inner Loop Header: Depth=1
	ds_load_2addr_stride64_b32 v[8:9], v6 offset1:2
	ds_load_2addr_stride64_b32 v[10:11], v6 offset0:4 offset1:6
	ds_load_2addr_stride64_b32 v[12:13], v6 offset0:8 offset1:10
	;; [unrolled: 1-line block ×7, first 2 shown]
	s_add_co_i32 s14, s14, 16
	s_delay_alu instid0(SALU_CYCLE_1) | instskip(NEXT) | instid1(VALU_DEP_1)
	v_dual_add_nc_u32 v5, -8, v5 :: v_dual_mov_b32 v7, s14
	v_cmp_eq_u32_e32 vcc_lo, 0, v5
	s_or_b32 s7, vcc_lo, s7
	s_wait_dscnt 0x7
	v_pk_mul_f32 v[8:9], v[0:1], v[8:9]
	s_wait_dscnt 0x6
	v_pk_mul_f32 v[10:11], v[0:1], v[10:11]
	;; [unrolled: 2-line block ×8, first 2 shown]
	ds_store_2addr_stride64_b32 v6, v8, v9 offset1:2
	ds_store_2addr_stride64_b32 v6, v10, v11 offset0:4 offset1:6
	ds_store_2addr_stride64_b32 v6, v12, v13 offset0:8 offset1:10
	;; [unrolled: 1-line block ×7, first 2 shown]
	v_add_nc_u32_e32 v6, 0x2000, v6
	s_and_not1_b32 exec_lo, exec_lo, s7
	s_cbranch_execnz .LBB366_984
; %bb.985:
	s_or_b32 exec_lo, exec_lo, s7
.LBB366_986:
	s_delay_alu instid0(SALU_CYCLE_1) | instskip(NEXT) | instid1(VALU_DEP_1)
	s_or_b32 exec_lo, exec_lo, s3
	v_and_b32_e32 v4, 7, v4
	s_mov_b32 s14, 0
	s_mov_b32 s3, exec_lo
	s_delay_alu instid0(VALU_DEP_1)
	v_cmpx_ne_u32_e32 0, v4
	s_cbranch_execz .LBB366_989
; %bb.987:
	s_ashr_i32 s7, s6, 31
	v_dual_lshlrev_b32 v5, 9, v7 :: v_dual_lshlrev_b32 v6, 2, v24
	s_lshl_b64 s[16:17], s[6:7], 2
	s_delay_alu instid0(SALU_CYCLE_1)
	s_add_nc_u64 s[16:17], s[8:9], s[16:17]
	s_load_b32 s7, s[16:17], 0x0
	s_wait_kmcnt 0x0
	v_add3_u32 v5, v5, v6, s7
.LBB366_988:                            ; =>This Inner Loop Header: Depth=1
	ds_load_2addr_stride64_b32 v[6:7], v5 offset1:2
	v_add_nc_u32_e32 v4, -1, v4
	s_delay_alu instid0(VALU_DEP_1)
	v_cmp_eq_u32_e32 vcc_lo, 0, v4
	s_or_b32 s14, vcc_lo, s14
	s_wait_dscnt 0x0
	v_pk_mul_f32 v[6:7], v[0:1], v[6:7]
	ds_store_2addr_stride64_b32 v5, v6, v7 offset1:2
	v_add_nc_u32_e32 v5, 0x400, v5
	s_and_not1_b32 exec_lo, exec_lo, s14
	s_cbranch_execnz .LBB366_988
.LBB366_989:
	s_or_b32 exec_lo, exec_lo, s3
	v_add_nc_u32_e32 v1, 1, v3
	s_delay_alu instid0(VALU_DEP_1) | instskip(NEXT) | instid1(VALU_DEP_1)
	v_and_b32_e32 v3, 0x3fffffe, v1
	v_cmp_ne_u32_e32 vcc_lo, v1, v3
	v_lshl_add_u32 v1, v3, 7, v24
	s_or_not1_b32 s3, vcc_lo, exec_lo
.LBB366_990:
	s_or_b32 exec_lo, exec_lo, s2
	s_delay_alu instid0(SALU_CYCLE_1)
	s_and_b32 exec_lo, exec_lo, s3
	s_cbranch_execz .LBB366_993
; %bb.991:
	s_ashr_i32 s7, s6, 31
	s_delay_alu instid0(SALU_CYCLE_1) | instskip(NEXT) | instid1(SALU_CYCLE_1)
	s_lshl_b64 s[2:3], s[6:7], 2
	s_add_nc_u64 s[2:3], s[8:9], s[2:3]
	s_load_b32 s2, s[2:3], 0x0
	s_wait_kmcnt 0x0
	v_lshl_add_u32 v3, v1, 2, s2
	s_mov_b32 s2, 0
.LBB366_992:                            ; =>This Inner Loop Header: Depth=1
	ds_load_b32 v4, v3
	s_wait_dscnt 0x0
	v_dual_mul_f32 v4, v0, v4 :: v_dual_add_nc_u32 v1, 0x80, v1
	s_delay_alu instid0(VALU_DEP_1) | instskip(SKIP_3) | instid1(SALU_CYCLE_1)
	v_cmp_ge_i32_e32 vcc_lo, v1, v2
	ds_store_b32 v3, v4
	v_add_nc_u32_e32 v3, 0x200, v3
	s_or_b32 s2, vcc_lo, s2
	s_and_not1_b32 exec_lo, exec_lo, s2
	s_cbranch_execnz .LBB366_992
.LBB366_993:
	s_or_b32 exec_lo, exec_lo, s1
	s_wait_dscnt 0x0
	s_barrier_signal -1
	s_barrier_wait -1
	s_and_saveexec_b32 s1, s0
	s_delay_alu instid0(SALU_CYCLE_1)
	s_xor_b32 s0, exec_lo, s1
	s_cbranch_execz .LBB366_995
; %bb.994:
                                        ; implicit-def: $vgpr0
	s_ashr_i32 s7, s6, 31
                                        ; kill: killed $vgpr0
                                        ; implicit-def: $vgpr0
                                        ; implicit-def: $vgpr34
	s_clause 0x1
	scratch_store_b64 off, v[0:1], s32 offset:380
	; meta instruction
	; meta instruction
	;; [unrolled: 1-line block ×9, first 2 shown]
	scratch_store_b64 off, v[0:1], s32 offset:800
                                        ; implicit-def: $vgpr0
                                        ; kill: killed $vgpr0
.LBB366_995:
	s_wait_xcnt 0x0
	s_or_saveexec_b32 s1, s0
	v_mov_b64_e32 v[0:1], s[6:7]
	v_dual_mov_b32 v13, 0 :: v_dual_bitop2_b32 v49, 3, v24 bitop3:0x40
	v_dual_mov_b32 v12, 0 :: v_dual_mov_b32 v15, 0
	v_dual_mov_b32 v14, 0 :: v_dual_mov_b32 v17, 0
	;; [unrolled: 1-line block ×7, first 2 shown]
	s_xor_b32 exec_lo, exec_lo, s1
	s_cbranch_execz .LBB366_1989
; %bb.996:
	s_clause 0x2
	scratch_store_b32 off, v30, s32 offset:436
	scratch_store_b32 off, v38, s32 offset:428
	scratch_load_b64 v[0:1], off, s32 offset:836 th:TH_LOAD_LU
	s_ashr_i32 s7, s6, 31
	v_dual_mov_b32 v12, 0 :: v_dual_mov_b32 v15, 0
	s_lshl_b64 s[2:3], s[6:7], 2
	v_dual_mov_b32 v14, 0 :: v_dual_mov_b32 v17, 0
	s_add_nc_u64 s[2:3], s[8:9], s[2:3]
	v_dual_mov_b32 v16, 0 :: v_dual_mov_b32 v21, 0
	s_load_b32 s0, s[2:3], 0x0
	v_dual_mov_b32 v20, 0 :: v_dual_mov_b32 v25, 0
	v_dual_mov_b32 v24, 0 :: v_dual_mov_b32 v27, 0
	;; [unrolled: 1-line block ×3, first 2 shown]
	v_mov_b32_e32 v28, 0
	s_wait_xcnt 0x0
	s_mov_b64 s[2:3], 0xffffffffffffff
	s_mov_b32 s14, 0
	v_dual_mov_b32 v23, 0 :: v_dual_lshlrev_b32 v7, 5, v49
	v_dual_mov_b32 v13, 0 :: v_dual_mov_b32 v39, 0
	s_delay_alu instid0(VALU_DEP_2)
	v_mov_b32_e32 v5, v23
	s_wait_loadcnt 0x0
	flat_load_b32 v48, v[0:1]
	scratch_load_b32 v0, off, s32 offset:796 ; 4-byte Folded Reload
	s_wait_loadcnt 0x0
	v_dual_mov_b32 v1, v23 :: v_dual_lshlrev_b32 v4, 3, v0
	s_clause 0x3
	scratch_load_b32 v0, off, s32 offset:824 th:TH_LOAD_LU
	scratch_load_b64 v[2:3], off, s32 offset:844 th:TH_LOAD_LU
	scratch_load_b64 v[8:9], off, s32 offset:800 th:TH_LOAD_LU
	scratch_load_b32 v51, off, s32 offset:792
	v_and_b32_e32 v6, 24, v4
	v_and_b32_e32 v4, 0xf8, v4
	s_wait_loadcnt 0x3
	v_and_b32_e32 v0, 0x7c, v0
	s_wait_loadcnt 0x1
	v_add_nc_u64_e32 v[2:3], v[2:3], v[8:9]
	scratch_load_b64 v[8:9], off, s32 offset:816 th:TH_LOAD_LU ; 8-byte Folded Reload
	v_add_nc_u64_e32 v[2:3], v[2:3], v[4:5]
	s_clause 0x2
	scratch_store_b32 off, v49, s32 offset:444
	scratch_store_b64 off, v[2:3], s32 offset:420
	scratch_load_b64 v[2:3], off, s32 offset:808 th:TH_LOAD_LU
	s_wait_loadcnt 0x2
	v_lshl_or_b32 v7, v51, 7, v7
	s_wait_kmcnt 0x0
	s_delay_alu instid0(VALU_DEP_1) | instskip(SKIP_3) | instid1(VALU_DEP_1)
	v_add_nc_u32_e32 v50, s0, v7
	s_wait_loadcnt 0x1
	v_lshl_add_u64 v[0:1], v[8:9], 2, v[0:1]
	v_lshlrev_b32_e32 v8, 5, v51
	v_or3_b32 v49, v8, v6, 7
	s_wait_loadcnt 0x0
	s_delay_alu instid0(VALU_DEP_3)
	v_add_nc_u64_e32 v[10:11], v[2:3], v[0:1]
	s_branch .LBB366_998
.LBB366_997:                            ;   in Loop: Header=BB366_998 Depth=1
	s_or_b32 exec_lo, exec_lo, s0
	scratch_load_b128 v[98:101], off, s32 offset:404 th:TH_LOAD_LU ; 16-byte Folded Reload
	v_perm_b32 v86, v115, v116, 0x5040100
	v_perm_b32 v97, v113, v114, 0x5040100
	;; [unrolled: 1-line block ×10, first 2 shown]
	v_add_nc_u64_e32 v[10:11], 16, v[10:11]
	v_add_nc_u32_e32 v49, 0x80, v49
	v_add_nc_u32_e32 v51, 4, v51
	v_add_nc_u32_e32 v50, 0x200, v50
	s_wait_loadcnt 0x0
	v_cvt_pk_bf16_f32 v7, v98, v99
	v_cvt_pk_bf16_f32 v6, v100, v101
	scratch_load_b128 v[98:101], off, s32 offset:388 th:TH_LOAD_LU ; 16-byte Folded Reload
	v_pk_mul_bf16 v86, v7, v86
	v_pk_mul_bf16 v97, v6, v97
	;; [unrolled: 1-line block ×4, first 2 shown]
	s_delay_alu instid0(VALU_DEP_2) | instskip(SKIP_1) | instid1(VALU_DEP_1)
	v_lshlrev_b32_e32 v5, 16, v84
	v_and_b32_e32 v82, 0xffff0000, v84
	v_dual_add_f32 v5, v5, v82 :: v_dual_lshlrev_b32 v82, 16, v8
	v_and_b32_e32 v8, 0xffff0000, v8
	s_delay_alu instid0(VALU_DEP_1) | instskip(NEXT) | instid1(VALU_DEP_1)
	v_add_f32_e32 v8, v82, v8
	v_add_f32_e32 v5, v5, v8
	s_wait_loadcnt 0x0
	v_cvt_pk_bf16_f32 v3, v98, v99
	v_lshlrev_b32_e32 v98, 16, v86
	v_and_b32_e32 v86, 0xffff0000, v86
	v_cvt_pk_bf16_f32 v2, v100, v101
	s_delay_alu instid0(VALU_DEP_4) | instskip(SKIP_1) | instid1(VALU_DEP_4)
	v_pk_mul_bf16 v87, v3, v87
	v_pk_mul_bf16 v9, v3, v9
	v_dual_add_f32 v86, v98, v86 :: v_dual_lshlrev_b32 v98, 16, v97
	v_and_b32_e32 v97, 0xffff0000, v97
	v_pk_mul_bf16 v96, v2, v96
	s_delay_alu instid0(VALU_DEP_4) | instskip(SKIP_3) | instid1(VALU_DEP_3)
	v_lshlrev_b32_e32 v8, 16, v9
	v_and_b32_e32 v9, 0xffff0000, v9
	v_pk_mul_bf16 v4, v2, v4
	v_add_f32_e32 v97, v98, v97
	v_add_f32_e32 v8, v8, v9
	v_perm_b32 v9, v68, v67, 0x5040100
	s_delay_alu instid0(VALU_DEP_3) | instskip(SKIP_1) | instid1(VALU_DEP_4)
	v_dual_add_f32 v86, v86, v97 :: v_dual_lshlrev_b32 v97, 16, v87
	v_and_b32_e32 v87, 0xffff0000, v87
	v_add_f32_e32 v5, v5, v8
	v_lshlrev_b32_e32 v8, 16, v4
	v_and_b32_e32 v4, 0xffff0000, v4
	v_pk_mul_bf16 v9, v2, v9
	s_delay_alu instid0(VALU_DEP_2) | instskip(SKIP_1) | instid1(VALU_DEP_2)
	v_dual_add_f32 v87, v97, v87 :: v_dual_add_f32 v4, v8, v4
	v_perm_b32 v8, v65, v66, 0x5040100
	v_dual_add_f32 v86, v86, v87 :: v_dual_lshlrev_b32 v87, 16, v96
	v_and_b32_e32 v96, 0xffff0000, v96
	s_delay_alu instid0(VALU_DEP_4) | instskip(SKIP_2) | instid1(VALU_DEP_4)
	v_add_f32_e32 v4, v5, v4
	v_perm_b32 v5, v69, v70, 0x5040100
	v_pk_mul_bf16 v8, v3, v8
	v_add_f32_e32 v87, v87, v96
	s_delay_alu instid0(VALU_DEP_4) | instskip(SKIP_2) | instid1(VALU_DEP_4)
	v_add_f32_e32 v12, v12, v4
	v_perm_b32 v4, v71, v80, 0x5040100
	v_pk_mul_bf16 v5, v6, v5
	v_add_f32_e32 v86, v86, v87
	s_delay_alu instid0(VALU_DEP_3) | instskip(NEXT) | instid1(VALU_DEP_1)
	v_pk_mul_bf16 v4, v7, v4
	v_dual_add_f32 v13, v13, v86 :: v_dual_lshlrev_b32 v65, 16, v4
	v_and_b32_e32 v4, 0xffff0000, v4
	s_delay_alu instid0(VALU_DEP_1) | instskip(SKIP_1) | instid1(VALU_DEP_1)
	v_dual_add_f32 v4, v65, v4 :: v_dual_lshlrev_b32 v65, 16, v5
	v_and_b32_e32 v5, 0xffff0000, v5
	v_add_f32_e32 v5, v65, v5
	s_delay_alu instid0(VALU_DEP_1) | instskip(SKIP_1) | instid1(VALU_DEP_1)
	v_dual_add_f32 v4, v4, v5 :: v_dual_lshlrev_b32 v5, 16, v8
	v_and_b32_e32 v8, 0xffff0000, v8
	v_add_f32_e32 v5, v5, v8
	v_and_b32_e32 v8, 0xffff0000, v9
	s_delay_alu instid0(VALU_DEP_2) | instskip(SKIP_2) | instid1(VALU_DEP_2)
	v_add_f32_e32 v4, v4, v5
	v_lshlrev_b32_e32 v5, 16, v9
	v_perm_b32 v9, v36, v31, 0x5040100
	v_add_f32_e32 v5, v5, v8
	v_perm_b32 v8, v37, v52, 0x5040100
	s_delay_alu instid0(VALU_DEP_3) | instskip(NEXT) | instid1(VALU_DEP_3)
	v_pk_mul_bf16 v9, v2, v9
	v_add_f32_e32 v4, v4, v5
	v_perm_b32 v5, v53, v54, 0x5040100
	s_delay_alu instid0(VALU_DEP_4) | instskip(NEXT) | instid1(VALU_DEP_3)
	v_pk_mul_bf16 v8, v3, v8
	v_add_f32_e32 v15, v15, v4
	v_perm_b32 v4, v55, v64, 0x5040100
	s_delay_alu instid0(VALU_DEP_4) | instskip(NEXT) | instid1(VALU_DEP_2)
	v_pk_mul_bf16 v5, v6, v5
	v_pk_mul_bf16 v4, v7, v4
	s_delay_alu instid0(VALU_DEP_1) | instskip(SKIP_1) | instid1(VALU_DEP_1)
	v_lshlrev_b32_e32 v31, 16, v4
	v_and_b32_e32 v4, 0xffff0000, v4
	v_dual_add_f32 v4, v31, v4 :: v_dual_lshlrev_b32 v31, 16, v5
	v_and_b32_e32 v5, 0xffff0000, v5
	s_delay_alu instid0(VALU_DEP_1) | instskip(NEXT) | instid1(VALU_DEP_1)
	v_add_f32_e32 v5, v31, v5
	v_dual_add_f32 v4, v4, v5 :: v_dual_lshlrev_b32 v5, 16, v8
	v_and_b32_e32 v8, 0xffff0000, v8
	s_delay_alu instid0(VALU_DEP_1) | instskip(SKIP_1) | instid1(VALU_DEP_2)
	v_add_f32_e32 v5, v5, v8
	v_and_b32_e32 v8, 0xffff0000, v9
	v_add_f32_e32 v4, v4, v5
	v_lshlrev_b32_e32 v5, 16, v9
	v_perm_b32 v9, v125, v124, 0x5040100
	s_delay_alu instid0(VALU_DEP_2) | instskip(SKIP_1) | instid1(VALU_DEP_3)
	v_add_f32_e32 v5, v5, v8
	v_perm_b32 v8, v122, v123, 0x5040100
	v_pk_mul_bf16 v9, v2, v9
	s_delay_alu instid0(VALU_DEP_3) | instskip(SKIP_1) | instid1(VALU_DEP_4)
	v_add_f32_e32 v4, v4, v5
	v_perm_b32 v5, v126, v127, 0x5040100
	v_pk_mul_bf16 v8, v3, v8
	s_delay_alu instid0(VALU_DEP_3) | instskip(SKIP_1) | instid1(VALU_DEP_4)
	v_add_f32_e32 v14, v14, v4
	v_perm_b32 v4, v38, v30, 0x5040100
	v_pk_mul_bf16 v5, v6, v5
	s_delay_alu instid0(VALU_DEP_2) | instskip(NEXT) | instid1(VALU_DEP_1)
	v_pk_mul_bf16 v4, v7, v4
	v_lshlrev_b32_e32 v30, 16, v4
	v_and_b32_e32 v4, 0xffff0000, v4
	s_delay_alu instid0(VALU_DEP_1) | instskip(SKIP_1) | instid1(VALU_DEP_1)
	v_dual_add_f32 v4, v30, v4 :: v_dual_lshlrev_b32 v30, 16, v5
	v_and_b32_e32 v5, 0xffff0000, v5
	v_add_f32_e32 v5, v30, v5
	s_delay_alu instid0(VALU_DEP_1) | instskip(SKIP_1) | instid1(VALU_DEP_1)
	v_dual_add_f32 v4, v4, v5 :: v_dual_lshlrev_b32 v5, 16, v8
	v_and_b32_e32 v8, 0xffff0000, v8
	v_add_f32_e32 v5, v5, v8
	v_and_b32_e32 v8, 0xffff0000, v9
	s_delay_alu instid0(VALU_DEP_2) | instskip(SKIP_2) | instid1(VALU_DEP_2)
	v_add_f32_e32 v4, v4, v5
	v_lshlrev_b32_e32 v5, 16, v9
	v_perm_b32 v9, v109, v108, 0x5040100
	v_add_f32_e32 v5, v5, v8
	v_perm_b32 v8, v106, v107, 0x5040100
	s_delay_alu instid0(VALU_DEP_3) | instskip(NEXT) | instid1(VALU_DEP_3)
	v_pk_mul_bf16 v9, v2, v9
	v_add_f32_e32 v4, v4, v5
	v_perm_b32 v5, v110, v111, 0x5040100
	s_delay_alu instid0(VALU_DEP_4) | instskip(NEXT) | instid1(VALU_DEP_3)
	v_pk_mul_bf16 v8, v3, v8
	v_add_f32_e32 v17, v17, v4
	v_perm_b32 v4, v120, v121, 0x5040100
	s_delay_alu instid0(VALU_DEP_4) | instskip(NEXT) | instid1(VALU_DEP_2)
	v_pk_mul_bf16 v5, v6, v5
	v_pk_mul_bf16 v4, v7, v4
	s_delay_alu instid0(VALU_DEP_1) | instskip(SKIP_1) | instid1(VALU_DEP_1)
	v_lshlrev_b32_e32 v30, 16, v4
	v_and_b32_e32 v4, 0xffff0000, v4
	v_dual_add_f32 v4, v30, v4 :: v_dual_lshlrev_b32 v30, 16, v5
	v_and_b32_e32 v5, 0xffff0000, v5
	s_delay_alu instid0(VALU_DEP_1) | instskip(NEXT) | instid1(VALU_DEP_1)
	v_add_f32_e32 v5, v30, v5
	v_dual_add_f32 v4, v4, v5 :: v_dual_lshlrev_b32 v5, 16, v8
	v_and_b32_e32 v8, 0xffff0000, v8
	s_delay_alu instid0(VALU_DEP_1) | instskip(SKIP_1) | instid1(VALU_DEP_2)
	v_add_f32_e32 v5, v5, v8
	v_and_b32_e32 v8, 0xffff0000, v9
	v_add_f32_e32 v4, v4, v5
	v_lshlrev_b32_e32 v5, 16, v9
	v_perm_b32 v9, v93, v92, 0x5040100
	s_delay_alu instid0(VALU_DEP_2) | instskip(SKIP_1) | instid1(VALU_DEP_3)
	v_add_f32_e32 v5, v5, v8
	v_perm_b32 v8, v90, v91, 0x5040100
	v_pk_mul_bf16 v9, v2, v9
	s_delay_alu instid0(VALU_DEP_3) | instskip(SKIP_1) | instid1(VALU_DEP_4)
	v_add_f32_e32 v4, v4, v5
	v_perm_b32 v5, v94, v95, 0x5040100
	v_pk_mul_bf16 v8, v3, v8
	s_delay_alu instid0(VALU_DEP_3) | instskip(SKIP_1) | instid1(VALU_DEP_4)
	v_add_f32_e32 v16, v16, v4
	v_perm_b32 v4, v104, v105, 0x5040100
	v_pk_mul_bf16 v5, v6, v5
	s_delay_alu instid0(VALU_DEP_2) | instskip(NEXT) | instid1(VALU_DEP_1)
	v_pk_mul_bf16 v4, v7, v4
	v_lshlrev_b32_e32 v30, 16, v4
	;; [unrolled: 57-line block ×3, first 2 shown]
	v_and_b32_e32 v4, 0xffff0000, v4
	s_delay_alu instid0(VALU_DEP_1) | instskip(SKIP_1) | instid1(VALU_DEP_1)
	v_dual_add_f32 v4, v30, v4 :: v_dual_lshlrev_b32 v30, 16, v5
	v_and_b32_e32 v5, 0xffff0000, v5
	v_add_f32_e32 v5, v30, v5
	s_delay_alu instid0(VALU_DEP_1) | instskip(SKIP_1) | instid1(VALU_DEP_1)
	v_dual_add_f32 v4, v4, v5 :: v_dual_lshlrev_b32 v5, 16, v8
	v_and_b32_e32 v8, 0xffff0000, v8
	v_add_f32_e32 v5, v5, v8
	v_and_b32_e32 v8, 0xffff0000, v9
	s_delay_alu instid0(VALU_DEP_2) | instskip(SKIP_2) | instid1(VALU_DEP_2)
	v_add_f32_e32 v4, v4, v5
	v_lshlrev_b32_e32 v5, 16, v9
	v_perm_b32 v9, v46, v45, 0x5040100
	v_add_f32_e32 v5, v5, v8
	v_perm_b32 v8, v43, v44, 0x5040100
	s_delay_alu instid0(VALU_DEP_3) | instskip(NEXT) | instid1(VALU_DEP_3)
	v_pk_mul_bf16 v9, v2, v9
	v_add_f32_e32 v4, v4, v5
	v_perm_b32 v5, v47, v56, 0x5040100
	s_delay_alu instid0(VALU_DEP_4) | instskip(NEXT) | instid1(VALU_DEP_3)
	v_pk_mul_bf16 v8, v3, v8
	v_add_f32_e32 v25, v25, v4
	v_perm_b32 v4, v57, v58, 0x5040100
	s_delay_alu instid0(VALU_DEP_4) | instskip(NEXT) | instid1(VALU_DEP_2)
	v_pk_mul_bf16 v5, v6, v5
	v_pk_mul_bf16 v4, v7, v4
	s_delay_alu instid0(VALU_DEP_1) | instskip(SKIP_1) | instid1(VALU_DEP_1)
	v_lshlrev_b32_e32 v30, 16, v4
	v_and_b32_e32 v4, 0xffff0000, v4
	v_dual_add_f32 v4, v30, v4 :: v_dual_lshlrev_b32 v30, 16, v5
	v_and_b32_e32 v5, 0xffff0000, v5
	s_delay_alu instid0(VALU_DEP_1) | instskip(NEXT) | instid1(VALU_DEP_1)
	v_add_f32_e32 v5, v30, v5
	v_dual_add_f32 v4, v4, v5 :: v_dual_lshlrev_b32 v5, 16, v8
	v_and_b32_e32 v8, 0xffff0000, v8
	s_delay_alu instid0(VALU_DEP_1) | instskip(SKIP_1) | instid1(VALU_DEP_2)
	v_add_f32_e32 v5, v5, v8
	v_and_b32_e32 v8, 0xffff0000, v9
	v_add_f32_e32 v4, v4, v5
	v_lshlrev_b32_e32 v5, 16, v9
	s_delay_alu instid0(VALU_DEP_1)
	v_add_f32_e32 v5, v5, v8
	s_clause 0x1
	scratch_load_b32 v8, off, s32 offset:348 th:TH_LOAD_LU
	scratch_load_b32 v9, off, s32 offset:356 th:TH_LOAD_LU
	v_add_f32_e32 v4, v4, v5
	v_perm_b32 v5, v119, v40, 0x5040100
	s_delay_alu instid0(VALU_DEP_2) | instskip(SKIP_1) | instid1(VALU_DEP_3)
	v_add_f32_e32 v24, v24, v4
	v_perm_b32 v4, v41, v42, 0x5040100
	v_pk_mul_bf16 v5, v6, v5
	s_delay_alu instid0(VALU_DEP_2)
	v_pk_mul_bf16 v4, v7, v4
	s_wait_loadcnt 0x0
	v_perm_b32 v8, v8, v9, 0x5040100
	s_clause 0x1
	scratch_load_b32 v9, off, s32 offset:364 th:TH_LOAD_LU
	scratch_load_b32 v30, off, s32 offset:372 th:TH_LOAD_LU
	v_pk_mul_bf16 v8, v3, v8
	s_wait_loadcnt 0x0
	v_perm_b32 v9, v30, v9, 0x5040100
	v_lshlrev_b32_e32 v30, 16, v4
	v_and_b32_e32 v4, 0xffff0000, v4
	s_delay_alu instid0(VALU_DEP_3) | instskip(NEXT) | instid1(VALU_DEP_2)
	v_pk_mul_bf16 v9, v2, v9
	v_dual_add_f32 v4, v30, v4 :: v_dual_lshlrev_b32 v30, 16, v5
	v_and_b32_e32 v5, 0xffff0000, v5
	s_delay_alu instid0(VALU_DEP_1) | instskip(NEXT) | instid1(VALU_DEP_1)
	v_add_f32_e32 v5, v30, v5
	v_dual_add_f32 v4, v4, v5 :: v_dual_lshlrev_b32 v5, 16, v8
	v_and_b32_e32 v8, 0xffff0000, v8
	s_delay_alu instid0(VALU_DEP_1) | instskip(SKIP_1) | instid1(VALU_DEP_2)
	v_add_f32_e32 v5, v5, v8
	v_and_b32_e32 v8, 0xffff0000, v9
	v_add_f32_e32 v4, v4, v5
	v_lshlrev_b32_e32 v5, 16, v9
	s_delay_alu instid0(VALU_DEP_1) | instskip(NEXT) | instid1(VALU_DEP_1)
	v_add_f32_e32 v5, v5, v8
	v_add_f32_e32 v4, v4, v5
	s_delay_alu instid0(VALU_DEP_1)
	v_add_f32_e32 v27, v27, v4
	s_clause 0x1
	scratch_load_b32 v4, off, s32 offset:332 th:TH_LOAD_LU
	scratch_load_b32 v5, off, s32 offset:340 th:TH_LOAD_LU
	s_wait_loadcnt 0x0
	v_perm_b32 v4, v4, v5, 0x5040100
	s_clause 0x1
	scratch_load_b32 v5, off, s32 offset:316 th:TH_LOAD_LU
	scratch_load_b32 v8, off, s32 offset:324 th:TH_LOAD_LU
	v_pk_mul_bf16 v4, v7, v4
	s_wait_loadcnt 0x0
	v_perm_b32 v5, v5, v8, 0x5040100
	s_clause 0x1
	scratch_load_b32 v8, off, s32 offset:284 th:TH_LOAD_LU
	scratch_load_b32 v9, off, s32 offset:292 th:TH_LOAD_LU
	v_pk_mul_bf16 v5, v6, v5
	s_wait_loadcnt 0x0
	v_perm_b32 v8, v8, v9, 0x5040100
	s_clause 0x1
	scratch_load_b32 v9, off, s32 offset:300 th:TH_LOAD_LU
	scratch_load_b32 v30, off, s32 offset:308 th:TH_LOAD_LU
	v_pk_mul_bf16 v8, v3, v8
	s_wait_loadcnt 0x0
	v_perm_b32 v9, v30, v9, 0x5040100
	v_lshlrev_b32_e32 v30, 16, v4
	v_and_b32_e32 v4, 0xffff0000, v4
	s_delay_alu instid0(VALU_DEP_3) | instskip(NEXT) | instid1(VALU_DEP_2)
	v_pk_mul_bf16 v9, v2, v9
	v_dual_add_f32 v4, v30, v4 :: v_dual_lshlrev_b32 v30, 16, v5
	v_and_b32_e32 v5, 0xffff0000, v5
	s_delay_alu instid0(VALU_DEP_1) | instskip(NEXT) | instid1(VALU_DEP_1)
	v_add_f32_e32 v5, v30, v5
	v_dual_add_f32 v4, v4, v5 :: v_dual_lshlrev_b32 v5, 16, v8
	v_and_b32_e32 v8, 0xffff0000, v8
	s_delay_alu instid0(VALU_DEP_1) | instskip(SKIP_1) | instid1(VALU_DEP_2)
	v_add_f32_e32 v5, v5, v8
	v_and_b32_e32 v8, 0xffff0000, v9
	v_add_f32_e32 v4, v4, v5
	v_lshlrev_b32_e32 v5, 16, v9
	s_delay_alu instid0(VALU_DEP_1) | instskip(NEXT) | instid1(VALU_DEP_1)
	v_add_f32_e32 v5, v5, v8
	v_add_f32_e32 v4, v4, v5
	s_delay_alu instid0(VALU_DEP_1)
	v_add_f32_e32 v26, v26, v4
	s_clause 0x1
	scratch_load_b32 v4, off, s32 offset:272 th:TH_LOAD_LU
	scratch_load_b32 v5, off, s32 offset:276 th:TH_LOAD_LU
	s_wait_loadcnt 0x0
	v_perm_b32 v4, v4, v5, 0x5040100
	s_clause 0x1
	scratch_load_b32 v5, off, s32 offset:260 th:TH_LOAD_LU
	scratch_load_b32 v8, off, s32 offset:268 th:TH_LOAD_LU
	v_pk_mul_bf16 v4, v7, v4
	s_wait_loadcnt 0x0
	v_perm_b32 v5, v5, v8, 0x5040100
	s_clause 0x1
	scratch_load_b32 v8, off, s32 offset:232 th:TH_LOAD_LU
	scratch_load_b32 v9, off, s32 offset:240 th:TH_LOAD_LU
	;; [unrolled: 43-line block ×3, first 2 shown]
	v_pk_mul_bf16 v5, v6, v5
	s_wait_loadcnt 0x0
	v_perm_b32 v8, v8, v9, 0x5040100
	s_clause 0x1
	scratch_load_b32 v9, off, s32 offset:208 th:TH_LOAD_LU
	scratch_load_b32 v30, off, s32 offset:212 th:TH_LOAD_LU
	v_pk_mul_bf16 v8, v3, v8
	s_wait_loadcnt 0x0
	v_perm_b32 v9, v30, v9, 0x5040100
	v_lshlrev_b32_e32 v30, 16, v4
	v_and_b32_e32 v4, 0xffff0000, v4
	s_delay_alu instid0(VALU_DEP_3) | instskip(NEXT) | instid1(VALU_DEP_2)
	v_pk_mul_bf16 v9, v2, v9
	v_dual_add_f32 v4, v30, v4 :: v_dual_lshlrev_b32 v30, 16, v5
	v_and_b32_e32 v5, 0xffff0000, v5
	s_delay_alu instid0(VALU_DEP_1) | instskip(NEXT) | instid1(VALU_DEP_1)
	v_add_f32_e32 v5, v30, v5
	v_dual_add_f32 v4, v4, v5 :: v_dual_lshlrev_b32 v5, 16, v8
	v_and_b32_e32 v8, 0xffff0000, v8
	s_delay_alu instid0(VALU_DEP_1) | instskip(SKIP_1) | instid1(VALU_DEP_2)
	v_add_f32_e32 v5, v5, v8
	v_and_b32_e32 v8, 0xffff0000, v9
	v_add_f32_e32 v4, v4, v5
	v_lshlrev_b32_e32 v5, 16, v9
	s_delay_alu instid0(VALU_DEP_1) | instskip(NEXT) | instid1(VALU_DEP_1)
	v_add_f32_e32 v5, v5, v8
	v_add_f32_e32 v4, v4, v5
	v_perm_b32 v5, v22, v32, 0x5040100
	s_delay_alu instid0(VALU_DEP_1) | instskip(SKIP_1) | instid1(VALU_DEP_2)
	v_pk_mul_bf16 v5, v6, v5
	v_pk_mul_bf16 v6, v3, v1
	v_dual_add_f32 v28, v28, v4 :: v_dual_lshlrev_b32 v3, 16, v5
	v_perm_b32 v4, v33, v81, 0x5040100
	v_and_b32_e32 v1, 0xffff0000, v5
	s_delay_alu instid0(VALU_DEP_2) | instskip(SKIP_1) | instid1(VALU_DEP_2)
	v_pk_mul_bf16 v4, v7, v4
	v_pk_mul_bf16 v7, v2, v0
	v_and_b32_e32 v0, 0xffff0000, v4
	s_delay_alu instid0(VALU_DEP_2) | instskip(SKIP_1) | instid1(VALU_DEP_2)
	v_dual_lshlrev_b32 v2, 16, v4 :: v_dual_lshlrev_b32 v5, 16, v7
	v_lshlrev_b32_e32 v4, 16, v6
	v_pk_add_f32 v[0:1], v[2:3], v[0:1]
	v_and_b32_e32 v2, 0xffff0000, v6
	v_and_b32_e32 v3, 0xffff0000, v7
	s_delay_alu instid0(VALU_DEP_3) | instskip(NEXT) | instid1(VALU_DEP_2)
	v_add_f32_e32 v0, v0, v1
	v_pk_add_f32 v[2:3], v[4:5], v[2:3]
	s_delay_alu instid0(VALU_DEP_1) | instskip(NEXT) | instid1(VALU_DEP_1)
	v_add_f32_e32 v0, v0, v2
	v_add_f32_e32 v0, v0, v3
	s_delay_alu instid0(VALU_DEP_1)
	v_add_f32_e32 v39, v39, v0
	scratch_load_b32 v0, off, s32 offset:200 ; 4-byte Folded Reload
	s_wait_loadcnt 0x0
	v_cmp_ge_i32_e32 vcc_lo, v51, v0
	s_or_b32 s14, vcc_lo, s14
	s_wait_xcnt 0x0
	s_and_not1_b32 exec_lo, exec_lo, s14
	s_cbranch_execz .LBB366_1988
.LBB366_998:                            ; =>This Inner Loop Header: Depth=1
	flat_load_b32 v0, v[10:11]
	s_clause 0x1
	scratch_load_b64 v[2:3], off, s32 offset:380
	scratch_load_b64 v[4:5], off, s32 offset:420
	s_mov_b32 s0, exec_lo
	s_wait_loadcnt_dscnt 0x0
	v_mad_nc_i64_i32 v[0:1], v0, v2, v[4:5]
	ds_load_2addr_b64 v[2:5], v50 offset1:1
	flat_load_b64 v[18:19], v[0:1]
	s_wait_dscnt 0x1
	scratch_store_b128 off, v[2:5], s32 offset:404 ; 16-byte Folded Spill
	s_wait_xcnt 0x0
	ds_load_2addr_b64 v[2:5], v50 offset0:2 offset1:3
	s_wait_dscnt 0x0
	scratch_store_b128 off, v[2:5], s32 offset:388 ; 16-byte Folded Spill
	s_wait_xcnt 0x0
	v_mov_b32_e32 v2, 0
	s_wait_loadcnt 0x0
	v_and_b32_e32 v3, 0xff, v18
	s_delay_alu instid0(VALU_DEP_1)
	v_cmpx_ne_u16_e32 0, v3
	s_cbranch_execz .LBB366_1006
; %bb.999:                              ;   in Loop: Header=BB366_998 Depth=1
	v_bfrev_b32_e32 v2, 1
	s_mov_b32 s15, exec_lo
	v_cmpx_ne_u16_e32 0x80, v3
	s_cbranch_execz .LBB366_1005
; %bb.1000:                             ;   in Loop: Header=BB366_998 Depth=1
	v_and_b32_e32 v3, 0x7f, v18
	v_mov_b32_e32 v2, 0x7f800001
	s_mov_b32 s16, exec_lo
	s_delay_alu instid0(VALU_DEP_2)
	v_cmpx_ne_u32_e32 0x7f, v3
	s_cbranch_execz .LBB366_1004
; %bb.1001:                             ;   in Loop: Header=BB366_998 Depth=1
	v_mov_b64_e32 v[32:33], v[18:19]
	v_lshrrev_b32_e32 v2, 3, v3
	s_mov_b32 s17, exec_lo
	v_cmpx_gt_u32_e32 8, v3
; %bb.1002:                             ;   in Loop: Header=BB366_998 Depth=1
	v_and_b32_e32 v2, 7, v18
	s_delay_alu instid0(VALU_DEP_1) | instskip(NEXT) | instid1(VALU_DEP_1)
	v_clz_i32_u32_e32 v2, v2
	v_min_u32_e32 v2, 32, v2
	s_delay_alu instid0(VALU_DEP_1) | instskip(SKIP_1) | instid1(VALU_DEP_2)
	v_subrev_nc_u32_e32 v3, 28, v2
	v_sub_nc_u32_e32 v2, 29, v2
	v_lshlrev_b64_e32 v[32:33], v3, v[18:19]
; %bb.1003:                             ;   in Loop: Header=BB366_998 Depth=1
	s_or_b32 exec_lo, exec_lo, s17
	s_delay_alu instid0(VALU_DEP_1) | instskip(NEXT) | instid1(VALU_DEP_3)
	v_dual_lshlrev_b32 v3, 20, v32 :: v_dual_lshlrev_b32 v4, 24, v18
	v_lshl_add_u32 v2, v2, 23, 0x3c000000
	s_delay_alu instid0(VALU_DEP_2) | instskip(NEXT) | instid1(VALU_DEP_3)
	v_and_b32_e32 v3, 0x700000, v3
	v_and_b32_e32 v4, 0x80000000, v4
	s_delay_alu instid0(VALU_DEP_1)
	v_or3_b32 v2, v3, v4, v2
.LBB366_1004:                           ;   in Loop: Header=BB366_998 Depth=1
	s_or_b32 exec_lo, exec_lo, s16
.LBB366_1005:                           ;   in Loop: Header=BB366_998 Depth=1
	s_delay_alu instid0(SALU_CYCLE_1)
	s_or_b32 exec_lo, exec_lo, s15
.LBB366_1006:                           ;   in Loop: Header=BB366_998 Depth=1
	s_delay_alu instid0(SALU_CYCLE_1) | instskip(SKIP_3) | instid1(VALU_DEP_2)
	s_or_b32 exec_lo, exec_lo, s0
	v_lshrrev_b16 v5, 8, v18
	v_dual_mov_b32 v3, 0 :: v_dual_mov_b32 v4, 0
	s_mov_b32 s0, exec_lo
	v_cmpx_ne_u16_e32 0, v5
	s_cbranch_execz .LBB366_1014
; %bb.1007:                             ;   in Loop: Header=BB366_998 Depth=1
	v_bfrev_b32_e32 v4, 1
	s_mov_b32 s15, exec_lo
	v_cmpx_ne_u16_e32 0x80, v5
	s_cbranch_execz .LBB366_1013
; %bb.1008:                             ;   in Loop: Header=BB366_998 Depth=1
	v_and_b32_e32 v6, 0xffff, v5
	v_mov_b32_e32 v4, 0x7f800001
	s_mov_b32 s16, exec_lo
	s_delay_alu instid0(VALU_DEP_2) | instskip(NEXT) | instid1(VALU_DEP_1)
	v_and_b32_e32 v5, 0x7f, v6
	v_cmpx_ne_u32_e32 0x7f, v5
	s_cbranch_execz .LBB366_1012
; %bb.1009:                             ;   in Loop: Header=BB366_998 Depth=1
	v_dual_lshrrev_b32 v4, 3, v5 :: v_dual_bitop2_b32 v22, 7, v6 bitop3:0x40
	s_mov_b32 s17, exec_lo
	s_delay_alu instid0(VALU_DEP_1)
	v_mov_b64_e32 v[32:33], v[22:23]
	v_cmpx_gt_u32_e32 8, v5
; %bb.1010:                             ;   in Loop: Header=BB366_998 Depth=1
	v_clz_i32_u32_e32 v4, v22
	s_delay_alu instid0(VALU_DEP_1) | instskip(NEXT) | instid1(VALU_DEP_1)
	v_min_u32_e32 v4, 32, v4
	v_subrev_nc_u32_e32 v5, 28, v4
	s_delay_alu instid0(VALU_DEP_1) | instskip(NEXT) | instid1(VALU_DEP_1)
	v_lshlrev_b64_e32 v[6:7], v5, v[22:23]
	v_dual_sub_nc_u32 v4, 29, v4 :: v_dual_bitop2_b32 v32, 7, v6 bitop3:0x40
; %bb.1011:                             ;   in Loop: Header=BB366_998 Depth=1
	s_or_b32 exec_lo, exec_lo, s17
	s_delay_alu instid0(VALU_DEP_1) | instskip(NEXT) | instid1(VALU_DEP_2)
	v_dual_lshlrev_b32 v5, 16, v18 :: v_dual_lshlrev_b32 v6, 20, v32
	v_lshl_add_u32 v4, v4, 23, 0x3c000000
	s_delay_alu instid0(VALU_DEP_2) | instskip(NEXT) | instid1(VALU_DEP_1)
	v_and_b32_e32 v5, 0x80000000, v5
	v_or3_b32 v4, v6, v5, v4
.LBB366_1012:                           ;   in Loop: Header=BB366_998 Depth=1
	s_or_b32 exec_lo, exec_lo, s16
.LBB366_1013:                           ;   in Loop: Header=BB366_998 Depth=1
	s_delay_alu instid0(SALU_CYCLE_1)
	s_or_b32 exec_lo, exec_lo, s15
.LBB366_1014:                           ;   in Loop: Header=BB366_998 Depth=1
	s_delay_alu instid0(SALU_CYCLE_1) | instskip(SKIP_2) | instid1(VALU_DEP_1)
	s_or_b32 exec_lo, exec_lo, s0
	v_lshrrev_b32_e32 v5, 16, v18
	s_mov_b32 s0, exec_lo
	v_and_b32_e32 v6, 0xff, v5
	s_delay_alu instid0(VALU_DEP_1)
	v_cmpx_ne_u16_e32 0, v6
	s_cbranch_execz .LBB366_1022
; %bb.1015:                             ;   in Loop: Header=BB366_998 Depth=1
	v_bfrev_b32_e32 v3, 1
	s_mov_b32 s15, exec_lo
	v_cmpx_ne_u16_e32 0x80, v6
	s_cbranch_execz .LBB366_1021
; %bb.1016:                             ;   in Loop: Header=BB366_998 Depth=1
	v_bfe_u32 v6, v18, 16, 7
	v_mov_b32_e32 v3, 0x7f800001
	s_mov_b32 s16, exec_lo
	s_delay_alu instid0(VALU_DEP_2)
	v_cmpx_ne_u32_e32 0x7f, v6
	s_cbranch_execz .LBB366_1020
; %bb.1017:                             ;   in Loop: Header=BB366_998 Depth=1
	v_dual_lshrrev_b32 v3, 3, v6 :: v_dual_bitop2_b32 v22, 7, v5 bitop3:0x40
	s_mov_b32 s17, exec_lo
	s_delay_alu instid0(VALU_DEP_1)
	v_mov_b64_e32 v[32:33], v[22:23]
	v_cmpx_gt_u32_e32 8, v6
; %bb.1018:                             ;   in Loop: Header=BB366_998 Depth=1
	v_clz_i32_u32_e32 v3, v22
	s_delay_alu instid0(VALU_DEP_1) | instskip(NEXT) | instid1(VALU_DEP_1)
	v_min_u32_e32 v3, 32, v3
	v_subrev_nc_u32_e32 v6, 28, v3
	s_delay_alu instid0(VALU_DEP_1) | instskip(NEXT) | instid1(VALU_DEP_1)
	v_lshlrev_b64_e32 v[6:7], v6, v[22:23]
	v_dual_sub_nc_u32 v3, 29, v3 :: v_dual_bitop2_b32 v32, 7, v6 bitop3:0x40
; %bb.1019:                             ;   in Loop: Header=BB366_998 Depth=1
	s_or_b32 exec_lo, exec_lo, s17
	s_delay_alu instid0(VALU_DEP_1) | instskip(NEXT) | instid1(VALU_DEP_2)
	v_dual_lshlrev_b32 v5, 24, v5 :: v_dual_lshlrev_b32 v6, 20, v32
	v_lshl_add_u32 v3, v3, 23, 0x3c000000
	s_delay_alu instid0(VALU_DEP_2) | instskip(NEXT) | instid1(VALU_DEP_1)
	v_and_b32_e32 v5, 0x80000000, v5
	v_or3_b32 v3, v6, v5, v3
.LBB366_1020:                           ;   in Loop: Header=BB366_998 Depth=1
	s_or_b32 exec_lo, exec_lo, s16
.LBB366_1021:                           ;   in Loop: Header=BB366_998 Depth=1
	s_delay_alu instid0(SALU_CYCLE_1)
	s_or_b32 exec_lo, exec_lo, s15
.LBB366_1022:                           ;   in Loop: Header=BB366_998 Depth=1
	s_delay_alu instid0(SALU_CYCLE_1)
	s_or_b32 exec_lo, exec_lo, s0
	v_dual_mov_b32 v5, 0 :: v_dual_mov_b32 v6, 0
	s_mov_b32 s0, exec_lo
	v_cmpx_lt_u32_e32 0xffffff, v18
	s_cbranch_execz .LBB366_1030
; %bb.1023:                             ;   in Loop: Header=BB366_998 Depth=1
	v_lshrrev_b32_e32 v7, 24, v18
	v_bfrev_b32_e32 v6, 1
	s_mov_b32 s15, exec_lo
	s_delay_alu instid0(VALU_DEP_2)
	v_cmpx_ne_u32_e32 0x80, v7
	s_cbranch_execz .LBB366_1029
; %bb.1024:                             ;   in Loop: Header=BB366_998 Depth=1
	v_bfe_u32 v8, v18, 24, 7
	v_mov_b32_e32 v6, 0x7f800001
	s_mov_b32 s16, exec_lo
	s_delay_alu instid0(VALU_DEP_2)
	v_cmpx_ne_u32_e32 0x7f, v8
	s_cbranch_execz .LBB366_1028
; %bb.1025:                             ;   in Loop: Header=BB366_998 Depth=1
	v_dual_lshrrev_b32 v6, 3, v8 :: v_dual_bitop2_b32 v22, 7, v7 bitop3:0x40
	s_mov_b32 s17, exec_lo
	s_delay_alu instid0(VALU_DEP_1)
	v_mov_b64_e32 v[32:33], v[22:23]
	v_cmpx_gt_u32_e32 8, v8
; %bb.1026:                             ;   in Loop: Header=BB366_998 Depth=1
	v_clz_i32_u32_e32 v6, v22
	s_delay_alu instid0(VALU_DEP_1) | instskip(NEXT) | instid1(VALU_DEP_1)
	v_min_u32_e32 v6, 32, v6
	v_subrev_nc_u32_e32 v8, 28, v6
	s_delay_alu instid0(VALU_DEP_1) | instskip(NEXT) | instid1(VALU_DEP_1)
	v_lshlrev_b64_e32 v[8:9], v8, v[22:23]
	v_dual_sub_nc_u32 v6, 29, v6 :: v_dual_bitop2_b32 v32, 7, v8 bitop3:0x40
; %bb.1027:                             ;   in Loop: Header=BB366_998 Depth=1
	s_or_b32 exec_lo, exec_lo, s17
	s_delay_alu instid0(VALU_DEP_1) | instskip(NEXT) | instid1(VALU_DEP_2)
	v_dual_lshlrev_b32 v7, 24, v7 :: v_dual_lshlrev_b32 v8, 20, v32
	v_lshl_add_u32 v6, v6, 23, 0x3c000000
	s_delay_alu instid0(VALU_DEP_2) | instskip(NEXT) | instid1(VALU_DEP_1)
	v_and_b32_e32 v7, 0x80000000, v7
	v_or3_b32 v6, v8, v7, v6
.LBB366_1028:                           ;   in Loop: Header=BB366_998 Depth=1
	s_or_b32 exec_lo, exec_lo, s16
.LBB366_1029:                           ;   in Loop: Header=BB366_998 Depth=1
	s_delay_alu instid0(SALU_CYCLE_1)
	s_or_b32 exec_lo, exec_lo, s15
.LBB366_1030:                           ;   in Loop: Header=BB366_998 Depth=1
	s_delay_alu instid0(SALU_CYCLE_1) | instskip(SKIP_3) | instid1(VALU_DEP_2)
	s_or_b32 exec_lo, exec_lo, s0
	v_and_b32_e32 v7, 0xff, v19
	v_mov_b32_e32 v22, v19
	s_mov_b32 s0, exec_lo
	v_cmpx_ne_u16_e32 0, v7
	s_cbranch_execz .LBB366_1038
; %bb.1031:                             ;   in Loop: Header=BB366_998 Depth=1
	v_bfrev_b32_e32 v5, 1
	s_mov_b32 s15, exec_lo
	v_cmpx_ne_u16_e32 0x80, v7
	s_cbranch_execz .LBB366_1037
; %bb.1032:                             ;   in Loop: Header=BB366_998 Depth=1
	v_and_b32_e32 v7, 0x7f, v19
	v_mov_b32_e32 v5, 0x7f800001
	s_mov_b32 s16, exec_lo
	s_delay_alu instid0(VALU_DEP_2)
	v_cmpx_ne_u32_e32 0x7f, v7
	s_cbranch_execz .LBB366_1036
; %bb.1033:                             ;   in Loop: Header=BB366_998 Depth=1
	v_mov_b64_e32 v[32:33], v[22:23]
	v_lshrrev_b32_e32 v5, 3, v7
	s_mov_b32 s17, exec_lo
	v_cmpx_gt_u32_e32 8, v7
; %bb.1034:                             ;   in Loop: Header=BB366_998 Depth=1
	v_and_b32_e32 v5, 7, v19
	s_delay_alu instid0(VALU_DEP_1) | instskip(NEXT) | instid1(VALU_DEP_1)
	v_clz_i32_u32_e32 v5, v5
	v_min_u32_e32 v5, 32, v5
	s_delay_alu instid0(VALU_DEP_1) | instskip(SKIP_1) | instid1(VALU_DEP_2)
	v_subrev_nc_u32_e32 v7, 28, v5
	v_sub_nc_u32_e32 v5, 29, v5
	v_lshlrev_b64_e32 v[32:33], v7, v[22:23]
; %bb.1035:                             ;   in Loop: Header=BB366_998 Depth=1
	s_or_b32 exec_lo, exec_lo, s17
	s_delay_alu instid0(VALU_DEP_1) | instskip(NEXT) | instid1(VALU_DEP_3)
	v_dual_lshlrev_b32 v7, 20, v32 :: v_dual_lshlrev_b32 v8, 24, v22
	v_lshl_add_u32 v5, v5, 23, 0x3c000000
	s_delay_alu instid0(VALU_DEP_2) | instskip(NEXT) | instid1(VALU_DEP_3)
	v_and_b32_e32 v7, 0x700000, v7
	v_and_b32_e32 v8, 0x80000000, v8
	s_delay_alu instid0(VALU_DEP_1)
	v_or3_b32 v5, v7, v8, v5
.LBB366_1036:                           ;   in Loop: Header=BB366_998 Depth=1
	s_or_b32 exec_lo, exec_lo, s16
.LBB366_1037:                           ;   in Loop: Header=BB366_998 Depth=1
	s_delay_alu instid0(SALU_CYCLE_1)
	s_or_b32 exec_lo, exec_lo, s15
.LBB366_1038:                           ;   in Loop: Header=BB366_998 Depth=1
	s_delay_alu instid0(SALU_CYCLE_1) | instskip(SKIP_3) | instid1(VALU_DEP_2)
	s_or_b32 exec_lo, exec_lo, s0
	v_lshrrev_b16 v9, 8, v22
	v_dual_mov_b32 v7, 0 :: v_dual_mov_b32 v8, 0
	s_mov_b32 s0, exec_lo
	v_cmpx_ne_u16_e32 0, v9
	s_cbranch_execz .LBB366_1046
; %bb.1039:                             ;   in Loop: Header=BB366_998 Depth=1
	v_bfrev_b32_e32 v8, 1
	s_mov_b32 s15, exec_lo
	v_cmpx_ne_u16_e32 0x80, v9
	s_cbranch_execz .LBB366_1045
; %bb.1040:                             ;   in Loop: Header=BB366_998 Depth=1
	v_and_b32_e32 v30, 0xffff, v9
	v_mov_b32_e32 v8, 0x7f800001
	s_mov_b32 s16, exec_lo
	s_delay_alu instid0(VALU_DEP_2) | instskip(NEXT) | instid1(VALU_DEP_1)
	v_and_b32_e32 v9, 0x7f, v30
	v_cmpx_ne_u32_e32 0x7f, v9
	s_cbranch_execz .LBB366_1044
; %bb.1041:                             ;   in Loop: Header=BB366_998 Depth=1
	v_dual_mov_b32 v33, v23 :: v_dual_bitop2_b32 v32, 7, v30 bitop3:0x40
	v_lshrrev_b32_e32 v8, 3, v9
	s_mov_b32 s17, exec_lo
	v_cmpx_gt_u32_e32 8, v9
; %bb.1042:                             ;   in Loop: Header=BB366_998 Depth=1
	s_delay_alu instid0(VALU_DEP_3) | instskip(NEXT) | instid1(VALU_DEP_1)
	v_clz_i32_u32_e32 v8, v32
	v_min_u32_e32 v8, 32, v8
	s_delay_alu instid0(VALU_DEP_1) | instskip(NEXT) | instid1(VALU_DEP_1)
	v_subrev_nc_u32_e32 v9, 28, v8
	v_lshlrev_b64_e32 v[30:31], v9, v[32:33]
	s_delay_alu instid0(VALU_DEP_1)
	v_dual_sub_nc_u32 v8, 29, v8 :: v_dual_bitop2_b32 v32, 7, v30 bitop3:0x40
; %bb.1043:                             ;   in Loop: Header=BB366_998 Depth=1
	s_or_b32 exec_lo, exec_lo, s17
	s_delay_alu instid0(VALU_DEP_1) | instskip(NEXT) | instid1(VALU_DEP_2)
	v_dual_lshlrev_b32 v9, 16, v22 :: v_dual_lshlrev_b32 v22, 20, v32
	v_lshl_add_u32 v8, v8, 23, 0x3c000000
	s_delay_alu instid0(VALU_DEP_2) | instskip(NEXT) | instid1(VALU_DEP_1)
	v_and_b32_e32 v9, 0x80000000, v9
	v_or3_b32 v8, v22, v9, v8
.LBB366_1044:                           ;   in Loop: Header=BB366_998 Depth=1
	s_or_b32 exec_lo, exec_lo, s16
.LBB366_1045:                           ;   in Loop: Header=BB366_998 Depth=1
	s_delay_alu instid0(SALU_CYCLE_1)
	s_or_b32 exec_lo, exec_lo, s15
.LBB366_1046:                           ;   in Loop: Header=BB366_998 Depth=1
	s_delay_alu instid0(SALU_CYCLE_1) | instskip(SKIP_2) | instid1(VALU_DEP_1)
	s_or_b32 exec_lo, exec_lo, s0
	v_lshrrev_b32_e32 v9, 16, v19
	s_mov_b32 s0, exec_lo
	v_and_b32_e32 v22, 0xff, v9
	s_delay_alu instid0(VALU_DEP_1)
	v_cmpx_ne_u16_e32 0, v22
	s_cbranch_execz .LBB366_1054
; %bb.1047:                             ;   in Loop: Header=BB366_998 Depth=1
	v_bfrev_b32_e32 v7, 1
	s_mov_b32 s15, exec_lo
	v_cmpx_ne_u16_e32 0x80, v22
	s_cbranch_execz .LBB366_1053
; %bb.1048:                             ;   in Loop: Header=BB366_998 Depth=1
	v_bfe_u32 v30, v19, 16, 7
	v_mov_b32_e32 v7, 0x7f800001
	s_mov_b32 s16, exec_lo
	s_delay_alu instid0(VALU_DEP_2)
	v_cmpx_ne_u32_e32 0x7f, v30
	s_cbranch_execz .LBB366_1052
; %bb.1049:                             ;   in Loop: Header=BB366_998 Depth=1
	v_dual_lshrrev_b32 v7, 3, v30 :: v_dual_bitop2_b32 v22, 7, v9 bitop3:0x40
	s_mov_b32 s17, exec_lo
	s_delay_alu instid0(VALU_DEP_1)
	v_mov_b64_e32 v[32:33], v[22:23]
	v_cmpx_gt_u32_e32 8, v30
; %bb.1050:                             ;   in Loop: Header=BB366_998 Depth=1
	v_clz_i32_u32_e32 v7, v22
	s_delay_alu instid0(VALU_DEP_1) | instskip(NEXT) | instid1(VALU_DEP_1)
	v_min_u32_e32 v7, 32, v7
	v_subrev_nc_u32_e32 v30, 28, v7
	s_delay_alu instid0(VALU_DEP_1) | instskip(NEXT) | instid1(VALU_DEP_1)
	v_lshlrev_b64_e32 v[30:31], v30, v[22:23]
	v_dual_sub_nc_u32 v7, 29, v7 :: v_dual_bitop2_b32 v32, 7, v30 bitop3:0x40
; %bb.1051:                             ;   in Loop: Header=BB366_998 Depth=1
	s_or_b32 exec_lo, exec_lo, s17
	s_delay_alu instid0(VALU_DEP_1) | instskip(NEXT) | instid1(VALU_DEP_2)
	v_dual_lshlrev_b32 v9, 24, v9 :: v_dual_lshlrev_b32 v22, 20, v32
	v_lshl_add_u32 v7, v7, 23, 0x3c000000
	s_delay_alu instid0(VALU_DEP_2) | instskip(NEXT) | instid1(VALU_DEP_1)
	v_and_b32_e32 v9, 0x80000000, v9
	v_or3_b32 v7, v22, v9, v7
.LBB366_1052:                           ;   in Loop: Header=BB366_998 Depth=1
	s_or_b32 exec_lo, exec_lo, s16
.LBB366_1053:                           ;   in Loop: Header=BB366_998 Depth=1
	s_delay_alu instid0(SALU_CYCLE_1)
	s_or_b32 exec_lo, exec_lo, s15
.LBB366_1054:                           ;   in Loop: Header=BB366_998 Depth=1
	s_delay_alu instid0(SALU_CYCLE_1)
	s_or_b32 exec_lo, exec_lo, s0
	v_cmp_lt_u64_e32 vcc_lo, s[2:3], v[18:19]
	v_mov_b32_e32 v18, 0
	s_and_saveexec_b32 s0, vcc_lo
	s_cbranch_execz .LBB366_1062
; %bb.1055:                             ;   in Loop: Header=BB366_998 Depth=1
	v_lshrrev_b32_e32 v9, 24, v19
	v_bfrev_b32_e32 v18, 1
	s_mov_b32 s15, exec_lo
	s_delay_alu instid0(VALU_DEP_2)
	v_cmpx_ne_u32_e32 0x80, v9
	s_cbranch_execz .LBB366_1061
; %bb.1056:                             ;   in Loop: Header=BB366_998 Depth=1
	v_bfe_u32 v19, v19, 24, 7
	v_mov_b32_e32 v18, 0x7f800001
	s_mov_b32 s16, exec_lo
	s_delay_alu instid0(VALU_DEP_2)
	v_cmpx_ne_u32_e32 0x7f, v19
	s_cbranch_execz .LBB366_1060
; %bb.1057:                             ;   in Loop: Header=BB366_998 Depth=1
	v_dual_lshrrev_b32 v30, 3, v19 :: v_dual_bitop2_b32 v22, 7, v9 bitop3:0x40
	v_cmp_gt_u32_e32 vcc_lo, 8, v19
	s_delay_alu instid0(VALU_DEP_2)
	v_mov_b64_e32 v[18:19], v[22:23]
	s_and_saveexec_b32 s17, vcc_lo
; %bb.1058:                             ;   in Loop: Header=BB366_998 Depth=1
	v_clz_i32_u32_e32 v18, v22
	s_delay_alu instid0(VALU_DEP_1) | instskip(NEXT) | instid1(VALU_DEP_1)
	v_min_u32_e32 v30, 32, v18
	v_subrev_nc_u32_e32 v18, 28, v30
	v_sub_nc_u32_e32 v30, 29, v30
	s_delay_alu instid0(VALU_DEP_2) | instskip(NEXT) | instid1(VALU_DEP_1)
	v_lshlrev_b64_e32 v[18:19], v18, v[22:23]
	v_and_b32_e32 v18, 7, v18
; %bb.1059:                             ;   in Loop: Header=BB366_998 Depth=1
	s_or_b32 exec_lo, exec_lo, s17
	s_delay_alu instid0(VALU_DEP_1) | instskip(SKIP_1) | instid1(VALU_DEP_2)
	v_dual_lshlrev_b32 v9, 24, v9 :: v_dual_lshlrev_b32 v18, 20, v18
	v_lshl_add_u32 v19, v30, 23, 0x3c000000
	v_and_b32_e32 v9, 0x80000000, v9
	s_delay_alu instid0(VALU_DEP_1)
	v_or3_b32 v18, v18, v9, v19
.LBB366_1060:                           ;   in Loop: Header=BB366_998 Depth=1
	s_or_b32 exec_lo, exec_lo, s16
.LBB366_1061:                           ;   in Loop: Header=BB366_998 Depth=1
	s_delay_alu instid0(SALU_CYCLE_1)
	s_or_b32 exec_lo, exec_lo, s15
.LBB366_1062:                           ;   in Loop: Header=BB366_998 Depth=1
	s_delay_alu instid0(SALU_CYCLE_1)
	s_or_b32 exec_lo, exec_lo, s0
	scratch_load_b32 v9, off, s32 offset:200 ; 4-byte Folded Reload
	v_fma_mixlo_bf16 v8, v48, v8, 0
	v_fma_mixlo_bf16 v5, v48, v5, 0
	;; [unrolled: 1-line block ×4, first 2 shown]
	v_dual_add_nc_u32 v98, -7, v49 :: v_dual_add_nc_u32 v102, -6, v49
	s_clause 0x1
	scratch_store_b32 off, v8, s32 offset:192
	scratch_store_b32 off, v2, s32 offset:228
	s_wait_xcnt 0x0
	v_fma_mixlo_bf16 v2, v48, v7, 0
	scratch_store_b32 off, v5, s32 offset:204 ; 4-byte Folded Spill
	s_wait_xcnt 0x0
	v_fma_mixlo_bf16 v5, v48, v6, 0
	v_dual_add_nc_u32 v101, -5, v49 :: v_dual_add_nc_u32 v100, -4, v49
	scratch_store_b32 off, v2, s32 offset:208 ; 4-byte Folded Spill
	s_wait_xcnt 0x0
	v_fma_mixlo_bf16 v2, v48, v18, 0
	s_clause 0x1
	scratch_store_b32 off, v5, s32 offset:216
	scratch_store_b32 off, v3, s32 offset:220
	s_wait_xcnt 0x0
	v_fma_mixlo_bf16 v3, v48, v4, 0
	v_dual_add_nc_u32 v99, -3, v49 :: v_dual_add_nc_u32 v97, -2, v49
	v_add_nc_u32_e32 v86, -1, v49
	s_clause 0x1
	scratch_store_b32 off, v2, s32 offset:212
	scratch_store_b32 off, v3, s32 offset:224
	s_wait_loadcnt 0x0
	v_add_nc_u32_e32 v9, -1, v9
	s_delay_alu instid0(VALU_DEP_1)
	v_cmp_eq_u32_e32 vcc_lo, v9, v51
	s_wait_xcnt 0x0
	s_and_saveexec_b32 s15, vcc_lo
	s_cbranch_execz .LBB366_1064
; %bb.1063:                             ;   in Loop: Header=BB366_998 Depth=1
	scratch_load_b32 v2, off, s32 offset:228 ; 4-byte Folded Reload
	v_cmp_lt_i32_e64 s0, v98, v34
	s_wait_loadcnt 0x0
	s_delay_alu instid0(VALU_DEP_1)
	v_cndmask_b32_e64 v2, 0, v2, s0
	v_cmp_lt_i32_e64 s0, v102, v34
	s_clause 0x1
	scratch_store_b32 off, v2, s32 offset:228
	scratch_load_b32 v2, off, s32 offset:224
	s_wait_loadcnt 0x0
	v_cndmask_b32_e64 v2, 0, v2, s0
	v_cmp_lt_i32_e64 s0, v101, v34
	s_clause 0x1
	scratch_store_b32 off, v2, s32 offset:224
	scratch_load_b32 v2, off, s32 offset:220
	s_wait_loadcnt 0x0
	;; [unrolled: 6-line block ×7, first 2 shown]
	v_cndmask_b32_e64 v2, 0, v2, s0
	scratch_store_b32 off, v2, s32 offset:212 ; 4-byte Folded Spill
.LBB366_1064:                           ;   in Loop: Header=BB366_998 Depth=1
	s_wait_xcnt 0x0
	s_or_b32 exec_lo, exec_lo, s15
	flat_load_b64 v[18:19], v[0:1] offset:256
	v_dual_mov_b32 v3, 0 :: v_dual_mov_b32 v2, 0
	s_mov_b32 s15, exec_lo
	s_wait_loadcnt_dscnt 0x0
	v_and_b32_e32 v4, 0xff, v18
	s_wait_xcnt 0x0
	s_delay_alu instid0(VALU_DEP_1)
	v_cmpx_ne_u16_e32 0, v4
	s_cbranch_execz .LBB366_1072
; %bb.1065:                             ;   in Loop: Header=BB366_998 Depth=1
	v_bfrev_b32_e32 v2, 1
	s_mov_b32 s16, exec_lo
	v_cmpx_ne_u16_e32 0x80, v4
	s_cbranch_execz .LBB366_1071
; %bb.1066:                             ;   in Loop: Header=BB366_998 Depth=1
	v_and_b32_e32 v4, 0x7f, v18
	v_mov_b32_e32 v2, 0x7f800001
	s_mov_b32 s17, exec_lo
	s_delay_alu instid0(VALU_DEP_2)
	v_cmpx_ne_u32_e32 0x7f, v4
	s_cbranch_execz .LBB366_1070
; %bb.1067:                             ;   in Loop: Header=BB366_998 Depth=1
	v_mov_b64_e32 v[32:33], v[18:19]
	v_lshrrev_b32_e32 v2, 3, v4
	s_mov_b32 s18, exec_lo
	v_cmpx_gt_u32_e32 8, v4
; %bb.1068:                             ;   in Loop: Header=BB366_998 Depth=1
	v_and_b32_e32 v2, 7, v18
	s_delay_alu instid0(VALU_DEP_1) | instskip(NEXT) | instid1(VALU_DEP_1)
	v_clz_i32_u32_e32 v2, v2
	v_min_u32_e32 v2, 32, v2
	s_delay_alu instid0(VALU_DEP_1) | instskip(SKIP_1) | instid1(VALU_DEP_2)
	v_subrev_nc_u32_e32 v4, 28, v2
	v_sub_nc_u32_e32 v2, 29, v2
	v_lshlrev_b64_e32 v[32:33], v4, v[18:19]
; %bb.1069:                             ;   in Loop: Header=BB366_998 Depth=1
	s_or_b32 exec_lo, exec_lo, s18
	s_delay_alu instid0(VALU_DEP_1) | instskip(NEXT) | instid1(VALU_DEP_3)
	v_dual_lshlrev_b32 v4, 20, v32 :: v_dual_lshlrev_b32 v5, 24, v18
	v_lshl_add_u32 v2, v2, 23, 0x3c000000
	s_delay_alu instid0(VALU_DEP_2) | instskip(NEXT) | instid1(VALU_DEP_3)
	v_and_b32_e32 v4, 0x700000, v4
	v_and_b32_e32 v5, 0x80000000, v5
	s_delay_alu instid0(VALU_DEP_1)
	v_or3_b32 v2, v4, v5, v2
.LBB366_1070:                           ;   in Loop: Header=BB366_998 Depth=1
	s_or_b32 exec_lo, exec_lo, s17
.LBB366_1071:                           ;   in Loop: Header=BB366_998 Depth=1
	s_delay_alu instid0(SALU_CYCLE_1)
	s_or_b32 exec_lo, exec_lo, s16
.LBB366_1072:                           ;   in Loop: Header=BB366_998 Depth=1
	s_delay_alu instid0(SALU_CYCLE_1) | instskip(SKIP_2) | instid1(VALU_DEP_1)
	s_or_b32 exec_lo, exec_lo, s15
	v_lshrrev_b16 v4, 8, v18
	s_mov_b32 s15, exec_lo
	v_cmpx_ne_u16_e32 0, v4
	s_cbranch_execz .LBB366_1080
; %bb.1073:                             ;   in Loop: Header=BB366_998 Depth=1
	v_bfrev_b32_e32 v3, 1
	s_mov_b32 s16, exec_lo
	v_cmpx_ne_u16_e32 0x80, v4
	s_cbranch_execz .LBB366_1079
; %bb.1074:                             ;   in Loop: Header=BB366_998 Depth=1
	v_and_b32_e32 v5, 0xffff, v4
	v_mov_b32_e32 v3, 0x7f800001
	s_mov_b32 s17, exec_lo
	s_delay_alu instid0(VALU_DEP_2) | instskip(NEXT) | instid1(VALU_DEP_1)
	v_and_b32_e32 v4, 0x7f, v5
	v_cmpx_ne_u32_e32 0x7f, v4
	s_cbranch_execz .LBB366_1078
; %bb.1075:                             ;   in Loop: Header=BB366_998 Depth=1
	v_dual_lshrrev_b32 v3, 3, v4 :: v_dual_bitop2_b32 v22, 7, v5 bitop3:0x40
	s_mov_b32 s18, exec_lo
	s_delay_alu instid0(VALU_DEP_1)
	v_mov_b64_e32 v[32:33], v[22:23]
	v_cmpx_gt_u32_e32 8, v4
; %bb.1076:                             ;   in Loop: Header=BB366_998 Depth=1
	v_clz_i32_u32_e32 v3, v22
	s_delay_alu instid0(VALU_DEP_1) | instskip(NEXT) | instid1(VALU_DEP_1)
	v_min_u32_e32 v3, 32, v3
	v_subrev_nc_u32_e32 v4, 28, v3
	s_delay_alu instid0(VALU_DEP_1) | instskip(NEXT) | instid1(VALU_DEP_1)
	v_lshlrev_b64_e32 v[4:5], v4, v[22:23]
	v_dual_sub_nc_u32 v3, 29, v3 :: v_dual_bitop2_b32 v32, 7, v4 bitop3:0x40
; %bb.1077:                             ;   in Loop: Header=BB366_998 Depth=1
	s_or_b32 exec_lo, exec_lo, s18
	s_delay_alu instid0(VALU_DEP_1) | instskip(NEXT) | instid1(VALU_DEP_2)
	v_dual_lshlrev_b32 v4, 16, v18 :: v_dual_lshlrev_b32 v5, 20, v32
	v_lshl_add_u32 v3, v3, 23, 0x3c000000
	s_delay_alu instid0(VALU_DEP_2) | instskip(NEXT) | instid1(VALU_DEP_1)
	v_and_b32_e32 v4, 0x80000000, v4
	v_or3_b32 v3, v5, v4, v3
.LBB366_1078:                           ;   in Loop: Header=BB366_998 Depth=1
	s_or_b32 exec_lo, exec_lo, s17
.LBB366_1079:                           ;   in Loop: Header=BB366_998 Depth=1
	s_delay_alu instid0(SALU_CYCLE_1)
	s_or_b32 exec_lo, exec_lo, s16
.LBB366_1080:                           ;   in Loop: Header=BB366_998 Depth=1
	s_delay_alu instid0(SALU_CYCLE_1) | instskip(SKIP_3) | instid1(VALU_DEP_2)
	s_or_b32 exec_lo, exec_lo, s15
	v_dual_mov_b32 v5, 0 :: v_dual_lshrrev_b32 v6, 16, v18
	v_mov_b32_e32 v4, 0
	s_mov_b32 s15, exec_lo
	v_and_b32_e32 v7, 0xff, v6
	s_delay_alu instid0(VALU_DEP_1)
	v_cmpx_ne_u16_e32 0, v7
	s_cbranch_execz .LBB366_1088
; %bb.1081:                             ;   in Loop: Header=BB366_998 Depth=1
	v_bfrev_b32_e32 v4, 1
	s_mov_b32 s16, exec_lo
	v_cmpx_ne_u16_e32 0x80, v7
	s_cbranch_execz .LBB366_1087
; %bb.1082:                             ;   in Loop: Header=BB366_998 Depth=1
	v_bfe_u32 v7, v18, 16, 7
	v_mov_b32_e32 v4, 0x7f800001
	s_mov_b32 s17, exec_lo
	s_delay_alu instid0(VALU_DEP_2)
	v_cmpx_ne_u32_e32 0x7f, v7
	s_cbranch_execz .LBB366_1086
; %bb.1083:                             ;   in Loop: Header=BB366_998 Depth=1
	v_dual_lshrrev_b32 v4, 3, v7 :: v_dual_bitop2_b32 v22, 7, v6 bitop3:0x40
	s_mov_b32 s18, exec_lo
	s_delay_alu instid0(VALU_DEP_1)
	v_mov_b64_e32 v[32:33], v[22:23]
	v_cmpx_gt_u32_e32 8, v7
; %bb.1084:                             ;   in Loop: Header=BB366_998 Depth=1
	v_clz_i32_u32_e32 v4, v22
	s_delay_alu instid0(VALU_DEP_1) | instskip(NEXT) | instid1(VALU_DEP_1)
	v_min_u32_e32 v4, 32, v4
	v_subrev_nc_u32_e32 v7, 28, v4
	v_sub_nc_u32_e32 v4, 29, v4
	s_delay_alu instid0(VALU_DEP_2) | instskip(NEXT) | instid1(VALU_DEP_1)
	v_lshlrev_b64_e32 v[8:9], v7, v[22:23]
	v_and_b32_e32 v32, 7, v8
; %bb.1085:                             ;   in Loop: Header=BB366_998 Depth=1
	s_or_b32 exec_lo, exec_lo, s18
	s_delay_alu instid0(VALU_DEP_1) | instskip(SKIP_1) | instid1(VALU_DEP_2)
	v_dual_lshlrev_b32 v6, 24, v6 :: v_dual_lshlrev_b32 v7, 20, v32
	v_lshl_add_u32 v4, v4, 23, 0x3c000000
	v_and_b32_e32 v6, 0x80000000, v6
	s_delay_alu instid0(VALU_DEP_1)
	v_or3_b32 v4, v7, v6, v4
.LBB366_1086:                           ;   in Loop: Header=BB366_998 Depth=1
	s_or_b32 exec_lo, exec_lo, s17
.LBB366_1087:                           ;   in Loop: Header=BB366_998 Depth=1
	s_delay_alu instid0(SALU_CYCLE_1)
	s_or_b32 exec_lo, exec_lo, s16
.LBB366_1088:                           ;   in Loop: Header=BB366_998 Depth=1
	s_delay_alu instid0(SALU_CYCLE_1) | instskip(NEXT) | instid1(SALU_CYCLE_1)
	s_or_b32 exec_lo, exec_lo, s15
	s_mov_b32 s15, exec_lo
	v_cmpx_lt_u32_e32 0xffffff, v18
	s_cbranch_execz .LBB366_1096
; %bb.1089:                             ;   in Loop: Header=BB366_998 Depth=1
	v_lshrrev_b32_e32 v6, 24, v18
	v_bfrev_b32_e32 v5, 1
	s_mov_b32 s16, exec_lo
	s_delay_alu instid0(VALU_DEP_2)
	v_cmpx_ne_u32_e32 0x80, v6
	s_cbranch_execz .LBB366_1095
; %bb.1090:                             ;   in Loop: Header=BB366_998 Depth=1
	v_bfe_u32 v7, v18, 24, 7
	v_mov_b32_e32 v5, 0x7f800001
	s_mov_b32 s17, exec_lo
	s_delay_alu instid0(VALU_DEP_2)
	v_cmpx_ne_u32_e32 0x7f, v7
	s_cbranch_execz .LBB366_1094
; %bb.1091:                             ;   in Loop: Header=BB366_998 Depth=1
	v_dual_lshrrev_b32 v5, 3, v7 :: v_dual_bitop2_b32 v22, 7, v6 bitop3:0x40
	s_mov_b32 s18, exec_lo
	s_delay_alu instid0(VALU_DEP_1)
	v_mov_b64_e32 v[32:33], v[22:23]
	v_cmpx_gt_u32_e32 8, v7
; %bb.1092:                             ;   in Loop: Header=BB366_998 Depth=1
	v_clz_i32_u32_e32 v5, v22
	s_delay_alu instid0(VALU_DEP_1) | instskip(NEXT) | instid1(VALU_DEP_1)
	v_min_u32_e32 v5, 32, v5
	v_subrev_nc_u32_e32 v7, 28, v5
	s_delay_alu instid0(VALU_DEP_1) | instskip(NEXT) | instid1(VALU_DEP_1)
	v_lshlrev_b64_e32 v[8:9], v7, v[22:23]
	v_dual_sub_nc_u32 v5, 29, v5 :: v_dual_bitop2_b32 v32, 7, v8 bitop3:0x40
; %bb.1093:                             ;   in Loop: Header=BB366_998 Depth=1
	s_or_b32 exec_lo, exec_lo, s18
	s_delay_alu instid0(VALU_DEP_1) | instskip(NEXT) | instid1(VALU_DEP_2)
	v_dual_lshlrev_b32 v6, 24, v6 :: v_dual_lshlrev_b32 v7, 20, v32
	v_lshl_add_u32 v5, v5, 23, 0x3c000000
	s_delay_alu instid0(VALU_DEP_2) | instskip(NEXT) | instid1(VALU_DEP_1)
	v_and_b32_e32 v6, 0x80000000, v6
	v_or3_b32 v5, v7, v6, v5
.LBB366_1094:                           ;   in Loop: Header=BB366_998 Depth=1
	s_or_b32 exec_lo, exec_lo, s17
.LBB366_1095:                           ;   in Loop: Header=BB366_998 Depth=1
	s_delay_alu instid0(SALU_CYCLE_1)
	s_or_b32 exec_lo, exec_lo, s16
.LBB366_1096:                           ;   in Loop: Header=BB366_998 Depth=1
	s_delay_alu instid0(SALU_CYCLE_1) | instskip(SKIP_4) | instid1(VALU_DEP_3)
	s_or_b32 exec_lo, exec_lo, s15
	v_and_b32_e32 v8, 0xff, v19
	v_dual_mov_b32 v22, v19 :: v_dual_mov_b32 v7, 0
	v_mov_b32_e32 v6, 0
	s_mov_b32 s15, exec_lo
	v_cmpx_ne_u16_e32 0, v8
	s_cbranch_execz .LBB366_1104
; %bb.1097:                             ;   in Loop: Header=BB366_998 Depth=1
	v_bfrev_b32_e32 v6, 1
	s_mov_b32 s16, exec_lo
	v_cmpx_ne_u16_e32 0x80, v8
	s_cbranch_execz .LBB366_1103
; %bb.1098:                             ;   in Loop: Header=BB366_998 Depth=1
	v_and_b32_e32 v8, 0x7f, v19
	v_mov_b32_e32 v6, 0x7f800001
	s_mov_b32 s17, exec_lo
	s_delay_alu instid0(VALU_DEP_2)
	v_cmpx_ne_u32_e32 0x7f, v8
	s_cbranch_execz .LBB366_1102
; %bb.1099:                             ;   in Loop: Header=BB366_998 Depth=1
	v_mov_b64_e32 v[32:33], v[22:23]
	v_lshrrev_b32_e32 v6, 3, v8
	s_mov_b32 s18, exec_lo
	v_cmpx_gt_u32_e32 8, v8
; %bb.1100:                             ;   in Loop: Header=BB366_998 Depth=1
	v_and_b32_e32 v6, 7, v19
	s_delay_alu instid0(VALU_DEP_1) | instskip(NEXT) | instid1(VALU_DEP_1)
	v_clz_i32_u32_e32 v6, v6
	v_min_u32_e32 v6, 32, v6
	s_delay_alu instid0(VALU_DEP_1) | instskip(SKIP_1) | instid1(VALU_DEP_2)
	v_subrev_nc_u32_e32 v8, 28, v6
	v_sub_nc_u32_e32 v6, 29, v6
	v_lshlrev_b64_e32 v[32:33], v8, v[22:23]
; %bb.1101:                             ;   in Loop: Header=BB366_998 Depth=1
	s_or_b32 exec_lo, exec_lo, s18
	s_delay_alu instid0(VALU_DEP_1) | instskip(NEXT) | instid1(VALU_DEP_3)
	v_dual_lshlrev_b32 v8, 20, v32 :: v_dual_lshlrev_b32 v9, 24, v22
	v_lshl_add_u32 v6, v6, 23, 0x3c000000
	s_delay_alu instid0(VALU_DEP_2) | instskip(NEXT) | instid1(VALU_DEP_3)
	v_and_b32_e32 v8, 0x700000, v8
	v_and_b32_e32 v9, 0x80000000, v9
	s_delay_alu instid0(VALU_DEP_1)
	v_or3_b32 v6, v8, v9, v6
.LBB366_1102:                           ;   in Loop: Header=BB366_998 Depth=1
	s_or_b32 exec_lo, exec_lo, s17
.LBB366_1103:                           ;   in Loop: Header=BB366_998 Depth=1
	s_delay_alu instid0(SALU_CYCLE_1)
	s_or_b32 exec_lo, exec_lo, s16
.LBB366_1104:                           ;   in Loop: Header=BB366_998 Depth=1
	s_delay_alu instid0(SALU_CYCLE_1) | instskip(SKIP_2) | instid1(VALU_DEP_1)
	s_or_b32 exec_lo, exec_lo, s15
	v_lshrrev_b16 v8, 8, v22
	s_mov_b32 s15, exec_lo
	v_cmpx_ne_u16_e32 0, v8
	s_cbranch_execz .LBB366_1112
; %bb.1105:                             ;   in Loop: Header=BB366_998 Depth=1
	v_bfrev_b32_e32 v7, 1
	s_mov_b32 s16, exec_lo
	v_cmpx_ne_u16_e32 0x80, v8
	s_cbranch_execz .LBB366_1111
; %bb.1106:                             ;   in Loop: Header=BB366_998 Depth=1
	v_and_b32_e32 v9, 0xffff, v8
	v_mov_b32_e32 v7, 0x7f800001
	s_mov_b32 s17, exec_lo
	s_delay_alu instid0(VALU_DEP_2) | instskip(NEXT) | instid1(VALU_DEP_1)
	v_and_b32_e32 v8, 0x7f, v9
	v_cmpx_ne_u32_e32 0x7f, v8
	s_cbranch_execz .LBB366_1110
; %bb.1107:                             ;   in Loop: Header=BB366_998 Depth=1
	v_dual_mov_b32 v33, v23 :: v_dual_bitop2_b32 v32, 7, v9 bitop3:0x40
	v_lshrrev_b32_e32 v7, 3, v8
	s_mov_b32 s18, exec_lo
	v_cmpx_gt_u32_e32 8, v8
; %bb.1108:                             ;   in Loop: Header=BB366_998 Depth=1
	s_delay_alu instid0(VALU_DEP_3) | instskip(NEXT) | instid1(VALU_DEP_1)
	v_clz_i32_u32_e32 v7, v32
	v_min_u32_e32 v7, 32, v7
	s_delay_alu instid0(VALU_DEP_1) | instskip(NEXT) | instid1(VALU_DEP_1)
	v_subrev_nc_u32_e32 v8, 28, v7
	v_lshlrev_b64_e32 v[8:9], v8, v[32:33]
	s_delay_alu instid0(VALU_DEP_1)
	v_dual_sub_nc_u32 v7, 29, v7 :: v_dual_bitop2_b32 v32, 7, v8 bitop3:0x40
; %bb.1109:                             ;   in Loop: Header=BB366_998 Depth=1
	s_or_b32 exec_lo, exec_lo, s18
	s_delay_alu instid0(VALU_DEP_1) | instskip(NEXT) | instid1(VALU_DEP_2)
	v_dual_lshlrev_b32 v8, 16, v22 :: v_dual_lshlrev_b32 v9, 20, v32
	v_lshl_add_u32 v7, v7, 23, 0x3c000000
	s_delay_alu instid0(VALU_DEP_2) | instskip(NEXT) | instid1(VALU_DEP_1)
	v_and_b32_e32 v8, 0x80000000, v8
	v_or3_b32 v7, v9, v8, v7
.LBB366_1110:                           ;   in Loop: Header=BB366_998 Depth=1
	s_or_b32 exec_lo, exec_lo, s17
.LBB366_1111:                           ;   in Loop: Header=BB366_998 Depth=1
	s_delay_alu instid0(SALU_CYCLE_1)
	s_or_b32 exec_lo, exec_lo, s16
.LBB366_1112:                           ;   in Loop: Header=BB366_998 Depth=1
	s_delay_alu instid0(SALU_CYCLE_1) | instskip(SKIP_3) | instid1(VALU_DEP_2)
	s_or_b32 exec_lo, exec_lo, s15
	v_dual_lshrrev_b32 v30, 16, v19 :: v_dual_mov_b32 v8, 0
	v_mov_b32_e32 v9, 0
	s_mov_b32 s15, exec_lo
	v_and_b32_e32 v22, 0xff, v30
	s_delay_alu instid0(VALU_DEP_1)
	v_cmpx_ne_u16_e32 0, v22
	s_cbranch_execz .LBB366_1120
; %bb.1113:                             ;   in Loop: Header=BB366_998 Depth=1
	v_bfrev_b32_e32 v9, 1
	s_mov_b32 s16, exec_lo
	v_cmpx_ne_u16_e32 0x80, v22
	s_cbranch_execz .LBB366_1119
; %bb.1114:                             ;   in Loop: Header=BB366_998 Depth=1
	v_bfe_u32 v31, v19, 16, 7
	v_mov_b32_e32 v9, 0x7f800001
	s_mov_b32 s17, exec_lo
	s_delay_alu instid0(VALU_DEP_2)
	v_cmpx_ne_u32_e32 0x7f, v31
	s_cbranch_execz .LBB366_1118
; %bb.1115:                             ;   in Loop: Header=BB366_998 Depth=1
	v_dual_lshrrev_b32 v9, 3, v31 :: v_dual_bitop2_b32 v22, 7, v30 bitop3:0x40
	s_mov_b32 s18, exec_lo
	s_delay_alu instid0(VALU_DEP_1)
	v_mov_b64_e32 v[32:33], v[22:23]
	v_cmpx_gt_u32_e32 8, v31
; %bb.1116:                             ;   in Loop: Header=BB366_998 Depth=1
	v_clz_i32_u32_e32 v9, v22
	s_delay_alu instid0(VALU_DEP_1) | instskip(NEXT) | instid1(VALU_DEP_1)
	v_min_u32_e32 v9, 32, v9
	v_subrev_nc_u32_e32 v31, 28, v9
	s_delay_alu instid0(VALU_DEP_1) | instskip(NEXT) | instid1(VALU_DEP_1)
	v_lshlrev_b64_e32 v[32:33], v31, v[22:23]
	v_dual_sub_nc_u32 v9, 29, v9 :: v_dual_bitop2_b32 v32, 7, v32 bitop3:0x40
; %bb.1117:                             ;   in Loop: Header=BB366_998 Depth=1
	s_or_b32 exec_lo, exec_lo, s18
	s_delay_alu instid0(VALU_DEP_1) | instskip(NEXT) | instid1(VALU_DEP_2)
	v_dual_lshlrev_b32 v22, 24, v30 :: v_dual_lshlrev_b32 v30, 20, v32
	v_lshl_add_u32 v9, v9, 23, 0x3c000000
	s_delay_alu instid0(VALU_DEP_2) | instskip(NEXT) | instid1(VALU_DEP_1)
	v_and_b32_e32 v22, 0x80000000, v22
	v_or3_b32 v9, v30, v22, v9
.LBB366_1118:                           ;   in Loop: Header=BB366_998 Depth=1
	s_or_b32 exec_lo, exec_lo, s17
.LBB366_1119:                           ;   in Loop: Header=BB366_998 Depth=1
	s_delay_alu instid0(SALU_CYCLE_1)
	s_or_b32 exec_lo, exec_lo, s16
.LBB366_1120:                           ;   in Loop: Header=BB366_998 Depth=1
	s_delay_alu instid0(SALU_CYCLE_1) | instskip(NEXT) | instid1(SALU_CYCLE_1)
	s_or_b32 exec_lo, exec_lo, s15
	s_mov_b32 s15, exec_lo
	v_cmpx_lt_u64_e64 s[2:3], v[18:19]
	s_cbranch_execz .LBB366_1128
; %bb.1121:                             ;   in Loop: Header=BB366_998 Depth=1
	v_lshrrev_b32_e32 v30, 24, v19
	v_bfrev_b32_e32 v8, 1
	s_mov_b32 s16, exec_lo
	s_delay_alu instid0(VALU_DEP_2)
	v_cmpx_ne_u32_e32 0x80, v30
	s_cbranch_execz .LBB366_1127
; %bb.1122:                             ;   in Loop: Header=BB366_998 Depth=1
	v_bfe_u32 v18, v19, 24, 7
	v_mov_b32_e32 v8, 0x7f800001
	s_mov_b32 s17, exec_lo
	s_delay_alu instid0(VALU_DEP_2)
	v_cmpx_ne_u32_e32 0x7f, v18
	s_cbranch_execz .LBB366_1126
; %bb.1123:                             ;   in Loop: Header=BB366_998 Depth=1
	v_and_b32_e32 v22, 7, v30
	v_lshrrev_b32_e32 v8, 3, v18
	v_cmp_gt_u32_e64 s0, 8, v18
	s_delay_alu instid0(VALU_DEP_3)
	v_mov_b64_e32 v[18:19], v[22:23]
	s_and_saveexec_b32 s18, s0
; %bb.1124:                             ;   in Loop: Header=BB366_998 Depth=1
	v_clz_i32_u32_e32 v8, v22
	s_delay_alu instid0(VALU_DEP_1) | instskip(NEXT) | instid1(VALU_DEP_1)
	v_min_u32_e32 v8, 32, v8
	v_subrev_nc_u32_e32 v18, 28, v8
	s_delay_alu instid0(VALU_DEP_1) | instskip(NEXT) | instid1(VALU_DEP_1)
	v_lshlrev_b64_e32 v[18:19], v18, v[22:23]
	v_dual_sub_nc_u32 v8, 29, v8 :: v_dual_bitop2_b32 v18, 7, v18 bitop3:0x40
; %bb.1125:                             ;   in Loop: Header=BB366_998 Depth=1
	s_or_b32 exec_lo, exec_lo, s18
	v_lshlrev_b32_e32 v19, 24, v30
	s_delay_alu instid0(VALU_DEP_2) | instskip(NEXT) | instid1(VALU_DEP_3)
	v_lshlrev_b32_e32 v18, 20, v18
	v_lshl_add_u32 v8, v8, 23, 0x3c000000
	s_delay_alu instid0(VALU_DEP_3) | instskip(NEXT) | instid1(VALU_DEP_1)
	v_and_b32_e32 v19, 0x80000000, v19
	v_or3_b32 v8, v18, v19, v8
.LBB366_1126:                           ;   in Loop: Header=BB366_998 Depth=1
	s_or_b32 exec_lo, exec_lo, s17
.LBB366_1127:                           ;   in Loop: Header=BB366_998 Depth=1
	s_delay_alu instid0(SALU_CYCLE_1)
	s_or_b32 exec_lo, exec_lo, s16
.LBB366_1128:                           ;   in Loop: Header=BB366_998 Depth=1
	s_delay_alu instid0(SALU_CYCLE_1)
	s_or_b32 exec_lo, exec_lo, s15
	v_fma_mixlo_bf16 v2, v48, v2, 0
	v_fma_mixlo_bf16 v7, v48, v7, 0
	;; [unrolled: 1-line block ×5, first 2 shown]
	scratch_store_b32 off, v2, s32 offset:276 ; 4-byte Folded Spill
	s_wait_xcnt 0x0
	v_fma_mixlo_bf16 v2, v48, v9, 0
	s_clause 0x1
	scratch_store_b32 off, v7, s32 offset:232
	scratch_store_b32 off, v6, s32 offset:240
	v_fma_mixlo_bf16 v3, v48, v3, 0
	s_clause 0x1
	scratch_store_b32 off, v5, s32 offset:260
	scratch_store_b32 off, v2, s32 offset:248
	s_wait_xcnt 0x0
	v_fma_mixlo_bf16 v2, v48, v8, 0
	s_clause 0x2
	scratch_store_b32 off, v4, s32 offset:268
	scratch_store_b32 off, v3, s32 offset:272
	;; [unrolled: 1-line block ×3, first 2 shown]
	s_wait_xcnt 0x0
	s_and_saveexec_b32 s15, vcc_lo
	s_cbranch_execz .LBB366_1130
; %bb.1129:                             ;   in Loop: Header=BB366_998 Depth=1
	scratch_load_b32 v2, off, s32 offset:276 ; 4-byte Folded Reload
	v_cmp_lt_i32_e64 s0, v98, v34
	s_wait_loadcnt 0x0
	s_delay_alu instid0(VALU_DEP_1)
	v_cndmask_b32_e64 v2, 0, v2, s0
	v_cmp_lt_i32_e64 s0, v102, v34
	s_clause 0x1
	scratch_store_b32 off, v2, s32 offset:276
	scratch_load_b32 v2, off, s32 offset:272
	s_wait_loadcnt 0x0
	v_cndmask_b32_e64 v2, 0, v2, s0
	v_cmp_lt_i32_e64 s0, v101, v34
	s_clause 0x1
	scratch_store_b32 off, v2, s32 offset:272
	scratch_load_b32 v2, off, s32 offset:268
	s_wait_loadcnt 0x0
	;; [unrolled: 6-line block ×7, first 2 shown]
	v_cndmask_b32_e64 v2, 0, v2, s0
	scratch_store_b32 off, v2, s32 offset:256 ; 4-byte Folded Spill
.LBB366_1130:                           ;   in Loop: Header=BB366_998 Depth=1
	s_wait_xcnt 0x0
	s_or_b32 exec_lo, exec_lo, s15
	flat_load_b64 v[18:19], v[0:1] offset:512
	v_dual_mov_b32 v3, 0 :: v_dual_mov_b32 v2, 0
	s_mov_b32 s15, exec_lo
	s_wait_loadcnt_dscnt 0x0
	v_and_b32_e32 v4, 0xff, v18
	s_wait_xcnt 0x0
	s_delay_alu instid0(VALU_DEP_1)
	v_cmpx_ne_u16_e32 0, v4
	s_cbranch_execz .LBB366_1138
; %bb.1131:                             ;   in Loop: Header=BB366_998 Depth=1
	v_bfrev_b32_e32 v2, 1
	s_mov_b32 s16, exec_lo
	v_cmpx_ne_u16_e32 0x80, v4
	s_cbranch_execz .LBB366_1137
; %bb.1132:                             ;   in Loop: Header=BB366_998 Depth=1
	v_and_b32_e32 v4, 0x7f, v18
	v_mov_b32_e32 v2, 0x7f800001
	s_mov_b32 s17, exec_lo
	s_delay_alu instid0(VALU_DEP_2)
	v_cmpx_ne_u32_e32 0x7f, v4
	s_cbranch_execz .LBB366_1136
; %bb.1133:                             ;   in Loop: Header=BB366_998 Depth=1
	v_mov_b64_e32 v[32:33], v[18:19]
	v_lshrrev_b32_e32 v2, 3, v4
	s_mov_b32 s18, exec_lo
	v_cmpx_gt_u32_e32 8, v4
; %bb.1134:                             ;   in Loop: Header=BB366_998 Depth=1
	v_and_b32_e32 v2, 7, v18
	s_delay_alu instid0(VALU_DEP_1) | instskip(NEXT) | instid1(VALU_DEP_1)
	v_clz_i32_u32_e32 v2, v2
	v_min_u32_e32 v2, 32, v2
	s_delay_alu instid0(VALU_DEP_1) | instskip(SKIP_1) | instid1(VALU_DEP_2)
	v_subrev_nc_u32_e32 v4, 28, v2
	v_sub_nc_u32_e32 v2, 29, v2
	v_lshlrev_b64_e32 v[32:33], v4, v[18:19]
; %bb.1135:                             ;   in Loop: Header=BB366_998 Depth=1
	s_or_b32 exec_lo, exec_lo, s18
	s_delay_alu instid0(VALU_DEP_1) | instskip(NEXT) | instid1(VALU_DEP_3)
	v_dual_lshlrev_b32 v4, 20, v32 :: v_dual_lshlrev_b32 v5, 24, v18
	v_lshl_add_u32 v2, v2, 23, 0x3c000000
	s_delay_alu instid0(VALU_DEP_2) | instskip(NEXT) | instid1(VALU_DEP_3)
	v_and_b32_e32 v4, 0x700000, v4
	v_and_b32_e32 v5, 0x80000000, v5
	s_delay_alu instid0(VALU_DEP_1)
	v_or3_b32 v2, v4, v5, v2
.LBB366_1136:                           ;   in Loop: Header=BB366_998 Depth=1
	s_or_b32 exec_lo, exec_lo, s17
.LBB366_1137:                           ;   in Loop: Header=BB366_998 Depth=1
	s_delay_alu instid0(SALU_CYCLE_1)
	s_or_b32 exec_lo, exec_lo, s16
.LBB366_1138:                           ;   in Loop: Header=BB366_998 Depth=1
	s_delay_alu instid0(SALU_CYCLE_1) | instskip(SKIP_2) | instid1(VALU_DEP_1)
	s_or_b32 exec_lo, exec_lo, s15
	v_lshrrev_b16 v4, 8, v18
	s_mov_b32 s15, exec_lo
	v_cmpx_ne_u16_e32 0, v4
	s_cbranch_execz .LBB366_1146
; %bb.1139:                             ;   in Loop: Header=BB366_998 Depth=1
	v_bfrev_b32_e32 v3, 1
	s_mov_b32 s16, exec_lo
	v_cmpx_ne_u16_e32 0x80, v4
	s_cbranch_execz .LBB366_1145
; %bb.1140:                             ;   in Loop: Header=BB366_998 Depth=1
	v_and_b32_e32 v5, 0xffff, v4
	v_mov_b32_e32 v3, 0x7f800001
	s_mov_b32 s17, exec_lo
	s_delay_alu instid0(VALU_DEP_2) | instskip(NEXT) | instid1(VALU_DEP_1)
	v_and_b32_e32 v4, 0x7f, v5
	v_cmpx_ne_u32_e32 0x7f, v4
	s_cbranch_execz .LBB366_1144
; %bb.1141:                             ;   in Loop: Header=BB366_998 Depth=1
	v_dual_lshrrev_b32 v3, 3, v4 :: v_dual_bitop2_b32 v22, 7, v5 bitop3:0x40
	s_mov_b32 s18, exec_lo
	s_delay_alu instid0(VALU_DEP_1)
	v_mov_b64_e32 v[32:33], v[22:23]
	v_cmpx_gt_u32_e32 8, v4
; %bb.1142:                             ;   in Loop: Header=BB366_998 Depth=1
	v_clz_i32_u32_e32 v3, v22
	s_delay_alu instid0(VALU_DEP_1) | instskip(NEXT) | instid1(VALU_DEP_1)
	v_min_u32_e32 v3, 32, v3
	v_subrev_nc_u32_e32 v4, 28, v3
	s_delay_alu instid0(VALU_DEP_1) | instskip(NEXT) | instid1(VALU_DEP_1)
	v_lshlrev_b64_e32 v[4:5], v4, v[22:23]
	v_dual_sub_nc_u32 v3, 29, v3 :: v_dual_bitop2_b32 v32, 7, v4 bitop3:0x40
; %bb.1143:                             ;   in Loop: Header=BB366_998 Depth=1
	s_or_b32 exec_lo, exec_lo, s18
	s_delay_alu instid0(VALU_DEP_1) | instskip(NEXT) | instid1(VALU_DEP_2)
	v_dual_lshlrev_b32 v4, 16, v18 :: v_dual_lshlrev_b32 v5, 20, v32
	v_lshl_add_u32 v3, v3, 23, 0x3c000000
	s_delay_alu instid0(VALU_DEP_2) | instskip(NEXT) | instid1(VALU_DEP_1)
	v_and_b32_e32 v4, 0x80000000, v4
	v_or3_b32 v3, v5, v4, v3
.LBB366_1144:                           ;   in Loop: Header=BB366_998 Depth=1
	s_or_b32 exec_lo, exec_lo, s17
.LBB366_1145:                           ;   in Loop: Header=BB366_998 Depth=1
	s_delay_alu instid0(SALU_CYCLE_1)
	s_or_b32 exec_lo, exec_lo, s16
.LBB366_1146:                           ;   in Loop: Header=BB366_998 Depth=1
	s_delay_alu instid0(SALU_CYCLE_1) | instskip(SKIP_3) | instid1(VALU_DEP_2)
	s_or_b32 exec_lo, exec_lo, s15
	v_dual_mov_b32 v5, 0 :: v_dual_lshrrev_b32 v6, 16, v18
	v_mov_b32_e32 v4, 0
	s_mov_b32 s15, exec_lo
	v_and_b32_e32 v7, 0xff, v6
	s_delay_alu instid0(VALU_DEP_1)
	v_cmpx_ne_u16_e32 0, v7
	s_cbranch_execz .LBB366_1154
; %bb.1147:                             ;   in Loop: Header=BB366_998 Depth=1
	v_bfrev_b32_e32 v4, 1
	s_mov_b32 s16, exec_lo
	v_cmpx_ne_u16_e32 0x80, v7
	s_cbranch_execz .LBB366_1153
; %bb.1148:                             ;   in Loop: Header=BB366_998 Depth=1
	v_bfe_u32 v7, v18, 16, 7
	v_mov_b32_e32 v4, 0x7f800001
	s_mov_b32 s17, exec_lo
	s_delay_alu instid0(VALU_DEP_2)
	v_cmpx_ne_u32_e32 0x7f, v7
	s_cbranch_execz .LBB366_1152
; %bb.1149:                             ;   in Loop: Header=BB366_998 Depth=1
	v_dual_lshrrev_b32 v4, 3, v7 :: v_dual_bitop2_b32 v22, 7, v6 bitop3:0x40
	s_mov_b32 s18, exec_lo
	s_delay_alu instid0(VALU_DEP_1)
	v_mov_b64_e32 v[32:33], v[22:23]
	v_cmpx_gt_u32_e32 8, v7
; %bb.1150:                             ;   in Loop: Header=BB366_998 Depth=1
	v_clz_i32_u32_e32 v4, v22
	s_delay_alu instid0(VALU_DEP_1) | instskip(NEXT) | instid1(VALU_DEP_1)
	v_min_u32_e32 v4, 32, v4
	v_subrev_nc_u32_e32 v7, 28, v4
	v_sub_nc_u32_e32 v4, 29, v4
	s_delay_alu instid0(VALU_DEP_2) | instskip(NEXT) | instid1(VALU_DEP_1)
	v_lshlrev_b64_e32 v[8:9], v7, v[22:23]
	v_and_b32_e32 v32, 7, v8
; %bb.1151:                             ;   in Loop: Header=BB366_998 Depth=1
	s_or_b32 exec_lo, exec_lo, s18
	s_delay_alu instid0(VALU_DEP_1) | instskip(SKIP_1) | instid1(VALU_DEP_2)
	v_dual_lshlrev_b32 v6, 24, v6 :: v_dual_lshlrev_b32 v7, 20, v32
	v_lshl_add_u32 v4, v4, 23, 0x3c000000
	v_and_b32_e32 v6, 0x80000000, v6
	s_delay_alu instid0(VALU_DEP_1)
	v_or3_b32 v4, v7, v6, v4
.LBB366_1152:                           ;   in Loop: Header=BB366_998 Depth=1
	s_or_b32 exec_lo, exec_lo, s17
.LBB366_1153:                           ;   in Loop: Header=BB366_998 Depth=1
	s_delay_alu instid0(SALU_CYCLE_1)
	s_or_b32 exec_lo, exec_lo, s16
.LBB366_1154:                           ;   in Loop: Header=BB366_998 Depth=1
	s_delay_alu instid0(SALU_CYCLE_1) | instskip(NEXT) | instid1(SALU_CYCLE_1)
	s_or_b32 exec_lo, exec_lo, s15
	s_mov_b32 s15, exec_lo
	v_cmpx_lt_u32_e32 0xffffff, v18
	s_cbranch_execz .LBB366_1162
; %bb.1155:                             ;   in Loop: Header=BB366_998 Depth=1
	v_lshrrev_b32_e32 v6, 24, v18
	v_bfrev_b32_e32 v5, 1
	s_mov_b32 s16, exec_lo
	s_delay_alu instid0(VALU_DEP_2)
	v_cmpx_ne_u32_e32 0x80, v6
	s_cbranch_execz .LBB366_1161
; %bb.1156:                             ;   in Loop: Header=BB366_998 Depth=1
	v_bfe_u32 v7, v18, 24, 7
	v_mov_b32_e32 v5, 0x7f800001
	s_mov_b32 s17, exec_lo
	s_delay_alu instid0(VALU_DEP_2)
	v_cmpx_ne_u32_e32 0x7f, v7
	s_cbranch_execz .LBB366_1160
; %bb.1157:                             ;   in Loop: Header=BB366_998 Depth=1
	v_dual_lshrrev_b32 v5, 3, v7 :: v_dual_bitop2_b32 v22, 7, v6 bitop3:0x40
	s_mov_b32 s18, exec_lo
	s_delay_alu instid0(VALU_DEP_1)
	v_mov_b64_e32 v[32:33], v[22:23]
	v_cmpx_gt_u32_e32 8, v7
; %bb.1158:                             ;   in Loop: Header=BB366_998 Depth=1
	v_clz_i32_u32_e32 v5, v22
	s_delay_alu instid0(VALU_DEP_1) | instskip(NEXT) | instid1(VALU_DEP_1)
	v_min_u32_e32 v5, 32, v5
	v_subrev_nc_u32_e32 v7, 28, v5
	s_delay_alu instid0(VALU_DEP_1) | instskip(NEXT) | instid1(VALU_DEP_1)
	v_lshlrev_b64_e32 v[8:9], v7, v[22:23]
	v_dual_sub_nc_u32 v5, 29, v5 :: v_dual_bitop2_b32 v32, 7, v8 bitop3:0x40
; %bb.1159:                             ;   in Loop: Header=BB366_998 Depth=1
	s_or_b32 exec_lo, exec_lo, s18
	s_delay_alu instid0(VALU_DEP_1) | instskip(NEXT) | instid1(VALU_DEP_2)
	v_dual_lshlrev_b32 v6, 24, v6 :: v_dual_lshlrev_b32 v7, 20, v32
	v_lshl_add_u32 v5, v5, 23, 0x3c000000
	s_delay_alu instid0(VALU_DEP_2) | instskip(NEXT) | instid1(VALU_DEP_1)
	v_and_b32_e32 v6, 0x80000000, v6
	v_or3_b32 v5, v7, v6, v5
.LBB366_1160:                           ;   in Loop: Header=BB366_998 Depth=1
	s_or_b32 exec_lo, exec_lo, s17
.LBB366_1161:                           ;   in Loop: Header=BB366_998 Depth=1
	s_delay_alu instid0(SALU_CYCLE_1)
	s_or_b32 exec_lo, exec_lo, s16
.LBB366_1162:                           ;   in Loop: Header=BB366_998 Depth=1
	s_delay_alu instid0(SALU_CYCLE_1) | instskip(SKIP_4) | instid1(VALU_DEP_3)
	s_or_b32 exec_lo, exec_lo, s15
	v_and_b32_e32 v8, 0xff, v19
	v_dual_mov_b32 v22, v19 :: v_dual_mov_b32 v7, 0
	v_mov_b32_e32 v6, 0
	s_mov_b32 s15, exec_lo
	v_cmpx_ne_u16_e32 0, v8
	s_cbranch_execz .LBB366_1170
; %bb.1163:                             ;   in Loop: Header=BB366_998 Depth=1
	v_bfrev_b32_e32 v6, 1
	s_mov_b32 s16, exec_lo
	v_cmpx_ne_u16_e32 0x80, v8
	s_cbranch_execz .LBB366_1169
; %bb.1164:                             ;   in Loop: Header=BB366_998 Depth=1
	v_and_b32_e32 v8, 0x7f, v19
	v_mov_b32_e32 v6, 0x7f800001
	s_mov_b32 s17, exec_lo
	s_delay_alu instid0(VALU_DEP_2)
	v_cmpx_ne_u32_e32 0x7f, v8
	s_cbranch_execz .LBB366_1168
; %bb.1165:                             ;   in Loop: Header=BB366_998 Depth=1
	v_mov_b64_e32 v[32:33], v[22:23]
	v_lshrrev_b32_e32 v6, 3, v8
	s_mov_b32 s18, exec_lo
	v_cmpx_gt_u32_e32 8, v8
; %bb.1166:                             ;   in Loop: Header=BB366_998 Depth=1
	v_and_b32_e32 v6, 7, v19
	s_delay_alu instid0(VALU_DEP_1) | instskip(NEXT) | instid1(VALU_DEP_1)
	v_clz_i32_u32_e32 v6, v6
	v_min_u32_e32 v6, 32, v6
	s_delay_alu instid0(VALU_DEP_1) | instskip(SKIP_1) | instid1(VALU_DEP_2)
	v_subrev_nc_u32_e32 v8, 28, v6
	v_sub_nc_u32_e32 v6, 29, v6
	v_lshlrev_b64_e32 v[32:33], v8, v[22:23]
; %bb.1167:                             ;   in Loop: Header=BB366_998 Depth=1
	s_or_b32 exec_lo, exec_lo, s18
	s_delay_alu instid0(VALU_DEP_1) | instskip(NEXT) | instid1(VALU_DEP_3)
	v_dual_lshlrev_b32 v8, 20, v32 :: v_dual_lshlrev_b32 v9, 24, v22
	v_lshl_add_u32 v6, v6, 23, 0x3c000000
	s_delay_alu instid0(VALU_DEP_2) | instskip(NEXT) | instid1(VALU_DEP_3)
	v_and_b32_e32 v8, 0x700000, v8
	v_and_b32_e32 v9, 0x80000000, v9
	s_delay_alu instid0(VALU_DEP_1)
	v_or3_b32 v6, v8, v9, v6
.LBB366_1168:                           ;   in Loop: Header=BB366_998 Depth=1
	s_or_b32 exec_lo, exec_lo, s17
.LBB366_1169:                           ;   in Loop: Header=BB366_998 Depth=1
	s_delay_alu instid0(SALU_CYCLE_1)
	s_or_b32 exec_lo, exec_lo, s16
.LBB366_1170:                           ;   in Loop: Header=BB366_998 Depth=1
	s_delay_alu instid0(SALU_CYCLE_1) | instskip(SKIP_2) | instid1(VALU_DEP_1)
	s_or_b32 exec_lo, exec_lo, s15
	v_lshrrev_b16 v8, 8, v22
	s_mov_b32 s15, exec_lo
	v_cmpx_ne_u16_e32 0, v8
	s_cbranch_execz .LBB366_1178
; %bb.1171:                             ;   in Loop: Header=BB366_998 Depth=1
	v_bfrev_b32_e32 v7, 1
	s_mov_b32 s16, exec_lo
	v_cmpx_ne_u16_e32 0x80, v8
	s_cbranch_execz .LBB366_1177
; %bb.1172:                             ;   in Loop: Header=BB366_998 Depth=1
	v_and_b32_e32 v9, 0xffff, v8
	v_mov_b32_e32 v7, 0x7f800001
	s_mov_b32 s17, exec_lo
	s_delay_alu instid0(VALU_DEP_2) | instskip(NEXT) | instid1(VALU_DEP_1)
	v_and_b32_e32 v8, 0x7f, v9
	v_cmpx_ne_u32_e32 0x7f, v8
	s_cbranch_execz .LBB366_1176
; %bb.1173:                             ;   in Loop: Header=BB366_998 Depth=1
	v_dual_mov_b32 v33, v23 :: v_dual_bitop2_b32 v32, 7, v9 bitop3:0x40
	v_lshrrev_b32_e32 v7, 3, v8
	s_mov_b32 s18, exec_lo
	v_cmpx_gt_u32_e32 8, v8
; %bb.1174:                             ;   in Loop: Header=BB366_998 Depth=1
	s_delay_alu instid0(VALU_DEP_3) | instskip(NEXT) | instid1(VALU_DEP_1)
	v_clz_i32_u32_e32 v7, v32
	v_min_u32_e32 v7, 32, v7
	s_delay_alu instid0(VALU_DEP_1) | instskip(NEXT) | instid1(VALU_DEP_1)
	v_subrev_nc_u32_e32 v8, 28, v7
	v_lshlrev_b64_e32 v[8:9], v8, v[32:33]
	s_delay_alu instid0(VALU_DEP_1)
	v_dual_sub_nc_u32 v7, 29, v7 :: v_dual_bitop2_b32 v32, 7, v8 bitop3:0x40
; %bb.1175:                             ;   in Loop: Header=BB366_998 Depth=1
	s_or_b32 exec_lo, exec_lo, s18
	s_delay_alu instid0(VALU_DEP_1) | instskip(NEXT) | instid1(VALU_DEP_2)
	v_dual_lshlrev_b32 v8, 16, v22 :: v_dual_lshlrev_b32 v9, 20, v32
	v_lshl_add_u32 v7, v7, 23, 0x3c000000
	s_delay_alu instid0(VALU_DEP_2) | instskip(NEXT) | instid1(VALU_DEP_1)
	v_and_b32_e32 v8, 0x80000000, v8
	v_or3_b32 v7, v9, v8, v7
.LBB366_1176:                           ;   in Loop: Header=BB366_998 Depth=1
	s_or_b32 exec_lo, exec_lo, s17
.LBB366_1177:                           ;   in Loop: Header=BB366_998 Depth=1
	s_delay_alu instid0(SALU_CYCLE_1)
	s_or_b32 exec_lo, exec_lo, s16
.LBB366_1178:                           ;   in Loop: Header=BB366_998 Depth=1
	s_delay_alu instid0(SALU_CYCLE_1) | instskip(SKIP_3) | instid1(VALU_DEP_2)
	s_or_b32 exec_lo, exec_lo, s15
	v_dual_lshrrev_b32 v30, 16, v19 :: v_dual_mov_b32 v8, 0
	v_mov_b32_e32 v9, 0
	s_mov_b32 s15, exec_lo
	v_and_b32_e32 v22, 0xff, v30
	s_delay_alu instid0(VALU_DEP_1)
	v_cmpx_ne_u16_e32 0, v22
	s_cbranch_execz .LBB366_1186
; %bb.1179:                             ;   in Loop: Header=BB366_998 Depth=1
	v_bfrev_b32_e32 v9, 1
	s_mov_b32 s16, exec_lo
	v_cmpx_ne_u16_e32 0x80, v22
	s_cbranch_execz .LBB366_1185
; %bb.1180:                             ;   in Loop: Header=BB366_998 Depth=1
	v_bfe_u32 v31, v19, 16, 7
	v_mov_b32_e32 v9, 0x7f800001
	s_mov_b32 s17, exec_lo
	s_delay_alu instid0(VALU_DEP_2)
	v_cmpx_ne_u32_e32 0x7f, v31
	s_cbranch_execz .LBB366_1184
; %bb.1181:                             ;   in Loop: Header=BB366_998 Depth=1
	v_dual_lshrrev_b32 v9, 3, v31 :: v_dual_bitop2_b32 v22, 7, v30 bitop3:0x40
	s_mov_b32 s18, exec_lo
	s_delay_alu instid0(VALU_DEP_1)
	v_mov_b64_e32 v[32:33], v[22:23]
	v_cmpx_gt_u32_e32 8, v31
; %bb.1182:                             ;   in Loop: Header=BB366_998 Depth=1
	v_clz_i32_u32_e32 v9, v22
	s_delay_alu instid0(VALU_DEP_1) | instskip(NEXT) | instid1(VALU_DEP_1)
	v_min_u32_e32 v9, 32, v9
	v_subrev_nc_u32_e32 v31, 28, v9
	s_delay_alu instid0(VALU_DEP_1) | instskip(NEXT) | instid1(VALU_DEP_1)
	v_lshlrev_b64_e32 v[32:33], v31, v[22:23]
	v_dual_sub_nc_u32 v9, 29, v9 :: v_dual_bitop2_b32 v32, 7, v32 bitop3:0x40
; %bb.1183:                             ;   in Loop: Header=BB366_998 Depth=1
	s_or_b32 exec_lo, exec_lo, s18
	s_delay_alu instid0(VALU_DEP_1) | instskip(NEXT) | instid1(VALU_DEP_2)
	v_dual_lshlrev_b32 v22, 24, v30 :: v_dual_lshlrev_b32 v30, 20, v32
	v_lshl_add_u32 v9, v9, 23, 0x3c000000
	s_delay_alu instid0(VALU_DEP_2) | instskip(NEXT) | instid1(VALU_DEP_1)
	v_and_b32_e32 v22, 0x80000000, v22
	v_or3_b32 v9, v30, v22, v9
.LBB366_1184:                           ;   in Loop: Header=BB366_998 Depth=1
	s_or_b32 exec_lo, exec_lo, s17
.LBB366_1185:                           ;   in Loop: Header=BB366_998 Depth=1
	s_delay_alu instid0(SALU_CYCLE_1)
	s_or_b32 exec_lo, exec_lo, s16
.LBB366_1186:                           ;   in Loop: Header=BB366_998 Depth=1
	s_delay_alu instid0(SALU_CYCLE_1) | instskip(NEXT) | instid1(SALU_CYCLE_1)
	s_or_b32 exec_lo, exec_lo, s15
	s_mov_b32 s15, exec_lo
	v_cmpx_lt_u64_e64 s[2:3], v[18:19]
	s_cbranch_execz .LBB366_1194
; %bb.1187:                             ;   in Loop: Header=BB366_998 Depth=1
	v_lshrrev_b32_e32 v30, 24, v19
	v_bfrev_b32_e32 v8, 1
	s_mov_b32 s16, exec_lo
	s_delay_alu instid0(VALU_DEP_2)
	v_cmpx_ne_u32_e32 0x80, v30
	s_cbranch_execz .LBB366_1193
; %bb.1188:                             ;   in Loop: Header=BB366_998 Depth=1
	v_bfe_u32 v18, v19, 24, 7
	v_mov_b32_e32 v8, 0x7f800001
	s_mov_b32 s17, exec_lo
	s_delay_alu instid0(VALU_DEP_2)
	v_cmpx_ne_u32_e32 0x7f, v18
	s_cbranch_execz .LBB366_1192
; %bb.1189:                             ;   in Loop: Header=BB366_998 Depth=1
	v_and_b32_e32 v22, 7, v30
	v_lshrrev_b32_e32 v8, 3, v18
	v_cmp_gt_u32_e64 s0, 8, v18
	s_delay_alu instid0(VALU_DEP_3)
	v_mov_b64_e32 v[18:19], v[22:23]
	s_and_saveexec_b32 s18, s0
; %bb.1190:                             ;   in Loop: Header=BB366_998 Depth=1
	v_clz_i32_u32_e32 v8, v22
	s_delay_alu instid0(VALU_DEP_1) | instskip(NEXT) | instid1(VALU_DEP_1)
	v_min_u32_e32 v8, 32, v8
	v_subrev_nc_u32_e32 v18, 28, v8
	s_delay_alu instid0(VALU_DEP_1) | instskip(NEXT) | instid1(VALU_DEP_1)
	v_lshlrev_b64_e32 v[18:19], v18, v[22:23]
	v_dual_sub_nc_u32 v8, 29, v8 :: v_dual_bitop2_b32 v18, 7, v18 bitop3:0x40
; %bb.1191:                             ;   in Loop: Header=BB366_998 Depth=1
	s_or_b32 exec_lo, exec_lo, s18
	v_lshlrev_b32_e32 v19, 24, v30
	s_delay_alu instid0(VALU_DEP_2) | instskip(NEXT) | instid1(VALU_DEP_3)
	v_lshlrev_b32_e32 v18, 20, v18
	v_lshl_add_u32 v8, v8, 23, 0x3c000000
	s_delay_alu instid0(VALU_DEP_3) | instskip(NEXT) | instid1(VALU_DEP_1)
	v_and_b32_e32 v19, 0x80000000, v19
	v_or3_b32 v8, v18, v19, v8
.LBB366_1192:                           ;   in Loop: Header=BB366_998 Depth=1
	s_or_b32 exec_lo, exec_lo, s17
.LBB366_1193:                           ;   in Loop: Header=BB366_998 Depth=1
	s_delay_alu instid0(SALU_CYCLE_1)
	s_or_b32 exec_lo, exec_lo, s16
.LBB366_1194:                           ;   in Loop: Header=BB366_998 Depth=1
	s_delay_alu instid0(SALU_CYCLE_1)
	s_or_b32 exec_lo, exec_lo, s15
	v_fma_mixlo_bf16 v2, v48, v2, 0
	v_fma_mixlo_bf16 v7, v48, v7, 0
	;; [unrolled: 1-line block ×5, first 2 shown]
	scratch_store_b32 off, v2, s32 offset:340 ; 4-byte Folded Spill
	s_wait_xcnt 0x0
	v_fma_mixlo_bf16 v2, v48, v9, 0
	s_clause 0x1
	scratch_store_b32 off, v7, s32 offset:284
	scratch_store_b32 off, v6, s32 offset:292
	v_fma_mixlo_bf16 v3, v48, v3, 0
	s_clause 0x1
	scratch_store_b32 off, v5, s32 offset:316
	scratch_store_b32 off, v2, s32 offset:300
	s_wait_xcnt 0x0
	v_fma_mixlo_bf16 v2, v48, v8, 0
	s_clause 0x2
	scratch_store_b32 off, v4, s32 offset:324
	scratch_store_b32 off, v3, s32 offset:332
	;; [unrolled: 1-line block ×3, first 2 shown]
	s_wait_xcnt 0x0
	s_and_saveexec_b32 s15, vcc_lo
	s_cbranch_execz .LBB366_1196
; %bb.1195:                             ;   in Loop: Header=BB366_998 Depth=1
	scratch_load_b32 v2, off, s32 offset:340 ; 4-byte Folded Reload
	v_cmp_lt_i32_e64 s0, v98, v34
	s_wait_loadcnt 0x0
	s_delay_alu instid0(VALU_DEP_1)
	v_cndmask_b32_e64 v2, 0, v2, s0
	v_cmp_lt_i32_e64 s0, v102, v34
	s_clause 0x1
	scratch_store_b32 off, v2, s32 offset:340
	scratch_load_b32 v2, off, s32 offset:332
	s_wait_loadcnt 0x0
	v_cndmask_b32_e64 v2, 0, v2, s0
	v_cmp_lt_i32_e64 s0, v101, v34
	s_clause 0x1
	scratch_store_b32 off, v2, s32 offset:332
	scratch_load_b32 v2, off, s32 offset:324
	s_wait_loadcnt 0x0
	;; [unrolled: 6-line block ×7, first 2 shown]
	v_cndmask_b32_e64 v2, 0, v2, s0
	scratch_store_b32 off, v2, s32 offset:308 ; 4-byte Folded Spill
.LBB366_1196:                           ;   in Loop: Header=BB366_998 Depth=1
	s_wait_xcnt 0x0
	s_or_b32 exec_lo, exec_lo, s15
	flat_load_b64 v[18:19], v[0:1] offset:768
	v_dual_mov_b32 v3, 0 :: v_dual_mov_b32 v2, 0
	s_mov_b32 s15, exec_lo
	s_wait_loadcnt_dscnt 0x0
	v_and_b32_e32 v4, 0xff, v18
	s_wait_xcnt 0x0
	s_delay_alu instid0(VALU_DEP_1)
	v_cmpx_ne_u16_e32 0, v4
	s_cbranch_execz .LBB366_1204
; %bb.1197:                             ;   in Loop: Header=BB366_998 Depth=1
	v_bfrev_b32_e32 v2, 1
	s_mov_b32 s16, exec_lo
	v_cmpx_ne_u16_e32 0x80, v4
	s_cbranch_execz .LBB366_1203
; %bb.1198:                             ;   in Loop: Header=BB366_998 Depth=1
	v_and_b32_e32 v4, 0x7f, v18
	v_mov_b32_e32 v2, 0x7f800001
	s_mov_b32 s17, exec_lo
	s_delay_alu instid0(VALU_DEP_2)
	v_cmpx_ne_u32_e32 0x7f, v4
	s_cbranch_execz .LBB366_1202
; %bb.1199:                             ;   in Loop: Header=BB366_998 Depth=1
	v_mov_b64_e32 v[32:33], v[18:19]
	v_lshrrev_b32_e32 v2, 3, v4
	s_mov_b32 s18, exec_lo
	v_cmpx_gt_u32_e32 8, v4
; %bb.1200:                             ;   in Loop: Header=BB366_998 Depth=1
	v_and_b32_e32 v2, 7, v18
	s_delay_alu instid0(VALU_DEP_1) | instskip(NEXT) | instid1(VALU_DEP_1)
	v_clz_i32_u32_e32 v2, v2
	v_min_u32_e32 v2, 32, v2
	s_delay_alu instid0(VALU_DEP_1) | instskip(SKIP_1) | instid1(VALU_DEP_2)
	v_subrev_nc_u32_e32 v4, 28, v2
	v_sub_nc_u32_e32 v2, 29, v2
	v_lshlrev_b64_e32 v[32:33], v4, v[18:19]
; %bb.1201:                             ;   in Loop: Header=BB366_998 Depth=1
	s_or_b32 exec_lo, exec_lo, s18
	s_delay_alu instid0(VALU_DEP_1) | instskip(NEXT) | instid1(VALU_DEP_3)
	v_dual_lshlrev_b32 v4, 20, v32 :: v_dual_lshlrev_b32 v5, 24, v18
	v_lshl_add_u32 v2, v2, 23, 0x3c000000
	s_delay_alu instid0(VALU_DEP_2) | instskip(NEXT) | instid1(VALU_DEP_3)
	v_and_b32_e32 v4, 0x700000, v4
	v_and_b32_e32 v5, 0x80000000, v5
	s_delay_alu instid0(VALU_DEP_1)
	v_or3_b32 v2, v4, v5, v2
.LBB366_1202:                           ;   in Loop: Header=BB366_998 Depth=1
	s_or_b32 exec_lo, exec_lo, s17
.LBB366_1203:                           ;   in Loop: Header=BB366_998 Depth=1
	s_delay_alu instid0(SALU_CYCLE_1)
	s_or_b32 exec_lo, exec_lo, s16
.LBB366_1204:                           ;   in Loop: Header=BB366_998 Depth=1
	s_delay_alu instid0(SALU_CYCLE_1) | instskip(SKIP_2) | instid1(VALU_DEP_1)
	s_or_b32 exec_lo, exec_lo, s15
	v_lshrrev_b16 v4, 8, v18
	s_mov_b32 s15, exec_lo
	v_cmpx_ne_u16_e32 0, v4
	s_cbranch_execz .LBB366_1212
; %bb.1205:                             ;   in Loop: Header=BB366_998 Depth=1
	v_bfrev_b32_e32 v3, 1
	s_mov_b32 s16, exec_lo
	v_cmpx_ne_u16_e32 0x80, v4
	s_cbranch_execz .LBB366_1211
; %bb.1206:                             ;   in Loop: Header=BB366_998 Depth=1
	v_and_b32_e32 v5, 0xffff, v4
	v_mov_b32_e32 v3, 0x7f800001
	s_mov_b32 s17, exec_lo
	s_delay_alu instid0(VALU_DEP_2) | instskip(NEXT) | instid1(VALU_DEP_1)
	v_and_b32_e32 v4, 0x7f, v5
	v_cmpx_ne_u32_e32 0x7f, v4
	s_cbranch_execz .LBB366_1210
; %bb.1207:                             ;   in Loop: Header=BB366_998 Depth=1
	v_dual_lshrrev_b32 v3, 3, v4 :: v_dual_bitop2_b32 v22, 7, v5 bitop3:0x40
	s_mov_b32 s18, exec_lo
	s_delay_alu instid0(VALU_DEP_1)
	v_mov_b64_e32 v[32:33], v[22:23]
	v_cmpx_gt_u32_e32 8, v4
; %bb.1208:                             ;   in Loop: Header=BB366_998 Depth=1
	v_clz_i32_u32_e32 v3, v22
	s_delay_alu instid0(VALU_DEP_1) | instskip(NEXT) | instid1(VALU_DEP_1)
	v_min_u32_e32 v3, 32, v3
	v_subrev_nc_u32_e32 v4, 28, v3
	s_delay_alu instid0(VALU_DEP_1) | instskip(NEXT) | instid1(VALU_DEP_1)
	v_lshlrev_b64_e32 v[4:5], v4, v[22:23]
	v_dual_sub_nc_u32 v3, 29, v3 :: v_dual_bitop2_b32 v32, 7, v4 bitop3:0x40
; %bb.1209:                             ;   in Loop: Header=BB366_998 Depth=1
	s_or_b32 exec_lo, exec_lo, s18
	s_delay_alu instid0(VALU_DEP_1) | instskip(NEXT) | instid1(VALU_DEP_2)
	v_dual_lshlrev_b32 v4, 16, v18 :: v_dual_lshlrev_b32 v5, 20, v32
	v_lshl_add_u32 v3, v3, 23, 0x3c000000
	s_delay_alu instid0(VALU_DEP_2) | instskip(NEXT) | instid1(VALU_DEP_1)
	v_and_b32_e32 v4, 0x80000000, v4
	v_or3_b32 v3, v5, v4, v3
.LBB366_1210:                           ;   in Loop: Header=BB366_998 Depth=1
	s_or_b32 exec_lo, exec_lo, s17
.LBB366_1211:                           ;   in Loop: Header=BB366_998 Depth=1
	s_delay_alu instid0(SALU_CYCLE_1)
	s_or_b32 exec_lo, exec_lo, s16
.LBB366_1212:                           ;   in Loop: Header=BB366_998 Depth=1
	s_delay_alu instid0(SALU_CYCLE_1) | instskip(SKIP_3) | instid1(VALU_DEP_2)
	s_or_b32 exec_lo, exec_lo, s15
	v_dual_mov_b32 v5, 0 :: v_dual_lshrrev_b32 v6, 16, v18
	v_mov_b32_e32 v4, 0
	s_mov_b32 s15, exec_lo
	v_and_b32_e32 v7, 0xff, v6
	s_delay_alu instid0(VALU_DEP_1)
	v_cmpx_ne_u16_e32 0, v7
	s_cbranch_execz .LBB366_1220
; %bb.1213:                             ;   in Loop: Header=BB366_998 Depth=1
	v_bfrev_b32_e32 v4, 1
	s_mov_b32 s16, exec_lo
	v_cmpx_ne_u16_e32 0x80, v7
	s_cbranch_execz .LBB366_1219
; %bb.1214:                             ;   in Loop: Header=BB366_998 Depth=1
	v_bfe_u32 v7, v18, 16, 7
	v_mov_b32_e32 v4, 0x7f800001
	s_mov_b32 s17, exec_lo
	s_delay_alu instid0(VALU_DEP_2)
	v_cmpx_ne_u32_e32 0x7f, v7
	s_cbranch_execz .LBB366_1218
; %bb.1215:                             ;   in Loop: Header=BB366_998 Depth=1
	v_dual_lshrrev_b32 v4, 3, v7 :: v_dual_bitop2_b32 v22, 7, v6 bitop3:0x40
	s_mov_b32 s18, exec_lo
	s_delay_alu instid0(VALU_DEP_1)
	v_mov_b64_e32 v[32:33], v[22:23]
	v_cmpx_gt_u32_e32 8, v7
; %bb.1216:                             ;   in Loop: Header=BB366_998 Depth=1
	v_clz_i32_u32_e32 v4, v22
	s_delay_alu instid0(VALU_DEP_1) | instskip(NEXT) | instid1(VALU_DEP_1)
	v_min_u32_e32 v4, 32, v4
	v_subrev_nc_u32_e32 v7, 28, v4
	v_sub_nc_u32_e32 v4, 29, v4
	s_delay_alu instid0(VALU_DEP_2) | instskip(NEXT) | instid1(VALU_DEP_1)
	v_lshlrev_b64_e32 v[8:9], v7, v[22:23]
	v_and_b32_e32 v32, 7, v8
; %bb.1217:                             ;   in Loop: Header=BB366_998 Depth=1
	s_or_b32 exec_lo, exec_lo, s18
	s_delay_alu instid0(VALU_DEP_1) | instskip(SKIP_1) | instid1(VALU_DEP_2)
	v_dual_lshlrev_b32 v6, 24, v6 :: v_dual_lshlrev_b32 v7, 20, v32
	v_lshl_add_u32 v4, v4, 23, 0x3c000000
	v_and_b32_e32 v6, 0x80000000, v6
	s_delay_alu instid0(VALU_DEP_1)
	v_or3_b32 v4, v7, v6, v4
.LBB366_1218:                           ;   in Loop: Header=BB366_998 Depth=1
	s_or_b32 exec_lo, exec_lo, s17
.LBB366_1219:                           ;   in Loop: Header=BB366_998 Depth=1
	s_delay_alu instid0(SALU_CYCLE_1)
	s_or_b32 exec_lo, exec_lo, s16
.LBB366_1220:                           ;   in Loop: Header=BB366_998 Depth=1
	s_delay_alu instid0(SALU_CYCLE_1) | instskip(NEXT) | instid1(SALU_CYCLE_1)
	s_or_b32 exec_lo, exec_lo, s15
	s_mov_b32 s15, exec_lo
	v_cmpx_lt_u32_e32 0xffffff, v18
	s_cbranch_execz .LBB366_1228
; %bb.1221:                             ;   in Loop: Header=BB366_998 Depth=1
	v_lshrrev_b32_e32 v6, 24, v18
	v_bfrev_b32_e32 v5, 1
	s_mov_b32 s16, exec_lo
	s_delay_alu instid0(VALU_DEP_2)
	v_cmpx_ne_u32_e32 0x80, v6
	s_cbranch_execz .LBB366_1227
; %bb.1222:                             ;   in Loop: Header=BB366_998 Depth=1
	v_bfe_u32 v7, v18, 24, 7
	v_mov_b32_e32 v5, 0x7f800001
	s_mov_b32 s17, exec_lo
	s_delay_alu instid0(VALU_DEP_2)
	v_cmpx_ne_u32_e32 0x7f, v7
	s_cbranch_execz .LBB366_1226
; %bb.1223:                             ;   in Loop: Header=BB366_998 Depth=1
	v_dual_lshrrev_b32 v5, 3, v7 :: v_dual_bitop2_b32 v22, 7, v6 bitop3:0x40
	s_mov_b32 s18, exec_lo
	s_delay_alu instid0(VALU_DEP_1)
	v_mov_b64_e32 v[32:33], v[22:23]
	v_cmpx_gt_u32_e32 8, v7
; %bb.1224:                             ;   in Loop: Header=BB366_998 Depth=1
	v_clz_i32_u32_e32 v5, v22
	s_delay_alu instid0(VALU_DEP_1) | instskip(NEXT) | instid1(VALU_DEP_1)
	v_min_u32_e32 v5, 32, v5
	v_subrev_nc_u32_e32 v7, 28, v5
	s_delay_alu instid0(VALU_DEP_1) | instskip(NEXT) | instid1(VALU_DEP_1)
	v_lshlrev_b64_e32 v[8:9], v7, v[22:23]
	v_dual_sub_nc_u32 v5, 29, v5 :: v_dual_bitop2_b32 v32, 7, v8 bitop3:0x40
; %bb.1225:                             ;   in Loop: Header=BB366_998 Depth=1
	s_or_b32 exec_lo, exec_lo, s18
	s_delay_alu instid0(VALU_DEP_1) | instskip(NEXT) | instid1(VALU_DEP_2)
	v_dual_lshlrev_b32 v6, 24, v6 :: v_dual_lshlrev_b32 v7, 20, v32
	v_lshl_add_u32 v5, v5, 23, 0x3c000000
	s_delay_alu instid0(VALU_DEP_2) | instskip(NEXT) | instid1(VALU_DEP_1)
	v_and_b32_e32 v6, 0x80000000, v6
	v_or3_b32 v5, v7, v6, v5
.LBB366_1226:                           ;   in Loop: Header=BB366_998 Depth=1
	s_or_b32 exec_lo, exec_lo, s17
.LBB366_1227:                           ;   in Loop: Header=BB366_998 Depth=1
	s_delay_alu instid0(SALU_CYCLE_1)
	s_or_b32 exec_lo, exec_lo, s16
.LBB366_1228:                           ;   in Loop: Header=BB366_998 Depth=1
	s_delay_alu instid0(SALU_CYCLE_1) | instskip(SKIP_4) | instid1(VALU_DEP_3)
	s_or_b32 exec_lo, exec_lo, s15
	v_and_b32_e32 v8, 0xff, v19
	v_dual_mov_b32 v22, v19 :: v_dual_mov_b32 v7, 0
	v_mov_b32_e32 v6, 0
	s_mov_b32 s15, exec_lo
	v_cmpx_ne_u16_e32 0, v8
	s_cbranch_execz .LBB366_1236
; %bb.1229:                             ;   in Loop: Header=BB366_998 Depth=1
	v_bfrev_b32_e32 v6, 1
	s_mov_b32 s16, exec_lo
	v_cmpx_ne_u16_e32 0x80, v8
	s_cbranch_execz .LBB366_1235
; %bb.1230:                             ;   in Loop: Header=BB366_998 Depth=1
	v_and_b32_e32 v8, 0x7f, v19
	v_mov_b32_e32 v6, 0x7f800001
	s_mov_b32 s17, exec_lo
	s_delay_alu instid0(VALU_DEP_2)
	v_cmpx_ne_u32_e32 0x7f, v8
	s_cbranch_execz .LBB366_1234
; %bb.1231:                             ;   in Loop: Header=BB366_998 Depth=1
	v_mov_b64_e32 v[32:33], v[22:23]
	v_lshrrev_b32_e32 v6, 3, v8
	s_mov_b32 s18, exec_lo
	v_cmpx_gt_u32_e32 8, v8
; %bb.1232:                             ;   in Loop: Header=BB366_998 Depth=1
	v_and_b32_e32 v6, 7, v19
	s_delay_alu instid0(VALU_DEP_1) | instskip(NEXT) | instid1(VALU_DEP_1)
	v_clz_i32_u32_e32 v6, v6
	v_min_u32_e32 v6, 32, v6
	s_delay_alu instid0(VALU_DEP_1) | instskip(SKIP_1) | instid1(VALU_DEP_2)
	v_subrev_nc_u32_e32 v8, 28, v6
	v_sub_nc_u32_e32 v6, 29, v6
	v_lshlrev_b64_e32 v[32:33], v8, v[22:23]
; %bb.1233:                             ;   in Loop: Header=BB366_998 Depth=1
	s_or_b32 exec_lo, exec_lo, s18
	s_delay_alu instid0(VALU_DEP_1) | instskip(NEXT) | instid1(VALU_DEP_3)
	v_dual_lshlrev_b32 v8, 20, v32 :: v_dual_lshlrev_b32 v9, 24, v22
	v_lshl_add_u32 v6, v6, 23, 0x3c000000
	s_delay_alu instid0(VALU_DEP_2) | instskip(NEXT) | instid1(VALU_DEP_3)
	v_and_b32_e32 v8, 0x700000, v8
	v_and_b32_e32 v9, 0x80000000, v9
	s_delay_alu instid0(VALU_DEP_1)
	v_or3_b32 v6, v8, v9, v6
.LBB366_1234:                           ;   in Loop: Header=BB366_998 Depth=1
	s_or_b32 exec_lo, exec_lo, s17
.LBB366_1235:                           ;   in Loop: Header=BB366_998 Depth=1
	s_delay_alu instid0(SALU_CYCLE_1)
	s_or_b32 exec_lo, exec_lo, s16
.LBB366_1236:                           ;   in Loop: Header=BB366_998 Depth=1
	s_delay_alu instid0(SALU_CYCLE_1) | instskip(SKIP_2) | instid1(VALU_DEP_1)
	s_or_b32 exec_lo, exec_lo, s15
	v_lshrrev_b16 v8, 8, v22
	s_mov_b32 s15, exec_lo
	v_cmpx_ne_u16_e32 0, v8
	s_cbranch_execz .LBB366_1244
; %bb.1237:                             ;   in Loop: Header=BB366_998 Depth=1
	v_bfrev_b32_e32 v7, 1
	s_mov_b32 s16, exec_lo
	v_cmpx_ne_u16_e32 0x80, v8
	s_cbranch_execz .LBB366_1243
; %bb.1238:                             ;   in Loop: Header=BB366_998 Depth=1
	v_and_b32_e32 v9, 0xffff, v8
	v_mov_b32_e32 v7, 0x7f800001
	s_mov_b32 s17, exec_lo
	s_delay_alu instid0(VALU_DEP_2) | instskip(NEXT) | instid1(VALU_DEP_1)
	v_and_b32_e32 v8, 0x7f, v9
	v_cmpx_ne_u32_e32 0x7f, v8
	s_cbranch_execz .LBB366_1242
; %bb.1239:                             ;   in Loop: Header=BB366_998 Depth=1
	v_dual_mov_b32 v33, v23 :: v_dual_bitop2_b32 v32, 7, v9 bitop3:0x40
	v_lshrrev_b32_e32 v7, 3, v8
	s_mov_b32 s18, exec_lo
	v_cmpx_gt_u32_e32 8, v8
; %bb.1240:                             ;   in Loop: Header=BB366_998 Depth=1
	s_delay_alu instid0(VALU_DEP_3) | instskip(NEXT) | instid1(VALU_DEP_1)
	v_clz_i32_u32_e32 v7, v32
	v_min_u32_e32 v7, 32, v7
	s_delay_alu instid0(VALU_DEP_1) | instskip(NEXT) | instid1(VALU_DEP_1)
	v_subrev_nc_u32_e32 v8, 28, v7
	v_lshlrev_b64_e32 v[8:9], v8, v[32:33]
	s_delay_alu instid0(VALU_DEP_1)
	v_dual_sub_nc_u32 v7, 29, v7 :: v_dual_bitop2_b32 v32, 7, v8 bitop3:0x40
; %bb.1241:                             ;   in Loop: Header=BB366_998 Depth=1
	s_or_b32 exec_lo, exec_lo, s18
	s_delay_alu instid0(VALU_DEP_1) | instskip(NEXT) | instid1(VALU_DEP_2)
	v_dual_lshlrev_b32 v8, 16, v22 :: v_dual_lshlrev_b32 v9, 20, v32
	v_lshl_add_u32 v7, v7, 23, 0x3c000000
	s_delay_alu instid0(VALU_DEP_2) | instskip(NEXT) | instid1(VALU_DEP_1)
	v_and_b32_e32 v8, 0x80000000, v8
	v_or3_b32 v7, v9, v8, v7
.LBB366_1242:                           ;   in Loop: Header=BB366_998 Depth=1
	s_or_b32 exec_lo, exec_lo, s17
.LBB366_1243:                           ;   in Loop: Header=BB366_998 Depth=1
	s_delay_alu instid0(SALU_CYCLE_1)
	s_or_b32 exec_lo, exec_lo, s16
.LBB366_1244:                           ;   in Loop: Header=BB366_998 Depth=1
	s_delay_alu instid0(SALU_CYCLE_1) | instskip(SKIP_3) | instid1(VALU_DEP_2)
	s_or_b32 exec_lo, exec_lo, s15
	v_dual_lshrrev_b32 v30, 16, v19 :: v_dual_mov_b32 v8, 0
	v_mov_b32_e32 v9, 0
	s_mov_b32 s15, exec_lo
	v_and_b32_e32 v22, 0xff, v30
	s_delay_alu instid0(VALU_DEP_1)
	v_cmpx_ne_u16_e32 0, v22
	s_cbranch_execz .LBB366_1252
; %bb.1245:                             ;   in Loop: Header=BB366_998 Depth=1
	v_bfrev_b32_e32 v9, 1
	s_mov_b32 s16, exec_lo
	v_cmpx_ne_u16_e32 0x80, v22
	s_cbranch_execz .LBB366_1251
; %bb.1246:                             ;   in Loop: Header=BB366_998 Depth=1
	v_bfe_u32 v31, v19, 16, 7
	v_mov_b32_e32 v9, 0x7f800001
	s_mov_b32 s17, exec_lo
	s_delay_alu instid0(VALU_DEP_2)
	v_cmpx_ne_u32_e32 0x7f, v31
	s_cbranch_execz .LBB366_1250
; %bb.1247:                             ;   in Loop: Header=BB366_998 Depth=1
	v_dual_lshrrev_b32 v9, 3, v31 :: v_dual_bitop2_b32 v22, 7, v30 bitop3:0x40
	s_mov_b32 s18, exec_lo
	s_delay_alu instid0(VALU_DEP_1)
	v_mov_b64_e32 v[32:33], v[22:23]
	v_cmpx_gt_u32_e32 8, v31
; %bb.1248:                             ;   in Loop: Header=BB366_998 Depth=1
	v_clz_i32_u32_e32 v9, v22
	s_delay_alu instid0(VALU_DEP_1) | instskip(NEXT) | instid1(VALU_DEP_1)
	v_min_u32_e32 v9, 32, v9
	v_subrev_nc_u32_e32 v31, 28, v9
	s_delay_alu instid0(VALU_DEP_1) | instskip(NEXT) | instid1(VALU_DEP_1)
	v_lshlrev_b64_e32 v[32:33], v31, v[22:23]
	v_dual_sub_nc_u32 v9, 29, v9 :: v_dual_bitop2_b32 v32, 7, v32 bitop3:0x40
; %bb.1249:                             ;   in Loop: Header=BB366_998 Depth=1
	s_or_b32 exec_lo, exec_lo, s18
	s_delay_alu instid0(VALU_DEP_1) | instskip(NEXT) | instid1(VALU_DEP_2)
	v_dual_lshlrev_b32 v22, 24, v30 :: v_dual_lshlrev_b32 v30, 20, v32
	v_lshl_add_u32 v9, v9, 23, 0x3c000000
	s_delay_alu instid0(VALU_DEP_2) | instskip(NEXT) | instid1(VALU_DEP_1)
	v_and_b32_e32 v22, 0x80000000, v22
	v_or3_b32 v9, v30, v22, v9
.LBB366_1250:                           ;   in Loop: Header=BB366_998 Depth=1
	s_or_b32 exec_lo, exec_lo, s17
.LBB366_1251:                           ;   in Loop: Header=BB366_998 Depth=1
	s_delay_alu instid0(SALU_CYCLE_1)
	s_or_b32 exec_lo, exec_lo, s16
.LBB366_1252:                           ;   in Loop: Header=BB366_998 Depth=1
	s_delay_alu instid0(SALU_CYCLE_1) | instskip(NEXT) | instid1(SALU_CYCLE_1)
	s_or_b32 exec_lo, exec_lo, s15
	s_mov_b32 s15, exec_lo
	v_cmpx_lt_u64_e64 s[2:3], v[18:19]
	s_cbranch_execz .LBB366_1260
; %bb.1253:                             ;   in Loop: Header=BB366_998 Depth=1
	v_lshrrev_b32_e32 v30, 24, v19
	v_bfrev_b32_e32 v8, 1
	s_mov_b32 s16, exec_lo
	s_delay_alu instid0(VALU_DEP_2)
	v_cmpx_ne_u32_e32 0x80, v30
	s_cbranch_execz .LBB366_1259
; %bb.1254:                             ;   in Loop: Header=BB366_998 Depth=1
	v_bfe_u32 v18, v19, 24, 7
	v_mov_b32_e32 v8, 0x7f800001
	s_mov_b32 s17, exec_lo
	s_delay_alu instid0(VALU_DEP_2)
	v_cmpx_ne_u32_e32 0x7f, v18
	s_cbranch_execz .LBB366_1258
; %bb.1255:                             ;   in Loop: Header=BB366_998 Depth=1
	v_and_b32_e32 v22, 7, v30
	v_lshrrev_b32_e32 v8, 3, v18
	v_cmp_gt_u32_e64 s0, 8, v18
	s_delay_alu instid0(VALU_DEP_3)
	v_mov_b64_e32 v[18:19], v[22:23]
	s_and_saveexec_b32 s18, s0
; %bb.1256:                             ;   in Loop: Header=BB366_998 Depth=1
	v_clz_i32_u32_e32 v8, v22
	s_delay_alu instid0(VALU_DEP_1) | instskip(NEXT) | instid1(VALU_DEP_1)
	v_min_u32_e32 v8, 32, v8
	v_subrev_nc_u32_e32 v18, 28, v8
	s_delay_alu instid0(VALU_DEP_1) | instskip(NEXT) | instid1(VALU_DEP_1)
	v_lshlrev_b64_e32 v[18:19], v18, v[22:23]
	v_dual_sub_nc_u32 v8, 29, v8 :: v_dual_bitop2_b32 v18, 7, v18 bitop3:0x40
; %bb.1257:                             ;   in Loop: Header=BB366_998 Depth=1
	s_or_b32 exec_lo, exec_lo, s18
	v_lshlrev_b32_e32 v19, 24, v30
	s_delay_alu instid0(VALU_DEP_2) | instskip(NEXT) | instid1(VALU_DEP_3)
	v_lshlrev_b32_e32 v18, 20, v18
	v_lshl_add_u32 v8, v8, 23, 0x3c000000
	s_delay_alu instid0(VALU_DEP_3) | instskip(NEXT) | instid1(VALU_DEP_1)
	v_and_b32_e32 v19, 0x80000000, v19
	v_or3_b32 v8, v18, v19, v8
.LBB366_1258:                           ;   in Loop: Header=BB366_998 Depth=1
	s_or_b32 exec_lo, exec_lo, s17
.LBB366_1259:                           ;   in Loop: Header=BB366_998 Depth=1
	s_delay_alu instid0(SALU_CYCLE_1)
	s_or_b32 exec_lo, exec_lo, s16
.LBB366_1260:                           ;   in Loop: Header=BB366_998 Depth=1
	s_delay_alu instid0(SALU_CYCLE_1)
	s_or_b32 exec_lo, exec_lo, s15
	v_fma_mixlo_bf16 v7, v48, v7, 0
	v_fma_mixlo_bf16 v6, v48, v6, 0
	;; [unrolled: 1-line block ×5, first 2 shown]
	s_clause 0x1
	scratch_store_b32 off, v7, s32 offset:348
	scratch_store_b32 off, v6, s32 offset:356
	v_fma_mixlo_bf16 v40, v48, v4, 0
	v_fma_mixlo_bf16 v41, v48, v3, 0
	scratch_store_b32 off, v2, s32 offset:364 ; 4-byte Folded Spill
	s_wait_xcnt 0x0
	v_fma_mixlo_bf16 v2, v48, v8, 0
	scratch_store_b32 off, v2, s32 offset:372 ; 4-byte Folded Spill
	s_wait_xcnt 0x0
	s_and_saveexec_b32 s15, vcc_lo
	s_cbranch_execz .LBB366_1262
; %bb.1261:                             ;   in Loop: Header=BB366_998 Depth=1
	scratch_load_b32 v2, off, s32 offset:356 ; 4-byte Folded Reload
	v_cmp_lt_i32_e64 s0, v98, v34
	s_delay_alu instid0(VALU_DEP_1) | instskip(SKIP_1) | instid1(VALU_DEP_1)
	v_cndmask_b32_e64 v42, 0, v42, s0
	v_cmp_lt_i32_e64 s0, v102, v34
	v_cndmask_b32_e64 v41, 0, v41, s0
	v_cmp_lt_i32_e64 s0, v101, v34
	s_delay_alu instid0(VALU_DEP_1) | instskip(SKIP_1) | instid1(VALU_DEP_1)
	v_cndmask_b32_e64 v40, 0, v40, s0
	v_cmp_lt_i32_e64 s0, v100, v34
	v_cndmask_b32_e64 v119, 0, v119, s0
	v_cmp_lt_i32_e64 s0, v99, v34
	s_wait_loadcnt 0x0
	s_delay_alu instid0(VALU_DEP_1)
	v_cndmask_b32_e64 v2, 0, v2, s0
	v_cmp_lt_i32_e64 s0, v97, v34
	s_clause 0x1
	scratch_store_b32 off, v2, s32 offset:356
	scratch_load_b32 v2, off, s32 offset:348
	s_wait_loadcnt 0x0
	v_cndmask_b32_e64 v2, 0, v2, s0
	v_cmp_lt_i32_e64 s0, v86, v34
	s_clause 0x1
	scratch_store_b32 off, v2, s32 offset:348
	scratch_load_b32 v2, off, s32 offset:364
	s_wait_loadcnt 0x0
	;; [unrolled: 6-line block ×3, first 2 shown]
	v_cndmask_b32_e64 v2, 0, v2, s0
	scratch_store_b32 off, v2, s32 offset:372 ; 4-byte Folded Spill
.LBB366_1262:                           ;   in Loop: Header=BB366_998 Depth=1
	s_wait_xcnt 0x0
	s_or_b32 exec_lo, exec_lo, s15
	flat_load_b64 v[18:19], v[0:1] offset:1024
	v_dual_mov_b32 v3, 0 :: v_dual_mov_b32 v2, 0
	s_mov_b32 s15, exec_lo
	s_wait_loadcnt_dscnt 0x0
	v_and_b32_e32 v4, 0xff, v18
	s_wait_xcnt 0x0
	s_delay_alu instid0(VALU_DEP_1)
	v_cmpx_ne_u16_e32 0, v4
	s_cbranch_execz .LBB366_1270
; %bb.1263:                             ;   in Loop: Header=BB366_998 Depth=1
	v_bfrev_b32_e32 v2, 1
	s_mov_b32 s16, exec_lo
	v_cmpx_ne_u16_e32 0x80, v4
	s_cbranch_execz .LBB366_1269
; %bb.1264:                             ;   in Loop: Header=BB366_998 Depth=1
	v_and_b32_e32 v4, 0x7f, v18
	v_mov_b32_e32 v2, 0x7f800001
	s_mov_b32 s17, exec_lo
	s_delay_alu instid0(VALU_DEP_2)
	v_cmpx_ne_u32_e32 0x7f, v4
	s_cbranch_execz .LBB366_1268
; %bb.1265:                             ;   in Loop: Header=BB366_998 Depth=1
	v_mov_b64_e32 v[32:33], v[18:19]
	v_lshrrev_b32_e32 v2, 3, v4
	s_mov_b32 s18, exec_lo
	v_cmpx_gt_u32_e32 8, v4
; %bb.1266:                             ;   in Loop: Header=BB366_998 Depth=1
	v_and_b32_e32 v2, 7, v18
	s_delay_alu instid0(VALU_DEP_1) | instskip(NEXT) | instid1(VALU_DEP_1)
	v_clz_i32_u32_e32 v2, v2
	v_min_u32_e32 v2, 32, v2
	s_delay_alu instid0(VALU_DEP_1) | instskip(SKIP_1) | instid1(VALU_DEP_2)
	v_subrev_nc_u32_e32 v4, 28, v2
	v_sub_nc_u32_e32 v2, 29, v2
	v_lshlrev_b64_e32 v[32:33], v4, v[18:19]
; %bb.1267:                             ;   in Loop: Header=BB366_998 Depth=1
	s_or_b32 exec_lo, exec_lo, s18
	s_delay_alu instid0(VALU_DEP_1) | instskip(NEXT) | instid1(VALU_DEP_3)
	v_dual_lshlrev_b32 v4, 20, v32 :: v_dual_lshlrev_b32 v5, 24, v18
	v_lshl_add_u32 v2, v2, 23, 0x3c000000
	s_delay_alu instid0(VALU_DEP_2) | instskip(NEXT) | instid1(VALU_DEP_3)
	v_and_b32_e32 v4, 0x700000, v4
	v_and_b32_e32 v5, 0x80000000, v5
	s_delay_alu instid0(VALU_DEP_1)
	v_or3_b32 v2, v4, v5, v2
.LBB366_1268:                           ;   in Loop: Header=BB366_998 Depth=1
	s_or_b32 exec_lo, exec_lo, s17
.LBB366_1269:                           ;   in Loop: Header=BB366_998 Depth=1
	s_delay_alu instid0(SALU_CYCLE_1)
	s_or_b32 exec_lo, exec_lo, s16
.LBB366_1270:                           ;   in Loop: Header=BB366_998 Depth=1
	s_delay_alu instid0(SALU_CYCLE_1) | instskip(SKIP_2) | instid1(VALU_DEP_1)
	s_or_b32 exec_lo, exec_lo, s15
	v_lshrrev_b16 v4, 8, v18
	s_mov_b32 s15, exec_lo
	v_cmpx_ne_u16_e32 0, v4
	s_cbranch_execz .LBB366_1278
; %bb.1271:                             ;   in Loop: Header=BB366_998 Depth=1
	v_bfrev_b32_e32 v3, 1
	s_mov_b32 s16, exec_lo
	v_cmpx_ne_u16_e32 0x80, v4
	s_cbranch_execz .LBB366_1277
; %bb.1272:                             ;   in Loop: Header=BB366_998 Depth=1
	v_and_b32_e32 v5, 0xffff, v4
	v_mov_b32_e32 v3, 0x7f800001
	s_mov_b32 s17, exec_lo
	s_delay_alu instid0(VALU_DEP_2) | instskip(NEXT) | instid1(VALU_DEP_1)
	v_and_b32_e32 v4, 0x7f, v5
	v_cmpx_ne_u32_e32 0x7f, v4
	s_cbranch_execz .LBB366_1276
; %bb.1273:                             ;   in Loop: Header=BB366_998 Depth=1
	v_dual_lshrrev_b32 v3, 3, v4 :: v_dual_bitop2_b32 v22, 7, v5 bitop3:0x40
	s_mov_b32 s18, exec_lo
	s_delay_alu instid0(VALU_DEP_1)
	v_mov_b64_e32 v[32:33], v[22:23]
	v_cmpx_gt_u32_e32 8, v4
; %bb.1274:                             ;   in Loop: Header=BB366_998 Depth=1
	v_clz_i32_u32_e32 v3, v22
	s_delay_alu instid0(VALU_DEP_1) | instskip(NEXT) | instid1(VALU_DEP_1)
	v_min_u32_e32 v3, 32, v3
	v_subrev_nc_u32_e32 v4, 28, v3
	s_delay_alu instid0(VALU_DEP_1) | instskip(NEXT) | instid1(VALU_DEP_1)
	v_lshlrev_b64_e32 v[4:5], v4, v[22:23]
	v_dual_sub_nc_u32 v3, 29, v3 :: v_dual_bitop2_b32 v32, 7, v4 bitop3:0x40
; %bb.1275:                             ;   in Loop: Header=BB366_998 Depth=1
	s_or_b32 exec_lo, exec_lo, s18
	s_delay_alu instid0(VALU_DEP_1) | instskip(NEXT) | instid1(VALU_DEP_2)
	v_dual_lshlrev_b32 v4, 16, v18 :: v_dual_lshlrev_b32 v5, 20, v32
	v_lshl_add_u32 v3, v3, 23, 0x3c000000
	s_delay_alu instid0(VALU_DEP_2) | instskip(NEXT) | instid1(VALU_DEP_1)
	v_and_b32_e32 v4, 0x80000000, v4
	v_or3_b32 v3, v5, v4, v3
.LBB366_1276:                           ;   in Loop: Header=BB366_998 Depth=1
	s_or_b32 exec_lo, exec_lo, s17
.LBB366_1277:                           ;   in Loop: Header=BB366_998 Depth=1
	s_delay_alu instid0(SALU_CYCLE_1)
	s_or_b32 exec_lo, exec_lo, s16
.LBB366_1278:                           ;   in Loop: Header=BB366_998 Depth=1
	s_delay_alu instid0(SALU_CYCLE_1) | instskip(SKIP_3) | instid1(VALU_DEP_2)
	s_or_b32 exec_lo, exec_lo, s15
	v_dual_mov_b32 v5, 0 :: v_dual_lshrrev_b32 v6, 16, v18
	v_mov_b32_e32 v4, 0
	s_mov_b32 s15, exec_lo
	v_and_b32_e32 v7, 0xff, v6
	s_delay_alu instid0(VALU_DEP_1)
	v_cmpx_ne_u16_e32 0, v7
	s_cbranch_execz .LBB366_1286
; %bb.1279:                             ;   in Loop: Header=BB366_998 Depth=1
	v_bfrev_b32_e32 v4, 1
	s_mov_b32 s16, exec_lo
	v_cmpx_ne_u16_e32 0x80, v7
	s_cbranch_execz .LBB366_1285
; %bb.1280:                             ;   in Loop: Header=BB366_998 Depth=1
	v_bfe_u32 v7, v18, 16, 7
	v_mov_b32_e32 v4, 0x7f800001
	s_mov_b32 s17, exec_lo
	s_delay_alu instid0(VALU_DEP_2)
	v_cmpx_ne_u32_e32 0x7f, v7
	s_cbranch_execz .LBB366_1284
; %bb.1281:                             ;   in Loop: Header=BB366_998 Depth=1
	v_dual_lshrrev_b32 v4, 3, v7 :: v_dual_bitop2_b32 v22, 7, v6 bitop3:0x40
	s_mov_b32 s18, exec_lo
	s_delay_alu instid0(VALU_DEP_1)
	v_mov_b64_e32 v[32:33], v[22:23]
	v_cmpx_gt_u32_e32 8, v7
; %bb.1282:                             ;   in Loop: Header=BB366_998 Depth=1
	v_clz_i32_u32_e32 v4, v22
	s_delay_alu instid0(VALU_DEP_1) | instskip(NEXT) | instid1(VALU_DEP_1)
	v_min_u32_e32 v4, 32, v4
	v_subrev_nc_u32_e32 v7, 28, v4
	v_sub_nc_u32_e32 v4, 29, v4
	s_delay_alu instid0(VALU_DEP_2) | instskip(NEXT) | instid1(VALU_DEP_1)
	v_lshlrev_b64_e32 v[8:9], v7, v[22:23]
	v_and_b32_e32 v32, 7, v8
; %bb.1283:                             ;   in Loop: Header=BB366_998 Depth=1
	s_or_b32 exec_lo, exec_lo, s18
	s_delay_alu instid0(VALU_DEP_1) | instskip(SKIP_1) | instid1(VALU_DEP_2)
	v_dual_lshlrev_b32 v6, 24, v6 :: v_dual_lshlrev_b32 v7, 20, v32
	v_lshl_add_u32 v4, v4, 23, 0x3c000000
	v_and_b32_e32 v6, 0x80000000, v6
	s_delay_alu instid0(VALU_DEP_1)
	v_or3_b32 v4, v7, v6, v4
.LBB366_1284:                           ;   in Loop: Header=BB366_998 Depth=1
	s_or_b32 exec_lo, exec_lo, s17
.LBB366_1285:                           ;   in Loop: Header=BB366_998 Depth=1
	s_delay_alu instid0(SALU_CYCLE_1)
	s_or_b32 exec_lo, exec_lo, s16
.LBB366_1286:                           ;   in Loop: Header=BB366_998 Depth=1
	s_delay_alu instid0(SALU_CYCLE_1) | instskip(NEXT) | instid1(SALU_CYCLE_1)
	s_or_b32 exec_lo, exec_lo, s15
	s_mov_b32 s15, exec_lo
	v_cmpx_lt_u32_e32 0xffffff, v18
	s_cbranch_execz .LBB366_1294
; %bb.1287:                             ;   in Loop: Header=BB366_998 Depth=1
	v_lshrrev_b32_e32 v6, 24, v18
	v_bfrev_b32_e32 v5, 1
	s_mov_b32 s16, exec_lo
	s_delay_alu instid0(VALU_DEP_2)
	v_cmpx_ne_u32_e32 0x80, v6
	s_cbranch_execz .LBB366_1293
; %bb.1288:                             ;   in Loop: Header=BB366_998 Depth=1
	v_bfe_u32 v7, v18, 24, 7
	v_mov_b32_e32 v5, 0x7f800001
	s_mov_b32 s17, exec_lo
	s_delay_alu instid0(VALU_DEP_2)
	v_cmpx_ne_u32_e32 0x7f, v7
	s_cbranch_execz .LBB366_1292
; %bb.1289:                             ;   in Loop: Header=BB366_998 Depth=1
	v_dual_lshrrev_b32 v5, 3, v7 :: v_dual_bitop2_b32 v22, 7, v6 bitop3:0x40
	s_mov_b32 s18, exec_lo
	s_delay_alu instid0(VALU_DEP_1)
	v_mov_b64_e32 v[32:33], v[22:23]
	v_cmpx_gt_u32_e32 8, v7
; %bb.1290:                             ;   in Loop: Header=BB366_998 Depth=1
	v_clz_i32_u32_e32 v5, v22
	s_delay_alu instid0(VALU_DEP_1) | instskip(NEXT) | instid1(VALU_DEP_1)
	v_min_u32_e32 v5, 32, v5
	v_subrev_nc_u32_e32 v7, 28, v5
	s_delay_alu instid0(VALU_DEP_1) | instskip(NEXT) | instid1(VALU_DEP_1)
	v_lshlrev_b64_e32 v[8:9], v7, v[22:23]
	v_dual_sub_nc_u32 v5, 29, v5 :: v_dual_bitop2_b32 v32, 7, v8 bitop3:0x40
; %bb.1291:                             ;   in Loop: Header=BB366_998 Depth=1
	s_or_b32 exec_lo, exec_lo, s18
	s_delay_alu instid0(VALU_DEP_1) | instskip(NEXT) | instid1(VALU_DEP_2)
	v_dual_lshlrev_b32 v6, 24, v6 :: v_dual_lshlrev_b32 v7, 20, v32
	v_lshl_add_u32 v5, v5, 23, 0x3c000000
	s_delay_alu instid0(VALU_DEP_2) | instskip(NEXT) | instid1(VALU_DEP_1)
	v_and_b32_e32 v6, 0x80000000, v6
	v_or3_b32 v5, v7, v6, v5
.LBB366_1292:                           ;   in Loop: Header=BB366_998 Depth=1
	s_or_b32 exec_lo, exec_lo, s17
.LBB366_1293:                           ;   in Loop: Header=BB366_998 Depth=1
	s_delay_alu instid0(SALU_CYCLE_1)
	s_or_b32 exec_lo, exec_lo, s16
.LBB366_1294:                           ;   in Loop: Header=BB366_998 Depth=1
	s_delay_alu instid0(SALU_CYCLE_1) | instskip(SKIP_4) | instid1(VALU_DEP_3)
	s_or_b32 exec_lo, exec_lo, s15
	v_and_b32_e32 v8, 0xff, v19
	v_dual_mov_b32 v22, v19 :: v_dual_mov_b32 v7, 0
	v_mov_b32_e32 v6, 0
	s_mov_b32 s15, exec_lo
	v_cmpx_ne_u16_e32 0, v8
	s_cbranch_execz .LBB366_1302
; %bb.1295:                             ;   in Loop: Header=BB366_998 Depth=1
	v_bfrev_b32_e32 v6, 1
	s_mov_b32 s16, exec_lo
	v_cmpx_ne_u16_e32 0x80, v8
	s_cbranch_execz .LBB366_1301
; %bb.1296:                             ;   in Loop: Header=BB366_998 Depth=1
	v_and_b32_e32 v8, 0x7f, v19
	v_mov_b32_e32 v6, 0x7f800001
	s_mov_b32 s17, exec_lo
	s_delay_alu instid0(VALU_DEP_2)
	v_cmpx_ne_u32_e32 0x7f, v8
	s_cbranch_execz .LBB366_1300
; %bb.1297:                             ;   in Loop: Header=BB366_998 Depth=1
	v_mov_b64_e32 v[32:33], v[22:23]
	v_lshrrev_b32_e32 v6, 3, v8
	s_mov_b32 s18, exec_lo
	v_cmpx_gt_u32_e32 8, v8
; %bb.1298:                             ;   in Loop: Header=BB366_998 Depth=1
	v_and_b32_e32 v6, 7, v19
	s_delay_alu instid0(VALU_DEP_1) | instskip(NEXT) | instid1(VALU_DEP_1)
	v_clz_i32_u32_e32 v6, v6
	v_min_u32_e32 v6, 32, v6
	s_delay_alu instid0(VALU_DEP_1) | instskip(SKIP_1) | instid1(VALU_DEP_2)
	v_subrev_nc_u32_e32 v8, 28, v6
	v_sub_nc_u32_e32 v6, 29, v6
	v_lshlrev_b64_e32 v[32:33], v8, v[22:23]
; %bb.1299:                             ;   in Loop: Header=BB366_998 Depth=1
	s_or_b32 exec_lo, exec_lo, s18
	s_delay_alu instid0(VALU_DEP_1) | instskip(NEXT) | instid1(VALU_DEP_3)
	v_dual_lshlrev_b32 v8, 20, v32 :: v_dual_lshlrev_b32 v9, 24, v22
	v_lshl_add_u32 v6, v6, 23, 0x3c000000
	s_delay_alu instid0(VALU_DEP_2) | instskip(NEXT) | instid1(VALU_DEP_3)
	v_and_b32_e32 v8, 0x700000, v8
	v_and_b32_e32 v9, 0x80000000, v9
	s_delay_alu instid0(VALU_DEP_1)
	v_or3_b32 v6, v8, v9, v6
.LBB366_1300:                           ;   in Loop: Header=BB366_998 Depth=1
	s_or_b32 exec_lo, exec_lo, s17
.LBB366_1301:                           ;   in Loop: Header=BB366_998 Depth=1
	s_delay_alu instid0(SALU_CYCLE_1)
	s_or_b32 exec_lo, exec_lo, s16
.LBB366_1302:                           ;   in Loop: Header=BB366_998 Depth=1
	s_delay_alu instid0(SALU_CYCLE_1) | instskip(SKIP_2) | instid1(VALU_DEP_1)
	s_or_b32 exec_lo, exec_lo, s15
	v_lshrrev_b16 v8, 8, v22
	s_mov_b32 s15, exec_lo
	v_cmpx_ne_u16_e32 0, v8
	s_cbranch_execz .LBB366_1310
; %bb.1303:                             ;   in Loop: Header=BB366_998 Depth=1
	v_bfrev_b32_e32 v7, 1
	s_mov_b32 s16, exec_lo
	v_cmpx_ne_u16_e32 0x80, v8
	s_cbranch_execz .LBB366_1309
; %bb.1304:                             ;   in Loop: Header=BB366_998 Depth=1
	v_and_b32_e32 v9, 0xffff, v8
	v_mov_b32_e32 v7, 0x7f800001
	s_mov_b32 s17, exec_lo
	s_delay_alu instid0(VALU_DEP_2) | instskip(NEXT) | instid1(VALU_DEP_1)
	v_and_b32_e32 v8, 0x7f, v9
	v_cmpx_ne_u32_e32 0x7f, v8
	s_cbranch_execz .LBB366_1308
; %bb.1305:                             ;   in Loop: Header=BB366_998 Depth=1
	v_dual_mov_b32 v33, v23 :: v_dual_bitop2_b32 v32, 7, v9 bitop3:0x40
	v_lshrrev_b32_e32 v7, 3, v8
	s_mov_b32 s18, exec_lo
	v_cmpx_gt_u32_e32 8, v8
; %bb.1306:                             ;   in Loop: Header=BB366_998 Depth=1
	s_delay_alu instid0(VALU_DEP_3) | instskip(NEXT) | instid1(VALU_DEP_1)
	v_clz_i32_u32_e32 v7, v32
	v_min_u32_e32 v7, 32, v7
	s_delay_alu instid0(VALU_DEP_1) | instskip(NEXT) | instid1(VALU_DEP_1)
	v_subrev_nc_u32_e32 v8, 28, v7
	v_lshlrev_b64_e32 v[8:9], v8, v[32:33]
	s_delay_alu instid0(VALU_DEP_1)
	v_dual_sub_nc_u32 v7, 29, v7 :: v_dual_bitop2_b32 v32, 7, v8 bitop3:0x40
; %bb.1307:                             ;   in Loop: Header=BB366_998 Depth=1
	s_or_b32 exec_lo, exec_lo, s18
	s_delay_alu instid0(VALU_DEP_1) | instskip(NEXT) | instid1(VALU_DEP_2)
	v_dual_lshlrev_b32 v8, 16, v22 :: v_dual_lshlrev_b32 v9, 20, v32
	v_lshl_add_u32 v7, v7, 23, 0x3c000000
	s_delay_alu instid0(VALU_DEP_2) | instskip(NEXT) | instid1(VALU_DEP_1)
	v_and_b32_e32 v8, 0x80000000, v8
	v_or3_b32 v7, v9, v8, v7
.LBB366_1308:                           ;   in Loop: Header=BB366_998 Depth=1
	s_or_b32 exec_lo, exec_lo, s17
.LBB366_1309:                           ;   in Loop: Header=BB366_998 Depth=1
	s_delay_alu instid0(SALU_CYCLE_1)
	s_or_b32 exec_lo, exec_lo, s16
.LBB366_1310:                           ;   in Loop: Header=BB366_998 Depth=1
	s_delay_alu instid0(SALU_CYCLE_1) | instskip(SKIP_3) | instid1(VALU_DEP_2)
	s_or_b32 exec_lo, exec_lo, s15
	v_dual_lshrrev_b32 v30, 16, v19 :: v_dual_mov_b32 v8, 0
	v_mov_b32_e32 v9, 0
	s_mov_b32 s15, exec_lo
	v_and_b32_e32 v22, 0xff, v30
	s_delay_alu instid0(VALU_DEP_1)
	v_cmpx_ne_u16_e32 0, v22
	s_cbranch_execz .LBB366_1318
; %bb.1311:                             ;   in Loop: Header=BB366_998 Depth=1
	v_bfrev_b32_e32 v9, 1
	s_mov_b32 s16, exec_lo
	v_cmpx_ne_u16_e32 0x80, v22
	s_cbranch_execz .LBB366_1317
; %bb.1312:                             ;   in Loop: Header=BB366_998 Depth=1
	v_bfe_u32 v31, v19, 16, 7
	v_mov_b32_e32 v9, 0x7f800001
	s_mov_b32 s17, exec_lo
	s_delay_alu instid0(VALU_DEP_2)
	v_cmpx_ne_u32_e32 0x7f, v31
	s_cbranch_execz .LBB366_1316
; %bb.1313:                             ;   in Loop: Header=BB366_998 Depth=1
	v_dual_lshrrev_b32 v9, 3, v31 :: v_dual_bitop2_b32 v22, 7, v30 bitop3:0x40
	s_mov_b32 s18, exec_lo
	s_delay_alu instid0(VALU_DEP_1)
	v_mov_b64_e32 v[32:33], v[22:23]
	v_cmpx_gt_u32_e32 8, v31
; %bb.1314:                             ;   in Loop: Header=BB366_998 Depth=1
	v_clz_i32_u32_e32 v9, v22
	s_delay_alu instid0(VALU_DEP_1) | instskip(NEXT) | instid1(VALU_DEP_1)
	v_min_u32_e32 v9, 32, v9
	v_subrev_nc_u32_e32 v31, 28, v9
	s_delay_alu instid0(VALU_DEP_1) | instskip(NEXT) | instid1(VALU_DEP_1)
	v_lshlrev_b64_e32 v[32:33], v31, v[22:23]
	v_dual_sub_nc_u32 v9, 29, v9 :: v_dual_bitop2_b32 v32, 7, v32 bitop3:0x40
; %bb.1315:                             ;   in Loop: Header=BB366_998 Depth=1
	s_or_b32 exec_lo, exec_lo, s18
	s_delay_alu instid0(VALU_DEP_1) | instskip(NEXT) | instid1(VALU_DEP_2)
	v_dual_lshlrev_b32 v22, 24, v30 :: v_dual_lshlrev_b32 v30, 20, v32
	v_lshl_add_u32 v9, v9, 23, 0x3c000000
	s_delay_alu instid0(VALU_DEP_2) | instskip(NEXT) | instid1(VALU_DEP_1)
	v_and_b32_e32 v22, 0x80000000, v22
	v_or3_b32 v9, v30, v22, v9
.LBB366_1316:                           ;   in Loop: Header=BB366_998 Depth=1
	s_or_b32 exec_lo, exec_lo, s17
.LBB366_1317:                           ;   in Loop: Header=BB366_998 Depth=1
	s_delay_alu instid0(SALU_CYCLE_1)
	s_or_b32 exec_lo, exec_lo, s16
.LBB366_1318:                           ;   in Loop: Header=BB366_998 Depth=1
	s_delay_alu instid0(SALU_CYCLE_1) | instskip(NEXT) | instid1(SALU_CYCLE_1)
	s_or_b32 exec_lo, exec_lo, s15
	s_mov_b32 s15, exec_lo
	v_cmpx_lt_u64_e64 s[2:3], v[18:19]
	s_cbranch_execz .LBB366_1326
; %bb.1319:                             ;   in Loop: Header=BB366_998 Depth=1
	v_lshrrev_b32_e32 v30, 24, v19
	v_bfrev_b32_e32 v8, 1
	s_mov_b32 s16, exec_lo
	s_delay_alu instid0(VALU_DEP_2)
	v_cmpx_ne_u32_e32 0x80, v30
	s_cbranch_execz .LBB366_1325
; %bb.1320:                             ;   in Loop: Header=BB366_998 Depth=1
	v_bfe_u32 v18, v19, 24, 7
	v_mov_b32_e32 v8, 0x7f800001
	s_mov_b32 s17, exec_lo
	s_delay_alu instid0(VALU_DEP_2)
	v_cmpx_ne_u32_e32 0x7f, v18
	s_cbranch_execz .LBB366_1324
; %bb.1321:                             ;   in Loop: Header=BB366_998 Depth=1
	v_and_b32_e32 v22, 7, v30
	v_lshrrev_b32_e32 v8, 3, v18
	v_cmp_gt_u32_e64 s0, 8, v18
	s_delay_alu instid0(VALU_DEP_3)
	v_mov_b64_e32 v[18:19], v[22:23]
	s_and_saveexec_b32 s18, s0
; %bb.1322:                             ;   in Loop: Header=BB366_998 Depth=1
	v_clz_i32_u32_e32 v8, v22
	s_delay_alu instid0(VALU_DEP_1) | instskip(NEXT) | instid1(VALU_DEP_1)
	v_min_u32_e32 v8, 32, v8
	v_subrev_nc_u32_e32 v18, 28, v8
	s_delay_alu instid0(VALU_DEP_1) | instskip(NEXT) | instid1(VALU_DEP_1)
	v_lshlrev_b64_e32 v[18:19], v18, v[22:23]
	v_dual_sub_nc_u32 v8, 29, v8 :: v_dual_bitop2_b32 v18, 7, v18 bitop3:0x40
; %bb.1323:                             ;   in Loop: Header=BB366_998 Depth=1
	s_or_b32 exec_lo, exec_lo, s18
	v_lshlrev_b32_e32 v19, 24, v30
	s_delay_alu instid0(VALU_DEP_2) | instskip(NEXT) | instid1(VALU_DEP_3)
	v_lshlrev_b32_e32 v18, 20, v18
	v_lshl_add_u32 v8, v8, 23, 0x3c000000
	s_delay_alu instid0(VALU_DEP_3) | instskip(NEXT) | instid1(VALU_DEP_1)
	v_and_b32_e32 v19, 0x80000000, v19
	v_or3_b32 v8, v18, v19, v8
.LBB366_1324:                           ;   in Loop: Header=BB366_998 Depth=1
	s_or_b32 exec_lo, exec_lo, s17
.LBB366_1325:                           ;   in Loop: Header=BB366_998 Depth=1
	s_delay_alu instid0(SALU_CYCLE_1)
	s_or_b32 exec_lo, exec_lo, s16
.LBB366_1326:                           ;   in Loop: Header=BB366_998 Depth=1
	s_delay_alu instid0(SALU_CYCLE_1)
	s_or_b32 exec_lo, exec_lo, s15
	v_fma_mixlo_bf16 v43, v48, v7, 0
	v_fma_mixlo_bf16 v44, v48, v6, 0
	;; [unrolled: 1-line block ×8, first 2 shown]
	s_and_saveexec_b32 s15, vcc_lo
	s_cbranch_execz .LBB366_1328
; %bb.1327:                             ;   in Loop: Header=BB366_998 Depth=1
	v_cmp_lt_i32_e64 s0, v98, v34
	s_delay_alu instid0(VALU_DEP_1) | instskip(SKIP_1) | instid1(VALU_DEP_1)
	v_cndmask_b32_e64 v58, 0, v58, s0
	v_cmp_lt_i32_e64 s0, v102, v34
	v_cndmask_b32_e64 v57, 0, v57, s0
	v_cmp_lt_i32_e64 s0, v101, v34
	s_delay_alu instid0(VALU_DEP_1) | instskip(SKIP_1) | instid1(VALU_DEP_1)
	v_cndmask_b32_e64 v56, 0, v56, s0
	v_cmp_lt_i32_e64 s0, v100, v34
	v_cndmask_b32_e64 v47, 0, v47, s0
	;; [unrolled: 5-line block ×4, first 2 shown]
.LBB366_1328:                           ;   in Loop: Header=BB366_998 Depth=1
	s_or_b32 exec_lo, exec_lo, s15
	flat_load_b64 v[18:19], v[0:1] offset:1280
	v_dual_mov_b32 v3, 0 :: v_dual_mov_b32 v2, 0
	s_mov_b32 s15, exec_lo
	s_wait_loadcnt_dscnt 0x0
	v_and_b32_e32 v4, 0xff, v18
	s_wait_xcnt 0x0
	s_delay_alu instid0(VALU_DEP_1)
	v_cmpx_ne_u16_e32 0, v4
	s_cbranch_execz .LBB366_1336
; %bb.1329:                             ;   in Loop: Header=BB366_998 Depth=1
	v_bfrev_b32_e32 v2, 1
	s_mov_b32 s16, exec_lo
	v_cmpx_ne_u16_e32 0x80, v4
	s_cbranch_execz .LBB366_1335
; %bb.1330:                             ;   in Loop: Header=BB366_998 Depth=1
	v_and_b32_e32 v4, 0x7f, v18
	v_mov_b32_e32 v2, 0x7f800001
	s_mov_b32 s17, exec_lo
	s_delay_alu instid0(VALU_DEP_2)
	v_cmpx_ne_u32_e32 0x7f, v4
	s_cbranch_execz .LBB366_1334
; %bb.1331:                             ;   in Loop: Header=BB366_998 Depth=1
	v_mov_b64_e32 v[32:33], v[18:19]
	v_lshrrev_b32_e32 v2, 3, v4
	s_mov_b32 s18, exec_lo
	v_cmpx_gt_u32_e32 8, v4
; %bb.1332:                             ;   in Loop: Header=BB366_998 Depth=1
	v_and_b32_e32 v2, 7, v18
	s_delay_alu instid0(VALU_DEP_1) | instskip(NEXT) | instid1(VALU_DEP_1)
	v_clz_i32_u32_e32 v2, v2
	v_min_u32_e32 v2, 32, v2
	s_delay_alu instid0(VALU_DEP_1) | instskip(SKIP_1) | instid1(VALU_DEP_2)
	v_subrev_nc_u32_e32 v4, 28, v2
	v_sub_nc_u32_e32 v2, 29, v2
	v_lshlrev_b64_e32 v[32:33], v4, v[18:19]
; %bb.1333:                             ;   in Loop: Header=BB366_998 Depth=1
	s_or_b32 exec_lo, exec_lo, s18
	s_delay_alu instid0(VALU_DEP_1) | instskip(NEXT) | instid1(VALU_DEP_3)
	v_dual_lshlrev_b32 v4, 20, v32 :: v_dual_lshlrev_b32 v5, 24, v18
	v_lshl_add_u32 v2, v2, 23, 0x3c000000
	s_delay_alu instid0(VALU_DEP_2) | instskip(NEXT) | instid1(VALU_DEP_3)
	v_and_b32_e32 v4, 0x700000, v4
	v_and_b32_e32 v5, 0x80000000, v5
	s_delay_alu instid0(VALU_DEP_1)
	v_or3_b32 v2, v4, v5, v2
.LBB366_1334:                           ;   in Loop: Header=BB366_998 Depth=1
	s_or_b32 exec_lo, exec_lo, s17
.LBB366_1335:                           ;   in Loop: Header=BB366_998 Depth=1
	s_delay_alu instid0(SALU_CYCLE_1)
	s_or_b32 exec_lo, exec_lo, s16
.LBB366_1336:                           ;   in Loop: Header=BB366_998 Depth=1
	s_delay_alu instid0(SALU_CYCLE_1) | instskip(SKIP_2) | instid1(VALU_DEP_1)
	s_or_b32 exec_lo, exec_lo, s15
	v_lshrrev_b16 v4, 8, v18
	s_mov_b32 s15, exec_lo
	v_cmpx_ne_u16_e32 0, v4
	s_cbranch_execz .LBB366_1344
; %bb.1337:                             ;   in Loop: Header=BB366_998 Depth=1
	v_bfrev_b32_e32 v3, 1
	s_mov_b32 s16, exec_lo
	v_cmpx_ne_u16_e32 0x80, v4
	s_cbranch_execz .LBB366_1343
; %bb.1338:                             ;   in Loop: Header=BB366_998 Depth=1
	v_and_b32_e32 v5, 0xffff, v4
	v_mov_b32_e32 v3, 0x7f800001
	s_mov_b32 s17, exec_lo
	s_delay_alu instid0(VALU_DEP_2) | instskip(NEXT) | instid1(VALU_DEP_1)
	v_and_b32_e32 v4, 0x7f, v5
	v_cmpx_ne_u32_e32 0x7f, v4
	s_cbranch_execz .LBB366_1342
; %bb.1339:                             ;   in Loop: Header=BB366_998 Depth=1
	v_dual_lshrrev_b32 v3, 3, v4 :: v_dual_bitop2_b32 v22, 7, v5 bitop3:0x40
	s_mov_b32 s18, exec_lo
	s_delay_alu instid0(VALU_DEP_1)
	v_mov_b64_e32 v[32:33], v[22:23]
	v_cmpx_gt_u32_e32 8, v4
; %bb.1340:                             ;   in Loop: Header=BB366_998 Depth=1
	v_clz_i32_u32_e32 v3, v22
	s_delay_alu instid0(VALU_DEP_1) | instskip(NEXT) | instid1(VALU_DEP_1)
	v_min_u32_e32 v3, 32, v3
	v_subrev_nc_u32_e32 v4, 28, v3
	s_delay_alu instid0(VALU_DEP_1) | instskip(NEXT) | instid1(VALU_DEP_1)
	v_lshlrev_b64_e32 v[4:5], v4, v[22:23]
	v_dual_sub_nc_u32 v3, 29, v3 :: v_dual_bitop2_b32 v32, 7, v4 bitop3:0x40
; %bb.1341:                             ;   in Loop: Header=BB366_998 Depth=1
	s_or_b32 exec_lo, exec_lo, s18
	s_delay_alu instid0(VALU_DEP_1) | instskip(NEXT) | instid1(VALU_DEP_2)
	v_dual_lshlrev_b32 v4, 16, v18 :: v_dual_lshlrev_b32 v5, 20, v32
	v_lshl_add_u32 v3, v3, 23, 0x3c000000
	s_delay_alu instid0(VALU_DEP_2) | instskip(NEXT) | instid1(VALU_DEP_1)
	v_and_b32_e32 v4, 0x80000000, v4
	v_or3_b32 v3, v5, v4, v3
.LBB366_1342:                           ;   in Loop: Header=BB366_998 Depth=1
	s_or_b32 exec_lo, exec_lo, s17
.LBB366_1343:                           ;   in Loop: Header=BB366_998 Depth=1
	s_delay_alu instid0(SALU_CYCLE_1)
	s_or_b32 exec_lo, exec_lo, s16
.LBB366_1344:                           ;   in Loop: Header=BB366_998 Depth=1
	s_delay_alu instid0(SALU_CYCLE_1) | instskip(SKIP_3) | instid1(VALU_DEP_2)
	s_or_b32 exec_lo, exec_lo, s15
	v_dual_mov_b32 v5, 0 :: v_dual_lshrrev_b32 v6, 16, v18
	v_mov_b32_e32 v4, 0
	s_mov_b32 s15, exec_lo
	v_and_b32_e32 v7, 0xff, v6
	s_delay_alu instid0(VALU_DEP_1)
	v_cmpx_ne_u16_e32 0, v7
	s_cbranch_execz .LBB366_1352
; %bb.1345:                             ;   in Loop: Header=BB366_998 Depth=1
	v_bfrev_b32_e32 v4, 1
	s_mov_b32 s16, exec_lo
	v_cmpx_ne_u16_e32 0x80, v7
	s_cbranch_execz .LBB366_1351
; %bb.1346:                             ;   in Loop: Header=BB366_998 Depth=1
	v_bfe_u32 v7, v18, 16, 7
	v_mov_b32_e32 v4, 0x7f800001
	s_mov_b32 s17, exec_lo
	s_delay_alu instid0(VALU_DEP_2)
	v_cmpx_ne_u32_e32 0x7f, v7
	s_cbranch_execz .LBB366_1350
; %bb.1347:                             ;   in Loop: Header=BB366_998 Depth=1
	v_dual_lshrrev_b32 v4, 3, v7 :: v_dual_bitop2_b32 v22, 7, v6 bitop3:0x40
	s_mov_b32 s18, exec_lo
	s_delay_alu instid0(VALU_DEP_1)
	v_mov_b64_e32 v[32:33], v[22:23]
	v_cmpx_gt_u32_e32 8, v7
; %bb.1348:                             ;   in Loop: Header=BB366_998 Depth=1
	v_clz_i32_u32_e32 v4, v22
	s_delay_alu instid0(VALU_DEP_1) | instskip(NEXT) | instid1(VALU_DEP_1)
	v_min_u32_e32 v4, 32, v4
	v_subrev_nc_u32_e32 v7, 28, v4
	v_sub_nc_u32_e32 v4, 29, v4
	s_delay_alu instid0(VALU_DEP_2) | instskip(NEXT) | instid1(VALU_DEP_1)
	v_lshlrev_b64_e32 v[8:9], v7, v[22:23]
	v_and_b32_e32 v32, 7, v8
; %bb.1349:                             ;   in Loop: Header=BB366_998 Depth=1
	s_or_b32 exec_lo, exec_lo, s18
	s_delay_alu instid0(VALU_DEP_1) | instskip(SKIP_1) | instid1(VALU_DEP_2)
	v_dual_lshlrev_b32 v6, 24, v6 :: v_dual_lshlrev_b32 v7, 20, v32
	v_lshl_add_u32 v4, v4, 23, 0x3c000000
	v_and_b32_e32 v6, 0x80000000, v6
	s_delay_alu instid0(VALU_DEP_1)
	v_or3_b32 v4, v7, v6, v4
.LBB366_1350:                           ;   in Loop: Header=BB366_998 Depth=1
	s_or_b32 exec_lo, exec_lo, s17
.LBB366_1351:                           ;   in Loop: Header=BB366_998 Depth=1
	s_delay_alu instid0(SALU_CYCLE_1)
	s_or_b32 exec_lo, exec_lo, s16
.LBB366_1352:                           ;   in Loop: Header=BB366_998 Depth=1
	s_delay_alu instid0(SALU_CYCLE_1) | instskip(NEXT) | instid1(SALU_CYCLE_1)
	s_or_b32 exec_lo, exec_lo, s15
	s_mov_b32 s15, exec_lo
	v_cmpx_lt_u32_e32 0xffffff, v18
	s_cbranch_execz .LBB366_1360
; %bb.1353:                             ;   in Loop: Header=BB366_998 Depth=1
	v_lshrrev_b32_e32 v6, 24, v18
	v_bfrev_b32_e32 v5, 1
	s_mov_b32 s16, exec_lo
	s_delay_alu instid0(VALU_DEP_2)
	v_cmpx_ne_u32_e32 0x80, v6
	s_cbranch_execz .LBB366_1359
; %bb.1354:                             ;   in Loop: Header=BB366_998 Depth=1
	v_bfe_u32 v7, v18, 24, 7
	v_mov_b32_e32 v5, 0x7f800001
	s_mov_b32 s17, exec_lo
	s_delay_alu instid0(VALU_DEP_2)
	v_cmpx_ne_u32_e32 0x7f, v7
	s_cbranch_execz .LBB366_1358
; %bb.1355:                             ;   in Loop: Header=BB366_998 Depth=1
	v_dual_lshrrev_b32 v5, 3, v7 :: v_dual_bitop2_b32 v22, 7, v6 bitop3:0x40
	s_mov_b32 s18, exec_lo
	s_delay_alu instid0(VALU_DEP_1)
	v_mov_b64_e32 v[32:33], v[22:23]
	v_cmpx_gt_u32_e32 8, v7
; %bb.1356:                             ;   in Loop: Header=BB366_998 Depth=1
	v_clz_i32_u32_e32 v5, v22
	s_delay_alu instid0(VALU_DEP_1) | instskip(NEXT) | instid1(VALU_DEP_1)
	v_min_u32_e32 v5, 32, v5
	v_subrev_nc_u32_e32 v7, 28, v5
	s_delay_alu instid0(VALU_DEP_1) | instskip(NEXT) | instid1(VALU_DEP_1)
	v_lshlrev_b64_e32 v[8:9], v7, v[22:23]
	v_dual_sub_nc_u32 v5, 29, v5 :: v_dual_bitop2_b32 v32, 7, v8 bitop3:0x40
; %bb.1357:                             ;   in Loop: Header=BB366_998 Depth=1
	s_or_b32 exec_lo, exec_lo, s18
	s_delay_alu instid0(VALU_DEP_1) | instskip(NEXT) | instid1(VALU_DEP_2)
	v_dual_lshlrev_b32 v6, 24, v6 :: v_dual_lshlrev_b32 v7, 20, v32
	v_lshl_add_u32 v5, v5, 23, 0x3c000000
	s_delay_alu instid0(VALU_DEP_2) | instskip(NEXT) | instid1(VALU_DEP_1)
	v_and_b32_e32 v6, 0x80000000, v6
	v_or3_b32 v5, v7, v6, v5
.LBB366_1358:                           ;   in Loop: Header=BB366_998 Depth=1
	s_or_b32 exec_lo, exec_lo, s17
.LBB366_1359:                           ;   in Loop: Header=BB366_998 Depth=1
	s_delay_alu instid0(SALU_CYCLE_1)
	s_or_b32 exec_lo, exec_lo, s16
.LBB366_1360:                           ;   in Loop: Header=BB366_998 Depth=1
	s_delay_alu instid0(SALU_CYCLE_1) | instskip(SKIP_4) | instid1(VALU_DEP_3)
	s_or_b32 exec_lo, exec_lo, s15
	v_and_b32_e32 v8, 0xff, v19
	v_dual_mov_b32 v22, v19 :: v_dual_mov_b32 v7, 0
	v_mov_b32_e32 v6, 0
	s_mov_b32 s15, exec_lo
	v_cmpx_ne_u16_e32 0, v8
	s_cbranch_execz .LBB366_1368
; %bb.1361:                             ;   in Loop: Header=BB366_998 Depth=1
	v_bfrev_b32_e32 v6, 1
	s_mov_b32 s16, exec_lo
	v_cmpx_ne_u16_e32 0x80, v8
	s_cbranch_execz .LBB366_1367
; %bb.1362:                             ;   in Loop: Header=BB366_998 Depth=1
	v_and_b32_e32 v8, 0x7f, v19
	v_mov_b32_e32 v6, 0x7f800001
	s_mov_b32 s17, exec_lo
	s_delay_alu instid0(VALU_DEP_2)
	v_cmpx_ne_u32_e32 0x7f, v8
	s_cbranch_execz .LBB366_1366
; %bb.1363:                             ;   in Loop: Header=BB366_998 Depth=1
	v_mov_b64_e32 v[32:33], v[22:23]
	v_lshrrev_b32_e32 v6, 3, v8
	s_mov_b32 s18, exec_lo
	v_cmpx_gt_u32_e32 8, v8
; %bb.1364:                             ;   in Loop: Header=BB366_998 Depth=1
	v_and_b32_e32 v6, 7, v19
	s_delay_alu instid0(VALU_DEP_1) | instskip(NEXT) | instid1(VALU_DEP_1)
	v_clz_i32_u32_e32 v6, v6
	v_min_u32_e32 v6, 32, v6
	s_delay_alu instid0(VALU_DEP_1) | instskip(SKIP_1) | instid1(VALU_DEP_2)
	v_subrev_nc_u32_e32 v8, 28, v6
	v_sub_nc_u32_e32 v6, 29, v6
	v_lshlrev_b64_e32 v[32:33], v8, v[22:23]
; %bb.1365:                             ;   in Loop: Header=BB366_998 Depth=1
	s_or_b32 exec_lo, exec_lo, s18
	s_delay_alu instid0(VALU_DEP_1) | instskip(NEXT) | instid1(VALU_DEP_3)
	v_dual_lshlrev_b32 v8, 20, v32 :: v_dual_lshlrev_b32 v9, 24, v22
	v_lshl_add_u32 v6, v6, 23, 0x3c000000
	s_delay_alu instid0(VALU_DEP_2) | instskip(NEXT) | instid1(VALU_DEP_3)
	v_and_b32_e32 v8, 0x700000, v8
	v_and_b32_e32 v9, 0x80000000, v9
	s_delay_alu instid0(VALU_DEP_1)
	v_or3_b32 v6, v8, v9, v6
.LBB366_1366:                           ;   in Loop: Header=BB366_998 Depth=1
	s_or_b32 exec_lo, exec_lo, s17
.LBB366_1367:                           ;   in Loop: Header=BB366_998 Depth=1
	s_delay_alu instid0(SALU_CYCLE_1)
	s_or_b32 exec_lo, exec_lo, s16
.LBB366_1368:                           ;   in Loop: Header=BB366_998 Depth=1
	s_delay_alu instid0(SALU_CYCLE_1) | instskip(SKIP_2) | instid1(VALU_DEP_1)
	s_or_b32 exec_lo, exec_lo, s15
	v_lshrrev_b16 v8, 8, v22
	s_mov_b32 s15, exec_lo
	v_cmpx_ne_u16_e32 0, v8
	s_cbranch_execz .LBB366_1376
; %bb.1369:                             ;   in Loop: Header=BB366_998 Depth=1
	v_bfrev_b32_e32 v7, 1
	s_mov_b32 s16, exec_lo
	v_cmpx_ne_u16_e32 0x80, v8
	s_cbranch_execz .LBB366_1375
; %bb.1370:                             ;   in Loop: Header=BB366_998 Depth=1
	v_and_b32_e32 v9, 0xffff, v8
	v_mov_b32_e32 v7, 0x7f800001
	s_mov_b32 s17, exec_lo
	s_delay_alu instid0(VALU_DEP_2) | instskip(NEXT) | instid1(VALU_DEP_1)
	v_and_b32_e32 v8, 0x7f, v9
	v_cmpx_ne_u32_e32 0x7f, v8
	s_cbranch_execz .LBB366_1374
; %bb.1371:                             ;   in Loop: Header=BB366_998 Depth=1
	v_dual_mov_b32 v33, v23 :: v_dual_bitop2_b32 v32, 7, v9 bitop3:0x40
	v_lshrrev_b32_e32 v7, 3, v8
	s_mov_b32 s18, exec_lo
	v_cmpx_gt_u32_e32 8, v8
; %bb.1372:                             ;   in Loop: Header=BB366_998 Depth=1
	s_delay_alu instid0(VALU_DEP_3) | instskip(NEXT) | instid1(VALU_DEP_1)
	v_clz_i32_u32_e32 v7, v32
	v_min_u32_e32 v7, 32, v7
	s_delay_alu instid0(VALU_DEP_1) | instskip(NEXT) | instid1(VALU_DEP_1)
	v_subrev_nc_u32_e32 v8, 28, v7
	v_lshlrev_b64_e32 v[8:9], v8, v[32:33]
	s_delay_alu instid0(VALU_DEP_1)
	v_dual_sub_nc_u32 v7, 29, v7 :: v_dual_bitop2_b32 v32, 7, v8 bitop3:0x40
; %bb.1373:                             ;   in Loop: Header=BB366_998 Depth=1
	s_or_b32 exec_lo, exec_lo, s18
	s_delay_alu instid0(VALU_DEP_1) | instskip(NEXT) | instid1(VALU_DEP_2)
	v_dual_lshlrev_b32 v8, 16, v22 :: v_dual_lshlrev_b32 v9, 20, v32
	v_lshl_add_u32 v7, v7, 23, 0x3c000000
	s_delay_alu instid0(VALU_DEP_2) | instskip(NEXT) | instid1(VALU_DEP_1)
	v_and_b32_e32 v8, 0x80000000, v8
	v_or3_b32 v7, v9, v8, v7
.LBB366_1374:                           ;   in Loop: Header=BB366_998 Depth=1
	s_or_b32 exec_lo, exec_lo, s17
.LBB366_1375:                           ;   in Loop: Header=BB366_998 Depth=1
	s_delay_alu instid0(SALU_CYCLE_1)
	s_or_b32 exec_lo, exec_lo, s16
.LBB366_1376:                           ;   in Loop: Header=BB366_998 Depth=1
	s_delay_alu instid0(SALU_CYCLE_1) | instskip(SKIP_3) | instid1(VALU_DEP_2)
	s_or_b32 exec_lo, exec_lo, s15
	v_dual_lshrrev_b32 v30, 16, v19 :: v_dual_mov_b32 v8, 0
	v_mov_b32_e32 v9, 0
	s_mov_b32 s15, exec_lo
	v_and_b32_e32 v22, 0xff, v30
	s_delay_alu instid0(VALU_DEP_1)
	v_cmpx_ne_u16_e32 0, v22
	s_cbranch_execz .LBB366_1384
; %bb.1377:                             ;   in Loop: Header=BB366_998 Depth=1
	v_bfrev_b32_e32 v9, 1
	s_mov_b32 s16, exec_lo
	v_cmpx_ne_u16_e32 0x80, v22
	s_cbranch_execz .LBB366_1383
; %bb.1378:                             ;   in Loop: Header=BB366_998 Depth=1
	v_bfe_u32 v31, v19, 16, 7
	v_mov_b32_e32 v9, 0x7f800001
	s_mov_b32 s17, exec_lo
	s_delay_alu instid0(VALU_DEP_2)
	v_cmpx_ne_u32_e32 0x7f, v31
	s_cbranch_execz .LBB366_1382
; %bb.1379:                             ;   in Loop: Header=BB366_998 Depth=1
	v_dual_lshrrev_b32 v9, 3, v31 :: v_dual_bitop2_b32 v22, 7, v30 bitop3:0x40
	s_mov_b32 s18, exec_lo
	s_delay_alu instid0(VALU_DEP_1)
	v_mov_b64_e32 v[32:33], v[22:23]
	v_cmpx_gt_u32_e32 8, v31
; %bb.1380:                             ;   in Loop: Header=BB366_998 Depth=1
	v_clz_i32_u32_e32 v9, v22
	s_delay_alu instid0(VALU_DEP_1) | instskip(NEXT) | instid1(VALU_DEP_1)
	v_min_u32_e32 v9, 32, v9
	v_subrev_nc_u32_e32 v31, 28, v9
	s_delay_alu instid0(VALU_DEP_1) | instskip(NEXT) | instid1(VALU_DEP_1)
	v_lshlrev_b64_e32 v[32:33], v31, v[22:23]
	v_dual_sub_nc_u32 v9, 29, v9 :: v_dual_bitop2_b32 v32, 7, v32 bitop3:0x40
; %bb.1381:                             ;   in Loop: Header=BB366_998 Depth=1
	s_or_b32 exec_lo, exec_lo, s18
	s_delay_alu instid0(VALU_DEP_1) | instskip(NEXT) | instid1(VALU_DEP_2)
	v_dual_lshlrev_b32 v22, 24, v30 :: v_dual_lshlrev_b32 v30, 20, v32
	v_lshl_add_u32 v9, v9, 23, 0x3c000000
	s_delay_alu instid0(VALU_DEP_2) | instskip(NEXT) | instid1(VALU_DEP_1)
	v_and_b32_e32 v22, 0x80000000, v22
	v_or3_b32 v9, v30, v22, v9
.LBB366_1382:                           ;   in Loop: Header=BB366_998 Depth=1
	s_or_b32 exec_lo, exec_lo, s17
.LBB366_1383:                           ;   in Loop: Header=BB366_998 Depth=1
	s_delay_alu instid0(SALU_CYCLE_1)
	s_or_b32 exec_lo, exec_lo, s16
.LBB366_1384:                           ;   in Loop: Header=BB366_998 Depth=1
	s_delay_alu instid0(SALU_CYCLE_1) | instskip(NEXT) | instid1(SALU_CYCLE_1)
	s_or_b32 exec_lo, exec_lo, s15
	s_mov_b32 s15, exec_lo
	v_cmpx_lt_u64_e64 s[2:3], v[18:19]
	s_cbranch_execz .LBB366_1392
; %bb.1385:                             ;   in Loop: Header=BB366_998 Depth=1
	v_lshrrev_b32_e32 v30, 24, v19
	v_bfrev_b32_e32 v8, 1
	s_mov_b32 s16, exec_lo
	s_delay_alu instid0(VALU_DEP_2)
	v_cmpx_ne_u32_e32 0x80, v30
	s_cbranch_execz .LBB366_1391
; %bb.1386:                             ;   in Loop: Header=BB366_998 Depth=1
	v_bfe_u32 v18, v19, 24, 7
	v_mov_b32_e32 v8, 0x7f800001
	s_mov_b32 s17, exec_lo
	s_delay_alu instid0(VALU_DEP_2)
	v_cmpx_ne_u32_e32 0x7f, v18
	s_cbranch_execz .LBB366_1390
; %bb.1387:                             ;   in Loop: Header=BB366_998 Depth=1
	v_and_b32_e32 v22, 7, v30
	v_lshrrev_b32_e32 v8, 3, v18
	v_cmp_gt_u32_e64 s0, 8, v18
	s_delay_alu instid0(VALU_DEP_3)
	v_mov_b64_e32 v[18:19], v[22:23]
	s_and_saveexec_b32 s18, s0
; %bb.1388:                             ;   in Loop: Header=BB366_998 Depth=1
	v_clz_i32_u32_e32 v8, v22
	s_delay_alu instid0(VALU_DEP_1) | instskip(NEXT) | instid1(VALU_DEP_1)
	v_min_u32_e32 v8, 32, v8
	v_subrev_nc_u32_e32 v18, 28, v8
	s_delay_alu instid0(VALU_DEP_1) | instskip(NEXT) | instid1(VALU_DEP_1)
	v_lshlrev_b64_e32 v[18:19], v18, v[22:23]
	v_dual_sub_nc_u32 v8, 29, v8 :: v_dual_bitop2_b32 v18, 7, v18 bitop3:0x40
; %bb.1389:                             ;   in Loop: Header=BB366_998 Depth=1
	s_or_b32 exec_lo, exec_lo, s18
	v_lshlrev_b32_e32 v19, 24, v30
	s_delay_alu instid0(VALU_DEP_2) | instskip(NEXT) | instid1(VALU_DEP_3)
	v_lshlrev_b32_e32 v18, 20, v18
	v_lshl_add_u32 v8, v8, 23, 0x3c000000
	s_delay_alu instid0(VALU_DEP_3) | instskip(NEXT) | instid1(VALU_DEP_1)
	v_and_b32_e32 v19, 0x80000000, v19
	v_or3_b32 v8, v18, v19, v8
.LBB366_1390:                           ;   in Loop: Header=BB366_998 Depth=1
	s_or_b32 exec_lo, exec_lo, s17
.LBB366_1391:                           ;   in Loop: Header=BB366_998 Depth=1
	s_delay_alu instid0(SALU_CYCLE_1)
	s_or_b32 exec_lo, exec_lo, s16
.LBB366_1392:                           ;   in Loop: Header=BB366_998 Depth=1
	s_delay_alu instid0(SALU_CYCLE_1)
	s_or_b32 exec_lo, exec_lo, s15
	v_fma_mixlo_bf16 v59, v48, v7, 0
	v_fma_mixlo_bf16 v60, v48, v6, 0
	;; [unrolled: 1-line block ×8, first 2 shown]
	s_and_saveexec_b32 s15, vcc_lo
	s_cbranch_execz .LBB366_1394
; %bb.1393:                             ;   in Loop: Header=BB366_998 Depth=1
	v_cmp_lt_i32_e64 s0, v98, v34
	s_delay_alu instid0(VALU_DEP_1) | instskip(SKIP_1) | instid1(VALU_DEP_1)
	v_cndmask_b32_e64 v74, 0, v74, s0
	v_cmp_lt_i32_e64 s0, v102, v34
	v_cndmask_b32_e64 v73, 0, v73, s0
	v_cmp_lt_i32_e64 s0, v101, v34
	s_delay_alu instid0(VALU_DEP_1) | instskip(SKIP_1) | instid1(VALU_DEP_1)
	v_cndmask_b32_e64 v72, 0, v72, s0
	v_cmp_lt_i32_e64 s0, v100, v34
	v_cndmask_b32_e64 v63, 0, v63, s0
	;; [unrolled: 5-line block ×4, first 2 shown]
.LBB366_1394:                           ;   in Loop: Header=BB366_998 Depth=1
	s_or_b32 exec_lo, exec_lo, s15
	flat_load_b64 v[18:19], v[0:1] offset:1536
	v_dual_mov_b32 v3, 0 :: v_dual_mov_b32 v2, 0
	s_mov_b32 s15, exec_lo
	s_wait_loadcnt_dscnt 0x0
	v_and_b32_e32 v4, 0xff, v18
	s_wait_xcnt 0x0
	s_delay_alu instid0(VALU_DEP_1)
	v_cmpx_ne_u16_e32 0, v4
	s_cbranch_execz .LBB366_1402
; %bb.1395:                             ;   in Loop: Header=BB366_998 Depth=1
	v_bfrev_b32_e32 v2, 1
	s_mov_b32 s16, exec_lo
	v_cmpx_ne_u16_e32 0x80, v4
	s_cbranch_execz .LBB366_1401
; %bb.1396:                             ;   in Loop: Header=BB366_998 Depth=1
	v_and_b32_e32 v4, 0x7f, v18
	v_mov_b32_e32 v2, 0x7f800001
	s_mov_b32 s17, exec_lo
	s_delay_alu instid0(VALU_DEP_2)
	v_cmpx_ne_u32_e32 0x7f, v4
	s_cbranch_execz .LBB366_1400
; %bb.1397:                             ;   in Loop: Header=BB366_998 Depth=1
	v_mov_b64_e32 v[32:33], v[18:19]
	v_lshrrev_b32_e32 v2, 3, v4
	s_mov_b32 s18, exec_lo
	v_cmpx_gt_u32_e32 8, v4
; %bb.1398:                             ;   in Loop: Header=BB366_998 Depth=1
	v_and_b32_e32 v2, 7, v18
	s_delay_alu instid0(VALU_DEP_1) | instskip(NEXT) | instid1(VALU_DEP_1)
	v_clz_i32_u32_e32 v2, v2
	v_min_u32_e32 v2, 32, v2
	s_delay_alu instid0(VALU_DEP_1) | instskip(SKIP_1) | instid1(VALU_DEP_2)
	v_subrev_nc_u32_e32 v4, 28, v2
	v_sub_nc_u32_e32 v2, 29, v2
	v_lshlrev_b64_e32 v[32:33], v4, v[18:19]
; %bb.1399:                             ;   in Loop: Header=BB366_998 Depth=1
	s_or_b32 exec_lo, exec_lo, s18
	s_delay_alu instid0(VALU_DEP_1) | instskip(NEXT) | instid1(VALU_DEP_3)
	v_dual_lshlrev_b32 v4, 20, v32 :: v_dual_lshlrev_b32 v5, 24, v18
	v_lshl_add_u32 v2, v2, 23, 0x3c000000
	s_delay_alu instid0(VALU_DEP_2) | instskip(NEXT) | instid1(VALU_DEP_3)
	v_and_b32_e32 v4, 0x700000, v4
	v_and_b32_e32 v5, 0x80000000, v5
	s_delay_alu instid0(VALU_DEP_1)
	v_or3_b32 v2, v4, v5, v2
.LBB366_1400:                           ;   in Loop: Header=BB366_998 Depth=1
	s_or_b32 exec_lo, exec_lo, s17
.LBB366_1401:                           ;   in Loop: Header=BB366_998 Depth=1
	s_delay_alu instid0(SALU_CYCLE_1)
	s_or_b32 exec_lo, exec_lo, s16
.LBB366_1402:                           ;   in Loop: Header=BB366_998 Depth=1
	s_delay_alu instid0(SALU_CYCLE_1) | instskip(SKIP_2) | instid1(VALU_DEP_1)
	s_or_b32 exec_lo, exec_lo, s15
	v_lshrrev_b16 v4, 8, v18
	s_mov_b32 s15, exec_lo
	v_cmpx_ne_u16_e32 0, v4
	s_cbranch_execz .LBB366_1410
; %bb.1403:                             ;   in Loop: Header=BB366_998 Depth=1
	v_bfrev_b32_e32 v3, 1
	s_mov_b32 s16, exec_lo
	v_cmpx_ne_u16_e32 0x80, v4
	s_cbranch_execz .LBB366_1409
; %bb.1404:                             ;   in Loop: Header=BB366_998 Depth=1
	v_and_b32_e32 v5, 0xffff, v4
	v_mov_b32_e32 v3, 0x7f800001
	s_mov_b32 s17, exec_lo
	s_delay_alu instid0(VALU_DEP_2) | instskip(NEXT) | instid1(VALU_DEP_1)
	v_and_b32_e32 v4, 0x7f, v5
	v_cmpx_ne_u32_e32 0x7f, v4
	s_cbranch_execz .LBB366_1408
; %bb.1405:                             ;   in Loop: Header=BB366_998 Depth=1
	v_dual_lshrrev_b32 v3, 3, v4 :: v_dual_bitop2_b32 v22, 7, v5 bitop3:0x40
	s_mov_b32 s18, exec_lo
	s_delay_alu instid0(VALU_DEP_1)
	v_mov_b64_e32 v[32:33], v[22:23]
	v_cmpx_gt_u32_e32 8, v4
; %bb.1406:                             ;   in Loop: Header=BB366_998 Depth=1
	v_clz_i32_u32_e32 v3, v22
	s_delay_alu instid0(VALU_DEP_1) | instskip(NEXT) | instid1(VALU_DEP_1)
	v_min_u32_e32 v3, 32, v3
	v_subrev_nc_u32_e32 v4, 28, v3
	s_delay_alu instid0(VALU_DEP_1) | instskip(NEXT) | instid1(VALU_DEP_1)
	v_lshlrev_b64_e32 v[4:5], v4, v[22:23]
	v_dual_sub_nc_u32 v3, 29, v3 :: v_dual_bitop2_b32 v32, 7, v4 bitop3:0x40
; %bb.1407:                             ;   in Loop: Header=BB366_998 Depth=1
	s_or_b32 exec_lo, exec_lo, s18
	s_delay_alu instid0(VALU_DEP_1) | instskip(NEXT) | instid1(VALU_DEP_2)
	v_dual_lshlrev_b32 v4, 16, v18 :: v_dual_lshlrev_b32 v5, 20, v32
	v_lshl_add_u32 v3, v3, 23, 0x3c000000
	s_delay_alu instid0(VALU_DEP_2) | instskip(NEXT) | instid1(VALU_DEP_1)
	v_and_b32_e32 v4, 0x80000000, v4
	v_or3_b32 v3, v5, v4, v3
.LBB366_1408:                           ;   in Loop: Header=BB366_998 Depth=1
	s_or_b32 exec_lo, exec_lo, s17
.LBB366_1409:                           ;   in Loop: Header=BB366_998 Depth=1
	s_delay_alu instid0(SALU_CYCLE_1)
	s_or_b32 exec_lo, exec_lo, s16
.LBB366_1410:                           ;   in Loop: Header=BB366_998 Depth=1
	s_delay_alu instid0(SALU_CYCLE_1) | instskip(SKIP_3) | instid1(VALU_DEP_2)
	s_or_b32 exec_lo, exec_lo, s15
	v_dual_mov_b32 v5, 0 :: v_dual_lshrrev_b32 v6, 16, v18
	v_mov_b32_e32 v4, 0
	s_mov_b32 s15, exec_lo
	v_and_b32_e32 v7, 0xff, v6
	s_delay_alu instid0(VALU_DEP_1)
	v_cmpx_ne_u16_e32 0, v7
	s_cbranch_execz .LBB366_1418
; %bb.1411:                             ;   in Loop: Header=BB366_998 Depth=1
	v_bfrev_b32_e32 v4, 1
	s_mov_b32 s16, exec_lo
	v_cmpx_ne_u16_e32 0x80, v7
	s_cbranch_execz .LBB366_1417
; %bb.1412:                             ;   in Loop: Header=BB366_998 Depth=1
	v_bfe_u32 v7, v18, 16, 7
	v_mov_b32_e32 v4, 0x7f800001
	s_mov_b32 s17, exec_lo
	s_delay_alu instid0(VALU_DEP_2)
	v_cmpx_ne_u32_e32 0x7f, v7
	s_cbranch_execz .LBB366_1416
; %bb.1413:                             ;   in Loop: Header=BB366_998 Depth=1
	v_dual_lshrrev_b32 v4, 3, v7 :: v_dual_bitop2_b32 v22, 7, v6 bitop3:0x40
	s_mov_b32 s18, exec_lo
	s_delay_alu instid0(VALU_DEP_1)
	v_mov_b64_e32 v[32:33], v[22:23]
	v_cmpx_gt_u32_e32 8, v7
; %bb.1414:                             ;   in Loop: Header=BB366_998 Depth=1
	v_clz_i32_u32_e32 v4, v22
	s_delay_alu instid0(VALU_DEP_1) | instskip(NEXT) | instid1(VALU_DEP_1)
	v_min_u32_e32 v4, 32, v4
	v_subrev_nc_u32_e32 v7, 28, v4
	v_sub_nc_u32_e32 v4, 29, v4
	s_delay_alu instid0(VALU_DEP_2) | instskip(NEXT) | instid1(VALU_DEP_1)
	v_lshlrev_b64_e32 v[8:9], v7, v[22:23]
	v_and_b32_e32 v32, 7, v8
; %bb.1415:                             ;   in Loop: Header=BB366_998 Depth=1
	s_or_b32 exec_lo, exec_lo, s18
	s_delay_alu instid0(VALU_DEP_1) | instskip(SKIP_1) | instid1(VALU_DEP_2)
	v_dual_lshlrev_b32 v6, 24, v6 :: v_dual_lshlrev_b32 v7, 20, v32
	v_lshl_add_u32 v4, v4, 23, 0x3c000000
	v_and_b32_e32 v6, 0x80000000, v6
	s_delay_alu instid0(VALU_DEP_1)
	v_or3_b32 v4, v7, v6, v4
.LBB366_1416:                           ;   in Loop: Header=BB366_998 Depth=1
	s_or_b32 exec_lo, exec_lo, s17
.LBB366_1417:                           ;   in Loop: Header=BB366_998 Depth=1
	s_delay_alu instid0(SALU_CYCLE_1)
	s_or_b32 exec_lo, exec_lo, s16
.LBB366_1418:                           ;   in Loop: Header=BB366_998 Depth=1
	s_delay_alu instid0(SALU_CYCLE_1) | instskip(NEXT) | instid1(SALU_CYCLE_1)
	s_or_b32 exec_lo, exec_lo, s15
	s_mov_b32 s15, exec_lo
	v_cmpx_lt_u32_e32 0xffffff, v18
	s_cbranch_execz .LBB366_1426
; %bb.1419:                             ;   in Loop: Header=BB366_998 Depth=1
	v_lshrrev_b32_e32 v6, 24, v18
	v_bfrev_b32_e32 v5, 1
	s_mov_b32 s16, exec_lo
	s_delay_alu instid0(VALU_DEP_2)
	v_cmpx_ne_u32_e32 0x80, v6
	s_cbranch_execz .LBB366_1425
; %bb.1420:                             ;   in Loop: Header=BB366_998 Depth=1
	v_bfe_u32 v7, v18, 24, 7
	v_mov_b32_e32 v5, 0x7f800001
	s_mov_b32 s17, exec_lo
	s_delay_alu instid0(VALU_DEP_2)
	v_cmpx_ne_u32_e32 0x7f, v7
	s_cbranch_execz .LBB366_1424
; %bb.1421:                             ;   in Loop: Header=BB366_998 Depth=1
	v_dual_lshrrev_b32 v5, 3, v7 :: v_dual_bitop2_b32 v22, 7, v6 bitop3:0x40
	s_mov_b32 s18, exec_lo
	s_delay_alu instid0(VALU_DEP_1)
	v_mov_b64_e32 v[32:33], v[22:23]
	v_cmpx_gt_u32_e32 8, v7
; %bb.1422:                             ;   in Loop: Header=BB366_998 Depth=1
	v_clz_i32_u32_e32 v5, v22
	s_delay_alu instid0(VALU_DEP_1) | instskip(NEXT) | instid1(VALU_DEP_1)
	v_min_u32_e32 v5, 32, v5
	v_subrev_nc_u32_e32 v7, 28, v5
	s_delay_alu instid0(VALU_DEP_1) | instskip(NEXT) | instid1(VALU_DEP_1)
	v_lshlrev_b64_e32 v[8:9], v7, v[22:23]
	v_dual_sub_nc_u32 v5, 29, v5 :: v_dual_bitop2_b32 v32, 7, v8 bitop3:0x40
; %bb.1423:                             ;   in Loop: Header=BB366_998 Depth=1
	s_or_b32 exec_lo, exec_lo, s18
	s_delay_alu instid0(VALU_DEP_1) | instskip(NEXT) | instid1(VALU_DEP_2)
	v_dual_lshlrev_b32 v6, 24, v6 :: v_dual_lshlrev_b32 v7, 20, v32
	v_lshl_add_u32 v5, v5, 23, 0x3c000000
	s_delay_alu instid0(VALU_DEP_2) | instskip(NEXT) | instid1(VALU_DEP_1)
	v_and_b32_e32 v6, 0x80000000, v6
	v_or3_b32 v5, v7, v6, v5
.LBB366_1424:                           ;   in Loop: Header=BB366_998 Depth=1
	s_or_b32 exec_lo, exec_lo, s17
.LBB366_1425:                           ;   in Loop: Header=BB366_998 Depth=1
	s_delay_alu instid0(SALU_CYCLE_1)
	s_or_b32 exec_lo, exec_lo, s16
.LBB366_1426:                           ;   in Loop: Header=BB366_998 Depth=1
	s_delay_alu instid0(SALU_CYCLE_1) | instskip(SKIP_4) | instid1(VALU_DEP_3)
	s_or_b32 exec_lo, exec_lo, s15
	v_and_b32_e32 v8, 0xff, v19
	v_dual_mov_b32 v22, v19 :: v_dual_mov_b32 v7, 0
	v_mov_b32_e32 v6, 0
	s_mov_b32 s15, exec_lo
	v_cmpx_ne_u16_e32 0, v8
	s_cbranch_execz .LBB366_1434
; %bb.1427:                             ;   in Loop: Header=BB366_998 Depth=1
	v_bfrev_b32_e32 v6, 1
	s_mov_b32 s16, exec_lo
	v_cmpx_ne_u16_e32 0x80, v8
	s_cbranch_execz .LBB366_1433
; %bb.1428:                             ;   in Loop: Header=BB366_998 Depth=1
	v_and_b32_e32 v8, 0x7f, v19
	v_mov_b32_e32 v6, 0x7f800001
	s_mov_b32 s17, exec_lo
	s_delay_alu instid0(VALU_DEP_2)
	v_cmpx_ne_u32_e32 0x7f, v8
	s_cbranch_execz .LBB366_1432
; %bb.1429:                             ;   in Loop: Header=BB366_998 Depth=1
	v_mov_b64_e32 v[32:33], v[22:23]
	v_lshrrev_b32_e32 v6, 3, v8
	s_mov_b32 s18, exec_lo
	v_cmpx_gt_u32_e32 8, v8
; %bb.1430:                             ;   in Loop: Header=BB366_998 Depth=1
	v_and_b32_e32 v6, 7, v19
	s_delay_alu instid0(VALU_DEP_1) | instskip(NEXT) | instid1(VALU_DEP_1)
	v_clz_i32_u32_e32 v6, v6
	v_min_u32_e32 v6, 32, v6
	s_delay_alu instid0(VALU_DEP_1) | instskip(SKIP_1) | instid1(VALU_DEP_2)
	v_subrev_nc_u32_e32 v8, 28, v6
	v_sub_nc_u32_e32 v6, 29, v6
	v_lshlrev_b64_e32 v[32:33], v8, v[22:23]
; %bb.1431:                             ;   in Loop: Header=BB366_998 Depth=1
	s_or_b32 exec_lo, exec_lo, s18
	s_delay_alu instid0(VALU_DEP_1) | instskip(NEXT) | instid1(VALU_DEP_3)
	v_dual_lshlrev_b32 v8, 20, v32 :: v_dual_lshlrev_b32 v9, 24, v22
	v_lshl_add_u32 v6, v6, 23, 0x3c000000
	s_delay_alu instid0(VALU_DEP_2) | instskip(NEXT) | instid1(VALU_DEP_3)
	v_and_b32_e32 v8, 0x700000, v8
	v_and_b32_e32 v9, 0x80000000, v9
	s_delay_alu instid0(VALU_DEP_1)
	v_or3_b32 v6, v8, v9, v6
.LBB366_1432:                           ;   in Loop: Header=BB366_998 Depth=1
	s_or_b32 exec_lo, exec_lo, s17
.LBB366_1433:                           ;   in Loop: Header=BB366_998 Depth=1
	s_delay_alu instid0(SALU_CYCLE_1)
	s_or_b32 exec_lo, exec_lo, s16
.LBB366_1434:                           ;   in Loop: Header=BB366_998 Depth=1
	s_delay_alu instid0(SALU_CYCLE_1) | instskip(SKIP_2) | instid1(VALU_DEP_1)
	s_or_b32 exec_lo, exec_lo, s15
	v_lshrrev_b16 v8, 8, v22
	s_mov_b32 s15, exec_lo
	v_cmpx_ne_u16_e32 0, v8
	s_cbranch_execz .LBB366_1442
; %bb.1435:                             ;   in Loop: Header=BB366_998 Depth=1
	v_bfrev_b32_e32 v7, 1
	s_mov_b32 s16, exec_lo
	v_cmpx_ne_u16_e32 0x80, v8
	s_cbranch_execz .LBB366_1441
; %bb.1436:                             ;   in Loop: Header=BB366_998 Depth=1
	v_and_b32_e32 v9, 0xffff, v8
	v_mov_b32_e32 v7, 0x7f800001
	s_mov_b32 s17, exec_lo
	s_delay_alu instid0(VALU_DEP_2) | instskip(NEXT) | instid1(VALU_DEP_1)
	v_and_b32_e32 v8, 0x7f, v9
	v_cmpx_ne_u32_e32 0x7f, v8
	s_cbranch_execz .LBB366_1440
; %bb.1437:                             ;   in Loop: Header=BB366_998 Depth=1
	v_dual_mov_b32 v33, v23 :: v_dual_bitop2_b32 v32, 7, v9 bitop3:0x40
	v_lshrrev_b32_e32 v7, 3, v8
	s_mov_b32 s18, exec_lo
	v_cmpx_gt_u32_e32 8, v8
; %bb.1438:                             ;   in Loop: Header=BB366_998 Depth=1
	s_delay_alu instid0(VALU_DEP_3) | instskip(NEXT) | instid1(VALU_DEP_1)
	v_clz_i32_u32_e32 v7, v32
	v_min_u32_e32 v7, 32, v7
	s_delay_alu instid0(VALU_DEP_1) | instskip(NEXT) | instid1(VALU_DEP_1)
	v_subrev_nc_u32_e32 v8, 28, v7
	v_lshlrev_b64_e32 v[8:9], v8, v[32:33]
	s_delay_alu instid0(VALU_DEP_1)
	v_dual_sub_nc_u32 v7, 29, v7 :: v_dual_bitop2_b32 v32, 7, v8 bitop3:0x40
; %bb.1439:                             ;   in Loop: Header=BB366_998 Depth=1
	s_or_b32 exec_lo, exec_lo, s18
	s_delay_alu instid0(VALU_DEP_1) | instskip(NEXT) | instid1(VALU_DEP_2)
	v_dual_lshlrev_b32 v8, 16, v22 :: v_dual_lshlrev_b32 v9, 20, v32
	v_lshl_add_u32 v7, v7, 23, 0x3c000000
	s_delay_alu instid0(VALU_DEP_2) | instskip(NEXT) | instid1(VALU_DEP_1)
	v_and_b32_e32 v8, 0x80000000, v8
	v_or3_b32 v7, v9, v8, v7
.LBB366_1440:                           ;   in Loop: Header=BB366_998 Depth=1
	s_or_b32 exec_lo, exec_lo, s17
.LBB366_1441:                           ;   in Loop: Header=BB366_998 Depth=1
	s_delay_alu instid0(SALU_CYCLE_1)
	s_or_b32 exec_lo, exec_lo, s16
.LBB366_1442:                           ;   in Loop: Header=BB366_998 Depth=1
	s_delay_alu instid0(SALU_CYCLE_1) | instskip(SKIP_3) | instid1(VALU_DEP_2)
	s_or_b32 exec_lo, exec_lo, s15
	v_dual_lshrrev_b32 v30, 16, v19 :: v_dual_mov_b32 v8, 0
	v_mov_b32_e32 v9, 0
	s_mov_b32 s15, exec_lo
	v_and_b32_e32 v22, 0xff, v30
	s_delay_alu instid0(VALU_DEP_1)
	v_cmpx_ne_u16_e32 0, v22
	s_cbranch_execz .LBB366_1450
; %bb.1443:                             ;   in Loop: Header=BB366_998 Depth=1
	v_bfrev_b32_e32 v9, 1
	s_mov_b32 s16, exec_lo
	v_cmpx_ne_u16_e32 0x80, v22
	s_cbranch_execz .LBB366_1449
; %bb.1444:                             ;   in Loop: Header=BB366_998 Depth=1
	v_bfe_u32 v31, v19, 16, 7
	v_mov_b32_e32 v9, 0x7f800001
	s_mov_b32 s17, exec_lo
	s_delay_alu instid0(VALU_DEP_2)
	v_cmpx_ne_u32_e32 0x7f, v31
	s_cbranch_execz .LBB366_1448
; %bb.1445:                             ;   in Loop: Header=BB366_998 Depth=1
	v_dual_lshrrev_b32 v9, 3, v31 :: v_dual_bitop2_b32 v22, 7, v30 bitop3:0x40
	s_mov_b32 s18, exec_lo
	s_delay_alu instid0(VALU_DEP_1)
	v_mov_b64_e32 v[32:33], v[22:23]
	v_cmpx_gt_u32_e32 8, v31
; %bb.1446:                             ;   in Loop: Header=BB366_998 Depth=1
	v_clz_i32_u32_e32 v9, v22
	s_delay_alu instid0(VALU_DEP_1) | instskip(NEXT) | instid1(VALU_DEP_1)
	v_min_u32_e32 v9, 32, v9
	v_subrev_nc_u32_e32 v31, 28, v9
	s_delay_alu instid0(VALU_DEP_1) | instskip(NEXT) | instid1(VALU_DEP_1)
	v_lshlrev_b64_e32 v[32:33], v31, v[22:23]
	v_dual_sub_nc_u32 v9, 29, v9 :: v_dual_bitop2_b32 v32, 7, v32 bitop3:0x40
; %bb.1447:                             ;   in Loop: Header=BB366_998 Depth=1
	s_or_b32 exec_lo, exec_lo, s18
	s_delay_alu instid0(VALU_DEP_1) | instskip(NEXT) | instid1(VALU_DEP_2)
	v_dual_lshlrev_b32 v22, 24, v30 :: v_dual_lshlrev_b32 v30, 20, v32
	v_lshl_add_u32 v9, v9, 23, 0x3c000000
	s_delay_alu instid0(VALU_DEP_2) | instskip(NEXT) | instid1(VALU_DEP_1)
	v_and_b32_e32 v22, 0x80000000, v22
	v_or3_b32 v9, v30, v22, v9
.LBB366_1448:                           ;   in Loop: Header=BB366_998 Depth=1
	s_or_b32 exec_lo, exec_lo, s17
.LBB366_1449:                           ;   in Loop: Header=BB366_998 Depth=1
	s_delay_alu instid0(SALU_CYCLE_1)
	s_or_b32 exec_lo, exec_lo, s16
.LBB366_1450:                           ;   in Loop: Header=BB366_998 Depth=1
	s_delay_alu instid0(SALU_CYCLE_1) | instskip(NEXT) | instid1(SALU_CYCLE_1)
	s_or_b32 exec_lo, exec_lo, s15
	s_mov_b32 s15, exec_lo
	v_cmpx_lt_u64_e64 s[2:3], v[18:19]
	s_cbranch_execz .LBB366_1458
; %bb.1451:                             ;   in Loop: Header=BB366_998 Depth=1
	v_lshrrev_b32_e32 v30, 24, v19
	v_bfrev_b32_e32 v8, 1
	s_mov_b32 s16, exec_lo
	s_delay_alu instid0(VALU_DEP_2)
	v_cmpx_ne_u32_e32 0x80, v30
	s_cbranch_execz .LBB366_1457
; %bb.1452:                             ;   in Loop: Header=BB366_998 Depth=1
	v_bfe_u32 v18, v19, 24, 7
	v_mov_b32_e32 v8, 0x7f800001
	s_mov_b32 s17, exec_lo
	s_delay_alu instid0(VALU_DEP_2)
	v_cmpx_ne_u32_e32 0x7f, v18
	s_cbranch_execz .LBB366_1456
; %bb.1453:                             ;   in Loop: Header=BB366_998 Depth=1
	v_and_b32_e32 v22, 7, v30
	v_lshrrev_b32_e32 v8, 3, v18
	v_cmp_gt_u32_e64 s0, 8, v18
	s_delay_alu instid0(VALU_DEP_3)
	v_mov_b64_e32 v[18:19], v[22:23]
	s_and_saveexec_b32 s18, s0
; %bb.1454:                             ;   in Loop: Header=BB366_998 Depth=1
	v_clz_i32_u32_e32 v8, v22
	s_delay_alu instid0(VALU_DEP_1) | instskip(NEXT) | instid1(VALU_DEP_1)
	v_min_u32_e32 v8, 32, v8
	v_subrev_nc_u32_e32 v18, 28, v8
	s_delay_alu instid0(VALU_DEP_1) | instskip(NEXT) | instid1(VALU_DEP_1)
	v_lshlrev_b64_e32 v[18:19], v18, v[22:23]
	v_dual_sub_nc_u32 v8, 29, v8 :: v_dual_bitop2_b32 v18, 7, v18 bitop3:0x40
; %bb.1455:                             ;   in Loop: Header=BB366_998 Depth=1
	s_or_b32 exec_lo, exec_lo, s18
	v_lshlrev_b32_e32 v19, 24, v30
	s_delay_alu instid0(VALU_DEP_2) | instskip(NEXT) | instid1(VALU_DEP_3)
	v_lshlrev_b32_e32 v18, 20, v18
	v_lshl_add_u32 v8, v8, 23, 0x3c000000
	s_delay_alu instid0(VALU_DEP_3) | instskip(NEXT) | instid1(VALU_DEP_1)
	v_and_b32_e32 v19, 0x80000000, v19
	v_or3_b32 v8, v18, v19, v8
.LBB366_1456:                           ;   in Loop: Header=BB366_998 Depth=1
	s_or_b32 exec_lo, exec_lo, s17
.LBB366_1457:                           ;   in Loop: Header=BB366_998 Depth=1
	s_delay_alu instid0(SALU_CYCLE_1)
	s_or_b32 exec_lo, exec_lo, s16
.LBB366_1458:                           ;   in Loop: Header=BB366_998 Depth=1
	s_delay_alu instid0(SALU_CYCLE_1)
	s_or_b32 exec_lo, exec_lo, s15
	v_fma_mixlo_bf16 v75, v48, v7, 0
	v_fma_mixlo_bf16 v76, v48, v6, 0
	;; [unrolled: 1-line block ×8, first 2 shown]
	s_and_saveexec_b32 s15, vcc_lo
	s_cbranch_execz .LBB366_1460
; %bb.1459:                             ;   in Loop: Header=BB366_998 Depth=1
	v_cmp_lt_i32_e64 s0, v98, v34
	s_delay_alu instid0(VALU_DEP_1) | instskip(SKIP_1) | instid1(VALU_DEP_1)
	v_cndmask_b32_e64 v89, 0, v89, s0
	v_cmp_lt_i32_e64 s0, v102, v34
	v_cndmask_b32_e64 v88, 0, v88, s0
	v_cmp_lt_i32_e64 s0, v101, v34
	s_delay_alu instid0(VALU_DEP_1) | instskip(SKIP_1) | instid1(VALU_DEP_1)
	v_cndmask_b32_e64 v79, 0, v79, s0
	v_cmp_lt_i32_e64 s0, v100, v34
	v_cndmask_b32_e64 v35, 0, v35, s0
	v_cmp_lt_i32_e64 s0, v99, v34
	s_delay_alu instid0(VALU_DEP_1) | instskip(SKIP_1) | instid1(VALU_DEP_1)
	v_cndmask_b32_e64 v76, 0, v76, s0
	v_cmp_lt_i32_e64 s0, v97, v34
	v_cndmask_b32_e64 v75, 0, v75, s0
	v_cmp_lt_i32_e64 s0, v86, v34
	s_delay_alu instid0(VALU_DEP_1) | instskip(SKIP_1) | instid1(VALU_DEP_1)
	v_cndmask_b32_e64 v77, 0, v77, s0
	v_cmp_lt_i32_e64 s0, v49, v34
	v_cndmask_b32_e64 v78, 0, v78, s0
.LBB366_1460:                           ;   in Loop: Header=BB366_998 Depth=1
	s_or_b32 exec_lo, exec_lo, s15
	flat_load_b64 v[18:19], v[0:1] offset:1792
	v_dual_mov_b32 v3, 0 :: v_dual_mov_b32 v2, 0
	s_mov_b32 s15, exec_lo
	s_wait_loadcnt_dscnt 0x0
	v_and_b32_e32 v4, 0xff, v18
	s_wait_xcnt 0x0
	s_delay_alu instid0(VALU_DEP_1)
	v_cmpx_ne_u16_e32 0, v4
	s_cbranch_execz .LBB366_1468
; %bb.1461:                             ;   in Loop: Header=BB366_998 Depth=1
	v_bfrev_b32_e32 v2, 1
	s_mov_b32 s16, exec_lo
	v_cmpx_ne_u16_e32 0x80, v4
	s_cbranch_execz .LBB366_1467
; %bb.1462:                             ;   in Loop: Header=BB366_998 Depth=1
	v_and_b32_e32 v4, 0x7f, v18
	v_mov_b32_e32 v2, 0x7f800001
	s_mov_b32 s17, exec_lo
	s_delay_alu instid0(VALU_DEP_2)
	v_cmpx_ne_u32_e32 0x7f, v4
	s_cbranch_execz .LBB366_1466
; %bb.1463:                             ;   in Loop: Header=BB366_998 Depth=1
	v_mov_b64_e32 v[32:33], v[18:19]
	v_lshrrev_b32_e32 v2, 3, v4
	s_mov_b32 s18, exec_lo
	v_cmpx_gt_u32_e32 8, v4
; %bb.1464:                             ;   in Loop: Header=BB366_998 Depth=1
	v_and_b32_e32 v2, 7, v18
	s_delay_alu instid0(VALU_DEP_1) | instskip(NEXT) | instid1(VALU_DEP_1)
	v_clz_i32_u32_e32 v2, v2
	v_min_u32_e32 v2, 32, v2
	s_delay_alu instid0(VALU_DEP_1) | instskip(SKIP_1) | instid1(VALU_DEP_2)
	v_subrev_nc_u32_e32 v4, 28, v2
	v_sub_nc_u32_e32 v2, 29, v2
	v_lshlrev_b64_e32 v[32:33], v4, v[18:19]
; %bb.1465:                             ;   in Loop: Header=BB366_998 Depth=1
	s_or_b32 exec_lo, exec_lo, s18
	s_delay_alu instid0(VALU_DEP_1) | instskip(NEXT) | instid1(VALU_DEP_3)
	v_dual_lshlrev_b32 v4, 20, v32 :: v_dual_lshlrev_b32 v5, 24, v18
	v_lshl_add_u32 v2, v2, 23, 0x3c000000
	s_delay_alu instid0(VALU_DEP_2) | instskip(NEXT) | instid1(VALU_DEP_3)
	v_and_b32_e32 v4, 0x700000, v4
	v_and_b32_e32 v5, 0x80000000, v5
	s_delay_alu instid0(VALU_DEP_1)
	v_or3_b32 v2, v4, v5, v2
.LBB366_1466:                           ;   in Loop: Header=BB366_998 Depth=1
	s_or_b32 exec_lo, exec_lo, s17
.LBB366_1467:                           ;   in Loop: Header=BB366_998 Depth=1
	s_delay_alu instid0(SALU_CYCLE_1)
	s_or_b32 exec_lo, exec_lo, s16
.LBB366_1468:                           ;   in Loop: Header=BB366_998 Depth=1
	s_delay_alu instid0(SALU_CYCLE_1) | instskip(SKIP_2) | instid1(VALU_DEP_1)
	s_or_b32 exec_lo, exec_lo, s15
	v_lshrrev_b16 v4, 8, v18
	s_mov_b32 s15, exec_lo
	v_cmpx_ne_u16_e32 0, v4
	s_cbranch_execz .LBB366_1476
; %bb.1469:                             ;   in Loop: Header=BB366_998 Depth=1
	v_bfrev_b32_e32 v3, 1
	s_mov_b32 s16, exec_lo
	v_cmpx_ne_u16_e32 0x80, v4
	s_cbranch_execz .LBB366_1475
; %bb.1470:                             ;   in Loop: Header=BB366_998 Depth=1
	v_and_b32_e32 v5, 0xffff, v4
	v_mov_b32_e32 v3, 0x7f800001
	s_mov_b32 s17, exec_lo
	s_delay_alu instid0(VALU_DEP_2) | instskip(NEXT) | instid1(VALU_DEP_1)
	v_and_b32_e32 v4, 0x7f, v5
	v_cmpx_ne_u32_e32 0x7f, v4
	s_cbranch_execz .LBB366_1474
; %bb.1471:                             ;   in Loop: Header=BB366_998 Depth=1
	v_dual_lshrrev_b32 v3, 3, v4 :: v_dual_bitop2_b32 v22, 7, v5 bitop3:0x40
	s_mov_b32 s18, exec_lo
	s_delay_alu instid0(VALU_DEP_1)
	v_mov_b64_e32 v[32:33], v[22:23]
	v_cmpx_gt_u32_e32 8, v4
; %bb.1472:                             ;   in Loop: Header=BB366_998 Depth=1
	v_clz_i32_u32_e32 v3, v22
	s_delay_alu instid0(VALU_DEP_1) | instskip(NEXT) | instid1(VALU_DEP_1)
	v_min_u32_e32 v3, 32, v3
	v_subrev_nc_u32_e32 v4, 28, v3
	s_delay_alu instid0(VALU_DEP_1) | instskip(NEXT) | instid1(VALU_DEP_1)
	v_lshlrev_b64_e32 v[4:5], v4, v[22:23]
	v_dual_sub_nc_u32 v3, 29, v3 :: v_dual_bitop2_b32 v32, 7, v4 bitop3:0x40
; %bb.1473:                             ;   in Loop: Header=BB366_998 Depth=1
	s_or_b32 exec_lo, exec_lo, s18
	s_delay_alu instid0(VALU_DEP_1) | instskip(NEXT) | instid1(VALU_DEP_2)
	v_dual_lshlrev_b32 v4, 16, v18 :: v_dual_lshlrev_b32 v5, 20, v32
	v_lshl_add_u32 v3, v3, 23, 0x3c000000
	s_delay_alu instid0(VALU_DEP_2) | instskip(NEXT) | instid1(VALU_DEP_1)
	v_and_b32_e32 v4, 0x80000000, v4
	v_or3_b32 v3, v5, v4, v3
.LBB366_1474:                           ;   in Loop: Header=BB366_998 Depth=1
	s_or_b32 exec_lo, exec_lo, s17
.LBB366_1475:                           ;   in Loop: Header=BB366_998 Depth=1
	s_delay_alu instid0(SALU_CYCLE_1)
	s_or_b32 exec_lo, exec_lo, s16
.LBB366_1476:                           ;   in Loop: Header=BB366_998 Depth=1
	s_delay_alu instid0(SALU_CYCLE_1) | instskip(SKIP_3) | instid1(VALU_DEP_2)
	s_or_b32 exec_lo, exec_lo, s15
	v_dual_mov_b32 v5, 0 :: v_dual_lshrrev_b32 v6, 16, v18
	v_mov_b32_e32 v4, 0
	s_mov_b32 s15, exec_lo
	v_and_b32_e32 v7, 0xff, v6
	s_delay_alu instid0(VALU_DEP_1)
	v_cmpx_ne_u16_e32 0, v7
	s_cbranch_execz .LBB366_1484
; %bb.1477:                             ;   in Loop: Header=BB366_998 Depth=1
	v_bfrev_b32_e32 v4, 1
	s_mov_b32 s16, exec_lo
	v_cmpx_ne_u16_e32 0x80, v7
	s_cbranch_execz .LBB366_1483
; %bb.1478:                             ;   in Loop: Header=BB366_998 Depth=1
	v_bfe_u32 v7, v18, 16, 7
	v_mov_b32_e32 v4, 0x7f800001
	s_mov_b32 s17, exec_lo
	s_delay_alu instid0(VALU_DEP_2)
	v_cmpx_ne_u32_e32 0x7f, v7
	s_cbranch_execz .LBB366_1482
; %bb.1479:                             ;   in Loop: Header=BB366_998 Depth=1
	v_dual_lshrrev_b32 v4, 3, v7 :: v_dual_bitop2_b32 v22, 7, v6 bitop3:0x40
	s_mov_b32 s18, exec_lo
	s_delay_alu instid0(VALU_DEP_1)
	v_mov_b64_e32 v[32:33], v[22:23]
	v_cmpx_gt_u32_e32 8, v7
; %bb.1480:                             ;   in Loop: Header=BB366_998 Depth=1
	v_clz_i32_u32_e32 v4, v22
	s_delay_alu instid0(VALU_DEP_1) | instskip(NEXT) | instid1(VALU_DEP_1)
	v_min_u32_e32 v4, 32, v4
	v_subrev_nc_u32_e32 v7, 28, v4
	v_sub_nc_u32_e32 v4, 29, v4
	s_delay_alu instid0(VALU_DEP_2) | instskip(NEXT) | instid1(VALU_DEP_1)
	v_lshlrev_b64_e32 v[8:9], v7, v[22:23]
	v_and_b32_e32 v32, 7, v8
; %bb.1481:                             ;   in Loop: Header=BB366_998 Depth=1
	s_or_b32 exec_lo, exec_lo, s18
	s_delay_alu instid0(VALU_DEP_1) | instskip(SKIP_1) | instid1(VALU_DEP_2)
	v_dual_lshlrev_b32 v6, 24, v6 :: v_dual_lshlrev_b32 v7, 20, v32
	v_lshl_add_u32 v4, v4, 23, 0x3c000000
	v_and_b32_e32 v6, 0x80000000, v6
	s_delay_alu instid0(VALU_DEP_1)
	v_or3_b32 v4, v7, v6, v4
.LBB366_1482:                           ;   in Loop: Header=BB366_998 Depth=1
	s_or_b32 exec_lo, exec_lo, s17
.LBB366_1483:                           ;   in Loop: Header=BB366_998 Depth=1
	s_delay_alu instid0(SALU_CYCLE_1)
	s_or_b32 exec_lo, exec_lo, s16
.LBB366_1484:                           ;   in Loop: Header=BB366_998 Depth=1
	s_delay_alu instid0(SALU_CYCLE_1) | instskip(NEXT) | instid1(SALU_CYCLE_1)
	s_or_b32 exec_lo, exec_lo, s15
	s_mov_b32 s15, exec_lo
	v_cmpx_lt_u32_e32 0xffffff, v18
	s_cbranch_execz .LBB366_1492
; %bb.1485:                             ;   in Loop: Header=BB366_998 Depth=1
	v_lshrrev_b32_e32 v6, 24, v18
	v_bfrev_b32_e32 v5, 1
	s_mov_b32 s16, exec_lo
	s_delay_alu instid0(VALU_DEP_2)
	v_cmpx_ne_u32_e32 0x80, v6
	s_cbranch_execz .LBB366_1491
; %bb.1486:                             ;   in Loop: Header=BB366_998 Depth=1
	v_bfe_u32 v7, v18, 24, 7
	v_mov_b32_e32 v5, 0x7f800001
	s_mov_b32 s17, exec_lo
	s_delay_alu instid0(VALU_DEP_2)
	v_cmpx_ne_u32_e32 0x7f, v7
	s_cbranch_execz .LBB366_1490
; %bb.1487:                             ;   in Loop: Header=BB366_998 Depth=1
	v_dual_lshrrev_b32 v5, 3, v7 :: v_dual_bitop2_b32 v22, 7, v6 bitop3:0x40
	s_mov_b32 s18, exec_lo
	s_delay_alu instid0(VALU_DEP_1)
	v_mov_b64_e32 v[32:33], v[22:23]
	v_cmpx_gt_u32_e32 8, v7
; %bb.1488:                             ;   in Loop: Header=BB366_998 Depth=1
	v_clz_i32_u32_e32 v5, v22
	s_delay_alu instid0(VALU_DEP_1) | instskip(NEXT) | instid1(VALU_DEP_1)
	v_min_u32_e32 v5, 32, v5
	v_subrev_nc_u32_e32 v7, 28, v5
	s_delay_alu instid0(VALU_DEP_1) | instskip(NEXT) | instid1(VALU_DEP_1)
	v_lshlrev_b64_e32 v[8:9], v7, v[22:23]
	v_dual_sub_nc_u32 v5, 29, v5 :: v_dual_bitop2_b32 v32, 7, v8 bitop3:0x40
; %bb.1489:                             ;   in Loop: Header=BB366_998 Depth=1
	s_or_b32 exec_lo, exec_lo, s18
	s_delay_alu instid0(VALU_DEP_1) | instskip(NEXT) | instid1(VALU_DEP_2)
	v_dual_lshlrev_b32 v6, 24, v6 :: v_dual_lshlrev_b32 v7, 20, v32
	v_lshl_add_u32 v5, v5, 23, 0x3c000000
	s_delay_alu instid0(VALU_DEP_2) | instskip(NEXT) | instid1(VALU_DEP_1)
	v_and_b32_e32 v6, 0x80000000, v6
	v_or3_b32 v5, v7, v6, v5
.LBB366_1490:                           ;   in Loop: Header=BB366_998 Depth=1
	s_or_b32 exec_lo, exec_lo, s17
.LBB366_1491:                           ;   in Loop: Header=BB366_998 Depth=1
	s_delay_alu instid0(SALU_CYCLE_1)
	s_or_b32 exec_lo, exec_lo, s16
.LBB366_1492:                           ;   in Loop: Header=BB366_998 Depth=1
	s_delay_alu instid0(SALU_CYCLE_1) | instskip(SKIP_4) | instid1(VALU_DEP_3)
	s_or_b32 exec_lo, exec_lo, s15
	v_and_b32_e32 v8, 0xff, v19
	v_dual_mov_b32 v22, v19 :: v_dual_mov_b32 v7, 0
	v_mov_b32_e32 v6, 0
	s_mov_b32 s15, exec_lo
	v_cmpx_ne_u16_e32 0, v8
	s_cbranch_execz .LBB366_1500
; %bb.1493:                             ;   in Loop: Header=BB366_998 Depth=1
	v_bfrev_b32_e32 v6, 1
	s_mov_b32 s16, exec_lo
	v_cmpx_ne_u16_e32 0x80, v8
	s_cbranch_execz .LBB366_1499
; %bb.1494:                             ;   in Loop: Header=BB366_998 Depth=1
	v_and_b32_e32 v8, 0x7f, v19
	v_mov_b32_e32 v6, 0x7f800001
	s_mov_b32 s17, exec_lo
	s_delay_alu instid0(VALU_DEP_2)
	v_cmpx_ne_u32_e32 0x7f, v8
	s_cbranch_execz .LBB366_1498
; %bb.1495:                             ;   in Loop: Header=BB366_998 Depth=1
	v_mov_b64_e32 v[32:33], v[22:23]
	v_lshrrev_b32_e32 v6, 3, v8
	s_mov_b32 s18, exec_lo
	v_cmpx_gt_u32_e32 8, v8
; %bb.1496:                             ;   in Loop: Header=BB366_998 Depth=1
	v_and_b32_e32 v6, 7, v19
	s_delay_alu instid0(VALU_DEP_1) | instskip(NEXT) | instid1(VALU_DEP_1)
	v_clz_i32_u32_e32 v6, v6
	v_min_u32_e32 v6, 32, v6
	s_delay_alu instid0(VALU_DEP_1) | instskip(SKIP_1) | instid1(VALU_DEP_2)
	v_subrev_nc_u32_e32 v8, 28, v6
	v_sub_nc_u32_e32 v6, 29, v6
	v_lshlrev_b64_e32 v[32:33], v8, v[22:23]
; %bb.1497:                             ;   in Loop: Header=BB366_998 Depth=1
	s_or_b32 exec_lo, exec_lo, s18
	s_delay_alu instid0(VALU_DEP_1) | instskip(NEXT) | instid1(VALU_DEP_3)
	v_dual_lshlrev_b32 v8, 20, v32 :: v_dual_lshlrev_b32 v9, 24, v22
	v_lshl_add_u32 v6, v6, 23, 0x3c000000
	s_delay_alu instid0(VALU_DEP_2) | instskip(NEXT) | instid1(VALU_DEP_3)
	v_and_b32_e32 v8, 0x700000, v8
	v_and_b32_e32 v9, 0x80000000, v9
	s_delay_alu instid0(VALU_DEP_1)
	v_or3_b32 v6, v8, v9, v6
.LBB366_1498:                           ;   in Loop: Header=BB366_998 Depth=1
	s_or_b32 exec_lo, exec_lo, s17
.LBB366_1499:                           ;   in Loop: Header=BB366_998 Depth=1
	s_delay_alu instid0(SALU_CYCLE_1)
	s_or_b32 exec_lo, exec_lo, s16
.LBB366_1500:                           ;   in Loop: Header=BB366_998 Depth=1
	s_delay_alu instid0(SALU_CYCLE_1) | instskip(SKIP_2) | instid1(VALU_DEP_1)
	s_or_b32 exec_lo, exec_lo, s15
	v_lshrrev_b16 v8, 8, v22
	s_mov_b32 s15, exec_lo
	v_cmpx_ne_u16_e32 0, v8
	s_cbranch_execz .LBB366_1508
; %bb.1501:                             ;   in Loop: Header=BB366_998 Depth=1
	v_bfrev_b32_e32 v7, 1
	s_mov_b32 s16, exec_lo
	v_cmpx_ne_u16_e32 0x80, v8
	s_cbranch_execz .LBB366_1507
; %bb.1502:                             ;   in Loop: Header=BB366_998 Depth=1
	v_and_b32_e32 v9, 0xffff, v8
	v_mov_b32_e32 v7, 0x7f800001
	s_mov_b32 s17, exec_lo
	s_delay_alu instid0(VALU_DEP_2) | instskip(NEXT) | instid1(VALU_DEP_1)
	v_and_b32_e32 v8, 0x7f, v9
	v_cmpx_ne_u32_e32 0x7f, v8
	s_cbranch_execz .LBB366_1506
; %bb.1503:                             ;   in Loop: Header=BB366_998 Depth=1
	v_dual_mov_b32 v33, v23 :: v_dual_bitop2_b32 v32, 7, v9 bitop3:0x40
	v_lshrrev_b32_e32 v7, 3, v8
	s_mov_b32 s18, exec_lo
	v_cmpx_gt_u32_e32 8, v8
; %bb.1504:                             ;   in Loop: Header=BB366_998 Depth=1
	s_delay_alu instid0(VALU_DEP_3) | instskip(NEXT) | instid1(VALU_DEP_1)
	v_clz_i32_u32_e32 v7, v32
	v_min_u32_e32 v7, 32, v7
	s_delay_alu instid0(VALU_DEP_1) | instskip(NEXT) | instid1(VALU_DEP_1)
	v_subrev_nc_u32_e32 v8, 28, v7
	v_lshlrev_b64_e32 v[8:9], v8, v[32:33]
	s_delay_alu instid0(VALU_DEP_1)
	v_dual_sub_nc_u32 v7, 29, v7 :: v_dual_bitop2_b32 v32, 7, v8 bitop3:0x40
; %bb.1505:                             ;   in Loop: Header=BB366_998 Depth=1
	s_or_b32 exec_lo, exec_lo, s18
	s_delay_alu instid0(VALU_DEP_1) | instskip(NEXT) | instid1(VALU_DEP_2)
	v_dual_lshlrev_b32 v8, 16, v22 :: v_dual_lshlrev_b32 v9, 20, v32
	v_lshl_add_u32 v7, v7, 23, 0x3c000000
	s_delay_alu instid0(VALU_DEP_2) | instskip(NEXT) | instid1(VALU_DEP_1)
	v_and_b32_e32 v8, 0x80000000, v8
	v_or3_b32 v7, v9, v8, v7
.LBB366_1506:                           ;   in Loop: Header=BB366_998 Depth=1
	s_or_b32 exec_lo, exec_lo, s17
.LBB366_1507:                           ;   in Loop: Header=BB366_998 Depth=1
	s_delay_alu instid0(SALU_CYCLE_1)
	s_or_b32 exec_lo, exec_lo, s16
.LBB366_1508:                           ;   in Loop: Header=BB366_998 Depth=1
	s_delay_alu instid0(SALU_CYCLE_1) | instskip(SKIP_3) | instid1(VALU_DEP_2)
	s_or_b32 exec_lo, exec_lo, s15
	v_dual_lshrrev_b32 v30, 16, v19 :: v_dual_mov_b32 v8, 0
	v_mov_b32_e32 v9, 0
	s_mov_b32 s15, exec_lo
	v_and_b32_e32 v22, 0xff, v30
	s_delay_alu instid0(VALU_DEP_1)
	v_cmpx_ne_u16_e32 0, v22
	s_cbranch_execz .LBB366_1516
; %bb.1509:                             ;   in Loop: Header=BB366_998 Depth=1
	v_bfrev_b32_e32 v9, 1
	s_mov_b32 s16, exec_lo
	v_cmpx_ne_u16_e32 0x80, v22
	s_cbranch_execz .LBB366_1515
; %bb.1510:                             ;   in Loop: Header=BB366_998 Depth=1
	v_bfe_u32 v31, v19, 16, 7
	v_mov_b32_e32 v9, 0x7f800001
	s_mov_b32 s17, exec_lo
	s_delay_alu instid0(VALU_DEP_2)
	v_cmpx_ne_u32_e32 0x7f, v31
	s_cbranch_execz .LBB366_1514
; %bb.1511:                             ;   in Loop: Header=BB366_998 Depth=1
	v_dual_lshrrev_b32 v9, 3, v31 :: v_dual_bitop2_b32 v22, 7, v30 bitop3:0x40
	s_mov_b32 s18, exec_lo
	s_delay_alu instid0(VALU_DEP_1)
	v_mov_b64_e32 v[32:33], v[22:23]
	v_cmpx_gt_u32_e32 8, v31
; %bb.1512:                             ;   in Loop: Header=BB366_998 Depth=1
	v_clz_i32_u32_e32 v9, v22
	s_delay_alu instid0(VALU_DEP_1) | instskip(NEXT) | instid1(VALU_DEP_1)
	v_min_u32_e32 v9, 32, v9
	v_subrev_nc_u32_e32 v31, 28, v9
	s_delay_alu instid0(VALU_DEP_1) | instskip(NEXT) | instid1(VALU_DEP_1)
	v_lshlrev_b64_e32 v[32:33], v31, v[22:23]
	v_dual_sub_nc_u32 v9, 29, v9 :: v_dual_bitop2_b32 v32, 7, v32 bitop3:0x40
; %bb.1513:                             ;   in Loop: Header=BB366_998 Depth=1
	s_or_b32 exec_lo, exec_lo, s18
	s_delay_alu instid0(VALU_DEP_1) | instskip(NEXT) | instid1(VALU_DEP_2)
	v_dual_lshlrev_b32 v22, 24, v30 :: v_dual_lshlrev_b32 v30, 20, v32
	v_lshl_add_u32 v9, v9, 23, 0x3c000000
	s_delay_alu instid0(VALU_DEP_2) | instskip(NEXT) | instid1(VALU_DEP_1)
	v_and_b32_e32 v22, 0x80000000, v22
	v_or3_b32 v9, v30, v22, v9
.LBB366_1514:                           ;   in Loop: Header=BB366_998 Depth=1
	s_or_b32 exec_lo, exec_lo, s17
.LBB366_1515:                           ;   in Loop: Header=BB366_998 Depth=1
	s_delay_alu instid0(SALU_CYCLE_1)
	s_or_b32 exec_lo, exec_lo, s16
.LBB366_1516:                           ;   in Loop: Header=BB366_998 Depth=1
	s_delay_alu instid0(SALU_CYCLE_1) | instskip(NEXT) | instid1(SALU_CYCLE_1)
	s_or_b32 exec_lo, exec_lo, s15
	s_mov_b32 s15, exec_lo
	v_cmpx_lt_u64_e64 s[2:3], v[18:19]
	s_cbranch_execz .LBB366_1524
; %bb.1517:                             ;   in Loop: Header=BB366_998 Depth=1
	v_lshrrev_b32_e32 v30, 24, v19
	v_bfrev_b32_e32 v8, 1
	s_mov_b32 s16, exec_lo
	s_delay_alu instid0(VALU_DEP_2)
	v_cmpx_ne_u32_e32 0x80, v30
	s_cbranch_execz .LBB366_1523
; %bb.1518:                             ;   in Loop: Header=BB366_998 Depth=1
	v_bfe_u32 v18, v19, 24, 7
	v_mov_b32_e32 v8, 0x7f800001
	s_mov_b32 s17, exec_lo
	s_delay_alu instid0(VALU_DEP_2)
	v_cmpx_ne_u32_e32 0x7f, v18
	s_cbranch_execz .LBB366_1522
; %bb.1519:                             ;   in Loop: Header=BB366_998 Depth=1
	v_and_b32_e32 v22, 7, v30
	v_lshrrev_b32_e32 v8, 3, v18
	v_cmp_gt_u32_e64 s0, 8, v18
	s_delay_alu instid0(VALU_DEP_3)
	v_mov_b64_e32 v[18:19], v[22:23]
	s_and_saveexec_b32 s18, s0
; %bb.1520:                             ;   in Loop: Header=BB366_998 Depth=1
	v_clz_i32_u32_e32 v8, v22
	s_delay_alu instid0(VALU_DEP_1) | instskip(NEXT) | instid1(VALU_DEP_1)
	v_min_u32_e32 v8, 32, v8
	v_subrev_nc_u32_e32 v18, 28, v8
	s_delay_alu instid0(VALU_DEP_1) | instskip(NEXT) | instid1(VALU_DEP_1)
	v_lshlrev_b64_e32 v[18:19], v18, v[22:23]
	v_dual_sub_nc_u32 v8, 29, v8 :: v_dual_bitop2_b32 v18, 7, v18 bitop3:0x40
; %bb.1521:                             ;   in Loop: Header=BB366_998 Depth=1
	s_or_b32 exec_lo, exec_lo, s18
	v_lshlrev_b32_e32 v19, 24, v30
	s_delay_alu instid0(VALU_DEP_2) | instskip(NEXT) | instid1(VALU_DEP_3)
	v_lshlrev_b32_e32 v18, 20, v18
	v_lshl_add_u32 v8, v8, 23, 0x3c000000
	s_delay_alu instid0(VALU_DEP_3) | instskip(NEXT) | instid1(VALU_DEP_1)
	v_and_b32_e32 v19, 0x80000000, v19
	v_or3_b32 v8, v18, v19, v8
.LBB366_1522:                           ;   in Loop: Header=BB366_998 Depth=1
	s_or_b32 exec_lo, exec_lo, s17
.LBB366_1523:                           ;   in Loop: Header=BB366_998 Depth=1
	s_delay_alu instid0(SALU_CYCLE_1)
	s_or_b32 exec_lo, exec_lo, s16
.LBB366_1524:                           ;   in Loop: Header=BB366_998 Depth=1
	s_delay_alu instid0(SALU_CYCLE_1)
	s_or_b32 exec_lo, exec_lo, s15
	v_fma_mixlo_bf16 v90, v48, v7, 0
	v_fma_mixlo_bf16 v91, v48, v6, 0
	;; [unrolled: 1-line block ×8, first 2 shown]
	s_and_saveexec_b32 s15, vcc_lo
	s_cbranch_execz .LBB366_1526
; %bb.1525:                             ;   in Loop: Header=BB366_998 Depth=1
	v_cmp_lt_i32_e64 s0, v98, v34
	s_delay_alu instid0(VALU_DEP_1) | instskip(SKIP_1) | instid1(VALU_DEP_1)
	v_cndmask_b32_e64 v105, 0, v105, s0
	v_cmp_lt_i32_e64 s0, v102, v34
	v_cndmask_b32_e64 v104, 0, v104, s0
	v_cmp_lt_i32_e64 s0, v101, v34
	s_delay_alu instid0(VALU_DEP_1) | instskip(SKIP_1) | instid1(VALU_DEP_1)
	v_cndmask_b32_e64 v95, 0, v95, s0
	v_cmp_lt_i32_e64 s0, v100, v34
	v_cndmask_b32_e64 v94, 0, v94, s0
	;; [unrolled: 5-line block ×4, first 2 shown]
.LBB366_1526:                           ;   in Loop: Header=BB366_998 Depth=1
	s_or_b32 exec_lo, exec_lo, s15
	flat_load_b64 v[18:19], v[0:1] offset:2048
	v_dual_mov_b32 v3, 0 :: v_dual_mov_b32 v2, 0
	s_mov_b32 s15, exec_lo
	s_wait_loadcnt_dscnt 0x0
	v_and_b32_e32 v4, 0xff, v18
	s_wait_xcnt 0x0
	s_delay_alu instid0(VALU_DEP_1)
	v_cmpx_ne_u16_e32 0, v4
	s_cbranch_execz .LBB366_1534
; %bb.1527:                             ;   in Loop: Header=BB366_998 Depth=1
	v_bfrev_b32_e32 v2, 1
	s_mov_b32 s16, exec_lo
	v_cmpx_ne_u16_e32 0x80, v4
	s_cbranch_execz .LBB366_1533
; %bb.1528:                             ;   in Loop: Header=BB366_998 Depth=1
	v_and_b32_e32 v4, 0x7f, v18
	v_mov_b32_e32 v2, 0x7f800001
	s_mov_b32 s17, exec_lo
	s_delay_alu instid0(VALU_DEP_2)
	v_cmpx_ne_u32_e32 0x7f, v4
	s_cbranch_execz .LBB366_1532
; %bb.1529:                             ;   in Loop: Header=BB366_998 Depth=1
	v_mov_b64_e32 v[32:33], v[18:19]
	v_lshrrev_b32_e32 v2, 3, v4
	s_mov_b32 s18, exec_lo
	v_cmpx_gt_u32_e32 8, v4
; %bb.1530:                             ;   in Loop: Header=BB366_998 Depth=1
	v_and_b32_e32 v2, 7, v18
	s_delay_alu instid0(VALU_DEP_1) | instskip(NEXT) | instid1(VALU_DEP_1)
	v_clz_i32_u32_e32 v2, v2
	v_min_u32_e32 v2, 32, v2
	s_delay_alu instid0(VALU_DEP_1) | instskip(SKIP_1) | instid1(VALU_DEP_2)
	v_subrev_nc_u32_e32 v4, 28, v2
	v_sub_nc_u32_e32 v2, 29, v2
	v_lshlrev_b64_e32 v[32:33], v4, v[18:19]
; %bb.1531:                             ;   in Loop: Header=BB366_998 Depth=1
	s_or_b32 exec_lo, exec_lo, s18
	s_delay_alu instid0(VALU_DEP_1) | instskip(NEXT) | instid1(VALU_DEP_3)
	v_dual_lshlrev_b32 v4, 20, v32 :: v_dual_lshlrev_b32 v5, 24, v18
	v_lshl_add_u32 v2, v2, 23, 0x3c000000
	s_delay_alu instid0(VALU_DEP_2) | instskip(NEXT) | instid1(VALU_DEP_3)
	v_and_b32_e32 v4, 0x700000, v4
	v_and_b32_e32 v5, 0x80000000, v5
	s_delay_alu instid0(VALU_DEP_1)
	v_or3_b32 v2, v4, v5, v2
.LBB366_1532:                           ;   in Loop: Header=BB366_998 Depth=1
	s_or_b32 exec_lo, exec_lo, s17
.LBB366_1533:                           ;   in Loop: Header=BB366_998 Depth=1
	s_delay_alu instid0(SALU_CYCLE_1)
	s_or_b32 exec_lo, exec_lo, s16
.LBB366_1534:                           ;   in Loop: Header=BB366_998 Depth=1
	s_delay_alu instid0(SALU_CYCLE_1) | instskip(SKIP_2) | instid1(VALU_DEP_1)
	s_or_b32 exec_lo, exec_lo, s15
	v_lshrrev_b16 v4, 8, v18
	s_mov_b32 s15, exec_lo
	v_cmpx_ne_u16_e32 0, v4
	s_cbranch_execz .LBB366_1542
; %bb.1535:                             ;   in Loop: Header=BB366_998 Depth=1
	v_bfrev_b32_e32 v3, 1
	s_mov_b32 s16, exec_lo
	v_cmpx_ne_u16_e32 0x80, v4
	s_cbranch_execz .LBB366_1541
; %bb.1536:                             ;   in Loop: Header=BB366_998 Depth=1
	v_and_b32_e32 v5, 0xffff, v4
	v_mov_b32_e32 v3, 0x7f800001
	s_mov_b32 s17, exec_lo
	s_delay_alu instid0(VALU_DEP_2) | instskip(NEXT) | instid1(VALU_DEP_1)
	v_and_b32_e32 v4, 0x7f, v5
	v_cmpx_ne_u32_e32 0x7f, v4
	s_cbranch_execz .LBB366_1540
; %bb.1537:                             ;   in Loop: Header=BB366_998 Depth=1
	v_dual_lshrrev_b32 v3, 3, v4 :: v_dual_bitop2_b32 v22, 7, v5 bitop3:0x40
	s_mov_b32 s18, exec_lo
	s_delay_alu instid0(VALU_DEP_1)
	v_mov_b64_e32 v[32:33], v[22:23]
	v_cmpx_gt_u32_e32 8, v4
; %bb.1538:                             ;   in Loop: Header=BB366_998 Depth=1
	v_clz_i32_u32_e32 v3, v22
	s_delay_alu instid0(VALU_DEP_1) | instskip(NEXT) | instid1(VALU_DEP_1)
	v_min_u32_e32 v3, 32, v3
	v_subrev_nc_u32_e32 v4, 28, v3
	s_delay_alu instid0(VALU_DEP_1) | instskip(NEXT) | instid1(VALU_DEP_1)
	v_lshlrev_b64_e32 v[4:5], v4, v[22:23]
	v_dual_sub_nc_u32 v3, 29, v3 :: v_dual_bitop2_b32 v32, 7, v4 bitop3:0x40
; %bb.1539:                             ;   in Loop: Header=BB366_998 Depth=1
	s_or_b32 exec_lo, exec_lo, s18
	s_delay_alu instid0(VALU_DEP_1) | instskip(NEXT) | instid1(VALU_DEP_2)
	v_dual_lshlrev_b32 v4, 16, v18 :: v_dual_lshlrev_b32 v5, 20, v32
	v_lshl_add_u32 v3, v3, 23, 0x3c000000
	s_delay_alu instid0(VALU_DEP_2) | instskip(NEXT) | instid1(VALU_DEP_1)
	v_and_b32_e32 v4, 0x80000000, v4
	v_or3_b32 v3, v5, v4, v3
.LBB366_1540:                           ;   in Loop: Header=BB366_998 Depth=1
	s_or_b32 exec_lo, exec_lo, s17
.LBB366_1541:                           ;   in Loop: Header=BB366_998 Depth=1
	s_delay_alu instid0(SALU_CYCLE_1)
	s_or_b32 exec_lo, exec_lo, s16
.LBB366_1542:                           ;   in Loop: Header=BB366_998 Depth=1
	s_delay_alu instid0(SALU_CYCLE_1) | instskip(SKIP_3) | instid1(VALU_DEP_2)
	s_or_b32 exec_lo, exec_lo, s15
	v_dual_mov_b32 v5, 0 :: v_dual_lshrrev_b32 v6, 16, v18
	v_mov_b32_e32 v4, 0
	s_mov_b32 s15, exec_lo
	v_and_b32_e32 v7, 0xff, v6
	s_delay_alu instid0(VALU_DEP_1)
	v_cmpx_ne_u16_e32 0, v7
	s_cbranch_execz .LBB366_1550
; %bb.1543:                             ;   in Loop: Header=BB366_998 Depth=1
	v_bfrev_b32_e32 v4, 1
	s_mov_b32 s16, exec_lo
	v_cmpx_ne_u16_e32 0x80, v7
	s_cbranch_execz .LBB366_1549
; %bb.1544:                             ;   in Loop: Header=BB366_998 Depth=1
	v_bfe_u32 v7, v18, 16, 7
	v_mov_b32_e32 v4, 0x7f800001
	s_mov_b32 s17, exec_lo
	s_delay_alu instid0(VALU_DEP_2)
	v_cmpx_ne_u32_e32 0x7f, v7
	s_cbranch_execz .LBB366_1548
; %bb.1545:                             ;   in Loop: Header=BB366_998 Depth=1
	v_dual_lshrrev_b32 v4, 3, v7 :: v_dual_bitop2_b32 v22, 7, v6 bitop3:0x40
	s_mov_b32 s18, exec_lo
	s_delay_alu instid0(VALU_DEP_1)
	v_mov_b64_e32 v[32:33], v[22:23]
	v_cmpx_gt_u32_e32 8, v7
; %bb.1546:                             ;   in Loop: Header=BB366_998 Depth=1
	v_clz_i32_u32_e32 v4, v22
	s_delay_alu instid0(VALU_DEP_1) | instskip(NEXT) | instid1(VALU_DEP_1)
	v_min_u32_e32 v4, 32, v4
	v_subrev_nc_u32_e32 v7, 28, v4
	v_sub_nc_u32_e32 v4, 29, v4
	s_delay_alu instid0(VALU_DEP_2) | instskip(NEXT) | instid1(VALU_DEP_1)
	v_lshlrev_b64_e32 v[8:9], v7, v[22:23]
	v_and_b32_e32 v32, 7, v8
; %bb.1547:                             ;   in Loop: Header=BB366_998 Depth=1
	s_or_b32 exec_lo, exec_lo, s18
	s_delay_alu instid0(VALU_DEP_1) | instskip(SKIP_1) | instid1(VALU_DEP_2)
	v_dual_lshlrev_b32 v6, 24, v6 :: v_dual_lshlrev_b32 v7, 20, v32
	v_lshl_add_u32 v4, v4, 23, 0x3c000000
	v_and_b32_e32 v6, 0x80000000, v6
	s_delay_alu instid0(VALU_DEP_1)
	v_or3_b32 v4, v7, v6, v4
.LBB366_1548:                           ;   in Loop: Header=BB366_998 Depth=1
	s_or_b32 exec_lo, exec_lo, s17
.LBB366_1549:                           ;   in Loop: Header=BB366_998 Depth=1
	s_delay_alu instid0(SALU_CYCLE_1)
	s_or_b32 exec_lo, exec_lo, s16
.LBB366_1550:                           ;   in Loop: Header=BB366_998 Depth=1
	s_delay_alu instid0(SALU_CYCLE_1) | instskip(NEXT) | instid1(SALU_CYCLE_1)
	s_or_b32 exec_lo, exec_lo, s15
	s_mov_b32 s15, exec_lo
	v_cmpx_lt_u32_e32 0xffffff, v18
	s_cbranch_execz .LBB366_1558
; %bb.1551:                             ;   in Loop: Header=BB366_998 Depth=1
	v_lshrrev_b32_e32 v6, 24, v18
	v_bfrev_b32_e32 v5, 1
	s_mov_b32 s16, exec_lo
	s_delay_alu instid0(VALU_DEP_2)
	v_cmpx_ne_u32_e32 0x80, v6
	s_cbranch_execz .LBB366_1557
; %bb.1552:                             ;   in Loop: Header=BB366_998 Depth=1
	v_bfe_u32 v7, v18, 24, 7
	v_mov_b32_e32 v5, 0x7f800001
	s_mov_b32 s17, exec_lo
	s_delay_alu instid0(VALU_DEP_2)
	v_cmpx_ne_u32_e32 0x7f, v7
	s_cbranch_execz .LBB366_1556
; %bb.1553:                             ;   in Loop: Header=BB366_998 Depth=1
	v_dual_lshrrev_b32 v5, 3, v7 :: v_dual_bitop2_b32 v22, 7, v6 bitop3:0x40
	s_mov_b32 s18, exec_lo
	s_delay_alu instid0(VALU_DEP_1)
	v_mov_b64_e32 v[32:33], v[22:23]
	v_cmpx_gt_u32_e32 8, v7
; %bb.1554:                             ;   in Loop: Header=BB366_998 Depth=1
	v_clz_i32_u32_e32 v5, v22
	s_delay_alu instid0(VALU_DEP_1) | instskip(NEXT) | instid1(VALU_DEP_1)
	v_min_u32_e32 v5, 32, v5
	v_subrev_nc_u32_e32 v7, 28, v5
	s_delay_alu instid0(VALU_DEP_1) | instskip(NEXT) | instid1(VALU_DEP_1)
	v_lshlrev_b64_e32 v[8:9], v7, v[22:23]
	v_dual_sub_nc_u32 v5, 29, v5 :: v_dual_bitop2_b32 v32, 7, v8 bitop3:0x40
; %bb.1555:                             ;   in Loop: Header=BB366_998 Depth=1
	s_or_b32 exec_lo, exec_lo, s18
	s_delay_alu instid0(VALU_DEP_1) | instskip(NEXT) | instid1(VALU_DEP_2)
	v_dual_lshlrev_b32 v6, 24, v6 :: v_dual_lshlrev_b32 v7, 20, v32
	v_lshl_add_u32 v5, v5, 23, 0x3c000000
	s_delay_alu instid0(VALU_DEP_2) | instskip(NEXT) | instid1(VALU_DEP_1)
	v_and_b32_e32 v6, 0x80000000, v6
	v_or3_b32 v5, v7, v6, v5
.LBB366_1556:                           ;   in Loop: Header=BB366_998 Depth=1
	s_or_b32 exec_lo, exec_lo, s17
.LBB366_1557:                           ;   in Loop: Header=BB366_998 Depth=1
	s_delay_alu instid0(SALU_CYCLE_1)
	s_or_b32 exec_lo, exec_lo, s16
.LBB366_1558:                           ;   in Loop: Header=BB366_998 Depth=1
	s_delay_alu instid0(SALU_CYCLE_1) | instskip(SKIP_4) | instid1(VALU_DEP_3)
	s_or_b32 exec_lo, exec_lo, s15
	v_and_b32_e32 v8, 0xff, v19
	v_dual_mov_b32 v22, v19 :: v_dual_mov_b32 v7, 0
	v_mov_b32_e32 v6, 0
	s_mov_b32 s15, exec_lo
	v_cmpx_ne_u16_e32 0, v8
	s_cbranch_execz .LBB366_1566
; %bb.1559:                             ;   in Loop: Header=BB366_998 Depth=1
	v_bfrev_b32_e32 v6, 1
	s_mov_b32 s16, exec_lo
	v_cmpx_ne_u16_e32 0x80, v8
	s_cbranch_execz .LBB366_1565
; %bb.1560:                             ;   in Loop: Header=BB366_998 Depth=1
	v_and_b32_e32 v8, 0x7f, v19
	v_mov_b32_e32 v6, 0x7f800001
	s_mov_b32 s17, exec_lo
	s_delay_alu instid0(VALU_DEP_2)
	v_cmpx_ne_u32_e32 0x7f, v8
	s_cbranch_execz .LBB366_1564
; %bb.1561:                             ;   in Loop: Header=BB366_998 Depth=1
	v_mov_b64_e32 v[32:33], v[22:23]
	v_lshrrev_b32_e32 v6, 3, v8
	s_mov_b32 s18, exec_lo
	v_cmpx_gt_u32_e32 8, v8
; %bb.1562:                             ;   in Loop: Header=BB366_998 Depth=1
	v_and_b32_e32 v6, 7, v19
	s_delay_alu instid0(VALU_DEP_1) | instskip(NEXT) | instid1(VALU_DEP_1)
	v_clz_i32_u32_e32 v6, v6
	v_min_u32_e32 v6, 32, v6
	s_delay_alu instid0(VALU_DEP_1) | instskip(SKIP_1) | instid1(VALU_DEP_2)
	v_subrev_nc_u32_e32 v8, 28, v6
	v_sub_nc_u32_e32 v6, 29, v6
	v_lshlrev_b64_e32 v[32:33], v8, v[22:23]
; %bb.1563:                             ;   in Loop: Header=BB366_998 Depth=1
	s_or_b32 exec_lo, exec_lo, s18
	s_delay_alu instid0(VALU_DEP_1) | instskip(NEXT) | instid1(VALU_DEP_3)
	v_dual_lshlrev_b32 v8, 20, v32 :: v_dual_lshlrev_b32 v9, 24, v22
	v_lshl_add_u32 v6, v6, 23, 0x3c000000
	s_delay_alu instid0(VALU_DEP_2) | instskip(NEXT) | instid1(VALU_DEP_3)
	v_and_b32_e32 v8, 0x700000, v8
	v_and_b32_e32 v9, 0x80000000, v9
	s_delay_alu instid0(VALU_DEP_1)
	v_or3_b32 v6, v8, v9, v6
.LBB366_1564:                           ;   in Loop: Header=BB366_998 Depth=1
	s_or_b32 exec_lo, exec_lo, s17
.LBB366_1565:                           ;   in Loop: Header=BB366_998 Depth=1
	s_delay_alu instid0(SALU_CYCLE_1)
	s_or_b32 exec_lo, exec_lo, s16
.LBB366_1566:                           ;   in Loop: Header=BB366_998 Depth=1
	s_delay_alu instid0(SALU_CYCLE_1) | instskip(SKIP_2) | instid1(VALU_DEP_1)
	s_or_b32 exec_lo, exec_lo, s15
	v_lshrrev_b16 v8, 8, v22
	s_mov_b32 s15, exec_lo
	v_cmpx_ne_u16_e32 0, v8
	s_cbranch_execz .LBB366_1574
; %bb.1567:                             ;   in Loop: Header=BB366_998 Depth=1
	v_bfrev_b32_e32 v7, 1
	s_mov_b32 s16, exec_lo
	v_cmpx_ne_u16_e32 0x80, v8
	s_cbranch_execz .LBB366_1573
; %bb.1568:                             ;   in Loop: Header=BB366_998 Depth=1
	v_and_b32_e32 v9, 0xffff, v8
	v_mov_b32_e32 v7, 0x7f800001
	s_mov_b32 s17, exec_lo
	s_delay_alu instid0(VALU_DEP_2) | instskip(NEXT) | instid1(VALU_DEP_1)
	v_and_b32_e32 v8, 0x7f, v9
	v_cmpx_ne_u32_e32 0x7f, v8
	s_cbranch_execz .LBB366_1572
; %bb.1569:                             ;   in Loop: Header=BB366_998 Depth=1
	v_dual_mov_b32 v33, v23 :: v_dual_bitop2_b32 v32, 7, v9 bitop3:0x40
	v_lshrrev_b32_e32 v7, 3, v8
	s_mov_b32 s18, exec_lo
	v_cmpx_gt_u32_e32 8, v8
; %bb.1570:                             ;   in Loop: Header=BB366_998 Depth=1
	s_delay_alu instid0(VALU_DEP_3) | instskip(NEXT) | instid1(VALU_DEP_1)
	v_clz_i32_u32_e32 v7, v32
	v_min_u32_e32 v7, 32, v7
	s_delay_alu instid0(VALU_DEP_1) | instskip(NEXT) | instid1(VALU_DEP_1)
	v_subrev_nc_u32_e32 v8, 28, v7
	v_lshlrev_b64_e32 v[8:9], v8, v[32:33]
	s_delay_alu instid0(VALU_DEP_1)
	v_dual_sub_nc_u32 v7, 29, v7 :: v_dual_bitop2_b32 v32, 7, v8 bitop3:0x40
; %bb.1571:                             ;   in Loop: Header=BB366_998 Depth=1
	s_or_b32 exec_lo, exec_lo, s18
	s_delay_alu instid0(VALU_DEP_1) | instskip(NEXT) | instid1(VALU_DEP_2)
	v_dual_lshlrev_b32 v8, 16, v22 :: v_dual_lshlrev_b32 v9, 20, v32
	v_lshl_add_u32 v7, v7, 23, 0x3c000000
	s_delay_alu instid0(VALU_DEP_2) | instskip(NEXT) | instid1(VALU_DEP_1)
	v_and_b32_e32 v8, 0x80000000, v8
	v_or3_b32 v7, v9, v8, v7
.LBB366_1572:                           ;   in Loop: Header=BB366_998 Depth=1
	s_or_b32 exec_lo, exec_lo, s17
.LBB366_1573:                           ;   in Loop: Header=BB366_998 Depth=1
	s_delay_alu instid0(SALU_CYCLE_1)
	s_or_b32 exec_lo, exec_lo, s16
.LBB366_1574:                           ;   in Loop: Header=BB366_998 Depth=1
	s_delay_alu instid0(SALU_CYCLE_1) | instskip(SKIP_3) | instid1(VALU_DEP_2)
	s_or_b32 exec_lo, exec_lo, s15
	v_dual_lshrrev_b32 v30, 16, v19 :: v_dual_mov_b32 v8, 0
	v_mov_b32_e32 v9, 0
	s_mov_b32 s15, exec_lo
	v_and_b32_e32 v22, 0xff, v30
	s_delay_alu instid0(VALU_DEP_1)
	v_cmpx_ne_u16_e32 0, v22
	s_cbranch_execz .LBB366_1582
; %bb.1575:                             ;   in Loop: Header=BB366_998 Depth=1
	v_bfrev_b32_e32 v9, 1
	s_mov_b32 s16, exec_lo
	v_cmpx_ne_u16_e32 0x80, v22
	s_cbranch_execz .LBB366_1581
; %bb.1576:                             ;   in Loop: Header=BB366_998 Depth=1
	v_bfe_u32 v31, v19, 16, 7
	v_mov_b32_e32 v9, 0x7f800001
	s_mov_b32 s17, exec_lo
	s_delay_alu instid0(VALU_DEP_2)
	v_cmpx_ne_u32_e32 0x7f, v31
	s_cbranch_execz .LBB366_1580
; %bb.1577:                             ;   in Loop: Header=BB366_998 Depth=1
	v_dual_lshrrev_b32 v9, 3, v31 :: v_dual_bitop2_b32 v22, 7, v30 bitop3:0x40
	s_mov_b32 s18, exec_lo
	s_delay_alu instid0(VALU_DEP_1)
	v_mov_b64_e32 v[32:33], v[22:23]
	v_cmpx_gt_u32_e32 8, v31
; %bb.1578:                             ;   in Loop: Header=BB366_998 Depth=1
	v_clz_i32_u32_e32 v9, v22
	s_delay_alu instid0(VALU_DEP_1) | instskip(NEXT) | instid1(VALU_DEP_1)
	v_min_u32_e32 v9, 32, v9
	v_subrev_nc_u32_e32 v31, 28, v9
	s_delay_alu instid0(VALU_DEP_1) | instskip(NEXT) | instid1(VALU_DEP_1)
	v_lshlrev_b64_e32 v[32:33], v31, v[22:23]
	v_dual_sub_nc_u32 v9, 29, v9 :: v_dual_bitop2_b32 v32, 7, v32 bitop3:0x40
; %bb.1579:                             ;   in Loop: Header=BB366_998 Depth=1
	s_or_b32 exec_lo, exec_lo, s18
	s_delay_alu instid0(VALU_DEP_1) | instskip(NEXT) | instid1(VALU_DEP_2)
	v_dual_lshlrev_b32 v22, 24, v30 :: v_dual_lshlrev_b32 v30, 20, v32
	v_lshl_add_u32 v9, v9, 23, 0x3c000000
	s_delay_alu instid0(VALU_DEP_2) | instskip(NEXT) | instid1(VALU_DEP_1)
	v_and_b32_e32 v22, 0x80000000, v22
	v_or3_b32 v9, v30, v22, v9
.LBB366_1580:                           ;   in Loop: Header=BB366_998 Depth=1
	s_or_b32 exec_lo, exec_lo, s17
.LBB366_1581:                           ;   in Loop: Header=BB366_998 Depth=1
	s_delay_alu instid0(SALU_CYCLE_1)
	s_or_b32 exec_lo, exec_lo, s16
.LBB366_1582:                           ;   in Loop: Header=BB366_998 Depth=1
	s_delay_alu instid0(SALU_CYCLE_1) | instskip(NEXT) | instid1(SALU_CYCLE_1)
	s_or_b32 exec_lo, exec_lo, s15
	s_mov_b32 s15, exec_lo
	v_cmpx_lt_u64_e64 s[2:3], v[18:19]
	s_cbranch_execz .LBB366_1590
; %bb.1583:                             ;   in Loop: Header=BB366_998 Depth=1
	v_lshrrev_b32_e32 v30, 24, v19
	v_bfrev_b32_e32 v8, 1
	s_mov_b32 s16, exec_lo
	s_delay_alu instid0(VALU_DEP_2)
	v_cmpx_ne_u32_e32 0x80, v30
	s_cbranch_execz .LBB366_1589
; %bb.1584:                             ;   in Loop: Header=BB366_998 Depth=1
	v_bfe_u32 v18, v19, 24, 7
	v_mov_b32_e32 v8, 0x7f800001
	s_mov_b32 s17, exec_lo
	s_delay_alu instid0(VALU_DEP_2)
	v_cmpx_ne_u32_e32 0x7f, v18
	s_cbranch_execz .LBB366_1588
; %bb.1585:                             ;   in Loop: Header=BB366_998 Depth=1
	v_and_b32_e32 v22, 7, v30
	v_lshrrev_b32_e32 v8, 3, v18
	v_cmp_gt_u32_e64 s0, 8, v18
	s_delay_alu instid0(VALU_DEP_3)
	v_mov_b64_e32 v[18:19], v[22:23]
	s_and_saveexec_b32 s18, s0
; %bb.1586:                             ;   in Loop: Header=BB366_998 Depth=1
	v_clz_i32_u32_e32 v8, v22
	s_delay_alu instid0(VALU_DEP_1) | instskip(NEXT) | instid1(VALU_DEP_1)
	v_min_u32_e32 v8, 32, v8
	v_subrev_nc_u32_e32 v18, 28, v8
	s_delay_alu instid0(VALU_DEP_1) | instskip(NEXT) | instid1(VALU_DEP_1)
	v_lshlrev_b64_e32 v[18:19], v18, v[22:23]
	v_dual_sub_nc_u32 v8, 29, v8 :: v_dual_bitop2_b32 v18, 7, v18 bitop3:0x40
; %bb.1587:                             ;   in Loop: Header=BB366_998 Depth=1
	s_or_b32 exec_lo, exec_lo, s18
	v_lshlrev_b32_e32 v19, 24, v30
	s_delay_alu instid0(VALU_DEP_2) | instskip(NEXT) | instid1(VALU_DEP_3)
	v_lshlrev_b32_e32 v18, 20, v18
	v_lshl_add_u32 v8, v8, 23, 0x3c000000
	s_delay_alu instid0(VALU_DEP_3) | instskip(NEXT) | instid1(VALU_DEP_1)
	v_and_b32_e32 v19, 0x80000000, v19
	v_or3_b32 v8, v18, v19, v8
.LBB366_1588:                           ;   in Loop: Header=BB366_998 Depth=1
	s_or_b32 exec_lo, exec_lo, s17
.LBB366_1589:                           ;   in Loop: Header=BB366_998 Depth=1
	s_delay_alu instid0(SALU_CYCLE_1)
	s_or_b32 exec_lo, exec_lo, s16
.LBB366_1590:                           ;   in Loop: Header=BB366_998 Depth=1
	s_delay_alu instid0(SALU_CYCLE_1)
	s_or_b32 exec_lo, exec_lo, s15
	v_fma_mixlo_bf16 v106, v48, v7, 0
	v_fma_mixlo_bf16 v107, v48, v6, 0
	;; [unrolled: 1-line block ×8, first 2 shown]
	s_and_saveexec_b32 s15, vcc_lo
	s_cbranch_execz .LBB366_1592
; %bb.1591:                             ;   in Loop: Header=BB366_998 Depth=1
	v_cmp_lt_i32_e64 s0, v98, v34
	s_delay_alu instid0(VALU_DEP_1) | instskip(SKIP_1) | instid1(VALU_DEP_1)
	v_cndmask_b32_e64 v121, 0, v121, s0
	v_cmp_lt_i32_e64 s0, v102, v34
	v_cndmask_b32_e64 v120, 0, v120, s0
	v_cmp_lt_i32_e64 s0, v101, v34
	s_delay_alu instid0(VALU_DEP_1) | instskip(SKIP_1) | instid1(VALU_DEP_1)
	v_cndmask_b32_e64 v111, 0, v111, s0
	v_cmp_lt_i32_e64 s0, v100, v34
	v_cndmask_b32_e64 v110, 0, v110, s0
	;; [unrolled: 5-line block ×4, first 2 shown]
.LBB366_1592:                           ;   in Loop: Header=BB366_998 Depth=1
	s_or_b32 exec_lo, exec_lo, s15
	flat_load_b64 v[18:19], v[0:1] offset:2304
	v_dual_mov_b32 v3, 0 :: v_dual_mov_b32 v2, 0
	s_mov_b32 s15, exec_lo
	s_wait_loadcnt_dscnt 0x0
	v_and_b32_e32 v4, 0xff, v18
	s_wait_xcnt 0x0
	s_delay_alu instid0(VALU_DEP_1)
	v_cmpx_ne_u16_e32 0, v4
	s_cbranch_execz .LBB366_1600
; %bb.1593:                             ;   in Loop: Header=BB366_998 Depth=1
	v_bfrev_b32_e32 v2, 1
	s_mov_b32 s16, exec_lo
	v_cmpx_ne_u16_e32 0x80, v4
	s_cbranch_execz .LBB366_1599
; %bb.1594:                             ;   in Loop: Header=BB366_998 Depth=1
	v_and_b32_e32 v4, 0x7f, v18
	v_mov_b32_e32 v2, 0x7f800001
	s_mov_b32 s17, exec_lo
	s_delay_alu instid0(VALU_DEP_2)
	v_cmpx_ne_u32_e32 0x7f, v4
	s_cbranch_execz .LBB366_1598
; %bb.1595:                             ;   in Loop: Header=BB366_998 Depth=1
	v_mov_b64_e32 v[32:33], v[18:19]
	v_lshrrev_b32_e32 v2, 3, v4
	s_mov_b32 s18, exec_lo
	v_cmpx_gt_u32_e32 8, v4
; %bb.1596:                             ;   in Loop: Header=BB366_998 Depth=1
	v_and_b32_e32 v2, 7, v18
	s_delay_alu instid0(VALU_DEP_1) | instskip(NEXT) | instid1(VALU_DEP_1)
	v_clz_i32_u32_e32 v2, v2
	v_min_u32_e32 v2, 32, v2
	s_delay_alu instid0(VALU_DEP_1) | instskip(SKIP_1) | instid1(VALU_DEP_2)
	v_subrev_nc_u32_e32 v4, 28, v2
	v_sub_nc_u32_e32 v2, 29, v2
	v_lshlrev_b64_e32 v[32:33], v4, v[18:19]
; %bb.1597:                             ;   in Loop: Header=BB366_998 Depth=1
	s_or_b32 exec_lo, exec_lo, s18
	s_delay_alu instid0(VALU_DEP_1) | instskip(NEXT) | instid1(VALU_DEP_3)
	v_dual_lshlrev_b32 v4, 20, v32 :: v_dual_lshlrev_b32 v5, 24, v18
	v_lshl_add_u32 v2, v2, 23, 0x3c000000
	s_delay_alu instid0(VALU_DEP_2) | instskip(NEXT) | instid1(VALU_DEP_3)
	v_and_b32_e32 v4, 0x700000, v4
	v_and_b32_e32 v5, 0x80000000, v5
	s_delay_alu instid0(VALU_DEP_1)
	v_or3_b32 v2, v4, v5, v2
.LBB366_1598:                           ;   in Loop: Header=BB366_998 Depth=1
	s_or_b32 exec_lo, exec_lo, s17
.LBB366_1599:                           ;   in Loop: Header=BB366_998 Depth=1
	s_delay_alu instid0(SALU_CYCLE_1)
	s_or_b32 exec_lo, exec_lo, s16
.LBB366_1600:                           ;   in Loop: Header=BB366_998 Depth=1
	s_delay_alu instid0(SALU_CYCLE_1) | instskip(SKIP_2) | instid1(VALU_DEP_1)
	s_or_b32 exec_lo, exec_lo, s15
	v_lshrrev_b16 v4, 8, v18
	s_mov_b32 s15, exec_lo
	v_cmpx_ne_u16_e32 0, v4
	s_cbranch_execz .LBB366_1608
; %bb.1601:                             ;   in Loop: Header=BB366_998 Depth=1
	v_bfrev_b32_e32 v3, 1
	s_mov_b32 s16, exec_lo
	v_cmpx_ne_u16_e32 0x80, v4
	s_cbranch_execz .LBB366_1607
; %bb.1602:                             ;   in Loop: Header=BB366_998 Depth=1
	v_and_b32_e32 v5, 0xffff, v4
	v_mov_b32_e32 v3, 0x7f800001
	s_mov_b32 s17, exec_lo
	s_delay_alu instid0(VALU_DEP_2) | instskip(NEXT) | instid1(VALU_DEP_1)
	v_and_b32_e32 v4, 0x7f, v5
	v_cmpx_ne_u32_e32 0x7f, v4
	s_cbranch_execz .LBB366_1606
; %bb.1603:                             ;   in Loop: Header=BB366_998 Depth=1
	v_dual_lshrrev_b32 v3, 3, v4 :: v_dual_bitop2_b32 v22, 7, v5 bitop3:0x40
	s_mov_b32 s18, exec_lo
	s_delay_alu instid0(VALU_DEP_1)
	v_mov_b64_e32 v[32:33], v[22:23]
	v_cmpx_gt_u32_e32 8, v4
; %bb.1604:                             ;   in Loop: Header=BB366_998 Depth=1
	v_clz_i32_u32_e32 v3, v22
	s_delay_alu instid0(VALU_DEP_1) | instskip(NEXT) | instid1(VALU_DEP_1)
	v_min_u32_e32 v3, 32, v3
	v_subrev_nc_u32_e32 v4, 28, v3
	s_delay_alu instid0(VALU_DEP_1) | instskip(NEXT) | instid1(VALU_DEP_1)
	v_lshlrev_b64_e32 v[4:5], v4, v[22:23]
	v_dual_sub_nc_u32 v3, 29, v3 :: v_dual_bitop2_b32 v32, 7, v4 bitop3:0x40
; %bb.1605:                             ;   in Loop: Header=BB366_998 Depth=1
	s_or_b32 exec_lo, exec_lo, s18
	s_delay_alu instid0(VALU_DEP_1) | instskip(NEXT) | instid1(VALU_DEP_2)
	v_dual_lshlrev_b32 v4, 16, v18 :: v_dual_lshlrev_b32 v5, 20, v32
	v_lshl_add_u32 v3, v3, 23, 0x3c000000
	s_delay_alu instid0(VALU_DEP_2) | instskip(NEXT) | instid1(VALU_DEP_1)
	v_and_b32_e32 v4, 0x80000000, v4
	v_or3_b32 v3, v5, v4, v3
.LBB366_1606:                           ;   in Loop: Header=BB366_998 Depth=1
	s_or_b32 exec_lo, exec_lo, s17
.LBB366_1607:                           ;   in Loop: Header=BB366_998 Depth=1
	s_delay_alu instid0(SALU_CYCLE_1)
	s_or_b32 exec_lo, exec_lo, s16
.LBB366_1608:                           ;   in Loop: Header=BB366_998 Depth=1
	s_delay_alu instid0(SALU_CYCLE_1) | instskip(SKIP_3) | instid1(VALU_DEP_2)
	s_or_b32 exec_lo, exec_lo, s15
	v_dual_mov_b32 v5, 0 :: v_dual_lshrrev_b32 v6, 16, v18
	v_mov_b32_e32 v4, 0
	s_mov_b32 s15, exec_lo
	v_and_b32_e32 v7, 0xff, v6
	s_delay_alu instid0(VALU_DEP_1)
	v_cmpx_ne_u16_e32 0, v7
	s_cbranch_execz .LBB366_1616
; %bb.1609:                             ;   in Loop: Header=BB366_998 Depth=1
	v_bfrev_b32_e32 v4, 1
	s_mov_b32 s16, exec_lo
	v_cmpx_ne_u16_e32 0x80, v7
	s_cbranch_execz .LBB366_1615
; %bb.1610:                             ;   in Loop: Header=BB366_998 Depth=1
	v_bfe_u32 v7, v18, 16, 7
	v_mov_b32_e32 v4, 0x7f800001
	s_mov_b32 s17, exec_lo
	s_delay_alu instid0(VALU_DEP_2)
	v_cmpx_ne_u32_e32 0x7f, v7
	s_cbranch_execz .LBB366_1614
; %bb.1611:                             ;   in Loop: Header=BB366_998 Depth=1
	v_dual_lshrrev_b32 v4, 3, v7 :: v_dual_bitop2_b32 v22, 7, v6 bitop3:0x40
	s_mov_b32 s18, exec_lo
	s_delay_alu instid0(VALU_DEP_1)
	v_mov_b64_e32 v[32:33], v[22:23]
	v_cmpx_gt_u32_e32 8, v7
; %bb.1612:                             ;   in Loop: Header=BB366_998 Depth=1
	v_clz_i32_u32_e32 v4, v22
	s_delay_alu instid0(VALU_DEP_1) | instskip(NEXT) | instid1(VALU_DEP_1)
	v_min_u32_e32 v4, 32, v4
	v_subrev_nc_u32_e32 v7, 28, v4
	v_sub_nc_u32_e32 v4, 29, v4
	s_delay_alu instid0(VALU_DEP_2) | instskip(NEXT) | instid1(VALU_DEP_1)
	v_lshlrev_b64_e32 v[8:9], v7, v[22:23]
	v_and_b32_e32 v32, 7, v8
; %bb.1613:                             ;   in Loop: Header=BB366_998 Depth=1
	s_or_b32 exec_lo, exec_lo, s18
	s_delay_alu instid0(VALU_DEP_1) | instskip(SKIP_1) | instid1(VALU_DEP_2)
	v_dual_lshlrev_b32 v6, 24, v6 :: v_dual_lshlrev_b32 v7, 20, v32
	v_lshl_add_u32 v4, v4, 23, 0x3c000000
	v_and_b32_e32 v6, 0x80000000, v6
	s_delay_alu instid0(VALU_DEP_1)
	v_or3_b32 v4, v7, v6, v4
.LBB366_1614:                           ;   in Loop: Header=BB366_998 Depth=1
	s_or_b32 exec_lo, exec_lo, s17
.LBB366_1615:                           ;   in Loop: Header=BB366_998 Depth=1
	s_delay_alu instid0(SALU_CYCLE_1)
	s_or_b32 exec_lo, exec_lo, s16
.LBB366_1616:                           ;   in Loop: Header=BB366_998 Depth=1
	s_delay_alu instid0(SALU_CYCLE_1) | instskip(NEXT) | instid1(SALU_CYCLE_1)
	s_or_b32 exec_lo, exec_lo, s15
	s_mov_b32 s15, exec_lo
	v_cmpx_lt_u32_e32 0xffffff, v18
	s_cbranch_execz .LBB366_1624
; %bb.1617:                             ;   in Loop: Header=BB366_998 Depth=1
	v_lshrrev_b32_e32 v6, 24, v18
	v_bfrev_b32_e32 v5, 1
	s_mov_b32 s16, exec_lo
	s_delay_alu instid0(VALU_DEP_2)
	v_cmpx_ne_u32_e32 0x80, v6
	s_cbranch_execz .LBB366_1623
; %bb.1618:                             ;   in Loop: Header=BB366_998 Depth=1
	v_bfe_u32 v7, v18, 24, 7
	v_mov_b32_e32 v5, 0x7f800001
	s_mov_b32 s17, exec_lo
	s_delay_alu instid0(VALU_DEP_2)
	v_cmpx_ne_u32_e32 0x7f, v7
	s_cbranch_execz .LBB366_1622
; %bb.1619:                             ;   in Loop: Header=BB366_998 Depth=1
	v_dual_lshrrev_b32 v5, 3, v7 :: v_dual_bitop2_b32 v22, 7, v6 bitop3:0x40
	s_mov_b32 s18, exec_lo
	s_delay_alu instid0(VALU_DEP_1)
	v_mov_b64_e32 v[32:33], v[22:23]
	v_cmpx_gt_u32_e32 8, v7
; %bb.1620:                             ;   in Loop: Header=BB366_998 Depth=1
	v_clz_i32_u32_e32 v5, v22
	s_delay_alu instid0(VALU_DEP_1) | instskip(NEXT) | instid1(VALU_DEP_1)
	v_min_u32_e32 v5, 32, v5
	v_subrev_nc_u32_e32 v7, 28, v5
	s_delay_alu instid0(VALU_DEP_1) | instskip(NEXT) | instid1(VALU_DEP_1)
	v_lshlrev_b64_e32 v[8:9], v7, v[22:23]
	v_dual_sub_nc_u32 v5, 29, v5 :: v_dual_bitop2_b32 v32, 7, v8 bitop3:0x40
; %bb.1621:                             ;   in Loop: Header=BB366_998 Depth=1
	s_or_b32 exec_lo, exec_lo, s18
	s_delay_alu instid0(VALU_DEP_1) | instskip(NEXT) | instid1(VALU_DEP_2)
	v_dual_lshlrev_b32 v6, 24, v6 :: v_dual_lshlrev_b32 v7, 20, v32
	v_lshl_add_u32 v5, v5, 23, 0x3c000000
	s_delay_alu instid0(VALU_DEP_2) | instskip(NEXT) | instid1(VALU_DEP_1)
	v_and_b32_e32 v6, 0x80000000, v6
	v_or3_b32 v5, v7, v6, v5
.LBB366_1622:                           ;   in Loop: Header=BB366_998 Depth=1
	s_or_b32 exec_lo, exec_lo, s17
.LBB366_1623:                           ;   in Loop: Header=BB366_998 Depth=1
	s_delay_alu instid0(SALU_CYCLE_1)
	s_or_b32 exec_lo, exec_lo, s16
.LBB366_1624:                           ;   in Loop: Header=BB366_998 Depth=1
	s_delay_alu instid0(SALU_CYCLE_1) | instskip(SKIP_4) | instid1(VALU_DEP_3)
	s_or_b32 exec_lo, exec_lo, s15
	v_and_b32_e32 v8, 0xff, v19
	v_dual_mov_b32 v22, v19 :: v_dual_mov_b32 v7, 0
	v_mov_b32_e32 v6, 0
	s_mov_b32 s15, exec_lo
	v_cmpx_ne_u16_e32 0, v8
	s_cbranch_execz .LBB366_1632
; %bb.1625:                             ;   in Loop: Header=BB366_998 Depth=1
	v_bfrev_b32_e32 v6, 1
	s_mov_b32 s16, exec_lo
	v_cmpx_ne_u16_e32 0x80, v8
	s_cbranch_execz .LBB366_1631
; %bb.1626:                             ;   in Loop: Header=BB366_998 Depth=1
	v_and_b32_e32 v8, 0x7f, v19
	v_mov_b32_e32 v6, 0x7f800001
	s_mov_b32 s17, exec_lo
	s_delay_alu instid0(VALU_DEP_2)
	v_cmpx_ne_u32_e32 0x7f, v8
	s_cbranch_execz .LBB366_1630
; %bb.1627:                             ;   in Loop: Header=BB366_998 Depth=1
	v_mov_b64_e32 v[32:33], v[22:23]
	v_lshrrev_b32_e32 v6, 3, v8
	s_mov_b32 s18, exec_lo
	v_cmpx_gt_u32_e32 8, v8
; %bb.1628:                             ;   in Loop: Header=BB366_998 Depth=1
	v_and_b32_e32 v6, 7, v19
	s_delay_alu instid0(VALU_DEP_1) | instskip(NEXT) | instid1(VALU_DEP_1)
	v_clz_i32_u32_e32 v6, v6
	v_min_u32_e32 v6, 32, v6
	s_delay_alu instid0(VALU_DEP_1) | instskip(SKIP_1) | instid1(VALU_DEP_2)
	v_subrev_nc_u32_e32 v8, 28, v6
	v_sub_nc_u32_e32 v6, 29, v6
	v_lshlrev_b64_e32 v[32:33], v8, v[22:23]
; %bb.1629:                             ;   in Loop: Header=BB366_998 Depth=1
	s_or_b32 exec_lo, exec_lo, s18
	s_delay_alu instid0(VALU_DEP_1) | instskip(NEXT) | instid1(VALU_DEP_3)
	v_dual_lshlrev_b32 v8, 20, v32 :: v_dual_lshlrev_b32 v9, 24, v22
	v_lshl_add_u32 v6, v6, 23, 0x3c000000
	s_delay_alu instid0(VALU_DEP_2) | instskip(NEXT) | instid1(VALU_DEP_3)
	v_and_b32_e32 v8, 0x700000, v8
	v_and_b32_e32 v9, 0x80000000, v9
	s_delay_alu instid0(VALU_DEP_1)
	v_or3_b32 v6, v8, v9, v6
.LBB366_1630:                           ;   in Loop: Header=BB366_998 Depth=1
	s_or_b32 exec_lo, exec_lo, s17
.LBB366_1631:                           ;   in Loop: Header=BB366_998 Depth=1
	s_delay_alu instid0(SALU_CYCLE_1)
	s_or_b32 exec_lo, exec_lo, s16
.LBB366_1632:                           ;   in Loop: Header=BB366_998 Depth=1
	s_delay_alu instid0(SALU_CYCLE_1) | instskip(SKIP_2) | instid1(VALU_DEP_1)
	s_or_b32 exec_lo, exec_lo, s15
	v_lshrrev_b16 v8, 8, v22
	s_mov_b32 s15, exec_lo
	v_cmpx_ne_u16_e32 0, v8
	s_cbranch_execz .LBB366_1640
; %bb.1633:                             ;   in Loop: Header=BB366_998 Depth=1
	v_bfrev_b32_e32 v7, 1
	s_mov_b32 s16, exec_lo
	v_cmpx_ne_u16_e32 0x80, v8
	s_cbranch_execz .LBB366_1639
; %bb.1634:                             ;   in Loop: Header=BB366_998 Depth=1
	v_and_b32_e32 v9, 0xffff, v8
	v_mov_b32_e32 v7, 0x7f800001
	s_mov_b32 s17, exec_lo
	s_delay_alu instid0(VALU_DEP_2) | instskip(NEXT) | instid1(VALU_DEP_1)
	v_and_b32_e32 v8, 0x7f, v9
	v_cmpx_ne_u32_e32 0x7f, v8
	s_cbranch_execz .LBB366_1638
; %bb.1635:                             ;   in Loop: Header=BB366_998 Depth=1
	v_dual_mov_b32 v33, v23 :: v_dual_bitop2_b32 v32, 7, v9 bitop3:0x40
	v_lshrrev_b32_e32 v7, 3, v8
	s_mov_b32 s18, exec_lo
	v_cmpx_gt_u32_e32 8, v8
; %bb.1636:                             ;   in Loop: Header=BB366_998 Depth=1
	s_delay_alu instid0(VALU_DEP_3) | instskip(NEXT) | instid1(VALU_DEP_1)
	v_clz_i32_u32_e32 v7, v32
	v_min_u32_e32 v7, 32, v7
	s_delay_alu instid0(VALU_DEP_1) | instskip(NEXT) | instid1(VALU_DEP_1)
	v_subrev_nc_u32_e32 v8, 28, v7
	v_lshlrev_b64_e32 v[8:9], v8, v[32:33]
	s_delay_alu instid0(VALU_DEP_1)
	v_dual_sub_nc_u32 v7, 29, v7 :: v_dual_bitop2_b32 v32, 7, v8 bitop3:0x40
; %bb.1637:                             ;   in Loop: Header=BB366_998 Depth=1
	s_or_b32 exec_lo, exec_lo, s18
	s_delay_alu instid0(VALU_DEP_1) | instskip(NEXT) | instid1(VALU_DEP_2)
	v_dual_lshlrev_b32 v8, 16, v22 :: v_dual_lshlrev_b32 v9, 20, v32
	v_lshl_add_u32 v7, v7, 23, 0x3c000000
	s_delay_alu instid0(VALU_DEP_2) | instskip(NEXT) | instid1(VALU_DEP_1)
	v_and_b32_e32 v8, 0x80000000, v8
	v_or3_b32 v7, v9, v8, v7
.LBB366_1638:                           ;   in Loop: Header=BB366_998 Depth=1
	s_or_b32 exec_lo, exec_lo, s17
.LBB366_1639:                           ;   in Loop: Header=BB366_998 Depth=1
	s_delay_alu instid0(SALU_CYCLE_1)
	s_or_b32 exec_lo, exec_lo, s16
.LBB366_1640:                           ;   in Loop: Header=BB366_998 Depth=1
	s_delay_alu instid0(SALU_CYCLE_1) | instskip(SKIP_3) | instid1(VALU_DEP_2)
	s_or_b32 exec_lo, exec_lo, s15
	v_dual_lshrrev_b32 v30, 16, v19 :: v_dual_mov_b32 v8, 0
	v_mov_b32_e32 v9, 0
	s_mov_b32 s15, exec_lo
	v_and_b32_e32 v22, 0xff, v30
	s_delay_alu instid0(VALU_DEP_1)
	v_cmpx_ne_u16_e32 0, v22
	s_cbranch_execz .LBB366_1648
; %bb.1641:                             ;   in Loop: Header=BB366_998 Depth=1
	v_bfrev_b32_e32 v9, 1
	s_mov_b32 s16, exec_lo
	v_cmpx_ne_u16_e32 0x80, v22
	s_cbranch_execz .LBB366_1647
; %bb.1642:                             ;   in Loop: Header=BB366_998 Depth=1
	v_bfe_u32 v31, v19, 16, 7
	v_mov_b32_e32 v9, 0x7f800001
	s_mov_b32 s17, exec_lo
	s_delay_alu instid0(VALU_DEP_2)
	v_cmpx_ne_u32_e32 0x7f, v31
	s_cbranch_execz .LBB366_1646
; %bb.1643:                             ;   in Loop: Header=BB366_998 Depth=1
	v_dual_lshrrev_b32 v9, 3, v31 :: v_dual_bitop2_b32 v22, 7, v30 bitop3:0x40
	s_mov_b32 s18, exec_lo
	s_delay_alu instid0(VALU_DEP_1)
	v_mov_b64_e32 v[32:33], v[22:23]
	v_cmpx_gt_u32_e32 8, v31
; %bb.1644:                             ;   in Loop: Header=BB366_998 Depth=1
	v_clz_i32_u32_e32 v9, v22
	s_delay_alu instid0(VALU_DEP_1) | instskip(NEXT) | instid1(VALU_DEP_1)
	v_min_u32_e32 v9, 32, v9
	v_subrev_nc_u32_e32 v31, 28, v9
	s_delay_alu instid0(VALU_DEP_1) | instskip(NEXT) | instid1(VALU_DEP_1)
	v_lshlrev_b64_e32 v[32:33], v31, v[22:23]
	v_dual_sub_nc_u32 v9, 29, v9 :: v_dual_bitop2_b32 v32, 7, v32 bitop3:0x40
; %bb.1645:                             ;   in Loop: Header=BB366_998 Depth=1
	s_or_b32 exec_lo, exec_lo, s18
	s_delay_alu instid0(VALU_DEP_1) | instskip(NEXT) | instid1(VALU_DEP_2)
	v_dual_lshlrev_b32 v22, 24, v30 :: v_dual_lshlrev_b32 v30, 20, v32
	v_lshl_add_u32 v9, v9, 23, 0x3c000000
	s_delay_alu instid0(VALU_DEP_2) | instskip(NEXT) | instid1(VALU_DEP_1)
	v_and_b32_e32 v22, 0x80000000, v22
	v_or3_b32 v9, v30, v22, v9
.LBB366_1646:                           ;   in Loop: Header=BB366_998 Depth=1
	s_or_b32 exec_lo, exec_lo, s17
.LBB366_1647:                           ;   in Loop: Header=BB366_998 Depth=1
	s_delay_alu instid0(SALU_CYCLE_1)
	s_or_b32 exec_lo, exec_lo, s16
.LBB366_1648:                           ;   in Loop: Header=BB366_998 Depth=1
	s_delay_alu instid0(SALU_CYCLE_1) | instskip(NEXT) | instid1(SALU_CYCLE_1)
	s_or_b32 exec_lo, exec_lo, s15
	s_mov_b32 s15, exec_lo
	v_cmpx_lt_u64_e64 s[2:3], v[18:19]
	s_cbranch_execz .LBB366_1656
; %bb.1649:                             ;   in Loop: Header=BB366_998 Depth=1
	v_lshrrev_b32_e32 v30, 24, v19
	v_bfrev_b32_e32 v8, 1
	s_mov_b32 s16, exec_lo
	s_delay_alu instid0(VALU_DEP_2)
	v_cmpx_ne_u32_e32 0x80, v30
	s_cbranch_execz .LBB366_1655
; %bb.1650:                             ;   in Loop: Header=BB366_998 Depth=1
	v_bfe_u32 v18, v19, 24, 7
	v_mov_b32_e32 v8, 0x7f800001
	s_mov_b32 s17, exec_lo
	s_delay_alu instid0(VALU_DEP_2)
	v_cmpx_ne_u32_e32 0x7f, v18
	s_cbranch_execz .LBB366_1654
; %bb.1651:                             ;   in Loop: Header=BB366_998 Depth=1
	v_and_b32_e32 v22, 7, v30
	v_lshrrev_b32_e32 v8, 3, v18
	v_cmp_gt_u32_e64 s0, 8, v18
	s_delay_alu instid0(VALU_DEP_3)
	v_mov_b64_e32 v[18:19], v[22:23]
	s_and_saveexec_b32 s18, s0
; %bb.1652:                             ;   in Loop: Header=BB366_998 Depth=1
	v_clz_i32_u32_e32 v8, v22
	s_delay_alu instid0(VALU_DEP_1) | instskip(NEXT) | instid1(VALU_DEP_1)
	v_min_u32_e32 v8, 32, v8
	v_subrev_nc_u32_e32 v18, 28, v8
	s_delay_alu instid0(VALU_DEP_1) | instskip(NEXT) | instid1(VALU_DEP_1)
	v_lshlrev_b64_e32 v[18:19], v18, v[22:23]
	v_dual_sub_nc_u32 v8, 29, v8 :: v_dual_bitop2_b32 v18, 7, v18 bitop3:0x40
; %bb.1653:                             ;   in Loop: Header=BB366_998 Depth=1
	s_or_b32 exec_lo, exec_lo, s18
	v_lshlrev_b32_e32 v19, 24, v30
	s_delay_alu instid0(VALU_DEP_2) | instskip(NEXT) | instid1(VALU_DEP_3)
	v_lshlrev_b32_e32 v18, 20, v18
	v_lshl_add_u32 v8, v8, 23, 0x3c000000
	s_delay_alu instid0(VALU_DEP_3) | instskip(NEXT) | instid1(VALU_DEP_1)
	v_and_b32_e32 v19, 0x80000000, v19
	v_or3_b32 v8, v18, v19, v8
.LBB366_1654:                           ;   in Loop: Header=BB366_998 Depth=1
	s_or_b32 exec_lo, exec_lo, s17
.LBB366_1655:                           ;   in Loop: Header=BB366_998 Depth=1
	s_delay_alu instid0(SALU_CYCLE_1)
	s_or_b32 exec_lo, exec_lo, s16
.LBB366_1656:                           ;   in Loop: Header=BB366_998 Depth=1
	s_delay_alu instid0(SALU_CYCLE_1)
	s_or_b32 exec_lo, exec_lo, s15
	v_fma_mixlo_bf16 v122, v48, v7, 0
	v_fma_mixlo_bf16 v123, v48, v6, 0
	;; [unrolled: 1-line block ×8, first 2 shown]
	s_and_saveexec_b32 s15, vcc_lo
	s_cbranch_execz .LBB366_1658
; %bb.1657:                             ;   in Loop: Header=BB366_998 Depth=1
	v_cmp_lt_i32_e64 s0, v98, v34
	s_delay_alu instid0(VALU_DEP_1) | instskip(SKIP_1) | instid1(VALU_DEP_1)
	v_cndmask_b32_e64 v30, 0, v30, s0
	v_cmp_lt_i32_e64 s0, v102, v34
	v_cndmask_b32_e64 v38, 0, v38, s0
	v_cmp_lt_i32_e64 s0, v101, v34
	s_delay_alu instid0(VALU_DEP_1) | instskip(SKIP_1) | instid1(VALU_DEP_1)
	v_cndmask_b32_e64 v127, 0, v127, s0
	v_cmp_lt_i32_e64 s0, v100, v34
	v_cndmask_b32_e64 v126, 0, v126, s0
	;; [unrolled: 5-line block ×4, first 2 shown]
.LBB366_1658:                           ;   in Loop: Header=BB366_998 Depth=1
	s_or_b32 exec_lo, exec_lo, s15
	flat_load_b64 v[18:19], v[0:1] offset:2560
	v_dual_mov_b32 v3, 0 :: v_dual_mov_b32 v2, 0
	s_mov_b32 s15, exec_lo
	s_wait_loadcnt_dscnt 0x0
	v_and_b32_e32 v4, 0xff, v18
	s_wait_xcnt 0x0
	s_delay_alu instid0(VALU_DEP_1)
	v_cmpx_ne_u16_e32 0, v4
	s_cbranch_execz .LBB366_1666
; %bb.1659:                             ;   in Loop: Header=BB366_998 Depth=1
	v_bfrev_b32_e32 v2, 1
	s_mov_b32 s16, exec_lo
	v_cmpx_ne_u16_e32 0x80, v4
	s_cbranch_execz .LBB366_1665
; %bb.1660:                             ;   in Loop: Header=BB366_998 Depth=1
	v_and_b32_e32 v4, 0x7f, v18
	v_mov_b32_e32 v2, 0x7f800001
	s_mov_b32 s17, exec_lo
	s_delay_alu instid0(VALU_DEP_2)
	v_cmpx_ne_u32_e32 0x7f, v4
	s_cbranch_execz .LBB366_1664
; %bb.1661:                             ;   in Loop: Header=BB366_998 Depth=1
	v_mov_b64_e32 v[32:33], v[18:19]
	v_lshrrev_b32_e32 v2, 3, v4
	s_mov_b32 s18, exec_lo
	v_cmpx_gt_u32_e32 8, v4
; %bb.1662:                             ;   in Loop: Header=BB366_998 Depth=1
	v_and_b32_e32 v2, 7, v18
	s_delay_alu instid0(VALU_DEP_1) | instskip(NEXT) | instid1(VALU_DEP_1)
	v_clz_i32_u32_e32 v2, v2
	v_min_u32_e32 v2, 32, v2
	s_delay_alu instid0(VALU_DEP_1) | instskip(SKIP_1) | instid1(VALU_DEP_2)
	v_subrev_nc_u32_e32 v4, 28, v2
	v_sub_nc_u32_e32 v2, 29, v2
	v_lshlrev_b64_e32 v[32:33], v4, v[18:19]
; %bb.1663:                             ;   in Loop: Header=BB366_998 Depth=1
	s_or_b32 exec_lo, exec_lo, s18
	s_delay_alu instid0(VALU_DEP_1) | instskip(NEXT) | instid1(VALU_DEP_3)
	v_dual_lshlrev_b32 v4, 20, v32 :: v_dual_lshlrev_b32 v5, 24, v18
	v_lshl_add_u32 v2, v2, 23, 0x3c000000
	s_delay_alu instid0(VALU_DEP_2) | instskip(NEXT) | instid1(VALU_DEP_3)
	v_and_b32_e32 v4, 0x700000, v4
	v_and_b32_e32 v5, 0x80000000, v5
	s_delay_alu instid0(VALU_DEP_1)
	v_or3_b32 v2, v4, v5, v2
.LBB366_1664:                           ;   in Loop: Header=BB366_998 Depth=1
	s_or_b32 exec_lo, exec_lo, s17
.LBB366_1665:                           ;   in Loop: Header=BB366_998 Depth=1
	s_delay_alu instid0(SALU_CYCLE_1)
	s_or_b32 exec_lo, exec_lo, s16
.LBB366_1666:                           ;   in Loop: Header=BB366_998 Depth=1
	s_delay_alu instid0(SALU_CYCLE_1) | instskip(SKIP_2) | instid1(VALU_DEP_1)
	s_or_b32 exec_lo, exec_lo, s15
	v_lshrrev_b16 v4, 8, v18
	s_mov_b32 s15, exec_lo
	v_cmpx_ne_u16_e32 0, v4
	s_cbranch_execz .LBB366_1674
; %bb.1667:                             ;   in Loop: Header=BB366_998 Depth=1
	v_bfrev_b32_e32 v3, 1
	s_mov_b32 s16, exec_lo
	v_cmpx_ne_u16_e32 0x80, v4
	s_cbranch_execz .LBB366_1673
; %bb.1668:                             ;   in Loop: Header=BB366_998 Depth=1
	v_and_b32_e32 v5, 0xffff, v4
	v_mov_b32_e32 v3, 0x7f800001
	s_mov_b32 s17, exec_lo
	s_delay_alu instid0(VALU_DEP_2) | instskip(NEXT) | instid1(VALU_DEP_1)
	v_and_b32_e32 v4, 0x7f, v5
	v_cmpx_ne_u32_e32 0x7f, v4
	s_cbranch_execz .LBB366_1672
; %bb.1669:                             ;   in Loop: Header=BB366_998 Depth=1
	v_dual_lshrrev_b32 v3, 3, v4 :: v_dual_bitop2_b32 v22, 7, v5 bitop3:0x40
	s_mov_b32 s18, exec_lo
	s_delay_alu instid0(VALU_DEP_1)
	v_mov_b64_e32 v[32:33], v[22:23]
	v_cmpx_gt_u32_e32 8, v4
; %bb.1670:                             ;   in Loop: Header=BB366_998 Depth=1
	v_clz_i32_u32_e32 v3, v22
	s_delay_alu instid0(VALU_DEP_1) | instskip(NEXT) | instid1(VALU_DEP_1)
	v_min_u32_e32 v3, 32, v3
	v_subrev_nc_u32_e32 v4, 28, v3
	s_delay_alu instid0(VALU_DEP_1) | instskip(NEXT) | instid1(VALU_DEP_1)
	v_lshlrev_b64_e32 v[4:5], v4, v[22:23]
	v_dual_sub_nc_u32 v3, 29, v3 :: v_dual_bitop2_b32 v32, 7, v4 bitop3:0x40
; %bb.1671:                             ;   in Loop: Header=BB366_998 Depth=1
	s_or_b32 exec_lo, exec_lo, s18
	s_delay_alu instid0(VALU_DEP_1) | instskip(NEXT) | instid1(VALU_DEP_2)
	v_dual_lshlrev_b32 v4, 16, v18 :: v_dual_lshlrev_b32 v5, 20, v32
	v_lshl_add_u32 v3, v3, 23, 0x3c000000
	s_delay_alu instid0(VALU_DEP_2) | instskip(NEXT) | instid1(VALU_DEP_1)
	v_and_b32_e32 v4, 0x80000000, v4
	v_or3_b32 v3, v5, v4, v3
.LBB366_1672:                           ;   in Loop: Header=BB366_998 Depth=1
	s_or_b32 exec_lo, exec_lo, s17
.LBB366_1673:                           ;   in Loop: Header=BB366_998 Depth=1
	s_delay_alu instid0(SALU_CYCLE_1)
	s_or_b32 exec_lo, exec_lo, s16
.LBB366_1674:                           ;   in Loop: Header=BB366_998 Depth=1
	s_delay_alu instid0(SALU_CYCLE_1) | instskip(SKIP_3) | instid1(VALU_DEP_2)
	s_or_b32 exec_lo, exec_lo, s15
	v_dual_mov_b32 v5, 0 :: v_dual_lshrrev_b32 v6, 16, v18
	v_mov_b32_e32 v4, 0
	s_mov_b32 s15, exec_lo
	v_and_b32_e32 v7, 0xff, v6
	s_delay_alu instid0(VALU_DEP_1)
	v_cmpx_ne_u16_e32 0, v7
	s_cbranch_execz .LBB366_1682
; %bb.1675:                             ;   in Loop: Header=BB366_998 Depth=1
	v_bfrev_b32_e32 v4, 1
	s_mov_b32 s16, exec_lo
	v_cmpx_ne_u16_e32 0x80, v7
	s_cbranch_execz .LBB366_1681
; %bb.1676:                             ;   in Loop: Header=BB366_998 Depth=1
	v_bfe_u32 v7, v18, 16, 7
	v_mov_b32_e32 v4, 0x7f800001
	s_mov_b32 s17, exec_lo
	s_delay_alu instid0(VALU_DEP_2)
	v_cmpx_ne_u32_e32 0x7f, v7
	s_cbranch_execz .LBB366_1680
; %bb.1677:                             ;   in Loop: Header=BB366_998 Depth=1
	v_dual_lshrrev_b32 v4, 3, v7 :: v_dual_bitop2_b32 v22, 7, v6 bitop3:0x40
	s_mov_b32 s18, exec_lo
	s_delay_alu instid0(VALU_DEP_1)
	v_mov_b64_e32 v[32:33], v[22:23]
	v_cmpx_gt_u32_e32 8, v7
; %bb.1678:                             ;   in Loop: Header=BB366_998 Depth=1
	v_clz_i32_u32_e32 v4, v22
	s_delay_alu instid0(VALU_DEP_1) | instskip(NEXT) | instid1(VALU_DEP_1)
	v_min_u32_e32 v4, 32, v4
	v_subrev_nc_u32_e32 v7, 28, v4
	v_sub_nc_u32_e32 v4, 29, v4
	s_delay_alu instid0(VALU_DEP_2) | instskip(NEXT) | instid1(VALU_DEP_1)
	v_lshlrev_b64_e32 v[8:9], v7, v[22:23]
	v_and_b32_e32 v32, 7, v8
; %bb.1679:                             ;   in Loop: Header=BB366_998 Depth=1
	s_or_b32 exec_lo, exec_lo, s18
	s_delay_alu instid0(VALU_DEP_1) | instskip(SKIP_1) | instid1(VALU_DEP_2)
	v_dual_lshlrev_b32 v6, 24, v6 :: v_dual_lshlrev_b32 v7, 20, v32
	v_lshl_add_u32 v4, v4, 23, 0x3c000000
	v_and_b32_e32 v6, 0x80000000, v6
	s_delay_alu instid0(VALU_DEP_1)
	v_or3_b32 v4, v7, v6, v4
.LBB366_1680:                           ;   in Loop: Header=BB366_998 Depth=1
	s_or_b32 exec_lo, exec_lo, s17
.LBB366_1681:                           ;   in Loop: Header=BB366_998 Depth=1
	s_delay_alu instid0(SALU_CYCLE_1)
	s_or_b32 exec_lo, exec_lo, s16
.LBB366_1682:                           ;   in Loop: Header=BB366_998 Depth=1
	s_delay_alu instid0(SALU_CYCLE_1) | instskip(NEXT) | instid1(SALU_CYCLE_1)
	s_or_b32 exec_lo, exec_lo, s15
	s_mov_b32 s15, exec_lo
	v_cmpx_lt_u32_e32 0xffffff, v18
	s_cbranch_execz .LBB366_1690
; %bb.1683:                             ;   in Loop: Header=BB366_998 Depth=1
	v_lshrrev_b32_e32 v6, 24, v18
	v_bfrev_b32_e32 v5, 1
	s_mov_b32 s16, exec_lo
	s_delay_alu instid0(VALU_DEP_2)
	v_cmpx_ne_u32_e32 0x80, v6
	s_cbranch_execz .LBB366_1689
; %bb.1684:                             ;   in Loop: Header=BB366_998 Depth=1
	v_bfe_u32 v7, v18, 24, 7
	v_mov_b32_e32 v5, 0x7f800001
	s_mov_b32 s17, exec_lo
	s_delay_alu instid0(VALU_DEP_2)
	v_cmpx_ne_u32_e32 0x7f, v7
	s_cbranch_execz .LBB366_1688
; %bb.1685:                             ;   in Loop: Header=BB366_998 Depth=1
	v_dual_lshrrev_b32 v5, 3, v7 :: v_dual_bitop2_b32 v22, 7, v6 bitop3:0x40
	s_mov_b32 s18, exec_lo
	s_delay_alu instid0(VALU_DEP_1)
	v_mov_b64_e32 v[32:33], v[22:23]
	v_cmpx_gt_u32_e32 8, v7
; %bb.1686:                             ;   in Loop: Header=BB366_998 Depth=1
	v_clz_i32_u32_e32 v5, v22
	s_delay_alu instid0(VALU_DEP_1) | instskip(NEXT) | instid1(VALU_DEP_1)
	v_min_u32_e32 v5, 32, v5
	v_subrev_nc_u32_e32 v7, 28, v5
	s_delay_alu instid0(VALU_DEP_1) | instskip(NEXT) | instid1(VALU_DEP_1)
	v_lshlrev_b64_e32 v[8:9], v7, v[22:23]
	v_dual_sub_nc_u32 v5, 29, v5 :: v_dual_bitop2_b32 v32, 7, v8 bitop3:0x40
; %bb.1687:                             ;   in Loop: Header=BB366_998 Depth=1
	s_or_b32 exec_lo, exec_lo, s18
	s_delay_alu instid0(VALU_DEP_1) | instskip(NEXT) | instid1(VALU_DEP_2)
	v_dual_lshlrev_b32 v6, 24, v6 :: v_dual_lshlrev_b32 v7, 20, v32
	v_lshl_add_u32 v5, v5, 23, 0x3c000000
	s_delay_alu instid0(VALU_DEP_2) | instskip(NEXT) | instid1(VALU_DEP_1)
	v_and_b32_e32 v6, 0x80000000, v6
	v_or3_b32 v5, v7, v6, v5
.LBB366_1688:                           ;   in Loop: Header=BB366_998 Depth=1
	s_or_b32 exec_lo, exec_lo, s17
.LBB366_1689:                           ;   in Loop: Header=BB366_998 Depth=1
	s_delay_alu instid0(SALU_CYCLE_1)
	s_or_b32 exec_lo, exec_lo, s16
.LBB366_1690:                           ;   in Loop: Header=BB366_998 Depth=1
	s_delay_alu instid0(SALU_CYCLE_1) | instskip(SKIP_4) | instid1(VALU_DEP_3)
	s_or_b32 exec_lo, exec_lo, s15
	v_and_b32_e32 v8, 0xff, v19
	v_dual_mov_b32 v22, v19 :: v_dual_mov_b32 v7, 0
	v_mov_b32_e32 v6, 0
	s_mov_b32 s15, exec_lo
	v_cmpx_ne_u16_e32 0, v8
	s_cbranch_execz .LBB366_1698
; %bb.1691:                             ;   in Loop: Header=BB366_998 Depth=1
	v_bfrev_b32_e32 v6, 1
	s_mov_b32 s16, exec_lo
	v_cmpx_ne_u16_e32 0x80, v8
	s_cbranch_execz .LBB366_1697
; %bb.1692:                             ;   in Loop: Header=BB366_998 Depth=1
	v_and_b32_e32 v8, 0x7f, v19
	v_mov_b32_e32 v6, 0x7f800001
	s_mov_b32 s17, exec_lo
	s_delay_alu instid0(VALU_DEP_2)
	v_cmpx_ne_u32_e32 0x7f, v8
	s_cbranch_execz .LBB366_1696
; %bb.1693:                             ;   in Loop: Header=BB366_998 Depth=1
	v_mov_b64_e32 v[32:33], v[22:23]
	v_lshrrev_b32_e32 v6, 3, v8
	s_mov_b32 s18, exec_lo
	v_cmpx_gt_u32_e32 8, v8
; %bb.1694:                             ;   in Loop: Header=BB366_998 Depth=1
	v_and_b32_e32 v6, 7, v19
	s_delay_alu instid0(VALU_DEP_1) | instskip(NEXT) | instid1(VALU_DEP_1)
	v_clz_i32_u32_e32 v6, v6
	v_min_u32_e32 v6, 32, v6
	s_delay_alu instid0(VALU_DEP_1) | instskip(SKIP_1) | instid1(VALU_DEP_2)
	v_subrev_nc_u32_e32 v8, 28, v6
	v_sub_nc_u32_e32 v6, 29, v6
	v_lshlrev_b64_e32 v[32:33], v8, v[22:23]
; %bb.1695:                             ;   in Loop: Header=BB366_998 Depth=1
	s_or_b32 exec_lo, exec_lo, s18
	s_delay_alu instid0(VALU_DEP_1) | instskip(NEXT) | instid1(VALU_DEP_3)
	v_dual_lshlrev_b32 v8, 20, v32 :: v_dual_lshlrev_b32 v9, 24, v22
	v_lshl_add_u32 v6, v6, 23, 0x3c000000
	s_delay_alu instid0(VALU_DEP_2) | instskip(NEXT) | instid1(VALU_DEP_3)
	v_and_b32_e32 v8, 0x700000, v8
	v_and_b32_e32 v9, 0x80000000, v9
	s_delay_alu instid0(VALU_DEP_1)
	v_or3_b32 v6, v8, v9, v6
.LBB366_1696:                           ;   in Loop: Header=BB366_998 Depth=1
	s_or_b32 exec_lo, exec_lo, s17
.LBB366_1697:                           ;   in Loop: Header=BB366_998 Depth=1
	s_delay_alu instid0(SALU_CYCLE_1)
	s_or_b32 exec_lo, exec_lo, s16
.LBB366_1698:                           ;   in Loop: Header=BB366_998 Depth=1
	s_delay_alu instid0(SALU_CYCLE_1) | instskip(SKIP_2) | instid1(VALU_DEP_1)
	s_or_b32 exec_lo, exec_lo, s15
	v_lshrrev_b16 v8, 8, v22
	s_mov_b32 s15, exec_lo
	v_cmpx_ne_u16_e32 0, v8
	s_cbranch_execz .LBB366_1706
; %bb.1699:                             ;   in Loop: Header=BB366_998 Depth=1
	v_bfrev_b32_e32 v7, 1
	s_mov_b32 s16, exec_lo
	v_cmpx_ne_u16_e32 0x80, v8
	s_cbranch_execz .LBB366_1705
; %bb.1700:                             ;   in Loop: Header=BB366_998 Depth=1
	v_and_b32_e32 v9, 0xffff, v8
	v_mov_b32_e32 v7, 0x7f800001
	s_mov_b32 s17, exec_lo
	s_delay_alu instid0(VALU_DEP_2) | instskip(NEXT) | instid1(VALU_DEP_1)
	v_and_b32_e32 v8, 0x7f, v9
	v_cmpx_ne_u32_e32 0x7f, v8
	s_cbranch_execz .LBB366_1704
; %bb.1701:                             ;   in Loop: Header=BB366_998 Depth=1
	v_dual_mov_b32 v33, v23 :: v_dual_bitop2_b32 v32, 7, v9 bitop3:0x40
	v_lshrrev_b32_e32 v7, 3, v8
	s_mov_b32 s18, exec_lo
	v_cmpx_gt_u32_e32 8, v8
; %bb.1702:                             ;   in Loop: Header=BB366_998 Depth=1
	s_delay_alu instid0(VALU_DEP_3) | instskip(NEXT) | instid1(VALU_DEP_1)
	v_clz_i32_u32_e32 v7, v32
	v_min_u32_e32 v7, 32, v7
	s_delay_alu instid0(VALU_DEP_1) | instskip(NEXT) | instid1(VALU_DEP_1)
	v_subrev_nc_u32_e32 v8, 28, v7
	v_lshlrev_b64_e32 v[8:9], v8, v[32:33]
	s_delay_alu instid0(VALU_DEP_1)
	v_dual_sub_nc_u32 v7, 29, v7 :: v_dual_bitop2_b32 v32, 7, v8 bitop3:0x40
; %bb.1703:                             ;   in Loop: Header=BB366_998 Depth=1
	s_or_b32 exec_lo, exec_lo, s18
	s_delay_alu instid0(VALU_DEP_1) | instskip(NEXT) | instid1(VALU_DEP_2)
	v_dual_lshlrev_b32 v8, 16, v22 :: v_dual_lshlrev_b32 v9, 20, v32
	v_lshl_add_u32 v7, v7, 23, 0x3c000000
	s_delay_alu instid0(VALU_DEP_2) | instskip(NEXT) | instid1(VALU_DEP_1)
	v_and_b32_e32 v8, 0x80000000, v8
	v_or3_b32 v7, v9, v8, v7
.LBB366_1704:                           ;   in Loop: Header=BB366_998 Depth=1
	s_or_b32 exec_lo, exec_lo, s17
.LBB366_1705:                           ;   in Loop: Header=BB366_998 Depth=1
	s_delay_alu instid0(SALU_CYCLE_1)
	s_or_b32 exec_lo, exec_lo, s16
.LBB366_1706:                           ;   in Loop: Header=BB366_998 Depth=1
	s_delay_alu instid0(SALU_CYCLE_1) | instskip(SKIP_3) | instid1(VALU_DEP_2)
	s_or_b32 exec_lo, exec_lo, s15
	v_dual_mov_b32 v8, 0 :: v_dual_lshrrev_b32 v31, 16, v19
	v_mov_b32_e32 v9, 0
	s_mov_b32 s15, exec_lo
	v_and_b32_e32 v22, 0xff, v31
	s_delay_alu instid0(VALU_DEP_1)
	v_cmpx_ne_u16_e32 0, v22
	s_cbranch_execz .LBB366_1714
; %bb.1707:                             ;   in Loop: Header=BB366_998 Depth=1
	v_bfrev_b32_e32 v9, 1
	s_mov_b32 s16, exec_lo
	v_cmpx_ne_u16_e32 0x80, v22
	s_cbranch_execz .LBB366_1713
; %bb.1708:                             ;   in Loop: Header=BB366_998 Depth=1
	v_bfe_u32 v32, v19, 16, 7
	v_mov_b32_e32 v9, 0x7f800001
	s_mov_b32 s17, exec_lo
	s_delay_alu instid0(VALU_DEP_2)
	v_cmpx_ne_u32_e32 0x7f, v32
	s_cbranch_execz .LBB366_1712
; %bb.1709:                             ;   in Loop: Header=BB366_998 Depth=1
	v_dual_lshrrev_b32 v9, 3, v32 :: v_dual_bitop2_b32 v22, 7, v31 bitop3:0x40
	v_cmp_gt_u32_e64 s0, 8, v32
	s_delay_alu instid0(VALU_DEP_2)
	v_mov_b64_e32 v[32:33], v[22:23]
	s_and_saveexec_b32 s18, s0
; %bb.1710:                             ;   in Loop: Header=BB366_998 Depth=1
	v_clz_i32_u32_e32 v9, v22
	s_delay_alu instid0(VALU_DEP_1) | instskip(NEXT) | instid1(VALU_DEP_1)
	v_min_u32_e32 v9, 32, v9
	v_subrev_nc_u32_e32 v32, 28, v9
	s_delay_alu instid0(VALU_DEP_1) | instskip(NEXT) | instid1(VALU_DEP_1)
	v_lshlrev_b64_e32 v[32:33], v32, v[22:23]
	v_dual_sub_nc_u32 v9, 29, v9 :: v_dual_bitop2_b32 v32, 7, v32 bitop3:0x40
; %bb.1711:                             ;   in Loop: Header=BB366_998 Depth=1
	s_or_b32 exec_lo, exec_lo, s18
	s_delay_alu instid0(VALU_DEP_1) | instskip(NEXT) | instid1(VALU_DEP_2)
	v_dual_lshlrev_b32 v22, 24, v31 :: v_dual_lshlrev_b32 v31, 20, v32
	v_lshl_add_u32 v9, v9, 23, 0x3c000000
	s_delay_alu instid0(VALU_DEP_2) | instskip(NEXT) | instid1(VALU_DEP_1)
	v_and_b32_e32 v22, 0x80000000, v22
	v_or3_b32 v9, v31, v22, v9
.LBB366_1712:                           ;   in Loop: Header=BB366_998 Depth=1
	s_or_b32 exec_lo, exec_lo, s17
.LBB366_1713:                           ;   in Loop: Header=BB366_998 Depth=1
	s_delay_alu instid0(SALU_CYCLE_1)
	s_or_b32 exec_lo, exec_lo, s16
.LBB366_1714:                           ;   in Loop: Header=BB366_998 Depth=1
	s_delay_alu instid0(SALU_CYCLE_1) | instskip(NEXT) | instid1(SALU_CYCLE_1)
	s_or_b32 exec_lo, exec_lo, s15
	s_mov_b32 s15, exec_lo
	v_cmpx_lt_u64_e64 s[2:3], v[18:19]
	s_cbranch_execz .LBB366_1722
; %bb.1715:                             ;   in Loop: Header=BB366_998 Depth=1
	v_lshrrev_b32_e32 v31, 24, v19
	v_bfrev_b32_e32 v8, 1
	s_mov_b32 s16, exec_lo
	s_delay_alu instid0(VALU_DEP_2)
	v_cmpx_ne_u32_e32 0x80, v31
	s_cbranch_execz .LBB366_1721
; %bb.1716:                             ;   in Loop: Header=BB366_998 Depth=1
	v_bfe_u32 v18, v19, 24, 7
	v_mov_b32_e32 v8, 0x7f800001
	s_mov_b32 s17, exec_lo
	s_delay_alu instid0(VALU_DEP_2)
	v_cmpx_ne_u32_e32 0x7f, v18
	s_cbranch_execz .LBB366_1720
; %bb.1717:                             ;   in Loop: Header=BB366_998 Depth=1
	v_dual_lshrrev_b32 v8, 3, v18 :: v_dual_bitop2_b32 v22, 7, v31 bitop3:0x40
	v_cmp_gt_u32_e64 s0, 8, v18
	s_delay_alu instid0(VALU_DEP_2)
	v_mov_b64_e32 v[18:19], v[22:23]
	s_and_saveexec_b32 s18, s0
; %bb.1718:                             ;   in Loop: Header=BB366_998 Depth=1
	v_clz_i32_u32_e32 v8, v22
	s_delay_alu instid0(VALU_DEP_1) | instskip(NEXT) | instid1(VALU_DEP_1)
	v_min_u32_e32 v8, 32, v8
	v_subrev_nc_u32_e32 v18, 28, v8
	s_delay_alu instid0(VALU_DEP_1) | instskip(NEXT) | instid1(VALU_DEP_1)
	v_lshlrev_b64_e32 v[18:19], v18, v[22:23]
	v_dual_sub_nc_u32 v8, 29, v8 :: v_dual_bitop2_b32 v18, 7, v18 bitop3:0x40
; %bb.1719:                             ;   in Loop: Header=BB366_998 Depth=1
	s_or_b32 exec_lo, exec_lo, s18
	s_delay_alu instid0(VALU_DEP_1) | instskip(NEXT) | instid1(VALU_DEP_2)
	v_dual_lshlrev_b32 v19, 24, v31 :: v_dual_lshlrev_b32 v18, 20, v18
	v_lshl_add_u32 v8, v8, 23, 0x3c000000
	s_delay_alu instid0(VALU_DEP_2) | instskip(NEXT) | instid1(VALU_DEP_1)
	v_and_b32_e32 v19, 0x80000000, v19
	v_or3_b32 v8, v18, v19, v8
.LBB366_1720:                           ;   in Loop: Header=BB366_998 Depth=1
	s_or_b32 exec_lo, exec_lo, s17
.LBB366_1721:                           ;   in Loop: Header=BB366_998 Depth=1
	s_delay_alu instid0(SALU_CYCLE_1)
	s_or_b32 exec_lo, exec_lo, s16
.LBB366_1722:                           ;   in Loop: Header=BB366_998 Depth=1
	s_delay_alu instid0(SALU_CYCLE_1)
	s_or_b32 exec_lo, exec_lo, s15
	v_fma_mixlo_bf16 v37, v48, v7, 0
	v_fma_mixlo_bf16 v52, v48, v6, 0
	;; [unrolled: 1-line block ×8, first 2 shown]
	s_and_saveexec_b32 s15, vcc_lo
	s_cbranch_execz .LBB366_1724
; %bb.1723:                             ;   in Loop: Header=BB366_998 Depth=1
	v_cmp_lt_i32_e64 s0, v98, v34
	s_delay_alu instid0(VALU_DEP_1) | instskip(SKIP_1) | instid1(VALU_DEP_1)
	v_cndmask_b32_e64 v64, 0, v64, s0
	v_cmp_lt_i32_e64 s0, v102, v34
	v_cndmask_b32_e64 v55, 0, v55, s0
	v_cmp_lt_i32_e64 s0, v101, v34
	s_delay_alu instid0(VALU_DEP_1) | instskip(SKIP_1) | instid1(VALU_DEP_1)
	v_cndmask_b32_e64 v54, 0, v54, s0
	v_cmp_lt_i32_e64 s0, v100, v34
	v_cndmask_b32_e64 v53, 0, v53, s0
	v_cmp_lt_i32_e64 s0, v99, v34
	s_delay_alu instid0(VALU_DEP_1) | instskip(SKIP_1) | instid1(VALU_DEP_1)
	v_cndmask_b32_e64 v52, 0, v52, s0
	v_cmp_lt_i32_e64 s0, v97, v34
	v_cndmask_b32_e64 v37, 0, v37, s0
	v_cmp_lt_i32_e64 s0, v86, v34
	s_delay_alu instid0(VALU_DEP_1) | instskip(SKIP_1) | instid1(VALU_DEP_1)
	v_cndmask_b32_e64 v31, 0, v31, s0
	v_cmp_lt_i32_e64 s0, v49, v34
	v_cndmask_b32_e64 v36, 0, v36, s0
.LBB366_1724:                           ;   in Loop: Header=BB366_998 Depth=1
	s_or_b32 exec_lo, exec_lo, s15
	flat_load_b64 v[18:19], v[0:1] offset:2816
	v_dual_mov_b32 v3, 0 :: v_dual_mov_b32 v2, 0
	s_mov_b32 s15, exec_lo
	s_wait_loadcnt_dscnt 0x0
	v_and_b32_e32 v4, 0xff, v18
	s_wait_xcnt 0x0
	s_delay_alu instid0(VALU_DEP_1)
	v_cmpx_ne_u16_e32 0, v4
	s_cbranch_execz .LBB366_1732
; %bb.1725:                             ;   in Loop: Header=BB366_998 Depth=1
	v_bfrev_b32_e32 v2, 1
	s_mov_b32 s16, exec_lo
	v_cmpx_ne_u16_e32 0x80, v4
	s_cbranch_execz .LBB366_1731
; %bb.1726:                             ;   in Loop: Header=BB366_998 Depth=1
	v_and_b32_e32 v4, 0x7f, v18
	v_mov_b32_e32 v2, 0x7f800001
	s_mov_b32 s17, exec_lo
	s_delay_alu instid0(VALU_DEP_2)
	v_cmpx_ne_u32_e32 0x7f, v4
	s_cbranch_execz .LBB366_1730
; %bb.1727:                             ;   in Loop: Header=BB366_998 Depth=1
	v_mov_b64_e32 v[32:33], v[18:19]
	v_lshrrev_b32_e32 v2, 3, v4
	s_mov_b32 s18, exec_lo
	v_cmpx_gt_u32_e32 8, v4
; %bb.1728:                             ;   in Loop: Header=BB366_998 Depth=1
	v_and_b32_e32 v2, 7, v18
	s_delay_alu instid0(VALU_DEP_1) | instskip(NEXT) | instid1(VALU_DEP_1)
	v_clz_i32_u32_e32 v2, v2
	v_min_u32_e32 v2, 32, v2
	s_delay_alu instid0(VALU_DEP_1) | instskip(SKIP_1) | instid1(VALU_DEP_2)
	v_subrev_nc_u32_e32 v4, 28, v2
	v_sub_nc_u32_e32 v2, 29, v2
	v_lshlrev_b64_e32 v[32:33], v4, v[18:19]
; %bb.1729:                             ;   in Loop: Header=BB366_998 Depth=1
	s_or_b32 exec_lo, exec_lo, s18
	s_delay_alu instid0(VALU_DEP_1) | instskip(NEXT) | instid1(VALU_DEP_3)
	v_dual_lshlrev_b32 v4, 20, v32 :: v_dual_lshlrev_b32 v5, 24, v18
	v_lshl_add_u32 v2, v2, 23, 0x3c000000
	s_delay_alu instid0(VALU_DEP_2) | instskip(NEXT) | instid1(VALU_DEP_3)
	v_and_b32_e32 v4, 0x700000, v4
	v_and_b32_e32 v5, 0x80000000, v5
	s_delay_alu instid0(VALU_DEP_1)
	v_or3_b32 v2, v4, v5, v2
.LBB366_1730:                           ;   in Loop: Header=BB366_998 Depth=1
	s_or_b32 exec_lo, exec_lo, s17
.LBB366_1731:                           ;   in Loop: Header=BB366_998 Depth=1
	s_delay_alu instid0(SALU_CYCLE_1)
	s_or_b32 exec_lo, exec_lo, s16
.LBB366_1732:                           ;   in Loop: Header=BB366_998 Depth=1
	s_delay_alu instid0(SALU_CYCLE_1) | instskip(SKIP_2) | instid1(VALU_DEP_1)
	s_or_b32 exec_lo, exec_lo, s15
	v_lshrrev_b16 v4, 8, v18
	s_mov_b32 s15, exec_lo
	v_cmpx_ne_u16_e32 0, v4
	s_cbranch_execz .LBB366_1740
; %bb.1733:                             ;   in Loop: Header=BB366_998 Depth=1
	v_bfrev_b32_e32 v3, 1
	s_mov_b32 s16, exec_lo
	v_cmpx_ne_u16_e32 0x80, v4
	s_cbranch_execz .LBB366_1739
; %bb.1734:                             ;   in Loop: Header=BB366_998 Depth=1
	v_and_b32_e32 v5, 0xffff, v4
	v_mov_b32_e32 v3, 0x7f800001
	s_mov_b32 s17, exec_lo
	s_delay_alu instid0(VALU_DEP_2) | instskip(NEXT) | instid1(VALU_DEP_1)
	v_and_b32_e32 v4, 0x7f, v5
	v_cmpx_ne_u32_e32 0x7f, v4
	s_cbranch_execz .LBB366_1738
; %bb.1735:                             ;   in Loop: Header=BB366_998 Depth=1
	v_dual_lshrrev_b32 v3, 3, v4 :: v_dual_bitop2_b32 v22, 7, v5 bitop3:0x40
	s_mov_b32 s18, exec_lo
	s_delay_alu instid0(VALU_DEP_1)
	v_mov_b64_e32 v[32:33], v[22:23]
	v_cmpx_gt_u32_e32 8, v4
; %bb.1736:                             ;   in Loop: Header=BB366_998 Depth=1
	v_clz_i32_u32_e32 v3, v22
	s_delay_alu instid0(VALU_DEP_1) | instskip(NEXT) | instid1(VALU_DEP_1)
	v_min_u32_e32 v3, 32, v3
	v_subrev_nc_u32_e32 v4, 28, v3
	s_delay_alu instid0(VALU_DEP_1) | instskip(NEXT) | instid1(VALU_DEP_1)
	v_lshlrev_b64_e32 v[4:5], v4, v[22:23]
	v_dual_sub_nc_u32 v3, 29, v3 :: v_dual_bitop2_b32 v32, 7, v4 bitop3:0x40
; %bb.1737:                             ;   in Loop: Header=BB366_998 Depth=1
	s_or_b32 exec_lo, exec_lo, s18
	s_delay_alu instid0(VALU_DEP_1) | instskip(NEXT) | instid1(VALU_DEP_2)
	v_dual_lshlrev_b32 v4, 16, v18 :: v_dual_lshlrev_b32 v5, 20, v32
	v_lshl_add_u32 v3, v3, 23, 0x3c000000
	s_delay_alu instid0(VALU_DEP_2) | instskip(NEXT) | instid1(VALU_DEP_1)
	v_and_b32_e32 v4, 0x80000000, v4
	v_or3_b32 v3, v5, v4, v3
.LBB366_1738:                           ;   in Loop: Header=BB366_998 Depth=1
	s_or_b32 exec_lo, exec_lo, s17
.LBB366_1739:                           ;   in Loop: Header=BB366_998 Depth=1
	s_delay_alu instid0(SALU_CYCLE_1)
	s_or_b32 exec_lo, exec_lo, s16
.LBB366_1740:                           ;   in Loop: Header=BB366_998 Depth=1
	s_delay_alu instid0(SALU_CYCLE_1) | instskip(SKIP_3) | instid1(VALU_DEP_2)
	s_or_b32 exec_lo, exec_lo, s15
	v_dual_mov_b32 v5, 0 :: v_dual_lshrrev_b32 v6, 16, v18
	v_mov_b32_e32 v4, 0
	s_mov_b32 s15, exec_lo
	v_and_b32_e32 v7, 0xff, v6
	s_delay_alu instid0(VALU_DEP_1)
	v_cmpx_ne_u16_e32 0, v7
	s_cbranch_execz .LBB366_1748
; %bb.1741:                             ;   in Loop: Header=BB366_998 Depth=1
	v_bfrev_b32_e32 v4, 1
	s_mov_b32 s16, exec_lo
	v_cmpx_ne_u16_e32 0x80, v7
	s_cbranch_execz .LBB366_1747
; %bb.1742:                             ;   in Loop: Header=BB366_998 Depth=1
	v_bfe_u32 v7, v18, 16, 7
	v_mov_b32_e32 v4, 0x7f800001
	s_mov_b32 s17, exec_lo
	s_delay_alu instid0(VALU_DEP_2)
	v_cmpx_ne_u32_e32 0x7f, v7
	s_cbranch_execz .LBB366_1746
; %bb.1743:                             ;   in Loop: Header=BB366_998 Depth=1
	v_dual_lshrrev_b32 v4, 3, v7 :: v_dual_bitop2_b32 v22, 7, v6 bitop3:0x40
	s_mov_b32 s18, exec_lo
	s_delay_alu instid0(VALU_DEP_1)
	v_mov_b64_e32 v[32:33], v[22:23]
	v_cmpx_gt_u32_e32 8, v7
; %bb.1744:                             ;   in Loop: Header=BB366_998 Depth=1
	v_clz_i32_u32_e32 v4, v22
	s_delay_alu instid0(VALU_DEP_1) | instskip(NEXT) | instid1(VALU_DEP_1)
	v_min_u32_e32 v4, 32, v4
	v_subrev_nc_u32_e32 v7, 28, v4
	v_sub_nc_u32_e32 v4, 29, v4
	s_delay_alu instid0(VALU_DEP_2) | instskip(NEXT) | instid1(VALU_DEP_1)
	v_lshlrev_b64_e32 v[8:9], v7, v[22:23]
	v_and_b32_e32 v32, 7, v8
; %bb.1745:                             ;   in Loop: Header=BB366_998 Depth=1
	s_or_b32 exec_lo, exec_lo, s18
	s_delay_alu instid0(VALU_DEP_1) | instskip(SKIP_1) | instid1(VALU_DEP_2)
	v_dual_lshlrev_b32 v6, 24, v6 :: v_dual_lshlrev_b32 v7, 20, v32
	v_lshl_add_u32 v4, v4, 23, 0x3c000000
	v_and_b32_e32 v6, 0x80000000, v6
	s_delay_alu instid0(VALU_DEP_1)
	v_or3_b32 v4, v7, v6, v4
.LBB366_1746:                           ;   in Loop: Header=BB366_998 Depth=1
	s_or_b32 exec_lo, exec_lo, s17
.LBB366_1747:                           ;   in Loop: Header=BB366_998 Depth=1
	s_delay_alu instid0(SALU_CYCLE_1)
	s_or_b32 exec_lo, exec_lo, s16
.LBB366_1748:                           ;   in Loop: Header=BB366_998 Depth=1
	s_delay_alu instid0(SALU_CYCLE_1) | instskip(NEXT) | instid1(SALU_CYCLE_1)
	s_or_b32 exec_lo, exec_lo, s15
	s_mov_b32 s15, exec_lo
	v_cmpx_lt_u32_e32 0xffffff, v18
	s_cbranch_execz .LBB366_1756
; %bb.1749:                             ;   in Loop: Header=BB366_998 Depth=1
	v_lshrrev_b32_e32 v6, 24, v18
	v_bfrev_b32_e32 v5, 1
	s_mov_b32 s16, exec_lo
	s_delay_alu instid0(VALU_DEP_2)
	v_cmpx_ne_u32_e32 0x80, v6
	s_cbranch_execz .LBB366_1755
; %bb.1750:                             ;   in Loop: Header=BB366_998 Depth=1
	v_bfe_u32 v7, v18, 24, 7
	v_mov_b32_e32 v5, 0x7f800001
	s_mov_b32 s17, exec_lo
	s_delay_alu instid0(VALU_DEP_2)
	v_cmpx_ne_u32_e32 0x7f, v7
	s_cbranch_execz .LBB366_1754
; %bb.1751:                             ;   in Loop: Header=BB366_998 Depth=1
	v_dual_lshrrev_b32 v5, 3, v7 :: v_dual_bitop2_b32 v22, 7, v6 bitop3:0x40
	s_mov_b32 s18, exec_lo
	s_delay_alu instid0(VALU_DEP_1)
	v_mov_b64_e32 v[32:33], v[22:23]
	v_cmpx_gt_u32_e32 8, v7
; %bb.1752:                             ;   in Loop: Header=BB366_998 Depth=1
	v_clz_i32_u32_e32 v5, v22
	s_delay_alu instid0(VALU_DEP_1) | instskip(NEXT) | instid1(VALU_DEP_1)
	v_min_u32_e32 v5, 32, v5
	v_subrev_nc_u32_e32 v7, 28, v5
	s_delay_alu instid0(VALU_DEP_1) | instskip(NEXT) | instid1(VALU_DEP_1)
	v_lshlrev_b64_e32 v[8:9], v7, v[22:23]
	v_dual_sub_nc_u32 v5, 29, v5 :: v_dual_bitop2_b32 v32, 7, v8 bitop3:0x40
; %bb.1753:                             ;   in Loop: Header=BB366_998 Depth=1
	s_or_b32 exec_lo, exec_lo, s18
	s_delay_alu instid0(VALU_DEP_1) | instskip(NEXT) | instid1(VALU_DEP_2)
	v_dual_lshlrev_b32 v6, 24, v6 :: v_dual_lshlrev_b32 v7, 20, v32
	v_lshl_add_u32 v5, v5, 23, 0x3c000000
	s_delay_alu instid0(VALU_DEP_2) | instskip(NEXT) | instid1(VALU_DEP_1)
	v_and_b32_e32 v6, 0x80000000, v6
	v_or3_b32 v5, v7, v6, v5
.LBB366_1754:                           ;   in Loop: Header=BB366_998 Depth=1
	s_or_b32 exec_lo, exec_lo, s17
.LBB366_1755:                           ;   in Loop: Header=BB366_998 Depth=1
	s_delay_alu instid0(SALU_CYCLE_1)
	s_or_b32 exec_lo, exec_lo, s16
.LBB366_1756:                           ;   in Loop: Header=BB366_998 Depth=1
	s_delay_alu instid0(SALU_CYCLE_1) | instskip(SKIP_4) | instid1(VALU_DEP_3)
	s_or_b32 exec_lo, exec_lo, s15
	v_and_b32_e32 v8, 0xff, v19
	v_dual_mov_b32 v22, v19 :: v_dual_mov_b32 v7, 0
	v_mov_b32_e32 v6, 0
	s_mov_b32 s15, exec_lo
	v_cmpx_ne_u16_e32 0, v8
	s_cbranch_execz .LBB366_1764
; %bb.1757:                             ;   in Loop: Header=BB366_998 Depth=1
	v_bfrev_b32_e32 v6, 1
	s_mov_b32 s16, exec_lo
	v_cmpx_ne_u16_e32 0x80, v8
	s_cbranch_execz .LBB366_1763
; %bb.1758:                             ;   in Loop: Header=BB366_998 Depth=1
	v_and_b32_e32 v8, 0x7f, v19
	v_mov_b32_e32 v6, 0x7f800001
	s_mov_b32 s17, exec_lo
	s_delay_alu instid0(VALU_DEP_2)
	v_cmpx_ne_u32_e32 0x7f, v8
	s_cbranch_execz .LBB366_1762
; %bb.1759:                             ;   in Loop: Header=BB366_998 Depth=1
	v_mov_b64_e32 v[32:33], v[22:23]
	v_lshrrev_b32_e32 v6, 3, v8
	s_mov_b32 s18, exec_lo
	v_cmpx_gt_u32_e32 8, v8
; %bb.1760:                             ;   in Loop: Header=BB366_998 Depth=1
	v_and_b32_e32 v6, 7, v19
	s_delay_alu instid0(VALU_DEP_1) | instskip(NEXT) | instid1(VALU_DEP_1)
	v_clz_i32_u32_e32 v6, v6
	v_min_u32_e32 v6, 32, v6
	s_delay_alu instid0(VALU_DEP_1) | instskip(SKIP_1) | instid1(VALU_DEP_2)
	v_subrev_nc_u32_e32 v8, 28, v6
	v_sub_nc_u32_e32 v6, 29, v6
	v_lshlrev_b64_e32 v[32:33], v8, v[22:23]
; %bb.1761:                             ;   in Loop: Header=BB366_998 Depth=1
	s_or_b32 exec_lo, exec_lo, s18
	s_delay_alu instid0(VALU_DEP_1) | instskip(NEXT) | instid1(VALU_DEP_3)
	v_dual_lshlrev_b32 v8, 20, v32 :: v_dual_lshlrev_b32 v9, 24, v22
	v_lshl_add_u32 v6, v6, 23, 0x3c000000
	s_delay_alu instid0(VALU_DEP_2) | instskip(NEXT) | instid1(VALU_DEP_3)
	v_and_b32_e32 v8, 0x700000, v8
	v_and_b32_e32 v9, 0x80000000, v9
	s_delay_alu instid0(VALU_DEP_1)
	v_or3_b32 v6, v8, v9, v6
.LBB366_1762:                           ;   in Loop: Header=BB366_998 Depth=1
	s_or_b32 exec_lo, exec_lo, s17
.LBB366_1763:                           ;   in Loop: Header=BB366_998 Depth=1
	s_delay_alu instid0(SALU_CYCLE_1)
	s_or_b32 exec_lo, exec_lo, s16
.LBB366_1764:                           ;   in Loop: Header=BB366_998 Depth=1
	s_delay_alu instid0(SALU_CYCLE_1) | instskip(SKIP_2) | instid1(VALU_DEP_1)
	s_or_b32 exec_lo, exec_lo, s15
	v_lshrrev_b16 v8, 8, v22
	s_mov_b32 s15, exec_lo
	v_cmpx_ne_u16_e32 0, v8
	s_cbranch_execz .LBB366_1772
; %bb.1765:                             ;   in Loop: Header=BB366_998 Depth=1
	v_bfrev_b32_e32 v7, 1
	s_mov_b32 s16, exec_lo
	v_cmpx_ne_u16_e32 0x80, v8
	s_cbranch_execz .LBB366_1771
; %bb.1766:                             ;   in Loop: Header=BB366_998 Depth=1
	v_and_b32_e32 v9, 0xffff, v8
	v_mov_b32_e32 v7, 0x7f800001
	s_mov_b32 s17, exec_lo
	s_delay_alu instid0(VALU_DEP_2) | instskip(NEXT) | instid1(VALU_DEP_1)
	v_and_b32_e32 v8, 0x7f, v9
	v_cmpx_ne_u32_e32 0x7f, v8
	s_cbranch_execz .LBB366_1770
; %bb.1767:                             ;   in Loop: Header=BB366_998 Depth=1
	v_dual_mov_b32 v33, v23 :: v_dual_bitop2_b32 v32, 7, v9 bitop3:0x40
	v_lshrrev_b32_e32 v7, 3, v8
	s_mov_b32 s18, exec_lo
	v_cmpx_gt_u32_e32 8, v8
; %bb.1768:                             ;   in Loop: Header=BB366_998 Depth=1
	s_delay_alu instid0(VALU_DEP_3) | instskip(NEXT) | instid1(VALU_DEP_1)
	v_clz_i32_u32_e32 v7, v32
	v_min_u32_e32 v7, 32, v7
	s_delay_alu instid0(VALU_DEP_1) | instskip(NEXT) | instid1(VALU_DEP_1)
	v_subrev_nc_u32_e32 v8, 28, v7
	v_lshlrev_b64_e32 v[8:9], v8, v[32:33]
	s_delay_alu instid0(VALU_DEP_1)
	v_dual_sub_nc_u32 v7, 29, v7 :: v_dual_bitop2_b32 v32, 7, v8 bitop3:0x40
; %bb.1769:                             ;   in Loop: Header=BB366_998 Depth=1
	s_or_b32 exec_lo, exec_lo, s18
	s_delay_alu instid0(VALU_DEP_1) | instskip(NEXT) | instid1(VALU_DEP_2)
	v_dual_lshlrev_b32 v8, 16, v22 :: v_dual_lshlrev_b32 v9, 20, v32
	v_lshl_add_u32 v7, v7, 23, 0x3c000000
	s_delay_alu instid0(VALU_DEP_2) | instskip(NEXT) | instid1(VALU_DEP_1)
	v_and_b32_e32 v8, 0x80000000, v8
	v_or3_b32 v7, v9, v8, v7
.LBB366_1770:                           ;   in Loop: Header=BB366_998 Depth=1
	s_or_b32 exec_lo, exec_lo, s17
.LBB366_1771:                           ;   in Loop: Header=BB366_998 Depth=1
	s_delay_alu instid0(SALU_CYCLE_1)
	s_or_b32 exec_lo, exec_lo, s16
.LBB366_1772:                           ;   in Loop: Header=BB366_998 Depth=1
	s_delay_alu instid0(SALU_CYCLE_1) | instskip(SKIP_3) | instid1(VALU_DEP_2)
	s_or_b32 exec_lo, exec_lo, s15
	v_dual_mov_b32 v8, 0 :: v_dual_lshrrev_b32 v65, 16, v19
	v_mov_b32_e32 v9, 0
	s_mov_b32 s15, exec_lo
	v_and_b32_e32 v22, 0xff, v65
	s_delay_alu instid0(VALU_DEP_1)
	v_cmpx_ne_u16_e32 0, v22
	s_cbranch_execz .LBB366_1780
; %bb.1773:                             ;   in Loop: Header=BB366_998 Depth=1
	v_bfrev_b32_e32 v9, 1
	s_mov_b32 s16, exec_lo
	v_cmpx_ne_u16_e32 0x80, v22
	s_cbranch_execz .LBB366_1779
; %bb.1774:                             ;   in Loop: Header=BB366_998 Depth=1
	v_bfe_u32 v32, v19, 16, 7
	v_mov_b32_e32 v9, 0x7f800001
	s_mov_b32 s17, exec_lo
	s_delay_alu instid0(VALU_DEP_2)
	v_cmpx_ne_u32_e32 0x7f, v32
	s_cbranch_execz .LBB366_1778
; %bb.1775:                             ;   in Loop: Header=BB366_998 Depth=1
	v_dual_lshrrev_b32 v9, 3, v32 :: v_dual_bitop2_b32 v22, 7, v65 bitop3:0x40
	v_cmp_gt_u32_e64 s0, 8, v32
	s_delay_alu instid0(VALU_DEP_2)
	v_mov_b64_e32 v[32:33], v[22:23]
	s_and_saveexec_b32 s18, s0
; %bb.1776:                             ;   in Loop: Header=BB366_998 Depth=1
	v_clz_i32_u32_e32 v9, v22
	s_delay_alu instid0(VALU_DEP_1) | instskip(NEXT) | instid1(VALU_DEP_1)
	v_min_u32_e32 v9, 32, v9
	v_subrev_nc_u32_e32 v32, 28, v9
	s_delay_alu instid0(VALU_DEP_1) | instskip(NEXT) | instid1(VALU_DEP_1)
	v_lshlrev_b64_e32 v[32:33], v32, v[22:23]
	v_dual_sub_nc_u32 v9, 29, v9 :: v_dual_bitop2_b32 v32, 7, v32 bitop3:0x40
; %bb.1777:                             ;   in Loop: Header=BB366_998 Depth=1
	s_or_b32 exec_lo, exec_lo, s18
	s_delay_alu instid0(VALU_DEP_1) | instskip(NEXT) | instid1(VALU_DEP_2)
	v_dual_lshlrev_b32 v22, 24, v65 :: v_dual_lshlrev_b32 v32, 20, v32
	v_lshl_add_u32 v9, v9, 23, 0x3c000000
	s_delay_alu instid0(VALU_DEP_2) | instskip(NEXT) | instid1(VALU_DEP_1)
	v_and_b32_e32 v22, 0x80000000, v22
	v_or3_b32 v9, v32, v22, v9
.LBB366_1778:                           ;   in Loop: Header=BB366_998 Depth=1
	s_or_b32 exec_lo, exec_lo, s17
.LBB366_1779:                           ;   in Loop: Header=BB366_998 Depth=1
	s_delay_alu instid0(SALU_CYCLE_1)
	s_or_b32 exec_lo, exec_lo, s16
.LBB366_1780:                           ;   in Loop: Header=BB366_998 Depth=1
	s_delay_alu instid0(SALU_CYCLE_1) | instskip(NEXT) | instid1(SALU_CYCLE_1)
	s_or_b32 exec_lo, exec_lo, s15
	s_mov_b32 s15, exec_lo
	v_cmpx_lt_u64_e64 s[2:3], v[18:19]
	s_cbranch_execz .LBB366_1788
; %bb.1781:                             ;   in Loop: Header=BB366_998 Depth=1
	v_lshrrev_b32_e32 v32, 24, v19
	v_bfrev_b32_e32 v8, 1
	s_mov_b32 s16, exec_lo
	s_delay_alu instid0(VALU_DEP_2)
	v_cmpx_ne_u32_e32 0x80, v32
	s_cbranch_execz .LBB366_1787
; %bb.1782:                             ;   in Loop: Header=BB366_998 Depth=1
	v_bfe_u32 v18, v19, 24, 7
	v_mov_b32_e32 v8, 0x7f800001
	s_mov_b32 s17, exec_lo
	s_delay_alu instid0(VALU_DEP_2)
	v_cmpx_ne_u32_e32 0x7f, v18
	s_cbranch_execz .LBB366_1786
; %bb.1783:                             ;   in Loop: Header=BB366_998 Depth=1
	v_dual_lshrrev_b32 v8, 3, v18 :: v_dual_bitop2_b32 v22, 7, v32 bitop3:0x40
	v_cmp_gt_u32_e64 s0, 8, v18
	s_delay_alu instid0(VALU_DEP_2)
	v_mov_b64_e32 v[18:19], v[22:23]
	s_and_saveexec_b32 s18, s0
; %bb.1784:                             ;   in Loop: Header=BB366_998 Depth=1
	v_clz_i32_u32_e32 v8, v22
	s_delay_alu instid0(VALU_DEP_1) | instskip(NEXT) | instid1(VALU_DEP_1)
	v_min_u32_e32 v8, 32, v8
	v_subrev_nc_u32_e32 v18, 28, v8
	s_delay_alu instid0(VALU_DEP_1) | instskip(NEXT) | instid1(VALU_DEP_1)
	v_lshlrev_b64_e32 v[18:19], v18, v[22:23]
	v_dual_sub_nc_u32 v8, 29, v8 :: v_dual_bitop2_b32 v18, 7, v18 bitop3:0x40
; %bb.1785:                             ;   in Loop: Header=BB366_998 Depth=1
	s_or_b32 exec_lo, exec_lo, s18
	s_delay_alu instid0(VALU_DEP_1) | instskip(NEXT) | instid1(VALU_DEP_2)
	v_dual_lshlrev_b32 v19, 24, v32 :: v_dual_lshlrev_b32 v18, 20, v18
	v_lshl_add_u32 v8, v8, 23, 0x3c000000
	s_delay_alu instid0(VALU_DEP_2) | instskip(NEXT) | instid1(VALU_DEP_1)
	v_and_b32_e32 v19, 0x80000000, v19
	v_or3_b32 v8, v18, v19, v8
.LBB366_1786:                           ;   in Loop: Header=BB366_998 Depth=1
	s_or_b32 exec_lo, exec_lo, s17
.LBB366_1787:                           ;   in Loop: Header=BB366_998 Depth=1
	s_delay_alu instid0(SALU_CYCLE_1)
	s_or_b32 exec_lo, exec_lo, s16
.LBB366_1788:                           ;   in Loop: Header=BB366_998 Depth=1
	s_delay_alu instid0(SALU_CYCLE_1)
	s_or_b32 exec_lo, exec_lo, s15
	v_fma_mixlo_bf16 v65, v48, v7, 0
	v_fma_mixlo_bf16 v66, v48, v6, 0
	;; [unrolled: 1-line block ×8, first 2 shown]
	s_and_saveexec_b32 s15, vcc_lo
	s_cbranch_execz .LBB366_1790
; %bb.1789:                             ;   in Loop: Header=BB366_998 Depth=1
	v_cmp_lt_i32_e64 s0, v98, v34
	s_delay_alu instid0(VALU_DEP_1) | instskip(SKIP_1) | instid1(VALU_DEP_1)
	v_cndmask_b32_e64 v80, 0, v80, s0
	v_cmp_lt_i32_e64 s0, v102, v34
	v_cndmask_b32_e64 v71, 0, v71, s0
	v_cmp_lt_i32_e64 s0, v101, v34
	s_delay_alu instid0(VALU_DEP_1) | instskip(SKIP_1) | instid1(VALU_DEP_1)
	v_cndmask_b32_e64 v70, 0, v70, s0
	v_cmp_lt_i32_e64 s0, v100, v34
	v_cndmask_b32_e64 v69, 0, v69, s0
	;; [unrolled: 5-line block ×4, first 2 shown]
.LBB366_1790:                           ;   in Loop: Header=BB366_998 Depth=1
	s_or_b32 exec_lo, exec_lo, s15
	flat_load_b64 v[18:19], v[0:1] offset:3072
	v_dual_mov_b32 v3, 0 :: v_dual_mov_b32 v2, 0
	s_mov_b32 s15, exec_lo
	s_wait_loadcnt_dscnt 0x0
	v_and_b32_e32 v4, 0xff, v18
	s_wait_xcnt 0x0
	s_delay_alu instid0(VALU_DEP_1)
	v_cmpx_ne_u16_e32 0, v4
	s_cbranch_execz .LBB366_1798
; %bb.1791:                             ;   in Loop: Header=BB366_998 Depth=1
	v_bfrev_b32_e32 v2, 1
	s_mov_b32 s16, exec_lo
	v_cmpx_ne_u16_e32 0x80, v4
	s_cbranch_execz .LBB366_1797
; %bb.1792:                             ;   in Loop: Header=BB366_998 Depth=1
	v_and_b32_e32 v4, 0x7f, v18
	v_mov_b32_e32 v2, 0x7f800001
	s_mov_b32 s17, exec_lo
	s_delay_alu instid0(VALU_DEP_2)
	v_cmpx_ne_u32_e32 0x7f, v4
	s_cbranch_execz .LBB366_1796
; %bb.1793:                             ;   in Loop: Header=BB366_998 Depth=1
	v_mov_b64_e32 v[32:33], v[18:19]
	v_lshrrev_b32_e32 v2, 3, v4
	s_mov_b32 s18, exec_lo
	v_cmpx_gt_u32_e32 8, v4
; %bb.1794:                             ;   in Loop: Header=BB366_998 Depth=1
	v_and_b32_e32 v2, 7, v18
	s_delay_alu instid0(VALU_DEP_1) | instskip(NEXT) | instid1(VALU_DEP_1)
	v_clz_i32_u32_e32 v2, v2
	v_min_u32_e32 v2, 32, v2
	s_delay_alu instid0(VALU_DEP_1) | instskip(SKIP_1) | instid1(VALU_DEP_2)
	v_subrev_nc_u32_e32 v4, 28, v2
	v_sub_nc_u32_e32 v2, 29, v2
	v_lshlrev_b64_e32 v[32:33], v4, v[18:19]
; %bb.1795:                             ;   in Loop: Header=BB366_998 Depth=1
	s_or_b32 exec_lo, exec_lo, s18
	s_delay_alu instid0(VALU_DEP_1) | instskip(NEXT) | instid1(VALU_DEP_3)
	v_dual_lshlrev_b32 v4, 20, v32 :: v_dual_lshlrev_b32 v5, 24, v18
	v_lshl_add_u32 v2, v2, 23, 0x3c000000
	s_delay_alu instid0(VALU_DEP_2) | instskip(NEXT) | instid1(VALU_DEP_3)
	v_and_b32_e32 v4, 0x700000, v4
	v_and_b32_e32 v5, 0x80000000, v5
	s_delay_alu instid0(VALU_DEP_1)
	v_or3_b32 v2, v4, v5, v2
.LBB366_1796:                           ;   in Loop: Header=BB366_998 Depth=1
	s_or_b32 exec_lo, exec_lo, s17
.LBB366_1797:                           ;   in Loop: Header=BB366_998 Depth=1
	s_delay_alu instid0(SALU_CYCLE_1)
	s_or_b32 exec_lo, exec_lo, s16
.LBB366_1798:                           ;   in Loop: Header=BB366_998 Depth=1
	s_delay_alu instid0(SALU_CYCLE_1) | instskip(SKIP_2) | instid1(VALU_DEP_1)
	s_or_b32 exec_lo, exec_lo, s15
	v_lshrrev_b16 v4, 8, v18
	s_mov_b32 s15, exec_lo
	v_cmpx_ne_u16_e32 0, v4
	s_cbranch_execz .LBB366_1806
; %bb.1799:                             ;   in Loop: Header=BB366_998 Depth=1
	v_bfrev_b32_e32 v3, 1
	s_mov_b32 s16, exec_lo
	v_cmpx_ne_u16_e32 0x80, v4
	s_cbranch_execz .LBB366_1805
; %bb.1800:                             ;   in Loop: Header=BB366_998 Depth=1
	v_and_b32_e32 v5, 0xffff, v4
	v_mov_b32_e32 v3, 0x7f800001
	s_mov_b32 s17, exec_lo
	s_delay_alu instid0(VALU_DEP_2) | instskip(NEXT) | instid1(VALU_DEP_1)
	v_and_b32_e32 v4, 0x7f, v5
	v_cmpx_ne_u32_e32 0x7f, v4
	s_cbranch_execz .LBB366_1804
; %bb.1801:                             ;   in Loop: Header=BB366_998 Depth=1
	v_dual_lshrrev_b32 v3, 3, v4 :: v_dual_bitop2_b32 v22, 7, v5 bitop3:0x40
	s_mov_b32 s18, exec_lo
	s_delay_alu instid0(VALU_DEP_1)
	v_mov_b64_e32 v[32:33], v[22:23]
	v_cmpx_gt_u32_e32 8, v4
; %bb.1802:                             ;   in Loop: Header=BB366_998 Depth=1
	v_clz_i32_u32_e32 v3, v22
	s_delay_alu instid0(VALU_DEP_1) | instskip(NEXT) | instid1(VALU_DEP_1)
	v_min_u32_e32 v3, 32, v3
	v_subrev_nc_u32_e32 v4, 28, v3
	s_delay_alu instid0(VALU_DEP_1) | instskip(NEXT) | instid1(VALU_DEP_1)
	v_lshlrev_b64_e32 v[4:5], v4, v[22:23]
	v_dual_sub_nc_u32 v3, 29, v3 :: v_dual_bitop2_b32 v32, 7, v4 bitop3:0x40
; %bb.1803:                             ;   in Loop: Header=BB366_998 Depth=1
	s_or_b32 exec_lo, exec_lo, s18
	s_delay_alu instid0(VALU_DEP_1) | instskip(NEXT) | instid1(VALU_DEP_2)
	v_dual_lshlrev_b32 v4, 16, v18 :: v_dual_lshlrev_b32 v5, 20, v32
	v_lshl_add_u32 v3, v3, 23, 0x3c000000
	s_delay_alu instid0(VALU_DEP_2) | instskip(NEXT) | instid1(VALU_DEP_1)
	v_and_b32_e32 v4, 0x80000000, v4
	v_or3_b32 v3, v5, v4, v3
.LBB366_1804:                           ;   in Loop: Header=BB366_998 Depth=1
	s_or_b32 exec_lo, exec_lo, s17
.LBB366_1805:                           ;   in Loop: Header=BB366_998 Depth=1
	s_delay_alu instid0(SALU_CYCLE_1)
	s_or_b32 exec_lo, exec_lo, s16
.LBB366_1806:                           ;   in Loop: Header=BB366_998 Depth=1
	s_delay_alu instid0(SALU_CYCLE_1) | instskip(SKIP_3) | instid1(VALU_DEP_2)
	s_or_b32 exec_lo, exec_lo, s15
	v_dual_mov_b32 v5, 0 :: v_dual_lshrrev_b32 v6, 16, v18
	v_mov_b32_e32 v4, 0
	s_mov_b32 s15, exec_lo
	v_and_b32_e32 v7, 0xff, v6
	s_delay_alu instid0(VALU_DEP_1)
	v_cmpx_ne_u16_e32 0, v7
	s_cbranch_execz .LBB366_1814
; %bb.1807:                             ;   in Loop: Header=BB366_998 Depth=1
	v_bfrev_b32_e32 v4, 1
	s_mov_b32 s16, exec_lo
	v_cmpx_ne_u16_e32 0x80, v7
	s_cbranch_execz .LBB366_1813
; %bb.1808:                             ;   in Loop: Header=BB366_998 Depth=1
	v_bfe_u32 v7, v18, 16, 7
	v_mov_b32_e32 v4, 0x7f800001
	s_mov_b32 s17, exec_lo
	s_delay_alu instid0(VALU_DEP_2)
	v_cmpx_ne_u32_e32 0x7f, v7
	s_cbranch_execz .LBB366_1812
; %bb.1809:                             ;   in Loop: Header=BB366_998 Depth=1
	v_dual_lshrrev_b32 v4, 3, v7 :: v_dual_bitop2_b32 v22, 7, v6 bitop3:0x40
	s_mov_b32 s18, exec_lo
	s_delay_alu instid0(VALU_DEP_1)
	v_mov_b64_e32 v[32:33], v[22:23]
	v_cmpx_gt_u32_e32 8, v7
; %bb.1810:                             ;   in Loop: Header=BB366_998 Depth=1
	v_clz_i32_u32_e32 v4, v22
	s_delay_alu instid0(VALU_DEP_1) | instskip(NEXT) | instid1(VALU_DEP_1)
	v_min_u32_e32 v4, 32, v4
	v_subrev_nc_u32_e32 v7, 28, v4
	v_sub_nc_u32_e32 v4, 29, v4
	s_delay_alu instid0(VALU_DEP_2) | instskip(NEXT) | instid1(VALU_DEP_1)
	v_lshlrev_b64_e32 v[8:9], v7, v[22:23]
	v_and_b32_e32 v32, 7, v8
; %bb.1811:                             ;   in Loop: Header=BB366_998 Depth=1
	s_or_b32 exec_lo, exec_lo, s18
	s_delay_alu instid0(VALU_DEP_1) | instskip(SKIP_1) | instid1(VALU_DEP_2)
	v_dual_lshlrev_b32 v6, 24, v6 :: v_dual_lshlrev_b32 v7, 20, v32
	v_lshl_add_u32 v4, v4, 23, 0x3c000000
	v_and_b32_e32 v6, 0x80000000, v6
	s_delay_alu instid0(VALU_DEP_1)
	v_or3_b32 v4, v7, v6, v4
.LBB366_1812:                           ;   in Loop: Header=BB366_998 Depth=1
	s_or_b32 exec_lo, exec_lo, s17
.LBB366_1813:                           ;   in Loop: Header=BB366_998 Depth=1
	s_delay_alu instid0(SALU_CYCLE_1)
	s_or_b32 exec_lo, exec_lo, s16
.LBB366_1814:                           ;   in Loop: Header=BB366_998 Depth=1
	s_delay_alu instid0(SALU_CYCLE_1) | instskip(NEXT) | instid1(SALU_CYCLE_1)
	s_or_b32 exec_lo, exec_lo, s15
	s_mov_b32 s15, exec_lo
	v_cmpx_lt_u32_e32 0xffffff, v18
	s_cbranch_execz .LBB366_1822
; %bb.1815:                             ;   in Loop: Header=BB366_998 Depth=1
	v_lshrrev_b32_e32 v6, 24, v18
	v_bfrev_b32_e32 v5, 1
	s_mov_b32 s16, exec_lo
	s_delay_alu instid0(VALU_DEP_2)
	v_cmpx_ne_u32_e32 0x80, v6
	s_cbranch_execz .LBB366_1821
; %bb.1816:                             ;   in Loop: Header=BB366_998 Depth=1
	v_bfe_u32 v7, v18, 24, 7
	v_mov_b32_e32 v5, 0x7f800001
	s_mov_b32 s17, exec_lo
	s_delay_alu instid0(VALU_DEP_2)
	v_cmpx_ne_u32_e32 0x7f, v7
	s_cbranch_execz .LBB366_1820
; %bb.1817:                             ;   in Loop: Header=BB366_998 Depth=1
	v_dual_lshrrev_b32 v5, 3, v7 :: v_dual_bitop2_b32 v22, 7, v6 bitop3:0x40
	s_mov_b32 s18, exec_lo
	s_delay_alu instid0(VALU_DEP_1)
	v_mov_b64_e32 v[32:33], v[22:23]
	v_cmpx_gt_u32_e32 8, v7
; %bb.1818:                             ;   in Loop: Header=BB366_998 Depth=1
	v_clz_i32_u32_e32 v5, v22
	s_delay_alu instid0(VALU_DEP_1) | instskip(NEXT) | instid1(VALU_DEP_1)
	v_min_u32_e32 v5, 32, v5
	v_subrev_nc_u32_e32 v7, 28, v5
	s_delay_alu instid0(VALU_DEP_1) | instskip(NEXT) | instid1(VALU_DEP_1)
	v_lshlrev_b64_e32 v[8:9], v7, v[22:23]
	v_dual_sub_nc_u32 v5, 29, v5 :: v_dual_bitop2_b32 v32, 7, v8 bitop3:0x40
; %bb.1819:                             ;   in Loop: Header=BB366_998 Depth=1
	s_or_b32 exec_lo, exec_lo, s18
	s_delay_alu instid0(VALU_DEP_1) | instskip(NEXT) | instid1(VALU_DEP_2)
	v_dual_lshlrev_b32 v6, 24, v6 :: v_dual_lshlrev_b32 v7, 20, v32
	v_lshl_add_u32 v5, v5, 23, 0x3c000000
	s_delay_alu instid0(VALU_DEP_2) | instskip(NEXT) | instid1(VALU_DEP_1)
	v_and_b32_e32 v6, 0x80000000, v6
	v_or3_b32 v5, v7, v6, v5
.LBB366_1820:                           ;   in Loop: Header=BB366_998 Depth=1
	s_or_b32 exec_lo, exec_lo, s17
.LBB366_1821:                           ;   in Loop: Header=BB366_998 Depth=1
	s_delay_alu instid0(SALU_CYCLE_1)
	s_or_b32 exec_lo, exec_lo, s16
.LBB366_1822:                           ;   in Loop: Header=BB366_998 Depth=1
	s_delay_alu instid0(SALU_CYCLE_1) | instskip(SKIP_4) | instid1(VALU_DEP_3)
	s_or_b32 exec_lo, exec_lo, s15
	v_and_b32_e32 v8, 0xff, v19
	v_dual_mov_b32 v22, v19 :: v_dual_mov_b32 v7, 0
	v_mov_b32_e32 v6, 0
	s_mov_b32 s15, exec_lo
	v_cmpx_ne_u16_e32 0, v8
	s_cbranch_execz .LBB366_1830
; %bb.1823:                             ;   in Loop: Header=BB366_998 Depth=1
	v_bfrev_b32_e32 v6, 1
	s_mov_b32 s16, exec_lo
	v_cmpx_ne_u16_e32 0x80, v8
	s_cbranch_execz .LBB366_1829
; %bb.1824:                             ;   in Loop: Header=BB366_998 Depth=1
	v_and_b32_e32 v8, 0x7f, v19
	v_mov_b32_e32 v6, 0x7f800001
	s_mov_b32 s17, exec_lo
	s_delay_alu instid0(VALU_DEP_2)
	v_cmpx_ne_u32_e32 0x7f, v8
	s_cbranch_execz .LBB366_1828
; %bb.1825:                             ;   in Loop: Header=BB366_998 Depth=1
	v_mov_b64_e32 v[32:33], v[22:23]
	v_lshrrev_b32_e32 v6, 3, v8
	s_mov_b32 s18, exec_lo
	v_cmpx_gt_u32_e32 8, v8
; %bb.1826:                             ;   in Loop: Header=BB366_998 Depth=1
	v_and_b32_e32 v6, 7, v19
	s_delay_alu instid0(VALU_DEP_1) | instskip(NEXT) | instid1(VALU_DEP_1)
	v_clz_i32_u32_e32 v6, v6
	v_min_u32_e32 v6, 32, v6
	s_delay_alu instid0(VALU_DEP_1) | instskip(SKIP_1) | instid1(VALU_DEP_2)
	v_subrev_nc_u32_e32 v8, 28, v6
	v_sub_nc_u32_e32 v6, 29, v6
	v_lshlrev_b64_e32 v[32:33], v8, v[22:23]
; %bb.1827:                             ;   in Loop: Header=BB366_998 Depth=1
	s_or_b32 exec_lo, exec_lo, s18
	s_delay_alu instid0(VALU_DEP_1) | instskip(NEXT) | instid1(VALU_DEP_3)
	v_dual_lshlrev_b32 v8, 20, v32 :: v_dual_lshlrev_b32 v9, 24, v22
	v_lshl_add_u32 v6, v6, 23, 0x3c000000
	s_delay_alu instid0(VALU_DEP_2) | instskip(NEXT) | instid1(VALU_DEP_3)
	v_and_b32_e32 v8, 0x700000, v8
	v_and_b32_e32 v9, 0x80000000, v9
	s_delay_alu instid0(VALU_DEP_1)
	v_or3_b32 v6, v8, v9, v6
.LBB366_1828:                           ;   in Loop: Header=BB366_998 Depth=1
	s_or_b32 exec_lo, exec_lo, s17
.LBB366_1829:                           ;   in Loop: Header=BB366_998 Depth=1
	s_delay_alu instid0(SALU_CYCLE_1)
	s_or_b32 exec_lo, exec_lo, s16
.LBB366_1830:                           ;   in Loop: Header=BB366_998 Depth=1
	s_delay_alu instid0(SALU_CYCLE_1) | instskip(SKIP_2) | instid1(VALU_DEP_1)
	s_or_b32 exec_lo, exec_lo, s15
	v_lshrrev_b16 v8, 8, v22
	s_mov_b32 s15, exec_lo
	v_cmpx_ne_u16_e32 0, v8
	s_cbranch_execz .LBB366_1838
; %bb.1831:                             ;   in Loop: Header=BB366_998 Depth=1
	v_bfrev_b32_e32 v7, 1
	s_mov_b32 s16, exec_lo
	v_cmpx_ne_u16_e32 0x80, v8
	s_cbranch_execz .LBB366_1837
; %bb.1832:                             ;   in Loop: Header=BB366_998 Depth=1
	v_and_b32_e32 v9, 0xffff, v8
	v_mov_b32_e32 v7, 0x7f800001
	s_mov_b32 s17, exec_lo
	s_delay_alu instid0(VALU_DEP_2) | instskip(NEXT) | instid1(VALU_DEP_1)
	v_and_b32_e32 v8, 0x7f, v9
	v_cmpx_ne_u32_e32 0x7f, v8
	s_cbranch_execz .LBB366_1836
; %bb.1833:                             ;   in Loop: Header=BB366_998 Depth=1
	v_dual_mov_b32 v33, v23 :: v_dual_bitop2_b32 v32, 7, v9 bitop3:0x40
	v_lshrrev_b32_e32 v7, 3, v8
	s_mov_b32 s18, exec_lo
	v_cmpx_gt_u32_e32 8, v8
; %bb.1834:                             ;   in Loop: Header=BB366_998 Depth=1
	s_delay_alu instid0(VALU_DEP_3) | instskip(NEXT) | instid1(VALU_DEP_1)
	v_clz_i32_u32_e32 v7, v32
	v_min_u32_e32 v7, 32, v7
	s_delay_alu instid0(VALU_DEP_1) | instskip(NEXT) | instid1(VALU_DEP_1)
	v_subrev_nc_u32_e32 v8, 28, v7
	v_lshlrev_b64_e32 v[8:9], v8, v[32:33]
	s_delay_alu instid0(VALU_DEP_1)
	v_dual_sub_nc_u32 v7, 29, v7 :: v_dual_bitop2_b32 v32, 7, v8 bitop3:0x40
; %bb.1835:                             ;   in Loop: Header=BB366_998 Depth=1
	s_or_b32 exec_lo, exec_lo, s18
	s_delay_alu instid0(VALU_DEP_1) | instskip(NEXT) | instid1(VALU_DEP_2)
	v_dual_lshlrev_b32 v8, 16, v22 :: v_dual_lshlrev_b32 v9, 20, v32
	v_lshl_add_u32 v7, v7, 23, 0x3c000000
	s_delay_alu instid0(VALU_DEP_2) | instskip(NEXT) | instid1(VALU_DEP_1)
	v_and_b32_e32 v8, 0x80000000, v8
	v_or3_b32 v7, v9, v8, v7
.LBB366_1836:                           ;   in Loop: Header=BB366_998 Depth=1
	s_or_b32 exec_lo, exec_lo, s17
.LBB366_1837:                           ;   in Loop: Header=BB366_998 Depth=1
	s_delay_alu instid0(SALU_CYCLE_1)
	s_or_b32 exec_lo, exec_lo, s16
.LBB366_1838:                           ;   in Loop: Header=BB366_998 Depth=1
	s_delay_alu instid0(SALU_CYCLE_1) | instskip(SKIP_3) | instid1(VALU_DEP_2)
	s_or_b32 exec_lo, exec_lo, s15
	v_dual_mov_b32 v81, 0 :: v_dual_lshrrev_b32 v8, 16, v19
	v_mov_b32_e32 v32, 0
	s_mov_b32 s15, exec_lo
	v_and_b32_e32 v9, 0xff, v8
	s_delay_alu instid0(VALU_DEP_1)
	v_cmpx_ne_u16_e32 0, v9
	s_cbranch_execz .LBB366_1846
; %bb.1839:                             ;   in Loop: Header=BB366_998 Depth=1
	v_bfrev_b32_e32 v32, 1
	s_mov_b32 s16, exec_lo
	v_cmpx_ne_u16_e32 0x80, v9
	s_cbranch_execz .LBB366_1845
; %bb.1840:                             ;   in Loop: Header=BB366_998 Depth=1
	v_bfe_u32 v33, v19, 16, 7
	v_mov_b32_e32 v32, 0x7f800001
	s_mov_b32 s17, exec_lo
	s_delay_alu instid0(VALU_DEP_2)
	v_cmpx_ne_u32_e32 0x7f, v33
	s_cbranch_execz .LBB366_1844
; %bb.1841:                             ;   in Loop: Header=BB366_998 Depth=1
	v_dual_lshrrev_b32 v9, 3, v33 :: v_dual_bitop2_b32 v22, 7, v8 bitop3:0x40
	v_cmp_gt_u32_e64 s0, 8, v33
	s_delay_alu instid0(VALU_DEP_2)
	v_mov_b64_e32 v[32:33], v[22:23]
	s_and_saveexec_b32 s18, s0
; %bb.1842:                             ;   in Loop: Header=BB366_998 Depth=1
	v_clz_i32_u32_e32 v9, v22
	s_delay_alu instid0(VALU_DEP_1) | instskip(NEXT) | instid1(VALU_DEP_1)
	v_min_u32_e32 v9, 32, v9
	v_subrev_nc_u32_e32 v32, 28, v9
	s_delay_alu instid0(VALU_DEP_1) | instskip(NEXT) | instid1(VALU_DEP_1)
	v_lshlrev_b64_e32 v[32:33], v32, v[22:23]
	v_dual_sub_nc_u32 v9, 29, v9 :: v_dual_bitop2_b32 v32, 7, v32 bitop3:0x40
; %bb.1843:                             ;   in Loop: Header=BB366_998 Depth=1
	s_or_b32 exec_lo, exec_lo, s18
	v_lshlrev_b32_e32 v8, 24, v8
	s_delay_alu instid0(VALU_DEP_2) | instskip(NEXT) | instid1(VALU_DEP_3)
	v_lshlrev_b32_e32 v22, 20, v32
	v_lshl_add_u32 v9, v9, 23, 0x3c000000
	s_delay_alu instid0(VALU_DEP_3) | instskip(NEXT) | instid1(VALU_DEP_1)
	v_and_b32_e32 v8, 0x80000000, v8
	v_or3_b32 v32, v22, v8, v9
.LBB366_1844:                           ;   in Loop: Header=BB366_998 Depth=1
	s_or_b32 exec_lo, exec_lo, s17
.LBB366_1845:                           ;   in Loop: Header=BB366_998 Depth=1
	s_delay_alu instid0(SALU_CYCLE_1)
	s_or_b32 exec_lo, exec_lo, s16
.LBB366_1846:                           ;   in Loop: Header=BB366_998 Depth=1
	s_delay_alu instid0(SALU_CYCLE_1) | instskip(NEXT) | instid1(SALU_CYCLE_1)
	s_or_b32 exec_lo, exec_lo, s15
	s_mov_b32 s15, exec_lo
	v_cmpx_lt_u64_e64 s[2:3], v[18:19]
	s_cbranch_execz .LBB366_1854
; %bb.1847:                             ;   in Loop: Header=BB366_998 Depth=1
	v_lshrrev_b32_e32 v8, 24, v19
	v_bfrev_b32_e32 v81, 1
	s_mov_b32 s16, exec_lo
	s_delay_alu instid0(VALU_DEP_2)
	v_cmpx_ne_u32_e32 0x80, v8
	s_cbranch_execz .LBB366_1853
; %bb.1848:                             ;   in Loop: Header=BB366_998 Depth=1
	v_bfe_u32 v18, v19, 24, 7
	v_mov_b32_e32 v81, 0x7f800001
	s_mov_b32 s17, exec_lo
	s_delay_alu instid0(VALU_DEP_2)
	v_cmpx_ne_u32_e32 0x7f, v18
	s_cbranch_execz .LBB366_1852
; %bb.1849:                             ;   in Loop: Header=BB366_998 Depth=1
	v_dual_lshrrev_b32 v9, 3, v18 :: v_dual_bitop2_b32 v22, 7, v8 bitop3:0x40
	v_cmp_gt_u32_e64 s0, 8, v18
	s_delay_alu instid0(VALU_DEP_2)
	v_mov_b64_e32 v[18:19], v[22:23]
	s_and_saveexec_b32 s18, s0
; %bb.1850:                             ;   in Loop: Header=BB366_998 Depth=1
	v_clz_i32_u32_e32 v9, v22
	s_delay_alu instid0(VALU_DEP_1) | instskip(NEXT) | instid1(VALU_DEP_1)
	v_min_u32_e32 v9, 32, v9
	v_subrev_nc_u32_e32 v18, 28, v9
	s_delay_alu instid0(VALU_DEP_1) | instskip(NEXT) | instid1(VALU_DEP_1)
	v_lshlrev_b64_e32 v[18:19], v18, v[22:23]
	v_dual_sub_nc_u32 v9, 29, v9 :: v_dual_bitop2_b32 v18, 7, v18 bitop3:0x40
; %bb.1851:                             ;   in Loop: Header=BB366_998 Depth=1
	s_or_b32 exec_lo, exec_lo, s18
	s_delay_alu instid0(VALU_DEP_1) | instskip(NEXT) | instid1(VALU_DEP_2)
	v_dual_lshlrev_b32 v8, 24, v8 :: v_dual_lshlrev_b32 v18, 20, v18
	v_lshl_add_u32 v9, v9, 23, 0x3c000000
	s_delay_alu instid0(VALU_DEP_2) | instskip(NEXT) | instid1(VALU_DEP_1)
	v_and_b32_e32 v8, 0x80000000, v8
	v_or3_b32 v81, v18, v8, v9
.LBB366_1852:                           ;   in Loop: Header=BB366_998 Depth=1
	s_or_b32 exec_lo, exec_lo, s17
.LBB366_1853:                           ;   in Loop: Header=BB366_998 Depth=1
	s_delay_alu instid0(SALU_CYCLE_1)
	s_or_b32 exec_lo, exec_lo, s16
.LBB366_1854:                           ;   in Loop: Header=BB366_998 Depth=1
	s_delay_alu instid0(SALU_CYCLE_1)
	s_or_b32 exec_lo, exec_lo, s15
	v_fma_mixlo_bf16 v82, v48, v7, 0
	v_fma_mixlo_bf16 v83, v48, v6, 0
	;; [unrolled: 1-line block ×8, first 2 shown]
	s_and_saveexec_b32 s15, vcc_lo
	s_cbranch_execz .LBB366_1856
; %bb.1855:                             ;   in Loop: Header=BB366_998 Depth=1
	v_cmp_lt_i32_e64 s0, v98, v34
	s_delay_alu instid0(VALU_DEP_1) | instskip(SKIP_1) | instid1(VALU_DEP_1)
	v_cndmask_b32_e64 v85, 0, v85, s0
	v_cmp_lt_i32_e64 s0, v102, v34
	v_cndmask_b32_e64 v84, 0, v84, s0
	v_cmp_lt_i32_e64 s0, v101, v34
	s_delay_alu instid0(VALU_DEP_1) | instskip(SKIP_1) | instid1(VALU_DEP_1)
	v_cndmask_b32_e64 v9, 0, v9, s0
	v_cmp_lt_i32_e64 s0, v100, v34
	v_cndmask_b32_e64 v8, 0, v8, s0
	;; [unrolled: 5-line block ×4, first 2 shown]
.LBB366_1856:                           ;   in Loop: Header=BB366_998 Depth=1
	s_or_b32 exec_lo, exec_lo, s15
	flat_load_b64 v[18:19], v[0:1] offset:3328
	v_dual_mov_b32 v3, 0 :: v_dual_mov_b32 v2, 0
	s_mov_b32 s15, exec_lo
	s_wait_loadcnt_dscnt 0x0
	v_and_b32_e32 v6, 0xff, v18
	s_wait_xcnt 0x0
	s_delay_alu instid0(VALU_DEP_1)
	v_cmpx_ne_u16_e32 0, v6
	s_cbranch_execz .LBB366_1864
; %bb.1857:                             ;   in Loop: Header=BB366_998 Depth=1
	v_bfrev_b32_e32 v2, 1
	s_mov_b32 s16, exec_lo
	v_cmpx_ne_u16_e32 0x80, v6
	s_cbranch_execz .LBB366_1863
; %bb.1858:                             ;   in Loop: Header=BB366_998 Depth=1
	v_and_b32_e32 v6, 0x7f, v18
	v_mov_b32_e32 v2, 0x7f800001
	s_mov_b32 s17, exec_lo
	s_delay_alu instid0(VALU_DEP_2)
	v_cmpx_ne_u32_e32 0x7f, v6
	s_cbranch_execz .LBB366_1862
; %bb.1859:                             ;   in Loop: Header=BB366_998 Depth=1
	v_mov_b64_e32 v[32:33], v[18:19]
	v_lshrrev_b32_e32 v2, 3, v6
	s_mov_b32 s18, exec_lo
	v_cmpx_gt_u32_e32 8, v6
; %bb.1860:                             ;   in Loop: Header=BB366_998 Depth=1
	v_and_b32_e32 v2, 7, v18
	s_delay_alu instid0(VALU_DEP_1) | instskip(NEXT) | instid1(VALU_DEP_1)
	v_clz_i32_u32_e32 v2, v2
	v_min_u32_e32 v2, 32, v2
	s_delay_alu instid0(VALU_DEP_1) | instskip(SKIP_1) | instid1(VALU_DEP_2)
	v_subrev_nc_u32_e32 v6, 28, v2
	v_sub_nc_u32_e32 v2, 29, v2
	v_lshlrev_b64_e32 v[32:33], v6, v[18:19]
; %bb.1861:                             ;   in Loop: Header=BB366_998 Depth=1
	s_or_b32 exec_lo, exec_lo, s18
	s_delay_alu instid0(VALU_DEP_1) | instskip(NEXT) | instid1(VALU_DEP_3)
	v_dual_lshlrev_b32 v6, 20, v32 :: v_dual_lshlrev_b32 v7, 24, v18
	v_lshl_add_u32 v2, v2, 23, 0x3c000000
	s_delay_alu instid0(VALU_DEP_2) | instskip(NEXT) | instid1(VALU_DEP_3)
	v_and_b32_e32 v6, 0x700000, v6
	v_and_b32_e32 v7, 0x80000000, v7
	s_delay_alu instid0(VALU_DEP_1)
	v_or3_b32 v2, v6, v7, v2
.LBB366_1862:                           ;   in Loop: Header=BB366_998 Depth=1
	s_or_b32 exec_lo, exec_lo, s17
.LBB366_1863:                           ;   in Loop: Header=BB366_998 Depth=1
	s_delay_alu instid0(SALU_CYCLE_1)
	s_or_b32 exec_lo, exec_lo, s16
.LBB366_1864:                           ;   in Loop: Header=BB366_998 Depth=1
	s_delay_alu instid0(SALU_CYCLE_1) | instskip(SKIP_2) | instid1(VALU_DEP_1)
	s_or_b32 exec_lo, exec_lo, s15
	v_lshrrev_b16 v6, 8, v18
	s_mov_b32 s15, exec_lo
	v_cmpx_ne_u16_e32 0, v6
	s_cbranch_execz .LBB366_1872
; %bb.1865:                             ;   in Loop: Header=BB366_998 Depth=1
	v_bfrev_b32_e32 v3, 1
	s_mov_b32 s16, exec_lo
	v_cmpx_ne_u16_e32 0x80, v6
	s_cbranch_execz .LBB366_1871
; %bb.1866:                             ;   in Loop: Header=BB366_998 Depth=1
	v_and_b32_e32 v7, 0xffff, v6
	v_mov_b32_e32 v3, 0x7f800001
	s_mov_b32 s17, exec_lo
	s_delay_alu instid0(VALU_DEP_2) | instskip(NEXT) | instid1(VALU_DEP_1)
	v_and_b32_e32 v6, 0x7f, v7
	v_cmpx_ne_u32_e32 0x7f, v6
	s_cbranch_execz .LBB366_1870
; %bb.1867:                             ;   in Loop: Header=BB366_998 Depth=1
	v_dual_lshrrev_b32 v3, 3, v6 :: v_dual_bitop2_b32 v22, 7, v7 bitop3:0x40
	s_mov_b32 s18, exec_lo
	s_delay_alu instid0(VALU_DEP_1)
	v_mov_b64_e32 v[32:33], v[22:23]
	v_cmpx_gt_u32_e32 8, v6
; %bb.1868:                             ;   in Loop: Header=BB366_998 Depth=1
	v_clz_i32_u32_e32 v3, v22
	s_delay_alu instid0(VALU_DEP_1) | instskip(NEXT) | instid1(VALU_DEP_1)
	v_min_u32_e32 v3, 32, v3
	v_subrev_nc_u32_e32 v6, 28, v3
	s_delay_alu instid0(VALU_DEP_1) | instskip(NEXT) | instid1(VALU_DEP_1)
	v_lshlrev_b64_e32 v[6:7], v6, v[22:23]
	v_dual_sub_nc_u32 v3, 29, v3 :: v_dual_bitop2_b32 v32, 7, v6 bitop3:0x40
; %bb.1869:                             ;   in Loop: Header=BB366_998 Depth=1
	s_or_b32 exec_lo, exec_lo, s18
	s_delay_alu instid0(VALU_DEP_1) | instskip(NEXT) | instid1(VALU_DEP_2)
	v_dual_lshlrev_b32 v6, 16, v18 :: v_dual_lshlrev_b32 v7, 20, v32
	v_lshl_add_u32 v3, v3, 23, 0x3c000000
	s_delay_alu instid0(VALU_DEP_2) | instskip(NEXT) | instid1(VALU_DEP_1)
	v_and_b32_e32 v6, 0x80000000, v6
	v_or3_b32 v3, v7, v6, v3
.LBB366_1870:                           ;   in Loop: Header=BB366_998 Depth=1
	s_or_b32 exec_lo, exec_lo, s17
.LBB366_1871:                           ;   in Loop: Header=BB366_998 Depth=1
	s_delay_alu instid0(SALU_CYCLE_1)
	s_or_b32 exec_lo, exec_lo, s16
.LBB366_1872:                           ;   in Loop: Header=BB366_998 Depth=1
	s_delay_alu instid0(SALU_CYCLE_1) | instskip(SKIP_3) | instid1(VALU_DEP_2)
	s_or_b32 exec_lo, exec_lo, s15
	v_dual_lshrrev_b32 v81, 16, v18 :: v_dual_mov_b32 v7, 0
	v_mov_b32_e32 v6, 0
	s_mov_b32 s15, exec_lo
	v_and_b32_e32 v22, 0xff, v81
	s_delay_alu instid0(VALU_DEP_1)
	v_cmpx_ne_u16_e32 0, v22
	s_cbranch_execz .LBB366_1880
; %bb.1873:                             ;   in Loop: Header=BB366_998 Depth=1
	v_bfrev_b32_e32 v6, 1
	s_mov_b32 s16, exec_lo
	v_cmpx_ne_u16_e32 0x80, v22
	s_cbranch_execz .LBB366_1879
; %bb.1874:                             ;   in Loop: Header=BB366_998 Depth=1
	v_bfe_u32 v32, v18, 16, 7
	v_mov_b32_e32 v6, 0x7f800001
	s_mov_b32 s17, exec_lo
	s_delay_alu instid0(VALU_DEP_2)
	v_cmpx_ne_u32_e32 0x7f, v32
	s_cbranch_execz .LBB366_1878
; %bb.1875:                             ;   in Loop: Header=BB366_998 Depth=1
	v_dual_lshrrev_b32 v6, 3, v32 :: v_dual_bitop2_b32 v22, 7, v81 bitop3:0x40
	v_cmp_gt_u32_e64 s0, 8, v32
	s_delay_alu instid0(VALU_DEP_2)
	v_mov_b64_e32 v[32:33], v[22:23]
	s_and_saveexec_b32 s18, s0
; %bb.1876:                             ;   in Loop: Header=BB366_998 Depth=1
	v_clz_i32_u32_e32 v6, v22
	s_delay_alu instid0(VALU_DEP_1) | instskip(NEXT) | instid1(VALU_DEP_1)
	v_min_u32_e32 v6, 32, v6
	v_subrev_nc_u32_e32 v32, 28, v6
	s_delay_alu instid0(VALU_DEP_1) | instskip(NEXT) | instid1(VALU_DEP_1)
	v_lshlrev_b64_e32 v[32:33], v32, v[22:23]
	v_dual_sub_nc_u32 v6, 29, v6 :: v_dual_bitop2_b32 v32, 7, v32 bitop3:0x40
; %bb.1877:                             ;   in Loop: Header=BB366_998 Depth=1
	s_or_b32 exec_lo, exec_lo, s18
	s_delay_alu instid0(VALU_DEP_1) | instskip(NEXT) | instid1(VALU_DEP_2)
	v_dual_lshlrev_b32 v22, 24, v81 :: v_dual_lshlrev_b32 v32, 20, v32
	v_lshl_add_u32 v6, v6, 23, 0x3c000000
	s_delay_alu instid0(VALU_DEP_2) | instskip(NEXT) | instid1(VALU_DEP_1)
	v_and_b32_e32 v22, 0x80000000, v22
	v_or3_b32 v6, v32, v22, v6
.LBB366_1878:                           ;   in Loop: Header=BB366_998 Depth=1
	s_or_b32 exec_lo, exec_lo, s17
.LBB366_1879:                           ;   in Loop: Header=BB366_998 Depth=1
	s_delay_alu instid0(SALU_CYCLE_1)
	s_or_b32 exec_lo, exec_lo, s16
.LBB366_1880:                           ;   in Loop: Header=BB366_998 Depth=1
	s_delay_alu instid0(SALU_CYCLE_1) | instskip(NEXT) | instid1(SALU_CYCLE_1)
	s_or_b32 exec_lo, exec_lo, s15
	s_mov_b32 s15, exec_lo
	v_cmpx_lt_u32_e32 0xffffff, v18
	s_cbranch_execz .LBB366_1888
; %bb.1881:                             ;   in Loop: Header=BB366_998 Depth=1
	v_lshrrev_b32_e32 v81, 24, v18
	v_bfrev_b32_e32 v7, 1
	s_mov_b32 s16, exec_lo
	s_delay_alu instid0(VALU_DEP_2)
	v_cmpx_ne_u32_e32 0x80, v81
	s_cbranch_execz .LBB366_1887
; %bb.1882:                             ;   in Loop: Header=BB366_998 Depth=1
	v_bfe_u32 v32, v18, 24, 7
	v_mov_b32_e32 v7, 0x7f800001
	s_mov_b32 s17, exec_lo
	s_delay_alu instid0(VALU_DEP_2)
	v_cmpx_ne_u32_e32 0x7f, v32
	s_cbranch_execz .LBB366_1886
; %bb.1883:                             ;   in Loop: Header=BB366_998 Depth=1
	v_dual_lshrrev_b32 v7, 3, v32 :: v_dual_bitop2_b32 v22, 7, v81 bitop3:0x40
	v_cmp_gt_u32_e64 s0, 8, v32
	s_delay_alu instid0(VALU_DEP_2)
	v_mov_b64_e32 v[32:33], v[22:23]
	s_and_saveexec_b32 s18, s0
; %bb.1884:                             ;   in Loop: Header=BB366_998 Depth=1
	v_clz_i32_u32_e32 v7, v22
	s_delay_alu instid0(VALU_DEP_1) | instskip(NEXT) | instid1(VALU_DEP_1)
	v_min_u32_e32 v7, 32, v7
	v_subrev_nc_u32_e32 v32, 28, v7
	s_delay_alu instid0(VALU_DEP_1) | instskip(NEXT) | instid1(VALU_DEP_1)
	v_lshlrev_b64_e32 v[32:33], v32, v[22:23]
	v_dual_sub_nc_u32 v7, 29, v7 :: v_dual_bitop2_b32 v32, 7, v32 bitop3:0x40
; %bb.1885:                             ;   in Loop: Header=BB366_998 Depth=1
	s_or_b32 exec_lo, exec_lo, s18
	s_delay_alu instid0(VALU_DEP_1) | instskip(NEXT) | instid1(VALU_DEP_2)
	v_dual_lshlrev_b32 v22, 24, v81 :: v_dual_lshlrev_b32 v32, 20, v32
	v_lshl_add_u32 v7, v7, 23, 0x3c000000
	s_delay_alu instid0(VALU_DEP_2) | instskip(NEXT) | instid1(VALU_DEP_1)
	v_and_b32_e32 v22, 0x80000000, v22
	v_or3_b32 v7, v32, v22, v7
.LBB366_1886:                           ;   in Loop: Header=BB366_998 Depth=1
	s_or_b32 exec_lo, exec_lo, s17
.LBB366_1887:                           ;   in Loop: Header=BB366_998 Depth=1
	s_delay_alu instid0(SALU_CYCLE_1)
	s_or_b32 exec_lo, exec_lo, s16
.LBB366_1888:                           ;   in Loop: Header=BB366_998 Depth=1
	s_delay_alu instid0(SALU_CYCLE_1) | instskip(SKIP_4) | instid1(VALU_DEP_3)
	s_or_b32 exec_lo, exec_lo, s15
	v_and_b32_e32 v32, 0xff, v19
	v_dual_mov_b32 v22, v19 :: v_dual_mov_b32 v87, 0
	v_mov_b32_e32 v81, 0
	s_mov_b32 s15, exec_lo
	v_cmpx_ne_u16_e32 0, v32
	s_cbranch_execz .LBB366_1896
; %bb.1889:                             ;   in Loop: Header=BB366_998 Depth=1
	v_bfrev_b32_e32 v81, 1
	s_mov_b32 s16, exec_lo
	v_cmpx_ne_u16_e32 0x80, v32
	s_cbranch_execz .LBB366_1895
; %bb.1890:                             ;   in Loop: Header=BB366_998 Depth=1
	v_and_b32_e32 v32, 0x7f, v19
	v_mov_b32_e32 v81, 0x7f800001
	s_mov_b32 s17, exec_lo
	s_delay_alu instid0(VALU_DEP_2)
	v_cmpx_ne_u32_e32 0x7f, v32
	s_cbranch_execz .LBB366_1894
; %bb.1891:                             ;   in Loop: Header=BB366_998 Depth=1
	v_lshrrev_b32_e32 v81, 3, v32
	v_cmp_gt_u32_e64 s0, 8, v32
	v_mov_b64_e32 v[32:33], v[22:23]
	s_and_saveexec_b32 s18, s0
; %bb.1892:                             ;   in Loop: Header=BB366_998 Depth=1
	v_and_b32_e32 v32, 7, v19
	s_delay_alu instid0(VALU_DEP_1) | instskip(NEXT) | instid1(VALU_DEP_1)
	v_clz_i32_u32_e32 v32, v32
	v_min_u32_e32 v81, 32, v32
	s_delay_alu instid0(VALU_DEP_1) | instskip(SKIP_1) | instid1(VALU_DEP_2)
	v_subrev_nc_u32_e32 v32, 28, v81
	v_sub_nc_u32_e32 v81, 29, v81
	v_lshlrev_b64_e32 v[32:33], v32, v[22:23]
; %bb.1893:                             ;   in Loop: Header=BB366_998 Depth=1
	s_or_b32 exec_lo, exec_lo, s18
	s_delay_alu instid0(VALU_DEP_1) | instskip(NEXT) | instid1(VALU_DEP_3)
	v_dual_lshlrev_b32 v32, 20, v32 :: v_dual_lshlrev_b32 v33, 24, v22
	v_lshl_add_u32 v81, v81, 23, 0x3c000000
	s_delay_alu instid0(VALU_DEP_2) | instskip(NEXT) | instid1(VALU_DEP_3)
	v_and_b32_e32 v32, 0x700000, v32
	v_and_b32_e32 v33, 0x80000000, v33
	s_delay_alu instid0(VALU_DEP_1)
	v_or3_b32 v81, v32, v33, v81
.LBB366_1894:                           ;   in Loop: Header=BB366_998 Depth=1
	s_or_b32 exec_lo, exec_lo, s17
.LBB366_1895:                           ;   in Loop: Header=BB366_998 Depth=1
	s_delay_alu instid0(SALU_CYCLE_1)
	s_or_b32 exec_lo, exec_lo, s16
.LBB366_1896:                           ;   in Loop: Header=BB366_998 Depth=1
	s_delay_alu instid0(SALU_CYCLE_1) | instskip(SKIP_2) | instid1(VALU_DEP_1)
	s_or_b32 exec_lo, exec_lo, s15
	v_lshrrev_b16 v32, 8, v22
	s_mov_b32 s15, exec_lo
	v_cmpx_ne_u16_e32 0, v32
	s_cbranch_execz .LBB366_1904
; %bb.1897:                             ;   in Loop: Header=BB366_998 Depth=1
	v_bfrev_b32_e32 v87, 1
	s_mov_b32 s16, exec_lo
	v_cmpx_ne_u16_e32 0x80, v32
	s_cbranch_execz .LBB366_1903
; %bb.1898:                             ;   in Loop: Header=BB366_998 Depth=1
	v_and_b32_e32 v32, 0xffff, v32
	v_mov_b32_e32 v87, 0x7f800001
	s_mov_b32 s17, exec_lo
	s_delay_alu instid0(VALU_DEP_2) | instskip(NEXT) | instid1(VALU_DEP_1)
	v_and_b32_e32 v96, 0x7f, v32
	v_cmpx_ne_u32_e32 0x7f, v96
	s_cbranch_execz .LBB366_1902
; %bb.1899:                             ;   in Loop: Header=BB366_998 Depth=1
	v_dual_mov_b32 v33, v23 :: v_dual_bitop2_b32 v32, 7, v32 bitop3:0x40
	v_lshrrev_b32_e32 v87, 3, v96
	s_mov_b32 s18, exec_lo
	v_cmpx_gt_u32_e32 8, v96
; %bb.1900:                             ;   in Loop: Header=BB366_998 Depth=1
	s_delay_alu instid0(VALU_DEP_3) | instskip(NEXT) | instid1(VALU_DEP_1)
	v_clz_i32_u32_e32 v87, v32
	v_min_u32_e32 v87, 32, v87
	s_delay_alu instid0(VALU_DEP_1) | instskip(NEXT) | instid1(VALU_DEP_1)
	v_subrev_nc_u32_e32 v96, 28, v87
	v_lshlrev_b64_e32 v[32:33], v96, v[32:33]
	s_delay_alu instid0(VALU_DEP_1)
	v_dual_sub_nc_u32 v87, 29, v87 :: v_dual_bitop2_b32 v32, 7, v32 bitop3:0x40
; %bb.1901:                             ;   in Loop: Header=BB366_998 Depth=1
	s_or_b32 exec_lo, exec_lo, s18
	s_delay_alu instid0(VALU_DEP_1) | instskip(NEXT) | instid1(VALU_DEP_2)
	v_dual_lshlrev_b32 v22, 16, v22 :: v_dual_lshlrev_b32 v32, 20, v32
	v_lshl_add_u32 v33, v87, 23, 0x3c000000
	s_delay_alu instid0(VALU_DEP_2) | instskip(NEXT) | instid1(VALU_DEP_1)
	v_and_b32_e32 v22, 0x80000000, v22
	v_or3_b32 v87, v32, v22, v33
.LBB366_1902:                           ;   in Loop: Header=BB366_998 Depth=1
	s_or_b32 exec_lo, exec_lo, s17
.LBB366_1903:                           ;   in Loop: Header=BB366_998 Depth=1
	s_delay_alu instid0(SALU_CYCLE_1)
	s_or_b32 exec_lo, exec_lo, s16
.LBB366_1904:                           ;   in Loop: Header=BB366_998 Depth=1
	s_delay_alu instid0(SALU_CYCLE_1) | instskip(SKIP_3) | instid1(VALU_DEP_2)
	s_or_b32 exec_lo, exec_lo, s15
	v_dual_lshrrev_b32 v96, 16, v19 :: v_dual_mov_b32 v112, 0
	v_mov_b32_e32 v32, 0
	s_mov_b32 s15, exec_lo
	v_and_b32_e32 v22, 0xff, v96
	s_delay_alu instid0(VALU_DEP_1)
	v_cmpx_ne_u16_e32 0, v22
	s_cbranch_execz .LBB366_1912
; %bb.1905:                             ;   in Loop: Header=BB366_998 Depth=1
	v_bfrev_b32_e32 v32, 1
	s_mov_b32 s16, exec_lo
	v_cmpx_ne_u16_e32 0x80, v22
	s_cbranch_execz .LBB366_1911
; %bb.1906:                             ;   in Loop: Header=BB366_998 Depth=1
	v_bfe_u32 v33, v19, 16, 7
	v_mov_b32_e32 v32, 0x7f800001
	s_mov_b32 s17, exec_lo
	s_delay_alu instid0(VALU_DEP_2)
	v_cmpx_ne_u32_e32 0x7f, v33
	s_cbranch_execz .LBB366_1910
; %bb.1907:                             ;   in Loop: Header=BB366_998 Depth=1
	v_dual_lshrrev_b32 v103, 3, v33 :: v_dual_bitop2_b32 v22, 7, v96 bitop3:0x40
	v_cmp_gt_u32_e64 s0, 8, v33
	s_delay_alu instid0(VALU_DEP_2)
	v_mov_b64_e32 v[32:33], v[22:23]
	s_and_saveexec_b32 s18, s0
; %bb.1908:                             ;   in Loop: Header=BB366_998 Depth=1
	v_clz_i32_u32_e32 v32, v22
	s_delay_alu instid0(VALU_DEP_1) | instskip(NEXT) | instid1(VALU_DEP_1)
	v_min_u32_e32 v103, 32, v32
	v_subrev_nc_u32_e32 v32, 28, v103
	s_delay_alu instid0(VALU_DEP_1) | instskip(NEXT) | instid1(VALU_DEP_1)
	v_lshlrev_b64_e32 v[32:33], v32, v[22:23]
	v_dual_sub_nc_u32 v103, 29, v103 :: v_dual_bitop2_b32 v32, 7, v32 bitop3:0x40
; %bb.1909:                             ;   in Loop: Header=BB366_998 Depth=1
	s_or_b32 exec_lo, exec_lo, s18
	v_lshlrev_b32_e32 v22, 24, v96
	s_delay_alu instid0(VALU_DEP_2) | instskip(NEXT) | instid1(VALU_DEP_3)
	v_lshlrev_b32_e32 v32, 20, v32
	v_lshl_add_u32 v33, v103, 23, 0x3c000000
	s_delay_alu instid0(VALU_DEP_3) | instskip(NEXT) | instid1(VALU_DEP_1)
	v_and_b32_e32 v22, 0x80000000, v22
	v_or3_b32 v32, v32, v22, v33
.LBB366_1910:                           ;   in Loop: Header=BB366_998 Depth=1
	s_or_b32 exec_lo, exec_lo, s17
.LBB366_1911:                           ;   in Loop: Header=BB366_998 Depth=1
	s_delay_alu instid0(SALU_CYCLE_1)
	s_or_b32 exec_lo, exec_lo, s16
.LBB366_1912:                           ;   in Loop: Header=BB366_998 Depth=1
	s_delay_alu instid0(SALU_CYCLE_1) | instskip(NEXT) | instid1(SALU_CYCLE_1)
	s_or_b32 exec_lo, exec_lo, s15
	s_mov_b32 s15, exec_lo
	v_cmpx_lt_u64_e64 s[2:3], v[18:19]
	s_cbranch_execz .LBB366_1920
; %bb.1913:                             ;   in Loop: Header=BB366_998 Depth=1
	v_lshrrev_b32_e32 v33, 24, v19
	v_bfrev_b32_e32 v112, 1
	s_mov_b32 s16, exec_lo
	s_delay_alu instid0(VALU_DEP_2)
	v_cmpx_ne_u32_e32 0x80, v33
	s_cbranch_execz .LBB366_1919
; %bb.1914:                             ;   in Loop: Header=BB366_998 Depth=1
	v_bfe_u32 v18, v19, 24, 7
	v_mov_b32_e32 v112, 0x7f800001
	s_mov_b32 s17, exec_lo
	s_delay_alu instid0(VALU_DEP_2)
	v_cmpx_ne_u32_e32 0x7f, v18
	s_cbranch_execz .LBB366_1918
; %bb.1915:                             ;   in Loop: Header=BB366_998 Depth=1
	v_dual_lshrrev_b32 v96, 3, v18 :: v_dual_bitop2_b32 v22, 7, v33 bitop3:0x40
	v_cmp_gt_u32_e64 s0, 8, v18
	s_delay_alu instid0(VALU_DEP_2)
	v_mov_b64_e32 v[18:19], v[22:23]
	s_and_saveexec_b32 s18, s0
; %bb.1916:                             ;   in Loop: Header=BB366_998 Depth=1
	v_clz_i32_u32_e32 v18, v22
	s_delay_alu instid0(VALU_DEP_1) | instskip(NEXT) | instid1(VALU_DEP_1)
	v_min_u32_e32 v96, 32, v18
	v_subrev_nc_u32_e32 v18, 28, v96
	s_delay_alu instid0(VALU_DEP_1) | instskip(NEXT) | instid1(VALU_DEP_1)
	v_lshlrev_b64_e32 v[18:19], v18, v[22:23]
	v_dual_sub_nc_u32 v96, 29, v96 :: v_dual_bitop2_b32 v18, 7, v18 bitop3:0x40
; %bb.1917:                             ;   in Loop: Header=BB366_998 Depth=1
	s_or_b32 exec_lo, exec_lo, s18
	s_delay_alu instid0(VALU_DEP_1) | instskip(NEXT) | instid1(VALU_DEP_2)
	v_dual_lshlrev_b32 v19, 24, v33 :: v_dual_lshlrev_b32 v18, 20, v18
	v_lshl_add_u32 v22, v96, 23, 0x3c000000
	s_delay_alu instid0(VALU_DEP_2) | instskip(NEXT) | instid1(VALU_DEP_1)
	v_and_b32_e32 v19, 0x80000000, v19
	v_or3_b32 v112, v18, v19, v22
.LBB366_1918:                           ;   in Loop: Header=BB366_998 Depth=1
	s_or_b32 exec_lo, exec_lo, s17
.LBB366_1919:                           ;   in Loop: Header=BB366_998 Depth=1
	s_delay_alu instid0(SALU_CYCLE_1)
	s_or_b32 exec_lo, exec_lo, s16
.LBB366_1920:                           ;   in Loop: Header=BB366_998 Depth=1
	s_delay_alu instid0(SALU_CYCLE_1)
	s_or_b32 exec_lo, exec_lo, s15
	v_fma_mixlo_bf16 v87, v48, v87, 0
	v_fma_mixlo_bf16 v96, v48, v81, 0
	;; [unrolled: 1-line block ×8, first 2 shown]
	s_and_saveexec_b32 s15, vcc_lo
	s_cbranch_execz .LBB366_1922
; %bb.1921:                             ;   in Loop: Header=BB366_998 Depth=1
	v_cmp_lt_i32_e64 s0, v98, v34
	s_delay_alu instid0(VALU_DEP_1) | instskip(SKIP_1) | instid1(VALU_DEP_1)
	v_cndmask_b32_e64 v116, 0, v116, s0
	v_cmp_lt_i32_e64 s0, v102, v34
	v_cndmask_b32_e64 v115, 0, v115, s0
	v_cmp_lt_i32_e64 s0, v101, v34
	s_delay_alu instid0(VALU_DEP_1) | instskip(SKIP_1) | instid1(VALU_DEP_1)
	v_cndmask_b32_e64 v114, 0, v114, s0
	v_cmp_lt_i32_e64 s0, v100, v34
	v_cndmask_b32_e64 v113, 0, v113, s0
	;; [unrolled: 5-line block ×4, first 2 shown]
.LBB366_1922:                           ;   in Loop: Header=BB366_998 Depth=1
	s_or_b32 exec_lo, exec_lo, s15
	flat_load_b64 v[0:1], v[0:1] offset:3584
	v_dual_mov_b32 v3, 0 :: v_dual_mov_b32 v2, 0
	s_mov_b32 s15, exec_lo
	s_wait_loadcnt_dscnt 0x0
	v_and_b32_e32 v6, 0xff, v0
	s_wait_xcnt 0x0
	s_delay_alu instid0(VALU_DEP_1)
	v_cmpx_ne_u16_e32 0, v6
	s_cbranch_execz .LBB366_1930
; %bb.1923:                             ;   in Loop: Header=BB366_998 Depth=1
	v_bfrev_b32_e32 v2, 1
	s_mov_b32 s16, exec_lo
	v_cmpx_ne_u16_e32 0x80, v6
	s_cbranch_execz .LBB366_1929
; %bb.1924:                             ;   in Loop: Header=BB366_998 Depth=1
	v_and_b32_e32 v6, 0x7f, v0
	v_mov_b32_e32 v2, 0x7f800001
	s_mov_b32 s17, exec_lo
	s_delay_alu instid0(VALU_DEP_2)
	v_cmpx_ne_u32_e32 0x7f, v6
	s_cbranch_execz .LBB366_1928
; %bb.1925:                             ;   in Loop: Header=BB366_998 Depth=1
	v_mov_b64_e32 v[18:19], v[0:1]
	v_lshrrev_b32_e32 v2, 3, v6
	s_mov_b32 s18, exec_lo
	v_cmpx_gt_u32_e32 8, v6
; %bb.1926:                             ;   in Loop: Header=BB366_998 Depth=1
	v_and_b32_e32 v2, 7, v0
	s_delay_alu instid0(VALU_DEP_1) | instskip(NEXT) | instid1(VALU_DEP_1)
	v_clz_i32_u32_e32 v2, v2
	v_min_u32_e32 v2, 32, v2
	s_delay_alu instid0(VALU_DEP_1) | instskip(SKIP_1) | instid1(VALU_DEP_2)
	v_subrev_nc_u32_e32 v6, 28, v2
	v_sub_nc_u32_e32 v2, 29, v2
	v_lshlrev_b64_e32 v[18:19], v6, v[0:1]
; %bb.1927:                             ;   in Loop: Header=BB366_998 Depth=1
	s_or_b32 exec_lo, exec_lo, s18
	s_delay_alu instid0(VALU_DEP_1) | instskip(NEXT) | instid1(VALU_DEP_3)
	v_dual_lshlrev_b32 v6, 20, v18 :: v_dual_lshlrev_b32 v7, 24, v0
	v_lshl_add_u32 v2, v2, 23, 0x3c000000
	s_delay_alu instid0(VALU_DEP_2) | instskip(NEXT) | instid1(VALU_DEP_3)
	v_and_b32_e32 v6, 0x700000, v6
	v_and_b32_e32 v7, 0x80000000, v7
	s_delay_alu instid0(VALU_DEP_1)
	v_or3_b32 v2, v6, v7, v2
.LBB366_1928:                           ;   in Loop: Header=BB366_998 Depth=1
	s_or_b32 exec_lo, exec_lo, s17
.LBB366_1929:                           ;   in Loop: Header=BB366_998 Depth=1
	s_delay_alu instid0(SALU_CYCLE_1)
	s_or_b32 exec_lo, exec_lo, s16
.LBB366_1930:                           ;   in Loop: Header=BB366_998 Depth=1
	s_delay_alu instid0(SALU_CYCLE_1) | instskip(SKIP_2) | instid1(VALU_DEP_1)
	s_or_b32 exec_lo, exec_lo, s15
	v_lshrrev_b16 v6, 8, v0
	s_mov_b32 s15, exec_lo
	v_cmpx_ne_u16_e32 0, v6
	s_cbranch_execz .LBB366_1938
; %bb.1931:                             ;   in Loop: Header=BB366_998 Depth=1
	v_bfrev_b32_e32 v3, 1
	s_mov_b32 s16, exec_lo
	v_cmpx_ne_u16_e32 0x80, v6
	s_cbranch_execz .LBB366_1937
; %bb.1932:                             ;   in Loop: Header=BB366_998 Depth=1
	v_and_b32_e32 v7, 0xffff, v6
	v_mov_b32_e32 v3, 0x7f800001
	s_mov_b32 s17, exec_lo
	s_delay_alu instid0(VALU_DEP_2) | instskip(NEXT) | instid1(VALU_DEP_1)
	v_and_b32_e32 v6, 0x7f, v7
	v_cmpx_ne_u32_e32 0x7f, v6
	s_cbranch_execz .LBB366_1936
; %bb.1933:                             ;   in Loop: Header=BB366_998 Depth=1
	v_dual_lshrrev_b32 v3, 3, v6 :: v_dual_bitop2_b32 v22, 7, v7 bitop3:0x40
	s_mov_b32 s18, exec_lo
	s_delay_alu instid0(VALU_DEP_1)
	v_mov_b64_e32 v[18:19], v[22:23]
	v_cmpx_gt_u32_e32 8, v6
; %bb.1934:                             ;   in Loop: Header=BB366_998 Depth=1
	v_clz_i32_u32_e32 v3, v22
	s_delay_alu instid0(VALU_DEP_1) | instskip(NEXT) | instid1(VALU_DEP_1)
	v_min_u32_e32 v3, 32, v3
	v_subrev_nc_u32_e32 v6, 28, v3
	s_delay_alu instid0(VALU_DEP_1) | instskip(NEXT) | instid1(VALU_DEP_1)
	v_lshlrev_b64_e32 v[6:7], v6, v[22:23]
	v_dual_sub_nc_u32 v3, 29, v3 :: v_dual_bitop2_b32 v18, 7, v6 bitop3:0x40
; %bb.1935:                             ;   in Loop: Header=BB366_998 Depth=1
	s_or_b32 exec_lo, exec_lo, s18
	s_delay_alu instid0(VALU_DEP_1) | instskip(NEXT) | instid1(VALU_DEP_2)
	v_dual_lshlrev_b32 v6, 16, v0 :: v_dual_lshlrev_b32 v7, 20, v18
	v_lshl_add_u32 v3, v3, 23, 0x3c000000
	s_delay_alu instid0(VALU_DEP_2) | instskip(NEXT) | instid1(VALU_DEP_1)
	v_and_b32_e32 v6, 0x80000000, v6
	v_or3_b32 v3, v7, v6, v3
.LBB366_1936:                           ;   in Loop: Header=BB366_998 Depth=1
	s_or_b32 exec_lo, exec_lo, s17
.LBB366_1937:                           ;   in Loop: Header=BB366_998 Depth=1
	s_delay_alu instid0(SALU_CYCLE_1)
	s_or_b32 exec_lo, exec_lo, s16
.LBB366_1938:                           ;   in Loop: Header=BB366_998 Depth=1
	s_delay_alu instid0(SALU_CYCLE_1) | instskip(SKIP_3) | instid1(VALU_DEP_2)
	s_or_b32 exec_lo, exec_lo, s15
	v_dual_mov_b32 v7, 0 :: v_dual_lshrrev_b32 v32, 16, v0
	v_mov_b32_e32 v6, 0
	s_mov_b32 s15, exec_lo
	v_and_b32_e32 v18, 0xff, v32
	s_delay_alu instid0(VALU_DEP_1)
	v_cmpx_ne_u16_e32 0, v18
	s_cbranch_execz .LBB366_1946
; %bb.1939:                             ;   in Loop: Header=BB366_998 Depth=1
	v_bfrev_b32_e32 v6, 1
	s_mov_b32 s16, exec_lo
	v_cmpx_ne_u16_e32 0x80, v18
	s_cbranch_execz .LBB366_1945
; %bb.1940:                             ;   in Loop: Header=BB366_998 Depth=1
	v_bfe_u32 v18, v0, 16, 7
	v_mov_b32_e32 v6, 0x7f800001
	s_mov_b32 s17, exec_lo
	s_delay_alu instid0(VALU_DEP_2)
	v_cmpx_ne_u32_e32 0x7f, v18
	s_cbranch_execz .LBB366_1944
; %bb.1941:                             ;   in Loop: Header=BB366_998 Depth=1
	v_dual_lshrrev_b32 v6, 3, v18 :: v_dual_bitop2_b32 v22, 7, v32 bitop3:0x40
	v_cmp_gt_u32_e64 s0, 8, v18
	s_delay_alu instid0(VALU_DEP_2)
	v_mov_b64_e32 v[18:19], v[22:23]
	s_and_saveexec_b32 s18, s0
; %bb.1942:                             ;   in Loop: Header=BB366_998 Depth=1
	v_clz_i32_u32_e32 v6, v22
	s_delay_alu instid0(VALU_DEP_1) | instskip(NEXT) | instid1(VALU_DEP_1)
	v_min_u32_e32 v6, 32, v6
	v_subrev_nc_u32_e32 v18, 28, v6
	v_sub_nc_u32_e32 v6, 29, v6
	s_delay_alu instid0(VALU_DEP_2) | instskip(NEXT) | instid1(VALU_DEP_1)
	v_lshlrev_b64_e32 v[18:19], v18, v[22:23]
	v_and_b32_e32 v18, 7, v18
; %bb.1943:                             ;   in Loop: Header=BB366_998 Depth=1
	s_or_b32 exec_lo, exec_lo, s18
	s_delay_alu instid0(VALU_DEP_1) | instskip(SKIP_1) | instid1(VALU_DEP_2)
	v_dual_lshlrev_b32 v19, 24, v32 :: v_dual_lshlrev_b32 v18, 20, v18
	v_lshl_add_u32 v6, v6, 23, 0x3c000000
	v_and_b32_e32 v19, 0x80000000, v19
	s_delay_alu instid0(VALU_DEP_1)
	v_or3_b32 v6, v18, v19, v6
.LBB366_1944:                           ;   in Loop: Header=BB366_998 Depth=1
	s_or_b32 exec_lo, exec_lo, s17
.LBB366_1945:                           ;   in Loop: Header=BB366_998 Depth=1
	s_delay_alu instid0(SALU_CYCLE_1)
	s_or_b32 exec_lo, exec_lo, s16
.LBB366_1946:                           ;   in Loop: Header=BB366_998 Depth=1
	s_delay_alu instid0(SALU_CYCLE_1) | instskip(NEXT) | instid1(SALU_CYCLE_1)
	s_or_b32 exec_lo, exec_lo, s15
	s_mov_b32 s15, exec_lo
	v_cmpx_lt_u32_e32 0xffffff, v0
	s_cbranch_execz .LBB366_1954
; %bb.1947:                             ;   in Loop: Header=BB366_998 Depth=1
	v_lshrrev_b32_e32 v32, 24, v0
	v_bfrev_b32_e32 v7, 1
	s_mov_b32 s16, exec_lo
	s_delay_alu instid0(VALU_DEP_2)
	v_cmpx_ne_u32_e32 0x80, v32
	s_cbranch_execz .LBB366_1953
; %bb.1948:                             ;   in Loop: Header=BB366_998 Depth=1
	v_bfe_u32 v18, v0, 24, 7
	v_mov_b32_e32 v7, 0x7f800001
	s_mov_b32 s17, exec_lo
	s_delay_alu instid0(VALU_DEP_2)
	v_cmpx_ne_u32_e32 0x7f, v18
	s_cbranch_execz .LBB366_1952
; %bb.1949:                             ;   in Loop: Header=BB366_998 Depth=1
	v_dual_lshrrev_b32 v7, 3, v18 :: v_dual_bitop2_b32 v22, 7, v32 bitop3:0x40
	v_cmp_gt_u32_e64 s0, 8, v18
	s_delay_alu instid0(VALU_DEP_2)
	v_mov_b64_e32 v[18:19], v[22:23]
	s_and_saveexec_b32 s18, s0
; %bb.1950:                             ;   in Loop: Header=BB366_998 Depth=1
	v_clz_i32_u32_e32 v7, v22
	s_delay_alu instid0(VALU_DEP_1) | instskip(NEXT) | instid1(VALU_DEP_1)
	v_min_u32_e32 v7, 32, v7
	v_subrev_nc_u32_e32 v18, 28, v7
	s_delay_alu instid0(VALU_DEP_1) | instskip(NEXT) | instid1(VALU_DEP_1)
	v_lshlrev_b64_e32 v[18:19], v18, v[22:23]
	v_dual_sub_nc_u32 v7, 29, v7 :: v_dual_bitop2_b32 v18, 7, v18 bitop3:0x40
; %bb.1951:                             ;   in Loop: Header=BB366_998 Depth=1
	s_or_b32 exec_lo, exec_lo, s18
	s_delay_alu instid0(VALU_DEP_1) | instskip(NEXT) | instid1(VALU_DEP_2)
	v_dual_lshlrev_b32 v19, 24, v32 :: v_dual_lshlrev_b32 v18, 20, v18
	v_lshl_add_u32 v7, v7, 23, 0x3c000000
	s_delay_alu instid0(VALU_DEP_2) | instskip(NEXT) | instid1(VALU_DEP_1)
	v_and_b32_e32 v19, 0x80000000, v19
	v_or3_b32 v7, v18, v19, v7
.LBB366_1952:                           ;   in Loop: Header=BB366_998 Depth=1
	s_or_b32 exec_lo, exec_lo, s17
.LBB366_1953:                           ;   in Loop: Header=BB366_998 Depth=1
	s_delay_alu instid0(SALU_CYCLE_1)
	s_or_b32 exec_lo, exec_lo, s16
.LBB366_1954:                           ;   in Loop: Header=BB366_998 Depth=1
	s_delay_alu instid0(SALU_CYCLE_1) | instskip(SKIP_4) | instid1(VALU_DEP_3)
	s_or_b32 exec_lo, exec_lo, s15
	v_and_b32_e32 v18, 0xff, v1
	v_dual_mov_b32 v22, v1 :: v_dual_mov_b32 v33, 0
	v_mov_b32_e32 v32, 0
	s_mov_b32 s15, exec_lo
	v_cmpx_ne_u16_e32 0, v18
	s_cbranch_execz .LBB366_1962
; %bb.1955:                             ;   in Loop: Header=BB366_998 Depth=1
	v_bfrev_b32_e32 v32, 1
	s_mov_b32 s16, exec_lo
	v_cmpx_ne_u16_e32 0x80, v18
	s_cbranch_execz .LBB366_1961
; %bb.1956:                             ;   in Loop: Header=BB366_998 Depth=1
	v_and_b32_e32 v18, 0x7f, v1
	v_mov_b32_e32 v32, 0x7f800001
	s_mov_b32 s17, exec_lo
	s_delay_alu instid0(VALU_DEP_2)
	v_cmpx_ne_u32_e32 0x7f, v18
	s_cbranch_execz .LBB366_1960
; %bb.1957:                             ;   in Loop: Header=BB366_998 Depth=1
	v_lshrrev_b32_e32 v32, 3, v18
	v_cmp_gt_u32_e64 s0, 8, v18
	v_mov_b64_e32 v[18:19], v[22:23]
	s_and_saveexec_b32 s18, s0
; %bb.1958:                             ;   in Loop: Header=BB366_998 Depth=1
	v_and_b32_e32 v18, 7, v1
	s_delay_alu instid0(VALU_DEP_1) | instskip(NEXT) | instid1(VALU_DEP_1)
	v_clz_i32_u32_e32 v18, v18
	v_min_u32_e32 v32, 32, v18
	s_delay_alu instid0(VALU_DEP_1) | instskip(SKIP_1) | instid1(VALU_DEP_2)
	v_subrev_nc_u32_e32 v18, 28, v32
	v_sub_nc_u32_e32 v32, 29, v32
	v_lshlrev_b64_e32 v[18:19], v18, v[22:23]
; %bb.1959:                             ;   in Loop: Header=BB366_998 Depth=1
	s_or_b32 exec_lo, exec_lo, s18
	s_delay_alu instid0(VALU_DEP_1) | instskip(SKIP_2) | instid1(VALU_DEP_3)
	v_lshlrev_b32_e32 v18, 20, v18
	v_lshlrev_b32_e32 v19, 24, v22
	v_lshl_add_u32 v32, v32, 23, 0x3c000000
	v_and_b32_e32 v18, 0x700000, v18
	s_delay_alu instid0(VALU_DEP_3) | instskip(NEXT) | instid1(VALU_DEP_1)
	v_and_b32_e32 v19, 0x80000000, v19
	v_or3_b32 v32, v18, v19, v32
.LBB366_1960:                           ;   in Loop: Header=BB366_998 Depth=1
	s_or_b32 exec_lo, exec_lo, s17
.LBB366_1961:                           ;   in Loop: Header=BB366_998 Depth=1
	s_delay_alu instid0(SALU_CYCLE_1)
	s_or_b32 exec_lo, exec_lo, s16
.LBB366_1962:                           ;   in Loop: Header=BB366_998 Depth=1
	s_delay_alu instid0(SALU_CYCLE_1) | instskip(SKIP_2) | instid1(VALU_DEP_1)
	s_or_b32 exec_lo, exec_lo, s15
	v_lshrrev_b16 v18, 8, v22
	s_mov_b32 s15, exec_lo
	v_cmpx_ne_u16_e32 0, v18
	s_cbranch_execz .LBB366_1970
; %bb.1963:                             ;   in Loop: Header=BB366_998 Depth=1
	v_bfrev_b32_e32 v33, 1
	s_mov_b32 s16, exec_lo
	v_cmpx_ne_u16_e32 0x80, v18
	s_cbranch_execz .LBB366_1969
; %bb.1964:                             ;   in Loop: Header=BB366_998 Depth=1
	v_and_b32_e32 v18, 0xffff, v18
	v_mov_b32_e32 v33, 0x7f800001
	s_mov_b32 s17, exec_lo
	s_delay_alu instid0(VALU_DEP_2) | instskip(NEXT) | instid1(VALU_DEP_1)
	v_and_b32_e32 v81, 0x7f, v18
	v_cmpx_ne_u32_e32 0x7f, v81
	s_cbranch_execz .LBB366_1968
; %bb.1965:                             ;   in Loop: Header=BB366_998 Depth=1
	v_dual_mov_b32 v19, v23 :: v_dual_bitop2_b32 v18, 7, v18 bitop3:0x40
	v_lshrrev_b32_e32 v33, 3, v81
	s_mov_b32 s18, exec_lo
	v_cmpx_gt_u32_e32 8, v81
; %bb.1966:                             ;   in Loop: Header=BB366_998 Depth=1
	s_delay_alu instid0(VALU_DEP_3) | instskip(NEXT) | instid1(VALU_DEP_1)
	v_clz_i32_u32_e32 v33, v18
	v_min_u32_e32 v33, 32, v33
	s_delay_alu instid0(VALU_DEP_1) | instskip(NEXT) | instid1(VALU_DEP_1)
	v_subrev_nc_u32_e32 v81, 28, v33
	v_lshlrev_b64_e32 v[18:19], v81, v[18:19]
	s_delay_alu instid0(VALU_DEP_1)
	v_dual_sub_nc_u32 v33, 29, v33 :: v_dual_bitop2_b32 v18, 7, v18 bitop3:0x40
; %bb.1967:                             ;   in Loop: Header=BB366_998 Depth=1
	s_or_b32 exec_lo, exec_lo, s18
	v_lshlrev_b32_e32 v19, 16, v22
	s_delay_alu instid0(VALU_DEP_2) | instskip(NEXT) | instid1(VALU_DEP_3)
	v_lshlrev_b32_e32 v18, 20, v18
	v_lshl_add_u32 v22, v33, 23, 0x3c000000
	s_delay_alu instid0(VALU_DEP_3) | instskip(NEXT) | instid1(VALU_DEP_1)
	v_and_b32_e32 v19, 0x80000000, v19
	v_or3_b32 v33, v18, v19, v22
.LBB366_1968:                           ;   in Loop: Header=BB366_998 Depth=1
	s_or_b32 exec_lo, exec_lo, s17
.LBB366_1969:                           ;   in Loop: Header=BB366_998 Depth=1
	s_delay_alu instid0(SALU_CYCLE_1)
	s_or_b32 exec_lo, exec_lo, s16
.LBB366_1970:                           ;   in Loop: Header=BB366_998 Depth=1
	s_delay_alu instid0(SALU_CYCLE_1) | instskip(SKIP_3) | instid1(VALU_DEP_2)
	s_or_b32 exec_lo, exec_lo, s15
	v_dual_lshrrev_b32 v81, 16, v1 :: v_dual_mov_b32 v117, 0
	v_mov_b32_e32 v18, 0
	s_mov_b32 s15, exec_lo
	v_and_b32_e32 v19, 0xff, v81
	s_delay_alu instid0(VALU_DEP_1)
	v_cmpx_ne_u16_e32 0, v19
	s_cbranch_execz .LBB366_1978
; %bb.1971:                             ;   in Loop: Header=BB366_998 Depth=1
	v_bfrev_b32_e32 v18, 1
	s_mov_b32 s16, exec_lo
	v_cmpx_ne_u16_e32 0x80, v19
	s_cbranch_execz .LBB366_1977
; %bb.1972:                             ;   in Loop: Header=BB366_998 Depth=1
	v_bfe_u32 v19, v1, 16, 7
	v_mov_b32_e32 v18, 0x7f800001
	s_mov_b32 s17, exec_lo
	s_delay_alu instid0(VALU_DEP_2)
	v_cmpx_ne_u32_e32 0x7f, v19
	s_cbranch_execz .LBB366_1976
; %bb.1973:                             ;   in Loop: Header=BB366_998 Depth=1
	v_dual_lshrrev_b32 v118, 3, v19 :: v_dual_bitop2_b32 v22, 7, v81 bitop3:0x40
	v_cmp_gt_u32_e64 s0, 8, v19
	s_delay_alu instid0(VALU_DEP_2)
	v_mov_b64_e32 v[18:19], v[22:23]
	s_and_saveexec_b32 s18, s0
; %bb.1974:                             ;   in Loop: Header=BB366_998 Depth=1
	v_clz_i32_u32_e32 v18, v22
	s_delay_alu instid0(VALU_DEP_1) | instskip(NEXT) | instid1(VALU_DEP_1)
	v_min_u32_e32 v118, 32, v18
	v_subrev_nc_u32_e32 v18, 28, v118
	v_sub_nc_u32_e32 v118, 29, v118
	s_delay_alu instid0(VALU_DEP_2) | instskip(NEXT) | instid1(VALU_DEP_1)
	v_lshlrev_b64_e32 v[18:19], v18, v[22:23]
	v_and_b32_e32 v18, 7, v18
; %bb.1975:                             ;   in Loop: Header=BB366_998 Depth=1
	s_or_b32 exec_lo, exec_lo, s18
	s_delay_alu instid0(VALU_DEP_1) | instskip(SKIP_1) | instid1(VALU_DEP_2)
	v_dual_lshlrev_b32 v19, 24, v81 :: v_dual_lshlrev_b32 v18, 20, v18
	v_lshl_add_u32 v22, v118, 23, 0x3c000000
	v_and_b32_e32 v19, 0x80000000, v19
	s_delay_alu instid0(VALU_DEP_1)
	v_or3_b32 v18, v18, v19, v22
.LBB366_1976:                           ;   in Loop: Header=BB366_998 Depth=1
	s_or_b32 exec_lo, exec_lo, s17
.LBB366_1977:                           ;   in Loop: Header=BB366_998 Depth=1
	s_delay_alu instid0(SALU_CYCLE_1)
	s_or_b32 exec_lo, exec_lo, s16
.LBB366_1978:                           ;   in Loop: Header=BB366_998 Depth=1
	s_delay_alu instid0(SALU_CYCLE_1) | instskip(NEXT) | instid1(SALU_CYCLE_1)
	s_or_b32 exec_lo, exec_lo, s15
	s_mov_b32 s15, exec_lo
	v_cmpx_lt_u64_e64 s[2:3], v[0:1]
	s_cbranch_execz .LBB366_1986
; %bb.1979:                             ;   in Loop: Header=BB366_998 Depth=1
	v_lshrrev_b32_e32 v19, 24, v1
	v_bfrev_b32_e32 v117, 1
	s_mov_b32 s16, exec_lo
	s_delay_alu instid0(VALU_DEP_2)
	v_cmpx_ne_u32_e32 0x80, v19
	s_cbranch_execz .LBB366_1985
; %bb.1980:                             ;   in Loop: Header=BB366_998 Depth=1
	v_bfe_u32 v0, v1, 24, 7
	v_mov_b32_e32 v117, 0x7f800001
	s_mov_b32 s17, exec_lo
	s_delay_alu instid0(VALU_DEP_2)
	v_cmpx_ne_u32_e32 0x7f, v0
	s_cbranch_execz .LBB366_1984
; %bb.1981:                             ;   in Loop: Header=BB366_998 Depth=1
	v_dual_lshrrev_b32 v81, 3, v0 :: v_dual_bitop2_b32 v22, 7, v19 bitop3:0x40
	v_cmp_gt_u32_e64 s0, 8, v0
	s_delay_alu instid0(VALU_DEP_2)
	v_mov_b64_e32 v[0:1], v[22:23]
	s_and_saveexec_b32 s18, s0
; %bb.1982:                             ;   in Loop: Header=BB366_998 Depth=1
	v_clz_i32_u32_e32 v0, v22
	s_delay_alu instid0(VALU_DEP_1) | instskip(NEXT) | instid1(VALU_DEP_1)
	v_min_u32_e32 v81, 32, v0
	v_subrev_nc_u32_e32 v0, 28, v81
	s_delay_alu instid0(VALU_DEP_1) | instskip(NEXT) | instid1(VALU_DEP_1)
	v_lshlrev_b64_e32 v[0:1], v0, v[22:23]
	v_dual_sub_nc_u32 v81, 29, v81 :: v_dual_bitop2_b32 v0, 7, v0 bitop3:0x40
; %bb.1983:                             ;   in Loop: Header=BB366_998 Depth=1
	s_or_b32 exec_lo, exec_lo, s18
	s_delay_alu instid0(VALU_DEP_1) | instskip(NEXT) | instid1(VALU_DEP_2)
	v_dual_lshlrev_b32 v1, 24, v19 :: v_dual_lshlrev_b32 v0, 20, v0
	v_lshl_add_u32 v19, v81, 23, 0x3c000000
	s_delay_alu instid0(VALU_DEP_2) | instskip(NEXT) | instid1(VALU_DEP_1)
	v_and_b32_e32 v1, 0x80000000, v1
	v_or3_b32 v117, v0, v1, v19
.LBB366_1984:                           ;   in Loop: Header=BB366_998 Depth=1
	s_or_b32 exec_lo, exec_lo, s17
.LBB366_1985:                           ;   in Loop: Header=BB366_998 Depth=1
	s_delay_alu instid0(SALU_CYCLE_1)
	s_or_b32 exec_lo, exec_lo, s16
.LBB366_1986:                           ;   in Loop: Header=BB366_998 Depth=1
	s_delay_alu instid0(SALU_CYCLE_1)
	s_or_b32 exec_lo, exec_lo, s15
	v_fma_mixlo_bf16 v1, v48, v33, 0
	v_fma_mixlo_bf16 v19, v48, v32, 0
	;; [unrolled: 1-line block ×8, first 2 shown]
	s_and_saveexec_b32 s0, vcc_lo
	s_cbranch_execz .LBB366_997
; %bb.1987:                             ;   in Loop: Header=BB366_998 Depth=1
	v_cmp_lt_i32_e32 vcc_lo, v98, v34
	v_cndmask_b32_e32 v81, 0, v81, vcc_lo
	v_cmp_lt_i32_e32 vcc_lo, v102, v34
	v_cndmask_b32_e32 v33, 0, v33, vcc_lo
	;; [unrolled: 2-line block ×8, first 2 shown]
	s_branch .LBB366_997
.LBB366_1988:
	s_or_b32 exec_lo, exec_lo, s14
	s_clause 0x2
	scratch_load_b32 v38, off, s32 offset:428
	scratch_load_b32 v30, off, s32 offset:436
	;; [unrolled: 1-line block ×3, first 2 shown]
	v_mov_b64_e32 v[0:1], s[6:7]
.LBB366_1989:
	s_wait_xcnt 0x0
	s_or_b32 exec_lo, exec_lo, s1
	s_delay_alu instid0(VALU_DEP_1)
	v_lshl_add_u64 v[0:1], v[0:1], 2, s[8:9]
	s_wait_loadcnt 0x1
	ds_bpermute_b32 v4, v30, v24
	ds_bpermute_b32 v5, v30, v25
	;; [unrolled: 1-line block ×6, first 2 shown]
	s_wait_storecnt 0x0
	s_wait_loadcnt_dscnt 0x0
	s_barrier_signal -1
	s_barrier_wait -1
	global_load_b32 v18, v[0:1], off
	s_wait_xcnt 0x0
	ds_bpermute_b32 v0, v30, v28
	ds_bpermute_b32 v1, v30, v29
	;; [unrolled: 1-line block ×9, first 2 shown]
	s_mov_b32 s0, exec_lo
	v_pk_add_f32 v[4:5], v[24:25], v[4:5]
	v_pk_add_f32 v[6:7], v[20:21], v[6:7]
	;; [unrolled: 1-line block ×3, first 2 shown]
	ds_bpermute_b32 v20, v38, v4
	ds_bpermute_b32 v21, v38, v5
	;; [unrolled: 1-line block ×4, first 2 shown]
	s_wait_dscnt 0xb
	v_pk_add_f32 v[0:1], v[28:29], v[0:1]
	ds_bpermute_b32 v28, v38, v6
	ds_bpermute_b32 v29, v38, v7
	s_wait_dscnt 0xb
	v_pk_add_f32 v[2:3], v[26:27], v[2:3]
	s_wait_dscnt 0x9
	v_pk_add_f32 v[30:31], v[14:15], v[10:11]
	ds_bpermute_b32 v26, v38, v0
	s_wait_dscnt 0x8
	v_pk_add_f32 v[22:23], v[12:13], v[22:23]
	ds_bpermute_b32 v27, v38, v1
	ds_bpermute_b32 v24, v38, v2
	ds_bpermute_b32 v25, v38, v3
	ds_bpermute_b32 v34, v38, v30
	ds_bpermute_b32 v35, v38, v31
	ds_bpermute_b32 v36, v38, v22
	ds_bpermute_b32 v37, v38, v23
	s_wait_dscnt 0xc
	v_pk_add_f32 v[8:9], v[4:5], v[20:21]
	s_wait_dscnt 0xa
	v_pk_add_f32 v[4:5], v[16:17], v[32:33]
	scratch_load_b32 v16, off, s32 offset:788 ; 4-byte Folded Reload
	v_add_f32_e32 v14, v39, v19
	s_wait_dscnt 0x8
	v_pk_add_f32 v[6:7], v[6:7], v[28:29]
	scratch_load_b32 v28, off, s32 offset:796 ; 4-byte Folded Reload
	s_wait_dscnt 0x6
	v_pk_add_f32 v[12:13], v[0:1], v[26:27]
	s_wait_dscnt 0x4
	v_pk_add_f32 v[10:11], v[2:3], v[24:25]
	;; [unrolled: 2-line block ×4, first 2 shown]
	s_wait_loadcnt 0x1
	v_and_b32_e32 v16, 28, v16
	ds_bpermute_b32 v15, v38, v14
	s_wait_loadcnt 0x0
	v_and_b32_e32 v19, 0x3c3, v28
	s_delay_alu instid0(VALU_DEP_1) | instskip(SKIP_1) | instid1(SALU_CYCLE_1)
	v_cmpx_ne_u32_e32 64, v19
	s_xor_b32 s0, exec_lo, s0
	s_or_saveexec_b32 s0, s0
	s_wait_dscnt 0x0
	v_add_f32_e32 v14, v14, v15
	s_clause 0x1
	scratch_load_b32 v15, off, s32 offset:788 th:TH_LOAD_LU
	scratch_load_b32 v17, off, s32 offset:792 th:TH_LOAD_LU
	s_wait_loadcnt 0x1
	v_dual_add_nc_u32 v16, v18, v16 :: v_dual_lshrrev_b32 v15, 2, v15
	s_wait_loadcnt 0x0
	v_mul_u32_u24_e32 v17, 0x1e0, v17
	s_xor_b32 exec_lo, exec_lo, s0
	s_cbranch_execz .LBB366_1991
; %bb.1990:
	s_delay_alu instid0(VALU_DEP_1) | instskip(NEXT) | instid1(VALU_DEP_1)
	v_add_nc_u32_e32 v19, v16, v17
	v_add_nc_u32_e32 v20, 0xfffffc40, v19
	v_add_nc_u32_e32 v21, 0xfffffc60, v19
	v_add_nc_u32_e32 v22, 0xfffffc80, v19
	v_add_nc_u32_e32 v23, 0xfffffca0, v19
	v_add_nc_u32_e32 v24, 0xfffffcc0, v19
	v_add_nc_u32_e32 v25, 0xfffffce0, v19
	v_add_nc_u32_e32 v26, 0xfffffd00, v19
	v_add_nc_u32_e32 v27, 0xfffffd20, v19
	ds_store_b32 v20, v12
	ds_store_b32 v21, v13
	;; [unrolled: 1-line block ×8, first 2 shown]
	v_add_nc_u32_e32 v20, 0xfffffd40, v19
	v_add_nc_u32_e32 v21, 0xfffffd60, v19
	;; [unrolled: 1-line block ×7, first 2 shown]
	ds_store_b32 v20, v4
	ds_store_b32 v21, v5
	;; [unrolled: 1-line block ×7, first 2 shown]
.LBB366_1991:
	s_or_b32 exec_lo, exec_lo, s0
	v_lshlrev_b32_e32 v15, 2, v15
	s_mov_b32 s1, exec_lo
	v_cmp_eq_u32_e32 vcc_lo, 0, v49
	s_wait_dscnt 0x0
	s_barrier_signal -1
	v_add3_u32 v15, v18, v17, v15
	s_barrier_wait -1
	v_cmpx_gt_u32_e32 64, v28
	s_cbranch_execz .LBB366_2009
; %bb.1992:
	s_and_saveexec_b32 s0, vcc_lo
	s_cbranch_execnz .LBB366_2032
; %bb.1993:
	s_or_b32 exec_lo, exec_lo, s0
	s_and_saveexec_b32 s0, vcc_lo
	s_cbranch_execnz .LBB366_2033
.LBB366_1994:
	s_or_b32 exec_lo, exec_lo, s0
	s_and_saveexec_b32 s0, vcc_lo
	s_cbranch_execnz .LBB366_2034
.LBB366_1995:
	s_or_b32 exec_lo, exec_lo, s0
	s_and_saveexec_b32 s0, vcc_lo
	s_cbranch_execnz .LBB366_2035
.LBB366_1996:
	s_or_b32 exec_lo, exec_lo, s0
	s_and_saveexec_b32 s0, vcc_lo
	s_cbranch_execnz .LBB366_2036
.LBB366_1997:
	s_or_b32 exec_lo, exec_lo, s0
	s_and_saveexec_b32 s0, vcc_lo
	s_cbranch_execnz .LBB366_2037
.LBB366_1998:
	s_or_b32 exec_lo, exec_lo, s0
	s_and_saveexec_b32 s0, vcc_lo
	s_cbranch_execnz .LBB366_2038
.LBB366_1999:
	s_or_b32 exec_lo, exec_lo, s0
	s_and_saveexec_b32 s0, vcc_lo
	s_cbranch_execnz .LBB366_2039
.LBB366_2000:
	s_or_b32 exec_lo, exec_lo, s0
	s_and_saveexec_b32 s0, vcc_lo
	s_cbranch_execnz .LBB366_2040
.LBB366_2001:
	s_or_b32 exec_lo, exec_lo, s0
	s_and_saveexec_b32 s0, vcc_lo
	s_cbranch_execnz .LBB366_2041
.LBB366_2002:
	s_or_b32 exec_lo, exec_lo, s0
	s_and_saveexec_b32 s0, vcc_lo
	s_cbranch_execnz .LBB366_2042
.LBB366_2003:
	s_or_b32 exec_lo, exec_lo, s0
	s_and_saveexec_b32 s0, vcc_lo
	s_cbranch_execnz .LBB366_2043
.LBB366_2004:
	s_or_b32 exec_lo, exec_lo, s0
	s_and_saveexec_b32 s0, vcc_lo
	s_cbranch_execnz .LBB366_2044
.LBB366_2005:
	s_or_b32 exec_lo, exec_lo, s0
	s_and_saveexec_b32 s0, vcc_lo
	s_cbranch_execnz .LBB366_2045
.LBB366_2006:
	s_or_b32 exec_lo, exec_lo, s0
	s_and_saveexec_b32 s0, vcc_lo
	s_cbranch_execz .LBB366_2008
.LBB366_2007:
	ds_load_b32 v17, v15 offset:448
	s_wait_dscnt 0x0
	v_add_f32_e32 v14, v17, v14
.LBB366_2008:
	s_or_b32 exec_lo, exec_lo, s0
.LBB366_2009:
	s_delay_alu instid0(SALU_CYCLE_1) | instskip(SKIP_4) | instid1(VALU_DEP_1)
	s_or_b32 exec_lo, exec_lo, s1
	v_and_b32_e32 v17, 0x3e3, v28
	s_mov_b32 s1, exec_lo
	s_barrier_signal -1
	s_barrier_wait -1
	v_cmpx_eq_u32_e32 32, v17
	s_cbranch_execz .LBB366_2011
; %bb.2010:
	ds_store_2addr_b32 v16, v12, v13 offset1:8
	ds_store_2addr_b32 v16, v10, v11 offset0:16 offset1:24
	ds_store_2addr_b32 v16, v8, v9 offset0:32 offset1:40
	;; [unrolled: 1-line block ×6, first 2 shown]
	ds_store_b32 v16, v14 offset:448
.LBB366_2011:
	s_or_b32 exec_lo, exec_lo, s1
	s_delay_alu instid0(SALU_CYCLE_1)
	s_mov_b32 s1, exec_lo
	s_wait_dscnt 0x0
	s_barrier_signal -1
	s_barrier_wait -1
	v_cmpx_gt_u32_e32 32, v28
	s_cbranch_execz .LBB366_2029
; %bb.2012:
	s_and_saveexec_b32 s0, vcc_lo
	s_cbranch_execnz .LBB366_2046
; %bb.2013:
	s_or_b32 exec_lo, exec_lo, s0
	s_and_saveexec_b32 s0, vcc_lo
	s_cbranch_execnz .LBB366_2047
.LBB366_2014:
	s_or_b32 exec_lo, exec_lo, s0
	s_and_saveexec_b32 s0, vcc_lo
	s_cbranch_execnz .LBB366_2048
.LBB366_2015:
	s_or_b32 exec_lo, exec_lo, s0
	s_and_saveexec_b32 s0, vcc_lo
	s_cbranch_execnz .LBB366_2049
.LBB366_2016:
	s_or_b32 exec_lo, exec_lo, s0
	s_and_saveexec_b32 s0, vcc_lo
	s_cbranch_execnz .LBB366_2050
.LBB366_2017:
	s_or_b32 exec_lo, exec_lo, s0
	s_and_saveexec_b32 s0, vcc_lo
	s_cbranch_execnz .LBB366_2051
.LBB366_2018:
	s_or_b32 exec_lo, exec_lo, s0
	s_and_saveexec_b32 s0, vcc_lo
	s_cbranch_execnz .LBB366_2052
.LBB366_2019:
	s_or_b32 exec_lo, exec_lo, s0
	s_and_saveexec_b32 s0, vcc_lo
	s_cbranch_execnz .LBB366_2053
.LBB366_2020:
	s_or_b32 exec_lo, exec_lo, s0
	s_and_saveexec_b32 s0, vcc_lo
	s_cbranch_execnz .LBB366_2054
.LBB366_2021:
	s_or_b32 exec_lo, exec_lo, s0
	s_and_saveexec_b32 s0, vcc_lo
	s_cbranch_execnz .LBB366_2055
.LBB366_2022:
	s_or_b32 exec_lo, exec_lo, s0
	s_and_saveexec_b32 s0, vcc_lo
	s_cbranch_execnz .LBB366_2056
.LBB366_2023:
	s_or_b32 exec_lo, exec_lo, s0
	s_and_saveexec_b32 s0, vcc_lo
	s_cbranch_execnz .LBB366_2057
.LBB366_2024:
	s_or_b32 exec_lo, exec_lo, s0
	s_and_saveexec_b32 s0, vcc_lo
	s_cbranch_execnz .LBB366_2058
.LBB366_2025:
	s_or_b32 exec_lo, exec_lo, s0
	s_and_saveexec_b32 s0, vcc_lo
	s_cbranch_execnz .LBB366_2059
.LBB366_2026:
	s_or_b32 exec_lo, exec_lo, s0
	s_and_saveexec_b32 s0, vcc_lo
	s_cbranch_execz .LBB366_2028
.LBB366_2027:
	ds_load_b32 v15, v15 offset:448
	s_wait_dscnt 0x0
	v_add_f32_e32 v14, v15, v14
.LBB366_2028:
	s_or_b32 exec_lo, exec_lo, s0
.LBB366_2029:
	s_delay_alu instid0(SALU_CYCLE_1)
	s_or_b32 exec_lo, exec_lo, s1
	s_mov_b32 s1, 0
	s_mov_b32 s2, exec_lo
	s_barrier_signal -1
	s_barrier_wait -1
	v_cmpx_eq_u32_e32 0, v17
	s_cbranch_execz .LBB366_2031
; %bb.2030:
	scratch_load_b64 v[16:17], off, s32 offset:828 th:TH_LOAD_LU ; 8-byte Folded Reload
	s_and_b32 s0, 0xffff, s13
	v_dual_mov_b32 v19, 0 :: v_dual_lshrrev_b32 v18, 1, v28
	s_cmp_lg_u32 s0, 0
	s_cselect_b32 s0, -1, 0
	s_delay_alu instid0(SALU_CYCLE_1)
	s_cmp_lg_u32 s0, 0
	s_wait_kmcnt 0x0
	s_add_co_ci_u32 s0, s5, 0
	s_bfe_u32 s8, ttmp6, 0x40014
	s_mul_i32 s5, s0, s11
	s_lshr_b32 s3, ttmp7, 16
	s_mul_i32 s5, s5, s12
	s_add_co_i32 s8, s8, 1
	s_mul_i32 s6, s5, 0x78
	s_bfe_u32 s9, ttmp6, 0x40008
	s_ashr_i32 s7, s6, 31
	s_mul_i32 s4, s4, s0
	s_mul_i32 s0, s3, s8
	s_ashr_i32 s5, s4, 31
	s_add_co_i32 s9, s9, s0
	s_cmp_eq_u32 s10, 0
	s_cselect_b32 s0, s3, s9
	s_delay_alu instid0(SALU_CYCLE_1) | instskip(NEXT) | instid1(SALU_CYCLE_1)
	s_mulk_i32 s0, 0xf0
	v_cvt_pk_bf16_f32 v15, v12, s0
	v_cvt_pk_bf16_f32 v20, v13, s0
	v_cvt_pk_bf16_f32 v4, v4, s0
	v_cvt_pk_bf16_f32 v5, v5, s0
	v_cvt_pk_bf16_f32 v10, v10, s0
	v_cvt_pk_bf16_f32 v2, v2, s0
	v_cvt_pk_bf16_f32 v11, v11, s0
	v_cvt_pk_bf16_f32 v3, v3, s0
	v_cvt_pk_bf16_f32 v8, v8, s0
	v_cvt_pk_bf16_f32 v6, v6, s0
	v_cvt_pk_bf16_f32 v0, v0, s0
	v_cvt_pk_bf16_f32 v9, v9, s0
	v_cvt_pk_bf16_f32 v7, v7, s0
	v_cvt_pk_bf16_f32 v1, v1, s0
	s_wait_loadcnt 0x0
	v_lshl_add_u64 v[16:17], s[6:7], 1, v[16:17]
	s_delay_alu instid0(VALU_DEP_1) | instskip(NEXT) | instid1(VALU_DEP_1)
	v_lshl_add_u64 v[16:17], s[4:5], 1, v[16:17]
	v_add_nc_u64_e32 v[16:17], s[0:1], v[16:17]
	s_delay_alu instid0(VALU_DEP_1)
	v_add_nc_u64_e32 v[12:13], v[16:17], v[18:19]
	s_clause 0x7
	flat_store_b16 v[12:13], v15
	flat_store_b16 v[12:13], v20 offset:16
	flat_store_b16 v[12:13], v10 offset:32
	;; [unrolled: 1-line block ×7, first 2 shown]
	s_wait_xcnt 0x1
	v_cvt_pk_bf16_f32 v6, v14, s0
	s_clause 0x6
	flat_store_b16 v[12:13], v4 offset:128
	flat_store_b16 v[12:13], v5 offset:144
	;; [unrolled: 1-line block ×7, first 2 shown]
.LBB366_2031:
	s_wait_xcnt 0x0
	s_or_b32 exec_lo, exec_lo, s2
	s_clause 0x2f
	scratch_load_b32 v127, off, s32
	scratch_load_b32 v126, off, s32 offset:4
	scratch_load_b32 v125, off, s32 offset:8
	;; [unrolled: 1-line block ×47, first 2 shown]
	s_wait_loadcnt_dscnt 0x0
	s_wait_kmcnt 0x0
	s_set_pc_i64 s[30:31]
.LBB366_2032:
	ds_load_b32 v17, v15
	s_wait_dscnt 0x0
	v_add_f32_e32 v12, v17, v12
	s_or_b32 exec_lo, exec_lo, s0
	s_and_saveexec_b32 s0, vcc_lo
	s_cbranch_execz .LBB366_1994
.LBB366_2033:
	ds_load_b32 v17, v15 offset:32
	s_wait_dscnt 0x0
	v_add_f32_e32 v13, v17, v13
	s_or_b32 exec_lo, exec_lo, s0
	s_and_saveexec_b32 s0, vcc_lo
	s_cbranch_execz .LBB366_1995
.LBB366_2034:
	ds_load_b32 v17, v15 offset:64
	s_wait_dscnt 0x0
	v_add_f32_e32 v10, v17, v10
	s_or_b32 exec_lo, exec_lo, s0
	s_and_saveexec_b32 s0, vcc_lo
	s_cbranch_execz .LBB366_1996
.LBB366_2035:
	ds_load_b32 v17, v15 offset:96
	s_wait_dscnt 0x0
	v_add_f32_e32 v11, v17, v11
	s_or_b32 exec_lo, exec_lo, s0
	s_and_saveexec_b32 s0, vcc_lo
	s_cbranch_execz .LBB366_1997
.LBB366_2036:
	ds_load_b32 v17, v15 offset:128
	s_wait_dscnt 0x0
	v_add_f32_e32 v8, v17, v8
	s_or_b32 exec_lo, exec_lo, s0
	s_and_saveexec_b32 s0, vcc_lo
	s_cbranch_execz .LBB366_1998
.LBB366_2037:
	ds_load_b32 v17, v15 offset:160
	s_wait_dscnt 0x0
	v_add_f32_e32 v9, v17, v9
	s_or_b32 exec_lo, exec_lo, s0
	s_and_saveexec_b32 s0, vcc_lo
	s_cbranch_execz .LBB366_1999
.LBB366_2038:
	ds_load_b32 v17, v15 offset:192
	s_wait_dscnt 0x0
	v_add_f32_e32 v6, v17, v6
	s_or_b32 exec_lo, exec_lo, s0
	s_and_saveexec_b32 s0, vcc_lo
	s_cbranch_execz .LBB366_2000
.LBB366_2039:
	ds_load_b32 v17, v15 offset:224
	s_wait_dscnt 0x0
	v_add_f32_e32 v7, v17, v7
	s_or_b32 exec_lo, exec_lo, s0
	s_and_saveexec_b32 s0, vcc_lo
	s_cbranch_execz .LBB366_2001
.LBB366_2040:
	ds_load_b32 v17, v15 offset:256
	s_wait_dscnt 0x0
	v_add_f32_e32 v4, v17, v4
	s_or_b32 exec_lo, exec_lo, s0
	s_and_saveexec_b32 s0, vcc_lo
	s_cbranch_execz .LBB366_2002
.LBB366_2041:
	ds_load_b32 v17, v15 offset:288
	s_wait_dscnt 0x0
	v_add_f32_e32 v5, v17, v5
	s_or_b32 exec_lo, exec_lo, s0
	s_and_saveexec_b32 s0, vcc_lo
	s_cbranch_execz .LBB366_2003
.LBB366_2042:
	ds_load_b32 v17, v15 offset:320
	s_wait_dscnt 0x0
	v_add_f32_e32 v2, v17, v2
	s_or_b32 exec_lo, exec_lo, s0
	s_and_saveexec_b32 s0, vcc_lo
	s_cbranch_execz .LBB366_2004
.LBB366_2043:
	ds_load_b32 v17, v15 offset:352
	s_wait_dscnt 0x0
	v_add_f32_e32 v3, v17, v3
	s_or_b32 exec_lo, exec_lo, s0
	s_and_saveexec_b32 s0, vcc_lo
	s_cbranch_execz .LBB366_2005
.LBB366_2044:
	ds_load_b32 v17, v15 offset:384
	s_wait_dscnt 0x0
	v_add_f32_e32 v0, v17, v0
	s_or_b32 exec_lo, exec_lo, s0
	s_and_saveexec_b32 s0, vcc_lo
	s_cbranch_execz .LBB366_2006
.LBB366_2045:
	ds_load_b32 v17, v15 offset:416
	s_wait_dscnt 0x0
	v_add_f32_e32 v1, v17, v1
	s_or_b32 exec_lo, exec_lo, s0
	s_and_saveexec_b32 s0, vcc_lo
	s_cbranch_execnz .LBB366_2007
	s_branch .LBB366_2008
.LBB366_2046:
	ds_load_b32 v16, v15
	s_wait_dscnt 0x0
	v_add_f32_e32 v12, v16, v12
	s_or_b32 exec_lo, exec_lo, s0
	s_and_saveexec_b32 s0, vcc_lo
	s_cbranch_execz .LBB366_2014
.LBB366_2047:
	ds_load_b32 v16, v15 offset:32
	s_wait_dscnt 0x0
	v_add_f32_e32 v13, v16, v13
	s_or_b32 exec_lo, exec_lo, s0
	s_and_saveexec_b32 s0, vcc_lo
	s_cbranch_execz .LBB366_2015
.LBB366_2048:
	ds_load_b32 v16, v15 offset:64
	s_wait_dscnt 0x0
	v_add_f32_e32 v10, v16, v10
	s_or_b32 exec_lo, exec_lo, s0
	s_and_saveexec_b32 s0, vcc_lo
	s_cbranch_execz .LBB366_2016
.LBB366_2049:
	ds_load_b32 v16, v15 offset:96
	s_wait_dscnt 0x0
	v_add_f32_e32 v11, v16, v11
	s_or_b32 exec_lo, exec_lo, s0
	s_and_saveexec_b32 s0, vcc_lo
	s_cbranch_execz .LBB366_2017
.LBB366_2050:
	ds_load_b32 v16, v15 offset:128
	s_wait_dscnt 0x0
	v_add_f32_e32 v8, v16, v8
	s_or_b32 exec_lo, exec_lo, s0
	s_and_saveexec_b32 s0, vcc_lo
	s_cbranch_execz .LBB366_2018
.LBB366_2051:
	ds_load_b32 v16, v15 offset:160
	s_wait_dscnt 0x0
	v_add_f32_e32 v9, v16, v9
	s_or_b32 exec_lo, exec_lo, s0
	s_and_saveexec_b32 s0, vcc_lo
	s_cbranch_execz .LBB366_2019
.LBB366_2052:
	ds_load_b32 v16, v15 offset:192
	s_wait_dscnt 0x0
	v_add_f32_e32 v6, v16, v6
	s_or_b32 exec_lo, exec_lo, s0
	s_and_saveexec_b32 s0, vcc_lo
	s_cbranch_execz .LBB366_2020
.LBB366_2053:
	ds_load_b32 v16, v15 offset:224
	s_wait_dscnt 0x0
	v_add_f32_e32 v7, v16, v7
	s_or_b32 exec_lo, exec_lo, s0
	s_and_saveexec_b32 s0, vcc_lo
	s_cbranch_execz .LBB366_2021
.LBB366_2054:
	ds_load_b32 v16, v15 offset:256
	s_wait_dscnt 0x0
	v_add_f32_e32 v4, v16, v4
	s_or_b32 exec_lo, exec_lo, s0
	s_and_saveexec_b32 s0, vcc_lo
	s_cbranch_execz .LBB366_2022
.LBB366_2055:
	ds_load_b32 v16, v15 offset:288
	s_wait_dscnt 0x0
	v_add_f32_e32 v5, v16, v5
	s_or_b32 exec_lo, exec_lo, s0
	s_and_saveexec_b32 s0, vcc_lo
	s_cbranch_execz .LBB366_2023
.LBB366_2056:
	ds_load_b32 v16, v15 offset:320
	s_wait_dscnt 0x0
	v_add_f32_e32 v2, v16, v2
	s_or_b32 exec_lo, exec_lo, s0
	s_and_saveexec_b32 s0, vcc_lo
	s_cbranch_execz .LBB366_2024
.LBB366_2057:
	ds_load_b32 v16, v15 offset:352
	s_wait_dscnt 0x0
	v_add_f32_e32 v3, v16, v3
	s_or_b32 exec_lo, exec_lo, s0
	s_and_saveexec_b32 s0, vcc_lo
	s_cbranch_execz .LBB366_2025
.LBB366_2058:
	ds_load_b32 v16, v15 offset:384
	s_wait_dscnt 0x0
	v_add_f32_e32 v0, v16, v0
	s_or_b32 exec_lo, exec_lo, s0
	s_and_saveexec_b32 s0, vcc_lo
	s_cbranch_execz .LBB366_2026
.LBB366_2059:
	ds_load_b32 v16, v15 offset:416
	s_wait_dscnt 0x0
	v_add_f32_e32 v1, v16, v1
	s_or_b32 exec_lo, exec_lo, s0
	s_and_saveexec_b32 s0, vcc_lo
	s_cbranch_execnz .LBB366_2027
	s_branch .LBB366_2028
.Lfunc_end366:
	.size	_ZN4vllm22paged_attention_kernelI14__hip_bfloat16hLi120ELi32ELi128ELNS_18Fp8KVCacheDataTypeE1ELb0ELi0EEEvPfS3_PT_PKS4_PKT0_SA_ifPKiSC_iPKfiiiSE_SE_iiiii, .Lfunc_end366-_ZN4vllm22paged_attention_kernelI14__hip_bfloat16hLi120ELi32ELi128ELNS_18Fp8KVCacheDataTypeE1ELb0ELi0EEEvPfS3_PT_PKS4_PKT0_SA_ifPKiSC_iPKfiiiSE_SE_iiiii
                                        ; -- End function
	.set .L_ZN4vllm22paged_attention_kernelI14__hip_bfloat16hLi120ELi32ELi128ELNS_18Fp8KVCacheDataTypeE1ELb0ELi0EEEvPfS3_PT_PKS4_PKT0_SA_ifPKiSC_iPKfiiiSE_SE_iiiii.num_vgpr, 128
	.set .L_ZN4vllm22paged_attention_kernelI14__hip_bfloat16hLi120ELi32ELi128ELNS_18Fp8KVCacheDataTypeE1ELb0ELi0EEEvPfS3_PT_PKS4_PKT0_SA_ifPKiSC_iPKfiiiSE_SE_iiiii.num_agpr, 0
	.set .L_ZN4vllm22paged_attention_kernelI14__hip_bfloat16hLi120ELi32ELi128ELNS_18Fp8KVCacheDataTypeE1ELb0ELi0EEEvPfS3_PT_PKS4_PKT0_SA_ifPKiSC_iPKfiiiSE_SE_iiiii.numbered_sgpr, 33
	.set .L_ZN4vllm22paged_attention_kernelI14__hip_bfloat16hLi120ELi32ELi128ELNS_18Fp8KVCacheDataTypeE1ELb0ELi0EEEvPfS3_PT_PKS4_PKT0_SA_ifPKiSC_iPKfiiiSE_SE_iiiii.num_named_barrier, 0
	.set .L_ZN4vllm22paged_attention_kernelI14__hip_bfloat16hLi120ELi32ELi128ELNS_18Fp8KVCacheDataTypeE1ELb0ELi0EEEvPfS3_PT_PKS4_PKT0_SA_ifPKiSC_iPKfiiiSE_SE_iiiii.private_seg_size, 860
	.set .L_ZN4vllm22paged_attention_kernelI14__hip_bfloat16hLi120ELi32ELi128ELNS_18Fp8KVCacheDataTypeE1ELb0ELi0EEEvPfS3_PT_PKS4_PKT0_SA_ifPKiSC_iPKfiiiSE_SE_iiiii.uses_vcc, 1
	.set .L_ZN4vllm22paged_attention_kernelI14__hip_bfloat16hLi120ELi32ELi128ELNS_18Fp8KVCacheDataTypeE1ELb0ELi0EEEvPfS3_PT_PKS4_PKT0_SA_ifPKiSC_iPKfiiiSE_SE_iiiii.uses_flat_scratch, 1
	.set .L_ZN4vllm22paged_attention_kernelI14__hip_bfloat16hLi120ELi32ELi128ELNS_18Fp8KVCacheDataTypeE1ELb0ELi0EEEvPfS3_PT_PKS4_PKT0_SA_ifPKiSC_iPKfiiiSE_SE_iiiii.has_dyn_sized_stack, 0
	.set .L_ZN4vllm22paged_attention_kernelI14__hip_bfloat16hLi120ELi32ELi128ELNS_18Fp8KVCacheDataTypeE1ELb0ELi0EEEvPfS3_PT_PKS4_PKT0_SA_ifPKiSC_iPKfiiiSE_SE_iiiii.has_recursion, 0
	.set .L_ZN4vllm22paged_attention_kernelI14__hip_bfloat16hLi120ELi32ELi128ELNS_18Fp8KVCacheDataTypeE1ELb0ELi0EEEvPfS3_PT_PKS4_PKT0_SA_ifPKiSC_iPKfiiiSE_SE_iiiii.has_indirect_call, 0
	.section	.AMDGPU.csdata,"",@progbits
; Function info:
; codeLenInByte = 74856
; TotalNumSgprs: 35
; NumVgprs: 128
; ScratchSize: 860
; MemoryBound: 0
	.section	.text._ZN4vllm25paged_attention_v1_kernelI14__hip_bfloat16hLi120ELi32ELi128ELNS_18Fp8KVCacheDataTypeE1ELb0EEEvPT_PKS3_PKT0_S9_ifPKiSB_iPKfiiiSD_SD_iiiii,"axG",@progbits,_ZN4vllm25paged_attention_v1_kernelI14__hip_bfloat16hLi120ELi32ELi128ELNS_18Fp8KVCacheDataTypeE1ELb0EEEvPT_PKS3_PKT0_S9_ifPKiSB_iPKfiiiSD_SD_iiiii,comdat
	.protected	_ZN4vllm25paged_attention_v1_kernelI14__hip_bfloat16hLi120ELi32ELi128ELNS_18Fp8KVCacheDataTypeE1ELb0EEEvPT_PKS3_PKT0_S9_ifPKiSB_iPKfiiiSD_SD_iiiii ; -- Begin function _ZN4vllm25paged_attention_v1_kernelI14__hip_bfloat16hLi120ELi32ELi128ELNS_18Fp8KVCacheDataTypeE1ELb0EEEvPT_PKS3_PKT0_S9_ifPKiSB_iPKfiiiSD_SD_iiiii
	.globl	_ZN4vllm25paged_attention_v1_kernelI14__hip_bfloat16hLi120ELi32ELi128ELNS_18Fp8KVCacheDataTypeE1ELb0EEEvPT_PKS3_PKT0_S9_ifPKiSB_iPKfiiiSD_SD_iiiii
	.p2align	8
	.type	_ZN4vllm25paged_attention_v1_kernelI14__hip_bfloat16hLi120ELi32ELi128ELNS_18Fp8KVCacheDataTypeE1ELb0EEEvPT_PKS3_PKT0_S9_ifPKiSB_iPKfiiiSD_SD_iiiii,@function
_ZN4vllm25paged_attention_v1_kernelI14__hip_bfloat16hLi120ELi32ELi128ELNS_18Fp8KVCacheDataTypeE1ELb0EEEvPT_PKS3_PKT0_S9_ifPKiSB_iPKfiiiSD_SD_iiiii: ; @_ZN4vllm25paged_attention_v1_kernelI14__hip_bfloat16hLi120ELi32ELi128ELNS_18Fp8KVCacheDataTypeE1ELb0EEEvPT_PKS3_PKT0_S9_ifPKiSB_iPKfiiiSD_SD_iiiii
; %bb.0:
	s_clause 0x5
	s_load_b256 s[12:19], s[0:1], 0x0
	s_load_b128 s[4:7], s[0:1], 0x20
	s_load_b96 s[20:22], s[0:1], 0x30
	s_load_b64 s[10:11], s[0:1], 0x40
	s_load_b96 s[28:30], s[0:1], 0x48
	s_load_b128 s[24:27], s[0:1], 0x58
	v_mov_b32_e32 v31, v0
	s_get_pc_i64 s[2:3]
	s_add_nc_u64 s[2:3], s[2:3], _ZN4vllm22paged_attention_kernelI14__hip_bfloat16hLi120ELi32ELi128ELNS_18Fp8KVCacheDataTypeE1ELb0ELi0EEEvPfS3_PT_PKS4_PKT0_SA_ifPKiSC_iPKfiiiSE_SE_iiiii@rel64+4
	s_add_nc_u64 s[8:9], s[0:1], 0x80
	s_mov_b32 s32, 0
	s_wait_kmcnt 0x0
	v_dual_mov_b32 v0, s12 :: v_dual_mov_b32 v1, s13
	v_dual_mov_b32 v2, s14 :: v_dual_mov_b32 v3, s15
	;; [unrolled: 1-line block ×12, first 2 shown]
	s_mov_b32 s15, 2
	s_swap_pc_i64 s[30:31], s[2:3]
	s_endpgm
	.section	.rodata,"a",@progbits
	.p2align	6, 0x0
	.amdhsa_kernel _ZN4vllm25paged_attention_v1_kernelI14__hip_bfloat16hLi120ELi32ELi128ELNS_18Fp8KVCacheDataTypeE1ELb0EEEvPT_PKS3_PKT0_S9_ifPKiSB_iPKfiiiSD_SD_iiiii
		.amdhsa_group_segment_fixed_size 272
		.amdhsa_private_segment_fixed_size 860
		.amdhsa_kernarg_size 384
		.amdhsa_user_sgpr_count 2
		.amdhsa_user_sgpr_dispatch_ptr 0
		.amdhsa_user_sgpr_queue_ptr 0
		.amdhsa_user_sgpr_kernarg_segment_ptr 1
		.amdhsa_user_sgpr_dispatch_id 0
		.amdhsa_user_sgpr_kernarg_preload_length 0
		.amdhsa_user_sgpr_kernarg_preload_offset 0
		.amdhsa_user_sgpr_private_segment_size 0
		.amdhsa_wavefront_size32 1
		.amdhsa_uses_dynamic_stack 0
		.amdhsa_enable_private_segment 1
		.amdhsa_system_sgpr_workgroup_id_x 1
		.amdhsa_system_sgpr_workgroup_id_y 1
		.amdhsa_system_sgpr_workgroup_id_z 1
		.amdhsa_system_sgpr_workgroup_info 0
		.amdhsa_system_vgpr_workitem_id 0
		.amdhsa_next_free_vgpr 128
		.amdhsa_next_free_sgpr 33
		.amdhsa_named_barrier_count 0
		.amdhsa_reserve_vcc 1
		.amdhsa_float_round_mode_32 0
		.amdhsa_float_round_mode_16_64 0
		.amdhsa_float_denorm_mode_32 3
		.amdhsa_float_denorm_mode_16_64 3
		.amdhsa_fp16_overflow 0
		.amdhsa_memory_ordered 1
		.amdhsa_forward_progress 1
		.amdhsa_inst_pref_size 2
		.amdhsa_round_robin_scheduling 0
		.amdhsa_exception_fp_ieee_invalid_op 0
		.amdhsa_exception_fp_denorm_src 0
		.amdhsa_exception_fp_ieee_div_zero 0
		.amdhsa_exception_fp_ieee_overflow 0
		.amdhsa_exception_fp_ieee_underflow 0
		.amdhsa_exception_fp_ieee_inexact 0
		.amdhsa_exception_int_div_zero 0
	.end_amdhsa_kernel
	.section	.text._ZN4vllm25paged_attention_v1_kernelI14__hip_bfloat16hLi120ELi32ELi128ELNS_18Fp8KVCacheDataTypeE1ELb0EEEvPT_PKS3_PKT0_S9_ifPKiSB_iPKfiiiSD_SD_iiiii,"axG",@progbits,_ZN4vllm25paged_attention_v1_kernelI14__hip_bfloat16hLi120ELi32ELi128ELNS_18Fp8KVCacheDataTypeE1ELb0EEEvPT_PKS3_PKT0_S9_ifPKiSB_iPKfiiiSD_SD_iiiii,comdat
.Lfunc_end367:
	.size	_ZN4vllm25paged_attention_v1_kernelI14__hip_bfloat16hLi120ELi32ELi128ELNS_18Fp8KVCacheDataTypeE1ELb0EEEvPT_PKS3_PKT0_S9_ifPKiSB_iPKfiiiSD_SD_iiiii, .Lfunc_end367-_ZN4vllm25paged_attention_v1_kernelI14__hip_bfloat16hLi120ELi32ELi128ELNS_18Fp8KVCacheDataTypeE1ELb0EEEvPT_PKS3_PKT0_S9_ifPKiSB_iPKfiiiSD_SD_iiiii
                                        ; -- End function
	.set _ZN4vllm25paged_attention_v1_kernelI14__hip_bfloat16hLi120ELi32ELi128ELNS_18Fp8KVCacheDataTypeE1ELb0EEEvPT_PKS3_PKT0_S9_ifPKiSB_iPKfiiiSD_SD_iiiii.num_vgpr, max(32, .L_ZN4vllm22paged_attention_kernelI14__hip_bfloat16hLi120ELi32ELi128ELNS_18Fp8KVCacheDataTypeE1ELb0ELi0EEEvPfS3_PT_PKS4_PKT0_SA_ifPKiSC_iPKfiiiSE_SE_iiiii.num_vgpr)
	.set _ZN4vllm25paged_attention_v1_kernelI14__hip_bfloat16hLi120ELi32ELi128ELNS_18Fp8KVCacheDataTypeE1ELb0EEEvPT_PKS3_PKT0_S9_ifPKiSB_iPKfiiiSD_SD_iiiii.num_agpr, max(0, .L_ZN4vllm22paged_attention_kernelI14__hip_bfloat16hLi120ELi32ELi128ELNS_18Fp8KVCacheDataTypeE1ELb0ELi0EEEvPfS3_PT_PKS4_PKT0_SA_ifPKiSC_iPKfiiiSE_SE_iiiii.num_agpr)
	.set _ZN4vllm25paged_attention_v1_kernelI14__hip_bfloat16hLi120ELi32ELi128ELNS_18Fp8KVCacheDataTypeE1ELb0EEEvPT_PKS3_PKT0_S9_ifPKiSB_iPKfiiiSD_SD_iiiii.numbered_sgpr, max(33, .L_ZN4vllm22paged_attention_kernelI14__hip_bfloat16hLi120ELi32ELi128ELNS_18Fp8KVCacheDataTypeE1ELb0ELi0EEEvPfS3_PT_PKS4_PKT0_SA_ifPKiSC_iPKfiiiSE_SE_iiiii.numbered_sgpr)
	.set _ZN4vllm25paged_attention_v1_kernelI14__hip_bfloat16hLi120ELi32ELi128ELNS_18Fp8KVCacheDataTypeE1ELb0EEEvPT_PKS3_PKT0_S9_ifPKiSB_iPKfiiiSD_SD_iiiii.num_named_barrier, max(0, .L_ZN4vllm22paged_attention_kernelI14__hip_bfloat16hLi120ELi32ELi128ELNS_18Fp8KVCacheDataTypeE1ELb0ELi0EEEvPfS3_PT_PKS4_PKT0_SA_ifPKiSC_iPKfiiiSE_SE_iiiii.num_named_barrier)
	.set _ZN4vllm25paged_attention_v1_kernelI14__hip_bfloat16hLi120ELi32ELi128ELNS_18Fp8KVCacheDataTypeE1ELb0EEEvPT_PKS3_PKT0_S9_ifPKiSB_iPKfiiiSD_SD_iiiii.private_seg_size, 0+max(.L_ZN4vllm22paged_attention_kernelI14__hip_bfloat16hLi120ELi32ELi128ELNS_18Fp8KVCacheDataTypeE1ELb0ELi0EEEvPfS3_PT_PKS4_PKT0_SA_ifPKiSC_iPKfiiiSE_SE_iiiii.private_seg_size)
	.set _ZN4vllm25paged_attention_v1_kernelI14__hip_bfloat16hLi120ELi32ELi128ELNS_18Fp8KVCacheDataTypeE1ELb0EEEvPT_PKS3_PKT0_S9_ifPKiSB_iPKfiiiSD_SD_iiiii.uses_vcc, or(1, .L_ZN4vllm22paged_attention_kernelI14__hip_bfloat16hLi120ELi32ELi128ELNS_18Fp8KVCacheDataTypeE1ELb0ELi0EEEvPfS3_PT_PKS4_PKT0_SA_ifPKiSC_iPKfiiiSE_SE_iiiii.uses_vcc)
	.set _ZN4vllm25paged_attention_v1_kernelI14__hip_bfloat16hLi120ELi32ELi128ELNS_18Fp8KVCacheDataTypeE1ELb0EEEvPT_PKS3_PKT0_S9_ifPKiSB_iPKfiiiSD_SD_iiiii.uses_flat_scratch, or(0, .L_ZN4vllm22paged_attention_kernelI14__hip_bfloat16hLi120ELi32ELi128ELNS_18Fp8KVCacheDataTypeE1ELb0ELi0EEEvPfS3_PT_PKS4_PKT0_SA_ifPKiSC_iPKfiiiSE_SE_iiiii.uses_flat_scratch)
	.set _ZN4vllm25paged_attention_v1_kernelI14__hip_bfloat16hLi120ELi32ELi128ELNS_18Fp8KVCacheDataTypeE1ELb0EEEvPT_PKS3_PKT0_S9_ifPKiSB_iPKfiiiSD_SD_iiiii.has_dyn_sized_stack, or(0, .L_ZN4vllm22paged_attention_kernelI14__hip_bfloat16hLi120ELi32ELi128ELNS_18Fp8KVCacheDataTypeE1ELb0ELi0EEEvPfS3_PT_PKS4_PKT0_SA_ifPKiSC_iPKfiiiSE_SE_iiiii.has_dyn_sized_stack)
	.set _ZN4vllm25paged_attention_v1_kernelI14__hip_bfloat16hLi120ELi32ELi128ELNS_18Fp8KVCacheDataTypeE1ELb0EEEvPT_PKS3_PKT0_S9_ifPKiSB_iPKfiiiSD_SD_iiiii.has_recursion, or(0, .L_ZN4vllm22paged_attention_kernelI14__hip_bfloat16hLi120ELi32ELi128ELNS_18Fp8KVCacheDataTypeE1ELb0ELi0EEEvPfS3_PT_PKS4_PKT0_SA_ifPKiSC_iPKfiiiSE_SE_iiiii.has_recursion)
	.set _ZN4vllm25paged_attention_v1_kernelI14__hip_bfloat16hLi120ELi32ELi128ELNS_18Fp8KVCacheDataTypeE1ELb0EEEvPT_PKS3_PKT0_S9_ifPKiSB_iPKfiiiSD_SD_iiiii.has_indirect_call, or(0, .L_ZN4vllm22paged_attention_kernelI14__hip_bfloat16hLi120ELi32ELi128ELNS_18Fp8KVCacheDataTypeE1ELb0ELi0EEEvPfS3_PT_PKS4_PKT0_SA_ifPKiSC_iPKfiiiSE_SE_iiiii.has_indirect_call)
	.section	.AMDGPU.csdata,"",@progbits
; Kernel info:
; codeLenInByte = 196
; TotalNumSgprs: 35
; NumVgprs: 128
; ScratchSize: 860
; MemoryBound: 0
; FloatMode: 240
; IeeeMode: 1
; LDSByteSize: 272 bytes/workgroup (compile time only)
; SGPRBlocks: 0
; VGPRBlocks: 7
; NumSGPRsForWavesPerEU: 35
; NumVGPRsForWavesPerEU: 128
; NamedBarCnt: 0
; Occupancy: 8
; WaveLimiterHint : 1
; COMPUTE_PGM_RSRC2:SCRATCH_EN: 1
; COMPUTE_PGM_RSRC2:USER_SGPR: 2
; COMPUTE_PGM_RSRC2:TRAP_HANDLER: 0
; COMPUTE_PGM_RSRC2:TGID_X_EN: 1
; COMPUTE_PGM_RSRC2:TGID_Y_EN: 1
; COMPUTE_PGM_RSRC2:TGID_Z_EN: 1
; COMPUTE_PGM_RSRC2:TIDIG_COMP_CNT: 0
	.text
	.p2align	2                               ; -- Begin function _ZN4vllm22paged_attention_kernelI14__hip_bfloat16hLi128ELi32ELi128ELNS_18Fp8KVCacheDataTypeE1ELb0ELi0EEEvPfS3_PT_PKS4_PKT0_SA_ifPKiSC_iPKfiiiSE_SE_iiiii
	.type	_ZN4vllm22paged_attention_kernelI14__hip_bfloat16hLi128ELi32ELi128ELNS_18Fp8KVCacheDataTypeE1ELb0ELi0EEEvPfS3_PT_PKS4_PKT0_SA_ifPKiSC_iPKfiiiSE_SE_iiiii,@function
_ZN4vllm22paged_attention_kernelI14__hip_bfloat16hLi128ELi32ELi128ELNS_18Fp8KVCacheDataTypeE1ELb0ELi0EEEvPfS3_PT_PKS4_PKT0_SA_ifPKiSC_iPKfiiiSE_SE_iiiii: ; @_ZN4vllm22paged_attention_kernelI14__hip_bfloat16hLi128ELi32ELi128ELNS_18Fp8KVCacheDataTypeE1ELb0ELi0EEEvPfS3_PT_PKS4_PKT0_SA_ifPKiSC_iPKfiiiSE_SE_iiiii
; %bb.0:
	s_wait_loadcnt_dscnt 0x0
	s_wait_kmcnt 0x0
	s_clause 0x2f
	scratch_store_b32 off, v40, s32 offset:188
	; meta instruction
	scratch_store_b32 off, v41, s32 offset:184
	; meta instruction
	;; [unrolled: 2-line block ×47, first 2 shown]
	scratch_store_b32 off, v127, s32
	s_bfe_u32 s0, ttmp6, 0x4000c
	s_bfe_u32 s2, ttmp6, 0x40010
	s_add_co_i32 s0, s0, 1
	s_and_b32 s1, ttmp6, 15
	s_mul_i32 s0, ttmp9, s0
	s_and_b32 s3, ttmp7, 0xffff
	s_add_co_i32 s2, s2, 1
	s_add_co_i32 s0, s1, s0
	s_mul_i32 s1, s3, s2
	s_bfe_u32 s2, ttmp6, 0x40004
	s_getreg_b32 s10, hwreg(HW_REG_IB_STS2, 6, 4)
	s_add_co_i32 s2, s2, s1
	s_cmp_eq_u32 s10, 0
	s_mov_b32 s1, 0
	s_cselect_b32 s11, s3, s2
	s_cselect_b32 s2, ttmp9, s0
	s_lshl_b32 s0, s11, 2
	v_dual_mov_b32 v35, v7 :: v_dual_mov_b32 v34, v6
	v_add_nc_u64_e32 v[6:7], s[0:1], v[12:13]
	s_clause 0x4
	scratch_store_b64 off, v[20:21], s32 offset:348
	scratch_store_b64 off, v[18:19], s32 offset:444
	;; [unrolled: 1-line block ×3, first 2 shown]
	scratch_store_b32 off, v9, s32 offset:356
	scratch_store_b64 off, v[0:1], s32 offset:948
	s_wait_xcnt 0x0
	v_mov_b32_e32 v1, 0
	s_clause 0x1
	s_load_u16 s0, s[8:9], 0x12
	s_load_b32 s3, s[8:9], 0x0
	v_dual_mov_b32 v25, v16 :: v_dual_mov_b32 v24, v15
	flat_load_b32 v36, v[6:7]
	s_wait_xcnt 0x0
	v_sub_nc_u32_e32 v6, 0, v8
	global_load_u16 v0, v1, s[8:9] offset:22
	s_mov_b32 s6, s15
	s_mov_b32 s4, exec_lo
	v_max_i32_e32 v6, v8, v6
	s_delay_alu instid0(VALU_DEP_1) | instskip(NEXT) | instid1(VALU_DEP_1)
	v_cvt_f32_u32_e32 v7, v6
	v_rcp_iflag_f32_e32 v7, v7
	s_wait_kmcnt 0x0
	s_cmp_lg_u32 s0, 0
	s_cselect_b32 s0, -1, 0
	s_delay_alu instid0(SALU_CYCLE_1) | instskip(SKIP_1) | instid1(TRANS32_DEP_1)
	s_cmp_lg_u32 s0, 0
	v_nop
	v_mul_f32_e32 v7, 0x4f7ffffe, v7
	v_sub_nc_u32_e32 v9, 0, v6
	s_add_co_ci_u32 s12, s3, 0
	s_delay_alu instid0(SALU_CYCLE_1) | instskip(NEXT) | instid1(VALU_DEP_2)
	s_abs_i32 s0, s12
	v_cvt_u32_f32_e32 v7, v7
	v_xor_b32_e32 v8, s12, v8
	s_delay_alu instid0(VALU_DEP_2) | instskip(NEXT) | instid1(VALU_DEP_2)
	v_mul_lo_u32 v9, v9, v7
	v_ashrrev_i32_e32 v8, 31, v8
	s_delay_alu instid0(VALU_DEP_2) | instskip(NEXT) | instid1(VALU_DEP_1)
	v_mul_hi_u32 v9, v7, v9
	v_add_nc_u32_e32 v7, v7, v9
	s_delay_alu instid0(VALU_DEP_1) | instskip(NEXT) | instid1(VALU_DEP_1)
	v_mul_hi_u32 v7, s0, v7
	v_mul_lo_u32 v9, v7, v6
	s_delay_alu instid0(VALU_DEP_1) | instskip(SKIP_1) | instid1(VALU_DEP_1)
	v_dual_add_nc_u32 v10, 1, v7 :: v_dual_sub_nc_u32 v9, s0, v9
	s_abs_i32 s0, s2
	v_sub_nc_u32_e32 v11, v9, v6
	v_cmp_ge_u32_e32 vcc_lo, v9, v6
	s_delay_alu instid0(VALU_DEP_2) | instskip(NEXT) | instid1(VALU_DEP_1)
	v_dual_cndmask_b32 v7, v7, v10, vcc_lo :: v_dual_cndmask_b32 v9, v9, v11, vcc_lo
	v_add_nc_u32_e32 v10, 1, v7
	s_delay_alu instid0(VALU_DEP_2) | instskip(NEXT) | instid1(VALU_DEP_2)
	v_cmp_ge_u32_e32 vcc_lo, v9, v6
	v_cndmask_b32_e32 v6, v7, v10, vcc_lo
	s_delay_alu instid0(VALU_DEP_1) | instskip(NEXT) | instid1(VALU_DEP_1)
	v_xor_b32_e32 v6, v6, v8
	v_sub_nc_u32_e32 v7, v6, v8
	s_delay_alu instid0(VALU_DEP_1) | instskip(NEXT) | instid1(VALU_DEP_1)
	v_sub_nc_u32_e32 v6, 0, v7
	v_max_i32_e32 v6, v7, v6
	s_delay_alu instid0(VALU_DEP_1) | instskip(SKIP_1) | instid1(VALU_DEP_2)
	v_cvt_f32_u32_e32 v8, v6
	v_sub_nc_u32_e32 v9, 0, v6
	v_rcp_iflag_f32_e32 v8, v8
	v_nop
	s_delay_alu instid0(TRANS32_DEP_1) | instskip(NEXT) | instid1(VALU_DEP_1)
	v_mul_f32_e32 v8, 0x4f7ffffe, v8
	v_cvt_u32_f32_e32 v8, v8
	s_delay_alu instid0(VALU_DEP_1) | instskip(NEXT) | instid1(VALU_DEP_1)
	v_mul_lo_u32 v9, v9, v8
	v_mul_hi_u32 v9, v8, v9
	s_wait_loadcnt 0x0
	v_readfirstlane_b32 s13, v0
	s_delay_alu instid0(VALU_DEP_2)
	v_dual_add_nc_u32 v0, v8, v9 :: v_dual_mov_b32 v8, v1
	scratch_store_b32 off, v8, s32 offset:344 ; 4-byte Folded Spill
	s_wait_xcnt 0x0
	v_cmpx_ne_u64_e32 0, v[24:25]
	s_cbranch_execz .LBB368_2
; %bb.1:
	s_ashr_i32 s3, s2, 31
	s_delay_alu instid0(SALU_CYCLE_1)
	v_lshl_add_u64 v[8:9], s[2:3], 2, v[24:25]
	flat_load_b32 v8, v[8:9]
	s_wait_loadcnt_dscnt 0x0
	scratch_store_b32 off, v8, s32 offset:344 ; 4-byte Folded Spill
.LBB368_2:
	s_wait_xcnt 0x0
	s_or_b32 exec_lo, exec_lo, s4
	v_mul_u64_e32 v[0:1], s[0:1], v[0:1]
	v_and_b32_e32 v89, 0x3ff, v31
	v_ashrrev_i32_e32 v0, 31, v7
	s_ashr_i32 s1, s2, 31
	s_lshl_b32 s4, s2, 7
	s_mov_b32 s2, exec_lo
	v_cmpx_gt_u32_e32 16, v89
	s_cbranch_execz .LBB368_4
; %bb.3:
	v_mul_lo_u32 v8, v17, s11
	s_ashr_i32 s5, s4, 31
	v_dual_mov_b32 v13, 0 :: v_dual_lshlrev_b32 v12, 4, v89
	s_delay_alu instid0(VALU_DEP_2) | instskip(NEXT) | instid1(VALU_DEP_1)
	v_ashrrev_i32_e32 v9, 31, v8
	v_lshl_add_u64 v[2:3], v[8:9], 1, v[2:3]
	s_delay_alu instid0(VALU_DEP_1) | instskip(NEXT) | instid1(VALU_DEP_1)
	v_lshl_add_u64 v[2:3], s[4:5], 1, v[2:3]
	v_add_nc_u64_e32 v[2:3], v[2:3], v[12:13]
	flat_load_b128 v[8:11], v[2:3]
	s_wait_loadcnt_dscnt 0x0
	ds_store_b128 v12, v[8:11]
.LBB368_4:
	s_wait_xcnt 0x0
	s_or_b32 exec_lo, exec_lo, s2
	s_delay_alu instid0(VALU_DEP_4)
	v_mul_lo_u32 v2, v1, v6
	s_load_b32 s5, s[8:9], 0x8
	s_wait_xcnt 0x0
	s_get_pc_i64 s[8:9]
	s_add_nc_u64 s[8:9], s[8:9], llvm.amdgcn.dynlds.offset.table@rel64+4
	v_dual_mov_b32 v20, 0xff7fffff :: v_dual_add_nc_u32 v3, 1, v1
	s_delay_alu instid0(VALU_DEP_2) | instskip(NEXT) | instid1(VALU_DEP_1)
	v_sub_nc_u32_e32 v2, s0, v2
	v_cmp_ge_u32_e32 vcc_lo, v2, v6
	s_delay_alu instid0(VALU_DEP_3) | instskip(NEXT) | instid1(VALU_DEP_1)
	v_dual_sub_nc_u32 v7, v2, v6 :: v_dual_cndmask_b32 v1, v1, v3, vcc_lo
	v_dual_cndmask_b32 v2, v2, v7 :: v_dual_add_nc_u32 v3, 1, v1
	s_delay_alu instid0(VALU_DEP_1) | instskip(SKIP_4) | instid1(VALU_DEP_3)
	v_cmp_ge_u32_e32 vcc_lo, v2, v6
	s_wait_dscnt 0x0
	v_add_nc_u32_e32 v7, 31, v36
	v_mul_lo_u32 v6, v14, s11
	v_dual_cndmask_b32 v1, v1, v3, vcc_lo :: v_dual_bitop2_b32 v0, s1, v0 bitop3:0x14
	v_dual_ashrrev_i32 v2, 31, v7 :: v_dual_lshrrev_b32 v3, 3, v89
	s_delay_alu instid0(VALU_DEP_1) | instskip(NEXT) | instid1(VALU_DEP_1)
	v_dual_lshrrev_b32 v2, 27, v2 :: v_dual_bitop2_b32 v1, v1, v0 bitop3:0x14
	v_dual_sub_nc_u32 v0, v1, v0 :: v_dual_add_nc_u32 v1, v7, v2
	v_dual_ashrrev_i32 v7, 31, v6 :: v_dual_bitop2_b32 v2, 31, v89 bitop3:0x40
	scratch_store_b32 off, v3, s32 offset:944 ; 4-byte Folded Spill
	v_mul_lo_u32 v8, v0, v19
	v_lshrrev_b32_e32 v0, 5, v89
	v_ashrrev_i32_e32 v1, 5, v1
	s_clause 0x2
	scratch_store_b64 off, v[6:7], s32 offset:936
	scratch_store_b32 off, v0, s32 offset:912
	scratch_store_b32 off, v1, s32 offset:208
	v_cmp_ge_i32_e64 s0, v0, v1
	v_cmp_lt_i32_e32 vcc_lo, v0, v1
	v_dual_lshlrev_b32 v16, 2, v2 :: v_dual_ashrrev_i32 v9, 31, v8
	s_clause 0x1
	scratch_store_b64 off, v[8:9], s32 offset:920
	scratch_store_b32 off, v2, s32 offset:908
	s_wait_storecnt 0x0
	s_barrier_signal -1
	s_barrier_wait -1
	s_wait_xcnt 0x0
	s_mov_b32 s14, exec_lo
	s_delay_alu instid0(SALU_CYCLE_1)
	s_and_b32 s1, s14, vcc_lo
	scratch_store_b32 off, v89, s32 offset:916 ; 4-byte Folded Spill
	s_wait_xcnt 0x0
	s_mov_b32 exec_lo, s1
	s_cbranch_execz .LBB368_1032
; %bb.5:
	v_mov_b32_e32 v17, 0
	s_clause 0x2
	scratch_store_b32 off, v36, s32 offset:360
	scratch_store_b64 off, v[34:35], s32 offset:964
	scratch_store_b64 off, v[22:23], s32 offset:956
	s_ashr_i32 s7, s6, 31
	ds_load_b128 v[0:3], v17
	ds_load_b128 v[6:9], v17 offset:16
	ds_load_b128 v[18:21], v17 offset:32
	;; [unrolled: 1-line block ×3, first 2 shown]
	s_wait_xcnt 0x1
	ds_load_b128 v[32:35], v17 offset:64
	s_lshl_b64 s[2:3], s[6:7], 2
	s_mov_b32 s7, 0
	s_add_nc_u64 s[2:3], s[8:9], s[2:3]
	s_wait_dscnt 0x4
	v_and_b32_e32 v11, 0xffff0000, v0
	v_lshlrev_b32_e32 v10, 16, v0
	ds_load_b128 v[12:15], v17 offset:80
	ds_load_b128 v[28:31], v17 offset:96
	s_wait_dscnt 0x5
	v_lshlrev_b32_e32 v0, 16, v7
	scratch_store_b64 off, v[10:11], s32 offset:364 ; 8-byte Folded Spill
	s_wait_xcnt 0x0
	v_and_b32_e32 v11, 0xffff0000, v6
	v_lshlrev_b32_e32 v10, 16, v6
	scratch_store_b64 off, v[10:11], s32 offset:372 ; 8-byte Folded Spill
	s_wait_dscnt 0x4
	s_wait_xcnt 0x0
	v_and_b32_e32 v11, 0xffff0000, v18
	v_lshlrev_b32_e32 v10, 16, v18
	scratch_store_b64 off, v[10:11], s32 offset:380 ; 8-byte Folded Spill
	s_wait_xcnt 0x0
	v_and_b32_e32 v11, 0xffff0000, v1
	v_lshlrev_b32_e32 v10, 16, v1
	v_and_b32_e32 v1, 0xffff0000, v7
	s_wait_dscnt 0x1
	v_and_b32_e32 v7, 0xffff0000, v15
	v_lshlrev_b32_e32 v6, 16, v15
	s_clause 0x1
	scratch_store_b64 off, v[10:11], s32 offset:388
	scratch_store_b64 off, v[0:1], s32 offset:396
	s_wait_xcnt 0x0
	v_and_b32_e32 v1, 0xffff0000, v19
	v_lshlrev_b32_e32 v0, 16, v19
	scratch_store_b64 off, v[6:7], s32 offset:572 ; 8-byte Folded Spill
	s_wait_dscnt 0x0
	s_wait_xcnt 0x0
	v_and_b32_e32 v7, 0xffff0000, v28
	v_lshlrev_b32_e32 v6, 16, v28
	v_and_b32_e32 v11, 0xffff0000, v31
	scratch_store_b64 off, v[0:1], s32 offset:404 ; 8-byte Folded Spill
	s_wait_xcnt 0x0
	v_and_b32_e32 v1, 0xffff0000, v2
	v_lshlrev_b32_e32 v0, 16, v2
	scratch_store_b64 off, v[6:7], s32 offset:580 ; 8-byte Folded Spill
	s_wait_xcnt 0x0
	v_and_b32_e32 v7, 0xffff0000, v29
	v_dual_lshlrev_b32 v6, 16, v29 :: v_dual_lshlrev_b32 v10, 16, v31
	scratch_store_b64 off, v[0:1], s32 offset:412 ; 8-byte Folded Spill
	s_wait_xcnt 0x0
	v_and_b32_e32 v1, 0xffff0000, v8
	v_lshlrev_b32_e32 v0, 16, v8
	scratch_store_b64 off, v[6:7], s32 offset:588 ; 8-byte Folded Spill
	s_wait_xcnt 0x0
	v_and_b32_e32 v7, 0xffff0000, v30
	v_lshlrev_b32_e32 v6, 16, v30
	;; [unrolled: 4-line block ×6, first 2 shown]
	ds_load_b128 v[18:21], v17 offset:176
	scratch_store_b64 off, v[0:1], s32 offset:468 ; 8-byte Folded Spill
	s_wait_xcnt 0x0
	v_and_b32_e32 v1, 0xffff0000, v24
	v_lshlrev_b32_e32 v0, 16, v24
	scratch_store_b64 off, v[0:1], s32 offset:484 ; 8-byte Folded Spill
	s_wait_xcnt 0x0
	v_and_b32_e32 v1, 0xffff0000, v25
	v_lshlrev_b32_e32 v0, 16, v25
	;; [unrolled: 4-line block ×4, first 2 shown]
	ds_load_b128 v[24:27], v17 offset:112
	scratch_store_b64 off, v[0:1], s32 offset:508 ; 8-byte Folded Spill
	s_wait_xcnt 0x0
	v_and_b32_e32 v1, 0xffff0000, v32
	v_lshlrev_b32_e32 v0, 16, v32
	scratch_store_b64 off, v[0:1], s32 offset:516 ; 8-byte Folded Spill
	s_wait_xcnt 0x0
	v_and_b32_e32 v1, 0xffff0000, v33
	v_lshlrev_b32_e32 v0, 16, v33
	;; [unrolled: 4-line block ×7, first 2 shown]
	scratch_store_b64 off, v[0:1], s32 offset:564 ; 8-byte Folded Spill
	s_wait_xcnt 0x0
	ds_load_b128 v[0:3], v17 offset:128
	s_wait_dscnt 0x1
	v_and_b32_e32 v15, 0xffff0000, v27
	v_lshlrev_b32_e32 v14, 16, v27
	scratch_store_b64 off, v[10:11], s32 offset:604 ; 8-byte Folded Spill
	s_wait_xcnt 0x0
	v_and_b32_e32 v11, 0xffff0000, v24
	v_lshlrev_b32_e32 v10, 16, v24
	scratch_store_b64 off, v[6:7], s32 offset:596 ; 8-byte Folded Spill
	s_wait_xcnt 0x0
	ds_load_b128 v[6:9], v17 offset:144
	scratch_store_b64 off, v[14:15], s32 offset:636 ; 8-byte Folded Spill
	s_wait_dscnt 0x1
	s_wait_xcnt 0x0
	v_and_b32_e32 v15, 0xffff0000, v0
	v_lshlrev_b32_e32 v14, 16, v0
	scratch_store_b64 off, v[10:11], s32 offset:612 ; 8-byte Folded Spill
	s_wait_xcnt 0x0
	v_and_b32_e32 v11, 0xffff0000, v25
	v_dual_lshlrev_b32 v10, 16, v25 :: v_dual_lshlrev_b32 v0, 16, v2
	scratch_store_b64 off, v[14:15], s32 offset:644 ; 8-byte Folded Spill
	s_wait_xcnt 0x0
	v_and_b32_e32 v15, 0xffff0000, v1
	v_lshlrev_b32_e32 v14, 16, v1
	scratch_store_b64 off, v[10:11], s32 offset:620 ; 8-byte Folded Spill
	s_wait_xcnt 0x0
	v_and_b32_e32 v11, 0xffff0000, v26
	v_lshlrev_b32_e32 v10, 16, v26
	v_and_b32_e32 v1, 0xffff0000, v2
	s_clause 0x1
	scratch_store_b64 off, v[10:11], s32 offset:628
	scratch_store_b64 off, v[0:1], s32 offset:660
	s_wait_xcnt 0x1
	ds_load_b128 v[10:13], v17 offset:160
	s_wait_xcnt 0x0
	v_and_b32_e32 v1, 0xffff0000, v3
	v_lshlrev_b32_e32 v0, 16, v3
	s_clause 0x1
	scratch_store_b64 off, v[14:15], s32 offset:652
	scratch_store_b64 off, v[0:1], s32 offset:668
	s_wait_dscnt 0x1
	s_wait_xcnt 0x0
	v_and_b32_e32 v1, 0xffff0000, v6
	v_dual_lshlrev_b32 v0, 16, v6 :: v_dual_lshlrev_b32 v6, 16, v9
	scratch_store_b64 off, v[0:1], s32 offset:676 ; 8-byte Folded Spill
	s_wait_xcnt 0x0
	v_and_b32_e32 v1, 0xffff0000, v7
	v_lshlrev_b32_e32 v0, 16, v7
	v_and_b32_e32 v7, 0xffff0000, v9
	s_clause 0x1
	scratch_store_b64 off, v[0:1], s32 offset:684
	scratch_store_b64 off, v[6:7], s32 offset:700
	s_wait_xcnt 0x1
	v_and_b32_e32 v1, 0xffff0000, v8
	v_lshlrev_b32_e32 v0, 16, v8
	s_wait_dscnt 0x0
	s_wait_xcnt 0x0
	v_and_b32_e32 v7, 0xffff0000, v10
	v_dual_lshlrev_b32 v6, 16, v10 :: v_dual_lshlrev_b32 v10, 16, v12
	scratch_store_b64 off, v[0:1], s32 offset:692 ; 8-byte Folded Spill
	s_wait_xcnt 0x0
	ds_load_b128 v[0:3], v17 offset:192
	scratch_store_b64 off, v[6:7], s32 offset:708 ; 8-byte Folded Spill
	s_wait_xcnt 0x0
	v_and_b32_e32 v7, 0xffff0000, v11
	v_lshlrev_b32_e32 v6, 16, v11
	v_and_b32_e32 v11, 0xffff0000, v12
	s_clause 0x1
	scratch_store_b64 off, v[6:7], s32 offset:716
	scratch_store_b64 off, v[10:11], s32 offset:724
	s_wait_xcnt 0x0
	v_and_b32_e32 v11, 0xffff0000, v13
	v_lshlrev_b32_e32 v10, 16, v13
	ds_load_b128 v[6:9], v17 offset:208
	scratch_store_b64 off, v[10:11], s32 offset:732 ; 8-byte Folded Spill
	s_wait_xcnt 0x0
	v_and_b32_e32 v11, 0xffff0000, v18
	v_lshlrev_b32_e32 v10, 16, v18
	scratch_store_b64 off, v[10:11], s32 offset:740 ; 8-byte Folded Spill
	s_wait_xcnt 0x0
	v_and_b32_e32 v11, 0xffff0000, v19
	v_lshlrev_b32_e32 v10, 16, v19
	;; [unrolled: 4-line block ×3, first 2 shown]
	v_mov_b32_e32 v20, 0xff7fffff
	scratch_store_b64 off, v[10:11], s32 offset:756 ; 8-byte Folded Spill
	s_wait_xcnt 0x0
	v_and_b32_e32 v11, 0xffff0000, v21
	v_lshlrev_b32_e32 v10, 16, v21
	scratch_store_b64 off, v[10:11], s32 offset:764 ; 8-byte Folded Spill
	s_wait_dscnt 0x1
	s_wait_xcnt 0x0
	v_and_b32_e32 v11, 0xffff0000, v0
	v_dual_lshlrev_b32 v10, 16, v0 :: v_dual_lshlrev_b32 v0, 16, v2
	scratch_store_b64 off, v[10:11], s32 offset:772 ; 8-byte Folded Spill
	s_wait_xcnt 0x0
	v_and_b32_e32 v11, 0xffff0000, v1
	v_lshlrev_b32_e32 v10, 16, v1
	v_and_b32_e32 v1, 0xffff0000, v2
	s_clause 0x1
	scratch_store_b64 off, v[10:11], s32 offset:780
	scratch_store_b64 off, v[0:1], s32 offset:788
	s_wait_xcnt 0x0
	v_and_b32_e32 v1, 0xffff0000, v3
	v_lshlrev_b32_e32 v0, 16, v3
	scratch_store_b64 off, v[0:1], s32 offset:796 ; 8-byte Folded Spill
	s_wait_dscnt 0x0
	s_wait_xcnt 0x0
	v_and_b32_e32 v1, 0xffff0000, v6
	v_lshlrev_b32_e32 v0, 16, v6
	scratch_store_b64 off, v[0:1], s32 offset:804 ; 8-byte Folded Spill
	s_wait_xcnt 0x0
	v_and_b32_e32 v1, 0xffff0000, v7
	v_lshlrev_b32_e32 v0, 16, v7
	scratch_store_b64 off, v[0:1], s32 offset:812 ; 8-byte Folded Spill
	;; [unrolled: 4-line block ×4, first 2 shown]
	s_wait_xcnt 0x0
	ds_load_b128 v[0:3], v17 offset:224
	ds_load_b128 v[6:9], v17 offset:240
	scratch_load_b32 v108, off, s32 offset:912 ; 4-byte Folded Reload
	s_load_b32 s1, s[2:3], 0x0
	s_wait_xcnt 0x0
	s_mov_b64 s[2:3], 0xffffffffffffff
	scratch_store_b32 off, v16, s32 offset:972 ; 4-byte Folded Spill
	s_wait_dscnt 0x1
	v_and_b32_e32 v11, 0xffff0000, v0
	v_dual_lshlrev_b32 v10, 16, v0 :: v_dual_lshlrev_b32 v0, 16, v2
	scratch_store_b64 off, v[10:11], s32 offset:836 ; 8-byte Folded Spill
	s_wait_xcnt 0x0
	v_and_b32_e32 v11, 0xffff0000, v1
	v_lshlrev_b32_e32 v10, 16, v1
	v_and_b32_e32 v1, 0xffff0000, v2
	s_clause 0x1
	scratch_store_b64 off, v[10:11], s32 offset:844
	scratch_store_b64 off, v[0:1], s32 offset:852
	s_wait_xcnt 0x0
	v_and_b32_e32 v1, 0xffff0000, v3
	v_dual_mov_b32 v3, v17 :: v_dual_lshlrev_b32 v0, 16, v3
	scratch_store_b64 off, v[0:1], s32 offset:860 ; 8-byte Folded Spill
	s_wait_dscnt 0x0
	s_wait_xcnt 0x0
	v_and_b32_e32 v1, 0xffff0000, v6
	v_lshlrev_b32_e32 v0, 16, v6
	scratch_store_b64 off, v[0:1], s32 offset:868 ; 8-byte Folded Spill
	s_wait_xcnt 0x0
	v_and_b32_e32 v1, 0xffff0000, v7
	v_lshlrev_b32_e32 v0, 16, v7
	scratch_store_b64 off, v[0:1], s32 offset:876 ; 8-byte Folded Spill
	;; [unrolled: 4-line block ×3, first 2 shown]
	s_wait_xcnt 0x0
	v_and_b32_e32 v1, 0xffff0000, v9
	v_lshlrev_b32_e32 v0, 16, v9
	s_clause 0x1
	scratch_store_b64 off, v[0:1], s32 offset:892
	scratch_load_b64 v[0:1], off, s32 offset:920
	s_wait_loadcnt 0x0
	v_add_nc_u64_e32 v[0:1], v[4:5], v[0:1]
	scratch_load_b32 v4, off, s32 offset:908 ; 4-byte Folded Reload
	s_wait_loadcnt 0x0
	v_lshlrev_b32_e32 v2, 4, v4
	v_lshl_or_b32 v36, v108, 5, v4
	s_delay_alu instid0(VALU_DEP_2)
	v_add_nc_u64_e32 v[0:1], v[0:1], v[2:3]
	s_clause 0x2
	scratch_load_b64 v[2:3], off, s32 offset:936
	scratch_store_b64 off, v[0:1], s32 offset:900
	scratch_load_b32 v0, off, s32 offset:944
	v_mov_b32_e32 v1, v17
	s_wait_loadcnt 0x0
	v_and_b32_e32 v0, 0x7c, v0
	s_delay_alu instid0(VALU_DEP_1)
	v_lshl_add_u64 v[0:1], v[2:3], 2, v[0:1]
	scratch_load_b32 v2, off, s32 offset:344 ; 4-byte Folded Reload
	s_wait_loadcnt 0x0
	v_cmp_neq_f32_e32 vcc_lo, 0, v2
	scratch_load_b64 v[2:3], off, s32 offset:928 ; 8-byte Folded Reload
	s_wait_loadcnt 0x0
	v_add_nc_u64_e32 v[2:3], v[2:3], v[0:1]
	v_lshl_or_b32 v0, v108, 7, v16
	s_wait_kmcnt 0x0
	s_delay_alu instid0(VALU_DEP_1)
	v_add_nc_u32_e32 v37, s1, v0
	s_branch .LBB368_10
.LBB368_6:                              ;   in Loop: Header=BB368_10 Depth=1
	s_or_b32 exec_lo, exec_lo, s18
	s_delay_alu instid0(VALU_DEP_1) | instskip(NEXT) | instid1(VALU_DEP_2)
	v_dual_lshlrev_b32 v4, 24, v4 :: v_dual_lshlrev_b32 v16, 20, v34
	v_lshl_add_u32 v9, v9, 23, 0x3c000000
	s_delay_alu instid0(VALU_DEP_2) | instskip(NEXT) | instid1(VALU_DEP_1)
	v_and_b32_e32 v4, 0x80000000, v4
	v_or3_b32 v9, v16, v4, v9
.LBB368_7:                              ;   in Loop: Header=BB368_10 Depth=1
	s_or_b32 exec_lo, exec_lo, s17
.LBB368_8:                              ;   in Loop: Header=BB368_10 Depth=1
	s_delay_alu instid0(SALU_CYCLE_1)
	s_or_b32 exec_lo, exec_lo, s16
	v_dual_mov_b32 v37, v109 :: v_dual_mov_b32 v36, v26
	v_mov_b32_e32 v108, v27
.LBB368_9:                              ;   in Loop: Header=BB368_10 Depth=1
	s_or_b32 exec_lo, exec_lo, s15
	v_pk_mul_f32 v[0:1], v[88:89], v[0:1] op_sel_hi:[0,1]
	v_pk_mul_f32 v[6:7], v[88:89], v[6:7] op_sel_hi:[0,1]
	;; [unrolled: 1-line block ×5, first 2 shown]
	scratch_store_b64 off, v[0:1], s32 offset:328 ; 8-byte Folded Spill
	s_wait_xcnt 0x0
	v_pk_mul_f32 v[0:1], v[88:89], v[32:33] op_sel_hi:[0,1]
	scratch_store_b64 off, v[6:7], s32 offset:280 ; 8-byte Folded Spill
	v_pk_mul_f32 v[106:107], v[88:89], v[106:107] op_sel_hi:[0,1]
	v_pk_mul_f32 v[104:105], v[88:89], v[104:105] op_sel_hi:[0,1]
	v_pk_mul_f32 v[90:91], v[88:89], v[90:91] op_sel_hi:[0,1]
	scratch_store_b64 off, v[0:1], s32 offset:264 ; 8-byte Folded Spill
	s_wait_xcnt 0x0
	v_pk_mul_f32 v[0:1], v[88:89], v[124:125] op_sel_hi:[0,1]
	v_pk_mul_f32 v[124:125], v[88:89], v[66:67] op_sel_hi:[0,1]
	v_pk_mul_f32 v[76:77], v[88:89], v[76:77] op_sel_hi:[0,1]
	v_pk_mul_f32 v[74:75], v[88:89], v[74:75] op_sel_hi:[0,1]
	v_pk_mul_f32 v[60:61], v[88:89], v[60:61] op_sel_hi:[0,1]
	scratch_store_b64 off, v[0:1], s32 offset:296 ; 8-byte Folded Spill
	s_wait_xcnt 0x0
	v_pk_mul_f32 v[0:1], v[88:89], v[126:127] op_sel_hi:[0,1]
	v_pk_mul_f32 v[58:59], v[88:89], v[58:59] op_sel_hi:[0,1]
	;; [unrolled: 7-line block ×4, first 2 shown]
	v_fma_mixlo_bf16 v39, v88, v5, 0
	v_fma_mixlo_bf16 v68, v88, v19, 0
	;; [unrolled: 1-line block ×3, first 2 shown]
	scratch_store_b64 off, v[0:1], s32 offset:288 ; 8-byte Folded Spill
	s_wait_xcnt 0x0
	v_pk_mul_f32 v[0:1], v[88:89], v[94:95] op_sel_hi:[0,1]
	v_pk_mul_f32 v[94:95], v[88:89], v[50:51] op_sel_hi:[0,1]
	v_fma_mixlo_bf16 v14, v88, v15, 0
	v_add_nc_u32_e32 v108, 4, v108
	s_clause 0x2
	scratch_load_b64 v[18:19], off, s32 offset:836
	scratch_load_b64 v[2:3], off, s32 offset:192 th:TH_LOAD_LU
	scratch_store_b64 off, v[0:1], s32 offset:304
	s_wait_xcnt 0x0
	v_pk_mul_f32 v[0:1], v[88:89], v[78:79] op_sel_hi:[0,1]
	v_pk_mul_f32 v[78:79], v[88:89], v[80:81] op_sel_hi:[0,1]
	scratch_store_b64 off, v[0:1], s32 offset:312 ; 8-byte Folded Spill
	s_wait_xcnt 0x0
	v_pk_mul_f32 v[0:1], v[88:89], v[62:63] op_sel_hi:[0,1]
	v_pk_mul_f32 v[62:63], v[88:89], v[24:25] op_sel_hi:[0,1]
	v_fma_mixlo_bf16 v25, v88, v21, 0
	v_fma_mixlo_bf16 v89, v88, v89, 0
	s_clause 0x1
	scratch_store_b64 off, v[0:1], s32 offset:336
	scratch_load_b32 v0, off, s32 offset:240 th:TH_LOAD_LU
	v_pk_mul_f32 v[28:29], v[88:89], v[118:119] op_sel_hi:[0,1]
	v_pk_mul_f32 v[118:119], v[88:89], v[100:101] op_sel_hi:[0,1]
	;; [unrolled: 1-line block ×10, first 2 shown]
	v_cvt_pk_bf16_f32 v48, v48, v49
	v_pk_mul_f32 v[50:51], v[88:89], v[98:99] op_sel_hi:[0,1]
	v_pk_mul_f32 v[30:31], v[88:89], v[12:13] op_sel_hi:[0,1]
	;; [unrolled: 1-line block ×4, first 2 shown]
	v_and_b32_e32 v49, 0xffff0000, v48
	v_lshlrev_b32_e32 v48, 16, v48
	v_pk_mul_f32 v[86:87], v[88:89], v[86:87] op_sel_hi:[0,1]
	v_pk_mul_f32 v[102:103], v[88:89], v[102:103] op_sel_hi:[0,1]
	;; [unrolled: 1-line block ×7, first 2 shown]
	s_wait_loadcnt 0x1
	v_pk_mul_f32 v[2:3], v[88:89], v[2:3] op_sel_hi:[0,1]
	s_delay_alu instid0(VALU_DEP_1) | instskip(NEXT) | instid1(VALU_DEP_1)
	v_cvt_pk_bf16_f32 v2, v2, v3
	v_and_b32_e32 v3, 0xffff0000, v2
	v_lshlrev_b32_e32 v2, 16, v2
	s_wait_loadcnt 0x0
	v_fma_mixlo_bf16 v6, v88, v0, 0
	scratch_load_b32 v0, off, s32 offset:244 th:TH_LOAD_LU ; 4-byte Folded Reload
	s_wait_loadcnt 0x0
	v_fma_mixlo_bf16 v69, v88, v0, 0
	scratch_load_b32 v0, off, s32 offset:232 th:TH_LOAD_LU ; 4-byte Folded Reload
	;; [unrolled: 3-line block ×9, first 2 shown]
	s_wait_loadcnt 0x0
	v_fma_mixlo_bf16 v21, v88, v0, 0
	scratch_load_b64 v[0:1], off, s32 offset:200 th:TH_LOAD_LU ; 8-byte Folded Reload
	s_wait_loadcnt 0x0
	v_pk_mul_f32 v[54:55], v[88:89], v[0:1] op_sel_hi:[0,1]
	v_pk_mul_f32 v[0:1], v[88:89], v[114:115] op_sel_hi:[0,1]
	s_delay_alu instid0(VALU_DEP_2) | instskip(SKIP_4) | instid1(VALU_DEP_1)
	v_cvt_pk_bf16_f32 v8, v54, v55
	scratch_load_b64 v[54:55], off, s32 offset:372 ; 8-byte Folded Reload
	v_and_b32_e32 v9, 0xffff0000, v8
	v_lshlrev_b32_e32 v8, 16, v8
	s_wait_loadcnt 0x0
	v_pk_mul_f32 v[8:9], v[54:55], v[8:9]
	scratch_load_b64 v[54:55], off, s32 offset:364 ; 8-byte Folded Reload
	s_wait_loadcnt 0x0
	v_pk_fma_f32 v[8:9], v[54:55], v[48:49], v[8:9]
	scratch_load_b64 v[54:55], off, s32 offset:380 ; 8-byte Folded Reload
	v_cvt_pk_bf16_f32 v48, v64, v65
	s_delay_alu instid0(VALU_DEP_1) | instskip(SKIP_2) | instid1(VALU_DEP_1)
	v_and_b32_e32 v49, 0xffff0000, v48
	v_lshlrev_b32_e32 v48, 16, v48
	s_wait_loadcnt 0x0
	v_pk_fma_f32 v[8:9], v[54:55], v[48:49], v[8:9]
	scratch_load_b64 v[54:55], off, s32 offset:484 ; 8-byte Folded Reload
	v_cvt_pk_bf16_f32 v48, v118, v119
	s_delay_alu instid0(VALU_DEP_1) | instskip(SKIP_2) | instid1(VALU_DEP_1)
	v_and_b32_e32 v49, 0xffff0000, v48
	v_lshlrev_b32_e32 v48, 16, v48
	s_wait_loadcnt 0x0
	v_pk_fma_f32 v[54:55], v[54:55], v[48:49], v[8:9]
	v_cvt_pk_bf16_f32 v48, v50, v51
	scratch_load_b64 v[50:51], off, s32 offset:396 ; 8-byte Folded Reload
	v_cvt_pk_bf16_f32 v8, v52, v53
	v_and_b32_e32 v49, 0xffff0000, v48
	v_lshlrev_b32_e32 v48, 16, v48
	s_delay_alu instid0(VALU_DEP_3) | instskip(SKIP_2) | instid1(VALU_DEP_1)
	v_and_b32_e32 v9, 0xffff0000, v8
	v_lshlrev_b32_e32 v8, 16, v8
	s_wait_loadcnt 0x0
	v_pk_mul_f32 v[8:9], v[50:51], v[8:9]
	scratch_load_b64 v[50:51], off, s32 offset:388 ; 8-byte Folded Reload
	s_wait_loadcnt 0x0
	v_pk_fma_f32 v[8:9], v[50:51], v[48:49], v[8:9]
	scratch_load_b64 v[50:51], off, s32 offset:404 ; 8-byte Folded Reload
	v_cvt_pk_bf16_f32 v48, v86, v87
	s_delay_alu instid0(VALU_DEP_1) | instskip(SKIP_2) | instid1(VALU_DEP_1)
	v_and_b32_e32 v49, 0xffff0000, v48
	v_lshlrev_b32_e32 v48, 16, v48
	s_wait_loadcnt 0x0
	v_pk_fma_f32 v[8:9], v[50:51], v[48:49], v[8:9]
	scratch_load_b64 v[50:51], off, s32 offset:492 ; 8-byte Folded Reload
	v_cvt_pk_bf16_f32 v48, v102, v103
	s_delay_alu instid0(VALU_DEP_1) | instskip(SKIP_2) | instid1(VALU_DEP_1)
	v_and_b32_e32 v49, 0xffff0000, v48
	v_lshlrev_b32_e32 v48, 16, v48
	s_wait_loadcnt 0x0
	v_pk_fma_f32 v[52:53], v[50:51], v[48:49], v[8:9]
	v_cvt_pk_bf16_f32 v8, v80, v81
	v_cvt_pk_bf16_f32 v48, v0, v1
	scratch_load_b64 v[50:51], off, s32 offset:548 ; 8-byte Folded Reload
	v_and_b32_e32 v1, 0xffff0000, v8
	v_lshlrev_b32_e32 v0, 16, v8
	v_and_b32_e32 v9, 0xffff0000, v48
	v_lshlrev_b32_e32 v8, 16, v48
	scratch_load_b64 v[48:49], off, s32 offset:420 ; 8-byte Folded Reload
	s_wait_loadcnt 0x0
	v_pk_mul_f32 v[0:1], v[48:49], v[0:1]
	scratch_load_b64 v[48:49], off, s32 offset:412 ; 8-byte Folded Reload
	s_wait_loadcnt 0x0
	v_pk_fma_f32 v[0:1], v[48:49], v[8:9], v[0:1]
	scratch_load_b64 v[48:49], off, s32 offset:428 ; 8-byte Folded Reload
	v_cvt_pk_bf16_f32 v8, v96, v97
	s_delay_alu instid0(VALU_DEP_1) | instskip(SKIP_2) | instid1(VALU_DEP_1)
	v_and_b32_e32 v9, 0xffff0000, v8
	v_lshlrev_b32_e32 v8, 16, v8
	s_wait_loadcnt 0x0
	v_pk_fma_f32 v[0:1], v[48:49], v[8:9], v[0:1]
	scratch_load_b64 v[48:49], off, s32 offset:500 ; 8-byte Folded Reload
	v_cvt_pk_bf16_f32 v8, v112, v113
	s_delay_alu instid0(VALU_DEP_1) | instskip(SKIP_2) | instid1(VALU_DEP_1)
	v_and_b32_e32 v9, 0xffff0000, v8
	v_lshlrev_b32_e32 v8, 16, v8
	;; [unrolled: 7-line block ×3, first 2 shown]
	s_wait_loadcnt 0x0
	v_pk_mul_f32 v[0:1], v[8:9], v[0:1]
	scratch_load_b64 v[8:9], off, s32 offset:436 ; 8-byte Folded Reload
	s_wait_loadcnt 0x0
	v_pk_fma_f32 v[0:1], v[8:9], v[2:3], v[0:1]
	scratch_load_b64 v[8:9], off, s32 offset:468 ; 8-byte Folded Reload
	v_cvt_pk_bf16_f32 v2, v84, v85
	s_delay_alu instid0(VALU_DEP_1) | instskip(SKIP_2) | instid1(VALU_DEP_1)
	v_and_b32_e32 v3, 0xffff0000, v2
	v_lshlrev_b32_e32 v2, 16, v2
	s_wait_loadcnt 0x0
	v_pk_fma_f32 v[0:1], v[8:9], v[2:3], v[0:1]
	scratch_load_b64 v[8:9], off, s32 offset:508 ; 8-byte Folded Reload
	v_cvt_pk_bf16_f32 v2, v100, v101
	s_delay_alu instid0(VALU_DEP_1) | instskip(SKIP_2) | instid1(VALU_DEP_1)
	v_and_b32_e32 v3, 0xffff0000, v2
	v_lshlrev_b32_e32 v2, 16, v2
	s_wait_loadcnt 0x0
	v_pk_fma_f32 v[8:9], v[8:9], v[2:3], v[0:1]
	v_cvt_pk_bf16_f32 v0, v116, v117
	v_dual_lshlrev_b32 v2, 16, v14 :: v_dual_lshlrev_b32 v3, 16, v25
	s_delay_alu instid0(VALU_DEP_2) | instskip(SKIP_4) | instid1(VALU_DEP_1)
	v_and_b32_e32 v65, 0xffff0000, v0
	v_lshlrev_b32_e32 v64, 16, v0
	scratch_load_b64 v[0:1], off, s32 offset:516 ; 8-byte Folded Reload
	s_wait_loadcnt 0x0
	v_pk_fma_f32 v[0:1], v[0:1], v[64:65], v[54:55]
	v_pk_fma_f32 v[0:1], v[2:3], v[50:51], v[0:1]
	scratch_load_b64 v[50:51], off, s32 offset:580 ; 8-byte Folded Reload
	v_dual_lshlrev_b32 v3, 16, v7 :: v_dual_lshlrev_b32 v2, 16, v4
	v_cvt_pk_bf16_f32 v4, v42, v43
	s_wait_loadcnt 0x0
	s_delay_alu instid0(VALU_DEP_2) | instskip(SKIP_2) | instid1(VALU_DEP_1)
	v_pk_fma_f32 v[0:1], v[50:51], v[2:3], v[0:1]
	scratch_load_b64 v[50:51], off, s32 offset:612 ; 8-byte Folded Reload
	v_cvt_pk_bf16_f32 v2, v40, v41
	v_and_b32_e32 v3, 0xffff0000, v2
	v_lshlrev_b32_e32 v2, 16, v2
	s_wait_loadcnt 0x0
	s_delay_alu instid0(VALU_DEP_1) | instskip(SKIP_2) | instid1(VALU_DEP_1)
	v_pk_fma_f32 v[0:1], v[50:51], v[2:3], v[0:1]
	scratch_load_b64 v[50:51], off, s32 offset:644 ; 8-byte Folded Reload
	v_cvt_pk_bf16_f32 v2, v126, v127
	v_and_b32_e32 v3, 0xffff0000, v2
	v_lshlrev_b32_e32 v2, 16, v2
	s_wait_loadcnt 0x0
	s_delay_alu instid0(VALU_DEP_1) | instskip(SKIP_2) | instid1(VALU_DEP_1)
	;; [unrolled: 7-line block ×6, first 2 shown]
	v_pk_fma_f32 v[0:1], v[50:51], v[2:3], v[0:1]
	scratch_load_b64 v[50:51], off, s32 offset:804 ; 8-byte Folded Reload
	v_cvt_pk_bf16_f32 v2, v120, v121
	v_and_b32_e32 v3, 0xffff0000, v2
	v_lshlrev_b32_e32 v2, 16, v2
	s_wait_loadcnt 0x0
	s_delay_alu instid0(VALU_DEP_1) | instskip(SKIP_1) | instid1(VALU_DEP_1)
	v_pk_fma_f32 v[0:1], v[50:51], v[2:3], v[0:1]
	v_cvt_pk_bf16_f32 v2, v26, v27
	v_and_b32_e32 v3, 0xffff0000, v2
	v_lshlrev_b32_e32 v2, 16, v2
	s_delay_alu instid0(VALU_DEP_1) | instskip(SKIP_2) | instid1(VALU_DEP_1)
	v_pk_fma_f32 v[0:1], v[18:19], v[2:3], v[0:1]
	scratch_load_b64 v[18:19], off, s32 offset:868 ; 8-byte Folded Reload
	v_cvt_pk_bf16_f32 v2, v70, v71
	v_and_b32_e32 v3, 0xffff0000, v2
	v_lshlrev_b32_e32 v2, 16, v2
	s_wait_loadcnt 0x0
	s_delay_alu instid0(VALU_DEP_1)
	v_pk_fma_f32 v[18:19], v[18:19], v[2:3], v[0:1]
	scratch_load_b64 v[2:3], off, s32 offset:524 ; 8-byte Folded Reload
	v_cvt_pk_bf16_f32 v0, v30, v31
	scratch_load_b64 v[30:31], off, s32 offset:556 ; 8-byte Folded Reload
	v_and_b32_e32 v1, 0xffff0000, v0
	v_lshlrev_b32_e32 v0, 16, v0
	s_wait_loadcnt 0x1
	s_delay_alu instid0(VALU_DEP_1) | instskip(SKIP_2) | instid1(VALU_DEP_1)
	v_pk_fma_f32 v[0:1], v[2:3], v[0:1], v[52:53]
	v_dual_lshlrev_b32 v2, 16, v20 :: v_dual_lshlrev_b32 v3, 16, v5
	s_wait_loadcnt 0x0
	v_pk_fma_f32 v[0:1], v[2:3], v[30:31], v[0:1]
	scratch_load_b64 v[30:31], off, s32 offset:588 ; 8-byte Folded Reload
	v_lshlrev_b32_e32 v3, 16, v69
	v_lshlrev_b32_e32 v2, 16, v109
	s_wait_loadcnt 0x0
	s_delay_alu instid0(VALU_DEP_1) | instskip(SKIP_2) | instid1(VALU_DEP_1)
	v_pk_fma_f32 v[0:1], v[30:31], v[2:3], v[0:1]
	scratch_load_b64 v[30:31], off, s32 offset:620 ; 8-byte Folded Reload
	v_cvt_pk_bf16_f32 v2, v44, v45
	v_and_b32_e32 v3, 0xffff0000, v2
	v_lshlrev_b32_e32 v2, 16, v2
	s_wait_loadcnt 0x0
	s_delay_alu instid0(VALU_DEP_1) | instskip(SKIP_2) | instid1(VALU_DEP_1)
	v_pk_fma_f32 v[0:1], v[30:31], v[2:3], v[0:1]
	scratch_load_b64 v[30:31], off, s32 offset:652 ; 8-byte Folded Reload
	v_cvt_pk_bf16_f32 v2, v62, v63
	v_and_b32_e32 v3, 0xffff0000, v2
	;; [unrolled: 7-line block ×7, first 2 shown]
	v_lshlrev_b32_e32 v2, 16, v2
	s_wait_loadcnt 0x0
	s_delay_alu instid0(VALU_DEP_1)
	v_pk_fma_f32 v[0:1], v[30:31], v[2:3], v[0:1]
	s_clause 0x1
	scratch_load_b64 v[2:3], off, s32 offset:328 th:TH_LOAD_LU
	scratch_load_b64 v[30:31], off, s32 offset:844
	s_wait_loadcnt 0x1
	v_cvt_pk_bf16_f32 v2, v2, v3
	s_delay_alu instid0(VALU_DEP_1) | instskip(SKIP_2) | instid1(VALU_DEP_1)
	v_and_b32_e32 v3, 0xffff0000, v2
	v_lshlrev_b32_e32 v2, 16, v2
	s_wait_loadcnt 0x0
	v_pk_fma_f32 v[0:1], v[30:31], v[2:3], v[0:1]
	v_cvt_pk_bf16_f32 v2, v22, v23
	scratch_load_b64 v[22:23], off, s32 offset:876 ; 8-byte Folded Reload
	v_and_b32_e32 v3, 0xffff0000, v2
	v_lshlrev_b32_e32 v2, 16, v2
	s_wait_loadcnt 0x0
	s_delay_alu instid0(VALU_DEP_1)
	v_pk_fma_f32 v[0:1], v[22:23], v[2:3], v[0:1]
	scratch_load_b64 v[22:23], off, s32 offset:532 ; 8-byte Folded Reload
	v_cvt_pk_bf16_f32 v2, v28, v29
	scratch_load_b64 v[28:29], off, s32 offset:564 ; 8-byte Folded Reload
	v_and_b32_e32 v3, 0xffff0000, v2
	v_lshlrev_b32_e32 v2, 16, v2
	s_wait_loadcnt 0x1
	s_delay_alu instid0(VALU_DEP_1) | instskip(SKIP_2) | instid1(VALU_DEP_1)
	v_pk_fma_f32 v[2:3], v[22:23], v[2:3], v[48:49]
	v_dual_lshlrev_b32 v22, 16, v68 :: v_dual_lshlrev_b32 v23, 16, v38
	s_wait_loadcnt 0x0
	v_pk_fma_f32 v[2:3], v[22:23], v[28:29], v[2:3]
	scratch_load_b64 v[28:29], off, s32 offset:596 ; 8-byte Folded Reload
	v_dual_lshlrev_b32 v23, 16, v39 :: v_dual_lshlrev_b32 v22, 16, v6
	scratch_load_b64 v[6:7], off, s32 offset:336 th:TH_LOAD_LU ; 8-byte Folded Reload
	s_wait_loadcnt 0x1
	v_pk_fma_f32 v[2:3], v[28:29], v[22:23], v[2:3]
	scratch_load_b64 v[28:29], off, s32 offset:628 ; 8-byte Folded Reload
	v_and_b32_e32 v23, 0xffff0000, v4
	v_lshlrev_b32_e32 v22, 16, v4
	v_cvt_pk_bf16_f32 v4, v46, v47
	s_wait_loadcnt 0x0
	s_delay_alu instid0(VALU_DEP_2)
	v_pk_fma_f32 v[2:3], v[28:29], v[22:23], v[2:3]
	scratch_load_b64 v[28:29], off, s32 offset:660 ; 8-byte Folded Reload
	v_and_b32_e32 v23, 0xffff0000, v4
	v_lshlrev_b32_e32 v22, 16, v4
	v_cvt_pk_bf16_f32 v4, v60, v61
	s_wait_loadcnt 0x0
	s_delay_alu instid0(VALU_DEP_2)
	;; [unrolled: 7-line block ×4, first 2 shown]
	v_pk_fma_f32 v[2:3], v[28:29], v[22:23], v[2:3]
	scratch_load_b64 v[28:29], off, s32 offset:756 ; 8-byte Folded Reload
	v_and_b32_e32 v23, 0xffff0000, v4
	v_lshlrev_b32_e32 v22, 16, v4
	scratch_load_b64 v[4:5], off, s32 offset:320 th:TH_LOAD_LU ; 8-byte Folded Reload
	s_wait_loadcnt 0x1
	v_pk_fma_f32 v[2:3], v[28:29], v[22:23], v[2:3]
	scratch_load_b64 v[28:29], off, s32 offset:788 ; 8-byte Folded Reload
	s_wait_loadcnt 0x1
	v_cvt_pk_bf16_f32 v4, v4, v5
	s_delay_alu instid0(VALU_DEP_1)
	v_and_b32_e32 v23, 0xffff0000, v4
	v_lshlrev_b32_e32 v22, 16, v4
	scratch_load_b64 v[4:5], off, s32 offset:296 th:TH_LOAD_LU ; 8-byte Folded Reload
	s_wait_loadcnt 0x1
	v_pk_fma_f32 v[2:3], v[28:29], v[22:23], v[2:3]
	scratch_load_b64 v[28:29], off, s32 offset:820 ; 8-byte Folded Reload
	s_wait_loadcnt 0x1
	v_cvt_pk_bf16_f32 v4, v4, v5
	s_delay_alu instid0(VALU_DEP_1)
	v_and_b32_e32 v23, 0xffff0000, v4
	v_lshlrev_b32_e32 v22, 16, v4
	scratch_load_b64 v[4:5], off, s32 offset:280 th:TH_LOAD_LU ; 8-byte Folded Reload
	s_wait_loadcnt 0x1
	v_pk_fma_f32 v[2:3], v[28:29], v[22:23], v[2:3]
	scratch_load_b64 v[28:29], off, s32 offset:852 ; 8-byte Folded Reload
	s_wait_loadcnt 0x1
	v_cvt_pk_bf16_f32 v4, v4, v5
	s_delay_alu instid0(VALU_DEP_1) | instskip(SKIP_2) | instid1(VALU_DEP_1)
	v_and_b32_e32 v23, 0xffff0000, v4
	v_lshlrev_b32_e32 v22, 16, v4
	v_cvt_pk_bf16_f32 v4, v82, v83
	v_and_b32_e32 v15, 0xffff0000, v4
	v_lshlrev_b32_e32 v14, 16, v4
	v_cvt_pk_bf16_f32 v4, v12, v13
	s_delay_alu instid0(VALU_DEP_1)
	v_and_b32_e32 v13, 0xffff0000, v4
	v_lshlrev_b32_e32 v12, 16, v4
	scratch_load_b64 v[4:5], off, s32 offset:604 ; 8-byte Folded Reload
	s_wait_loadcnt 0x1
	v_pk_fma_f32 v[2:3], v[28:29], v[22:23], v[2:3]
	scratch_load_b64 v[22:23], off, s32 offset:884 ; 8-byte Folded Reload
	s_wait_loadcnt 0x0
	v_pk_fma_f32 v[2:3], v[22:23], v[14:15], v[2:3]
	;; [unrolled: 3-line block ×3, first 2 shown]
	scratch_load_b64 v[14:15], off, s32 offset:572 ; 8-byte Folded Reload
	v_lshlrev_b32_e32 v12, 16, v21
	v_lshlrev_b32_e32 v13, 16, v89
	s_wait_loadcnt 0x0
	s_delay_alu instid0(VALU_DEP_1) | instskip(SKIP_2) | instid1(VALU_DEP_1)
	v_pk_fma_f32 v[8:9], v[12:13], v[14:15], v[8:9]
	v_lshlrev_b32_e32 v13, 16, v16
	v_lshlrev_b32_e32 v12, 16, v24
	v_pk_fma_f32 v[4:5], v[4:5], v[12:13], v[8:9]
	scratch_load_b64 v[12:13], off, s32 offset:636 ; 8-byte Folded Reload
	v_cvt_pk_bf16_f32 v8, v32, v33
	s_delay_alu instid0(VALU_DEP_1) | instskip(SKIP_2) | instid1(VALU_DEP_1)
	v_and_b32_e32 v9, 0xffff0000, v8
	v_lshlrev_b32_e32 v8, 16, v8
	s_wait_loadcnt 0x0
	v_pk_fma_f32 v[4:5], v[12:13], v[8:9], v[4:5]
	scratch_load_b64 v[12:13], off, s32 offset:668 ; 8-byte Folded Reload
	v_cvt_pk_bf16_f32 v8, v34, v35
	s_delay_alu instid0(VALU_DEP_1) | instskip(SKIP_2) | instid1(VALU_DEP_1)
	v_and_b32_e32 v9, 0xffff0000, v8
	v_lshlrev_b32_e32 v8, 16, v8
	s_wait_loadcnt 0x0
	v_pk_fma_f32 v[4:5], v[12:13], v[8:9], v[4:5]
	scratch_load_b64 v[12:13], off, s32 offset:700 ; 8-byte Folded Reload
	v_cvt_pk_bf16_f32 v8, v6, v7
	scratch_load_b64 v[6:7], off, s32 offset:312 th:TH_LOAD_LU ; 8-byte Folded Reload
	v_and_b32_e32 v9, 0xffff0000, v8
	v_lshlrev_b32_e32 v8, 16, v8
	s_wait_loadcnt 0x1
	s_delay_alu instid0(VALU_DEP_1)
	v_pk_fma_f32 v[4:5], v[12:13], v[8:9], v[4:5]
	scratch_load_b64 v[12:13], off, s32 offset:732 ; 8-byte Folded Reload
	s_wait_loadcnt 0x1
	v_cvt_pk_bf16_f32 v8, v6, v7
	scratch_load_b64 v[6:7], off, s32 offset:304 th:TH_LOAD_LU ; 8-byte Folded Reload
	v_and_b32_e32 v9, 0xffff0000, v8
	v_lshlrev_b32_e32 v8, 16, v8
	s_wait_loadcnt 0x1
	s_delay_alu instid0(VALU_DEP_1) | instskip(SKIP_3) | instid1(VALU_DEP_1)
	v_pk_fma_f32 v[4:5], v[12:13], v[8:9], v[4:5]
	scratch_load_b64 v[8:9], off, s32 offset:764 ; 8-byte Folded Reload
	s_wait_loadcnt 0x1
	v_cvt_pk_bf16_f32 v6, v6, v7
	v_and_b32_e32 v7, 0xffff0000, v6
	v_lshlrev_b32_e32 v6, 16, v6
	s_wait_loadcnt 0x0
	s_delay_alu instid0(VALU_DEP_1)
	v_pk_fma_f32 v[4:5], v[8:9], v[6:7], v[4:5]
	s_clause 0x1
	scratch_load_b64 v[6:7], off, s32 offset:288 th:TH_LOAD_LU
	scratch_load_b64 v[8:9], off, s32 offset:796
	s_wait_loadcnt 0x1
	v_cvt_pk_bf16_f32 v6, v6, v7
	s_delay_alu instid0(VALU_DEP_1) | instskip(SKIP_2) | instid1(VALU_DEP_1)
	v_and_b32_e32 v7, 0xffff0000, v6
	v_lshlrev_b32_e32 v6, 16, v6
	s_wait_loadcnt 0x0
	v_pk_fma_f32 v[4:5], v[8:9], v[6:7], v[4:5]
	s_clause 0x1
	scratch_load_b64 v[6:7], off, s32 offset:272 th:TH_LOAD_LU
	scratch_load_b64 v[8:9], off, s32 offset:828
	s_wait_loadcnt 0x1
	v_cvt_pk_bf16_f32 v6, v6, v7
	s_delay_alu instid0(VALU_DEP_1) | instskip(SKIP_2) | instid1(VALU_DEP_1)
	v_and_b32_e32 v7, 0xffff0000, v6
	v_lshlrev_b32_e32 v6, 16, v6
	s_wait_loadcnt 0x0
	v_pk_fma_f32 v[4:5], v[8:9], v[6:7], v[4:5]
	s_clause 0x2
	scratch_load_b64 v[6:7], off, s32 offset:264 th:TH_LOAD_LU
	scratch_load_b64 v[8:9], off, s32 offset:860
	scratch_load_b32 v20, off, s32 offset:260 th:TH_LOAD_LU
	s_wait_loadcnt 0x2
	v_cvt_pk_bf16_f32 v6, v6, v7
	s_delay_alu instid0(VALU_DEP_1) | instskip(SKIP_2) | instid1(VALU_DEP_1)
	v_and_b32_e32 v7, 0xffff0000, v6
	v_lshlrev_b32_e32 v6, 16, v6
	s_wait_loadcnt 0x1
	v_pk_fma_f32 v[4:5], v[8:9], v[6:7], v[4:5]
	scratch_load_b64 v[8:9], off, s32 offset:892 ; 8-byte Folded Reload
	v_add_f32_e32 v6, v18, v19
	s_delay_alu instid0(VALU_DEP_1) | instskip(NEXT) | instid1(VALU_DEP_1)
	v_add_f32_e32 v0, v6, v0
	v_add_f32_e32 v6, v1, v0
	v_cvt_pk_bf16_f32 v0, v10, v11
	s_delay_alu instid0(VALU_DEP_1) | instskip(NEXT) | instid1(VALU_DEP_3)
	v_and_b32_e32 v1, 0xffff0000, v0
	v_dual_lshlrev_b32 v0, 16, v0 :: v_dual_add_f32 v2, v2, v6
	s_delay_alu instid0(VALU_DEP_1) | instskip(SKIP_3) | instid1(VALU_DEP_1)
	v_add_f32_e32 v2, v3, v2
	scratch_load_b32 v3, off, s32 offset:360 ; 4-byte Folded Reload
	s_wait_loadcnt 0x1
	v_pk_fma_f32 v[0:1], v[8:9], v[0:1], v[4:5]
	v_add_f32_e32 v0, v0, v2
	scratch_load_b32 v2, off, s32 offset:344 ; 4-byte Folded Reload
	s_wait_loadcnt 0x1
	v_dual_add_f32 v0, v1, v0 :: v_dual_sub_nc_u32 v1, 1, v3
	v_cmp_lt_i32_e64 s1, v36, v3
	s_delay_alu instid0(VALU_DEP_2) | instskip(SKIP_1) | instid1(VALU_DEP_2)
	v_add_nc_u32_e32 v1, v1, v36
	v_add_nc_u32_e32 v36, 0x80, v36
	v_cvt_f32_i32_e32 v1, v1
	s_wait_loadcnt 0x0
	s_delay_alu instid0(VALU_DEP_1) | instskip(SKIP_3) | instid1(VALU_DEP_1)
	v_mul_f32_e32 v1, v2, v1
	scratch_load_b32 v2, off, s32 offset:356 ; 4-byte Folded Reload
	v_cndmask_b32_e32 v1, 0, v1, vcc_lo
	s_wait_loadcnt 0x0
	v_fmac_f32_e32 v1, v2, v0
	v_max_num_f32_e32 v0, v20, v20
	scratch_load_b64 v[2:3], off, s32 offset:252 th:TH_LOAD_LU ; 8-byte Folded Reload
	v_dual_max_num_f32 v0, v0, v1 :: v_dual_cndmask_b32 v1, 0, v1, s1
	s_delay_alu instid0(VALU_DEP_1)
	v_cndmask_b32_e64 v20, v20, v0, s1
	scratch_load_b32 v0, off, s32 offset:208 ; 4-byte Folded Reload
	ds_store_b32 v37, v1
	v_add_nc_u32_e32 v37, 0x200, v37
	s_wait_loadcnt 0x1
	v_add_nc_u64_e32 v[2:3], 16, v[2:3]
	s_wait_loadcnt 0x0
	v_cmp_ge_i32_e64 s1, v108, v0
	s_or_b32 s7, s1, s7
	s_wait_xcnt 0x0
	s_and_not1_b32 exec_lo, exec_lo, s7
	s_cbranch_execz .LBB368_1031
.LBB368_10:                             ; =>This Inner Loop Header: Depth=1
	scratch_store_b64 off, v[2:3], s32 offset:252 ; 8-byte Folded Spill
	flat_load_b32 v0, v[2:3]
	s_clause 0x1
	scratch_load_b64 v[2:3], off, s32 offset:444
	scratch_load_b64 v[4:5], off, s32 offset:900
	v_dual_mov_b32 v27, v108 :: v_dual_mov_b32 v26, v36
	v_dual_mov_b32 v109, v37 :: v_dual_mov_b32 v82, 0
	s_mov_b32 s15, exec_lo
	s_wait_loadcnt_dscnt 0x0
	v_mad_nc_i64_i32 v[70:71], v0, v2, v[4:5]
	flat_load_b64 v[0:1], v[70:71]
	scratch_load_b64 v[2:3], off, s32 offset:348 ; 8-byte Folded Reload
	s_wait_loadcnt 0x0
	flat_load_b32 v88, v[2:3]
	s_wait_dscnt 0x1
	s_wait_xcnt 0x0
	v_and_b32_e32 v2, 0xff, v0
	s_delay_alu instid0(VALU_DEP_1)
	v_cmpx_ne_u16_e32 0, v2
	s_cbranch_execz .LBB368_18
; %bb.11:                               ;   in Loop: Header=BB368_10 Depth=1
	v_bfrev_b32_e32 v82, 1
	s_mov_b32 s16, exec_lo
	v_cmpx_ne_u16_e32 0x80, v2
	s_cbranch_execz .LBB368_17
; %bb.12:                               ;   in Loop: Header=BB368_10 Depth=1
	v_and_b32_e32 v2, 0x7f, v0
	v_mov_b32_e32 v82, 0x7f800001
	s_mov_b32 s17, exec_lo
	s_delay_alu instid0(VALU_DEP_2)
	v_cmpx_ne_u32_e32 0x7f, v2
	s_cbranch_execz .LBB368_16
; %bb.13:                               ;   in Loop: Header=BB368_10 Depth=1
	v_lshrrev_b32_e32 v4, 3, v2
	v_cmp_gt_u32_e64 s1, 8, v2
	v_mov_b64_e32 v[2:3], v[0:1]
	s_and_saveexec_b32 s18, s1
; %bb.14:                               ;   in Loop: Header=BB368_10 Depth=1
	v_and_b32_e32 v2, 7, v0
	s_delay_alu instid0(VALU_DEP_1) | instskip(NEXT) | instid1(VALU_DEP_1)
	v_clz_i32_u32_e32 v2, v2
	v_min_u32_e32 v4, 32, v2
	s_delay_alu instid0(VALU_DEP_1) | instskip(SKIP_1) | instid1(VALU_DEP_2)
	v_subrev_nc_u32_e32 v2, 28, v4
	v_sub_nc_u32_e32 v4, 29, v4
	v_lshlrev_b64_e32 v[2:3], v2, v[0:1]
; %bb.15:                               ;   in Loop: Header=BB368_10 Depth=1
	s_or_b32 exec_lo, exec_lo, s18
	s_delay_alu instid0(VALU_DEP_1) | instskip(NEXT) | instid1(VALU_DEP_3)
	v_dual_lshlrev_b32 v2, 20, v2 :: v_dual_lshlrev_b32 v3, 24, v0
	v_lshl_add_u32 v4, v4, 23, 0x3c000000
	s_delay_alu instid0(VALU_DEP_2) | instskip(NEXT) | instid1(VALU_DEP_3)
	v_and_b32_e32 v2, 0x700000, v2
	v_and_b32_e32 v3, 0x80000000, v3
	s_delay_alu instid0(VALU_DEP_1)
	v_or3_b32 v82, v2, v3, v4
.LBB368_16:                             ;   in Loop: Header=BB368_10 Depth=1
	s_or_b32 exec_lo, exec_lo, s17
.LBB368_17:                             ;   in Loop: Header=BB368_10 Depth=1
	s_delay_alu instid0(SALU_CYCLE_1)
	s_or_b32 exec_lo, exec_lo, s16
.LBB368_18:                             ;   in Loop: Header=BB368_10 Depth=1
	s_delay_alu instid0(SALU_CYCLE_1) | instskip(SKIP_3) | instid1(VALU_DEP_2)
	s_or_b32 exec_lo, exec_lo, s15
	v_lshrrev_b16 v2, 8, v0
	v_dual_mov_b32 v98, 0 :: v_dual_mov_b32 v83, 0
	s_mov_b32 s15, exec_lo
	v_cmpx_ne_u16_e32 0, v2
	s_cbranch_execz .LBB368_26
; %bb.19:                               ;   in Loop: Header=BB368_10 Depth=1
	v_bfrev_b32_e32 v83, 1
	s_mov_b32 s16, exec_lo
	v_cmpx_ne_u16_e32 0x80, v2
	s_cbranch_execz .LBB368_25
; %bb.20:                               ;   in Loop: Header=BB368_10 Depth=1
	v_and_b32_e32 v3, 0xffff, v2
	v_mov_b32_e32 v83, 0x7f800001
	s_mov_b32 s17, exec_lo
	s_delay_alu instid0(VALU_DEP_2) | instskip(NEXT) | instid1(VALU_DEP_1)
	v_and_b32_e32 v2, 0x7f, v3
	v_cmpx_ne_u32_e32 0x7f, v2
	s_cbranch_execz .LBB368_24
; %bb.21:                               ;   in Loop: Header=BB368_10 Depth=1
	v_dual_lshrrev_b32 v4, 3, v2 :: v_dual_bitop2_b32 v16, 7, v3 bitop3:0x40
	v_cmp_gt_u32_e64 s1, 8, v2
	s_delay_alu instid0(VALU_DEP_2)
	v_mov_b64_e32 v[2:3], v[16:17]
	s_and_saveexec_b32 s18, s1
; %bb.22:                               ;   in Loop: Header=BB368_10 Depth=1
	v_clz_i32_u32_e32 v2, v16
	s_delay_alu instid0(VALU_DEP_1) | instskip(NEXT) | instid1(VALU_DEP_1)
	v_min_u32_e32 v4, 32, v2
	v_subrev_nc_u32_e32 v2, 28, v4
	s_delay_alu instid0(VALU_DEP_1) | instskip(NEXT) | instid1(VALU_DEP_1)
	v_lshlrev_b64_e32 v[2:3], v2, v[16:17]
	v_dual_sub_nc_u32 v4, 29, v4 :: v_dual_bitop2_b32 v2, 7, v2 bitop3:0x40
; %bb.23:                               ;   in Loop: Header=BB368_10 Depth=1
	s_or_b32 exec_lo, exec_lo, s18
	s_delay_alu instid0(VALU_DEP_1) | instskip(NEXT) | instid1(VALU_DEP_2)
	v_dual_lshlrev_b32 v3, 16, v0 :: v_dual_lshlrev_b32 v2, 20, v2
	v_lshl_add_u32 v4, v4, 23, 0x3c000000
	s_delay_alu instid0(VALU_DEP_2) | instskip(NEXT) | instid1(VALU_DEP_1)
	v_and_b32_e32 v3, 0x80000000, v3
	v_or3_b32 v83, v2, v3, v4
.LBB368_24:                             ;   in Loop: Header=BB368_10 Depth=1
	s_or_b32 exec_lo, exec_lo, s17
.LBB368_25:                             ;   in Loop: Header=BB368_10 Depth=1
	s_delay_alu instid0(SALU_CYCLE_1)
	s_or_b32 exec_lo, exec_lo, s16
.LBB368_26:                             ;   in Loop: Header=BB368_10 Depth=1
	s_delay_alu instid0(SALU_CYCLE_1) | instskip(SKIP_2) | instid1(VALU_DEP_1)
	s_or_b32 exec_lo, exec_lo, s15
	v_lshrrev_b32_e32 v4, 16, v0
	s_mov_b32 s15, exec_lo
	v_and_b32_e32 v2, 0xff, v4
	s_delay_alu instid0(VALU_DEP_1)
	v_cmpx_ne_u16_e32 0, v2
	s_cbranch_execz .LBB368_34
; %bb.27:                               ;   in Loop: Header=BB368_10 Depth=1
	v_bfrev_b32_e32 v98, 1
	s_mov_b32 s16, exec_lo
	v_cmpx_ne_u16_e32 0x80, v2
	s_cbranch_execz .LBB368_33
; %bb.28:                               ;   in Loop: Header=BB368_10 Depth=1
	v_bfe_u32 v2, v0, 16, 7
	v_mov_b32_e32 v98, 0x7f800001
	s_mov_b32 s17, exec_lo
	s_delay_alu instid0(VALU_DEP_2)
	v_cmpx_ne_u32_e32 0x7f, v2
	s_cbranch_execz .LBB368_32
; %bb.29:                               ;   in Loop: Header=BB368_10 Depth=1
	v_dual_lshrrev_b32 v5, 3, v2 :: v_dual_bitop2_b32 v16, 7, v4 bitop3:0x40
	v_cmp_gt_u32_e64 s1, 8, v2
	s_delay_alu instid0(VALU_DEP_2)
	v_mov_b64_e32 v[2:3], v[16:17]
	s_and_saveexec_b32 s18, s1
; %bb.30:                               ;   in Loop: Header=BB368_10 Depth=1
	v_clz_i32_u32_e32 v2, v16
	s_delay_alu instid0(VALU_DEP_1) | instskip(NEXT) | instid1(VALU_DEP_1)
	v_min_u32_e32 v5, 32, v2
	v_subrev_nc_u32_e32 v2, 28, v5
	s_delay_alu instid0(VALU_DEP_1) | instskip(NEXT) | instid1(VALU_DEP_1)
	v_lshlrev_b64_e32 v[2:3], v2, v[16:17]
	v_dual_sub_nc_u32 v5, 29, v5 :: v_dual_bitop2_b32 v2, 7, v2 bitop3:0x40
; %bb.31:                               ;   in Loop: Header=BB368_10 Depth=1
	s_or_b32 exec_lo, exec_lo, s18
	s_delay_alu instid0(VALU_DEP_1) | instskip(NEXT) | instid1(VALU_DEP_2)
	v_dual_lshlrev_b32 v3, 24, v4 :: v_dual_lshlrev_b32 v2, 20, v2
	v_lshl_add_u32 v4, v5, 23, 0x3c000000
	s_delay_alu instid0(VALU_DEP_2) | instskip(NEXT) | instid1(VALU_DEP_1)
	v_and_b32_e32 v3, 0x80000000, v3
	v_or3_b32 v98, v2, v3, v4
.LBB368_32:                             ;   in Loop: Header=BB368_10 Depth=1
	s_or_b32 exec_lo, exec_lo, s17
.LBB368_33:                             ;   in Loop: Header=BB368_10 Depth=1
	s_delay_alu instid0(SALU_CYCLE_1)
	s_or_b32 exec_lo, exec_lo, s16
.LBB368_34:                             ;   in Loop: Header=BB368_10 Depth=1
	s_delay_alu instid0(SALU_CYCLE_1)
	s_or_b32 exec_lo, exec_lo, s15
	v_dual_mov_b32 v114, 0 :: v_dual_mov_b32 v99, 0
	s_mov_b32 s15, exec_lo
	v_cmpx_lt_u32_e32 0xffffff, v0
	s_cbranch_execz .LBB368_42
; %bb.35:                               ;   in Loop: Header=BB368_10 Depth=1
	v_lshrrev_b32_e32 v4, 24, v0
	v_bfrev_b32_e32 v99, 1
	s_mov_b32 s16, exec_lo
	s_delay_alu instid0(VALU_DEP_2)
	v_cmpx_ne_u32_e32 0x80, v4
	s_cbranch_execz .LBB368_41
; %bb.36:                               ;   in Loop: Header=BB368_10 Depth=1
	v_bfe_u32 v2, v0, 24, 7
	v_mov_b32_e32 v99, 0x7f800001
	s_mov_b32 s17, exec_lo
	s_delay_alu instid0(VALU_DEP_2)
	v_cmpx_ne_u32_e32 0x7f, v2
	s_cbranch_execz .LBB368_40
; %bb.37:                               ;   in Loop: Header=BB368_10 Depth=1
	v_dual_lshrrev_b32 v5, 3, v2 :: v_dual_bitop2_b32 v16, 7, v4 bitop3:0x40
	v_cmp_gt_u32_e64 s1, 8, v2
	s_delay_alu instid0(VALU_DEP_2)
	v_mov_b64_e32 v[2:3], v[16:17]
	s_and_saveexec_b32 s18, s1
; %bb.38:                               ;   in Loop: Header=BB368_10 Depth=1
	v_clz_i32_u32_e32 v2, v16
	s_delay_alu instid0(VALU_DEP_1) | instskip(NEXT) | instid1(VALU_DEP_1)
	v_min_u32_e32 v5, 32, v2
	v_subrev_nc_u32_e32 v2, 28, v5
	s_delay_alu instid0(VALU_DEP_1) | instskip(NEXT) | instid1(VALU_DEP_1)
	v_lshlrev_b64_e32 v[2:3], v2, v[16:17]
	v_dual_sub_nc_u32 v5, 29, v5 :: v_dual_bitop2_b32 v2, 7, v2 bitop3:0x40
; %bb.39:                               ;   in Loop: Header=BB368_10 Depth=1
	s_or_b32 exec_lo, exec_lo, s18
	s_delay_alu instid0(VALU_DEP_1) | instskip(NEXT) | instid1(VALU_DEP_2)
	v_dual_lshlrev_b32 v3, 24, v4 :: v_dual_lshlrev_b32 v2, 20, v2
	v_lshl_add_u32 v4, v5, 23, 0x3c000000
	s_delay_alu instid0(VALU_DEP_2) | instskip(NEXT) | instid1(VALU_DEP_1)
	v_and_b32_e32 v3, 0x80000000, v3
	v_or3_b32 v99, v2, v3, v4
.LBB368_40:                             ;   in Loop: Header=BB368_10 Depth=1
	s_or_b32 exec_lo, exec_lo, s17
.LBB368_41:                             ;   in Loop: Header=BB368_10 Depth=1
	s_delay_alu instid0(SALU_CYCLE_1)
	s_or_b32 exec_lo, exec_lo, s16
.LBB368_42:                             ;   in Loop: Header=BB368_10 Depth=1
	s_delay_alu instid0(SALU_CYCLE_1) | instskip(SKIP_3) | instid1(VALU_DEP_2)
	s_or_b32 exec_lo, exec_lo, s15
	v_and_b32_e32 v2, 0xff, v1
	v_mov_b32_e32 v16, v1
	s_mov_b32 s15, exec_lo
	v_cmpx_ne_u16_e32 0, v2
	s_cbranch_execz .LBB368_50
; %bb.43:                               ;   in Loop: Header=BB368_10 Depth=1
	v_bfrev_b32_e32 v114, 1
	s_mov_b32 s16, exec_lo
	v_cmpx_ne_u16_e32 0x80, v2
	s_cbranch_execz .LBB368_49
; %bb.44:                               ;   in Loop: Header=BB368_10 Depth=1
	v_and_b32_e32 v2, 0x7f, v1
	v_mov_b32_e32 v114, 0x7f800001
	s_mov_b32 s17, exec_lo
	s_delay_alu instid0(VALU_DEP_2)
	v_cmpx_ne_u32_e32 0x7f, v2
	s_cbranch_execz .LBB368_48
; %bb.45:                               ;   in Loop: Header=BB368_10 Depth=1
	v_lshrrev_b32_e32 v4, 3, v2
	v_cmp_gt_u32_e64 s1, 8, v2
	v_mov_b64_e32 v[2:3], v[16:17]
	s_and_saveexec_b32 s18, s1
; %bb.46:                               ;   in Loop: Header=BB368_10 Depth=1
	v_and_b32_e32 v2, 7, v1
	s_delay_alu instid0(VALU_DEP_1) | instskip(NEXT) | instid1(VALU_DEP_1)
	v_clz_i32_u32_e32 v2, v2
	v_min_u32_e32 v4, 32, v2
	s_delay_alu instid0(VALU_DEP_1) | instskip(SKIP_1) | instid1(VALU_DEP_2)
	v_subrev_nc_u32_e32 v2, 28, v4
	v_sub_nc_u32_e32 v4, 29, v4
	v_lshlrev_b64_e32 v[2:3], v2, v[16:17]
; %bb.47:                               ;   in Loop: Header=BB368_10 Depth=1
	s_or_b32 exec_lo, exec_lo, s18
	s_delay_alu instid0(VALU_DEP_1) | instskip(NEXT) | instid1(VALU_DEP_3)
	v_dual_lshlrev_b32 v2, 20, v2 :: v_dual_lshlrev_b32 v3, 24, v16
	v_lshl_add_u32 v4, v4, 23, 0x3c000000
	s_delay_alu instid0(VALU_DEP_2) | instskip(NEXT) | instid1(VALU_DEP_3)
	v_and_b32_e32 v2, 0x700000, v2
	v_and_b32_e32 v3, 0x80000000, v3
	s_delay_alu instid0(VALU_DEP_1)
	v_or3_b32 v114, v2, v3, v4
.LBB368_48:                             ;   in Loop: Header=BB368_10 Depth=1
	s_or_b32 exec_lo, exec_lo, s17
.LBB368_49:                             ;   in Loop: Header=BB368_10 Depth=1
	s_delay_alu instid0(SALU_CYCLE_1)
	s_or_b32 exec_lo, exec_lo, s16
.LBB368_50:                             ;   in Loop: Header=BB368_10 Depth=1
	s_delay_alu instid0(SALU_CYCLE_1)
	s_or_b32 exec_lo, exec_lo, s15
	v_lshrrev_b16 v2, 8, v16
	v_dual_mov_b32 v4, 0 :: v_dual_mov_b32 v115, 0
	s_mov_b32 s15, exec_lo
	scratch_store_b64 off, v[4:5], s32 offset:192 ; 8-byte Folded Spill
	s_wait_xcnt 0x0
	v_cmpx_ne_u16_e32 0, v2
	s_cbranch_execz .LBB368_58
; %bb.51:                               ;   in Loop: Header=BB368_10 Depth=1
	v_bfrev_b32_e32 v115, 1
	s_mov_b32 s16, exec_lo
	v_cmpx_ne_u16_e32 0x80, v2
	s_cbranch_execz .LBB368_57
; %bb.52:                               ;   in Loop: Header=BB368_10 Depth=1
	v_and_b32_e32 v2, 0xffff, v2
	v_mov_b32_e32 v115, 0x7f800001
	s_mov_b32 s17, exec_lo
	s_delay_alu instid0(VALU_DEP_2) | instskip(NEXT) | instid1(VALU_DEP_1)
	v_and_b32_e32 v5, 0x7f, v2
	v_cmpx_ne_u32_e32 0x7f, v5
	s_cbranch_execz .LBB368_56
; %bb.53:                               ;   in Loop: Header=BB368_10 Depth=1
	v_dual_mov_b32 v3, v17 :: v_dual_bitop2_b32 v2, 7, v2 bitop3:0x40
	v_lshrrev_b32_e32 v4, 3, v5
	s_mov_b32 s18, exec_lo
	v_cmpx_gt_u32_e32 8, v5
; %bb.54:                               ;   in Loop: Header=BB368_10 Depth=1
	s_delay_alu instid0(VALU_DEP_3) | instskip(NEXT) | instid1(VALU_DEP_1)
	v_clz_i32_u32_e32 v4, v2
	v_min_u32_e32 v4, 32, v4
	s_delay_alu instid0(VALU_DEP_1) | instskip(NEXT) | instid1(VALU_DEP_1)
	v_subrev_nc_u32_e32 v5, 28, v4
	v_lshlrev_b64_e32 v[2:3], v5, v[2:3]
	s_delay_alu instid0(VALU_DEP_1)
	v_dual_sub_nc_u32 v4, 29, v4 :: v_dual_bitop2_b32 v2, 7, v2 bitop3:0x40
; %bb.55:                               ;   in Loop: Header=BB368_10 Depth=1
	s_or_b32 exec_lo, exec_lo, s18
	s_delay_alu instid0(VALU_DEP_1) | instskip(NEXT) | instid1(VALU_DEP_2)
	v_dual_lshlrev_b32 v3, 16, v16 :: v_dual_lshlrev_b32 v2, 20, v2
	v_lshl_add_u32 v4, v4, 23, 0x3c000000
	s_delay_alu instid0(VALU_DEP_2) | instskip(NEXT) | instid1(VALU_DEP_1)
	v_and_b32_e32 v3, 0x80000000, v3
	v_or3_b32 v115, v2, v3, v4
.LBB368_56:                             ;   in Loop: Header=BB368_10 Depth=1
	s_or_b32 exec_lo, exec_lo, s17
.LBB368_57:                             ;   in Loop: Header=BB368_10 Depth=1
	s_delay_alu instid0(SALU_CYCLE_1)
	s_or_b32 exec_lo, exec_lo, s16
.LBB368_58:                             ;   in Loop: Header=BB368_10 Depth=1
	s_delay_alu instid0(SALU_CYCLE_1) | instskip(SKIP_2) | instid1(VALU_DEP_1)
	s_or_b32 exec_lo, exec_lo, s15
	v_lshrrev_b32_e32 v4, 16, v1
	s_mov_b32 s15, exec_lo
	v_and_b32_e32 v2, 0xff, v4
	s_delay_alu instid0(VALU_DEP_1)
	v_cmpx_ne_u16_e32 0, v2
	s_cbranch_execz .LBB368_66
; %bb.59:                               ;   in Loop: Header=BB368_10 Depth=1
	v_cmp_ne_u16_e64 s1, 0x80, v2
	v_bfrev_b32_e32 v2, 1
	scratch_store_b64 off, v[2:3], s32 offset:192 ; 8-byte Folded Spill
	s_wait_xcnt 0x0
	s_and_saveexec_b32 s16, s1
	s_cbranch_execz .LBB368_65
; %bb.60:                               ;   in Loop: Header=BB368_10 Depth=1
	v_bfe_u32 v2, v1, 16, 7
	v_mov_b32_e32 v6, 0x7f800001
	s_mov_b32 s17, exec_lo
	scratch_store_b64 off, v[6:7], s32 offset:192 ; 8-byte Folded Spill
	s_wait_xcnt 0x0
	v_cmpx_ne_u32_e32 0x7f, v2
	s_cbranch_execz .LBB368_64
; %bb.61:                               ;   in Loop: Header=BB368_10 Depth=1
	v_dual_lshrrev_b32 v5, 3, v2 :: v_dual_bitop2_b32 v16, 7, v4 bitop3:0x40
	v_cmp_gt_u32_e64 s1, 8, v2
	s_delay_alu instid0(VALU_DEP_2)
	v_mov_b64_e32 v[2:3], v[16:17]
	s_and_saveexec_b32 s18, s1
; %bb.62:                               ;   in Loop: Header=BB368_10 Depth=1
	v_clz_i32_u32_e32 v2, v16
	s_delay_alu instid0(VALU_DEP_1) | instskip(NEXT) | instid1(VALU_DEP_1)
	v_min_u32_e32 v5, 32, v2
	v_subrev_nc_u32_e32 v2, 28, v5
	s_delay_alu instid0(VALU_DEP_1) | instskip(NEXT) | instid1(VALU_DEP_1)
	v_lshlrev_b64_e32 v[2:3], v2, v[16:17]
	v_dual_sub_nc_u32 v5, 29, v5 :: v_dual_bitop2_b32 v2, 7, v2 bitop3:0x40
; %bb.63:                               ;   in Loop: Header=BB368_10 Depth=1
	s_or_b32 exec_lo, exec_lo, s18
	s_delay_alu instid0(VALU_DEP_1) | instskip(NEXT) | instid1(VALU_DEP_2)
	v_dual_lshlrev_b32 v3, 24, v4 :: v_dual_lshlrev_b32 v2, 20, v2
	v_lshl_add_u32 v4, v5, 23, 0x3c000000
	s_delay_alu instid0(VALU_DEP_2) | instskip(NEXT) | instid1(VALU_DEP_1)
	v_and_b32_e32 v3, 0x80000000, v3
	v_or3_b32 v2, v2, v3, v4
	scratch_store_b64 off, v[2:3], s32 offset:192 ; 8-byte Folded Spill
.LBB368_64:                             ;   in Loop: Header=BB368_10 Depth=1
	s_wait_xcnt 0x0
	s_or_b32 exec_lo, exec_lo, s17
.LBB368_65:                             ;   in Loop: Header=BB368_10 Depth=1
	s_delay_alu instid0(SALU_CYCLE_1)
	s_or_b32 exec_lo, exec_lo, s16
.LBB368_66:                             ;   in Loop: Header=BB368_10 Depth=1
	s_delay_alu instid0(SALU_CYCLE_1)
	s_or_b32 exec_lo, exec_lo, s15
	scratch_load_b64 v[2:3], off, s32 offset:192 ; 8-byte Folded Reload
	s_wait_loadcnt 0x0
	v_dual_mov_b32 v6, 0 :: v_dual_mov_b32 v3, 0
	s_mov_b32 s15, exec_lo
	scratch_store_b64 off, v[2:3], s32 offset:192 ; 8-byte Folded Spill
	s_wait_xcnt 0x0
	v_cmpx_lt_u64_e64 s[2:3], v[0:1]
	s_cbranch_execz .LBB368_74
; %bb.67:                               ;   in Loop: Header=BB368_10 Depth=1
	scratch_load_b64 v[4:5], off, s32 offset:192 ; 8-byte Folded Reload
	v_lshrrev_b32_e32 v2, 24, v1
	s_wait_loadcnt 0x0
	v_bfrev_b32_e32 v5, 1
	s_mov_b32 s16, exec_lo
	scratch_store_b64 off, v[4:5], s32 offset:192 ; 8-byte Folded Spill
	s_wait_xcnt 0x0
	v_cmpx_ne_u32_e32 0x80, v2
	s_cbranch_execz .LBB368_73
; %bb.68:                               ;   in Loop: Header=BB368_10 Depth=1
	scratch_load_b64 v[4:5], off, s32 offset:192 ; 8-byte Folded Reload
	v_bfe_u32 v0, v1, 24, 7
	s_wait_loadcnt 0x0
	v_mov_b32_e32 v5, 0x7f800001
	s_mov_b32 s17, exec_lo
	scratch_store_b64 off, v[4:5], s32 offset:192 ; 8-byte Folded Spill
	s_wait_xcnt 0x0
	v_cmpx_ne_u32_e32 0x7f, v0
	s_cbranch_execz .LBB368_72
; %bb.69:                               ;   in Loop: Header=BB368_10 Depth=1
	v_dual_lshrrev_b32 v3, 3, v0 :: v_dual_bitop2_b32 v16, 7, v2 bitop3:0x40
	v_cmp_gt_u32_e64 s1, 8, v0
	s_delay_alu instid0(VALU_DEP_2)
	v_mov_b64_e32 v[0:1], v[16:17]
	s_and_saveexec_b32 s18, s1
; %bb.70:                               ;   in Loop: Header=BB368_10 Depth=1
	v_clz_i32_u32_e32 v0, v16
	s_delay_alu instid0(VALU_DEP_1) | instskip(NEXT) | instid1(VALU_DEP_1)
	v_min_u32_e32 v3, 32, v0
	v_subrev_nc_u32_e32 v0, 28, v3
	s_delay_alu instid0(VALU_DEP_1) | instskip(NEXT) | instid1(VALU_DEP_1)
	v_lshlrev_b64_e32 v[0:1], v0, v[16:17]
	v_dual_sub_nc_u32 v3, 29, v3 :: v_dual_bitop2_b32 v0, 7, v0 bitop3:0x40
; %bb.71:                               ;   in Loop: Header=BB368_10 Depth=1
	s_or_b32 exec_lo, exec_lo, s18
	scratch_load_b64 v[4:5], off, s32 offset:192 ; 8-byte Folded Reload
	v_dual_lshlrev_b32 v1, 24, v2 :: v_dual_lshlrev_b32 v0, 20, v0
	v_lshl_add_u32 v2, v3, 23, 0x3c000000
	s_delay_alu instid0(VALU_DEP_2) | instskip(SKIP_1) | instid1(VALU_DEP_1)
	v_and_b32_e32 v1, 0x80000000, v1
	s_wait_loadcnt 0x0
	v_or3_b32 v5, v0, v1, v2
	scratch_store_b64 off, v[4:5], s32 offset:192 ; 8-byte Folded Spill
.LBB368_72:                             ;   in Loop: Header=BB368_10 Depth=1
	s_wait_xcnt 0x0
	s_or_b32 exec_lo, exec_lo, s17
.LBB368_73:                             ;   in Loop: Header=BB368_10 Depth=1
	s_delay_alu instid0(SALU_CYCLE_1)
	s_or_b32 exec_lo, exec_lo, s16
.LBB368_74:                             ;   in Loop: Header=BB368_10 Depth=1
	s_delay_alu instid0(SALU_CYCLE_1)
	s_or_b32 exec_lo, exec_lo, s15
	flat_load_b64 v[0:1], v[70:71] offset:8
	s_mov_b32 s15, exec_lo
	s_wait_loadcnt_dscnt 0x0
	v_and_b32_e32 v2, 0xff, v0
	s_wait_xcnt 0x0
	s_delay_alu instid0(VALU_DEP_1)
	v_cmpx_ne_u16_e32 0, v2
	s_cbranch_execz .LBB368_82
; %bb.75:                               ;   in Loop: Header=BB368_10 Depth=1
	v_bfrev_b32_e32 v6, 1
	s_mov_b32 s16, exec_lo
	v_cmpx_ne_u16_e32 0x80, v2
	s_cbranch_execz .LBB368_81
; %bb.76:                               ;   in Loop: Header=BB368_10 Depth=1
	v_and_b32_e32 v2, 0x7f, v0
	v_mov_b32_e32 v6, 0x7f800001
	s_mov_b32 s17, exec_lo
	s_delay_alu instid0(VALU_DEP_2)
	v_cmpx_ne_u32_e32 0x7f, v2
	s_cbranch_execz .LBB368_80
; %bb.77:                               ;   in Loop: Header=BB368_10 Depth=1
	v_lshrrev_b32_e32 v4, 3, v2
	v_cmp_gt_u32_e64 s1, 8, v2
	v_mov_b64_e32 v[2:3], v[0:1]
	s_and_saveexec_b32 s18, s1
; %bb.78:                               ;   in Loop: Header=BB368_10 Depth=1
	v_and_b32_e32 v2, 7, v0
	s_delay_alu instid0(VALU_DEP_1) | instskip(NEXT) | instid1(VALU_DEP_1)
	v_clz_i32_u32_e32 v2, v2
	v_min_u32_e32 v4, 32, v2
	s_delay_alu instid0(VALU_DEP_1) | instskip(SKIP_1) | instid1(VALU_DEP_2)
	v_subrev_nc_u32_e32 v2, 28, v4
	v_sub_nc_u32_e32 v4, 29, v4
	v_lshlrev_b64_e32 v[2:3], v2, v[0:1]
; %bb.79:                               ;   in Loop: Header=BB368_10 Depth=1
	s_or_b32 exec_lo, exec_lo, s18
	s_delay_alu instid0(VALU_DEP_1) | instskip(NEXT) | instid1(VALU_DEP_3)
	v_dual_lshlrev_b32 v2, 20, v2 :: v_dual_lshlrev_b32 v3, 24, v0
	v_lshl_add_u32 v4, v4, 23, 0x3c000000
	s_delay_alu instid0(VALU_DEP_2) | instskip(NEXT) | instid1(VALU_DEP_3)
	v_and_b32_e32 v2, 0x700000, v2
	v_and_b32_e32 v3, 0x80000000, v3
	s_delay_alu instid0(VALU_DEP_1)
	v_or3_b32 v6, v2, v3, v4
.LBB368_80:                             ;   in Loop: Header=BB368_10 Depth=1
	s_or_b32 exec_lo, exec_lo, s17
.LBB368_81:                             ;   in Loop: Header=BB368_10 Depth=1
	s_delay_alu instid0(SALU_CYCLE_1)
	s_or_b32 exec_lo, exec_lo, s16
.LBB368_82:                             ;   in Loop: Header=BB368_10 Depth=1
	s_delay_alu instid0(SALU_CYCLE_1)
	s_or_b32 exec_lo, exec_lo, s15
	v_lshrrev_b16 v2, 8, v0
	v_dual_mov_b32 v72, 0 :: v_dual_mov_b32 v7, 0
	s_mov_b32 s15, exec_lo
	scratch_store_b64 off, v[6:7], s32 offset:200 ; 8-byte Folded Spill
	s_wait_xcnt 0x0
	v_cmpx_ne_u16_e32 0, v2
	s_cbranch_execz .LBB368_90
; %bb.83:                               ;   in Loop: Header=BB368_10 Depth=1
	scratch_load_b64 v[4:5], off, s32 offset:200 ; 8-byte Folded Reload
	s_wait_loadcnt 0x0
	v_bfrev_b32_e32 v5, 1
	s_mov_b32 s16, exec_lo
	scratch_store_b64 off, v[4:5], s32 offset:200 ; 8-byte Folded Spill
	s_wait_xcnt 0x0
	v_cmpx_ne_u16_e32 0x80, v2
	s_cbranch_execz .LBB368_89
; %bb.84:                               ;   in Loop: Header=BB368_10 Depth=1
	scratch_load_b64 v[4:5], off, s32 offset:200 ; 8-byte Folded Reload
	v_and_b32_e32 v3, 0xffff, v2
	s_wait_loadcnt 0x0
	v_mov_b32_e32 v5, 0x7f800001
	s_mov_b32 s17, exec_lo
	s_delay_alu instid0(VALU_DEP_2)
	v_and_b32_e32 v2, 0x7f, v3
	scratch_store_b64 off, v[4:5], s32 offset:200 ; 8-byte Folded Spill
	s_wait_xcnt 0x0
	v_cmpx_ne_u32_e32 0x7f, v2
	s_cbranch_execz .LBB368_88
; %bb.85:                               ;   in Loop: Header=BB368_10 Depth=1
	v_dual_lshrrev_b32 v4, 3, v2 :: v_dual_bitop2_b32 v16, 7, v3 bitop3:0x40
	v_cmp_gt_u32_e64 s1, 8, v2
	s_delay_alu instid0(VALU_DEP_2)
	v_mov_b64_e32 v[2:3], v[16:17]
	s_and_saveexec_b32 s18, s1
; %bb.86:                               ;   in Loop: Header=BB368_10 Depth=1
	v_clz_i32_u32_e32 v2, v16
	s_delay_alu instid0(VALU_DEP_1) | instskip(NEXT) | instid1(VALU_DEP_1)
	v_min_u32_e32 v4, 32, v2
	v_subrev_nc_u32_e32 v2, 28, v4
	s_delay_alu instid0(VALU_DEP_1) | instskip(NEXT) | instid1(VALU_DEP_1)
	v_lshlrev_b64_e32 v[2:3], v2, v[16:17]
	v_dual_sub_nc_u32 v4, 29, v4 :: v_dual_bitop2_b32 v2, 7, v2 bitop3:0x40
; %bb.87:                               ;   in Loop: Header=BB368_10 Depth=1
	s_or_b32 exec_lo, exec_lo, s18
	scratch_load_b64 v[6:7], off, s32 offset:200 ; 8-byte Folded Reload
	v_dual_lshlrev_b32 v3, 16, v0 :: v_dual_lshlrev_b32 v2, 20, v2
	v_lshl_add_u32 v4, v4, 23, 0x3c000000
	s_delay_alu instid0(VALU_DEP_2) | instskip(SKIP_1) | instid1(VALU_DEP_1)
	v_and_b32_e32 v3, 0x80000000, v3
	s_wait_loadcnt 0x0
	v_or3_b32 v7, v2, v3, v4
	scratch_store_b64 off, v[6:7], s32 offset:200 ; 8-byte Folded Spill
.LBB368_88:                             ;   in Loop: Header=BB368_10 Depth=1
	s_wait_xcnt 0x0
	s_or_b32 exec_lo, exec_lo, s17
.LBB368_89:                             ;   in Loop: Header=BB368_10 Depth=1
	s_delay_alu instid0(SALU_CYCLE_1)
	s_or_b32 exec_lo, exec_lo, s16
.LBB368_90:                             ;   in Loop: Header=BB368_10 Depth=1
	s_delay_alu instid0(SALU_CYCLE_1) | instskip(SKIP_2) | instid1(VALU_DEP_1)
	s_or_b32 exec_lo, exec_lo, s15
	v_lshrrev_b32_e32 v4, 16, v0
	s_mov_b32 s15, exec_lo
	v_and_b32_e32 v2, 0xff, v4
	s_delay_alu instid0(VALU_DEP_1)
	v_cmpx_ne_u16_e32 0, v2
	s_cbranch_execz .LBB368_98
; %bb.91:                               ;   in Loop: Header=BB368_10 Depth=1
	v_bfrev_b32_e32 v72, 1
	s_mov_b32 s16, exec_lo
	v_cmpx_ne_u16_e32 0x80, v2
	s_cbranch_execz .LBB368_97
; %bb.92:                               ;   in Loop: Header=BB368_10 Depth=1
	v_bfe_u32 v2, v0, 16, 7
	v_mov_b32_e32 v72, 0x7f800001
	s_mov_b32 s17, exec_lo
	s_delay_alu instid0(VALU_DEP_2)
	v_cmpx_ne_u32_e32 0x7f, v2
	s_cbranch_execz .LBB368_96
; %bb.93:                               ;   in Loop: Header=BB368_10 Depth=1
	v_dual_lshrrev_b32 v5, 3, v2 :: v_dual_bitop2_b32 v16, 7, v4 bitop3:0x40
	v_cmp_gt_u32_e64 s1, 8, v2
	s_delay_alu instid0(VALU_DEP_2)
	v_mov_b64_e32 v[2:3], v[16:17]
	s_and_saveexec_b32 s18, s1
; %bb.94:                               ;   in Loop: Header=BB368_10 Depth=1
	v_clz_i32_u32_e32 v2, v16
	s_delay_alu instid0(VALU_DEP_1) | instskip(NEXT) | instid1(VALU_DEP_1)
	v_min_u32_e32 v5, 32, v2
	v_subrev_nc_u32_e32 v2, 28, v5
	s_delay_alu instid0(VALU_DEP_1) | instskip(NEXT) | instid1(VALU_DEP_1)
	v_lshlrev_b64_e32 v[2:3], v2, v[16:17]
	v_dual_sub_nc_u32 v5, 29, v5 :: v_dual_bitop2_b32 v2, 7, v2 bitop3:0x40
; %bb.95:                               ;   in Loop: Header=BB368_10 Depth=1
	s_or_b32 exec_lo, exec_lo, s18
	s_delay_alu instid0(VALU_DEP_1) | instskip(NEXT) | instid1(VALU_DEP_2)
	v_dual_lshlrev_b32 v3, 24, v4 :: v_dual_lshlrev_b32 v2, 20, v2
	v_lshl_add_u32 v4, v5, 23, 0x3c000000
	s_delay_alu instid0(VALU_DEP_2) | instskip(NEXT) | instid1(VALU_DEP_1)
	v_and_b32_e32 v3, 0x80000000, v3
	v_or3_b32 v72, v2, v3, v4
.LBB368_96:                             ;   in Loop: Header=BB368_10 Depth=1
	s_or_b32 exec_lo, exec_lo, s17
.LBB368_97:                             ;   in Loop: Header=BB368_10 Depth=1
	s_delay_alu instid0(SALU_CYCLE_1)
	s_or_b32 exec_lo, exec_lo, s16
.LBB368_98:                             ;   in Loop: Header=BB368_10 Depth=1
	s_delay_alu instid0(SALU_CYCLE_1)
	s_or_b32 exec_lo, exec_lo, s15
	v_dual_mov_b32 v56, 0 :: v_dual_mov_b32 v73, 0
	s_mov_b32 s15, exec_lo
	v_cmpx_lt_u32_e32 0xffffff, v0
	s_cbranch_execz .LBB368_106
; %bb.99:                               ;   in Loop: Header=BB368_10 Depth=1
	v_lshrrev_b32_e32 v4, 24, v0
	v_bfrev_b32_e32 v73, 1
	s_mov_b32 s16, exec_lo
	s_delay_alu instid0(VALU_DEP_2)
	v_cmpx_ne_u32_e32 0x80, v4
	s_cbranch_execz .LBB368_105
; %bb.100:                              ;   in Loop: Header=BB368_10 Depth=1
	v_bfe_u32 v2, v0, 24, 7
	v_mov_b32_e32 v73, 0x7f800001
	s_mov_b32 s17, exec_lo
	s_delay_alu instid0(VALU_DEP_2)
	v_cmpx_ne_u32_e32 0x7f, v2
	s_cbranch_execz .LBB368_104
; %bb.101:                              ;   in Loop: Header=BB368_10 Depth=1
	v_dual_lshrrev_b32 v5, 3, v2 :: v_dual_bitop2_b32 v16, 7, v4 bitop3:0x40
	v_cmp_gt_u32_e64 s1, 8, v2
	s_delay_alu instid0(VALU_DEP_2)
	v_mov_b64_e32 v[2:3], v[16:17]
	s_and_saveexec_b32 s18, s1
; %bb.102:                              ;   in Loop: Header=BB368_10 Depth=1
	v_clz_i32_u32_e32 v2, v16
	s_delay_alu instid0(VALU_DEP_1) | instskip(NEXT) | instid1(VALU_DEP_1)
	v_min_u32_e32 v5, 32, v2
	v_subrev_nc_u32_e32 v2, 28, v5
	s_delay_alu instid0(VALU_DEP_1) | instskip(NEXT) | instid1(VALU_DEP_1)
	v_lshlrev_b64_e32 v[2:3], v2, v[16:17]
	v_dual_sub_nc_u32 v5, 29, v5 :: v_dual_bitop2_b32 v2, 7, v2 bitop3:0x40
; %bb.103:                              ;   in Loop: Header=BB368_10 Depth=1
	s_or_b32 exec_lo, exec_lo, s18
	s_delay_alu instid0(VALU_DEP_1) | instskip(NEXT) | instid1(VALU_DEP_2)
	v_dual_lshlrev_b32 v3, 24, v4 :: v_dual_lshlrev_b32 v2, 20, v2
	v_lshl_add_u32 v4, v5, 23, 0x3c000000
	s_delay_alu instid0(VALU_DEP_2) | instskip(NEXT) | instid1(VALU_DEP_1)
	v_and_b32_e32 v3, 0x80000000, v3
	v_or3_b32 v73, v2, v3, v4
.LBB368_104:                            ;   in Loop: Header=BB368_10 Depth=1
	s_or_b32 exec_lo, exec_lo, s17
.LBB368_105:                            ;   in Loop: Header=BB368_10 Depth=1
	s_delay_alu instid0(SALU_CYCLE_1)
	s_or_b32 exec_lo, exec_lo, s16
.LBB368_106:                            ;   in Loop: Header=BB368_10 Depth=1
	s_delay_alu instid0(SALU_CYCLE_1) | instskip(SKIP_3) | instid1(VALU_DEP_2)
	s_or_b32 exec_lo, exec_lo, s15
	v_and_b32_e32 v2, 0xff, v1
	v_mov_b32_e32 v16, v1
	s_mov_b32 s15, exec_lo
	v_cmpx_ne_u16_e32 0, v2
	s_cbranch_execz .LBB368_114
; %bb.107:                              ;   in Loop: Header=BB368_10 Depth=1
	v_bfrev_b32_e32 v56, 1
	s_mov_b32 s16, exec_lo
	v_cmpx_ne_u16_e32 0x80, v2
	s_cbranch_execz .LBB368_113
; %bb.108:                              ;   in Loop: Header=BB368_10 Depth=1
	v_and_b32_e32 v2, 0x7f, v1
	v_mov_b32_e32 v56, 0x7f800001
	s_mov_b32 s17, exec_lo
	s_delay_alu instid0(VALU_DEP_2)
	v_cmpx_ne_u32_e32 0x7f, v2
	s_cbranch_execz .LBB368_112
; %bb.109:                              ;   in Loop: Header=BB368_10 Depth=1
	v_lshrrev_b32_e32 v4, 3, v2
	v_cmp_gt_u32_e64 s1, 8, v2
	v_mov_b64_e32 v[2:3], v[16:17]
	s_and_saveexec_b32 s18, s1
; %bb.110:                              ;   in Loop: Header=BB368_10 Depth=1
	v_and_b32_e32 v2, 7, v1
	s_delay_alu instid0(VALU_DEP_1) | instskip(NEXT) | instid1(VALU_DEP_1)
	v_clz_i32_u32_e32 v2, v2
	v_min_u32_e32 v4, 32, v2
	s_delay_alu instid0(VALU_DEP_1) | instskip(SKIP_1) | instid1(VALU_DEP_2)
	v_subrev_nc_u32_e32 v2, 28, v4
	v_sub_nc_u32_e32 v4, 29, v4
	v_lshlrev_b64_e32 v[2:3], v2, v[16:17]
; %bb.111:                              ;   in Loop: Header=BB368_10 Depth=1
	s_or_b32 exec_lo, exec_lo, s18
	s_delay_alu instid0(VALU_DEP_1) | instskip(NEXT) | instid1(VALU_DEP_3)
	v_dual_lshlrev_b32 v2, 20, v2 :: v_dual_lshlrev_b32 v3, 24, v16
	v_lshl_add_u32 v4, v4, 23, 0x3c000000
	s_delay_alu instid0(VALU_DEP_2) | instskip(NEXT) | instid1(VALU_DEP_3)
	v_and_b32_e32 v2, 0x700000, v2
	v_and_b32_e32 v3, 0x80000000, v3
	s_delay_alu instid0(VALU_DEP_1)
	v_or3_b32 v56, v2, v3, v4
.LBB368_112:                            ;   in Loop: Header=BB368_10 Depth=1
	s_or_b32 exec_lo, exec_lo, s17
.LBB368_113:                            ;   in Loop: Header=BB368_10 Depth=1
	s_delay_alu instid0(SALU_CYCLE_1)
	s_or_b32 exec_lo, exec_lo, s16
.LBB368_114:                            ;   in Loop: Header=BB368_10 Depth=1
	s_delay_alu instid0(SALU_CYCLE_1) | instskip(SKIP_3) | instid1(VALU_DEP_2)
	s_or_b32 exec_lo, exec_lo, s15
	v_lshrrev_b16 v2, 8, v16
	v_dual_mov_b32 v92, 0 :: v_dual_mov_b32 v57, 0
	s_mov_b32 s15, exec_lo
	v_cmpx_ne_u16_e32 0, v2
	s_cbranch_execz .LBB368_122
; %bb.115:                              ;   in Loop: Header=BB368_10 Depth=1
	v_bfrev_b32_e32 v57, 1
	s_mov_b32 s16, exec_lo
	v_cmpx_ne_u16_e32 0x80, v2
	s_cbranch_execz .LBB368_121
; %bb.116:                              ;   in Loop: Header=BB368_10 Depth=1
	v_and_b32_e32 v2, 0xffff, v2
	v_mov_b32_e32 v57, 0x7f800001
	s_mov_b32 s17, exec_lo
	s_delay_alu instid0(VALU_DEP_2) | instskip(NEXT) | instid1(VALU_DEP_1)
	v_and_b32_e32 v5, 0x7f, v2
	v_cmpx_ne_u32_e32 0x7f, v5
	s_cbranch_execz .LBB368_120
; %bb.117:                              ;   in Loop: Header=BB368_10 Depth=1
	v_dual_mov_b32 v3, v17 :: v_dual_bitop2_b32 v2, 7, v2 bitop3:0x40
	v_lshrrev_b32_e32 v4, 3, v5
	s_mov_b32 s18, exec_lo
	v_cmpx_gt_u32_e32 8, v5
; %bb.118:                              ;   in Loop: Header=BB368_10 Depth=1
	s_delay_alu instid0(VALU_DEP_3) | instskip(NEXT) | instid1(VALU_DEP_1)
	v_clz_i32_u32_e32 v4, v2
	v_min_u32_e32 v4, 32, v4
	s_delay_alu instid0(VALU_DEP_1) | instskip(NEXT) | instid1(VALU_DEP_1)
	v_subrev_nc_u32_e32 v5, 28, v4
	v_lshlrev_b64_e32 v[2:3], v5, v[2:3]
	s_delay_alu instid0(VALU_DEP_1)
	v_dual_sub_nc_u32 v4, 29, v4 :: v_dual_bitop2_b32 v2, 7, v2 bitop3:0x40
; %bb.119:                              ;   in Loop: Header=BB368_10 Depth=1
	s_or_b32 exec_lo, exec_lo, s18
	s_delay_alu instid0(VALU_DEP_1) | instskip(NEXT) | instid1(VALU_DEP_2)
	v_dual_lshlrev_b32 v3, 16, v16 :: v_dual_lshlrev_b32 v2, 20, v2
	v_lshl_add_u32 v4, v4, 23, 0x3c000000
	s_delay_alu instid0(VALU_DEP_2) | instskip(NEXT) | instid1(VALU_DEP_1)
	v_and_b32_e32 v3, 0x80000000, v3
	v_or3_b32 v57, v2, v3, v4
.LBB368_120:                            ;   in Loop: Header=BB368_10 Depth=1
	s_or_b32 exec_lo, exec_lo, s17
.LBB368_121:                            ;   in Loop: Header=BB368_10 Depth=1
	s_delay_alu instid0(SALU_CYCLE_1)
	s_or_b32 exec_lo, exec_lo, s16
.LBB368_122:                            ;   in Loop: Header=BB368_10 Depth=1
	s_delay_alu instid0(SALU_CYCLE_1) | instskip(SKIP_2) | instid1(VALU_DEP_1)
	s_or_b32 exec_lo, exec_lo, s15
	v_lshrrev_b32_e32 v4, 16, v1
	s_mov_b32 s15, exec_lo
	v_and_b32_e32 v2, 0xff, v4
	s_delay_alu instid0(VALU_DEP_1)
	v_cmpx_ne_u16_e32 0, v2
	s_cbranch_execz .LBB368_130
; %bb.123:                              ;   in Loop: Header=BB368_10 Depth=1
	v_bfrev_b32_e32 v92, 1
	s_mov_b32 s16, exec_lo
	v_cmpx_ne_u16_e32 0x80, v2
	s_cbranch_execz .LBB368_129
; %bb.124:                              ;   in Loop: Header=BB368_10 Depth=1
	v_bfe_u32 v2, v1, 16, 7
	v_mov_b32_e32 v92, 0x7f800001
	s_mov_b32 s17, exec_lo
	s_delay_alu instid0(VALU_DEP_2)
	v_cmpx_ne_u32_e32 0x7f, v2
	s_cbranch_execz .LBB368_128
; %bb.125:                              ;   in Loop: Header=BB368_10 Depth=1
	v_dual_lshrrev_b32 v5, 3, v2 :: v_dual_bitop2_b32 v16, 7, v4 bitop3:0x40
	v_cmp_gt_u32_e64 s1, 8, v2
	s_delay_alu instid0(VALU_DEP_2)
	v_mov_b64_e32 v[2:3], v[16:17]
	s_and_saveexec_b32 s18, s1
; %bb.126:                              ;   in Loop: Header=BB368_10 Depth=1
	v_clz_i32_u32_e32 v2, v16
	s_delay_alu instid0(VALU_DEP_1) | instskip(NEXT) | instid1(VALU_DEP_1)
	v_min_u32_e32 v5, 32, v2
	v_subrev_nc_u32_e32 v2, 28, v5
	s_delay_alu instid0(VALU_DEP_1) | instskip(NEXT) | instid1(VALU_DEP_1)
	v_lshlrev_b64_e32 v[2:3], v2, v[16:17]
	v_dual_sub_nc_u32 v5, 29, v5 :: v_dual_bitop2_b32 v2, 7, v2 bitop3:0x40
; %bb.127:                              ;   in Loop: Header=BB368_10 Depth=1
	s_or_b32 exec_lo, exec_lo, s18
	s_delay_alu instid0(VALU_DEP_1) | instskip(NEXT) | instid1(VALU_DEP_2)
	v_dual_lshlrev_b32 v3, 24, v4 :: v_dual_lshlrev_b32 v2, 20, v2
	v_lshl_add_u32 v4, v5, 23, 0x3c000000
	s_delay_alu instid0(VALU_DEP_2) | instskip(NEXT) | instid1(VALU_DEP_1)
	v_and_b32_e32 v3, 0x80000000, v3
	v_or3_b32 v92, v2, v3, v4
.LBB368_128:                            ;   in Loop: Header=BB368_10 Depth=1
	s_or_b32 exec_lo, exec_lo, s17
.LBB368_129:                            ;   in Loop: Header=BB368_10 Depth=1
	s_delay_alu instid0(SALU_CYCLE_1)
	s_or_b32 exec_lo, exec_lo, s16
.LBB368_130:                            ;   in Loop: Header=BB368_10 Depth=1
	s_delay_alu instid0(SALU_CYCLE_1)
	s_or_b32 exec_lo, exec_lo, s15
	v_dual_mov_b32 v84, 0 :: v_dual_mov_b32 v93, 0
	s_mov_b32 s15, exec_lo
	v_cmpx_lt_u64_e64 s[2:3], v[0:1]
	s_cbranch_execz .LBB368_138
; %bb.131:                              ;   in Loop: Header=BB368_10 Depth=1
	v_lshrrev_b32_e32 v2, 24, v1
	v_bfrev_b32_e32 v93, 1
	s_mov_b32 s16, exec_lo
	s_delay_alu instid0(VALU_DEP_2)
	v_cmpx_ne_u32_e32 0x80, v2
	s_cbranch_execz .LBB368_137
; %bb.132:                              ;   in Loop: Header=BB368_10 Depth=1
	v_bfe_u32 v0, v1, 24, 7
	v_mov_b32_e32 v93, 0x7f800001
	s_mov_b32 s17, exec_lo
	s_delay_alu instid0(VALU_DEP_2)
	v_cmpx_ne_u32_e32 0x7f, v0
	s_cbranch_execz .LBB368_136
; %bb.133:                              ;   in Loop: Header=BB368_10 Depth=1
	v_dual_lshrrev_b32 v3, 3, v0 :: v_dual_bitop2_b32 v16, 7, v2 bitop3:0x40
	v_cmp_gt_u32_e64 s1, 8, v0
	s_delay_alu instid0(VALU_DEP_2)
	v_mov_b64_e32 v[0:1], v[16:17]
	s_and_saveexec_b32 s18, s1
; %bb.134:                              ;   in Loop: Header=BB368_10 Depth=1
	v_clz_i32_u32_e32 v0, v16
	s_delay_alu instid0(VALU_DEP_1) | instskip(NEXT) | instid1(VALU_DEP_1)
	v_min_u32_e32 v3, 32, v0
	v_subrev_nc_u32_e32 v0, 28, v3
	s_delay_alu instid0(VALU_DEP_1) | instskip(NEXT) | instid1(VALU_DEP_1)
	v_lshlrev_b64_e32 v[0:1], v0, v[16:17]
	v_dual_sub_nc_u32 v3, 29, v3 :: v_dual_bitop2_b32 v0, 7, v0 bitop3:0x40
; %bb.135:                              ;   in Loop: Header=BB368_10 Depth=1
	s_or_b32 exec_lo, exec_lo, s18
	s_delay_alu instid0(VALU_DEP_1) | instskip(NEXT) | instid1(VALU_DEP_2)
	v_dual_lshlrev_b32 v1, 24, v2 :: v_dual_lshlrev_b32 v0, 20, v0
	v_lshl_add_u32 v2, v3, 23, 0x3c000000
	s_delay_alu instid0(VALU_DEP_2) | instskip(NEXT) | instid1(VALU_DEP_1)
	v_and_b32_e32 v1, 0x80000000, v1
	v_or3_b32 v93, v0, v1, v2
.LBB368_136:                            ;   in Loop: Header=BB368_10 Depth=1
	s_or_b32 exec_lo, exec_lo, s17
.LBB368_137:                            ;   in Loop: Header=BB368_10 Depth=1
	s_delay_alu instid0(SALU_CYCLE_1)
	s_or_b32 exec_lo, exec_lo, s16
.LBB368_138:                            ;   in Loop: Header=BB368_10 Depth=1
	s_delay_alu instid0(SALU_CYCLE_1)
	s_or_b32 exec_lo, exec_lo, s15
	flat_load_b64 v[0:1], v[70:71] offset:512
	s_mov_b32 s15, exec_lo
	s_wait_loadcnt_dscnt 0x0
	v_and_b32_e32 v2, 0xff, v0
	s_wait_xcnt 0x0
	s_delay_alu instid0(VALU_DEP_1)
	v_cmpx_ne_u16_e32 0, v2
	s_cbranch_execz .LBB368_146
; %bb.139:                              ;   in Loop: Header=BB368_10 Depth=1
	v_bfrev_b32_e32 v84, 1
	s_mov_b32 s16, exec_lo
	v_cmpx_ne_u16_e32 0x80, v2
	s_cbranch_execz .LBB368_145
; %bb.140:                              ;   in Loop: Header=BB368_10 Depth=1
	v_and_b32_e32 v2, 0x7f, v0
	v_mov_b32_e32 v84, 0x7f800001
	s_mov_b32 s17, exec_lo
	s_delay_alu instid0(VALU_DEP_2)
	v_cmpx_ne_u32_e32 0x7f, v2
	s_cbranch_execz .LBB368_144
; %bb.141:                              ;   in Loop: Header=BB368_10 Depth=1
	v_lshrrev_b32_e32 v4, 3, v2
	v_cmp_gt_u32_e64 s1, 8, v2
	v_mov_b64_e32 v[2:3], v[0:1]
	s_and_saveexec_b32 s18, s1
; %bb.142:                              ;   in Loop: Header=BB368_10 Depth=1
	v_and_b32_e32 v2, 7, v0
	s_delay_alu instid0(VALU_DEP_1) | instskip(NEXT) | instid1(VALU_DEP_1)
	v_clz_i32_u32_e32 v2, v2
	v_min_u32_e32 v4, 32, v2
	s_delay_alu instid0(VALU_DEP_1) | instskip(SKIP_1) | instid1(VALU_DEP_2)
	v_subrev_nc_u32_e32 v2, 28, v4
	v_sub_nc_u32_e32 v4, 29, v4
	v_lshlrev_b64_e32 v[2:3], v2, v[0:1]
; %bb.143:                              ;   in Loop: Header=BB368_10 Depth=1
	s_or_b32 exec_lo, exec_lo, s18
	s_delay_alu instid0(VALU_DEP_1) | instskip(NEXT) | instid1(VALU_DEP_3)
	v_dual_lshlrev_b32 v2, 20, v2 :: v_dual_lshlrev_b32 v3, 24, v0
	v_lshl_add_u32 v4, v4, 23, 0x3c000000
	s_delay_alu instid0(VALU_DEP_2) | instskip(NEXT) | instid1(VALU_DEP_3)
	v_and_b32_e32 v2, 0x700000, v2
	v_and_b32_e32 v3, 0x80000000, v3
	s_delay_alu instid0(VALU_DEP_1)
	v_or3_b32 v84, v2, v3, v4
.LBB368_144:                            ;   in Loop: Header=BB368_10 Depth=1
	s_or_b32 exec_lo, exec_lo, s17
.LBB368_145:                            ;   in Loop: Header=BB368_10 Depth=1
	s_delay_alu instid0(SALU_CYCLE_1)
	s_or_b32 exec_lo, exec_lo, s16
.LBB368_146:                            ;   in Loop: Header=BB368_10 Depth=1
	s_delay_alu instid0(SALU_CYCLE_1) | instskip(SKIP_3) | instid1(VALU_DEP_2)
	s_or_b32 exec_lo, exec_lo, s15
	v_lshrrev_b16 v2, 8, v0
	v_dual_mov_b32 v86, 0 :: v_dual_mov_b32 v85, 0
	s_mov_b32 s15, exec_lo
	v_cmpx_ne_u16_e32 0, v2
	s_cbranch_execz .LBB368_154
; %bb.147:                              ;   in Loop: Header=BB368_10 Depth=1
	v_bfrev_b32_e32 v85, 1
	s_mov_b32 s16, exec_lo
	v_cmpx_ne_u16_e32 0x80, v2
	s_cbranch_execz .LBB368_153
; %bb.148:                              ;   in Loop: Header=BB368_10 Depth=1
	v_and_b32_e32 v3, 0xffff, v2
	v_mov_b32_e32 v85, 0x7f800001
	s_mov_b32 s17, exec_lo
	s_delay_alu instid0(VALU_DEP_2) | instskip(NEXT) | instid1(VALU_DEP_1)
	v_and_b32_e32 v2, 0x7f, v3
	v_cmpx_ne_u32_e32 0x7f, v2
	s_cbranch_execz .LBB368_152
; %bb.149:                              ;   in Loop: Header=BB368_10 Depth=1
	v_dual_lshrrev_b32 v4, 3, v2 :: v_dual_bitop2_b32 v16, 7, v3 bitop3:0x40
	v_cmp_gt_u32_e64 s1, 8, v2
	s_delay_alu instid0(VALU_DEP_2)
	v_mov_b64_e32 v[2:3], v[16:17]
	s_and_saveexec_b32 s18, s1
; %bb.150:                              ;   in Loop: Header=BB368_10 Depth=1
	v_clz_i32_u32_e32 v2, v16
	s_delay_alu instid0(VALU_DEP_1) | instskip(NEXT) | instid1(VALU_DEP_1)
	v_min_u32_e32 v4, 32, v2
	v_subrev_nc_u32_e32 v2, 28, v4
	s_delay_alu instid0(VALU_DEP_1) | instskip(NEXT) | instid1(VALU_DEP_1)
	v_lshlrev_b64_e32 v[2:3], v2, v[16:17]
	v_dual_sub_nc_u32 v4, 29, v4 :: v_dual_bitop2_b32 v2, 7, v2 bitop3:0x40
; %bb.151:                              ;   in Loop: Header=BB368_10 Depth=1
	s_or_b32 exec_lo, exec_lo, s18
	s_delay_alu instid0(VALU_DEP_1) | instskip(NEXT) | instid1(VALU_DEP_2)
	v_dual_lshlrev_b32 v3, 16, v0 :: v_dual_lshlrev_b32 v2, 20, v2
	v_lshl_add_u32 v4, v4, 23, 0x3c000000
	s_delay_alu instid0(VALU_DEP_2) | instskip(NEXT) | instid1(VALU_DEP_1)
	v_and_b32_e32 v3, 0x80000000, v3
	v_or3_b32 v85, v2, v3, v4
.LBB368_152:                            ;   in Loop: Header=BB368_10 Depth=1
	s_or_b32 exec_lo, exec_lo, s17
.LBB368_153:                            ;   in Loop: Header=BB368_10 Depth=1
	s_delay_alu instid0(SALU_CYCLE_1)
	s_or_b32 exec_lo, exec_lo, s16
.LBB368_154:                            ;   in Loop: Header=BB368_10 Depth=1
	s_delay_alu instid0(SALU_CYCLE_1) | instskip(SKIP_2) | instid1(VALU_DEP_1)
	s_or_b32 exec_lo, exec_lo, s15
	v_lshrrev_b32_e32 v4, 16, v0
	s_mov_b32 s15, exec_lo
	v_and_b32_e32 v2, 0xff, v4
	s_delay_alu instid0(VALU_DEP_1)
	v_cmpx_ne_u16_e32 0, v2
	s_cbranch_execz .LBB368_162
; %bb.155:                              ;   in Loop: Header=BB368_10 Depth=1
	v_bfrev_b32_e32 v86, 1
	s_mov_b32 s16, exec_lo
	v_cmpx_ne_u16_e32 0x80, v2
	s_cbranch_execz .LBB368_161
; %bb.156:                              ;   in Loop: Header=BB368_10 Depth=1
	v_bfe_u32 v2, v0, 16, 7
	v_mov_b32_e32 v86, 0x7f800001
	s_mov_b32 s17, exec_lo
	s_delay_alu instid0(VALU_DEP_2)
	v_cmpx_ne_u32_e32 0x7f, v2
	s_cbranch_execz .LBB368_160
; %bb.157:                              ;   in Loop: Header=BB368_10 Depth=1
	v_dual_lshrrev_b32 v5, 3, v2 :: v_dual_bitop2_b32 v16, 7, v4 bitop3:0x40
	v_cmp_gt_u32_e64 s1, 8, v2
	s_delay_alu instid0(VALU_DEP_2)
	v_mov_b64_e32 v[2:3], v[16:17]
	s_and_saveexec_b32 s18, s1
; %bb.158:                              ;   in Loop: Header=BB368_10 Depth=1
	v_clz_i32_u32_e32 v2, v16
	s_delay_alu instid0(VALU_DEP_1) | instskip(NEXT) | instid1(VALU_DEP_1)
	v_min_u32_e32 v5, 32, v2
	v_subrev_nc_u32_e32 v2, 28, v5
	s_delay_alu instid0(VALU_DEP_1) | instskip(NEXT) | instid1(VALU_DEP_1)
	v_lshlrev_b64_e32 v[2:3], v2, v[16:17]
	v_dual_sub_nc_u32 v5, 29, v5 :: v_dual_bitop2_b32 v2, 7, v2 bitop3:0x40
; %bb.159:                              ;   in Loop: Header=BB368_10 Depth=1
	s_or_b32 exec_lo, exec_lo, s18
	s_delay_alu instid0(VALU_DEP_1) | instskip(NEXT) | instid1(VALU_DEP_2)
	v_dual_lshlrev_b32 v3, 24, v4 :: v_dual_lshlrev_b32 v2, 20, v2
	v_lshl_add_u32 v4, v5, 23, 0x3c000000
	s_delay_alu instid0(VALU_DEP_2) | instskip(NEXT) | instid1(VALU_DEP_1)
	v_and_b32_e32 v3, 0x80000000, v3
	v_or3_b32 v86, v2, v3, v4
.LBB368_160:                            ;   in Loop: Header=BB368_10 Depth=1
	s_or_b32 exec_lo, exec_lo, s17
.LBB368_161:                            ;   in Loop: Header=BB368_10 Depth=1
	s_delay_alu instid0(SALU_CYCLE_1)
	s_or_b32 exec_lo, exec_lo, s16
.LBB368_162:                            ;   in Loop: Header=BB368_10 Depth=1
	s_delay_alu instid0(SALU_CYCLE_1)
	s_or_b32 exec_lo, exec_lo, s15
	v_dual_mov_b32 v96, 0 :: v_dual_mov_b32 v87, 0
	s_mov_b32 s15, exec_lo
	v_cmpx_lt_u32_e32 0xffffff, v0
	s_cbranch_execz .LBB368_170
; %bb.163:                              ;   in Loop: Header=BB368_10 Depth=1
	v_lshrrev_b32_e32 v4, 24, v0
	v_bfrev_b32_e32 v87, 1
	s_mov_b32 s16, exec_lo
	s_delay_alu instid0(VALU_DEP_2)
	v_cmpx_ne_u32_e32 0x80, v4
	s_cbranch_execz .LBB368_169
; %bb.164:                              ;   in Loop: Header=BB368_10 Depth=1
	v_bfe_u32 v2, v0, 24, 7
	v_mov_b32_e32 v87, 0x7f800001
	s_mov_b32 s17, exec_lo
	s_delay_alu instid0(VALU_DEP_2)
	v_cmpx_ne_u32_e32 0x7f, v2
	s_cbranch_execz .LBB368_168
; %bb.165:                              ;   in Loop: Header=BB368_10 Depth=1
	v_dual_lshrrev_b32 v5, 3, v2 :: v_dual_bitop2_b32 v16, 7, v4 bitop3:0x40
	v_cmp_gt_u32_e64 s1, 8, v2
	s_delay_alu instid0(VALU_DEP_2)
	v_mov_b64_e32 v[2:3], v[16:17]
	s_and_saveexec_b32 s18, s1
; %bb.166:                              ;   in Loop: Header=BB368_10 Depth=1
	v_clz_i32_u32_e32 v2, v16
	s_delay_alu instid0(VALU_DEP_1) | instskip(NEXT) | instid1(VALU_DEP_1)
	v_min_u32_e32 v5, 32, v2
	v_subrev_nc_u32_e32 v2, 28, v5
	s_delay_alu instid0(VALU_DEP_1) | instskip(NEXT) | instid1(VALU_DEP_1)
	v_lshlrev_b64_e32 v[2:3], v2, v[16:17]
	v_dual_sub_nc_u32 v5, 29, v5 :: v_dual_bitop2_b32 v2, 7, v2 bitop3:0x40
; %bb.167:                              ;   in Loop: Header=BB368_10 Depth=1
	s_or_b32 exec_lo, exec_lo, s18
	s_delay_alu instid0(VALU_DEP_1) | instskip(NEXT) | instid1(VALU_DEP_2)
	v_dual_lshlrev_b32 v3, 24, v4 :: v_dual_lshlrev_b32 v2, 20, v2
	v_lshl_add_u32 v4, v5, 23, 0x3c000000
	s_delay_alu instid0(VALU_DEP_2) | instskip(NEXT) | instid1(VALU_DEP_1)
	v_and_b32_e32 v3, 0x80000000, v3
	v_or3_b32 v87, v2, v3, v4
.LBB368_168:                            ;   in Loop: Header=BB368_10 Depth=1
	s_or_b32 exec_lo, exec_lo, s17
.LBB368_169:                            ;   in Loop: Header=BB368_10 Depth=1
	s_delay_alu instid0(SALU_CYCLE_1)
	s_or_b32 exec_lo, exec_lo, s16
.LBB368_170:                            ;   in Loop: Header=BB368_10 Depth=1
	s_delay_alu instid0(SALU_CYCLE_1) | instskip(SKIP_3) | instid1(VALU_DEP_2)
	s_or_b32 exec_lo, exec_lo, s15
	v_and_b32_e32 v2, 0xff, v1
	v_mov_b32_e32 v16, v1
	s_mov_b32 s15, exec_lo
	v_cmpx_ne_u16_e32 0, v2
	s_cbranch_execz .LBB368_178
; %bb.171:                              ;   in Loop: Header=BB368_10 Depth=1
	v_bfrev_b32_e32 v96, 1
	s_mov_b32 s16, exec_lo
	v_cmpx_ne_u16_e32 0x80, v2
	s_cbranch_execz .LBB368_177
; %bb.172:                              ;   in Loop: Header=BB368_10 Depth=1
	v_and_b32_e32 v2, 0x7f, v1
	v_mov_b32_e32 v96, 0x7f800001
	s_mov_b32 s17, exec_lo
	s_delay_alu instid0(VALU_DEP_2)
	v_cmpx_ne_u32_e32 0x7f, v2
	s_cbranch_execz .LBB368_176
; %bb.173:                              ;   in Loop: Header=BB368_10 Depth=1
	v_lshrrev_b32_e32 v4, 3, v2
	v_cmp_gt_u32_e64 s1, 8, v2
	v_mov_b64_e32 v[2:3], v[16:17]
	s_and_saveexec_b32 s18, s1
; %bb.174:                              ;   in Loop: Header=BB368_10 Depth=1
	v_and_b32_e32 v2, 7, v1
	s_delay_alu instid0(VALU_DEP_1) | instskip(NEXT) | instid1(VALU_DEP_1)
	v_clz_i32_u32_e32 v2, v2
	v_min_u32_e32 v4, 32, v2
	s_delay_alu instid0(VALU_DEP_1) | instskip(SKIP_1) | instid1(VALU_DEP_2)
	v_subrev_nc_u32_e32 v2, 28, v4
	v_sub_nc_u32_e32 v4, 29, v4
	v_lshlrev_b64_e32 v[2:3], v2, v[16:17]
; %bb.175:                              ;   in Loop: Header=BB368_10 Depth=1
	s_or_b32 exec_lo, exec_lo, s18
	s_delay_alu instid0(VALU_DEP_1) | instskip(NEXT) | instid1(VALU_DEP_3)
	v_dual_lshlrev_b32 v2, 20, v2 :: v_dual_lshlrev_b32 v3, 24, v16
	v_lshl_add_u32 v4, v4, 23, 0x3c000000
	s_delay_alu instid0(VALU_DEP_2) | instskip(NEXT) | instid1(VALU_DEP_3)
	v_and_b32_e32 v2, 0x700000, v2
	v_and_b32_e32 v3, 0x80000000, v3
	s_delay_alu instid0(VALU_DEP_1)
	v_or3_b32 v96, v2, v3, v4
.LBB368_176:                            ;   in Loop: Header=BB368_10 Depth=1
	s_or_b32 exec_lo, exec_lo, s17
.LBB368_177:                            ;   in Loop: Header=BB368_10 Depth=1
	s_delay_alu instid0(SALU_CYCLE_1)
	s_or_b32 exec_lo, exec_lo, s16
.LBB368_178:                            ;   in Loop: Header=BB368_10 Depth=1
	s_delay_alu instid0(SALU_CYCLE_1) | instskip(SKIP_3) | instid1(VALU_DEP_2)
	s_or_b32 exec_lo, exec_lo, s15
	v_lshrrev_b16 v2, 8, v16
	v_dual_mov_b32 v54, 0 :: v_dual_mov_b32 v97, 0
	s_mov_b32 s15, exec_lo
	v_cmpx_ne_u16_e32 0, v2
	s_cbranch_execz .LBB368_186
; %bb.179:                              ;   in Loop: Header=BB368_10 Depth=1
	v_bfrev_b32_e32 v97, 1
	s_mov_b32 s16, exec_lo
	v_cmpx_ne_u16_e32 0x80, v2
	s_cbranch_execz .LBB368_185
; %bb.180:                              ;   in Loop: Header=BB368_10 Depth=1
	v_and_b32_e32 v2, 0xffff, v2
	v_mov_b32_e32 v97, 0x7f800001
	s_mov_b32 s17, exec_lo
	s_delay_alu instid0(VALU_DEP_2) | instskip(NEXT) | instid1(VALU_DEP_1)
	v_and_b32_e32 v5, 0x7f, v2
	v_cmpx_ne_u32_e32 0x7f, v5
	s_cbranch_execz .LBB368_184
; %bb.181:                              ;   in Loop: Header=BB368_10 Depth=1
	v_dual_mov_b32 v3, v17 :: v_dual_bitop2_b32 v2, 7, v2 bitop3:0x40
	v_lshrrev_b32_e32 v4, 3, v5
	s_mov_b32 s18, exec_lo
	v_cmpx_gt_u32_e32 8, v5
; %bb.182:                              ;   in Loop: Header=BB368_10 Depth=1
	s_delay_alu instid0(VALU_DEP_3) | instskip(NEXT) | instid1(VALU_DEP_1)
	v_clz_i32_u32_e32 v4, v2
	v_min_u32_e32 v4, 32, v4
	s_delay_alu instid0(VALU_DEP_1) | instskip(NEXT) | instid1(VALU_DEP_1)
	v_subrev_nc_u32_e32 v5, 28, v4
	v_lshlrev_b64_e32 v[2:3], v5, v[2:3]
	s_delay_alu instid0(VALU_DEP_1)
	v_dual_sub_nc_u32 v4, 29, v4 :: v_dual_bitop2_b32 v2, 7, v2 bitop3:0x40
; %bb.183:                              ;   in Loop: Header=BB368_10 Depth=1
	s_or_b32 exec_lo, exec_lo, s18
	s_delay_alu instid0(VALU_DEP_1) | instskip(NEXT) | instid1(VALU_DEP_2)
	v_dual_lshlrev_b32 v3, 16, v16 :: v_dual_lshlrev_b32 v2, 20, v2
	v_lshl_add_u32 v4, v4, 23, 0x3c000000
	s_delay_alu instid0(VALU_DEP_2) | instskip(NEXT) | instid1(VALU_DEP_1)
	v_and_b32_e32 v3, 0x80000000, v3
	v_or3_b32 v97, v2, v3, v4
.LBB368_184:                            ;   in Loop: Header=BB368_10 Depth=1
	s_or_b32 exec_lo, exec_lo, s17
.LBB368_185:                            ;   in Loop: Header=BB368_10 Depth=1
	s_delay_alu instid0(SALU_CYCLE_1)
	s_or_b32 exec_lo, exec_lo, s16
.LBB368_186:                            ;   in Loop: Header=BB368_10 Depth=1
	s_delay_alu instid0(SALU_CYCLE_1) | instskip(SKIP_2) | instid1(VALU_DEP_1)
	s_or_b32 exec_lo, exec_lo, s15
	v_lshrrev_b32_e32 v4, 16, v1
	s_mov_b32 s15, exec_lo
	v_and_b32_e32 v2, 0xff, v4
	s_delay_alu instid0(VALU_DEP_1)
	v_cmpx_ne_u16_e32 0, v2
	s_cbranch_execz .LBB368_194
; %bb.187:                              ;   in Loop: Header=BB368_10 Depth=1
	v_bfrev_b32_e32 v54, 1
	s_mov_b32 s16, exec_lo
	v_cmpx_ne_u16_e32 0x80, v2
	s_cbranch_execz .LBB368_193
; %bb.188:                              ;   in Loop: Header=BB368_10 Depth=1
	v_bfe_u32 v2, v1, 16, 7
	v_mov_b32_e32 v54, 0x7f800001
	s_mov_b32 s17, exec_lo
	s_delay_alu instid0(VALU_DEP_2)
	v_cmpx_ne_u32_e32 0x7f, v2
	s_cbranch_execz .LBB368_192
; %bb.189:                              ;   in Loop: Header=BB368_10 Depth=1
	v_dual_lshrrev_b32 v5, 3, v2 :: v_dual_bitop2_b32 v16, 7, v4 bitop3:0x40
	v_cmp_gt_u32_e64 s1, 8, v2
	s_delay_alu instid0(VALU_DEP_2)
	v_mov_b64_e32 v[2:3], v[16:17]
	s_and_saveexec_b32 s18, s1
; %bb.190:                              ;   in Loop: Header=BB368_10 Depth=1
	v_clz_i32_u32_e32 v2, v16
	s_delay_alu instid0(VALU_DEP_1) | instskip(NEXT) | instid1(VALU_DEP_1)
	v_min_u32_e32 v5, 32, v2
	v_subrev_nc_u32_e32 v2, 28, v5
	s_delay_alu instid0(VALU_DEP_1) | instskip(NEXT) | instid1(VALU_DEP_1)
	v_lshlrev_b64_e32 v[2:3], v2, v[16:17]
	v_dual_sub_nc_u32 v5, 29, v5 :: v_dual_bitop2_b32 v2, 7, v2 bitop3:0x40
; %bb.191:                              ;   in Loop: Header=BB368_10 Depth=1
	s_or_b32 exec_lo, exec_lo, s18
	s_delay_alu instid0(VALU_DEP_1) | instskip(NEXT) | instid1(VALU_DEP_2)
	v_dual_lshlrev_b32 v3, 24, v4 :: v_dual_lshlrev_b32 v2, 20, v2
	v_lshl_add_u32 v4, v5, 23, 0x3c000000
	s_delay_alu instid0(VALU_DEP_2) | instskip(NEXT) | instid1(VALU_DEP_1)
	v_and_b32_e32 v3, 0x80000000, v3
	v_or3_b32 v54, v2, v3, v4
.LBB368_192:                            ;   in Loop: Header=BB368_10 Depth=1
	s_or_b32 exec_lo, exec_lo, s17
.LBB368_193:                            ;   in Loop: Header=BB368_10 Depth=1
	s_delay_alu instid0(SALU_CYCLE_1)
	s_or_b32 exec_lo, exec_lo, s16
.LBB368_194:                            ;   in Loop: Header=BB368_10 Depth=1
	s_delay_alu instid0(SALU_CYCLE_1)
	s_or_b32 exec_lo, exec_lo, s15
	v_dual_mov_b32 v100, 0 :: v_dual_mov_b32 v55, 0
	s_mov_b32 s15, exec_lo
	v_cmpx_lt_u64_e64 s[2:3], v[0:1]
	s_cbranch_execz .LBB368_202
; %bb.195:                              ;   in Loop: Header=BB368_10 Depth=1
	v_lshrrev_b32_e32 v2, 24, v1
	v_bfrev_b32_e32 v55, 1
	s_mov_b32 s16, exec_lo
	s_delay_alu instid0(VALU_DEP_2)
	v_cmpx_ne_u32_e32 0x80, v2
	s_cbranch_execz .LBB368_201
; %bb.196:                              ;   in Loop: Header=BB368_10 Depth=1
	v_bfe_u32 v0, v1, 24, 7
	v_mov_b32_e32 v55, 0x7f800001
	s_mov_b32 s17, exec_lo
	s_delay_alu instid0(VALU_DEP_2)
	v_cmpx_ne_u32_e32 0x7f, v0
	s_cbranch_execz .LBB368_200
; %bb.197:                              ;   in Loop: Header=BB368_10 Depth=1
	v_dual_lshrrev_b32 v3, 3, v0 :: v_dual_bitop2_b32 v16, 7, v2 bitop3:0x40
	v_cmp_gt_u32_e64 s1, 8, v0
	s_delay_alu instid0(VALU_DEP_2)
	v_mov_b64_e32 v[0:1], v[16:17]
	s_and_saveexec_b32 s18, s1
; %bb.198:                              ;   in Loop: Header=BB368_10 Depth=1
	v_clz_i32_u32_e32 v0, v16
	s_delay_alu instid0(VALU_DEP_1) | instskip(NEXT) | instid1(VALU_DEP_1)
	v_min_u32_e32 v3, 32, v0
	v_subrev_nc_u32_e32 v0, 28, v3
	s_delay_alu instid0(VALU_DEP_1) | instskip(NEXT) | instid1(VALU_DEP_1)
	v_lshlrev_b64_e32 v[0:1], v0, v[16:17]
	v_dual_sub_nc_u32 v3, 29, v3 :: v_dual_bitop2_b32 v0, 7, v0 bitop3:0x40
; %bb.199:                              ;   in Loop: Header=BB368_10 Depth=1
	s_or_b32 exec_lo, exec_lo, s18
	s_delay_alu instid0(VALU_DEP_1) | instskip(NEXT) | instid1(VALU_DEP_2)
	v_dual_lshlrev_b32 v1, 24, v2 :: v_dual_lshlrev_b32 v0, 20, v0
	v_lshl_add_u32 v2, v3, 23, 0x3c000000
	s_delay_alu instid0(VALU_DEP_2) | instskip(NEXT) | instid1(VALU_DEP_1)
	v_and_b32_e32 v1, 0x80000000, v1
	v_or3_b32 v55, v0, v1, v2
.LBB368_200:                            ;   in Loop: Header=BB368_10 Depth=1
	s_or_b32 exec_lo, exec_lo, s17
.LBB368_201:                            ;   in Loop: Header=BB368_10 Depth=1
	s_delay_alu instid0(SALU_CYCLE_1)
	s_or_b32 exec_lo, exec_lo, s16
.LBB368_202:                            ;   in Loop: Header=BB368_10 Depth=1
	s_delay_alu instid0(SALU_CYCLE_1)
	s_or_b32 exec_lo, exec_lo, s15
	flat_load_b64 v[0:1], v[70:71] offset:520
	s_mov_b32 s15, exec_lo
	s_wait_loadcnt_dscnt 0x0
	v_and_b32_e32 v2, 0xff, v0
	s_wait_xcnt 0x0
	s_delay_alu instid0(VALU_DEP_1)
	v_cmpx_ne_u16_e32 0, v2
	s_cbranch_execz .LBB368_210
; %bb.203:                              ;   in Loop: Header=BB368_10 Depth=1
	v_bfrev_b32_e32 v100, 1
	s_mov_b32 s16, exec_lo
	v_cmpx_ne_u16_e32 0x80, v2
	s_cbranch_execz .LBB368_209
; %bb.204:                              ;   in Loop: Header=BB368_10 Depth=1
	v_and_b32_e32 v2, 0x7f, v0
	v_mov_b32_e32 v100, 0x7f800001
	s_mov_b32 s17, exec_lo
	s_delay_alu instid0(VALU_DEP_2)
	v_cmpx_ne_u32_e32 0x7f, v2
	s_cbranch_execz .LBB368_208
; %bb.205:                              ;   in Loop: Header=BB368_10 Depth=1
	v_lshrrev_b32_e32 v4, 3, v2
	v_cmp_gt_u32_e64 s1, 8, v2
	v_mov_b64_e32 v[2:3], v[0:1]
	s_and_saveexec_b32 s18, s1
; %bb.206:                              ;   in Loop: Header=BB368_10 Depth=1
	v_and_b32_e32 v2, 7, v0
	s_delay_alu instid0(VALU_DEP_1) | instskip(NEXT) | instid1(VALU_DEP_1)
	v_clz_i32_u32_e32 v2, v2
	v_min_u32_e32 v4, 32, v2
	s_delay_alu instid0(VALU_DEP_1) | instskip(SKIP_1) | instid1(VALU_DEP_2)
	v_subrev_nc_u32_e32 v2, 28, v4
	v_sub_nc_u32_e32 v4, 29, v4
	v_lshlrev_b64_e32 v[2:3], v2, v[0:1]
; %bb.207:                              ;   in Loop: Header=BB368_10 Depth=1
	s_or_b32 exec_lo, exec_lo, s18
	s_delay_alu instid0(VALU_DEP_1) | instskip(NEXT) | instid1(VALU_DEP_3)
	v_dual_lshlrev_b32 v2, 20, v2 :: v_dual_lshlrev_b32 v3, 24, v0
	v_lshl_add_u32 v4, v4, 23, 0x3c000000
	s_delay_alu instid0(VALU_DEP_2) | instskip(NEXT) | instid1(VALU_DEP_3)
	v_and_b32_e32 v2, 0x700000, v2
	v_and_b32_e32 v3, 0x80000000, v3
	s_delay_alu instid0(VALU_DEP_1)
	v_or3_b32 v100, v2, v3, v4
.LBB368_208:                            ;   in Loop: Header=BB368_10 Depth=1
	s_or_b32 exec_lo, exec_lo, s17
.LBB368_209:                            ;   in Loop: Header=BB368_10 Depth=1
	s_delay_alu instid0(SALU_CYCLE_1)
	s_or_b32 exec_lo, exec_lo, s16
.LBB368_210:                            ;   in Loop: Header=BB368_10 Depth=1
	s_delay_alu instid0(SALU_CYCLE_1) | instskip(SKIP_3) | instid1(VALU_DEP_2)
	s_or_b32 exec_lo, exec_lo, s15
	v_lshrrev_b16 v2, 8, v0
	v_dual_mov_b32 v102, 0 :: v_dual_mov_b32 v101, 0
	s_mov_b32 s15, exec_lo
	v_cmpx_ne_u16_e32 0, v2
	s_cbranch_execz .LBB368_218
; %bb.211:                              ;   in Loop: Header=BB368_10 Depth=1
	v_bfrev_b32_e32 v101, 1
	s_mov_b32 s16, exec_lo
	v_cmpx_ne_u16_e32 0x80, v2
	s_cbranch_execz .LBB368_217
; %bb.212:                              ;   in Loop: Header=BB368_10 Depth=1
	v_and_b32_e32 v3, 0xffff, v2
	v_mov_b32_e32 v101, 0x7f800001
	s_mov_b32 s17, exec_lo
	s_delay_alu instid0(VALU_DEP_2) | instskip(NEXT) | instid1(VALU_DEP_1)
	v_and_b32_e32 v2, 0x7f, v3
	v_cmpx_ne_u32_e32 0x7f, v2
	s_cbranch_execz .LBB368_216
; %bb.213:                              ;   in Loop: Header=BB368_10 Depth=1
	v_dual_lshrrev_b32 v4, 3, v2 :: v_dual_bitop2_b32 v16, 7, v3 bitop3:0x40
	v_cmp_gt_u32_e64 s1, 8, v2
	s_delay_alu instid0(VALU_DEP_2)
	v_mov_b64_e32 v[2:3], v[16:17]
	s_and_saveexec_b32 s18, s1
; %bb.214:                              ;   in Loop: Header=BB368_10 Depth=1
	v_clz_i32_u32_e32 v2, v16
	s_delay_alu instid0(VALU_DEP_1) | instskip(NEXT) | instid1(VALU_DEP_1)
	v_min_u32_e32 v4, 32, v2
	v_subrev_nc_u32_e32 v2, 28, v4
	s_delay_alu instid0(VALU_DEP_1) | instskip(NEXT) | instid1(VALU_DEP_1)
	v_lshlrev_b64_e32 v[2:3], v2, v[16:17]
	v_dual_sub_nc_u32 v4, 29, v4 :: v_dual_bitop2_b32 v2, 7, v2 bitop3:0x40
; %bb.215:                              ;   in Loop: Header=BB368_10 Depth=1
	s_or_b32 exec_lo, exec_lo, s18
	s_delay_alu instid0(VALU_DEP_1) | instskip(NEXT) | instid1(VALU_DEP_2)
	v_dual_lshlrev_b32 v3, 16, v0 :: v_dual_lshlrev_b32 v2, 20, v2
	v_lshl_add_u32 v4, v4, 23, 0x3c000000
	s_delay_alu instid0(VALU_DEP_2) | instskip(NEXT) | instid1(VALU_DEP_1)
	v_and_b32_e32 v3, 0x80000000, v3
	v_or3_b32 v101, v2, v3, v4
.LBB368_216:                            ;   in Loop: Header=BB368_10 Depth=1
	s_or_b32 exec_lo, exec_lo, s17
.LBB368_217:                            ;   in Loop: Header=BB368_10 Depth=1
	s_delay_alu instid0(SALU_CYCLE_1)
	s_or_b32 exec_lo, exec_lo, s16
.LBB368_218:                            ;   in Loop: Header=BB368_10 Depth=1
	s_delay_alu instid0(SALU_CYCLE_1) | instskip(SKIP_2) | instid1(VALU_DEP_1)
	s_or_b32 exec_lo, exec_lo, s15
	v_lshrrev_b32_e32 v4, 16, v0
	s_mov_b32 s15, exec_lo
	v_and_b32_e32 v2, 0xff, v4
	s_delay_alu instid0(VALU_DEP_1)
	v_cmpx_ne_u16_e32 0, v2
	s_cbranch_execz .LBB368_226
; %bb.219:                              ;   in Loop: Header=BB368_10 Depth=1
	v_bfrev_b32_e32 v102, 1
	s_mov_b32 s16, exec_lo
	v_cmpx_ne_u16_e32 0x80, v2
	s_cbranch_execz .LBB368_225
; %bb.220:                              ;   in Loop: Header=BB368_10 Depth=1
	v_bfe_u32 v2, v0, 16, 7
	v_mov_b32_e32 v102, 0x7f800001
	s_mov_b32 s17, exec_lo
	s_delay_alu instid0(VALU_DEP_2)
	v_cmpx_ne_u32_e32 0x7f, v2
	s_cbranch_execz .LBB368_224
; %bb.221:                              ;   in Loop: Header=BB368_10 Depth=1
	v_dual_lshrrev_b32 v5, 3, v2 :: v_dual_bitop2_b32 v16, 7, v4 bitop3:0x40
	v_cmp_gt_u32_e64 s1, 8, v2
	s_delay_alu instid0(VALU_DEP_2)
	v_mov_b64_e32 v[2:3], v[16:17]
	s_and_saveexec_b32 s18, s1
; %bb.222:                              ;   in Loop: Header=BB368_10 Depth=1
	v_clz_i32_u32_e32 v2, v16
	s_delay_alu instid0(VALU_DEP_1) | instskip(NEXT) | instid1(VALU_DEP_1)
	v_min_u32_e32 v5, 32, v2
	v_subrev_nc_u32_e32 v2, 28, v5
	s_delay_alu instid0(VALU_DEP_1) | instskip(NEXT) | instid1(VALU_DEP_1)
	v_lshlrev_b64_e32 v[2:3], v2, v[16:17]
	v_dual_sub_nc_u32 v5, 29, v5 :: v_dual_bitop2_b32 v2, 7, v2 bitop3:0x40
; %bb.223:                              ;   in Loop: Header=BB368_10 Depth=1
	s_or_b32 exec_lo, exec_lo, s18
	s_delay_alu instid0(VALU_DEP_1) | instskip(NEXT) | instid1(VALU_DEP_2)
	v_dual_lshlrev_b32 v3, 24, v4 :: v_dual_lshlrev_b32 v2, 20, v2
	v_lshl_add_u32 v4, v5, 23, 0x3c000000
	s_delay_alu instid0(VALU_DEP_2) | instskip(NEXT) | instid1(VALU_DEP_1)
	v_and_b32_e32 v3, 0x80000000, v3
	v_or3_b32 v102, v2, v3, v4
.LBB368_224:                            ;   in Loop: Header=BB368_10 Depth=1
	s_or_b32 exec_lo, exec_lo, s17
.LBB368_225:                            ;   in Loop: Header=BB368_10 Depth=1
	s_delay_alu instid0(SALU_CYCLE_1)
	s_or_b32 exec_lo, exec_lo, s16
.LBB368_226:                            ;   in Loop: Header=BB368_10 Depth=1
	s_delay_alu instid0(SALU_CYCLE_1)
	s_or_b32 exec_lo, exec_lo, s15
	v_dual_mov_b32 v112, 0 :: v_dual_mov_b32 v103, 0
	s_mov_b32 s15, exec_lo
	v_cmpx_lt_u32_e32 0xffffff, v0
	s_cbranch_execz .LBB368_234
; %bb.227:                              ;   in Loop: Header=BB368_10 Depth=1
	v_lshrrev_b32_e32 v4, 24, v0
	v_bfrev_b32_e32 v103, 1
	s_mov_b32 s16, exec_lo
	s_delay_alu instid0(VALU_DEP_2)
	v_cmpx_ne_u32_e32 0x80, v4
	s_cbranch_execz .LBB368_233
; %bb.228:                              ;   in Loop: Header=BB368_10 Depth=1
	v_bfe_u32 v2, v0, 24, 7
	v_mov_b32_e32 v103, 0x7f800001
	s_mov_b32 s17, exec_lo
	s_delay_alu instid0(VALU_DEP_2)
	v_cmpx_ne_u32_e32 0x7f, v2
	s_cbranch_execz .LBB368_232
; %bb.229:                              ;   in Loop: Header=BB368_10 Depth=1
	v_dual_lshrrev_b32 v5, 3, v2 :: v_dual_bitop2_b32 v16, 7, v4 bitop3:0x40
	v_cmp_gt_u32_e64 s1, 8, v2
	s_delay_alu instid0(VALU_DEP_2)
	v_mov_b64_e32 v[2:3], v[16:17]
	s_and_saveexec_b32 s18, s1
; %bb.230:                              ;   in Loop: Header=BB368_10 Depth=1
	v_clz_i32_u32_e32 v2, v16
	s_delay_alu instid0(VALU_DEP_1) | instskip(NEXT) | instid1(VALU_DEP_1)
	v_min_u32_e32 v5, 32, v2
	v_subrev_nc_u32_e32 v2, 28, v5
	s_delay_alu instid0(VALU_DEP_1) | instskip(NEXT) | instid1(VALU_DEP_1)
	v_lshlrev_b64_e32 v[2:3], v2, v[16:17]
	v_dual_sub_nc_u32 v5, 29, v5 :: v_dual_bitop2_b32 v2, 7, v2 bitop3:0x40
; %bb.231:                              ;   in Loop: Header=BB368_10 Depth=1
	s_or_b32 exec_lo, exec_lo, s18
	s_delay_alu instid0(VALU_DEP_1) | instskip(NEXT) | instid1(VALU_DEP_2)
	v_dual_lshlrev_b32 v3, 24, v4 :: v_dual_lshlrev_b32 v2, 20, v2
	v_lshl_add_u32 v4, v5, 23, 0x3c000000
	s_delay_alu instid0(VALU_DEP_2) | instskip(NEXT) | instid1(VALU_DEP_1)
	v_and_b32_e32 v3, 0x80000000, v3
	v_or3_b32 v103, v2, v3, v4
.LBB368_232:                            ;   in Loop: Header=BB368_10 Depth=1
	s_or_b32 exec_lo, exec_lo, s17
.LBB368_233:                            ;   in Loop: Header=BB368_10 Depth=1
	s_delay_alu instid0(SALU_CYCLE_1)
	s_or_b32 exec_lo, exec_lo, s16
.LBB368_234:                            ;   in Loop: Header=BB368_10 Depth=1
	s_delay_alu instid0(SALU_CYCLE_1) | instskip(SKIP_3) | instid1(VALU_DEP_2)
	s_or_b32 exec_lo, exec_lo, s15
	v_and_b32_e32 v2, 0xff, v1
	v_mov_b32_e32 v16, v1
	s_mov_b32 s15, exec_lo
	v_cmpx_ne_u16_e32 0, v2
	s_cbranch_execz .LBB368_242
; %bb.235:                              ;   in Loop: Header=BB368_10 Depth=1
	v_bfrev_b32_e32 v112, 1
	s_mov_b32 s16, exec_lo
	v_cmpx_ne_u16_e32 0x80, v2
	s_cbranch_execz .LBB368_241
; %bb.236:                              ;   in Loop: Header=BB368_10 Depth=1
	v_and_b32_e32 v2, 0x7f, v1
	v_mov_b32_e32 v112, 0x7f800001
	s_mov_b32 s17, exec_lo
	s_delay_alu instid0(VALU_DEP_2)
	v_cmpx_ne_u32_e32 0x7f, v2
	s_cbranch_execz .LBB368_240
; %bb.237:                              ;   in Loop: Header=BB368_10 Depth=1
	v_lshrrev_b32_e32 v4, 3, v2
	v_cmp_gt_u32_e64 s1, 8, v2
	v_mov_b64_e32 v[2:3], v[16:17]
	s_and_saveexec_b32 s18, s1
; %bb.238:                              ;   in Loop: Header=BB368_10 Depth=1
	v_and_b32_e32 v2, 7, v1
	s_delay_alu instid0(VALU_DEP_1) | instskip(NEXT) | instid1(VALU_DEP_1)
	v_clz_i32_u32_e32 v2, v2
	v_min_u32_e32 v4, 32, v2
	s_delay_alu instid0(VALU_DEP_1) | instskip(SKIP_1) | instid1(VALU_DEP_2)
	v_subrev_nc_u32_e32 v2, 28, v4
	v_sub_nc_u32_e32 v4, 29, v4
	v_lshlrev_b64_e32 v[2:3], v2, v[16:17]
; %bb.239:                              ;   in Loop: Header=BB368_10 Depth=1
	s_or_b32 exec_lo, exec_lo, s18
	s_delay_alu instid0(VALU_DEP_1) | instskip(NEXT) | instid1(VALU_DEP_3)
	v_dual_lshlrev_b32 v2, 20, v2 :: v_dual_lshlrev_b32 v3, 24, v16
	v_lshl_add_u32 v4, v4, 23, 0x3c000000
	s_delay_alu instid0(VALU_DEP_2) | instskip(NEXT) | instid1(VALU_DEP_3)
	v_and_b32_e32 v2, 0x700000, v2
	v_and_b32_e32 v3, 0x80000000, v3
	s_delay_alu instid0(VALU_DEP_1)
	v_or3_b32 v112, v2, v3, v4
.LBB368_240:                            ;   in Loop: Header=BB368_10 Depth=1
	s_or_b32 exec_lo, exec_lo, s17
.LBB368_241:                            ;   in Loop: Header=BB368_10 Depth=1
	s_delay_alu instid0(SALU_CYCLE_1)
	s_or_b32 exec_lo, exec_lo, s16
.LBB368_242:                            ;   in Loop: Header=BB368_10 Depth=1
	s_delay_alu instid0(SALU_CYCLE_1) | instskip(SKIP_3) | instid1(VALU_DEP_2)
	s_or_b32 exec_lo, exec_lo, s15
	v_lshrrev_b16 v2, 8, v16
	v_dual_mov_b32 v64, 0 :: v_dual_mov_b32 v113, 0
	s_mov_b32 s15, exec_lo
	v_cmpx_ne_u16_e32 0, v2
	s_cbranch_execz .LBB368_250
; %bb.243:                              ;   in Loop: Header=BB368_10 Depth=1
	v_bfrev_b32_e32 v113, 1
	s_mov_b32 s16, exec_lo
	v_cmpx_ne_u16_e32 0x80, v2
	s_cbranch_execz .LBB368_249
; %bb.244:                              ;   in Loop: Header=BB368_10 Depth=1
	v_and_b32_e32 v2, 0xffff, v2
	v_mov_b32_e32 v113, 0x7f800001
	s_mov_b32 s17, exec_lo
	s_delay_alu instid0(VALU_DEP_2) | instskip(NEXT) | instid1(VALU_DEP_1)
	v_and_b32_e32 v5, 0x7f, v2
	v_cmpx_ne_u32_e32 0x7f, v5
	s_cbranch_execz .LBB368_248
; %bb.245:                              ;   in Loop: Header=BB368_10 Depth=1
	v_dual_mov_b32 v3, v17 :: v_dual_bitop2_b32 v2, 7, v2 bitop3:0x40
	v_lshrrev_b32_e32 v4, 3, v5
	s_mov_b32 s18, exec_lo
	v_cmpx_gt_u32_e32 8, v5
; %bb.246:                              ;   in Loop: Header=BB368_10 Depth=1
	s_delay_alu instid0(VALU_DEP_3) | instskip(NEXT) | instid1(VALU_DEP_1)
	v_clz_i32_u32_e32 v4, v2
	v_min_u32_e32 v4, 32, v4
	s_delay_alu instid0(VALU_DEP_1) | instskip(NEXT) | instid1(VALU_DEP_1)
	v_subrev_nc_u32_e32 v5, 28, v4
	v_lshlrev_b64_e32 v[2:3], v5, v[2:3]
	s_delay_alu instid0(VALU_DEP_1)
	v_dual_sub_nc_u32 v4, 29, v4 :: v_dual_bitop2_b32 v2, 7, v2 bitop3:0x40
; %bb.247:                              ;   in Loop: Header=BB368_10 Depth=1
	s_or_b32 exec_lo, exec_lo, s18
	s_delay_alu instid0(VALU_DEP_1) | instskip(NEXT) | instid1(VALU_DEP_2)
	v_dual_lshlrev_b32 v3, 16, v16 :: v_dual_lshlrev_b32 v2, 20, v2
	v_lshl_add_u32 v4, v4, 23, 0x3c000000
	s_delay_alu instid0(VALU_DEP_2) | instskip(NEXT) | instid1(VALU_DEP_1)
	v_and_b32_e32 v3, 0x80000000, v3
	v_or3_b32 v113, v2, v3, v4
.LBB368_248:                            ;   in Loop: Header=BB368_10 Depth=1
	s_or_b32 exec_lo, exec_lo, s17
.LBB368_249:                            ;   in Loop: Header=BB368_10 Depth=1
	s_delay_alu instid0(SALU_CYCLE_1)
	s_or_b32 exec_lo, exec_lo, s16
.LBB368_250:                            ;   in Loop: Header=BB368_10 Depth=1
	s_delay_alu instid0(SALU_CYCLE_1) | instskip(SKIP_2) | instid1(VALU_DEP_1)
	s_or_b32 exec_lo, exec_lo, s15
	v_lshrrev_b32_e32 v4, 16, v1
	s_mov_b32 s15, exec_lo
	v_and_b32_e32 v2, 0xff, v4
	s_delay_alu instid0(VALU_DEP_1)
	v_cmpx_ne_u16_e32 0, v2
	s_cbranch_execz .LBB368_258
; %bb.251:                              ;   in Loop: Header=BB368_10 Depth=1
	v_bfrev_b32_e32 v64, 1
	s_mov_b32 s16, exec_lo
	v_cmpx_ne_u16_e32 0x80, v2
	s_cbranch_execz .LBB368_257
; %bb.252:                              ;   in Loop: Header=BB368_10 Depth=1
	v_bfe_u32 v2, v1, 16, 7
	v_mov_b32_e32 v64, 0x7f800001
	s_mov_b32 s17, exec_lo
	s_delay_alu instid0(VALU_DEP_2)
	v_cmpx_ne_u32_e32 0x7f, v2
	s_cbranch_execz .LBB368_256
; %bb.253:                              ;   in Loop: Header=BB368_10 Depth=1
	v_dual_lshrrev_b32 v5, 3, v2 :: v_dual_bitop2_b32 v16, 7, v4 bitop3:0x40
	v_cmp_gt_u32_e64 s1, 8, v2
	s_delay_alu instid0(VALU_DEP_2)
	v_mov_b64_e32 v[2:3], v[16:17]
	s_and_saveexec_b32 s18, s1
; %bb.254:                              ;   in Loop: Header=BB368_10 Depth=1
	v_clz_i32_u32_e32 v2, v16
	s_delay_alu instid0(VALU_DEP_1) | instskip(NEXT) | instid1(VALU_DEP_1)
	v_min_u32_e32 v5, 32, v2
	v_subrev_nc_u32_e32 v2, 28, v5
	s_delay_alu instid0(VALU_DEP_1) | instskip(NEXT) | instid1(VALU_DEP_1)
	v_lshlrev_b64_e32 v[2:3], v2, v[16:17]
	v_dual_sub_nc_u32 v5, 29, v5 :: v_dual_bitop2_b32 v2, 7, v2 bitop3:0x40
; %bb.255:                              ;   in Loop: Header=BB368_10 Depth=1
	s_or_b32 exec_lo, exec_lo, s18
	s_delay_alu instid0(VALU_DEP_1) | instskip(NEXT) | instid1(VALU_DEP_2)
	v_dual_lshlrev_b32 v3, 24, v4 :: v_dual_lshlrev_b32 v2, 20, v2
	v_lshl_add_u32 v4, v5, 23, 0x3c000000
	s_delay_alu instid0(VALU_DEP_2) | instskip(NEXT) | instid1(VALU_DEP_1)
	v_and_b32_e32 v3, 0x80000000, v3
	v_or3_b32 v64, v2, v3, v4
.LBB368_256:                            ;   in Loop: Header=BB368_10 Depth=1
	s_or_b32 exec_lo, exec_lo, s17
.LBB368_257:                            ;   in Loop: Header=BB368_10 Depth=1
	s_delay_alu instid0(SALU_CYCLE_1)
	s_or_b32 exec_lo, exec_lo, s16
.LBB368_258:                            ;   in Loop: Header=BB368_10 Depth=1
	s_delay_alu instid0(SALU_CYCLE_1)
	s_or_b32 exec_lo, exec_lo, s15
	v_dual_mov_b32 v116, 0 :: v_dual_mov_b32 v65, 0
	s_mov_b32 s15, exec_lo
	v_cmpx_lt_u64_e64 s[2:3], v[0:1]
	s_cbranch_execz .LBB368_266
; %bb.259:                              ;   in Loop: Header=BB368_10 Depth=1
	v_lshrrev_b32_e32 v2, 24, v1
	v_bfrev_b32_e32 v65, 1
	s_mov_b32 s16, exec_lo
	s_delay_alu instid0(VALU_DEP_2)
	v_cmpx_ne_u32_e32 0x80, v2
	s_cbranch_execz .LBB368_265
; %bb.260:                              ;   in Loop: Header=BB368_10 Depth=1
	v_bfe_u32 v0, v1, 24, 7
	v_mov_b32_e32 v65, 0x7f800001
	s_mov_b32 s17, exec_lo
	s_delay_alu instid0(VALU_DEP_2)
	v_cmpx_ne_u32_e32 0x7f, v0
	s_cbranch_execz .LBB368_264
; %bb.261:                              ;   in Loop: Header=BB368_10 Depth=1
	v_dual_lshrrev_b32 v3, 3, v0 :: v_dual_bitop2_b32 v16, 7, v2 bitop3:0x40
	v_cmp_gt_u32_e64 s1, 8, v0
	s_delay_alu instid0(VALU_DEP_2)
	v_mov_b64_e32 v[0:1], v[16:17]
	s_and_saveexec_b32 s18, s1
; %bb.262:                              ;   in Loop: Header=BB368_10 Depth=1
	v_clz_i32_u32_e32 v0, v16
	s_delay_alu instid0(VALU_DEP_1) | instskip(NEXT) | instid1(VALU_DEP_1)
	v_min_u32_e32 v3, 32, v0
	v_subrev_nc_u32_e32 v0, 28, v3
	s_delay_alu instid0(VALU_DEP_1) | instskip(NEXT) | instid1(VALU_DEP_1)
	v_lshlrev_b64_e32 v[0:1], v0, v[16:17]
	v_dual_sub_nc_u32 v3, 29, v3 :: v_dual_bitop2_b32 v0, 7, v0 bitop3:0x40
; %bb.263:                              ;   in Loop: Header=BB368_10 Depth=1
	s_or_b32 exec_lo, exec_lo, s18
	s_delay_alu instid0(VALU_DEP_1) | instskip(NEXT) | instid1(VALU_DEP_2)
	v_dual_lshlrev_b32 v1, 24, v2 :: v_dual_lshlrev_b32 v0, 20, v0
	v_lshl_add_u32 v2, v3, 23, 0x3c000000
	s_delay_alu instid0(VALU_DEP_2) | instskip(NEXT) | instid1(VALU_DEP_1)
	v_and_b32_e32 v1, 0x80000000, v1
	v_or3_b32 v65, v0, v1, v2
.LBB368_264:                            ;   in Loop: Header=BB368_10 Depth=1
	s_or_b32 exec_lo, exec_lo, s17
.LBB368_265:                            ;   in Loop: Header=BB368_10 Depth=1
	s_delay_alu instid0(SALU_CYCLE_1)
	s_or_b32 exec_lo, exec_lo, s16
.LBB368_266:                            ;   in Loop: Header=BB368_10 Depth=1
	s_delay_alu instid0(SALU_CYCLE_1)
	s_or_b32 exec_lo, exec_lo, s15
	flat_load_b64 v[0:1], v[70:71] offset:1024
	s_mov_b32 s15, exec_lo
	s_wait_loadcnt_dscnt 0x0
	v_and_b32_e32 v2, 0xff, v0
	s_wait_xcnt 0x0
	s_delay_alu instid0(VALU_DEP_1)
	v_cmpx_ne_u16_e32 0, v2
	s_cbranch_execz .LBB368_274
; %bb.267:                              ;   in Loop: Header=BB368_10 Depth=1
	v_bfrev_b32_e32 v116, 1
	s_mov_b32 s16, exec_lo
	v_cmpx_ne_u16_e32 0x80, v2
	s_cbranch_execz .LBB368_273
; %bb.268:                              ;   in Loop: Header=BB368_10 Depth=1
	v_and_b32_e32 v2, 0x7f, v0
	v_mov_b32_e32 v116, 0x7f800001
	s_mov_b32 s17, exec_lo
	s_delay_alu instid0(VALU_DEP_2)
	v_cmpx_ne_u32_e32 0x7f, v2
	s_cbranch_execz .LBB368_272
; %bb.269:                              ;   in Loop: Header=BB368_10 Depth=1
	v_lshrrev_b32_e32 v4, 3, v2
	v_cmp_gt_u32_e64 s1, 8, v2
	v_mov_b64_e32 v[2:3], v[0:1]
	s_and_saveexec_b32 s18, s1
; %bb.270:                              ;   in Loop: Header=BB368_10 Depth=1
	v_and_b32_e32 v2, 7, v0
	s_delay_alu instid0(VALU_DEP_1) | instskip(NEXT) | instid1(VALU_DEP_1)
	v_clz_i32_u32_e32 v2, v2
	v_min_u32_e32 v4, 32, v2
	s_delay_alu instid0(VALU_DEP_1) | instskip(SKIP_1) | instid1(VALU_DEP_2)
	v_subrev_nc_u32_e32 v2, 28, v4
	v_sub_nc_u32_e32 v4, 29, v4
	v_lshlrev_b64_e32 v[2:3], v2, v[0:1]
; %bb.271:                              ;   in Loop: Header=BB368_10 Depth=1
	s_or_b32 exec_lo, exec_lo, s18
	s_delay_alu instid0(VALU_DEP_1) | instskip(NEXT) | instid1(VALU_DEP_3)
	v_dual_lshlrev_b32 v2, 20, v2 :: v_dual_lshlrev_b32 v3, 24, v0
	v_lshl_add_u32 v4, v4, 23, 0x3c000000
	s_delay_alu instid0(VALU_DEP_2) | instskip(NEXT) | instid1(VALU_DEP_3)
	v_and_b32_e32 v2, 0x700000, v2
	v_and_b32_e32 v3, 0x80000000, v3
	s_delay_alu instid0(VALU_DEP_1)
	v_or3_b32 v116, v2, v3, v4
.LBB368_272:                            ;   in Loop: Header=BB368_10 Depth=1
	s_or_b32 exec_lo, exec_lo, s17
.LBB368_273:                            ;   in Loop: Header=BB368_10 Depth=1
	s_delay_alu instid0(SALU_CYCLE_1)
	s_or_b32 exec_lo, exec_lo, s16
.LBB368_274:                            ;   in Loop: Header=BB368_10 Depth=1
	s_delay_alu instid0(SALU_CYCLE_1) | instskip(SKIP_3) | instid1(VALU_DEP_2)
	s_or_b32 exec_lo, exec_lo, s15
	v_lshrrev_b16 v2, 8, v0
	v_dual_mov_b32 v12, 0 :: v_dual_mov_b32 v117, 0
	s_mov_b32 s15, exec_lo
	v_cmpx_ne_u16_e32 0, v2
	s_cbranch_execz .LBB368_282
; %bb.275:                              ;   in Loop: Header=BB368_10 Depth=1
	v_bfrev_b32_e32 v117, 1
	s_mov_b32 s16, exec_lo
	v_cmpx_ne_u16_e32 0x80, v2
	s_cbranch_execz .LBB368_281
; %bb.276:                              ;   in Loop: Header=BB368_10 Depth=1
	v_and_b32_e32 v3, 0xffff, v2
	v_mov_b32_e32 v117, 0x7f800001
	s_mov_b32 s17, exec_lo
	s_delay_alu instid0(VALU_DEP_2) | instskip(NEXT) | instid1(VALU_DEP_1)
	v_and_b32_e32 v2, 0x7f, v3
	v_cmpx_ne_u32_e32 0x7f, v2
	s_cbranch_execz .LBB368_280
; %bb.277:                              ;   in Loop: Header=BB368_10 Depth=1
	v_dual_lshrrev_b32 v4, 3, v2 :: v_dual_bitop2_b32 v16, 7, v3 bitop3:0x40
	v_cmp_gt_u32_e64 s1, 8, v2
	s_delay_alu instid0(VALU_DEP_2)
	v_mov_b64_e32 v[2:3], v[16:17]
	s_and_saveexec_b32 s18, s1
; %bb.278:                              ;   in Loop: Header=BB368_10 Depth=1
	v_clz_i32_u32_e32 v2, v16
	s_delay_alu instid0(VALU_DEP_1) | instskip(NEXT) | instid1(VALU_DEP_1)
	v_min_u32_e32 v4, 32, v2
	v_subrev_nc_u32_e32 v2, 28, v4
	s_delay_alu instid0(VALU_DEP_1) | instskip(NEXT) | instid1(VALU_DEP_1)
	v_lshlrev_b64_e32 v[2:3], v2, v[16:17]
	v_dual_sub_nc_u32 v4, 29, v4 :: v_dual_bitop2_b32 v2, 7, v2 bitop3:0x40
; %bb.279:                              ;   in Loop: Header=BB368_10 Depth=1
	s_or_b32 exec_lo, exec_lo, s18
	s_delay_alu instid0(VALU_DEP_1) | instskip(NEXT) | instid1(VALU_DEP_2)
	v_dual_lshlrev_b32 v3, 16, v0 :: v_dual_lshlrev_b32 v2, 20, v2
	v_lshl_add_u32 v4, v4, 23, 0x3c000000
	s_delay_alu instid0(VALU_DEP_2) | instskip(NEXT) | instid1(VALU_DEP_1)
	v_and_b32_e32 v3, 0x80000000, v3
	v_or3_b32 v117, v2, v3, v4
.LBB368_280:                            ;   in Loop: Header=BB368_10 Depth=1
	s_or_b32 exec_lo, exec_lo, s17
.LBB368_281:                            ;   in Loop: Header=BB368_10 Depth=1
	s_delay_alu instid0(SALU_CYCLE_1)
	s_or_b32 exec_lo, exec_lo, s16
.LBB368_282:                            ;   in Loop: Header=BB368_10 Depth=1
	s_delay_alu instid0(SALU_CYCLE_1) | instskip(SKIP_2) | instid1(VALU_DEP_1)
	s_or_b32 exec_lo, exec_lo, s15
	v_lshrrev_b32_e32 v4, 16, v0
	s_mov_b32 s15, exec_lo
	v_and_b32_e32 v2, 0xff, v4
	s_delay_alu instid0(VALU_DEP_1)
	v_cmpx_ne_u16_e32 0, v2
	s_cbranch_execz .LBB368_290
; %bb.283:                              ;   in Loop: Header=BB368_10 Depth=1
	v_bfrev_b32_e32 v12, 1
	s_mov_b32 s16, exec_lo
	v_cmpx_ne_u16_e32 0x80, v2
	s_cbranch_execz .LBB368_289
; %bb.284:                              ;   in Loop: Header=BB368_10 Depth=1
	v_bfe_u32 v2, v0, 16, 7
	v_mov_b32_e32 v12, 0x7f800001
	s_mov_b32 s17, exec_lo
	s_delay_alu instid0(VALU_DEP_2)
	v_cmpx_ne_u32_e32 0x7f, v2
	s_cbranch_execz .LBB368_288
; %bb.285:                              ;   in Loop: Header=BB368_10 Depth=1
	v_dual_lshrrev_b32 v5, 3, v2 :: v_dual_bitop2_b32 v16, 7, v4 bitop3:0x40
	v_cmp_gt_u32_e64 s1, 8, v2
	s_delay_alu instid0(VALU_DEP_2)
	v_mov_b64_e32 v[2:3], v[16:17]
	s_and_saveexec_b32 s18, s1
; %bb.286:                              ;   in Loop: Header=BB368_10 Depth=1
	v_clz_i32_u32_e32 v2, v16
	s_delay_alu instid0(VALU_DEP_1) | instskip(NEXT) | instid1(VALU_DEP_1)
	v_min_u32_e32 v5, 32, v2
	v_subrev_nc_u32_e32 v2, 28, v5
	s_delay_alu instid0(VALU_DEP_1) | instskip(NEXT) | instid1(VALU_DEP_1)
	v_lshlrev_b64_e32 v[2:3], v2, v[16:17]
	v_dual_sub_nc_u32 v5, 29, v5 :: v_dual_bitop2_b32 v2, 7, v2 bitop3:0x40
; %bb.287:                              ;   in Loop: Header=BB368_10 Depth=1
	s_or_b32 exec_lo, exec_lo, s18
	s_delay_alu instid0(VALU_DEP_1) | instskip(NEXT) | instid1(VALU_DEP_2)
	v_dual_lshlrev_b32 v3, 24, v4 :: v_dual_lshlrev_b32 v2, 20, v2
	v_lshl_add_u32 v4, v5, 23, 0x3c000000
	s_delay_alu instid0(VALU_DEP_2) | instskip(NEXT) | instid1(VALU_DEP_1)
	v_and_b32_e32 v3, 0x80000000, v3
	v_or3_b32 v12, v2, v3, v4
.LBB368_288:                            ;   in Loop: Header=BB368_10 Depth=1
	s_or_b32 exec_lo, exec_lo, s17
.LBB368_289:                            ;   in Loop: Header=BB368_10 Depth=1
	s_delay_alu instid0(SALU_CYCLE_1)
	s_or_b32 exec_lo, exec_lo, s16
.LBB368_290:                            ;   in Loop: Header=BB368_10 Depth=1
	s_delay_alu instid0(SALU_CYCLE_1)
	s_or_b32 exec_lo, exec_lo, s15
	v_dual_mov_b32 v118, 0 :: v_dual_mov_b32 v13, 0
	s_mov_b32 s15, exec_lo
	v_cmpx_lt_u32_e32 0xffffff, v0
	s_cbranch_execz .LBB368_298
; %bb.291:                              ;   in Loop: Header=BB368_10 Depth=1
	v_lshrrev_b32_e32 v4, 24, v0
	v_bfrev_b32_e32 v13, 1
	s_mov_b32 s16, exec_lo
	s_delay_alu instid0(VALU_DEP_2)
	v_cmpx_ne_u32_e32 0x80, v4
	s_cbranch_execz .LBB368_297
; %bb.292:                              ;   in Loop: Header=BB368_10 Depth=1
	v_bfe_u32 v2, v0, 24, 7
	v_mov_b32_e32 v13, 0x7f800001
	s_mov_b32 s17, exec_lo
	s_delay_alu instid0(VALU_DEP_2)
	v_cmpx_ne_u32_e32 0x7f, v2
	s_cbranch_execz .LBB368_296
; %bb.293:                              ;   in Loop: Header=BB368_10 Depth=1
	v_dual_lshrrev_b32 v5, 3, v2 :: v_dual_bitop2_b32 v16, 7, v4 bitop3:0x40
	v_cmp_gt_u32_e64 s1, 8, v2
	s_delay_alu instid0(VALU_DEP_2)
	v_mov_b64_e32 v[2:3], v[16:17]
	s_and_saveexec_b32 s18, s1
; %bb.294:                              ;   in Loop: Header=BB368_10 Depth=1
	v_clz_i32_u32_e32 v2, v16
	s_delay_alu instid0(VALU_DEP_1) | instskip(NEXT) | instid1(VALU_DEP_1)
	v_min_u32_e32 v5, 32, v2
	v_subrev_nc_u32_e32 v2, 28, v5
	s_delay_alu instid0(VALU_DEP_1) | instskip(NEXT) | instid1(VALU_DEP_1)
	v_lshlrev_b64_e32 v[2:3], v2, v[16:17]
	v_dual_sub_nc_u32 v5, 29, v5 :: v_dual_bitop2_b32 v2, 7, v2 bitop3:0x40
; %bb.295:                              ;   in Loop: Header=BB368_10 Depth=1
	s_or_b32 exec_lo, exec_lo, s18
	s_delay_alu instid0(VALU_DEP_1) | instskip(NEXT) | instid1(VALU_DEP_2)
	v_dual_lshlrev_b32 v3, 24, v4 :: v_dual_lshlrev_b32 v2, 20, v2
	v_lshl_add_u32 v4, v5, 23, 0x3c000000
	s_delay_alu instid0(VALU_DEP_2) | instskip(NEXT) | instid1(VALU_DEP_1)
	v_and_b32_e32 v3, 0x80000000, v3
	v_or3_b32 v13, v2, v3, v4
.LBB368_296:                            ;   in Loop: Header=BB368_10 Depth=1
	s_or_b32 exec_lo, exec_lo, s17
.LBB368_297:                            ;   in Loop: Header=BB368_10 Depth=1
	s_delay_alu instid0(SALU_CYCLE_1)
	s_or_b32 exec_lo, exec_lo, s16
.LBB368_298:                            ;   in Loop: Header=BB368_10 Depth=1
	s_delay_alu instid0(SALU_CYCLE_1) | instskip(SKIP_3) | instid1(VALU_DEP_2)
	s_or_b32 exec_lo, exec_lo, s15
	v_and_b32_e32 v2, 0xff, v1
	v_mov_b32_e32 v16, v1
	s_mov_b32 s15, exec_lo
	v_cmpx_ne_u16_e32 0, v2
	s_cbranch_execz .LBB368_306
; %bb.299:                              ;   in Loop: Header=BB368_10 Depth=1
	v_bfrev_b32_e32 v118, 1
	s_mov_b32 s16, exec_lo
	v_cmpx_ne_u16_e32 0x80, v2
	s_cbranch_execz .LBB368_305
; %bb.300:                              ;   in Loop: Header=BB368_10 Depth=1
	v_and_b32_e32 v2, 0x7f, v1
	v_mov_b32_e32 v118, 0x7f800001
	s_mov_b32 s17, exec_lo
	s_delay_alu instid0(VALU_DEP_2)
	v_cmpx_ne_u32_e32 0x7f, v2
	s_cbranch_execz .LBB368_304
; %bb.301:                              ;   in Loop: Header=BB368_10 Depth=1
	v_lshrrev_b32_e32 v4, 3, v2
	v_cmp_gt_u32_e64 s1, 8, v2
	v_mov_b64_e32 v[2:3], v[16:17]
	s_and_saveexec_b32 s18, s1
; %bb.302:                              ;   in Loop: Header=BB368_10 Depth=1
	v_and_b32_e32 v2, 7, v1
	s_delay_alu instid0(VALU_DEP_1) | instskip(NEXT) | instid1(VALU_DEP_1)
	v_clz_i32_u32_e32 v2, v2
	v_min_u32_e32 v4, 32, v2
	s_delay_alu instid0(VALU_DEP_1) | instskip(SKIP_1) | instid1(VALU_DEP_2)
	v_subrev_nc_u32_e32 v2, 28, v4
	v_sub_nc_u32_e32 v4, 29, v4
	v_lshlrev_b64_e32 v[2:3], v2, v[16:17]
; %bb.303:                              ;   in Loop: Header=BB368_10 Depth=1
	s_or_b32 exec_lo, exec_lo, s18
	s_delay_alu instid0(VALU_DEP_1) | instskip(NEXT) | instid1(VALU_DEP_3)
	v_dual_lshlrev_b32 v2, 20, v2 :: v_dual_lshlrev_b32 v3, 24, v16
	v_lshl_add_u32 v4, v4, 23, 0x3c000000
	s_delay_alu instid0(VALU_DEP_2) | instskip(NEXT) | instid1(VALU_DEP_3)
	v_and_b32_e32 v2, 0x700000, v2
	v_and_b32_e32 v3, 0x80000000, v3
	s_delay_alu instid0(VALU_DEP_1)
	v_or3_b32 v118, v2, v3, v4
.LBB368_304:                            ;   in Loop: Header=BB368_10 Depth=1
	s_or_b32 exec_lo, exec_lo, s17
.LBB368_305:                            ;   in Loop: Header=BB368_10 Depth=1
	s_delay_alu instid0(SALU_CYCLE_1)
	s_or_b32 exec_lo, exec_lo, s16
.LBB368_306:                            ;   in Loop: Header=BB368_10 Depth=1
	s_delay_alu instid0(SALU_CYCLE_1) | instskip(SKIP_3) | instid1(VALU_DEP_2)
	s_or_b32 exec_lo, exec_lo, s15
	v_lshrrev_b16 v2, 8, v16
	v_dual_mov_b32 v52, 0 :: v_dual_mov_b32 v119, 0
	s_mov_b32 s15, exec_lo
	v_cmpx_ne_u16_e32 0, v2
	s_cbranch_execz .LBB368_314
; %bb.307:                              ;   in Loop: Header=BB368_10 Depth=1
	v_bfrev_b32_e32 v119, 1
	s_mov_b32 s16, exec_lo
	v_cmpx_ne_u16_e32 0x80, v2
	s_cbranch_execz .LBB368_313
; %bb.308:                              ;   in Loop: Header=BB368_10 Depth=1
	v_and_b32_e32 v2, 0xffff, v2
	v_mov_b32_e32 v119, 0x7f800001
	s_mov_b32 s17, exec_lo
	s_delay_alu instid0(VALU_DEP_2) | instskip(NEXT) | instid1(VALU_DEP_1)
	v_and_b32_e32 v5, 0x7f, v2
	v_cmpx_ne_u32_e32 0x7f, v5
	s_cbranch_execz .LBB368_312
; %bb.309:                              ;   in Loop: Header=BB368_10 Depth=1
	v_dual_mov_b32 v3, v17 :: v_dual_bitop2_b32 v2, 7, v2 bitop3:0x40
	v_lshrrev_b32_e32 v4, 3, v5
	s_mov_b32 s18, exec_lo
	v_cmpx_gt_u32_e32 8, v5
; %bb.310:                              ;   in Loop: Header=BB368_10 Depth=1
	s_delay_alu instid0(VALU_DEP_3) | instskip(NEXT) | instid1(VALU_DEP_1)
	v_clz_i32_u32_e32 v4, v2
	v_min_u32_e32 v4, 32, v4
	s_delay_alu instid0(VALU_DEP_1) | instskip(NEXT) | instid1(VALU_DEP_1)
	v_subrev_nc_u32_e32 v5, 28, v4
	v_lshlrev_b64_e32 v[2:3], v5, v[2:3]
	s_delay_alu instid0(VALU_DEP_1)
	v_dual_sub_nc_u32 v4, 29, v4 :: v_dual_bitop2_b32 v2, 7, v2 bitop3:0x40
; %bb.311:                              ;   in Loop: Header=BB368_10 Depth=1
	s_or_b32 exec_lo, exec_lo, s18
	s_delay_alu instid0(VALU_DEP_1) | instskip(NEXT) | instid1(VALU_DEP_2)
	v_dual_lshlrev_b32 v3, 16, v16 :: v_dual_lshlrev_b32 v2, 20, v2
	v_lshl_add_u32 v4, v4, 23, 0x3c000000
	s_delay_alu instid0(VALU_DEP_2) | instskip(NEXT) | instid1(VALU_DEP_1)
	v_and_b32_e32 v3, 0x80000000, v3
	v_or3_b32 v119, v2, v3, v4
.LBB368_312:                            ;   in Loop: Header=BB368_10 Depth=1
	s_or_b32 exec_lo, exec_lo, s17
.LBB368_313:                            ;   in Loop: Header=BB368_10 Depth=1
	s_delay_alu instid0(SALU_CYCLE_1)
	s_or_b32 exec_lo, exec_lo, s16
.LBB368_314:                            ;   in Loop: Header=BB368_10 Depth=1
	s_delay_alu instid0(SALU_CYCLE_1) | instskip(SKIP_2) | instid1(VALU_DEP_1)
	s_or_b32 exec_lo, exec_lo, s15
	v_lshrrev_b32_e32 v4, 16, v1
	s_mov_b32 s15, exec_lo
	v_and_b32_e32 v2, 0xff, v4
	s_delay_alu instid0(VALU_DEP_1)
	v_cmpx_ne_u16_e32 0, v2
	s_cbranch_execz .LBB368_322
; %bb.315:                              ;   in Loop: Header=BB368_10 Depth=1
	v_bfrev_b32_e32 v52, 1
	s_mov_b32 s16, exec_lo
	v_cmpx_ne_u16_e32 0x80, v2
	s_cbranch_execz .LBB368_321
; %bb.316:                              ;   in Loop: Header=BB368_10 Depth=1
	v_bfe_u32 v2, v1, 16, 7
	v_mov_b32_e32 v52, 0x7f800001
	s_mov_b32 s17, exec_lo
	s_delay_alu instid0(VALU_DEP_2)
	v_cmpx_ne_u32_e32 0x7f, v2
	s_cbranch_execz .LBB368_320
; %bb.317:                              ;   in Loop: Header=BB368_10 Depth=1
	v_dual_lshrrev_b32 v5, 3, v2 :: v_dual_bitop2_b32 v16, 7, v4 bitop3:0x40
	v_cmp_gt_u32_e64 s1, 8, v2
	s_delay_alu instid0(VALU_DEP_2)
	v_mov_b64_e32 v[2:3], v[16:17]
	s_and_saveexec_b32 s18, s1
; %bb.318:                              ;   in Loop: Header=BB368_10 Depth=1
	v_clz_i32_u32_e32 v2, v16
	s_delay_alu instid0(VALU_DEP_1) | instskip(NEXT) | instid1(VALU_DEP_1)
	v_min_u32_e32 v5, 32, v2
	v_subrev_nc_u32_e32 v2, 28, v5
	s_delay_alu instid0(VALU_DEP_1) | instskip(NEXT) | instid1(VALU_DEP_1)
	v_lshlrev_b64_e32 v[2:3], v2, v[16:17]
	v_dual_sub_nc_u32 v5, 29, v5 :: v_dual_bitop2_b32 v2, 7, v2 bitop3:0x40
; %bb.319:                              ;   in Loop: Header=BB368_10 Depth=1
	s_or_b32 exec_lo, exec_lo, s18
	s_delay_alu instid0(VALU_DEP_1) | instskip(NEXT) | instid1(VALU_DEP_2)
	v_dual_lshlrev_b32 v3, 24, v4 :: v_dual_lshlrev_b32 v2, 20, v2
	v_lshl_add_u32 v4, v5, 23, 0x3c000000
	s_delay_alu instid0(VALU_DEP_2) | instskip(NEXT) | instid1(VALU_DEP_1)
	v_and_b32_e32 v3, 0x80000000, v3
	v_or3_b32 v52, v2, v3, v4
.LBB368_320:                            ;   in Loop: Header=BB368_10 Depth=1
	s_or_b32 exec_lo, exec_lo, s17
.LBB368_321:                            ;   in Loop: Header=BB368_10 Depth=1
	s_delay_alu instid0(SALU_CYCLE_1)
	s_or_b32 exec_lo, exec_lo, s16
.LBB368_322:                            ;   in Loop: Header=BB368_10 Depth=1
	s_delay_alu instid0(SALU_CYCLE_1)
	s_or_b32 exec_lo, exec_lo, s15
	v_dual_mov_b32 v15, 0 :: v_dual_mov_b32 v53, 0
	s_mov_b32 s15, exec_lo
	v_cmpx_lt_u64_e64 s[2:3], v[0:1]
	s_cbranch_execz .LBB368_330
; %bb.323:                              ;   in Loop: Header=BB368_10 Depth=1
	v_lshrrev_b32_e32 v2, 24, v1
	v_bfrev_b32_e32 v53, 1
	s_mov_b32 s16, exec_lo
	s_delay_alu instid0(VALU_DEP_2)
	v_cmpx_ne_u32_e32 0x80, v2
	s_cbranch_execz .LBB368_329
; %bb.324:                              ;   in Loop: Header=BB368_10 Depth=1
	v_bfe_u32 v0, v1, 24, 7
	v_mov_b32_e32 v53, 0x7f800001
	s_mov_b32 s17, exec_lo
	s_delay_alu instid0(VALU_DEP_2)
	v_cmpx_ne_u32_e32 0x7f, v0
	s_cbranch_execz .LBB368_328
; %bb.325:                              ;   in Loop: Header=BB368_10 Depth=1
	v_dual_lshrrev_b32 v3, 3, v0 :: v_dual_bitop2_b32 v16, 7, v2 bitop3:0x40
	v_cmp_gt_u32_e64 s1, 8, v0
	s_delay_alu instid0(VALU_DEP_2)
	v_mov_b64_e32 v[0:1], v[16:17]
	s_and_saveexec_b32 s18, s1
; %bb.326:                              ;   in Loop: Header=BB368_10 Depth=1
	v_clz_i32_u32_e32 v0, v16
	s_delay_alu instid0(VALU_DEP_1) | instskip(NEXT) | instid1(VALU_DEP_1)
	v_min_u32_e32 v3, 32, v0
	v_subrev_nc_u32_e32 v0, 28, v3
	s_delay_alu instid0(VALU_DEP_1) | instskip(NEXT) | instid1(VALU_DEP_1)
	v_lshlrev_b64_e32 v[0:1], v0, v[16:17]
	v_dual_sub_nc_u32 v3, 29, v3 :: v_dual_bitop2_b32 v0, 7, v0 bitop3:0x40
; %bb.327:                              ;   in Loop: Header=BB368_10 Depth=1
	s_or_b32 exec_lo, exec_lo, s18
	s_delay_alu instid0(VALU_DEP_1) | instskip(NEXT) | instid1(VALU_DEP_2)
	v_dual_lshlrev_b32 v1, 24, v2 :: v_dual_lshlrev_b32 v0, 20, v0
	v_lshl_add_u32 v2, v3, 23, 0x3c000000
	s_delay_alu instid0(VALU_DEP_2) | instskip(NEXT) | instid1(VALU_DEP_1)
	v_and_b32_e32 v1, 0x80000000, v1
	v_or3_b32 v53, v0, v1, v2
.LBB368_328:                            ;   in Loop: Header=BB368_10 Depth=1
	s_or_b32 exec_lo, exec_lo, s17
.LBB368_329:                            ;   in Loop: Header=BB368_10 Depth=1
	s_delay_alu instid0(SALU_CYCLE_1)
	s_or_b32 exec_lo, exec_lo, s16
.LBB368_330:                            ;   in Loop: Header=BB368_10 Depth=1
	s_delay_alu instid0(SALU_CYCLE_1)
	s_or_b32 exec_lo, exec_lo, s15
	flat_load_b64 v[0:1], v[70:71] offset:1032
	s_mov_b32 s15, exec_lo
	s_wait_loadcnt_dscnt 0x0
	v_and_b32_e32 v2, 0xff, v0
	s_wait_xcnt 0x0
	s_delay_alu instid0(VALU_DEP_1)
	v_cmpx_ne_u16_e32 0, v2
	s_cbranch_execz .LBB368_338
; %bb.331:                              ;   in Loop: Header=BB368_10 Depth=1
	v_bfrev_b32_e32 v15, 1
	s_mov_b32 s16, exec_lo
	v_cmpx_ne_u16_e32 0x80, v2
	s_cbranch_execz .LBB368_337
; %bb.332:                              ;   in Loop: Header=BB368_10 Depth=1
	v_and_b32_e32 v2, 0x7f, v0
	v_mov_b32_e32 v15, 0x7f800001
	s_mov_b32 s17, exec_lo
	s_delay_alu instid0(VALU_DEP_2)
	v_cmpx_ne_u32_e32 0x7f, v2
	s_cbranch_execz .LBB368_336
; %bb.333:                              ;   in Loop: Header=BB368_10 Depth=1
	v_lshrrev_b32_e32 v4, 3, v2
	v_cmp_gt_u32_e64 s1, 8, v2
	v_mov_b64_e32 v[2:3], v[0:1]
	s_and_saveexec_b32 s18, s1
; %bb.334:                              ;   in Loop: Header=BB368_10 Depth=1
	v_and_b32_e32 v2, 7, v0
	s_delay_alu instid0(VALU_DEP_1) | instskip(NEXT) | instid1(VALU_DEP_1)
	v_clz_i32_u32_e32 v2, v2
	v_min_u32_e32 v4, 32, v2
	s_delay_alu instid0(VALU_DEP_1) | instskip(SKIP_1) | instid1(VALU_DEP_2)
	v_subrev_nc_u32_e32 v2, 28, v4
	v_sub_nc_u32_e32 v4, 29, v4
	v_lshlrev_b64_e32 v[2:3], v2, v[0:1]
; %bb.335:                              ;   in Loop: Header=BB368_10 Depth=1
	s_or_b32 exec_lo, exec_lo, s18
	s_delay_alu instid0(VALU_DEP_1) | instskip(NEXT) | instid1(VALU_DEP_3)
	v_dual_lshlrev_b32 v2, 20, v2 :: v_dual_lshlrev_b32 v3, 24, v0
	v_lshl_add_u32 v4, v4, 23, 0x3c000000
	s_delay_alu instid0(VALU_DEP_2) | instskip(NEXT) | instid1(VALU_DEP_3)
	v_and_b32_e32 v2, 0x700000, v2
	v_and_b32_e32 v3, 0x80000000, v3
	s_delay_alu instid0(VALU_DEP_1)
	v_or3_b32 v15, v2, v3, v4
.LBB368_336:                            ;   in Loop: Header=BB368_10 Depth=1
	s_or_b32 exec_lo, exec_lo, s17
.LBB368_337:                            ;   in Loop: Header=BB368_10 Depth=1
	s_delay_alu instid0(SALU_CYCLE_1)
	s_or_b32 exec_lo, exec_lo, s16
.LBB368_338:                            ;   in Loop: Header=BB368_10 Depth=1
	s_delay_alu instid0(SALU_CYCLE_1)
	s_or_b32 exec_lo, exec_lo, s15
	v_lshrrev_b16 v2, 8, v0
	v_dual_mov_b32 v3, 0 :: v_dual_mov_b32 v21, 0
	s_mov_b32 s15, exec_lo
	scratch_store_b32 off, v3, s32 offset:224 ; 4-byte Folded Spill
	s_wait_xcnt 0x0
	v_cmpx_ne_u16_e32 0, v2
	s_cbranch_execz .LBB368_346
; %bb.339:                              ;   in Loop: Header=BB368_10 Depth=1
	v_bfrev_b32_e32 v21, 1
	s_mov_b32 s16, exec_lo
	v_cmpx_ne_u16_e32 0x80, v2
	s_cbranch_execz .LBB368_345
; %bb.340:                              ;   in Loop: Header=BB368_10 Depth=1
	v_and_b32_e32 v3, 0xffff, v2
	v_mov_b32_e32 v21, 0x7f800001
	s_mov_b32 s17, exec_lo
	s_delay_alu instid0(VALU_DEP_2) | instskip(NEXT) | instid1(VALU_DEP_1)
	v_and_b32_e32 v2, 0x7f, v3
	v_cmpx_ne_u32_e32 0x7f, v2
	s_cbranch_execz .LBB368_344
; %bb.341:                              ;   in Loop: Header=BB368_10 Depth=1
	v_dual_lshrrev_b32 v4, 3, v2 :: v_dual_bitop2_b32 v16, 7, v3 bitop3:0x40
	v_cmp_gt_u32_e64 s1, 8, v2
	s_delay_alu instid0(VALU_DEP_2)
	v_mov_b64_e32 v[2:3], v[16:17]
	s_and_saveexec_b32 s18, s1
; %bb.342:                              ;   in Loop: Header=BB368_10 Depth=1
	v_clz_i32_u32_e32 v2, v16
	s_delay_alu instid0(VALU_DEP_1) | instskip(NEXT) | instid1(VALU_DEP_1)
	v_min_u32_e32 v4, 32, v2
	v_subrev_nc_u32_e32 v2, 28, v4
	s_delay_alu instid0(VALU_DEP_1) | instskip(NEXT) | instid1(VALU_DEP_1)
	v_lshlrev_b64_e32 v[2:3], v2, v[16:17]
	v_dual_sub_nc_u32 v4, 29, v4 :: v_dual_bitop2_b32 v2, 7, v2 bitop3:0x40
; %bb.343:                              ;   in Loop: Header=BB368_10 Depth=1
	s_or_b32 exec_lo, exec_lo, s18
	s_delay_alu instid0(VALU_DEP_1) | instskip(NEXT) | instid1(VALU_DEP_2)
	v_dual_lshlrev_b32 v3, 16, v0 :: v_dual_lshlrev_b32 v2, 20, v2
	v_lshl_add_u32 v4, v4, 23, 0x3c000000
	s_delay_alu instid0(VALU_DEP_2) | instskip(NEXT) | instid1(VALU_DEP_1)
	v_and_b32_e32 v3, 0x80000000, v3
	v_or3_b32 v21, v2, v3, v4
.LBB368_344:                            ;   in Loop: Header=BB368_10 Depth=1
	s_or_b32 exec_lo, exec_lo, s17
.LBB368_345:                            ;   in Loop: Header=BB368_10 Depth=1
	s_delay_alu instid0(SALU_CYCLE_1)
	s_or_b32 exec_lo, exec_lo, s16
.LBB368_346:                            ;   in Loop: Header=BB368_10 Depth=1
	s_delay_alu instid0(SALU_CYCLE_1) | instskip(SKIP_2) | instid1(VALU_DEP_1)
	s_or_b32 exec_lo, exec_lo, s15
	v_lshrrev_b32_e32 v4, 16, v0
	s_mov_b32 s15, exec_lo
	v_and_b32_e32 v2, 0xff, v4
	s_delay_alu instid0(VALU_DEP_1)
	v_cmpx_ne_u16_e32 0, v2
	s_cbranch_execz .LBB368_354
; %bb.347:                              ;   in Loop: Header=BB368_10 Depth=1
	v_cmp_ne_u16_e64 s1, 0x80, v2
	v_bfrev_b32_e32 v2, 1
	scratch_store_b32 off, v2, s32 offset:224 ; 4-byte Folded Spill
	s_wait_xcnt 0x0
	s_and_saveexec_b32 s16, s1
	s_cbranch_execz .LBB368_353
; %bb.348:                              ;   in Loop: Header=BB368_10 Depth=1
	v_bfe_u32 v2, v0, 16, 7
	v_mov_b32_e32 v3, 0x7f800001
	s_mov_b32 s17, exec_lo
	scratch_store_b32 off, v3, s32 offset:224 ; 4-byte Folded Spill
	s_wait_xcnt 0x0
	v_cmpx_ne_u32_e32 0x7f, v2
	s_cbranch_execz .LBB368_352
; %bb.349:                              ;   in Loop: Header=BB368_10 Depth=1
	v_dual_lshrrev_b32 v5, 3, v2 :: v_dual_bitop2_b32 v16, 7, v4 bitop3:0x40
	v_cmp_gt_u32_e64 s1, 8, v2
	s_delay_alu instid0(VALU_DEP_2)
	v_mov_b64_e32 v[2:3], v[16:17]
	s_and_saveexec_b32 s18, s1
; %bb.350:                              ;   in Loop: Header=BB368_10 Depth=1
	v_clz_i32_u32_e32 v2, v16
	s_delay_alu instid0(VALU_DEP_1) | instskip(NEXT) | instid1(VALU_DEP_1)
	v_min_u32_e32 v5, 32, v2
	v_subrev_nc_u32_e32 v2, 28, v5
	s_delay_alu instid0(VALU_DEP_1) | instskip(NEXT) | instid1(VALU_DEP_1)
	v_lshlrev_b64_e32 v[2:3], v2, v[16:17]
	v_dual_sub_nc_u32 v5, 29, v5 :: v_dual_bitop2_b32 v2, 7, v2 bitop3:0x40
; %bb.351:                              ;   in Loop: Header=BB368_10 Depth=1
	s_or_b32 exec_lo, exec_lo, s18
	s_delay_alu instid0(VALU_DEP_1) | instskip(NEXT) | instid1(VALU_DEP_2)
	v_dual_lshlrev_b32 v3, 24, v4 :: v_dual_lshlrev_b32 v2, 20, v2
	v_lshl_add_u32 v4, v5, 23, 0x3c000000
	s_delay_alu instid0(VALU_DEP_2) | instskip(NEXT) | instid1(VALU_DEP_1)
	v_and_b32_e32 v3, 0x80000000, v3
	v_or3_b32 v2, v2, v3, v4
	scratch_store_b32 off, v2, s32 offset:224 ; 4-byte Folded Spill
.LBB368_352:                            ;   in Loop: Header=BB368_10 Depth=1
	s_wait_xcnt 0x0
	s_or_b32 exec_lo, exec_lo, s17
.LBB368_353:                            ;   in Loop: Header=BB368_10 Depth=1
	s_delay_alu instid0(SALU_CYCLE_1)
	s_or_b32 exec_lo, exec_lo, s16
.LBB368_354:                            ;   in Loop: Header=BB368_10 Depth=1
	s_delay_alu instid0(SALU_CYCLE_1)
	s_or_b32 exec_lo, exec_lo, s15
	v_dual_mov_b32 v19, 0 :: v_dual_mov_b32 v2, 0
	s_mov_b32 s15, exec_lo
	scratch_store_b32 off, v2, s32 offset:212 ; 4-byte Folded Spill
	s_wait_xcnt 0x0
	v_cmpx_lt_u32_e32 0xffffff, v0
	s_cbranch_execz .LBB368_362
; %bb.355:                              ;   in Loop: Header=BB368_10 Depth=1
	v_lshrrev_b32_e32 v4, 24, v0
	v_bfrev_b32_e32 v2, 1
	s_mov_b32 s16, exec_lo
	scratch_store_b32 off, v2, s32 offset:212 ; 4-byte Folded Spill
	s_wait_xcnt 0x0
	v_cmpx_ne_u32_e32 0x80, v4
	s_cbranch_execz .LBB368_361
; %bb.356:                              ;   in Loop: Header=BB368_10 Depth=1
	v_bfe_u32 v2, v0, 24, 7
	v_mov_b32_e32 v3, 0x7f800001
	s_mov_b32 s17, exec_lo
	scratch_store_b32 off, v3, s32 offset:212 ; 4-byte Folded Spill
	s_wait_xcnt 0x0
	v_cmpx_ne_u32_e32 0x7f, v2
	s_cbranch_execz .LBB368_360
; %bb.357:                              ;   in Loop: Header=BB368_10 Depth=1
	v_dual_lshrrev_b32 v5, 3, v2 :: v_dual_bitop2_b32 v16, 7, v4 bitop3:0x40
	v_cmp_gt_u32_e64 s1, 8, v2
	s_delay_alu instid0(VALU_DEP_2)
	v_mov_b64_e32 v[2:3], v[16:17]
	s_and_saveexec_b32 s18, s1
; %bb.358:                              ;   in Loop: Header=BB368_10 Depth=1
	v_clz_i32_u32_e32 v2, v16
	s_delay_alu instid0(VALU_DEP_1) | instskip(NEXT) | instid1(VALU_DEP_1)
	v_min_u32_e32 v5, 32, v2
	v_subrev_nc_u32_e32 v2, 28, v5
	s_delay_alu instid0(VALU_DEP_1) | instskip(NEXT) | instid1(VALU_DEP_1)
	v_lshlrev_b64_e32 v[2:3], v2, v[16:17]
	v_dual_sub_nc_u32 v5, 29, v5 :: v_dual_bitop2_b32 v2, 7, v2 bitop3:0x40
; %bb.359:                              ;   in Loop: Header=BB368_10 Depth=1
	s_or_b32 exec_lo, exec_lo, s18
	s_delay_alu instid0(VALU_DEP_1) | instskip(NEXT) | instid1(VALU_DEP_2)
	v_dual_lshlrev_b32 v3, 24, v4 :: v_dual_lshlrev_b32 v2, 20, v2
	v_lshl_add_u32 v4, v5, 23, 0x3c000000
	s_delay_alu instid0(VALU_DEP_2) | instskip(NEXT) | instid1(VALU_DEP_1)
	v_and_b32_e32 v3, 0x80000000, v3
	v_or3_b32 v2, v2, v3, v4
	scratch_store_b32 off, v2, s32 offset:212 ; 4-byte Folded Spill
.LBB368_360:                            ;   in Loop: Header=BB368_10 Depth=1
	s_wait_xcnt 0x0
	s_or_b32 exec_lo, exec_lo, s17
.LBB368_361:                            ;   in Loop: Header=BB368_10 Depth=1
	s_delay_alu instid0(SALU_CYCLE_1)
	s_or_b32 exec_lo, exec_lo, s16
.LBB368_362:                            ;   in Loop: Header=BB368_10 Depth=1
	s_delay_alu instid0(SALU_CYCLE_1) | instskip(SKIP_3) | instid1(VALU_DEP_2)
	s_or_b32 exec_lo, exec_lo, s15
	v_and_b32_e32 v2, 0xff, v1
	v_mov_b32_e32 v16, v1
	s_mov_b32 s15, exec_lo
	v_cmpx_ne_u16_e32 0, v2
	s_cbranch_execz .LBB368_370
; %bb.363:                              ;   in Loop: Header=BB368_10 Depth=1
	v_bfrev_b32_e32 v19, 1
	s_mov_b32 s16, exec_lo
	v_cmpx_ne_u16_e32 0x80, v2
	s_cbranch_execz .LBB368_369
; %bb.364:                              ;   in Loop: Header=BB368_10 Depth=1
	v_and_b32_e32 v2, 0x7f, v1
	v_mov_b32_e32 v19, 0x7f800001
	s_mov_b32 s17, exec_lo
	s_delay_alu instid0(VALU_DEP_2)
	v_cmpx_ne_u32_e32 0x7f, v2
	s_cbranch_execz .LBB368_368
; %bb.365:                              ;   in Loop: Header=BB368_10 Depth=1
	v_lshrrev_b32_e32 v4, 3, v2
	v_cmp_gt_u32_e64 s1, 8, v2
	v_mov_b64_e32 v[2:3], v[16:17]
	s_and_saveexec_b32 s18, s1
; %bb.366:                              ;   in Loop: Header=BB368_10 Depth=1
	v_and_b32_e32 v2, 7, v1
	s_delay_alu instid0(VALU_DEP_1) | instskip(NEXT) | instid1(VALU_DEP_1)
	v_clz_i32_u32_e32 v2, v2
	v_min_u32_e32 v4, 32, v2
	s_delay_alu instid0(VALU_DEP_1) | instskip(SKIP_1) | instid1(VALU_DEP_2)
	v_subrev_nc_u32_e32 v2, 28, v4
	v_sub_nc_u32_e32 v4, 29, v4
	v_lshlrev_b64_e32 v[2:3], v2, v[16:17]
; %bb.367:                              ;   in Loop: Header=BB368_10 Depth=1
	s_or_b32 exec_lo, exec_lo, s18
	s_delay_alu instid0(VALU_DEP_1) | instskip(NEXT) | instid1(VALU_DEP_3)
	v_dual_lshlrev_b32 v2, 20, v2 :: v_dual_lshlrev_b32 v3, 24, v16
	v_lshl_add_u32 v4, v4, 23, 0x3c000000
	s_delay_alu instid0(VALU_DEP_2) | instskip(NEXT) | instid1(VALU_DEP_3)
	v_and_b32_e32 v2, 0x700000, v2
	v_and_b32_e32 v3, 0x80000000, v3
	s_delay_alu instid0(VALU_DEP_1)
	v_or3_b32 v19, v2, v3, v4
.LBB368_368:                            ;   in Loop: Header=BB368_10 Depth=1
	s_or_b32 exec_lo, exec_lo, s17
.LBB368_369:                            ;   in Loop: Header=BB368_10 Depth=1
	s_delay_alu instid0(SALU_CYCLE_1)
	s_or_b32 exec_lo, exec_lo, s16
.LBB368_370:                            ;   in Loop: Header=BB368_10 Depth=1
	s_delay_alu instid0(SALU_CYCLE_1)
	s_or_b32 exec_lo, exec_lo, s15
	v_mov_b32_e32 v3, 0
	v_lshrrev_b16 v2, 8, v16
	s_mov_b32 s15, exec_lo
	scratch_store_b32 off, v3, s32 offset:216 ; 4-byte Folded Spill
	s_wait_xcnt 0x0
	v_mov_b32_e32 v3, 0
	scratch_store_b32 off, v3, s32 offset:220 ; 4-byte Folded Spill
	s_wait_xcnt 0x0
	v_cmpx_ne_u16_e32 0, v2
	s_cbranch_execz .LBB368_378
; %bb.371:                              ;   in Loop: Header=BB368_10 Depth=1
	v_bfrev_b32_e32 v3, 1
	s_mov_b32 s16, exec_lo
	scratch_store_b32 off, v3, s32 offset:220 ; 4-byte Folded Spill
	s_wait_xcnt 0x0
	v_cmpx_ne_u16_e32 0x80, v2
	s_cbranch_execz .LBB368_377
; %bb.372:                              ;   in Loop: Header=BB368_10 Depth=1
	v_and_b32_e32 v2, 0xffff, v2
	v_mov_b32_e32 v3, 0x7f800001
	s_mov_b32 s17, exec_lo
	s_delay_alu instid0(VALU_DEP_2)
	v_and_b32_e32 v5, 0x7f, v2
	scratch_store_b32 off, v3, s32 offset:220 ; 4-byte Folded Spill
	s_wait_xcnt 0x0
	v_cmpx_ne_u32_e32 0x7f, v5
	s_cbranch_execz .LBB368_376
; %bb.373:                              ;   in Loop: Header=BB368_10 Depth=1
	v_dual_mov_b32 v3, v17 :: v_dual_bitop2_b32 v2, 7, v2 bitop3:0x40
	v_lshrrev_b32_e32 v4, 3, v5
	s_mov_b32 s18, exec_lo
	v_cmpx_gt_u32_e32 8, v5
; %bb.374:                              ;   in Loop: Header=BB368_10 Depth=1
	s_delay_alu instid0(VALU_DEP_3) | instskip(NEXT) | instid1(VALU_DEP_1)
	v_clz_i32_u32_e32 v4, v2
	v_min_u32_e32 v4, 32, v4
	s_delay_alu instid0(VALU_DEP_1) | instskip(NEXT) | instid1(VALU_DEP_1)
	v_subrev_nc_u32_e32 v5, 28, v4
	v_lshlrev_b64_e32 v[2:3], v5, v[2:3]
	s_delay_alu instid0(VALU_DEP_1)
	v_dual_sub_nc_u32 v4, 29, v4 :: v_dual_bitop2_b32 v2, 7, v2 bitop3:0x40
; %bb.375:                              ;   in Loop: Header=BB368_10 Depth=1
	s_or_b32 exec_lo, exec_lo, s18
	s_delay_alu instid0(VALU_DEP_1) | instskip(NEXT) | instid1(VALU_DEP_2)
	v_dual_lshlrev_b32 v3, 16, v16 :: v_dual_lshlrev_b32 v2, 20, v2
	v_lshl_add_u32 v4, v4, 23, 0x3c000000
	s_delay_alu instid0(VALU_DEP_2) | instskip(NEXT) | instid1(VALU_DEP_1)
	v_and_b32_e32 v3, 0x80000000, v3
	v_or3_b32 v2, v2, v3, v4
	scratch_store_b32 off, v2, s32 offset:220 ; 4-byte Folded Spill
.LBB368_376:                            ;   in Loop: Header=BB368_10 Depth=1
	s_wait_xcnt 0x0
	s_or_b32 exec_lo, exec_lo, s17
.LBB368_377:                            ;   in Loop: Header=BB368_10 Depth=1
	s_delay_alu instid0(SALU_CYCLE_1)
	s_or_b32 exec_lo, exec_lo, s16
.LBB368_378:                            ;   in Loop: Header=BB368_10 Depth=1
	s_delay_alu instid0(SALU_CYCLE_1) | instskip(SKIP_2) | instid1(VALU_DEP_1)
	s_or_b32 exec_lo, exec_lo, s15
	v_lshrrev_b32_e32 v4, 16, v1
	s_mov_b32 s15, exec_lo
	v_and_b32_e32 v2, 0xff, v4
	s_delay_alu instid0(VALU_DEP_1)
	v_cmpx_ne_u16_e32 0, v2
	s_cbranch_execz .LBB368_386
; %bb.379:                              ;   in Loop: Header=BB368_10 Depth=1
	v_cmp_ne_u16_e64 s1, 0x80, v2
	v_bfrev_b32_e32 v2, 1
	scratch_store_b32 off, v2, s32 offset:216 ; 4-byte Folded Spill
	s_wait_xcnt 0x0
	s_and_saveexec_b32 s16, s1
	s_cbranch_execz .LBB368_385
; %bb.380:                              ;   in Loop: Header=BB368_10 Depth=1
	v_bfe_u32 v2, v1, 16, 7
	v_mov_b32_e32 v3, 0x7f800001
	s_mov_b32 s17, exec_lo
	scratch_store_b32 off, v3, s32 offset:216 ; 4-byte Folded Spill
	s_wait_xcnt 0x0
	v_cmpx_ne_u32_e32 0x7f, v2
	s_cbranch_execz .LBB368_384
; %bb.381:                              ;   in Loop: Header=BB368_10 Depth=1
	v_dual_lshrrev_b32 v5, 3, v2 :: v_dual_bitop2_b32 v16, 7, v4 bitop3:0x40
	v_cmp_gt_u32_e64 s1, 8, v2
	s_delay_alu instid0(VALU_DEP_2)
	v_mov_b64_e32 v[2:3], v[16:17]
	s_and_saveexec_b32 s18, s1
; %bb.382:                              ;   in Loop: Header=BB368_10 Depth=1
	v_clz_i32_u32_e32 v2, v16
	s_delay_alu instid0(VALU_DEP_1) | instskip(NEXT) | instid1(VALU_DEP_1)
	v_min_u32_e32 v5, 32, v2
	v_subrev_nc_u32_e32 v2, 28, v5
	s_delay_alu instid0(VALU_DEP_1) | instskip(NEXT) | instid1(VALU_DEP_1)
	v_lshlrev_b64_e32 v[2:3], v2, v[16:17]
	v_dual_sub_nc_u32 v5, 29, v5 :: v_dual_bitop2_b32 v2, 7, v2 bitop3:0x40
; %bb.383:                              ;   in Loop: Header=BB368_10 Depth=1
	s_or_b32 exec_lo, exec_lo, s18
	s_delay_alu instid0(VALU_DEP_1) | instskip(NEXT) | instid1(VALU_DEP_2)
	v_dual_lshlrev_b32 v3, 24, v4 :: v_dual_lshlrev_b32 v2, 20, v2
	v_lshl_add_u32 v4, v5, 23, 0x3c000000
	s_delay_alu instid0(VALU_DEP_2) | instskip(NEXT) | instid1(VALU_DEP_1)
	v_and_b32_e32 v3, 0x80000000, v3
	v_or3_b32 v2, v2, v3, v4
	scratch_store_b32 off, v2, s32 offset:216 ; 4-byte Folded Spill
.LBB368_384:                            ;   in Loop: Header=BB368_10 Depth=1
	s_wait_xcnt 0x0
	s_or_b32 exec_lo, exec_lo, s17
.LBB368_385:                            ;   in Loop: Header=BB368_10 Depth=1
	s_delay_alu instid0(SALU_CYCLE_1)
	s_or_b32 exec_lo, exec_lo, s16
.LBB368_386:                            ;   in Loop: Header=BB368_10 Depth=1
	s_delay_alu instid0(SALU_CYCLE_1)
	s_or_b32 exec_lo, exec_lo, s15
	v_cmp_lt_u64_e64 s1, s[2:3], v[0:1]
	v_dual_mov_b32 v0, 0 :: v_dual_mov_b32 v89, 0
	scratch_store_b32 off, v0, s32 offset:228 ; 4-byte Folded Spill
	s_wait_xcnt 0x0
	s_and_saveexec_b32 s15, s1
	s_cbranch_execz .LBB368_394
; %bb.387:                              ;   in Loop: Header=BB368_10 Depth=1
	v_lshrrev_b32_e32 v2, 24, v1
	v_bfrev_b32_e32 v89, 1
	s_mov_b32 s16, exec_lo
	s_delay_alu instid0(VALU_DEP_2)
	v_cmpx_ne_u32_e32 0x80, v2
	s_cbranch_execz .LBB368_393
; %bb.388:                              ;   in Loop: Header=BB368_10 Depth=1
	v_bfe_u32 v0, v1, 24, 7
	v_mov_b32_e32 v89, 0x7f800001
	s_mov_b32 s17, exec_lo
	s_delay_alu instid0(VALU_DEP_2)
	v_cmpx_ne_u32_e32 0x7f, v0
	s_cbranch_execz .LBB368_392
; %bb.389:                              ;   in Loop: Header=BB368_10 Depth=1
	v_dual_lshrrev_b32 v3, 3, v0 :: v_dual_bitop2_b32 v16, 7, v2 bitop3:0x40
	v_cmp_gt_u32_e64 s1, 8, v0
	s_delay_alu instid0(VALU_DEP_2)
	v_mov_b64_e32 v[0:1], v[16:17]
	s_and_saveexec_b32 s18, s1
; %bb.390:                              ;   in Loop: Header=BB368_10 Depth=1
	v_clz_i32_u32_e32 v0, v16
	s_delay_alu instid0(VALU_DEP_1) | instskip(NEXT) | instid1(VALU_DEP_1)
	v_min_u32_e32 v3, 32, v0
	v_subrev_nc_u32_e32 v0, 28, v3
	s_delay_alu instid0(VALU_DEP_1) | instskip(NEXT) | instid1(VALU_DEP_1)
	v_lshlrev_b64_e32 v[0:1], v0, v[16:17]
	v_dual_sub_nc_u32 v3, 29, v3 :: v_dual_bitop2_b32 v0, 7, v0 bitop3:0x40
; %bb.391:                              ;   in Loop: Header=BB368_10 Depth=1
	s_or_b32 exec_lo, exec_lo, s18
	s_delay_alu instid0(VALU_DEP_1) | instskip(NEXT) | instid1(VALU_DEP_2)
	v_dual_lshlrev_b32 v1, 24, v2 :: v_dual_lshlrev_b32 v0, 20, v0
	v_lshl_add_u32 v2, v3, 23, 0x3c000000
	s_delay_alu instid0(VALU_DEP_2) | instskip(NEXT) | instid1(VALU_DEP_1)
	v_and_b32_e32 v1, 0x80000000, v1
	v_or3_b32 v89, v0, v1, v2
.LBB368_392:                            ;   in Loop: Header=BB368_10 Depth=1
	s_or_b32 exec_lo, exec_lo, s17
.LBB368_393:                            ;   in Loop: Header=BB368_10 Depth=1
	s_delay_alu instid0(SALU_CYCLE_1)
	s_or_b32 exec_lo, exec_lo, s16
.LBB368_394:                            ;   in Loop: Header=BB368_10 Depth=1
	s_delay_alu instid0(SALU_CYCLE_1)
	s_or_b32 exec_lo, exec_lo, s15
	flat_load_b64 v[0:1], v[70:71] offset:1536
	s_mov_b32 s15, exec_lo
	s_wait_loadcnt_dscnt 0x0
	v_and_b32_e32 v2, 0xff, v0
	s_wait_xcnt 0x0
	s_delay_alu instid0(VALU_DEP_1)
	v_cmpx_ne_u16_e32 0, v2
	s_cbranch_execz .LBB368_402
; %bb.395:                              ;   in Loop: Header=BB368_10 Depth=1
	v_cmp_ne_u16_e64 s1, 0x80, v2
	v_bfrev_b32_e32 v2, 1
	scratch_store_b32 off, v2, s32 offset:228 ; 4-byte Folded Spill
	s_wait_xcnt 0x0
	s_and_saveexec_b32 s16, s1
	s_cbranch_execz .LBB368_401
; %bb.396:                              ;   in Loop: Header=BB368_10 Depth=1
	v_and_b32_e32 v2, 0x7f, v0
	v_mov_b32_e32 v3, 0x7f800001
	s_mov_b32 s17, exec_lo
	scratch_store_b32 off, v3, s32 offset:228 ; 4-byte Folded Spill
	s_wait_xcnt 0x0
	v_cmpx_ne_u32_e32 0x7f, v2
	s_cbranch_execz .LBB368_400
; %bb.397:                              ;   in Loop: Header=BB368_10 Depth=1
	v_lshrrev_b32_e32 v4, 3, v2
	v_cmp_gt_u32_e64 s1, 8, v2
	v_mov_b64_e32 v[2:3], v[0:1]
	s_and_saveexec_b32 s18, s1
; %bb.398:                              ;   in Loop: Header=BB368_10 Depth=1
	v_and_b32_e32 v2, 7, v0
	s_delay_alu instid0(VALU_DEP_1) | instskip(NEXT) | instid1(VALU_DEP_1)
	v_clz_i32_u32_e32 v2, v2
	v_min_u32_e32 v4, 32, v2
	s_delay_alu instid0(VALU_DEP_1) | instskip(SKIP_1) | instid1(VALU_DEP_2)
	v_subrev_nc_u32_e32 v2, 28, v4
	v_sub_nc_u32_e32 v4, 29, v4
	v_lshlrev_b64_e32 v[2:3], v2, v[0:1]
; %bb.399:                              ;   in Loop: Header=BB368_10 Depth=1
	s_or_b32 exec_lo, exec_lo, s18
	s_delay_alu instid0(VALU_DEP_1) | instskip(NEXT) | instid1(VALU_DEP_3)
	v_dual_lshlrev_b32 v2, 20, v2 :: v_dual_lshlrev_b32 v3, 24, v0
	v_lshl_add_u32 v4, v4, 23, 0x3c000000
	s_delay_alu instid0(VALU_DEP_2) | instskip(NEXT) | instid1(VALU_DEP_3)
	v_and_b32_e32 v2, 0x700000, v2
	v_and_b32_e32 v3, 0x80000000, v3
	s_delay_alu instid0(VALU_DEP_1)
	v_or3_b32 v2, v2, v3, v4
	scratch_store_b32 off, v2, s32 offset:228 ; 4-byte Folded Spill
.LBB368_400:                            ;   in Loop: Header=BB368_10 Depth=1
	s_wait_xcnt 0x0
	s_or_b32 exec_lo, exec_lo, s17
.LBB368_401:                            ;   in Loop: Header=BB368_10 Depth=1
	s_delay_alu instid0(SALU_CYCLE_1)
	s_or_b32 exec_lo, exec_lo, s16
.LBB368_402:                            ;   in Loop: Header=BB368_10 Depth=1
	s_delay_alu instid0(SALU_CYCLE_1)
	s_or_b32 exec_lo, exec_lo, s15
	v_mov_b32_e32 v3, 0
	v_lshrrev_b16 v2, 8, v0
	s_mov_b32 s15, exec_lo
	scratch_store_b32 off, v3, s32 offset:232 ; 4-byte Folded Spill
	s_wait_xcnt 0x0
	v_mov_b32_e32 v3, 0
	scratch_store_b32 off, v3, s32 offset:236 ; 4-byte Folded Spill
	s_wait_xcnt 0x0
	v_cmpx_ne_u16_e32 0, v2
	s_cbranch_execz .LBB368_410
; %bb.403:                              ;   in Loop: Header=BB368_10 Depth=1
	v_bfrev_b32_e32 v3, 1
	s_mov_b32 s16, exec_lo
	scratch_store_b32 off, v3, s32 offset:236 ; 4-byte Folded Spill
	s_wait_xcnt 0x0
	v_cmpx_ne_u16_e32 0x80, v2
	s_cbranch_execz .LBB368_409
; %bb.404:                              ;   in Loop: Header=BB368_10 Depth=1
	v_and_b32_e32 v3, 0xffff, v2
	v_mov_b32_e32 v4, 0x7f800001
	s_mov_b32 s17, exec_lo
	s_delay_alu instid0(VALU_DEP_2)
	v_and_b32_e32 v2, 0x7f, v3
	scratch_store_b32 off, v4, s32 offset:236 ; 4-byte Folded Spill
	s_wait_xcnt 0x0
	v_cmpx_ne_u32_e32 0x7f, v2
	s_cbranch_execz .LBB368_408
; %bb.405:                              ;   in Loop: Header=BB368_10 Depth=1
	v_dual_lshrrev_b32 v4, 3, v2 :: v_dual_bitop2_b32 v16, 7, v3 bitop3:0x40
	v_cmp_gt_u32_e64 s1, 8, v2
	s_delay_alu instid0(VALU_DEP_2)
	v_mov_b64_e32 v[2:3], v[16:17]
	s_and_saveexec_b32 s18, s1
; %bb.406:                              ;   in Loop: Header=BB368_10 Depth=1
	v_clz_i32_u32_e32 v2, v16
	s_delay_alu instid0(VALU_DEP_1) | instskip(NEXT) | instid1(VALU_DEP_1)
	v_min_u32_e32 v4, 32, v2
	v_subrev_nc_u32_e32 v2, 28, v4
	s_delay_alu instid0(VALU_DEP_1) | instskip(NEXT) | instid1(VALU_DEP_1)
	v_lshlrev_b64_e32 v[2:3], v2, v[16:17]
	v_dual_sub_nc_u32 v4, 29, v4 :: v_dual_bitop2_b32 v2, 7, v2 bitop3:0x40
; %bb.407:                              ;   in Loop: Header=BB368_10 Depth=1
	s_or_b32 exec_lo, exec_lo, s18
	s_delay_alu instid0(VALU_DEP_1) | instskip(NEXT) | instid1(VALU_DEP_2)
	v_dual_lshlrev_b32 v3, 16, v0 :: v_dual_lshlrev_b32 v2, 20, v2
	v_lshl_add_u32 v4, v4, 23, 0x3c000000
	s_delay_alu instid0(VALU_DEP_2) | instskip(NEXT) | instid1(VALU_DEP_1)
	v_and_b32_e32 v3, 0x80000000, v3
	v_or3_b32 v2, v2, v3, v4
	scratch_store_b32 off, v2, s32 offset:236 ; 4-byte Folded Spill
.LBB368_408:                            ;   in Loop: Header=BB368_10 Depth=1
	s_wait_xcnt 0x0
	s_or_b32 exec_lo, exec_lo, s17
.LBB368_409:                            ;   in Loop: Header=BB368_10 Depth=1
	s_delay_alu instid0(SALU_CYCLE_1)
	s_or_b32 exec_lo, exec_lo, s16
.LBB368_410:                            ;   in Loop: Header=BB368_10 Depth=1
	s_delay_alu instid0(SALU_CYCLE_1) | instskip(SKIP_2) | instid1(VALU_DEP_1)
	s_or_b32 exec_lo, exec_lo, s15
	v_lshrrev_b32_e32 v4, 16, v0
	s_mov_b32 s15, exec_lo
	v_and_b32_e32 v2, 0xff, v4
	s_delay_alu instid0(VALU_DEP_1)
	v_cmpx_ne_u16_e32 0, v2
	s_cbranch_execz .LBB368_418
; %bb.411:                              ;   in Loop: Header=BB368_10 Depth=1
	v_cmp_ne_u16_e64 s1, 0x80, v2
	v_bfrev_b32_e32 v2, 1
	scratch_store_b32 off, v2, s32 offset:232 ; 4-byte Folded Spill
	s_wait_xcnt 0x0
	s_and_saveexec_b32 s16, s1
	s_cbranch_execz .LBB368_417
; %bb.412:                              ;   in Loop: Header=BB368_10 Depth=1
	v_bfe_u32 v2, v0, 16, 7
	v_mov_b32_e32 v3, 0x7f800001
	s_mov_b32 s17, exec_lo
	scratch_store_b32 off, v3, s32 offset:232 ; 4-byte Folded Spill
	s_wait_xcnt 0x0
	v_cmpx_ne_u32_e32 0x7f, v2
	s_cbranch_execz .LBB368_416
; %bb.413:                              ;   in Loop: Header=BB368_10 Depth=1
	v_dual_lshrrev_b32 v5, 3, v2 :: v_dual_bitop2_b32 v16, 7, v4 bitop3:0x40
	v_cmp_gt_u32_e64 s1, 8, v2
	s_delay_alu instid0(VALU_DEP_2)
	v_mov_b64_e32 v[2:3], v[16:17]
	s_and_saveexec_b32 s18, s1
; %bb.414:                              ;   in Loop: Header=BB368_10 Depth=1
	v_clz_i32_u32_e32 v2, v16
	s_delay_alu instid0(VALU_DEP_1) | instskip(NEXT) | instid1(VALU_DEP_1)
	v_min_u32_e32 v5, 32, v2
	v_subrev_nc_u32_e32 v2, 28, v5
	s_delay_alu instid0(VALU_DEP_1) | instskip(NEXT) | instid1(VALU_DEP_1)
	v_lshlrev_b64_e32 v[2:3], v2, v[16:17]
	v_dual_sub_nc_u32 v5, 29, v5 :: v_dual_bitop2_b32 v2, 7, v2 bitop3:0x40
; %bb.415:                              ;   in Loop: Header=BB368_10 Depth=1
	s_or_b32 exec_lo, exec_lo, s18
	s_delay_alu instid0(VALU_DEP_1) | instskip(NEXT) | instid1(VALU_DEP_2)
	v_dual_lshlrev_b32 v3, 24, v4 :: v_dual_lshlrev_b32 v2, 20, v2
	v_lshl_add_u32 v4, v5, 23, 0x3c000000
	s_delay_alu instid0(VALU_DEP_2) | instskip(NEXT) | instid1(VALU_DEP_1)
	v_and_b32_e32 v3, 0x80000000, v3
	v_or3_b32 v2, v2, v3, v4
	scratch_store_b32 off, v2, s32 offset:232 ; 4-byte Folded Spill
.LBB368_416:                            ;   in Loop: Header=BB368_10 Depth=1
	s_wait_xcnt 0x0
	s_or_b32 exec_lo, exec_lo, s17
.LBB368_417:                            ;   in Loop: Header=BB368_10 Depth=1
	s_delay_alu instid0(SALU_CYCLE_1)
	s_or_b32 exec_lo, exec_lo, s16
.LBB368_418:                            ;   in Loop: Header=BB368_10 Depth=1
	s_delay_alu instid0(SALU_CYCLE_1)
	s_or_b32 exec_lo, exec_lo, s15
	v_mov_b32_e32 v2, 0
	s_mov_b32 s15, exec_lo
	scratch_store_b32 off, v2, s32 offset:240 ; 4-byte Folded Spill
	s_wait_xcnt 0x0
	v_mov_b32_e32 v2, 0
	scratch_store_b32 off, v2, s32 offset:244 ; 4-byte Folded Spill
	s_wait_xcnt 0x0
	v_cmpx_lt_u32_e32 0xffffff, v0
	s_cbranch_execz .LBB368_426
; %bb.419:                              ;   in Loop: Header=BB368_10 Depth=1
	v_lshrrev_b32_e32 v4, 24, v0
	v_bfrev_b32_e32 v2, 1
	s_mov_b32 s16, exec_lo
	scratch_store_b32 off, v2, s32 offset:244 ; 4-byte Folded Spill
	s_wait_xcnt 0x0
	v_cmpx_ne_u32_e32 0x80, v4
	s_cbranch_execz .LBB368_425
; %bb.420:                              ;   in Loop: Header=BB368_10 Depth=1
	v_bfe_u32 v2, v0, 24, 7
	v_mov_b32_e32 v3, 0x7f800001
	s_mov_b32 s17, exec_lo
	scratch_store_b32 off, v3, s32 offset:244 ; 4-byte Folded Spill
	s_wait_xcnt 0x0
	v_cmpx_ne_u32_e32 0x7f, v2
	s_cbranch_execz .LBB368_424
; %bb.421:                              ;   in Loop: Header=BB368_10 Depth=1
	v_dual_lshrrev_b32 v5, 3, v2 :: v_dual_bitop2_b32 v16, 7, v4 bitop3:0x40
	v_cmp_gt_u32_e64 s1, 8, v2
	s_delay_alu instid0(VALU_DEP_2)
	v_mov_b64_e32 v[2:3], v[16:17]
	s_and_saveexec_b32 s18, s1
; %bb.422:                              ;   in Loop: Header=BB368_10 Depth=1
	v_clz_i32_u32_e32 v2, v16
	s_delay_alu instid0(VALU_DEP_1) | instskip(NEXT) | instid1(VALU_DEP_1)
	v_min_u32_e32 v5, 32, v2
	v_subrev_nc_u32_e32 v2, 28, v5
	s_delay_alu instid0(VALU_DEP_1) | instskip(NEXT) | instid1(VALU_DEP_1)
	v_lshlrev_b64_e32 v[2:3], v2, v[16:17]
	v_dual_sub_nc_u32 v5, 29, v5 :: v_dual_bitop2_b32 v2, 7, v2 bitop3:0x40
; %bb.423:                              ;   in Loop: Header=BB368_10 Depth=1
	s_or_b32 exec_lo, exec_lo, s18
	s_delay_alu instid0(VALU_DEP_1) | instskip(NEXT) | instid1(VALU_DEP_2)
	v_dual_lshlrev_b32 v3, 24, v4 :: v_dual_lshlrev_b32 v2, 20, v2
	v_lshl_add_u32 v4, v5, 23, 0x3c000000
	s_delay_alu instid0(VALU_DEP_2) | instskip(NEXT) | instid1(VALU_DEP_1)
	v_and_b32_e32 v3, 0x80000000, v3
	v_or3_b32 v2, v2, v3, v4
	scratch_store_b32 off, v2, s32 offset:244 ; 4-byte Folded Spill
.LBB368_424:                            ;   in Loop: Header=BB368_10 Depth=1
	s_wait_xcnt 0x0
	s_or_b32 exec_lo, exec_lo, s17
.LBB368_425:                            ;   in Loop: Header=BB368_10 Depth=1
	s_delay_alu instid0(SALU_CYCLE_1)
	s_or_b32 exec_lo, exec_lo, s16
.LBB368_426:                            ;   in Loop: Header=BB368_10 Depth=1
	s_delay_alu instid0(SALU_CYCLE_1) | instskip(SKIP_3) | instid1(VALU_DEP_2)
	s_or_b32 exec_lo, exec_lo, s15
	v_and_b32_e32 v2, 0xff, v1
	v_mov_b32_e32 v16, v1
	s_mov_b32 s15, exec_lo
	v_cmpx_ne_u16_e32 0, v2
	s_cbranch_execz .LBB368_434
; %bb.427:                              ;   in Loop: Header=BB368_10 Depth=1
	v_cmp_ne_u16_e64 s1, 0x80, v2
	v_bfrev_b32_e32 v2, 1
	scratch_store_b32 off, v2, s32 offset:240 ; 4-byte Folded Spill
	s_wait_xcnt 0x0
	s_and_saveexec_b32 s16, s1
	s_cbranch_execz .LBB368_433
; %bb.428:                              ;   in Loop: Header=BB368_10 Depth=1
	v_and_b32_e32 v2, 0x7f, v1
	v_mov_b32_e32 v3, 0x7f800001
	s_mov_b32 s17, exec_lo
	scratch_store_b32 off, v3, s32 offset:240 ; 4-byte Folded Spill
	s_wait_xcnt 0x0
	v_cmpx_ne_u32_e32 0x7f, v2
	s_cbranch_execz .LBB368_432
; %bb.429:                              ;   in Loop: Header=BB368_10 Depth=1
	v_lshrrev_b32_e32 v4, 3, v2
	v_cmp_gt_u32_e64 s1, 8, v2
	v_mov_b64_e32 v[2:3], v[16:17]
	s_and_saveexec_b32 s18, s1
; %bb.430:                              ;   in Loop: Header=BB368_10 Depth=1
	v_and_b32_e32 v2, 7, v1
	s_delay_alu instid0(VALU_DEP_1) | instskip(NEXT) | instid1(VALU_DEP_1)
	v_clz_i32_u32_e32 v2, v2
	v_min_u32_e32 v4, 32, v2
	s_delay_alu instid0(VALU_DEP_1) | instskip(SKIP_1) | instid1(VALU_DEP_2)
	v_subrev_nc_u32_e32 v2, 28, v4
	v_sub_nc_u32_e32 v4, 29, v4
	v_lshlrev_b64_e32 v[2:3], v2, v[16:17]
; %bb.431:                              ;   in Loop: Header=BB368_10 Depth=1
	s_or_b32 exec_lo, exec_lo, s18
	s_delay_alu instid0(VALU_DEP_1) | instskip(NEXT) | instid1(VALU_DEP_3)
	v_dual_lshlrev_b32 v2, 20, v2 :: v_dual_lshlrev_b32 v3, 24, v16
	v_lshl_add_u32 v4, v4, 23, 0x3c000000
	s_delay_alu instid0(VALU_DEP_2) | instskip(NEXT) | instid1(VALU_DEP_3)
	v_and_b32_e32 v2, 0x700000, v2
	v_and_b32_e32 v3, 0x80000000, v3
	s_delay_alu instid0(VALU_DEP_1)
	v_or3_b32 v2, v2, v3, v4
	scratch_store_b32 off, v2, s32 offset:240 ; 4-byte Folded Spill
.LBB368_432:                            ;   in Loop: Header=BB368_10 Depth=1
	s_wait_xcnt 0x0
	s_or_b32 exec_lo, exec_lo, s17
.LBB368_433:                            ;   in Loop: Header=BB368_10 Depth=1
	s_delay_alu instid0(SALU_CYCLE_1)
	s_or_b32 exec_lo, exec_lo, s16
.LBB368_434:                            ;   in Loop: Header=BB368_10 Depth=1
	s_delay_alu instid0(SALU_CYCLE_1)
	s_or_b32 exec_lo, exec_lo, s15
	v_lshrrev_b16 v2, 8, v16
	v_dual_mov_b32 v3, 0 :: v_dual_mov_b32 v5, 0
	s_mov_b32 s15, exec_lo
	scratch_store_b32 off, v3, s32 offset:248 ; 4-byte Folded Spill
	s_wait_xcnt 0x0
	v_cmpx_ne_u16_e32 0, v2
	s_cbranch_execz .LBB368_442
; %bb.435:                              ;   in Loop: Header=BB368_10 Depth=1
	v_bfrev_b32_e32 v5, 1
	s_mov_b32 s16, exec_lo
	v_cmpx_ne_u16_e32 0x80, v2
	s_cbranch_execz .LBB368_441
; %bb.436:                              ;   in Loop: Header=BB368_10 Depth=1
	v_and_b32_e32 v2, 0xffff, v2
	v_mov_b32_e32 v5, 0x7f800001
	s_mov_b32 s17, exec_lo
	s_delay_alu instid0(VALU_DEP_2) | instskip(NEXT) | instid1(VALU_DEP_1)
	v_and_b32_e32 v6, 0x7f, v2
	v_cmpx_ne_u32_e32 0x7f, v6
	s_cbranch_execz .LBB368_440
; %bb.437:                              ;   in Loop: Header=BB368_10 Depth=1
	v_dual_mov_b32 v3, v17 :: v_dual_bitop2_b32 v2, 7, v2 bitop3:0x40
	v_lshrrev_b32_e32 v4, 3, v6
	s_mov_b32 s18, exec_lo
	v_cmpx_gt_u32_e32 8, v6
; %bb.438:                              ;   in Loop: Header=BB368_10 Depth=1
	s_delay_alu instid0(VALU_DEP_3) | instskip(NEXT) | instid1(VALU_DEP_1)
	v_clz_i32_u32_e32 v4, v2
	v_min_u32_e32 v4, 32, v4
	s_delay_alu instid0(VALU_DEP_1) | instskip(NEXT) | instid1(VALU_DEP_1)
	v_subrev_nc_u32_e32 v5, 28, v4
	v_lshlrev_b64_e32 v[2:3], v5, v[2:3]
	s_delay_alu instid0(VALU_DEP_1)
	v_dual_sub_nc_u32 v4, 29, v4 :: v_dual_bitop2_b32 v2, 7, v2 bitop3:0x40
; %bb.439:                              ;   in Loop: Header=BB368_10 Depth=1
	s_or_b32 exec_lo, exec_lo, s18
	s_delay_alu instid0(VALU_DEP_1) | instskip(NEXT) | instid1(VALU_DEP_2)
	v_dual_lshlrev_b32 v3, 16, v16 :: v_dual_lshlrev_b32 v2, 20, v2
	v_lshl_add_u32 v4, v4, 23, 0x3c000000
	s_delay_alu instid0(VALU_DEP_2) | instskip(NEXT) | instid1(VALU_DEP_1)
	v_and_b32_e32 v3, 0x80000000, v3
	v_or3_b32 v5, v2, v3, v4
.LBB368_440:                            ;   in Loop: Header=BB368_10 Depth=1
	s_or_b32 exec_lo, exec_lo, s17
.LBB368_441:                            ;   in Loop: Header=BB368_10 Depth=1
	s_delay_alu instid0(SALU_CYCLE_1)
	s_or_b32 exec_lo, exec_lo, s16
.LBB368_442:                            ;   in Loop: Header=BB368_10 Depth=1
	s_delay_alu instid0(SALU_CYCLE_1) | instskip(SKIP_2) | instid1(VALU_DEP_1)
	s_or_b32 exec_lo, exec_lo, s15
	v_lshrrev_b32_e32 v4, 16, v1
	s_mov_b32 s15, exec_lo
	v_and_b32_e32 v2, 0xff, v4
	s_delay_alu instid0(VALU_DEP_1)
	v_cmpx_ne_u16_e32 0, v2
	s_cbranch_execz .LBB368_450
; %bb.443:                              ;   in Loop: Header=BB368_10 Depth=1
	v_cmp_ne_u16_e64 s1, 0x80, v2
	v_bfrev_b32_e32 v2, 1
	scratch_store_b32 off, v2, s32 offset:248 ; 4-byte Folded Spill
	s_wait_xcnt 0x0
	s_and_saveexec_b32 s16, s1
	s_cbranch_execz .LBB368_449
; %bb.444:                              ;   in Loop: Header=BB368_10 Depth=1
	v_bfe_u32 v2, v1, 16, 7
	v_mov_b32_e32 v3, 0x7f800001
	s_mov_b32 s17, exec_lo
	scratch_store_b32 off, v3, s32 offset:248 ; 4-byte Folded Spill
	s_wait_xcnt 0x0
	v_cmpx_ne_u32_e32 0x7f, v2
	s_cbranch_execz .LBB368_448
; %bb.445:                              ;   in Loop: Header=BB368_10 Depth=1
	v_dual_lshrrev_b32 v6, 3, v2 :: v_dual_bitop2_b32 v16, 7, v4 bitop3:0x40
	v_cmp_gt_u32_e64 s1, 8, v2
	s_delay_alu instid0(VALU_DEP_2)
	v_mov_b64_e32 v[2:3], v[16:17]
	s_and_saveexec_b32 s18, s1
; %bb.446:                              ;   in Loop: Header=BB368_10 Depth=1
	v_clz_i32_u32_e32 v2, v16
	s_delay_alu instid0(VALU_DEP_1) | instskip(NEXT) | instid1(VALU_DEP_1)
	v_min_u32_e32 v6, 32, v2
	v_subrev_nc_u32_e32 v2, 28, v6
	v_sub_nc_u32_e32 v6, 29, v6
	s_delay_alu instid0(VALU_DEP_2) | instskip(NEXT) | instid1(VALU_DEP_1)
	v_lshlrev_b64_e32 v[2:3], v2, v[16:17]
	v_and_b32_e32 v2, 7, v2
; %bb.447:                              ;   in Loop: Header=BB368_10 Depth=1
	s_or_b32 exec_lo, exec_lo, s18
	s_delay_alu instid0(VALU_DEP_1) | instskip(SKIP_1) | instid1(VALU_DEP_2)
	v_dual_lshlrev_b32 v3, 24, v4 :: v_dual_lshlrev_b32 v2, 20, v2
	v_lshl_add_u32 v4, v6, 23, 0x3c000000
	v_and_b32_e32 v3, 0x80000000, v3
	s_delay_alu instid0(VALU_DEP_1)
	v_or3_b32 v2, v2, v3, v4
	scratch_store_b32 off, v2, s32 offset:248 ; 4-byte Folded Spill
.LBB368_448:                            ;   in Loop: Header=BB368_10 Depth=1
	s_wait_xcnt 0x0
	s_or_b32 exec_lo, exec_lo, s17
.LBB368_449:                            ;   in Loop: Header=BB368_10 Depth=1
	s_delay_alu instid0(SALU_CYCLE_1)
	s_or_b32 exec_lo, exec_lo, s16
.LBB368_450:                            ;   in Loop: Header=BB368_10 Depth=1
	s_delay_alu instid0(SALU_CYCLE_1)
	s_or_b32 exec_lo, exec_lo, s15
	v_dual_mov_b32 v40, 0 :: v_dual_mov_b32 v14, 0
	s_mov_b32 s15, exec_lo
	v_cmpx_lt_u64_e64 s[2:3], v[0:1]
	s_cbranch_execz .LBB368_458
; %bb.451:                              ;   in Loop: Header=BB368_10 Depth=1
	v_lshrrev_b32_e32 v2, 24, v1
	v_bfrev_b32_e32 v14, 1
	s_mov_b32 s16, exec_lo
	s_delay_alu instid0(VALU_DEP_2)
	v_cmpx_ne_u32_e32 0x80, v2
	s_cbranch_execz .LBB368_457
; %bb.452:                              ;   in Loop: Header=BB368_10 Depth=1
	v_bfe_u32 v0, v1, 24, 7
	v_mov_b32_e32 v14, 0x7f800001
	s_mov_b32 s17, exec_lo
	s_delay_alu instid0(VALU_DEP_2)
	v_cmpx_ne_u32_e32 0x7f, v0
	s_cbranch_execz .LBB368_456
; %bb.453:                              ;   in Loop: Header=BB368_10 Depth=1
	v_dual_lshrrev_b32 v3, 3, v0 :: v_dual_bitop2_b32 v16, 7, v2 bitop3:0x40
	v_cmp_gt_u32_e64 s1, 8, v0
	s_delay_alu instid0(VALU_DEP_2)
	v_mov_b64_e32 v[0:1], v[16:17]
	s_and_saveexec_b32 s18, s1
; %bb.454:                              ;   in Loop: Header=BB368_10 Depth=1
	v_clz_i32_u32_e32 v0, v16
	s_delay_alu instid0(VALU_DEP_1) | instskip(NEXT) | instid1(VALU_DEP_1)
	v_min_u32_e32 v3, 32, v0
	v_subrev_nc_u32_e32 v0, 28, v3
	s_delay_alu instid0(VALU_DEP_1) | instskip(NEXT) | instid1(VALU_DEP_1)
	v_lshlrev_b64_e32 v[0:1], v0, v[16:17]
	v_dual_sub_nc_u32 v3, 29, v3 :: v_dual_bitop2_b32 v0, 7, v0 bitop3:0x40
; %bb.455:                              ;   in Loop: Header=BB368_10 Depth=1
	s_or_b32 exec_lo, exec_lo, s18
	s_delay_alu instid0(VALU_DEP_1) | instskip(NEXT) | instid1(VALU_DEP_2)
	v_dual_lshlrev_b32 v1, 24, v2 :: v_dual_lshlrev_b32 v0, 20, v0
	v_lshl_add_u32 v2, v3, 23, 0x3c000000
	s_delay_alu instid0(VALU_DEP_2) | instskip(NEXT) | instid1(VALU_DEP_1)
	v_and_b32_e32 v1, 0x80000000, v1
	v_or3_b32 v14, v0, v1, v2
.LBB368_456:                            ;   in Loop: Header=BB368_10 Depth=1
	s_or_b32 exec_lo, exec_lo, s17
.LBB368_457:                            ;   in Loop: Header=BB368_10 Depth=1
	s_delay_alu instid0(SALU_CYCLE_1)
	s_or_b32 exec_lo, exec_lo, s16
.LBB368_458:                            ;   in Loop: Header=BB368_10 Depth=1
	s_delay_alu instid0(SALU_CYCLE_1)
	s_or_b32 exec_lo, exec_lo, s15
	flat_load_b64 v[0:1], v[70:71] offset:1544
	s_mov_b32 s15, exec_lo
	s_wait_loadcnt_dscnt 0x0
	v_and_b32_e32 v2, 0xff, v0
	s_wait_xcnt 0x0
	s_delay_alu instid0(VALU_DEP_1)
	v_cmpx_ne_u16_e32 0, v2
	s_cbranch_execz .LBB368_466
; %bb.459:                              ;   in Loop: Header=BB368_10 Depth=1
	v_bfrev_b32_e32 v40, 1
	s_mov_b32 s16, exec_lo
	v_cmpx_ne_u16_e32 0x80, v2
	s_cbranch_execz .LBB368_465
; %bb.460:                              ;   in Loop: Header=BB368_10 Depth=1
	v_and_b32_e32 v2, 0x7f, v0
	v_mov_b32_e32 v40, 0x7f800001
	s_mov_b32 s17, exec_lo
	s_delay_alu instid0(VALU_DEP_2)
	v_cmpx_ne_u32_e32 0x7f, v2
	s_cbranch_execz .LBB368_464
; %bb.461:                              ;   in Loop: Header=BB368_10 Depth=1
	v_lshrrev_b32_e32 v4, 3, v2
	v_cmp_gt_u32_e64 s1, 8, v2
	v_mov_b64_e32 v[2:3], v[0:1]
	s_and_saveexec_b32 s18, s1
; %bb.462:                              ;   in Loop: Header=BB368_10 Depth=1
	v_and_b32_e32 v2, 7, v0
	s_delay_alu instid0(VALU_DEP_1) | instskip(NEXT) | instid1(VALU_DEP_1)
	v_clz_i32_u32_e32 v2, v2
	v_min_u32_e32 v4, 32, v2
	s_delay_alu instid0(VALU_DEP_1) | instskip(SKIP_1) | instid1(VALU_DEP_2)
	v_subrev_nc_u32_e32 v2, 28, v4
	v_sub_nc_u32_e32 v4, 29, v4
	v_lshlrev_b64_e32 v[2:3], v2, v[0:1]
; %bb.463:                              ;   in Loop: Header=BB368_10 Depth=1
	s_or_b32 exec_lo, exec_lo, s18
	s_delay_alu instid0(VALU_DEP_1) | instskip(NEXT) | instid1(VALU_DEP_3)
	v_dual_lshlrev_b32 v2, 20, v2 :: v_dual_lshlrev_b32 v3, 24, v0
	v_lshl_add_u32 v4, v4, 23, 0x3c000000
	s_delay_alu instid0(VALU_DEP_2) | instskip(NEXT) | instid1(VALU_DEP_3)
	v_and_b32_e32 v2, 0x700000, v2
	v_and_b32_e32 v3, 0x80000000, v3
	s_delay_alu instid0(VALU_DEP_1)
	v_or3_b32 v40, v2, v3, v4
.LBB368_464:                            ;   in Loop: Header=BB368_10 Depth=1
	s_or_b32 exec_lo, exec_lo, s17
.LBB368_465:                            ;   in Loop: Header=BB368_10 Depth=1
	s_delay_alu instid0(SALU_CYCLE_1)
	s_or_b32 exec_lo, exec_lo, s16
.LBB368_466:                            ;   in Loop: Header=BB368_10 Depth=1
	s_delay_alu instid0(SALU_CYCLE_1) | instskip(SKIP_3) | instid1(VALU_DEP_2)
	s_or_b32 exec_lo, exec_lo, s15
	v_lshrrev_b16 v2, 8, v0
	v_dual_mov_b32 v28, 0 :: v_dual_mov_b32 v41, 0
	s_mov_b32 s15, exec_lo
	v_cmpx_ne_u16_e32 0, v2
	s_cbranch_execz .LBB368_474
; %bb.467:                              ;   in Loop: Header=BB368_10 Depth=1
	v_bfrev_b32_e32 v41, 1
	s_mov_b32 s16, exec_lo
	v_cmpx_ne_u16_e32 0x80, v2
	s_cbranch_execz .LBB368_473
; %bb.468:                              ;   in Loop: Header=BB368_10 Depth=1
	v_and_b32_e32 v3, 0xffff, v2
	v_mov_b32_e32 v41, 0x7f800001
	s_mov_b32 s17, exec_lo
	s_delay_alu instid0(VALU_DEP_2) | instskip(NEXT) | instid1(VALU_DEP_1)
	v_and_b32_e32 v2, 0x7f, v3
	v_cmpx_ne_u32_e32 0x7f, v2
	s_cbranch_execz .LBB368_472
; %bb.469:                              ;   in Loop: Header=BB368_10 Depth=1
	v_dual_lshrrev_b32 v4, 3, v2 :: v_dual_bitop2_b32 v16, 7, v3 bitop3:0x40
	v_cmp_gt_u32_e64 s1, 8, v2
	s_delay_alu instid0(VALU_DEP_2)
	v_mov_b64_e32 v[2:3], v[16:17]
	s_and_saveexec_b32 s18, s1
; %bb.470:                              ;   in Loop: Header=BB368_10 Depth=1
	v_clz_i32_u32_e32 v2, v16
	s_delay_alu instid0(VALU_DEP_1) | instskip(NEXT) | instid1(VALU_DEP_1)
	v_min_u32_e32 v4, 32, v2
	v_subrev_nc_u32_e32 v2, 28, v4
	s_delay_alu instid0(VALU_DEP_1) | instskip(NEXT) | instid1(VALU_DEP_1)
	v_lshlrev_b64_e32 v[2:3], v2, v[16:17]
	v_dual_sub_nc_u32 v4, 29, v4 :: v_dual_bitop2_b32 v2, 7, v2 bitop3:0x40
; %bb.471:                              ;   in Loop: Header=BB368_10 Depth=1
	s_or_b32 exec_lo, exec_lo, s18
	s_delay_alu instid0(VALU_DEP_1) | instskip(NEXT) | instid1(VALU_DEP_2)
	v_dual_lshlrev_b32 v3, 16, v0 :: v_dual_lshlrev_b32 v2, 20, v2
	v_lshl_add_u32 v4, v4, 23, 0x3c000000
	s_delay_alu instid0(VALU_DEP_2) | instskip(NEXT) | instid1(VALU_DEP_1)
	v_and_b32_e32 v3, 0x80000000, v3
	v_or3_b32 v41, v2, v3, v4
.LBB368_472:                            ;   in Loop: Header=BB368_10 Depth=1
	s_or_b32 exec_lo, exec_lo, s17
.LBB368_473:                            ;   in Loop: Header=BB368_10 Depth=1
	s_delay_alu instid0(SALU_CYCLE_1)
	s_or_b32 exec_lo, exec_lo, s16
.LBB368_474:                            ;   in Loop: Header=BB368_10 Depth=1
	s_delay_alu instid0(SALU_CYCLE_1) | instskip(SKIP_2) | instid1(VALU_DEP_1)
	s_or_b32 exec_lo, exec_lo, s15
	v_lshrrev_b32_e32 v4, 16, v0
	s_mov_b32 s15, exec_lo
	v_and_b32_e32 v2, 0xff, v4
	s_delay_alu instid0(VALU_DEP_1)
	v_cmpx_ne_u16_e32 0, v2
	s_cbranch_execz .LBB368_482
; %bb.475:                              ;   in Loop: Header=BB368_10 Depth=1
	v_bfrev_b32_e32 v28, 1
	s_mov_b32 s16, exec_lo
	v_cmpx_ne_u16_e32 0x80, v2
	s_cbranch_execz .LBB368_481
; %bb.476:                              ;   in Loop: Header=BB368_10 Depth=1
	v_bfe_u32 v2, v0, 16, 7
	v_mov_b32_e32 v28, 0x7f800001
	s_mov_b32 s17, exec_lo
	s_delay_alu instid0(VALU_DEP_2)
	v_cmpx_ne_u32_e32 0x7f, v2
	s_cbranch_execz .LBB368_480
; %bb.477:                              ;   in Loop: Header=BB368_10 Depth=1
	v_dual_lshrrev_b32 v6, 3, v2 :: v_dual_bitop2_b32 v16, 7, v4 bitop3:0x40
	v_cmp_gt_u32_e64 s1, 8, v2
	s_delay_alu instid0(VALU_DEP_2)
	v_mov_b64_e32 v[2:3], v[16:17]
	s_and_saveexec_b32 s18, s1
; %bb.478:                              ;   in Loop: Header=BB368_10 Depth=1
	v_clz_i32_u32_e32 v2, v16
	s_delay_alu instid0(VALU_DEP_1) | instskip(NEXT) | instid1(VALU_DEP_1)
	v_min_u32_e32 v6, 32, v2
	v_subrev_nc_u32_e32 v2, 28, v6
	v_sub_nc_u32_e32 v6, 29, v6
	s_delay_alu instid0(VALU_DEP_2) | instskip(NEXT) | instid1(VALU_DEP_1)
	v_lshlrev_b64_e32 v[2:3], v2, v[16:17]
	v_and_b32_e32 v2, 7, v2
; %bb.479:                              ;   in Loop: Header=BB368_10 Depth=1
	s_or_b32 exec_lo, exec_lo, s18
	s_delay_alu instid0(VALU_DEP_1) | instskip(SKIP_1) | instid1(VALU_DEP_2)
	v_dual_lshlrev_b32 v3, 24, v4 :: v_dual_lshlrev_b32 v2, 20, v2
	v_lshl_add_u32 v4, v6, 23, 0x3c000000
	v_and_b32_e32 v3, 0x80000000, v3
	s_delay_alu instid0(VALU_DEP_1)
	v_or3_b32 v28, v2, v3, v4
.LBB368_480:                            ;   in Loop: Header=BB368_10 Depth=1
	s_or_b32 exec_lo, exec_lo, s17
.LBB368_481:                            ;   in Loop: Header=BB368_10 Depth=1
	s_delay_alu instid0(SALU_CYCLE_1)
	s_or_b32 exec_lo, exec_lo, s16
.LBB368_482:                            ;   in Loop: Header=BB368_10 Depth=1
	s_delay_alu instid0(SALU_CYCLE_1)
	s_or_b32 exec_lo, exec_lo, s15
	v_dual_mov_b32 v42, 0 :: v_dual_mov_b32 v29, 0
	s_mov_b32 s15, exec_lo
	v_cmpx_lt_u32_e32 0xffffff, v0
	s_cbranch_execz .LBB368_490
; %bb.483:                              ;   in Loop: Header=BB368_10 Depth=1
	v_lshrrev_b32_e32 v4, 24, v0
	v_bfrev_b32_e32 v29, 1
	s_mov_b32 s16, exec_lo
	s_delay_alu instid0(VALU_DEP_2)
	v_cmpx_ne_u32_e32 0x80, v4
	s_cbranch_execz .LBB368_489
; %bb.484:                              ;   in Loop: Header=BB368_10 Depth=1
	v_bfe_u32 v2, v0, 24, 7
	v_mov_b32_e32 v29, 0x7f800001
	s_mov_b32 s17, exec_lo
	s_delay_alu instid0(VALU_DEP_2)
	v_cmpx_ne_u32_e32 0x7f, v2
	s_cbranch_execz .LBB368_488
; %bb.485:                              ;   in Loop: Header=BB368_10 Depth=1
	v_dual_lshrrev_b32 v6, 3, v2 :: v_dual_bitop2_b32 v16, 7, v4 bitop3:0x40
	v_cmp_gt_u32_e64 s1, 8, v2
	s_delay_alu instid0(VALU_DEP_2)
	v_mov_b64_e32 v[2:3], v[16:17]
	s_and_saveexec_b32 s18, s1
; %bb.486:                              ;   in Loop: Header=BB368_10 Depth=1
	v_clz_i32_u32_e32 v2, v16
	s_delay_alu instid0(VALU_DEP_1) | instskip(NEXT) | instid1(VALU_DEP_1)
	v_min_u32_e32 v6, 32, v2
	v_subrev_nc_u32_e32 v2, 28, v6
	v_sub_nc_u32_e32 v6, 29, v6
	s_delay_alu instid0(VALU_DEP_2) | instskip(NEXT) | instid1(VALU_DEP_1)
	v_lshlrev_b64_e32 v[2:3], v2, v[16:17]
	v_and_b32_e32 v2, 7, v2
; %bb.487:                              ;   in Loop: Header=BB368_10 Depth=1
	s_or_b32 exec_lo, exec_lo, s18
	s_delay_alu instid0(VALU_DEP_1) | instskip(SKIP_1) | instid1(VALU_DEP_2)
	v_dual_lshlrev_b32 v3, 24, v4 :: v_dual_lshlrev_b32 v2, 20, v2
	v_lshl_add_u32 v4, v6, 23, 0x3c000000
	v_and_b32_e32 v3, 0x80000000, v3
	s_delay_alu instid0(VALU_DEP_1)
	v_or3_b32 v29, v2, v3, v4
.LBB368_488:                            ;   in Loop: Header=BB368_10 Depth=1
	s_or_b32 exec_lo, exec_lo, s17
.LBB368_489:                            ;   in Loop: Header=BB368_10 Depth=1
	s_delay_alu instid0(SALU_CYCLE_1)
	s_or_b32 exec_lo, exec_lo, s16
.LBB368_490:                            ;   in Loop: Header=BB368_10 Depth=1
	s_delay_alu instid0(SALU_CYCLE_1) | instskip(SKIP_3) | instid1(VALU_DEP_2)
	s_or_b32 exec_lo, exec_lo, s15
	v_and_b32_e32 v2, 0xff, v1
	v_mov_b32_e32 v16, v1
	s_mov_b32 s15, exec_lo
	v_cmpx_ne_u16_e32 0, v2
	s_cbranch_execz .LBB368_498
; %bb.491:                              ;   in Loop: Header=BB368_10 Depth=1
	v_bfrev_b32_e32 v42, 1
	s_mov_b32 s16, exec_lo
	v_cmpx_ne_u16_e32 0x80, v2
	s_cbranch_execz .LBB368_497
; %bb.492:                              ;   in Loop: Header=BB368_10 Depth=1
	v_and_b32_e32 v2, 0x7f, v1
	v_mov_b32_e32 v42, 0x7f800001
	s_mov_b32 s17, exec_lo
	s_delay_alu instid0(VALU_DEP_2)
	v_cmpx_ne_u32_e32 0x7f, v2
	s_cbranch_execz .LBB368_496
; %bb.493:                              ;   in Loop: Header=BB368_10 Depth=1
	v_lshrrev_b32_e32 v4, 3, v2
	v_cmp_gt_u32_e64 s1, 8, v2
	v_mov_b64_e32 v[2:3], v[16:17]
	s_and_saveexec_b32 s18, s1
; %bb.494:                              ;   in Loop: Header=BB368_10 Depth=1
	v_and_b32_e32 v2, 7, v1
	s_delay_alu instid0(VALU_DEP_1) | instskip(NEXT) | instid1(VALU_DEP_1)
	v_clz_i32_u32_e32 v2, v2
	v_min_u32_e32 v4, 32, v2
	s_delay_alu instid0(VALU_DEP_1) | instskip(SKIP_1) | instid1(VALU_DEP_2)
	v_subrev_nc_u32_e32 v2, 28, v4
	v_sub_nc_u32_e32 v4, 29, v4
	v_lshlrev_b64_e32 v[2:3], v2, v[16:17]
; %bb.495:                              ;   in Loop: Header=BB368_10 Depth=1
	s_or_b32 exec_lo, exec_lo, s18
	s_delay_alu instid0(VALU_DEP_1) | instskip(NEXT) | instid1(VALU_DEP_3)
	v_dual_lshlrev_b32 v2, 20, v2 :: v_dual_lshlrev_b32 v3, 24, v16
	v_lshl_add_u32 v4, v4, 23, 0x3c000000
	s_delay_alu instid0(VALU_DEP_2) | instskip(NEXT) | instid1(VALU_DEP_3)
	v_and_b32_e32 v2, 0x700000, v2
	v_and_b32_e32 v3, 0x80000000, v3
	s_delay_alu instid0(VALU_DEP_1)
	v_or3_b32 v42, v2, v3, v4
.LBB368_496:                            ;   in Loop: Header=BB368_10 Depth=1
	s_or_b32 exec_lo, exec_lo, s17
.LBB368_497:                            ;   in Loop: Header=BB368_10 Depth=1
	s_delay_alu instid0(SALU_CYCLE_1)
	s_or_b32 exec_lo, exec_lo, s16
.LBB368_498:                            ;   in Loop: Header=BB368_10 Depth=1
	s_delay_alu instid0(SALU_CYCLE_1) | instskip(SKIP_3) | instid1(VALU_DEP_2)
	s_or_b32 exec_lo, exec_lo, s15
	v_lshrrev_b16 v2, 8, v16
	v_dual_mov_b32 v30, 0 :: v_dual_mov_b32 v43, 0
	s_mov_b32 s15, exec_lo
	v_cmpx_ne_u16_e32 0, v2
	s_cbranch_execz .LBB368_506
; %bb.499:                              ;   in Loop: Header=BB368_10 Depth=1
	v_bfrev_b32_e32 v43, 1
	s_mov_b32 s16, exec_lo
	v_cmpx_ne_u16_e32 0x80, v2
	s_cbranch_execz .LBB368_505
; %bb.500:                              ;   in Loop: Header=BB368_10 Depth=1
	v_and_b32_e32 v2, 0xffff, v2
	v_mov_b32_e32 v43, 0x7f800001
	s_mov_b32 s17, exec_lo
	s_delay_alu instid0(VALU_DEP_2) | instskip(NEXT) | instid1(VALU_DEP_1)
	v_and_b32_e32 v6, 0x7f, v2
	v_cmpx_ne_u32_e32 0x7f, v6
	s_cbranch_execz .LBB368_504
; %bb.501:                              ;   in Loop: Header=BB368_10 Depth=1
	v_dual_mov_b32 v3, v17 :: v_dual_bitop2_b32 v2, 7, v2 bitop3:0x40
	v_lshrrev_b32_e32 v4, 3, v6
	s_mov_b32 s18, exec_lo
	v_cmpx_gt_u32_e32 8, v6
; %bb.502:                              ;   in Loop: Header=BB368_10 Depth=1
	s_delay_alu instid0(VALU_DEP_3) | instskip(NEXT) | instid1(VALU_DEP_1)
	v_clz_i32_u32_e32 v4, v2
	v_min_u32_e32 v4, 32, v4
	s_delay_alu instid0(VALU_DEP_1) | instskip(NEXT) | instid1(VALU_DEP_1)
	v_subrev_nc_u32_e32 v6, 28, v4
	v_lshlrev_b64_e32 v[2:3], v6, v[2:3]
	s_delay_alu instid0(VALU_DEP_1)
	v_dual_sub_nc_u32 v4, 29, v4 :: v_dual_bitop2_b32 v2, 7, v2 bitop3:0x40
; %bb.503:                              ;   in Loop: Header=BB368_10 Depth=1
	s_or_b32 exec_lo, exec_lo, s18
	s_delay_alu instid0(VALU_DEP_1) | instskip(NEXT) | instid1(VALU_DEP_2)
	v_dual_lshlrev_b32 v3, 16, v16 :: v_dual_lshlrev_b32 v2, 20, v2
	v_lshl_add_u32 v4, v4, 23, 0x3c000000
	s_delay_alu instid0(VALU_DEP_2) | instskip(NEXT) | instid1(VALU_DEP_1)
	v_and_b32_e32 v3, 0x80000000, v3
	v_or3_b32 v43, v2, v3, v4
.LBB368_504:                            ;   in Loop: Header=BB368_10 Depth=1
	s_or_b32 exec_lo, exec_lo, s17
.LBB368_505:                            ;   in Loop: Header=BB368_10 Depth=1
	s_delay_alu instid0(SALU_CYCLE_1)
	s_or_b32 exec_lo, exec_lo, s16
.LBB368_506:                            ;   in Loop: Header=BB368_10 Depth=1
	s_delay_alu instid0(SALU_CYCLE_1) | instskip(SKIP_2) | instid1(VALU_DEP_1)
	s_or_b32 exec_lo, exec_lo, s15
	v_lshrrev_b32_e32 v4, 16, v1
	s_mov_b32 s15, exec_lo
	v_and_b32_e32 v2, 0xff, v4
	s_delay_alu instid0(VALU_DEP_1)
	v_cmpx_ne_u16_e32 0, v2
	s_cbranch_execz .LBB368_514
; %bb.507:                              ;   in Loop: Header=BB368_10 Depth=1
	v_bfrev_b32_e32 v30, 1
	s_mov_b32 s16, exec_lo
	v_cmpx_ne_u16_e32 0x80, v2
	s_cbranch_execz .LBB368_513
; %bb.508:                              ;   in Loop: Header=BB368_10 Depth=1
	v_bfe_u32 v2, v1, 16, 7
	v_mov_b32_e32 v30, 0x7f800001
	s_mov_b32 s17, exec_lo
	s_delay_alu instid0(VALU_DEP_2)
	v_cmpx_ne_u32_e32 0x7f, v2
	s_cbranch_execz .LBB368_512
; %bb.509:                              ;   in Loop: Header=BB368_10 Depth=1
	v_dual_lshrrev_b32 v6, 3, v2 :: v_dual_bitop2_b32 v16, 7, v4 bitop3:0x40
	v_cmp_gt_u32_e64 s1, 8, v2
	s_delay_alu instid0(VALU_DEP_2)
	v_mov_b64_e32 v[2:3], v[16:17]
	s_and_saveexec_b32 s18, s1
; %bb.510:                              ;   in Loop: Header=BB368_10 Depth=1
	v_clz_i32_u32_e32 v2, v16
	s_delay_alu instid0(VALU_DEP_1) | instskip(NEXT) | instid1(VALU_DEP_1)
	v_min_u32_e32 v6, 32, v2
	v_subrev_nc_u32_e32 v2, 28, v6
	v_sub_nc_u32_e32 v6, 29, v6
	s_delay_alu instid0(VALU_DEP_2) | instskip(NEXT) | instid1(VALU_DEP_1)
	v_lshlrev_b64_e32 v[2:3], v2, v[16:17]
	v_and_b32_e32 v2, 7, v2
; %bb.511:                              ;   in Loop: Header=BB368_10 Depth=1
	s_or_b32 exec_lo, exec_lo, s18
	s_delay_alu instid0(VALU_DEP_1) | instskip(SKIP_1) | instid1(VALU_DEP_2)
	v_dual_lshlrev_b32 v3, 24, v4 :: v_dual_lshlrev_b32 v2, 20, v2
	v_lshl_add_u32 v4, v6, 23, 0x3c000000
	v_and_b32_e32 v3, 0x80000000, v3
	s_delay_alu instid0(VALU_DEP_1)
	v_or3_b32 v30, v2, v3, v4
.LBB368_512:                            ;   in Loop: Header=BB368_10 Depth=1
	s_or_b32 exec_lo, exec_lo, s17
.LBB368_513:                            ;   in Loop: Header=BB368_10 Depth=1
	s_delay_alu instid0(SALU_CYCLE_1)
	s_or_b32 exec_lo, exec_lo, s16
.LBB368_514:                            ;   in Loop: Header=BB368_10 Depth=1
	s_delay_alu instid0(SALU_CYCLE_1)
	s_or_b32 exec_lo, exec_lo, s15
	v_dual_mov_b32 v44, 0 :: v_dual_mov_b32 v31, 0
	s_mov_b32 s15, exec_lo
	v_cmpx_lt_u64_e64 s[2:3], v[0:1]
	s_cbranch_execz .LBB368_522
; %bb.515:                              ;   in Loop: Header=BB368_10 Depth=1
	v_lshrrev_b32_e32 v2, 24, v1
	v_bfrev_b32_e32 v31, 1
	s_mov_b32 s16, exec_lo
	s_delay_alu instid0(VALU_DEP_2)
	v_cmpx_ne_u32_e32 0x80, v2
	s_cbranch_execz .LBB368_521
; %bb.516:                              ;   in Loop: Header=BB368_10 Depth=1
	v_bfe_u32 v0, v1, 24, 7
	v_mov_b32_e32 v31, 0x7f800001
	s_mov_b32 s17, exec_lo
	s_delay_alu instid0(VALU_DEP_2)
	v_cmpx_ne_u32_e32 0x7f, v0
	s_cbranch_execz .LBB368_520
; %bb.517:                              ;   in Loop: Header=BB368_10 Depth=1
	v_dual_lshrrev_b32 v3, 3, v0 :: v_dual_bitop2_b32 v16, 7, v2 bitop3:0x40
	v_cmp_gt_u32_e64 s1, 8, v0
	s_delay_alu instid0(VALU_DEP_2)
	v_mov_b64_e32 v[0:1], v[16:17]
	s_and_saveexec_b32 s18, s1
; %bb.518:                              ;   in Loop: Header=BB368_10 Depth=1
	v_clz_i32_u32_e32 v0, v16
	s_delay_alu instid0(VALU_DEP_1) | instskip(NEXT) | instid1(VALU_DEP_1)
	v_min_u32_e32 v3, 32, v0
	v_subrev_nc_u32_e32 v0, 28, v3
	s_delay_alu instid0(VALU_DEP_1) | instskip(NEXT) | instid1(VALU_DEP_1)
	v_lshlrev_b64_e32 v[0:1], v0, v[16:17]
	v_dual_sub_nc_u32 v3, 29, v3 :: v_dual_bitop2_b32 v0, 7, v0 bitop3:0x40
; %bb.519:                              ;   in Loop: Header=BB368_10 Depth=1
	s_or_b32 exec_lo, exec_lo, s18
	s_delay_alu instid0(VALU_DEP_1) | instskip(NEXT) | instid1(VALU_DEP_2)
	v_dual_lshlrev_b32 v1, 24, v2 :: v_dual_lshlrev_b32 v0, 20, v0
	v_lshl_add_u32 v2, v3, 23, 0x3c000000
	s_delay_alu instid0(VALU_DEP_2) | instskip(NEXT) | instid1(VALU_DEP_1)
	v_and_b32_e32 v1, 0x80000000, v1
	v_or3_b32 v31, v0, v1, v2
.LBB368_520:                            ;   in Loop: Header=BB368_10 Depth=1
	s_or_b32 exec_lo, exec_lo, s17
.LBB368_521:                            ;   in Loop: Header=BB368_10 Depth=1
	s_delay_alu instid0(SALU_CYCLE_1)
	s_or_b32 exec_lo, exec_lo, s16
.LBB368_522:                            ;   in Loop: Header=BB368_10 Depth=1
	s_delay_alu instid0(SALU_CYCLE_1)
	s_or_b32 exec_lo, exec_lo, s15
	flat_load_b64 v[0:1], v[70:71] offset:2048
	s_mov_b32 s15, exec_lo
	s_wait_loadcnt_dscnt 0x0
	v_and_b32_e32 v2, 0xff, v0
	s_wait_xcnt 0x0
	s_delay_alu instid0(VALU_DEP_1)
	v_cmpx_ne_u16_e32 0, v2
	s_cbranch_execz .LBB368_530
; %bb.523:                              ;   in Loop: Header=BB368_10 Depth=1
	v_bfrev_b32_e32 v44, 1
	s_mov_b32 s16, exec_lo
	v_cmpx_ne_u16_e32 0x80, v2
	s_cbranch_execz .LBB368_529
; %bb.524:                              ;   in Loop: Header=BB368_10 Depth=1
	v_and_b32_e32 v2, 0x7f, v0
	v_mov_b32_e32 v44, 0x7f800001
	s_mov_b32 s17, exec_lo
	s_delay_alu instid0(VALU_DEP_2)
	v_cmpx_ne_u32_e32 0x7f, v2
	s_cbranch_execz .LBB368_528
; %bb.525:                              ;   in Loop: Header=BB368_10 Depth=1
	v_lshrrev_b32_e32 v4, 3, v2
	v_cmp_gt_u32_e64 s1, 8, v2
	v_mov_b64_e32 v[2:3], v[0:1]
	s_and_saveexec_b32 s18, s1
; %bb.526:                              ;   in Loop: Header=BB368_10 Depth=1
	v_and_b32_e32 v2, 7, v0
	s_delay_alu instid0(VALU_DEP_1) | instskip(NEXT) | instid1(VALU_DEP_1)
	v_clz_i32_u32_e32 v2, v2
	v_min_u32_e32 v4, 32, v2
	s_delay_alu instid0(VALU_DEP_1) | instskip(SKIP_1) | instid1(VALU_DEP_2)
	v_subrev_nc_u32_e32 v2, 28, v4
	v_sub_nc_u32_e32 v4, 29, v4
	v_lshlrev_b64_e32 v[2:3], v2, v[0:1]
; %bb.527:                              ;   in Loop: Header=BB368_10 Depth=1
	s_or_b32 exec_lo, exec_lo, s18
	s_delay_alu instid0(VALU_DEP_1) | instskip(NEXT) | instid1(VALU_DEP_3)
	v_dual_lshlrev_b32 v2, 20, v2 :: v_dual_lshlrev_b32 v3, 24, v0
	v_lshl_add_u32 v4, v4, 23, 0x3c000000
	s_delay_alu instid0(VALU_DEP_2) | instskip(NEXT) | instid1(VALU_DEP_3)
	v_and_b32_e32 v2, 0x700000, v2
	v_and_b32_e32 v3, 0x80000000, v3
	s_delay_alu instid0(VALU_DEP_1)
	v_or3_b32 v44, v2, v3, v4
.LBB368_528:                            ;   in Loop: Header=BB368_10 Depth=1
	s_or_b32 exec_lo, exec_lo, s17
.LBB368_529:                            ;   in Loop: Header=BB368_10 Depth=1
	s_delay_alu instid0(SALU_CYCLE_1)
	s_or_b32 exec_lo, exec_lo, s16
.LBB368_530:                            ;   in Loop: Header=BB368_10 Depth=1
	s_delay_alu instid0(SALU_CYCLE_1) | instskip(SKIP_3) | instid1(VALU_DEP_2)
	s_or_b32 exec_lo, exec_lo, s15
	v_lshrrev_b16 v2, 8, v0
	v_dual_mov_b32 v24, 0 :: v_dual_mov_b32 v45, 0
	s_mov_b32 s15, exec_lo
	v_cmpx_ne_u16_e32 0, v2
	s_cbranch_execz .LBB368_538
; %bb.531:                              ;   in Loop: Header=BB368_10 Depth=1
	v_bfrev_b32_e32 v45, 1
	s_mov_b32 s16, exec_lo
	v_cmpx_ne_u16_e32 0x80, v2
	s_cbranch_execz .LBB368_537
; %bb.532:                              ;   in Loop: Header=BB368_10 Depth=1
	v_and_b32_e32 v3, 0xffff, v2
	v_mov_b32_e32 v45, 0x7f800001
	s_mov_b32 s17, exec_lo
	s_delay_alu instid0(VALU_DEP_2) | instskip(NEXT) | instid1(VALU_DEP_1)
	v_and_b32_e32 v2, 0x7f, v3
	v_cmpx_ne_u32_e32 0x7f, v2
	s_cbranch_execz .LBB368_536
; %bb.533:                              ;   in Loop: Header=BB368_10 Depth=1
	v_dual_lshrrev_b32 v4, 3, v2 :: v_dual_bitop2_b32 v16, 7, v3 bitop3:0x40
	v_cmp_gt_u32_e64 s1, 8, v2
	s_delay_alu instid0(VALU_DEP_2)
	v_mov_b64_e32 v[2:3], v[16:17]
	s_and_saveexec_b32 s18, s1
; %bb.534:                              ;   in Loop: Header=BB368_10 Depth=1
	v_clz_i32_u32_e32 v2, v16
	s_delay_alu instid0(VALU_DEP_1) | instskip(NEXT) | instid1(VALU_DEP_1)
	v_min_u32_e32 v4, 32, v2
	v_subrev_nc_u32_e32 v2, 28, v4
	s_delay_alu instid0(VALU_DEP_1) | instskip(NEXT) | instid1(VALU_DEP_1)
	v_lshlrev_b64_e32 v[2:3], v2, v[16:17]
	v_dual_sub_nc_u32 v4, 29, v4 :: v_dual_bitop2_b32 v2, 7, v2 bitop3:0x40
; %bb.535:                              ;   in Loop: Header=BB368_10 Depth=1
	s_or_b32 exec_lo, exec_lo, s18
	s_delay_alu instid0(VALU_DEP_1) | instskip(NEXT) | instid1(VALU_DEP_2)
	v_dual_lshlrev_b32 v3, 16, v0 :: v_dual_lshlrev_b32 v2, 20, v2
	v_lshl_add_u32 v4, v4, 23, 0x3c000000
	s_delay_alu instid0(VALU_DEP_2) | instskip(NEXT) | instid1(VALU_DEP_1)
	v_and_b32_e32 v3, 0x80000000, v3
	v_or3_b32 v45, v2, v3, v4
.LBB368_536:                            ;   in Loop: Header=BB368_10 Depth=1
	s_or_b32 exec_lo, exec_lo, s17
.LBB368_537:                            ;   in Loop: Header=BB368_10 Depth=1
	s_delay_alu instid0(SALU_CYCLE_1)
	s_or_b32 exec_lo, exec_lo, s16
.LBB368_538:                            ;   in Loop: Header=BB368_10 Depth=1
	s_delay_alu instid0(SALU_CYCLE_1) | instskip(SKIP_2) | instid1(VALU_DEP_1)
	s_or_b32 exec_lo, exec_lo, s15
	v_lshrrev_b32_e32 v4, 16, v0
	s_mov_b32 s15, exec_lo
	v_and_b32_e32 v2, 0xff, v4
	s_delay_alu instid0(VALU_DEP_1)
	v_cmpx_ne_u16_e32 0, v2
	s_cbranch_execz .LBB368_546
; %bb.539:                              ;   in Loop: Header=BB368_10 Depth=1
	v_bfrev_b32_e32 v24, 1
	s_mov_b32 s16, exec_lo
	v_cmpx_ne_u16_e32 0x80, v2
	s_cbranch_execz .LBB368_545
; %bb.540:                              ;   in Loop: Header=BB368_10 Depth=1
	v_bfe_u32 v2, v0, 16, 7
	v_mov_b32_e32 v24, 0x7f800001
	s_mov_b32 s17, exec_lo
	s_delay_alu instid0(VALU_DEP_2)
	v_cmpx_ne_u32_e32 0x7f, v2
	s_cbranch_execz .LBB368_544
; %bb.541:                              ;   in Loop: Header=BB368_10 Depth=1
	v_dual_lshrrev_b32 v6, 3, v2 :: v_dual_bitop2_b32 v16, 7, v4 bitop3:0x40
	v_cmp_gt_u32_e64 s1, 8, v2
	s_delay_alu instid0(VALU_DEP_2)
	v_mov_b64_e32 v[2:3], v[16:17]
	s_and_saveexec_b32 s18, s1
; %bb.542:                              ;   in Loop: Header=BB368_10 Depth=1
	v_clz_i32_u32_e32 v2, v16
	s_delay_alu instid0(VALU_DEP_1) | instskip(NEXT) | instid1(VALU_DEP_1)
	v_min_u32_e32 v6, 32, v2
	v_subrev_nc_u32_e32 v2, 28, v6
	v_sub_nc_u32_e32 v6, 29, v6
	s_delay_alu instid0(VALU_DEP_2) | instskip(NEXT) | instid1(VALU_DEP_1)
	v_lshlrev_b64_e32 v[2:3], v2, v[16:17]
	v_and_b32_e32 v2, 7, v2
; %bb.543:                              ;   in Loop: Header=BB368_10 Depth=1
	s_or_b32 exec_lo, exec_lo, s18
	s_delay_alu instid0(VALU_DEP_1) | instskip(SKIP_1) | instid1(VALU_DEP_2)
	v_dual_lshlrev_b32 v3, 24, v4 :: v_dual_lshlrev_b32 v2, 20, v2
	v_lshl_add_u32 v4, v6, 23, 0x3c000000
	v_and_b32_e32 v3, 0x80000000, v3
	s_delay_alu instid0(VALU_DEP_1)
	v_or3_b32 v24, v2, v3, v4
.LBB368_544:                            ;   in Loop: Header=BB368_10 Depth=1
	s_or_b32 exec_lo, exec_lo, s17
.LBB368_545:                            ;   in Loop: Header=BB368_10 Depth=1
	s_delay_alu instid0(SALU_CYCLE_1)
	s_or_b32 exec_lo, exec_lo, s16
.LBB368_546:                            ;   in Loop: Header=BB368_10 Depth=1
	s_delay_alu instid0(SALU_CYCLE_1)
	s_or_b32 exec_lo, exec_lo, s15
	v_dual_mov_b32 v46, 0 :: v_dual_mov_b32 v25, 0
	s_mov_b32 s15, exec_lo
	v_cmpx_lt_u32_e32 0xffffff, v0
	s_cbranch_execz .LBB368_554
; %bb.547:                              ;   in Loop: Header=BB368_10 Depth=1
	v_lshrrev_b32_e32 v4, 24, v0
	v_bfrev_b32_e32 v25, 1
	s_mov_b32 s16, exec_lo
	s_delay_alu instid0(VALU_DEP_2)
	v_cmpx_ne_u32_e32 0x80, v4
	s_cbranch_execz .LBB368_553
; %bb.548:                              ;   in Loop: Header=BB368_10 Depth=1
	v_bfe_u32 v2, v0, 24, 7
	v_mov_b32_e32 v25, 0x7f800001
	s_mov_b32 s17, exec_lo
	s_delay_alu instid0(VALU_DEP_2)
	v_cmpx_ne_u32_e32 0x7f, v2
	s_cbranch_execz .LBB368_552
; %bb.549:                              ;   in Loop: Header=BB368_10 Depth=1
	v_dual_lshrrev_b32 v6, 3, v2 :: v_dual_bitop2_b32 v16, 7, v4 bitop3:0x40
	v_cmp_gt_u32_e64 s1, 8, v2
	s_delay_alu instid0(VALU_DEP_2)
	v_mov_b64_e32 v[2:3], v[16:17]
	s_and_saveexec_b32 s18, s1
; %bb.550:                              ;   in Loop: Header=BB368_10 Depth=1
	v_clz_i32_u32_e32 v2, v16
	s_delay_alu instid0(VALU_DEP_1) | instskip(NEXT) | instid1(VALU_DEP_1)
	v_min_u32_e32 v6, 32, v2
	v_subrev_nc_u32_e32 v2, 28, v6
	v_sub_nc_u32_e32 v6, 29, v6
	s_delay_alu instid0(VALU_DEP_2) | instskip(NEXT) | instid1(VALU_DEP_1)
	v_lshlrev_b64_e32 v[2:3], v2, v[16:17]
	v_and_b32_e32 v2, 7, v2
; %bb.551:                              ;   in Loop: Header=BB368_10 Depth=1
	s_or_b32 exec_lo, exec_lo, s18
	s_delay_alu instid0(VALU_DEP_1) | instskip(SKIP_1) | instid1(VALU_DEP_2)
	v_dual_lshlrev_b32 v3, 24, v4 :: v_dual_lshlrev_b32 v2, 20, v2
	v_lshl_add_u32 v4, v6, 23, 0x3c000000
	v_and_b32_e32 v3, 0x80000000, v3
	s_delay_alu instid0(VALU_DEP_1)
	v_or3_b32 v25, v2, v3, v4
.LBB368_552:                            ;   in Loop: Header=BB368_10 Depth=1
	s_or_b32 exec_lo, exec_lo, s17
.LBB368_553:                            ;   in Loop: Header=BB368_10 Depth=1
	s_delay_alu instid0(SALU_CYCLE_1)
	s_or_b32 exec_lo, exec_lo, s16
.LBB368_554:                            ;   in Loop: Header=BB368_10 Depth=1
	s_delay_alu instid0(SALU_CYCLE_1) | instskip(SKIP_3) | instid1(VALU_DEP_2)
	s_or_b32 exec_lo, exec_lo, s15
	v_and_b32_e32 v2, 0xff, v1
	v_mov_b32_e32 v16, v1
	s_mov_b32 s15, exec_lo
	v_cmpx_ne_u16_e32 0, v2
	s_cbranch_execz .LBB368_562
; %bb.555:                              ;   in Loop: Header=BB368_10 Depth=1
	v_bfrev_b32_e32 v46, 1
	s_mov_b32 s16, exec_lo
	v_cmpx_ne_u16_e32 0x80, v2
	s_cbranch_execz .LBB368_561
; %bb.556:                              ;   in Loop: Header=BB368_10 Depth=1
	v_and_b32_e32 v2, 0x7f, v1
	v_mov_b32_e32 v46, 0x7f800001
	s_mov_b32 s17, exec_lo
	s_delay_alu instid0(VALU_DEP_2)
	v_cmpx_ne_u32_e32 0x7f, v2
	s_cbranch_execz .LBB368_560
; %bb.557:                              ;   in Loop: Header=BB368_10 Depth=1
	v_lshrrev_b32_e32 v4, 3, v2
	v_cmp_gt_u32_e64 s1, 8, v2
	v_mov_b64_e32 v[2:3], v[16:17]
	s_and_saveexec_b32 s18, s1
; %bb.558:                              ;   in Loop: Header=BB368_10 Depth=1
	v_and_b32_e32 v2, 7, v1
	s_delay_alu instid0(VALU_DEP_1) | instskip(NEXT) | instid1(VALU_DEP_1)
	v_clz_i32_u32_e32 v2, v2
	v_min_u32_e32 v4, 32, v2
	s_delay_alu instid0(VALU_DEP_1) | instskip(SKIP_1) | instid1(VALU_DEP_2)
	v_subrev_nc_u32_e32 v2, 28, v4
	v_sub_nc_u32_e32 v4, 29, v4
	v_lshlrev_b64_e32 v[2:3], v2, v[16:17]
; %bb.559:                              ;   in Loop: Header=BB368_10 Depth=1
	s_or_b32 exec_lo, exec_lo, s18
	s_delay_alu instid0(VALU_DEP_1) | instskip(NEXT) | instid1(VALU_DEP_3)
	v_dual_lshlrev_b32 v2, 20, v2 :: v_dual_lshlrev_b32 v3, 24, v16
	v_lshl_add_u32 v4, v4, 23, 0x3c000000
	s_delay_alu instid0(VALU_DEP_2) | instskip(NEXT) | instid1(VALU_DEP_3)
	v_and_b32_e32 v2, 0x700000, v2
	v_and_b32_e32 v3, 0x80000000, v3
	s_delay_alu instid0(VALU_DEP_1)
	v_or3_b32 v46, v2, v3, v4
.LBB368_560:                            ;   in Loop: Header=BB368_10 Depth=1
	s_or_b32 exec_lo, exec_lo, s17
.LBB368_561:                            ;   in Loop: Header=BB368_10 Depth=1
	s_delay_alu instid0(SALU_CYCLE_1)
	s_or_b32 exec_lo, exec_lo, s16
.LBB368_562:                            ;   in Loop: Header=BB368_10 Depth=1
	s_delay_alu instid0(SALU_CYCLE_1) | instskip(SKIP_3) | instid1(VALU_DEP_2)
	s_or_b32 exec_lo, exec_lo, s15
	v_lshrrev_b16 v2, 8, v16
	v_dual_mov_b32 v48, 0 :: v_dual_mov_b32 v47, 0
	s_mov_b32 s15, exec_lo
	v_cmpx_ne_u16_e32 0, v2
	s_cbranch_execz .LBB368_570
; %bb.563:                              ;   in Loop: Header=BB368_10 Depth=1
	v_bfrev_b32_e32 v47, 1
	s_mov_b32 s16, exec_lo
	v_cmpx_ne_u16_e32 0x80, v2
	s_cbranch_execz .LBB368_569
; %bb.564:                              ;   in Loop: Header=BB368_10 Depth=1
	v_and_b32_e32 v2, 0xffff, v2
	v_mov_b32_e32 v47, 0x7f800001
	s_mov_b32 s17, exec_lo
	s_delay_alu instid0(VALU_DEP_2) | instskip(NEXT) | instid1(VALU_DEP_1)
	v_and_b32_e32 v6, 0x7f, v2
	v_cmpx_ne_u32_e32 0x7f, v6
	s_cbranch_execz .LBB368_568
; %bb.565:                              ;   in Loop: Header=BB368_10 Depth=1
	v_dual_mov_b32 v3, v17 :: v_dual_bitop2_b32 v2, 7, v2 bitop3:0x40
	v_lshrrev_b32_e32 v4, 3, v6
	s_mov_b32 s18, exec_lo
	v_cmpx_gt_u32_e32 8, v6
; %bb.566:                              ;   in Loop: Header=BB368_10 Depth=1
	s_delay_alu instid0(VALU_DEP_3) | instskip(NEXT) | instid1(VALU_DEP_1)
	v_clz_i32_u32_e32 v4, v2
	v_min_u32_e32 v4, 32, v4
	s_delay_alu instid0(VALU_DEP_1) | instskip(NEXT) | instid1(VALU_DEP_1)
	v_subrev_nc_u32_e32 v6, 28, v4
	v_lshlrev_b64_e32 v[2:3], v6, v[2:3]
	s_delay_alu instid0(VALU_DEP_1)
	v_dual_sub_nc_u32 v4, 29, v4 :: v_dual_bitop2_b32 v2, 7, v2 bitop3:0x40
; %bb.567:                              ;   in Loop: Header=BB368_10 Depth=1
	s_or_b32 exec_lo, exec_lo, s18
	s_delay_alu instid0(VALU_DEP_1) | instskip(NEXT) | instid1(VALU_DEP_2)
	v_dual_lshlrev_b32 v3, 16, v16 :: v_dual_lshlrev_b32 v2, 20, v2
	v_lshl_add_u32 v4, v4, 23, 0x3c000000
	s_delay_alu instid0(VALU_DEP_2) | instskip(NEXT) | instid1(VALU_DEP_1)
	v_and_b32_e32 v3, 0x80000000, v3
	v_or3_b32 v47, v2, v3, v4
.LBB368_568:                            ;   in Loop: Header=BB368_10 Depth=1
	s_or_b32 exec_lo, exec_lo, s17
.LBB368_569:                            ;   in Loop: Header=BB368_10 Depth=1
	s_delay_alu instid0(SALU_CYCLE_1)
	s_or_b32 exec_lo, exec_lo, s16
.LBB368_570:                            ;   in Loop: Header=BB368_10 Depth=1
	s_delay_alu instid0(SALU_CYCLE_1) | instskip(SKIP_2) | instid1(VALU_DEP_1)
	s_or_b32 exec_lo, exec_lo, s15
	v_lshrrev_b32_e32 v4, 16, v1
	s_mov_b32 s15, exec_lo
	v_and_b32_e32 v2, 0xff, v4
	s_delay_alu instid0(VALU_DEP_1)
	v_cmpx_ne_u16_e32 0, v2
	s_cbranch_execz .LBB368_578
; %bb.571:                              ;   in Loop: Header=BB368_10 Depth=1
	v_bfrev_b32_e32 v48, 1
	s_mov_b32 s16, exec_lo
	v_cmpx_ne_u16_e32 0x80, v2
	s_cbranch_execz .LBB368_577
; %bb.572:                              ;   in Loop: Header=BB368_10 Depth=1
	v_bfe_u32 v2, v1, 16, 7
	v_mov_b32_e32 v48, 0x7f800001
	s_mov_b32 s17, exec_lo
	s_delay_alu instid0(VALU_DEP_2)
	v_cmpx_ne_u32_e32 0x7f, v2
	s_cbranch_execz .LBB368_576
; %bb.573:                              ;   in Loop: Header=BB368_10 Depth=1
	v_dual_lshrrev_b32 v6, 3, v2 :: v_dual_bitop2_b32 v16, 7, v4 bitop3:0x40
	v_cmp_gt_u32_e64 s1, 8, v2
	s_delay_alu instid0(VALU_DEP_2)
	v_mov_b64_e32 v[2:3], v[16:17]
	s_and_saveexec_b32 s18, s1
; %bb.574:                              ;   in Loop: Header=BB368_10 Depth=1
	v_clz_i32_u32_e32 v2, v16
	s_delay_alu instid0(VALU_DEP_1) | instskip(NEXT) | instid1(VALU_DEP_1)
	v_min_u32_e32 v6, 32, v2
	v_subrev_nc_u32_e32 v2, 28, v6
	v_sub_nc_u32_e32 v6, 29, v6
	s_delay_alu instid0(VALU_DEP_2) | instskip(NEXT) | instid1(VALU_DEP_1)
	v_lshlrev_b64_e32 v[2:3], v2, v[16:17]
	v_and_b32_e32 v2, 7, v2
; %bb.575:                              ;   in Loop: Header=BB368_10 Depth=1
	s_or_b32 exec_lo, exec_lo, s18
	s_delay_alu instid0(VALU_DEP_1) | instskip(SKIP_1) | instid1(VALU_DEP_2)
	v_dual_lshlrev_b32 v3, 24, v4 :: v_dual_lshlrev_b32 v2, 20, v2
	v_lshl_add_u32 v4, v6, 23, 0x3c000000
	v_and_b32_e32 v3, 0x80000000, v3
	s_delay_alu instid0(VALU_DEP_1)
	v_or3_b32 v48, v2, v3, v4
.LBB368_576:                            ;   in Loop: Header=BB368_10 Depth=1
	s_or_b32 exec_lo, exec_lo, s17
.LBB368_577:                            ;   in Loop: Header=BB368_10 Depth=1
	s_delay_alu instid0(SALU_CYCLE_1)
	s_or_b32 exec_lo, exec_lo, s16
.LBB368_578:                            ;   in Loop: Header=BB368_10 Depth=1
	s_delay_alu instid0(SALU_CYCLE_1)
	s_or_b32 exec_lo, exec_lo, s15
	v_dual_mov_b32 v80, 0 :: v_dual_mov_b32 v49, 0
	s_mov_b32 s15, exec_lo
	v_cmpx_lt_u64_e64 s[2:3], v[0:1]
	s_cbranch_execz .LBB368_586
; %bb.579:                              ;   in Loop: Header=BB368_10 Depth=1
	v_lshrrev_b32_e32 v2, 24, v1
	v_bfrev_b32_e32 v49, 1
	s_mov_b32 s16, exec_lo
	s_delay_alu instid0(VALU_DEP_2)
	v_cmpx_ne_u32_e32 0x80, v2
	s_cbranch_execz .LBB368_585
; %bb.580:                              ;   in Loop: Header=BB368_10 Depth=1
	v_bfe_u32 v0, v1, 24, 7
	v_mov_b32_e32 v49, 0x7f800001
	s_mov_b32 s17, exec_lo
	s_delay_alu instid0(VALU_DEP_2)
	v_cmpx_ne_u32_e32 0x7f, v0
	s_cbranch_execz .LBB368_584
; %bb.581:                              ;   in Loop: Header=BB368_10 Depth=1
	v_dual_lshrrev_b32 v3, 3, v0 :: v_dual_bitop2_b32 v16, 7, v2 bitop3:0x40
	v_cmp_gt_u32_e64 s1, 8, v0
	s_delay_alu instid0(VALU_DEP_2)
	v_mov_b64_e32 v[0:1], v[16:17]
	s_and_saveexec_b32 s18, s1
; %bb.582:                              ;   in Loop: Header=BB368_10 Depth=1
	v_clz_i32_u32_e32 v0, v16
	s_delay_alu instid0(VALU_DEP_1) | instskip(NEXT) | instid1(VALU_DEP_1)
	v_min_u32_e32 v3, 32, v0
	v_subrev_nc_u32_e32 v0, 28, v3
	s_delay_alu instid0(VALU_DEP_1) | instskip(NEXT) | instid1(VALU_DEP_1)
	v_lshlrev_b64_e32 v[0:1], v0, v[16:17]
	v_dual_sub_nc_u32 v3, 29, v3 :: v_dual_bitop2_b32 v0, 7, v0 bitop3:0x40
; %bb.583:                              ;   in Loop: Header=BB368_10 Depth=1
	s_or_b32 exec_lo, exec_lo, s18
	s_delay_alu instid0(VALU_DEP_1) | instskip(NEXT) | instid1(VALU_DEP_2)
	v_dual_lshlrev_b32 v1, 24, v2 :: v_dual_lshlrev_b32 v0, 20, v0
	v_lshl_add_u32 v2, v3, 23, 0x3c000000
	s_delay_alu instid0(VALU_DEP_2) | instskip(NEXT) | instid1(VALU_DEP_1)
	v_and_b32_e32 v1, 0x80000000, v1
	v_or3_b32 v49, v0, v1, v2
.LBB368_584:                            ;   in Loop: Header=BB368_10 Depth=1
	s_or_b32 exec_lo, exec_lo, s17
.LBB368_585:                            ;   in Loop: Header=BB368_10 Depth=1
	s_delay_alu instid0(SALU_CYCLE_1)
	s_or_b32 exec_lo, exec_lo, s16
.LBB368_586:                            ;   in Loop: Header=BB368_10 Depth=1
	s_delay_alu instid0(SALU_CYCLE_1)
	s_or_b32 exec_lo, exec_lo, s15
	flat_load_b64 v[0:1], v[70:71] offset:2056
	s_mov_b32 s15, exec_lo
	s_wait_loadcnt_dscnt 0x0
	v_and_b32_e32 v2, 0xff, v0
	s_wait_xcnt 0x0
	s_delay_alu instid0(VALU_DEP_1)
	v_cmpx_ne_u16_e32 0, v2
	s_cbranch_execz .LBB368_594
; %bb.587:                              ;   in Loop: Header=BB368_10 Depth=1
	v_bfrev_b32_e32 v80, 1
	s_mov_b32 s16, exec_lo
	v_cmpx_ne_u16_e32 0x80, v2
	s_cbranch_execz .LBB368_593
; %bb.588:                              ;   in Loop: Header=BB368_10 Depth=1
	v_and_b32_e32 v2, 0x7f, v0
	v_mov_b32_e32 v80, 0x7f800001
	s_mov_b32 s17, exec_lo
	s_delay_alu instid0(VALU_DEP_2)
	v_cmpx_ne_u32_e32 0x7f, v2
	s_cbranch_execz .LBB368_592
; %bb.589:                              ;   in Loop: Header=BB368_10 Depth=1
	v_lshrrev_b32_e32 v4, 3, v2
	v_cmp_gt_u32_e64 s1, 8, v2
	v_mov_b64_e32 v[2:3], v[0:1]
	s_and_saveexec_b32 s18, s1
; %bb.590:                              ;   in Loop: Header=BB368_10 Depth=1
	v_and_b32_e32 v2, 7, v0
	s_delay_alu instid0(VALU_DEP_1) | instskip(NEXT) | instid1(VALU_DEP_1)
	v_clz_i32_u32_e32 v2, v2
	v_min_u32_e32 v4, 32, v2
	s_delay_alu instid0(VALU_DEP_1) | instskip(SKIP_1) | instid1(VALU_DEP_2)
	v_subrev_nc_u32_e32 v2, 28, v4
	v_sub_nc_u32_e32 v4, 29, v4
	v_lshlrev_b64_e32 v[2:3], v2, v[0:1]
; %bb.591:                              ;   in Loop: Header=BB368_10 Depth=1
	s_or_b32 exec_lo, exec_lo, s18
	s_delay_alu instid0(VALU_DEP_1) | instskip(NEXT) | instid1(VALU_DEP_3)
	v_dual_lshlrev_b32 v2, 20, v2 :: v_dual_lshlrev_b32 v3, 24, v0
	v_lshl_add_u32 v4, v4, 23, 0x3c000000
	s_delay_alu instid0(VALU_DEP_2) | instskip(NEXT) | instid1(VALU_DEP_3)
	v_and_b32_e32 v2, 0x700000, v2
	v_and_b32_e32 v3, 0x80000000, v3
	s_delay_alu instid0(VALU_DEP_1)
	v_or3_b32 v80, v2, v3, v4
.LBB368_592:                            ;   in Loop: Header=BB368_10 Depth=1
	s_or_b32 exec_lo, exec_lo, s17
.LBB368_593:                            ;   in Loop: Header=BB368_10 Depth=1
	s_delay_alu instid0(SALU_CYCLE_1)
	s_or_b32 exec_lo, exec_lo, s16
.LBB368_594:                            ;   in Loop: Header=BB368_10 Depth=1
	s_delay_alu instid0(SALU_CYCLE_1) | instskip(SKIP_3) | instid1(VALU_DEP_2)
	s_or_b32 exec_lo, exec_lo, s15
	v_lshrrev_b16 v2, 8, v0
	v_dual_mov_b32 v58, 0 :: v_dual_mov_b32 v81, 0
	s_mov_b32 s15, exec_lo
	v_cmpx_ne_u16_e32 0, v2
	s_cbranch_execz .LBB368_602
; %bb.595:                              ;   in Loop: Header=BB368_10 Depth=1
	v_bfrev_b32_e32 v81, 1
	s_mov_b32 s16, exec_lo
	v_cmpx_ne_u16_e32 0x80, v2
	s_cbranch_execz .LBB368_601
; %bb.596:                              ;   in Loop: Header=BB368_10 Depth=1
	v_and_b32_e32 v3, 0xffff, v2
	v_mov_b32_e32 v81, 0x7f800001
	s_mov_b32 s17, exec_lo
	s_delay_alu instid0(VALU_DEP_2) | instskip(NEXT) | instid1(VALU_DEP_1)
	v_and_b32_e32 v2, 0x7f, v3
	v_cmpx_ne_u32_e32 0x7f, v2
	s_cbranch_execz .LBB368_600
; %bb.597:                              ;   in Loop: Header=BB368_10 Depth=1
	v_dual_lshrrev_b32 v4, 3, v2 :: v_dual_bitop2_b32 v16, 7, v3 bitop3:0x40
	v_cmp_gt_u32_e64 s1, 8, v2
	s_delay_alu instid0(VALU_DEP_2)
	v_mov_b64_e32 v[2:3], v[16:17]
	s_and_saveexec_b32 s18, s1
; %bb.598:                              ;   in Loop: Header=BB368_10 Depth=1
	v_clz_i32_u32_e32 v2, v16
	s_delay_alu instid0(VALU_DEP_1) | instskip(NEXT) | instid1(VALU_DEP_1)
	v_min_u32_e32 v4, 32, v2
	v_subrev_nc_u32_e32 v2, 28, v4
	s_delay_alu instid0(VALU_DEP_1) | instskip(NEXT) | instid1(VALU_DEP_1)
	v_lshlrev_b64_e32 v[2:3], v2, v[16:17]
	v_dual_sub_nc_u32 v4, 29, v4 :: v_dual_bitop2_b32 v2, 7, v2 bitop3:0x40
; %bb.599:                              ;   in Loop: Header=BB368_10 Depth=1
	s_or_b32 exec_lo, exec_lo, s18
	s_delay_alu instid0(VALU_DEP_1) | instskip(NEXT) | instid1(VALU_DEP_2)
	v_dual_lshlrev_b32 v3, 16, v0 :: v_dual_lshlrev_b32 v2, 20, v2
	v_lshl_add_u32 v4, v4, 23, 0x3c000000
	s_delay_alu instid0(VALU_DEP_2) | instskip(NEXT) | instid1(VALU_DEP_1)
	v_and_b32_e32 v3, 0x80000000, v3
	v_or3_b32 v81, v2, v3, v4
.LBB368_600:                            ;   in Loop: Header=BB368_10 Depth=1
	s_or_b32 exec_lo, exec_lo, s17
.LBB368_601:                            ;   in Loop: Header=BB368_10 Depth=1
	s_delay_alu instid0(SALU_CYCLE_1)
	s_or_b32 exec_lo, exec_lo, s16
.LBB368_602:                            ;   in Loop: Header=BB368_10 Depth=1
	s_delay_alu instid0(SALU_CYCLE_1) | instskip(SKIP_2) | instid1(VALU_DEP_1)
	s_or_b32 exec_lo, exec_lo, s15
	v_lshrrev_b32_e32 v4, 16, v0
	s_mov_b32 s15, exec_lo
	v_and_b32_e32 v2, 0xff, v4
	s_delay_alu instid0(VALU_DEP_1)
	v_cmpx_ne_u16_e32 0, v2
	s_cbranch_execz .LBB368_610
; %bb.603:                              ;   in Loop: Header=BB368_10 Depth=1
	v_bfrev_b32_e32 v58, 1
	s_mov_b32 s16, exec_lo
	v_cmpx_ne_u16_e32 0x80, v2
	s_cbranch_execz .LBB368_609
; %bb.604:                              ;   in Loop: Header=BB368_10 Depth=1
	v_bfe_u32 v2, v0, 16, 7
	v_mov_b32_e32 v58, 0x7f800001
	s_mov_b32 s17, exec_lo
	s_delay_alu instid0(VALU_DEP_2)
	v_cmpx_ne_u32_e32 0x7f, v2
	s_cbranch_execz .LBB368_608
; %bb.605:                              ;   in Loop: Header=BB368_10 Depth=1
	v_dual_lshrrev_b32 v6, 3, v2 :: v_dual_bitop2_b32 v16, 7, v4 bitop3:0x40
	v_cmp_gt_u32_e64 s1, 8, v2
	s_delay_alu instid0(VALU_DEP_2)
	v_mov_b64_e32 v[2:3], v[16:17]
	s_and_saveexec_b32 s18, s1
; %bb.606:                              ;   in Loop: Header=BB368_10 Depth=1
	v_clz_i32_u32_e32 v2, v16
	s_delay_alu instid0(VALU_DEP_1) | instskip(NEXT) | instid1(VALU_DEP_1)
	v_min_u32_e32 v6, 32, v2
	v_subrev_nc_u32_e32 v2, 28, v6
	v_sub_nc_u32_e32 v6, 29, v6
	s_delay_alu instid0(VALU_DEP_2) | instskip(NEXT) | instid1(VALU_DEP_1)
	v_lshlrev_b64_e32 v[2:3], v2, v[16:17]
	v_and_b32_e32 v2, 7, v2
; %bb.607:                              ;   in Loop: Header=BB368_10 Depth=1
	s_or_b32 exec_lo, exec_lo, s18
	s_delay_alu instid0(VALU_DEP_1) | instskip(SKIP_1) | instid1(VALU_DEP_2)
	v_dual_lshlrev_b32 v3, 24, v4 :: v_dual_lshlrev_b32 v2, 20, v2
	v_lshl_add_u32 v4, v6, 23, 0x3c000000
	v_and_b32_e32 v3, 0x80000000, v3
	s_delay_alu instid0(VALU_DEP_1)
	v_or3_b32 v58, v2, v3, v4
.LBB368_608:                            ;   in Loop: Header=BB368_10 Depth=1
	s_or_b32 exec_lo, exec_lo, s17
.LBB368_609:                            ;   in Loop: Header=BB368_10 Depth=1
	s_delay_alu instid0(SALU_CYCLE_1)
	s_or_b32 exec_lo, exec_lo, s16
.LBB368_610:                            ;   in Loop: Header=BB368_10 Depth=1
	s_delay_alu instid0(SALU_CYCLE_1)
	s_or_b32 exec_lo, exec_lo, s15
	v_dual_mov_b32 v60, 0 :: v_dual_mov_b32 v59, 0
	s_mov_b32 s15, exec_lo
	v_cmpx_lt_u32_e32 0xffffff, v0
	s_cbranch_execz .LBB368_618
; %bb.611:                              ;   in Loop: Header=BB368_10 Depth=1
	v_lshrrev_b32_e32 v4, 24, v0
	v_bfrev_b32_e32 v59, 1
	s_mov_b32 s16, exec_lo
	s_delay_alu instid0(VALU_DEP_2)
	v_cmpx_ne_u32_e32 0x80, v4
	s_cbranch_execz .LBB368_617
; %bb.612:                              ;   in Loop: Header=BB368_10 Depth=1
	v_bfe_u32 v2, v0, 24, 7
	v_mov_b32_e32 v59, 0x7f800001
	s_mov_b32 s17, exec_lo
	s_delay_alu instid0(VALU_DEP_2)
	v_cmpx_ne_u32_e32 0x7f, v2
	s_cbranch_execz .LBB368_616
; %bb.613:                              ;   in Loop: Header=BB368_10 Depth=1
	v_dual_lshrrev_b32 v6, 3, v2 :: v_dual_bitop2_b32 v16, 7, v4 bitop3:0x40
	v_cmp_gt_u32_e64 s1, 8, v2
	s_delay_alu instid0(VALU_DEP_2)
	v_mov_b64_e32 v[2:3], v[16:17]
	s_and_saveexec_b32 s18, s1
; %bb.614:                              ;   in Loop: Header=BB368_10 Depth=1
	v_clz_i32_u32_e32 v2, v16
	s_delay_alu instid0(VALU_DEP_1) | instskip(NEXT) | instid1(VALU_DEP_1)
	v_min_u32_e32 v6, 32, v2
	v_subrev_nc_u32_e32 v2, 28, v6
	v_sub_nc_u32_e32 v6, 29, v6
	s_delay_alu instid0(VALU_DEP_2) | instskip(NEXT) | instid1(VALU_DEP_1)
	v_lshlrev_b64_e32 v[2:3], v2, v[16:17]
	v_and_b32_e32 v2, 7, v2
; %bb.615:                              ;   in Loop: Header=BB368_10 Depth=1
	s_or_b32 exec_lo, exec_lo, s18
	s_delay_alu instid0(VALU_DEP_1) | instskip(SKIP_1) | instid1(VALU_DEP_2)
	v_dual_lshlrev_b32 v3, 24, v4 :: v_dual_lshlrev_b32 v2, 20, v2
	v_lshl_add_u32 v4, v6, 23, 0x3c000000
	v_and_b32_e32 v3, 0x80000000, v3
	s_delay_alu instid0(VALU_DEP_1)
	v_or3_b32 v59, v2, v3, v4
.LBB368_616:                            ;   in Loop: Header=BB368_10 Depth=1
	s_or_b32 exec_lo, exec_lo, s17
.LBB368_617:                            ;   in Loop: Header=BB368_10 Depth=1
	s_delay_alu instid0(SALU_CYCLE_1)
	s_or_b32 exec_lo, exec_lo, s16
.LBB368_618:                            ;   in Loop: Header=BB368_10 Depth=1
	s_delay_alu instid0(SALU_CYCLE_1) | instskip(SKIP_3) | instid1(VALU_DEP_2)
	s_or_b32 exec_lo, exec_lo, s15
	v_and_b32_e32 v2, 0xff, v1
	v_mov_b32_e32 v16, v1
	s_mov_b32 s15, exec_lo
	v_cmpx_ne_u16_e32 0, v2
	s_cbranch_execz .LBB368_626
; %bb.619:                              ;   in Loop: Header=BB368_10 Depth=1
	v_bfrev_b32_e32 v60, 1
	s_mov_b32 s16, exec_lo
	v_cmpx_ne_u16_e32 0x80, v2
	s_cbranch_execz .LBB368_625
; %bb.620:                              ;   in Loop: Header=BB368_10 Depth=1
	v_and_b32_e32 v2, 0x7f, v1
	v_mov_b32_e32 v60, 0x7f800001
	s_mov_b32 s17, exec_lo
	s_delay_alu instid0(VALU_DEP_2)
	v_cmpx_ne_u32_e32 0x7f, v2
	s_cbranch_execz .LBB368_624
; %bb.621:                              ;   in Loop: Header=BB368_10 Depth=1
	v_lshrrev_b32_e32 v4, 3, v2
	v_cmp_gt_u32_e64 s1, 8, v2
	v_mov_b64_e32 v[2:3], v[16:17]
	s_and_saveexec_b32 s18, s1
; %bb.622:                              ;   in Loop: Header=BB368_10 Depth=1
	v_and_b32_e32 v2, 7, v1
	s_delay_alu instid0(VALU_DEP_1) | instskip(NEXT) | instid1(VALU_DEP_1)
	v_clz_i32_u32_e32 v2, v2
	v_min_u32_e32 v4, 32, v2
	s_delay_alu instid0(VALU_DEP_1) | instskip(SKIP_1) | instid1(VALU_DEP_2)
	v_subrev_nc_u32_e32 v2, 28, v4
	v_sub_nc_u32_e32 v4, 29, v4
	v_lshlrev_b64_e32 v[2:3], v2, v[16:17]
; %bb.623:                              ;   in Loop: Header=BB368_10 Depth=1
	s_or_b32 exec_lo, exec_lo, s18
	s_delay_alu instid0(VALU_DEP_1) | instskip(NEXT) | instid1(VALU_DEP_3)
	v_dual_lshlrev_b32 v2, 20, v2 :: v_dual_lshlrev_b32 v3, 24, v16
	v_lshl_add_u32 v4, v4, 23, 0x3c000000
	s_delay_alu instid0(VALU_DEP_2) | instskip(NEXT) | instid1(VALU_DEP_3)
	v_and_b32_e32 v2, 0x700000, v2
	v_and_b32_e32 v3, 0x80000000, v3
	s_delay_alu instid0(VALU_DEP_1)
	v_or3_b32 v60, v2, v3, v4
.LBB368_624:                            ;   in Loop: Header=BB368_10 Depth=1
	s_or_b32 exec_lo, exec_lo, s17
.LBB368_625:                            ;   in Loop: Header=BB368_10 Depth=1
	s_delay_alu instid0(SALU_CYCLE_1)
	s_or_b32 exec_lo, exec_lo, s16
.LBB368_626:                            ;   in Loop: Header=BB368_10 Depth=1
	s_delay_alu instid0(SALU_CYCLE_1) | instskip(SKIP_3) | instid1(VALU_DEP_2)
	s_or_b32 exec_lo, exec_lo, s15
	v_lshrrev_b16 v2, 8, v16
	v_dual_mov_b32 v62, 0 :: v_dual_mov_b32 v61, 0
	s_mov_b32 s15, exec_lo
	v_cmpx_ne_u16_e32 0, v2
	s_cbranch_execz .LBB368_634
; %bb.627:                              ;   in Loop: Header=BB368_10 Depth=1
	v_bfrev_b32_e32 v61, 1
	s_mov_b32 s16, exec_lo
	v_cmpx_ne_u16_e32 0x80, v2
	s_cbranch_execz .LBB368_633
; %bb.628:                              ;   in Loop: Header=BB368_10 Depth=1
	v_and_b32_e32 v2, 0xffff, v2
	v_mov_b32_e32 v61, 0x7f800001
	s_mov_b32 s17, exec_lo
	s_delay_alu instid0(VALU_DEP_2) | instskip(NEXT) | instid1(VALU_DEP_1)
	v_and_b32_e32 v6, 0x7f, v2
	v_cmpx_ne_u32_e32 0x7f, v6
	s_cbranch_execz .LBB368_632
; %bb.629:                              ;   in Loop: Header=BB368_10 Depth=1
	v_dual_mov_b32 v3, v17 :: v_dual_bitop2_b32 v2, 7, v2 bitop3:0x40
	v_lshrrev_b32_e32 v4, 3, v6
	s_mov_b32 s18, exec_lo
	v_cmpx_gt_u32_e32 8, v6
; %bb.630:                              ;   in Loop: Header=BB368_10 Depth=1
	s_delay_alu instid0(VALU_DEP_3) | instskip(NEXT) | instid1(VALU_DEP_1)
	v_clz_i32_u32_e32 v4, v2
	v_min_u32_e32 v4, 32, v4
	s_delay_alu instid0(VALU_DEP_1) | instskip(NEXT) | instid1(VALU_DEP_1)
	v_subrev_nc_u32_e32 v6, 28, v4
	v_lshlrev_b64_e32 v[2:3], v6, v[2:3]
	s_delay_alu instid0(VALU_DEP_1)
	v_dual_sub_nc_u32 v4, 29, v4 :: v_dual_bitop2_b32 v2, 7, v2 bitop3:0x40
; %bb.631:                              ;   in Loop: Header=BB368_10 Depth=1
	s_or_b32 exec_lo, exec_lo, s18
	s_delay_alu instid0(VALU_DEP_1) | instskip(NEXT) | instid1(VALU_DEP_2)
	v_dual_lshlrev_b32 v3, 16, v16 :: v_dual_lshlrev_b32 v2, 20, v2
	v_lshl_add_u32 v4, v4, 23, 0x3c000000
	s_delay_alu instid0(VALU_DEP_2) | instskip(NEXT) | instid1(VALU_DEP_1)
	v_and_b32_e32 v3, 0x80000000, v3
	v_or3_b32 v61, v2, v3, v4
.LBB368_632:                            ;   in Loop: Header=BB368_10 Depth=1
	s_or_b32 exec_lo, exec_lo, s17
.LBB368_633:                            ;   in Loop: Header=BB368_10 Depth=1
	s_delay_alu instid0(SALU_CYCLE_1)
	s_or_b32 exec_lo, exec_lo, s16
.LBB368_634:                            ;   in Loop: Header=BB368_10 Depth=1
	s_delay_alu instid0(SALU_CYCLE_1) | instskip(SKIP_2) | instid1(VALU_DEP_1)
	s_or_b32 exec_lo, exec_lo, s15
	v_lshrrev_b32_e32 v4, 16, v1
	s_mov_b32 s15, exec_lo
	v_and_b32_e32 v2, 0xff, v4
	s_delay_alu instid0(VALU_DEP_1)
	v_cmpx_ne_u16_e32 0, v2
	s_cbranch_execz .LBB368_642
; %bb.635:                              ;   in Loop: Header=BB368_10 Depth=1
	v_bfrev_b32_e32 v62, 1
	s_mov_b32 s16, exec_lo
	v_cmpx_ne_u16_e32 0x80, v2
	s_cbranch_execz .LBB368_641
; %bb.636:                              ;   in Loop: Header=BB368_10 Depth=1
	v_bfe_u32 v2, v1, 16, 7
	v_mov_b32_e32 v62, 0x7f800001
	s_mov_b32 s17, exec_lo
	s_delay_alu instid0(VALU_DEP_2)
	v_cmpx_ne_u32_e32 0x7f, v2
	s_cbranch_execz .LBB368_640
; %bb.637:                              ;   in Loop: Header=BB368_10 Depth=1
	v_dual_lshrrev_b32 v6, 3, v2 :: v_dual_bitop2_b32 v16, 7, v4 bitop3:0x40
	v_cmp_gt_u32_e64 s1, 8, v2
	s_delay_alu instid0(VALU_DEP_2)
	v_mov_b64_e32 v[2:3], v[16:17]
	s_and_saveexec_b32 s18, s1
; %bb.638:                              ;   in Loop: Header=BB368_10 Depth=1
	v_clz_i32_u32_e32 v2, v16
	s_delay_alu instid0(VALU_DEP_1) | instskip(NEXT) | instid1(VALU_DEP_1)
	v_min_u32_e32 v6, 32, v2
	v_subrev_nc_u32_e32 v2, 28, v6
	v_sub_nc_u32_e32 v6, 29, v6
	s_delay_alu instid0(VALU_DEP_2) | instskip(NEXT) | instid1(VALU_DEP_1)
	v_lshlrev_b64_e32 v[2:3], v2, v[16:17]
	v_and_b32_e32 v2, 7, v2
; %bb.639:                              ;   in Loop: Header=BB368_10 Depth=1
	s_or_b32 exec_lo, exec_lo, s18
	s_delay_alu instid0(VALU_DEP_1) | instskip(SKIP_1) | instid1(VALU_DEP_2)
	v_dual_lshlrev_b32 v3, 24, v4 :: v_dual_lshlrev_b32 v2, 20, v2
	v_lshl_add_u32 v4, v6, 23, 0x3c000000
	v_and_b32_e32 v3, 0x80000000, v3
	s_delay_alu instid0(VALU_DEP_1)
	v_or3_b32 v62, v2, v3, v4
.LBB368_640:                            ;   in Loop: Header=BB368_10 Depth=1
	s_or_b32 exec_lo, exec_lo, s17
.LBB368_641:                            ;   in Loop: Header=BB368_10 Depth=1
	s_delay_alu instid0(SALU_CYCLE_1)
	s_or_b32 exec_lo, exec_lo, s16
.LBB368_642:                            ;   in Loop: Header=BB368_10 Depth=1
	s_delay_alu instid0(SALU_CYCLE_1)
	s_or_b32 exec_lo, exec_lo, s15
	v_dual_mov_b32 v50, 0 :: v_dual_mov_b32 v63, 0
	s_mov_b32 s15, exec_lo
	v_cmpx_lt_u64_e64 s[2:3], v[0:1]
	s_cbranch_execz .LBB368_650
; %bb.643:                              ;   in Loop: Header=BB368_10 Depth=1
	v_lshrrev_b32_e32 v2, 24, v1
	v_bfrev_b32_e32 v63, 1
	s_mov_b32 s16, exec_lo
	s_delay_alu instid0(VALU_DEP_2)
	v_cmpx_ne_u32_e32 0x80, v2
	s_cbranch_execz .LBB368_649
; %bb.644:                              ;   in Loop: Header=BB368_10 Depth=1
	v_bfe_u32 v0, v1, 24, 7
	v_mov_b32_e32 v63, 0x7f800001
	s_mov_b32 s17, exec_lo
	s_delay_alu instid0(VALU_DEP_2)
	v_cmpx_ne_u32_e32 0x7f, v0
	s_cbranch_execz .LBB368_648
; %bb.645:                              ;   in Loop: Header=BB368_10 Depth=1
	v_dual_lshrrev_b32 v3, 3, v0 :: v_dual_bitop2_b32 v16, 7, v2 bitop3:0x40
	v_cmp_gt_u32_e64 s1, 8, v0
	s_delay_alu instid0(VALU_DEP_2)
	v_mov_b64_e32 v[0:1], v[16:17]
	s_and_saveexec_b32 s18, s1
; %bb.646:                              ;   in Loop: Header=BB368_10 Depth=1
	v_clz_i32_u32_e32 v0, v16
	s_delay_alu instid0(VALU_DEP_1) | instskip(NEXT) | instid1(VALU_DEP_1)
	v_min_u32_e32 v3, 32, v0
	v_subrev_nc_u32_e32 v0, 28, v3
	s_delay_alu instid0(VALU_DEP_1) | instskip(NEXT) | instid1(VALU_DEP_1)
	v_lshlrev_b64_e32 v[0:1], v0, v[16:17]
	v_dual_sub_nc_u32 v3, 29, v3 :: v_dual_bitop2_b32 v0, 7, v0 bitop3:0x40
; %bb.647:                              ;   in Loop: Header=BB368_10 Depth=1
	s_or_b32 exec_lo, exec_lo, s18
	s_delay_alu instid0(VALU_DEP_1) | instskip(NEXT) | instid1(VALU_DEP_2)
	v_dual_lshlrev_b32 v1, 24, v2 :: v_dual_lshlrev_b32 v0, 20, v0
	v_lshl_add_u32 v2, v3, 23, 0x3c000000
	s_delay_alu instid0(VALU_DEP_2) | instskip(NEXT) | instid1(VALU_DEP_1)
	v_and_b32_e32 v1, 0x80000000, v1
	v_or3_b32 v63, v0, v1, v2
.LBB368_648:                            ;   in Loop: Header=BB368_10 Depth=1
	s_or_b32 exec_lo, exec_lo, s17
.LBB368_649:                            ;   in Loop: Header=BB368_10 Depth=1
	s_delay_alu instid0(SALU_CYCLE_1)
	s_or_b32 exec_lo, exec_lo, s16
.LBB368_650:                            ;   in Loop: Header=BB368_10 Depth=1
	s_delay_alu instid0(SALU_CYCLE_1)
	s_or_b32 exec_lo, exec_lo, s15
	flat_load_b64 v[0:1], v[70:71] offset:2560
	s_mov_b32 s15, exec_lo
	s_wait_loadcnt_dscnt 0x0
	v_and_b32_e32 v2, 0xff, v0
	s_wait_xcnt 0x0
	s_delay_alu instid0(VALU_DEP_1)
	v_cmpx_ne_u16_e32 0, v2
	s_cbranch_execz .LBB368_658
; %bb.651:                              ;   in Loop: Header=BB368_10 Depth=1
	v_bfrev_b32_e32 v50, 1
	s_mov_b32 s16, exec_lo
	v_cmpx_ne_u16_e32 0x80, v2
	s_cbranch_execz .LBB368_657
; %bb.652:                              ;   in Loop: Header=BB368_10 Depth=1
	v_and_b32_e32 v2, 0x7f, v0
	v_mov_b32_e32 v50, 0x7f800001
	s_mov_b32 s17, exec_lo
	s_delay_alu instid0(VALU_DEP_2)
	v_cmpx_ne_u32_e32 0x7f, v2
	s_cbranch_execz .LBB368_656
; %bb.653:                              ;   in Loop: Header=BB368_10 Depth=1
	v_lshrrev_b32_e32 v4, 3, v2
	v_cmp_gt_u32_e64 s1, 8, v2
	v_mov_b64_e32 v[2:3], v[0:1]
	s_and_saveexec_b32 s18, s1
; %bb.654:                              ;   in Loop: Header=BB368_10 Depth=1
	v_and_b32_e32 v2, 7, v0
	s_delay_alu instid0(VALU_DEP_1) | instskip(NEXT) | instid1(VALU_DEP_1)
	v_clz_i32_u32_e32 v2, v2
	v_min_u32_e32 v4, 32, v2
	s_delay_alu instid0(VALU_DEP_1) | instskip(SKIP_1) | instid1(VALU_DEP_2)
	v_subrev_nc_u32_e32 v2, 28, v4
	v_sub_nc_u32_e32 v4, 29, v4
	v_lshlrev_b64_e32 v[2:3], v2, v[0:1]
; %bb.655:                              ;   in Loop: Header=BB368_10 Depth=1
	s_or_b32 exec_lo, exec_lo, s18
	s_delay_alu instid0(VALU_DEP_1) | instskip(NEXT) | instid1(VALU_DEP_3)
	v_dual_lshlrev_b32 v2, 20, v2 :: v_dual_lshlrev_b32 v3, 24, v0
	v_lshl_add_u32 v4, v4, 23, 0x3c000000
	s_delay_alu instid0(VALU_DEP_2) | instskip(NEXT) | instid1(VALU_DEP_3)
	v_and_b32_e32 v2, 0x700000, v2
	v_and_b32_e32 v3, 0x80000000, v3
	s_delay_alu instid0(VALU_DEP_1)
	v_or3_b32 v50, v2, v3, v4
.LBB368_656:                            ;   in Loop: Header=BB368_10 Depth=1
	s_or_b32 exec_lo, exec_lo, s17
.LBB368_657:                            ;   in Loop: Header=BB368_10 Depth=1
	s_delay_alu instid0(SALU_CYCLE_1)
	s_or_b32 exec_lo, exec_lo, s16
.LBB368_658:                            ;   in Loop: Header=BB368_10 Depth=1
	s_delay_alu instid0(SALU_CYCLE_1) | instskip(SKIP_3) | instid1(VALU_DEP_2)
	s_or_b32 exec_lo, exec_lo, s15
	v_lshrrev_b16 v2, 8, v0
	v_dual_mov_b32 v74, 0 :: v_dual_mov_b32 v51, 0
	s_mov_b32 s15, exec_lo
	v_cmpx_ne_u16_e32 0, v2
	s_cbranch_execz .LBB368_666
; %bb.659:                              ;   in Loop: Header=BB368_10 Depth=1
	v_bfrev_b32_e32 v51, 1
	s_mov_b32 s16, exec_lo
	v_cmpx_ne_u16_e32 0x80, v2
	s_cbranch_execz .LBB368_665
; %bb.660:                              ;   in Loop: Header=BB368_10 Depth=1
	v_and_b32_e32 v3, 0xffff, v2
	v_mov_b32_e32 v51, 0x7f800001
	s_mov_b32 s17, exec_lo
	s_delay_alu instid0(VALU_DEP_2) | instskip(NEXT) | instid1(VALU_DEP_1)
	v_and_b32_e32 v2, 0x7f, v3
	v_cmpx_ne_u32_e32 0x7f, v2
	s_cbranch_execz .LBB368_664
; %bb.661:                              ;   in Loop: Header=BB368_10 Depth=1
	v_dual_lshrrev_b32 v4, 3, v2 :: v_dual_bitop2_b32 v16, 7, v3 bitop3:0x40
	v_cmp_gt_u32_e64 s1, 8, v2
	s_delay_alu instid0(VALU_DEP_2)
	v_mov_b64_e32 v[2:3], v[16:17]
	s_and_saveexec_b32 s18, s1
; %bb.662:                              ;   in Loop: Header=BB368_10 Depth=1
	v_clz_i32_u32_e32 v2, v16
	s_delay_alu instid0(VALU_DEP_1) | instskip(NEXT) | instid1(VALU_DEP_1)
	v_min_u32_e32 v4, 32, v2
	v_subrev_nc_u32_e32 v2, 28, v4
	s_delay_alu instid0(VALU_DEP_1) | instskip(NEXT) | instid1(VALU_DEP_1)
	v_lshlrev_b64_e32 v[2:3], v2, v[16:17]
	v_dual_sub_nc_u32 v4, 29, v4 :: v_dual_bitop2_b32 v2, 7, v2 bitop3:0x40
; %bb.663:                              ;   in Loop: Header=BB368_10 Depth=1
	s_or_b32 exec_lo, exec_lo, s18
	s_delay_alu instid0(VALU_DEP_1) | instskip(NEXT) | instid1(VALU_DEP_2)
	v_dual_lshlrev_b32 v3, 16, v0 :: v_dual_lshlrev_b32 v2, 20, v2
	v_lshl_add_u32 v4, v4, 23, 0x3c000000
	s_delay_alu instid0(VALU_DEP_2) | instskip(NEXT) | instid1(VALU_DEP_1)
	v_and_b32_e32 v3, 0x80000000, v3
	v_or3_b32 v51, v2, v3, v4
.LBB368_664:                            ;   in Loop: Header=BB368_10 Depth=1
	s_or_b32 exec_lo, exec_lo, s17
.LBB368_665:                            ;   in Loop: Header=BB368_10 Depth=1
	s_delay_alu instid0(SALU_CYCLE_1)
	s_or_b32 exec_lo, exec_lo, s16
.LBB368_666:                            ;   in Loop: Header=BB368_10 Depth=1
	s_delay_alu instid0(SALU_CYCLE_1) | instskip(SKIP_2) | instid1(VALU_DEP_1)
	s_or_b32 exec_lo, exec_lo, s15
	v_lshrrev_b32_e32 v4, 16, v0
	s_mov_b32 s15, exec_lo
	v_and_b32_e32 v2, 0xff, v4
	s_delay_alu instid0(VALU_DEP_1)
	v_cmpx_ne_u16_e32 0, v2
	s_cbranch_execz .LBB368_674
; %bb.667:                              ;   in Loop: Header=BB368_10 Depth=1
	v_bfrev_b32_e32 v74, 1
	s_mov_b32 s16, exec_lo
	v_cmpx_ne_u16_e32 0x80, v2
	s_cbranch_execz .LBB368_673
; %bb.668:                              ;   in Loop: Header=BB368_10 Depth=1
	v_bfe_u32 v2, v0, 16, 7
	v_mov_b32_e32 v74, 0x7f800001
	s_mov_b32 s17, exec_lo
	s_delay_alu instid0(VALU_DEP_2)
	v_cmpx_ne_u32_e32 0x7f, v2
	s_cbranch_execz .LBB368_672
; %bb.669:                              ;   in Loop: Header=BB368_10 Depth=1
	v_dual_lshrrev_b32 v6, 3, v2 :: v_dual_bitop2_b32 v16, 7, v4 bitop3:0x40
	v_cmp_gt_u32_e64 s1, 8, v2
	s_delay_alu instid0(VALU_DEP_2)
	v_mov_b64_e32 v[2:3], v[16:17]
	s_and_saveexec_b32 s18, s1
; %bb.670:                              ;   in Loop: Header=BB368_10 Depth=1
	v_clz_i32_u32_e32 v2, v16
	s_delay_alu instid0(VALU_DEP_1) | instskip(NEXT) | instid1(VALU_DEP_1)
	v_min_u32_e32 v6, 32, v2
	v_subrev_nc_u32_e32 v2, 28, v6
	v_sub_nc_u32_e32 v6, 29, v6
	s_delay_alu instid0(VALU_DEP_2) | instskip(NEXT) | instid1(VALU_DEP_1)
	v_lshlrev_b64_e32 v[2:3], v2, v[16:17]
	v_and_b32_e32 v2, 7, v2
; %bb.671:                              ;   in Loop: Header=BB368_10 Depth=1
	s_or_b32 exec_lo, exec_lo, s18
	s_delay_alu instid0(VALU_DEP_1) | instskip(SKIP_1) | instid1(VALU_DEP_2)
	v_dual_lshlrev_b32 v3, 24, v4 :: v_dual_lshlrev_b32 v2, 20, v2
	v_lshl_add_u32 v4, v6, 23, 0x3c000000
	v_and_b32_e32 v3, 0x80000000, v3
	s_delay_alu instid0(VALU_DEP_1)
	v_or3_b32 v74, v2, v3, v4
.LBB368_672:                            ;   in Loop: Header=BB368_10 Depth=1
	s_or_b32 exec_lo, exec_lo, s17
.LBB368_673:                            ;   in Loop: Header=BB368_10 Depth=1
	s_delay_alu instid0(SALU_CYCLE_1)
	s_or_b32 exec_lo, exec_lo, s16
.LBB368_674:                            ;   in Loop: Header=BB368_10 Depth=1
	s_delay_alu instid0(SALU_CYCLE_1)
	s_or_b32 exec_lo, exec_lo, s15
	v_dual_mov_b32 v76, 0 :: v_dual_mov_b32 v75, 0
	s_mov_b32 s15, exec_lo
	v_cmpx_lt_u32_e32 0xffffff, v0
	s_cbranch_execz .LBB368_682
; %bb.675:                              ;   in Loop: Header=BB368_10 Depth=1
	v_lshrrev_b32_e32 v4, 24, v0
	v_bfrev_b32_e32 v75, 1
	s_mov_b32 s16, exec_lo
	s_delay_alu instid0(VALU_DEP_2)
	v_cmpx_ne_u32_e32 0x80, v4
	s_cbranch_execz .LBB368_681
; %bb.676:                              ;   in Loop: Header=BB368_10 Depth=1
	v_bfe_u32 v2, v0, 24, 7
	v_mov_b32_e32 v75, 0x7f800001
	s_mov_b32 s17, exec_lo
	s_delay_alu instid0(VALU_DEP_2)
	v_cmpx_ne_u32_e32 0x7f, v2
	s_cbranch_execz .LBB368_680
; %bb.677:                              ;   in Loop: Header=BB368_10 Depth=1
	v_dual_lshrrev_b32 v6, 3, v2 :: v_dual_bitop2_b32 v16, 7, v4 bitop3:0x40
	v_cmp_gt_u32_e64 s1, 8, v2
	s_delay_alu instid0(VALU_DEP_2)
	v_mov_b64_e32 v[2:3], v[16:17]
	s_and_saveexec_b32 s18, s1
; %bb.678:                              ;   in Loop: Header=BB368_10 Depth=1
	v_clz_i32_u32_e32 v2, v16
	s_delay_alu instid0(VALU_DEP_1) | instskip(NEXT) | instid1(VALU_DEP_1)
	v_min_u32_e32 v6, 32, v2
	v_subrev_nc_u32_e32 v2, 28, v6
	v_sub_nc_u32_e32 v6, 29, v6
	s_delay_alu instid0(VALU_DEP_2) | instskip(NEXT) | instid1(VALU_DEP_1)
	v_lshlrev_b64_e32 v[2:3], v2, v[16:17]
	v_and_b32_e32 v2, 7, v2
; %bb.679:                              ;   in Loop: Header=BB368_10 Depth=1
	s_or_b32 exec_lo, exec_lo, s18
	s_delay_alu instid0(VALU_DEP_1) | instskip(SKIP_1) | instid1(VALU_DEP_2)
	v_dual_lshlrev_b32 v3, 24, v4 :: v_dual_lshlrev_b32 v2, 20, v2
	v_lshl_add_u32 v4, v6, 23, 0x3c000000
	v_and_b32_e32 v3, 0x80000000, v3
	s_delay_alu instid0(VALU_DEP_1)
	v_or3_b32 v75, v2, v3, v4
.LBB368_680:                            ;   in Loop: Header=BB368_10 Depth=1
	s_or_b32 exec_lo, exec_lo, s17
.LBB368_681:                            ;   in Loop: Header=BB368_10 Depth=1
	s_delay_alu instid0(SALU_CYCLE_1)
	s_or_b32 exec_lo, exec_lo, s16
.LBB368_682:                            ;   in Loop: Header=BB368_10 Depth=1
	s_delay_alu instid0(SALU_CYCLE_1) | instskip(SKIP_3) | instid1(VALU_DEP_2)
	s_or_b32 exec_lo, exec_lo, s15
	v_and_b32_e32 v2, 0xff, v1
	v_mov_b32_e32 v16, v1
	s_mov_b32 s15, exec_lo
	v_cmpx_ne_u16_e32 0, v2
	s_cbranch_execz .LBB368_690
; %bb.683:                              ;   in Loop: Header=BB368_10 Depth=1
	v_bfrev_b32_e32 v76, 1
	s_mov_b32 s16, exec_lo
	v_cmpx_ne_u16_e32 0x80, v2
	s_cbranch_execz .LBB368_689
; %bb.684:                              ;   in Loop: Header=BB368_10 Depth=1
	v_and_b32_e32 v2, 0x7f, v1
	v_mov_b32_e32 v76, 0x7f800001
	s_mov_b32 s17, exec_lo
	s_delay_alu instid0(VALU_DEP_2)
	v_cmpx_ne_u32_e32 0x7f, v2
	s_cbranch_execz .LBB368_688
; %bb.685:                              ;   in Loop: Header=BB368_10 Depth=1
	v_lshrrev_b32_e32 v4, 3, v2
	v_cmp_gt_u32_e64 s1, 8, v2
	v_mov_b64_e32 v[2:3], v[16:17]
	s_and_saveexec_b32 s18, s1
; %bb.686:                              ;   in Loop: Header=BB368_10 Depth=1
	v_and_b32_e32 v2, 7, v1
	s_delay_alu instid0(VALU_DEP_1) | instskip(NEXT) | instid1(VALU_DEP_1)
	v_clz_i32_u32_e32 v2, v2
	v_min_u32_e32 v4, 32, v2
	s_delay_alu instid0(VALU_DEP_1) | instskip(SKIP_1) | instid1(VALU_DEP_2)
	v_subrev_nc_u32_e32 v2, 28, v4
	v_sub_nc_u32_e32 v4, 29, v4
	v_lshlrev_b64_e32 v[2:3], v2, v[16:17]
; %bb.687:                              ;   in Loop: Header=BB368_10 Depth=1
	s_or_b32 exec_lo, exec_lo, s18
	s_delay_alu instid0(VALU_DEP_1) | instskip(NEXT) | instid1(VALU_DEP_3)
	v_dual_lshlrev_b32 v2, 20, v2 :: v_dual_lshlrev_b32 v3, 24, v16
	v_lshl_add_u32 v4, v4, 23, 0x3c000000
	s_delay_alu instid0(VALU_DEP_2) | instskip(NEXT) | instid1(VALU_DEP_3)
	v_and_b32_e32 v2, 0x700000, v2
	v_and_b32_e32 v3, 0x80000000, v3
	s_delay_alu instid0(VALU_DEP_1)
	v_or3_b32 v76, v2, v3, v4
.LBB368_688:                            ;   in Loop: Header=BB368_10 Depth=1
	s_or_b32 exec_lo, exec_lo, s17
.LBB368_689:                            ;   in Loop: Header=BB368_10 Depth=1
	s_delay_alu instid0(SALU_CYCLE_1)
	s_or_b32 exec_lo, exec_lo, s16
.LBB368_690:                            ;   in Loop: Header=BB368_10 Depth=1
	s_delay_alu instid0(SALU_CYCLE_1) | instskip(SKIP_3) | instid1(VALU_DEP_2)
	s_or_b32 exec_lo, exec_lo, s15
	v_lshrrev_b16 v2, 8, v16
	v_dual_mov_b32 v78, 0 :: v_dual_mov_b32 v77, 0
	s_mov_b32 s15, exec_lo
	v_cmpx_ne_u16_e32 0, v2
	s_cbranch_execz .LBB368_698
; %bb.691:                              ;   in Loop: Header=BB368_10 Depth=1
	v_bfrev_b32_e32 v77, 1
	s_mov_b32 s16, exec_lo
	v_cmpx_ne_u16_e32 0x80, v2
	s_cbranch_execz .LBB368_697
; %bb.692:                              ;   in Loop: Header=BB368_10 Depth=1
	v_and_b32_e32 v2, 0xffff, v2
	v_mov_b32_e32 v77, 0x7f800001
	s_mov_b32 s17, exec_lo
	s_delay_alu instid0(VALU_DEP_2) | instskip(NEXT) | instid1(VALU_DEP_1)
	v_and_b32_e32 v6, 0x7f, v2
	v_cmpx_ne_u32_e32 0x7f, v6
	s_cbranch_execz .LBB368_696
; %bb.693:                              ;   in Loop: Header=BB368_10 Depth=1
	v_dual_mov_b32 v3, v17 :: v_dual_bitop2_b32 v2, 7, v2 bitop3:0x40
	v_lshrrev_b32_e32 v4, 3, v6
	s_mov_b32 s18, exec_lo
	v_cmpx_gt_u32_e32 8, v6
; %bb.694:                              ;   in Loop: Header=BB368_10 Depth=1
	s_delay_alu instid0(VALU_DEP_3) | instskip(NEXT) | instid1(VALU_DEP_1)
	v_clz_i32_u32_e32 v4, v2
	v_min_u32_e32 v4, 32, v4
	s_delay_alu instid0(VALU_DEP_1) | instskip(NEXT) | instid1(VALU_DEP_1)
	v_subrev_nc_u32_e32 v6, 28, v4
	v_lshlrev_b64_e32 v[2:3], v6, v[2:3]
	s_delay_alu instid0(VALU_DEP_1)
	v_dual_sub_nc_u32 v4, 29, v4 :: v_dual_bitop2_b32 v2, 7, v2 bitop3:0x40
; %bb.695:                              ;   in Loop: Header=BB368_10 Depth=1
	s_or_b32 exec_lo, exec_lo, s18
	s_delay_alu instid0(VALU_DEP_1) | instskip(NEXT) | instid1(VALU_DEP_2)
	v_dual_lshlrev_b32 v3, 16, v16 :: v_dual_lshlrev_b32 v2, 20, v2
	v_lshl_add_u32 v4, v4, 23, 0x3c000000
	s_delay_alu instid0(VALU_DEP_2) | instskip(NEXT) | instid1(VALU_DEP_1)
	v_and_b32_e32 v3, 0x80000000, v3
	v_or3_b32 v77, v2, v3, v4
.LBB368_696:                            ;   in Loop: Header=BB368_10 Depth=1
	s_or_b32 exec_lo, exec_lo, s17
.LBB368_697:                            ;   in Loop: Header=BB368_10 Depth=1
	s_delay_alu instid0(SALU_CYCLE_1)
	s_or_b32 exec_lo, exec_lo, s16
.LBB368_698:                            ;   in Loop: Header=BB368_10 Depth=1
	s_delay_alu instid0(SALU_CYCLE_1) | instskip(SKIP_2) | instid1(VALU_DEP_1)
	s_or_b32 exec_lo, exec_lo, s15
	v_lshrrev_b32_e32 v4, 16, v1
	s_mov_b32 s15, exec_lo
	v_and_b32_e32 v2, 0xff, v4
	s_delay_alu instid0(VALU_DEP_1)
	v_cmpx_ne_u16_e32 0, v2
	s_cbranch_execz .LBB368_706
; %bb.699:                              ;   in Loop: Header=BB368_10 Depth=1
	v_bfrev_b32_e32 v78, 1
	s_mov_b32 s16, exec_lo
	v_cmpx_ne_u16_e32 0x80, v2
	s_cbranch_execz .LBB368_705
; %bb.700:                              ;   in Loop: Header=BB368_10 Depth=1
	v_bfe_u32 v2, v1, 16, 7
	v_mov_b32_e32 v78, 0x7f800001
	s_mov_b32 s17, exec_lo
	s_delay_alu instid0(VALU_DEP_2)
	v_cmpx_ne_u32_e32 0x7f, v2
	s_cbranch_execz .LBB368_704
; %bb.701:                              ;   in Loop: Header=BB368_10 Depth=1
	v_dual_lshrrev_b32 v6, 3, v2 :: v_dual_bitop2_b32 v16, 7, v4 bitop3:0x40
	v_cmp_gt_u32_e64 s1, 8, v2
	s_delay_alu instid0(VALU_DEP_2)
	v_mov_b64_e32 v[2:3], v[16:17]
	s_and_saveexec_b32 s18, s1
; %bb.702:                              ;   in Loop: Header=BB368_10 Depth=1
	v_clz_i32_u32_e32 v2, v16
	s_delay_alu instid0(VALU_DEP_1) | instskip(NEXT) | instid1(VALU_DEP_1)
	v_min_u32_e32 v6, 32, v2
	v_subrev_nc_u32_e32 v2, 28, v6
	v_sub_nc_u32_e32 v6, 29, v6
	s_delay_alu instid0(VALU_DEP_2) | instskip(NEXT) | instid1(VALU_DEP_1)
	v_lshlrev_b64_e32 v[2:3], v2, v[16:17]
	v_and_b32_e32 v2, 7, v2
; %bb.703:                              ;   in Loop: Header=BB368_10 Depth=1
	s_or_b32 exec_lo, exec_lo, s18
	s_delay_alu instid0(VALU_DEP_1) | instskip(SKIP_1) | instid1(VALU_DEP_2)
	v_dual_lshlrev_b32 v3, 24, v4 :: v_dual_lshlrev_b32 v2, 20, v2
	v_lshl_add_u32 v4, v6, 23, 0x3c000000
	v_and_b32_e32 v3, 0x80000000, v3
	s_delay_alu instid0(VALU_DEP_1)
	v_or3_b32 v78, v2, v3, v4
.LBB368_704:                            ;   in Loop: Header=BB368_10 Depth=1
	s_or_b32 exec_lo, exec_lo, s17
.LBB368_705:                            ;   in Loop: Header=BB368_10 Depth=1
	s_delay_alu instid0(SALU_CYCLE_1)
	s_or_b32 exec_lo, exec_lo, s16
.LBB368_706:                            ;   in Loop: Header=BB368_10 Depth=1
	s_delay_alu instid0(SALU_CYCLE_1)
	s_or_b32 exec_lo, exec_lo, s15
	v_dual_mov_b32 v38, 0 :: v_dual_mov_b32 v79, 0
	s_mov_b32 s15, exec_lo
	v_cmpx_lt_u64_e64 s[2:3], v[0:1]
	s_cbranch_execz .LBB368_714
; %bb.707:                              ;   in Loop: Header=BB368_10 Depth=1
	v_lshrrev_b32_e32 v2, 24, v1
	v_bfrev_b32_e32 v79, 1
	s_mov_b32 s16, exec_lo
	s_delay_alu instid0(VALU_DEP_2)
	v_cmpx_ne_u32_e32 0x80, v2
	s_cbranch_execz .LBB368_713
; %bb.708:                              ;   in Loop: Header=BB368_10 Depth=1
	v_bfe_u32 v0, v1, 24, 7
	v_mov_b32_e32 v79, 0x7f800001
	s_mov_b32 s17, exec_lo
	s_delay_alu instid0(VALU_DEP_2)
	v_cmpx_ne_u32_e32 0x7f, v0
	s_cbranch_execz .LBB368_712
; %bb.709:                              ;   in Loop: Header=BB368_10 Depth=1
	v_dual_lshrrev_b32 v3, 3, v0 :: v_dual_bitop2_b32 v16, 7, v2 bitop3:0x40
	v_cmp_gt_u32_e64 s1, 8, v0
	s_delay_alu instid0(VALU_DEP_2)
	v_mov_b64_e32 v[0:1], v[16:17]
	s_and_saveexec_b32 s18, s1
; %bb.710:                              ;   in Loop: Header=BB368_10 Depth=1
	v_clz_i32_u32_e32 v0, v16
	s_delay_alu instid0(VALU_DEP_1) | instskip(NEXT) | instid1(VALU_DEP_1)
	v_min_u32_e32 v3, 32, v0
	v_subrev_nc_u32_e32 v0, 28, v3
	s_delay_alu instid0(VALU_DEP_1) | instskip(NEXT) | instid1(VALU_DEP_1)
	v_lshlrev_b64_e32 v[0:1], v0, v[16:17]
	v_dual_sub_nc_u32 v3, 29, v3 :: v_dual_bitop2_b32 v0, 7, v0 bitop3:0x40
; %bb.711:                              ;   in Loop: Header=BB368_10 Depth=1
	s_or_b32 exec_lo, exec_lo, s18
	s_delay_alu instid0(VALU_DEP_1) | instskip(NEXT) | instid1(VALU_DEP_2)
	v_dual_lshlrev_b32 v1, 24, v2 :: v_dual_lshlrev_b32 v0, 20, v0
	v_lshl_add_u32 v2, v3, 23, 0x3c000000
	s_delay_alu instid0(VALU_DEP_2) | instskip(NEXT) | instid1(VALU_DEP_1)
	v_and_b32_e32 v1, 0x80000000, v1
	v_or3_b32 v79, v0, v1, v2
.LBB368_712:                            ;   in Loop: Header=BB368_10 Depth=1
	s_or_b32 exec_lo, exec_lo, s17
.LBB368_713:                            ;   in Loop: Header=BB368_10 Depth=1
	s_delay_alu instid0(SALU_CYCLE_1)
	s_or_b32 exec_lo, exec_lo, s16
.LBB368_714:                            ;   in Loop: Header=BB368_10 Depth=1
	s_delay_alu instid0(SALU_CYCLE_1)
	s_or_b32 exec_lo, exec_lo, s15
	flat_load_b64 v[0:1], v[70:71] offset:2568
	s_mov_b32 s15, exec_lo
	s_wait_loadcnt_dscnt 0x0
	v_and_b32_e32 v2, 0xff, v0
	s_wait_xcnt 0x0
	s_delay_alu instid0(VALU_DEP_1)
	v_cmpx_ne_u16_e32 0, v2
	s_cbranch_execz .LBB368_722
; %bb.715:                              ;   in Loop: Header=BB368_10 Depth=1
	v_bfrev_b32_e32 v38, 1
	s_mov_b32 s16, exec_lo
	v_cmpx_ne_u16_e32 0x80, v2
	s_cbranch_execz .LBB368_721
; %bb.716:                              ;   in Loop: Header=BB368_10 Depth=1
	v_and_b32_e32 v2, 0x7f, v0
	v_mov_b32_e32 v38, 0x7f800001
	s_mov_b32 s17, exec_lo
	s_delay_alu instid0(VALU_DEP_2)
	v_cmpx_ne_u32_e32 0x7f, v2
	s_cbranch_execz .LBB368_720
; %bb.717:                              ;   in Loop: Header=BB368_10 Depth=1
	v_lshrrev_b32_e32 v4, 3, v2
	v_cmp_gt_u32_e64 s1, 8, v2
	v_mov_b64_e32 v[2:3], v[0:1]
	s_and_saveexec_b32 s18, s1
; %bb.718:                              ;   in Loop: Header=BB368_10 Depth=1
	v_and_b32_e32 v2, 7, v0
	s_delay_alu instid0(VALU_DEP_1) | instskip(NEXT) | instid1(VALU_DEP_1)
	v_clz_i32_u32_e32 v2, v2
	v_min_u32_e32 v4, 32, v2
	s_delay_alu instid0(VALU_DEP_1) | instskip(SKIP_1) | instid1(VALU_DEP_2)
	v_subrev_nc_u32_e32 v2, 28, v4
	v_sub_nc_u32_e32 v4, 29, v4
	v_lshlrev_b64_e32 v[2:3], v2, v[0:1]
; %bb.719:                              ;   in Loop: Header=BB368_10 Depth=1
	s_or_b32 exec_lo, exec_lo, s18
	s_delay_alu instid0(VALU_DEP_1) | instskip(NEXT) | instid1(VALU_DEP_3)
	v_dual_lshlrev_b32 v2, 20, v2 :: v_dual_lshlrev_b32 v3, 24, v0
	v_lshl_add_u32 v4, v4, 23, 0x3c000000
	s_delay_alu instid0(VALU_DEP_2) | instskip(NEXT) | instid1(VALU_DEP_3)
	v_and_b32_e32 v2, 0x700000, v2
	v_and_b32_e32 v3, 0x80000000, v3
	s_delay_alu instid0(VALU_DEP_1)
	v_or3_b32 v38, v2, v3, v4
.LBB368_720:                            ;   in Loop: Header=BB368_10 Depth=1
	s_or_b32 exec_lo, exec_lo, s17
.LBB368_721:                            ;   in Loop: Header=BB368_10 Depth=1
	s_delay_alu instid0(SALU_CYCLE_1)
	s_or_b32 exec_lo, exec_lo, s16
.LBB368_722:                            ;   in Loop: Header=BB368_10 Depth=1
	s_delay_alu instid0(SALU_CYCLE_1) | instskip(SKIP_3) | instid1(VALU_DEP_2)
	s_or_b32 exec_lo, exec_lo, s15
	v_lshrrev_b16 v2, 8, v0
	v_dual_mov_b32 v90, 0 :: v_dual_mov_b32 v39, 0
	s_mov_b32 s15, exec_lo
	v_cmpx_ne_u16_e32 0, v2
	s_cbranch_execz .LBB368_730
; %bb.723:                              ;   in Loop: Header=BB368_10 Depth=1
	v_bfrev_b32_e32 v39, 1
	s_mov_b32 s16, exec_lo
	v_cmpx_ne_u16_e32 0x80, v2
	s_cbranch_execz .LBB368_729
; %bb.724:                              ;   in Loop: Header=BB368_10 Depth=1
	v_and_b32_e32 v3, 0xffff, v2
	v_mov_b32_e32 v39, 0x7f800001
	s_mov_b32 s17, exec_lo
	s_delay_alu instid0(VALU_DEP_2) | instskip(NEXT) | instid1(VALU_DEP_1)
	v_and_b32_e32 v2, 0x7f, v3
	v_cmpx_ne_u32_e32 0x7f, v2
	s_cbranch_execz .LBB368_728
; %bb.725:                              ;   in Loop: Header=BB368_10 Depth=1
	v_dual_lshrrev_b32 v4, 3, v2 :: v_dual_bitop2_b32 v16, 7, v3 bitop3:0x40
	v_cmp_gt_u32_e64 s1, 8, v2
	s_delay_alu instid0(VALU_DEP_2)
	v_mov_b64_e32 v[2:3], v[16:17]
	s_and_saveexec_b32 s18, s1
; %bb.726:                              ;   in Loop: Header=BB368_10 Depth=1
	v_clz_i32_u32_e32 v2, v16
	s_delay_alu instid0(VALU_DEP_1) | instskip(NEXT) | instid1(VALU_DEP_1)
	v_min_u32_e32 v4, 32, v2
	v_subrev_nc_u32_e32 v2, 28, v4
	s_delay_alu instid0(VALU_DEP_1) | instskip(NEXT) | instid1(VALU_DEP_1)
	v_lshlrev_b64_e32 v[2:3], v2, v[16:17]
	v_dual_sub_nc_u32 v4, 29, v4 :: v_dual_bitop2_b32 v2, 7, v2 bitop3:0x40
; %bb.727:                              ;   in Loop: Header=BB368_10 Depth=1
	s_or_b32 exec_lo, exec_lo, s18
	s_delay_alu instid0(VALU_DEP_1) | instskip(NEXT) | instid1(VALU_DEP_2)
	v_dual_lshlrev_b32 v3, 16, v0 :: v_dual_lshlrev_b32 v2, 20, v2
	v_lshl_add_u32 v4, v4, 23, 0x3c000000
	s_delay_alu instid0(VALU_DEP_2) | instskip(NEXT) | instid1(VALU_DEP_1)
	v_and_b32_e32 v3, 0x80000000, v3
	v_or3_b32 v39, v2, v3, v4
.LBB368_728:                            ;   in Loop: Header=BB368_10 Depth=1
	s_or_b32 exec_lo, exec_lo, s17
.LBB368_729:                            ;   in Loop: Header=BB368_10 Depth=1
	s_delay_alu instid0(SALU_CYCLE_1)
	s_or_b32 exec_lo, exec_lo, s16
.LBB368_730:                            ;   in Loop: Header=BB368_10 Depth=1
	s_delay_alu instid0(SALU_CYCLE_1) | instskip(SKIP_2) | instid1(VALU_DEP_1)
	s_or_b32 exec_lo, exec_lo, s15
	v_lshrrev_b32_e32 v4, 16, v0
	s_mov_b32 s15, exec_lo
	v_and_b32_e32 v2, 0xff, v4
	s_delay_alu instid0(VALU_DEP_1)
	v_cmpx_ne_u16_e32 0, v2
	s_cbranch_execz .LBB368_738
; %bb.731:                              ;   in Loop: Header=BB368_10 Depth=1
	v_bfrev_b32_e32 v90, 1
	s_mov_b32 s16, exec_lo
	v_cmpx_ne_u16_e32 0x80, v2
	s_cbranch_execz .LBB368_737
; %bb.732:                              ;   in Loop: Header=BB368_10 Depth=1
	v_bfe_u32 v2, v0, 16, 7
	v_mov_b32_e32 v90, 0x7f800001
	s_mov_b32 s17, exec_lo
	s_delay_alu instid0(VALU_DEP_2)
	v_cmpx_ne_u32_e32 0x7f, v2
	s_cbranch_execz .LBB368_736
; %bb.733:                              ;   in Loop: Header=BB368_10 Depth=1
	v_dual_lshrrev_b32 v6, 3, v2 :: v_dual_bitop2_b32 v16, 7, v4 bitop3:0x40
	v_cmp_gt_u32_e64 s1, 8, v2
	s_delay_alu instid0(VALU_DEP_2)
	v_mov_b64_e32 v[2:3], v[16:17]
	s_and_saveexec_b32 s18, s1
; %bb.734:                              ;   in Loop: Header=BB368_10 Depth=1
	v_clz_i32_u32_e32 v2, v16
	s_delay_alu instid0(VALU_DEP_1) | instskip(NEXT) | instid1(VALU_DEP_1)
	v_min_u32_e32 v6, 32, v2
	v_subrev_nc_u32_e32 v2, 28, v6
	v_sub_nc_u32_e32 v6, 29, v6
	s_delay_alu instid0(VALU_DEP_2) | instskip(NEXT) | instid1(VALU_DEP_1)
	v_lshlrev_b64_e32 v[2:3], v2, v[16:17]
	v_and_b32_e32 v2, 7, v2
; %bb.735:                              ;   in Loop: Header=BB368_10 Depth=1
	s_or_b32 exec_lo, exec_lo, s18
	s_delay_alu instid0(VALU_DEP_1) | instskip(SKIP_1) | instid1(VALU_DEP_2)
	v_dual_lshlrev_b32 v3, 24, v4 :: v_dual_lshlrev_b32 v2, 20, v2
	v_lshl_add_u32 v4, v6, 23, 0x3c000000
	v_and_b32_e32 v3, 0x80000000, v3
	s_delay_alu instid0(VALU_DEP_1)
	v_or3_b32 v90, v2, v3, v4
.LBB368_736:                            ;   in Loop: Header=BB368_10 Depth=1
	s_or_b32 exec_lo, exec_lo, s17
.LBB368_737:                            ;   in Loop: Header=BB368_10 Depth=1
	s_delay_alu instid0(SALU_CYCLE_1)
	s_or_b32 exec_lo, exec_lo, s16
.LBB368_738:                            ;   in Loop: Header=BB368_10 Depth=1
	s_delay_alu instid0(SALU_CYCLE_1)
	s_or_b32 exec_lo, exec_lo, s15
	v_dual_mov_b32 v66, 0 :: v_dual_mov_b32 v91, 0
	s_mov_b32 s15, exec_lo
	v_cmpx_lt_u32_e32 0xffffff, v0
	s_cbranch_execz .LBB368_746
; %bb.739:                              ;   in Loop: Header=BB368_10 Depth=1
	v_lshrrev_b32_e32 v4, 24, v0
	v_bfrev_b32_e32 v91, 1
	s_mov_b32 s16, exec_lo
	s_delay_alu instid0(VALU_DEP_2)
	v_cmpx_ne_u32_e32 0x80, v4
	s_cbranch_execz .LBB368_745
; %bb.740:                              ;   in Loop: Header=BB368_10 Depth=1
	v_bfe_u32 v2, v0, 24, 7
	v_mov_b32_e32 v91, 0x7f800001
	s_mov_b32 s17, exec_lo
	s_delay_alu instid0(VALU_DEP_2)
	v_cmpx_ne_u32_e32 0x7f, v2
	s_cbranch_execz .LBB368_744
; %bb.741:                              ;   in Loop: Header=BB368_10 Depth=1
	v_dual_lshrrev_b32 v6, 3, v2 :: v_dual_bitop2_b32 v16, 7, v4 bitop3:0x40
	v_cmp_gt_u32_e64 s1, 8, v2
	s_delay_alu instid0(VALU_DEP_2)
	v_mov_b64_e32 v[2:3], v[16:17]
	s_and_saveexec_b32 s18, s1
; %bb.742:                              ;   in Loop: Header=BB368_10 Depth=1
	v_clz_i32_u32_e32 v2, v16
	s_delay_alu instid0(VALU_DEP_1) | instskip(NEXT) | instid1(VALU_DEP_1)
	v_min_u32_e32 v6, 32, v2
	v_subrev_nc_u32_e32 v2, 28, v6
	v_sub_nc_u32_e32 v6, 29, v6
	s_delay_alu instid0(VALU_DEP_2) | instskip(NEXT) | instid1(VALU_DEP_1)
	v_lshlrev_b64_e32 v[2:3], v2, v[16:17]
	v_and_b32_e32 v2, 7, v2
; %bb.743:                              ;   in Loop: Header=BB368_10 Depth=1
	s_or_b32 exec_lo, exec_lo, s18
	s_delay_alu instid0(VALU_DEP_1) | instskip(SKIP_1) | instid1(VALU_DEP_2)
	v_dual_lshlrev_b32 v3, 24, v4 :: v_dual_lshlrev_b32 v2, 20, v2
	v_lshl_add_u32 v4, v6, 23, 0x3c000000
	v_and_b32_e32 v3, 0x80000000, v3
	s_delay_alu instid0(VALU_DEP_1)
	v_or3_b32 v91, v2, v3, v4
.LBB368_744:                            ;   in Loop: Header=BB368_10 Depth=1
	s_or_b32 exec_lo, exec_lo, s17
.LBB368_745:                            ;   in Loop: Header=BB368_10 Depth=1
	s_delay_alu instid0(SALU_CYCLE_1)
	s_or_b32 exec_lo, exec_lo, s16
.LBB368_746:                            ;   in Loop: Header=BB368_10 Depth=1
	s_delay_alu instid0(SALU_CYCLE_1) | instskip(SKIP_3) | instid1(VALU_DEP_2)
	s_or_b32 exec_lo, exec_lo, s15
	v_and_b32_e32 v2, 0xff, v1
	v_mov_b32_e32 v16, v1
	s_mov_b32 s15, exec_lo
	v_cmpx_ne_u16_e32 0, v2
	s_cbranch_execz .LBB368_754
; %bb.747:                              ;   in Loop: Header=BB368_10 Depth=1
	v_bfrev_b32_e32 v66, 1
	s_mov_b32 s16, exec_lo
	v_cmpx_ne_u16_e32 0x80, v2
	s_cbranch_execz .LBB368_753
; %bb.748:                              ;   in Loop: Header=BB368_10 Depth=1
	v_and_b32_e32 v2, 0x7f, v1
	v_mov_b32_e32 v66, 0x7f800001
	s_mov_b32 s17, exec_lo
	s_delay_alu instid0(VALU_DEP_2)
	v_cmpx_ne_u32_e32 0x7f, v2
	s_cbranch_execz .LBB368_752
; %bb.749:                              ;   in Loop: Header=BB368_10 Depth=1
	v_lshrrev_b32_e32 v4, 3, v2
	v_cmp_gt_u32_e64 s1, 8, v2
	v_mov_b64_e32 v[2:3], v[16:17]
	s_and_saveexec_b32 s18, s1
; %bb.750:                              ;   in Loop: Header=BB368_10 Depth=1
	v_and_b32_e32 v2, 7, v1
	s_delay_alu instid0(VALU_DEP_1) | instskip(NEXT) | instid1(VALU_DEP_1)
	v_clz_i32_u32_e32 v2, v2
	v_min_u32_e32 v4, 32, v2
	s_delay_alu instid0(VALU_DEP_1) | instskip(SKIP_1) | instid1(VALU_DEP_2)
	v_subrev_nc_u32_e32 v2, 28, v4
	v_sub_nc_u32_e32 v4, 29, v4
	v_lshlrev_b64_e32 v[2:3], v2, v[16:17]
; %bb.751:                              ;   in Loop: Header=BB368_10 Depth=1
	s_or_b32 exec_lo, exec_lo, s18
	s_delay_alu instid0(VALU_DEP_1) | instskip(NEXT) | instid1(VALU_DEP_3)
	v_dual_lshlrev_b32 v2, 20, v2 :: v_dual_lshlrev_b32 v3, 24, v16
	v_lshl_add_u32 v4, v4, 23, 0x3c000000
	s_delay_alu instid0(VALU_DEP_2) | instskip(NEXT) | instid1(VALU_DEP_3)
	v_and_b32_e32 v2, 0x700000, v2
	v_and_b32_e32 v3, 0x80000000, v3
	s_delay_alu instid0(VALU_DEP_1)
	v_or3_b32 v66, v2, v3, v4
.LBB368_752:                            ;   in Loop: Header=BB368_10 Depth=1
	s_or_b32 exec_lo, exec_lo, s17
.LBB368_753:                            ;   in Loop: Header=BB368_10 Depth=1
	s_delay_alu instid0(SALU_CYCLE_1)
	s_or_b32 exec_lo, exec_lo, s16
.LBB368_754:                            ;   in Loop: Header=BB368_10 Depth=1
	s_delay_alu instid0(SALU_CYCLE_1) | instskip(SKIP_3) | instid1(VALU_DEP_2)
	s_or_b32 exec_lo, exec_lo, s15
	v_lshrrev_b16 v2, 8, v16
	v_dual_mov_b32 v94, 0 :: v_dual_mov_b32 v67, 0
	s_mov_b32 s15, exec_lo
	v_cmpx_ne_u16_e32 0, v2
	s_cbranch_execz .LBB368_762
; %bb.755:                              ;   in Loop: Header=BB368_10 Depth=1
	v_bfrev_b32_e32 v67, 1
	s_mov_b32 s16, exec_lo
	v_cmpx_ne_u16_e32 0x80, v2
	s_cbranch_execz .LBB368_761
; %bb.756:                              ;   in Loop: Header=BB368_10 Depth=1
	v_and_b32_e32 v2, 0xffff, v2
	v_mov_b32_e32 v67, 0x7f800001
	s_mov_b32 s17, exec_lo
	s_delay_alu instid0(VALU_DEP_2) | instskip(NEXT) | instid1(VALU_DEP_1)
	v_and_b32_e32 v6, 0x7f, v2
	v_cmpx_ne_u32_e32 0x7f, v6
	s_cbranch_execz .LBB368_760
; %bb.757:                              ;   in Loop: Header=BB368_10 Depth=1
	v_dual_mov_b32 v3, v17 :: v_dual_bitop2_b32 v2, 7, v2 bitop3:0x40
	v_lshrrev_b32_e32 v4, 3, v6
	s_mov_b32 s18, exec_lo
	v_cmpx_gt_u32_e32 8, v6
; %bb.758:                              ;   in Loop: Header=BB368_10 Depth=1
	s_delay_alu instid0(VALU_DEP_3) | instskip(NEXT) | instid1(VALU_DEP_1)
	v_clz_i32_u32_e32 v4, v2
	v_min_u32_e32 v4, 32, v4
	s_delay_alu instid0(VALU_DEP_1) | instskip(NEXT) | instid1(VALU_DEP_1)
	v_subrev_nc_u32_e32 v6, 28, v4
	v_lshlrev_b64_e32 v[2:3], v6, v[2:3]
	s_delay_alu instid0(VALU_DEP_1)
	v_dual_sub_nc_u32 v4, 29, v4 :: v_dual_bitop2_b32 v2, 7, v2 bitop3:0x40
; %bb.759:                              ;   in Loop: Header=BB368_10 Depth=1
	s_or_b32 exec_lo, exec_lo, s18
	s_delay_alu instid0(VALU_DEP_1) | instskip(NEXT) | instid1(VALU_DEP_2)
	v_dual_lshlrev_b32 v3, 16, v16 :: v_dual_lshlrev_b32 v2, 20, v2
	v_lshl_add_u32 v4, v4, 23, 0x3c000000
	s_delay_alu instid0(VALU_DEP_2) | instskip(NEXT) | instid1(VALU_DEP_1)
	v_and_b32_e32 v3, 0x80000000, v3
	v_or3_b32 v67, v2, v3, v4
.LBB368_760:                            ;   in Loop: Header=BB368_10 Depth=1
	s_or_b32 exec_lo, exec_lo, s17
.LBB368_761:                            ;   in Loop: Header=BB368_10 Depth=1
	s_delay_alu instid0(SALU_CYCLE_1)
	s_or_b32 exec_lo, exec_lo, s16
.LBB368_762:                            ;   in Loop: Header=BB368_10 Depth=1
	s_delay_alu instid0(SALU_CYCLE_1) | instskip(SKIP_2) | instid1(VALU_DEP_1)
	s_or_b32 exec_lo, exec_lo, s15
	v_lshrrev_b32_e32 v4, 16, v1
	s_mov_b32 s15, exec_lo
	v_and_b32_e32 v2, 0xff, v4
	s_delay_alu instid0(VALU_DEP_1)
	v_cmpx_ne_u16_e32 0, v2
	s_cbranch_execz .LBB368_770
; %bb.763:                              ;   in Loop: Header=BB368_10 Depth=1
	v_bfrev_b32_e32 v94, 1
	s_mov_b32 s16, exec_lo
	v_cmpx_ne_u16_e32 0x80, v2
	s_cbranch_execz .LBB368_769
; %bb.764:                              ;   in Loop: Header=BB368_10 Depth=1
	v_bfe_u32 v2, v1, 16, 7
	v_mov_b32_e32 v94, 0x7f800001
	s_mov_b32 s17, exec_lo
	s_delay_alu instid0(VALU_DEP_2)
	v_cmpx_ne_u32_e32 0x7f, v2
	s_cbranch_execz .LBB368_768
; %bb.765:                              ;   in Loop: Header=BB368_10 Depth=1
	v_dual_lshrrev_b32 v6, 3, v2 :: v_dual_bitop2_b32 v16, 7, v4 bitop3:0x40
	v_cmp_gt_u32_e64 s1, 8, v2
	s_delay_alu instid0(VALU_DEP_2)
	v_mov_b64_e32 v[2:3], v[16:17]
	s_and_saveexec_b32 s18, s1
; %bb.766:                              ;   in Loop: Header=BB368_10 Depth=1
	v_clz_i32_u32_e32 v2, v16
	s_delay_alu instid0(VALU_DEP_1) | instskip(NEXT) | instid1(VALU_DEP_1)
	v_min_u32_e32 v6, 32, v2
	v_subrev_nc_u32_e32 v2, 28, v6
	v_sub_nc_u32_e32 v6, 29, v6
	s_delay_alu instid0(VALU_DEP_2) | instskip(NEXT) | instid1(VALU_DEP_1)
	v_lshlrev_b64_e32 v[2:3], v2, v[16:17]
	v_and_b32_e32 v2, 7, v2
; %bb.767:                              ;   in Loop: Header=BB368_10 Depth=1
	s_or_b32 exec_lo, exec_lo, s18
	s_delay_alu instid0(VALU_DEP_1) | instskip(SKIP_1) | instid1(VALU_DEP_2)
	v_dual_lshlrev_b32 v3, 24, v4 :: v_dual_lshlrev_b32 v2, 20, v2
	v_lshl_add_u32 v4, v6, 23, 0x3c000000
	v_and_b32_e32 v3, 0x80000000, v3
	s_delay_alu instid0(VALU_DEP_1)
	v_or3_b32 v94, v2, v3, v4
.LBB368_768:                            ;   in Loop: Header=BB368_10 Depth=1
	s_or_b32 exec_lo, exec_lo, s17
.LBB368_769:                            ;   in Loop: Header=BB368_10 Depth=1
	s_delay_alu instid0(SALU_CYCLE_1)
	s_or_b32 exec_lo, exec_lo, s16
.LBB368_770:                            ;   in Loop: Header=BB368_10 Depth=1
	s_delay_alu instid0(SALU_CYCLE_1)
	s_or_b32 exec_lo, exec_lo, s15
	v_dual_mov_b32 v104, 0 :: v_dual_mov_b32 v95, 0
	s_mov_b32 s15, exec_lo
	v_cmpx_lt_u64_e64 s[2:3], v[0:1]
	s_cbranch_execz .LBB368_778
; %bb.771:                              ;   in Loop: Header=BB368_10 Depth=1
	v_lshrrev_b32_e32 v2, 24, v1
	v_bfrev_b32_e32 v95, 1
	s_mov_b32 s16, exec_lo
	s_delay_alu instid0(VALU_DEP_2)
	v_cmpx_ne_u32_e32 0x80, v2
	s_cbranch_execz .LBB368_777
; %bb.772:                              ;   in Loop: Header=BB368_10 Depth=1
	v_bfe_u32 v0, v1, 24, 7
	v_mov_b32_e32 v95, 0x7f800001
	s_mov_b32 s17, exec_lo
	s_delay_alu instid0(VALU_DEP_2)
	v_cmpx_ne_u32_e32 0x7f, v0
	s_cbranch_execz .LBB368_776
; %bb.773:                              ;   in Loop: Header=BB368_10 Depth=1
	v_dual_lshrrev_b32 v3, 3, v0 :: v_dual_bitop2_b32 v16, 7, v2 bitop3:0x40
	v_cmp_gt_u32_e64 s1, 8, v0
	s_delay_alu instid0(VALU_DEP_2)
	v_mov_b64_e32 v[0:1], v[16:17]
	s_and_saveexec_b32 s18, s1
; %bb.774:                              ;   in Loop: Header=BB368_10 Depth=1
	v_clz_i32_u32_e32 v0, v16
	s_delay_alu instid0(VALU_DEP_1) | instskip(NEXT) | instid1(VALU_DEP_1)
	v_min_u32_e32 v3, 32, v0
	v_subrev_nc_u32_e32 v0, 28, v3
	s_delay_alu instid0(VALU_DEP_1) | instskip(NEXT) | instid1(VALU_DEP_1)
	v_lshlrev_b64_e32 v[0:1], v0, v[16:17]
	v_dual_sub_nc_u32 v3, 29, v3 :: v_dual_bitop2_b32 v0, 7, v0 bitop3:0x40
; %bb.775:                              ;   in Loop: Header=BB368_10 Depth=1
	s_or_b32 exec_lo, exec_lo, s18
	s_delay_alu instid0(VALU_DEP_1) | instskip(NEXT) | instid1(VALU_DEP_2)
	v_dual_lshlrev_b32 v1, 24, v2 :: v_dual_lshlrev_b32 v0, 20, v0
	v_lshl_add_u32 v2, v3, 23, 0x3c000000
	s_delay_alu instid0(VALU_DEP_2) | instskip(NEXT) | instid1(VALU_DEP_1)
	v_and_b32_e32 v1, 0x80000000, v1
	v_or3_b32 v95, v0, v1, v2
.LBB368_776:                            ;   in Loop: Header=BB368_10 Depth=1
	s_or_b32 exec_lo, exec_lo, s17
.LBB368_777:                            ;   in Loop: Header=BB368_10 Depth=1
	s_delay_alu instid0(SALU_CYCLE_1)
	s_or_b32 exec_lo, exec_lo, s16
.LBB368_778:                            ;   in Loop: Header=BB368_10 Depth=1
	s_delay_alu instid0(SALU_CYCLE_1)
	s_or_b32 exec_lo, exec_lo, s15
	flat_load_b64 v[0:1], v[70:71] offset:3072
	s_mov_b32 s15, exec_lo
	s_wait_loadcnt_dscnt 0x0
	v_and_b32_e32 v2, 0xff, v0
	s_wait_xcnt 0x0
	s_delay_alu instid0(VALU_DEP_1)
	v_cmpx_ne_u16_e32 0, v2
	s_cbranch_execz .LBB368_786
; %bb.779:                              ;   in Loop: Header=BB368_10 Depth=1
	v_bfrev_b32_e32 v104, 1
	s_mov_b32 s16, exec_lo
	v_cmpx_ne_u16_e32 0x80, v2
	s_cbranch_execz .LBB368_785
; %bb.780:                              ;   in Loop: Header=BB368_10 Depth=1
	v_and_b32_e32 v2, 0x7f, v0
	v_mov_b32_e32 v104, 0x7f800001
	s_mov_b32 s17, exec_lo
	s_delay_alu instid0(VALU_DEP_2)
	v_cmpx_ne_u32_e32 0x7f, v2
	s_cbranch_execz .LBB368_784
; %bb.781:                              ;   in Loop: Header=BB368_10 Depth=1
	v_lshrrev_b32_e32 v4, 3, v2
	v_cmp_gt_u32_e64 s1, 8, v2
	v_mov_b64_e32 v[2:3], v[0:1]
	s_and_saveexec_b32 s18, s1
; %bb.782:                              ;   in Loop: Header=BB368_10 Depth=1
	v_and_b32_e32 v2, 7, v0
	s_delay_alu instid0(VALU_DEP_1) | instskip(NEXT) | instid1(VALU_DEP_1)
	v_clz_i32_u32_e32 v2, v2
	v_min_u32_e32 v4, 32, v2
	s_delay_alu instid0(VALU_DEP_1) | instskip(SKIP_1) | instid1(VALU_DEP_2)
	v_subrev_nc_u32_e32 v2, 28, v4
	v_sub_nc_u32_e32 v4, 29, v4
	v_lshlrev_b64_e32 v[2:3], v2, v[0:1]
; %bb.783:                              ;   in Loop: Header=BB368_10 Depth=1
	s_or_b32 exec_lo, exec_lo, s18
	s_delay_alu instid0(VALU_DEP_1) | instskip(NEXT) | instid1(VALU_DEP_3)
	v_dual_lshlrev_b32 v2, 20, v2 :: v_dual_lshlrev_b32 v3, 24, v0
	v_lshl_add_u32 v4, v4, 23, 0x3c000000
	s_delay_alu instid0(VALU_DEP_2) | instskip(NEXT) | instid1(VALU_DEP_3)
	v_and_b32_e32 v2, 0x700000, v2
	v_and_b32_e32 v3, 0x80000000, v3
	s_delay_alu instid0(VALU_DEP_1)
	v_or3_b32 v104, v2, v3, v4
.LBB368_784:                            ;   in Loop: Header=BB368_10 Depth=1
	s_or_b32 exec_lo, exec_lo, s17
.LBB368_785:                            ;   in Loop: Header=BB368_10 Depth=1
	s_delay_alu instid0(SALU_CYCLE_1)
	s_or_b32 exec_lo, exec_lo, s16
.LBB368_786:                            ;   in Loop: Header=BB368_10 Depth=1
	s_delay_alu instid0(SALU_CYCLE_1) | instskip(SKIP_3) | instid1(VALU_DEP_2)
	s_or_b32 exec_lo, exec_lo, s15
	v_lshrrev_b16 v2, 8, v0
	v_dual_mov_b32 v106, 0 :: v_dual_mov_b32 v105, 0
	s_mov_b32 s15, exec_lo
	v_cmpx_ne_u16_e32 0, v2
	s_cbranch_execz .LBB368_794
; %bb.787:                              ;   in Loop: Header=BB368_10 Depth=1
	v_bfrev_b32_e32 v105, 1
	s_mov_b32 s16, exec_lo
	v_cmpx_ne_u16_e32 0x80, v2
	s_cbranch_execz .LBB368_793
; %bb.788:                              ;   in Loop: Header=BB368_10 Depth=1
	v_and_b32_e32 v3, 0xffff, v2
	v_mov_b32_e32 v105, 0x7f800001
	s_mov_b32 s17, exec_lo
	s_delay_alu instid0(VALU_DEP_2) | instskip(NEXT) | instid1(VALU_DEP_1)
	v_and_b32_e32 v2, 0x7f, v3
	v_cmpx_ne_u32_e32 0x7f, v2
	s_cbranch_execz .LBB368_792
; %bb.789:                              ;   in Loop: Header=BB368_10 Depth=1
	v_dual_lshrrev_b32 v4, 3, v2 :: v_dual_bitop2_b32 v16, 7, v3 bitop3:0x40
	v_cmp_gt_u32_e64 s1, 8, v2
	s_delay_alu instid0(VALU_DEP_2)
	v_mov_b64_e32 v[2:3], v[16:17]
	s_and_saveexec_b32 s18, s1
; %bb.790:                              ;   in Loop: Header=BB368_10 Depth=1
	v_clz_i32_u32_e32 v2, v16
	s_delay_alu instid0(VALU_DEP_1) | instskip(NEXT) | instid1(VALU_DEP_1)
	v_min_u32_e32 v4, 32, v2
	v_subrev_nc_u32_e32 v2, 28, v4
	s_delay_alu instid0(VALU_DEP_1) | instskip(NEXT) | instid1(VALU_DEP_1)
	v_lshlrev_b64_e32 v[2:3], v2, v[16:17]
	v_dual_sub_nc_u32 v4, 29, v4 :: v_dual_bitop2_b32 v2, 7, v2 bitop3:0x40
; %bb.791:                              ;   in Loop: Header=BB368_10 Depth=1
	s_or_b32 exec_lo, exec_lo, s18
	s_delay_alu instid0(VALU_DEP_1) | instskip(NEXT) | instid1(VALU_DEP_2)
	v_dual_lshlrev_b32 v3, 16, v0 :: v_dual_lshlrev_b32 v2, 20, v2
	v_lshl_add_u32 v4, v4, 23, 0x3c000000
	s_delay_alu instid0(VALU_DEP_2) | instskip(NEXT) | instid1(VALU_DEP_1)
	v_and_b32_e32 v3, 0x80000000, v3
	v_or3_b32 v105, v2, v3, v4
.LBB368_792:                            ;   in Loop: Header=BB368_10 Depth=1
	s_or_b32 exec_lo, exec_lo, s17
.LBB368_793:                            ;   in Loop: Header=BB368_10 Depth=1
	s_delay_alu instid0(SALU_CYCLE_1)
	s_or_b32 exec_lo, exec_lo, s16
.LBB368_794:                            ;   in Loop: Header=BB368_10 Depth=1
	s_delay_alu instid0(SALU_CYCLE_1) | instskip(SKIP_2) | instid1(VALU_DEP_1)
	s_or_b32 exec_lo, exec_lo, s15
	v_lshrrev_b32_e32 v4, 16, v0
	s_mov_b32 s15, exec_lo
	v_and_b32_e32 v2, 0xff, v4
	s_delay_alu instid0(VALU_DEP_1)
	v_cmpx_ne_u16_e32 0, v2
	s_cbranch_execz .LBB368_802
; %bb.795:                              ;   in Loop: Header=BB368_10 Depth=1
	v_bfrev_b32_e32 v106, 1
	s_mov_b32 s16, exec_lo
	v_cmpx_ne_u16_e32 0x80, v2
	s_cbranch_execz .LBB368_801
; %bb.796:                              ;   in Loop: Header=BB368_10 Depth=1
	v_bfe_u32 v2, v0, 16, 7
	v_mov_b32_e32 v106, 0x7f800001
	s_mov_b32 s17, exec_lo
	s_delay_alu instid0(VALU_DEP_2)
	v_cmpx_ne_u32_e32 0x7f, v2
	s_cbranch_execz .LBB368_800
; %bb.797:                              ;   in Loop: Header=BB368_10 Depth=1
	v_dual_lshrrev_b32 v6, 3, v2 :: v_dual_bitop2_b32 v16, 7, v4 bitop3:0x40
	v_cmp_gt_u32_e64 s1, 8, v2
	s_delay_alu instid0(VALU_DEP_2)
	v_mov_b64_e32 v[2:3], v[16:17]
	s_and_saveexec_b32 s18, s1
; %bb.798:                              ;   in Loop: Header=BB368_10 Depth=1
	v_clz_i32_u32_e32 v2, v16
	s_delay_alu instid0(VALU_DEP_1) | instskip(NEXT) | instid1(VALU_DEP_1)
	v_min_u32_e32 v6, 32, v2
	v_subrev_nc_u32_e32 v2, 28, v6
	v_sub_nc_u32_e32 v6, 29, v6
	s_delay_alu instid0(VALU_DEP_2) | instskip(NEXT) | instid1(VALU_DEP_1)
	v_lshlrev_b64_e32 v[2:3], v2, v[16:17]
	v_and_b32_e32 v2, 7, v2
; %bb.799:                              ;   in Loop: Header=BB368_10 Depth=1
	s_or_b32 exec_lo, exec_lo, s18
	s_delay_alu instid0(VALU_DEP_1) | instskip(SKIP_1) | instid1(VALU_DEP_2)
	v_dual_lshlrev_b32 v3, 24, v4 :: v_dual_lshlrev_b32 v2, 20, v2
	v_lshl_add_u32 v4, v6, 23, 0x3c000000
	v_and_b32_e32 v3, 0x80000000, v3
	s_delay_alu instid0(VALU_DEP_1)
	v_or3_b32 v106, v2, v3, v4
.LBB368_800:                            ;   in Loop: Header=BB368_10 Depth=1
	s_or_b32 exec_lo, exec_lo, s17
.LBB368_801:                            ;   in Loop: Header=BB368_10 Depth=1
	s_delay_alu instid0(SALU_CYCLE_1)
	s_or_b32 exec_lo, exec_lo, s16
.LBB368_802:                            ;   in Loop: Header=BB368_10 Depth=1
	s_delay_alu instid0(SALU_CYCLE_1)
	s_or_b32 exec_lo, exec_lo, s15
	v_dual_mov_b32 v68, 0 :: v_dual_mov_b32 v107, 0
	s_mov_b32 s15, exec_lo
	v_cmpx_lt_u32_e32 0xffffff, v0
	s_cbranch_execz .LBB368_810
; %bb.803:                              ;   in Loop: Header=BB368_10 Depth=1
	v_lshrrev_b32_e32 v4, 24, v0
	v_bfrev_b32_e32 v107, 1
	s_mov_b32 s16, exec_lo
	s_delay_alu instid0(VALU_DEP_2)
	v_cmpx_ne_u32_e32 0x80, v4
	s_cbranch_execz .LBB368_809
; %bb.804:                              ;   in Loop: Header=BB368_10 Depth=1
	v_bfe_u32 v2, v0, 24, 7
	v_mov_b32_e32 v107, 0x7f800001
	s_mov_b32 s17, exec_lo
	s_delay_alu instid0(VALU_DEP_2)
	v_cmpx_ne_u32_e32 0x7f, v2
	s_cbranch_execz .LBB368_808
; %bb.805:                              ;   in Loop: Header=BB368_10 Depth=1
	v_dual_lshrrev_b32 v6, 3, v2 :: v_dual_bitop2_b32 v16, 7, v4 bitop3:0x40
	v_cmp_gt_u32_e64 s1, 8, v2
	s_delay_alu instid0(VALU_DEP_2)
	v_mov_b64_e32 v[2:3], v[16:17]
	s_and_saveexec_b32 s18, s1
; %bb.806:                              ;   in Loop: Header=BB368_10 Depth=1
	v_clz_i32_u32_e32 v2, v16
	s_delay_alu instid0(VALU_DEP_1) | instskip(NEXT) | instid1(VALU_DEP_1)
	v_min_u32_e32 v6, 32, v2
	v_subrev_nc_u32_e32 v2, 28, v6
	v_sub_nc_u32_e32 v6, 29, v6
	s_delay_alu instid0(VALU_DEP_2) | instskip(NEXT) | instid1(VALU_DEP_1)
	v_lshlrev_b64_e32 v[2:3], v2, v[16:17]
	v_and_b32_e32 v2, 7, v2
; %bb.807:                              ;   in Loop: Header=BB368_10 Depth=1
	s_or_b32 exec_lo, exec_lo, s18
	s_delay_alu instid0(VALU_DEP_1) | instskip(SKIP_1) | instid1(VALU_DEP_2)
	v_dual_lshlrev_b32 v3, 24, v4 :: v_dual_lshlrev_b32 v2, 20, v2
	v_lshl_add_u32 v4, v6, 23, 0x3c000000
	v_and_b32_e32 v3, 0x80000000, v3
	s_delay_alu instid0(VALU_DEP_1)
	v_or3_b32 v107, v2, v3, v4
.LBB368_808:                            ;   in Loop: Header=BB368_10 Depth=1
	s_or_b32 exec_lo, exec_lo, s17
.LBB368_809:                            ;   in Loop: Header=BB368_10 Depth=1
	s_delay_alu instid0(SALU_CYCLE_1)
	s_or_b32 exec_lo, exec_lo, s16
.LBB368_810:                            ;   in Loop: Header=BB368_10 Depth=1
	s_delay_alu instid0(SALU_CYCLE_1) | instskip(SKIP_3) | instid1(VALU_DEP_2)
	s_or_b32 exec_lo, exec_lo, s15
	v_and_b32_e32 v2, 0xff, v1
	v_mov_b32_e32 v16, v1
	s_mov_b32 s15, exec_lo
	v_cmpx_ne_u16_e32 0, v2
	s_cbranch_execz .LBB368_818
; %bb.811:                              ;   in Loop: Header=BB368_10 Depth=1
	v_bfrev_b32_e32 v68, 1
	s_mov_b32 s16, exec_lo
	v_cmpx_ne_u16_e32 0x80, v2
	s_cbranch_execz .LBB368_817
; %bb.812:                              ;   in Loop: Header=BB368_10 Depth=1
	v_and_b32_e32 v2, 0x7f, v1
	v_mov_b32_e32 v68, 0x7f800001
	s_mov_b32 s17, exec_lo
	s_delay_alu instid0(VALU_DEP_2)
	v_cmpx_ne_u32_e32 0x7f, v2
	s_cbranch_execz .LBB368_816
; %bb.813:                              ;   in Loop: Header=BB368_10 Depth=1
	v_lshrrev_b32_e32 v4, 3, v2
	v_cmp_gt_u32_e64 s1, 8, v2
	v_mov_b64_e32 v[2:3], v[16:17]
	s_and_saveexec_b32 s18, s1
; %bb.814:                              ;   in Loop: Header=BB368_10 Depth=1
	v_and_b32_e32 v2, 7, v1
	s_delay_alu instid0(VALU_DEP_1) | instskip(NEXT) | instid1(VALU_DEP_1)
	v_clz_i32_u32_e32 v2, v2
	v_min_u32_e32 v4, 32, v2
	s_delay_alu instid0(VALU_DEP_1) | instskip(SKIP_1) | instid1(VALU_DEP_2)
	v_subrev_nc_u32_e32 v2, 28, v4
	v_sub_nc_u32_e32 v4, 29, v4
	v_lshlrev_b64_e32 v[2:3], v2, v[16:17]
; %bb.815:                              ;   in Loop: Header=BB368_10 Depth=1
	s_or_b32 exec_lo, exec_lo, s18
	s_delay_alu instid0(VALU_DEP_1) | instskip(NEXT) | instid1(VALU_DEP_3)
	v_dual_lshlrev_b32 v2, 20, v2 :: v_dual_lshlrev_b32 v3, 24, v16
	v_lshl_add_u32 v4, v4, 23, 0x3c000000
	s_delay_alu instid0(VALU_DEP_2) | instskip(NEXT) | instid1(VALU_DEP_3)
	v_and_b32_e32 v2, 0x700000, v2
	v_and_b32_e32 v3, 0x80000000, v3
	s_delay_alu instid0(VALU_DEP_1)
	v_or3_b32 v68, v2, v3, v4
.LBB368_816:                            ;   in Loop: Header=BB368_10 Depth=1
	s_or_b32 exec_lo, exec_lo, s17
.LBB368_817:                            ;   in Loop: Header=BB368_10 Depth=1
	s_delay_alu instid0(SALU_CYCLE_1)
	s_or_b32 exec_lo, exec_lo, s16
.LBB368_818:                            ;   in Loop: Header=BB368_10 Depth=1
	s_delay_alu instid0(SALU_CYCLE_1) | instskip(SKIP_3) | instid1(VALU_DEP_2)
	s_or_b32 exec_lo, exec_lo, s15
	v_lshrrev_b16 v2, 8, v16
	v_dual_mov_b32 v110, 0 :: v_dual_mov_b32 v69, 0
	s_mov_b32 s15, exec_lo
	v_cmpx_ne_u16_e32 0, v2
	s_cbranch_execz .LBB368_826
; %bb.819:                              ;   in Loop: Header=BB368_10 Depth=1
	v_bfrev_b32_e32 v69, 1
	s_mov_b32 s16, exec_lo
	v_cmpx_ne_u16_e32 0x80, v2
	s_cbranch_execz .LBB368_825
; %bb.820:                              ;   in Loop: Header=BB368_10 Depth=1
	v_and_b32_e32 v2, 0xffff, v2
	v_mov_b32_e32 v69, 0x7f800001
	s_mov_b32 s17, exec_lo
	s_delay_alu instid0(VALU_DEP_2) | instskip(NEXT) | instid1(VALU_DEP_1)
	v_and_b32_e32 v6, 0x7f, v2
	v_cmpx_ne_u32_e32 0x7f, v6
	s_cbranch_execz .LBB368_824
; %bb.821:                              ;   in Loop: Header=BB368_10 Depth=1
	v_dual_mov_b32 v3, v17 :: v_dual_bitop2_b32 v2, 7, v2 bitop3:0x40
	v_lshrrev_b32_e32 v4, 3, v6
	s_mov_b32 s18, exec_lo
	v_cmpx_gt_u32_e32 8, v6
; %bb.822:                              ;   in Loop: Header=BB368_10 Depth=1
	s_delay_alu instid0(VALU_DEP_3) | instskip(NEXT) | instid1(VALU_DEP_1)
	v_clz_i32_u32_e32 v4, v2
	v_min_u32_e32 v4, 32, v4
	s_delay_alu instid0(VALU_DEP_1) | instskip(NEXT) | instid1(VALU_DEP_1)
	v_subrev_nc_u32_e32 v6, 28, v4
	v_lshlrev_b64_e32 v[2:3], v6, v[2:3]
	s_delay_alu instid0(VALU_DEP_1)
	v_dual_sub_nc_u32 v4, 29, v4 :: v_dual_bitop2_b32 v2, 7, v2 bitop3:0x40
; %bb.823:                              ;   in Loop: Header=BB368_10 Depth=1
	s_or_b32 exec_lo, exec_lo, s18
	s_delay_alu instid0(VALU_DEP_1) | instskip(NEXT) | instid1(VALU_DEP_2)
	v_dual_lshlrev_b32 v3, 16, v16 :: v_dual_lshlrev_b32 v2, 20, v2
	v_lshl_add_u32 v4, v4, 23, 0x3c000000
	s_delay_alu instid0(VALU_DEP_2) | instskip(NEXT) | instid1(VALU_DEP_1)
	v_and_b32_e32 v3, 0x80000000, v3
	v_or3_b32 v69, v2, v3, v4
.LBB368_824:                            ;   in Loop: Header=BB368_10 Depth=1
	s_or_b32 exec_lo, exec_lo, s17
.LBB368_825:                            ;   in Loop: Header=BB368_10 Depth=1
	s_delay_alu instid0(SALU_CYCLE_1)
	s_or_b32 exec_lo, exec_lo, s16
.LBB368_826:                            ;   in Loop: Header=BB368_10 Depth=1
	s_delay_alu instid0(SALU_CYCLE_1) | instskip(SKIP_2) | instid1(VALU_DEP_1)
	s_or_b32 exec_lo, exec_lo, s15
	v_lshrrev_b32_e32 v4, 16, v1
	s_mov_b32 s15, exec_lo
	v_and_b32_e32 v2, 0xff, v4
	s_delay_alu instid0(VALU_DEP_1)
	v_cmpx_ne_u16_e32 0, v2
	s_cbranch_execz .LBB368_834
; %bb.827:                              ;   in Loop: Header=BB368_10 Depth=1
	v_bfrev_b32_e32 v110, 1
	s_mov_b32 s16, exec_lo
	v_cmpx_ne_u16_e32 0x80, v2
	s_cbranch_execz .LBB368_833
; %bb.828:                              ;   in Loop: Header=BB368_10 Depth=1
	v_bfe_u32 v2, v1, 16, 7
	v_mov_b32_e32 v110, 0x7f800001
	s_mov_b32 s17, exec_lo
	s_delay_alu instid0(VALU_DEP_2)
	v_cmpx_ne_u32_e32 0x7f, v2
	s_cbranch_execz .LBB368_832
; %bb.829:                              ;   in Loop: Header=BB368_10 Depth=1
	v_dual_lshrrev_b32 v6, 3, v2 :: v_dual_bitop2_b32 v16, 7, v4 bitop3:0x40
	v_cmp_gt_u32_e64 s1, 8, v2
	s_delay_alu instid0(VALU_DEP_2)
	v_mov_b64_e32 v[2:3], v[16:17]
	s_and_saveexec_b32 s18, s1
; %bb.830:                              ;   in Loop: Header=BB368_10 Depth=1
	v_clz_i32_u32_e32 v2, v16
	s_delay_alu instid0(VALU_DEP_1) | instskip(NEXT) | instid1(VALU_DEP_1)
	v_min_u32_e32 v6, 32, v2
	v_subrev_nc_u32_e32 v2, 28, v6
	v_sub_nc_u32_e32 v6, 29, v6
	s_delay_alu instid0(VALU_DEP_2) | instskip(NEXT) | instid1(VALU_DEP_1)
	v_lshlrev_b64_e32 v[2:3], v2, v[16:17]
	v_and_b32_e32 v2, 7, v2
; %bb.831:                              ;   in Loop: Header=BB368_10 Depth=1
	s_or_b32 exec_lo, exec_lo, s18
	s_delay_alu instid0(VALU_DEP_1) | instskip(SKIP_1) | instid1(VALU_DEP_2)
	v_dual_lshlrev_b32 v3, 24, v4 :: v_dual_lshlrev_b32 v2, 20, v2
	v_lshl_add_u32 v4, v6, 23, 0x3c000000
	v_and_b32_e32 v3, 0x80000000, v3
	s_delay_alu instid0(VALU_DEP_1)
	v_or3_b32 v110, v2, v3, v4
.LBB368_832:                            ;   in Loop: Header=BB368_10 Depth=1
	s_or_b32 exec_lo, exec_lo, s17
.LBB368_833:                            ;   in Loop: Header=BB368_10 Depth=1
	s_delay_alu instid0(SALU_CYCLE_1)
	s_or_b32 exec_lo, exec_lo, s16
.LBB368_834:                            ;   in Loop: Header=BB368_10 Depth=1
	s_delay_alu instid0(SALU_CYCLE_1)
	s_or_b32 exec_lo, exec_lo, s15
	v_dual_mov_b32 v120, 0 :: v_dual_mov_b32 v111, 0
	s_mov_b32 s15, exec_lo
	v_cmpx_lt_u64_e64 s[2:3], v[0:1]
	s_cbranch_execz .LBB368_842
; %bb.835:                              ;   in Loop: Header=BB368_10 Depth=1
	v_lshrrev_b32_e32 v2, 24, v1
	v_bfrev_b32_e32 v111, 1
	s_mov_b32 s16, exec_lo
	s_delay_alu instid0(VALU_DEP_2)
	v_cmpx_ne_u32_e32 0x80, v2
	s_cbranch_execz .LBB368_841
; %bb.836:                              ;   in Loop: Header=BB368_10 Depth=1
	v_bfe_u32 v0, v1, 24, 7
	v_mov_b32_e32 v111, 0x7f800001
	s_mov_b32 s17, exec_lo
	s_delay_alu instid0(VALU_DEP_2)
	v_cmpx_ne_u32_e32 0x7f, v0
	s_cbranch_execz .LBB368_840
; %bb.837:                              ;   in Loop: Header=BB368_10 Depth=1
	v_dual_lshrrev_b32 v3, 3, v0 :: v_dual_bitop2_b32 v16, 7, v2 bitop3:0x40
	v_cmp_gt_u32_e64 s1, 8, v0
	s_delay_alu instid0(VALU_DEP_2)
	v_mov_b64_e32 v[0:1], v[16:17]
	s_and_saveexec_b32 s18, s1
; %bb.838:                              ;   in Loop: Header=BB368_10 Depth=1
	v_clz_i32_u32_e32 v0, v16
	s_delay_alu instid0(VALU_DEP_1) | instskip(NEXT) | instid1(VALU_DEP_1)
	v_min_u32_e32 v3, 32, v0
	v_subrev_nc_u32_e32 v0, 28, v3
	s_delay_alu instid0(VALU_DEP_1) | instskip(NEXT) | instid1(VALU_DEP_1)
	v_lshlrev_b64_e32 v[0:1], v0, v[16:17]
	v_dual_sub_nc_u32 v3, 29, v3 :: v_dual_bitop2_b32 v0, 7, v0 bitop3:0x40
; %bb.839:                              ;   in Loop: Header=BB368_10 Depth=1
	s_or_b32 exec_lo, exec_lo, s18
	s_delay_alu instid0(VALU_DEP_1) | instskip(NEXT) | instid1(VALU_DEP_2)
	v_dual_lshlrev_b32 v1, 24, v2 :: v_dual_lshlrev_b32 v0, 20, v0
	v_lshl_add_u32 v2, v3, 23, 0x3c000000
	s_delay_alu instid0(VALU_DEP_2) | instskip(NEXT) | instid1(VALU_DEP_1)
	v_and_b32_e32 v1, 0x80000000, v1
	v_or3_b32 v111, v0, v1, v2
.LBB368_840:                            ;   in Loop: Header=BB368_10 Depth=1
	s_or_b32 exec_lo, exec_lo, s17
.LBB368_841:                            ;   in Loop: Header=BB368_10 Depth=1
	s_delay_alu instid0(SALU_CYCLE_1)
	s_or_b32 exec_lo, exec_lo, s16
.LBB368_842:                            ;   in Loop: Header=BB368_10 Depth=1
	s_delay_alu instid0(SALU_CYCLE_1)
	s_or_b32 exec_lo, exec_lo, s15
	flat_load_b64 v[0:1], v[70:71] offset:3080
	s_mov_b32 s15, exec_lo
	s_wait_loadcnt_dscnt 0x0
	v_and_b32_e32 v2, 0xff, v0
	s_wait_xcnt 0x0
	s_delay_alu instid0(VALU_DEP_1)
	v_cmpx_ne_u16_e32 0, v2
	s_cbranch_execz .LBB368_850
; %bb.843:                              ;   in Loop: Header=BB368_10 Depth=1
	v_bfrev_b32_e32 v120, 1
	s_mov_b32 s16, exec_lo
	v_cmpx_ne_u16_e32 0x80, v2
	s_cbranch_execz .LBB368_849
; %bb.844:                              ;   in Loop: Header=BB368_10 Depth=1
	v_and_b32_e32 v2, 0x7f, v0
	v_mov_b32_e32 v120, 0x7f800001
	s_mov_b32 s17, exec_lo
	s_delay_alu instid0(VALU_DEP_2)
	v_cmpx_ne_u32_e32 0x7f, v2
	s_cbranch_execz .LBB368_848
; %bb.845:                              ;   in Loop: Header=BB368_10 Depth=1
	v_lshrrev_b32_e32 v4, 3, v2
	v_cmp_gt_u32_e64 s1, 8, v2
	v_mov_b64_e32 v[2:3], v[0:1]
	s_and_saveexec_b32 s18, s1
; %bb.846:                              ;   in Loop: Header=BB368_10 Depth=1
	v_and_b32_e32 v2, 7, v0
	s_delay_alu instid0(VALU_DEP_1) | instskip(NEXT) | instid1(VALU_DEP_1)
	v_clz_i32_u32_e32 v2, v2
	v_min_u32_e32 v4, 32, v2
	s_delay_alu instid0(VALU_DEP_1) | instskip(SKIP_1) | instid1(VALU_DEP_2)
	v_subrev_nc_u32_e32 v2, 28, v4
	v_sub_nc_u32_e32 v4, 29, v4
	v_lshlrev_b64_e32 v[2:3], v2, v[0:1]
; %bb.847:                              ;   in Loop: Header=BB368_10 Depth=1
	s_or_b32 exec_lo, exec_lo, s18
	s_delay_alu instid0(VALU_DEP_1) | instskip(NEXT) | instid1(VALU_DEP_3)
	v_dual_lshlrev_b32 v2, 20, v2 :: v_dual_lshlrev_b32 v3, 24, v0
	v_lshl_add_u32 v4, v4, 23, 0x3c000000
	s_delay_alu instid0(VALU_DEP_2) | instskip(NEXT) | instid1(VALU_DEP_3)
	v_and_b32_e32 v2, 0x700000, v2
	v_and_b32_e32 v3, 0x80000000, v3
	s_delay_alu instid0(VALU_DEP_1)
	v_or3_b32 v120, v2, v3, v4
.LBB368_848:                            ;   in Loop: Header=BB368_10 Depth=1
	s_or_b32 exec_lo, exec_lo, s17
.LBB368_849:                            ;   in Loop: Header=BB368_10 Depth=1
	s_delay_alu instid0(SALU_CYCLE_1)
	s_or_b32 exec_lo, exec_lo, s16
.LBB368_850:                            ;   in Loop: Header=BB368_10 Depth=1
	s_delay_alu instid0(SALU_CYCLE_1) | instskip(SKIP_3) | instid1(VALU_DEP_2)
	s_or_b32 exec_lo, exec_lo, s15
	v_lshrrev_b16 v2, 8, v0
	v_dual_mov_b32 v122, 0 :: v_dual_mov_b32 v121, 0
	s_mov_b32 s15, exec_lo
	v_cmpx_ne_u16_e32 0, v2
	s_cbranch_execz .LBB368_858
; %bb.851:                              ;   in Loop: Header=BB368_10 Depth=1
	v_bfrev_b32_e32 v121, 1
	s_mov_b32 s16, exec_lo
	v_cmpx_ne_u16_e32 0x80, v2
	s_cbranch_execz .LBB368_857
; %bb.852:                              ;   in Loop: Header=BB368_10 Depth=1
	v_and_b32_e32 v3, 0xffff, v2
	v_mov_b32_e32 v121, 0x7f800001
	s_mov_b32 s17, exec_lo
	s_delay_alu instid0(VALU_DEP_2) | instskip(NEXT) | instid1(VALU_DEP_1)
	v_and_b32_e32 v2, 0x7f, v3
	v_cmpx_ne_u32_e32 0x7f, v2
	s_cbranch_execz .LBB368_856
; %bb.853:                              ;   in Loop: Header=BB368_10 Depth=1
	v_dual_lshrrev_b32 v4, 3, v2 :: v_dual_bitop2_b32 v16, 7, v3 bitop3:0x40
	v_cmp_gt_u32_e64 s1, 8, v2
	s_delay_alu instid0(VALU_DEP_2)
	v_mov_b64_e32 v[2:3], v[16:17]
	s_and_saveexec_b32 s18, s1
; %bb.854:                              ;   in Loop: Header=BB368_10 Depth=1
	v_clz_i32_u32_e32 v2, v16
	s_delay_alu instid0(VALU_DEP_1) | instskip(NEXT) | instid1(VALU_DEP_1)
	v_min_u32_e32 v4, 32, v2
	v_subrev_nc_u32_e32 v2, 28, v4
	s_delay_alu instid0(VALU_DEP_1) | instskip(NEXT) | instid1(VALU_DEP_1)
	v_lshlrev_b64_e32 v[2:3], v2, v[16:17]
	v_dual_sub_nc_u32 v4, 29, v4 :: v_dual_bitop2_b32 v2, 7, v2 bitop3:0x40
; %bb.855:                              ;   in Loop: Header=BB368_10 Depth=1
	s_or_b32 exec_lo, exec_lo, s18
	s_delay_alu instid0(VALU_DEP_1) | instskip(NEXT) | instid1(VALU_DEP_2)
	v_dual_lshlrev_b32 v3, 16, v0 :: v_dual_lshlrev_b32 v2, 20, v2
	v_lshl_add_u32 v4, v4, 23, 0x3c000000
	s_delay_alu instid0(VALU_DEP_2) | instskip(NEXT) | instid1(VALU_DEP_1)
	v_and_b32_e32 v3, 0x80000000, v3
	v_or3_b32 v121, v2, v3, v4
.LBB368_856:                            ;   in Loop: Header=BB368_10 Depth=1
	s_or_b32 exec_lo, exec_lo, s17
.LBB368_857:                            ;   in Loop: Header=BB368_10 Depth=1
	s_delay_alu instid0(SALU_CYCLE_1)
	s_or_b32 exec_lo, exec_lo, s16
.LBB368_858:                            ;   in Loop: Header=BB368_10 Depth=1
	s_delay_alu instid0(SALU_CYCLE_1) | instskip(SKIP_2) | instid1(VALU_DEP_1)
	s_or_b32 exec_lo, exec_lo, s15
	v_lshrrev_b32_e32 v4, 16, v0
	s_mov_b32 s15, exec_lo
	v_and_b32_e32 v2, 0xff, v4
	s_delay_alu instid0(VALU_DEP_1)
	v_cmpx_ne_u16_e32 0, v2
	s_cbranch_execz .LBB368_866
; %bb.859:                              ;   in Loop: Header=BB368_10 Depth=1
	v_bfrev_b32_e32 v122, 1
	s_mov_b32 s16, exec_lo
	v_cmpx_ne_u16_e32 0x80, v2
	s_cbranch_execz .LBB368_865
; %bb.860:                              ;   in Loop: Header=BB368_10 Depth=1
	v_bfe_u32 v2, v0, 16, 7
	v_mov_b32_e32 v122, 0x7f800001
	s_mov_b32 s17, exec_lo
	s_delay_alu instid0(VALU_DEP_2)
	v_cmpx_ne_u32_e32 0x7f, v2
	s_cbranch_execz .LBB368_864
; %bb.861:                              ;   in Loop: Header=BB368_10 Depth=1
	v_dual_lshrrev_b32 v6, 3, v2 :: v_dual_bitop2_b32 v16, 7, v4 bitop3:0x40
	v_cmp_gt_u32_e64 s1, 8, v2
	s_delay_alu instid0(VALU_DEP_2)
	v_mov_b64_e32 v[2:3], v[16:17]
	s_and_saveexec_b32 s18, s1
; %bb.862:                              ;   in Loop: Header=BB368_10 Depth=1
	v_clz_i32_u32_e32 v2, v16
	s_delay_alu instid0(VALU_DEP_1) | instskip(NEXT) | instid1(VALU_DEP_1)
	v_min_u32_e32 v6, 32, v2
	v_subrev_nc_u32_e32 v2, 28, v6
	v_sub_nc_u32_e32 v6, 29, v6
	s_delay_alu instid0(VALU_DEP_2) | instskip(NEXT) | instid1(VALU_DEP_1)
	v_lshlrev_b64_e32 v[2:3], v2, v[16:17]
	v_and_b32_e32 v2, 7, v2
; %bb.863:                              ;   in Loop: Header=BB368_10 Depth=1
	s_or_b32 exec_lo, exec_lo, s18
	s_delay_alu instid0(VALU_DEP_1) | instskip(SKIP_1) | instid1(VALU_DEP_2)
	v_dual_lshlrev_b32 v3, 24, v4 :: v_dual_lshlrev_b32 v2, 20, v2
	v_lshl_add_u32 v4, v6, 23, 0x3c000000
	v_and_b32_e32 v3, 0x80000000, v3
	s_delay_alu instid0(VALU_DEP_1)
	v_or3_b32 v122, v2, v3, v4
.LBB368_864:                            ;   in Loop: Header=BB368_10 Depth=1
	s_or_b32 exec_lo, exec_lo, s17
.LBB368_865:                            ;   in Loop: Header=BB368_10 Depth=1
	s_delay_alu instid0(SALU_CYCLE_1)
	s_or_b32 exec_lo, exec_lo, s16
.LBB368_866:                            ;   in Loop: Header=BB368_10 Depth=1
	s_delay_alu instid0(SALU_CYCLE_1)
	s_or_b32 exec_lo, exec_lo, s15
	v_dual_mov_b32 v124, 0 :: v_dual_mov_b32 v123, 0
	s_mov_b32 s15, exec_lo
	v_cmpx_lt_u32_e32 0xffffff, v0
	s_cbranch_execz .LBB368_874
; %bb.867:                              ;   in Loop: Header=BB368_10 Depth=1
	v_lshrrev_b32_e32 v4, 24, v0
	v_bfrev_b32_e32 v123, 1
	s_mov_b32 s16, exec_lo
	s_delay_alu instid0(VALU_DEP_2)
	v_cmpx_ne_u32_e32 0x80, v4
	s_cbranch_execz .LBB368_873
; %bb.868:                              ;   in Loop: Header=BB368_10 Depth=1
	v_bfe_u32 v2, v0, 24, 7
	v_mov_b32_e32 v123, 0x7f800001
	s_mov_b32 s17, exec_lo
	s_delay_alu instid0(VALU_DEP_2)
	v_cmpx_ne_u32_e32 0x7f, v2
	s_cbranch_execz .LBB368_872
; %bb.869:                              ;   in Loop: Header=BB368_10 Depth=1
	v_dual_lshrrev_b32 v6, 3, v2 :: v_dual_bitop2_b32 v16, 7, v4 bitop3:0x40
	v_cmp_gt_u32_e64 s1, 8, v2
	s_delay_alu instid0(VALU_DEP_2)
	v_mov_b64_e32 v[2:3], v[16:17]
	s_and_saveexec_b32 s18, s1
; %bb.870:                              ;   in Loop: Header=BB368_10 Depth=1
	v_clz_i32_u32_e32 v2, v16
	s_delay_alu instid0(VALU_DEP_1) | instskip(NEXT) | instid1(VALU_DEP_1)
	v_min_u32_e32 v6, 32, v2
	v_subrev_nc_u32_e32 v2, 28, v6
	v_sub_nc_u32_e32 v6, 29, v6
	s_delay_alu instid0(VALU_DEP_2) | instskip(NEXT) | instid1(VALU_DEP_1)
	v_lshlrev_b64_e32 v[2:3], v2, v[16:17]
	v_and_b32_e32 v2, 7, v2
; %bb.871:                              ;   in Loop: Header=BB368_10 Depth=1
	s_or_b32 exec_lo, exec_lo, s18
	s_delay_alu instid0(VALU_DEP_1) | instskip(SKIP_1) | instid1(VALU_DEP_2)
	v_dual_lshlrev_b32 v3, 24, v4 :: v_dual_lshlrev_b32 v2, 20, v2
	v_lshl_add_u32 v4, v6, 23, 0x3c000000
	v_and_b32_e32 v3, 0x80000000, v3
	s_delay_alu instid0(VALU_DEP_1)
	v_or3_b32 v123, v2, v3, v4
.LBB368_872:                            ;   in Loop: Header=BB368_10 Depth=1
	s_or_b32 exec_lo, exec_lo, s17
.LBB368_873:                            ;   in Loop: Header=BB368_10 Depth=1
	s_delay_alu instid0(SALU_CYCLE_1)
	s_or_b32 exec_lo, exec_lo, s16
.LBB368_874:                            ;   in Loop: Header=BB368_10 Depth=1
	s_delay_alu instid0(SALU_CYCLE_1) | instskip(SKIP_3) | instid1(VALU_DEP_2)
	s_or_b32 exec_lo, exec_lo, s15
	v_and_b32_e32 v2, 0xff, v1
	v_mov_b32_e32 v16, v1
	s_mov_b32 s15, exec_lo
	v_cmpx_ne_u16_e32 0, v2
	s_cbranch_execz .LBB368_882
; %bb.875:                              ;   in Loop: Header=BB368_10 Depth=1
	v_bfrev_b32_e32 v124, 1
	s_mov_b32 s16, exec_lo
	v_cmpx_ne_u16_e32 0x80, v2
	s_cbranch_execz .LBB368_881
; %bb.876:                              ;   in Loop: Header=BB368_10 Depth=1
	v_and_b32_e32 v2, 0x7f, v1
	v_mov_b32_e32 v124, 0x7f800001
	s_mov_b32 s17, exec_lo
	s_delay_alu instid0(VALU_DEP_2)
	v_cmpx_ne_u32_e32 0x7f, v2
	s_cbranch_execz .LBB368_880
; %bb.877:                              ;   in Loop: Header=BB368_10 Depth=1
	v_lshrrev_b32_e32 v4, 3, v2
	v_cmp_gt_u32_e64 s1, 8, v2
	v_mov_b64_e32 v[2:3], v[16:17]
	s_and_saveexec_b32 s18, s1
; %bb.878:                              ;   in Loop: Header=BB368_10 Depth=1
	v_and_b32_e32 v2, 7, v1
	s_delay_alu instid0(VALU_DEP_1) | instskip(NEXT) | instid1(VALU_DEP_1)
	v_clz_i32_u32_e32 v2, v2
	v_min_u32_e32 v4, 32, v2
	s_delay_alu instid0(VALU_DEP_1) | instskip(SKIP_1) | instid1(VALU_DEP_2)
	v_subrev_nc_u32_e32 v2, 28, v4
	v_sub_nc_u32_e32 v4, 29, v4
	v_lshlrev_b64_e32 v[2:3], v2, v[16:17]
; %bb.879:                              ;   in Loop: Header=BB368_10 Depth=1
	s_or_b32 exec_lo, exec_lo, s18
	s_delay_alu instid0(VALU_DEP_1) | instskip(NEXT) | instid1(VALU_DEP_3)
	v_dual_lshlrev_b32 v2, 20, v2 :: v_dual_lshlrev_b32 v3, 24, v16
	v_lshl_add_u32 v4, v4, 23, 0x3c000000
	s_delay_alu instid0(VALU_DEP_2) | instskip(NEXT) | instid1(VALU_DEP_3)
	v_and_b32_e32 v2, 0x700000, v2
	v_and_b32_e32 v3, 0x80000000, v3
	s_delay_alu instid0(VALU_DEP_1)
	v_or3_b32 v124, v2, v3, v4
.LBB368_880:                            ;   in Loop: Header=BB368_10 Depth=1
	s_or_b32 exec_lo, exec_lo, s17
.LBB368_881:                            ;   in Loop: Header=BB368_10 Depth=1
	s_delay_alu instid0(SALU_CYCLE_1)
	s_or_b32 exec_lo, exec_lo, s16
.LBB368_882:                            ;   in Loop: Header=BB368_10 Depth=1
	s_delay_alu instid0(SALU_CYCLE_1) | instskip(SKIP_3) | instid1(VALU_DEP_2)
	s_or_b32 exec_lo, exec_lo, s15
	v_lshrrev_b16 v2, 8, v16
	v_dual_mov_b32 v126, 0 :: v_dual_mov_b32 v125, 0
	s_mov_b32 s15, exec_lo
	v_cmpx_ne_u16_e32 0, v2
	s_cbranch_execz .LBB368_890
; %bb.883:                              ;   in Loop: Header=BB368_10 Depth=1
	v_bfrev_b32_e32 v125, 1
	s_mov_b32 s16, exec_lo
	v_cmpx_ne_u16_e32 0x80, v2
	s_cbranch_execz .LBB368_889
; %bb.884:                              ;   in Loop: Header=BB368_10 Depth=1
	v_and_b32_e32 v2, 0xffff, v2
	v_mov_b32_e32 v125, 0x7f800001
	s_mov_b32 s17, exec_lo
	s_delay_alu instid0(VALU_DEP_2) | instskip(NEXT) | instid1(VALU_DEP_1)
	v_and_b32_e32 v6, 0x7f, v2
	v_cmpx_ne_u32_e32 0x7f, v6
	s_cbranch_execz .LBB368_888
; %bb.885:                              ;   in Loop: Header=BB368_10 Depth=1
	v_dual_mov_b32 v3, v17 :: v_dual_bitop2_b32 v2, 7, v2 bitop3:0x40
	v_lshrrev_b32_e32 v4, 3, v6
	s_mov_b32 s18, exec_lo
	v_cmpx_gt_u32_e32 8, v6
; %bb.886:                              ;   in Loop: Header=BB368_10 Depth=1
	s_delay_alu instid0(VALU_DEP_3) | instskip(NEXT) | instid1(VALU_DEP_1)
	v_clz_i32_u32_e32 v4, v2
	v_min_u32_e32 v4, 32, v4
	s_delay_alu instid0(VALU_DEP_1) | instskip(NEXT) | instid1(VALU_DEP_1)
	v_subrev_nc_u32_e32 v6, 28, v4
	v_lshlrev_b64_e32 v[2:3], v6, v[2:3]
	s_delay_alu instid0(VALU_DEP_1)
	v_dual_sub_nc_u32 v4, 29, v4 :: v_dual_bitop2_b32 v2, 7, v2 bitop3:0x40
; %bb.887:                              ;   in Loop: Header=BB368_10 Depth=1
	s_or_b32 exec_lo, exec_lo, s18
	s_delay_alu instid0(VALU_DEP_1) | instskip(NEXT) | instid1(VALU_DEP_2)
	v_dual_lshlrev_b32 v3, 16, v16 :: v_dual_lshlrev_b32 v2, 20, v2
	v_lshl_add_u32 v4, v4, 23, 0x3c000000
	s_delay_alu instid0(VALU_DEP_2) | instskip(NEXT) | instid1(VALU_DEP_1)
	v_and_b32_e32 v3, 0x80000000, v3
	v_or3_b32 v125, v2, v3, v4
.LBB368_888:                            ;   in Loop: Header=BB368_10 Depth=1
	s_or_b32 exec_lo, exec_lo, s17
.LBB368_889:                            ;   in Loop: Header=BB368_10 Depth=1
	s_delay_alu instid0(SALU_CYCLE_1)
	s_or_b32 exec_lo, exec_lo, s16
.LBB368_890:                            ;   in Loop: Header=BB368_10 Depth=1
	s_delay_alu instid0(SALU_CYCLE_1) | instskip(SKIP_2) | instid1(VALU_DEP_1)
	s_or_b32 exec_lo, exec_lo, s15
	v_lshrrev_b32_e32 v4, 16, v1
	s_mov_b32 s15, exec_lo
	v_and_b32_e32 v2, 0xff, v4
	s_delay_alu instid0(VALU_DEP_1)
	v_cmpx_ne_u16_e32 0, v2
	s_cbranch_execz .LBB368_898
; %bb.891:                              ;   in Loop: Header=BB368_10 Depth=1
	v_bfrev_b32_e32 v126, 1
	s_mov_b32 s16, exec_lo
	v_cmpx_ne_u16_e32 0x80, v2
	s_cbranch_execz .LBB368_897
; %bb.892:                              ;   in Loop: Header=BB368_10 Depth=1
	v_bfe_u32 v2, v1, 16, 7
	v_mov_b32_e32 v126, 0x7f800001
	s_mov_b32 s17, exec_lo
	s_delay_alu instid0(VALU_DEP_2)
	v_cmpx_ne_u32_e32 0x7f, v2
	s_cbranch_execz .LBB368_896
; %bb.893:                              ;   in Loop: Header=BB368_10 Depth=1
	v_dual_lshrrev_b32 v6, 3, v2 :: v_dual_bitop2_b32 v16, 7, v4 bitop3:0x40
	v_cmp_gt_u32_e64 s1, 8, v2
	s_delay_alu instid0(VALU_DEP_2)
	v_mov_b64_e32 v[2:3], v[16:17]
	s_and_saveexec_b32 s18, s1
; %bb.894:                              ;   in Loop: Header=BB368_10 Depth=1
	v_clz_i32_u32_e32 v2, v16
	s_delay_alu instid0(VALU_DEP_1) | instskip(NEXT) | instid1(VALU_DEP_1)
	v_min_u32_e32 v6, 32, v2
	v_subrev_nc_u32_e32 v2, 28, v6
	v_sub_nc_u32_e32 v6, 29, v6
	s_delay_alu instid0(VALU_DEP_2) | instskip(NEXT) | instid1(VALU_DEP_1)
	v_lshlrev_b64_e32 v[2:3], v2, v[16:17]
	v_and_b32_e32 v2, 7, v2
; %bb.895:                              ;   in Loop: Header=BB368_10 Depth=1
	s_or_b32 exec_lo, exec_lo, s18
	s_delay_alu instid0(VALU_DEP_1) | instskip(SKIP_1) | instid1(VALU_DEP_2)
	v_dual_lshlrev_b32 v3, 24, v4 :: v_dual_lshlrev_b32 v2, 20, v2
	v_lshl_add_u32 v4, v6, 23, 0x3c000000
	v_and_b32_e32 v3, 0x80000000, v3
	s_delay_alu instid0(VALU_DEP_1)
	v_or3_b32 v126, v2, v3, v4
.LBB368_896:                            ;   in Loop: Header=BB368_10 Depth=1
	s_or_b32 exec_lo, exec_lo, s17
.LBB368_897:                            ;   in Loop: Header=BB368_10 Depth=1
	s_delay_alu instid0(SALU_CYCLE_1)
	s_or_b32 exec_lo, exec_lo, s16
.LBB368_898:                            ;   in Loop: Header=BB368_10 Depth=1
	s_delay_alu instid0(SALU_CYCLE_1)
	s_or_b32 exec_lo, exec_lo, s15
	v_dual_mov_b32 v2, 0 :: v_dual_mov_b32 v127, 0
	s_mov_b32 s15, exec_lo
	v_cmpx_lt_u64_e64 s[2:3], v[0:1]
	s_cbranch_execz .LBB368_906
; %bb.899:                              ;   in Loop: Header=BB368_10 Depth=1
	v_lshrrev_b32_e32 v3, 24, v1
	v_bfrev_b32_e32 v127, 1
	s_mov_b32 s16, exec_lo
	s_delay_alu instid0(VALU_DEP_2)
	v_cmpx_ne_u32_e32 0x80, v3
	s_cbranch_execz .LBB368_905
; %bb.900:                              ;   in Loop: Header=BB368_10 Depth=1
	v_bfe_u32 v0, v1, 24, 7
	v_mov_b32_e32 v127, 0x7f800001
	s_mov_b32 s17, exec_lo
	s_delay_alu instid0(VALU_DEP_2)
	v_cmpx_ne_u32_e32 0x7f, v0
	s_cbranch_execz .LBB368_904
; %bb.901:                              ;   in Loop: Header=BB368_10 Depth=1
	v_dual_lshrrev_b32 v4, 3, v0 :: v_dual_bitop2_b32 v16, 7, v3 bitop3:0x40
	v_cmp_gt_u32_e64 s1, 8, v0
	s_delay_alu instid0(VALU_DEP_2)
	v_mov_b64_e32 v[0:1], v[16:17]
	s_and_saveexec_b32 s18, s1
; %bb.902:                              ;   in Loop: Header=BB368_10 Depth=1
	v_clz_i32_u32_e32 v0, v16
	s_delay_alu instid0(VALU_DEP_1) | instskip(NEXT) | instid1(VALU_DEP_1)
	v_min_u32_e32 v4, 32, v0
	v_subrev_nc_u32_e32 v0, 28, v4
	v_sub_nc_u32_e32 v4, 29, v4
	s_delay_alu instid0(VALU_DEP_2) | instskip(NEXT) | instid1(VALU_DEP_1)
	v_lshlrev_b64_e32 v[0:1], v0, v[16:17]
	v_and_b32_e32 v0, 7, v0
; %bb.903:                              ;   in Loop: Header=BB368_10 Depth=1
	s_or_b32 exec_lo, exec_lo, s18
	s_delay_alu instid0(VALU_DEP_1) | instskip(SKIP_1) | instid1(VALU_DEP_2)
	v_dual_lshlrev_b32 v1, 24, v3 :: v_dual_lshlrev_b32 v0, 20, v0
	v_lshl_add_u32 v3, v4, 23, 0x3c000000
	v_and_b32_e32 v1, 0x80000000, v1
	s_delay_alu instid0(VALU_DEP_1)
	v_or3_b32 v127, v0, v1, v3
.LBB368_904:                            ;   in Loop: Header=BB368_10 Depth=1
	s_or_b32 exec_lo, exec_lo, s17
.LBB368_905:                            ;   in Loop: Header=BB368_10 Depth=1
	s_delay_alu instid0(SALU_CYCLE_1)
	s_or_b32 exec_lo, exec_lo, s16
.LBB368_906:                            ;   in Loop: Header=BB368_10 Depth=1
	s_delay_alu instid0(SALU_CYCLE_1)
	s_or_b32 exec_lo, exec_lo, s15
	flat_load_b64 v[10:11], v[70:71] offset:3584
	s_mov_b32 s15, exec_lo
	s_wait_loadcnt_dscnt 0x0
	v_and_b32_e32 v0, 0xff, v10
	s_wait_xcnt 0x0
	s_delay_alu instid0(VALU_DEP_1)
	v_cmpx_ne_u16_e32 0, v0
	s_cbranch_execz .LBB368_914
; %bb.907:                              ;   in Loop: Header=BB368_10 Depth=1
	v_bfrev_b32_e32 v2, 1
	s_mov_b32 s16, exec_lo
	v_cmpx_ne_u16_e32 0x80, v0
	s_cbranch_execz .LBB368_913
; %bb.908:                              ;   in Loop: Header=BB368_10 Depth=1
	v_and_b32_e32 v0, 0x7f, v10
	v_mov_b32_e32 v2, 0x7f800001
	s_mov_b32 s17, exec_lo
	s_delay_alu instid0(VALU_DEP_2)
	v_cmpx_ne_u32_e32 0x7f, v0
	s_cbranch_execz .LBB368_912
; %bb.909:                              ;   in Loop: Header=BB368_10 Depth=1
	v_lshrrev_b32_e32 v2, 3, v0
	v_cmp_gt_u32_e64 s1, 8, v0
	v_mov_b64_e32 v[0:1], v[10:11]
	s_and_saveexec_b32 s18, s1
; %bb.910:                              ;   in Loop: Header=BB368_10 Depth=1
	v_and_b32_e32 v0, 7, v10
	s_delay_alu instid0(VALU_DEP_1) | instskip(NEXT) | instid1(VALU_DEP_1)
	v_clz_i32_u32_e32 v0, v0
	v_min_u32_e32 v2, 32, v0
	s_delay_alu instid0(VALU_DEP_1) | instskip(SKIP_1) | instid1(VALU_DEP_2)
	v_subrev_nc_u32_e32 v0, 28, v2
	v_sub_nc_u32_e32 v2, 29, v2
	v_lshlrev_b64_e32 v[0:1], v0, v[10:11]
; %bb.911:                              ;   in Loop: Header=BB368_10 Depth=1
	s_or_b32 exec_lo, exec_lo, s18
	s_delay_alu instid0(VALU_DEP_1) | instskip(NEXT) | instid1(VALU_DEP_3)
	v_dual_lshlrev_b32 v0, 20, v0 :: v_dual_lshlrev_b32 v1, 24, v10
	v_lshl_add_u32 v2, v2, 23, 0x3c000000
	s_delay_alu instid0(VALU_DEP_2) | instskip(NEXT) | instid1(VALU_DEP_3)
	v_and_b32_e32 v0, 0x700000, v0
	v_and_b32_e32 v1, 0x80000000, v1
	s_delay_alu instid0(VALU_DEP_1)
	v_or3_b32 v2, v0, v1, v2
.LBB368_912:                            ;   in Loop: Header=BB368_10 Depth=1
	s_or_b32 exec_lo, exec_lo, s17
.LBB368_913:                            ;   in Loop: Header=BB368_10 Depth=1
	s_delay_alu instid0(SALU_CYCLE_1)
	s_or_b32 exec_lo, exec_lo, s16
.LBB368_914:                            ;   in Loop: Header=BB368_10 Depth=1
	s_delay_alu instid0(SALU_CYCLE_1) | instskip(SKIP_3) | instid1(VALU_DEP_2)
	s_or_b32 exec_lo, exec_lo, s15
	v_lshrrev_b16 v1, 8, v10
	v_dual_mov_b32 v0, 0 :: v_dual_mov_b32 v3, 0
	s_mov_b32 s15, exec_lo
	v_cmpx_ne_u16_e32 0, v1
	s_cbranch_execz .LBB368_922
; %bb.915:                              ;   in Loop: Header=BB368_10 Depth=1
	v_bfrev_b32_e32 v3, 1
	s_mov_b32 s16, exec_lo
	v_cmpx_ne_u16_e32 0x80, v1
	s_cbranch_execz .LBB368_921
; %bb.916:                              ;   in Loop: Header=BB368_10 Depth=1
	v_and_b32_e32 v1, 0xffff, v1
	v_mov_b32_e32 v3, 0x7f800001
	s_mov_b32 s17, exec_lo
	s_delay_alu instid0(VALU_DEP_2) | instskip(NEXT) | instid1(VALU_DEP_1)
	v_and_b32_e32 v4, 0x7f, v1
	v_cmpx_ne_u32_e32 0x7f, v4
	s_cbranch_execz .LBB368_920
; %bb.917:                              ;   in Loop: Header=BB368_10 Depth=1
	v_dual_lshrrev_b32 v1, 3, v4 :: v_dual_bitop2_b32 v16, 7, v1 bitop3:0x40
	s_mov_b32 s18, exec_lo
	s_delay_alu instid0(VALU_DEP_1)
	v_mov_b64_e32 v[6:7], v[16:17]
	v_cmpx_gt_u32_e32 8, v4
; %bb.918:                              ;   in Loop: Header=BB368_10 Depth=1
	v_clz_i32_u32_e32 v1, v16
	s_delay_alu instid0(VALU_DEP_1) | instskip(NEXT) | instid1(VALU_DEP_1)
	v_min_u32_e32 v1, 32, v1
	v_subrev_nc_u32_e32 v3, 28, v1
	s_delay_alu instid0(VALU_DEP_1) | instskip(NEXT) | instid1(VALU_DEP_1)
	v_lshlrev_b64_e32 v[6:7], v3, v[16:17]
	v_dual_sub_nc_u32 v1, 29, v1 :: v_dual_bitop2_b32 v6, 7, v6 bitop3:0x40
; %bb.919:                              ;   in Loop: Header=BB368_10 Depth=1
	s_or_b32 exec_lo, exec_lo, s18
	v_lshlrev_b32_e32 v3, 16, v10
	s_delay_alu instid0(VALU_DEP_2) | instskip(NEXT) | instid1(VALU_DEP_3)
	v_lshlrev_b32_e32 v4, 20, v6
	v_lshl_add_u32 v1, v1, 23, 0x3c000000
	s_delay_alu instid0(VALU_DEP_3) | instskip(NEXT) | instid1(VALU_DEP_1)
	v_and_b32_e32 v3, 0x80000000, v3
	v_or3_b32 v3, v4, v3, v1
.LBB368_920:                            ;   in Loop: Header=BB368_10 Depth=1
	s_or_b32 exec_lo, exec_lo, s17
.LBB368_921:                            ;   in Loop: Header=BB368_10 Depth=1
	s_delay_alu instid0(SALU_CYCLE_1)
	s_or_b32 exec_lo, exec_lo, s16
.LBB368_922:                            ;   in Loop: Header=BB368_10 Depth=1
	s_delay_alu instid0(SALU_CYCLE_1) | instskip(SKIP_2) | instid1(VALU_DEP_1)
	s_or_b32 exec_lo, exec_lo, s15
	v_lshrrev_b32_e32 v4, 16, v10
	s_mov_b32 s15, exec_lo
	v_and_b32_e32 v1, 0xff, v4
	s_delay_alu instid0(VALU_DEP_1)
	v_cmpx_ne_u16_e32 0, v1
	s_cbranch_execz .LBB368_930
; %bb.923:                              ;   in Loop: Header=BB368_10 Depth=1
	v_bfrev_b32_e32 v0, 1
	s_mov_b32 s16, exec_lo
	v_cmpx_ne_u16_e32 0x80, v1
	s_cbranch_execz .LBB368_929
; %bb.924:                              ;   in Loop: Header=BB368_10 Depth=1
	v_bfe_u32 v1, v10, 16, 7
	v_mov_b32_e32 v0, 0x7f800001
	s_mov_b32 s17, exec_lo
	s_delay_alu instid0(VALU_DEP_2)
	v_cmpx_ne_u32_e32 0x7f, v1
	s_cbranch_execz .LBB368_928
; %bb.925:                              ;   in Loop: Header=BB368_10 Depth=1
	v_dual_lshrrev_b32 v6, 3, v1 :: v_dual_bitop2_b32 v16, 7, v4 bitop3:0x40
	v_cmp_gt_u32_e64 s1, 8, v1
	s_delay_alu instid0(VALU_DEP_2)
	v_mov_b64_e32 v[0:1], v[16:17]
	s_and_saveexec_b32 s18, s1
; %bb.926:                              ;   in Loop: Header=BB368_10 Depth=1
	v_clz_i32_u32_e32 v0, v16
	s_delay_alu instid0(VALU_DEP_1) | instskip(NEXT) | instid1(VALU_DEP_1)
	v_min_u32_e32 v6, 32, v0
	v_subrev_nc_u32_e32 v0, 28, v6
	s_delay_alu instid0(VALU_DEP_1) | instskip(NEXT) | instid1(VALU_DEP_1)
	v_lshlrev_b64_e32 v[0:1], v0, v[16:17]
	v_dual_sub_nc_u32 v6, 29, v6 :: v_dual_bitop2_b32 v0, 7, v0 bitop3:0x40
; %bb.927:                              ;   in Loop: Header=BB368_10 Depth=1
	s_or_b32 exec_lo, exec_lo, s18
	v_lshlrev_b32_e32 v1, 24, v4
	s_delay_alu instid0(VALU_DEP_2) | instskip(NEXT) | instid1(VALU_DEP_3)
	v_lshlrev_b32_e32 v0, 20, v0
	v_lshl_add_u32 v4, v6, 23, 0x3c000000
	s_delay_alu instid0(VALU_DEP_3) | instskip(NEXT) | instid1(VALU_DEP_1)
	v_and_b32_e32 v1, 0x80000000, v1
	v_or3_b32 v0, v0, v1, v4
.LBB368_928:                            ;   in Loop: Header=BB368_10 Depth=1
	s_or_b32 exec_lo, exec_lo, s17
.LBB368_929:                            ;   in Loop: Header=BB368_10 Depth=1
	s_delay_alu instid0(SALU_CYCLE_1)
	s_or_b32 exec_lo, exec_lo, s16
.LBB368_930:                            ;   in Loop: Header=BB368_10 Depth=1
	s_delay_alu instid0(SALU_CYCLE_1)
	s_or_b32 exec_lo, exec_lo, s15
	v_dual_mov_b32 v6, 0 :: v_dual_mov_b32 v1, 0
	s_mov_b32 s15, exec_lo
	v_cmpx_lt_u32_e32 0xffffff, v10
	s_cbranch_execz .LBB368_938
; %bb.931:                              ;   in Loop: Header=BB368_10 Depth=1
	v_lshrrev_b32_e32 v4, 24, v10
	v_bfrev_b32_e32 v1, 1
	s_mov_b32 s16, exec_lo
	s_delay_alu instid0(VALU_DEP_2)
	v_cmpx_ne_u32_e32 0x80, v4
	s_cbranch_execz .LBB368_937
; %bb.932:                              ;   in Loop: Header=BB368_10 Depth=1
	v_bfe_u32 v7, v10, 24, 7
	v_mov_b32_e32 v1, 0x7f800001
	s_mov_b32 s17, exec_lo
	s_delay_alu instid0(VALU_DEP_2)
	v_cmpx_ne_u32_e32 0x7f, v7
	s_cbranch_execz .LBB368_936
; %bb.933:                              ;   in Loop: Header=BB368_10 Depth=1
	v_dual_lshrrev_b32 v1, 3, v7 :: v_dual_bitop2_b32 v16, 7, v4 bitop3:0x40
	s_mov_b32 s18, exec_lo
	s_delay_alu instid0(VALU_DEP_1)
	v_mov_b64_e32 v[8:9], v[16:17]
	v_cmpx_gt_u32_e32 8, v7
; %bb.934:                              ;   in Loop: Header=BB368_10 Depth=1
	v_clz_i32_u32_e32 v1, v16
	s_delay_alu instid0(VALU_DEP_1) | instskip(NEXT) | instid1(VALU_DEP_1)
	v_min_u32_e32 v1, 32, v1
	v_subrev_nc_u32_e32 v7, 28, v1
	s_delay_alu instid0(VALU_DEP_1) | instskip(NEXT) | instid1(VALU_DEP_1)
	v_lshlrev_b64_e32 v[8:9], v7, v[16:17]
	v_dual_sub_nc_u32 v1, 29, v1 :: v_dual_bitop2_b32 v8, 7, v8 bitop3:0x40
; %bb.935:                              ;   in Loop: Header=BB368_10 Depth=1
	s_or_b32 exec_lo, exec_lo, s18
	v_lshlrev_b32_e32 v4, 24, v4
	s_delay_alu instid0(VALU_DEP_2) | instskip(NEXT) | instid1(VALU_DEP_3)
	v_lshlrev_b32_e32 v7, 20, v8
	v_lshl_add_u32 v1, v1, 23, 0x3c000000
	s_delay_alu instid0(VALU_DEP_3) | instskip(NEXT) | instid1(VALU_DEP_1)
	v_and_b32_e32 v4, 0x80000000, v4
	v_or3_b32 v1, v7, v4, v1
.LBB368_936:                            ;   in Loop: Header=BB368_10 Depth=1
	s_or_b32 exec_lo, exec_lo, s17
.LBB368_937:                            ;   in Loop: Header=BB368_10 Depth=1
	s_delay_alu instid0(SALU_CYCLE_1)
	s_or_b32 exec_lo, exec_lo, s16
.LBB368_938:                            ;   in Loop: Header=BB368_10 Depth=1
	s_delay_alu instid0(SALU_CYCLE_1) | instskip(SKIP_3) | instid1(VALU_DEP_2)
	s_or_b32 exec_lo, exec_lo, s15
	v_and_b32_e32 v4, 0xff, v11
	v_mov_b32_e32 v16, v11
	s_mov_b32 s15, exec_lo
	v_cmpx_ne_u16_e32 0, v4
	s_cbranch_execz .LBB368_946
; %bb.939:                              ;   in Loop: Header=BB368_10 Depth=1
	v_bfrev_b32_e32 v6, 1
	s_mov_b32 s16, exec_lo
	v_cmpx_ne_u16_e32 0x80, v4
	s_cbranch_execz .LBB368_945
; %bb.940:                              ;   in Loop: Header=BB368_10 Depth=1
	v_and_b32_e32 v7, 0x7f, v11
	v_mov_b32_e32 v6, 0x7f800001
	s_mov_b32 s17, exec_lo
	s_delay_alu instid0(VALU_DEP_2)
	v_cmpx_ne_u32_e32 0x7f, v7
	s_cbranch_execz .LBB368_944
; %bb.941:                              ;   in Loop: Header=BB368_10 Depth=1
	v_lshrrev_b32_e32 v4, 3, v7
	v_cmp_gt_u32_e64 s1, 8, v7
	v_mov_b64_e32 v[6:7], v[16:17]
	s_and_saveexec_b32 s18, s1
; %bb.942:                              ;   in Loop: Header=BB368_10 Depth=1
	v_and_b32_e32 v4, 7, v11
	s_delay_alu instid0(VALU_DEP_1) | instskip(NEXT) | instid1(VALU_DEP_1)
	v_clz_i32_u32_e32 v4, v4
	v_min_u32_e32 v4, 32, v4
	s_delay_alu instid0(VALU_DEP_1) | instskip(SKIP_1) | instid1(VALU_DEP_2)
	v_subrev_nc_u32_e32 v6, 28, v4
	v_sub_nc_u32_e32 v4, 29, v4
	v_lshlrev_b64_e32 v[6:7], v6, v[16:17]
; %bb.943:                              ;   in Loop: Header=BB368_10 Depth=1
	s_or_b32 exec_lo, exec_lo, s18
	s_delay_alu instid0(VALU_DEP_1) | instskip(NEXT) | instid1(VALU_DEP_3)
	v_dual_lshlrev_b32 v6, 20, v6 :: v_dual_lshlrev_b32 v7, 24, v16
	v_lshl_add_u32 v4, v4, 23, 0x3c000000
	s_delay_alu instid0(VALU_DEP_2) | instskip(NEXT) | instid1(VALU_DEP_3)
	v_and_b32_e32 v6, 0x700000, v6
	v_and_b32_e32 v7, 0x80000000, v7
	s_delay_alu instid0(VALU_DEP_1)
	v_or3_b32 v6, v6, v7, v4
.LBB368_944:                            ;   in Loop: Header=BB368_10 Depth=1
	s_or_b32 exec_lo, exec_lo, s17
.LBB368_945:                            ;   in Loop: Header=BB368_10 Depth=1
	s_delay_alu instid0(SALU_CYCLE_1)
	s_or_b32 exec_lo, exec_lo, s16
.LBB368_946:                            ;   in Loop: Header=BB368_10 Depth=1
	s_delay_alu instid0(SALU_CYCLE_1) | instskip(SKIP_3) | instid1(VALU_DEP_2)
	s_or_b32 exec_lo, exec_lo, s15
	v_lshrrev_b16 v4, 8, v16
	v_dual_mov_b32 v32, 0 :: v_dual_mov_b32 v7, 0
	s_mov_b32 s15, exec_lo
	v_cmpx_ne_u16_e32 0, v4
	s_cbranch_execz .LBB368_954
; %bb.947:                              ;   in Loop: Header=BB368_10 Depth=1
	v_bfrev_b32_e32 v7, 1
	s_mov_b32 s16, exec_lo
	v_cmpx_ne_u16_e32 0x80, v4
	s_cbranch_execz .LBB368_953
; %bb.948:                              ;   in Loop: Header=BB368_10 Depth=1
	v_and_b32_e32 v4, 0xffff, v4
	v_mov_b32_e32 v7, 0x7f800001
	s_mov_b32 s17, exec_lo
	s_delay_alu instid0(VALU_DEP_2) | instskip(NEXT) | instid1(VALU_DEP_1)
	v_and_b32_e32 v18, 0x7f, v4
	v_cmpx_ne_u32_e32 0x7f, v18
	s_cbranch_execz .LBB368_952
; %bb.949:                              ;   in Loop: Header=BB368_10 Depth=1
	v_dual_mov_b32 v9, v17 :: v_dual_bitop2_b32 v8, 7, v4 bitop3:0x40
	v_lshrrev_b32_e32 v4, 3, v18
	s_mov_b32 s18, exec_lo
	v_cmpx_gt_u32_e32 8, v18
; %bb.950:                              ;   in Loop: Header=BB368_10 Depth=1
	s_delay_alu instid0(VALU_DEP_3) | instskip(NEXT) | instid1(VALU_DEP_1)
	v_clz_i32_u32_e32 v4, v8
	v_min_u32_e32 v4, 32, v4
	s_delay_alu instid0(VALU_DEP_1) | instskip(SKIP_1) | instid1(VALU_DEP_2)
	v_subrev_nc_u32_e32 v7, 28, v4
	v_sub_nc_u32_e32 v4, 29, v4
	v_lshlrev_b64_e32 v[8:9], v7, v[8:9]
	s_delay_alu instid0(VALU_DEP_1)
	v_and_b32_e32 v8, 7, v8
; %bb.951:                              ;   in Loop: Header=BB368_10 Depth=1
	s_or_b32 exec_lo, exec_lo, s18
	v_lshlrev_b32_e32 v7, 16, v16
	s_delay_alu instid0(VALU_DEP_2) | instskip(SKIP_1) | instid1(VALU_DEP_3)
	v_lshlrev_b32_e32 v8, 20, v8
	v_lshl_add_u32 v4, v4, 23, 0x3c000000
	v_and_b32_e32 v7, 0x80000000, v7
	s_delay_alu instid0(VALU_DEP_1)
	v_or3_b32 v7, v8, v7, v4
.LBB368_952:                            ;   in Loop: Header=BB368_10 Depth=1
	s_or_b32 exec_lo, exec_lo, s17
.LBB368_953:                            ;   in Loop: Header=BB368_10 Depth=1
	s_delay_alu instid0(SALU_CYCLE_1)
	s_or_b32 exec_lo, exec_lo, s16
.LBB368_954:                            ;   in Loop: Header=BB368_10 Depth=1
	s_delay_alu instid0(SALU_CYCLE_1) | instskip(SKIP_2) | instid1(VALU_DEP_1)
	s_or_b32 exec_lo, exec_lo, s15
	v_lshrrev_b32_e32 v4, 16, v11
	s_mov_b32 s15, exec_lo
	v_and_b32_e32 v8, 0xff, v4
	s_delay_alu instid0(VALU_DEP_1)
	v_cmpx_ne_u16_e32 0, v8
	s_cbranch_execz .LBB368_962
; %bb.955:                              ;   in Loop: Header=BB368_10 Depth=1
	v_bfrev_b32_e32 v32, 1
	s_mov_b32 s16, exec_lo
	v_cmpx_ne_u16_e32 0x80, v8
	s_cbranch_execz .LBB368_961
; %bb.956:                              ;   in Loop: Header=BB368_10 Depth=1
	v_bfe_u32 v8, v11, 16, 7
	v_mov_b32_e32 v32, 0x7f800001
	s_mov_b32 s17, exec_lo
	s_delay_alu instid0(VALU_DEP_2)
	v_cmpx_ne_u32_e32 0x7f, v8
	s_cbranch_execz .LBB368_960
; %bb.957:                              ;   in Loop: Header=BB368_10 Depth=1
	v_and_b32_e32 v16, 7, v4
	v_lshrrev_b32_e32 v18, 3, v8
	v_cmp_gt_u32_e64 s1, 8, v8
	s_delay_alu instid0(VALU_DEP_3)
	v_mov_b64_e32 v[8:9], v[16:17]
	s_and_saveexec_b32 s18, s1
; %bb.958:                              ;   in Loop: Header=BB368_10 Depth=1
	v_clz_i32_u32_e32 v8, v16
	s_delay_alu instid0(VALU_DEP_1) | instskip(NEXT) | instid1(VALU_DEP_1)
	v_min_u32_e32 v18, 32, v8
	v_subrev_nc_u32_e32 v8, 28, v18
	s_delay_alu instid0(VALU_DEP_1) | instskip(NEXT) | instid1(VALU_DEP_1)
	v_lshlrev_b64_e32 v[8:9], v8, v[16:17]
	v_dual_sub_nc_u32 v18, 29, v18 :: v_dual_bitop2_b32 v8, 7, v8 bitop3:0x40
; %bb.959:                              ;   in Loop: Header=BB368_10 Depth=1
	s_or_b32 exec_lo, exec_lo, s18
	v_lshlrev_b32_e32 v4, 24, v4
	s_delay_alu instid0(VALU_DEP_2) | instskip(NEXT) | instid1(VALU_DEP_3)
	v_lshlrev_b32_e32 v8, 20, v8
	v_lshl_add_u32 v9, v18, 23, 0x3c000000
	s_delay_alu instid0(VALU_DEP_3) | instskip(NEXT) | instid1(VALU_DEP_1)
	v_and_b32_e32 v4, 0x80000000, v4
	v_or3_b32 v32, v8, v4, v9
.LBB368_960:                            ;   in Loop: Header=BB368_10 Depth=1
	s_or_b32 exec_lo, exec_lo, s17
.LBB368_961:                            ;   in Loop: Header=BB368_10 Depth=1
	s_delay_alu instid0(SALU_CYCLE_1)
	s_or_b32 exec_lo, exec_lo, s16
.LBB368_962:                            ;   in Loop: Header=BB368_10 Depth=1
	s_delay_alu instid0(SALU_CYCLE_1)
	s_or_b32 exec_lo, exec_lo, s15
	v_cmp_lt_u64_e64 s1, s[2:3], v[10:11]
	v_dual_mov_b32 v10, 0 :: v_dual_mov_b32 v33, 0
	s_and_saveexec_b32 s15, s1
	s_cbranch_execz .LBB368_970
; %bb.963:                              ;   in Loop: Header=BB368_10 Depth=1
	v_lshrrev_b32_e32 v4, 24, v11
	v_bfrev_b32_e32 v33, 1
	s_mov_b32 s16, exec_lo
	s_delay_alu instid0(VALU_DEP_2)
	v_cmpx_ne_u32_e32 0x80, v4
	s_cbranch_execz .LBB368_969
; %bb.964:                              ;   in Loop: Header=BB368_10 Depth=1
	v_bfe_u32 v8, v11, 24, 7
	v_mov_b32_e32 v33, 0x7f800001
	s_mov_b32 s17, exec_lo
	s_delay_alu instid0(VALU_DEP_2)
	v_cmpx_ne_u32_e32 0x7f, v8
	s_cbranch_execz .LBB368_968
; %bb.965:                              ;   in Loop: Header=BB368_10 Depth=1
	v_and_b32_e32 v16, 7, v4
	v_lshrrev_b32_e32 v11, 3, v8
	v_cmp_gt_u32_e64 s1, 8, v8
	s_delay_alu instid0(VALU_DEP_3)
	v_mov_b64_e32 v[8:9], v[16:17]
	s_and_saveexec_b32 s18, s1
; %bb.966:                              ;   in Loop: Header=BB368_10 Depth=1
	v_clz_i32_u32_e32 v8, v16
	s_delay_alu instid0(VALU_DEP_1) | instskip(NEXT) | instid1(VALU_DEP_1)
	v_min_u32_e32 v11, 32, v8
	v_subrev_nc_u32_e32 v8, 28, v11
	s_delay_alu instid0(VALU_DEP_1) | instskip(NEXT) | instid1(VALU_DEP_1)
	v_lshlrev_b64_e32 v[8:9], v8, v[16:17]
	v_dual_sub_nc_u32 v11, 29, v11 :: v_dual_bitop2_b32 v8, 7, v8 bitop3:0x40
; %bb.967:                              ;   in Loop: Header=BB368_10 Depth=1
	s_or_b32 exec_lo, exec_lo, s18
	v_lshlrev_b32_e32 v4, 24, v4
	s_delay_alu instid0(VALU_DEP_2) | instskip(NEXT) | instid1(VALU_DEP_3)
	v_lshlrev_b32_e32 v8, 20, v8
	v_lshl_add_u32 v9, v11, 23, 0x3c000000
	s_delay_alu instid0(VALU_DEP_3) | instskip(NEXT) | instid1(VALU_DEP_1)
	v_and_b32_e32 v4, 0x80000000, v4
	v_or3_b32 v33, v8, v4, v9
.LBB368_968:                            ;   in Loop: Header=BB368_10 Depth=1
	s_or_b32 exec_lo, exec_lo, s17
.LBB368_969:                            ;   in Loop: Header=BB368_10 Depth=1
	s_delay_alu instid0(SALU_CYCLE_1)
	s_or_b32 exec_lo, exec_lo, s16
.LBB368_970:                            ;   in Loop: Header=BB368_10 Depth=1
	s_delay_alu instid0(SALU_CYCLE_1)
	s_or_b32 exec_lo, exec_lo, s15
	flat_load_b64 v[34:35], v[70:71] offset:3592
	s_mov_b32 s15, exec_lo
	s_wait_loadcnt_dscnt 0x0
	v_and_b32_e32 v4, 0xff, v34
	s_wait_xcnt 0x0
	s_delay_alu instid0(VALU_DEP_1)
	v_cmpx_ne_u16_e32 0, v4
	s_cbranch_execz .LBB368_978
; %bb.971:                              ;   in Loop: Header=BB368_10 Depth=1
	v_bfrev_b32_e32 v10, 1
	s_mov_b32 s16, exec_lo
	v_cmpx_ne_u16_e32 0x80, v4
	s_cbranch_execz .LBB368_977
; %bb.972:                              ;   in Loop: Header=BB368_10 Depth=1
	v_and_b32_e32 v8, 0x7f, v34
	v_mov_b32_e32 v10, 0x7f800001
	s_mov_b32 s17, exec_lo
	s_delay_alu instid0(VALU_DEP_2)
	v_cmpx_ne_u32_e32 0x7f, v8
	s_cbranch_execz .LBB368_976
; %bb.973:                              ;   in Loop: Header=BB368_10 Depth=1
	v_lshrrev_b32_e32 v4, 3, v8
	v_cmp_gt_u32_e64 s1, 8, v8
	v_mov_b64_e32 v[8:9], v[34:35]
	s_and_saveexec_b32 s18, s1
; %bb.974:                              ;   in Loop: Header=BB368_10 Depth=1
	v_and_b32_e32 v4, 7, v34
	s_delay_alu instid0(VALU_DEP_1) | instskip(NEXT) | instid1(VALU_DEP_1)
	v_clz_i32_u32_e32 v4, v4
	v_min_u32_e32 v4, 32, v4
	s_delay_alu instid0(VALU_DEP_1) | instskip(SKIP_1) | instid1(VALU_DEP_2)
	v_subrev_nc_u32_e32 v8, 28, v4
	v_sub_nc_u32_e32 v4, 29, v4
	v_lshlrev_b64_e32 v[8:9], v8, v[34:35]
; %bb.975:                              ;   in Loop: Header=BB368_10 Depth=1
	s_or_b32 exec_lo, exec_lo, s18
	s_delay_alu instid0(VALU_DEP_1) | instskip(NEXT) | instid1(VALU_DEP_3)
	v_dual_lshlrev_b32 v8, 20, v8 :: v_dual_lshlrev_b32 v9, 24, v34
	v_lshl_add_u32 v4, v4, 23, 0x3c000000
	s_delay_alu instid0(VALU_DEP_2) | instskip(NEXT) | instid1(VALU_DEP_3)
	v_and_b32_e32 v8, 0x700000, v8
	v_and_b32_e32 v9, 0x80000000, v9
	s_delay_alu instid0(VALU_DEP_1)
	v_or3_b32 v10, v8, v9, v4
.LBB368_976:                            ;   in Loop: Header=BB368_10 Depth=1
	s_or_b32 exec_lo, exec_lo, s17
.LBB368_977:                            ;   in Loop: Header=BB368_10 Depth=1
	s_delay_alu instid0(SALU_CYCLE_1)
	s_or_b32 exec_lo, exec_lo, s16
.LBB368_978:                            ;   in Loop: Header=BB368_10 Depth=1
	s_delay_alu instid0(SALU_CYCLE_1) | instskip(SKIP_3) | instid1(VALU_DEP_2)
	s_or_b32 exec_lo, exec_lo, s15
	v_lshrrev_b16 v4, 8, v34
	v_dual_mov_b32 v70, 0 :: v_dual_mov_b32 v11, 0
	s_mov_b32 s15, exec_lo
	v_cmpx_ne_u16_e32 0, v4
	s_cbranch_execz .LBB368_986
; %bb.979:                              ;   in Loop: Header=BB368_10 Depth=1
	v_bfrev_b32_e32 v11, 1
	s_mov_b32 s16, exec_lo
	v_cmpx_ne_u16_e32 0x80, v4
	s_cbranch_execz .LBB368_985
; %bb.980:                              ;   in Loop: Header=BB368_10 Depth=1
	v_and_b32_e32 v4, 0xffff, v4
	v_mov_b32_e32 v11, 0x7f800001
	s_mov_b32 s17, exec_lo
	s_delay_alu instid0(VALU_DEP_2) | instskip(NEXT) | instid1(VALU_DEP_1)
	v_and_b32_e32 v18, 0x7f, v4
	v_cmpx_ne_u32_e32 0x7f, v18
	s_cbranch_execz .LBB368_984
; %bb.981:                              ;   in Loop: Header=BB368_10 Depth=1
	v_dual_lshrrev_b32 v4, 3, v18 :: v_dual_bitop2_b32 v16, 7, v4 bitop3:0x40
	s_mov_b32 s18, exec_lo
	s_delay_alu instid0(VALU_DEP_1)
	v_mov_b64_e32 v[8:9], v[16:17]
	v_cmpx_gt_u32_e32 8, v18
; %bb.982:                              ;   in Loop: Header=BB368_10 Depth=1
	v_clz_i32_u32_e32 v4, v16
	s_delay_alu instid0(VALU_DEP_1) | instskip(NEXT) | instid1(VALU_DEP_1)
	v_min_u32_e32 v4, 32, v4
	v_subrev_nc_u32_e32 v8, 28, v4
	v_sub_nc_u32_e32 v4, 29, v4
	s_delay_alu instid0(VALU_DEP_2) | instskip(NEXT) | instid1(VALU_DEP_1)
	v_lshlrev_b64_e32 v[8:9], v8, v[16:17]
	v_and_b32_e32 v8, 7, v8
; %bb.983:                              ;   in Loop: Header=BB368_10 Depth=1
	s_or_b32 exec_lo, exec_lo, s18
	s_delay_alu instid0(VALU_DEP_1) | instskip(SKIP_1) | instid1(VALU_DEP_2)
	v_dual_lshlrev_b32 v9, 16, v34 :: v_dual_lshlrev_b32 v8, 20, v8
	v_lshl_add_u32 v4, v4, 23, 0x3c000000
	v_and_b32_e32 v9, 0x80000000, v9
	s_delay_alu instid0(VALU_DEP_1)
	v_or3_b32 v11, v8, v9, v4
.LBB368_984:                            ;   in Loop: Header=BB368_10 Depth=1
	s_or_b32 exec_lo, exec_lo, s17
.LBB368_985:                            ;   in Loop: Header=BB368_10 Depth=1
	s_delay_alu instid0(SALU_CYCLE_1)
	s_or_b32 exec_lo, exec_lo, s16
.LBB368_986:                            ;   in Loop: Header=BB368_10 Depth=1
	s_delay_alu instid0(SALU_CYCLE_1) | instskip(SKIP_2) | instid1(VALU_DEP_1)
	s_or_b32 exec_lo, exec_lo, s15
	v_lshrrev_b32_e32 v4, 16, v34
	s_mov_b32 s15, exec_lo
	v_and_b32_e32 v8, 0xff, v4
	s_delay_alu instid0(VALU_DEP_1)
	v_cmpx_ne_u16_e32 0, v8
	s_cbranch_execz .LBB368_994
; %bb.987:                              ;   in Loop: Header=BB368_10 Depth=1
	v_bfrev_b32_e32 v70, 1
	s_mov_b32 s16, exec_lo
	v_cmpx_ne_u16_e32 0x80, v8
	s_cbranch_execz .LBB368_993
; %bb.988:                              ;   in Loop: Header=BB368_10 Depth=1
	v_bfe_u32 v18, v34, 16, 7
	v_mov_b32_e32 v70, 0x7f800001
	s_mov_b32 s17, exec_lo
	s_delay_alu instid0(VALU_DEP_2)
	v_cmpx_ne_u32_e32 0x7f, v18
	s_cbranch_execz .LBB368_992
; %bb.989:                              ;   in Loop: Header=BB368_10 Depth=1
	v_and_b32_e32 v16, 7, v4
	s_mov_b32 s18, exec_lo
	s_delay_alu instid0(VALU_DEP_1)
	v_mov_b64_e32 v[8:9], v[16:17]
	v_lshrrev_b32_e32 v9, 3, v18
	v_cmpx_gt_u32_e32 8, v18
; %bb.990:                              ;   in Loop: Header=BB368_10 Depth=1
	v_clz_i32_u32_e32 v8, v16
	s_delay_alu instid0(VALU_DEP_1) | instskip(NEXT) | instid1(VALU_DEP_1)
	v_min_u32_e32 v18, 32, v8
	v_subrev_nc_u32_e32 v8, 28, v18
	s_delay_alu instid0(VALU_DEP_1) | instskip(NEXT) | instid1(VALU_DEP_1)
	v_lshlrev_b64_e32 v[8:9], v8, v[16:17]
	v_dual_sub_nc_u32 v9, 29, v18 :: v_dual_bitop2_b32 v8, 7, v8 bitop3:0x40
; %bb.991:                              ;   in Loop: Header=BB368_10 Depth=1
	s_or_b32 exec_lo, exec_lo, s18
	v_lshlrev_b32_e32 v4, 24, v4
	s_delay_alu instid0(VALU_DEP_2) | instskip(NEXT) | instid1(VALU_DEP_3)
	v_lshlrev_b32_e32 v8, 20, v8
	v_lshl_add_u32 v9, v9, 23, 0x3c000000
	s_delay_alu instid0(VALU_DEP_3) | instskip(NEXT) | instid1(VALU_DEP_1)
	v_and_b32_e32 v4, 0x80000000, v4
	v_or3_b32 v70, v8, v4, v9
.LBB368_992:                            ;   in Loop: Header=BB368_10 Depth=1
	s_or_b32 exec_lo, exec_lo, s17
.LBB368_993:                            ;   in Loop: Header=BB368_10 Depth=1
	s_delay_alu instid0(SALU_CYCLE_1)
	s_or_b32 exec_lo, exec_lo, s16
.LBB368_994:                            ;   in Loop: Header=BB368_10 Depth=1
	s_delay_alu instid0(SALU_CYCLE_1)
	s_or_b32 exec_lo, exec_lo, s15
	v_dual_mov_b32 v22, 0 :: v_dual_mov_b32 v71, 0
	s_mov_b32 s15, exec_lo
	v_cmpx_lt_u32_e32 0xffffff, v34
	s_cbranch_execz .LBB368_1002
; %bb.995:                              ;   in Loop: Header=BB368_10 Depth=1
	v_lshrrev_b32_e32 v4, 24, v34
	v_bfrev_b32_e32 v71, 1
	s_mov_b32 s16, exec_lo
	s_delay_alu instid0(VALU_DEP_2)
	v_cmpx_ne_u32_e32 0x80, v4
	s_cbranch_execz .LBB368_1001
; %bb.996:                              ;   in Loop: Header=BB368_10 Depth=1
	v_bfe_u32 v18, v34, 24, 7
	v_mov_b32_e32 v71, 0x7f800001
	s_mov_b32 s17, exec_lo
	s_delay_alu instid0(VALU_DEP_2)
	v_cmpx_ne_u32_e32 0x7f, v18
	s_cbranch_execz .LBB368_1000
; %bb.997:                              ;   in Loop: Header=BB368_10 Depth=1
	v_and_b32_e32 v16, 7, v4
	s_mov_b32 s18, exec_lo
	s_delay_alu instid0(VALU_DEP_1)
	v_mov_b64_e32 v[8:9], v[16:17]
	v_lshrrev_b32_e32 v9, 3, v18
	v_cmpx_gt_u32_e32 8, v18
; %bb.998:                              ;   in Loop: Header=BB368_10 Depth=1
	v_clz_i32_u32_e32 v8, v16
	s_delay_alu instid0(VALU_DEP_1) | instskip(NEXT) | instid1(VALU_DEP_1)
	v_min_u32_e32 v18, 32, v8
	v_subrev_nc_u32_e32 v8, 28, v18
	s_delay_alu instid0(VALU_DEP_1) | instskip(NEXT) | instid1(VALU_DEP_1)
	v_lshlrev_b64_e32 v[8:9], v8, v[16:17]
	v_dual_sub_nc_u32 v9, 29, v18 :: v_dual_bitop2_b32 v8, 7, v8 bitop3:0x40
; %bb.999:                              ;   in Loop: Header=BB368_10 Depth=1
	s_or_b32 exec_lo, exec_lo, s18
	v_lshlrev_b32_e32 v4, 24, v4
	s_delay_alu instid0(VALU_DEP_2) | instskip(NEXT) | instid1(VALU_DEP_3)
	v_lshlrev_b32_e32 v8, 20, v8
	v_lshl_add_u32 v9, v9, 23, 0x3c000000
	s_delay_alu instid0(VALU_DEP_3) | instskip(NEXT) | instid1(VALU_DEP_1)
	v_and_b32_e32 v4, 0x80000000, v4
	v_or3_b32 v71, v8, v4, v9
.LBB368_1000:                           ;   in Loop: Header=BB368_10 Depth=1
	s_or_b32 exec_lo, exec_lo, s17
.LBB368_1001:                           ;   in Loop: Header=BB368_10 Depth=1
	s_delay_alu instid0(SALU_CYCLE_1)
	s_or_b32 exec_lo, exec_lo, s16
.LBB368_1002:                           ;   in Loop: Header=BB368_10 Depth=1
	s_delay_alu instid0(SALU_CYCLE_1) | instskip(SKIP_3) | instid1(VALU_DEP_2)
	s_or_b32 exec_lo, exec_lo, s15
	v_and_b32_e32 v4, 0xff, v35
	v_mov_b32_e32 v16, v35
	s_mov_b32 s15, exec_lo
	v_cmpx_ne_u16_e32 0, v4
	s_cbranch_execz .LBB368_1010
; %bb.1003:                             ;   in Loop: Header=BB368_10 Depth=1
	v_bfrev_b32_e32 v22, 1
	s_mov_b32 s16, exec_lo
	v_cmpx_ne_u16_e32 0x80, v4
	s_cbranch_execz .LBB368_1009
; %bb.1004:                             ;   in Loop: Header=BB368_10 Depth=1
	v_and_b32_e32 v18, 0x7f, v35
	v_mov_b32_e32 v22, 0x7f800001
	s_mov_b32 s17, exec_lo
	s_delay_alu instid0(VALU_DEP_2)
	v_cmpx_ne_u32_e32 0x7f, v18
	s_cbranch_execz .LBB368_1008
; %bb.1005:                             ;   in Loop: Header=BB368_10 Depth=1
	v_mov_b64_e32 v[8:9], v[16:17]
	v_lshrrev_b32_e32 v4, 3, v18
	s_mov_b32 s18, exec_lo
	v_cmpx_gt_u32_e32 8, v18
; %bb.1006:                             ;   in Loop: Header=BB368_10 Depth=1
	v_and_b32_e32 v4, 7, v35
	s_delay_alu instid0(VALU_DEP_1) | instskip(NEXT) | instid1(VALU_DEP_1)
	v_clz_i32_u32_e32 v4, v4
	v_min_u32_e32 v4, 32, v4
	s_delay_alu instid0(VALU_DEP_1) | instskip(SKIP_1) | instid1(VALU_DEP_2)
	v_subrev_nc_u32_e32 v8, 28, v4
	v_sub_nc_u32_e32 v4, 29, v4
	v_lshlrev_b64_e32 v[8:9], v8, v[16:17]
; %bb.1007:                             ;   in Loop: Header=BB368_10 Depth=1
	s_or_b32 exec_lo, exec_lo, s18
	s_delay_alu instid0(VALU_DEP_1) | instskip(SKIP_2) | instid1(VALU_DEP_3)
	v_lshlrev_b32_e32 v8, 20, v8
	v_lshlrev_b32_e32 v9, 24, v16
	v_lshl_add_u32 v4, v4, 23, 0x3c000000
	v_and_b32_e32 v8, 0x700000, v8
	s_delay_alu instid0(VALU_DEP_3) | instskip(NEXT) | instid1(VALU_DEP_1)
	v_and_b32_e32 v9, 0x80000000, v9
	v_or3_b32 v22, v8, v9, v4
.LBB368_1008:                           ;   in Loop: Header=BB368_10 Depth=1
	s_or_b32 exec_lo, exec_lo, s17
.LBB368_1009:                           ;   in Loop: Header=BB368_10 Depth=1
	s_delay_alu instid0(SALU_CYCLE_1)
	s_or_b32 exec_lo, exec_lo, s16
.LBB368_1010:                           ;   in Loop: Header=BB368_10 Depth=1
	s_delay_alu instid0(SALU_CYCLE_1) | instskip(SKIP_3) | instid1(VALU_DEP_2)
	s_or_b32 exec_lo, exec_lo, s15
	v_lshrrev_b16 v4, 8, v16
	v_dual_mov_b32 v8, 0 :: v_dual_mov_b32 v23, 0
	s_mov_b32 s15, exec_lo
	v_cmpx_ne_u16_e32 0, v4
	s_cbranch_execz .LBB368_1018
; %bb.1011:                             ;   in Loop: Header=BB368_10 Depth=1
	v_bfrev_b32_e32 v23, 1
	s_mov_b32 s16, exec_lo
	v_cmpx_ne_u16_e32 0x80, v4
	s_cbranch_execz .LBB368_1017
; %bb.1012:                             ;   in Loop: Header=BB368_10 Depth=1
	v_and_b32_e32 v4, 0xffff, v4
	v_mov_b32_e32 v23, 0x7f800001
	s_mov_b32 s17, exec_lo
	s_delay_alu instid0(VALU_DEP_2) | instskip(NEXT) | instid1(VALU_DEP_1)
	v_and_b32_e32 v9, 0x7f, v4
	v_cmpx_ne_u32_e32 0x7f, v9
	s_cbranch_execz .LBB368_1016
; %bb.1013:                             ;   in Loop: Header=BB368_10 Depth=1
	v_dual_mov_b32 v36, v19 :: v_dual_bitop2_b32 v18, 7, v4 bitop3:0x40
	v_dual_mov_b32 v19, v17 :: v_dual_lshrrev_b32 v4, 3, v9
	s_mov_b32 s18, exec_lo
	v_cmpx_gt_u32_e32 8, v9
; %bb.1014:                             ;   in Loop: Header=BB368_10 Depth=1
	s_delay_alu instid0(VALU_DEP_3) | instskip(NEXT) | instid1(VALU_DEP_1)
	v_clz_i32_u32_e32 v4, v18
	v_min_u32_e32 v4, 32, v4
	s_delay_alu instid0(VALU_DEP_1) | instskip(NEXT) | instid1(VALU_DEP_1)
	v_subrev_nc_u32_e32 v9, 28, v4
	v_lshlrev_b64_e32 v[18:19], v9, v[18:19]
	s_delay_alu instid0(VALU_DEP_1)
	v_dual_sub_nc_u32 v4, 29, v4 :: v_dual_bitop2_b32 v18, 7, v18 bitop3:0x40
; %bb.1015:                             ;   in Loop: Header=BB368_10 Depth=1
	s_or_b32 exec_lo, exec_lo, s18
	s_delay_alu instid0(VALU_DEP_1) | instskip(NEXT) | instid1(VALU_DEP_2)
	v_dual_lshlrev_b32 v9, 16, v16 :: v_dual_lshlrev_b32 v16, 20, v18
	v_lshl_add_u32 v4, v4, 23, 0x3c000000
	v_mov_b32_e32 v19, v36
	s_delay_alu instid0(VALU_DEP_3) | instskip(NEXT) | instid1(VALU_DEP_1)
	v_and_b32_e32 v9, 0x80000000, v9
	v_or3_b32 v23, v16, v9, v4
.LBB368_1016:                           ;   in Loop: Header=BB368_10 Depth=1
	s_or_b32 exec_lo, exec_lo, s17
.LBB368_1017:                           ;   in Loop: Header=BB368_10 Depth=1
	s_delay_alu instid0(SALU_CYCLE_1)
	s_or_b32 exec_lo, exec_lo, s16
.LBB368_1018:                           ;   in Loop: Header=BB368_10 Depth=1
	s_delay_alu instid0(SALU_CYCLE_1) | instskip(SKIP_2) | instid1(VALU_DEP_1)
	s_or_b32 exec_lo, exec_lo, s15
	v_lshrrev_b32_e32 v4, 16, v35
	s_mov_b32 s15, exec_lo
	v_and_b32_e32 v9, 0xff, v4
	s_delay_alu instid0(VALU_DEP_1)
	v_cmpx_ne_u16_e32 0, v9
	s_cbranch_execz .LBB368_1026
; %bb.1019:                             ;   in Loop: Header=BB368_10 Depth=1
	v_bfrev_b32_e32 v8, 1
	s_mov_b32 s16, exec_lo
	v_cmpx_ne_u16_e32 0x80, v9
	s_cbranch_execz .LBB368_1025
; %bb.1020:                             ;   in Loop: Header=BB368_10 Depth=1
	v_bfe_u32 v18, v35, 16, 7
	v_mov_b32_e32 v8, 0x7f800001
	s_mov_b32 s17, exec_lo
	s_delay_alu instid0(VALU_DEP_2)
	v_cmpx_ne_u32_e32 0x7f, v18
	s_cbranch_execz .LBB368_1024
; %bb.1021:                             ;   in Loop: Header=BB368_10 Depth=1
	v_and_b32_e32 v16, 7, v4
	s_mov_b32 s18, exec_lo
	s_delay_alu instid0(VALU_DEP_1)
	v_mov_b64_e32 v[8:9], v[16:17]
	v_lshrrev_b32_e32 v9, 3, v18
	v_cmpx_gt_u32_e32 8, v18
; %bb.1022:                             ;   in Loop: Header=BB368_10 Depth=1
	v_clz_i32_u32_e32 v8, v16
	s_delay_alu instid0(VALU_DEP_1) | instskip(NEXT) | instid1(VALU_DEP_1)
	v_min_u32_e32 v18, 32, v8
	v_subrev_nc_u32_e32 v8, 28, v18
	s_delay_alu instid0(VALU_DEP_1) | instskip(NEXT) | instid1(VALU_DEP_1)
	v_lshlrev_b64_e32 v[8:9], v8, v[16:17]
	v_dual_sub_nc_u32 v9, 29, v18 :: v_dual_bitop2_b32 v8, 7, v8 bitop3:0x40
; %bb.1023:                             ;   in Loop: Header=BB368_10 Depth=1
	s_or_b32 exec_lo, exec_lo, s18
	v_lshlrev_b32_e32 v4, 24, v4
	s_delay_alu instid0(VALU_DEP_2) | instskip(NEXT) | instid1(VALU_DEP_3)
	v_lshlrev_b32_e32 v8, 20, v8
	v_lshl_add_u32 v9, v9, 23, 0x3c000000
	s_delay_alu instid0(VALU_DEP_3) | instskip(NEXT) | instid1(VALU_DEP_1)
	v_and_b32_e32 v4, 0x80000000, v4
	v_or3_b32 v8, v8, v4, v9
.LBB368_1024:                           ;   in Loop: Header=BB368_10 Depth=1
	s_or_b32 exec_lo, exec_lo, s17
.LBB368_1025:                           ;   in Loop: Header=BB368_10 Depth=1
	s_delay_alu instid0(SALU_CYCLE_1)
	s_or_b32 exec_lo, exec_lo, s16
.LBB368_1026:                           ;   in Loop: Header=BB368_10 Depth=1
	s_delay_alu instid0(SALU_CYCLE_1)
	s_or_b32 exec_lo, exec_lo, s15
	v_mov_b32_e32 v9, 0
	scratch_store_b32 off, v20, s32 offset:260 ; 4-byte Folded Spill
	v_cmp_lt_u64_e64 s1, s[2:3], v[34:35]
	s_wait_xcnt 0x0
	s_mov_b32 s15, exec_lo
	v_dual_mov_b32 v37, v109 :: v_dual_mov_b32 v36, v26
	v_mov_b32_e32 v108, v27
	s_and_b32 s1, s15, s1
	s_delay_alu instid0(SALU_CYCLE_1)
	s_mov_b32 exec_lo, s1
	s_cbranch_execz .LBB368_9
; %bb.1027:                             ;   in Loop: Header=BB368_10 Depth=1
	v_lshrrev_b32_e32 v4, 24, v35
	v_bfrev_b32_e32 v9, 1
	s_mov_b32 s16, exec_lo
	s_delay_alu instid0(VALU_DEP_2)
	v_cmpx_ne_u32_e32 0x80, v4
	s_cbranch_execz .LBB368_8
; %bb.1028:                             ;   in Loop: Header=BB368_10 Depth=1
	v_bfe_u32 v20, v35, 24, 7
	v_mov_b32_e32 v9, 0x7f800001
	s_mov_b32 s17, exec_lo
	s_delay_alu instid0(VALU_DEP_2)
	v_cmpx_ne_u32_e32 0x7f, v20
	s_cbranch_execz .LBB368_7
; %bb.1029:                             ;   in Loop: Header=BB368_10 Depth=1
	v_and_b32_e32 v16, 7, v4
	v_lshrrev_b32_e32 v9, 3, v20
	s_mov_b32 s18, exec_lo
	s_delay_alu instid0(VALU_DEP_2)
	v_mov_b64_e32 v[34:35], v[16:17]
	v_cmpx_gt_u32_e32 8, v20
	s_cbranch_execz .LBB368_6
; %bb.1030:                             ;   in Loop: Header=BB368_10 Depth=1
	v_clz_i32_u32_e32 v9, v16
	s_delay_alu instid0(VALU_DEP_1) | instskip(NEXT) | instid1(VALU_DEP_1)
	v_min_u32_e32 v9, 32, v9
	v_subrev_nc_u32_e32 v18, 28, v9
	s_delay_alu instid0(VALU_DEP_1) | instskip(NEXT) | instid1(VALU_DEP_1)
	v_lshlrev_b64_e32 v[34:35], v18, v[16:17]
	v_dual_sub_nc_u32 v9, 29, v9 :: v_dual_bitop2_b32 v34, 7, v34 bitop3:0x40
	s_branch .LBB368_6
.LBB368_1031:
	s_or_b32 exec_lo, exec_lo, s7
	s_clause 0x4
	scratch_load_b32 v89, off, s32 offset:916
	scratch_load_b64 v[22:23], off, s32 offset:956
	scratch_load_b64 v[34:35], off, s32 offset:964
	scratch_load_b32 v16, off, s32 offset:972
	scratch_load_b32 v36, off, s32 offset:360
.LBB368_1032:
	s_wait_xcnt 0x0
	s_or_b32 exec_lo, exec_lo, s14
	v_mbcnt_lo_u32_b32 v2, -1, 0
	s_delay_alu instid0(VALU_DEP_1) | instskip(SKIP_1) | instid1(VALU_DEP_2)
	v_dual_max_num_f32 v4, v20, v20 :: v_dual_bitop2_b32 v0, 16, v2 bitop3:0x14
	v_xor_b32_e32 v3, 8, v2
	v_cmp_gt_i32_e32 vcc_lo, 32, v0
	v_cndmask_b32_e32 v0, v2, v0, vcc_lo
	s_delay_alu instid0(VALU_DEP_3) | instskip(NEXT) | instid1(VALU_DEP_2)
	v_cmp_gt_i32_e32 vcc_lo, 32, v3
	v_dual_cndmask_b32 v3, v2, v3 :: v_dual_lshlrev_b32 v0, 2, v0
	ds_bpermute_b32 v1, v0, v20
	s_wait_dscnt 0x0
	v_dual_max_num_f32 v5, v1, v1 :: v_dual_lshlrev_b32 v1, 2, v3
	s_delay_alu instid0(VALU_DEP_1) | instskip(SKIP_4) | instid1(VALU_DEP_1)
	v_dual_max_num_f32 v4, v4, v5 :: v_dual_bitop2_b32 v5, 4, v2 bitop3:0x14
	ds_bpermute_b32 v3, v1, v4
	v_cmp_gt_i32_e32 vcc_lo, 32, v5
	s_wait_dscnt 0x0
	v_dual_cndmask_b32 v5, v2, v5 :: v_dual_max_num_f32 v6, v3, v3
	v_dual_max_num_f32 v4, v4, v6 :: v_dual_lshlrev_b32 v3, 2, v5
	ds_bpermute_b32 v5, v3, v4
	s_wait_dscnt 0x0
	v_dual_max_num_f32 v5, v5, v5 :: v_dual_bitop2_b32 v6, 2, v2 bitop3:0x14
	s_delay_alu instid0(VALU_DEP_1) | instskip(NEXT) | instid1(VALU_DEP_2)
	v_cmp_gt_i32_e32 vcc_lo, 32, v6
	v_dual_max_num_f32 v4, v4, v5 :: v_dual_cndmask_b32 v6, v2, v6, vcc_lo
	s_delay_alu instid0(VALU_DEP_1) | instskip(SKIP_3) | instid1(VALU_DEP_1)
	v_lshlrev_b32_e32 v32, 2, v6
	ds_bpermute_b32 v5, v32, v4
	s_wait_dscnt 0x0
	v_dual_max_num_f32 v5, v5, v5 :: v_dual_bitop2_b32 v6, 1, v2 bitop3:0x14
	v_cmp_gt_i32_e32 vcc_lo, 32, v6
	s_delay_alu instid0(VALU_DEP_2)
	v_dual_cndmask_b32 v6, v2, v6, vcc_lo :: v_dual_max_num_f32 v2, v4, v5
	scratch_load_b32 v4, off, s32 offset:908 ; 4-byte Folded Reload
	s_wait_loadcnt 0x0
	v_cmp_eq_u32_e32 vcc_lo, 0, v4
	scratch_load_b32 v4, off, s32 offset:912 ; 4-byte Folded Reload
	s_wait_loadcnt 0x0
	v_dual_lshlrev_b32 v4, 2, v4 :: v_dual_lshlrev_b32 v50, 2, v6
	ds_bpermute_b32 v5, v50, v2
	s_wait_xcnt 0x0
	s_and_saveexec_b32 s1, vcc_lo
	s_cbranch_execz .LBB368_1034
; %bb.1033:
	s_wait_dscnt 0x0
	v_dual_max_num_f32 v5, v5, v5 :: v_dual_max_num_f32 v2, v2, v2
	s_delay_alu instid0(VALU_DEP_1)
	v_max_num_f32_e32 v2, v2, v5
	ds_store_b32 v4, v2 offset:256
.LBB368_1034:
	s_or_b32 exec_lo, exec_lo, s1
	scratch_load_b32 v2, off, s32 offset:908 ; 4-byte Folded Reload
	s_wait_storecnt 0x0
	s_wait_loadcnt_dscnt 0x0
	s_barrier_signal -1
	s_barrier_wait -1
	v_cmp_gt_u32_e64 s1, 4, v2
	v_mov_b32_e32 v2, 0xff7fffff
	s_and_saveexec_b32 s2, s1
; %bb.1035:
	ds_load_b32 v2, v16 offset:256
; %bb.1036:
	s_or_b32 exec_lo, exec_lo, s2
	s_wait_dscnt 0x0
	ds_bpermute_b32 v5, v32, v2
	s_wait_dscnt 0x0
	v_dual_max_num_f32 v2, v2, v2 :: v_dual_max_num_f32 v5, v5, v5
	s_delay_alu instid0(VALU_DEP_1) | instskip(SKIP_3) | instid1(VALU_DEP_1)
	v_max_num_f32_e32 v2, v2, v5
	ds_bpermute_b32 v5, v50, v2
	s_wait_dscnt 0x0
	v_max_num_f32_e32 v5, v5, v5
	v_dual_max_num_f32 v2, v2, v5 :: v_dual_mov_b32 v5, 0
	ds_bpermute_b32 v6, v5, v2
	scratch_load_b32 v2, off, s32 offset:208 ; 4-byte Folded Reload
	s_wait_loadcnt 0x0
	v_lshlrev_b32_e32 v2, 5, v2
	s_delay_alu instid0(VALU_DEP_1) | instskip(NEXT) | instid1(VALU_DEP_1)
	v_min_i32_e32 v2, v2, v36
	v_cmp_lt_i32_e64 s2, v89, v2
	s_and_saveexec_b32 s14, s2
	s_cbranch_execz .LBB368_1040
; %bb.1037:
	s_ashr_i32 s7, s6, 31
	v_dual_mov_b32 v5, 0 :: v_dual_mov_b32 v8, v89
	s_lshl_b64 s[16:17], s[6:7], 2
	s_mov_b32 s7, 0
	s_add_nc_u64 s[16:17], s[8:9], s[16:17]
	s_load_b32 s3, s[16:17], 0x0
	s_wait_kmcnt 0x0
	v_lshl_add_u32 v7, v89, 2, s3
.LBB368_1038:                           ; =>This Inner Loop Header: Depth=1
	ds_load_b32 v9, v7
	v_add_nc_u32_e32 v8, 0x80, v8
	s_delay_alu instid0(VALU_DEP_1) | instskip(SKIP_3) | instid1(VALU_DEP_1)
	v_cmp_ge_i32_e64 s3, v8, v2
	s_or_b32 s7, s3, s7
	s_wait_dscnt 0x0
	v_sub_f32_e32 v9, v9, v6
	v_mul_f32_e32 v9, 0x3fb8aa3b, v9
	s_delay_alu instid0(VALU_DEP_1)
	v_exp_f32_e32 v9, v9
	ds_store_b32 v7, v9
	v_nop
	v_add_f32_e32 v5, v5, v9
	v_add_nc_u32_e32 v7, 0x200, v7
	s_and_not1_b32 exec_lo, exec_lo, s7
	s_cbranch_execnz .LBB368_1038
; %bb.1039:
	s_or_b32 exec_lo, exec_lo, s7
.LBB368_1040:
	s_delay_alu instid0(SALU_CYCLE_1)
	s_or_b32 exec_lo, exec_lo, s14
	ds_bpermute_b32 v0, v0, v5
	s_wait_dscnt 0x0
	v_add_f32_e32 v0, v5, v0
	ds_bpermute_b32 v1, v1, v0
	s_wait_dscnt 0x0
	v_add_f32_e32 v0, v0, v1
	;; [unrolled: 3-line block ×5, first 2 shown]
	s_and_saveexec_b32 s3, vcc_lo
; %bb.1041:
	ds_store_b32 v4, v0 offset:272
; %bb.1042:
	s_or_b32 exec_lo, exec_lo, s3
	s_wait_dscnt 0x0
	s_barrier_signal -1
	s_barrier_wait -1
	s_and_saveexec_b32 s3, s1
; %bb.1043:
	ds_load_b32 v0, v16 offset:272
; %bb.1044:
	s_or_b32 exec_lo, exec_lo, s3
	s_wait_dscnt 0x0
	ds_bpermute_b32 v1, v32, v0
	s_wait_dscnt 0x0
	v_add_f32_e32 v0, v0, v1
	ds_bpermute_b32 v1, v50, v0
	s_wait_dscnt 0x0
	v_dual_add_f32 v0, v0, v1 :: v_dual_mov_b32 v1, 0
	ds_bpermute_b32 v0, v1, v0
	s_and_saveexec_b32 s1, s2
	s_cbranch_execz .LBB368_1057
; %bb.1045:
	s_wait_dscnt 0x0
	v_add_f32_e32 v0, 0x358637bd, v0
	s_mov_b32 s3, -1
	s_mov_b32 s2, exec_lo
	s_delay_alu instid0(VALU_DEP_1) | instskip(SKIP_1) | instid1(VALU_DEP_2)
	v_div_scale_f32 v1, null, v0, v0, 1.0
	v_div_scale_f32 v5, vcc_lo, 1.0, v0, 1.0
	v_rcp_f32_e32 v4, v1
	v_nop
	s_delay_alu instid0(TRANS32_DEP_1) | instskip(NEXT) | instid1(VALU_DEP_1)
	v_fma_f32 v3, -v1, v4, 1.0
	v_fmac_f32_e32 v4, v3, v4
	s_delay_alu instid0(VALU_DEP_1) | instskip(NEXT) | instid1(VALU_DEP_1)
	v_mul_f32_e32 v6, v5, v4
	v_fma_f32 v3, -v1, v6, v5
	s_delay_alu instid0(VALU_DEP_1) | instskip(SKIP_1) | instid1(VALU_DEP_2)
	v_fmac_f32_e32 v6, v3, v4
	v_xad_u32 v3, v89, -1, v2
	v_fma_f32 v1, -v1, v6, v5
	s_delay_alu instid0(VALU_DEP_1) | instskip(NEXT) | instid1(VALU_DEP_1)
	v_div_fmas_f32 v1, v1, v4, v6
	v_div_fixup_f32 v0, v1, v0, 1.0
	v_mov_b32_e32 v1, v89
	v_cmpx_lt_u32_e32 0x7f, v3
	s_cbranch_execz .LBB368_1054
; %bb.1046:
	s_delay_alu instid0(VALU_DEP_3) | instskip(NEXT) | instid1(VALU_DEP_1)
	v_dual_lshrrev_b32 v3, 7, v3 :: v_dual_mov_b32 v1, v0
	v_dual_mov_b32 v7, 0 :: v_dual_add_nc_u32 v4, -1, v3
	s_delay_alu instid0(VALU_DEP_1) | instskip(SKIP_1) | instid1(VALU_DEP_2)
	v_lshrrev_b32_e32 v5, 1, v4
	v_cmp_lt_u32_e32 vcc_lo, 13, v4
	v_add_nc_u32_e32 v4, 1, v5
	s_and_saveexec_b32 s3, vcc_lo
	s_cbranch_execz .LBB368_1050
; %bb.1047:
	s_ashr_i32 s7, s6, 31
	s_delay_alu instid0(VALU_DEP_1) | instskip(SKIP_1) | instid1(SALU_CYCLE_1)
	v_and_b32_e32 v5, -8, v4
	s_lshl_b64 s[14:15], s[6:7], 2
	s_add_nc_u64 s[14:15], s[8:9], s[14:15]
	s_load_b32 s7, s[14:15], 0x0
	s_wait_xcnt 0x0
	s_mov_b32 s14, 0
	s_wait_kmcnt 0x0
	v_lshl_add_u32 v6, v89, 2, s7
	s_mov_b32 s7, 0
.LBB368_1048:                           ; =>This Inner Loop Header: Depth=1
	ds_load_2addr_stride64_b32 v[8:9], v6 offset1:2
	ds_load_2addr_stride64_b32 v[10:11], v6 offset0:4 offset1:6
	ds_load_2addr_stride64_b32 v[12:13], v6 offset0:8 offset1:10
	;; [unrolled: 1-line block ×7, first 2 shown]
	s_add_co_i32 s14, s14, 16
	s_delay_alu instid0(SALU_CYCLE_1) | instskip(NEXT) | instid1(VALU_DEP_1)
	v_dual_add_nc_u32 v5, -8, v5 :: v_dual_mov_b32 v7, s14
	v_cmp_eq_u32_e32 vcc_lo, 0, v5
	s_or_b32 s7, vcc_lo, s7
	s_wait_dscnt 0x7
	v_pk_mul_f32 v[8:9], v[0:1], v[8:9]
	s_wait_dscnt 0x6
	v_pk_mul_f32 v[10:11], v[0:1], v[10:11]
	s_wait_dscnt 0x5
	v_pk_mul_f32 v[12:13], v[0:1], v[12:13]
	s_wait_dscnt 0x4
	v_pk_mul_f32 v[14:15], v[0:1], v[14:15]
	s_wait_dscnt 0x3
	v_pk_mul_f32 v[16:17], v[0:1], v[16:17]
	s_wait_dscnt 0x2
	v_pk_mul_f32 v[18:19], v[0:1], v[18:19]
	s_wait_dscnt 0x1
	v_pk_mul_f32 v[20:21], v[0:1], v[20:21]
	s_wait_dscnt 0x0
	v_pk_mul_f32 v[24:25], v[0:1], v[24:25]
	ds_store_2addr_stride64_b32 v6, v8, v9 offset1:2
	ds_store_2addr_stride64_b32 v6, v10, v11 offset0:4 offset1:6
	ds_store_2addr_stride64_b32 v6, v12, v13 offset0:8 offset1:10
	;; [unrolled: 1-line block ×7, first 2 shown]
	v_add_nc_u32_e32 v6, 0x2000, v6
	s_and_not1_b32 exec_lo, exec_lo, s7
	s_cbranch_execnz .LBB368_1048
; %bb.1049:
	s_or_b32 exec_lo, exec_lo, s7
.LBB368_1050:
	s_delay_alu instid0(SALU_CYCLE_1) | instskip(NEXT) | instid1(VALU_DEP_1)
	s_or_b32 exec_lo, exec_lo, s3
	v_and_b32_e32 v4, 7, v4
	s_mov_b32 s14, 0
	s_mov_b32 s3, exec_lo
	s_delay_alu instid0(VALU_DEP_1)
	v_cmpx_ne_u32_e32 0, v4
	s_cbranch_execz .LBB368_1053
; %bb.1051:
	s_ashr_i32 s7, s6, 31
	v_dual_lshlrev_b32 v5, 9, v7 :: v_dual_lshlrev_b32 v6, 2, v89
	s_lshl_b64 s[16:17], s[6:7], 2
	s_delay_alu instid0(SALU_CYCLE_1)
	s_add_nc_u64 s[16:17], s[8:9], s[16:17]
	s_load_b32 s7, s[16:17], 0x0
	s_wait_kmcnt 0x0
	v_add3_u32 v5, v5, v6, s7
.LBB368_1052:                           ; =>This Inner Loop Header: Depth=1
	ds_load_2addr_stride64_b32 v[6:7], v5 offset1:2
	v_add_nc_u32_e32 v4, -1, v4
	s_delay_alu instid0(VALU_DEP_1)
	v_cmp_eq_u32_e32 vcc_lo, 0, v4
	s_or_b32 s14, vcc_lo, s14
	s_wait_dscnt 0x0
	v_pk_mul_f32 v[6:7], v[0:1], v[6:7]
	ds_store_2addr_stride64_b32 v5, v6, v7 offset1:2
	v_add_nc_u32_e32 v5, 0x400, v5
	s_and_not1_b32 exec_lo, exec_lo, s14
	s_cbranch_execnz .LBB368_1052
.LBB368_1053:
	s_or_b32 exec_lo, exec_lo, s3
	v_add_nc_u32_e32 v1, 1, v3
	s_delay_alu instid0(VALU_DEP_1) | instskip(NEXT) | instid1(VALU_DEP_1)
	v_and_b32_e32 v3, 0x3fffffe, v1
	v_cmp_ne_u32_e32 vcc_lo, v1, v3
	v_lshl_add_u32 v1, v3, 7, v89
	s_or_not1_b32 s3, vcc_lo, exec_lo
.LBB368_1054:
	s_or_b32 exec_lo, exec_lo, s2
	s_delay_alu instid0(SALU_CYCLE_1)
	s_and_b32 exec_lo, exec_lo, s3
	s_cbranch_execz .LBB368_1057
; %bb.1055:
	s_ashr_i32 s7, s6, 31
	s_delay_alu instid0(SALU_CYCLE_1) | instskip(NEXT) | instid1(SALU_CYCLE_1)
	s_lshl_b64 s[2:3], s[6:7], 2
	s_add_nc_u64 s[2:3], s[8:9], s[2:3]
	s_load_b32 s2, s[2:3], 0x0
	s_wait_kmcnt 0x0
	v_lshl_add_u32 v3, v1, 2, s2
	s_mov_b32 s2, 0
.LBB368_1056:                           ; =>This Inner Loop Header: Depth=1
	ds_load_b32 v4, v3
	s_wait_dscnt 0x0
	v_dual_mul_f32 v4, v0, v4 :: v_dual_add_nc_u32 v1, 0x80, v1
	s_delay_alu instid0(VALU_DEP_1) | instskip(SKIP_3) | instid1(SALU_CYCLE_1)
	v_cmp_ge_i32_e32 vcc_lo, v1, v2
	ds_store_b32 v3, v4
	v_add_nc_u32_e32 v3, 0x200, v3
	s_or_b32 s2, vcc_lo, s2
	s_and_not1_b32 exec_lo, exec_lo, s2
	s_cbranch_execnz .LBB368_1056
.LBB368_1057:
	s_or_b32 exec_lo, exec_lo, s1
	s_wait_dscnt 0x0
	s_barrier_signal -1
	s_barrier_wait -1
	s_and_saveexec_b32 s1, s0
	s_delay_alu instid0(SALU_CYCLE_1)
	s_xor_b32 s0, exec_lo, s1
	s_cbranch_execz .LBB368_1059
; %bb.1058:
                                        ; implicit-def: $vgpr0
	s_ashr_i32 s7, s6, 31
                                        ; kill: killed $vgpr0
                                        ; implicit-def: $vgpr0
                                        ; implicit-def: $vgpr36
	s_clause 0x1
	scratch_store_b64 off, v[0:1], s32 offset:444
	; meta instruction
	; meta instruction
	;; [unrolled: 1-line block ×7, first 2 shown]
	scratch_store_b64 off, v[0:1], s32 offset:920
                                        ; implicit-def: $vgpr0
                                        ; kill: killed $vgpr0
.LBB368_1059:
	s_wait_xcnt 0x0
	s_or_saveexec_b32 s1, s0
	v_mov_b64_e32 v[0:1], s[6:7]
	v_dual_mov_b32 v13, 0 :: v_dual_bitop2_b32 v51, 3, v89 bitop3:0x40
	v_dual_mov_b32 v12, 0 :: v_dual_mov_b32 v15, 0
	v_dual_mov_b32 v14, 0 :: v_dual_mov_b32 v17, 0
	;; [unrolled: 1-line block ×7, first 2 shown]
	v_mov_b32_e32 v30, 0
	s_xor_b32 exec_lo, exec_lo, s1
	s_cbranch_execz .LBB368_2119
; %bb.1060:
	s_clause 0x5
	scratch_store_b32 off, v32, s32 offset:500
	scratch_store_b32 off, v50, s32 offset:492
	scratch_load_b32 v0, off, s32 offset:916
	scratch_load_b64 v[2:3], off, s32 offset:920 th:TH_LOAD_LU
	scratch_load_b64 v[8:9], off, s32 offset:936 th:TH_LOAD_LU
	scratch_load_b32 v52, off, s32 offset:912
	flat_load_b32 v49, v[22:23]
	s_ashr_i32 s7, s6, 31
	v_dual_mov_b32 v13, 0 :: v_dual_mov_b32 v12, 0
	s_lshl_b64 s[2:3], s[6:7], 2
	v_dual_mov_b32 v15, 0 :: v_dual_mov_b32 v14, 0
	s_add_nc_u64 s[2:3], s[8:9], s[2:3]
	v_dual_mov_b32 v17, 0 :: v_dual_mov_b32 v16, 0
	s_load_b32 s0, s[2:3], 0x0
	v_dual_mov_b32 v21, 0 :: v_dual_mov_b32 v20, 0
	v_dual_mov_b32 v25, 0 :: v_dual_mov_b32 v24, 0
	;; [unrolled: 1-line block ×5, first 2 shown]
	s_wait_xcnt 0x0
	s_mov_b64 s[2:3], 0xffffffffffffff
	s_mov_b32 s14, 0
	v_dual_mov_b32 v23, 0 :: v_dual_lshlrev_b32 v7, 5, v51
	s_delay_alu instid0(VALU_DEP_1)
	v_dual_mov_b32 v5, v23 :: v_dual_mov_b32 v1, v23
	s_wait_loadcnt 0x4
	v_lshlrev_b32_e32 v4, 3, v0
	s_wait_loadcnt 0x3
	v_add_nc_u64_e32 v[2:3], v[34:35], v[2:3]
	scratch_load_b32 v0, off, s32 offset:944 th:TH_LOAD_LU ; 4-byte Folded Reload
	s_wait_loadcnt 0x2
	v_lshl_or_b32 v7, v52, 7, v7
	v_and_b32_e32 v6, 24, v4
	v_and_b32_e32 v4, 0xf8, v4
	s_delay_alu instid0(VALU_DEP_1)
	v_add_nc_u64_e32 v[2:3], v[2:3], v[4:5]
	scratch_store_b32 off, v51, s32 offset:508 ; 4-byte Folded Spill
	s_wait_kmcnt 0x0
	v_add_nc_u32_e32 v51, s0, v7
	s_clause 0x1
	scratch_store_b64 off, v[2:3], s32 offset:484
	scratch_load_b64 v[2:3], off, s32 offset:928 th:TH_LOAD_LU
	s_wait_loadcnt 0x1
	v_and_b32_e32 v0, 0x7c, v0
	s_delay_alu instid0(VALU_DEP_1) | instskip(SKIP_1) | instid1(VALU_DEP_1)
	v_lshl_add_u64 v[0:1], v[8:9], 2, v[0:1]
	v_lshlrev_b32_e32 v8, 5, v52
	v_or3_b32 v50, v8, v6, 7
	s_wait_loadcnt 0x0
	s_delay_alu instid0(VALU_DEP_3)
	v_add_nc_u64_e32 v[10:11], v[2:3], v[0:1]
	s_branch .LBB368_1062
.LBB368_1061:                           ;   in Loop: Header=BB368_1062 Depth=1
	s_or_b32 exec_lo, exec_lo, s0
	scratch_load_b128 v[44:47], off, s32 offset:468 th:TH_LOAD_LU ; 16-byte Folded Reload
	v_perm_b32 v103, v41, v42, 0x5040100
	v_perm_b32 v112, v119, v40, 0x5040100
	;; [unrolled: 1-line block ×14, first 2 shown]
	v_add_nc_u64_e32 v[10:11], 16, v[10:11]
	v_add_nc_u32_e32 v52, 4, v52
	v_add_nc_u32_e32 v51, 0x200, v51
	;; [unrolled: 1-line block ×3, first 2 shown]
	s_wait_loadcnt 0x0
	v_cvt_pk_bf16_f32 v102, v44, v45
	v_cvt_pk_bf16_f32 v101, v46, v47
	scratch_load_b128 v[44:47], off, s32 offset:452 th:TH_LOAD_LU ; 16-byte Folded Reload
	v_pk_mul_bf16 v103, v102, v103
	v_pk_mul_bf16 v112, v101, v112
	;; [unrolled: 1-line block ×5, first 2 shown]
	v_lshlrev_b32_e32 v115, 16, v103
	v_and_b32_e32 v103, 0xffff0000, v103
	v_lshlrev_b32_e32 v86, 16, v98
	v_and_b32_e32 v87, 0xffff0000, v98
	v_pk_mul_bf16 v4, v101, v4
	s_delay_alu instid0(VALU_DEP_4)
	v_dual_lshlrev_b32 v3, 16, v6 :: v_dual_add_f32 v103, v115, v103
	v_lshlrev_b32_e32 v115, 16, v112
	v_and_b32_e32 v112, 0xffff0000, v112
	v_dual_add_f32 v86, v86, v87 :: v_dual_lshlrev_b32 v87, 16, v96
	v_and_b32_e32 v96, 0xffff0000, v96
	v_and_b32_e32 v6, 0xffff0000, v6
	s_delay_alu instid0(VALU_DEP_4) | instskip(NEXT) | instid1(VALU_DEP_3)
	v_add_f32_e32 v112, v115, v112
	v_add_f32_e32 v87, v87, v96
	s_delay_alu instid0(VALU_DEP_3) | instskip(NEXT) | instid1(VALU_DEP_3)
	v_add_f32_e32 v3, v3, v6
	v_add_f32_e32 v103, v103, v112
	v_lshlrev_b32_e32 v6, 16, v4
	v_and_b32_e32 v4, 0xffff0000, v4
	v_add_f32_e32 v86, v86, v87
	s_delay_alu instid0(VALU_DEP_2) | instskip(NEXT) | instid1(VALU_DEP_1)
	v_add_f32_e32 v4, v6, v4
	v_add_f32_e32 v3, v3, v4
	s_wait_loadcnt 0x0
	v_cvt_pk_bf16_f32 v100, v44, v45
	v_cvt_pk_bf16_f32 v35, v46, v47
	s_delay_alu instid0(VALU_DEP_2) | instskip(NEXT) | instid1(VALU_DEP_2)
	v_pk_mul_bf16 v113, v100, v113
	v_pk_mul_bf16 v114, v35, v114
	;; [unrolled: 1-line block ×5, first 2 shown]
	v_lshlrev_b32_e32 v112, 16, v113
	v_and_b32_e32 v113, 0xffff0000, v113
	v_lshlrev_b32_e32 v87, 16, v37
	v_and_b32_e32 v37, 0xffff0000, v37
	;; [unrolled: 2-line block ×3, first 2 shown]
	v_add_f32_e32 v112, v112, v113
	v_and_b32_e32 v113, 0xffff0000, v114
	v_add_f32_e32 v37, v87, v37
	v_pk_mul_bf16 v2, v35, v2
	s_delay_alu instid0(VALU_DEP_4) | instskip(NEXT) | instid1(VALU_DEP_3)
	v_dual_add_f32 v4, v4, v5 :: v_dual_add_f32 v103, v103, v112
	v_dual_add_f32 v37, v86, v37 :: v_dual_lshlrev_b32 v112, 16, v114
	v_lshlrev_b32_e32 v86, 16, v85
	v_and_b32_e32 v85, 0xffff0000, v85
	s_delay_alu instid0(VALU_DEP_4) | instskip(NEXT) | instid1(VALU_DEP_4)
	v_dual_add_f32 v3, v3, v4 :: v_dual_lshlrev_b32 v4, 16, v2
	v_add_f32_e32 v112, v112, v113
	v_and_b32_e32 v2, 0xffff0000, v2
	s_delay_alu instid0(VALU_DEP_4) | instskip(SKIP_1) | instid1(VALU_DEP_3)
	v_add_f32_e32 v85, v86, v85
	v_perm_b32 v5, v71, v69, 0x5040100
	v_dual_add_f32 v103, v103, v112 :: v_dual_add_f32 v2, v4, v2
	v_perm_b32 v4, v67, v68, 0x5040100
	s_delay_alu instid0(VALU_DEP_3) | instskip(NEXT) | instid1(VALU_DEP_3)
	v_pk_mul_bf16 v5, v35, v5
	v_dual_add_f32 v37, v37, v85 :: v_dual_add_f32 v12, v12, v103
	s_delay_alu instid0(VALU_DEP_4) | instskip(SKIP_2) | instid1(VALU_DEP_3)
	v_add_f32_e32 v2, v3, v2
	v_perm_b32 v3, v70, v80, 0x5040100
	v_pk_mul_bf16 v4, v100, v4
	v_dual_add_f32 v15, v15, v37 :: v_dual_add_f32 v14, v14, v2
	v_perm_b32 v2, v81, v82, 0x5040100
	s_delay_alu instid0(VALU_DEP_4) | instskip(NEXT) | instid1(VALU_DEP_2)
	v_pk_mul_bf16 v3, v101, v3
	v_pk_mul_bf16 v2, v102, v2
	s_delay_alu instid0(VALU_DEP_1) | instskip(SKIP_1) | instid1(VALU_DEP_1)
	v_lshlrev_b32_e32 v6, 16, v2
	v_and_b32_e32 v2, 0xffff0000, v2
	v_dual_add_f32 v2, v6, v2 :: v_dual_lshlrev_b32 v6, 16, v3
	v_and_b32_e32 v3, 0xffff0000, v3
	s_delay_alu instid0(VALU_DEP_1) | instskip(NEXT) | instid1(VALU_DEP_1)
	v_add_f32_e32 v3, v6, v3
	v_dual_add_f32 v2, v2, v3 :: v_dual_lshlrev_b32 v3, 16, v4
	v_and_b32_e32 v4, 0xffff0000, v4
	s_delay_alu instid0(VALU_DEP_1) | instskip(SKIP_1) | instid1(VALU_DEP_2)
	v_add_f32_e32 v3, v3, v4
	v_and_b32_e32 v4, 0xffff0000, v5
	v_dual_add_f32 v2, v2, v3 :: v_dual_lshlrev_b32 v3, 16, v5
	v_perm_b32 v5, v54, v53, 0x5040100
	s_delay_alu instid0(VALU_DEP_2) | instskip(SKIP_1) | instid1(VALU_DEP_3)
	v_add_f32_e32 v3, v3, v4
	v_perm_b32 v4, v38, v39, 0x5040100
	v_pk_mul_bf16 v5, v35, v5
	s_delay_alu instid0(VALU_DEP_3) | instskip(SKIP_1) | instid1(VALU_DEP_4)
	v_add_f32_e32 v2, v2, v3
	v_perm_b32 v3, v55, v64, 0x5040100
	v_pk_mul_bf16 v4, v100, v4
	s_delay_alu instid0(VALU_DEP_3) | instskip(SKIP_1) | instid1(VALU_DEP_4)
	v_add_f32_e32 v17, v17, v2
	v_perm_b32 v2, v65, v66, 0x5040100
	v_pk_mul_bf16 v3, v101, v3
	s_delay_alu instid0(VALU_DEP_2) | instskip(NEXT) | instid1(VALU_DEP_1)
	v_pk_mul_bf16 v2, v102, v2
	v_lshlrev_b32_e32 v6, 16, v2
	v_and_b32_e32 v2, 0xffff0000, v2
	s_delay_alu instid0(VALU_DEP_1) | instskip(SKIP_1) | instid1(VALU_DEP_1)
	v_dual_add_f32 v2, v6, v2 :: v_dual_lshlrev_b32 v6, 16, v3
	v_and_b32_e32 v3, 0xffff0000, v3
	v_add_f32_e32 v3, v6, v3
	s_delay_alu instid0(VALU_DEP_1) | instskip(SKIP_1) | instid1(VALU_DEP_1)
	v_dual_add_f32 v2, v2, v3 :: v_dual_lshlrev_b32 v3, 16, v4
	v_and_b32_e32 v4, 0xffff0000, v4
	v_add_f32_e32 v3, v3, v4
	v_and_b32_e32 v4, 0xffff0000, v5
	s_delay_alu instid0(VALU_DEP_2) | instskip(SKIP_1) | instid1(VALU_DEP_2)
	v_dual_add_f32 v2, v2, v3 :: v_dual_lshlrev_b32 v3, 16, v5
	v_perm_b32 v5, v126, v125, 0x5040100
	v_add_f32_e32 v3, v3, v4
	v_perm_b32 v4, v123, v124, 0x5040100
	s_delay_alu instid0(VALU_DEP_3) | instskip(NEXT) | instid1(VALU_DEP_3)
	v_pk_mul_bf16 v5, v35, v5
	v_add_f32_e32 v2, v2, v3
	v_perm_b32 v3, v127, v48, 0x5040100
	s_delay_alu instid0(VALU_DEP_4) | instskip(NEXT) | instid1(VALU_DEP_3)
	v_pk_mul_bf16 v4, v100, v4
	v_add_f32_e32 v16, v16, v2
	v_perm_b32 v2, v32, v33, 0x5040100
	s_delay_alu instid0(VALU_DEP_4) | instskip(NEXT) | instid1(VALU_DEP_2)
	v_pk_mul_bf16 v3, v101, v3
	v_pk_mul_bf16 v2, v102, v2
	s_delay_alu instid0(VALU_DEP_1) | instskip(SKIP_1) | instid1(VALU_DEP_1)
	v_lshlrev_b32_e32 v6, 16, v2
	v_and_b32_e32 v2, 0xffff0000, v2
	v_dual_add_f32 v2, v6, v2 :: v_dual_lshlrev_b32 v6, 16, v3
	v_and_b32_e32 v3, 0xffff0000, v3
	s_delay_alu instid0(VALU_DEP_1) | instskip(NEXT) | instid1(VALU_DEP_1)
	v_add_f32_e32 v3, v6, v3
	v_dual_add_f32 v2, v2, v3 :: v_dual_lshlrev_b32 v3, 16, v4
	v_and_b32_e32 v4, 0xffff0000, v4
	s_delay_alu instid0(VALU_DEP_1) | instskip(SKIP_1) | instid1(VALU_DEP_2)
	v_add_f32_e32 v3, v3, v4
	v_and_b32_e32 v4, 0xffff0000, v5
	v_dual_add_f32 v2, v2, v3 :: v_dual_lshlrev_b32 v3, 16, v5
	v_perm_b32 v5, v110, v109, 0x5040100
	s_delay_alu instid0(VALU_DEP_2) | instskip(SKIP_1) | instid1(VALU_DEP_3)
	v_add_f32_e32 v3, v3, v4
	v_perm_b32 v4, v107, v108, 0x5040100
	v_pk_mul_bf16 v5, v35, v5
	s_delay_alu instid0(VALU_DEP_3) | instskip(SKIP_1) | instid1(VALU_DEP_4)
	v_add_f32_e32 v2, v2, v3
	v_perm_b32 v3, v111, v120, 0x5040100
	v_pk_mul_bf16 v4, v100, v4
	s_delay_alu instid0(VALU_DEP_3) | instskip(SKIP_1) | instid1(VALU_DEP_4)
	v_add_f32_e32 v21, v21, v2
	v_perm_b32 v2, v121, v122, 0x5040100
	v_pk_mul_bf16 v3, v101, v3
	s_delay_alu instid0(VALU_DEP_2) | instskip(NEXT) | instid1(VALU_DEP_1)
	v_pk_mul_bf16 v2, v102, v2
	v_lshlrev_b32_e32 v6, 16, v2
	v_and_b32_e32 v2, 0xffff0000, v2
	s_delay_alu instid0(VALU_DEP_1) | instskip(SKIP_1) | instid1(VALU_DEP_1)
	v_dual_add_f32 v2, v6, v2 :: v_dual_lshlrev_b32 v6, 16, v3
	v_and_b32_e32 v3, 0xffff0000, v3
	v_add_f32_e32 v3, v6, v3
	s_delay_alu instid0(VALU_DEP_1) | instskip(SKIP_1) | instid1(VALU_DEP_1)
	v_dual_add_f32 v2, v2, v3 :: v_dual_lshlrev_b32 v3, 16, v4
	v_and_b32_e32 v4, 0xffff0000, v4
	v_add_f32_e32 v3, v3, v4
	v_and_b32_e32 v4, 0xffff0000, v5
	s_delay_alu instid0(VALU_DEP_2) | instskip(SKIP_1) | instid1(VALU_DEP_2)
	v_dual_add_f32 v2, v2, v3 :: v_dual_lshlrev_b32 v3, 16, v5
	v_perm_b32 v5, v94, v93, 0x5040100
	v_add_f32_e32 v3, v3, v4
	v_perm_b32 v4, v91, v92, 0x5040100
	s_delay_alu instid0(VALU_DEP_3) | instskip(NEXT) | instid1(VALU_DEP_3)
	v_pk_mul_bf16 v5, v35, v5
	v_add_f32_e32 v2, v2, v3
	v_perm_b32 v3, v95, v104, 0x5040100
	s_delay_alu instid0(VALU_DEP_4) | instskip(NEXT) | instid1(VALU_DEP_3)
	v_pk_mul_bf16 v4, v100, v4
	v_add_f32_e32 v20, v20, v2
	v_perm_b32 v2, v105, v106, 0x5040100
	s_delay_alu instid0(VALU_DEP_4) | instskip(NEXT) | instid1(VALU_DEP_2)
	v_pk_mul_bf16 v3, v101, v3
	v_pk_mul_bf16 v2, v102, v2
	s_delay_alu instid0(VALU_DEP_1) | instskip(SKIP_1) | instid1(VALU_DEP_1)
	v_lshlrev_b32_e32 v6, 16, v2
	v_and_b32_e32 v2, 0xffff0000, v2
	v_dual_add_f32 v2, v6, v2 :: v_dual_lshlrev_b32 v6, 16, v3
	v_and_b32_e32 v3, 0xffff0000, v3
	s_delay_alu instid0(VALU_DEP_1) | instskip(NEXT) | instid1(VALU_DEP_1)
	v_add_f32_e32 v3, v6, v3
	v_dual_add_f32 v2, v2, v3 :: v_dual_lshlrev_b32 v3, 16, v4
	v_and_b32_e32 v4, 0xffff0000, v4
	s_delay_alu instid0(VALU_DEP_1) | instskip(SKIP_1) | instid1(VALU_DEP_2)
	v_add_f32_e32 v3, v3, v4
	v_and_b32_e32 v4, 0xffff0000, v5
	v_dual_add_f32 v2, v2, v3 :: v_dual_lshlrev_b32 v3, 16, v5
	v_perm_b32 v5, v78, v77, 0x5040100
	s_delay_alu instid0(VALU_DEP_2) | instskip(SKIP_1) | instid1(VALU_DEP_3)
	v_add_f32_e32 v3, v3, v4
	v_perm_b32 v4, v75, v76, 0x5040100
	v_pk_mul_bf16 v5, v35, v5
	s_delay_alu instid0(VALU_DEP_3) | instskip(SKIP_1) | instid1(VALU_DEP_4)
	v_add_f32_e32 v2, v2, v3
	v_perm_b32 v3, v79, v88, 0x5040100
	v_pk_mul_bf16 v4, v100, v4
	s_delay_alu instid0(VALU_DEP_3) | instskip(SKIP_1) | instid1(VALU_DEP_4)
	v_add_f32_e32 v25, v25, v2
	v_perm_b32 v2, v89, v90, 0x5040100
	v_pk_mul_bf16 v3, v101, v3
	s_delay_alu instid0(VALU_DEP_2) | instskip(NEXT) | instid1(VALU_DEP_1)
	v_pk_mul_bf16 v2, v102, v2
	v_lshlrev_b32_e32 v6, 16, v2
	v_and_b32_e32 v2, 0xffff0000, v2
	s_delay_alu instid0(VALU_DEP_1) | instskip(SKIP_1) | instid1(VALU_DEP_1)
	v_dual_add_f32 v2, v6, v2 :: v_dual_lshlrev_b32 v6, 16, v3
	v_and_b32_e32 v3, 0xffff0000, v3
	v_add_f32_e32 v3, v6, v3
	s_delay_alu instid0(VALU_DEP_1) | instskip(SKIP_1) | instid1(VALU_DEP_1)
	v_dual_add_f32 v2, v2, v3 :: v_dual_lshlrev_b32 v3, 16, v4
	v_and_b32_e32 v4, 0xffff0000, v4
	v_add_f32_e32 v3, v3, v4
	v_and_b32_e32 v4, 0xffff0000, v5
	s_delay_alu instid0(VALU_DEP_2) | instskip(SKIP_1) | instid1(VALU_DEP_2)
	v_dual_add_f32 v2, v2, v3 :: v_dual_lshlrev_b32 v3, 16, v5
	v_perm_b32 v5, v62, v61, 0x5040100
	v_add_f32_e32 v3, v3, v4
	v_perm_b32 v4, v59, v60, 0x5040100
	s_delay_alu instid0(VALU_DEP_3) | instskip(NEXT) | instid1(VALU_DEP_3)
	v_pk_mul_bf16 v5, v35, v5
	v_add_f32_e32 v2, v2, v3
	v_perm_b32 v3, v63, v72, 0x5040100
	s_delay_alu instid0(VALU_DEP_4) | instskip(NEXT) | instid1(VALU_DEP_3)
	v_pk_mul_bf16 v4, v100, v4
	v_add_f32_e32 v24, v24, v2
	v_perm_b32 v2, v73, v74, 0x5040100
	s_delay_alu instid0(VALU_DEP_4) | instskip(NEXT) | instid1(VALU_DEP_2)
	v_pk_mul_bf16 v3, v101, v3
	v_pk_mul_bf16 v2, v102, v2
	s_delay_alu instid0(VALU_DEP_1) | instskip(SKIP_1) | instid1(VALU_DEP_1)
	v_lshlrev_b32_e32 v6, 16, v2
	v_and_b32_e32 v2, 0xffff0000, v2
	v_dual_add_f32 v2, v6, v2 :: v_dual_lshlrev_b32 v6, 16, v3
	v_and_b32_e32 v3, 0xffff0000, v3
	s_delay_alu instid0(VALU_DEP_1) | instskip(NEXT) | instid1(VALU_DEP_1)
	v_add_f32_e32 v3, v6, v3
	v_dual_add_f32 v2, v2, v3 :: v_dual_lshlrev_b32 v3, 16, v4
	v_and_b32_e32 v4, 0xffff0000, v4
	s_delay_alu instid0(VALU_DEP_1) | instskip(SKIP_1) | instid1(VALU_DEP_2)
	v_add_f32_e32 v3, v3, v4
	v_and_b32_e32 v4, 0xffff0000, v5
	v_dual_add_f32 v2, v2, v3 :: v_dual_lshlrev_b32 v3, 16, v5
	s_delay_alu instid0(VALU_DEP_1) | instskip(NEXT) | instid1(VALU_DEP_1)
	v_add_f32_e32 v3, v3, v4
	v_add_f32_e32 v2, v2, v3
	s_delay_alu instid0(VALU_DEP_1)
	v_add_f32_e32 v27, v27, v2
	s_clause 0x2
	scratch_load_b32 v2, off, s32 offset:436 th:TH_LOAD_LU
	scratch_load_b32 v3, off, s32 offset:420 th:TH_LOAD_LU
	;; [unrolled: 1-line block ×3, first 2 shown]
	s_wait_loadcnt 0x2
	v_perm_b32 v2, v2, v58, 0x5040100
	s_wait_loadcnt 0x0
	v_perm_b32 v3, v3, v4, 0x5040100
	s_clause 0x1
	scratch_load_b32 v4, off, s32 offset:388 th:TH_LOAD_LU
	scratch_load_b32 v5, off, s32 offset:396 th:TH_LOAD_LU
	v_pk_mul_bf16 v2, v102, v2
	v_pk_mul_bf16 v3, v101, v3
	s_wait_loadcnt 0x0
	v_perm_b32 v4, v4, v5, 0x5040100
	s_clause 0x1
	scratch_load_b32 v5, off, s32 offset:404 th:TH_LOAD_LU
	scratch_load_b32 v6, off, s32 offset:412 th:TH_LOAD_LU
	v_pk_mul_bf16 v4, v100, v4
	s_wait_loadcnt 0x0
	v_perm_b32 v5, v6, v5, 0x5040100
	v_lshlrev_b32_e32 v6, 16, v2
	v_and_b32_e32 v2, 0xffff0000, v2
	s_delay_alu instid0(VALU_DEP_3) | instskip(NEXT) | instid1(VALU_DEP_2)
	v_pk_mul_bf16 v5, v35, v5
	v_dual_add_f32 v2, v6, v2 :: v_dual_lshlrev_b32 v6, 16, v3
	v_and_b32_e32 v3, 0xffff0000, v3
	s_delay_alu instid0(VALU_DEP_1) | instskip(NEXT) | instid1(VALU_DEP_1)
	v_add_f32_e32 v3, v6, v3
	v_dual_add_f32 v2, v2, v3 :: v_dual_lshlrev_b32 v3, 16, v4
	v_and_b32_e32 v4, 0xffff0000, v4
	s_delay_alu instid0(VALU_DEP_1) | instskip(SKIP_1) | instid1(VALU_DEP_2)
	v_add_f32_e32 v3, v3, v4
	v_and_b32_e32 v4, 0xffff0000, v5
	v_dual_add_f32 v2, v2, v3 :: v_dual_lshlrev_b32 v3, 16, v5
	s_delay_alu instid0(VALU_DEP_1) | instskip(NEXT) | instid1(VALU_DEP_1)
	v_add_f32_e32 v3, v3, v4
	v_add_f32_e32 v2, v2, v3
	s_delay_alu instid0(VALU_DEP_1)
	v_add_f32_e32 v26, v26, v2
	s_clause 0x1
	scratch_load_b32 v2, off, s32 offset:372 th:TH_LOAD_LU
	scratch_load_b32 v3, off, s32 offset:380 th:TH_LOAD_LU
	s_wait_loadcnt 0x0
	v_perm_b32 v2, v2, v3, 0x5040100
	s_clause 0x1
	scratch_load_b32 v3, off, s32 offset:360 th:TH_LOAD_LU
	scratch_load_b32 v4, off, s32 offset:364 th:TH_LOAD_LU
	v_pk_mul_bf16 v2, v102, v2
	s_wait_loadcnt 0x0
	v_perm_b32 v3, v3, v4, 0x5040100
	s_clause 0x1
	scratch_load_b32 v4, off, s32 offset:336 th:TH_LOAD_LU
	scratch_load_b32 v5, off, s32 offset:344 th:TH_LOAD_LU
	v_pk_mul_bf16 v3, v101, v3
	s_wait_loadcnt 0x0
	v_perm_b32 v4, v4, v5, 0x5040100
	s_clause 0x1
	scratch_load_b32 v5, off, s32 offset:348 th:TH_LOAD_LU
	scratch_load_b32 v6, off, s32 offset:356 th:TH_LOAD_LU
	v_pk_mul_bf16 v4, v100, v4
	s_wait_loadcnt 0x0
	v_perm_b32 v5, v6, v5, 0x5040100
	v_lshlrev_b32_e32 v6, 16, v2
	v_and_b32_e32 v2, 0xffff0000, v2
	s_delay_alu instid0(VALU_DEP_3) | instskip(NEXT) | instid1(VALU_DEP_2)
	v_pk_mul_bf16 v5, v35, v5
	v_dual_add_f32 v2, v6, v2 :: v_dual_lshlrev_b32 v6, 16, v3
	v_and_b32_e32 v3, 0xffff0000, v3
	s_delay_alu instid0(VALU_DEP_1) | instskip(NEXT) | instid1(VALU_DEP_1)
	v_add_f32_e32 v3, v6, v3
	v_dual_add_f32 v2, v2, v3 :: v_dual_lshlrev_b32 v3, 16, v4
	v_and_b32_e32 v4, 0xffff0000, v4
	s_delay_alu instid0(VALU_DEP_1) | instskip(SKIP_1) | instid1(VALU_DEP_2)
	v_add_f32_e32 v3, v3, v4
	v_and_b32_e32 v4, 0xffff0000, v5
	v_dual_add_f32 v2, v2, v3 :: v_dual_lshlrev_b32 v3, 16, v5
	s_delay_alu instid0(VALU_DEP_1) | instskip(NEXT) | instid1(VALU_DEP_1)
	v_add_f32_e32 v3, v3, v4
	v_add_f32_e32 v2, v2, v3
	s_delay_alu instid0(VALU_DEP_1)
	v_add_f32_e32 v29, v29, v2
	s_clause 0x1
	scratch_load_b32 v2, off, s32 offset:320 th:TH_LOAD_LU
	scratch_load_b32 v3, off, s32 offset:328 th:TH_LOAD_LU
	s_wait_loadcnt 0x0
	v_perm_b32 v2, v2, v3, 0x5040100
	s_clause 0x1
	scratch_load_b32 v3, off, s32 offset:304 th:TH_LOAD_LU
	scratch_load_b32 v4, off, s32 offset:312 th:TH_LOAD_LU
	v_pk_mul_bf16 v2, v102, v2
	s_wait_loadcnt 0x0
	v_perm_b32 v3, v3, v4, 0x5040100
	s_clause 0x1
	scratch_load_b32 v4, off, s32 offset:272 th:TH_LOAD_LU
	scratch_load_b32 v5, off, s32 offset:280 th:TH_LOAD_LU
	;; [unrolled: 42-line block ×4, first 2 shown]
	scratch_load_b32 v6, off, s32 offset:212 th:TH_LOAD_LU
	v_pk_mul_bf16 v3, v101, v3
	s_wait_loadcnt 0x2
	v_perm_b32 v4, v57, v4, 0x5040100
	s_wait_loadcnt 0x0
	v_perm_b32 v5, v6, v5, 0x5040100
	v_lshlrev_b32_e32 v6, 16, v2
	v_and_b32_e32 v2, 0xffff0000, v2
	v_pk_mul_bf16 v4, v100, v4
	s_delay_alu instid0(VALU_DEP_4) | instskip(NEXT) | instid1(VALU_DEP_3)
	v_pk_mul_bf16 v5, v35, v5
	v_dual_add_f32 v2, v6, v2 :: v_dual_lshlrev_b32 v6, 16, v3
	v_and_b32_e32 v3, 0xffff0000, v3
	s_delay_alu instid0(VALU_DEP_1) | instskip(NEXT) | instid1(VALU_DEP_1)
	v_add_f32_e32 v3, v6, v3
	v_dual_add_f32 v2, v2, v3 :: v_dual_lshlrev_b32 v3, 16, v4
	v_and_b32_e32 v4, 0xffff0000, v4
	s_delay_alu instid0(VALU_DEP_1) | instskip(SKIP_1) | instid1(VALU_DEP_2)
	v_add_f32_e32 v3, v3, v4
	v_and_b32_e32 v4, 0xffff0000, v5
	v_dual_add_f32 v2, v2, v3 :: v_dual_lshlrev_b32 v3, 16, v5
	v_pk_mul_bf16 v5, v35, v0
	s_delay_alu instid0(VALU_DEP_2) | instskip(SKIP_1) | instid1(VALU_DEP_2)
	v_add_f32_e32 v3, v3, v4
	v_pk_mul_bf16 v4, v100, v1
	v_add_f32_e32 v2, v2, v3
	v_perm_b32 v3, v18, v19, 0x5040100
	s_delay_alu instid0(VALU_DEP_1) | instskip(NEXT) | instid1(VALU_DEP_1)
	v_pk_mul_bf16 v3, v101, v3
	v_and_b32_e32 v1, 0xffff0000, v3
	s_delay_alu instid0(VALU_DEP_4) | instskip(SKIP_1) | instid1(VALU_DEP_1)
	v_dual_add_f32 v30, v30, v2 :: v_dual_lshlrev_b32 v3, 16, v3
	v_perm_b32 v2, v22, v34, 0x5040100
	v_pk_mul_bf16 v2, v102, v2
	s_delay_alu instid0(VALU_DEP_1) | instskip(SKIP_1) | instid1(VALU_DEP_1)
	v_and_b32_e32 v0, 0xffff0000, v2
	v_lshlrev_b32_e32 v2, 16, v2
	v_pk_add_f32 v[0:1], v[2:3], v[0:1]
	v_and_b32_e32 v2, 0xffff0000, v4
	v_lshlrev_b32_e32 v4, 16, v4
	v_and_b32_e32 v3, 0xffff0000, v5
	v_lshlrev_b32_e32 v5, 16, v5
	v_add_f32_e32 v0, v0, v1
	s_delay_alu instid0(VALU_DEP_2) | instskip(NEXT) | instid1(VALU_DEP_1)
	v_pk_add_f32 v[2:3], v[4:5], v[2:3]
	v_add_f32_e32 v0, v0, v2
	s_delay_alu instid0(VALU_DEP_1) | instskip(NEXT) | instid1(VALU_DEP_1)
	v_add_f32_e32 v0, v0, v3
	v_add_f32_e32 v13, v13, v0
	scratch_load_b32 v0, off, s32 offset:208 ; 4-byte Folded Reload
	s_wait_loadcnt 0x0
	v_cmp_ge_i32_e32 vcc_lo, v52, v0
	s_or_b32 s14, vcc_lo, s14
	s_wait_xcnt 0x0
	s_and_not1_b32 exec_lo, exec_lo, s14
	s_cbranch_execz .LBB368_2118
.LBB368_1062:                           ; =>This Inner Loop Header: Depth=1
	flat_load_b32 v0, v[10:11]
	s_clause 0x1
	scratch_load_b64 v[2:3], off, s32 offset:444
	scratch_load_b64 v[4:5], off, s32 offset:484
	s_mov_b32 s0, exec_lo
	s_wait_loadcnt_dscnt 0x0
	v_mad_nc_i64_i32 v[0:1], v0, v2, v[4:5]
	ds_load_2addr_b64 v[2:5], v51 offset1:1
	flat_load_b64 v[18:19], v[0:1]
	s_wait_dscnt 0x1
	scratch_store_b128 off, v[2:5], s32 offset:468 ; 16-byte Folded Spill
	s_wait_xcnt 0x0
	ds_load_2addr_b64 v[2:5], v51 offset0:2 offset1:3
	s_wait_dscnt 0x0
	scratch_store_b128 off, v[2:5], s32 offset:452 ; 16-byte Folded Spill
	s_wait_xcnt 0x0
	v_mov_b32_e32 v2, 0
	s_wait_loadcnt 0x0
	v_and_b32_e32 v3, 0xff, v18
	s_delay_alu instid0(VALU_DEP_1)
	v_cmpx_ne_u16_e32 0, v3
	s_cbranch_execz .LBB368_1070
; %bb.1063:                             ;   in Loop: Header=BB368_1062 Depth=1
	v_bfrev_b32_e32 v2, 1
	s_mov_b32 s15, exec_lo
	v_cmpx_ne_u16_e32 0x80, v3
	s_cbranch_execz .LBB368_1069
; %bb.1064:                             ;   in Loop: Header=BB368_1062 Depth=1
	v_and_b32_e32 v3, 0x7f, v18
	v_mov_b32_e32 v2, 0x7f800001
	s_mov_b32 s16, exec_lo
	s_delay_alu instid0(VALU_DEP_2)
	v_cmpx_ne_u32_e32 0x7f, v3
	s_cbranch_execz .LBB368_1068
; %bb.1065:                             ;   in Loop: Header=BB368_1062 Depth=1
	v_mov_b64_e32 v[34:35], v[18:19]
	v_lshrrev_b32_e32 v2, 3, v3
	s_mov_b32 s17, exec_lo
	v_cmpx_gt_u32_e32 8, v3
; %bb.1066:                             ;   in Loop: Header=BB368_1062 Depth=1
	v_and_b32_e32 v2, 7, v18
	s_delay_alu instid0(VALU_DEP_1) | instskip(NEXT) | instid1(VALU_DEP_1)
	v_clz_i32_u32_e32 v2, v2
	v_min_u32_e32 v2, 32, v2
	s_delay_alu instid0(VALU_DEP_1) | instskip(SKIP_1) | instid1(VALU_DEP_2)
	v_subrev_nc_u32_e32 v3, 28, v2
	v_sub_nc_u32_e32 v2, 29, v2
	v_lshlrev_b64_e32 v[34:35], v3, v[18:19]
; %bb.1067:                             ;   in Loop: Header=BB368_1062 Depth=1
	s_or_b32 exec_lo, exec_lo, s17
	s_delay_alu instid0(VALU_DEP_1) | instskip(SKIP_2) | instid1(VALU_DEP_3)
	v_lshlrev_b32_e32 v3, 20, v34
	v_lshlrev_b32_e32 v4, 24, v18
	v_lshl_add_u32 v2, v2, 23, 0x3c000000
	v_and_b32_e32 v3, 0x700000, v3
	s_delay_alu instid0(VALU_DEP_3) | instskip(NEXT) | instid1(VALU_DEP_1)
	v_and_b32_e32 v4, 0x80000000, v4
	v_or3_b32 v2, v3, v4, v2
.LBB368_1068:                           ;   in Loop: Header=BB368_1062 Depth=1
	s_or_b32 exec_lo, exec_lo, s16
.LBB368_1069:                           ;   in Loop: Header=BB368_1062 Depth=1
	s_delay_alu instid0(SALU_CYCLE_1)
	s_or_b32 exec_lo, exec_lo, s15
.LBB368_1070:                           ;   in Loop: Header=BB368_1062 Depth=1
	s_delay_alu instid0(SALU_CYCLE_1) | instskip(SKIP_3) | instid1(VALU_DEP_2)
	s_or_b32 exec_lo, exec_lo, s0
	v_lshrrev_b16 v5, 8, v18
	v_dual_mov_b32 v3, 0 :: v_dual_mov_b32 v4, 0
	s_mov_b32 s0, exec_lo
	v_cmpx_ne_u16_e32 0, v5
	s_cbranch_execz .LBB368_1078
; %bb.1071:                             ;   in Loop: Header=BB368_1062 Depth=1
	v_bfrev_b32_e32 v4, 1
	s_mov_b32 s15, exec_lo
	v_cmpx_ne_u16_e32 0x80, v5
	s_cbranch_execz .LBB368_1077
; %bb.1072:                             ;   in Loop: Header=BB368_1062 Depth=1
	v_and_b32_e32 v6, 0xffff, v5
	v_mov_b32_e32 v4, 0x7f800001
	s_mov_b32 s16, exec_lo
	s_delay_alu instid0(VALU_DEP_2) | instskip(NEXT) | instid1(VALU_DEP_1)
	v_and_b32_e32 v5, 0x7f, v6
	v_cmpx_ne_u32_e32 0x7f, v5
	s_cbranch_execz .LBB368_1076
; %bb.1073:                             ;   in Loop: Header=BB368_1062 Depth=1
	v_dual_lshrrev_b32 v4, 3, v5 :: v_dual_bitop2_b32 v22, 7, v6 bitop3:0x40
	s_mov_b32 s17, exec_lo
	s_delay_alu instid0(VALU_DEP_1)
	v_mov_b64_e32 v[34:35], v[22:23]
	v_cmpx_gt_u32_e32 8, v5
; %bb.1074:                             ;   in Loop: Header=BB368_1062 Depth=1
	v_clz_i32_u32_e32 v4, v22
	s_delay_alu instid0(VALU_DEP_1) | instskip(NEXT) | instid1(VALU_DEP_1)
	v_min_u32_e32 v4, 32, v4
	v_subrev_nc_u32_e32 v5, 28, v4
	s_delay_alu instid0(VALU_DEP_1) | instskip(NEXT) | instid1(VALU_DEP_1)
	v_lshlrev_b64_e32 v[6:7], v5, v[22:23]
	v_dual_sub_nc_u32 v4, 29, v4 :: v_dual_bitop2_b32 v34, 7, v6 bitop3:0x40
; %bb.1075:                             ;   in Loop: Header=BB368_1062 Depth=1
	s_or_b32 exec_lo, exec_lo, s17
	v_lshlrev_b32_e32 v5, 16, v18
	s_delay_alu instid0(VALU_DEP_2) | instskip(NEXT) | instid1(VALU_DEP_3)
	v_lshlrev_b32_e32 v6, 20, v34
	v_lshl_add_u32 v4, v4, 23, 0x3c000000
	s_delay_alu instid0(VALU_DEP_3) | instskip(NEXT) | instid1(VALU_DEP_1)
	v_and_b32_e32 v5, 0x80000000, v5
	v_or3_b32 v4, v6, v5, v4
.LBB368_1076:                           ;   in Loop: Header=BB368_1062 Depth=1
	s_or_b32 exec_lo, exec_lo, s16
.LBB368_1077:                           ;   in Loop: Header=BB368_1062 Depth=1
	s_delay_alu instid0(SALU_CYCLE_1)
	s_or_b32 exec_lo, exec_lo, s15
.LBB368_1078:                           ;   in Loop: Header=BB368_1062 Depth=1
	s_delay_alu instid0(SALU_CYCLE_1) | instskip(SKIP_2) | instid1(VALU_DEP_1)
	s_or_b32 exec_lo, exec_lo, s0
	v_lshrrev_b32_e32 v5, 16, v18
	s_mov_b32 s0, exec_lo
	v_and_b32_e32 v6, 0xff, v5
	s_delay_alu instid0(VALU_DEP_1)
	v_cmpx_ne_u16_e32 0, v6
	s_cbranch_execz .LBB368_1086
; %bb.1079:                             ;   in Loop: Header=BB368_1062 Depth=1
	v_bfrev_b32_e32 v3, 1
	s_mov_b32 s15, exec_lo
	v_cmpx_ne_u16_e32 0x80, v6
	s_cbranch_execz .LBB368_1085
; %bb.1080:                             ;   in Loop: Header=BB368_1062 Depth=1
	v_bfe_u32 v6, v18, 16, 7
	v_mov_b32_e32 v3, 0x7f800001
	s_mov_b32 s16, exec_lo
	s_delay_alu instid0(VALU_DEP_2)
	v_cmpx_ne_u32_e32 0x7f, v6
	s_cbranch_execz .LBB368_1084
; %bb.1081:                             ;   in Loop: Header=BB368_1062 Depth=1
	v_dual_lshrrev_b32 v3, 3, v6 :: v_dual_bitop2_b32 v22, 7, v5 bitop3:0x40
	s_mov_b32 s17, exec_lo
	s_delay_alu instid0(VALU_DEP_1)
	v_mov_b64_e32 v[34:35], v[22:23]
	v_cmpx_gt_u32_e32 8, v6
; %bb.1082:                             ;   in Loop: Header=BB368_1062 Depth=1
	v_clz_i32_u32_e32 v3, v22
	s_delay_alu instid0(VALU_DEP_1) | instskip(NEXT) | instid1(VALU_DEP_1)
	v_min_u32_e32 v3, 32, v3
	v_subrev_nc_u32_e32 v6, 28, v3
	s_delay_alu instid0(VALU_DEP_1) | instskip(NEXT) | instid1(VALU_DEP_1)
	v_lshlrev_b64_e32 v[6:7], v6, v[22:23]
	v_dual_sub_nc_u32 v3, 29, v3 :: v_dual_bitop2_b32 v34, 7, v6 bitop3:0x40
; %bb.1083:                             ;   in Loop: Header=BB368_1062 Depth=1
	s_or_b32 exec_lo, exec_lo, s17
	s_delay_alu instid0(VALU_DEP_1) | instskip(NEXT) | instid1(VALU_DEP_2)
	v_dual_lshlrev_b32 v5, 24, v5 :: v_dual_lshlrev_b32 v6, 20, v34
	v_lshl_add_u32 v3, v3, 23, 0x3c000000
	s_delay_alu instid0(VALU_DEP_2) | instskip(NEXT) | instid1(VALU_DEP_1)
	v_and_b32_e32 v5, 0x80000000, v5
	v_or3_b32 v3, v6, v5, v3
.LBB368_1084:                           ;   in Loop: Header=BB368_1062 Depth=1
	s_or_b32 exec_lo, exec_lo, s16
.LBB368_1085:                           ;   in Loop: Header=BB368_1062 Depth=1
	s_delay_alu instid0(SALU_CYCLE_1)
	s_or_b32 exec_lo, exec_lo, s15
.LBB368_1086:                           ;   in Loop: Header=BB368_1062 Depth=1
	s_delay_alu instid0(SALU_CYCLE_1)
	s_or_b32 exec_lo, exec_lo, s0
	v_dual_mov_b32 v5, 0 :: v_dual_mov_b32 v6, 0
	s_mov_b32 s0, exec_lo
	v_cmpx_lt_u32_e32 0xffffff, v18
	s_cbranch_execz .LBB368_1094
; %bb.1087:                             ;   in Loop: Header=BB368_1062 Depth=1
	v_lshrrev_b32_e32 v7, 24, v18
	v_bfrev_b32_e32 v6, 1
	s_mov_b32 s15, exec_lo
	s_delay_alu instid0(VALU_DEP_2)
	v_cmpx_ne_u32_e32 0x80, v7
	s_cbranch_execz .LBB368_1093
; %bb.1088:                             ;   in Loop: Header=BB368_1062 Depth=1
	v_bfe_u32 v8, v18, 24, 7
	v_mov_b32_e32 v6, 0x7f800001
	s_mov_b32 s16, exec_lo
	s_delay_alu instid0(VALU_DEP_2)
	v_cmpx_ne_u32_e32 0x7f, v8
	s_cbranch_execz .LBB368_1092
; %bb.1089:                             ;   in Loop: Header=BB368_1062 Depth=1
	v_dual_lshrrev_b32 v6, 3, v8 :: v_dual_bitop2_b32 v22, 7, v7 bitop3:0x40
	s_mov_b32 s17, exec_lo
	s_delay_alu instid0(VALU_DEP_1)
	v_mov_b64_e32 v[34:35], v[22:23]
	v_cmpx_gt_u32_e32 8, v8
; %bb.1090:                             ;   in Loop: Header=BB368_1062 Depth=1
	v_clz_i32_u32_e32 v6, v22
	s_delay_alu instid0(VALU_DEP_1) | instskip(NEXT) | instid1(VALU_DEP_1)
	v_min_u32_e32 v6, 32, v6
	v_subrev_nc_u32_e32 v8, 28, v6
	s_delay_alu instid0(VALU_DEP_1) | instskip(NEXT) | instid1(VALU_DEP_1)
	v_lshlrev_b64_e32 v[8:9], v8, v[22:23]
	v_dual_sub_nc_u32 v6, 29, v6 :: v_dual_bitop2_b32 v34, 7, v8 bitop3:0x40
; %bb.1091:                             ;   in Loop: Header=BB368_1062 Depth=1
	s_or_b32 exec_lo, exec_lo, s17
	s_delay_alu instid0(VALU_DEP_1) | instskip(NEXT) | instid1(VALU_DEP_2)
	v_dual_lshlrev_b32 v7, 24, v7 :: v_dual_lshlrev_b32 v8, 20, v34
	v_lshl_add_u32 v6, v6, 23, 0x3c000000
	s_delay_alu instid0(VALU_DEP_2) | instskip(NEXT) | instid1(VALU_DEP_1)
	v_and_b32_e32 v7, 0x80000000, v7
	v_or3_b32 v6, v8, v7, v6
.LBB368_1092:                           ;   in Loop: Header=BB368_1062 Depth=1
	s_or_b32 exec_lo, exec_lo, s16
.LBB368_1093:                           ;   in Loop: Header=BB368_1062 Depth=1
	s_delay_alu instid0(SALU_CYCLE_1)
	s_or_b32 exec_lo, exec_lo, s15
.LBB368_1094:                           ;   in Loop: Header=BB368_1062 Depth=1
	s_delay_alu instid0(SALU_CYCLE_1) | instskip(SKIP_3) | instid1(VALU_DEP_2)
	s_or_b32 exec_lo, exec_lo, s0
	v_and_b32_e32 v7, 0xff, v19
	v_mov_b32_e32 v22, v19
	s_mov_b32 s0, exec_lo
	v_cmpx_ne_u16_e32 0, v7
	s_cbranch_execz .LBB368_1102
; %bb.1095:                             ;   in Loop: Header=BB368_1062 Depth=1
	v_bfrev_b32_e32 v5, 1
	s_mov_b32 s15, exec_lo
	v_cmpx_ne_u16_e32 0x80, v7
	s_cbranch_execz .LBB368_1101
; %bb.1096:                             ;   in Loop: Header=BB368_1062 Depth=1
	v_and_b32_e32 v7, 0x7f, v19
	v_mov_b32_e32 v5, 0x7f800001
	s_mov_b32 s16, exec_lo
	s_delay_alu instid0(VALU_DEP_2)
	v_cmpx_ne_u32_e32 0x7f, v7
	s_cbranch_execz .LBB368_1100
; %bb.1097:                             ;   in Loop: Header=BB368_1062 Depth=1
	v_mov_b64_e32 v[34:35], v[22:23]
	v_lshrrev_b32_e32 v5, 3, v7
	s_mov_b32 s17, exec_lo
	v_cmpx_gt_u32_e32 8, v7
; %bb.1098:                             ;   in Loop: Header=BB368_1062 Depth=1
	v_and_b32_e32 v5, 7, v19
	s_delay_alu instid0(VALU_DEP_1) | instskip(NEXT) | instid1(VALU_DEP_1)
	v_clz_i32_u32_e32 v5, v5
	v_min_u32_e32 v5, 32, v5
	s_delay_alu instid0(VALU_DEP_1) | instskip(SKIP_1) | instid1(VALU_DEP_2)
	v_subrev_nc_u32_e32 v7, 28, v5
	v_sub_nc_u32_e32 v5, 29, v5
	v_lshlrev_b64_e32 v[34:35], v7, v[22:23]
; %bb.1099:                             ;   in Loop: Header=BB368_1062 Depth=1
	s_or_b32 exec_lo, exec_lo, s17
	s_delay_alu instid0(VALU_DEP_1) | instskip(SKIP_2) | instid1(VALU_DEP_3)
	v_lshlrev_b32_e32 v7, 20, v34
	v_lshlrev_b32_e32 v8, 24, v22
	v_lshl_add_u32 v5, v5, 23, 0x3c000000
	v_and_b32_e32 v7, 0x700000, v7
	s_delay_alu instid0(VALU_DEP_3) | instskip(NEXT) | instid1(VALU_DEP_1)
	v_and_b32_e32 v8, 0x80000000, v8
	v_or3_b32 v5, v7, v8, v5
.LBB368_1100:                           ;   in Loop: Header=BB368_1062 Depth=1
	s_or_b32 exec_lo, exec_lo, s16
.LBB368_1101:                           ;   in Loop: Header=BB368_1062 Depth=1
	s_delay_alu instid0(SALU_CYCLE_1)
	s_or_b32 exec_lo, exec_lo, s15
.LBB368_1102:                           ;   in Loop: Header=BB368_1062 Depth=1
	s_delay_alu instid0(SALU_CYCLE_1) | instskip(SKIP_3) | instid1(VALU_DEP_2)
	s_or_b32 exec_lo, exec_lo, s0
	v_lshrrev_b16 v9, 8, v22
	v_dual_mov_b32 v7, 0 :: v_dual_mov_b32 v8, 0
	s_mov_b32 s0, exec_lo
	v_cmpx_ne_u16_e32 0, v9
	s_cbranch_execz .LBB368_1110
; %bb.1103:                             ;   in Loop: Header=BB368_1062 Depth=1
	v_bfrev_b32_e32 v8, 1
	s_mov_b32 s15, exec_lo
	v_cmpx_ne_u16_e32 0x80, v9
	s_cbranch_execz .LBB368_1109
; %bb.1104:                             ;   in Loop: Header=BB368_1062 Depth=1
	v_and_b32_e32 v32, 0xffff, v9
	v_mov_b32_e32 v8, 0x7f800001
	s_mov_b32 s16, exec_lo
	s_delay_alu instid0(VALU_DEP_2) | instskip(NEXT) | instid1(VALU_DEP_1)
	v_and_b32_e32 v9, 0x7f, v32
	v_cmpx_ne_u32_e32 0x7f, v9
	s_cbranch_execz .LBB368_1108
; %bb.1105:                             ;   in Loop: Header=BB368_1062 Depth=1
	v_dual_mov_b32 v35, v23 :: v_dual_bitop2_b32 v34, 7, v32 bitop3:0x40
	v_lshrrev_b32_e32 v8, 3, v9
	s_mov_b32 s17, exec_lo
	v_cmpx_gt_u32_e32 8, v9
; %bb.1106:                             ;   in Loop: Header=BB368_1062 Depth=1
	s_delay_alu instid0(VALU_DEP_3) | instskip(NEXT) | instid1(VALU_DEP_1)
	v_clz_i32_u32_e32 v8, v34
	v_min_u32_e32 v8, 32, v8
	s_delay_alu instid0(VALU_DEP_1) | instskip(SKIP_1) | instid1(VALU_DEP_2)
	v_subrev_nc_u32_e32 v9, 28, v8
	v_sub_nc_u32_e32 v8, 29, v8
	v_lshlrev_b64_e32 v[32:33], v9, v[34:35]
	s_delay_alu instid0(VALU_DEP_1)
	v_and_b32_e32 v34, 7, v32
; %bb.1107:                             ;   in Loop: Header=BB368_1062 Depth=1
	s_or_b32 exec_lo, exec_lo, s17
	v_lshlrev_b32_e32 v9, 16, v22
	s_delay_alu instid0(VALU_DEP_2) | instskip(SKIP_1) | instid1(VALU_DEP_3)
	v_lshlrev_b32_e32 v22, 20, v34
	v_lshl_add_u32 v8, v8, 23, 0x3c000000
	v_and_b32_e32 v9, 0x80000000, v9
	s_delay_alu instid0(VALU_DEP_1)
	v_or3_b32 v8, v22, v9, v8
.LBB368_1108:                           ;   in Loop: Header=BB368_1062 Depth=1
	s_or_b32 exec_lo, exec_lo, s16
.LBB368_1109:                           ;   in Loop: Header=BB368_1062 Depth=1
	s_delay_alu instid0(SALU_CYCLE_1)
	s_or_b32 exec_lo, exec_lo, s15
.LBB368_1110:                           ;   in Loop: Header=BB368_1062 Depth=1
	s_delay_alu instid0(SALU_CYCLE_1) | instskip(SKIP_2) | instid1(VALU_DEP_1)
	s_or_b32 exec_lo, exec_lo, s0
	v_lshrrev_b32_e32 v9, 16, v19
	s_mov_b32 s0, exec_lo
	v_and_b32_e32 v22, 0xff, v9
	s_delay_alu instid0(VALU_DEP_1)
	v_cmpx_ne_u16_e32 0, v22
	s_cbranch_execz .LBB368_1118
; %bb.1111:                             ;   in Loop: Header=BB368_1062 Depth=1
	v_bfrev_b32_e32 v7, 1
	s_mov_b32 s15, exec_lo
	v_cmpx_ne_u16_e32 0x80, v22
	s_cbranch_execz .LBB368_1117
; %bb.1112:                             ;   in Loop: Header=BB368_1062 Depth=1
	v_bfe_u32 v32, v19, 16, 7
	v_mov_b32_e32 v7, 0x7f800001
	s_mov_b32 s16, exec_lo
	s_delay_alu instid0(VALU_DEP_2)
	v_cmpx_ne_u32_e32 0x7f, v32
	s_cbranch_execz .LBB368_1116
; %bb.1113:                             ;   in Loop: Header=BB368_1062 Depth=1
	v_dual_lshrrev_b32 v7, 3, v32 :: v_dual_bitop2_b32 v22, 7, v9 bitop3:0x40
	s_mov_b32 s17, exec_lo
	s_delay_alu instid0(VALU_DEP_1)
	v_mov_b64_e32 v[34:35], v[22:23]
	v_cmpx_gt_u32_e32 8, v32
; %bb.1114:                             ;   in Loop: Header=BB368_1062 Depth=1
	v_clz_i32_u32_e32 v7, v22
	s_delay_alu instid0(VALU_DEP_1) | instskip(NEXT) | instid1(VALU_DEP_1)
	v_min_u32_e32 v7, 32, v7
	v_subrev_nc_u32_e32 v32, 28, v7
	s_delay_alu instid0(VALU_DEP_1) | instskip(NEXT) | instid1(VALU_DEP_1)
	v_lshlrev_b64_e32 v[32:33], v32, v[22:23]
	v_dual_sub_nc_u32 v7, 29, v7 :: v_dual_bitop2_b32 v34, 7, v32 bitop3:0x40
; %bb.1115:                             ;   in Loop: Header=BB368_1062 Depth=1
	s_or_b32 exec_lo, exec_lo, s17
	s_delay_alu instid0(VALU_DEP_1) | instskip(NEXT) | instid1(VALU_DEP_2)
	v_dual_lshlrev_b32 v9, 24, v9 :: v_dual_lshlrev_b32 v22, 20, v34
	v_lshl_add_u32 v7, v7, 23, 0x3c000000
	s_delay_alu instid0(VALU_DEP_2) | instskip(NEXT) | instid1(VALU_DEP_1)
	v_and_b32_e32 v9, 0x80000000, v9
	v_or3_b32 v7, v22, v9, v7
.LBB368_1116:                           ;   in Loop: Header=BB368_1062 Depth=1
	s_or_b32 exec_lo, exec_lo, s16
.LBB368_1117:                           ;   in Loop: Header=BB368_1062 Depth=1
	s_delay_alu instid0(SALU_CYCLE_1)
	s_or_b32 exec_lo, exec_lo, s15
.LBB368_1118:                           ;   in Loop: Header=BB368_1062 Depth=1
	s_delay_alu instid0(SALU_CYCLE_1)
	s_or_b32 exec_lo, exec_lo, s0
	v_cmp_lt_u64_e32 vcc_lo, s[2:3], v[18:19]
	v_mov_b32_e32 v18, 0
	s_and_saveexec_b32 s0, vcc_lo
	s_cbranch_execz .LBB368_1126
; %bb.1119:                             ;   in Loop: Header=BB368_1062 Depth=1
	v_lshrrev_b32_e32 v9, 24, v19
	v_bfrev_b32_e32 v18, 1
	s_mov_b32 s15, exec_lo
	s_delay_alu instid0(VALU_DEP_2)
	v_cmpx_ne_u32_e32 0x80, v9
	s_cbranch_execz .LBB368_1125
; %bb.1120:                             ;   in Loop: Header=BB368_1062 Depth=1
	v_bfe_u32 v19, v19, 24, 7
	v_mov_b32_e32 v18, 0x7f800001
	s_mov_b32 s16, exec_lo
	s_delay_alu instid0(VALU_DEP_2)
	v_cmpx_ne_u32_e32 0x7f, v19
	s_cbranch_execz .LBB368_1124
; %bb.1121:                             ;   in Loop: Header=BB368_1062 Depth=1
	v_dual_lshrrev_b32 v32, 3, v19 :: v_dual_bitop2_b32 v22, 7, v9 bitop3:0x40
	v_cmp_gt_u32_e32 vcc_lo, 8, v19
	s_delay_alu instid0(VALU_DEP_2)
	v_mov_b64_e32 v[18:19], v[22:23]
	s_and_saveexec_b32 s17, vcc_lo
; %bb.1122:                             ;   in Loop: Header=BB368_1062 Depth=1
	v_clz_i32_u32_e32 v18, v22
	s_delay_alu instid0(VALU_DEP_1) | instskip(NEXT) | instid1(VALU_DEP_1)
	v_min_u32_e32 v32, 32, v18
	v_subrev_nc_u32_e32 v18, 28, v32
	s_delay_alu instid0(VALU_DEP_1) | instskip(NEXT) | instid1(VALU_DEP_1)
	v_lshlrev_b64_e32 v[18:19], v18, v[22:23]
	v_dual_sub_nc_u32 v32, 29, v32 :: v_dual_bitop2_b32 v18, 7, v18 bitop3:0x40
; %bb.1123:                             ;   in Loop: Header=BB368_1062 Depth=1
	s_or_b32 exec_lo, exec_lo, s17
	s_delay_alu instid0(VALU_DEP_1) | instskip(NEXT) | instid1(VALU_DEP_2)
	v_dual_lshlrev_b32 v9, 24, v9 :: v_dual_lshlrev_b32 v18, 20, v18
	v_lshl_add_u32 v19, v32, 23, 0x3c000000
	s_delay_alu instid0(VALU_DEP_2) | instskip(NEXT) | instid1(VALU_DEP_1)
	v_and_b32_e32 v9, 0x80000000, v9
	v_or3_b32 v18, v18, v9, v19
.LBB368_1124:                           ;   in Loop: Header=BB368_1062 Depth=1
	s_or_b32 exec_lo, exec_lo, s16
.LBB368_1125:                           ;   in Loop: Header=BB368_1062 Depth=1
	s_delay_alu instid0(SALU_CYCLE_1)
	s_or_b32 exec_lo, exec_lo, s15
.LBB368_1126:                           ;   in Loop: Header=BB368_1062 Depth=1
	s_delay_alu instid0(SALU_CYCLE_1)
	s_or_b32 exec_lo, exec_lo, s0
	scratch_load_b32 v9, off, s32 offset:208 ; 4-byte Folded Reload
	v_fma_mixlo_bf16 v5, v49, v5, 0
	v_fma_mixlo_bf16 v2, v49, v2, 0
	;; [unrolled: 1-line block ×4, first 2 shown]
	v_dual_add_nc_u32 v114, -6, v50 :: v_dual_add_nc_u32 v113, -5, v50
	scratch_store_b32 off, v2, s32 offset:228 ; 4-byte Folded Spill
	s_wait_xcnt 0x0
	v_fma_mixlo_bf16 v2, v49, v7, 0
	scratch_store_b32 off, v5, s32 offset:192 ; 4-byte Folded Spill
	s_wait_xcnt 0x0
	v_fma_mixlo_bf16 v5, v49, v6, 0
	v_dual_add_nc_u32 v112, -4, v50 :: v_dual_add_nc_u32 v103, -3, v50
	scratch_store_b32 off, v2, s32 offset:200 ; 4-byte Folded Spill
	s_wait_xcnt 0x0
	v_fma_mixlo_bf16 v2, v49, v18, 0
	s_clause 0x1
	scratch_store_b32 off, v5, s32 offset:216
	scratch_store_b32 off, v3, s32 offset:220
	s_wait_xcnt 0x0
	v_fma_mixlo_bf16 v3, v49, v4, 0
	v_dual_add_nc_u32 v101, -2, v50 :: v_dual_add_nc_u32 v100, -1, v50
	scratch_store_b32 off, v2, s32 offset:212 ; 4-byte Folded Spill
	v_add_nc_u32_e32 v102, -7, v50
	scratch_store_b32 off, v3, s32 offset:224 ; 4-byte Folded Spill
	s_wait_loadcnt 0x0
	v_add_nc_u32_e32 v9, -1, v9
	s_delay_alu instid0(VALU_DEP_1)
	v_cmp_eq_u32_e32 vcc_lo, v9, v52
	s_wait_xcnt 0x0
	s_and_saveexec_b32 s15, vcc_lo
	s_cbranch_execz .LBB368_1128
; %bb.1127:                             ;   in Loop: Header=BB368_1062 Depth=1
	scratch_load_b32 v2, off, s32 offset:228 ; 4-byte Folded Reload
	v_cmp_lt_i32_e64 s0, v102, v36
	s_wait_loadcnt 0x0
	s_delay_alu instid0(VALU_DEP_1)
	v_cndmask_b32_e64 v2, 0, v2, s0
	v_cmp_lt_i32_e64 s0, v114, v36
	s_clause 0x1
	scratch_store_b32 off, v2, s32 offset:228
	scratch_load_b32 v2, off, s32 offset:224
	s_wait_loadcnt 0x0
	v_cndmask_b32_e64 v2, 0, v2, s0
	v_cmp_lt_i32_e64 s0, v113, v36
	s_clause 0x1
	scratch_store_b32 off, v2, s32 offset:224
	scratch_load_b32 v2, off, s32 offset:220
	s_wait_loadcnt 0x0
	;; [unrolled: 6-line block ×4, first 2 shown]
	v_cndmask_b32_e64 v2, 0, v2, s0
	v_cmp_lt_i32_e64 s0, v101, v36
	s_clause 0x1
	scratch_store_b32 off, v2, s32 offset:192
	scratch_load_b32 v2, off, s32 offset:200
	v_cndmask_b32_e64 v57, 0, v57, s0
	v_cmp_lt_i32_e64 s0, v100, v36
	s_wait_loadcnt 0x0
	s_delay_alu instid0(VALU_DEP_1)
	v_cndmask_b32_e64 v2, 0, v2, s0
	v_cmp_lt_i32_e64 s0, v50, v36
	s_clause 0x1
	scratch_store_b32 off, v2, s32 offset:200
	scratch_load_b32 v2, off, s32 offset:212
	s_wait_loadcnt 0x0
	v_cndmask_b32_e64 v2, 0, v2, s0
	scratch_store_b32 off, v2, s32 offset:212 ; 4-byte Folded Spill
.LBB368_1128:                           ;   in Loop: Header=BB368_1062 Depth=1
	s_wait_xcnt 0x0
	s_or_b32 exec_lo, exec_lo, s15
	flat_load_b64 v[18:19], v[0:1] offset:256
	v_dual_mov_b32 v3, 0 :: v_dual_mov_b32 v2, 0
	s_mov_b32 s15, exec_lo
	s_wait_loadcnt_dscnt 0x0
	v_and_b32_e32 v4, 0xff, v18
	s_wait_xcnt 0x0
	s_delay_alu instid0(VALU_DEP_1)
	v_cmpx_ne_u16_e32 0, v4
	s_cbranch_execz .LBB368_1136
; %bb.1129:                             ;   in Loop: Header=BB368_1062 Depth=1
	v_bfrev_b32_e32 v2, 1
	s_mov_b32 s16, exec_lo
	v_cmpx_ne_u16_e32 0x80, v4
	s_cbranch_execz .LBB368_1135
; %bb.1130:                             ;   in Loop: Header=BB368_1062 Depth=1
	v_and_b32_e32 v4, 0x7f, v18
	v_mov_b32_e32 v2, 0x7f800001
	s_mov_b32 s17, exec_lo
	s_delay_alu instid0(VALU_DEP_2)
	v_cmpx_ne_u32_e32 0x7f, v4
	s_cbranch_execz .LBB368_1134
; %bb.1131:                             ;   in Loop: Header=BB368_1062 Depth=1
	v_mov_b64_e32 v[34:35], v[18:19]
	v_lshrrev_b32_e32 v2, 3, v4
	s_mov_b32 s18, exec_lo
	v_cmpx_gt_u32_e32 8, v4
; %bb.1132:                             ;   in Loop: Header=BB368_1062 Depth=1
	v_and_b32_e32 v2, 7, v18
	s_delay_alu instid0(VALU_DEP_1) | instskip(NEXT) | instid1(VALU_DEP_1)
	v_clz_i32_u32_e32 v2, v2
	v_min_u32_e32 v2, 32, v2
	s_delay_alu instid0(VALU_DEP_1) | instskip(SKIP_1) | instid1(VALU_DEP_2)
	v_subrev_nc_u32_e32 v4, 28, v2
	v_sub_nc_u32_e32 v2, 29, v2
	v_lshlrev_b64_e32 v[34:35], v4, v[18:19]
; %bb.1133:                             ;   in Loop: Header=BB368_1062 Depth=1
	s_or_b32 exec_lo, exec_lo, s18
	s_delay_alu instid0(VALU_DEP_1) | instskip(SKIP_2) | instid1(VALU_DEP_3)
	v_lshlrev_b32_e32 v4, 20, v34
	v_lshlrev_b32_e32 v5, 24, v18
	v_lshl_add_u32 v2, v2, 23, 0x3c000000
	v_and_b32_e32 v4, 0x700000, v4
	s_delay_alu instid0(VALU_DEP_3) | instskip(NEXT) | instid1(VALU_DEP_1)
	v_and_b32_e32 v5, 0x80000000, v5
	v_or3_b32 v2, v4, v5, v2
.LBB368_1134:                           ;   in Loop: Header=BB368_1062 Depth=1
	s_or_b32 exec_lo, exec_lo, s17
.LBB368_1135:                           ;   in Loop: Header=BB368_1062 Depth=1
	s_delay_alu instid0(SALU_CYCLE_1)
	s_or_b32 exec_lo, exec_lo, s16
.LBB368_1136:                           ;   in Loop: Header=BB368_1062 Depth=1
	s_delay_alu instid0(SALU_CYCLE_1) | instskip(SKIP_2) | instid1(VALU_DEP_1)
	s_or_b32 exec_lo, exec_lo, s15
	v_lshrrev_b16 v4, 8, v18
	s_mov_b32 s15, exec_lo
	v_cmpx_ne_u16_e32 0, v4
	s_cbranch_execz .LBB368_1144
; %bb.1137:                             ;   in Loop: Header=BB368_1062 Depth=1
	v_bfrev_b32_e32 v3, 1
	s_mov_b32 s16, exec_lo
	v_cmpx_ne_u16_e32 0x80, v4
	s_cbranch_execz .LBB368_1143
; %bb.1138:                             ;   in Loop: Header=BB368_1062 Depth=1
	v_and_b32_e32 v5, 0xffff, v4
	v_mov_b32_e32 v3, 0x7f800001
	s_mov_b32 s17, exec_lo
	s_delay_alu instid0(VALU_DEP_2) | instskip(NEXT) | instid1(VALU_DEP_1)
	v_and_b32_e32 v4, 0x7f, v5
	v_cmpx_ne_u32_e32 0x7f, v4
	s_cbranch_execz .LBB368_1142
; %bb.1139:                             ;   in Loop: Header=BB368_1062 Depth=1
	v_dual_lshrrev_b32 v3, 3, v4 :: v_dual_bitop2_b32 v22, 7, v5 bitop3:0x40
	s_mov_b32 s18, exec_lo
	s_delay_alu instid0(VALU_DEP_1)
	v_mov_b64_e32 v[34:35], v[22:23]
	v_cmpx_gt_u32_e32 8, v4
; %bb.1140:                             ;   in Loop: Header=BB368_1062 Depth=1
	v_clz_i32_u32_e32 v3, v22
	s_delay_alu instid0(VALU_DEP_1) | instskip(NEXT) | instid1(VALU_DEP_1)
	v_min_u32_e32 v3, 32, v3
	v_subrev_nc_u32_e32 v4, 28, v3
	s_delay_alu instid0(VALU_DEP_1) | instskip(NEXT) | instid1(VALU_DEP_1)
	v_lshlrev_b64_e32 v[4:5], v4, v[22:23]
	v_dual_sub_nc_u32 v3, 29, v3 :: v_dual_bitop2_b32 v34, 7, v4 bitop3:0x40
; %bb.1141:                             ;   in Loop: Header=BB368_1062 Depth=1
	s_or_b32 exec_lo, exec_lo, s18
	v_lshlrev_b32_e32 v4, 16, v18
	s_delay_alu instid0(VALU_DEP_2) | instskip(NEXT) | instid1(VALU_DEP_3)
	v_lshlrev_b32_e32 v5, 20, v34
	v_lshl_add_u32 v3, v3, 23, 0x3c000000
	s_delay_alu instid0(VALU_DEP_3) | instskip(NEXT) | instid1(VALU_DEP_1)
	v_and_b32_e32 v4, 0x80000000, v4
	v_or3_b32 v3, v5, v4, v3
.LBB368_1142:                           ;   in Loop: Header=BB368_1062 Depth=1
	s_or_b32 exec_lo, exec_lo, s17
.LBB368_1143:                           ;   in Loop: Header=BB368_1062 Depth=1
	s_delay_alu instid0(SALU_CYCLE_1)
	s_or_b32 exec_lo, exec_lo, s16
.LBB368_1144:                           ;   in Loop: Header=BB368_1062 Depth=1
	s_delay_alu instid0(SALU_CYCLE_1) | instskip(SKIP_3) | instid1(VALU_DEP_2)
	s_or_b32 exec_lo, exec_lo, s15
	v_dual_mov_b32 v5, 0 :: v_dual_lshrrev_b32 v6, 16, v18
	v_mov_b32_e32 v4, 0
	s_mov_b32 s15, exec_lo
	v_and_b32_e32 v7, 0xff, v6
	s_delay_alu instid0(VALU_DEP_1)
	v_cmpx_ne_u16_e32 0, v7
	s_cbranch_execz .LBB368_1152
; %bb.1145:                             ;   in Loop: Header=BB368_1062 Depth=1
	v_bfrev_b32_e32 v4, 1
	s_mov_b32 s16, exec_lo
	v_cmpx_ne_u16_e32 0x80, v7
	s_cbranch_execz .LBB368_1151
; %bb.1146:                             ;   in Loop: Header=BB368_1062 Depth=1
	v_bfe_u32 v7, v18, 16, 7
	v_mov_b32_e32 v4, 0x7f800001
	s_mov_b32 s17, exec_lo
	s_delay_alu instid0(VALU_DEP_2)
	v_cmpx_ne_u32_e32 0x7f, v7
	s_cbranch_execz .LBB368_1150
; %bb.1147:                             ;   in Loop: Header=BB368_1062 Depth=1
	v_dual_lshrrev_b32 v4, 3, v7 :: v_dual_bitop2_b32 v22, 7, v6 bitop3:0x40
	s_mov_b32 s18, exec_lo
	s_delay_alu instid0(VALU_DEP_1)
	v_mov_b64_e32 v[34:35], v[22:23]
	v_cmpx_gt_u32_e32 8, v7
; %bb.1148:                             ;   in Loop: Header=BB368_1062 Depth=1
	v_clz_i32_u32_e32 v4, v22
	s_delay_alu instid0(VALU_DEP_1) | instskip(NEXT) | instid1(VALU_DEP_1)
	v_min_u32_e32 v4, 32, v4
	v_subrev_nc_u32_e32 v7, 28, v4
	v_sub_nc_u32_e32 v4, 29, v4
	s_delay_alu instid0(VALU_DEP_2) | instskip(NEXT) | instid1(VALU_DEP_1)
	v_lshlrev_b64_e32 v[8:9], v7, v[22:23]
	v_and_b32_e32 v34, 7, v8
; %bb.1149:                             ;   in Loop: Header=BB368_1062 Depth=1
	s_or_b32 exec_lo, exec_lo, s18
	v_lshlrev_b32_e32 v6, 24, v6
	s_delay_alu instid0(VALU_DEP_2) | instskip(SKIP_1) | instid1(VALU_DEP_3)
	v_lshlrev_b32_e32 v7, 20, v34
	v_lshl_add_u32 v4, v4, 23, 0x3c000000
	v_and_b32_e32 v6, 0x80000000, v6
	s_delay_alu instid0(VALU_DEP_1)
	v_or3_b32 v4, v7, v6, v4
.LBB368_1150:                           ;   in Loop: Header=BB368_1062 Depth=1
	s_or_b32 exec_lo, exec_lo, s17
.LBB368_1151:                           ;   in Loop: Header=BB368_1062 Depth=1
	s_delay_alu instid0(SALU_CYCLE_1)
	s_or_b32 exec_lo, exec_lo, s16
.LBB368_1152:                           ;   in Loop: Header=BB368_1062 Depth=1
	s_delay_alu instid0(SALU_CYCLE_1) | instskip(NEXT) | instid1(SALU_CYCLE_1)
	s_or_b32 exec_lo, exec_lo, s15
	s_mov_b32 s15, exec_lo
	v_cmpx_lt_u32_e32 0xffffff, v18
	s_cbranch_execz .LBB368_1160
; %bb.1153:                             ;   in Loop: Header=BB368_1062 Depth=1
	v_lshrrev_b32_e32 v6, 24, v18
	v_bfrev_b32_e32 v5, 1
	s_mov_b32 s16, exec_lo
	s_delay_alu instid0(VALU_DEP_2)
	v_cmpx_ne_u32_e32 0x80, v6
	s_cbranch_execz .LBB368_1159
; %bb.1154:                             ;   in Loop: Header=BB368_1062 Depth=1
	v_bfe_u32 v7, v18, 24, 7
	v_mov_b32_e32 v5, 0x7f800001
	s_mov_b32 s17, exec_lo
	s_delay_alu instid0(VALU_DEP_2)
	v_cmpx_ne_u32_e32 0x7f, v7
	s_cbranch_execz .LBB368_1158
; %bb.1155:                             ;   in Loop: Header=BB368_1062 Depth=1
	v_dual_lshrrev_b32 v5, 3, v7 :: v_dual_bitop2_b32 v22, 7, v6 bitop3:0x40
	s_mov_b32 s18, exec_lo
	s_delay_alu instid0(VALU_DEP_1)
	v_mov_b64_e32 v[34:35], v[22:23]
	v_cmpx_gt_u32_e32 8, v7
; %bb.1156:                             ;   in Loop: Header=BB368_1062 Depth=1
	v_clz_i32_u32_e32 v5, v22
	s_delay_alu instid0(VALU_DEP_1) | instskip(NEXT) | instid1(VALU_DEP_1)
	v_min_u32_e32 v5, 32, v5
	v_subrev_nc_u32_e32 v7, 28, v5
	s_delay_alu instid0(VALU_DEP_1) | instskip(NEXT) | instid1(VALU_DEP_1)
	v_lshlrev_b64_e32 v[8:9], v7, v[22:23]
	v_dual_sub_nc_u32 v5, 29, v5 :: v_dual_bitop2_b32 v34, 7, v8 bitop3:0x40
; %bb.1157:                             ;   in Loop: Header=BB368_1062 Depth=1
	s_or_b32 exec_lo, exec_lo, s18
	v_lshlrev_b32_e32 v6, 24, v6
	s_delay_alu instid0(VALU_DEP_2) | instskip(NEXT) | instid1(VALU_DEP_3)
	v_lshlrev_b32_e32 v7, 20, v34
	v_lshl_add_u32 v5, v5, 23, 0x3c000000
	s_delay_alu instid0(VALU_DEP_3) | instskip(NEXT) | instid1(VALU_DEP_1)
	v_and_b32_e32 v6, 0x80000000, v6
	v_or3_b32 v5, v7, v6, v5
.LBB368_1158:                           ;   in Loop: Header=BB368_1062 Depth=1
	s_or_b32 exec_lo, exec_lo, s17
.LBB368_1159:                           ;   in Loop: Header=BB368_1062 Depth=1
	s_delay_alu instid0(SALU_CYCLE_1)
	s_or_b32 exec_lo, exec_lo, s16
.LBB368_1160:                           ;   in Loop: Header=BB368_1062 Depth=1
	s_delay_alu instid0(SALU_CYCLE_1) | instskip(SKIP_4) | instid1(VALU_DEP_3)
	s_or_b32 exec_lo, exec_lo, s15
	v_and_b32_e32 v8, 0xff, v19
	v_dual_mov_b32 v22, v19 :: v_dual_mov_b32 v7, 0
	v_mov_b32_e32 v6, 0
	s_mov_b32 s15, exec_lo
	v_cmpx_ne_u16_e32 0, v8
	s_cbranch_execz .LBB368_1168
; %bb.1161:                             ;   in Loop: Header=BB368_1062 Depth=1
	v_bfrev_b32_e32 v6, 1
	s_mov_b32 s16, exec_lo
	v_cmpx_ne_u16_e32 0x80, v8
	s_cbranch_execz .LBB368_1167
; %bb.1162:                             ;   in Loop: Header=BB368_1062 Depth=1
	v_and_b32_e32 v8, 0x7f, v19
	v_mov_b32_e32 v6, 0x7f800001
	s_mov_b32 s17, exec_lo
	s_delay_alu instid0(VALU_DEP_2)
	v_cmpx_ne_u32_e32 0x7f, v8
	s_cbranch_execz .LBB368_1166
; %bb.1163:                             ;   in Loop: Header=BB368_1062 Depth=1
	v_mov_b64_e32 v[34:35], v[22:23]
	v_lshrrev_b32_e32 v6, 3, v8
	s_mov_b32 s18, exec_lo
	v_cmpx_gt_u32_e32 8, v8
; %bb.1164:                             ;   in Loop: Header=BB368_1062 Depth=1
	v_and_b32_e32 v6, 7, v19
	s_delay_alu instid0(VALU_DEP_1) | instskip(NEXT) | instid1(VALU_DEP_1)
	v_clz_i32_u32_e32 v6, v6
	v_min_u32_e32 v6, 32, v6
	s_delay_alu instid0(VALU_DEP_1) | instskip(SKIP_1) | instid1(VALU_DEP_2)
	v_subrev_nc_u32_e32 v8, 28, v6
	v_sub_nc_u32_e32 v6, 29, v6
	v_lshlrev_b64_e32 v[34:35], v8, v[22:23]
; %bb.1165:                             ;   in Loop: Header=BB368_1062 Depth=1
	s_or_b32 exec_lo, exec_lo, s18
	s_delay_alu instid0(VALU_DEP_1) | instskip(SKIP_2) | instid1(VALU_DEP_3)
	v_lshlrev_b32_e32 v8, 20, v34
	v_lshlrev_b32_e32 v9, 24, v22
	v_lshl_add_u32 v6, v6, 23, 0x3c000000
	v_and_b32_e32 v8, 0x700000, v8
	s_delay_alu instid0(VALU_DEP_3) | instskip(NEXT) | instid1(VALU_DEP_1)
	v_and_b32_e32 v9, 0x80000000, v9
	v_or3_b32 v6, v8, v9, v6
.LBB368_1166:                           ;   in Loop: Header=BB368_1062 Depth=1
	s_or_b32 exec_lo, exec_lo, s17
.LBB368_1167:                           ;   in Loop: Header=BB368_1062 Depth=1
	s_delay_alu instid0(SALU_CYCLE_1)
	s_or_b32 exec_lo, exec_lo, s16
.LBB368_1168:                           ;   in Loop: Header=BB368_1062 Depth=1
	s_delay_alu instid0(SALU_CYCLE_1) | instskip(SKIP_2) | instid1(VALU_DEP_1)
	s_or_b32 exec_lo, exec_lo, s15
	v_lshrrev_b16 v8, 8, v22
	s_mov_b32 s15, exec_lo
	v_cmpx_ne_u16_e32 0, v8
	s_cbranch_execz .LBB368_1176
; %bb.1169:                             ;   in Loop: Header=BB368_1062 Depth=1
	v_bfrev_b32_e32 v7, 1
	s_mov_b32 s16, exec_lo
	v_cmpx_ne_u16_e32 0x80, v8
	s_cbranch_execz .LBB368_1175
; %bb.1170:                             ;   in Loop: Header=BB368_1062 Depth=1
	v_and_b32_e32 v9, 0xffff, v8
	v_mov_b32_e32 v7, 0x7f800001
	s_mov_b32 s17, exec_lo
	s_delay_alu instid0(VALU_DEP_2) | instskip(NEXT) | instid1(VALU_DEP_1)
	v_and_b32_e32 v8, 0x7f, v9
	v_cmpx_ne_u32_e32 0x7f, v8
	s_cbranch_execz .LBB368_1174
; %bb.1171:                             ;   in Loop: Header=BB368_1062 Depth=1
	v_dual_mov_b32 v35, v23 :: v_dual_bitop2_b32 v34, 7, v9 bitop3:0x40
	v_lshrrev_b32_e32 v7, 3, v8
	s_mov_b32 s18, exec_lo
	v_cmpx_gt_u32_e32 8, v8
; %bb.1172:                             ;   in Loop: Header=BB368_1062 Depth=1
	s_delay_alu instid0(VALU_DEP_3) | instskip(NEXT) | instid1(VALU_DEP_1)
	v_clz_i32_u32_e32 v7, v34
	v_min_u32_e32 v7, 32, v7
	s_delay_alu instid0(VALU_DEP_1) | instskip(NEXT) | instid1(VALU_DEP_1)
	v_subrev_nc_u32_e32 v8, 28, v7
	v_lshlrev_b64_e32 v[8:9], v8, v[34:35]
	s_delay_alu instid0(VALU_DEP_1)
	v_dual_sub_nc_u32 v7, 29, v7 :: v_dual_bitop2_b32 v34, 7, v8 bitop3:0x40
; %bb.1173:                             ;   in Loop: Header=BB368_1062 Depth=1
	s_or_b32 exec_lo, exec_lo, s18
	v_lshlrev_b32_e32 v8, 16, v22
	s_delay_alu instid0(VALU_DEP_2) | instskip(NEXT) | instid1(VALU_DEP_3)
	v_lshlrev_b32_e32 v9, 20, v34
	v_lshl_add_u32 v7, v7, 23, 0x3c000000
	s_delay_alu instid0(VALU_DEP_3) | instskip(NEXT) | instid1(VALU_DEP_1)
	v_and_b32_e32 v8, 0x80000000, v8
	v_or3_b32 v7, v9, v8, v7
.LBB368_1174:                           ;   in Loop: Header=BB368_1062 Depth=1
	s_or_b32 exec_lo, exec_lo, s17
.LBB368_1175:                           ;   in Loop: Header=BB368_1062 Depth=1
	s_delay_alu instid0(SALU_CYCLE_1)
	s_or_b32 exec_lo, exec_lo, s16
.LBB368_1176:                           ;   in Loop: Header=BB368_1062 Depth=1
	s_delay_alu instid0(SALU_CYCLE_1) | instskip(SKIP_3) | instid1(VALU_DEP_2)
	s_or_b32 exec_lo, exec_lo, s15
	v_dual_lshrrev_b32 v32, 16, v19 :: v_dual_mov_b32 v8, 0
	v_mov_b32_e32 v9, 0
	s_mov_b32 s15, exec_lo
	v_and_b32_e32 v22, 0xff, v32
	s_delay_alu instid0(VALU_DEP_1)
	v_cmpx_ne_u16_e32 0, v22
	s_cbranch_execz .LBB368_1184
; %bb.1177:                             ;   in Loop: Header=BB368_1062 Depth=1
	v_bfrev_b32_e32 v9, 1
	s_mov_b32 s16, exec_lo
	v_cmpx_ne_u16_e32 0x80, v22
	s_cbranch_execz .LBB368_1183
; %bb.1178:                             ;   in Loop: Header=BB368_1062 Depth=1
	v_bfe_u32 v33, v19, 16, 7
	v_mov_b32_e32 v9, 0x7f800001
	s_mov_b32 s17, exec_lo
	s_delay_alu instid0(VALU_DEP_2)
	v_cmpx_ne_u32_e32 0x7f, v33
	s_cbranch_execz .LBB368_1182
; %bb.1179:                             ;   in Loop: Header=BB368_1062 Depth=1
	v_dual_lshrrev_b32 v9, 3, v33 :: v_dual_bitop2_b32 v22, 7, v32 bitop3:0x40
	s_mov_b32 s18, exec_lo
	s_delay_alu instid0(VALU_DEP_1)
	v_mov_b64_e32 v[34:35], v[22:23]
	v_cmpx_gt_u32_e32 8, v33
; %bb.1180:                             ;   in Loop: Header=BB368_1062 Depth=1
	v_clz_i32_u32_e32 v9, v22
	s_delay_alu instid0(VALU_DEP_1) | instskip(NEXT) | instid1(VALU_DEP_1)
	v_min_u32_e32 v9, 32, v9
	v_subrev_nc_u32_e32 v33, 28, v9
	s_delay_alu instid0(VALU_DEP_1) | instskip(NEXT) | instid1(VALU_DEP_1)
	v_lshlrev_b64_e32 v[34:35], v33, v[22:23]
	v_dual_sub_nc_u32 v9, 29, v9 :: v_dual_bitop2_b32 v34, 7, v34 bitop3:0x40
; %bb.1181:                             ;   in Loop: Header=BB368_1062 Depth=1
	s_or_b32 exec_lo, exec_lo, s18
	s_delay_alu instid0(VALU_DEP_1) | instskip(NEXT) | instid1(VALU_DEP_2)
	v_dual_lshlrev_b32 v22, 24, v32 :: v_dual_lshlrev_b32 v32, 20, v34
	v_lshl_add_u32 v9, v9, 23, 0x3c000000
	s_delay_alu instid0(VALU_DEP_2) | instskip(NEXT) | instid1(VALU_DEP_1)
	v_and_b32_e32 v22, 0x80000000, v22
	v_or3_b32 v9, v32, v22, v9
.LBB368_1182:                           ;   in Loop: Header=BB368_1062 Depth=1
	s_or_b32 exec_lo, exec_lo, s17
.LBB368_1183:                           ;   in Loop: Header=BB368_1062 Depth=1
	s_delay_alu instid0(SALU_CYCLE_1)
	s_or_b32 exec_lo, exec_lo, s16
.LBB368_1184:                           ;   in Loop: Header=BB368_1062 Depth=1
	s_delay_alu instid0(SALU_CYCLE_1) | instskip(NEXT) | instid1(SALU_CYCLE_1)
	s_or_b32 exec_lo, exec_lo, s15
	s_mov_b32 s15, exec_lo
	v_cmpx_lt_u64_e64 s[2:3], v[18:19]
	s_cbranch_execz .LBB368_1192
; %bb.1185:                             ;   in Loop: Header=BB368_1062 Depth=1
	v_lshrrev_b32_e32 v32, 24, v19
	v_bfrev_b32_e32 v8, 1
	s_mov_b32 s16, exec_lo
	s_delay_alu instid0(VALU_DEP_2)
	v_cmpx_ne_u32_e32 0x80, v32
	s_cbranch_execz .LBB368_1191
; %bb.1186:                             ;   in Loop: Header=BB368_1062 Depth=1
	v_bfe_u32 v18, v19, 24, 7
	v_mov_b32_e32 v8, 0x7f800001
	s_mov_b32 s17, exec_lo
	s_delay_alu instid0(VALU_DEP_2)
	v_cmpx_ne_u32_e32 0x7f, v18
	s_cbranch_execz .LBB368_1190
; %bb.1187:                             ;   in Loop: Header=BB368_1062 Depth=1
	v_dual_lshrrev_b32 v8, 3, v18 :: v_dual_bitop2_b32 v22, 7, v32 bitop3:0x40
	v_cmp_gt_u32_e64 s0, 8, v18
	s_delay_alu instid0(VALU_DEP_2)
	v_mov_b64_e32 v[18:19], v[22:23]
	s_and_saveexec_b32 s18, s0
; %bb.1188:                             ;   in Loop: Header=BB368_1062 Depth=1
	v_clz_i32_u32_e32 v8, v22
	s_delay_alu instid0(VALU_DEP_1) | instskip(NEXT) | instid1(VALU_DEP_1)
	v_min_u32_e32 v8, 32, v8
	v_subrev_nc_u32_e32 v18, 28, v8
	s_delay_alu instid0(VALU_DEP_1) | instskip(NEXT) | instid1(VALU_DEP_1)
	v_lshlrev_b64_e32 v[18:19], v18, v[22:23]
	v_dual_sub_nc_u32 v8, 29, v8 :: v_dual_bitop2_b32 v18, 7, v18 bitop3:0x40
; %bb.1189:                             ;   in Loop: Header=BB368_1062 Depth=1
	s_or_b32 exec_lo, exec_lo, s18
	s_delay_alu instid0(VALU_DEP_1) | instskip(NEXT) | instid1(VALU_DEP_2)
	v_dual_lshlrev_b32 v19, 24, v32 :: v_dual_lshlrev_b32 v18, 20, v18
	v_lshl_add_u32 v8, v8, 23, 0x3c000000
	s_delay_alu instid0(VALU_DEP_2) | instskip(NEXT) | instid1(VALU_DEP_1)
	v_and_b32_e32 v19, 0x80000000, v19
	v_or3_b32 v8, v18, v19, v8
.LBB368_1190:                           ;   in Loop: Header=BB368_1062 Depth=1
	s_or_b32 exec_lo, exec_lo, s17
.LBB368_1191:                           ;   in Loop: Header=BB368_1062 Depth=1
	s_delay_alu instid0(SALU_CYCLE_1)
	s_or_b32 exec_lo, exec_lo, s16
.LBB368_1192:                           ;   in Loop: Header=BB368_1062 Depth=1
	s_delay_alu instid0(SALU_CYCLE_1)
	s_or_b32 exec_lo, exec_lo, s15
	v_fma_mixlo_bf16 v2, v49, v2, 0
	v_fma_mixlo_bf16 v7, v49, v7, 0
	;; [unrolled: 1-line block ×5, first 2 shown]
	scratch_store_b32 off, v2, s32 offset:264 ; 4-byte Folded Spill
	s_wait_xcnt 0x0
	v_fma_mixlo_bf16 v2, v49, v9, 0
	s_clause 0x1
	scratch_store_b32 off, v7, s32 offset:232
	scratch_store_b32 off, v6, s32 offset:236
	v_fma_mixlo_bf16 v3, v49, v3, 0
	s_clause 0x1
	scratch_store_b32 off, v5, s32 offset:248
	scratch_store_b32 off, v2, s32 offset:240
	s_wait_xcnt 0x0
	v_fma_mixlo_bf16 v2, v49, v8, 0
	s_clause 0x2
	scratch_store_b32 off, v4, s32 offset:252
	scratch_store_b32 off, v3, s32 offset:260
	;; [unrolled: 1-line block ×3, first 2 shown]
	s_wait_xcnt 0x0
	s_and_saveexec_b32 s15, vcc_lo
	s_cbranch_execz .LBB368_1194
; %bb.1193:                             ;   in Loop: Header=BB368_1062 Depth=1
	scratch_load_b32 v2, off, s32 offset:264 ; 4-byte Folded Reload
	v_cmp_lt_i32_e64 s0, v102, v36
	s_wait_loadcnt 0x0
	s_delay_alu instid0(VALU_DEP_1)
	v_cndmask_b32_e64 v2, 0, v2, s0
	v_cmp_lt_i32_e64 s0, v114, v36
	s_clause 0x1
	scratch_store_b32 off, v2, s32 offset:264
	scratch_load_b32 v2, off, s32 offset:260
	s_wait_loadcnt 0x0
	v_cndmask_b32_e64 v2, 0, v2, s0
	v_cmp_lt_i32_e64 s0, v113, v36
	s_clause 0x1
	scratch_store_b32 off, v2, s32 offset:260
	scratch_load_b32 v2, off, s32 offset:252
	s_wait_loadcnt 0x0
	;; [unrolled: 6-line block ×7, first 2 shown]
	v_cndmask_b32_e64 v2, 0, v2, s0
	scratch_store_b32 off, v2, s32 offset:244 ; 4-byte Folded Spill
.LBB368_1194:                           ;   in Loop: Header=BB368_1062 Depth=1
	s_wait_xcnt 0x0
	s_or_b32 exec_lo, exec_lo, s15
	flat_load_b64 v[18:19], v[0:1] offset:512
	v_dual_mov_b32 v3, 0 :: v_dual_mov_b32 v2, 0
	s_mov_b32 s15, exec_lo
	s_wait_loadcnt_dscnt 0x0
	v_and_b32_e32 v4, 0xff, v18
	s_wait_xcnt 0x0
	s_delay_alu instid0(VALU_DEP_1)
	v_cmpx_ne_u16_e32 0, v4
	s_cbranch_execz .LBB368_1202
; %bb.1195:                             ;   in Loop: Header=BB368_1062 Depth=1
	v_bfrev_b32_e32 v2, 1
	s_mov_b32 s16, exec_lo
	v_cmpx_ne_u16_e32 0x80, v4
	s_cbranch_execz .LBB368_1201
; %bb.1196:                             ;   in Loop: Header=BB368_1062 Depth=1
	v_and_b32_e32 v4, 0x7f, v18
	v_mov_b32_e32 v2, 0x7f800001
	s_mov_b32 s17, exec_lo
	s_delay_alu instid0(VALU_DEP_2)
	v_cmpx_ne_u32_e32 0x7f, v4
	s_cbranch_execz .LBB368_1200
; %bb.1197:                             ;   in Loop: Header=BB368_1062 Depth=1
	v_mov_b64_e32 v[34:35], v[18:19]
	v_lshrrev_b32_e32 v2, 3, v4
	s_mov_b32 s18, exec_lo
	v_cmpx_gt_u32_e32 8, v4
; %bb.1198:                             ;   in Loop: Header=BB368_1062 Depth=1
	v_and_b32_e32 v2, 7, v18
	s_delay_alu instid0(VALU_DEP_1) | instskip(NEXT) | instid1(VALU_DEP_1)
	v_clz_i32_u32_e32 v2, v2
	v_min_u32_e32 v2, 32, v2
	s_delay_alu instid0(VALU_DEP_1) | instskip(SKIP_1) | instid1(VALU_DEP_2)
	v_subrev_nc_u32_e32 v4, 28, v2
	v_sub_nc_u32_e32 v2, 29, v2
	v_lshlrev_b64_e32 v[34:35], v4, v[18:19]
; %bb.1199:                             ;   in Loop: Header=BB368_1062 Depth=1
	s_or_b32 exec_lo, exec_lo, s18
	s_delay_alu instid0(VALU_DEP_1) | instskip(SKIP_2) | instid1(VALU_DEP_3)
	v_lshlrev_b32_e32 v4, 20, v34
	v_lshlrev_b32_e32 v5, 24, v18
	v_lshl_add_u32 v2, v2, 23, 0x3c000000
	v_and_b32_e32 v4, 0x700000, v4
	s_delay_alu instid0(VALU_DEP_3) | instskip(NEXT) | instid1(VALU_DEP_1)
	v_and_b32_e32 v5, 0x80000000, v5
	v_or3_b32 v2, v4, v5, v2
.LBB368_1200:                           ;   in Loop: Header=BB368_1062 Depth=1
	s_or_b32 exec_lo, exec_lo, s17
.LBB368_1201:                           ;   in Loop: Header=BB368_1062 Depth=1
	s_delay_alu instid0(SALU_CYCLE_1)
	s_or_b32 exec_lo, exec_lo, s16
.LBB368_1202:                           ;   in Loop: Header=BB368_1062 Depth=1
	s_delay_alu instid0(SALU_CYCLE_1) | instskip(SKIP_2) | instid1(VALU_DEP_1)
	s_or_b32 exec_lo, exec_lo, s15
	v_lshrrev_b16 v4, 8, v18
	s_mov_b32 s15, exec_lo
	v_cmpx_ne_u16_e32 0, v4
	s_cbranch_execz .LBB368_1210
; %bb.1203:                             ;   in Loop: Header=BB368_1062 Depth=1
	v_bfrev_b32_e32 v3, 1
	s_mov_b32 s16, exec_lo
	v_cmpx_ne_u16_e32 0x80, v4
	s_cbranch_execz .LBB368_1209
; %bb.1204:                             ;   in Loop: Header=BB368_1062 Depth=1
	v_and_b32_e32 v5, 0xffff, v4
	v_mov_b32_e32 v3, 0x7f800001
	s_mov_b32 s17, exec_lo
	s_delay_alu instid0(VALU_DEP_2) | instskip(NEXT) | instid1(VALU_DEP_1)
	v_and_b32_e32 v4, 0x7f, v5
	v_cmpx_ne_u32_e32 0x7f, v4
	s_cbranch_execz .LBB368_1208
; %bb.1205:                             ;   in Loop: Header=BB368_1062 Depth=1
	v_dual_lshrrev_b32 v3, 3, v4 :: v_dual_bitop2_b32 v22, 7, v5 bitop3:0x40
	s_mov_b32 s18, exec_lo
	s_delay_alu instid0(VALU_DEP_1)
	v_mov_b64_e32 v[34:35], v[22:23]
	v_cmpx_gt_u32_e32 8, v4
; %bb.1206:                             ;   in Loop: Header=BB368_1062 Depth=1
	v_clz_i32_u32_e32 v3, v22
	s_delay_alu instid0(VALU_DEP_1) | instskip(NEXT) | instid1(VALU_DEP_1)
	v_min_u32_e32 v3, 32, v3
	v_subrev_nc_u32_e32 v4, 28, v3
	s_delay_alu instid0(VALU_DEP_1) | instskip(NEXT) | instid1(VALU_DEP_1)
	v_lshlrev_b64_e32 v[4:5], v4, v[22:23]
	v_dual_sub_nc_u32 v3, 29, v3 :: v_dual_bitop2_b32 v34, 7, v4 bitop3:0x40
; %bb.1207:                             ;   in Loop: Header=BB368_1062 Depth=1
	s_or_b32 exec_lo, exec_lo, s18
	v_lshlrev_b32_e32 v4, 16, v18
	s_delay_alu instid0(VALU_DEP_2) | instskip(NEXT) | instid1(VALU_DEP_3)
	v_lshlrev_b32_e32 v5, 20, v34
	v_lshl_add_u32 v3, v3, 23, 0x3c000000
	s_delay_alu instid0(VALU_DEP_3) | instskip(NEXT) | instid1(VALU_DEP_1)
	v_and_b32_e32 v4, 0x80000000, v4
	v_or3_b32 v3, v5, v4, v3
.LBB368_1208:                           ;   in Loop: Header=BB368_1062 Depth=1
	s_or_b32 exec_lo, exec_lo, s17
.LBB368_1209:                           ;   in Loop: Header=BB368_1062 Depth=1
	s_delay_alu instid0(SALU_CYCLE_1)
	s_or_b32 exec_lo, exec_lo, s16
.LBB368_1210:                           ;   in Loop: Header=BB368_1062 Depth=1
	s_delay_alu instid0(SALU_CYCLE_1) | instskip(SKIP_3) | instid1(VALU_DEP_2)
	s_or_b32 exec_lo, exec_lo, s15
	v_dual_mov_b32 v5, 0 :: v_dual_lshrrev_b32 v6, 16, v18
	v_mov_b32_e32 v4, 0
	s_mov_b32 s15, exec_lo
	v_and_b32_e32 v7, 0xff, v6
	s_delay_alu instid0(VALU_DEP_1)
	v_cmpx_ne_u16_e32 0, v7
	s_cbranch_execz .LBB368_1218
; %bb.1211:                             ;   in Loop: Header=BB368_1062 Depth=1
	v_bfrev_b32_e32 v4, 1
	s_mov_b32 s16, exec_lo
	v_cmpx_ne_u16_e32 0x80, v7
	s_cbranch_execz .LBB368_1217
; %bb.1212:                             ;   in Loop: Header=BB368_1062 Depth=1
	v_bfe_u32 v7, v18, 16, 7
	v_mov_b32_e32 v4, 0x7f800001
	s_mov_b32 s17, exec_lo
	s_delay_alu instid0(VALU_DEP_2)
	v_cmpx_ne_u32_e32 0x7f, v7
	s_cbranch_execz .LBB368_1216
; %bb.1213:                             ;   in Loop: Header=BB368_1062 Depth=1
	v_dual_lshrrev_b32 v4, 3, v7 :: v_dual_bitop2_b32 v22, 7, v6 bitop3:0x40
	s_mov_b32 s18, exec_lo
	s_delay_alu instid0(VALU_DEP_1)
	v_mov_b64_e32 v[34:35], v[22:23]
	v_cmpx_gt_u32_e32 8, v7
; %bb.1214:                             ;   in Loop: Header=BB368_1062 Depth=1
	v_clz_i32_u32_e32 v4, v22
	s_delay_alu instid0(VALU_DEP_1) | instskip(NEXT) | instid1(VALU_DEP_1)
	v_min_u32_e32 v4, 32, v4
	v_subrev_nc_u32_e32 v7, 28, v4
	v_sub_nc_u32_e32 v4, 29, v4
	s_delay_alu instid0(VALU_DEP_2) | instskip(NEXT) | instid1(VALU_DEP_1)
	v_lshlrev_b64_e32 v[8:9], v7, v[22:23]
	v_and_b32_e32 v34, 7, v8
; %bb.1215:                             ;   in Loop: Header=BB368_1062 Depth=1
	s_or_b32 exec_lo, exec_lo, s18
	v_lshlrev_b32_e32 v6, 24, v6
	s_delay_alu instid0(VALU_DEP_2) | instskip(SKIP_1) | instid1(VALU_DEP_3)
	v_lshlrev_b32_e32 v7, 20, v34
	v_lshl_add_u32 v4, v4, 23, 0x3c000000
	v_and_b32_e32 v6, 0x80000000, v6
	s_delay_alu instid0(VALU_DEP_1)
	v_or3_b32 v4, v7, v6, v4
.LBB368_1216:                           ;   in Loop: Header=BB368_1062 Depth=1
	s_or_b32 exec_lo, exec_lo, s17
.LBB368_1217:                           ;   in Loop: Header=BB368_1062 Depth=1
	s_delay_alu instid0(SALU_CYCLE_1)
	s_or_b32 exec_lo, exec_lo, s16
.LBB368_1218:                           ;   in Loop: Header=BB368_1062 Depth=1
	s_delay_alu instid0(SALU_CYCLE_1) | instskip(NEXT) | instid1(SALU_CYCLE_1)
	s_or_b32 exec_lo, exec_lo, s15
	s_mov_b32 s15, exec_lo
	v_cmpx_lt_u32_e32 0xffffff, v18
	s_cbranch_execz .LBB368_1226
; %bb.1219:                             ;   in Loop: Header=BB368_1062 Depth=1
	v_lshrrev_b32_e32 v6, 24, v18
	v_bfrev_b32_e32 v5, 1
	s_mov_b32 s16, exec_lo
	s_delay_alu instid0(VALU_DEP_2)
	v_cmpx_ne_u32_e32 0x80, v6
	s_cbranch_execz .LBB368_1225
; %bb.1220:                             ;   in Loop: Header=BB368_1062 Depth=1
	v_bfe_u32 v7, v18, 24, 7
	v_mov_b32_e32 v5, 0x7f800001
	s_mov_b32 s17, exec_lo
	s_delay_alu instid0(VALU_DEP_2)
	v_cmpx_ne_u32_e32 0x7f, v7
	s_cbranch_execz .LBB368_1224
; %bb.1221:                             ;   in Loop: Header=BB368_1062 Depth=1
	v_dual_lshrrev_b32 v5, 3, v7 :: v_dual_bitop2_b32 v22, 7, v6 bitop3:0x40
	s_mov_b32 s18, exec_lo
	s_delay_alu instid0(VALU_DEP_1)
	v_mov_b64_e32 v[34:35], v[22:23]
	v_cmpx_gt_u32_e32 8, v7
; %bb.1222:                             ;   in Loop: Header=BB368_1062 Depth=1
	v_clz_i32_u32_e32 v5, v22
	s_delay_alu instid0(VALU_DEP_1) | instskip(NEXT) | instid1(VALU_DEP_1)
	v_min_u32_e32 v5, 32, v5
	v_subrev_nc_u32_e32 v7, 28, v5
	s_delay_alu instid0(VALU_DEP_1) | instskip(NEXT) | instid1(VALU_DEP_1)
	v_lshlrev_b64_e32 v[8:9], v7, v[22:23]
	v_dual_sub_nc_u32 v5, 29, v5 :: v_dual_bitop2_b32 v34, 7, v8 bitop3:0x40
; %bb.1223:                             ;   in Loop: Header=BB368_1062 Depth=1
	s_or_b32 exec_lo, exec_lo, s18
	v_lshlrev_b32_e32 v6, 24, v6
	s_delay_alu instid0(VALU_DEP_2) | instskip(NEXT) | instid1(VALU_DEP_3)
	v_lshlrev_b32_e32 v7, 20, v34
	v_lshl_add_u32 v5, v5, 23, 0x3c000000
	s_delay_alu instid0(VALU_DEP_3) | instskip(NEXT) | instid1(VALU_DEP_1)
	v_and_b32_e32 v6, 0x80000000, v6
	v_or3_b32 v5, v7, v6, v5
.LBB368_1224:                           ;   in Loop: Header=BB368_1062 Depth=1
	s_or_b32 exec_lo, exec_lo, s17
.LBB368_1225:                           ;   in Loop: Header=BB368_1062 Depth=1
	s_delay_alu instid0(SALU_CYCLE_1)
	s_or_b32 exec_lo, exec_lo, s16
.LBB368_1226:                           ;   in Loop: Header=BB368_1062 Depth=1
	s_delay_alu instid0(SALU_CYCLE_1) | instskip(SKIP_4) | instid1(VALU_DEP_3)
	s_or_b32 exec_lo, exec_lo, s15
	v_and_b32_e32 v8, 0xff, v19
	v_dual_mov_b32 v22, v19 :: v_dual_mov_b32 v7, 0
	v_mov_b32_e32 v6, 0
	s_mov_b32 s15, exec_lo
	v_cmpx_ne_u16_e32 0, v8
	s_cbranch_execz .LBB368_1234
; %bb.1227:                             ;   in Loop: Header=BB368_1062 Depth=1
	v_bfrev_b32_e32 v6, 1
	s_mov_b32 s16, exec_lo
	v_cmpx_ne_u16_e32 0x80, v8
	s_cbranch_execz .LBB368_1233
; %bb.1228:                             ;   in Loop: Header=BB368_1062 Depth=1
	v_and_b32_e32 v8, 0x7f, v19
	v_mov_b32_e32 v6, 0x7f800001
	s_mov_b32 s17, exec_lo
	s_delay_alu instid0(VALU_DEP_2)
	v_cmpx_ne_u32_e32 0x7f, v8
	s_cbranch_execz .LBB368_1232
; %bb.1229:                             ;   in Loop: Header=BB368_1062 Depth=1
	v_mov_b64_e32 v[34:35], v[22:23]
	v_lshrrev_b32_e32 v6, 3, v8
	s_mov_b32 s18, exec_lo
	v_cmpx_gt_u32_e32 8, v8
; %bb.1230:                             ;   in Loop: Header=BB368_1062 Depth=1
	v_and_b32_e32 v6, 7, v19
	s_delay_alu instid0(VALU_DEP_1) | instskip(NEXT) | instid1(VALU_DEP_1)
	v_clz_i32_u32_e32 v6, v6
	v_min_u32_e32 v6, 32, v6
	s_delay_alu instid0(VALU_DEP_1) | instskip(SKIP_1) | instid1(VALU_DEP_2)
	v_subrev_nc_u32_e32 v8, 28, v6
	v_sub_nc_u32_e32 v6, 29, v6
	v_lshlrev_b64_e32 v[34:35], v8, v[22:23]
; %bb.1231:                             ;   in Loop: Header=BB368_1062 Depth=1
	s_or_b32 exec_lo, exec_lo, s18
	s_delay_alu instid0(VALU_DEP_1) | instskip(SKIP_2) | instid1(VALU_DEP_3)
	v_lshlrev_b32_e32 v8, 20, v34
	v_lshlrev_b32_e32 v9, 24, v22
	v_lshl_add_u32 v6, v6, 23, 0x3c000000
	v_and_b32_e32 v8, 0x700000, v8
	s_delay_alu instid0(VALU_DEP_3) | instskip(NEXT) | instid1(VALU_DEP_1)
	v_and_b32_e32 v9, 0x80000000, v9
	v_or3_b32 v6, v8, v9, v6
.LBB368_1232:                           ;   in Loop: Header=BB368_1062 Depth=1
	s_or_b32 exec_lo, exec_lo, s17
.LBB368_1233:                           ;   in Loop: Header=BB368_1062 Depth=1
	s_delay_alu instid0(SALU_CYCLE_1)
	s_or_b32 exec_lo, exec_lo, s16
.LBB368_1234:                           ;   in Loop: Header=BB368_1062 Depth=1
	s_delay_alu instid0(SALU_CYCLE_1) | instskip(SKIP_2) | instid1(VALU_DEP_1)
	s_or_b32 exec_lo, exec_lo, s15
	v_lshrrev_b16 v8, 8, v22
	s_mov_b32 s15, exec_lo
	v_cmpx_ne_u16_e32 0, v8
	s_cbranch_execz .LBB368_1242
; %bb.1235:                             ;   in Loop: Header=BB368_1062 Depth=1
	v_bfrev_b32_e32 v7, 1
	s_mov_b32 s16, exec_lo
	v_cmpx_ne_u16_e32 0x80, v8
	s_cbranch_execz .LBB368_1241
; %bb.1236:                             ;   in Loop: Header=BB368_1062 Depth=1
	v_and_b32_e32 v9, 0xffff, v8
	v_mov_b32_e32 v7, 0x7f800001
	s_mov_b32 s17, exec_lo
	s_delay_alu instid0(VALU_DEP_2) | instskip(NEXT) | instid1(VALU_DEP_1)
	v_and_b32_e32 v8, 0x7f, v9
	v_cmpx_ne_u32_e32 0x7f, v8
	s_cbranch_execz .LBB368_1240
; %bb.1237:                             ;   in Loop: Header=BB368_1062 Depth=1
	v_dual_mov_b32 v35, v23 :: v_dual_bitop2_b32 v34, 7, v9 bitop3:0x40
	v_lshrrev_b32_e32 v7, 3, v8
	s_mov_b32 s18, exec_lo
	v_cmpx_gt_u32_e32 8, v8
; %bb.1238:                             ;   in Loop: Header=BB368_1062 Depth=1
	s_delay_alu instid0(VALU_DEP_3) | instskip(NEXT) | instid1(VALU_DEP_1)
	v_clz_i32_u32_e32 v7, v34
	v_min_u32_e32 v7, 32, v7
	s_delay_alu instid0(VALU_DEP_1) | instskip(NEXT) | instid1(VALU_DEP_1)
	v_subrev_nc_u32_e32 v8, 28, v7
	v_lshlrev_b64_e32 v[8:9], v8, v[34:35]
	s_delay_alu instid0(VALU_DEP_1)
	v_dual_sub_nc_u32 v7, 29, v7 :: v_dual_bitop2_b32 v34, 7, v8 bitop3:0x40
; %bb.1239:                             ;   in Loop: Header=BB368_1062 Depth=1
	s_or_b32 exec_lo, exec_lo, s18
	v_lshlrev_b32_e32 v8, 16, v22
	s_delay_alu instid0(VALU_DEP_2) | instskip(NEXT) | instid1(VALU_DEP_3)
	v_lshlrev_b32_e32 v9, 20, v34
	v_lshl_add_u32 v7, v7, 23, 0x3c000000
	s_delay_alu instid0(VALU_DEP_3) | instskip(NEXT) | instid1(VALU_DEP_1)
	v_and_b32_e32 v8, 0x80000000, v8
	v_or3_b32 v7, v9, v8, v7
.LBB368_1240:                           ;   in Loop: Header=BB368_1062 Depth=1
	s_or_b32 exec_lo, exec_lo, s17
.LBB368_1241:                           ;   in Loop: Header=BB368_1062 Depth=1
	s_delay_alu instid0(SALU_CYCLE_1)
	s_or_b32 exec_lo, exec_lo, s16
.LBB368_1242:                           ;   in Loop: Header=BB368_1062 Depth=1
	s_delay_alu instid0(SALU_CYCLE_1) | instskip(SKIP_3) | instid1(VALU_DEP_2)
	s_or_b32 exec_lo, exec_lo, s15
	v_dual_lshrrev_b32 v32, 16, v19 :: v_dual_mov_b32 v8, 0
	v_mov_b32_e32 v9, 0
	s_mov_b32 s15, exec_lo
	v_and_b32_e32 v22, 0xff, v32
	s_delay_alu instid0(VALU_DEP_1)
	v_cmpx_ne_u16_e32 0, v22
	s_cbranch_execz .LBB368_1250
; %bb.1243:                             ;   in Loop: Header=BB368_1062 Depth=1
	v_bfrev_b32_e32 v9, 1
	s_mov_b32 s16, exec_lo
	v_cmpx_ne_u16_e32 0x80, v22
	s_cbranch_execz .LBB368_1249
; %bb.1244:                             ;   in Loop: Header=BB368_1062 Depth=1
	v_bfe_u32 v33, v19, 16, 7
	v_mov_b32_e32 v9, 0x7f800001
	s_mov_b32 s17, exec_lo
	s_delay_alu instid0(VALU_DEP_2)
	v_cmpx_ne_u32_e32 0x7f, v33
	s_cbranch_execz .LBB368_1248
; %bb.1245:                             ;   in Loop: Header=BB368_1062 Depth=1
	v_dual_lshrrev_b32 v9, 3, v33 :: v_dual_bitop2_b32 v22, 7, v32 bitop3:0x40
	s_mov_b32 s18, exec_lo
	s_delay_alu instid0(VALU_DEP_1)
	v_mov_b64_e32 v[34:35], v[22:23]
	v_cmpx_gt_u32_e32 8, v33
; %bb.1246:                             ;   in Loop: Header=BB368_1062 Depth=1
	v_clz_i32_u32_e32 v9, v22
	s_delay_alu instid0(VALU_DEP_1) | instskip(NEXT) | instid1(VALU_DEP_1)
	v_min_u32_e32 v9, 32, v9
	v_subrev_nc_u32_e32 v33, 28, v9
	s_delay_alu instid0(VALU_DEP_1) | instskip(NEXT) | instid1(VALU_DEP_1)
	v_lshlrev_b64_e32 v[34:35], v33, v[22:23]
	v_dual_sub_nc_u32 v9, 29, v9 :: v_dual_bitop2_b32 v34, 7, v34 bitop3:0x40
; %bb.1247:                             ;   in Loop: Header=BB368_1062 Depth=1
	s_or_b32 exec_lo, exec_lo, s18
	s_delay_alu instid0(VALU_DEP_1) | instskip(NEXT) | instid1(VALU_DEP_2)
	v_dual_lshlrev_b32 v22, 24, v32 :: v_dual_lshlrev_b32 v32, 20, v34
	v_lshl_add_u32 v9, v9, 23, 0x3c000000
	s_delay_alu instid0(VALU_DEP_2) | instskip(NEXT) | instid1(VALU_DEP_1)
	v_and_b32_e32 v22, 0x80000000, v22
	v_or3_b32 v9, v32, v22, v9
.LBB368_1248:                           ;   in Loop: Header=BB368_1062 Depth=1
	s_or_b32 exec_lo, exec_lo, s17
.LBB368_1249:                           ;   in Loop: Header=BB368_1062 Depth=1
	s_delay_alu instid0(SALU_CYCLE_1)
	s_or_b32 exec_lo, exec_lo, s16
.LBB368_1250:                           ;   in Loop: Header=BB368_1062 Depth=1
	s_delay_alu instid0(SALU_CYCLE_1) | instskip(NEXT) | instid1(SALU_CYCLE_1)
	s_or_b32 exec_lo, exec_lo, s15
	s_mov_b32 s15, exec_lo
	v_cmpx_lt_u64_e64 s[2:3], v[18:19]
	s_cbranch_execz .LBB368_1258
; %bb.1251:                             ;   in Loop: Header=BB368_1062 Depth=1
	v_lshrrev_b32_e32 v32, 24, v19
	v_bfrev_b32_e32 v8, 1
	s_mov_b32 s16, exec_lo
	s_delay_alu instid0(VALU_DEP_2)
	v_cmpx_ne_u32_e32 0x80, v32
	s_cbranch_execz .LBB368_1257
; %bb.1252:                             ;   in Loop: Header=BB368_1062 Depth=1
	v_bfe_u32 v18, v19, 24, 7
	v_mov_b32_e32 v8, 0x7f800001
	s_mov_b32 s17, exec_lo
	s_delay_alu instid0(VALU_DEP_2)
	v_cmpx_ne_u32_e32 0x7f, v18
	s_cbranch_execz .LBB368_1256
; %bb.1253:                             ;   in Loop: Header=BB368_1062 Depth=1
	v_dual_lshrrev_b32 v8, 3, v18 :: v_dual_bitop2_b32 v22, 7, v32 bitop3:0x40
	v_cmp_gt_u32_e64 s0, 8, v18
	s_delay_alu instid0(VALU_DEP_2)
	v_mov_b64_e32 v[18:19], v[22:23]
	s_and_saveexec_b32 s18, s0
; %bb.1254:                             ;   in Loop: Header=BB368_1062 Depth=1
	v_clz_i32_u32_e32 v8, v22
	s_delay_alu instid0(VALU_DEP_1) | instskip(NEXT) | instid1(VALU_DEP_1)
	v_min_u32_e32 v8, 32, v8
	v_subrev_nc_u32_e32 v18, 28, v8
	s_delay_alu instid0(VALU_DEP_1) | instskip(NEXT) | instid1(VALU_DEP_1)
	v_lshlrev_b64_e32 v[18:19], v18, v[22:23]
	v_dual_sub_nc_u32 v8, 29, v8 :: v_dual_bitop2_b32 v18, 7, v18 bitop3:0x40
; %bb.1255:                             ;   in Loop: Header=BB368_1062 Depth=1
	s_or_b32 exec_lo, exec_lo, s18
	s_delay_alu instid0(VALU_DEP_1) | instskip(NEXT) | instid1(VALU_DEP_2)
	v_dual_lshlrev_b32 v19, 24, v32 :: v_dual_lshlrev_b32 v18, 20, v18
	v_lshl_add_u32 v8, v8, 23, 0x3c000000
	s_delay_alu instid0(VALU_DEP_2) | instskip(NEXT) | instid1(VALU_DEP_1)
	v_and_b32_e32 v19, 0x80000000, v19
	v_or3_b32 v8, v18, v19, v8
.LBB368_1256:                           ;   in Loop: Header=BB368_1062 Depth=1
	s_or_b32 exec_lo, exec_lo, s17
.LBB368_1257:                           ;   in Loop: Header=BB368_1062 Depth=1
	s_delay_alu instid0(SALU_CYCLE_1)
	s_or_b32 exec_lo, exec_lo, s16
.LBB368_1258:                           ;   in Loop: Header=BB368_1062 Depth=1
	s_delay_alu instid0(SALU_CYCLE_1)
	s_or_b32 exec_lo, exec_lo, s15
	v_fma_mixlo_bf16 v2, v49, v2, 0
	v_fma_mixlo_bf16 v7, v49, v7, 0
	;; [unrolled: 1-line block ×5, first 2 shown]
	scratch_store_b32 off, v2, s32 offset:328 ; 4-byte Folded Spill
	s_wait_xcnt 0x0
	v_fma_mixlo_bf16 v2, v49, v9, 0
	s_clause 0x1
	scratch_store_b32 off, v7, s32 offset:272
	scratch_store_b32 off, v6, s32 offset:280
	v_fma_mixlo_bf16 v3, v49, v3, 0
	s_clause 0x1
	scratch_store_b32 off, v5, s32 offset:304
	scratch_store_b32 off, v2, s32 offset:288
	s_wait_xcnt 0x0
	v_fma_mixlo_bf16 v2, v49, v8, 0
	s_clause 0x2
	scratch_store_b32 off, v4, s32 offset:312
	scratch_store_b32 off, v3, s32 offset:320
	;; [unrolled: 1-line block ×3, first 2 shown]
	s_wait_xcnt 0x0
	s_and_saveexec_b32 s15, vcc_lo
	s_cbranch_execz .LBB368_1260
; %bb.1259:                             ;   in Loop: Header=BB368_1062 Depth=1
	scratch_load_b32 v2, off, s32 offset:328 ; 4-byte Folded Reload
	v_cmp_lt_i32_e64 s0, v102, v36
	s_wait_loadcnt 0x0
	s_delay_alu instid0(VALU_DEP_1)
	v_cndmask_b32_e64 v2, 0, v2, s0
	v_cmp_lt_i32_e64 s0, v114, v36
	s_clause 0x1
	scratch_store_b32 off, v2, s32 offset:328
	scratch_load_b32 v2, off, s32 offset:320
	s_wait_loadcnt 0x0
	v_cndmask_b32_e64 v2, 0, v2, s0
	v_cmp_lt_i32_e64 s0, v113, v36
	s_clause 0x1
	scratch_store_b32 off, v2, s32 offset:320
	scratch_load_b32 v2, off, s32 offset:312
	s_wait_loadcnt 0x0
	;; [unrolled: 6-line block ×7, first 2 shown]
	v_cndmask_b32_e64 v2, 0, v2, s0
	scratch_store_b32 off, v2, s32 offset:296 ; 4-byte Folded Spill
.LBB368_1260:                           ;   in Loop: Header=BB368_1062 Depth=1
	s_wait_xcnt 0x0
	s_or_b32 exec_lo, exec_lo, s15
	flat_load_b64 v[18:19], v[0:1] offset:768
	v_dual_mov_b32 v3, 0 :: v_dual_mov_b32 v2, 0
	s_mov_b32 s15, exec_lo
	s_wait_loadcnt_dscnt 0x0
	v_and_b32_e32 v4, 0xff, v18
	s_wait_xcnt 0x0
	s_delay_alu instid0(VALU_DEP_1)
	v_cmpx_ne_u16_e32 0, v4
	s_cbranch_execz .LBB368_1268
; %bb.1261:                             ;   in Loop: Header=BB368_1062 Depth=1
	v_bfrev_b32_e32 v2, 1
	s_mov_b32 s16, exec_lo
	v_cmpx_ne_u16_e32 0x80, v4
	s_cbranch_execz .LBB368_1267
; %bb.1262:                             ;   in Loop: Header=BB368_1062 Depth=1
	v_and_b32_e32 v4, 0x7f, v18
	v_mov_b32_e32 v2, 0x7f800001
	s_mov_b32 s17, exec_lo
	s_delay_alu instid0(VALU_DEP_2)
	v_cmpx_ne_u32_e32 0x7f, v4
	s_cbranch_execz .LBB368_1266
; %bb.1263:                             ;   in Loop: Header=BB368_1062 Depth=1
	v_mov_b64_e32 v[34:35], v[18:19]
	v_lshrrev_b32_e32 v2, 3, v4
	s_mov_b32 s18, exec_lo
	v_cmpx_gt_u32_e32 8, v4
; %bb.1264:                             ;   in Loop: Header=BB368_1062 Depth=1
	v_and_b32_e32 v2, 7, v18
	s_delay_alu instid0(VALU_DEP_1) | instskip(NEXT) | instid1(VALU_DEP_1)
	v_clz_i32_u32_e32 v2, v2
	v_min_u32_e32 v2, 32, v2
	s_delay_alu instid0(VALU_DEP_1) | instskip(SKIP_1) | instid1(VALU_DEP_2)
	v_subrev_nc_u32_e32 v4, 28, v2
	v_sub_nc_u32_e32 v2, 29, v2
	v_lshlrev_b64_e32 v[34:35], v4, v[18:19]
; %bb.1265:                             ;   in Loop: Header=BB368_1062 Depth=1
	s_or_b32 exec_lo, exec_lo, s18
	s_delay_alu instid0(VALU_DEP_1) | instskip(SKIP_2) | instid1(VALU_DEP_3)
	v_lshlrev_b32_e32 v4, 20, v34
	v_lshlrev_b32_e32 v5, 24, v18
	v_lshl_add_u32 v2, v2, 23, 0x3c000000
	v_and_b32_e32 v4, 0x700000, v4
	s_delay_alu instid0(VALU_DEP_3) | instskip(NEXT) | instid1(VALU_DEP_1)
	v_and_b32_e32 v5, 0x80000000, v5
	v_or3_b32 v2, v4, v5, v2
.LBB368_1266:                           ;   in Loop: Header=BB368_1062 Depth=1
	s_or_b32 exec_lo, exec_lo, s17
.LBB368_1267:                           ;   in Loop: Header=BB368_1062 Depth=1
	s_delay_alu instid0(SALU_CYCLE_1)
	s_or_b32 exec_lo, exec_lo, s16
.LBB368_1268:                           ;   in Loop: Header=BB368_1062 Depth=1
	s_delay_alu instid0(SALU_CYCLE_1) | instskip(SKIP_2) | instid1(VALU_DEP_1)
	s_or_b32 exec_lo, exec_lo, s15
	v_lshrrev_b16 v4, 8, v18
	s_mov_b32 s15, exec_lo
	v_cmpx_ne_u16_e32 0, v4
	s_cbranch_execz .LBB368_1276
; %bb.1269:                             ;   in Loop: Header=BB368_1062 Depth=1
	v_bfrev_b32_e32 v3, 1
	s_mov_b32 s16, exec_lo
	v_cmpx_ne_u16_e32 0x80, v4
	s_cbranch_execz .LBB368_1275
; %bb.1270:                             ;   in Loop: Header=BB368_1062 Depth=1
	v_and_b32_e32 v5, 0xffff, v4
	v_mov_b32_e32 v3, 0x7f800001
	s_mov_b32 s17, exec_lo
	s_delay_alu instid0(VALU_DEP_2) | instskip(NEXT) | instid1(VALU_DEP_1)
	v_and_b32_e32 v4, 0x7f, v5
	v_cmpx_ne_u32_e32 0x7f, v4
	s_cbranch_execz .LBB368_1274
; %bb.1271:                             ;   in Loop: Header=BB368_1062 Depth=1
	v_dual_lshrrev_b32 v3, 3, v4 :: v_dual_bitop2_b32 v22, 7, v5 bitop3:0x40
	s_mov_b32 s18, exec_lo
	s_delay_alu instid0(VALU_DEP_1)
	v_mov_b64_e32 v[34:35], v[22:23]
	v_cmpx_gt_u32_e32 8, v4
; %bb.1272:                             ;   in Loop: Header=BB368_1062 Depth=1
	v_clz_i32_u32_e32 v3, v22
	s_delay_alu instid0(VALU_DEP_1) | instskip(NEXT) | instid1(VALU_DEP_1)
	v_min_u32_e32 v3, 32, v3
	v_subrev_nc_u32_e32 v4, 28, v3
	s_delay_alu instid0(VALU_DEP_1) | instskip(NEXT) | instid1(VALU_DEP_1)
	v_lshlrev_b64_e32 v[4:5], v4, v[22:23]
	v_dual_sub_nc_u32 v3, 29, v3 :: v_dual_bitop2_b32 v34, 7, v4 bitop3:0x40
; %bb.1273:                             ;   in Loop: Header=BB368_1062 Depth=1
	s_or_b32 exec_lo, exec_lo, s18
	v_lshlrev_b32_e32 v4, 16, v18
	s_delay_alu instid0(VALU_DEP_2) | instskip(NEXT) | instid1(VALU_DEP_3)
	v_lshlrev_b32_e32 v5, 20, v34
	v_lshl_add_u32 v3, v3, 23, 0x3c000000
	s_delay_alu instid0(VALU_DEP_3) | instskip(NEXT) | instid1(VALU_DEP_1)
	v_and_b32_e32 v4, 0x80000000, v4
	v_or3_b32 v3, v5, v4, v3
.LBB368_1274:                           ;   in Loop: Header=BB368_1062 Depth=1
	s_or_b32 exec_lo, exec_lo, s17
.LBB368_1275:                           ;   in Loop: Header=BB368_1062 Depth=1
	s_delay_alu instid0(SALU_CYCLE_1)
	s_or_b32 exec_lo, exec_lo, s16
.LBB368_1276:                           ;   in Loop: Header=BB368_1062 Depth=1
	s_delay_alu instid0(SALU_CYCLE_1) | instskip(SKIP_3) | instid1(VALU_DEP_2)
	s_or_b32 exec_lo, exec_lo, s15
	v_dual_mov_b32 v5, 0 :: v_dual_lshrrev_b32 v6, 16, v18
	v_mov_b32_e32 v4, 0
	s_mov_b32 s15, exec_lo
	v_and_b32_e32 v7, 0xff, v6
	s_delay_alu instid0(VALU_DEP_1)
	v_cmpx_ne_u16_e32 0, v7
	s_cbranch_execz .LBB368_1284
; %bb.1277:                             ;   in Loop: Header=BB368_1062 Depth=1
	v_bfrev_b32_e32 v4, 1
	s_mov_b32 s16, exec_lo
	v_cmpx_ne_u16_e32 0x80, v7
	s_cbranch_execz .LBB368_1283
; %bb.1278:                             ;   in Loop: Header=BB368_1062 Depth=1
	v_bfe_u32 v7, v18, 16, 7
	v_mov_b32_e32 v4, 0x7f800001
	s_mov_b32 s17, exec_lo
	s_delay_alu instid0(VALU_DEP_2)
	v_cmpx_ne_u32_e32 0x7f, v7
	s_cbranch_execz .LBB368_1282
; %bb.1279:                             ;   in Loop: Header=BB368_1062 Depth=1
	v_dual_lshrrev_b32 v4, 3, v7 :: v_dual_bitop2_b32 v22, 7, v6 bitop3:0x40
	s_mov_b32 s18, exec_lo
	s_delay_alu instid0(VALU_DEP_1)
	v_mov_b64_e32 v[34:35], v[22:23]
	v_cmpx_gt_u32_e32 8, v7
; %bb.1280:                             ;   in Loop: Header=BB368_1062 Depth=1
	v_clz_i32_u32_e32 v4, v22
	s_delay_alu instid0(VALU_DEP_1) | instskip(NEXT) | instid1(VALU_DEP_1)
	v_min_u32_e32 v4, 32, v4
	v_subrev_nc_u32_e32 v7, 28, v4
	v_sub_nc_u32_e32 v4, 29, v4
	s_delay_alu instid0(VALU_DEP_2) | instskip(NEXT) | instid1(VALU_DEP_1)
	v_lshlrev_b64_e32 v[8:9], v7, v[22:23]
	v_and_b32_e32 v34, 7, v8
; %bb.1281:                             ;   in Loop: Header=BB368_1062 Depth=1
	s_or_b32 exec_lo, exec_lo, s18
	v_lshlrev_b32_e32 v6, 24, v6
	s_delay_alu instid0(VALU_DEP_2) | instskip(SKIP_1) | instid1(VALU_DEP_3)
	v_lshlrev_b32_e32 v7, 20, v34
	v_lshl_add_u32 v4, v4, 23, 0x3c000000
	v_and_b32_e32 v6, 0x80000000, v6
	s_delay_alu instid0(VALU_DEP_1)
	v_or3_b32 v4, v7, v6, v4
.LBB368_1282:                           ;   in Loop: Header=BB368_1062 Depth=1
	s_or_b32 exec_lo, exec_lo, s17
.LBB368_1283:                           ;   in Loop: Header=BB368_1062 Depth=1
	s_delay_alu instid0(SALU_CYCLE_1)
	s_or_b32 exec_lo, exec_lo, s16
.LBB368_1284:                           ;   in Loop: Header=BB368_1062 Depth=1
	s_delay_alu instid0(SALU_CYCLE_1) | instskip(NEXT) | instid1(SALU_CYCLE_1)
	s_or_b32 exec_lo, exec_lo, s15
	s_mov_b32 s15, exec_lo
	v_cmpx_lt_u32_e32 0xffffff, v18
	s_cbranch_execz .LBB368_1292
; %bb.1285:                             ;   in Loop: Header=BB368_1062 Depth=1
	v_lshrrev_b32_e32 v6, 24, v18
	v_bfrev_b32_e32 v5, 1
	s_mov_b32 s16, exec_lo
	s_delay_alu instid0(VALU_DEP_2)
	v_cmpx_ne_u32_e32 0x80, v6
	s_cbranch_execz .LBB368_1291
; %bb.1286:                             ;   in Loop: Header=BB368_1062 Depth=1
	v_bfe_u32 v7, v18, 24, 7
	v_mov_b32_e32 v5, 0x7f800001
	s_mov_b32 s17, exec_lo
	s_delay_alu instid0(VALU_DEP_2)
	v_cmpx_ne_u32_e32 0x7f, v7
	s_cbranch_execz .LBB368_1290
; %bb.1287:                             ;   in Loop: Header=BB368_1062 Depth=1
	v_dual_lshrrev_b32 v5, 3, v7 :: v_dual_bitop2_b32 v22, 7, v6 bitop3:0x40
	s_mov_b32 s18, exec_lo
	s_delay_alu instid0(VALU_DEP_1)
	v_mov_b64_e32 v[34:35], v[22:23]
	v_cmpx_gt_u32_e32 8, v7
; %bb.1288:                             ;   in Loop: Header=BB368_1062 Depth=1
	v_clz_i32_u32_e32 v5, v22
	s_delay_alu instid0(VALU_DEP_1) | instskip(NEXT) | instid1(VALU_DEP_1)
	v_min_u32_e32 v5, 32, v5
	v_subrev_nc_u32_e32 v7, 28, v5
	s_delay_alu instid0(VALU_DEP_1) | instskip(NEXT) | instid1(VALU_DEP_1)
	v_lshlrev_b64_e32 v[8:9], v7, v[22:23]
	v_dual_sub_nc_u32 v5, 29, v5 :: v_dual_bitop2_b32 v34, 7, v8 bitop3:0x40
; %bb.1289:                             ;   in Loop: Header=BB368_1062 Depth=1
	s_or_b32 exec_lo, exec_lo, s18
	v_lshlrev_b32_e32 v6, 24, v6
	s_delay_alu instid0(VALU_DEP_2) | instskip(NEXT) | instid1(VALU_DEP_3)
	v_lshlrev_b32_e32 v7, 20, v34
	v_lshl_add_u32 v5, v5, 23, 0x3c000000
	s_delay_alu instid0(VALU_DEP_3) | instskip(NEXT) | instid1(VALU_DEP_1)
	v_and_b32_e32 v6, 0x80000000, v6
	v_or3_b32 v5, v7, v6, v5
.LBB368_1290:                           ;   in Loop: Header=BB368_1062 Depth=1
	s_or_b32 exec_lo, exec_lo, s17
.LBB368_1291:                           ;   in Loop: Header=BB368_1062 Depth=1
	s_delay_alu instid0(SALU_CYCLE_1)
	s_or_b32 exec_lo, exec_lo, s16
.LBB368_1292:                           ;   in Loop: Header=BB368_1062 Depth=1
	s_delay_alu instid0(SALU_CYCLE_1) | instskip(SKIP_4) | instid1(VALU_DEP_3)
	s_or_b32 exec_lo, exec_lo, s15
	v_and_b32_e32 v8, 0xff, v19
	v_dual_mov_b32 v22, v19 :: v_dual_mov_b32 v7, 0
	v_mov_b32_e32 v6, 0
	s_mov_b32 s15, exec_lo
	v_cmpx_ne_u16_e32 0, v8
	s_cbranch_execz .LBB368_1300
; %bb.1293:                             ;   in Loop: Header=BB368_1062 Depth=1
	v_bfrev_b32_e32 v6, 1
	s_mov_b32 s16, exec_lo
	v_cmpx_ne_u16_e32 0x80, v8
	s_cbranch_execz .LBB368_1299
; %bb.1294:                             ;   in Loop: Header=BB368_1062 Depth=1
	v_and_b32_e32 v8, 0x7f, v19
	v_mov_b32_e32 v6, 0x7f800001
	s_mov_b32 s17, exec_lo
	s_delay_alu instid0(VALU_DEP_2)
	v_cmpx_ne_u32_e32 0x7f, v8
	s_cbranch_execz .LBB368_1298
; %bb.1295:                             ;   in Loop: Header=BB368_1062 Depth=1
	v_mov_b64_e32 v[34:35], v[22:23]
	v_lshrrev_b32_e32 v6, 3, v8
	s_mov_b32 s18, exec_lo
	v_cmpx_gt_u32_e32 8, v8
; %bb.1296:                             ;   in Loop: Header=BB368_1062 Depth=1
	v_and_b32_e32 v6, 7, v19
	s_delay_alu instid0(VALU_DEP_1) | instskip(NEXT) | instid1(VALU_DEP_1)
	v_clz_i32_u32_e32 v6, v6
	v_min_u32_e32 v6, 32, v6
	s_delay_alu instid0(VALU_DEP_1) | instskip(SKIP_1) | instid1(VALU_DEP_2)
	v_subrev_nc_u32_e32 v8, 28, v6
	v_sub_nc_u32_e32 v6, 29, v6
	v_lshlrev_b64_e32 v[34:35], v8, v[22:23]
; %bb.1297:                             ;   in Loop: Header=BB368_1062 Depth=1
	s_or_b32 exec_lo, exec_lo, s18
	s_delay_alu instid0(VALU_DEP_1) | instskip(SKIP_2) | instid1(VALU_DEP_3)
	v_lshlrev_b32_e32 v8, 20, v34
	v_lshlrev_b32_e32 v9, 24, v22
	v_lshl_add_u32 v6, v6, 23, 0x3c000000
	v_and_b32_e32 v8, 0x700000, v8
	s_delay_alu instid0(VALU_DEP_3) | instskip(NEXT) | instid1(VALU_DEP_1)
	v_and_b32_e32 v9, 0x80000000, v9
	v_or3_b32 v6, v8, v9, v6
.LBB368_1298:                           ;   in Loop: Header=BB368_1062 Depth=1
	s_or_b32 exec_lo, exec_lo, s17
.LBB368_1299:                           ;   in Loop: Header=BB368_1062 Depth=1
	s_delay_alu instid0(SALU_CYCLE_1)
	s_or_b32 exec_lo, exec_lo, s16
.LBB368_1300:                           ;   in Loop: Header=BB368_1062 Depth=1
	s_delay_alu instid0(SALU_CYCLE_1) | instskip(SKIP_2) | instid1(VALU_DEP_1)
	s_or_b32 exec_lo, exec_lo, s15
	v_lshrrev_b16 v8, 8, v22
	s_mov_b32 s15, exec_lo
	v_cmpx_ne_u16_e32 0, v8
	s_cbranch_execz .LBB368_1308
; %bb.1301:                             ;   in Loop: Header=BB368_1062 Depth=1
	v_bfrev_b32_e32 v7, 1
	s_mov_b32 s16, exec_lo
	v_cmpx_ne_u16_e32 0x80, v8
	s_cbranch_execz .LBB368_1307
; %bb.1302:                             ;   in Loop: Header=BB368_1062 Depth=1
	v_and_b32_e32 v9, 0xffff, v8
	v_mov_b32_e32 v7, 0x7f800001
	s_mov_b32 s17, exec_lo
	s_delay_alu instid0(VALU_DEP_2) | instskip(NEXT) | instid1(VALU_DEP_1)
	v_and_b32_e32 v8, 0x7f, v9
	v_cmpx_ne_u32_e32 0x7f, v8
	s_cbranch_execz .LBB368_1306
; %bb.1303:                             ;   in Loop: Header=BB368_1062 Depth=1
	v_dual_mov_b32 v35, v23 :: v_dual_bitop2_b32 v34, 7, v9 bitop3:0x40
	v_lshrrev_b32_e32 v7, 3, v8
	s_mov_b32 s18, exec_lo
	v_cmpx_gt_u32_e32 8, v8
; %bb.1304:                             ;   in Loop: Header=BB368_1062 Depth=1
	s_delay_alu instid0(VALU_DEP_3) | instskip(NEXT) | instid1(VALU_DEP_1)
	v_clz_i32_u32_e32 v7, v34
	v_min_u32_e32 v7, 32, v7
	s_delay_alu instid0(VALU_DEP_1) | instskip(NEXT) | instid1(VALU_DEP_1)
	v_subrev_nc_u32_e32 v8, 28, v7
	v_lshlrev_b64_e32 v[8:9], v8, v[34:35]
	s_delay_alu instid0(VALU_DEP_1)
	v_dual_sub_nc_u32 v7, 29, v7 :: v_dual_bitop2_b32 v34, 7, v8 bitop3:0x40
; %bb.1305:                             ;   in Loop: Header=BB368_1062 Depth=1
	s_or_b32 exec_lo, exec_lo, s18
	v_lshlrev_b32_e32 v8, 16, v22
	s_delay_alu instid0(VALU_DEP_2) | instskip(NEXT) | instid1(VALU_DEP_3)
	v_lshlrev_b32_e32 v9, 20, v34
	v_lshl_add_u32 v7, v7, 23, 0x3c000000
	s_delay_alu instid0(VALU_DEP_3) | instskip(NEXT) | instid1(VALU_DEP_1)
	v_and_b32_e32 v8, 0x80000000, v8
	v_or3_b32 v7, v9, v8, v7
.LBB368_1306:                           ;   in Loop: Header=BB368_1062 Depth=1
	s_or_b32 exec_lo, exec_lo, s17
.LBB368_1307:                           ;   in Loop: Header=BB368_1062 Depth=1
	s_delay_alu instid0(SALU_CYCLE_1)
	s_or_b32 exec_lo, exec_lo, s16
.LBB368_1308:                           ;   in Loop: Header=BB368_1062 Depth=1
	s_delay_alu instid0(SALU_CYCLE_1) | instskip(SKIP_3) | instid1(VALU_DEP_2)
	s_or_b32 exec_lo, exec_lo, s15
	v_dual_lshrrev_b32 v32, 16, v19 :: v_dual_mov_b32 v8, 0
	v_mov_b32_e32 v9, 0
	s_mov_b32 s15, exec_lo
	v_and_b32_e32 v22, 0xff, v32
	s_delay_alu instid0(VALU_DEP_1)
	v_cmpx_ne_u16_e32 0, v22
	s_cbranch_execz .LBB368_1316
; %bb.1309:                             ;   in Loop: Header=BB368_1062 Depth=1
	v_bfrev_b32_e32 v9, 1
	s_mov_b32 s16, exec_lo
	v_cmpx_ne_u16_e32 0x80, v22
	s_cbranch_execz .LBB368_1315
; %bb.1310:                             ;   in Loop: Header=BB368_1062 Depth=1
	v_bfe_u32 v33, v19, 16, 7
	v_mov_b32_e32 v9, 0x7f800001
	s_mov_b32 s17, exec_lo
	s_delay_alu instid0(VALU_DEP_2)
	v_cmpx_ne_u32_e32 0x7f, v33
	s_cbranch_execz .LBB368_1314
; %bb.1311:                             ;   in Loop: Header=BB368_1062 Depth=1
	v_dual_lshrrev_b32 v9, 3, v33 :: v_dual_bitop2_b32 v22, 7, v32 bitop3:0x40
	s_mov_b32 s18, exec_lo
	s_delay_alu instid0(VALU_DEP_1)
	v_mov_b64_e32 v[34:35], v[22:23]
	v_cmpx_gt_u32_e32 8, v33
; %bb.1312:                             ;   in Loop: Header=BB368_1062 Depth=1
	v_clz_i32_u32_e32 v9, v22
	s_delay_alu instid0(VALU_DEP_1) | instskip(NEXT) | instid1(VALU_DEP_1)
	v_min_u32_e32 v9, 32, v9
	v_subrev_nc_u32_e32 v33, 28, v9
	s_delay_alu instid0(VALU_DEP_1) | instskip(NEXT) | instid1(VALU_DEP_1)
	v_lshlrev_b64_e32 v[34:35], v33, v[22:23]
	v_dual_sub_nc_u32 v9, 29, v9 :: v_dual_bitop2_b32 v34, 7, v34 bitop3:0x40
; %bb.1313:                             ;   in Loop: Header=BB368_1062 Depth=1
	s_or_b32 exec_lo, exec_lo, s18
	s_delay_alu instid0(VALU_DEP_1) | instskip(NEXT) | instid1(VALU_DEP_2)
	v_dual_lshlrev_b32 v22, 24, v32 :: v_dual_lshlrev_b32 v32, 20, v34
	v_lshl_add_u32 v9, v9, 23, 0x3c000000
	s_delay_alu instid0(VALU_DEP_2) | instskip(NEXT) | instid1(VALU_DEP_1)
	v_and_b32_e32 v22, 0x80000000, v22
	v_or3_b32 v9, v32, v22, v9
.LBB368_1314:                           ;   in Loop: Header=BB368_1062 Depth=1
	s_or_b32 exec_lo, exec_lo, s17
.LBB368_1315:                           ;   in Loop: Header=BB368_1062 Depth=1
	s_delay_alu instid0(SALU_CYCLE_1)
	s_or_b32 exec_lo, exec_lo, s16
.LBB368_1316:                           ;   in Loop: Header=BB368_1062 Depth=1
	s_delay_alu instid0(SALU_CYCLE_1) | instskip(NEXT) | instid1(SALU_CYCLE_1)
	s_or_b32 exec_lo, exec_lo, s15
	s_mov_b32 s15, exec_lo
	v_cmpx_lt_u64_e64 s[2:3], v[18:19]
	s_cbranch_execz .LBB368_1324
; %bb.1317:                             ;   in Loop: Header=BB368_1062 Depth=1
	v_lshrrev_b32_e32 v32, 24, v19
	v_bfrev_b32_e32 v8, 1
	s_mov_b32 s16, exec_lo
	s_delay_alu instid0(VALU_DEP_2)
	v_cmpx_ne_u32_e32 0x80, v32
	s_cbranch_execz .LBB368_1323
; %bb.1318:                             ;   in Loop: Header=BB368_1062 Depth=1
	v_bfe_u32 v18, v19, 24, 7
	v_mov_b32_e32 v8, 0x7f800001
	s_mov_b32 s17, exec_lo
	s_delay_alu instid0(VALU_DEP_2)
	v_cmpx_ne_u32_e32 0x7f, v18
	s_cbranch_execz .LBB368_1322
; %bb.1319:                             ;   in Loop: Header=BB368_1062 Depth=1
	v_dual_lshrrev_b32 v8, 3, v18 :: v_dual_bitop2_b32 v22, 7, v32 bitop3:0x40
	v_cmp_gt_u32_e64 s0, 8, v18
	s_delay_alu instid0(VALU_DEP_2)
	v_mov_b64_e32 v[18:19], v[22:23]
	s_and_saveexec_b32 s18, s0
; %bb.1320:                             ;   in Loop: Header=BB368_1062 Depth=1
	v_clz_i32_u32_e32 v8, v22
	s_delay_alu instid0(VALU_DEP_1) | instskip(NEXT) | instid1(VALU_DEP_1)
	v_min_u32_e32 v8, 32, v8
	v_subrev_nc_u32_e32 v18, 28, v8
	s_delay_alu instid0(VALU_DEP_1) | instskip(NEXT) | instid1(VALU_DEP_1)
	v_lshlrev_b64_e32 v[18:19], v18, v[22:23]
	v_dual_sub_nc_u32 v8, 29, v8 :: v_dual_bitop2_b32 v18, 7, v18 bitop3:0x40
; %bb.1321:                             ;   in Loop: Header=BB368_1062 Depth=1
	s_or_b32 exec_lo, exec_lo, s18
	s_delay_alu instid0(VALU_DEP_1) | instskip(NEXT) | instid1(VALU_DEP_2)
	v_dual_lshlrev_b32 v19, 24, v32 :: v_dual_lshlrev_b32 v18, 20, v18
	v_lshl_add_u32 v8, v8, 23, 0x3c000000
	s_delay_alu instid0(VALU_DEP_2) | instskip(NEXT) | instid1(VALU_DEP_1)
	v_and_b32_e32 v19, 0x80000000, v19
	v_or3_b32 v8, v18, v19, v8
.LBB368_1322:                           ;   in Loop: Header=BB368_1062 Depth=1
	s_or_b32 exec_lo, exec_lo, s17
.LBB368_1323:                           ;   in Loop: Header=BB368_1062 Depth=1
	s_delay_alu instid0(SALU_CYCLE_1)
	s_or_b32 exec_lo, exec_lo, s16
.LBB368_1324:                           ;   in Loop: Header=BB368_1062 Depth=1
	s_delay_alu instid0(SALU_CYCLE_1)
	s_or_b32 exec_lo, exec_lo, s15
	v_fma_mixlo_bf16 v2, v49, v2, 0
	v_fma_mixlo_bf16 v7, v49, v7, 0
	;; [unrolled: 1-line block ×5, first 2 shown]
	scratch_store_b32 off, v2, s32 offset:380 ; 4-byte Folded Spill
	s_wait_xcnt 0x0
	v_fma_mixlo_bf16 v2, v49, v9, 0
	s_clause 0x1
	scratch_store_b32 off, v7, s32 offset:336
	scratch_store_b32 off, v6, s32 offset:344
	v_fma_mixlo_bf16 v3, v49, v3, 0
	s_clause 0x1
	scratch_store_b32 off, v5, s32 offset:360
	scratch_store_b32 off, v2, s32 offset:348
	s_wait_xcnt 0x0
	v_fma_mixlo_bf16 v2, v49, v8, 0
	s_clause 0x2
	scratch_store_b32 off, v4, s32 offset:364
	scratch_store_b32 off, v3, s32 offset:372
	;; [unrolled: 1-line block ×3, first 2 shown]
	s_wait_xcnt 0x0
	s_and_saveexec_b32 s15, vcc_lo
	s_cbranch_execz .LBB368_1326
; %bb.1325:                             ;   in Loop: Header=BB368_1062 Depth=1
	scratch_load_b32 v2, off, s32 offset:380 ; 4-byte Folded Reload
	v_cmp_lt_i32_e64 s0, v102, v36
	s_wait_loadcnt 0x0
	s_delay_alu instid0(VALU_DEP_1)
	v_cndmask_b32_e64 v2, 0, v2, s0
	v_cmp_lt_i32_e64 s0, v114, v36
	s_clause 0x1
	scratch_store_b32 off, v2, s32 offset:380
	scratch_load_b32 v2, off, s32 offset:372
	s_wait_loadcnt 0x0
	v_cndmask_b32_e64 v2, 0, v2, s0
	v_cmp_lt_i32_e64 s0, v113, v36
	s_clause 0x1
	scratch_store_b32 off, v2, s32 offset:372
	scratch_load_b32 v2, off, s32 offset:364
	s_wait_loadcnt 0x0
	;; [unrolled: 6-line block ×7, first 2 shown]
	v_cndmask_b32_e64 v2, 0, v2, s0
	scratch_store_b32 off, v2, s32 offset:356 ; 4-byte Folded Spill
.LBB368_1326:                           ;   in Loop: Header=BB368_1062 Depth=1
	s_wait_xcnt 0x0
	s_or_b32 exec_lo, exec_lo, s15
	flat_load_b64 v[18:19], v[0:1] offset:1024
	v_dual_mov_b32 v3, 0 :: v_dual_mov_b32 v2, 0
	s_mov_b32 s15, exec_lo
	s_wait_loadcnt_dscnt 0x0
	v_and_b32_e32 v4, 0xff, v18
	s_wait_xcnt 0x0
	s_delay_alu instid0(VALU_DEP_1)
	v_cmpx_ne_u16_e32 0, v4
	s_cbranch_execz .LBB368_1334
; %bb.1327:                             ;   in Loop: Header=BB368_1062 Depth=1
	v_bfrev_b32_e32 v2, 1
	s_mov_b32 s16, exec_lo
	v_cmpx_ne_u16_e32 0x80, v4
	s_cbranch_execz .LBB368_1333
; %bb.1328:                             ;   in Loop: Header=BB368_1062 Depth=1
	v_and_b32_e32 v4, 0x7f, v18
	v_mov_b32_e32 v2, 0x7f800001
	s_mov_b32 s17, exec_lo
	s_delay_alu instid0(VALU_DEP_2)
	v_cmpx_ne_u32_e32 0x7f, v4
	s_cbranch_execz .LBB368_1332
; %bb.1329:                             ;   in Loop: Header=BB368_1062 Depth=1
	v_mov_b64_e32 v[34:35], v[18:19]
	v_lshrrev_b32_e32 v2, 3, v4
	s_mov_b32 s18, exec_lo
	v_cmpx_gt_u32_e32 8, v4
; %bb.1330:                             ;   in Loop: Header=BB368_1062 Depth=1
	v_and_b32_e32 v2, 7, v18
	s_delay_alu instid0(VALU_DEP_1) | instskip(NEXT) | instid1(VALU_DEP_1)
	v_clz_i32_u32_e32 v2, v2
	v_min_u32_e32 v2, 32, v2
	s_delay_alu instid0(VALU_DEP_1) | instskip(SKIP_1) | instid1(VALU_DEP_2)
	v_subrev_nc_u32_e32 v4, 28, v2
	v_sub_nc_u32_e32 v2, 29, v2
	v_lshlrev_b64_e32 v[34:35], v4, v[18:19]
; %bb.1331:                             ;   in Loop: Header=BB368_1062 Depth=1
	s_or_b32 exec_lo, exec_lo, s18
	s_delay_alu instid0(VALU_DEP_1) | instskip(SKIP_2) | instid1(VALU_DEP_3)
	v_lshlrev_b32_e32 v4, 20, v34
	v_lshlrev_b32_e32 v5, 24, v18
	v_lshl_add_u32 v2, v2, 23, 0x3c000000
	v_and_b32_e32 v4, 0x700000, v4
	s_delay_alu instid0(VALU_DEP_3) | instskip(NEXT) | instid1(VALU_DEP_1)
	v_and_b32_e32 v5, 0x80000000, v5
	v_or3_b32 v2, v4, v5, v2
.LBB368_1332:                           ;   in Loop: Header=BB368_1062 Depth=1
	s_or_b32 exec_lo, exec_lo, s17
.LBB368_1333:                           ;   in Loop: Header=BB368_1062 Depth=1
	s_delay_alu instid0(SALU_CYCLE_1)
	s_or_b32 exec_lo, exec_lo, s16
.LBB368_1334:                           ;   in Loop: Header=BB368_1062 Depth=1
	s_delay_alu instid0(SALU_CYCLE_1) | instskip(SKIP_2) | instid1(VALU_DEP_1)
	s_or_b32 exec_lo, exec_lo, s15
	v_lshrrev_b16 v4, 8, v18
	s_mov_b32 s15, exec_lo
	v_cmpx_ne_u16_e32 0, v4
	s_cbranch_execz .LBB368_1342
; %bb.1335:                             ;   in Loop: Header=BB368_1062 Depth=1
	v_bfrev_b32_e32 v3, 1
	s_mov_b32 s16, exec_lo
	v_cmpx_ne_u16_e32 0x80, v4
	s_cbranch_execz .LBB368_1341
; %bb.1336:                             ;   in Loop: Header=BB368_1062 Depth=1
	v_and_b32_e32 v5, 0xffff, v4
	v_mov_b32_e32 v3, 0x7f800001
	s_mov_b32 s17, exec_lo
	s_delay_alu instid0(VALU_DEP_2) | instskip(NEXT) | instid1(VALU_DEP_1)
	v_and_b32_e32 v4, 0x7f, v5
	v_cmpx_ne_u32_e32 0x7f, v4
	s_cbranch_execz .LBB368_1340
; %bb.1337:                             ;   in Loop: Header=BB368_1062 Depth=1
	v_dual_lshrrev_b32 v3, 3, v4 :: v_dual_bitop2_b32 v22, 7, v5 bitop3:0x40
	s_mov_b32 s18, exec_lo
	s_delay_alu instid0(VALU_DEP_1)
	v_mov_b64_e32 v[34:35], v[22:23]
	v_cmpx_gt_u32_e32 8, v4
; %bb.1338:                             ;   in Loop: Header=BB368_1062 Depth=1
	v_clz_i32_u32_e32 v3, v22
	s_delay_alu instid0(VALU_DEP_1) | instskip(NEXT) | instid1(VALU_DEP_1)
	v_min_u32_e32 v3, 32, v3
	v_subrev_nc_u32_e32 v4, 28, v3
	s_delay_alu instid0(VALU_DEP_1) | instskip(NEXT) | instid1(VALU_DEP_1)
	v_lshlrev_b64_e32 v[4:5], v4, v[22:23]
	v_dual_sub_nc_u32 v3, 29, v3 :: v_dual_bitop2_b32 v34, 7, v4 bitop3:0x40
; %bb.1339:                             ;   in Loop: Header=BB368_1062 Depth=1
	s_or_b32 exec_lo, exec_lo, s18
	v_lshlrev_b32_e32 v4, 16, v18
	s_delay_alu instid0(VALU_DEP_2) | instskip(NEXT) | instid1(VALU_DEP_3)
	v_lshlrev_b32_e32 v5, 20, v34
	v_lshl_add_u32 v3, v3, 23, 0x3c000000
	s_delay_alu instid0(VALU_DEP_3) | instskip(NEXT) | instid1(VALU_DEP_1)
	v_and_b32_e32 v4, 0x80000000, v4
	v_or3_b32 v3, v5, v4, v3
.LBB368_1340:                           ;   in Loop: Header=BB368_1062 Depth=1
	s_or_b32 exec_lo, exec_lo, s17
.LBB368_1341:                           ;   in Loop: Header=BB368_1062 Depth=1
	s_delay_alu instid0(SALU_CYCLE_1)
	s_or_b32 exec_lo, exec_lo, s16
.LBB368_1342:                           ;   in Loop: Header=BB368_1062 Depth=1
	s_delay_alu instid0(SALU_CYCLE_1) | instskip(SKIP_3) | instid1(VALU_DEP_2)
	s_or_b32 exec_lo, exec_lo, s15
	v_dual_mov_b32 v5, 0 :: v_dual_lshrrev_b32 v6, 16, v18
	v_mov_b32_e32 v4, 0
	s_mov_b32 s15, exec_lo
	v_and_b32_e32 v7, 0xff, v6
	s_delay_alu instid0(VALU_DEP_1)
	v_cmpx_ne_u16_e32 0, v7
	s_cbranch_execz .LBB368_1350
; %bb.1343:                             ;   in Loop: Header=BB368_1062 Depth=1
	v_bfrev_b32_e32 v4, 1
	s_mov_b32 s16, exec_lo
	v_cmpx_ne_u16_e32 0x80, v7
	s_cbranch_execz .LBB368_1349
; %bb.1344:                             ;   in Loop: Header=BB368_1062 Depth=1
	v_bfe_u32 v7, v18, 16, 7
	v_mov_b32_e32 v4, 0x7f800001
	s_mov_b32 s17, exec_lo
	s_delay_alu instid0(VALU_DEP_2)
	v_cmpx_ne_u32_e32 0x7f, v7
	s_cbranch_execz .LBB368_1348
; %bb.1345:                             ;   in Loop: Header=BB368_1062 Depth=1
	v_dual_lshrrev_b32 v4, 3, v7 :: v_dual_bitop2_b32 v22, 7, v6 bitop3:0x40
	s_mov_b32 s18, exec_lo
	s_delay_alu instid0(VALU_DEP_1)
	v_mov_b64_e32 v[34:35], v[22:23]
	v_cmpx_gt_u32_e32 8, v7
; %bb.1346:                             ;   in Loop: Header=BB368_1062 Depth=1
	v_clz_i32_u32_e32 v4, v22
	s_delay_alu instid0(VALU_DEP_1) | instskip(NEXT) | instid1(VALU_DEP_1)
	v_min_u32_e32 v4, 32, v4
	v_subrev_nc_u32_e32 v7, 28, v4
	v_sub_nc_u32_e32 v4, 29, v4
	s_delay_alu instid0(VALU_DEP_2) | instskip(NEXT) | instid1(VALU_DEP_1)
	v_lshlrev_b64_e32 v[8:9], v7, v[22:23]
	v_and_b32_e32 v34, 7, v8
; %bb.1347:                             ;   in Loop: Header=BB368_1062 Depth=1
	s_or_b32 exec_lo, exec_lo, s18
	v_lshlrev_b32_e32 v6, 24, v6
	s_delay_alu instid0(VALU_DEP_2) | instskip(SKIP_1) | instid1(VALU_DEP_3)
	v_lshlrev_b32_e32 v7, 20, v34
	v_lshl_add_u32 v4, v4, 23, 0x3c000000
	v_and_b32_e32 v6, 0x80000000, v6
	s_delay_alu instid0(VALU_DEP_1)
	v_or3_b32 v4, v7, v6, v4
.LBB368_1348:                           ;   in Loop: Header=BB368_1062 Depth=1
	s_or_b32 exec_lo, exec_lo, s17
.LBB368_1349:                           ;   in Loop: Header=BB368_1062 Depth=1
	s_delay_alu instid0(SALU_CYCLE_1)
	s_or_b32 exec_lo, exec_lo, s16
.LBB368_1350:                           ;   in Loop: Header=BB368_1062 Depth=1
	s_delay_alu instid0(SALU_CYCLE_1) | instskip(NEXT) | instid1(SALU_CYCLE_1)
	s_or_b32 exec_lo, exec_lo, s15
	s_mov_b32 s15, exec_lo
	v_cmpx_lt_u32_e32 0xffffff, v18
	s_cbranch_execz .LBB368_1358
; %bb.1351:                             ;   in Loop: Header=BB368_1062 Depth=1
	v_lshrrev_b32_e32 v6, 24, v18
	v_bfrev_b32_e32 v5, 1
	s_mov_b32 s16, exec_lo
	s_delay_alu instid0(VALU_DEP_2)
	v_cmpx_ne_u32_e32 0x80, v6
	s_cbranch_execz .LBB368_1357
; %bb.1352:                             ;   in Loop: Header=BB368_1062 Depth=1
	v_bfe_u32 v7, v18, 24, 7
	v_mov_b32_e32 v5, 0x7f800001
	s_mov_b32 s17, exec_lo
	s_delay_alu instid0(VALU_DEP_2)
	v_cmpx_ne_u32_e32 0x7f, v7
	s_cbranch_execz .LBB368_1356
; %bb.1353:                             ;   in Loop: Header=BB368_1062 Depth=1
	v_dual_lshrrev_b32 v5, 3, v7 :: v_dual_bitop2_b32 v22, 7, v6 bitop3:0x40
	s_mov_b32 s18, exec_lo
	s_delay_alu instid0(VALU_DEP_1)
	v_mov_b64_e32 v[34:35], v[22:23]
	v_cmpx_gt_u32_e32 8, v7
; %bb.1354:                             ;   in Loop: Header=BB368_1062 Depth=1
	v_clz_i32_u32_e32 v5, v22
	s_delay_alu instid0(VALU_DEP_1) | instskip(NEXT) | instid1(VALU_DEP_1)
	v_min_u32_e32 v5, 32, v5
	v_subrev_nc_u32_e32 v7, 28, v5
	s_delay_alu instid0(VALU_DEP_1) | instskip(NEXT) | instid1(VALU_DEP_1)
	v_lshlrev_b64_e32 v[8:9], v7, v[22:23]
	v_dual_sub_nc_u32 v5, 29, v5 :: v_dual_bitop2_b32 v34, 7, v8 bitop3:0x40
; %bb.1355:                             ;   in Loop: Header=BB368_1062 Depth=1
	s_or_b32 exec_lo, exec_lo, s18
	v_lshlrev_b32_e32 v6, 24, v6
	s_delay_alu instid0(VALU_DEP_2) | instskip(NEXT) | instid1(VALU_DEP_3)
	v_lshlrev_b32_e32 v7, 20, v34
	v_lshl_add_u32 v5, v5, 23, 0x3c000000
	s_delay_alu instid0(VALU_DEP_3) | instskip(NEXT) | instid1(VALU_DEP_1)
	v_and_b32_e32 v6, 0x80000000, v6
	v_or3_b32 v5, v7, v6, v5
.LBB368_1356:                           ;   in Loop: Header=BB368_1062 Depth=1
	s_or_b32 exec_lo, exec_lo, s17
.LBB368_1357:                           ;   in Loop: Header=BB368_1062 Depth=1
	s_delay_alu instid0(SALU_CYCLE_1)
	s_or_b32 exec_lo, exec_lo, s16
.LBB368_1358:                           ;   in Loop: Header=BB368_1062 Depth=1
	s_delay_alu instid0(SALU_CYCLE_1) | instskip(SKIP_4) | instid1(VALU_DEP_3)
	s_or_b32 exec_lo, exec_lo, s15
	v_and_b32_e32 v8, 0xff, v19
	v_dual_mov_b32 v22, v19 :: v_dual_mov_b32 v7, 0
	v_mov_b32_e32 v6, 0
	s_mov_b32 s15, exec_lo
	v_cmpx_ne_u16_e32 0, v8
	s_cbranch_execz .LBB368_1366
; %bb.1359:                             ;   in Loop: Header=BB368_1062 Depth=1
	v_bfrev_b32_e32 v6, 1
	s_mov_b32 s16, exec_lo
	v_cmpx_ne_u16_e32 0x80, v8
	s_cbranch_execz .LBB368_1365
; %bb.1360:                             ;   in Loop: Header=BB368_1062 Depth=1
	v_and_b32_e32 v8, 0x7f, v19
	v_mov_b32_e32 v6, 0x7f800001
	s_mov_b32 s17, exec_lo
	s_delay_alu instid0(VALU_DEP_2)
	v_cmpx_ne_u32_e32 0x7f, v8
	s_cbranch_execz .LBB368_1364
; %bb.1361:                             ;   in Loop: Header=BB368_1062 Depth=1
	v_mov_b64_e32 v[34:35], v[22:23]
	v_lshrrev_b32_e32 v6, 3, v8
	s_mov_b32 s18, exec_lo
	v_cmpx_gt_u32_e32 8, v8
; %bb.1362:                             ;   in Loop: Header=BB368_1062 Depth=1
	v_and_b32_e32 v6, 7, v19
	s_delay_alu instid0(VALU_DEP_1) | instskip(NEXT) | instid1(VALU_DEP_1)
	v_clz_i32_u32_e32 v6, v6
	v_min_u32_e32 v6, 32, v6
	s_delay_alu instid0(VALU_DEP_1) | instskip(SKIP_1) | instid1(VALU_DEP_2)
	v_subrev_nc_u32_e32 v8, 28, v6
	v_sub_nc_u32_e32 v6, 29, v6
	v_lshlrev_b64_e32 v[34:35], v8, v[22:23]
; %bb.1363:                             ;   in Loop: Header=BB368_1062 Depth=1
	s_or_b32 exec_lo, exec_lo, s18
	s_delay_alu instid0(VALU_DEP_1) | instskip(SKIP_2) | instid1(VALU_DEP_3)
	v_lshlrev_b32_e32 v8, 20, v34
	v_lshlrev_b32_e32 v9, 24, v22
	v_lshl_add_u32 v6, v6, 23, 0x3c000000
	v_and_b32_e32 v8, 0x700000, v8
	s_delay_alu instid0(VALU_DEP_3) | instskip(NEXT) | instid1(VALU_DEP_1)
	v_and_b32_e32 v9, 0x80000000, v9
	v_or3_b32 v6, v8, v9, v6
.LBB368_1364:                           ;   in Loop: Header=BB368_1062 Depth=1
	s_or_b32 exec_lo, exec_lo, s17
.LBB368_1365:                           ;   in Loop: Header=BB368_1062 Depth=1
	s_delay_alu instid0(SALU_CYCLE_1)
	s_or_b32 exec_lo, exec_lo, s16
.LBB368_1366:                           ;   in Loop: Header=BB368_1062 Depth=1
	s_delay_alu instid0(SALU_CYCLE_1) | instskip(SKIP_2) | instid1(VALU_DEP_1)
	s_or_b32 exec_lo, exec_lo, s15
	v_lshrrev_b16 v8, 8, v22
	s_mov_b32 s15, exec_lo
	v_cmpx_ne_u16_e32 0, v8
	s_cbranch_execz .LBB368_1374
; %bb.1367:                             ;   in Loop: Header=BB368_1062 Depth=1
	v_bfrev_b32_e32 v7, 1
	s_mov_b32 s16, exec_lo
	v_cmpx_ne_u16_e32 0x80, v8
	s_cbranch_execz .LBB368_1373
; %bb.1368:                             ;   in Loop: Header=BB368_1062 Depth=1
	v_and_b32_e32 v9, 0xffff, v8
	v_mov_b32_e32 v7, 0x7f800001
	s_mov_b32 s17, exec_lo
	s_delay_alu instid0(VALU_DEP_2) | instskip(NEXT) | instid1(VALU_DEP_1)
	v_and_b32_e32 v8, 0x7f, v9
	v_cmpx_ne_u32_e32 0x7f, v8
	s_cbranch_execz .LBB368_1372
; %bb.1369:                             ;   in Loop: Header=BB368_1062 Depth=1
	v_dual_mov_b32 v35, v23 :: v_dual_bitop2_b32 v34, 7, v9 bitop3:0x40
	v_lshrrev_b32_e32 v7, 3, v8
	s_mov_b32 s18, exec_lo
	v_cmpx_gt_u32_e32 8, v8
; %bb.1370:                             ;   in Loop: Header=BB368_1062 Depth=1
	s_delay_alu instid0(VALU_DEP_3) | instskip(NEXT) | instid1(VALU_DEP_1)
	v_clz_i32_u32_e32 v7, v34
	v_min_u32_e32 v7, 32, v7
	s_delay_alu instid0(VALU_DEP_1) | instskip(NEXT) | instid1(VALU_DEP_1)
	v_subrev_nc_u32_e32 v8, 28, v7
	v_lshlrev_b64_e32 v[8:9], v8, v[34:35]
	s_delay_alu instid0(VALU_DEP_1)
	v_dual_sub_nc_u32 v7, 29, v7 :: v_dual_bitop2_b32 v34, 7, v8 bitop3:0x40
; %bb.1371:                             ;   in Loop: Header=BB368_1062 Depth=1
	s_or_b32 exec_lo, exec_lo, s18
	v_lshlrev_b32_e32 v8, 16, v22
	s_delay_alu instid0(VALU_DEP_2) | instskip(NEXT) | instid1(VALU_DEP_3)
	v_lshlrev_b32_e32 v9, 20, v34
	v_lshl_add_u32 v7, v7, 23, 0x3c000000
	s_delay_alu instid0(VALU_DEP_3) | instskip(NEXT) | instid1(VALU_DEP_1)
	v_and_b32_e32 v8, 0x80000000, v8
	v_or3_b32 v7, v9, v8, v7
.LBB368_1372:                           ;   in Loop: Header=BB368_1062 Depth=1
	s_or_b32 exec_lo, exec_lo, s17
.LBB368_1373:                           ;   in Loop: Header=BB368_1062 Depth=1
	s_delay_alu instid0(SALU_CYCLE_1)
	s_or_b32 exec_lo, exec_lo, s16
.LBB368_1374:                           ;   in Loop: Header=BB368_1062 Depth=1
	s_delay_alu instid0(SALU_CYCLE_1) | instskip(SKIP_3) | instid1(VALU_DEP_2)
	s_or_b32 exec_lo, exec_lo, s15
	v_dual_lshrrev_b32 v32, 16, v19 :: v_dual_mov_b32 v8, 0
	v_mov_b32_e32 v9, 0
	s_mov_b32 s15, exec_lo
	v_and_b32_e32 v22, 0xff, v32
	s_delay_alu instid0(VALU_DEP_1)
	v_cmpx_ne_u16_e32 0, v22
	s_cbranch_execz .LBB368_1382
; %bb.1375:                             ;   in Loop: Header=BB368_1062 Depth=1
	v_bfrev_b32_e32 v9, 1
	s_mov_b32 s16, exec_lo
	v_cmpx_ne_u16_e32 0x80, v22
	s_cbranch_execz .LBB368_1381
; %bb.1376:                             ;   in Loop: Header=BB368_1062 Depth=1
	v_bfe_u32 v33, v19, 16, 7
	v_mov_b32_e32 v9, 0x7f800001
	s_mov_b32 s17, exec_lo
	s_delay_alu instid0(VALU_DEP_2)
	v_cmpx_ne_u32_e32 0x7f, v33
	s_cbranch_execz .LBB368_1380
; %bb.1377:                             ;   in Loop: Header=BB368_1062 Depth=1
	v_dual_lshrrev_b32 v9, 3, v33 :: v_dual_bitop2_b32 v22, 7, v32 bitop3:0x40
	s_mov_b32 s18, exec_lo
	s_delay_alu instid0(VALU_DEP_1)
	v_mov_b64_e32 v[34:35], v[22:23]
	v_cmpx_gt_u32_e32 8, v33
; %bb.1378:                             ;   in Loop: Header=BB368_1062 Depth=1
	v_clz_i32_u32_e32 v9, v22
	s_delay_alu instid0(VALU_DEP_1) | instskip(NEXT) | instid1(VALU_DEP_1)
	v_min_u32_e32 v9, 32, v9
	v_subrev_nc_u32_e32 v33, 28, v9
	s_delay_alu instid0(VALU_DEP_1) | instskip(NEXT) | instid1(VALU_DEP_1)
	v_lshlrev_b64_e32 v[34:35], v33, v[22:23]
	v_dual_sub_nc_u32 v9, 29, v9 :: v_dual_bitop2_b32 v34, 7, v34 bitop3:0x40
; %bb.1379:                             ;   in Loop: Header=BB368_1062 Depth=1
	s_or_b32 exec_lo, exec_lo, s18
	s_delay_alu instid0(VALU_DEP_1) | instskip(NEXT) | instid1(VALU_DEP_2)
	v_dual_lshlrev_b32 v22, 24, v32 :: v_dual_lshlrev_b32 v32, 20, v34
	v_lshl_add_u32 v9, v9, 23, 0x3c000000
	s_delay_alu instid0(VALU_DEP_2) | instskip(NEXT) | instid1(VALU_DEP_1)
	v_and_b32_e32 v22, 0x80000000, v22
	v_or3_b32 v9, v32, v22, v9
.LBB368_1380:                           ;   in Loop: Header=BB368_1062 Depth=1
	s_or_b32 exec_lo, exec_lo, s17
.LBB368_1381:                           ;   in Loop: Header=BB368_1062 Depth=1
	s_delay_alu instid0(SALU_CYCLE_1)
	s_or_b32 exec_lo, exec_lo, s16
.LBB368_1382:                           ;   in Loop: Header=BB368_1062 Depth=1
	s_delay_alu instid0(SALU_CYCLE_1) | instskip(NEXT) | instid1(SALU_CYCLE_1)
	s_or_b32 exec_lo, exec_lo, s15
	s_mov_b32 s15, exec_lo
	v_cmpx_lt_u64_e64 s[2:3], v[18:19]
	s_cbranch_execz .LBB368_1390
; %bb.1383:                             ;   in Loop: Header=BB368_1062 Depth=1
	v_lshrrev_b32_e32 v32, 24, v19
	v_bfrev_b32_e32 v8, 1
	s_mov_b32 s16, exec_lo
	s_delay_alu instid0(VALU_DEP_2)
	v_cmpx_ne_u32_e32 0x80, v32
	s_cbranch_execz .LBB368_1389
; %bb.1384:                             ;   in Loop: Header=BB368_1062 Depth=1
	v_bfe_u32 v18, v19, 24, 7
	v_mov_b32_e32 v8, 0x7f800001
	s_mov_b32 s17, exec_lo
	s_delay_alu instid0(VALU_DEP_2)
	v_cmpx_ne_u32_e32 0x7f, v18
	s_cbranch_execz .LBB368_1388
; %bb.1385:                             ;   in Loop: Header=BB368_1062 Depth=1
	v_dual_lshrrev_b32 v8, 3, v18 :: v_dual_bitop2_b32 v22, 7, v32 bitop3:0x40
	v_cmp_gt_u32_e64 s0, 8, v18
	s_delay_alu instid0(VALU_DEP_2)
	v_mov_b64_e32 v[18:19], v[22:23]
	s_and_saveexec_b32 s18, s0
; %bb.1386:                             ;   in Loop: Header=BB368_1062 Depth=1
	v_clz_i32_u32_e32 v8, v22
	s_delay_alu instid0(VALU_DEP_1) | instskip(NEXT) | instid1(VALU_DEP_1)
	v_min_u32_e32 v8, 32, v8
	v_subrev_nc_u32_e32 v18, 28, v8
	s_delay_alu instid0(VALU_DEP_1) | instskip(NEXT) | instid1(VALU_DEP_1)
	v_lshlrev_b64_e32 v[18:19], v18, v[22:23]
	v_dual_sub_nc_u32 v8, 29, v8 :: v_dual_bitop2_b32 v18, 7, v18 bitop3:0x40
; %bb.1387:                             ;   in Loop: Header=BB368_1062 Depth=1
	s_or_b32 exec_lo, exec_lo, s18
	s_delay_alu instid0(VALU_DEP_1) | instskip(NEXT) | instid1(VALU_DEP_2)
	v_dual_lshlrev_b32 v19, 24, v32 :: v_dual_lshlrev_b32 v18, 20, v18
	v_lshl_add_u32 v8, v8, 23, 0x3c000000
	s_delay_alu instid0(VALU_DEP_2) | instskip(NEXT) | instid1(VALU_DEP_1)
	v_and_b32_e32 v19, 0x80000000, v19
	v_or3_b32 v8, v18, v19, v8
.LBB368_1388:                           ;   in Loop: Header=BB368_1062 Depth=1
	s_or_b32 exec_lo, exec_lo, s17
.LBB368_1389:                           ;   in Loop: Header=BB368_1062 Depth=1
	s_delay_alu instid0(SALU_CYCLE_1)
	s_or_b32 exec_lo, exec_lo, s16
.LBB368_1390:                           ;   in Loop: Header=BB368_1062 Depth=1
	s_delay_alu instid0(SALU_CYCLE_1)
	s_or_b32 exec_lo, exec_lo, s15
	v_fma_mixlo_bf16 v7, v49, v7, 0
	v_fma_mixlo_bf16 v6, v49, v6, 0
	v_fma_mixlo_bf16 v5, v49, v5, 0
	v_fma_mixlo_bf16 v58, v49, v2, 0
	v_fma_mixlo_bf16 v2, v49, v9, 0
	s_clause 0x1
	scratch_store_b32 off, v7, s32 offset:388
	scratch_store_b32 off, v6, s32 offset:396
	v_fma_mixlo_bf16 v4, v49, v4, 0
	v_fma_mixlo_bf16 v3, v49, v3, 0
	s_clause 0x1
	scratch_store_b32 off, v5, s32 offset:420
	scratch_store_b32 off, v2, s32 offset:404
	s_wait_xcnt 0x0
	v_fma_mixlo_bf16 v2, v49, v8, 0
	s_clause 0x2
	scratch_store_b32 off, v4, s32 offset:428
	scratch_store_b32 off, v3, s32 offset:436
	;; [unrolled: 1-line block ×3, first 2 shown]
	s_wait_xcnt 0x0
	s_and_saveexec_b32 s15, vcc_lo
	s_cbranch_execz .LBB368_1392
; %bb.1391:                             ;   in Loop: Header=BB368_1062 Depth=1
	scratch_load_b32 v2, off, s32 offset:436 ; 4-byte Folded Reload
	v_cmp_lt_i32_e64 s0, v102, v36
	s_delay_alu instid0(VALU_DEP_1) | instskip(SKIP_2) | instid1(VALU_DEP_1)
	v_cndmask_b32_e64 v58, 0, v58, s0
	v_cmp_lt_i32_e64 s0, v114, v36
	s_wait_loadcnt 0x0
	v_cndmask_b32_e64 v2, 0, v2, s0
	v_cmp_lt_i32_e64 s0, v113, v36
	s_clause 0x1
	scratch_store_b32 off, v2, s32 offset:436
	scratch_load_b32 v2, off, s32 offset:428
	s_wait_loadcnt 0x0
	v_cndmask_b32_e64 v2, 0, v2, s0
	v_cmp_lt_i32_e64 s0, v112, v36
	s_clause 0x1
	scratch_store_b32 off, v2, s32 offset:428
	scratch_load_b32 v2, off, s32 offset:420
	;; [unrolled: 6-line block ×6, first 2 shown]
	s_wait_loadcnt 0x0
	v_cndmask_b32_e64 v2, 0, v2, s0
	scratch_store_b32 off, v2, s32 offset:412 ; 4-byte Folded Spill
.LBB368_1392:                           ;   in Loop: Header=BB368_1062 Depth=1
	s_wait_xcnt 0x0
	s_or_b32 exec_lo, exec_lo, s15
	flat_load_b64 v[18:19], v[0:1] offset:1280
	v_dual_mov_b32 v3, 0 :: v_dual_mov_b32 v2, 0
	s_mov_b32 s15, exec_lo
	s_wait_loadcnt_dscnt 0x0
	v_and_b32_e32 v4, 0xff, v18
	s_wait_xcnt 0x0
	s_delay_alu instid0(VALU_DEP_1)
	v_cmpx_ne_u16_e32 0, v4
	s_cbranch_execz .LBB368_1400
; %bb.1393:                             ;   in Loop: Header=BB368_1062 Depth=1
	v_bfrev_b32_e32 v2, 1
	s_mov_b32 s16, exec_lo
	v_cmpx_ne_u16_e32 0x80, v4
	s_cbranch_execz .LBB368_1399
; %bb.1394:                             ;   in Loop: Header=BB368_1062 Depth=1
	v_and_b32_e32 v4, 0x7f, v18
	v_mov_b32_e32 v2, 0x7f800001
	s_mov_b32 s17, exec_lo
	s_delay_alu instid0(VALU_DEP_2)
	v_cmpx_ne_u32_e32 0x7f, v4
	s_cbranch_execz .LBB368_1398
; %bb.1395:                             ;   in Loop: Header=BB368_1062 Depth=1
	v_mov_b64_e32 v[34:35], v[18:19]
	v_lshrrev_b32_e32 v2, 3, v4
	s_mov_b32 s18, exec_lo
	v_cmpx_gt_u32_e32 8, v4
; %bb.1396:                             ;   in Loop: Header=BB368_1062 Depth=1
	v_and_b32_e32 v2, 7, v18
	s_delay_alu instid0(VALU_DEP_1) | instskip(NEXT) | instid1(VALU_DEP_1)
	v_clz_i32_u32_e32 v2, v2
	v_min_u32_e32 v2, 32, v2
	s_delay_alu instid0(VALU_DEP_1) | instskip(SKIP_1) | instid1(VALU_DEP_2)
	v_subrev_nc_u32_e32 v4, 28, v2
	v_sub_nc_u32_e32 v2, 29, v2
	v_lshlrev_b64_e32 v[34:35], v4, v[18:19]
; %bb.1397:                             ;   in Loop: Header=BB368_1062 Depth=1
	s_or_b32 exec_lo, exec_lo, s18
	s_delay_alu instid0(VALU_DEP_1) | instskip(SKIP_2) | instid1(VALU_DEP_3)
	v_lshlrev_b32_e32 v4, 20, v34
	v_lshlrev_b32_e32 v5, 24, v18
	v_lshl_add_u32 v2, v2, 23, 0x3c000000
	v_and_b32_e32 v4, 0x700000, v4
	s_delay_alu instid0(VALU_DEP_3) | instskip(NEXT) | instid1(VALU_DEP_1)
	v_and_b32_e32 v5, 0x80000000, v5
	v_or3_b32 v2, v4, v5, v2
.LBB368_1398:                           ;   in Loop: Header=BB368_1062 Depth=1
	s_or_b32 exec_lo, exec_lo, s17
.LBB368_1399:                           ;   in Loop: Header=BB368_1062 Depth=1
	s_delay_alu instid0(SALU_CYCLE_1)
	s_or_b32 exec_lo, exec_lo, s16
.LBB368_1400:                           ;   in Loop: Header=BB368_1062 Depth=1
	s_delay_alu instid0(SALU_CYCLE_1) | instskip(SKIP_2) | instid1(VALU_DEP_1)
	s_or_b32 exec_lo, exec_lo, s15
	v_lshrrev_b16 v4, 8, v18
	s_mov_b32 s15, exec_lo
	v_cmpx_ne_u16_e32 0, v4
	s_cbranch_execz .LBB368_1408
; %bb.1401:                             ;   in Loop: Header=BB368_1062 Depth=1
	v_bfrev_b32_e32 v3, 1
	s_mov_b32 s16, exec_lo
	v_cmpx_ne_u16_e32 0x80, v4
	s_cbranch_execz .LBB368_1407
; %bb.1402:                             ;   in Loop: Header=BB368_1062 Depth=1
	v_and_b32_e32 v5, 0xffff, v4
	v_mov_b32_e32 v3, 0x7f800001
	s_mov_b32 s17, exec_lo
	s_delay_alu instid0(VALU_DEP_2) | instskip(NEXT) | instid1(VALU_DEP_1)
	v_and_b32_e32 v4, 0x7f, v5
	v_cmpx_ne_u32_e32 0x7f, v4
	s_cbranch_execz .LBB368_1406
; %bb.1403:                             ;   in Loop: Header=BB368_1062 Depth=1
	v_dual_lshrrev_b32 v3, 3, v4 :: v_dual_bitop2_b32 v22, 7, v5 bitop3:0x40
	s_mov_b32 s18, exec_lo
	s_delay_alu instid0(VALU_DEP_1)
	v_mov_b64_e32 v[34:35], v[22:23]
	v_cmpx_gt_u32_e32 8, v4
; %bb.1404:                             ;   in Loop: Header=BB368_1062 Depth=1
	v_clz_i32_u32_e32 v3, v22
	s_delay_alu instid0(VALU_DEP_1) | instskip(NEXT) | instid1(VALU_DEP_1)
	v_min_u32_e32 v3, 32, v3
	v_subrev_nc_u32_e32 v4, 28, v3
	s_delay_alu instid0(VALU_DEP_1) | instskip(NEXT) | instid1(VALU_DEP_1)
	v_lshlrev_b64_e32 v[4:5], v4, v[22:23]
	v_dual_sub_nc_u32 v3, 29, v3 :: v_dual_bitop2_b32 v34, 7, v4 bitop3:0x40
; %bb.1405:                             ;   in Loop: Header=BB368_1062 Depth=1
	s_or_b32 exec_lo, exec_lo, s18
	v_lshlrev_b32_e32 v4, 16, v18
	s_delay_alu instid0(VALU_DEP_2) | instskip(NEXT) | instid1(VALU_DEP_3)
	v_lshlrev_b32_e32 v5, 20, v34
	v_lshl_add_u32 v3, v3, 23, 0x3c000000
	s_delay_alu instid0(VALU_DEP_3) | instskip(NEXT) | instid1(VALU_DEP_1)
	v_and_b32_e32 v4, 0x80000000, v4
	v_or3_b32 v3, v5, v4, v3
.LBB368_1406:                           ;   in Loop: Header=BB368_1062 Depth=1
	s_or_b32 exec_lo, exec_lo, s17
.LBB368_1407:                           ;   in Loop: Header=BB368_1062 Depth=1
	s_delay_alu instid0(SALU_CYCLE_1)
	s_or_b32 exec_lo, exec_lo, s16
.LBB368_1408:                           ;   in Loop: Header=BB368_1062 Depth=1
	s_delay_alu instid0(SALU_CYCLE_1) | instskip(SKIP_3) | instid1(VALU_DEP_2)
	s_or_b32 exec_lo, exec_lo, s15
	v_dual_mov_b32 v5, 0 :: v_dual_lshrrev_b32 v6, 16, v18
	v_mov_b32_e32 v4, 0
	s_mov_b32 s15, exec_lo
	v_and_b32_e32 v7, 0xff, v6
	s_delay_alu instid0(VALU_DEP_1)
	v_cmpx_ne_u16_e32 0, v7
	s_cbranch_execz .LBB368_1416
; %bb.1409:                             ;   in Loop: Header=BB368_1062 Depth=1
	v_bfrev_b32_e32 v4, 1
	s_mov_b32 s16, exec_lo
	v_cmpx_ne_u16_e32 0x80, v7
	s_cbranch_execz .LBB368_1415
; %bb.1410:                             ;   in Loop: Header=BB368_1062 Depth=1
	v_bfe_u32 v7, v18, 16, 7
	v_mov_b32_e32 v4, 0x7f800001
	s_mov_b32 s17, exec_lo
	s_delay_alu instid0(VALU_DEP_2)
	v_cmpx_ne_u32_e32 0x7f, v7
	s_cbranch_execz .LBB368_1414
; %bb.1411:                             ;   in Loop: Header=BB368_1062 Depth=1
	v_dual_lshrrev_b32 v4, 3, v7 :: v_dual_bitop2_b32 v22, 7, v6 bitop3:0x40
	s_mov_b32 s18, exec_lo
	s_delay_alu instid0(VALU_DEP_1)
	v_mov_b64_e32 v[34:35], v[22:23]
	v_cmpx_gt_u32_e32 8, v7
; %bb.1412:                             ;   in Loop: Header=BB368_1062 Depth=1
	v_clz_i32_u32_e32 v4, v22
	s_delay_alu instid0(VALU_DEP_1) | instskip(NEXT) | instid1(VALU_DEP_1)
	v_min_u32_e32 v4, 32, v4
	v_subrev_nc_u32_e32 v7, 28, v4
	v_sub_nc_u32_e32 v4, 29, v4
	s_delay_alu instid0(VALU_DEP_2) | instskip(NEXT) | instid1(VALU_DEP_1)
	v_lshlrev_b64_e32 v[8:9], v7, v[22:23]
	v_and_b32_e32 v34, 7, v8
; %bb.1413:                             ;   in Loop: Header=BB368_1062 Depth=1
	s_or_b32 exec_lo, exec_lo, s18
	v_lshlrev_b32_e32 v6, 24, v6
	s_delay_alu instid0(VALU_DEP_2) | instskip(SKIP_1) | instid1(VALU_DEP_3)
	v_lshlrev_b32_e32 v7, 20, v34
	v_lshl_add_u32 v4, v4, 23, 0x3c000000
	v_and_b32_e32 v6, 0x80000000, v6
	s_delay_alu instid0(VALU_DEP_1)
	v_or3_b32 v4, v7, v6, v4
.LBB368_1414:                           ;   in Loop: Header=BB368_1062 Depth=1
	s_or_b32 exec_lo, exec_lo, s17
.LBB368_1415:                           ;   in Loop: Header=BB368_1062 Depth=1
	s_delay_alu instid0(SALU_CYCLE_1)
	s_or_b32 exec_lo, exec_lo, s16
.LBB368_1416:                           ;   in Loop: Header=BB368_1062 Depth=1
	s_delay_alu instid0(SALU_CYCLE_1) | instskip(NEXT) | instid1(SALU_CYCLE_1)
	s_or_b32 exec_lo, exec_lo, s15
	s_mov_b32 s15, exec_lo
	v_cmpx_lt_u32_e32 0xffffff, v18
	s_cbranch_execz .LBB368_1424
; %bb.1417:                             ;   in Loop: Header=BB368_1062 Depth=1
	v_lshrrev_b32_e32 v6, 24, v18
	v_bfrev_b32_e32 v5, 1
	s_mov_b32 s16, exec_lo
	s_delay_alu instid0(VALU_DEP_2)
	v_cmpx_ne_u32_e32 0x80, v6
	s_cbranch_execz .LBB368_1423
; %bb.1418:                             ;   in Loop: Header=BB368_1062 Depth=1
	v_bfe_u32 v7, v18, 24, 7
	v_mov_b32_e32 v5, 0x7f800001
	s_mov_b32 s17, exec_lo
	s_delay_alu instid0(VALU_DEP_2)
	v_cmpx_ne_u32_e32 0x7f, v7
	s_cbranch_execz .LBB368_1422
; %bb.1419:                             ;   in Loop: Header=BB368_1062 Depth=1
	v_dual_lshrrev_b32 v5, 3, v7 :: v_dual_bitop2_b32 v22, 7, v6 bitop3:0x40
	s_mov_b32 s18, exec_lo
	s_delay_alu instid0(VALU_DEP_1)
	v_mov_b64_e32 v[34:35], v[22:23]
	v_cmpx_gt_u32_e32 8, v7
; %bb.1420:                             ;   in Loop: Header=BB368_1062 Depth=1
	v_clz_i32_u32_e32 v5, v22
	s_delay_alu instid0(VALU_DEP_1) | instskip(NEXT) | instid1(VALU_DEP_1)
	v_min_u32_e32 v5, 32, v5
	v_subrev_nc_u32_e32 v7, 28, v5
	s_delay_alu instid0(VALU_DEP_1) | instskip(NEXT) | instid1(VALU_DEP_1)
	v_lshlrev_b64_e32 v[8:9], v7, v[22:23]
	v_dual_sub_nc_u32 v5, 29, v5 :: v_dual_bitop2_b32 v34, 7, v8 bitop3:0x40
; %bb.1421:                             ;   in Loop: Header=BB368_1062 Depth=1
	s_or_b32 exec_lo, exec_lo, s18
	v_lshlrev_b32_e32 v6, 24, v6
	s_delay_alu instid0(VALU_DEP_2) | instskip(NEXT) | instid1(VALU_DEP_3)
	v_lshlrev_b32_e32 v7, 20, v34
	v_lshl_add_u32 v5, v5, 23, 0x3c000000
	s_delay_alu instid0(VALU_DEP_3) | instskip(NEXT) | instid1(VALU_DEP_1)
	v_and_b32_e32 v6, 0x80000000, v6
	v_or3_b32 v5, v7, v6, v5
.LBB368_1422:                           ;   in Loop: Header=BB368_1062 Depth=1
	s_or_b32 exec_lo, exec_lo, s17
.LBB368_1423:                           ;   in Loop: Header=BB368_1062 Depth=1
	s_delay_alu instid0(SALU_CYCLE_1)
	s_or_b32 exec_lo, exec_lo, s16
.LBB368_1424:                           ;   in Loop: Header=BB368_1062 Depth=1
	s_delay_alu instid0(SALU_CYCLE_1) | instskip(SKIP_4) | instid1(VALU_DEP_3)
	s_or_b32 exec_lo, exec_lo, s15
	v_and_b32_e32 v8, 0xff, v19
	v_dual_mov_b32 v22, v19 :: v_dual_mov_b32 v7, 0
	v_mov_b32_e32 v6, 0
	s_mov_b32 s15, exec_lo
	v_cmpx_ne_u16_e32 0, v8
	s_cbranch_execz .LBB368_1432
; %bb.1425:                             ;   in Loop: Header=BB368_1062 Depth=1
	v_bfrev_b32_e32 v6, 1
	s_mov_b32 s16, exec_lo
	v_cmpx_ne_u16_e32 0x80, v8
	s_cbranch_execz .LBB368_1431
; %bb.1426:                             ;   in Loop: Header=BB368_1062 Depth=1
	v_and_b32_e32 v8, 0x7f, v19
	v_mov_b32_e32 v6, 0x7f800001
	s_mov_b32 s17, exec_lo
	s_delay_alu instid0(VALU_DEP_2)
	v_cmpx_ne_u32_e32 0x7f, v8
	s_cbranch_execz .LBB368_1430
; %bb.1427:                             ;   in Loop: Header=BB368_1062 Depth=1
	v_mov_b64_e32 v[34:35], v[22:23]
	v_lshrrev_b32_e32 v6, 3, v8
	s_mov_b32 s18, exec_lo
	v_cmpx_gt_u32_e32 8, v8
; %bb.1428:                             ;   in Loop: Header=BB368_1062 Depth=1
	v_and_b32_e32 v6, 7, v19
	s_delay_alu instid0(VALU_DEP_1) | instskip(NEXT) | instid1(VALU_DEP_1)
	v_clz_i32_u32_e32 v6, v6
	v_min_u32_e32 v6, 32, v6
	s_delay_alu instid0(VALU_DEP_1) | instskip(SKIP_1) | instid1(VALU_DEP_2)
	v_subrev_nc_u32_e32 v8, 28, v6
	v_sub_nc_u32_e32 v6, 29, v6
	v_lshlrev_b64_e32 v[34:35], v8, v[22:23]
; %bb.1429:                             ;   in Loop: Header=BB368_1062 Depth=1
	s_or_b32 exec_lo, exec_lo, s18
	s_delay_alu instid0(VALU_DEP_1) | instskip(SKIP_2) | instid1(VALU_DEP_3)
	v_lshlrev_b32_e32 v8, 20, v34
	v_lshlrev_b32_e32 v9, 24, v22
	v_lshl_add_u32 v6, v6, 23, 0x3c000000
	v_and_b32_e32 v8, 0x700000, v8
	s_delay_alu instid0(VALU_DEP_3) | instskip(NEXT) | instid1(VALU_DEP_1)
	v_and_b32_e32 v9, 0x80000000, v9
	v_or3_b32 v6, v8, v9, v6
.LBB368_1430:                           ;   in Loop: Header=BB368_1062 Depth=1
	s_or_b32 exec_lo, exec_lo, s17
.LBB368_1431:                           ;   in Loop: Header=BB368_1062 Depth=1
	s_delay_alu instid0(SALU_CYCLE_1)
	s_or_b32 exec_lo, exec_lo, s16
.LBB368_1432:                           ;   in Loop: Header=BB368_1062 Depth=1
	s_delay_alu instid0(SALU_CYCLE_1) | instskip(SKIP_2) | instid1(VALU_DEP_1)
	s_or_b32 exec_lo, exec_lo, s15
	v_lshrrev_b16 v8, 8, v22
	s_mov_b32 s15, exec_lo
	v_cmpx_ne_u16_e32 0, v8
	s_cbranch_execz .LBB368_1440
; %bb.1433:                             ;   in Loop: Header=BB368_1062 Depth=1
	v_bfrev_b32_e32 v7, 1
	s_mov_b32 s16, exec_lo
	v_cmpx_ne_u16_e32 0x80, v8
	s_cbranch_execz .LBB368_1439
; %bb.1434:                             ;   in Loop: Header=BB368_1062 Depth=1
	v_and_b32_e32 v9, 0xffff, v8
	v_mov_b32_e32 v7, 0x7f800001
	s_mov_b32 s17, exec_lo
	s_delay_alu instid0(VALU_DEP_2) | instskip(NEXT) | instid1(VALU_DEP_1)
	v_and_b32_e32 v8, 0x7f, v9
	v_cmpx_ne_u32_e32 0x7f, v8
	s_cbranch_execz .LBB368_1438
; %bb.1435:                             ;   in Loop: Header=BB368_1062 Depth=1
	v_dual_mov_b32 v35, v23 :: v_dual_bitop2_b32 v34, 7, v9 bitop3:0x40
	v_lshrrev_b32_e32 v7, 3, v8
	s_mov_b32 s18, exec_lo
	v_cmpx_gt_u32_e32 8, v8
; %bb.1436:                             ;   in Loop: Header=BB368_1062 Depth=1
	s_delay_alu instid0(VALU_DEP_3) | instskip(NEXT) | instid1(VALU_DEP_1)
	v_clz_i32_u32_e32 v7, v34
	v_min_u32_e32 v7, 32, v7
	s_delay_alu instid0(VALU_DEP_1) | instskip(NEXT) | instid1(VALU_DEP_1)
	v_subrev_nc_u32_e32 v8, 28, v7
	v_lshlrev_b64_e32 v[8:9], v8, v[34:35]
	s_delay_alu instid0(VALU_DEP_1)
	v_dual_sub_nc_u32 v7, 29, v7 :: v_dual_bitop2_b32 v34, 7, v8 bitop3:0x40
; %bb.1437:                             ;   in Loop: Header=BB368_1062 Depth=1
	s_or_b32 exec_lo, exec_lo, s18
	v_lshlrev_b32_e32 v8, 16, v22
	s_delay_alu instid0(VALU_DEP_2) | instskip(NEXT) | instid1(VALU_DEP_3)
	v_lshlrev_b32_e32 v9, 20, v34
	v_lshl_add_u32 v7, v7, 23, 0x3c000000
	s_delay_alu instid0(VALU_DEP_3) | instskip(NEXT) | instid1(VALU_DEP_1)
	v_and_b32_e32 v8, 0x80000000, v8
	v_or3_b32 v7, v9, v8, v7
.LBB368_1438:                           ;   in Loop: Header=BB368_1062 Depth=1
	s_or_b32 exec_lo, exec_lo, s17
.LBB368_1439:                           ;   in Loop: Header=BB368_1062 Depth=1
	s_delay_alu instid0(SALU_CYCLE_1)
	s_or_b32 exec_lo, exec_lo, s16
.LBB368_1440:                           ;   in Loop: Header=BB368_1062 Depth=1
	s_delay_alu instid0(SALU_CYCLE_1) | instskip(SKIP_3) | instid1(VALU_DEP_2)
	s_or_b32 exec_lo, exec_lo, s15
	v_dual_lshrrev_b32 v32, 16, v19 :: v_dual_mov_b32 v8, 0
	v_mov_b32_e32 v9, 0
	s_mov_b32 s15, exec_lo
	v_and_b32_e32 v22, 0xff, v32
	s_delay_alu instid0(VALU_DEP_1)
	v_cmpx_ne_u16_e32 0, v22
	s_cbranch_execz .LBB368_1448
; %bb.1441:                             ;   in Loop: Header=BB368_1062 Depth=1
	v_bfrev_b32_e32 v9, 1
	s_mov_b32 s16, exec_lo
	v_cmpx_ne_u16_e32 0x80, v22
	s_cbranch_execz .LBB368_1447
; %bb.1442:                             ;   in Loop: Header=BB368_1062 Depth=1
	v_bfe_u32 v33, v19, 16, 7
	v_mov_b32_e32 v9, 0x7f800001
	s_mov_b32 s17, exec_lo
	s_delay_alu instid0(VALU_DEP_2)
	v_cmpx_ne_u32_e32 0x7f, v33
	s_cbranch_execz .LBB368_1446
; %bb.1443:                             ;   in Loop: Header=BB368_1062 Depth=1
	v_dual_lshrrev_b32 v9, 3, v33 :: v_dual_bitop2_b32 v22, 7, v32 bitop3:0x40
	s_mov_b32 s18, exec_lo
	s_delay_alu instid0(VALU_DEP_1)
	v_mov_b64_e32 v[34:35], v[22:23]
	v_cmpx_gt_u32_e32 8, v33
; %bb.1444:                             ;   in Loop: Header=BB368_1062 Depth=1
	v_clz_i32_u32_e32 v9, v22
	s_delay_alu instid0(VALU_DEP_1) | instskip(NEXT) | instid1(VALU_DEP_1)
	v_min_u32_e32 v9, 32, v9
	v_subrev_nc_u32_e32 v33, 28, v9
	s_delay_alu instid0(VALU_DEP_1) | instskip(NEXT) | instid1(VALU_DEP_1)
	v_lshlrev_b64_e32 v[34:35], v33, v[22:23]
	v_dual_sub_nc_u32 v9, 29, v9 :: v_dual_bitop2_b32 v34, 7, v34 bitop3:0x40
; %bb.1445:                             ;   in Loop: Header=BB368_1062 Depth=1
	s_or_b32 exec_lo, exec_lo, s18
	s_delay_alu instid0(VALU_DEP_1) | instskip(NEXT) | instid1(VALU_DEP_2)
	v_dual_lshlrev_b32 v22, 24, v32 :: v_dual_lshlrev_b32 v32, 20, v34
	v_lshl_add_u32 v9, v9, 23, 0x3c000000
	s_delay_alu instid0(VALU_DEP_2) | instskip(NEXT) | instid1(VALU_DEP_1)
	v_and_b32_e32 v22, 0x80000000, v22
	v_or3_b32 v9, v32, v22, v9
.LBB368_1446:                           ;   in Loop: Header=BB368_1062 Depth=1
	s_or_b32 exec_lo, exec_lo, s17
.LBB368_1447:                           ;   in Loop: Header=BB368_1062 Depth=1
	s_delay_alu instid0(SALU_CYCLE_1)
	s_or_b32 exec_lo, exec_lo, s16
.LBB368_1448:                           ;   in Loop: Header=BB368_1062 Depth=1
	s_delay_alu instid0(SALU_CYCLE_1) | instskip(NEXT) | instid1(SALU_CYCLE_1)
	s_or_b32 exec_lo, exec_lo, s15
	s_mov_b32 s15, exec_lo
	v_cmpx_lt_u64_e64 s[2:3], v[18:19]
	s_cbranch_execz .LBB368_1456
; %bb.1449:                             ;   in Loop: Header=BB368_1062 Depth=1
	v_lshrrev_b32_e32 v32, 24, v19
	v_bfrev_b32_e32 v8, 1
	s_mov_b32 s16, exec_lo
	s_delay_alu instid0(VALU_DEP_2)
	v_cmpx_ne_u32_e32 0x80, v32
	s_cbranch_execz .LBB368_1455
; %bb.1450:                             ;   in Loop: Header=BB368_1062 Depth=1
	v_bfe_u32 v18, v19, 24, 7
	v_mov_b32_e32 v8, 0x7f800001
	s_mov_b32 s17, exec_lo
	s_delay_alu instid0(VALU_DEP_2)
	v_cmpx_ne_u32_e32 0x7f, v18
	s_cbranch_execz .LBB368_1454
; %bb.1451:                             ;   in Loop: Header=BB368_1062 Depth=1
	v_dual_lshrrev_b32 v8, 3, v18 :: v_dual_bitop2_b32 v22, 7, v32 bitop3:0x40
	v_cmp_gt_u32_e64 s0, 8, v18
	s_delay_alu instid0(VALU_DEP_2)
	v_mov_b64_e32 v[18:19], v[22:23]
	s_and_saveexec_b32 s18, s0
; %bb.1452:                             ;   in Loop: Header=BB368_1062 Depth=1
	v_clz_i32_u32_e32 v8, v22
	s_delay_alu instid0(VALU_DEP_1) | instskip(NEXT) | instid1(VALU_DEP_1)
	v_min_u32_e32 v8, 32, v8
	v_subrev_nc_u32_e32 v18, 28, v8
	s_delay_alu instid0(VALU_DEP_1) | instskip(NEXT) | instid1(VALU_DEP_1)
	v_lshlrev_b64_e32 v[18:19], v18, v[22:23]
	v_dual_sub_nc_u32 v8, 29, v8 :: v_dual_bitop2_b32 v18, 7, v18 bitop3:0x40
; %bb.1453:                             ;   in Loop: Header=BB368_1062 Depth=1
	s_or_b32 exec_lo, exec_lo, s18
	s_delay_alu instid0(VALU_DEP_1) | instskip(NEXT) | instid1(VALU_DEP_2)
	v_dual_lshlrev_b32 v19, 24, v32 :: v_dual_lshlrev_b32 v18, 20, v18
	v_lshl_add_u32 v8, v8, 23, 0x3c000000
	s_delay_alu instid0(VALU_DEP_2) | instskip(NEXT) | instid1(VALU_DEP_1)
	v_and_b32_e32 v19, 0x80000000, v19
	v_or3_b32 v8, v18, v19, v8
.LBB368_1454:                           ;   in Loop: Header=BB368_1062 Depth=1
	s_or_b32 exec_lo, exec_lo, s17
.LBB368_1455:                           ;   in Loop: Header=BB368_1062 Depth=1
	s_delay_alu instid0(SALU_CYCLE_1)
	s_or_b32 exec_lo, exec_lo, s16
.LBB368_1456:                           ;   in Loop: Header=BB368_1062 Depth=1
	s_delay_alu instid0(SALU_CYCLE_1)
	s_or_b32 exec_lo, exec_lo, s15
	v_fma_mixlo_bf16 v59, v49, v7, 0
	v_fma_mixlo_bf16 v60, v49, v6, 0
	;; [unrolled: 1-line block ×8, first 2 shown]
	s_and_saveexec_b32 s15, vcc_lo
	s_cbranch_execz .LBB368_1458
; %bb.1457:                             ;   in Loop: Header=BB368_1062 Depth=1
	v_cmp_lt_i32_e64 s0, v102, v36
	s_delay_alu instid0(VALU_DEP_1) | instskip(SKIP_1) | instid1(VALU_DEP_1)
	v_cndmask_b32_e64 v74, 0, v74, s0
	v_cmp_lt_i32_e64 s0, v114, v36
	v_cndmask_b32_e64 v73, 0, v73, s0
	v_cmp_lt_i32_e64 s0, v113, v36
	s_delay_alu instid0(VALU_DEP_1) | instskip(SKIP_1) | instid1(VALU_DEP_1)
	v_cndmask_b32_e64 v72, 0, v72, s0
	v_cmp_lt_i32_e64 s0, v112, v36
	v_cndmask_b32_e64 v63, 0, v63, s0
	;; [unrolled: 5-line block ×4, first 2 shown]
.LBB368_1458:                           ;   in Loop: Header=BB368_1062 Depth=1
	s_or_b32 exec_lo, exec_lo, s15
	flat_load_b64 v[18:19], v[0:1] offset:1536
	v_dual_mov_b32 v3, 0 :: v_dual_mov_b32 v2, 0
	s_mov_b32 s15, exec_lo
	s_wait_loadcnt_dscnt 0x0
	v_and_b32_e32 v4, 0xff, v18
	s_wait_xcnt 0x0
	s_delay_alu instid0(VALU_DEP_1)
	v_cmpx_ne_u16_e32 0, v4
	s_cbranch_execz .LBB368_1466
; %bb.1459:                             ;   in Loop: Header=BB368_1062 Depth=1
	v_bfrev_b32_e32 v2, 1
	s_mov_b32 s16, exec_lo
	v_cmpx_ne_u16_e32 0x80, v4
	s_cbranch_execz .LBB368_1465
; %bb.1460:                             ;   in Loop: Header=BB368_1062 Depth=1
	v_and_b32_e32 v4, 0x7f, v18
	v_mov_b32_e32 v2, 0x7f800001
	s_mov_b32 s17, exec_lo
	s_delay_alu instid0(VALU_DEP_2)
	v_cmpx_ne_u32_e32 0x7f, v4
	s_cbranch_execz .LBB368_1464
; %bb.1461:                             ;   in Loop: Header=BB368_1062 Depth=1
	v_mov_b64_e32 v[34:35], v[18:19]
	v_lshrrev_b32_e32 v2, 3, v4
	s_mov_b32 s18, exec_lo
	v_cmpx_gt_u32_e32 8, v4
; %bb.1462:                             ;   in Loop: Header=BB368_1062 Depth=1
	v_and_b32_e32 v2, 7, v18
	s_delay_alu instid0(VALU_DEP_1) | instskip(NEXT) | instid1(VALU_DEP_1)
	v_clz_i32_u32_e32 v2, v2
	v_min_u32_e32 v2, 32, v2
	s_delay_alu instid0(VALU_DEP_1) | instskip(SKIP_1) | instid1(VALU_DEP_2)
	v_subrev_nc_u32_e32 v4, 28, v2
	v_sub_nc_u32_e32 v2, 29, v2
	v_lshlrev_b64_e32 v[34:35], v4, v[18:19]
; %bb.1463:                             ;   in Loop: Header=BB368_1062 Depth=1
	s_or_b32 exec_lo, exec_lo, s18
	s_delay_alu instid0(VALU_DEP_1) | instskip(SKIP_2) | instid1(VALU_DEP_3)
	v_lshlrev_b32_e32 v4, 20, v34
	v_lshlrev_b32_e32 v5, 24, v18
	v_lshl_add_u32 v2, v2, 23, 0x3c000000
	v_and_b32_e32 v4, 0x700000, v4
	s_delay_alu instid0(VALU_DEP_3) | instskip(NEXT) | instid1(VALU_DEP_1)
	v_and_b32_e32 v5, 0x80000000, v5
	v_or3_b32 v2, v4, v5, v2
.LBB368_1464:                           ;   in Loop: Header=BB368_1062 Depth=1
	s_or_b32 exec_lo, exec_lo, s17
.LBB368_1465:                           ;   in Loop: Header=BB368_1062 Depth=1
	s_delay_alu instid0(SALU_CYCLE_1)
	s_or_b32 exec_lo, exec_lo, s16
.LBB368_1466:                           ;   in Loop: Header=BB368_1062 Depth=1
	s_delay_alu instid0(SALU_CYCLE_1) | instskip(SKIP_2) | instid1(VALU_DEP_1)
	s_or_b32 exec_lo, exec_lo, s15
	v_lshrrev_b16 v4, 8, v18
	s_mov_b32 s15, exec_lo
	v_cmpx_ne_u16_e32 0, v4
	s_cbranch_execz .LBB368_1474
; %bb.1467:                             ;   in Loop: Header=BB368_1062 Depth=1
	v_bfrev_b32_e32 v3, 1
	s_mov_b32 s16, exec_lo
	v_cmpx_ne_u16_e32 0x80, v4
	s_cbranch_execz .LBB368_1473
; %bb.1468:                             ;   in Loop: Header=BB368_1062 Depth=1
	v_and_b32_e32 v5, 0xffff, v4
	v_mov_b32_e32 v3, 0x7f800001
	s_mov_b32 s17, exec_lo
	s_delay_alu instid0(VALU_DEP_2) | instskip(NEXT) | instid1(VALU_DEP_1)
	v_and_b32_e32 v4, 0x7f, v5
	v_cmpx_ne_u32_e32 0x7f, v4
	s_cbranch_execz .LBB368_1472
; %bb.1469:                             ;   in Loop: Header=BB368_1062 Depth=1
	v_dual_lshrrev_b32 v3, 3, v4 :: v_dual_bitop2_b32 v22, 7, v5 bitop3:0x40
	s_mov_b32 s18, exec_lo
	s_delay_alu instid0(VALU_DEP_1)
	v_mov_b64_e32 v[34:35], v[22:23]
	v_cmpx_gt_u32_e32 8, v4
; %bb.1470:                             ;   in Loop: Header=BB368_1062 Depth=1
	v_clz_i32_u32_e32 v3, v22
	s_delay_alu instid0(VALU_DEP_1) | instskip(NEXT) | instid1(VALU_DEP_1)
	v_min_u32_e32 v3, 32, v3
	v_subrev_nc_u32_e32 v4, 28, v3
	s_delay_alu instid0(VALU_DEP_1) | instskip(NEXT) | instid1(VALU_DEP_1)
	v_lshlrev_b64_e32 v[4:5], v4, v[22:23]
	v_dual_sub_nc_u32 v3, 29, v3 :: v_dual_bitop2_b32 v34, 7, v4 bitop3:0x40
; %bb.1471:                             ;   in Loop: Header=BB368_1062 Depth=1
	s_or_b32 exec_lo, exec_lo, s18
	v_lshlrev_b32_e32 v4, 16, v18
	s_delay_alu instid0(VALU_DEP_2) | instskip(NEXT) | instid1(VALU_DEP_3)
	v_lshlrev_b32_e32 v5, 20, v34
	v_lshl_add_u32 v3, v3, 23, 0x3c000000
	s_delay_alu instid0(VALU_DEP_3) | instskip(NEXT) | instid1(VALU_DEP_1)
	v_and_b32_e32 v4, 0x80000000, v4
	v_or3_b32 v3, v5, v4, v3
.LBB368_1472:                           ;   in Loop: Header=BB368_1062 Depth=1
	s_or_b32 exec_lo, exec_lo, s17
.LBB368_1473:                           ;   in Loop: Header=BB368_1062 Depth=1
	s_delay_alu instid0(SALU_CYCLE_1)
	s_or_b32 exec_lo, exec_lo, s16
.LBB368_1474:                           ;   in Loop: Header=BB368_1062 Depth=1
	s_delay_alu instid0(SALU_CYCLE_1) | instskip(SKIP_3) | instid1(VALU_DEP_2)
	s_or_b32 exec_lo, exec_lo, s15
	v_dual_mov_b32 v5, 0 :: v_dual_lshrrev_b32 v6, 16, v18
	v_mov_b32_e32 v4, 0
	s_mov_b32 s15, exec_lo
	v_and_b32_e32 v7, 0xff, v6
	s_delay_alu instid0(VALU_DEP_1)
	v_cmpx_ne_u16_e32 0, v7
	s_cbranch_execz .LBB368_1482
; %bb.1475:                             ;   in Loop: Header=BB368_1062 Depth=1
	v_bfrev_b32_e32 v4, 1
	s_mov_b32 s16, exec_lo
	v_cmpx_ne_u16_e32 0x80, v7
	s_cbranch_execz .LBB368_1481
; %bb.1476:                             ;   in Loop: Header=BB368_1062 Depth=1
	v_bfe_u32 v7, v18, 16, 7
	v_mov_b32_e32 v4, 0x7f800001
	s_mov_b32 s17, exec_lo
	s_delay_alu instid0(VALU_DEP_2)
	v_cmpx_ne_u32_e32 0x7f, v7
	s_cbranch_execz .LBB368_1480
; %bb.1477:                             ;   in Loop: Header=BB368_1062 Depth=1
	v_dual_lshrrev_b32 v4, 3, v7 :: v_dual_bitop2_b32 v22, 7, v6 bitop3:0x40
	s_mov_b32 s18, exec_lo
	s_delay_alu instid0(VALU_DEP_1)
	v_mov_b64_e32 v[34:35], v[22:23]
	v_cmpx_gt_u32_e32 8, v7
; %bb.1478:                             ;   in Loop: Header=BB368_1062 Depth=1
	v_clz_i32_u32_e32 v4, v22
	s_delay_alu instid0(VALU_DEP_1) | instskip(NEXT) | instid1(VALU_DEP_1)
	v_min_u32_e32 v4, 32, v4
	v_subrev_nc_u32_e32 v7, 28, v4
	v_sub_nc_u32_e32 v4, 29, v4
	s_delay_alu instid0(VALU_DEP_2) | instskip(NEXT) | instid1(VALU_DEP_1)
	v_lshlrev_b64_e32 v[8:9], v7, v[22:23]
	v_and_b32_e32 v34, 7, v8
; %bb.1479:                             ;   in Loop: Header=BB368_1062 Depth=1
	s_or_b32 exec_lo, exec_lo, s18
	v_lshlrev_b32_e32 v6, 24, v6
	s_delay_alu instid0(VALU_DEP_2) | instskip(SKIP_1) | instid1(VALU_DEP_3)
	v_lshlrev_b32_e32 v7, 20, v34
	v_lshl_add_u32 v4, v4, 23, 0x3c000000
	v_and_b32_e32 v6, 0x80000000, v6
	s_delay_alu instid0(VALU_DEP_1)
	v_or3_b32 v4, v7, v6, v4
.LBB368_1480:                           ;   in Loop: Header=BB368_1062 Depth=1
	s_or_b32 exec_lo, exec_lo, s17
.LBB368_1481:                           ;   in Loop: Header=BB368_1062 Depth=1
	s_delay_alu instid0(SALU_CYCLE_1)
	s_or_b32 exec_lo, exec_lo, s16
.LBB368_1482:                           ;   in Loop: Header=BB368_1062 Depth=1
	s_delay_alu instid0(SALU_CYCLE_1) | instskip(NEXT) | instid1(SALU_CYCLE_1)
	s_or_b32 exec_lo, exec_lo, s15
	s_mov_b32 s15, exec_lo
	v_cmpx_lt_u32_e32 0xffffff, v18
	s_cbranch_execz .LBB368_1490
; %bb.1483:                             ;   in Loop: Header=BB368_1062 Depth=1
	v_lshrrev_b32_e32 v6, 24, v18
	v_bfrev_b32_e32 v5, 1
	s_mov_b32 s16, exec_lo
	s_delay_alu instid0(VALU_DEP_2)
	v_cmpx_ne_u32_e32 0x80, v6
	s_cbranch_execz .LBB368_1489
; %bb.1484:                             ;   in Loop: Header=BB368_1062 Depth=1
	v_bfe_u32 v7, v18, 24, 7
	v_mov_b32_e32 v5, 0x7f800001
	s_mov_b32 s17, exec_lo
	s_delay_alu instid0(VALU_DEP_2)
	v_cmpx_ne_u32_e32 0x7f, v7
	s_cbranch_execz .LBB368_1488
; %bb.1485:                             ;   in Loop: Header=BB368_1062 Depth=1
	v_dual_lshrrev_b32 v5, 3, v7 :: v_dual_bitop2_b32 v22, 7, v6 bitop3:0x40
	s_mov_b32 s18, exec_lo
	s_delay_alu instid0(VALU_DEP_1)
	v_mov_b64_e32 v[34:35], v[22:23]
	v_cmpx_gt_u32_e32 8, v7
; %bb.1486:                             ;   in Loop: Header=BB368_1062 Depth=1
	v_clz_i32_u32_e32 v5, v22
	s_delay_alu instid0(VALU_DEP_1) | instskip(NEXT) | instid1(VALU_DEP_1)
	v_min_u32_e32 v5, 32, v5
	v_subrev_nc_u32_e32 v7, 28, v5
	s_delay_alu instid0(VALU_DEP_1) | instskip(NEXT) | instid1(VALU_DEP_1)
	v_lshlrev_b64_e32 v[8:9], v7, v[22:23]
	v_dual_sub_nc_u32 v5, 29, v5 :: v_dual_bitop2_b32 v34, 7, v8 bitop3:0x40
; %bb.1487:                             ;   in Loop: Header=BB368_1062 Depth=1
	s_or_b32 exec_lo, exec_lo, s18
	v_lshlrev_b32_e32 v6, 24, v6
	s_delay_alu instid0(VALU_DEP_2) | instskip(NEXT) | instid1(VALU_DEP_3)
	v_lshlrev_b32_e32 v7, 20, v34
	v_lshl_add_u32 v5, v5, 23, 0x3c000000
	s_delay_alu instid0(VALU_DEP_3) | instskip(NEXT) | instid1(VALU_DEP_1)
	v_and_b32_e32 v6, 0x80000000, v6
	v_or3_b32 v5, v7, v6, v5
.LBB368_1488:                           ;   in Loop: Header=BB368_1062 Depth=1
	s_or_b32 exec_lo, exec_lo, s17
.LBB368_1489:                           ;   in Loop: Header=BB368_1062 Depth=1
	s_delay_alu instid0(SALU_CYCLE_1)
	s_or_b32 exec_lo, exec_lo, s16
.LBB368_1490:                           ;   in Loop: Header=BB368_1062 Depth=1
	s_delay_alu instid0(SALU_CYCLE_1) | instskip(SKIP_4) | instid1(VALU_DEP_3)
	s_or_b32 exec_lo, exec_lo, s15
	v_and_b32_e32 v8, 0xff, v19
	v_dual_mov_b32 v22, v19 :: v_dual_mov_b32 v7, 0
	v_mov_b32_e32 v6, 0
	s_mov_b32 s15, exec_lo
	v_cmpx_ne_u16_e32 0, v8
	s_cbranch_execz .LBB368_1498
; %bb.1491:                             ;   in Loop: Header=BB368_1062 Depth=1
	v_bfrev_b32_e32 v6, 1
	s_mov_b32 s16, exec_lo
	v_cmpx_ne_u16_e32 0x80, v8
	s_cbranch_execz .LBB368_1497
; %bb.1492:                             ;   in Loop: Header=BB368_1062 Depth=1
	v_and_b32_e32 v8, 0x7f, v19
	v_mov_b32_e32 v6, 0x7f800001
	s_mov_b32 s17, exec_lo
	s_delay_alu instid0(VALU_DEP_2)
	v_cmpx_ne_u32_e32 0x7f, v8
	s_cbranch_execz .LBB368_1496
; %bb.1493:                             ;   in Loop: Header=BB368_1062 Depth=1
	v_mov_b64_e32 v[34:35], v[22:23]
	v_lshrrev_b32_e32 v6, 3, v8
	s_mov_b32 s18, exec_lo
	v_cmpx_gt_u32_e32 8, v8
; %bb.1494:                             ;   in Loop: Header=BB368_1062 Depth=1
	v_and_b32_e32 v6, 7, v19
	s_delay_alu instid0(VALU_DEP_1) | instskip(NEXT) | instid1(VALU_DEP_1)
	v_clz_i32_u32_e32 v6, v6
	v_min_u32_e32 v6, 32, v6
	s_delay_alu instid0(VALU_DEP_1) | instskip(SKIP_1) | instid1(VALU_DEP_2)
	v_subrev_nc_u32_e32 v8, 28, v6
	v_sub_nc_u32_e32 v6, 29, v6
	v_lshlrev_b64_e32 v[34:35], v8, v[22:23]
; %bb.1495:                             ;   in Loop: Header=BB368_1062 Depth=1
	s_or_b32 exec_lo, exec_lo, s18
	s_delay_alu instid0(VALU_DEP_1) | instskip(SKIP_2) | instid1(VALU_DEP_3)
	v_lshlrev_b32_e32 v8, 20, v34
	v_lshlrev_b32_e32 v9, 24, v22
	v_lshl_add_u32 v6, v6, 23, 0x3c000000
	v_and_b32_e32 v8, 0x700000, v8
	s_delay_alu instid0(VALU_DEP_3) | instskip(NEXT) | instid1(VALU_DEP_1)
	v_and_b32_e32 v9, 0x80000000, v9
	v_or3_b32 v6, v8, v9, v6
.LBB368_1496:                           ;   in Loop: Header=BB368_1062 Depth=1
	s_or_b32 exec_lo, exec_lo, s17
.LBB368_1497:                           ;   in Loop: Header=BB368_1062 Depth=1
	s_delay_alu instid0(SALU_CYCLE_1)
	s_or_b32 exec_lo, exec_lo, s16
.LBB368_1498:                           ;   in Loop: Header=BB368_1062 Depth=1
	s_delay_alu instid0(SALU_CYCLE_1) | instskip(SKIP_2) | instid1(VALU_DEP_1)
	s_or_b32 exec_lo, exec_lo, s15
	v_lshrrev_b16 v8, 8, v22
	s_mov_b32 s15, exec_lo
	v_cmpx_ne_u16_e32 0, v8
	s_cbranch_execz .LBB368_1506
; %bb.1499:                             ;   in Loop: Header=BB368_1062 Depth=1
	v_bfrev_b32_e32 v7, 1
	s_mov_b32 s16, exec_lo
	v_cmpx_ne_u16_e32 0x80, v8
	s_cbranch_execz .LBB368_1505
; %bb.1500:                             ;   in Loop: Header=BB368_1062 Depth=1
	v_and_b32_e32 v9, 0xffff, v8
	v_mov_b32_e32 v7, 0x7f800001
	s_mov_b32 s17, exec_lo
	s_delay_alu instid0(VALU_DEP_2) | instskip(NEXT) | instid1(VALU_DEP_1)
	v_and_b32_e32 v8, 0x7f, v9
	v_cmpx_ne_u32_e32 0x7f, v8
	s_cbranch_execz .LBB368_1504
; %bb.1501:                             ;   in Loop: Header=BB368_1062 Depth=1
	v_dual_mov_b32 v35, v23 :: v_dual_bitop2_b32 v34, 7, v9 bitop3:0x40
	v_lshrrev_b32_e32 v7, 3, v8
	s_mov_b32 s18, exec_lo
	v_cmpx_gt_u32_e32 8, v8
; %bb.1502:                             ;   in Loop: Header=BB368_1062 Depth=1
	s_delay_alu instid0(VALU_DEP_3) | instskip(NEXT) | instid1(VALU_DEP_1)
	v_clz_i32_u32_e32 v7, v34
	v_min_u32_e32 v7, 32, v7
	s_delay_alu instid0(VALU_DEP_1) | instskip(NEXT) | instid1(VALU_DEP_1)
	v_subrev_nc_u32_e32 v8, 28, v7
	v_lshlrev_b64_e32 v[8:9], v8, v[34:35]
	s_delay_alu instid0(VALU_DEP_1)
	v_dual_sub_nc_u32 v7, 29, v7 :: v_dual_bitop2_b32 v34, 7, v8 bitop3:0x40
; %bb.1503:                             ;   in Loop: Header=BB368_1062 Depth=1
	s_or_b32 exec_lo, exec_lo, s18
	v_lshlrev_b32_e32 v8, 16, v22
	s_delay_alu instid0(VALU_DEP_2) | instskip(NEXT) | instid1(VALU_DEP_3)
	v_lshlrev_b32_e32 v9, 20, v34
	v_lshl_add_u32 v7, v7, 23, 0x3c000000
	s_delay_alu instid0(VALU_DEP_3) | instskip(NEXT) | instid1(VALU_DEP_1)
	v_and_b32_e32 v8, 0x80000000, v8
	v_or3_b32 v7, v9, v8, v7
.LBB368_1504:                           ;   in Loop: Header=BB368_1062 Depth=1
	s_or_b32 exec_lo, exec_lo, s17
.LBB368_1505:                           ;   in Loop: Header=BB368_1062 Depth=1
	s_delay_alu instid0(SALU_CYCLE_1)
	s_or_b32 exec_lo, exec_lo, s16
.LBB368_1506:                           ;   in Loop: Header=BB368_1062 Depth=1
	s_delay_alu instid0(SALU_CYCLE_1) | instskip(SKIP_3) | instid1(VALU_DEP_2)
	s_or_b32 exec_lo, exec_lo, s15
	v_dual_lshrrev_b32 v32, 16, v19 :: v_dual_mov_b32 v8, 0
	v_mov_b32_e32 v9, 0
	s_mov_b32 s15, exec_lo
	v_and_b32_e32 v22, 0xff, v32
	s_delay_alu instid0(VALU_DEP_1)
	v_cmpx_ne_u16_e32 0, v22
	s_cbranch_execz .LBB368_1514
; %bb.1507:                             ;   in Loop: Header=BB368_1062 Depth=1
	v_bfrev_b32_e32 v9, 1
	s_mov_b32 s16, exec_lo
	v_cmpx_ne_u16_e32 0x80, v22
	s_cbranch_execz .LBB368_1513
; %bb.1508:                             ;   in Loop: Header=BB368_1062 Depth=1
	v_bfe_u32 v33, v19, 16, 7
	v_mov_b32_e32 v9, 0x7f800001
	s_mov_b32 s17, exec_lo
	s_delay_alu instid0(VALU_DEP_2)
	v_cmpx_ne_u32_e32 0x7f, v33
	s_cbranch_execz .LBB368_1512
; %bb.1509:                             ;   in Loop: Header=BB368_1062 Depth=1
	v_dual_lshrrev_b32 v9, 3, v33 :: v_dual_bitop2_b32 v22, 7, v32 bitop3:0x40
	s_mov_b32 s18, exec_lo
	s_delay_alu instid0(VALU_DEP_1)
	v_mov_b64_e32 v[34:35], v[22:23]
	v_cmpx_gt_u32_e32 8, v33
; %bb.1510:                             ;   in Loop: Header=BB368_1062 Depth=1
	v_clz_i32_u32_e32 v9, v22
	s_delay_alu instid0(VALU_DEP_1) | instskip(NEXT) | instid1(VALU_DEP_1)
	v_min_u32_e32 v9, 32, v9
	v_subrev_nc_u32_e32 v33, 28, v9
	s_delay_alu instid0(VALU_DEP_1) | instskip(NEXT) | instid1(VALU_DEP_1)
	v_lshlrev_b64_e32 v[34:35], v33, v[22:23]
	v_dual_sub_nc_u32 v9, 29, v9 :: v_dual_bitop2_b32 v34, 7, v34 bitop3:0x40
; %bb.1511:                             ;   in Loop: Header=BB368_1062 Depth=1
	s_or_b32 exec_lo, exec_lo, s18
	s_delay_alu instid0(VALU_DEP_1) | instskip(NEXT) | instid1(VALU_DEP_2)
	v_dual_lshlrev_b32 v22, 24, v32 :: v_dual_lshlrev_b32 v32, 20, v34
	v_lshl_add_u32 v9, v9, 23, 0x3c000000
	s_delay_alu instid0(VALU_DEP_2) | instskip(NEXT) | instid1(VALU_DEP_1)
	v_and_b32_e32 v22, 0x80000000, v22
	v_or3_b32 v9, v32, v22, v9
.LBB368_1512:                           ;   in Loop: Header=BB368_1062 Depth=1
	s_or_b32 exec_lo, exec_lo, s17
.LBB368_1513:                           ;   in Loop: Header=BB368_1062 Depth=1
	s_delay_alu instid0(SALU_CYCLE_1)
	s_or_b32 exec_lo, exec_lo, s16
.LBB368_1514:                           ;   in Loop: Header=BB368_1062 Depth=1
	s_delay_alu instid0(SALU_CYCLE_1) | instskip(NEXT) | instid1(SALU_CYCLE_1)
	s_or_b32 exec_lo, exec_lo, s15
	s_mov_b32 s15, exec_lo
	v_cmpx_lt_u64_e64 s[2:3], v[18:19]
	s_cbranch_execz .LBB368_1522
; %bb.1515:                             ;   in Loop: Header=BB368_1062 Depth=1
	v_lshrrev_b32_e32 v32, 24, v19
	v_bfrev_b32_e32 v8, 1
	s_mov_b32 s16, exec_lo
	s_delay_alu instid0(VALU_DEP_2)
	v_cmpx_ne_u32_e32 0x80, v32
	s_cbranch_execz .LBB368_1521
; %bb.1516:                             ;   in Loop: Header=BB368_1062 Depth=1
	v_bfe_u32 v18, v19, 24, 7
	v_mov_b32_e32 v8, 0x7f800001
	s_mov_b32 s17, exec_lo
	s_delay_alu instid0(VALU_DEP_2)
	v_cmpx_ne_u32_e32 0x7f, v18
	s_cbranch_execz .LBB368_1520
; %bb.1517:                             ;   in Loop: Header=BB368_1062 Depth=1
	v_dual_lshrrev_b32 v8, 3, v18 :: v_dual_bitop2_b32 v22, 7, v32 bitop3:0x40
	v_cmp_gt_u32_e64 s0, 8, v18
	s_delay_alu instid0(VALU_DEP_2)
	v_mov_b64_e32 v[18:19], v[22:23]
	s_and_saveexec_b32 s18, s0
; %bb.1518:                             ;   in Loop: Header=BB368_1062 Depth=1
	v_clz_i32_u32_e32 v8, v22
	s_delay_alu instid0(VALU_DEP_1) | instskip(NEXT) | instid1(VALU_DEP_1)
	v_min_u32_e32 v8, 32, v8
	v_subrev_nc_u32_e32 v18, 28, v8
	s_delay_alu instid0(VALU_DEP_1) | instskip(NEXT) | instid1(VALU_DEP_1)
	v_lshlrev_b64_e32 v[18:19], v18, v[22:23]
	v_dual_sub_nc_u32 v8, 29, v8 :: v_dual_bitop2_b32 v18, 7, v18 bitop3:0x40
; %bb.1519:                             ;   in Loop: Header=BB368_1062 Depth=1
	s_or_b32 exec_lo, exec_lo, s18
	s_delay_alu instid0(VALU_DEP_1) | instskip(NEXT) | instid1(VALU_DEP_2)
	v_dual_lshlrev_b32 v19, 24, v32 :: v_dual_lshlrev_b32 v18, 20, v18
	v_lshl_add_u32 v8, v8, 23, 0x3c000000
	s_delay_alu instid0(VALU_DEP_2) | instskip(NEXT) | instid1(VALU_DEP_1)
	v_and_b32_e32 v19, 0x80000000, v19
	v_or3_b32 v8, v18, v19, v8
.LBB368_1520:                           ;   in Loop: Header=BB368_1062 Depth=1
	s_or_b32 exec_lo, exec_lo, s17
.LBB368_1521:                           ;   in Loop: Header=BB368_1062 Depth=1
	s_delay_alu instid0(SALU_CYCLE_1)
	s_or_b32 exec_lo, exec_lo, s16
.LBB368_1522:                           ;   in Loop: Header=BB368_1062 Depth=1
	s_delay_alu instid0(SALU_CYCLE_1)
	s_or_b32 exec_lo, exec_lo, s15
	v_fma_mixlo_bf16 v75, v49, v7, 0
	v_fma_mixlo_bf16 v76, v49, v6, 0
	;; [unrolled: 1-line block ×8, first 2 shown]
	s_and_saveexec_b32 s15, vcc_lo
	s_cbranch_execz .LBB368_1524
; %bb.1523:                             ;   in Loop: Header=BB368_1062 Depth=1
	v_cmp_lt_i32_e64 s0, v102, v36
	s_delay_alu instid0(VALU_DEP_1) | instskip(SKIP_1) | instid1(VALU_DEP_1)
	v_cndmask_b32_e64 v90, 0, v90, s0
	v_cmp_lt_i32_e64 s0, v114, v36
	v_cndmask_b32_e64 v89, 0, v89, s0
	v_cmp_lt_i32_e64 s0, v113, v36
	s_delay_alu instid0(VALU_DEP_1) | instskip(SKIP_1) | instid1(VALU_DEP_1)
	v_cndmask_b32_e64 v88, 0, v88, s0
	v_cmp_lt_i32_e64 s0, v112, v36
	v_cndmask_b32_e64 v79, 0, v79, s0
	;; [unrolled: 5-line block ×4, first 2 shown]
.LBB368_1524:                           ;   in Loop: Header=BB368_1062 Depth=1
	s_or_b32 exec_lo, exec_lo, s15
	flat_load_b64 v[18:19], v[0:1] offset:1792
	v_dual_mov_b32 v3, 0 :: v_dual_mov_b32 v2, 0
	s_mov_b32 s15, exec_lo
	s_wait_loadcnt_dscnt 0x0
	v_and_b32_e32 v4, 0xff, v18
	s_wait_xcnt 0x0
	s_delay_alu instid0(VALU_DEP_1)
	v_cmpx_ne_u16_e32 0, v4
	s_cbranch_execz .LBB368_1532
; %bb.1525:                             ;   in Loop: Header=BB368_1062 Depth=1
	v_bfrev_b32_e32 v2, 1
	s_mov_b32 s16, exec_lo
	v_cmpx_ne_u16_e32 0x80, v4
	s_cbranch_execz .LBB368_1531
; %bb.1526:                             ;   in Loop: Header=BB368_1062 Depth=1
	v_and_b32_e32 v4, 0x7f, v18
	v_mov_b32_e32 v2, 0x7f800001
	s_mov_b32 s17, exec_lo
	s_delay_alu instid0(VALU_DEP_2)
	v_cmpx_ne_u32_e32 0x7f, v4
	s_cbranch_execz .LBB368_1530
; %bb.1527:                             ;   in Loop: Header=BB368_1062 Depth=1
	v_mov_b64_e32 v[34:35], v[18:19]
	v_lshrrev_b32_e32 v2, 3, v4
	s_mov_b32 s18, exec_lo
	v_cmpx_gt_u32_e32 8, v4
; %bb.1528:                             ;   in Loop: Header=BB368_1062 Depth=1
	v_and_b32_e32 v2, 7, v18
	s_delay_alu instid0(VALU_DEP_1) | instskip(NEXT) | instid1(VALU_DEP_1)
	v_clz_i32_u32_e32 v2, v2
	v_min_u32_e32 v2, 32, v2
	s_delay_alu instid0(VALU_DEP_1) | instskip(SKIP_1) | instid1(VALU_DEP_2)
	v_subrev_nc_u32_e32 v4, 28, v2
	v_sub_nc_u32_e32 v2, 29, v2
	v_lshlrev_b64_e32 v[34:35], v4, v[18:19]
; %bb.1529:                             ;   in Loop: Header=BB368_1062 Depth=1
	s_or_b32 exec_lo, exec_lo, s18
	s_delay_alu instid0(VALU_DEP_1) | instskip(SKIP_2) | instid1(VALU_DEP_3)
	v_lshlrev_b32_e32 v4, 20, v34
	v_lshlrev_b32_e32 v5, 24, v18
	v_lshl_add_u32 v2, v2, 23, 0x3c000000
	v_and_b32_e32 v4, 0x700000, v4
	s_delay_alu instid0(VALU_DEP_3) | instskip(NEXT) | instid1(VALU_DEP_1)
	v_and_b32_e32 v5, 0x80000000, v5
	v_or3_b32 v2, v4, v5, v2
.LBB368_1530:                           ;   in Loop: Header=BB368_1062 Depth=1
	s_or_b32 exec_lo, exec_lo, s17
.LBB368_1531:                           ;   in Loop: Header=BB368_1062 Depth=1
	s_delay_alu instid0(SALU_CYCLE_1)
	s_or_b32 exec_lo, exec_lo, s16
.LBB368_1532:                           ;   in Loop: Header=BB368_1062 Depth=1
	s_delay_alu instid0(SALU_CYCLE_1) | instskip(SKIP_2) | instid1(VALU_DEP_1)
	s_or_b32 exec_lo, exec_lo, s15
	v_lshrrev_b16 v4, 8, v18
	s_mov_b32 s15, exec_lo
	v_cmpx_ne_u16_e32 0, v4
	s_cbranch_execz .LBB368_1540
; %bb.1533:                             ;   in Loop: Header=BB368_1062 Depth=1
	v_bfrev_b32_e32 v3, 1
	s_mov_b32 s16, exec_lo
	v_cmpx_ne_u16_e32 0x80, v4
	s_cbranch_execz .LBB368_1539
; %bb.1534:                             ;   in Loop: Header=BB368_1062 Depth=1
	v_and_b32_e32 v5, 0xffff, v4
	v_mov_b32_e32 v3, 0x7f800001
	s_mov_b32 s17, exec_lo
	s_delay_alu instid0(VALU_DEP_2) | instskip(NEXT) | instid1(VALU_DEP_1)
	v_and_b32_e32 v4, 0x7f, v5
	v_cmpx_ne_u32_e32 0x7f, v4
	s_cbranch_execz .LBB368_1538
; %bb.1535:                             ;   in Loop: Header=BB368_1062 Depth=1
	v_dual_lshrrev_b32 v3, 3, v4 :: v_dual_bitop2_b32 v22, 7, v5 bitop3:0x40
	s_mov_b32 s18, exec_lo
	s_delay_alu instid0(VALU_DEP_1)
	v_mov_b64_e32 v[34:35], v[22:23]
	v_cmpx_gt_u32_e32 8, v4
; %bb.1536:                             ;   in Loop: Header=BB368_1062 Depth=1
	v_clz_i32_u32_e32 v3, v22
	s_delay_alu instid0(VALU_DEP_1) | instskip(NEXT) | instid1(VALU_DEP_1)
	v_min_u32_e32 v3, 32, v3
	v_subrev_nc_u32_e32 v4, 28, v3
	s_delay_alu instid0(VALU_DEP_1) | instskip(NEXT) | instid1(VALU_DEP_1)
	v_lshlrev_b64_e32 v[4:5], v4, v[22:23]
	v_dual_sub_nc_u32 v3, 29, v3 :: v_dual_bitop2_b32 v34, 7, v4 bitop3:0x40
; %bb.1537:                             ;   in Loop: Header=BB368_1062 Depth=1
	s_or_b32 exec_lo, exec_lo, s18
	v_lshlrev_b32_e32 v4, 16, v18
	s_delay_alu instid0(VALU_DEP_2) | instskip(NEXT) | instid1(VALU_DEP_3)
	v_lshlrev_b32_e32 v5, 20, v34
	v_lshl_add_u32 v3, v3, 23, 0x3c000000
	s_delay_alu instid0(VALU_DEP_3) | instskip(NEXT) | instid1(VALU_DEP_1)
	v_and_b32_e32 v4, 0x80000000, v4
	v_or3_b32 v3, v5, v4, v3
.LBB368_1538:                           ;   in Loop: Header=BB368_1062 Depth=1
	s_or_b32 exec_lo, exec_lo, s17
.LBB368_1539:                           ;   in Loop: Header=BB368_1062 Depth=1
	s_delay_alu instid0(SALU_CYCLE_1)
	s_or_b32 exec_lo, exec_lo, s16
.LBB368_1540:                           ;   in Loop: Header=BB368_1062 Depth=1
	s_delay_alu instid0(SALU_CYCLE_1) | instskip(SKIP_3) | instid1(VALU_DEP_2)
	s_or_b32 exec_lo, exec_lo, s15
	v_dual_mov_b32 v5, 0 :: v_dual_lshrrev_b32 v6, 16, v18
	v_mov_b32_e32 v4, 0
	s_mov_b32 s15, exec_lo
	v_and_b32_e32 v7, 0xff, v6
	s_delay_alu instid0(VALU_DEP_1)
	v_cmpx_ne_u16_e32 0, v7
	s_cbranch_execz .LBB368_1548
; %bb.1541:                             ;   in Loop: Header=BB368_1062 Depth=1
	v_bfrev_b32_e32 v4, 1
	s_mov_b32 s16, exec_lo
	v_cmpx_ne_u16_e32 0x80, v7
	s_cbranch_execz .LBB368_1547
; %bb.1542:                             ;   in Loop: Header=BB368_1062 Depth=1
	v_bfe_u32 v7, v18, 16, 7
	v_mov_b32_e32 v4, 0x7f800001
	s_mov_b32 s17, exec_lo
	s_delay_alu instid0(VALU_DEP_2)
	v_cmpx_ne_u32_e32 0x7f, v7
	s_cbranch_execz .LBB368_1546
; %bb.1543:                             ;   in Loop: Header=BB368_1062 Depth=1
	v_dual_lshrrev_b32 v4, 3, v7 :: v_dual_bitop2_b32 v22, 7, v6 bitop3:0x40
	s_mov_b32 s18, exec_lo
	s_delay_alu instid0(VALU_DEP_1)
	v_mov_b64_e32 v[34:35], v[22:23]
	v_cmpx_gt_u32_e32 8, v7
; %bb.1544:                             ;   in Loop: Header=BB368_1062 Depth=1
	v_clz_i32_u32_e32 v4, v22
	s_delay_alu instid0(VALU_DEP_1) | instskip(NEXT) | instid1(VALU_DEP_1)
	v_min_u32_e32 v4, 32, v4
	v_subrev_nc_u32_e32 v7, 28, v4
	v_sub_nc_u32_e32 v4, 29, v4
	s_delay_alu instid0(VALU_DEP_2) | instskip(NEXT) | instid1(VALU_DEP_1)
	v_lshlrev_b64_e32 v[8:9], v7, v[22:23]
	v_and_b32_e32 v34, 7, v8
; %bb.1545:                             ;   in Loop: Header=BB368_1062 Depth=1
	s_or_b32 exec_lo, exec_lo, s18
	v_lshlrev_b32_e32 v6, 24, v6
	s_delay_alu instid0(VALU_DEP_2) | instskip(SKIP_1) | instid1(VALU_DEP_3)
	v_lshlrev_b32_e32 v7, 20, v34
	v_lshl_add_u32 v4, v4, 23, 0x3c000000
	v_and_b32_e32 v6, 0x80000000, v6
	s_delay_alu instid0(VALU_DEP_1)
	v_or3_b32 v4, v7, v6, v4
.LBB368_1546:                           ;   in Loop: Header=BB368_1062 Depth=1
	s_or_b32 exec_lo, exec_lo, s17
.LBB368_1547:                           ;   in Loop: Header=BB368_1062 Depth=1
	s_delay_alu instid0(SALU_CYCLE_1)
	s_or_b32 exec_lo, exec_lo, s16
.LBB368_1548:                           ;   in Loop: Header=BB368_1062 Depth=1
	s_delay_alu instid0(SALU_CYCLE_1) | instskip(NEXT) | instid1(SALU_CYCLE_1)
	s_or_b32 exec_lo, exec_lo, s15
	s_mov_b32 s15, exec_lo
	v_cmpx_lt_u32_e32 0xffffff, v18
	s_cbranch_execz .LBB368_1556
; %bb.1549:                             ;   in Loop: Header=BB368_1062 Depth=1
	v_lshrrev_b32_e32 v6, 24, v18
	v_bfrev_b32_e32 v5, 1
	s_mov_b32 s16, exec_lo
	s_delay_alu instid0(VALU_DEP_2)
	v_cmpx_ne_u32_e32 0x80, v6
	s_cbranch_execz .LBB368_1555
; %bb.1550:                             ;   in Loop: Header=BB368_1062 Depth=1
	v_bfe_u32 v7, v18, 24, 7
	v_mov_b32_e32 v5, 0x7f800001
	s_mov_b32 s17, exec_lo
	s_delay_alu instid0(VALU_DEP_2)
	v_cmpx_ne_u32_e32 0x7f, v7
	s_cbranch_execz .LBB368_1554
; %bb.1551:                             ;   in Loop: Header=BB368_1062 Depth=1
	v_dual_lshrrev_b32 v5, 3, v7 :: v_dual_bitop2_b32 v22, 7, v6 bitop3:0x40
	s_mov_b32 s18, exec_lo
	s_delay_alu instid0(VALU_DEP_1)
	v_mov_b64_e32 v[34:35], v[22:23]
	v_cmpx_gt_u32_e32 8, v7
; %bb.1552:                             ;   in Loop: Header=BB368_1062 Depth=1
	v_clz_i32_u32_e32 v5, v22
	s_delay_alu instid0(VALU_DEP_1) | instskip(NEXT) | instid1(VALU_DEP_1)
	v_min_u32_e32 v5, 32, v5
	v_subrev_nc_u32_e32 v7, 28, v5
	s_delay_alu instid0(VALU_DEP_1) | instskip(NEXT) | instid1(VALU_DEP_1)
	v_lshlrev_b64_e32 v[8:9], v7, v[22:23]
	v_dual_sub_nc_u32 v5, 29, v5 :: v_dual_bitop2_b32 v34, 7, v8 bitop3:0x40
; %bb.1553:                             ;   in Loop: Header=BB368_1062 Depth=1
	s_or_b32 exec_lo, exec_lo, s18
	v_lshlrev_b32_e32 v6, 24, v6
	s_delay_alu instid0(VALU_DEP_2) | instskip(NEXT) | instid1(VALU_DEP_3)
	v_lshlrev_b32_e32 v7, 20, v34
	v_lshl_add_u32 v5, v5, 23, 0x3c000000
	s_delay_alu instid0(VALU_DEP_3) | instskip(NEXT) | instid1(VALU_DEP_1)
	v_and_b32_e32 v6, 0x80000000, v6
	v_or3_b32 v5, v7, v6, v5
.LBB368_1554:                           ;   in Loop: Header=BB368_1062 Depth=1
	s_or_b32 exec_lo, exec_lo, s17
.LBB368_1555:                           ;   in Loop: Header=BB368_1062 Depth=1
	s_delay_alu instid0(SALU_CYCLE_1)
	s_or_b32 exec_lo, exec_lo, s16
.LBB368_1556:                           ;   in Loop: Header=BB368_1062 Depth=1
	s_delay_alu instid0(SALU_CYCLE_1) | instskip(SKIP_4) | instid1(VALU_DEP_3)
	s_or_b32 exec_lo, exec_lo, s15
	v_and_b32_e32 v8, 0xff, v19
	v_dual_mov_b32 v22, v19 :: v_dual_mov_b32 v7, 0
	v_mov_b32_e32 v6, 0
	s_mov_b32 s15, exec_lo
	v_cmpx_ne_u16_e32 0, v8
	s_cbranch_execz .LBB368_1564
; %bb.1557:                             ;   in Loop: Header=BB368_1062 Depth=1
	v_bfrev_b32_e32 v6, 1
	s_mov_b32 s16, exec_lo
	v_cmpx_ne_u16_e32 0x80, v8
	s_cbranch_execz .LBB368_1563
; %bb.1558:                             ;   in Loop: Header=BB368_1062 Depth=1
	v_and_b32_e32 v8, 0x7f, v19
	v_mov_b32_e32 v6, 0x7f800001
	s_mov_b32 s17, exec_lo
	s_delay_alu instid0(VALU_DEP_2)
	v_cmpx_ne_u32_e32 0x7f, v8
	s_cbranch_execz .LBB368_1562
; %bb.1559:                             ;   in Loop: Header=BB368_1062 Depth=1
	v_mov_b64_e32 v[34:35], v[22:23]
	v_lshrrev_b32_e32 v6, 3, v8
	s_mov_b32 s18, exec_lo
	v_cmpx_gt_u32_e32 8, v8
; %bb.1560:                             ;   in Loop: Header=BB368_1062 Depth=1
	v_and_b32_e32 v6, 7, v19
	s_delay_alu instid0(VALU_DEP_1) | instskip(NEXT) | instid1(VALU_DEP_1)
	v_clz_i32_u32_e32 v6, v6
	v_min_u32_e32 v6, 32, v6
	s_delay_alu instid0(VALU_DEP_1) | instskip(SKIP_1) | instid1(VALU_DEP_2)
	v_subrev_nc_u32_e32 v8, 28, v6
	v_sub_nc_u32_e32 v6, 29, v6
	v_lshlrev_b64_e32 v[34:35], v8, v[22:23]
; %bb.1561:                             ;   in Loop: Header=BB368_1062 Depth=1
	s_or_b32 exec_lo, exec_lo, s18
	s_delay_alu instid0(VALU_DEP_1) | instskip(SKIP_2) | instid1(VALU_DEP_3)
	v_lshlrev_b32_e32 v8, 20, v34
	v_lshlrev_b32_e32 v9, 24, v22
	v_lshl_add_u32 v6, v6, 23, 0x3c000000
	v_and_b32_e32 v8, 0x700000, v8
	s_delay_alu instid0(VALU_DEP_3) | instskip(NEXT) | instid1(VALU_DEP_1)
	v_and_b32_e32 v9, 0x80000000, v9
	v_or3_b32 v6, v8, v9, v6
.LBB368_1562:                           ;   in Loop: Header=BB368_1062 Depth=1
	s_or_b32 exec_lo, exec_lo, s17
.LBB368_1563:                           ;   in Loop: Header=BB368_1062 Depth=1
	s_delay_alu instid0(SALU_CYCLE_1)
	s_or_b32 exec_lo, exec_lo, s16
.LBB368_1564:                           ;   in Loop: Header=BB368_1062 Depth=1
	s_delay_alu instid0(SALU_CYCLE_1) | instskip(SKIP_2) | instid1(VALU_DEP_1)
	s_or_b32 exec_lo, exec_lo, s15
	v_lshrrev_b16 v8, 8, v22
	s_mov_b32 s15, exec_lo
	v_cmpx_ne_u16_e32 0, v8
	s_cbranch_execz .LBB368_1572
; %bb.1565:                             ;   in Loop: Header=BB368_1062 Depth=1
	v_bfrev_b32_e32 v7, 1
	s_mov_b32 s16, exec_lo
	v_cmpx_ne_u16_e32 0x80, v8
	s_cbranch_execz .LBB368_1571
; %bb.1566:                             ;   in Loop: Header=BB368_1062 Depth=1
	v_and_b32_e32 v9, 0xffff, v8
	v_mov_b32_e32 v7, 0x7f800001
	s_mov_b32 s17, exec_lo
	s_delay_alu instid0(VALU_DEP_2) | instskip(NEXT) | instid1(VALU_DEP_1)
	v_and_b32_e32 v8, 0x7f, v9
	v_cmpx_ne_u32_e32 0x7f, v8
	s_cbranch_execz .LBB368_1570
; %bb.1567:                             ;   in Loop: Header=BB368_1062 Depth=1
	v_dual_mov_b32 v35, v23 :: v_dual_bitop2_b32 v34, 7, v9 bitop3:0x40
	v_lshrrev_b32_e32 v7, 3, v8
	s_mov_b32 s18, exec_lo
	v_cmpx_gt_u32_e32 8, v8
; %bb.1568:                             ;   in Loop: Header=BB368_1062 Depth=1
	s_delay_alu instid0(VALU_DEP_3) | instskip(NEXT) | instid1(VALU_DEP_1)
	v_clz_i32_u32_e32 v7, v34
	v_min_u32_e32 v7, 32, v7
	s_delay_alu instid0(VALU_DEP_1) | instskip(NEXT) | instid1(VALU_DEP_1)
	v_subrev_nc_u32_e32 v8, 28, v7
	v_lshlrev_b64_e32 v[8:9], v8, v[34:35]
	s_delay_alu instid0(VALU_DEP_1)
	v_dual_sub_nc_u32 v7, 29, v7 :: v_dual_bitop2_b32 v34, 7, v8 bitop3:0x40
; %bb.1569:                             ;   in Loop: Header=BB368_1062 Depth=1
	s_or_b32 exec_lo, exec_lo, s18
	v_lshlrev_b32_e32 v8, 16, v22
	s_delay_alu instid0(VALU_DEP_2) | instskip(NEXT) | instid1(VALU_DEP_3)
	v_lshlrev_b32_e32 v9, 20, v34
	v_lshl_add_u32 v7, v7, 23, 0x3c000000
	s_delay_alu instid0(VALU_DEP_3) | instskip(NEXT) | instid1(VALU_DEP_1)
	v_and_b32_e32 v8, 0x80000000, v8
	v_or3_b32 v7, v9, v8, v7
.LBB368_1570:                           ;   in Loop: Header=BB368_1062 Depth=1
	s_or_b32 exec_lo, exec_lo, s17
.LBB368_1571:                           ;   in Loop: Header=BB368_1062 Depth=1
	s_delay_alu instid0(SALU_CYCLE_1)
	s_or_b32 exec_lo, exec_lo, s16
.LBB368_1572:                           ;   in Loop: Header=BB368_1062 Depth=1
	s_delay_alu instid0(SALU_CYCLE_1) | instskip(SKIP_3) | instid1(VALU_DEP_2)
	s_or_b32 exec_lo, exec_lo, s15
	v_dual_lshrrev_b32 v32, 16, v19 :: v_dual_mov_b32 v8, 0
	v_mov_b32_e32 v9, 0
	s_mov_b32 s15, exec_lo
	v_and_b32_e32 v22, 0xff, v32
	s_delay_alu instid0(VALU_DEP_1)
	v_cmpx_ne_u16_e32 0, v22
	s_cbranch_execz .LBB368_1580
; %bb.1573:                             ;   in Loop: Header=BB368_1062 Depth=1
	v_bfrev_b32_e32 v9, 1
	s_mov_b32 s16, exec_lo
	v_cmpx_ne_u16_e32 0x80, v22
	s_cbranch_execz .LBB368_1579
; %bb.1574:                             ;   in Loop: Header=BB368_1062 Depth=1
	v_bfe_u32 v33, v19, 16, 7
	v_mov_b32_e32 v9, 0x7f800001
	s_mov_b32 s17, exec_lo
	s_delay_alu instid0(VALU_DEP_2)
	v_cmpx_ne_u32_e32 0x7f, v33
	s_cbranch_execz .LBB368_1578
; %bb.1575:                             ;   in Loop: Header=BB368_1062 Depth=1
	v_dual_lshrrev_b32 v9, 3, v33 :: v_dual_bitop2_b32 v22, 7, v32 bitop3:0x40
	s_mov_b32 s18, exec_lo
	s_delay_alu instid0(VALU_DEP_1)
	v_mov_b64_e32 v[34:35], v[22:23]
	v_cmpx_gt_u32_e32 8, v33
; %bb.1576:                             ;   in Loop: Header=BB368_1062 Depth=1
	v_clz_i32_u32_e32 v9, v22
	s_delay_alu instid0(VALU_DEP_1) | instskip(NEXT) | instid1(VALU_DEP_1)
	v_min_u32_e32 v9, 32, v9
	v_subrev_nc_u32_e32 v33, 28, v9
	s_delay_alu instid0(VALU_DEP_1) | instskip(NEXT) | instid1(VALU_DEP_1)
	v_lshlrev_b64_e32 v[34:35], v33, v[22:23]
	v_dual_sub_nc_u32 v9, 29, v9 :: v_dual_bitop2_b32 v34, 7, v34 bitop3:0x40
; %bb.1577:                             ;   in Loop: Header=BB368_1062 Depth=1
	s_or_b32 exec_lo, exec_lo, s18
	s_delay_alu instid0(VALU_DEP_1) | instskip(NEXT) | instid1(VALU_DEP_2)
	v_dual_lshlrev_b32 v22, 24, v32 :: v_dual_lshlrev_b32 v32, 20, v34
	v_lshl_add_u32 v9, v9, 23, 0x3c000000
	s_delay_alu instid0(VALU_DEP_2) | instskip(NEXT) | instid1(VALU_DEP_1)
	v_and_b32_e32 v22, 0x80000000, v22
	v_or3_b32 v9, v32, v22, v9
.LBB368_1578:                           ;   in Loop: Header=BB368_1062 Depth=1
	s_or_b32 exec_lo, exec_lo, s17
.LBB368_1579:                           ;   in Loop: Header=BB368_1062 Depth=1
	s_delay_alu instid0(SALU_CYCLE_1)
	s_or_b32 exec_lo, exec_lo, s16
.LBB368_1580:                           ;   in Loop: Header=BB368_1062 Depth=1
	s_delay_alu instid0(SALU_CYCLE_1) | instskip(NEXT) | instid1(SALU_CYCLE_1)
	s_or_b32 exec_lo, exec_lo, s15
	s_mov_b32 s15, exec_lo
	v_cmpx_lt_u64_e64 s[2:3], v[18:19]
	s_cbranch_execz .LBB368_1588
; %bb.1581:                             ;   in Loop: Header=BB368_1062 Depth=1
	v_lshrrev_b32_e32 v32, 24, v19
	v_bfrev_b32_e32 v8, 1
	s_mov_b32 s16, exec_lo
	s_delay_alu instid0(VALU_DEP_2)
	v_cmpx_ne_u32_e32 0x80, v32
	s_cbranch_execz .LBB368_1587
; %bb.1582:                             ;   in Loop: Header=BB368_1062 Depth=1
	v_bfe_u32 v18, v19, 24, 7
	v_mov_b32_e32 v8, 0x7f800001
	s_mov_b32 s17, exec_lo
	s_delay_alu instid0(VALU_DEP_2)
	v_cmpx_ne_u32_e32 0x7f, v18
	s_cbranch_execz .LBB368_1586
; %bb.1583:                             ;   in Loop: Header=BB368_1062 Depth=1
	v_dual_lshrrev_b32 v8, 3, v18 :: v_dual_bitop2_b32 v22, 7, v32 bitop3:0x40
	v_cmp_gt_u32_e64 s0, 8, v18
	s_delay_alu instid0(VALU_DEP_2)
	v_mov_b64_e32 v[18:19], v[22:23]
	s_and_saveexec_b32 s18, s0
; %bb.1584:                             ;   in Loop: Header=BB368_1062 Depth=1
	v_clz_i32_u32_e32 v8, v22
	s_delay_alu instid0(VALU_DEP_1) | instskip(NEXT) | instid1(VALU_DEP_1)
	v_min_u32_e32 v8, 32, v8
	v_subrev_nc_u32_e32 v18, 28, v8
	s_delay_alu instid0(VALU_DEP_1) | instskip(NEXT) | instid1(VALU_DEP_1)
	v_lshlrev_b64_e32 v[18:19], v18, v[22:23]
	v_dual_sub_nc_u32 v8, 29, v8 :: v_dual_bitop2_b32 v18, 7, v18 bitop3:0x40
; %bb.1585:                             ;   in Loop: Header=BB368_1062 Depth=1
	s_or_b32 exec_lo, exec_lo, s18
	s_delay_alu instid0(VALU_DEP_1) | instskip(NEXT) | instid1(VALU_DEP_2)
	v_dual_lshlrev_b32 v19, 24, v32 :: v_dual_lshlrev_b32 v18, 20, v18
	v_lshl_add_u32 v8, v8, 23, 0x3c000000
	s_delay_alu instid0(VALU_DEP_2) | instskip(NEXT) | instid1(VALU_DEP_1)
	v_and_b32_e32 v19, 0x80000000, v19
	v_or3_b32 v8, v18, v19, v8
.LBB368_1586:                           ;   in Loop: Header=BB368_1062 Depth=1
	s_or_b32 exec_lo, exec_lo, s17
.LBB368_1587:                           ;   in Loop: Header=BB368_1062 Depth=1
	s_delay_alu instid0(SALU_CYCLE_1)
	s_or_b32 exec_lo, exec_lo, s16
.LBB368_1588:                           ;   in Loop: Header=BB368_1062 Depth=1
	s_delay_alu instid0(SALU_CYCLE_1)
	s_or_b32 exec_lo, exec_lo, s15
	v_fma_mixlo_bf16 v91, v49, v7, 0
	v_fma_mixlo_bf16 v92, v49, v6, 0
	;; [unrolled: 1-line block ×8, first 2 shown]
	s_and_saveexec_b32 s15, vcc_lo
	s_cbranch_execz .LBB368_1590
; %bb.1589:                             ;   in Loop: Header=BB368_1062 Depth=1
	v_cmp_lt_i32_e64 s0, v102, v36
	s_delay_alu instid0(VALU_DEP_1) | instskip(SKIP_1) | instid1(VALU_DEP_1)
	v_cndmask_b32_e64 v106, 0, v106, s0
	v_cmp_lt_i32_e64 s0, v114, v36
	v_cndmask_b32_e64 v105, 0, v105, s0
	v_cmp_lt_i32_e64 s0, v113, v36
	s_delay_alu instid0(VALU_DEP_1) | instskip(SKIP_1) | instid1(VALU_DEP_1)
	v_cndmask_b32_e64 v104, 0, v104, s0
	v_cmp_lt_i32_e64 s0, v112, v36
	v_cndmask_b32_e64 v95, 0, v95, s0
	;; [unrolled: 5-line block ×4, first 2 shown]
.LBB368_1590:                           ;   in Loop: Header=BB368_1062 Depth=1
	s_or_b32 exec_lo, exec_lo, s15
	flat_load_b64 v[18:19], v[0:1] offset:2048
	v_dual_mov_b32 v3, 0 :: v_dual_mov_b32 v2, 0
	s_mov_b32 s15, exec_lo
	s_wait_loadcnt_dscnt 0x0
	v_and_b32_e32 v4, 0xff, v18
	s_wait_xcnt 0x0
	s_delay_alu instid0(VALU_DEP_1)
	v_cmpx_ne_u16_e32 0, v4
	s_cbranch_execz .LBB368_1598
; %bb.1591:                             ;   in Loop: Header=BB368_1062 Depth=1
	v_bfrev_b32_e32 v2, 1
	s_mov_b32 s16, exec_lo
	v_cmpx_ne_u16_e32 0x80, v4
	s_cbranch_execz .LBB368_1597
; %bb.1592:                             ;   in Loop: Header=BB368_1062 Depth=1
	v_and_b32_e32 v4, 0x7f, v18
	v_mov_b32_e32 v2, 0x7f800001
	s_mov_b32 s17, exec_lo
	s_delay_alu instid0(VALU_DEP_2)
	v_cmpx_ne_u32_e32 0x7f, v4
	s_cbranch_execz .LBB368_1596
; %bb.1593:                             ;   in Loop: Header=BB368_1062 Depth=1
	v_mov_b64_e32 v[34:35], v[18:19]
	v_lshrrev_b32_e32 v2, 3, v4
	s_mov_b32 s18, exec_lo
	v_cmpx_gt_u32_e32 8, v4
; %bb.1594:                             ;   in Loop: Header=BB368_1062 Depth=1
	v_and_b32_e32 v2, 7, v18
	s_delay_alu instid0(VALU_DEP_1) | instskip(NEXT) | instid1(VALU_DEP_1)
	v_clz_i32_u32_e32 v2, v2
	v_min_u32_e32 v2, 32, v2
	s_delay_alu instid0(VALU_DEP_1) | instskip(SKIP_1) | instid1(VALU_DEP_2)
	v_subrev_nc_u32_e32 v4, 28, v2
	v_sub_nc_u32_e32 v2, 29, v2
	v_lshlrev_b64_e32 v[34:35], v4, v[18:19]
; %bb.1595:                             ;   in Loop: Header=BB368_1062 Depth=1
	s_or_b32 exec_lo, exec_lo, s18
	s_delay_alu instid0(VALU_DEP_1) | instskip(SKIP_2) | instid1(VALU_DEP_3)
	v_lshlrev_b32_e32 v4, 20, v34
	v_lshlrev_b32_e32 v5, 24, v18
	v_lshl_add_u32 v2, v2, 23, 0x3c000000
	v_and_b32_e32 v4, 0x700000, v4
	s_delay_alu instid0(VALU_DEP_3) | instskip(NEXT) | instid1(VALU_DEP_1)
	v_and_b32_e32 v5, 0x80000000, v5
	v_or3_b32 v2, v4, v5, v2
.LBB368_1596:                           ;   in Loop: Header=BB368_1062 Depth=1
	s_or_b32 exec_lo, exec_lo, s17
.LBB368_1597:                           ;   in Loop: Header=BB368_1062 Depth=1
	s_delay_alu instid0(SALU_CYCLE_1)
	s_or_b32 exec_lo, exec_lo, s16
.LBB368_1598:                           ;   in Loop: Header=BB368_1062 Depth=1
	s_delay_alu instid0(SALU_CYCLE_1) | instskip(SKIP_2) | instid1(VALU_DEP_1)
	s_or_b32 exec_lo, exec_lo, s15
	v_lshrrev_b16 v4, 8, v18
	s_mov_b32 s15, exec_lo
	v_cmpx_ne_u16_e32 0, v4
	s_cbranch_execz .LBB368_1606
; %bb.1599:                             ;   in Loop: Header=BB368_1062 Depth=1
	v_bfrev_b32_e32 v3, 1
	s_mov_b32 s16, exec_lo
	v_cmpx_ne_u16_e32 0x80, v4
	s_cbranch_execz .LBB368_1605
; %bb.1600:                             ;   in Loop: Header=BB368_1062 Depth=1
	v_and_b32_e32 v5, 0xffff, v4
	v_mov_b32_e32 v3, 0x7f800001
	s_mov_b32 s17, exec_lo
	s_delay_alu instid0(VALU_DEP_2) | instskip(NEXT) | instid1(VALU_DEP_1)
	v_and_b32_e32 v4, 0x7f, v5
	v_cmpx_ne_u32_e32 0x7f, v4
	s_cbranch_execz .LBB368_1604
; %bb.1601:                             ;   in Loop: Header=BB368_1062 Depth=1
	v_dual_lshrrev_b32 v3, 3, v4 :: v_dual_bitop2_b32 v22, 7, v5 bitop3:0x40
	s_mov_b32 s18, exec_lo
	s_delay_alu instid0(VALU_DEP_1)
	v_mov_b64_e32 v[34:35], v[22:23]
	v_cmpx_gt_u32_e32 8, v4
; %bb.1602:                             ;   in Loop: Header=BB368_1062 Depth=1
	v_clz_i32_u32_e32 v3, v22
	s_delay_alu instid0(VALU_DEP_1) | instskip(NEXT) | instid1(VALU_DEP_1)
	v_min_u32_e32 v3, 32, v3
	v_subrev_nc_u32_e32 v4, 28, v3
	s_delay_alu instid0(VALU_DEP_1) | instskip(NEXT) | instid1(VALU_DEP_1)
	v_lshlrev_b64_e32 v[4:5], v4, v[22:23]
	v_dual_sub_nc_u32 v3, 29, v3 :: v_dual_bitop2_b32 v34, 7, v4 bitop3:0x40
; %bb.1603:                             ;   in Loop: Header=BB368_1062 Depth=1
	s_or_b32 exec_lo, exec_lo, s18
	v_lshlrev_b32_e32 v4, 16, v18
	s_delay_alu instid0(VALU_DEP_2) | instskip(NEXT) | instid1(VALU_DEP_3)
	v_lshlrev_b32_e32 v5, 20, v34
	v_lshl_add_u32 v3, v3, 23, 0x3c000000
	s_delay_alu instid0(VALU_DEP_3) | instskip(NEXT) | instid1(VALU_DEP_1)
	v_and_b32_e32 v4, 0x80000000, v4
	v_or3_b32 v3, v5, v4, v3
.LBB368_1604:                           ;   in Loop: Header=BB368_1062 Depth=1
	s_or_b32 exec_lo, exec_lo, s17
.LBB368_1605:                           ;   in Loop: Header=BB368_1062 Depth=1
	s_delay_alu instid0(SALU_CYCLE_1)
	s_or_b32 exec_lo, exec_lo, s16
.LBB368_1606:                           ;   in Loop: Header=BB368_1062 Depth=1
	s_delay_alu instid0(SALU_CYCLE_1) | instskip(SKIP_3) | instid1(VALU_DEP_2)
	s_or_b32 exec_lo, exec_lo, s15
	v_dual_mov_b32 v5, 0 :: v_dual_lshrrev_b32 v6, 16, v18
	v_mov_b32_e32 v4, 0
	s_mov_b32 s15, exec_lo
	v_and_b32_e32 v7, 0xff, v6
	s_delay_alu instid0(VALU_DEP_1)
	v_cmpx_ne_u16_e32 0, v7
	s_cbranch_execz .LBB368_1614
; %bb.1607:                             ;   in Loop: Header=BB368_1062 Depth=1
	v_bfrev_b32_e32 v4, 1
	s_mov_b32 s16, exec_lo
	v_cmpx_ne_u16_e32 0x80, v7
	s_cbranch_execz .LBB368_1613
; %bb.1608:                             ;   in Loop: Header=BB368_1062 Depth=1
	v_bfe_u32 v7, v18, 16, 7
	v_mov_b32_e32 v4, 0x7f800001
	s_mov_b32 s17, exec_lo
	s_delay_alu instid0(VALU_DEP_2)
	v_cmpx_ne_u32_e32 0x7f, v7
	s_cbranch_execz .LBB368_1612
; %bb.1609:                             ;   in Loop: Header=BB368_1062 Depth=1
	v_dual_lshrrev_b32 v4, 3, v7 :: v_dual_bitop2_b32 v22, 7, v6 bitop3:0x40
	s_mov_b32 s18, exec_lo
	s_delay_alu instid0(VALU_DEP_1)
	v_mov_b64_e32 v[34:35], v[22:23]
	v_cmpx_gt_u32_e32 8, v7
; %bb.1610:                             ;   in Loop: Header=BB368_1062 Depth=1
	v_clz_i32_u32_e32 v4, v22
	s_delay_alu instid0(VALU_DEP_1) | instskip(NEXT) | instid1(VALU_DEP_1)
	v_min_u32_e32 v4, 32, v4
	v_subrev_nc_u32_e32 v7, 28, v4
	v_sub_nc_u32_e32 v4, 29, v4
	s_delay_alu instid0(VALU_DEP_2) | instskip(NEXT) | instid1(VALU_DEP_1)
	v_lshlrev_b64_e32 v[8:9], v7, v[22:23]
	v_and_b32_e32 v34, 7, v8
; %bb.1611:                             ;   in Loop: Header=BB368_1062 Depth=1
	s_or_b32 exec_lo, exec_lo, s18
	v_lshlrev_b32_e32 v6, 24, v6
	s_delay_alu instid0(VALU_DEP_2) | instskip(SKIP_1) | instid1(VALU_DEP_3)
	v_lshlrev_b32_e32 v7, 20, v34
	v_lshl_add_u32 v4, v4, 23, 0x3c000000
	v_and_b32_e32 v6, 0x80000000, v6
	s_delay_alu instid0(VALU_DEP_1)
	v_or3_b32 v4, v7, v6, v4
.LBB368_1612:                           ;   in Loop: Header=BB368_1062 Depth=1
	s_or_b32 exec_lo, exec_lo, s17
.LBB368_1613:                           ;   in Loop: Header=BB368_1062 Depth=1
	s_delay_alu instid0(SALU_CYCLE_1)
	s_or_b32 exec_lo, exec_lo, s16
.LBB368_1614:                           ;   in Loop: Header=BB368_1062 Depth=1
	s_delay_alu instid0(SALU_CYCLE_1) | instskip(NEXT) | instid1(SALU_CYCLE_1)
	s_or_b32 exec_lo, exec_lo, s15
	s_mov_b32 s15, exec_lo
	v_cmpx_lt_u32_e32 0xffffff, v18
	s_cbranch_execz .LBB368_1622
; %bb.1615:                             ;   in Loop: Header=BB368_1062 Depth=1
	v_lshrrev_b32_e32 v6, 24, v18
	v_bfrev_b32_e32 v5, 1
	s_mov_b32 s16, exec_lo
	s_delay_alu instid0(VALU_DEP_2)
	v_cmpx_ne_u32_e32 0x80, v6
	s_cbranch_execz .LBB368_1621
; %bb.1616:                             ;   in Loop: Header=BB368_1062 Depth=1
	v_bfe_u32 v7, v18, 24, 7
	v_mov_b32_e32 v5, 0x7f800001
	s_mov_b32 s17, exec_lo
	s_delay_alu instid0(VALU_DEP_2)
	v_cmpx_ne_u32_e32 0x7f, v7
	s_cbranch_execz .LBB368_1620
; %bb.1617:                             ;   in Loop: Header=BB368_1062 Depth=1
	v_dual_lshrrev_b32 v5, 3, v7 :: v_dual_bitop2_b32 v22, 7, v6 bitop3:0x40
	s_mov_b32 s18, exec_lo
	s_delay_alu instid0(VALU_DEP_1)
	v_mov_b64_e32 v[34:35], v[22:23]
	v_cmpx_gt_u32_e32 8, v7
; %bb.1618:                             ;   in Loop: Header=BB368_1062 Depth=1
	v_clz_i32_u32_e32 v5, v22
	s_delay_alu instid0(VALU_DEP_1) | instskip(NEXT) | instid1(VALU_DEP_1)
	v_min_u32_e32 v5, 32, v5
	v_subrev_nc_u32_e32 v7, 28, v5
	s_delay_alu instid0(VALU_DEP_1) | instskip(NEXT) | instid1(VALU_DEP_1)
	v_lshlrev_b64_e32 v[8:9], v7, v[22:23]
	v_dual_sub_nc_u32 v5, 29, v5 :: v_dual_bitop2_b32 v34, 7, v8 bitop3:0x40
; %bb.1619:                             ;   in Loop: Header=BB368_1062 Depth=1
	s_or_b32 exec_lo, exec_lo, s18
	v_lshlrev_b32_e32 v6, 24, v6
	s_delay_alu instid0(VALU_DEP_2) | instskip(NEXT) | instid1(VALU_DEP_3)
	v_lshlrev_b32_e32 v7, 20, v34
	v_lshl_add_u32 v5, v5, 23, 0x3c000000
	s_delay_alu instid0(VALU_DEP_3) | instskip(NEXT) | instid1(VALU_DEP_1)
	v_and_b32_e32 v6, 0x80000000, v6
	v_or3_b32 v5, v7, v6, v5
.LBB368_1620:                           ;   in Loop: Header=BB368_1062 Depth=1
	s_or_b32 exec_lo, exec_lo, s17
.LBB368_1621:                           ;   in Loop: Header=BB368_1062 Depth=1
	s_delay_alu instid0(SALU_CYCLE_1)
	s_or_b32 exec_lo, exec_lo, s16
.LBB368_1622:                           ;   in Loop: Header=BB368_1062 Depth=1
	s_delay_alu instid0(SALU_CYCLE_1) | instskip(SKIP_4) | instid1(VALU_DEP_3)
	s_or_b32 exec_lo, exec_lo, s15
	v_and_b32_e32 v8, 0xff, v19
	v_dual_mov_b32 v22, v19 :: v_dual_mov_b32 v7, 0
	v_mov_b32_e32 v6, 0
	s_mov_b32 s15, exec_lo
	v_cmpx_ne_u16_e32 0, v8
	s_cbranch_execz .LBB368_1630
; %bb.1623:                             ;   in Loop: Header=BB368_1062 Depth=1
	v_bfrev_b32_e32 v6, 1
	s_mov_b32 s16, exec_lo
	v_cmpx_ne_u16_e32 0x80, v8
	s_cbranch_execz .LBB368_1629
; %bb.1624:                             ;   in Loop: Header=BB368_1062 Depth=1
	v_and_b32_e32 v8, 0x7f, v19
	v_mov_b32_e32 v6, 0x7f800001
	s_mov_b32 s17, exec_lo
	s_delay_alu instid0(VALU_DEP_2)
	v_cmpx_ne_u32_e32 0x7f, v8
	s_cbranch_execz .LBB368_1628
; %bb.1625:                             ;   in Loop: Header=BB368_1062 Depth=1
	v_mov_b64_e32 v[34:35], v[22:23]
	v_lshrrev_b32_e32 v6, 3, v8
	s_mov_b32 s18, exec_lo
	v_cmpx_gt_u32_e32 8, v8
; %bb.1626:                             ;   in Loop: Header=BB368_1062 Depth=1
	v_and_b32_e32 v6, 7, v19
	s_delay_alu instid0(VALU_DEP_1) | instskip(NEXT) | instid1(VALU_DEP_1)
	v_clz_i32_u32_e32 v6, v6
	v_min_u32_e32 v6, 32, v6
	s_delay_alu instid0(VALU_DEP_1) | instskip(SKIP_1) | instid1(VALU_DEP_2)
	v_subrev_nc_u32_e32 v8, 28, v6
	v_sub_nc_u32_e32 v6, 29, v6
	v_lshlrev_b64_e32 v[34:35], v8, v[22:23]
; %bb.1627:                             ;   in Loop: Header=BB368_1062 Depth=1
	s_or_b32 exec_lo, exec_lo, s18
	s_delay_alu instid0(VALU_DEP_1) | instskip(SKIP_2) | instid1(VALU_DEP_3)
	v_lshlrev_b32_e32 v8, 20, v34
	v_lshlrev_b32_e32 v9, 24, v22
	v_lshl_add_u32 v6, v6, 23, 0x3c000000
	v_and_b32_e32 v8, 0x700000, v8
	s_delay_alu instid0(VALU_DEP_3) | instskip(NEXT) | instid1(VALU_DEP_1)
	v_and_b32_e32 v9, 0x80000000, v9
	v_or3_b32 v6, v8, v9, v6
.LBB368_1628:                           ;   in Loop: Header=BB368_1062 Depth=1
	s_or_b32 exec_lo, exec_lo, s17
.LBB368_1629:                           ;   in Loop: Header=BB368_1062 Depth=1
	s_delay_alu instid0(SALU_CYCLE_1)
	s_or_b32 exec_lo, exec_lo, s16
.LBB368_1630:                           ;   in Loop: Header=BB368_1062 Depth=1
	s_delay_alu instid0(SALU_CYCLE_1) | instskip(SKIP_2) | instid1(VALU_DEP_1)
	s_or_b32 exec_lo, exec_lo, s15
	v_lshrrev_b16 v8, 8, v22
	s_mov_b32 s15, exec_lo
	v_cmpx_ne_u16_e32 0, v8
	s_cbranch_execz .LBB368_1638
; %bb.1631:                             ;   in Loop: Header=BB368_1062 Depth=1
	v_bfrev_b32_e32 v7, 1
	s_mov_b32 s16, exec_lo
	v_cmpx_ne_u16_e32 0x80, v8
	s_cbranch_execz .LBB368_1637
; %bb.1632:                             ;   in Loop: Header=BB368_1062 Depth=1
	v_and_b32_e32 v9, 0xffff, v8
	v_mov_b32_e32 v7, 0x7f800001
	s_mov_b32 s17, exec_lo
	s_delay_alu instid0(VALU_DEP_2) | instskip(NEXT) | instid1(VALU_DEP_1)
	v_and_b32_e32 v8, 0x7f, v9
	v_cmpx_ne_u32_e32 0x7f, v8
	s_cbranch_execz .LBB368_1636
; %bb.1633:                             ;   in Loop: Header=BB368_1062 Depth=1
	v_dual_mov_b32 v35, v23 :: v_dual_bitop2_b32 v34, 7, v9 bitop3:0x40
	v_lshrrev_b32_e32 v7, 3, v8
	s_mov_b32 s18, exec_lo
	v_cmpx_gt_u32_e32 8, v8
; %bb.1634:                             ;   in Loop: Header=BB368_1062 Depth=1
	s_delay_alu instid0(VALU_DEP_3) | instskip(NEXT) | instid1(VALU_DEP_1)
	v_clz_i32_u32_e32 v7, v34
	v_min_u32_e32 v7, 32, v7
	s_delay_alu instid0(VALU_DEP_1) | instskip(NEXT) | instid1(VALU_DEP_1)
	v_subrev_nc_u32_e32 v8, 28, v7
	v_lshlrev_b64_e32 v[8:9], v8, v[34:35]
	s_delay_alu instid0(VALU_DEP_1)
	v_dual_sub_nc_u32 v7, 29, v7 :: v_dual_bitop2_b32 v34, 7, v8 bitop3:0x40
; %bb.1635:                             ;   in Loop: Header=BB368_1062 Depth=1
	s_or_b32 exec_lo, exec_lo, s18
	v_lshlrev_b32_e32 v8, 16, v22
	s_delay_alu instid0(VALU_DEP_2) | instskip(NEXT) | instid1(VALU_DEP_3)
	v_lshlrev_b32_e32 v9, 20, v34
	v_lshl_add_u32 v7, v7, 23, 0x3c000000
	s_delay_alu instid0(VALU_DEP_3) | instskip(NEXT) | instid1(VALU_DEP_1)
	v_and_b32_e32 v8, 0x80000000, v8
	v_or3_b32 v7, v9, v8, v7
.LBB368_1636:                           ;   in Loop: Header=BB368_1062 Depth=1
	s_or_b32 exec_lo, exec_lo, s17
.LBB368_1637:                           ;   in Loop: Header=BB368_1062 Depth=1
	s_delay_alu instid0(SALU_CYCLE_1)
	s_or_b32 exec_lo, exec_lo, s16
.LBB368_1638:                           ;   in Loop: Header=BB368_1062 Depth=1
	s_delay_alu instid0(SALU_CYCLE_1) | instskip(SKIP_3) | instid1(VALU_DEP_2)
	s_or_b32 exec_lo, exec_lo, s15
	v_dual_lshrrev_b32 v32, 16, v19 :: v_dual_mov_b32 v8, 0
	v_mov_b32_e32 v9, 0
	s_mov_b32 s15, exec_lo
	v_and_b32_e32 v22, 0xff, v32
	s_delay_alu instid0(VALU_DEP_1)
	v_cmpx_ne_u16_e32 0, v22
	s_cbranch_execz .LBB368_1646
; %bb.1639:                             ;   in Loop: Header=BB368_1062 Depth=1
	v_bfrev_b32_e32 v9, 1
	s_mov_b32 s16, exec_lo
	v_cmpx_ne_u16_e32 0x80, v22
	s_cbranch_execz .LBB368_1645
; %bb.1640:                             ;   in Loop: Header=BB368_1062 Depth=1
	v_bfe_u32 v33, v19, 16, 7
	v_mov_b32_e32 v9, 0x7f800001
	s_mov_b32 s17, exec_lo
	s_delay_alu instid0(VALU_DEP_2)
	v_cmpx_ne_u32_e32 0x7f, v33
	s_cbranch_execz .LBB368_1644
; %bb.1641:                             ;   in Loop: Header=BB368_1062 Depth=1
	v_dual_lshrrev_b32 v9, 3, v33 :: v_dual_bitop2_b32 v22, 7, v32 bitop3:0x40
	s_mov_b32 s18, exec_lo
	s_delay_alu instid0(VALU_DEP_1)
	v_mov_b64_e32 v[34:35], v[22:23]
	v_cmpx_gt_u32_e32 8, v33
; %bb.1642:                             ;   in Loop: Header=BB368_1062 Depth=1
	v_clz_i32_u32_e32 v9, v22
	s_delay_alu instid0(VALU_DEP_1) | instskip(NEXT) | instid1(VALU_DEP_1)
	v_min_u32_e32 v9, 32, v9
	v_subrev_nc_u32_e32 v33, 28, v9
	s_delay_alu instid0(VALU_DEP_1) | instskip(NEXT) | instid1(VALU_DEP_1)
	v_lshlrev_b64_e32 v[34:35], v33, v[22:23]
	v_dual_sub_nc_u32 v9, 29, v9 :: v_dual_bitop2_b32 v34, 7, v34 bitop3:0x40
; %bb.1643:                             ;   in Loop: Header=BB368_1062 Depth=1
	s_or_b32 exec_lo, exec_lo, s18
	s_delay_alu instid0(VALU_DEP_1) | instskip(NEXT) | instid1(VALU_DEP_2)
	v_dual_lshlrev_b32 v22, 24, v32 :: v_dual_lshlrev_b32 v32, 20, v34
	v_lshl_add_u32 v9, v9, 23, 0x3c000000
	s_delay_alu instid0(VALU_DEP_2) | instskip(NEXT) | instid1(VALU_DEP_1)
	v_and_b32_e32 v22, 0x80000000, v22
	v_or3_b32 v9, v32, v22, v9
.LBB368_1644:                           ;   in Loop: Header=BB368_1062 Depth=1
	s_or_b32 exec_lo, exec_lo, s17
.LBB368_1645:                           ;   in Loop: Header=BB368_1062 Depth=1
	s_delay_alu instid0(SALU_CYCLE_1)
	s_or_b32 exec_lo, exec_lo, s16
.LBB368_1646:                           ;   in Loop: Header=BB368_1062 Depth=1
	s_delay_alu instid0(SALU_CYCLE_1) | instskip(NEXT) | instid1(SALU_CYCLE_1)
	s_or_b32 exec_lo, exec_lo, s15
	s_mov_b32 s15, exec_lo
	v_cmpx_lt_u64_e64 s[2:3], v[18:19]
	s_cbranch_execz .LBB368_1654
; %bb.1647:                             ;   in Loop: Header=BB368_1062 Depth=1
	v_lshrrev_b32_e32 v32, 24, v19
	v_bfrev_b32_e32 v8, 1
	s_mov_b32 s16, exec_lo
	s_delay_alu instid0(VALU_DEP_2)
	v_cmpx_ne_u32_e32 0x80, v32
	s_cbranch_execz .LBB368_1653
; %bb.1648:                             ;   in Loop: Header=BB368_1062 Depth=1
	v_bfe_u32 v18, v19, 24, 7
	v_mov_b32_e32 v8, 0x7f800001
	s_mov_b32 s17, exec_lo
	s_delay_alu instid0(VALU_DEP_2)
	v_cmpx_ne_u32_e32 0x7f, v18
	s_cbranch_execz .LBB368_1652
; %bb.1649:                             ;   in Loop: Header=BB368_1062 Depth=1
	v_dual_lshrrev_b32 v8, 3, v18 :: v_dual_bitop2_b32 v22, 7, v32 bitop3:0x40
	v_cmp_gt_u32_e64 s0, 8, v18
	s_delay_alu instid0(VALU_DEP_2)
	v_mov_b64_e32 v[18:19], v[22:23]
	s_and_saveexec_b32 s18, s0
; %bb.1650:                             ;   in Loop: Header=BB368_1062 Depth=1
	v_clz_i32_u32_e32 v8, v22
	s_delay_alu instid0(VALU_DEP_1) | instskip(NEXT) | instid1(VALU_DEP_1)
	v_min_u32_e32 v8, 32, v8
	v_subrev_nc_u32_e32 v18, 28, v8
	s_delay_alu instid0(VALU_DEP_1) | instskip(NEXT) | instid1(VALU_DEP_1)
	v_lshlrev_b64_e32 v[18:19], v18, v[22:23]
	v_dual_sub_nc_u32 v8, 29, v8 :: v_dual_bitop2_b32 v18, 7, v18 bitop3:0x40
; %bb.1651:                             ;   in Loop: Header=BB368_1062 Depth=1
	s_or_b32 exec_lo, exec_lo, s18
	s_delay_alu instid0(VALU_DEP_1) | instskip(NEXT) | instid1(VALU_DEP_2)
	v_dual_lshlrev_b32 v19, 24, v32 :: v_dual_lshlrev_b32 v18, 20, v18
	v_lshl_add_u32 v8, v8, 23, 0x3c000000
	s_delay_alu instid0(VALU_DEP_2) | instskip(NEXT) | instid1(VALU_DEP_1)
	v_and_b32_e32 v19, 0x80000000, v19
	v_or3_b32 v8, v18, v19, v8
.LBB368_1652:                           ;   in Loop: Header=BB368_1062 Depth=1
	s_or_b32 exec_lo, exec_lo, s17
.LBB368_1653:                           ;   in Loop: Header=BB368_1062 Depth=1
	s_delay_alu instid0(SALU_CYCLE_1)
	s_or_b32 exec_lo, exec_lo, s16
.LBB368_1654:                           ;   in Loop: Header=BB368_1062 Depth=1
	s_delay_alu instid0(SALU_CYCLE_1)
	s_or_b32 exec_lo, exec_lo, s15
	v_fma_mixlo_bf16 v107, v49, v7, 0
	v_fma_mixlo_bf16 v108, v49, v6, 0
	;; [unrolled: 1-line block ×8, first 2 shown]
	s_and_saveexec_b32 s15, vcc_lo
	s_cbranch_execz .LBB368_1656
; %bb.1655:                             ;   in Loop: Header=BB368_1062 Depth=1
	v_cmp_lt_i32_e64 s0, v102, v36
	s_delay_alu instid0(VALU_DEP_1) | instskip(SKIP_1) | instid1(VALU_DEP_1)
	v_cndmask_b32_e64 v122, 0, v122, s0
	v_cmp_lt_i32_e64 s0, v114, v36
	v_cndmask_b32_e64 v121, 0, v121, s0
	v_cmp_lt_i32_e64 s0, v113, v36
	s_delay_alu instid0(VALU_DEP_1) | instskip(SKIP_1) | instid1(VALU_DEP_1)
	v_cndmask_b32_e64 v120, 0, v120, s0
	v_cmp_lt_i32_e64 s0, v112, v36
	v_cndmask_b32_e64 v111, 0, v111, s0
	;; [unrolled: 5-line block ×4, first 2 shown]
.LBB368_1656:                           ;   in Loop: Header=BB368_1062 Depth=1
	s_or_b32 exec_lo, exec_lo, s15
	flat_load_b64 v[18:19], v[0:1] offset:2304
	v_dual_mov_b32 v3, 0 :: v_dual_mov_b32 v2, 0
	s_mov_b32 s15, exec_lo
	s_wait_loadcnt_dscnt 0x0
	v_and_b32_e32 v4, 0xff, v18
	s_wait_xcnt 0x0
	s_delay_alu instid0(VALU_DEP_1)
	v_cmpx_ne_u16_e32 0, v4
	s_cbranch_execz .LBB368_1664
; %bb.1657:                             ;   in Loop: Header=BB368_1062 Depth=1
	v_bfrev_b32_e32 v2, 1
	s_mov_b32 s16, exec_lo
	v_cmpx_ne_u16_e32 0x80, v4
	s_cbranch_execz .LBB368_1663
; %bb.1658:                             ;   in Loop: Header=BB368_1062 Depth=1
	v_and_b32_e32 v4, 0x7f, v18
	v_mov_b32_e32 v2, 0x7f800001
	s_mov_b32 s17, exec_lo
	s_delay_alu instid0(VALU_DEP_2)
	v_cmpx_ne_u32_e32 0x7f, v4
	s_cbranch_execz .LBB368_1662
; %bb.1659:                             ;   in Loop: Header=BB368_1062 Depth=1
	v_mov_b64_e32 v[34:35], v[18:19]
	v_lshrrev_b32_e32 v2, 3, v4
	s_mov_b32 s18, exec_lo
	v_cmpx_gt_u32_e32 8, v4
; %bb.1660:                             ;   in Loop: Header=BB368_1062 Depth=1
	v_and_b32_e32 v2, 7, v18
	s_delay_alu instid0(VALU_DEP_1) | instskip(NEXT) | instid1(VALU_DEP_1)
	v_clz_i32_u32_e32 v2, v2
	v_min_u32_e32 v2, 32, v2
	s_delay_alu instid0(VALU_DEP_1) | instskip(SKIP_1) | instid1(VALU_DEP_2)
	v_subrev_nc_u32_e32 v4, 28, v2
	v_sub_nc_u32_e32 v2, 29, v2
	v_lshlrev_b64_e32 v[34:35], v4, v[18:19]
; %bb.1661:                             ;   in Loop: Header=BB368_1062 Depth=1
	s_or_b32 exec_lo, exec_lo, s18
	s_delay_alu instid0(VALU_DEP_1) | instskip(SKIP_2) | instid1(VALU_DEP_3)
	v_lshlrev_b32_e32 v4, 20, v34
	v_lshlrev_b32_e32 v5, 24, v18
	v_lshl_add_u32 v2, v2, 23, 0x3c000000
	v_and_b32_e32 v4, 0x700000, v4
	s_delay_alu instid0(VALU_DEP_3) | instskip(NEXT) | instid1(VALU_DEP_1)
	v_and_b32_e32 v5, 0x80000000, v5
	v_or3_b32 v2, v4, v5, v2
.LBB368_1662:                           ;   in Loop: Header=BB368_1062 Depth=1
	s_or_b32 exec_lo, exec_lo, s17
.LBB368_1663:                           ;   in Loop: Header=BB368_1062 Depth=1
	s_delay_alu instid0(SALU_CYCLE_1)
	s_or_b32 exec_lo, exec_lo, s16
.LBB368_1664:                           ;   in Loop: Header=BB368_1062 Depth=1
	s_delay_alu instid0(SALU_CYCLE_1) | instskip(SKIP_2) | instid1(VALU_DEP_1)
	s_or_b32 exec_lo, exec_lo, s15
	v_lshrrev_b16 v4, 8, v18
	s_mov_b32 s15, exec_lo
	v_cmpx_ne_u16_e32 0, v4
	s_cbranch_execz .LBB368_1672
; %bb.1665:                             ;   in Loop: Header=BB368_1062 Depth=1
	v_bfrev_b32_e32 v3, 1
	s_mov_b32 s16, exec_lo
	v_cmpx_ne_u16_e32 0x80, v4
	s_cbranch_execz .LBB368_1671
; %bb.1666:                             ;   in Loop: Header=BB368_1062 Depth=1
	v_and_b32_e32 v5, 0xffff, v4
	v_mov_b32_e32 v3, 0x7f800001
	s_mov_b32 s17, exec_lo
	s_delay_alu instid0(VALU_DEP_2) | instskip(NEXT) | instid1(VALU_DEP_1)
	v_and_b32_e32 v4, 0x7f, v5
	v_cmpx_ne_u32_e32 0x7f, v4
	s_cbranch_execz .LBB368_1670
; %bb.1667:                             ;   in Loop: Header=BB368_1062 Depth=1
	v_dual_lshrrev_b32 v3, 3, v4 :: v_dual_bitop2_b32 v22, 7, v5 bitop3:0x40
	s_mov_b32 s18, exec_lo
	s_delay_alu instid0(VALU_DEP_1)
	v_mov_b64_e32 v[34:35], v[22:23]
	v_cmpx_gt_u32_e32 8, v4
; %bb.1668:                             ;   in Loop: Header=BB368_1062 Depth=1
	v_clz_i32_u32_e32 v3, v22
	s_delay_alu instid0(VALU_DEP_1) | instskip(NEXT) | instid1(VALU_DEP_1)
	v_min_u32_e32 v3, 32, v3
	v_subrev_nc_u32_e32 v4, 28, v3
	s_delay_alu instid0(VALU_DEP_1) | instskip(NEXT) | instid1(VALU_DEP_1)
	v_lshlrev_b64_e32 v[4:5], v4, v[22:23]
	v_dual_sub_nc_u32 v3, 29, v3 :: v_dual_bitop2_b32 v34, 7, v4 bitop3:0x40
; %bb.1669:                             ;   in Loop: Header=BB368_1062 Depth=1
	s_or_b32 exec_lo, exec_lo, s18
	v_lshlrev_b32_e32 v4, 16, v18
	s_delay_alu instid0(VALU_DEP_2) | instskip(NEXT) | instid1(VALU_DEP_3)
	v_lshlrev_b32_e32 v5, 20, v34
	v_lshl_add_u32 v3, v3, 23, 0x3c000000
	s_delay_alu instid0(VALU_DEP_3) | instskip(NEXT) | instid1(VALU_DEP_1)
	v_and_b32_e32 v4, 0x80000000, v4
	v_or3_b32 v3, v5, v4, v3
.LBB368_1670:                           ;   in Loop: Header=BB368_1062 Depth=1
	s_or_b32 exec_lo, exec_lo, s17
.LBB368_1671:                           ;   in Loop: Header=BB368_1062 Depth=1
	s_delay_alu instid0(SALU_CYCLE_1)
	s_or_b32 exec_lo, exec_lo, s16
.LBB368_1672:                           ;   in Loop: Header=BB368_1062 Depth=1
	s_delay_alu instid0(SALU_CYCLE_1) | instskip(SKIP_3) | instid1(VALU_DEP_2)
	s_or_b32 exec_lo, exec_lo, s15
	v_dual_mov_b32 v5, 0 :: v_dual_lshrrev_b32 v6, 16, v18
	v_mov_b32_e32 v4, 0
	s_mov_b32 s15, exec_lo
	v_and_b32_e32 v7, 0xff, v6
	s_delay_alu instid0(VALU_DEP_1)
	v_cmpx_ne_u16_e32 0, v7
	s_cbranch_execz .LBB368_1680
; %bb.1673:                             ;   in Loop: Header=BB368_1062 Depth=1
	v_bfrev_b32_e32 v4, 1
	s_mov_b32 s16, exec_lo
	v_cmpx_ne_u16_e32 0x80, v7
	s_cbranch_execz .LBB368_1679
; %bb.1674:                             ;   in Loop: Header=BB368_1062 Depth=1
	v_bfe_u32 v7, v18, 16, 7
	v_mov_b32_e32 v4, 0x7f800001
	s_mov_b32 s17, exec_lo
	s_delay_alu instid0(VALU_DEP_2)
	v_cmpx_ne_u32_e32 0x7f, v7
	s_cbranch_execz .LBB368_1678
; %bb.1675:                             ;   in Loop: Header=BB368_1062 Depth=1
	v_dual_lshrrev_b32 v4, 3, v7 :: v_dual_bitop2_b32 v22, 7, v6 bitop3:0x40
	s_mov_b32 s18, exec_lo
	s_delay_alu instid0(VALU_DEP_1)
	v_mov_b64_e32 v[34:35], v[22:23]
	v_cmpx_gt_u32_e32 8, v7
; %bb.1676:                             ;   in Loop: Header=BB368_1062 Depth=1
	v_clz_i32_u32_e32 v4, v22
	s_delay_alu instid0(VALU_DEP_1) | instskip(NEXT) | instid1(VALU_DEP_1)
	v_min_u32_e32 v4, 32, v4
	v_subrev_nc_u32_e32 v7, 28, v4
	v_sub_nc_u32_e32 v4, 29, v4
	s_delay_alu instid0(VALU_DEP_2) | instskip(NEXT) | instid1(VALU_DEP_1)
	v_lshlrev_b64_e32 v[8:9], v7, v[22:23]
	v_and_b32_e32 v34, 7, v8
; %bb.1677:                             ;   in Loop: Header=BB368_1062 Depth=1
	s_or_b32 exec_lo, exec_lo, s18
	v_lshlrev_b32_e32 v6, 24, v6
	s_delay_alu instid0(VALU_DEP_2) | instskip(SKIP_1) | instid1(VALU_DEP_3)
	v_lshlrev_b32_e32 v7, 20, v34
	v_lshl_add_u32 v4, v4, 23, 0x3c000000
	v_and_b32_e32 v6, 0x80000000, v6
	s_delay_alu instid0(VALU_DEP_1)
	v_or3_b32 v4, v7, v6, v4
.LBB368_1678:                           ;   in Loop: Header=BB368_1062 Depth=1
	s_or_b32 exec_lo, exec_lo, s17
.LBB368_1679:                           ;   in Loop: Header=BB368_1062 Depth=1
	s_delay_alu instid0(SALU_CYCLE_1)
	s_or_b32 exec_lo, exec_lo, s16
.LBB368_1680:                           ;   in Loop: Header=BB368_1062 Depth=1
	s_delay_alu instid0(SALU_CYCLE_1) | instskip(NEXT) | instid1(SALU_CYCLE_1)
	s_or_b32 exec_lo, exec_lo, s15
	s_mov_b32 s15, exec_lo
	v_cmpx_lt_u32_e32 0xffffff, v18
	s_cbranch_execz .LBB368_1688
; %bb.1681:                             ;   in Loop: Header=BB368_1062 Depth=1
	v_lshrrev_b32_e32 v6, 24, v18
	v_bfrev_b32_e32 v5, 1
	s_mov_b32 s16, exec_lo
	s_delay_alu instid0(VALU_DEP_2)
	v_cmpx_ne_u32_e32 0x80, v6
	s_cbranch_execz .LBB368_1687
; %bb.1682:                             ;   in Loop: Header=BB368_1062 Depth=1
	v_bfe_u32 v7, v18, 24, 7
	v_mov_b32_e32 v5, 0x7f800001
	s_mov_b32 s17, exec_lo
	s_delay_alu instid0(VALU_DEP_2)
	v_cmpx_ne_u32_e32 0x7f, v7
	s_cbranch_execz .LBB368_1686
; %bb.1683:                             ;   in Loop: Header=BB368_1062 Depth=1
	v_dual_lshrrev_b32 v5, 3, v7 :: v_dual_bitop2_b32 v22, 7, v6 bitop3:0x40
	s_mov_b32 s18, exec_lo
	s_delay_alu instid0(VALU_DEP_1)
	v_mov_b64_e32 v[34:35], v[22:23]
	v_cmpx_gt_u32_e32 8, v7
; %bb.1684:                             ;   in Loop: Header=BB368_1062 Depth=1
	v_clz_i32_u32_e32 v5, v22
	s_delay_alu instid0(VALU_DEP_1) | instskip(NEXT) | instid1(VALU_DEP_1)
	v_min_u32_e32 v5, 32, v5
	v_subrev_nc_u32_e32 v7, 28, v5
	s_delay_alu instid0(VALU_DEP_1) | instskip(NEXT) | instid1(VALU_DEP_1)
	v_lshlrev_b64_e32 v[8:9], v7, v[22:23]
	v_dual_sub_nc_u32 v5, 29, v5 :: v_dual_bitop2_b32 v34, 7, v8 bitop3:0x40
; %bb.1685:                             ;   in Loop: Header=BB368_1062 Depth=1
	s_or_b32 exec_lo, exec_lo, s18
	v_lshlrev_b32_e32 v6, 24, v6
	s_delay_alu instid0(VALU_DEP_2) | instskip(NEXT) | instid1(VALU_DEP_3)
	v_lshlrev_b32_e32 v7, 20, v34
	v_lshl_add_u32 v5, v5, 23, 0x3c000000
	s_delay_alu instid0(VALU_DEP_3) | instskip(NEXT) | instid1(VALU_DEP_1)
	v_and_b32_e32 v6, 0x80000000, v6
	v_or3_b32 v5, v7, v6, v5
.LBB368_1686:                           ;   in Loop: Header=BB368_1062 Depth=1
	s_or_b32 exec_lo, exec_lo, s17
.LBB368_1687:                           ;   in Loop: Header=BB368_1062 Depth=1
	s_delay_alu instid0(SALU_CYCLE_1)
	s_or_b32 exec_lo, exec_lo, s16
.LBB368_1688:                           ;   in Loop: Header=BB368_1062 Depth=1
	s_delay_alu instid0(SALU_CYCLE_1) | instskip(SKIP_4) | instid1(VALU_DEP_3)
	s_or_b32 exec_lo, exec_lo, s15
	v_and_b32_e32 v8, 0xff, v19
	v_dual_mov_b32 v22, v19 :: v_dual_mov_b32 v7, 0
	v_mov_b32_e32 v6, 0
	s_mov_b32 s15, exec_lo
	v_cmpx_ne_u16_e32 0, v8
	s_cbranch_execz .LBB368_1696
; %bb.1689:                             ;   in Loop: Header=BB368_1062 Depth=1
	v_bfrev_b32_e32 v6, 1
	s_mov_b32 s16, exec_lo
	v_cmpx_ne_u16_e32 0x80, v8
	s_cbranch_execz .LBB368_1695
; %bb.1690:                             ;   in Loop: Header=BB368_1062 Depth=1
	v_and_b32_e32 v8, 0x7f, v19
	v_mov_b32_e32 v6, 0x7f800001
	s_mov_b32 s17, exec_lo
	s_delay_alu instid0(VALU_DEP_2)
	v_cmpx_ne_u32_e32 0x7f, v8
	s_cbranch_execz .LBB368_1694
; %bb.1691:                             ;   in Loop: Header=BB368_1062 Depth=1
	v_mov_b64_e32 v[34:35], v[22:23]
	v_lshrrev_b32_e32 v6, 3, v8
	s_mov_b32 s18, exec_lo
	v_cmpx_gt_u32_e32 8, v8
; %bb.1692:                             ;   in Loop: Header=BB368_1062 Depth=1
	v_and_b32_e32 v6, 7, v19
	s_delay_alu instid0(VALU_DEP_1) | instskip(NEXT) | instid1(VALU_DEP_1)
	v_clz_i32_u32_e32 v6, v6
	v_min_u32_e32 v6, 32, v6
	s_delay_alu instid0(VALU_DEP_1) | instskip(SKIP_1) | instid1(VALU_DEP_2)
	v_subrev_nc_u32_e32 v8, 28, v6
	v_sub_nc_u32_e32 v6, 29, v6
	v_lshlrev_b64_e32 v[34:35], v8, v[22:23]
; %bb.1693:                             ;   in Loop: Header=BB368_1062 Depth=1
	s_or_b32 exec_lo, exec_lo, s18
	s_delay_alu instid0(VALU_DEP_1) | instskip(SKIP_2) | instid1(VALU_DEP_3)
	v_lshlrev_b32_e32 v8, 20, v34
	v_lshlrev_b32_e32 v9, 24, v22
	v_lshl_add_u32 v6, v6, 23, 0x3c000000
	v_and_b32_e32 v8, 0x700000, v8
	s_delay_alu instid0(VALU_DEP_3) | instskip(NEXT) | instid1(VALU_DEP_1)
	v_and_b32_e32 v9, 0x80000000, v9
	v_or3_b32 v6, v8, v9, v6
.LBB368_1694:                           ;   in Loop: Header=BB368_1062 Depth=1
	s_or_b32 exec_lo, exec_lo, s17
.LBB368_1695:                           ;   in Loop: Header=BB368_1062 Depth=1
	s_delay_alu instid0(SALU_CYCLE_1)
	s_or_b32 exec_lo, exec_lo, s16
.LBB368_1696:                           ;   in Loop: Header=BB368_1062 Depth=1
	s_delay_alu instid0(SALU_CYCLE_1) | instskip(SKIP_2) | instid1(VALU_DEP_1)
	s_or_b32 exec_lo, exec_lo, s15
	v_lshrrev_b16 v8, 8, v22
	s_mov_b32 s15, exec_lo
	v_cmpx_ne_u16_e32 0, v8
	s_cbranch_execz .LBB368_1704
; %bb.1697:                             ;   in Loop: Header=BB368_1062 Depth=1
	v_bfrev_b32_e32 v7, 1
	s_mov_b32 s16, exec_lo
	v_cmpx_ne_u16_e32 0x80, v8
	s_cbranch_execz .LBB368_1703
; %bb.1698:                             ;   in Loop: Header=BB368_1062 Depth=1
	v_and_b32_e32 v9, 0xffff, v8
	v_mov_b32_e32 v7, 0x7f800001
	s_mov_b32 s17, exec_lo
	s_delay_alu instid0(VALU_DEP_2) | instskip(NEXT) | instid1(VALU_DEP_1)
	v_and_b32_e32 v8, 0x7f, v9
	v_cmpx_ne_u32_e32 0x7f, v8
	s_cbranch_execz .LBB368_1702
; %bb.1699:                             ;   in Loop: Header=BB368_1062 Depth=1
	v_dual_mov_b32 v35, v23 :: v_dual_bitop2_b32 v34, 7, v9 bitop3:0x40
	v_lshrrev_b32_e32 v7, 3, v8
	s_mov_b32 s18, exec_lo
	v_cmpx_gt_u32_e32 8, v8
; %bb.1700:                             ;   in Loop: Header=BB368_1062 Depth=1
	s_delay_alu instid0(VALU_DEP_3) | instskip(NEXT) | instid1(VALU_DEP_1)
	v_clz_i32_u32_e32 v7, v34
	v_min_u32_e32 v7, 32, v7
	s_delay_alu instid0(VALU_DEP_1) | instskip(NEXT) | instid1(VALU_DEP_1)
	v_subrev_nc_u32_e32 v8, 28, v7
	v_lshlrev_b64_e32 v[8:9], v8, v[34:35]
	s_delay_alu instid0(VALU_DEP_1)
	v_dual_sub_nc_u32 v7, 29, v7 :: v_dual_bitop2_b32 v34, 7, v8 bitop3:0x40
; %bb.1701:                             ;   in Loop: Header=BB368_1062 Depth=1
	s_or_b32 exec_lo, exec_lo, s18
	v_lshlrev_b32_e32 v8, 16, v22
	s_delay_alu instid0(VALU_DEP_2) | instskip(NEXT) | instid1(VALU_DEP_3)
	v_lshlrev_b32_e32 v9, 20, v34
	v_lshl_add_u32 v7, v7, 23, 0x3c000000
	s_delay_alu instid0(VALU_DEP_3) | instskip(NEXT) | instid1(VALU_DEP_1)
	v_and_b32_e32 v8, 0x80000000, v8
	v_or3_b32 v7, v9, v8, v7
.LBB368_1702:                           ;   in Loop: Header=BB368_1062 Depth=1
	s_or_b32 exec_lo, exec_lo, s17
.LBB368_1703:                           ;   in Loop: Header=BB368_1062 Depth=1
	s_delay_alu instid0(SALU_CYCLE_1)
	s_or_b32 exec_lo, exec_lo, s16
.LBB368_1704:                           ;   in Loop: Header=BB368_1062 Depth=1
	s_delay_alu instid0(SALU_CYCLE_1) | instskip(SKIP_3) | instid1(VALU_DEP_2)
	s_or_b32 exec_lo, exec_lo, s15
	v_dual_lshrrev_b32 v32, 16, v19 :: v_dual_mov_b32 v8, 0
	v_mov_b32_e32 v9, 0
	s_mov_b32 s15, exec_lo
	v_and_b32_e32 v22, 0xff, v32
	s_delay_alu instid0(VALU_DEP_1)
	v_cmpx_ne_u16_e32 0, v22
	s_cbranch_execz .LBB368_1712
; %bb.1705:                             ;   in Loop: Header=BB368_1062 Depth=1
	v_bfrev_b32_e32 v9, 1
	s_mov_b32 s16, exec_lo
	v_cmpx_ne_u16_e32 0x80, v22
	s_cbranch_execz .LBB368_1711
; %bb.1706:                             ;   in Loop: Header=BB368_1062 Depth=1
	v_bfe_u32 v33, v19, 16, 7
	v_mov_b32_e32 v9, 0x7f800001
	s_mov_b32 s17, exec_lo
	s_delay_alu instid0(VALU_DEP_2)
	v_cmpx_ne_u32_e32 0x7f, v33
	s_cbranch_execz .LBB368_1710
; %bb.1707:                             ;   in Loop: Header=BB368_1062 Depth=1
	v_dual_lshrrev_b32 v9, 3, v33 :: v_dual_bitop2_b32 v22, 7, v32 bitop3:0x40
	s_mov_b32 s18, exec_lo
	s_delay_alu instid0(VALU_DEP_1)
	v_mov_b64_e32 v[34:35], v[22:23]
	v_cmpx_gt_u32_e32 8, v33
; %bb.1708:                             ;   in Loop: Header=BB368_1062 Depth=1
	v_clz_i32_u32_e32 v9, v22
	s_delay_alu instid0(VALU_DEP_1) | instskip(NEXT) | instid1(VALU_DEP_1)
	v_min_u32_e32 v9, 32, v9
	v_subrev_nc_u32_e32 v33, 28, v9
	s_delay_alu instid0(VALU_DEP_1) | instskip(NEXT) | instid1(VALU_DEP_1)
	v_lshlrev_b64_e32 v[34:35], v33, v[22:23]
	v_dual_sub_nc_u32 v9, 29, v9 :: v_dual_bitop2_b32 v34, 7, v34 bitop3:0x40
; %bb.1709:                             ;   in Loop: Header=BB368_1062 Depth=1
	s_or_b32 exec_lo, exec_lo, s18
	s_delay_alu instid0(VALU_DEP_1) | instskip(NEXT) | instid1(VALU_DEP_2)
	v_dual_lshlrev_b32 v22, 24, v32 :: v_dual_lshlrev_b32 v32, 20, v34
	v_lshl_add_u32 v9, v9, 23, 0x3c000000
	s_delay_alu instid0(VALU_DEP_2) | instskip(NEXT) | instid1(VALU_DEP_1)
	v_and_b32_e32 v22, 0x80000000, v22
	v_or3_b32 v9, v32, v22, v9
.LBB368_1710:                           ;   in Loop: Header=BB368_1062 Depth=1
	s_or_b32 exec_lo, exec_lo, s17
.LBB368_1711:                           ;   in Loop: Header=BB368_1062 Depth=1
	s_delay_alu instid0(SALU_CYCLE_1)
	s_or_b32 exec_lo, exec_lo, s16
.LBB368_1712:                           ;   in Loop: Header=BB368_1062 Depth=1
	s_delay_alu instid0(SALU_CYCLE_1) | instskip(NEXT) | instid1(SALU_CYCLE_1)
	s_or_b32 exec_lo, exec_lo, s15
	s_mov_b32 s15, exec_lo
	v_cmpx_lt_u64_e64 s[2:3], v[18:19]
	s_cbranch_execz .LBB368_1720
; %bb.1713:                             ;   in Loop: Header=BB368_1062 Depth=1
	v_lshrrev_b32_e32 v32, 24, v19
	v_bfrev_b32_e32 v8, 1
	s_mov_b32 s16, exec_lo
	s_delay_alu instid0(VALU_DEP_2)
	v_cmpx_ne_u32_e32 0x80, v32
	s_cbranch_execz .LBB368_1719
; %bb.1714:                             ;   in Loop: Header=BB368_1062 Depth=1
	v_bfe_u32 v18, v19, 24, 7
	v_mov_b32_e32 v8, 0x7f800001
	s_mov_b32 s17, exec_lo
	s_delay_alu instid0(VALU_DEP_2)
	v_cmpx_ne_u32_e32 0x7f, v18
	s_cbranch_execz .LBB368_1718
; %bb.1715:                             ;   in Loop: Header=BB368_1062 Depth=1
	v_dual_lshrrev_b32 v8, 3, v18 :: v_dual_bitop2_b32 v22, 7, v32 bitop3:0x40
	v_cmp_gt_u32_e64 s0, 8, v18
	s_delay_alu instid0(VALU_DEP_2)
	v_mov_b64_e32 v[18:19], v[22:23]
	s_and_saveexec_b32 s18, s0
; %bb.1716:                             ;   in Loop: Header=BB368_1062 Depth=1
	v_clz_i32_u32_e32 v8, v22
	s_delay_alu instid0(VALU_DEP_1) | instskip(NEXT) | instid1(VALU_DEP_1)
	v_min_u32_e32 v8, 32, v8
	v_subrev_nc_u32_e32 v18, 28, v8
	s_delay_alu instid0(VALU_DEP_1) | instskip(NEXT) | instid1(VALU_DEP_1)
	v_lshlrev_b64_e32 v[18:19], v18, v[22:23]
	v_dual_sub_nc_u32 v8, 29, v8 :: v_dual_bitop2_b32 v18, 7, v18 bitop3:0x40
; %bb.1717:                             ;   in Loop: Header=BB368_1062 Depth=1
	s_or_b32 exec_lo, exec_lo, s18
	s_delay_alu instid0(VALU_DEP_1) | instskip(NEXT) | instid1(VALU_DEP_2)
	v_dual_lshlrev_b32 v19, 24, v32 :: v_dual_lshlrev_b32 v18, 20, v18
	v_lshl_add_u32 v8, v8, 23, 0x3c000000
	s_delay_alu instid0(VALU_DEP_2) | instskip(NEXT) | instid1(VALU_DEP_1)
	v_and_b32_e32 v19, 0x80000000, v19
	v_or3_b32 v8, v18, v19, v8
.LBB368_1718:                           ;   in Loop: Header=BB368_1062 Depth=1
	s_or_b32 exec_lo, exec_lo, s17
.LBB368_1719:                           ;   in Loop: Header=BB368_1062 Depth=1
	s_delay_alu instid0(SALU_CYCLE_1)
	s_or_b32 exec_lo, exec_lo, s16
.LBB368_1720:                           ;   in Loop: Header=BB368_1062 Depth=1
	s_delay_alu instid0(SALU_CYCLE_1)
	s_or_b32 exec_lo, exec_lo, s15
	v_fma_mixlo_bf16 v123, v49, v7, 0
	v_fma_mixlo_bf16 v124, v49, v6, 0
	v_fma_mixlo_bf16 v127, v49, v5, 0
	v_fma_mixlo_bf16 v48, v49, v4, 0
	v_fma_mixlo_bf16 v32, v49, v3, 0
	v_fma_mixlo_bf16 v33, v49, v2, 0
	v_fma_mixlo_bf16 v125, v49, v9, 0
	v_fma_mixlo_bf16 v126, v49, v8, 0
	s_and_saveexec_b32 s15, vcc_lo
	s_cbranch_execz .LBB368_1722
; %bb.1721:                             ;   in Loop: Header=BB368_1062 Depth=1
	v_cmp_lt_i32_e64 s0, v102, v36
	s_delay_alu instid0(VALU_DEP_1) | instskip(SKIP_1) | instid1(VALU_DEP_1)
	v_cndmask_b32_e64 v33, 0, v33, s0
	v_cmp_lt_i32_e64 s0, v114, v36
	v_cndmask_b32_e64 v32, 0, v32, s0
	v_cmp_lt_i32_e64 s0, v113, v36
	s_delay_alu instid0(VALU_DEP_1) | instskip(SKIP_1) | instid1(VALU_DEP_1)
	v_cndmask_b32_e64 v48, 0, v48, s0
	v_cmp_lt_i32_e64 s0, v112, v36
	v_cndmask_b32_e64 v127, 0, v127, s0
	;; [unrolled: 5-line block ×4, first 2 shown]
.LBB368_1722:                           ;   in Loop: Header=BB368_1062 Depth=1
	s_or_b32 exec_lo, exec_lo, s15
	flat_load_b64 v[18:19], v[0:1] offset:2560
	v_dual_mov_b32 v3, 0 :: v_dual_mov_b32 v2, 0
	s_mov_b32 s15, exec_lo
	s_wait_loadcnt_dscnt 0x0
	v_and_b32_e32 v4, 0xff, v18
	s_wait_xcnt 0x0
	s_delay_alu instid0(VALU_DEP_1)
	v_cmpx_ne_u16_e32 0, v4
	s_cbranch_execz .LBB368_1730
; %bb.1723:                             ;   in Loop: Header=BB368_1062 Depth=1
	v_bfrev_b32_e32 v2, 1
	s_mov_b32 s16, exec_lo
	v_cmpx_ne_u16_e32 0x80, v4
	s_cbranch_execz .LBB368_1729
; %bb.1724:                             ;   in Loop: Header=BB368_1062 Depth=1
	v_and_b32_e32 v4, 0x7f, v18
	v_mov_b32_e32 v2, 0x7f800001
	s_mov_b32 s17, exec_lo
	s_delay_alu instid0(VALU_DEP_2)
	v_cmpx_ne_u32_e32 0x7f, v4
	s_cbranch_execz .LBB368_1728
; %bb.1725:                             ;   in Loop: Header=BB368_1062 Depth=1
	v_mov_b64_e32 v[34:35], v[18:19]
	v_lshrrev_b32_e32 v2, 3, v4
	s_mov_b32 s18, exec_lo
	v_cmpx_gt_u32_e32 8, v4
; %bb.1726:                             ;   in Loop: Header=BB368_1062 Depth=1
	v_and_b32_e32 v2, 7, v18
	s_delay_alu instid0(VALU_DEP_1) | instskip(NEXT) | instid1(VALU_DEP_1)
	v_clz_i32_u32_e32 v2, v2
	v_min_u32_e32 v2, 32, v2
	s_delay_alu instid0(VALU_DEP_1) | instskip(SKIP_1) | instid1(VALU_DEP_2)
	v_subrev_nc_u32_e32 v4, 28, v2
	v_sub_nc_u32_e32 v2, 29, v2
	v_lshlrev_b64_e32 v[34:35], v4, v[18:19]
; %bb.1727:                             ;   in Loop: Header=BB368_1062 Depth=1
	s_or_b32 exec_lo, exec_lo, s18
	s_delay_alu instid0(VALU_DEP_1) | instskip(SKIP_2) | instid1(VALU_DEP_3)
	v_lshlrev_b32_e32 v4, 20, v34
	v_lshlrev_b32_e32 v5, 24, v18
	v_lshl_add_u32 v2, v2, 23, 0x3c000000
	v_and_b32_e32 v4, 0x700000, v4
	s_delay_alu instid0(VALU_DEP_3) | instskip(NEXT) | instid1(VALU_DEP_1)
	v_and_b32_e32 v5, 0x80000000, v5
	v_or3_b32 v2, v4, v5, v2
.LBB368_1728:                           ;   in Loop: Header=BB368_1062 Depth=1
	s_or_b32 exec_lo, exec_lo, s17
.LBB368_1729:                           ;   in Loop: Header=BB368_1062 Depth=1
	s_delay_alu instid0(SALU_CYCLE_1)
	s_or_b32 exec_lo, exec_lo, s16
.LBB368_1730:                           ;   in Loop: Header=BB368_1062 Depth=1
	s_delay_alu instid0(SALU_CYCLE_1) | instskip(SKIP_2) | instid1(VALU_DEP_1)
	s_or_b32 exec_lo, exec_lo, s15
	v_lshrrev_b16 v4, 8, v18
	s_mov_b32 s15, exec_lo
	v_cmpx_ne_u16_e32 0, v4
	s_cbranch_execz .LBB368_1738
; %bb.1731:                             ;   in Loop: Header=BB368_1062 Depth=1
	v_bfrev_b32_e32 v3, 1
	s_mov_b32 s16, exec_lo
	v_cmpx_ne_u16_e32 0x80, v4
	s_cbranch_execz .LBB368_1737
; %bb.1732:                             ;   in Loop: Header=BB368_1062 Depth=1
	v_and_b32_e32 v5, 0xffff, v4
	v_mov_b32_e32 v3, 0x7f800001
	s_mov_b32 s17, exec_lo
	s_delay_alu instid0(VALU_DEP_2) | instskip(NEXT) | instid1(VALU_DEP_1)
	v_and_b32_e32 v4, 0x7f, v5
	v_cmpx_ne_u32_e32 0x7f, v4
	s_cbranch_execz .LBB368_1736
; %bb.1733:                             ;   in Loop: Header=BB368_1062 Depth=1
	v_dual_lshrrev_b32 v3, 3, v4 :: v_dual_bitop2_b32 v22, 7, v5 bitop3:0x40
	s_mov_b32 s18, exec_lo
	s_delay_alu instid0(VALU_DEP_1)
	v_mov_b64_e32 v[34:35], v[22:23]
	v_cmpx_gt_u32_e32 8, v4
; %bb.1734:                             ;   in Loop: Header=BB368_1062 Depth=1
	v_clz_i32_u32_e32 v3, v22
	s_delay_alu instid0(VALU_DEP_1) | instskip(NEXT) | instid1(VALU_DEP_1)
	v_min_u32_e32 v3, 32, v3
	v_subrev_nc_u32_e32 v4, 28, v3
	s_delay_alu instid0(VALU_DEP_1) | instskip(NEXT) | instid1(VALU_DEP_1)
	v_lshlrev_b64_e32 v[4:5], v4, v[22:23]
	v_dual_sub_nc_u32 v3, 29, v3 :: v_dual_bitop2_b32 v34, 7, v4 bitop3:0x40
; %bb.1735:                             ;   in Loop: Header=BB368_1062 Depth=1
	s_or_b32 exec_lo, exec_lo, s18
	v_lshlrev_b32_e32 v4, 16, v18
	s_delay_alu instid0(VALU_DEP_2) | instskip(NEXT) | instid1(VALU_DEP_3)
	v_lshlrev_b32_e32 v5, 20, v34
	v_lshl_add_u32 v3, v3, 23, 0x3c000000
	s_delay_alu instid0(VALU_DEP_3) | instskip(NEXT) | instid1(VALU_DEP_1)
	v_and_b32_e32 v4, 0x80000000, v4
	v_or3_b32 v3, v5, v4, v3
.LBB368_1736:                           ;   in Loop: Header=BB368_1062 Depth=1
	s_or_b32 exec_lo, exec_lo, s17
.LBB368_1737:                           ;   in Loop: Header=BB368_1062 Depth=1
	s_delay_alu instid0(SALU_CYCLE_1)
	s_or_b32 exec_lo, exec_lo, s16
.LBB368_1738:                           ;   in Loop: Header=BB368_1062 Depth=1
	s_delay_alu instid0(SALU_CYCLE_1) | instskip(SKIP_3) | instid1(VALU_DEP_2)
	s_or_b32 exec_lo, exec_lo, s15
	v_dual_mov_b32 v5, 0 :: v_dual_lshrrev_b32 v6, 16, v18
	v_mov_b32_e32 v4, 0
	s_mov_b32 s15, exec_lo
	v_and_b32_e32 v7, 0xff, v6
	s_delay_alu instid0(VALU_DEP_1)
	v_cmpx_ne_u16_e32 0, v7
	s_cbranch_execz .LBB368_1746
; %bb.1739:                             ;   in Loop: Header=BB368_1062 Depth=1
	v_bfrev_b32_e32 v4, 1
	s_mov_b32 s16, exec_lo
	v_cmpx_ne_u16_e32 0x80, v7
	s_cbranch_execz .LBB368_1745
; %bb.1740:                             ;   in Loop: Header=BB368_1062 Depth=1
	v_bfe_u32 v7, v18, 16, 7
	v_mov_b32_e32 v4, 0x7f800001
	s_mov_b32 s17, exec_lo
	s_delay_alu instid0(VALU_DEP_2)
	v_cmpx_ne_u32_e32 0x7f, v7
	s_cbranch_execz .LBB368_1744
; %bb.1741:                             ;   in Loop: Header=BB368_1062 Depth=1
	v_dual_lshrrev_b32 v4, 3, v7 :: v_dual_bitop2_b32 v22, 7, v6 bitop3:0x40
	s_mov_b32 s18, exec_lo
	s_delay_alu instid0(VALU_DEP_1)
	v_mov_b64_e32 v[34:35], v[22:23]
	v_cmpx_gt_u32_e32 8, v7
; %bb.1742:                             ;   in Loop: Header=BB368_1062 Depth=1
	v_clz_i32_u32_e32 v4, v22
	s_delay_alu instid0(VALU_DEP_1) | instskip(NEXT) | instid1(VALU_DEP_1)
	v_min_u32_e32 v4, 32, v4
	v_subrev_nc_u32_e32 v7, 28, v4
	v_sub_nc_u32_e32 v4, 29, v4
	s_delay_alu instid0(VALU_DEP_2) | instskip(NEXT) | instid1(VALU_DEP_1)
	v_lshlrev_b64_e32 v[8:9], v7, v[22:23]
	v_and_b32_e32 v34, 7, v8
; %bb.1743:                             ;   in Loop: Header=BB368_1062 Depth=1
	s_or_b32 exec_lo, exec_lo, s18
	v_lshlrev_b32_e32 v6, 24, v6
	s_delay_alu instid0(VALU_DEP_2) | instskip(SKIP_1) | instid1(VALU_DEP_3)
	v_lshlrev_b32_e32 v7, 20, v34
	v_lshl_add_u32 v4, v4, 23, 0x3c000000
	v_and_b32_e32 v6, 0x80000000, v6
	s_delay_alu instid0(VALU_DEP_1)
	v_or3_b32 v4, v7, v6, v4
.LBB368_1744:                           ;   in Loop: Header=BB368_1062 Depth=1
	s_or_b32 exec_lo, exec_lo, s17
.LBB368_1745:                           ;   in Loop: Header=BB368_1062 Depth=1
	s_delay_alu instid0(SALU_CYCLE_1)
	s_or_b32 exec_lo, exec_lo, s16
.LBB368_1746:                           ;   in Loop: Header=BB368_1062 Depth=1
	s_delay_alu instid0(SALU_CYCLE_1) | instskip(NEXT) | instid1(SALU_CYCLE_1)
	s_or_b32 exec_lo, exec_lo, s15
	s_mov_b32 s15, exec_lo
	v_cmpx_lt_u32_e32 0xffffff, v18
	s_cbranch_execz .LBB368_1754
; %bb.1747:                             ;   in Loop: Header=BB368_1062 Depth=1
	v_lshrrev_b32_e32 v6, 24, v18
	v_bfrev_b32_e32 v5, 1
	s_mov_b32 s16, exec_lo
	s_delay_alu instid0(VALU_DEP_2)
	v_cmpx_ne_u32_e32 0x80, v6
	s_cbranch_execz .LBB368_1753
; %bb.1748:                             ;   in Loop: Header=BB368_1062 Depth=1
	v_bfe_u32 v7, v18, 24, 7
	v_mov_b32_e32 v5, 0x7f800001
	s_mov_b32 s17, exec_lo
	s_delay_alu instid0(VALU_DEP_2)
	v_cmpx_ne_u32_e32 0x7f, v7
	s_cbranch_execz .LBB368_1752
; %bb.1749:                             ;   in Loop: Header=BB368_1062 Depth=1
	v_dual_lshrrev_b32 v5, 3, v7 :: v_dual_bitop2_b32 v22, 7, v6 bitop3:0x40
	s_mov_b32 s18, exec_lo
	s_delay_alu instid0(VALU_DEP_1)
	v_mov_b64_e32 v[34:35], v[22:23]
	v_cmpx_gt_u32_e32 8, v7
; %bb.1750:                             ;   in Loop: Header=BB368_1062 Depth=1
	v_clz_i32_u32_e32 v5, v22
	s_delay_alu instid0(VALU_DEP_1) | instskip(NEXT) | instid1(VALU_DEP_1)
	v_min_u32_e32 v5, 32, v5
	v_subrev_nc_u32_e32 v7, 28, v5
	s_delay_alu instid0(VALU_DEP_1) | instskip(NEXT) | instid1(VALU_DEP_1)
	v_lshlrev_b64_e32 v[8:9], v7, v[22:23]
	v_dual_sub_nc_u32 v5, 29, v5 :: v_dual_bitop2_b32 v34, 7, v8 bitop3:0x40
; %bb.1751:                             ;   in Loop: Header=BB368_1062 Depth=1
	s_or_b32 exec_lo, exec_lo, s18
	v_lshlrev_b32_e32 v6, 24, v6
	s_delay_alu instid0(VALU_DEP_2) | instskip(NEXT) | instid1(VALU_DEP_3)
	v_lshlrev_b32_e32 v7, 20, v34
	v_lshl_add_u32 v5, v5, 23, 0x3c000000
	s_delay_alu instid0(VALU_DEP_3) | instskip(NEXT) | instid1(VALU_DEP_1)
	v_and_b32_e32 v6, 0x80000000, v6
	v_or3_b32 v5, v7, v6, v5
.LBB368_1752:                           ;   in Loop: Header=BB368_1062 Depth=1
	s_or_b32 exec_lo, exec_lo, s17
.LBB368_1753:                           ;   in Loop: Header=BB368_1062 Depth=1
	s_delay_alu instid0(SALU_CYCLE_1)
	s_or_b32 exec_lo, exec_lo, s16
.LBB368_1754:                           ;   in Loop: Header=BB368_1062 Depth=1
	s_delay_alu instid0(SALU_CYCLE_1) | instskip(SKIP_4) | instid1(VALU_DEP_3)
	s_or_b32 exec_lo, exec_lo, s15
	v_and_b32_e32 v8, 0xff, v19
	v_dual_mov_b32 v22, v19 :: v_dual_mov_b32 v7, 0
	v_mov_b32_e32 v6, 0
	s_mov_b32 s15, exec_lo
	v_cmpx_ne_u16_e32 0, v8
	s_cbranch_execz .LBB368_1762
; %bb.1755:                             ;   in Loop: Header=BB368_1062 Depth=1
	v_bfrev_b32_e32 v6, 1
	s_mov_b32 s16, exec_lo
	v_cmpx_ne_u16_e32 0x80, v8
	s_cbranch_execz .LBB368_1761
; %bb.1756:                             ;   in Loop: Header=BB368_1062 Depth=1
	v_and_b32_e32 v8, 0x7f, v19
	v_mov_b32_e32 v6, 0x7f800001
	s_mov_b32 s17, exec_lo
	s_delay_alu instid0(VALU_DEP_2)
	v_cmpx_ne_u32_e32 0x7f, v8
	s_cbranch_execz .LBB368_1760
; %bb.1757:                             ;   in Loop: Header=BB368_1062 Depth=1
	v_mov_b64_e32 v[34:35], v[22:23]
	v_lshrrev_b32_e32 v6, 3, v8
	s_mov_b32 s18, exec_lo
	v_cmpx_gt_u32_e32 8, v8
; %bb.1758:                             ;   in Loop: Header=BB368_1062 Depth=1
	v_and_b32_e32 v6, 7, v19
	s_delay_alu instid0(VALU_DEP_1) | instskip(NEXT) | instid1(VALU_DEP_1)
	v_clz_i32_u32_e32 v6, v6
	v_min_u32_e32 v6, 32, v6
	s_delay_alu instid0(VALU_DEP_1) | instskip(SKIP_1) | instid1(VALU_DEP_2)
	v_subrev_nc_u32_e32 v8, 28, v6
	v_sub_nc_u32_e32 v6, 29, v6
	v_lshlrev_b64_e32 v[34:35], v8, v[22:23]
; %bb.1759:                             ;   in Loop: Header=BB368_1062 Depth=1
	s_or_b32 exec_lo, exec_lo, s18
	s_delay_alu instid0(VALU_DEP_1) | instskip(SKIP_2) | instid1(VALU_DEP_3)
	v_lshlrev_b32_e32 v8, 20, v34
	v_lshlrev_b32_e32 v9, 24, v22
	v_lshl_add_u32 v6, v6, 23, 0x3c000000
	v_and_b32_e32 v8, 0x700000, v8
	s_delay_alu instid0(VALU_DEP_3) | instskip(NEXT) | instid1(VALU_DEP_1)
	v_and_b32_e32 v9, 0x80000000, v9
	v_or3_b32 v6, v8, v9, v6
.LBB368_1760:                           ;   in Loop: Header=BB368_1062 Depth=1
	s_or_b32 exec_lo, exec_lo, s17
.LBB368_1761:                           ;   in Loop: Header=BB368_1062 Depth=1
	s_delay_alu instid0(SALU_CYCLE_1)
	s_or_b32 exec_lo, exec_lo, s16
.LBB368_1762:                           ;   in Loop: Header=BB368_1062 Depth=1
	s_delay_alu instid0(SALU_CYCLE_1) | instskip(SKIP_2) | instid1(VALU_DEP_1)
	s_or_b32 exec_lo, exec_lo, s15
	v_lshrrev_b16 v8, 8, v22
	s_mov_b32 s15, exec_lo
	v_cmpx_ne_u16_e32 0, v8
	s_cbranch_execz .LBB368_1770
; %bb.1763:                             ;   in Loop: Header=BB368_1062 Depth=1
	v_bfrev_b32_e32 v7, 1
	s_mov_b32 s16, exec_lo
	v_cmpx_ne_u16_e32 0x80, v8
	s_cbranch_execz .LBB368_1769
; %bb.1764:                             ;   in Loop: Header=BB368_1062 Depth=1
	v_and_b32_e32 v9, 0xffff, v8
	v_mov_b32_e32 v7, 0x7f800001
	s_mov_b32 s17, exec_lo
	s_delay_alu instid0(VALU_DEP_2) | instskip(NEXT) | instid1(VALU_DEP_1)
	v_and_b32_e32 v8, 0x7f, v9
	v_cmpx_ne_u32_e32 0x7f, v8
	s_cbranch_execz .LBB368_1768
; %bb.1765:                             ;   in Loop: Header=BB368_1062 Depth=1
	v_dual_mov_b32 v35, v23 :: v_dual_bitop2_b32 v34, 7, v9 bitop3:0x40
	v_lshrrev_b32_e32 v7, 3, v8
	s_mov_b32 s18, exec_lo
	v_cmpx_gt_u32_e32 8, v8
; %bb.1766:                             ;   in Loop: Header=BB368_1062 Depth=1
	s_delay_alu instid0(VALU_DEP_3) | instskip(NEXT) | instid1(VALU_DEP_1)
	v_clz_i32_u32_e32 v7, v34
	v_min_u32_e32 v7, 32, v7
	s_delay_alu instid0(VALU_DEP_1) | instskip(NEXT) | instid1(VALU_DEP_1)
	v_subrev_nc_u32_e32 v8, 28, v7
	v_lshlrev_b64_e32 v[8:9], v8, v[34:35]
	s_delay_alu instid0(VALU_DEP_1)
	v_dual_sub_nc_u32 v7, 29, v7 :: v_dual_bitop2_b32 v34, 7, v8 bitop3:0x40
; %bb.1767:                             ;   in Loop: Header=BB368_1062 Depth=1
	s_or_b32 exec_lo, exec_lo, s18
	v_lshlrev_b32_e32 v8, 16, v22
	s_delay_alu instid0(VALU_DEP_2) | instskip(NEXT) | instid1(VALU_DEP_3)
	v_lshlrev_b32_e32 v9, 20, v34
	v_lshl_add_u32 v7, v7, 23, 0x3c000000
	s_delay_alu instid0(VALU_DEP_3) | instskip(NEXT) | instid1(VALU_DEP_1)
	v_and_b32_e32 v8, 0x80000000, v8
	v_or3_b32 v7, v9, v8, v7
.LBB368_1768:                           ;   in Loop: Header=BB368_1062 Depth=1
	s_or_b32 exec_lo, exec_lo, s17
.LBB368_1769:                           ;   in Loop: Header=BB368_1062 Depth=1
	s_delay_alu instid0(SALU_CYCLE_1)
	s_or_b32 exec_lo, exec_lo, s16
.LBB368_1770:                           ;   in Loop: Header=BB368_1062 Depth=1
	s_delay_alu instid0(SALU_CYCLE_1) | instskip(SKIP_3) | instid1(VALU_DEP_2)
	s_or_b32 exec_lo, exec_lo, s15
	v_dual_mov_b32 v8, 0 :: v_dual_lshrrev_b32 v37, 16, v19
	v_mov_b32_e32 v9, 0
	s_mov_b32 s15, exec_lo
	v_and_b32_e32 v22, 0xff, v37
	s_delay_alu instid0(VALU_DEP_1)
	v_cmpx_ne_u16_e32 0, v22
	s_cbranch_execz .LBB368_1778
; %bb.1771:                             ;   in Loop: Header=BB368_1062 Depth=1
	v_bfrev_b32_e32 v9, 1
	s_mov_b32 s16, exec_lo
	v_cmpx_ne_u16_e32 0x80, v22
	s_cbranch_execz .LBB368_1777
; %bb.1772:                             ;   in Loop: Header=BB368_1062 Depth=1
	v_bfe_u32 v34, v19, 16, 7
	v_mov_b32_e32 v9, 0x7f800001
	s_mov_b32 s17, exec_lo
	s_delay_alu instid0(VALU_DEP_2)
	v_cmpx_ne_u32_e32 0x7f, v34
	s_cbranch_execz .LBB368_1776
; %bb.1773:                             ;   in Loop: Header=BB368_1062 Depth=1
	v_dual_lshrrev_b32 v9, 3, v34 :: v_dual_bitop2_b32 v22, 7, v37 bitop3:0x40
	v_cmp_gt_u32_e64 s0, 8, v34
	s_delay_alu instid0(VALU_DEP_2)
	v_mov_b64_e32 v[34:35], v[22:23]
	s_and_saveexec_b32 s18, s0
; %bb.1774:                             ;   in Loop: Header=BB368_1062 Depth=1
	v_clz_i32_u32_e32 v9, v22
	s_delay_alu instid0(VALU_DEP_1) | instskip(NEXT) | instid1(VALU_DEP_1)
	v_min_u32_e32 v9, 32, v9
	v_subrev_nc_u32_e32 v34, 28, v9
	s_delay_alu instid0(VALU_DEP_1) | instskip(NEXT) | instid1(VALU_DEP_1)
	v_lshlrev_b64_e32 v[34:35], v34, v[22:23]
	v_dual_sub_nc_u32 v9, 29, v9 :: v_dual_bitop2_b32 v34, 7, v34 bitop3:0x40
; %bb.1775:                             ;   in Loop: Header=BB368_1062 Depth=1
	s_or_b32 exec_lo, exec_lo, s18
	s_delay_alu instid0(VALU_DEP_1) | instskip(NEXT) | instid1(VALU_DEP_2)
	v_dual_lshlrev_b32 v22, 24, v37 :: v_dual_lshlrev_b32 v34, 20, v34
	v_lshl_add_u32 v9, v9, 23, 0x3c000000
	s_delay_alu instid0(VALU_DEP_2) | instskip(NEXT) | instid1(VALU_DEP_1)
	v_and_b32_e32 v22, 0x80000000, v22
	v_or3_b32 v9, v34, v22, v9
.LBB368_1776:                           ;   in Loop: Header=BB368_1062 Depth=1
	s_or_b32 exec_lo, exec_lo, s17
.LBB368_1777:                           ;   in Loop: Header=BB368_1062 Depth=1
	s_delay_alu instid0(SALU_CYCLE_1)
	s_or_b32 exec_lo, exec_lo, s16
.LBB368_1778:                           ;   in Loop: Header=BB368_1062 Depth=1
	s_delay_alu instid0(SALU_CYCLE_1) | instskip(NEXT) | instid1(SALU_CYCLE_1)
	s_or_b32 exec_lo, exec_lo, s15
	s_mov_b32 s15, exec_lo
	v_cmpx_lt_u64_e64 s[2:3], v[18:19]
	s_cbranch_execz .LBB368_1786
; %bb.1779:                             ;   in Loop: Header=BB368_1062 Depth=1
	v_lshrrev_b32_e32 v34, 24, v19
	v_bfrev_b32_e32 v8, 1
	s_mov_b32 s16, exec_lo
	s_delay_alu instid0(VALU_DEP_2)
	v_cmpx_ne_u32_e32 0x80, v34
	s_cbranch_execz .LBB368_1785
; %bb.1780:                             ;   in Loop: Header=BB368_1062 Depth=1
	v_bfe_u32 v18, v19, 24, 7
	v_mov_b32_e32 v8, 0x7f800001
	s_mov_b32 s17, exec_lo
	s_delay_alu instid0(VALU_DEP_2)
	v_cmpx_ne_u32_e32 0x7f, v18
	s_cbranch_execz .LBB368_1784
; %bb.1781:                             ;   in Loop: Header=BB368_1062 Depth=1
	v_and_b32_e32 v22, 7, v34
	v_lshrrev_b32_e32 v8, 3, v18
	v_cmp_gt_u32_e64 s0, 8, v18
	s_delay_alu instid0(VALU_DEP_3)
	v_mov_b64_e32 v[18:19], v[22:23]
	s_and_saveexec_b32 s18, s0
; %bb.1782:                             ;   in Loop: Header=BB368_1062 Depth=1
	v_clz_i32_u32_e32 v8, v22
	s_delay_alu instid0(VALU_DEP_1) | instskip(NEXT) | instid1(VALU_DEP_1)
	v_min_u32_e32 v8, 32, v8
	v_subrev_nc_u32_e32 v18, 28, v8
	s_delay_alu instid0(VALU_DEP_1) | instskip(NEXT) | instid1(VALU_DEP_1)
	v_lshlrev_b64_e32 v[18:19], v18, v[22:23]
	v_dual_sub_nc_u32 v8, 29, v8 :: v_dual_bitop2_b32 v18, 7, v18 bitop3:0x40
; %bb.1783:                             ;   in Loop: Header=BB368_1062 Depth=1
	s_or_b32 exec_lo, exec_lo, s18
	v_lshlrev_b32_e32 v19, 24, v34
	s_delay_alu instid0(VALU_DEP_2) | instskip(NEXT) | instid1(VALU_DEP_3)
	v_lshlrev_b32_e32 v18, 20, v18
	v_lshl_add_u32 v8, v8, 23, 0x3c000000
	s_delay_alu instid0(VALU_DEP_3) | instskip(NEXT) | instid1(VALU_DEP_1)
	v_and_b32_e32 v19, 0x80000000, v19
	v_or3_b32 v8, v18, v19, v8
.LBB368_1784:                           ;   in Loop: Header=BB368_1062 Depth=1
	s_or_b32 exec_lo, exec_lo, s17
.LBB368_1785:                           ;   in Loop: Header=BB368_1062 Depth=1
	s_delay_alu instid0(SALU_CYCLE_1)
	s_or_b32 exec_lo, exec_lo, s16
.LBB368_1786:                           ;   in Loop: Header=BB368_1062 Depth=1
	s_delay_alu instid0(SALU_CYCLE_1)
	s_or_b32 exec_lo, exec_lo, s15
	v_fma_mixlo_bf16 v38, v49, v7, 0
	v_fma_mixlo_bf16 v39, v49, v6, 0
	;; [unrolled: 1-line block ×8, first 2 shown]
	s_and_saveexec_b32 s15, vcc_lo
	s_cbranch_execz .LBB368_1788
; %bb.1787:                             ;   in Loop: Header=BB368_1062 Depth=1
	v_cmp_lt_i32_e64 s0, v102, v36
	s_delay_alu instid0(VALU_DEP_1) | instskip(SKIP_1) | instid1(VALU_DEP_1)
	v_cndmask_b32_e64 v66, 0, v66, s0
	v_cmp_lt_i32_e64 s0, v114, v36
	v_cndmask_b32_e64 v65, 0, v65, s0
	v_cmp_lt_i32_e64 s0, v113, v36
	s_delay_alu instid0(VALU_DEP_1) | instskip(SKIP_1) | instid1(VALU_DEP_1)
	v_cndmask_b32_e64 v64, 0, v64, s0
	v_cmp_lt_i32_e64 s0, v112, v36
	v_cndmask_b32_e64 v55, 0, v55, s0
	;; [unrolled: 5-line block ×4, first 2 shown]
.LBB368_1788:                           ;   in Loop: Header=BB368_1062 Depth=1
	s_or_b32 exec_lo, exec_lo, s15
	flat_load_b64 v[18:19], v[0:1] offset:2816
	v_dual_mov_b32 v3, 0 :: v_dual_mov_b32 v2, 0
	s_mov_b32 s15, exec_lo
	s_wait_loadcnt_dscnt 0x0
	v_and_b32_e32 v4, 0xff, v18
	s_wait_xcnt 0x0
	s_delay_alu instid0(VALU_DEP_1)
	v_cmpx_ne_u16_e32 0, v4
	s_cbranch_execz .LBB368_1796
; %bb.1789:                             ;   in Loop: Header=BB368_1062 Depth=1
	v_bfrev_b32_e32 v2, 1
	s_mov_b32 s16, exec_lo
	v_cmpx_ne_u16_e32 0x80, v4
	s_cbranch_execz .LBB368_1795
; %bb.1790:                             ;   in Loop: Header=BB368_1062 Depth=1
	v_and_b32_e32 v4, 0x7f, v18
	v_mov_b32_e32 v2, 0x7f800001
	s_mov_b32 s17, exec_lo
	s_delay_alu instid0(VALU_DEP_2)
	v_cmpx_ne_u32_e32 0x7f, v4
	s_cbranch_execz .LBB368_1794
; %bb.1791:                             ;   in Loop: Header=BB368_1062 Depth=1
	v_mov_b64_e32 v[34:35], v[18:19]
	v_lshrrev_b32_e32 v2, 3, v4
	s_mov_b32 s18, exec_lo
	v_cmpx_gt_u32_e32 8, v4
; %bb.1792:                             ;   in Loop: Header=BB368_1062 Depth=1
	v_and_b32_e32 v2, 7, v18
	s_delay_alu instid0(VALU_DEP_1) | instskip(NEXT) | instid1(VALU_DEP_1)
	v_clz_i32_u32_e32 v2, v2
	v_min_u32_e32 v2, 32, v2
	s_delay_alu instid0(VALU_DEP_1) | instskip(SKIP_1) | instid1(VALU_DEP_2)
	v_subrev_nc_u32_e32 v4, 28, v2
	v_sub_nc_u32_e32 v2, 29, v2
	v_lshlrev_b64_e32 v[34:35], v4, v[18:19]
; %bb.1793:                             ;   in Loop: Header=BB368_1062 Depth=1
	s_or_b32 exec_lo, exec_lo, s18
	s_delay_alu instid0(VALU_DEP_1) | instskip(SKIP_2) | instid1(VALU_DEP_3)
	v_lshlrev_b32_e32 v4, 20, v34
	v_lshlrev_b32_e32 v5, 24, v18
	v_lshl_add_u32 v2, v2, 23, 0x3c000000
	v_and_b32_e32 v4, 0x700000, v4
	s_delay_alu instid0(VALU_DEP_3) | instskip(NEXT) | instid1(VALU_DEP_1)
	v_and_b32_e32 v5, 0x80000000, v5
	v_or3_b32 v2, v4, v5, v2
.LBB368_1794:                           ;   in Loop: Header=BB368_1062 Depth=1
	s_or_b32 exec_lo, exec_lo, s17
.LBB368_1795:                           ;   in Loop: Header=BB368_1062 Depth=1
	s_delay_alu instid0(SALU_CYCLE_1)
	s_or_b32 exec_lo, exec_lo, s16
.LBB368_1796:                           ;   in Loop: Header=BB368_1062 Depth=1
	s_delay_alu instid0(SALU_CYCLE_1) | instskip(SKIP_2) | instid1(VALU_DEP_1)
	s_or_b32 exec_lo, exec_lo, s15
	v_lshrrev_b16 v4, 8, v18
	s_mov_b32 s15, exec_lo
	v_cmpx_ne_u16_e32 0, v4
	s_cbranch_execz .LBB368_1804
; %bb.1797:                             ;   in Loop: Header=BB368_1062 Depth=1
	v_bfrev_b32_e32 v3, 1
	s_mov_b32 s16, exec_lo
	v_cmpx_ne_u16_e32 0x80, v4
	s_cbranch_execz .LBB368_1803
; %bb.1798:                             ;   in Loop: Header=BB368_1062 Depth=1
	v_and_b32_e32 v5, 0xffff, v4
	v_mov_b32_e32 v3, 0x7f800001
	s_mov_b32 s17, exec_lo
	s_delay_alu instid0(VALU_DEP_2) | instskip(NEXT) | instid1(VALU_DEP_1)
	v_and_b32_e32 v4, 0x7f, v5
	v_cmpx_ne_u32_e32 0x7f, v4
	s_cbranch_execz .LBB368_1802
; %bb.1799:                             ;   in Loop: Header=BB368_1062 Depth=1
	v_dual_lshrrev_b32 v3, 3, v4 :: v_dual_bitop2_b32 v22, 7, v5 bitop3:0x40
	s_mov_b32 s18, exec_lo
	s_delay_alu instid0(VALU_DEP_1)
	v_mov_b64_e32 v[34:35], v[22:23]
	v_cmpx_gt_u32_e32 8, v4
; %bb.1800:                             ;   in Loop: Header=BB368_1062 Depth=1
	v_clz_i32_u32_e32 v3, v22
	s_delay_alu instid0(VALU_DEP_1) | instskip(NEXT) | instid1(VALU_DEP_1)
	v_min_u32_e32 v3, 32, v3
	v_subrev_nc_u32_e32 v4, 28, v3
	s_delay_alu instid0(VALU_DEP_1) | instskip(NEXT) | instid1(VALU_DEP_1)
	v_lshlrev_b64_e32 v[4:5], v4, v[22:23]
	v_dual_sub_nc_u32 v3, 29, v3 :: v_dual_bitop2_b32 v34, 7, v4 bitop3:0x40
; %bb.1801:                             ;   in Loop: Header=BB368_1062 Depth=1
	s_or_b32 exec_lo, exec_lo, s18
	v_lshlrev_b32_e32 v4, 16, v18
	s_delay_alu instid0(VALU_DEP_2) | instskip(NEXT) | instid1(VALU_DEP_3)
	v_lshlrev_b32_e32 v5, 20, v34
	v_lshl_add_u32 v3, v3, 23, 0x3c000000
	s_delay_alu instid0(VALU_DEP_3) | instskip(NEXT) | instid1(VALU_DEP_1)
	v_and_b32_e32 v4, 0x80000000, v4
	v_or3_b32 v3, v5, v4, v3
.LBB368_1802:                           ;   in Loop: Header=BB368_1062 Depth=1
	s_or_b32 exec_lo, exec_lo, s17
.LBB368_1803:                           ;   in Loop: Header=BB368_1062 Depth=1
	s_delay_alu instid0(SALU_CYCLE_1)
	s_or_b32 exec_lo, exec_lo, s16
.LBB368_1804:                           ;   in Loop: Header=BB368_1062 Depth=1
	s_delay_alu instid0(SALU_CYCLE_1) | instskip(SKIP_3) | instid1(VALU_DEP_2)
	s_or_b32 exec_lo, exec_lo, s15
	v_dual_mov_b32 v5, 0 :: v_dual_lshrrev_b32 v6, 16, v18
	v_mov_b32_e32 v4, 0
	s_mov_b32 s15, exec_lo
	v_and_b32_e32 v7, 0xff, v6
	s_delay_alu instid0(VALU_DEP_1)
	v_cmpx_ne_u16_e32 0, v7
	s_cbranch_execz .LBB368_1812
; %bb.1805:                             ;   in Loop: Header=BB368_1062 Depth=1
	v_bfrev_b32_e32 v4, 1
	s_mov_b32 s16, exec_lo
	v_cmpx_ne_u16_e32 0x80, v7
	s_cbranch_execz .LBB368_1811
; %bb.1806:                             ;   in Loop: Header=BB368_1062 Depth=1
	v_bfe_u32 v7, v18, 16, 7
	v_mov_b32_e32 v4, 0x7f800001
	s_mov_b32 s17, exec_lo
	s_delay_alu instid0(VALU_DEP_2)
	v_cmpx_ne_u32_e32 0x7f, v7
	s_cbranch_execz .LBB368_1810
; %bb.1807:                             ;   in Loop: Header=BB368_1062 Depth=1
	v_dual_lshrrev_b32 v4, 3, v7 :: v_dual_bitop2_b32 v22, 7, v6 bitop3:0x40
	s_mov_b32 s18, exec_lo
	s_delay_alu instid0(VALU_DEP_1)
	v_mov_b64_e32 v[34:35], v[22:23]
	v_cmpx_gt_u32_e32 8, v7
; %bb.1808:                             ;   in Loop: Header=BB368_1062 Depth=1
	v_clz_i32_u32_e32 v4, v22
	s_delay_alu instid0(VALU_DEP_1) | instskip(NEXT) | instid1(VALU_DEP_1)
	v_min_u32_e32 v4, 32, v4
	v_subrev_nc_u32_e32 v7, 28, v4
	v_sub_nc_u32_e32 v4, 29, v4
	s_delay_alu instid0(VALU_DEP_2) | instskip(NEXT) | instid1(VALU_DEP_1)
	v_lshlrev_b64_e32 v[8:9], v7, v[22:23]
	v_and_b32_e32 v34, 7, v8
; %bb.1809:                             ;   in Loop: Header=BB368_1062 Depth=1
	s_or_b32 exec_lo, exec_lo, s18
	v_lshlrev_b32_e32 v6, 24, v6
	s_delay_alu instid0(VALU_DEP_2) | instskip(SKIP_1) | instid1(VALU_DEP_3)
	v_lshlrev_b32_e32 v7, 20, v34
	v_lshl_add_u32 v4, v4, 23, 0x3c000000
	v_and_b32_e32 v6, 0x80000000, v6
	s_delay_alu instid0(VALU_DEP_1)
	v_or3_b32 v4, v7, v6, v4
.LBB368_1810:                           ;   in Loop: Header=BB368_1062 Depth=1
	s_or_b32 exec_lo, exec_lo, s17
.LBB368_1811:                           ;   in Loop: Header=BB368_1062 Depth=1
	s_delay_alu instid0(SALU_CYCLE_1)
	s_or_b32 exec_lo, exec_lo, s16
.LBB368_1812:                           ;   in Loop: Header=BB368_1062 Depth=1
	s_delay_alu instid0(SALU_CYCLE_1) | instskip(NEXT) | instid1(SALU_CYCLE_1)
	s_or_b32 exec_lo, exec_lo, s15
	s_mov_b32 s15, exec_lo
	v_cmpx_lt_u32_e32 0xffffff, v18
	s_cbranch_execz .LBB368_1820
; %bb.1813:                             ;   in Loop: Header=BB368_1062 Depth=1
	v_lshrrev_b32_e32 v6, 24, v18
	v_bfrev_b32_e32 v5, 1
	s_mov_b32 s16, exec_lo
	s_delay_alu instid0(VALU_DEP_2)
	v_cmpx_ne_u32_e32 0x80, v6
	s_cbranch_execz .LBB368_1819
; %bb.1814:                             ;   in Loop: Header=BB368_1062 Depth=1
	v_bfe_u32 v7, v18, 24, 7
	v_mov_b32_e32 v5, 0x7f800001
	s_mov_b32 s17, exec_lo
	s_delay_alu instid0(VALU_DEP_2)
	v_cmpx_ne_u32_e32 0x7f, v7
	s_cbranch_execz .LBB368_1818
; %bb.1815:                             ;   in Loop: Header=BB368_1062 Depth=1
	v_dual_lshrrev_b32 v5, 3, v7 :: v_dual_bitop2_b32 v22, 7, v6 bitop3:0x40
	s_mov_b32 s18, exec_lo
	s_delay_alu instid0(VALU_DEP_1)
	v_mov_b64_e32 v[34:35], v[22:23]
	v_cmpx_gt_u32_e32 8, v7
; %bb.1816:                             ;   in Loop: Header=BB368_1062 Depth=1
	v_clz_i32_u32_e32 v5, v22
	s_delay_alu instid0(VALU_DEP_1) | instskip(NEXT) | instid1(VALU_DEP_1)
	v_min_u32_e32 v5, 32, v5
	v_subrev_nc_u32_e32 v7, 28, v5
	s_delay_alu instid0(VALU_DEP_1) | instskip(NEXT) | instid1(VALU_DEP_1)
	v_lshlrev_b64_e32 v[8:9], v7, v[22:23]
	v_dual_sub_nc_u32 v5, 29, v5 :: v_dual_bitop2_b32 v34, 7, v8 bitop3:0x40
; %bb.1817:                             ;   in Loop: Header=BB368_1062 Depth=1
	s_or_b32 exec_lo, exec_lo, s18
	v_lshlrev_b32_e32 v6, 24, v6
	s_delay_alu instid0(VALU_DEP_2) | instskip(NEXT) | instid1(VALU_DEP_3)
	v_lshlrev_b32_e32 v7, 20, v34
	v_lshl_add_u32 v5, v5, 23, 0x3c000000
	s_delay_alu instid0(VALU_DEP_3) | instskip(NEXT) | instid1(VALU_DEP_1)
	v_and_b32_e32 v6, 0x80000000, v6
	v_or3_b32 v5, v7, v6, v5
.LBB368_1818:                           ;   in Loop: Header=BB368_1062 Depth=1
	s_or_b32 exec_lo, exec_lo, s17
.LBB368_1819:                           ;   in Loop: Header=BB368_1062 Depth=1
	s_delay_alu instid0(SALU_CYCLE_1)
	s_or_b32 exec_lo, exec_lo, s16
.LBB368_1820:                           ;   in Loop: Header=BB368_1062 Depth=1
	s_delay_alu instid0(SALU_CYCLE_1) | instskip(SKIP_4) | instid1(VALU_DEP_3)
	s_or_b32 exec_lo, exec_lo, s15
	v_and_b32_e32 v8, 0xff, v19
	v_dual_mov_b32 v22, v19 :: v_dual_mov_b32 v7, 0
	v_mov_b32_e32 v6, 0
	s_mov_b32 s15, exec_lo
	v_cmpx_ne_u16_e32 0, v8
	s_cbranch_execz .LBB368_1828
; %bb.1821:                             ;   in Loop: Header=BB368_1062 Depth=1
	v_bfrev_b32_e32 v6, 1
	s_mov_b32 s16, exec_lo
	v_cmpx_ne_u16_e32 0x80, v8
	s_cbranch_execz .LBB368_1827
; %bb.1822:                             ;   in Loop: Header=BB368_1062 Depth=1
	v_and_b32_e32 v8, 0x7f, v19
	v_mov_b32_e32 v6, 0x7f800001
	s_mov_b32 s17, exec_lo
	s_delay_alu instid0(VALU_DEP_2)
	v_cmpx_ne_u32_e32 0x7f, v8
	s_cbranch_execz .LBB368_1826
; %bb.1823:                             ;   in Loop: Header=BB368_1062 Depth=1
	v_mov_b64_e32 v[34:35], v[22:23]
	v_lshrrev_b32_e32 v6, 3, v8
	s_mov_b32 s18, exec_lo
	v_cmpx_gt_u32_e32 8, v8
; %bb.1824:                             ;   in Loop: Header=BB368_1062 Depth=1
	v_and_b32_e32 v6, 7, v19
	s_delay_alu instid0(VALU_DEP_1) | instskip(NEXT) | instid1(VALU_DEP_1)
	v_clz_i32_u32_e32 v6, v6
	v_min_u32_e32 v6, 32, v6
	s_delay_alu instid0(VALU_DEP_1) | instskip(SKIP_1) | instid1(VALU_DEP_2)
	v_subrev_nc_u32_e32 v8, 28, v6
	v_sub_nc_u32_e32 v6, 29, v6
	v_lshlrev_b64_e32 v[34:35], v8, v[22:23]
; %bb.1825:                             ;   in Loop: Header=BB368_1062 Depth=1
	s_or_b32 exec_lo, exec_lo, s18
	s_delay_alu instid0(VALU_DEP_1) | instskip(SKIP_2) | instid1(VALU_DEP_3)
	v_lshlrev_b32_e32 v8, 20, v34
	v_lshlrev_b32_e32 v9, 24, v22
	v_lshl_add_u32 v6, v6, 23, 0x3c000000
	v_and_b32_e32 v8, 0x700000, v8
	s_delay_alu instid0(VALU_DEP_3) | instskip(NEXT) | instid1(VALU_DEP_1)
	v_and_b32_e32 v9, 0x80000000, v9
	v_or3_b32 v6, v8, v9, v6
.LBB368_1826:                           ;   in Loop: Header=BB368_1062 Depth=1
	s_or_b32 exec_lo, exec_lo, s17
.LBB368_1827:                           ;   in Loop: Header=BB368_1062 Depth=1
	s_delay_alu instid0(SALU_CYCLE_1)
	s_or_b32 exec_lo, exec_lo, s16
.LBB368_1828:                           ;   in Loop: Header=BB368_1062 Depth=1
	s_delay_alu instid0(SALU_CYCLE_1) | instskip(SKIP_2) | instid1(VALU_DEP_1)
	s_or_b32 exec_lo, exec_lo, s15
	v_lshrrev_b16 v8, 8, v22
	s_mov_b32 s15, exec_lo
	v_cmpx_ne_u16_e32 0, v8
	s_cbranch_execz .LBB368_1836
; %bb.1829:                             ;   in Loop: Header=BB368_1062 Depth=1
	v_bfrev_b32_e32 v7, 1
	s_mov_b32 s16, exec_lo
	v_cmpx_ne_u16_e32 0x80, v8
	s_cbranch_execz .LBB368_1835
; %bb.1830:                             ;   in Loop: Header=BB368_1062 Depth=1
	v_and_b32_e32 v9, 0xffff, v8
	v_mov_b32_e32 v7, 0x7f800001
	s_mov_b32 s17, exec_lo
	s_delay_alu instid0(VALU_DEP_2) | instskip(NEXT) | instid1(VALU_DEP_1)
	v_and_b32_e32 v8, 0x7f, v9
	v_cmpx_ne_u32_e32 0x7f, v8
	s_cbranch_execz .LBB368_1834
; %bb.1831:                             ;   in Loop: Header=BB368_1062 Depth=1
	v_dual_mov_b32 v35, v23 :: v_dual_bitop2_b32 v34, 7, v9 bitop3:0x40
	v_lshrrev_b32_e32 v7, 3, v8
	s_mov_b32 s18, exec_lo
	v_cmpx_gt_u32_e32 8, v8
; %bb.1832:                             ;   in Loop: Header=BB368_1062 Depth=1
	s_delay_alu instid0(VALU_DEP_3) | instskip(NEXT) | instid1(VALU_DEP_1)
	v_clz_i32_u32_e32 v7, v34
	v_min_u32_e32 v7, 32, v7
	s_delay_alu instid0(VALU_DEP_1) | instskip(NEXT) | instid1(VALU_DEP_1)
	v_subrev_nc_u32_e32 v8, 28, v7
	v_lshlrev_b64_e32 v[8:9], v8, v[34:35]
	s_delay_alu instid0(VALU_DEP_1)
	v_dual_sub_nc_u32 v7, 29, v7 :: v_dual_bitop2_b32 v34, 7, v8 bitop3:0x40
; %bb.1833:                             ;   in Loop: Header=BB368_1062 Depth=1
	s_or_b32 exec_lo, exec_lo, s18
	v_lshlrev_b32_e32 v8, 16, v22
	s_delay_alu instid0(VALU_DEP_2) | instskip(NEXT) | instid1(VALU_DEP_3)
	v_lshlrev_b32_e32 v9, 20, v34
	v_lshl_add_u32 v7, v7, 23, 0x3c000000
	s_delay_alu instid0(VALU_DEP_3) | instskip(NEXT) | instid1(VALU_DEP_1)
	v_and_b32_e32 v8, 0x80000000, v8
	v_or3_b32 v7, v9, v8, v7
.LBB368_1834:                           ;   in Loop: Header=BB368_1062 Depth=1
	s_or_b32 exec_lo, exec_lo, s17
.LBB368_1835:                           ;   in Loop: Header=BB368_1062 Depth=1
	s_delay_alu instid0(SALU_CYCLE_1)
	s_or_b32 exec_lo, exec_lo, s16
.LBB368_1836:                           ;   in Loop: Header=BB368_1062 Depth=1
	s_delay_alu instid0(SALU_CYCLE_1) | instskip(SKIP_3) | instid1(VALU_DEP_2)
	s_or_b32 exec_lo, exec_lo, s15
	v_dual_mov_b32 v8, 0 :: v_dual_lshrrev_b32 v37, 16, v19
	v_mov_b32_e32 v9, 0
	s_mov_b32 s15, exec_lo
	v_and_b32_e32 v22, 0xff, v37
	s_delay_alu instid0(VALU_DEP_1)
	v_cmpx_ne_u16_e32 0, v22
	s_cbranch_execz .LBB368_1844
; %bb.1837:                             ;   in Loop: Header=BB368_1062 Depth=1
	v_bfrev_b32_e32 v9, 1
	s_mov_b32 s16, exec_lo
	v_cmpx_ne_u16_e32 0x80, v22
	s_cbranch_execz .LBB368_1843
; %bb.1838:                             ;   in Loop: Header=BB368_1062 Depth=1
	v_bfe_u32 v34, v19, 16, 7
	v_mov_b32_e32 v9, 0x7f800001
	s_mov_b32 s17, exec_lo
	s_delay_alu instid0(VALU_DEP_2)
	v_cmpx_ne_u32_e32 0x7f, v34
	s_cbranch_execz .LBB368_1842
; %bb.1839:                             ;   in Loop: Header=BB368_1062 Depth=1
	v_dual_lshrrev_b32 v9, 3, v34 :: v_dual_bitop2_b32 v22, 7, v37 bitop3:0x40
	v_cmp_gt_u32_e64 s0, 8, v34
	s_delay_alu instid0(VALU_DEP_2)
	v_mov_b64_e32 v[34:35], v[22:23]
	s_and_saveexec_b32 s18, s0
; %bb.1840:                             ;   in Loop: Header=BB368_1062 Depth=1
	v_clz_i32_u32_e32 v9, v22
	s_delay_alu instid0(VALU_DEP_1) | instskip(NEXT) | instid1(VALU_DEP_1)
	v_min_u32_e32 v9, 32, v9
	v_subrev_nc_u32_e32 v34, 28, v9
	s_delay_alu instid0(VALU_DEP_1) | instskip(NEXT) | instid1(VALU_DEP_1)
	v_lshlrev_b64_e32 v[34:35], v34, v[22:23]
	v_dual_sub_nc_u32 v9, 29, v9 :: v_dual_bitop2_b32 v34, 7, v34 bitop3:0x40
; %bb.1841:                             ;   in Loop: Header=BB368_1062 Depth=1
	s_or_b32 exec_lo, exec_lo, s18
	s_delay_alu instid0(VALU_DEP_1) | instskip(NEXT) | instid1(VALU_DEP_2)
	v_dual_lshlrev_b32 v22, 24, v37 :: v_dual_lshlrev_b32 v34, 20, v34
	v_lshl_add_u32 v9, v9, 23, 0x3c000000
	s_delay_alu instid0(VALU_DEP_2) | instskip(NEXT) | instid1(VALU_DEP_1)
	v_and_b32_e32 v22, 0x80000000, v22
	v_or3_b32 v9, v34, v22, v9
.LBB368_1842:                           ;   in Loop: Header=BB368_1062 Depth=1
	s_or_b32 exec_lo, exec_lo, s17
.LBB368_1843:                           ;   in Loop: Header=BB368_1062 Depth=1
	s_delay_alu instid0(SALU_CYCLE_1)
	s_or_b32 exec_lo, exec_lo, s16
.LBB368_1844:                           ;   in Loop: Header=BB368_1062 Depth=1
	s_delay_alu instid0(SALU_CYCLE_1) | instskip(NEXT) | instid1(SALU_CYCLE_1)
	s_or_b32 exec_lo, exec_lo, s15
	s_mov_b32 s15, exec_lo
	v_cmpx_lt_u64_e64 s[2:3], v[18:19]
	s_cbranch_execz .LBB368_1852
; %bb.1845:                             ;   in Loop: Header=BB368_1062 Depth=1
	v_lshrrev_b32_e32 v34, 24, v19
	v_bfrev_b32_e32 v8, 1
	s_mov_b32 s16, exec_lo
	s_delay_alu instid0(VALU_DEP_2)
	v_cmpx_ne_u32_e32 0x80, v34
	s_cbranch_execz .LBB368_1851
; %bb.1846:                             ;   in Loop: Header=BB368_1062 Depth=1
	v_bfe_u32 v18, v19, 24, 7
	v_mov_b32_e32 v8, 0x7f800001
	s_mov_b32 s17, exec_lo
	s_delay_alu instid0(VALU_DEP_2)
	v_cmpx_ne_u32_e32 0x7f, v18
	s_cbranch_execz .LBB368_1850
; %bb.1847:                             ;   in Loop: Header=BB368_1062 Depth=1
	v_and_b32_e32 v22, 7, v34
	v_lshrrev_b32_e32 v8, 3, v18
	v_cmp_gt_u32_e64 s0, 8, v18
	s_delay_alu instid0(VALU_DEP_3)
	v_mov_b64_e32 v[18:19], v[22:23]
	s_and_saveexec_b32 s18, s0
; %bb.1848:                             ;   in Loop: Header=BB368_1062 Depth=1
	v_clz_i32_u32_e32 v8, v22
	s_delay_alu instid0(VALU_DEP_1) | instskip(NEXT) | instid1(VALU_DEP_1)
	v_min_u32_e32 v8, 32, v8
	v_subrev_nc_u32_e32 v18, 28, v8
	s_delay_alu instid0(VALU_DEP_1) | instskip(NEXT) | instid1(VALU_DEP_1)
	v_lshlrev_b64_e32 v[18:19], v18, v[22:23]
	v_dual_sub_nc_u32 v8, 29, v8 :: v_dual_bitop2_b32 v18, 7, v18 bitop3:0x40
; %bb.1849:                             ;   in Loop: Header=BB368_1062 Depth=1
	s_or_b32 exec_lo, exec_lo, s18
	v_lshlrev_b32_e32 v19, 24, v34
	s_delay_alu instid0(VALU_DEP_2) | instskip(NEXT) | instid1(VALU_DEP_3)
	v_lshlrev_b32_e32 v18, 20, v18
	v_lshl_add_u32 v8, v8, 23, 0x3c000000
	s_delay_alu instid0(VALU_DEP_3) | instskip(NEXT) | instid1(VALU_DEP_1)
	v_and_b32_e32 v19, 0x80000000, v19
	v_or3_b32 v8, v18, v19, v8
.LBB368_1850:                           ;   in Loop: Header=BB368_1062 Depth=1
	s_or_b32 exec_lo, exec_lo, s17
.LBB368_1851:                           ;   in Loop: Header=BB368_1062 Depth=1
	s_delay_alu instid0(SALU_CYCLE_1)
	s_or_b32 exec_lo, exec_lo, s16
.LBB368_1852:                           ;   in Loop: Header=BB368_1062 Depth=1
	s_delay_alu instid0(SALU_CYCLE_1)
	s_or_b32 exec_lo, exec_lo, s15
	v_fma_mixlo_bf16 v67, v49, v7, 0
	v_fma_mixlo_bf16 v68, v49, v6, 0
	v_fma_mixlo_bf16 v70, v49, v5, 0
	v_fma_mixlo_bf16 v80, v49, v4, 0
	v_fma_mixlo_bf16 v81, v49, v3, 0
	v_fma_mixlo_bf16 v82, v49, v2, 0
	v_fma_mixlo_bf16 v69, v49, v9, 0
	v_fma_mixlo_bf16 v71, v49, v8, 0
	s_and_saveexec_b32 s15, vcc_lo
	s_cbranch_execz .LBB368_1854
; %bb.1853:                             ;   in Loop: Header=BB368_1062 Depth=1
	v_cmp_lt_i32_e64 s0, v102, v36
	s_delay_alu instid0(VALU_DEP_1) | instskip(SKIP_1) | instid1(VALU_DEP_1)
	v_cndmask_b32_e64 v82, 0, v82, s0
	v_cmp_lt_i32_e64 s0, v114, v36
	v_cndmask_b32_e64 v81, 0, v81, s0
	v_cmp_lt_i32_e64 s0, v113, v36
	s_delay_alu instid0(VALU_DEP_1) | instskip(SKIP_1) | instid1(VALU_DEP_1)
	v_cndmask_b32_e64 v80, 0, v80, s0
	v_cmp_lt_i32_e64 s0, v112, v36
	v_cndmask_b32_e64 v70, 0, v70, s0
	;; [unrolled: 5-line block ×4, first 2 shown]
.LBB368_1854:                           ;   in Loop: Header=BB368_1062 Depth=1
	s_or_b32 exec_lo, exec_lo, s15
	flat_load_b64 v[18:19], v[0:1] offset:3072
	v_dual_mov_b32 v3, 0 :: v_dual_mov_b32 v2, 0
	s_mov_b32 s15, exec_lo
	s_wait_loadcnt_dscnt 0x0
	v_and_b32_e32 v4, 0xff, v18
	s_wait_xcnt 0x0
	s_delay_alu instid0(VALU_DEP_1)
	v_cmpx_ne_u16_e32 0, v4
	s_cbranch_execz .LBB368_1862
; %bb.1855:                             ;   in Loop: Header=BB368_1062 Depth=1
	v_bfrev_b32_e32 v2, 1
	s_mov_b32 s16, exec_lo
	v_cmpx_ne_u16_e32 0x80, v4
	s_cbranch_execz .LBB368_1861
; %bb.1856:                             ;   in Loop: Header=BB368_1062 Depth=1
	v_and_b32_e32 v4, 0x7f, v18
	v_mov_b32_e32 v2, 0x7f800001
	s_mov_b32 s17, exec_lo
	s_delay_alu instid0(VALU_DEP_2)
	v_cmpx_ne_u32_e32 0x7f, v4
	s_cbranch_execz .LBB368_1860
; %bb.1857:                             ;   in Loop: Header=BB368_1062 Depth=1
	v_mov_b64_e32 v[34:35], v[18:19]
	v_lshrrev_b32_e32 v2, 3, v4
	s_mov_b32 s18, exec_lo
	v_cmpx_gt_u32_e32 8, v4
; %bb.1858:                             ;   in Loop: Header=BB368_1062 Depth=1
	v_and_b32_e32 v2, 7, v18
	s_delay_alu instid0(VALU_DEP_1) | instskip(NEXT) | instid1(VALU_DEP_1)
	v_clz_i32_u32_e32 v2, v2
	v_min_u32_e32 v2, 32, v2
	s_delay_alu instid0(VALU_DEP_1) | instskip(SKIP_1) | instid1(VALU_DEP_2)
	v_subrev_nc_u32_e32 v4, 28, v2
	v_sub_nc_u32_e32 v2, 29, v2
	v_lshlrev_b64_e32 v[34:35], v4, v[18:19]
; %bb.1859:                             ;   in Loop: Header=BB368_1062 Depth=1
	s_or_b32 exec_lo, exec_lo, s18
	s_delay_alu instid0(VALU_DEP_1) | instskip(SKIP_2) | instid1(VALU_DEP_3)
	v_lshlrev_b32_e32 v4, 20, v34
	v_lshlrev_b32_e32 v5, 24, v18
	v_lshl_add_u32 v2, v2, 23, 0x3c000000
	v_and_b32_e32 v4, 0x700000, v4
	s_delay_alu instid0(VALU_DEP_3) | instskip(NEXT) | instid1(VALU_DEP_1)
	v_and_b32_e32 v5, 0x80000000, v5
	v_or3_b32 v2, v4, v5, v2
.LBB368_1860:                           ;   in Loop: Header=BB368_1062 Depth=1
	s_or_b32 exec_lo, exec_lo, s17
.LBB368_1861:                           ;   in Loop: Header=BB368_1062 Depth=1
	s_delay_alu instid0(SALU_CYCLE_1)
	s_or_b32 exec_lo, exec_lo, s16
.LBB368_1862:                           ;   in Loop: Header=BB368_1062 Depth=1
	s_delay_alu instid0(SALU_CYCLE_1) | instskip(SKIP_2) | instid1(VALU_DEP_1)
	s_or_b32 exec_lo, exec_lo, s15
	v_lshrrev_b16 v4, 8, v18
	s_mov_b32 s15, exec_lo
	v_cmpx_ne_u16_e32 0, v4
	s_cbranch_execz .LBB368_1870
; %bb.1863:                             ;   in Loop: Header=BB368_1062 Depth=1
	v_bfrev_b32_e32 v3, 1
	s_mov_b32 s16, exec_lo
	v_cmpx_ne_u16_e32 0x80, v4
	s_cbranch_execz .LBB368_1869
; %bb.1864:                             ;   in Loop: Header=BB368_1062 Depth=1
	v_and_b32_e32 v5, 0xffff, v4
	v_mov_b32_e32 v3, 0x7f800001
	s_mov_b32 s17, exec_lo
	s_delay_alu instid0(VALU_DEP_2) | instskip(NEXT) | instid1(VALU_DEP_1)
	v_and_b32_e32 v4, 0x7f, v5
	v_cmpx_ne_u32_e32 0x7f, v4
	s_cbranch_execz .LBB368_1868
; %bb.1865:                             ;   in Loop: Header=BB368_1062 Depth=1
	v_dual_lshrrev_b32 v3, 3, v4 :: v_dual_bitop2_b32 v22, 7, v5 bitop3:0x40
	s_mov_b32 s18, exec_lo
	s_delay_alu instid0(VALU_DEP_1)
	v_mov_b64_e32 v[34:35], v[22:23]
	v_cmpx_gt_u32_e32 8, v4
; %bb.1866:                             ;   in Loop: Header=BB368_1062 Depth=1
	v_clz_i32_u32_e32 v3, v22
	s_delay_alu instid0(VALU_DEP_1) | instskip(NEXT) | instid1(VALU_DEP_1)
	v_min_u32_e32 v3, 32, v3
	v_subrev_nc_u32_e32 v4, 28, v3
	s_delay_alu instid0(VALU_DEP_1) | instskip(NEXT) | instid1(VALU_DEP_1)
	v_lshlrev_b64_e32 v[4:5], v4, v[22:23]
	v_dual_sub_nc_u32 v3, 29, v3 :: v_dual_bitop2_b32 v34, 7, v4 bitop3:0x40
; %bb.1867:                             ;   in Loop: Header=BB368_1062 Depth=1
	s_or_b32 exec_lo, exec_lo, s18
	v_lshlrev_b32_e32 v4, 16, v18
	s_delay_alu instid0(VALU_DEP_2) | instskip(NEXT) | instid1(VALU_DEP_3)
	v_lshlrev_b32_e32 v5, 20, v34
	v_lshl_add_u32 v3, v3, 23, 0x3c000000
	s_delay_alu instid0(VALU_DEP_3) | instskip(NEXT) | instid1(VALU_DEP_1)
	v_and_b32_e32 v4, 0x80000000, v4
	v_or3_b32 v3, v5, v4, v3
.LBB368_1868:                           ;   in Loop: Header=BB368_1062 Depth=1
	s_or_b32 exec_lo, exec_lo, s17
.LBB368_1869:                           ;   in Loop: Header=BB368_1062 Depth=1
	s_delay_alu instid0(SALU_CYCLE_1)
	s_or_b32 exec_lo, exec_lo, s16
.LBB368_1870:                           ;   in Loop: Header=BB368_1062 Depth=1
	s_delay_alu instid0(SALU_CYCLE_1) | instskip(SKIP_3) | instid1(VALU_DEP_2)
	s_or_b32 exec_lo, exec_lo, s15
	v_dual_lshrrev_b32 v6, 16, v18 :: v_dual_mov_b32 v4, 0
	v_mov_b32_e32 v5, 0
	s_mov_b32 s15, exec_lo
	v_and_b32_e32 v7, 0xff, v6
	s_delay_alu instid0(VALU_DEP_1)
	v_cmpx_ne_u16_e32 0, v7
	s_cbranch_execz .LBB368_1878
; %bb.1871:                             ;   in Loop: Header=BB368_1062 Depth=1
	v_bfrev_b32_e32 v5, 1
	s_mov_b32 s16, exec_lo
	v_cmpx_ne_u16_e32 0x80, v7
	s_cbranch_execz .LBB368_1877
; %bb.1872:                             ;   in Loop: Header=BB368_1062 Depth=1
	v_bfe_u32 v7, v18, 16, 7
	v_mov_b32_e32 v5, 0x7f800001
	s_mov_b32 s17, exec_lo
	s_delay_alu instid0(VALU_DEP_2)
	v_cmpx_ne_u32_e32 0x7f, v7
	s_cbranch_execz .LBB368_1876
; %bb.1873:                             ;   in Loop: Header=BB368_1062 Depth=1
	v_dual_lshrrev_b32 v5, 3, v7 :: v_dual_bitop2_b32 v22, 7, v6 bitop3:0x40
	s_mov_b32 s18, exec_lo
	s_delay_alu instid0(VALU_DEP_1)
	v_mov_b64_e32 v[34:35], v[22:23]
	v_cmpx_gt_u32_e32 8, v7
; %bb.1874:                             ;   in Loop: Header=BB368_1062 Depth=1
	v_clz_i32_u32_e32 v5, v22
	s_delay_alu instid0(VALU_DEP_1) | instskip(NEXT) | instid1(VALU_DEP_1)
	v_min_u32_e32 v5, 32, v5
	v_subrev_nc_u32_e32 v7, 28, v5
	s_delay_alu instid0(VALU_DEP_1) | instskip(NEXT) | instid1(VALU_DEP_1)
	v_lshlrev_b64_e32 v[8:9], v7, v[22:23]
	v_dual_sub_nc_u32 v5, 29, v5 :: v_dual_bitop2_b32 v34, 7, v8 bitop3:0x40
; %bb.1875:                             ;   in Loop: Header=BB368_1062 Depth=1
	s_or_b32 exec_lo, exec_lo, s18
	v_lshlrev_b32_e32 v6, 24, v6
	s_delay_alu instid0(VALU_DEP_2) | instskip(NEXT) | instid1(VALU_DEP_3)
	v_lshlrev_b32_e32 v7, 20, v34
	v_lshl_add_u32 v5, v5, 23, 0x3c000000
	s_delay_alu instid0(VALU_DEP_3) | instskip(NEXT) | instid1(VALU_DEP_1)
	v_and_b32_e32 v6, 0x80000000, v6
	v_or3_b32 v5, v7, v6, v5
.LBB368_1876:                           ;   in Loop: Header=BB368_1062 Depth=1
	s_or_b32 exec_lo, exec_lo, s17
.LBB368_1877:                           ;   in Loop: Header=BB368_1062 Depth=1
	s_delay_alu instid0(SALU_CYCLE_1)
	s_or_b32 exec_lo, exec_lo, s16
.LBB368_1878:                           ;   in Loop: Header=BB368_1062 Depth=1
	s_delay_alu instid0(SALU_CYCLE_1) | instskip(NEXT) | instid1(SALU_CYCLE_1)
	s_or_b32 exec_lo, exec_lo, s15
	s_mov_b32 s15, exec_lo
	v_cmpx_lt_u32_e32 0xffffff, v18
	s_cbranch_execz .LBB368_1886
; %bb.1879:                             ;   in Loop: Header=BB368_1062 Depth=1
	v_lshrrev_b32_e32 v6, 24, v18
	v_bfrev_b32_e32 v4, 1
	s_mov_b32 s16, exec_lo
	s_delay_alu instid0(VALU_DEP_2)
	v_cmpx_ne_u32_e32 0x80, v6
	s_cbranch_execz .LBB368_1885
; %bb.1880:                             ;   in Loop: Header=BB368_1062 Depth=1
	v_bfe_u32 v7, v18, 24, 7
	v_mov_b32_e32 v4, 0x7f800001
	s_mov_b32 s17, exec_lo
	s_delay_alu instid0(VALU_DEP_2)
	v_cmpx_ne_u32_e32 0x7f, v7
	s_cbranch_execz .LBB368_1884
; %bb.1881:                             ;   in Loop: Header=BB368_1062 Depth=1
	v_dual_lshrrev_b32 v4, 3, v7 :: v_dual_bitop2_b32 v22, 7, v6 bitop3:0x40
	s_mov_b32 s18, exec_lo
	s_delay_alu instid0(VALU_DEP_1)
	v_mov_b64_e32 v[34:35], v[22:23]
	v_cmpx_gt_u32_e32 8, v7
; %bb.1882:                             ;   in Loop: Header=BB368_1062 Depth=1
	v_clz_i32_u32_e32 v4, v22
	s_delay_alu instid0(VALU_DEP_1) | instskip(NEXT) | instid1(VALU_DEP_1)
	v_min_u32_e32 v4, 32, v4
	v_subrev_nc_u32_e32 v7, 28, v4
	v_sub_nc_u32_e32 v4, 29, v4
	s_delay_alu instid0(VALU_DEP_2) | instskip(NEXT) | instid1(VALU_DEP_1)
	v_lshlrev_b64_e32 v[8:9], v7, v[22:23]
	v_and_b32_e32 v34, 7, v8
; %bb.1883:                             ;   in Loop: Header=BB368_1062 Depth=1
	s_or_b32 exec_lo, exec_lo, s18
	v_lshlrev_b32_e32 v6, 24, v6
	s_delay_alu instid0(VALU_DEP_2) | instskip(SKIP_1) | instid1(VALU_DEP_3)
	v_lshlrev_b32_e32 v7, 20, v34
	v_lshl_add_u32 v4, v4, 23, 0x3c000000
	v_and_b32_e32 v6, 0x80000000, v6
	s_delay_alu instid0(VALU_DEP_1)
	v_or3_b32 v4, v7, v6, v4
.LBB368_1884:                           ;   in Loop: Header=BB368_1062 Depth=1
	s_or_b32 exec_lo, exec_lo, s17
.LBB368_1885:                           ;   in Loop: Header=BB368_1062 Depth=1
	s_delay_alu instid0(SALU_CYCLE_1)
	s_or_b32 exec_lo, exec_lo, s16
.LBB368_1886:                           ;   in Loop: Header=BB368_1062 Depth=1
	s_delay_alu instid0(SALU_CYCLE_1) | instskip(SKIP_4) | instid1(VALU_DEP_3)
	s_or_b32 exec_lo, exec_lo, s15
	v_and_b32_e32 v8, 0xff, v19
	v_dual_mov_b32 v22, v19 :: v_dual_mov_b32 v7, 0
	v_mov_b32_e32 v6, 0
	s_mov_b32 s15, exec_lo
	v_cmpx_ne_u16_e32 0, v8
	s_cbranch_execz .LBB368_1894
; %bb.1887:                             ;   in Loop: Header=BB368_1062 Depth=1
	v_bfrev_b32_e32 v6, 1
	s_mov_b32 s16, exec_lo
	v_cmpx_ne_u16_e32 0x80, v8
	s_cbranch_execz .LBB368_1893
; %bb.1888:                             ;   in Loop: Header=BB368_1062 Depth=1
	v_and_b32_e32 v8, 0x7f, v19
	v_mov_b32_e32 v6, 0x7f800001
	s_mov_b32 s17, exec_lo
	s_delay_alu instid0(VALU_DEP_2)
	v_cmpx_ne_u32_e32 0x7f, v8
	s_cbranch_execz .LBB368_1892
; %bb.1889:                             ;   in Loop: Header=BB368_1062 Depth=1
	v_mov_b64_e32 v[34:35], v[22:23]
	v_lshrrev_b32_e32 v6, 3, v8
	s_mov_b32 s18, exec_lo
	v_cmpx_gt_u32_e32 8, v8
; %bb.1890:                             ;   in Loop: Header=BB368_1062 Depth=1
	v_and_b32_e32 v6, 7, v19
	s_delay_alu instid0(VALU_DEP_1) | instskip(NEXT) | instid1(VALU_DEP_1)
	v_clz_i32_u32_e32 v6, v6
	v_min_u32_e32 v6, 32, v6
	s_delay_alu instid0(VALU_DEP_1) | instskip(SKIP_1) | instid1(VALU_DEP_2)
	v_subrev_nc_u32_e32 v8, 28, v6
	v_sub_nc_u32_e32 v6, 29, v6
	v_lshlrev_b64_e32 v[34:35], v8, v[22:23]
; %bb.1891:                             ;   in Loop: Header=BB368_1062 Depth=1
	s_or_b32 exec_lo, exec_lo, s18
	s_delay_alu instid0(VALU_DEP_1) | instskip(SKIP_2) | instid1(VALU_DEP_3)
	v_lshlrev_b32_e32 v8, 20, v34
	v_lshlrev_b32_e32 v9, 24, v22
	v_lshl_add_u32 v6, v6, 23, 0x3c000000
	v_and_b32_e32 v8, 0x700000, v8
	s_delay_alu instid0(VALU_DEP_3) | instskip(NEXT) | instid1(VALU_DEP_1)
	v_and_b32_e32 v9, 0x80000000, v9
	v_or3_b32 v6, v8, v9, v6
.LBB368_1892:                           ;   in Loop: Header=BB368_1062 Depth=1
	s_or_b32 exec_lo, exec_lo, s17
.LBB368_1893:                           ;   in Loop: Header=BB368_1062 Depth=1
	s_delay_alu instid0(SALU_CYCLE_1)
	s_or_b32 exec_lo, exec_lo, s16
.LBB368_1894:                           ;   in Loop: Header=BB368_1062 Depth=1
	s_delay_alu instid0(SALU_CYCLE_1) | instskip(SKIP_2) | instid1(VALU_DEP_1)
	s_or_b32 exec_lo, exec_lo, s15
	v_lshrrev_b16 v8, 8, v22
	s_mov_b32 s15, exec_lo
	v_cmpx_ne_u16_e32 0, v8
	s_cbranch_execz .LBB368_1902
; %bb.1895:                             ;   in Loop: Header=BB368_1062 Depth=1
	v_bfrev_b32_e32 v7, 1
	s_mov_b32 s16, exec_lo
	v_cmpx_ne_u16_e32 0x80, v8
	s_cbranch_execz .LBB368_1901
; %bb.1896:                             ;   in Loop: Header=BB368_1062 Depth=1
	v_and_b32_e32 v9, 0xffff, v8
	v_mov_b32_e32 v7, 0x7f800001
	s_mov_b32 s17, exec_lo
	s_delay_alu instid0(VALU_DEP_2) | instskip(NEXT) | instid1(VALU_DEP_1)
	v_and_b32_e32 v8, 0x7f, v9
	v_cmpx_ne_u32_e32 0x7f, v8
	s_cbranch_execz .LBB368_1900
; %bb.1897:                             ;   in Loop: Header=BB368_1062 Depth=1
	v_dual_mov_b32 v35, v23 :: v_dual_bitop2_b32 v34, 7, v9 bitop3:0x40
	v_lshrrev_b32_e32 v7, 3, v8
	s_mov_b32 s18, exec_lo
	v_cmpx_gt_u32_e32 8, v8
; %bb.1898:                             ;   in Loop: Header=BB368_1062 Depth=1
	s_delay_alu instid0(VALU_DEP_3) | instskip(NEXT) | instid1(VALU_DEP_1)
	v_clz_i32_u32_e32 v7, v34
	v_min_u32_e32 v7, 32, v7
	s_delay_alu instid0(VALU_DEP_1) | instskip(NEXT) | instid1(VALU_DEP_1)
	v_subrev_nc_u32_e32 v8, 28, v7
	v_lshlrev_b64_e32 v[8:9], v8, v[34:35]
	s_delay_alu instid0(VALU_DEP_1)
	v_dual_sub_nc_u32 v7, 29, v7 :: v_dual_bitop2_b32 v34, 7, v8 bitop3:0x40
; %bb.1899:                             ;   in Loop: Header=BB368_1062 Depth=1
	s_or_b32 exec_lo, exec_lo, s18
	v_lshlrev_b32_e32 v8, 16, v22
	s_delay_alu instid0(VALU_DEP_2) | instskip(NEXT) | instid1(VALU_DEP_3)
	v_lshlrev_b32_e32 v9, 20, v34
	v_lshl_add_u32 v7, v7, 23, 0x3c000000
	s_delay_alu instid0(VALU_DEP_3) | instskip(NEXT) | instid1(VALU_DEP_1)
	v_and_b32_e32 v8, 0x80000000, v8
	v_or3_b32 v7, v9, v8, v7
.LBB368_1900:                           ;   in Loop: Header=BB368_1062 Depth=1
	s_or_b32 exec_lo, exec_lo, s17
.LBB368_1901:                           ;   in Loop: Header=BB368_1062 Depth=1
	s_delay_alu instid0(SALU_CYCLE_1)
	s_or_b32 exec_lo, exec_lo, s16
.LBB368_1902:                           ;   in Loop: Header=BB368_1062 Depth=1
	s_delay_alu instid0(SALU_CYCLE_1) | instskip(SKIP_3) | instid1(VALU_DEP_2)
	s_or_b32 exec_lo, exec_lo, s15
	v_dual_mov_b32 v8, 0 :: v_dual_lshrrev_b32 v37, 16, v19
	v_mov_b32_e32 v9, 0
	s_mov_b32 s15, exec_lo
	v_and_b32_e32 v22, 0xff, v37
	s_delay_alu instid0(VALU_DEP_1)
	v_cmpx_ne_u16_e32 0, v22
	s_cbranch_execz .LBB368_1910
; %bb.1903:                             ;   in Loop: Header=BB368_1062 Depth=1
	v_bfrev_b32_e32 v9, 1
	s_mov_b32 s16, exec_lo
	v_cmpx_ne_u16_e32 0x80, v22
	s_cbranch_execz .LBB368_1909
; %bb.1904:                             ;   in Loop: Header=BB368_1062 Depth=1
	v_bfe_u32 v34, v19, 16, 7
	v_mov_b32_e32 v9, 0x7f800001
	s_mov_b32 s17, exec_lo
	s_delay_alu instid0(VALU_DEP_2)
	v_cmpx_ne_u32_e32 0x7f, v34
	s_cbranch_execz .LBB368_1908
; %bb.1905:                             ;   in Loop: Header=BB368_1062 Depth=1
	v_dual_lshrrev_b32 v9, 3, v34 :: v_dual_bitop2_b32 v22, 7, v37 bitop3:0x40
	v_cmp_gt_u32_e64 s0, 8, v34
	s_delay_alu instid0(VALU_DEP_2)
	v_mov_b64_e32 v[34:35], v[22:23]
	s_and_saveexec_b32 s18, s0
; %bb.1906:                             ;   in Loop: Header=BB368_1062 Depth=1
	v_clz_i32_u32_e32 v9, v22
	s_delay_alu instid0(VALU_DEP_1) | instskip(NEXT) | instid1(VALU_DEP_1)
	v_min_u32_e32 v9, 32, v9
	v_subrev_nc_u32_e32 v34, 28, v9
	s_delay_alu instid0(VALU_DEP_1) | instskip(NEXT) | instid1(VALU_DEP_1)
	v_lshlrev_b64_e32 v[34:35], v34, v[22:23]
	v_dual_sub_nc_u32 v9, 29, v9 :: v_dual_bitop2_b32 v34, 7, v34 bitop3:0x40
; %bb.1907:                             ;   in Loop: Header=BB368_1062 Depth=1
	s_or_b32 exec_lo, exec_lo, s18
	s_delay_alu instid0(VALU_DEP_1) | instskip(NEXT) | instid1(VALU_DEP_2)
	v_dual_lshlrev_b32 v22, 24, v37 :: v_dual_lshlrev_b32 v34, 20, v34
	v_lshl_add_u32 v9, v9, 23, 0x3c000000
	s_delay_alu instid0(VALU_DEP_2) | instskip(NEXT) | instid1(VALU_DEP_1)
	v_and_b32_e32 v22, 0x80000000, v22
	v_or3_b32 v9, v34, v22, v9
.LBB368_1908:                           ;   in Loop: Header=BB368_1062 Depth=1
	s_or_b32 exec_lo, exec_lo, s17
.LBB368_1909:                           ;   in Loop: Header=BB368_1062 Depth=1
	s_delay_alu instid0(SALU_CYCLE_1)
	s_or_b32 exec_lo, exec_lo, s16
.LBB368_1910:                           ;   in Loop: Header=BB368_1062 Depth=1
	s_delay_alu instid0(SALU_CYCLE_1) | instskip(NEXT) | instid1(SALU_CYCLE_1)
	s_or_b32 exec_lo, exec_lo, s15
	s_mov_b32 s15, exec_lo
	v_cmpx_lt_u64_e64 s[2:3], v[18:19]
	s_cbranch_execz .LBB368_1918
; %bb.1911:                             ;   in Loop: Header=BB368_1062 Depth=1
	v_lshrrev_b32_e32 v34, 24, v19
	v_bfrev_b32_e32 v8, 1
	s_mov_b32 s16, exec_lo
	s_delay_alu instid0(VALU_DEP_2)
	v_cmpx_ne_u32_e32 0x80, v34
	s_cbranch_execz .LBB368_1917
; %bb.1912:                             ;   in Loop: Header=BB368_1062 Depth=1
	v_bfe_u32 v18, v19, 24, 7
	v_mov_b32_e32 v8, 0x7f800001
	s_mov_b32 s17, exec_lo
	s_delay_alu instid0(VALU_DEP_2)
	v_cmpx_ne_u32_e32 0x7f, v18
	s_cbranch_execz .LBB368_1916
; %bb.1913:                             ;   in Loop: Header=BB368_1062 Depth=1
	v_and_b32_e32 v22, 7, v34
	v_lshrrev_b32_e32 v8, 3, v18
	v_cmp_gt_u32_e64 s0, 8, v18
	s_delay_alu instid0(VALU_DEP_3)
	v_mov_b64_e32 v[18:19], v[22:23]
	s_and_saveexec_b32 s18, s0
; %bb.1914:                             ;   in Loop: Header=BB368_1062 Depth=1
	v_clz_i32_u32_e32 v8, v22
	s_delay_alu instid0(VALU_DEP_1) | instskip(NEXT) | instid1(VALU_DEP_1)
	v_min_u32_e32 v8, 32, v8
	v_subrev_nc_u32_e32 v18, 28, v8
	s_delay_alu instid0(VALU_DEP_1) | instskip(NEXT) | instid1(VALU_DEP_1)
	v_lshlrev_b64_e32 v[18:19], v18, v[22:23]
	v_dual_sub_nc_u32 v8, 29, v8 :: v_dual_bitop2_b32 v18, 7, v18 bitop3:0x40
; %bb.1915:                             ;   in Loop: Header=BB368_1062 Depth=1
	s_or_b32 exec_lo, exec_lo, s18
	v_lshlrev_b32_e32 v19, 24, v34
	s_delay_alu instid0(VALU_DEP_2) | instskip(NEXT) | instid1(VALU_DEP_3)
	v_lshlrev_b32_e32 v18, 20, v18
	v_lshl_add_u32 v8, v8, 23, 0x3c000000
	s_delay_alu instid0(VALU_DEP_3) | instskip(NEXT) | instid1(VALU_DEP_1)
	v_and_b32_e32 v19, 0x80000000, v19
	v_or3_b32 v8, v18, v19, v8
.LBB368_1916:                           ;   in Loop: Header=BB368_1062 Depth=1
	s_or_b32 exec_lo, exec_lo, s17
.LBB368_1917:                           ;   in Loop: Header=BB368_1062 Depth=1
	s_delay_alu instid0(SALU_CYCLE_1)
	s_or_b32 exec_lo, exec_lo, s16
.LBB368_1918:                           ;   in Loop: Header=BB368_1062 Depth=1
	s_delay_alu instid0(SALU_CYCLE_1)
	s_or_b32 exec_lo, exec_lo, s15
	v_fma_mixlo_bf16 v83, v49, v7, 0
	v_fma_mixlo_bf16 v84, v49, v6, 0
	v_fma_mixlo_bf16 v4, v49, v4, 0
	v_fma_mixlo_bf16 v5, v49, v5, 0
	v_fma_mixlo_bf16 v6, v49, v3, 0
	v_fma_mixlo_bf16 v7, v49, v2, 0
	v_fma_mixlo_bf16 v2, v49, v9, 0
	v_fma_mixlo_bf16 v3, v49, v8, 0
	s_and_saveexec_b32 s15, vcc_lo
	s_cbranch_execz .LBB368_1920
; %bb.1919:                             ;   in Loop: Header=BB368_1062 Depth=1
	v_cmp_lt_i32_e64 s0, v102, v36
	s_delay_alu instid0(VALU_DEP_1) | instskip(SKIP_1) | instid1(VALU_DEP_1)
	v_cndmask_b32_e64 v7, 0, v7, s0
	v_cmp_lt_i32_e64 s0, v114, v36
	v_cndmask_b32_e64 v6, 0, v6, s0
	v_cmp_lt_i32_e64 s0, v113, v36
	s_delay_alu instid0(VALU_DEP_1) | instskip(SKIP_1) | instid1(VALU_DEP_1)
	v_cndmask_b32_e64 v5, 0, v5, s0
	v_cmp_lt_i32_e64 s0, v112, v36
	v_cndmask_b32_e64 v4, 0, v4, s0
	;; [unrolled: 5-line block ×4, first 2 shown]
.LBB368_1920:                           ;   in Loop: Header=BB368_1062 Depth=1
	s_or_b32 exec_lo, exec_lo, s15
	flat_load_b64 v[18:19], v[0:1] offset:3328
	v_dual_mov_b32 v9, 0 :: v_dual_mov_b32 v8, 0
	s_mov_b32 s15, exec_lo
	s_wait_loadcnt_dscnt 0x0
	v_and_b32_e32 v22, 0xff, v18
	s_wait_xcnt 0x0
	s_delay_alu instid0(VALU_DEP_1)
	v_cmpx_ne_u16_e32 0, v22
	s_cbranch_execz .LBB368_1928
; %bb.1921:                             ;   in Loop: Header=BB368_1062 Depth=1
	v_bfrev_b32_e32 v8, 1
	s_mov_b32 s16, exec_lo
	v_cmpx_ne_u16_e32 0x80, v22
	s_cbranch_execz .LBB368_1927
; %bb.1922:                             ;   in Loop: Header=BB368_1062 Depth=1
	v_and_b32_e32 v22, 0x7f, v18
	v_mov_b32_e32 v8, 0x7f800001
	s_mov_b32 s17, exec_lo
	s_delay_alu instid0(VALU_DEP_2)
	v_cmpx_ne_u32_e32 0x7f, v22
	s_cbranch_execz .LBB368_1926
; %bb.1923:                             ;   in Loop: Header=BB368_1062 Depth=1
	v_mov_b64_e32 v[34:35], v[18:19]
	v_lshrrev_b32_e32 v8, 3, v22
	s_mov_b32 s18, exec_lo
	v_cmpx_gt_u32_e32 8, v22
; %bb.1924:                             ;   in Loop: Header=BB368_1062 Depth=1
	v_and_b32_e32 v8, 7, v18
	s_delay_alu instid0(VALU_DEP_1) | instskip(NEXT) | instid1(VALU_DEP_1)
	v_clz_i32_u32_e32 v8, v8
	v_min_u32_e32 v8, 32, v8
	s_delay_alu instid0(VALU_DEP_1) | instskip(SKIP_1) | instid1(VALU_DEP_2)
	v_subrev_nc_u32_e32 v22, 28, v8
	v_sub_nc_u32_e32 v8, 29, v8
	v_lshlrev_b64_e32 v[34:35], v22, v[18:19]
; %bb.1925:                             ;   in Loop: Header=BB368_1062 Depth=1
	s_or_b32 exec_lo, exec_lo, s18
	s_delay_alu instid0(VALU_DEP_1) | instskip(SKIP_2) | instid1(VALU_DEP_3)
	v_lshlrev_b32_e32 v22, 20, v34
	v_lshlrev_b32_e32 v34, 24, v18
	v_lshl_add_u32 v8, v8, 23, 0x3c000000
	v_and_b32_e32 v22, 0x700000, v22
	s_delay_alu instid0(VALU_DEP_3) | instskip(NEXT) | instid1(VALU_DEP_1)
	v_and_b32_e32 v34, 0x80000000, v34
	v_or3_b32 v8, v22, v34, v8
.LBB368_1926:                           ;   in Loop: Header=BB368_1062 Depth=1
	s_or_b32 exec_lo, exec_lo, s17
.LBB368_1927:                           ;   in Loop: Header=BB368_1062 Depth=1
	s_delay_alu instid0(SALU_CYCLE_1)
	s_or_b32 exec_lo, exec_lo, s16
.LBB368_1928:                           ;   in Loop: Header=BB368_1062 Depth=1
	s_delay_alu instid0(SALU_CYCLE_1) | instskip(SKIP_2) | instid1(VALU_DEP_1)
	s_or_b32 exec_lo, exec_lo, s15
	v_lshrrev_b16 v22, 8, v18
	s_mov_b32 s15, exec_lo
	v_cmpx_ne_u16_e32 0, v22
	s_cbranch_execz .LBB368_1936
; %bb.1929:                             ;   in Loop: Header=BB368_1062 Depth=1
	v_bfrev_b32_e32 v9, 1
	s_mov_b32 s16, exec_lo
	v_cmpx_ne_u16_e32 0x80, v22
	s_cbranch_execz .LBB368_1935
; %bb.1930:                             ;   in Loop: Header=BB368_1062 Depth=1
	v_and_b32_e32 v22, 0xffff, v22
	v_mov_b32_e32 v9, 0x7f800001
	s_mov_b32 s17, exec_lo
	s_delay_alu instid0(VALU_DEP_2) | instskip(NEXT) | instid1(VALU_DEP_1)
	v_and_b32_e32 v34, 0x7f, v22
	v_cmpx_ne_u32_e32 0x7f, v34
	s_cbranch_execz .LBB368_1934
; %bb.1931:                             ;   in Loop: Header=BB368_1062 Depth=1
	v_and_b32_e32 v22, 7, v22
	v_lshrrev_b32_e32 v9, 3, v34
	v_cmp_gt_u32_e64 s0, 8, v34
	s_delay_alu instid0(VALU_DEP_3)
	v_mov_b64_e32 v[34:35], v[22:23]
	s_and_saveexec_b32 s18, s0
; %bb.1932:                             ;   in Loop: Header=BB368_1062 Depth=1
	v_clz_i32_u32_e32 v9, v22
	s_delay_alu instid0(VALU_DEP_1) | instskip(NEXT) | instid1(VALU_DEP_1)
	v_min_u32_e32 v9, 32, v9
	v_subrev_nc_u32_e32 v34, 28, v9
	s_delay_alu instid0(VALU_DEP_1) | instskip(NEXT) | instid1(VALU_DEP_1)
	v_lshlrev_b64_e32 v[34:35], v34, v[22:23]
	v_dual_sub_nc_u32 v9, 29, v9 :: v_dual_bitop2_b32 v34, 7, v34 bitop3:0x40
; %bb.1933:                             ;   in Loop: Header=BB368_1062 Depth=1
	s_or_b32 exec_lo, exec_lo, s18
	v_lshlrev_b32_e32 v22, 16, v18
	s_delay_alu instid0(VALU_DEP_2) | instskip(NEXT) | instid1(VALU_DEP_3)
	v_lshlrev_b32_e32 v34, 20, v34
	v_lshl_add_u32 v9, v9, 23, 0x3c000000
	s_delay_alu instid0(VALU_DEP_3) | instskip(NEXT) | instid1(VALU_DEP_1)
	v_and_b32_e32 v22, 0x80000000, v22
	v_or3_b32 v9, v34, v22, v9
.LBB368_1934:                           ;   in Loop: Header=BB368_1062 Depth=1
	s_or_b32 exec_lo, exec_lo, s17
.LBB368_1935:                           ;   in Loop: Header=BB368_1062 Depth=1
	s_delay_alu instid0(SALU_CYCLE_1)
	s_or_b32 exec_lo, exec_lo, s16
.LBB368_1936:                           ;   in Loop: Header=BB368_1062 Depth=1
	s_delay_alu instid0(SALU_CYCLE_1) | instskip(SKIP_3) | instid1(VALU_DEP_2)
	s_or_b32 exec_lo, exec_lo, s15
	v_dual_lshrrev_b32 v37, 16, v18 :: v_dual_mov_b32 v87, 0
	v_mov_b32_e32 v86, 0
	s_mov_b32 s15, exec_lo
	v_and_b32_e32 v22, 0xff, v37
	s_delay_alu instid0(VALU_DEP_1)
	v_cmpx_ne_u16_e32 0, v22
	s_cbranch_execz .LBB368_1944
; %bb.1937:                             ;   in Loop: Header=BB368_1062 Depth=1
	v_bfrev_b32_e32 v86, 1
	s_mov_b32 s16, exec_lo
	v_cmpx_ne_u16_e32 0x80, v22
	s_cbranch_execz .LBB368_1943
; %bb.1938:                             ;   in Loop: Header=BB368_1062 Depth=1
	v_bfe_u32 v34, v18, 16, 7
	v_mov_b32_e32 v86, 0x7f800001
	s_mov_b32 s17, exec_lo
	s_delay_alu instid0(VALU_DEP_2)
	v_cmpx_ne_u32_e32 0x7f, v34
	s_cbranch_execz .LBB368_1942
; %bb.1939:                             ;   in Loop: Header=BB368_1062 Depth=1
	v_dual_lshrrev_b32 v85, 3, v34 :: v_dual_bitop2_b32 v22, 7, v37 bitop3:0x40
	v_cmp_gt_u32_e64 s0, 8, v34
	s_delay_alu instid0(VALU_DEP_2)
	v_mov_b64_e32 v[34:35], v[22:23]
	s_and_saveexec_b32 s18, s0
; %bb.1940:                             ;   in Loop: Header=BB368_1062 Depth=1
	v_clz_i32_u32_e32 v34, v22
	s_delay_alu instid0(VALU_DEP_1) | instskip(NEXT) | instid1(VALU_DEP_1)
	v_min_u32_e32 v85, 32, v34
	v_subrev_nc_u32_e32 v34, 28, v85
	s_delay_alu instid0(VALU_DEP_1) | instskip(NEXT) | instid1(VALU_DEP_1)
	v_lshlrev_b64_e32 v[34:35], v34, v[22:23]
	v_dual_sub_nc_u32 v85, 29, v85 :: v_dual_bitop2_b32 v34, 7, v34 bitop3:0x40
; %bb.1941:                             ;   in Loop: Header=BB368_1062 Depth=1
	s_or_b32 exec_lo, exec_lo, s18
	s_delay_alu instid0(VALU_DEP_1) | instskip(NEXT) | instid1(VALU_DEP_2)
	v_dual_lshlrev_b32 v22, 24, v37 :: v_dual_lshlrev_b32 v34, 20, v34
	v_lshl_add_u32 v35, v85, 23, 0x3c000000
	s_delay_alu instid0(VALU_DEP_2) | instskip(NEXT) | instid1(VALU_DEP_1)
	v_and_b32_e32 v22, 0x80000000, v22
	v_or3_b32 v86, v34, v22, v35
.LBB368_1942:                           ;   in Loop: Header=BB368_1062 Depth=1
	s_or_b32 exec_lo, exec_lo, s17
.LBB368_1943:                           ;   in Loop: Header=BB368_1062 Depth=1
	s_delay_alu instid0(SALU_CYCLE_1)
	s_or_b32 exec_lo, exec_lo, s16
.LBB368_1944:                           ;   in Loop: Header=BB368_1062 Depth=1
	s_delay_alu instid0(SALU_CYCLE_1) | instskip(NEXT) | instid1(SALU_CYCLE_1)
	s_or_b32 exec_lo, exec_lo, s15
	s_mov_b32 s15, exec_lo
	v_cmpx_lt_u32_e32 0xffffff, v18
	s_cbranch_execz .LBB368_1952
; %bb.1945:                             ;   in Loop: Header=BB368_1062 Depth=1
	v_lshrrev_b32_e32 v37, 24, v18
	v_bfrev_b32_e32 v87, 1
	s_mov_b32 s16, exec_lo
	s_delay_alu instid0(VALU_DEP_2)
	v_cmpx_ne_u32_e32 0x80, v37
	s_cbranch_execz .LBB368_1951
; %bb.1946:                             ;   in Loop: Header=BB368_1062 Depth=1
	v_bfe_u32 v34, v18, 24, 7
	v_mov_b32_e32 v87, 0x7f800001
	s_mov_b32 s17, exec_lo
	s_delay_alu instid0(VALU_DEP_2)
	v_cmpx_ne_u32_e32 0x7f, v34
	s_cbranch_execz .LBB368_1950
; %bb.1947:                             ;   in Loop: Header=BB368_1062 Depth=1
	v_dual_lshrrev_b32 v85, 3, v34 :: v_dual_bitop2_b32 v22, 7, v37 bitop3:0x40
	v_cmp_gt_u32_e64 s0, 8, v34
	s_delay_alu instid0(VALU_DEP_2)
	v_mov_b64_e32 v[34:35], v[22:23]
	s_and_saveexec_b32 s18, s0
; %bb.1948:                             ;   in Loop: Header=BB368_1062 Depth=1
	v_clz_i32_u32_e32 v34, v22
	s_delay_alu instid0(VALU_DEP_1) | instskip(NEXT) | instid1(VALU_DEP_1)
	v_min_u32_e32 v85, 32, v34
	v_subrev_nc_u32_e32 v34, 28, v85
	s_delay_alu instid0(VALU_DEP_1) | instskip(NEXT) | instid1(VALU_DEP_1)
	v_lshlrev_b64_e32 v[34:35], v34, v[22:23]
	v_dual_sub_nc_u32 v85, 29, v85 :: v_dual_bitop2_b32 v34, 7, v34 bitop3:0x40
; %bb.1949:                             ;   in Loop: Header=BB368_1062 Depth=1
	s_or_b32 exec_lo, exec_lo, s18
	s_delay_alu instid0(VALU_DEP_1) | instskip(NEXT) | instid1(VALU_DEP_2)
	v_dual_lshlrev_b32 v22, 24, v37 :: v_dual_lshlrev_b32 v34, 20, v34
	v_lshl_add_u32 v35, v85, 23, 0x3c000000
	s_delay_alu instid0(VALU_DEP_2) | instskip(NEXT) | instid1(VALU_DEP_1)
	v_and_b32_e32 v22, 0x80000000, v22
	v_or3_b32 v87, v34, v22, v35
.LBB368_1950:                           ;   in Loop: Header=BB368_1062 Depth=1
	s_or_b32 exec_lo, exec_lo, s17
.LBB368_1951:                           ;   in Loop: Header=BB368_1062 Depth=1
	s_delay_alu instid0(SALU_CYCLE_1)
	s_or_b32 exec_lo, exec_lo, s16
.LBB368_1952:                           ;   in Loop: Header=BB368_1062 Depth=1
	s_delay_alu instid0(SALU_CYCLE_1) | instskip(SKIP_4) | instid1(VALU_DEP_3)
	s_or_b32 exec_lo, exec_lo, s15
	v_and_b32_e32 v34, 0xff, v19
	v_dual_mov_b32 v22, v19 :: v_dual_mov_b32 v37, 0
	v_mov_b32_e32 v85, 0
	s_mov_b32 s15, exec_lo
	v_cmpx_ne_u16_e32 0, v34
	s_cbranch_execz .LBB368_1960
; %bb.1953:                             ;   in Loop: Header=BB368_1062 Depth=1
	v_bfrev_b32_e32 v85, 1
	s_mov_b32 s16, exec_lo
	v_cmpx_ne_u16_e32 0x80, v34
	s_cbranch_execz .LBB368_1959
; %bb.1954:                             ;   in Loop: Header=BB368_1062 Depth=1
	v_and_b32_e32 v34, 0x7f, v19
	v_mov_b32_e32 v85, 0x7f800001
	s_mov_b32 s17, exec_lo
	s_delay_alu instid0(VALU_DEP_2)
	v_cmpx_ne_u32_e32 0x7f, v34
	s_cbranch_execz .LBB368_1958
; %bb.1955:                             ;   in Loop: Header=BB368_1062 Depth=1
	v_lshrrev_b32_e32 v85, 3, v34
	v_cmp_gt_u32_e64 s0, 8, v34
	v_mov_b64_e32 v[34:35], v[22:23]
	s_and_saveexec_b32 s18, s0
; %bb.1956:                             ;   in Loop: Header=BB368_1062 Depth=1
	v_and_b32_e32 v34, 7, v19
	s_delay_alu instid0(VALU_DEP_1) | instskip(NEXT) | instid1(VALU_DEP_1)
	v_clz_i32_u32_e32 v34, v34
	v_min_u32_e32 v85, 32, v34
	s_delay_alu instid0(VALU_DEP_1) | instskip(SKIP_1) | instid1(VALU_DEP_2)
	v_subrev_nc_u32_e32 v34, 28, v85
	v_sub_nc_u32_e32 v85, 29, v85
	v_lshlrev_b64_e32 v[34:35], v34, v[22:23]
; %bb.1957:                             ;   in Loop: Header=BB368_1062 Depth=1
	s_or_b32 exec_lo, exec_lo, s18
	s_delay_alu instid0(VALU_DEP_1) | instskip(SKIP_2) | instid1(VALU_DEP_3)
	v_lshlrev_b32_e32 v34, 20, v34
	v_lshlrev_b32_e32 v35, 24, v22
	v_lshl_add_u32 v85, v85, 23, 0x3c000000
	v_and_b32_e32 v34, 0x700000, v34
	s_delay_alu instid0(VALU_DEP_3) | instskip(NEXT) | instid1(VALU_DEP_1)
	v_and_b32_e32 v35, 0x80000000, v35
	v_or3_b32 v85, v34, v35, v85
.LBB368_1958:                           ;   in Loop: Header=BB368_1062 Depth=1
	s_or_b32 exec_lo, exec_lo, s17
.LBB368_1959:                           ;   in Loop: Header=BB368_1062 Depth=1
	s_delay_alu instid0(SALU_CYCLE_1)
	s_or_b32 exec_lo, exec_lo, s16
.LBB368_1960:                           ;   in Loop: Header=BB368_1062 Depth=1
	s_delay_alu instid0(SALU_CYCLE_1) | instskip(SKIP_2) | instid1(VALU_DEP_1)
	s_or_b32 exec_lo, exec_lo, s15
	v_lshrrev_b16 v34, 8, v22
	s_mov_b32 s15, exec_lo
	v_cmpx_ne_u16_e32 0, v34
	s_cbranch_execz .LBB368_1968
; %bb.1961:                             ;   in Loop: Header=BB368_1062 Depth=1
	v_bfrev_b32_e32 v37, 1
	s_mov_b32 s16, exec_lo
	v_cmpx_ne_u16_e32 0x80, v34
	s_cbranch_execz .LBB368_1967
; %bb.1962:                             ;   in Loop: Header=BB368_1062 Depth=1
	v_and_b32_e32 v34, 0xffff, v34
	v_mov_b32_e32 v37, 0x7f800001
	s_mov_b32 s17, exec_lo
	s_delay_alu instid0(VALU_DEP_2) | instskip(NEXT) | instid1(VALU_DEP_1)
	v_and_b32_e32 v96, 0x7f, v34
	v_cmpx_ne_u32_e32 0x7f, v96
	s_cbranch_execz .LBB368_1966
; %bb.1963:                             ;   in Loop: Header=BB368_1062 Depth=1
	v_dual_mov_b32 v35, v23 :: v_dual_bitop2_b32 v34, 7, v34 bitop3:0x40
	v_lshrrev_b32_e32 v37, 3, v96
	s_mov_b32 s18, exec_lo
	v_cmpx_gt_u32_e32 8, v96
; %bb.1964:                             ;   in Loop: Header=BB368_1062 Depth=1
	s_delay_alu instid0(VALU_DEP_3) | instskip(NEXT) | instid1(VALU_DEP_1)
	v_clz_i32_u32_e32 v37, v34
	v_min_u32_e32 v37, 32, v37
	s_delay_alu instid0(VALU_DEP_1) | instskip(NEXT) | instid1(VALU_DEP_1)
	v_subrev_nc_u32_e32 v96, 28, v37
	v_lshlrev_b64_e32 v[34:35], v96, v[34:35]
	s_delay_alu instid0(VALU_DEP_1)
	v_dual_sub_nc_u32 v37, 29, v37 :: v_dual_bitop2_b32 v34, 7, v34 bitop3:0x40
; %bb.1965:                             ;   in Loop: Header=BB368_1062 Depth=1
	s_or_b32 exec_lo, exec_lo, s18
	v_lshlrev_b32_e32 v22, 16, v22
	s_delay_alu instid0(VALU_DEP_2) | instskip(NEXT) | instid1(VALU_DEP_3)
	v_lshlrev_b32_e32 v34, 20, v34
	v_lshl_add_u32 v35, v37, 23, 0x3c000000
	s_delay_alu instid0(VALU_DEP_3) | instskip(NEXT) | instid1(VALU_DEP_1)
	v_and_b32_e32 v22, 0x80000000, v22
	v_or3_b32 v37, v34, v22, v35
.LBB368_1966:                           ;   in Loop: Header=BB368_1062 Depth=1
	s_or_b32 exec_lo, exec_lo, s17
.LBB368_1967:                           ;   in Loop: Header=BB368_1062 Depth=1
	s_delay_alu instid0(SALU_CYCLE_1)
	s_or_b32 exec_lo, exec_lo, s16
.LBB368_1968:                           ;   in Loop: Header=BB368_1062 Depth=1
	s_delay_alu instid0(SALU_CYCLE_1) | instskip(SKIP_3) | instid1(VALU_DEP_2)
	s_or_b32 exec_lo, exec_lo, s15
	v_dual_mov_b32 v115, 0 :: v_dual_lshrrev_b32 v96, 16, v19
	v_mov_b32_e32 v34, 0
	s_mov_b32 s15, exec_lo
	v_and_b32_e32 v22, 0xff, v96
	s_delay_alu instid0(VALU_DEP_1)
	v_cmpx_ne_u16_e32 0, v22
	s_cbranch_execz .LBB368_1976
; %bb.1969:                             ;   in Loop: Header=BB368_1062 Depth=1
	v_bfrev_b32_e32 v34, 1
	s_mov_b32 s16, exec_lo
	v_cmpx_ne_u16_e32 0x80, v22
	s_cbranch_execz .LBB368_1975
; %bb.1970:                             ;   in Loop: Header=BB368_1062 Depth=1
	v_bfe_u32 v35, v19, 16, 7
	v_mov_b32_e32 v34, 0x7f800001
	s_mov_b32 s17, exec_lo
	s_delay_alu instid0(VALU_DEP_2)
	v_cmpx_ne_u32_e32 0x7f, v35
	s_cbranch_execz .LBB368_1974
; %bb.1971:                             ;   in Loop: Header=BB368_1062 Depth=1
	v_dual_lshrrev_b32 v97, 3, v35 :: v_dual_bitop2_b32 v22, 7, v96 bitop3:0x40
	v_cmp_gt_u32_e64 s0, 8, v35
	s_delay_alu instid0(VALU_DEP_2)
	v_mov_b64_e32 v[34:35], v[22:23]
	s_and_saveexec_b32 s18, s0
; %bb.1972:                             ;   in Loop: Header=BB368_1062 Depth=1
	v_clz_i32_u32_e32 v34, v22
	s_delay_alu instid0(VALU_DEP_1) | instskip(NEXT) | instid1(VALU_DEP_1)
	v_min_u32_e32 v97, 32, v34
	v_subrev_nc_u32_e32 v34, 28, v97
	s_delay_alu instid0(VALU_DEP_1) | instskip(NEXT) | instid1(VALU_DEP_1)
	v_lshlrev_b64_e32 v[34:35], v34, v[22:23]
	v_dual_sub_nc_u32 v97, 29, v97 :: v_dual_bitop2_b32 v34, 7, v34 bitop3:0x40
; %bb.1973:                             ;   in Loop: Header=BB368_1062 Depth=1
	s_or_b32 exec_lo, exec_lo, s18
	s_delay_alu instid0(VALU_DEP_1) | instskip(NEXT) | instid1(VALU_DEP_2)
	v_dual_lshlrev_b32 v22, 24, v96 :: v_dual_lshlrev_b32 v34, 20, v34
	v_lshl_add_u32 v35, v97, 23, 0x3c000000
	s_delay_alu instid0(VALU_DEP_2) | instskip(NEXT) | instid1(VALU_DEP_1)
	v_and_b32_e32 v22, 0x80000000, v22
	v_or3_b32 v34, v34, v22, v35
.LBB368_1974:                           ;   in Loop: Header=BB368_1062 Depth=1
	s_or_b32 exec_lo, exec_lo, s17
.LBB368_1975:                           ;   in Loop: Header=BB368_1062 Depth=1
	s_delay_alu instid0(SALU_CYCLE_1)
	s_or_b32 exec_lo, exec_lo, s16
.LBB368_1976:                           ;   in Loop: Header=BB368_1062 Depth=1
	s_delay_alu instid0(SALU_CYCLE_1) | instskip(NEXT) | instid1(SALU_CYCLE_1)
	s_or_b32 exec_lo, exec_lo, s15
	s_mov_b32 s15, exec_lo
	v_cmpx_lt_u64_e64 s[2:3], v[18:19]
	s_cbranch_execz .LBB368_1984
; %bb.1977:                             ;   in Loop: Header=BB368_1062 Depth=1
	v_lshrrev_b32_e32 v35, 24, v19
	v_bfrev_b32_e32 v115, 1
	s_mov_b32 s16, exec_lo
	s_delay_alu instid0(VALU_DEP_2)
	v_cmpx_ne_u32_e32 0x80, v35
	s_cbranch_execz .LBB368_1983
; %bb.1978:                             ;   in Loop: Header=BB368_1062 Depth=1
	v_bfe_u32 v18, v19, 24, 7
	v_mov_b32_e32 v115, 0x7f800001
	s_mov_b32 s17, exec_lo
	s_delay_alu instid0(VALU_DEP_2)
	v_cmpx_ne_u32_e32 0x7f, v18
	s_cbranch_execz .LBB368_1982
; %bb.1979:                             ;   in Loop: Header=BB368_1062 Depth=1
	v_dual_lshrrev_b32 v96, 3, v18 :: v_dual_bitop2_b32 v22, 7, v35 bitop3:0x40
	v_cmp_gt_u32_e64 s0, 8, v18
	s_delay_alu instid0(VALU_DEP_2)
	v_mov_b64_e32 v[18:19], v[22:23]
	s_and_saveexec_b32 s18, s0
; %bb.1980:                             ;   in Loop: Header=BB368_1062 Depth=1
	v_clz_i32_u32_e32 v18, v22
	s_delay_alu instid0(VALU_DEP_1) | instskip(NEXT) | instid1(VALU_DEP_1)
	v_min_u32_e32 v96, 32, v18
	v_subrev_nc_u32_e32 v18, 28, v96
	s_delay_alu instid0(VALU_DEP_1) | instskip(NEXT) | instid1(VALU_DEP_1)
	v_lshlrev_b64_e32 v[18:19], v18, v[22:23]
	v_dual_sub_nc_u32 v96, 29, v96 :: v_dual_bitop2_b32 v18, 7, v18 bitop3:0x40
; %bb.1981:                             ;   in Loop: Header=BB368_1062 Depth=1
	s_or_b32 exec_lo, exec_lo, s18
	s_delay_alu instid0(VALU_DEP_1) | instskip(NEXT) | instid1(VALU_DEP_2)
	v_dual_lshlrev_b32 v19, 24, v35 :: v_dual_lshlrev_b32 v18, 20, v18
	v_lshl_add_u32 v22, v96, 23, 0x3c000000
	s_delay_alu instid0(VALU_DEP_2) | instskip(NEXT) | instid1(VALU_DEP_1)
	v_and_b32_e32 v19, 0x80000000, v19
	v_or3_b32 v115, v18, v19, v22
.LBB368_1982:                           ;   in Loop: Header=BB368_1062 Depth=1
	s_or_b32 exec_lo, exec_lo, s17
.LBB368_1983:                           ;   in Loop: Header=BB368_1062 Depth=1
	s_delay_alu instid0(SALU_CYCLE_1)
	s_or_b32 exec_lo, exec_lo, s16
.LBB368_1984:                           ;   in Loop: Header=BB368_1062 Depth=1
	s_delay_alu instid0(SALU_CYCLE_1)
	s_or_b32 exec_lo, exec_lo, s15
	v_fma_mixlo_bf16 v37, v49, v37, 0
	v_fma_mixlo_bf16 v85, v49, v85, 0
	v_fma_mixlo_bf16 v96, v49, v87, 0
	v_fma_mixlo_bf16 v97, v49, v86, 0
	v_fma_mixlo_bf16 v98, v49, v9, 0
	v_fma_mixlo_bf16 v99, v49, v8, 0
	v_fma_mixlo_bf16 v86, v49, v34, 0
	v_fma_mixlo_bf16 v87, v49, v115, 0
	s_and_saveexec_b32 s15, vcc_lo
	s_cbranch_execz .LBB368_1986
; %bb.1985:                             ;   in Loop: Header=BB368_1062 Depth=1
	v_cmp_lt_i32_e64 s0, v102, v36
	s_delay_alu instid0(VALU_DEP_1) | instskip(SKIP_1) | instid1(VALU_DEP_1)
	v_cndmask_b32_e64 v99, 0, v99, s0
	v_cmp_lt_i32_e64 s0, v114, v36
	v_cndmask_b32_e64 v98, 0, v98, s0
	v_cmp_lt_i32_e64 s0, v113, v36
	s_delay_alu instid0(VALU_DEP_1) | instskip(SKIP_1) | instid1(VALU_DEP_1)
	v_cndmask_b32_e64 v97, 0, v97, s0
	v_cmp_lt_i32_e64 s0, v112, v36
	v_cndmask_b32_e64 v96, 0, v96, s0
	;; [unrolled: 5-line block ×4, first 2 shown]
.LBB368_1986:                           ;   in Loop: Header=BB368_1062 Depth=1
	s_or_b32 exec_lo, exec_lo, s15
	flat_load_b64 v[18:19], v[0:1] offset:3584
	v_dual_mov_b32 v9, 0 :: v_dual_mov_b32 v8, 0
	s_mov_b32 s15, exec_lo
	s_wait_loadcnt_dscnt 0x0
	v_and_b32_e32 v22, 0xff, v18
	s_wait_xcnt 0x0
	s_delay_alu instid0(VALU_DEP_1)
	v_cmpx_ne_u16_e32 0, v22
	s_cbranch_execz .LBB368_1994
; %bb.1987:                             ;   in Loop: Header=BB368_1062 Depth=1
	v_bfrev_b32_e32 v8, 1
	s_mov_b32 s16, exec_lo
	v_cmpx_ne_u16_e32 0x80, v22
	s_cbranch_execz .LBB368_1993
; %bb.1988:                             ;   in Loop: Header=BB368_1062 Depth=1
	v_and_b32_e32 v22, 0x7f, v18
	v_mov_b32_e32 v8, 0x7f800001
	s_mov_b32 s17, exec_lo
	s_delay_alu instid0(VALU_DEP_2)
	v_cmpx_ne_u32_e32 0x7f, v22
	s_cbranch_execz .LBB368_1992
; %bb.1989:                             ;   in Loop: Header=BB368_1062 Depth=1
	v_mov_b64_e32 v[34:35], v[18:19]
	v_lshrrev_b32_e32 v8, 3, v22
	s_mov_b32 s18, exec_lo
	v_cmpx_gt_u32_e32 8, v22
; %bb.1990:                             ;   in Loop: Header=BB368_1062 Depth=1
	v_and_b32_e32 v8, 7, v18
	s_delay_alu instid0(VALU_DEP_1) | instskip(NEXT) | instid1(VALU_DEP_1)
	v_clz_i32_u32_e32 v8, v8
	v_min_u32_e32 v8, 32, v8
	s_delay_alu instid0(VALU_DEP_1) | instskip(SKIP_1) | instid1(VALU_DEP_2)
	v_subrev_nc_u32_e32 v22, 28, v8
	v_sub_nc_u32_e32 v8, 29, v8
	v_lshlrev_b64_e32 v[34:35], v22, v[18:19]
; %bb.1991:                             ;   in Loop: Header=BB368_1062 Depth=1
	s_or_b32 exec_lo, exec_lo, s18
	s_delay_alu instid0(VALU_DEP_1) | instskip(SKIP_2) | instid1(VALU_DEP_3)
	v_lshlrev_b32_e32 v22, 20, v34
	v_lshlrev_b32_e32 v34, 24, v18
	v_lshl_add_u32 v8, v8, 23, 0x3c000000
	v_and_b32_e32 v22, 0x700000, v22
	s_delay_alu instid0(VALU_DEP_3) | instskip(NEXT) | instid1(VALU_DEP_1)
	v_and_b32_e32 v34, 0x80000000, v34
	v_or3_b32 v8, v22, v34, v8
.LBB368_1992:                           ;   in Loop: Header=BB368_1062 Depth=1
	s_or_b32 exec_lo, exec_lo, s17
.LBB368_1993:                           ;   in Loop: Header=BB368_1062 Depth=1
	s_delay_alu instid0(SALU_CYCLE_1)
	s_or_b32 exec_lo, exec_lo, s16
.LBB368_1994:                           ;   in Loop: Header=BB368_1062 Depth=1
	s_delay_alu instid0(SALU_CYCLE_1) | instskip(SKIP_2) | instid1(VALU_DEP_1)
	s_or_b32 exec_lo, exec_lo, s15
	v_lshrrev_b16 v22, 8, v18
	s_mov_b32 s15, exec_lo
	v_cmpx_ne_u16_e32 0, v22
	s_cbranch_execz .LBB368_2002
; %bb.1995:                             ;   in Loop: Header=BB368_1062 Depth=1
	v_bfrev_b32_e32 v9, 1
	s_mov_b32 s16, exec_lo
	v_cmpx_ne_u16_e32 0x80, v22
	s_cbranch_execz .LBB368_2001
; %bb.1996:                             ;   in Loop: Header=BB368_1062 Depth=1
	v_and_b32_e32 v22, 0xffff, v22
	v_mov_b32_e32 v9, 0x7f800001
	s_mov_b32 s17, exec_lo
	s_delay_alu instid0(VALU_DEP_2) | instskip(NEXT) | instid1(VALU_DEP_1)
	v_and_b32_e32 v34, 0x7f, v22
	v_cmpx_ne_u32_e32 0x7f, v34
	s_cbranch_execz .LBB368_2000
; %bb.1997:                             ;   in Loop: Header=BB368_1062 Depth=1
	v_and_b32_e32 v22, 7, v22
	v_lshrrev_b32_e32 v9, 3, v34
	v_cmp_gt_u32_e64 s0, 8, v34
	s_delay_alu instid0(VALU_DEP_3)
	v_mov_b64_e32 v[34:35], v[22:23]
	s_and_saveexec_b32 s18, s0
; %bb.1998:                             ;   in Loop: Header=BB368_1062 Depth=1
	v_clz_i32_u32_e32 v9, v22
	s_delay_alu instid0(VALU_DEP_1) | instskip(NEXT) | instid1(VALU_DEP_1)
	v_min_u32_e32 v9, 32, v9
	v_subrev_nc_u32_e32 v34, 28, v9
	s_delay_alu instid0(VALU_DEP_1) | instskip(NEXT) | instid1(VALU_DEP_1)
	v_lshlrev_b64_e32 v[34:35], v34, v[22:23]
	v_dual_sub_nc_u32 v9, 29, v9 :: v_dual_bitop2_b32 v34, 7, v34 bitop3:0x40
; %bb.1999:                             ;   in Loop: Header=BB368_1062 Depth=1
	s_or_b32 exec_lo, exec_lo, s18
	v_lshlrev_b32_e32 v22, 16, v18
	s_delay_alu instid0(VALU_DEP_2) | instskip(NEXT) | instid1(VALU_DEP_3)
	v_lshlrev_b32_e32 v34, 20, v34
	v_lshl_add_u32 v9, v9, 23, 0x3c000000
	s_delay_alu instid0(VALU_DEP_3) | instskip(NEXT) | instid1(VALU_DEP_1)
	v_and_b32_e32 v22, 0x80000000, v22
	v_or3_b32 v9, v34, v22, v9
.LBB368_2000:                           ;   in Loop: Header=BB368_1062 Depth=1
	s_or_b32 exec_lo, exec_lo, s17
.LBB368_2001:                           ;   in Loop: Header=BB368_1062 Depth=1
	s_delay_alu instid0(SALU_CYCLE_1)
	s_or_b32 exec_lo, exec_lo, s16
.LBB368_2002:                           ;   in Loop: Header=BB368_1062 Depth=1
	s_delay_alu instid0(SALU_CYCLE_1) | instskip(SKIP_3) | instid1(VALU_DEP_2)
	s_or_b32 exec_lo, exec_lo, s15
	v_dual_mov_b32 v118, 0 :: v_dual_lshrrev_b32 v115, 16, v18
	v_mov_b32_e32 v117, 0
	s_mov_b32 s15, exec_lo
	v_and_b32_e32 v22, 0xff, v115
	s_delay_alu instid0(VALU_DEP_1)
	v_cmpx_ne_u16_e32 0, v22
	s_cbranch_execz .LBB368_2010
; %bb.2003:                             ;   in Loop: Header=BB368_1062 Depth=1
	v_bfrev_b32_e32 v117, 1
	s_mov_b32 s16, exec_lo
	v_cmpx_ne_u16_e32 0x80, v22
	s_cbranch_execz .LBB368_2009
; %bb.2004:                             ;   in Loop: Header=BB368_1062 Depth=1
	v_bfe_u32 v34, v18, 16, 7
	v_mov_b32_e32 v117, 0x7f800001
	s_mov_b32 s17, exec_lo
	s_delay_alu instid0(VALU_DEP_2)
	v_cmpx_ne_u32_e32 0x7f, v34
	s_cbranch_execz .LBB368_2008
; %bb.2005:                             ;   in Loop: Header=BB368_1062 Depth=1
	v_dual_lshrrev_b32 v116, 3, v34 :: v_dual_bitop2_b32 v22, 7, v115 bitop3:0x40
	v_cmp_gt_u32_e64 s0, 8, v34
	s_delay_alu instid0(VALU_DEP_2)
	v_mov_b64_e32 v[34:35], v[22:23]
	s_and_saveexec_b32 s18, s0
; %bb.2006:                             ;   in Loop: Header=BB368_1062 Depth=1
	v_clz_i32_u32_e32 v34, v22
	s_delay_alu instid0(VALU_DEP_1) | instskip(NEXT) | instid1(VALU_DEP_1)
	v_min_u32_e32 v116, 32, v34
	v_subrev_nc_u32_e32 v34, 28, v116
	s_delay_alu instid0(VALU_DEP_1) | instskip(NEXT) | instid1(VALU_DEP_1)
	v_lshlrev_b64_e32 v[34:35], v34, v[22:23]
	v_dual_sub_nc_u32 v116, 29, v116 :: v_dual_bitop2_b32 v34, 7, v34 bitop3:0x40
; %bb.2007:                             ;   in Loop: Header=BB368_1062 Depth=1
	s_or_b32 exec_lo, exec_lo, s18
	s_delay_alu instid0(VALU_DEP_1) | instskip(NEXT) | instid1(VALU_DEP_2)
	v_dual_lshlrev_b32 v22, 24, v115 :: v_dual_lshlrev_b32 v34, 20, v34
	v_lshl_add_u32 v35, v116, 23, 0x3c000000
	s_delay_alu instid0(VALU_DEP_2) | instskip(NEXT) | instid1(VALU_DEP_1)
	v_and_b32_e32 v22, 0x80000000, v22
	v_or3_b32 v117, v34, v22, v35
.LBB368_2008:                           ;   in Loop: Header=BB368_1062 Depth=1
	s_or_b32 exec_lo, exec_lo, s17
.LBB368_2009:                           ;   in Loop: Header=BB368_1062 Depth=1
	s_delay_alu instid0(SALU_CYCLE_1)
	s_or_b32 exec_lo, exec_lo, s16
.LBB368_2010:                           ;   in Loop: Header=BB368_1062 Depth=1
	s_delay_alu instid0(SALU_CYCLE_1) | instskip(NEXT) | instid1(SALU_CYCLE_1)
	s_or_b32 exec_lo, exec_lo, s15
	s_mov_b32 s15, exec_lo
	v_cmpx_lt_u32_e32 0xffffff, v18
	s_cbranch_execz .LBB368_2018
; %bb.2011:                             ;   in Loop: Header=BB368_1062 Depth=1
	v_lshrrev_b32_e32 v115, 24, v18
	v_bfrev_b32_e32 v118, 1
	s_mov_b32 s16, exec_lo
	s_delay_alu instid0(VALU_DEP_2)
	v_cmpx_ne_u32_e32 0x80, v115
	s_cbranch_execz .LBB368_2017
; %bb.2012:                             ;   in Loop: Header=BB368_1062 Depth=1
	v_bfe_u32 v34, v18, 24, 7
	v_mov_b32_e32 v118, 0x7f800001
	s_mov_b32 s17, exec_lo
	s_delay_alu instid0(VALU_DEP_2)
	v_cmpx_ne_u32_e32 0x7f, v34
	s_cbranch_execz .LBB368_2016
; %bb.2013:                             ;   in Loop: Header=BB368_1062 Depth=1
	v_dual_lshrrev_b32 v116, 3, v34 :: v_dual_bitop2_b32 v22, 7, v115 bitop3:0x40
	v_cmp_gt_u32_e64 s0, 8, v34
	s_delay_alu instid0(VALU_DEP_2)
	v_mov_b64_e32 v[34:35], v[22:23]
	s_and_saveexec_b32 s18, s0
; %bb.2014:                             ;   in Loop: Header=BB368_1062 Depth=1
	v_clz_i32_u32_e32 v34, v22
	s_delay_alu instid0(VALU_DEP_1) | instskip(NEXT) | instid1(VALU_DEP_1)
	v_min_u32_e32 v116, 32, v34
	v_subrev_nc_u32_e32 v34, 28, v116
	s_delay_alu instid0(VALU_DEP_1) | instskip(NEXT) | instid1(VALU_DEP_1)
	v_lshlrev_b64_e32 v[34:35], v34, v[22:23]
	v_dual_sub_nc_u32 v116, 29, v116 :: v_dual_bitop2_b32 v34, 7, v34 bitop3:0x40
; %bb.2015:                             ;   in Loop: Header=BB368_1062 Depth=1
	s_or_b32 exec_lo, exec_lo, s18
	s_delay_alu instid0(VALU_DEP_1) | instskip(NEXT) | instid1(VALU_DEP_2)
	v_dual_lshlrev_b32 v22, 24, v115 :: v_dual_lshlrev_b32 v34, 20, v34
	v_lshl_add_u32 v35, v116, 23, 0x3c000000
	s_delay_alu instid0(VALU_DEP_2) | instskip(NEXT) | instid1(VALU_DEP_1)
	v_and_b32_e32 v22, 0x80000000, v22
	v_or3_b32 v118, v34, v22, v35
.LBB368_2016:                           ;   in Loop: Header=BB368_1062 Depth=1
	s_or_b32 exec_lo, exec_lo, s17
.LBB368_2017:                           ;   in Loop: Header=BB368_1062 Depth=1
	s_delay_alu instid0(SALU_CYCLE_1)
	s_or_b32 exec_lo, exec_lo, s16
.LBB368_2018:                           ;   in Loop: Header=BB368_1062 Depth=1
	s_delay_alu instid0(SALU_CYCLE_1) | instskip(SKIP_4) | instid1(VALU_DEP_3)
	s_or_b32 exec_lo, exec_lo, s15
	v_and_b32_e32 v34, 0xff, v19
	v_dual_mov_b32 v22, v19 :: v_dual_mov_b32 v115, 0
	v_mov_b32_e32 v116, 0
	s_mov_b32 s15, exec_lo
	v_cmpx_ne_u16_e32 0, v34
	s_cbranch_execz .LBB368_2026
; %bb.2019:                             ;   in Loop: Header=BB368_1062 Depth=1
	v_bfrev_b32_e32 v116, 1
	s_mov_b32 s16, exec_lo
	v_cmpx_ne_u16_e32 0x80, v34
	s_cbranch_execz .LBB368_2025
; %bb.2020:                             ;   in Loop: Header=BB368_1062 Depth=1
	v_and_b32_e32 v34, 0x7f, v19
	v_mov_b32_e32 v116, 0x7f800001
	s_mov_b32 s17, exec_lo
	s_delay_alu instid0(VALU_DEP_2)
	v_cmpx_ne_u32_e32 0x7f, v34
	s_cbranch_execz .LBB368_2024
; %bb.2021:                             ;   in Loop: Header=BB368_1062 Depth=1
	v_lshrrev_b32_e32 v116, 3, v34
	v_cmp_gt_u32_e64 s0, 8, v34
	v_mov_b64_e32 v[34:35], v[22:23]
	s_and_saveexec_b32 s18, s0
; %bb.2022:                             ;   in Loop: Header=BB368_1062 Depth=1
	v_and_b32_e32 v34, 7, v19
	s_delay_alu instid0(VALU_DEP_1) | instskip(NEXT) | instid1(VALU_DEP_1)
	v_clz_i32_u32_e32 v34, v34
	v_min_u32_e32 v116, 32, v34
	s_delay_alu instid0(VALU_DEP_1) | instskip(SKIP_1) | instid1(VALU_DEP_2)
	v_subrev_nc_u32_e32 v34, 28, v116
	v_sub_nc_u32_e32 v116, 29, v116
	v_lshlrev_b64_e32 v[34:35], v34, v[22:23]
; %bb.2023:                             ;   in Loop: Header=BB368_1062 Depth=1
	s_or_b32 exec_lo, exec_lo, s18
	s_delay_alu instid0(VALU_DEP_1) | instskip(SKIP_2) | instid1(VALU_DEP_3)
	v_lshlrev_b32_e32 v34, 20, v34
	v_lshlrev_b32_e32 v35, 24, v22
	v_lshl_add_u32 v116, v116, 23, 0x3c000000
	v_and_b32_e32 v34, 0x700000, v34
	s_delay_alu instid0(VALU_DEP_3) | instskip(NEXT) | instid1(VALU_DEP_1)
	v_and_b32_e32 v35, 0x80000000, v35
	v_or3_b32 v116, v34, v35, v116
.LBB368_2024:                           ;   in Loop: Header=BB368_1062 Depth=1
	s_or_b32 exec_lo, exec_lo, s17
.LBB368_2025:                           ;   in Loop: Header=BB368_1062 Depth=1
	s_delay_alu instid0(SALU_CYCLE_1)
	s_or_b32 exec_lo, exec_lo, s16
.LBB368_2026:                           ;   in Loop: Header=BB368_1062 Depth=1
	s_delay_alu instid0(SALU_CYCLE_1) | instskip(SKIP_2) | instid1(VALU_DEP_1)
	s_or_b32 exec_lo, exec_lo, s15
	v_lshrrev_b16 v34, 8, v22
	s_mov_b32 s15, exec_lo
	v_cmpx_ne_u16_e32 0, v34
	s_cbranch_execz .LBB368_2034
; %bb.2027:                             ;   in Loop: Header=BB368_1062 Depth=1
	v_bfrev_b32_e32 v115, 1
	s_mov_b32 s16, exec_lo
	v_cmpx_ne_u16_e32 0x80, v34
	s_cbranch_execz .LBB368_2033
; %bb.2028:                             ;   in Loop: Header=BB368_1062 Depth=1
	v_and_b32_e32 v34, 0xffff, v34
	v_mov_b32_e32 v115, 0x7f800001
	s_mov_b32 s17, exec_lo
	s_delay_alu instid0(VALU_DEP_2) | instskip(NEXT) | instid1(VALU_DEP_1)
	v_and_b32_e32 v119, 0x7f, v34
	v_cmpx_ne_u32_e32 0x7f, v119
	s_cbranch_execz .LBB368_2032
; %bb.2029:                             ;   in Loop: Header=BB368_1062 Depth=1
	v_dual_mov_b32 v35, v23 :: v_dual_bitop2_b32 v34, 7, v34 bitop3:0x40
	v_lshrrev_b32_e32 v115, 3, v119
	s_mov_b32 s18, exec_lo
	v_cmpx_gt_u32_e32 8, v119
; %bb.2030:                             ;   in Loop: Header=BB368_1062 Depth=1
	s_delay_alu instid0(VALU_DEP_3) | instskip(NEXT) | instid1(VALU_DEP_1)
	v_clz_i32_u32_e32 v115, v34
	v_min_u32_e32 v115, 32, v115
	s_delay_alu instid0(VALU_DEP_1) | instskip(NEXT) | instid1(VALU_DEP_1)
	v_subrev_nc_u32_e32 v119, 28, v115
	v_lshlrev_b64_e32 v[34:35], v119, v[34:35]
	s_delay_alu instid0(VALU_DEP_1)
	v_dual_sub_nc_u32 v115, 29, v115 :: v_dual_bitop2_b32 v34, 7, v34 bitop3:0x40
; %bb.2031:                             ;   in Loop: Header=BB368_1062 Depth=1
	s_or_b32 exec_lo, exec_lo, s18
	v_lshlrev_b32_e32 v22, 16, v22
	s_delay_alu instid0(VALU_DEP_2) | instskip(NEXT) | instid1(VALU_DEP_3)
	v_lshlrev_b32_e32 v34, 20, v34
	v_lshl_add_u32 v35, v115, 23, 0x3c000000
	s_delay_alu instid0(VALU_DEP_3) | instskip(NEXT) | instid1(VALU_DEP_1)
	v_and_b32_e32 v22, 0x80000000, v22
	v_or3_b32 v115, v34, v22, v35
.LBB368_2032:                           ;   in Loop: Header=BB368_1062 Depth=1
	s_or_b32 exec_lo, exec_lo, s17
.LBB368_2033:                           ;   in Loop: Header=BB368_1062 Depth=1
	s_delay_alu instid0(SALU_CYCLE_1)
	s_or_b32 exec_lo, exec_lo, s16
.LBB368_2034:                           ;   in Loop: Header=BB368_1062 Depth=1
	s_delay_alu instid0(SALU_CYCLE_1) | instskip(SKIP_3) | instid1(VALU_DEP_2)
	s_or_b32 exec_lo, exec_lo, s15
	v_dual_lshrrev_b32 v119, 16, v19 :: v_dual_mov_b32 v43, 0
	v_mov_b32_e32 v34, 0
	s_mov_b32 s15, exec_lo
	v_and_b32_e32 v22, 0xff, v119
	s_delay_alu instid0(VALU_DEP_1)
	v_cmpx_ne_u16_e32 0, v22
	s_cbranch_execz .LBB368_2042
; %bb.2035:                             ;   in Loop: Header=BB368_1062 Depth=1
	v_bfrev_b32_e32 v34, 1
	s_mov_b32 s16, exec_lo
	v_cmpx_ne_u16_e32 0x80, v22
	s_cbranch_execz .LBB368_2041
; %bb.2036:                             ;   in Loop: Header=BB368_1062 Depth=1
	v_bfe_u32 v35, v19, 16, 7
	v_mov_b32_e32 v34, 0x7f800001
	s_mov_b32 s17, exec_lo
	s_delay_alu instid0(VALU_DEP_2)
	v_cmpx_ne_u32_e32 0x7f, v35
	s_cbranch_execz .LBB368_2040
; %bb.2037:                             ;   in Loop: Header=BB368_1062 Depth=1
	v_and_b32_e32 v22, 7, v119
	v_lshrrev_b32_e32 v40, 3, v35
	v_cmp_gt_u32_e64 s0, 8, v35
	s_delay_alu instid0(VALU_DEP_3)
	v_mov_b64_e32 v[34:35], v[22:23]
	s_and_saveexec_b32 s18, s0
; %bb.2038:                             ;   in Loop: Header=BB368_1062 Depth=1
	v_clz_i32_u32_e32 v34, v22
	s_delay_alu instid0(VALU_DEP_1) | instskip(NEXT) | instid1(VALU_DEP_1)
	v_min_u32_e32 v40, 32, v34
	v_subrev_nc_u32_e32 v34, 28, v40
	s_delay_alu instid0(VALU_DEP_1) | instskip(NEXT) | instid1(VALU_DEP_1)
	v_lshlrev_b64_e32 v[34:35], v34, v[22:23]
	v_dual_sub_nc_u32 v40, 29, v40 :: v_dual_bitop2_b32 v34, 7, v34 bitop3:0x40
; %bb.2039:                             ;   in Loop: Header=BB368_1062 Depth=1
	s_or_b32 exec_lo, exec_lo, s18
	s_delay_alu instid0(VALU_DEP_1) | instskip(NEXT) | instid1(VALU_DEP_2)
	v_dual_lshlrev_b32 v22, 24, v119 :: v_dual_lshlrev_b32 v34, 20, v34
	v_lshl_add_u32 v35, v40, 23, 0x3c000000
	s_delay_alu instid0(VALU_DEP_2) | instskip(NEXT) | instid1(VALU_DEP_1)
	v_and_b32_e32 v22, 0x80000000, v22
	v_or3_b32 v34, v34, v22, v35
.LBB368_2040:                           ;   in Loop: Header=BB368_1062 Depth=1
	s_or_b32 exec_lo, exec_lo, s17
.LBB368_2041:                           ;   in Loop: Header=BB368_1062 Depth=1
	s_delay_alu instid0(SALU_CYCLE_1)
	s_or_b32 exec_lo, exec_lo, s16
.LBB368_2042:                           ;   in Loop: Header=BB368_1062 Depth=1
	s_delay_alu instid0(SALU_CYCLE_1) | instskip(NEXT) | instid1(SALU_CYCLE_1)
	s_or_b32 exec_lo, exec_lo, s15
	s_mov_b32 s15, exec_lo
	v_cmpx_lt_u64_e64 s[2:3], v[18:19]
	s_cbranch_execz .LBB368_2050
; %bb.2043:                             ;   in Loop: Header=BB368_1062 Depth=1
	v_lshrrev_b32_e32 v35, 24, v19
	v_bfrev_b32_e32 v43, 1
	s_mov_b32 s16, exec_lo
	s_delay_alu instid0(VALU_DEP_2)
	v_cmpx_ne_u32_e32 0x80, v35
	s_cbranch_execz .LBB368_2049
; %bb.2044:                             ;   in Loop: Header=BB368_1062 Depth=1
	v_bfe_u32 v18, v19, 24, 7
	v_mov_b32_e32 v43, 0x7f800001
	s_mov_b32 s17, exec_lo
	s_delay_alu instid0(VALU_DEP_2)
	v_cmpx_ne_u32_e32 0x7f, v18
	s_cbranch_execz .LBB368_2048
; %bb.2045:                             ;   in Loop: Header=BB368_1062 Depth=1
	v_dual_lshrrev_b32 v119, 3, v18 :: v_dual_bitop2_b32 v22, 7, v35 bitop3:0x40
	v_cmp_gt_u32_e64 s0, 8, v18
	s_delay_alu instid0(VALU_DEP_2)
	v_mov_b64_e32 v[18:19], v[22:23]
	s_and_saveexec_b32 s18, s0
; %bb.2046:                             ;   in Loop: Header=BB368_1062 Depth=1
	v_clz_i32_u32_e32 v18, v22
	s_delay_alu instid0(VALU_DEP_1) | instskip(NEXT) | instid1(VALU_DEP_1)
	v_min_u32_e32 v119, 32, v18
	v_subrev_nc_u32_e32 v18, 28, v119
	s_delay_alu instid0(VALU_DEP_1) | instskip(NEXT) | instid1(VALU_DEP_1)
	v_lshlrev_b64_e32 v[18:19], v18, v[22:23]
	v_dual_sub_nc_u32 v119, 29, v119 :: v_dual_bitop2_b32 v18, 7, v18 bitop3:0x40
; %bb.2047:                             ;   in Loop: Header=BB368_1062 Depth=1
	s_or_b32 exec_lo, exec_lo, s18
	s_delay_alu instid0(VALU_DEP_1) | instskip(NEXT) | instid1(VALU_DEP_2)
	v_dual_lshlrev_b32 v19, 24, v35 :: v_dual_lshlrev_b32 v18, 20, v18
	v_lshl_add_u32 v22, v119, 23, 0x3c000000
	s_delay_alu instid0(VALU_DEP_2) | instskip(NEXT) | instid1(VALU_DEP_1)
	v_and_b32_e32 v19, 0x80000000, v19
	v_or3_b32 v43, v18, v19, v22
.LBB368_2048:                           ;   in Loop: Header=BB368_1062 Depth=1
	s_or_b32 exec_lo, exec_lo, s17
.LBB368_2049:                           ;   in Loop: Header=BB368_1062 Depth=1
	s_delay_alu instid0(SALU_CYCLE_1)
	s_or_b32 exec_lo, exec_lo, s16
.LBB368_2050:                           ;   in Loop: Header=BB368_1062 Depth=1
	s_delay_alu instid0(SALU_CYCLE_1)
	s_or_b32 exec_lo, exec_lo, s15
	v_fma_mixlo_bf16 v115, v49, v115, 0
	v_fma_mixlo_bf16 v116, v49, v116, 0
	;; [unrolled: 1-line block ×8, first 2 shown]
	s_and_saveexec_b32 s15, vcc_lo
	s_cbranch_execz .LBB368_2052
; %bb.2051:                             ;   in Loop: Header=BB368_1062 Depth=1
	v_cmp_lt_i32_e64 s0, v102, v36
	s_delay_alu instid0(VALU_DEP_1) | instskip(SKIP_1) | instid1(VALU_DEP_1)
	v_cndmask_b32_e64 v42, 0, v42, s0
	v_cmp_lt_i32_e64 s0, v114, v36
	v_cndmask_b32_e64 v41, 0, v41, s0
	v_cmp_lt_i32_e64 s0, v113, v36
	s_delay_alu instid0(VALU_DEP_1) | instskip(SKIP_1) | instid1(VALU_DEP_1)
	v_cndmask_b32_e64 v40, 0, v40, s0
	v_cmp_lt_i32_e64 s0, v112, v36
	v_cndmask_b32_e64 v119, 0, v119, s0
	;; [unrolled: 5-line block ×4, first 2 shown]
.LBB368_2052:                           ;   in Loop: Header=BB368_1062 Depth=1
	s_or_b32 exec_lo, exec_lo, s15
	flat_load_b64 v[0:1], v[0:1] offset:3840
	v_dual_mov_b32 v34, 0 :: v_dual_mov_b32 v8, 0
	s_mov_b32 s15, exec_lo
	s_wait_loadcnt_dscnt 0x0
	v_and_b32_e32 v9, 0xff, v0
	s_wait_xcnt 0x0
	s_delay_alu instid0(VALU_DEP_1)
	v_cmpx_ne_u16_e32 0, v9
	s_cbranch_execz .LBB368_2060
; %bb.2053:                             ;   in Loop: Header=BB368_1062 Depth=1
	v_bfrev_b32_e32 v8, 1
	s_mov_b32 s16, exec_lo
	v_cmpx_ne_u16_e32 0x80, v9
	s_cbranch_execz .LBB368_2059
; %bb.2054:                             ;   in Loop: Header=BB368_1062 Depth=1
	v_and_b32_e32 v9, 0x7f, v0
	v_mov_b32_e32 v8, 0x7f800001
	s_mov_b32 s17, exec_lo
	s_delay_alu instid0(VALU_DEP_2)
	v_cmpx_ne_u32_e32 0x7f, v9
	s_cbranch_execz .LBB368_2058
; %bb.2055:                             ;   in Loop: Header=BB368_1062 Depth=1
	v_mov_b64_e32 v[18:19], v[0:1]
	v_lshrrev_b32_e32 v8, 3, v9
	s_mov_b32 s18, exec_lo
	v_cmpx_gt_u32_e32 8, v9
; %bb.2056:                             ;   in Loop: Header=BB368_1062 Depth=1
	v_and_b32_e32 v8, 7, v0
	s_delay_alu instid0(VALU_DEP_1) | instskip(NEXT) | instid1(VALU_DEP_1)
	v_clz_i32_u32_e32 v8, v8
	v_min_u32_e32 v8, 32, v8
	s_delay_alu instid0(VALU_DEP_1) | instskip(SKIP_1) | instid1(VALU_DEP_2)
	v_subrev_nc_u32_e32 v9, 28, v8
	v_sub_nc_u32_e32 v8, 29, v8
	v_lshlrev_b64_e32 v[18:19], v9, v[0:1]
; %bb.2057:                             ;   in Loop: Header=BB368_1062 Depth=1
	s_or_b32 exec_lo, exec_lo, s18
	s_delay_alu instid0(VALU_DEP_1) | instskip(NEXT) | instid1(VALU_DEP_3)
	v_dual_lshlrev_b32 v9, 20, v18 :: v_dual_lshlrev_b32 v18, 24, v0
	v_lshl_add_u32 v8, v8, 23, 0x3c000000
	s_delay_alu instid0(VALU_DEP_2) | instskip(NEXT) | instid1(VALU_DEP_3)
	v_and_b32_e32 v9, 0x700000, v9
	v_and_b32_e32 v18, 0x80000000, v18
	s_delay_alu instid0(VALU_DEP_1)
	v_or3_b32 v8, v9, v18, v8
.LBB368_2058:                           ;   in Loop: Header=BB368_1062 Depth=1
	s_or_b32 exec_lo, exec_lo, s17
.LBB368_2059:                           ;   in Loop: Header=BB368_1062 Depth=1
	s_delay_alu instid0(SALU_CYCLE_1)
	s_or_b32 exec_lo, exec_lo, s16
.LBB368_2060:                           ;   in Loop: Header=BB368_1062 Depth=1
	s_delay_alu instid0(SALU_CYCLE_1) | instskip(SKIP_2) | instid1(VALU_DEP_1)
	s_or_b32 exec_lo, exec_lo, s15
	v_lshrrev_b16 v9, 8, v0
	s_mov_b32 s15, exec_lo
	v_cmpx_ne_u16_e32 0, v9
	s_cbranch_execz .LBB368_2068
; %bb.2061:                             ;   in Loop: Header=BB368_1062 Depth=1
	v_bfrev_b32_e32 v34, 1
	s_mov_b32 s16, exec_lo
	v_cmpx_ne_u16_e32 0x80, v9
	s_cbranch_execz .LBB368_2067
; %bb.2062:                             ;   in Loop: Header=BB368_1062 Depth=1
	v_and_b32_e32 v9, 0xffff, v9
	v_mov_b32_e32 v34, 0x7f800001
	s_mov_b32 s17, exec_lo
	s_delay_alu instid0(VALU_DEP_2) | instskip(NEXT) | instid1(VALU_DEP_1)
	v_and_b32_e32 v35, 0x7f, v9
	v_cmpx_ne_u32_e32 0x7f, v35
	s_cbranch_execz .LBB368_2066
; %bb.2063:                             ;   in Loop: Header=BB368_1062 Depth=1
	v_dual_lshrrev_b32 v9, 3, v35 :: v_dual_bitop2_b32 v22, 7, v9 bitop3:0x40
	s_mov_b32 s18, exec_lo
	s_delay_alu instid0(VALU_DEP_1)
	v_mov_b64_e32 v[18:19], v[22:23]
	v_cmpx_gt_u32_e32 8, v35
; %bb.2064:                             ;   in Loop: Header=BB368_1062 Depth=1
	v_clz_i32_u32_e32 v9, v22
	s_delay_alu instid0(VALU_DEP_1) | instskip(NEXT) | instid1(VALU_DEP_1)
	v_min_u32_e32 v9, 32, v9
	v_subrev_nc_u32_e32 v18, 28, v9
	s_delay_alu instid0(VALU_DEP_1) | instskip(NEXT) | instid1(VALU_DEP_1)
	v_lshlrev_b64_e32 v[18:19], v18, v[22:23]
	v_dual_sub_nc_u32 v9, 29, v9 :: v_dual_bitop2_b32 v18, 7, v18 bitop3:0x40
; %bb.2065:                             ;   in Loop: Header=BB368_1062 Depth=1
	s_or_b32 exec_lo, exec_lo, s18
	s_delay_alu instid0(VALU_DEP_1) | instskip(NEXT) | instid1(VALU_DEP_2)
	v_dual_lshlrev_b32 v19, 16, v0 :: v_dual_lshlrev_b32 v18, 20, v18
	v_lshl_add_u32 v9, v9, 23, 0x3c000000
	s_delay_alu instid0(VALU_DEP_2) | instskip(NEXT) | instid1(VALU_DEP_1)
	v_and_b32_e32 v19, 0x80000000, v19
	v_or3_b32 v34, v18, v19, v9
.LBB368_2066:                           ;   in Loop: Header=BB368_1062 Depth=1
	s_or_b32 exec_lo, exec_lo, s17
.LBB368_2067:                           ;   in Loop: Header=BB368_1062 Depth=1
	s_delay_alu instid0(SALU_CYCLE_1)
	s_or_b32 exec_lo, exec_lo, s16
.LBB368_2068:                           ;   in Loop: Header=BB368_1062 Depth=1
	s_delay_alu instid0(SALU_CYCLE_1) | instskip(SKIP_3) | instid1(VALU_DEP_2)
	s_or_b32 exec_lo, exec_lo, s15
	v_dual_lshrrev_b32 v9, 16, v0 :: v_dual_mov_b32 v43, 0
	v_mov_b32_e32 v35, 0
	s_mov_b32 s15, exec_lo
	v_and_b32_e32 v18, 0xff, v9
	s_delay_alu instid0(VALU_DEP_1)
	v_cmpx_ne_u16_e32 0, v18
	s_cbranch_execz .LBB368_2076
; %bb.2069:                             ;   in Loop: Header=BB368_1062 Depth=1
	v_bfrev_b32_e32 v35, 1
	s_mov_b32 s16, exec_lo
	v_cmpx_ne_u16_e32 0x80, v18
	s_cbranch_execz .LBB368_2075
; %bb.2070:                             ;   in Loop: Header=BB368_1062 Depth=1
	v_bfe_u32 v44, v0, 16, 7
	v_mov_b32_e32 v35, 0x7f800001
	s_mov_b32 s17, exec_lo
	s_delay_alu instid0(VALU_DEP_2)
	v_cmpx_ne_u32_e32 0x7f, v44
	s_cbranch_execz .LBB368_2074
; %bb.2071:                             ;   in Loop: Header=BB368_1062 Depth=1
	v_and_b32_e32 v22, 7, v9
	s_mov_b32 s18, exec_lo
	s_delay_alu instid0(VALU_DEP_1)
	v_mov_b64_e32 v[18:19], v[22:23]
	v_lshrrev_b32_e32 v19, 3, v44
	v_cmpx_gt_u32_e32 8, v44
; %bb.2072:                             ;   in Loop: Header=BB368_1062 Depth=1
	v_clz_i32_u32_e32 v18, v22
	s_delay_alu instid0(VALU_DEP_1) | instskip(NEXT) | instid1(VALU_DEP_1)
	v_min_u32_e32 v35, 32, v18
	v_subrev_nc_u32_e32 v18, 28, v35
	s_delay_alu instid0(VALU_DEP_1) | instskip(NEXT) | instid1(VALU_DEP_1)
	v_lshlrev_b64_e32 v[18:19], v18, v[22:23]
	v_dual_sub_nc_u32 v19, 29, v35 :: v_dual_bitop2_b32 v18, 7, v18 bitop3:0x40
; %bb.2073:                             ;   in Loop: Header=BB368_1062 Depth=1
	s_or_b32 exec_lo, exec_lo, s18
	s_delay_alu instid0(VALU_DEP_1) | instskip(NEXT) | instid1(VALU_DEP_2)
	v_dual_lshlrev_b32 v9, 24, v9 :: v_dual_lshlrev_b32 v18, 20, v18
	v_lshl_add_u32 v19, v19, 23, 0x3c000000
	s_delay_alu instid0(VALU_DEP_2) | instskip(NEXT) | instid1(VALU_DEP_1)
	v_and_b32_e32 v9, 0x80000000, v9
	v_or3_b32 v35, v18, v9, v19
.LBB368_2074:                           ;   in Loop: Header=BB368_1062 Depth=1
	s_or_b32 exec_lo, exec_lo, s17
.LBB368_2075:                           ;   in Loop: Header=BB368_1062 Depth=1
	s_delay_alu instid0(SALU_CYCLE_1)
	s_or_b32 exec_lo, exec_lo, s16
.LBB368_2076:                           ;   in Loop: Header=BB368_1062 Depth=1
	s_delay_alu instid0(SALU_CYCLE_1) | instskip(NEXT) | instid1(SALU_CYCLE_1)
	s_or_b32 exec_lo, exec_lo, s15
	s_mov_b32 s15, exec_lo
	v_cmpx_lt_u32_e32 0xffffff, v0
	s_cbranch_execz .LBB368_2084
; %bb.2077:                             ;   in Loop: Header=BB368_1062 Depth=1
	v_lshrrev_b32_e32 v9, 24, v0
	v_bfrev_b32_e32 v43, 1
	s_mov_b32 s16, exec_lo
	s_delay_alu instid0(VALU_DEP_2)
	v_cmpx_ne_u32_e32 0x80, v9
	s_cbranch_execz .LBB368_2083
; %bb.2078:                             ;   in Loop: Header=BB368_1062 Depth=1
	v_bfe_u32 v44, v0, 24, 7
	v_mov_b32_e32 v43, 0x7f800001
	s_mov_b32 s17, exec_lo
	s_delay_alu instid0(VALU_DEP_2)
	v_cmpx_ne_u32_e32 0x7f, v44
	s_cbranch_execz .LBB368_2082
; %bb.2079:                             ;   in Loop: Header=BB368_1062 Depth=1
	v_and_b32_e32 v22, 7, v9
	s_mov_b32 s18, exec_lo
	s_delay_alu instid0(VALU_DEP_1)
	v_mov_b64_e32 v[18:19], v[22:23]
	v_lshrrev_b32_e32 v19, 3, v44
	v_cmpx_gt_u32_e32 8, v44
; %bb.2080:                             ;   in Loop: Header=BB368_1062 Depth=1
	v_clz_i32_u32_e32 v18, v22
	s_delay_alu instid0(VALU_DEP_1) | instskip(NEXT) | instid1(VALU_DEP_1)
	v_min_u32_e32 v43, 32, v18
	v_subrev_nc_u32_e32 v18, 28, v43
	s_delay_alu instid0(VALU_DEP_1) | instskip(NEXT) | instid1(VALU_DEP_1)
	v_lshlrev_b64_e32 v[18:19], v18, v[22:23]
	v_dual_sub_nc_u32 v19, 29, v43 :: v_dual_bitop2_b32 v18, 7, v18 bitop3:0x40
; %bb.2081:                             ;   in Loop: Header=BB368_1062 Depth=1
	s_or_b32 exec_lo, exec_lo, s18
	s_delay_alu instid0(VALU_DEP_1) | instskip(NEXT) | instid1(VALU_DEP_2)
	v_dual_lshlrev_b32 v9, 24, v9 :: v_dual_lshlrev_b32 v18, 20, v18
	v_lshl_add_u32 v19, v19, 23, 0x3c000000
	s_delay_alu instid0(VALU_DEP_2) | instskip(NEXT) | instid1(VALU_DEP_1)
	v_and_b32_e32 v9, 0x80000000, v9
	v_or3_b32 v43, v18, v9, v19
.LBB368_2082:                           ;   in Loop: Header=BB368_1062 Depth=1
	s_or_b32 exec_lo, exec_lo, s17
.LBB368_2083:                           ;   in Loop: Header=BB368_1062 Depth=1
	s_delay_alu instid0(SALU_CYCLE_1)
	s_or_b32 exec_lo, exec_lo, s16
.LBB368_2084:                           ;   in Loop: Header=BB368_1062 Depth=1
	s_delay_alu instid0(SALU_CYCLE_1) | instskip(SKIP_4) | instid1(VALU_DEP_3)
	s_or_b32 exec_lo, exec_lo, s15
	v_and_b32_e32 v18, 0xff, v1
	v_dual_mov_b32 v22, v1 :: v_dual_mov_b32 v44, 0
	v_mov_b32_e32 v9, 0
	s_mov_b32 s15, exec_lo
	v_cmpx_ne_u16_e32 0, v18
	s_cbranch_execz .LBB368_2092
; %bb.2085:                             ;   in Loop: Header=BB368_1062 Depth=1
	v_bfrev_b32_e32 v9, 1
	s_mov_b32 s16, exec_lo
	v_cmpx_ne_u16_e32 0x80, v18
	s_cbranch_execz .LBB368_2091
; %bb.2086:                             ;   in Loop: Header=BB368_1062 Depth=1
	v_and_b32_e32 v45, 0x7f, v1
	v_mov_b32_e32 v9, 0x7f800001
	s_mov_b32 s17, exec_lo
	s_delay_alu instid0(VALU_DEP_2)
	v_cmpx_ne_u32_e32 0x7f, v45
	s_cbranch_execz .LBB368_2090
; %bb.2087:                             ;   in Loop: Header=BB368_1062 Depth=1
	v_mov_b64_e32 v[18:19], v[22:23]
	v_lshrrev_b32_e32 v9, 3, v45
	s_mov_b32 s18, exec_lo
	v_cmpx_gt_u32_e32 8, v45
; %bb.2088:                             ;   in Loop: Header=BB368_1062 Depth=1
	v_and_b32_e32 v9, 7, v1
	s_delay_alu instid0(VALU_DEP_1) | instskip(NEXT) | instid1(VALU_DEP_1)
	v_clz_i32_u32_e32 v9, v9
	v_min_u32_e32 v9, 32, v9
	s_delay_alu instid0(VALU_DEP_1) | instskip(SKIP_1) | instid1(VALU_DEP_2)
	v_subrev_nc_u32_e32 v18, 28, v9
	v_sub_nc_u32_e32 v9, 29, v9
	v_lshlrev_b64_e32 v[18:19], v18, v[22:23]
; %bb.2089:                             ;   in Loop: Header=BB368_1062 Depth=1
	s_or_b32 exec_lo, exec_lo, s18
	s_delay_alu instid0(VALU_DEP_1) | instskip(SKIP_2) | instid1(VALU_DEP_3)
	v_lshlrev_b32_e32 v18, 20, v18
	v_lshlrev_b32_e32 v19, 24, v22
	v_lshl_add_u32 v9, v9, 23, 0x3c000000
	v_and_b32_e32 v18, 0x700000, v18
	s_delay_alu instid0(VALU_DEP_3) | instskip(NEXT) | instid1(VALU_DEP_1)
	v_and_b32_e32 v19, 0x80000000, v19
	v_or3_b32 v9, v18, v19, v9
.LBB368_2090:                           ;   in Loop: Header=BB368_1062 Depth=1
	s_or_b32 exec_lo, exec_lo, s17
.LBB368_2091:                           ;   in Loop: Header=BB368_1062 Depth=1
	s_delay_alu instid0(SALU_CYCLE_1)
	s_or_b32 exec_lo, exec_lo, s16
.LBB368_2092:                           ;   in Loop: Header=BB368_1062 Depth=1
	s_delay_alu instid0(SALU_CYCLE_1) | instskip(SKIP_2) | instid1(VALU_DEP_1)
	s_or_b32 exec_lo, exec_lo, s15
	v_lshrrev_b16 v18, 8, v22
	s_mov_b32 s15, exec_lo
	v_cmpx_ne_u16_e32 0, v18
	s_cbranch_execz .LBB368_2100
; %bb.2093:                             ;   in Loop: Header=BB368_1062 Depth=1
	v_bfrev_b32_e32 v44, 1
	s_mov_b32 s16, exec_lo
	v_cmpx_ne_u16_e32 0x80, v18
	s_cbranch_execz .LBB368_2099
; %bb.2094:                             ;   in Loop: Header=BB368_1062 Depth=1
	v_and_b32_e32 v18, 0xffff, v18
	v_mov_b32_e32 v44, 0x7f800001
	s_mov_b32 s17, exec_lo
	s_delay_alu instid0(VALU_DEP_2) | instskip(NEXT) | instid1(VALU_DEP_1)
	v_and_b32_e32 v45, 0x7f, v18
	v_cmpx_ne_u32_e32 0x7f, v45
	s_cbranch_execz .LBB368_2098
; %bb.2095:                             ;   in Loop: Header=BB368_1062 Depth=1
	v_dual_mov_b32 v19, v23 :: v_dual_bitop2_b32 v18, 7, v18 bitop3:0x40
	v_lshrrev_b32_e32 v44, 3, v45
	s_mov_b32 s18, exec_lo
	v_cmpx_gt_u32_e32 8, v45
; %bb.2096:                             ;   in Loop: Header=BB368_1062 Depth=1
	s_delay_alu instid0(VALU_DEP_3) | instskip(NEXT) | instid1(VALU_DEP_1)
	v_clz_i32_u32_e32 v44, v18
	v_min_u32_e32 v44, 32, v44
	s_delay_alu instid0(VALU_DEP_1) | instskip(NEXT) | instid1(VALU_DEP_1)
	v_subrev_nc_u32_e32 v45, 28, v44
	v_lshlrev_b64_e32 v[18:19], v45, v[18:19]
	s_delay_alu instid0(VALU_DEP_1)
	v_dual_sub_nc_u32 v44, 29, v44 :: v_dual_bitop2_b32 v18, 7, v18 bitop3:0x40
; %bb.2097:                             ;   in Loop: Header=BB368_1062 Depth=1
	s_or_b32 exec_lo, exec_lo, s18
	v_lshlrev_b32_e32 v19, 16, v22
	s_delay_alu instid0(VALU_DEP_2) | instskip(NEXT) | instid1(VALU_DEP_3)
	v_lshlrev_b32_e32 v18, 20, v18
	v_lshl_add_u32 v22, v44, 23, 0x3c000000
	s_delay_alu instid0(VALU_DEP_3) | instskip(NEXT) | instid1(VALU_DEP_1)
	v_and_b32_e32 v19, 0x80000000, v19
	v_or3_b32 v44, v18, v19, v22
.LBB368_2098:                           ;   in Loop: Header=BB368_1062 Depth=1
	s_or_b32 exec_lo, exec_lo, s17
.LBB368_2099:                           ;   in Loop: Header=BB368_1062 Depth=1
	s_delay_alu instid0(SALU_CYCLE_1)
	s_or_b32 exec_lo, exec_lo, s16
.LBB368_2100:                           ;   in Loop: Header=BB368_1062 Depth=1
	s_delay_alu instid0(SALU_CYCLE_1) | instskip(SKIP_3) | instid1(VALU_DEP_2)
	s_or_b32 exec_lo, exec_lo, s15
	v_dual_lshrrev_b32 v47, 16, v1 :: v_dual_mov_b32 v45, 0
	v_mov_b32_e32 v46, 0
	s_mov_b32 s15, exec_lo
	v_and_b32_e32 v18, 0xff, v47
	s_delay_alu instid0(VALU_DEP_1)
	v_cmpx_ne_u16_e32 0, v18
	s_cbranch_execz .LBB368_2108
; %bb.2101:                             ;   in Loop: Header=BB368_1062 Depth=1
	v_bfrev_b32_e32 v46, 1
	s_mov_b32 s16, exec_lo
	v_cmpx_ne_u16_e32 0x80, v18
	s_cbranch_execz .LBB368_2107
; %bb.2102:                             ;   in Loop: Header=BB368_1062 Depth=1
	v_bfe_u32 v56, v1, 16, 7
	v_mov_b32_e32 v46, 0x7f800001
	s_mov_b32 s17, exec_lo
	s_delay_alu instid0(VALU_DEP_2)
	v_cmpx_ne_u32_e32 0x7f, v56
	s_cbranch_execz .LBB368_2106
; %bb.2103:                             ;   in Loop: Header=BB368_1062 Depth=1
	v_and_b32_e32 v22, 7, v47
	s_mov_b32 s18, exec_lo
	s_delay_alu instid0(VALU_DEP_1)
	v_mov_b64_e32 v[18:19], v[22:23]
	v_lshrrev_b32_e32 v19, 3, v56
	v_cmpx_gt_u32_e32 8, v56
; %bb.2104:                             ;   in Loop: Header=BB368_1062 Depth=1
	v_clz_i32_u32_e32 v18, v22
	s_delay_alu instid0(VALU_DEP_1) | instskip(NEXT) | instid1(VALU_DEP_1)
	v_min_u32_e32 v46, 32, v18
	v_subrev_nc_u32_e32 v18, 28, v46
	s_delay_alu instid0(VALU_DEP_1) | instskip(SKIP_1) | instid1(VALU_DEP_2)
	v_lshlrev_b64_e32 v[18:19], v18, v[22:23]
	v_sub_nc_u32_e32 v19, 29, v46
	v_and_b32_e32 v18, 7, v18
; %bb.2105:                             ;   in Loop: Header=BB368_1062 Depth=1
	s_or_b32 exec_lo, exec_lo, s18
	s_delay_alu instid0(VALU_DEP_1) | instskip(NEXT) | instid1(VALU_DEP_3)
	v_dual_lshlrev_b32 v22, 24, v47 :: v_dual_lshlrev_b32 v18, 20, v18
	v_lshl_add_u32 v19, v19, 23, 0x3c000000
	s_delay_alu instid0(VALU_DEP_2) | instskip(NEXT) | instid1(VALU_DEP_1)
	v_and_b32_e32 v22, 0x80000000, v22
	v_or3_b32 v46, v18, v22, v19
.LBB368_2106:                           ;   in Loop: Header=BB368_1062 Depth=1
	s_or_b32 exec_lo, exec_lo, s17
.LBB368_2107:                           ;   in Loop: Header=BB368_1062 Depth=1
	s_delay_alu instid0(SALU_CYCLE_1)
	s_or_b32 exec_lo, exec_lo, s16
.LBB368_2108:                           ;   in Loop: Header=BB368_1062 Depth=1
	s_delay_alu instid0(SALU_CYCLE_1) | instskip(NEXT) | instid1(SALU_CYCLE_1)
	s_or_b32 exec_lo, exec_lo, s15
	s_mov_b32 s15, exec_lo
	v_cmpx_lt_u64_e64 s[2:3], v[0:1]
	s_cbranch_execz .LBB368_2116
; %bb.2109:                             ;   in Loop: Header=BB368_1062 Depth=1
	v_lshrrev_b32_e32 v18, 24, v1
	v_bfrev_b32_e32 v45, 1
	s_mov_b32 s16, exec_lo
	s_delay_alu instid0(VALU_DEP_2)
	v_cmpx_ne_u32_e32 0x80, v18
	s_cbranch_execz .LBB368_2115
; %bb.2110:                             ;   in Loop: Header=BB368_1062 Depth=1
	v_bfe_u32 v19, v1, 24, 7
	v_mov_b32_e32 v45, 0x7f800001
	s_mov_b32 s17, exec_lo
	s_delay_alu instid0(VALU_DEP_2)
	v_cmpx_ne_u32_e32 0x7f, v19
	s_cbranch_execz .LBB368_2114
; %bb.2111:                             ;   in Loop: Header=BB368_1062 Depth=1
	v_and_b32_e32 v22, 7, v18
	s_mov_b32 s18, exec_lo
	s_delay_alu instid0(VALU_DEP_1)
	v_mov_b64_e32 v[0:1], v[22:23]
	v_lshrrev_b32_e32 v1, 3, v19
	v_cmpx_gt_u32_e32 8, v19
; %bb.2112:                             ;   in Loop: Header=BB368_1062 Depth=1
	v_clz_i32_u32_e32 v0, v22
	s_delay_alu instid0(VALU_DEP_1) | instskip(NEXT) | instid1(VALU_DEP_1)
	v_min_u32_e32 v19, 32, v0
	v_subrev_nc_u32_e32 v0, 28, v19
	s_delay_alu instid0(VALU_DEP_1) | instskip(NEXT) | instid1(VALU_DEP_1)
	v_lshlrev_b64_e32 v[0:1], v0, v[22:23]
	v_dual_sub_nc_u32 v1, 29, v19 :: v_dual_bitop2_b32 v0, 7, v0 bitop3:0x40
; %bb.2113:                             ;   in Loop: Header=BB368_1062 Depth=1
	s_or_b32 exec_lo, exec_lo, s18
	s_delay_alu instid0(VALU_DEP_1) | instskip(NEXT) | instid1(VALU_DEP_2)
	v_dual_lshlrev_b32 v18, 24, v18 :: v_dual_lshlrev_b32 v0, 20, v0
	v_lshl_add_u32 v1, v1, 23, 0x3c000000
	s_delay_alu instid0(VALU_DEP_2) | instskip(NEXT) | instid1(VALU_DEP_1)
	v_and_b32_e32 v18, 0x80000000, v18
	v_or3_b32 v45, v0, v18, v1
.LBB368_2114:                           ;   in Loop: Header=BB368_1062 Depth=1
	s_or_b32 exec_lo, exec_lo, s17
.LBB368_2115:                           ;   in Loop: Header=BB368_1062 Depth=1
	s_delay_alu instid0(SALU_CYCLE_1)
	s_or_b32 exec_lo, exec_lo, s16
.LBB368_2116:                           ;   in Loop: Header=BB368_1062 Depth=1
	s_delay_alu instid0(SALU_CYCLE_1)
	s_or_b32 exec_lo, exec_lo, s15
	v_fma_mixlo_bf16 v1, v49, v44, 0
	v_fma_mixlo_bf16 v9, v49, v9, 0
	;; [unrolled: 1-line block ×8, first 2 shown]
	s_and_saveexec_b32 s0, vcc_lo
	s_cbranch_execz .LBB368_1061
; %bb.2117:                             ;   in Loop: Header=BB368_1062 Depth=1
	v_cmp_lt_i32_e32 vcc_lo, v102, v36
	v_cndmask_b32_e32 v34, 0, v34, vcc_lo
	v_cmp_lt_i32_e32 vcc_lo, v114, v36
	v_cndmask_b32_e32 v22, 0, v22, vcc_lo
	;; [unrolled: 2-line block ×8, first 2 shown]
	s_branch .LBB368_1061
.LBB368_2118:
	s_or_b32 exec_lo, exec_lo, s14
	s_clause 0x2
	scratch_load_b32 v50, off, s32 offset:492
	scratch_load_b32 v32, off, s32 offset:500
	;; [unrolled: 1-line block ×3, first 2 shown]
	v_mov_b64_e32 v[0:1], s[6:7]
.LBB368_2119:
	s_wait_xcnt 0x0
	s_or_b32 exec_lo, exec_lo, s1
	s_wait_loadcnt 0x1
	ds_bpermute_b32 v2, v32, v28
	ds_bpermute_b32 v3, v32, v29
	;; [unrolled: 1-line block ×4, first 2 shown]
	v_lshl_add_u64 v[0:1], v[0:1], 2, s[8:9]
	s_wait_storecnt 0x0
	s_wait_loadcnt_dscnt 0x0
	s_barrier_signal -1
	s_barrier_wait -1
	global_load_b32 v18, v[0:1], off
	s_wait_xcnt 0x0
	ds_bpermute_b32 v0, v32, v30
	ds_bpermute_b32 v1, v32, v31
	;; [unrolled: 1-line block ×10, first 2 shown]
	s_mov_b32 s0, exec_lo
	v_pk_add_f32 v[2:3], v[28:29], v[2:3]
	ds_bpermute_b32 v28, v32, v12
	ds_bpermute_b32 v29, v32, v13
	v_pk_add_f32 v[22:23], v[14:15], v[22:23]
	scratch_load_b32 v19, off, s32 offset:908 ; 4-byte Folded Reload
	ds_bpermute_b32 v48, v50, v22
	ds_bpermute_b32 v49, v50, v23
	s_wait_dscnt 0xc
	v_pk_add_f32 v[0:1], v[30:31], v[0:1]
	s_wait_dscnt 0xa
	v_pk_add_f32 v[4:5], v[26:27], v[4:5]
	ds_bpermute_b32 v26, v50, v2
	s_wait_dscnt 0x9
	v_pk_add_f32 v[6:7], v[24:25], v[6:7]
	ds_bpermute_b32 v30, v50, v0
	;; [unrolled: 3-line block ×4, first 2 shown]
	ds_bpermute_b32 v24, v50, v4
	ds_bpermute_b32 v25, v50, v5
	s_wait_dscnt 0x8
	v_pk_add_f32 v[14:15], v[12:13], v[28:29]
	scratch_load_b32 v29, off, s32 offset:916 ; 4-byte Folded Reload
	ds_bpermute_b32 v32, v50, v6
	ds_bpermute_b32 v33, v50, v7
	;; [unrolled: 1-line block ×8, first 2 shown]
	s_wait_dscnt 0xb
	v_pk_add_f32 v[12:13], v[0:1], v[30:31]
	v_pk_add_f32 v[0:1], v[22:23], v[48:49]
	s_wait_dscnt 0xa
	v_pk_add_f32 v[10:11], v[2:3], v[26:27]
	s_wait_dscnt 0x8
	;; [unrolled: 2-line block ×5, first 2 shown]
	v_pk_add_f32 v[2:3], v[34:35], v[38:39]
	s_wait_loadcnt 0x1
	v_and_b32_e32 v19, 28, v19
	s_wait_loadcnt 0x0
	v_and_b32_e32 v24, 0x3c3, v29
	s_delay_alu instid0(VALU_DEP_1) | instskip(SKIP_1) | instid1(SALU_CYCLE_1)
	v_cmpx_ne_u32_e32 64, v24
	s_xor_b32 s0, exec_lo, s0
	s_or_saveexec_b32 s0, s0
	s_wait_dscnt 0x0
	v_pk_add_f32 v[14:15], v[14:15], v[16:17]
	scratch_load_b32 v16, off, s32 offset:908 th:TH_LOAD_LU ; 4-byte Folded Reload
	v_add_nc_u32_e32 v17, v18, v19
	scratch_load_b32 v19, off, s32 offset:912 th:TH_LOAD_LU ; 4-byte Folded Reload
	s_wait_loadcnt 0x0
	v_dual_lshrrev_b32 v16, 2, v16 :: v_dual_lshlrev_b32 v19, 9, v19
	s_xor_b32 exec_lo, exec_lo, s0
	s_cbranch_execz .LBB368_2121
; %bb.2120:
	s_delay_alu instid0(VALU_DEP_1) | instskip(NEXT) | instid1(VALU_DEP_1)
	v_add_nc_u32_e32 v20, v17, v19
	v_add_nc_u32_e32 v21, 0xfffffc00, v20
	;; [unrolled: 1-line block ×9, first 2 shown]
	ds_store_b32 v21, v12
	ds_store_b32 v22, v13
	;; [unrolled: 1-line block ×8, first 2 shown]
	v_add_nc_u32_e32 v21, 0xfffffd00, v20
	v_add_nc_u32_e32 v22, 0xfffffd20, v20
	;; [unrolled: 1-line block ×8, first 2 shown]
	ds_store_b32 v21, v4
	ds_store_b32 v22, v5
	;; [unrolled: 1-line block ×8, first 2 shown]
.LBB368_2121:
	s_or_b32 exec_lo, exec_lo, s0
	s_delay_alu instid0(VALU_DEP_1)
	v_lshlrev_b32_e32 v16, 2, v16
	s_mov_b32 s1, exec_lo
	v_cmp_eq_u32_e32 vcc_lo, 0, v51
	s_wait_dscnt 0x0
	s_barrier_signal -1
	v_add3_u32 v16, v18, v19, v16
	s_barrier_wait -1
	v_cmpx_gt_u32_e32 64, v29
	s_cbranch_execz .LBB368_2140
; %bb.2122:
	s_and_saveexec_b32 s0, vcc_lo
	s_cbranch_execnz .LBB368_2164
; %bb.2123:
	s_or_b32 exec_lo, exec_lo, s0
	s_and_saveexec_b32 s0, vcc_lo
	s_cbranch_execnz .LBB368_2165
.LBB368_2124:
	s_or_b32 exec_lo, exec_lo, s0
	s_and_saveexec_b32 s0, vcc_lo
	s_cbranch_execnz .LBB368_2166
.LBB368_2125:
	s_or_b32 exec_lo, exec_lo, s0
	s_and_saveexec_b32 s0, vcc_lo
	s_cbranch_execnz .LBB368_2167
.LBB368_2126:
	s_or_b32 exec_lo, exec_lo, s0
	s_and_saveexec_b32 s0, vcc_lo
	s_cbranch_execnz .LBB368_2168
.LBB368_2127:
	s_or_b32 exec_lo, exec_lo, s0
	s_and_saveexec_b32 s0, vcc_lo
	s_cbranch_execnz .LBB368_2169
.LBB368_2128:
	s_or_b32 exec_lo, exec_lo, s0
	s_and_saveexec_b32 s0, vcc_lo
	s_cbranch_execnz .LBB368_2170
.LBB368_2129:
	s_or_b32 exec_lo, exec_lo, s0
	s_and_saveexec_b32 s0, vcc_lo
	s_cbranch_execnz .LBB368_2171
.LBB368_2130:
	s_or_b32 exec_lo, exec_lo, s0
	s_and_saveexec_b32 s0, vcc_lo
	s_cbranch_execnz .LBB368_2172
.LBB368_2131:
	s_or_b32 exec_lo, exec_lo, s0
	s_and_saveexec_b32 s0, vcc_lo
	s_cbranch_execnz .LBB368_2173
.LBB368_2132:
	s_or_b32 exec_lo, exec_lo, s0
	s_and_saveexec_b32 s0, vcc_lo
	s_cbranch_execnz .LBB368_2174
.LBB368_2133:
	s_or_b32 exec_lo, exec_lo, s0
	s_and_saveexec_b32 s0, vcc_lo
	s_cbranch_execnz .LBB368_2175
.LBB368_2134:
	s_or_b32 exec_lo, exec_lo, s0
	s_and_saveexec_b32 s0, vcc_lo
	s_cbranch_execnz .LBB368_2176
.LBB368_2135:
	s_or_b32 exec_lo, exec_lo, s0
	s_and_saveexec_b32 s0, vcc_lo
	s_cbranch_execnz .LBB368_2177
.LBB368_2136:
	s_or_b32 exec_lo, exec_lo, s0
	s_and_saveexec_b32 s0, vcc_lo
	s_cbranch_execnz .LBB368_2178
.LBB368_2137:
	s_or_b32 exec_lo, exec_lo, s0
	s_and_saveexec_b32 s0, vcc_lo
	s_cbranch_execz .LBB368_2139
.LBB368_2138:
	ds_load_b32 v18, v16 offset:480
	s_wait_dscnt 0x0
	v_add_f32_e32 v15, v18, v15
.LBB368_2139:
	s_or_b32 exec_lo, exec_lo, s0
.LBB368_2140:
	s_delay_alu instid0(SALU_CYCLE_1) | instskip(SKIP_4) | instid1(VALU_DEP_1)
	s_or_b32 exec_lo, exec_lo, s1
	v_and_b32_e32 v18, 0x3e3, v29
	s_mov_b32 s1, exec_lo
	s_barrier_signal -1
	s_barrier_wait -1
	v_cmpx_eq_u32_e32 32, v18
	s_cbranch_execz .LBB368_2142
; %bb.2141:
	ds_store_2addr_b32 v17, v12, v13 offset1:8
	ds_store_2addr_b32 v17, v10, v11 offset0:16 offset1:24
	ds_store_2addr_b32 v17, v8, v9 offset0:32 offset1:40
	;; [unrolled: 1-line block ×7, first 2 shown]
.LBB368_2142:
	s_or_b32 exec_lo, exec_lo, s1
	s_delay_alu instid0(SALU_CYCLE_1)
	s_mov_b32 s1, exec_lo
	s_wait_dscnt 0x0
	s_barrier_signal -1
	s_barrier_wait -1
	v_cmpx_gt_u32_e32 32, v29
	s_cbranch_execz .LBB368_2161
; %bb.2143:
	s_and_saveexec_b32 s0, vcc_lo
	s_cbranch_execnz .LBB368_2179
; %bb.2144:
	s_or_b32 exec_lo, exec_lo, s0
	s_and_saveexec_b32 s0, vcc_lo
	s_cbranch_execnz .LBB368_2180
.LBB368_2145:
	s_or_b32 exec_lo, exec_lo, s0
	s_and_saveexec_b32 s0, vcc_lo
	s_cbranch_execnz .LBB368_2181
.LBB368_2146:
	s_or_b32 exec_lo, exec_lo, s0
	s_and_saveexec_b32 s0, vcc_lo
	s_cbranch_execnz .LBB368_2182
.LBB368_2147:
	s_or_b32 exec_lo, exec_lo, s0
	s_and_saveexec_b32 s0, vcc_lo
	s_cbranch_execnz .LBB368_2183
.LBB368_2148:
	s_or_b32 exec_lo, exec_lo, s0
	s_and_saveexec_b32 s0, vcc_lo
	s_cbranch_execnz .LBB368_2184
.LBB368_2149:
	s_or_b32 exec_lo, exec_lo, s0
	s_and_saveexec_b32 s0, vcc_lo
	s_cbranch_execnz .LBB368_2185
.LBB368_2150:
	s_or_b32 exec_lo, exec_lo, s0
	s_and_saveexec_b32 s0, vcc_lo
	s_cbranch_execnz .LBB368_2186
.LBB368_2151:
	s_or_b32 exec_lo, exec_lo, s0
	s_and_saveexec_b32 s0, vcc_lo
	s_cbranch_execnz .LBB368_2187
.LBB368_2152:
	s_or_b32 exec_lo, exec_lo, s0
	s_and_saveexec_b32 s0, vcc_lo
	s_cbranch_execnz .LBB368_2188
.LBB368_2153:
	s_or_b32 exec_lo, exec_lo, s0
	s_and_saveexec_b32 s0, vcc_lo
	s_cbranch_execnz .LBB368_2189
.LBB368_2154:
	s_or_b32 exec_lo, exec_lo, s0
	s_and_saveexec_b32 s0, vcc_lo
	s_cbranch_execnz .LBB368_2190
.LBB368_2155:
	s_or_b32 exec_lo, exec_lo, s0
	s_and_saveexec_b32 s0, vcc_lo
	s_cbranch_execnz .LBB368_2191
.LBB368_2156:
	s_or_b32 exec_lo, exec_lo, s0
	s_and_saveexec_b32 s0, vcc_lo
	s_cbranch_execnz .LBB368_2192
.LBB368_2157:
	s_or_b32 exec_lo, exec_lo, s0
	s_and_saveexec_b32 s0, vcc_lo
	s_cbranch_execnz .LBB368_2193
.LBB368_2158:
	s_or_b32 exec_lo, exec_lo, s0
	s_and_saveexec_b32 s0, vcc_lo
	s_cbranch_execz .LBB368_2160
.LBB368_2159:
	ds_load_b32 v16, v16 offset:480
	s_wait_dscnt 0x0
	v_add_f32_e32 v15, v16, v15
.LBB368_2160:
	s_or_b32 exec_lo, exec_lo, s0
.LBB368_2161:
	s_delay_alu instid0(SALU_CYCLE_1)
	s_or_b32 exec_lo, exec_lo, s1
	s_mov_b32 s1, 0
	s_mov_b32 s2, exec_lo
	s_barrier_signal -1
	s_barrier_wait -1
	v_cmpx_eq_u32_e32 0, v18
	s_cbranch_execz .LBB368_2163
; %bb.2162:
	scratch_load_b64 v[16:17], off, s32 offset:948 th:TH_LOAD_LU ; 8-byte Folded Reload
	s_and_b32 s0, 0xffff, s13
	v_dual_mov_b32 v19, 0 :: v_dual_lshrrev_b32 v18, 1, v29
	s_cmp_lg_u32 s0, 0
	s_cselect_b32 s0, -1, 0
	s_delay_alu instid0(SALU_CYCLE_1)
	s_cmp_lg_u32 s0, 0
	s_wait_kmcnt 0x0
	s_add_co_ci_u32 s0, s5, 0
	s_bfe_u32 s8, ttmp6, 0x40014
	s_mul_i32 s5, s11, s0
	s_lshr_b32 s3, ttmp7, 16
	s_mul_i32 s5, s5, s12
	s_add_co_i32 s8, s8, 1
	s_lshl_b32 s6, s5, 7
	s_bfe_u32 s9, ttmp6, 0x40008
	s_ashr_i32 s7, s6, 31
	s_mul_i32 s4, s4, s0
	s_mul_i32 s0, s3, s8
	s_ashr_i32 s5, s4, 31
	s_add_co_i32 s9, s9, s0
	s_cmp_eq_u32 s10, 0
	s_cselect_b32 s0, s3, s9
	s_delay_alu instid0(SALU_CYCLE_1) | instskip(NEXT) | instid1(SALU_CYCLE_1)
	s_lshl_b32 s0, s0, 8
	v_cvt_pk_bf16_f32 v20, v12, s0
	v_cvt_pk_bf16_f32 v21, v13, s0
	;; [unrolled: 1-line block ×14, first 2 shown]
	s_wait_loadcnt 0x0
	v_lshl_add_u64 v[16:17], s[6:7], 1, v[16:17]
	s_delay_alu instid0(VALU_DEP_1) | instskip(NEXT) | instid1(VALU_DEP_1)
	v_lshl_add_u64 v[16:17], s[4:5], 1, v[16:17]
	v_add_nc_u64_e32 v[16:17], s[0:1], v[16:17]
	s_delay_alu instid0(VALU_DEP_1)
	v_add_nc_u64_e32 v[12:13], v[16:17], v[18:19]
	s_clause 0x7
	flat_store_b16 v[12:13], v20
	flat_store_b16 v[12:13], v21 offset:16
	flat_store_b16 v[12:13], v10 offset:32
	;; [unrolled: 1-line block ×7, first 2 shown]
	s_wait_xcnt 0x1
	v_cvt_pk_bf16_f32 v6, v14, s0
	s_wait_xcnt 0x0
	v_cvt_pk_bf16_f32 v7, v15, s0
	s_clause 0x7
	flat_store_b16 v[12:13], v4 offset:128
	flat_store_b16 v[12:13], v5 offset:144
	;; [unrolled: 1-line block ×8, first 2 shown]
.LBB368_2163:
	s_wait_xcnt 0x0
	s_or_b32 exec_lo, exec_lo, s2
	s_clause 0x2f
	scratch_load_b32 v127, off, s32
	scratch_load_b32 v126, off, s32 offset:4
	scratch_load_b32 v125, off, s32 offset:8
	;; [unrolled: 1-line block ×47, first 2 shown]
	s_wait_loadcnt_dscnt 0x0
	s_wait_kmcnt 0x0
	s_set_pc_i64 s[30:31]
.LBB368_2164:
	ds_load_b32 v18, v16
	s_wait_dscnt 0x0
	v_add_f32_e32 v12, v18, v12
	s_or_b32 exec_lo, exec_lo, s0
	s_and_saveexec_b32 s0, vcc_lo
	s_cbranch_execz .LBB368_2124
.LBB368_2165:
	ds_load_b32 v18, v16 offset:32
	s_wait_dscnt 0x0
	v_add_f32_e32 v13, v18, v13
	s_or_b32 exec_lo, exec_lo, s0
	s_and_saveexec_b32 s0, vcc_lo
	s_cbranch_execz .LBB368_2125
.LBB368_2166:
	ds_load_b32 v18, v16 offset:64
	s_wait_dscnt 0x0
	v_add_f32_e32 v10, v18, v10
	s_or_b32 exec_lo, exec_lo, s0
	s_and_saveexec_b32 s0, vcc_lo
	s_cbranch_execz .LBB368_2126
.LBB368_2167:
	ds_load_b32 v18, v16 offset:96
	s_wait_dscnt 0x0
	v_add_f32_e32 v11, v18, v11
	s_or_b32 exec_lo, exec_lo, s0
	s_and_saveexec_b32 s0, vcc_lo
	s_cbranch_execz .LBB368_2127
.LBB368_2168:
	ds_load_b32 v18, v16 offset:128
	s_wait_dscnt 0x0
	v_add_f32_e32 v8, v18, v8
	s_or_b32 exec_lo, exec_lo, s0
	s_and_saveexec_b32 s0, vcc_lo
	s_cbranch_execz .LBB368_2128
.LBB368_2169:
	ds_load_b32 v18, v16 offset:160
	s_wait_dscnt 0x0
	v_add_f32_e32 v9, v18, v9
	s_or_b32 exec_lo, exec_lo, s0
	s_and_saveexec_b32 s0, vcc_lo
	s_cbranch_execz .LBB368_2129
.LBB368_2170:
	ds_load_b32 v18, v16 offset:192
	s_wait_dscnt 0x0
	v_add_f32_e32 v6, v18, v6
	s_or_b32 exec_lo, exec_lo, s0
	s_and_saveexec_b32 s0, vcc_lo
	s_cbranch_execz .LBB368_2130
.LBB368_2171:
	ds_load_b32 v18, v16 offset:224
	s_wait_dscnt 0x0
	v_add_f32_e32 v7, v18, v7
	s_or_b32 exec_lo, exec_lo, s0
	s_and_saveexec_b32 s0, vcc_lo
	s_cbranch_execz .LBB368_2131
.LBB368_2172:
	ds_load_b32 v18, v16 offset:256
	s_wait_dscnt 0x0
	v_add_f32_e32 v4, v18, v4
	s_or_b32 exec_lo, exec_lo, s0
	s_and_saveexec_b32 s0, vcc_lo
	s_cbranch_execz .LBB368_2132
.LBB368_2173:
	ds_load_b32 v18, v16 offset:288
	s_wait_dscnt 0x0
	v_add_f32_e32 v5, v18, v5
	s_or_b32 exec_lo, exec_lo, s0
	s_and_saveexec_b32 s0, vcc_lo
	s_cbranch_execz .LBB368_2133
.LBB368_2174:
	ds_load_b32 v18, v16 offset:320
	s_wait_dscnt 0x0
	v_add_f32_e32 v2, v18, v2
	s_or_b32 exec_lo, exec_lo, s0
	s_and_saveexec_b32 s0, vcc_lo
	s_cbranch_execz .LBB368_2134
.LBB368_2175:
	ds_load_b32 v18, v16 offset:352
	s_wait_dscnt 0x0
	v_add_f32_e32 v3, v18, v3
	s_or_b32 exec_lo, exec_lo, s0
	s_and_saveexec_b32 s0, vcc_lo
	s_cbranch_execz .LBB368_2135
.LBB368_2176:
	ds_load_b32 v18, v16 offset:384
	s_wait_dscnt 0x0
	v_add_f32_e32 v0, v18, v0
	s_or_b32 exec_lo, exec_lo, s0
	s_and_saveexec_b32 s0, vcc_lo
	s_cbranch_execz .LBB368_2136
.LBB368_2177:
	ds_load_b32 v18, v16 offset:416
	s_wait_dscnt 0x0
	v_add_f32_e32 v1, v18, v1
	s_or_b32 exec_lo, exec_lo, s0
	s_and_saveexec_b32 s0, vcc_lo
	s_cbranch_execz .LBB368_2137
.LBB368_2178:
	ds_load_b32 v18, v16 offset:448
	s_wait_dscnt 0x0
	v_add_f32_e32 v14, v18, v14
	s_or_b32 exec_lo, exec_lo, s0
	s_and_saveexec_b32 s0, vcc_lo
	s_cbranch_execnz .LBB368_2138
	s_branch .LBB368_2139
.LBB368_2179:
	ds_load_b32 v17, v16
	s_wait_dscnt 0x0
	v_add_f32_e32 v12, v17, v12
	s_or_b32 exec_lo, exec_lo, s0
	s_and_saveexec_b32 s0, vcc_lo
	s_cbranch_execz .LBB368_2145
.LBB368_2180:
	ds_load_b32 v17, v16 offset:32
	s_wait_dscnt 0x0
	v_add_f32_e32 v13, v17, v13
	s_or_b32 exec_lo, exec_lo, s0
	s_and_saveexec_b32 s0, vcc_lo
	s_cbranch_execz .LBB368_2146
.LBB368_2181:
	ds_load_b32 v17, v16 offset:64
	s_wait_dscnt 0x0
	v_add_f32_e32 v10, v17, v10
	s_or_b32 exec_lo, exec_lo, s0
	s_and_saveexec_b32 s0, vcc_lo
	s_cbranch_execz .LBB368_2147
.LBB368_2182:
	ds_load_b32 v17, v16 offset:96
	s_wait_dscnt 0x0
	v_add_f32_e32 v11, v17, v11
	s_or_b32 exec_lo, exec_lo, s0
	s_and_saveexec_b32 s0, vcc_lo
	s_cbranch_execz .LBB368_2148
.LBB368_2183:
	ds_load_b32 v17, v16 offset:128
	s_wait_dscnt 0x0
	v_add_f32_e32 v8, v17, v8
	s_or_b32 exec_lo, exec_lo, s0
	s_and_saveexec_b32 s0, vcc_lo
	s_cbranch_execz .LBB368_2149
.LBB368_2184:
	ds_load_b32 v17, v16 offset:160
	s_wait_dscnt 0x0
	v_add_f32_e32 v9, v17, v9
	s_or_b32 exec_lo, exec_lo, s0
	s_and_saveexec_b32 s0, vcc_lo
	s_cbranch_execz .LBB368_2150
.LBB368_2185:
	ds_load_b32 v17, v16 offset:192
	s_wait_dscnt 0x0
	v_add_f32_e32 v6, v17, v6
	s_or_b32 exec_lo, exec_lo, s0
	s_and_saveexec_b32 s0, vcc_lo
	s_cbranch_execz .LBB368_2151
.LBB368_2186:
	ds_load_b32 v17, v16 offset:224
	s_wait_dscnt 0x0
	v_add_f32_e32 v7, v17, v7
	s_or_b32 exec_lo, exec_lo, s0
	s_and_saveexec_b32 s0, vcc_lo
	s_cbranch_execz .LBB368_2152
.LBB368_2187:
	ds_load_b32 v17, v16 offset:256
	s_wait_dscnt 0x0
	v_add_f32_e32 v4, v17, v4
	s_or_b32 exec_lo, exec_lo, s0
	s_and_saveexec_b32 s0, vcc_lo
	s_cbranch_execz .LBB368_2153
.LBB368_2188:
	ds_load_b32 v17, v16 offset:288
	s_wait_dscnt 0x0
	v_add_f32_e32 v5, v17, v5
	s_or_b32 exec_lo, exec_lo, s0
	s_and_saveexec_b32 s0, vcc_lo
	s_cbranch_execz .LBB368_2154
.LBB368_2189:
	ds_load_b32 v17, v16 offset:320
	s_wait_dscnt 0x0
	v_add_f32_e32 v2, v17, v2
	s_or_b32 exec_lo, exec_lo, s0
	s_and_saveexec_b32 s0, vcc_lo
	s_cbranch_execz .LBB368_2155
.LBB368_2190:
	ds_load_b32 v17, v16 offset:352
	s_wait_dscnt 0x0
	v_add_f32_e32 v3, v17, v3
	s_or_b32 exec_lo, exec_lo, s0
	s_and_saveexec_b32 s0, vcc_lo
	s_cbranch_execz .LBB368_2156
.LBB368_2191:
	ds_load_b32 v17, v16 offset:384
	s_wait_dscnt 0x0
	v_add_f32_e32 v0, v17, v0
	s_or_b32 exec_lo, exec_lo, s0
	s_and_saveexec_b32 s0, vcc_lo
	s_cbranch_execz .LBB368_2157
.LBB368_2192:
	ds_load_b32 v17, v16 offset:416
	s_wait_dscnt 0x0
	v_add_f32_e32 v1, v17, v1
	s_or_b32 exec_lo, exec_lo, s0
	s_and_saveexec_b32 s0, vcc_lo
	s_cbranch_execz .LBB368_2158
.LBB368_2193:
	ds_load_b32 v17, v16 offset:448
	s_wait_dscnt 0x0
	v_add_f32_e32 v14, v17, v14
	s_or_b32 exec_lo, exec_lo, s0
	s_and_saveexec_b32 s0, vcc_lo
	s_cbranch_execnz .LBB368_2159
	s_branch .LBB368_2160
.Lfunc_end368:
	.size	_ZN4vllm22paged_attention_kernelI14__hip_bfloat16hLi128ELi32ELi128ELNS_18Fp8KVCacheDataTypeE1ELb0ELi0EEEvPfS3_PT_PKS4_PKT0_SA_ifPKiSC_iPKfiiiSE_SE_iiiii, .Lfunc_end368-_ZN4vllm22paged_attention_kernelI14__hip_bfloat16hLi128ELi32ELi128ELNS_18Fp8KVCacheDataTypeE1ELb0ELi0EEEvPfS3_PT_PKS4_PKT0_SA_ifPKiSC_iPKfiiiSE_SE_iiiii
                                        ; -- End function
	.set .L_ZN4vllm22paged_attention_kernelI14__hip_bfloat16hLi128ELi32ELi128ELNS_18Fp8KVCacheDataTypeE1ELb0ELi0EEEvPfS3_PT_PKS4_PKT0_SA_ifPKiSC_iPKfiiiSE_SE_iiiii.num_vgpr, 128
	.set .L_ZN4vllm22paged_attention_kernelI14__hip_bfloat16hLi128ELi32ELi128ELNS_18Fp8KVCacheDataTypeE1ELb0ELi0EEEvPfS3_PT_PKS4_PKT0_SA_ifPKiSC_iPKfiiiSE_SE_iiiii.num_agpr, 0
	.set .L_ZN4vllm22paged_attention_kernelI14__hip_bfloat16hLi128ELi32ELi128ELNS_18Fp8KVCacheDataTypeE1ELb0ELi0EEEvPfS3_PT_PKS4_PKT0_SA_ifPKiSC_iPKfiiiSE_SE_iiiii.numbered_sgpr, 33
	.set .L_ZN4vllm22paged_attention_kernelI14__hip_bfloat16hLi128ELi32ELi128ELNS_18Fp8KVCacheDataTypeE1ELb0ELi0EEEvPfS3_PT_PKS4_PKT0_SA_ifPKiSC_iPKfiiiSE_SE_iiiii.num_named_barrier, 0
	.set .L_ZN4vllm22paged_attention_kernelI14__hip_bfloat16hLi128ELi32ELi128ELNS_18Fp8KVCacheDataTypeE1ELb0ELi0EEEvPfS3_PT_PKS4_PKT0_SA_ifPKiSC_iPKfiiiSE_SE_iiiii.private_seg_size, 980
	.set .L_ZN4vllm22paged_attention_kernelI14__hip_bfloat16hLi128ELi32ELi128ELNS_18Fp8KVCacheDataTypeE1ELb0ELi0EEEvPfS3_PT_PKS4_PKT0_SA_ifPKiSC_iPKfiiiSE_SE_iiiii.uses_vcc, 1
	.set .L_ZN4vllm22paged_attention_kernelI14__hip_bfloat16hLi128ELi32ELi128ELNS_18Fp8KVCacheDataTypeE1ELb0ELi0EEEvPfS3_PT_PKS4_PKT0_SA_ifPKiSC_iPKfiiiSE_SE_iiiii.uses_flat_scratch, 1
	.set .L_ZN4vllm22paged_attention_kernelI14__hip_bfloat16hLi128ELi32ELi128ELNS_18Fp8KVCacheDataTypeE1ELb0ELi0EEEvPfS3_PT_PKS4_PKT0_SA_ifPKiSC_iPKfiiiSE_SE_iiiii.has_dyn_sized_stack, 0
	.set .L_ZN4vllm22paged_attention_kernelI14__hip_bfloat16hLi128ELi32ELi128ELNS_18Fp8KVCacheDataTypeE1ELb0ELi0EEEvPfS3_PT_PKS4_PKT0_SA_ifPKiSC_iPKfiiiSE_SE_iiiii.has_recursion, 0
	.set .L_ZN4vllm22paged_attention_kernelI14__hip_bfloat16hLi128ELi32ELi128ELNS_18Fp8KVCacheDataTypeE1ELb0ELi0EEEvPfS3_PT_PKS4_PKT0_SA_ifPKiSC_iPKfiiiSE_SE_iiiii.has_indirect_call, 0
	.section	.AMDGPU.csdata,"",@progbits
; Function info:
; codeLenInByte = 81164
; TotalNumSgprs: 35
; NumVgprs: 128
; ScratchSize: 980
; MemoryBound: 0
	.section	.text._ZN4vllm25paged_attention_v1_kernelI14__hip_bfloat16hLi128ELi32ELi128ELNS_18Fp8KVCacheDataTypeE1ELb0EEEvPT_PKS3_PKT0_S9_ifPKiSB_iPKfiiiSD_SD_iiiii,"axG",@progbits,_ZN4vllm25paged_attention_v1_kernelI14__hip_bfloat16hLi128ELi32ELi128ELNS_18Fp8KVCacheDataTypeE1ELb0EEEvPT_PKS3_PKT0_S9_ifPKiSB_iPKfiiiSD_SD_iiiii,comdat
	.protected	_ZN4vllm25paged_attention_v1_kernelI14__hip_bfloat16hLi128ELi32ELi128ELNS_18Fp8KVCacheDataTypeE1ELb0EEEvPT_PKS3_PKT0_S9_ifPKiSB_iPKfiiiSD_SD_iiiii ; -- Begin function _ZN4vllm25paged_attention_v1_kernelI14__hip_bfloat16hLi128ELi32ELi128ELNS_18Fp8KVCacheDataTypeE1ELb0EEEvPT_PKS3_PKT0_S9_ifPKiSB_iPKfiiiSD_SD_iiiii
	.globl	_ZN4vllm25paged_attention_v1_kernelI14__hip_bfloat16hLi128ELi32ELi128ELNS_18Fp8KVCacheDataTypeE1ELb0EEEvPT_PKS3_PKT0_S9_ifPKiSB_iPKfiiiSD_SD_iiiii
	.p2align	8
	.type	_ZN4vllm25paged_attention_v1_kernelI14__hip_bfloat16hLi128ELi32ELi128ELNS_18Fp8KVCacheDataTypeE1ELb0EEEvPT_PKS3_PKT0_S9_ifPKiSB_iPKfiiiSD_SD_iiiii,@function
_ZN4vllm25paged_attention_v1_kernelI14__hip_bfloat16hLi128ELi32ELi128ELNS_18Fp8KVCacheDataTypeE1ELb0EEEvPT_PKS3_PKT0_S9_ifPKiSB_iPKfiiiSD_SD_iiiii: ; @_ZN4vllm25paged_attention_v1_kernelI14__hip_bfloat16hLi128ELi32ELi128ELNS_18Fp8KVCacheDataTypeE1ELb0EEEvPT_PKS3_PKT0_S9_ifPKiSB_iPKfiiiSD_SD_iiiii
; %bb.0:
	s_clause 0x5
	s_load_b256 s[12:19], s[0:1], 0x0
	s_load_b128 s[4:7], s[0:1], 0x20
	s_load_b96 s[20:22], s[0:1], 0x30
	s_load_b64 s[10:11], s[0:1], 0x40
	s_load_b96 s[28:30], s[0:1], 0x48
	s_load_b128 s[24:27], s[0:1], 0x58
	v_mov_b32_e32 v31, v0
	s_get_pc_i64 s[2:3]
	s_add_nc_u64 s[2:3], s[2:3], _ZN4vllm22paged_attention_kernelI14__hip_bfloat16hLi128ELi32ELi128ELNS_18Fp8KVCacheDataTypeE1ELb0ELi0EEEvPfS3_PT_PKS4_PKT0_SA_ifPKiSC_iPKfiiiSE_SE_iiiii@rel64+4
	s_add_nc_u64 s[8:9], s[0:1], 0x80
	s_mov_b32 s32, 0
	s_wait_kmcnt 0x0
	v_dual_mov_b32 v0, s12 :: v_dual_mov_b32 v1, s13
	v_dual_mov_b32 v2, s14 :: v_dual_mov_b32 v3, s15
	;; [unrolled: 1-line block ×12, first 2 shown]
	s_mov_b32 s15, 4
	s_swap_pc_i64 s[30:31], s[2:3]
	s_endpgm
	.section	.rodata,"a",@progbits
	.p2align	6, 0x0
	.amdhsa_kernel _ZN4vllm25paged_attention_v1_kernelI14__hip_bfloat16hLi128ELi32ELi128ELNS_18Fp8KVCacheDataTypeE1ELb0EEEvPT_PKS3_PKT0_S9_ifPKiSB_iPKfiiiSD_SD_iiiii
		.amdhsa_group_segment_fixed_size 288
		.amdhsa_private_segment_fixed_size 980
		.amdhsa_kernarg_size 384
		.amdhsa_user_sgpr_count 2
		.amdhsa_user_sgpr_dispatch_ptr 0
		.amdhsa_user_sgpr_queue_ptr 0
		.amdhsa_user_sgpr_kernarg_segment_ptr 1
		.amdhsa_user_sgpr_dispatch_id 0
		.amdhsa_user_sgpr_kernarg_preload_length 0
		.amdhsa_user_sgpr_kernarg_preload_offset 0
		.amdhsa_user_sgpr_private_segment_size 0
		.amdhsa_wavefront_size32 1
		.amdhsa_uses_dynamic_stack 0
		.amdhsa_enable_private_segment 1
		.amdhsa_system_sgpr_workgroup_id_x 1
		.amdhsa_system_sgpr_workgroup_id_y 1
		.amdhsa_system_sgpr_workgroup_id_z 1
		.amdhsa_system_sgpr_workgroup_info 0
		.amdhsa_system_vgpr_workitem_id 0
		.amdhsa_next_free_vgpr 128
		.amdhsa_next_free_sgpr 33
		.amdhsa_named_barrier_count 0
		.amdhsa_reserve_vcc 1
		.amdhsa_float_round_mode_32 0
		.amdhsa_float_round_mode_16_64 0
		.amdhsa_float_denorm_mode_32 3
		.amdhsa_float_denorm_mode_16_64 3
		.amdhsa_fp16_overflow 0
		.amdhsa_memory_ordered 1
		.amdhsa_forward_progress 1
		.amdhsa_inst_pref_size 2
		.amdhsa_round_robin_scheduling 0
		.amdhsa_exception_fp_ieee_invalid_op 0
		.amdhsa_exception_fp_denorm_src 0
		.amdhsa_exception_fp_ieee_div_zero 0
		.amdhsa_exception_fp_ieee_overflow 0
		.amdhsa_exception_fp_ieee_underflow 0
		.amdhsa_exception_fp_ieee_inexact 0
		.amdhsa_exception_int_div_zero 0
	.end_amdhsa_kernel
	.section	.text._ZN4vllm25paged_attention_v1_kernelI14__hip_bfloat16hLi128ELi32ELi128ELNS_18Fp8KVCacheDataTypeE1ELb0EEEvPT_PKS3_PKT0_S9_ifPKiSB_iPKfiiiSD_SD_iiiii,"axG",@progbits,_ZN4vllm25paged_attention_v1_kernelI14__hip_bfloat16hLi128ELi32ELi128ELNS_18Fp8KVCacheDataTypeE1ELb0EEEvPT_PKS3_PKT0_S9_ifPKiSB_iPKfiiiSD_SD_iiiii,comdat
.Lfunc_end369:
	.size	_ZN4vllm25paged_attention_v1_kernelI14__hip_bfloat16hLi128ELi32ELi128ELNS_18Fp8KVCacheDataTypeE1ELb0EEEvPT_PKS3_PKT0_S9_ifPKiSB_iPKfiiiSD_SD_iiiii, .Lfunc_end369-_ZN4vllm25paged_attention_v1_kernelI14__hip_bfloat16hLi128ELi32ELi128ELNS_18Fp8KVCacheDataTypeE1ELb0EEEvPT_PKS3_PKT0_S9_ifPKiSB_iPKfiiiSD_SD_iiiii
                                        ; -- End function
	.set _ZN4vllm25paged_attention_v1_kernelI14__hip_bfloat16hLi128ELi32ELi128ELNS_18Fp8KVCacheDataTypeE1ELb0EEEvPT_PKS3_PKT0_S9_ifPKiSB_iPKfiiiSD_SD_iiiii.num_vgpr, max(32, .L_ZN4vllm22paged_attention_kernelI14__hip_bfloat16hLi128ELi32ELi128ELNS_18Fp8KVCacheDataTypeE1ELb0ELi0EEEvPfS3_PT_PKS4_PKT0_SA_ifPKiSC_iPKfiiiSE_SE_iiiii.num_vgpr)
	.set _ZN4vllm25paged_attention_v1_kernelI14__hip_bfloat16hLi128ELi32ELi128ELNS_18Fp8KVCacheDataTypeE1ELb0EEEvPT_PKS3_PKT0_S9_ifPKiSB_iPKfiiiSD_SD_iiiii.num_agpr, max(0, .L_ZN4vllm22paged_attention_kernelI14__hip_bfloat16hLi128ELi32ELi128ELNS_18Fp8KVCacheDataTypeE1ELb0ELi0EEEvPfS3_PT_PKS4_PKT0_SA_ifPKiSC_iPKfiiiSE_SE_iiiii.num_agpr)
	.set _ZN4vllm25paged_attention_v1_kernelI14__hip_bfloat16hLi128ELi32ELi128ELNS_18Fp8KVCacheDataTypeE1ELb0EEEvPT_PKS3_PKT0_S9_ifPKiSB_iPKfiiiSD_SD_iiiii.numbered_sgpr, max(33, .L_ZN4vllm22paged_attention_kernelI14__hip_bfloat16hLi128ELi32ELi128ELNS_18Fp8KVCacheDataTypeE1ELb0ELi0EEEvPfS3_PT_PKS4_PKT0_SA_ifPKiSC_iPKfiiiSE_SE_iiiii.numbered_sgpr)
	.set _ZN4vllm25paged_attention_v1_kernelI14__hip_bfloat16hLi128ELi32ELi128ELNS_18Fp8KVCacheDataTypeE1ELb0EEEvPT_PKS3_PKT0_S9_ifPKiSB_iPKfiiiSD_SD_iiiii.num_named_barrier, max(0, .L_ZN4vllm22paged_attention_kernelI14__hip_bfloat16hLi128ELi32ELi128ELNS_18Fp8KVCacheDataTypeE1ELb0ELi0EEEvPfS3_PT_PKS4_PKT0_SA_ifPKiSC_iPKfiiiSE_SE_iiiii.num_named_barrier)
	.set _ZN4vllm25paged_attention_v1_kernelI14__hip_bfloat16hLi128ELi32ELi128ELNS_18Fp8KVCacheDataTypeE1ELb0EEEvPT_PKS3_PKT0_S9_ifPKiSB_iPKfiiiSD_SD_iiiii.private_seg_size, 0+max(.L_ZN4vllm22paged_attention_kernelI14__hip_bfloat16hLi128ELi32ELi128ELNS_18Fp8KVCacheDataTypeE1ELb0ELi0EEEvPfS3_PT_PKS4_PKT0_SA_ifPKiSC_iPKfiiiSE_SE_iiiii.private_seg_size)
	.set _ZN4vllm25paged_attention_v1_kernelI14__hip_bfloat16hLi128ELi32ELi128ELNS_18Fp8KVCacheDataTypeE1ELb0EEEvPT_PKS3_PKT0_S9_ifPKiSB_iPKfiiiSD_SD_iiiii.uses_vcc, or(1, .L_ZN4vllm22paged_attention_kernelI14__hip_bfloat16hLi128ELi32ELi128ELNS_18Fp8KVCacheDataTypeE1ELb0ELi0EEEvPfS3_PT_PKS4_PKT0_SA_ifPKiSC_iPKfiiiSE_SE_iiiii.uses_vcc)
	.set _ZN4vllm25paged_attention_v1_kernelI14__hip_bfloat16hLi128ELi32ELi128ELNS_18Fp8KVCacheDataTypeE1ELb0EEEvPT_PKS3_PKT0_S9_ifPKiSB_iPKfiiiSD_SD_iiiii.uses_flat_scratch, or(0, .L_ZN4vllm22paged_attention_kernelI14__hip_bfloat16hLi128ELi32ELi128ELNS_18Fp8KVCacheDataTypeE1ELb0ELi0EEEvPfS3_PT_PKS4_PKT0_SA_ifPKiSC_iPKfiiiSE_SE_iiiii.uses_flat_scratch)
	.set _ZN4vllm25paged_attention_v1_kernelI14__hip_bfloat16hLi128ELi32ELi128ELNS_18Fp8KVCacheDataTypeE1ELb0EEEvPT_PKS3_PKT0_S9_ifPKiSB_iPKfiiiSD_SD_iiiii.has_dyn_sized_stack, or(0, .L_ZN4vllm22paged_attention_kernelI14__hip_bfloat16hLi128ELi32ELi128ELNS_18Fp8KVCacheDataTypeE1ELb0ELi0EEEvPfS3_PT_PKS4_PKT0_SA_ifPKiSC_iPKfiiiSE_SE_iiiii.has_dyn_sized_stack)
	.set _ZN4vllm25paged_attention_v1_kernelI14__hip_bfloat16hLi128ELi32ELi128ELNS_18Fp8KVCacheDataTypeE1ELb0EEEvPT_PKS3_PKT0_S9_ifPKiSB_iPKfiiiSD_SD_iiiii.has_recursion, or(0, .L_ZN4vllm22paged_attention_kernelI14__hip_bfloat16hLi128ELi32ELi128ELNS_18Fp8KVCacheDataTypeE1ELb0ELi0EEEvPfS3_PT_PKS4_PKT0_SA_ifPKiSC_iPKfiiiSE_SE_iiiii.has_recursion)
	.set _ZN4vllm25paged_attention_v1_kernelI14__hip_bfloat16hLi128ELi32ELi128ELNS_18Fp8KVCacheDataTypeE1ELb0EEEvPT_PKS3_PKT0_S9_ifPKiSB_iPKfiiiSD_SD_iiiii.has_indirect_call, or(0, .L_ZN4vllm22paged_attention_kernelI14__hip_bfloat16hLi128ELi32ELi128ELNS_18Fp8KVCacheDataTypeE1ELb0ELi0EEEvPfS3_PT_PKS4_PKT0_SA_ifPKiSC_iPKfiiiSE_SE_iiiii.has_indirect_call)
	.section	.AMDGPU.csdata,"",@progbits
; Kernel info:
; codeLenInByte = 196
; TotalNumSgprs: 35
; NumVgprs: 128
; ScratchSize: 980
; MemoryBound: 0
; FloatMode: 240
; IeeeMode: 1
; LDSByteSize: 288 bytes/workgroup (compile time only)
; SGPRBlocks: 0
; VGPRBlocks: 7
; NumSGPRsForWavesPerEU: 35
; NumVGPRsForWavesPerEU: 128
; NamedBarCnt: 0
; Occupancy: 8
; WaveLimiterHint : 1
; COMPUTE_PGM_RSRC2:SCRATCH_EN: 1
; COMPUTE_PGM_RSRC2:USER_SGPR: 2
; COMPUTE_PGM_RSRC2:TRAP_HANDLER: 0
; COMPUTE_PGM_RSRC2:TGID_X_EN: 1
; COMPUTE_PGM_RSRC2:TGID_Y_EN: 1
; COMPUTE_PGM_RSRC2:TGID_Z_EN: 1
; COMPUTE_PGM_RSRC2:TIDIG_COMP_CNT: 0
	.text
	.p2align	2                               ; -- Begin function _ZN4vllm22paged_attention_kernelI14__hip_bfloat16hLi192ELi32ELi128ELNS_18Fp8KVCacheDataTypeE1ELb0ELi0EEEvPfS3_PT_PKS4_PKT0_SA_ifPKiSC_iPKfiiiSE_SE_iiiii
	.type	_ZN4vllm22paged_attention_kernelI14__hip_bfloat16hLi192ELi32ELi128ELNS_18Fp8KVCacheDataTypeE1ELb0ELi0EEEvPfS3_PT_PKS4_PKT0_SA_ifPKiSC_iPKfiiiSE_SE_iiiii,@function
_ZN4vllm22paged_attention_kernelI14__hip_bfloat16hLi192ELi32ELi128ELNS_18Fp8KVCacheDataTypeE1ELb0ELi0EEEvPfS3_PT_PKS4_PKT0_SA_ifPKiSC_iPKfiiiSE_SE_iiiii: ; @_ZN4vllm22paged_attention_kernelI14__hip_bfloat16hLi192ELi32ELi128ELNS_18Fp8KVCacheDataTypeE1ELb0ELi0EEEvPfS3_PT_PKS4_PKT0_SA_ifPKiSC_iPKfiiiSE_SE_iiiii
; %bb.0:
	s_wait_loadcnt_dscnt 0x0
	s_wait_kmcnt 0x0
	s_clause 0x2f
	scratch_store_b32 off, v40, s32 offset:188
	; meta instruction
	scratch_store_b32 off, v41, s32 offset:184
	; meta instruction
	;; [unrolled: 2-line block ×47, first 2 shown]
	scratch_store_b32 off, v127, s32
	s_bfe_u32 s0, ttmp6, 0x4000c
	s_bfe_u32 s2, ttmp6, 0x40010
	s_add_co_i32 s0, s0, 1
	s_and_b32 s1, ttmp6, 15
	s_mul_i32 s0, ttmp9, s0
	s_and_b32 s3, ttmp7, 0xffff
	s_add_co_i32 s2, s2, 1
	s_add_co_i32 s0, s1, s0
	s_mul_i32 s1, s3, s2
	s_bfe_u32 s2, ttmp6, 0x40004
	s_getreg_b32 s12, hwreg(HW_REG_IB_STS2, 6, 4)
	s_add_co_i32 s2, s2, s1
	s_cmp_eq_u32 s12, 0
	s_mov_b32 s1, 0
	s_cselect_b32 s13, s3, s2
	s_cselect_b32 s2, ttmp9, s0
	s_lshl_b32 s0, s13, 2
	s_clause 0x6
	scratch_store_b64 off, v[22:23], s32 offset:1648
	scratch_store_b64 off, v[20:21], s32 offset:792
	;; [unrolled: 1-line block ×4, first 2 shown]
	scratch_store_b32 off, v9, s32 offset:800
	scratch_store_b64 off, v[6:7], s32 offset:1656
	scratch_store_b64 off, v[0:1], s32 offset:1640
	s_wait_xcnt 0x1
	v_add_nc_u64_e32 v[6:7], s[0:1], v[12:13]
	s_wait_xcnt 0x0
	v_mov_b32_e32 v1, 0
	s_clause 0x1
	s_load_u16 s0, s[8:9], 0x12
	s_load_b32 s3, s[8:9], 0x0
	v_dual_mov_b32 v25, v16 :: v_dual_mov_b32 v24, v15
	s_mov_b32 s10, s15
	flat_load_b32 v88, v[6:7]
	s_wait_xcnt 0x0
	v_sub_nc_u32_e32 v6, 0, v8
	global_load_u16 v0, v1, s[8:9] offset:22
	s_mov_b32 s4, exec_lo
	v_max_i32_e32 v6, v8, v6
	s_delay_alu instid0(VALU_DEP_1) | instskip(SKIP_2) | instid1(VALU_DEP_1)
	v_cvt_f32_u32_e32 v7, v6
	s_wait_kmcnt 0x0
	s_cmp_lg_u32 s0, 0
	v_rcp_iflag_f32_e32 v7, v7
	s_cselect_b32 s0, -1, 0
	s_delay_alu instid0(SALU_CYCLE_1) | instskip(SKIP_2) | instid1(TRANS32_DEP_1)
	s_cmp_lg_u32 s0, 0
	s_add_co_ci_u32 s14, s3, 0
	v_nop
	v_mul_f32_e32 v7, 0x4f7ffffe, v7
	v_sub_nc_u32_e32 v9, 0, v6
	s_abs_i32 s0, s14
	v_xor_b32_e32 v8, s14, v8
	s_delay_alu instid0(VALU_DEP_3) | instskip(NEXT) | instid1(VALU_DEP_2)
	v_cvt_u32_f32_e32 v7, v7
	v_ashrrev_i32_e32 v8, 31, v8
	s_delay_alu instid0(VALU_DEP_2) | instskip(NEXT) | instid1(VALU_DEP_1)
	v_mul_lo_u32 v9, v9, v7
	v_mul_hi_u32 v9, v7, v9
	s_delay_alu instid0(VALU_DEP_1) | instskip(NEXT) | instid1(VALU_DEP_1)
	v_add_nc_u32_e32 v7, v7, v9
	v_mul_hi_u32 v7, s0, v7
	s_delay_alu instid0(VALU_DEP_1) | instskip(NEXT) | instid1(VALU_DEP_1)
	v_mul_lo_u32 v9, v7, v6
	v_dual_add_nc_u32 v10, 1, v7 :: v_dual_sub_nc_u32 v9, s0, v9
	s_abs_i32 s0, s2
	s_delay_alu instid0(VALU_DEP_1) | instskip(SKIP_1) | instid1(VALU_DEP_2)
	v_sub_nc_u32_e32 v11, v9, v6
	v_cmp_ge_u32_e32 vcc_lo, v9, v6
	v_dual_cndmask_b32 v7, v7, v10, vcc_lo :: v_dual_cndmask_b32 v9, v9, v11, vcc_lo
	s_delay_alu instid0(VALU_DEP_1) | instskip(NEXT) | instid1(VALU_DEP_2)
	v_add_nc_u32_e32 v10, 1, v7
	v_cmp_ge_u32_e32 vcc_lo, v9, v6
	s_delay_alu instid0(VALU_DEP_2) | instskip(NEXT) | instid1(VALU_DEP_1)
	v_cndmask_b32_e32 v6, v7, v10, vcc_lo
	v_xor_b32_e32 v6, v6, v8
	s_delay_alu instid0(VALU_DEP_1) | instskip(NEXT) | instid1(VALU_DEP_1)
	v_sub_nc_u32_e32 v7, v6, v8
	v_sub_nc_u32_e32 v6, 0, v7
	s_delay_alu instid0(VALU_DEP_1) | instskip(NEXT) | instid1(VALU_DEP_1)
	v_max_i32_e32 v6, v7, v6
	v_cvt_f32_u32_e32 v8, v6
	v_sub_nc_u32_e32 v9, 0, v6
	s_delay_alu instid0(VALU_DEP_2) | instskip(SKIP_1) | instid1(TRANS32_DEP_1)
	v_rcp_iflag_f32_e32 v8, v8
	v_nop
	v_mul_f32_e32 v8, 0x4f7ffffe, v8
	s_delay_alu instid0(VALU_DEP_1) | instskip(NEXT) | instid1(VALU_DEP_1)
	v_cvt_u32_f32_e32 v8, v8
	v_mul_lo_u32 v9, v9, v8
	s_delay_alu instid0(VALU_DEP_1) | instskip(SKIP_2) | instid1(VALU_DEP_2)
	v_mul_hi_u32 v9, v8, v9
	s_wait_loadcnt 0x0
	v_readfirstlane_b32 s15, v0
	v_dual_add_nc_u32 v0, v8, v9 :: v_dual_mov_b32 v8, v1
	scratch_store_b32 off, v8, s32 offset:788 ; 4-byte Folded Spill
	s_wait_xcnt 0x0
	v_cmpx_ne_u64_e32 0, v[24:25]
	s_cbranch_execz .LBB370_2
; %bb.1:
	s_ashr_i32 s3, s2, 31
	s_delay_alu instid0(SALU_CYCLE_1)
	v_lshl_add_u64 v[8:9], s[2:3], 2, v[24:25]
	flat_load_b32 v8, v[8:9]
	s_wait_loadcnt_dscnt 0x0
	scratch_store_b32 off, v8, s32 offset:788 ; 4-byte Folded Spill
.LBB370_2:
	s_wait_xcnt 0x0
	s_or_b32 exec_lo, exec_lo, s4
	v_mul_u64_e32 v[0:1], s[0:1], v[0:1]
	v_and_b32_e32 v15, 0x3ff, v31
	v_ashrrev_i32_e32 v0, 31, v7
	s_ashr_i32 s1, s2, 31
	s_mul_i32 s4, s2, 0xc0
	s_mov_b32 s2, exec_lo
	v_cmpx_gt_u32_e32 24, v15
	s_cbranch_execz .LBB370_4
; %bb.3:
	v_mul_lo_u32 v8, v17, s13
	s_ashr_i32 s5, s4, 31
	v_dual_mov_b32 v13, 0 :: v_dual_lshlrev_b32 v12, 4, v15
	s_delay_alu instid0(VALU_DEP_2) | instskip(NEXT) | instid1(VALU_DEP_1)
	v_ashrrev_i32_e32 v9, 31, v8
	v_lshl_add_u64 v[2:3], v[8:9], 1, v[2:3]
	s_delay_alu instid0(VALU_DEP_1) | instskip(NEXT) | instid1(VALU_DEP_1)
	v_lshl_add_u64 v[2:3], s[4:5], 1, v[2:3]
	v_add_nc_u64_e32 v[2:3], v[2:3], v[12:13]
	flat_load_b128 v[8:11], v[2:3]
	s_wait_loadcnt_dscnt 0x0
	ds_store_b128 v12, v[8:11]
.LBB370_4:
	s_wait_xcnt 0x0
	s_or_b32 exec_lo, exec_lo, s2
	s_delay_alu instid0(VALU_DEP_4)
	v_mul_lo_u32 v2, v1, v6
	s_load_b32 s5, s[8:9], 0x8
	s_wait_xcnt 0x0
	s_mov_b32 s8, exec_lo
	s_get_pc_i64 s[6:7]
	s_add_nc_u64 s[6:7], s[6:7], llvm.amdgcn.dynlds.offset.table@rel64+4
	s_delay_alu instid0(VALU_DEP_1) | instskip(NEXT) | instid1(VALU_DEP_1)
	v_dual_add_nc_u32 v3, 1, v1 :: v_dual_sub_nc_u32 v2, s0, v2
	v_cmp_ge_u32_e32 vcc_lo, v2, v6
	s_delay_alu instid0(VALU_DEP_2) | instskip(NEXT) | instid1(VALU_DEP_1)
	v_dual_sub_nc_u32 v7, v2, v6 :: v_dual_cndmask_b32 v1, v1, v3, vcc_lo
	v_dual_cndmask_b32 v2, v2, v7 :: v_dual_add_nc_u32 v3, 1, v1
	s_delay_alu instid0(VALU_DEP_1) | instskip(SKIP_4) | instid1(VALU_DEP_1)
	v_cmp_ge_u32_e32 vcc_lo, v2, v6
	s_wait_dscnt 0x0
	v_add_nc_u32_e32 v7, 31, v88
	v_mul_lo_u32 v6, v14, s13
	v_dual_cndmask_b32 v1, v1, v3, vcc_lo :: v_dual_bitop2_b32 v0, s1, v0 bitop3:0x14
	v_dual_ashrrev_i32 v2, 31, v7 :: v_dual_bitop2_b32 v1, v1, v0 bitop3:0x14
	s_delay_alu instid0(VALU_DEP_1) | instskip(NEXT) | instid1(VALU_DEP_1)
	v_dual_lshrrev_b32 v2, 27, v2 :: v_dual_sub_nc_u32 v0, v1, v0
	v_add_nc_u32_e32 v1, v7, v2
	v_ashrrev_i32_e32 v7, 31, v6
	scratch_store_b32 off, v15, s32 offset:1604 ; 4-byte Folded Spill
	v_mul_lo_u32 v8, v0, v19
	v_dual_lshrrev_b32 v0, 5, v15 :: v_dual_ashrrev_i32 v2, 5, v1
	v_and_b32_e32 v1, 31, v15
	v_mov_b32_e32 v10, 0xff7fffff
	s_clause 0x2
	scratch_store_b64 off, v[6:7], s32 offset:1632
	scratch_store_b32 off, v0, s32 offset:1612
	scratch_store_b32 off, v2, s32 offset:408
	v_cmp_ge_i32_e64 s0, v0, v2
	v_dual_lshlrev_b32 v16, 2, v1 :: v_dual_ashrrev_i32 v9, 31, v8
	s_clause 0x1
	scratch_store_b64 off, v[8:9], s32 offset:1616
	scratch_store_b32 off, v1, s32 offset:1608
	s_wait_storecnt 0x0
	s_barrier_signal -1
	s_barrier_wait -1
	s_wait_xcnt 0x0
	v_cmpx_lt_i32_e64 v0, v2
	s_cbranch_execz .LBB370_1544
; %bb.5:
	v_mov_b32_e32 v17, 0
	s_ashr_i32 s11, s10, 31
	s_mov_b32 s9, 0
	s_lshl_b64 s[2:3], s[10:11], 2
	ds_load_b128 v[0:3], v17
	ds_load_b128 v[6:9], v17 offset:16
	ds_load_b128 v[18:21], v17 offset:32
	;; [unrolled: 1-line block ×4, first 2 shown]
	s_add_nc_u64 s[2:3], s[6:7], s[2:3]
	s_wait_dscnt 0x4
	v_and_b32_e32 v11, 0xffff0000, v0
	v_lshlrev_b32_e32 v10, 16, v0
	ds_load_b128 v[24:27], v17 offset:80
	v_lshlrev_b32_e32 v0, 16, v2
	scratch_store_b64 off, v[10:11], s32 offset:804 ; 8-byte Folded Spill
	s_wait_xcnt 0x0
	v_and_b32_e32 v11, 0xffff0000, v1
	v_lshlrev_b32_e32 v10, 16, v1
	v_and_b32_e32 v1, 0xffff0000, v2
	scratch_store_b64 off, v[10:11], s32 offset:812 ; 8-byte Folded Spill
	s_wait_dscnt 0x1
	s_wait_xcnt 0x0
	v_and_b32_e32 v11, 0xffff0000, v31
	v_lshlrev_b32_e32 v10, 16, v31
	scratch_store_b64 off, v[0:1], s32 offset:820 ; 8-byte Folded Spill
	s_wait_xcnt 0x0
	v_and_b32_e32 v1, 0xffff0000, v3
	v_lshlrev_b32_e32 v0, 16, v3
	scratch_store_b64 off, v[0:1], s32 offset:828 ; 8-byte Folded Spill
	s_wait_xcnt 0x0
	v_and_b32_e32 v1, 0xffff0000, v6
	v_dual_lshlrev_b32 v0, 16, v6 :: v_dual_lshlrev_b32 v6, 16, v15
	scratch_store_b64 off, v[0:1], s32 offset:836 ; 8-byte Folded Spill
	s_wait_xcnt 0x0
	v_and_b32_e32 v1, 0xffff0000, v7
	v_lshlrev_b32_e32 v0, 16, v7
	v_and_b32_e32 v7, 0xffff0000, v15
	s_clause 0x1
	scratch_store_b64 off, v[0:1], s32 offset:844
	scratch_store_b64 off, v[6:7], s32 offset:924
	s_wait_xcnt 0x1
	v_and_b32_e32 v1, 0xffff0000, v8
	v_lshlrev_b32_e32 v0, 16, v8
	s_wait_xcnt 0x0
	v_and_b32_e32 v7, 0xffff0000, v28
	v_lshlrev_b32_e32 v6, 16, v28
	scratch_store_b64 off, v[0:1], s32 offset:852 ; 8-byte Folded Spill
	s_wait_xcnt 0x0
	v_and_b32_e32 v1, 0xffff0000, v9
	v_lshlrev_b32_e32 v0, 16, v9
	scratch_store_b64 off, v[6:7], s32 offset:940 ; 8-byte Folded Spill
	;; [unrolled: 4-line block ×7, first 2 shown]
	s_wait_xcnt 0x0
	v_and_b32_e32 v1, 0xffff0000, v21
	v_lshlrev_b32_e32 v0, 16, v21
	ds_load_b128 v[18:21], v17 offset:144
	scratch_store_b64 off, v[0:1], s32 offset:892 ; 8-byte Folded Spill
	s_wait_xcnt 0x0
	v_and_b32_e32 v1, 0xffff0000, v12
	v_lshlrev_b32_e32 v0, 16, v12
	scratch_store_b64 off, v[0:1], s32 offset:900 ; 8-byte Folded Spill
	s_wait_xcnt 0x0
	v_and_b32_e32 v1, 0xffff0000, v13
	v_lshlrev_b32_e32 v0, 16, v13
	scratch_store_b64 off, v[0:1], s32 offset:908 ; 8-byte Folded Spill
	s_wait_xcnt 0x0
	v_and_b32_e32 v1, 0xffff0000, v14
	v_lshlrev_b32_e32 v0, 16, v14
	scratch_store_b64 off, v[0:1], s32 offset:916 ; 8-byte Folded Spill
	s_wait_xcnt 0x0
	ds_load_b128 v[0:3], v17 offset:96
	s_wait_dscnt 0x2
	v_and_b32_e32 v15, 0xffff0000, v27
	v_lshlrev_b32_e32 v14, 16, v27
	scratch_store_b64 off, v[10:11], s32 offset:980 ; 8-byte Folded Spill
	s_wait_xcnt 0x0
	v_and_b32_e32 v11, 0xffff0000, v24
	v_lshlrev_b32_e32 v10, 16, v24
	scratch_store_b64 off, v[6:7], s32 offset:972 ; 8-byte Folded Spill
	s_wait_xcnt 0x0
	ds_load_b128 v[6:9], v17 offset:112
	scratch_store_b64 off, v[14:15], s32 offset:1012 ; 8-byte Folded Spill
	s_wait_dscnt 0x1
	s_wait_xcnt 0x0
	v_and_b32_e32 v15, 0xffff0000, v0
	v_lshlrev_b32_e32 v14, 16, v0
	scratch_store_b64 off, v[10:11], s32 offset:988 ; 8-byte Folded Spill
	s_wait_xcnt 0x0
	v_and_b32_e32 v11, 0xffff0000, v25
	v_dual_lshlrev_b32 v10, 16, v25 :: v_dual_lshlrev_b32 v0, 16, v2
	scratch_store_b64 off, v[14:15], s32 offset:1020 ; 8-byte Folded Spill
	s_wait_xcnt 0x0
	v_and_b32_e32 v15, 0xffff0000, v1
	v_lshlrev_b32_e32 v14, 16, v1
	scratch_store_b64 off, v[10:11], s32 offset:996 ; 8-byte Folded Spill
	s_wait_xcnt 0x0
	v_and_b32_e32 v11, 0xffff0000, v26
	v_lshlrev_b32_e32 v10, 16, v26
	v_and_b32_e32 v1, 0xffff0000, v2
	s_clause 0x1
	scratch_store_b64 off, v[10:11], s32 offset:1004
	scratch_store_b64 off, v[0:1], s32 offset:1036
	s_wait_xcnt 0x1
	ds_load_b128 v[10:13], v17 offset:128
	s_wait_xcnt 0x0
	v_and_b32_e32 v1, 0xffff0000, v3
	v_lshlrev_b32_e32 v0, 16, v3
	s_clause 0x1
	scratch_store_b64 off, v[14:15], s32 offset:1028
	scratch_store_b64 off, v[0:1], s32 offset:1044
	s_wait_dscnt 0x1
	s_wait_xcnt 0x0
	v_and_b32_e32 v1, 0xffff0000, v6
	v_dual_lshlrev_b32 v0, 16, v6 :: v_dual_lshlrev_b32 v6, 16, v9
	scratch_store_b64 off, v[0:1], s32 offset:1052 ; 8-byte Folded Spill
	s_wait_xcnt 0x0
	v_and_b32_e32 v1, 0xffff0000, v7
	v_lshlrev_b32_e32 v0, 16, v7
	v_and_b32_e32 v7, 0xffff0000, v9
	s_clause 0x1
	scratch_store_b64 off, v[0:1], s32 offset:1060
	scratch_store_b64 off, v[6:7], s32 offset:1076
	s_wait_xcnt 0x1
	v_and_b32_e32 v1, 0xffff0000, v8
	v_lshlrev_b32_e32 v0, 16, v8
	s_wait_dscnt 0x0
	s_wait_xcnt 0x0
	v_and_b32_e32 v7, 0xffff0000, v10
	v_dual_lshlrev_b32 v6, 16, v10 :: v_dual_lshlrev_b32 v10, 16, v13
	scratch_store_b64 off, v[0:1], s32 offset:1068 ; 8-byte Folded Spill
	s_wait_xcnt 0x0
	ds_load_b128 v[0:3], v17 offset:160
	v_and_b32_e32 v15, 0xffff0000, v21
	v_lshlrev_b32_e32 v14, 16, v21
	scratch_store_b64 off, v[6:7], s32 offset:1084 ; 8-byte Folded Spill
	s_wait_xcnt 0x0
	v_and_b32_e32 v7, 0xffff0000, v11
	v_lshlrev_b32_e32 v6, 16, v11
	v_and_b32_e32 v11, 0xffff0000, v13
	s_clause 0x1
	scratch_store_b64 off, v[14:15], s32 offset:1140
	scratch_store_b64 off, v[6:7], s32 offset:1092
	s_wait_xcnt 0x0
	v_and_b32_e32 v7, 0xffff0000, v12
	v_lshlrev_b32_e32 v6, 16, v12
	s_wait_dscnt 0x0
	v_and_b32_e32 v15, 0xffff0000, v0
	v_dual_lshlrev_b32 v14, 16, v0 :: v_dual_lshlrev_b32 v0, 16, v2
	scratch_store_b64 off, v[10:11], s32 offset:1108 ; 8-byte Folded Spill
	s_wait_xcnt 0x0
	v_and_b32_e32 v11, 0xffff0000, v18
	v_lshlrev_b32_e32 v10, 16, v18
	scratch_store_b64 off, v[6:7], s32 offset:1100 ; 8-byte Folded Spill
	s_wait_xcnt 0x0
	ds_load_b128 v[6:9], v17 offset:176
	scratch_store_b64 off, v[14:15], s32 offset:1148 ; 8-byte Folded Spill
	s_wait_xcnt 0x0
	v_and_b32_e32 v15, 0xffff0000, v1
	v_lshlrev_b32_e32 v14, 16, v1
	scratch_store_b64 off, v[10:11], s32 offset:1116 ; 8-byte Folded Spill
	s_wait_xcnt 0x0
	v_and_b32_e32 v11, 0xffff0000, v19
	v_lshlrev_b32_e32 v10, 16, v19
	v_and_b32_e32 v1, 0xffff0000, v2
	s_clause 0x1
	scratch_store_b64 off, v[10:11], s32 offset:1124
	scratch_store_b64 off, v[0:1], s32 offset:1164
	s_wait_xcnt 0x1
	v_and_b32_e32 v11, 0xffff0000, v20
	s_wait_xcnt 0x0
	v_dual_lshlrev_b32 v10, 16, v20 :: v_dual_lshlrev_b32 v0, 16, v3
	v_and_b32_e32 v1, 0xffff0000, v3
	ds_load_b128 v[18:21], v17 offset:208
	scratch_store_b64 off, v[10:11], s32 offset:1132 ; 8-byte Folded Spill
	s_wait_xcnt 0x0
	ds_load_b128 v[10:13], v17 offset:192
	scratch_store_b64 off, v[0:1], s32 offset:1172 ; 8-byte Folded Spill
	s_wait_dscnt 0x2
	s_wait_xcnt 0x0
	v_and_b32_e32 v1, 0xffff0000, v6
	v_lshlrev_b32_e32 v0, 16, v6
	s_clause 0x1
	scratch_store_b64 off, v[14:15], s32 offset:1156
	scratch_store_b64 off, v[0:1], s32 offset:1180
	s_wait_xcnt 0x0
	v_and_b32_e32 v1, 0xffff0000, v7
	v_lshlrev_b32_e32 v0, 16, v7
	scratch_store_b64 off, v[0:1], s32 offset:1188 ; 8-byte Folded Spill
	s_wait_xcnt 0x0
	v_and_b32_e32 v1, 0xffff0000, v8
	v_lshlrev_b32_e32 v0, 16, v8
	scratch_store_b64 off, v[0:1], s32 offset:1196 ; 8-byte Folded Spill
	;; [unrolled: 4-line block ×3, first 2 shown]
	s_wait_dscnt 0x0
	s_wait_xcnt 0x0
	v_and_b32_e32 v1, 0xffff0000, v10
	v_lshlrev_b32_e32 v0, 16, v10
	scratch_store_b64 off, v[0:1], s32 offset:1212 ; 8-byte Folded Spill
	s_wait_xcnt 0x0
	v_and_b32_e32 v1, 0xffff0000, v11
	v_lshlrev_b32_e32 v0, 16, v11
	scratch_store_b64 off, v[0:1], s32 offset:1220 ; 8-byte Folded Spill
	;; [unrolled: 4-line block ×8, first 2 shown]
	s_wait_xcnt 0x0
	ds_load_b128 v[0:3], v17 offset:224
	ds_load_b128 v[12:15], v17 offset:240
	s_wait_dscnt 0x1
	v_and_b32_e32 v7, 0xffff0000, v0
	v_dual_lshlrev_b32 v6, 16, v0 :: v_dual_lshlrev_b32 v0, 16, v2
	scratch_store_b64 off, v[6:7], s32 offset:1276 ; 8-byte Folded Spill
	s_wait_xcnt 0x0
	v_and_b32_e32 v7, 0xffff0000, v1
	v_lshlrev_b32_e32 v6, 16, v1
	v_and_b32_e32 v1, 0xffff0000, v2
	s_clause 0x1
	scratch_store_b64 off, v[6:7], s32 offset:1284
	scratch_store_b64 off, v[0:1], s32 offset:1292
	s_wait_xcnt 0x0
	v_and_b32_e32 v1, 0xffff0000, v3
	v_lshlrev_b32_e32 v0, 16, v3
	scratch_store_b64 off, v[0:1], s32 offset:1300 ; 8-byte Folded Spill
	s_wait_dscnt 0x0
	s_wait_xcnt 0x0
	v_and_b32_e32 v1, 0xffff0000, v12
	v_lshlrev_b32_e32 v0, 16, v12
	scratch_store_b64 off, v[0:1], s32 offset:1308 ; 8-byte Folded Spill
	s_wait_xcnt 0x0
	v_and_b32_e32 v1, 0xffff0000, v13
	v_lshlrev_b32_e32 v0, 16, v13
	scratch_store_b64 off, v[0:1], s32 offset:1316 ; 8-byte Folded Spill
	s_wait_xcnt 0x0
	v_and_b32_e32 v1, 0xffff0000, v14
	v_lshlrev_b32_e32 v0, 16, v14
	scratch_store_b64 off, v[0:1], s32 offset:1324 ; 8-byte Folded Spill
	s_wait_xcnt 0x0
	v_and_b32_e32 v1, 0xffff0000, v15
	v_lshlrev_b32_e32 v0, 16, v15
	scratch_store_b64 off, v[0:1], s32 offset:1332 ; 8-byte Folded Spill
	s_wait_xcnt 0x0
	ds_load_b128 v[0:3], v17 offset:256
	ds_load_b128 v[6:9], v17 offset:272
	s_wait_dscnt 0x1
	v_and_b32_e32 v11, 0xffff0000, v0
	v_dual_lshlrev_b32 v10, 16, v0 :: v_dual_lshlrev_b32 v0, 16, v2
	scratch_store_b64 off, v[10:11], s32 offset:1340 ; 8-byte Folded Spill
	s_wait_xcnt 0x0
	v_and_b32_e32 v11, 0xffff0000, v1
	v_lshlrev_b32_e32 v10, 16, v1
	v_and_b32_e32 v1, 0xffff0000, v2
	s_clause 0x1
	scratch_store_b64 off, v[10:11], s32 offset:1348
	scratch_store_b64 off, v[0:1], s32 offset:1356
	s_wait_xcnt 0x0
	v_and_b32_e32 v1, 0xffff0000, v3
	v_lshlrev_b32_e32 v0, 16, v3
	scratch_store_b64 off, v[0:1], s32 offset:1364 ; 8-byte Folded Spill
	s_wait_dscnt 0x0
	s_wait_xcnt 0x0
	v_and_b32_e32 v1, 0xffff0000, v6
	v_lshlrev_b32_e32 v0, 16, v6
	scratch_store_b64 off, v[0:1], s32 offset:1372 ; 8-byte Folded Spill
	s_wait_xcnt 0x0
	v_and_b32_e32 v1, 0xffff0000, v7
	v_lshlrev_b32_e32 v0, 16, v7
	scratch_store_b64 off, v[0:1], s32 offset:1380 ; 8-byte Folded Spill
	s_wait_xcnt 0x0
	v_and_b32_e32 v1, 0xffff0000, v8
	v_lshlrev_b32_e32 v0, 16, v8
	scratch_store_b64 off, v[0:1], s32 offset:1388 ; 8-byte Folded Spill
	s_wait_xcnt 0x0
	v_and_b32_e32 v1, 0xffff0000, v9
	v_lshlrev_b32_e32 v0, 16, v9
	scratch_store_b64 off, v[0:1], s32 offset:1396 ; 8-byte Folded Spill
	;; [unrolled: 35-line block ×4, first 2 shown]
	s_wait_xcnt 0x0
	ds_load_b128 v[0:3], v17 offset:352
	ds_load_b128 v[6:9], v17 offset:368
	s_load_b32 s1, s[2:3], 0x0
	s_wait_xcnt 0x0
	s_mov_b64 s[2:3], 0xffffffffffffff
	s_clause 0x1
	scratch_store_b32 off, v16, s32 offset:1664
	scratch_load_b32 v89, off, s32 offset:1612
	s_wait_dscnt 0x1
	v_and_b32_e32 v11, 0xffff0000, v0
	v_dual_lshlrev_b32 v10, 16, v0 :: v_dual_lshlrev_b32 v0, 16, v2
	scratch_store_b64 off, v[10:11], s32 offset:1532 ; 8-byte Folded Spill
	s_wait_xcnt 0x0
	v_and_b32_e32 v11, 0xffff0000, v1
	v_lshlrev_b32_e32 v10, 16, v1
	v_and_b32_e32 v1, 0xffff0000, v2
	s_clause 0x1
	scratch_store_b64 off, v[10:11], s32 offset:1540
	scratch_store_b64 off, v[0:1], s32 offset:1548
	s_wait_xcnt 0x0
	v_and_b32_e32 v1, 0xffff0000, v3
	v_dual_mov_b32 v3, v17 :: v_dual_lshlrev_b32 v0, 16, v3
	v_mov_b32_e32 v10, 0xff7fffff
	scratch_store_b64 off, v[0:1], s32 offset:1556 ; 8-byte Folded Spill
	s_wait_dscnt 0x0
	s_wait_xcnt 0x0
	v_and_b32_e32 v1, 0xffff0000, v6
	v_lshlrev_b32_e32 v0, 16, v6
	scratch_store_b64 off, v[0:1], s32 offset:1564 ; 8-byte Folded Spill
	s_wait_xcnt 0x0
	v_and_b32_e32 v1, 0xffff0000, v7
	v_lshlrev_b32_e32 v0, 16, v7
	scratch_store_b64 off, v[0:1], s32 offset:1572 ; 8-byte Folded Spill
	;; [unrolled: 4-line block ×3, first 2 shown]
	s_wait_xcnt 0x0
	v_and_b32_e32 v1, 0xffff0000, v9
	v_lshlrev_b32_e32 v0, 16, v9
	s_clause 0x1
	scratch_store_b64 off, v[0:1], s32 offset:1588
	scratch_load_b64 v[0:1], off, s32 offset:1616
	s_wait_loadcnt 0x0
	v_add_nc_u64_e32 v[0:1], v[4:5], v[0:1]
	scratch_load_b32 v4, off, s32 offset:1608 ; 4-byte Folded Reload
	s_wait_loadcnt 0x0
	v_lshlrev_b32_e32 v2, 4, v4
	v_lshl_or_b32 v79, v89, 5, v4
	s_delay_alu instid0(VALU_DEP_2)
	v_add_nc_u64_e32 v[0:1], v[0:1], v[2:3]
	s_clause 0x2
	scratch_load_b64 v[2:3], off, s32 offset:1632
	scratch_store_b64 off, v[0:1], s32 offset:1596
	scratch_load_b32 v0, off, s32 offset:1604
	s_wait_loadcnt 0x0
	v_dual_mov_b32 v1, v17 :: v_dual_lshrrev_b32 v0, 3, v0
	s_delay_alu instid0(VALU_DEP_1) | instskip(NEXT) | instid1(VALU_DEP_1)
	v_and_b32_e32 v0, 0x7c, v0
	v_lshl_add_u64 v[0:1], v[2:3], 2, v[0:1]
	scratch_load_b32 v2, off, s32 offset:788 ; 4-byte Folded Reload
	s_wait_loadcnt 0x0
	v_cmp_neq_f32_e32 vcc_lo, 0, v2
	scratch_load_b64 v[2:3], off, s32 offset:1624 ; 8-byte Folded Reload
	s_wait_loadcnt 0x0
	v_add_nc_u64_e32 v[2:3], v[2:3], v[0:1]
	v_lshl_or_b32 v0, v89, 7, v16
	s_wait_kmcnt 0x0
	s_delay_alu instid0(VALU_DEP_1)
	v_add_nc_u32_e32 v78, s1, v0
	s_branch .LBB370_10
.LBB370_6:                              ;   in Loop: Header=BB370_10 Depth=1
	s_or_b32 exec_lo, exec_lo, s18
	v_lshlrev_b32_e32 v16, 24, v50
	s_delay_alu instid0(VALU_DEP_2) | instskip(SKIP_1) | instid1(VALU_DEP_3)
	v_lshlrev_b32_e32 v10, 20, v10
	v_lshl_add_u32 v11, v11, 23, 0x3c000000
	v_and_b32_e32 v16, 0x80000000, v16
	s_delay_alu instid0(VALU_DEP_1)
	v_or3_b32 v33, v10, v16, v11
.LBB370_7:                              ;   in Loop: Header=BB370_10 Depth=1
	s_or_b32 exec_lo, exec_lo, s17
.LBB370_8:                              ;   in Loop: Header=BB370_10 Depth=1
	s_delay_alu instid0(SALU_CYCLE_1)
	s_or_b32 exec_lo, exec_lo, s16
	s_wait_loadcnt 0x2
	scratch_load_b32 v78, off, s32 offset:512 ; 4-byte Folded Reload
	s_wait_loadcnt 0x2
	scratch_load_b32 v79, off, s32 offset:508 ; 4-byte Folded Reload
	;; [unrolled: 2-line block ×3, first 2 shown]
.LBB370_9:                              ;   in Loop: Header=BB370_10 Depth=1
	s_wait_xcnt 0x0
	s_or_b32 exec_lo, exec_lo, s11
	v_pk_mul_f32 v[0:1], v[74:75], v[0:1] op_sel_hi:[0,1]
	v_pk_mul_f32 v[2:3], v[74:75], v[2:3] op_sel_hi:[0,1]
	;; [unrolled: 1-line block ×5, first 2 shown]
	scratch_store_b64 off, v[0:1], s32 offset:528 ; 8-byte Folded Spill
	s_wait_xcnt 0x0
	v_pk_mul_f32 v[0:1], v[74:75], v[110:111] op_sel_hi:[0,1]
	v_fma_mixlo_bf16 v111, v74, v47, 0
	v_pk_mul_f32 v[48:49], v[74:75], v[48:49] op_sel_hi:[0,1]
	v_pk_mul_f32 v[6:7], v[74:75], v[6:7] op_sel_hi:[0,1]
	;; [unrolled: 1-line block ×3, first 2 shown]
	scratch_store_b64 off, v[0:1], s32 offset:560 ; 8-byte Folded Spill
	s_wait_xcnt 0x0
	v_pk_mul_f32 v[0:1], v[74:75], v[108:109] op_sel_hi:[0,1]
	v_pk_mul_f32 v[32:33], v[74:75], v[32:33] op_sel_hi:[0,1]
	v_cvt_pk_bf16_f32 v6, v6, v7
	s_wait_loadcnt 0x1
	v_cmp_lt_i32_e64 s1, v79, v88
	s_wait_loadcnt 0x0
	v_add_nc_u32_e32 v89, 4, v89
	scratch_store_b64 off, v[0:1], s32 offset:616 ; 8-byte Folded Spill
	s_wait_xcnt 0x0
	v_pk_mul_f32 v[0:1], v[74:75], v[106:107] op_sel_hi:[0,1]
	v_pk_mul_f32 v[106:107], v[74:75], v[30:31] op_sel_hi:[0,1]
	v_and_b32_e32 v7, 0xffff0000, v6
	v_lshlrev_b32_e32 v6, 16, v6
	scratch_store_b64 off, v[0:1], s32 offset:692 ; 8-byte Folded Spill
	s_wait_xcnt 0x0
	v_pk_mul_f32 v[0:1], v[74:75], v[120:121] op_sel_hi:[0,1]
	v_fma_mixlo_bf16 v120, v74, v72, 0
	scratch_store_b64 off, v[0:1], s32 offset:536 ; 8-byte Folded Spill
	s_wait_xcnt 0x0
	v_pk_mul_f32 v[0:1], v[74:75], v[92:93] op_sel_hi:[0,1]
	v_fma_mixlo_bf16 v92, v74, v60, 0
	scratch_store_b64 off, v[0:1], s32 offset:576 ; 8-byte Folded Spill
	s_wait_xcnt 0x0
	v_pk_mul_f32 v[0:1], v[74:75], v[90:91] op_sel_hi:[0,1]
	scratch_store_b64 off, v[0:1], s32 offset:640 ; 8-byte Folded Spill
	s_wait_xcnt 0x0
	v_pk_mul_f32 v[0:1], v[74:75], v[58:59] op_sel_hi:[0,1]
	v_fma_mixlo_bf16 v59, v74, v56, 0
	v_fma_mixlo_bf16 v58, v74, v61, 0
	scratch_store_b64 off, v[0:1], s32 offset:716 ; 8-byte Folded Spill
	s_wait_xcnt 0x0
	v_pk_mul_f32 v[0:1], v[74:75], v[94:95] op_sel_hi:[0,1]
	v_pk_mul_f32 v[94:95], v[74:75], v[100:101] op_sel_hi:[0,1]
	;; [unrolled: 1-line block ×3, first 2 shown]
	scratch_store_b64 off, v[0:1], s32 offset:552 ; 8-byte Folded Spill
	s_wait_xcnt 0x0
	v_pk_mul_f32 v[0:1], v[74:75], v[116:117] op_sel_hi:[0,1]
	v_pk_mul_f32 v[116:117], v[74:75], v[86:87] op_sel_hi:[0,1]
	;; [unrolled: 1-line block ×3, first 2 shown]
	scratch_store_b64 off, v[0:1], s32 offset:600 ; 8-byte Folded Spill
	s_wait_xcnt 0x0
	v_pk_mul_f32 v[0:1], v[74:75], v[8:9] op_sel_hi:[0,1]
	scratch_store_b64 off, v[0:1], s32 offset:676 ; 8-byte Folded Spill
	s_wait_xcnt 0x0
	v_pk_mul_f32 v[0:1], v[74:75], v[4:5] op_sel_hi:[0,1]
	;; [unrolled: 3-line block ×5, first 2 shown]
	v_pk_mul_f32 v[34:35], v[74:75], v[38:39] op_sel_hi:[0,1]
	scratch_store_b64 off, v[0:1], s32 offset:700 ; 8-byte Folded Spill
	s_wait_xcnt 0x0
	v_pk_mul_f32 v[0:1], v[74:75], v[44:45] op_sel_hi:[0,1]
	v_pk_mul_f32 v[44:45], v[74:75], v[98:99] op_sel_hi:[0,1]
	scratch_store_b64 off, v[0:1], s32 offset:756 ; 8-byte Folded Spill
	s_wait_xcnt 0x0
	v_pk_mul_f32 v[0:1], v[74:75], v[62:63] op_sel_hi:[0,1]
	scratch_store_b64 off, v[0:1], s32 offset:584 ; 8-byte Folded Spill
	s_wait_xcnt 0x0
	;; [unrolled: 3-line block ×3, first 2 shown]
	v_pk_mul_f32 v[0:1], v[74:75], v[118:119] op_sel_hi:[0,1]
	v_pk_mul_f32 v[118:119], v[74:75], v[64:65] op_sel_hi:[0,1]
	scratch_store_b64 off, v[0:1], s32 offset:724 ; 8-byte Folded Spill
	s_wait_xcnt 0x0
	v_pk_mul_f32 v[0:1], v[74:75], v[26:27] op_sel_hi:[0,1]
	s_clause 0x1
	scratch_load_b64 v[26:27], off, s32 offset:392 th:TH_LOAD_LU
	scratch_store_b64 off, v[0:1], s32 offset:772
	s_wait_xcnt 0x0
	v_pk_mul_f32 v[0:1], v[74:75], v[76:77] op_sel_hi:[0,1]
	v_fma_mixlo_bf16 v77, v74, v75, 0
	scratch_store_b64 off, v[0:1], s32 offset:608 ; 8-byte Folded Spill
	s_wait_xcnt 0x0
	v_pk_mul_f32 v[0:1], v[74:75], v[20:21] op_sel_hi:[0,1]
	scratch_store_b64 off, v[0:1], s32 offset:684 ; 8-byte Folded Spill
	s_wait_xcnt 0x0
	v_pk_mul_f32 v[0:1], v[74:75], v[14:15] op_sel_hi:[0,1]
	;; [unrolled: 3-line block ×4, first 2 shown]
	v_pk_mul_f32 v[40:41], v[74:75], v[80:81] op_sel_hi:[0,1]
	v_pk_mul_f32 v[80:81], v[74:75], v[52:53] op_sel_hi:[0,1]
	scratch_store_b64 off, v[0:1], s32 offset:632 ; 8-byte Folded Spill
	s_wait_xcnt 0x0
	v_pk_mul_f32 v[0:1], v[74:75], v[18:19] op_sel_hi:[0,1]
	scratch_store_b64 off, v[0:1], s32 offset:708 ; 8-byte Folded Spill
	s_wait_xcnt 0x0
	v_pk_mul_f32 v[0:1], v[74:75], v[112:113] op_sel_hi:[0,1]
	v_pk_mul_f32 v[112:113], v[74:75], v[36:37] op_sel_hi:[0,1]
	scratch_store_b64 off, v[0:1], s32 offset:764 ; 8-byte Folded Spill
	s_wait_xcnt 0x0
	v_pk_mul_f32 v[0:1], v[74:75], v[114:115] op_sel_hi:[0,1]
	scratch_store_b64 off, v[0:1], s32 offset:656 ; 8-byte Folded Spill
	s_wait_xcnt 0x0
	v_fma_mixlo_bf16 v0, v74, v42, 0
	scratch_store_b32 off, v0, s32 offset:732 ; 4-byte Folded Spill
	s_wait_xcnt 0x0
	v_fma_mixlo_bf16 v0, v74, v46, 0
	s_clause 0x1
	scratch_store_b32 off, v0, s32 offset:736
	scratch_load_b32 v0, off, s32 offset:488 th:TH_LOAD_LU
	s_wait_loadcnt 0x0
	v_fma_mixlo_bf16 v91, v74, v0, 0
	v_fma_mixlo_bf16 v0, v74, v73, 0
	v_pk_mul_f32 v[72:73], v[74:75], v[26:27] op_sel_hi:[0,1]
	s_clause 0x1
	scratch_load_b64 v[26:27], off, s32 offset:208 th:TH_LOAD_LU
	scratch_store_b32 off, v0, s32 offset:488
	s_wait_xcnt 0x0
	v_fma_mixlo_bf16 v0, v74, v43, 0
	v_pk_mul_f32 v[42:43], v[74:75], v[96:97] op_sel_hi:[0,1]
	v_cvt_pk_bf16_f32 v72, v72, v73
	s_clause 0x1
	scratch_store_b32 off, v0, s32 offset:672
	scratch_load_b32 v0, off, s32 offset:484 th:TH_LOAD_LU
	v_and_b32_e32 v73, 0xffff0000, v72
	v_lshlrev_b32_e32 v72, 16, v72
	s_wait_loadcnt 0x1
	v_pk_mul_f32 v[26:27], v[74:75], v[26:27] op_sel_hi:[0,1]
	s_wait_loadcnt 0x0
	v_fma_mixlo_bf16 v0, v74, v0, 0
	s_clause 0x1
	scratch_store_b32 off, v0, s32 offset:484
	scratch_load_b32 v0, off, s32 offset:468 th:TH_LOAD_LU
	s_wait_loadcnt 0x0
	v_fma_mixlo_bf16 v0, v74, v0, 0
	s_clause 0x1
	scratch_store_b32 off, v0, s32 offset:468
	scratch_load_b32 v0, off, s32 offset:472 th:TH_LOAD_LU
	s_wait_loadcnt 0x0
	v_fma_mixlo_bf16 v110, v74, v0, 0
	scratch_load_b32 v0, off, s32 offset:456 th:TH_LOAD_LU ; 4-byte Folded Reload
	s_wait_loadcnt 0x0
	v_fma_mixlo_bf16 v108, v74, v0, 0
	scratch_load_b32 v0, off, s32 offset:460 th:TH_LOAD_LU ; 4-byte Folded Reload
	s_wait_loadcnt 0x0
	v_fma_mixlo_bf16 v90, v74, v0, 0
	scratch_load_b32 v0, off, s32 offset:452 th:TH_LOAD_LU ; 4-byte Folded Reload
	s_wait_loadcnt 0x0
	v_fma_mixlo_bf16 v46, v74, v0, 0
	scratch_load_b32 v0, off, s32 offset:480 th:TH_LOAD_LU ; 4-byte Folded Reload
	s_wait_loadcnt 0x0
	v_fma_mixlo_bf16 v0, v74, v0, 0
	scratch_store_b64 off, v[2:3], s32 offset:544 ; 8-byte Folded Spill
	s_wait_xcnt 0x0
	v_pk_mul_f32 v[2:3], v[74:75], v[124:125] op_sel_hi:[0,1]
	s_clause 0x1
	scratch_store_b32 off, v0, s32 offset:452
	scratch_load_b32 v0, off, s32 offset:500 th:TH_LOAD_LU
	s_wait_loadcnt 0x0
	v_fma_mixlo_bf16 v0, v74, v0, 0
	scratch_store_b64 off, v[2:3], s32 offset:592 ; 8-byte Folded Spill
	s_wait_xcnt 0x0
	v_pk_mul_f32 v[2:3], v[74:75], v[122:123] op_sel_hi:[0,1]
	v_fma_mixlo_bf16 v122, v74, v57, 0
	scratch_store_b32 off, v0, s32 offset:456 ; 4-byte Folded Spill
	s_wait_xcnt 0x0
	v_pk_mul_f32 v[0:1], v[74:75], v[24:25] op_sel_hi:[0,1]
	scratch_store_b64 off, v[0:1], s32 offset:472 ; 8-byte Folded Spill
	s_wait_xcnt 0x0
	v_pk_mul_f32 v[0:1], v[74:75], v[102:103] op_sel_hi:[0,1]
	scratch_store_b64 off, v[2:3], s32 offset:664 ; 8-byte Folded Spill
	v_pk_mul_f32 v[102:103], v[74:75], v[82:83] op_sel_hi:[0,1]
	s_clause 0x1
	scratch_store_b64 off, v[0:1], s32 offset:460
	scratch_load_b64 v[0:1], off, s32 offset:400 th:TH_LOAD_LU
	s_wait_loadcnt 0x0
	v_pk_mul_f32 v[70:71], v[74:75], v[0:1] op_sel_hi:[0,1]
	scratch_load_b64 v[0:1], off, s32 offset:384 th:TH_LOAD_LU ; 8-byte Folded Reload
	s_wait_loadcnt 0x0
	v_pk_mul_f32 v[114:115], v[74:75], v[0:1] op_sel_hi:[0,1]
	scratch_load_b64 v[0:1], off, s32 offset:376 th:TH_LOAD_LU ; 8-byte Folded Reload
	;; [unrolled: 3-line block ×14, first 2 shown]
	v_cvt_pk_bf16_f32 v8, v8, v9
	s_delay_alu instid0(VALU_DEP_1)
	v_and_b32_e32 v9, 0xffff0000, v8
	v_lshlrev_b32_e32 v8, 16, v8
	s_wait_loadcnt 0x0
	v_pk_mul_f32 v[54:55], v[74:75], v[0:1] op_sel_hi:[0,1]
	scratch_load_b64 v[0:1], off, s32 offset:264 th:TH_LOAD_LU ; 8-byte Folded Reload
	s_wait_loadcnt 0x0
	v_pk_mul_f32 v[36:37], v[74:75], v[0:1] op_sel_hi:[0,1]
	scratch_load_b64 v[0:1], off, s32 offset:256 th:TH_LOAD_LU ; 8-byte Folded Reload
	;; [unrolled: 3-line block ×4, first 2 shown]
	v_cvt_pk_bf16_f32 v2, v2, v3
	s_delay_alu instid0(VALU_DEP_1)
	v_and_b32_e32 v3, 0xffff0000, v2
	v_lshlrev_b32_e32 v2, 16, v2
	s_wait_loadcnt 0x0
	v_pk_mul_f32 v[96:97], v[74:75], v[0:1] op_sel_hi:[0,1]
	scratch_load_b32 v0, off, s32 offset:448 th:TH_LOAD_LU ; 4-byte Folded Reload
	s_wait_loadcnt 0x0
	v_fma_mixlo_bf16 v105, v74, v0, 0
	scratch_load_b32 v0, off, s32 offset:436 th:TH_LOAD_LU ; 4-byte Folded Reload
	s_wait_loadcnt 0x0
	v_fma_mixlo_bf16 v123, v74, v0, 0
	;; [unrolled: 3-line block ×12, first 2 shown]
	scratch_load_b64 v[0:1], off, s32 offset:232 th:TH_LOAD_LU ; 8-byte Folded Reload
	s_wait_loadcnt 0x0
	v_pk_mul_f32 v[18:19], v[74:75], v[0:1] op_sel_hi:[0,1]
	scratch_load_b64 v[0:1], off, s32 offset:224 th:TH_LOAD_LU ; 8-byte Folded Reload
	s_wait_loadcnt 0x0
	v_pk_mul_f32 v[4:5], v[74:75], v[0:1] op_sel_hi:[0,1]
	scratch_load_b64 v[0:1], off, s32 offset:216 th:TH_LOAD_LU ; 8-byte Folded Reload
	v_cvt_pk_bf16_f32 v4, v4, v5
	s_wait_loadcnt 0x0
	v_pk_mul_f32 v[124:125], v[74:75], v[0:1] op_sel_hi:[0,1]
	scratch_load_b64 v[0:1], off, s32 offset:240 th:TH_LOAD_LU ; 8-byte Folded Reload
	s_wait_loadcnt 0x0
	v_pk_mul_f32 v[30:31], v[74:75], v[0:1] op_sel_hi:[0,1]
	scratch_load_b64 v[0:1], off, s32 offset:200 th:TH_LOAD_LU ; 8-byte Folded Reload
	s_wait_loadcnt 0x0
	v_pk_mul_f32 v[12:13], v[74:75], v[0:1] op_sel_hi:[0,1]
	scratch_load_b64 v[0:1], off, s32 offset:192 th:TH_LOAD_LU ; 8-byte Folded Reload
	s_wait_loadcnt 0x0
	v_pk_mul_f32 v[0:1], v[74:75], v[0:1] op_sel_hi:[0,1]
	v_cvt_pk_bf16_f32 v74, v124, v125
	scratch_load_b64 v[124:125], off, s32 offset:836 ; 8-byte Folded Reload
	v_and_b32_e32 v75, 0xffff0000, v74
	v_lshlrev_b32_e32 v74, 16, v74
	s_wait_loadcnt 0x0
	s_delay_alu instid0(VALU_DEP_1)
	v_pk_mul_f32 v[124:125], v[124:125], v[74:75]
	scratch_load_b64 v[74:75], off, s32 offset:804 ; 8-byte Folded Reload
	s_wait_loadcnt 0x0
	v_pk_fma_f32 v[72:73], v[74:75], v[72:73], v[124:125]
	scratch_load_b64 v[124:125], off, s32 offset:868 ; 8-byte Folded Reload
	v_dual_lshlrev_b32 v74, 16, v111 :: v_dual_lshlrev_b32 v75, 16, v58
	s_wait_loadcnt 0x0
	s_delay_alu instid0(VALU_DEP_1) | instskip(SKIP_3) | instid1(VALU_DEP_1)
	v_pk_fma_f32 v[72:73], v[74:75], v[124:125], v[72:73]
	scratch_load_b64 v[124:125], off, s32 offset:900 ; 8-byte Folded Reload
	v_dual_lshlrev_b32 v75, 16, v60 :: v_dual_lshlrev_b32 v74, 16, v109
	s_wait_loadcnt 0x0
	v_pk_fma_f32 v[72:73], v[124:125], v[74:75], v[72:73]
	scratch_load_b64 v[74:75], off, s32 offset:940 ; 8-byte Folded Reload
	s_wait_loadcnt 0x0
	v_pk_fma_f32 v[2:3], v[74:75], v[2:3], v[72:73]
	scratch_load_b64 v[72:73], off, s32 offset:988 ; 8-byte Folded Reload
	s_wait_loadcnt 0x0
	v_pk_fma_f32 v[2:3], v[72:73], v[8:9], v[2:3]
	v_cvt_pk_bf16_f32 v8, v10, v11
	scratch_load_b64 v[10:11], off, s32 offset:1020 ; 8-byte Folded Reload
	v_and_b32_e32 v9, 0xffff0000, v8
	v_lshlrev_b32_e32 v8, 16, v8
	s_wait_loadcnt 0x0
	s_delay_alu instid0(VALU_DEP_1) | instskip(SKIP_2) | instid1(VALU_DEP_1)
	v_pk_fma_f32 v[2:3], v[10:11], v[8:9], v[2:3]
	scratch_load_b64 v[10:11], off, s32 offset:1052 ; 8-byte Folded Reload
	v_cvt_pk_bf16_f32 v8, v20, v21
	v_and_b32_e32 v9, 0xffff0000, v8
	v_lshlrev_b32_e32 v8, 16, v8
	s_wait_loadcnt 0x0
	s_delay_alu instid0(VALU_DEP_1) | instskip(SKIP_2) | instid1(VALU_DEP_1)
	v_pk_fma_f32 v[2:3], v[10:11], v[8:9], v[2:3]
	scratch_load_b64 v[10:11], off, s32 offset:1084 ; 8-byte Folded Reload
	v_cvt_pk_bf16_f32 v8, v24, v25
	;; [unrolled: 7-line block ×5, first 2 shown]
	v_and_b32_e32 v9, 0xffff0000, v8
	v_lshlrev_b32_e32 v8, 16, v8
	s_wait_loadcnt 0x0
	s_delay_alu instid0(VALU_DEP_1)
	v_pk_fma_f32 v[2:3], v[10:11], v[8:9], v[2:3]
	v_cvt_pk_bf16_f32 v8, v0, v1
	v_and_b32_e32 v1, 0xffff0000, v4
	v_lshlrev_b32_e32 v0, 16, v4
	scratch_load_b64 v[10:11], off, s32 offset:852 ; 8-byte Folded Reload
	v_and_b32_e32 v5, 0xffff0000, v8
	v_lshlrev_b32_e32 v4, 16, v8
	scratch_load_b64 v[8:9], off, s32 offset:844 ; 8-byte Folded Reload
	s_wait_loadcnt 0x0
	v_pk_mul_f32 v[0:1], v[8:9], v[0:1]
	scratch_load_b64 v[8:9], off, s32 offset:812 ; 8-byte Folded Reload
	s_wait_loadcnt 0x0
	v_pk_fma_f32 v[0:1], v[8:9], v[4:5], v[0:1]
	scratch_load_b64 v[8:9], off, s32 offset:876 ; 8-byte Folded Reload
	v_dual_lshlrev_b32 v4, 16, v59 :: v_dual_lshlrev_b32 v5, 16, v62
	s_wait_loadcnt 0x0
	s_delay_alu instid0(VALU_DEP_1) | instskip(SKIP_3) | instid1(VALU_DEP_1)
	v_pk_fma_f32 v[0:1], v[4:5], v[8:9], v[0:1]
	scratch_load_b64 v[8:9], off, s32 offset:908 ; 8-byte Folded Reload
	v_dual_lshlrev_b32 v5, 16, v76 :: v_dual_lshlrev_b32 v4, 16, v63
	s_wait_loadcnt 0x0
	v_pk_fma_f32 v[0:1], v[8:9], v[4:5], v[0:1]
	scratch_load_b64 v[8:9], off, s32 offset:956 ; 8-byte Folded Reload
	v_cvt_pk_bf16_f32 v4, v14, v15
	s_delay_alu instid0(VALU_DEP_1) | instskip(SKIP_2) | instid1(VALU_DEP_1)
	v_and_b32_e32 v5, 0xffff0000, v4
	v_lshlrev_b32_e32 v4, 16, v4
	s_wait_loadcnt 0x0
	v_pk_fma_f32 v[0:1], v[8:9], v[4:5], v[0:1]
	scratch_load_b64 v[8:9], off, s32 offset:996 ; 8-byte Folded Reload
	v_cvt_pk_bf16_f32 v4, v22, v23
	s_delay_alu instid0(VALU_DEP_1) | instskip(SKIP_2) | instid1(VALU_DEP_1)
	v_and_b32_e32 v5, 0xffff0000, v4
	v_lshlrev_b32_e32 v4, 16, v4
	;; [unrolled: 7-line block ×8, first 2 shown]
	s_wait_loadcnt 0x0
	v_pk_fma_f32 v[0:1], v[8:9], v[4:5], v[0:1]
	v_cvt_pk_bf16_f32 v4, v18, v19
	v_cvt_pk_bf16_f32 v8, v12, v13
	scratch_load_b64 v[12:13], off, s32 offset:860 ; 8-byte Folded Reload
	v_and_b32_e32 v5, 0xffff0000, v4
	v_lshlrev_b32_e32 v4, 16, v4
	v_and_b32_e32 v9, 0xffff0000, v8
	v_lshlrev_b32_e32 v8, 16, v8
	s_delay_alu instid0(VALU_DEP_3)
	v_pk_mul_f32 v[4:5], v[10:11], v[4:5]
	scratch_load_b64 v[10:11], off, s32 offset:820 ; 8-byte Folded Reload
	s_wait_loadcnt 0x0
	v_pk_fma_f32 v[4:5], v[10:11], v[8:9], v[4:5]
	scratch_load_b64 v[10:11], off, s32 offset:884 ; 8-byte Folded Reload
	v_lshlrev_b32_e32 v8, 16, v77
	v_lshlrev_b32_e32 v9, 16, v57
	s_wait_loadcnt 0x0
	s_delay_alu instid0(VALU_DEP_1) | instskip(SKIP_3) | instid1(VALU_DEP_1)
	v_pk_fma_f32 v[4:5], v[8:9], v[10:11], v[4:5]
	scratch_load_b64 v[10:11], off, s32 offset:916 ; 8-byte Folded Reload
	v_dual_lshlrev_b32 v9, 16, v105 :: v_dual_lshlrev_b32 v8, 16, v123
	s_wait_loadcnt 0x0
	v_pk_fma_f32 v[4:5], v[10:11], v[8:9], v[4:5]
	scratch_load_b64 v[10:11], off, s32 offset:972 ; 8-byte Folded Reload
	v_cvt_pk_bf16_f32 v8, v36, v37
	s_delay_alu instid0(VALU_DEP_1) | instskip(SKIP_2) | instid1(VALU_DEP_1)
	v_and_b32_e32 v9, 0xffff0000, v8
	v_lshlrev_b32_e32 v8, 16, v8
	s_wait_loadcnt 0x0
	v_pk_fma_f32 v[4:5], v[10:11], v[8:9], v[4:5]
	scratch_load_b64 v[10:11], off, s32 offset:1004 ; 8-byte Folded Reload
	v_cvt_pk_bf16_f32 v8, v52, v53
	s_delay_alu instid0(VALU_DEP_1) | instskip(SKIP_2) | instid1(VALU_DEP_1)
	v_and_b32_e32 v9, 0xffff0000, v8
	v_lshlrev_b32_e32 v8, 16, v8
	;; [unrolled: 7-line block ×8, first 2 shown]
	s_wait_loadcnt 0x0
	v_pk_fma_f32 v[8:9], v[10:11], v[8:9], v[4:5]
	v_cvt_pk_bf16_f32 v4, v30, v31
	v_cvt_pk_bf16_f32 v10, v26, v27
	s_delay_alu instid0(VALU_DEP_2) | instskip(SKIP_1) | instid1(VALU_DEP_3)
	v_and_b32_e32 v5, 0xffff0000, v4
	v_lshlrev_b32_e32 v4, 16, v4
	v_and_b32_e32 v11, 0xffff0000, v10
	v_lshlrev_b32_e32 v10, 16, v10
	s_delay_alu instid0(VALU_DEP_3)
	v_pk_mul_f32 v[4:5], v[12:13], v[4:5]
	scratch_load_b64 v[12:13], off, s32 offset:828 ; 8-byte Folded Reload
	s_wait_loadcnt 0x0
	v_pk_fma_f32 v[4:5], v[12:13], v[10:11], v[4:5]
	scratch_load_b64 v[12:13], off, s32 offset:892 ; 8-byte Folded Reload
	v_dual_lshlrev_b32 v10, 16, v104 :: v_dual_lshlrev_b32 v11, 16, v121
	s_wait_loadcnt 0x0
	s_delay_alu instid0(VALU_DEP_1) | instskip(SKIP_3) | instid1(VALU_DEP_1)
	v_pk_fma_f32 v[4:5], v[10:11], v[12:13], v[4:5]
	scratch_load_b64 v[12:13], off, s32 offset:924 ; 8-byte Folded Reload
	v_dual_lshlrev_b32 v11, 16, v93 :: v_dual_lshlrev_b32 v10, 16, v16
	s_wait_loadcnt 0x0
	v_pk_fma_f32 v[4:5], v[12:13], v[10:11], v[4:5]
	scratch_load_b64 v[12:13], off, s32 offset:980 ; 8-byte Folded Reload
	v_cvt_pk_bf16_f32 v10, v96, v97
	s_delay_alu instid0(VALU_DEP_1) | instskip(SKIP_2) | instid1(VALU_DEP_1)
	v_and_b32_e32 v11, 0xffff0000, v10
	v_lshlrev_b32_e32 v10, 16, v10
	s_wait_loadcnt 0x0
	v_pk_fma_f32 v[4:5], v[12:13], v[10:11], v[4:5]
	scratch_load_b64 v[12:13], off, s32 offset:1012 ; 8-byte Folded Reload
	v_cvt_pk_bf16_f32 v10, v54, v55
	s_delay_alu instid0(VALU_DEP_1) | instskip(SKIP_2) | instid1(VALU_DEP_1)
	v_and_b32_e32 v11, 0xffff0000, v10
	v_lshlrev_b32_e32 v10, 16, v10
	;; [unrolled: 7-line block ×9, first 2 shown]
	s_wait_loadcnt 0x0
	v_pk_fma_f32 v[2:3], v[12:13], v[10:11], v[2:3]
	scratch_load_b64 v[12:13], off, s32 offset:1244 ; 8-byte Folded Reload
	v_lshlrev_b32_e32 v10, 16, v46
	v_lshlrev_b32_e32 v11, 16, v90
	s_wait_loadcnt 0x0
	s_delay_alu instid0(VALU_DEP_1) | instskip(SKIP_3) | instid1(VALU_DEP_1)
	v_pk_fma_f32 v[2:3], v[10:11], v[12:13], v[2:3]
	scratch_load_b64 v[12:13], off, s32 offset:1276 ; 8-byte Folded Reload
	v_dual_lshlrev_b32 v11, 16, v92 :: v_dual_lshlrev_b32 v10, 16, v91
	s_wait_loadcnt 0x0
	v_pk_fma_f32 v[2:3], v[12:13], v[10:11], v[2:3]
	scratch_load_b64 v[12:13], off, s32 offset:1308 ; 8-byte Folded Reload
	v_cvt_pk_bf16_f32 v10, v106, v107
	s_delay_alu instid0(VALU_DEP_1) | instskip(SKIP_2) | instid1(VALU_DEP_1)
	v_and_b32_e32 v11, 0xffff0000, v10
	v_lshlrev_b32_e32 v10, 16, v10
	s_wait_loadcnt 0x0
	v_pk_fma_f32 v[2:3], v[12:13], v[10:11], v[2:3]
	s_clause 0x1
	scratch_load_b64 v[10:11], off, s32 offset:780 th:TH_LOAD_LU
	scratch_load_b64 v[12:13], off, s32 offset:1340
	s_wait_loadcnt 0x1
	v_cvt_pk_bf16_f32 v10, v10, v11
	s_delay_alu instid0(VALU_DEP_1) | instskip(SKIP_2) | instid1(VALU_DEP_1)
	v_and_b32_e32 v11, 0xffff0000, v10
	v_lshlrev_b32_e32 v10, 16, v10
	s_wait_loadcnt 0x0
	v_pk_fma_f32 v[2:3], v[12:13], v[10:11], v[2:3]
	s_clause 0x1
	scratch_load_b64 v[10:11], off, s32 offset:772 th:TH_LOAD_LU
	scratch_load_b64 v[12:13], off, s32 offset:1372
	s_wait_loadcnt 0x1
	;; [unrolled: 10-line block ×7, first 2 shown]
	v_cvt_pk_bf16_f32 v10, v10, v11
	s_delay_alu instid0(VALU_DEP_1) | instskip(SKIP_2) | instid1(VALU_DEP_1)
	v_and_b32_e32 v11, 0xffff0000, v10
	v_lshlrev_b32_e32 v10, 16, v10
	s_wait_loadcnt 0x0
	v_pk_fma_f32 v[2:3], v[12:13], v[10:11], v[2:3]
	scratch_load_b64 v[12:13], off, s32 offset:1564 ; 8-byte Folded Reload
	v_cvt_pk_bf16_f32 v10, v126, v127
	s_delay_alu instid0(VALU_DEP_1) | instskip(SKIP_2) | instid1(VALU_DEP_1)
	v_and_b32_e32 v11, 0xffff0000, v10
	v_lshlrev_b32_e32 v10, 16, v10
	s_wait_loadcnt 0x0
	v_pk_fma_f32 v[2:3], v[12:13], v[10:11], v[2:3]
	scratch_load_b64 v[12:13], off, s32 offset:1220 ; 8-byte Folded Reload
	v_cvt_pk_bf16_f32 v10, v94, v95
	v_add_f32_e32 v2, v2, v3
	s_delay_alu instid0(VALU_DEP_2) | instskip(SKIP_2) | instid1(VALU_DEP_1)
	v_and_b32_e32 v11, 0xffff0000, v10
	v_lshlrev_b32_e32 v10, 16, v10
	s_wait_loadcnt 0x0
	v_pk_fma_f32 v[0:1], v[12:13], v[10:11], v[0:1]
	scratch_load_b64 v[12:13], off, s32 offset:1252 ; 8-byte Folded Reload
	v_dual_lshlrev_b32 v10, 16, v108 :: v_dual_lshlrev_b32 v11, 16, v110
	s_wait_loadcnt 0x0
	s_delay_alu instid0(VALU_DEP_1) | instskip(SKIP_3) | instid1(VALU_DEP_1)
	v_pk_fma_f32 v[0:1], v[10:11], v[12:13], v[0:1]
	scratch_load_b64 v[12:13], off, s32 offset:1284 ; 8-byte Folded Reload
	v_dual_lshlrev_b32 v11, 16, v120 :: v_dual_lshlrev_b32 v10, 16, v122
	s_wait_loadcnt 0x0
	v_pk_fma_f32 v[0:1], v[12:13], v[10:11], v[0:1]
	s_clause 0x1
	scratch_load_b64 v[10:11], off, s32 offset:764 th:TH_LOAD_LU
	scratch_load_b64 v[12:13], off, s32 offset:1316
	s_wait_loadcnt 0x1
	v_cvt_pk_bf16_f32 v10, v10, v11
	s_delay_alu instid0(VALU_DEP_1) | instskip(SKIP_2) | instid1(VALU_DEP_1)
	v_and_b32_e32 v11, 0xffff0000, v10
	v_lshlrev_b32_e32 v10, 16, v10
	s_wait_loadcnt 0x0
	v_pk_fma_f32 v[0:1], v[12:13], v[10:11], v[0:1]
	s_clause 0x1
	scratch_load_b64 v[10:11], off, s32 offset:748 th:TH_LOAD_LU
	scratch_load_b64 v[12:13], off, s32 offset:1348
	s_wait_loadcnt 0x1
	v_cvt_pk_bf16_f32 v10, v10, v11
	s_delay_alu instid0(VALU_DEP_1) | instskip(SKIP_2) | instid1(VALU_DEP_1)
	v_and_b32_e32 v11, 0xffff0000, v10
	v_lshlrev_b32_e32 v10, 16, v10
	;; [unrolled: 10-line block ×8, first 2 shown]
	s_wait_loadcnt 0x0
	v_pk_fma_f32 v[0:1], v[12:13], v[10:11], v[0:1]
	scratch_load_b64 v[10:11], off, s32 offset:1572 ; 8-byte Folded Reload
	s_wait_loadcnt 0x0
	v_pk_fma_f32 v[0:1], v[10:11], v[6:7], v[0:1]
	s_clause 0x1
	scratch_load_b64 v[6:7], off, s32 offset:472 th:TH_LOAD_LU
	scratch_load_b64 v[10:11], off, s32 offset:1228
	v_add_f32_e32 v0, v2, v0
	s_delay_alu instid0(VALU_DEP_1) | instskip(SKIP_1) | instid1(VALU_DEP_1)
	v_add_f32_e32 v2, v1, v0
	v_cvt_pk_bf16_f32 v0, v32, v33
	v_and_b32_e32 v1, 0xffff0000, v0
	v_lshlrev_b32_e32 v0, 16, v0
	s_wait_loadcnt 0x1
	v_cvt_pk_bf16_f32 v6, v6, v7
	s_delay_alu instid0(VALU_DEP_1) | instskip(SKIP_2) | instid1(VALU_DEP_1)
	v_and_b32_e32 v7, 0xffff0000, v6
	v_lshlrev_b32_e32 v6, 16, v6
	s_wait_loadcnt 0x0
	v_pk_fma_f32 v[6:7], v[10:11], v[6:7], v[8:9]
	s_clause 0x2
	scratch_load_b32 v8, off, s32 offset:468 th:TH_LOAD_LU
	scratch_load_b32 v9, off, s32 offset:484 th:TH_LOAD_LU
	scratch_load_b64 v[10:11], off, s32 offset:1260
	s_wait_loadcnt 0x1
	v_dual_lshlrev_b32 v8, 16, v8 :: v_dual_lshlrev_b32 v9, 16, v9
	s_wait_loadcnt 0x0
	s_delay_alu instid0(VALU_DEP_1)
	v_pk_fma_f32 v[6:7], v[8:9], v[10:11], v[6:7]
	s_clause 0x1
	scratch_load_b32 v8, off, s32 offset:732 th:TH_LOAD_LU
	scratch_load_b64 v[10:11], off, s32 offset:1292
	s_wait_loadcnt 0x1
	v_lshlrev_b32_e32 v9, 16, v8
	scratch_load_b32 v8, off, s32 offset:736 th:TH_LOAD_LU ; 4-byte Folded Reload
	s_wait_loadcnt 0x0
	v_lshlrev_b32_e32 v8, 16, v8
	s_delay_alu instid0(VALU_DEP_1)
	v_pk_fma_f32 v[6:7], v[10:11], v[8:9], v[6:7]
	s_clause 0x1
	scratch_load_b64 v[8:9], off, s32 offset:708 th:TH_LOAD_LU
	scratch_load_b64 v[10:11], off, s32 offset:1324
	s_wait_loadcnt 0x1
	v_cvt_pk_bf16_f32 v8, v8, v9
	s_delay_alu instid0(VALU_DEP_1) | instskip(SKIP_2) | instid1(VALU_DEP_1)
	v_and_b32_e32 v9, 0xffff0000, v8
	v_lshlrev_b32_e32 v8, 16, v8
	s_wait_loadcnt 0x0
	v_pk_fma_f32 v[6:7], v[10:11], v[8:9], v[6:7]
	s_clause 0x1
	scratch_load_b64 v[8:9], off, s32 offset:684 th:TH_LOAD_LU
	scratch_load_b64 v[10:11], off, s32 offset:1356
	s_wait_loadcnt 0x1
	v_cvt_pk_bf16_f32 v8, v8, v9
	s_delay_alu instid0(VALU_DEP_1) | instskip(SKIP_2) | instid1(VALU_DEP_1)
	v_and_b32_e32 v9, 0xffff0000, v8
	v_lshlrev_b32_e32 v8, 16, v8
	s_wait_loadcnt 0x0
	;; [unrolled: 10-line block ×8, first 2 shown]
	v_pk_fma_f32 v[6:7], v[10:11], v[8:9], v[6:7]
	scratch_load_b64 v[10:11], off, s32 offset:1580 ; 8-byte Folded Reload
	v_cvt_pk_bf16_f32 v8, v48, v49
	s_delay_alu instid0(VALU_DEP_1) | instskip(SKIP_2) | instid1(VALU_DEP_1)
	v_and_b32_e32 v9, 0xffff0000, v8
	v_lshlrev_b32_e32 v8, 16, v8
	s_wait_loadcnt 0x0
	v_pk_fma_f32 v[6:7], v[10:11], v[8:9], v[6:7]
	s_clause 0x1
	scratch_load_b64 v[8:9], off, s32 offset:460 th:TH_LOAD_LU
	scratch_load_b64 v[10:11], off, s32 offset:1236
	v_add_f32_e32 v2, v6, v2
	s_delay_alu instid0(VALU_DEP_1) | instskip(SKIP_2) | instid1(VALU_DEP_1)
	v_add_f32_e32 v2, v7, v2
	s_wait_loadcnt 0x1
	v_cvt_pk_bf16_f32 v8, v8, v9
	v_and_b32_e32 v9, 0xffff0000, v8
	v_lshlrev_b32_e32 v8, 16, v8
	s_wait_loadcnt 0x0
	s_delay_alu instid0(VALU_DEP_1)
	v_pk_fma_f32 v[4:5], v[10:11], v[8:9], v[4:5]
	s_clause 0x2
	scratch_load_b32 v8, off, s32 offset:452 th:TH_LOAD_LU
	scratch_load_b32 v9, off, s32 offset:456 th:TH_LOAD_LU
	scratch_load_b64 v[10:11], off, s32 offset:1268
	s_wait_loadcnt 0x1
	v_dual_lshlrev_b32 v8, 16, v8 :: v_dual_lshlrev_b32 v9, 16, v9
	s_wait_loadcnt 0x0
	s_delay_alu instid0(VALU_DEP_1)
	v_pk_fma_f32 v[4:5], v[8:9], v[10:11], v[4:5]
	s_clause 0x1
	scratch_load_b32 v8, off, s32 offset:672 th:TH_LOAD_LU
	scratch_load_b64 v[10:11], off, s32 offset:1300
	s_wait_loadcnt 0x1
	v_lshlrev_b32_e32 v9, 16, v8
	scratch_load_b32 v8, off, s32 offset:488 th:TH_LOAD_LU ; 4-byte Folded Reload
	s_wait_loadcnt 0x0
	v_lshlrev_b32_e32 v8, 16, v8
	s_delay_alu instid0(VALU_DEP_1)
	v_pk_fma_f32 v[4:5], v[10:11], v[8:9], v[4:5]
	s_clause 0x1
	scratch_load_b64 v[8:9], off, s32 offset:656 th:TH_LOAD_LU
	scratch_load_b64 v[10:11], off, s32 offset:1332
	s_wait_loadcnt 0x1
	v_cvt_pk_bf16_f32 v8, v8, v9
	s_delay_alu instid0(VALU_DEP_1) | instskip(SKIP_2) | instid1(VALU_DEP_1)
	v_and_b32_e32 v9, 0xffff0000, v8
	v_lshlrev_b32_e32 v8, 16, v8
	s_wait_loadcnt 0x0
	v_pk_fma_f32 v[4:5], v[10:11], v[8:9], v[4:5]
	s_clause 0x1
	scratch_load_b64 v[8:9], off, s32 offset:632 th:TH_LOAD_LU
	scratch_load_b64 v[10:11], off, s32 offset:1364
	s_wait_loadcnt 0x1
	v_cvt_pk_bf16_f32 v8, v8, v9
	s_delay_alu instid0(VALU_DEP_1) | instskip(SKIP_2) | instid1(VALU_DEP_1)
	v_and_b32_e32 v9, 0xffff0000, v8
	v_lshlrev_b32_e32 v8, 16, v8
	s_wait_loadcnt 0x0
	;; [unrolled: 10-line block ×8, first 2 shown]
	v_pk_fma_f32 v[4:5], v[10:11], v[8:9], v[4:5]
	s_clause 0x1
	scratch_load_b64 v[8:9], off, s32 offset:1588
	scratch_load_b32 v10, off, s32 offset:516 th:TH_LOAD_LU
	s_wait_loadcnt 0x1
	v_pk_fma_f32 v[0:1], v[8:9], v[0:1], v[4:5]
	s_delay_alu instid0(VALU_DEP_1) | instskip(SKIP_3) | instid1(VALU_DEP_1)
	v_add_f32_e32 v0, v0, v2
	scratch_load_b32 v2, off, s32 offset:788 ; 4-byte Folded Reload
	v_add_f32_e32 v0, v1, v0
	v_sub_nc_u32_e32 v1, 1, v88
	v_add_nc_u32_e32 v1, v1, v79
	v_add_nc_u32_e32 v79, 0x80, v79
	s_delay_alu instid0(VALU_DEP_2) | instskip(SKIP_1) | instid1(VALU_DEP_1)
	v_cvt_f32_i32_e32 v1, v1
	s_wait_loadcnt 0x0
	v_mul_f32_e32 v1, v2, v1
	scratch_load_b32 v2, off, s32 offset:800 ; 4-byte Folded Reload
	v_cndmask_b32_e32 v1, 0, v1, vcc_lo
	s_wait_loadcnt 0x0
	s_delay_alu instid0(VALU_DEP_1) | instskip(SKIP_3) | instid1(VALU_DEP_1)
	v_fmac_f32_e32 v1, v2, v0
	v_max_num_f32_e32 v0, v10, v10
	scratch_load_b64 v[2:3], off, s32 offset:520 th:TH_LOAD_LU ; 8-byte Folded Reload
	v_dual_max_num_f32 v0, v0, v1 :: v_dual_cndmask_b32 v1, 0, v1, s1
	v_cndmask_b32_e64 v10, v10, v0, s1
	scratch_load_b32 v0, off, s32 offset:408 ; 4-byte Folded Reload
	ds_store_b32 v78, v1
	v_add_nc_u32_e32 v78, 0x200, v78
	s_wait_loadcnt 0x1
	v_add_nc_u64_e32 v[2:3], 16, v[2:3]
	s_wait_loadcnt 0x0
	v_cmp_ge_i32_e64 s1, v89, v0
	s_or_b32 s9, s1, s9
	s_wait_xcnt 0x0
	s_and_not1_b32 exec_lo, exec_lo, s9
	s_cbranch_execz .LBB370_1543
.LBB370_10:                             ; =>This Inner Loop Header: Depth=1
	s_clause 0x4
	scratch_store_b32 off, v78, s32 offset:512
	scratch_store_b32 off, v79, s32 offset:508
	;; [unrolled: 1-line block ×4, first 2 shown]
	scratch_store_b64 off, v[2:3], s32 offset:520
	flat_load_b32 v0, v[2:3]
	s_clause 0x1
	scratch_load_b64 v[2:3], off, s32 offset:932
	scratch_load_b64 v[4:5], off, s32 offset:1596
	s_mov_b32 s11, exec_lo
	s_wait_loadcnt_dscnt 0x0
	v_mad_nc_i64_i32 v[32:33], v0, v2, v[4:5]
	v_mov_b32_e32 v4, 0
	flat_load_b64 v[0:1], v[32:33]
	scratch_load_b64 v[2:3], off, s32 offset:792 ; 8-byte Folded Reload
	s_wait_loadcnt 0x0
	flat_load_b32 v74, v[2:3]
	s_wait_dscnt 0x1
	s_wait_xcnt 0x0
	v_and_b32_e32 v2, 0xff, v0
	s_delay_alu instid0(VALU_DEP_1)
	v_cmpx_ne_u16_e32 0, v2
	s_cbranch_execz .LBB370_18
; %bb.11:                               ;   in Loop: Header=BB370_10 Depth=1
	v_bfrev_b32_e32 v4, 1
	s_mov_b32 s16, exec_lo
	v_cmpx_ne_u16_e32 0x80, v2
	s_cbranch_execz .LBB370_17
; %bb.12:                               ;   in Loop: Header=BB370_10 Depth=1
	v_and_b32_e32 v2, 0x7f, v0
	v_mov_b32_e32 v4, 0x7f800001
	s_mov_b32 s17, exec_lo
	s_delay_alu instid0(VALU_DEP_2)
	v_cmpx_ne_u32_e32 0x7f, v2
	s_cbranch_execz .LBB370_16
; %bb.13:                               ;   in Loop: Header=BB370_10 Depth=1
	v_lshrrev_b32_e32 v4, 3, v2
	v_cmp_gt_u32_e64 s1, 8, v2
	v_mov_b64_e32 v[2:3], v[0:1]
	s_and_saveexec_b32 s18, s1
; %bb.14:                               ;   in Loop: Header=BB370_10 Depth=1
	v_and_b32_e32 v2, 7, v0
	s_delay_alu instid0(VALU_DEP_1) | instskip(NEXT) | instid1(VALU_DEP_1)
	v_clz_i32_u32_e32 v2, v2
	v_min_u32_e32 v4, 32, v2
	s_delay_alu instid0(VALU_DEP_1) | instskip(SKIP_1) | instid1(VALU_DEP_2)
	v_subrev_nc_u32_e32 v2, 28, v4
	v_sub_nc_u32_e32 v4, 29, v4
	v_lshlrev_b64_e32 v[2:3], v2, v[0:1]
; %bb.15:                               ;   in Loop: Header=BB370_10 Depth=1
	s_or_b32 exec_lo, exec_lo, s18
	s_delay_alu instid0(VALU_DEP_1) | instskip(NEXT) | instid1(VALU_DEP_3)
	v_dual_lshlrev_b32 v2, 20, v2 :: v_dual_lshlrev_b32 v3, 24, v0
	v_lshl_add_u32 v4, v4, 23, 0x3c000000
	s_delay_alu instid0(VALU_DEP_2) | instskip(NEXT) | instid1(VALU_DEP_3)
	v_and_b32_e32 v2, 0x700000, v2
	v_and_b32_e32 v3, 0x80000000, v3
	s_delay_alu instid0(VALU_DEP_1)
	v_or3_b32 v4, v2, v3, v4
.LBB370_16:                             ;   in Loop: Header=BB370_10 Depth=1
	s_or_b32 exec_lo, exec_lo, s17
.LBB370_17:                             ;   in Loop: Header=BB370_10 Depth=1
	s_delay_alu instid0(SALU_CYCLE_1)
	s_or_b32 exec_lo, exec_lo, s16
.LBB370_18:                             ;   in Loop: Header=BB370_10 Depth=1
	s_delay_alu instid0(SALU_CYCLE_1)
	s_or_b32 exec_lo, exec_lo, s11
	v_lshrrev_b16 v2, 8, v0
	v_dual_mov_b32 v6, 0 :: v_dual_mov_b32 v5, 0
	s_mov_b32 s11, exec_lo
	s_clause 0x1
	scratch_store_b64 off, v[6:7], s32 offset:192
	scratch_store_b64 off, v[4:5], s32 offset:392
	s_wait_xcnt 0x0
	v_cmpx_ne_u16_e32 0, v2
	s_cbranch_execz .LBB370_26
; %bb.19:                               ;   in Loop: Header=BB370_10 Depth=1
	scratch_load_b64 v[4:5], off, s32 offset:392 ; 8-byte Folded Reload
	s_wait_loadcnt 0x0
	v_bfrev_b32_e32 v5, 1
	s_mov_b32 s16, exec_lo
	scratch_store_b64 off, v[4:5], s32 offset:392 ; 8-byte Folded Spill
	s_wait_xcnt 0x0
	v_cmpx_ne_u16_e32 0x80, v2
	s_cbranch_execz .LBB370_25
; %bb.20:                               ;   in Loop: Header=BB370_10 Depth=1
	scratch_load_b64 v[4:5], off, s32 offset:392 ; 8-byte Folded Reload
	v_and_b32_e32 v3, 0xffff, v2
	s_wait_loadcnt 0x0
	v_mov_b32_e32 v5, 0x7f800001
	s_mov_b32 s17, exec_lo
	s_delay_alu instid0(VALU_DEP_2)
	v_and_b32_e32 v2, 0x7f, v3
	scratch_store_b64 off, v[4:5], s32 offset:392 ; 8-byte Folded Spill
	s_wait_xcnt 0x0
	v_cmpx_ne_u32_e32 0x7f, v2
	s_cbranch_execz .LBB370_24
; %bb.21:                               ;   in Loop: Header=BB370_10 Depth=1
	v_dual_lshrrev_b32 v4, 3, v2 :: v_dual_bitop2_b32 v16, 7, v3 bitop3:0x40
	v_cmp_gt_u32_e64 s1, 8, v2
	s_delay_alu instid0(VALU_DEP_2)
	v_mov_b64_e32 v[2:3], v[16:17]
	s_and_saveexec_b32 s18, s1
; %bb.22:                               ;   in Loop: Header=BB370_10 Depth=1
	v_clz_i32_u32_e32 v2, v16
	s_delay_alu instid0(VALU_DEP_1) | instskip(NEXT) | instid1(VALU_DEP_1)
	v_min_u32_e32 v4, 32, v2
	v_subrev_nc_u32_e32 v2, 28, v4
	s_delay_alu instid0(VALU_DEP_1) | instskip(NEXT) | instid1(VALU_DEP_1)
	v_lshlrev_b64_e32 v[2:3], v2, v[16:17]
	v_dual_sub_nc_u32 v4, 29, v4 :: v_dual_bitop2_b32 v2, 7, v2 bitop3:0x40
; %bb.23:                               ;   in Loop: Header=BB370_10 Depth=1
	s_or_b32 exec_lo, exec_lo, s18
	scratch_load_b64 v[6:7], off, s32 offset:392 ; 8-byte Folded Reload
	v_dual_lshlrev_b32 v3, 16, v0 :: v_dual_lshlrev_b32 v2, 20, v2
	v_lshl_add_u32 v4, v4, 23, 0x3c000000
	s_delay_alu instid0(VALU_DEP_2) | instskip(SKIP_1) | instid1(VALU_DEP_1)
	v_and_b32_e32 v3, 0x80000000, v3
	s_wait_loadcnt 0x0
	v_or3_b32 v7, v2, v3, v4
	scratch_store_b64 off, v[6:7], s32 offset:392 ; 8-byte Folded Spill
.LBB370_24:                             ;   in Loop: Header=BB370_10 Depth=1
	s_wait_xcnt 0x0
	s_or_b32 exec_lo, exec_lo, s17
.LBB370_25:                             ;   in Loop: Header=BB370_10 Depth=1
	s_delay_alu instid0(SALU_CYCLE_1)
	s_or_b32 exec_lo, exec_lo, s16
.LBB370_26:                             ;   in Loop: Header=BB370_10 Depth=1
	s_delay_alu instid0(SALU_CYCLE_1) | instskip(SKIP_2) | instid1(VALU_DEP_1)
	s_or_b32 exec_lo, exec_lo, s11
	v_lshrrev_b32_e32 v4, 16, v0
	s_mov_b32 s11, exec_lo
	v_and_b32_e32 v2, 0xff, v4
	s_delay_alu instid0(VALU_DEP_1)
	v_cmpx_ne_u16_e32 0, v2
	s_cbranch_execz .LBB370_34
; %bb.27:                               ;   in Loop: Header=BB370_10 Depth=1
	v_cmp_ne_u16_e64 s1, 0x80, v2
	v_bfrev_b32_e32 v2, 1
	scratch_store_b64 off, v[2:3], s32 offset:192 ; 8-byte Folded Spill
	s_wait_xcnt 0x0
	s_and_saveexec_b32 s16, s1
	s_cbranch_execz .LBB370_33
; %bb.28:                               ;   in Loop: Header=BB370_10 Depth=1
	v_bfe_u32 v2, v0, 16, 7
	v_mov_b32_e32 v6, 0x7f800001
	s_mov_b32 s17, exec_lo
	scratch_store_b64 off, v[6:7], s32 offset:192 ; 8-byte Folded Spill
	s_wait_xcnt 0x0
	v_cmpx_ne_u32_e32 0x7f, v2
	s_cbranch_execz .LBB370_32
; %bb.29:                               ;   in Loop: Header=BB370_10 Depth=1
	v_dual_lshrrev_b32 v5, 3, v2 :: v_dual_bitop2_b32 v16, 7, v4 bitop3:0x40
	v_cmp_gt_u32_e64 s1, 8, v2
	s_delay_alu instid0(VALU_DEP_2)
	v_mov_b64_e32 v[2:3], v[16:17]
	s_and_saveexec_b32 s18, s1
; %bb.30:                               ;   in Loop: Header=BB370_10 Depth=1
	v_clz_i32_u32_e32 v2, v16
	s_delay_alu instid0(VALU_DEP_1) | instskip(NEXT) | instid1(VALU_DEP_1)
	v_min_u32_e32 v5, 32, v2
	v_subrev_nc_u32_e32 v2, 28, v5
	s_delay_alu instid0(VALU_DEP_1) | instskip(NEXT) | instid1(VALU_DEP_1)
	v_lshlrev_b64_e32 v[2:3], v2, v[16:17]
	v_dual_sub_nc_u32 v5, 29, v5 :: v_dual_bitop2_b32 v2, 7, v2 bitop3:0x40
; %bb.31:                               ;   in Loop: Header=BB370_10 Depth=1
	s_or_b32 exec_lo, exec_lo, s18
	s_delay_alu instid0(VALU_DEP_1) | instskip(NEXT) | instid1(VALU_DEP_2)
	v_dual_lshlrev_b32 v3, 24, v4 :: v_dual_lshlrev_b32 v2, 20, v2
	v_lshl_add_u32 v4, v5, 23, 0x3c000000
	s_delay_alu instid0(VALU_DEP_2) | instskip(NEXT) | instid1(VALU_DEP_1)
	v_and_b32_e32 v3, 0x80000000, v3
	v_or3_b32 v2, v2, v3, v4
	scratch_store_b64 off, v[2:3], s32 offset:192 ; 8-byte Folded Spill
.LBB370_32:                             ;   in Loop: Header=BB370_10 Depth=1
	s_wait_xcnt 0x0
	s_or_b32 exec_lo, exec_lo, s17
.LBB370_33:                             ;   in Loop: Header=BB370_10 Depth=1
	s_delay_alu instid0(SALU_CYCLE_1)
	s_or_b32 exec_lo, exec_lo, s16
.LBB370_34:                             ;   in Loop: Header=BB370_10 Depth=1
	s_delay_alu instid0(SALU_CYCLE_1)
	s_or_b32 exec_lo, exec_lo, s11
	v_mov_b32_e32 v2, 0
	s_mov_b32 s11, exec_lo
	s_clause 0x1
	scratch_store_b64 off, v[2:3], s32 offset:200
	scratch_load_b64 v[2:3], off, s32 offset:192
	s_wait_loadcnt 0x0
	v_mov_b32_e32 v3, 0
	scratch_store_b64 off, v[2:3], s32 offset:192 ; 8-byte Folded Spill
	s_wait_xcnt 0x0
	v_cmpx_lt_u32_e32 0xffffff, v0
	s_cbranch_execz .LBB370_42
; %bb.35:                               ;   in Loop: Header=BB370_10 Depth=1
	scratch_load_b64 v[2:3], off, s32 offset:192 ; 8-byte Folded Reload
	v_lshrrev_b32_e32 v4, 24, v0
	s_wait_loadcnt 0x0
	v_bfrev_b32_e32 v3, 1
	s_mov_b32 s16, exec_lo
	scratch_store_b64 off, v[2:3], s32 offset:192 ; 8-byte Folded Spill
	s_wait_xcnt 0x0
	v_cmpx_ne_u32_e32 0x80, v4
	s_cbranch_execz .LBB370_41
; %bb.36:                               ;   in Loop: Header=BB370_10 Depth=1
	scratch_load_b64 v[6:7], off, s32 offset:192 ; 8-byte Folded Reload
	v_bfe_u32 v2, v0, 24, 7
	s_wait_loadcnt 0x0
	v_mov_b32_e32 v7, 0x7f800001
	s_mov_b32 s17, exec_lo
	scratch_store_b64 off, v[6:7], s32 offset:192 ; 8-byte Folded Spill
	s_wait_xcnt 0x0
	v_cmpx_ne_u32_e32 0x7f, v2
	s_cbranch_execz .LBB370_40
; %bb.37:                               ;   in Loop: Header=BB370_10 Depth=1
	v_dual_lshrrev_b32 v5, 3, v2 :: v_dual_bitop2_b32 v16, 7, v4 bitop3:0x40
	v_cmp_gt_u32_e64 s1, 8, v2
	s_delay_alu instid0(VALU_DEP_2)
	v_mov_b64_e32 v[2:3], v[16:17]
	s_and_saveexec_b32 s18, s1
; %bb.38:                               ;   in Loop: Header=BB370_10 Depth=1
	v_clz_i32_u32_e32 v2, v16
	s_delay_alu instid0(VALU_DEP_1) | instskip(NEXT) | instid1(VALU_DEP_1)
	v_min_u32_e32 v5, 32, v2
	v_subrev_nc_u32_e32 v2, 28, v5
	s_delay_alu instid0(VALU_DEP_1) | instskip(NEXT) | instid1(VALU_DEP_1)
	v_lshlrev_b64_e32 v[2:3], v2, v[16:17]
	v_dual_sub_nc_u32 v5, 29, v5 :: v_dual_bitop2_b32 v2, 7, v2 bitop3:0x40
; %bb.39:                               ;   in Loop: Header=BB370_10 Depth=1
	s_or_b32 exec_lo, exec_lo, s18
	scratch_load_b64 v[6:7], off, s32 offset:192 ; 8-byte Folded Reload
	v_dual_lshlrev_b32 v3, 24, v4 :: v_dual_lshlrev_b32 v2, 20, v2
	v_lshl_add_u32 v4, v5, 23, 0x3c000000
	s_delay_alu instid0(VALU_DEP_2) | instskip(SKIP_1) | instid1(VALU_DEP_1)
	v_and_b32_e32 v3, 0x80000000, v3
	s_wait_loadcnt 0x0
	v_or3_b32 v7, v2, v3, v4
	scratch_store_b64 off, v[6:7], s32 offset:192 ; 8-byte Folded Spill
.LBB370_40:                             ;   in Loop: Header=BB370_10 Depth=1
	s_wait_xcnt 0x0
	s_or_b32 exec_lo, exec_lo, s17
.LBB370_41:                             ;   in Loop: Header=BB370_10 Depth=1
	s_delay_alu instid0(SALU_CYCLE_1)
	s_or_b32 exec_lo, exec_lo, s16
.LBB370_42:                             ;   in Loop: Header=BB370_10 Depth=1
	s_delay_alu instid0(SALU_CYCLE_1) | instskip(SKIP_3) | instid1(VALU_DEP_2)
	s_or_b32 exec_lo, exec_lo, s11
	v_and_b32_e32 v2, 0xff, v1
	v_mov_b32_e32 v16, v1
	s_mov_b32 s11, exec_lo
	v_cmpx_ne_u16_e32 0, v2
	s_cbranch_execz .LBB370_50
; %bb.43:                               ;   in Loop: Header=BB370_10 Depth=1
	v_cmp_ne_u16_e64 s1, 0x80, v2
	v_bfrev_b32_e32 v2, 1
	scratch_store_b64 off, v[2:3], s32 offset:200 ; 8-byte Folded Spill
	s_wait_xcnt 0x0
	s_and_saveexec_b32 s16, s1
	s_cbranch_execz .LBB370_49
; %bb.44:                               ;   in Loop: Header=BB370_10 Depth=1
	v_and_b32_e32 v2, 0x7f, v1
	v_mov_b32_e32 v4, 0x7f800001
	s_mov_b32 s17, exec_lo
	scratch_store_b64 off, v[4:5], s32 offset:200 ; 8-byte Folded Spill
	s_wait_xcnt 0x0
	v_cmpx_ne_u32_e32 0x7f, v2
	s_cbranch_execz .LBB370_48
; %bb.45:                               ;   in Loop: Header=BB370_10 Depth=1
	v_lshrrev_b32_e32 v4, 3, v2
	v_cmp_gt_u32_e64 s1, 8, v2
	v_mov_b64_e32 v[2:3], v[16:17]
	s_and_saveexec_b32 s18, s1
; %bb.46:                               ;   in Loop: Header=BB370_10 Depth=1
	v_and_b32_e32 v2, 7, v1
	s_delay_alu instid0(VALU_DEP_1) | instskip(NEXT) | instid1(VALU_DEP_1)
	v_clz_i32_u32_e32 v2, v2
	v_min_u32_e32 v4, 32, v2
	s_delay_alu instid0(VALU_DEP_1) | instskip(SKIP_1) | instid1(VALU_DEP_2)
	v_subrev_nc_u32_e32 v2, 28, v4
	v_sub_nc_u32_e32 v4, 29, v4
	v_lshlrev_b64_e32 v[2:3], v2, v[16:17]
; %bb.47:                               ;   in Loop: Header=BB370_10 Depth=1
	s_or_b32 exec_lo, exec_lo, s18
	s_delay_alu instid0(VALU_DEP_1) | instskip(NEXT) | instid1(VALU_DEP_3)
	v_dual_lshlrev_b32 v2, 20, v2 :: v_dual_lshlrev_b32 v3, 24, v16
	v_lshl_add_u32 v4, v4, 23, 0x3c000000
	s_delay_alu instid0(VALU_DEP_2) | instskip(NEXT) | instid1(VALU_DEP_3)
	v_and_b32_e32 v2, 0x700000, v2
	v_and_b32_e32 v3, 0x80000000, v3
	s_delay_alu instid0(VALU_DEP_1)
	v_or3_b32 v2, v2, v3, v4
	scratch_store_b64 off, v[2:3], s32 offset:200 ; 8-byte Folded Spill
.LBB370_48:                             ;   in Loop: Header=BB370_10 Depth=1
	s_wait_xcnt 0x0
	s_or_b32 exec_lo, exec_lo, s17
.LBB370_49:                             ;   in Loop: Header=BB370_10 Depth=1
	s_delay_alu instid0(SALU_CYCLE_1)
	s_or_b32 exec_lo, exec_lo, s16
.LBB370_50:                             ;   in Loop: Header=BB370_10 Depth=1
	s_delay_alu instid0(SALU_CYCLE_1)
	s_or_b32 exec_lo, exec_lo, s11
	v_mov_b32_e32 v4, 0
	v_lshrrev_b16 v2, 8, v16
	s_mov_b32 s11, exec_lo
	s_clause 0x1
	scratch_store_b64 off, v[4:5], s32 offset:208
	scratch_load_b64 v[4:5], off, s32 offset:200
	s_wait_loadcnt 0x0
	v_mov_b32_e32 v5, 0
	scratch_store_b64 off, v[4:5], s32 offset:200 ; 8-byte Folded Spill
	s_wait_xcnt 0x0
	v_cmpx_ne_u16_e32 0, v2
	s_cbranch_execz .LBB370_58
; %bb.51:                               ;   in Loop: Header=BB370_10 Depth=1
	scratch_load_b64 v[4:5], off, s32 offset:200 ; 8-byte Folded Reload
	s_wait_loadcnt 0x0
	v_bfrev_b32_e32 v5, 1
	s_mov_b32 s16, exec_lo
	scratch_store_b64 off, v[4:5], s32 offset:200 ; 8-byte Folded Spill
	s_wait_xcnt 0x0
	v_cmpx_ne_u16_e32 0x80, v2
	s_cbranch_execz .LBB370_57
; %bb.52:                               ;   in Loop: Header=BB370_10 Depth=1
	scratch_load_b64 v[6:7], off, s32 offset:200 ; 8-byte Folded Reload
	v_and_b32_e32 v2, 0xffff, v2
	s_wait_loadcnt 0x0
	v_mov_b32_e32 v7, 0x7f800001
	s_mov_b32 s17, exec_lo
	s_delay_alu instid0(VALU_DEP_2)
	v_and_b32_e32 v5, 0x7f, v2
	scratch_store_b64 off, v[6:7], s32 offset:200 ; 8-byte Folded Spill
	s_wait_xcnt 0x0
	v_cmpx_ne_u32_e32 0x7f, v5
	s_cbranch_execz .LBB370_56
; %bb.53:                               ;   in Loop: Header=BB370_10 Depth=1
	v_dual_mov_b32 v3, v17 :: v_dual_bitop2_b32 v2, 7, v2 bitop3:0x40
	v_lshrrev_b32_e32 v4, 3, v5
	s_mov_b32 s18, exec_lo
	v_cmpx_gt_u32_e32 8, v5
; %bb.54:                               ;   in Loop: Header=BB370_10 Depth=1
	s_delay_alu instid0(VALU_DEP_3) | instskip(NEXT) | instid1(VALU_DEP_1)
	v_clz_i32_u32_e32 v4, v2
	v_min_u32_e32 v4, 32, v4
	s_delay_alu instid0(VALU_DEP_1) | instskip(NEXT) | instid1(VALU_DEP_1)
	v_subrev_nc_u32_e32 v5, 28, v4
	v_lshlrev_b64_e32 v[2:3], v5, v[2:3]
	s_delay_alu instid0(VALU_DEP_1)
	v_dual_sub_nc_u32 v4, 29, v4 :: v_dual_bitop2_b32 v2, 7, v2 bitop3:0x40
; %bb.55:                               ;   in Loop: Header=BB370_10 Depth=1
	s_or_b32 exec_lo, exec_lo, s18
	scratch_load_b64 v[6:7], off, s32 offset:200 ; 8-byte Folded Reload
	v_dual_lshlrev_b32 v3, 16, v16 :: v_dual_lshlrev_b32 v2, 20, v2
	v_lshl_add_u32 v4, v4, 23, 0x3c000000
	s_delay_alu instid0(VALU_DEP_2) | instskip(SKIP_1) | instid1(VALU_DEP_1)
	v_and_b32_e32 v3, 0x80000000, v3
	s_wait_loadcnt 0x0
	v_or3_b32 v7, v2, v3, v4
	scratch_store_b64 off, v[6:7], s32 offset:200 ; 8-byte Folded Spill
.LBB370_56:                             ;   in Loop: Header=BB370_10 Depth=1
	s_wait_xcnt 0x0
	s_or_b32 exec_lo, exec_lo, s17
.LBB370_57:                             ;   in Loop: Header=BB370_10 Depth=1
	s_delay_alu instid0(SALU_CYCLE_1)
	s_or_b32 exec_lo, exec_lo, s16
.LBB370_58:                             ;   in Loop: Header=BB370_10 Depth=1
	s_delay_alu instid0(SALU_CYCLE_1) | instskip(SKIP_2) | instid1(VALU_DEP_1)
	s_or_b32 exec_lo, exec_lo, s11
	v_lshrrev_b32_e32 v4, 16, v1
	s_mov_b32 s11, exec_lo
	v_and_b32_e32 v2, 0xff, v4
	s_delay_alu instid0(VALU_DEP_1)
	v_cmpx_ne_u16_e32 0, v2
	s_cbranch_execz .LBB370_66
; %bb.59:                               ;   in Loop: Header=BB370_10 Depth=1
	v_cmp_ne_u16_e64 s1, 0x80, v2
	v_bfrev_b32_e32 v2, 1
	scratch_store_b64 off, v[2:3], s32 offset:208 ; 8-byte Folded Spill
	s_wait_xcnt 0x0
	s_and_saveexec_b32 s16, s1
	s_cbranch_execz .LBB370_65
; %bb.60:                               ;   in Loop: Header=BB370_10 Depth=1
	v_bfe_u32 v2, v1, 16, 7
	v_mov_b32_e32 v6, 0x7f800001
	s_mov_b32 s17, exec_lo
	scratch_store_b64 off, v[6:7], s32 offset:208 ; 8-byte Folded Spill
	s_wait_xcnt 0x0
	v_cmpx_ne_u32_e32 0x7f, v2
	s_cbranch_execz .LBB370_64
; %bb.61:                               ;   in Loop: Header=BB370_10 Depth=1
	v_dual_lshrrev_b32 v5, 3, v2 :: v_dual_bitop2_b32 v16, 7, v4 bitop3:0x40
	v_cmp_gt_u32_e64 s1, 8, v2
	s_delay_alu instid0(VALU_DEP_2)
	v_mov_b64_e32 v[2:3], v[16:17]
	s_and_saveexec_b32 s18, s1
; %bb.62:                               ;   in Loop: Header=BB370_10 Depth=1
	v_clz_i32_u32_e32 v2, v16
	s_delay_alu instid0(VALU_DEP_1) | instskip(NEXT) | instid1(VALU_DEP_1)
	v_min_u32_e32 v5, 32, v2
	v_subrev_nc_u32_e32 v2, 28, v5
	s_delay_alu instid0(VALU_DEP_1) | instskip(NEXT) | instid1(VALU_DEP_1)
	v_lshlrev_b64_e32 v[2:3], v2, v[16:17]
	v_dual_sub_nc_u32 v5, 29, v5 :: v_dual_bitop2_b32 v2, 7, v2 bitop3:0x40
; %bb.63:                               ;   in Loop: Header=BB370_10 Depth=1
	s_or_b32 exec_lo, exec_lo, s18
	s_delay_alu instid0(VALU_DEP_1) | instskip(NEXT) | instid1(VALU_DEP_2)
	v_dual_lshlrev_b32 v3, 24, v4 :: v_dual_lshlrev_b32 v2, 20, v2
	v_lshl_add_u32 v4, v5, 23, 0x3c000000
	s_delay_alu instid0(VALU_DEP_2) | instskip(NEXT) | instid1(VALU_DEP_1)
	v_and_b32_e32 v3, 0x80000000, v3
	v_or3_b32 v2, v2, v3, v4
	scratch_store_b64 off, v[2:3], s32 offset:208 ; 8-byte Folded Spill
.LBB370_64:                             ;   in Loop: Header=BB370_10 Depth=1
	s_wait_xcnt 0x0
	s_or_b32 exec_lo, exec_lo, s17
.LBB370_65:                             ;   in Loop: Header=BB370_10 Depth=1
	s_delay_alu instid0(SALU_CYCLE_1)
	s_or_b32 exec_lo, exec_lo, s16
.LBB370_66:                             ;   in Loop: Header=BB370_10 Depth=1
	s_delay_alu instid0(SALU_CYCLE_1)
	s_or_b32 exec_lo, exec_lo, s11
	scratch_load_b64 v[2:3], off, s32 offset:208 ; 8-byte Folded Reload
	v_cmp_lt_u64_e64 s1, s[2:3], v[0:1]
	s_wait_loadcnt 0x0
	v_dual_mov_b32 v0, 0 :: v_dual_mov_b32 v3, 0
	s_clause 0x1
	scratch_store_b64 off, v[0:1], s32 offset:216
	scratch_store_b64 off, v[2:3], s32 offset:208
	s_wait_xcnt 0x0
	s_and_saveexec_b32 s11, s1
	s_cbranch_execz .LBB370_74
; %bb.67:                               ;   in Loop: Header=BB370_10 Depth=1
	scratch_load_b64 v[4:5], off, s32 offset:208 ; 8-byte Folded Reload
	v_lshrrev_b32_e32 v2, 24, v1
	s_wait_loadcnt 0x0
	v_bfrev_b32_e32 v5, 1
	s_mov_b32 s16, exec_lo
	scratch_store_b64 off, v[4:5], s32 offset:208 ; 8-byte Folded Spill
	s_wait_xcnt 0x0
	v_cmpx_ne_u32_e32 0x80, v2
	s_cbranch_execz .LBB370_73
; %bb.68:                               ;   in Loop: Header=BB370_10 Depth=1
	scratch_load_b64 v[4:5], off, s32 offset:208 ; 8-byte Folded Reload
	v_bfe_u32 v0, v1, 24, 7
	s_wait_loadcnt 0x0
	v_mov_b32_e32 v5, 0x7f800001
	s_mov_b32 s17, exec_lo
	scratch_store_b64 off, v[4:5], s32 offset:208 ; 8-byte Folded Spill
	s_wait_xcnt 0x0
	v_cmpx_ne_u32_e32 0x7f, v0
	s_cbranch_execz .LBB370_72
; %bb.69:                               ;   in Loop: Header=BB370_10 Depth=1
	v_dual_lshrrev_b32 v3, 3, v0 :: v_dual_bitop2_b32 v16, 7, v2 bitop3:0x40
	v_cmp_gt_u32_e64 s1, 8, v0
	s_delay_alu instid0(VALU_DEP_2)
	v_mov_b64_e32 v[0:1], v[16:17]
	s_and_saveexec_b32 s18, s1
; %bb.70:                               ;   in Loop: Header=BB370_10 Depth=1
	v_clz_i32_u32_e32 v0, v16
	s_delay_alu instid0(VALU_DEP_1) | instskip(NEXT) | instid1(VALU_DEP_1)
	v_min_u32_e32 v3, 32, v0
	v_subrev_nc_u32_e32 v0, 28, v3
	s_delay_alu instid0(VALU_DEP_1) | instskip(NEXT) | instid1(VALU_DEP_1)
	v_lshlrev_b64_e32 v[0:1], v0, v[16:17]
	v_dual_sub_nc_u32 v3, 29, v3 :: v_dual_bitop2_b32 v0, 7, v0 bitop3:0x40
; %bb.71:                               ;   in Loop: Header=BB370_10 Depth=1
	s_or_b32 exec_lo, exec_lo, s18
	scratch_load_b64 v[4:5], off, s32 offset:208 ; 8-byte Folded Reload
	v_dual_lshlrev_b32 v1, 24, v2 :: v_dual_lshlrev_b32 v0, 20, v0
	v_lshl_add_u32 v2, v3, 23, 0x3c000000
	s_delay_alu instid0(VALU_DEP_2) | instskip(SKIP_1) | instid1(VALU_DEP_1)
	v_and_b32_e32 v1, 0x80000000, v1
	s_wait_loadcnt 0x0
	v_or3_b32 v5, v0, v1, v2
	scratch_store_b64 off, v[4:5], s32 offset:208 ; 8-byte Folded Spill
.LBB370_72:                             ;   in Loop: Header=BB370_10 Depth=1
	s_wait_xcnt 0x0
	s_or_b32 exec_lo, exec_lo, s17
.LBB370_73:                             ;   in Loop: Header=BB370_10 Depth=1
	s_delay_alu instid0(SALU_CYCLE_1)
	s_or_b32 exec_lo, exec_lo, s16
.LBB370_74:                             ;   in Loop: Header=BB370_10 Depth=1
	s_delay_alu instid0(SALU_CYCLE_1)
	s_or_b32 exec_lo, exec_lo, s11
	flat_load_b64 v[0:1], v[32:33] offset:8
	s_mov_b32 s11, exec_lo
	s_wait_loadcnt_dscnt 0x0
	v_and_b32_e32 v2, 0xff, v0
	s_wait_xcnt 0x0
	s_delay_alu instid0(VALU_DEP_1)
	v_cmpx_ne_u16_e32 0, v2
	s_cbranch_execz .LBB370_82
; %bb.75:                               ;   in Loop: Header=BB370_10 Depth=1
	v_cmp_ne_u16_e64 s1, 0x80, v2
	v_bfrev_b32_e32 v2, 1
	scratch_store_b64 off, v[2:3], s32 offset:216 ; 8-byte Folded Spill
	s_wait_xcnt 0x0
	s_and_saveexec_b32 s16, s1
	s_cbranch_execz .LBB370_81
; %bb.76:                               ;   in Loop: Header=BB370_10 Depth=1
	v_and_b32_e32 v2, 0x7f, v0
	v_mov_b32_e32 v4, 0x7f800001
	s_mov_b32 s17, exec_lo
	scratch_store_b64 off, v[4:5], s32 offset:216 ; 8-byte Folded Spill
	s_wait_xcnt 0x0
	v_cmpx_ne_u32_e32 0x7f, v2
	s_cbranch_execz .LBB370_80
; %bb.77:                               ;   in Loop: Header=BB370_10 Depth=1
	v_lshrrev_b32_e32 v4, 3, v2
	v_cmp_gt_u32_e64 s1, 8, v2
	v_mov_b64_e32 v[2:3], v[0:1]
	s_and_saveexec_b32 s18, s1
; %bb.78:                               ;   in Loop: Header=BB370_10 Depth=1
	v_and_b32_e32 v2, 7, v0
	s_delay_alu instid0(VALU_DEP_1) | instskip(NEXT) | instid1(VALU_DEP_1)
	v_clz_i32_u32_e32 v2, v2
	v_min_u32_e32 v4, 32, v2
	s_delay_alu instid0(VALU_DEP_1) | instskip(SKIP_1) | instid1(VALU_DEP_2)
	v_subrev_nc_u32_e32 v2, 28, v4
	v_sub_nc_u32_e32 v4, 29, v4
	v_lshlrev_b64_e32 v[2:3], v2, v[0:1]
; %bb.79:                               ;   in Loop: Header=BB370_10 Depth=1
	s_or_b32 exec_lo, exec_lo, s18
	s_delay_alu instid0(VALU_DEP_1) | instskip(NEXT) | instid1(VALU_DEP_3)
	v_dual_lshlrev_b32 v2, 20, v2 :: v_dual_lshlrev_b32 v3, 24, v0
	v_lshl_add_u32 v4, v4, 23, 0x3c000000
	s_delay_alu instid0(VALU_DEP_2) | instskip(NEXT) | instid1(VALU_DEP_3)
	v_and_b32_e32 v2, 0x700000, v2
	v_and_b32_e32 v3, 0x80000000, v3
	s_delay_alu instid0(VALU_DEP_1)
	v_or3_b32 v2, v2, v3, v4
	scratch_store_b64 off, v[2:3], s32 offset:216 ; 8-byte Folded Spill
.LBB370_80:                             ;   in Loop: Header=BB370_10 Depth=1
	s_wait_xcnt 0x0
	s_or_b32 exec_lo, exec_lo, s17
.LBB370_81:                             ;   in Loop: Header=BB370_10 Depth=1
	s_delay_alu instid0(SALU_CYCLE_1)
	s_or_b32 exec_lo, exec_lo, s16
.LBB370_82:                             ;   in Loop: Header=BB370_10 Depth=1
	s_delay_alu instid0(SALU_CYCLE_1)
	s_or_b32 exec_lo, exec_lo, s11
	v_mov_b32_e32 v4, 0
	v_lshrrev_b16 v2, 8, v0
	s_mov_b32 s11, exec_lo
	s_clause 0x1
	scratch_store_b64 off, v[4:5], s32 offset:224
	scratch_load_b64 v[4:5], off, s32 offset:216
	s_wait_loadcnt 0x0
	v_mov_b32_e32 v5, 0
	scratch_store_b64 off, v[4:5], s32 offset:216 ; 8-byte Folded Spill
	s_wait_xcnt 0x0
	v_cmpx_ne_u16_e32 0, v2
	s_cbranch_execz .LBB370_90
; %bb.83:                               ;   in Loop: Header=BB370_10 Depth=1
	scratch_load_b64 v[4:5], off, s32 offset:216 ; 8-byte Folded Reload
	s_wait_loadcnt 0x0
	v_bfrev_b32_e32 v5, 1
	s_mov_b32 s16, exec_lo
	scratch_store_b64 off, v[4:5], s32 offset:216 ; 8-byte Folded Spill
	s_wait_xcnt 0x0
	v_cmpx_ne_u16_e32 0x80, v2
	s_cbranch_execz .LBB370_89
; %bb.84:                               ;   in Loop: Header=BB370_10 Depth=1
	scratch_load_b64 v[4:5], off, s32 offset:216 ; 8-byte Folded Reload
	v_and_b32_e32 v3, 0xffff, v2
	s_wait_loadcnt 0x0
	v_mov_b32_e32 v5, 0x7f800001
	s_mov_b32 s17, exec_lo
	s_delay_alu instid0(VALU_DEP_2)
	v_and_b32_e32 v2, 0x7f, v3
	scratch_store_b64 off, v[4:5], s32 offset:216 ; 8-byte Folded Spill
	s_wait_xcnt 0x0
	v_cmpx_ne_u32_e32 0x7f, v2
	s_cbranch_execz .LBB370_88
; %bb.85:                               ;   in Loop: Header=BB370_10 Depth=1
	v_dual_lshrrev_b32 v4, 3, v2 :: v_dual_bitop2_b32 v16, 7, v3 bitop3:0x40
	v_cmp_gt_u32_e64 s1, 8, v2
	s_delay_alu instid0(VALU_DEP_2)
	v_mov_b64_e32 v[2:3], v[16:17]
	s_and_saveexec_b32 s18, s1
; %bb.86:                               ;   in Loop: Header=BB370_10 Depth=1
	v_clz_i32_u32_e32 v2, v16
	s_delay_alu instid0(VALU_DEP_1) | instskip(NEXT) | instid1(VALU_DEP_1)
	v_min_u32_e32 v4, 32, v2
	v_subrev_nc_u32_e32 v2, 28, v4
	s_delay_alu instid0(VALU_DEP_1) | instskip(NEXT) | instid1(VALU_DEP_1)
	v_lshlrev_b64_e32 v[2:3], v2, v[16:17]
	v_dual_sub_nc_u32 v4, 29, v4 :: v_dual_bitop2_b32 v2, 7, v2 bitop3:0x40
; %bb.87:                               ;   in Loop: Header=BB370_10 Depth=1
	s_or_b32 exec_lo, exec_lo, s18
	scratch_load_b64 v[6:7], off, s32 offset:216 ; 8-byte Folded Reload
	v_dual_lshlrev_b32 v3, 16, v0 :: v_dual_lshlrev_b32 v2, 20, v2
	v_lshl_add_u32 v4, v4, 23, 0x3c000000
	s_delay_alu instid0(VALU_DEP_2) | instskip(SKIP_1) | instid1(VALU_DEP_1)
	v_and_b32_e32 v3, 0x80000000, v3
	s_wait_loadcnt 0x0
	v_or3_b32 v7, v2, v3, v4
	scratch_store_b64 off, v[6:7], s32 offset:216 ; 8-byte Folded Spill
.LBB370_88:                             ;   in Loop: Header=BB370_10 Depth=1
	s_wait_xcnt 0x0
	s_or_b32 exec_lo, exec_lo, s17
.LBB370_89:                             ;   in Loop: Header=BB370_10 Depth=1
	s_delay_alu instid0(SALU_CYCLE_1)
	s_or_b32 exec_lo, exec_lo, s16
.LBB370_90:                             ;   in Loop: Header=BB370_10 Depth=1
	s_delay_alu instid0(SALU_CYCLE_1) | instskip(SKIP_2) | instid1(VALU_DEP_1)
	s_or_b32 exec_lo, exec_lo, s11
	v_lshrrev_b32_e32 v4, 16, v0
	s_mov_b32 s11, exec_lo
	v_and_b32_e32 v2, 0xff, v4
	s_delay_alu instid0(VALU_DEP_1)
	v_cmpx_ne_u16_e32 0, v2
	s_cbranch_execz .LBB370_98
; %bb.91:                               ;   in Loop: Header=BB370_10 Depth=1
	v_cmp_ne_u16_e64 s1, 0x80, v2
	v_bfrev_b32_e32 v2, 1
	scratch_store_b64 off, v[2:3], s32 offset:224 ; 8-byte Folded Spill
	s_wait_xcnt 0x0
	s_and_saveexec_b32 s16, s1
	s_cbranch_execz .LBB370_97
; %bb.92:                               ;   in Loop: Header=BB370_10 Depth=1
	v_bfe_u32 v2, v0, 16, 7
	v_mov_b32_e32 v6, 0x7f800001
	s_mov_b32 s17, exec_lo
	scratch_store_b64 off, v[6:7], s32 offset:224 ; 8-byte Folded Spill
	s_wait_xcnt 0x0
	v_cmpx_ne_u32_e32 0x7f, v2
	s_cbranch_execz .LBB370_96
; %bb.93:                               ;   in Loop: Header=BB370_10 Depth=1
	v_dual_lshrrev_b32 v5, 3, v2 :: v_dual_bitop2_b32 v16, 7, v4 bitop3:0x40
	v_cmp_gt_u32_e64 s1, 8, v2
	s_delay_alu instid0(VALU_DEP_2)
	v_mov_b64_e32 v[2:3], v[16:17]
	s_and_saveexec_b32 s18, s1
; %bb.94:                               ;   in Loop: Header=BB370_10 Depth=1
	v_clz_i32_u32_e32 v2, v16
	s_delay_alu instid0(VALU_DEP_1) | instskip(NEXT) | instid1(VALU_DEP_1)
	v_min_u32_e32 v5, 32, v2
	v_subrev_nc_u32_e32 v2, 28, v5
	s_delay_alu instid0(VALU_DEP_1) | instskip(NEXT) | instid1(VALU_DEP_1)
	v_lshlrev_b64_e32 v[2:3], v2, v[16:17]
	v_dual_sub_nc_u32 v5, 29, v5 :: v_dual_bitop2_b32 v2, 7, v2 bitop3:0x40
; %bb.95:                               ;   in Loop: Header=BB370_10 Depth=1
	s_or_b32 exec_lo, exec_lo, s18
	s_delay_alu instid0(VALU_DEP_1) | instskip(NEXT) | instid1(VALU_DEP_2)
	v_dual_lshlrev_b32 v3, 24, v4 :: v_dual_lshlrev_b32 v2, 20, v2
	v_lshl_add_u32 v4, v5, 23, 0x3c000000
	s_delay_alu instid0(VALU_DEP_2) | instskip(NEXT) | instid1(VALU_DEP_1)
	v_and_b32_e32 v3, 0x80000000, v3
	v_or3_b32 v2, v2, v3, v4
	scratch_store_b64 off, v[2:3], s32 offset:224 ; 8-byte Folded Spill
.LBB370_96:                             ;   in Loop: Header=BB370_10 Depth=1
	s_wait_xcnt 0x0
	s_or_b32 exec_lo, exec_lo, s17
.LBB370_97:                             ;   in Loop: Header=BB370_10 Depth=1
	s_delay_alu instid0(SALU_CYCLE_1)
	s_or_b32 exec_lo, exec_lo, s16
.LBB370_98:                             ;   in Loop: Header=BB370_10 Depth=1
	s_delay_alu instid0(SALU_CYCLE_1)
	s_or_b32 exec_lo, exec_lo, s11
	v_mov_b32_e32 v2, 0
	s_mov_b32 s11, exec_lo
	s_clause 0x1
	scratch_store_b64 off, v[2:3], s32 offset:232
	scratch_load_b64 v[2:3], off, s32 offset:224
	s_wait_loadcnt 0x0
	v_mov_b32_e32 v3, 0
	scratch_store_b64 off, v[2:3], s32 offset:224 ; 8-byte Folded Spill
	s_wait_xcnt 0x0
	v_cmpx_lt_u32_e32 0xffffff, v0
	s_cbranch_execz .LBB370_106
; %bb.99:                               ;   in Loop: Header=BB370_10 Depth=1
	scratch_load_b64 v[2:3], off, s32 offset:224 ; 8-byte Folded Reload
	v_lshrrev_b32_e32 v4, 24, v0
	s_wait_loadcnt 0x0
	v_bfrev_b32_e32 v3, 1
	s_mov_b32 s16, exec_lo
	scratch_store_b64 off, v[2:3], s32 offset:224 ; 8-byte Folded Spill
	s_wait_xcnt 0x0
	v_cmpx_ne_u32_e32 0x80, v4
	s_cbranch_execz .LBB370_105
; %bb.100:                              ;   in Loop: Header=BB370_10 Depth=1
	scratch_load_b64 v[6:7], off, s32 offset:224 ; 8-byte Folded Reload
	v_bfe_u32 v2, v0, 24, 7
	s_wait_loadcnt 0x0
	v_mov_b32_e32 v7, 0x7f800001
	s_mov_b32 s17, exec_lo
	scratch_store_b64 off, v[6:7], s32 offset:224 ; 8-byte Folded Spill
	s_wait_xcnt 0x0
	v_cmpx_ne_u32_e32 0x7f, v2
	s_cbranch_execz .LBB370_104
; %bb.101:                              ;   in Loop: Header=BB370_10 Depth=1
	v_dual_lshrrev_b32 v5, 3, v2 :: v_dual_bitop2_b32 v16, 7, v4 bitop3:0x40
	v_cmp_gt_u32_e64 s1, 8, v2
	s_delay_alu instid0(VALU_DEP_2)
	v_mov_b64_e32 v[2:3], v[16:17]
	s_and_saveexec_b32 s18, s1
; %bb.102:                              ;   in Loop: Header=BB370_10 Depth=1
	v_clz_i32_u32_e32 v2, v16
	s_delay_alu instid0(VALU_DEP_1) | instskip(NEXT) | instid1(VALU_DEP_1)
	v_min_u32_e32 v5, 32, v2
	v_subrev_nc_u32_e32 v2, 28, v5
	s_delay_alu instid0(VALU_DEP_1) | instskip(NEXT) | instid1(VALU_DEP_1)
	v_lshlrev_b64_e32 v[2:3], v2, v[16:17]
	v_dual_sub_nc_u32 v5, 29, v5 :: v_dual_bitop2_b32 v2, 7, v2 bitop3:0x40
; %bb.103:                              ;   in Loop: Header=BB370_10 Depth=1
	s_or_b32 exec_lo, exec_lo, s18
	scratch_load_b64 v[6:7], off, s32 offset:224 ; 8-byte Folded Reload
	v_dual_lshlrev_b32 v3, 24, v4 :: v_dual_lshlrev_b32 v2, 20, v2
	v_lshl_add_u32 v4, v5, 23, 0x3c000000
	s_delay_alu instid0(VALU_DEP_2) | instskip(SKIP_1) | instid1(VALU_DEP_1)
	v_and_b32_e32 v3, 0x80000000, v3
	s_wait_loadcnt 0x0
	v_or3_b32 v7, v2, v3, v4
	scratch_store_b64 off, v[6:7], s32 offset:224 ; 8-byte Folded Spill
.LBB370_104:                            ;   in Loop: Header=BB370_10 Depth=1
	s_wait_xcnt 0x0
	s_or_b32 exec_lo, exec_lo, s17
.LBB370_105:                            ;   in Loop: Header=BB370_10 Depth=1
	s_delay_alu instid0(SALU_CYCLE_1)
	s_or_b32 exec_lo, exec_lo, s16
.LBB370_106:                            ;   in Loop: Header=BB370_10 Depth=1
	s_delay_alu instid0(SALU_CYCLE_1) | instskip(SKIP_3) | instid1(VALU_DEP_2)
	s_or_b32 exec_lo, exec_lo, s11
	v_and_b32_e32 v2, 0xff, v1
	v_mov_b32_e32 v16, v1
	s_mov_b32 s11, exec_lo
	v_cmpx_ne_u16_e32 0, v2
	s_cbranch_execz .LBB370_114
; %bb.107:                              ;   in Loop: Header=BB370_10 Depth=1
	v_cmp_ne_u16_e64 s1, 0x80, v2
	v_bfrev_b32_e32 v2, 1
	scratch_store_b64 off, v[2:3], s32 offset:232 ; 8-byte Folded Spill
	s_wait_xcnt 0x0
	s_and_saveexec_b32 s16, s1
	s_cbranch_execz .LBB370_113
; %bb.108:                              ;   in Loop: Header=BB370_10 Depth=1
	v_and_b32_e32 v2, 0x7f, v1
	v_mov_b32_e32 v4, 0x7f800001
	s_mov_b32 s17, exec_lo
	scratch_store_b64 off, v[4:5], s32 offset:232 ; 8-byte Folded Spill
	s_wait_xcnt 0x0
	v_cmpx_ne_u32_e32 0x7f, v2
	s_cbranch_execz .LBB370_112
; %bb.109:                              ;   in Loop: Header=BB370_10 Depth=1
	v_lshrrev_b32_e32 v4, 3, v2
	v_cmp_gt_u32_e64 s1, 8, v2
	v_mov_b64_e32 v[2:3], v[16:17]
	s_and_saveexec_b32 s18, s1
; %bb.110:                              ;   in Loop: Header=BB370_10 Depth=1
	v_and_b32_e32 v2, 7, v1
	s_delay_alu instid0(VALU_DEP_1) | instskip(NEXT) | instid1(VALU_DEP_1)
	v_clz_i32_u32_e32 v2, v2
	v_min_u32_e32 v4, 32, v2
	s_delay_alu instid0(VALU_DEP_1) | instskip(SKIP_1) | instid1(VALU_DEP_2)
	v_subrev_nc_u32_e32 v2, 28, v4
	v_sub_nc_u32_e32 v4, 29, v4
	v_lshlrev_b64_e32 v[2:3], v2, v[16:17]
; %bb.111:                              ;   in Loop: Header=BB370_10 Depth=1
	s_or_b32 exec_lo, exec_lo, s18
	s_delay_alu instid0(VALU_DEP_1) | instskip(NEXT) | instid1(VALU_DEP_3)
	v_dual_lshlrev_b32 v2, 20, v2 :: v_dual_lshlrev_b32 v3, 24, v16
	v_lshl_add_u32 v4, v4, 23, 0x3c000000
	s_delay_alu instid0(VALU_DEP_2) | instskip(NEXT) | instid1(VALU_DEP_3)
	v_and_b32_e32 v2, 0x700000, v2
	v_and_b32_e32 v3, 0x80000000, v3
	s_delay_alu instid0(VALU_DEP_1)
	v_or3_b32 v2, v2, v3, v4
	scratch_store_b64 off, v[2:3], s32 offset:232 ; 8-byte Folded Spill
.LBB370_112:                            ;   in Loop: Header=BB370_10 Depth=1
	s_wait_xcnt 0x0
	s_or_b32 exec_lo, exec_lo, s17
.LBB370_113:                            ;   in Loop: Header=BB370_10 Depth=1
	s_delay_alu instid0(SALU_CYCLE_1)
	s_or_b32 exec_lo, exec_lo, s16
.LBB370_114:                            ;   in Loop: Header=BB370_10 Depth=1
	s_delay_alu instid0(SALU_CYCLE_1)
	s_or_b32 exec_lo, exec_lo, s11
	v_mov_b32_e32 v4, 0
	v_lshrrev_b16 v2, 8, v16
	s_mov_b32 s11, exec_lo
	s_clause 0x1
	scratch_store_b64 off, v[4:5], s32 offset:240
	scratch_load_b64 v[4:5], off, s32 offset:232
	s_wait_loadcnt 0x0
	v_mov_b32_e32 v5, 0
	scratch_store_b64 off, v[4:5], s32 offset:232 ; 8-byte Folded Spill
	s_wait_xcnt 0x0
	v_cmpx_ne_u16_e32 0, v2
	s_cbranch_execz .LBB370_122
; %bb.115:                              ;   in Loop: Header=BB370_10 Depth=1
	scratch_load_b64 v[4:5], off, s32 offset:232 ; 8-byte Folded Reload
	s_wait_loadcnt 0x0
	v_bfrev_b32_e32 v5, 1
	s_mov_b32 s16, exec_lo
	scratch_store_b64 off, v[4:5], s32 offset:232 ; 8-byte Folded Spill
	s_wait_xcnt 0x0
	v_cmpx_ne_u16_e32 0x80, v2
	s_cbranch_execz .LBB370_121
; %bb.116:                              ;   in Loop: Header=BB370_10 Depth=1
	scratch_load_b64 v[6:7], off, s32 offset:232 ; 8-byte Folded Reload
	v_and_b32_e32 v2, 0xffff, v2
	s_wait_loadcnt 0x0
	v_mov_b32_e32 v7, 0x7f800001
	s_mov_b32 s17, exec_lo
	s_delay_alu instid0(VALU_DEP_2)
	v_and_b32_e32 v5, 0x7f, v2
	scratch_store_b64 off, v[6:7], s32 offset:232 ; 8-byte Folded Spill
	s_wait_xcnt 0x0
	v_cmpx_ne_u32_e32 0x7f, v5
	s_cbranch_execz .LBB370_120
; %bb.117:                              ;   in Loop: Header=BB370_10 Depth=1
	v_dual_mov_b32 v3, v17 :: v_dual_bitop2_b32 v2, 7, v2 bitop3:0x40
	v_lshrrev_b32_e32 v4, 3, v5
	s_mov_b32 s18, exec_lo
	v_cmpx_gt_u32_e32 8, v5
; %bb.118:                              ;   in Loop: Header=BB370_10 Depth=1
	s_delay_alu instid0(VALU_DEP_3) | instskip(NEXT) | instid1(VALU_DEP_1)
	v_clz_i32_u32_e32 v4, v2
	v_min_u32_e32 v4, 32, v4
	s_delay_alu instid0(VALU_DEP_1) | instskip(NEXT) | instid1(VALU_DEP_1)
	v_subrev_nc_u32_e32 v5, 28, v4
	v_lshlrev_b64_e32 v[2:3], v5, v[2:3]
	s_delay_alu instid0(VALU_DEP_1)
	v_dual_sub_nc_u32 v4, 29, v4 :: v_dual_bitop2_b32 v2, 7, v2 bitop3:0x40
; %bb.119:                              ;   in Loop: Header=BB370_10 Depth=1
	s_or_b32 exec_lo, exec_lo, s18
	scratch_load_b64 v[6:7], off, s32 offset:232 ; 8-byte Folded Reload
	v_dual_lshlrev_b32 v3, 16, v16 :: v_dual_lshlrev_b32 v2, 20, v2
	v_lshl_add_u32 v4, v4, 23, 0x3c000000
	s_delay_alu instid0(VALU_DEP_2) | instskip(SKIP_1) | instid1(VALU_DEP_1)
	v_and_b32_e32 v3, 0x80000000, v3
	s_wait_loadcnt 0x0
	v_or3_b32 v7, v2, v3, v4
	scratch_store_b64 off, v[6:7], s32 offset:232 ; 8-byte Folded Spill
.LBB370_120:                            ;   in Loop: Header=BB370_10 Depth=1
	s_wait_xcnt 0x0
	s_or_b32 exec_lo, exec_lo, s17
.LBB370_121:                            ;   in Loop: Header=BB370_10 Depth=1
	s_delay_alu instid0(SALU_CYCLE_1)
	s_or_b32 exec_lo, exec_lo, s16
.LBB370_122:                            ;   in Loop: Header=BB370_10 Depth=1
	s_delay_alu instid0(SALU_CYCLE_1) | instskip(SKIP_2) | instid1(VALU_DEP_1)
	s_or_b32 exec_lo, exec_lo, s11
	v_lshrrev_b32_e32 v4, 16, v1
	s_mov_b32 s11, exec_lo
	v_and_b32_e32 v2, 0xff, v4
	s_delay_alu instid0(VALU_DEP_1)
	v_cmpx_ne_u16_e32 0, v2
	s_cbranch_execz .LBB370_130
; %bb.123:                              ;   in Loop: Header=BB370_10 Depth=1
	v_cmp_ne_u16_e64 s1, 0x80, v2
	v_bfrev_b32_e32 v2, 1
	scratch_store_b64 off, v[2:3], s32 offset:240 ; 8-byte Folded Spill
	s_wait_xcnt 0x0
	s_and_saveexec_b32 s16, s1
	s_cbranch_execz .LBB370_129
; %bb.124:                              ;   in Loop: Header=BB370_10 Depth=1
	v_bfe_u32 v2, v1, 16, 7
	v_mov_b32_e32 v6, 0x7f800001
	s_mov_b32 s17, exec_lo
	scratch_store_b64 off, v[6:7], s32 offset:240 ; 8-byte Folded Spill
	s_wait_xcnt 0x0
	v_cmpx_ne_u32_e32 0x7f, v2
	s_cbranch_execz .LBB370_128
; %bb.125:                              ;   in Loop: Header=BB370_10 Depth=1
	v_dual_lshrrev_b32 v5, 3, v2 :: v_dual_bitop2_b32 v16, 7, v4 bitop3:0x40
	v_cmp_gt_u32_e64 s1, 8, v2
	s_delay_alu instid0(VALU_DEP_2)
	v_mov_b64_e32 v[2:3], v[16:17]
	s_and_saveexec_b32 s18, s1
; %bb.126:                              ;   in Loop: Header=BB370_10 Depth=1
	v_clz_i32_u32_e32 v2, v16
	s_delay_alu instid0(VALU_DEP_1) | instskip(NEXT) | instid1(VALU_DEP_1)
	v_min_u32_e32 v5, 32, v2
	v_subrev_nc_u32_e32 v2, 28, v5
	s_delay_alu instid0(VALU_DEP_1) | instskip(NEXT) | instid1(VALU_DEP_1)
	v_lshlrev_b64_e32 v[2:3], v2, v[16:17]
	v_dual_sub_nc_u32 v5, 29, v5 :: v_dual_bitop2_b32 v2, 7, v2 bitop3:0x40
; %bb.127:                              ;   in Loop: Header=BB370_10 Depth=1
	s_or_b32 exec_lo, exec_lo, s18
	s_delay_alu instid0(VALU_DEP_1) | instskip(NEXT) | instid1(VALU_DEP_2)
	v_dual_lshlrev_b32 v3, 24, v4 :: v_dual_lshlrev_b32 v2, 20, v2
	v_lshl_add_u32 v4, v5, 23, 0x3c000000
	s_delay_alu instid0(VALU_DEP_2) | instskip(NEXT) | instid1(VALU_DEP_1)
	v_and_b32_e32 v3, 0x80000000, v3
	v_or3_b32 v2, v2, v3, v4
	scratch_store_b64 off, v[2:3], s32 offset:240 ; 8-byte Folded Spill
.LBB370_128:                            ;   in Loop: Header=BB370_10 Depth=1
	s_wait_xcnt 0x0
	s_or_b32 exec_lo, exec_lo, s17
.LBB370_129:                            ;   in Loop: Header=BB370_10 Depth=1
	s_delay_alu instid0(SALU_CYCLE_1)
	s_or_b32 exec_lo, exec_lo, s16
.LBB370_130:                            ;   in Loop: Header=BB370_10 Depth=1
	s_delay_alu instid0(SALU_CYCLE_1)
	s_or_b32 exec_lo, exec_lo, s11
	scratch_load_b64 v[2:3], off, s32 offset:240 ; 8-byte Folded Reload
	s_wait_loadcnt 0x0
	v_dual_mov_b32 v47, 0 :: v_dual_mov_b32 v3, 0
	s_mov_b32 s11, exec_lo
	scratch_store_b64 off, v[2:3], s32 offset:240 ; 8-byte Folded Spill
	s_wait_xcnt 0x0
	v_cmpx_lt_u64_e64 s[2:3], v[0:1]
	s_cbranch_execz .LBB370_138
; %bb.131:                              ;   in Loop: Header=BB370_10 Depth=1
	scratch_load_b64 v[4:5], off, s32 offset:240 ; 8-byte Folded Reload
	v_lshrrev_b32_e32 v2, 24, v1
	s_wait_loadcnt 0x0
	v_bfrev_b32_e32 v5, 1
	s_mov_b32 s16, exec_lo
	scratch_store_b64 off, v[4:5], s32 offset:240 ; 8-byte Folded Spill
	s_wait_xcnt 0x0
	v_cmpx_ne_u32_e32 0x80, v2
	s_cbranch_execz .LBB370_137
; %bb.132:                              ;   in Loop: Header=BB370_10 Depth=1
	scratch_load_b64 v[4:5], off, s32 offset:240 ; 8-byte Folded Reload
	v_bfe_u32 v0, v1, 24, 7
	s_wait_loadcnt 0x0
	v_mov_b32_e32 v5, 0x7f800001
	s_mov_b32 s17, exec_lo
	scratch_store_b64 off, v[4:5], s32 offset:240 ; 8-byte Folded Spill
	s_wait_xcnt 0x0
	v_cmpx_ne_u32_e32 0x7f, v0
	s_cbranch_execz .LBB370_136
; %bb.133:                              ;   in Loop: Header=BB370_10 Depth=1
	v_dual_lshrrev_b32 v3, 3, v0 :: v_dual_bitop2_b32 v16, 7, v2 bitop3:0x40
	v_cmp_gt_u32_e64 s1, 8, v0
	s_delay_alu instid0(VALU_DEP_2)
	v_mov_b64_e32 v[0:1], v[16:17]
	s_and_saveexec_b32 s18, s1
; %bb.134:                              ;   in Loop: Header=BB370_10 Depth=1
	v_clz_i32_u32_e32 v0, v16
	s_delay_alu instid0(VALU_DEP_1) | instskip(NEXT) | instid1(VALU_DEP_1)
	v_min_u32_e32 v3, 32, v0
	v_subrev_nc_u32_e32 v0, 28, v3
	s_delay_alu instid0(VALU_DEP_1) | instskip(NEXT) | instid1(VALU_DEP_1)
	v_lshlrev_b64_e32 v[0:1], v0, v[16:17]
	v_dual_sub_nc_u32 v3, 29, v3 :: v_dual_bitop2_b32 v0, 7, v0 bitop3:0x40
; %bb.135:                              ;   in Loop: Header=BB370_10 Depth=1
	s_or_b32 exec_lo, exec_lo, s18
	scratch_load_b64 v[4:5], off, s32 offset:240 ; 8-byte Folded Reload
	v_dual_lshlrev_b32 v1, 24, v2 :: v_dual_lshlrev_b32 v0, 20, v0
	v_lshl_add_u32 v2, v3, 23, 0x3c000000
	s_delay_alu instid0(VALU_DEP_2) | instskip(SKIP_1) | instid1(VALU_DEP_1)
	v_and_b32_e32 v1, 0x80000000, v1
	s_wait_loadcnt 0x0
	v_or3_b32 v5, v0, v1, v2
	scratch_store_b64 off, v[4:5], s32 offset:240 ; 8-byte Folded Spill
.LBB370_136:                            ;   in Loop: Header=BB370_10 Depth=1
	s_wait_xcnt 0x0
	s_or_b32 exec_lo, exec_lo, s17
.LBB370_137:                            ;   in Loop: Header=BB370_10 Depth=1
	s_delay_alu instid0(SALU_CYCLE_1)
	s_or_b32 exec_lo, exec_lo, s16
.LBB370_138:                            ;   in Loop: Header=BB370_10 Depth=1
	s_delay_alu instid0(SALU_CYCLE_1)
	s_or_b32 exec_lo, exec_lo, s11
	flat_load_b64 v[0:1], v[32:33] offset:512
	s_mov_b32 s11, exec_lo
	s_wait_loadcnt_dscnt 0x0
	v_and_b32_e32 v2, 0xff, v0
	s_wait_xcnt 0x0
	s_delay_alu instid0(VALU_DEP_1)
	v_cmpx_ne_u16_e32 0, v2
	s_cbranch_execz .LBB370_146
; %bb.139:                              ;   in Loop: Header=BB370_10 Depth=1
	v_bfrev_b32_e32 v47, 1
	s_mov_b32 s16, exec_lo
	v_cmpx_ne_u16_e32 0x80, v2
	s_cbranch_execz .LBB370_145
; %bb.140:                              ;   in Loop: Header=BB370_10 Depth=1
	v_and_b32_e32 v2, 0x7f, v0
	v_mov_b32_e32 v47, 0x7f800001
	s_mov_b32 s17, exec_lo
	s_delay_alu instid0(VALU_DEP_2)
	v_cmpx_ne_u32_e32 0x7f, v2
	s_cbranch_execz .LBB370_144
; %bb.141:                              ;   in Loop: Header=BB370_10 Depth=1
	v_lshrrev_b32_e32 v4, 3, v2
	v_cmp_gt_u32_e64 s1, 8, v2
	v_mov_b64_e32 v[2:3], v[0:1]
	s_and_saveexec_b32 s18, s1
; %bb.142:                              ;   in Loop: Header=BB370_10 Depth=1
	v_and_b32_e32 v2, 7, v0
	s_delay_alu instid0(VALU_DEP_1) | instskip(NEXT) | instid1(VALU_DEP_1)
	v_clz_i32_u32_e32 v2, v2
	v_min_u32_e32 v4, 32, v2
	s_delay_alu instid0(VALU_DEP_1) | instskip(SKIP_1) | instid1(VALU_DEP_2)
	v_subrev_nc_u32_e32 v2, 28, v4
	v_sub_nc_u32_e32 v4, 29, v4
	v_lshlrev_b64_e32 v[2:3], v2, v[0:1]
; %bb.143:                              ;   in Loop: Header=BB370_10 Depth=1
	s_or_b32 exec_lo, exec_lo, s18
	s_delay_alu instid0(VALU_DEP_1) | instskip(NEXT) | instid1(VALU_DEP_3)
	v_dual_lshlrev_b32 v2, 20, v2 :: v_dual_lshlrev_b32 v3, 24, v0
	v_lshl_add_u32 v4, v4, 23, 0x3c000000
	s_delay_alu instid0(VALU_DEP_2) | instskip(NEXT) | instid1(VALU_DEP_3)
	v_and_b32_e32 v2, 0x700000, v2
	v_and_b32_e32 v3, 0x80000000, v3
	s_delay_alu instid0(VALU_DEP_1)
	v_or3_b32 v47, v2, v3, v4
.LBB370_144:                            ;   in Loop: Header=BB370_10 Depth=1
	s_or_b32 exec_lo, exec_lo, s17
.LBB370_145:                            ;   in Loop: Header=BB370_10 Depth=1
	s_delay_alu instid0(SALU_CYCLE_1)
	s_or_b32 exec_lo, exec_lo, s16
.LBB370_146:                            ;   in Loop: Header=BB370_10 Depth=1
	s_delay_alu instid0(SALU_CYCLE_1) | instskip(SKIP_3) | instid1(VALU_DEP_2)
	s_or_b32 exec_lo, exec_lo, s11
	v_lshrrev_b16 v2, 8, v0
	v_dual_mov_b32 v56, 0 :: v_dual_mov_b32 v61, 0
	s_mov_b32 s11, exec_lo
	v_cmpx_ne_u16_e32 0, v2
	s_cbranch_execz .LBB370_154
; %bb.147:                              ;   in Loop: Header=BB370_10 Depth=1
	v_bfrev_b32_e32 v61, 1
	s_mov_b32 s16, exec_lo
	v_cmpx_ne_u16_e32 0x80, v2
	s_cbranch_execz .LBB370_153
; %bb.148:                              ;   in Loop: Header=BB370_10 Depth=1
	v_and_b32_e32 v3, 0xffff, v2
	v_mov_b32_e32 v61, 0x7f800001
	s_mov_b32 s17, exec_lo
	s_delay_alu instid0(VALU_DEP_2) | instskip(NEXT) | instid1(VALU_DEP_1)
	v_and_b32_e32 v2, 0x7f, v3
	v_cmpx_ne_u32_e32 0x7f, v2
	s_cbranch_execz .LBB370_152
; %bb.149:                              ;   in Loop: Header=BB370_10 Depth=1
	v_dual_lshrrev_b32 v4, 3, v2 :: v_dual_bitop2_b32 v16, 7, v3 bitop3:0x40
	v_cmp_gt_u32_e64 s1, 8, v2
	s_delay_alu instid0(VALU_DEP_2)
	v_mov_b64_e32 v[2:3], v[16:17]
	s_and_saveexec_b32 s18, s1
; %bb.150:                              ;   in Loop: Header=BB370_10 Depth=1
	v_clz_i32_u32_e32 v2, v16
	s_delay_alu instid0(VALU_DEP_1) | instskip(NEXT) | instid1(VALU_DEP_1)
	v_min_u32_e32 v4, 32, v2
	v_subrev_nc_u32_e32 v2, 28, v4
	s_delay_alu instid0(VALU_DEP_1) | instskip(NEXT) | instid1(VALU_DEP_1)
	v_lshlrev_b64_e32 v[2:3], v2, v[16:17]
	v_dual_sub_nc_u32 v4, 29, v4 :: v_dual_bitop2_b32 v2, 7, v2 bitop3:0x40
; %bb.151:                              ;   in Loop: Header=BB370_10 Depth=1
	s_or_b32 exec_lo, exec_lo, s18
	s_delay_alu instid0(VALU_DEP_1) | instskip(NEXT) | instid1(VALU_DEP_2)
	v_dual_lshlrev_b32 v3, 16, v0 :: v_dual_lshlrev_b32 v2, 20, v2
	v_lshl_add_u32 v4, v4, 23, 0x3c000000
	s_delay_alu instid0(VALU_DEP_2) | instskip(NEXT) | instid1(VALU_DEP_1)
	v_and_b32_e32 v3, 0x80000000, v3
	v_or3_b32 v61, v2, v3, v4
.LBB370_152:                            ;   in Loop: Header=BB370_10 Depth=1
	s_or_b32 exec_lo, exec_lo, s17
.LBB370_153:                            ;   in Loop: Header=BB370_10 Depth=1
	s_delay_alu instid0(SALU_CYCLE_1)
	s_or_b32 exec_lo, exec_lo, s16
.LBB370_154:                            ;   in Loop: Header=BB370_10 Depth=1
	s_delay_alu instid0(SALU_CYCLE_1) | instskip(SKIP_2) | instid1(VALU_DEP_1)
	s_or_b32 exec_lo, exec_lo, s11
	v_lshrrev_b32_e32 v4, 16, v0
	s_mov_b32 s11, exec_lo
	v_and_b32_e32 v2, 0xff, v4
	s_delay_alu instid0(VALU_DEP_1)
	v_cmpx_ne_u16_e32 0, v2
	s_cbranch_execz .LBB370_162
; %bb.155:                              ;   in Loop: Header=BB370_10 Depth=1
	v_bfrev_b32_e32 v56, 1
	s_mov_b32 s16, exec_lo
	v_cmpx_ne_u16_e32 0x80, v2
	s_cbranch_execz .LBB370_161
; %bb.156:                              ;   in Loop: Header=BB370_10 Depth=1
	v_bfe_u32 v2, v0, 16, 7
	v_mov_b32_e32 v56, 0x7f800001
	s_mov_b32 s17, exec_lo
	s_delay_alu instid0(VALU_DEP_2)
	v_cmpx_ne_u32_e32 0x7f, v2
	s_cbranch_execz .LBB370_160
; %bb.157:                              ;   in Loop: Header=BB370_10 Depth=1
	v_dual_lshrrev_b32 v5, 3, v2 :: v_dual_bitop2_b32 v16, 7, v4 bitop3:0x40
	v_cmp_gt_u32_e64 s1, 8, v2
	s_delay_alu instid0(VALU_DEP_2)
	v_mov_b64_e32 v[2:3], v[16:17]
	s_and_saveexec_b32 s18, s1
; %bb.158:                              ;   in Loop: Header=BB370_10 Depth=1
	v_clz_i32_u32_e32 v2, v16
	s_delay_alu instid0(VALU_DEP_1) | instskip(NEXT) | instid1(VALU_DEP_1)
	v_min_u32_e32 v5, 32, v2
	v_subrev_nc_u32_e32 v2, 28, v5
	s_delay_alu instid0(VALU_DEP_1) | instskip(NEXT) | instid1(VALU_DEP_1)
	v_lshlrev_b64_e32 v[2:3], v2, v[16:17]
	v_dual_sub_nc_u32 v5, 29, v5 :: v_dual_bitop2_b32 v2, 7, v2 bitop3:0x40
; %bb.159:                              ;   in Loop: Header=BB370_10 Depth=1
	s_or_b32 exec_lo, exec_lo, s18
	s_delay_alu instid0(VALU_DEP_1) | instskip(NEXT) | instid1(VALU_DEP_2)
	v_dual_lshlrev_b32 v3, 24, v4 :: v_dual_lshlrev_b32 v2, 20, v2
	v_lshl_add_u32 v4, v5, 23, 0x3c000000
	s_delay_alu instid0(VALU_DEP_2) | instskip(NEXT) | instid1(VALU_DEP_1)
	v_and_b32_e32 v3, 0x80000000, v3
	v_or3_b32 v56, v2, v3, v4
.LBB370_160:                            ;   in Loop: Header=BB370_10 Depth=1
	s_or_b32 exec_lo, exec_lo, s17
.LBB370_161:                            ;   in Loop: Header=BB370_10 Depth=1
	s_delay_alu instid0(SALU_CYCLE_1)
	s_or_b32 exec_lo, exec_lo, s16
.LBB370_162:                            ;   in Loop: Header=BB370_10 Depth=1
	s_delay_alu instid0(SALU_CYCLE_1)
	s_or_b32 exec_lo, exec_lo, s11
	v_dual_mov_b32 v75, 0 :: v_dual_mov_b32 v2, 0
	s_mov_b32 s11, exec_lo
	scratch_store_b32 off, v2, s32 offset:412 ; 4-byte Folded Spill
	s_wait_xcnt 0x0
	v_cmpx_lt_u32_e32 0xffffff, v0
	s_cbranch_execz .LBB370_170
; %bb.163:                              ;   in Loop: Header=BB370_10 Depth=1
	v_lshrrev_b32_e32 v4, 24, v0
	v_bfrev_b32_e32 v2, 1
	s_mov_b32 s16, exec_lo
	scratch_store_b32 off, v2, s32 offset:412 ; 4-byte Folded Spill
	s_wait_xcnt 0x0
	v_cmpx_ne_u32_e32 0x80, v4
	s_cbranch_execz .LBB370_169
; %bb.164:                              ;   in Loop: Header=BB370_10 Depth=1
	v_bfe_u32 v2, v0, 24, 7
	v_mov_b32_e32 v3, 0x7f800001
	s_mov_b32 s17, exec_lo
	scratch_store_b32 off, v3, s32 offset:412 ; 4-byte Folded Spill
	s_wait_xcnt 0x0
	v_cmpx_ne_u32_e32 0x7f, v2
	s_cbranch_execz .LBB370_168
; %bb.165:                              ;   in Loop: Header=BB370_10 Depth=1
	v_dual_lshrrev_b32 v5, 3, v2 :: v_dual_bitop2_b32 v16, 7, v4 bitop3:0x40
	v_cmp_gt_u32_e64 s1, 8, v2
	s_delay_alu instid0(VALU_DEP_2)
	v_mov_b64_e32 v[2:3], v[16:17]
	s_and_saveexec_b32 s18, s1
; %bb.166:                              ;   in Loop: Header=BB370_10 Depth=1
	v_clz_i32_u32_e32 v2, v16
	s_delay_alu instid0(VALU_DEP_1) | instskip(NEXT) | instid1(VALU_DEP_1)
	v_min_u32_e32 v5, 32, v2
	v_subrev_nc_u32_e32 v2, 28, v5
	s_delay_alu instid0(VALU_DEP_1) | instskip(NEXT) | instid1(VALU_DEP_1)
	v_lshlrev_b64_e32 v[2:3], v2, v[16:17]
	v_dual_sub_nc_u32 v5, 29, v5 :: v_dual_bitop2_b32 v2, 7, v2 bitop3:0x40
; %bb.167:                              ;   in Loop: Header=BB370_10 Depth=1
	s_or_b32 exec_lo, exec_lo, s18
	s_delay_alu instid0(VALU_DEP_1) | instskip(NEXT) | instid1(VALU_DEP_2)
	v_dual_lshlrev_b32 v3, 24, v4 :: v_dual_lshlrev_b32 v2, 20, v2
	v_lshl_add_u32 v4, v5, 23, 0x3c000000
	s_delay_alu instid0(VALU_DEP_2) | instskip(NEXT) | instid1(VALU_DEP_1)
	v_and_b32_e32 v3, 0x80000000, v3
	v_or3_b32 v2, v2, v3, v4
	scratch_store_b32 off, v2, s32 offset:412 ; 4-byte Folded Spill
.LBB370_168:                            ;   in Loop: Header=BB370_10 Depth=1
	s_wait_xcnt 0x0
	s_or_b32 exec_lo, exec_lo, s17
.LBB370_169:                            ;   in Loop: Header=BB370_10 Depth=1
	s_delay_alu instid0(SALU_CYCLE_1)
	s_or_b32 exec_lo, exec_lo, s16
.LBB370_170:                            ;   in Loop: Header=BB370_10 Depth=1
	s_delay_alu instid0(SALU_CYCLE_1) | instskip(SKIP_3) | instid1(VALU_DEP_2)
	s_or_b32 exec_lo, exec_lo, s11
	v_and_b32_e32 v2, 0xff, v1
	v_mov_b32_e32 v16, v1
	s_mov_b32 s11, exec_lo
	v_cmpx_ne_u16_e32 0, v2
	s_cbranch_execz .LBB370_178
; %bb.171:                              ;   in Loop: Header=BB370_10 Depth=1
	v_bfrev_b32_e32 v75, 1
	s_mov_b32 s16, exec_lo
	v_cmpx_ne_u16_e32 0x80, v2
	s_cbranch_execz .LBB370_177
; %bb.172:                              ;   in Loop: Header=BB370_10 Depth=1
	v_and_b32_e32 v2, 0x7f, v1
	v_mov_b32_e32 v75, 0x7f800001
	s_mov_b32 s17, exec_lo
	s_delay_alu instid0(VALU_DEP_2)
	v_cmpx_ne_u32_e32 0x7f, v2
	s_cbranch_execz .LBB370_176
; %bb.173:                              ;   in Loop: Header=BB370_10 Depth=1
	v_lshrrev_b32_e32 v4, 3, v2
	v_cmp_gt_u32_e64 s1, 8, v2
	v_mov_b64_e32 v[2:3], v[16:17]
	s_and_saveexec_b32 s18, s1
; %bb.174:                              ;   in Loop: Header=BB370_10 Depth=1
	v_and_b32_e32 v2, 7, v1
	s_delay_alu instid0(VALU_DEP_1) | instskip(NEXT) | instid1(VALU_DEP_1)
	v_clz_i32_u32_e32 v2, v2
	v_min_u32_e32 v4, 32, v2
	s_delay_alu instid0(VALU_DEP_1) | instskip(SKIP_1) | instid1(VALU_DEP_2)
	v_subrev_nc_u32_e32 v2, 28, v4
	v_sub_nc_u32_e32 v4, 29, v4
	v_lshlrev_b64_e32 v[2:3], v2, v[16:17]
; %bb.175:                              ;   in Loop: Header=BB370_10 Depth=1
	s_or_b32 exec_lo, exec_lo, s18
	s_delay_alu instid0(VALU_DEP_1) | instskip(NEXT) | instid1(VALU_DEP_3)
	v_dual_lshlrev_b32 v2, 20, v2 :: v_dual_lshlrev_b32 v3, 24, v16
	v_lshl_add_u32 v4, v4, 23, 0x3c000000
	s_delay_alu instid0(VALU_DEP_2) | instskip(NEXT) | instid1(VALU_DEP_3)
	v_and_b32_e32 v2, 0x700000, v2
	v_and_b32_e32 v3, 0x80000000, v3
	s_delay_alu instid0(VALU_DEP_1)
	v_or3_b32 v75, v2, v3, v4
.LBB370_176:                            ;   in Loop: Header=BB370_10 Depth=1
	s_or_b32 exec_lo, exec_lo, s17
.LBB370_177:                            ;   in Loop: Header=BB370_10 Depth=1
	s_delay_alu instid0(SALU_CYCLE_1)
	s_or_b32 exec_lo, exec_lo, s16
.LBB370_178:                            ;   in Loop: Header=BB370_10 Depth=1
	s_delay_alu instid0(SALU_CYCLE_1)
	s_or_b32 exec_lo, exec_lo, s11
	v_mov_b32_e32 v3, 0
	v_lshrrev_b16 v2, 8, v16
	s_mov_b32 s11, exec_lo
	scratch_store_b32 off, v3, s32 offset:416 ; 4-byte Folded Spill
	s_wait_xcnt 0x0
	v_mov_b32_e32 v3, 0
	scratch_store_b32 off, v3, s32 offset:420 ; 4-byte Folded Spill
	s_wait_xcnt 0x0
	v_cmpx_ne_u16_e32 0, v2
	s_cbranch_execz .LBB370_186
; %bb.179:                              ;   in Loop: Header=BB370_10 Depth=1
	v_bfrev_b32_e32 v3, 1
	s_mov_b32 s16, exec_lo
	scratch_store_b32 off, v3, s32 offset:420 ; 4-byte Folded Spill
	s_wait_xcnt 0x0
	v_cmpx_ne_u16_e32 0x80, v2
	s_cbranch_execz .LBB370_185
; %bb.180:                              ;   in Loop: Header=BB370_10 Depth=1
	v_and_b32_e32 v2, 0xffff, v2
	v_mov_b32_e32 v3, 0x7f800001
	s_mov_b32 s17, exec_lo
	s_delay_alu instid0(VALU_DEP_2)
	v_and_b32_e32 v5, 0x7f, v2
	scratch_store_b32 off, v3, s32 offset:420 ; 4-byte Folded Spill
	s_wait_xcnt 0x0
	v_cmpx_ne_u32_e32 0x7f, v5
	s_cbranch_execz .LBB370_184
; %bb.181:                              ;   in Loop: Header=BB370_10 Depth=1
	v_dual_mov_b32 v3, v17 :: v_dual_bitop2_b32 v2, 7, v2 bitop3:0x40
	v_lshrrev_b32_e32 v4, 3, v5
	s_mov_b32 s18, exec_lo
	v_cmpx_gt_u32_e32 8, v5
; %bb.182:                              ;   in Loop: Header=BB370_10 Depth=1
	s_delay_alu instid0(VALU_DEP_3) | instskip(NEXT) | instid1(VALU_DEP_1)
	v_clz_i32_u32_e32 v4, v2
	v_min_u32_e32 v4, 32, v4
	s_delay_alu instid0(VALU_DEP_1) | instskip(NEXT) | instid1(VALU_DEP_1)
	v_subrev_nc_u32_e32 v5, 28, v4
	v_lshlrev_b64_e32 v[2:3], v5, v[2:3]
	s_delay_alu instid0(VALU_DEP_1)
	v_dual_sub_nc_u32 v4, 29, v4 :: v_dual_bitop2_b32 v2, 7, v2 bitop3:0x40
; %bb.183:                              ;   in Loop: Header=BB370_10 Depth=1
	s_or_b32 exec_lo, exec_lo, s18
	s_delay_alu instid0(VALU_DEP_1) | instskip(NEXT) | instid1(VALU_DEP_2)
	v_dual_lshlrev_b32 v3, 16, v16 :: v_dual_lshlrev_b32 v2, 20, v2
	v_lshl_add_u32 v4, v4, 23, 0x3c000000
	s_delay_alu instid0(VALU_DEP_2) | instskip(NEXT) | instid1(VALU_DEP_1)
	v_and_b32_e32 v3, 0x80000000, v3
	v_or3_b32 v2, v2, v3, v4
	scratch_store_b32 off, v2, s32 offset:420 ; 4-byte Folded Spill
.LBB370_184:                            ;   in Loop: Header=BB370_10 Depth=1
	s_wait_xcnt 0x0
	s_or_b32 exec_lo, exec_lo, s17
.LBB370_185:                            ;   in Loop: Header=BB370_10 Depth=1
	s_delay_alu instid0(SALU_CYCLE_1)
	s_or_b32 exec_lo, exec_lo, s16
.LBB370_186:                            ;   in Loop: Header=BB370_10 Depth=1
	s_delay_alu instid0(SALU_CYCLE_1) | instskip(SKIP_2) | instid1(VALU_DEP_1)
	s_or_b32 exec_lo, exec_lo, s11
	v_lshrrev_b32_e32 v4, 16, v1
	s_mov_b32 s11, exec_lo
	v_and_b32_e32 v2, 0xff, v4
	s_delay_alu instid0(VALU_DEP_1)
	v_cmpx_ne_u16_e32 0, v2
	s_cbranch_execz .LBB370_194
; %bb.187:                              ;   in Loop: Header=BB370_10 Depth=1
	v_cmp_ne_u16_e64 s1, 0x80, v2
	v_bfrev_b32_e32 v2, 1
	scratch_store_b32 off, v2, s32 offset:416 ; 4-byte Folded Spill
	s_wait_xcnt 0x0
	s_and_saveexec_b32 s16, s1
	s_cbranch_execz .LBB370_193
; %bb.188:                              ;   in Loop: Header=BB370_10 Depth=1
	v_bfe_u32 v2, v1, 16, 7
	v_mov_b32_e32 v3, 0x7f800001
	s_mov_b32 s17, exec_lo
	scratch_store_b32 off, v3, s32 offset:416 ; 4-byte Folded Spill
	s_wait_xcnt 0x0
	v_cmpx_ne_u32_e32 0x7f, v2
	s_cbranch_execz .LBB370_192
; %bb.189:                              ;   in Loop: Header=BB370_10 Depth=1
	v_dual_lshrrev_b32 v5, 3, v2 :: v_dual_bitop2_b32 v16, 7, v4 bitop3:0x40
	v_cmp_gt_u32_e64 s1, 8, v2
	s_delay_alu instid0(VALU_DEP_2)
	v_mov_b64_e32 v[2:3], v[16:17]
	s_and_saveexec_b32 s18, s1
; %bb.190:                              ;   in Loop: Header=BB370_10 Depth=1
	v_clz_i32_u32_e32 v2, v16
	s_delay_alu instid0(VALU_DEP_1) | instskip(NEXT) | instid1(VALU_DEP_1)
	v_min_u32_e32 v5, 32, v2
	v_subrev_nc_u32_e32 v2, 28, v5
	s_delay_alu instid0(VALU_DEP_1) | instskip(NEXT) | instid1(VALU_DEP_1)
	v_lshlrev_b64_e32 v[2:3], v2, v[16:17]
	v_dual_sub_nc_u32 v5, 29, v5 :: v_dual_bitop2_b32 v2, 7, v2 bitop3:0x40
; %bb.191:                              ;   in Loop: Header=BB370_10 Depth=1
	s_or_b32 exec_lo, exec_lo, s18
	s_delay_alu instid0(VALU_DEP_1) | instskip(NEXT) | instid1(VALU_DEP_2)
	v_dual_lshlrev_b32 v3, 24, v4 :: v_dual_lshlrev_b32 v2, 20, v2
	v_lshl_add_u32 v4, v5, 23, 0x3c000000
	s_delay_alu instid0(VALU_DEP_2) | instskip(NEXT) | instid1(VALU_DEP_1)
	v_and_b32_e32 v3, 0x80000000, v3
	v_or3_b32 v2, v2, v3, v4
	scratch_store_b32 off, v2, s32 offset:416 ; 4-byte Folded Spill
.LBB370_192:                            ;   in Loop: Header=BB370_10 Depth=1
	s_wait_xcnt 0x0
	s_or_b32 exec_lo, exec_lo, s17
.LBB370_193:                            ;   in Loop: Header=BB370_10 Depth=1
	s_delay_alu instid0(SALU_CYCLE_1)
	s_or_b32 exec_lo, exec_lo, s16
.LBB370_194:                            ;   in Loop: Header=BB370_10 Depth=1
	s_delay_alu instid0(SALU_CYCLE_1)
	s_or_b32 exec_lo, exec_lo, s11
	v_cmp_lt_u64_e64 s1, s[2:3], v[0:1]
	v_mov_b32_e32 v0, 0
	scratch_store_b32 off, v0, s32 offset:424 ; 4-byte Folded Spill
	s_wait_xcnt 0x0
	v_mov_b32_e32 v0, 0
	scratch_store_b32 off, v0, s32 offset:492 ; 4-byte Folded Spill
	s_wait_xcnt 0x0
	s_and_saveexec_b32 s11, s1
	s_cbranch_execz .LBB370_202
; %bb.195:                              ;   in Loop: Header=BB370_10 Depth=1
	v_lshrrev_b32_e32 v2, 24, v1
	v_bfrev_b32_e32 v0, 1
	s_mov_b32 s16, exec_lo
	scratch_store_b32 off, v0, s32 offset:492 ; 4-byte Folded Spill
	s_wait_xcnt 0x0
	v_cmpx_ne_u32_e32 0x80, v2
	s_cbranch_execz .LBB370_201
; %bb.196:                              ;   in Loop: Header=BB370_10 Depth=1
	v_bfe_u32 v0, v1, 24, 7
	v_mov_b32_e32 v1, 0x7f800001
	s_mov_b32 s17, exec_lo
	s_delay_alu instid0(VALU_DEP_2)
	v_cmpx_ne_u32_e32 0x7f, v0
	s_cbranch_execz .LBB370_200
; %bb.197:                              ;   in Loop: Header=BB370_10 Depth=1
	v_dual_lshrrev_b32 v3, 3, v0 :: v_dual_bitop2_b32 v16, 7, v2 bitop3:0x40
	v_cmp_gt_u32_e64 s1, 8, v0
	s_delay_alu instid0(VALU_DEP_2)
	v_mov_b64_e32 v[0:1], v[16:17]
	s_and_saveexec_b32 s18, s1
; %bb.198:                              ;   in Loop: Header=BB370_10 Depth=1
	v_clz_i32_u32_e32 v0, v16
	s_delay_alu instid0(VALU_DEP_1) | instskip(NEXT) | instid1(VALU_DEP_1)
	v_min_u32_e32 v3, 32, v0
	v_subrev_nc_u32_e32 v0, 28, v3
	s_delay_alu instid0(VALU_DEP_1) | instskip(NEXT) | instid1(VALU_DEP_1)
	v_lshlrev_b64_e32 v[0:1], v0, v[16:17]
	v_dual_sub_nc_u32 v3, 29, v3 :: v_dual_bitop2_b32 v0, 7, v0 bitop3:0x40
; %bb.199:                              ;   in Loop: Header=BB370_10 Depth=1
	s_or_b32 exec_lo, exec_lo, s18
	s_delay_alu instid0(VALU_DEP_1) | instskip(NEXT) | instid1(VALU_DEP_2)
	v_dual_lshlrev_b32 v1, 24, v2 :: v_dual_lshlrev_b32 v0, 20, v0
	v_lshl_add_u32 v2, v3, 23, 0x3c000000
	s_delay_alu instid0(VALU_DEP_2) | instskip(NEXT) | instid1(VALU_DEP_1)
	v_and_b32_e32 v1, 0x80000000, v1
	v_or3_b32 v1, v0, v1, v2
.LBB370_200:                            ;   in Loop: Header=BB370_10 Depth=1
	s_or_b32 exec_lo, exec_lo, s17
	scratch_store_b32 off, v1, s32 offset:492 ; 4-byte Folded Spill
.LBB370_201:                            ;   in Loop: Header=BB370_10 Depth=1
	s_wait_xcnt 0x0
	s_or_b32 exec_lo, exec_lo, s16
.LBB370_202:                            ;   in Loop: Header=BB370_10 Depth=1
	s_delay_alu instid0(SALU_CYCLE_1)
	s_or_b32 exec_lo, exec_lo, s11
	flat_load_b64 v[0:1], v[32:33] offset:520
	s_mov_b32 s11, exec_lo
	s_wait_loadcnt_dscnt 0x0
	v_and_b32_e32 v2, 0xff, v0
	s_wait_xcnt 0x0
	s_delay_alu instid0(VALU_DEP_1)
	v_cmpx_ne_u16_e32 0, v2
	s_cbranch_execz .LBB370_210
; %bb.203:                              ;   in Loop: Header=BB370_10 Depth=1
	v_cmp_ne_u16_e64 s1, 0x80, v2
	v_bfrev_b32_e32 v2, 1
	scratch_store_b32 off, v2, s32 offset:424 ; 4-byte Folded Spill
	s_wait_xcnt 0x0
	s_and_saveexec_b32 s16, s1
	s_cbranch_execz .LBB370_209
; %bb.204:                              ;   in Loop: Header=BB370_10 Depth=1
	v_and_b32_e32 v2, 0x7f, v0
	v_mov_b32_e32 v3, 0x7f800001
	s_mov_b32 s17, exec_lo
	scratch_store_b32 off, v3, s32 offset:424 ; 4-byte Folded Spill
	s_wait_xcnt 0x0
	v_cmpx_ne_u32_e32 0x7f, v2
	s_cbranch_execz .LBB370_208
; %bb.205:                              ;   in Loop: Header=BB370_10 Depth=1
	v_lshrrev_b32_e32 v4, 3, v2
	v_cmp_gt_u32_e64 s1, 8, v2
	v_mov_b64_e32 v[2:3], v[0:1]
	s_and_saveexec_b32 s18, s1
; %bb.206:                              ;   in Loop: Header=BB370_10 Depth=1
	v_and_b32_e32 v2, 7, v0
	s_delay_alu instid0(VALU_DEP_1) | instskip(NEXT) | instid1(VALU_DEP_1)
	v_clz_i32_u32_e32 v2, v2
	v_min_u32_e32 v4, 32, v2
	s_delay_alu instid0(VALU_DEP_1) | instskip(SKIP_1) | instid1(VALU_DEP_2)
	v_subrev_nc_u32_e32 v2, 28, v4
	v_sub_nc_u32_e32 v4, 29, v4
	v_lshlrev_b64_e32 v[2:3], v2, v[0:1]
; %bb.207:                              ;   in Loop: Header=BB370_10 Depth=1
	s_or_b32 exec_lo, exec_lo, s18
	s_delay_alu instid0(VALU_DEP_1) | instskip(NEXT) | instid1(VALU_DEP_3)
	v_dual_lshlrev_b32 v2, 20, v2 :: v_dual_lshlrev_b32 v3, 24, v0
	v_lshl_add_u32 v4, v4, 23, 0x3c000000
	s_delay_alu instid0(VALU_DEP_2) | instskip(NEXT) | instid1(VALU_DEP_3)
	v_and_b32_e32 v2, 0x700000, v2
	v_and_b32_e32 v3, 0x80000000, v3
	s_delay_alu instid0(VALU_DEP_1)
	v_or3_b32 v2, v2, v3, v4
	scratch_store_b32 off, v2, s32 offset:424 ; 4-byte Folded Spill
.LBB370_208:                            ;   in Loop: Header=BB370_10 Depth=1
	s_wait_xcnt 0x0
	s_or_b32 exec_lo, exec_lo, s17
.LBB370_209:                            ;   in Loop: Header=BB370_10 Depth=1
	s_delay_alu instid0(SALU_CYCLE_1)
	s_or_b32 exec_lo, exec_lo, s16
.LBB370_210:                            ;   in Loop: Header=BB370_10 Depth=1
	s_delay_alu instid0(SALU_CYCLE_1)
	s_or_b32 exec_lo, exec_lo, s11
	v_mov_b32_e32 v3, 0
	v_lshrrev_b16 v2, 8, v0
	s_mov_b32 s11, exec_lo
	scratch_store_b32 off, v3, s32 offset:428 ; 4-byte Folded Spill
	s_wait_xcnt 0x0
	v_mov_b32_e32 v3, 0
	scratch_store_b32 off, v3, s32 offset:432 ; 4-byte Folded Spill
	s_wait_xcnt 0x0
	v_cmpx_ne_u16_e32 0, v2
	s_cbranch_execz .LBB370_218
; %bb.211:                              ;   in Loop: Header=BB370_10 Depth=1
	v_bfrev_b32_e32 v3, 1
	s_mov_b32 s16, exec_lo
	scratch_store_b32 off, v3, s32 offset:432 ; 4-byte Folded Spill
	s_wait_xcnt 0x0
	v_cmpx_ne_u16_e32 0x80, v2
	s_cbranch_execz .LBB370_217
; %bb.212:                              ;   in Loop: Header=BB370_10 Depth=1
	v_and_b32_e32 v3, 0xffff, v2
	v_mov_b32_e32 v4, 0x7f800001
	s_mov_b32 s17, exec_lo
	s_delay_alu instid0(VALU_DEP_2)
	v_and_b32_e32 v2, 0x7f, v3
	scratch_store_b32 off, v4, s32 offset:432 ; 4-byte Folded Spill
	s_wait_xcnt 0x0
	v_cmpx_ne_u32_e32 0x7f, v2
	s_cbranch_execz .LBB370_216
; %bb.213:                              ;   in Loop: Header=BB370_10 Depth=1
	v_dual_lshrrev_b32 v4, 3, v2 :: v_dual_bitop2_b32 v16, 7, v3 bitop3:0x40
	v_cmp_gt_u32_e64 s1, 8, v2
	s_delay_alu instid0(VALU_DEP_2)
	v_mov_b64_e32 v[2:3], v[16:17]
	s_and_saveexec_b32 s18, s1
; %bb.214:                              ;   in Loop: Header=BB370_10 Depth=1
	v_clz_i32_u32_e32 v2, v16
	s_delay_alu instid0(VALU_DEP_1) | instskip(NEXT) | instid1(VALU_DEP_1)
	v_min_u32_e32 v4, 32, v2
	v_subrev_nc_u32_e32 v2, 28, v4
	s_delay_alu instid0(VALU_DEP_1) | instskip(NEXT) | instid1(VALU_DEP_1)
	v_lshlrev_b64_e32 v[2:3], v2, v[16:17]
	v_dual_sub_nc_u32 v4, 29, v4 :: v_dual_bitop2_b32 v2, 7, v2 bitop3:0x40
; %bb.215:                              ;   in Loop: Header=BB370_10 Depth=1
	s_or_b32 exec_lo, exec_lo, s18
	s_delay_alu instid0(VALU_DEP_1) | instskip(NEXT) | instid1(VALU_DEP_2)
	v_dual_lshlrev_b32 v3, 16, v0 :: v_dual_lshlrev_b32 v2, 20, v2
	v_lshl_add_u32 v4, v4, 23, 0x3c000000
	s_delay_alu instid0(VALU_DEP_2) | instskip(NEXT) | instid1(VALU_DEP_1)
	v_and_b32_e32 v3, 0x80000000, v3
	v_or3_b32 v2, v2, v3, v4
	scratch_store_b32 off, v2, s32 offset:432 ; 4-byte Folded Spill
.LBB370_216:                            ;   in Loop: Header=BB370_10 Depth=1
	s_wait_xcnt 0x0
	s_or_b32 exec_lo, exec_lo, s17
.LBB370_217:                            ;   in Loop: Header=BB370_10 Depth=1
	s_delay_alu instid0(SALU_CYCLE_1)
	s_or_b32 exec_lo, exec_lo, s16
.LBB370_218:                            ;   in Loop: Header=BB370_10 Depth=1
	s_delay_alu instid0(SALU_CYCLE_1) | instskip(SKIP_2) | instid1(VALU_DEP_1)
	s_or_b32 exec_lo, exec_lo, s11
	v_lshrrev_b32_e32 v4, 16, v0
	s_mov_b32 s11, exec_lo
	v_and_b32_e32 v2, 0xff, v4
	s_delay_alu instid0(VALU_DEP_1)
	v_cmpx_ne_u16_e32 0, v2
	s_cbranch_execz .LBB370_226
; %bb.219:                              ;   in Loop: Header=BB370_10 Depth=1
	v_cmp_ne_u16_e64 s1, 0x80, v2
	v_bfrev_b32_e32 v2, 1
	scratch_store_b32 off, v2, s32 offset:428 ; 4-byte Folded Spill
	s_wait_xcnt 0x0
	s_and_saveexec_b32 s16, s1
	s_cbranch_execz .LBB370_225
; %bb.220:                              ;   in Loop: Header=BB370_10 Depth=1
	v_bfe_u32 v2, v0, 16, 7
	v_mov_b32_e32 v3, 0x7f800001
	s_mov_b32 s17, exec_lo
	scratch_store_b32 off, v3, s32 offset:428 ; 4-byte Folded Spill
	s_wait_xcnt 0x0
	v_cmpx_ne_u32_e32 0x7f, v2
	s_cbranch_execz .LBB370_224
; %bb.221:                              ;   in Loop: Header=BB370_10 Depth=1
	v_dual_lshrrev_b32 v5, 3, v2 :: v_dual_bitop2_b32 v16, 7, v4 bitop3:0x40
	v_cmp_gt_u32_e64 s1, 8, v2
	s_delay_alu instid0(VALU_DEP_2)
	v_mov_b64_e32 v[2:3], v[16:17]
	s_and_saveexec_b32 s18, s1
; %bb.222:                              ;   in Loop: Header=BB370_10 Depth=1
	v_clz_i32_u32_e32 v2, v16
	s_delay_alu instid0(VALU_DEP_1) | instskip(NEXT) | instid1(VALU_DEP_1)
	v_min_u32_e32 v5, 32, v2
	v_subrev_nc_u32_e32 v2, 28, v5
	s_delay_alu instid0(VALU_DEP_1) | instskip(NEXT) | instid1(VALU_DEP_1)
	v_lshlrev_b64_e32 v[2:3], v2, v[16:17]
	v_dual_sub_nc_u32 v5, 29, v5 :: v_dual_bitop2_b32 v2, 7, v2 bitop3:0x40
; %bb.223:                              ;   in Loop: Header=BB370_10 Depth=1
	s_or_b32 exec_lo, exec_lo, s18
	s_delay_alu instid0(VALU_DEP_1) | instskip(NEXT) | instid1(VALU_DEP_2)
	v_dual_lshlrev_b32 v3, 24, v4 :: v_dual_lshlrev_b32 v2, 20, v2
	v_lshl_add_u32 v4, v5, 23, 0x3c000000
	s_delay_alu instid0(VALU_DEP_2) | instskip(NEXT) | instid1(VALU_DEP_1)
	v_and_b32_e32 v3, 0x80000000, v3
	v_or3_b32 v2, v2, v3, v4
	scratch_store_b32 off, v2, s32 offset:428 ; 4-byte Folded Spill
.LBB370_224:                            ;   in Loop: Header=BB370_10 Depth=1
	s_wait_xcnt 0x0
	s_or_b32 exec_lo, exec_lo, s17
.LBB370_225:                            ;   in Loop: Header=BB370_10 Depth=1
	s_delay_alu instid0(SALU_CYCLE_1)
	s_or_b32 exec_lo, exec_lo, s16
.LBB370_226:                            ;   in Loop: Header=BB370_10 Depth=1
	s_delay_alu instid0(SALU_CYCLE_1)
	s_or_b32 exec_lo, exec_lo, s11
	v_mov_b32_e32 v2, 0
	s_mov_b32 s11, exec_lo
	scratch_store_b32 off, v2, s32 offset:436 ; 4-byte Folded Spill
	s_wait_xcnt 0x0
	v_mov_b32_e32 v2, 0
	scratch_store_b32 off, v2, s32 offset:440 ; 4-byte Folded Spill
	s_wait_xcnt 0x0
	v_cmpx_lt_u32_e32 0xffffff, v0
	s_cbranch_execz .LBB370_234
; %bb.227:                              ;   in Loop: Header=BB370_10 Depth=1
	v_lshrrev_b32_e32 v4, 24, v0
	v_bfrev_b32_e32 v2, 1
	s_mov_b32 s16, exec_lo
	scratch_store_b32 off, v2, s32 offset:440 ; 4-byte Folded Spill
	s_wait_xcnt 0x0
	v_cmpx_ne_u32_e32 0x80, v4
	s_cbranch_execz .LBB370_233
; %bb.228:                              ;   in Loop: Header=BB370_10 Depth=1
	v_bfe_u32 v2, v0, 24, 7
	v_mov_b32_e32 v3, 0x7f800001
	s_mov_b32 s17, exec_lo
	scratch_store_b32 off, v3, s32 offset:440 ; 4-byte Folded Spill
	s_wait_xcnt 0x0
	v_cmpx_ne_u32_e32 0x7f, v2
	s_cbranch_execz .LBB370_232
; %bb.229:                              ;   in Loop: Header=BB370_10 Depth=1
	v_dual_lshrrev_b32 v5, 3, v2 :: v_dual_bitop2_b32 v16, 7, v4 bitop3:0x40
	v_cmp_gt_u32_e64 s1, 8, v2
	s_delay_alu instid0(VALU_DEP_2)
	v_mov_b64_e32 v[2:3], v[16:17]
	s_and_saveexec_b32 s18, s1
; %bb.230:                              ;   in Loop: Header=BB370_10 Depth=1
	v_clz_i32_u32_e32 v2, v16
	s_delay_alu instid0(VALU_DEP_1) | instskip(NEXT) | instid1(VALU_DEP_1)
	v_min_u32_e32 v5, 32, v2
	v_subrev_nc_u32_e32 v2, 28, v5
	s_delay_alu instid0(VALU_DEP_1) | instskip(NEXT) | instid1(VALU_DEP_1)
	v_lshlrev_b64_e32 v[2:3], v2, v[16:17]
	v_dual_sub_nc_u32 v5, 29, v5 :: v_dual_bitop2_b32 v2, 7, v2 bitop3:0x40
; %bb.231:                              ;   in Loop: Header=BB370_10 Depth=1
	s_or_b32 exec_lo, exec_lo, s18
	s_delay_alu instid0(VALU_DEP_1) | instskip(NEXT) | instid1(VALU_DEP_2)
	v_dual_lshlrev_b32 v3, 24, v4 :: v_dual_lshlrev_b32 v2, 20, v2
	v_lshl_add_u32 v4, v5, 23, 0x3c000000
	s_delay_alu instid0(VALU_DEP_2) | instskip(NEXT) | instid1(VALU_DEP_1)
	v_and_b32_e32 v3, 0x80000000, v3
	v_or3_b32 v2, v2, v3, v4
	scratch_store_b32 off, v2, s32 offset:440 ; 4-byte Folded Spill
.LBB370_232:                            ;   in Loop: Header=BB370_10 Depth=1
	s_wait_xcnt 0x0
	s_or_b32 exec_lo, exec_lo, s17
.LBB370_233:                            ;   in Loop: Header=BB370_10 Depth=1
	s_delay_alu instid0(SALU_CYCLE_1)
	s_or_b32 exec_lo, exec_lo, s16
.LBB370_234:                            ;   in Loop: Header=BB370_10 Depth=1
	s_delay_alu instid0(SALU_CYCLE_1) | instskip(SKIP_3) | instid1(VALU_DEP_2)
	s_or_b32 exec_lo, exec_lo, s11
	v_and_b32_e32 v2, 0xff, v1
	v_mov_b32_e32 v16, v1
	s_mov_b32 s11, exec_lo
	v_cmpx_ne_u16_e32 0, v2
	s_cbranch_execz .LBB370_242
; %bb.235:                              ;   in Loop: Header=BB370_10 Depth=1
	v_cmp_ne_u16_e64 s1, 0x80, v2
	v_bfrev_b32_e32 v2, 1
	scratch_store_b32 off, v2, s32 offset:436 ; 4-byte Folded Spill
	s_wait_xcnt 0x0
	s_and_saveexec_b32 s16, s1
	s_cbranch_execz .LBB370_241
; %bb.236:                              ;   in Loop: Header=BB370_10 Depth=1
	v_and_b32_e32 v2, 0x7f, v1
	v_mov_b32_e32 v3, 0x7f800001
	s_mov_b32 s17, exec_lo
	scratch_store_b32 off, v3, s32 offset:436 ; 4-byte Folded Spill
	s_wait_xcnt 0x0
	v_cmpx_ne_u32_e32 0x7f, v2
	s_cbranch_execz .LBB370_240
; %bb.237:                              ;   in Loop: Header=BB370_10 Depth=1
	v_lshrrev_b32_e32 v4, 3, v2
	v_cmp_gt_u32_e64 s1, 8, v2
	v_mov_b64_e32 v[2:3], v[16:17]
	s_and_saveexec_b32 s18, s1
; %bb.238:                              ;   in Loop: Header=BB370_10 Depth=1
	v_and_b32_e32 v2, 7, v1
	s_delay_alu instid0(VALU_DEP_1) | instskip(NEXT) | instid1(VALU_DEP_1)
	v_clz_i32_u32_e32 v2, v2
	v_min_u32_e32 v4, 32, v2
	s_delay_alu instid0(VALU_DEP_1) | instskip(SKIP_1) | instid1(VALU_DEP_2)
	v_subrev_nc_u32_e32 v2, 28, v4
	v_sub_nc_u32_e32 v4, 29, v4
	v_lshlrev_b64_e32 v[2:3], v2, v[16:17]
; %bb.239:                              ;   in Loop: Header=BB370_10 Depth=1
	s_or_b32 exec_lo, exec_lo, s18
	s_delay_alu instid0(VALU_DEP_1) | instskip(NEXT) | instid1(VALU_DEP_3)
	v_dual_lshlrev_b32 v2, 20, v2 :: v_dual_lshlrev_b32 v3, 24, v16
	v_lshl_add_u32 v4, v4, 23, 0x3c000000
	s_delay_alu instid0(VALU_DEP_2) | instskip(NEXT) | instid1(VALU_DEP_3)
	v_and_b32_e32 v2, 0x700000, v2
	v_and_b32_e32 v3, 0x80000000, v3
	s_delay_alu instid0(VALU_DEP_1)
	v_or3_b32 v2, v2, v3, v4
	scratch_store_b32 off, v2, s32 offset:436 ; 4-byte Folded Spill
.LBB370_240:                            ;   in Loop: Header=BB370_10 Depth=1
	s_wait_xcnt 0x0
	s_or_b32 exec_lo, exec_lo, s17
.LBB370_241:                            ;   in Loop: Header=BB370_10 Depth=1
	s_delay_alu instid0(SALU_CYCLE_1)
	s_or_b32 exec_lo, exec_lo, s16
.LBB370_242:                            ;   in Loop: Header=BB370_10 Depth=1
	s_delay_alu instid0(SALU_CYCLE_1)
	s_or_b32 exec_lo, exec_lo, s11
	v_mov_b32_e32 v3, 0
	v_lshrrev_b16 v2, 8, v16
	s_mov_b32 s11, exec_lo
	scratch_store_b32 off, v3, s32 offset:444 ; 4-byte Folded Spill
	s_wait_xcnt 0x0
	v_mov_b32_e32 v3, 0
	scratch_store_b32 off, v3, s32 offset:448 ; 4-byte Folded Spill
	s_wait_xcnt 0x0
	v_cmpx_ne_u16_e32 0, v2
	s_cbranch_execz .LBB370_250
; %bb.243:                              ;   in Loop: Header=BB370_10 Depth=1
	v_bfrev_b32_e32 v3, 1
	s_mov_b32 s16, exec_lo
	scratch_store_b32 off, v3, s32 offset:448 ; 4-byte Folded Spill
	s_wait_xcnt 0x0
	v_cmpx_ne_u16_e32 0x80, v2
	s_cbranch_execz .LBB370_249
; %bb.244:                              ;   in Loop: Header=BB370_10 Depth=1
	v_and_b32_e32 v2, 0xffff, v2
	v_mov_b32_e32 v3, 0x7f800001
	s_mov_b32 s17, exec_lo
	s_delay_alu instid0(VALU_DEP_2)
	v_and_b32_e32 v5, 0x7f, v2
	scratch_store_b32 off, v3, s32 offset:448 ; 4-byte Folded Spill
	s_wait_xcnt 0x0
	v_cmpx_ne_u32_e32 0x7f, v5
	s_cbranch_execz .LBB370_248
; %bb.245:                              ;   in Loop: Header=BB370_10 Depth=1
	v_dual_mov_b32 v3, v17 :: v_dual_bitop2_b32 v2, 7, v2 bitop3:0x40
	v_lshrrev_b32_e32 v4, 3, v5
	s_mov_b32 s18, exec_lo
	v_cmpx_gt_u32_e32 8, v5
; %bb.246:                              ;   in Loop: Header=BB370_10 Depth=1
	s_delay_alu instid0(VALU_DEP_3) | instskip(NEXT) | instid1(VALU_DEP_1)
	v_clz_i32_u32_e32 v4, v2
	v_min_u32_e32 v4, 32, v4
	s_delay_alu instid0(VALU_DEP_1) | instskip(NEXT) | instid1(VALU_DEP_1)
	v_subrev_nc_u32_e32 v5, 28, v4
	v_lshlrev_b64_e32 v[2:3], v5, v[2:3]
	s_delay_alu instid0(VALU_DEP_1)
	v_dual_sub_nc_u32 v4, 29, v4 :: v_dual_bitop2_b32 v2, 7, v2 bitop3:0x40
; %bb.247:                              ;   in Loop: Header=BB370_10 Depth=1
	s_or_b32 exec_lo, exec_lo, s18
	s_delay_alu instid0(VALU_DEP_1) | instskip(NEXT) | instid1(VALU_DEP_2)
	v_dual_lshlrev_b32 v3, 16, v16 :: v_dual_lshlrev_b32 v2, 20, v2
	v_lshl_add_u32 v4, v4, 23, 0x3c000000
	s_delay_alu instid0(VALU_DEP_2) | instskip(NEXT) | instid1(VALU_DEP_1)
	v_and_b32_e32 v3, 0x80000000, v3
	v_or3_b32 v2, v2, v3, v4
	scratch_store_b32 off, v2, s32 offset:448 ; 4-byte Folded Spill
.LBB370_248:                            ;   in Loop: Header=BB370_10 Depth=1
	s_wait_xcnt 0x0
	s_or_b32 exec_lo, exec_lo, s17
.LBB370_249:                            ;   in Loop: Header=BB370_10 Depth=1
	s_delay_alu instid0(SALU_CYCLE_1)
	s_or_b32 exec_lo, exec_lo, s16
.LBB370_250:                            ;   in Loop: Header=BB370_10 Depth=1
	s_delay_alu instid0(SALU_CYCLE_1) | instskip(SKIP_2) | instid1(VALU_DEP_1)
	s_or_b32 exec_lo, exec_lo, s11
	v_lshrrev_b32_e32 v4, 16, v1
	s_mov_b32 s11, exec_lo
	v_and_b32_e32 v2, 0xff, v4
	s_delay_alu instid0(VALU_DEP_1)
	v_cmpx_ne_u16_e32 0, v2
	s_cbranch_execz .LBB370_258
; %bb.251:                              ;   in Loop: Header=BB370_10 Depth=1
	v_cmp_ne_u16_e64 s1, 0x80, v2
	v_bfrev_b32_e32 v2, 1
	scratch_store_b32 off, v2, s32 offset:444 ; 4-byte Folded Spill
	s_wait_xcnt 0x0
	s_and_saveexec_b32 s16, s1
	s_cbranch_execz .LBB370_257
; %bb.252:                              ;   in Loop: Header=BB370_10 Depth=1
	v_bfe_u32 v2, v1, 16, 7
	v_mov_b32_e32 v3, 0x7f800001
	s_mov_b32 s17, exec_lo
	scratch_store_b32 off, v3, s32 offset:444 ; 4-byte Folded Spill
	s_wait_xcnt 0x0
	v_cmpx_ne_u32_e32 0x7f, v2
	s_cbranch_execz .LBB370_256
; %bb.253:                              ;   in Loop: Header=BB370_10 Depth=1
	v_dual_lshrrev_b32 v5, 3, v2 :: v_dual_bitop2_b32 v16, 7, v4 bitop3:0x40
	v_cmp_gt_u32_e64 s1, 8, v2
	s_delay_alu instid0(VALU_DEP_2)
	v_mov_b64_e32 v[2:3], v[16:17]
	s_and_saveexec_b32 s18, s1
; %bb.254:                              ;   in Loop: Header=BB370_10 Depth=1
	v_clz_i32_u32_e32 v2, v16
	s_delay_alu instid0(VALU_DEP_1) | instskip(NEXT) | instid1(VALU_DEP_1)
	v_min_u32_e32 v5, 32, v2
	v_subrev_nc_u32_e32 v2, 28, v5
	s_delay_alu instid0(VALU_DEP_1) | instskip(NEXT) | instid1(VALU_DEP_1)
	v_lshlrev_b64_e32 v[2:3], v2, v[16:17]
	v_dual_sub_nc_u32 v5, 29, v5 :: v_dual_bitop2_b32 v2, 7, v2 bitop3:0x40
; %bb.255:                              ;   in Loop: Header=BB370_10 Depth=1
	s_or_b32 exec_lo, exec_lo, s18
	s_delay_alu instid0(VALU_DEP_1) | instskip(NEXT) | instid1(VALU_DEP_2)
	v_dual_lshlrev_b32 v3, 24, v4 :: v_dual_lshlrev_b32 v2, 20, v2
	v_lshl_add_u32 v4, v5, 23, 0x3c000000
	s_delay_alu instid0(VALU_DEP_2) | instskip(NEXT) | instid1(VALU_DEP_1)
	v_and_b32_e32 v3, 0x80000000, v3
	v_or3_b32 v2, v2, v3, v4
	scratch_store_b32 off, v2, s32 offset:444 ; 4-byte Folded Spill
.LBB370_256:                            ;   in Loop: Header=BB370_10 Depth=1
	s_wait_xcnt 0x0
	s_or_b32 exec_lo, exec_lo, s17
.LBB370_257:                            ;   in Loop: Header=BB370_10 Depth=1
	s_delay_alu instid0(SALU_CYCLE_1)
	s_or_b32 exec_lo, exec_lo, s16
.LBB370_258:                            ;   in Loop: Header=BB370_10 Depth=1
	s_delay_alu instid0(SALU_CYCLE_1)
	s_or_b32 exec_lo, exec_lo, s11
	v_cmp_lt_u64_e64 s1, s[2:3], v[0:1]
	v_mov_b32_e32 v0, 0
	scratch_store_b64 off, v[0:1], s32 offset:248 ; 8-byte Folded Spill
	s_wait_xcnt 0x0
	v_mov_b32_e32 v0, 0
	scratch_store_b32 off, v0, s32 offset:496 ; 4-byte Folded Spill
	s_wait_xcnt 0x0
	s_and_saveexec_b32 s11, s1
	s_cbranch_execz .LBB370_266
; %bb.259:                              ;   in Loop: Header=BB370_10 Depth=1
	v_lshrrev_b32_e32 v2, 24, v1
	v_bfrev_b32_e32 v0, 1
	s_mov_b32 s16, exec_lo
	scratch_store_b32 off, v0, s32 offset:496 ; 4-byte Folded Spill
	s_wait_xcnt 0x0
	v_cmpx_ne_u32_e32 0x80, v2
	s_cbranch_execz .LBB370_265
; %bb.260:                              ;   in Loop: Header=BB370_10 Depth=1
	v_bfe_u32 v0, v1, 24, 7
	v_mov_b32_e32 v1, 0x7f800001
	s_mov_b32 s17, exec_lo
	s_delay_alu instid0(VALU_DEP_2)
	v_cmpx_ne_u32_e32 0x7f, v0
	s_cbranch_execz .LBB370_264
; %bb.261:                              ;   in Loop: Header=BB370_10 Depth=1
	v_dual_lshrrev_b32 v3, 3, v0 :: v_dual_bitop2_b32 v16, 7, v2 bitop3:0x40
	v_cmp_gt_u32_e64 s1, 8, v0
	s_delay_alu instid0(VALU_DEP_2)
	v_mov_b64_e32 v[0:1], v[16:17]
	s_and_saveexec_b32 s18, s1
; %bb.262:                              ;   in Loop: Header=BB370_10 Depth=1
	v_clz_i32_u32_e32 v0, v16
	s_delay_alu instid0(VALU_DEP_1) | instskip(NEXT) | instid1(VALU_DEP_1)
	v_min_u32_e32 v3, 32, v0
	v_subrev_nc_u32_e32 v0, 28, v3
	s_delay_alu instid0(VALU_DEP_1) | instskip(NEXT) | instid1(VALU_DEP_1)
	v_lshlrev_b64_e32 v[0:1], v0, v[16:17]
	v_dual_sub_nc_u32 v3, 29, v3 :: v_dual_bitop2_b32 v0, 7, v0 bitop3:0x40
; %bb.263:                              ;   in Loop: Header=BB370_10 Depth=1
	s_or_b32 exec_lo, exec_lo, s18
	s_delay_alu instid0(VALU_DEP_1) | instskip(NEXT) | instid1(VALU_DEP_2)
	v_dual_lshlrev_b32 v1, 24, v2 :: v_dual_lshlrev_b32 v0, 20, v0
	v_lshl_add_u32 v2, v3, 23, 0x3c000000
	s_delay_alu instid0(VALU_DEP_2) | instskip(NEXT) | instid1(VALU_DEP_1)
	v_and_b32_e32 v1, 0x80000000, v1
	v_or3_b32 v1, v0, v1, v2
.LBB370_264:                            ;   in Loop: Header=BB370_10 Depth=1
	s_or_b32 exec_lo, exec_lo, s17
	scratch_store_b32 off, v1, s32 offset:496 ; 4-byte Folded Spill
.LBB370_265:                            ;   in Loop: Header=BB370_10 Depth=1
	s_wait_xcnt 0x0
	s_or_b32 exec_lo, exec_lo, s16
.LBB370_266:                            ;   in Loop: Header=BB370_10 Depth=1
	s_delay_alu instid0(SALU_CYCLE_1)
	s_or_b32 exec_lo, exec_lo, s11
	flat_load_b64 v[0:1], v[32:33] offset:1024
	s_mov_b32 s11, exec_lo
	s_wait_loadcnt_dscnt 0x0
	v_and_b32_e32 v2, 0xff, v0
	s_wait_xcnt 0x0
	s_delay_alu instid0(VALU_DEP_1)
	v_cmpx_ne_u16_e32 0, v2
	s_cbranch_execz .LBB370_274
; %bb.267:                              ;   in Loop: Header=BB370_10 Depth=1
	v_cmp_ne_u16_e64 s1, 0x80, v2
	v_bfrev_b32_e32 v2, 1
	scratch_store_b64 off, v[2:3], s32 offset:248 ; 8-byte Folded Spill
	s_wait_xcnt 0x0
	s_and_saveexec_b32 s16, s1
	s_cbranch_execz .LBB370_273
; %bb.268:                              ;   in Loop: Header=BB370_10 Depth=1
	v_and_b32_e32 v2, 0x7f, v0
	v_mov_b32_e32 v4, 0x7f800001
	s_mov_b32 s17, exec_lo
	scratch_store_b64 off, v[4:5], s32 offset:248 ; 8-byte Folded Spill
	s_wait_xcnt 0x0
	v_cmpx_ne_u32_e32 0x7f, v2
	s_cbranch_execz .LBB370_272
; %bb.269:                              ;   in Loop: Header=BB370_10 Depth=1
	v_lshrrev_b32_e32 v4, 3, v2
	v_cmp_gt_u32_e64 s1, 8, v2
	v_mov_b64_e32 v[2:3], v[0:1]
	s_and_saveexec_b32 s18, s1
; %bb.270:                              ;   in Loop: Header=BB370_10 Depth=1
	v_and_b32_e32 v2, 7, v0
	s_delay_alu instid0(VALU_DEP_1) | instskip(NEXT) | instid1(VALU_DEP_1)
	v_clz_i32_u32_e32 v2, v2
	v_min_u32_e32 v4, 32, v2
	s_delay_alu instid0(VALU_DEP_1) | instskip(SKIP_1) | instid1(VALU_DEP_2)
	v_subrev_nc_u32_e32 v2, 28, v4
	v_sub_nc_u32_e32 v4, 29, v4
	v_lshlrev_b64_e32 v[2:3], v2, v[0:1]
; %bb.271:                              ;   in Loop: Header=BB370_10 Depth=1
	s_or_b32 exec_lo, exec_lo, s18
	s_delay_alu instid0(VALU_DEP_1) | instskip(NEXT) | instid1(VALU_DEP_3)
	v_dual_lshlrev_b32 v2, 20, v2 :: v_dual_lshlrev_b32 v3, 24, v0
	v_lshl_add_u32 v4, v4, 23, 0x3c000000
	s_delay_alu instid0(VALU_DEP_2) | instskip(NEXT) | instid1(VALU_DEP_3)
	v_and_b32_e32 v2, 0x700000, v2
	v_and_b32_e32 v3, 0x80000000, v3
	s_delay_alu instid0(VALU_DEP_1)
	v_or3_b32 v2, v2, v3, v4
	scratch_store_b64 off, v[2:3], s32 offset:248 ; 8-byte Folded Spill
.LBB370_272:                            ;   in Loop: Header=BB370_10 Depth=1
	s_wait_xcnt 0x0
	s_or_b32 exec_lo, exec_lo, s17
.LBB370_273:                            ;   in Loop: Header=BB370_10 Depth=1
	s_delay_alu instid0(SALU_CYCLE_1)
	s_or_b32 exec_lo, exec_lo, s16
.LBB370_274:                            ;   in Loop: Header=BB370_10 Depth=1
	s_delay_alu instid0(SALU_CYCLE_1)
	s_or_b32 exec_lo, exec_lo, s11
	v_mov_b32_e32 v4, 0
	v_lshrrev_b16 v2, 8, v0
	s_mov_b32 s11, exec_lo
	s_clause 0x1
	scratch_store_b64 off, v[4:5], s32 offset:256
	scratch_load_b64 v[4:5], off, s32 offset:248
	s_wait_loadcnt 0x0
	v_mov_b32_e32 v5, 0
	scratch_store_b64 off, v[4:5], s32 offset:248 ; 8-byte Folded Spill
	s_wait_xcnt 0x0
	v_cmpx_ne_u16_e32 0, v2
	s_cbranch_execz .LBB370_282
; %bb.275:                              ;   in Loop: Header=BB370_10 Depth=1
	scratch_load_b64 v[4:5], off, s32 offset:248 ; 8-byte Folded Reload
	s_wait_loadcnt 0x0
	v_bfrev_b32_e32 v5, 1
	s_mov_b32 s16, exec_lo
	scratch_store_b64 off, v[4:5], s32 offset:248 ; 8-byte Folded Spill
	s_wait_xcnt 0x0
	v_cmpx_ne_u16_e32 0x80, v2
	s_cbranch_execz .LBB370_281
; %bb.276:                              ;   in Loop: Header=BB370_10 Depth=1
	scratch_load_b64 v[4:5], off, s32 offset:248 ; 8-byte Folded Reload
	v_and_b32_e32 v3, 0xffff, v2
	s_wait_loadcnt 0x0
	v_mov_b32_e32 v5, 0x7f800001
	s_mov_b32 s17, exec_lo
	s_delay_alu instid0(VALU_DEP_2)
	v_and_b32_e32 v2, 0x7f, v3
	scratch_store_b64 off, v[4:5], s32 offset:248 ; 8-byte Folded Spill
	s_wait_xcnt 0x0
	v_cmpx_ne_u32_e32 0x7f, v2
	s_cbranch_execz .LBB370_280
; %bb.277:                              ;   in Loop: Header=BB370_10 Depth=1
	v_dual_lshrrev_b32 v4, 3, v2 :: v_dual_bitop2_b32 v16, 7, v3 bitop3:0x40
	v_cmp_gt_u32_e64 s1, 8, v2
	s_delay_alu instid0(VALU_DEP_2)
	v_mov_b64_e32 v[2:3], v[16:17]
	s_and_saveexec_b32 s18, s1
; %bb.278:                              ;   in Loop: Header=BB370_10 Depth=1
	v_clz_i32_u32_e32 v2, v16
	s_delay_alu instid0(VALU_DEP_1) | instskip(NEXT) | instid1(VALU_DEP_1)
	v_min_u32_e32 v4, 32, v2
	v_subrev_nc_u32_e32 v2, 28, v4
	s_delay_alu instid0(VALU_DEP_1) | instskip(NEXT) | instid1(VALU_DEP_1)
	v_lshlrev_b64_e32 v[2:3], v2, v[16:17]
	v_dual_sub_nc_u32 v4, 29, v4 :: v_dual_bitop2_b32 v2, 7, v2 bitop3:0x40
; %bb.279:                              ;   in Loop: Header=BB370_10 Depth=1
	s_or_b32 exec_lo, exec_lo, s18
	scratch_load_b64 v[6:7], off, s32 offset:248 ; 8-byte Folded Reload
	v_dual_lshlrev_b32 v3, 16, v0 :: v_dual_lshlrev_b32 v2, 20, v2
	v_lshl_add_u32 v4, v4, 23, 0x3c000000
	s_delay_alu instid0(VALU_DEP_2) | instskip(SKIP_1) | instid1(VALU_DEP_1)
	v_and_b32_e32 v3, 0x80000000, v3
	s_wait_loadcnt 0x0
	v_or3_b32 v7, v2, v3, v4
	scratch_store_b64 off, v[6:7], s32 offset:248 ; 8-byte Folded Spill
.LBB370_280:                            ;   in Loop: Header=BB370_10 Depth=1
	s_wait_xcnt 0x0
	s_or_b32 exec_lo, exec_lo, s17
.LBB370_281:                            ;   in Loop: Header=BB370_10 Depth=1
	s_delay_alu instid0(SALU_CYCLE_1)
	s_or_b32 exec_lo, exec_lo, s16
.LBB370_282:                            ;   in Loop: Header=BB370_10 Depth=1
	s_delay_alu instid0(SALU_CYCLE_1) | instskip(SKIP_2) | instid1(VALU_DEP_1)
	s_or_b32 exec_lo, exec_lo, s11
	v_lshrrev_b32_e32 v4, 16, v0
	s_mov_b32 s11, exec_lo
	v_and_b32_e32 v2, 0xff, v4
	s_delay_alu instid0(VALU_DEP_1)
	v_cmpx_ne_u16_e32 0, v2
	s_cbranch_execz .LBB370_290
; %bb.283:                              ;   in Loop: Header=BB370_10 Depth=1
	v_cmp_ne_u16_e64 s1, 0x80, v2
	v_bfrev_b32_e32 v2, 1
	scratch_store_b64 off, v[2:3], s32 offset:256 ; 8-byte Folded Spill
	s_wait_xcnt 0x0
	s_and_saveexec_b32 s16, s1
	s_cbranch_execz .LBB370_289
; %bb.284:                              ;   in Loop: Header=BB370_10 Depth=1
	v_bfe_u32 v2, v0, 16, 7
	v_mov_b32_e32 v6, 0x7f800001
	s_mov_b32 s17, exec_lo
	scratch_store_b64 off, v[6:7], s32 offset:256 ; 8-byte Folded Spill
	s_wait_xcnt 0x0
	v_cmpx_ne_u32_e32 0x7f, v2
	s_cbranch_execz .LBB370_288
; %bb.285:                              ;   in Loop: Header=BB370_10 Depth=1
	v_dual_lshrrev_b32 v5, 3, v2 :: v_dual_bitop2_b32 v16, 7, v4 bitop3:0x40
	v_cmp_gt_u32_e64 s1, 8, v2
	s_delay_alu instid0(VALU_DEP_2)
	v_mov_b64_e32 v[2:3], v[16:17]
	s_and_saveexec_b32 s18, s1
; %bb.286:                              ;   in Loop: Header=BB370_10 Depth=1
	v_clz_i32_u32_e32 v2, v16
	s_delay_alu instid0(VALU_DEP_1) | instskip(NEXT) | instid1(VALU_DEP_1)
	v_min_u32_e32 v5, 32, v2
	v_subrev_nc_u32_e32 v2, 28, v5
	s_delay_alu instid0(VALU_DEP_1) | instskip(NEXT) | instid1(VALU_DEP_1)
	v_lshlrev_b64_e32 v[2:3], v2, v[16:17]
	v_dual_sub_nc_u32 v5, 29, v5 :: v_dual_bitop2_b32 v2, 7, v2 bitop3:0x40
; %bb.287:                              ;   in Loop: Header=BB370_10 Depth=1
	s_or_b32 exec_lo, exec_lo, s18
	s_delay_alu instid0(VALU_DEP_1) | instskip(NEXT) | instid1(VALU_DEP_2)
	v_dual_lshlrev_b32 v3, 24, v4 :: v_dual_lshlrev_b32 v2, 20, v2
	v_lshl_add_u32 v4, v5, 23, 0x3c000000
	s_delay_alu instid0(VALU_DEP_2) | instskip(NEXT) | instid1(VALU_DEP_1)
	v_and_b32_e32 v3, 0x80000000, v3
	v_or3_b32 v2, v2, v3, v4
	scratch_store_b64 off, v[2:3], s32 offset:256 ; 8-byte Folded Spill
.LBB370_288:                            ;   in Loop: Header=BB370_10 Depth=1
	s_wait_xcnt 0x0
	s_or_b32 exec_lo, exec_lo, s17
.LBB370_289:                            ;   in Loop: Header=BB370_10 Depth=1
	s_delay_alu instid0(SALU_CYCLE_1)
	s_or_b32 exec_lo, exec_lo, s16
.LBB370_290:                            ;   in Loop: Header=BB370_10 Depth=1
	s_delay_alu instid0(SALU_CYCLE_1)
	s_or_b32 exec_lo, exec_lo, s11
	v_mov_b32_e32 v2, 0
	s_mov_b32 s11, exec_lo
	s_clause 0x1
	scratch_store_b64 off, v[2:3], s32 offset:264
	scratch_load_b64 v[2:3], off, s32 offset:256
	s_wait_loadcnt 0x0
	v_mov_b32_e32 v3, 0
	scratch_store_b64 off, v[2:3], s32 offset:256 ; 8-byte Folded Spill
	s_wait_xcnt 0x0
	v_cmpx_lt_u32_e32 0xffffff, v0
	s_cbranch_execz .LBB370_298
; %bb.291:                              ;   in Loop: Header=BB370_10 Depth=1
	scratch_load_b64 v[2:3], off, s32 offset:256 ; 8-byte Folded Reload
	v_lshrrev_b32_e32 v4, 24, v0
	s_wait_loadcnt 0x0
	v_bfrev_b32_e32 v3, 1
	s_mov_b32 s16, exec_lo
	scratch_store_b64 off, v[2:3], s32 offset:256 ; 8-byte Folded Spill
	s_wait_xcnt 0x0
	v_cmpx_ne_u32_e32 0x80, v4
	s_cbranch_execz .LBB370_297
; %bb.292:                              ;   in Loop: Header=BB370_10 Depth=1
	scratch_load_b64 v[6:7], off, s32 offset:256 ; 8-byte Folded Reload
	v_bfe_u32 v2, v0, 24, 7
	s_wait_loadcnt 0x0
	v_mov_b32_e32 v7, 0x7f800001
	s_mov_b32 s17, exec_lo
	scratch_store_b64 off, v[6:7], s32 offset:256 ; 8-byte Folded Spill
	s_wait_xcnt 0x0
	v_cmpx_ne_u32_e32 0x7f, v2
	s_cbranch_execz .LBB370_296
; %bb.293:                              ;   in Loop: Header=BB370_10 Depth=1
	v_dual_lshrrev_b32 v5, 3, v2 :: v_dual_bitop2_b32 v16, 7, v4 bitop3:0x40
	v_cmp_gt_u32_e64 s1, 8, v2
	s_delay_alu instid0(VALU_DEP_2)
	v_mov_b64_e32 v[2:3], v[16:17]
	s_and_saveexec_b32 s18, s1
; %bb.294:                              ;   in Loop: Header=BB370_10 Depth=1
	v_clz_i32_u32_e32 v2, v16
	s_delay_alu instid0(VALU_DEP_1) | instskip(NEXT) | instid1(VALU_DEP_1)
	v_min_u32_e32 v5, 32, v2
	v_subrev_nc_u32_e32 v2, 28, v5
	s_delay_alu instid0(VALU_DEP_1) | instskip(NEXT) | instid1(VALU_DEP_1)
	v_lshlrev_b64_e32 v[2:3], v2, v[16:17]
	v_dual_sub_nc_u32 v5, 29, v5 :: v_dual_bitop2_b32 v2, 7, v2 bitop3:0x40
; %bb.295:                              ;   in Loop: Header=BB370_10 Depth=1
	s_or_b32 exec_lo, exec_lo, s18
	scratch_load_b64 v[6:7], off, s32 offset:256 ; 8-byte Folded Reload
	v_dual_lshlrev_b32 v3, 24, v4 :: v_dual_lshlrev_b32 v2, 20, v2
	v_lshl_add_u32 v4, v5, 23, 0x3c000000
	s_delay_alu instid0(VALU_DEP_2) | instskip(SKIP_1) | instid1(VALU_DEP_1)
	v_and_b32_e32 v3, 0x80000000, v3
	s_wait_loadcnt 0x0
	v_or3_b32 v7, v2, v3, v4
	scratch_store_b64 off, v[6:7], s32 offset:256 ; 8-byte Folded Spill
.LBB370_296:                            ;   in Loop: Header=BB370_10 Depth=1
	s_wait_xcnt 0x0
	s_or_b32 exec_lo, exec_lo, s17
.LBB370_297:                            ;   in Loop: Header=BB370_10 Depth=1
	s_delay_alu instid0(SALU_CYCLE_1)
	s_or_b32 exec_lo, exec_lo, s16
.LBB370_298:                            ;   in Loop: Header=BB370_10 Depth=1
	s_delay_alu instid0(SALU_CYCLE_1) | instskip(SKIP_3) | instid1(VALU_DEP_2)
	s_or_b32 exec_lo, exec_lo, s11
	v_and_b32_e32 v2, 0xff, v1
	v_mov_b32_e32 v16, v1
	s_mov_b32 s11, exec_lo
	v_cmpx_ne_u16_e32 0, v2
	s_cbranch_execz .LBB370_306
; %bb.299:                              ;   in Loop: Header=BB370_10 Depth=1
	v_cmp_ne_u16_e64 s1, 0x80, v2
	v_bfrev_b32_e32 v2, 1
	scratch_store_b64 off, v[2:3], s32 offset:264 ; 8-byte Folded Spill
	s_wait_xcnt 0x0
	s_and_saveexec_b32 s16, s1
	s_cbranch_execz .LBB370_305
; %bb.300:                              ;   in Loop: Header=BB370_10 Depth=1
	v_and_b32_e32 v2, 0x7f, v1
	v_mov_b32_e32 v4, 0x7f800001
	s_mov_b32 s17, exec_lo
	scratch_store_b64 off, v[4:5], s32 offset:264 ; 8-byte Folded Spill
	s_wait_xcnt 0x0
	v_cmpx_ne_u32_e32 0x7f, v2
	s_cbranch_execz .LBB370_304
; %bb.301:                              ;   in Loop: Header=BB370_10 Depth=1
	v_lshrrev_b32_e32 v4, 3, v2
	v_cmp_gt_u32_e64 s1, 8, v2
	v_mov_b64_e32 v[2:3], v[16:17]
	s_and_saveexec_b32 s18, s1
; %bb.302:                              ;   in Loop: Header=BB370_10 Depth=1
	v_and_b32_e32 v2, 7, v1
	s_delay_alu instid0(VALU_DEP_1) | instskip(NEXT) | instid1(VALU_DEP_1)
	v_clz_i32_u32_e32 v2, v2
	v_min_u32_e32 v4, 32, v2
	s_delay_alu instid0(VALU_DEP_1) | instskip(SKIP_1) | instid1(VALU_DEP_2)
	v_subrev_nc_u32_e32 v2, 28, v4
	v_sub_nc_u32_e32 v4, 29, v4
	v_lshlrev_b64_e32 v[2:3], v2, v[16:17]
; %bb.303:                              ;   in Loop: Header=BB370_10 Depth=1
	s_or_b32 exec_lo, exec_lo, s18
	s_delay_alu instid0(VALU_DEP_1) | instskip(NEXT) | instid1(VALU_DEP_3)
	v_dual_lshlrev_b32 v2, 20, v2 :: v_dual_lshlrev_b32 v3, 24, v16
	v_lshl_add_u32 v4, v4, 23, 0x3c000000
	s_delay_alu instid0(VALU_DEP_2) | instskip(NEXT) | instid1(VALU_DEP_3)
	v_and_b32_e32 v2, 0x700000, v2
	v_and_b32_e32 v3, 0x80000000, v3
	s_delay_alu instid0(VALU_DEP_1)
	v_or3_b32 v2, v2, v3, v4
	scratch_store_b64 off, v[2:3], s32 offset:264 ; 8-byte Folded Spill
.LBB370_304:                            ;   in Loop: Header=BB370_10 Depth=1
	s_wait_xcnt 0x0
	s_or_b32 exec_lo, exec_lo, s17
.LBB370_305:                            ;   in Loop: Header=BB370_10 Depth=1
	s_delay_alu instid0(SALU_CYCLE_1)
	s_or_b32 exec_lo, exec_lo, s16
.LBB370_306:                            ;   in Loop: Header=BB370_10 Depth=1
	s_delay_alu instid0(SALU_CYCLE_1)
	s_or_b32 exec_lo, exec_lo, s11
	v_mov_b32_e32 v4, 0
	v_lshrrev_b16 v2, 8, v16
	s_mov_b32 s11, exec_lo
	s_clause 0x1
	scratch_store_b64 off, v[4:5], s32 offset:272
	scratch_load_b64 v[4:5], off, s32 offset:264
	s_wait_loadcnt 0x0
	v_mov_b32_e32 v5, 0
	scratch_store_b64 off, v[4:5], s32 offset:264 ; 8-byte Folded Spill
	s_wait_xcnt 0x0
	v_cmpx_ne_u16_e32 0, v2
	s_cbranch_execz .LBB370_314
; %bb.307:                              ;   in Loop: Header=BB370_10 Depth=1
	scratch_load_b64 v[4:5], off, s32 offset:264 ; 8-byte Folded Reload
	s_wait_loadcnt 0x0
	v_bfrev_b32_e32 v5, 1
	s_mov_b32 s16, exec_lo
	scratch_store_b64 off, v[4:5], s32 offset:264 ; 8-byte Folded Spill
	s_wait_xcnt 0x0
	v_cmpx_ne_u16_e32 0x80, v2
	s_cbranch_execz .LBB370_313
; %bb.308:                              ;   in Loop: Header=BB370_10 Depth=1
	scratch_load_b64 v[6:7], off, s32 offset:264 ; 8-byte Folded Reload
	v_and_b32_e32 v2, 0xffff, v2
	s_wait_loadcnt 0x0
	v_mov_b32_e32 v7, 0x7f800001
	s_mov_b32 s17, exec_lo
	s_delay_alu instid0(VALU_DEP_2)
	v_and_b32_e32 v5, 0x7f, v2
	scratch_store_b64 off, v[6:7], s32 offset:264 ; 8-byte Folded Spill
	s_wait_xcnt 0x0
	v_cmpx_ne_u32_e32 0x7f, v5
	s_cbranch_execz .LBB370_312
; %bb.309:                              ;   in Loop: Header=BB370_10 Depth=1
	v_dual_mov_b32 v3, v17 :: v_dual_bitop2_b32 v2, 7, v2 bitop3:0x40
	v_lshrrev_b32_e32 v4, 3, v5
	s_mov_b32 s18, exec_lo
	v_cmpx_gt_u32_e32 8, v5
; %bb.310:                              ;   in Loop: Header=BB370_10 Depth=1
	s_delay_alu instid0(VALU_DEP_3) | instskip(NEXT) | instid1(VALU_DEP_1)
	v_clz_i32_u32_e32 v4, v2
	v_min_u32_e32 v4, 32, v4
	s_delay_alu instid0(VALU_DEP_1) | instskip(NEXT) | instid1(VALU_DEP_1)
	v_subrev_nc_u32_e32 v5, 28, v4
	v_lshlrev_b64_e32 v[2:3], v5, v[2:3]
	s_delay_alu instid0(VALU_DEP_1)
	v_dual_sub_nc_u32 v4, 29, v4 :: v_dual_bitop2_b32 v2, 7, v2 bitop3:0x40
; %bb.311:                              ;   in Loop: Header=BB370_10 Depth=1
	s_or_b32 exec_lo, exec_lo, s18
	scratch_load_b64 v[6:7], off, s32 offset:264 ; 8-byte Folded Reload
	v_dual_lshlrev_b32 v3, 16, v16 :: v_dual_lshlrev_b32 v2, 20, v2
	v_lshl_add_u32 v4, v4, 23, 0x3c000000
	s_delay_alu instid0(VALU_DEP_2) | instskip(SKIP_1) | instid1(VALU_DEP_1)
	v_and_b32_e32 v3, 0x80000000, v3
	s_wait_loadcnt 0x0
	v_or3_b32 v7, v2, v3, v4
	scratch_store_b64 off, v[6:7], s32 offset:264 ; 8-byte Folded Spill
.LBB370_312:                            ;   in Loop: Header=BB370_10 Depth=1
	s_wait_xcnt 0x0
	s_or_b32 exec_lo, exec_lo, s17
.LBB370_313:                            ;   in Loop: Header=BB370_10 Depth=1
	s_delay_alu instid0(SALU_CYCLE_1)
	s_or_b32 exec_lo, exec_lo, s16
.LBB370_314:                            ;   in Loop: Header=BB370_10 Depth=1
	s_delay_alu instid0(SALU_CYCLE_1) | instskip(SKIP_2) | instid1(VALU_DEP_1)
	s_or_b32 exec_lo, exec_lo, s11
	v_lshrrev_b32_e32 v4, 16, v1
	s_mov_b32 s11, exec_lo
	v_and_b32_e32 v2, 0xff, v4
	s_delay_alu instid0(VALU_DEP_1)
	v_cmpx_ne_u16_e32 0, v2
	s_cbranch_execz .LBB370_322
; %bb.315:                              ;   in Loop: Header=BB370_10 Depth=1
	v_cmp_ne_u16_e64 s1, 0x80, v2
	v_bfrev_b32_e32 v2, 1
	scratch_store_b64 off, v[2:3], s32 offset:272 ; 8-byte Folded Spill
	s_wait_xcnt 0x0
	s_and_saveexec_b32 s16, s1
	s_cbranch_execz .LBB370_321
; %bb.316:                              ;   in Loop: Header=BB370_10 Depth=1
	v_bfe_u32 v2, v1, 16, 7
	v_mov_b32_e32 v6, 0x7f800001
	s_mov_b32 s17, exec_lo
	scratch_store_b64 off, v[6:7], s32 offset:272 ; 8-byte Folded Spill
	s_wait_xcnt 0x0
	v_cmpx_ne_u32_e32 0x7f, v2
	s_cbranch_execz .LBB370_320
; %bb.317:                              ;   in Loop: Header=BB370_10 Depth=1
	v_dual_lshrrev_b32 v5, 3, v2 :: v_dual_bitop2_b32 v16, 7, v4 bitop3:0x40
	v_cmp_gt_u32_e64 s1, 8, v2
	s_delay_alu instid0(VALU_DEP_2)
	v_mov_b64_e32 v[2:3], v[16:17]
	s_and_saveexec_b32 s18, s1
; %bb.318:                              ;   in Loop: Header=BB370_10 Depth=1
	v_clz_i32_u32_e32 v2, v16
	s_delay_alu instid0(VALU_DEP_1) | instskip(NEXT) | instid1(VALU_DEP_1)
	v_min_u32_e32 v5, 32, v2
	v_subrev_nc_u32_e32 v2, 28, v5
	s_delay_alu instid0(VALU_DEP_1) | instskip(NEXT) | instid1(VALU_DEP_1)
	v_lshlrev_b64_e32 v[2:3], v2, v[16:17]
	v_dual_sub_nc_u32 v5, 29, v5 :: v_dual_bitop2_b32 v2, 7, v2 bitop3:0x40
; %bb.319:                              ;   in Loop: Header=BB370_10 Depth=1
	s_or_b32 exec_lo, exec_lo, s18
	s_delay_alu instid0(VALU_DEP_1) | instskip(NEXT) | instid1(VALU_DEP_2)
	v_dual_lshlrev_b32 v3, 24, v4 :: v_dual_lshlrev_b32 v2, 20, v2
	v_lshl_add_u32 v4, v5, 23, 0x3c000000
	s_delay_alu instid0(VALU_DEP_2) | instskip(NEXT) | instid1(VALU_DEP_1)
	v_and_b32_e32 v3, 0x80000000, v3
	v_or3_b32 v2, v2, v3, v4
	scratch_store_b64 off, v[2:3], s32 offset:272 ; 8-byte Folded Spill
.LBB370_320:                            ;   in Loop: Header=BB370_10 Depth=1
	s_wait_xcnt 0x0
	s_or_b32 exec_lo, exec_lo, s17
.LBB370_321:                            ;   in Loop: Header=BB370_10 Depth=1
	s_delay_alu instid0(SALU_CYCLE_1)
	s_or_b32 exec_lo, exec_lo, s16
.LBB370_322:                            ;   in Loop: Header=BB370_10 Depth=1
	s_delay_alu instid0(SALU_CYCLE_1)
	s_or_b32 exec_lo, exec_lo, s11
	scratch_load_b64 v[2:3], off, s32 offset:272 ; 8-byte Folded Reload
	v_cmp_lt_u64_e64 s1, s[2:3], v[0:1]
	s_wait_loadcnt 0x0
	v_dual_mov_b32 v0, 0 :: v_dual_mov_b32 v3, 0
	s_clause 0x1
	scratch_store_b64 off, v[0:1], s32 offset:280
	scratch_store_b64 off, v[2:3], s32 offset:272
	s_wait_xcnt 0x0
	s_and_saveexec_b32 s11, s1
	s_cbranch_execz .LBB370_330
; %bb.323:                              ;   in Loop: Header=BB370_10 Depth=1
	scratch_load_b64 v[4:5], off, s32 offset:272 ; 8-byte Folded Reload
	v_lshrrev_b32_e32 v2, 24, v1
	s_wait_loadcnt 0x0
	v_bfrev_b32_e32 v5, 1
	s_mov_b32 s16, exec_lo
	scratch_store_b64 off, v[4:5], s32 offset:272 ; 8-byte Folded Spill
	s_wait_xcnt 0x0
	v_cmpx_ne_u32_e32 0x80, v2
	s_cbranch_execz .LBB370_329
; %bb.324:                              ;   in Loop: Header=BB370_10 Depth=1
	scratch_load_b64 v[4:5], off, s32 offset:272 ; 8-byte Folded Reload
	v_bfe_u32 v0, v1, 24, 7
	s_wait_loadcnt 0x0
	v_mov_b32_e32 v5, 0x7f800001
	s_mov_b32 s17, exec_lo
	scratch_store_b64 off, v[4:5], s32 offset:272 ; 8-byte Folded Spill
	s_wait_xcnt 0x0
	v_cmpx_ne_u32_e32 0x7f, v0
	s_cbranch_execz .LBB370_328
; %bb.325:                              ;   in Loop: Header=BB370_10 Depth=1
	v_dual_lshrrev_b32 v3, 3, v0 :: v_dual_bitop2_b32 v16, 7, v2 bitop3:0x40
	v_cmp_gt_u32_e64 s1, 8, v0
	s_delay_alu instid0(VALU_DEP_2)
	v_mov_b64_e32 v[0:1], v[16:17]
	s_and_saveexec_b32 s18, s1
; %bb.326:                              ;   in Loop: Header=BB370_10 Depth=1
	v_clz_i32_u32_e32 v0, v16
	s_delay_alu instid0(VALU_DEP_1) | instskip(NEXT) | instid1(VALU_DEP_1)
	v_min_u32_e32 v3, 32, v0
	v_subrev_nc_u32_e32 v0, 28, v3
	s_delay_alu instid0(VALU_DEP_1) | instskip(NEXT) | instid1(VALU_DEP_1)
	v_lshlrev_b64_e32 v[0:1], v0, v[16:17]
	v_dual_sub_nc_u32 v3, 29, v3 :: v_dual_bitop2_b32 v0, 7, v0 bitop3:0x40
; %bb.327:                              ;   in Loop: Header=BB370_10 Depth=1
	s_or_b32 exec_lo, exec_lo, s18
	scratch_load_b64 v[4:5], off, s32 offset:272 ; 8-byte Folded Reload
	v_dual_lshlrev_b32 v1, 24, v2 :: v_dual_lshlrev_b32 v0, 20, v0
	v_lshl_add_u32 v2, v3, 23, 0x3c000000
	s_delay_alu instid0(VALU_DEP_2) | instskip(SKIP_1) | instid1(VALU_DEP_1)
	v_and_b32_e32 v1, 0x80000000, v1
	s_wait_loadcnt 0x0
	v_or3_b32 v5, v0, v1, v2
	scratch_store_b64 off, v[4:5], s32 offset:272 ; 8-byte Folded Spill
.LBB370_328:                            ;   in Loop: Header=BB370_10 Depth=1
	s_wait_xcnt 0x0
	s_or_b32 exec_lo, exec_lo, s17
.LBB370_329:                            ;   in Loop: Header=BB370_10 Depth=1
	s_delay_alu instid0(SALU_CYCLE_1)
	s_or_b32 exec_lo, exec_lo, s16
.LBB370_330:                            ;   in Loop: Header=BB370_10 Depth=1
	s_delay_alu instid0(SALU_CYCLE_1)
	s_or_b32 exec_lo, exec_lo, s11
	flat_load_b64 v[0:1], v[32:33] offset:1032
	s_mov_b32 s11, exec_lo
	s_wait_loadcnt_dscnt 0x0
	v_and_b32_e32 v2, 0xff, v0
	s_wait_xcnt 0x0
	s_delay_alu instid0(VALU_DEP_1)
	v_cmpx_ne_u16_e32 0, v2
	s_cbranch_execz .LBB370_338
; %bb.331:                              ;   in Loop: Header=BB370_10 Depth=1
	v_cmp_ne_u16_e64 s1, 0x80, v2
	v_bfrev_b32_e32 v2, 1
	scratch_store_b64 off, v[2:3], s32 offset:280 ; 8-byte Folded Spill
	s_wait_xcnt 0x0
	s_and_saveexec_b32 s16, s1
	s_cbranch_execz .LBB370_337
; %bb.332:                              ;   in Loop: Header=BB370_10 Depth=1
	v_and_b32_e32 v2, 0x7f, v0
	v_mov_b32_e32 v4, 0x7f800001
	s_mov_b32 s17, exec_lo
	scratch_store_b64 off, v[4:5], s32 offset:280 ; 8-byte Folded Spill
	s_wait_xcnt 0x0
	v_cmpx_ne_u32_e32 0x7f, v2
	s_cbranch_execz .LBB370_336
; %bb.333:                              ;   in Loop: Header=BB370_10 Depth=1
	v_lshrrev_b32_e32 v4, 3, v2
	v_cmp_gt_u32_e64 s1, 8, v2
	v_mov_b64_e32 v[2:3], v[0:1]
	s_and_saveexec_b32 s18, s1
; %bb.334:                              ;   in Loop: Header=BB370_10 Depth=1
	v_and_b32_e32 v2, 7, v0
	s_delay_alu instid0(VALU_DEP_1) | instskip(NEXT) | instid1(VALU_DEP_1)
	v_clz_i32_u32_e32 v2, v2
	v_min_u32_e32 v4, 32, v2
	s_delay_alu instid0(VALU_DEP_1) | instskip(SKIP_1) | instid1(VALU_DEP_2)
	v_subrev_nc_u32_e32 v2, 28, v4
	v_sub_nc_u32_e32 v4, 29, v4
	v_lshlrev_b64_e32 v[2:3], v2, v[0:1]
; %bb.335:                              ;   in Loop: Header=BB370_10 Depth=1
	s_or_b32 exec_lo, exec_lo, s18
	s_delay_alu instid0(VALU_DEP_1) | instskip(NEXT) | instid1(VALU_DEP_3)
	v_dual_lshlrev_b32 v2, 20, v2 :: v_dual_lshlrev_b32 v3, 24, v0
	v_lshl_add_u32 v4, v4, 23, 0x3c000000
	s_delay_alu instid0(VALU_DEP_2) | instskip(NEXT) | instid1(VALU_DEP_3)
	v_and_b32_e32 v2, 0x700000, v2
	v_and_b32_e32 v3, 0x80000000, v3
	s_delay_alu instid0(VALU_DEP_1)
	v_or3_b32 v2, v2, v3, v4
	scratch_store_b64 off, v[2:3], s32 offset:280 ; 8-byte Folded Spill
.LBB370_336:                            ;   in Loop: Header=BB370_10 Depth=1
	s_wait_xcnt 0x0
	s_or_b32 exec_lo, exec_lo, s17
.LBB370_337:                            ;   in Loop: Header=BB370_10 Depth=1
	s_delay_alu instid0(SALU_CYCLE_1)
	s_or_b32 exec_lo, exec_lo, s16
.LBB370_338:                            ;   in Loop: Header=BB370_10 Depth=1
	s_delay_alu instid0(SALU_CYCLE_1)
	s_or_b32 exec_lo, exec_lo, s11
	v_mov_b32_e32 v4, 0
	v_lshrrev_b16 v2, 8, v0
	s_mov_b32 s11, exec_lo
	s_clause 0x1
	scratch_store_b64 off, v[4:5], s32 offset:288
	scratch_load_b64 v[4:5], off, s32 offset:280
	s_wait_loadcnt 0x0
	v_mov_b32_e32 v5, 0
	scratch_store_b64 off, v[4:5], s32 offset:280 ; 8-byte Folded Spill
	s_wait_xcnt 0x0
	v_cmpx_ne_u16_e32 0, v2
	s_cbranch_execz .LBB370_346
; %bb.339:                              ;   in Loop: Header=BB370_10 Depth=1
	scratch_load_b64 v[4:5], off, s32 offset:280 ; 8-byte Folded Reload
	s_wait_loadcnt 0x0
	v_bfrev_b32_e32 v5, 1
	s_mov_b32 s16, exec_lo
	scratch_store_b64 off, v[4:5], s32 offset:280 ; 8-byte Folded Spill
	s_wait_xcnt 0x0
	v_cmpx_ne_u16_e32 0x80, v2
	s_cbranch_execz .LBB370_345
; %bb.340:                              ;   in Loop: Header=BB370_10 Depth=1
	scratch_load_b64 v[4:5], off, s32 offset:280 ; 8-byte Folded Reload
	v_and_b32_e32 v3, 0xffff, v2
	s_wait_loadcnt 0x0
	v_mov_b32_e32 v5, 0x7f800001
	s_mov_b32 s17, exec_lo
	s_delay_alu instid0(VALU_DEP_2)
	v_and_b32_e32 v2, 0x7f, v3
	scratch_store_b64 off, v[4:5], s32 offset:280 ; 8-byte Folded Spill
	s_wait_xcnt 0x0
	v_cmpx_ne_u32_e32 0x7f, v2
	s_cbranch_execz .LBB370_344
; %bb.341:                              ;   in Loop: Header=BB370_10 Depth=1
	v_dual_lshrrev_b32 v4, 3, v2 :: v_dual_bitop2_b32 v16, 7, v3 bitop3:0x40
	v_cmp_gt_u32_e64 s1, 8, v2
	s_delay_alu instid0(VALU_DEP_2)
	v_mov_b64_e32 v[2:3], v[16:17]
	s_and_saveexec_b32 s18, s1
; %bb.342:                              ;   in Loop: Header=BB370_10 Depth=1
	v_clz_i32_u32_e32 v2, v16
	s_delay_alu instid0(VALU_DEP_1) | instskip(NEXT) | instid1(VALU_DEP_1)
	v_min_u32_e32 v4, 32, v2
	v_subrev_nc_u32_e32 v2, 28, v4
	s_delay_alu instid0(VALU_DEP_1) | instskip(NEXT) | instid1(VALU_DEP_1)
	v_lshlrev_b64_e32 v[2:3], v2, v[16:17]
	v_dual_sub_nc_u32 v4, 29, v4 :: v_dual_bitop2_b32 v2, 7, v2 bitop3:0x40
; %bb.343:                              ;   in Loop: Header=BB370_10 Depth=1
	s_or_b32 exec_lo, exec_lo, s18
	scratch_load_b64 v[6:7], off, s32 offset:280 ; 8-byte Folded Reload
	v_dual_lshlrev_b32 v3, 16, v0 :: v_dual_lshlrev_b32 v2, 20, v2
	v_lshl_add_u32 v4, v4, 23, 0x3c000000
	s_delay_alu instid0(VALU_DEP_2) | instskip(SKIP_1) | instid1(VALU_DEP_1)
	v_and_b32_e32 v3, 0x80000000, v3
	s_wait_loadcnt 0x0
	v_or3_b32 v7, v2, v3, v4
	scratch_store_b64 off, v[6:7], s32 offset:280 ; 8-byte Folded Spill
.LBB370_344:                            ;   in Loop: Header=BB370_10 Depth=1
	s_wait_xcnt 0x0
	s_or_b32 exec_lo, exec_lo, s17
.LBB370_345:                            ;   in Loop: Header=BB370_10 Depth=1
	s_delay_alu instid0(SALU_CYCLE_1)
	s_or_b32 exec_lo, exec_lo, s16
.LBB370_346:                            ;   in Loop: Header=BB370_10 Depth=1
	s_delay_alu instid0(SALU_CYCLE_1) | instskip(SKIP_2) | instid1(VALU_DEP_1)
	s_or_b32 exec_lo, exec_lo, s11
	v_lshrrev_b32_e32 v4, 16, v0
	s_mov_b32 s11, exec_lo
	v_and_b32_e32 v2, 0xff, v4
	s_delay_alu instid0(VALU_DEP_1)
	v_cmpx_ne_u16_e32 0, v2
	s_cbranch_execz .LBB370_354
; %bb.347:                              ;   in Loop: Header=BB370_10 Depth=1
	v_cmp_ne_u16_e64 s1, 0x80, v2
	v_bfrev_b32_e32 v2, 1
	scratch_store_b64 off, v[2:3], s32 offset:288 ; 8-byte Folded Spill
	s_wait_xcnt 0x0
	s_and_saveexec_b32 s16, s1
	s_cbranch_execz .LBB370_353
; %bb.348:                              ;   in Loop: Header=BB370_10 Depth=1
	v_bfe_u32 v2, v0, 16, 7
	v_mov_b32_e32 v6, 0x7f800001
	s_mov_b32 s17, exec_lo
	scratch_store_b64 off, v[6:7], s32 offset:288 ; 8-byte Folded Spill
	s_wait_xcnt 0x0
	v_cmpx_ne_u32_e32 0x7f, v2
	s_cbranch_execz .LBB370_352
; %bb.349:                              ;   in Loop: Header=BB370_10 Depth=1
	v_dual_lshrrev_b32 v5, 3, v2 :: v_dual_bitop2_b32 v16, 7, v4 bitop3:0x40
	v_cmp_gt_u32_e64 s1, 8, v2
	s_delay_alu instid0(VALU_DEP_2)
	v_mov_b64_e32 v[2:3], v[16:17]
	s_and_saveexec_b32 s18, s1
; %bb.350:                              ;   in Loop: Header=BB370_10 Depth=1
	v_clz_i32_u32_e32 v2, v16
	s_delay_alu instid0(VALU_DEP_1) | instskip(NEXT) | instid1(VALU_DEP_1)
	v_min_u32_e32 v5, 32, v2
	v_subrev_nc_u32_e32 v2, 28, v5
	s_delay_alu instid0(VALU_DEP_1) | instskip(NEXT) | instid1(VALU_DEP_1)
	v_lshlrev_b64_e32 v[2:3], v2, v[16:17]
	v_dual_sub_nc_u32 v5, 29, v5 :: v_dual_bitop2_b32 v2, 7, v2 bitop3:0x40
; %bb.351:                              ;   in Loop: Header=BB370_10 Depth=1
	s_or_b32 exec_lo, exec_lo, s18
	s_delay_alu instid0(VALU_DEP_1) | instskip(NEXT) | instid1(VALU_DEP_2)
	v_dual_lshlrev_b32 v3, 24, v4 :: v_dual_lshlrev_b32 v2, 20, v2
	v_lshl_add_u32 v4, v5, 23, 0x3c000000
	s_delay_alu instid0(VALU_DEP_2) | instskip(NEXT) | instid1(VALU_DEP_1)
	v_and_b32_e32 v3, 0x80000000, v3
	v_or3_b32 v2, v2, v3, v4
	scratch_store_b64 off, v[2:3], s32 offset:288 ; 8-byte Folded Spill
.LBB370_352:                            ;   in Loop: Header=BB370_10 Depth=1
	s_wait_xcnt 0x0
	s_or_b32 exec_lo, exec_lo, s17
.LBB370_353:                            ;   in Loop: Header=BB370_10 Depth=1
	s_delay_alu instid0(SALU_CYCLE_1)
	s_or_b32 exec_lo, exec_lo, s16
.LBB370_354:                            ;   in Loop: Header=BB370_10 Depth=1
	s_delay_alu instid0(SALU_CYCLE_1)
	s_or_b32 exec_lo, exec_lo, s11
	v_mov_b32_e32 v2, 0
	s_mov_b32 s11, exec_lo
	s_clause 0x1
	scratch_store_b64 off, v[2:3], s32 offset:296
	scratch_load_b64 v[2:3], off, s32 offset:288
	s_wait_loadcnt 0x0
	v_mov_b32_e32 v3, 0
	scratch_store_b64 off, v[2:3], s32 offset:288 ; 8-byte Folded Spill
	s_wait_xcnt 0x0
	v_cmpx_lt_u32_e32 0xffffff, v0
	s_cbranch_execz .LBB370_362
; %bb.355:                              ;   in Loop: Header=BB370_10 Depth=1
	scratch_load_b64 v[2:3], off, s32 offset:288 ; 8-byte Folded Reload
	v_lshrrev_b32_e32 v4, 24, v0
	s_wait_loadcnt 0x0
	v_bfrev_b32_e32 v3, 1
	s_mov_b32 s16, exec_lo
	scratch_store_b64 off, v[2:3], s32 offset:288 ; 8-byte Folded Spill
	s_wait_xcnt 0x0
	v_cmpx_ne_u32_e32 0x80, v4
	s_cbranch_execz .LBB370_361
; %bb.356:                              ;   in Loop: Header=BB370_10 Depth=1
	scratch_load_b64 v[6:7], off, s32 offset:288 ; 8-byte Folded Reload
	v_bfe_u32 v2, v0, 24, 7
	s_wait_loadcnt 0x0
	v_mov_b32_e32 v7, 0x7f800001
	s_mov_b32 s17, exec_lo
	scratch_store_b64 off, v[6:7], s32 offset:288 ; 8-byte Folded Spill
	s_wait_xcnt 0x0
	v_cmpx_ne_u32_e32 0x7f, v2
	s_cbranch_execz .LBB370_360
; %bb.357:                              ;   in Loop: Header=BB370_10 Depth=1
	v_dual_lshrrev_b32 v5, 3, v2 :: v_dual_bitop2_b32 v16, 7, v4 bitop3:0x40
	v_cmp_gt_u32_e64 s1, 8, v2
	s_delay_alu instid0(VALU_DEP_2)
	v_mov_b64_e32 v[2:3], v[16:17]
	s_and_saveexec_b32 s18, s1
; %bb.358:                              ;   in Loop: Header=BB370_10 Depth=1
	v_clz_i32_u32_e32 v2, v16
	s_delay_alu instid0(VALU_DEP_1) | instskip(NEXT) | instid1(VALU_DEP_1)
	v_min_u32_e32 v5, 32, v2
	v_subrev_nc_u32_e32 v2, 28, v5
	s_delay_alu instid0(VALU_DEP_1) | instskip(NEXT) | instid1(VALU_DEP_1)
	v_lshlrev_b64_e32 v[2:3], v2, v[16:17]
	v_dual_sub_nc_u32 v5, 29, v5 :: v_dual_bitop2_b32 v2, 7, v2 bitop3:0x40
; %bb.359:                              ;   in Loop: Header=BB370_10 Depth=1
	s_or_b32 exec_lo, exec_lo, s18
	scratch_load_b64 v[6:7], off, s32 offset:288 ; 8-byte Folded Reload
	v_dual_lshlrev_b32 v3, 24, v4 :: v_dual_lshlrev_b32 v2, 20, v2
	v_lshl_add_u32 v4, v5, 23, 0x3c000000
	s_delay_alu instid0(VALU_DEP_2) | instskip(SKIP_1) | instid1(VALU_DEP_1)
	v_and_b32_e32 v3, 0x80000000, v3
	s_wait_loadcnt 0x0
	v_or3_b32 v7, v2, v3, v4
	scratch_store_b64 off, v[6:7], s32 offset:288 ; 8-byte Folded Spill
.LBB370_360:                            ;   in Loop: Header=BB370_10 Depth=1
	s_wait_xcnt 0x0
	s_or_b32 exec_lo, exec_lo, s17
.LBB370_361:                            ;   in Loop: Header=BB370_10 Depth=1
	s_delay_alu instid0(SALU_CYCLE_1)
	s_or_b32 exec_lo, exec_lo, s16
.LBB370_362:                            ;   in Loop: Header=BB370_10 Depth=1
	s_delay_alu instid0(SALU_CYCLE_1) | instskip(SKIP_3) | instid1(VALU_DEP_2)
	s_or_b32 exec_lo, exec_lo, s11
	v_and_b32_e32 v2, 0xff, v1
	v_mov_b32_e32 v16, v1
	s_mov_b32 s11, exec_lo
	v_cmpx_ne_u16_e32 0, v2
	s_cbranch_execz .LBB370_370
; %bb.363:                              ;   in Loop: Header=BB370_10 Depth=1
	v_cmp_ne_u16_e64 s1, 0x80, v2
	v_bfrev_b32_e32 v2, 1
	scratch_store_b64 off, v[2:3], s32 offset:296 ; 8-byte Folded Spill
	s_wait_xcnt 0x0
	s_and_saveexec_b32 s16, s1
	s_cbranch_execz .LBB370_369
; %bb.364:                              ;   in Loop: Header=BB370_10 Depth=1
	v_and_b32_e32 v2, 0x7f, v1
	v_mov_b32_e32 v4, 0x7f800001
	s_mov_b32 s17, exec_lo
	scratch_store_b64 off, v[4:5], s32 offset:296 ; 8-byte Folded Spill
	s_wait_xcnt 0x0
	v_cmpx_ne_u32_e32 0x7f, v2
	s_cbranch_execz .LBB370_368
; %bb.365:                              ;   in Loop: Header=BB370_10 Depth=1
	v_lshrrev_b32_e32 v4, 3, v2
	v_cmp_gt_u32_e64 s1, 8, v2
	v_mov_b64_e32 v[2:3], v[16:17]
	s_and_saveexec_b32 s18, s1
; %bb.366:                              ;   in Loop: Header=BB370_10 Depth=1
	v_and_b32_e32 v2, 7, v1
	s_delay_alu instid0(VALU_DEP_1) | instskip(NEXT) | instid1(VALU_DEP_1)
	v_clz_i32_u32_e32 v2, v2
	v_min_u32_e32 v4, 32, v2
	s_delay_alu instid0(VALU_DEP_1) | instskip(SKIP_1) | instid1(VALU_DEP_2)
	v_subrev_nc_u32_e32 v2, 28, v4
	v_sub_nc_u32_e32 v4, 29, v4
	v_lshlrev_b64_e32 v[2:3], v2, v[16:17]
; %bb.367:                              ;   in Loop: Header=BB370_10 Depth=1
	s_or_b32 exec_lo, exec_lo, s18
	s_delay_alu instid0(VALU_DEP_1) | instskip(NEXT) | instid1(VALU_DEP_3)
	v_dual_lshlrev_b32 v2, 20, v2 :: v_dual_lshlrev_b32 v3, 24, v16
	v_lshl_add_u32 v4, v4, 23, 0x3c000000
	s_delay_alu instid0(VALU_DEP_2) | instskip(NEXT) | instid1(VALU_DEP_3)
	v_and_b32_e32 v2, 0x700000, v2
	v_and_b32_e32 v3, 0x80000000, v3
	s_delay_alu instid0(VALU_DEP_1)
	v_or3_b32 v2, v2, v3, v4
	scratch_store_b64 off, v[2:3], s32 offset:296 ; 8-byte Folded Spill
.LBB370_368:                            ;   in Loop: Header=BB370_10 Depth=1
	s_wait_xcnt 0x0
	s_or_b32 exec_lo, exec_lo, s17
.LBB370_369:                            ;   in Loop: Header=BB370_10 Depth=1
	s_delay_alu instid0(SALU_CYCLE_1)
	s_or_b32 exec_lo, exec_lo, s16
.LBB370_370:                            ;   in Loop: Header=BB370_10 Depth=1
	s_delay_alu instid0(SALU_CYCLE_1)
	s_or_b32 exec_lo, exec_lo, s11
	v_mov_b32_e32 v4, 0
	v_lshrrev_b16 v2, 8, v16
	s_mov_b32 s11, exec_lo
	s_clause 0x1
	scratch_store_b64 off, v[4:5], s32 offset:304
	scratch_load_b64 v[4:5], off, s32 offset:296
	s_wait_loadcnt 0x0
	v_mov_b32_e32 v5, 0
	scratch_store_b64 off, v[4:5], s32 offset:296 ; 8-byte Folded Spill
	s_wait_xcnt 0x0
	v_cmpx_ne_u16_e32 0, v2
	s_cbranch_execz .LBB370_378
; %bb.371:                              ;   in Loop: Header=BB370_10 Depth=1
	scratch_load_b64 v[4:5], off, s32 offset:296 ; 8-byte Folded Reload
	s_wait_loadcnt 0x0
	v_bfrev_b32_e32 v5, 1
	s_mov_b32 s16, exec_lo
	scratch_store_b64 off, v[4:5], s32 offset:296 ; 8-byte Folded Spill
	s_wait_xcnt 0x0
	v_cmpx_ne_u16_e32 0x80, v2
	s_cbranch_execz .LBB370_377
; %bb.372:                              ;   in Loop: Header=BB370_10 Depth=1
	scratch_load_b64 v[6:7], off, s32 offset:296 ; 8-byte Folded Reload
	v_and_b32_e32 v2, 0xffff, v2
	s_wait_loadcnt 0x0
	v_mov_b32_e32 v7, 0x7f800001
	s_mov_b32 s17, exec_lo
	s_delay_alu instid0(VALU_DEP_2)
	v_and_b32_e32 v5, 0x7f, v2
	scratch_store_b64 off, v[6:7], s32 offset:296 ; 8-byte Folded Spill
	s_wait_xcnt 0x0
	v_cmpx_ne_u32_e32 0x7f, v5
	s_cbranch_execz .LBB370_376
; %bb.373:                              ;   in Loop: Header=BB370_10 Depth=1
	v_dual_mov_b32 v3, v17 :: v_dual_bitop2_b32 v2, 7, v2 bitop3:0x40
	v_lshrrev_b32_e32 v4, 3, v5
	s_mov_b32 s18, exec_lo
	v_cmpx_gt_u32_e32 8, v5
; %bb.374:                              ;   in Loop: Header=BB370_10 Depth=1
	s_delay_alu instid0(VALU_DEP_3) | instskip(NEXT) | instid1(VALU_DEP_1)
	v_clz_i32_u32_e32 v4, v2
	v_min_u32_e32 v4, 32, v4
	s_delay_alu instid0(VALU_DEP_1) | instskip(NEXT) | instid1(VALU_DEP_1)
	v_subrev_nc_u32_e32 v5, 28, v4
	v_lshlrev_b64_e32 v[2:3], v5, v[2:3]
	s_delay_alu instid0(VALU_DEP_1)
	v_dual_sub_nc_u32 v4, 29, v4 :: v_dual_bitop2_b32 v2, 7, v2 bitop3:0x40
; %bb.375:                              ;   in Loop: Header=BB370_10 Depth=1
	s_or_b32 exec_lo, exec_lo, s18
	scratch_load_b64 v[6:7], off, s32 offset:296 ; 8-byte Folded Reload
	v_dual_lshlrev_b32 v3, 16, v16 :: v_dual_lshlrev_b32 v2, 20, v2
	v_lshl_add_u32 v4, v4, 23, 0x3c000000
	s_delay_alu instid0(VALU_DEP_2) | instskip(SKIP_1) | instid1(VALU_DEP_1)
	v_and_b32_e32 v3, 0x80000000, v3
	s_wait_loadcnt 0x0
	v_or3_b32 v7, v2, v3, v4
	scratch_store_b64 off, v[6:7], s32 offset:296 ; 8-byte Folded Spill
.LBB370_376:                            ;   in Loop: Header=BB370_10 Depth=1
	s_wait_xcnt 0x0
	s_or_b32 exec_lo, exec_lo, s17
.LBB370_377:                            ;   in Loop: Header=BB370_10 Depth=1
	s_delay_alu instid0(SALU_CYCLE_1)
	s_or_b32 exec_lo, exec_lo, s16
.LBB370_378:                            ;   in Loop: Header=BB370_10 Depth=1
	s_delay_alu instid0(SALU_CYCLE_1) | instskip(SKIP_2) | instid1(VALU_DEP_1)
	s_or_b32 exec_lo, exec_lo, s11
	v_lshrrev_b32_e32 v4, 16, v1
	s_mov_b32 s11, exec_lo
	v_and_b32_e32 v2, 0xff, v4
	s_delay_alu instid0(VALU_DEP_1)
	v_cmpx_ne_u16_e32 0, v2
	s_cbranch_execz .LBB370_386
; %bb.379:                              ;   in Loop: Header=BB370_10 Depth=1
	v_cmp_ne_u16_e64 s1, 0x80, v2
	v_bfrev_b32_e32 v2, 1
	scratch_store_b64 off, v[2:3], s32 offset:304 ; 8-byte Folded Spill
	s_wait_xcnt 0x0
	s_and_saveexec_b32 s16, s1
	s_cbranch_execz .LBB370_385
; %bb.380:                              ;   in Loop: Header=BB370_10 Depth=1
	v_bfe_u32 v2, v1, 16, 7
	v_mov_b32_e32 v6, 0x7f800001
	s_mov_b32 s17, exec_lo
	scratch_store_b64 off, v[6:7], s32 offset:304 ; 8-byte Folded Spill
	s_wait_xcnt 0x0
	v_cmpx_ne_u32_e32 0x7f, v2
	s_cbranch_execz .LBB370_384
; %bb.381:                              ;   in Loop: Header=BB370_10 Depth=1
	v_dual_lshrrev_b32 v5, 3, v2 :: v_dual_bitop2_b32 v16, 7, v4 bitop3:0x40
	v_cmp_gt_u32_e64 s1, 8, v2
	s_delay_alu instid0(VALU_DEP_2)
	v_mov_b64_e32 v[2:3], v[16:17]
	s_and_saveexec_b32 s18, s1
; %bb.382:                              ;   in Loop: Header=BB370_10 Depth=1
	v_clz_i32_u32_e32 v2, v16
	s_delay_alu instid0(VALU_DEP_1) | instskip(NEXT) | instid1(VALU_DEP_1)
	v_min_u32_e32 v5, 32, v2
	v_subrev_nc_u32_e32 v2, 28, v5
	s_delay_alu instid0(VALU_DEP_1) | instskip(NEXT) | instid1(VALU_DEP_1)
	v_lshlrev_b64_e32 v[2:3], v2, v[16:17]
	v_dual_sub_nc_u32 v5, 29, v5 :: v_dual_bitop2_b32 v2, 7, v2 bitop3:0x40
; %bb.383:                              ;   in Loop: Header=BB370_10 Depth=1
	s_or_b32 exec_lo, exec_lo, s18
	s_delay_alu instid0(VALU_DEP_1) | instskip(NEXT) | instid1(VALU_DEP_2)
	v_dual_lshlrev_b32 v3, 24, v4 :: v_dual_lshlrev_b32 v2, 20, v2
	v_lshl_add_u32 v4, v5, 23, 0x3c000000
	s_delay_alu instid0(VALU_DEP_2) | instskip(NEXT) | instid1(VALU_DEP_1)
	v_and_b32_e32 v3, 0x80000000, v3
	v_or3_b32 v2, v2, v3, v4
	scratch_store_b64 off, v[2:3], s32 offset:304 ; 8-byte Folded Spill
.LBB370_384:                            ;   in Loop: Header=BB370_10 Depth=1
	s_wait_xcnt 0x0
	s_or_b32 exec_lo, exec_lo, s17
.LBB370_385:                            ;   in Loop: Header=BB370_10 Depth=1
	s_delay_alu instid0(SALU_CYCLE_1)
	s_or_b32 exec_lo, exec_lo, s16
.LBB370_386:                            ;   in Loop: Header=BB370_10 Depth=1
	s_delay_alu instid0(SALU_CYCLE_1)
	s_or_b32 exec_lo, exec_lo, s11
	scratch_load_b64 v[2:3], off, s32 offset:304 ; 8-byte Folded Reload
	v_cmp_lt_u64_e64 s1, s[2:3], v[0:1]
	s_wait_loadcnt 0x0
	v_dual_mov_b32 v0, 0 :: v_dual_mov_b32 v3, 0
	s_clause 0x1
	scratch_store_b64 off, v[0:1], s32 offset:312
	scratch_store_b64 off, v[2:3], s32 offset:304
	s_wait_xcnt 0x0
	s_and_saveexec_b32 s11, s1
	s_cbranch_execz .LBB370_394
; %bb.387:                              ;   in Loop: Header=BB370_10 Depth=1
	scratch_load_b64 v[4:5], off, s32 offset:304 ; 8-byte Folded Reload
	v_lshrrev_b32_e32 v2, 24, v1
	s_wait_loadcnt 0x0
	v_bfrev_b32_e32 v5, 1
	s_mov_b32 s16, exec_lo
	scratch_store_b64 off, v[4:5], s32 offset:304 ; 8-byte Folded Spill
	s_wait_xcnt 0x0
	v_cmpx_ne_u32_e32 0x80, v2
	s_cbranch_execz .LBB370_393
; %bb.388:                              ;   in Loop: Header=BB370_10 Depth=1
	scratch_load_b64 v[4:5], off, s32 offset:304 ; 8-byte Folded Reload
	v_bfe_u32 v0, v1, 24, 7
	s_wait_loadcnt 0x0
	v_mov_b32_e32 v5, 0x7f800001
	s_mov_b32 s17, exec_lo
	scratch_store_b64 off, v[4:5], s32 offset:304 ; 8-byte Folded Spill
	s_wait_xcnt 0x0
	v_cmpx_ne_u32_e32 0x7f, v0
	s_cbranch_execz .LBB370_392
; %bb.389:                              ;   in Loop: Header=BB370_10 Depth=1
	v_dual_lshrrev_b32 v3, 3, v0 :: v_dual_bitop2_b32 v16, 7, v2 bitop3:0x40
	v_cmp_gt_u32_e64 s1, 8, v0
	s_delay_alu instid0(VALU_DEP_2)
	v_mov_b64_e32 v[0:1], v[16:17]
	s_and_saveexec_b32 s18, s1
; %bb.390:                              ;   in Loop: Header=BB370_10 Depth=1
	v_clz_i32_u32_e32 v0, v16
	s_delay_alu instid0(VALU_DEP_1) | instskip(NEXT) | instid1(VALU_DEP_1)
	v_min_u32_e32 v3, 32, v0
	v_subrev_nc_u32_e32 v0, 28, v3
	s_delay_alu instid0(VALU_DEP_1) | instskip(NEXT) | instid1(VALU_DEP_1)
	v_lshlrev_b64_e32 v[0:1], v0, v[16:17]
	v_dual_sub_nc_u32 v3, 29, v3 :: v_dual_bitop2_b32 v0, 7, v0 bitop3:0x40
; %bb.391:                              ;   in Loop: Header=BB370_10 Depth=1
	s_or_b32 exec_lo, exec_lo, s18
	scratch_load_b64 v[4:5], off, s32 offset:304 ; 8-byte Folded Reload
	v_dual_lshlrev_b32 v1, 24, v2 :: v_dual_lshlrev_b32 v0, 20, v0
	v_lshl_add_u32 v2, v3, 23, 0x3c000000
	s_delay_alu instid0(VALU_DEP_2) | instskip(SKIP_1) | instid1(VALU_DEP_1)
	v_and_b32_e32 v1, 0x80000000, v1
	s_wait_loadcnt 0x0
	v_or3_b32 v5, v0, v1, v2
	scratch_store_b64 off, v[4:5], s32 offset:304 ; 8-byte Folded Spill
.LBB370_392:                            ;   in Loop: Header=BB370_10 Depth=1
	s_wait_xcnt 0x0
	s_or_b32 exec_lo, exec_lo, s17
.LBB370_393:                            ;   in Loop: Header=BB370_10 Depth=1
	s_delay_alu instid0(SALU_CYCLE_1)
	s_or_b32 exec_lo, exec_lo, s16
.LBB370_394:                            ;   in Loop: Header=BB370_10 Depth=1
	s_delay_alu instid0(SALU_CYCLE_1)
	s_or_b32 exec_lo, exec_lo, s11
	flat_load_b64 v[0:1], v[32:33] offset:1536
	s_mov_b32 s11, exec_lo
	s_wait_loadcnt_dscnt 0x0
	v_and_b32_e32 v2, 0xff, v0
	s_wait_xcnt 0x0
	s_delay_alu instid0(VALU_DEP_1)
	v_cmpx_ne_u16_e32 0, v2
	s_cbranch_execz .LBB370_402
; %bb.395:                              ;   in Loop: Header=BB370_10 Depth=1
	v_cmp_ne_u16_e64 s1, 0x80, v2
	v_bfrev_b32_e32 v2, 1
	scratch_store_b64 off, v[2:3], s32 offset:312 ; 8-byte Folded Spill
	s_wait_xcnt 0x0
	s_and_saveexec_b32 s16, s1
	s_cbranch_execz .LBB370_401
; %bb.396:                              ;   in Loop: Header=BB370_10 Depth=1
	v_and_b32_e32 v2, 0x7f, v0
	v_mov_b32_e32 v4, 0x7f800001
	s_mov_b32 s17, exec_lo
	scratch_store_b64 off, v[4:5], s32 offset:312 ; 8-byte Folded Spill
	s_wait_xcnt 0x0
	v_cmpx_ne_u32_e32 0x7f, v2
	s_cbranch_execz .LBB370_400
; %bb.397:                              ;   in Loop: Header=BB370_10 Depth=1
	v_lshrrev_b32_e32 v4, 3, v2
	v_cmp_gt_u32_e64 s1, 8, v2
	v_mov_b64_e32 v[2:3], v[0:1]
	s_and_saveexec_b32 s18, s1
; %bb.398:                              ;   in Loop: Header=BB370_10 Depth=1
	v_and_b32_e32 v2, 7, v0
	s_delay_alu instid0(VALU_DEP_1) | instskip(NEXT) | instid1(VALU_DEP_1)
	v_clz_i32_u32_e32 v2, v2
	v_min_u32_e32 v4, 32, v2
	s_delay_alu instid0(VALU_DEP_1) | instskip(SKIP_1) | instid1(VALU_DEP_2)
	v_subrev_nc_u32_e32 v2, 28, v4
	v_sub_nc_u32_e32 v4, 29, v4
	v_lshlrev_b64_e32 v[2:3], v2, v[0:1]
; %bb.399:                              ;   in Loop: Header=BB370_10 Depth=1
	s_or_b32 exec_lo, exec_lo, s18
	s_delay_alu instid0(VALU_DEP_1) | instskip(NEXT) | instid1(VALU_DEP_3)
	v_dual_lshlrev_b32 v2, 20, v2 :: v_dual_lshlrev_b32 v3, 24, v0
	v_lshl_add_u32 v4, v4, 23, 0x3c000000
	s_delay_alu instid0(VALU_DEP_2) | instskip(NEXT) | instid1(VALU_DEP_3)
	v_and_b32_e32 v2, 0x700000, v2
	v_and_b32_e32 v3, 0x80000000, v3
	s_delay_alu instid0(VALU_DEP_1)
	v_or3_b32 v2, v2, v3, v4
	scratch_store_b64 off, v[2:3], s32 offset:312 ; 8-byte Folded Spill
.LBB370_400:                            ;   in Loop: Header=BB370_10 Depth=1
	s_wait_xcnt 0x0
	s_or_b32 exec_lo, exec_lo, s17
.LBB370_401:                            ;   in Loop: Header=BB370_10 Depth=1
	s_delay_alu instid0(SALU_CYCLE_1)
	s_or_b32 exec_lo, exec_lo, s16
.LBB370_402:                            ;   in Loop: Header=BB370_10 Depth=1
	s_delay_alu instid0(SALU_CYCLE_1)
	s_or_b32 exec_lo, exec_lo, s11
	v_mov_b32_e32 v4, 0
	v_lshrrev_b16 v2, 8, v0
	s_mov_b32 s11, exec_lo
	s_clause 0x1
	scratch_store_b64 off, v[4:5], s32 offset:320
	scratch_load_b64 v[4:5], off, s32 offset:312
	s_wait_loadcnt 0x0
	v_mov_b32_e32 v5, 0
	scratch_store_b64 off, v[4:5], s32 offset:312 ; 8-byte Folded Spill
	s_wait_xcnt 0x0
	v_cmpx_ne_u16_e32 0, v2
	s_cbranch_execz .LBB370_410
; %bb.403:                              ;   in Loop: Header=BB370_10 Depth=1
	scratch_load_b64 v[4:5], off, s32 offset:312 ; 8-byte Folded Reload
	s_wait_loadcnt 0x0
	v_bfrev_b32_e32 v5, 1
	s_mov_b32 s16, exec_lo
	scratch_store_b64 off, v[4:5], s32 offset:312 ; 8-byte Folded Spill
	s_wait_xcnt 0x0
	v_cmpx_ne_u16_e32 0x80, v2
	s_cbranch_execz .LBB370_409
; %bb.404:                              ;   in Loop: Header=BB370_10 Depth=1
	scratch_load_b64 v[4:5], off, s32 offset:312 ; 8-byte Folded Reload
	v_and_b32_e32 v3, 0xffff, v2
	s_wait_loadcnt 0x0
	v_mov_b32_e32 v5, 0x7f800001
	s_mov_b32 s17, exec_lo
	s_delay_alu instid0(VALU_DEP_2)
	v_and_b32_e32 v2, 0x7f, v3
	scratch_store_b64 off, v[4:5], s32 offset:312 ; 8-byte Folded Spill
	s_wait_xcnt 0x0
	v_cmpx_ne_u32_e32 0x7f, v2
	s_cbranch_execz .LBB370_408
; %bb.405:                              ;   in Loop: Header=BB370_10 Depth=1
	v_dual_lshrrev_b32 v4, 3, v2 :: v_dual_bitop2_b32 v16, 7, v3 bitop3:0x40
	v_cmp_gt_u32_e64 s1, 8, v2
	s_delay_alu instid0(VALU_DEP_2)
	v_mov_b64_e32 v[2:3], v[16:17]
	s_and_saveexec_b32 s18, s1
; %bb.406:                              ;   in Loop: Header=BB370_10 Depth=1
	v_clz_i32_u32_e32 v2, v16
	s_delay_alu instid0(VALU_DEP_1) | instskip(NEXT) | instid1(VALU_DEP_1)
	v_min_u32_e32 v4, 32, v2
	v_subrev_nc_u32_e32 v2, 28, v4
	s_delay_alu instid0(VALU_DEP_1) | instskip(NEXT) | instid1(VALU_DEP_1)
	v_lshlrev_b64_e32 v[2:3], v2, v[16:17]
	v_dual_sub_nc_u32 v4, 29, v4 :: v_dual_bitop2_b32 v2, 7, v2 bitop3:0x40
; %bb.407:                              ;   in Loop: Header=BB370_10 Depth=1
	s_or_b32 exec_lo, exec_lo, s18
	scratch_load_b64 v[6:7], off, s32 offset:312 ; 8-byte Folded Reload
	v_dual_lshlrev_b32 v3, 16, v0 :: v_dual_lshlrev_b32 v2, 20, v2
	v_lshl_add_u32 v4, v4, 23, 0x3c000000
	s_delay_alu instid0(VALU_DEP_2) | instskip(SKIP_1) | instid1(VALU_DEP_1)
	v_and_b32_e32 v3, 0x80000000, v3
	s_wait_loadcnt 0x0
	v_or3_b32 v7, v2, v3, v4
	scratch_store_b64 off, v[6:7], s32 offset:312 ; 8-byte Folded Spill
.LBB370_408:                            ;   in Loop: Header=BB370_10 Depth=1
	s_wait_xcnt 0x0
	s_or_b32 exec_lo, exec_lo, s17
.LBB370_409:                            ;   in Loop: Header=BB370_10 Depth=1
	s_delay_alu instid0(SALU_CYCLE_1)
	s_or_b32 exec_lo, exec_lo, s16
.LBB370_410:                            ;   in Loop: Header=BB370_10 Depth=1
	s_delay_alu instid0(SALU_CYCLE_1) | instskip(SKIP_2) | instid1(VALU_DEP_1)
	s_or_b32 exec_lo, exec_lo, s11
	v_lshrrev_b32_e32 v4, 16, v0
	s_mov_b32 s11, exec_lo
	v_and_b32_e32 v2, 0xff, v4
	s_delay_alu instid0(VALU_DEP_1)
	v_cmpx_ne_u16_e32 0, v2
	s_cbranch_execz .LBB370_418
; %bb.411:                              ;   in Loop: Header=BB370_10 Depth=1
	v_cmp_ne_u16_e64 s1, 0x80, v2
	v_bfrev_b32_e32 v2, 1
	scratch_store_b64 off, v[2:3], s32 offset:320 ; 8-byte Folded Spill
	s_wait_xcnt 0x0
	s_and_saveexec_b32 s16, s1
	s_cbranch_execz .LBB370_417
; %bb.412:                              ;   in Loop: Header=BB370_10 Depth=1
	v_bfe_u32 v2, v0, 16, 7
	v_mov_b32_e32 v6, 0x7f800001
	s_mov_b32 s17, exec_lo
	scratch_store_b64 off, v[6:7], s32 offset:320 ; 8-byte Folded Spill
	s_wait_xcnt 0x0
	v_cmpx_ne_u32_e32 0x7f, v2
	s_cbranch_execz .LBB370_416
; %bb.413:                              ;   in Loop: Header=BB370_10 Depth=1
	v_dual_lshrrev_b32 v5, 3, v2 :: v_dual_bitop2_b32 v16, 7, v4 bitop3:0x40
	v_cmp_gt_u32_e64 s1, 8, v2
	s_delay_alu instid0(VALU_DEP_2)
	v_mov_b64_e32 v[2:3], v[16:17]
	s_and_saveexec_b32 s18, s1
; %bb.414:                              ;   in Loop: Header=BB370_10 Depth=1
	v_clz_i32_u32_e32 v2, v16
	s_delay_alu instid0(VALU_DEP_1) | instskip(NEXT) | instid1(VALU_DEP_1)
	v_min_u32_e32 v5, 32, v2
	v_subrev_nc_u32_e32 v2, 28, v5
	s_delay_alu instid0(VALU_DEP_1) | instskip(NEXT) | instid1(VALU_DEP_1)
	v_lshlrev_b64_e32 v[2:3], v2, v[16:17]
	v_dual_sub_nc_u32 v5, 29, v5 :: v_dual_bitop2_b32 v2, 7, v2 bitop3:0x40
; %bb.415:                              ;   in Loop: Header=BB370_10 Depth=1
	s_or_b32 exec_lo, exec_lo, s18
	s_delay_alu instid0(VALU_DEP_1) | instskip(NEXT) | instid1(VALU_DEP_2)
	v_dual_lshlrev_b32 v3, 24, v4 :: v_dual_lshlrev_b32 v2, 20, v2
	v_lshl_add_u32 v4, v5, 23, 0x3c000000
	s_delay_alu instid0(VALU_DEP_2) | instskip(NEXT) | instid1(VALU_DEP_1)
	v_and_b32_e32 v3, 0x80000000, v3
	v_or3_b32 v2, v2, v3, v4
	scratch_store_b64 off, v[2:3], s32 offset:320 ; 8-byte Folded Spill
.LBB370_416:                            ;   in Loop: Header=BB370_10 Depth=1
	s_wait_xcnt 0x0
	s_or_b32 exec_lo, exec_lo, s17
.LBB370_417:                            ;   in Loop: Header=BB370_10 Depth=1
	s_delay_alu instid0(SALU_CYCLE_1)
	s_or_b32 exec_lo, exec_lo, s16
.LBB370_418:                            ;   in Loop: Header=BB370_10 Depth=1
	s_delay_alu instid0(SALU_CYCLE_1)
	s_or_b32 exec_lo, exec_lo, s11
	v_mov_b32_e32 v2, 0
	s_mov_b32 s11, exec_lo
	s_clause 0x1
	scratch_store_b64 off, v[2:3], s32 offset:328
	scratch_load_b64 v[2:3], off, s32 offset:320
	s_wait_loadcnt 0x0
	v_mov_b32_e32 v3, 0
	scratch_store_b64 off, v[2:3], s32 offset:320 ; 8-byte Folded Spill
	s_wait_xcnt 0x0
	v_cmpx_lt_u32_e32 0xffffff, v0
	s_cbranch_execz .LBB370_426
; %bb.419:                              ;   in Loop: Header=BB370_10 Depth=1
	scratch_load_b64 v[2:3], off, s32 offset:320 ; 8-byte Folded Reload
	v_lshrrev_b32_e32 v4, 24, v0
	s_wait_loadcnt 0x0
	v_bfrev_b32_e32 v3, 1
	s_mov_b32 s16, exec_lo
	scratch_store_b64 off, v[2:3], s32 offset:320 ; 8-byte Folded Spill
	s_wait_xcnt 0x0
	v_cmpx_ne_u32_e32 0x80, v4
	s_cbranch_execz .LBB370_425
; %bb.420:                              ;   in Loop: Header=BB370_10 Depth=1
	scratch_load_b64 v[6:7], off, s32 offset:320 ; 8-byte Folded Reload
	v_bfe_u32 v2, v0, 24, 7
	s_wait_loadcnt 0x0
	v_mov_b32_e32 v7, 0x7f800001
	s_mov_b32 s17, exec_lo
	scratch_store_b64 off, v[6:7], s32 offset:320 ; 8-byte Folded Spill
	s_wait_xcnt 0x0
	v_cmpx_ne_u32_e32 0x7f, v2
	s_cbranch_execz .LBB370_424
; %bb.421:                              ;   in Loop: Header=BB370_10 Depth=1
	v_dual_lshrrev_b32 v5, 3, v2 :: v_dual_bitop2_b32 v16, 7, v4 bitop3:0x40
	v_cmp_gt_u32_e64 s1, 8, v2
	s_delay_alu instid0(VALU_DEP_2)
	v_mov_b64_e32 v[2:3], v[16:17]
	s_and_saveexec_b32 s18, s1
; %bb.422:                              ;   in Loop: Header=BB370_10 Depth=1
	v_clz_i32_u32_e32 v2, v16
	s_delay_alu instid0(VALU_DEP_1) | instskip(NEXT) | instid1(VALU_DEP_1)
	v_min_u32_e32 v5, 32, v2
	v_subrev_nc_u32_e32 v2, 28, v5
	s_delay_alu instid0(VALU_DEP_1) | instskip(NEXT) | instid1(VALU_DEP_1)
	v_lshlrev_b64_e32 v[2:3], v2, v[16:17]
	v_dual_sub_nc_u32 v5, 29, v5 :: v_dual_bitop2_b32 v2, 7, v2 bitop3:0x40
; %bb.423:                              ;   in Loop: Header=BB370_10 Depth=1
	s_or_b32 exec_lo, exec_lo, s18
	scratch_load_b64 v[6:7], off, s32 offset:320 ; 8-byte Folded Reload
	v_dual_lshlrev_b32 v3, 24, v4 :: v_dual_lshlrev_b32 v2, 20, v2
	v_lshl_add_u32 v4, v5, 23, 0x3c000000
	s_delay_alu instid0(VALU_DEP_2) | instskip(SKIP_1) | instid1(VALU_DEP_1)
	v_and_b32_e32 v3, 0x80000000, v3
	s_wait_loadcnt 0x0
	v_or3_b32 v7, v2, v3, v4
	scratch_store_b64 off, v[6:7], s32 offset:320 ; 8-byte Folded Spill
.LBB370_424:                            ;   in Loop: Header=BB370_10 Depth=1
	s_wait_xcnt 0x0
	s_or_b32 exec_lo, exec_lo, s17
.LBB370_425:                            ;   in Loop: Header=BB370_10 Depth=1
	s_delay_alu instid0(SALU_CYCLE_1)
	s_or_b32 exec_lo, exec_lo, s16
.LBB370_426:                            ;   in Loop: Header=BB370_10 Depth=1
	s_delay_alu instid0(SALU_CYCLE_1) | instskip(SKIP_3) | instid1(VALU_DEP_2)
	s_or_b32 exec_lo, exec_lo, s11
	v_and_b32_e32 v2, 0xff, v1
	v_mov_b32_e32 v16, v1
	s_mov_b32 s11, exec_lo
	v_cmpx_ne_u16_e32 0, v2
	s_cbranch_execz .LBB370_434
; %bb.427:                              ;   in Loop: Header=BB370_10 Depth=1
	v_cmp_ne_u16_e64 s1, 0x80, v2
	v_bfrev_b32_e32 v2, 1
	scratch_store_b64 off, v[2:3], s32 offset:328 ; 8-byte Folded Spill
	s_wait_xcnt 0x0
	s_and_saveexec_b32 s16, s1
	s_cbranch_execz .LBB370_433
; %bb.428:                              ;   in Loop: Header=BB370_10 Depth=1
	v_and_b32_e32 v2, 0x7f, v1
	v_mov_b32_e32 v4, 0x7f800001
	s_mov_b32 s17, exec_lo
	scratch_store_b64 off, v[4:5], s32 offset:328 ; 8-byte Folded Spill
	s_wait_xcnt 0x0
	v_cmpx_ne_u32_e32 0x7f, v2
	s_cbranch_execz .LBB370_432
; %bb.429:                              ;   in Loop: Header=BB370_10 Depth=1
	v_lshrrev_b32_e32 v4, 3, v2
	v_cmp_gt_u32_e64 s1, 8, v2
	v_mov_b64_e32 v[2:3], v[16:17]
	s_and_saveexec_b32 s18, s1
; %bb.430:                              ;   in Loop: Header=BB370_10 Depth=1
	v_and_b32_e32 v2, 7, v1
	s_delay_alu instid0(VALU_DEP_1) | instskip(NEXT) | instid1(VALU_DEP_1)
	v_clz_i32_u32_e32 v2, v2
	v_min_u32_e32 v4, 32, v2
	s_delay_alu instid0(VALU_DEP_1) | instskip(SKIP_1) | instid1(VALU_DEP_2)
	v_subrev_nc_u32_e32 v2, 28, v4
	v_sub_nc_u32_e32 v4, 29, v4
	v_lshlrev_b64_e32 v[2:3], v2, v[16:17]
; %bb.431:                              ;   in Loop: Header=BB370_10 Depth=1
	s_or_b32 exec_lo, exec_lo, s18
	s_delay_alu instid0(VALU_DEP_1) | instskip(NEXT) | instid1(VALU_DEP_3)
	v_dual_lshlrev_b32 v2, 20, v2 :: v_dual_lshlrev_b32 v3, 24, v16
	v_lshl_add_u32 v4, v4, 23, 0x3c000000
	s_delay_alu instid0(VALU_DEP_2) | instskip(NEXT) | instid1(VALU_DEP_3)
	v_and_b32_e32 v2, 0x700000, v2
	v_and_b32_e32 v3, 0x80000000, v3
	s_delay_alu instid0(VALU_DEP_1)
	v_or3_b32 v2, v2, v3, v4
	scratch_store_b64 off, v[2:3], s32 offset:328 ; 8-byte Folded Spill
.LBB370_432:                            ;   in Loop: Header=BB370_10 Depth=1
	s_wait_xcnt 0x0
	s_or_b32 exec_lo, exec_lo, s17
.LBB370_433:                            ;   in Loop: Header=BB370_10 Depth=1
	s_delay_alu instid0(SALU_CYCLE_1)
	s_or_b32 exec_lo, exec_lo, s16
.LBB370_434:                            ;   in Loop: Header=BB370_10 Depth=1
	s_delay_alu instid0(SALU_CYCLE_1)
	s_or_b32 exec_lo, exec_lo, s11
	v_mov_b32_e32 v4, 0
	v_lshrrev_b16 v2, 8, v16
	s_mov_b32 s11, exec_lo
	s_clause 0x1
	scratch_store_b64 off, v[4:5], s32 offset:336
	scratch_load_b64 v[4:5], off, s32 offset:328
	s_wait_loadcnt 0x0
	v_mov_b32_e32 v5, 0
	scratch_store_b64 off, v[4:5], s32 offset:328 ; 8-byte Folded Spill
	s_wait_xcnt 0x0
	v_cmpx_ne_u16_e32 0, v2
	s_cbranch_execz .LBB370_442
; %bb.435:                              ;   in Loop: Header=BB370_10 Depth=1
	scratch_load_b64 v[4:5], off, s32 offset:328 ; 8-byte Folded Reload
	s_wait_loadcnt 0x0
	v_bfrev_b32_e32 v5, 1
	s_mov_b32 s16, exec_lo
	scratch_store_b64 off, v[4:5], s32 offset:328 ; 8-byte Folded Spill
	s_wait_xcnt 0x0
	v_cmpx_ne_u16_e32 0x80, v2
	s_cbranch_execz .LBB370_441
; %bb.436:                              ;   in Loop: Header=BB370_10 Depth=1
	scratch_load_b64 v[6:7], off, s32 offset:328 ; 8-byte Folded Reload
	v_and_b32_e32 v2, 0xffff, v2
	s_wait_loadcnt 0x0
	v_mov_b32_e32 v7, 0x7f800001
	s_mov_b32 s17, exec_lo
	s_delay_alu instid0(VALU_DEP_2)
	v_and_b32_e32 v5, 0x7f, v2
	scratch_store_b64 off, v[6:7], s32 offset:328 ; 8-byte Folded Spill
	s_wait_xcnt 0x0
	v_cmpx_ne_u32_e32 0x7f, v5
	s_cbranch_execz .LBB370_440
; %bb.437:                              ;   in Loop: Header=BB370_10 Depth=1
	v_dual_mov_b32 v3, v17 :: v_dual_bitop2_b32 v2, 7, v2 bitop3:0x40
	v_lshrrev_b32_e32 v4, 3, v5
	s_mov_b32 s18, exec_lo
	v_cmpx_gt_u32_e32 8, v5
; %bb.438:                              ;   in Loop: Header=BB370_10 Depth=1
	s_delay_alu instid0(VALU_DEP_3) | instskip(NEXT) | instid1(VALU_DEP_1)
	v_clz_i32_u32_e32 v4, v2
	v_min_u32_e32 v4, 32, v4
	s_delay_alu instid0(VALU_DEP_1) | instskip(NEXT) | instid1(VALU_DEP_1)
	v_subrev_nc_u32_e32 v5, 28, v4
	v_lshlrev_b64_e32 v[2:3], v5, v[2:3]
	s_delay_alu instid0(VALU_DEP_1)
	v_dual_sub_nc_u32 v4, 29, v4 :: v_dual_bitop2_b32 v2, 7, v2 bitop3:0x40
; %bb.439:                              ;   in Loop: Header=BB370_10 Depth=1
	s_or_b32 exec_lo, exec_lo, s18
	scratch_load_b64 v[6:7], off, s32 offset:328 ; 8-byte Folded Reload
	v_dual_lshlrev_b32 v3, 16, v16 :: v_dual_lshlrev_b32 v2, 20, v2
	v_lshl_add_u32 v4, v4, 23, 0x3c000000
	s_delay_alu instid0(VALU_DEP_2) | instskip(SKIP_1) | instid1(VALU_DEP_1)
	v_and_b32_e32 v3, 0x80000000, v3
	s_wait_loadcnt 0x0
	v_or3_b32 v7, v2, v3, v4
	scratch_store_b64 off, v[6:7], s32 offset:328 ; 8-byte Folded Spill
.LBB370_440:                            ;   in Loop: Header=BB370_10 Depth=1
	s_wait_xcnt 0x0
	s_or_b32 exec_lo, exec_lo, s17
.LBB370_441:                            ;   in Loop: Header=BB370_10 Depth=1
	s_delay_alu instid0(SALU_CYCLE_1)
	s_or_b32 exec_lo, exec_lo, s16
.LBB370_442:                            ;   in Loop: Header=BB370_10 Depth=1
	s_delay_alu instid0(SALU_CYCLE_1) | instskip(SKIP_2) | instid1(VALU_DEP_1)
	s_or_b32 exec_lo, exec_lo, s11
	v_lshrrev_b32_e32 v4, 16, v1
	s_mov_b32 s11, exec_lo
	v_and_b32_e32 v2, 0xff, v4
	s_delay_alu instid0(VALU_DEP_1)
	v_cmpx_ne_u16_e32 0, v2
	s_cbranch_execz .LBB370_450
; %bb.443:                              ;   in Loop: Header=BB370_10 Depth=1
	v_cmp_ne_u16_e64 s1, 0x80, v2
	v_bfrev_b32_e32 v2, 1
	scratch_store_b64 off, v[2:3], s32 offset:336 ; 8-byte Folded Spill
	s_wait_xcnt 0x0
	s_and_saveexec_b32 s16, s1
	s_cbranch_execz .LBB370_449
; %bb.444:                              ;   in Loop: Header=BB370_10 Depth=1
	v_bfe_u32 v2, v1, 16, 7
	v_mov_b32_e32 v6, 0x7f800001
	s_mov_b32 s17, exec_lo
	scratch_store_b64 off, v[6:7], s32 offset:336 ; 8-byte Folded Spill
	s_wait_xcnt 0x0
	v_cmpx_ne_u32_e32 0x7f, v2
	s_cbranch_execz .LBB370_448
; %bb.445:                              ;   in Loop: Header=BB370_10 Depth=1
	v_dual_lshrrev_b32 v5, 3, v2 :: v_dual_bitop2_b32 v16, 7, v4 bitop3:0x40
	v_cmp_gt_u32_e64 s1, 8, v2
	s_delay_alu instid0(VALU_DEP_2)
	v_mov_b64_e32 v[2:3], v[16:17]
	s_and_saveexec_b32 s18, s1
; %bb.446:                              ;   in Loop: Header=BB370_10 Depth=1
	v_clz_i32_u32_e32 v2, v16
	s_delay_alu instid0(VALU_DEP_1) | instskip(NEXT) | instid1(VALU_DEP_1)
	v_min_u32_e32 v5, 32, v2
	v_subrev_nc_u32_e32 v2, 28, v5
	s_delay_alu instid0(VALU_DEP_1) | instskip(NEXT) | instid1(VALU_DEP_1)
	v_lshlrev_b64_e32 v[2:3], v2, v[16:17]
	v_dual_sub_nc_u32 v5, 29, v5 :: v_dual_bitop2_b32 v2, 7, v2 bitop3:0x40
; %bb.447:                              ;   in Loop: Header=BB370_10 Depth=1
	s_or_b32 exec_lo, exec_lo, s18
	s_delay_alu instid0(VALU_DEP_1) | instskip(NEXT) | instid1(VALU_DEP_2)
	v_dual_lshlrev_b32 v3, 24, v4 :: v_dual_lshlrev_b32 v2, 20, v2
	v_lshl_add_u32 v4, v5, 23, 0x3c000000
	s_delay_alu instid0(VALU_DEP_2) | instskip(NEXT) | instid1(VALU_DEP_1)
	v_and_b32_e32 v3, 0x80000000, v3
	v_or3_b32 v2, v2, v3, v4
	scratch_store_b64 off, v[2:3], s32 offset:336 ; 8-byte Folded Spill
.LBB370_448:                            ;   in Loop: Header=BB370_10 Depth=1
	s_wait_xcnt 0x0
	s_or_b32 exec_lo, exec_lo, s17
.LBB370_449:                            ;   in Loop: Header=BB370_10 Depth=1
	s_delay_alu instid0(SALU_CYCLE_1)
	s_or_b32 exec_lo, exec_lo, s16
.LBB370_450:                            ;   in Loop: Header=BB370_10 Depth=1
	s_delay_alu instid0(SALU_CYCLE_1)
	s_or_b32 exec_lo, exec_lo, s11
	scratch_load_b64 v[2:3], off, s32 offset:336 ; 8-byte Folded Reload
	v_cmp_lt_u64_e64 s1, s[2:3], v[0:1]
	s_wait_loadcnt 0x0
	v_dual_mov_b32 v0, 0 :: v_dual_mov_b32 v3, 0
	s_clause 0x1
	scratch_store_b64 off, v[0:1], s32 offset:344
	scratch_store_b64 off, v[2:3], s32 offset:336
	s_wait_xcnt 0x0
	s_and_saveexec_b32 s11, s1
	s_cbranch_execz .LBB370_458
; %bb.451:                              ;   in Loop: Header=BB370_10 Depth=1
	scratch_load_b64 v[4:5], off, s32 offset:336 ; 8-byte Folded Reload
	v_lshrrev_b32_e32 v2, 24, v1
	s_wait_loadcnt 0x0
	v_bfrev_b32_e32 v5, 1
	s_mov_b32 s16, exec_lo
	scratch_store_b64 off, v[4:5], s32 offset:336 ; 8-byte Folded Spill
	s_wait_xcnt 0x0
	v_cmpx_ne_u32_e32 0x80, v2
	s_cbranch_execz .LBB370_457
; %bb.452:                              ;   in Loop: Header=BB370_10 Depth=1
	scratch_load_b64 v[4:5], off, s32 offset:336 ; 8-byte Folded Reload
	v_bfe_u32 v0, v1, 24, 7
	s_wait_loadcnt 0x0
	v_mov_b32_e32 v5, 0x7f800001
	s_mov_b32 s17, exec_lo
	scratch_store_b64 off, v[4:5], s32 offset:336 ; 8-byte Folded Spill
	s_wait_xcnt 0x0
	v_cmpx_ne_u32_e32 0x7f, v0
	s_cbranch_execz .LBB370_456
; %bb.453:                              ;   in Loop: Header=BB370_10 Depth=1
	v_dual_lshrrev_b32 v3, 3, v0 :: v_dual_bitop2_b32 v16, 7, v2 bitop3:0x40
	v_cmp_gt_u32_e64 s1, 8, v0
	s_delay_alu instid0(VALU_DEP_2)
	v_mov_b64_e32 v[0:1], v[16:17]
	s_and_saveexec_b32 s18, s1
; %bb.454:                              ;   in Loop: Header=BB370_10 Depth=1
	v_clz_i32_u32_e32 v0, v16
	s_delay_alu instid0(VALU_DEP_1) | instskip(NEXT) | instid1(VALU_DEP_1)
	v_min_u32_e32 v3, 32, v0
	v_subrev_nc_u32_e32 v0, 28, v3
	s_delay_alu instid0(VALU_DEP_1) | instskip(NEXT) | instid1(VALU_DEP_1)
	v_lshlrev_b64_e32 v[0:1], v0, v[16:17]
	v_dual_sub_nc_u32 v3, 29, v3 :: v_dual_bitop2_b32 v0, 7, v0 bitop3:0x40
; %bb.455:                              ;   in Loop: Header=BB370_10 Depth=1
	s_or_b32 exec_lo, exec_lo, s18
	scratch_load_b64 v[4:5], off, s32 offset:336 ; 8-byte Folded Reload
	v_dual_lshlrev_b32 v1, 24, v2 :: v_dual_lshlrev_b32 v0, 20, v0
	v_lshl_add_u32 v2, v3, 23, 0x3c000000
	s_delay_alu instid0(VALU_DEP_2) | instskip(SKIP_1) | instid1(VALU_DEP_1)
	v_and_b32_e32 v1, 0x80000000, v1
	s_wait_loadcnt 0x0
	v_or3_b32 v5, v0, v1, v2
	scratch_store_b64 off, v[4:5], s32 offset:336 ; 8-byte Folded Spill
.LBB370_456:                            ;   in Loop: Header=BB370_10 Depth=1
	s_wait_xcnt 0x0
	s_or_b32 exec_lo, exec_lo, s17
.LBB370_457:                            ;   in Loop: Header=BB370_10 Depth=1
	s_delay_alu instid0(SALU_CYCLE_1)
	s_or_b32 exec_lo, exec_lo, s16
.LBB370_458:                            ;   in Loop: Header=BB370_10 Depth=1
	s_delay_alu instid0(SALU_CYCLE_1)
	s_or_b32 exec_lo, exec_lo, s11
	flat_load_b64 v[0:1], v[32:33] offset:1544
	s_mov_b32 s11, exec_lo
	s_wait_loadcnt_dscnt 0x0
	v_and_b32_e32 v2, 0xff, v0
	s_wait_xcnt 0x0
	s_delay_alu instid0(VALU_DEP_1)
	v_cmpx_ne_u16_e32 0, v2
	s_cbranch_execz .LBB370_466
; %bb.459:                              ;   in Loop: Header=BB370_10 Depth=1
	v_cmp_ne_u16_e64 s1, 0x80, v2
	v_bfrev_b32_e32 v2, 1
	scratch_store_b64 off, v[2:3], s32 offset:344 ; 8-byte Folded Spill
	s_wait_xcnt 0x0
	s_and_saveexec_b32 s16, s1
	s_cbranch_execz .LBB370_465
; %bb.460:                              ;   in Loop: Header=BB370_10 Depth=1
	v_and_b32_e32 v2, 0x7f, v0
	v_mov_b32_e32 v4, 0x7f800001
	s_mov_b32 s17, exec_lo
	scratch_store_b64 off, v[4:5], s32 offset:344 ; 8-byte Folded Spill
	s_wait_xcnt 0x0
	v_cmpx_ne_u32_e32 0x7f, v2
	s_cbranch_execz .LBB370_464
; %bb.461:                              ;   in Loop: Header=BB370_10 Depth=1
	v_lshrrev_b32_e32 v4, 3, v2
	v_cmp_gt_u32_e64 s1, 8, v2
	v_mov_b64_e32 v[2:3], v[0:1]
	s_and_saveexec_b32 s18, s1
; %bb.462:                              ;   in Loop: Header=BB370_10 Depth=1
	v_and_b32_e32 v2, 7, v0
	s_delay_alu instid0(VALU_DEP_1) | instskip(NEXT) | instid1(VALU_DEP_1)
	v_clz_i32_u32_e32 v2, v2
	v_min_u32_e32 v4, 32, v2
	s_delay_alu instid0(VALU_DEP_1) | instskip(SKIP_1) | instid1(VALU_DEP_2)
	v_subrev_nc_u32_e32 v2, 28, v4
	v_sub_nc_u32_e32 v4, 29, v4
	v_lshlrev_b64_e32 v[2:3], v2, v[0:1]
; %bb.463:                              ;   in Loop: Header=BB370_10 Depth=1
	s_or_b32 exec_lo, exec_lo, s18
	s_delay_alu instid0(VALU_DEP_1) | instskip(NEXT) | instid1(VALU_DEP_3)
	v_dual_lshlrev_b32 v2, 20, v2 :: v_dual_lshlrev_b32 v3, 24, v0
	v_lshl_add_u32 v4, v4, 23, 0x3c000000
	s_delay_alu instid0(VALU_DEP_2) | instskip(NEXT) | instid1(VALU_DEP_3)
	v_and_b32_e32 v2, 0x700000, v2
	v_and_b32_e32 v3, 0x80000000, v3
	s_delay_alu instid0(VALU_DEP_1)
	v_or3_b32 v2, v2, v3, v4
	scratch_store_b64 off, v[2:3], s32 offset:344 ; 8-byte Folded Spill
.LBB370_464:                            ;   in Loop: Header=BB370_10 Depth=1
	s_wait_xcnt 0x0
	s_or_b32 exec_lo, exec_lo, s17
.LBB370_465:                            ;   in Loop: Header=BB370_10 Depth=1
	s_delay_alu instid0(SALU_CYCLE_1)
	s_or_b32 exec_lo, exec_lo, s16
.LBB370_466:                            ;   in Loop: Header=BB370_10 Depth=1
	s_delay_alu instid0(SALU_CYCLE_1)
	s_or_b32 exec_lo, exec_lo, s11
	v_mov_b32_e32 v4, 0
	v_lshrrev_b16 v2, 8, v0
	s_mov_b32 s11, exec_lo
	s_clause 0x1
	scratch_store_b64 off, v[4:5], s32 offset:352
	scratch_load_b64 v[4:5], off, s32 offset:344
	s_wait_loadcnt 0x0
	v_mov_b32_e32 v5, 0
	scratch_store_b64 off, v[4:5], s32 offset:344 ; 8-byte Folded Spill
	s_wait_xcnt 0x0
	v_cmpx_ne_u16_e32 0, v2
	s_cbranch_execz .LBB370_474
; %bb.467:                              ;   in Loop: Header=BB370_10 Depth=1
	scratch_load_b64 v[4:5], off, s32 offset:344 ; 8-byte Folded Reload
	s_wait_loadcnt 0x0
	v_bfrev_b32_e32 v5, 1
	s_mov_b32 s16, exec_lo
	scratch_store_b64 off, v[4:5], s32 offset:344 ; 8-byte Folded Spill
	s_wait_xcnt 0x0
	v_cmpx_ne_u16_e32 0x80, v2
	s_cbranch_execz .LBB370_473
; %bb.468:                              ;   in Loop: Header=BB370_10 Depth=1
	scratch_load_b64 v[4:5], off, s32 offset:344 ; 8-byte Folded Reload
	v_and_b32_e32 v3, 0xffff, v2
	s_wait_loadcnt 0x0
	v_mov_b32_e32 v5, 0x7f800001
	s_mov_b32 s17, exec_lo
	s_delay_alu instid0(VALU_DEP_2)
	v_and_b32_e32 v2, 0x7f, v3
	scratch_store_b64 off, v[4:5], s32 offset:344 ; 8-byte Folded Spill
	s_wait_xcnt 0x0
	v_cmpx_ne_u32_e32 0x7f, v2
	s_cbranch_execz .LBB370_472
; %bb.469:                              ;   in Loop: Header=BB370_10 Depth=1
	v_dual_lshrrev_b32 v4, 3, v2 :: v_dual_bitop2_b32 v16, 7, v3 bitop3:0x40
	v_cmp_gt_u32_e64 s1, 8, v2
	s_delay_alu instid0(VALU_DEP_2)
	v_mov_b64_e32 v[2:3], v[16:17]
	s_and_saveexec_b32 s18, s1
; %bb.470:                              ;   in Loop: Header=BB370_10 Depth=1
	v_clz_i32_u32_e32 v2, v16
	s_delay_alu instid0(VALU_DEP_1) | instskip(NEXT) | instid1(VALU_DEP_1)
	v_min_u32_e32 v4, 32, v2
	v_subrev_nc_u32_e32 v2, 28, v4
	s_delay_alu instid0(VALU_DEP_1) | instskip(NEXT) | instid1(VALU_DEP_1)
	v_lshlrev_b64_e32 v[2:3], v2, v[16:17]
	v_dual_sub_nc_u32 v4, 29, v4 :: v_dual_bitop2_b32 v2, 7, v2 bitop3:0x40
; %bb.471:                              ;   in Loop: Header=BB370_10 Depth=1
	s_or_b32 exec_lo, exec_lo, s18
	scratch_load_b64 v[6:7], off, s32 offset:344 ; 8-byte Folded Reload
	v_dual_lshlrev_b32 v3, 16, v0 :: v_dual_lshlrev_b32 v2, 20, v2
	v_lshl_add_u32 v4, v4, 23, 0x3c000000
	s_delay_alu instid0(VALU_DEP_2) | instskip(SKIP_1) | instid1(VALU_DEP_1)
	v_and_b32_e32 v3, 0x80000000, v3
	s_wait_loadcnt 0x0
	v_or3_b32 v7, v2, v3, v4
	scratch_store_b64 off, v[6:7], s32 offset:344 ; 8-byte Folded Spill
.LBB370_472:                            ;   in Loop: Header=BB370_10 Depth=1
	s_wait_xcnt 0x0
	s_or_b32 exec_lo, exec_lo, s17
.LBB370_473:                            ;   in Loop: Header=BB370_10 Depth=1
	s_delay_alu instid0(SALU_CYCLE_1)
	s_or_b32 exec_lo, exec_lo, s16
.LBB370_474:                            ;   in Loop: Header=BB370_10 Depth=1
	s_delay_alu instid0(SALU_CYCLE_1) | instskip(SKIP_2) | instid1(VALU_DEP_1)
	s_or_b32 exec_lo, exec_lo, s11
	v_lshrrev_b32_e32 v4, 16, v0
	s_mov_b32 s11, exec_lo
	v_and_b32_e32 v2, 0xff, v4
	s_delay_alu instid0(VALU_DEP_1)
	v_cmpx_ne_u16_e32 0, v2
	s_cbranch_execz .LBB370_482
; %bb.475:                              ;   in Loop: Header=BB370_10 Depth=1
	v_cmp_ne_u16_e64 s1, 0x80, v2
	v_bfrev_b32_e32 v2, 1
	scratch_store_b64 off, v[2:3], s32 offset:352 ; 8-byte Folded Spill
	s_wait_xcnt 0x0
	s_and_saveexec_b32 s16, s1
	s_cbranch_execz .LBB370_481
; %bb.476:                              ;   in Loop: Header=BB370_10 Depth=1
	v_bfe_u32 v2, v0, 16, 7
	v_mov_b32_e32 v6, 0x7f800001
	s_mov_b32 s17, exec_lo
	scratch_store_b64 off, v[6:7], s32 offset:352 ; 8-byte Folded Spill
	s_wait_xcnt 0x0
	v_cmpx_ne_u32_e32 0x7f, v2
	s_cbranch_execz .LBB370_480
; %bb.477:                              ;   in Loop: Header=BB370_10 Depth=1
	v_dual_lshrrev_b32 v5, 3, v2 :: v_dual_bitop2_b32 v16, 7, v4 bitop3:0x40
	v_cmp_gt_u32_e64 s1, 8, v2
	s_delay_alu instid0(VALU_DEP_2)
	v_mov_b64_e32 v[2:3], v[16:17]
	s_and_saveexec_b32 s18, s1
; %bb.478:                              ;   in Loop: Header=BB370_10 Depth=1
	v_clz_i32_u32_e32 v2, v16
	s_delay_alu instid0(VALU_DEP_1) | instskip(NEXT) | instid1(VALU_DEP_1)
	v_min_u32_e32 v5, 32, v2
	v_subrev_nc_u32_e32 v2, 28, v5
	s_delay_alu instid0(VALU_DEP_1) | instskip(NEXT) | instid1(VALU_DEP_1)
	v_lshlrev_b64_e32 v[2:3], v2, v[16:17]
	v_dual_sub_nc_u32 v5, 29, v5 :: v_dual_bitop2_b32 v2, 7, v2 bitop3:0x40
; %bb.479:                              ;   in Loop: Header=BB370_10 Depth=1
	s_or_b32 exec_lo, exec_lo, s18
	s_delay_alu instid0(VALU_DEP_1) | instskip(NEXT) | instid1(VALU_DEP_2)
	v_dual_lshlrev_b32 v3, 24, v4 :: v_dual_lshlrev_b32 v2, 20, v2
	v_lshl_add_u32 v4, v5, 23, 0x3c000000
	s_delay_alu instid0(VALU_DEP_2) | instskip(NEXT) | instid1(VALU_DEP_1)
	v_and_b32_e32 v3, 0x80000000, v3
	v_or3_b32 v2, v2, v3, v4
	scratch_store_b64 off, v[2:3], s32 offset:352 ; 8-byte Folded Spill
.LBB370_480:                            ;   in Loop: Header=BB370_10 Depth=1
	s_wait_xcnt 0x0
	s_or_b32 exec_lo, exec_lo, s17
.LBB370_481:                            ;   in Loop: Header=BB370_10 Depth=1
	s_delay_alu instid0(SALU_CYCLE_1)
	s_or_b32 exec_lo, exec_lo, s16
.LBB370_482:                            ;   in Loop: Header=BB370_10 Depth=1
	s_delay_alu instid0(SALU_CYCLE_1)
	s_or_b32 exec_lo, exec_lo, s11
	v_mov_b32_e32 v2, 0
	s_mov_b32 s11, exec_lo
	s_clause 0x1
	scratch_store_b64 off, v[2:3], s32 offset:360
	scratch_load_b64 v[2:3], off, s32 offset:352
	s_wait_loadcnt 0x0
	v_mov_b32_e32 v3, 0
	scratch_store_b64 off, v[2:3], s32 offset:352 ; 8-byte Folded Spill
	s_wait_xcnt 0x0
	v_cmpx_lt_u32_e32 0xffffff, v0
	s_cbranch_execz .LBB370_490
; %bb.483:                              ;   in Loop: Header=BB370_10 Depth=1
	scratch_load_b64 v[2:3], off, s32 offset:352 ; 8-byte Folded Reload
	v_lshrrev_b32_e32 v4, 24, v0
	s_wait_loadcnt 0x0
	v_bfrev_b32_e32 v3, 1
	s_mov_b32 s16, exec_lo
	scratch_store_b64 off, v[2:3], s32 offset:352 ; 8-byte Folded Spill
	s_wait_xcnt 0x0
	v_cmpx_ne_u32_e32 0x80, v4
	s_cbranch_execz .LBB370_489
; %bb.484:                              ;   in Loop: Header=BB370_10 Depth=1
	scratch_load_b64 v[6:7], off, s32 offset:352 ; 8-byte Folded Reload
	v_bfe_u32 v2, v0, 24, 7
	s_wait_loadcnt 0x0
	v_mov_b32_e32 v7, 0x7f800001
	s_mov_b32 s17, exec_lo
	scratch_store_b64 off, v[6:7], s32 offset:352 ; 8-byte Folded Spill
	s_wait_xcnt 0x0
	v_cmpx_ne_u32_e32 0x7f, v2
	s_cbranch_execz .LBB370_488
; %bb.485:                              ;   in Loop: Header=BB370_10 Depth=1
	v_dual_lshrrev_b32 v5, 3, v2 :: v_dual_bitop2_b32 v16, 7, v4 bitop3:0x40
	v_cmp_gt_u32_e64 s1, 8, v2
	s_delay_alu instid0(VALU_DEP_2)
	v_mov_b64_e32 v[2:3], v[16:17]
	s_and_saveexec_b32 s18, s1
; %bb.486:                              ;   in Loop: Header=BB370_10 Depth=1
	v_clz_i32_u32_e32 v2, v16
	s_delay_alu instid0(VALU_DEP_1) | instskip(NEXT) | instid1(VALU_DEP_1)
	v_min_u32_e32 v5, 32, v2
	v_subrev_nc_u32_e32 v2, 28, v5
	s_delay_alu instid0(VALU_DEP_1) | instskip(NEXT) | instid1(VALU_DEP_1)
	v_lshlrev_b64_e32 v[2:3], v2, v[16:17]
	v_dual_sub_nc_u32 v5, 29, v5 :: v_dual_bitop2_b32 v2, 7, v2 bitop3:0x40
; %bb.487:                              ;   in Loop: Header=BB370_10 Depth=1
	s_or_b32 exec_lo, exec_lo, s18
	scratch_load_b64 v[6:7], off, s32 offset:352 ; 8-byte Folded Reload
	v_dual_lshlrev_b32 v3, 24, v4 :: v_dual_lshlrev_b32 v2, 20, v2
	v_lshl_add_u32 v4, v5, 23, 0x3c000000
	s_delay_alu instid0(VALU_DEP_2) | instskip(SKIP_1) | instid1(VALU_DEP_1)
	v_and_b32_e32 v3, 0x80000000, v3
	s_wait_loadcnt 0x0
	v_or3_b32 v7, v2, v3, v4
	scratch_store_b64 off, v[6:7], s32 offset:352 ; 8-byte Folded Spill
.LBB370_488:                            ;   in Loop: Header=BB370_10 Depth=1
	s_wait_xcnt 0x0
	s_or_b32 exec_lo, exec_lo, s17
.LBB370_489:                            ;   in Loop: Header=BB370_10 Depth=1
	s_delay_alu instid0(SALU_CYCLE_1)
	s_or_b32 exec_lo, exec_lo, s16
.LBB370_490:                            ;   in Loop: Header=BB370_10 Depth=1
	s_delay_alu instid0(SALU_CYCLE_1) | instskip(SKIP_3) | instid1(VALU_DEP_2)
	s_or_b32 exec_lo, exec_lo, s11
	v_and_b32_e32 v2, 0xff, v1
	v_mov_b32_e32 v16, v1
	s_mov_b32 s11, exec_lo
	v_cmpx_ne_u16_e32 0, v2
	s_cbranch_execz .LBB370_498
; %bb.491:                              ;   in Loop: Header=BB370_10 Depth=1
	v_cmp_ne_u16_e64 s1, 0x80, v2
	v_bfrev_b32_e32 v2, 1
	scratch_store_b64 off, v[2:3], s32 offset:360 ; 8-byte Folded Spill
	s_wait_xcnt 0x0
	s_and_saveexec_b32 s16, s1
	s_cbranch_execz .LBB370_497
; %bb.492:                              ;   in Loop: Header=BB370_10 Depth=1
	v_and_b32_e32 v2, 0x7f, v1
	v_mov_b32_e32 v4, 0x7f800001
	s_mov_b32 s17, exec_lo
	scratch_store_b64 off, v[4:5], s32 offset:360 ; 8-byte Folded Spill
	s_wait_xcnt 0x0
	v_cmpx_ne_u32_e32 0x7f, v2
	s_cbranch_execz .LBB370_496
; %bb.493:                              ;   in Loop: Header=BB370_10 Depth=1
	v_lshrrev_b32_e32 v4, 3, v2
	v_cmp_gt_u32_e64 s1, 8, v2
	v_mov_b64_e32 v[2:3], v[16:17]
	s_and_saveexec_b32 s18, s1
; %bb.494:                              ;   in Loop: Header=BB370_10 Depth=1
	v_and_b32_e32 v2, 7, v1
	s_delay_alu instid0(VALU_DEP_1) | instskip(NEXT) | instid1(VALU_DEP_1)
	v_clz_i32_u32_e32 v2, v2
	v_min_u32_e32 v4, 32, v2
	s_delay_alu instid0(VALU_DEP_1) | instskip(SKIP_1) | instid1(VALU_DEP_2)
	v_subrev_nc_u32_e32 v2, 28, v4
	v_sub_nc_u32_e32 v4, 29, v4
	v_lshlrev_b64_e32 v[2:3], v2, v[16:17]
; %bb.495:                              ;   in Loop: Header=BB370_10 Depth=1
	s_or_b32 exec_lo, exec_lo, s18
	s_delay_alu instid0(VALU_DEP_1) | instskip(NEXT) | instid1(VALU_DEP_3)
	v_dual_lshlrev_b32 v2, 20, v2 :: v_dual_lshlrev_b32 v3, 24, v16
	v_lshl_add_u32 v4, v4, 23, 0x3c000000
	s_delay_alu instid0(VALU_DEP_2) | instskip(NEXT) | instid1(VALU_DEP_3)
	v_and_b32_e32 v2, 0x700000, v2
	v_and_b32_e32 v3, 0x80000000, v3
	s_delay_alu instid0(VALU_DEP_1)
	v_or3_b32 v2, v2, v3, v4
	scratch_store_b64 off, v[2:3], s32 offset:360 ; 8-byte Folded Spill
.LBB370_496:                            ;   in Loop: Header=BB370_10 Depth=1
	s_wait_xcnt 0x0
	s_or_b32 exec_lo, exec_lo, s17
.LBB370_497:                            ;   in Loop: Header=BB370_10 Depth=1
	s_delay_alu instid0(SALU_CYCLE_1)
	s_or_b32 exec_lo, exec_lo, s16
.LBB370_498:                            ;   in Loop: Header=BB370_10 Depth=1
	s_delay_alu instid0(SALU_CYCLE_1)
	s_or_b32 exec_lo, exec_lo, s11
	v_mov_b32_e32 v4, 0
	v_lshrrev_b16 v2, 8, v16
	s_mov_b32 s11, exec_lo
	s_clause 0x1
	scratch_store_b64 off, v[4:5], s32 offset:368
	scratch_load_b64 v[4:5], off, s32 offset:360
	s_wait_loadcnt 0x0
	v_mov_b32_e32 v5, 0
	scratch_store_b64 off, v[4:5], s32 offset:360 ; 8-byte Folded Spill
	s_wait_xcnt 0x0
	v_cmpx_ne_u16_e32 0, v2
	s_cbranch_execz .LBB370_506
; %bb.499:                              ;   in Loop: Header=BB370_10 Depth=1
	scratch_load_b64 v[4:5], off, s32 offset:360 ; 8-byte Folded Reload
	s_wait_loadcnt 0x0
	v_bfrev_b32_e32 v5, 1
	s_mov_b32 s16, exec_lo
	scratch_store_b64 off, v[4:5], s32 offset:360 ; 8-byte Folded Spill
	s_wait_xcnt 0x0
	v_cmpx_ne_u16_e32 0x80, v2
	s_cbranch_execz .LBB370_505
; %bb.500:                              ;   in Loop: Header=BB370_10 Depth=1
	scratch_load_b64 v[6:7], off, s32 offset:360 ; 8-byte Folded Reload
	v_and_b32_e32 v2, 0xffff, v2
	s_wait_loadcnt 0x0
	v_mov_b32_e32 v7, 0x7f800001
	s_mov_b32 s17, exec_lo
	s_delay_alu instid0(VALU_DEP_2)
	v_and_b32_e32 v5, 0x7f, v2
	scratch_store_b64 off, v[6:7], s32 offset:360 ; 8-byte Folded Spill
	s_wait_xcnt 0x0
	v_cmpx_ne_u32_e32 0x7f, v5
	s_cbranch_execz .LBB370_504
; %bb.501:                              ;   in Loop: Header=BB370_10 Depth=1
	v_dual_mov_b32 v3, v17 :: v_dual_bitop2_b32 v2, 7, v2 bitop3:0x40
	v_lshrrev_b32_e32 v4, 3, v5
	s_mov_b32 s18, exec_lo
	v_cmpx_gt_u32_e32 8, v5
; %bb.502:                              ;   in Loop: Header=BB370_10 Depth=1
	s_delay_alu instid0(VALU_DEP_3) | instskip(NEXT) | instid1(VALU_DEP_1)
	v_clz_i32_u32_e32 v4, v2
	v_min_u32_e32 v4, 32, v4
	s_delay_alu instid0(VALU_DEP_1) | instskip(NEXT) | instid1(VALU_DEP_1)
	v_subrev_nc_u32_e32 v5, 28, v4
	v_lshlrev_b64_e32 v[2:3], v5, v[2:3]
	s_delay_alu instid0(VALU_DEP_1)
	v_dual_sub_nc_u32 v4, 29, v4 :: v_dual_bitop2_b32 v2, 7, v2 bitop3:0x40
; %bb.503:                              ;   in Loop: Header=BB370_10 Depth=1
	s_or_b32 exec_lo, exec_lo, s18
	scratch_load_b64 v[6:7], off, s32 offset:360 ; 8-byte Folded Reload
	v_dual_lshlrev_b32 v3, 16, v16 :: v_dual_lshlrev_b32 v2, 20, v2
	v_lshl_add_u32 v4, v4, 23, 0x3c000000
	s_delay_alu instid0(VALU_DEP_2) | instskip(SKIP_1) | instid1(VALU_DEP_1)
	v_and_b32_e32 v3, 0x80000000, v3
	s_wait_loadcnt 0x0
	v_or3_b32 v7, v2, v3, v4
	scratch_store_b64 off, v[6:7], s32 offset:360 ; 8-byte Folded Spill
.LBB370_504:                            ;   in Loop: Header=BB370_10 Depth=1
	s_wait_xcnt 0x0
	s_or_b32 exec_lo, exec_lo, s17
.LBB370_505:                            ;   in Loop: Header=BB370_10 Depth=1
	s_delay_alu instid0(SALU_CYCLE_1)
	s_or_b32 exec_lo, exec_lo, s16
.LBB370_506:                            ;   in Loop: Header=BB370_10 Depth=1
	s_delay_alu instid0(SALU_CYCLE_1) | instskip(SKIP_2) | instid1(VALU_DEP_1)
	s_or_b32 exec_lo, exec_lo, s11
	v_lshrrev_b32_e32 v4, 16, v1
	s_mov_b32 s11, exec_lo
	v_and_b32_e32 v2, 0xff, v4
	s_delay_alu instid0(VALU_DEP_1)
	v_cmpx_ne_u16_e32 0, v2
	s_cbranch_execz .LBB370_514
; %bb.507:                              ;   in Loop: Header=BB370_10 Depth=1
	v_cmp_ne_u16_e64 s1, 0x80, v2
	v_bfrev_b32_e32 v2, 1
	scratch_store_b64 off, v[2:3], s32 offset:368 ; 8-byte Folded Spill
	s_wait_xcnt 0x0
	s_and_saveexec_b32 s16, s1
	s_cbranch_execz .LBB370_513
; %bb.508:                              ;   in Loop: Header=BB370_10 Depth=1
	v_bfe_u32 v2, v1, 16, 7
	v_mov_b32_e32 v6, 0x7f800001
	s_mov_b32 s17, exec_lo
	scratch_store_b64 off, v[6:7], s32 offset:368 ; 8-byte Folded Spill
	s_wait_xcnt 0x0
	v_cmpx_ne_u32_e32 0x7f, v2
	s_cbranch_execz .LBB370_512
; %bb.509:                              ;   in Loop: Header=BB370_10 Depth=1
	v_dual_lshrrev_b32 v5, 3, v2 :: v_dual_bitop2_b32 v16, 7, v4 bitop3:0x40
	v_cmp_gt_u32_e64 s1, 8, v2
	s_delay_alu instid0(VALU_DEP_2)
	v_mov_b64_e32 v[2:3], v[16:17]
	s_and_saveexec_b32 s18, s1
; %bb.510:                              ;   in Loop: Header=BB370_10 Depth=1
	v_clz_i32_u32_e32 v2, v16
	s_delay_alu instid0(VALU_DEP_1) | instskip(NEXT) | instid1(VALU_DEP_1)
	v_min_u32_e32 v5, 32, v2
	v_subrev_nc_u32_e32 v2, 28, v5
	s_delay_alu instid0(VALU_DEP_1) | instskip(NEXT) | instid1(VALU_DEP_1)
	v_lshlrev_b64_e32 v[2:3], v2, v[16:17]
	v_dual_sub_nc_u32 v5, 29, v5 :: v_dual_bitop2_b32 v2, 7, v2 bitop3:0x40
; %bb.511:                              ;   in Loop: Header=BB370_10 Depth=1
	s_or_b32 exec_lo, exec_lo, s18
	s_delay_alu instid0(VALU_DEP_1) | instskip(NEXT) | instid1(VALU_DEP_2)
	v_dual_lshlrev_b32 v3, 24, v4 :: v_dual_lshlrev_b32 v2, 20, v2
	v_lshl_add_u32 v4, v5, 23, 0x3c000000
	s_delay_alu instid0(VALU_DEP_2) | instskip(NEXT) | instid1(VALU_DEP_1)
	v_and_b32_e32 v3, 0x80000000, v3
	v_or3_b32 v2, v2, v3, v4
	scratch_store_b64 off, v[2:3], s32 offset:368 ; 8-byte Folded Spill
.LBB370_512:                            ;   in Loop: Header=BB370_10 Depth=1
	s_wait_xcnt 0x0
	s_or_b32 exec_lo, exec_lo, s17
.LBB370_513:                            ;   in Loop: Header=BB370_10 Depth=1
	s_delay_alu instid0(SALU_CYCLE_1)
	s_or_b32 exec_lo, exec_lo, s16
.LBB370_514:                            ;   in Loop: Header=BB370_10 Depth=1
	s_delay_alu instid0(SALU_CYCLE_1)
	s_or_b32 exec_lo, exec_lo, s11
	scratch_load_b64 v[2:3], off, s32 offset:368 ; 8-byte Folded Reload
	v_cmp_lt_u64_e64 s1, s[2:3], v[0:1]
	s_wait_loadcnt 0x0
	v_dual_mov_b32 v0, 0 :: v_dual_mov_b32 v3, 0
	s_clause 0x1
	scratch_store_b64 off, v[0:1], s32 offset:376
	scratch_store_b64 off, v[2:3], s32 offset:368
	s_wait_xcnt 0x0
	s_and_saveexec_b32 s11, s1
	s_cbranch_execz .LBB370_522
; %bb.515:                              ;   in Loop: Header=BB370_10 Depth=1
	scratch_load_b64 v[4:5], off, s32 offset:368 ; 8-byte Folded Reload
	v_lshrrev_b32_e32 v2, 24, v1
	s_wait_loadcnt 0x0
	v_bfrev_b32_e32 v5, 1
	s_mov_b32 s16, exec_lo
	scratch_store_b64 off, v[4:5], s32 offset:368 ; 8-byte Folded Spill
	s_wait_xcnt 0x0
	v_cmpx_ne_u32_e32 0x80, v2
	s_cbranch_execz .LBB370_521
; %bb.516:                              ;   in Loop: Header=BB370_10 Depth=1
	scratch_load_b64 v[4:5], off, s32 offset:368 ; 8-byte Folded Reload
	v_bfe_u32 v0, v1, 24, 7
	s_wait_loadcnt 0x0
	v_mov_b32_e32 v5, 0x7f800001
	s_mov_b32 s17, exec_lo
	scratch_store_b64 off, v[4:5], s32 offset:368 ; 8-byte Folded Spill
	s_wait_xcnt 0x0
	v_cmpx_ne_u32_e32 0x7f, v0
	s_cbranch_execz .LBB370_520
; %bb.517:                              ;   in Loop: Header=BB370_10 Depth=1
	v_dual_lshrrev_b32 v3, 3, v0 :: v_dual_bitop2_b32 v16, 7, v2 bitop3:0x40
	v_cmp_gt_u32_e64 s1, 8, v0
	s_delay_alu instid0(VALU_DEP_2)
	v_mov_b64_e32 v[0:1], v[16:17]
	s_and_saveexec_b32 s18, s1
; %bb.518:                              ;   in Loop: Header=BB370_10 Depth=1
	v_clz_i32_u32_e32 v0, v16
	s_delay_alu instid0(VALU_DEP_1) | instskip(NEXT) | instid1(VALU_DEP_1)
	v_min_u32_e32 v3, 32, v0
	v_subrev_nc_u32_e32 v0, 28, v3
	s_delay_alu instid0(VALU_DEP_1) | instskip(NEXT) | instid1(VALU_DEP_1)
	v_lshlrev_b64_e32 v[0:1], v0, v[16:17]
	v_dual_sub_nc_u32 v3, 29, v3 :: v_dual_bitop2_b32 v0, 7, v0 bitop3:0x40
; %bb.519:                              ;   in Loop: Header=BB370_10 Depth=1
	s_or_b32 exec_lo, exec_lo, s18
	scratch_load_b64 v[4:5], off, s32 offset:368 ; 8-byte Folded Reload
	v_dual_lshlrev_b32 v1, 24, v2 :: v_dual_lshlrev_b32 v0, 20, v0
	v_lshl_add_u32 v2, v3, 23, 0x3c000000
	s_delay_alu instid0(VALU_DEP_2) | instskip(SKIP_1) | instid1(VALU_DEP_1)
	v_and_b32_e32 v1, 0x80000000, v1
	s_wait_loadcnt 0x0
	v_or3_b32 v5, v0, v1, v2
	scratch_store_b64 off, v[4:5], s32 offset:368 ; 8-byte Folded Spill
.LBB370_520:                            ;   in Loop: Header=BB370_10 Depth=1
	s_wait_xcnt 0x0
	s_or_b32 exec_lo, exec_lo, s17
.LBB370_521:                            ;   in Loop: Header=BB370_10 Depth=1
	s_delay_alu instid0(SALU_CYCLE_1)
	s_or_b32 exec_lo, exec_lo, s16
.LBB370_522:                            ;   in Loop: Header=BB370_10 Depth=1
	s_delay_alu instid0(SALU_CYCLE_1)
	s_or_b32 exec_lo, exec_lo, s11
	flat_load_b64 v[0:1], v[32:33] offset:2048
	s_mov_b32 s11, exec_lo
	s_wait_loadcnt_dscnt 0x0
	v_and_b32_e32 v2, 0xff, v0
	s_wait_xcnt 0x0
	s_delay_alu instid0(VALU_DEP_1)
	v_cmpx_ne_u16_e32 0, v2
	s_cbranch_execz .LBB370_530
; %bb.523:                              ;   in Loop: Header=BB370_10 Depth=1
	v_cmp_ne_u16_e64 s1, 0x80, v2
	v_bfrev_b32_e32 v2, 1
	scratch_store_b64 off, v[2:3], s32 offset:376 ; 8-byte Folded Spill
	s_wait_xcnt 0x0
	s_and_saveexec_b32 s16, s1
	s_cbranch_execz .LBB370_529
; %bb.524:                              ;   in Loop: Header=BB370_10 Depth=1
	v_and_b32_e32 v2, 0x7f, v0
	v_mov_b32_e32 v4, 0x7f800001
	s_mov_b32 s17, exec_lo
	scratch_store_b64 off, v[4:5], s32 offset:376 ; 8-byte Folded Spill
	s_wait_xcnt 0x0
	v_cmpx_ne_u32_e32 0x7f, v2
	s_cbranch_execz .LBB370_528
; %bb.525:                              ;   in Loop: Header=BB370_10 Depth=1
	v_lshrrev_b32_e32 v4, 3, v2
	v_cmp_gt_u32_e64 s1, 8, v2
	v_mov_b64_e32 v[2:3], v[0:1]
	s_and_saveexec_b32 s18, s1
; %bb.526:                              ;   in Loop: Header=BB370_10 Depth=1
	v_and_b32_e32 v2, 7, v0
	s_delay_alu instid0(VALU_DEP_1) | instskip(NEXT) | instid1(VALU_DEP_1)
	v_clz_i32_u32_e32 v2, v2
	v_min_u32_e32 v4, 32, v2
	s_delay_alu instid0(VALU_DEP_1) | instskip(SKIP_1) | instid1(VALU_DEP_2)
	v_subrev_nc_u32_e32 v2, 28, v4
	v_sub_nc_u32_e32 v4, 29, v4
	v_lshlrev_b64_e32 v[2:3], v2, v[0:1]
; %bb.527:                              ;   in Loop: Header=BB370_10 Depth=1
	s_or_b32 exec_lo, exec_lo, s18
	s_delay_alu instid0(VALU_DEP_1) | instskip(NEXT) | instid1(VALU_DEP_3)
	v_dual_lshlrev_b32 v2, 20, v2 :: v_dual_lshlrev_b32 v3, 24, v0
	v_lshl_add_u32 v4, v4, 23, 0x3c000000
	s_delay_alu instid0(VALU_DEP_2) | instskip(NEXT) | instid1(VALU_DEP_3)
	v_and_b32_e32 v2, 0x700000, v2
	v_and_b32_e32 v3, 0x80000000, v3
	s_delay_alu instid0(VALU_DEP_1)
	v_or3_b32 v2, v2, v3, v4
	scratch_store_b64 off, v[2:3], s32 offset:376 ; 8-byte Folded Spill
.LBB370_528:                            ;   in Loop: Header=BB370_10 Depth=1
	s_wait_xcnt 0x0
	s_or_b32 exec_lo, exec_lo, s17
.LBB370_529:                            ;   in Loop: Header=BB370_10 Depth=1
	s_delay_alu instid0(SALU_CYCLE_1)
	s_or_b32 exec_lo, exec_lo, s16
.LBB370_530:                            ;   in Loop: Header=BB370_10 Depth=1
	s_delay_alu instid0(SALU_CYCLE_1)
	s_or_b32 exec_lo, exec_lo, s11
	v_mov_b32_e32 v4, 0
	v_lshrrev_b16 v2, 8, v0
	s_mov_b32 s11, exec_lo
	s_clause 0x1
	scratch_store_b64 off, v[4:5], s32 offset:384
	scratch_load_b64 v[4:5], off, s32 offset:376
	s_wait_loadcnt 0x0
	v_mov_b32_e32 v5, 0
	scratch_store_b64 off, v[4:5], s32 offset:376 ; 8-byte Folded Spill
	s_wait_xcnt 0x0
	v_cmpx_ne_u16_e32 0, v2
	s_cbranch_execz .LBB370_538
; %bb.531:                              ;   in Loop: Header=BB370_10 Depth=1
	scratch_load_b64 v[4:5], off, s32 offset:376 ; 8-byte Folded Reload
	s_wait_loadcnt 0x0
	v_bfrev_b32_e32 v5, 1
	s_mov_b32 s16, exec_lo
	scratch_store_b64 off, v[4:5], s32 offset:376 ; 8-byte Folded Spill
	s_wait_xcnt 0x0
	v_cmpx_ne_u16_e32 0x80, v2
	s_cbranch_execz .LBB370_537
; %bb.532:                              ;   in Loop: Header=BB370_10 Depth=1
	scratch_load_b64 v[4:5], off, s32 offset:376 ; 8-byte Folded Reload
	v_and_b32_e32 v3, 0xffff, v2
	s_wait_loadcnt 0x0
	v_mov_b32_e32 v5, 0x7f800001
	s_mov_b32 s17, exec_lo
	s_delay_alu instid0(VALU_DEP_2)
	v_and_b32_e32 v2, 0x7f, v3
	scratch_store_b64 off, v[4:5], s32 offset:376 ; 8-byte Folded Spill
	s_wait_xcnt 0x0
	v_cmpx_ne_u32_e32 0x7f, v2
	s_cbranch_execz .LBB370_536
; %bb.533:                              ;   in Loop: Header=BB370_10 Depth=1
	v_dual_lshrrev_b32 v4, 3, v2 :: v_dual_bitop2_b32 v16, 7, v3 bitop3:0x40
	v_cmp_gt_u32_e64 s1, 8, v2
	s_delay_alu instid0(VALU_DEP_2)
	v_mov_b64_e32 v[2:3], v[16:17]
	s_and_saveexec_b32 s18, s1
; %bb.534:                              ;   in Loop: Header=BB370_10 Depth=1
	v_clz_i32_u32_e32 v2, v16
	s_delay_alu instid0(VALU_DEP_1) | instskip(NEXT) | instid1(VALU_DEP_1)
	v_min_u32_e32 v4, 32, v2
	v_subrev_nc_u32_e32 v2, 28, v4
	s_delay_alu instid0(VALU_DEP_1) | instskip(NEXT) | instid1(VALU_DEP_1)
	v_lshlrev_b64_e32 v[2:3], v2, v[16:17]
	v_dual_sub_nc_u32 v4, 29, v4 :: v_dual_bitop2_b32 v2, 7, v2 bitop3:0x40
; %bb.535:                              ;   in Loop: Header=BB370_10 Depth=1
	s_or_b32 exec_lo, exec_lo, s18
	scratch_load_b64 v[6:7], off, s32 offset:376 ; 8-byte Folded Reload
	v_dual_lshlrev_b32 v3, 16, v0 :: v_dual_lshlrev_b32 v2, 20, v2
	v_lshl_add_u32 v4, v4, 23, 0x3c000000
	s_delay_alu instid0(VALU_DEP_2) | instskip(SKIP_1) | instid1(VALU_DEP_1)
	v_and_b32_e32 v3, 0x80000000, v3
	s_wait_loadcnt 0x0
	v_or3_b32 v7, v2, v3, v4
	scratch_store_b64 off, v[6:7], s32 offset:376 ; 8-byte Folded Spill
.LBB370_536:                            ;   in Loop: Header=BB370_10 Depth=1
	s_wait_xcnt 0x0
	s_or_b32 exec_lo, exec_lo, s17
.LBB370_537:                            ;   in Loop: Header=BB370_10 Depth=1
	s_delay_alu instid0(SALU_CYCLE_1)
	s_or_b32 exec_lo, exec_lo, s16
.LBB370_538:                            ;   in Loop: Header=BB370_10 Depth=1
	s_delay_alu instid0(SALU_CYCLE_1) | instskip(SKIP_2) | instid1(VALU_DEP_1)
	s_or_b32 exec_lo, exec_lo, s11
	v_lshrrev_b32_e32 v4, 16, v0
	s_mov_b32 s11, exec_lo
	v_and_b32_e32 v2, 0xff, v4
	s_delay_alu instid0(VALU_DEP_1)
	v_cmpx_ne_u16_e32 0, v2
	s_cbranch_execz .LBB370_546
; %bb.539:                              ;   in Loop: Header=BB370_10 Depth=1
	v_cmp_ne_u16_e64 s1, 0x80, v2
	v_bfrev_b32_e32 v2, 1
	scratch_store_b64 off, v[2:3], s32 offset:384 ; 8-byte Folded Spill
	s_wait_xcnt 0x0
	s_and_saveexec_b32 s16, s1
	s_cbranch_execz .LBB370_545
; %bb.540:                              ;   in Loop: Header=BB370_10 Depth=1
	v_bfe_u32 v2, v0, 16, 7
	v_mov_b32_e32 v6, 0x7f800001
	s_mov_b32 s17, exec_lo
	scratch_store_b64 off, v[6:7], s32 offset:384 ; 8-byte Folded Spill
	s_wait_xcnt 0x0
	v_cmpx_ne_u32_e32 0x7f, v2
	s_cbranch_execz .LBB370_544
; %bb.541:                              ;   in Loop: Header=BB370_10 Depth=1
	v_dual_lshrrev_b32 v5, 3, v2 :: v_dual_bitop2_b32 v16, 7, v4 bitop3:0x40
	v_cmp_gt_u32_e64 s1, 8, v2
	s_delay_alu instid0(VALU_DEP_2)
	v_mov_b64_e32 v[2:3], v[16:17]
	s_and_saveexec_b32 s18, s1
; %bb.542:                              ;   in Loop: Header=BB370_10 Depth=1
	v_clz_i32_u32_e32 v2, v16
	s_delay_alu instid0(VALU_DEP_1) | instskip(NEXT) | instid1(VALU_DEP_1)
	v_min_u32_e32 v5, 32, v2
	v_subrev_nc_u32_e32 v2, 28, v5
	s_delay_alu instid0(VALU_DEP_1) | instskip(NEXT) | instid1(VALU_DEP_1)
	v_lshlrev_b64_e32 v[2:3], v2, v[16:17]
	v_dual_sub_nc_u32 v5, 29, v5 :: v_dual_bitop2_b32 v2, 7, v2 bitop3:0x40
; %bb.543:                              ;   in Loop: Header=BB370_10 Depth=1
	s_or_b32 exec_lo, exec_lo, s18
	s_delay_alu instid0(VALU_DEP_1) | instskip(NEXT) | instid1(VALU_DEP_2)
	v_dual_lshlrev_b32 v3, 24, v4 :: v_dual_lshlrev_b32 v2, 20, v2
	v_lshl_add_u32 v4, v5, 23, 0x3c000000
	s_delay_alu instid0(VALU_DEP_2) | instskip(NEXT) | instid1(VALU_DEP_1)
	v_and_b32_e32 v3, 0x80000000, v3
	v_or3_b32 v2, v2, v3, v4
	scratch_store_b64 off, v[2:3], s32 offset:384 ; 8-byte Folded Spill
.LBB370_544:                            ;   in Loop: Header=BB370_10 Depth=1
	s_wait_xcnt 0x0
	s_or_b32 exec_lo, exec_lo, s17
.LBB370_545:                            ;   in Loop: Header=BB370_10 Depth=1
	s_delay_alu instid0(SALU_CYCLE_1)
	s_or_b32 exec_lo, exec_lo, s16
.LBB370_546:                            ;   in Loop: Header=BB370_10 Depth=1
	s_delay_alu instid0(SALU_CYCLE_1)
	s_or_b32 exec_lo, exec_lo, s11
	scratch_load_b64 v[2:3], off, s32 offset:384 ; 8-byte Folded Reload
	s_wait_loadcnt 0x0
	v_dual_mov_b32 v8, 0 :: v_dual_mov_b32 v3, 0
	s_mov_b32 s11, exec_lo
	scratch_store_b64 off, v[2:3], s32 offset:384 ; 8-byte Folded Spill
	s_wait_xcnt 0x0
	v_cmpx_lt_u32_e32 0xffffff, v0
	s_cbranch_execz .LBB370_554
; %bb.547:                              ;   in Loop: Header=BB370_10 Depth=1
	scratch_load_b64 v[2:3], off, s32 offset:384 ; 8-byte Folded Reload
	v_lshrrev_b32_e32 v4, 24, v0
	s_wait_loadcnt 0x0
	v_bfrev_b32_e32 v3, 1
	s_mov_b32 s16, exec_lo
	scratch_store_b64 off, v[2:3], s32 offset:384 ; 8-byte Folded Spill
	s_wait_xcnt 0x0
	v_cmpx_ne_u32_e32 0x80, v4
	s_cbranch_execz .LBB370_553
; %bb.548:                              ;   in Loop: Header=BB370_10 Depth=1
	scratch_load_b64 v[6:7], off, s32 offset:384 ; 8-byte Folded Reload
	v_bfe_u32 v2, v0, 24, 7
	s_wait_loadcnt 0x0
	v_mov_b32_e32 v7, 0x7f800001
	s_mov_b32 s17, exec_lo
	scratch_store_b64 off, v[6:7], s32 offset:384 ; 8-byte Folded Spill
	s_wait_xcnt 0x0
	v_cmpx_ne_u32_e32 0x7f, v2
	s_cbranch_execz .LBB370_552
; %bb.549:                              ;   in Loop: Header=BB370_10 Depth=1
	v_dual_lshrrev_b32 v5, 3, v2 :: v_dual_bitop2_b32 v16, 7, v4 bitop3:0x40
	v_cmp_gt_u32_e64 s1, 8, v2
	s_delay_alu instid0(VALU_DEP_2)
	v_mov_b64_e32 v[2:3], v[16:17]
	s_and_saveexec_b32 s18, s1
; %bb.550:                              ;   in Loop: Header=BB370_10 Depth=1
	v_clz_i32_u32_e32 v2, v16
	s_delay_alu instid0(VALU_DEP_1) | instskip(NEXT) | instid1(VALU_DEP_1)
	v_min_u32_e32 v5, 32, v2
	v_subrev_nc_u32_e32 v2, 28, v5
	s_delay_alu instid0(VALU_DEP_1) | instskip(NEXT) | instid1(VALU_DEP_1)
	v_lshlrev_b64_e32 v[2:3], v2, v[16:17]
	v_dual_sub_nc_u32 v5, 29, v5 :: v_dual_bitop2_b32 v2, 7, v2 bitop3:0x40
; %bb.551:                              ;   in Loop: Header=BB370_10 Depth=1
	s_or_b32 exec_lo, exec_lo, s18
	scratch_load_b64 v[6:7], off, s32 offset:384 ; 8-byte Folded Reload
	v_dual_lshlrev_b32 v3, 24, v4 :: v_dual_lshlrev_b32 v2, 20, v2
	v_lshl_add_u32 v4, v5, 23, 0x3c000000
	s_delay_alu instid0(VALU_DEP_2) | instskip(SKIP_1) | instid1(VALU_DEP_1)
	v_and_b32_e32 v3, 0x80000000, v3
	s_wait_loadcnt 0x0
	v_or3_b32 v7, v2, v3, v4
	scratch_store_b64 off, v[6:7], s32 offset:384 ; 8-byte Folded Spill
.LBB370_552:                            ;   in Loop: Header=BB370_10 Depth=1
	s_wait_xcnt 0x0
	s_or_b32 exec_lo, exec_lo, s17
.LBB370_553:                            ;   in Loop: Header=BB370_10 Depth=1
	s_delay_alu instid0(SALU_CYCLE_1)
	s_or_b32 exec_lo, exec_lo, s16
.LBB370_554:                            ;   in Loop: Header=BB370_10 Depth=1
	s_delay_alu instid0(SALU_CYCLE_1) | instskip(SKIP_3) | instid1(VALU_DEP_2)
	s_or_b32 exec_lo, exec_lo, s11
	v_and_b32_e32 v2, 0xff, v1
	v_mov_b32_e32 v16, v1
	s_mov_b32 s11, exec_lo
	v_cmpx_ne_u16_e32 0, v2
	s_cbranch_execz .LBB370_562
; %bb.555:                              ;   in Loop: Header=BB370_10 Depth=1
	v_bfrev_b32_e32 v8, 1
	s_mov_b32 s16, exec_lo
	v_cmpx_ne_u16_e32 0x80, v2
	s_cbranch_execz .LBB370_561
; %bb.556:                              ;   in Loop: Header=BB370_10 Depth=1
	v_and_b32_e32 v2, 0x7f, v1
	v_mov_b32_e32 v8, 0x7f800001
	s_mov_b32 s17, exec_lo
	s_delay_alu instid0(VALU_DEP_2)
	v_cmpx_ne_u32_e32 0x7f, v2
	s_cbranch_execz .LBB370_560
; %bb.557:                              ;   in Loop: Header=BB370_10 Depth=1
	v_lshrrev_b32_e32 v4, 3, v2
	v_cmp_gt_u32_e64 s1, 8, v2
	v_mov_b64_e32 v[2:3], v[16:17]
	s_and_saveexec_b32 s18, s1
; %bb.558:                              ;   in Loop: Header=BB370_10 Depth=1
	v_and_b32_e32 v2, 7, v1
	s_delay_alu instid0(VALU_DEP_1) | instskip(NEXT) | instid1(VALU_DEP_1)
	v_clz_i32_u32_e32 v2, v2
	v_min_u32_e32 v4, 32, v2
	s_delay_alu instid0(VALU_DEP_1) | instskip(SKIP_1) | instid1(VALU_DEP_2)
	v_subrev_nc_u32_e32 v2, 28, v4
	v_sub_nc_u32_e32 v4, 29, v4
	v_lshlrev_b64_e32 v[2:3], v2, v[16:17]
; %bb.559:                              ;   in Loop: Header=BB370_10 Depth=1
	s_or_b32 exec_lo, exec_lo, s18
	s_delay_alu instid0(VALU_DEP_1) | instskip(NEXT) | instid1(VALU_DEP_3)
	v_dual_lshlrev_b32 v2, 20, v2 :: v_dual_lshlrev_b32 v3, 24, v16
	v_lshl_add_u32 v4, v4, 23, 0x3c000000
	s_delay_alu instid0(VALU_DEP_2) | instskip(NEXT) | instid1(VALU_DEP_3)
	v_and_b32_e32 v2, 0x700000, v2
	v_and_b32_e32 v3, 0x80000000, v3
	s_delay_alu instid0(VALU_DEP_1)
	v_or3_b32 v8, v2, v3, v4
.LBB370_560:                            ;   in Loop: Header=BB370_10 Depth=1
	s_or_b32 exec_lo, exec_lo, s17
.LBB370_561:                            ;   in Loop: Header=BB370_10 Depth=1
	s_delay_alu instid0(SALU_CYCLE_1)
	s_or_b32 exec_lo, exec_lo, s16
.LBB370_562:                            ;   in Loop: Header=BB370_10 Depth=1
	s_delay_alu instid0(SALU_CYCLE_1)
	s_or_b32 exec_lo, exec_lo, s11
	v_lshrrev_b16 v2, 8, v16
	v_dual_mov_b32 v36, 0 :: v_dual_mov_b32 v9, 0
	s_mov_b32 s11, exec_lo
	scratch_store_b64 off, v[8:9], s32 offset:400 ; 8-byte Folded Spill
	s_wait_xcnt 0x0
	v_cmpx_ne_u16_e32 0, v2
	s_cbranch_execz .LBB370_570
; %bb.563:                              ;   in Loop: Header=BB370_10 Depth=1
	scratch_load_b64 v[4:5], off, s32 offset:400 ; 8-byte Folded Reload
	s_wait_loadcnt 0x0
	v_bfrev_b32_e32 v5, 1
	s_mov_b32 s16, exec_lo
	scratch_store_b64 off, v[4:5], s32 offset:400 ; 8-byte Folded Spill
	s_wait_xcnt 0x0
	v_cmpx_ne_u16_e32 0x80, v2
	s_cbranch_execz .LBB370_569
; %bb.564:                              ;   in Loop: Header=BB370_10 Depth=1
	scratch_load_b64 v[6:7], off, s32 offset:400 ; 8-byte Folded Reload
	v_and_b32_e32 v2, 0xffff, v2
	s_wait_loadcnt 0x0
	v_mov_b32_e32 v7, 0x7f800001
	s_mov_b32 s17, exec_lo
	s_delay_alu instid0(VALU_DEP_2)
	v_and_b32_e32 v5, 0x7f, v2
	scratch_store_b64 off, v[6:7], s32 offset:400 ; 8-byte Folded Spill
	s_wait_xcnt 0x0
	v_cmpx_ne_u32_e32 0x7f, v5
	s_cbranch_execz .LBB370_568
; %bb.565:                              ;   in Loop: Header=BB370_10 Depth=1
	v_dual_mov_b32 v3, v17 :: v_dual_bitop2_b32 v2, 7, v2 bitop3:0x40
	v_lshrrev_b32_e32 v4, 3, v5
	s_mov_b32 s18, exec_lo
	v_cmpx_gt_u32_e32 8, v5
; %bb.566:                              ;   in Loop: Header=BB370_10 Depth=1
	s_delay_alu instid0(VALU_DEP_3) | instskip(NEXT) | instid1(VALU_DEP_1)
	v_clz_i32_u32_e32 v4, v2
	v_min_u32_e32 v4, 32, v4
	s_delay_alu instid0(VALU_DEP_1) | instskip(NEXT) | instid1(VALU_DEP_1)
	v_subrev_nc_u32_e32 v5, 28, v4
	v_lshlrev_b64_e32 v[2:3], v5, v[2:3]
	s_delay_alu instid0(VALU_DEP_1)
	v_dual_sub_nc_u32 v4, 29, v4 :: v_dual_bitop2_b32 v2, 7, v2 bitop3:0x40
; %bb.567:                              ;   in Loop: Header=BB370_10 Depth=1
	s_or_b32 exec_lo, exec_lo, s18
	scratch_load_b64 v[6:7], off, s32 offset:400 ; 8-byte Folded Reload
	v_dual_lshlrev_b32 v3, 16, v16 :: v_dual_lshlrev_b32 v2, 20, v2
	v_lshl_add_u32 v4, v4, 23, 0x3c000000
	s_delay_alu instid0(VALU_DEP_2) | instskip(SKIP_1) | instid1(VALU_DEP_1)
	v_and_b32_e32 v3, 0x80000000, v3
	s_wait_loadcnt 0x0
	v_or3_b32 v7, v2, v3, v4
	scratch_store_b64 off, v[6:7], s32 offset:400 ; 8-byte Folded Spill
.LBB370_568:                            ;   in Loop: Header=BB370_10 Depth=1
	s_wait_xcnt 0x0
	s_or_b32 exec_lo, exec_lo, s17
.LBB370_569:                            ;   in Loop: Header=BB370_10 Depth=1
	s_delay_alu instid0(SALU_CYCLE_1)
	s_or_b32 exec_lo, exec_lo, s16
.LBB370_570:                            ;   in Loop: Header=BB370_10 Depth=1
	s_delay_alu instid0(SALU_CYCLE_1) | instskip(SKIP_2) | instid1(VALU_DEP_1)
	s_or_b32 exec_lo, exec_lo, s11
	v_lshrrev_b32_e32 v4, 16, v1
	s_mov_b32 s11, exec_lo
	v_and_b32_e32 v2, 0xff, v4
	s_delay_alu instid0(VALU_DEP_1)
	v_cmpx_ne_u16_e32 0, v2
	s_cbranch_execz .LBB370_578
; %bb.571:                              ;   in Loop: Header=BB370_10 Depth=1
	v_bfrev_b32_e32 v36, 1
	s_mov_b32 s16, exec_lo
	v_cmpx_ne_u16_e32 0x80, v2
	s_cbranch_execz .LBB370_577
; %bb.572:                              ;   in Loop: Header=BB370_10 Depth=1
	v_bfe_u32 v2, v1, 16, 7
	v_mov_b32_e32 v36, 0x7f800001
	s_mov_b32 s17, exec_lo
	s_delay_alu instid0(VALU_DEP_2)
	v_cmpx_ne_u32_e32 0x7f, v2
	s_cbranch_execz .LBB370_576
; %bb.573:                              ;   in Loop: Header=BB370_10 Depth=1
	v_dual_lshrrev_b32 v5, 3, v2 :: v_dual_bitop2_b32 v16, 7, v4 bitop3:0x40
	v_cmp_gt_u32_e64 s1, 8, v2
	s_delay_alu instid0(VALU_DEP_2)
	v_mov_b64_e32 v[2:3], v[16:17]
	s_and_saveexec_b32 s18, s1
; %bb.574:                              ;   in Loop: Header=BB370_10 Depth=1
	v_clz_i32_u32_e32 v2, v16
	s_delay_alu instid0(VALU_DEP_1) | instskip(NEXT) | instid1(VALU_DEP_1)
	v_min_u32_e32 v5, 32, v2
	v_subrev_nc_u32_e32 v2, 28, v5
	s_delay_alu instid0(VALU_DEP_1) | instskip(NEXT) | instid1(VALU_DEP_1)
	v_lshlrev_b64_e32 v[2:3], v2, v[16:17]
	v_dual_sub_nc_u32 v5, 29, v5 :: v_dual_bitop2_b32 v2, 7, v2 bitop3:0x40
; %bb.575:                              ;   in Loop: Header=BB370_10 Depth=1
	s_or_b32 exec_lo, exec_lo, s18
	s_delay_alu instid0(VALU_DEP_1) | instskip(NEXT) | instid1(VALU_DEP_2)
	v_dual_lshlrev_b32 v3, 24, v4 :: v_dual_lshlrev_b32 v2, 20, v2
	v_lshl_add_u32 v4, v5, 23, 0x3c000000
	s_delay_alu instid0(VALU_DEP_2) | instskip(NEXT) | instid1(VALU_DEP_1)
	v_and_b32_e32 v3, 0x80000000, v3
	v_or3_b32 v36, v2, v3, v4
.LBB370_576:                            ;   in Loop: Header=BB370_10 Depth=1
	s_or_b32 exec_lo, exec_lo, s17
.LBB370_577:                            ;   in Loop: Header=BB370_10 Depth=1
	s_delay_alu instid0(SALU_CYCLE_1)
	s_or_b32 exec_lo, exec_lo, s16
.LBB370_578:                            ;   in Loop: Header=BB370_10 Depth=1
	s_delay_alu instid0(SALU_CYCLE_1)
	s_or_b32 exec_lo, exec_lo, s11
	v_dual_mov_b32 v38, 0 :: v_dual_mov_b32 v37, 0
	s_mov_b32 s11, exec_lo
	v_cmpx_lt_u64_e64 s[2:3], v[0:1]
	s_cbranch_execz .LBB370_586
; %bb.579:                              ;   in Loop: Header=BB370_10 Depth=1
	v_lshrrev_b32_e32 v2, 24, v1
	v_bfrev_b32_e32 v37, 1
	s_mov_b32 s16, exec_lo
	s_delay_alu instid0(VALU_DEP_2)
	v_cmpx_ne_u32_e32 0x80, v2
	s_cbranch_execz .LBB370_585
; %bb.580:                              ;   in Loop: Header=BB370_10 Depth=1
	v_bfe_u32 v0, v1, 24, 7
	v_mov_b32_e32 v37, 0x7f800001
	s_mov_b32 s17, exec_lo
	s_delay_alu instid0(VALU_DEP_2)
	v_cmpx_ne_u32_e32 0x7f, v0
	s_cbranch_execz .LBB370_584
; %bb.581:                              ;   in Loop: Header=BB370_10 Depth=1
	v_dual_lshrrev_b32 v3, 3, v0 :: v_dual_bitop2_b32 v16, 7, v2 bitop3:0x40
	v_cmp_gt_u32_e64 s1, 8, v0
	s_delay_alu instid0(VALU_DEP_2)
	v_mov_b64_e32 v[0:1], v[16:17]
	s_and_saveexec_b32 s18, s1
; %bb.582:                              ;   in Loop: Header=BB370_10 Depth=1
	v_clz_i32_u32_e32 v0, v16
	s_delay_alu instid0(VALU_DEP_1) | instskip(NEXT) | instid1(VALU_DEP_1)
	v_min_u32_e32 v3, 32, v0
	v_subrev_nc_u32_e32 v0, 28, v3
	s_delay_alu instid0(VALU_DEP_1) | instskip(NEXT) | instid1(VALU_DEP_1)
	v_lshlrev_b64_e32 v[0:1], v0, v[16:17]
	v_dual_sub_nc_u32 v3, 29, v3 :: v_dual_bitop2_b32 v0, 7, v0 bitop3:0x40
; %bb.583:                              ;   in Loop: Header=BB370_10 Depth=1
	s_or_b32 exec_lo, exec_lo, s18
	s_delay_alu instid0(VALU_DEP_1) | instskip(NEXT) | instid1(VALU_DEP_2)
	v_dual_lshlrev_b32 v1, 24, v2 :: v_dual_lshlrev_b32 v0, 20, v0
	v_lshl_add_u32 v2, v3, 23, 0x3c000000
	s_delay_alu instid0(VALU_DEP_2) | instskip(NEXT) | instid1(VALU_DEP_1)
	v_and_b32_e32 v1, 0x80000000, v1
	v_or3_b32 v37, v0, v1, v2
.LBB370_584:                            ;   in Loop: Header=BB370_10 Depth=1
	s_or_b32 exec_lo, exec_lo, s17
.LBB370_585:                            ;   in Loop: Header=BB370_10 Depth=1
	s_delay_alu instid0(SALU_CYCLE_1)
	s_or_b32 exec_lo, exec_lo, s16
.LBB370_586:                            ;   in Loop: Header=BB370_10 Depth=1
	s_delay_alu instid0(SALU_CYCLE_1)
	s_or_b32 exec_lo, exec_lo, s11
	flat_load_b64 v[0:1], v[32:33] offset:2056
	s_mov_b32 s11, exec_lo
	s_wait_loadcnt_dscnt 0x0
	v_and_b32_e32 v2, 0xff, v0
	s_wait_xcnt 0x0
	s_delay_alu instid0(VALU_DEP_1)
	v_cmpx_ne_u16_e32 0, v2
	s_cbranch_execz .LBB370_594
; %bb.587:                              ;   in Loop: Header=BB370_10 Depth=1
	v_bfrev_b32_e32 v38, 1
	s_mov_b32 s16, exec_lo
	v_cmpx_ne_u16_e32 0x80, v2
	s_cbranch_execz .LBB370_593
; %bb.588:                              ;   in Loop: Header=BB370_10 Depth=1
	v_and_b32_e32 v2, 0x7f, v0
	v_mov_b32_e32 v38, 0x7f800001
	s_mov_b32 s17, exec_lo
	s_delay_alu instid0(VALU_DEP_2)
	v_cmpx_ne_u32_e32 0x7f, v2
	s_cbranch_execz .LBB370_592
; %bb.589:                              ;   in Loop: Header=BB370_10 Depth=1
	v_lshrrev_b32_e32 v4, 3, v2
	v_cmp_gt_u32_e64 s1, 8, v2
	v_mov_b64_e32 v[2:3], v[0:1]
	s_and_saveexec_b32 s18, s1
; %bb.590:                              ;   in Loop: Header=BB370_10 Depth=1
	v_and_b32_e32 v2, 7, v0
	s_delay_alu instid0(VALU_DEP_1) | instskip(NEXT) | instid1(VALU_DEP_1)
	v_clz_i32_u32_e32 v2, v2
	v_min_u32_e32 v4, 32, v2
	s_delay_alu instid0(VALU_DEP_1) | instskip(SKIP_1) | instid1(VALU_DEP_2)
	v_subrev_nc_u32_e32 v2, 28, v4
	v_sub_nc_u32_e32 v4, 29, v4
	v_lshlrev_b64_e32 v[2:3], v2, v[0:1]
; %bb.591:                              ;   in Loop: Header=BB370_10 Depth=1
	s_or_b32 exec_lo, exec_lo, s18
	s_delay_alu instid0(VALU_DEP_1) | instskip(NEXT) | instid1(VALU_DEP_3)
	v_dual_lshlrev_b32 v2, 20, v2 :: v_dual_lshlrev_b32 v3, 24, v0
	v_lshl_add_u32 v4, v4, 23, 0x3c000000
	s_delay_alu instid0(VALU_DEP_2) | instskip(NEXT) | instid1(VALU_DEP_3)
	v_and_b32_e32 v2, 0x700000, v2
	v_and_b32_e32 v3, 0x80000000, v3
	s_delay_alu instid0(VALU_DEP_1)
	v_or3_b32 v38, v2, v3, v4
.LBB370_592:                            ;   in Loop: Header=BB370_10 Depth=1
	s_or_b32 exec_lo, exec_lo, s17
.LBB370_593:                            ;   in Loop: Header=BB370_10 Depth=1
	s_delay_alu instid0(SALU_CYCLE_1)
	s_or_b32 exec_lo, exec_lo, s16
.LBB370_594:                            ;   in Loop: Header=BB370_10 Depth=1
	s_delay_alu instid0(SALU_CYCLE_1) | instskip(SKIP_3) | instid1(VALU_DEP_2)
	s_or_b32 exec_lo, exec_lo, s11
	v_lshrrev_b16 v2, 8, v0
	v_dual_mov_b32 v52, 0 :: v_dual_mov_b32 v39, 0
	s_mov_b32 s11, exec_lo
	v_cmpx_ne_u16_e32 0, v2
	s_cbranch_execz .LBB370_602
; %bb.595:                              ;   in Loop: Header=BB370_10 Depth=1
	v_bfrev_b32_e32 v39, 1
	s_mov_b32 s16, exec_lo
	v_cmpx_ne_u16_e32 0x80, v2
	s_cbranch_execz .LBB370_601
; %bb.596:                              ;   in Loop: Header=BB370_10 Depth=1
	v_and_b32_e32 v3, 0xffff, v2
	v_mov_b32_e32 v39, 0x7f800001
	s_mov_b32 s17, exec_lo
	s_delay_alu instid0(VALU_DEP_2) | instskip(NEXT) | instid1(VALU_DEP_1)
	v_and_b32_e32 v2, 0x7f, v3
	v_cmpx_ne_u32_e32 0x7f, v2
	s_cbranch_execz .LBB370_600
; %bb.597:                              ;   in Loop: Header=BB370_10 Depth=1
	v_dual_lshrrev_b32 v4, 3, v2 :: v_dual_bitop2_b32 v16, 7, v3 bitop3:0x40
	v_cmp_gt_u32_e64 s1, 8, v2
	s_delay_alu instid0(VALU_DEP_2)
	v_mov_b64_e32 v[2:3], v[16:17]
	s_and_saveexec_b32 s18, s1
; %bb.598:                              ;   in Loop: Header=BB370_10 Depth=1
	v_clz_i32_u32_e32 v2, v16
	s_delay_alu instid0(VALU_DEP_1) | instskip(NEXT) | instid1(VALU_DEP_1)
	v_min_u32_e32 v4, 32, v2
	v_subrev_nc_u32_e32 v2, 28, v4
	s_delay_alu instid0(VALU_DEP_1) | instskip(NEXT) | instid1(VALU_DEP_1)
	v_lshlrev_b64_e32 v[2:3], v2, v[16:17]
	v_dual_sub_nc_u32 v4, 29, v4 :: v_dual_bitop2_b32 v2, 7, v2 bitop3:0x40
; %bb.599:                              ;   in Loop: Header=BB370_10 Depth=1
	s_or_b32 exec_lo, exec_lo, s18
	s_delay_alu instid0(VALU_DEP_1) | instskip(NEXT) | instid1(VALU_DEP_2)
	v_dual_lshlrev_b32 v3, 16, v0 :: v_dual_lshlrev_b32 v2, 20, v2
	v_lshl_add_u32 v4, v4, 23, 0x3c000000
	s_delay_alu instid0(VALU_DEP_2) | instskip(NEXT) | instid1(VALU_DEP_1)
	v_and_b32_e32 v3, 0x80000000, v3
	v_or3_b32 v39, v2, v3, v4
.LBB370_600:                            ;   in Loop: Header=BB370_10 Depth=1
	s_or_b32 exec_lo, exec_lo, s17
.LBB370_601:                            ;   in Loop: Header=BB370_10 Depth=1
	s_delay_alu instid0(SALU_CYCLE_1)
	s_or_b32 exec_lo, exec_lo, s16
.LBB370_602:                            ;   in Loop: Header=BB370_10 Depth=1
	s_delay_alu instid0(SALU_CYCLE_1) | instskip(SKIP_2) | instid1(VALU_DEP_1)
	s_or_b32 exec_lo, exec_lo, s11
	v_lshrrev_b32_e32 v4, 16, v0
	s_mov_b32 s11, exec_lo
	v_and_b32_e32 v2, 0xff, v4
	s_delay_alu instid0(VALU_DEP_1)
	v_cmpx_ne_u16_e32 0, v2
	s_cbranch_execz .LBB370_610
; %bb.603:                              ;   in Loop: Header=BB370_10 Depth=1
	v_bfrev_b32_e32 v52, 1
	s_mov_b32 s16, exec_lo
	v_cmpx_ne_u16_e32 0x80, v2
	s_cbranch_execz .LBB370_609
; %bb.604:                              ;   in Loop: Header=BB370_10 Depth=1
	v_bfe_u32 v2, v0, 16, 7
	v_mov_b32_e32 v52, 0x7f800001
	s_mov_b32 s17, exec_lo
	s_delay_alu instid0(VALU_DEP_2)
	v_cmpx_ne_u32_e32 0x7f, v2
	s_cbranch_execz .LBB370_608
; %bb.605:                              ;   in Loop: Header=BB370_10 Depth=1
	v_dual_lshrrev_b32 v5, 3, v2 :: v_dual_bitop2_b32 v16, 7, v4 bitop3:0x40
	v_cmp_gt_u32_e64 s1, 8, v2
	s_delay_alu instid0(VALU_DEP_2)
	v_mov_b64_e32 v[2:3], v[16:17]
	s_and_saveexec_b32 s18, s1
; %bb.606:                              ;   in Loop: Header=BB370_10 Depth=1
	v_clz_i32_u32_e32 v2, v16
	s_delay_alu instid0(VALU_DEP_1) | instskip(NEXT) | instid1(VALU_DEP_1)
	v_min_u32_e32 v5, 32, v2
	v_subrev_nc_u32_e32 v2, 28, v5
	s_delay_alu instid0(VALU_DEP_1) | instskip(NEXT) | instid1(VALU_DEP_1)
	v_lshlrev_b64_e32 v[2:3], v2, v[16:17]
	v_dual_sub_nc_u32 v5, 29, v5 :: v_dual_bitop2_b32 v2, 7, v2 bitop3:0x40
; %bb.607:                              ;   in Loop: Header=BB370_10 Depth=1
	s_or_b32 exec_lo, exec_lo, s18
	s_delay_alu instid0(VALU_DEP_1) | instskip(NEXT) | instid1(VALU_DEP_2)
	v_dual_lshlrev_b32 v3, 24, v4 :: v_dual_lshlrev_b32 v2, 20, v2
	v_lshl_add_u32 v4, v5, 23, 0x3c000000
	s_delay_alu instid0(VALU_DEP_2) | instskip(NEXT) | instid1(VALU_DEP_1)
	v_and_b32_e32 v3, 0x80000000, v3
	v_or3_b32 v52, v2, v3, v4
.LBB370_608:                            ;   in Loop: Header=BB370_10 Depth=1
	s_or_b32 exec_lo, exec_lo, s17
.LBB370_609:                            ;   in Loop: Header=BB370_10 Depth=1
	s_delay_alu instid0(SALU_CYCLE_1)
	s_or_b32 exec_lo, exec_lo, s16
.LBB370_610:                            ;   in Loop: Header=BB370_10 Depth=1
	s_delay_alu instid0(SALU_CYCLE_1)
	s_or_b32 exec_lo, exec_lo, s11
	v_dual_mov_b32 v54, 0 :: v_dual_mov_b32 v53, 0
	s_mov_b32 s11, exec_lo
	v_cmpx_lt_u32_e32 0xffffff, v0
	s_cbranch_execz .LBB370_618
; %bb.611:                              ;   in Loop: Header=BB370_10 Depth=1
	v_lshrrev_b32_e32 v4, 24, v0
	v_bfrev_b32_e32 v53, 1
	s_mov_b32 s16, exec_lo
	s_delay_alu instid0(VALU_DEP_2)
	v_cmpx_ne_u32_e32 0x80, v4
	s_cbranch_execz .LBB370_617
; %bb.612:                              ;   in Loop: Header=BB370_10 Depth=1
	v_bfe_u32 v2, v0, 24, 7
	v_mov_b32_e32 v53, 0x7f800001
	s_mov_b32 s17, exec_lo
	s_delay_alu instid0(VALU_DEP_2)
	v_cmpx_ne_u32_e32 0x7f, v2
	s_cbranch_execz .LBB370_616
; %bb.613:                              ;   in Loop: Header=BB370_10 Depth=1
	v_dual_lshrrev_b32 v5, 3, v2 :: v_dual_bitop2_b32 v16, 7, v4 bitop3:0x40
	v_cmp_gt_u32_e64 s1, 8, v2
	s_delay_alu instid0(VALU_DEP_2)
	v_mov_b64_e32 v[2:3], v[16:17]
	s_and_saveexec_b32 s18, s1
; %bb.614:                              ;   in Loop: Header=BB370_10 Depth=1
	v_clz_i32_u32_e32 v2, v16
	s_delay_alu instid0(VALU_DEP_1) | instskip(NEXT) | instid1(VALU_DEP_1)
	v_min_u32_e32 v5, 32, v2
	v_subrev_nc_u32_e32 v2, 28, v5
	s_delay_alu instid0(VALU_DEP_1) | instskip(NEXT) | instid1(VALU_DEP_1)
	v_lshlrev_b64_e32 v[2:3], v2, v[16:17]
	v_dual_sub_nc_u32 v5, 29, v5 :: v_dual_bitop2_b32 v2, 7, v2 bitop3:0x40
; %bb.615:                              ;   in Loop: Header=BB370_10 Depth=1
	s_or_b32 exec_lo, exec_lo, s18
	s_delay_alu instid0(VALU_DEP_1) | instskip(NEXT) | instid1(VALU_DEP_2)
	v_dual_lshlrev_b32 v3, 24, v4 :: v_dual_lshlrev_b32 v2, 20, v2
	v_lshl_add_u32 v4, v5, 23, 0x3c000000
	s_delay_alu instid0(VALU_DEP_2) | instskip(NEXT) | instid1(VALU_DEP_1)
	v_and_b32_e32 v3, 0x80000000, v3
	v_or3_b32 v53, v2, v3, v4
.LBB370_616:                            ;   in Loop: Header=BB370_10 Depth=1
	s_or_b32 exec_lo, exec_lo, s17
.LBB370_617:                            ;   in Loop: Header=BB370_10 Depth=1
	s_delay_alu instid0(SALU_CYCLE_1)
	s_or_b32 exec_lo, exec_lo, s16
.LBB370_618:                            ;   in Loop: Header=BB370_10 Depth=1
	s_delay_alu instid0(SALU_CYCLE_1) | instskip(SKIP_3) | instid1(VALU_DEP_2)
	s_or_b32 exec_lo, exec_lo, s11
	v_and_b32_e32 v2, 0xff, v1
	v_mov_b32_e32 v16, v1
	s_mov_b32 s11, exec_lo
	v_cmpx_ne_u16_e32 0, v2
	s_cbranch_execz .LBB370_626
; %bb.619:                              ;   in Loop: Header=BB370_10 Depth=1
	v_bfrev_b32_e32 v54, 1
	s_mov_b32 s16, exec_lo
	v_cmpx_ne_u16_e32 0x80, v2
	s_cbranch_execz .LBB370_625
; %bb.620:                              ;   in Loop: Header=BB370_10 Depth=1
	v_and_b32_e32 v2, 0x7f, v1
	v_mov_b32_e32 v54, 0x7f800001
	s_mov_b32 s17, exec_lo
	s_delay_alu instid0(VALU_DEP_2)
	v_cmpx_ne_u32_e32 0x7f, v2
	s_cbranch_execz .LBB370_624
; %bb.621:                              ;   in Loop: Header=BB370_10 Depth=1
	v_lshrrev_b32_e32 v4, 3, v2
	v_cmp_gt_u32_e64 s1, 8, v2
	v_mov_b64_e32 v[2:3], v[16:17]
	s_and_saveexec_b32 s18, s1
; %bb.622:                              ;   in Loop: Header=BB370_10 Depth=1
	v_and_b32_e32 v2, 7, v1
	s_delay_alu instid0(VALU_DEP_1) | instskip(NEXT) | instid1(VALU_DEP_1)
	v_clz_i32_u32_e32 v2, v2
	v_min_u32_e32 v4, 32, v2
	s_delay_alu instid0(VALU_DEP_1) | instskip(SKIP_1) | instid1(VALU_DEP_2)
	v_subrev_nc_u32_e32 v2, 28, v4
	v_sub_nc_u32_e32 v4, 29, v4
	v_lshlrev_b64_e32 v[2:3], v2, v[16:17]
; %bb.623:                              ;   in Loop: Header=BB370_10 Depth=1
	s_or_b32 exec_lo, exec_lo, s18
	s_delay_alu instid0(VALU_DEP_1) | instskip(NEXT) | instid1(VALU_DEP_3)
	v_dual_lshlrev_b32 v2, 20, v2 :: v_dual_lshlrev_b32 v3, 24, v16
	v_lshl_add_u32 v4, v4, 23, 0x3c000000
	s_delay_alu instid0(VALU_DEP_2) | instskip(NEXT) | instid1(VALU_DEP_3)
	v_and_b32_e32 v2, 0x700000, v2
	v_and_b32_e32 v3, 0x80000000, v3
	s_delay_alu instid0(VALU_DEP_1)
	v_or3_b32 v54, v2, v3, v4
.LBB370_624:                            ;   in Loop: Header=BB370_10 Depth=1
	s_or_b32 exec_lo, exec_lo, s17
.LBB370_625:                            ;   in Loop: Header=BB370_10 Depth=1
	s_delay_alu instid0(SALU_CYCLE_1)
	s_or_b32 exec_lo, exec_lo, s16
.LBB370_626:                            ;   in Loop: Header=BB370_10 Depth=1
	s_delay_alu instid0(SALU_CYCLE_1) | instskip(SKIP_3) | instid1(VALU_DEP_2)
	s_or_b32 exec_lo, exec_lo, s11
	v_lshrrev_b16 v2, 8, v16
	v_dual_mov_b32 v64, 0 :: v_dual_mov_b32 v55, 0
	s_mov_b32 s11, exec_lo
	v_cmpx_ne_u16_e32 0, v2
	s_cbranch_execz .LBB370_634
; %bb.627:                              ;   in Loop: Header=BB370_10 Depth=1
	v_bfrev_b32_e32 v55, 1
	s_mov_b32 s16, exec_lo
	v_cmpx_ne_u16_e32 0x80, v2
	s_cbranch_execz .LBB370_633
; %bb.628:                              ;   in Loop: Header=BB370_10 Depth=1
	v_and_b32_e32 v2, 0xffff, v2
	v_mov_b32_e32 v55, 0x7f800001
	s_mov_b32 s17, exec_lo
	s_delay_alu instid0(VALU_DEP_2) | instskip(NEXT) | instid1(VALU_DEP_1)
	v_and_b32_e32 v5, 0x7f, v2
	v_cmpx_ne_u32_e32 0x7f, v5
	s_cbranch_execz .LBB370_632
; %bb.629:                              ;   in Loop: Header=BB370_10 Depth=1
	v_dual_mov_b32 v3, v17 :: v_dual_bitop2_b32 v2, 7, v2 bitop3:0x40
	v_lshrrev_b32_e32 v4, 3, v5
	s_mov_b32 s18, exec_lo
	v_cmpx_gt_u32_e32 8, v5
; %bb.630:                              ;   in Loop: Header=BB370_10 Depth=1
	s_delay_alu instid0(VALU_DEP_3) | instskip(NEXT) | instid1(VALU_DEP_1)
	v_clz_i32_u32_e32 v4, v2
	v_min_u32_e32 v4, 32, v4
	s_delay_alu instid0(VALU_DEP_1) | instskip(NEXT) | instid1(VALU_DEP_1)
	v_subrev_nc_u32_e32 v5, 28, v4
	v_lshlrev_b64_e32 v[2:3], v5, v[2:3]
	s_delay_alu instid0(VALU_DEP_1)
	v_dual_sub_nc_u32 v4, 29, v4 :: v_dual_bitop2_b32 v2, 7, v2 bitop3:0x40
; %bb.631:                              ;   in Loop: Header=BB370_10 Depth=1
	s_or_b32 exec_lo, exec_lo, s18
	s_delay_alu instid0(VALU_DEP_1) | instskip(NEXT) | instid1(VALU_DEP_2)
	v_dual_lshlrev_b32 v3, 16, v16 :: v_dual_lshlrev_b32 v2, 20, v2
	v_lshl_add_u32 v4, v4, 23, 0x3c000000
	s_delay_alu instid0(VALU_DEP_2) | instskip(NEXT) | instid1(VALU_DEP_1)
	v_and_b32_e32 v3, 0x80000000, v3
	v_or3_b32 v55, v2, v3, v4
.LBB370_632:                            ;   in Loop: Header=BB370_10 Depth=1
	s_or_b32 exec_lo, exec_lo, s17
.LBB370_633:                            ;   in Loop: Header=BB370_10 Depth=1
	s_delay_alu instid0(SALU_CYCLE_1)
	s_or_b32 exec_lo, exec_lo, s16
.LBB370_634:                            ;   in Loop: Header=BB370_10 Depth=1
	s_delay_alu instid0(SALU_CYCLE_1) | instskip(SKIP_2) | instid1(VALU_DEP_1)
	s_or_b32 exec_lo, exec_lo, s11
	v_lshrrev_b32_e32 v4, 16, v1
	s_mov_b32 s11, exec_lo
	v_and_b32_e32 v2, 0xff, v4
	s_delay_alu instid0(VALU_DEP_1)
	v_cmpx_ne_u16_e32 0, v2
	s_cbranch_execz .LBB370_642
; %bb.635:                              ;   in Loop: Header=BB370_10 Depth=1
	v_bfrev_b32_e32 v64, 1
	s_mov_b32 s16, exec_lo
	v_cmpx_ne_u16_e32 0x80, v2
	s_cbranch_execz .LBB370_641
; %bb.636:                              ;   in Loop: Header=BB370_10 Depth=1
	v_bfe_u32 v2, v1, 16, 7
	v_mov_b32_e32 v64, 0x7f800001
	s_mov_b32 s17, exec_lo
	s_delay_alu instid0(VALU_DEP_2)
	v_cmpx_ne_u32_e32 0x7f, v2
	s_cbranch_execz .LBB370_640
; %bb.637:                              ;   in Loop: Header=BB370_10 Depth=1
	v_dual_lshrrev_b32 v5, 3, v2 :: v_dual_bitop2_b32 v16, 7, v4 bitop3:0x40
	v_cmp_gt_u32_e64 s1, 8, v2
	s_delay_alu instid0(VALU_DEP_2)
	v_mov_b64_e32 v[2:3], v[16:17]
	s_and_saveexec_b32 s18, s1
; %bb.638:                              ;   in Loop: Header=BB370_10 Depth=1
	v_clz_i32_u32_e32 v2, v16
	s_delay_alu instid0(VALU_DEP_1) | instskip(NEXT) | instid1(VALU_DEP_1)
	v_min_u32_e32 v5, 32, v2
	v_subrev_nc_u32_e32 v2, 28, v5
	s_delay_alu instid0(VALU_DEP_1) | instskip(NEXT) | instid1(VALU_DEP_1)
	v_lshlrev_b64_e32 v[2:3], v2, v[16:17]
	v_dual_sub_nc_u32 v5, 29, v5 :: v_dual_bitop2_b32 v2, 7, v2 bitop3:0x40
; %bb.639:                              ;   in Loop: Header=BB370_10 Depth=1
	s_or_b32 exec_lo, exec_lo, s18
	s_delay_alu instid0(VALU_DEP_1) | instskip(NEXT) | instid1(VALU_DEP_2)
	v_dual_lshlrev_b32 v3, 24, v4 :: v_dual_lshlrev_b32 v2, 20, v2
	v_lshl_add_u32 v4, v5, 23, 0x3c000000
	s_delay_alu instid0(VALU_DEP_2) | instskip(NEXT) | instid1(VALU_DEP_1)
	v_and_b32_e32 v3, 0x80000000, v3
	v_or3_b32 v64, v2, v3, v4
.LBB370_640:                            ;   in Loop: Header=BB370_10 Depth=1
	s_or_b32 exec_lo, exec_lo, s17
.LBB370_641:                            ;   in Loop: Header=BB370_10 Depth=1
	s_delay_alu instid0(SALU_CYCLE_1)
	s_or_b32 exec_lo, exec_lo, s16
.LBB370_642:                            ;   in Loop: Header=BB370_10 Depth=1
	s_delay_alu instid0(SALU_CYCLE_1)
	s_or_b32 exec_lo, exec_lo, s11
	v_dual_mov_b32 v66, 0 :: v_dual_mov_b32 v65, 0
	s_mov_b32 s11, exec_lo
	v_cmpx_lt_u64_e64 s[2:3], v[0:1]
	s_cbranch_execz .LBB370_650
; %bb.643:                              ;   in Loop: Header=BB370_10 Depth=1
	v_lshrrev_b32_e32 v2, 24, v1
	v_bfrev_b32_e32 v65, 1
	s_mov_b32 s16, exec_lo
	s_delay_alu instid0(VALU_DEP_2)
	v_cmpx_ne_u32_e32 0x80, v2
	s_cbranch_execz .LBB370_649
; %bb.644:                              ;   in Loop: Header=BB370_10 Depth=1
	v_bfe_u32 v0, v1, 24, 7
	v_mov_b32_e32 v65, 0x7f800001
	s_mov_b32 s17, exec_lo
	s_delay_alu instid0(VALU_DEP_2)
	v_cmpx_ne_u32_e32 0x7f, v0
	s_cbranch_execz .LBB370_648
; %bb.645:                              ;   in Loop: Header=BB370_10 Depth=1
	v_dual_lshrrev_b32 v3, 3, v0 :: v_dual_bitop2_b32 v16, 7, v2 bitop3:0x40
	v_cmp_gt_u32_e64 s1, 8, v0
	s_delay_alu instid0(VALU_DEP_2)
	v_mov_b64_e32 v[0:1], v[16:17]
	s_and_saveexec_b32 s18, s1
; %bb.646:                              ;   in Loop: Header=BB370_10 Depth=1
	v_clz_i32_u32_e32 v0, v16
	s_delay_alu instid0(VALU_DEP_1) | instskip(NEXT) | instid1(VALU_DEP_1)
	v_min_u32_e32 v3, 32, v0
	v_subrev_nc_u32_e32 v0, 28, v3
	s_delay_alu instid0(VALU_DEP_1) | instskip(NEXT) | instid1(VALU_DEP_1)
	v_lshlrev_b64_e32 v[0:1], v0, v[16:17]
	v_dual_sub_nc_u32 v3, 29, v3 :: v_dual_bitop2_b32 v0, 7, v0 bitop3:0x40
; %bb.647:                              ;   in Loop: Header=BB370_10 Depth=1
	s_or_b32 exec_lo, exec_lo, s18
	s_delay_alu instid0(VALU_DEP_1) | instskip(NEXT) | instid1(VALU_DEP_2)
	v_dual_lshlrev_b32 v1, 24, v2 :: v_dual_lshlrev_b32 v0, 20, v0
	v_lshl_add_u32 v2, v3, 23, 0x3c000000
	s_delay_alu instid0(VALU_DEP_2) | instskip(NEXT) | instid1(VALU_DEP_1)
	v_and_b32_e32 v1, 0x80000000, v1
	v_or3_b32 v65, v0, v1, v2
.LBB370_648:                            ;   in Loop: Header=BB370_10 Depth=1
	s_or_b32 exec_lo, exec_lo, s17
.LBB370_649:                            ;   in Loop: Header=BB370_10 Depth=1
	s_delay_alu instid0(SALU_CYCLE_1)
	s_or_b32 exec_lo, exec_lo, s16
.LBB370_650:                            ;   in Loop: Header=BB370_10 Depth=1
	s_delay_alu instid0(SALU_CYCLE_1)
	s_or_b32 exec_lo, exec_lo, s11
	flat_load_b64 v[0:1], v[32:33] offset:2560
	s_mov_b32 s11, exec_lo
	s_wait_loadcnt_dscnt 0x0
	v_and_b32_e32 v2, 0xff, v0
	s_wait_xcnt 0x0
	s_delay_alu instid0(VALU_DEP_1)
	v_cmpx_ne_u16_e32 0, v2
	s_cbranch_execz .LBB370_658
; %bb.651:                              ;   in Loop: Header=BB370_10 Depth=1
	v_bfrev_b32_e32 v66, 1
	s_mov_b32 s16, exec_lo
	v_cmpx_ne_u16_e32 0x80, v2
	s_cbranch_execz .LBB370_657
; %bb.652:                              ;   in Loop: Header=BB370_10 Depth=1
	v_and_b32_e32 v2, 0x7f, v0
	v_mov_b32_e32 v66, 0x7f800001
	s_mov_b32 s17, exec_lo
	s_delay_alu instid0(VALU_DEP_2)
	v_cmpx_ne_u32_e32 0x7f, v2
	s_cbranch_execz .LBB370_656
; %bb.653:                              ;   in Loop: Header=BB370_10 Depth=1
	v_lshrrev_b32_e32 v4, 3, v2
	v_cmp_gt_u32_e64 s1, 8, v2
	v_mov_b64_e32 v[2:3], v[0:1]
	s_and_saveexec_b32 s18, s1
; %bb.654:                              ;   in Loop: Header=BB370_10 Depth=1
	v_and_b32_e32 v2, 7, v0
	s_delay_alu instid0(VALU_DEP_1) | instskip(NEXT) | instid1(VALU_DEP_1)
	v_clz_i32_u32_e32 v2, v2
	v_min_u32_e32 v4, 32, v2
	s_delay_alu instid0(VALU_DEP_1) | instskip(SKIP_1) | instid1(VALU_DEP_2)
	v_subrev_nc_u32_e32 v2, 28, v4
	v_sub_nc_u32_e32 v4, 29, v4
	v_lshlrev_b64_e32 v[2:3], v2, v[0:1]
; %bb.655:                              ;   in Loop: Header=BB370_10 Depth=1
	s_or_b32 exec_lo, exec_lo, s18
	s_delay_alu instid0(VALU_DEP_1) | instskip(NEXT) | instid1(VALU_DEP_3)
	v_dual_lshlrev_b32 v2, 20, v2 :: v_dual_lshlrev_b32 v3, 24, v0
	v_lshl_add_u32 v4, v4, 23, 0x3c000000
	s_delay_alu instid0(VALU_DEP_2) | instskip(NEXT) | instid1(VALU_DEP_3)
	v_and_b32_e32 v2, 0x700000, v2
	v_and_b32_e32 v3, 0x80000000, v3
	s_delay_alu instid0(VALU_DEP_1)
	v_or3_b32 v66, v2, v3, v4
.LBB370_656:                            ;   in Loop: Header=BB370_10 Depth=1
	s_or_b32 exec_lo, exec_lo, s17
.LBB370_657:                            ;   in Loop: Header=BB370_10 Depth=1
	s_delay_alu instid0(SALU_CYCLE_1)
	s_or_b32 exec_lo, exec_lo, s16
.LBB370_658:                            ;   in Loop: Header=BB370_10 Depth=1
	s_delay_alu instid0(SALU_CYCLE_1) | instskip(SKIP_3) | instid1(VALU_DEP_2)
	s_or_b32 exec_lo, exec_lo, s11
	v_lshrrev_b16 v2, 8, v0
	v_dual_mov_b32 v68, 0 :: v_dual_mov_b32 v67, 0
	s_mov_b32 s11, exec_lo
	v_cmpx_ne_u16_e32 0, v2
	s_cbranch_execz .LBB370_666
; %bb.659:                              ;   in Loop: Header=BB370_10 Depth=1
	v_bfrev_b32_e32 v67, 1
	s_mov_b32 s16, exec_lo
	v_cmpx_ne_u16_e32 0x80, v2
	s_cbranch_execz .LBB370_665
; %bb.660:                              ;   in Loop: Header=BB370_10 Depth=1
	v_and_b32_e32 v3, 0xffff, v2
	v_mov_b32_e32 v67, 0x7f800001
	s_mov_b32 s17, exec_lo
	s_delay_alu instid0(VALU_DEP_2) | instskip(NEXT) | instid1(VALU_DEP_1)
	v_and_b32_e32 v2, 0x7f, v3
	v_cmpx_ne_u32_e32 0x7f, v2
	s_cbranch_execz .LBB370_664
; %bb.661:                              ;   in Loop: Header=BB370_10 Depth=1
	v_dual_lshrrev_b32 v4, 3, v2 :: v_dual_bitop2_b32 v16, 7, v3 bitop3:0x40
	v_cmp_gt_u32_e64 s1, 8, v2
	s_delay_alu instid0(VALU_DEP_2)
	v_mov_b64_e32 v[2:3], v[16:17]
	s_and_saveexec_b32 s18, s1
; %bb.662:                              ;   in Loop: Header=BB370_10 Depth=1
	v_clz_i32_u32_e32 v2, v16
	s_delay_alu instid0(VALU_DEP_1) | instskip(NEXT) | instid1(VALU_DEP_1)
	v_min_u32_e32 v4, 32, v2
	v_subrev_nc_u32_e32 v2, 28, v4
	s_delay_alu instid0(VALU_DEP_1) | instskip(NEXT) | instid1(VALU_DEP_1)
	v_lshlrev_b64_e32 v[2:3], v2, v[16:17]
	v_dual_sub_nc_u32 v4, 29, v4 :: v_dual_bitop2_b32 v2, 7, v2 bitop3:0x40
; %bb.663:                              ;   in Loop: Header=BB370_10 Depth=1
	s_or_b32 exec_lo, exec_lo, s18
	s_delay_alu instid0(VALU_DEP_1) | instskip(NEXT) | instid1(VALU_DEP_2)
	v_dual_lshlrev_b32 v3, 16, v0 :: v_dual_lshlrev_b32 v2, 20, v2
	v_lshl_add_u32 v4, v4, 23, 0x3c000000
	s_delay_alu instid0(VALU_DEP_2) | instskip(NEXT) | instid1(VALU_DEP_1)
	v_and_b32_e32 v3, 0x80000000, v3
	v_or3_b32 v67, v2, v3, v4
.LBB370_664:                            ;   in Loop: Header=BB370_10 Depth=1
	s_or_b32 exec_lo, exec_lo, s17
.LBB370_665:                            ;   in Loop: Header=BB370_10 Depth=1
	s_delay_alu instid0(SALU_CYCLE_1)
	s_or_b32 exec_lo, exec_lo, s16
.LBB370_666:                            ;   in Loop: Header=BB370_10 Depth=1
	s_delay_alu instid0(SALU_CYCLE_1) | instskip(SKIP_2) | instid1(VALU_DEP_1)
	s_or_b32 exec_lo, exec_lo, s11
	v_lshrrev_b32_e32 v4, 16, v0
	s_mov_b32 s11, exec_lo
	v_and_b32_e32 v2, 0xff, v4
	s_delay_alu instid0(VALU_DEP_1)
	v_cmpx_ne_u16_e32 0, v2
	s_cbranch_execz .LBB370_674
; %bb.667:                              ;   in Loop: Header=BB370_10 Depth=1
	v_bfrev_b32_e32 v68, 1
	s_mov_b32 s16, exec_lo
	v_cmpx_ne_u16_e32 0x80, v2
	s_cbranch_execz .LBB370_673
; %bb.668:                              ;   in Loop: Header=BB370_10 Depth=1
	v_bfe_u32 v2, v0, 16, 7
	v_mov_b32_e32 v68, 0x7f800001
	s_mov_b32 s17, exec_lo
	s_delay_alu instid0(VALU_DEP_2)
	v_cmpx_ne_u32_e32 0x7f, v2
	s_cbranch_execz .LBB370_672
; %bb.669:                              ;   in Loop: Header=BB370_10 Depth=1
	v_dual_lshrrev_b32 v5, 3, v2 :: v_dual_bitop2_b32 v16, 7, v4 bitop3:0x40
	v_cmp_gt_u32_e64 s1, 8, v2
	s_delay_alu instid0(VALU_DEP_2)
	v_mov_b64_e32 v[2:3], v[16:17]
	s_and_saveexec_b32 s18, s1
; %bb.670:                              ;   in Loop: Header=BB370_10 Depth=1
	v_clz_i32_u32_e32 v2, v16
	s_delay_alu instid0(VALU_DEP_1) | instskip(NEXT) | instid1(VALU_DEP_1)
	v_min_u32_e32 v5, 32, v2
	v_subrev_nc_u32_e32 v2, 28, v5
	s_delay_alu instid0(VALU_DEP_1) | instskip(NEXT) | instid1(VALU_DEP_1)
	v_lshlrev_b64_e32 v[2:3], v2, v[16:17]
	v_dual_sub_nc_u32 v5, 29, v5 :: v_dual_bitop2_b32 v2, 7, v2 bitop3:0x40
; %bb.671:                              ;   in Loop: Header=BB370_10 Depth=1
	s_or_b32 exec_lo, exec_lo, s18
	s_delay_alu instid0(VALU_DEP_1) | instskip(NEXT) | instid1(VALU_DEP_2)
	v_dual_lshlrev_b32 v3, 24, v4 :: v_dual_lshlrev_b32 v2, 20, v2
	v_lshl_add_u32 v4, v5, 23, 0x3c000000
	s_delay_alu instid0(VALU_DEP_2) | instskip(NEXT) | instid1(VALU_DEP_1)
	v_and_b32_e32 v3, 0x80000000, v3
	v_or3_b32 v68, v2, v3, v4
.LBB370_672:                            ;   in Loop: Header=BB370_10 Depth=1
	s_or_b32 exec_lo, exec_lo, s17
.LBB370_673:                            ;   in Loop: Header=BB370_10 Depth=1
	s_delay_alu instid0(SALU_CYCLE_1)
	s_or_b32 exec_lo, exec_lo, s16
.LBB370_674:                            ;   in Loop: Header=BB370_10 Depth=1
	s_delay_alu instid0(SALU_CYCLE_1)
	s_or_b32 exec_lo, exec_lo, s11
	v_dual_mov_b32 v70, 0 :: v_dual_mov_b32 v69, 0
	s_mov_b32 s11, exec_lo
	v_cmpx_lt_u32_e32 0xffffff, v0
	s_cbranch_execz .LBB370_682
; %bb.675:                              ;   in Loop: Header=BB370_10 Depth=1
	v_lshrrev_b32_e32 v4, 24, v0
	v_bfrev_b32_e32 v69, 1
	s_mov_b32 s16, exec_lo
	s_delay_alu instid0(VALU_DEP_2)
	v_cmpx_ne_u32_e32 0x80, v4
	s_cbranch_execz .LBB370_681
; %bb.676:                              ;   in Loop: Header=BB370_10 Depth=1
	v_bfe_u32 v2, v0, 24, 7
	v_mov_b32_e32 v69, 0x7f800001
	s_mov_b32 s17, exec_lo
	s_delay_alu instid0(VALU_DEP_2)
	v_cmpx_ne_u32_e32 0x7f, v2
	s_cbranch_execz .LBB370_680
; %bb.677:                              ;   in Loop: Header=BB370_10 Depth=1
	v_dual_lshrrev_b32 v5, 3, v2 :: v_dual_bitop2_b32 v16, 7, v4 bitop3:0x40
	v_cmp_gt_u32_e64 s1, 8, v2
	s_delay_alu instid0(VALU_DEP_2)
	v_mov_b64_e32 v[2:3], v[16:17]
	s_and_saveexec_b32 s18, s1
; %bb.678:                              ;   in Loop: Header=BB370_10 Depth=1
	v_clz_i32_u32_e32 v2, v16
	s_delay_alu instid0(VALU_DEP_1) | instskip(NEXT) | instid1(VALU_DEP_1)
	v_min_u32_e32 v5, 32, v2
	v_subrev_nc_u32_e32 v2, 28, v5
	s_delay_alu instid0(VALU_DEP_1) | instskip(NEXT) | instid1(VALU_DEP_1)
	v_lshlrev_b64_e32 v[2:3], v2, v[16:17]
	v_dual_sub_nc_u32 v5, 29, v5 :: v_dual_bitop2_b32 v2, 7, v2 bitop3:0x40
; %bb.679:                              ;   in Loop: Header=BB370_10 Depth=1
	s_or_b32 exec_lo, exec_lo, s18
	s_delay_alu instid0(VALU_DEP_1) | instskip(NEXT) | instid1(VALU_DEP_2)
	v_dual_lshlrev_b32 v3, 24, v4 :: v_dual_lshlrev_b32 v2, 20, v2
	v_lshl_add_u32 v4, v5, 23, 0x3c000000
	s_delay_alu instid0(VALU_DEP_2) | instskip(NEXT) | instid1(VALU_DEP_1)
	v_and_b32_e32 v3, 0x80000000, v3
	v_or3_b32 v69, v2, v3, v4
.LBB370_680:                            ;   in Loop: Header=BB370_10 Depth=1
	s_or_b32 exec_lo, exec_lo, s17
.LBB370_681:                            ;   in Loop: Header=BB370_10 Depth=1
	s_delay_alu instid0(SALU_CYCLE_1)
	s_or_b32 exec_lo, exec_lo, s16
.LBB370_682:                            ;   in Loop: Header=BB370_10 Depth=1
	s_delay_alu instid0(SALU_CYCLE_1) | instskip(SKIP_3) | instid1(VALU_DEP_2)
	s_or_b32 exec_lo, exec_lo, s11
	v_and_b32_e32 v2, 0xff, v1
	v_mov_b32_e32 v16, v1
	s_mov_b32 s11, exec_lo
	v_cmpx_ne_u16_e32 0, v2
	s_cbranch_execz .LBB370_690
; %bb.683:                              ;   in Loop: Header=BB370_10 Depth=1
	v_bfrev_b32_e32 v70, 1
	s_mov_b32 s16, exec_lo
	v_cmpx_ne_u16_e32 0x80, v2
	s_cbranch_execz .LBB370_689
; %bb.684:                              ;   in Loop: Header=BB370_10 Depth=1
	v_and_b32_e32 v2, 0x7f, v1
	v_mov_b32_e32 v70, 0x7f800001
	s_mov_b32 s17, exec_lo
	s_delay_alu instid0(VALU_DEP_2)
	v_cmpx_ne_u32_e32 0x7f, v2
	s_cbranch_execz .LBB370_688
; %bb.685:                              ;   in Loop: Header=BB370_10 Depth=1
	v_lshrrev_b32_e32 v4, 3, v2
	v_cmp_gt_u32_e64 s1, 8, v2
	v_mov_b64_e32 v[2:3], v[16:17]
	s_and_saveexec_b32 s18, s1
; %bb.686:                              ;   in Loop: Header=BB370_10 Depth=1
	v_and_b32_e32 v2, 7, v1
	s_delay_alu instid0(VALU_DEP_1) | instskip(NEXT) | instid1(VALU_DEP_1)
	v_clz_i32_u32_e32 v2, v2
	v_min_u32_e32 v4, 32, v2
	s_delay_alu instid0(VALU_DEP_1) | instskip(SKIP_1) | instid1(VALU_DEP_2)
	v_subrev_nc_u32_e32 v2, 28, v4
	v_sub_nc_u32_e32 v4, 29, v4
	v_lshlrev_b64_e32 v[2:3], v2, v[16:17]
; %bb.687:                              ;   in Loop: Header=BB370_10 Depth=1
	s_or_b32 exec_lo, exec_lo, s18
	s_delay_alu instid0(VALU_DEP_1) | instskip(NEXT) | instid1(VALU_DEP_3)
	v_dual_lshlrev_b32 v2, 20, v2 :: v_dual_lshlrev_b32 v3, 24, v16
	v_lshl_add_u32 v4, v4, 23, 0x3c000000
	s_delay_alu instid0(VALU_DEP_2) | instskip(NEXT) | instid1(VALU_DEP_3)
	v_and_b32_e32 v2, 0x700000, v2
	v_and_b32_e32 v3, 0x80000000, v3
	s_delay_alu instid0(VALU_DEP_1)
	v_or3_b32 v70, v2, v3, v4
.LBB370_688:                            ;   in Loop: Header=BB370_10 Depth=1
	s_or_b32 exec_lo, exec_lo, s17
.LBB370_689:                            ;   in Loop: Header=BB370_10 Depth=1
	s_delay_alu instid0(SALU_CYCLE_1)
	s_or_b32 exec_lo, exec_lo, s16
.LBB370_690:                            ;   in Loop: Header=BB370_10 Depth=1
	s_delay_alu instid0(SALU_CYCLE_1) | instskip(SKIP_3) | instid1(VALU_DEP_2)
	s_or_b32 exec_lo, exec_lo, s11
	v_lshrrev_b16 v2, 8, v16
	v_dual_mov_b32 v80, 0 :: v_dual_mov_b32 v71, 0
	s_mov_b32 s11, exec_lo
	v_cmpx_ne_u16_e32 0, v2
	s_cbranch_execz .LBB370_698
; %bb.691:                              ;   in Loop: Header=BB370_10 Depth=1
	v_bfrev_b32_e32 v71, 1
	s_mov_b32 s16, exec_lo
	v_cmpx_ne_u16_e32 0x80, v2
	s_cbranch_execz .LBB370_697
; %bb.692:                              ;   in Loop: Header=BB370_10 Depth=1
	v_and_b32_e32 v2, 0xffff, v2
	v_mov_b32_e32 v71, 0x7f800001
	s_mov_b32 s17, exec_lo
	s_delay_alu instid0(VALU_DEP_2) | instskip(NEXT) | instid1(VALU_DEP_1)
	v_and_b32_e32 v5, 0x7f, v2
	v_cmpx_ne_u32_e32 0x7f, v5
	s_cbranch_execz .LBB370_696
; %bb.693:                              ;   in Loop: Header=BB370_10 Depth=1
	v_dual_mov_b32 v3, v17 :: v_dual_bitop2_b32 v2, 7, v2 bitop3:0x40
	v_lshrrev_b32_e32 v4, 3, v5
	s_mov_b32 s18, exec_lo
	v_cmpx_gt_u32_e32 8, v5
; %bb.694:                              ;   in Loop: Header=BB370_10 Depth=1
	s_delay_alu instid0(VALU_DEP_3) | instskip(NEXT) | instid1(VALU_DEP_1)
	v_clz_i32_u32_e32 v4, v2
	v_min_u32_e32 v4, 32, v4
	s_delay_alu instid0(VALU_DEP_1) | instskip(NEXT) | instid1(VALU_DEP_1)
	v_subrev_nc_u32_e32 v5, 28, v4
	v_lshlrev_b64_e32 v[2:3], v5, v[2:3]
	s_delay_alu instid0(VALU_DEP_1)
	v_dual_sub_nc_u32 v4, 29, v4 :: v_dual_bitop2_b32 v2, 7, v2 bitop3:0x40
; %bb.695:                              ;   in Loop: Header=BB370_10 Depth=1
	s_or_b32 exec_lo, exec_lo, s18
	s_delay_alu instid0(VALU_DEP_1) | instskip(NEXT) | instid1(VALU_DEP_2)
	v_dual_lshlrev_b32 v3, 16, v16 :: v_dual_lshlrev_b32 v2, 20, v2
	v_lshl_add_u32 v4, v4, 23, 0x3c000000
	s_delay_alu instid0(VALU_DEP_2) | instskip(NEXT) | instid1(VALU_DEP_1)
	v_and_b32_e32 v3, 0x80000000, v3
	v_or3_b32 v71, v2, v3, v4
.LBB370_696:                            ;   in Loop: Header=BB370_10 Depth=1
	s_or_b32 exec_lo, exec_lo, s17
.LBB370_697:                            ;   in Loop: Header=BB370_10 Depth=1
	s_delay_alu instid0(SALU_CYCLE_1)
	s_or_b32 exec_lo, exec_lo, s16
.LBB370_698:                            ;   in Loop: Header=BB370_10 Depth=1
	s_delay_alu instid0(SALU_CYCLE_1) | instskip(SKIP_2) | instid1(VALU_DEP_1)
	s_or_b32 exec_lo, exec_lo, s11
	v_lshrrev_b32_e32 v4, 16, v1
	s_mov_b32 s11, exec_lo
	v_and_b32_e32 v2, 0xff, v4
	s_delay_alu instid0(VALU_DEP_1)
	v_cmpx_ne_u16_e32 0, v2
	s_cbranch_execz .LBB370_706
; %bb.699:                              ;   in Loop: Header=BB370_10 Depth=1
	v_bfrev_b32_e32 v80, 1
	s_mov_b32 s16, exec_lo
	v_cmpx_ne_u16_e32 0x80, v2
	s_cbranch_execz .LBB370_705
; %bb.700:                              ;   in Loop: Header=BB370_10 Depth=1
	v_bfe_u32 v2, v1, 16, 7
	v_mov_b32_e32 v80, 0x7f800001
	s_mov_b32 s17, exec_lo
	s_delay_alu instid0(VALU_DEP_2)
	v_cmpx_ne_u32_e32 0x7f, v2
	s_cbranch_execz .LBB370_704
; %bb.701:                              ;   in Loop: Header=BB370_10 Depth=1
	v_dual_lshrrev_b32 v5, 3, v2 :: v_dual_bitop2_b32 v16, 7, v4 bitop3:0x40
	v_cmp_gt_u32_e64 s1, 8, v2
	s_delay_alu instid0(VALU_DEP_2)
	v_mov_b64_e32 v[2:3], v[16:17]
	s_and_saveexec_b32 s18, s1
; %bb.702:                              ;   in Loop: Header=BB370_10 Depth=1
	v_clz_i32_u32_e32 v2, v16
	s_delay_alu instid0(VALU_DEP_1) | instskip(NEXT) | instid1(VALU_DEP_1)
	v_min_u32_e32 v5, 32, v2
	v_subrev_nc_u32_e32 v2, 28, v5
	s_delay_alu instid0(VALU_DEP_1) | instskip(NEXT) | instid1(VALU_DEP_1)
	v_lshlrev_b64_e32 v[2:3], v2, v[16:17]
	v_dual_sub_nc_u32 v5, 29, v5 :: v_dual_bitop2_b32 v2, 7, v2 bitop3:0x40
; %bb.703:                              ;   in Loop: Header=BB370_10 Depth=1
	s_or_b32 exec_lo, exec_lo, s18
	s_delay_alu instid0(VALU_DEP_1) | instskip(NEXT) | instid1(VALU_DEP_2)
	v_dual_lshlrev_b32 v3, 24, v4 :: v_dual_lshlrev_b32 v2, 20, v2
	v_lshl_add_u32 v4, v5, 23, 0x3c000000
	s_delay_alu instid0(VALU_DEP_2) | instskip(NEXT) | instid1(VALU_DEP_1)
	v_and_b32_e32 v3, 0x80000000, v3
	v_or3_b32 v80, v2, v3, v4
.LBB370_704:                            ;   in Loop: Header=BB370_10 Depth=1
	s_or_b32 exec_lo, exec_lo, s17
.LBB370_705:                            ;   in Loop: Header=BB370_10 Depth=1
	s_delay_alu instid0(SALU_CYCLE_1)
	s_or_b32 exec_lo, exec_lo, s16
.LBB370_706:                            ;   in Loop: Header=BB370_10 Depth=1
	s_delay_alu instid0(SALU_CYCLE_1)
	s_or_b32 exec_lo, exec_lo, s11
	v_dual_mov_b32 v82, 0 :: v_dual_mov_b32 v81, 0
	s_mov_b32 s11, exec_lo
	v_cmpx_lt_u64_e64 s[2:3], v[0:1]
	s_cbranch_execz .LBB370_714
; %bb.707:                              ;   in Loop: Header=BB370_10 Depth=1
	v_lshrrev_b32_e32 v2, 24, v1
	v_bfrev_b32_e32 v81, 1
	s_mov_b32 s16, exec_lo
	s_delay_alu instid0(VALU_DEP_2)
	v_cmpx_ne_u32_e32 0x80, v2
	s_cbranch_execz .LBB370_713
; %bb.708:                              ;   in Loop: Header=BB370_10 Depth=1
	v_bfe_u32 v0, v1, 24, 7
	v_mov_b32_e32 v81, 0x7f800001
	s_mov_b32 s17, exec_lo
	s_delay_alu instid0(VALU_DEP_2)
	v_cmpx_ne_u32_e32 0x7f, v0
	s_cbranch_execz .LBB370_712
; %bb.709:                              ;   in Loop: Header=BB370_10 Depth=1
	v_dual_lshrrev_b32 v3, 3, v0 :: v_dual_bitop2_b32 v16, 7, v2 bitop3:0x40
	v_cmp_gt_u32_e64 s1, 8, v0
	s_delay_alu instid0(VALU_DEP_2)
	v_mov_b64_e32 v[0:1], v[16:17]
	s_and_saveexec_b32 s18, s1
; %bb.710:                              ;   in Loop: Header=BB370_10 Depth=1
	v_clz_i32_u32_e32 v0, v16
	s_delay_alu instid0(VALU_DEP_1) | instskip(NEXT) | instid1(VALU_DEP_1)
	v_min_u32_e32 v3, 32, v0
	v_subrev_nc_u32_e32 v0, 28, v3
	s_delay_alu instid0(VALU_DEP_1) | instskip(NEXT) | instid1(VALU_DEP_1)
	v_lshlrev_b64_e32 v[0:1], v0, v[16:17]
	v_dual_sub_nc_u32 v3, 29, v3 :: v_dual_bitop2_b32 v0, 7, v0 bitop3:0x40
; %bb.711:                              ;   in Loop: Header=BB370_10 Depth=1
	s_or_b32 exec_lo, exec_lo, s18
	s_delay_alu instid0(VALU_DEP_1) | instskip(NEXT) | instid1(VALU_DEP_2)
	v_dual_lshlrev_b32 v1, 24, v2 :: v_dual_lshlrev_b32 v0, 20, v0
	v_lshl_add_u32 v2, v3, 23, 0x3c000000
	s_delay_alu instid0(VALU_DEP_2) | instskip(NEXT) | instid1(VALU_DEP_1)
	v_and_b32_e32 v1, 0x80000000, v1
	v_or3_b32 v81, v0, v1, v2
.LBB370_712:                            ;   in Loop: Header=BB370_10 Depth=1
	s_or_b32 exec_lo, exec_lo, s17
.LBB370_713:                            ;   in Loop: Header=BB370_10 Depth=1
	s_delay_alu instid0(SALU_CYCLE_1)
	s_or_b32 exec_lo, exec_lo, s16
.LBB370_714:                            ;   in Loop: Header=BB370_10 Depth=1
	s_delay_alu instid0(SALU_CYCLE_1)
	s_or_b32 exec_lo, exec_lo, s11
	flat_load_b64 v[0:1], v[32:33] offset:2568
	s_mov_b32 s11, exec_lo
	s_wait_loadcnt_dscnt 0x0
	v_and_b32_e32 v2, 0xff, v0
	s_wait_xcnt 0x0
	s_delay_alu instid0(VALU_DEP_1)
	v_cmpx_ne_u16_e32 0, v2
	s_cbranch_execz .LBB370_722
; %bb.715:                              ;   in Loop: Header=BB370_10 Depth=1
	v_bfrev_b32_e32 v82, 1
	s_mov_b32 s16, exec_lo
	v_cmpx_ne_u16_e32 0x80, v2
	s_cbranch_execz .LBB370_721
; %bb.716:                              ;   in Loop: Header=BB370_10 Depth=1
	v_and_b32_e32 v2, 0x7f, v0
	v_mov_b32_e32 v82, 0x7f800001
	s_mov_b32 s17, exec_lo
	s_delay_alu instid0(VALU_DEP_2)
	v_cmpx_ne_u32_e32 0x7f, v2
	s_cbranch_execz .LBB370_720
; %bb.717:                              ;   in Loop: Header=BB370_10 Depth=1
	v_lshrrev_b32_e32 v4, 3, v2
	v_cmp_gt_u32_e64 s1, 8, v2
	v_mov_b64_e32 v[2:3], v[0:1]
	s_and_saveexec_b32 s18, s1
; %bb.718:                              ;   in Loop: Header=BB370_10 Depth=1
	v_and_b32_e32 v2, 7, v0
	s_delay_alu instid0(VALU_DEP_1) | instskip(NEXT) | instid1(VALU_DEP_1)
	v_clz_i32_u32_e32 v2, v2
	v_min_u32_e32 v4, 32, v2
	s_delay_alu instid0(VALU_DEP_1) | instskip(SKIP_1) | instid1(VALU_DEP_2)
	v_subrev_nc_u32_e32 v2, 28, v4
	v_sub_nc_u32_e32 v4, 29, v4
	v_lshlrev_b64_e32 v[2:3], v2, v[0:1]
; %bb.719:                              ;   in Loop: Header=BB370_10 Depth=1
	s_or_b32 exec_lo, exec_lo, s18
	s_delay_alu instid0(VALU_DEP_1) | instskip(NEXT) | instid1(VALU_DEP_3)
	v_dual_lshlrev_b32 v2, 20, v2 :: v_dual_lshlrev_b32 v3, 24, v0
	v_lshl_add_u32 v4, v4, 23, 0x3c000000
	s_delay_alu instid0(VALU_DEP_2) | instskip(NEXT) | instid1(VALU_DEP_3)
	v_and_b32_e32 v2, 0x700000, v2
	v_and_b32_e32 v3, 0x80000000, v3
	s_delay_alu instid0(VALU_DEP_1)
	v_or3_b32 v82, v2, v3, v4
.LBB370_720:                            ;   in Loop: Header=BB370_10 Depth=1
	s_or_b32 exec_lo, exec_lo, s17
.LBB370_721:                            ;   in Loop: Header=BB370_10 Depth=1
	s_delay_alu instid0(SALU_CYCLE_1)
	s_or_b32 exec_lo, exec_lo, s16
.LBB370_722:                            ;   in Loop: Header=BB370_10 Depth=1
	s_delay_alu instid0(SALU_CYCLE_1) | instskip(SKIP_3) | instid1(VALU_DEP_2)
	s_or_b32 exec_lo, exec_lo, s11
	v_lshrrev_b16 v2, 8, v0
	v_dual_mov_b32 v84, 0 :: v_dual_mov_b32 v83, 0
	s_mov_b32 s11, exec_lo
	v_cmpx_ne_u16_e32 0, v2
	s_cbranch_execz .LBB370_730
; %bb.723:                              ;   in Loop: Header=BB370_10 Depth=1
	v_bfrev_b32_e32 v83, 1
	s_mov_b32 s16, exec_lo
	v_cmpx_ne_u16_e32 0x80, v2
	s_cbranch_execz .LBB370_729
; %bb.724:                              ;   in Loop: Header=BB370_10 Depth=1
	v_and_b32_e32 v3, 0xffff, v2
	v_mov_b32_e32 v83, 0x7f800001
	s_mov_b32 s17, exec_lo
	s_delay_alu instid0(VALU_DEP_2) | instskip(NEXT) | instid1(VALU_DEP_1)
	v_and_b32_e32 v2, 0x7f, v3
	v_cmpx_ne_u32_e32 0x7f, v2
	s_cbranch_execz .LBB370_728
; %bb.725:                              ;   in Loop: Header=BB370_10 Depth=1
	v_dual_lshrrev_b32 v4, 3, v2 :: v_dual_bitop2_b32 v16, 7, v3 bitop3:0x40
	v_cmp_gt_u32_e64 s1, 8, v2
	s_delay_alu instid0(VALU_DEP_2)
	v_mov_b64_e32 v[2:3], v[16:17]
	s_and_saveexec_b32 s18, s1
; %bb.726:                              ;   in Loop: Header=BB370_10 Depth=1
	v_clz_i32_u32_e32 v2, v16
	s_delay_alu instid0(VALU_DEP_1) | instskip(NEXT) | instid1(VALU_DEP_1)
	v_min_u32_e32 v4, 32, v2
	v_subrev_nc_u32_e32 v2, 28, v4
	s_delay_alu instid0(VALU_DEP_1) | instskip(NEXT) | instid1(VALU_DEP_1)
	v_lshlrev_b64_e32 v[2:3], v2, v[16:17]
	v_dual_sub_nc_u32 v4, 29, v4 :: v_dual_bitop2_b32 v2, 7, v2 bitop3:0x40
; %bb.727:                              ;   in Loop: Header=BB370_10 Depth=1
	s_or_b32 exec_lo, exec_lo, s18
	s_delay_alu instid0(VALU_DEP_1) | instskip(NEXT) | instid1(VALU_DEP_2)
	v_dual_lshlrev_b32 v3, 16, v0 :: v_dual_lshlrev_b32 v2, 20, v2
	v_lshl_add_u32 v4, v4, 23, 0x3c000000
	s_delay_alu instid0(VALU_DEP_2) | instskip(NEXT) | instid1(VALU_DEP_1)
	v_and_b32_e32 v3, 0x80000000, v3
	v_or3_b32 v83, v2, v3, v4
.LBB370_728:                            ;   in Loop: Header=BB370_10 Depth=1
	s_or_b32 exec_lo, exec_lo, s17
.LBB370_729:                            ;   in Loop: Header=BB370_10 Depth=1
	s_delay_alu instid0(SALU_CYCLE_1)
	s_or_b32 exec_lo, exec_lo, s16
.LBB370_730:                            ;   in Loop: Header=BB370_10 Depth=1
	s_delay_alu instid0(SALU_CYCLE_1) | instskip(SKIP_2) | instid1(VALU_DEP_1)
	s_or_b32 exec_lo, exec_lo, s11
	v_lshrrev_b32_e32 v4, 16, v0
	s_mov_b32 s11, exec_lo
	v_and_b32_e32 v2, 0xff, v4
	s_delay_alu instid0(VALU_DEP_1)
	v_cmpx_ne_u16_e32 0, v2
	s_cbranch_execz .LBB370_738
; %bb.731:                              ;   in Loop: Header=BB370_10 Depth=1
	v_bfrev_b32_e32 v84, 1
	s_mov_b32 s16, exec_lo
	v_cmpx_ne_u16_e32 0x80, v2
	s_cbranch_execz .LBB370_737
; %bb.732:                              ;   in Loop: Header=BB370_10 Depth=1
	v_bfe_u32 v2, v0, 16, 7
	v_mov_b32_e32 v84, 0x7f800001
	s_mov_b32 s17, exec_lo
	s_delay_alu instid0(VALU_DEP_2)
	v_cmpx_ne_u32_e32 0x7f, v2
	s_cbranch_execz .LBB370_736
; %bb.733:                              ;   in Loop: Header=BB370_10 Depth=1
	v_dual_lshrrev_b32 v5, 3, v2 :: v_dual_bitop2_b32 v16, 7, v4 bitop3:0x40
	v_cmp_gt_u32_e64 s1, 8, v2
	s_delay_alu instid0(VALU_DEP_2)
	v_mov_b64_e32 v[2:3], v[16:17]
	s_and_saveexec_b32 s18, s1
; %bb.734:                              ;   in Loop: Header=BB370_10 Depth=1
	v_clz_i32_u32_e32 v2, v16
	s_delay_alu instid0(VALU_DEP_1) | instskip(NEXT) | instid1(VALU_DEP_1)
	v_min_u32_e32 v5, 32, v2
	v_subrev_nc_u32_e32 v2, 28, v5
	s_delay_alu instid0(VALU_DEP_1) | instskip(NEXT) | instid1(VALU_DEP_1)
	v_lshlrev_b64_e32 v[2:3], v2, v[16:17]
	v_dual_sub_nc_u32 v5, 29, v5 :: v_dual_bitop2_b32 v2, 7, v2 bitop3:0x40
; %bb.735:                              ;   in Loop: Header=BB370_10 Depth=1
	s_or_b32 exec_lo, exec_lo, s18
	s_delay_alu instid0(VALU_DEP_1) | instskip(NEXT) | instid1(VALU_DEP_2)
	v_dual_lshlrev_b32 v3, 24, v4 :: v_dual_lshlrev_b32 v2, 20, v2
	v_lshl_add_u32 v4, v5, 23, 0x3c000000
	s_delay_alu instid0(VALU_DEP_2) | instskip(NEXT) | instid1(VALU_DEP_1)
	v_and_b32_e32 v3, 0x80000000, v3
	v_or3_b32 v84, v2, v3, v4
.LBB370_736:                            ;   in Loop: Header=BB370_10 Depth=1
	s_or_b32 exec_lo, exec_lo, s17
.LBB370_737:                            ;   in Loop: Header=BB370_10 Depth=1
	s_delay_alu instid0(SALU_CYCLE_1)
	s_or_b32 exec_lo, exec_lo, s16
.LBB370_738:                            ;   in Loop: Header=BB370_10 Depth=1
	s_delay_alu instid0(SALU_CYCLE_1)
	s_or_b32 exec_lo, exec_lo, s11
	v_dual_mov_b32 v86, 0 :: v_dual_mov_b32 v85, 0
	s_mov_b32 s11, exec_lo
	v_cmpx_lt_u32_e32 0xffffff, v0
	s_cbranch_execz .LBB370_746
; %bb.739:                              ;   in Loop: Header=BB370_10 Depth=1
	v_lshrrev_b32_e32 v4, 24, v0
	v_bfrev_b32_e32 v85, 1
	s_mov_b32 s16, exec_lo
	s_delay_alu instid0(VALU_DEP_2)
	v_cmpx_ne_u32_e32 0x80, v4
	s_cbranch_execz .LBB370_745
; %bb.740:                              ;   in Loop: Header=BB370_10 Depth=1
	v_bfe_u32 v2, v0, 24, 7
	v_mov_b32_e32 v85, 0x7f800001
	s_mov_b32 s17, exec_lo
	s_delay_alu instid0(VALU_DEP_2)
	v_cmpx_ne_u32_e32 0x7f, v2
	s_cbranch_execz .LBB370_744
; %bb.741:                              ;   in Loop: Header=BB370_10 Depth=1
	v_dual_lshrrev_b32 v5, 3, v2 :: v_dual_bitop2_b32 v16, 7, v4 bitop3:0x40
	v_cmp_gt_u32_e64 s1, 8, v2
	s_delay_alu instid0(VALU_DEP_2)
	v_mov_b64_e32 v[2:3], v[16:17]
	s_and_saveexec_b32 s18, s1
; %bb.742:                              ;   in Loop: Header=BB370_10 Depth=1
	v_clz_i32_u32_e32 v2, v16
	s_delay_alu instid0(VALU_DEP_1) | instskip(NEXT) | instid1(VALU_DEP_1)
	v_min_u32_e32 v5, 32, v2
	v_subrev_nc_u32_e32 v2, 28, v5
	s_delay_alu instid0(VALU_DEP_1) | instskip(NEXT) | instid1(VALU_DEP_1)
	v_lshlrev_b64_e32 v[2:3], v2, v[16:17]
	v_dual_sub_nc_u32 v5, 29, v5 :: v_dual_bitop2_b32 v2, 7, v2 bitop3:0x40
; %bb.743:                              ;   in Loop: Header=BB370_10 Depth=1
	s_or_b32 exec_lo, exec_lo, s18
	s_delay_alu instid0(VALU_DEP_1) | instskip(NEXT) | instid1(VALU_DEP_2)
	v_dual_lshlrev_b32 v3, 24, v4 :: v_dual_lshlrev_b32 v2, 20, v2
	v_lshl_add_u32 v4, v5, 23, 0x3c000000
	s_delay_alu instid0(VALU_DEP_2) | instskip(NEXT) | instid1(VALU_DEP_1)
	v_and_b32_e32 v3, 0x80000000, v3
	v_or3_b32 v85, v2, v3, v4
.LBB370_744:                            ;   in Loop: Header=BB370_10 Depth=1
	s_or_b32 exec_lo, exec_lo, s17
.LBB370_745:                            ;   in Loop: Header=BB370_10 Depth=1
	s_delay_alu instid0(SALU_CYCLE_1)
	s_or_b32 exec_lo, exec_lo, s16
.LBB370_746:                            ;   in Loop: Header=BB370_10 Depth=1
	s_delay_alu instid0(SALU_CYCLE_1) | instskip(SKIP_3) | instid1(VALU_DEP_2)
	s_or_b32 exec_lo, exec_lo, s11
	v_and_b32_e32 v2, 0xff, v1
	v_mov_b32_e32 v16, v1
	s_mov_b32 s11, exec_lo
	v_cmpx_ne_u16_e32 0, v2
	s_cbranch_execz .LBB370_754
; %bb.747:                              ;   in Loop: Header=BB370_10 Depth=1
	v_bfrev_b32_e32 v86, 1
	s_mov_b32 s16, exec_lo
	v_cmpx_ne_u16_e32 0x80, v2
	s_cbranch_execz .LBB370_753
; %bb.748:                              ;   in Loop: Header=BB370_10 Depth=1
	v_and_b32_e32 v2, 0x7f, v1
	v_mov_b32_e32 v86, 0x7f800001
	s_mov_b32 s17, exec_lo
	s_delay_alu instid0(VALU_DEP_2)
	v_cmpx_ne_u32_e32 0x7f, v2
	s_cbranch_execz .LBB370_752
; %bb.749:                              ;   in Loop: Header=BB370_10 Depth=1
	v_lshrrev_b32_e32 v4, 3, v2
	v_cmp_gt_u32_e64 s1, 8, v2
	v_mov_b64_e32 v[2:3], v[16:17]
	s_and_saveexec_b32 s18, s1
; %bb.750:                              ;   in Loop: Header=BB370_10 Depth=1
	v_and_b32_e32 v2, 7, v1
	s_delay_alu instid0(VALU_DEP_1) | instskip(NEXT) | instid1(VALU_DEP_1)
	v_clz_i32_u32_e32 v2, v2
	v_min_u32_e32 v4, 32, v2
	s_delay_alu instid0(VALU_DEP_1) | instskip(SKIP_1) | instid1(VALU_DEP_2)
	v_subrev_nc_u32_e32 v2, 28, v4
	v_sub_nc_u32_e32 v4, 29, v4
	v_lshlrev_b64_e32 v[2:3], v2, v[16:17]
; %bb.751:                              ;   in Loop: Header=BB370_10 Depth=1
	s_or_b32 exec_lo, exec_lo, s18
	s_delay_alu instid0(VALU_DEP_1) | instskip(NEXT) | instid1(VALU_DEP_3)
	v_dual_lshlrev_b32 v2, 20, v2 :: v_dual_lshlrev_b32 v3, 24, v16
	v_lshl_add_u32 v4, v4, 23, 0x3c000000
	s_delay_alu instid0(VALU_DEP_2) | instskip(NEXT) | instid1(VALU_DEP_3)
	v_and_b32_e32 v2, 0x700000, v2
	v_and_b32_e32 v3, 0x80000000, v3
	s_delay_alu instid0(VALU_DEP_1)
	v_or3_b32 v86, v2, v3, v4
.LBB370_752:                            ;   in Loop: Header=BB370_10 Depth=1
	s_or_b32 exec_lo, exec_lo, s17
.LBB370_753:                            ;   in Loop: Header=BB370_10 Depth=1
	s_delay_alu instid0(SALU_CYCLE_1)
	s_or_b32 exec_lo, exec_lo, s16
.LBB370_754:                            ;   in Loop: Header=BB370_10 Depth=1
	s_delay_alu instid0(SALU_CYCLE_1) | instskip(SKIP_3) | instid1(VALU_DEP_2)
	s_or_b32 exec_lo, exec_lo, s11
	v_lshrrev_b16 v2, 8, v16
	v_dual_mov_b32 v96, 0 :: v_dual_mov_b32 v87, 0
	s_mov_b32 s11, exec_lo
	v_cmpx_ne_u16_e32 0, v2
	s_cbranch_execz .LBB370_762
; %bb.755:                              ;   in Loop: Header=BB370_10 Depth=1
	v_bfrev_b32_e32 v87, 1
	s_mov_b32 s16, exec_lo
	v_cmpx_ne_u16_e32 0x80, v2
	s_cbranch_execz .LBB370_761
; %bb.756:                              ;   in Loop: Header=BB370_10 Depth=1
	v_and_b32_e32 v2, 0xffff, v2
	v_mov_b32_e32 v87, 0x7f800001
	s_mov_b32 s17, exec_lo
	s_delay_alu instid0(VALU_DEP_2) | instskip(NEXT) | instid1(VALU_DEP_1)
	v_and_b32_e32 v5, 0x7f, v2
	v_cmpx_ne_u32_e32 0x7f, v5
	s_cbranch_execz .LBB370_760
; %bb.757:                              ;   in Loop: Header=BB370_10 Depth=1
	v_dual_mov_b32 v3, v17 :: v_dual_bitop2_b32 v2, 7, v2 bitop3:0x40
	v_lshrrev_b32_e32 v4, 3, v5
	s_mov_b32 s18, exec_lo
	v_cmpx_gt_u32_e32 8, v5
; %bb.758:                              ;   in Loop: Header=BB370_10 Depth=1
	s_delay_alu instid0(VALU_DEP_3) | instskip(NEXT) | instid1(VALU_DEP_1)
	v_clz_i32_u32_e32 v4, v2
	v_min_u32_e32 v4, 32, v4
	s_delay_alu instid0(VALU_DEP_1) | instskip(NEXT) | instid1(VALU_DEP_1)
	v_subrev_nc_u32_e32 v5, 28, v4
	v_lshlrev_b64_e32 v[2:3], v5, v[2:3]
	s_delay_alu instid0(VALU_DEP_1)
	v_dual_sub_nc_u32 v4, 29, v4 :: v_dual_bitop2_b32 v2, 7, v2 bitop3:0x40
; %bb.759:                              ;   in Loop: Header=BB370_10 Depth=1
	s_or_b32 exec_lo, exec_lo, s18
	s_delay_alu instid0(VALU_DEP_1) | instskip(NEXT) | instid1(VALU_DEP_2)
	v_dual_lshlrev_b32 v3, 16, v16 :: v_dual_lshlrev_b32 v2, 20, v2
	v_lshl_add_u32 v4, v4, 23, 0x3c000000
	s_delay_alu instid0(VALU_DEP_2) | instskip(NEXT) | instid1(VALU_DEP_1)
	v_and_b32_e32 v3, 0x80000000, v3
	v_or3_b32 v87, v2, v3, v4
.LBB370_760:                            ;   in Loop: Header=BB370_10 Depth=1
	s_or_b32 exec_lo, exec_lo, s17
.LBB370_761:                            ;   in Loop: Header=BB370_10 Depth=1
	s_delay_alu instid0(SALU_CYCLE_1)
	s_or_b32 exec_lo, exec_lo, s16
.LBB370_762:                            ;   in Loop: Header=BB370_10 Depth=1
	s_delay_alu instid0(SALU_CYCLE_1) | instskip(SKIP_2) | instid1(VALU_DEP_1)
	s_or_b32 exec_lo, exec_lo, s11
	v_lshrrev_b32_e32 v4, 16, v1
	s_mov_b32 s11, exec_lo
	v_and_b32_e32 v2, 0xff, v4
	s_delay_alu instid0(VALU_DEP_1)
	v_cmpx_ne_u16_e32 0, v2
	s_cbranch_execz .LBB370_770
; %bb.763:                              ;   in Loop: Header=BB370_10 Depth=1
	v_bfrev_b32_e32 v96, 1
	s_mov_b32 s16, exec_lo
	v_cmpx_ne_u16_e32 0x80, v2
	s_cbranch_execz .LBB370_769
; %bb.764:                              ;   in Loop: Header=BB370_10 Depth=1
	v_bfe_u32 v2, v1, 16, 7
	v_mov_b32_e32 v96, 0x7f800001
	s_mov_b32 s17, exec_lo
	s_delay_alu instid0(VALU_DEP_2)
	v_cmpx_ne_u32_e32 0x7f, v2
	s_cbranch_execz .LBB370_768
; %bb.765:                              ;   in Loop: Header=BB370_10 Depth=1
	v_dual_lshrrev_b32 v5, 3, v2 :: v_dual_bitop2_b32 v16, 7, v4 bitop3:0x40
	v_cmp_gt_u32_e64 s1, 8, v2
	s_delay_alu instid0(VALU_DEP_2)
	v_mov_b64_e32 v[2:3], v[16:17]
	s_and_saveexec_b32 s18, s1
; %bb.766:                              ;   in Loop: Header=BB370_10 Depth=1
	v_clz_i32_u32_e32 v2, v16
	s_delay_alu instid0(VALU_DEP_1) | instskip(NEXT) | instid1(VALU_DEP_1)
	v_min_u32_e32 v5, 32, v2
	v_subrev_nc_u32_e32 v2, 28, v5
	s_delay_alu instid0(VALU_DEP_1) | instskip(NEXT) | instid1(VALU_DEP_1)
	v_lshlrev_b64_e32 v[2:3], v2, v[16:17]
	v_dual_sub_nc_u32 v5, 29, v5 :: v_dual_bitop2_b32 v2, 7, v2 bitop3:0x40
; %bb.767:                              ;   in Loop: Header=BB370_10 Depth=1
	s_or_b32 exec_lo, exec_lo, s18
	s_delay_alu instid0(VALU_DEP_1) | instskip(NEXT) | instid1(VALU_DEP_2)
	v_dual_lshlrev_b32 v3, 24, v4 :: v_dual_lshlrev_b32 v2, 20, v2
	v_lshl_add_u32 v4, v5, 23, 0x3c000000
	s_delay_alu instid0(VALU_DEP_2) | instskip(NEXT) | instid1(VALU_DEP_1)
	v_and_b32_e32 v3, 0x80000000, v3
	v_or3_b32 v96, v2, v3, v4
.LBB370_768:                            ;   in Loop: Header=BB370_10 Depth=1
	s_or_b32 exec_lo, exec_lo, s17
.LBB370_769:                            ;   in Loop: Header=BB370_10 Depth=1
	s_delay_alu instid0(SALU_CYCLE_1)
	s_or_b32 exec_lo, exec_lo, s16
.LBB370_770:                            ;   in Loop: Header=BB370_10 Depth=1
	s_delay_alu instid0(SALU_CYCLE_1)
	s_or_b32 exec_lo, exec_lo, s11
	v_dual_mov_b32 v98, 0 :: v_dual_mov_b32 v97, 0
	s_mov_b32 s11, exec_lo
	v_cmpx_lt_u64_e64 s[2:3], v[0:1]
	s_cbranch_execz .LBB370_778
; %bb.771:                              ;   in Loop: Header=BB370_10 Depth=1
	v_lshrrev_b32_e32 v2, 24, v1
	v_bfrev_b32_e32 v97, 1
	s_mov_b32 s16, exec_lo
	s_delay_alu instid0(VALU_DEP_2)
	v_cmpx_ne_u32_e32 0x80, v2
	s_cbranch_execz .LBB370_777
; %bb.772:                              ;   in Loop: Header=BB370_10 Depth=1
	v_bfe_u32 v0, v1, 24, 7
	v_mov_b32_e32 v97, 0x7f800001
	s_mov_b32 s17, exec_lo
	s_delay_alu instid0(VALU_DEP_2)
	v_cmpx_ne_u32_e32 0x7f, v0
	s_cbranch_execz .LBB370_776
; %bb.773:                              ;   in Loop: Header=BB370_10 Depth=1
	v_dual_lshrrev_b32 v3, 3, v0 :: v_dual_bitop2_b32 v16, 7, v2 bitop3:0x40
	v_cmp_gt_u32_e64 s1, 8, v0
	s_delay_alu instid0(VALU_DEP_2)
	v_mov_b64_e32 v[0:1], v[16:17]
	s_and_saveexec_b32 s18, s1
; %bb.774:                              ;   in Loop: Header=BB370_10 Depth=1
	v_clz_i32_u32_e32 v0, v16
	s_delay_alu instid0(VALU_DEP_1) | instskip(NEXT) | instid1(VALU_DEP_1)
	v_min_u32_e32 v3, 32, v0
	v_subrev_nc_u32_e32 v0, 28, v3
	s_delay_alu instid0(VALU_DEP_1) | instskip(NEXT) | instid1(VALU_DEP_1)
	v_lshlrev_b64_e32 v[0:1], v0, v[16:17]
	v_dual_sub_nc_u32 v3, 29, v3 :: v_dual_bitop2_b32 v0, 7, v0 bitop3:0x40
; %bb.775:                              ;   in Loop: Header=BB370_10 Depth=1
	s_or_b32 exec_lo, exec_lo, s18
	s_delay_alu instid0(VALU_DEP_1) | instskip(NEXT) | instid1(VALU_DEP_2)
	v_dual_lshlrev_b32 v1, 24, v2 :: v_dual_lshlrev_b32 v0, 20, v0
	v_lshl_add_u32 v2, v3, 23, 0x3c000000
	s_delay_alu instid0(VALU_DEP_2) | instskip(NEXT) | instid1(VALU_DEP_1)
	v_and_b32_e32 v1, 0x80000000, v1
	v_or3_b32 v97, v0, v1, v2
.LBB370_776:                            ;   in Loop: Header=BB370_10 Depth=1
	s_or_b32 exec_lo, exec_lo, s17
.LBB370_777:                            ;   in Loop: Header=BB370_10 Depth=1
	s_delay_alu instid0(SALU_CYCLE_1)
	s_or_b32 exec_lo, exec_lo, s16
.LBB370_778:                            ;   in Loop: Header=BB370_10 Depth=1
	s_delay_alu instid0(SALU_CYCLE_1)
	s_or_b32 exec_lo, exec_lo, s11
	flat_load_b64 v[0:1], v[32:33] offset:3072
	s_mov_b32 s11, exec_lo
	s_wait_loadcnt_dscnt 0x0
	v_and_b32_e32 v2, 0xff, v0
	s_wait_xcnt 0x0
	s_delay_alu instid0(VALU_DEP_1)
	v_cmpx_ne_u16_e32 0, v2
	s_cbranch_execz .LBB370_786
; %bb.779:                              ;   in Loop: Header=BB370_10 Depth=1
	v_bfrev_b32_e32 v98, 1
	s_mov_b32 s16, exec_lo
	v_cmpx_ne_u16_e32 0x80, v2
	s_cbranch_execz .LBB370_785
; %bb.780:                              ;   in Loop: Header=BB370_10 Depth=1
	v_and_b32_e32 v2, 0x7f, v0
	v_mov_b32_e32 v98, 0x7f800001
	s_mov_b32 s17, exec_lo
	s_delay_alu instid0(VALU_DEP_2)
	v_cmpx_ne_u32_e32 0x7f, v2
	s_cbranch_execz .LBB370_784
; %bb.781:                              ;   in Loop: Header=BB370_10 Depth=1
	v_lshrrev_b32_e32 v4, 3, v2
	v_cmp_gt_u32_e64 s1, 8, v2
	v_mov_b64_e32 v[2:3], v[0:1]
	s_and_saveexec_b32 s18, s1
; %bb.782:                              ;   in Loop: Header=BB370_10 Depth=1
	v_and_b32_e32 v2, 7, v0
	s_delay_alu instid0(VALU_DEP_1) | instskip(NEXT) | instid1(VALU_DEP_1)
	v_clz_i32_u32_e32 v2, v2
	v_min_u32_e32 v4, 32, v2
	s_delay_alu instid0(VALU_DEP_1) | instskip(SKIP_1) | instid1(VALU_DEP_2)
	v_subrev_nc_u32_e32 v2, 28, v4
	v_sub_nc_u32_e32 v4, 29, v4
	v_lshlrev_b64_e32 v[2:3], v2, v[0:1]
; %bb.783:                              ;   in Loop: Header=BB370_10 Depth=1
	s_or_b32 exec_lo, exec_lo, s18
	s_delay_alu instid0(VALU_DEP_1) | instskip(NEXT) | instid1(VALU_DEP_3)
	v_dual_lshlrev_b32 v2, 20, v2 :: v_dual_lshlrev_b32 v3, 24, v0
	v_lshl_add_u32 v4, v4, 23, 0x3c000000
	s_delay_alu instid0(VALU_DEP_2) | instskip(NEXT) | instid1(VALU_DEP_3)
	v_and_b32_e32 v2, 0x700000, v2
	v_and_b32_e32 v3, 0x80000000, v3
	s_delay_alu instid0(VALU_DEP_1)
	v_or3_b32 v98, v2, v3, v4
.LBB370_784:                            ;   in Loop: Header=BB370_10 Depth=1
	s_or_b32 exec_lo, exec_lo, s17
.LBB370_785:                            ;   in Loop: Header=BB370_10 Depth=1
	s_delay_alu instid0(SALU_CYCLE_1)
	s_or_b32 exec_lo, exec_lo, s16
.LBB370_786:                            ;   in Loop: Header=BB370_10 Depth=1
	s_delay_alu instid0(SALU_CYCLE_1) | instskip(SKIP_3) | instid1(VALU_DEP_2)
	s_or_b32 exec_lo, exec_lo, s11
	v_lshrrev_b16 v2, 8, v0
	v_dual_mov_b32 v100, 0 :: v_dual_mov_b32 v99, 0
	s_mov_b32 s11, exec_lo
	v_cmpx_ne_u16_e32 0, v2
	s_cbranch_execz .LBB370_794
; %bb.787:                              ;   in Loop: Header=BB370_10 Depth=1
	v_bfrev_b32_e32 v99, 1
	s_mov_b32 s16, exec_lo
	v_cmpx_ne_u16_e32 0x80, v2
	s_cbranch_execz .LBB370_793
; %bb.788:                              ;   in Loop: Header=BB370_10 Depth=1
	v_and_b32_e32 v3, 0xffff, v2
	v_mov_b32_e32 v99, 0x7f800001
	s_mov_b32 s17, exec_lo
	s_delay_alu instid0(VALU_DEP_2) | instskip(NEXT) | instid1(VALU_DEP_1)
	v_and_b32_e32 v2, 0x7f, v3
	v_cmpx_ne_u32_e32 0x7f, v2
	s_cbranch_execz .LBB370_792
; %bb.789:                              ;   in Loop: Header=BB370_10 Depth=1
	v_dual_lshrrev_b32 v4, 3, v2 :: v_dual_bitop2_b32 v16, 7, v3 bitop3:0x40
	v_cmp_gt_u32_e64 s1, 8, v2
	s_delay_alu instid0(VALU_DEP_2)
	v_mov_b64_e32 v[2:3], v[16:17]
	s_and_saveexec_b32 s18, s1
; %bb.790:                              ;   in Loop: Header=BB370_10 Depth=1
	v_clz_i32_u32_e32 v2, v16
	s_delay_alu instid0(VALU_DEP_1) | instskip(NEXT) | instid1(VALU_DEP_1)
	v_min_u32_e32 v4, 32, v2
	v_subrev_nc_u32_e32 v2, 28, v4
	s_delay_alu instid0(VALU_DEP_1) | instskip(NEXT) | instid1(VALU_DEP_1)
	v_lshlrev_b64_e32 v[2:3], v2, v[16:17]
	v_dual_sub_nc_u32 v4, 29, v4 :: v_dual_bitop2_b32 v2, 7, v2 bitop3:0x40
; %bb.791:                              ;   in Loop: Header=BB370_10 Depth=1
	s_or_b32 exec_lo, exec_lo, s18
	s_delay_alu instid0(VALU_DEP_1) | instskip(NEXT) | instid1(VALU_DEP_2)
	v_dual_lshlrev_b32 v3, 16, v0 :: v_dual_lshlrev_b32 v2, 20, v2
	v_lshl_add_u32 v4, v4, 23, 0x3c000000
	s_delay_alu instid0(VALU_DEP_2) | instskip(NEXT) | instid1(VALU_DEP_1)
	v_and_b32_e32 v3, 0x80000000, v3
	v_or3_b32 v99, v2, v3, v4
.LBB370_792:                            ;   in Loop: Header=BB370_10 Depth=1
	s_or_b32 exec_lo, exec_lo, s17
.LBB370_793:                            ;   in Loop: Header=BB370_10 Depth=1
	s_delay_alu instid0(SALU_CYCLE_1)
	s_or_b32 exec_lo, exec_lo, s16
.LBB370_794:                            ;   in Loop: Header=BB370_10 Depth=1
	s_delay_alu instid0(SALU_CYCLE_1) | instskip(SKIP_2) | instid1(VALU_DEP_1)
	s_or_b32 exec_lo, exec_lo, s11
	v_lshrrev_b32_e32 v4, 16, v0
	s_mov_b32 s11, exec_lo
	v_and_b32_e32 v2, 0xff, v4
	s_delay_alu instid0(VALU_DEP_1)
	v_cmpx_ne_u16_e32 0, v2
	s_cbranch_execz .LBB370_802
; %bb.795:                              ;   in Loop: Header=BB370_10 Depth=1
	v_bfrev_b32_e32 v100, 1
	s_mov_b32 s16, exec_lo
	v_cmpx_ne_u16_e32 0x80, v2
	s_cbranch_execz .LBB370_801
; %bb.796:                              ;   in Loop: Header=BB370_10 Depth=1
	v_bfe_u32 v2, v0, 16, 7
	v_mov_b32_e32 v100, 0x7f800001
	s_mov_b32 s17, exec_lo
	s_delay_alu instid0(VALU_DEP_2)
	v_cmpx_ne_u32_e32 0x7f, v2
	s_cbranch_execz .LBB370_800
; %bb.797:                              ;   in Loop: Header=BB370_10 Depth=1
	v_dual_lshrrev_b32 v5, 3, v2 :: v_dual_bitop2_b32 v16, 7, v4 bitop3:0x40
	v_cmp_gt_u32_e64 s1, 8, v2
	s_delay_alu instid0(VALU_DEP_2)
	v_mov_b64_e32 v[2:3], v[16:17]
	s_and_saveexec_b32 s18, s1
; %bb.798:                              ;   in Loop: Header=BB370_10 Depth=1
	v_clz_i32_u32_e32 v2, v16
	s_delay_alu instid0(VALU_DEP_1) | instskip(NEXT) | instid1(VALU_DEP_1)
	v_min_u32_e32 v5, 32, v2
	v_subrev_nc_u32_e32 v2, 28, v5
	s_delay_alu instid0(VALU_DEP_1) | instskip(NEXT) | instid1(VALU_DEP_1)
	v_lshlrev_b64_e32 v[2:3], v2, v[16:17]
	v_dual_sub_nc_u32 v5, 29, v5 :: v_dual_bitop2_b32 v2, 7, v2 bitop3:0x40
; %bb.799:                              ;   in Loop: Header=BB370_10 Depth=1
	s_or_b32 exec_lo, exec_lo, s18
	s_delay_alu instid0(VALU_DEP_1) | instskip(NEXT) | instid1(VALU_DEP_2)
	v_dual_lshlrev_b32 v3, 24, v4 :: v_dual_lshlrev_b32 v2, 20, v2
	v_lshl_add_u32 v4, v5, 23, 0x3c000000
	s_delay_alu instid0(VALU_DEP_2) | instskip(NEXT) | instid1(VALU_DEP_1)
	v_and_b32_e32 v3, 0x80000000, v3
	v_or3_b32 v100, v2, v3, v4
.LBB370_800:                            ;   in Loop: Header=BB370_10 Depth=1
	s_or_b32 exec_lo, exec_lo, s17
.LBB370_801:                            ;   in Loop: Header=BB370_10 Depth=1
	s_delay_alu instid0(SALU_CYCLE_1)
	s_or_b32 exec_lo, exec_lo, s16
.LBB370_802:                            ;   in Loop: Header=BB370_10 Depth=1
	s_delay_alu instid0(SALU_CYCLE_1)
	s_or_b32 exec_lo, exec_lo, s11
	v_dual_mov_b32 v24, 0 :: v_dual_mov_b32 v101, 0
	s_mov_b32 s11, exec_lo
	v_cmpx_lt_u32_e32 0xffffff, v0
	s_cbranch_execz .LBB370_810
; %bb.803:                              ;   in Loop: Header=BB370_10 Depth=1
	v_lshrrev_b32_e32 v4, 24, v0
	v_bfrev_b32_e32 v101, 1
	s_mov_b32 s16, exec_lo
	s_delay_alu instid0(VALU_DEP_2)
	v_cmpx_ne_u32_e32 0x80, v4
	s_cbranch_execz .LBB370_809
; %bb.804:                              ;   in Loop: Header=BB370_10 Depth=1
	v_bfe_u32 v2, v0, 24, 7
	v_mov_b32_e32 v101, 0x7f800001
	s_mov_b32 s17, exec_lo
	s_delay_alu instid0(VALU_DEP_2)
	v_cmpx_ne_u32_e32 0x7f, v2
	s_cbranch_execz .LBB370_808
; %bb.805:                              ;   in Loop: Header=BB370_10 Depth=1
	v_dual_lshrrev_b32 v5, 3, v2 :: v_dual_bitop2_b32 v16, 7, v4 bitop3:0x40
	v_cmp_gt_u32_e64 s1, 8, v2
	s_delay_alu instid0(VALU_DEP_2)
	v_mov_b64_e32 v[2:3], v[16:17]
	s_and_saveexec_b32 s18, s1
; %bb.806:                              ;   in Loop: Header=BB370_10 Depth=1
	v_clz_i32_u32_e32 v2, v16
	s_delay_alu instid0(VALU_DEP_1) | instskip(NEXT) | instid1(VALU_DEP_1)
	v_min_u32_e32 v5, 32, v2
	v_subrev_nc_u32_e32 v2, 28, v5
	s_delay_alu instid0(VALU_DEP_1) | instskip(NEXT) | instid1(VALU_DEP_1)
	v_lshlrev_b64_e32 v[2:3], v2, v[16:17]
	v_dual_sub_nc_u32 v5, 29, v5 :: v_dual_bitop2_b32 v2, 7, v2 bitop3:0x40
; %bb.807:                              ;   in Loop: Header=BB370_10 Depth=1
	s_or_b32 exec_lo, exec_lo, s18
	s_delay_alu instid0(VALU_DEP_1) | instskip(NEXT) | instid1(VALU_DEP_2)
	v_dual_lshlrev_b32 v3, 24, v4 :: v_dual_lshlrev_b32 v2, 20, v2
	v_lshl_add_u32 v4, v5, 23, 0x3c000000
	s_delay_alu instid0(VALU_DEP_2) | instskip(NEXT) | instid1(VALU_DEP_1)
	v_and_b32_e32 v3, 0x80000000, v3
	v_or3_b32 v101, v2, v3, v4
.LBB370_808:                            ;   in Loop: Header=BB370_10 Depth=1
	s_or_b32 exec_lo, exec_lo, s17
.LBB370_809:                            ;   in Loop: Header=BB370_10 Depth=1
	s_delay_alu instid0(SALU_CYCLE_1)
	s_or_b32 exec_lo, exec_lo, s16
.LBB370_810:                            ;   in Loop: Header=BB370_10 Depth=1
	s_delay_alu instid0(SALU_CYCLE_1) | instskip(SKIP_3) | instid1(VALU_DEP_2)
	s_or_b32 exec_lo, exec_lo, s11
	v_and_b32_e32 v2, 0xff, v1
	v_mov_b32_e32 v16, v1
	s_mov_b32 s11, exec_lo
	v_cmpx_ne_u16_e32 0, v2
	s_cbranch_execz .LBB370_818
; %bb.811:                              ;   in Loop: Header=BB370_10 Depth=1
	v_bfrev_b32_e32 v24, 1
	s_mov_b32 s16, exec_lo
	v_cmpx_ne_u16_e32 0x80, v2
	s_cbranch_execz .LBB370_817
; %bb.812:                              ;   in Loop: Header=BB370_10 Depth=1
	v_and_b32_e32 v2, 0x7f, v1
	v_mov_b32_e32 v24, 0x7f800001
	s_mov_b32 s17, exec_lo
	s_delay_alu instid0(VALU_DEP_2)
	v_cmpx_ne_u32_e32 0x7f, v2
	s_cbranch_execz .LBB370_816
; %bb.813:                              ;   in Loop: Header=BB370_10 Depth=1
	v_lshrrev_b32_e32 v4, 3, v2
	v_cmp_gt_u32_e64 s1, 8, v2
	v_mov_b64_e32 v[2:3], v[16:17]
	s_and_saveexec_b32 s18, s1
; %bb.814:                              ;   in Loop: Header=BB370_10 Depth=1
	v_and_b32_e32 v2, 7, v1
	s_delay_alu instid0(VALU_DEP_1) | instskip(NEXT) | instid1(VALU_DEP_1)
	v_clz_i32_u32_e32 v2, v2
	v_min_u32_e32 v4, 32, v2
	s_delay_alu instid0(VALU_DEP_1) | instskip(SKIP_1) | instid1(VALU_DEP_2)
	v_subrev_nc_u32_e32 v2, 28, v4
	v_sub_nc_u32_e32 v4, 29, v4
	v_lshlrev_b64_e32 v[2:3], v2, v[16:17]
; %bb.815:                              ;   in Loop: Header=BB370_10 Depth=1
	s_or_b32 exec_lo, exec_lo, s18
	s_delay_alu instid0(VALU_DEP_1) | instskip(NEXT) | instid1(VALU_DEP_3)
	v_dual_lshlrev_b32 v2, 20, v2 :: v_dual_lshlrev_b32 v3, 24, v16
	v_lshl_add_u32 v4, v4, 23, 0x3c000000
	s_delay_alu instid0(VALU_DEP_2) | instskip(NEXT) | instid1(VALU_DEP_3)
	v_and_b32_e32 v2, 0x700000, v2
	v_and_b32_e32 v3, 0x80000000, v3
	s_delay_alu instid0(VALU_DEP_1)
	v_or3_b32 v24, v2, v3, v4
.LBB370_816:                            ;   in Loop: Header=BB370_10 Depth=1
	s_or_b32 exec_lo, exec_lo, s17
.LBB370_817:                            ;   in Loop: Header=BB370_10 Depth=1
	s_delay_alu instid0(SALU_CYCLE_1)
	s_or_b32 exec_lo, exec_lo, s16
.LBB370_818:                            ;   in Loop: Header=BB370_10 Depth=1
	s_delay_alu instid0(SALU_CYCLE_1) | instskip(SKIP_3) | instid1(VALU_DEP_2)
	s_or_b32 exec_lo, exec_lo, s11
	v_lshrrev_b16 v2, 8, v16
	v_dual_mov_b32 v102, 0 :: v_dual_mov_b32 v25, 0
	s_mov_b32 s11, exec_lo
	v_cmpx_ne_u16_e32 0, v2
	s_cbranch_execz .LBB370_826
; %bb.819:                              ;   in Loop: Header=BB370_10 Depth=1
	v_bfrev_b32_e32 v25, 1
	s_mov_b32 s16, exec_lo
	v_cmpx_ne_u16_e32 0x80, v2
	s_cbranch_execz .LBB370_825
; %bb.820:                              ;   in Loop: Header=BB370_10 Depth=1
	v_and_b32_e32 v2, 0xffff, v2
	v_mov_b32_e32 v25, 0x7f800001
	s_mov_b32 s17, exec_lo
	s_delay_alu instid0(VALU_DEP_2) | instskip(NEXT) | instid1(VALU_DEP_1)
	v_and_b32_e32 v5, 0x7f, v2
	v_cmpx_ne_u32_e32 0x7f, v5
	s_cbranch_execz .LBB370_824
; %bb.821:                              ;   in Loop: Header=BB370_10 Depth=1
	v_dual_mov_b32 v3, v17 :: v_dual_bitop2_b32 v2, 7, v2 bitop3:0x40
	v_lshrrev_b32_e32 v4, 3, v5
	s_mov_b32 s18, exec_lo
	v_cmpx_gt_u32_e32 8, v5
; %bb.822:                              ;   in Loop: Header=BB370_10 Depth=1
	s_delay_alu instid0(VALU_DEP_3) | instskip(NEXT) | instid1(VALU_DEP_1)
	v_clz_i32_u32_e32 v4, v2
	v_min_u32_e32 v4, 32, v4
	s_delay_alu instid0(VALU_DEP_1) | instskip(NEXT) | instid1(VALU_DEP_1)
	v_subrev_nc_u32_e32 v5, 28, v4
	v_lshlrev_b64_e32 v[2:3], v5, v[2:3]
	s_delay_alu instid0(VALU_DEP_1)
	v_dual_sub_nc_u32 v4, 29, v4 :: v_dual_bitop2_b32 v2, 7, v2 bitop3:0x40
; %bb.823:                              ;   in Loop: Header=BB370_10 Depth=1
	s_or_b32 exec_lo, exec_lo, s18
	s_delay_alu instid0(VALU_DEP_1) | instskip(NEXT) | instid1(VALU_DEP_2)
	v_dual_lshlrev_b32 v3, 16, v16 :: v_dual_lshlrev_b32 v2, 20, v2
	v_lshl_add_u32 v4, v4, 23, 0x3c000000
	s_delay_alu instid0(VALU_DEP_2) | instskip(NEXT) | instid1(VALU_DEP_1)
	v_and_b32_e32 v3, 0x80000000, v3
	v_or3_b32 v25, v2, v3, v4
.LBB370_824:                            ;   in Loop: Header=BB370_10 Depth=1
	s_or_b32 exec_lo, exec_lo, s17
.LBB370_825:                            ;   in Loop: Header=BB370_10 Depth=1
	s_delay_alu instid0(SALU_CYCLE_1)
	s_or_b32 exec_lo, exec_lo, s16
.LBB370_826:                            ;   in Loop: Header=BB370_10 Depth=1
	s_delay_alu instid0(SALU_CYCLE_1) | instskip(SKIP_2) | instid1(VALU_DEP_1)
	s_or_b32 exec_lo, exec_lo, s11
	v_lshrrev_b32_e32 v4, 16, v1
	s_mov_b32 s11, exec_lo
	v_and_b32_e32 v2, 0xff, v4
	s_delay_alu instid0(VALU_DEP_1)
	v_cmpx_ne_u16_e32 0, v2
	s_cbranch_execz .LBB370_834
; %bb.827:                              ;   in Loop: Header=BB370_10 Depth=1
	v_bfrev_b32_e32 v102, 1
	s_mov_b32 s16, exec_lo
	v_cmpx_ne_u16_e32 0x80, v2
	s_cbranch_execz .LBB370_833
; %bb.828:                              ;   in Loop: Header=BB370_10 Depth=1
	v_bfe_u32 v2, v1, 16, 7
	v_mov_b32_e32 v102, 0x7f800001
	s_mov_b32 s17, exec_lo
	s_delay_alu instid0(VALU_DEP_2)
	v_cmpx_ne_u32_e32 0x7f, v2
	s_cbranch_execz .LBB370_832
; %bb.829:                              ;   in Loop: Header=BB370_10 Depth=1
	v_dual_lshrrev_b32 v5, 3, v2 :: v_dual_bitop2_b32 v16, 7, v4 bitop3:0x40
	v_cmp_gt_u32_e64 s1, 8, v2
	s_delay_alu instid0(VALU_DEP_2)
	v_mov_b64_e32 v[2:3], v[16:17]
	s_and_saveexec_b32 s18, s1
; %bb.830:                              ;   in Loop: Header=BB370_10 Depth=1
	v_clz_i32_u32_e32 v2, v16
	s_delay_alu instid0(VALU_DEP_1) | instskip(NEXT) | instid1(VALU_DEP_1)
	v_min_u32_e32 v5, 32, v2
	v_subrev_nc_u32_e32 v2, 28, v5
	s_delay_alu instid0(VALU_DEP_1) | instskip(NEXT) | instid1(VALU_DEP_1)
	v_lshlrev_b64_e32 v[2:3], v2, v[16:17]
	v_dual_sub_nc_u32 v5, 29, v5 :: v_dual_bitop2_b32 v2, 7, v2 bitop3:0x40
; %bb.831:                              ;   in Loop: Header=BB370_10 Depth=1
	s_or_b32 exec_lo, exec_lo, s18
	s_delay_alu instid0(VALU_DEP_1) | instskip(NEXT) | instid1(VALU_DEP_2)
	v_dual_lshlrev_b32 v3, 24, v4 :: v_dual_lshlrev_b32 v2, 20, v2
	v_lshl_add_u32 v4, v5, 23, 0x3c000000
	s_delay_alu instid0(VALU_DEP_2) | instskip(NEXT) | instid1(VALU_DEP_1)
	v_and_b32_e32 v3, 0x80000000, v3
	v_or3_b32 v102, v2, v3, v4
.LBB370_832:                            ;   in Loop: Header=BB370_10 Depth=1
	s_or_b32 exec_lo, exec_lo, s17
.LBB370_833:                            ;   in Loop: Header=BB370_10 Depth=1
	s_delay_alu instid0(SALU_CYCLE_1)
	s_or_b32 exec_lo, exec_lo, s16
.LBB370_834:                            ;   in Loop: Header=BB370_10 Depth=1
	s_delay_alu instid0(SALU_CYCLE_1)
	s_or_b32 exec_lo, exec_lo, s11
	v_cmp_lt_u64_e64 s1, s[2:3], v[0:1]
	v_dual_mov_b32 v0, 0 :: v_dual_mov_b32 v103, 0
	scratch_store_b32 off, v0, s32 offset:452 ; 4-byte Folded Spill
	s_wait_xcnt 0x0
	s_and_saveexec_b32 s11, s1
	s_cbranch_execz .LBB370_842
; %bb.835:                              ;   in Loop: Header=BB370_10 Depth=1
	v_lshrrev_b32_e32 v2, 24, v1
	v_bfrev_b32_e32 v103, 1
	s_mov_b32 s16, exec_lo
	s_delay_alu instid0(VALU_DEP_2)
	v_cmpx_ne_u32_e32 0x80, v2
	s_cbranch_execz .LBB370_841
; %bb.836:                              ;   in Loop: Header=BB370_10 Depth=1
	v_bfe_u32 v0, v1, 24, 7
	v_mov_b32_e32 v103, 0x7f800001
	s_mov_b32 s17, exec_lo
	s_delay_alu instid0(VALU_DEP_2)
	v_cmpx_ne_u32_e32 0x7f, v0
	s_cbranch_execz .LBB370_840
; %bb.837:                              ;   in Loop: Header=BB370_10 Depth=1
	v_dual_lshrrev_b32 v3, 3, v0 :: v_dual_bitop2_b32 v16, 7, v2 bitop3:0x40
	v_cmp_gt_u32_e64 s1, 8, v0
	s_delay_alu instid0(VALU_DEP_2)
	v_mov_b64_e32 v[0:1], v[16:17]
	s_and_saveexec_b32 s18, s1
; %bb.838:                              ;   in Loop: Header=BB370_10 Depth=1
	v_clz_i32_u32_e32 v0, v16
	s_delay_alu instid0(VALU_DEP_1) | instskip(NEXT) | instid1(VALU_DEP_1)
	v_min_u32_e32 v3, 32, v0
	v_subrev_nc_u32_e32 v0, 28, v3
	s_delay_alu instid0(VALU_DEP_1) | instskip(NEXT) | instid1(VALU_DEP_1)
	v_lshlrev_b64_e32 v[0:1], v0, v[16:17]
	v_dual_sub_nc_u32 v3, 29, v3 :: v_dual_bitop2_b32 v0, 7, v0 bitop3:0x40
; %bb.839:                              ;   in Loop: Header=BB370_10 Depth=1
	s_or_b32 exec_lo, exec_lo, s18
	s_delay_alu instid0(VALU_DEP_1) | instskip(NEXT) | instid1(VALU_DEP_2)
	v_dual_lshlrev_b32 v1, 24, v2 :: v_dual_lshlrev_b32 v0, 20, v0
	v_lshl_add_u32 v2, v3, 23, 0x3c000000
	s_delay_alu instid0(VALU_DEP_2) | instskip(NEXT) | instid1(VALU_DEP_1)
	v_and_b32_e32 v1, 0x80000000, v1
	v_or3_b32 v103, v0, v1, v2
.LBB370_840:                            ;   in Loop: Header=BB370_10 Depth=1
	s_or_b32 exec_lo, exec_lo, s17
.LBB370_841:                            ;   in Loop: Header=BB370_10 Depth=1
	s_delay_alu instid0(SALU_CYCLE_1)
	s_or_b32 exec_lo, exec_lo, s16
.LBB370_842:                            ;   in Loop: Header=BB370_10 Depth=1
	s_delay_alu instid0(SALU_CYCLE_1)
	s_or_b32 exec_lo, exec_lo, s11
	flat_load_b64 v[0:1], v[32:33] offset:3080
	s_mov_b32 s11, exec_lo
	s_wait_loadcnt_dscnt 0x0
	v_and_b32_e32 v2, 0xff, v0
	s_wait_xcnt 0x0
	s_delay_alu instid0(VALU_DEP_1)
	v_cmpx_ne_u16_e32 0, v2
	s_cbranch_execz .LBB370_850
; %bb.843:                              ;   in Loop: Header=BB370_10 Depth=1
	v_cmp_ne_u16_e64 s1, 0x80, v2
	v_bfrev_b32_e32 v2, 1
	scratch_store_b32 off, v2, s32 offset:452 ; 4-byte Folded Spill
	s_wait_xcnt 0x0
	s_and_saveexec_b32 s16, s1
	s_cbranch_execz .LBB370_849
; %bb.844:                              ;   in Loop: Header=BB370_10 Depth=1
	v_and_b32_e32 v2, 0x7f, v0
	v_mov_b32_e32 v3, 0x7f800001
	s_mov_b32 s17, exec_lo
	scratch_store_b32 off, v3, s32 offset:452 ; 4-byte Folded Spill
	s_wait_xcnt 0x0
	v_cmpx_ne_u32_e32 0x7f, v2
	s_cbranch_execz .LBB370_848
; %bb.845:                              ;   in Loop: Header=BB370_10 Depth=1
	v_lshrrev_b32_e32 v4, 3, v2
	v_cmp_gt_u32_e64 s1, 8, v2
	v_mov_b64_e32 v[2:3], v[0:1]
	s_and_saveexec_b32 s18, s1
; %bb.846:                              ;   in Loop: Header=BB370_10 Depth=1
	v_and_b32_e32 v2, 7, v0
	s_delay_alu instid0(VALU_DEP_1) | instskip(NEXT) | instid1(VALU_DEP_1)
	v_clz_i32_u32_e32 v2, v2
	v_min_u32_e32 v4, 32, v2
	s_delay_alu instid0(VALU_DEP_1) | instskip(SKIP_1) | instid1(VALU_DEP_2)
	v_subrev_nc_u32_e32 v2, 28, v4
	v_sub_nc_u32_e32 v4, 29, v4
	v_lshlrev_b64_e32 v[2:3], v2, v[0:1]
; %bb.847:                              ;   in Loop: Header=BB370_10 Depth=1
	s_or_b32 exec_lo, exec_lo, s18
	s_delay_alu instid0(VALU_DEP_1) | instskip(NEXT) | instid1(VALU_DEP_3)
	v_dual_lshlrev_b32 v2, 20, v2 :: v_dual_lshlrev_b32 v3, 24, v0
	v_lshl_add_u32 v4, v4, 23, 0x3c000000
	s_delay_alu instid0(VALU_DEP_2) | instskip(NEXT) | instid1(VALU_DEP_3)
	v_and_b32_e32 v2, 0x700000, v2
	v_and_b32_e32 v3, 0x80000000, v3
	s_delay_alu instid0(VALU_DEP_1)
	v_or3_b32 v2, v2, v3, v4
	scratch_store_b32 off, v2, s32 offset:452 ; 4-byte Folded Spill
.LBB370_848:                            ;   in Loop: Header=BB370_10 Depth=1
	s_wait_xcnt 0x0
	s_or_b32 exec_lo, exec_lo, s17
.LBB370_849:                            ;   in Loop: Header=BB370_10 Depth=1
	s_delay_alu instid0(SALU_CYCLE_1)
	s_or_b32 exec_lo, exec_lo, s16
.LBB370_850:                            ;   in Loop: Header=BB370_10 Depth=1
	s_delay_alu instid0(SALU_CYCLE_1)
	s_or_b32 exec_lo, exec_lo, s11
	v_mov_b32_e32 v3, 0
	v_lshrrev_b16 v2, 8, v0
	s_mov_b32 s11, exec_lo
	scratch_store_b32 off, v3, s32 offset:456 ; 4-byte Folded Spill
	s_wait_xcnt 0x0
	v_mov_b32_e32 v3, 0
	scratch_store_b32 off, v3, s32 offset:460 ; 4-byte Folded Spill
	s_wait_xcnt 0x0
	v_cmpx_ne_u16_e32 0, v2
	s_cbranch_execz .LBB370_858
; %bb.851:                              ;   in Loop: Header=BB370_10 Depth=1
	v_bfrev_b32_e32 v3, 1
	s_mov_b32 s16, exec_lo
	scratch_store_b32 off, v3, s32 offset:460 ; 4-byte Folded Spill
	s_wait_xcnt 0x0
	v_cmpx_ne_u16_e32 0x80, v2
	s_cbranch_execz .LBB370_857
; %bb.852:                              ;   in Loop: Header=BB370_10 Depth=1
	v_and_b32_e32 v3, 0xffff, v2
	v_mov_b32_e32 v4, 0x7f800001
	s_mov_b32 s17, exec_lo
	s_delay_alu instid0(VALU_DEP_2)
	v_and_b32_e32 v2, 0x7f, v3
	scratch_store_b32 off, v4, s32 offset:460 ; 4-byte Folded Spill
	s_wait_xcnt 0x0
	v_cmpx_ne_u32_e32 0x7f, v2
	s_cbranch_execz .LBB370_856
; %bb.853:                              ;   in Loop: Header=BB370_10 Depth=1
	v_dual_lshrrev_b32 v4, 3, v2 :: v_dual_bitop2_b32 v16, 7, v3 bitop3:0x40
	v_cmp_gt_u32_e64 s1, 8, v2
	s_delay_alu instid0(VALU_DEP_2)
	v_mov_b64_e32 v[2:3], v[16:17]
	s_and_saveexec_b32 s18, s1
; %bb.854:                              ;   in Loop: Header=BB370_10 Depth=1
	v_clz_i32_u32_e32 v2, v16
	s_delay_alu instid0(VALU_DEP_1) | instskip(NEXT) | instid1(VALU_DEP_1)
	v_min_u32_e32 v4, 32, v2
	v_subrev_nc_u32_e32 v2, 28, v4
	s_delay_alu instid0(VALU_DEP_1) | instskip(NEXT) | instid1(VALU_DEP_1)
	v_lshlrev_b64_e32 v[2:3], v2, v[16:17]
	v_dual_sub_nc_u32 v4, 29, v4 :: v_dual_bitop2_b32 v2, 7, v2 bitop3:0x40
; %bb.855:                              ;   in Loop: Header=BB370_10 Depth=1
	s_or_b32 exec_lo, exec_lo, s18
	s_delay_alu instid0(VALU_DEP_1) | instskip(NEXT) | instid1(VALU_DEP_2)
	v_dual_lshlrev_b32 v3, 16, v0 :: v_dual_lshlrev_b32 v2, 20, v2
	v_lshl_add_u32 v4, v4, 23, 0x3c000000
	s_delay_alu instid0(VALU_DEP_2) | instskip(NEXT) | instid1(VALU_DEP_1)
	v_and_b32_e32 v3, 0x80000000, v3
	v_or3_b32 v2, v2, v3, v4
	scratch_store_b32 off, v2, s32 offset:460 ; 4-byte Folded Spill
.LBB370_856:                            ;   in Loop: Header=BB370_10 Depth=1
	s_wait_xcnt 0x0
	s_or_b32 exec_lo, exec_lo, s17
.LBB370_857:                            ;   in Loop: Header=BB370_10 Depth=1
	s_delay_alu instid0(SALU_CYCLE_1)
	s_or_b32 exec_lo, exec_lo, s16
.LBB370_858:                            ;   in Loop: Header=BB370_10 Depth=1
	s_delay_alu instid0(SALU_CYCLE_1) | instskip(SKIP_2) | instid1(VALU_DEP_1)
	s_or_b32 exec_lo, exec_lo, s11
	v_lshrrev_b32_e32 v4, 16, v0
	s_mov_b32 s11, exec_lo
	v_and_b32_e32 v2, 0xff, v4
	s_delay_alu instid0(VALU_DEP_1)
	v_cmpx_ne_u16_e32 0, v2
	s_cbranch_execz .LBB370_866
; %bb.859:                              ;   in Loop: Header=BB370_10 Depth=1
	v_cmp_ne_u16_e64 s1, 0x80, v2
	v_bfrev_b32_e32 v2, 1
	scratch_store_b32 off, v2, s32 offset:456 ; 4-byte Folded Spill
	s_wait_xcnt 0x0
	s_and_saveexec_b32 s16, s1
	s_cbranch_execz .LBB370_865
; %bb.860:                              ;   in Loop: Header=BB370_10 Depth=1
	v_bfe_u32 v2, v0, 16, 7
	v_mov_b32_e32 v3, 0x7f800001
	s_mov_b32 s17, exec_lo
	scratch_store_b32 off, v3, s32 offset:456 ; 4-byte Folded Spill
	s_wait_xcnt 0x0
	v_cmpx_ne_u32_e32 0x7f, v2
	s_cbranch_execz .LBB370_864
; %bb.861:                              ;   in Loop: Header=BB370_10 Depth=1
	v_dual_lshrrev_b32 v5, 3, v2 :: v_dual_bitop2_b32 v16, 7, v4 bitop3:0x40
	v_cmp_gt_u32_e64 s1, 8, v2
	s_delay_alu instid0(VALU_DEP_2)
	v_mov_b64_e32 v[2:3], v[16:17]
	s_and_saveexec_b32 s18, s1
; %bb.862:                              ;   in Loop: Header=BB370_10 Depth=1
	v_clz_i32_u32_e32 v2, v16
	s_delay_alu instid0(VALU_DEP_1) | instskip(NEXT) | instid1(VALU_DEP_1)
	v_min_u32_e32 v5, 32, v2
	v_subrev_nc_u32_e32 v2, 28, v5
	s_delay_alu instid0(VALU_DEP_1) | instskip(NEXT) | instid1(VALU_DEP_1)
	v_lshlrev_b64_e32 v[2:3], v2, v[16:17]
	v_dual_sub_nc_u32 v5, 29, v5 :: v_dual_bitop2_b32 v2, 7, v2 bitop3:0x40
; %bb.863:                              ;   in Loop: Header=BB370_10 Depth=1
	s_or_b32 exec_lo, exec_lo, s18
	s_delay_alu instid0(VALU_DEP_1) | instskip(NEXT) | instid1(VALU_DEP_2)
	v_dual_lshlrev_b32 v3, 24, v4 :: v_dual_lshlrev_b32 v2, 20, v2
	v_lshl_add_u32 v4, v5, 23, 0x3c000000
	s_delay_alu instid0(VALU_DEP_2) | instskip(NEXT) | instid1(VALU_DEP_1)
	v_and_b32_e32 v3, 0x80000000, v3
	v_or3_b32 v2, v2, v3, v4
	scratch_store_b32 off, v2, s32 offset:456 ; 4-byte Folded Spill
.LBB370_864:                            ;   in Loop: Header=BB370_10 Depth=1
	s_wait_xcnt 0x0
	s_or_b32 exec_lo, exec_lo, s17
.LBB370_865:                            ;   in Loop: Header=BB370_10 Depth=1
	s_delay_alu instid0(SALU_CYCLE_1)
	s_or_b32 exec_lo, exec_lo, s16
.LBB370_866:                            ;   in Loop: Header=BB370_10 Depth=1
	s_delay_alu instid0(SALU_CYCLE_1)
	s_or_b32 exec_lo, exec_lo, s11
	v_mov_b32_e32 v2, 0
	s_mov_b32 s11, exec_lo
	scratch_store_b32 off, v2, s32 offset:468 ; 4-byte Folded Spill
	s_wait_xcnt 0x0
	v_mov_b32_e32 v2, 0
	scratch_store_b32 off, v2, s32 offset:472 ; 4-byte Folded Spill
	s_wait_xcnt 0x0
	v_cmpx_lt_u32_e32 0xffffff, v0
	s_cbranch_execz .LBB370_874
; %bb.867:                              ;   in Loop: Header=BB370_10 Depth=1
	v_lshrrev_b32_e32 v4, 24, v0
	v_bfrev_b32_e32 v2, 1
	s_mov_b32 s16, exec_lo
	scratch_store_b32 off, v2, s32 offset:472 ; 4-byte Folded Spill
	s_wait_xcnt 0x0
	v_cmpx_ne_u32_e32 0x80, v4
	s_cbranch_execz .LBB370_873
; %bb.868:                              ;   in Loop: Header=BB370_10 Depth=1
	v_bfe_u32 v2, v0, 24, 7
	v_mov_b32_e32 v3, 0x7f800001
	s_mov_b32 s17, exec_lo
	scratch_store_b32 off, v3, s32 offset:472 ; 4-byte Folded Spill
	s_wait_xcnt 0x0
	v_cmpx_ne_u32_e32 0x7f, v2
	s_cbranch_execz .LBB370_872
; %bb.869:                              ;   in Loop: Header=BB370_10 Depth=1
	v_dual_lshrrev_b32 v5, 3, v2 :: v_dual_bitop2_b32 v16, 7, v4 bitop3:0x40
	v_cmp_gt_u32_e64 s1, 8, v2
	s_delay_alu instid0(VALU_DEP_2)
	v_mov_b64_e32 v[2:3], v[16:17]
	s_and_saveexec_b32 s18, s1
; %bb.870:                              ;   in Loop: Header=BB370_10 Depth=1
	v_clz_i32_u32_e32 v2, v16
	s_delay_alu instid0(VALU_DEP_1) | instskip(NEXT) | instid1(VALU_DEP_1)
	v_min_u32_e32 v5, 32, v2
	v_subrev_nc_u32_e32 v2, 28, v5
	s_delay_alu instid0(VALU_DEP_1) | instskip(NEXT) | instid1(VALU_DEP_1)
	v_lshlrev_b64_e32 v[2:3], v2, v[16:17]
	v_dual_sub_nc_u32 v5, 29, v5 :: v_dual_bitop2_b32 v2, 7, v2 bitop3:0x40
; %bb.871:                              ;   in Loop: Header=BB370_10 Depth=1
	s_or_b32 exec_lo, exec_lo, s18
	s_delay_alu instid0(VALU_DEP_1) | instskip(NEXT) | instid1(VALU_DEP_2)
	v_dual_lshlrev_b32 v3, 24, v4 :: v_dual_lshlrev_b32 v2, 20, v2
	v_lshl_add_u32 v4, v5, 23, 0x3c000000
	s_delay_alu instid0(VALU_DEP_2) | instskip(NEXT) | instid1(VALU_DEP_1)
	v_and_b32_e32 v3, 0x80000000, v3
	v_or3_b32 v2, v2, v3, v4
	scratch_store_b32 off, v2, s32 offset:472 ; 4-byte Folded Spill
.LBB370_872:                            ;   in Loop: Header=BB370_10 Depth=1
	s_wait_xcnt 0x0
	s_or_b32 exec_lo, exec_lo, s17
.LBB370_873:                            ;   in Loop: Header=BB370_10 Depth=1
	s_delay_alu instid0(SALU_CYCLE_1)
	s_or_b32 exec_lo, exec_lo, s16
.LBB370_874:                            ;   in Loop: Header=BB370_10 Depth=1
	s_delay_alu instid0(SALU_CYCLE_1) | instskip(SKIP_3) | instid1(VALU_DEP_2)
	s_or_b32 exec_lo, exec_lo, s11
	v_and_b32_e32 v2, 0xff, v1
	v_mov_b32_e32 v16, v1
	s_mov_b32 s11, exec_lo
	v_cmpx_ne_u16_e32 0, v2
	s_cbranch_execz .LBB370_882
; %bb.875:                              ;   in Loop: Header=BB370_10 Depth=1
	v_cmp_ne_u16_e64 s1, 0x80, v2
	v_bfrev_b32_e32 v2, 1
	scratch_store_b32 off, v2, s32 offset:468 ; 4-byte Folded Spill
	s_wait_xcnt 0x0
	s_and_saveexec_b32 s16, s1
	s_cbranch_execz .LBB370_881
; %bb.876:                              ;   in Loop: Header=BB370_10 Depth=1
	v_and_b32_e32 v2, 0x7f, v1
	v_mov_b32_e32 v3, 0x7f800001
	s_mov_b32 s17, exec_lo
	scratch_store_b32 off, v3, s32 offset:468 ; 4-byte Folded Spill
	s_wait_xcnt 0x0
	v_cmpx_ne_u32_e32 0x7f, v2
	s_cbranch_execz .LBB370_880
; %bb.877:                              ;   in Loop: Header=BB370_10 Depth=1
	v_lshrrev_b32_e32 v4, 3, v2
	v_cmp_gt_u32_e64 s1, 8, v2
	v_mov_b64_e32 v[2:3], v[16:17]
	s_and_saveexec_b32 s18, s1
; %bb.878:                              ;   in Loop: Header=BB370_10 Depth=1
	v_and_b32_e32 v2, 7, v1
	s_delay_alu instid0(VALU_DEP_1) | instskip(NEXT) | instid1(VALU_DEP_1)
	v_clz_i32_u32_e32 v2, v2
	v_min_u32_e32 v4, 32, v2
	s_delay_alu instid0(VALU_DEP_1) | instskip(SKIP_1) | instid1(VALU_DEP_2)
	v_subrev_nc_u32_e32 v2, 28, v4
	v_sub_nc_u32_e32 v4, 29, v4
	v_lshlrev_b64_e32 v[2:3], v2, v[16:17]
; %bb.879:                              ;   in Loop: Header=BB370_10 Depth=1
	s_or_b32 exec_lo, exec_lo, s18
	s_delay_alu instid0(VALU_DEP_1) | instskip(NEXT) | instid1(VALU_DEP_3)
	v_dual_lshlrev_b32 v2, 20, v2 :: v_dual_lshlrev_b32 v3, 24, v16
	v_lshl_add_u32 v4, v4, 23, 0x3c000000
	s_delay_alu instid0(VALU_DEP_2) | instskip(NEXT) | instid1(VALU_DEP_3)
	v_and_b32_e32 v2, 0x700000, v2
	v_and_b32_e32 v3, 0x80000000, v3
	s_delay_alu instid0(VALU_DEP_1)
	v_or3_b32 v2, v2, v3, v4
	scratch_store_b32 off, v2, s32 offset:468 ; 4-byte Folded Spill
.LBB370_880:                            ;   in Loop: Header=BB370_10 Depth=1
	s_wait_xcnt 0x0
	s_or_b32 exec_lo, exec_lo, s17
.LBB370_881:                            ;   in Loop: Header=BB370_10 Depth=1
	s_delay_alu instid0(SALU_CYCLE_1)
	s_or_b32 exec_lo, exec_lo, s16
.LBB370_882:                            ;   in Loop: Header=BB370_10 Depth=1
	s_delay_alu instid0(SALU_CYCLE_1)
	s_or_b32 exec_lo, exec_lo, s11
	v_mov_b32_e32 v3, 0
	v_lshrrev_b16 v2, 8, v16
	s_mov_b32 s11, exec_lo
	scratch_store_b32 off, v3, s32 offset:480 ; 4-byte Folded Spill
	s_wait_xcnt 0x0
	v_mov_b32_e32 v3, 0
	scratch_store_b32 off, v3, s32 offset:484 ; 4-byte Folded Spill
	s_wait_xcnt 0x0
	v_cmpx_ne_u16_e32 0, v2
	s_cbranch_execz .LBB370_890
; %bb.883:                              ;   in Loop: Header=BB370_10 Depth=1
	v_bfrev_b32_e32 v3, 1
	s_mov_b32 s16, exec_lo
	scratch_store_b32 off, v3, s32 offset:484 ; 4-byte Folded Spill
	s_wait_xcnt 0x0
	v_cmpx_ne_u16_e32 0x80, v2
	s_cbranch_execz .LBB370_889
; %bb.884:                              ;   in Loop: Header=BB370_10 Depth=1
	v_and_b32_e32 v2, 0xffff, v2
	v_mov_b32_e32 v3, 0x7f800001
	s_mov_b32 s17, exec_lo
	s_delay_alu instid0(VALU_DEP_2)
	v_and_b32_e32 v5, 0x7f, v2
	scratch_store_b32 off, v3, s32 offset:484 ; 4-byte Folded Spill
	s_wait_xcnt 0x0
	v_cmpx_ne_u32_e32 0x7f, v5
	s_cbranch_execz .LBB370_888
; %bb.885:                              ;   in Loop: Header=BB370_10 Depth=1
	v_dual_mov_b32 v3, v17 :: v_dual_bitop2_b32 v2, 7, v2 bitop3:0x40
	v_lshrrev_b32_e32 v4, 3, v5
	s_mov_b32 s18, exec_lo
	v_cmpx_gt_u32_e32 8, v5
; %bb.886:                              ;   in Loop: Header=BB370_10 Depth=1
	s_delay_alu instid0(VALU_DEP_3) | instskip(NEXT) | instid1(VALU_DEP_1)
	v_clz_i32_u32_e32 v4, v2
	v_min_u32_e32 v4, 32, v4
	s_delay_alu instid0(VALU_DEP_1) | instskip(NEXT) | instid1(VALU_DEP_1)
	v_subrev_nc_u32_e32 v5, 28, v4
	v_lshlrev_b64_e32 v[2:3], v5, v[2:3]
	s_delay_alu instid0(VALU_DEP_1)
	v_dual_sub_nc_u32 v4, 29, v4 :: v_dual_bitop2_b32 v2, 7, v2 bitop3:0x40
; %bb.887:                              ;   in Loop: Header=BB370_10 Depth=1
	s_or_b32 exec_lo, exec_lo, s18
	s_delay_alu instid0(VALU_DEP_1) | instskip(NEXT) | instid1(VALU_DEP_2)
	v_dual_lshlrev_b32 v3, 16, v16 :: v_dual_lshlrev_b32 v2, 20, v2
	v_lshl_add_u32 v4, v4, 23, 0x3c000000
	s_delay_alu instid0(VALU_DEP_2) | instskip(NEXT) | instid1(VALU_DEP_1)
	v_and_b32_e32 v3, 0x80000000, v3
	v_or3_b32 v2, v2, v3, v4
	scratch_store_b32 off, v2, s32 offset:484 ; 4-byte Folded Spill
.LBB370_888:                            ;   in Loop: Header=BB370_10 Depth=1
	s_wait_xcnt 0x0
	s_or_b32 exec_lo, exec_lo, s17
.LBB370_889:                            ;   in Loop: Header=BB370_10 Depth=1
	s_delay_alu instid0(SALU_CYCLE_1)
	s_or_b32 exec_lo, exec_lo, s16
.LBB370_890:                            ;   in Loop: Header=BB370_10 Depth=1
	s_delay_alu instid0(SALU_CYCLE_1) | instskip(SKIP_2) | instid1(VALU_DEP_1)
	s_or_b32 exec_lo, exec_lo, s11
	v_lshrrev_b32_e32 v4, 16, v1
	s_mov_b32 s11, exec_lo
	v_and_b32_e32 v2, 0xff, v4
	s_delay_alu instid0(VALU_DEP_1)
	v_cmpx_ne_u16_e32 0, v2
	s_cbranch_execz .LBB370_898
; %bb.891:                              ;   in Loop: Header=BB370_10 Depth=1
	v_cmp_ne_u16_e64 s1, 0x80, v2
	v_bfrev_b32_e32 v2, 1
	scratch_store_b32 off, v2, s32 offset:480 ; 4-byte Folded Spill
	s_wait_xcnt 0x0
	s_and_saveexec_b32 s16, s1
	s_cbranch_execz .LBB370_897
; %bb.892:                              ;   in Loop: Header=BB370_10 Depth=1
	v_bfe_u32 v2, v1, 16, 7
	v_mov_b32_e32 v3, 0x7f800001
	s_mov_b32 s17, exec_lo
	scratch_store_b32 off, v3, s32 offset:480 ; 4-byte Folded Spill
	s_wait_xcnt 0x0
	v_cmpx_ne_u32_e32 0x7f, v2
	s_cbranch_execz .LBB370_896
; %bb.893:                              ;   in Loop: Header=BB370_10 Depth=1
	v_dual_lshrrev_b32 v5, 3, v2 :: v_dual_bitop2_b32 v16, 7, v4 bitop3:0x40
	v_cmp_gt_u32_e64 s1, 8, v2
	s_delay_alu instid0(VALU_DEP_2)
	v_mov_b64_e32 v[2:3], v[16:17]
	s_and_saveexec_b32 s18, s1
; %bb.894:                              ;   in Loop: Header=BB370_10 Depth=1
	v_clz_i32_u32_e32 v2, v16
	s_delay_alu instid0(VALU_DEP_1) | instskip(NEXT) | instid1(VALU_DEP_1)
	v_min_u32_e32 v5, 32, v2
	v_subrev_nc_u32_e32 v2, 28, v5
	s_delay_alu instid0(VALU_DEP_1) | instskip(NEXT) | instid1(VALU_DEP_1)
	v_lshlrev_b64_e32 v[2:3], v2, v[16:17]
	v_dual_sub_nc_u32 v5, 29, v5 :: v_dual_bitop2_b32 v2, 7, v2 bitop3:0x40
; %bb.895:                              ;   in Loop: Header=BB370_10 Depth=1
	s_or_b32 exec_lo, exec_lo, s18
	s_delay_alu instid0(VALU_DEP_1) | instskip(NEXT) | instid1(VALU_DEP_2)
	v_dual_lshlrev_b32 v3, 24, v4 :: v_dual_lshlrev_b32 v2, 20, v2
	v_lshl_add_u32 v4, v5, 23, 0x3c000000
	s_delay_alu instid0(VALU_DEP_2) | instskip(NEXT) | instid1(VALU_DEP_1)
	v_and_b32_e32 v3, 0x80000000, v3
	v_or3_b32 v2, v2, v3, v4
	scratch_store_b32 off, v2, s32 offset:480 ; 4-byte Folded Spill
.LBB370_896:                            ;   in Loop: Header=BB370_10 Depth=1
	s_wait_xcnt 0x0
	s_or_b32 exec_lo, exec_lo, s17
.LBB370_897:                            ;   in Loop: Header=BB370_10 Depth=1
	s_delay_alu instid0(SALU_CYCLE_1)
	s_or_b32 exec_lo, exec_lo, s16
.LBB370_898:                            ;   in Loop: Header=BB370_10 Depth=1
	s_delay_alu instid0(SALU_CYCLE_1)
	s_or_b32 exec_lo, exec_lo, s11
	v_cmp_lt_u64_e64 s1, s[2:3], v[0:1]
	v_mov_b32_e32 v0, 0
	scratch_store_b32 off, v0, s32 offset:488 ; 4-byte Folded Spill
	s_wait_xcnt 0x0
	v_mov_b32_e32 v0, 0
	scratch_store_b32 off, v0, s32 offset:500 ; 4-byte Folded Spill
	s_wait_xcnt 0x0
	s_and_saveexec_b32 s11, s1
	s_cbranch_execz .LBB370_906
; %bb.899:                              ;   in Loop: Header=BB370_10 Depth=1
	v_lshrrev_b32_e32 v2, 24, v1
	v_bfrev_b32_e32 v0, 1
	s_mov_b32 s16, exec_lo
	scratch_store_b32 off, v0, s32 offset:500 ; 4-byte Folded Spill
	s_wait_xcnt 0x0
	v_cmpx_ne_u32_e32 0x80, v2
	s_cbranch_execz .LBB370_905
; %bb.900:                              ;   in Loop: Header=BB370_10 Depth=1
	v_bfe_u32 v0, v1, 24, 7
	v_mov_b32_e32 v1, 0x7f800001
	s_mov_b32 s17, exec_lo
	s_delay_alu instid0(VALU_DEP_2)
	v_cmpx_ne_u32_e32 0x7f, v0
	s_cbranch_execz .LBB370_904
; %bb.901:                              ;   in Loop: Header=BB370_10 Depth=1
	v_dual_lshrrev_b32 v3, 3, v0 :: v_dual_bitop2_b32 v16, 7, v2 bitop3:0x40
	v_cmp_gt_u32_e64 s1, 8, v0
	s_delay_alu instid0(VALU_DEP_2)
	v_mov_b64_e32 v[0:1], v[16:17]
	s_and_saveexec_b32 s18, s1
; %bb.902:                              ;   in Loop: Header=BB370_10 Depth=1
	v_clz_i32_u32_e32 v0, v16
	s_delay_alu instid0(VALU_DEP_1) | instskip(NEXT) | instid1(VALU_DEP_1)
	v_min_u32_e32 v3, 32, v0
	v_subrev_nc_u32_e32 v0, 28, v3
	s_delay_alu instid0(VALU_DEP_1) | instskip(NEXT) | instid1(VALU_DEP_1)
	v_lshlrev_b64_e32 v[0:1], v0, v[16:17]
	v_dual_sub_nc_u32 v3, 29, v3 :: v_dual_bitop2_b32 v0, 7, v0 bitop3:0x40
; %bb.903:                              ;   in Loop: Header=BB370_10 Depth=1
	s_or_b32 exec_lo, exec_lo, s18
	s_delay_alu instid0(VALU_DEP_1) | instskip(NEXT) | instid1(VALU_DEP_2)
	v_dual_lshlrev_b32 v1, 24, v2 :: v_dual_lshlrev_b32 v0, 20, v0
	v_lshl_add_u32 v2, v3, 23, 0x3c000000
	s_delay_alu instid0(VALU_DEP_2) | instskip(NEXT) | instid1(VALU_DEP_1)
	v_and_b32_e32 v1, 0x80000000, v1
	v_or3_b32 v1, v0, v1, v2
.LBB370_904:                            ;   in Loop: Header=BB370_10 Depth=1
	s_or_b32 exec_lo, exec_lo, s17
	scratch_store_b32 off, v1, s32 offset:500 ; 4-byte Folded Spill
.LBB370_905:                            ;   in Loop: Header=BB370_10 Depth=1
	s_wait_xcnt 0x0
	s_or_b32 exec_lo, exec_lo, s16
.LBB370_906:                            ;   in Loop: Header=BB370_10 Depth=1
	s_delay_alu instid0(SALU_CYCLE_1)
	s_or_b32 exec_lo, exec_lo, s11
	flat_load_b64 v[0:1], v[32:33] offset:3584
	s_mov_b32 s11, exec_lo
	s_wait_loadcnt_dscnt 0x0
	v_and_b32_e32 v2, 0xff, v0
	s_wait_xcnt 0x0
	s_delay_alu instid0(VALU_DEP_1)
	v_cmpx_ne_u16_e32 0, v2
	s_cbranch_execz .LBB370_914
; %bb.907:                              ;   in Loop: Header=BB370_10 Depth=1
	v_cmp_ne_u16_e64 s1, 0x80, v2
	v_bfrev_b32_e32 v2, 1
	scratch_store_b32 off, v2, s32 offset:488 ; 4-byte Folded Spill
	s_wait_xcnt 0x0
	s_and_saveexec_b32 s16, s1
	s_cbranch_execz .LBB370_913
; %bb.908:                              ;   in Loop: Header=BB370_10 Depth=1
	v_and_b32_e32 v2, 0x7f, v0
	v_mov_b32_e32 v3, 0x7f800001
	s_mov_b32 s17, exec_lo
	scratch_store_b32 off, v3, s32 offset:488 ; 4-byte Folded Spill
	s_wait_xcnt 0x0
	v_cmpx_ne_u32_e32 0x7f, v2
	s_cbranch_execz .LBB370_912
; %bb.909:                              ;   in Loop: Header=BB370_10 Depth=1
	v_lshrrev_b32_e32 v4, 3, v2
	v_cmp_gt_u32_e64 s1, 8, v2
	v_mov_b64_e32 v[2:3], v[0:1]
	s_and_saveexec_b32 s18, s1
; %bb.910:                              ;   in Loop: Header=BB370_10 Depth=1
	v_and_b32_e32 v2, 7, v0
	s_delay_alu instid0(VALU_DEP_1) | instskip(NEXT) | instid1(VALU_DEP_1)
	v_clz_i32_u32_e32 v2, v2
	v_min_u32_e32 v4, 32, v2
	s_delay_alu instid0(VALU_DEP_1) | instskip(SKIP_1) | instid1(VALU_DEP_2)
	v_subrev_nc_u32_e32 v2, 28, v4
	v_sub_nc_u32_e32 v4, 29, v4
	v_lshlrev_b64_e32 v[2:3], v2, v[0:1]
; %bb.911:                              ;   in Loop: Header=BB370_10 Depth=1
	s_or_b32 exec_lo, exec_lo, s18
	s_delay_alu instid0(VALU_DEP_1) | instskip(NEXT) | instid1(VALU_DEP_3)
	v_dual_lshlrev_b32 v2, 20, v2 :: v_dual_lshlrev_b32 v3, 24, v0
	v_lshl_add_u32 v4, v4, 23, 0x3c000000
	s_delay_alu instid0(VALU_DEP_2) | instskip(NEXT) | instid1(VALU_DEP_3)
	v_and_b32_e32 v2, 0x700000, v2
	v_and_b32_e32 v3, 0x80000000, v3
	s_delay_alu instid0(VALU_DEP_1)
	v_or3_b32 v2, v2, v3, v4
	scratch_store_b32 off, v2, s32 offset:488 ; 4-byte Folded Spill
.LBB370_912:                            ;   in Loop: Header=BB370_10 Depth=1
	s_wait_xcnt 0x0
	s_or_b32 exec_lo, exec_lo, s17
.LBB370_913:                            ;   in Loop: Header=BB370_10 Depth=1
	s_delay_alu instid0(SALU_CYCLE_1)
	s_or_b32 exec_lo, exec_lo, s16
.LBB370_914:                            ;   in Loop: Header=BB370_10 Depth=1
	s_delay_alu instid0(SALU_CYCLE_1) | instskip(SKIP_3) | instid1(VALU_DEP_2)
	s_or_b32 exec_lo, exec_lo, s11
	v_lshrrev_b16 v2, 8, v0
	v_dual_mov_b32 v57, 0 :: v_dual_mov_b32 v60, 0
	s_mov_b32 s11, exec_lo
	v_cmpx_ne_u16_e32 0, v2
	s_cbranch_execz .LBB370_922
; %bb.915:                              ;   in Loop: Header=BB370_10 Depth=1
	v_bfrev_b32_e32 v60, 1
	s_mov_b32 s16, exec_lo
	v_cmpx_ne_u16_e32 0x80, v2
	s_cbranch_execz .LBB370_921
; %bb.916:                              ;   in Loop: Header=BB370_10 Depth=1
	v_and_b32_e32 v3, 0xffff, v2
	v_mov_b32_e32 v60, 0x7f800001
	s_mov_b32 s17, exec_lo
	s_delay_alu instid0(VALU_DEP_2) | instskip(NEXT) | instid1(VALU_DEP_1)
	v_and_b32_e32 v2, 0x7f, v3
	v_cmpx_ne_u32_e32 0x7f, v2
	s_cbranch_execz .LBB370_920
; %bb.917:                              ;   in Loop: Header=BB370_10 Depth=1
	v_dual_lshrrev_b32 v4, 3, v2 :: v_dual_bitop2_b32 v16, 7, v3 bitop3:0x40
	v_cmp_gt_u32_e64 s1, 8, v2
	s_delay_alu instid0(VALU_DEP_2)
	v_mov_b64_e32 v[2:3], v[16:17]
	s_and_saveexec_b32 s18, s1
; %bb.918:                              ;   in Loop: Header=BB370_10 Depth=1
	v_clz_i32_u32_e32 v2, v16
	s_delay_alu instid0(VALU_DEP_1) | instskip(NEXT) | instid1(VALU_DEP_1)
	v_min_u32_e32 v4, 32, v2
	v_subrev_nc_u32_e32 v2, 28, v4
	s_delay_alu instid0(VALU_DEP_1) | instskip(NEXT) | instid1(VALU_DEP_1)
	v_lshlrev_b64_e32 v[2:3], v2, v[16:17]
	v_dual_sub_nc_u32 v4, 29, v4 :: v_dual_bitop2_b32 v2, 7, v2 bitop3:0x40
; %bb.919:                              ;   in Loop: Header=BB370_10 Depth=1
	s_or_b32 exec_lo, exec_lo, s18
	s_delay_alu instid0(VALU_DEP_1) | instskip(NEXT) | instid1(VALU_DEP_2)
	v_dual_lshlrev_b32 v3, 16, v0 :: v_dual_lshlrev_b32 v2, 20, v2
	v_lshl_add_u32 v4, v4, 23, 0x3c000000
	s_delay_alu instid0(VALU_DEP_2) | instskip(NEXT) | instid1(VALU_DEP_1)
	v_and_b32_e32 v3, 0x80000000, v3
	v_or3_b32 v60, v2, v3, v4
.LBB370_920:                            ;   in Loop: Header=BB370_10 Depth=1
	s_or_b32 exec_lo, exec_lo, s17
.LBB370_921:                            ;   in Loop: Header=BB370_10 Depth=1
	s_delay_alu instid0(SALU_CYCLE_1)
	s_or_b32 exec_lo, exec_lo, s16
.LBB370_922:                            ;   in Loop: Header=BB370_10 Depth=1
	s_delay_alu instid0(SALU_CYCLE_1) | instskip(SKIP_2) | instid1(VALU_DEP_1)
	s_or_b32 exec_lo, exec_lo, s11
	v_lshrrev_b32_e32 v4, 16, v0
	s_mov_b32 s11, exec_lo
	v_and_b32_e32 v2, 0xff, v4
	s_delay_alu instid0(VALU_DEP_1)
	v_cmpx_ne_u16_e32 0, v2
	s_cbranch_execz .LBB370_930
; %bb.923:                              ;   in Loop: Header=BB370_10 Depth=1
	v_bfrev_b32_e32 v57, 1
	s_mov_b32 s16, exec_lo
	v_cmpx_ne_u16_e32 0x80, v2
	s_cbranch_execz .LBB370_929
; %bb.924:                              ;   in Loop: Header=BB370_10 Depth=1
	v_bfe_u32 v2, v0, 16, 7
	v_mov_b32_e32 v57, 0x7f800001
	s_mov_b32 s17, exec_lo
	s_delay_alu instid0(VALU_DEP_2)
	v_cmpx_ne_u32_e32 0x7f, v2
	s_cbranch_execz .LBB370_928
; %bb.925:                              ;   in Loop: Header=BB370_10 Depth=1
	v_dual_lshrrev_b32 v5, 3, v2 :: v_dual_bitop2_b32 v16, 7, v4 bitop3:0x40
	v_cmp_gt_u32_e64 s1, 8, v2
	s_delay_alu instid0(VALU_DEP_2)
	v_mov_b64_e32 v[2:3], v[16:17]
	s_and_saveexec_b32 s18, s1
; %bb.926:                              ;   in Loop: Header=BB370_10 Depth=1
	v_clz_i32_u32_e32 v2, v16
	s_delay_alu instid0(VALU_DEP_1) | instskip(NEXT) | instid1(VALU_DEP_1)
	v_min_u32_e32 v5, 32, v2
	v_subrev_nc_u32_e32 v2, 28, v5
	s_delay_alu instid0(VALU_DEP_1) | instskip(NEXT) | instid1(VALU_DEP_1)
	v_lshlrev_b64_e32 v[2:3], v2, v[16:17]
	v_dual_sub_nc_u32 v5, 29, v5 :: v_dual_bitop2_b32 v2, 7, v2 bitop3:0x40
; %bb.927:                              ;   in Loop: Header=BB370_10 Depth=1
	s_or_b32 exec_lo, exec_lo, s18
	s_delay_alu instid0(VALU_DEP_1) | instskip(NEXT) | instid1(VALU_DEP_2)
	v_dual_lshlrev_b32 v3, 24, v4 :: v_dual_lshlrev_b32 v2, 20, v2
	v_lshl_add_u32 v4, v5, 23, 0x3c000000
	s_delay_alu instid0(VALU_DEP_2) | instskip(NEXT) | instid1(VALU_DEP_1)
	v_and_b32_e32 v3, 0x80000000, v3
	v_or3_b32 v57, v2, v3, v4
.LBB370_928:                            ;   in Loop: Header=BB370_10 Depth=1
	s_or_b32 exec_lo, exec_lo, s17
.LBB370_929:                            ;   in Loop: Header=BB370_10 Depth=1
	s_delay_alu instid0(SALU_CYCLE_1)
	s_or_b32 exec_lo, exec_lo, s16
.LBB370_930:                            ;   in Loop: Header=BB370_10 Depth=1
	s_delay_alu instid0(SALU_CYCLE_1)
	s_or_b32 exec_lo, exec_lo, s11
	v_dual_mov_b32 v46, 0 :: v_dual_mov_b32 v72, 0
	s_mov_b32 s11, exec_lo
	v_cmpx_lt_u32_e32 0xffffff, v0
	s_cbranch_execz .LBB370_938
; %bb.931:                              ;   in Loop: Header=BB370_10 Depth=1
	v_lshrrev_b32_e32 v4, 24, v0
	v_bfrev_b32_e32 v72, 1
	s_mov_b32 s16, exec_lo
	s_delay_alu instid0(VALU_DEP_2)
	v_cmpx_ne_u32_e32 0x80, v4
	s_cbranch_execz .LBB370_937
; %bb.932:                              ;   in Loop: Header=BB370_10 Depth=1
	v_bfe_u32 v2, v0, 24, 7
	v_mov_b32_e32 v72, 0x7f800001
	s_mov_b32 s17, exec_lo
	s_delay_alu instid0(VALU_DEP_2)
	v_cmpx_ne_u32_e32 0x7f, v2
	s_cbranch_execz .LBB370_936
; %bb.933:                              ;   in Loop: Header=BB370_10 Depth=1
	v_dual_lshrrev_b32 v5, 3, v2 :: v_dual_bitop2_b32 v16, 7, v4 bitop3:0x40
	v_cmp_gt_u32_e64 s1, 8, v2
	s_delay_alu instid0(VALU_DEP_2)
	v_mov_b64_e32 v[2:3], v[16:17]
	s_and_saveexec_b32 s18, s1
; %bb.934:                              ;   in Loop: Header=BB370_10 Depth=1
	v_clz_i32_u32_e32 v2, v16
	s_delay_alu instid0(VALU_DEP_1) | instskip(NEXT) | instid1(VALU_DEP_1)
	v_min_u32_e32 v5, 32, v2
	v_subrev_nc_u32_e32 v2, 28, v5
	s_delay_alu instid0(VALU_DEP_1) | instskip(NEXT) | instid1(VALU_DEP_1)
	v_lshlrev_b64_e32 v[2:3], v2, v[16:17]
	v_dual_sub_nc_u32 v5, 29, v5 :: v_dual_bitop2_b32 v2, 7, v2 bitop3:0x40
; %bb.935:                              ;   in Loop: Header=BB370_10 Depth=1
	s_or_b32 exec_lo, exec_lo, s18
	s_delay_alu instid0(VALU_DEP_1) | instskip(NEXT) | instid1(VALU_DEP_2)
	v_dual_lshlrev_b32 v3, 24, v4 :: v_dual_lshlrev_b32 v2, 20, v2
	v_lshl_add_u32 v4, v5, 23, 0x3c000000
	s_delay_alu instid0(VALU_DEP_2) | instskip(NEXT) | instid1(VALU_DEP_1)
	v_and_b32_e32 v3, 0x80000000, v3
	v_or3_b32 v72, v2, v3, v4
.LBB370_936:                            ;   in Loop: Header=BB370_10 Depth=1
	s_or_b32 exec_lo, exec_lo, s17
.LBB370_937:                            ;   in Loop: Header=BB370_10 Depth=1
	s_delay_alu instid0(SALU_CYCLE_1)
	s_or_b32 exec_lo, exec_lo, s16
.LBB370_938:                            ;   in Loop: Header=BB370_10 Depth=1
	s_delay_alu instid0(SALU_CYCLE_1) | instskip(SKIP_3) | instid1(VALU_DEP_2)
	s_or_b32 exec_lo, exec_lo, s11
	v_and_b32_e32 v2, 0xff, v1
	v_mov_b32_e32 v16, v1
	s_mov_b32 s11, exec_lo
	v_cmpx_ne_u16_e32 0, v2
	s_cbranch_execz .LBB370_946
; %bb.939:                              ;   in Loop: Header=BB370_10 Depth=1
	v_bfrev_b32_e32 v46, 1
	s_mov_b32 s16, exec_lo
	v_cmpx_ne_u16_e32 0x80, v2
	s_cbranch_execz .LBB370_945
; %bb.940:                              ;   in Loop: Header=BB370_10 Depth=1
	v_and_b32_e32 v2, 0x7f, v1
	v_mov_b32_e32 v46, 0x7f800001
	s_mov_b32 s17, exec_lo
	s_delay_alu instid0(VALU_DEP_2)
	v_cmpx_ne_u32_e32 0x7f, v2
	s_cbranch_execz .LBB370_944
; %bb.941:                              ;   in Loop: Header=BB370_10 Depth=1
	v_lshrrev_b32_e32 v4, 3, v2
	v_cmp_gt_u32_e64 s1, 8, v2
	v_mov_b64_e32 v[2:3], v[16:17]
	s_and_saveexec_b32 s18, s1
; %bb.942:                              ;   in Loop: Header=BB370_10 Depth=1
	v_and_b32_e32 v2, 7, v1
	s_delay_alu instid0(VALU_DEP_1) | instskip(NEXT) | instid1(VALU_DEP_1)
	v_clz_i32_u32_e32 v2, v2
	v_min_u32_e32 v4, 32, v2
	s_delay_alu instid0(VALU_DEP_1) | instskip(SKIP_1) | instid1(VALU_DEP_2)
	v_subrev_nc_u32_e32 v2, 28, v4
	v_sub_nc_u32_e32 v4, 29, v4
	v_lshlrev_b64_e32 v[2:3], v2, v[16:17]
; %bb.943:                              ;   in Loop: Header=BB370_10 Depth=1
	s_or_b32 exec_lo, exec_lo, s18
	s_delay_alu instid0(VALU_DEP_1) | instskip(NEXT) | instid1(VALU_DEP_3)
	v_dual_lshlrev_b32 v2, 20, v2 :: v_dual_lshlrev_b32 v3, 24, v16
	v_lshl_add_u32 v4, v4, 23, 0x3c000000
	s_delay_alu instid0(VALU_DEP_2) | instskip(NEXT) | instid1(VALU_DEP_3)
	v_and_b32_e32 v2, 0x700000, v2
	v_and_b32_e32 v3, 0x80000000, v3
	s_delay_alu instid0(VALU_DEP_1)
	v_or3_b32 v46, v2, v3, v4
.LBB370_944:                            ;   in Loop: Header=BB370_10 Depth=1
	s_or_b32 exec_lo, exec_lo, s17
.LBB370_945:                            ;   in Loop: Header=BB370_10 Depth=1
	s_delay_alu instid0(SALU_CYCLE_1)
	s_or_b32 exec_lo, exec_lo, s16
.LBB370_946:                            ;   in Loop: Header=BB370_10 Depth=1
	s_delay_alu instid0(SALU_CYCLE_1) | instskip(SKIP_3) | instid1(VALU_DEP_2)
	s_or_b32 exec_lo, exec_lo, s11
	v_lshrrev_b16 v2, 8, v16
	v_dual_mov_b32 v73, 0 :: v_dual_mov_b32 v42, 0
	s_mov_b32 s11, exec_lo
	v_cmpx_ne_u16_e32 0, v2
	s_cbranch_execz .LBB370_954
; %bb.947:                              ;   in Loop: Header=BB370_10 Depth=1
	v_bfrev_b32_e32 v42, 1
	s_mov_b32 s16, exec_lo
	v_cmpx_ne_u16_e32 0x80, v2
	s_cbranch_execz .LBB370_953
; %bb.948:                              ;   in Loop: Header=BB370_10 Depth=1
	v_and_b32_e32 v2, 0xffff, v2
	v_mov_b32_e32 v42, 0x7f800001
	s_mov_b32 s17, exec_lo
	s_delay_alu instid0(VALU_DEP_2) | instskip(NEXT) | instid1(VALU_DEP_1)
	v_and_b32_e32 v5, 0x7f, v2
	v_cmpx_ne_u32_e32 0x7f, v5
	s_cbranch_execz .LBB370_952
; %bb.949:                              ;   in Loop: Header=BB370_10 Depth=1
	v_dual_mov_b32 v3, v17 :: v_dual_bitop2_b32 v2, 7, v2 bitop3:0x40
	v_lshrrev_b32_e32 v4, 3, v5
	s_mov_b32 s18, exec_lo
	v_cmpx_gt_u32_e32 8, v5
; %bb.950:                              ;   in Loop: Header=BB370_10 Depth=1
	s_delay_alu instid0(VALU_DEP_3) | instskip(NEXT) | instid1(VALU_DEP_1)
	v_clz_i32_u32_e32 v4, v2
	v_min_u32_e32 v4, 32, v4
	s_delay_alu instid0(VALU_DEP_1) | instskip(NEXT) | instid1(VALU_DEP_1)
	v_subrev_nc_u32_e32 v5, 28, v4
	v_lshlrev_b64_e32 v[2:3], v5, v[2:3]
	s_delay_alu instid0(VALU_DEP_1)
	v_dual_sub_nc_u32 v4, 29, v4 :: v_dual_bitop2_b32 v2, 7, v2 bitop3:0x40
; %bb.951:                              ;   in Loop: Header=BB370_10 Depth=1
	s_or_b32 exec_lo, exec_lo, s18
	s_delay_alu instid0(VALU_DEP_1) | instskip(NEXT) | instid1(VALU_DEP_2)
	v_dual_lshlrev_b32 v3, 16, v16 :: v_dual_lshlrev_b32 v2, 20, v2
	v_lshl_add_u32 v4, v4, 23, 0x3c000000
	s_delay_alu instid0(VALU_DEP_2) | instskip(NEXT) | instid1(VALU_DEP_1)
	v_and_b32_e32 v3, 0x80000000, v3
	v_or3_b32 v42, v2, v3, v4
.LBB370_952:                            ;   in Loop: Header=BB370_10 Depth=1
	s_or_b32 exec_lo, exec_lo, s17
.LBB370_953:                            ;   in Loop: Header=BB370_10 Depth=1
	s_delay_alu instid0(SALU_CYCLE_1)
	s_or_b32 exec_lo, exec_lo, s16
.LBB370_954:                            ;   in Loop: Header=BB370_10 Depth=1
	s_delay_alu instid0(SALU_CYCLE_1) | instskip(SKIP_2) | instid1(VALU_DEP_1)
	s_or_b32 exec_lo, exec_lo, s11
	v_lshrrev_b32_e32 v4, 16, v1
	s_mov_b32 s11, exec_lo
	v_and_b32_e32 v2, 0xff, v4
	s_delay_alu instid0(VALU_DEP_1)
	v_cmpx_ne_u16_e32 0, v2
	s_cbranch_execz .LBB370_962
; %bb.955:                              ;   in Loop: Header=BB370_10 Depth=1
	v_bfrev_b32_e32 v73, 1
	s_mov_b32 s16, exec_lo
	v_cmpx_ne_u16_e32 0x80, v2
	s_cbranch_execz .LBB370_961
; %bb.956:                              ;   in Loop: Header=BB370_10 Depth=1
	v_bfe_u32 v2, v1, 16, 7
	v_mov_b32_e32 v73, 0x7f800001
	s_mov_b32 s17, exec_lo
	s_delay_alu instid0(VALU_DEP_2)
	v_cmpx_ne_u32_e32 0x7f, v2
	s_cbranch_execz .LBB370_960
; %bb.957:                              ;   in Loop: Header=BB370_10 Depth=1
	v_dual_lshrrev_b32 v5, 3, v2 :: v_dual_bitop2_b32 v16, 7, v4 bitop3:0x40
	v_cmp_gt_u32_e64 s1, 8, v2
	s_delay_alu instid0(VALU_DEP_2)
	v_mov_b64_e32 v[2:3], v[16:17]
	s_and_saveexec_b32 s18, s1
; %bb.958:                              ;   in Loop: Header=BB370_10 Depth=1
	v_clz_i32_u32_e32 v2, v16
	s_delay_alu instid0(VALU_DEP_1) | instskip(NEXT) | instid1(VALU_DEP_1)
	v_min_u32_e32 v5, 32, v2
	v_subrev_nc_u32_e32 v2, 28, v5
	s_delay_alu instid0(VALU_DEP_1) | instskip(NEXT) | instid1(VALU_DEP_1)
	v_lshlrev_b64_e32 v[2:3], v2, v[16:17]
	v_dual_sub_nc_u32 v5, 29, v5 :: v_dual_bitop2_b32 v2, 7, v2 bitop3:0x40
; %bb.959:                              ;   in Loop: Header=BB370_10 Depth=1
	s_or_b32 exec_lo, exec_lo, s18
	s_delay_alu instid0(VALU_DEP_1) | instskip(NEXT) | instid1(VALU_DEP_2)
	v_dual_lshlrev_b32 v3, 24, v4 :: v_dual_lshlrev_b32 v2, 20, v2
	v_lshl_add_u32 v4, v5, 23, 0x3c000000
	s_delay_alu instid0(VALU_DEP_2) | instskip(NEXT) | instid1(VALU_DEP_1)
	v_and_b32_e32 v3, 0x80000000, v3
	v_or3_b32 v73, v2, v3, v4
.LBB370_960:                            ;   in Loop: Header=BB370_10 Depth=1
	s_or_b32 exec_lo, exec_lo, s17
.LBB370_961:                            ;   in Loop: Header=BB370_10 Depth=1
	s_delay_alu instid0(SALU_CYCLE_1)
	s_or_b32 exec_lo, exec_lo, s16
.LBB370_962:                            ;   in Loop: Header=BB370_10 Depth=1
	s_delay_alu instid0(SALU_CYCLE_1)
	s_or_b32 exec_lo, exec_lo, s11
	v_dual_mov_b32 v30, 0 :: v_dual_mov_b32 v43, 0
	s_mov_b32 s11, exec_lo
	v_cmpx_lt_u64_e64 s[2:3], v[0:1]
	s_cbranch_execz .LBB370_970
; %bb.963:                              ;   in Loop: Header=BB370_10 Depth=1
	v_lshrrev_b32_e32 v2, 24, v1
	v_bfrev_b32_e32 v43, 1
	s_mov_b32 s16, exec_lo
	s_delay_alu instid0(VALU_DEP_2)
	v_cmpx_ne_u32_e32 0x80, v2
	s_cbranch_execz .LBB370_969
; %bb.964:                              ;   in Loop: Header=BB370_10 Depth=1
	v_bfe_u32 v0, v1, 24, 7
	v_mov_b32_e32 v43, 0x7f800001
	s_mov_b32 s17, exec_lo
	s_delay_alu instid0(VALU_DEP_2)
	v_cmpx_ne_u32_e32 0x7f, v0
	s_cbranch_execz .LBB370_968
; %bb.965:                              ;   in Loop: Header=BB370_10 Depth=1
	v_dual_lshrrev_b32 v3, 3, v0 :: v_dual_bitop2_b32 v16, 7, v2 bitop3:0x40
	v_cmp_gt_u32_e64 s1, 8, v0
	s_delay_alu instid0(VALU_DEP_2)
	v_mov_b64_e32 v[0:1], v[16:17]
	s_and_saveexec_b32 s18, s1
; %bb.966:                              ;   in Loop: Header=BB370_10 Depth=1
	v_clz_i32_u32_e32 v0, v16
	s_delay_alu instid0(VALU_DEP_1) | instskip(NEXT) | instid1(VALU_DEP_1)
	v_min_u32_e32 v3, 32, v0
	v_subrev_nc_u32_e32 v0, 28, v3
	s_delay_alu instid0(VALU_DEP_1) | instskip(NEXT) | instid1(VALU_DEP_1)
	v_lshlrev_b64_e32 v[0:1], v0, v[16:17]
	v_dual_sub_nc_u32 v3, 29, v3 :: v_dual_bitop2_b32 v0, 7, v0 bitop3:0x40
; %bb.967:                              ;   in Loop: Header=BB370_10 Depth=1
	s_or_b32 exec_lo, exec_lo, s18
	s_delay_alu instid0(VALU_DEP_1) | instskip(NEXT) | instid1(VALU_DEP_2)
	v_dual_lshlrev_b32 v1, 24, v2 :: v_dual_lshlrev_b32 v0, 20, v0
	v_lshl_add_u32 v2, v3, 23, 0x3c000000
	s_delay_alu instid0(VALU_DEP_2) | instskip(NEXT) | instid1(VALU_DEP_1)
	v_and_b32_e32 v1, 0x80000000, v1
	v_or3_b32 v43, v0, v1, v2
.LBB370_968:                            ;   in Loop: Header=BB370_10 Depth=1
	s_or_b32 exec_lo, exec_lo, s17
.LBB370_969:                            ;   in Loop: Header=BB370_10 Depth=1
	s_delay_alu instid0(SALU_CYCLE_1)
	s_or_b32 exec_lo, exec_lo, s16
.LBB370_970:                            ;   in Loop: Header=BB370_10 Depth=1
	s_delay_alu instid0(SALU_CYCLE_1)
	s_or_b32 exec_lo, exec_lo, s11
	flat_load_b64 v[0:1], v[32:33] offset:3592
	s_mov_b32 s11, exec_lo
	s_wait_loadcnt_dscnt 0x0
	v_and_b32_e32 v2, 0xff, v0
	s_wait_xcnt 0x0
	s_delay_alu instid0(VALU_DEP_1)
	v_cmpx_ne_u16_e32 0, v2
	s_cbranch_execz .LBB370_978
; %bb.971:                              ;   in Loop: Header=BB370_10 Depth=1
	v_bfrev_b32_e32 v30, 1
	s_mov_b32 s16, exec_lo
	v_cmpx_ne_u16_e32 0x80, v2
	s_cbranch_execz .LBB370_977
; %bb.972:                              ;   in Loop: Header=BB370_10 Depth=1
	v_and_b32_e32 v2, 0x7f, v0
	v_mov_b32_e32 v30, 0x7f800001
	s_mov_b32 s17, exec_lo
	s_delay_alu instid0(VALU_DEP_2)
	v_cmpx_ne_u32_e32 0x7f, v2
	s_cbranch_execz .LBB370_976
; %bb.973:                              ;   in Loop: Header=BB370_10 Depth=1
	v_lshrrev_b32_e32 v4, 3, v2
	v_cmp_gt_u32_e64 s1, 8, v2
	v_mov_b64_e32 v[2:3], v[0:1]
	s_and_saveexec_b32 s18, s1
; %bb.974:                              ;   in Loop: Header=BB370_10 Depth=1
	v_and_b32_e32 v2, 7, v0
	s_delay_alu instid0(VALU_DEP_1) | instskip(NEXT) | instid1(VALU_DEP_1)
	v_clz_i32_u32_e32 v2, v2
	v_min_u32_e32 v4, 32, v2
	s_delay_alu instid0(VALU_DEP_1) | instskip(SKIP_1) | instid1(VALU_DEP_2)
	v_subrev_nc_u32_e32 v2, 28, v4
	v_sub_nc_u32_e32 v4, 29, v4
	v_lshlrev_b64_e32 v[2:3], v2, v[0:1]
; %bb.975:                              ;   in Loop: Header=BB370_10 Depth=1
	s_or_b32 exec_lo, exec_lo, s18
	s_delay_alu instid0(VALU_DEP_1) | instskip(NEXT) | instid1(VALU_DEP_3)
	v_dual_lshlrev_b32 v2, 20, v2 :: v_dual_lshlrev_b32 v3, 24, v0
	v_lshl_add_u32 v4, v4, 23, 0x3c000000
	s_delay_alu instid0(VALU_DEP_2) | instskip(NEXT) | instid1(VALU_DEP_3)
	v_and_b32_e32 v2, 0x700000, v2
	v_and_b32_e32 v3, 0x80000000, v3
	s_delay_alu instid0(VALU_DEP_1)
	v_or3_b32 v30, v2, v3, v4
.LBB370_976:                            ;   in Loop: Header=BB370_10 Depth=1
	s_or_b32 exec_lo, exec_lo, s17
.LBB370_977:                            ;   in Loop: Header=BB370_10 Depth=1
	s_delay_alu instid0(SALU_CYCLE_1)
	s_or_b32 exec_lo, exec_lo, s16
.LBB370_978:                            ;   in Loop: Header=BB370_10 Depth=1
	s_delay_alu instid0(SALU_CYCLE_1) | instskip(SKIP_3) | instid1(VALU_DEP_2)
	s_or_b32 exec_lo, exec_lo, s11
	v_lshrrev_b16 v2, 8, v0
	v_dual_mov_b32 v112, 0 :: v_dual_mov_b32 v31, 0
	s_mov_b32 s11, exec_lo
	v_cmpx_ne_u16_e32 0, v2
	s_cbranch_execz .LBB370_986
; %bb.979:                              ;   in Loop: Header=BB370_10 Depth=1
	v_bfrev_b32_e32 v31, 1
	s_mov_b32 s16, exec_lo
	v_cmpx_ne_u16_e32 0x80, v2
	s_cbranch_execz .LBB370_985
; %bb.980:                              ;   in Loop: Header=BB370_10 Depth=1
	v_and_b32_e32 v2, 0xffff, v2
	v_mov_b32_e32 v31, 0x7f800001
	s_mov_b32 s17, exec_lo
	s_delay_alu instid0(VALU_DEP_2) | instskip(NEXT) | instid1(VALU_DEP_1)
	v_and_b32_e32 v4, 0x7f, v2
	v_cmpx_ne_u32_e32 0x7f, v4
	s_cbranch_execz .LBB370_984
; %bb.981:                              ;   in Loop: Header=BB370_10 Depth=1
	v_and_b32_e32 v16, 7, v2
	s_mov_b32 s18, exec_lo
	s_delay_alu instid0(VALU_DEP_1)
	v_mov_b64_e32 v[2:3], v[16:17]
	v_lshrrev_b32_e32 v3, 3, v4
	v_cmpx_gt_u32_e32 8, v4
; %bb.982:                              ;   in Loop: Header=BB370_10 Depth=1
	v_clz_i32_u32_e32 v2, v16
	s_delay_alu instid0(VALU_DEP_1) | instskip(NEXT) | instid1(VALU_DEP_1)
	v_min_u32_e32 v4, 32, v2
	v_subrev_nc_u32_e32 v2, 28, v4
	s_delay_alu instid0(VALU_DEP_1) | instskip(NEXT) | instid1(VALU_DEP_1)
	v_lshlrev_b64_e32 v[2:3], v2, v[16:17]
	v_dual_sub_nc_u32 v3, 29, v4 :: v_dual_bitop2_b32 v2, 7, v2 bitop3:0x40
; %bb.983:                              ;   in Loop: Header=BB370_10 Depth=1
	s_or_b32 exec_lo, exec_lo, s18
	s_delay_alu instid0(VALU_DEP_1) | instskip(NEXT) | instid1(VALU_DEP_2)
	v_dual_lshlrev_b32 v4, 16, v0 :: v_dual_lshlrev_b32 v2, 20, v2
	v_lshl_add_u32 v3, v3, 23, 0x3c000000
	s_delay_alu instid0(VALU_DEP_2) | instskip(NEXT) | instid1(VALU_DEP_1)
	v_and_b32_e32 v4, 0x80000000, v4
	v_or3_b32 v31, v2, v4, v3
.LBB370_984:                            ;   in Loop: Header=BB370_10 Depth=1
	s_or_b32 exec_lo, exec_lo, s17
.LBB370_985:                            ;   in Loop: Header=BB370_10 Depth=1
	s_delay_alu instid0(SALU_CYCLE_1)
	s_or_b32 exec_lo, exec_lo, s16
.LBB370_986:                            ;   in Loop: Header=BB370_10 Depth=1
	s_delay_alu instid0(SALU_CYCLE_1) | instskip(SKIP_2) | instid1(VALU_DEP_1)
	s_or_b32 exec_lo, exec_lo, s11
	v_lshrrev_b32_e32 v4, 16, v0
	s_mov_b32 s11, exec_lo
	v_and_b32_e32 v2, 0xff, v4
	s_delay_alu instid0(VALU_DEP_1)
	v_cmpx_ne_u16_e32 0, v2
	s_cbranch_execz .LBB370_994
; %bb.987:                              ;   in Loop: Header=BB370_10 Depth=1
	v_bfrev_b32_e32 v112, 1
	s_mov_b32 s16, exec_lo
	v_cmpx_ne_u16_e32 0x80, v2
	s_cbranch_execz .LBB370_993
; %bb.988:                              ;   in Loop: Header=BB370_10 Depth=1
	v_bfe_u32 v5, v0, 16, 7
	v_mov_b32_e32 v112, 0x7f800001
	s_mov_b32 s17, exec_lo
	s_delay_alu instid0(VALU_DEP_2)
	v_cmpx_ne_u32_e32 0x7f, v5
	s_cbranch_execz .LBB370_992
; %bb.989:                              ;   in Loop: Header=BB370_10 Depth=1
	v_and_b32_e32 v16, 7, v4
	s_mov_b32 s18, exec_lo
	s_delay_alu instid0(VALU_DEP_1)
	v_mov_b64_e32 v[2:3], v[16:17]
	v_lshrrev_b32_e32 v3, 3, v5
	v_cmpx_gt_u32_e32 8, v5
; %bb.990:                              ;   in Loop: Header=BB370_10 Depth=1
	v_clz_i32_u32_e32 v2, v16
	s_delay_alu instid0(VALU_DEP_1) | instskip(NEXT) | instid1(VALU_DEP_1)
	v_min_u32_e32 v5, 32, v2
	v_subrev_nc_u32_e32 v2, 28, v5
	s_delay_alu instid0(VALU_DEP_1) | instskip(NEXT) | instid1(VALU_DEP_1)
	v_lshlrev_b64_e32 v[2:3], v2, v[16:17]
	v_dual_sub_nc_u32 v3, 29, v5 :: v_dual_bitop2_b32 v2, 7, v2 bitop3:0x40
; %bb.991:                              ;   in Loop: Header=BB370_10 Depth=1
	s_or_b32 exec_lo, exec_lo, s18
	s_delay_alu instid0(VALU_DEP_1) | instskip(NEXT) | instid1(VALU_DEP_2)
	v_dual_lshlrev_b32 v4, 24, v4 :: v_dual_lshlrev_b32 v2, 20, v2
	v_lshl_add_u32 v3, v3, 23, 0x3c000000
	s_delay_alu instid0(VALU_DEP_2) | instskip(NEXT) | instid1(VALU_DEP_1)
	v_and_b32_e32 v4, 0x80000000, v4
	v_or3_b32 v112, v2, v4, v3
.LBB370_992:                            ;   in Loop: Header=BB370_10 Depth=1
	s_or_b32 exec_lo, exec_lo, s17
.LBB370_993:                            ;   in Loop: Header=BB370_10 Depth=1
	s_delay_alu instid0(SALU_CYCLE_1)
	s_or_b32 exec_lo, exec_lo, s16
.LBB370_994:                            ;   in Loop: Header=BB370_10 Depth=1
	s_delay_alu instid0(SALU_CYCLE_1)
	s_or_b32 exec_lo, exec_lo, s11
	v_dual_mov_b32 v18, 0 :: v_dual_mov_b32 v113, 0
	s_mov_b32 s11, exec_lo
	v_cmpx_lt_u32_e32 0xffffff, v0
	s_cbranch_execz .LBB370_1002
; %bb.995:                              ;   in Loop: Header=BB370_10 Depth=1
	v_lshrrev_b32_e32 v4, 24, v0
	v_bfrev_b32_e32 v113, 1
	s_mov_b32 s16, exec_lo
	s_delay_alu instid0(VALU_DEP_2)
	v_cmpx_ne_u32_e32 0x80, v4
	s_cbranch_execz .LBB370_1001
; %bb.996:                              ;   in Loop: Header=BB370_10 Depth=1
	v_bfe_u32 v5, v0, 24, 7
	v_mov_b32_e32 v113, 0x7f800001
	s_mov_b32 s17, exec_lo
	s_delay_alu instid0(VALU_DEP_2)
	v_cmpx_ne_u32_e32 0x7f, v5
	s_cbranch_execz .LBB370_1000
; %bb.997:                              ;   in Loop: Header=BB370_10 Depth=1
	v_and_b32_e32 v16, 7, v4
	s_mov_b32 s18, exec_lo
	s_delay_alu instid0(VALU_DEP_1)
	v_mov_b64_e32 v[2:3], v[16:17]
	v_lshrrev_b32_e32 v3, 3, v5
	v_cmpx_gt_u32_e32 8, v5
; %bb.998:                              ;   in Loop: Header=BB370_10 Depth=1
	v_clz_i32_u32_e32 v2, v16
	s_delay_alu instid0(VALU_DEP_1) | instskip(NEXT) | instid1(VALU_DEP_1)
	v_min_u32_e32 v5, 32, v2
	v_subrev_nc_u32_e32 v2, 28, v5
	s_delay_alu instid0(VALU_DEP_1) | instskip(NEXT) | instid1(VALU_DEP_1)
	v_lshlrev_b64_e32 v[2:3], v2, v[16:17]
	v_dual_sub_nc_u32 v3, 29, v5 :: v_dual_bitop2_b32 v2, 7, v2 bitop3:0x40
; %bb.999:                              ;   in Loop: Header=BB370_10 Depth=1
	s_or_b32 exec_lo, exec_lo, s18
	s_delay_alu instid0(VALU_DEP_1) | instskip(NEXT) | instid1(VALU_DEP_2)
	v_dual_lshlrev_b32 v4, 24, v4 :: v_dual_lshlrev_b32 v2, 20, v2
	v_lshl_add_u32 v3, v3, 23, 0x3c000000
	s_delay_alu instid0(VALU_DEP_2) | instskip(NEXT) | instid1(VALU_DEP_1)
	v_and_b32_e32 v4, 0x80000000, v4
	v_or3_b32 v113, v2, v4, v3
.LBB370_1000:                           ;   in Loop: Header=BB370_10 Depth=1
	s_or_b32 exec_lo, exec_lo, s17
.LBB370_1001:                           ;   in Loop: Header=BB370_10 Depth=1
	s_delay_alu instid0(SALU_CYCLE_1)
	s_or_b32 exec_lo, exec_lo, s16
.LBB370_1002:                           ;   in Loop: Header=BB370_10 Depth=1
	s_delay_alu instid0(SALU_CYCLE_1) | instskip(SKIP_3) | instid1(VALU_DEP_2)
	s_or_b32 exec_lo, exec_lo, s11
	v_and_b32_e32 v2, 0xff, v1
	v_mov_b32_e32 v16, v1
	s_mov_b32 s11, exec_lo
	v_cmpx_ne_u16_e32 0, v2
	s_cbranch_execz .LBB370_1010
; %bb.1003:                             ;   in Loop: Header=BB370_10 Depth=1
	v_bfrev_b32_e32 v18, 1
	s_mov_b32 s16, exec_lo
	v_cmpx_ne_u16_e32 0x80, v2
	s_cbranch_execz .LBB370_1009
; %bb.1004:                             ;   in Loop: Header=BB370_10 Depth=1
	v_and_b32_e32 v4, 0x7f, v1
	v_mov_b32_e32 v18, 0x7f800001
	s_mov_b32 s17, exec_lo
	s_delay_alu instid0(VALU_DEP_2)
	v_cmpx_ne_u32_e32 0x7f, v4
	s_cbranch_execz .LBB370_1008
; %bb.1005:                             ;   in Loop: Header=BB370_10 Depth=1
	v_mov_b64_e32 v[2:3], v[16:17]
	v_lshrrev_b32_e32 v3, 3, v4
	s_mov_b32 s18, exec_lo
	v_cmpx_gt_u32_e32 8, v4
; %bb.1006:                             ;   in Loop: Header=BB370_10 Depth=1
	v_and_b32_e32 v2, 7, v1
	s_delay_alu instid0(VALU_DEP_1) | instskip(NEXT) | instid1(VALU_DEP_1)
	v_clz_i32_u32_e32 v2, v2
	v_min_u32_e32 v4, 32, v2
	s_delay_alu instid0(VALU_DEP_1) | instskip(NEXT) | instid1(VALU_DEP_1)
	v_subrev_nc_u32_e32 v2, 28, v4
	v_lshlrev_b64_e32 v[2:3], v2, v[16:17]
	v_sub_nc_u32_e32 v3, 29, v4
; %bb.1007:                             ;   in Loop: Header=BB370_10 Depth=1
	s_or_b32 exec_lo, exec_lo, s18
	s_delay_alu instid0(VALU_DEP_2) | instskip(NEXT) | instid1(VALU_DEP_2)
	v_dual_lshlrev_b32 v2, 20, v2 :: v_dual_lshlrev_b32 v4, 24, v16
	v_lshl_add_u32 v3, v3, 23, 0x3c000000
	s_delay_alu instid0(VALU_DEP_2) | instskip(NEXT) | instid1(VALU_DEP_3)
	v_and_b32_e32 v2, 0x700000, v2
	v_and_b32_e32 v4, 0x80000000, v4
	s_delay_alu instid0(VALU_DEP_1)
	v_or3_b32 v18, v2, v4, v3
.LBB370_1008:                           ;   in Loop: Header=BB370_10 Depth=1
	s_or_b32 exec_lo, exec_lo, s17
.LBB370_1009:                           ;   in Loop: Header=BB370_10 Depth=1
	s_delay_alu instid0(SALU_CYCLE_1)
	s_or_b32 exec_lo, exec_lo, s16
.LBB370_1010:                           ;   in Loop: Header=BB370_10 Depth=1
	s_delay_alu instid0(SALU_CYCLE_1) | instskip(SKIP_3) | instid1(VALU_DEP_2)
	s_or_b32 exec_lo, exec_lo, s11
	v_lshrrev_b16 v2, 8, v16
	v_dual_mov_b32 v114, 0 :: v_dual_mov_b32 v19, 0
	s_mov_b32 s11, exec_lo
	v_cmpx_ne_u16_e32 0, v2
	s_cbranch_execz .LBB370_1018
; %bb.1011:                             ;   in Loop: Header=BB370_10 Depth=1
	v_bfrev_b32_e32 v19, 1
	s_mov_b32 s16, exec_lo
	v_cmpx_ne_u16_e32 0x80, v2
	s_cbranch_execz .LBB370_1017
; %bb.1012:                             ;   in Loop: Header=BB370_10 Depth=1
	v_and_b32_e32 v2, 0xffff, v2
	v_mov_b32_e32 v19, 0x7f800001
	s_mov_b32 s17, exec_lo
	s_delay_alu instid0(VALU_DEP_2) | instskip(NEXT) | instid1(VALU_DEP_1)
	v_and_b32_e32 v5, 0x7f, v2
	v_cmpx_ne_u32_e32 0x7f, v5
	s_cbranch_execz .LBB370_1016
; %bb.1013:                             ;   in Loop: Header=BB370_10 Depth=1
	v_dual_mov_b32 v3, v17 :: v_dual_bitop2_b32 v2, 7, v2 bitop3:0x40
	v_lshrrev_b32_e32 v4, 3, v5
	s_mov_b32 s18, exec_lo
	v_cmpx_gt_u32_e32 8, v5
; %bb.1014:                             ;   in Loop: Header=BB370_10 Depth=1
	s_delay_alu instid0(VALU_DEP_3) | instskip(NEXT) | instid1(VALU_DEP_1)
	v_clz_i32_u32_e32 v4, v2
	v_min_u32_e32 v4, 32, v4
	s_delay_alu instid0(VALU_DEP_1) | instskip(NEXT) | instid1(VALU_DEP_1)
	v_subrev_nc_u32_e32 v5, 28, v4
	v_lshlrev_b64_e32 v[2:3], v5, v[2:3]
	s_delay_alu instid0(VALU_DEP_1)
	v_dual_sub_nc_u32 v4, 29, v4 :: v_dual_bitop2_b32 v2, 7, v2 bitop3:0x40
; %bb.1015:                             ;   in Loop: Header=BB370_10 Depth=1
	s_or_b32 exec_lo, exec_lo, s18
	s_delay_alu instid0(VALU_DEP_1) | instskip(NEXT) | instid1(VALU_DEP_2)
	v_dual_lshlrev_b32 v3, 16, v16 :: v_dual_lshlrev_b32 v2, 20, v2
	v_lshl_add_u32 v4, v4, 23, 0x3c000000
	s_delay_alu instid0(VALU_DEP_2) | instskip(NEXT) | instid1(VALU_DEP_1)
	v_and_b32_e32 v3, 0x80000000, v3
	v_or3_b32 v19, v2, v3, v4
.LBB370_1016:                           ;   in Loop: Header=BB370_10 Depth=1
	s_or_b32 exec_lo, exec_lo, s17
.LBB370_1017:                           ;   in Loop: Header=BB370_10 Depth=1
	s_delay_alu instid0(SALU_CYCLE_1)
	s_or_b32 exec_lo, exec_lo, s16
.LBB370_1018:                           ;   in Loop: Header=BB370_10 Depth=1
	s_delay_alu instid0(SALU_CYCLE_1) | instskip(SKIP_2) | instid1(VALU_DEP_1)
	s_or_b32 exec_lo, exec_lo, s11
	v_lshrrev_b32_e32 v4, 16, v1
	s_mov_b32 s11, exec_lo
	v_and_b32_e32 v2, 0xff, v4
	s_delay_alu instid0(VALU_DEP_1)
	v_cmpx_ne_u16_e32 0, v2
	s_cbranch_execz .LBB370_1026
; %bb.1019:                             ;   in Loop: Header=BB370_10 Depth=1
	v_bfrev_b32_e32 v114, 1
	s_mov_b32 s16, exec_lo
	v_cmpx_ne_u16_e32 0x80, v2
	s_cbranch_execz .LBB370_1025
; %bb.1020:                             ;   in Loop: Header=BB370_10 Depth=1
	v_bfe_u32 v5, v1, 16, 7
	v_mov_b32_e32 v114, 0x7f800001
	s_mov_b32 s17, exec_lo
	s_delay_alu instid0(VALU_DEP_2)
	v_cmpx_ne_u32_e32 0x7f, v5
	s_cbranch_execz .LBB370_1024
; %bb.1021:                             ;   in Loop: Header=BB370_10 Depth=1
	v_and_b32_e32 v16, 7, v4
	s_mov_b32 s18, exec_lo
	s_delay_alu instid0(VALU_DEP_1)
	v_mov_b64_e32 v[2:3], v[16:17]
	v_lshrrev_b32_e32 v3, 3, v5
	v_cmpx_gt_u32_e32 8, v5
; %bb.1022:                             ;   in Loop: Header=BB370_10 Depth=1
	v_clz_i32_u32_e32 v2, v16
	s_delay_alu instid0(VALU_DEP_1) | instskip(NEXT) | instid1(VALU_DEP_1)
	v_min_u32_e32 v5, 32, v2
	v_subrev_nc_u32_e32 v2, 28, v5
	s_delay_alu instid0(VALU_DEP_1) | instskip(NEXT) | instid1(VALU_DEP_1)
	v_lshlrev_b64_e32 v[2:3], v2, v[16:17]
	v_dual_sub_nc_u32 v3, 29, v5 :: v_dual_bitop2_b32 v2, 7, v2 bitop3:0x40
; %bb.1023:                             ;   in Loop: Header=BB370_10 Depth=1
	s_or_b32 exec_lo, exec_lo, s18
	s_delay_alu instid0(VALU_DEP_1) | instskip(NEXT) | instid1(VALU_DEP_2)
	v_dual_lshlrev_b32 v4, 24, v4 :: v_dual_lshlrev_b32 v2, 20, v2
	v_lshl_add_u32 v3, v3, 23, 0x3c000000
	s_delay_alu instid0(VALU_DEP_2) | instskip(NEXT) | instid1(VALU_DEP_1)
	v_and_b32_e32 v4, 0x80000000, v4
	v_or3_b32 v114, v2, v4, v3
.LBB370_1024:                           ;   in Loop: Header=BB370_10 Depth=1
	s_or_b32 exec_lo, exec_lo, s17
.LBB370_1025:                           ;   in Loop: Header=BB370_10 Depth=1
	s_delay_alu instid0(SALU_CYCLE_1)
	s_or_b32 exec_lo, exec_lo, s16
.LBB370_1026:                           ;   in Loop: Header=BB370_10 Depth=1
	s_delay_alu instid0(SALU_CYCLE_1)
	s_or_b32 exec_lo, exec_lo, s11
	v_dual_mov_b32 v12, 0 :: v_dual_mov_b32 v115, 0
	s_mov_b32 s11, exec_lo
	v_cmpx_lt_u64_e64 s[2:3], v[0:1]
	s_cbranch_execz .LBB370_1034
; %bb.1027:                             ;   in Loop: Header=BB370_10 Depth=1
	v_lshrrev_b32_e32 v2, 24, v1
	v_bfrev_b32_e32 v115, 1
	s_mov_b32 s16, exec_lo
	s_delay_alu instid0(VALU_DEP_2)
	v_cmpx_ne_u32_e32 0x80, v2
	s_cbranch_execz .LBB370_1033
; %bb.1028:                             ;   in Loop: Header=BB370_10 Depth=1
	v_bfe_u32 v3, v1, 24, 7
	v_mov_b32_e32 v115, 0x7f800001
	s_mov_b32 s17, exec_lo
	s_delay_alu instid0(VALU_DEP_2)
	v_cmpx_ne_u32_e32 0x7f, v3
	s_cbranch_execz .LBB370_1032
; %bb.1029:                             ;   in Loop: Header=BB370_10 Depth=1
	v_and_b32_e32 v16, 7, v2
	s_mov_b32 s18, exec_lo
	s_delay_alu instid0(VALU_DEP_1)
	v_mov_b64_e32 v[0:1], v[16:17]
	v_lshrrev_b32_e32 v1, 3, v3
	v_cmpx_gt_u32_e32 8, v3
; %bb.1030:                             ;   in Loop: Header=BB370_10 Depth=1
	v_clz_i32_u32_e32 v0, v16
	s_delay_alu instid0(VALU_DEP_1) | instskip(NEXT) | instid1(VALU_DEP_1)
	v_min_u32_e32 v3, 32, v0
	v_subrev_nc_u32_e32 v0, 28, v3
	s_delay_alu instid0(VALU_DEP_1) | instskip(NEXT) | instid1(VALU_DEP_1)
	v_lshlrev_b64_e32 v[0:1], v0, v[16:17]
	v_dual_sub_nc_u32 v1, 29, v3 :: v_dual_bitop2_b32 v0, 7, v0 bitop3:0x40
; %bb.1031:                             ;   in Loop: Header=BB370_10 Depth=1
	s_or_b32 exec_lo, exec_lo, s18
	s_delay_alu instid0(VALU_DEP_1) | instskip(NEXT) | instid1(VALU_DEP_2)
	v_dual_lshlrev_b32 v2, 24, v2 :: v_dual_lshlrev_b32 v0, 20, v0
	v_lshl_add_u32 v1, v1, 23, 0x3c000000
	s_delay_alu instid0(VALU_DEP_2) | instskip(NEXT) | instid1(VALU_DEP_1)
	v_and_b32_e32 v2, 0x80000000, v2
	v_or3_b32 v115, v0, v2, v1
.LBB370_1032:                           ;   in Loop: Header=BB370_10 Depth=1
	s_or_b32 exec_lo, exec_lo, s17
.LBB370_1033:                           ;   in Loop: Header=BB370_10 Depth=1
	s_delay_alu instid0(SALU_CYCLE_1)
	s_or_b32 exec_lo, exec_lo, s16
.LBB370_1034:                           ;   in Loop: Header=BB370_10 Depth=1
	s_delay_alu instid0(SALU_CYCLE_1)
	s_or_b32 exec_lo, exec_lo, s11
	flat_load_b64 v[0:1], v[32:33] offset:4096
	s_mov_b32 s11, exec_lo
	s_wait_loadcnt_dscnt 0x0
	v_and_b32_e32 v2, 0xff, v0
	s_wait_xcnt 0x0
	s_delay_alu instid0(VALU_DEP_1)
	v_cmpx_ne_u16_e32 0, v2
	s_cbranch_execz .LBB370_1042
; %bb.1035:                             ;   in Loop: Header=BB370_10 Depth=1
	v_bfrev_b32_e32 v12, 1
	s_mov_b32 s16, exec_lo
	v_cmpx_ne_u16_e32 0x80, v2
	s_cbranch_execz .LBB370_1041
; %bb.1036:                             ;   in Loop: Header=BB370_10 Depth=1
	v_and_b32_e32 v2, 0x7f, v0
	v_mov_b32_e32 v12, 0x7f800001
	s_mov_b32 s17, exec_lo
	s_delay_alu instid0(VALU_DEP_2)
	v_cmpx_ne_u32_e32 0x7f, v2
	s_cbranch_execz .LBB370_1040
; %bb.1037:                             ;   in Loop: Header=BB370_10 Depth=1
	v_lshrrev_b32_e32 v4, 3, v2
	v_cmp_gt_u32_e64 s1, 8, v2
	v_mov_b64_e32 v[2:3], v[0:1]
	s_and_saveexec_b32 s18, s1
; %bb.1038:                             ;   in Loop: Header=BB370_10 Depth=1
	v_and_b32_e32 v2, 7, v0
	s_delay_alu instid0(VALU_DEP_1) | instskip(NEXT) | instid1(VALU_DEP_1)
	v_clz_i32_u32_e32 v2, v2
	v_min_u32_e32 v4, 32, v2
	s_delay_alu instid0(VALU_DEP_1) | instskip(SKIP_1) | instid1(VALU_DEP_2)
	v_subrev_nc_u32_e32 v2, 28, v4
	v_sub_nc_u32_e32 v4, 29, v4
	v_lshlrev_b64_e32 v[2:3], v2, v[0:1]
; %bb.1039:                             ;   in Loop: Header=BB370_10 Depth=1
	s_or_b32 exec_lo, exec_lo, s18
	s_delay_alu instid0(VALU_DEP_1) | instskip(NEXT) | instid1(VALU_DEP_3)
	v_dual_lshlrev_b32 v2, 20, v2 :: v_dual_lshlrev_b32 v3, 24, v0
	v_lshl_add_u32 v4, v4, 23, 0x3c000000
	s_delay_alu instid0(VALU_DEP_2) | instskip(NEXT) | instid1(VALU_DEP_3)
	v_and_b32_e32 v2, 0x700000, v2
	v_and_b32_e32 v3, 0x80000000, v3
	s_delay_alu instid0(VALU_DEP_1)
	v_or3_b32 v12, v2, v3, v4
.LBB370_1040:                           ;   in Loop: Header=BB370_10 Depth=1
	s_or_b32 exec_lo, exec_lo, s17
.LBB370_1041:                           ;   in Loop: Header=BB370_10 Depth=1
	s_delay_alu instid0(SALU_CYCLE_1)
	s_or_b32 exec_lo, exec_lo, s16
.LBB370_1042:                           ;   in Loop: Header=BB370_10 Depth=1
	s_delay_alu instid0(SALU_CYCLE_1) | instskip(SKIP_3) | instid1(VALU_DEP_2)
	s_or_b32 exec_lo, exec_lo, s11
	v_lshrrev_b16 v2, 8, v0
	v_dual_mov_b32 v14, 0 :: v_dual_mov_b32 v13, 0
	s_mov_b32 s11, exec_lo
	v_cmpx_ne_u16_e32 0, v2
	s_cbranch_execz .LBB370_1050
; %bb.1043:                             ;   in Loop: Header=BB370_10 Depth=1
	v_bfrev_b32_e32 v13, 1
	s_mov_b32 s16, exec_lo
	v_cmpx_ne_u16_e32 0x80, v2
	s_cbranch_execz .LBB370_1049
; %bb.1044:                             ;   in Loop: Header=BB370_10 Depth=1
	v_and_b32_e32 v2, 0xffff, v2
	v_mov_b32_e32 v13, 0x7f800001
	s_mov_b32 s17, exec_lo
	s_delay_alu instid0(VALU_DEP_2) | instskip(NEXT) | instid1(VALU_DEP_1)
	v_and_b32_e32 v4, 0x7f, v2
	v_cmpx_ne_u32_e32 0x7f, v4
	s_cbranch_execz .LBB370_1048
; %bb.1045:                             ;   in Loop: Header=BB370_10 Depth=1
	v_and_b32_e32 v16, 7, v2
	s_mov_b32 s18, exec_lo
	s_delay_alu instid0(VALU_DEP_1)
	v_mov_b64_e32 v[2:3], v[16:17]
	v_lshrrev_b32_e32 v3, 3, v4
	v_cmpx_gt_u32_e32 8, v4
; %bb.1046:                             ;   in Loop: Header=BB370_10 Depth=1
	v_clz_i32_u32_e32 v2, v16
	s_delay_alu instid0(VALU_DEP_1) | instskip(NEXT) | instid1(VALU_DEP_1)
	v_min_u32_e32 v4, 32, v2
	v_subrev_nc_u32_e32 v2, 28, v4
	s_delay_alu instid0(VALU_DEP_1) | instskip(NEXT) | instid1(VALU_DEP_1)
	v_lshlrev_b64_e32 v[2:3], v2, v[16:17]
	v_dual_sub_nc_u32 v3, 29, v4 :: v_dual_bitop2_b32 v2, 7, v2 bitop3:0x40
; %bb.1047:                             ;   in Loop: Header=BB370_10 Depth=1
	s_or_b32 exec_lo, exec_lo, s18
	s_delay_alu instid0(VALU_DEP_1) | instskip(NEXT) | instid1(VALU_DEP_2)
	v_dual_lshlrev_b32 v4, 16, v0 :: v_dual_lshlrev_b32 v2, 20, v2
	v_lshl_add_u32 v3, v3, 23, 0x3c000000
	s_delay_alu instid0(VALU_DEP_2) | instskip(NEXT) | instid1(VALU_DEP_1)
	v_and_b32_e32 v4, 0x80000000, v4
	v_or3_b32 v13, v2, v4, v3
.LBB370_1048:                           ;   in Loop: Header=BB370_10 Depth=1
	s_or_b32 exec_lo, exec_lo, s17
.LBB370_1049:                           ;   in Loop: Header=BB370_10 Depth=1
	s_delay_alu instid0(SALU_CYCLE_1)
	s_or_b32 exec_lo, exec_lo, s16
.LBB370_1050:                           ;   in Loop: Header=BB370_10 Depth=1
	s_delay_alu instid0(SALU_CYCLE_1) | instskip(SKIP_2) | instid1(VALU_DEP_1)
	s_or_b32 exec_lo, exec_lo, s11
	v_lshrrev_b32_e32 v4, 16, v0
	s_mov_b32 s11, exec_lo
	v_and_b32_e32 v2, 0xff, v4
	s_delay_alu instid0(VALU_DEP_1)
	v_cmpx_ne_u16_e32 0, v2
	s_cbranch_execz .LBB370_1058
; %bb.1051:                             ;   in Loop: Header=BB370_10 Depth=1
	v_bfrev_b32_e32 v14, 1
	s_mov_b32 s16, exec_lo
	v_cmpx_ne_u16_e32 0x80, v2
	s_cbranch_execz .LBB370_1057
; %bb.1052:                             ;   in Loop: Header=BB370_10 Depth=1
	v_bfe_u32 v5, v0, 16, 7
	v_mov_b32_e32 v14, 0x7f800001
	s_mov_b32 s17, exec_lo
	s_delay_alu instid0(VALU_DEP_2)
	v_cmpx_ne_u32_e32 0x7f, v5
	s_cbranch_execz .LBB370_1056
; %bb.1053:                             ;   in Loop: Header=BB370_10 Depth=1
	v_and_b32_e32 v16, 7, v4
	s_mov_b32 s18, exec_lo
	s_delay_alu instid0(VALU_DEP_1)
	v_mov_b64_e32 v[2:3], v[16:17]
	v_lshrrev_b32_e32 v3, 3, v5
	v_cmpx_gt_u32_e32 8, v5
; %bb.1054:                             ;   in Loop: Header=BB370_10 Depth=1
	v_clz_i32_u32_e32 v2, v16
	s_delay_alu instid0(VALU_DEP_1) | instskip(NEXT) | instid1(VALU_DEP_1)
	v_min_u32_e32 v5, 32, v2
	v_subrev_nc_u32_e32 v2, 28, v5
	s_delay_alu instid0(VALU_DEP_1) | instskip(NEXT) | instid1(VALU_DEP_1)
	v_lshlrev_b64_e32 v[2:3], v2, v[16:17]
	v_dual_sub_nc_u32 v3, 29, v5 :: v_dual_bitop2_b32 v2, 7, v2 bitop3:0x40
; %bb.1055:                             ;   in Loop: Header=BB370_10 Depth=1
	s_or_b32 exec_lo, exec_lo, s18
	s_delay_alu instid0(VALU_DEP_1) | instskip(NEXT) | instid1(VALU_DEP_2)
	v_dual_lshlrev_b32 v4, 24, v4 :: v_dual_lshlrev_b32 v2, 20, v2
	v_lshl_add_u32 v3, v3, 23, 0x3c000000
	s_delay_alu instid0(VALU_DEP_2) | instskip(NEXT) | instid1(VALU_DEP_1)
	v_and_b32_e32 v4, 0x80000000, v4
	v_or3_b32 v14, v2, v4, v3
.LBB370_1056:                           ;   in Loop: Header=BB370_10 Depth=1
	s_or_b32 exec_lo, exec_lo, s17
.LBB370_1057:                           ;   in Loop: Header=BB370_10 Depth=1
	s_delay_alu instid0(SALU_CYCLE_1)
	s_or_b32 exec_lo, exec_lo, s16
.LBB370_1058:                           ;   in Loop: Header=BB370_10 Depth=1
	s_delay_alu instid0(SALU_CYCLE_1)
	s_or_b32 exec_lo, exec_lo, s11
	v_dual_mov_b32 v20, 0 :: v_dual_mov_b32 v15, 0
	s_mov_b32 s11, exec_lo
	v_cmpx_lt_u32_e32 0xffffff, v0
	s_cbranch_execz .LBB370_1066
; %bb.1059:                             ;   in Loop: Header=BB370_10 Depth=1
	v_lshrrev_b32_e32 v4, 24, v0
	v_bfrev_b32_e32 v15, 1
	s_mov_b32 s16, exec_lo
	s_delay_alu instid0(VALU_DEP_2)
	v_cmpx_ne_u32_e32 0x80, v4
	s_cbranch_execz .LBB370_1065
; %bb.1060:                             ;   in Loop: Header=BB370_10 Depth=1
	v_bfe_u32 v5, v0, 24, 7
	v_mov_b32_e32 v15, 0x7f800001
	s_mov_b32 s17, exec_lo
	s_delay_alu instid0(VALU_DEP_2)
	v_cmpx_ne_u32_e32 0x7f, v5
	s_cbranch_execz .LBB370_1064
; %bb.1061:                             ;   in Loop: Header=BB370_10 Depth=1
	v_and_b32_e32 v16, 7, v4
	s_mov_b32 s18, exec_lo
	s_delay_alu instid0(VALU_DEP_1)
	v_mov_b64_e32 v[2:3], v[16:17]
	v_lshrrev_b32_e32 v3, 3, v5
	v_cmpx_gt_u32_e32 8, v5
; %bb.1062:                             ;   in Loop: Header=BB370_10 Depth=1
	v_clz_i32_u32_e32 v2, v16
	s_delay_alu instid0(VALU_DEP_1) | instskip(NEXT) | instid1(VALU_DEP_1)
	v_min_u32_e32 v5, 32, v2
	v_subrev_nc_u32_e32 v2, 28, v5
	s_delay_alu instid0(VALU_DEP_1) | instskip(NEXT) | instid1(VALU_DEP_1)
	v_lshlrev_b64_e32 v[2:3], v2, v[16:17]
	v_dual_sub_nc_u32 v3, 29, v5 :: v_dual_bitop2_b32 v2, 7, v2 bitop3:0x40
; %bb.1063:                             ;   in Loop: Header=BB370_10 Depth=1
	s_or_b32 exec_lo, exec_lo, s18
	s_delay_alu instid0(VALU_DEP_1) | instskip(NEXT) | instid1(VALU_DEP_2)
	v_dual_lshlrev_b32 v4, 24, v4 :: v_dual_lshlrev_b32 v2, 20, v2
	v_lshl_add_u32 v3, v3, 23, 0x3c000000
	s_delay_alu instid0(VALU_DEP_2) | instskip(NEXT) | instid1(VALU_DEP_1)
	v_and_b32_e32 v4, 0x80000000, v4
	v_or3_b32 v15, v2, v4, v3
.LBB370_1064:                           ;   in Loop: Header=BB370_10 Depth=1
	s_or_b32 exec_lo, exec_lo, s17
.LBB370_1065:                           ;   in Loop: Header=BB370_10 Depth=1
	s_delay_alu instid0(SALU_CYCLE_1)
	s_or_b32 exec_lo, exec_lo, s16
.LBB370_1066:                           ;   in Loop: Header=BB370_10 Depth=1
	s_delay_alu instid0(SALU_CYCLE_1) | instskip(SKIP_3) | instid1(VALU_DEP_2)
	s_or_b32 exec_lo, exec_lo, s11
	v_and_b32_e32 v2, 0xff, v1
	v_mov_b32_e32 v16, v1
	s_mov_b32 s11, exec_lo
	v_cmpx_ne_u16_e32 0, v2
	s_cbranch_execz .LBB370_1074
; %bb.1067:                             ;   in Loop: Header=BB370_10 Depth=1
	v_bfrev_b32_e32 v20, 1
	s_mov_b32 s16, exec_lo
	v_cmpx_ne_u16_e32 0x80, v2
	s_cbranch_execz .LBB370_1073
; %bb.1068:                             ;   in Loop: Header=BB370_10 Depth=1
	v_and_b32_e32 v4, 0x7f, v1
	v_mov_b32_e32 v20, 0x7f800001
	s_mov_b32 s17, exec_lo
	s_delay_alu instid0(VALU_DEP_2)
	v_cmpx_ne_u32_e32 0x7f, v4
	s_cbranch_execz .LBB370_1072
; %bb.1069:                             ;   in Loop: Header=BB370_10 Depth=1
	v_mov_b64_e32 v[2:3], v[16:17]
	v_lshrrev_b32_e32 v3, 3, v4
	s_mov_b32 s18, exec_lo
	v_cmpx_gt_u32_e32 8, v4
; %bb.1070:                             ;   in Loop: Header=BB370_10 Depth=1
	v_and_b32_e32 v2, 7, v1
	s_delay_alu instid0(VALU_DEP_1) | instskip(NEXT) | instid1(VALU_DEP_1)
	v_clz_i32_u32_e32 v2, v2
	v_min_u32_e32 v4, 32, v2
	s_delay_alu instid0(VALU_DEP_1) | instskip(NEXT) | instid1(VALU_DEP_1)
	v_subrev_nc_u32_e32 v2, 28, v4
	v_lshlrev_b64_e32 v[2:3], v2, v[16:17]
	v_sub_nc_u32_e32 v3, 29, v4
; %bb.1071:                             ;   in Loop: Header=BB370_10 Depth=1
	s_or_b32 exec_lo, exec_lo, s18
	s_delay_alu instid0(VALU_DEP_2) | instskip(NEXT) | instid1(VALU_DEP_2)
	v_dual_lshlrev_b32 v2, 20, v2 :: v_dual_lshlrev_b32 v4, 24, v16
	v_lshl_add_u32 v3, v3, 23, 0x3c000000
	s_delay_alu instid0(VALU_DEP_2) | instskip(NEXT) | instid1(VALU_DEP_3)
	v_and_b32_e32 v2, 0x700000, v2
	v_and_b32_e32 v4, 0x80000000, v4
	s_delay_alu instid0(VALU_DEP_1)
	v_or3_b32 v20, v2, v4, v3
.LBB370_1072:                           ;   in Loop: Header=BB370_10 Depth=1
	s_or_b32 exec_lo, exec_lo, s17
.LBB370_1073:                           ;   in Loop: Header=BB370_10 Depth=1
	s_delay_alu instid0(SALU_CYCLE_1)
	s_or_b32 exec_lo, exec_lo, s16
.LBB370_1074:                           ;   in Loop: Header=BB370_10 Depth=1
	s_delay_alu instid0(SALU_CYCLE_1) | instskip(SKIP_3) | instid1(VALU_DEP_2)
	s_or_b32 exec_lo, exec_lo, s11
	v_lshrrev_b16 v2, 8, v16
	v_dual_mov_b32 v40, 0 :: v_dual_mov_b32 v21, 0
	s_mov_b32 s11, exec_lo
	v_cmpx_ne_u16_e32 0, v2
	s_cbranch_execz .LBB370_1082
; %bb.1075:                             ;   in Loop: Header=BB370_10 Depth=1
	v_bfrev_b32_e32 v21, 1
	s_mov_b32 s16, exec_lo
	v_cmpx_ne_u16_e32 0x80, v2
	s_cbranch_execz .LBB370_1081
; %bb.1076:                             ;   in Loop: Header=BB370_10 Depth=1
	v_and_b32_e32 v2, 0xffff, v2
	v_mov_b32_e32 v21, 0x7f800001
	s_mov_b32 s17, exec_lo
	s_delay_alu instid0(VALU_DEP_2) | instskip(NEXT) | instid1(VALU_DEP_1)
	v_and_b32_e32 v5, 0x7f, v2
	v_cmpx_ne_u32_e32 0x7f, v5
	s_cbranch_execz .LBB370_1080
; %bb.1077:                             ;   in Loop: Header=BB370_10 Depth=1
	v_dual_mov_b32 v3, v17 :: v_dual_bitop2_b32 v2, 7, v2 bitop3:0x40
	v_lshrrev_b32_e32 v4, 3, v5
	s_mov_b32 s18, exec_lo
	v_cmpx_gt_u32_e32 8, v5
; %bb.1078:                             ;   in Loop: Header=BB370_10 Depth=1
	s_delay_alu instid0(VALU_DEP_3) | instskip(NEXT) | instid1(VALU_DEP_1)
	v_clz_i32_u32_e32 v4, v2
	v_min_u32_e32 v4, 32, v4
	s_delay_alu instid0(VALU_DEP_1) | instskip(NEXT) | instid1(VALU_DEP_1)
	v_subrev_nc_u32_e32 v5, 28, v4
	v_lshlrev_b64_e32 v[2:3], v5, v[2:3]
	s_delay_alu instid0(VALU_DEP_1)
	v_dual_sub_nc_u32 v4, 29, v4 :: v_dual_bitop2_b32 v2, 7, v2 bitop3:0x40
; %bb.1079:                             ;   in Loop: Header=BB370_10 Depth=1
	s_or_b32 exec_lo, exec_lo, s18
	s_delay_alu instid0(VALU_DEP_1) | instskip(NEXT) | instid1(VALU_DEP_2)
	v_dual_lshlrev_b32 v3, 16, v16 :: v_dual_lshlrev_b32 v2, 20, v2
	v_lshl_add_u32 v4, v4, 23, 0x3c000000
	s_delay_alu instid0(VALU_DEP_2) | instskip(NEXT) | instid1(VALU_DEP_1)
	v_and_b32_e32 v3, 0x80000000, v3
	v_or3_b32 v21, v2, v3, v4
.LBB370_1080:                           ;   in Loop: Header=BB370_10 Depth=1
	s_or_b32 exec_lo, exec_lo, s17
.LBB370_1081:                           ;   in Loop: Header=BB370_10 Depth=1
	s_delay_alu instid0(SALU_CYCLE_1)
	s_or_b32 exec_lo, exec_lo, s16
.LBB370_1082:                           ;   in Loop: Header=BB370_10 Depth=1
	s_delay_alu instid0(SALU_CYCLE_1) | instskip(SKIP_2) | instid1(VALU_DEP_1)
	s_or_b32 exec_lo, exec_lo, s11
	v_lshrrev_b32_e32 v4, 16, v1
	s_mov_b32 s11, exec_lo
	v_and_b32_e32 v2, 0xff, v4
	s_delay_alu instid0(VALU_DEP_1)
	v_cmpx_ne_u16_e32 0, v2
	s_cbranch_execz .LBB370_1090
; %bb.1083:                             ;   in Loop: Header=BB370_10 Depth=1
	v_bfrev_b32_e32 v40, 1
	s_mov_b32 s16, exec_lo
	v_cmpx_ne_u16_e32 0x80, v2
	s_cbranch_execz .LBB370_1089
; %bb.1084:                             ;   in Loop: Header=BB370_10 Depth=1
	v_bfe_u32 v5, v1, 16, 7
	v_mov_b32_e32 v40, 0x7f800001
	s_mov_b32 s17, exec_lo
	s_delay_alu instid0(VALU_DEP_2)
	v_cmpx_ne_u32_e32 0x7f, v5
	s_cbranch_execz .LBB370_1088
; %bb.1085:                             ;   in Loop: Header=BB370_10 Depth=1
	v_and_b32_e32 v16, 7, v4
	s_mov_b32 s18, exec_lo
	s_delay_alu instid0(VALU_DEP_1)
	v_mov_b64_e32 v[2:3], v[16:17]
	v_lshrrev_b32_e32 v3, 3, v5
	v_cmpx_gt_u32_e32 8, v5
; %bb.1086:                             ;   in Loop: Header=BB370_10 Depth=1
	v_clz_i32_u32_e32 v2, v16
	s_delay_alu instid0(VALU_DEP_1) | instskip(NEXT) | instid1(VALU_DEP_1)
	v_min_u32_e32 v5, 32, v2
	v_subrev_nc_u32_e32 v2, 28, v5
	s_delay_alu instid0(VALU_DEP_1) | instskip(NEXT) | instid1(VALU_DEP_1)
	v_lshlrev_b64_e32 v[2:3], v2, v[16:17]
	v_dual_sub_nc_u32 v3, 29, v5 :: v_dual_bitop2_b32 v2, 7, v2 bitop3:0x40
; %bb.1087:                             ;   in Loop: Header=BB370_10 Depth=1
	s_or_b32 exec_lo, exec_lo, s18
	s_delay_alu instid0(VALU_DEP_1) | instskip(NEXT) | instid1(VALU_DEP_2)
	v_dual_lshlrev_b32 v4, 24, v4 :: v_dual_lshlrev_b32 v2, 20, v2
	v_lshl_add_u32 v3, v3, 23, 0x3c000000
	s_delay_alu instid0(VALU_DEP_2) | instskip(NEXT) | instid1(VALU_DEP_1)
	v_and_b32_e32 v4, 0x80000000, v4
	v_or3_b32 v40, v2, v4, v3
.LBB370_1088:                           ;   in Loop: Header=BB370_10 Depth=1
	s_or_b32 exec_lo, exec_lo, s17
.LBB370_1089:                           ;   in Loop: Header=BB370_10 Depth=1
	s_delay_alu instid0(SALU_CYCLE_1)
	s_or_b32 exec_lo, exec_lo, s16
.LBB370_1090:                           ;   in Loop: Header=BB370_10 Depth=1
	s_delay_alu instid0(SALU_CYCLE_1)
	s_or_b32 exec_lo, exec_lo, s11
	v_dual_mov_b32 v26, 0 :: v_dual_mov_b32 v41, 0
	s_mov_b32 s11, exec_lo
	v_cmpx_lt_u64_e64 s[2:3], v[0:1]
	s_cbranch_execz .LBB370_1098
; %bb.1091:                             ;   in Loop: Header=BB370_10 Depth=1
	v_lshrrev_b32_e32 v2, 24, v1
	v_bfrev_b32_e32 v41, 1
	s_mov_b32 s16, exec_lo
	s_delay_alu instid0(VALU_DEP_2)
	v_cmpx_ne_u32_e32 0x80, v2
	s_cbranch_execz .LBB370_1097
; %bb.1092:                             ;   in Loop: Header=BB370_10 Depth=1
	v_bfe_u32 v3, v1, 24, 7
	v_mov_b32_e32 v41, 0x7f800001
	s_mov_b32 s17, exec_lo
	s_delay_alu instid0(VALU_DEP_2)
	v_cmpx_ne_u32_e32 0x7f, v3
	s_cbranch_execz .LBB370_1096
; %bb.1093:                             ;   in Loop: Header=BB370_10 Depth=1
	v_and_b32_e32 v16, 7, v2
	s_mov_b32 s18, exec_lo
	s_delay_alu instid0(VALU_DEP_1)
	v_mov_b64_e32 v[0:1], v[16:17]
	v_lshrrev_b32_e32 v1, 3, v3
	v_cmpx_gt_u32_e32 8, v3
; %bb.1094:                             ;   in Loop: Header=BB370_10 Depth=1
	v_clz_i32_u32_e32 v0, v16
	s_delay_alu instid0(VALU_DEP_1) | instskip(NEXT) | instid1(VALU_DEP_1)
	v_min_u32_e32 v3, 32, v0
	v_subrev_nc_u32_e32 v0, 28, v3
	s_delay_alu instid0(VALU_DEP_1) | instskip(NEXT) | instid1(VALU_DEP_1)
	v_lshlrev_b64_e32 v[0:1], v0, v[16:17]
	v_dual_sub_nc_u32 v1, 29, v3 :: v_dual_bitop2_b32 v0, 7, v0 bitop3:0x40
; %bb.1095:                             ;   in Loop: Header=BB370_10 Depth=1
	s_or_b32 exec_lo, exec_lo, s18
	s_delay_alu instid0(VALU_DEP_1) | instskip(NEXT) | instid1(VALU_DEP_2)
	v_dual_lshlrev_b32 v2, 24, v2 :: v_dual_lshlrev_b32 v0, 20, v0
	v_lshl_add_u32 v1, v1, 23, 0x3c000000
	s_delay_alu instid0(VALU_DEP_2) | instskip(NEXT) | instid1(VALU_DEP_1)
	v_and_b32_e32 v2, 0x80000000, v2
	v_or3_b32 v41, v0, v2, v1
.LBB370_1096:                           ;   in Loop: Header=BB370_10 Depth=1
	s_or_b32 exec_lo, exec_lo, s17
.LBB370_1097:                           ;   in Loop: Header=BB370_10 Depth=1
	s_delay_alu instid0(SALU_CYCLE_1)
	s_or_b32 exec_lo, exec_lo, s16
.LBB370_1098:                           ;   in Loop: Header=BB370_10 Depth=1
	s_delay_alu instid0(SALU_CYCLE_1)
	s_or_b32 exec_lo, exec_lo, s11
	flat_load_b64 v[0:1], v[32:33] offset:4104
	s_mov_b32 s11, exec_lo
	s_wait_loadcnt_dscnt 0x0
	v_and_b32_e32 v2, 0xff, v0
	s_wait_xcnt 0x0
	s_delay_alu instid0(VALU_DEP_1)
	v_cmpx_ne_u16_e32 0, v2
	s_cbranch_execz .LBB370_1106
; %bb.1099:                             ;   in Loop: Header=BB370_10 Depth=1
	v_bfrev_b32_e32 v26, 1
	s_mov_b32 s16, exec_lo
	v_cmpx_ne_u16_e32 0x80, v2
	s_cbranch_execz .LBB370_1105
; %bb.1100:                             ;   in Loop: Header=BB370_10 Depth=1
	v_and_b32_e32 v2, 0x7f, v0
	v_mov_b32_e32 v26, 0x7f800001
	s_mov_b32 s17, exec_lo
	s_delay_alu instid0(VALU_DEP_2)
	v_cmpx_ne_u32_e32 0x7f, v2
	s_cbranch_execz .LBB370_1104
; %bb.1101:                             ;   in Loop: Header=BB370_10 Depth=1
	v_lshrrev_b32_e32 v4, 3, v2
	v_cmp_gt_u32_e64 s1, 8, v2
	v_mov_b64_e32 v[2:3], v[0:1]
	s_and_saveexec_b32 s18, s1
; %bb.1102:                             ;   in Loop: Header=BB370_10 Depth=1
	v_and_b32_e32 v2, 7, v0
	s_delay_alu instid0(VALU_DEP_1) | instskip(NEXT) | instid1(VALU_DEP_1)
	v_clz_i32_u32_e32 v2, v2
	v_min_u32_e32 v4, 32, v2
	s_delay_alu instid0(VALU_DEP_1) | instskip(SKIP_1) | instid1(VALU_DEP_2)
	v_subrev_nc_u32_e32 v2, 28, v4
	v_sub_nc_u32_e32 v4, 29, v4
	v_lshlrev_b64_e32 v[2:3], v2, v[0:1]
; %bb.1103:                             ;   in Loop: Header=BB370_10 Depth=1
	s_or_b32 exec_lo, exec_lo, s18
	s_delay_alu instid0(VALU_DEP_1) | instskip(NEXT) | instid1(VALU_DEP_3)
	v_dual_lshlrev_b32 v2, 20, v2 :: v_dual_lshlrev_b32 v3, 24, v0
	v_lshl_add_u32 v4, v4, 23, 0x3c000000
	s_delay_alu instid0(VALU_DEP_2) | instskip(NEXT) | instid1(VALU_DEP_3)
	v_and_b32_e32 v2, 0x700000, v2
	v_and_b32_e32 v3, 0x80000000, v3
	s_delay_alu instid0(VALU_DEP_1)
	v_or3_b32 v26, v2, v3, v4
.LBB370_1104:                           ;   in Loop: Header=BB370_10 Depth=1
	s_or_b32 exec_lo, exec_lo, s17
.LBB370_1105:                           ;   in Loop: Header=BB370_10 Depth=1
	s_delay_alu instid0(SALU_CYCLE_1)
	s_or_b32 exec_lo, exec_lo, s16
.LBB370_1106:                           ;   in Loop: Header=BB370_10 Depth=1
	s_delay_alu instid0(SALU_CYCLE_1) | instskip(SKIP_3) | instid1(VALU_DEP_2)
	s_or_b32 exec_lo, exec_lo, s11
	v_lshrrev_b16 v2, 8, v0
	v_dual_mov_b32 v118, 0 :: v_dual_mov_b32 v27, 0
	s_mov_b32 s11, exec_lo
	v_cmpx_ne_u16_e32 0, v2
	s_cbranch_execz .LBB370_1114
; %bb.1107:                             ;   in Loop: Header=BB370_10 Depth=1
	v_bfrev_b32_e32 v27, 1
	s_mov_b32 s16, exec_lo
	v_cmpx_ne_u16_e32 0x80, v2
	s_cbranch_execz .LBB370_1113
; %bb.1108:                             ;   in Loop: Header=BB370_10 Depth=1
	v_and_b32_e32 v2, 0xffff, v2
	v_mov_b32_e32 v27, 0x7f800001
	s_mov_b32 s17, exec_lo
	s_delay_alu instid0(VALU_DEP_2) | instskip(NEXT) | instid1(VALU_DEP_1)
	v_and_b32_e32 v4, 0x7f, v2
	v_cmpx_ne_u32_e32 0x7f, v4
	s_cbranch_execz .LBB370_1112
; %bb.1109:                             ;   in Loop: Header=BB370_10 Depth=1
	v_and_b32_e32 v16, 7, v2
	s_mov_b32 s18, exec_lo
	s_delay_alu instid0(VALU_DEP_1)
	v_mov_b64_e32 v[2:3], v[16:17]
	v_lshrrev_b32_e32 v3, 3, v4
	v_cmpx_gt_u32_e32 8, v4
; %bb.1110:                             ;   in Loop: Header=BB370_10 Depth=1
	v_clz_i32_u32_e32 v2, v16
	s_delay_alu instid0(VALU_DEP_1) | instskip(NEXT) | instid1(VALU_DEP_1)
	v_min_u32_e32 v4, 32, v2
	v_subrev_nc_u32_e32 v2, 28, v4
	s_delay_alu instid0(VALU_DEP_1) | instskip(NEXT) | instid1(VALU_DEP_1)
	v_lshlrev_b64_e32 v[2:3], v2, v[16:17]
	v_dual_sub_nc_u32 v3, 29, v4 :: v_dual_bitop2_b32 v2, 7, v2 bitop3:0x40
; %bb.1111:                             ;   in Loop: Header=BB370_10 Depth=1
	s_or_b32 exec_lo, exec_lo, s18
	s_delay_alu instid0(VALU_DEP_1) | instskip(NEXT) | instid1(VALU_DEP_2)
	v_dual_lshlrev_b32 v4, 16, v0 :: v_dual_lshlrev_b32 v2, 20, v2
	v_lshl_add_u32 v3, v3, 23, 0x3c000000
	s_delay_alu instid0(VALU_DEP_2) | instskip(NEXT) | instid1(VALU_DEP_1)
	v_and_b32_e32 v4, 0x80000000, v4
	v_or3_b32 v27, v2, v4, v3
.LBB370_1112:                           ;   in Loop: Header=BB370_10 Depth=1
	s_or_b32 exec_lo, exec_lo, s17
.LBB370_1113:                           ;   in Loop: Header=BB370_10 Depth=1
	s_delay_alu instid0(SALU_CYCLE_1)
	s_or_b32 exec_lo, exec_lo, s16
.LBB370_1114:                           ;   in Loop: Header=BB370_10 Depth=1
	s_delay_alu instid0(SALU_CYCLE_1) | instskip(SKIP_2) | instid1(VALU_DEP_1)
	s_or_b32 exec_lo, exec_lo, s11
	v_lshrrev_b32_e32 v4, 16, v0
	s_mov_b32 s11, exec_lo
	v_and_b32_e32 v2, 0xff, v4
	s_delay_alu instid0(VALU_DEP_1)
	v_cmpx_ne_u16_e32 0, v2
	s_cbranch_execz .LBB370_1122
; %bb.1115:                             ;   in Loop: Header=BB370_10 Depth=1
	v_bfrev_b32_e32 v118, 1
	s_mov_b32 s16, exec_lo
	v_cmpx_ne_u16_e32 0x80, v2
	s_cbranch_execz .LBB370_1121
; %bb.1116:                             ;   in Loop: Header=BB370_10 Depth=1
	v_bfe_u32 v5, v0, 16, 7
	v_mov_b32_e32 v118, 0x7f800001
	s_mov_b32 s17, exec_lo
	s_delay_alu instid0(VALU_DEP_2)
	v_cmpx_ne_u32_e32 0x7f, v5
	s_cbranch_execz .LBB370_1120
; %bb.1117:                             ;   in Loop: Header=BB370_10 Depth=1
	v_and_b32_e32 v16, 7, v4
	s_mov_b32 s18, exec_lo
	s_delay_alu instid0(VALU_DEP_1)
	v_mov_b64_e32 v[2:3], v[16:17]
	v_lshrrev_b32_e32 v3, 3, v5
	v_cmpx_gt_u32_e32 8, v5
; %bb.1118:                             ;   in Loop: Header=BB370_10 Depth=1
	v_clz_i32_u32_e32 v2, v16
	s_delay_alu instid0(VALU_DEP_1) | instskip(NEXT) | instid1(VALU_DEP_1)
	v_min_u32_e32 v5, 32, v2
	v_subrev_nc_u32_e32 v2, 28, v5
	s_delay_alu instid0(VALU_DEP_1) | instskip(NEXT) | instid1(VALU_DEP_1)
	v_lshlrev_b64_e32 v[2:3], v2, v[16:17]
	v_dual_sub_nc_u32 v3, 29, v5 :: v_dual_bitop2_b32 v2, 7, v2 bitop3:0x40
; %bb.1119:                             ;   in Loop: Header=BB370_10 Depth=1
	s_or_b32 exec_lo, exec_lo, s18
	s_delay_alu instid0(VALU_DEP_1) | instskip(NEXT) | instid1(VALU_DEP_2)
	v_dual_lshlrev_b32 v4, 24, v4 :: v_dual_lshlrev_b32 v2, 20, v2
	v_lshl_add_u32 v3, v3, 23, 0x3c000000
	s_delay_alu instid0(VALU_DEP_2) | instskip(NEXT) | instid1(VALU_DEP_1)
	v_and_b32_e32 v4, 0x80000000, v4
	v_or3_b32 v118, v2, v4, v3
.LBB370_1120:                           ;   in Loop: Header=BB370_10 Depth=1
	s_or_b32 exec_lo, exec_lo, s17
.LBB370_1121:                           ;   in Loop: Header=BB370_10 Depth=1
	s_delay_alu instid0(SALU_CYCLE_1)
	s_or_b32 exec_lo, exec_lo, s16
.LBB370_1122:                           ;   in Loop: Header=BB370_10 Depth=1
	s_delay_alu instid0(SALU_CYCLE_1)
	s_or_b32 exec_lo, exec_lo, s11
	v_dual_mov_b32 v22, 0 :: v_dual_mov_b32 v119, 0
	s_mov_b32 s11, exec_lo
	v_cmpx_lt_u32_e32 0xffffff, v0
	s_cbranch_execz .LBB370_1130
; %bb.1123:                             ;   in Loop: Header=BB370_10 Depth=1
	v_lshrrev_b32_e32 v4, 24, v0
	v_bfrev_b32_e32 v119, 1
	s_mov_b32 s16, exec_lo
	s_delay_alu instid0(VALU_DEP_2)
	v_cmpx_ne_u32_e32 0x80, v4
	s_cbranch_execz .LBB370_1129
; %bb.1124:                             ;   in Loop: Header=BB370_10 Depth=1
	v_bfe_u32 v5, v0, 24, 7
	v_mov_b32_e32 v119, 0x7f800001
	s_mov_b32 s17, exec_lo
	s_delay_alu instid0(VALU_DEP_2)
	v_cmpx_ne_u32_e32 0x7f, v5
	s_cbranch_execz .LBB370_1128
; %bb.1125:                             ;   in Loop: Header=BB370_10 Depth=1
	v_and_b32_e32 v16, 7, v4
	s_mov_b32 s18, exec_lo
	s_delay_alu instid0(VALU_DEP_1)
	v_mov_b64_e32 v[2:3], v[16:17]
	v_lshrrev_b32_e32 v3, 3, v5
	v_cmpx_gt_u32_e32 8, v5
; %bb.1126:                             ;   in Loop: Header=BB370_10 Depth=1
	v_clz_i32_u32_e32 v2, v16
	s_delay_alu instid0(VALU_DEP_1) | instskip(NEXT) | instid1(VALU_DEP_1)
	v_min_u32_e32 v5, 32, v2
	v_subrev_nc_u32_e32 v2, 28, v5
	s_delay_alu instid0(VALU_DEP_1) | instskip(NEXT) | instid1(VALU_DEP_1)
	v_lshlrev_b64_e32 v[2:3], v2, v[16:17]
	v_dual_sub_nc_u32 v3, 29, v5 :: v_dual_bitop2_b32 v2, 7, v2 bitop3:0x40
; %bb.1127:                             ;   in Loop: Header=BB370_10 Depth=1
	s_or_b32 exec_lo, exec_lo, s18
	s_delay_alu instid0(VALU_DEP_1) | instskip(NEXT) | instid1(VALU_DEP_2)
	v_dual_lshlrev_b32 v4, 24, v4 :: v_dual_lshlrev_b32 v2, 20, v2
	v_lshl_add_u32 v3, v3, 23, 0x3c000000
	s_delay_alu instid0(VALU_DEP_2) | instskip(NEXT) | instid1(VALU_DEP_1)
	v_and_b32_e32 v4, 0x80000000, v4
	v_or3_b32 v119, v2, v4, v3
.LBB370_1128:                           ;   in Loop: Header=BB370_10 Depth=1
	s_or_b32 exec_lo, exec_lo, s17
.LBB370_1129:                           ;   in Loop: Header=BB370_10 Depth=1
	s_delay_alu instid0(SALU_CYCLE_1)
	s_or_b32 exec_lo, exec_lo, s16
.LBB370_1130:                           ;   in Loop: Header=BB370_10 Depth=1
	s_delay_alu instid0(SALU_CYCLE_1) | instskip(SKIP_3) | instid1(VALU_DEP_2)
	s_or_b32 exec_lo, exec_lo, s11
	v_and_b32_e32 v2, 0xff, v1
	v_mov_b32_e32 v16, v1
	s_mov_b32 s11, exec_lo
	v_cmpx_ne_u16_e32 0, v2
	s_cbranch_execz .LBB370_1138
; %bb.1131:                             ;   in Loop: Header=BB370_10 Depth=1
	v_bfrev_b32_e32 v22, 1
	s_mov_b32 s16, exec_lo
	v_cmpx_ne_u16_e32 0x80, v2
	s_cbranch_execz .LBB370_1137
; %bb.1132:                             ;   in Loop: Header=BB370_10 Depth=1
	v_and_b32_e32 v4, 0x7f, v1
	v_mov_b32_e32 v22, 0x7f800001
	s_mov_b32 s17, exec_lo
	s_delay_alu instid0(VALU_DEP_2)
	v_cmpx_ne_u32_e32 0x7f, v4
	s_cbranch_execz .LBB370_1136
; %bb.1133:                             ;   in Loop: Header=BB370_10 Depth=1
	v_mov_b64_e32 v[2:3], v[16:17]
	v_lshrrev_b32_e32 v3, 3, v4
	s_mov_b32 s18, exec_lo
	v_cmpx_gt_u32_e32 8, v4
; %bb.1134:                             ;   in Loop: Header=BB370_10 Depth=1
	v_and_b32_e32 v2, 7, v1
	s_delay_alu instid0(VALU_DEP_1) | instskip(NEXT) | instid1(VALU_DEP_1)
	v_clz_i32_u32_e32 v2, v2
	v_min_u32_e32 v4, 32, v2
	s_delay_alu instid0(VALU_DEP_1) | instskip(NEXT) | instid1(VALU_DEP_1)
	v_subrev_nc_u32_e32 v2, 28, v4
	v_lshlrev_b64_e32 v[2:3], v2, v[16:17]
	v_sub_nc_u32_e32 v3, 29, v4
; %bb.1135:                             ;   in Loop: Header=BB370_10 Depth=1
	s_or_b32 exec_lo, exec_lo, s18
	s_delay_alu instid0(VALU_DEP_2) | instskip(NEXT) | instid1(VALU_DEP_2)
	v_dual_lshlrev_b32 v2, 20, v2 :: v_dual_lshlrev_b32 v4, 24, v16
	v_lshl_add_u32 v3, v3, 23, 0x3c000000
	s_delay_alu instid0(VALU_DEP_2) | instskip(NEXT) | instid1(VALU_DEP_3)
	v_and_b32_e32 v2, 0x700000, v2
	v_and_b32_e32 v4, 0x80000000, v4
	s_delay_alu instid0(VALU_DEP_1)
	v_or3_b32 v22, v2, v4, v3
.LBB370_1136:                           ;   in Loop: Header=BB370_10 Depth=1
	s_or_b32 exec_lo, exec_lo, s17
.LBB370_1137:                           ;   in Loop: Header=BB370_10 Depth=1
	s_delay_alu instid0(SALU_CYCLE_1)
	s_or_b32 exec_lo, exec_lo, s16
.LBB370_1138:                           ;   in Loop: Header=BB370_10 Depth=1
	s_delay_alu instid0(SALU_CYCLE_1) | instskip(SKIP_3) | instid1(VALU_DEP_2)
	s_or_b32 exec_lo, exec_lo, s11
	v_lshrrev_b16 v2, 8, v16
	v_dual_mov_b32 v76, 0 :: v_dual_mov_b32 v23, 0
	s_mov_b32 s11, exec_lo
	v_cmpx_ne_u16_e32 0, v2
	s_cbranch_execz .LBB370_1146
; %bb.1139:                             ;   in Loop: Header=BB370_10 Depth=1
	v_bfrev_b32_e32 v23, 1
	s_mov_b32 s16, exec_lo
	v_cmpx_ne_u16_e32 0x80, v2
	s_cbranch_execz .LBB370_1145
; %bb.1140:                             ;   in Loop: Header=BB370_10 Depth=1
	v_and_b32_e32 v2, 0xffff, v2
	v_mov_b32_e32 v23, 0x7f800001
	s_mov_b32 s17, exec_lo
	s_delay_alu instid0(VALU_DEP_2) | instskip(NEXT) | instid1(VALU_DEP_1)
	v_and_b32_e32 v5, 0x7f, v2
	v_cmpx_ne_u32_e32 0x7f, v5
	s_cbranch_execz .LBB370_1144
; %bb.1141:                             ;   in Loop: Header=BB370_10 Depth=1
	v_dual_mov_b32 v3, v17 :: v_dual_bitop2_b32 v2, 7, v2 bitop3:0x40
	v_lshrrev_b32_e32 v4, 3, v5
	s_mov_b32 s18, exec_lo
	v_cmpx_gt_u32_e32 8, v5
; %bb.1142:                             ;   in Loop: Header=BB370_10 Depth=1
	s_delay_alu instid0(VALU_DEP_3) | instskip(NEXT) | instid1(VALU_DEP_1)
	v_clz_i32_u32_e32 v4, v2
	v_min_u32_e32 v4, 32, v4
	s_delay_alu instid0(VALU_DEP_1) | instskip(NEXT) | instid1(VALU_DEP_1)
	v_subrev_nc_u32_e32 v5, 28, v4
	v_lshlrev_b64_e32 v[2:3], v5, v[2:3]
	s_delay_alu instid0(VALU_DEP_1)
	v_dual_sub_nc_u32 v4, 29, v4 :: v_dual_bitop2_b32 v2, 7, v2 bitop3:0x40
; %bb.1143:                             ;   in Loop: Header=BB370_10 Depth=1
	s_or_b32 exec_lo, exec_lo, s18
	s_delay_alu instid0(VALU_DEP_1) | instskip(NEXT) | instid1(VALU_DEP_2)
	v_dual_lshlrev_b32 v3, 16, v16 :: v_dual_lshlrev_b32 v2, 20, v2
	v_lshl_add_u32 v4, v4, 23, 0x3c000000
	s_delay_alu instid0(VALU_DEP_2) | instskip(NEXT) | instid1(VALU_DEP_1)
	v_and_b32_e32 v3, 0x80000000, v3
	v_or3_b32 v23, v2, v3, v4
.LBB370_1144:                           ;   in Loop: Header=BB370_10 Depth=1
	s_or_b32 exec_lo, exec_lo, s17
.LBB370_1145:                           ;   in Loop: Header=BB370_10 Depth=1
	s_delay_alu instid0(SALU_CYCLE_1)
	s_or_b32 exec_lo, exec_lo, s16
.LBB370_1146:                           ;   in Loop: Header=BB370_10 Depth=1
	s_delay_alu instid0(SALU_CYCLE_1) | instskip(SKIP_2) | instid1(VALU_DEP_1)
	s_or_b32 exec_lo, exec_lo, s11
	v_lshrrev_b32_e32 v4, 16, v1
	s_mov_b32 s11, exec_lo
	v_and_b32_e32 v2, 0xff, v4
	s_delay_alu instid0(VALU_DEP_1)
	v_cmpx_ne_u16_e32 0, v2
	s_cbranch_execz .LBB370_1154
; %bb.1147:                             ;   in Loop: Header=BB370_10 Depth=1
	v_bfrev_b32_e32 v76, 1
	s_mov_b32 s16, exec_lo
	v_cmpx_ne_u16_e32 0x80, v2
	s_cbranch_execz .LBB370_1153
; %bb.1148:                             ;   in Loop: Header=BB370_10 Depth=1
	v_bfe_u32 v5, v1, 16, 7
	v_mov_b32_e32 v76, 0x7f800001
	s_mov_b32 s17, exec_lo
	s_delay_alu instid0(VALU_DEP_2)
	v_cmpx_ne_u32_e32 0x7f, v5
	s_cbranch_execz .LBB370_1152
; %bb.1149:                             ;   in Loop: Header=BB370_10 Depth=1
	v_and_b32_e32 v16, 7, v4
	s_mov_b32 s18, exec_lo
	s_delay_alu instid0(VALU_DEP_1)
	v_mov_b64_e32 v[2:3], v[16:17]
	v_lshrrev_b32_e32 v3, 3, v5
	v_cmpx_gt_u32_e32 8, v5
; %bb.1150:                             ;   in Loop: Header=BB370_10 Depth=1
	v_clz_i32_u32_e32 v2, v16
	s_delay_alu instid0(VALU_DEP_1) | instskip(NEXT) | instid1(VALU_DEP_1)
	v_min_u32_e32 v5, 32, v2
	v_subrev_nc_u32_e32 v2, 28, v5
	s_delay_alu instid0(VALU_DEP_1) | instskip(NEXT) | instid1(VALU_DEP_1)
	v_lshlrev_b64_e32 v[2:3], v2, v[16:17]
	v_dual_sub_nc_u32 v3, 29, v5 :: v_dual_bitop2_b32 v2, 7, v2 bitop3:0x40
; %bb.1151:                             ;   in Loop: Header=BB370_10 Depth=1
	s_or_b32 exec_lo, exec_lo, s18
	s_delay_alu instid0(VALU_DEP_1) | instskip(NEXT) | instid1(VALU_DEP_2)
	v_dual_lshlrev_b32 v4, 24, v4 :: v_dual_lshlrev_b32 v2, 20, v2
	v_lshl_add_u32 v3, v3, 23, 0x3c000000
	s_delay_alu instid0(VALU_DEP_2) | instskip(NEXT) | instid1(VALU_DEP_1)
	v_and_b32_e32 v4, 0x80000000, v4
	v_or3_b32 v76, v2, v4, v3
.LBB370_1152:                           ;   in Loop: Header=BB370_10 Depth=1
	s_or_b32 exec_lo, exec_lo, s17
.LBB370_1153:                           ;   in Loop: Header=BB370_10 Depth=1
	s_delay_alu instid0(SALU_CYCLE_1)
	s_or_b32 exec_lo, exec_lo, s16
.LBB370_1154:                           ;   in Loop: Header=BB370_10 Depth=1
	s_delay_alu instid0(SALU_CYCLE_1)
	s_or_b32 exec_lo, exec_lo, s11
	v_dual_mov_b32 v44, 0 :: v_dual_mov_b32 v77, 0
	s_mov_b32 s11, exec_lo
	v_cmpx_lt_u64_e64 s[2:3], v[0:1]
	s_cbranch_execz .LBB370_1162
; %bb.1155:                             ;   in Loop: Header=BB370_10 Depth=1
	v_lshrrev_b32_e32 v2, 24, v1
	v_bfrev_b32_e32 v77, 1
	s_mov_b32 s16, exec_lo
	s_delay_alu instid0(VALU_DEP_2)
	v_cmpx_ne_u32_e32 0x80, v2
	s_cbranch_execz .LBB370_1161
; %bb.1156:                             ;   in Loop: Header=BB370_10 Depth=1
	v_bfe_u32 v3, v1, 24, 7
	v_mov_b32_e32 v77, 0x7f800001
	s_mov_b32 s17, exec_lo
	s_delay_alu instid0(VALU_DEP_2)
	v_cmpx_ne_u32_e32 0x7f, v3
	s_cbranch_execz .LBB370_1160
; %bb.1157:                             ;   in Loop: Header=BB370_10 Depth=1
	v_and_b32_e32 v16, 7, v2
	s_mov_b32 s18, exec_lo
	s_delay_alu instid0(VALU_DEP_1)
	v_mov_b64_e32 v[0:1], v[16:17]
	v_lshrrev_b32_e32 v1, 3, v3
	v_cmpx_gt_u32_e32 8, v3
; %bb.1158:                             ;   in Loop: Header=BB370_10 Depth=1
	v_clz_i32_u32_e32 v0, v16
	s_delay_alu instid0(VALU_DEP_1) | instskip(NEXT) | instid1(VALU_DEP_1)
	v_min_u32_e32 v3, 32, v0
	v_subrev_nc_u32_e32 v0, 28, v3
	s_delay_alu instid0(VALU_DEP_1) | instskip(NEXT) | instid1(VALU_DEP_1)
	v_lshlrev_b64_e32 v[0:1], v0, v[16:17]
	v_dual_sub_nc_u32 v1, 29, v3 :: v_dual_bitop2_b32 v0, 7, v0 bitop3:0x40
; %bb.1159:                             ;   in Loop: Header=BB370_10 Depth=1
	s_or_b32 exec_lo, exec_lo, s18
	s_delay_alu instid0(VALU_DEP_1) | instskip(NEXT) | instid1(VALU_DEP_2)
	v_dual_lshlrev_b32 v2, 24, v2 :: v_dual_lshlrev_b32 v0, 20, v0
	v_lshl_add_u32 v1, v1, 23, 0x3c000000
	s_delay_alu instid0(VALU_DEP_2) | instskip(NEXT) | instid1(VALU_DEP_1)
	v_and_b32_e32 v2, 0x80000000, v2
	v_or3_b32 v77, v0, v2, v1
.LBB370_1160:                           ;   in Loop: Header=BB370_10 Depth=1
	s_or_b32 exec_lo, exec_lo, s17
.LBB370_1161:                           ;   in Loop: Header=BB370_10 Depth=1
	s_delay_alu instid0(SALU_CYCLE_1)
	s_or_b32 exec_lo, exec_lo, s16
.LBB370_1162:                           ;   in Loop: Header=BB370_10 Depth=1
	s_delay_alu instid0(SALU_CYCLE_1)
	s_or_b32 exec_lo, exec_lo, s11
	flat_load_b64 v[0:1], v[32:33] offset:4608
	s_mov_b32 s11, exec_lo
	s_wait_loadcnt_dscnt 0x0
	v_and_b32_e32 v2, 0xff, v0
	s_wait_xcnt 0x0
	s_delay_alu instid0(VALU_DEP_1)
	v_cmpx_ne_u16_e32 0, v2
	s_cbranch_execz .LBB370_1170
; %bb.1163:                             ;   in Loop: Header=BB370_10 Depth=1
	v_bfrev_b32_e32 v44, 1
	s_mov_b32 s16, exec_lo
	v_cmpx_ne_u16_e32 0x80, v2
	s_cbranch_execz .LBB370_1169
; %bb.1164:                             ;   in Loop: Header=BB370_10 Depth=1
	v_and_b32_e32 v2, 0x7f, v0
	v_mov_b32_e32 v44, 0x7f800001
	s_mov_b32 s17, exec_lo
	s_delay_alu instid0(VALU_DEP_2)
	v_cmpx_ne_u32_e32 0x7f, v2
	s_cbranch_execz .LBB370_1168
; %bb.1165:                             ;   in Loop: Header=BB370_10 Depth=1
	v_lshrrev_b32_e32 v4, 3, v2
	v_cmp_gt_u32_e64 s1, 8, v2
	v_mov_b64_e32 v[2:3], v[0:1]
	s_and_saveexec_b32 s18, s1
; %bb.1166:                             ;   in Loop: Header=BB370_10 Depth=1
	v_and_b32_e32 v2, 7, v0
	s_delay_alu instid0(VALU_DEP_1) | instskip(NEXT) | instid1(VALU_DEP_1)
	v_clz_i32_u32_e32 v2, v2
	v_min_u32_e32 v4, 32, v2
	s_delay_alu instid0(VALU_DEP_1) | instskip(SKIP_1) | instid1(VALU_DEP_2)
	v_subrev_nc_u32_e32 v2, 28, v4
	v_sub_nc_u32_e32 v4, 29, v4
	v_lshlrev_b64_e32 v[2:3], v2, v[0:1]
; %bb.1167:                             ;   in Loop: Header=BB370_10 Depth=1
	s_or_b32 exec_lo, exec_lo, s18
	s_delay_alu instid0(VALU_DEP_1) | instskip(NEXT) | instid1(VALU_DEP_3)
	v_dual_lshlrev_b32 v2, 20, v2 :: v_dual_lshlrev_b32 v3, 24, v0
	v_lshl_add_u32 v4, v4, 23, 0x3c000000
	s_delay_alu instid0(VALU_DEP_2) | instskip(NEXT) | instid1(VALU_DEP_3)
	v_and_b32_e32 v2, 0x700000, v2
	v_and_b32_e32 v3, 0x80000000, v3
	s_delay_alu instid0(VALU_DEP_1)
	v_or3_b32 v44, v2, v3, v4
.LBB370_1168:                           ;   in Loop: Header=BB370_10 Depth=1
	s_or_b32 exec_lo, exec_lo, s17
.LBB370_1169:                           ;   in Loop: Header=BB370_10 Depth=1
	s_delay_alu instid0(SALU_CYCLE_1)
	s_or_b32 exec_lo, exec_lo, s16
.LBB370_1170:                           ;   in Loop: Header=BB370_10 Depth=1
	s_delay_alu instid0(SALU_CYCLE_1) | instskip(SKIP_3) | instid1(VALU_DEP_2)
	s_or_b32 exec_lo, exec_lo, s11
	v_lshrrev_b16 v2, 8, v0
	v_dual_mov_b32 v34, 0 :: v_dual_mov_b32 v45, 0
	s_mov_b32 s11, exec_lo
	v_cmpx_ne_u16_e32 0, v2
	s_cbranch_execz .LBB370_1178
; %bb.1171:                             ;   in Loop: Header=BB370_10 Depth=1
	v_bfrev_b32_e32 v45, 1
	s_mov_b32 s16, exec_lo
	v_cmpx_ne_u16_e32 0x80, v2
	s_cbranch_execz .LBB370_1177
; %bb.1172:                             ;   in Loop: Header=BB370_10 Depth=1
	v_and_b32_e32 v2, 0xffff, v2
	v_mov_b32_e32 v45, 0x7f800001
	s_mov_b32 s17, exec_lo
	s_delay_alu instid0(VALU_DEP_2) | instskip(NEXT) | instid1(VALU_DEP_1)
	v_and_b32_e32 v4, 0x7f, v2
	v_cmpx_ne_u32_e32 0x7f, v4
	s_cbranch_execz .LBB370_1176
; %bb.1173:                             ;   in Loop: Header=BB370_10 Depth=1
	v_and_b32_e32 v16, 7, v2
	s_mov_b32 s18, exec_lo
	s_delay_alu instid0(VALU_DEP_1)
	v_mov_b64_e32 v[2:3], v[16:17]
	v_lshrrev_b32_e32 v3, 3, v4
	v_cmpx_gt_u32_e32 8, v4
; %bb.1174:                             ;   in Loop: Header=BB370_10 Depth=1
	v_clz_i32_u32_e32 v2, v16
	s_delay_alu instid0(VALU_DEP_1) | instskip(NEXT) | instid1(VALU_DEP_1)
	v_min_u32_e32 v4, 32, v2
	v_subrev_nc_u32_e32 v2, 28, v4
	s_delay_alu instid0(VALU_DEP_1) | instskip(NEXT) | instid1(VALU_DEP_1)
	v_lshlrev_b64_e32 v[2:3], v2, v[16:17]
	v_dual_sub_nc_u32 v3, 29, v4 :: v_dual_bitop2_b32 v2, 7, v2 bitop3:0x40
; %bb.1175:                             ;   in Loop: Header=BB370_10 Depth=1
	s_or_b32 exec_lo, exec_lo, s18
	s_delay_alu instid0(VALU_DEP_1) | instskip(NEXT) | instid1(VALU_DEP_2)
	v_dual_lshlrev_b32 v4, 16, v0 :: v_dual_lshlrev_b32 v2, 20, v2
	v_lshl_add_u32 v3, v3, 23, 0x3c000000
	s_delay_alu instid0(VALU_DEP_2) | instskip(NEXT) | instid1(VALU_DEP_1)
	v_and_b32_e32 v4, 0x80000000, v4
	v_or3_b32 v45, v2, v4, v3
.LBB370_1176:                           ;   in Loop: Header=BB370_10 Depth=1
	s_or_b32 exec_lo, exec_lo, s17
.LBB370_1177:                           ;   in Loop: Header=BB370_10 Depth=1
	s_delay_alu instid0(SALU_CYCLE_1)
	s_or_b32 exec_lo, exec_lo, s16
.LBB370_1178:                           ;   in Loop: Header=BB370_10 Depth=1
	s_delay_alu instid0(SALU_CYCLE_1) | instskip(SKIP_2) | instid1(VALU_DEP_1)
	s_or_b32 exec_lo, exec_lo, s11
	v_lshrrev_b32_e32 v4, 16, v0
	s_mov_b32 s11, exec_lo
	v_and_b32_e32 v2, 0xff, v4
	s_delay_alu instid0(VALU_DEP_1)
	v_cmpx_ne_u16_e32 0, v2
	s_cbranch_execz .LBB370_1186
; %bb.1179:                             ;   in Loop: Header=BB370_10 Depth=1
	v_bfrev_b32_e32 v34, 1
	s_mov_b32 s16, exec_lo
	v_cmpx_ne_u16_e32 0x80, v2
	s_cbranch_execz .LBB370_1185
; %bb.1180:                             ;   in Loop: Header=BB370_10 Depth=1
	v_bfe_u32 v5, v0, 16, 7
	v_mov_b32_e32 v34, 0x7f800001
	s_mov_b32 s17, exec_lo
	s_delay_alu instid0(VALU_DEP_2)
	v_cmpx_ne_u32_e32 0x7f, v5
	s_cbranch_execz .LBB370_1184
; %bb.1181:                             ;   in Loop: Header=BB370_10 Depth=1
	v_and_b32_e32 v16, 7, v4
	s_mov_b32 s18, exec_lo
	s_delay_alu instid0(VALU_DEP_1)
	v_mov_b64_e32 v[2:3], v[16:17]
	v_lshrrev_b32_e32 v3, 3, v5
	v_cmpx_gt_u32_e32 8, v5
; %bb.1182:                             ;   in Loop: Header=BB370_10 Depth=1
	v_clz_i32_u32_e32 v2, v16
	s_delay_alu instid0(VALU_DEP_1) | instskip(NEXT) | instid1(VALU_DEP_1)
	v_min_u32_e32 v5, 32, v2
	v_subrev_nc_u32_e32 v2, 28, v5
	s_delay_alu instid0(VALU_DEP_1) | instskip(NEXT) | instid1(VALU_DEP_1)
	v_lshlrev_b64_e32 v[2:3], v2, v[16:17]
	v_dual_sub_nc_u32 v3, 29, v5 :: v_dual_bitop2_b32 v2, 7, v2 bitop3:0x40
; %bb.1183:                             ;   in Loop: Header=BB370_10 Depth=1
	s_or_b32 exec_lo, exec_lo, s18
	s_delay_alu instid0(VALU_DEP_1) | instskip(NEXT) | instid1(VALU_DEP_2)
	v_dual_lshlrev_b32 v4, 24, v4 :: v_dual_lshlrev_b32 v2, 20, v2
	v_lshl_add_u32 v3, v3, 23, 0x3c000000
	s_delay_alu instid0(VALU_DEP_2) | instskip(NEXT) | instid1(VALU_DEP_1)
	v_and_b32_e32 v4, 0x80000000, v4
	v_or3_b32 v34, v2, v4, v3
.LBB370_1184:                           ;   in Loop: Header=BB370_10 Depth=1
	s_or_b32 exec_lo, exec_lo, s17
.LBB370_1185:                           ;   in Loop: Header=BB370_10 Depth=1
	s_delay_alu instid0(SALU_CYCLE_1)
	s_or_b32 exec_lo, exec_lo, s16
.LBB370_1186:                           ;   in Loop: Header=BB370_10 Depth=1
	s_delay_alu instid0(SALU_CYCLE_1)
	s_or_b32 exec_lo, exec_lo, s11
	v_dual_mov_b32 v28, 0 :: v_dual_mov_b32 v35, 0
	s_mov_b32 s11, exec_lo
	v_cmpx_lt_u32_e32 0xffffff, v0
	s_cbranch_execz .LBB370_1194
; %bb.1187:                             ;   in Loop: Header=BB370_10 Depth=1
	v_lshrrev_b32_e32 v4, 24, v0
	v_bfrev_b32_e32 v35, 1
	s_mov_b32 s16, exec_lo
	s_delay_alu instid0(VALU_DEP_2)
	v_cmpx_ne_u32_e32 0x80, v4
	s_cbranch_execz .LBB370_1193
; %bb.1188:                             ;   in Loop: Header=BB370_10 Depth=1
	v_bfe_u32 v5, v0, 24, 7
	v_mov_b32_e32 v35, 0x7f800001
	s_mov_b32 s17, exec_lo
	s_delay_alu instid0(VALU_DEP_2)
	v_cmpx_ne_u32_e32 0x7f, v5
	s_cbranch_execz .LBB370_1192
; %bb.1189:                             ;   in Loop: Header=BB370_10 Depth=1
	v_and_b32_e32 v16, 7, v4
	s_mov_b32 s18, exec_lo
	s_delay_alu instid0(VALU_DEP_1)
	v_mov_b64_e32 v[2:3], v[16:17]
	v_lshrrev_b32_e32 v3, 3, v5
	v_cmpx_gt_u32_e32 8, v5
; %bb.1190:                             ;   in Loop: Header=BB370_10 Depth=1
	v_clz_i32_u32_e32 v2, v16
	s_delay_alu instid0(VALU_DEP_1) | instskip(NEXT) | instid1(VALU_DEP_1)
	v_min_u32_e32 v5, 32, v2
	v_subrev_nc_u32_e32 v2, 28, v5
	s_delay_alu instid0(VALU_DEP_1) | instskip(NEXT) | instid1(VALU_DEP_1)
	v_lshlrev_b64_e32 v[2:3], v2, v[16:17]
	v_dual_sub_nc_u32 v3, 29, v5 :: v_dual_bitop2_b32 v2, 7, v2 bitop3:0x40
; %bb.1191:                             ;   in Loop: Header=BB370_10 Depth=1
	s_or_b32 exec_lo, exec_lo, s18
	s_delay_alu instid0(VALU_DEP_1) | instskip(NEXT) | instid1(VALU_DEP_2)
	v_dual_lshlrev_b32 v4, 24, v4 :: v_dual_lshlrev_b32 v2, 20, v2
	v_lshl_add_u32 v3, v3, 23, 0x3c000000
	s_delay_alu instid0(VALU_DEP_2) | instskip(NEXT) | instid1(VALU_DEP_1)
	v_and_b32_e32 v4, 0x80000000, v4
	v_or3_b32 v35, v2, v4, v3
.LBB370_1192:                           ;   in Loop: Header=BB370_10 Depth=1
	s_or_b32 exec_lo, exec_lo, s17
.LBB370_1193:                           ;   in Loop: Header=BB370_10 Depth=1
	s_delay_alu instid0(SALU_CYCLE_1)
	s_or_b32 exec_lo, exec_lo, s16
.LBB370_1194:                           ;   in Loop: Header=BB370_10 Depth=1
	s_delay_alu instid0(SALU_CYCLE_1) | instskip(SKIP_3) | instid1(VALU_DEP_2)
	s_or_b32 exec_lo, exec_lo, s11
	v_and_b32_e32 v2, 0xff, v1
	v_mov_b32_e32 v16, v1
	s_mov_b32 s11, exec_lo
	v_cmpx_ne_u16_e32 0, v2
	s_cbranch_execz .LBB370_1202
; %bb.1195:                             ;   in Loop: Header=BB370_10 Depth=1
	v_bfrev_b32_e32 v28, 1
	s_mov_b32 s16, exec_lo
	v_cmpx_ne_u16_e32 0x80, v2
	s_cbranch_execz .LBB370_1201
; %bb.1196:                             ;   in Loop: Header=BB370_10 Depth=1
	v_and_b32_e32 v4, 0x7f, v1
	v_mov_b32_e32 v28, 0x7f800001
	s_mov_b32 s17, exec_lo
	s_delay_alu instid0(VALU_DEP_2)
	v_cmpx_ne_u32_e32 0x7f, v4
	s_cbranch_execz .LBB370_1200
; %bb.1197:                             ;   in Loop: Header=BB370_10 Depth=1
	v_mov_b64_e32 v[2:3], v[16:17]
	v_lshrrev_b32_e32 v3, 3, v4
	s_mov_b32 s18, exec_lo
	v_cmpx_gt_u32_e32 8, v4
; %bb.1198:                             ;   in Loop: Header=BB370_10 Depth=1
	v_and_b32_e32 v2, 7, v1
	s_delay_alu instid0(VALU_DEP_1) | instskip(NEXT) | instid1(VALU_DEP_1)
	v_clz_i32_u32_e32 v2, v2
	v_min_u32_e32 v4, 32, v2
	s_delay_alu instid0(VALU_DEP_1) | instskip(NEXT) | instid1(VALU_DEP_1)
	v_subrev_nc_u32_e32 v2, 28, v4
	v_lshlrev_b64_e32 v[2:3], v2, v[16:17]
	v_sub_nc_u32_e32 v3, 29, v4
; %bb.1199:                             ;   in Loop: Header=BB370_10 Depth=1
	s_or_b32 exec_lo, exec_lo, s18
	s_delay_alu instid0(VALU_DEP_2) | instskip(NEXT) | instid1(VALU_DEP_2)
	v_dual_lshlrev_b32 v2, 20, v2 :: v_dual_lshlrev_b32 v4, 24, v16
	v_lshl_add_u32 v3, v3, 23, 0x3c000000
	s_delay_alu instid0(VALU_DEP_2) | instskip(NEXT) | instid1(VALU_DEP_3)
	v_and_b32_e32 v2, 0x700000, v2
	v_and_b32_e32 v4, 0x80000000, v4
	s_delay_alu instid0(VALU_DEP_1)
	v_or3_b32 v28, v2, v4, v3
.LBB370_1200:                           ;   in Loop: Header=BB370_10 Depth=1
	s_or_b32 exec_lo, exec_lo, s17
.LBB370_1201:                           ;   in Loop: Header=BB370_10 Depth=1
	s_delay_alu instid0(SALU_CYCLE_1)
	s_or_b32 exec_lo, exec_lo, s16
.LBB370_1202:                           ;   in Loop: Header=BB370_10 Depth=1
	s_delay_alu instid0(SALU_CYCLE_1) | instskip(SKIP_3) | instid1(VALU_DEP_2)
	s_or_b32 exec_lo, exec_lo, s11
	v_lshrrev_b16 v2, 8, v16
	v_dual_mov_b32 v62, 0 :: v_dual_mov_b32 v29, 0
	s_mov_b32 s11, exec_lo
	v_cmpx_ne_u16_e32 0, v2
	s_cbranch_execz .LBB370_1210
; %bb.1203:                             ;   in Loop: Header=BB370_10 Depth=1
	v_bfrev_b32_e32 v29, 1
	s_mov_b32 s16, exec_lo
	v_cmpx_ne_u16_e32 0x80, v2
	s_cbranch_execz .LBB370_1209
; %bb.1204:                             ;   in Loop: Header=BB370_10 Depth=1
	v_and_b32_e32 v2, 0xffff, v2
	v_mov_b32_e32 v29, 0x7f800001
	s_mov_b32 s17, exec_lo
	s_delay_alu instid0(VALU_DEP_2) | instskip(NEXT) | instid1(VALU_DEP_1)
	v_and_b32_e32 v5, 0x7f, v2
	v_cmpx_ne_u32_e32 0x7f, v5
	s_cbranch_execz .LBB370_1208
; %bb.1205:                             ;   in Loop: Header=BB370_10 Depth=1
	v_dual_mov_b32 v3, v17 :: v_dual_bitop2_b32 v2, 7, v2 bitop3:0x40
	v_lshrrev_b32_e32 v4, 3, v5
	s_mov_b32 s18, exec_lo
	v_cmpx_gt_u32_e32 8, v5
; %bb.1206:                             ;   in Loop: Header=BB370_10 Depth=1
	s_delay_alu instid0(VALU_DEP_3) | instskip(NEXT) | instid1(VALU_DEP_1)
	v_clz_i32_u32_e32 v4, v2
	v_min_u32_e32 v4, 32, v4
	s_delay_alu instid0(VALU_DEP_1) | instskip(NEXT) | instid1(VALU_DEP_1)
	v_subrev_nc_u32_e32 v5, 28, v4
	v_lshlrev_b64_e32 v[2:3], v5, v[2:3]
	s_delay_alu instid0(VALU_DEP_1)
	v_dual_sub_nc_u32 v4, 29, v4 :: v_dual_bitop2_b32 v2, 7, v2 bitop3:0x40
; %bb.1207:                             ;   in Loop: Header=BB370_10 Depth=1
	s_or_b32 exec_lo, exec_lo, s18
	s_delay_alu instid0(VALU_DEP_1) | instskip(NEXT) | instid1(VALU_DEP_2)
	v_dual_lshlrev_b32 v3, 16, v16 :: v_dual_lshlrev_b32 v2, 20, v2
	v_lshl_add_u32 v4, v4, 23, 0x3c000000
	s_delay_alu instid0(VALU_DEP_2) | instskip(NEXT) | instid1(VALU_DEP_1)
	v_and_b32_e32 v3, 0x80000000, v3
	v_or3_b32 v29, v2, v3, v4
.LBB370_1208:                           ;   in Loop: Header=BB370_10 Depth=1
	s_or_b32 exec_lo, exec_lo, s17
.LBB370_1209:                           ;   in Loop: Header=BB370_10 Depth=1
	s_delay_alu instid0(SALU_CYCLE_1)
	s_or_b32 exec_lo, exec_lo, s16
.LBB370_1210:                           ;   in Loop: Header=BB370_10 Depth=1
	s_delay_alu instid0(SALU_CYCLE_1) | instskip(SKIP_2) | instid1(VALU_DEP_1)
	s_or_b32 exec_lo, exec_lo, s11
	v_lshrrev_b32_e32 v4, 16, v1
	s_mov_b32 s11, exec_lo
	v_and_b32_e32 v2, 0xff, v4
	s_delay_alu instid0(VALU_DEP_1)
	v_cmpx_ne_u16_e32 0, v2
	s_cbranch_execz .LBB370_1218
; %bb.1211:                             ;   in Loop: Header=BB370_10 Depth=1
	v_bfrev_b32_e32 v62, 1
	s_mov_b32 s16, exec_lo
	v_cmpx_ne_u16_e32 0x80, v2
	s_cbranch_execz .LBB370_1217
; %bb.1212:                             ;   in Loop: Header=BB370_10 Depth=1
	v_bfe_u32 v5, v1, 16, 7
	v_mov_b32_e32 v62, 0x7f800001
	s_mov_b32 s17, exec_lo
	s_delay_alu instid0(VALU_DEP_2)
	v_cmpx_ne_u32_e32 0x7f, v5
	s_cbranch_execz .LBB370_1216
; %bb.1213:                             ;   in Loop: Header=BB370_10 Depth=1
	v_and_b32_e32 v16, 7, v4
	s_mov_b32 s18, exec_lo
	s_delay_alu instid0(VALU_DEP_1)
	v_mov_b64_e32 v[2:3], v[16:17]
	v_lshrrev_b32_e32 v3, 3, v5
	v_cmpx_gt_u32_e32 8, v5
; %bb.1214:                             ;   in Loop: Header=BB370_10 Depth=1
	v_clz_i32_u32_e32 v2, v16
	s_delay_alu instid0(VALU_DEP_1) | instskip(NEXT) | instid1(VALU_DEP_1)
	v_min_u32_e32 v5, 32, v2
	v_subrev_nc_u32_e32 v2, 28, v5
	s_delay_alu instid0(VALU_DEP_1) | instskip(NEXT) | instid1(VALU_DEP_1)
	v_lshlrev_b64_e32 v[2:3], v2, v[16:17]
	v_dual_sub_nc_u32 v3, 29, v5 :: v_dual_bitop2_b32 v2, 7, v2 bitop3:0x40
; %bb.1215:                             ;   in Loop: Header=BB370_10 Depth=1
	s_or_b32 exec_lo, exec_lo, s18
	s_delay_alu instid0(VALU_DEP_1) | instskip(NEXT) | instid1(VALU_DEP_2)
	v_dual_lshlrev_b32 v4, 24, v4 :: v_dual_lshlrev_b32 v2, 20, v2
	v_lshl_add_u32 v3, v3, 23, 0x3c000000
	s_delay_alu instid0(VALU_DEP_2) | instskip(NEXT) | instid1(VALU_DEP_1)
	v_and_b32_e32 v4, 0x80000000, v4
	v_or3_b32 v62, v2, v4, v3
.LBB370_1216:                           ;   in Loop: Header=BB370_10 Depth=1
	s_or_b32 exec_lo, exec_lo, s17
.LBB370_1217:                           ;   in Loop: Header=BB370_10 Depth=1
	s_delay_alu instid0(SALU_CYCLE_1)
	s_or_b32 exec_lo, exec_lo, s16
.LBB370_1218:                           ;   in Loop: Header=BB370_10 Depth=1
	s_delay_alu instid0(SALU_CYCLE_1)
	s_or_b32 exec_lo, exec_lo, s11
	v_dual_mov_b32 v4, 0 :: v_dual_mov_b32 v63, 0
	s_mov_b32 s11, exec_lo
	v_cmpx_lt_u64_e64 s[2:3], v[0:1]
	s_cbranch_execz .LBB370_1226
; %bb.1219:                             ;   in Loop: Header=BB370_10 Depth=1
	v_lshrrev_b32_e32 v2, 24, v1
	v_bfrev_b32_e32 v63, 1
	s_mov_b32 s16, exec_lo
	s_delay_alu instid0(VALU_DEP_2)
	v_cmpx_ne_u32_e32 0x80, v2
	s_cbranch_execz .LBB370_1225
; %bb.1220:                             ;   in Loop: Header=BB370_10 Depth=1
	v_bfe_u32 v3, v1, 24, 7
	v_mov_b32_e32 v63, 0x7f800001
	s_mov_b32 s17, exec_lo
	s_delay_alu instid0(VALU_DEP_2)
	v_cmpx_ne_u32_e32 0x7f, v3
	s_cbranch_execz .LBB370_1224
; %bb.1221:                             ;   in Loop: Header=BB370_10 Depth=1
	v_and_b32_e32 v16, 7, v2
	s_mov_b32 s18, exec_lo
	s_delay_alu instid0(VALU_DEP_1)
	v_mov_b64_e32 v[0:1], v[16:17]
	v_lshrrev_b32_e32 v1, 3, v3
	v_cmpx_gt_u32_e32 8, v3
; %bb.1222:                             ;   in Loop: Header=BB370_10 Depth=1
	v_clz_i32_u32_e32 v0, v16
	s_delay_alu instid0(VALU_DEP_1) | instskip(NEXT) | instid1(VALU_DEP_1)
	v_min_u32_e32 v3, 32, v0
	v_subrev_nc_u32_e32 v0, 28, v3
	s_delay_alu instid0(VALU_DEP_1) | instskip(NEXT) | instid1(VALU_DEP_1)
	v_lshlrev_b64_e32 v[0:1], v0, v[16:17]
	v_dual_sub_nc_u32 v1, 29, v3 :: v_dual_bitop2_b32 v0, 7, v0 bitop3:0x40
; %bb.1223:                             ;   in Loop: Header=BB370_10 Depth=1
	s_or_b32 exec_lo, exec_lo, s18
	s_delay_alu instid0(VALU_DEP_1) | instskip(NEXT) | instid1(VALU_DEP_2)
	v_dual_lshlrev_b32 v2, 24, v2 :: v_dual_lshlrev_b32 v0, 20, v0
	v_lshl_add_u32 v1, v1, 23, 0x3c000000
	s_delay_alu instid0(VALU_DEP_2) | instskip(NEXT) | instid1(VALU_DEP_1)
	v_and_b32_e32 v2, 0x80000000, v2
	v_or3_b32 v63, v0, v2, v1
.LBB370_1224:                           ;   in Loop: Header=BB370_10 Depth=1
	s_or_b32 exec_lo, exec_lo, s17
.LBB370_1225:                           ;   in Loop: Header=BB370_10 Depth=1
	s_delay_alu instid0(SALU_CYCLE_1)
	s_or_b32 exec_lo, exec_lo, s16
.LBB370_1226:                           ;   in Loop: Header=BB370_10 Depth=1
	s_delay_alu instid0(SALU_CYCLE_1)
	s_or_b32 exec_lo, exec_lo, s11
	flat_load_b64 v[0:1], v[32:33] offset:4616
	s_mov_b32 s11, exec_lo
	s_wait_loadcnt_dscnt 0x0
	v_and_b32_e32 v2, 0xff, v0
	s_wait_xcnt 0x0
	s_delay_alu instid0(VALU_DEP_1)
	v_cmpx_ne_u16_e32 0, v2
	s_cbranch_execz .LBB370_1234
; %bb.1227:                             ;   in Loop: Header=BB370_10 Depth=1
	v_bfrev_b32_e32 v4, 1
	s_mov_b32 s16, exec_lo
	v_cmpx_ne_u16_e32 0x80, v2
	s_cbranch_execz .LBB370_1233
; %bb.1228:                             ;   in Loop: Header=BB370_10 Depth=1
	v_and_b32_e32 v2, 0x7f, v0
	v_mov_b32_e32 v4, 0x7f800001
	s_mov_b32 s17, exec_lo
	s_delay_alu instid0(VALU_DEP_2)
	v_cmpx_ne_u32_e32 0x7f, v2
	s_cbranch_execz .LBB370_1232
; %bb.1229:                             ;   in Loop: Header=BB370_10 Depth=1
	v_lshrrev_b32_e32 v4, 3, v2
	v_cmp_gt_u32_e64 s1, 8, v2
	v_mov_b64_e32 v[2:3], v[0:1]
	s_and_saveexec_b32 s18, s1
; %bb.1230:                             ;   in Loop: Header=BB370_10 Depth=1
	v_and_b32_e32 v2, 7, v0
	s_delay_alu instid0(VALU_DEP_1) | instskip(NEXT) | instid1(VALU_DEP_1)
	v_clz_i32_u32_e32 v2, v2
	v_min_u32_e32 v4, 32, v2
	s_delay_alu instid0(VALU_DEP_1) | instskip(SKIP_1) | instid1(VALU_DEP_2)
	v_subrev_nc_u32_e32 v2, 28, v4
	v_sub_nc_u32_e32 v4, 29, v4
	v_lshlrev_b64_e32 v[2:3], v2, v[0:1]
; %bb.1231:                             ;   in Loop: Header=BB370_10 Depth=1
	s_or_b32 exec_lo, exec_lo, s18
	s_delay_alu instid0(VALU_DEP_1) | instskip(NEXT) | instid1(VALU_DEP_3)
	v_dual_lshlrev_b32 v2, 20, v2 :: v_dual_lshlrev_b32 v3, 24, v0
	v_lshl_add_u32 v4, v4, 23, 0x3c000000
	s_delay_alu instid0(VALU_DEP_2) | instskip(NEXT) | instid1(VALU_DEP_3)
	v_and_b32_e32 v2, 0x700000, v2
	v_and_b32_e32 v3, 0x80000000, v3
	s_delay_alu instid0(VALU_DEP_1)
	v_or3_b32 v4, v2, v3, v4
.LBB370_1232:                           ;   in Loop: Header=BB370_10 Depth=1
	s_or_b32 exec_lo, exec_lo, s17
.LBB370_1233:                           ;   in Loop: Header=BB370_10 Depth=1
	s_delay_alu instid0(SALU_CYCLE_1)
	s_or_b32 exec_lo, exec_lo, s16
.LBB370_1234:                           ;   in Loop: Header=BB370_10 Depth=1
	s_delay_alu instid0(SALU_CYCLE_1) | instskip(SKIP_3) | instid1(VALU_DEP_2)
	s_or_b32 exec_lo, exec_lo, s11
	v_lshrrev_b16 v2, 8, v0
	v_dual_mov_b32 v8, 0 :: v_dual_mov_b32 v5, 0
	s_mov_b32 s11, exec_lo
	v_cmpx_ne_u16_e32 0, v2
	s_cbranch_execz .LBB370_1242
; %bb.1235:                             ;   in Loop: Header=BB370_10 Depth=1
	v_bfrev_b32_e32 v5, 1
	s_mov_b32 s16, exec_lo
	v_cmpx_ne_u16_e32 0x80, v2
	s_cbranch_execz .LBB370_1241
; %bb.1236:                             ;   in Loop: Header=BB370_10 Depth=1
	v_and_b32_e32 v2, 0xffff, v2
	v_mov_b32_e32 v5, 0x7f800001
	s_mov_b32 s17, exec_lo
	s_delay_alu instid0(VALU_DEP_2) | instskip(NEXT) | instid1(VALU_DEP_1)
	v_and_b32_e32 v6, 0x7f, v2
	v_cmpx_ne_u32_e32 0x7f, v6
	s_cbranch_execz .LBB370_1240
; %bb.1237:                             ;   in Loop: Header=BB370_10 Depth=1
	v_and_b32_e32 v16, 7, v2
	s_mov_b32 s18, exec_lo
	s_delay_alu instid0(VALU_DEP_1)
	v_mov_b64_e32 v[2:3], v[16:17]
	v_lshrrev_b32_e32 v3, 3, v6
	v_cmpx_gt_u32_e32 8, v6
; %bb.1238:                             ;   in Loop: Header=BB370_10 Depth=1
	v_clz_i32_u32_e32 v2, v16
	s_delay_alu instid0(VALU_DEP_1) | instskip(NEXT) | instid1(VALU_DEP_1)
	v_min_u32_e32 v5, 32, v2
	v_subrev_nc_u32_e32 v2, 28, v5
	s_delay_alu instid0(VALU_DEP_1) | instskip(NEXT) | instid1(VALU_DEP_1)
	v_lshlrev_b64_e32 v[2:3], v2, v[16:17]
	v_dual_sub_nc_u32 v3, 29, v5 :: v_dual_bitop2_b32 v2, 7, v2 bitop3:0x40
; %bb.1239:                             ;   in Loop: Header=BB370_10 Depth=1
	s_or_b32 exec_lo, exec_lo, s18
	s_delay_alu instid0(VALU_DEP_1) | instskip(NEXT) | instid1(VALU_DEP_2)
	v_dual_lshlrev_b32 v5, 16, v0 :: v_dual_lshlrev_b32 v2, 20, v2
	v_lshl_add_u32 v3, v3, 23, 0x3c000000
	s_delay_alu instid0(VALU_DEP_2) | instskip(NEXT) | instid1(VALU_DEP_1)
	v_and_b32_e32 v5, 0x80000000, v5
	v_or3_b32 v5, v2, v5, v3
.LBB370_1240:                           ;   in Loop: Header=BB370_10 Depth=1
	s_or_b32 exec_lo, exec_lo, s17
.LBB370_1241:                           ;   in Loop: Header=BB370_10 Depth=1
	s_delay_alu instid0(SALU_CYCLE_1)
	s_or_b32 exec_lo, exec_lo, s16
.LBB370_1242:                           ;   in Loop: Header=BB370_10 Depth=1
	s_delay_alu instid0(SALU_CYCLE_1) | instskip(SKIP_2) | instid1(VALU_DEP_1)
	s_or_b32 exec_lo, exec_lo, s11
	v_lshrrev_b32_e32 v6, 16, v0
	s_mov_b32 s11, exec_lo
	v_and_b32_e32 v2, 0xff, v6
	s_delay_alu instid0(VALU_DEP_1)
	v_cmpx_ne_u16_e32 0, v2
	s_cbranch_execz .LBB370_1250
; %bb.1243:                             ;   in Loop: Header=BB370_10 Depth=1
	v_bfrev_b32_e32 v8, 1
	s_mov_b32 s16, exec_lo
	v_cmpx_ne_u16_e32 0x80, v2
	s_cbranch_execz .LBB370_1249
; %bb.1244:                             ;   in Loop: Header=BB370_10 Depth=1
	v_bfe_u32 v7, v0, 16, 7
	v_mov_b32_e32 v8, 0x7f800001
	s_mov_b32 s17, exec_lo
	s_delay_alu instid0(VALU_DEP_2)
	v_cmpx_ne_u32_e32 0x7f, v7
	s_cbranch_execz .LBB370_1248
; %bb.1245:                             ;   in Loop: Header=BB370_10 Depth=1
	v_and_b32_e32 v16, 7, v6
	s_mov_b32 s18, exec_lo
	s_delay_alu instid0(VALU_DEP_1)
	v_mov_b64_e32 v[2:3], v[16:17]
	v_lshrrev_b32_e32 v3, 3, v7
	v_cmpx_gt_u32_e32 8, v7
; %bb.1246:                             ;   in Loop: Header=BB370_10 Depth=1
	v_clz_i32_u32_e32 v2, v16
	s_delay_alu instid0(VALU_DEP_1) | instskip(NEXT) | instid1(VALU_DEP_1)
	v_min_u32_e32 v7, 32, v2
	v_subrev_nc_u32_e32 v2, 28, v7
	s_delay_alu instid0(VALU_DEP_1) | instskip(NEXT) | instid1(VALU_DEP_1)
	v_lshlrev_b64_e32 v[2:3], v2, v[16:17]
	v_dual_sub_nc_u32 v3, 29, v7 :: v_dual_bitop2_b32 v2, 7, v2 bitop3:0x40
; %bb.1247:                             ;   in Loop: Header=BB370_10 Depth=1
	s_or_b32 exec_lo, exec_lo, s18
	v_lshlrev_b32_e32 v6, 24, v6
	s_delay_alu instid0(VALU_DEP_2) | instskip(NEXT) | instid1(VALU_DEP_3)
	v_lshlrev_b32_e32 v2, 20, v2
	v_lshl_add_u32 v3, v3, 23, 0x3c000000
	s_delay_alu instid0(VALU_DEP_3) | instskip(NEXT) | instid1(VALU_DEP_1)
	v_and_b32_e32 v6, 0x80000000, v6
	v_or3_b32 v8, v2, v6, v3
.LBB370_1248:                           ;   in Loop: Header=BB370_10 Depth=1
	s_or_b32 exec_lo, exec_lo, s17
.LBB370_1249:                           ;   in Loop: Header=BB370_10 Depth=1
	s_delay_alu instid0(SALU_CYCLE_1)
	s_or_b32 exec_lo, exec_lo, s16
.LBB370_1250:                           ;   in Loop: Header=BB370_10 Depth=1
	s_delay_alu instid0(SALU_CYCLE_1)
	s_or_b32 exec_lo, exec_lo, s11
	v_dual_mov_b32 v116, 0 :: v_dual_mov_b32 v9, 0
	s_mov_b32 s11, exec_lo
	v_cmpx_lt_u32_e32 0xffffff, v0
	s_cbranch_execz .LBB370_1258
; %bb.1251:                             ;   in Loop: Header=BB370_10 Depth=1
	v_lshrrev_b32_e32 v6, 24, v0
	v_bfrev_b32_e32 v9, 1
	s_mov_b32 s16, exec_lo
	s_delay_alu instid0(VALU_DEP_2)
	v_cmpx_ne_u32_e32 0x80, v6
	s_cbranch_execz .LBB370_1257
; %bb.1252:                             ;   in Loop: Header=BB370_10 Depth=1
	v_bfe_u32 v7, v0, 24, 7
	v_mov_b32_e32 v9, 0x7f800001
	s_mov_b32 s17, exec_lo
	s_delay_alu instid0(VALU_DEP_2)
	v_cmpx_ne_u32_e32 0x7f, v7
	s_cbranch_execz .LBB370_1256
; %bb.1253:                             ;   in Loop: Header=BB370_10 Depth=1
	v_and_b32_e32 v16, 7, v6
	s_mov_b32 s18, exec_lo
	s_delay_alu instid0(VALU_DEP_1)
	v_mov_b64_e32 v[2:3], v[16:17]
	v_lshrrev_b32_e32 v3, 3, v7
	v_cmpx_gt_u32_e32 8, v7
; %bb.1254:                             ;   in Loop: Header=BB370_10 Depth=1
	v_clz_i32_u32_e32 v2, v16
	s_delay_alu instid0(VALU_DEP_1) | instskip(NEXT) | instid1(VALU_DEP_1)
	v_min_u32_e32 v7, 32, v2
	v_subrev_nc_u32_e32 v2, 28, v7
	s_delay_alu instid0(VALU_DEP_1) | instskip(NEXT) | instid1(VALU_DEP_1)
	v_lshlrev_b64_e32 v[2:3], v2, v[16:17]
	v_dual_sub_nc_u32 v3, 29, v7 :: v_dual_bitop2_b32 v2, 7, v2 bitop3:0x40
; %bb.1255:                             ;   in Loop: Header=BB370_10 Depth=1
	s_or_b32 exec_lo, exec_lo, s18
	v_lshlrev_b32_e32 v6, 24, v6
	s_delay_alu instid0(VALU_DEP_2) | instskip(NEXT) | instid1(VALU_DEP_3)
	v_lshlrev_b32_e32 v2, 20, v2
	v_lshl_add_u32 v3, v3, 23, 0x3c000000
	s_delay_alu instid0(VALU_DEP_3) | instskip(NEXT) | instid1(VALU_DEP_1)
	v_and_b32_e32 v6, 0x80000000, v6
	v_or3_b32 v9, v2, v6, v3
.LBB370_1256:                           ;   in Loop: Header=BB370_10 Depth=1
	s_or_b32 exec_lo, exec_lo, s17
.LBB370_1257:                           ;   in Loop: Header=BB370_10 Depth=1
	s_delay_alu instid0(SALU_CYCLE_1)
	s_or_b32 exec_lo, exec_lo, s16
.LBB370_1258:                           ;   in Loop: Header=BB370_10 Depth=1
	s_delay_alu instid0(SALU_CYCLE_1) | instskip(SKIP_3) | instid1(VALU_DEP_2)
	s_or_b32 exec_lo, exec_lo, s11
	v_and_b32_e32 v2, 0xff, v1
	v_mov_b32_e32 v16, v1
	s_mov_b32 s11, exec_lo
	v_cmpx_ne_u16_e32 0, v2
	s_cbranch_execz .LBB370_1266
; %bb.1259:                             ;   in Loop: Header=BB370_10 Depth=1
	v_bfrev_b32_e32 v116, 1
	s_mov_b32 s16, exec_lo
	v_cmpx_ne_u16_e32 0x80, v2
	s_cbranch_execz .LBB370_1265
; %bb.1260:                             ;   in Loop: Header=BB370_10 Depth=1
	v_and_b32_e32 v6, 0x7f, v1
	v_mov_b32_e32 v116, 0x7f800001
	s_mov_b32 s17, exec_lo
	s_delay_alu instid0(VALU_DEP_2)
	v_cmpx_ne_u32_e32 0x7f, v6
	s_cbranch_execz .LBB370_1264
; %bb.1261:                             ;   in Loop: Header=BB370_10 Depth=1
	v_mov_b64_e32 v[2:3], v[16:17]
	v_lshrrev_b32_e32 v3, 3, v6
	s_mov_b32 s18, exec_lo
	v_cmpx_gt_u32_e32 8, v6
; %bb.1262:                             ;   in Loop: Header=BB370_10 Depth=1
	v_and_b32_e32 v2, 7, v1
	s_delay_alu instid0(VALU_DEP_1) | instskip(NEXT) | instid1(VALU_DEP_1)
	v_clz_i32_u32_e32 v2, v2
	v_min_u32_e32 v6, 32, v2
	s_delay_alu instid0(VALU_DEP_1) | instskip(NEXT) | instid1(VALU_DEP_1)
	v_subrev_nc_u32_e32 v2, 28, v6
	v_lshlrev_b64_e32 v[2:3], v2, v[16:17]
	v_sub_nc_u32_e32 v3, 29, v6
; %bb.1263:                             ;   in Loop: Header=BB370_10 Depth=1
	s_or_b32 exec_lo, exec_lo, s18
	s_delay_alu instid0(VALU_DEP_2) | instskip(NEXT) | instid1(VALU_DEP_2)
	v_dual_lshlrev_b32 v2, 20, v2 :: v_dual_lshlrev_b32 v6, 24, v16
	v_lshl_add_u32 v3, v3, 23, 0x3c000000
	s_delay_alu instid0(VALU_DEP_2) | instskip(NEXT) | instid1(VALU_DEP_3)
	v_and_b32_e32 v2, 0x700000, v2
	v_and_b32_e32 v6, 0x80000000, v6
	s_delay_alu instid0(VALU_DEP_1)
	v_or3_b32 v116, v2, v6, v3
.LBB370_1264:                           ;   in Loop: Header=BB370_10 Depth=1
	s_or_b32 exec_lo, exec_lo, s17
.LBB370_1265:                           ;   in Loop: Header=BB370_10 Depth=1
	s_delay_alu instid0(SALU_CYCLE_1)
	s_or_b32 exec_lo, exec_lo, s16
.LBB370_1266:                           ;   in Loop: Header=BB370_10 Depth=1
	s_delay_alu instid0(SALU_CYCLE_1) | instskip(SKIP_3) | instid1(VALU_DEP_2)
	s_or_b32 exec_lo, exec_lo, s11
	v_lshrrev_b16 v2, 8, v16
	v_dual_mov_b32 v104, 0 :: v_dual_mov_b32 v117, 0
	s_mov_b32 s11, exec_lo
	v_cmpx_ne_u16_e32 0, v2
	s_cbranch_execz .LBB370_1274
; %bb.1267:                             ;   in Loop: Header=BB370_10 Depth=1
	v_bfrev_b32_e32 v117, 1
	s_mov_b32 s16, exec_lo
	v_cmpx_ne_u16_e32 0x80, v2
	s_cbranch_execz .LBB370_1273
; %bb.1268:                             ;   in Loop: Header=BB370_10 Depth=1
	v_and_b32_e32 v2, 0xffff, v2
	v_mov_b32_e32 v117, 0x7f800001
	s_mov_b32 s17, exec_lo
	s_delay_alu instid0(VALU_DEP_2) | instskip(NEXT) | instid1(VALU_DEP_1)
	v_and_b32_e32 v7, 0x7f, v2
	v_cmpx_ne_u32_e32 0x7f, v7
	s_cbranch_execz .LBB370_1272
; %bb.1269:                             ;   in Loop: Header=BB370_10 Depth=1
	v_dual_mov_b32 v3, v17 :: v_dual_bitop2_b32 v2, 7, v2 bitop3:0x40
	v_lshrrev_b32_e32 v6, 3, v7
	s_mov_b32 s18, exec_lo
	v_cmpx_gt_u32_e32 8, v7
; %bb.1270:                             ;   in Loop: Header=BB370_10 Depth=1
	s_delay_alu instid0(VALU_DEP_3) | instskip(NEXT) | instid1(VALU_DEP_1)
	v_clz_i32_u32_e32 v6, v2
	v_min_u32_e32 v6, 32, v6
	s_delay_alu instid0(VALU_DEP_1) | instskip(SKIP_1) | instid1(VALU_DEP_2)
	v_subrev_nc_u32_e32 v7, 28, v6
	v_sub_nc_u32_e32 v6, 29, v6
	v_lshlrev_b64_e32 v[2:3], v7, v[2:3]
	s_delay_alu instid0(VALU_DEP_1)
	v_and_b32_e32 v2, 7, v2
; %bb.1271:                             ;   in Loop: Header=BB370_10 Depth=1
	s_or_b32 exec_lo, exec_lo, s18
	s_delay_alu instid0(VALU_DEP_1) | instskip(SKIP_1) | instid1(VALU_DEP_2)
	v_dual_lshlrev_b32 v3, 16, v16 :: v_dual_lshlrev_b32 v2, 20, v2
	v_lshl_add_u32 v6, v6, 23, 0x3c000000
	v_and_b32_e32 v3, 0x80000000, v3
	s_delay_alu instid0(VALU_DEP_1)
	v_or3_b32 v117, v2, v3, v6
.LBB370_1272:                           ;   in Loop: Header=BB370_10 Depth=1
	s_or_b32 exec_lo, exec_lo, s17
.LBB370_1273:                           ;   in Loop: Header=BB370_10 Depth=1
	s_delay_alu instid0(SALU_CYCLE_1)
	s_or_b32 exec_lo, exec_lo, s16
.LBB370_1274:                           ;   in Loop: Header=BB370_10 Depth=1
	s_delay_alu instid0(SALU_CYCLE_1) | instskip(SKIP_2) | instid1(VALU_DEP_1)
	s_or_b32 exec_lo, exec_lo, s11
	v_lshrrev_b32_e32 v6, 16, v1
	s_mov_b32 s11, exec_lo
	v_and_b32_e32 v2, 0xff, v6
	s_delay_alu instid0(VALU_DEP_1)
	v_cmpx_ne_u16_e32 0, v2
	s_cbranch_execz .LBB370_1282
; %bb.1275:                             ;   in Loop: Header=BB370_10 Depth=1
	v_bfrev_b32_e32 v104, 1
	s_mov_b32 s16, exec_lo
	v_cmpx_ne_u16_e32 0x80, v2
	s_cbranch_execz .LBB370_1281
; %bb.1276:                             ;   in Loop: Header=BB370_10 Depth=1
	v_bfe_u32 v7, v1, 16, 7
	v_mov_b32_e32 v104, 0x7f800001
	s_mov_b32 s17, exec_lo
	s_delay_alu instid0(VALU_DEP_2)
	v_cmpx_ne_u32_e32 0x7f, v7
	s_cbranch_execz .LBB370_1280
; %bb.1277:                             ;   in Loop: Header=BB370_10 Depth=1
	v_and_b32_e32 v16, 7, v6
	s_mov_b32 s18, exec_lo
	s_delay_alu instid0(VALU_DEP_1)
	v_mov_b64_e32 v[2:3], v[16:17]
	v_lshrrev_b32_e32 v3, 3, v7
	v_cmpx_gt_u32_e32 8, v7
; %bb.1278:                             ;   in Loop: Header=BB370_10 Depth=1
	v_clz_i32_u32_e32 v2, v16
	s_delay_alu instid0(VALU_DEP_1) | instskip(NEXT) | instid1(VALU_DEP_1)
	v_min_u32_e32 v7, 32, v2
	v_subrev_nc_u32_e32 v2, 28, v7
	s_delay_alu instid0(VALU_DEP_1) | instskip(NEXT) | instid1(VALU_DEP_1)
	v_lshlrev_b64_e32 v[2:3], v2, v[16:17]
	v_dual_sub_nc_u32 v3, 29, v7 :: v_dual_bitop2_b32 v2, 7, v2 bitop3:0x40
; %bb.1279:                             ;   in Loop: Header=BB370_10 Depth=1
	s_or_b32 exec_lo, exec_lo, s18
	v_lshlrev_b32_e32 v6, 24, v6
	s_delay_alu instid0(VALU_DEP_2) | instskip(NEXT) | instid1(VALU_DEP_3)
	v_lshlrev_b32_e32 v2, 20, v2
	v_lshl_add_u32 v3, v3, 23, 0x3c000000
	s_delay_alu instid0(VALU_DEP_3) | instskip(NEXT) | instid1(VALU_DEP_1)
	v_and_b32_e32 v6, 0x80000000, v6
	v_or3_b32 v104, v2, v6, v3
.LBB370_1280:                           ;   in Loop: Header=BB370_10 Depth=1
	s_or_b32 exec_lo, exec_lo, s17
.LBB370_1281:                           ;   in Loop: Header=BB370_10 Depth=1
	s_delay_alu instid0(SALU_CYCLE_1)
	s_or_b32 exec_lo, exec_lo, s16
.LBB370_1282:                           ;   in Loop: Header=BB370_10 Depth=1
	s_delay_alu instid0(SALU_CYCLE_1)
	s_or_b32 exec_lo, exec_lo, s11
	v_dual_mov_b32 v58, 0 :: v_dual_mov_b32 v105, 0
	s_mov_b32 s11, exec_lo
	v_cmpx_lt_u64_e64 s[2:3], v[0:1]
	s_cbranch_execz .LBB370_1290
; %bb.1283:                             ;   in Loop: Header=BB370_10 Depth=1
	v_lshrrev_b32_e32 v2, 24, v1
	v_bfrev_b32_e32 v105, 1
	s_mov_b32 s16, exec_lo
	s_delay_alu instid0(VALU_DEP_2)
	v_cmpx_ne_u32_e32 0x80, v2
	s_cbranch_execz .LBB370_1289
; %bb.1284:                             ;   in Loop: Header=BB370_10 Depth=1
	v_bfe_u32 v3, v1, 24, 7
	v_mov_b32_e32 v105, 0x7f800001
	s_mov_b32 s17, exec_lo
	s_delay_alu instid0(VALU_DEP_2)
	v_cmpx_ne_u32_e32 0x7f, v3
	s_cbranch_execz .LBB370_1288
; %bb.1285:                             ;   in Loop: Header=BB370_10 Depth=1
	v_and_b32_e32 v16, 7, v2
	s_mov_b32 s18, exec_lo
	s_delay_alu instid0(VALU_DEP_1)
	v_mov_b64_e32 v[0:1], v[16:17]
	v_lshrrev_b32_e32 v1, 3, v3
	v_cmpx_gt_u32_e32 8, v3
; %bb.1286:                             ;   in Loop: Header=BB370_10 Depth=1
	v_clz_i32_u32_e32 v0, v16
	s_delay_alu instid0(VALU_DEP_1) | instskip(NEXT) | instid1(VALU_DEP_1)
	v_min_u32_e32 v3, 32, v0
	v_subrev_nc_u32_e32 v0, 28, v3
	s_delay_alu instid0(VALU_DEP_1) | instskip(NEXT) | instid1(VALU_DEP_1)
	v_lshlrev_b64_e32 v[0:1], v0, v[16:17]
	v_dual_sub_nc_u32 v1, 29, v3 :: v_dual_bitop2_b32 v0, 7, v0 bitop3:0x40
; %bb.1287:                             ;   in Loop: Header=BB370_10 Depth=1
	s_or_b32 exec_lo, exec_lo, s18
	s_delay_alu instid0(VALU_DEP_1) | instskip(NEXT) | instid1(VALU_DEP_2)
	v_dual_lshlrev_b32 v2, 24, v2 :: v_dual_lshlrev_b32 v0, 20, v0
	v_lshl_add_u32 v1, v1, 23, 0x3c000000
	s_delay_alu instid0(VALU_DEP_2) | instskip(NEXT) | instid1(VALU_DEP_1)
	v_and_b32_e32 v2, 0x80000000, v2
	v_or3_b32 v105, v0, v2, v1
.LBB370_1288:                           ;   in Loop: Header=BB370_10 Depth=1
	s_or_b32 exec_lo, exec_lo, s17
.LBB370_1289:                           ;   in Loop: Header=BB370_10 Depth=1
	s_delay_alu instid0(SALU_CYCLE_1)
	s_or_b32 exec_lo, exec_lo, s16
.LBB370_1290:                           ;   in Loop: Header=BB370_10 Depth=1
	s_delay_alu instid0(SALU_CYCLE_1)
	s_or_b32 exec_lo, exec_lo, s11
	flat_load_b64 v[0:1], v[32:33] offset:5120
	s_mov_b32 s11, exec_lo
	s_wait_loadcnt_dscnt 0x0
	v_and_b32_e32 v2, 0xff, v0
	s_wait_xcnt 0x0
	s_delay_alu instid0(VALU_DEP_1)
	v_cmpx_ne_u16_e32 0, v2
	s_cbranch_execz .LBB370_1298
; %bb.1291:                             ;   in Loop: Header=BB370_10 Depth=1
	v_bfrev_b32_e32 v58, 1
	s_mov_b32 s16, exec_lo
	v_cmpx_ne_u16_e32 0x80, v2
	s_cbranch_execz .LBB370_1297
; %bb.1292:                             ;   in Loop: Header=BB370_10 Depth=1
	v_and_b32_e32 v2, 0x7f, v0
	v_mov_b32_e32 v58, 0x7f800001
	s_mov_b32 s17, exec_lo
	s_delay_alu instid0(VALU_DEP_2)
	v_cmpx_ne_u32_e32 0x7f, v2
	s_cbranch_execz .LBB370_1296
; %bb.1293:                             ;   in Loop: Header=BB370_10 Depth=1
	v_lshrrev_b32_e32 v6, 3, v2
	v_cmp_gt_u32_e64 s1, 8, v2
	v_mov_b64_e32 v[2:3], v[0:1]
	s_and_saveexec_b32 s18, s1
; %bb.1294:                             ;   in Loop: Header=BB370_10 Depth=1
	v_and_b32_e32 v2, 7, v0
	s_delay_alu instid0(VALU_DEP_1) | instskip(NEXT) | instid1(VALU_DEP_1)
	v_clz_i32_u32_e32 v2, v2
	v_min_u32_e32 v6, 32, v2
	s_delay_alu instid0(VALU_DEP_1) | instskip(SKIP_1) | instid1(VALU_DEP_2)
	v_subrev_nc_u32_e32 v2, 28, v6
	v_sub_nc_u32_e32 v6, 29, v6
	v_lshlrev_b64_e32 v[2:3], v2, v[0:1]
; %bb.1295:                             ;   in Loop: Header=BB370_10 Depth=1
	s_or_b32 exec_lo, exec_lo, s18
	s_delay_alu instid0(VALU_DEP_1) | instskip(NEXT) | instid1(VALU_DEP_3)
	v_dual_lshlrev_b32 v2, 20, v2 :: v_dual_lshlrev_b32 v3, 24, v0
	v_lshl_add_u32 v6, v6, 23, 0x3c000000
	s_delay_alu instid0(VALU_DEP_2) | instskip(NEXT) | instid1(VALU_DEP_3)
	v_and_b32_e32 v2, 0x700000, v2
	v_and_b32_e32 v3, 0x80000000, v3
	s_delay_alu instid0(VALU_DEP_1)
	v_or3_b32 v58, v2, v3, v6
.LBB370_1296:                           ;   in Loop: Header=BB370_10 Depth=1
	s_or_b32 exec_lo, exec_lo, s17
.LBB370_1297:                           ;   in Loop: Header=BB370_10 Depth=1
	s_delay_alu instid0(SALU_CYCLE_1)
	s_or_b32 exec_lo, exec_lo, s16
.LBB370_1298:                           ;   in Loop: Header=BB370_10 Depth=1
	s_delay_alu instid0(SALU_CYCLE_1) | instskip(SKIP_3) | instid1(VALU_DEP_2)
	s_or_b32 exec_lo, exec_lo, s11
	v_lshrrev_b16 v2, 8, v0
	v_dual_mov_b32 v90, 0 :: v_dual_mov_b32 v59, 0
	s_mov_b32 s11, exec_lo
	v_cmpx_ne_u16_e32 0, v2
	s_cbranch_execz .LBB370_1306
; %bb.1299:                             ;   in Loop: Header=BB370_10 Depth=1
	v_bfrev_b32_e32 v59, 1
	s_mov_b32 s16, exec_lo
	v_cmpx_ne_u16_e32 0x80, v2
	s_cbranch_execz .LBB370_1305
; %bb.1300:                             ;   in Loop: Header=BB370_10 Depth=1
	v_and_b32_e32 v2, 0xffff, v2
	v_mov_b32_e32 v59, 0x7f800001
	s_mov_b32 s17, exec_lo
	s_delay_alu instid0(VALU_DEP_2) | instskip(NEXT) | instid1(VALU_DEP_1)
	v_and_b32_e32 v6, 0x7f, v2
	v_cmpx_ne_u32_e32 0x7f, v6
	s_cbranch_execz .LBB370_1304
; %bb.1301:                             ;   in Loop: Header=BB370_10 Depth=1
	v_and_b32_e32 v16, 7, v2
	s_mov_b32 s18, exec_lo
	s_delay_alu instid0(VALU_DEP_1)
	v_mov_b64_e32 v[2:3], v[16:17]
	v_lshrrev_b32_e32 v3, 3, v6
	v_cmpx_gt_u32_e32 8, v6
; %bb.1302:                             ;   in Loop: Header=BB370_10 Depth=1
	v_clz_i32_u32_e32 v2, v16
	s_delay_alu instid0(VALU_DEP_1) | instskip(NEXT) | instid1(VALU_DEP_1)
	v_min_u32_e32 v6, 32, v2
	v_subrev_nc_u32_e32 v2, 28, v6
	s_delay_alu instid0(VALU_DEP_1) | instskip(SKIP_1) | instid1(VALU_DEP_2)
	v_lshlrev_b64_e32 v[2:3], v2, v[16:17]
	v_sub_nc_u32_e32 v3, 29, v6
	v_and_b32_e32 v2, 7, v2
; %bb.1303:                             ;   in Loop: Header=BB370_10 Depth=1
	s_or_b32 exec_lo, exec_lo, s18
	s_delay_alu instid0(VALU_DEP_1) | instskip(NEXT) | instid1(VALU_DEP_3)
	v_dual_lshlrev_b32 v6, 16, v0 :: v_dual_lshlrev_b32 v2, 20, v2
	v_lshl_add_u32 v3, v3, 23, 0x3c000000
	s_delay_alu instid0(VALU_DEP_2) | instskip(NEXT) | instid1(VALU_DEP_1)
	v_and_b32_e32 v6, 0x80000000, v6
	v_or3_b32 v59, v2, v6, v3
.LBB370_1304:                           ;   in Loop: Header=BB370_10 Depth=1
	s_or_b32 exec_lo, exec_lo, s17
.LBB370_1305:                           ;   in Loop: Header=BB370_10 Depth=1
	s_delay_alu instid0(SALU_CYCLE_1)
	s_or_b32 exec_lo, exec_lo, s16
.LBB370_1306:                           ;   in Loop: Header=BB370_10 Depth=1
	s_delay_alu instid0(SALU_CYCLE_1) | instskip(SKIP_2) | instid1(VALU_DEP_1)
	s_or_b32 exec_lo, exec_lo, s11
	v_lshrrev_b32_e32 v6, 16, v0
	s_mov_b32 s11, exec_lo
	v_and_b32_e32 v2, 0xff, v6
	s_delay_alu instid0(VALU_DEP_1)
	v_cmpx_ne_u16_e32 0, v2
	s_cbranch_execz .LBB370_1314
; %bb.1307:                             ;   in Loop: Header=BB370_10 Depth=1
	v_bfrev_b32_e32 v90, 1
	s_mov_b32 s16, exec_lo
	v_cmpx_ne_u16_e32 0x80, v2
	s_cbranch_execz .LBB370_1313
; %bb.1308:                             ;   in Loop: Header=BB370_10 Depth=1
	v_bfe_u32 v7, v0, 16, 7
	v_mov_b32_e32 v90, 0x7f800001
	s_mov_b32 s17, exec_lo
	s_delay_alu instid0(VALU_DEP_2)
	v_cmpx_ne_u32_e32 0x7f, v7
	s_cbranch_execz .LBB370_1312
; %bb.1309:                             ;   in Loop: Header=BB370_10 Depth=1
	v_and_b32_e32 v16, 7, v6
	s_mov_b32 s18, exec_lo
	s_delay_alu instid0(VALU_DEP_1)
	v_mov_b64_e32 v[2:3], v[16:17]
	v_lshrrev_b32_e32 v3, 3, v7
	v_cmpx_gt_u32_e32 8, v7
; %bb.1310:                             ;   in Loop: Header=BB370_10 Depth=1
	v_clz_i32_u32_e32 v2, v16
	s_delay_alu instid0(VALU_DEP_1) | instskip(NEXT) | instid1(VALU_DEP_1)
	v_min_u32_e32 v7, 32, v2
	v_subrev_nc_u32_e32 v2, 28, v7
	s_delay_alu instid0(VALU_DEP_1) | instskip(NEXT) | instid1(VALU_DEP_1)
	v_lshlrev_b64_e32 v[2:3], v2, v[16:17]
	v_dual_sub_nc_u32 v3, 29, v7 :: v_dual_bitop2_b32 v2, 7, v2 bitop3:0x40
; %bb.1311:                             ;   in Loop: Header=BB370_10 Depth=1
	s_or_b32 exec_lo, exec_lo, s18
	v_lshlrev_b32_e32 v6, 24, v6
	s_delay_alu instid0(VALU_DEP_2) | instskip(NEXT) | instid1(VALU_DEP_3)
	v_lshlrev_b32_e32 v2, 20, v2
	v_lshl_add_u32 v3, v3, 23, 0x3c000000
	s_delay_alu instid0(VALU_DEP_3) | instskip(NEXT) | instid1(VALU_DEP_1)
	v_and_b32_e32 v6, 0x80000000, v6
	v_or3_b32 v90, v2, v6, v3
.LBB370_1312:                           ;   in Loop: Header=BB370_10 Depth=1
	s_or_b32 exec_lo, exec_lo, s17
.LBB370_1313:                           ;   in Loop: Header=BB370_10 Depth=1
	s_delay_alu instid0(SALU_CYCLE_1)
	s_or_b32 exec_lo, exec_lo, s16
.LBB370_1314:                           ;   in Loop: Header=BB370_10 Depth=1
	s_delay_alu instid0(SALU_CYCLE_1)
	s_or_b32 exec_lo, exec_lo, s11
	v_dual_mov_b32 v92, 0 :: v_dual_mov_b32 v91, 0
	s_mov_b32 s11, exec_lo
	v_cmpx_lt_u32_e32 0xffffff, v0
	s_cbranch_execz .LBB370_1322
; %bb.1315:                             ;   in Loop: Header=BB370_10 Depth=1
	v_lshrrev_b32_e32 v6, 24, v0
	v_bfrev_b32_e32 v91, 1
	s_mov_b32 s16, exec_lo
	s_delay_alu instid0(VALU_DEP_2)
	v_cmpx_ne_u32_e32 0x80, v6
	s_cbranch_execz .LBB370_1321
; %bb.1316:                             ;   in Loop: Header=BB370_10 Depth=1
	v_bfe_u32 v7, v0, 24, 7
	v_mov_b32_e32 v91, 0x7f800001
	s_mov_b32 s17, exec_lo
	s_delay_alu instid0(VALU_DEP_2)
	v_cmpx_ne_u32_e32 0x7f, v7
	s_cbranch_execz .LBB370_1320
; %bb.1317:                             ;   in Loop: Header=BB370_10 Depth=1
	v_and_b32_e32 v16, 7, v6
	s_mov_b32 s18, exec_lo
	s_delay_alu instid0(VALU_DEP_1)
	v_mov_b64_e32 v[2:3], v[16:17]
	v_lshrrev_b32_e32 v3, 3, v7
	v_cmpx_gt_u32_e32 8, v7
; %bb.1318:                             ;   in Loop: Header=BB370_10 Depth=1
	v_clz_i32_u32_e32 v2, v16
	s_delay_alu instid0(VALU_DEP_1) | instskip(NEXT) | instid1(VALU_DEP_1)
	v_min_u32_e32 v7, 32, v2
	v_subrev_nc_u32_e32 v2, 28, v7
	s_delay_alu instid0(VALU_DEP_1) | instskip(NEXT) | instid1(VALU_DEP_1)
	v_lshlrev_b64_e32 v[2:3], v2, v[16:17]
	v_dual_sub_nc_u32 v3, 29, v7 :: v_dual_bitop2_b32 v2, 7, v2 bitop3:0x40
; %bb.1319:                             ;   in Loop: Header=BB370_10 Depth=1
	s_or_b32 exec_lo, exec_lo, s18
	v_lshlrev_b32_e32 v6, 24, v6
	s_delay_alu instid0(VALU_DEP_2) | instskip(NEXT) | instid1(VALU_DEP_3)
	v_lshlrev_b32_e32 v2, 20, v2
	v_lshl_add_u32 v3, v3, 23, 0x3c000000
	s_delay_alu instid0(VALU_DEP_3) | instskip(NEXT) | instid1(VALU_DEP_1)
	v_and_b32_e32 v6, 0x80000000, v6
	v_or3_b32 v91, v2, v6, v3
.LBB370_1320:                           ;   in Loop: Header=BB370_10 Depth=1
	s_or_b32 exec_lo, exec_lo, s17
.LBB370_1321:                           ;   in Loop: Header=BB370_10 Depth=1
	s_delay_alu instid0(SALU_CYCLE_1)
	s_or_b32 exec_lo, exec_lo, s16
.LBB370_1322:                           ;   in Loop: Header=BB370_10 Depth=1
	s_delay_alu instid0(SALU_CYCLE_1) | instskip(SKIP_3) | instid1(VALU_DEP_2)
	s_or_b32 exec_lo, exec_lo, s11
	v_and_b32_e32 v2, 0xff, v1
	v_mov_b32_e32 v16, v1
	s_mov_b32 s11, exec_lo
	v_cmpx_ne_u16_e32 0, v2
	s_cbranch_execz .LBB370_1330
; %bb.1323:                             ;   in Loop: Header=BB370_10 Depth=1
	v_bfrev_b32_e32 v92, 1
	s_mov_b32 s16, exec_lo
	v_cmpx_ne_u16_e32 0x80, v2
	s_cbranch_execz .LBB370_1329
; %bb.1324:                             ;   in Loop: Header=BB370_10 Depth=1
	v_and_b32_e32 v6, 0x7f, v1
	v_mov_b32_e32 v92, 0x7f800001
	s_mov_b32 s17, exec_lo
	s_delay_alu instid0(VALU_DEP_2)
	v_cmpx_ne_u32_e32 0x7f, v6
	s_cbranch_execz .LBB370_1328
; %bb.1325:                             ;   in Loop: Header=BB370_10 Depth=1
	v_mov_b64_e32 v[2:3], v[16:17]
	v_lshrrev_b32_e32 v3, 3, v6
	s_mov_b32 s18, exec_lo
	v_cmpx_gt_u32_e32 8, v6
; %bb.1326:                             ;   in Loop: Header=BB370_10 Depth=1
	v_and_b32_e32 v2, 7, v1
	s_delay_alu instid0(VALU_DEP_1) | instskip(NEXT) | instid1(VALU_DEP_1)
	v_clz_i32_u32_e32 v2, v2
	v_min_u32_e32 v6, 32, v2
	s_delay_alu instid0(VALU_DEP_1) | instskip(NEXT) | instid1(VALU_DEP_1)
	v_subrev_nc_u32_e32 v2, 28, v6
	v_lshlrev_b64_e32 v[2:3], v2, v[16:17]
	v_sub_nc_u32_e32 v3, 29, v6
; %bb.1327:                             ;   in Loop: Header=BB370_10 Depth=1
	s_or_b32 exec_lo, exec_lo, s18
	s_delay_alu instid0(VALU_DEP_2) | instskip(NEXT) | instid1(VALU_DEP_2)
	v_dual_lshlrev_b32 v2, 20, v2 :: v_dual_lshlrev_b32 v6, 24, v16
	v_lshl_add_u32 v3, v3, 23, 0x3c000000
	s_delay_alu instid0(VALU_DEP_2) | instskip(NEXT) | instid1(VALU_DEP_3)
	v_and_b32_e32 v2, 0x700000, v2
	v_and_b32_e32 v6, 0x80000000, v6
	s_delay_alu instid0(VALU_DEP_1)
	v_or3_b32 v92, v2, v6, v3
.LBB370_1328:                           ;   in Loop: Header=BB370_10 Depth=1
	s_or_b32 exec_lo, exec_lo, s17
.LBB370_1329:                           ;   in Loop: Header=BB370_10 Depth=1
	s_delay_alu instid0(SALU_CYCLE_1)
	s_or_b32 exec_lo, exec_lo, s16
.LBB370_1330:                           ;   in Loop: Header=BB370_10 Depth=1
	s_delay_alu instid0(SALU_CYCLE_1) | instskip(SKIP_3) | instid1(VALU_DEP_2)
	s_or_b32 exec_lo, exec_lo, s11
	v_lshrrev_b16 v2, 8, v16
	v_dual_mov_b32 v94, 0 :: v_dual_mov_b32 v93, 0
	s_mov_b32 s11, exec_lo
	v_cmpx_ne_u16_e32 0, v2
	s_cbranch_execz .LBB370_1338
; %bb.1331:                             ;   in Loop: Header=BB370_10 Depth=1
	v_bfrev_b32_e32 v93, 1
	s_mov_b32 s16, exec_lo
	v_cmpx_ne_u16_e32 0x80, v2
	s_cbranch_execz .LBB370_1337
; %bb.1332:                             ;   in Loop: Header=BB370_10 Depth=1
	v_and_b32_e32 v2, 0xffff, v2
	v_mov_b32_e32 v93, 0x7f800001
	s_mov_b32 s17, exec_lo
	s_delay_alu instid0(VALU_DEP_2) | instskip(NEXT) | instid1(VALU_DEP_1)
	v_and_b32_e32 v7, 0x7f, v2
	v_cmpx_ne_u32_e32 0x7f, v7
	s_cbranch_execz .LBB370_1336
; %bb.1333:                             ;   in Loop: Header=BB370_10 Depth=1
	v_dual_mov_b32 v3, v17 :: v_dual_bitop2_b32 v2, 7, v2 bitop3:0x40
	v_lshrrev_b32_e32 v6, 3, v7
	s_mov_b32 s18, exec_lo
	v_cmpx_gt_u32_e32 8, v7
; %bb.1334:                             ;   in Loop: Header=BB370_10 Depth=1
	s_delay_alu instid0(VALU_DEP_3) | instskip(NEXT) | instid1(VALU_DEP_1)
	v_clz_i32_u32_e32 v6, v2
	v_min_u32_e32 v6, 32, v6
	s_delay_alu instid0(VALU_DEP_1) | instskip(SKIP_1) | instid1(VALU_DEP_2)
	v_subrev_nc_u32_e32 v7, 28, v6
	v_sub_nc_u32_e32 v6, 29, v6
	v_lshlrev_b64_e32 v[2:3], v7, v[2:3]
	s_delay_alu instid0(VALU_DEP_1)
	v_and_b32_e32 v2, 7, v2
; %bb.1335:                             ;   in Loop: Header=BB370_10 Depth=1
	s_or_b32 exec_lo, exec_lo, s18
	s_delay_alu instid0(VALU_DEP_1) | instskip(SKIP_1) | instid1(VALU_DEP_2)
	v_dual_lshlrev_b32 v3, 16, v16 :: v_dual_lshlrev_b32 v2, 20, v2
	v_lshl_add_u32 v6, v6, 23, 0x3c000000
	v_and_b32_e32 v3, 0x80000000, v3
	s_delay_alu instid0(VALU_DEP_1)
	v_or3_b32 v93, v2, v3, v6
.LBB370_1336:                           ;   in Loop: Header=BB370_10 Depth=1
	s_or_b32 exec_lo, exec_lo, s17
.LBB370_1337:                           ;   in Loop: Header=BB370_10 Depth=1
	s_delay_alu instid0(SALU_CYCLE_1)
	s_or_b32 exec_lo, exec_lo, s16
.LBB370_1338:                           ;   in Loop: Header=BB370_10 Depth=1
	s_delay_alu instid0(SALU_CYCLE_1) | instskip(SKIP_2) | instid1(VALU_DEP_1)
	s_or_b32 exec_lo, exec_lo, s11
	v_lshrrev_b32_e32 v6, 16, v1
	s_mov_b32 s11, exec_lo
	v_and_b32_e32 v2, 0xff, v6
	s_delay_alu instid0(VALU_DEP_1)
	v_cmpx_ne_u16_e32 0, v2
	s_cbranch_execz .LBB370_1346
; %bb.1339:                             ;   in Loop: Header=BB370_10 Depth=1
	v_bfrev_b32_e32 v94, 1
	s_mov_b32 s16, exec_lo
	v_cmpx_ne_u16_e32 0x80, v2
	s_cbranch_execz .LBB370_1345
; %bb.1340:                             ;   in Loop: Header=BB370_10 Depth=1
	v_bfe_u32 v7, v1, 16, 7
	v_mov_b32_e32 v94, 0x7f800001
	s_mov_b32 s17, exec_lo
	s_delay_alu instid0(VALU_DEP_2)
	v_cmpx_ne_u32_e32 0x7f, v7
	s_cbranch_execz .LBB370_1344
; %bb.1341:                             ;   in Loop: Header=BB370_10 Depth=1
	v_and_b32_e32 v16, 7, v6
	s_mov_b32 s18, exec_lo
	s_delay_alu instid0(VALU_DEP_1)
	v_mov_b64_e32 v[2:3], v[16:17]
	v_lshrrev_b32_e32 v3, 3, v7
	v_cmpx_gt_u32_e32 8, v7
; %bb.1342:                             ;   in Loop: Header=BB370_10 Depth=1
	v_clz_i32_u32_e32 v2, v16
	s_delay_alu instid0(VALU_DEP_1) | instskip(NEXT) | instid1(VALU_DEP_1)
	v_min_u32_e32 v7, 32, v2
	v_subrev_nc_u32_e32 v2, 28, v7
	s_delay_alu instid0(VALU_DEP_1) | instskip(NEXT) | instid1(VALU_DEP_1)
	v_lshlrev_b64_e32 v[2:3], v2, v[16:17]
	v_dual_sub_nc_u32 v3, 29, v7 :: v_dual_bitop2_b32 v2, 7, v2 bitop3:0x40
; %bb.1343:                             ;   in Loop: Header=BB370_10 Depth=1
	s_or_b32 exec_lo, exec_lo, s18
	v_lshlrev_b32_e32 v6, 24, v6
	s_delay_alu instid0(VALU_DEP_2) | instskip(NEXT) | instid1(VALU_DEP_3)
	v_lshlrev_b32_e32 v2, 20, v2
	v_lshl_add_u32 v3, v3, 23, 0x3c000000
	s_delay_alu instid0(VALU_DEP_3) | instskip(NEXT) | instid1(VALU_DEP_1)
	v_and_b32_e32 v6, 0x80000000, v6
	v_or3_b32 v94, v2, v6, v3
.LBB370_1344:                           ;   in Loop: Header=BB370_10 Depth=1
	s_or_b32 exec_lo, exec_lo, s17
.LBB370_1345:                           ;   in Loop: Header=BB370_10 Depth=1
	s_delay_alu instid0(SALU_CYCLE_1)
	s_or_b32 exec_lo, exec_lo, s16
.LBB370_1346:                           ;   in Loop: Header=BB370_10 Depth=1
	s_delay_alu instid0(SALU_CYCLE_1)
	s_or_b32 exec_lo, exec_lo, s11
	v_dual_mov_b32 v106, 0 :: v_dual_mov_b32 v95, 0
	s_mov_b32 s11, exec_lo
	v_cmpx_lt_u64_e64 s[2:3], v[0:1]
	s_cbranch_execz .LBB370_1354
; %bb.1347:                             ;   in Loop: Header=BB370_10 Depth=1
	v_lshrrev_b32_e32 v2, 24, v1
	v_bfrev_b32_e32 v95, 1
	s_mov_b32 s16, exec_lo
	s_delay_alu instid0(VALU_DEP_2)
	v_cmpx_ne_u32_e32 0x80, v2
	s_cbranch_execz .LBB370_1353
; %bb.1348:                             ;   in Loop: Header=BB370_10 Depth=1
	v_bfe_u32 v3, v1, 24, 7
	v_mov_b32_e32 v95, 0x7f800001
	s_mov_b32 s17, exec_lo
	s_delay_alu instid0(VALU_DEP_2)
	v_cmpx_ne_u32_e32 0x7f, v3
	s_cbranch_execz .LBB370_1352
; %bb.1349:                             ;   in Loop: Header=BB370_10 Depth=1
	v_and_b32_e32 v16, 7, v2
	s_mov_b32 s18, exec_lo
	s_delay_alu instid0(VALU_DEP_1)
	v_mov_b64_e32 v[0:1], v[16:17]
	v_lshrrev_b32_e32 v1, 3, v3
	v_cmpx_gt_u32_e32 8, v3
; %bb.1350:                             ;   in Loop: Header=BB370_10 Depth=1
	v_clz_i32_u32_e32 v0, v16
	s_delay_alu instid0(VALU_DEP_1) | instskip(NEXT) | instid1(VALU_DEP_1)
	v_min_u32_e32 v3, 32, v0
	v_subrev_nc_u32_e32 v0, 28, v3
	s_delay_alu instid0(VALU_DEP_1) | instskip(NEXT) | instid1(VALU_DEP_1)
	v_lshlrev_b64_e32 v[0:1], v0, v[16:17]
	v_dual_sub_nc_u32 v1, 29, v3 :: v_dual_bitop2_b32 v0, 7, v0 bitop3:0x40
; %bb.1351:                             ;   in Loop: Header=BB370_10 Depth=1
	s_or_b32 exec_lo, exec_lo, s18
	s_delay_alu instid0(VALU_DEP_1) | instskip(NEXT) | instid1(VALU_DEP_2)
	v_dual_lshlrev_b32 v2, 24, v2 :: v_dual_lshlrev_b32 v0, 20, v0
	v_lshl_add_u32 v1, v1, 23, 0x3c000000
	s_delay_alu instid0(VALU_DEP_2) | instskip(NEXT) | instid1(VALU_DEP_1)
	v_and_b32_e32 v2, 0x80000000, v2
	v_or3_b32 v95, v0, v2, v1
.LBB370_1352:                           ;   in Loop: Header=BB370_10 Depth=1
	s_or_b32 exec_lo, exec_lo, s17
.LBB370_1353:                           ;   in Loop: Header=BB370_10 Depth=1
	s_delay_alu instid0(SALU_CYCLE_1)
	s_or_b32 exec_lo, exec_lo, s16
.LBB370_1354:                           ;   in Loop: Header=BB370_10 Depth=1
	s_delay_alu instid0(SALU_CYCLE_1)
	s_or_b32 exec_lo, exec_lo, s11
	flat_load_b64 v[0:1], v[32:33] offset:5128
	s_mov_b32 s11, exec_lo
	s_wait_loadcnt_dscnt 0x0
	v_and_b32_e32 v2, 0xff, v0
	s_wait_xcnt 0x0
	s_delay_alu instid0(VALU_DEP_1)
	v_cmpx_ne_u16_e32 0, v2
	s_cbranch_execz .LBB370_1362
; %bb.1355:                             ;   in Loop: Header=BB370_10 Depth=1
	v_bfrev_b32_e32 v106, 1
	s_mov_b32 s16, exec_lo
	v_cmpx_ne_u16_e32 0x80, v2
	s_cbranch_execz .LBB370_1361
; %bb.1356:                             ;   in Loop: Header=BB370_10 Depth=1
	v_and_b32_e32 v2, 0x7f, v0
	v_mov_b32_e32 v106, 0x7f800001
	s_mov_b32 s17, exec_lo
	s_delay_alu instid0(VALU_DEP_2)
	v_cmpx_ne_u32_e32 0x7f, v2
	s_cbranch_execz .LBB370_1360
; %bb.1357:                             ;   in Loop: Header=BB370_10 Depth=1
	v_lshrrev_b32_e32 v6, 3, v2
	v_cmp_gt_u32_e64 s1, 8, v2
	v_mov_b64_e32 v[2:3], v[0:1]
	s_and_saveexec_b32 s18, s1
; %bb.1358:                             ;   in Loop: Header=BB370_10 Depth=1
	v_and_b32_e32 v2, 7, v0
	s_delay_alu instid0(VALU_DEP_1) | instskip(NEXT) | instid1(VALU_DEP_1)
	v_clz_i32_u32_e32 v2, v2
	v_min_u32_e32 v6, 32, v2
	s_delay_alu instid0(VALU_DEP_1) | instskip(SKIP_1) | instid1(VALU_DEP_2)
	v_subrev_nc_u32_e32 v2, 28, v6
	v_sub_nc_u32_e32 v6, 29, v6
	v_lshlrev_b64_e32 v[2:3], v2, v[0:1]
; %bb.1359:                             ;   in Loop: Header=BB370_10 Depth=1
	s_or_b32 exec_lo, exec_lo, s18
	s_delay_alu instid0(VALU_DEP_1) | instskip(NEXT) | instid1(VALU_DEP_3)
	v_dual_lshlrev_b32 v2, 20, v2 :: v_dual_lshlrev_b32 v3, 24, v0
	v_lshl_add_u32 v6, v6, 23, 0x3c000000
	s_delay_alu instid0(VALU_DEP_2) | instskip(NEXT) | instid1(VALU_DEP_3)
	v_and_b32_e32 v2, 0x700000, v2
	v_and_b32_e32 v3, 0x80000000, v3
	s_delay_alu instid0(VALU_DEP_1)
	v_or3_b32 v106, v2, v3, v6
.LBB370_1360:                           ;   in Loop: Header=BB370_10 Depth=1
	s_or_b32 exec_lo, exec_lo, s17
.LBB370_1361:                           ;   in Loop: Header=BB370_10 Depth=1
	s_delay_alu instid0(SALU_CYCLE_1)
	s_or_b32 exec_lo, exec_lo, s16
.LBB370_1362:                           ;   in Loop: Header=BB370_10 Depth=1
	s_delay_alu instid0(SALU_CYCLE_1) | instskip(SKIP_3) | instid1(VALU_DEP_2)
	s_or_b32 exec_lo, exec_lo, s11
	v_lshrrev_b16 v2, 8, v0
	v_dual_mov_b32 v108, 0 :: v_dual_mov_b32 v107, 0
	s_mov_b32 s11, exec_lo
	v_cmpx_ne_u16_e32 0, v2
	s_cbranch_execz .LBB370_1370
; %bb.1363:                             ;   in Loop: Header=BB370_10 Depth=1
	v_bfrev_b32_e32 v107, 1
	s_mov_b32 s16, exec_lo
	v_cmpx_ne_u16_e32 0x80, v2
	s_cbranch_execz .LBB370_1369
; %bb.1364:                             ;   in Loop: Header=BB370_10 Depth=1
	v_and_b32_e32 v2, 0xffff, v2
	v_mov_b32_e32 v107, 0x7f800001
	s_mov_b32 s17, exec_lo
	s_delay_alu instid0(VALU_DEP_2) | instskip(NEXT) | instid1(VALU_DEP_1)
	v_and_b32_e32 v6, 0x7f, v2
	v_cmpx_ne_u32_e32 0x7f, v6
	s_cbranch_execz .LBB370_1368
; %bb.1365:                             ;   in Loop: Header=BB370_10 Depth=1
	v_and_b32_e32 v16, 7, v2
	s_mov_b32 s18, exec_lo
	s_delay_alu instid0(VALU_DEP_1)
	v_mov_b64_e32 v[2:3], v[16:17]
	v_lshrrev_b32_e32 v3, 3, v6
	v_cmpx_gt_u32_e32 8, v6
; %bb.1366:                             ;   in Loop: Header=BB370_10 Depth=1
	v_clz_i32_u32_e32 v2, v16
	s_delay_alu instid0(VALU_DEP_1) | instskip(NEXT) | instid1(VALU_DEP_1)
	v_min_u32_e32 v6, 32, v2
	v_subrev_nc_u32_e32 v2, 28, v6
	s_delay_alu instid0(VALU_DEP_1) | instskip(SKIP_1) | instid1(VALU_DEP_2)
	v_lshlrev_b64_e32 v[2:3], v2, v[16:17]
	v_sub_nc_u32_e32 v3, 29, v6
	v_and_b32_e32 v2, 7, v2
; %bb.1367:                             ;   in Loop: Header=BB370_10 Depth=1
	s_or_b32 exec_lo, exec_lo, s18
	s_delay_alu instid0(VALU_DEP_1) | instskip(NEXT) | instid1(VALU_DEP_3)
	v_dual_lshlrev_b32 v6, 16, v0 :: v_dual_lshlrev_b32 v2, 20, v2
	v_lshl_add_u32 v3, v3, 23, 0x3c000000
	s_delay_alu instid0(VALU_DEP_2) | instskip(NEXT) | instid1(VALU_DEP_1)
	v_and_b32_e32 v6, 0x80000000, v6
	v_or3_b32 v107, v2, v6, v3
.LBB370_1368:                           ;   in Loop: Header=BB370_10 Depth=1
	s_or_b32 exec_lo, exec_lo, s17
.LBB370_1369:                           ;   in Loop: Header=BB370_10 Depth=1
	s_delay_alu instid0(SALU_CYCLE_1)
	s_or_b32 exec_lo, exec_lo, s16
.LBB370_1370:                           ;   in Loop: Header=BB370_10 Depth=1
	s_delay_alu instid0(SALU_CYCLE_1) | instskip(SKIP_2) | instid1(VALU_DEP_1)
	s_or_b32 exec_lo, exec_lo, s11
	v_lshrrev_b32_e32 v6, 16, v0
	s_mov_b32 s11, exec_lo
	v_and_b32_e32 v2, 0xff, v6
	s_delay_alu instid0(VALU_DEP_1)
	v_cmpx_ne_u16_e32 0, v2
	s_cbranch_execz .LBB370_1378
; %bb.1371:                             ;   in Loop: Header=BB370_10 Depth=1
	v_bfrev_b32_e32 v108, 1
	s_mov_b32 s16, exec_lo
	v_cmpx_ne_u16_e32 0x80, v2
	s_cbranch_execz .LBB370_1377
; %bb.1372:                             ;   in Loop: Header=BB370_10 Depth=1
	v_bfe_u32 v7, v0, 16, 7
	v_mov_b32_e32 v108, 0x7f800001
	s_mov_b32 s17, exec_lo
	s_delay_alu instid0(VALU_DEP_2)
	v_cmpx_ne_u32_e32 0x7f, v7
	s_cbranch_execz .LBB370_1376
; %bb.1373:                             ;   in Loop: Header=BB370_10 Depth=1
	v_and_b32_e32 v16, 7, v6
	s_mov_b32 s18, exec_lo
	s_delay_alu instid0(VALU_DEP_1)
	v_mov_b64_e32 v[2:3], v[16:17]
	v_lshrrev_b32_e32 v3, 3, v7
	v_cmpx_gt_u32_e32 8, v7
; %bb.1374:                             ;   in Loop: Header=BB370_10 Depth=1
	v_clz_i32_u32_e32 v2, v16
	s_delay_alu instid0(VALU_DEP_1) | instskip(NEXT) | instid1(VALU_DEP_1)
	v_min_u32_e32 v7, 32, v2
	v_subrev_nc_u32_e32 v2, 28, v7
	s_delay_alu instid0(VALU_DEP_1) | instskip(NEXT) | instid1(VALU_DEP_1)
	v_lshlrev_b64_e32 v[2:3], v2, v[16:17]
	v_dual_sub_nc_u32 v3, 29, v7 :: v_dual_bitop2_b32 v2, 7, v2 bitop3:0x40
; %bb.1375:                             ;   in Loop: Header=BB370_10 Depth=1
	s_or_b32 exec_lo, exec_lo, s18
	v_lshlrev_b32_e32 v6, 24, v6
	s_delay_alu instid0(VALU_DEP_2) | instskip(NEXT) | instid1(VALU_DEP_3)
	v_lshlrev_b32_e32 v2, 20, v2
	v_lshl_add_u32 v3, v3, 23, 0x3c000000
	s_delay_alu instid0(VALU_DEP_3) | instskip(NEXT) | instid1(VALU_DEP_1)
	v_and_b32_e32 v6, 0x80000000, v6
	v_or3_b32 v108, v2, v6, v3
.LBB370_1376:                           ;   in Loop: Header=BB370_10 Depth=1
	s_or_b32 exec_lo, exec_lo, s17
.LBB370_1377:                           ;   in Loop: Header=BB370_10 Depth=1
	s_delay_alu instid0(SALU_CYCLE_1)
	s_or_b32 exec_lo, exec_lo, s16
.LBB370_1378:                           ;   in Loop: Header=BB370_10 Depth=1
	s_delay_alu instid0(SALU_CYCLE_1)
	s_or_b32 exec_lo, exec_lo, s11
	v_dual_mov_b32 v110, 0 :: v_dual_mov_b32 v109, 0
	s_mov_b32 s11, exec_lo
	v_cmpx_lt_u32_e32 0xffffff, v0
	s_cbranch_execz .LBB370_1386
; %bb.1379:                             ;   in Loop: Header=BB370_10 Depth=1
	v_lshrrev_b32_e32 v6, 24, v0
	v_bfrev_b32_e32 v109, 1
	s_mov_b32 s16, exec_lo
	s_delay_alu instid0(VALU_DEP_2)
	v_cmpx_ne_u32_e32 0x80, v6
	s_cbranch_execz .LBB370_1385
; %bb.1380:                             ;   in Loop: Header=BB370_10 Depth=1
	v_bfe_u32 v7, v0, 24, 7
	v_mov_b32_e32 v109, 0x7f800001
	s_mov_b32 s17, exec_lo
	s_delay_alu instid0(VALU_DEP_2)
	v_cmpx_ne_u32_e32 0x7f, v7
	s_cbranch_execz .LBB370_1384
; %bb.1381:                             ;   in Loop: Header=BB370_10 Depth=1
	v_and_b32_e32 v16, 7, v6
	s_mov_b32 s18, exec_lo
	s_delay_alu instid0(VALU_DEP_1)
	v_mov_b64_e32 v[2:3], v[16:17]
	v_lshrrev_b32_e32 v3, 3, v7
	v_cmpx_gt_u32_e32 8, v7
; %bb.1382:                             ;   in Loop: Header=BB370_10 Depth=1
	v_clz_i32_u32_e32 v2, v16
	s_delay_alu instid0(VALU_DEP_1) | instskip(NEXT) | instid1(VALU_DEP_1)
	v_min_u32_e32 v7, 32, v2
	v_subrev_nc_u32_e32 v2, 28, v7
	s_delay_alu instid0(VALU_DEP_1) | instskip(NEXT) | instid1(VALU_DEP_1)
	v_lshlrev_b64_e32 v[2:3], v2, v[16:17]
	v_dual_sub_nc_u32 v3, 29, v7 :: v_dual_bitop2_b32 v2, 7, v2 bitop3:0x40
; %bb.1383:                             ;   in Loop: Header=BB370_10 Depth=1
	s_or_b32 exec_lo, exec_lo, s18
	v_lshlrev_b32_e32 v6, 24, v6
	s_delay_alu instid0(VALU_DEP_2) | instskip(NEXT) | instid1(VALU_DEP_3)
	v_lshlrev_b32_e32 v2, 20, v2
	v_lshl_add_u32 v3, v3, 23, 0x3c000000
	s_delay_alu instid0(VALU_DEP_3) | instskip(NEXT) | instid1(VALU_DEP_1)
	v_and_b32_e32 v6, 0x80000000, v6
	v_or3_b32 v109, v2, v6, v3
.LBB370_1384:                           ;   in Loop: Header=BB370_10 Depth=1
	s_or_b32 exec_lo, exec_lo, s17
.LBB370_1385:                           ;   in Loop: Header=BB370_10 Depth=1
	s_delay_alu instid0(SALU_CYCLE_1)
	s_or_b32 exec_lo, exec_lo, s16
.LBB370_1386:                           ;   in Loop: Header=BB370_10 Depth=1
	s_delay_alu instid0(SALU_CYCLE_1) | instskip(SKIP_3) | instid1(VALU_DEP_2)
	s_or_b32 exec_lo, exec_lo, s11
	v_and_b32_e32 v2, 0xff, v1
	v_mov_b32_e32 v16, v1
	s_mov_b32 s11, exec_lo
	v_cmpx_ne_u16_e32 0, v2
	s_cbranch_execz .LBB370_1394
; %bb.1387:                             ;   in Loop: Header=BB370_10 Depth=1
	v_bfrev_b32_e32 v110, 1
	s_mov_b32 s16, exec_lo
	v_cmpx_ne_u16_e32 0x80, v2
	s_cbranch_execz .LBB370_1393
; %bb.1388:                             ;   in Loop: Header=BB370_10 Depth=1
	v_and_b32_e32 v6, 0x7f, v1
	v_mov_b32_e32 v110, 0x7f800001
	s_mov_b32 s17, exec_lo
	s_delay_alu instid0(VALU_DEP_2)
	v_cmpx_ne_u32_e32 0x7f, v6
	s_cbranch_execz .LBB370_1392
; %bb.1389:                             ;   in Loop: Header=BB370_10 Depth=1
	v_mov_b64_e32 v[2:3], v[16:17]
	v_lshrrev_b32_e32 v3, 3, v6
	s_mov_b32 s18, exec_lo
	v_cmpx_gt_u32_e32 8, v6
; %bb.1390:                             ;   in Loop: Header=BB370_10 Depth=1
	v_and_b32_e32 v2, 7, v1
	s_delay_alu instid0(VALU_DEP_1) | instskip(NEXT) | instid1(VALU_DEP_1)
	v_clz_i32_u32_e32 v2, v2
	v_min_u32_e32 v6, 32, v2
	s_delay_alu instid0(VALU_DEP_1) | instskip(NEXT) | instid1(VALU_DEP_1)
	v_subrev_nc_u32_e32 v2, 28, v6
	v_lshlrev_b64_e32 v[2:3], v2, v[16:17]
	v_sub_nc_u32_e32 v3, 29, v6
; %bb.1391:                             ;   in Loop: Header=BB370_10 Depth=1
	s_or_b32 exec_lo, exec_lo, s18
	s_delay_alu instid0(VALU_DEP_2) | instskip(NEXT) | instid1(VALU_DEP_2)
	v_dual_lshlrev_b32 v2, 20, v2 :: v_dual_lshlrev_b32 v6, 24, v16
	v_lshl_add_u32 v3, v3, 23, 0x3c000000
	s_delay_alu instid0(VALU_DEP_2) | instskip(NEXT) | instid1(VALU_DEP_3)
	v_and_b32_e32 v2, 0x700000, v2
	v_and_b32_e32 v6, 0x80000000, v6
	s_delay_alu instid0(VALU_DEP_1)
	v_or3_b32 v110, v2, v6, v3
.LBB370_1392:                           ;   in Loop: Header=BB370_10 Depth=1
	s_or_b32 exec_lo, exec_lo, s17
.LBB370_1393:                           ;   in Loop: Header=BB370_10 Depth=1
	s_delay_alu instid0(SALU_CYCLE_1)
	s_or_b32 exec_lo, exec_lo, s16
.LBB370_1394:                           ;   in Loop: Header=BB370_10 Depth=1
	s_delay_alu instid0(SALU_CYCLE_1) | instskip(SKIP_3) | instid1(VALU_DEP_2)
	s_or_b32 exec_lo, exec_lo, s11
	v_lshrrev_b16 v2, 8, v16
	v_dual_mov_b32 v120, 0 :: v_dual_mov_b32 v111, 0
	s_mov_b32 s11, exec_lo
	v_cmpx_ne_u16_e32 0, v2
	s_cbranch_execz .LBB370_1402
; %bb.1395:                             ;   in Loop: Header=BB370_10 Depth=1
	v_bfrev_b32_e32 v111, 1
	s_mov_b32 s16, exec_lo
	v_cmpx_ne_u16_e32 0x80, v2
	s_cbranch_execz .LBB370_1401
; %bb.1396:                             ;   in Loop: Header=BB370_10 Depth=1
	v_and_b32_e32 v2, 0xffff, v2
	v_mov_b32_e32 v111, 0x7f800001
	s_mov_b32 s17, exec_lo
	s_delay_alu instid0(VALU_DEP_2) | instskip(NEXT) | instid1(VALU_DEP_1)
	v_and_b32_e32 v7, 0x7f, v2
	v_cmpx_ne_u32_e32 0x7f, v7
	s_cbranch_execz .LBB370_1400
; %bb.1397:                             ;   in Loop: Header=BB370_10 Depth=1
	v_dual_mov_b32 v3, v17 :: v_dual_bitop2_b32 v2, 7, v2 bitop3:0x40
	v_lshrrev_b32_e32 v6, 3, v7
	s_mov_b32 s18, exec_lo
	v_cmpx_gt_u32_e32 8, v7
; %bb.1398:                             ;   in Loop: Header=BB370_10 Depth=1
	s_delay_alu instid0(VALU_DEP_3) | instskip(NEXT) | instid1(VALU_DEP_1)
	v_clz_i32_u32_e32 v6, v2
	v_min_u32_e32 v6, 32, v6
	s_delay_alu instid0(VALU_DEP_1) | instskip(SKIP_1) | instid1(VALU_DEP_2)
	v_subrev_nc_u32_e32 v7, 28, v6
	v_sub_nc_u32_e32 v6, 29, v6
	v_lshlrev_b64_e32 v[2:3], v7, v[2:3]
	s_delay_alu instid0(VALU_DEP_1)
	v_and_b32_e32 v2, 7, v2
; %bb.1399:                             ;   in Loop: Header=BB370_10 Depth=1
	s_or_b32 exec_lo, exec_lo, s18
	s_delay_alu instid0(VALU_DEP_1) | instskip(SKIP_1) | instid1(VALU_DEP_2)
	v_dual_lshlrev_b32 v3, 16, v16 :: v_dual_lshlrev_b32 v2, 20, v2
	v_lshl_add_u32 v6, v6, 23, 0x3c000000
	v_and_b32_e32 v3, 0x80000000, v3
	s_delay_alu instid0(VALU_DEP_1)
	v_or3_b32 v111, v2, v3, v6
.LBB370_1400:                           ;   in Loop: Header=BB370_10 Depth=1
	s_or_b32 exec_lo, exec_lo, s17
.LBB370_1401:                           ;   in Loop: Header=BB370_10 Depth=1
	s_delay_alu instid0(SALU_CYCLE_1)
	s_or_b32 exec_lo, exec_lo, s16
.LBB370_1402:                           ;   in Loop: Header=BB370_10 Depth=1
	s_delay_alu instid0(SALU_CYCLE_1) | instskip(SKIP_2) | instid1(VALU_DEP_1)
	s_or_b32 exec_lo, exec_lo, s11
	v_lshrrev_b32_e32 v6, 16, v1
	s_mov_b32 s11, exec_lo
	v_and_b32_e32 v2, 0xff, v6
	s_delay_alu instid0(VALU_DEP_1)
	v_cmpx_ne_u16_e32 0, v2
	s_cbranch_execz .LBB370_1410
; %bb.1403:                             ;   in Loop: Header=BB370_10 Depth=1
	v_bfrev_b32_e32 v120, 1
	s_mov_b32 s16, exec_lo
	v_cmpx_ne_u16_e32 0x80, v2
	s_cbranch_execz .LBB370_1409
; %bb.1404:                             ;   in Loop: Header=BB370_10 Depth=1
	v_bfe_u32 v7, v1, 16, 7
	v_mov_b32_e32 v120, 0x7f800001
	s_mov_b32 s17, exec_lo
	s_delay_alu instid0(VALU_DEP_2)
	v_cmpx_ne_u32_e32 0x7f, v7
	s_cbranch_execz .LBB370_1408
; %bb.1405:                             ;   in Loop: Header=BB370_10 Depth=1
	v_and_b32_e32 v16, 7, v6
	s_mov_b32 s18, exec_lo
	s_delay_alu instid0(VALU_DEP_1)
	v_mov_b64_e32 v[2:3], v[16:17]
	v_lshrrev_b32_e32 v3, 3, v7
	v_cmpx_gt_u32_e32 8, v7
; %bb.1406:                             ;   in Loop: Header=BB370_10 Depth=1
	v_clz_i32_u32_e32 v2, v16
	s_delay_alu instid0(VALU_DEP_1) | instskip(NEXT) | instid1(VALU_DEP_1)
	v_min_u32_e32 v7, 32, v2
	v_subrev_nc_u32_e32 v2, 28, v7
	s_delay_alu instid0(VALU_DEP_1) | instskip(NEXT) | instid1(VALU_DEP_1)
	v_lshlrev_b64_e32 v[2:3], v2, v[16:17]
	v_dual_sub_nc_u32 v3, 29, v7 :: v_dual_bitop2_b32 v2, 7, v2 bitop3:0x40
; %bb.1407:                             ;   in Loop: Header=BB370_10 Depth=1
	s_or_b32 exec_lo, exec_lo, s18
	v_lshlrev_b32_e32 v6, 24, v6
	s_delay_alu instid0(VALU_DEP_2) | instskip(NEXT) | instid1(VALU_DEP_3)
	v_lshlrev_b32_e32 v2, 20, v2
	v_lshl_add_u32 v3, v3, 23, 0x3c000000
	s_delay_alu instid0(VALU_DEP_3) | instskip(NEXT) | instid1(VALU_DEP_1)
	v_and_b32_e32 v6, 0x80000000, v6
	v_or3_b32 v120, v2, v6, v3
.LBB370_1408:                           ;   in Loop: Header=BB370_10 Depth=1
	s_or_b32 exec_lo, exec_lo, s17
.LBB370_1409:                           ;   in Loop: Header=BB370_10 Depth=1
	s_delay_alu instid0(SALU_CYCLE_1)
	s_or_b32 exec_lo, exec_lo, s16
.LBB370_1410:                           ;   in Loop: Header=BB370_10 Depth=1
	s_delay_alu instid0(SALU_CYCLE_1)
	s_or_b32 exec_lo, exec_lo, s11
	v_dual_mov_b32 v122, 0 :: v_dual_mov_b32 v121, 0
	s_mov_b32 s11, exec_lo
	v_cmpx_lt_u64_e64 s[2:3], v[0:1]
	s_cbranch_execz .LBB370_1418
; %bb.1411:                             ;   in Loop: Header=BB370_10 Depth=1
	v_lshrrev_b32_e32 v2, 24, v1
	v_bfrev_b32_e32 v121, 1
	s_mov_b32 s16, exec_lo
	s_delay_alu instid0(VALU_DEP_2)
	v_cmpx_ne_u32_e32 0x80, v2
	s_cbranch_execz .LBB370_1417
; %bb.1412:                             ;   in Loop: Header=BB370_10 Depth=1
	v_bfe_u32 v3, v1, 24, 7
	v_mov_b32_e32 v121, 0x7f800001
	s_mov_b32 s17, exec_lo
	s_delay_alu instid0(VALU_DEP_2)
	v_cmpx_ne_u32_e32 0x7f, v3
	s_cbranch_execz .LBB370_1416
; %bb.1413:                             ;   in Loop: Header=BB370_10 Depth=1
	v_and_b32_e32 v16, 7, v2
	s_mov_b32 s18, exec_lo
	s_delay_alu instid0(VALU_DEP_1)
	v_mov_b64_e32 v[0:1], v[16:17]
	v_lshrrev_b32_e32 v1, 3, v3
	v_cmpx_gt_u32_e32 8, v3
; %bb.1414:                             ;   in Loop: Header=BB370_10 Depth=1
	v_clz_i32_u32_e32 v0, v16
	s_delay_alu instid0(VALU_DEP_1) | instskip(NEXT) | instid1(VALU_DEP_1)
	v_min_u32_e32 v3, 32, v0
	v_subrev_nc_u32_e32 v0, 28, v3
	s_delay_alu instid0(VALU_DEP_1) | instskip(NEXT) | instid1(VALU_DEP_1)
	v_lshlrev_b64_e32 v[0:1], v0, v[16:17]
	v_dual_sub_nc_u32 v1, 29, v3 :: v_dual_bitop2_b32 v0, 7, v0 bitop3:0x40
; %bb.1415:                             ;   in Loop: Header=BB370_10 Depth=1
	s_or_b32 exec_lo, exec_lo, s18
	s_delay_alu instid0(VALU_DEP_1) | instskip(NEXT) | instid1(VALU_DEP_2)
	v_dual_lshlrev_b32 v2, 24, v2 :: v_dual_lshlrev_b32 v0, 20, v0
	v_lshl_add_u32 v1, v1, 23, 0x3c000000
	s_delay_alu instid0(VALU_DEP_2) | instskip(NEXT) | instid1(VALU_DEP_1)
	v_and_b32_e32 v2, 0x80000000, v2
	v_or3_b32 v121, v0, v2, v1
.LBB370_1416:                           ;   in Loop: Header=BB370_10 Depth=1
	s_or_b32 exec_lo, exec_lo, s17
.LBB370_1417:                           ;   in Loop: Header=BB370_10 Depth=1
	s_delay_alu instid0(SALU_CYCLE_1)
	s_or_b32 exec_lo, exec_lo, s16
.LBB370_1418:                           ;   in Loop: Header=BB370_10 Depth=1
	s_delay_alu instid0(SALU_CYCLE_1)
	s_or_b32 exec_lo, exec_lo, s11
	flat_load_b64 v[6:7], v[32:33] offset:5632
	s_mov_b32 s11, exec_lo
	s_wait_loadcnt_dscnt 0x0
	v_and_b32_e32 v0, 0xff, v6
	s_wait_xcnt 0x0
	s_delay_alu instid0(VALU_DEP_1)
	v_cmpx_ne_u16_e32 0, v0
	s_cbranch_execz .LBB370_1426
; %bb.1419:                             ;   in Loop: Header=BB370_10 Depth=1
	v_bfrev_b32_e32 v122, 1
	s_mov_b32 s16, exec_lo
	v_cmpx_ne_u16_e32 0x80, v0
	s_cbranch_execz .LBB370_1425
; %bb.1420:                             ;   in Loop: Header=BB370_10 Depth=1
	v_and_b32_e32 v0, 0x7f, v6
	v_mov_b32_e32 v122, 0x7f800001
	s_mov_b32 s17, exec_lo
	s_delay_alu instid0(VALU_DEP_2)
	v_cmpx_ne_u32_e32 0x7f, v0
	s_cbranch_execz .LBB370_1424
; %bb.1421:                             ;   in Loop: Header=BB370_10 Depth=1
	v_lshrrev_b32_e32 v2, 3, v0
	v_cmp_gt_u32_e64 s1, 8, v0
	v_mov_b64_e32 v[0:1], v[6:7]
	s_and_saveexec_b32 s18, s1
; %bb.1422:                             ;   in Loop: Header=BB370_10 Depth=1
	v_and_b32_e32 v0, 7, v6
	s_delay_alu instid0(VALU_DEP_1) | instskip(NEXT) | instid1(VALU_DEP_1)
	v_clz_i32_u32_e32 v0, v0
	v_min_u32_e32 v2, 32, v0
	s_delay_alu instid0(VALU_DEP_1) | instskip(SKIP_1) | instid1(VALU_DEP_2)
	v_subrev_nc_u32_e32 v0, 28, v2
	v_sub_nc_u32_e32 v2, 29, v2
	v_lshlrev_b64_e32 v[0:1], v0, v[6:7]
; %bb.1423:                             ;   in Loop: Header=BB370_10 Depth=1
	s_or_b32 exec_lo, exec_lo, s18
	s_delay_alu instid0(VALU_DEP_1) | instskip(NEXT) | instid1(VALU_DEP_3)
	v_dual_lshlrev_b32 v0, 20, v0 :: v_dual_lshlrev_b32 v1, 24, v6
	v_lshl_add_u32 v2, v2, 23, 0x3c000000
	s_delay_alu instid0(VALU_DEP_2) | instskip(NEXT) | instid1(VALU_DEP_3)
	v_and_b32_e32 v0, 0x700000, v0
	v_and_b32_e32 v1, 0x80000000, v1
	s_delay_alu instid0(VALU_DEP_1)
	v_or3_b32 v122, v0, v1, v2
.LBB370_1424:                           ;   in Loop: Header=BB370_10 Depth=1
	s_or_b32 exec_lo, exec_lo, s17
.LBB370_1425:                           ;   in Loop: Header=BB370_10 Depth=1
	s_delay_alu instid0(SALU_CYCLE_1)
	s_or_b32 exec_lo, exec_lo, s16
.LBB370_1426:                           ;   in Loop: Header=BB370_10 Depth=1
	s_delay_alu instid0(SALU_CYCLE_1) | instskip(SKIP_3) | instid1(VALU_DEP_2)
	s_or_b32 exec_lo, exec_lo, s11
	v_lshrrev_b16 v0, 8, v6
	v_dual_mov_b32 v124, 0 :: v_dual_mov_b32 v123, 0
	s_mov_b32 s11, exec_lo
	v_cmpx_ne_u16_e32 0, v0
	s_cbranch_execz .LBB370_1434
; %bb.1427:                             ;   in Loop: Header=BB370_10 Depth=1
	v_bfrev_b32_e32 v123, 1
	s_mov_b32 s16, exec_lo
	v_cmpx_ne_u16_e32 0x80, v0
	s_cbranch_execz .LBB370_1433
; %bb.1428:                             ;   in Loop: Header=BB370_10 Depth=1
	v_and_b32_e32 v0, 0xffff, v0
	v_mov_b32_e32 v123, 0x7f800001
	s_mov_b32 s17, exec_lo
	s_delay_alu instid0(VALU_DEP_2) | instskip(NEXT) | instid1(VALU_DEP_1)
	v_and_b32_e32 v2, 0x7f, v0
	v_cmpx_ne_u32_e32 0x7f, v2
	s_cbranch_execz .LBB370_1432
; %bb.1429:                             ;   in Loop: Header=BB370_10 Depth=1
	v_and_b32_e32 v16, 7, v0
	s_mov_b32 s18, exec_lo
	s_delay_alu instid0(VALU_DEP_1)
	v_mov_b64_e32 v[0:1], v[16:17]
	v_lshrrev_b32_e32 v1, 3, v2
	v_cmpx_gt_u32_e32 8, v2
; %bb.1430:                             ;   in Loop: Header=BB370_10 Depth=1
	v_clz_i32_u32_e32 v0, v16
	s_delay_alu instid0(VALU_DEP_1) | instskip(NEXT) | instid1(VALU_DEP_1)
	v_min_u32_e32 v2, 32, v0
	v_subrev_nc_u32_e32 v0, 28, v2
	s_delay_alu instid0(VALU_DEP_1) | instskip(NEXT) | instid1(VALU_DEP_1)
	v_lshlrev_b64_e32 v[0:1], v0, v[16:17]
	v_dual_sub_nc_u32 v1, 29, v2 :: v_dual_bitop2_b32 v0, 7, v0 bitop3:0x40
; %bb.1431:                             ;   in Loop: Header=BB370_10 Depth=1
	s_or_b32 exec_lo, exec_lo, s18
	s_delay_alu instid0(VALU_DEP_1) | instskip(NEXT) | instid1(VALU_DEP_2)
	v_dual_lshlrev_b32 v2, 16, v6 :: v_dual_lshlrev_b32 v0, 20, v0
	v_lshl_add_u32 v1, v1, 23, 0x3c000000
	s_delay_alu instid0(VALU_DEP_2) | instskip(NEXT) | instid1(VALU_DEP_1)
	v_and_b32_e32 v2, 0x80000000, v2
	v_or3_b32 v123, v0, v2, v1
.LBB370_1432:                           ;   in Loop: Header=BB370_10 Depth=1
	s_or_b32 exec_lo, exec_lo, s17
.LBB370_1433:                           ;   in Loop: Header=BB370_10 Depth=1
	s_delay_alu instid0(SALU_CYCLE_1)
	s_or_b32 exec_lo, exec_lo, s16
.LBB370_1434:                           ;   in Loop: Header=BB370_10 Depth=1
	s_delay_alu instid0(SALU_CYCLE_1) | instskip(SKIP_2) | instid1(VALU_DEP_1)
	s_or_b32 exec_lo, exec_lo, s11
	v_lshrrev_b32_e32 v2, 16, v6
	s_mov_b32 s11, exec_lo
	v_and_b32_e32 v0, 0xff, v2
	s_delay_alu instid0(VALU_DEP_1)
	v_cmpx_ne_u16_e32 0, v0
	s_cbranch_execz .LBB370_1442
; %bb.1435:                             ;   in Loop: Header=BB370_10 Depth=1
	v_bfrev_b32_e32 v124, 1
	s_mov_b32 s16, exec_lo
	v_cmpx_ne_u16_e32 0x80, v0
	s_cbranch_execz .LBB370_1441
; %bb.1436:                             ;   in Loop: Header=BB370_10 Depth=1
	v_bfe_u32 v3, v6, 16, 7
	v_mov_b32_e32 v124, 0x7f800001
	s_mov_b32 s17, exec_lo
	s_delay_alu instid0(VALU_DEP_2)
	v_cmpx_ne_u32_e32 0x7f, v3
	s_cbranch_execz .LBB370_1440
; %bb.1437:                             ;   in Loop: Header=BB370_10 Depth=1
	v_and_b32_e32 v16, 7, v2
	s_mov_b32 s18, exec_lo
	s_delay_alu instid0(VALU_DEP_1)
	v_mov_b64_e32 v[0:1], v[16:17]
	v_lshrrev_b32_e32 v1, 3, v3
	v_cmpx_gt_u32_e32 8, v3
; %bb.1438:                             ;   in Loop: Header=BB370_10 Depth=1
	v_clz_i32_u32_e32 v0, v16
	s_delay_alu instid0(VALU_DEP_1) | instskip(NEXT) | instid1(VALU_DEP_1)
	v_min_u32_e32 v3, 32, v0
	v_subrev_nc_u32_e32 v0, 28, v3
	s_delay_alu instid0(VALU_DEP_1) | instskip(NEXT) | instid1(VALU_DEP_1)
	v_lshlrev_b64_e32 v[0:1], v0, v[16:17]
	v_dual_sub_nc_u32 v1, 29, v3 :: v_dual_bitop2_b32 v0, 7, v0 bitop3:0x40
; %bb.1439:                             ;   in Loop: Header=BB370_10 Depth=1
	s_or_b32 exec_lo, exec_lo, s18
	s_delay_alu instid0(VALU_DEP_1) | instskip(NEXT) | instid1(VALU_DEP_2)
	v_dual_lshlrev_b32 v2, 24, v2 :: v_dual_lshlrev_b32 v0, 20, v0
	v_lshl_add_u32 v1, v1, 23, 0x3c000000
	s_delay_alu instid0(VALU_DEP_2) | instskip(NEXT) | instid1(VALU_DEP_1)
	v_and_b32_e32 v2, 0x80000000, v2
	v_or3_b32 v124, v0, v2, v1
.LBB370_1440:                           ;   in Loop: Header=BB370_10 Depth=1
	s_or_b32 exec_lo, exec_lo, s17
.LBB370_1441:                           ;   in Loop: Header=BB370_10 Depth=1
	s_delay_alu instid0(SALU_CYCLE_1)
	s_or_b32 exec_lo, exec_lo, s16
.LBB370_1442:                           ;   in Loop: Header=BB370_10 Depth=1
	s_delay_alu instid0(SALU_CYCLE_1)
	s_or_b32 exec_lo, exec_lo, s11
	v_dual_mov_b32 v2, 0 :: v_dual_mov_b32 v125, 0
	s_mov_b32 s11, exec_lo
	v_cmpx_lt_u32_e32 0xffffff, v6
	s_cbranch_execz .LBB370_1450
; %bb.1443:                             ;   in Loop: Header=BB370_10 Depth=1
	v_lshrrev_b32_e32 v3, 24, v6
	v_bfrev_b32_e32 v125, 1
	s_mov_b32 s16, exec_lo
	s_delay_alu instid0(VALU_DEP_2)
	v_cmpx_ne_u32_e32 0x80, v3
	s_cbranch_execz .LBB370_1449
; %bb.1444:                             ;   in Loop: Header=BB370_10 Depth=1
	v_bfe_u32 v10, v6, 24, 7
	v_mov_b32_e32 v125, 0x7f800001
	s_mov_b32 s17, exec_lo
	s_delay_alu instid0(VALU_DEP_2)
	v_cmpx_ne_u32_e32 0x7f, v10
	s_cbranch_execz .LBB370_1448
; %bb.1445:                             ;   in Loop: Header=BB370_10 Depth=1
	v_and_b32_e32 v16, 7, v3
	s_mov_b32 s18, exec_lo
	s_delay_alu instid0(VALU_DEP_1)
	v_mov_b64_e32 v[0:1], v[16:17]
	v_lshrrev_b32_e32 v1, 3, v10
	v_cmpx_gt_u32_e32 8, v10
; %bb.1446:                             ;   in Loop: Header=BB370_10 Depth=1
	v_clz_i32_u32_e32 v0, v16
	s_delay_alu instid0(VALU_DEP_1) | instskip(NEXT) | instid1(VALU_DEP_1)
	v_min_u32_e32 v10, 32, v0
	v_subrev_nc_u32_e32 v0, 28, v10
	s_delay_alu instid0(VALU_DEP_1) | instskip(NEXT) | instid1(VALU_DEP_1)
	v_lshlrev_b64_e32 v[0:1], v0, v[16:17]
	v_dual_sub_nc_u32 v1, 29, v10 :: v_dual_bitop2_b32 v0, 7, v0 bitop3:0x40
; %bb.1447:                             ;   in Loop: Header=BB370_10 Depth=1
	s_or_b32 exec_lo, exec_lo, s18
	s_delay_alu instid0(VALU_DEP_1) | instskip(NEXT) | instid1(VALU_DEP_2)
	v_dual_lshlrev_b32 v3, 24, v3 :: v_dual_lshlrev_b32 v0, 20, v0
	v_lshl_add_u32 v1, v1, 23, 0x3c000000
	s_delay_alu instid0(VALU_DEP_2) | instskip(NEXT) | instid1(VALU_DEP_1)
	v_and_b32_e32 v3, 0x80000000, v3
	v_or3_b32 v125, v0, v3, v1
.LBB370_1448:                           ;   in Loop: Header=BB370_10 Depth=1
	s_or_b32 exec_lo, exec_lo, s17
.LBB370_1449:                           ;   in Loop: Header=BB370_10 Depth=1
	s_delay_alu instid0(SALU_CYCLE_1)
	s_or_b32 exec_lo, exec_lo, s16
.LBB370_1450:                           ;   in Loop: Header=BB370_10 Depth=1
	s_delay_alu instid0(SALU_CYCLE_1) | instskip(SKIP_3) | instid1(VALU_DEP_2)
	s_or_b32 exec_lo, exec_lo, s11
	v_and_b32_e32 v0, 0xff, v7
	v_mov_b32_e32 v16, v7
	s_mov_b32 s11, exec_lo
	v_cmpx_ne_u16_e32 0, v0
	s_cbranch_execz .LBB370_1458
; %bb.1451:                             ;   in Loop: Header=BB370_10 Depth=1
	v_bfrev_b32_e32 v2, 1
	s_mov_b32 s16, exec_lo
	v_cmpx_ne_u16_e32 0x80, v0
	s_cbranch_execz .LBB370_1457
; %bb.1452:                             ;   in Loop: Header=BB370_10 Depth=1
	v_and_b32_e32 v3, 0x7f, v7
	v_mov_b32_e32 v2, 0x7f800001
	s_mov_b32 s17, exec_lo
	s_delay_alu instid0(VALU_DEP_2)
	v_cmpx_ne_u32_e32 0x7f, v3
	s_cbranch_execz .LBB370_1456
; %bb.1453:                             ;   in Loop: Header=BB370_10 Depth=1
	v_mov_b64_e32 v[0:1], v[16:17]
	v_lshrrev_b32_e32 v1, 3, v3
	s_mov_b32 s18, exec_lo
	v_cmpx_gt_u32_e32 8, v3
; %bb.1454:                             ;   in Loop: Header=BB370_10 Depth=1
	v_and_b32_e32 v0, 7, v7
	s_delay_alu instid0(VALU_DEP_1) | instskip(NEXT) | instid1(VALU_DEP_1)
	v_clz_i32_u32_e32 v0, v0
	v_min_u32_e32 v2, 32, v0
	s_delay_alu instid0(VALU_DEP_1) | instskip(NEXT) | instid1(VALU_DEP_1)
	v_subrev_nc_u32_e32 v0, 28, v2
	v_lshlrev_b64_e32 v[0:1], v0, v[16:17]
	v_sub_nc_u32_e32 v1, 29, v2
; %bb.1455:                             ;   in Loop: Header=BB370_10 Depth=1
	s_or_b32 exec_lo, exec_lo, s18
	s_delay_alu instid0(VALU_DEP_2) | instskip(SKIP_1) | instid1(VALU_DEP_3)
	v_lshlrev_b32_e32 v0, 20, v0
	v_lshlrev_b32_e32 v2, 24, v16
	v_lshl_add_u32 v1, v1, 23, 0x3c000000
	s_delay_alu instid0(VALU_DEP_3) | instskip(NEXT) | instid1(VALU_DEP_3)
	v_and_b32_e32 v0, 0x700000, v0
	v_and_b32_e32 v2, 0x80000000, v2
	s_delay_alu instid0(VALU_DEP_1)
	v_or3_b32 v2, v0, v2, v1
.LBB370_1456:                           ;   in Loop: Header=BB370_10 Depth=1
	s_or_b32 exec_lo, exec_lo, s17
.LBB370_1457:                           ;   in Loop: Header=BB370_10 Depth=1
	s_delay_alu instid0(SALU_CYCLE_1)
	s_or_b32 exec_lo, exec_lo, s16
.LBB370_1458:                           ;   in Loop: Header=BB370_10 Depth=1
	s_delay_alu instid0(SALU_CYCLE_1) | instskip(SKIP_3) | instid1(VALU_DEP_2)
	s_or_b32 exec_lo, exec_lo, s11
	v_lshrrev_b16 v1, 8, v16
	v_dual_mov_b32 v0, 0 :: v_dual_mov_b32 v3, 0
	s_mov_b32 s11, exec_lo
	v_cmpx_ne_u16_e32 0, v1
	s_cbranch_execz .LBB370_1466
; %bb.1459:                             ;   in Loop: Header=BB370_10 Depth=1
	v_bfrev_b32_e32 v3, 1
	s_mov_b32 s16, exec_lo
	v_cmpx_ne_u16_e32 0x80, v1
	s_cbranch_execz .LBB370_1465
; %bb.1460:                             ;   in Loop: Header=BB370_10 Depth=1
	v_and_b32_e32 v1, 0xffff, v1
	v_mov_b32_e32 v3, 0x7f800001
	s_mov_b32 s17, exec_lo
	s_delay_alu instid0(VALU_DEP_2) | instskip(NEXT) | instid1(VALU_DEP_1)
	v_and_b32_e32 v48, 0x7f, v1
	v_cmpx_ne_u32_e32 0x7f, v48
	s_cbranch_execz .LBB370_1464
; %bb.1461:                             ;   in Loop: Header=BB370_10 Depth=1
	v_dual_mov_b32 v11, v17 :: v_dual_bitop2_b32 v10, 7, v1 bitop3:0x40
	v_lshrrev_b32_e32 v1, 3, v48
	s_mov_b32 s18, exec_lo
	v_cmpx_gt_u32_e32 8, v48
; %bb.1462:                             ;   in Loop: Header=BB370_10 Depth=1
	s_delay_alu instid0(VALU_DEP_3) | instskip(NEXT) | instid1(VALU_DEP_1)
	v_clz_i32_u32_e32 v1, v10
	v_min_u32_e32 v1, 32, v1
	s_delay_alu instid0(VALU_DEP_1) | instskip(NEXT) | instid1(VALU_DEP_1)
	v_subrev_nc_u32_e32 v3, 28, v1
	v_lshlrev_b64_e32 v[10:11], v3, v[10:11]
	s_delay_alu instid0(VALU_DEP_1)
	v_dual_sub_nc_u32 v1, 29, v1 :: v_dual_bitop2_b32 v10, 7, v10 bitop3:0x40
; %bb.1463:                             ;   in Loop: Header=BB370_10 Depth=1
	s_or_b32 exec_lo, exec_lo, s18
	s_delay_alu instid0(VALU_DEP_1) | instskip(NEXT) | instid1(VALU_DEP_2)
	v_dual_lshlrev_b32 v3, 16, v16 :: v_dual_lshlrev_b32 v10, 20, v10
	v_lshl_add_u32 v1, v1, 23, 0x3c000000
	s_delay_alu instid0(VALU_DEP_2) | instskip(NEXT) | instid1(VALU_DEP_1)
	v_and_b32_e32 v3, 0x80000000, v3
	v_or3_b32 v3, v10, v3, v1
.LBB370_1464:                           ;   in Loop: Header=BB370_10 Depth=1
	s_or_b32 exec_lo, exec_lo, s17
.LBB370_1465:                           ;   in Loop: Header=BB370_10 Depth=1
	s_delay_alu instid0(SALU_CYCLE_1)
	s_or_b32 exec_lo, exec_lo, s16
.LBB370_1466:                           ;   in Loop: Header=BB370_10 Depth=1
	s_delay_alu instid0(SALU_CYCLE_1) | instskip(SKIP_2) | instid1(VALU_DEP_1)
	s_or_b32 exec_lo, exec_lo, s11
	v_lshrrev_b32_e32 v10, 16, v7
	s_mov_b32 s11, exec_lo
	v_and_b32_e32 v1, 0xff, v10
	s_delay_alu instid0(VALU_DEP_1)
	v_cmpx_ne_u16_e32 0, v1
	s_cbranch_execz .LBB370_1474
; %bb.1467:                             ;   in Loop: Header=BB370_10 Depth=1
	v_bfrev_b32_e32 v0, 1
	s_mov_b32 s16, exec_lo
	v_cmpx_ne_u16_e32 0x80, v1
	s_cbranch_execz .LBB370_1473
; %bb.1468:                             ;   in Loop: Header=BB370_10 Depth=1
	v_bfe_u32 v11, v7, 16, 7
	v_mov_b32_e32 v0, 0x7f800001
	s_mov_b32 s17, exec_lo
	s_delay_alu instid0(VALU_DEP_2)
	v_cmpx_ne_u32_e32 0x7f, v11
	s_cbranch_execz .LBB370_1472
; %bb.1469:                             ;   in Loop: Header=BB370_10 Depth=1
	v_and_b32_e32 v16, 7, v10
	s_mov_b32 s18, exec_lo
	s_delay_alu instid0(VALU_DEP_1)
	v_mov_b64_e32 v[0:1], v[16:17]
	v_lshrrev_b32_e32 v1, 3, v11
	v_cmpx_gt_u32_e32 8, v11
; %bb.1470:                             ;   in Loop: Header=BB370_10 Depth=1
	v_clz_i32_u32_e32 v0, v16
	s_delay_alu instid0(VALU_DEP_1) | instskip(NEXT) | instid1(VALU_DEP_1)
	v_min_u32_e32 v11, 32, v0
	v_subrev_nc_u32_e32 v0, 28, v11
	s_delay_alu instid0(VALU_DEP_1) | instskip(NEXT) | instid1(VALU_DEP_1)
	v_lshlrev_b64_e32 v[0:1], v0, v[16:17]
	v_dual_sub_nc_u32 v1, 29, v11 :: v_dual_bitop2_b32 v0, 7, v0 bitop3:0x40
; %bb.1471:                             ;   in Loop: Header=BB370_10 Depth=1
	s_or_b32 exec_lo, exec_lo, s18
	s_delay_alu instid0(VALU_DEP_1) | instskip(NEXT) | instid1(VALU_DEP_2)
	v_dual_lshlrev_b32 v10, 24, v10 :: v_dual_lshlrev_b32 v0, 20, v0
	v_lshl_add_u32 v1, v1, 23, 0x3c000000
	s_delay_alu instid0(VALU_DEP_2) | instskip(NEXT) | instid1(VALU_DEP_1)
	v_and_b32_e32 v10, 0x80000000, v10
	v_or3_b32 v0, v0, v10, v1
.LBB370_1472:                           ;   in Loop: Header=BB370_10 Depth=1
	s_or_b32 exec_lo, exec_lo, s17
.LBB370_1473:                           ;   in Loop: Header=BB370_10 Depth=1
	s_delay_alu instid0(SALU_CYCLE_1)
	s_or_b32 exec_lo, exec_lo, s16
.LBB370_1474:                           ;   in Loop: Header=BB370_10 Depth=1
	s_delay_alu instid0(SALU_CYCLE_1)
	s_or_b32 exec_lo, exec_lo, s11
	v_dual_mov_b32 v126, 0 :: v_dual_mov_b32 v1, 0
	s_mov_b32 s11, exec_lo
	v_cmpx_lt_u64_e64 s[2:3], v[6:7]
	s_cbranch_execz .LBB370_1482
; %bb.1475:                             ;   in Loop: Header=BB370_10 Depth=1
	v_lshrrev_b32_e32 v10, 24, v7
	v_bfrev_b32_e32 v1, 1
	s_mov_b32 s16, exec_lo
	s_delay_alu instid0(VALU_DEP_2)
	v_cmpx_ne_u32_e32 0x80, v10
	s_cbranch_execz .LBB370_1481
; %bb.1476:                             ;   in Loop: Header=BB370_10 Depth=1
	v_bfe_u32 v11, v7, 24, 7
	v_mov_b32_e32 v1, 0x7f800001
	s_mov_b32 s17, exec_lo
	s_delay_alu instid0(VALU_DEP_2)
	v_cmpx_ne_u32_e32 0x7f, v11
	s_cbranch_execz .LBB370_1480
; %bb.1477:                             ;   in Loop: Header=BB370_10 Depth=1
	v_dual_lshrrev_b32 v1, 3, v11 :: v_dual_bitop2_b32 v16, 7, v10 bitop3:0x40
	s_mov_b32 s18, exec_lo
	s_delay_alu instid0(VALU_DEP_1)
	v_mov_b64_e32 v[6:7], v[16:17]
	v_cmpx_gt_u32_e32 8, v11
; %bb.1478:                             ;   in Loop: Header=BB370_10 Depth=1
	v_clz_i32_u32_e32 v1, v16
	s_delay_alu instid0(VALU_DEP_1) | instskip(NEXT) | instid1(VALU_DEP_1)
	v_min_u32_e32 v1, 32, v1
	v_subrev_nc_u32_e32 v6, 28, v1
	s_delay_alu instid0(VALU_DEP_1) | instskip(NEXT) | instid1(VALU_DEP_1)
	v_lshlrev_b64_e32 v[6:7], v6, v[16:17]
	v_dual_sub_nc_u32 v1, 29, v1 :: v_dual_bitop2_b32 v6, 7, v6 bitop3:0x40
; %bb.1479:                             ;   in Loop: Header=BB370_10 Depth=1
	s_or_b32 exec_lo, exec_lo, s18
	v_lshlrev_b32_e32 v7, 24, v10
	s_delay_alu instid0(VALU_DEP_2) | instskip(NEXT) | instid1(VALU_DEP_3)
	v_lshlrev_b32_e32 v6, 20, v6
	v_lshl_add_u32 v1, v1, 23, 0x3c000000
	s_delay_alu instid0(VALU_DEP_3) | instskip(NEXT) | instid1(VALU_DEP_1)
	v_and_b32_e32 v7, 0x80000000, v7
	v_or3_b32 v1, v6, v7, v1
.LBB370_1480:                           ;   in Loop: Header=BB370_10 Depth=1
	s_or_b32 exec_lo, exec_lo, s17
.LBB370_1481:                           ;   in Loop: Header=BB370_10 Depth=1
	s_delay_alu instid0(SALU_CYCLE_1)
	s_or_b32 exec_lo, exec_lo, s16
.LBB370_1482:                           ;   in Loop: Header=BB370_10 Depth=1
	s_delay_alu instid0(SALU_CYCLE_1)
	s_or_b32 exec_lo, exec_lo, s11
	flat_load_b64 v[10:11], v[32:33] offset:5640
	s_mov_b32 s11, exec_lo
	s_wait_loadcnt_dscnt 0x0
	v_and_b32_e32 v6, 0xff, v10
	s_wait_xcnt 0x0
	s_delay_alu instid0(VALU_DEP_1)
	v_cmpx_ne_u16_e32 0, v6
	s_cbranch_execz .LBB370_1490
; %bb.1483:                             ;   in Loop: Header=BB370_10 Depth=1
	v_bfrev_b32_e32 v126, 1
	s_mov_b32 s16, exec_lo
	v_cmpx_ne_u16_e32 0x80, v6
	s_cbranch_execz .LBB370_1489
; %bb.1484:                             ;   in Loop: Header=BB370_10 Depth=1
	v_and_b32_e32 v6, 0x7f, v10
	v_mov_b32_e32 v126, 0x7f800001
	s_mov_b32 s17, exec_lo
	s_delay_alu instid0(VALU_DEP_2)
	v_cmpx_ne_u32_e32 0x7f, v6
	s_cbranch_execz .LBB370_1488
; %bb.1485:                             ;   in Loop: Header=BB370_10 Depth=1
	v_lshrrev_b32_e32 v16, 3, v6
	v_cmp_gt_u32_e64 s1, 8, v6
	v_mov_b64_e32 v[6:7], v[10:11]
	s_and_saveexec_b32 s18, s1
; %bb.1486:                             ;   in Loop: Header=BB370_10 Depth=1
	v_and_b32_e32 v6, 7, v10
	s_delay_alu instid0(VALU_DEP_1) | instskip(NEXT) | instid1(VALU_DEP_1)
	v_clz_i32_u32_e32 v6, v6
	v_min_u32_e32 v16, 32, v6
	s_delay_alu instid0(VALU_DEP_1) | instskip(SKIP_1) | instid1(VALU_DEP_2)
	v_subrev_nc_u32_e32 v6, 28, v16
	v_sub_nc_u32_e32 v16, 29, v16
	v_lshlrev_b64_e32 v[6:7], v6, v[10:11]
; %bb.1487:                             ;   in Loop: Header=BB370_10 Depth=1
	s_or_b32 exec_lo, exec_lo, s18
	s_delay_alu instid0(VALU_DEP_1) | instskip(SKIP_2) | instid1(VALU_DEP_3)
	v_lshlrev_b32_e32 v6, 20, v6
	v_lshlrev_b32_e32 v7, 24, v10
	v_lshl_add_u32 v16, v16, 23, 0x3c000000
	v_and_b32_e32 v6, 0x700000, v6
	s_delay_alu instid0(VALU_DEP_3) | instskip(NEXT) | instid1(VALU_DEP_1)
	v_and_b32_e32 v7, 0x80000000, v7
	v_or3_b32 v126, v6, v7, v16
.LBB370_1488:                           ;   in Loop: Header=BB370_10 Depth=1
	s_or_b32 exec_lo, exec_lo, s17
.LBB370_1489:                           ;   in Loop: Header=BB370_10 Depth=1
	s_delay_alu instid0(SALU_CYCLE_1)
	s_or_b32 exec_lo, exec_lo, s16
.LBB370_1490:                           ;   in Loop: Header=BB370_10 Depth=1
	s_delay_alu instid0(SALU_CYCLE_1) | instskip(SKIP_3) | instid1(VALU_DEP_2)
	s_or_b32 exec_lo, exec_lo, s11
	v_lshrrev_b16 v7, 8, v10
	v_dual_mov_b32 v6, 0 :: v_dual_mov_b32 v127, 0
	s_mov_b32 s11, exec_lo
	v_cmpx_ne_u16_e32 0, v7
	s_cbranch_execz .LBB370_1498
; %bb.1491:                             ;   in Loop: Header=BB370_10 Depth=1
	v_bfrev_b32_e32 v127, 1
	s_mov_b32 s16, exec_lo
	v_cmpx_ne_u16_e32 0x80, v7
	s_cbranch_execz .LBB370_1497
; %bb.1492:                             ;   in Loop: Header=BB370_10 Depth=1
	v_and_b32_e32 v7, 0xffff, v7
	v_mov_b32_e32 v127, 0x7f800001
	s_mov_b32 s17, exec_lo
	s_delay_alu instid0(VALU_DEP_2) | instskip(NEXT) | instid1(VALU_DEP_1)
	v_and_b32_e32 v48, 0x7f, v7
	v_cmpx_ne_u32_e32 0x7f, v48
	s_cbranch_execz .LBB370_1496
; %bb.1493:                             ;   in Loop: Header=BB370_10 Depth=1
	v_dual_lshrrev_b32 v7, 3, v48 :: v_dual_bitop2_b32 v16, 7, v7 bitop3:0x40
	s_mov_b32 s18, exec_lo
	s_delay_alu instid0(VALU_DEP_1)
	v_mov_b64_e32 v[32:33], v[16:17]
	v_cmpx_gt_u32_e32 8, v48
; %bb.1494:                             ;   in Loop: Header=BB370_10 Depth=1
	v_clz_i32_u32_e32 v7, v16
	s_delay_alu instid0(VALU_DEP_1) | instskip(NEXT) | instid1(VALU_DEP_1)
	v_min_u32_e32 v7, 32, v7
	v_subrev_nc_u32_e32 v32, 28, v7
	s_delay_alu instid0(VALU_DEP_1) | instskip(NEXT) | instid1(VALU_DEP_1)
	v_lshlrev_b64_e32 v[32:33], v32, v[16:17]
	v_dual_sub_nc_u32 v7, 29, v7 :: v_dual_bitop2_b32 v32, 7, v32 bitop3:0x40
; %bb.1495:                             ;   in Loop: Header=BB370_10 Depth=1
	s_or_b32 exec_lo, exec_lo, s18
	s_delay_alu instid0(VALU_DEP_1) | instskip(NEXT) | instid1(VALU_DEP_2)
	v_dual_lshlrev_b32 v16, 16, v10 :: v_dual_lshlrev_b32 v32, 20, v32
	v_lshl_add_u32 v7, v7, 23, 0x3c000000
	s_delay_alu instid0(VALU_DEP_2) | instskip(NEXT) | instid1(VALU_DEP_1)
	v_and_b32_e32 v16, 0x80000000, v16
	v_or3_b32 v127, v32, v16, v7
.LBB370_1496:                           ;   in Loop: Header=BB370_10 Depth=1
	s_or_b32 exec_lo, exec_lo, s17
.LBB370_1497:                           ;   in Loop: Header=BB370_10 Depth=1
	s_delay_alu instid0(SALU_CYCLE_1)
	s_or_b32 exec_lo, exec_lo, s16
.LBB370_1498:                           ;   in Loop: Header=BB370_10 Depth=1
	s_delay_alu instid0(SALU_CYCLE_1) | instskip(SKIP_2) | instid1(VALU_DEP_1)
	s_or_b32 exec_lo, exec_lo, s11
	v_lshrrev_b32_e32 v32, 16, v10
	s_mov_b32 s11, exec_lo
	v_and_b32_e32 v7, 0xff, v32
	s_delay_alu instid0(VALU_DEP_1)
	v_cmpx_ne_u16_e32 0, v7
	s_cbranch_execz .LBB370_1506
; %bb.1499:                             ;   in Loop: Header=BB370_10 Depth=1
	v_bfrev_b32_e32 v6, 1
	s_mov_b32 s16, exec_lo
	v_cmpx_ne_u16_e32 0x80, v7
	s_cbranch_execz .LBB370_1505
; %bb.1500:                             ;   in Loop: Header=BB370_10 Depth=1
	v_bfe_u32 v33, v10, 16, 7
	v_mov_b32_e32 v6, 0x7f800001
	s_mov_b32 s17, exec_lo
	s_delay_alu instid0(VALU_DEP_2)
	v_cmpx_ne_u32_e32 0x7f, v33
	s_cbranch_execz .LBB370_1504
; %bb.1501:                             ;   in Loop: Header=BB370_10 Depth=1
	v_and_b32_e32 v16, 7, v32
	s_mov_b32 s18, exec_lo
	s_delay_alu instid0(VALU_DEP_1)
	v_mov_b64_e32 v[6:7], v[16:17]
	v_lshrrev_b32_e32 v7, 3, v33
	v_cmpx_gt_u32_e32 8, v33
; %bb.1502:                             ;   in Loop: Header=BB370_10 Depth=1
	v_clz_i32_u32_e32 v6, v16
	s_delay_alu instid0(VALU_DEP_1) | instskip(NEXT) | instid1(VALU_DEP_1)
	v_min_u32_e32 v33, 32, v6
	v_subrev_nc_u32_e32 v6, 28, v33
	s_delay_alu instid0(VALU_DEP_1) | instskip(NEXT) | instid1(VALU_DEP_1)
	v_lshlrev_b64_e32 v[6:7], v6, v[16:17]
	v_dual_sub_nc_u32 v7, 29, v33 :: v_dual_bitop2_b32 v6, 7, v6 bitop3:0x40
; %bb.1503:                             ;   in Loop: Header=BB370_10 Depth=1
	s_or_b32 exec_lo, exec_lo, s18
	s_delay_alu instid0(VALU_DEP_1) | instskip(NEXT) | instid1(VALU_DEP_2)
	v_dual_lshlrev_b32 v16, 24, v32 :: v_dual_lshlrev_b32 v6, 20, v6
	v_lshl_add_u32 v7, v7, 23, 0x3c000000
	s_delay_alu instid0(VALU_DEP_2) | instskip(NEXT) | instid1(VALU_DEP_1)
	v_and_b32_e32 v16, 0x80000000, v16
	v_or3_b32 v6, v6, v16, v7
.LBB370_1504:                           ;   in Loop: Header=BB370_10 Depth=1
	s_or_b32 exec_lo, exec_lo, s17
.LBB370_1505:                           ;   in Loop: Header=BB370_10 Depth=1
	s_delay_alu instid0(SALU_CYCLE_1)
	s_or_b32 exec_lo, exec_lo, s16
.LBB370_1506:                           ;   in Loop: Header=BB370_10 Depth=1
	s_delay_alu instid0(SALU_CYCLE_1)
	s_or_b32 exec_lo, exec_lo, s11
	v_dual_mov_b32 v48, 0 :: v_dual_mov_b32 v7, 0
	s_mov_b32 s11, exec_lo
	v_cmpx_lt_u32_e32 0xffffff, v10
	s_cbranch_execz .LBB370_1514
; %bb.1507:                             ;   in Loop: Header=BB370_10 Depth=1
	v_lshrrev_b32_e32 v49, 24, v10
	v_bfrev_b32_e32 v7, 1
	s_mov_b32 s16, exec_lo
	s_delay_alu instid0(VALU_DEP_2)
	v_cmpx_ne_u32_e32 0x80, v49
	s_cbranch_execz .LBB370_1513
; %bb.1508:                             ;   in Loop: Header=BB370_10 Depth=1
	v_bfe_u32 v50, v10, 24, 7
	v_mov_b32_e32 v7, 0x7f800001
	s_mov_b32 s17, exec_lo
	s_delay_alu instid0(VALU_DEP_2)
	v_cmpx_ne_u32_e32 0x7f, v50
	s_cbranch_execz .LBB370_1512
; %bb.1509:                             ;   in Loop: Header=BB370_10 Depth=1
	v_dual_lshrrev_b32 v7, 3, v50 :: v_dual_bitop2_b32 v16, 7, v49 bitop3:0x40
	s_mov_b32 s18, exec_lo
	s_delay_alu instid0(VALU_DEP_1)
	v_mov_b64_e32 v[32:33], v[16:17]
	v_cmpx_gt_u32_e32 8, v50
; %bb.1510:                             ;   in Loop: Header=BB370_10 Depth=1
	v_clz_i32_u32_e32 v7, v16
	s_delay_alu instid0(VALU_DEP_1) | instskip(NEXT) | instid1(VALU_DEP_1)
	v_min_u32_e32 v7, 32, v7
	v_subrev_nc_u32_e32 v32, 28, v7
	s_delay_alu instid0(VALU_DEP_1) | instskip(NEXT) | instid1(VALU_DEP_1)
	v_lshlrev_b64_e32 v[32:33], v32, v[16:17]
	v_dual_sub_nc_u32 v7, 29, v7 :: v_dual_bitop2_b32 v32, 7, v32 bitop3:0x40
; %bb.1511:                             ;   in Loop: Header=BB370_10 Depth=1
	s_or_b32 exec_lo, exec_lo, s18
	s_delay_alu instid0(VALU_DEP_1) | instskip(NEXT) | instid1(VALU_DEP_2)
	v_dual_lshlrev_b32 v16, 24, v49 :: v_dual_lshlrev_b32 v32, 20, v32
	v_lshl_add_u32 v7, v7, 23, 0x3c000000
	s_delay_alu instid0(VALU_DEP_2) | instskip(NEXT) | instid1(VALU_DEP_1)
	v_and_b32_e32 v16, 0x80000000, v16
	v_or3_b32 v7, v32, v16, v7
.LBB370_1512:                           ;   in Loop: Header=BB370_10 Depth=1
	s_or_b32 exec_lo, exec_lo, s17
.LBB370_1513:                           ;   in Loop: Header=BB370_10 Depth=1
	s_delay_alu instid0(SALU_CYCLE_1)
	s_or_b32 exec_lo, exec_lo, s16
.LBB370_1514:                           ;   in Loop: Header=BB370_10 Depth=1
	s_delay_alu instid0(SALU_CYCLE_1) | instskip(SKIP_3) | instid1(VALU_DEP_2)
	s_or_b32 exec_lo, exec_lo, s11
	v_and_b32_e32 v32, 0xff, v11
	v_mov_b32_e32 v16, v11
	s_mov_b32 s11, exec_lo
	v_cmpx_ne_u16_e32 0, v32
	s_cbranch_execz .LBB370_1522
; %bb.1515:                             ;   in Loop: Header=BB370_10 Depth=1
	v_bfrev_b32_e32 v48, 1
	s_mov_b32 s16, exec_lo
	v_cmpx_ne_u16_e32 0x80, v32
	s_cbranch_execz .LBB370_1521
; %bb.1516:                             ;   in Loop: Header=BB370_10 Depth=1
	v_and_b32_e32 v49, 0x7f, v11
	v_mov_b32_e32 v48, 0x7f800001
	s_mov_b32 s17, exec_lo
	s_delay_alu instid0(VALU_DEP_2)
	v_cmpx_ne_u32_e32 0x7f, v49
	s_cbranch_execz .LBB370_1520
; %bb.1517:                             ;   in Loop: Header=BB370_10 Depth=1
	v_mov_b64_e32 v[32:33], v[16:17]
	v_lshrrev_b32_e32 v33, 3, v49
	s_mov_b32 s18, exec_lo
	v_cmpx_gt_u32_e32 8, v49
; %bb.1518:                             ;   in Loop: Header=BB370_10 Depth=1
	v_and_b32_e32 v32, 7, v11
	s_delay_alu instid0(VALU_DEP_1) | instskip(NEXT) | instid1(VALU_DEP_1)
	v_clz_i32_u32_e32 v32, v32
	v_min_u32_e32 v48, 32, v32
	s_delay_alu instid0(VALU_DEP_1) | instskip(NEXT) | instid1(VALU_DEP_1)
	v_subrev_nc_u32_e32 v32, 28, v48
	v_lshlrev_b64_e32 v[32:33], v32, v[16:17]
	v_sub_nc_u32_e32 v33, 29, v48
; %bb.1519:                             ;   in Loop: Header=BB370_10 Depth=1
	s_or_b32 exec_lo, exec_lo, s18
	s_delay_alu instid0(VALU_DEP_2) | instskip(SKIP_1) | instid1(VALU_DEP_3)
	v_lshlrev_b32_e32 v32, 20, v32
	v_lshlrev_b32_e32 v48, 24, v16
	v_lshl_add_u32 v33, v33, 23, 0x3c000000
	s_delay_alu instid0(VALU_DEP_3) | instskip(NEXT) | instid1(VALU_DEP_3)
	v_and_b32_e32 v32, 0x700000, v32
	v_and_b32_e32 v48, 0x80000000, v48
	s_delay_alu instid0(VALU_DEP_1)
	v_or3_b32 v48, v32, v48, v33
.LBB370_1520:                           ;   in Loop: Header=BB370_10 Depth=1
	s_or_b32 exec_lo, exec_lo, s17
.LBB370_1521:                           ;   in Loop: Header=BB370_10 Depth=1
	s_delay_alu instid0(SALU_CYCLE_1)
	s_or_b32 exec_lo, exec_lo, s16
.LBB370_1522:                           ;   in Loop: Header=BB370_10 Depth=1
	s_delay_alu instid0(SALU_CYCLE_1) | instskip(SKIP_3) | instid1(VALU_DEP_2)
	s_or_b32 exec_lo, exec_lo, s11
	v_lshrrev_b16 v33, 8, v16
	v_dual_mov_b32 v32, 0 :: v_dual_mov_b32 v49, 0
	s_mov_b32 s11, exec_lo
	v_cmpx_ne_u16_e32 0, v33
	s_cbranch_execz .LBB370_1530
; %bb.1523:                             ;   in Loop: Header=BB370_10 Depth=1
	v_bfrev_b32_e32 v49, 1
	s_mov_b32 s16, exec_lo
	v_cmpx_ne_u16_e32 0x80, v33
	s_cbranch_execz .LBB370_1529
; %bb.1524:                             ;   in Loop: Header=BB370_10 Depth=1
	v_and_b32_e32 v33, 0xffff, v33
	v_dual_mov_b32 v78, v61 :: v_dual_mov_b32 v49, 0x7f800001
	s_mov_b32 s17, exec_lo
	s_delay_alu instid0(VALU_DEP_2) | instskip(NEXT) | instid1(VALU_DEP_1)
	v_and_b32_e32 v61, 0x7f, v33
	v_cmpx_ne_u32_e32 0x7f, v61
	s_cbranch_execz .LBB370_1528
; %bb.1525:                             ;   in Loop: Header=BB370_10 Depth=1
	v_dual_mov_b32 v51, v17 :: v_dual_bitop2_b32 v50, 7, v33 bitop3:0x40
	v_lshrrev_b32_e32 v33, 3, v61
	s_mov_b32 s18, exec_lo
	v_cmpx_gt_u32_e32 8, v61
; %bb.1526:                             ;   in Loop: Header=BB370_10 Depth=1
	s_delay_alu instid0(VALU_DEP_3) | instskip(NEXT) | instid1(VALU_DEP_1)
	v_clz_i32_u32_e32 v33, v50
	v_min_u32_e32 v33, 32, v33
	s_delay_alu instid0(VALU_DEP_1) | instskip(NEXT) | instid1(VALU_DEP_1)
	v_subrev_nc_u32_e32 v49, 28, v33
	v_lshlrev_b64_e32 v[50:51], v49, v[50:51]
	s_delay_alu instid0(VALU_DEP_1)
	v_dual_sub_nc_u32 v33, 29, v33 :: v_dual_bitop2_b32 v50, 7, v50 bitop3:0x40
; %bb.1527:                             ;   in Loop: Header=BB370_10 Depth=1
	s_or_b32 exec_lo, exec_lo, s18
	s_delay_alu instid0(VALU_DEP_1) | instskip(NEXT) | instid1(VALU_DEP_2)
	v_dual_lshlrev_b32 v16, 16, v16 :: v_dual_lshlrev_b32 v49, 20, v50
	v_lshl_add_u32 v33, v33, 23, 0x3c000000
	s_delay_alu instid0(VALU_DEP_2) | instskip(NEXT) | instid1(VALU_DEP_1)
	v_and_b32_e32 v16, 0x80000000, v16
	v_or3_b32 v49, v49, v16, v33
.LBB370_1528:                           ;   in Loop: Header=BB370_10 Depth=1
	s_or_b32 exec_lo, exec_lo, s17
	v_mov_b32_e32 v61, v78
.LBB370_1529:                           ;   in Loop: Header=BB370_10 Depth=1
	s_or_b32 exec_lo, exec_lo, s16
.LBB370_1530:                           ;   in Loop: Header=BB370_10 Depth=1
	s_delay_alu instid0(SALU_CYCLE_1) | instskip(SKIP_2) | instid1(VALU_DEP_1)
	s_or_b32 exec_lo, exec_lo, s11
	v_lshrrev_b32_e32 v50, 16, v11
	s_mov_b32 s11, exec_lo
	v_and_b32_e32 v16, 0xff, v50
	s_delay_alu instid0(VALU_DEP_1)
	v_cmpx_ne_u16_e32 0, v16
	s_cbranch_execz .LBB370_1538
; %bb.1531:                             ;   in Loop: Header=BB370_10 Depth=1
	v_bfrev_b32_e32 v32, 1
	s_mov_b32 s16, exec_lo
	v_cmpx_ne_u16_e32 0x80, v16
	s_cbranch_execz .LBB370_1537
; %bb.1532:                             ;   in Loop: Header=BB370_10 Depth=1
	v_bfe_u32 v51, v11, 16, 7
	v_mov_b32_e32 v32, 0x7f800001
	s_mov_b32 s17, exec_lo
	s_delay_alu instid0(VALU_DEP_2)
	v_cmpx_ne_u32_e32 0x7f, v51
	s_cbranch_execz .LBB370_1536
; %bb.1533:                             ;   in Loop: Header=BB370_10 Depth=1
	v_and_b32_e32 v16, 7, v50
	s_mov_b32 s18, exec_lo
	s_delay_alu instid0(VALU_DEP_1)
	v_mov_b64_e32 v[32:33], v[16:17]
	v_lshrrev_b32_e32 v33, 3, v51
	v_cmpx_gt_u32_e32 8, v51
; %bb.1534:                             ;   in Loop: Header=BB370_10 Depth=1
	v_clz_i32_u32_e32 v32, v16
	s_delay_alu instid0(VALU_DEP_1) | instskip(NEXT) | instid1(VALU_DEP_1)
	v_min_u32_e32 v51, 32, v32
	v_subrev_nc_u32_e32 v32, 28, v51
	s_delay_alu instid0(VALU_DEP_1) | instskip(NEXT) | instid1(VALU_DEP_1)
	v_lshlrev_b64_e32 v[32:33], v32, v[16:17]
	v_dual_sub_nc_u32 v33, 29, v51 :: v_dual_bitop2_b32 v32, 7, v32 bitop3:0x40
; %bb.1535:                             ;   in Loop: Header=BB370_10 Depth=1
	s_or_b32 exec_lo, exec_lo, s18
	s_delay_alu instid0(VALU_DEP_1) | instskip(NEXT) | instid1(VALU_DEP_2)
	v_dual_lshlrev_b32 v16, 24, v50 :: v_dual_lshlrev_b32 v32, 20, v32
	v_lshl_add_u32 v33, v33, 23, 0x3c000000
	s_delay_alu instid0(VALU_DEP_2) | instskip(NEXT) | instid1(VALU_DEP_1)
	v_and_b32_e32 v16, 0x80000000, v16
	v_or3_b32 v32, v32, v16, v33
.LBB370_1536:                           ;   in Loop: Header=BB370_10 Depth=1
	s_or_b32 exec_lo, exec_lo, s17
.LBB370_1537:                           ;   in Loop: Header=BB370_10 Depth=1
	s_delay_alu instid0(SALU_CYCLE_1)
	s_or_b32 exec_lo, exec_lo, s16
.LBB370_1538:                           ;   in Loop: Header=BB370_10 Depth=1
	s_delay_alu instid0(SALU_CYCLE_1)
	s_or_b32 exec_lo, exec_lo, s11
	v_mov_b32_e32 v33, 0
	v_cmp_lt_u64_e64 s1, s[2:3], v[10:11]
	s_mov_b32 s11, exec_lo
	s_clause 0x2
	scratch_load_b32 v78, off, s32 offset:512
	scratch_load_b32 v79, off, s32 offset:508
	;; [unrolled: 1-line block ×3, first 2 shown]
	s_and_b32 s1, s11, s1
	s_wait_xcnt 0x0
	s_mov_b32 exec_lo, s1
	s_cbranch_execz .LBB370_9
; %bb.1539:                             ;   in Loop: Header=BB370_10 Depth=1
	v_lshrrev_b32_e32 v50, 24, v11
	v_bfrev_b32_e32 v33, 1
	s_mov_b32 s16, exec_lo
	s_delay_alu instid0(VALU_DEP_2)
	v_cmpx_ne_u32_e32 0x80, v50
	s_cbranch_execz .LBB370_8
; %bb.1540:                             ;   in Loop: Header=BB370_10 Depth=1
	v_bfe_u32 v51, v11, 24, 7
	v_mov_b32_e32 v33, 0x7f800001
	s_mov_b32 s17, exec_lo
	s_delay_alu instid0(VALU_DEP_2)
	v_cmpx_ne_u32_e32 0x7f, v51
	s_cbranch_execz .LBB370_7
; %bb.1541:                             ;   in Loop: Header=BB370_10 Depth=1
	v_and_b32_e32 v16, 7, v50
	s_mov_b32 s18, exec_lo
	s_delay_alu instid0(VALU_DEP_1)
	v_mov_b64_e32 v[10:11], v[16:17]
	v_lshrrev_b32_e32 v11, 3, v51
	v_cmpx_gt_u32_e32 8, v51
	s_cbranch_execz .LBB370_6
; %bb.1542:                             ;   in Loop: Header=BB370_10 Depth=1
	v_clz_i32_u32_e32 v10, v16
	s_delay_alu instid0(VALU_DEP_1) | instskip(NEXT) | instid1(VALU_DEP_1)
	v_min_u32_e32 v33, 32, v10
	v_subrev_nc_u32_e32 v10, 28, v33
	s_delay_alu instid0(VALU_DEP_1) | instskip(NEXT) | instid1(VALU_DEP_1)
	v_lshlrev_b64_e32 v[10:11], v10, v[16:17]
	v_dual_sub_nc_u32 v11, 29, v33 :: v_dual_bitop2_b32 v10, 7, v10 bitop3:0x40
	s_branch .LBB370_6
.LBB370_1543:
	s_or_b32 exec_lo, exec_lo, s9
	scratch_load_b32 v16, off, s32 offset:1664 ; 4-byte Folded Reload
.LBB370_1544:
	s_wait_xcnt 0x0
	s_or_b32 exec_lo, exec_lo, s8
	v_mbcnt_lo_u32_b32 v2, -1, 0
	v_max_num_f32_e32 v4, v10, v10
	s_delay_alu instid0(VALU_DEP_2) | instskip(SKIP_1) | instid1(VALU_DEP_1)
	v_xor_b32_e32 v3, 8, v2
	v_xor_b32_e32 v0, 16, v2
	v_cmp_gt_i32_e32 vcc_lo, 32, v0
	v_cndmask_b32_e32 v0, v2, v0, vcc_lo
	s_delay_alu instid0(VALU_DEP_1) | instskip(SKIP_3) | instid1(VALU_DEP_1)
	v_lshlrev_b32_e32 v0, 2, v0
	ds_bpermute_b32 v1, v0, v10
	s_wait_dscnt 0x0
	v_max_num_f32_e32 v5, v1, v1
	v_max_num_f32_e32 v4, v4, v5
	v_cmp_gt_i32_e32 vcc_lo, 32, v3
	v_dual_cndmask_b32 v3, v2, v3, vcc_lo :: v_dual_bitop2_b32 v5, 4, v2 bitop3:0x14
	s_delay_alu instid0(VALU_DEP_1) | instskip(NEXT) | instid1(VALU_DEP_2)
	v_cmp_gt_i32_e32 vcc_lo, 32, v5
	v_lshlrev_b32_e32 v1, 2, v3
	ds_bpermute_b32 v3, v1, v4
	s_wait_dscnt 0x0
	v_dual_cndmask_b32 v5, v2, v5 :: v_dual_max_num_f32 v6, v3, v3
	s_delay_alu instid0(VALU_DEP_1) | instskip(SKIP_3) | instid1(VALU_DEP_1)
	v_dual_max_num_f32 v4, v4, v6 :: v_dual_lshlrev_b32 v3, 2, v5
	ds_bpermute_b32 v5, v3, v4
	s_wait_dscnt 0x0
	v_dual_max_num_f32 v5, v5, v5 :: v_dual_bitop2_b32 v6, 2, v2 bitop3:0x14
	v_cmp_gt_i32_e32 vcc_lo, 32, v6
	s_delay_alu instid0(VALU_DEP_2) | instskip(NEXT) | instid1(VALU_DEP_1)
	v_dual_max_num_f32 v4, v4, v5 :: v_dual_cndmask_b32 v6, v2, v6, vcc_lo
	v_lshlrev_b32_e32 v64, 2, v6
	ds_bpermute_b32 v5, v64, v4
	s_wait_dscnt 0x0
	v_dual_max_num_f32 v5, v5, v5 :: v_dual_bitop2_b32 v6, 1, v2 bitop3:0x14
	s_delay_alu instid0(VALU_DEP_1) | instskip(NEXT) | instid1(VALU_DEP_2)
	v_cmp_gt_i32_e32 vcc_lo, 32, v6
	v_dual_cndmask_b32 v6, v2, v6, vcc_lo :: v_dual_max_num_f32 v2, v4, v5
	scratch_load_b32 v4, off, s32 offset:1608 ; 4-byte Folded Reload
	s_wait_loadcnt 0x0
	v_cmp_eq_u32_e32 vcc_lo, 0, v4
	scratch_load_b32 v4, off, s32 offset:1612 ; 4-byte Folded Reload
	s_wait_loadcnt 0x0
	v_dual_lshlrev_b32 v4, 2, v4 :: v_dual_lshlrev_b32 v49, 2, v6
	ds_bpermute_b32 v5, v49, v2
	s_wait_xcnt 0x0
	s_and_saveexec_b32 s1, vcc_lo
	s_cbranch_execz .LBB370_1546
; %bb.1545:
	s_wait_dscnt 0x0
	v_dual_max_num_f32 v5, v5, v5 :: v_dual_max_num_f32 v2, v2, v2
	s_delay_alu instid0(VALU_DEP_1)
	v_max_num_f32_e32 v2, v2, v5
	ds_store_b32 v4, v2 offset:384
.LBB370_1546:
	s_or_b32 exec_lo, exec_lo, s1
	scratch_load_b32 v2, off, s32 offset:1608 ; 4-byte Folded Reload
	s_wait_storecnt 0x0
	s_wait_loadcnt_dscnt 0x0
	s_barrier_signal -1
	s_barrier_wait -1
	v_cmp_gt_u32_e64 s1, 4, v2
	v_mov_b32_e32 v2, 0xff7fffff
	s_and_saveexec_b32 s2, s1
; %bb.1547:
	ds_load_b32 v2, v16 offset:384
; %bb.1548:
	s_or_b32 exec_lo, exec_lo, s2
	s_wait_dscnt 0x0
	ds_bpermute_b32 v5, v64, v2
	v_max_num_f32_e32 v2, v2, v2
	scratch_load_b32 v7, off, s32 offset:1604 ; 4-byte Folded Reload
	s_wait_dscnt 0x0
	v_max_num_f32_e32 v5, v5, v5
	s_delay_alu instid0(VALU_DEP_1) | instskip(SKIP_3) | instid1(VALU_DEP_1)
	v_max_num_f32_e32 v2, v2, v5
	ds_bpermute_b32 v5, v49, v2
	s_wait_dscnt 0x0
	v_max_num_f32_e32 v5, v5, v5
	v_dual_max_num_f32 v2, v2, v5 :: v_dual_mov_b32 v5, 0
	ds_bpermute_b32 v6, v5, v2
	scratch_load_b32 v2, off, s32 offset:408 ; 4-byte Folded Reload
	s_wait_loadcnt 0x0
	v_lshlrev_b32_e32 v2, 5, v2
	s_delay_alu instid0(VALU_DEP_1) | instskip(NEXT) | instid1(VALU_DEP_1)
	v_min_i32_e32 v2, v2, v88
	v_cmp_lt_i32_e64 s2, v7, v2
	s_and_saveexec_b32 s8, s2
	s_cbranch_execz .LBB370_1552
; %bb.1549:
	scratch_load_b32 v8, off, s32 offset:1604 ; 4-byte Folded Reload
	s_ashr_i32 s11, s10, 31
	v_mov_b32_e32 v5, 0
	s_lshl_b64 s[16:17], s[10:11], 2
	s_mov_b32 s9, 0
	s_add_nc_u64 s[16:17], s[6:7], s[16:17]
	s_load_b32 s3, s[16:17], 0x0
	s_wait_loadcnt 0x0
	s_wait_kmcnt 0x0
	v_lshl_add_u32 v7, v8, 2, s3
.LBB370_1550:                           ; =>This Inner Loop Header: Depth=1
	ds_load_b32 v9, v7
	v_add_nc_u32_e32 v8, 0x80, v8
	s_delay_alu instid0(VALU_DEP_1) | instskip(SKIP_3) | instid1(VALU_DEP_1)
	v_cmp_ge_i32_e64 s3, v8, v2
	s_or_b32 s9, s3, s9
	s_wait_dscnt 0x0
	v_sub_f32_e32 v9, v9, v6
	v_mul_f32_e32 v9, 0x3fb8aa3b, v9
	s_delay_alu instid0(VALU_DEP_1)
	v_exp_f32_e32 v9, v9
	ds_store_b32 v7, v9
	v_nop
	v_add_f32_e32 v5, v5, v9
	v_add_nc_u32_e32 v7, 0x200, v7
	s_and_not1_b32 exec_lo, exec_lo, s9
	s_cbranch_execnz .LBB370_1550
; %bb.1551:
	s_or_b32 exec_lo, exec_lo, s9
.LBB370_1552:
	s_delay_alu instid0(SALU_CYCLE_1)
	s_or_b32 exec_lo, exec_lo, s8
	ds_bpermute_b32 v0, v0, v5
	s_wait_dscnt 0x0
	v_add_f32_e32 v0, v5, v0
	ds_bpermute_b32 v1, v1, v0
	s_wait_dscnt 0x0
	v_add_f32_e32 v0, v0, v1
	;; [unrolled: 3-line block ×5, first 2 shown]
	s_and_saveexec_b32 s3, vcc_lo
; %bb.1553:
	ds_store_b32 v4, v0 offset:400
; %bb.1554:
	s_or_b32 exec_lo, exec_lo, s3
	s_wait_dscnt 0x0
	s_barrier_signal -1
	s_barrier_wait -1
	s_and_saveexec_b32 s3, s1
; %bb.1555:
	ds_load_b32 v0, v16 offset:400
; %bb.1556:
	s_or_b32 exec_lo, exec_lo, s3
	s_wait_dscnt 0x0
	ds_bpermute_b32 v1, v64, v0
	s_wait_dscnt 0x0
	v_add_f32_e32 v0, v0, v1
	ds_bpermute_b32 v1, v49, v0
	s_wait_dscnt 0x0
	v_dual_add_f32 v0, v0, v1 :: v_dual_mov_b32 v1, 0
	ds_bpermute_b32 v0, v1, v0
	s_and_saveexec_b32 s1, s2
	s_cbranch_execz .LBB370_1569
; %bb.1557:
	s_wait_dscnt 0x0
	v_add_f32_e32 v0, 0x358637bd, v0
	s_mov_b32 s3, -1
	s_mov_b32 s2, exec_lo
	s_delay_alu instid0(VALU_DEP_1) | instskip(SKIP_1) | instid1(VALU_DEP_2)
	v_div_scale_f32 v1, null, v0, v0, 1.0
	v_div_scale_f32 v5, vcc_lo, 1.0, v0, 1.0
	v_rcp_f32_e32 v4, v1
	v_nop
	s_delay_alu instid0(TRANS32_DEP_1) | instskip(NEXT) | instid1(VALU_DEP_1)
	v_fma_f32 v3, -v1, v4, 1.0
	v_fmac_f32_e32 v4, v3, v4
	s_delay_alu instid0(VALU_DEP_1) | instskip(NEXT) | instid1(VALU_DEP_1)
	v_mul_f32_e32 v6, v5, v4
	v_fma_f32 v3, -v1, v6, v5
	s_delay_alu instid0(VALU_DEP_1) | instskip(NEXT) | instid1(VALU_DEP_1)
	v_fmac_f32_e32 v6, v3, v4
	v_fma_f32 v1, -v1, v6, v5
	scratch_load_b32 v5, off, s32 offset:1604 ; 4-byte Folded Reload
	v_div_fmas_f32 v1, v1, v4, v6
	s_delay_alu instid0(VALU_DEP_1) | instskip(SKIP_3) | instid1(VALU_DEP_2)
	v_div_fixup_f32 v0, v1, v0, 1.0
	s_wait_loadcnt 0x0
	v_xad_u32 v3, v5, -1, v2
	v_mov_b32_e32 v1, v5
	v_cmpx_lt_u32_e32 0x7f, v3
	s_cbranch_execz .LBB370_1566
; %bb.1558:
	v_dual_lshrrev_b32 v3, 7, v3 :: v_dual_mov_b32 v1, v0
	s_delay_alu instid0(VALU_DEP_1) | instskip(NEXT) | instid1(VALU_DEP_1)
	v_dual_mov_b32 v7, 0 :: v_dual_add_nc_u32 v4, -1, v3
	v_lshrrev_b32_e32 v5, 1, v4
	v_cmp_lt_u32_e32 vcc_lo, 13, v4
	s_delay_alu instid0(VALU_DEP_2)
	v_add_nc_u32_e32 v4, 1, v5
	s_and_saveexec_b32 s3, vcc_lo
	s_cbranch_execz .LBB370_1562
; %bb.1559:
	scratch_load_b32 v6, off, s32 offset:1604 ; 4-byte Folded Reload
	s_ashr_i32 s11, s10, 31
	v_and_b32_e32 v5, -8, v4
	s_lshl_b64 s[8:9], s[10:11], 2
	s_delay_alu instid0(SALU_CYCLE_1)
	s_add_nc_u64 s[8:9], s[6:7], s[8:9]
	s_load_b32 s8, s[8:9], 0x0
	s_wait_xcnt 0x0
	s_mov_b32 s9, 0
	s_wait_loadcnt 0x0
	s_wait_kmcnt 0x0
	v_lshl_add_u32 v6, v6, 2, s8
	s_mov_b32 s8, 0
.LBB370_1560:                           ; =>This Inner Loop Header: Depth=1
	ds_load_2addr_stride64_b32 v[8:9], v6 offset1:2
	ds_load_2addr_stride64_b32 v[10:11], v6 offset0:4 offset1:6
	ds_load_2addr_stride64_b32 v[12:13], v6 offset0:8 offset1:10
	;; [unrolled: 1-line block ×7, first 2 shown]
	s_add_co_i32 s9, s9, 16
	s_delay_alu instid0(SALU_CYCLE_1) | instskip(NEXT) | instid1(VALU_DEP_1)
	v_dual_add_nc_u32 v5, -8, v5 :: v_dual_mov_b32 v7, s9
	v_cmp_eq_u32_e32 vcc_lo, 0, v5
	s_or_b32 s8, vcc_lo, s8
	s_wait_dscnt 0x7
	v_pk_mul_f32 v[8:9], v[0:1], v[8:9]
	s_wait_dscnt 0x6
	v_pk_mul_f32 v[10:11], v[0:1], v[10:11]
	s_wait_dscnt 0x5
	v_pk_mul_f32 v[12:13], v[0:1], v[12:13]
	s_wait_dscnt 0x4
	v_pk_mul_f32 v[14:15], v[0:1], v[14:15]
	s_wait_dscnt 0x3
	v_pk_mul_f32 v[16:17], v[0:1], v[16:17]
	s_wait_dscnt 0x2
	v_pk_mul_f32 v[18:19], v[0:1], v[18:19]
	s_wait_dscnt 0x1
	v_pk_mul_f32 v[20:21], v[0:1], v[20:21]
	s_wait_dscnt 0x0
	v_pk_mul_f32 v[22:23], v[0:1], v[22:23]
	ds_store_2addr_stride64_b32 v6, v8, v9 offset1:2
	ds_store_2addr_stride64_b32 v6, v10, v11 offset0:4 offset1:6
	ds_store_2addr_stride64_b32 v6, v12, v13 offset0:8 offset1:10
	;; [unrolled: 1-line block ×7, first 2 shown]
	v_add_nc_u32_e32 v6, 0x2000, v6
	s_and_not1_b32 exec_lo, exec_lo, s8
	s_cbranch_execnz .LBB370_1560
; %bb.1561:
	s_or_b32 exec_lo, exec_lo, s8
.LBB370_1562:
	s_delay_alu instid0(SALU_CYCLE_1) | instskip(NEXT) | instid1(VALU_DEP_1)
	s_or_b32 exec_lo, exec_lo, s3
	v_and_b32_e32 v4, 7, v4
	s_mov_b32 s8, 0
	s_mov_b32 s3, exec_lo
	s_delay_alu instid0(VALU_DEP_1)
	v_cmpx_ne_u32_e32 0, v4
	s_cbranch_execz .LBB370_1565
; %bb.1563:
	scratch_load_b32 v6, off, s32 offset:1604 ; 4-byte Folded Reload
	s_ashr_i32 s11, s10, 31
	v_lshlrev_b32_e32 v5, 9, v7
	s_lshl_b64 s[16:17], s[10:11], 2
	s_delay_alu instid0(SALU_CYCLE_1) | instskip(SKIP_4) | instid1(VALU_DEP_1)
	s_add_nc_u64 s[16:17], s[6:7], s[16:17]
	s_load_b32 s9, s[16:17], 0x0
	s_wait_loadcnt 0x0
	v_lshlrev_b32_e32 v6, 2, v6
	s_wait_kmcnt 0x0
	v_add3_u32 v5, v5, v6, s9
.LBB370_1564:                           ; =>This Inner Loop Header: Depth=1
	ds_load_2addr_stride64_b32 v[6:7], v5 offset1:2
	v_add_nc_u32_e32 v4, -1, v4
	s_delay_alu instid0(VALU_DEP_1)
	v_cmp_eq_u32_e32 vcc_lo, 0, v4
	s_or_b32 s8, vcc_lo, s8
	s_wait_dscnt 0x0
	v_pk_mul_f32 v[6:7], v[0:1], v[6:7]
	ds_store_2addr_stride64_b32 v5, v6, v7 offset1:2
	v_add_nc_u32_e32 v5, 0x400, v5
	s_and_not1_b32 exec_lo, exec_lo, s8
	s_cbranch_execnz .LBB370_1564
.LBB370_1565:
	s_or_b32 exec_lo, exec_lo, s3
	v_add_nc_u32_e32 v1, 1, v3
	s_delay_alu instid0(VALU_DEP_1) | instskip(NEXT) | instid1(VALU_DEP_1)
	v_and_b32_e32 v3, 0x3fffffe, v1
	v_cmp_ne_u32_e32 vcc_lo, v1, v3
	scratch_load_b32 v1, off, s32 offset:1604 ; 4-byte Folded Reload
	s_or_not1_b32 s3, vcc_lo, exec_lo
	s_wait_loadcnt 0x0
	v_lshl_add_u32 v1, v3, 7, v1
.LBB370_1566:
	s_or_b32 exec_lo, exec_lo, s2
	s_delay_alu instid0(SALU_CYCLE_1)
	s_and_b32 exec_lo, exec_lo, s3
	s_cbranch_execz .LBB370_1569
; %bb.1567:
	s_ashr_i32 s11, s10, 31
	s_delay_alu instid0(SALU_CYCLE_1) | instskip(NEXT) | instid1(SALU_CYCLE_1)
	s_lshl_b64 s[2:3], s[10:11], 2
	s_add_nc_u64 s[2:3], s[6:7], s[2:3]
	s_load_b32 s2, s[2:3], 0x0
	s_wait_kmcnt 0x0
	v_lshl_add_u32 v3, v1, 2, s2
	s_mov_b32 s2, 0
.LBB370_1568:                           ; =>This Inner Loop Header: Depth=1
	ds_load_b32 v4, v3
	s_wait_dscnt 0x0
	v_dual_mul_f32 v4, v0, v4 :: v_dual_add_nc_u32 v1, 0x80, v1
	s_delay_alu instid0(VALU_DEP_1) | instskip(SKIP_3) | instid1(SALU_CYCLE_1)
	v_cmp_ge_i32_e32 vcc_lo, v1, v2
	ds_store_b32 v3, v4
	v_add_nc_u32_e32 v3, 0x200, v3
	s_or_b32 s2, vcc_lo, s2
	s_and_not1_b32 exec_lo, exec_lo, s2
	s_cbranch_execnz .LBB370_1568
.LBB370_1569:
	s_or_b32 exec_lo, exec_lo, s1
	s_wait_dscnt 0x0
	s_barrier_signal -1
	s_barrier_wait -1
	s_and_saveexec_b32 s1, s0
	s_delay_alu instid0(SALU_CYCLE_1)
	s_xor_b32 s0, exec_lo, s1
	s_cbranch_execz .LBB370_1571
; %bb.1570:
	s_ashr_i32 s11, s10, 31
                                        ; implicit-def: $vgpr0
                                        ; kill: killed $vgpr0
                                        ; implicit-def: $vgpr0
                                        ; implicit-def: $vgpr88
	s_clause 0x1
	scratch_store_b64 off, v[0:1], s32 offset:932
	; meta instruction
	; meta instruction
	;; [unrolled: 1-line block ×9, first 2 shown]
	scratch_store_b64 off, v[0:1], s32 offset:1616
.LBB370_1571:
	s_wait_xcnt 0x0
	s_or_saveexec_b32 s1, s0
	v_mov_b64_e32 v[0:1], s[10:11]
	v_dual_mov_b32 v13, 0 :: v_dual_mov_b32 v12, 0
	v_dual_mov_b32 v15, 0 :: v_dual_mov_b32 v14, 0
	;; [unrolled: 1-line block ×12, first 2 shown]
	s_xor_b32 exec_lo, exec_lo, s1
	s_cbranch_execz .LBB370_3159
; %bb.1572:
	s_clause 0x2
	scratch_store_b32 off, v64, s32 offset:1004
	scratch_store_b32 off, v49, s32 offset:996
	scratch_load_b64 v[0:1], off, s32 offset:1648 th:TH_LOAD_LU
	s_ashr_i32 s11, s10, 31
	v_dual_mov_b32 v13, 0 :: v_dual_mov_b32 v12, 0
	s_lshl_b64 s[2:3], s[10:11], 2
	v_dual_mov_b32 v15, 0 :: v_dual_mov_b32 v14, 0
	s_add_nc_u64 s[2:3], s[6:7], s[2:3]
	v_dual_mov_b32 v17, 0 :: v_dual_mov_b32 v16, 0
	v_dual_mov_b32 v21, 0 :: v_dual_mov_b32 v20, 0
	;; [unrolled: 1-line block ×10, first 2 shown]
	s_mov_b32 s9, 0
	s_wait_loadcnt 0x0
	flat_load_b32 v64, v[0:1]
	scratch_load_b32 v0, off, s32 offset:1604 ; 4-byte Folded Reload
	s_wait_loadcnt 0x0
	v_dual_mov_b32 v23, 0 :: v_dual_lshlrev_b32 v4, 3, v0
	s_clause 0x4
	scratch_load_b64 v[0:1], off, s32 offset:1656 th:TH_LOAD_LU
	scratch_load_b64 v[2:3], off, s32 offset:1616 th:TH_LOAD_LU
	;; [unrolled: 1-line block ×4, first 2 shown]
	scratch_load_b32 v50, off, s32 offset:1612
	s_load_b32 s8, s[2:3], 0x0
	s_wait_xcnt 0x0
	s_mov_b64 s[2:3], 0xffffffffffffff
	s_wait_loadcnt 0x3
	v_add_nc_u64_e32 v[0:1], v[0:1], v[2:3]
	v_and_b32_e32 v2, 0xf8, v4
	v_dual_mov_b32 v3, v23 :: v_dual_bitop2_b32 v4, 24, v4 bitop3:0x40
	s_wait_loadcnt 0x1
	v_lshl_add_u64 v[6:7], v[8:9], 2, v[6:7]
	s_delay_alu instid0(VALU_DEP_2)
	v_add_nc_u64_e32 v[0:1], v[0:1], v[2:3]
	s_clause 0x2
	scratch_store_b32 off, v4, s32 offset:980
	scratch_store_b64 off, v[6:7], s32 offset:972
	scratch_store_b64 off, v[0:1], s32 offset:988
	s_branch .LBB370_1574
.LBB370_1573:                           ;   in Loop: Header=BB370_1574 Depth=1
	s_or_b32 exec_lo, exec_lo, s0
	scratch_load_b128 v[2:5], off, s32 offset:956 th:TH_LOAD_LU ; 16-byte Folded Reload
	v_perm_b32 v0, v18, v0, 0x5040100
	v_perm_b32 v1, v1, v19, 0x5040100
	v_add_nc_u32_e32 v50, 4, v50
	s_wait_loadcnt 0x0
	v_cvt_pk_bf16_f32 v44, v2, v3
	v_cvt_pk_bf16_f32 v43, v4, v5
	scratch_load_b128 v[2:5], off, s32 offset:940 th:TH_LOAD_LU ; 16-byte Folded Reload
	s_wait_loadcnt 0x0
	v_cvt_pk_bf16_f32 v42, v2, v3
	v_perm_b32 v2, v102, v103, 0x5040100
	v_perm_b32 v3, v100, v101, 0x5040100
	v_cvt_pk_bf16_f32 v113, v4, v5
	v_perm_b32 v4, v96, v97, 0x5040100
	v_perm_b32 v5, v99, v98, 0x5040100
	v_pk_mul_bf16 v2, v44, v2
	v_pk_mul_bf16 v3, v43, v3
	s_delay_alu instid0(VALU_DEP_4) | instskip(NEXT) | instid1(VALU_DEP_4)
	v_pk_mul_bf16 v4, v42, v4
	v_pk_mul_bf16 v5, v113, v5
	s_delay_alu instid0(VALU_DEP_4) | instskip(SKIP_1) | instid1(VALU_DEP_1)
	v_lshlrev_b32_e32 v6, 16, v2
	v_and_b32_e32 v2, 0xffff0000, v2
	v_dual_add_f32 v2, v6, v2 :: v_dual_lshlrev_b32 v6, 16, v3
	v_and_b32_e32 v3, 0xffff0000, v3
	s_delay_alu instid0(VALU_DEP_1) | instskip(NEXT) | instid1(VALU_DEP_1)
	v_add_f32_e32 v3, v6, v3
	v_dual_add_f32 v2, v2, v3 :: v_dual_lshlrev_b32 v3, 16, v4
	v_and_b32_e32 v4, 0xffff0000, v4
	s_delay_alu instid0(VALU_DEP_1) | instskip(SKIP_1) | instid1(VALU_DEP_2)
	v_add_f32_e32 v3, v3, v4
	v_and_b32_e32 v4, 0xffff0000, v5
	v_dual_add_f32 v2, v2, v3 :: v_dual_lshlrev_b32 v3, 16, v5
	v_perm_b32 v5, v83, v82, 0x5040100
	s_delay_alu instid0(VALU_DEP_2) | instskip(SKIP_1) | instid1(VALU_DEP_3)
	v_add_f32_e32 v3, v3, v4
	v_perm_b32 v4, v80, v81, 0x5040100
	v_pk_mul_bf16 v5, v113, v5
	s_delay_alu instid0(VALU_DEP_3) | instskip(SKIP_1) | instid1(VALU_DEP_4)
	v_add_f32_e32 v2, v2, v3
	v_perm_b32 v3, v84, v85, 0x5040100
	v_pk_mul_bf16 v4, v42, v4
	s_delay_alu instid0(VALU_DEP_3) | instskip(SKIP_1) | instid1(VALU_DEP_4)
	v_add_f32_e32 v12, v12, v2
	v_perm_b32 v2, v86, v87, 0x5040100
	v_pk_mul_bf16 v3, v43, v3
	s_delay_alu instid0(VALU_DEP_2) | instskip(NEXT) | instid1(VALU_DEP_1)
	v_pk_mul_bf16 v2, v44, v2
	v_lshlrev_b32_e32 v6, 16, v2
	v_and_b32_e32 v2, 0xffff0000, v2
	s_delay_alu instid0(VALU_DEP_1) | instskip(SKIP_1) | instid1(VALU_DEP_1)
	v_dual_add_f32 v2, v6, v2 :: v_dual_lshlrev_b32 v6, 16, v3
	v_and_b32_e32 v3, 0xffff0000, v3
	v_add_f32_e32 v3, v6, v3
	s_delay_alu instid0(VALU_DEP_1) | instskip(SKIP_1) | instid1(VALU_DEP_1)
	v_dual_add_f32 v2, v2, v3 :: v_dual_lshlrev_b32 v3, 16, v4
	v_and_b32_e32 v4, 0xffff0000, v4
	v_add_f32_e32 v3, v3, v4
	v_and_b32_e32 v4, 0xffff0000, v5
	s_delay_alu instid0(VALU_DEP_2) | instskip(SKIP_1) | instid1(VALU_DEP_2)
	v_dual_add_f32 v2, v2, v3 :: v_dual_lshlrev_b32 v3, 16, v5
	v_perm_b32 v5, v68, v66, 0x5040100
	v_add_f32_e32 v3, v3, v4
	v_perm_b32 v4, v55, v51, 0x5040100
	s_delay_alu instid0(VALU_DEP_3) | instskip(NEXT) | instid1(VALU_DEP_3)
	v_pk_mul_bf16 v5, v113, v5
	v_add_f32_e32 v2, v2, v3
	v_perm_b32 v3, v67, v69, 0x5040100
	s_delay_alu instid0(VALU_DEP_4) | instskip(NEXT) | instid1(VALU_DEP_3)
	v_pk_mul_bf16 v4, v42, v4
	v_add_f32_e32 v15, v15, v2
	v_perm_b32 v2, v70, v71, 0x5040100
	s_delay_alu instid0(VALU_DEP_4) | instskip(NEXT) | instid1(VALU_DEP_2)
	v_pk_mul_bf16 v3, v43, v3
	v_pk_mul_bf16 v2, v44, v2
	s_delay_alu instid0(VALU_DEP_1) | instskip(SKIP_1) | instid1(VALU_DEP_1)
	v_lshlrev_b32_e32 v6, 16, v2
	v_and_b32_e32 v2, 0xffff0000, v2
	v_dual_add_f32 v2, v6, v2 :: v_dual_lshlrev_b32 v6, 16, v3
	v_and_b32_e32 v3, 0xffff0000, v3
	s_delay_alu instid0(VALU_DEP_1) | instskip(NEXT) | instid1(VALU_DEP_1)
	v_add_f32_e32 v3, v6, v3
	v_dual_add_f32 v2, v2, v3 :: v_dual_lshlrev_b32 v3, 16, v4
	v_and_b32_e32 v4, 0xffff0000, v4
	s_delay_alu instid0(VALU_DEP_1) | instskip(SKIP_1) | instid1(VALU_DEP_2)
	v_add_f32_e32 v3, v3, v4
	v_and_b32_e32 v4, 0xffff0000, v5
	v_dual_add_f32 v2, v2, v3 :: v_dual_lshlrev_b32 v3, 16, v5
	v_perm_b32 v5, v11, v127, 0x5040100
	s_delay_alu instid0(VALU_DEP_2) | instskip(SKIP_1) | instid1(VALU_DEP_3)
	v_add_f32_e32 v3, v3, v4
	v_perm_b32 v4, v125, v126, 0x5040100
	v_pk_mul_bf16 v5, v113, v5
	s_delay_alu instid0(VALU_DEP_3) | instskip(SKIP_1) | instid1(VALU_DEP_4)
	v_add_f32_e32 v2, v2, v3
	v_perm_b32 v3, v10, v65, 0x5040100
	v_pk_mul_bf16 v4, v42, v4
	s_delay_alu instid0(VALU_DEP_3) | instskip(SKIP_1) | instid1(VALU_DEP_4)
	v_add_f32_e32 v14, v14, v2
	v_perm_b32 v2, v48, v49, 0x5040100
	v_pk_mul_bf16 v3, v43, v3
	s_delay_alu instid0(VALU_DEP_2) | instskip(NEXT) | instid1(VALU_DEP_1)
	v_pk_mul_bf16 v2, v44, v2
	v_lshlrev_b32_e32 v6, 16, v2
	v_and_b32_e32 v2, 0xffff0000, v2
	s_delay_alu instid0(VALU_DEP_1) | instskip(SKIP_1) | instid1(VALU_DEP_1)
	v_dual_add_f32 v2, v6, v2 :: v_dual_lshlrev_b32 v6, 16, v3
	v_and_b32_e32 v3, 0xffff0000, v3
	v_add_f32_e32 v3, v6, v3
	s_delay_alu instid0(VALU_DEP_1) | instskip(SKIP_1) | instid1(VALU_DEP_1)
	v_dual_add_f32 v2, v2, v3 :: v_dual_lshlrev_b32 v3, 16, v4
	v_and_b32_e32 v4, 0xffff0000, v4
	v_add_f32_e32 v3, v3, v4
	v_and_b32_e32 v4, 0xffff0000, v5
	s_delay_alu instid0(VALU_DEP_2) | instskip(SKIP_1) | instid1(VALU_DEP_2)
	v_dual_add_f32 v2, v2, v3 :: v_dual_lshlrev_b32 v3, 16, v5
	v_perm_b32 v5, v121, v111, 0x5040100
	v_add_f32_e32 v3, v3, v4
	v_perm_b32 v4, v109, v110, 0x5040100
	s_delay_alu instid0(VALU_DEP_3) | instskip(NEXT) | instid1(VALU_DEP_3)
	v_pk_mul_bf16 v5, v113, v5
	v_add_f32_e32 v2, v2, v3
	v_perm_b32 v3, v120, v122, 0x5040100
	s_delay_alu instid0(VALU_DEP_4) | instskip(NEXT) | instid1(VALU_DEP_3)
	v_pk_mul_bf16 v4, v42, v4
	v_add_f32_e32 v17, v17, v2
	v_perm_b32 v2, v123, v124, 0x5040100
	s_delay_alu instid0(VALU_DEP_4) | instskip(NEXT) | instid1(VALU_DEP_2)
	v_pk_mul_bf16 v3, v43, v3
	v_pk_mul_bf16 v2, v44, v2
	s_delay_alu instid0(VALU_DEP_1) | instskip(SKIP_1) | instid1(VALU_DEP_1)
	;; [unrolled: 55-line block ×4, first 2 shown]
	v_lshlrev_b32_e32 v6, 16, v2
	v_and_b32_e32 v2, 0xffff0000, v2
	v_dual_add_f32 v2, v6, v2 :: v_dual_lshlrev_b32 v6, 16, v3
	v_and_b32_e32 v3, 0xffff0000, v3
	s_delay_alu instid0(VALU_DEP_1) | instskip(NEXT) | instid1(VALU_DEP_1)
	v_add_f32_e32 v3, v6, v3
	v_dual_add_f32 v2, v2, v3 :: v_dual_lshlrev_b32 v3, 16, v4
	v_and_b32_e32 v4, 0xffff0000, v4
	s_delay_alu instid0(VALU_DEP_1) | instskip(SKIP_1) | instid1(VALU_DEP_2)
	v_add_f32_e32 v3, v3, v4
	v_and_b32_e32 v4, 0xffff0000, v5
	v_dual_add_f32 v2, v2, v3 :: v_dual_lshlrev_b32 v3, 16, v5
	s_delay_alu instid0(VALU_DEP_1)
	v_add_f32_e32 v3, v3, v4
	s_clause 0x1
	scratch_load_b32 v4, off, s32 offset:916 th:TH_LOAD_LU
	scratch_load_b32 v5, off, s32 offset:924 th:TH_LOAD_LU
	v_add_f32_e32 v2, v2, v3
	v_perm_b32 v3, v8, v114, 0x5040100
	s_delay_alu instid0(VALU_DEP_2) | instskip(SKIP_1) | instid1(VALU_DEP_3)
	v_add_f32_e32 v24, v24, v2
	v_perm_b32 v2, v115, v116, 0x5040100
	v_pk_mul_bf16 v3, v43, v3
	s_delay_alu instid0(VALU_DEP_2) | instskip(NEXT) | instid1(VALU_DEP_1)
	v_pk_mul_bf16 v2, v44, v2
	v_lshlrev_b32_e32 v6, 16, v2
	v_and_b32_e32 v2, 0xffff0000, v2
	s_delay_alu instid0(VALU_DEP_1) | instskip(SKIP_1) | instid1(VALU_DEP_1)
	v_dual_add_f32 v2, v6, v2 :: v_dual_lshlrev_b32 v6, 16, v3
	v_and_b32_e32 v3, 0xffff0000, v3
	v_add_f32_e32 v3, v6, v3
	s_wait_loadcnt 0x0
	v_perm_b32 v4, v4, v5, 0x5040100
	v_perm_b32 v5, v9, v7, 0x5040100
	s_delay_alu instid0(VALU_DEP_2) | instskip(SKIP_1) | instid1(VALU_DEP_3)
	v_pk_mul_bf16 v4, v42, v4
	v_add_f32_e32 v2, v2, v3
	v_pk_mul_bf16 v5, v113, v5
	s_delay_alu instid0(VALU_DEP_3) | instskip(SKIP_1) | instid1(VALU_DEP_1)
	v_lshlrev_b32_e32 v3, 16, v4
	v_and_b32_e32 v4, 0xffff0000, v4
	v_add_f32_e32 v3, v3, v4
	s_delay_alu instid0(VALU_DEP_4) | instskip(NEXT) | instid1(VALU_DEP_2)
	v_and_b32_e32 v4, 0xffff0000, v5
	v_dual_add_f32 v2, v2, v3 :: v_dual_lshlrev_b32 v3, 16, v5
	s_delay_alu instid0(VALU_DEP_1) | instskip(NEXT) | instid1(VALU_DEP_1)
	v_add_f32_e32 v3, v3, v4
	v_add_f32_e32 v2, v2, v3
	s_delay_alu instid0(VALU_DEP_1)
	v_add_f32_e32 v27, v27, v2
	s_clause 0x1
	scratch_load_b32 v2, off, s32 offset:900 th:TH_LOAD_LU
	scratch_load_b32 v3, off, s32 offset:908 th:TH_LOAD_LU
	s_wait_loadcnt 0x0
	v_perm_b32 v2, v2, v3, 0x5040100
	s_clause 0x1
	scratch_load_b32 v3, off, s32 offset:884 th:TH_LOAD_LU
	scratch_load_b32 v4, off, s32 offset:892 th:TH_LOAD_LU
	v_pk_mul_bf16 v2, v44, v2
	s_wait_loadcnt 0x0
	v_perm_b32 v3, v3, v4, 0x5040100
	s_clause 0x1
	scratch_load_b32 v4, off, s32 offset:852 th:TH_LOAD_LU
	scratch_load_b32 v5, off, s32 offset:860 th:TH_LOAD_LU
	v_pk_mul_bf16 v3, v43, v3
	s_wait_loadcnt 0x0
	v_perm_b32 v4, v4, v5, 0x5040100
	s_clause 0x1
	scratch_load_b32 v5, off, s32 offset:868 th:TH_LOAD_LU
	scratch_load_b32 v6, off, s32 offset:876 th:TH_LOAD_LU
	v_pk_mul_bf16 v4, v42, v4
	s_wait_loadcnt 0x0
	v_perm_b32 v5, v6, v5, 0x5040100
	v_lshlrev_b32_e32 v6, 16, v2
	v_and_b32_e32 v2, 0xffff0000, v2
	s_delay_alu instid0(VALU_DEP_3) | instskip(NEXT) | instid1(VALU_DEP_2)
	v_pk_mul_bf16 v5, v113, v5
	v_dual_add_f32 v2, v6, v2 :: v_dual_lshlrev_b32 v6, 16, v3
	v_and_b32_e32 v3, 0xffff0000, v3
	s_delay_alu instid0(VALU_DEP_1) | instskip(NEXT) | instid1(VALU_DEP_1)
	v_add_f32_e32 v3, v6, v3
	v_dual_add_f32 v2, v2, v3 :: v_dual_lshlrev_b32 v3, 16, v4
	v_and_b32_e32 v4, 0xffff0000, v4
	s_delay_alu instid0(VALU_DEP_1) | instskip(SKIP_1) | instid1(VALU_DEP_2)
	v_add_f32_e32 v3, v3, v4
	v_and_b32_e32 v4, 0xffff0000, v5
	v_dual_add_f32 v2, v2, v3 :: v_dual_lshlrev_b32 v3, 16, v5
	s_delay_alu instid0(VALU_DEP_1) | instskip(NEXT) | instid1(VALU_DEP_1)
	v_add_f32_e32 v3, v3, v4
	v_add_f32_e32 v2, v2, v3
	s_delay_alu instid0(VALU_DEP_1)
	v_add_f32_e32 v26, v26, v2
	s_clause 0x1
	scratch_load_b32 v2, off, s32 offset:836 th:TH_LOAD_LU
	scratch_load_b32 v3, off, s32 offset:844 th:TH_LOAD_LU
	s_wait_loadcnt 0x0
	v_perm_b32 v2, v2, v3, 0x5040100
	s_clause 0x1
	scratch_load_b32 v3, off, s32 offset:820 th:TH_LOAD_LU
	scratch_load_b32 v4, off, s32 offset:828 th:TH_LOAD_LU
	v_pk_mul_bf16 v2, v44, v2
	s_wait_loadcnt 0x0
	v_perm_b32 v3, v3, v4, 0x5040100
	s_clause 0x1
	scratch_load_b32 v4, off, s32 offset:792 th:TH_LOAD_LU
	scratch_load_b32 v5, off, s32 offset:800 th:TH_LOAD_LU
	v_pk_mul_bf16 v3, v43, v3
	s_wait_loadcnt 0x0
	v_perm_b32 v4, v4, v5, 0x5040100
	s_clause 0x1
	scratch_load_b32 v5, off, s32 offset:804 th:TH_LOAD_LU
	scratch_load_b32 v6, off, s32 offset:812 th:TH_LOAD_LU
	v_pk_mul_bf16 v4, v42, v4
	s_wait_loadcnt 0x0
	v_perm_b32 v5, v6, v5, 0x5040100
	v_lshlrev_b32_e32 v6, 16, v2
	v_and_b32_e32 v2, 0xffff0000, v2
	s_delay_alu instid0(VALU_DEP_3) | instskip(NEXT) | instid1(VALU_DEP_2)
	v_pk_mul_bf16 v5, v113, v5
	v_dual_add_f32 v2, v6, v2 :: v_dual_lshlrev_b32 v6, 16, v3
	v_and_b32_e32 v3, 0xffff0000, v3
	s_delay_alu instid0(VALU_DEP_1) | instskip(NEXT) | instid1(VALU_DEP_1)
	v_add_f32_e32 v3, v6, v3
	v_dual_add_f32 v2, v2, v3 :: v_dual_lshlrev_b32 v3, 16, v4
	v_and_b32_e32 v4, 0xffff0000, v4
	s_delay_alu instid0(VALU_DEP_1) | instskip(SKIP_1) | instid1(VALU_DEP_2)
	v_add_f32_e32 v3, v3, v4
	;; [unrolled: 42-line block ×13, first 2 shown]
	v_and_b32_e32 v4, 0xffff0000, v5
	v_dual_add_f32 v2, v2, v3 :: v_dual_lshlrev_b32 v3, 16, v5
	v_pk_mul_bf16 v5, v113, v0
	s_delay_alu instid0(VALU_DEP_2) | instskip(SKIP_1) | instid1(VALU_DEP_2)
	v_add_f32_e32 v3, v3, v4
	v_pk_mul_bf16 v4, v42, v1
	v_add_f32_e32 v2, v2, v3
	v_perm_b32 v3, v22, v52, 0x5040100
	s_delay_alu instid0(VALU_DEP_1) | instskip(NEXT) | instid1(VALU_DEP_1)
	v_pk_mul_bf16 v3, v43, v3
	v_and_b32_e32 v1, 0xffff0000, v3
	s_delay_alu instid0(VALU_DEP_4) | instskip(SKIP_1) | instid1(VALU_DEP_1)
	v_dual_add_f32 v38, v38, v2 :: v_dual_lshlrev_b32 v3, 16, v3
	v_perm_b32 v2, v53, v54, 0x5040100
	v_pk_mul_bf16 v2, v44, v2
	s_delay_alu instid0(VALU_DEP_1) | instskip(SKIP_1) | instid1(VALU_DEP_1)
	v_and_b32_e32 v0, 0xffff0000, v2
	v_lshlrev_b32_e32 v2, 16, v2
	v_pk_add_f32 v[0:1], v[2:3], v[0:1]
	v_and_b32_e32 v2, 0xffff0000, v4
	v_lshlrev_b32_e32 v4, 16, v4
	v_and_b32_e32 v3, 0xffff0000, v5
	v_lshlrev_b32_e32 v5, 16, v5
	v_add_f32_e32 v0, v0, v1
	s_delay_alu instid0(VALU_DEP_2) | instskip(NEXT) | instid1(VALU_DEP_1)
	v_pk_add_f32 v[2:3], v[4:5], v[2:3]
	v_add_f32_e32 v0, v0, v2
	s_delay_alu instid0(VALU_DEP_1) | instskip(NEXT) | instid1(VALU_DEP_1)
	v_add_f32_e32 v0, v0, v3
	v_add_f32_e32 v13, v13, v0
	scratch_load_b32 v0, off, s32 offset:408 ; 4-byte Folded Reload
	s_wait_loadcnt 0x0
	v_cmp_ge_i32_e32 vcc_lo, v50, v0
	s_or_b32 s9, vcc_lo, s9
	s_wait_xcnt 0x0
	s_and_not1_b32 exec_lo, exec_lo, s9
	s_cbranch_execz .LBB370_3158
.LBB370_1574:                           ; =>This Inner Loop Header: Depth=1
	scratch_load_b64 v[0:1], off, s32 offset:972 ; 8-byte Folded Reload
	v_mov_b32_e32 v51, v23
	s_mov_b32 s0, exec_lo
	s_wait_loadcnt 0x0
	s_delay_alu instid0(VALU_DEP_1)
	v_lshl_add_u64 v[0:1], v[50:51], 2, v[0:1]
	flat_load_b32 v0, v[0:1]
	s_clause 0x1
	scratch_load_b64 v[2:3], off, s32 offset:932
	scratch_load_b64 v[4:5], off, s32 offset:988
	s_wait_loadcnt_dscnt 0x0
	s_wait_xcnt 0x2
	v_mad_nc_i64_i32 v[0:1], v0, v2, v[4:5]
	flat_load_b64 v[18:19], v[0:1]
	scratch_load_b32 v2, off, s32 offset:980 ; 4-byte Folded Reload
	s_wait_loadcnt 0x0
	v_lshl_or_b32 v113, v50, 5, v2
	s_wait_kmcnt 0x0
	s_delay_alu instid0(VALU_DEP_1)
	v_lshl_add_u32 v2, v113, 2, s8
	ds_load_2addr_b64 v[4:7], v2 offset1:1
	s_wait_dscnt 0x0
	scratch_store_b128 off, v[4:7], s32 offset:956 ; 16-byte Folded Spill
	s_wait_xcnt 0x0
	ds_load_2addr_b64 v[2:5], v2 offset0:2 offset1:3
	s_wait_dscnt 0x0
	scratch_store_b128 off, v[2:5], s32 offset:940 ; 16-byte Folded Spill
	s_wait_xcnt 0x0
	v_and_b32_e32 v3, 0xff, v18
	v_mov_b32_e32 v2, 0
	s_delay_alu instid0(VALU_DEP_2)
	v_cmpx_ne_u16_e32 0, v3
	s_cbranch_execz .LBB370_1582
; %bb.1575:                             ;   in Loop: Header=BB370_1574 Depth=1
	v_bfrev_b32_e32 v2, 1
	s_mov_b32 s16, exec_lo
	v_cmpx_ne_u16_e32 0x80, v3
	s_cbranch_execz .LBB370_1581
; %bb.1576:                             ;   in Loop: Header=BB370_1574 Depth=1
	v_and_b32_e32 v3, 0x7f, v18
	v_mov_b32_e32 v2, 0x7f800001
	s_mov_b32 s17, exec_lo
	s_delay_alu instid0(VALU_DEP_2)
	v_cmpx_ne_u32_e32 0x7f, v3
	s_cbranch_execz .LBB370_1580
; %bb.1577:                             ;   in Loop: Header=BB370_1574 Depth=1
	v_mov_b64_e32 v[52:53], v[18:19]
	v_lshrrev_b32_e32 v2, 3, v3
	s_mov_b32 s18, exec_lo
	v_cmpx_gt_u32_e32 8, v3
; %bb.1578:                             ;   in Loop: Header=BB370_1574 Depth=1
	v_and_b32_e32 v2, 7, v18
	s_delay_alu instid0(VALU_DEP_1) | instskip(NEXT) | instid1(VALU_DEP_1)
	v_clz_i32_u32_e32 v2, v2
	v_min_u32_e32 v2, 32, v2
	s_delay_alu instid0(VALU_DEP_1) | instskip(SKIP_1) | instid1(VALU_DEP_2)
	v_subrev_nc_u32_e32 v3, 28, v2
	v_sub_nc_u32_e32 v2, 29, v2
	v_lshlrev_b64_e32 v[52:53], v3, v[18:19]
; %bb.1579:                             ;   in Loop: Header=BB370_1574 Depth=1
	s_or_b32 exec_lo, exec_lo, s18
	s_delay_alu instid0(VALU_DEP_1) | instskip(NEXT) | instid1(VALU_DEP_3)
	v_dual_lshlrev_b32 v3, 20, v52 :: v_dual_lshlrev_b32 v4, 24, v18
	v_lshl_add_u32 v2, v2, 23, 0x3c000000
	s_delay_alu instid0(VALU_DEP_2) | instskip(NEXT) | instid1(VALU_DEP_3)
	v_and_b32_e32 v3, 0x700000, v3
	v_and_b32_e32 v4, 0x80000000, v4
	s_delay_alu instid0(VALU_DEP_1)
	v_or3_b32 v2, v3, v4, v2
.LBB370_1580:                           ;   in Loop: Header=BB370_1574 Depth=1
	s_or_b32 exec_lo, exec_lo, s17
.LBB370_1581:                           ;   in Loop: Header=BB370_1574 Depth=1
	s_delay_alu instid0(SALU_CYCLE_1)
	s_or_b32 exec_lo, exec_lo, s16
.LBB370_1582:                           ;   in Loop: Header=BB370_1574 Depth=1
	s_delay_alu instid0(SALU_CYCLE_1) | instskip(SKIP_3) | instid1(VALU_DEP_2)
	s_or_b32 exec_lo, exec_lo, s0
	v_lshrrev_b16 v5, 8, v18
	v_dual_mov_b32 v3, 0 :: v_dual_mov_b32 v4, 0
	s_mov_b32 s0, exec_lo
	v_cmpx_ne_u16_e32 0, v5
	s_cbranch_execz .LBB370_1590
; %bb.1583:                             ;   in Loop: Header=BB370_1574 Depth=1
	v_bfrev_b32_e32 v4, 1
	s_mov_b32 s16, exec_lo
	v_cmpx_ne_u16_e32 0x80, v5
	s_cbranch_execz .LBB370_1589
; %bb.1584:                             ;   in Loop: Header=BB370_1574 Depth=1
	v_and_b32_e32 v6, 0xffff, v5
	v_mov_b32_e32 v4, 0x7f800001
	s_mov_b32 s17, exec_lo
	s_delay_alu instid0(VALU_DEP_2) | instskip(NEXT) | instid1(VALU_DEP_1)
	v_and_b32_e32 v5, 0x7f, v6
	v_cmpx_ne_u32_e32 0x7f, v5
	s_cbranch_execz .LBB370_1588
; %bb.1585:                             ;   in Loop: Header=BB370_1574 Depth=1
	v_dual_lshrrev_b32 v4, 3, v5 :: v_dual_bitop2_b32 v22, 7, v6 bitop3:0x40
	s_mov_b32 s18, exec_lo
	s_delay_alu instid0(VALU_DEP_1)
	v_mov_b64_e32 v[52:53], v[22:23]
	v_cmpx_gt_u32_e32 8, v5
; %bb.1586:                             ;   in Loop: Header=BB370_1574 Depth=1
	v_clz_i32_u32_e32 v4, v22
	s_delay_alu instid0(VALU_DEP_1) | instskip(NEXT) | instid1(VALU_DEP_1)
	v_min_u32_e32 v4, 32, v4
	v_subrev_nc_u32_e32 v5, 28, v4
	s_delay_alu instid0(VALU_DEP_1) | instskip(NEXT) | instid1(VALU_DEP_1)
	v_lshlrev_b64_e32 v[6:7], v5, v[22:23]
	v_dual_sub_nc_u32 v4, 29, v4 :: v_dual_bitop2_b32 v52, 7, v6 bitop3:0x40
; %bb.1587:                             ;   in Loop: Header=BB370_1574 Depth=1
	s_or_b32 exec_lo, exec_lo, s18
	s_delay_alu instid0(VALU_DEP_1) | instskip(NEXT) | instid1(VALU_DEP_2)
	v_dual_lshlrev_b32 v5, 16, v18 :: v_dual_lshlrev_b32 v6, 20, v52
	v_lshl_add_u32 v4, v4, 23, 0x3c000000
	s_delay_alu instid0(VALU_DEP_2) | instskip(NEXT) | instid1(VALU_DEP_1)
	v_and_b32_e32 v5, 0x80000000, v5
	v_or3_b32 v4, v6, v5, v4
.LBB370_1588:                           ;   in Loop: Header=BB370_1574 Depth=1
	s_or_b32 exec_lo, exec_lo, s17
.LBB370_1589:                           ;   in Loop: Header=BB370_1574 Depth=1
	s_delay_alu instid0(SALU_CYCLE_1)
	s_or_b32 exec_lo, exec_lo, s16
.LBB370_1590:                           ;   in Loop: Header=BB370_1574 Depth=1
	s_delay_alu instid0(SALU_CYCLE_1) | instskip(SKIP_2) | instid1(VALU_DEP_1)
	s_or_b32 exec_lo, exec_lo, s0
	v_lshrrev_b32_e32 v5, 16, v18
	s_mov_b32 s0, exec_lo
	v_and_b32_e32 v6, 0xff, v5
	s_delay_alu instid0(VALU_DEP_1)
	v_cmpx_ne_u16_e32 0, v6
	s_cbranch_execz .LBB370_1598
; %bb.1591:                             ;   in Loop: Header=BB370_1574 Depth=1
	v_bfrev_b32_e32 v3, 1
	s_mov_b32 s16, exec_lo
	v_cmpx_ne_u16_e32 0x80, v6
	s_cbranch_execz .LBB370_1597
; %bb.1592:                             ;   in Loop: Header=BB370_1574 Depth=1
	v_bfe_u32 v6, v18, 16, 7
	v_mov_b32_e32 v3, 0x7f800001
	s_mov_b32 s17, exec_lo
	s_delay_alu instid0(VALU_DEP_2)
	v_cmpx_ne_u32_e32 0x7f, v6
	s_cbranch_execz .LBB370_1596
; %bb.1593:                             ;   in Loop: Header=BB370_1574 Depth=1
	v_dual_lshrrev_b32 v3, 3, v6 :: v_dual_bitop2_b32 v22, 7, v5 bitop3:0x40
	s_mov_b32 s18, exec_lo
	s_delay_alu instid0(VALU_DEP_1)
	v_mov_b64_e32 v[52:53], v[22:23]
	v_cmpx_gt_u32_e32 8, v6
; %bb.1594:                             ;   in Loop: Header=BB370_1574 Depth=1
	v_clz_i32_u32_e32 v3, v22
	s_delay_alu instid0(VALU_DEP_1) | instskip(NEXT) | instid1(VALU_DEP_1)
	v_min_u32_e32 v3, 32, v3
	v_subrev_nc_u32_e32 v6, 28, v3
	s_delay_alu instid0(VALU_DEP_1) | instskip(NEXT) | instid1(VALU_DEP_1)
	v_lshlrev_b64_e32 v[6:7], v6, v[22:23]
	v_dual_sub_nc_u32 v3, 29, v3 :: v_dual_bitop2_b32 v52, 7, v6 bitop3:0x40
; %bb.1595:                             ;   in Loop: Header=BB370_1574 Depth=1
	s_or_b32 exec_lo, exec_lo, s18
	s_delay_alu instid0(VALU_DEP_1) | instskip(NEXT) | instid1(VALU_DEP_2)
	v_dual_lshlrev_b32 v5, 24, v5 :: v_dual_lshlrev_b32 v6, 20, v52
	v_lshl_add_u32 v3, v3, 23, 0x3c000000
	s_delay_alu instid0(VALU_DEP_2) | instskip(NEXT) | instid1(VALU_DEP_1)
	v_and_b32_e32 v5, 0x80000000, v5
	v_or3_b32 v3, v6, v5, v3
.LBB370_1596:                           ;   in Loop: Header=BB370_1574 Depth=1
	s_or_b32 exec_lo, exec_lo, s17
.LBB370_1597:                           ;   in Loop: Header=BB370_1574 Depth=1
	s_delay_alu instid0(SALU_CYCLE_1)
	s_or_b32 exec_lo, exec_lo, s16
.LBB370_1598:                           ;   in Loop: Header=BB370_1574 Depth=1
	s_delay_alu instid0(SALU_CYCLE_1)
	s_or_b32 exec_lo, exec_lo, s0
	v_dual_mov_b32 v5, 0 :: v_dual_mov_b32 v6, 0
	s_mov_b32 s0, exec_lo
	v_cmpx_lt_u32_e32 0xffffff, v18
	s_cbranch_execz .LBB370_1606
; %bb.1599:                             ;   in Loop: Header=BB370_1574 Depth=1
	v_lshrrev_b32_e32 v7, 24, v18
	v_bfrev_b32_e32 v6, 1
	s_mov_b32 s16, exec_lo
	s_delay_alu instid0(VALU_DEP_2)
	v_cmpx_ne_u32_e32 0x80, v7
	s_cbranch_execz .LBB370_1605
; %bb.1600:                             ;   in Loop: Header=BB370_1574 Depth=1
	v_bfe_u32 v8, v18, 24, 7
	v_mov_b32_e32 v6, 0x7f800001
	s_mov_b32 s17, exec_lo
	s_delay_alu instid0(VALU_DEP_2)
	v_cmpx_ne_u32_e32 0x7f, v8
	s_cbranch_execz .LBB370_1604
; %bb.1601:                             ;   in Loop: Header=BB370_1574 Depth=1
	v_dual_lshrrev_b32 v6, 3, v8 :: v_dual_bitop2_b32 v22, 7, v7 bitop3:0x40
	s_mov_b32 s18, exec_lo
	s_delay_alu instid0(VALU_DEP_1)
	v_mov_b64_e32 v[52:53], v[22:23]
	v_cmpx_gt_u32_e32 8, v8
; %bb.1602:                             ;   in Loop: Header=BB370_1574 Depth=1
	v_clz_i32_u32_e32 v6, v22
	s_delay_alu instid0(VALU_DEP_1) | instskip(NEXT) | instid1(VALU_DEP_1)
	v_min_u32_e32 v6, 32, v6
	v_subrev_nc_u32_e32 v8, 28, v6
	s_delay_alu instid0(VALU_DEP_1) | instskip(NEXT) | instid1(VALU_DEP_1)
	v_lshlrev_b64_e32 v[8:9], v8, v[22:23]
	v_dual_sub_nc_u32 v6, 29, v6 :: v_dual_bitop2_b32 v52, 7, v8 bitop3:0x40
; %bb.1603:                             ;   in Loop: Header=BB370_1574 Depth=1
	s_or_b32 exec_lo, exec_lo, s18
	s_delay_alu instid0(VALU_DEP_1) | instskip(NEXT) | instid1(VALU_DEP_2)
	v_dual_lshlrev_b32 v7, 24, v7 :: v_dual_lshlrev_b32 v8, 20, v52
	v_lshl_add_u32 v6, v6, 23, 0x3c000000
	s_delay_alu instid0(VALU_DEP_2) | instskip(NEXT) | instid1(VALU_DEP_1)
	v_and_b32_e32 v7, 0x80000000, v7
	v_or3_b32 v6, v8, v7, v6
.LBB370_1604:                           ;   in Loop: Header=BB370_1574 Depth=1
	s_or_b32 exec_lo, exec_lo, s17
.LBB370_1605:                           ;   in Loop: Header=BB370_1574 Depth=1
	s_delay_alu instid0(SALU_CYCLE_1)
	s_or_b32 exec_lo, exec_lo, s16
.LBB370_1606:                           ;   in Loop: Header=BB370_1574 Depth=1
	s_delay_alu instid0(SALU_CYCLE_1) | instskip(SKIP_3) | instid1(VALU_DEP_2)
	s_or_b32 exec_lo, exec_lo, s0
	v_and_b32_e32 v7, 0xff, v19
	v_mov_b32_e32 v22, v19
	s_mov_b32 s0, exec_lo
	v_cmpx_ne_u16_e32 0, v7
	s_cbranch_execz .LBB370_1614
; %bb.1607:                             ;   in Loop: Header=BB370_1574 Depth=1
	v_bfrev_b32_e32 v5, 1
	s_mov_b32 s16, exec_lo
	v_cmpx_ne_u16_e32 0x80, v7
	s_cbranch_execz .LBB370_1613
; %bb.1608:                             ;   in Loop: Header=BB370_1574 Depth=1
	v_and_b32_e32 v7, 0x7f, v19
	v_mov_b32_e32 v5, 0x7f800001
	s_mov_b32 s17, exec_lo
	s_delay_alu instid0(VALU_DEP_2)
	v_cmpx_ne_u32_e32 0x7f, v7
	s_cbranch_execz .LBB370_1612
; %bb.1609:                             ;   in Loop: Header=BB370_1574 Depth=1
	v_mov_b64_e32 v[52:53], v[22:23]
	v_lshrrev_b32_e32 v5, 3, v7
	s_mov_b32 s18, exec_lo
	v_cmpx_gt_u32_e32 8, v7
; %bb.1610:                             ;   in Loop: Header=BB370_1574 Depth=1
	v_and_b32_e32 v5, 7, v19
	s_delay_alu instid0(VALU_DEP_1) | instskip(NEXT) | instid1(VALU_DEP_1)
	v_clz_i32_u32_e32 v5, v5
	v_min_u32_e32 v5, 32, v5
	s_delay_alu instid0(VALU_DEP_1) | instskip(SKIP_1) | instid1(VALU_DEP_2)
	v_subrev_nc_u32_e32 v7, 28, v5
	v_sub_nc_u32_e32 v5, 29, v5
	v_lshlrev_b64_e32 v[52:53], v7, v[22:23]
; %bb.1611:                             ;   in Loop: Header=BB370_1574 Depth=1
	s_or_b32 exec_lo, exec_lo, s18
	s_delay_alu instid0(VALU_DEP_1) | instskip(NEXT) | instid1(VALU_DEP_3)
	v_dual_lshlrev_b32 v7, 20, v52 :: v_dual_lshlrev_b32 v8, 24, v22
	v_lshl_add_u32 v5, v5, 23, 0x3c000000
	s_delay_alu instid0(VALU_DEP_2) | instskip(NEXT) | instid1(VALU_DEP_3)
	v_and_b32_e32 v7, 0x700000, v7
	v_and_b32_e32 v8, 0x80000000, v8
	s_delay_alu instid0(VALU_DEP_1)
	v_or3_b32 v5, v7, v8, v5
.LBB370_1612:                           ;   in Loop: Header=BB370_1574 Depth=1
	s_or_b32 exec_lo, exec_lo, s17
.LBB370_1613:                           ;   in Loop: Header=BB370_1574 Depth=1
	s_delay_alu instid0(SALU_CYCLE_1)
	s_or_b32 exec_lo, exec_lo, s16
.LBB370_1614:                           ;   in Loop: Header=BB370_1574 Depth=1
	s_delay_alu instid0(SALU_CYCLE_1) | instskip(SKIP_3) | instid1(VALU_DEP_2)
	s_or_b32 exec_lo, exec_lo, s0
	v_lshrrev_b16 v9, 8, v22
	v_dual_mov_b32 v7, 0 :: v_dual_mov_b32 v8, 0
	s_mov_b32 s0, exec_lo
	v_cmpx_ne_u16_e32 0, v9
	s_cbranch_execz .LBB370_1622
; %bb.1615:                             ;   in Loop: Header=BB370_1574 Depth=1
	v_bfrev_b32_e32 v8, 1
	s_mov_b32 s16, exec_lo
	v_cmpx_ne_u16_e32 0x80, v9
	s_cbranch_execz .LBB370_1621
; %bb.1616:                             ;   in Loop: Header=BB370_1574 Depth=1
	v_and_b32_e32 v10, 0xffff, v9
	v_mov_b32_e32 v8, 0x7f800001
	s_mov_b32 s17, exec_lo
	s_delay_alu instid0(VALU_DEP_2) | instskip(NEXT) | instid1(VALU_DEP_1)
	v_and_b32_e32 v9, 0x7f, v10
	v_cmpx_ne_u32_e32 0x7f, v9
	s_cbranch_execz .LBB370_1620
; %bb.1617:                             ;   in Loop: Header=BB370_1574 Depth=1
	v_dual_mov_b32 v53, v23 :: v_dual_bitop2_b32 v52, 7, v10 bitop3:0x40
	v_lshrrev_b32_e32 v8, 3, v9
	s_mov_b32 s18, exec_lo
	v_cmpx_gt_u32_e32 8, v9
; %bb.1618:                             ;   in Loop: Header=BB370_1574 Depth=1
	s_delay_alu instid0(VALU_DEP_3) | instskip(NEXT) | instid1(VALU_DEP_1)
	v_clz_i32_u32_e32 v8, v52
	v_min_u32_e32 v8, 32, v8
	s_delay_alu instid0(VALU_DEP_1) | instskip(NEXT) | instid1(VALU_DEP_1)
	v_subrev_nc_u32_e32 v9, 28, v8
	v_lshlrev_b64_e32 v[10:11], v9, v[52:53]
	s_delay_alu instid0(VALU_DEP_1)
	v_dual_sub_nc_u32 v8, 29, v8 :: v_dual_bitop2_b32 v52, 7, v10 bitop3:0x40
; %bb.1619:                             ;   in Loop: Header=BB370_1574 Depth=1
	s_or_b32 exec_lo, exec_lo, s18
	s_delay_alu instid0(VALU_DEP_1) | instskip(NEXT) | instid1(VALU_DEP_2)
	v_dual_lshlrev_b32 v9, 16, v22 :: v_dual_lshlrev_b32 v10, 20, v52
	v_lshl_add_u32 v8, v8, 23, 0x3c000000
	s_delay_alu instid0(VALU_DEP_2) | instskip(NEXT) | instid1(VALU_DEP_1)
	v_and_b32_e32 v9, 0x80000000, v9
	v_or3_b32 v8, v10, v9, v8
.LBB370_1620:                           ;   in Loop: Header=BB370_1574 Depth=1
	s_or_b32 exec_lo, exec_lo, s17
.LBB370_1621:                           ;   in Loop: Header=BB370_1574 Depth=1
	s_delay_alu instid0(SALU_CYCLE_1)
	s_or_b32 exec_lo, exec_lo, s16
.LBB370_1622:                           ;   in Loop: Header=BB370_1574 Depth=1
	s_delay_alu instid0(SALU_CYCLE_1) | instskip(SKIP_2) | instid1(VALU_DEP_1)
	s_or_b32 exec_lo, exec_lo, s0
	v_lshrrev_b32_e32 v9, 16, v19
	s_mov_b32 s0, exec_lo
	v_and_b32_e32 v10, 0xff, v9
	s_delay_alu instid0(VALU_DEP_1)
	v_cmpx_ne_u16_e32 0, v10
	s_cbranch_execz .LBB370_1630
; %bb.1623:                             ;   in Loop: Header=BB370_1574 Depth=1
	v_bfrev_b32_e32 v7, 1
	s_mov_b32 s16, exec_lo
	v_cmpx_ne_u16_e32 0x80, v10
	s_cbranch_execz .LBB370_1629
; %bb.1624:                             ;   in Loop: Header=BB370_1574 Depth=1
	v_bfe_u32 v10, v19, 16, 7
	v_mov_b32_e32 v7, 0x7f800001
	s_mov_b32 s17, exec_lo
	s_delay_alu instid0(VALU_DEP_2)
	v_cmpx_ne_u32_e32 0x7f, v10
	s_cbranch_execz .LBB370_1628
; %bb.1625:                             ;   in Loop: Header=BB370_1574 Depth=1
	v_dual_lshrrev_b32 v7, 3, v10 :: v_dual_bitop2_b32 v22, 7, v9 bitop3:0x40
	s_mov_b32 s18, exec_lo
	s_delay_alu instid0(VALU_DEP_1)
	v_mov_b64_e32 v[52:53], v[22:23]
	v_cmpx_gt_u32_e32 8, v10
; %bb.1626:                             ;   in Loop: Header=BB370_1574 Depth=1
	v_clz_i32_u32_e32 v7, v22
	s_delay_alu instid0(VALU_DEP_1) | instskip(NEXT) | instid1(VALU_DEP_1)
	v_min_u32_e32 v7, 32, v7
	v_subrev_nc_u32_e32 v10, 28, v7
	s_delay_alu instid0(VALU_DEP_1) | instskip(NEXT) | instid1(VALU_DEP_1)
	v_lshlrev_b64_e32 v[10:11], v10, v[22:23]
	v_dual_sub_nc_u32 v7, 29, v7 :: v_dual_bitop2_b32 v52, 7, v10 bitop3:0x40
; %bb.1627:                             ;   in Loop: Header=BB370_1574 Depth=1
	s_or_b32 exec_lo, exec_lo, s18
	s_delay_alu instid0(VALU_DEP_1) | instskip(NEXT) | instid1(VALU_DEP_2)
	v_dual_lshlrev_b32 v9, 24, v9 :: v_dual_lshlrev_b32 v10, 20, v52
	v_lshl_add_u32 v7, v7, 23, 0x3c000000
	s_delay_alu instid0(VALU_DEP_2) | instskip(NEXT) | instid1(VALU_DEP_1)
	v_and_b32_e32 v9, 0x80000000, v9
	v_or3_b32 v7, v10, v9, v7
.LBB370_1628:                           ;   in Loop: Header=BB370_1574 Depth=1
	s_or_b32 exec_lo, exec_lo, s17
.LBB370_1629:                           ;   in Loop: Header=BB370_1574 Depth=1
	s_delay_alu instid0(SALU_CYCLE_1)
	s_or_b32 exec_lo, exec_lo, s16
.LBB370_1630:                           ;   in Loop: Header=BB370_1574 Depth=1
	s_delay_alu instid0(SALU_CYCLE_1)
	s_or_b32 exec_lo, exec_lo, s0
	v_mov_b32_e32 v10, 0
	s_mov_b32 s0, exec_lo
	v_cmpx_lt_u64_e64 s[2:3], v[18:19]
	s_cbranch_execz .LBB370_1638
; %bb.1631:                             ;   in Loop: Header=BB370_1574 Depth=1
	v_lshrrev_b32_e32 v9, 24, v19
	v_bfrev_b32_e32 v10, 1
	s_mov_b32 s16, exec_lo
	s_delay_alu instid0(VALU_DEP_2)
	v_cmpx_ne_u32_e32 0x80, v9
	s_cbranch_execz .LBB370_1637
; %bb.1632:                             ;   in Loop: Header=BB370_1574 Depth=1
	v_bfe_u32 v11, v19, 24, 7
	v_mov_b32_e32 v10, 0x7f800001
	s_mov_b32 s17, exec_lo
	s_delay_alu instid0(VALU_DEP_2)
	v_cmpx_ne_u32_e32 0x7f, v11
	s_cbranch_execz .LBB370_1636
; %bb.1633:                             ;   in Loop: Header=BB370_1574 Depth=1
	v_dual_lshrrev_b32 v10, 3, v11 :: v_dual_bitop2_b32 v22, 7, v9 bitop3:0x40
	s_mov_b32 s18, exec_lo
	s_delay_alu instid0(VALU_DEP_1)
	v_mov_b64_e32 v[18:19], v[22:23]
	v_cmpx_gt_u32_e32 8, v11
; %bb.1634:                             ;   in Loop: Header=BB370_1574 Depth=1
	v_clz_i32_u32_e32 v10, v22
	s_delay_alu instid0(VALU_DEP_1) | instskip(NEXT) | instid1(VALU_DEP_1)
	v_min_u32_e32 v10, 32, v10
	v_subrev_nc_u32_e32 v11, 28, v10
	v_sub_nc_u32_e32 v10, 29, v10
	s_delay_alu instid0(VALU_DEP_2) | instskip(NEXT) | instid1(VALU_DEP_1)
	v_lshlrev_b64_e32 v[18:19], v11, v[22:23]
	v_and_b32_e32 v18, 7, v18
; %bb.1635:                             ;   in Loop: Header=BB370_1574 Depth=1
	s_or_b32 exec_lo, exec_lo, s18
	s_delay_alu instid0(VALU_DEP_1) | instskip(SKIP_1) | instid1(VALU_DEP_2)
	v_dual_lshlrev_b32 v9, 24, v9 :: v_dual_lshlrev_b32 v11, 20, v18
	v_lshl_add_u32 v10, v10, 23, 0x3c000000
	v_and_b32_e32 v9, 0x80000000, v9
	s_delay_alu instid0(VALU_DEP_1)
	v_or3_b32 v10, v11, v9, v10
.LBB370_1636:                           ;   in Loop: Header=BB370_1574 Depth=1
	s_or_b32 exec_lo, exec_lo, s17
.LBB370_1637:                           ;   in Loop: Header=BB370_1574 Depth=1
	s_delay_alu instid0(SALU_CYCLE_1)
	s_or_b32 exec_lo, exec_lo, s16
.LBB370_1638:                           ;   in Loop: Header=BB370_1574 Depth=1
	s_delay_alu instid0(SALU_CYCLE_1)
	s_or_b32 exec_lo, exec_lo, s0
	scratch_load_b32 v9, off, s32 offset:408 ; 4-byte Folded Reload
	v_fma_mixlo_bf16 v8, v64, v8, 0
	v_fma_mixlo_bf16 v5, v64, v5, 0
	;; [unrolled: 1-line block ×4, first 2 shown]
	v_or_b32_e32 v56, 1, v113
	scratch_store_b32 off, v8, s32 offset:192 ; 4-byte Folded Spill
	v_or_b32_e32 v47, 2, v113
	scratch_store_b32 off, v2, s32 offset:248 ; 4-byte Folded Spill
	s_wait_xcnt 0x0
	v_fma_mixlo_bf16 v2, v64, v7, 0
	scratch_store_b32 off, v5, s32 offset:200 ; 4-byte Folded Spill
	s_wait_xcnt 0x0
	v_fma_mixlo_bf16 v5, v64, v6, 0
	v_or_b32_e32 v46, 3, v113
	v_or_b32_e32 v45, 4, v113
	scratch_store_b32 off, v2, s32 offset:208 ; 4-byte Folded Spill
	s_wait_xcnt 0x0
	v_fma_mixlo_bf16 v2, v64, v10, 0
	s_clause 0x1
	scratch_store_b32 off, v5, s32 offset:224
	scratch_store_b32 off, v3, s32 offset:232
	s_wait_xcnt 0x0
	v_fma_mixlo_bf16 v3, v64, v4, 0
	v_or_b32_e32 v44, 5, v113
	v_or_b32_e32 v43, 6, v113
	;; [unrolled: 1-line block ×3, first 2 shown]
	s_clause 0x1
	scratch_store_b32 off, v2, s32 offset:216
	scratch_store_b32 off, v3, s32 offset:240
	s_wait_loadcnt 0x0
	v_add_nc_u32_e32 v9, -1, v9
	s_delay_alu instid0(VALU_DEP_1)
	v_cmp_eq_u32_e32 vcc_lo, v50, v9
	s_wait_xcnt 0x0
	s_and_saveexec_b32 s16, vcc_lo
	s_cbranch_execz .LBB370_1640
; %bb.1639:                             ;   in Loop: Header=BB370_1574 Depth=1
	scratch_load_b32 v2, off, s32 offset:248 ; 4-byte Folded Reload
	v_cmp_lt_i32_e64 s0, v113, v88
	s_wait_loadcnt 0x0
	s_delay_alu instid0(VALU_DEP_1)
	v_cndmask_b32_e64 v2, 0, v2, s0
	v_cmp_lt_i32_e64 s0, v56, v88
	s_clause 0x1
	scratch_store_b32 off, v2, s32 offset:248
	scratch_load_b32 v2, off, s32 offset:240
	s_wait_loadcnt 0x0
	v_cndmask_b32_e64 v2, 0, v2, s0
	v_cmp_lt_i32_e64 s0, v47, v88
	s_clause 0x1
	scratch_store_b32 off, v2, s32 offset:240
	scratch_load_b32 v2, off, s32 offset:232
	s_wait_loadcnt 0x0
	;; [unrolled: 6-line block ×7, first 2 shown]
	v_cndmask_b32_e64 v2, 0, v2, s0
	scratch_store_b32 off, v2, s32 offset:216 ; 4-byte Folded Spill
.LBB370_1640:                           ;   in Loop: Header=BB370_1574 Depth=1
	s_wait_xcnt 0x0
	s_or_b32 exec_lo, exec_lo, s16
	flat_load_b64 v[18:19], v[0:1] offset:256
	v_dual_mov_b32 v3, 0 :: v_dual_mov_b32 v2, 0
	s_mov_b32 s16, exec_lo
	s_wait_loadcnt_dscnt 0x0
	v_and_b32_e32 v4, 0xff, v18
	s_wait_xcnt 0x0
	s_delay_alu instid0(VALU_DEP_1)
	v_cmpx_ne_u16_e32 0, v4
	s_cbranch_execz .LBB370_1648
; %bb.1641:                             ;   in Loop: Header=BB370_1574 Depth=1
	v_bfrev_b32_e32 v2, 1
	s_mov_b32 s17, exec_lo
	v_cmpx_ne_u16_e32 0x80, v4
	s_cbranch_execz .LBB370_1647
; %bb.1642:                             ;   in Loop: Header=BB370_1574 Depth=1
	v_and_b32_e32 v4, 0x7f, v18
	v_mov_b32_e32 v2, 0x7f800001
	s_mov_b32 s18, exec_lo
	s_delay_alu instid0(VALU_DEP_2)
	v_cmpx_ne_u32_e32 0x7f, v4
	s_cbranch_execz .LBB370_1646
; %bb.1643:                             ;   in Loop: Header=BB370_1574 Depth=1
	v_mov_b64_e32 v[52:53], v[18:19]
	v_lshrrev_b32_e32 v2, 3, v4
	s_mov_b32 s19, exec_lo
	v_cmpx_gt_u32_e32 8, v4
; %bb.1644:                             ;   in Loop: Header=BB370_1574 Depth=1
	v_and_b32_e32 v2, 7, v18
	s_delay_alu instid0(VALU_DEP_1) | instskip(NEXT) | instid1(VALU_DEP_1)
	v_clz_i32_u32_e32 v2, v2
	v_min_u32_e32 v2, 32, v2
	s_delay_alu instid0(VALU_DEP_1) | instskip(SKIP_1) | instid1(VALU_DEP_2)
	v_subrev_nc_u32_e32 v4, 28, v2
	v_sub_nc_u32_e32 v2, 29, v2
	v_lshlrev_b64_e32 v[52:53], v4, v[18:19]
; %bb.1645:                             ;   in Loop: Header=BB370_1574 Depth=1
	s_or_b32 exec_lo, exec_lo, s19
	s_delay_alu instid0(VALU_DEP_1) | instskip(NEXT) | instid1(VALU_DEP_3)
	v_dual_lshlrev_b32 v4, 20, v52 :: v_dual_lshlrev_b32 v5, 24, v18
	v_lshl_add_u32 v2, v2, 23, 0x3c000000
	s_delay_alu instid0(VALU_DEP_2) | instskip(NEXT) | instid1(VALU_DEP_3)
	v_and_b32_e32 v4, 0x700000, v4
	v_and_b32_e32 v5, 0x80000000, v5
	s_delay_alu instid0(VALU_DEP_1)
	v_or3_b32 v2, v4, v5, v2
.LBB370_1646:                           ;   in Loop: Header=BB370_1574 Depth=1
	s_or_b32 exec_lo, exec_lo, s18
.LBB370_1647:                           ;   in Loop: Header=BB370_1574 Depth=1
	s_delay_alu instid0(SALU_CYCLE_1)
	s_or_b32 exec_lo, exec_lo, s17
.LBB370_1648:                           ;   in Loop: Header=BB370_1574 Depth=1
	s_delay_alu instid0(SALU_CYCLE_1) | instskip(SKIP_2) | instid1(VALU_DEP_1)
	s_or_b32 exec_lo, exec_lo, s16
	v_lshrrev_b16 v4, 8, v18
	s_mov_b32 s16, exec_lo
	v_cmpx_ne_u16_e32 0, v4
	s_cbranch_execz .LBB370_1656
; %bb.1649:                             ;   in Loop: Header=BB370_1574 Depth=1
	v_bfrev_b32_e32 v3, 1
	s_mov_b32 s17, exec_lo
	v_cmpx_ne_u16_e32 0x80, v4
	s_cbranch_execz .LBB370_1655
; %bb.1650:                             ;   in Loop: Header=BB370_1574 Depth=1
	v_and_b32_e32 v5, 0xffff, v4
	v_mov_b32_e32 v3, 0x7f800001
	s_mov_b32 s18, exec_lo
	s_delay_alu instid0(VALU_DEP_2) | instskip(NEXT) | instid1(VALU_DEP_1)
	v_and_b32_e32 v4, 0x7f, v5
	v_cmpx_ne_u32_e32 0x7f, v4
	s_cbranch_execz .LBB370_1654
; %bb.1651:                             ;   in Loop: Header=BB370_1574 Depth=1
	v_dual_lshrrev_b32 v3, 3, v4 :: v_dual_bitop2_b32 v22, 7, v5 bitop3:0x40
	s_mov_b32 s19, exec_lo
	s_delay_alu instid0(VALU_DEP_1)
	v_mov_b64_e32 v[52:53], v[22:23]
	v_cmpx_gt_u32_e32 8, v4
; %bb.1652:                             ;   in Loop: Header=BB370_1574 Depth=1
	v_clz_i32_u32_e32 v3, v22
	s_delay_alu instid0(VALU_DEP_1) | instskip(NEXT) | instid1(VALU_DEP_1)
	v_min_u32_e32 v3, 32, v3
	v_subrev_nc_u32_e32 v4, 28, v3
	s_delay_alu instid0(VALU_DEP_1) | instskip(NEXT) | instid1(VALU_DEP_1)
	v_lshlrev_b64_e32 v[4:5], v4, v[22:23]
	v_dual_sub_nc_u32 v3, 29, v3 :: v_dual_bitop2_b32 v52, 7, v4 bitop3:0x40
; %bb.1653:                             ;   in Loop: Header=BB370_1574 Depth=1
	s_or_b32 exec_lo, exec_lo, s19
	s_delay_alu instid0(VALU_DEP_1) | instskip(NEXT) | instid1(VALU_DEP_2)
	v_dual_lshlrev_b32 v4, 16, v18 :: v_dual_lshlrev_b32 v5, 20, v52
	v_lshl_add_u32 v3, v3, 23, 0x3c000000
	s_delay_alu instid0(VALU_DEP_2) | instskip(NEXT) | instid1(VALU_DEP_1)
	v_and_b32_e32 v4, 0x80000000, v4
	v_or3_b32 v3, v5, v4, v3
.LBB370_1654:                           ;   in Loop: Header=BB370_1574 Depth=1
	s_or_b32 exec_lo, exec_lo, s18
.LBB370_1655:                           ;   in Loop: Header=BB370_1574 Depth=1
	s_delay_alu instid0(SALU_CYCLE_1)
	s_or_b32 exec_lo, exec_lo, s17
.LBB370_1656:                           ;   in Loop: Header=BB370_1574 Depth=1
	s_delay_alu instid0(SALU_CYCLE_1) | instskip(SKIP_3) | instid1(VALU_DEP_2)
	s_or_b32 exec_lo, exec_lo, s16
	v_dual_mov_b32 v5, 0 :: v_dual_lshrrev_b32 v6, 16, v18
	v_mov_b32_e32 v4, 0
	s_mov_b32 s16, exec_lo
	v_and_b32_e32 v7, 0xff, v6
	s_delay_alu instid0(VALU_DEP_1)
	v_cmpx_ne_u16_e32 0, v7
	s_cbranch_execz .LBB370_1664
; %bb.1657:                             ;   in Loop: Header=BB370_1574 Depth=1
	v_bfrev_b32_e32 v4, 1
	s_mov_b32 s17, exec_lo
	v_cmpx_ne_u16_e32 0x80, v7
	s_cbranch_execz .LBB370_1663
; %bb.1658:                             ;   in Loop: Header=BB370_1574 Depth=1
	v_bfe_u32 v7, v18, 16, 7
	v_mov_b32_e32 v4, 0x7f800001
	s_mov_b32 s18, exec_lo
	s_delay_alu instid0(VALU_DEP_2)
	v_cmpx_ne_u32_e32 0x7f, v7
	s_cbranch_execz .LBB370_1662
; %bb.1659:                             ;   in Loop: Header=BB370_1574 Depth=1
	v_dual_lshrrev_b32 v4, 3, v7 :: v_dual_bitop2_b32 v22, 7, v6 bitop3:0x40
	s_mov_b32 s19, exec_lo
	s_delay_alu instid0(VALU_DEP_1)
	v_mov_b64_e32 v[52:53], v[22:23]
	v_cmpx_gt_u32_e32 8, v7
; %bb.1660:                             ;   in Loop: Header=BB370_1574 Depth=1
	v_clz_i32_u32_e32 v4, v22
	s_delay_alu instid0(VALU_DEP_1) | instskip(NEXT) | instid1(VALU_DEP_1)
	v_min_u32_e32 v4, 32, v4
	v_subrev_nc_u32_e32 v7, 28, v4
	v_sub_nc_u32_e32 v4, 29, v4
	s_delay_alu instid0(VALU_DEP_2) | instskip(NEXT) | instid1(VALU_DEP_1)
	v_lshlrev_b64_e32 v[8:9], v7, v[22:23]
	v_and_b32_e32 v52, 7, v8
; %bb.1661:                             ;   in Loop: Header=BB370_1574 Depth=1
	s_or_b32 exec_lo, exec_lo, s19
	s_delay_alu instid0(VALU_DEP_1) | instskip(SKIP_1) | instid1(VALU_DEP_2)
	v_dual_lshlrev_b32 v6, 24, v6 :: v_dual_lshlrev_b32 v7, 20, v52
	v_lshl_add_u32 v4, v4, 23, 0x3c000000
	v_and_b32_e32 v6, 0x80000000, v6
	s_delay_alu instid0(VALU_DEP_1)
	v_or3_b32 v4, v7, v6, v4
.LBB370_1662:                           ;   in Loop: Header=BB370_1574 Depth=1
	s_or_b32 exec_lo, exec_lo, s18
.LBB370_1663:                           ;   in Loop: Header=BB370_1574 Depth=1
	s_delay_alu instid0(SALU_CYCLE_1)
	s_or_b32 exec_lo, exec_lo, s17
.LBB370_1664:                           ;   in Loop: Header=BB370_1574 Depth=1
	s_delay_alu instid0(SALU_CYCLE_1) | instskip(NEXT) | instid1(SALU_CYCLE_1)
	s_or_b32 exec_lo, exec_lo, s16
	s_mov_b32 s16, exec_lo
	v_cmpx_lt_u32_e32 0xffffff, v18
	s_cbranch_execz .LBB370_1672
; %bb.1665:                             ;   in Loop: Header=BB370_1574 Depth=1
	v_lshrrev_b32_e32 v6, 24, v18
	v_bfrev_b32_e32 v5, 1
	s_mov_b32 s17, exec_lo
	s_delay_alu instid0(VALU_DEP_2)
	v_cmpx_ne_u32_e32 0x80, v6
	s_cbranch_execz .LBB370_1671
; %bb.1666:                             ;   in Loop: Header=BB370_1574 Depth=1
	v_bfe_u32 v7, v18, 24, 7
	v_mov_b32_e32 v5, 0x7f800001
	s_mov_b32 s18, exec_lo
	s_delay_alu instid0(VALU_DEP_2)
	v_cmpx_ne_u32_e32 0x7f, v7
	s_cbranch_execz .LBB370_1670
; %bb.1667:                             ;   in Loop: Header=BB370_1574 Depth=1
	v_dual_lshrrev_b32 v5, 3, v7 :: v_dual_bitop2_b32 v22, 7, v6 bitop3:0x40
	s_mov_b32 s19, exec_lo
	s_delay_alu instid0(VALU_DEP_1)
	v_mov_b64_e32 v[52:53], v[22:23]
	v_cmpx_gt_u32_e32 8, v7
; %bb.1668:                             ;   in Loop: Header=BB370_1574 Depth=1
	v_clz_i32_u32_e32 v5, v22
	s_delay_alu instid0(VALU_DEP_1) | instskip(NEXT) | instid1(VALU_DEP_1)
	v_min_u32_e32 v5, 32, v5
	v_subrev_nc_u32_e32 v7, 28, v5
	s_delay_alu instid0(VALU_DEP_1) | instskip(NEXT) | instid1(VALU_DEP_1)
	v_lshlrev_b64_e32 v[8:9], v7, v[22:23]
	v_dual_sub_nc_u32 v5, 29, v5 :: v_dual_bitop2_b32 v52, 7, v8 bitop3:0x40
; %bb.1669:                             ;   in Loop: Header=BB370_1574 Depth=1
	s_or_b32 exec_lo, exec_lo, s19
	s_delay_alu instid0(VALU_DEP_1) | instskip(NEXT) | instid1(VALU_DEP_2)
	v_dual_lshlrev_b32 v6, 24, v6 :: v_dual_lshlrev_b32 v7, 20, v52
	v_lshl_add_u32 v5, v5, 23, 0x3c000000
	s_delay_alu instid0(VALU_DEP_2) | instskip(NEXT) | instid1(VALU_DEP_1)
	v_and_b32_e32 v6, 0x80000000, v6
	v_or3_b32 v5, v7, v6, v5
.LBB370_1670:                           ;   in Loop: Header=BB370_1574 Depth=1
	s_or_b32 exec_lo, exec_lo, s18
.LBB370_1671:                           ;   in Loop: Header=BB370_1574 Depth=1
	s_delay_alu instid0(SALU_CYCLE_1)
	s_or_b32 exec_lo, exec_lo, s17
.LBB370_1672:                           ;   in Loop: Header=BB370_1574 Depth=1
	s_delay_alu instid0(SALU_CYCLE_1) | instskip(SKIP_4) | instid1(VALU_DEP_3)
	s_or_b32 exec_lo, exec_lo, s16
	v_and_b32_e32 v8, 0xff, v19
	v_dual_mov_b32 v22, v19 :: v_dual_mov_b32 v7, 0
	v_mov_b32_e32 v6, 0
	s_mov_b32 s16, exec_lo
	v_cmpx_ne_u16_e32 0, v8
	s_cbranch_execz .LBB370_1680
; %bb.1673:                             ;   in Loop: Header=BB370_1574 Depth=1
	v_bfrev_b32_e32 v6, 1
	s_mov_b32 s17, exec_lo
	v_cmpx_ne_u16_e32 0x80, v8
	s_cbranch_execz .LBB370_1679
; %bb.1674:                             ;   in Loop: Header=BB370_1574 Depth=1
	v_and_b32_e32 v8, 0x7f, v19
	v_mov_b32_e32 v6, 0x7f800001
	s_mov_b32 s18, exec_lo
	s_delay_alu instid0(VALU_DEP_2)
	v_cmpx_ne_u32_e32 0x7f, v8
	s_cbranch_execz .LBB370_1678
; %bb.1675:                             ;   in Loop: Header=BB370_1574 Depth=1
	v_mov_b64_e32 v[52:53], v[22:23]
	v_lshrrev_b32_e32 v6, 3, v8
	s_mov_b32 s19, exec_lo
	v_cmpx_gt_u32_e32 8, v8
; %bb.1676:                             ;   in Loop: Header=BB370_1574 Depth=1
	v_and_b32_e32 v6, 7, v19
	s_delay_alu instid0(VALU_DEP_1) | instskip(NEXT) | instid1(VALU_DEP_1)
	v_clz_i32_u32_e32 v6, v6
	v_min_u32_e32 v6, 32, v6
	s_delay_alu instid0(VALU_DEP_1) | instskip(SKIP_1) | instid1(VALU_DEP_2)
	v_subrev_nc_u32_e32 v8, 28, v6
	v_sub_nc_u32_e32 v6, 29, v6
	v_lshlrev_b64_e32 v[52:53], v8, v[22:23]
; %bb.1677:                             ;   in Loop: Header=BB370_1574 Depth=1
	s_or_b32 exec_lo, exec_lo, s19
	s_delay_alu instid0(VALU_DEP_1) | instskip(NEXT) | instid1(VALU_DEP_3)
	v_dual_lshlrev_b32 v8, 20, v52 :: v_dual_lshlrev_b32 v9, 24, v22
	v_lshl_add_u32 v6, v6, 23, 0x3c000000
	s_delay_alu instid0(VALU_DEP_2) | instskip(NEXT) | instid1(VALU_DEP_3)
	v_and_b32_e32 v8, 0x700000, v8
	v_and_b32_e32 v9, 0x80000000, v9
	s_delay_alu instid0(VALU_DEP_1)
	v_or3_b32 v6, v8, v9, v6
.LBB370_1678:                           ;   in Loop: Header=BB370_1574 Depth=1
	s_or_b32 exec_lo, exec_lo, s18
.LBB370_1679:                           ;   in Loop: Header=BB370_1574 Depth=1
	s_delay_alu instid0(SALU_CYCLE_1)
	s_or_b32 exec_lo, exec_lo, s17
.LBB370_1680:                           ;   in Loop: Header=BB370_1574 Depth=1
	s_delay_alu instid0(SALU_CYCLE_1) | instskip(SKIP_2) | instid1(VALU_DEP_1)
	s_or_b32 exec_lo, exec_lo, s16
	v_lshrrev_b16 v8, 8, v22
	s_mov_b32 s16, exec_lo
	v_cmpx_ne_u16_e32 0, v8
	s_cbranch_execz .LBB370_1688
; %bb.1681:                             ;   in Loop: Header=BB370_1574 Depth=1
	v_bfrev_b32_e32 v7, 1
	s_mov_b32 s17, exec_lo
	v_cmpx_ne_u16_e32 0x80, v8
	s_cbranch_execz .LBB370_1687
; %bb.1682:                             ;   in Loop: Header=BB370_1574 Depth=1
	v_and_b32_e32 v9, 0xffff, v8
	v_mov_b32_e32 v7, 0x7f800001
	s_mov_b32 s18, exec_lo
	s_delay_alu instid0(VALU_DEP_2) | instskip(NEXT) | instid1(VALU_DEP_1)
	v_and_b32_e32 v8, 0x7f, v9
	v_cmpx_ne_u32_e32 0x7f, v8
	s_cbranch_execz .LBB370_1686
; %bb.1683:                             ;   in Loop: Header=BB370_1574 Depth=1
	v_dual_mov_b32 v53, v23 :: v_dual_bitop2_b32 v52, 7, v9 bitop3:0x40
	v_lshrrev_b32_e32 v7, 3, v8
	s_mov_b32 s19, exec_lo
	v_cmpx_gt_u32_e32 8, v8
; %bb.1684:                             ;   in Loop: Header=BB370_1574 Depth=1
	s_delay_alu instid0(VALU_DEP_3) | instskip(NEXT) | instid1(VALU_DEP_1)
	v_clz_i32_u32_e32 v7, v52
	v_min_u32_e32 v7, 32, v7
	s_delay_alu instid0(VALU_DEP_1) | instskip(NEXT) | instid1(VALU_DEP_1)
	v_subrev_nc_u32_e32 v8, 28, v7
	v_lshlrev_b64_e32 v[8:9], v8, v[52:53]
	s_delay_alu instid0(VALU_DEP_1)
	v_dual_sub_nc_u32 v7, 29, v7 :: v_dual_bitop2_b32 v52, 7, v8 bitop3:0x40
; %bb.1685:                             ;   in Loop: Header=BB370_1574 Depth=1
	s_or_b32 exec_lo, exec_lo, s19
	s_delay_alu instid0(VALU_DEP_1) | instskip(NEXT) | instid1(VALU_DEP_2)
	v_dual_lshlrev_b32 v8, 16, v22 :: v_dual_lshlrev_b32 v9, 20, v52
	v_lshl_add_u32 v7, v7, 23, 0x3c000000
	s_delay_alu instid0(VALU_DEP_2) | instskip(NEXT) | instid1(VALU_DEP_1)
	v_and_b32_e32 v8, 0x80000000, v8
	v_or3_b32 v7, v9, v8, v7
.LBB370_1686:                           ;   in Loop: Header=BB370_1574 Depth=1
	s_or_b32 exec_lo, exec_lo, s18
.LBB370_1687:                           ;   in Loop: Header=BB370_1574 Depth=1
	s_delay_alu instid0(SALU_CYCLE_1)
	s_or_b32 exec_lo, exec_lo, s17
.LBB370_1688:                           ;   in Loop: Header=BB370_1574 Depth=1
	s_delay_alu instid0(SALU_CYCLE_1) | instskip(SKIP_3) | instid1(VALU_DEP_2)
	s_or_b32 exec_lo, exec_lo, s16
	v_dual_lshrrev_b32 v10, 16, v19 :: v_dual_mov_b32 v8, 0
	v_mov_b32_e32 v9, 0
	s_mov_b32 s16, exec_lo
	v_and_b32_e32 v11, 0xff, v10
	s_delay_alu instid0(VALU_DEP_1)
	v_cmpx_ne_u16_e32 0, v11
	s_cbranch_execz .LBB370_1696
; %bb.1689:                             ;   in Loop: Header=BB370_1574 Depth=1
	v_bfrev_b32_e32 v9, 1
	s_mov_b32 s17, exec_lo
	v_cmpx_ne_u16_e32 0x80, v11
	s_cbranch_execz .LBB370_1695
; %bb.1690:                             ;   in Loop: Header=BB370_1574 Depth=1
	v_bfe_u32 v11, v19, 16, 7
	v_mov_b32_e32 v9, 0x7f800001
	s_mov_b32 s18, exec_lo
	s_delay_alu instid0(VALU_DEP_2)
	v_cmpx_ne_u32_e32 0x7f, v11
	s_cbranch_execz .LBB370_1694
; %bb.1691:                             ;   in Loop: Header=BB370_1574 Depth=1
	v_dual_lshrrev_b32 v9, 3, v11 :: v_dual_bitop2_b32 v22, 7, v10 bitop3:0x40
	s_mov_b32 s19, exec_lo
	s_delay_alu instid0(VALU_DEP_1)
	v_mov_b64_e32 v[52:53], v[22:23]
	v_cmpx_gt_u32_e32 8, v11
; %bb.1692:                             ;   in Loop: Header=BB370_1574 Depth=1
	v_clz_i32_u32_e32 v9, v22
	s_delay_alu instid0(VALU_DEP_1) | instskip(NEXT) | instid1(VALU_DEP_1)
	v_min_u32_e32 v9, 32, v9
	v_subrev_nc_u32_e32 v11, 28, v9
	s_delay_alu instid0(VALU_DEP_1) | instskip(NEXT) | instid1(VALU_DEP_1)
	v_lshlrev_b64_e32 v[48:49], v11, v[22:23]
	v_dual_sub_nc_u32 v9, 29, v9 :: v_dual_bitop2_b32 v52, 7, v48 bitop3:0x40
; %bb.1693:                             ;   in Loop: Header=BB370_1574 Depth=1
	s_or_b32 exec_lo, exec_lo, s19
	s_delay_alu instid0(VALU_DEP_1) | instskip(NEXT) | instid1(VALU_DEP_2)
	v_dual_lshlrev_b32 v10, 24, v10 :: v_dual_lshlrev_b32 v11, 20, v52
	v_lshl_add_u32 v9, v9, 23, 0x3c000000
	s_delay_alu instid0(VALU_DEP_2) | instskip(NEXT) | instid1(VALU_DEP_1)
	v_and_b32_e32 v10, 0x80000000, v10
	v_or3_b32 v9, v11, v10, v9
.LBB370_1694:                           ;   in Loop: Header=BB370_1574 Depth=1
	s_or_b32 exec_lo, exec_lo, s18
.LBB370_1695:                           ;   in Loop: Header=BB370_1574 Depth=1
	s_delay_alu instid0(SALU_CYCLE_1)
	s_or_b32 exec_lo, exec_lo, s17
.LBB370_1696:                           ;   in Loop: Header=BB370_1574 Depth=1
	s_delay_alu instid0(SALU_CYCLE_1) | instskip(NEXT) | instid1(SALU_CYCLE_1)
	s_or_b32 exec_lo, exec_lo, s16
	s_mov_b32 s16, exec_lo
	v_cmpx_lt_u64_e64 s[2:3], v[18:19]
	s_cbranch_execz .LBB370_1704
; %bb.1697:                             ;   in Loop: Header=BB370_1574 Depth=1
	v_lshrrev_b32_e32 v10, 24, v19
	v_bfrev_b32_e32 v8, 1
	s_mov_b32 s17, exec_lo
	s_delay_alu instid0(VALU_DEP_2)
	v_cmpx_ne_u32_e32 0x80, v10
	s_cbranch_execz .LBB370_1703
; %bb.1698:                             ;   in Loop: Header=BB370_1574 Depth=1
	v_bfe_u32 v11, v19, 24, 7
	v_mov_b32_e32 v8, 0x7f800001
	s_mov_b32 s18, exec_lo
	s_delay_alu instid0(VALU_DEP_2)
	v_cmpx_ne_u32_e32 0x7f, v11
	s_cbranch_execz .LBB370_1702
; %bb.1699:                             ;   in Loop: Header=BB370_1574 Depth=1
	v_dual_lshrrev_b32 v8, 3, v11 :: v_dual_bitop2_b32 v22, 7, v10 bitop3:0x40
	s_mov_b32 s19, exec_lo
	s_delay_alu instid0(VALU_DEP_1)
	v_mov_b64_e32 v[18:19], v[22:23]
	v_cmpx_gt_u32_e32 8, v11
; %bb.1700:                             ;   in Loop: Header=BB370_1574 Depth=1
	v_clz_i32_u32_e32 v8, v22
	s_delay_alu instid0(VALU_DEP_1) | instskip(NEXT) | instid1(VALU_DEP_1)
	v_min_u32_e32 v8, 32, v8
	v_subrev_nc_u32_e32 v11, 28, v8
	s_delay_alu instid0(VALU_DEP_1) | instskip(NEXT) | instid1(VALU_DEP_1)
	v_lshlrev_b64_e32 v[18:19], v11, v[22:23]
	v_dual_sub_nc_u32 v8, 29, v8 :: v_dual_bitop2_b32 v18, 7, v18 bitop3:0x40
; %bb.1701:                             ;   in Loop: Header=BB370_1574 Depth=1
	s_or_b32 exec_lo, exec_lo, s19
	v_lshlrev_b32_e32 v10, 24, v10
	s_delay_alu instid0(VALU_DEP_2) | instskip(NEXT) | instid1(VALU_DEP_3)
	v_lshlrev_b32_e32 v11, 20, v18
	v_lshl_add_u32 v8, v8, 23, 0x3c000000
	s_delay_alu instid0(VALU_DEP_3) | instskip(NEXT) | instid1(VALU_DEP_1)
	v_and_b32_e32 v10, 0x80000000, v10
	v_or3_b32 v8, v11, v10, v8
.LBB370_1702:                           ;   in Loop: Header=BB370_1574 Depth=1
	s_or_b32 exec_lo, exec_lo, s18
.LBB370_1703:                           ;   in Loop: Header=BB370_1574 Depth=1
	s_delay_alu instid0(SALU_CYCLE_1)
	s_or_b32 exec_lo, exec_lo, s17
.LBB370_1704:                           ;   in Loop: Header=BB370_1574 Depth=1
	s_delay_alu instid0(SALU_CYCLE_1)
	s_or_b32 exec_lo, exec_lo, s16
	v_fma_mixlo_bf16 v2, v64, v2, 0
	v_fma_mixlo_bf16 v7, v64, v7, 0
	;; [unrolled: 1-line block ×5, first 2 shown]
	scratch_store_b32 off, v2, s32 offset:312 ; 4-byte Folded Spill
	s_wait_xcnt 0x0
	v_fma_mixlo_bf16 v2, v64, v9, 0
	s_clause 0x1
	scratch_store_b32 off, v7, s32 offset:256
	scratch_store_b32 off, v6, s32 offset:264
	v_fma_mixlo_bf16 v3, v64, v3, 0
	s_clause 0x1
	scratch_store_b32 off, v5, s32 offset:288
	scratch_store_b32 off, v2, s32 offset:272
	s_wait_xcnt 0x0
	v_fma_mixlo_bf16 v2, v64, v8, 0
	s_clause 0x2
	scratch_store_b32 off, v4, s32 offset:296
	scratch_store_b32 off, v3, s32 offset:304
	;; [unrolled: 1-line block ×3, first 2 shown]
	s_wait_xcnt 0x0
	s_and_saveexec_b32 s16, vcc_lo
	s_cbranch_execz .LBB370_1706
; %bb.1705:                             ;   in Loop: Header=BB370_1574 Depth=1
	scratch_load_b32 v2, off, s32 offset:312 ; 4-byte Folded Reload
	v_cmp_lt_i32_e64 s0, v113, v88
	s_wait_loadcnt 0x0
	s_delay_alu instid0(VALU_DEP_1)
	v_cndmask_b32_e64 v2, 0, v2, s0
	v_cmp_lt_i32_e64 s0, v56, v88
	s_clause 0x1
	scratch_store_b32 off, v2, s32 offset:312
	scratch_load_b32 v2, off, s32 offset:304
	s_wait_loadcnt 0x0
	v_cndmask_b32_e64 v2, 0, v2, s0
	v_cmp_lt_i32_e64 s0, v47, v88
	s_clause 0x1
	scratch_store_b32 off, v2, s32 offset:304
	scratch_load_b32 v2, off, s32 offset:296
	s_wait_loadcnt 0x0
	v_cndmask_b32_e64 v2, 0, v2, s0
	v_cmp_lt_i32_e64 s0, v46, v88
	s_clause 0x1
	scratch_store_b32 off, v2, s32 offset:296
	scratch_load_b32 v2, off, s32 offset:288
	s_wait_loadcnt 0x0
	v_cndmask_b32_e64 v2, 0, v2, s0
	v_cmp_lt_i32_e64 s0, v45, v88
	s_clause 0x1
	scratch_store_b32 off, v2, s32 offset:288
	scratch_load_b32 v2, off, s32 offset:264
	s_wait_loadcnt 0x0
	v_cndmask_b32_e64 v2, 0, v2, s0
	v_cmp_lt_i32_e64 s0, v44, v88
	s_clause 0x1
	scratch_store_b32 off, v2, s32 offset:264
	scratch_load_b32 v2, off, s32 offset:256
	s_wait_loadcnt 0x0
	v_cndmask_b32_e64 v2, 0, v2, s0
	v_cmp_lt_i32_e64 s0, v43, v88
	s_clause 0x1
	scratch_store_b32 off, v2, s32 offset:256
	scratch_load_b32 v2, off, s32 offset:272
	s_wait_loadcnt 0x0
	v_cndmask_b32_e64 v2, 0, v2, s0
	v_cmp_lt_i32_e64 s0, v42, v88
	s_clause 0x1
	scratch_store_b32 off, v2, s32 offset:272
	scratch_load_b32 v2, off, s32 offset:280
	s_wait_loadcnt 0x0
	v_cndmask_b32_e64 v2, 0, v2, s0
	scratch_store_b32 off, v2, s32 offset:280 ; 4-byte Folded Spill
.LBB370_1706:                           ;   in Loop: Header=BB370_1574 Depth=1
	s_wait_xcnt 0x0
	s_or_b32 exec_lo, exec_lo, s16
	flat_load_b64 v[18:19], v[0:1] offset:512
	v_dual_mov_b32 v3, 0 :: v_dual_mov_b32 v2, 0
	s_mov_b32 s16, exec_lo
	s_wait_loadcnt_dscnt 0x0
	v_and_b32_e32 v4, 0xff, v18
	s_wait_xcnt 0x0
	s_delay_alu instid0(VALU_DEP_1)
	v_cmpx_ne_u16_e32 0, v4
	s_cbranch_execz .LBB370_1714
; %bb.1707:                             ;   in Loop: Header=BB370_1574 Depth=1
	v_bfrev_b32_e32 v2, 1
	s_mov_b32 s17, exec_lo
	v_cmpx_ne_u16_e32 0x80, v4
	s_cbranch_execz .LBB370_1713
; %bb.1708:                             ;   in Loop: Header=BB370_1574 Depth=1
	v_and_b32_e32 v4, 0x7f, v18
	v_mov_b32_e32 v2, 0x7f800001
	s_mov_b32 s18, exec_lo
	s_delay_alu instid0(VALU_DEP_2)
	v_cmpx_ne_u32_e32 0x7f, v4
	s_cbranch_execz .LBB370_1712
; %bb.1709:                             ;   in Loop: Header=BB370_1574 Depth=1
	v_mov_b64_e32 v[52:53], v[18:19]
	v_lshrrev_b32_e32 v2, 3, v4
	s_mov_b32 s19, exec_lo
	v_cmpx_gt_u32_e32 8, v4
; %bb.1710:                             ;   in Loop: Header=BB370_1574 Depth=1
	v_and_b32_e32 v2, 7, v18
	s_delay_alu instid0(VALU_DEP_1) | instskip(NEXT) | instid1(VALU_DEP_1)
	v_clz_i32_u32_e32 v2, v2
	v_min_u32_e32 v2, 32, v2
	s_delay_alu instid0(VALU_DEP_1) | instskip(SKIP_1) | instid1(VALU_DEP_2)
	v_subrev_nc_u32_e32 v4, 28, v2
	v_sub_nc_u32_e32 v2, 29, v2
	v_lshlrev_b64_e32 v[52:53], v4, v[18:19]
; %bb.1711:                             ;   in Loop: Header=BB370_1574 Depth=1
	s_or_b32 exec_lo, exec_lo, s19
	s_delay_alu instid0(VALU_DEP_1) | instskip(NEXT) | instid1(VALU_DEP_3)
	v_dual_lshlrev_b32 v4, 20, v52 :: v_dual_lshlrev_b32 v5, 24, v18
	v_lshl_add_u32 v2, v2, 23, 0x3c000000
	s_delay_alu instid0(VALU_DEP_2) | instskip(NEXT) | instid1(VALU_DEP_3)
	v_and_b32_e32 v4, 0x700000, v4
	v_and_b32_e32 v5, 0x80000000, v5
	s_delay_alu instid0(VALU_DEP_1)
	v_or3_b32 v2, v4, v5, v2
.LBB370_1712:                           ;   in Loop: Header=BB370_1574 Depth=1
	s_or_b32 exec_lo, exec_lo, s18
.LBB370_1713:                           ;   in Loop: Header=BB370_1574 Depth=1
	s_delay_alu instid0(SALU_CYCLE_1)
	s_or_b32 exec_lo, exec_lo, s17
.LBB370_1714:                           ;   in Loop: Header=BB370_1574 Depth=1
	s_delay_alu instid0(SALU_CYCLE_1) | instskip(SKIP_2) | instid1(VALU_DEP_1)
	s_or_b32 exec_lo, exec_lo, s16
	v_lshrrev_b16 v4, 8, v18
	s_mov_b32 s16, exec_lo
	v_cmpx_ne_u16_e32 0, v4
	s_cbranch_execz .LBB370_1722
; %bb.1715:                             ;   in Loop: Header=BB370_1574 Depth=1
	v_bfrev_b32_e32 v3, 1
	s_mov_b32 s17, exec_lo
	v_cmpx_ne_u16_e32 0x80, v4
	s_cbranch_execz .LBB370_1721
; %bb.1716:                             ;   in Loop: Header=BB370_1574 Depth=1
	v_and_b32_e32 v5, 0xffff, v4
	v_mov_b32_e32 v3, 0x7f800001
	s_mov_b32 s18, exec_lo
	s_delay_alu instid0(VALU_DEP_2) | instskip(NEXT) | instid1(VALU_DEP_1)
	v_and_b32_e32 v4, 0x7f, v5
	v_cmpx_ne_u32_e32 0x7f, v4
	s_cbranch_execz .LBB370_1720
; %bb.1717:                             ;   in Loop: Header=BB370_1574 Depth=1
	v_dual_lshrrev_b32 v3, 3, v4 :: v_dual_bitop2_b32 v22, 7, v5 bitop3:0x40
	s_mov_b32 s19, exec_lo
	s_delay_alu instid0(VALU_DEP_1)
	v_mov_b64_e32 v[52:53], v[22:23]
	v_cmpx_gt_u32_e32 8, v4
; %bb.1718:                             ;   in Loop: Header=BB370_1574 Depth=1
	v_clz_i32_u32_e32 v3, v22
	s_delay_alu instid0(VALU_DEP_1) | instskip(NEXT) | instid1(VALU_DEP_1)
	v_min_u32_e32 v3, 32, v3
	v_subrev_nc_u32_e32 v4, 28, v3
	s_delay_alu instid0(VALU_DEP_1) | instskip(NEXT) | instid1(VALU_DEP_1)
	v_lshlrev_b64_e32 v[4:5], v4, v[22:23]
	v_dual_sub_nc_u32 v3, 29, v3 :: v_dual_bitop2_b32 v52, 7, v4 bitop3:0x40
; %bb.1719:                             ;   in Loop: Header=BB370_1574 Depth=1
	s_or_b32 exec_lo, exec_lo, s19
	s_delay_alu instid0(VALU_DEP_1) | instskip(NEXT) | instid1(VALU_DEP_2)
	v_dual_lshlrev_b32 v4, 16, v18 :: v_dual_lshlrev_b32 v5, 20, v52
	v_lshl_add_u32 v3, v3, 23, 0x3c000000
	s_delay_alu instid0(VALU_DEP_2) | instskip(NEXT) | instid1(VALU_DEP_1)
	v_and_b32_e32 v4, 0x80000000, v4
	v_or3_b32 v3, v5, v4, v3
.LBB370_1720:                           ;   in Loop: Header=BB370_1574 Depth=1
	s_or_b32 exec_lo, exec_lo, s18
.LBB370_1721:                           ;   in Loop: Header=BB370_1574 Depth=1
	s_delay_alu instid0(SALU_CYCLE_1)
	s_or_b32 exec_lo, exec_lo, s17
.LBB370_1722:                           ;   in Loop: Header=BB370_1574 Depth=1
	s_delay_alu instid0(SALU_CYCLE_1) | instskip(SKIP_3) | instid1(VALU_DEP_2)
	s_or_b32 exec_lo, exec_lo, s16
	v_dual_mov_b32 v5, 0 :: v_dual_lshrrev_b32 v6, 16, v18
	v_mov_b32_e32 v4, 0
	s_mov_b32 s16, exec_lo
	v_and_b32_e32 v7, 0xff, v6
	s_delay_alu instid0(VALU_DEP_1)
	v_cmpx_ne_u16_e32 0, v7
	s_cbranch_execz .LBB370_1730
; %bb.1723:                             ;   in Loop: Header=BB370_1574 Depth=1
	v_bfrev_b32_e32 v4, 1
	s_mov_b32 s17, exec_lo
	v_cmpx_ne_u16_e32 0x80, v7
	s_cbranch_execz .LBB370_1729
; %bb.1724:                             ;   in Loop: Header=BB370_1574 Depth=1
	v_bfe_u32 v7, v18, 16, 7
	v_mov_b32_e32 v4, 0x7f800001
	s_mov_b32 s18, exec_lo
	s_delay_alu instid0(VALU_DEP_2)
	v_cmpx_ne_u32_e32 0x7f, v7
	s_cbranch_execz .LBB370_1728
; %bb.1725:                             ;   in Loop: Header=BB370_1574 Depth=1
	v_dual_lshrrev_b32 v4, 3, v7 :: v_dual_bitop2_b32 v22, 7, v6 bitop3:0x40
	s_mov_b32 s19, exec_lo
	s_delay_alu instid0(VALU_DEP_1)
	v_mov_b64_e32 v[52:53], v[22:23]
	v_cmpx_gt_u32_e32 8, v7
; %bb.1726:                             ;   in Loop: Header=BB370_1574 Depth=1
	v_clz_i32_u32_e32 v4, v22
	s_delay_alu instid0(VALU_DEP_1) | instskip(NEXT) | instid1(VALU_DEP_1)
	v_min_u32_e32 v4, 32, v4
	v_subrev_nc_u32_e32 v7, 28, v4
	v_sub_nc_u32_e32 v4, 29, v4
	s_delay_alu instid0(VALU_DEP_2) | instskip(NEXT) | instid1(VALU_DEP_1)
	v_lshlrev_b64_e32 v[8:9], v7, v[22:23]
	v_and_b32_e32 v52, 7, v8
; %bb.1727:                             ;   in Loop: Header=BB370_1574 Depth=1
	s_or_b32 exec_lo, exec_lo, s19
	s_delay_alu instid0(VALU_DEP_1) | instskip(SKIP_1) | instid1(VALU_DEP_2)
	v_dual_lshlrev_b32 v6, 24, v6 :: v_dual_lshlrev_b32 v7, 20, v52
	v_lshl_add_u32 v4, v4, 23, 0x3c000000
	v_and_b32_e32 v6, 0x80000000, v6
	s_delay_alu instid0(VALU_DEP_1)
	v_or3_b32 v4, v7, v6, v4
.LBB370_1728:                           ;   in Loop: Header=BB370_1574 Depth=1
	s_or_b32 exec_lo, exec_lo, s18
.LBB370_1729:                           ;   in Loop: Header=BB370_1574 Depth=1
	s_delay_alu instid0(SALU_CYCLE_1)
	s_or_b32 exec_lo, exec_lo, s17
.LBB370_1730:                           ;   in Loop: Header=BB370_1574 Depth=1
	s_delay_alu instid0(SALU_CYCLE_1) | instskip(NEXT) | instid1(SALU_CYCLE_1)
	s_or_b32 exec_lo, exec_lo, s16
	s_mov_b32 s16, exec_lo
	v_cmpx_lt_u32_e32 0xffffff, v18
	s_cbranch_execz .LBB370_1738
; %bb.1731:                             ;   in Loop: Header=BB370_1574 Depth=1
	v_lshrrev_b32_e32 v6, 24, v18
	v_bfrev_b32_e32 v5, 1
	s_mov_b32 s17, exec_lo
	s_delay_alu instid0(VALU_DEP_2)
	v_cmpx_ne_u32_e32 0x80, v6
	s_cbranch_execz .LBB370_1737
; %bb.1732:                             ;   in Loop: Header=BB370_1574 Depth=1
	v_bfe_u32 v7, v18, 24, 7
	v_mov_b32_e32 v5, 0x7f800001
	s_mov_b32 s18, exec_lo
	s_delay_alu instid0(VALU_DEP_2)
	v_cmpx_ne_u32_e32 0x7f, v7
	s_cbranch_execz .LBB370_1736
; %bb.1733:                             ;   in Loop: Header=BB370_1574 Depth=1
	v_dual_lshrrev_b32 v5, 3, v7 :: v_dual_bitop2_b32 v22, 7, v6 bitop3:0x40
	s_mov_b32 s19, exec_lo
	s_delay_alu instid0(VALU_DEP_1)
	v_mov_b64_e32 v[52:53], v[22:23]
	v_cmpx_gt_u32_e32 8, v7
; %bb.1734:                             ;   in Loop: Header=BB370_1574 Depth=1
	v_clz_i32_u32_e32 v5, v22
	s_delay_alu instid0(VALU_DEP_1) | instskip(NEXT) | instid1(VALU_DEP_1)
	v_min_u32_e32 v5, 32, v5
	v_subrev_nc_u32_e32 v7, 28, v5
	s_delay_alu instid0(VALU_DEP_1) | instskip(NEXT) | instid1(VALU_DEP_1)
	v_lshlrev_b64_e32 v[8:9], v7, v[22:23]
	v_dual_sub_nc_u32 v5, 29, v5 :: v_dual_bitop2_b32 v52, 7, v8 bitop3:0x40
; %bb.1735:                             ;   in Loop: Header=BB370_1574 Depth=1
	s_or_b32 exec_lo, exec_lo, s19
	s_delay_alu instid0(VALU_DEP_1) | instskip(NEXT) | instid1(VALU_DEP_2)
	v_dual_lshlrev_b32 v6, 24, v6 :: v_dual_lshlrev_b32 v7, 20, v52
	v_lshl_add_u32 v5, v5, 23, 0x3c000000
	s_delay_alu instid0(VALU_DEP_2) | instskip(NEXT) | instid1(VALU_DEP_1)
	v_and_b32_e32 v6, 0x80000000, v6
	v_or3_b32 v5, v7, v6, v5
.LBB370_1736:                           ;   in Loop: Header=BB370_1574 Depth=1
	s_or_b32 exec_lo, exec_lo, s18
.LBB370_1737:                           ;   in Loop: Header=BB370_1574 Depth=1
	s_delay_alu instid0(SALU_CYCLE_1)
	s_or_b32 exec_lo, exec_lo, s17
.LBB370_1738:                           ;   in Loop: Header=BB370_1574 Depth=1
	s_delay_alu instid0(SALU_CYCLE_1) | instskip(SKIP_4) | instid1(VALU_DEP_3)
	s_or_b32 exec_lo, exec_lo, s16
	v_and_b32_e32 v8, 0xff, v19
	v_dual_mov_b32 v22, v19 :: v_dual_mov_b32 v7, 0
	v_mov_b32_e32 v6, 0
	s_mov_b32 s16, exec_lo
	v_cmpx_ne_u16_e32 0, v8
	s_cbranch_execz .LBB370_1746
; %bb.1739:                             ;   in Loop: Header=BB370_1574 Depth=1
	v_bfrev_b32_e32 v6, 1
	s_mov_b32 s17, exec_lo
	v_cmpx_ne_u16_e32 0x80, v8
	s_cbranch_execz .LBB370_1745
; %bb.1740:                             ;   in Loop: Header=BB370_1574 Depth=1
	v_and_b32_e32 v8, 0x7f, v19
	v_mov_b32_e32 v6, 0x7f800001
	s_mov_b32 s18, exec_lo
	s_delay_alu instid0(VALU_DEP_2)
	v_cmpx_ne_u32_e32 0x7f, v8
	s_cbranch_execz .LBB370_1744
; %bb.1741:                             ;   in Loop: Header=BB370_1574 Depth=1
	v_mov_b64_e32 v[52:53], v[22:23]
	v_lshrrev_b32_e32 v6, 3, v8
	s_mov_b32 s19, exec_lo
	v_cmpx_gt_u32_e32 8, v8
; %bb.1742:                             ;   in Loop: Header=BB370_1574 Depth=1
	v_and_b32_e32 v6, 7, v19
	s_delay_alu instid0(VALU_DEP_1) | instskip(NEXT) | instid1(VALU_DEP_1)
	v_clz_i32_u32_e32 v6, v6
	v_min_u32_e32 v6, 32, v6
	s_delay_alu instid0(VALU_DEP_1) | instskip(SKIP_1) | instid1(VALU_DEP_2)
	v_subrev_nc_u32_e32 v8, 28, v6
	v_sub_nc_u32_e32 v6, 29, v6
	v_lshlrev_b64_e32 v[52:53], v8, v[22:23]
; %bb.1743:                             ;   in Loop: Header=BB370_1574 Depth=1
	s_or_b32 exec_lo, exec_lo, s19
	s_delay_alu instid0(VALU_DEP_1) | instskip(NEXT) | instid1(VALU_DEP_3)
	v_dual_lshlrev_b32 v8, 20, v52 :: v_dual_lshlrev_b32 v9, 24, v22
	v_lshl_add_u32 v6, v6, 23, 0x3c000000
	s_delay_alu instid0(VALU_DEP_2) | instskip(NEXT) | instid1(VALU_DEP_3)
	v_and_b32_e32 v8, 0x700000, v8
	v_and_b32_e32 v9, 0x80000000, v9
	s_delay_alu instid0(VALU_DEP_1)
	v_or3_b32 v6, v8, v9, v6
.LBB370_1744:                           ;   in Loop: Header=BB370_1574 Depth=1
	s_or_b32 exec_lo, exec_lo, s18
.LBB370_1745:                           ;   in Loop: Header=BB370_1574 Depth=1
	s_delay_alu instid0(SALU_CYCLE_1)
	s_or_b32 exec_lo, exec_lo, s17
.LBB370_1746:                           ;   in Loop: Header=BB370_1574 Depth=1
	s_delay_alu instid0(SALU_CYCLE_1) | instskip(SKIP_2) | instid1(VALU_DEP_1)
	s_or_b32 exec_lo, exec_lo, s16
	v_lshrrev_b16 v8, 8, v22
	s_mov_b32 s16, exec_lo
	v_cmpx_ne_u16_e32 0, v8
	s_cbranch_execz .LBB370_1754
; %bb.1747:                             ;   in Loop: Header=BB370_1574 Depth=1
	v_bfrev_b32_e32 v7, 1
	s_mov_b32 s17, exec_lo
	v_cmpx_ne_u16_e32 0x80, v8
	s_cbranch_execz .LBB370_1753
; %bb.1748:                             ;   in Loop: Header=BB370_1574 Depth=1
	v_and_b32_e32 v9, 0xffff, v8
	v_mov_b32_e32 v7, 0x7f800001
	s_mov_b32 s18, exec_lo
	s_delay_alu instid0(VALU_DEP_2) | instskip(NEXT) | instid1(VALU_DEP_1)
	v_and_b32_e32 v8, 0x7f, v9
	v_cmpx_ne_u32_e32 0x7f, v8
	s_cbranch_execz .LBB370_1752
; %bb.1749:                             ;   in Loop: Header=BB370_1574 Depth=1
	v_dual_mov_b32 v53, v23 :: v_dual_bitop2_b32 v52, 7, v9 bitop3:0x40
	v_lshrrev_b32_e32 v7, 3, v8
	s_mov_b32 s19, exec_lo
	v_cmpx_gt_u32_e32 8, v8
; %bb.1750:                             ;   in Loop: Header=BB370_1574 Depth=1
	s_delay_alu instid0(VALU_DEP_3) | instskip(NEXT) | instid1(VALU_DEP_1)
	v_clz_i32_u32_e32 v7, v52
	v_min_u32_e32 v7, 32, v7
	s_delay_alu instid0(VALU_DEP_1) | instskip(NEXT) | instid1(VALU_DEP_1)
	v_subrev_nc_u32_e32 v8, 28, v7
	v_lshlrev_b64_e32 v[8:9], v8, v[52:53]
	s_delay_alu instid0(VALU_DEP_1)
	v_dual_sub_nc_u32 v7, 29, v7 :: v_dual_bitop2_b32 v52, 7, v8 bitop3:0x40
; %bb.1751:                             ;   in Loop: Header=BB370_1574 Depth=1
	s_or_b32 exec_lo, exec_lo, s19
	s_delay_alu instid0(VALU_DEP_1) | instskip(NEXT) | instid1(VALU_DEP_2)
	v_dual_lshlrev_b32 v8, 16, v22 :: v_dual_lshlrev_b32 v9, 20, v52
	v_lshl_add_u32 v7, v7, 23, 0x3c000000
	s_delay_alu instid0(VALU_DEP_2) | instskip(NEXT) | instid1(VALU_DEP_1)
	v_and_b32_e32 v8, 0x80000000, v8
	v_or3_b32 v7, v9, v8, v7
.LBB370_1752:                           ;   in Loop: Header=BB370_1574 Depth=1
	s_or_b32 exec_lo, exec_lo, s18
.LBB370_1753:                           ;   in Loop: Header=BB370_1574 Depth=1
	s_delay_alu instid0(SALU_CYCLE_1)
	s_or_b32 exec_lo, exec_lo, s17
.LBB370_1754:                           ;   in Loop: Header=BB370_1574 Depth=1
	s_delay_alu instid0(SALU_CYCLE_1) | instskip(SKIP_3) | instid1(VALU_DEP_2)
	s_or_b32 exec_lo, exec_lo, s16
	v_dual_lshrrev_b32 v10, 16, v19 :: v_dual_mov_b32 v8, 0
	v_mov_b32_e32 v9, 0
	s_mov_b32 s16, exec_lo
	v_and_b32_e32 v11, 0xff, v10
	s_delay_alu instid0(VALU_DEP_1)
	v_cmpx_ne_u16_e32 0, v11
	s_cbranch_execz .LBB370_1762
; %bb.1755:                             ;   in Loop: Header=BB370_1574 Depth=1
	v_bfrev_b32_e32 v9, 1
	s_mov_b32 s17, exec_lo
	v_cmpx_ne_u16_e32 0x80, v11
	s_cbranch_execz .LBB370_1761
; %bb.1756:                             ;   in Loop: Header=BB370_1574 Depth=1
	v_bfe_u32 v11, v19, 16, 7
	v_mov_b32_e32 v9, 0x7f800001
	s_mov_b32 s18, exec_lo
	s_delay_alu instid0(VALU_DEP_2)
	v_cmpx_ne_u32_e32 0x7f, v11
	s_cbranch_execz .LBB370_1760
; %bb.1757:                             ;   in Loop: Header=BB370_1574 Depth=1
	v_dual_lshrrev_b32 v9, 3, v11 :: v_dual_bitop2_b32 v22, 7, v10 bitop3:0x40
	s_mov_b32 s19, exec_lo
	s_delay_alu instid0(VALU_DEP_1)
	v_mov_b64_e32 v[52:53], v[22:23]
	v_cmpx_gt_u32_e32 8, v11
; %bb.1758:                             ;   in Loop: Header=BB370_1574 Depth=1
	v_clz_i32_u32_e32 v9, v22
	s_delay_alu instid0(VALU_DEP_1) | instskip(NEXT) | instid1(VALU_DEP_1)
	v_min_u32_e32 v9, 32, v9
	v_subrev_nc_u32_e32 v11, 28, v9
	s_delay_alu instid0(VALU_DEP_1) | instskip(NEXT) | instid1(VALU_DEP_1)
	v_lshlrev_b64_e32 v[48:49], v11, v[22:23]
	v_dual_sub_nc_u32 v9, 29, v9 :: v_dual_bitop2_b32 v52, 7, v48 bitop3:0x40
; %bb.1759:                             ;   in Loop: Header=BB370_1574 Depth=1
	s_or_b32 exec_lo, exec_lo, s19
	s_delay_alu instid0(VALU_DEP_1) | instskip(NEXT) | instid1(VALU_DEP_2)
	v_dual_lshlrev_b32 v10, 24, v10 :: v_dual_lshlrev_b32 v11, 20, v52
	v_lshl_add_u32 v9, v9, 23, 0x3c000000
	s_delay_alu instid0(VALU_DEP_2) | instskip(NEXT) | instid1(VALU_DEP_1)
	v_and_b32_e32 v10, 0x80000000, v10
	v_or3_b32 v9, v11, v10, v9
.LBB370_1760:                           ;   in Loop: Header=BB370_1574 Depth=1
	s_or_b32 exec_lo, exec_lo, s18
.LBB370_1761:                           ;   in Loop: Header=BB370_1574 Depth=1
	s_delay_alu instid0(SALU_CYCLE_1)
	s_or_b32 exec_lo, exec_lo, s17
.LBB370_1762:                           ;   in Loop: Header=BB370_1574 Depth=1
	s_delay_alu instid0(SALU_CYCLE_1) | instskip(NEXT) | instid1(SALU_CYCLE_1)
	s_or_b32 exec_lo, exec_lo, s16
	s_mov_b32 s16, exec_lo
	v_cmpx_lt_u64_e64 s[2:3], v[18:19]
	s_cbranch_execz .LBB370_1770
; %bb.1763:                             ;   in Loop: Header=BB370_1574 Depth=1
	v_lshrrev_b32_e32 v10, 24, v19
	v_bfrev_b32_e32 v8, 1
	s_mov_b32 s17, exec_lo
	s_delay_alu instid0(VALU_DEP_2)
	v_cmpx_ne_u32_e32 0x80, v10
	s_cbranch_execz .LBB370_1769
; %bb.1764:                             ;   in Loop: Header=BB370_1574 Depth=1
	v_bfe_u32 v11, v19, 24, 7
	v_mov_b32_e32 v8, 0x7f800001
	s_mov_b32 s18, exec_lo
	s_delay_alu instid0(VALU_DEP_2)
	v_cmpx_ne_u32_e32 0x7f, v11
	s_cbranch_execz .LBB370_1768
; %bb.1765:                             ;   in Loop: Header=BB370_1574 Depth=1
	v_dual_lshrrev_b32 v8, 3, v11 :: v_dual_bitop2_b32 v22, 7, v10 bitop3:0x40
	s_mov_b32 s19, exec_lo
	s_delay_alu instid0(VALU_DEP_1)
	v_mov_b64_e32 v[18:19], v[22:23]
	v_cmpx_gt_u32_e32 8, v11
; %bb.1766:                             ;   in Loop: Header=BB370_1574 Depth=1
	v_clz_i32_u32_e32 v8, v22
	s_delay_alu instid0(VALU_DEP_1) | instskip(NEXT) | instid1(VALU_DEP_1)
	v_min_u32_e32 v8, 32, v8
	v_subrev_nc_u32_e32 v11, 28, v8
	s_delay_alu instid0(VALU_DEP_1) | instskip(NEXT) | instid1(VALU_DEP_1)
	v_lshlrev_b64_e32 v[18:19], v11, v[22:23]
	v_dual_sub_nc_u32 v8, 29, v8 :: v_dual_bitop2_b32 v18, 7, v18 bitop3:0x40
; %bb.1767:                             ;   in Loop: Header=BB370_1574 Depth=1
	s_or_b32 exec_lo, exec_lo, s19
	v_lshlrev_b32_e32 v10, 24, v10
	s_delay_alu instid0(VALU_DEP_2) | instskip(NEXT) | instid1(VALU_DEP_3)
	v_lshlrev_b32_e32 v11, 20, v18
	v_lshl_add_u32 v8, v8, 23, 0x3c000000
	s_delay_alu instid0(VALU_DEP_3) | instskip(NEXT) | instid1(VALU_DEP_1)
	v_and_b32_e32 v10, 0x80000000, v10
	v_or3_b32 v8, v11, v10, v8
.LBB370_1768:                           ;   in Loop: Header=BB370_1574 Depth=1
	s_or_b32 exec_lo, exec_lo, s18
.LBB370_1769:                           ;   in Loop: Header=BB370_1574 Depth=1
	s_delay_alu instid0(SALU_CYCLE_1)
	s_or_b32 exec_lo, exec_lo, s17
.LBB370_1770:                           ;   in Loop: Header=BB370_1574 Depth=1
	s_delay_alu instid0(SALU_CYCLE_1)
	s_or_b32 exec_lo, exec_lo, s16
	v_fma_mixlo_bf16 v2, v64, v2, 0
	v_fma_mixlo_bf16 v7, v64, v7, 0
	;; [unrolled: 1-line block ×5, first 2 shown]
	scratch_store_b32 off, v2, s32 offset:376 ; 4-byte Folded Spill
	s_wait_xcnt 0x0
	v_fma_mixlo_bf16 v2, v64, v9, 0
	s_clause 0x1
	scratch_store_b32 off, v7, s32 offset:320
	scratch_store_b32 off, v6, s32 offset:328
	v_fma_mixlo_bf16 v3, v64, v3, 0
	s_clause 0x1
	scratch_store_b32 off, v5, s32 offset:352
	scratch_store_b32 off, v2, s32 offset:336
	s_wait_xcnt 0x0
	v_fma_mixlo_bf16 v2, v64, v8, 0
	s_clause 0x2
	scratch_store_b32 off, v4, s32 offset:360
	scratch_store_b32 off, v3, s32 offset:368
	scratch_store_b32 off, v2, s32 offset:344
	s_wait_xcnt 0x0
	s_and_saveexec_b32 s16, vcc_lo
	s_cbranch_execz .LBB370_1772
; %bb.1771:                             ;   in Loop: Header=BB370_1574 Depth=1
	scratch_load_b32 v2, off, s32 offset:376 ; 4-byte Folded Reload
	v_cmp_lt_i32_e64 s0, v113, v88
	s_wait_loadcnt 0x0
	s_delay_alu instid0(VALU_DEP_1)
	v_cndmask_b32_e64 v2, 0, v2, s0
	v_cmp_lt_i32_e64 s0, v56, v88
	s_clause 0x1
	scratch_store_b32 off, v2, s32 offset:376
	scratch_load_b32 v2, off, s32 offset:368
	s_wait_loadcnt 0x0
	v_cndmask_b32_e64 v2, 0, v2, s0
	v_cmp_lt_i32_e64 s0, v47, v88
	s_clause 0x1
	scratch_store_b32 off, v2, s32 offset:368
	scratch_load_b32 v2, off, s32 offset:360
	s_wait_loadcnt 0x0
	;; [unrolled: 6-line block ×7, first 2 shown]
	v_cndmask_b32_e64 v2, 0, v2, s0
	scratch_store_b32 off, v2, s32 offset:344 ; 4-byte Folded Spill
.LBB370_1772:                           ;   in Loop: Header=BB370_1574 Depth=1
	s_wait_xcnt 0x0
	s_or_b32 exec_lo, exec_lo, s16
	flat_load_b64 v[18:19], v[0:1] offset:768
	v_dual_mov_b32 v3, 0 :: v_dual_mov_b32 v2, 0
	s_mov_b32 s16, exec_lo
	s_wait_loadcnt_dscnt 0x0
	v_and_b32_e32 v4, 0xff, v18
	s_wait_xcnt 0x0
	s_delay_alu instid0(VALU_DEP_1)
	v_cmpx_ne_u16_e32 0, v4
	s_cbranch_execz .LBB370_1780
; %bb.1773:                             ;   in Loop: Header=BB370_1574 Depth=1
	v_bfrev_b32_e32 v2, 1
	s_mov_b32 s17, exec_lo
	v_cmpx_ne_u16_e32 0x80, v4
	s_cbranch_execz .LBB370_1779
; %bb.1774:                             ;   in Loop: Header=BB370_1574 Depth=1
	v_and_b32_e32 v4, 0x7f, v18
	v_mov_b32_e32 v2, 0x7f800001
	s_mov_b32 s18, exec_lo
	s_delay_alu instid0(VALU_DEP_2)
	v_cmpx_ne_u32_e32 0x7f, v4
	s_cbranch_execz .LBB370_1778
; %bb.1775:                             ;   in Loop: Header=BB370_1574 Depth=1
	v_mov_b64_e32 v[52:53], v[18:19]
	v_lshrrev_b32_e32 v2, 3, v4
	s_mov_b32 s19, exec_lo
	v_cmpx_gt_u32_e32 8, v4
; %bb.1776:                             ;   in Loop: Header=BB370_1574 Depth=1
	v_and_b32_e32 v2, 7, v18
	s_delay_alu instid0(VALU_DEP_1) | instskip(NEXT) | instid1(VALU_DEP_1)
	v_clz_i32_u32_e32 v2, v2
	v_min_u32_e32 v2, 32, v2
	s_delay_alu instid0(VALU_DEP_1) | instskip(SKIP_1) | instid1(VALU_DEP_2)
	v_subrev_nc_u32_e32 v4, 28, v2
	v_sub_nc_u32_e32 v2, 29, v2
	v_lshlrev_b64_e32 v[52:53], v4, v[18:19]
; %bb.1777:                             ;   in Loop: Header=BB370_1574 Depth=1
	s_or_b32 exec_lo, exec_lo, s19
	s_delay_alu instid0(VALU_DEP_1) | instskip(NEXT) | instid1(VALU_DEP_3)
	v_dual_lshlrev_b32 v4, 20, v52 :: v_dual_lshlrev_b32 v5, 24, v18
	v_lshl_add_u32 v2, v2, 23, 0x3c000000
	s_delay_alu instid0(VALU_DEP_2) | instskip(NEXT) | instid1(VALU_DEP_3)
	v_and_b32_e32 v4, 0x700000, v4
	v_and_b32_e32 v5, 0x80000000, v5
	s_delay_alu instid0(VALU_DEP_1)
	v_or3_b32 v2, v4, v5, v2
.LBB370_1778:                           ;   in Loop: Header=BB370_1574 Depth=1
	s_or_b32 exec_lo, exec_lo, s18
.LBB370_1779:                           ;   in Loop: Header=BB370_1574 Depth=1
	s_delay_alu instid0(SALU_CYCLE_1)
	s_or_b32 exec_lo, exec_lo, s17
.LBB370_1780:                           ;   in Loop: Header=BB370_1574 Depth=1
	s_delay_alu instid0(SALU_CYCLE_1) | instskip(SKIP_2) | instid1(VALU_DEP_1)
	s_or_b32 exec_lo, exec_lo, s16
	v_lshrrev_b16 v4, 8, v18
	s_mov_b32 s16, exec_lo
	v_cmpx_ne_u16_e32 0, v4
	s_cbranch_execz .LBB370_1788
; %bb.1781:                             ;   in Loop: Header=BB370_1574 Depth=1
	v_bfrev_b32_e32 v3, 1
	s_mov_b32 s17, exec_lo
	v_cmpx_ne_u16_e32 0x80, v4
	s_cbranch_execz .LBB370_1787
; %bb.1782:                             ;   in Loop: Header=BB370_1574 Depth=1
	v_and_b32_e32 v5, 0xffff, v4
	v_mov_b32_e32 v3, 0x7f800001
	s_mov_b32 s18, exec_lo
	s_delay_alu instid0(VALU_DEP_2) | instskip(NEXT) | instid1(VALU_DEP_1)
	v_and_b32_e32 v4, 0x7f, v5
	v_cmpx_ne_u32_e32 0x7f, v4
	s_cbranch_execz .LBB370_1786
; %bb.1783:                             ;   in Loop: Header=BB370_1574 Depth=1
	v_dual_lshrrev_b32 v3, 3, v4 :: v_dual_bitop2_b32 v22, 7, v5 bitop3:0x40
	s_mov_b32 s19, exec_lo
	s_delay_alu instid0(VALU_DEP_1)
	v_mov_b64_e32 v[52:53], v[22:23]
	v_cmpx_gt_u32_e32 8, v4
; %bb.1784:                             ;   in Loop: Header=BB370_1574 Depth=1
	v_clz_i32_u32_e32 v3, v22
	s_delay_alu instid0(VALU_DEP_1) | instskip(NEXT) | instid1(VALU_DEP_1)
	v_min_u32_e32 v3, 32, v3
	v_subrev_nc_u32_e32 v4, 28, v3
	s_delay_alu instid0(VALU_DEP_1) | instskip(NEXT) | instid1(VALU_DEP_1)
	v_lshlrev_b64_e32 v[4:5], v4, v[22:23]
	v_dual_sub_nc_u32 v3, 29, v3 :: v_dual_bitop2_b32 v52, 7, v4 bitop3:0x40
; %bb.1785:                             ;   in Loop: Header=BB370_1574 Depth=1
	s_or_b32 exec_lo, exec_lo, s19
	s_delay_alu instid0(VALU_DEP_1) | instskip(NEXT) | instid1(VALU_DEP_2)
	v_dual_lshlrev_b32 v4, 16, v18 :: v_dual_lshlrev_b32 v5, 20, v52
	v_lshl_add_u32 v3, v3, 23, 0x3c000000
	s_delay_alu instid0(VALU_DEP_2) | instskip(NEXT) | instid1(VALU_DEP_1)
	v_and_b32_e32 v4, 0x80000000, v4
	v_or3_b32 v3, v5, v4, v3
.LBB370_1786:                           ;   in Loop: Header=BB370_1574 Depth=1
	s_or_b32 exec_lo, exec_lo, s18
.LBB370_1787:                           ;   in Loop: Header=BB370_1574 Depth=1
	s_delay_alu instid0(SALU_CYCLE_1)
	s_or_b32 exec_lo, exec_lo, s17
.LBB370_1788:                           ;   in Loop: Header=BB370_1574 Depth=1
	s_delay_alu instid0(SALU_CYCLE_1) | instskip(SKIP_3) | instid1(VALU_DEP_2)
	s_or_b32 exec_lo, exec_lo, s16
	v_dual_mov_b32 v5, 0 :: v_dual_lshrrev_b32 v6, 16, v18
	v_mov_b32_e32 v4, 0
	s_mov_b32 s16, exec_lo
	v_and_b32_e32 v7, 0xff, v6
	s_delay_alu instid0(VALU_DEP_1)
	v_cmpx_ne_u16_e32 0, v7
	s_cbranch_execz .LBB370_1796
; %bb.1789:                             ;   in Loop: Header=BB370_1574 Depth=1
	v_bfrev_b32_e32 v4, 1
	s_mov_b32 s17, exec_lo
	v_cmpx_ne_u16_e32 0x80, v7
	s_cbranch_execz .LBB370_1795
; %bb.1790:                             ;   in Loop: Header=BB370_1574 Depth=1
	v_bfe_u32 v7, v18, 16, 7
	v_mov_b32_e32 v4, 0x7f800001
	s_mov_b32 s18, exec_lo
	s_delay_alu instid0(VALU_DEP_2)
	v_cmpx_ne_u32_e32 0x7f, v7
	s_cbranch_execz .LBB370_1794
; %bb.1791:                             ;   in Loop: Header=BB370_1574 Depth=1
	v_dual_lshrrev_b32 v4, 3, v7 :: v_dual_bitop2_b32 v22, 7, v6 bitop3:0x40
	s_mov_b32 s19, exec_lo
	s_delay_alu instid0(VALU_DEP_1)
	v_mov_b64_e32 v[52:53], v[22:23]
	v_cmpx_gt_u32_e32 8, v7
; %bb.1792:                             ;   in Loop: Header=BB370_1574 Depth=1
	v_clz_i32_u32_e32 v4, v22
	s_delay_alu instid0(VALU_DEP_1) | instskip(NEXT) | instid1(VALU_DEP_1)
	v_min_u32_e32 v4, 32, v4
	v_subrev_nc_u32_e32 v7, 28, v4
	v_sub_nc_u32_e32 v4, 29, v4
	s_delay_alu instid0(VALU_DEP_2) | instskip(NEXT) | instid1(VALU_DEP_1)
	v_lshlrev_b64_e32 v[8:9], v7, v[22:23]
	v_and_b32_e32 v52, 7, v8
; %bb.1793:                             ;   in Loop: Header=BB370_1574 Depth=1
	s_or_b32 exec_lo, exec_lo, s19
	s_delay_alu instid0(VALU_DEP_1) | instskip(SKIP_1) | instid1(VALU_DEP_2)
	v_dual_lshlrev_b32 v6, 24, v6 :: v_dual_lshlrev_b32 v7, 20, v52
	v_lshl_add_u32 v4, v4, 23, 0x3c000000
	v_and_b32_e32 v6, 0x80000000, v6
	s_delay_alu instid0(VALU_DEP_1)
	v_or3_b32 v4, v7, v6, v4
.LBB370_1794:                           ;   in Loop: Header=BB370_1574 Depth=1
	s_or_b32 exec_lo, exec_lo, s18
.LBB370_1795:                           ;   in Loop: Header=BB370_1574 Depth=1
	s_delay_alu instid0(SALU_CYCLE_1)
	s_or_b32 exec_lo, exec_lo, s17
.LBB370_1796:                           ;   in Loop: Header=BB370_1574 Depth=1
	s_delay_alu instid0(SALU_CYCLE_1) | instskip(NEXT) | instid1(SALU_CYCLE_1)
	s_or_b32 exec_lo, exec_lo, s16
	s_mov_b32 s16, exec_lo
	v_cmpx_lt_u32_e32 0xffffff, v18
	s_cbranch_execz .LBB370_1804
; %bb.1797:                             ;   in Loop: Header=BB370_1574 Depth=1
	v_lshrrev_b32_e32 v6, 24, v18
	v_bfrev_b32_e32 v5, 1
	s_mov_b32 s17, exec_lo
	s_delay_alu instid0(VALU_DEP_2)
	v_cmpx_ne_u32_e32 0x80, v6
	s_cbranch_execz .LBB370_1803
; %bb.1798:                             ;   in Loop: Header=BB370_1574 Depth=1
	v_bfe_u32 v7, v18, 24, 7
	v_mov_b32_e32 v5, 0x7f800001
	s_mov_b32 s18, exec_lo
	s_delay_alu instid0(VALU_DEP_2)
	v_cmpx_ne_u32_e32 0x7f, v7
	s_cbranch_execz .LBB370_1802
; %bb.1799:                             ;   in Loop: Header=BB370_1574 Depth=1
	v_dual_lshrrev_b32 v5, 3, v7 :: v_dual_bitop2_b32 v22, 7, v6 bitop3:0x40
	s_mov_b32 s19, exec_lo
	s_delay_alu instid0(VALU_DEP_1)
	v_mov_b64_e32 v[52:53], v[22:23]
	v_cmpx_gt_u32_e32 8, v7
; %bb.1800:                             ;   in Loop: Header=BB370_1574 Depth=1
	v_clz_i32_u32_e32 v5, v22
	s_delay_alu instid0(VALU_DEP_1) | instskip(NEXT) | instid1(VALU_DEP_1)
	v_min_u32_e32 v5, 32, v5
	v_subrev_nc_u32_e32 v7, 28, v5
	s_delay_alu instid0(VALU_DEP_1) | instskip(NEXT) | instid1(VALU_DEP_1)
	v_lshlrev_b64_e32 v[8:9], v7, v[22:23]
	v_dual_sub_nc_u32 v5, 29, v5 :: v_dual_bitop2_b32 v52, 7, v8 bitop3:0x40
; %bb.1801:                             ;   in Loop: Header=BB370_1574 Depth=1
	s_or_b32 exec_lo, exec_lo, s19
	s_delay_alu instid0(VALU_DEP_1) | instskip(NEXT) | instid1(VALU_DEP_2)
	v_dual_lshlrev_b32 v6, 24, v6 :: v_dual_lshlrev_b32 v7, 20, v52
	v_lshl_add_u32 v5, v5, 23, 0x3c000000
	s_delay_alu instid0(VALU_DEP_2) | instskip(NEXT) | instid1(VALU_DEP_1)
	v_and_b32_e32 v6, 0x80000000, v6
	v_or3_b32 v5, v7, v6, v5
.LBB370_1802:                           ;   in Loop: Header=BB370_1574 Depth=1
	s_or_b32 exec_lo, exec_lo, s18
.LBB370_1803:                           ;   in Loop: Header=BB370_1574 Depth=1
	s_delay_alu instid0(SALU_CYCLE_1)
	s_or_b32 exec_lo, exec_lo, s17
.LBB370_1804:                           ;   in Loop: Header=BB370_1574 Depth=1
	s_delay_alu instid0(SALU_CYCLE_1) | instskip(SKIP_4) | instid1(VALU_DEP_3)
	s_or_b32 exec_lo, exec_lo, s16
	v_and_b32_e32 v8, 0xff, v19
	v_dual_mov_b32 v22, v19 :: v_dual_mov_b32 v7, 0
	v_mov_b32_e32 v6, 0
	s_mov_b32 s16, exec_lo
	v_cmpx_ne_u16_e32 0, v8
	s_cbranch_execz .LBB370_1812
; %bb.1805:                             ;   in Loop: Header=BB370_1574 Depth=1
	v_bfrev_b32_e32 v6, 1
	s_mov_b32 s17, exec_lo
	v_cmpx_ne_u16_e32 0x80, v8
	s_cbranch_execz .LBB370_1811
; %bb.1806:                             ;   in Loop: Header=BB370_1574 Depth=1
	v_and_b32_e32 v8, 0x7f, v19
	v_mov_b32_e32 v6, 0x7f800001
	s_mov_b32 s18, exec_lo
	s_delay_alu instid0(VALU_DEP_2)
	v_cmpx_ne_u32_e32 0x7f, v8
	s_cbranch_execz .LBB370_1810
; %bb.1807:                             ;   in Loop: Header=BB370_1574 Depth=1
	v_mov_b64_e32 v[52:53], v[22:23]
	v_lshrrev_b32_e32 v6, 3, v8
	s_mov_b32 s19, exec_lo
	v_cmpx_gt_u32_e32 8, v8
; %bb.1808:                             ;   in Loop: Header=BB370_1574 Depth=1
	v_and_b32_e32 v6, 7, v19
	s_delay_alu instid0(VALU_DEP_1) | instskip(NEXT) | instid1(VALU_DEP_1)
	v_clz_i32_u32_e32 v6, v6
	v_min_u32_e32 v6, 32, v6
	s_delay_alu instid0(VALU_DEP_1) | instskip(SKIP_1) | instid1(VALU_DEP_2)
	v_subrev_nc_u32_e32 v8, 28, v6
	v_sub_nc_u32_e32 v6, 29, v6
	v_lshlrev_b64_e32 v[52:53], v8, v[22:23]
; %bb.1809:                             ;   in Loop: Header=BB370_1574 Depth=1
	s_or_b32 exec_lo, exec_lo, s19
	s_delay_alu instid0(VALU_DEP_1) | instskip(NEXT) | instid1(VALU_DEP_3)
	v_dual_lshlrev_b32 v8, 20, v52 :: v_dual_lshlrev_b32 v9, 24, v22
	v_lshl_add_u32 v6, v6, 23, 0x3c000000
	s_delay_alu instid0(VALU_DEP_2) | instskip(NEXT) | instid1(VALU_DEP_3)
	v_and_b32_e32 v8, 0x700000, v8
	v_and_b32_e32 v9, 0x80000000, v9
	s_delay_alu instid0(VALU_DEP_1)
	v_or3_b32 v6, v8, v9, v6
.LBB370_1810:                           ;   in Loop: Header=BB370_1574 Depth=1
	s_or_b32 exec_lo, exec_lo, s18
.LBB370_1811:                           ;   in Loop: Header=BB370_1574 Depth=1
	s_delay_alu instid0(SALU_CYCLE_1)
	s_or_b32 exec_lo, exec_lo, s17
.LBB370_1812:                           ;   in Loop: Header=BB370_1574 Depth=1
	s_delay_alu instid0(SALU_CYCLE_1) | instskip(SKIP_2) | instid1(VALU_DEP_1)
	s_or_b32 exec_lo, exec_lo, s16
	v_lshrrev_b16 v8, 8, v22
	s_mov_b32 s16, exec_lo
	v_cmpx_ne_u16_e32 0, v8
	s_cbranch_execz .LBB370_1820
; %bb.1813:                             ;   in Loop: Header=BB370_1574 Depth=1
	v_bfrev_b32_e32 v7, 1
	s_mov_b32 s17, exec_lo
	v_cmpx_ne_u16_e32 0x80, v8
	s_cbranch_execz .LBB370_1819
; %bb.1814:                             ;   in Loop: Header=BB370_1574 Depth=1
	v_and_b32_e32 v9, 0xffff, v8
	v_mov_b32_e32 v7, 0x7f800001
	s_mov_b32 s18, exec_lo
	s_delay_alu instid0(VALU_DEP_2) | instskip(NEXT) | instid1(VALU_DEP_1)
	v_and_b32_e32 v8, 0x7f, v9
	v_cmpx_ne_u32_e32 0x7f, v8
	s_cbranch_execz .LBB370_1818
; %bb.1815:                             ;   in Loop: Header=BB370_1574 Depth=1
	v_dual_mov_b32 v53, v23 :: v_dual_bitop2_b32 v52, 7, v9 bitop3:0x40
	v_lshrrev_b32_e32 v7, 3, v8
	s_mov_b32 s19, exec_lo
	v_cmpx_gt_u32_e32 8, v8
; %bb.1816:                             ;   in Loop: Header=BB370_1574 Depth=1
	s_delay_alu instid0(VALU_DEP_3) | instskip(NEXT) | instid1(VALU_DEP_1)
	v_clz_i32_u32_e32 v7, v52
	v_min_u32_e32 v7, 32, v7
	s_delay_alu instid0(VALU_DEP_1) | instskip(NEXT) | instid1(VALU_DEP_1)
	v_subrev_nc_u32_e32 v8, 28, v7
	v_lshlrev_b64_e32 v[8:9], v8, v[52:53]
	s_delay_alu instid0(VALU_DEP_1)
	v_dual_sub_nc_u32 v7, 29, v7 :: v_dual_bitop2_b32 v52, 7, v8 bitop3:0x40
; %bb.1817:                             ;   in Loop: Header=BB370_1574 Depth=1
	s_or_b32 exec_lo, exec_lo, s19
	s_delay_alu instid0(VALU_DEP_1) | instskip(NEXT) | instid1(VALU_DEP_2)
	v_dual_lshlrev_b32 v8, 16, v22 :: v_dual_lshlrev_b32 v9, 20, v52
	v_lshl_add_u32 v7, v7, 23, 0x3c000000
	s_delay_alu instid0(VALU_DEP_2) | instskip(NEXT) | instid1(VALU_DEP_1)
	v_and_b32_e32 v8, 0x80000000, v8
	v_or3_b32 v7, v9, v8, v7
.LBB370_1818:                           ;   in Loop: Header=BB370_1574 Depth=1
	s_or_b32 exec_lo, exec_lo, s18
.LBB370_1819:                           ;   in Loop: Header=BB370_1574 Depth=1
	s_delay_alu instid0(SALU_CYCLE_1)
	s_or_b32 exec_lo, exec_lo, s17
.LBB370_1820:                           ;   in Loop: Header=BB370_1574 Depth=1
	s_delay_alu instid0(SALU_CYCLE_1) | instskip(SKIP_3) | instid1(VALU_DEP_2)
	s_or_b32 exec_lo, exec_lo, s16
	v_dual_lshrrev_b32 v10, 16, v19 :: v_dual_mov_b32 v8, 0
	v_mov_b32_e32 v9, 0
	s_mov_b32 s16, exec_lo
	v_and_b32_e32 v11, 0xff, v10
	s_delay_alu instid0(VALU_DEP_1)
	v_cmpx_ne_u16_e32 0, v11
	s_cbranch_execz .LBB370_1828
; %bb.1821:                             ;   in Loop: Header=BB370_1574 Depth=1
	v_bfrev_b32_e32 v9, 1
	s_mov_b32 s17, exec_lo
	v_cmpx_ne_u16_e32 0x80, v11
	s_cbranch_execz .LBB370_1827
; %bb.1822:                             ;   in Loop: Header=BB370_1574 Depth=1
	v_bfe_u32 v11, v19, 16, 7
	v_mov_b32_e32 v9, 0x7f800001
	s_mov_b32 s18, exec_lo
	s_delay_alu instid0(VALU_DEP_2)
	v_cmpx_ne_u32_e32 0x7f, v11
	s_cbranch_execz .LBB370_1826
; %bb.1823:                             ;   in Loop: Header=BB370_1574 Depth=1
	v_dual_lshrrev_b32 v9, 3, v11 :: v_dual_bitop2_b32 v22, 7, v10 bitop3:0x40
	s_mov_b32 s19, exec_lo
	s_delay_alu instid0(VALU_DEP_1)
	v_mov_b64_e32 v[52:53], v[22:23]
	v_cmpx_gt_u32_e32 8, v11
; %bb.1824:                             ;   in Loop: Header=BB370_1574 Depth=1
	v_clz_i32_u32_e32 v9, v22
	s_delay_alu instid0(VALU_DEP_1) | instskip(NEXT) | instid1(VALU_DEP_1)
	v_min_u32_e32 v9, 32, v9
	v_subrev_nc_u32_e32 v11, 28, v9
	s_delay_alu instid0(VALU_DEP_1) | instskip(NEXT) | instid1(VALU_DEP_1)
	v_lshlrev_b64_e32 v[48:49], v11, v[22:23]
	v_dual_sub_nc_u32 v9, 29, v9 :: v_dual_bitop2_b32 v52, 7, v48 bitop3:0x40
; %bb.1825:                             ;   in Loop: Header=BB370_1574 Depth=1
	s_or_b32 exec_lo, exec_lo, s19
	s_delay_alu instid0(VALU_DEP_1) | instskip(NEXT) | instid1(VALU_DEP_2)
	v_dual_lshlrev_b32 v10, 24, v10 :: v_dual_lshlrev_b32 v11, 20, v52
	v_lshl_add_u32 v9, v9, 23, 0x3c000000
	s_delay_alu instid0(VALU_DEP_2) | instskip(NEXT) | instid1(VALU_DEP_1)
	v_and_b32_e32 v10, 0x80000000, v10
	v_or3_b32 v9, v11, v10, v9
.LBB370_1826:                           ;   in Loop: Header=BB370_1574 Depth=1
	s_or_b32 exec_lo, exec_lo, s18
.LBB370_1827:                           ;   in Loop: Header=BB370_1574 Depth=1
	s_delay_alu instid0(SALU_CYCLE_1)
	s_or_b32 exec_lo, exec_lo, s17
.LBB370_1828:                           ;   in Loop: Header=BB370_1574 Depth=1
	s_delay_alu instid0(SALU_CYCLE_1) | instskip(NEXT) | instid1(SALU_CYCLE_1)
	s_or_b32 exec_lo, exec_lo, s16
	s_mov_b32 s16, exec_lo
	v_cmpx_lt_u64_e64 s[2:3], v[18:19]
	s_cbranch_execz .LBB370_1836
; %bb.1829:                             ;   in Loop: Header=BB370_1574 Depth=1
	v_lshrrev_b32_e32 v10, 24, v19
	v_bfrev_b32_e32 v8, 1
	s_mov_b32 s17, exec_lo
	s_delay_alu instid0(VALU_DEP_2)
	v_cmpx_ne_u32_e32 0x80, v10
	s_cbranch_execz .LBB370_1835
; %bb.1830:                             ;   in Loop: Header=BB370_1574 Depth=1
	v_bfe_u32 v11, v19, 24, 7
	v_mov_b32_e32 v8, 0x7f800001
	s_mov_b32 s18, exec_lo
	s_delay_alu instid0(VALU_DEP_2)
	v_cmpx_ne_u32_e32 0x7f, v11
	s_cbranch_execz .LBB370_1834
; %bb.1831:                             ;   in Loop: Header=BB370_1574 Depth=1
	v_dual_lshrrev_b32 v8, 3, v11 :: v_dual_bitop2_b32 v22, 7, v10 bitop3:0x40
	s_mov_b32 s19, exec_lo
	s_delay_alu instid0(VALU_DEP_1)
	v_mov_b64_e32 v[18:19], v[22:23]
	v_cmpx_gt_u32_e32 8, v11
; %bb.1832:                             ;   in Loop: Header=BB370_1574 Depth=1
	v_clz_i32_u32_e32 v8, v22
	s_delay_alu instid0(VALU_DEP_1) | instskip(NEXT) | instid1(VALU_DEP_1)
	v_min_u32_e32 v8, 32, v8
	v_subrev_nc_u32_e32 v11, 28, v8
	s_delay_alu instid0(VALU_DEP_1) | instskip(NEXT) | instid1(VALU_DEP_1)
	v_lshlrev_b64_e32 v[18:19], v11, v[22:23]
	v_dual_sub_nc_u32 v8, 29, v8 :: v_dual_bitop2_b32 v18, 7, v18 bitop3:0x40
; %bb.1833:                             ;   in Loop: Header=BB370_1574 Depth=1
	s_or_b32 exec_lo, exec_lo, s19
	v_lshlrev_b32_e32 v10, 24, v10
	s_delay_alu instid0(VALU_DEP_2) | instskip(NEXT) | instid1(VALU_DEP_3)
	v_lshlrev_b32_e32 v11, 20, v18
	v_lshl_add_u32 v8, v8, 23, 0x3c000000
	s_delay_alu instid0(VALU_DEP_3) | instskip(NEXT) | instid1(VALU_DEP_1)
	v_and_b32_e32 v10, 0x80000000, v10
	v_or3_b32 v8, v11, v10, v8
.LBB370_1834:                           ;   in Loop: Header=BB370_1574 Depth=1
	s_or_b32 exec_lo, exec_lo, s18
.LBB370_1835:                           ;   in Loop: Header=BB370_1574 Depth=1
	s_delay_alu instid0(SALU_CYCLE_1)
	s_or_b32 exec_lo, exec_lo, s17
.LBB370_1836:                           ;   in Loop: Header=BB370_1574 Depth=1
	s_delay_alu instid0(SALU_CYCLE_1)
	s_or_b32 exec_lo, exec_lo, s16
	v_fma_mixlo_bf16 v2, v64, v2, 0
	v_fma_mixlo_bf16 v7, v64, v7, 0
	v_fma_mixlo_bf16 v6, v64, v6, 0
	v_fma_mixlo_bf16 v5, v64, v5, 0
	v_fma_mixlo_bf16 v4, v64, v4, 0
	scratch_store_b32 off, v2, s32 offset:428 ; 4-byte Folded Spill
	s_wait_xcnt 0x0
	v_fma_mixlo_bf16 v2, v64, v9, 0
	s_clause 0x1
	scratch_store_b32 off, v7, s32 offset:384
	scratch_store_b32 off, v6, s32 offset:392
	v_fma_mixlo_bf16 v3, v64, v3, 0
	s_clause 0x1
	scratch_store_b32 off, v5, s32 offset:416
	scratch_store_b32 off, v2, s32 offset:400
	s_wait_xcnt 0x0
	v_fma_mixlo_bf16 v2, v64, v8, 0
	s_clause 0x2
	scratch_store_b32 off, v4, s32 offset:420
	scratch_store_b32 off, v3, s32 offset:424
	;; [unrolled: 1-line block ×3, first 2 shown]
	s_wait_xcnt 0x0
	s_and_saveexec_b32 s16, vcc_lo
	s_cbranch_execz .LBB370_1838
; %bb.1837:                             ;   in Loop: Header=BB370_1574 Depth=1
	scratch_load_b32 v2, off, s32 offset:428 ; 4-byte Folded Reload
	v_cmp_lt_i32_e64 s0, v113, v88
	s_wait_loadcnt 0x0
	s_delay_alu instid0(VALU_DEP_1)
	v_cndmask_b32_e64 v2, 0, v2, s0
	v_cmp_lt_i32_e64 s0, v56, v88
	s_clause 0x1
	scratch_store_b32 off, v2, s32 offset:428
	scratch_load_b32 v2, off, s32 offset:424
	s_wait_loadcnt 0x0
	v_cndmask_b32_e64 v2, 0, v2, s0
	v_cmp_lt_i32_e64 s0, v47, v88
	s_clause 0x1
	scratch_store_b32 off, v2, s32 offset:424
	scratch_load_b32 v2, off, s32 offset:420
	s_wait_loadcnt 0x0
	;; [unrolled: 6-line block ×7, first 2 shown]
	v_cndmask_b32_e64 v2, 0, v2, s0
	scratch_store_b32 off, v2, s32 offset:412 ; 4-byte Folded Spill
.LBB370_1838:                           ;   in Loop: Header=BB370_1574 Depth=1
	s_wait_xcnt 0x0
	s_or_b32 exec_lo, exec_lo, s16
	flat_load_b64 v[18:19], v[0:1] offset:1024
	v_dual_mov_b32 v3, 0 :: v_dual_mov_b32 v2, 0
	s_mov_b32 s16, exec_lo
	s_wait_loadcnt_dscnt 0x0
	v_and_b32_e32 v4, 0xff, v18
	s_wait_xcnt 0x0
	s_delay_alu instid0(VALU_DEP_1)
	v_cmpx_ne_u16_e32 0, v4
	s_cbranch_execz .LBB370_1846
; %bb.1839:                             ;   in Loop: Header=BB370_1574 Depth=1
	v_bfrev_b32_e32 v2, 1
	s_mov_b32 s17, exec_lo
	v_cmpx_ne_u16_e32 0x80, v4
	s_cbranch_execz .LBB370_1845
; %bb.1840:                             ;   in Loop: Header=BB370_1574 Depth=1
	v_and_b32_e32 v4, 0x7f, v18
	v_mov_b32_e32 v2, 0x7f800001
	s_mov_b32 s18, exec_lo
	s_delay_alu instid0(VALU_DEP_2)
	v_cmpx_ne_u32_e32 0x7f, v4
	s_cbranch_execz .LBB370_1844
; %bb.1841:                             ;   in Loop: Header=BB370_1574 Depth=1
	v_mov_b64_e32 v[52:53], v[18:19]
	v_lshrrev_b32_e32 v2, 3, v4
	s_mov_b32 s19, exec_lo
	v_cmpx_gt_u32_e32 8, v4
; %bb.1842:                             ;   in Loop: Header=BB370_1574 Depth=1
	v_and_b32_e32 v2, 7, v18
	s_delay_alu instid0(VALU_DEP_1) | instskip(NEXT) | instid1(VALU_DEP_1)
	v_clz_i32_u32_e32 v2, v2
	v_min_u32_e32 v2, 32, v2
	s_delay_alu instid0(VALU_DEP_1) | instskip(SKIP_1) | instid1(VALU_DEP_2)
	v_subrev_nc_u32_e32 v4, 28, v2
	v_sub_nc_u32_e32 v2, 29, v2
	v_lshlrev_b64_e32 v[52:53], v4, v[18:19]
; %bb.1843:                             ;   in Loop: Header=BB370_1574 Depth=1
	s_or_b32 exec_lo, exec_lo, s19
	s_delay_alu instid0(VALU_DEP_1) | instskip(NEXT) | instid1(VALU_DEP_3)
	v_dual_lshlrev_b32 v4, 20, v52 :: v_dual_lshlrev_b32 v5, 24, v18
	v_lshl_add_u32 v2, v2, 23, 0x3c000000
	s_delay_alu instid0(VALU_DEP_2) | instskip(NEXT) | instid1(VALU_DEP_3)
	v_and_b32_e32 v4, 0x700000, v4
	v_and_b32_e32 v5, 0x80000000, v5
	s_delay_alu instid0(VALU_DEP_1)
	v_or3_b32 v2, v4, v5, v2
.LBB370_1844:                           ;   in Loop: Header=BB370_1574 Depth=1
	s_or_b32 exec_lo, exec_lo, s18
.LBB370_1845:                           ;   in Loop: Header=BB370_1574 Depth=1
	s_delay_alu instid0(SALU_CYCLE_1)
	s_or_b32 exec_lo, exec_lo, s17
.LBB370_1846:                           ;   in Loop: Header=BB370_1574 Depth=1
	s_delay_alu instid0(SALU_CYCLE_1) | instskip(SKIP_2) | instid1(VALU_DEP_1)
	s_or_b32 exec_lo, exec_lo, s16
	v_lshrrev_b16 v4, 8, v18
	s_mov_b32 s16, exec_lo
	v_cmpx_ne_u16_e32 0, v4
	s_cbranch_execz .LBB370_1854
; %bb.1847:                             ;   in Loop: Header=BB370_1574 Depth=1
	v_bfrev_b32_e32 v3, 1
	s_mov_b32 s17, exec_lo
	v_cmpx_ne_u16_e32 0x80, v4
	s_cbranch_execz .LBB370_1853
; %bb.1848:                             ;   in Loop: Header=BB370_1574 Depth=1
	v_and_b32_e32 v5, 0xffff, v4
	v_mov_b32_e32 v3, 0x7f800001
	s_mov_b32 s18, exec_lo
	s_delay_alu instid0(VALU_DEP_2) | instskip(NEXT) | instid1(VALU_DEP_1)
	v_and_b32_e32 v4, 0x7f, v5
	v_cmpx_ne_u32_e32 0x7f, v4
	s_cbranch_execz .LBB370_1852
; %bb.1849:                             ;   in Loop: Header=BB370_1574 Depth=1
	v_dual_lshrrev_b32 v3, 3, v4 :: v_dual_bitop2_b32 v22, 7, v5 bitop3:0x40
	s_mov_b32 s19, exec_lo
	s_delay_alu instid0(VALU_DEP_1)
	v_mov_b64_e32 v[52:53], v[22:23]
	v_cmpx_gt_u32_e32 8, v4
; %bb.1850:                             ;   in Loop: Header=BB370_1574 Depth=1
	v_clz_i32_u32_e32 v3, v22
	s_delay_alu instid0(VALU_DEP_1) | instskip(NEXT) | instid1(VALU_DEP_1)
	v_min_u32_e32 v3, 32, v3
	v_subrev_nc_u32_e32 v4, 28, v3
	s_delay_alu instid0(VALU_DEP_1) | instskip(NEXT) | instid1(VALU_DEP_1)
	v_lshlrev_b64_e32 v[4:5], v4, v[22:23]
	v_dual_sub_nc_u32 v3, 29, v3 :: v_dual_bitop2_b32 v52, 7, v4 bitop3:0x40
; %bb.1851:                             ;   in Loop: Header=BB370_1574 Depth=1
	s_or_b32 exec_lo, exec_lo, s19
	s_delay_alu instid0(VALU_DEP_1) | instskip(NEXT) | instid1(VALU_DEP_2)
	v_dual_lshlrev_b32 v4, 16, v18 :: v_dual_lshlrev_b32 v5, 20, v52
	v_lshl_add_u32 v3, v3, 23, 0x3c000000
	s_delay_alu instid0(VALU_DEP_2) | instskip(NEXT) | instid1(VALU_DEP_1)
	v_and_b32_e32 v4, 0x80000000, v4
	v_or3_b32 v3, v5, v4, v3
.LBB370_1852:                           ;   in Loop: Header=BB370_1574 Depth=1
	s_or_b32 exec_lo, exec_lo, s18
.LBB370_1853:                           ;   in Loop: Header=BB370_1574 Depth=1
	s_delay_alu instid0(SALU_CYCLE_1)
	s_or_b32 exec_lo, exec_lo, s17
.LBB370_1854:                           ;   in Loop: Header=BB370_1574 Depth=1
	s_delay_alu instid0(SALU_CYCLE_1) | instskip(SKIP_3) | instid1(VALU_DEP_2)
	s_or_b32 exec_lo, exec_lo, s16
	v_dual_mov_b32 v5, 0 :: v_dual_lshrrev_b32 v6, 16, v18
	v_mov_b32_e32 v4, 0
	s_mov_b32 s16, exec_lo
	v_and_b32_e32 v7, 0xff, v6
	s_delay_alu instid0(VALU_DEP_1)
	v_cmpx_ne_u16_e32 0, v7
	s_cbranch_execz .LBB370_1862
; %bb.1855:                             ;   in Loop: Header=BB370_1574 Depth=1
	v_bfrev_b32_e32 v4, 1
	s_mov_b32 s17, exec_lo
	v_cmpx_ne_u16_e32 0x80, v7
	s_cbranch_execz .LBB370_1861
; %bb.1856:                             ;   in Loop: Header=BB370_1574 Depth=1
	v_bfe_u32 v7, v18, 16, 7
	v_mov_b32_e32 v4, 0x7f800001
	s_mov_b32 s18, exec_lo
	s_delay_alu instid0(VALU_DEP_2)
	v_cmpx_ne_u32_e32 0x7f, v7
	s_cbranch_execz .LBB370_1860
; %bb.1857:                             ;   in Loop: Header=BB370_1574 Depth=1
	v_dual_lshrrev_b32 v4, 3, v7 :: v_dual_bitop2_b32 v22, 7, v6 bitop3:0x40
	s_mov_b32 s19, exec_lo
	s_delay_alu instid0(VALU_DEP_1)
	v_mov_b64_e32 v[52:53], v[22:23]
	v_cmpx_gt_u32_e32 8, v7
; %bb.1858:                             ;   in Loop: Header=BB370_1574 Depth=1
	v_clz_i32_u32_e32 v4, v22
	s_delay_alu instid0(VALU_DEP_1) | instskip(NEXT) | instid1(VALU_DEP_1)
	v_min_u32_e32 v4, 32, v4
	v_subrev_nc_u32_e32 v7, 28, v4
	v_sub_nc_u32_e32 v4, 29, v4
	s_delay_alu instid0(VALU_DEP_2) | instskip(NEXT) | instid1(VALU_DEP_1)
	v_lshlrev_b64_e32 v[8:9], v7, v[22:23]
	v_and_b32_e32 v52, 7, v8
; %bb.1859:                             ;   in Loop: Header=BB370_1574 Depth=1
	s_or_b32 exec_lo, exec_lo, s19
	s_delay_alu instid0(VALU_DEP_1) | instskip(SKIP_1) | instid1(VALU_DEP_2)
	v_dual_lshlrev_b32 v6, 24, v6 :: v_dual_lshlrev_b32 v7, 20, v52
	v_lshl_add_u32 v4, v4, 23, 0x3c000000
	v_and_b32_e32 v6, 0x80000000, v6
	s_delay_alu instid0(VALU_DEP_1)
	v_or3_b32 v4, v7, v6, v4
.LBB370_1860:                           ;   in Loop: Header=BB370_1574 Depth=1
	s_or_b32 exec_lo, exec_lo, s18
.LBB370_1861:                           ;   in Loop: Header=BB370_1574 Depth=1
	s_delay_alu instid0(SALU_CYCLE_1)
	s_or_b32 exec_lo, exec_lo, s17
.LBB370_1862:                           ;   in Loop: Header=BB370_1574 Depth=1
	s_delay_alu instid0(SALU_CYCLE_1) | instskip(NEXT) | instid1(SALU_CYCLE_1)
	s_or_b32 exec_lo, exec_lo, s16
	s_mov_b32 s16, exec_lo
	v_cmpx_lt_u32_e32 0xffffff, v18
	s_cbranch_execz .LBB370_1870
; %bb.1863:                             ;   in Loop: Header=BB370_1574 Depth=1
	v_lshrrev_b32_e32 v6, 24, v18
	v_bfrev_b32_e32 v5, 1
	s_mov_b32 s17, exec_lo
	s_delay_alu instid0(VALU_DEP_2)
	v_cmpx_ne_u32_e32 0x80, v6
	s_cbranch_execz .LBB370_1869
; %bb.1864:                             ;   in Loop: Header=BB370_1574 Depth=1
	v_bfe_u32 v7, v18, 24, 7
	v_mov_b32_e32 v5, 0x7f800001
	s_mov_b32 s18, exec_lo
	s_delay_alu instid0(VALU_DEP_2)
	v_cmpx_ne_u32_e32 0x7f, v7
	s_cbranch_execz .LBB370_1868
; %bb.1865:                             ;   in Loop: Header=BB370_1574 Depth=1
	v_dual_lshrrev_b32 v5, 3, v7 :: v_dual_bitop2_b32 v22, 7, v6 bitop3:0x40
	s_mov_b32 s19, exec_lo
	s_delay_alu instid0(VALU_DEP_1)
	v_mov_b64_e32 v[52:53], v[22:23]
	v_cmpx_gt_u32_e32 8, v7
; %bb.1866:                             ;   in Loop: Header=BB370_1574 Depth=1
	v_clz_i32_u32_e32 v5, v22
	s_delay_alu instid0(VALU_DEP_1) | instskip(NEXT) | instid1(VALU_DEP_1)
	v_min_u32_e32 v5, 32, v5
	v_subrev_nc_u32_e32 v7, 28, v5
	s_delay_alu instid0(VALU_DEP_1) | instskip(NEXT) | instid1(VALU_DEP_1)
	v_lshlrev_b64_e32 v[8:9], v7, v[22:23]
	v_dual_sub_nc_u32 v5, 29, v5 :: v_dual_bitop2_b32 v52, 7, v8 bitop3:0x40
; %bb.1867:                             ;   in Loop: Header=BB370_1574 Depth=1
	s_or_b32 exec_lo, exec_lo, s19
	s_delay_alu instid0(VALU_DEP_1) | instskip(NEXT) | instid1(VALU_DEP_2)
	v_dual_lshlrev_b32 v6, 24, v6 :: v_dual_lshlrev_b32 v7, 20, v52
	v_lshl_add_u32 v5, v5, 23, 0x3c000000
	s_delay_alu instid0(VALU_DEP_2) | instskip(NEXT) | instid1(VALU_DEP_1)
	v_and_b32_e32 v6, 0x80000000, v6
	v_or3_b32 v5, v7, v6, v5
.LBB370_1868:                           ;   in Loop: Header=BB370_1574 Depth=1
	s_or_b32 exec_lo, exec_lo, s18
.LBB370_1869:                           ;   in Loop: Header=BB370_1574 Depth=1
	s_delay_alu instid0(SALU_CYCLE_1)
	s_or_b32 exec_lo, exec_lo, s17
.LBB370_1870:                           ;   in Loop: Header=BB370_1574 Depth=1
	s_delay_alu instid0(SALU_CYCLE_1) | instskip(SKIP_4) | instid1(VALU_DEP_3)
	s_or_b32 exec_lo, exec_lo, s16
	v_and_b32_e32 v8, 0xff, v19
	v_dual_mov_b32 v22, v19 :: v_dual_mov_b32 v7, 0
	v_mov_b32_e32 v6, 0
	s_mov_b32 s16, exec_lo
	v_cmpx_ne_u16_e32 0, v8
	s_cbranch_execz .LBB370_1878
; %bb.1871:                             ;   in Loop: Header=BB370_1574 Depth=1
	v_bfrev_b32_e32 v6, 1
	s_mov_b32 s17, exec_lo
	v_cmpx_ne_u16_e32 0x80, v8
	s_cbranch_execz .LBB370_1877
; %bb.1872:                             ;   in Loop: Header=BB370_1574 Depth=1
	v_and_b32_e32 v8, 0x7f, v19
	v_mov_b32_e32 v6, 0x7f800001
	s_mov_b32 s18, exec_lo
	s_delay_alu instid0(VALU_DEP_2)
	v_cmpx_ne_u32_e32 0x7f, v8
	s_cbranch_execz .LBB370_1876
; %bb.1873:                             ;   in Loop: Header=BB370_1574 Depth=1
	v_mov_b64_e32 v[52:53], v[22:23]
	v_lshrrev_b32_e32 v6, 3, v8
	s_mov_b32 s19, exec_lo
	v_cmpx_gt_u32_e32 8, v8
; %bb.1874:                             ;   in Loop: Header=BB370_1574 Depth=1
	v_and_b32_e32 v6, 7, v19
	s_delay_alu instid0(VALU_DEP_1) | instskip(NEXT) | instid1(VALU_DEP_1)
	v_clz_i32_u32_e32 v6, v6
	v_min_u32_e32 v6, 32, v6
	s_delay_alu instid0(VALU_DEP_1) | instskip(SKIP_1) | instid1(VALU_DEP_2)
	v_subrev_nc_u32_e32 v8, 28, v6
	v_sub_nc_u32_e32 v6, 29, v6
	v_lshlrev_b64_e32 v[52:53], v8, v[22:23]
; %bb.1875:                             ;   in Loop: Header=BB370_1574 Depth=1
	s_or_b32 exec_lo, exec_lo, s19
	s_delay_alu instid0(VALU_DEP_1) | instskip(NEXT) | instid1(VALU_DEP_3)
	v_dual_lshlrev_b32 v8, 20, v52 :: v_dual_lshlrev_b32 v9, 24, v22
	v_lshl_add_u32 v6, v6, 23, 0x3c000000
	s_delay_alu instid0(VALU_DEP_2) | instskip(NEXT) | instid1(VALU_DEP_3)
	v_and_b32_e32 v8, 0x700000, v8
	v_and_b32_e32 v9, 0x80000000, v9
	s_delay_alu instid0(VALU_DEP_1)
	v_or3_b32 v6, v8, v9, v6
.LBB370_1876:                           ;   in Loop: Header=BB370_1574 Depth=1
	s_or_b32 exec_lo, exec_lo, s18
.LBB370_1877:                           ;   in Loop: Header=BB370_1574 Depth=1
	s_delay_alu instid0(SALU_CYCLE_1)
	s_or_b32 exec_lo, exec_lo, s17
.LBB370_1878:                           ;   in Loop: Header=BB370_1574 Depth=1
	s_delay_alu instid0(SALU_CYCLE_1) | instskip(SKIP_2) | instid1(VALU_DEP_1)
	s_or_b32 exec_lo, exec_lo, s16
	v_lshrrev_b16 v8, 8, v22
	s_mov_b32 s16, exec_lo
	v_cmpx_ne_u16_e32 0, v8
	s_cbranch_execz .LBB370_1886
; %bb.1879:                             ;   in Loop: Header=BB370_1574 Depth=1
	v_bfrev_b32_e32 v7, 1
	s_mov_b32 s17, exec_lo
	v_cmpx_ne_u16_e32 0x80, v8
	s_cbranch_execz .LBB370_1885
; %bb.1880:                             ;   in Loop: Header=BB370_1574 Depth=1
	v_and_b32_e32 v9, 0xffff, v8
	v_mov_b32_e32 v7, 0x7f800001
	s_mov_b32 s18, exec_lo
	s_delay_alu instid0(VALU_DEP_2) | instskip(NEXT) | instid1(VALU_DEP_1)
	v_and_b32_e32 v8, 0x7f, v9
	v_cmpx_ne_u32_e32 0x7f, v8
	s_cbranch_execz .LBB370_1884
; %bb.1881:                             ;   in Loop: Header=BB370_1574 Depth=1
	v_dual_mov_b32 v53, v23 :: v_dual_bitop2_b32 v52, 7, v9 bitop3:0x40
	v_lshrrev_b32_e32 v7, 3, v8
	s_mov_b32 s19, exec_lo
	v_cmpx_gt_u32_e32 8, v8
; %bb.1882:                             ;   in Loop: Header=BB370_1574 Depth=1
	s_delay_alu instid0(VALU_DEP_3) | instskip(NEXT) | instid1(VALU_DEP_1)
	v_clz_i32_u32_e32 v7, v52
	v_min_u32_e32 v7, 32, v7
	s_delay_alu instid0(VALU_DEP_1) | instskip(NEXT) | instid1(VALU_DEP_1)
	v_subrev_nc_u32_e32 v8, 28, v7
	v_lshlrev_b64_e32 v[8:9], v8, v[52:53]
	s_delay_alu instid0(VALU_DEP_1)
	v_dual_sub_nc_u32 v7, 29, v7 :: v_dual_bitop2_b32 v52, 7, v8 bitop3:0x40
; %bb.1883:                             ;   in Loop: Header=BB370_1574 Depth=1
	s_or_b32 exec_lo, exec_lo, s19
	s_delay_alu instid0(VALU_DEP_1) | instskip(NEXT) | instid1(VALU_DEP_2)
	v_dual_lshlrev_b32 v8, 16, v22 :: v_dual_lshlrev_b32 v9, 20, v52
	v_lshl_add_u32 v7, v7, 23, 0x3c000000
	s_delay_alu instid0(VALU_DEP_2) | instskip(NEXT) | instid1(VALU_DEP_1)
	v_and_b32_e32 v8, 0x80000000, v8
	v_or3_b32 v7, v9, v8, v7
.LBB370_1884:                           ;   in Loop: Header=BB370_1574 Depth=1
	s_or_b32 exec_lo, exec_lo, s18
.LBB370_1885:                           ;   in Loop: Header=BB370_1574 Depth=1
	s_delay_alu instid0(SALU_CYCLE_1)
	s_or_b32 exec_lo, exec_lo, s17
.LBB370_1886:                           ;   in Loop: Header=BB370_1574 Depth=1
	s_delay_alu instid0(SALU_CYCLE_1) | instskip(SKIP_3) | instid1(VALU_DEP_2)
	s_or_b32 exec_lo, exec_lo, s16
	v_dual_lshrrev_b32 v10, 16, v19 :: v_dual_mov_b32 v8, 0
	v_mov_b32_e32 v9, 0
	s_mov_b32 s16, exec_lo
	v_and_b32_e32 v11, 0xff, v10
	s_delay_alu instid0(VALU_DEP_1)
	v_cmpx_ne_u16_e32 0, v11
	s_cbranch_execz .LBB370_1894
; %bb.1887:                             ;   in Loop: Header=BB370_1574 Depth=1
	v_bfrev_b32_e32 v9, 1
	s_mov_b32 s17, exec_lo
	v_cmpx_ne_u16_e32 0x80, v11
	s_cbranch_execz .LBB370_1893
; %bb.1888:                             ;   in Loop: Header=BB370_1574 Depth=1
	v_bfe_u32 v11, v19, 16, 7
	v_mov_b32_e32 v9, 0x7f800001
	s_mov_b32 s18, exec_lo
	s_delay_alu instid0(VALU_DEP_2)
	v_cmpx_ne_u32_e32 0x7f, v11
	s_cbranch_execz .LBB370_1892
; %bb.1889:                             ;   in Loop: Header=BB370_1574 Depth=1
	v_dual_lshrrev_b32 v9, 3, v11 :: v_dual_bitop2_b32 v22, 7, v10 bitop3:0x40
	s_mov_b32 s19, exec_lo
	s_delay_alu instid0(VALU_DEP_1)
	v_mov_b64_e32 v[52:53], v[22:23]
	v_cmpx_gt_u32_e32 8, v11
; %bb.1890:                             ;   in Loop: Header=BB370_1574 Depth=1
	v_clz_i32_u32_e32 v9, v22
	s_delay_alu instid0(VALU_DEP_1) | instskip(NEXT) | instid1(VALU_DEP_1)
	v_min_u32_e32 v9, 32, v9
	v_subrev_nc_u32_e32 v11, 28, v9
	s_delay_alu instid0(VALU_DEP_1) | instskip(NEXT) | instid1(VALU_DEP_1)
	v_lshlrev_b64_e32 v[48:49], v11, v[22:23]
	v_dual_sub_nc_u32 v9, 29, v9 :: v_dual_bitop2_b32 v52, 7, v48 bitop3:0x40
; %bb.1891:                             ;   in Loop: Header=BB370_1574 Depth=1
	s_or_b32 exec_lo, exec_lo, s19
	s_delay_alu instid0(VALU_DEP_1) | instskip(NEXT) | instid1(VALU_DEP_2)
	v_dual_lshlrev_b32 v10, 24, v10 :: v_dual_lshlrev_b32 v11, 20, v52
	v_lshl_add_u32 v9, v9, 23, 0x3c000000
	s_delay_alu instid0(VALU_DEP_2) | instskip(NEXT) | instid1(VALU_DEP_1)
	v_and_b32_e32 v10, 0x80000000, v10
	v_or3_b32 v9, v11, v10, v9
.LBB370_1892:                           ;   in Loop: Header=BB370_1574 Depth=1
	s_or_b32 exec_lo, exec_lo, s18
.LBB370_1893:                           ;   in Loop: Header=BB370_1574 Depth=1
	s_delay_alu instid0(SALU_CYCLE_1)
	s_or_b32 exec_lo, exec_lo, s17
.LBB370_1894:                           ;   in Loop: Header=BB370_1574 Depth=1
	s_delay_alu instid0(SALU_CYCLE_1) | instskip(NEXT) | instid1(SALU_CYCLE_1)
	s_or_b32 exec_lo, exec_lo, s16
	s_mov_b32 s16, exec_lo
	v_cmpx_lt_u64_e64 s[2:3], v[18:19]
	s_cbranch_execz .LBB370_1902
; %bb.1895:                             ;   in Loop: Header=BB370_1574 Depth=1
	v_lshrrev_b32_e32 v10, 24, v19
	v_bfrev_b32_e32 v8, 1
	s_mov_b32 s17, exec_lo
	s_delay_alu instid0(VALU_DEP_2)
	v_cmpx_ne_u32_e32 0x80, v10
	s_cbranch_execz .LBB370_1901
; %bb.1896:                             ;   in Loop: Header=BB370_1574 Depth=1
	v_bfe_u32 v11, v19, 24, 7
	v_mov_b32_e32 v8, 0x7f800001
	s_mov_b32 s18, exec_lo
	s_delay_alu instid0(VALU_DEP_2)
	v_cmpx_ne_u32_e32 0x7f, v11
	s_cbranch_execz .LBB370_1900
; %bb.1897:                             ;   in Loop: Header=BB370_1574 Depth=1
	v_dual_lshrrev_b32 v8, 3, v11 :: v_dual_bitop2_b32 v22, 7, v10 bitop3:0x40
	s_mov_b32 s19, exec_lo
	s_delay_alu instid0(VALU_DEP_1)
	v_mov_b64_e32 v[18:19], v[22:23]
	v_cmpx_gt_u32_e32 8, v11
; %bb.1898:                             ;   in Loop: Header=BB370_1574 Depth=1
	v_clz_i32_u32_e32 v8, v22
	s_delay_alu instid0(VALU_DEP_1) | instskip(NEXT) | instid1(VALU_DEP_1)
	v_min_u32_e32 v8, 32, v8
	v_subrev_nc_u32_e32 v11, 28, v8
	s_delay_alu instid0(VALU_DEP_1) | instskip(NEXT) | instid1(VALU_DEP_1)
	v_lshlrev_b64_e32 v[18:19], v11, v[22:23]
	v_dual_sub_nc_u32 v8, 29, v8 :: v_dual_bitop2_b32 v18, 7, v18 bitop3:0x40
; %bb.1899:                             ;   in Loop: Header=BB370_1574 Depth=1
	s_or_b32 exec_lo, exec_lo, s19
	v_lshlrev_b32_e32 v10, 24, v10
	s_delay_alu instid0(VALU_DEP_2) | instskip(NEXT) | instid1(VALU_DEP_3)
	v_lshlrev_b32_e32 v11, 20, v18
	v_lshl_add_u32 v8, v8, 23, 0x3c000000
	s_delay_alu instid0(VALU_DEP_3) | instskip(NEXT) | instid1(VALU_DEP_1)
	v_and_b32_e32 v10, 0x80000000, v10
	v_or3_b32 v8, v11, v10, v8
.LBB370_1900:                           ;   in Loop: Header=BB370_1574 Depth=1
	s_or_b32 exec_lo, exec_lo, s18
.LBB370_1901:                           ;   in Loop: Header=BB370_1574 Depth=1
	s_delay_alu instid0(SALU_CYCLE_1)
	s_or_b32 exec_lo, exec_lo, s17
.LBB370_1902:                           ;   in Loop: Header=BB370_1574 Depth=1
	s_delay_alu instid0(SALU_CYCLE_1)
	s_or_b32 exec_lo, exec_lo, s16
	v_fma_mixlo_bf16 v2, v64, v2, 0
	v_fma_mixlo_bf16 v7, v64, v7, 0
	;; [unrolled: 1-line block ×5, first 2 shown]
	scratch_store_b32 off, v2, s32 offset:460 ; 4-byte Folded Spill
	s_wait_xcnt 0x0
	v_fma_mixlo_bf16 v2, v64, v9, 0
	s_clause 0x1
	scratch_store_b32 off, v7, s32 offset:432
	scratch_store_b32 off, v6, s32 offset:436
	v_fma_mixlo_bf16 v3, v64, v3, 0
	s_clause 0x1
	scratch_store_b32 off, v5, s32 offset:448
	scratch_store_b32 off, v2, s32 offset:440
	s_wait_xcnt 0x0
	v_fma_mixlo_bf16 v2, v64, v8, 0
	s_clause 0x2
	scratch_store_b32 off, v4, s32 offset:452
	scratch_store_b32 off, v3, s32 offset:456
	;; [unrolled: 1-line block ×3, first 2 shown]
	s_wait_xcnt 0x0
	s_and_saveexec_b32 s16, vcc_lo
	s_cbranch_execz .LBB370_1904
; %bb.1903:                             ;   in Loop: Header=BB370_1574 Depth=1
	scratch_load_b32 v2, off, s32 offset:460 ; 4-byte Folded Reload
	v_cmp_lt_i32_e64 s0, v113, v88
	s_wait_loadcnt 0x0
	s_delay_alu instid0(VALU_DEP_1)
	v_cndmask_b32_e64 v2, 0, v2, s0
	v_cmp_lt_i32_e64 s0, v56, v88
	s_clause 0x1
	scratch_store_b32 off, v2, s32 offset:460
	scratch_load_b32 v2, off, s32 offset:456
	s_wait_loadcnt 0x0
	v_cndmask_b32_e64 v2, 0, v2, s0
	v_cmp_lt_i32_e64 s0, v47, v88
	s_clause 0x1
	scratch_store_b32 off, v2, s32 offset:456
	scratch_load_b32 v2, off, s32 offset:452
	s_wait_loadcnt 0x0
	v_cndmask_b32_e64 v2, 0, v2, s0
	v_cmp_lt_i32_e64 s0, v46, v88
	s_clause 0x1
	scratch_store_b32 off, v2, s32 offset:452
	scratch_load_b32 v2, off, s32 offset:448
	s_wait_loadcnt 0x0
	v_cndmask_b32_e64 v2, 0, v2, s0
	v_cmp_lt_i32_e64 s0, v45, v88
	s_clause 0x1
	scratch_store_b32 off, v2, s32 offset:448
	scratch_load_b32 v2, off, s32 offset:436
	s_wait_loadcnt 0x0
	v_cndmask_b32_e64 v2, 0, v2, s0
	v_cmp_lt_i32_e64 s0, v44, v88
	s_clause 0x1
	scratch_store_b32 off, v2, s32 offset:436
	scratch_load_b32 v2, off, s32 offset:432
	s_wait_loadcnt 0x0
	v_cndmask_b32_e64 v2, 0, v2, s0
	v_cmp_lt_i32_e64 s0, v43, v88
	s_clause 0x1
	scratch_store_b32 off, v2, s32 offset:432
	scratch_load_b32 v2, off, s32 offset:440
	s_wait_loadcnt 0x0
	v_cndmask_b32_e64 v2, 0, v2, s0
	v_cmp_lt_i32_e64 s0, v42, v88
	s_clause 0x1
	scratch_store_b32 off, v2, s32 offset:440
	scratch_load_b32 v2, off, s32 offset:444
	s_wait_loadcnt 0x0
	v_cndmask_b32_e64 v2, 0, v2, s0
	scratch_store_b32 off, v2, s32 offset:444 ; 4-byte Folded Spill
.LBB370_1904:                           ;   in Loop: Header=BB370_1574 Depth=1
	s_wait_xcnt 0x0
	s_or_b32 exec_lo, exec_lo, s16
	flat_load_b64 v[18:19], v[0:1] offset:1280
	v_dual_mov_b32 v3, 0 :: v_dual_mov_b32 v2, 0
	s_mov_b32 s16, exec_lo
	s_wait_loadcnt_dscnt 0x0
	v_and_b32_e32 v4, 0xff, v18
	s_wait_xcnt 0x0
	s_delay_alu instid0(VALU_DEP_1)
	v_cmpx_ne_u16_e32 0, v4
	s_cbranch_execz .LBB370_1912
; %bb.1905:                             ;   in Loop: Header=BB370_1574 Depth=1
	v_bfrev_b32_e32 v2, 1
	s_mov_b32 s17, exec_lo
	v_cmpx_ne_u16_e32 0x80, v4
	s_cbranch_execz .LBB370_1911
; %bb.1906:                             ;   in Loop: Header=BB370_1574 Depth=1
	v_and_b32_e32 v4, 0x7f, v18
	v_mov_b32_e32 v2, 0x7f800001
	s_mov_b32 s18, exec_lo
	s_delay_alu instid0(VALU_DEP_2)
	v_cmpx_ne_u32_e32 0x7f, v4
	s_cbranch_execz .LBB370_1910
; %bb.1907:                             ;   in Loop: Header=BB370_1574 Depth=1
	v_mov_b64_e32 v[52:53], v[18:19]
	v_lshrrev_b32_e32 v2, 3, v4
	s_mov_b32 s19, exec_lo
	v_cmpx_gt_u32_e32 8, v4
; %bb.1908:                             ;   in Loop: Header=BB370_1574 Depth=1
	v_and_b32_e32 v2, 7, v18
	s_delay_alu instid0(VALU_DEP_1) | instskip(NEXT) | instid1(VALU_DEP_1)
	v_clz_i32_u32_e32 v2, v2
	v_min_u32_e32 v2, 32, v2
	s_delay_alu instid0(VALU_DEP_1) | instskip(SKIP_1) | instid1(VALU_DEP_2)
	v_subrev_nc_u32_e32 v4, 28, v2
	v_sub_nc_u32_e32 v2, 29, v2
	v_lshlrev_b64_e32 v[52:53], v4, v[18:19]
; %bb.1909:                             ;   in Loop: Header=BB370_1574 Depth=1
	s_or_b32 exec_lo, exec_lo, s19
	s_delay_alu instid0(VALU_DEP_1) | instskip(NEXT) | instid1(VALU_DEP_3)
	v_dual_lshlrev_b32 v4, 20, v52 :: v_dual_lshlrev_b32 v5, 24, v18
	v_lshl_add_u32 v2, v2, 23, 0x3c000000
	s_delay_alu instid0(VALU_DEP_2) | instskip(NEXT) | instid1(VALU_DEP_3)
	v_and_b32_e32 v4, 0x700000, v4
	v_and_b32_e32 v5, 0x80000000, v5
	s_delay_alu instid0(VALU_DEP_1)
	v_or3_b32 v2, v4, v5, v2
.LBB370_1910:                           ;   in Loop: Header=BB370_1574 Depth=1
	s_or_b32 exec_lo, exec_lo, s18
.LBB370_1911:                           ;   in Loop: Header=BB370_1574 Depth=1
	s_delay_alu instid0(SALU_CYCLE_1)
	s_or_b32 exec_lo, exec_lo, s17
.LBB370_1912:                           ;   in Loop: Header=BB370_1574 Depth=1
	s_delay_alu instid0(SALU_CYCLE_1) | instskip(SKIP_2) | instid1(VALU_DEP_1)
	s_or_b32 exec_lo, exec_lo, s16
	v_lshrrev_b16 v4, 8, v18
	s_mov_b32 s16, exec_lo
	v_cmpx_ne_u16_e32 0, v4
	s_cbranch_execz .LBB370_1920
; %bb.1913:                             ;   in Loop: Header=BB370_1574 Depth=1
	v_bfrev_b32_e32 v3, 1
	s_mov_b32 s17, exec_lo
	v_cmpx_ne_u16_e32 0x80, v4
	s_cbranch_execz .LBB370_1919
; %bb.1914:                             ;   in Loop: Header=BB370_1574 Depth=1
	v_and_b32_e32 v5, 0xffff, v4
	v_mov_b32_e32 v3, 0x7f800001
	s_mov_b32 s18, exec_lo
	s_delay_alu instid0(VALU_DEP_2) | instskip(NEXT) | instid1(VALU_DEP_1)
	v_and_b32_e32 v4, 0x7f, v5
	v_cmpx_ne_u32_e32 0x7f, v4
	s_cbranch_execz .LBB370_1918
; %bb.1915:                             ;   in Loop: Header=BB370_1574 Depth=1
	v_dual_lshrrev_b32 v3, 3, v4 :: v_dual_bitop2_b32 v22, 7, v5 bitop3:0x40
	s_mov_b32 s19, exec_lo
	s_delay_alu instid0(VALU_DEP_1)
	v_mov_b64_e32 v[52:53], v[22:23]
	v_cmpx_gt_u32_e32 8, v4
; %bb.1916:                             ;   in Loop: Header=BB370_1574 Depth=1
	v_clz_i32_u32_e32 v3, v22
	s_delay_alu instid0(VALU_DEP_1) | instskip(NEXT) | instid1(VALU_DEP_1)
	v_min_u32_e32 v3, 32, v3
	v_subrev_nc_u32_e32 v4, 28, v3
	s_delay_alu instid0(VALU_DEP_1) | instskip(NEXT) | instid1(VALU_DEP_1)
	v_lshlrev_b64_e32 v[4:5], v4, v[22:23]
	v_dual_sub_nc_u32 v3, 29, v3 :: v_dual_bitop2_b32 v52, 7, v4 bitop3:0x40
; %bb.1917:                             ;   in Loop: Header=BB370_1574 Depth=1
	s_or_b32 exec_lo, exec_lo, s19
	s_delay_alu instid0(VALU_DEP_1) | instskip(NEXT) | instid1(VALU_DEP_2)
	v_dual_lshlrev_b32 v4, 16, v18 :: v_dual_lshlrev_b32 v5, 20, v52
	v_lshl_add_u32 v3, v3, 23, 0x3c000000
	s_delay_alu instid0(VALU_DEP_2) | instskip(NEXT) | instid1(VALU_DEP_1)
	v_and_b32_e32 v4, 0x80000000, v4
	v_or3_b32 v3, v5, v4, v3
.LBB370_1918:                           ;   in Loop: Header=BB370_1574 Depth=1
	s_or_b32 exec_lo, exec_lo, s18
.LBB370_1919:                           ;   in Loop: Header=BB370_1574 Depth=1
	s_delay_alu instid0(SALU_CYCLE_1)
	s_or_b32 exec_lo, exec_lo, s17
.LBB370_1920:                           ;   in Loop: Header=BB370_1574 Depth=1
	s_delay_alu instid0(SALU_CYCLE_1) | instskip(SKIP_3) | instid1(VALU_DEP_2)
	s_or_b32 exec_lo, exec_lo, s16
	v_dual_mov_b32 v5, 0 :: v_dual_lshrrev_b32 v6, 16, v18
	v_mov_b32_e32 v4, 0
	s_mov_b32 s16, exec_lo
	v_and_b32_e32 v7, 0xff, v6
	s_delay_alu instid0(VALU_DEP_1)
	v_cmpx_ne_u16_e32 0, v7
	s_cbranch_execz .LBB370_1928
; %bb.1921:                             ;   in Loop: Header=BB370_1574 Depth=1
	v_bfrev_b32_e32 v4, 1
	s_mov_b32 s17, exec_lo
	v_cmpx_ne_u16_e32 0x80, v7
	s_cbranch_execz .LBB370_1927
; %bb.1922:                             ;   in Loop: Header=BB370_1574 Depth=1
	v_bfe_u32 v7, v18, 16, 7
	v_mov_b32_e32 v4, 0x7f800001
	s_mov_b32 s18, exec_lo
	s_delay_alu instid0(VALU_DEP_2)
	v_cmpx_ne_u32_e32 0x7f, v7
	s_cbranch_execz .LBB370_1926
; %bb.1923:                             ;   in Loop: Header=BB370_1574 Depth=1
	v_dual_lshrrev_b32 v4, 3, v7 :: v_dual_bitop2_b32 v22, 7, v6 bitop3:0x40
	s_mov_b32 s19, exec_lo
	s_delay_alu instid0(VALU_DEP_1)
	v_mov_b64_e32 v[52:53], v[22:23]
	v_cmpx_gt_u32_e32 8, v7
; %bb.1924:                             ;   in Loop: Header=BB370_1574 Depth=1
	v_clz_i32_u32_e32 v4, v22
	s_delay_alu instid0(VALU_DEP_1) | instskip(NEXT) | instid1(VALU_DEP_1)
	v_min_u32_e32 v4, 32, v4
	v_subrev_nc_u32_e32 v7, 28, v4
	v_sub_nc_u32_e32 v4, 29, v4
	s_delay_alu instid0(VALU_DEP_2) | instskip(NEXT) | instid1(VALU_DEP_1)
	v_lshlrev_b64_e32 v[8:9], v7, v[22:23]
	v_and_b32_e32 v52, 7, v8
; %bb.1925:                             ;   in Loop: Header=BB370_1574 Depth=1
	s_or_b32 exec_lo, exec_lo, s19
	s_delay_alu instid0(VALU_DEP_1) | instskip(SKIP_1) | instid1(VALU_DEP_2)
	v_dual_lshlrev_b32 v6, 24, v6 :: v_dual_lshlrev_b32 v7, 20, v52
	v_lshl_add_u32 v4, v4, 23, 0x3c000000
	v_and_b32_e32 v6, 0x80000000, v6
	s_delay_alu instid0(VALU_DEP_1)
	v_or3_b32 v4, v7, v6, v4
.LBB370_1926:                           ;   in Loop: Header=BB370_1574 Depth=1
	s_or_b32 exec_lo, exec_lo, s18
.LBB370_1927:                           ;   in Loop: Header=BB370_1574 Depth=1
	s_delay_alu instid0(SALU_CYCLE_1)
	s_or_b32 exec_lo, exec_lo, s17
.LBB370_1928:                           ;   in Loop: Header=BB370_1574 Depth=1
	s_delay_alu instid0(SALU_CYCLE_1) | instskip(NEXT) | instid1(SALU_CYCLE_1)
	s_or_b32 exec_lo, exec_lo, s16
	s_mov_b32 s16, exec_lo
	v_cmpx_lt_u32_e32 0xffffff, v18
	s_cbranch_execz .LBB370_1936
; %bb.1929:                             ;   in Loop: Header=BB370_1574 Depth=1
	v_lshrrev_b32_e32 v6, 24, v18
	v_bfrev_b32_e32 v5, 1
	s_mov_b32 s17, exec_lo
	s_delay_alu instid0(VALU_DEP_2)
	v_cmpx_ne_u32_e32 0x80, v6
	s_cbranch_execz .LBB370_1935
; %bb.1930:                             ;   in Loop: Header=BB370_1574 Depth=1
	v_bfe_u32 v7, v18, 24, 7
	v_mov_b32_e32 v5, 0x7f800001
	s_mov_b32 s18, exec_lo
	s_delay_alu instid0(VALU_DEP_2)
	v_cmpx_ne_u32_e32 0x7f, v7
	s_cbranch_execz .LBB370_1934
; %bb.1931:                             ;   in Loop: Header=BB370_1574 Depth=1
	v_dual_lshrrev_b32 v5, 3, v7 :: v_dual_bitop2_b32 v22, 7, v6 bitop3:0x40
	s_mov_b32 s19, exec_lo
	s_delay_alu instid0(VALU_DEP_1)
	v_mov_b64_e32 v[52:53], v[22:23]
	v_cmpx_gt_u32_e32 8, v7
; %bb.1932:                             ;   in Loop: Header=BB370_1574 Depth=1
	v_clz_i32_u32_e32 v5, v22
	s_delay_alu instid0(VALU_DEP_1) | instskip(NEXT) | instid1(VALU_DEP_1)
	v_min_u32_e32 v5, 32, v5
	v_subrev_nc_u32_e32 v7, 28, v5
	s_delay_alu instid0(VALU_DEP_1) | instskip(NEXT) | instid1(VALU_DEP_1)
	v_lshlrev_b64_e32 v[8:9], v7, v[22:23]
	v_dual_sub_nc_u32 v5, 29, v5 :: v_dual_bitop2_b32 v52, 7, v8 bitop3:0x40
; %bb.1933:                             ;   in Loop: Header=BB370_1574 Depth=1
	s_or_b32 exec_lo, exec_lo, s19
	s_delay_alu instid0(VALU_DEP_1) | instskip(NEXT) | instid1(VALU_DEP_2)
	v_dual_lshlrev_b32 v6, 24, v6 :: v_dual_lshlrev_b32 v7, 20, v52
	v_lshl_add_u32 v5, v5, 23, 0x3c000000
	s_delay_alu instid0(VALU_DEP_2) | instskip(NEXT) | instid1(VALU_DEP_1)
	v_and_b32_e32 v6, 0x80000000, v6
	v_or3_b32 v5, v7, v6, v5
.LBB370_1934:                           ;   in Loop: Header=BB370_1574 Depth=1
	s_or_b32 exec_lo, exec_lo, s18
.LBB370_1935:                           ;   in Loop: Header=BB370_1574 Depth=1
	s_delay_alu instid0(SALU_CYCLE_1)
	s_or_b32 exec_lo, exec_lo, s17
.LBB370_1936:                           ;   in Loop: Header=BB370_1574 Depth=1
	s_delay_alu instid0(SALU_CYCLE_1) | instskip(SKIP_4) | instid1(VALU_DEP_3)
	s_or_b32 exec_lo, exec_lo, s16
	v_and_b32_e32 v8, 0xff, v19
	v_dual_mov_b32 v22, v19 :: v_dual_mov_b32 v7, 0
	v_mov_b32_e32 v6, 0
	s_mov_b32 s16, exec_lo
	v_cmpx_ne_u16_e32 0, v8
	s_cbranch_execz .LBB370_1944
; %bb.1937:                             ;   in Loop: Header=BB370_1574 Depth=1
	v_bfrev_b32_e32 v6, 1
	s_mov_b32 s17, exec_lo
	v_cmpx_ne_u16_e32 0x80, v8
	s_cbranch_execz .LBB370_1943
; %bb.1938:                             ;   in Loop: Header=BB370_1574 Depth=1
	v_and_b32_e32 v8, 0x7f, v19
	v_mov_b32_e32 v6, 0x7f800001
	s_mov_b32 s18, exec_lo
	s_delay_alu instid0(VALU_DEP_2)
	v_cmpx_ne_u32_e32 0x7f, v8
	s_cbranch_execz .LBB370_1942
; %bb.1939:                             ;   in Loop: Header=BB370_1574 Depth=1
	v_mov_b64_e32 v[52:53], v[22:23]
	v_lshrrev_b32_e32 v6, 3, v8
	s_mov_b32 s19, exec_lo
	v_cmpx_gt_u32_e32 8, v8
; %bb.1940:                             ;   in Loop: Header=BB370_1574 Depth=1
	v_and_b32_e32 v6, 7, v19
	s_delay_alu instid0(VALU_DEP_1) | instskip(NEXT) | instid1(VALU_DEP_1)
	v_clz_i32_u32_e32 v6, v6
	v_min_u32_e32 v6, 32, v6
	s_delay_alu instid0(VALU_DEP_1) | instskip(SKIP_1) | instid1(VALU_DEP_2)
	v_subrev_nc_u32_e32 v8, 28, v6
	v_sub_nc_u32_e32 v6, 29, v6
	v_lshlrev_b64_e32 v[52:53], v8, v[22:23]
; %bb.1941:                             ;   in Loop: Header=BB370_1574 Depth=1
	s_or_b32 exec_lo, exec_lo, s19
	s_delay_alu instid0(VALU_DEP_1) | instskip(NEXT) | instid1(VALU_DEP_3)
	v_dual_lshlrev_b32 v8, 20, v52 :: v_dual_lshlrev_b32 v9, 24, v22
	v_lshl_add_u32 v6, v6, 23, 0x3c000000
	s_delay_alu instid0(VALU_DEP_2) | instskip(NEXT) | instid1(VALU_DEP_3)
	v_and_b32_e32 v8, 0x700000, v8
	v_and_b32_e32 v9, 0x80000000, v9
	s_delay_alu instid0(VALU_DEP_1)
	v_or3_b32 v6, v8, v9, v6
.LBB370_1942:                           ;   in Loop: Header=BB370_1574 Depth=1
	s_or_b32 exec_lo, exec_lo, s18
.LBB370_1943:                           ;   in Loop: Header=BB370_1574 Depth=1
	s_delay_alu instid0(SALU_CYCLE_1)
	s_or_b32 exec_lo, exec_lo, s17
.LBB370_1944:                           ;   in Loop: Header=BB370_1574 Depth=1
	s_delay_alu instid0(SALU_CYCLE_1) | instskip(SKIP_2) | instid1(VALU_DEP_1)
	s_or_b32 exec_lo, exec_lo, s16
	v_lshrrev_b16 v8, 8, v22
	s_mov_b32 s16, exec_lo
	v_cmpx_ne_u16_e32 0, v8
	s_cbranch_execz .LBB370_1952
; %bb.1945:                             ;   in Loop: Header=BB370_1574 Depth=1
	v_bfrev_b32_e32 v7, 1
	s_mov_b32 s17, exec_lo
	v_cmpx_ne_u16_e32 0x80, v8
	s_cbranch_execz .LBB370_1951
; %bb.1946:                             ;   in Loop: Header=BB370_1574 Depth=1
	v_and_b32_e32 v9, 0xffff, v8
	v_mov_b32_e32 v7, 0x7f800001
	s_mov_b32 s18, exec_lo
	s_delay_alu instid0(VALU_DEP_2) | instskip(NEXT) | instid1(VALU_DEP_1)
	v_and_b32_e32 v8, 0x7f, v9
	v_cmpx_ne_u32_e32 0x7f, v8
	s_cbranch_execz .LBB370_1950
; %bb.1947:                             ;   in Loop: Header=BB370_1574 Depth=1
	v_dual_mov_b32 v53, v23 :: v_dual_bitop2_b32 v52, 7, v9 bitop3:0x40
	v_lshrrev_b32_e32 v7, 3, v8
	s_mov_b32 s19, exec_lo
	v_cmpx_gt_u32_e32 8, v8
; %bb.1948:                             ;   in Loop: Header=BB370_1574 Depth=1
	s_delay_alu instid0(VALU_DEP_3) | instskip(NEXT) | instid1(VALU_DEP_1)
	v_clz_i32_u32_e32 v7, v52
	v_min_u32_e32 v7, 32, v7
	s_delay_alu instid0(VALU_DEP_1) | instskip(NEXT) | instid1(VALU_DEP_1)
	v_subrev_nc_u32_e32 v8, 28, v7
	v_lshlrev_b64_e32 v[8:9], v8, v[52:53]
	s_delay_alu instid0(VALU_DEP_1)
	v_dual_sub_nc_u32 v7, 29, v7 :: v_dual_bitop2_b32 v52, 7, v8 bitop3:0x40
; %bb.1949:                             ;   in Loop: Header=BB370_1574 Depth=1
	s_or_b32 exec_lo, exec_lo, s19
	s_delay_alu instid0(VALU_DEP_1) | instskip(NEXT) | instid1(VALU_DEP_2)
	v_dual_lshlrev_b32 v8, 16, v22 :: v_dual_lshlrev_b32 v9, 20, v52
	v_lshl_add_u32 v7, v7, 23, 0x3c000000
	s_delay_alu instid0(VALU_DEP_2) | instskip(NEXT) | instid1(VALU_DEP_1)
	v_and_b32_e32 v8, 0x80000000, v8
	v_or3_b32 v7, v9, v8, v7
.LBB370_1950:                           ;   in Loop: Header=BB370_1574 Depth=1
	s_or_b32 exec_lo, exec_lo, s18
.LBB370_1951:                           ;   in Loop: Header=BB370_1574 Depth=1
	s_delay_alu instid0(SALU_CYCLE_1)
	s_or_b32 exec_lo, exec_lo, s17
.LBB370_1952:                           ;   in Loop: Header=BB370_1574 Depth=1
	s_delay_alu instid0(SALU_CYCLE_1) | instskip(SKIP_3) | instid1(VALU_DEP_2)
	s_or_b32 exec_lo, exec_lo, s16
	v_dual_lshrrev_b32 v10, 16, v19 :: v_dual_mov_b32 v8, 0
	v_mov_b32_e32 v9, 0
	s_mov_b32 s16, exec_lo
	v_and_b32_e32 v11, 0xff, v10
	s_delay_alu instid0(VALU_DEP_1)
	v_cmpx_ne_u16_e32 0, v11
	s_cbranch_execz .LBB370_1960
; %bb.1953:                             ;   in Loop: Header=BB370_1574 Depth=1
	v_bfrev_b32_e32 v9, 1
	s_mov_b32 s17, exec_lo
	v_cmpx_ne_u16_e32 0x80, v11
	s_cbranch_execz .LBB370_1959
; %bb.1954:                             ;   in Loop: Header=BB370_1574 Depth=1
	v_bfe_u32 v11, v19, 16, 7
	v_mov_b32_e32 v9, 0x7f800001
	s_mov_b32 s18, exec_lo
	s_delay_alu instid0(VALU_DEP_2)
	v_cmpx_ne_u32_e32 0x7f, v11
	s_cbranch_execz .LBB370_1958
; %bb.1955:                             ;   in Loop: Header=BB370_1574 Depth=1
	v_dual_lshrrev_b32 v9, 3, v11 :: v_dual_bitop2_b32 v22, 7, v10 bitop3:0x40
	s_mov_b32 s19, exec_lo
	s_delay_alu instid0(VALU_DEP_1)
	v_mov_b64_e32 v[52:53], v[22:23]
	v_cmpx_gt_u32_e32 8, v11
; %bb.1956:                             ;   in Loop: Header=BB370_1574 Depth=1
	v_clz_i32_u32_e32 v9, v22
	s_delay_alu instid0(VALU_DEP_1) | instskip(NEXT) | instid1(VALU_DEP_1)
	v_min_u32_e32 v9, 32, v9
	v_subrev_nc_u32_e32 v11, 28, v9
	s_delay_alu instid0(VALU_DEP_1) | instskip(NEXT) | instid1(VALU_DEP_1)
	v_lshlrev_b64_e32 v[48:49], v11, v[22:23]
	v_dual_sub_nc_u32 v9, 29, v9 :: v_dual_bitop2_b32 v52, 7, v48 bitop3:0x40
; %bb.1957:                             ;   in Loop: Header=BB370_1574 Depth=1
	s_or_b32 exec_lo, exec_lo, s19
	s_delay_alu instid0(VALU_DEP_1) | instskip(NEXT) | instid1(VALU_DEP_2)
	v_dual_lshlrev_b32 v10, 24, v10 :: v_dual_lshlrev_b32 v11, 20, v52
	v_lshl_add_u32 v9, v9, 23, 0x3c000000
	s_delay_alu instid0(VALU_DEP_2) | instskip(NEXT) | instid1(VALU_DEP_1)
	v_and_b32_e32 v10, 0x80000000, v10
	v_or3_b32 v9, v11, v10, v9
.LBB370_1958:                           ;   in Loop: Header=BB370_1574 Depth=1
	s_or_b32 exec_lo, exec_lo, s18
.LBB370_1959:                           ;   in Loop: Header=BB370_1574 Depth=1
	s_delay_alu instid0(SALU_CYCLE_1)
	s_or_b32 exec_lo, exec_lo, s17
.LBB370_1960:                           ;   in Loop: Header=BB370_1574 Depth=1
	s_delay_alu instid0(SALU_CYCLE_1) | instskip(NEXT) | instid1(SALU_CYCLE_1)
	s_or_b32 exec_lo, exec_lo, s16
	s_mov_b32 s16, exec_lo
	v_cmpx_lt_u64_e64 s[2:3], v[18:19]
	s_cbranch_execz .LBB370_1968
; %bb.1961:                             ;   in Loop: Header=BB370_1574 Depth=1
	v_lshrrev_b32_e32 v10, 24, v19
	v_bfrev_b32_e32 v8, 1
	s_mov_b32 s17, exec_lo
	s_delay_alu instid0(VALU_DEP_2)
	v_cmpx_ne_u32_e32 0x80, v10
	s_cbranch_execz .LBB370_1967
; %bb.1962:                             ;   in Loop: Header=BB370_1574 Depth=1
	v_bfe_u32 v11, v19, 24, 7
	v_mov_b32_e32 v8, 0x7f800001
	s_mov_b32 s18, exec_lo
	s_delay_alu instid0(VALU_DEP_2)
	v_cmpx_ne_u32_e32 0x7f, v11
	s_cbranch_execz .LBB370_1966
; %bb.1963:                             ;   in Loop: Header=BB370_1574 Depth=1
	v_dual_lshrrev_b32 v8, 3, v11 :: v_dual_bitop2_b32 v22, 7, v10 bitop3:0x40
	s_mov_b32 s19, exec_lo
	s_delay_alu instid0(VALU_DEP_1)
	v_mov_b64_e32 v[18:19], v[22:23]
	v_cmpx_gt_u32_e32 8, v11
; %bb.1964:                             ;   in Loop: Header=BB370_1574 Depth=1
	v_clz_i32_u32_e32 v8, v22
	s_delay_alu instid0(VALU_DEP_1) | instskip(NEXT) | instid1(VALU_DEP_1)
	v_min_u32_e32 v8, 32, v8
	v_subrev_nc_u32_e32 v11, 28, v8
	s_delay_alu instid0(VALU_DEP_1) | instskip(NEXT) | instid1(VALU_DEP_1)
	v_lshlrev_b64_e32 v[18:19], v11, v[22:23]
	v_dual_sub_nc_u32 v8, 29, v8 :: v_dual_bitop2_b32 v18, 7, v18 bitop3:0x40
; %bb.1965:                             ;   in Loop: Header=BB370_1574 Depth=1
	s_or_b32 exec_lo, exec_lo, s19
	v_lshlrev_b32_e32 v10, 24, v10
	s_delay_alu instid0(VALU_DEP_2) | instskip(NEXT) | instid1(VALU_DEP_3)
	v_lshlrev_b32_e32 v11, 20, v18
	v_lshl_add_u32 v8, v8, 23, 0x3c000000
	s_delay_alu instid0(VALU_DEP_3) | instskip(NEXT) | instid1(VALU_DEP_1)
	v_and_b32_e32 v10, 0x80000000, v10
	v_or3_b32 v8, v11, v10, v8
.LBB370_1966:                           ;   in Loop: Header=BB370_1574 Depth=1
	s_or_b32 exec_lo, exec_lo, s18
.LBB370_1967:                           ;   in Loop: Header=BB370_1574 Depth=1
	s_delay_alu instid0(SALU_CYCLE_1)
	s_or_b32 exec_lo, exec_lo, s17
.LBB370_1968:                           ;   in Loop: Header=BB370_1574 Depth=1
	s_delay_alu instid0(SALU_CYCLE_1)
	s_or_b32 exec_lo, exec_lo, s16
	v_fma_mixlo_bf16 v2, v64, v2, 0
	v_fma_mixlo_bf16 v7, v64, v7, 0
	;; [unrolled: 1-line block ×5, first 2 shown]
	scratch_store_b32 off, v2, s32 offset:500 ; 4-byte Folded Spill
	s_wait_xcnt 0x0
	v_fma_mixlo_bf16 v2, v64, v9, 0
	s_clause 0x1
	scratch_store_b32 off, v7, s32 offset:468
	scratch_store_b32 off, v6, s32 offset:472
	v_fma_mixlo_bf16 v3, v64, v3, 0
	s_clause 0x1
	scratch_store_b32 off, v5, s32 offset:488
	scratch_store_b32 off, v2, s32 offset:480
	s_wait_xcnt 0x0
	v_fma_mixlo_bf16 v2, v64, v8, 0
	s_clause 0x2
	scratch_store_b32 off, v4, s32 offset:492
	scratch_store_b32 off, v3, s32 offset:496
	;; [unrolled: 1-line block ×3, first 2 shown]
	s_wait_xcnt 0x0
	s_and_saveexec_b32 s16, vcc_lo
	s_cbranch_execz .LBB370_1970
; %bb.1969:                             ;   in Loop: Header=BB370_1574 Depth=1
	scratch_load_b32 v2, off, s32 offset:500 ; 4-byte Folded Reload
	v_cmp_lt_i32_e64 s0, v113, v88
	s_wait_loadcnt 0x0
	s_delay_alu instid0(VALU_DEP_1)
	v_cndmask_b32_e64 v2, 0, v2, s0
	v_cmp_lt_i32_e64 s0, v56, v88
	s_clause 0x1
	scratch_store_b32 off, v2, s32 offset:500
	scratch_load_b32 v2, off, s32 offset:496
	s_wait_loadcnt 0x0
	v_cndmask_b32_e64 v2, 0, v2, s0
	v_cmp_lt_i32_e64 s0, v47, v88
	s_clause 0x1
	scratch_store_b32 off, v2, s32 offset:496
	scratch_load_b32 v2, off, s32 offset:492
	s_wait_loadcnt 0x0
	;; [unrolled: 6-line block ×7, first 2 shown]
	v_cndmask_b32_e64 v2, 0, v2, s0
	scratch_store_b32 off, v2, s32 offset:484 ; 4-byte Folded Spill
.LBB370_1970:                           ;   in Loop: Header=BB370_1574 Depth=1
	s_wait_xcnt 0x0
	s_or_b32 exec_lo, exec_lo, s16
	flat_load_b64 v[18:19], v[0:1] offset:1536
	v_dual_mov_b32 v3, 0 :: v_dual_mov_b32 v2, 0
	s_mov_b32 s16, exec_lo
	s_wait_loadcnt_dscnt 0x0
	v_and_b32_e32 v4, 0xff, v18
	s_wait_xcnt 0x0
	s_delay_alu instid0(VALU_DEP_1)
	v_cmpx_ne_u16_e32 0, v4
	s_cbranch_execz .LBB370_1978
; %bb.1971:                             ;   in Loop: Header=BB370_1574 Depth=1
	v_bfrev_b32_e32 v2, 1
	s_mov_b32 s17, exec_lo
	v_cmpx_ne_u16_e32 0x80, v4
	s_cbranch_execz .LBB370_1977
; %bb.1972:                             ;   in Loop: Header=BB370_1574 Depth=1
	v_and_b32_e32 v4, 0x7f, v18
	v_mov_b32_e32 v2, 0x7f800001
	s_mov_b32 s18, exec_lo
	s_delay_alu instid0(VALU_DEP_2)
	v_cmpx_ne_u32_e32 0x7f, v4
	s_cbranch_execz .LBB370_1976
; %bb.1973:                             ;   in Loop: Header=BB370_1574 Depth=1
	v_mov_b64_e32 v[52:53], v[18:19]
	v_lshrrev_b32_e32 v2, 3, v4
	s_mov_b32 s19, exec_lo
	v_cmpx_gt_u32_e32 8, v4
; %bb.1974:                             ;   in Loop: Header=BB370_1574 Depth=1
	v_and_b32_e32 v2, 7, v18
	s_delay_alu instid0(VALU_DEP_1) | instskip(NEXT) | instid1(VALU_DEP_1)
	v_clz_i32_u32_e32 v2, v2
	v_min_u32_e32 v2, 32, v2
	s_delay_alu instid0(VALU_DEP_1) | instskip(SKIP_1) | instid1(VALU_DEP_2)
	v_subrev_nc_u32_e32 v4, 28, v2
	v_sub_nc_u32_e32 v2, 29, v2
	v_lshlrev_b64_e32 v[52:53], v4, v[18:19]
; %bb.1975:                             ;   in Loop: Header=BB370_1574 Depth=1
	s_or_b32 exec_lo, exec_lo, s19
	s_delay_alu instid0(VALU_DEP_1) | instskip(NEXT) | instid1(VALU_DEP_3)
	v_dual_lshlrev_b32 v4, 20, v52 :: v_dual_lshlrev_b32 v5, 24, v18
	v_lshl_add_u32 v2, v2, 23, 0x3c000000
	s_delay_alu instid0(VALU_DEP_2) | instskip(NEXT) | instid1(VALU_DEP_3)
	v_and_b32_e32 v4, 0x700000, v4
	v_and_b32_e32 v5, 0x80000000, v5
	s_delay_alu instid0(VALU_DEP_1)
	v_or3_b32 v2, v4, v5, v2
.LBB370_1976:                           ;   in Loop: Header=BB370_1574 Depth=1
	s_or_b32 exec_lo, exec_lo, s18
.LBB370_1977:                           ;   in Loop: Header=BB370_1574 Depth=1
	s_delay_alu instid0(SALU_CYCLE_1)
	s_or_b32 exec_lo, exec_lo, s17
.LBB370_1978:                           ;   in Loop: Header=BB370_1574 Depth=1
	s_delay_alu instid0(SALU_CYCLE_1) | instskip(SKIP_2) | instid1(VALU_DEP_1)
	s_or_b32 exec_lo, exec_lo, s16
	v_lshrrev_b16 v4, 8, v18
	s_mov_b32 s16, exec_lo
	v_cmpx_ne_u16_e32 0, v4
	s_cbranch_execz .LBB370_1986
; %bb.1979:                             ;   in Loop: Header=BB370_1574 Depth=1
	v_bfrev_b32_e32 v3, 1
	s_mov_b32 s17, exec_lo
	v_cmpx_ne_u16_e32 0x80, v4
	s_cbranch_execz .LBB370_1985
; %bb.1980:                             ;   in Loop: Header=BB370_1574 Depth=1
	v_and_b32_e32 v5, 0xffff, v4
	v_mov_b32_e32 v3, 0x7f800001
	s_mov_b32 s18, exec_lo
	s_delay_alu instid0(VALU_DEP_2) | instskip(NEXT) | instid1(VALU_DEP_1)
	v_and_b32_e32 v4, 0x7f, v5
	v_cmpx_ne_u32_e32 0x7f, v4
	s_cbranch_execz .LBB370_1984
; %bb.1981:                             ;   in Loop: Header=BB370_1574 Depth=1
	v_dual_lshrrev_b32 v3, 3, v4 :: v_dual_bitop2_b32 v22, 7, v5 bitop3:0x40
	s_mov_b32 s19, exec_lo
	s_delay_alu instid0(VALU_DEP_1)
	v_mov_b64_e32 v[52:53], v[22:23]
	v_cmpx_gt_u32_e32 8, v4
; %bb.1982:                             ;   in Loop: Header=BB370_1574 Depth=1
	v_clz_i32_u32_e32 v3, v22
	s_delay_alu instid0(VALU_DEP_1) | instskip(NEXT) | instid1(VALU_DEP_1)
	v_min_u32_e32 v3, 32, v3
	v_subrev_nc_u32_e32 v4, 28, v3
	s_delay_alu instid0(VALU_DEP_1) | instskip(NEXT) | instid1(VALU_DEP_1)
	v_lshlrev_b64_e32 v[4:5], v4, v[22:23]
	v_dual_sub_nc_u32 v3, 29, v3 :: v_dual_bitop2_b32 v52, 7, v4 bitop3:0x40
; %bb.1983:                             ;   in Loop: Header=BB370_1574 Depth=1
	s_or_b32 exec_lo, exec_lo, s19
	s_delay_alu instid0(VALU_DEP_1) | instskip(NEXT) | instid1(VALU_DEP_2)
	v_dual_lshlrev_b32 v4, 16, v18 :: v_dual_lshlrev_b32 v5, 20, v52
	v_lshl_add_u32 v3, v3, 23, 0x3c000000
	s_delay_alu instid0(VALU_DEP_2) | instskip(NEXT) | instid1(VALU_DEP_1)
	v_and_b32_e32 v4, 0x80000000, v4
	v_or3_b32 v3, v5, v4, v3
.LBB370_1984:                           ;   in Loop: Header=BB370_1574 Depth=1
	s_or_b32 exec_lo, exec_lo, s18
.LBB370_1985:                           ;   in Loop: Header=BB370_1574 Depth=1
	s_delay_alu instid0(SALU_CYCLE_1)
	s_or_b32 exec_lo, exec_lo, s17
.LBB370_1986:                           ;   in Loop: Header=BB370_1574 Depth=1
	s_delay_alu instid0(SALU_CYCLE_1) | instskip(SKIP_3) | instid1(VALU_DEP_2)
	s_or_b32 exec_lo, exec_lo, s16
	v_dual_mov_b32 v5, 0 :: v_dual_lshrrev_b32 v6, 16, v18
	v_mov_b32_e32 v4, 0
	s_mov_b32 s16, exec_lo
	v_and_b32_e32 v7, 0xff, v6
	s_delay_alu instid0(VALU_DEP_1)
	v_cmpx_ne_u16_e32 0, v7
	s_cbranch_execz .LBB370_1994
; %bb.1987:                             ;   in Loop: Header=BB370_1574 Depth=1
	v_bfrev_b32_e32 v4, 1
	s_mov_b32 s17, exec_lo
	v_cmpx_ne_u16_e32 0x80, v7
	s_cbranch_execz .LBB370_1993
; %bb.1988:                             ;   in Loop: Header=BB370_1574 Depth=1
	v_bfe_u32 v7, v18, 16, 7
	v_mov_b32_e32 v4, 0x7f800001
	s_mov_b32 s18, exec_lo
	s_delay_alu instid0(VALU_DEP_2)
	v_cmpx_ne_u32_e32 0x7f, v7
	s_cbranch_execz .LBB370_1992
; %bb.1989:                             ;   in Loop: Header=BB370_1574 Depth=1
	v_dual_lshrrev_b32 v4, 3, v7 :: v_dual_bitop2_b32 v22, 7, v6 bitop3:0x40
	s_mov_b32 s19, exec_lo
	s_delay_alu instid0(VALU_DEP_1)
	v_mov_b64_e32 v[52:53], v[22:23]
	v_cmpx_gt_u32_e32 8, v7
; %bb.1990:                             ;   in Loop: Header=BB370_1574 Depth=1
	v_clz_i32_u32_e32 v4, v22
	s_delay_alu instid0(VALU_DEP_1) | instskip(NEXT) | instid1(VALU_DEP_1)
	v_min_u32_e32 v4, 32, v4
	v_subrev_nc_u32_e32 v7, 28, v4
	v_sub_nc_u32_e32 v4, 29, v4
	s_delay_alu instid0(VALU_DEP_2) | instskip(NEXT) | instid1(VALU_DEP_1)
	v_lshlrev_b64_e32 v[8:9], v7, v[22:23]
	v_and_b32_e32 v52, 7, v8
; %bb.1991:                             ;   in Loop: Header=BB370_1574 Depth=1
	s_or_b32 exec_lo, exec_lo, s19
	s_delay_alu instid0(VALU_DEP_1) | instskip(SKIP_1) | instid1(VALU_DEP_2)
	v_dual_lshlrev_b32 v6, 24, v6 :: v_dual_lshlrev_b32 v7, 20, v52
	v_lshl_add_u32 v4, v4, 23, 0x3c000000
	v_and_b32_e32 v6, 0x80000000, v6
	s_delay_alu instid0(VALU_DEP_1)
	v_or3_b32 v4, v7, v6, v4
.LBB370_1992:                           ;   in Loop: Header=BB370_1574 Depth=1
	s_or_b32 exec_lo, exec_lo, s18
.LBB370_1993:                           ;   in Loop: Header=BB370_1574 Depth=1
	s_delay_alu instid0(SALU_CYCLE_1)
	s_or_b32 exec_lo, exec_lo, s17
.LBB370_1994:                           ;   in Loop: Header=BB370_1574 Depth=1
	s_delay_alu instid0(SALU_CYCLE_1) | instskip(NEXT) | instid1(SALU_CYCLE_1)
	s_or_b32 exec_lo, exec_lo, s16
	s_mov_b32 s16, exec_lo
	v_cmpx_lt_u32_e32 0xffffff, v18
	s_cbranch_execz .LBB370_2002
; %bb.1995:                             ;   in Loop: Header=BB370_1574 Depth=1
	v_lshrrev_b32_e32 v6, 24, v18
	v_bfrev_b32_e32 v5, 1
	s_mov_b32 s17, exec_lo
	s_delay_alu instid0(VALU_DEP_2)
	v_cmpx_ne_u32_e32 0x80, v6
	s_cbranch_execz .LBB370_2001
; %bb.1996:                             ;   in Loop: Header=BB370_1574 Depth=1
	v_bfe_u32 v7, v18, 24, 7
	v_mov_b32_e32 v5, 0x7f800001
	s_mov_b32 s18, exec_lo
	s_delay_alu instid0(VALU_DEP_2)
	v_cmpx_ne_u32_e32 0x7f, v7
	s_cbranch_execz .LBB370_2000
; %bb.1997:                             ;   in Loop: Header=BB370_1574 Depth=1
	v_dual_lshrrev_b32 v5, 3, v7 :: v_dual_bitop2_b32 v22, 7, v6 bitop3:0x40
	s_mov_b32 s19, exec_lo
	s_delay_alu instid0(VALU_DEP_1)
	v_mov_b64_e32 v[52:53], v[22:23]
	v_cmpx_gt_u32_e32 8, v7
; %bb.1998:                             ;   in Loop: Header=BB370_1574 Depth=1
	v_clz_i32_u32_e32 v5, v22
	s_delay_alu instid0(VALU_DEP_1) | instskip(NEXT) | instid1(VALU_DEP_1)
	v_min_u32_e32 v5, 32, v5
	v_subrev_nc_u32_e32 v7, 28, v5
	s_delay_alu instid0(VALU_DEP_1) | instskip(NEXT) | instid1(VALU_DEP_1)
	v_lshlrev_b64_e32 v[8:9], v7, v[22:23]
	v_dual_sub_nc_u32 v5, 29, v5 :: v_dual_bitop2_b32 v52, 7, v8 bitop3:0x40
; %bb.1999:                             ;   in Loop: Header=BB370_1574 Depth=1
	s_or_b32 exec_lo, exec_lo, s19
	s_delay_alu instid0(VALU_DEP_1) | instskip(NEXT) | instid1(VALU_DEP_2)
	v_dual_lshlrev_b32 v6, 24, v6 :: v_dual_lshlrev_b32 v7, 20, v52
	v_lshl_add_u32 v5, v5, 23, 0x3c000000
	s_delay_alu instid0(VALU_DEP_2) | instskip(NEXT) | instid1(VALU_DEP_1)
	v_and_b32_e32 v6, 0x80000000, v6
	v_or3_b32 v5, v7, v6, v5
.LBB370_2000:                           ;   in Loop: Header=BB370_1574 Depth=1
	s_or_b32 exec_lo, exec_lo, s18
.LBB370_2001:                           ;   in Loop: Header=BB370_1574 Depth=1
	s_delay_alu instid0(SALU_CYCLE_1)
	s_or_b32 exec_lo, exec_lo, s17
.LBB370_2002:                           ;   in Loop: Header=BB370_1574 Depth=1
	s_delay_alu instid0(SALU_CYCLE_1) | instskip(SKIP_4) | instid1(VALU_DEP_3)
	s_or_b32 exec_lo, exec_lo, s16
	v_and_b32_e32 v8, 0xff, v19
	v_dual_mov_b32 v22, v19 :: v_dual_mov_b32 v7, 0
	v_mov_b32_e32 v6, 0
	s_mov_b32 s16, exec_lo
	v_cmpx_ne_u16_e32 0, v8
	s_cbranch_execz .LBB370_2010
; %bb.2003:                             ;   in Loop: Header=BB370_1574 Depth=1
	v_bfrev_b32_e32 v6, 1
	s_mov_b32 s17, exec_lo
	v_cmpx_ne_u16_e32 0x80, v8
	s_cbranch_execz .LBB370_2009
; %bb.2004:                             ;   in Loop: Header=BB370_1574 Depth=1
	v_and_b32_e32 v8, 0x7f, v19
	v_mov_b32_e32 v6, 0x7f800001
	s_mov_b32 s18, exec_lo
	s_delay_alu instid0(VALU_DEP_2)
	v_cmpx_ne_u32_e32 0x7f, v8
	s_cbranch_execz .LBB370_2008
; %bb.2005:                             ;   in Loop: Header=BB370_1574 Depth=1
	v_mov_b64_e32 v[52:53], v[22:23]
	v_lshrrev_b32_e32 v6, 3, v8
	s_mov_b32 s19, exec_lo
	v_cmpx_gt_u32_e32 8, v8
; %bb.2006:                             ;   in Loop: Header=BB370_1574 Depth=1
	v_and_b32_e32 v6, 7, v19
	s_delay_alu instid0(VALU_DEP_1) | instskip(NEXT) | instid1(VALU_DEP_1)
	v_clz_i32_u32_e32 v6, v6
	v_min_u32_e32 v6, 32, v6
	s_delay_alu instid0(VALU_DEP_1) | instskip(SKIP_1) | instid1(VALU_DEP_2)
	v_subrev_nc_u32_e32 v8, 28, v6
	v_sub_nc_u32_e32 v6, 29, v6
	v_lshlrev_b64_e32 v[52:53], v8, v[22:23]
; %bb.2007:                             ;   in Loop: Header=BB370_1574 Depth=1
	s_or_b32 exec_lo, exec_lo, s19
	s_delay_alu instid0(VALU_DEP_1) | instskip(NEXT) | instid1(VALU_DEP_3)
	v_dual_lshlrev_b32 v8, 20, v52 :: v_dual_lshlrev_b32 v9, 24, v22
	v_lshl_add_u32 v6, v6, 23, 0x3c000000
	s_delay_alu instid0(VALU_DEP_2) | instskip(NEXT) | instid1(VALU_DEP_3)
	v_and_b32_e32 v8, 0x700000, v8
	v_and_b32_e32 v9, 0x80000000, v9
	s_delay_alu instid0(VALU_DEP_1)
	v_or3_b32 v6, v8, v9, v6
.LBB370_2008:                           ;   in Loop: Header=BB370_1574 Depth=1
	s_or_b32 exec_lo, exec_lo, s18
.LBB370_2009:                           ;   in Loop: Header=BB370_1574 Depth=1
	s_delay_alu instid0(SALU_CYCLE_1)
	s_or_b32 exec_lo, exec_lo, s17
.LBB370_2010:                           ;   in Loop: Header=BB370_1574 Depth=1
	s_delay_alu instid0(SALU_CYCLE_1) | instskip(SKIP_2) | instid1(VALU_DEP_1)
	s_or_b32 exec_lo, exec_lo, s16
	v_lshrrev_b16 v8, 8, v22
	s_mov_b32 s16, exec_lo
	v_cmpx_ne_u16_e32 0, v8
	s_cbranch_execz .LBB370_2018
; %bb.2011:                             ;   in Loop: Header=BB370_1574 Depth=1
	v_bfrev_b32_e32 v7, 1
	s_mov_b32 s17, exec_lo
	v_cmpx_ne_u16_e32 0x80, v8
	s_cbranch_execz .LBB370_2017
; %bb.2012:                             ;   in Loop: Header=BB370_1574 Depth=1
	v_and_b32_e32 v9, 0xffff, v8
	v_mov_b32_e32 v7, 0x7f800001
	s_mov_b32 s18, exec_lo
	s_delay_alu instid0(VALU_DEP_2) | instskip(NEXT) | instid1(VALU_DEP_1)
	v_and_b32_e32 v8, 0x7f, v9
	v_cmpx_ne_u32_e32 0x7f, v8
	s_cbranch_execz .LBB370_2016
; %bb.2013:                             ;   in Loop: Header=BB370_1574 Depth=1
	v_dual_mov_b32 v53, v23 :: v_dual_bitop2_b32 v52, 7, v9 bitop3:0x40
	v_lshrrev_b32_e32 v7, 3, v8
	s_mov_b32 s19, exec_lo
	v_cmpx_gt_u32_e32 8, v8
; %bb.2014:                             ;   in Loop: Header=BB370_1574 Depth=1
	s_delay_alu instid0(VALU_DEP_3) | instskip(NEXT) | instid1(VALU_DEP_1)
	v_clz_i32_u32_e32 v7, v52
	v_min_u32_e32 v7, 32, v7
	s_delay_alu instid0(VALU_DEP_1) | instskip(NEXT) | instid1(VALU_DEP_1)
	v_subrev_nc_u32_e32 v8, 28, v7
	v_lshlrev_b64_e32 v[8:9], v8, v[52:53]
	s_delay_alu instid0(VALU_DEP_1)
	v_dual_sub_nc_u32 v7, 29, v7 :: v_dual_bitop2_b32 v52, 7, v8 bitop3:0x40
; %bb.2015:                             ;   in Loop: Header=BB370_1574 Depth=1
	s_or_b32 exec_lo, exec_lo, s19
	s_delay_alu instid0(VALU_DEP_1) | instskip(NEXT) | instid1(VALU_DEP_2)
	v_dual_lshlrev_b32 v8, 16, v22 :: v_dual_lshlrev_b32 v9, 20, v52
	v_lshl_add_u32 v7, v7, 23, 0x3c000000
	s_delay_alu instid0(VALU_DEP_2) | instskip(NEXT) | instid1(VALU_DEP_1)
	v_and_b32_e32 v8, 0x80000000, v8
	v_or3_b32 v7, v9, v8, v7
.LBB370_2016:                           ;   in Loop: Header=BB370_1574 Depth=1
	s_or_b32 exec_lo, exec_lo, s18
.LBB370_2017:                           ;   in Loop: Header=BB370_1574 Depth=1
	s_delay_alu instid0(SALU_CYCLE_1)
	s_or_b32 exec_lo, exec_lo, s17
.LBB370_2018:                           ;   in Loop: Header=BB370_1574 Depth=1
	s_delay_alu instid0(SALU_CYCLE_1) | instskip(SKIP_3) | instid1(VALU_DEP_2)
	s_or_b32 exec_lo, exec_lo, s16
	v_dual_lshrrev_b32 v10, 16, v19 :: v_dual_mov_b32 v8, 0
	v_mov_b32_e32 v9, 0
	s_mov_b32 s16, exec_lo
	v_and_b32_e32 v11, 0xff, v10
	s_delay_alu instid0(VALU_DEP_1)
	v_cmpx_ne_u16_e32 0, v11
	s_cbranch_execz .LBB370_2026
; %bb.2019:                             ;   in Loop: Header=BB370_1574 Depth=1
	v_bfrev_b32_e32 v9, 1
	s_mov_b32 s17, exec_lo
	v_cmpx_ne_u16_e32 0x80, v11
	s_cbranch_execz .LBB370_2025
; %bb.2020:                             ;   in Loop: Header=BB370_1574 Depth=1
	v_bfe_u32 v11, v19, 16, 7
	v_mov_b32_e32 v9, 0x7f800001
	s_mov_b32 s18, exec_lo
	s_delay_alu instid0(VALU_DEP_2)
	v_cmpx_ne_u32_e32 0x7f, v11
	s_cbranch_execz .LBB370_2024
; %bb.2021:                             ;   in Loop: Header=BB370_1574 Depth=1
	v_dual_lshrrev_b32 v9, 3, v11 :: v_dual_bitop2_b32 v22, 7, v10 bitop3:0x40
	s_mov_b32 s19, exec_lo
	s_delay_alu instid0(VALU_DEP_1)
	v_mov_b64_e32 v[52:53], v[22:23]
	v_cmpx_gt_u32_e32 8, v11
; %bb.2022:                             ;   in Loop: Header=BB370_1574 Depth=1
	v_clz_i32_u32_e32 v9, v22
	s_delay_alu instid0(VALU_DEP_1) | instskip(NEXT) | instid1(VALU_DEP_1)
	v_min_u32_e32 v9, 32, v9
	v_subrev_nc_u32_e32 v11, 28, v9
	s_delay_alu instid0(VALU_DEP_1) | instskip(NEXT) | instid1(VALU_DEP_1)
	v_lshlrev_b64_e32 v[48:49], v11, v[22:23]
	v_dual_sub_nc_u32 v9, 29, v9 :: v_dual_bitop2_b32 v52, 7, v48 bitop3:0x40
; %bb.2023:                             ;   in Loop: Header=BB370_1574 Depth=1
	s_or_b32 exec_lo, exec_lo, s19
	s_delay_alu instid0(VALU_DEP_1) | instskip(NEXT) | instid1(VALU_DEP_2)
	v_dual_lshlrev_b32 v10, 24, v10 :: v_dual_lshlrev_b32 v11, 20, v52
	v_lshl_add_u32 v9, v9, 23, 0x3c000000
	s_delay_alu instid0(VALU_DEP_2) | instskip(NEXT) | instid1(VALU_DEP_1)
	v_and_b32_e32 v10, 0x80000000, v10
	v_or3_b32 v9, v11, v10, v9
.LBB370_2024:                           ;   in Loop: Header=BB370_1574 Depth=1
	s_or_b32 exec_lo, exec_lo, s18
.LBB370_2025:                           ;   in Loop: Header=BB370_1574 Depth=1
	s_delay_alu instid0(SALU_CYCLE_1)
	s_or_b32 exec_lo, exec_lo, s17
.LBB370_2026:                           ;   in Loop: Header=BB370_1574 Depth=1
	s_delay_alu instid0(SALU_CYCLE_1) | instskip(NEXT) | instid1(SALU_CYCLE_1)
	s_or_b32 exec_lo, exec_lo, s16
	s_mov_b32 s16, exec_lo
	v_cmpx_lt_u64_e64 s[2:3], v[18:19]
	s_cbranch_execz .LBB370_2034
; %bb.2027:                             ;   in Loop: Header=BB370_1574 Depth=1
	v_lshrrev_b32_e32 v10, 24, v19
	v_bfrev_b32_e32 v8, 1
	s_mov_b32 s17, exec_lo
	s_delay_alu instid0(VALU_DEP_2)
	v_cmpx_ne_u32_e32 0x80, v10
	s_cbranch_execz .LBB370_2033
; %bb.2028:                             ;   in Loop: Header=BB370_1574 Depth=1
	v_bfe_u32 v11, v19, 24, 7
	v_mov_b32_e32 v8, 0x7f800001
	s_mov_b32 s18, exec_lo
	s_delay_alu instid0(VALU_DEP_2)
	v_cmpx_ne_u32_e32 0x7f, v11
	s_cbranch_execz .LBB370_2032
; %bb.2029:                             ;   in Loop: Header=BB370_1574 Depth=1
	v_dual_lshrrev_b32 v8, 3, v11 :: v_dual_bitop2_b32 v22, 7, v10 bitop3:0x40
	s_mov_b32 s19, exec_lo
	s_delay_alu instid0(VALU_DEP_1)
	v_mov_b64_e32 v[18:19], v[22:23]
	v_cmpx_gt_u32_e32 8, v11
; %bb.2030:                             ;   in Loop: Header=BB370_1574 Depth=1
	v_clz_i32_u32_e32 v8, v22
	s_delay_alu instid0(VALU_DEP_1) | instskip(NEXT) | instid1(VALU_DEP_1)
	v_min_u32_e32 v8, 32, v8
	v_subrev_nc_u32_e32 v11, 28, v8
	s_delay_alu instid0(VALU_DEP_1) | instskip(NEXT) | instid1(VALU_DEP_1)
	v_lshlrev_b64_e32 v[18:19], v11, v[22:23]
	v_dual_sub_nc_u32 v8, 29, v8 :: v_dual_bitop2_b32 v18, 7, v18 bitop3:0x40
; %bb.2031:                             ;   in Loop: Header=BB370_1574 Depth=1
	s_or_b32 exec_lo, exec_lo, s19
	v_lshlrev_b32_e32 v10, 24, v10
	s_delay_alu instid0(VALU_DEP_2) | instskip(NEXT) | instid1(VALU_DEP_3)
	v_lshlrev_b32_e32 v11, 20, v18
	v_lshl_add_u32 v8, v8, 23, 0x3c000000
	s_delay_alu instid0(VALU_DEP_3) | instskip(NEXT) | instid1(VALU_DEP_1)
	v_and_b32_e32 v10, 0x80000000, v10
	v_or3_b32 v8, v11, v10, v8
.LBB370_2032:                           ;   in Loop: Header=BB370_1574 Depth=1
	s_or_b32 exec_lo, exec_lo, s18
.LBB370_2033:                           ;   in Loop: Header=BB370_1574 Depth=1
	s_delay_alu instid0(SALU_CYCLE_1)
	s_or_b32 exec_lo, exec_lo, s17
.LBB370_2034:                           ;   in Loop: Header=BB370_1574 Depth=1
	s_delay_alu instid0(SALU_CYCLE_1)
	s_or_b32 exec_lo, exec_lo, s16
	v_fma_mixlo_bf16 v2, v64, v2, 0
	v_fma_mixlo_bf16 v7, v64, v7, 0
	v_fma_mixlo_bf16 v6, v64, v6, 0
	v_fma_mixlo_bf16 v5, v64, v5, 0
	v_fma_mixlo_bf16 v4, v64, v4, 0
	scratch_store_b32 off, v2, s32 offset:544 ; 4-byte Folded Spill
	s_wait_xcnt 0x0
	v_fma_mixlo_bf16 v2, v64, v9, 0
	s_clause 0x1
	scratch_store_b32 off, v7, s32 offset:504
	scratch_store_b32 off, v6, s32 offset:508
	v_fma_mixlo_bf16 v3, v64, v3, 0
	s_clause 0x1
	scratch_store_b32 off, v5, s32 offset:520
	scratch_store_b32 off, v2, s32 offset:512
	s_wait_xcnt 0x0
	v_fma_mixlo_bf16 v2, v64, v8, 0
	s_clause 0x2
	scratch_store_b32 off, v4, s32 offset:528
	scratch_store_b32 off, v3, s32 offset:536
	;; [unrolled: 1-line block ×3, first 2 shown]
	s_wait_xcnt 0x0
	s_and_saveexec_b32 s16, vcc_lo
	s_cbranch_execz .LBB370_2036
; %bb.2035:                             ;   in Loop: Header=BB370_1574 Depth=1
	scratch_load_b32 v2, off, s32 offset:544 ; 4-byte Folded Reload
	v_cmp_lt_i32_e64 s0, v113, v88
	s_wait_loadcnt 0x0
	s_delay_alu instid0(VALU_DEP_1)
	v_cndmask_b32_e64 v2, 0, v2, s0
	v_cmp_lt_i32_e64 s0, v56, v88
	s_clause 0x1
	scratch_store_b32 off, v2, s32 offset:544
	scratch_load_b32 v2, off, s32 offset:536
	s_wait_loadcnt 0x0
	v_cndmask_b32_e64 v2, 0, v2, s0
	v_cmp_lt_i32_e64 s0, v47, v88
	s_clause 0x1
	scratch_store_b32 off, v2, s32 offset:536
	scratch_load_b32 v2, off, s32 offset:528
	s_wait_loadcnt 0x0
	v_cndmask_b32_e64 v2, 0, v2, s0
	v_cmp_lt_i32_e64 s0, v46, v88
	s_clause 0x1
	scratch_store_b32 off, v2, s32 offset:528
	scratch_load_b32 v2, off, s32 offset:520
	s_wait_loadcnt 0x0
	v_cndmask_b32_e64 v2, 0, v2, s0
	v_cmp_lt_i32_e64 s0, v45, v88
	s_clause 0x1
	scratch_store_b32 off, v2, s32 offset:520
	scratch_load_b32 v2, off, s32 offset:508
	s_wait_loadcnt 0x0
	v_cndmask_b32_e64 v2, 0, v2, s0
	v_cmp_lt_i32_e64 s0, v44, v88
	s_clause 0x1
	scratch_store_b32 off, v2, s32 offset:508
	scratch_load_b32 v2, off, s32 offset:504
	s_wait_loadcnt 0x0
	v_cndmask_b32_e64 v2, 0, v2, s0
	v_cmp_lt_i32_e64 s0, v43, v88
	s_clause 0x1
	scratch_store_b32 off, v2, s32 offset:504
	scratch_load_b32 v2, off, s32 offset:512
	s_wait_loadcnt 0x0
	v_cndmask_b32_e64 v2, 0, v2, s0
	v_cmp_lt_i32_e64 s0, v42, v88
	s_clause 0x1
	scratch_store_b32 off, v2, s32 offset:512
	scratch_load_b32 v2, off, s32 offset:516
	s_wait_loadcnt 0x0
	v_cndmask_b32_e64 v2, 0, v2, s0
	scratch_store_b32 off, v2, s32 offset:516 ; 4-byte Folded Spill
.LBB370_2036:                           ;   in Loop: Header=BB370_1574 Depth=1
	s_wait_xcnt 0x0
	s_or_b32 exec_lo, exec_lo, s16
	flat_load_b64 v[18:19], v[0:1] offset:1792
	v_dual_mov_b32 v3, 0 :: v_dual_mov_b32 v2, 0
	s_mov_b32 s16, exec_lo
	s_wait_loadcnt_dscnt 0x0
	v_and_b32_e32 v4, 0xff, v18
	s_wait_xcnt 0x0
	s_delay_alu instid0(VALU_DEP_1)
	v_cmpx_ne_u16_e32 0, v4
	s_cbranch_execz .LBB370_2044
; %bb.2037:                             ;   in Loop: Header=BB370_1574 Depth=1
	v_bfrev_b32_e32 v2, 1
	s_mov_b32 s17, exec_lo
	v_cmpx_ne_u16_e32 0x80, v4
	s_cbranch_execz .LBB370_2043
; %bb.2038:                             ;   in Loop: Header=BB370_1574 Depth=1
	v_and_b32_e32 v4, 0x7f, v18
	v_mov_b32_e32 v2, 0x7f800001
	s_mov_b32 s18, exec_lo
	s_delay_alu instid0(VALU_DEP_2)
	v_cmpx_ne_u32_e32 0x7f, v4
	s_cbranch_execz .LBB370_2042
; %bb.2039:                             ;   in Loop: Header=BB370_1574 Depth=1
	v_mov_b64_e32 v[52:53], v[18:19]
	v_lshrrev_b32_e32 v2, 3, v4
	s_mov_b32 s19, exec_lo
	v_cmpx_gt_u32_e32 8, v4
; %bb.2040:                             ;   in Loop: Header=BB370_1574 Depth=1
	v_and_b32_e32 v2, 7, v18
	s_delay_alu instid0(VALU_DEP_1) | instskip(NEXT) | instid1(VALU_DEP_1)
	v_clz_i32_u32_e32 v2, v2
	v_min_u32_e32 v2, 32, v2
	s_delay_alu instid0(VALU_DEP_1) | instskip(SKIP_1) | instid1(VALU_DEP_2)
	v_subrev_nc_u32_e32 v4, 28, v2
	v_sub_nc_u32_e32 v2, 29, v2
	v_lshlrev_b64_e32 v[52:53], v4, v[18:19]
; %bb.2041:                             ;   in Loop: Header=BB370_1574 Depth=1
	s_or_b32 exec_lo, exec_lo, s19
	s_delay_alu instid0(VALU_DEP_1) | instskip(NEXT) | instid1(VALU_DEP_3)
	v_dual_lshlrev_b32 v4, 20, v52 :: v_dual_lshlrev_b32 v5, 24, v18
	v_lshl_add_u32 v2, v2, 23, 0x3c000000
	s_delay_alu instid0(VALU_DEP_2) | instskip(NEXT) | instid1(VALU_DEP_3)
	v_and_b32_e32 v4, 0x700000, v4
	v_and_b32_e32 v5, 0x80000000, v5
	s_delay_alu instid0(VALU_DEP_1)
	v_or3_b32 v2, v4, v5, v2
.LBB370_2042:                           ;   in Loop: Header=BB370_1574 Depth=1
	s_or_b32 exec_lo, exec_lo, s18
.LBB370_2043:                           ;   in Loop: Header=BB370_1574 Depth=1
	s_delay_alu instid0(SALU_CYCLE_1)
	s_or_b32 exec_lo, exec_lo, s17
.LBB370_2044:                           ;   in Loop: Header=BB370_1574 Depth=1
	s_delay_alu instid0(SALU_CYCLE_1) | instskip(SKIP_2) | instid1(VALU_DEP_1)
	s_or_b32 exec_lo, exec_lo, s16
	v_lshrrev_b16 v4, 8, v18
	s_mov_b32 s16, exec_lo
	v_cmpx_ne_u16_e32 0, v4
	s_cbranch_execz .LBB370_2052
; %bb.2045:                             ;   in Loop: Header=BB370_1574 Depth=1
	v_bfrev_b32_e32 v3, 1
	s_mov_b32 s17, exec_lo
	v_cmpx_ne_u16_e32 0x80, v4
	s_cbranch_execz .LBB370_2051
; %bb.2046:                             ;   in Loop: Header=BB370_1574 Depth=1
	v_and_b32_e32 v5, 0xffff, v4
	v_mov_b32_e32 v3, 0x7f800001
	s_mov_b32 s18, exec_lo
	s_delay_alu instid0(VALU_DEP_2) | instskip(NEXT) | instid1(VALU_DEP_1)
	v_and_b32_e32 v4, 0x7f, v5
	v_cmpx_ne_u32_e32 0x7f, v4
	s_cbranch_execz .LBB370_2050
; %bb.2047:                             ;   in Loop: Header=BB370_1574 Depth=1
	v_dual_lshrrev_b32 v3, 3, v4 :: v_dual_bitop2_b32 v22, 7, v5 bitop3:0x40
	s_mov_b32 s19, exec_lo
	s_delay_alu instid0(VALU_DEP_1)
	v_mov_b64_e32 v[52:53], v[22:23]
	v_cmpx_gt_u32_e32 8, v4
; %bb.2048:                             ;   in Loop: Header=BB370_1574 Depth=1
	v_clz_i32_u32_e32 v3, v22
	s_delay_alu instid0(VALU_DEP_1) | instskip(NEXT) | instid1(VALU_DEP_1)
	v_min_u32_e32 v3, 32, v3
	v_subrev_nc_u32_e32 v4, 28, v3
	s_delay_alu instid0(VALU_DEP_1) | instskip(NEXT) | instid1(VALU_DEP_1)
	v_lshlrev_b64_e32 v[4:5], v4, v[22:23]
	v_dual_sub_nc_u32 v3, 29, v3 :: v_dual_bitop2_b32 v52, 7, v4 bitop3:0x40
; %bb.2049:                             ;   in Loop: Header=BB370_1574 Depth=1
	s_or_b32 exec_lo, exec_lo, s19
	s_delay_alu instid0(VALU_DEP_1) | instskip(NEXT) | instid1(VALU_DEP_2)
	v_dual_lshlrev_b32 v4, 16, v18 :: v_dual_lshlrev_b32 v5, 20, v52
	v_lshl_add_u32 v3, v3, 23, 0x3c000000
	s_delay_alu instid0(VALU_DEP_2) | instskip(NEXT) | instid1(VALU_DEP_1)
	v_and_b32_e32 v4, 0x80000000, v4
	v_or3_b32 v3, v5, v4, v3
.LBB370_2050:                           ;   in Loop: Header=BB370_1574 Depth=1
	s_or_b32 exec_lo, exec_lo, s18
.LBB370_2051:                           ;   in Loop: Header=BB370_1574 Depth=1
	s_delay_alu instid0(SALU_CYCLE_1)
	s_or_b32 exec_lo, exec_lo, s17
.LBB370_2052:                           ;   in Loop: Header=BB370_1574 Depth=1
	s_delay_alu instid0(SALU_CYCLE_1) | instskip(SKIP_3) | instid1(VALU_DEP_2)
	s_or_b32 exec_lo, exec_lo, s16
	v_dual_mov_b32 v5, 0 :: v_dual_lshrrev_b32 v6, 16, v18
	v_mov_b32_e32 v4, 0
	s_mov_b32 s16, exec_lo
	v_and_b32_e32 v7, 0xff, v6
	s_delay_alu instid0(VALU_DEP_1)
	v_cmpx_ne_u16_e32 0, v7
	s_cbranch_execz .LBB370_2060
; %bb.2053:                             ;   in Loop: Header=BB370_1574 Depth=1
	v_bfrev_b32_e32 v4, 1
	s_mov_b32 s17, exec_lo
	v_cmpx_ne_u16_e32 0x80, v7
	s_cbranch_execz .LBB370_2059
; %bb.2054:                             ;   in Loop: Header=BB370_1574 Depth=1
	v_bfe_u32 v7, v18, 16, 7
	v_mov_b32_e32 v4, 0x7f800001
	s_mov_b32 s18, exec_lo
	s_delay_alu instid0(VALU_DEP_2)
	v_cmpx_ne_u32_e32 0x7f, v7
	s_cbranch_execz .LBB370_2058
; %bb.2055:                             ;   in Loop: Header=BB370_1574 Depth=1
	v_dual_lshrrev_b32 v4, 3, v7 :: v_dual_bitop2_b32 v22, 7, v6 bitop3:0x40
	s_mov_b32 s19, exec_lo
	s_delay_alu instid0(VALU_DEP_1)
	v_mov_b64_e32 v[52:53], v[22:23]
	v_cmpx_gt_u32_e32 8, v7
; %bb.2056:                             ;   in Loop: Header=BB370_1574 Depth=1
	v_clz_i32_u32_e32 v4, v22
	s_delay_alu instid0(VALU_DEP_1) | instskip(NEXT) | instid1(VALU_DEP_1)
	v_min_u32_e32 v4, 32, v4
	v_subrev_nc_u32_e32 v7, 28, v4
	v_sub_nc_u32_e32 v4, 29, v4
	s_delay_alu instid0(VALU_DEP_2) | instskip(NEXT) | instid1(VALU_DEP_1)
	v_lshlrev_b64_e32 v[8:9], v7, v[22:23]
	v_and_b32_e32 v52, 7, v8
; %bb.2057:                             ;   in Loop: Header=BB370_1574 Depth=1
	s_or_b32 exec_lo, exec_lo, s19
	s_delay_alu instid0(VALU_DEP_1) | instskip(SKIP_1) | instid1(VALU_DEP_2)
	v_dual_lshlrev_b32 v6, 24, v6 :: v_dual_lshlrev_b32 v7, 20, v52
	v_lshl_add_u32 v4, v4, 23, 0x3c000000
	v_and_b32_e32 v6, 0x80000000, v6
	s_delay_alu instid0(VALU_DEP_1)
	v_or3_b32 v4, v7, v6, v4
.LBB370_2058:                           ;   in Loop: Header=BB370_1574 Depth=1
	s_or_b32 exec_lo, exec_lo, s18
.LBB370_2059:                           ;   in Loop: Header=BB370_1574 Depth=1
	s_delay_alu instid0(SALU_CYCLE_1)
	s_or_b32 exec_lo, exec_lo, s17
.LBB370_2060:                           ;   in Loop: Header=BB370_1574 Depth=1
	s_delay_alu instid0(SALU_CYCLE_1) | instskip(NEXT) | instid1(SALU_CYCLE_1)
	s_or_b32 exec_lo, exec_lo, s16
	s_mov_b32 s16, exec_lo
	v_cmpx_lt_u32_e32 0xffffff, v18
	s_cbranch_execz .LBB370_2068
; %bb.2061:                             ;   in Loop: Header=BB370_1574 Depth=1
	v_lshrrev_b32_e32 v6, 24, v18
	v_bfrev_b32_e32 v5, 1
	s_mov_b32 s17, exec_lo
	s_delay_alu instid0(VALU_DEP_2)
	v_cmpx_ne_u32_e32 0x80, v6
	s_cbranch_execz .LBB370_2067
; %bb.2062:                             ;   in Loop: Header=BB370_1574 Depth=1
	v_bfe_u32 v7, v18, 24, 7
	v_mov_b32_e32 v5, 0x7f800001
	s_mov_b32 s18, exec_lo
	s_delay_alu instid0(VALU_DEP_2)
	v_cmpx_ne_u32_e32 0x7f, v7
	s_cbranch_execz .LBB370_2066
; %bb.2063:                             ;   in Loop: Header=BB370_1574 Depth=1
	v_dual_lshrrev_b32 v5, 3, v7 :: v_dual_bitop2_b32 v22, 7, v6 bitop3:0x40
	s_mov_b32 s19, exec_lo
	s_delay_alu instid0(VALU_DEP_1)
	v_mov_b64_e32 v[52:53], v[22:23]
	v_cmpx_gt_u32_e32 8, v7
; %bb.2064:                             ;   in Loop: Header=BB370_1574 Depth=1
	v_clz_i32_u32_e32 v5, v22
	s_delay_alu instid0(VALU_DEP_1) | instskip(NEXT) | instid1(VALU_DEP_1)
	v_min_u32_e32 v5, 32, v5
	v_subrev_nc_u32_e32 v7, 28, v5
	s_delay_alu instid0(VALU_DEP_1) | instskip(NEXT) | instid1(VALU_DEP_1)
	v_lshlrev_b64_e32 v[8:9], v7, v[22:23]
	v_dual_sub_nc_u32 v5, 29, v5 :: v_dual_bitop2_b32 v52, 7, v8 bitop3:0x40
; %bb.2065:                             ;   in Loop: Header=BB370_1574 Depth=1
	s_or_b32 exec_lo, exec_lo, s19
	s_delay_alu instid0(VALU_DEP_1) | instskip(NEXT) | instid1(VALU_DEP_2)
	v_dual_lshlrev_b32 v6, 24, v6 :: v_dual_lshlrev_b32 v7, 20, v52
	v_lshl_add_u32 v5, v5, 23, 0x3c000000
	s_delay_alu instid0(VALU_DEP_2) | instskip(NEXT) | instid1(VALU_DEP_1)
	v_and_b32_e32 v6, 0x80000000, v6
	v_or3_b32 v5, v7, v6, v5
.LBB370_2066:                           ;   in Loop: Header=BB370_1574 Depth=1
	s_or_b32 exec_lo, exec_lo, s18
.LBB370_2067:                           ;   in Loop: Header=BB370_1574 Depth=1
	s_delay_alu instid0(SALU_CYCLE_1)
	s_or_b32 exec_lo, exec_lo, s17
.LBB370_2068:                           ;   in Loop: Header=BB370_1574 Depth=1
	s_delay_alu instid0(SALU_CYCLE_1) | instskip(SKIP_4) | instid1(VALU_DEP_3)
	s_or_b32 exec_lo, exec_lo, s16
	v_and_b32_e32 v8, 0xff, v19
	v_dual_mov_b32 v22, v19 :: v_dual_mov_b32 v7, 0
	v_mov_b32_e32 v6, 0
	s_mov_b32 s16, exec_lo
	v_cmpx_ne_u16_e32 0, v8
	s_cbranch_execz .LBB370_2076
; %bb.2069:                             ;   in Loop: Header=BB370_1574 Depth=1
	v_bfrev_b32_e32 v6, 1
	s_mov_b32 s17, exec_lo
	v_cmpx_ne_u16_e32 0x80, v8
	s_cbranch_execz .LBB370_2075
; %bb.2070:                             ;   in Loop: Header=BB370_1574 Depth=1
	v_and_b32_e32 v8, 0x7f, v19
	v_mov_b32_e32 v6, 0x7f800001
	s_mov_b32 s18, exec_lo
	s_delay_alu instid0(VALU_DEP_2)
	v_cmpx_ne_u32_e32 0x7f, v8
	s_cbranch_execz .LBB370_2074
; %bb.2071:                             ;   in Loop: Header=BB370_1574 Depth=1
	v_mov_b64_e32 v[52:53], v[22:23]
	v_lshrrev_b32_e32 v6, 3, v8
	s_mov_b32 s19, exec_lo
	v_cmpx_gt_u32_e32 8, v8
; %bb.2072:                             ;   in Loop: Header=BB370_1574 Depth=1
	v_and_b32_e32 v6, 7, v19
	s_delay_alu instid0(VALU_DEP_1) | instskip(NEXT) | instid1(VALU_DEP_1)
	v_clz_i32_u32_e32 v6, v6
	v_min_u32_e32 v6, 32, v6
	s_delay_alu instid0(VALU_DEP_1) | instskip(SKIP_1) | instid1(VALU_DEP_2)
	v_subrev_nc_u32_e32 v8, 28, v6
	v_sub_nc_u32_e32 v6, 29, v6
	v_lshlrev_b64_e32 v[52:53], v8, v[22:23]
; %bb.2073:                             ;   in Loop: Header=BB370_1574 Depth=1
	s_or_b32 exec_lo, exec_lo, s19
	s_delay_alu instid0(VALU_DEP_1) | instskip(NEXT) | instid1(VALU_DEP_3)
	v_dual_lshlrev_b32 v8, 20, v52 :: v_dual_lshlrev_b32 v9, 24, v22
	v_lshl_add_u32 v6, v6, 23, 0x3c000000
	s_delay_alu instid0(VALU_DEP_2) | instskip(NEXT) | instid1(VALU_DEP_3)
	v_and_b32_e32 v8, 0x700000, v8
	v_and_b32_e32 v9, 0x80000000, v9
	s_delay_alu instid0(VALU_DEP_1)
	v_or3_b32 v6, v8, v9, v6
.LBB370_2074:                           ;   in Loop: Header=BB370_1574 Depth=1
	s_or_b32 exec_lo, exec_lo, s18
.LBB370_2075:                           ;   in Loop: Header=BB370_1574 Depth=1
	s_delay_alu instid0(SALU_CYCLE_1)
	s_or_b32 exec_lo, exec_lo, s17
.LBB370_2076:                           ;   in Loop: Header=BB370_1574 Depth=1
	s_delay_alu instid0(SALU_CYCLE_1) | instskip(SKIP_2) | instid1(VALU_DEP_1)
	s_or_b32 exec_lo, exec_lo, s16
	v_lshrrev_b16 v8, 8, v22
	s_mov_b32 s16, exec_lo
	v_cmpx_ne_u16_e32 0, v8
	s_cbranch_execz .LBB370_2084
; %bb.2077:                             ;   in Loop: Header=BB370_1574 Depth=1
	v_bfrev_b32_e32 v7, 1
	s_mov_b32 s17, exec_lo
	v_cmpx_ne_u16_e32 0x80, v8
	s_cbranch_execz .LBB370_2083
; %bb.2078:                             ;   in Loop: Header=BB370_1574 Depth=1
	v_and_b32_e32 v9, 0xffff, v8
	v_mov_b32_e32 v7, 0x7f800001
	s_mov_b32 s18, exec_lo
	s_delay_alu instid0(VALU_DEP_2) | instskip(NEXT) | instid1(VALU_DEP_1)
	v_and_b32_e32 v8, 0x7f, v9
	v_cmpx_ne_u32_e32 0x7f, v8
	s_cbranch_execz .LBB370_2082
; %bb.2079:                             ;   in Loop: Header=BB370_1574 Depth=1
	v_dual_mov_b32 v53, v23 :: v_dual_bitop2_b32 v52, 7, v9 bitop3:0x40
	v_lshrrev_b32_e32 v7, 3, v8
	s_mov_b32 s19, exec_lo
	v_cmpx_gt_u32_e32 8, v8
; %bb.2080:                             ;   in Loop: Header=BB370_1574 Depth=1
	s_delay_alu instid0(VALU_DEP_3) | instskip(NEXT) | instid1(VALU_DEP_1)
	v_clz_i32_u32_e32 v7, v52
	v_min_u32_e32 v7, 32, v7
	s_delay_alu instid0(VALU_DEP_1) | instskip(NEXT) | instid1(VALU_DEP_1)
	v_subrev_nc_u32_e32 v8, 28, v7
	v_lshlrev_b64_e32 v[8:9], v8, v[52:53]
	s_delay_alu instid0(VALU_DEP_1)
	v_dual_sub_nc_u32 v7, 29, v7 :: v_dual_bitop2_b32 v52, 7, v8 bitop3:0x40
; %bb.2081:                             ;   in Loop: Header=BB370_1574 Depth=1
	s_or_b32 exec_lo, exec_lo, s19
	s_delay_alu instid0(VALU_DEP_1) | instskip(NEXT) | instid1(VALU_DEP_2)
	v_dual_lshlrev_b32 v8, 16, v22 :: v_dual_lshlrev_b32 v9, 20, v52
	v_lshl_add_u32 v7, v7, 23, 0x3c000000
	s_delay_alu instid0(VALU_DEP_2) | instskip(NEXT) | instid1(VALU_DEP_1)
	v_and_b32_e32 v8, 0x80000000, v8
	v_or3_b32 v7, v9, v8, v7
.LBB370_2082:                           ;   in Loop: Header=BB370_1574 Depth=1
	s_or_b32 exec_lo, exec_lo, s18
.LBB370_2083:                           ;   in Loop: Header=BB370_1574 Depth=1
	s_delay_alu instid0(SALU_CYCLE_1)
	s_or_b32 exec_lo, exec_lo, s17
.LBB370_2084:                           ;   in Loop: Header=BB370_1574 Depth=1
	s_delay_alu instid0(SALU_CYCLE_1) | instskip(SKIP_3) | instid1(VALU_DEP_2)
	s_or_b32 exec_lo, exec_lo, s16
	v_dual_lshrrev_b32 v10, 16, v19 :: v_dual_mov_b32 v8, 0
	v_mov_b32_e32 v9, 0
	s_mov_b32 s16, exec_lo
	v_and_b32_e32 v11, 0xff, v10
	s_delay_alu instid0(VALU_DEP_1)
	v_cmpx_ne_u16_e32 0, v11
	s_cbranch_execz .LBB370_2092
; %bb.2085:                             ;   in Loop: Header=BB370_1574 Depth=1
	v_bfrev_b32_e32 v9, 1
	s_mov_b32 s17, exec_lo
	v_cmpx_ne_u16_e32 0x80, v11
	s_cbranch_execz .LBB370_2091
; %bb.2086:                             ;   in Loop: Header=BB370_1574 Depth=1
	v_bfe_u32 v11, v19, 16, 7
	v_mov_b32_e32 v9, 0x7f800001
	s_mov_b32 s18, exec_lo
	s_delay_alu instid0(VALU_DEP_2)
	v_cmpx_ne_u32_e32 0x7f, v11
	s_cbranch_execz .LBB370_2090
; %bb.2087:                             ;   in Loop: Header=BB370_1574 Depth=1
	v_dual_lshrrev_b32 v9, 3, v11 :: v_dual_bitop2_b32 v22, 7, v10 bitop3:0x40
	s_mov_b32 s19, exec_lo
	s_delay_alu instid0(VALU_DEP_1)
	v_mov_b64_e32 v[52:53], v[22:23]
	v_cmpx_gt_u32_e32 8, v11
; %bb.2088:                             ;   in Loop: Header=BB370_1574 Depth=1
	v_clz_i32_u32_e32 v9, v22
	s_delay_alu instid0(VALU_DEP_1) | instskip(NEXT) | instid1(VALU_DEP_1)
	v_min_u32_e32 v9, 32, v9
	v_subrev_nc_u32_e32 v11, 28, v9
	s_delay_alu instid0(VALU_DEP_1) | instskip(NEXT) | instid1(VALU_DEP_1)
	v_lshlrev_b64_e32 v[48:49], v11, v[22:23]
	v_dual_sub_nc_u32 v9, 29, v9 :: v_dual_bitop2_b32 v52, 7, v48 bitop3:0x40
; %bb.2089:                             ;   in Loop: Header=BB370_1574 Depth=1
	s_or_b32 exec_lo, exec_lo, s19
	s_delay_alu instid0(VALU_DEP_1) | instskip(NEXT) | instid1(VALU_DEP_2)
	v_dual_lshlrev_b32 v10, 24, v10 :: v_dual_lshlrev_b32 v11, 20, v52
	v_lshl_add_u32 v9, v9, 23, 0x3c000000
	s_delay_alu instid0(VALU_DEP_2) | instskip(NEXT) | instid1(VALU_DEP_1)
	v_and_b32_e32 v10, 0x80000000, v10
	v_or3_b32 v9, v11, v10, v9
.LBB370_2090:                           ;   in Loop: Header=BB370_1574 Depth=1
	s_or_b32 exec_lo, exec_lo, s18
.LBB370_2091:                           ;   in Loop: Header=BB370_1574 Depth=1
	s_delay_alu instid0(SALU_CYCLE_1)
	s_or_b32 exec_lo, exec_lo, s17
.LBB370_2092:                           ;   in Loop: Header=BB370_1574 Depth=1
	s_delay_alu instid0(SALU_CYCLE_1) | instskip(NEXT) | instid1(SALU_CYCLE_1)
	s_or_b32 exec_lo, exec_lo, s16
	s_mov_b32 s16, exec_lo
	v_cmpx_lt_u64_e64 s[2:3], v[18:19]
	s_cbranch_execz .LBB370_2100
; %bb.2093:                             ;   in Loop: Header=BB370_1574 Depth=1
	v_lshrrev_b32_e32 v10, 24, v19
	v_bfrev_b32_e32 v8, 1
	s_mov_b32 s17, exec_lo
	s_delay_alu instid0(VALU_DEP_2)
	v_cmpx_ne_u32_e32 0x80, v10
	s_cbranch_execz .LBB370_2099
; %bb.2094:                             ;   in Loop: Header=BB370_1574 Depth=1
	v_bfe_u32 v11, v19, 24, 7
	v_mov_b32_e32 v8, 0x7f800001
	s_mov_b32 s18, exec_lo
	s_delay_alu instid0(VALU_DEP_2)
	v_cmpx_ne_u32_e32 0x7f, v11
	s_cbranch_execz .LBB370_2098
; %bb.2095:                             ;   in Loop: Header=BB370_1574 Depth=1
	v_dual_lshrrev_b32 v8, 3, v11 :: v_dual_bitop2_b32 v22, 7, v10 bitop3:0x40
	s_mov_b32 s19, exec_lo
	s_delay_alu instid0(VALU_DEP_1)
	v_mov_b64_e32 v[18:19], v[22:23]
	v_cmpx_gt_u32_e32 8, v11
; %bb.2096:                             ;   in Loop: Header=BB370_1574 Depth=1
	v_clz_i32_u32_e32 v8, v22
	s_delay_alu instid0(VALU_DEP_1) | instskip(NEXT) | instid1(VALU_DEP_1)
	v_min_u32_e32 v8, 32, v8
	v_subrev_nc_u32_e32 v11, 28, v8
	s_delay_alu instid0(VALU_DEP_1) | instskip(NEXT) | instid1(VALU_DEP_1)
	v_lshlrev_b64_e32 v[18:19], v11, v[22:23]
	v_dual_sub_nc_u32 v8, 29, v8 :: v_dual_bitop2_b32 v18, 7, v18 bitop3:0x40
; %bb.2097:                             ;   in Loop: Header=BB370_1574 Depth=1
	s_or_b32 exec_lo, exec_lo, s19
	v_lshlrev_b32_e32 v10, 24, v10
	s_delay_alu instid0(VALU_DEP_2) | instskip(NEXT) | instid1(VALU_DEP_3)
	v_lshlrev_b32_e32 v11, 20, v18
	v_lshl_add_u32 v8, v8, 23, 0x3c000000
	s_delay_alu instid0(VALU_DEP_3) | instskip(NEXT) | instid1(VALU_DEP_1)
	v_and_b32_e32 v10, 0x80000000, v10
	v_or3_b32 v8, v11, v10, v8
.LBB370_2098:                           ;   in Loop: Header=BB370_1574 Depth=1
	s_or_b32 exec_lo, exec_lo, s18
.LBB370_2099:                           ;   in Loop: Header=BB370_1574 Depth=1
	s_delay_alu instid0(SALU_CYCLE_1)
	s_or_b32 exec_lo, exec_lo, s17
.LBB370_2100:                           ;   in Loop: Header=BB370_1574 Depth=1
	s_delay_alu instid0(SALU_CYCLE_1)
	s_or_b32 exec_lo, exec_lo, s16
	v_fma_mixlo_bf16 v2, v64, v2, 0
	v_fma_mixlo_bf16 v7, v64, v7, 0
	;; [unrolled: 1-line block ×5, first 2 shown]
	scratch_store_b32 off, v2, s32 offset:608 ; 4-byte Folded Spill
	s_wait_xcnt 0x0
	v_fma_mixlo_bf16 v2, v64, v9, 0
	s_clause 0x1
	scratch_store_b32 off, v7, s32 offset:552
	scratch_store_b32 off, v6, s32 offset:560
	v_fma_mixlo_bf16 v3, v64, v3, 0
	s_clause 0x1
	scratch_store_b32 off, v5, s32 offset:584
	scratch_store_b32 off, v2, s32 offset:568
	s_wait_xcnt 0x0
	v_fma_mixlo_bf16 v2, v64, v8, 0
	s_clause 0x2
	scratch_store_b32 off, v4, s32 offset:592
	scratch_store_b32 off, v3, s32 offset:600
	;; [unrolled: 1-line block ×3, first 2 shown]
	s_wait_xcnt 0x0
	s_and_saveexec_b32 s16, vcc_lo
	s_cbranch_execz .LBB370_2102
; %bb.2101:                             ;   in Loop: Header=BB370_1574 Depth=1
	scratch_load_b32 v2, off, s32 offset:608 ; 4-byte Folded Reload
	v_cmp_lt_i32_e64 s0, v113, v88
	s_wait_loadcnt 0x0
	s_delay_alu instid0(VALU_DEP_1)
	v_cndmask_b32_e64 v2, 0, v2, s0
	v_cmp_lt_i32_e64 s0, v56, v88
	s_clause 0x1
	scratch_store_b32 off, v2, s32 offset:608
	scratch_load_b32 v2, off, s32 offset:600
	s_wait_loadcnt 0x0
	v_cndmask_b32_e64 v2, 0, v2, s0
	v_cmp_lt_i32_e64 s0, v47, v88
	s_clause 0x1
	scratch_store_b32 off, v2, s32 offset:600
	scratch_load_b32 v2, off, s32 offset:592
	s_wait_loadcnt 0x0
	;; [unrolled: 6-line block ×7, first 2 shown]
	v_cndmask_b32_e64 v2, 0, v2, s0
	scratch_store_b32 off, v2, s32 offset:576 ; 4-byte Folded Spill
.LBB370_2102:                           ;   in Loop: Header=BB370_1574 Depth=1
	s_wait_xcnt 0x0
	s_or_b32 exec_lo, exec_lo, s16
	flat_load_b64 v[18:19], v[0:1] offset:2048
	v_dual_mov_b32 v3, 0 :: v_dual_mov_b32 v2, 0
	s_mov_b32 s16, exec_lo
	s_wait_loadcnt_dscnt 0x0
	v_and_b32_e32 v4, 0xff, v18
	s_wait_xcnt 0x0
	s_delay_alu instid0(VALU_DEP_1)
	v_cmpx_ne_u16_e32 0, v4
	s_cbranch_execz .LBB370_2110
; %bb.2103:                             ;   in Loop: Header=BB370_1574 Depth=1
	v_bfrev_b32_e32 v2, 1
	s_mov_b32 s17, exec_lo
	v_cmpx_ne_u16_e32 0x80, v4
	s_cbranch_execz .LBB370_2109
; %bb.2104:                             ;   in Loop: Header=BB370_1574 Depth=1
	v_and_b32_e32 v4, 0x7f, v18
	v_mov_b32_e32 v2, 0x7f800001
	s_mov_b32 s18, exec_lo
	s_delay_alu instid0(VALU_DEP_2)
	v_cmpx_ne_u32_e32 0x7f, v4
	s_cbranch_execz .LBB370_2108
; %bb.2105:                             ;   in Loop: Header=BB370_1574 Depth=1
	v_mov_b64_e32 v[52:53], v[18:19]
	v_lshrrev_b32_e32 v2, 3, v4
	s_mov_b32 s19, exec_lo
	v_cmpx_gt_u32_e32 8, v4
; %bb.2106:                             ;   in Loop: Header=BB370_1574 Depth=1
	v_and_b32_e32 v2, 7, v18
	s_delay_alu instid0(VALU_DEP_1) | instskip(NEXT) | instid1(VALU_DEP_1)
	v_clz_i32_u32_e32 v2, v2
	v_min_u32_e32 v2, 32, v2
	s_delay_alu instid0(VALU_DEP_1) | instskip(SKIP_1) | instid1(VALU_DEP_2)
	v_subrev_nc_u32_e32 v4, 28, v2
	v_sub_nc_u32_e32 v2, 29, v2
	v_lshlrev_b64_e32 v[52:53], v4, v[18:19]
; %bb.2107:                             ;   in Loop: Header=BB370_1574 Depth=1
	s_or_b32 exec_lo, exec_lo, s19
	s_delay_alu instid0(VALU_DEP_1) | instskip(NEXT) | instid1(VALU_DEP_3)
	v_dual_lshlrev_b32 v4, 20, v52 :: v_dual_lshlrev_b32 v5, 24, v18
	v_lshl_add_u32 v2, v2, 23, 0x3c000000
	s_delay_alu instid0(VALU_DEP_2) | instskip(NEXT) | instid1(VALU_DEP_3)
	v_and_b32_e32 v4, 0x700000, v4
	v_and_b32_e32 v5, 0x80000000, v5
	s_delay_alu instid0(VALU_DEP_1)
	v_or3_b32 v2, v4, v5, v2
.LBB370_2108:                           ;   in Loop: Header=BB370_1574 Depth=1
	s_or_b32 exec_lo, exec_lo, s18
.LBB370_2109:                           ;   in Loop: Header=BB370_1574 Depth=1
	s_delay_alu instid0(SALU_CYCLE_1)
	s_or_b32 exec_lo, exec_lo, s17
.LBB370_2110:                           ;   in Loop: Header=BB370_1574 Depth=1
	s_delay_alu instid0(SALU_CYCLE_1) | instskip(SKIP_2) | instid1(VALU_DEP_1)
	s_or_b32 exec_lo, exec_lo, s16
	v_lshrrev_b16 v4, 8, v18
	s_mov_b32 s16, exec_lo
	v_cmpx_ne_u16_e32 0, v4
	s_cbranch_execz .LBB370_2118
; %bb.2111:                             ;   in Loop: Header=BB370_1574 Depth=1
	v_bfrev_b32_e32 v3, 1
	s_mov_b32 s17, exec_lo
	v_cmpx_ne_u16_e32 0x80, v4
	s_cbranch_execz .LBB370_2117
; %bb.2112:                             ;   in Loop: Header=BB370_1574 Depth=1
	v_and_b32_e32 v5, 0xffff, v4
	v_mov_b32_e32 v3, 0x7f800001
	s_mov_b32 s18, exec_lo
	s_delay_alu instid0(VALU_DEP_2) | instskip(NEXT) | instid1(VALU_DEP_1)
	v_and_b32_e32 v4, 0x7f, v5
	v_cmpx_ne_u32_e32 0x7f, v4
	s_cbranch_execz .LBB370_2116
; %bb.2113:                             ;   in Loop: Header=BB370_1574 Depth=1
	v_dual_lshrrev_b32 v3, 3, v4 :: v_dual_bitop2_b32 v22, 7, v5 bitop3:0x40
	s_mov_b32 s19, exec_lo
	s_delay_alu instid0(VALU_DEP_1)
	v_mov_b64_e32 v[52:53], v[22:23]
	v_cmpx_gt_u32_e32 8, v4
; %bb.2114:                             ;   in Loop: Header=BB370_1574 Depth=1
	v_clz_i32_u32_e32 v3, v22
	s_delay_alu instid0(VALU_DEP_1) | instskip(NEXT) | instid1(VALU_DEP_1)
	v_min_u32_e32 v3, 32, v3
	v_subrev_nc_u32_e32 v4, 28, v3
	s_delay_alu instid0(VALU_DEP_1) | instskip(NEXT) | instid1(VALU_DEP_1)
	v_lshlrev_b64_e32 v[4:5], v4, v[22:23]
	v_dual_sub_nc_u32 v3, 29, v3 :: v_dual_bitop2_b32 v52, 7, v4 bitop3:0x40
; %bb.2115:                             ;   in Loop: Header=BB370_1574 Depth=1
	s_or_b32 exec_lo, exec_lo, s19
	s_delay_alu instid0(VALU_DEP_1) | instskip(NEXT) | instid1(VALU_DEP_2)
	v_dual_lshlrev_b32 v4, 16, v18 :: v_dual_lshlrev_b32 v5, 20, v52
	v_lshl_add_u32 v3, v3, 23, 0x3c000000
	s_delay_alu instid0(VALU_DEP_2) | instskip(NEXT) | instid1(VALU_DEP_1)
	v_and_b32_e32 v4, 0x80000000, v4
	v_or3_b32 v3, v5, v4, v3
.LBB370_2116:                           ;   in Loop: Header=BB370_1574 Depth=1
	s_or_b32 exec_lo, exec_lo, s18
.LBB370_2117:                           ;   in Loop: Header=BB370_1574 Depth=1
	s_delay_alu instid0(SALU_CYCLE_1)
	s_or_b32 exec_lo, exec_lo, s17
.LBB370_2118:                           ;   in Loop: Header=BB370_1574 Depth=1
	s_delay_alu instid0(SALU_CYCLE_1) | instskip(SKIP_3) | instid1(VALU_DEP_2)
	s_or_b32 exec_lo, exec_lo, s16
	v_dual_mov_b32 v5, 0 :: v_dual_lshrrev_b32 v6, 16, v18
	v_mov_b32_e32 v4, 0
	s_mov_b32 s16, exec_lo
	v_and_b32_e32 v7, 0xff, v6
	s_delay_alu instid0(VALU_DEP_1)
	v_cmpx_ne_u16_e32 0, v7
	s_cbranch_execz .LBB370_2126
; %bb.2119:                             ;   in Loop: Header=BB370_1574 Depth=1
	v_bfrev_b32_e32 v4, 1
	s_mov_b32 s17, exec_lo
	v_cmpx_ne_u16_e32 0x80, v7
	s_cbranch_execz .LBB370_2125
; %bb.2120:                             ;   in Loop: Header=BB370_1574 Depth=1
	v_bfe_u32 v7, v18, 16, 7
	v_mov_b32_e32 v4, 0x7f800001
	s_mov_b32 s18, exec_lo
	s_delay_alu instid0(VALU_DEP_2)
	v_cmpx_ne_u32_e32 0x7f, v7
	s_cbranch_execz .LBB370_2124
; %bb.2121:                             ;   in Loop: Header=BB370_1574 Depth=1
	v_dual_lshrrev_b32 v4, 3, v7 :: v_dual_bitop2_b32 v22, 7, v6 bitop3:0x40
	s_mov_b32 s19, exec_lo
	s_delay_alu instid0(VALU_DEP_1)
	v_mov_b64_e32 v[52:53], v[22:23]
	v_cmpx_gt_u32_e32 8, v7
; %bb.2122:                             ;   in Loop: Header=BB370_1574 Depth=1
	v_clz_i32_u32_e32 v4, v22
	s_delay_alu instid0(VALU_DEP_1) | instskip(NEXT) | instid1(VALU_DEP_1)
	v_min_u32_e32 v4, 32, v4
	v_subrev_nc_u32_e32 v7, 28, v4
	v_sub_nc_u32_e32 v4, 29, v4
	s_delay_alu instid0(VALU_DEP_2) | instskip(NEXT) | instid1(VALU_DEP_1)
	v_lshlrev_b64_e32 v[8:9], v7, v[22:23]
	v_and_b32_e32 v52, 7, v8
; %bb.2123:                             ;   in Loop: Header=BB370_1574 Depth=1
	s_or_b32 exec_lo, exec_lo, s19
	s_delay_alu instid0(VALU_DEP_1) | instskip(SKIP_1) | instid1(VALU_DEP_2)
	v_dual_lshlrev_b32 v6, 24, v6 :: v_dual_lshlrev_b32 v7, 20, v52
	v_lshl_add_u32 v4, v4, 23, 0x3c000000
	v_and_b32_e32 v6, 0x80000000, v6
	s_delay_alu instid0(VALU_DEP_1)
	v_or3_b32 v4, v7, v6, v4
.LBB370_2124:                           ;   in Loop: Header=BB370_1574 Depth=1
	s_or_b32 exec_lo, exec_lo, s18
.LBB370_2125:                           ;   in Loop: Header=BB370_1574 Depth=1
	s_delay_alu instid0(SALU_CYCLE_1)
	s_or_b32 exec_lo, exec_lo, s17
.LBB370_2126:                           ;   in Loop: Header=BB370_1574 Depth=1
	s_delay_alu instid0(SALU_CYCLE_1) | instskip(NEXT) | instid1(SALU_CYCLE_1)
	s_or_b32 exec_lo, exec_lo, s16
	s_mov_b32 s16, exec_lo
	v_cmpx_lt_u32_e32 0xffffff, v18
	s_cbranch_execz .LBB370_2134
; %bb.2127:                             ;   in Loop: Header=BB370_1574 Depth=1
	v_lshrrev_b32_e32 v6, 24, v18
	v_bfrev_b32_e32 v5, 1
	s_mov_b32 s17, exec_lo
	s_delay_alu instid0(VALU_DEP_2)
	v_cmpx_ne_u32_e32 0x80, v6
	s_cbranch_execz .LBB370_2133
; %bb.2128:                             ;   in Loop: Header=BB370_1574 Depth=1
	v_bfe_u32 v7, v18, 24, 7
	v_mov_b32_e32 v5, 0x7f800001
	s_mov_b32 s18, exec_lo
	s_delay_alu instid0(VALU_DEP_2)
	v_cmpx_ne_u32_e32 0x7f, v7
	s_cbranch_execz .LBB370_2132
; %bb.2129:                             ;   in Loop: Header=BB370_1574 Depth=1
	v_dual_lshrrev_b32 v5, 3, v7 :: v_dual_bitop2_b32 v22, 7, v6 bitop3:0x40
	s_mov_b32 s19, exec_lo
	s_delay_alu instid0(VALU_DEP_1)
	v_mov_b64_e32 v[52:53], v[22:23]
	v_cmpx_gt_u32_e32 8, v7
; %bb.2130:                             ;   in Loop: Header=BB370_1574 Depth=1
	v_clz_i32_u32_e32 v5, v22
	s_delay_alu instid0(VALU_DEP_1) | instskip(NEXT) | instid1(VALU_DEP_1)
	v_min_u32_e32 v5, 32, v5
	v_subrev_nc_u32_e32 v7, 28, v5
	s_delay_alu instid0(VALU_DEP_1) | instskip(NEXT) | instid1(VALU_DEP_1)
	v_lshlrev_b64_e32 v[8:9], v7, v[22:23]
	v_dual_sub_nc_u32 v5, 29, v5 :: v_dual_bitop2_b32 v52, 7, v8 bitop3:0x40
; %bb.2131:                             ;   in Loop: Header=BB370_1574 Depth=1
	s_or_b32 exec_lo, exec_lo, s19
	s_delay_alu instid0(VALU_DEP_1) | instskip(NEXT) | instid1(VALU_DEP_2)
	v_dual_lshlrev_b32 v6, 24, v6 :: v_dual_lshlrev_b32 v7, 20, v52
	v_lshl_add_u32 v5, v5, 23, 0x3c000000
	s_delay_alu instid0(VALU_DEP_2) | instskip(NEXT) | instid1(VALU_DEP_1)
	v_and_b32_e32 v6, 0x80000000, v6
	v_or3_b32 v5, v7, v6, v5
.LBB370_2132:                           ;   in Loop: Header=BB370_1574 Depth=1
	s_or_b32 exec_lo, exec_lo, s18
.LBB370_2133:                           ;   in Loop: Header=BB370_1574 Depth=1
	s_delay_alu instid0(SALU_CYCLE_1)
	s_or_b32 exec_lo, exec_lo, s17
.LBB370_2134:                           ;   in Loop: Header=BB370_1574 Depth=1
	s_delay_alu instid0(SALU_CYCLE_1) | instskip(SKIP_4) | instid1(VALU_DEP_3)
	s_or_b32 exec_lo, exec_lo, s16
	v_and_b32_e32 v8, 0xff, v19
	v_dual_mov_b32 v22, v19 :: v_dual_mov_b32 v7, 0
	v_mov_b32_e32 v6, 0
	s_mov_b32 s16, exec_lo
	v_cmpx_ne_u16_e32 0, v8
	s_cbranch_execz .LBB370_2142
; %bb.2135:                             ;   in Loop: Header=BB370_1574 Depth=1
	v_bfrev_b32_e32 v6, 1
	s_mov_b32 s17, exec_lo
	v_cmpx_ne_u16_e32 0x80, v8
	s_cbranch_execz .LBB370_2141
; %bb.2136:                             ;   in Loop: Header=BB370_1574 Depth=1
	v_and_b32_e32 v8, 0x7f, v19
	v_mov_b32_e32 v6, 0x7f800001
	s_mov_b32 s18, exec_lo
	s_delay_alu instid0(VALU_DEP_2)
	v_cmpx_ne_u32_e32 0x7f, v8
	s_cbranch_execz .LBB370_2140
; %bb.2137:                             ;   in Loop: Header=BB370_1574 Depth=1
	v_mov_b64_e32 v[52:53], v[22:23]
	v_lshrrev_b32_e32 v6, 3, v8
	s_mov_b32 s19, exec_lo
	v_cmpx_gt_u32_e32 8, v8
; %bb.2138:                             ;   in Loop: Header=BB370_1574 Depth=1
	v_and_b32_e32 v6, 7, v19
	s_delay_alu instid0(VALU_DEP_1) | instskip(NEXT) | instid1(VALU_DEP_1)
	v_clz_i32_u32_e32 v6, v6
	v_min_u32_e32 v6, 32, v6
	s_delay_alu instid0(VALU_DEP_1) | instskip(SKIP_1) | instid1(VALU_DEP_2)
	v_subrev_nc_u32_e32 v8, 28, v6
	v_sub_nc_u32_e32 v6, 29, v6
	v_lshlrev_b64_e32 v[52:53], v8, v[22:23]
; %bb.2139:                             ;   in Loop: Header=BB370_1574 Depth=1
	s_or_b32 exec_lo, exec_lo, s19
	s_delay_alu instid0(VALU_DEP_1) | instskip(NEXT) | instid1(VALU_DEP_3)
	v_dual_lshlrev_b32 v8, 20, v52 :: v_dual_lshlrev_b32 v9, 24, v22
	v_lshl_add_u32 v6, v6, 23, 0x3c000000
	s_delay_alu instid0(VALU_DEP_2) | instskip(NEXT) | instid1(VALU_DEP_3)
	v_and_b32_e32 v8, 0x700000, v8
	v_and_b32_e32 v9, 0x80000000, v9
	s_delay_alu instid0(VALU_DEP_1)
	v_or3_b32 v6, v8, v9, v6
.LBB370_2140:                           ;   in Loop: Header=BB370_1574 Depth=1
	s_or_b32 exec_lo, exec_lo, s18
.LBB370_2141:                           ;   in Loop: Header=BB370_1574 Depth=1
	s_delay_alu instid0(SALU_CYCLE_1)
	s_or_b32 exec_lo, exec_lo, s17
.LBB370_2142:                           ;   in Loop: Header=BB370_1574 Depth=1
	s_delay_alu instid0(SALU_CYCLE_1) | instskip(SKIP_2) | instid1(VALU_DEP_1)
	s_or_b32 exec_lo, exec_lo, s16
	v_lshrrev_b16 v8, 8, v22
	s_mov_b32 s16, exec_lo
	v_cmpx_ne_u16_e32 0, v8
	s_cbranch_execz .LBB370_2150
; %bb.2143:                             ;   in Loop: Header=BB370_1574 Depth=1
	v_bfrev_b32_e32 v7, 1
	s_mov_b32 s17, exec_lo
	v_cmpx_ne_u16_e32 0x80, v8
	s_cbranch_execz .LBB370_2149
; %bb.2144:                             ;   in Loop: Header=BB370_1574 Depth=1
	v_and_b32_e32 v9, 0xffff, v8
	v_mov_b32_e32 v7, 0x7f800001
	s_mov_b32 s18, exec_lo
	s_delay_alu instid0(VALU_DEP_2) | instskip(NEXT) | instid1(VALU_DEP_1)
	v_and_b32_e32 v8, 0x7f, v9
	v_cmpx_ne_u32_e32 0x7f, v8
	s_cbranch_execz .LBB370_2148
; %bb.2145:                             ;   in Loop: Header=BB370_1574 Depth=1
	v_dual_mov_b32 v53, v23 :: v_dual_bitop2_b32 v52, 7, v9 bitop3:0x40
	v_lshrrev_b32_e32 v7, 3, v8
	s_mov_b32 s19, exec_lo
	v_cmpx_gt_u32_e32 8, v8
; %bb.2146:                             ;   in Loop: Header=BB370_1574 Depth=1
	s_delay_alu instid0(VALU_DEP_3) | instskip(NEXT) | instid1(VALU_DEP_1)
	v_clz_i32_u32_e32 v7, v52
	v_min_u32_e32 v7, 32, v7
	s_delay_alu instid0(VALU_DEP_1) | instskip(NEXT) | instid1(VALU_DEP_1)
	v_subrev_nc_u32_e32 v8, 28, v7
	v_lshlrev_b64_e32 v[8:9], v8, v[52:53]
	s_delay_alu instid0(VALU_DEP_1)
	v_dual_sub_nc_u32 v7, 29, v7 :: v_dual_bitop2_b32 v52, 7, v8 bitop3:0x40
; %bb.2147:                             ;   in Loop: Header=BB370_1574 Depth=1
	s_or_b32 exec_lo, exec_lo, s19
	s_delay_alu instid0(VALU_DEP_1) | instskip(NEXT) | instid1(VALU_DEP_2)
	v_dual_lshlrev_b32 v8, 16, v22 :: v_dual_lshlrev_b32 v9, 20, v52
	v_lshl_add_u32 v7, v7, 23, 0x3c000000
	s_delay_alu instid0(VALU_DEP_2) | instskip(NEXT) | instid1(VALU_DEP_1)
	v_and_b32_e32 v8, 0x80000000, v8
	v_or3_b32 v7, v9, v8, v7
.LBB370_2148:                           ;   in Loop: Header=BB370_1574 Depth=1
	s_or_b32 exec_lo, exec_lo, s18
.LBB370_2149:                           ;   in Loop: Header=BB370_1574 Depth=1
	s_delay_alu instid0(SALU_CYCLE_1)
	s_or_b32 exec_lo, exec_lo, s17
.LBB370_2150:                           ;   in Loop: Header=BB370_1574 Depth=1
	s_delay_alu instid0(SALU_CYCLE_1) | instskip(SKIP_3) | instid1(VALU_DEP_2)
	s_or_b32 exec_lo, exec_lo, s16
	v_dual_lshrrev_b32 v10, 16, v19 :: v_dual_mov_b32 v8, 0
	v_mov_b32_e32 v9, 0
	s_mov_b32 s16, exec_lo
	v_and_b32_e32 v11, 0xff, v10
	s_delay_alu instid0(VALU_DEP_1)
	v_cmpx_ne_u16_e32 0, v11
	s_cbranch_execz .LBB370_2158
; %bb.2151:                             ;   in Loop: Header=BB370_1574 Depth=1
	v_bfrev_b32_e32 v9, 1
	s_mov_b32 s17, exec_lo
	v_cmpx_ne_u16_e32 0x80, v11
	s_cbranch_execz .LBB370_2157
; %bb.2152:                             ;   in Loop: Header=BB370_1574 Depth=1
	v_bfe_u32 v11, v19, 16, 7
	v_mov_b32_e32 v9, 0x7f800001
	s_mov_b32 s18, exec_lo
	s_delay_alu instid0(VALU_DEP_2)
	v_cmpx_ne_u32_e32 0x7f, v11
	s_cbranch_execz .LBB370_2156
; %bb.2153:                             ;   in Loop: Header=BB370_1574 Depth=1
	v_dual_lshrrev_b32 v9, 3, v11 :: v_dual_bitop2_b32 v22, 7, v10 bitop3:0x40
	s_mov_b32 s19, exec_lo
	s_delay_alu instid0(VALU_DEP_1)
	v_mov_b64_e32 v[52:53], v[22:23]
	v_cmpx_gt_u32_e32 8, v11
; %bb.2154:                             ;   in Loop: Header=BB370_1574 Depth=1
	v_clz_i32_u32_e32 v9, v22
	s_delay_alu instid0(VALU_DEP_1) | instskip(NEXT) | instid1(VALU_DEP_1)
	v_min_u32_e32 v9, 32, v9
	v_subrev_nc_u32_e32 v11, 28, v9
	s_delay_alu instid0(VALU_DEP_1) | instskip(NEXT) | instid1(VALU_DEP_1)
	v_lshlrev_b64_e32 v[48:49], v11, v[22:23]
	v_dual_sub_nc_u32 v9, 29, v9 :: v_dual_bitop2_b32 v52, 7, v48 bitop3:0x40
; %bb.2155:                             ;   in Loop: Header=BB370_1574 Depth=1
	s_or_b32 exec_lo, exec_lo, s19
	s_delay_alu instid0(VALU_DEP_1) | instskip(NEXT) | instid1(VALU_DEP_2)
	v_dual_lshlrev_b32 v10, 24, v10 :: v_dual_lshlrev_b32 v11, 20, v52
	v_lshl_add_u32 v9, v9, 23, 0x3c000000
	s_delay_alu instid0(VALU_DEP_2) | instskip(NEXT) | instid1(VALU_DEP_1)
	v_and_b32_e32 v10, 0x80000000, v10
	v_or3_b32 v9, v11, v10, v9
.LBB370_2156:                           ;   in Loop: Header=BB370_1574 Depth=1
	s_or_b32 exec_lo, exec_lo, s18
.LBB370_2157:                           ;   in Loop: Header=BB370_1574 Depth=1
	s_delay_alu instid0(SALU_CYCLE_1)
	s_or_b32 exec_lo, exec_lo, s17
.LBB370_2158:                           ;   in Loop: Header=BB370_1574 Depth=1
	s_delay_alu instid0(SALU_CYCLE_1) | instskip(NEXT) | instid1(SALU_CYCLE_1)
	s_or_b32 exec_lo, exec_lo, s16
	s_mov_b32 s16, exec_lo
	v_cmpx_lt_u64_e64 s[2:3], v[18:19]
	s_cbranch_execz .LBB370_2166
; %bb.2159:                             ;   in Loop: Header=BB370_1574 Depth=1
	v_lshrrev_b32_e32 v10, 24, v19
	v_bfrev_b32_e32 v8, 1
	s_mov_b32 s17, exec_lo
	s_delay_alu instid0(VALU_DEP_2)
	v_cmpx_ne_u32_e32 0x80, v10
	s_cbranch_execz .LBB370_2165
; %bb.2160:                             ;   in Loop: Header=BB370_1574 Depth=1
	v_bfe_u32 v11, v19, 24, 7
	v_mov_b32_e32 v8, 0x7f800001
	s_mov_b32 s18, exec_lo
	s_delay_alu instid0(VALU_DEP_2)
	v_cmpx_ne_u32_e32 0x7f, v11
	s_cbranch_execz .LBB370_2164
; %bb.2161:                             ;   in Loop: Header=BB370_1574 Depth=1
	v_dual_lshrrev_b32 v8, 3, v11 :: v_dual_bitop2_b32 v22, 7, v10 bitop3:0x40
	s_mov_b32 s19, exec_lo
	s_delay_alu instid0(VALU_DEP_1)
	v_mov_b64_e32 v[18:19], v[22:23]
	v_cmpx_gt_u32_e32 8, v11
; %bb.2162:                             ;   in Loop: Header=BB370_1574 Depth=1
	v_clz_i32_u32_e32 v8, v22
	s_delay_alu instid0(VALU_DEP_1) | instskip(NEXT) | instid1(VALU_DEP_1)
	v_min_u32_e32 v8, 32, v8
	v_subrev_nc_u32_e32 v11, 28, v8
	s_delay_alu instid0(VALU_DEP_1) | instskip(NEXT) | instid1(VALU_DEP_1)
	v_lshlrev_b64_e32 v[18:19], v11, v[22:23]
	v_dual_sub_nc_u32 v8, 29, v8 :: v_dual_bitop2_b32 v18, 7, v18 bitop3:0x40
; %bb.2163:                             ;   in Loop: Header=BB370_1574 Depth=1
	s_or_b32 exec_lo, exec_lo, s19
	v_lshlrev_b32_e32 v10, 24, v10
	s_delay_alu instid0(VALU_DEP_2) | instskip(NEXT) | instid1(VALU_DEP_3)
	v_lshlrev_b32_e32 v11, 20, v18
	v_lshl_add_u32 v8, v8, 23, 0x3c000000
	s_delay_alu instid0(VALU_DEP_3) | instskip(NEXT) | instid1(VALU_DEP_1)
	v_and_b32_e32 v10, 0x80000000, v10
	v_or3_b32 v8, v11, v10, v8
.LBB370_2164:                           ;   in Loop: Header=BB370_1574 Depth=1
	s_or_b32 exec_lo, exec_lo, s18
.LBB370_2165:                           ;   in Loop: Header=BB370_1574 Depth=1
	s_delay_alu instid0(SALU_CYCLE_1)
	s_or_b32 exec_lo, exec_lo, s17
.LBB370_2166:                           ;   in Loop: Header=BB370_1574 Depth=1
	s_delay_alu instid0(SALU_CYCLE_1)
	s_or_b32 exec_lo, exec_lo, s16
	v_fma_mixlo_bf16 v2, v64, v2, 0
	v_fma_mixlo_bf16 v7, v64, v7, 0
	v_fma_mixlo_bf16 v6, v64, v6, 0
	v_fma_mixlo_bf16 v5, v64, v5, 0
	v_fma_mixlo_bf16 v4, v64, v4, 0
	scratch_store_b32 off, v2, s32 offset:672 ; 4-byte Folded Spill
	s_wait_xcnt 0x0
	v_fma_mixlo_bf16 v2, v64, v9, 0
	s_clause 0x1
	scratch_store_b32 off, v7, s32 offset:616
	scratch_store_b32 off, v6, s32 offset:624
	v_fma_mixlo_bf16 v3, v64, v3, 0
	s_clause 0x1
	scratch_store_b32 off, v5, s32 offset:648
	scratch_store_b32 off, v2, s32 offset:632
	s_wait_xcnt 0x0
	v_fma_mixlo_bf16 v2, v64, v8, 0
	s_clause 0x2
	scratch_store_b32 off, v4, s32 offset:656
	scratch_store_b32 off, v3, s32 offset:664
	;; [unrolled: 1-line block ×3, first 2 shown]
	s_wait_xcnt 0x0
	s_and_saveexec_b32 s16, vcc_lo
	s_cbranch_execz .LBB370_2168
; %bb.2167:                             ;   in Loop: Header=BB370_1574 Depth=1
	scratch_load_b32 v2, off, s32 offset:672 ; 4-byte Folded Reload
	v_cmp_lt_i32_e64 s0, v113, v88
	s_wait_loadcnt 0x0
	s_delay_alu instid0(VALU_DEP_1)
	v_cndmask_b32_e64 v2, 0, v2, s0
	v_cmp_lt_i32_e64 s0, v56, v88
	s_clause 0x1
	scratch_store_b32 off, v2, s32 offset:672
	scratch_load_b32 v2, off, s32 offset:664
	s_wait_loadcnt 0x0
	v_cndmask_b32_e64 v2, 0, v2, s0
	v_cmp_lt_i32_e64 s0, v47, v88
	s_clause 0x1
	scratch_store_b32 off, v2, s32 offset:664
	scratch_load_b32 v2, off, s32 offset:656
	s_wait_loadcnt 0x0
	;; [unrolled: 6-line block ×7, first 2 shown]
	v_cndmask_b32_e64 v2, 0, v2, s0
	scratch_store_b32 off, v2, s32 offset:640 ; 4-byte Folded Spill
.LBB370_2168:                           ;   in Loop: Header=BB370_1574 Depth=1
	s_wait_xcnt 0x0
	s_or_b32 exec_lo, exec_lo, s16
	flat_load_b64 v[18:19], v[0:1] offset:2304
	v_dual_mov_b32 v3, 0 :: v_dual_mov_b32 v2, 0
	s_mov_b32 s16, exec_lo
	s_wait_loadcnt_dscnt 0x0
	v_and_b32_e32 v4, 0xff, v18
	s_wait_xcnt 0x0
	s_delay_alu instid0(VALU_DEP_1)
	v_cmpx_ne_u16_e32 0, v4
	s_cbranch_execz .LBB370_2176
; %bb.2169:                             ;   in Loop: Header=BB370_1574 Depth=1
	v_bfrev_b32_e32 v2, 1
	s_mov_b32 s17, exec_lo
	v_cmpx_ne_u16_e32 0x80, v4
	s_cbranch_execz .LBB370_2175
; %bb.2170:                             ;   in Loop: Header=BB370_1574 Depth=1
	v_and_b32_e32 v4, 0x7f, v18
	v_mov_b32_e32 v2, 0x7f800001
	s_mov_b32 s18, exec_lo
	s_delay_alu instid0(VALU_DEP_2)
	v_cmpx_ne_u32_e32 0x7f, v4
	s_cbranch_execz .LBB370_2174
; %bb.2171:                             ;   in Loop: Header=BB370_1574 Depth=1
	v_mov_b64_e32 v[52:53], v[18:19]
	v_lshrrev_b32_e32 v2, 3, v4
	s_mov_b32 s19, exec_lo
	v_cmpx_gt_u32_e32 8, v4
; %bb.2172:                             ;   in Loop: Header=BB370_1574 Depth=1
	v_and_b32_e32 v2, 7, v18
	s_delay_alu instid0(VALU_DEP_1) | instskip(NEXT) | instid1(VALU_DEP_1)
	v_clz_i32_u32_e32 v2, v2
	v_min_u32_e32 v2, 32, v2
	s_delay_alu instid0(VALU_DEP_1) | instskip(SKIP_1) | instid1(VALU_DEP_2)
	v_subrev_nc_u32_e32 v4, 28, v2
	v_sub_nc_u32_e32 v2, 29, v2
	v_lshlrev_b64_e32 v[52:53], v4, v[18:19]
; %bb.2173:                             ;   in Loop: Header=BB370_1574 Depth=1
	s_or_b32 exec_lo, exec_lo, s19
	s_delay_alu instid0(VALU_DEP_1) | instskip(NEXT) | instid1(VALU_DEP_3)
	v_dual_lshlrev_b32 v4, 20, v52 :: v_dual_lshlrev_b32 v5, 24, v18
	v_lshl_add_u32 v2, v2, 23, 0x3c000000
	s_delay_alu instid0(VALU_DEP_2) | instskip(NEXT) | instid1(VALU_DEP_3)
	v_and_b32_e32 v4, 0x700000, v4
	v_and_b32_e32 v5, 0x80000000, v5
	s_delay_alu instid0(VALU_DEP_1)
	v_or3_b32 v2, v4, v5, v2
.LBB370_2174:                           ;   in Loop: Header=BB370_1574 Depth=1
	s_or_b32 exec_lo, exec_lo, s18
.LBB370_2175:                           ;   in Loop: Header=BB370_1574 Depth=1
	s_delay_alu instid0(SALU_CYCLE_1)
	s_or_b32 exec_lo, exec_lo, s17
.LBB370_2176:                           ;   in Loop: Header=BB370_1574 Depth=1
	s_delay_alu instid0(SALU_CYCLE_1) | instskip(SKIP_2) | instid1(VALU_DEP_1)
	s_or_b32 exec_lo, exec_lo, s16
	v_lshrrev_b16 v4, 8, v18
	s_mov_b32 s16, exec_lo
	v_cmpx_ne_u16_e32 0, v4
	s_cbranch_execz .LBB370_2184
; %bb.2177:                             ;   in Loop: Header=BB370_1574 Depth=1
	v_bfrev_b32_e32 v3, 1
	s_mov_b32 s17, exec_lo
	v_cmpx_ne_u16_e32 0x80, v4
	s_cbranch_execz .LBB370_2183
; %bb.2178:                             ;   in Loop: Header=BB370_1574 Depth=1
	v_and_b32_e32 v5, 0xffff, v4
	v_mov_b32_e32 v3, 0x7f800001
	s_mov_b32 s18, exec_lo
	s_delay_alu instid0(VALU_DEP_2) | instskip(NEXT) | instid1(VALU_DEP_1)
	v_and_b32_e32 v4, 0x7f, v5
	v_cmpx_ne_u32_e32 0x7f, v4
	s_cbranch_execz .LBB370_2182
; %bb.2179:                             ;   in Loop: Header=BB370_1574 Depth=1
	v_dual_lshrrev_b32 v3, 3, v4 :: v_dual_bitop2_b32 v22, 7, v5 bitop3:0x40
	s_mov_b32 s19, exec_lo
	s_delay_alu instid0(VALU_DEP_1)
	v_mov_b64_e32 v[52:53], v[22:23]
	v_cmpx_gt_u32_e32 8, v4
; %bb.2180:                             ;   in Loop: Header=BB370_1574 Depth=1
	v_clz_i32_u32_e32 v3, v22
	s_delay_alu instid0(VALU_DEP_1) | instskip(NEXT) | instid1(VALU_DEP_1)
	v_min_u32_e32 v3, 32, v3
	v_subrev_nc_u32_e32 v4, 28, v3
	s_delay_alu instid0(VALU_DEP_1) | instskip(NEXT) | instid1(VALU_DEP_1)
	v_lshlrev_b64_e32 v[4:5], v4, v[22:23]
	v_dual_sub_nc_u32 v3, 29, v3 :: v_dual_bitop2_b32 v52, 7, v4 bitop3:0x40
; %bb.2181:                             ;   in Loop: Header=BB370_1574 Depth=1
	s_or_b32 exec_lo, exec_lo, s19
	s_delay_alu instid0(VALU_DEP_1) | instskip(NEXT) | instid1(VALU_DEP_2)
	v_dual_lshlrev_b32 v4, 16, v18 :: v_dual_lshlrev_b32 v5, 20, v52
	v_lshl_add_u32 v3, v3, 23, 0x3c000000
	s_delay_alu instid0(VALU_DEP_2) | instskip(NEXT) | instid1(VALU_DEP_1)
	v_and_b32_e32 v4, 0x80000000, v4
	v_or3_b32 v3, v5, v4, v3
.LBB370_2182:                           ;   in Loop: Header=BB370_1574 Depth=1
	s_or_b32 exec_lo, exec_lo, s18
.LBB370_2183:                           ;   in Loop: Header=BB370_1574 Depth=1
	s_delay_alu instid0(SALU_CYCLE_1)
	s_or_b32 exec_lo, exec_lo, s17
.LBB370_2184:                           ;   in Loop: Header=BB370_1574 Depth=1
	s_delay_alu instid0(SALU_CYCLE_1) | instskip(SKIP_3) | instid1(VALU_DEP_2)
	s_or_b32 exec_lo, exec_lo, s16
	v_dual_mov_b32 v5, 0 :: v_dual_lshrrev_b32 v6, 16, v18
	v_mov_b32_e32 v4, 0
	s_mov_b32 s16, exec_lo
	v_and_b32_e32 v7, 0xff, v6
	s_delay_alu instid0(VALU_DEP_1)
	v_cmpx_ne_u16_e32 0, v7
	s_cbranch_execz .LBB370_2192
; %bb.2185:                             ;   in Loop: Header=BB370_1574 Depth=1
	v_bfrev_b32_e32 v4, 1
	s_mov_b32 s17, exec_lo
	v_cmpx_ne_u16_e32 0x80, v7
	s_cbranch_execz .LBB370_2191
; %bb.2186:                             ;   in Loop: Header=BB370_1574 Depth=1
	v_bfe_u32 v7, v18, 16, 7
	v_mov_b32_e32 v4, 0x7f800001
	s_mov_b32 s18, exec_lo
	s_delay_alu instid0(VALU_DEP_2)
	v_cmpx_ne_u32_e32 0x7f, v7
	s_cbranch_execz .LBB370_2190
; %bb.2187:                             ;   in Loop: Header=BB370_1574 Depth=1
	v_dual_lshrrev_b32 v4, 3, v7 :: v_dual_bitop2_b32 v22, 7, v6 bitop3:0x40
	s_mov_b32 s19, exec_lo
	s_delay_alu instid0(VALU_DEP_1)
	v_mov_b64_e32 v[52:53], v[22:23]
	v_cmpx_gt_u32_e32 8, v7
; %bb.2188:                             ;   in Loop: Header=BB370_1574 Depth=1
	v_clz_i32_u32_e32 v4, v22
	s_delay_alu instid0(VALU_DEP_1) | instskip(NEXT) | instid1(VALU_DEP_1)
	v_min_u32_e32 v4, 32, v4
	v_subrev_nc_u32_e32 v7, 28, v4
	v_sub_nc_u32_e32 v4, 29, v4
	s_delay_alu instid0(VALU_DEP_2) | instskip(NEXT) | instid1(VALU_DEP_1)
	v_lshlrev_b64_e32 v[8:9], v7, v[22:23]
	v_and_b32_e32 v52, 7, v8
; %bb.2189:                             ;   in Loop: Header=BB370_1574 Depth=1
	s_or_b32 exec_lo, exec_lo, s19
	s_delay_alu instid0(VALU_DEP_1) | instskip(SKIP_1) | instid1(VALU_DEP_2)
	v_dual_lshlrev_b32 v6, 24, v6 :: v_dual_lshlrev_b32 v7, 20, v52
	v_lshl_add_u32 v4, v4, 23, 0x3c000000
	v_and_b32_e32 v6, 0x80000000, v6
	s_delay_alu instid0(VALU_DEP_1)
	v_or3_b32 v4, v7, v6, v4
.LBB370_2190:                           ;   in Loop: Header=BB370_1574 Depth=1
	s_or_b32 exec_lo, exec_lo, s18
.LBB370_2191:                           ;   in Loop: Header=BB370_1574 Depth=1
	s_delay_alu instid0(SALU_CYCLE_1)
	s_or_b32 exec_lo, exec_lo, s17
.LBB370_2192:                           ;   in Loop: Header=BB370_1574 Depth=1
	s_delay_alu instid0(SALU_CYCLE_1) | instskip(NEXT) | instid1(SALU_CYCLE_1)
	s_or_b32 exec_lo, exec_lo, s16
	s_mov_b32 s16, exec_lo
	v_cmpx_lt_u32_e32 0xffffff, v18
	s_cbranch_execz .LBB370_2200
; %bb.2193:                             ;   in Loop: Header=BB370_1574 Depth=1
	v_lshrrev_b32_e32 v6, 24, v18
	v_bfrev_b32_e32 v5, 1
	s_mov_b32 s17, exec_lo
	s_delay_alu instid0(VALU_DEP_2)
	v_cmpx_ne_u32_e32 0x80, v6
	s_cbranch_execz .LBB370_2199
; %bb.2194:                             ;   in Loop: Header=BB370_1574 Depth=1
	v_bfe_u32 v7, v18, 24, 7
	v_mov_b32_e32 v5, 0x7f800001
	s_mov_b32 s18, exec_lo
	s_delay_alu instid0(VALU_DEP_2)
	v_cmpx_ne_u32_e32 0x7f, v7
	s_cbranch_execz .LBB370_2198
; %bb.2195:                             ;   in Loop: Header=BB370_1574 Depth=1
	v_dual_lshrrev_b32 v5, 3, v7 :: v_dual_bitop2_b32 v22, 7, v6 bitop3:0x40
	s_mov_b32 s19, exec_lo
	s_delay_alu instid0(VALU_DEP_1)
	v_mov_b64_e32 v[52:53], v[22:23]
	v_cmpx_gt_u32_e32 8, v7
; %bb.2196:                             ;   in Loop: Header=BB370_1574 Depth=1
	v_clz_i32_u32_e32 v5, v22
	s_delay_alu instid0(VALU_DEP_1) | instskip(NEXT) | instid1(VALU_DEP_1)
	v_min_u32_e32 v5, 32, v5
	v_subrev_nc_u32_e32 v7, 28, v5
	s_delay_alu instid0(VALU_DEP_1) | instskip(NEXT) | instid1(VALU_DEP_1)
	v_lshlrev_b64_e32 v[8:9], v7, v[22:23]
	v_dual_sub_nc_u32 v5, 29, v5 :: v_dual_bitop2_b32 v52, 7, v8 bitop3:0x40
; %bb.2197:                             ;   in Loop: Header=BB370_1574 Depth=1
	s_or_b32 exec_lo, exec_lo, s19
	s_delay_alu instid0(VALU_DEP_1) | instskip(NEXT) | instid1(VALU_DEP_2)
	v_dual_lshlrev_b32 v6, 24, v6 :: v_dual_lshlrev_b32 v7, 20, v52
	v_lshl_add_u32 v5, v5, 23, 0x3c000000
	s_delay_alu instid0(VALU_DEP_2) | instskip(NEXT) | instid1(VALU_DEP_1)
	v_and_b32_e32 v6, 0x80000000, v6
	v_or3_b32 v5, v7, v6, v5
.LBB370_2198:                           ;   in Loop: Header=BB370_1574 Depth=1
	s_or_b32 exec_lo, exec_lo, s18
.LBB370_2199:                           ;   in Loop: Header=BB370_1574 Depth=1
	s_delay_alu instid0(SALU_CYCLE_1)
	s_or_b32 exec_lo, exec_lo, s17
.LBB370_2200:                           ;   in Loop: Header=BB370_1574 Depth=1
	s_delay_alu instid0(SALU_CYCLE_1) | instskip(SKIP_4) | instid1(VALU_DEP_3)
	s_or_b32 exec_lo, exec_lo, s16
	v_and_b32_e32 v8, 0xff, v19
	v_dual_mov_b32 v22, v19 :: v_dual_mov_b32 v7, 0
	v_mov_b32_e32 v6, 0
	s_mov_b32 s16, exec_lo
	v_cmpx_ne_u16_e32 0, v8
	s_cbranch_execz .LBB370_2208
; %bb.2201:                             ;   in Loop: Header=BB370_1574 Depth=1
	v_bfrev_b32_e32 v6, 1
	s_mov_b32 s17, exec_lo
	v_cmpx_ne_u16_e32 0x80, v8
	s_cbranch_execz .LBB370_2207
; %bb.2202:                             ;   in Loop: Header=BB370_1574 Depth=1
	v_and_b32_e32 v8, 0x7f, v19
	v_mov_b32_e32 v6, 0x7f800001
	s_mov_b32 s18, exec_lo
	s_delay_alu instid0(VALU_DEP_2)
	v_cmpx_ne_u32_e32 0x7f, v8
	s_cbranch_execz .LBB370_2206
; %bb.2203:                             ;   in Loop: Header=BB370_1574 Depth=1
	v_mov_b64_e32 v[52:53], v[22:23]
	v_lshrrev_b32_e32 v6, 3, v8
	s_mov_b32 s19, exec_lo
	v_cmpx_gt_u32_e32 8, v8
; %bb.2204:                             ;   in Loop: Header=BB370_1574 Depth=1
	v_and_b32_e32 v6, 7, v19
	s_delay_alu instid0(VALU_DEP_1) | instskip(NEXT) | instid1(VALU_DEP_1)
	v_clz_i32_u32_e32 v6, v6
	v_min_u32_e32 v6, 32, v6
	s_delay_alu instid0(VALU_DEP_1) | instskip(SKIP_1) | instid1(VALU_DEP_2)
	v_subrev_nc_u32_e32 v8, 28, v6
	v_sub_nc_u32_e32 v6, 29, v6
	v_lshlrev_b64_e32 v[52:53], v8, v[22:23]
; %bb.2205:                             ;   in Loop: Header=BB370_1574 Depth=1
	s_or_b32 exec_lo, exec_lo, s19
	s_delay_alu instid0(VALU_DEP_1) | instskip(NEXT) | instid1(VALU_DEP_3)
	v_dual_lshlrev_b32 v8, 20, v52 :: v_dual_lshlrev_b32 v9, 24, v22
	v_lshl_add_u32 v6, v6, 23, 0x3c000000
	s_delay_alu instid0(VALU_DEP_2) | instskip(NEXT) | instid1(VALU_DEP_3)
	v_and_b32_e32 v8, 0x700000, v8
	v_and_b32_e32 v9, 0x80000000, v9
	s_delay_alu instid0(VALU_DEP_1)
	v_or3_b32 v6, v8, v9, v6
.LBB370_2206:                           ;   in Loop: Header=BB370_1574 Depth=1
	s_or_b32 exec_lo, exec_lo, s18
.LBB370_2207:                           ;   in Loop: Header=BB370_1574 Depth=1
	s_delay_alu instid0(SALU_CYCLE_1)
	s_or_b32 exec_lo, exec_lo, s17
.LBB370_2208:                           ;   in Loop: Header=BB370_1574 Depth=1
	s_delay_alu instid0(SALU_CYCLE_1) | instskip(SKIP_2) | instid1(VALU_DEP_1)
	s_or_b32 exec_lo, exec_lo, s16
	v_lshrrev_b16 v8, 8, v22
	s_mov_b32 s16, exec_lo
	v_cmpx_ne_u16_e32 0, v8
	s_cbranch_execz .LBB370_2216
; %bb.2209:                             ;   in Loop: Header=BB370_1574 Depth=1
	v_bfrev_b32_e32 v7, 1
	s_mov_b32 s17, exec_lo
	v_cmpx_ne_u16_e32 0x80, v8
	s_cbranch_execz .LBB370_2215
; %bb.2210:                             ;   in Loop: Header=BB370_1574 Depth=1
	v_and_b32_e32 v9, 0xffff, v8
	v_mov_b32_e32 v7, 0x7f800001
	s_mov_b32 s18, exec_lo
	s_delay_alu instid0(VALU_DEP_2) | instskip(NEXT) | instid1(VALU_DEP_1)
	v_and_b32_e32 v8, 0x7f, v9
	v_cmpx_ne_u32_e32 0x7f, v8
	s_cbranch_execz .LBB370_2214
; %bb.2211:                             ;   in Loop: Header=BB370_1574 Depth=1
	v_dual_mov_b32 v53, v23 :: v_dual_bitop2_b32 v52, 7, v9 bitop3:0x40
	v_lshrrev_b32_e32 v7, 3, v8
	s_mov_b32 s19, exec_lo
	v_cmpx_gt_u32_e32 8, v8
; %bb.2212:                             ;   in Loop: Header=BB370_1574 Depth=1
	s_delay_alu instid0(VALU_DEP_3) | instskip(NEXT) | instid1(VALU_DEP_1)
	v_clz_i32_u32_e32 v7, v52
	v_min_u32_e32 v7, 32, v7
	s_delay_alu instid0(VALU_DEP_1) | instskip(NEXT) | instid1(VALU_DEP_1)
	v_subrev_nc_u32_e32 v8, 28, v7
	v_lshlrev_b64_e32 v[8:9], v8, v[52:53]
	s_delay_alu instid0(VALU_DEP_1)
	v_dual_sub_nc_u32 v7, 29, v7 :: v_dual_bitop2_b32 v52, 7, v8 bitop3:0x40
; %bb.2213:                             ;   in Loop: Header=BB370_1574 Depth=1
	s_or_b32 exec_lo, exec_lo, s19
	s_delay_alu instid0(VALU_DEP_1) | instskip(NEXT) | instid1(VALU_DEP_2)
	v_dual_lshlrev_b32 v8, 16, v22 :: v_dual_lshlrev_b32 v9, 20, v52
	v_lshl_add_u32 v7, v7, 23, 0x3c000000
	s_delay_alu instid0(VALU_DEP_2) | instskip(NEXT) | instid1(VALU_DEP_1)
	v_and_b32_e32 v8, 0x80000000, v8
	v_or3_b32 v7, v9, v8, v7
.LBB370_2214:                           ;   in Loop: Header=BB370_1574 Depth=1
	s_or_b32 exec_lo, exec_lo, s18
.LBB370_2215:                           ;   in Loop: Header=BB370_1574 Depth=1
	s_delay_alu instid0(SALU_CYCLE_1)
	s_or_b32 exec_lo, exec_lo, s17
.LBB370_2216:                           ;   in Loop: Header=BB370_1574 Depth=1
	s_delay_alu instid0(SALU_CYCLE_1) | instskip(SKIP_3) | instid1(VALU_DEP_2)
	s_or_b32 exec_lo, exec_lo, s16
	v_dual_lshrrev_b32 v10, 16, v19 :: v_dual_mov_b32 v8, 0
	v_mov_b32_e32 v9, 0
	s_mov_b32 s16, exec_lo
	v_and_b32_e32 v11, 0xff, v10
	s_delay_alu instid0(VALU_DEP_1)
	v_cmpx_ne_u16_e32 0, v11
	s_cbranch_execz .LBB370_2224
; %bb.2217:                             ;   in Loop: Header=BB370_1574 Depth=1
	v_bfrev_b32_e32 v9, 1
	s_mov_b32 s17, exec_lo
	v_cmpx_ne_u16_e32 0x80, v11
	s_cbranch_execz .LBB370_2223
; %bb.2218:                             ;   in Loop: Header=BB370_1574 Depth=1
	v_bfe_u32 v11, v19, 16, 7
	v_mov_b32_e32 v9, 0x7f800001
	s_mov_b32 s18, exec_lo
	s_delay_alu instid0(VALU_DEP_2)
	v_cmpx_ne_u32_e32 0x7f, v11
	s_cbranch_execz .LBB370_2222
; %bb.2219:                             ;   in Loop: Header=BB370_1574 Depth=1
	v_dual_lshrrev_b32 v9, 3, v11 :: v_dual_bitop2_b32 v22, 7, v10 bitop3:0x40
	s_mov_b32 s19, exec_lo
	s_delay_alu instid0(VALU_DEP_1)
	v_mov_b64_e32 v[52:53], v[22:23]
	v_cmpx_gt_u32_e32 8, v11
; %bb.2220:                             ;   in Loop: Header=BB370_1574 Depth=1
	v_clz_i32_u32_e32 v9, v22
	s_delay_alu instid0(VALU_DEP_1) | instskip(NEXT) | instid1(VALU_DEP_1)
	v_min_u32_e32 v9, 32, v9
	v_subrev_nc_u32_e32 v11, 28, v9
	s_delay_alu instid0(VALU_DEP_1) | instskip(NEXT) | instid1(VALU_DEP_1)
	v_lshlrev_b64_e32 v[48:49], v11, v[22:23]
	v_dual_sub_nc_u32 v9, 29, v9 :: v_dual_bitop2_b32 v52, 7, v48 bitop3:0x40
; %bb.2221:                             ;   in Loop: Header=BB370_1574 Depth=1
	s_or_b32 exec_lo, exec_lo, s19
	s_delay_alu instid0(VALU_DEP_1) | instskip(NEXT) | instid1(VALU_DEP_2)
	v_dual_lshlrev_b32 v10, 24, v10 :: v_dual_lshlrev_b32 v11, 20, v52
	v_lshl_add_u32 v9, v9, 23, 0x3c000000
	s_delay_alu instid0(VALU_DEP_2) | instskip(NEXT) | instid1(VALU_DEP_1)
	v_and_b32_e32 v10, 0x80000000, v10
	v_or3_b32 v9, v11, v10, v9
.LBB370_2222:                           ;   in Loop: Header=BB370_1574 Depth=1
	s_or_b32 exec_lo, exec_lo, s18
.LBB370_2223:                           ;   in Loop: Header=BB370_1574 Depth=1
	s_delay_alu instid0(SALU_CYCLE_1)
	s_or_b32 exec_lo, exec_lo, s17
.LBB370_2224:                           ;   in Loop: Header=BB370_1574 Depth=1
	s_delay_alu instid0(SALU_CYCLE_1) | instskip(NEXT) | instid1(SALU_CYCLE_1)
	s_or_b32 exec_lo, exec_lo, s16
	s_mov_b32 s16, exec_lo
	v_cmpx_lt_u64_e64 s[2:3], v[18:19]
	s_cbranch_execz .LBB370_2232
; %bb.2225:                             ;   in Loop: Header=BB370_1574 Depth=1
	v_lshrrev_b32_e32 v10, 24, v19
	v_bfrev_b32_e32 v8, 1
	s_mov_b32 s17, exec_lo
	s_delay_alu instid0(VALU_DEP_2)
	v_cmpx_ne_u32_e32 0x80, v10
	s_cbranch_execz .LBB370_2231
; %bb.2226:                             ;   in Loop: Header=BB370_1574 Depth=1
	v_bfe_u32 v11, v19, 24, 7
	v_mov_b32_e32 v8, 0x7f800001
	s_mov_b32 s18, exec_lo
	s_delay_alu instid0(VALU_DEP_2)
	v_cmpx_ne_u32_e32 0x7f, v11
	s_cbranch_execz .LBB370_2230
; %bb.2227:                             ;   in Loop: Header=BB370_1574 Depth=1
	v_dual_lshrrev_b32 v8, 3, v11 :: v_dual_bitop2_b32 v22, 7, v10 bitop3:0x40
	s_mov_b32 s19, exec_lo
	s_delay_alu instid0(VALU_DEP_1)
	v_mov_b64_e32 v[18:19], v[22:23]
	v_cmpx_gt_u32_e32 8, v11
; %bb.2228:                             ;   in Loop: Header=BB370_1574 Depth=1
	v_clz_i32_u32_e32 v8, v22
	s_delay_alu instid0(VALU_DEP_1) | instskip(NEXT) | instid1(VALU_DEP_1)
	v_min_u32_e32 v8, 32, v8
	v_subrev_nc_u32_e32 v11, 28, v8
	s_delay_alu instid0(VALU_DEP_1) | instskip(NEXT) | instid1(VALU_DEP_1)
	v_lshlrev_b64_e32 v[18:19], v11, v[22:23]
	v_dual_sub_nc_u32 v8, 29, v8 :: v_dual_bitop2_b32 v18, 7, v18 bitop3:0x40
; %bb.2229:                             ;   in Loop: Header=BB370_1574 Depth=1
	s_or_b32 exec_lo, exec_lo, s19
	v_lshlrev_b32_e32 v10, 24, v10
	s_delay_alu instid0(VALU_DEP_2) | instskip(NEXT) | instid1(VALU_DEP_3)
	v_lshlrev_b32_e32 v11, 20, v18
	v_lshl_add_u32 v8, v8, 23, 0x3c000000
	s_delay_alu instid0(VALU_DEP_3) | instskip(NEXT) | instid1(VALU_DEP_1)
	v_and_b32_e32 v10, 0x80000000, v10
	v_or3_b32 v8, v11, v10, v8
.LBB370_2230:                           ;   in Loop: Header=BB370_1574 Depth=1
	s_or_b32 exec_lo, exec_lo, s18
.LBB370_2231:                           ;   in Loop: Header=BB370_1574 Depth=1
	s_delay_alu instid0(SALU_CYCLE_1)
	s_or_b32 exec_lo, exec_lo, s17
.LBB370_2232:                           ;   in Loop: Header=BB370_1574 Depth=1
	s_delay_alu instid0(SALU_CYCLE_1)
	s_or_b32 exec_lo, exec_lo, s16
	v_fma_mixlo_bf16 v2, v64, v2, 0
	v_fma_mixlo_bf16 v7, v64, v7, 0
	;; [unrolled: 1-line block ×5, first 2 shown]
	scratch_store_b32 off, v2, s32 offset:732 ; 4-byte Folded Spill
	s_wait_xcnt 0x0
	v_fma_mixlo_bf16 v2, v64, v9, 0
	s_clause 0x1
	scratch_store_b32 off, v7, s32 offset:676
	scratch_store_b32 off, v6, s32 offset:684
	v_fma_mixlo_bf16 v3, v64, v3, 0
	s_clause 0x1
	scratch_store_b32 off, v5, s32 offset:708
	scratch_store_b32 off, v2, s32 offset:692
	s_wait_xcnt 0x0
	v_fma_mixlo_bf16 v2, v64, v8, 0
	s_clause 0x2
	scratch_store_b32 off, v4, s32 offset:716
	scratch_store_b32 off, v3, s32 offset:724
	;; [unrolled: 1-line block ×3, first 2 shown]
	s_wait_xcnt 0x0
	s_and_saveexec_b32 s16, vcc_lo
	s_cbranch_execz .LBB370_2234
; %bb.2233:                             ;   in Loop: Header=BB370_1574 Depth=1
	scratch_load_b32 v2, off, s32 offset:732 ; 4-byte Folded Reload
	v_cmp_lt_i32_e64 s0, v113, v88
	s_wait_loadcnt 0x0
	s_delay_alu instid0(VALU_DEP_1)
	v_cndmask_b32_e64 v2, 0, v2, s0
	v_cmp_lt_i32_e64 s0, v56, v88
	s_clause 0x1
	scratch_store_b32 off, v2, s32 offset:732
	scratch_load_b32 v2, off, s32 offset:724
	s_wait_loadcnt 0x0
	v_cndmask_b32_e64 v2, 0, v2, s0
	v_cmp_lt_i32_e64 s0, v47, v88
	s_clause 0x1
	scratch_store_b32 off, v2, s32 offset:724
	scratch_load_b32 v2, off, s32 offset:716
	s_wait_loadcnt 0x0
	;; [unrolled: 6-line block ×7, first 2 shown]
	v_cndmask_b32_e64 v2, 0, v2, s0
	scratch_store_b32 off, v2, s32 offset:700 ; 4-byte Folded Spill
.LBB370_2234:                           ;   in Loop: Header=BB370_1574 Depth=1
	s_wait_xcnt 0x0
	s_or_b32 exec_lo, exec_lo, s16
	flat_load_b64 v[18:19], v[0:1] offset:2560
	v_dual_mov_b32 v3, 0 :: v_dual_mov_b32 v2, 0
	s_mov_b32 s16, exec_lo
	s_wait_loadcnt_dscnt 0x0
	v_and_b32_e32 v4, 0xff, v18
	s_wait_xcnt 0x0
	s_delay_alu instid0(VALU_DEP_1)
	v_cmpx_ne_u16_e32 0, v4
	s_cbranch_execz .LBB370_2242
; %bb.2235:                             ;   in Loop: Header=BB370_1574 Depth=1
	v_bfrev_b32_e32 v2, 1
	s_mov_b32 s17, exec_lo
	v_cmpx_ne_u16_e32 0x80, v4
	s_cbranch_execz .LBB370_2241
; %bb.2236:                             ;   in Loop: Header=BB370_1574 Depth=1
	v_and_b32_e32 v4, 0x7f, v18
	v_mov_b32_e32 v2, 0x7f800001
	s_mov_b32 s18, exec_lo
	s_delay_alu instid0(VALU_DEP_2)
	v_cmpx_ne_u32_e32 0x7f, v4
	s_cbranch_execz .LBB370_2240
; %bb.2237:                             ;   in Loop: Header=BB370_1574 Depth=1
	v_mov_b64_e32 v[52:53], v[18:19]
	v_lshrrev_b32_e32 v2, 3, v4
	s_mov_b32 s19, exec_lo
	v_cmpx_gt_u32_e32 8, v4
; %bb.2238:                             ;   in Loop: Header=BB370_1574 Depth=1
	v_and_b32_e32 v2, 7, v18
	s_delay_alu instid0(VALU_DEP_1) | instskip(NEXT) | instid1(VALU_DEP_1)
	v_clz_i32_u32_e32 v2, v2
	v_min_u32_e32 v2, 32, v2
	s_delay_alu instid0(VALU_DEP_1) | instskip(SKIP_1) | instid1(VALU_DEP_2)
	v_subrev_nc_u32_e32 v4, 28, v2
	v_sub_nc_u32_e32 v2, 29, v2
	v_lshlrev_b64_e32 v[52:53], v4, v[18:19]
; %bb.2239:                             ;   in Loop: Header=BB370_1574 Depth=1
	s_or_b32 exec_lo, exec_lo, s19
	s_delay_alu instid0(VALU_DEP_1) | instskip(NEXT) | instid1(VALU_DEP_3)
	v_dual_lshlrev_b32 v4, 20, v52 :: v_dual_lshlrev_b32 v5, 24, v18
	v_lshl_add_u32 v2, v2, 23, 0x3c000000
	s_delay_alu instid0(VALU_DEP_2) | instskip(NEXT) | instid1(VALU_DEP_3)
	v_and_b32_e32 v4, 0x700000, v4
	v_and_b32_e32 v5, 0x80000000, v5
	s_delay_alu instid0(VALU_DEP_1)
	v_or3_b32 v2, v4, v5, v2
.LBB370_2240:                           ;   in Loop: Header=BB370_1574 Depth=1
	s_or_b32 exec_lo, exec_lo, s18
.LBB370_2241:                           ;   in Loop: Header=BB370_1574 Depth=1
	s_delay_alu instid0(SALU_CYCLE_1)
	s_or_b32 exec_lo, exec_lo, s17
.LBB370_2242:                           ;   in Loop: Header=BB370_1574 Depth=1
	s_delay_alu instid0(SALU_CYCLE_1) | instskip(SKIP_2) | instid1(VALU_DEP_1)
	s_or_b32 exec_lo, exec_lo, s16
	v_lshrrev_b16 v4, 8, v18
	s_mov_b32 s16, exec_lo
	v_cmpx_ne_u16_e32 0, v4
	s_cbranch_execz .LBB370_2250
; %bb.2243:                             ;   in Loop: Header=BB370_1574 Depth=1
	v_bfrev_b32_e32 v3, 1
	s_mov_b32 s17, exec_lo
	v_cmpx_ne_u16_e32 0x80, v4
	s_cbranch_execz .LBB370_2249
; %bb.2244:                             ;   in Loop: Header=BB370_1574 Depth=1
	v_and_b32_e32 v5, 0xffff, v4
	v_mov_b32_e32 v3, 0x7f800001
	s_mov_b32 s18, exec_lo
	s_delay_alu instid0(VALU_DEP_2) | instskip(NEXT) | instid1(VALU_DEP_1)
	v_and_b32_e32 v4, 0x7f, v5
	v_cmpx_ne_u32_e32 0x7f, v4
	s_cbranch_execz .LBB370_2248
; %bb.2245:                             ;   in Loop: Header=BB370_1574 Depth=1
	v_dual_lshrrev_b32 v3, 3, v4 :: v_dual_bitop2_b32 v22, 7, v5 bitop3:0x40
	s_mov_b32 s19, exec_lo
	s_delay_alu instid0(VALU_DEP_1)
	v_mov_b64_e32 v[52:53], v[22:23]
	v_cmpx_gt_u32_e32 8, v4
; %bb.2246:                             ;   in Loop: Header=BB370_1574 Depth=1
	v_clz_i32_u32_e32 v3, v22
	s_delay_alu instid0(VALU_DEP_1) | instskip(NEXT) | instid1(VALU_DEP_1)
	v_min_u32_e32 v3, 32, v3
	v_subrev_nc_u32_e32 v4, 28, v3
	s_delay_alu instid0(VALU_DEP_1) | instskip(NEXT) | instid1(VALU_DEP_1)
	v_lshlrev_b64_e32 v[4:5], v4, v[22:23]
	v_dual_sub_nc_u32 v3, 29, v3 :: v_dual_bitop2_b32 v52, 7, v4 bitop3:0x40
; %bb.2247:                             ;   in Loop: Header=BB370_1574 Depth=1
	s_or_b32 exec_lo, exec_lo, s19
	s_delay_alu instid0(VALU_DEP_1) | instskip(NEXT) | instid1(VALU_DEP_2)
	v_dual_lshlrev_b32 v4, 16, v18 :: v_dual_lshlrev_b32 v5, 20, v52
	v_lshl_add_u32 v3, v3, 23, 0x3c000000
	s_delay_alu instid0(VALU_DEP_2) | instskip(NEXT) | instid1(VALU_DEP_1)
	v_and_b32_e32 v4, 0x80000000, v4
	v_or3_b32 v3, v5, v4, v3
.LBB370_2248:                           ;   in Loop: Header=BB370_1574 Depth=1
	s_or_b32 exec_lo, exec_lo, s18
.LBB370_2249:                           ;   in Loop: Header=BB370_1574 Depth=1
	s_delay_alu instid0(SALU_CYCLE_1)
	s_or_b32 exec_lo, exec_lo, s17
.LBB370_2250:                           ;   in Loop: Header=BB370_1574 Depth=1
	s_delay_alu instid0(SALU_CYCLE_1) | instskip(SKIP_3) | instid1(VALU_DEP_2)
	s_or_b32 exec_lo, exec_lo, s16
	v_dual_mov_b32 v5, 0 :: v_dual_lshrrev_b32 v6, 16, v18
	v_mov_b32_e32 v4, 0
	s_mov_b32 s16, exec_lo
	v_and_b32_e32 v7, 0xff, v6
	s_delay_alu instid0(VALU_DEP_1)
	v_cmpx_ne_u16_e32 0, v7
	s_cbranch_execz .LBB370_2258
; %bb.2251:                             ;   in Loop: Header=BB370_1574 Depth=1
	v_bfrev_b32_e32 v4, 1
	s_mov_b32 s17, exec_lo
	v_cmpx_ne_u16_e32 0x80, v7
	s_cbranch_execz .LBB370_2257
; %bb.2252:                             ;   in Loop: Header=BB370_1574 Depth=1
	v_bfe_u32 v7, v18, 16, 7
	v_mov_b32_e32 v4, 0x7f800001
	s_mov_b32 s18, exec_lo
	s_delay_alu instid0(VALU_DEP_2)
	v_cmpx_ne_u32_e32 0x7f, v7
	s_cbranch_execz .LBB370_2256
; %bb.2253:                             ;   in Loop: Header=BB370_1574 Depth=1
	v_dual_lshrrev_b32 v4, 3, v7 :: v_dual_bitop2_b32 v22, 7, v6 bitop3:0x40
	s_mov_b32 s19, exec_lo
	s_delay_alu instid0(VALU_DEP_1)
	v_mov_b64_e32 v[52:53], v[22:23]
	v_cmpx_gt_u32_e32 8, v7
; %bb.2254:                             ;   in Loop: Header=BB370_1574 Depth=1
	v_clz_i32_u32_e32 v4, v22
	s_delay_alu instid0(VALU_DEP_1) | instskip(NEXT) | instid1(VALU_DEP_1)
	v_min_u32_e32 v4, 32, v4
	v_subrev_nc_u32_e32 v7, 28, v4
	v_sub_nc_u32_e32 v4, 29, v4
	s_delay_alu instid0(VALU_DEP_2) | instskip(NEXT) | instid1(VALU_DEP_1)
	v_lshlrev_b64_e32 v[8:9], v7, v[22:23]
	v_and_b32_e32 v52, 7, v8
; %bb.2255:                             ;   in Loop: Header=BB370_1574 Depth=1
	s_or_b32 exec_lo, exec_lo, s19
	s_delay_alu instid0(VALU_DEP_1) | instskip(SKIP_1) | instid1(VALU_DEP_2)
	v_dual_lshlrev_b32 v6, 24, v6 :: v_dual_lshlrev_b32 v7, 20, v52
	v_lshl_add_u32 v4, v4, 23, 0x3c000000
	v_and_b32_e32 v6, 0x80000000, v6
	s_delay_alu instid0(VALU_DEP_1)
	v_or3_b32 v4, v7, v6, v4
.LBB370_2256:                           ;   in Loop: Header=BB370_1574 Depth=1
	s_or_b32 exec_lo, exec_lo, s18
.LBB370_2257:                           ;   in Loop: Header=BB370_1574 Depth=1
	s_delay_alu instid0(SALU_CYCLE_1)
	s_or_b32 exec_lo, exec_lo, s17
.LBB370_2258:                           ;   in Loop: Header=BB370_1574 Depth=1
	s_delay_alu instid0(SALU_CYCLE_1) | instskip(NEXT) | instid1(SALU_CYCLE_1)
	s_or_b32 exec_lo, exec_lo, s16
	s_mov_b32 s16, exec_lo
	v_cmpx_lt_u32_e32 0xffffff, v18
	s_cbranch_execz .LBB370_2266
; %bb.2259:                             ;   in Loop: Header=BB370_1574 Depth=1
	v_lshrrev_b32_e32 v6, 24, v18
	v_bfrev_b32_e32 v5, 1
	s_mov_b32 s17, exec_lo
	s_delay_alu instid0(VALU_DEP_2)
	v_cmpx_ne_u32_e32 0x80, v6
	s_cbranch_execz .LBB370_2265
; %bb.2260:                             ;   in Loop: Header=BB370_1574 Depth=1
	v_bfe_u32 v7, v18, 24, 7
	v_mov_b32_e32 v5, 0x7f800001
	s_mov_b32 s18, exec_lo
	s_delay_alu instid0(VALU_DEP_2)
	v_cmpx_ne_u32_e32 0x7f, v7
	s_cbranch_execz .LBB370_2264
; %bb.2261:                             ;   in Loop: Header=BB370_1574 Depth=1
	v_dual_lshrrev_b32 v5, 3, v7 :: v_dual_bitop2_b32 v22, 7, v6 bitop3:0x40
	s_mov_b32 s19, exec_lo
	s_delay_alu instid0(VALU_DEP_1)
	v_mov_b64_e32 v[52:53], v[22:23]
	v_cmpx_gt_u32_e32 8, v7
; %bb.2262:                             ;   in Loop: Header=BB370_1574 Depth=1
	v_clz_i32_u32_e32 v5, v22
	s_delay_alu instid0(VALU_DEP_1) | instskip(NEXT) | instid1(VALU_DEP_1)
	v_min_u32_e32 v5, 32, v5
	v_subrev_nc_u32_e32 v7, 28, v5
	s_delay_alu instid0(VALU_DEP_1) | instskip(NEXT) | instid1(VALU_DEP_1)
	v_lshlrev_b64_e32 v[8:9], v7, v[22:23]
	v_dual_sub_nc_u32 v5, 29, v5 :: v_dual_bitop2_b32 v52, 7, v8 bitop3:0x40
; %bb.2263:                             ;   in Loop: Header=BB370_1574 Depth=1
	s_or_b32 exec_lo, exec_lo, s19
	s_delay_alu instid0(VALU_DEP_1) | instskip(NEXT) | instid1(VALU_DEP_2)
	v_dual_lshlrev_b32 v6, 24, v6 :: v_dual_lshlrev_b32 v7, 20, v52
	v_lshl_add_u32 v5, v5, 23, 0x3c000000
	s_delay_alu instid0(VALU_DEP_2) | instskip(NEXT) | instid1(VALU_DEP_1)
	v_and_b32_e32 v6, 0x80000000, v6
	v_or3_b32 v5, v7, v6, v5
.LBB370_2264:                           ;   in Loop: Header=BB370_1574 Depth=1
	s_or_b32 exec_lo, exec_lo, s18
.LBB370_2265:                           ;   in Loop: Header=BB370_1574 Depth=1
	s_delay_alu instid0(SALU_CYCLE_1)
	s_or_b32 exec_lo, exec_lo, s17
.LBB370_2266:                           ;   in Loop: Header=BB370_1574 Depth=1
	s_delay_alu instid0(SALU_CYCLE_1) | instskip(SKIP_4) | instid1(VALU_DEP_3)
	s_or_b32 exec_lo, exec_lo, s16
	v_and_b32_e32 v8, 0xff, v19
	v_dual_mov_b32 v22, v19 :: v_dual_mov_b32 v7, 0
	v_mov_b32_e32 v6, 0
	s_mov_b32 s16, exec_lo
	v_cmpx_ne_u16_e32 0, v8
	s_cbranch_execz .LBB370_2274
; %bb.2267:                             ;   in Loop: Header=BB370_1574 Depth=1
	v_bfrev_b32_e32 v6, 1
	s_mov_b32 s17, exec_lo
	v_cmpx_ne_u16_e32 0x80, v8
	s_cbranch_execz .LBB370_2273
; %bb.2268:                             ;   in Loop: Header=BB370_1574 Depth=1
	v_and_b32_e32 v8, 0x7f, v19
	v_mov_b32_e32 v6, 0x7f800001
	s_mov_b32 s18, exec_lo
	s_delay_alu instid0(VALU_DEP_2)
	v_cmpx_ne_u32_e32 0x7f, v8
	s_cbranch_execz .LBB370_2272
; %bb.2269:                             ;   in Loop: Header=BB370_1574 Depth=1
	v_mov_b64_e32 v[52:53], v[22:23]
	v_lshrrev_b32_e32 v6, 3, v8
	s_mov_b32 s19, exec_lo
	v_cmpx_gt_u32_e32 8, v8
; %bb.2270:                             ;   in Loop: Header=BB370_1574 Depth=1
	v_and_b32_e32 v6, 7, v19
	s_delay_alu instid0(VALU_DEP_1) | instskip(NEXT) | instid1(VALU_DEP_1)
	v_clz_i32_u32_e32 v6, v6
	v_min_u32_e32 v6, 32, v6
	s_delay_alu instid0(VALU_DEP_1) | instskip(SKIP_1) | instid1(VALU_DEP_2)
	v_subrev_nc_u32_e32 v8, 28, v6
	v_sub_nc_u32_e32 v6, 29, v6
	v_lshlrev_b64_e32 v[52:53], v8, v[22:23]
; %bb.2271:                             ;   in Loop: Header=BB370_1574 Depth=1
	s_or_b32 exec_lo, exec_lo, s19
	s_delay_alu instid0(VALU_DEP_1) | instskip(NEXT) | instid1(VALU_DEP_3)
	v_dual_lshlrev_b32 v8, 20, v52 :: v_dual_lshlrev_b32 v9, 24, v22
	v_lshl_add_u32 v6, v6, 23, 0x3c000000
	s_delay_alu instid0(VALU_DEP_2) | instskip(NEXT) | instid1(VALU_DEP_3)
	v_and_b32_e32 v8, 0x700000, v8
	v_and_b32_e32 v9, 0x80000000, v9
	s_delay_alu instid0(VALU_DEP_1)
	v_or3_b32 v6, v8, v9, v6
.LBB370_2272:                           ;   in Loop: Header=BB370_1574 Depth=1
	s_or_b32 exec_lo, exec_lo, s18
.LBB370_2273:                           ;   in Loop: Header=BB370_1574 Depth=1
	s_delay_alu instid0(SALU_CYCLE_1)
	s_or_b32 exec_lo, exec_lo, s17
.LBB370_2274:                           ;   in Loop: Header=BB370_1574 Depth=1
	s_delay_alu instid0(SALU_CYCLE_1) | instskip(SKIP_2) | instid1(VALU_DEP_1)
	s_or_b32 exec_lo, exec_lo, s16
	v_lshrrev_b16 v8, 8, v22
	s_mov_b32 s16, exec_lo
	v_cmpx_ne_u16_e32 0, v8
	s_cbranch_execz .LBB370_2282
; %bb.2275:                             ;   in Loop: Header=BB370_1574 Depth=1
	v_bfrev_b32_e32 v7, 1
	s_mov_b32 s17, exec_lo
	v_cmpx_ne_u16_e32 0x80, v8
	s_cbranch_execz .LBB370_2281
; %bb.2276:                             ;   in Loop: Header=BB370_1574 Depth=1
	v_and_b32_e32 v9, 0xffff, v8
	v_mov_b32_e32 v7, 0x7f800001
	s_mov_b32 s18, exec_lo
	s_delay_alu instid0(VALU_DEP_2) | instskip(NEXT) | instid1(VALU_DEP_1)
	v_and_b32_e32 v8, 0x7f, v9
	v_cmpx_ne_u32_e32 0x7f, v8
	s_cbranch_execz .LBB370_2280
; %bb.2277:                             ;   in Loop: Header=BB370_1574 Depth=1
	v_dual_mov_b32 v53, v23 :: v_dual_bitop2_b32 v52, 7, v9 bitop3:0x40
	v_lshrrev_b32_e32 v7, 3, v8
	s_mov_b32 s19, exec_lo
	v_cmpx_gt_u32_e32 8, v8
; %bb.2278:                             ;   in Loop: Header=BB370_1574 Depth=1
	s_delay_alu instid0(VALU_DEP_3) | instskip(NEXT) | instid1(VALU_DEP_1)
	v_clz_i32_u32_e32 v7, v52
	v_min_u32_e32 v7, 32, v7
	s_delay_alu instid0(VALU_DEP_1) | instskip(NEXT) | instid1(VALU_DEP_1)
	v_subrev_nc_u32_e32 v8, 28, v7
	v_lshlrev_b64_e32 v[8:9], v8, v[52:53]
	s_delay_alu instid0(VALU_DEP_1)
	v_dual_sub_nc_u32 v7, 29, v7 :: v_dual_bitop2_b32 v52, 7, v8 bitop3:0x40
; %bb.2279:                             ;   in Loop: Header=BB370_1574 Depth=1
	s_or_b32 exec_lo, exec_lo, s19
	s_delay_alu instid0(VALU_DEP_1) | instskip(NEXT) | instid1(VALU_DEP_2)
	v_dual_lshlrev_b32 v8, 16, v22 :: v_dual_lshlrev_b32 v9, 20, v52
	v_lshl_add_u32 v7, v7, 23, 0x3c000000
	s_delay_alu instid0(VALU_DEP_2) | instskip(NEXT) | instid1(VALU_DEP_1)
	v_and_b32_e32 v8, 0x80000000, v8
	v_or3_b32 v7, v9, v8, v7
.LBB370_2280:                           ;   in Loop: Header=BB370_1574 Depth=1
	s_or_b32 exec_lo, exec_lo, s18
.LBB370_2281:                           ;   in Loop: Header=BB370_1574 Depth=1
	s_delay_alu instid0(SALU_CYCLE_1)
	s_or_b32 exec_lo, exec_lo, s17
.LBB370_2282:                           ;   in Loop: Header=BB370_1574 Depth=1
	s_delay_alu instid0(SALU_CYCLE_1) | instskip(SKIP_3) | instid1(VALU_DEP_2)
	s_or_b32 exec_lo, exec_lo, s16
	v_dual_lshrrev_b32 v10, 16, v19 :: v_dual_mov_b32 v8, 0
	v_mov_b32_e32 v9, 0
	s_mov_b32 s16, exec_lo
	v_and_b32_e32 v11, 0xff, v10
	s_delay_alu instid0(VALU_DEP_1)
	v_cmpx_ne_u16_e32 0, v11
	s_cbranch_execz .LBB370_2290
; %bb.2283:                             ;   in Loop: Header=BB370_1574 Depth=1
	v_bfrev_b32_e32 v9, 1
	s_mov_b32 s17, exec_lo
	v_cmpx_ne_u16_e32 0x80, v11
	s_cbranch_execz .LBB370_2289
; %bb.2284:                             ;   in Loop: Header=BB370_1574 Depth=1
	v_bfe_u32 v11, v19, 16, 7
	v_mov_b32_e32 v9, 0x7f800001
	s_mov_b32 s18, exec_lo
	s_delay_alu instid0(VALU_DEP_2)
	v_cmpx_ne_u32_e32 0x7f, v11
	s_cbranch_execz .LBB370_2288
; %bb.2285:                             ;   in Loop: Header=BB370_1574 Depth=1
	v_dual_lshrrev_b32 v9, 3, v11 :: v_dual_bitop2_b32 v22, 7, v10 bitop3:0x40
	s_mov_b32 s19, exec_lo
	s_delay_alu instid0(VALU_DEP_1)
	v_mov_b64_e32 v[52:53], v[22:23]
	v_cmpx_gt_u32_e32 8, v11
; %bb.2286:                             ;   in Loop: Header=BB370_1574 Depth=1
	v_clz_i32_u32_e32 v9, v22
	s_delay_alu instid0(VALU_DEP_1) | instskip(NEXT) | instid1(VALU_DEP_1)
	v_min_u32_e32 v9, 32, v9
	v_subrev_nc_u32_e32 v11, 28, v9
	s_delay_alu instid0(VALU_DEP_1) | instskip(NEXT) | instid1(VALU_DEP_1)
	v_lshlrev_b64_e32 v[48:49], v11, v[22:23]
	v_dual_sub_nc_u32 v9, 29, v9 :: v_dual_bitop2_b32 v52, 7, v48 bitop3:0x40
; %bb.2287:                             ;   in Loop: Header=BB370_1574 Depth=1
	s_or_b32 exec_lo, exec_lo, s19
	s_delay_alu instid0(VALU_DEP_1) | instskip(NEXT) | instid1(VALU_DEP_2)
	v_dual_lshlrev_b32 v10, 24, v10 :: v_dual_lshlrev_b32 v11, 20, v52
	v_lshl_add_u32 v9, v9, 23, 0x3c000000
	s_delay_alu instid0(VALU_DEP_2) | instskip(NEXT) | instid1(VALU_DEP_1)
	v_and_b32_e32 v10, 0x80000000, v10
	v_or3_b32 v9, v11, v10, v9
.LBB370_2288:                           ;   in Loop: Header=BB370_1574 Depth=1
	s_or_b32 exec_lo, exec_lo, s18
.LBB370_2289:                           ;   in Loop: Header=BB370_1574 Depth=1
	s_delay_alu instid0(SALU_CYCLE_1)
	s_or_b32 exec_lo, exec_lo, s17
.LBB370_2290:                           ;   in Loop: Header=BB370_1574 Depth=1
	s_delay_alu instid0(SALU_CYCLE_1) | instskip(NEXT) | instid1(SALU_CYCLE_1)
	s_or_b32 exec_lo, exec_lo, s16
	s_mov_b32 s16, exec_lo
	v_cmpx_lt_u64_e64 s[2:3], v[18:19]
	s_cbranch_execz .LBB370_2298
; %bb.2291:                             ;   in Loop: Header=BB370_1574 Depth=1
	v_lshrrev_b32_e32 v10, 24, v19
	v_bfrev_b32_e32 v8, 1
	s_mov_b32 s17, exec_lo
	s_delay_alu instid0(VALU_DEP_2)
	v_cmpx_ne_u32_e32 0x80, v10
	s_cbranch_execz .LBB370_2297
; %bb.2292:                             ;   in Loop: Header=BB370_1574 Depth=1
	v_bfe_u32 v11, v19, 24, 7
	v_mov_b32_e32 v8, 0x7f800001
	s_mov_b32 s18, exec_lo
	s_delay_alu instid0(VALU_DEP_2)
	v_cmpx_ne_u32_e32 0x7f, v11
	s_cbranch_execz .LBB370_2296
; %bb.2293:                             ;   in Loop: Header=BB370_1574 Depth=1
	v_dual_lshrrev_b32 v8, 3, v11 :: v_dual_bitop2_b32 v22, 7, v10 bitop3:0x40
	s_mov_b32 s19, exec_lo
	s_delay_alu instid0(VALU_DEP_1)
	v_mov_b64_e32 v[18:19], v[22:23]
	v_cmpx_gt_u32_e32 8, v11
; %bb.2294:                             ;   in Loop: Header=BB370_1574 Depth=1
	v_clz_i32_u32_e32 v8, v22
	s_delay_alu instid0(VALU_DEP_1) | instskip(NEXT) | instid1(VALU_DEP_1)
	v_min_u32_e32 v8, 32, v8
	v_subrev_nc_u32_e32 v11, 28, v8
	s_delay_alu instid0(VALU_DEP_1) | instskip(NEXT) | instid1(VALU_DEP_1)
	v_lshlrev_b64_e32 v[18:19], v11, v[22:23]
	v_dual_sub_nc_u32 v8, 29, v8 :: v_dual_bitop2_b32 v18, 7, v18 bitop3:0x40
; %bb.2295:                             ;   in Loop: Header=BB370_1574 Depth=1
	s_or_b32 exec_lo, exec_lo, s19
	v_lshlrev_b32_e32 v10, 24, v10
	s_delay_alu instid0(VALU_DEP_2) | instskip(NEXT) | instid1(VALU_DEP_3)
	v_lshlrev_b32_e32 v11, 20, v18
	v_lshl_add_u32 v8, v8, 23, 0x3c000000
	s_delay_alu instid0(VALU_DEP_3) | instskip(NEXT) | instid1(VALU_DEP_1)
	v_and_b32_e32 v10, 0x80000000, v10
	v_or3_b32 v8, v11, v10, v8
.LBB370_2296:                           ;   in Loop: Header=BB370_1574 Depth=1
	s_or_b32 exec_lo, exec_lo, s18
.LBB370_2297:                           ;   in Loop: Header=BB370_1574 Depth=1
	s_delay_alu instid0(SALU_CYCLE_1)
	s_or_b32 exec_lo, exec_lo, s17
.LBB370_2298:                           ;   in Loop: Header=BB370_1574 Depth=1
	s_delay_alu instid0(SALU_CYCLE_1)
	s_or_b32 exec_lo, exec_lo, s16
	v_fma_mixlo_bf16 v2, v64, v2, 0
	v_fma_mixlo_bf16 v7, v64, v7, 0
	;; [unrolled: 1-line block ×5, first 2 shown]
	scratch_store_b32 off, v2, s32 offset:788 ; 4-byte Folded Spill
	s_wait_xcnt 0x0
	v_fma_mixlo_bf16 v2, v64, v9, 0
	s_clause 0x1
	scratch_store_b32 off, v7, s32 offset:736
	scratch_store_b32 off, v6, s32 offset:740
	v_fma_mixlo_bf16 v3, v64, v3, 0
	s_clause 0x1
	scratch_store_b32 off, v5, s32 offset:764
	scratch_store_b32 off, v2, s32 offset:748
	s_wait_xcnt 0x0
	v_fma_mixlo_bf16 v2, v64, v8, 0
	s_clause 0x2
	scratch_store_b32 off, v4, s32 offset:772
	scratch_store_b32 off, v3, s32 offset:780
	;; [unrolled: 1-line block ×3, first 2 shown]
	s_wait_xcnt 0x0
	s_and_saveexec_b32 s16, vcc_lo
	s_cbranch_execz .LBB370_2300
; %bb.2299:                             ;   in Loop: Header=BB370_1574 Depth=1
	scratch_load_b32 v2, off, s32 offset:788 ; 4-byte Folded Reload
	v_cmp_lt_i32_e64 s0, v113, v88
	s_wait_loadcnt 0x0
	s_delay_alu instid0(VALU_DEP_1)
	v_cndmask_b32_e64 v2, 0, v2, s0
	v_cmp_lt_i32_e64 s0, v56, v88
	s_clause 0x1
	scratch_store_b32 off, v2, s32 offset:788
	scratch_load_b32 v2, off, s32 offset:780
	s_wait_loadcnt 0x0
	v_cndmask_b32_e64 v2, 0, v2, s0
	v_cmp_lt_i32_e64 s0, v47, v88
	s_clause 0x1
	scratch_store_b32 off, v2, s32 offset:780
	scratch_load_b32 v2, off, s32 offset:772
	s_wait_loadcnt 0x0
	;; [unrolled: 6-line block ×7, first 2 shown]
	v_cndmask_b32_e64 v2, 0, v2, s0
	scratch_store_b32 off, v2, s32 offset:756 ; 4-byte Folded Spill
.LBB370_2300:                           ;   in Loop: Header=BB370_1574 Depth=1
	s_wait_xcnt 0x0
	s_or_b32 exec_lo, exec_lo, s16
	flat_load_b64 v[18:19], v[0:1] offset:2816
	v_dual_mov_b32 v3, 0 :: v_dual_mov_b32 v2, 0
	s_mov_b32 s16, exec_lo
	s_wait_loadcnt_dscnt 0x0
	v_and_b32_e32 v4, 0xff, v18
	s_wait_xcnt 0x0
	s_delay_alu instid0(VALU_DEP_1)
	v_cmpx_ne_u16_e32 0, v4
	s_cbranch_execz .LBB370_2308
; %bb.2301:                             ;   in Loop: Header=BB370_1574 Depth=1
	v_bfrev_b32_e32 v2, 1
	s_mov_b32 s17, exec_lo
	v_cmpx_ne_u16_e32 0x80, v4
	s_cbranch_execz .LBB370_2307
; %bb.2302:                             ;   in Loop: Header=BB370_1574 Depth=1
	v_and_b32_e32 v4, 0x7f, v18
	v_mov_b32_e32 v2, 0x7f800001
	s_mov_b32 s18, exec_lo
	s_delay_alu instid0(VALU_DEP_2)
	v_cmpx_ne_u32_e32 0x7f, v4
	s_cbranch_execz .LBB370_2306
; %bb.2303:                             ;   in Loop: Header=BB370_1574 Depth=1
	v_mov_b64_e32 v[52:53], v[18:19]
	v_lshrrev_b32_e32 v2, 3, v4
	s_mov_b32 s19, exec_lo
	v_cmpx_gt_u32_e32 8, v4
; %bb.2304:                             ;   in Loop: Header=BB370_1574 Depth=1
	v_and_b32_e32 v2, 7, v18
	s_delay_alu instid0(VALU_DEP_1) | instskip(NEXT) | instid1(VALU_DEP_1)
	v_clz_i32_u32_e32 v2, v2
	v_min_u32_e32 v2, 32, v2
	s_delay_alu instid0(VALU_DEP_1) | instskip(SKIP_1) | instid1(VALU_DEP_2)
	v_subrev_nc_u32_e32 v4, 28, v2
	v_sub_nc_u32_e32 v2, 29, v2
	v_lshlrev_b64_e32 v[52:53], v4, v[18:19]
; %bb.2305:                             ;   in Loop: Header=BB370_1574 Depth=1
	s_or_b32 exec_lo, exec_lo, s19
	s_delay_alu instid0(VALU_DEP_1) | instskip(NEXT) | instid1(VALU_DEP_3)
	v_dual_lshlrev_b32 v4, 20, v52 :: v_dual_lshlrev_b32 v5, 24, v18
	v_lshl_add_u32 v2, v2, 23, 0x3c000000
	s_delay_alu instid0(VALU_DEP_2) | instskip(NEXT) | instid1(VALU_DEP_3)
	v_and_b32_e32 v4, 0x700000, v4
	v_and_b32_e32 v5, 0x80000000, v5
	s_delay_alu instid0(VALU_DEP_1)
	v_or3_b32 v2, v4, v5, v2
.LBB370_2306:                           ;   in Loop: Header=BB370_1574 Depth=1
	s_or_b32 exec_lo, exec_lo, s18
.LBB370_2307:                           ;   in Loop: Header=BB370_1574 Depth=1
	s_delay_alu instid0(SALU_CYCLE_1)
	s_or_b32 exec_lo, exec_lo, s17
.LBB370_2308:                           ;   in Loop: Header=BB370_1574 Depth=1
	s_delay_alu instid0(SALU_CYCLE_1) | instskip(SKIP_2) | instid1(VALU_DEP_1)
	s_or_b32 exec_lo, exec_lo, s16
	v_lshrrev_b16 v4, 8, v18
	s_mov_b32 s16, exec_lo
	v_cmpx_ne_u16_e32 0, v4
	s_cbranch_execz .LBB370_2316
; %bb.2309:                             ;   in Loop: Header=BB370_1574 Depth=1
	v_bfrev_b32_e32 v3, 1
	s_mov_b32 s17, exec_lo
	v_cmpx_ne_u16_e32 0x80, v4
	s_cbranch_execz .LBB370_2315
; %bb.2310:                             ;   in Loop: Header=BB370_1574 Depth=1
	v_and_b32_e32 v5, 0xffff, v4
	v_mov_b32_e32 v3, 0x7f800001
	s_mov_b32 s18, exec_lo
	s_delay_alu instid0(VALU_DEP_2) | instskip(NEXT) | instid1(VALU_DEP_1)
	v_and_b32_e32 v4, 0x7f, v5
	v_cmpx_ne_u32_e32 0x7f, v4
	s_cbranch_execz .LBB370_2314
; %bb.2311:                             ;   in Loop: Header=BB370_1574 Depth=1
	v_dual_lshrrev_b32 v3, 3, v4 :: v_dual_bitop2_b32 v22, 7, v5 bitop3:0x40
	s_mov_b32 s19, exec_lo
	s_delay_alu instid0(VALU_DEP_1)
	v_mov_b64_e32 v[52:53], v[22:23]
	v_cmpx_gt_u32_e32 8, v4
; %bb.2312:                             ;   in Loop: Header=BB370_1574 Depth=1
	v_clz_i32_u32_e32 v3, v22
	s_delay_alu instid0(VALU_DEP_1) | instskip(NEXT) | instid1(VALU_DEP_1)
	v_min_u32_e32 v3, 32, v3
	v_subrev_nc_u32_e32 v4, 28, v3
	s_delay_alu instid0(VALU_DEP_1) | instskip(NEXT) | instid1(VALU_DEP_1)
	v_lshlrev_b64_e32 v[4:5], v4, v[22:23]
	v_dual_sub_nc_u32 v3, 29, v3 :: v_dual_bitop2_b32 v52, 7, v4 bitop3:0x40
; %bb.2313:                             ;   in Loop: Header=BB370_1574 Depth=1
	s_or_b32 exec_lo, exec_lo, s19
	s_delay_alu instid0(VALU_DEP_1) | instskip(NEXT) | instid1(VALU_DEP_2)
	v_dual_lshlrev_b32 v4, 16, v18 :: v_dual_lshlrev_b32 v5, 20, v52
	v_lshl_add_u32 v3, v3, 23, 0x3c000000
	s_delay_alu instid0(VALU_DEP_2) | instskip(NEXT) | instid1(VALU_DEP_1)
	v_and_b32_e32 v4, 0x80000000, v4
	v_or3_b32 v3, v5, v4, v3
.LBB370_2314:                           ;   in Loop: Header=BB370_1574 Depth=1
	s_or_b32 exec_lo, exec_lo, s18
.LBB370_2315:                           ;   in Loop: Header=BB370_1574 Depth=1
	s_delay_alu instid0(SALU_CYCLE_1)
	s_or_b32 exec_lo, exec_lo, s17
.LBB370_2316:                           ;   in Loop: Header=BB370_1574 Depth=1
	s_delay_alu instid0(SALU_CYCLE_1) | instskip(SKIP_3) | instid1(VALU_DEP_2)
	s_or_b32 exec_lo, exec_lo, s16
	v_dual_mov_b32 v5, 0 :: v_dual_lshrrev_b32 v6, 16, v18
	v_mov_b32_e32 v4, 0
	s_mov_b32 s16, exec_lo
	v_and_b32_e32 v7, 0xff, v6
	s_delay_alu instid0(VALU_DEP_1)
	v_cmpx_ne_u16_e32 0, v7
	s_cbranch_execz .LBB370_2324
; %bb.2317:                             ;   in Loop: Header=BB370_1574 Depth=1
	v_bfrev_b32_e32 v4, 1
	s_mov_b32 s17, exec_lo
	v_cmpx_ne_u16_e32 0x80, v7
	s_cbranch_execz .LBB370_2323
; %bb.2318:                             ;   in Loop: Header=BB370_1574 Depth=1
	v_bfe_u32 v7, v18, 16, 7
	v_mov_b32_e32 v4, 0x7f800001
	s_mov_b32 s18, exec_lo
	s_delay_alu instid0(VALU_DEP_2)
	v_cmpx_ne_u32_e32 0x7f, v7
	s_cbranch_execz .LBB370_2322
; %bb.2319:                             ;   in Loop: Header=BB370_1574 Depth=1
	v_dual_lshrrev_b32 v4, 3, v7 :: v_dual_bitop2_b32 v22, 7, v6 bitop3:0x40
	s_mov_b32 s19, exec_lo
	s_delay_alu instid0(VALU_DEP_1)
	v_mov_b64_e32 v[52:53], v[22:23]
	v_cmpx_gt_u32_e32 8, v7
; %bb.2320:                             ;   in Loop: Header=BB370_1574 Depth=1
	v_clz_i32_u32_e32 v4, v22
	s_delay_alu instid0(VALU_DEP_1) | instskip(NEXT) | instid1(VALU_DEP_1)
	v_min_u32_e32 v4, 32, v4
	v_subrev_nc_u32_e32 v7, 28, v4
	v_sub_nc_u32_e32 v4, 29, v4
	s_delay_alu instid0(VALU_DEP_2) | instskip(NEXT) | instid1(VALU_DEP_1)
	v_lshlrev_b64_e32 v[8:9], v7, v[22:23]
	v_and_b32_e32 v52, 7, v8
; %bb.2321:                             ;   in Loop: Header=BB370_1574 Depth=1
	s_or_b32 exec_lo, exec_lo, s19
	s_delay_alu instid0(VALU_DEP_1) | instskip(SKIP_1) | instid1(VALU_DEP_2)
	v_dual_lshlrev_b32 v6, 24, v6 :: v_dual_lshlrev_b32 v7, 20, v52
	v_lshl_add_u32 v4, v4, 23, 0x3c000000
	v_and_b32_e32 v6, 0x80000000, v6
	s_delay_alu instid0(VALU_DEP_1)
	v_or3_b32 v4, v7, v6, v4
.LBB370_2322:                           ;   in Loop: Header=BB370_1574 Depth=1
	s_or_b32 exec_lo, exec_lo, s18
.LBB370_2323:                           ;   in Loop: Header=BB370_1574 Depth=1
	s_delay_alu instid0(SALU_CYCLE_1)
	s_or_b32 exec_lo, exec_lo, s17
.LBB370_2324:                           ;   in Loop: Header=BB370_1574 Depth=1
	s_delay_alu instid0(SALU_CYCLE_1) | instskip(NEXT) | instid1(SALU_CYCLE_1)
	s_or_b32 exec_lo, exec_lo, s16
	s_mov_b32 s16, exec_lo
	v_cmpx_lt_u32_e32 0xffffff, v18
	s_cbranch_execz .LBB370_2332
; %bb.2325:                             ;   in Loop: Header=BB370_1574 Depth=1
	v_lshrrev_b32_e32 v6, 24, v18
	v_bfrev_b32_e32 v5, 1
	s_mov_b32 s17, exec_lo
	s_delay_alu instid0(VALU_DEP_2)
	v_cmpx_ne_u32_e32 0x80, v6
	s_cbranch_execz .LBB370_2331
; %bb.2326:                             ;   in Loop: Header=BB370_1574 Depth=1
	v_bfe_u32 v7, v18, 24, 7
	v_mov_b32_e32 v5, 0x7f800001
	s_mov_b32 s18, exec_lo
	s_delay_alu instid0(VALU_DEP_2)
	v_cmpx_ne_u32_e32 0x7f, v7
	s_cbranch_execz .LBB370_2330
; %bb.2327:                             ;   in Loop: Header=BB370_1574 Depth=1
	v_dual_lshrrev_b32 v5, 3, v7 :: v_dual_bitop2_b32 v22, 7, v6 bitop3:0x40
	s_mov_b32 s19, exec_lo
	s_delay_alu instid0(VALU_DEP_1)
	v_mov_b64_e32 v[52:53], v[22:23]
	v_cmpx_gt_u32_e32 8, v7
; %bb.2328:                             ;   in Loop: Header=BB370_1574 Depth=1
	v_clz_i32_u32_e32 v5, v22
	s_delay_alu instid0(VALU_DEP_1) | instskip(NEXT) | instid1(VALU_DEP_1)
	v_min_u32_e32 v5, 32, v5
	v_subrev_nc_u32_e32 v7, 28, v5
	s_delay_alu instid0(VALU_DEP_1) | instskip(NEXT) | instid1(VALU_DEP_1)
	v_lshlrev_b64_e32 v[8:9], v7, v[22:23]
	v_dual_sub_nc_u32 v5, 29, v5 :: v_dual_bitop2_b32 v52, 7, v8 bitop3:0x40
; %bb.2329:                             ;   in Loop: Header=BB370_1574 Depth=1
	s_or_b32 exec_lo, exec_lo, s19
	s_delay_alu instid0(VALU_DEP_1) | instskip(NEXT) | instid1(VALU_DEP_2)
	v_dual_lshlrev_b32 v6, 24, v6 :: v_dual_lshlrev_b32 v7, 20, v52
	v_lshl_add_u32 v5, v5, 23, 0x3c000000
	s_delay_alu instid0(VALU_DEP_2) | instskip(NEXT) | instid1(VALU_DEP_1)
	v_and_b32_e32 v6, 0x80000000, v6
	v_or3_b32 v5, v7, v6, v5
.LBB370_2330:                           ;   in Loop: Header=BB370_1574 Depth=1
	s_or_b32 exec_lo, exec_lo, s18
.LBB370_2331:                           ;   in Loop: Header=BB370_1574 Depth=1
	s_delay_alu instid0(SALU_CYCLE_1)
	s_or_b32 exec_lo, exec_lo, s17
.LBB370_2332:                           ;   in Loop: Header=BB370_1574 Depth=1
	s_delay_alu instid0(SALU_CYCLE_1) | instskip(SKIP_4) | instid1(VALU_DEP_3)
	s_or_b32 exec_lo, exec_lo, s16
	v_and_b32_e32 v8, 0xff, v19
	v_dual_mov_b32 v22, v19 :: v_dual_mov_b32 v7, 0
	v_mov_b32_e32 v6, 0
	s_mov_b32 s16, exec_lo
	v_cmpx_ne_u16_e32 0, v8
	s_cbranch_execz .LBB370_2340
; %bb.2333:                             ;   in Loop: Header=BB370_1574 Depth=1
	v_bfrev_b32_e32 v6, 1
	s_mov_b32 s17, exec_lo
	v_cmpx_ne_u16_e32 0x80, v8
	s_cbranch_execz .LBB370_2339
; %bb.2334:                             ;   in Loop: Header=BB370_1574 Depth=1
	v_and_b32_e32 v8, 0x7f, v19
	v_mov_b32_e32 v6, 0x7f800001
	s_mov_b32 s18, exec_lo
	s_delay_alu instid0(VALU_DEP_2)
	v_cmpx_ne_u32_e32 0x7f, v8
	s_cbranch_execz .LBB370_2338
; %bb.2335:                             ;   in Loop: Header=BB370_1574 Depth=1
	v_mov_b64_e32 v[52:53], v[22:23]
	v_lshrrev_b32_e32 v6, 3, v8
	s_mov_b32 s19, exec_lo
	v_cmpx_gt_u32_e32 8, v8
; %bb.2336:                             ;   in Loop: Header=BB370_1574 Depth=1
	v_and_b32_e32 v6, 7, v19
	s_delay_alu instid0(VALU_DEP_1) | instskip(NEXT) | instid1(VALU_DEP_1)
	v_clz_i32_u32_e32 v6, v6
	v_min_u32_e32 v6, 32, v6
	s_delay_alu instid0(VALU_DEP_1) | instskip(SKIP_1) | instid1(VALU_DEP_2)
	v_subrev_nc_u32_e32 v8, 28, v6
	v_sub_nc_u32_e32 v6, 29, v6
	v_lshlrev_b64_e32 v[52:53], v8, v[22:23]
; %bb.2337:                             ;   in Loop: Header=BB370_1574 Depth=1
	s_or_b32 exec_lo, exec_lo, s19
	s_delay_alu instid0(VALU_DEP_1) | instskip(NEXT) | instid1(VALU_DEP_3)
	v_dual_lshlrev_b32 v8, 20, v52 :: v_dual_lshlrev_b32 v9, 24, v22
	v_lshl_add_u32 v6, v6, 23, 0x3c000000
	s_delay_alu instid0(VALU_DEP_2) | instskip(NEXT) | instid1(VALU_DEP_3)
	v_and_b32_e32 v8, 0x700000, v8
	v_and_b32_e32 v9, 0x80000000, v9
	s_delay_alu instid0(VALU_DEP_1)
	v_or3_b32 v6, v8, v9, v6
.LBB370_2338:                           ;   in Loop: Header=BB370_1574 Depth=1
	s_or_b32 exec_lo, exec_lo, s18
.LBB370_2339:                           ;   in Loop: Header=BB370_1574 Depth=1
	s_delay_alu instid0(SALU_CYCLE_1)
	s_or_b32 exec_lo, exec_lo, s17
.LBB370_2340:                           ;   in Loop: Header=BB370_1574 Depth=1
	s_delay_alu instid0(SALU_CYCLE_1) | instskip(SKIP_2) | instid1(VALU_DEP_1)
	s_or_b32 exec_lo, exec_lo, s16
	v_lshrrev_b16 v8, 8, v22
	s_mov_b32 s16, exec_lo
	v_cmpx_ne_u16_e32 0, v8
	s_cbranch_execz .LBB370_2348
; %bb.2341:                             ;   in Loop: Header=BB370_1574 Depth=1
	v_bfrev_b32_e32 v7, 1
	s_mov_b32 s17, exec_lo
	v_cmpx_ne_u16_e32 0x80, v8
	s_cbranch_execz .LBB370_2347
; %bb.2342:                             ;   in Loop: Header=BB370_1574 Depth=1
	v_and_b32_e32 v9, 0xffff, v8
	v_mov_b32_e32 v7, 0x7f800001
	s_mov_b32 s18, exec_lo
	s_delay_alu instid0(VALU_DEP_2) | instskip(NEXT) | instid1(VALU_DEP_1)
	v_and_b32_e32 v8, 0x7f, v9
	v_cmpx_ne_u32_e32 0x7f, v8
	s_cbranch_execz .LBB370_2346
; %bb.2343:                             ;   in Loop: Header=BB370_1574 Depth=1
	v_dual_mov_b32 v53, v23 :: v_dual_bitop2_b32 v52, 7, v9 bitop3:0x40
	v_lshrrev_b32_e32 v7, 3, v8
	s_mov_b32 s19, exec_lo
	v_cmpx_gt_u32_e32 8, v8
; %bb.2344:                             ;   in Loop: Header=BB370_1574 Depth=1
	s_delay_alu instid0(VALU_DEP_3) | instskip(NEXT) | instid1(VALU_DEP_1)
	v_clz_i32_u32_e32 v7, v52
	v_min_u32_e32 v7, 32, v7
	s_delay_alu instid0(VALU_DEP_1) | instskip(NEXT) | instid1(VALU_DEP_1)
	v_subrev_nc_u32_e32 v8, 28, v7
	v_lshlrev_b64_e32 v[8:9], v8, v[52:53]
	s_delay_alu instid0(VALU_DEP_1)
	v_dual_sub_nc_u32 v7, 29, v7 :: v_dual_bitop2_b32 v52, 7, v8 bitop3:0x40
; %bb.2345:                             ;   in Loop: Header=BB370_1574 Depth=1
	s_or_b32 exec_lo, exec_lo, s19
	s_delay_alu instid0(VALU_DEP_1) | instskip(NEXT) | instid1(VALU_DEP_2)
	v_dual_lshlrev_b32 v8, 16, v22 :: v_dual_lshlrev_b32 v9, 20, v52
	v_lshl_add_u32 v7, v7, 23, 0x3c000000
	s_delay_alu instid0(VALU_DEP_2) | instskip(NEXT) | instid1(VALU_DEP_1)
	v_and_b32_e32 v8, 0x80000000, v8
	v_or3_b32 v7, v9, v8, v7
.LBB370_2346:                           ;   in Loop: Header=BB370_1574 Depth=1
	s_or_b32 exec_lo, exec_lo, s18
.LBB370_2347:                           ;   in Loop: Header=BB370_1574 Depth=1
	s_delay_alu instid0(SALU_CYCLE_1)
	s_or_b32 exec_lo, exec_lo, s17
.LBB370_2348:                           ;   in Loop: Header=BB370_1574 Depth=1
	s_delay_alu instid0(SALU_CYCLE_1) | instskip(SKIP_3) | instid1(VALU_DEP_2)
	s_or_b32 exec_lo, exec_lo, s16
	v_dual_lshrrev_b32 v10, 16, v19 :: v_dual_mov_b32 v8, 0
	v_mov_b32_e32 v9, 0
	s_mov_b32 s16, exec_lo
	v_and_b32_e32 v11, 0xff, v10
	s_delay_alu instid0(VALU_DEP_1)
	v_cmpx_ne_u16_e32 0, v11
	s_cbranch_execz .LBB370_2356
; %bb.2349:                             ;   in Loop: Header=BB370_1574 Depth=1
	v_bfrev_b32_e32 v9, 1
	s_mov_b32 s17, exec_lo
	v_cmpx_ne_u16_e32 0x80, v11
	s_cbranch_execz .LBB370_2355
; %bb.2350:                             ;   in Loop: Header=BB370_1574 Depth=1
	v_bfe_u32 v11, v19, 16, 7
	v_mov_b32_e32 v9, 0x7f800001
	s_mov_b32 s18, exec_lo
	s_delay_alu instid0(VALU_DEP_2)
	v_cmpx_ne_u32_e32 0x7f, v11
	s_cbranch_execz .LBB370_2354
; %bb.2351:                             ;   in Loop: Header=BB370_1574 Depth=1
	v_dual_lshrrev_b32 v9, 3, v11 :: v_dual_bitop2_b32 v22, 7, v10 bitop3:0x40
	s_mov_b32 s19, exec_lo
	s_delay_alu instid0(VALU_DEP_1)
	v_mov_b64_e32 v[52:53], v[22:23]
	v_cmpx_gt_u32_e32 8, v11
; %bb.2352:                             ;   in Loop: Header=BB370_1574 Depth=1
	v_clz_i32_u32_e32 v9, v22
	s_delay_alu instid0(VALU_DEP_1) | instskip(NEXT) | instid1(VALU_DEP_1)
	v_min_u32_e32 v9, 32, v9
	v_subrev_nc_u32_e32 v11, 28, v9
	s_delay_alu instid0(VALU_DEP_1) | instskip(NEXT) | instid1(VALU_DEP_1)
	v_lshlrev_b64_e32 v[48:49], v11, v[22:23]
	v_dual_sub_nc_u32 v9, 29, v9 :: v_dual_bitop2_b32 v52, 7, v48 bitop3:0x40
; %bb.2353:                             ;   in Loop: Header=BB370_1574 Depth=1
	s_or_b32 exec_lo, exec_lo, s19
	s_delay_alu instid0(VALU_DEP_1) | instskip(NEXT) | instid1(VALU_DEP_2)
	v_dual_lshlrev_b32 v10, 24, v10 :: v_dual_lshlrev_b32 v11, 20, v52
	v_lshl_add_u32 v9, v9, 23, 0x3c000000
	s_delay_alu instid0(VALU_DEP_2) | instskip(NEXT) | instid1(VALU_DEP_1)
	v_and_b32_e32 v10, 0x80000000, v10
	v_or3_b32 v9, v11, v10, v9
.LBB370_2354:                           ;   in Loop: Header=BB370_1574 Depth=1
	s_or_b32 exec_lo, exec_lo, s18
.LBB370_2355:                           ;   in Loop: Header=BB370_1574 Depth=1
	s_delay_alu instid0(SALU_CYCLE_1)
	s_or_b32 exec_lo, exec_lo, s17
.LBB370_2356:                           ;   in Loop: Header=BB370_1574 Depth=1
	s_delay_alu instid0(SALU_CYCLE_1) | instskip(NEXT) | instid1(SALU_CYCLE_1)
	s_or_b32 exec_lo, exec_lo, s16
	s_mov_b32 s16, exec_lo
	v_cmpx_lt_u64_e64 s[2:3], v[18:19]
	s_cbranch_execz .LBB370_2364
; %bb.2357:                             ;   in Loop: Header=BB370_1574 Depth=1
	v_lshrrev_b32_e32 v10, 24, v19
	v_bfrev_b32_e32 v8, 1
	s_mov_b32 s17, exec_lo
	s_delay_alu instid0(VALU_DEP_2)
	v_cmpx_ne_u32_e32 0x80, v10
	s_cbranch_execz .LBB370_2363
; %bb.2358:                             ;   in Loop: Header=BB370_1574 Depth=1
	v_bfe_u32 v11, v19, 24, 7
	v_mov_b32_e32 v8, 0x7f800001
	s_mov_b32 s18, exec_lo
	s_delay_alu instid0(VALU_DEP_2)
	v_cmpx_ne_u32_e32 0x7f, v11
	s_cbranch_execz .LBB370_2362
; %bb.2359:                             ;   in Loop: Header=BB370_1574 Depth=1
	v_dual_lshrrev_b32 v8, 3, v11 :: v_dual_bitop2_b32 v22, 7, v10 bitop3:0x40
	s_mov_b32 s19, exec_lo
	s_delay_alu instid0(VALU_DEP_1)
	v_mov_b64_e32 v[18:19], v[22:23]
	v_cmpx_gt_u32_e32 8, v11
; %bb.2360:                             ;   in Loop: Header=BB370_1574 Depth=1
	v_clz_i32_u32_e32 v8, v22
	s_delay_alu instid0(VALU_DEP_1) | instskip(NEXT) | instid1(VALU_DEP_1)
	v_min_u32_e32 v8, 32, v8
	v_subrev_nc_u32_e32 v11, 28, v8
	s_delay_alu instid0(VALU_DEP_1) | instskip(NEXT) | instid1(VALU_DEP_1)
	v_lshlrev_b64_e32 v[18:19], v11, v[22:23]
	v_dual_sub_nc_u32 v8, 29, v8 :: v_dual_bitop2_b32 v18, 7, v18 bitop3:0x40
; %bb.2361:                             ;   in Loop: Header=BB370_1574 Depth=1
	s_or_b32 exec_lo, exec_lo, s19
	v_lshlrev_b32_e32 v10, 24, v10
	s_delay_alu instid0(VALU_DEP_2) | instskip(NEXT) | instid1(VALU_DEP_3)
	v_lshlrev_b32_e32 v11, 20, v18
	v_lshl_add_u32 v8, v8, 23, 0x3c000000
	s_delay_alu instid0(VALU_DEP_3) | instskip(NEXT) | instid1(VALU_DEP_1)
	v_and_b32_e32 v10, 0x80000000, v10
	v_or3_b32 v8, v11, v10, v8
.LBB370_2362:                           ;   in Loop: Header=BB370_1574 Depth=1
	s_or_b32 exec_lo, exec_lo, s18
.LBB370_2363:                           ;   in Loop: Header=BB370_1574 Depth=1
	s_delay_alu instid0(SALU_CYCLE_1)
	s_or_b32 exec_lo, exec_lo, s17
.LBB370_2364:                           ;   in Loop: Header=BB370_1574 Depth=1
	s_delay_alu instid0(SALU_CYCLE_1)
	s_or_b32 exec_lo, exec_lo, s16
	v_fma_mixlo_bf16 v2, v64, v2, 0
	v_fma_mixlo_bf16 v7, v64, v7, 0
	;; [unrolled: 1-line block ×5, first 2 shown]
	scratch_store_b32 off, v2, s32 offset:844 ; 4-byte Folded Spill
	s_wait_xcnt 0x0
	v_fma_mixlo_bf16 v2, v64, v9, 0
	s_clause 0x1
	scratch_store_b32 off, v7, s32 offset:792
	scratch_store_b32 off, v6, s32 offset:800
	v_fma_mixlo_bf16 v3, v64, v3, 0
	s_clause 0x1
	scratch_store_b32 off, v5, s32 offset:820
	scratch_store_b32 off, v2, s32 offset:804
	s_wait_xcnt 0x0
	v_fma_mixlo_bf16 v2, v64, v8, 0
	s_clause 0x2
	scratch_store_b32 off, v4, s32 offset:828
	scratch_store_b32 off, v3, s32 offset:836
	;; [unrolled: 1-line block ×3, first 2 shown]
	s_wait_xcnt 0x0
	s_and_saveexec_b32 s16, vcc_lo
	s_cbranch_execz .LBB370_2366
; %bb.2365:                             ;   in Loop: Header=BB370_1574 Depth=1
	scratch_load_b32 v2, off, s32 offset:844 ; 4-byte Folded Reload
	v_cmp_lt_i32_e64 s0, v113, v88
	s_wait_loadcnt 0x0
	s_delay_alu instid0(VALU_DEP_1)
	v_cndmask_b32_e64 v2, 0, v2, s0
	v_cmp_lt_i32_e64 s0, v56, v88
	s_clause 0x1
	scratch_store_b32 off, v2, s32 offset:844
	scratch_load_b32 v2, off, s32 offset:836
	s_wait_loadcnt 0x0
	v_cndmask_b32_e64 v2, 0, v2, s0
	v_cmp_lt_i32_e64 s0, v47, v88
	s_clause 0x1
	scratch_store_b32 off, v2, s32 offset:836
	scratch_load_b32 v2, off, s32 offset:828
	s_wait_loadcnt 0x0
	;; [unrolled: 6-line block ×7, first 2 shown]
	v_cndmask_b32_e64 v2, 0, v2, s0
	scratch_store_b32 off, v2, s32 offset:812 ; 4-byte Folded Spill
.LBB370_2366:                           ;   in Loop: Header=BB370_1574 Depth=1
	s_wait_xcnt 0x0
	s_or_b32 exec_lo, exec_lo, s16
	flat_load_b64 v[18:19], v[0:1] offset:3072
	v_dual_mov_b32 v3, 0 :: v_dual_mov_b32 v4, 0
	s_mov_b32 s16, exec_lo
	s_wait_loadcnt_dscnt 0x0
	v_and_b32_e32 v2, 0xff, v18
	s_wait_xcnt 0x0
	s_delay_alu instid0(VALU_DEP_1)
	v_cmpx_ne_u16_e32 0, v2
	s_cbranch_execz .LBB370_2374
; %bb.2367:                             ;   in Loop: Header=BB370_1574 Depth=1
	v_bfrev_b32_e32 v4, 1
	s_mov_b32 s17, exec_lo
	v_cmpx_ne_u16_e32 0x80, v2
	s_cbranch_execz .LBB370_2373
; %bb.2368:                             ;   in Loop: Header=BB370_1574 Depth=1
	v_and_b32_e32 v5, 0x7f, v18
	v_mov_b32_e32 v4, 0x7f800001
	s_mov_b32 s18, exec_lo
	s_delay_alu instid0(VALU_DEP_2)
	v_cmpx_ne_u32_e32 0x7f, v5
	s_cbranch_execz .LBB370_2372
; %bb.2369:                             ;   in Loop: Header=BB370_1574 Depth=1
	v_mov_b64_e32 v[52:53], v[18:19]
	v_lshrrev_b32_e32 v2, 3, v5
	s_mov_b32 s19, exec_lo
	v_cmpx_gt_u32_e32 8, v5
; %bb.2370:                             ;   in Loop: Header=BB370_1574 Depth=1
	v_and_b32_e32 v2, 7, v18
	s_delay_alu instid0(VALU_DEP_1) | instskip(NEXT) | instid1(VALU_DEP_1)
	v_clz_i32_u32_e32 v2, v2
	v_min_u32_e32 v2, 32, v2
	s_delay_alu instid0(VALU_DEP_1) | instskip(SKIP_1) | instid1(VALU_DEP_2)
	v_subrev_nc_u32_e32 v4, 28, v2
	v_sub_nc_u32_e32 v2, 29, v2
	v_lshlrev_b64_e32 v[52:53], v4, v[18:19]
; %bb.2371:                             ;   in Loop: Header=BB370_1574 Depth=1
	s_or_b32 exec_lo, exec_lo, s19
	s_delay_alu instid0(VALU_DEP_1) | instskip(NEXT) | instid1(VALU_DEP_3)
	v_dual_lshlrev_b32 v4, 20, v52 :: v_dual_lshlrev_b32 v5, 24, v18
	v_lshl_add_u32 v2, v2, 23, 0x3c000000
	s_delay_alu instid0(VALU_DEP_2) | instskip(NEXT) | instid1(VALU_DEP_3)
	v_and_b32_e32 v4, 0x700000, v4
	v_and_b32_e32 v5, 0x80000000, v5
	s_delay_alu instid0(VALU_DEP_1)
	v_or3_b32 v4, v4, v5, v2
.LBB370_2372:                           ;   in Loop: Header=BB370_1574 Depth=1
	s_or_b32 exec_lo, exec_lo, s18
.LBB370_2373:                           ;   in Loop: Header=BB370_1574 Depth=1
	s_delay_alu instid0(SALU_CYCLE_1)
	s_or_b32 exec_lo, exec_lo, s17
.LBB370_2374:                           ;   in Loop: Header=BB370_1574 Depth=1
	s_delay_alu instid0(SALU_CYCLE_1) | instskip(SKIP_2) | instid1(VALU_DEP_1)
	s_or_b32 exec_lo, exec_lo, s16
	v_lshrrev_b16 v2, 8, v18
	s_mov_b32 s16, exec_lo
	v_cmpx_ne_u16_e32 0, v2
	s_cbranch_execz .LBB370_2382
; %bb.2375:                             ;   in Loop: Header=BB370_1574 Depth=1
	v_bfrev_b32_e32 v3, 1
	s_mov_b32 s17, exec_lo
	v_cmpx_ne_u16_e32 0x80, v2
	s_cbranch_execz .LBB370_2381
; %bb.2376:                             ;   in Loop: Header=BB370_1574 Depth=1
	v_and_b32_e32 v2, 0xffff, v2
	v_mov_b32_e32 v3, 0x7f800001
	s_mov_b32 s18, exec_lo
	s_delay_alu instid0(VALU_DEP_2) | instskip(NEXT) | instid1(VALU_DEP_1)
	v_and_b32_e32 v5, 0x7f, v2
	v_cmpx_ne_u32_e32 0x7f, v5
	s_cbranch_execz .LBB370_2380
; %bb.2377:                             ;   in Loop: Header=BB370_1574 Depth=1
	v_dual_lshrrev_b32 v2, 3, v5 :: v_dual_bitop2_b32 v22, 7, v2 bitop3:0x40
	s_mov_b32 s19, exec_lo
	s_delay_alu instid0(VALU_DEP_1)
	v_mov_b64_e32 v[52:53], v[22:23]
	v_cmpx_gt_u32_e32 8, v5
; %bb.2378:                             ;   in Loop: Header=BB370_1574 Depth=1
	v_clz_i32_u32_e32 v2, v22
	s_delay_alu instid0(VALU_DEP_1) | instskip(NEXT) | instid1(VALU_DEP_1)
	v_min_u32_e32 v2, 32, v2
	v_subrev_nc_u32_e32 v3, 28, v2
	v_sub_nc_u32_e32 v2, 29, v2
	s_delay_alu instid0(VALU_DEP_2) | instskip(NEXT) | instid1(VALU_DEP_1)
	v_lshlrev_b64_e32 v[6:7], v3, v[22:23]
	v_and_b32_e32 v52, 7, v6
; %bb.2379:                             ;   in Loop: Header=BB370_1574 Depth=1
	s_or_b32 exec_lo, exec_lo, s19
	s_delay_alu instid0(VALU_DEP_1) | instskip(SKIP_1) | instid1(VALU_DEP_2)
	v_dual_lshlrev_b32 v3, 16, v18 :: v_dual_lshlrev_b32 v5, 20, v52
	v_lshl_add_u32 v2, v2, 23, 0x3c000000
	v_and_b32_e32 v3, 0x80000000, v3
	s_delay_alu instid0(VALU_DEP_1)
	v_or3_b32 v3, v5, v3, v2
.LBB370_2380:                           ;   in Loop: Header=BB370_1574 Depth=1
	s_or_b32 exec_lo, exec_lo, s18
.LBB370_2381:                           ;   in Loop: Header=BB370_1574 Depth=1
	s_delay_alu instid0(SALU_CYCLE_1)
	s_or_b32 exec_lo, exec_lo, s17
.LBB370_2382:                           ;   in Loop: Header=BB370_1574 Depth=1
	s_delay_alu instid0(SALU_CYCLE_1) | instskip(SKIP_3) | instid1(VALU_DEP_2)
	s_or_b32 exec_lo, exec_lo, s16
	v_dual_mov_b32 v5, 0 :: v_dual_lshrrev_b32 v6, 16, v18
	v_mov_b32_e32 v2, 0
	s_mov_b32 s16, exec_lo
	v_and_b32_e32 v7, 0xff, v6
	s_delay_alu instid0(VALU_DEP_1)
	v_cmpx_ne_u16_e32 0, v7
	s_cbranch_execz .LBB370_2390
; %bb.2383:                             ;   in Loop: Header=BB370_1574 Depth=1
	v_bfrev_b32_e32 v2, 1
	s_mov_b32 s17, exec_lo
	v_cmpx_ne_u16_e32 0x80, v7
	s_cbranch_execz .LBB370_2389
; %bb.2384:                             ;   in Loop: Header=BB370_1574 Depth=1
	v_bfe_u32 v7, v18, 16, 7
	v_mov_b32_e32 v2, 0x7f800001
	s_mov_b32 s18, exec_lo
	s_delay_alu instid0(VALU_DEP_2)
	v_cmpx_ne_u32_e32 0x7f, v7
	s_cbranch_execz .LBB370_2388
; %bb.2385:                             ;   in Loop: Header=BB370_1574 Depth=1
	v_dual_lshrrev_b32 v2, 3, v7 :: v_dual_bitop2_b32 v22, 7, v6 bitop3:0x40
	s_mov_b32 s19, exec_lo
	s_delay_alu instid0(VALU_DEP_1)
	v_mov_b64_e32 v[52:53], v[22:23]
	v_cmpx_gt_u32_e32 8, v7
; %bb.2386:                             ;   in Loop: Header=BB370_1574 Depth=1
	v_clz_i32_u32_e32 v2, v22
	s_delay_alu instid0(VALU_DEP_1) | instskip(NEXT) | instid1(VALU_DEP_1)
	v_min_u32_e32 v2, 32, v2
	v_subrev_nc_u32_e32 v7, 28, v2
	s_delay_alu instid0(VALU_DEP_1) | instskip(NEXT) | instid1(VALU_DEP_1)
	v_lshlrev_b64_e32 v[8:9], v7, v[22:23]
	v_dual_sub_nc_u32 v2, 29, v2 :: v_dual_bitop2_b32 v52, 7, v8 bitop3:0x40
; %bb.2387:                             ;   in Loop: Header=BB370_1574 Depth=1
	s_or_b32 exec_lo, exec_lo, s19
	s_delay_alu instid0(VALU_DEP_1) | instskip(NEXT) | instid1(VALU_DEP_2)
	v_dual_lshlrev_b32 v6, 24, v6 :: v_dual_lshlrev_b32 v7, 20, v52
	v_lshl_add_u32 v2, v2, 23, 0x3c000000
	s_delay_alu instid0(VALU_DEP_2) | instskip(NEXT) | instid1(VALU_DEP_1)
	v_and_b32_e32 v6, 0x80000000, v6
	v_or3_b32 v2, v7, v6, v2
.LBB370_2388:                           ;   in Loop: Header=BB370_1574 Depth=1
	s_or_b32 exec_lo, exec_lo, s18
.LBB370_2389:                           ;   in Loop: Header=BB370_1574 Depth=1
	s_delay_alu instid0(SALU_CYCLE_1)
	s_or_b32 exec_lo, exec_lo, s17
.LBB370_2390:                           ;   in Loop: Header=BB370_1574 Depth=1
	s_delay_alu instid0(SALU_CYCLE_1) | instskip(NEXT) | instid1(SALU_CYCLE_1)
	s_or_b32 exec_lo, exec_lo, s16
	s_mov_b32 s16, exec_lo
	v_cmpx_lt_u32_e32 0xffffff, v18
	s_cbranch_execz .LBB370_2398
; %bb.2391:                             ;   in Loop: Header=BB370_1574 Depth=1
	v_lshrrev_b32_e32 v6, 24, v18
	v_bfrev_b32_e32 v5, 1
	s_mov_b32 s17, exec_lo
	s_delay_alu instid0(VALU_DEP_2)
	v_cmpx_ne_u32_e32 0x80, v6
	s_cbranch_execz .LBB370_2397
; %bb.2392:                             ;   in Loop: Header=BB370_1574 Depth=1
	v_bfe_u32 v7, v18, 24, 7
	v_mov_b32_e32 v5, 0x7f800001
	s_mov_b32 s18, exec_lo
	s_delay_alu instid0(VALU_DEP_2)
	v_cmpx_ne_u32_e32 0x7f, v7
	s_cbranch_execz .LBB370_2396
; %bb.2393:                             ;   in Loop: Header=BB370_1574 Depth=1
	v_dual_lshrrev_b32 v5, 3, v7 :: v_dual_bitop2_b32 v22, 7, v6 bitop3:0x40
	s_mov_b32 s19, exec_lo
	s_delay_alu instid0(VALU_DEP_1)
	v_mov_b64_e32 v[52:53], v[22:23]
	v_cmpx_gt_u32_e32 8, v7
; %bb.2394:                             ;   in Loop: Header=BB370_1574 Depth=1
	v_clz_i32_u32_e32 v5, v22
	s_delay_alu instid0(VALU_DEP_1) | instskip(NEXT) | instid1(VALU_DEP_1)
	v_min_u32_e32 v5, 32, v5
	v_subrev_nc_u32_e32 v7, 28, v5
	s_delay_alu instid0(VALU_DEP_1) | instskip(NEXT) | instid1(VALU_DEP_1)
	v_lshlrev_b64_e32 v[8:9], v7, v[22:23]
	v_dual_sub_nc_u32 v5, 29, v5 :: v_dual_bitop2_b32 v52, 7, v8 bitop3:0x40
; %bb.2395:                             ;   in Loop: Header=BB370_1574 Depth=1
	s_or_b32 exec_lo, exec_lo, s19
	s_delay_alu instid0(VALU_DEP_1) | instskip(NEXT) | instid1(VALU_DEP_2)
	v_dual_lshlrev_b32 v6, 24, v6 :: v_dual_lshlrev_b32 v7, 20, v52
	v_lshl_add_u32 v5, v5, 23, 0x3c000000
	s_delay_alu instid0(VALU_DEP_2) | instskip(NEXT) | instid1(VALU_DEP_1)
	v_and_b32_e32 v6, 0x80000000, v6
	v_or3_b32 v5, v7, v6, v5
.LBB370_2396:                           ;   in Loop: Header=BB370_1574 Depth=1
	s_or_b32 exec_lo, exec_lo, s18
.LBB370_2397:                           ;   in Loop: Header=BB370_1574 Depth=1
	s_delay_alu instid0(SALU_CYCLE_1)
	s_or_b32 exec_lo, exec_lo, s17
.LBB370_2398:                           ;   in Loop: Header=BB370_1574 Depth=1
	s_delay_alu instid0(SALU_CYCLE_1) | instskip(SKIP_4) | instid1(VALU_DEP_3)
	s_or_b32 exec_lo, exec_lo, s16
	v_and_b32_e32 v8, 0xff, v19
	v_dual_mov_b32 v22, v19 :: v_dual_mov_b32 v7, 0
	v_mov_b32_e32 v6, 0
	s_mov_b32 s16, exec_lo
	v_cmpx_ne_u16_e32 0, v8
	s_cbranch_execz .LBB370_2406
; %bb.2399:                             ;   in Loop: Header=BB370_1574 Depth=1
	v_bfrev_b32_e32 v6, 1
	s_mov_b32 s17, exec_lo
	v_cmpx_ne_u16_e32 0x80, v8
	s_cbranch_execz .LBB370_2405
; %bb.2400:                             ;   in Loop: Header=BB370_1574 Depth=1
	v_and_b32_e32 v8, 0x7f, v19
	v_mov_b32_e32 v6, 0x7f800001
	s_mov_b32 s18, exec_lo
	s_delay_alu instid0(VALU_DEP_2)
	v_cmpx_ne_u32_e32 0x7f, v8
	s_cbranch_execz .LBB370_2404
; %bb.2401:                             ;   in Loop: Header=BB370_1574 Depth=1
	v_mov_b64_e32 v[52:53], v[22:23]
	v_lshrrev_b32_e32 v6, 3, v8
	s_mov_b32 s19, exec_lo
	v_cmpx_gt_u32_e32 8, v8
; %bb.2402:                             ;   in Loop: Header=BB370_1574 Depth=1
	v_and_b32_e32 v6, 7, v19
	s_delay_alu instid0(VALU_DEP_1) | instskip(NEXT) | instid1(VALU_DEP_1)
	v_clz_i32_u32_e32 v6, v6
	v_min_u32_e32 v6, 32, v6
	s_delay_alu instid0(VALU_DEP_1) | instskip(SKIP_1) | instid1(VALU_DEP_2)
	v_subrev_nc_u32_e32 v8, 28, v6
	v_sub_nc_u32_e32 v6, 29, v6
	v_lshlrev_b64_e32 v[52:53], v8, v[22:23]
; %bb.2403:                             ;   in Loop: Header=BB370_1574 Depth=1
	s_or_b32 exec_lo, exec_lo, s19
	s_delay_alu instid0(VALU_DEP_1) | instskip(NEXT) | instid1(VALU_DEP_3)
	v_dual_lshlrev_b32 v8, 20, v52 :: v_dual_lshlrev_b32 v9, 24, v22
	v_lshl_add_u32 v6, v6, 23, 0x3c000000
	s_delay_alu instid0(VALU_DEP_2) | instskip(NEXT) | instid1(VALU_DEP_3)
	v_and_b32_e32 v8, 0x700000, v8
	v_and_b32_e32 v9, 0x80000000, v9
	s_delay_alu instid0(VALU_DEP_1)
	v_or3_b32 v6, v8, v9, v6
.LBB370_2404:                           ;   in Loop: Header=BB370_1574 Depth=1
	s_or_b32 exec_lo, exec_lo, s18
.LBB370_2405:                           ;   in Loop: Header=BB370_1574 Depth=1
	s_delay_alu instid0(SALU_CYCLE_1)
	s_or_b32 exec_lo, exec_lo, s17
.LBB370_2406:                           ;   in Loop: Header=BB370_1574 Depth=1
	s_delay_alu instid0(SALU_CYCLE_1) | instskip(SKIP_2) | instid1(VALU_DEP_1)
	s_or_b32 exec_lo, exec_lo, s16
	v_lshrrev_b16 v8, 8, v22
	s_mov_b32 s16, exec_lo
	v_cmpx_ne_u16_e32 0, v8
	s_cbranch_execz .LBB370_2414
; %bb.2407:                             ;   in Loop: Header=BB370_1574 Depth=1
	v_bfrev_b32_e32 v7, 1
	s_mov_b32 s17, exec_lo
	v_cmpx_ne_u16_e32 0x80, v8
	s_cbranch_execz .LBB370_2413
; %bb.2408:                             ;   in Loop: Header=BB370_1574 Depth=1
	v_and_b32_e32 v9, 0xffff, v8
	v_mov_b32_e32 v7, 0x7f800001
	s_mov_b32 s18, exec_lo
	s_delay_alu instid0(VALU_DEP_2) | instskip(NEXT) | instid1(VALU_DEP_1)
	v_and_b32_e32 v8, 0x7f, v9
	v_cmpx_ne_u32_e32 0x7f, v8
	s_cbranch_execz .LBB370_2412
; %bb.2409:                             ;   in Loop: Header=BB370_1574 Depth=1
	v_dual_mov_b32 v53, v23 :: v_dual_bitop2_b32 v52, 7, v9 bitop3:0x40
	v_lshrrev_b32_e32 v7, 3, v8
	s_mov_b32 s19, exec_lo
	v_cmpx_gt_u32_e32 8, v8
; %bb.2410:                             ;   in Loop: Header=BB370_1574 Depth=1
	s_delay_alu instid0(VALU_DEP_3) | instskip(NEXT) | instid1(VALU_DEP_1)
	v_clz_i32_u32_e32 v7, v52
	v_min_u32_e32 v7, 32, v7
	s_delay_alu instid0(VALU_DEP_1) | instskip(NEXT) | instid1(VALU_DEP_1)
	v_subrev_nc_u32_e32 v8, 28, v7
	v_lshlrev_b64_e32 v[8:9], v8, v[52:53]
	s_delay_alu instid0(VALU_DEP_1)
	v_dual_sub_nc_u32 v7, 29, v7 :: v_dual_bitop2_b32 v52, 7, v8 bitop3:0x40
; %bb.2411:                             ;   in Loop: Header=BB370_1574 Depth=1
	s_or_b32 exec_lo, exec_lo, s19
	s_delay_alu instid0(VALU_DEP_1) | instskip(NEXT) | instid1(VALU_DEP_2)
	v_dual_lshlrev_b32 v8, 16, v22 :: v_dual_lshlrev_b32 v9, 20, v52
	v_lshl_add_u32 v7, v7, 23, 0x3c000000
	s_delay_alu instid0(VALU_DEP_2) | instskip(NEXT) | instid1(VALU_DEP_1)
	v_and_b32_e32 v8, 0x80000000, v8
	v_or3_b32 v7, v9, v8, v7
.LBB370_2412:                           ;   in Loop: Header=BB370_1574 Depth=1
	s_or_b32 exec_lo, exec_lo, s18
.LBB370_2413:                           ;   in Loop: Header=BB370_1574 Depth=1
	s_delay_alu instid0(SALU_CYCLE_1)
	s_or_b32 exec_lo, exec_lo, s17
.LBB370_2414:                           ;   in Loop: Header=BB370_1574 Depth=1
	s_delay_alu instid0(SALU_CYCLE_1) | instskip(SKIP_3) | instid1(VALU_DEP_2)
	s_or_b32 exec_lo, exec_lo, s16
	v_dual_lshrrev_b32 v10, 16, v19 :: v_dual_mov_b32 v8, 0
	v_mov_b32_e32 v9, 0
	s_mov_b32 s16, exec_lo
	v_and_b32_e32 v11, 0xff, v10
	s_delay_alu instid0(VALU_DEP_1)
	v_cmpx_ne_u16_e32 0, v11
	s_cbranch_execz .LBB370_2422
; %bb.2415:                             ;   in Loop: Header=BB370_1574 Depth=1
	v_bfrev_b32_e32 v9, 1
	s_mov_b32 s17, exec_lo
	v_cmpx_ne_u16_e32 0x80, v11
	s_cbranch_execz .LBB370_2421
; %bb.2416:                             ;   in Loop: Header=BB370_1574 Depth=1
	v_bfe_u32 v11, v19, 16, 7
	v_mov_b32_e32 v9, 0x7f800001
	s_mov_b32 s18, exec_lo
	s_delay_alu instid0(VALU_DEP_2)
	v_cmpx_ne_u32_e32 0x7f, v11
	s_cbranch_execz .LBB370_2420
; %bb.2417:                             ;   in Loop: Header=BB370_1574 Depth=1
	v_dual_lshrrev_b32 v9, 3, v11 :: v_dual_bitop2_b32 v22, 7, v10 bitop3:0x40
	s_mov_b32 s19, exec_lo
	s_delay_alu instid0(VALU_DEP_1)
	v_mov_b64_e32 v[52:53], v[22:23]
	v_cmpx_gt_u32_e32 8, v11
; %bb.2418:                             ;   in Loop: Header=BB370_1574 Depth=1
	v_clz_i32_u32_e32 v9, v22
	s_delay_alu instid0(VALU_DEP_1) | instskip(NEXT) | instid1(VALU_DEP_1)
	v_min_u32_e32 v9, 32, v9
	v_subrev_nc_u32_e32 v11, 28, v9
	s_delay_alu instid0(VALU_DEP_1) | instskip(NEXT) | instid1(VALU_DEP_1)
	v_lshlrev_b64_e32 v[48:49], v11, v[22:23]
	v_dual_sub_nc_u32 v9, 29, v9 :: v_dual_bitop2_b32 v52, 7, v48 bitop3:0x40
; %bb.2419:                             ;   in Loop: Header=BB370_1574 Depth=1
	s_or_b32 exec_lo, exec_lo, s19
	s_delay_alu instid0(VALU_DEP_1) | instskip(NEXT) | instid1(VALU_DEP_2)
	v_dual_lshlrev_b32 v10, 24, v10 :: v_dual_lshlrev_b32 v11, 20, v52
	v_lshl_add_u32 v9, v9, 23, 0x3c000000
	s_delay_alu instid0(VALU_DEP_2) | instskip(NEXT) | instid1(VALU_DEP_1)
	v_and_b32_e32 v10, 0x80000000, v10
	v_or3_b32 v9, v11, v10, v9
.LBB370_2420:                           ;   in Loop: Header=BB370_1574 Depth=1
	s_or_b32 exec_lo, exec_lo, s18
.LBB370_2421:                           ;   in Loop: Header=BB370_1574 Depth=1
	s_delay_alu instid0(SALU_CYCLE_1)
	s_or_b32 exec_lo, exec_lo, s17
.LBB370_2422:                           ;   in Loop: Header=BB370_1574 Depth=1
	s_delay_alu instid0(SALU_CYCLE_1) | instskip(NEXT) | instid1(SALU_CYCLE_1)
	s_or_b32 exec_lo, exec_lo, s16
	s_mov_b32 s16, exec_lo
	v_cmpx_lt_u64_e64 s[2:3], v[18:19]
	s_cbranch_execz .LBB370_2430
; %bb.2423:                             ;   in Loop: Header=BB370_1574 Depth=1
	v_lshrrev_b32_e32 v10, 24, v19
	v_bfrev_b32_e32 v8, 1
	s_mov_b32 s17, exec_lo
	s_delay_alu instid0(VALU_DEP_2)
	v_cmpx_ne_u32_e32 0x80, v10
	s_cbranch_execz .LBB370_2429
; %bb.2424:                             ;   in Loop: Header=BB370_1574 Depth=1
	v_bfe_u32 v11, v19, 24, 7
	v_mov_b32_e32 v8, 0x7f800001
	s_mov_b32 s18, exec_lo
	s_delay_alu instid0(VALU_DEP_2)
	v_cmpx_ne_u32_e32 0x7f, v11
	s_cbranch_execz .LBB370_2428
; %bb.2425:                             ;   in Loop: Header=BB370_1574 Depth=1
	v_dual_lshrrev_b32 v8, 3, v11 :: v_dual_bitop2_b32 v22, 7, v10 bitop3:0x40
	s_mov_b32 s19, exec_lo
	s_delay_alu instid0(VALU_DEP_1)
	v_mov_b64_e32 v[18:19], v[22:23]
	v_cmpx_gt_u32_e32 8, v11
; %bb.2426:                             ;   in Loop: Header=BB370_1574 Depth=1
	v_clz_i32_u32_e32 v8, v22
	s_delay_alu instid0(VALU_DEP_1) | instskip(NEXT) | instid1(VALU_DEP_1)
	v_min_u32_e32 v8, 32, v8
	v_subrev_nc_u32_e32 v11, 28, v8
	s_delay_alu instid0(VALU_DEP_1) | instskip(NEXT) | instid1(VALU_DEP_1)
	v_lshlrev_b64_e32 v[18:19], v11, v[22:23]
	v_dual_sub_nc_u32 v8, 29, v8 :: v_dual_bitop2_b32 v18, 7, v18 bitop3:0x40
; %bb.2427:                             ;   in Loop: Header=BB370_1574 Depth=1
	s_or_b32 exec_lo, exec_lo, s19
	v_lshlrev_b32_e32 v10, 24, v10
	s_delay_alu instid0(VALU_DEP_2) | instskip(NEXT) | instid1(VALU_DEP_3)
	v_lshlrev_b32_e32 v11, 20, v18
	v_lshl_add_u32 v8, v8, 23, 0x3c000000
	s_delay_alu instid0(VALU_DEP_3) | instskip(NEXT) | instid1(VALU_DEP_1)
	v_and_b32_e32 v10, 0x80000000, v10
	v_or3_b32 v8, v11, v10, v8
.LBB370_2428:                           ;   in Loop: Header=BB370_1574 Depth=1
	s_or_b32 exec_lo, exec_lo, s18
.LBB370_2429:                           ;   in Loop: Header=BB370_1574 Depth=1
	s_delay_alu instid0(SALU_CYCLE_1)
	s_or_b32 exec_lo, exec_lo, s17
.LBB370_2430:                           ;   in Loop: Header=BB370_1574 Depth=1
	s_delay_alu instid0(SALU_CYCLE_1)
	s_or_b32 exec_lo, exec_lo, s16
	v_fma_mixlo_bf16 v2, v64, v2, 0
	v_fma_mixlo_bf16 v7, v64, v7, 0
	;; [unrolled: 1-line block ×4, first 2 shown]
	scratch_store_b32 off, v2, s32 offset:892 ; 4-byte Folded Spill
	s_wait_xcnt 0x0
	v_fma_mixlo_bf16 v2, v64, v3, 0
	s_clause 0x1
	scratch_store_b32 off, v7, s32 offset:852
	scratch_store_b32 off, v2, s32 offset:900
	s_wait_xcnt 0x0
	v_fma_mixlo_bf16 v2, v64, v4, 0
	scratch_store_b32 off, v2, s32 offset:908 ; 4-byte Folded Spill
	s_wait_xcnt 0x0
	v_fma_mixlo_bf16 v2, v64, v9, 0
	s_clause 0x2
	scratch_store_b32 off, v6, s32 offset:860
	scratch_store_b32 off, v5, s32 offset:884
	;; [unrolled: 1-line block ×3, first 2 shown]
	s_wait_xcnt 0x0
	v_fma_mixlo_bf16 v2, v64, v8, 0
	scratch_store_b32 off, v2, s32 offset:876 ; 4-byte Folded Spill
	s_wait_xcnt 0x0
	s_and_saveexec_b32 s16, vcc_lo
	s_cbranch_execz .LBB370_2432
; %bb.2431:                             ;   in Loop: Header=BB370_1574 Depth=1
	scratch_load_b32 v2, off, s32 offset:908 ; 4-byte Folded Reload
	v_cmp_lt_i32_e64 s0, v113, v88
	s_wait_loadcnt 0x0
	s_delay_alu instid0(VALU_DEP_1)
	v_cndmask_b32_e64 v2, 0, v2, s0
	v_cmp_lt_i32_e64 s0, v56, v88
	s_clause 0x1
	scratch_store_b32 off, v2, s32 offset:908
	scratch_load_b32 v2, off, s32 offset:900
	s_wait_loadcnt 0x0
	v_cndmask_b32_e64 v2, 0, v2, s0
	v_cmp_lt_i32_e64 s0, v47, v88
	s_clause 0x1
	scratch_store_b32 off, v2, s32 offset:900
	scratch_load_b32 v2, off, s32 offset:892
	s_wait_loadcnt 0x0
	;; [unrolled: 6-line block ×7, first 2 shown]
	v_cndmask_b32_e64 v2, 0, v2, s0
	scratch_store_b32 off, v2, s32 offset:876 ; 4-byte Folded Spill
.LBB370_2432:                           ;   in Loop: Header=BB370_1574 Depth=1
	s_wait_xcnt 0x0
	s_or_b32 exec_lo, exec_lo, s16
	flat_load_b64 v[18:19], v[0:1] offset:3328
	v_dual_mov_b32 v9, 0 :: v_dual_mov_b32 v7, 0
	s_mov_b32 s16, exec_lo
	s_wait_loadcnt_dscnt 0x0
	v_and_b32_e32 v2, 0xff, v18
	s_wait_xcnt 0x0
	s_delay_alu instid0(VALU_DEP_1)
	v_cmpx_ne_u16_e32 0, v2
	s_cbranch_execz .LBB370_2440
; %bb.2433:                             ;   in Loop: Header=BB370_1574 Depth=1
	v_bfrev_b32_e32 v7, 1
	s_mov_b32 s17, exec_lo
	v_cmpx_ne_u16_e32 0x80, v2
	s_cbranch_execz .LBB370_2439
; %bb.2434:                             ;   in Loop: Header=BB370_1574 Depth=1
	v_and_b32_e32 v3, 0x7f, v18
	v_mov_b32_e32 v7, 0x7f800001
	s_mov_b32 s18, exec_lo
	s_delay_alu instid0(VALU_DEP_2)
	v_cmpx_ne_u32_e32 0x7f, v3
	s_cbranch_execz .LBB370_2438
; %bb.2435:                             ;   in Loop: Header=BB370_1574 Depth=1
	v_mov_b64_e32 v[52:53], v[18:19]
	v_lshrrev_b32_e32 v2, 3, v3
	s_mov_b32 s19, exec_lo
	v_cmpx_gt_u32_e32 8, v3
; %bb.2436:                             ;   in Loop: Header=BB370_1574 Depth=1
	v_and_b32_e32 v2, 7, v18
	s_delay_alu instid0(VALU_DEP_1) | instskip(NEXT) | instid1(VALU_DEP_1)
	v_clz_i32_u32_e32 v2, v2
	v_min_u32_e32 v2, 32, v2
	s_delay_alu instid0(VALU_DEP_1) | instskip(SKIP_1) | instid1(VALU_DEP_2)
	v_subrev_nc_u32_e32 v3, 28, v2
	v_sub_nc_u32_e32 v2, 29, v2
	v_lshlrev_b64_e32 v[52:53], v3, v[18:19]
; %bb.2437:                             ;   in Loop: Header=BB370_1574 Depth=1
	s_or_b32 exec_lo, exec_lo, s19
	s_delay_alu instid0(VALU_DEP_1) | instskip(NEXT) | instid1(VALU_DEP_3)
	v_dual_lshlrev_b32 v3, 20, v52 :: v_dual_lshlrev_b32 v4, 24, v18
	v_lshl_add_u32 v2, v2, 23, 0x3c000000
	s_delay_alu instid0(VALU_DEP_2) | instskip(NEXT) | instid1(VALU_DEP_3)
	v_and_b32_e32 v3, 0x700000, v3
	v_and_b32_e32 v4, 0x80000000, v4
	s_delay_alu instid0(VALU_DEP_1)
	v_or3_b32 v7, v3, v4, v2
.LBB370_2438:                           ;   in Loop: Header=BB370_1574 Depth=1
	s_or_b32 exec_lo, exec_lo, s18
.LBB370_2439:                           ;   in Loop: Header=BB370_1574 Depth=1
	s_delay_alu instid0(SALU_CYCLE_1)
	s_or_b32 exec_lo, exec_lo, s17
.LBB370_2440:                           ;   in Loop: Header=BB370_1574 Depth=1
	s_delay_alu instid0(SALU_CYCLE_1) | instskip(SKIP_2) | instid1(VALU_DEP_1)
	s_or_b32 exec_lo, exec_lo, s16
	v_lshrrev_b16 v2, 8, v18
	s_mov_b32 s16, exec_lo
	v_cmpx_ne_u16_e32 0, v2
	s_cbranch_execz .LBB370_2448
; %bb.2441:                             ;   in Loop: Header=BB370_1574 Depth=1
	v_bfrev_b32_e32 v9, 1
	s_mov_b32 s17, exec_lo
	v_cmpx_ne_u16_e32 0x80, v2
	s_cbranch_execz .LBB370_2447
; %bb.2442:                             ;   in Loop: Header=BB370_1574 Depth=1
	v_and_b32_e32 v2, 0xffff, v2
	v_mov_b32_e32 v9, 0x7f800001
	s_mov_b32 s18, exec_lo
	s_delay_alu instid0(VALU_DEP_2) | instskip(NEXT) | instid1(VALU_DEP_1)
	v_and_b32_e32 v3, 0x7f, v2
	v_cmpx_ne_u32_e32 0x7f, v3
	s_cbranch_execz .LBB370_2446
; %bb.2443:                             ;   in Loop: Header=BB370_1574 Depth=1
	v_dual_lshrrev_b32 v2, 3, v3 :: v_dual_bitop2_b32 v22, 7, v2 bitop3:0x40
	s_mov_b32 s19, exec_lo
	s_delay_alu instid0(VALU_DEP_1)
	v_mov_b64_e32 v[52:53], v[22:23]
	v_cmpx_gt_u32_e32 8, v3
; %bb.2444:                             ;   in Loop: Header=BB370_1574 Depth=1
	v_clz_i32_u32_e32 v2, v22
	s_delay_alu instid0(VALU_DEP_1) | instskip(NEXT) | instid1(VALU_DEP_1)
	v_min_u32_e32 v2, 32, v2
	v_subrev_nc_u32_e32 v3, 28, v2
	s_delay_alu instid0(VALU_DEP_1) | instskip(NEXT) | instid1(VALU_DEP_1)
	v_lshlrev_b64_e32 v[4:5], v3, v[22:23]
	v_dual_sub_nc_u32 v2, 29, v2 :: v_dual_bitop2_b32 v52, 7, v4 bitop3:0x40
; %bb.2445:                             ;   in Loop: Header=BB370_1574 Depth=1
	s_or_b32 exec_lo, exec_lo, s19
	s_delay_alu instid0(VALU_DEP_1) | instskip(NEXT) | instid1(VALU_DEP_2)
	v_dual_lshlrev_b32 v3, 16, v18 :: v_dual_lshlrev_b32 v4, 20, v52
	v_lshl_add_u32 v2, v2, 23, 0x3c000000
	s_delay_alu instid0(VALU_DEP_2) | instskip(NEXT) | instid1(VALU_DEP_1)
	v_and_b32_e32 v3, 0x80000000, v3
	v_or3_b32 v9, v4, v3, v2
.LBB370_2446:                           ;   in Loop: Header=BB370_1574 Depth=1
	s_or_b32 exec_lo, exec_lo, s18
.LBB370_2447:                           ;   in Loop: Header=BB370_1574 Depth=1
	s_delay_alu instid0(SALU_CYCLE_1)
	s_or_b32 exec_lo, exec_lo, s17
.LBB370_2448:                           ;   in Loop: Header=BB370_1574 Depth=1
	s_delay_alu instid0(SALU_CYCLE_1) | instskip(SKIP_3) | instid1(VALU_DEP_2)
	s_or_b32 exec_lo, exec_lo, s16
	v_dual_lshrrev_b32 v2, 16, v18 :: v_dual_mov_b32 v8, 0
	v_mov_b32_e32 v10, 0
	s_mov_b32 s16, exec_lo
	v_and_b32_e32 v3, 0xff, v2
	s_delay_alu instid0(VALU_DEP_1)
	v_cmpx_ne_u16_e32 0, v3
	s_cbranch_execz .LBB370_2456
; %bb.2449:                             ;   in Loop: Header=BB370_1574 Depth=1
	v_bfrev_b32_e32 v10, 1
	s_mov_b32 s17, exec_lo
	v_cmpx_ne_u16_e32 0x80, v3
	s_cbranch_execz .LBB370_2455
; %bb.2450:                             ;   in Loop: Header=BB370_1574 Depth=1
	v_bfe_u32 v4, v18, 16, 7
	v_mov_b32_e32 v10, 0x7f800001
	s_mov_b32 s18, exec_lo
	s_delay_alu instid0(VALU_DEP_2)
	v_cmpx_ne_u32_e32 0x7f, v4
	s_cbranch_execz .LBB370_2454
; %bb.2451:                             ;   in Loop: Header=BB370_1574 Depth=1
	v_dual_lshrrev_b32 v3, 3, v4 :: v_dual_bitop2_b32 v22, 7, v2 bitop3:0x40
	s_mov_b32 s19, exec_lo
	s_delay_alu instid0(VALU_DEP_1)
	v_mov_b64_e32 v[52:53], v[22:23]
	v_cmpx_gt_u32_e32 8, v4
; %bb.2452:                             ;   in Loop: Header=BB370_1574 Depth=1
	v_clz_i32_u32_e32 v3, v22
	s_delay_alu instid0(VALU_DEP_1) | instskip(NEXT) | instid1(VALU_DEP_1)
	v_min_u32_e32 v3, 32, v3
	v_subrev_nc_u32_e32 v4, 28, v3
	s_delay_alu instid0(VALU_DEP_1) | instskip(NEXT) | instid1(VALU_DEP_1)
	v_lshlrev_b64_e32 v[4:5], v4, v[22:23]
	v_dual_sub_nc_u32 v3, 29, v3 :: v_dual_bitop2_b32 v52, 7, v4 bitop3:0x40
; %bb.2453:                             ;   in Loop: Header=BB370_1574 Depth=1
	s_or_b32 exec_lo, exec_lo, s19
	s_delay_alu instid0(VALU_DEP_1) | instskip(NEXT) | instid1(VALU_DEP_2)
	v_dual_lshlrev_b32 v2, 24, v2 :: v_dual_lshlrev_b32 v4, 20, v52
	v_lshl_add_u32 v3, v3, 23, 0x3c000000
	s_delay_alu instid0(VALU_DEP_2) | instskip(NEXT) | instid1(VALU_DEP_1)
	v_and_b32_e32 v2, 0x80000000, v2
	v_or3_b32 v10, v4, v2, v3
.LBB370_2454:                           ;   in Loop: Header=BB370_1574 Depth=1
	s_or_b32 exec_lo, exec_lo, s18
.LBB370_2455:                           ;   in Loop: Header=BB370_1574 Depth=1
	s_delay_alu instid0(SALU_CYCLE_1)
	s_or_b32 exec_lo, exec_lo, s17
.LBB370_2456:                           ;   in Loop: Header=BB370_1574 Depth=1
	s_delay_alu instid0(SALU_CYCLE_1) | instskip(NEXT) | instid1(SALU_CYCLE_1)
	s_or_b32 exec_lo, exec_lo, s16
	s_mov_b32 s16, exec_lo
	v_cmpx_lt_u32_e32 0xffffff, v18
	s_cbranch_execz .LBB370_2464
; %bb.2457:                             ;   in Loop: Header=BB370_1574 Depth=1
	v_lshrrev_b32_e32 v2, 24, v18
	v_bfrev_b32_e32 v8, 1
	s_mov_b32 s17, exec_lo
	s_delay_alu instid0(VALU_DEP_2)
	v_cmpx_ne_u32_e32 0x80, v2
	s_cbranch_execz .LBB370_2463
; %bb.2458:                             ;   in Loop: Header=BB370_1574 Depth=1
	v_bfe_u32 v4, v18, 24, 7
	v_mov_b32_e32 v8, 0x7f800001
	s_mov_b32 s18, exec_lo
	s_delay_alu instid0(VALU_DEP_2)
	v_cmpx_ne_u32_e32 0x7f, v4
	s_cbranch_execz .LBB370_2462
; %bb.2459:                             ;   in Loop: Header=BB370_1574 Depth=1
	v_dual_lshrrev_b32 v3, 3, v4 :: v_dual_bitop2_b32 v22, 7, v2 bitop3:0x40
	s_mov_b32 s19, exec_lo
	s_delay_alu instid0(VALU_DEP_1)
	v_mov_b64_e32 v[52:53], v[22:23]
	v_cmpx_gt_u32_e32 8, v4
; %bb.2460:                             ;   in Loop: Header=BB370_1574 Depth=1
	v_clz_i32_u32_e32 v3, v22
	s_delay_alu instid0(VALU_DEP_1) | instskip(NEXT) | instid1(VALU_DEP_1)
	v_min_u32_e32 v3, 32, v3
	v_subrev_nc_u32_e32 v4, 28, v3
	s_delay_alu instid0(VALU_DEP_1) | instskip(NEXT) | instid1(VALU_DEP_1)
	v_lshlrev_b64_e32 v[4:5], v4, v[22:23]
	v_dual_sub_nc_u32 v3, 29, v3 :: v_dual_bitop2_b32 v52, 7, v4 bitop3:0x40
; %bb.2461:                             ;   in Loop: Header=BB370_1574 Depth=1
	s_or_b32 exec_lo, exec_lo, s19
	s_delay_alu instid0(VALU_DEP_1) | instskip(NEXT) | instid1(VALU_DEP_2)
	v_dual_lshlrev_b32 v2, 24, v2 :: v_dual_lshlrev_b32 v4, 20, v52
	v_lshl_add_u32 v3, v3, 23, 0x3c000000
	s_delay_alu instid0(VALU_DEP_2) | instskip(NEXT) | instid1(VALU_DEP_1)
	v_and_b32_e32 v2, 0x80000000, v2
	v_or3_b32 v8, v4, v2, v3
.LBB370_2462:                           ;   in Loop: Header=BB370_1574 Depth=1
	s_or_b32 exec_lo, exec_lo, s18
.LBB370_2463:                           ;   in Loop: Header=BB370_1574 Depth=1
	s_delay_alu instid0(SALU_CYCLE_1)
	s_or_b32 exec_lo, exec_lo, s17
.LBB370_2464:                           ;   in Loop: Header=BB370_1574 Depth=1
	s_delay_alu instid0(SALU_CYCLE_1) | instskip(SKIP_4) | instid1(VALU_DEP_3)
	s_or_b32 exec_lo, exec_lo, s16
	v_and_b32_e32 v4, 0xff, v19
	v_dual_mov_b32 v22, v19 :: v_dual_mov_b32 v3, 0
	v_mov_b32_e32 v2, 0
	s_mov_b32 s16, exec_lo
	v_cmpx_ne_u16_e32 0, v4
	s_cbranch_execz .LBB370_2472
; %bb.2465:                             ;   in Loop: Header=BB370_1574 Depth=1
	v_bfrev_b32_e32 v2, 1
	s_mov_b32 s17, exec_lo
	v_cmpx_ne_u16_e32 0x80, v4
	s_cbranch_execz .LBB370_2471
; %bb.2466:                             ;   in Loop: Header=BB370_1574 Depth=1
	v_and_b32_e32 v4, 0x7f, v19
	v_mov_b32_e32 v2, 0x7f800001
	s_mov_b32 s18, exec_lo
	s_delay_alu instid0(VALU_DEP_2)
	v_cmpx_ne_u32_e32 0x7f, v4
	s_cbranch_execz .LBB370_2470
; %bb.2467:                             ;   in Loop: Header=BB370_1574 Depth=1
	v_mov_b64_e32 v[52:53], v[22:23]
	v_lshrrev_b32_e32 v2, 3, v4
	s_mov_b32 s19, exec_lo
	v_cmpx_gt_u32_e32 8, v4
; %bb.2468:                             ;   in Loop: Header=BB370_1574 Depth=1
	v_and_b32_e32 v2, 7, v19
	s_delay_alu instid0(VALU_DEP_1) | instskip(NEXT) | instid1(VALU_DEP_1)
	v_clz_i32_u32_e32 v2, v2
	v_min_u32_e32 v2, 32, v2
	s_delay_alu instid0(VALU_DEP_1) | instskip(SKIP_1) | instid1(VALU_DEP_2)
	v_subrev_nc_u32_e32 v4, 28, v2
	v_sub_nc_u32_e32 v2, 29, v2
	v_lshlrev_b64_e32 v[52:53], v4, v[22:23]
; %bb.2469:                             ;   in Loop: Header=BB370_1574 Depth=1
	s_or_b32 exec_lo, exec_lo, s19
	s_delay_alu instid0(VALU_DEP_1) | instskip(NEXT) | instid1(VALU_DEP_3)
	v_dual_lshlrev_b32 v4, 20, v52 :: v_dual_lshlrev_b32 v5, 24, v22
	v_lshl_add_u32 v2, v2, 23, 0x3c000000
	s_delay_alu instid0(VALU_DEP_2) | instskip(NEXT) | instid1(VALU_DEP_3)
	v_and_b32_e32 v4, 0x700000, v4
	v_and_b32_e32 v5, 0x80000000, v5
	s_delay_alu instid0(VALU_DEP_1)
	v_or3_b32 v2, v4, v5, v2
.LBB370_2470:                           ;   in Loop: Header=BB370_1574 Depth=1
	s_or_b32 exec_lo, exec_lo, s18
.LBB370_2471:                           ;   in Loop: Header=BB370_1574 Depth=1
	s_delay_alu instid0(SALU_CYCLE_1)
	s_or_b32 exec_lo, exec_lo, s17
.LBB370_2472:                           ;   in Loop: Header=BB370_1574 Depth=1
	s_delay_alu instid0(SALU_CYCLE_1) | instskip(SKIP_2) | instid1(VALU_DEP_1)
	s_or_b32 exec_lo, exec_lo, s16
	v_lshrrev_b16 v4, 8, v22
	s_mov_b32 s16, exec_lo
	v_cmpx_ne_u16_e32 0, v4
	s_cbranch_execz .LBB370_2480
; %bb.2473:                             ;   in Loop: Header=BB370_1574 Depth=1
	v_bfrev_b32_e32 v3, 1
	s_mov_b32 s17, exec_lo
	v_cmpx_ne_u16_e32 0x80, v4
	s_cbranch_execz .LBB370_2479
; %bb.2474:                             ;   in Loop: Header=BB370_1574 Depth=1
	v_and_b32_e32 v5, 0xffff, v4
	v_mov_b32_e32 v3, 0x7f800001
	s_mov_b32 s18, exec_lo
	s_delay_alu instid0(VALU_DEP_2) | instskip(NEXT) | instid1(VALU_DEP_1)
	v_and_b32_e32 v4, 0x7f, v5
	v_cmpx_ne_u32_e32 0x7f, v4
	s_cbranch_execz .LBB370_2478
; %bb.2475:                             ;   in Loop: Header=BB370_1574 Depth=1
	v_dual_mov_b32 v53, v23 :: v_dual_bitop2_b32 v52, 7, v5 bitop3:0x40
	v_lshrrev_b32_e32 v3, 3, v4
	s_mov_b32 s19, exec_lo
	v_cmpx_gt_u32_e32 8, v4
; %bb.2476:                             ;   in Loop: Header=BB370_1574 Depth=1
	s_delay_alu instid0(VALU_DEP_3) | instskip(NEXT) | instid1(VALU_DEP_1)
	v_clz_i32_u32_e32 v3, v52
	v_min_u32_e32 v3, 32, v3
	s_delay_alu instid0(VALU_DEP_1) | instskip(NEXT) | instid1(VALU_DEP_1)
	v_subrev_nc_u32_e32 v4, 28, v3
	v_lshlrev_b64_e32 v[4:5], v4, v[52:53]
	s_delay_alu instid0(VALU_DEP_1)
	v_dual_sub_nc_u32 v3, 29, v3 :: v_dual_bitop2_b32 v52, 7, v4 bitop3:0x40
; %bb.2477:                             ;   in Loop: Header=BB370_1574 Depth=1
	s_or_b32 exec_lo, exec_lo, s19
	s_delay_alu instid0(VALU_DEP_1) | instskip(NEXT) | instid1(VALU_DEP_2)
	v_dual_lshlrev_b32 v4, 16, v22 :: v_dual_lshlrev_b32 v5, 20, v52
	v_lshl_add_u32 v3, v3, 23, 0x3c000000
	s_delay_alu instid0(VALU_DEP_2) | instskip(NEXT) | instid1(VALU_DEP_1)
	v_and_b32_e32 v4, 0x80000000, v4
	v_or3_b32 v3, v5, v4, v3
.LBB370_2478:                           ;   in Loop: Header=BB370_1574 Depth=1
	s_or_b32 exec_lo, exec_lo, s18
.LBB370_2479:                           ;   in Loop: Header=BB370_1574 Depth=1
	s_delay_alu instid0(SALU_CYCLE_1)
	s_or_b32 exec_lo, exec_lo, s17
.LBB370_2480:                           ;   in Loop: Header=BB370_1574 Depth=1
	s_delay_alu instid0(SALU_CYCLE_1) | instskip(SKIP_3) | instid1(VALU_DEP_2)
	s_or_b32 exec_lo, exec_lo, s16
	v_dual_mov_b32 v4, 0 :: v_dual_lshrrev_b32 v5, 16, v19
	v_mov_b32_e32 v11, 0
	s_mov_b32 s16, exec_lo
	v_and_b32_e32 v6, 0xff, v5
	s_delay_alu instid0(VALU_DEP_1)
	v_cmpx_ne_u16_e32 0, v6
	s_cbranch_execz .LBB370_2488
; %bb.2481:                             ;   in Loop: Header=BB370_1574 Depth=1
	v_bfrev_b32_e32 v11, 1
	s_mov_b32 s17, exec_lo
	v_cmpx_ne_u16_e32 0x80, v6
	s_cbranch_execz .LBB370_2487
; %bb.2482:                             ;   in Loop: Header=BB370_1574 Depth=1
	v_bfe_u32 v48, v19, 16, 7
	v_mov_b32_e32 v11, 0x7f800001
	s_mov_b32 s18, exec_lo
	s_delay_alu instid0(VALU_DEP_2)
	v_cmpx_ne_u32_e32 0x7f, v48
	s_cbranch_execz .LBB370_2486
; %bb.2483:                             ;   in Loop: Header=BB370_1574 Depth=1
	v_dual_lshrrev_b32 v6, 3, v48 :: v_dual_bitop2_b32 v22, 7, v5 bitop3:0x40
	s_mov_b32 s19, exec_lo
	s_delay_alu instid0(VALU_DEP_1)
	v_mov_b64_e32 v[52:53], v[22:23]
	v_cmpx_gt_u32_e32 8, v48
; %bb.2484:                             ;   in Loop: Header=BB370_1574 Depth=1
	v_clz_i32_u32_e32 v6, v22
	s_delay_alu instid0(VALU_DEP_1) | instskip(NEXT) | instid1(VALU_DEP_1)
	v_min_u32_e32 v6, 32, v6
	v_subrev_nc_u32_e32 v11, 28, v6
	s_delay_alu instid0(VALU_DEP_1) | instskip(NEXT) | instid1(VALU_DEP_1)
	v_lshlrev_b64_e32 v[48:49], v11, v[22:23]
	v_dual_sub_nc_u32 v6, 29, v6 :: v_dual_bitop2_b32 v52, 7, v48 bitop3:0x40
; %bb.2485:                             ;   in Loop: Header=BB370_1574 Depth=1
	s_or_b32 exec_lo, exec_lo, s19
	s_delay_alu instid0(VALU_DEP_1) | instskip(NEXT) | instid1(VALU_DEP_2)
	v_dual_lshlrev_b32 v5, 24, v5 :: v_dual_lshlrev_b32 v11, 20, v52
	v_lshl_add_u32 v6, v6, 23, 0x3c000000
	s_delay_alu instid0(VALU_DEP_2) | instskip(NEXT) | instid1(VALU_DEP_1)
	v_and_b32_e32 v5, 0x80000000, v5
	v_or3_b32 v11, v11, v5, v6
.LBB370_2486:                           ;   in Loop: Header=BB370_1574 Depth=1
	s_or_b32 exec_lo, exec_lo, s18
.LBB370_2487:                           ;   in Loop: Header=BB370_1574 Depth=1
	s_delay_alu instid0(SALU_CYCLE_1)
	s_or_b32 exec_lo, exec_lo, s17
.LBB370_2488:                           ;   in Loop: Header=BB370_1574 Depth=1
	s_delay_alu instid0(SALU_CYCLE_1) | instskip(NEXT) | instid1(SALU_CYCLE_1)
	s_or_b32 exec_lo, exec_lo, s16
	s_mov_b32 s16, exec_lo
	v_cmpx_lt_u64_e64 s[2:3], v[18:19]
	s_cbranch_execz .LBB370_2496
; %bb.2489:                             ;   in Loop: Header=BB370_1574 Depth=1
	v_lshrrev_b32_e32 v5, 24, v19
	v_bfrev_b32_e32 v4, 1
	s_mov_b32 s17, exec_lo
	s_delay_alu instid0(VALU_DEP_2)
	v_cmpx_ne_u32_e32 0x80, v5
	s_cbranch_execz .LBB370_2495
; %bb.2490:                             ;   in Loop: Header=BB370_1574 Depth=1
	v_bfe_u32 v6, v19, 24, 7
	v_mov_b32_e32 v4, 0x7f800001
	s_mov_b32 s18, exec_lo
	s_delay_alu instid0(VALU_DEP_2)
	v_cmpx_ne_u32_e32 0x7f, v6
	s_cbranch_execz .LBB370_2494
; %bb.2491:                             ;   in Loop: Header=BB370_1574 Depth=1
	v_dual_lshrrev_b32 v4, 3, v6 :: v_dual_bitop2_b32 v22, 7, v5 bitop3:0x40
	s_mov_b32 s19, exec_lo
	s_delay_alu instid0(VALU_DEP_1)
	v_mov_b64_e32 v[18:19], v[22:23]
	v_cmpx_gt_u32_e32 8, v6
; %bb.2492:                             ;   in Loop: Header=BB370_1574 Depth=1
	v_clz_i32_u32_e32 v4, v22
	s_delay_alu instid0(VALU_DEP_1) | instskip(NEXT) | instid1(VALU_DEP_1)
	v_min_u32_e32 v4, 32, v4
	v_subrev_nc_u32_e32 v6, 28, v4
	s_delay_alu instid0(VALU_DEP_1) | instskip(NEXT) | instid1(VALU_DEP_1)
	v_lshlrev_b64_e32 v[18:19], v6, v[22:23]
	v_dual_sub_nc_u32 v4, 29, v4 :: v_dual_bitop2_b32 v18, 7, v18 bitop3:0x40
; %bb.2493:                             ;   in Loop: Header=BB370_1574 Depth=1
	s_or_b32 exec_lo, exec_lo, s19
	s_delay_alu instid0(VALU_DEP_1) | instskip(NEXT) | instid1(VALU_DEP_2)
	v_dual_lshlrev_b32 v5, 24, v5 :: v_dual_lshlrev_b32 v6, 20, v18
	v_lshl_add_u32 v4, v4, 23, 0x3c000000
	s_delay_alu instid0(VALU_DEP_2) | instskip(NEXT) | instid1(VALU_DEP_1)
	v_and_b32_e32 v5, 0x80000000, v5
	v_or3_b32 v4, v6, v5, v4
.LBB370_2494:                           ;   in Loop: Header=BB370_1574 Depth=1
	s_or_b32 exec_lo, exec_lo, s18
.LBB370_2495:                           ;   in Loop: Header=BB370_1574 Depth=1
	s_delay_alu instid0(SALU_CYCLE_1)
	s_or_b32 exec_lo, exec_lo, s17
.LBB370_2496:                           ;   in Loop: Header=BB370_1574 Depth=1
	s_delay_alu instid0(SALU_CYCLE_1)
	s_or_b32 exec_lo, exec_lo, s16
	v_fma_mixlo_bf16 v3, v64, v3, 0
	v_fma_mixlo_bf16 v2, v64, v2, 0
	;; [unrolled: 1-line block ×8, first 2 shown]
	s_clause 0x1
	scratch_store_b32 off, v3, s32 offset:916
	scratch_store_b32 off, v2, s32 offset:924
	s_wait_xcnt 0x0
	s_and_saveexec_b32 s16, vcc_lo
	s_cbranch_execz .LBB370_2498
; %bb.2497:                             ;   in Loop: Header=BB370_1574 Depth=1
	scratch_load_b32 v2, off, s32 offset:924 ; 4-byte Folded Reload
	v_cmp_lt_i32_e64 s0, v113, v88
	s_delay_alu instid0(VALU_DEP_1) | instskip(SKIP_1) | instid1(VALU_DEP_1)
	v_cndmask_b32_e64 v116, 0, v116, s0
	v_cmp_lt_i32_e64 s0, v56, v88
	v_cndmask_b32_e64 v115, 0, v115, s0
	v_cmp_lt_i32_e64 s0, v47, v88
	s_delay_alu instid0(VALU_DEP_1) | instskip(SKIP_1) | instid1(VALU_DEP_1)
	v_cndmask_b32_e64 v114, 0, v114, s0
	v_cmp_lt_i32_e64 s0, v46, v88
	v_cndmask_b32_e64 v8, 0, v8, s0
	v_cmp_lt_i32_e64 s0, v45, v88
	s_wait_loadcnt 0x0
	s_delay_alu instid0(VALU_DEP_1)
	v_cndmask_b32_e64 v2, 0, v2, s0
	v_cmp_lt_i32_e64 s0, v44, v88
	s_clause 0x1
	scratch_store_b32 off, v2, s32 offset:924
	scratch_load_b32 v2, off, s32 offset:916
	s_wait_loadcnt 0x0
	v_cndmask_b32_e64 v2, 0, v2, s0
	v_cmp_lt_i32_e64 s0, v43, v88
	s_delay_alu instid0(VALU_DEP_1) | instskip(SKIP_1) | instid1(VALU_DEP_1)
	v_cndmask_b32_e64 v7, 0, v7, s0
	v_cmp_lt_i32_e64 s0, v42, v88
	v_cndmask_b32_e64 v9, 0, v9, s0
	scratch_store_b32 off, v2, s32 offset:916 ; 4-byte Folded Spill
.LBB370_2498:                           ;   in Loop: Header=BB370_1574 Depth=1
	s_wait_xcnt 0x0
	s_or_b32 exec_lo, exec_lo, s16
	flat_load_b64 v[18:19], v[0:1] offset:3584
	v_dual_mov_b32 v11, 0 :: v_dual_mov_b32 v10, 0
	s_mov_b32 s16, exec_lo
	s_wait_loadcnt_dscnt 0x0
	v_and_b32_e32 v2, 0xff, v18
	s_wait_xcnt 0x0
	s_delay_alu instid0(VALU_DEP_1)
	v_cmpx_ne_u16_e32 0, v2
	s_cbranch_execz .LBB370_2506
; %bb.2499:                             ;   in Loop: Header=BB370_1574 Depth=1
	v_bfrev_b32_e32 v10, 1
	s_mov_b32 s17, exec_lo
	v_cmpx_ne_u16_e32 0x80, v2
	s_cbranch_execz .LBB370_2505
; %bb.2500:                             ;   in Loop: Header=BB370_1574 Depth=1
	v_and_b32_e32 v3, 0x7f, v18
	v_mov_b32_e32 v10, 0x7f800001
	s_mov_b32 s18, exec_lo
	s_delay_alu instid0(VALU_DEP_2)
	v_cmpx_ne_u32_e32 0x7f, v3
	s_cbranch_execz .LBB370_2504
; %bb.2501:                             ;   in Loop: Header=BB370_1574 Depth=1
	v_mov_b64_e32 v[52:53], v[18:19]
	v_lshrrev_b32_e32 v2, 3, v3
	s_mov_b32 s19, exec_lo
	v_cmpx_gt_u32_e32 8, v3
; %bb.2502:                             ;   in Loop: Header=BB370_1574 Depth=1
	v_and_b32_e32 v2, 7, v18
	s_delay_alu instid0(VALU_DEP_1) | instskip(NEXT) | instid1(VALU_DEP_1)
	v_clz_i32_u32_e32 v2, v2
	v_min_u32_e32 v2, 32, v2
	s_delay_alu instid0(VALU_DEP_1) | instskip(SKIP_1) | instid1(VALU_DEP_2)
	v_subrev_nc_u32_e32 v3, 28, v2
	v_sub_nc_u32_e32 v2, 29, v2
	v_lshlrev_b64_e32 v[52:53], v3, v[18:19]
; %bb.2503:                             ;   in Loop: Header=BB370_1574 Depth=1
	s_or_b32 exec_lo, exec_lo, s19
	s_delay_alu instid0(VALU_DEP_1) | instskip(NEXT) | instid1(VALU_DEP_3)
	v_dual_lshlrev_b32 v3, 20, v52 :: v_dual_lshlrev_b32 v4, 24, v18
	v_lshl_add_u32 v2, v2, 23, 0x3c000000
	s_delay_alu instid0(VALU_DEP_2) | instskip(NEXT) | instid1(VALU_DEP_3)
	v_and_b32_e32 v3, 0x700000, v3
	v_and_b32_e32 v4, 0x80000000, v4
	s_delay_alu instid0(VALU_DEP_1)
	v_or3_b32 v10, v3, v4, v2
.LBB370_2504:                           ;   in Loop: Header=BB370_1574 Depth=1
	s_or_b32 exec_lo, exec_lo, s18
.LBB370_2505:                           ;   in Loop: Header=BB370_1574 Depth=1
	s_delay_alu instid0(SALU_CYCLE_1)
	s_or_b32 exec_lo, exec_lo, s17
.LBB370_2506:                           ;   in Loop: Header=BB370_1574 Depth=1
	s_delay_alu instid0(SALU_CYCLE_1) | instskip(SKIP_2) | instid1(VALU_DEP_1)
	s_or_b32 exec_lo, exec_lo, s16
	v_lshrrev_b16 v2, 8, v18
	s_mov_b32 s16, exec_lo
	v_cmpx_ne_u16_e32 0, v2
	s_cbranch_execz .LBB370_2514
; %bb.2507:                             ;   in Loop: Header=BB370_1574 Depth=1
	v_bfrev_b32_e32 v11, 1
	s_mov_b32 s17, exec_lo
	v_cmpx_ne_u16_e32 0x80, v2
	s_cbranch_execz .LBB370_2513
; %bb.2508:                             ;   in Loop: Header=BB370_1574 Depth=1
	v_and_b32_e32 v2, 0xffff, v2
	v_mov_b32_e32 v11, 0x7f800001
	s_mov_b32 s18, exec_lo
	s_delay_alu instid0(VALU_DEP_2) | instskip(NEXT) | instid1(VALU_DEP_1)
	v_and_b32_e32 v3, 0x7f, v2
	v_cmpx_ne_u32_e32 0x7f, v3
	s_cbranch_execz .LBB370_2512
; %bb.2509:                             ;   in Loop: Header=BB370_1574 Depth=1
	v_dual_lshrrev_b32 v2, 3, v3 :: v_dual_bitop2_b32 v22, 7, v2 bitop3:0x40
	s_mov_b32 s19, exec_lo
	s_delay_alu instid0(VALU_DEP_1)
	v_mov_b64_e32 v[52:53], v[22:23]
	v_cmpx_gt_u32_e32 8, v3
; %bb.2510:                             ;   in Loop: Header=BB370_1574 Depth=1
	v_clz_i32_u32_e32 v2, v22
	s_delay_alu instid0(VALU_DEP_1) | instskip(NEXT) | instid1(VALU_DEP_1)
	v_min_u32_e32 v2, 32, v2
	v_subrev_nc_u32_e32 v3, 28, v2
	s_delay_alu instid0(VALU_DEP_1) | instskip(NEXT) | instid1(VALU_DEP_1)
	v_lshlrev_b64_e32 v[4:5], v3, v[22:23]
	v_dual_sub_nc_u32 v2, 29, v2 :: v_dual_bitop2_b32 v52, 7, v4 bitop3:0x40
; %bb.2511:                             ;   in Loop: Header=BB370_1574 Depth=1
	s_or_b32 exec_lo, exec_lo, s19
	s_delay_alu instid0(VALU_DEP_1) | instskip(NEXT) | instid1(VALU_DEP_2)
	v_dual_lshlrev_b32 v3, 16, v18 :: v_dual_lshlrev_b32 v4, 20, v52
	v_lshl_add_u32 v2, v2, 23, 0x3c000000
	s_delay_alu instid0(VALU_DEP_2) | instskip(NEXT) | instid1(VALU_DEP_1)
	v_and_b32_e32 v3, 0x80000000, v3
	v_or3_b32 v11, v4, v3, v2
.LBB370_2512:                           ;   in Loop: Header=BB370_1574 Depth=1
	s_or_b32 exec_lo, exec_lo, s18
.LBB370_2513:                           ;   in Loop: Header=BB370_1574 Depth=1
	s_delay_alu instid0(SALU_CYCLE_1)
	s_or_b32 exec_lo, exec_lo, s17
.LBB370_2514:                           ;   in Loop: Header=BB370_1574 Depth=1
	s_delay_alu instid0(SALU_CYCLE_1) | instskip(SKIP_3) | instid1(VALU_DEP_2)
	s_or_b32 exec_lo, exec_lo, s16
	v_dual_mov_b32 v49, 0 :: v_dual_lshrrev_b32 v2, 16, v18
	v_mov_b32_e32 v48, 0
	s_mov_b32 s16, exec_lo
	v_and_b32_e32 v3, 0xff, v2
	s_delay_alu instid0(VALU_DEP_1)
	v_cmpx_ne_u16_e32 0, v3
	s_cbranch_execz .LBB370_2522
; %bb.2515:                             ;   in Loop: Header=BB370_1574 Depth=1
	v_bfrev_b32_e32 v48, 1
	s_mov_b32 s17, exec_lo
	v_cmpx_ne_u16_e32 0x80, v3
	s_cbranch_execz .LBB370_2521
; %bb.2516:                             ;   in Loop: Header=BB370_1574 Depth=1
	v_bfe_u32 v4, v18, 16, 7
	v_mov_b32_e32 v48, 0x7f800001
	s_mov_b32 s18, exec_lo
	s_delay_alu instid0(VALU_DEP_2)
	v_cmpx_ne_u32_e32 0x7f, v4
	s_cbranch_execz .LBB370_2520
; %bb.2517:                             ;   in Loop: Header=BB370_1574 Depth=1
	v_dual_lshrrev_b32 v3, 3, v4 :: v_dual_bitop2_b32 v22, 7, v2 bitop3:0x40
	s_mov_b32 s19, exec_lo
	s_delay_alu instid0(VALU_DEP_1)
	v_mov_b64_e32 v[52:53], v[22:23]
	v_cmpx_gt_u32_e32 8, v4
; %bb.2518:                             ;   in Loop: Header=BB370_1574 Depth=1
	v_clz_i32_u32_e32 v3, v22
	s_delay_alu instid0(VALU_DEP_1) | instskip(NEXT) | instid1(VALU_DEP_1)
	v_min_u32_e32 v3, 32, v3
	v_subrev_nc_u32_e32 v4, 28, v3
	s_delay_alu instid0(VALU_DEP_1) | instskip(NEXT) | instid1(VALU_DEP_1)
	v_lshlrev_b64_e32 v[4:5], v4, v[22:23]
	v_dual_sub_nc_u32 v3, 29, v3 :: v_dual_bitop2_b32 v52, 7, v4 bitop3:0x40
; %bb.2519:                             ;   in Loop: Header=BB370_1574 Depth=1
	s_or_b32 exec_lo, exec_lo, s19
	s_delay_alu instid0(VALU_DEP_1) | instskip(NEXT) | instid1(VALU_DEP_2)
	v_dual_lshlrev_b32 v2, 24, v2 :: v_dual_lshlrev_b32 v4, 20, v52
	v_lshl_add_u32 v3, v3, 23, 0x3c000000
	s_delay_alu instid0(VALU_DEP_2) | instskip(NEXT) | instid1(VALU_DEP_1)
	v_and_b32_e32 v2, 0x80000000, v2
	v_or3_b32 v48, v4, v2, v3
.LBB370_2520:                           ;   in Loop: Header=BB370_1574 Depth=1
	s_or_b32 exec_lo, exec_lo, s18
.LBB370_2521:                           ;   in Loop: Header=BB370_1574 Depth=1
	s_delay_alu instid0(SALU_CYCLE_1)
	s_or_b32 exec_lo, exec_lo, s17
.LBB370_2522:                           ;   in Loop: Header=BB370_1574 Depth=1
	s_delay_alu instid0(SALU_CYCLE_1) | instskip(NEXT) | instid1(SALU_CYCLE_1)
	s_or_b32 exec_lo, exec_lo, s16
	s_mov_b32 s16, exec_lo
	v_cmpx_lt_u32_e32 0xffffff, v18
	s_cbranch_execz .LBB370_2530
; %bb.2523:                             ;   in Loop: Header=BB370_1574 Depth=1
	v_lshrrev_b32_e32 v2, 24, v18
	v_bfrev_b32_e32 v49, 1
	s_mov_b32 s17, exec_lo
	s_delay_alu instid0(VALU_DEP_2)
	v_cmpx_ne_u32_e32 0x80, v2
	s_cbranch_execz .LBB370_2529
; %bb.2524:                             ;   in Loop: Header=BB370_1574 Depth=1
	v_bfe_u32 v4, v18, 24, 7
	v_mov_b32_e32 v49, 0x7f800001
	s_mov_b32 s18, exec_lo
	s_delay_alu instid0(VALU_DEP_2)
	v_cmpx_ne_u32_e32 0x7f, v4
	s_cbranch_execz .LBB370_2528
; %bb.2525:                             ;   in Loop: Header=BB370_1574 Depth=1
	v_dual_lshrrev_b32 v3, 3, v4 :: v_dual_bitop2_b32 v22, 7, v2 bitop3:0x40
	s_mov_b32 s19, exec_lo
	s_delay_alu instid0(VALU_DEP_1)
	v_mov_b64_e32 v[52:53], v[22:23]
	v_cmpx_gt_u32_e32 8, v4
; %bb.2526:                             ;   in Loop: Header=BB370_1574 Depth=1
	v_clz_i32_u32_e32 v3, v22
	s_delay_alu instid0(VALU_DEP_1) | instskip(NEXT) | instid1(VALU_DEP_1)
	v_min_u32_e32 v3, 32, v3
	v_subrev_nc_u32_e32 v4, 28, v3
	s_delay_alu instid0(VALU_DEP_1) | instskip(NEXT) | instid1(VALU_DEP_1)
	v_lshlrev_b64_e32 v[4:5], v4, v[22:23]
	v_dual_sub_nc_u32 v3, 29, v3 :: v_dual_bitop2_b32 v52, 7, v4 bitop3:0x40
; %bb.2527:                             ;   in Loop: Header=BB370_1574 Depth=1
	s_or_b32 exec_lo, exec_lo, s19
	s_delay_alu instid0(VALU_DEP_1) | instskip(NEXT) | instid1(VALU_DEP_2)
	v_dual_lshlrev_b32 v2, 24, v2 :: v_dual_lshlrev_b32 v4, 20, v52
	v_lshl_add_u32 v3, v3, 23, 0x3c000000
	s_delay_alu instid0(VALU_DEP_2) | instskip(NEXT) | instid1(VALU_DEP_1)
	v_and_b32_e32 v2, 0x80000000, v2
	v_or3_b32 v49, v4, v2, v3
.LBB370_2528:                           ;   in Loop: Header=BB370_1574 Depth=1
	s_or_b32 exec_lo, exec_lo, s18
.LBB370_2529:                           ;   in Loop: Header=BB370_1574 Depth=1
	s_delay_alu instid0(SALU_CYCLE_1)
	s_or_b32 exec_lo, exec_lo, s17
.LBB370_2530:                           ;   in Loop: Header=BB370_1574 Depth=1
	s_delay_alu instid0(SALU_CYCLE_1) | instskip(SKIP_4) | instid1(VALU_DEP_3)
	s_or_b32 exec_lo, exec_lo, s16
	v_and_b32_e32 v4, 0xff, v19
	v_dual_mov_b32 v22, v19 :: v_dual_mov_b32 v3, 0
	v_mov_b32_e32 v2, 0
	s_mov_b32 s16, exec_lo
	v_cmpx_ne_u16_e32 0, v4
	s_cbranch_execz .LBB370_2538
; %bb.2531:                             ;   in Loop: Header=BB370_1574 Depth=1
	v_bfrev_b32_e32 v2, 1
	s_mov_b32 s17, exec_lo
	v_cmpx_ne_u16_e32 0x80, v4
	s_cbranch_execz .LBB370_2537
; %bb.2532:                             ;   in Loop: Header=BB370_1574 Depth=1
	v_and_b32_e32 v4, 0x7f, v19
	v_mov_b32_e32 v2, 0x7f800001
	s_mov_b32 s18, exec_lo
	s_delay_alu instid0(VALU_DEP_2)
	v_cmpx_ne_u32_e32 0x7f, v4
	s_cbranch_execz .LBB370_2536
; %bb.2533:                             ;   in Loop: Header=BB370_1574 Depth=1
	v_mov_b64_e32 v[52:53], v[22:23]
	v_lshrrev_b32_e32 v2, 3, v4
	s_mov_b32 s19, exec_lo
	v_cmpx_gt_u32_e32 8, v4
; %bb.2534:                             ;   in Loop: Header=BB370_1574 Depth=1
	v_and_b32_e32 v2, 7, v19
	s_delay_alu instid0(VALU_DEP_1) | instskip(NEXT) | instid1(VALU_DEP_1)
	v_clz_i32_u32_e32 v2, v2
	v_min_u32_e32 v2, 32, v2
	s_delay_alu instid0(VALU_DEP_1) | instskip(SKIP_1) | instid1(VALU_DEP_2)
	v_subrev_nc_u32_e32 v4, 28, v2
	v_sub_nc_u32_e32 v2, 29, v2
	v_lshlrev_b64_e32 v[52:53], v4, v[22:23]
; %bb.2535:                             ;   in Loop: Header=BB370_1574 Depth=1
	s_or_b32 exec_lo, exec_lo, s19
	s_delay_alu instid0(VALU_DEP_1) | instskip(NEXT) | instid1(VALU_DEP_3)
	v_dual_lshlrev_b32 v4, 20, v52 :: v_dual_lshlrev_b32 v5, 24, v22
	v_lshl_add_u32 v2, v2, 23, 0x3c000000
	s_delay_alu instid0(VALU_DEP_2) | instskip(NEXT) | instid1(VALU_DEP_3)
	v_and_b32_e32 v4, 0x700000, v4
	v_and_b32_e32 v5, 0x80000000, v5
	s_delay_alu instid0(VALU_DEP_1)
	v_or3_b32 v2, v4, v5, v2
.LBB370_2536:                           ;   in Loop: Header=BB370_1574 Depth=1
	s_or_b32 exec_lo, exec_lo, s18
.LBB370_2537:                           ;   in Loop: Header=BB370_1574 Depth=1
	s_delay_alu instid0(SALU_CYCLE_1)
	s_or_b32 exec_lo, exec_lo, s17
.LBB370_2538:                           ;   in Loop: Header=BB370_1574 Depth=1
	s_delay_alu instid0(SALU_CYCLE_1) | instskip(SKIP_2) | instid1(VALU_DEP_1)
	s_or_b32 exec_lo, exec_lo, s16
	v_lshrrev_b16 v4, 8, v22
	s_mov_b32 s16, exec_lo
	v_cmpx_ne_u16_e32 0, v4
	s_cbranch_execz .LBB370_2546
; %bb.2539:                             ;   in Loop: Header=BB370_1574 Depth=1
	v_bfrev_b32_e32 v3, 1
	s_mov_b32 s17, exec_lo
	v_cmpx_ne_u16_e32 0x80, v4
	s_cbranch_execz .LBB370_2545
; %bb.2540:                             ;   in Loop: Header=BB370_1574 Depth=1
	v_and_b32_e32 v5, 0xffff, v4
	v_mov_b32_e32 v3, 0x7f800001
	s_mov_b32 s18, exec_lo
	s_delay_alu instid0(VALU_DEP_2) | instskip(NEXT) | instid1(VALU_DEP_1)
	v_and_b32_e32 v4, 0x7f, v5
	v_cmpx_ne_u32_e32 0x7f, v4
	s_cbranch_execz .LBB370_2544
; %bb.2541:                             ;   in Loop: Header=BB370_1574 Depth=1
	v_dual_mov_b32 v53, v23 :: v_dual_bitop2_b32 v52, 7, v5 bitop3:0x40
	v_lshrrev_b32_e32 v3, 3, v4
	s_mov_b32 s19, exec_lo
	v_cmpx_gt_u32_e32 8, v4
; %bb.2542:                             ;   in Loop: Header=BB370_1574 Depth=1
	s_delay_alu instid0(VALU_DEP_3) | instskip(NEXT) | instid1(VALU_DEP_1)
	v_clz_i32_u32_e32 v3, v52
	v_min_u32_e32 v3, 32, v3
	s_delay_alu instid0(VALU_DEP_1) | instskip(NEXT) | instid1(VALU_DEP_1)
	v_subrev_nc_u32_e32 v4, 28, v3
	v_lshlrev_b64_e32 v[4:5], v4, v[52:53]
	s_delay_alu instid0(VALU_DEP_1)
	v_dual_sub_nc_u32 v3, 29, v3 :: v_dual_bitop2_b32 v52, 7, v4 bitop3:0x40
; %bb.2543:                             ;   in Loop: Header=BB370_1574 Depth=1
	s_or_b32 exec_lo, exec_lo, s19
	s_delay_alu instid0(VALU_DEP_1) | instskip(NEXT) | instid1(VALU_DEP_2)
	v_dual_lshlrev_b32 v4, 16, v22 :: v_dual_lshlrev_b32 v5, 20, v52
	v_lshl_add_u32 v3, v3, 23, 0x3c000000
	s_delay_alu instid0(VALU_DEP_2) | instskip(NEXT) | instid1(VALU_DEP_1)
	v_and_b32_e32 v4, 0x80000000, v4
	v_or3_b32 v3, v5, v4, v3
.LBB370_2544:                           ;   in Loop: Header=BB370_1574 Depth=1
	s_or_b32 exec_lo, exec_lo, s18
.LBB370_2545:                           ;   in Loop: Header=BB370_1574 Depth=1
	s_delay_alu instid0(SALU_CYCLE_1)
	s_or_b32 exec_lo, exec_lo, s17
.LBB370_2546:                           ;   in Loop: Header=BB370_1574 Depth=1
	s_delay_alu instid0(SALU_CYCLE_1) | instskip(SKIP_3) | instid1(VALU_DEP_2)
	s_or_b32 exec_lo, exec_lo, s16
	v_dual_mov_b32 v4, 0 :: v_dual_lshrrev_b32 v5, 16, v19
	v_mov_b32_e32 v51, 0
	s_mov_b32 s16, exec_lo
	v_and_b32_e32 v6, 0xff, v5
	s_delay_alu instid0(VALU_DEP_1)
	v_cmpx_ne_u16_e32 0, v6
	s_cbranch_execz .LBB370_2554
; %bb.2547:                             ;   in Loop: Header=BB370_1574 Depth=1
	v_bfrev_b32_e32 v51, 1
	s_mov_b32 s17, exec_lo
	v_cmpx_ne_u16_e32 0x80, v6
	s_cbranch_execz .LBB370_2553
; %bb.2548:                             ;   in Loop: Header=BB370_1574 Depth=1
	v_bfe_u32 v6, v19, 16, 7
	v_mov_b32_e32 v51, 0x7f800001
	s_mov_b32 s18, exec_lo
	s_delay_alu instid0(VALU_DEP_2)
	v_cmpx_ne_u32_e32 0x7f, v6
	s_cbranch_execz .LBB370_2552
; %bb.2549:                             ;   in Loop: Header=BB370_1574 Depth=1
	v_dual_lshrrev_b32 v51, 3, v6 :: v_dual_bitop2_b32 v22, 7, v5 bitop3:0x40
	s_mov_b32 s19, exec_lo
	s_delay_alu instid0(VALU_DEP_1)
	v_mov_b64_e32 v[52:53], v[22:23]
	v_cmpx_gt_u32_e32 8, v6
; %bb.2550:                             ;   in Loop: Header=BB370_1574 Depth=1
	v_clz_i32_u32_e32 v6, v22
	s_delay_alu instid0(VALU_DEP_1) | instskip(NEXT) | instid1(VALU_DEP_1)
	v_min_u32_e32 v6, 32, v6
	v_subrev_nc_u32_e32 v51, 28, v6
	s_delay_alu instid0(VALU_DEP_1) | instskip(NEXT) | instid1(VALU_DEP_1)
	v_lshlrev_b64_e32 v[52:53], v51, v[22:23]
	v_dual_sub_nc_u32 v51, 29, v6 :: v_dual_bitop2_b32 v52, 7, v52 bitop3:0x40
; %bb.2551:                             ;   in Loop: Header=BB370_1574 Depth=1
	s_or_b32 exec_lo, exec_lo, s19
	s_delay_alu instid0(VALU_DEP_1) | instskip(NEXT) | instid1(VALU_DEP_2)
	v_dual_lshlrev_b32 v5, 24, v5 :: v_dual_lshlrev_b32 v6, 20, v52
	v_lshl_add_u32 v22, v51, 23, 0x3c000000
	s_delay_alu instid0(VALU_DEP_2) | instskip(NEXT) | instid1(VALU_DEP_1)
	v_and_b32_e32 v5, 0x80000000, v5
	v_or3_b32 v51, v6, v5, v22
.LBB370_2552:                           ;   in Loop: Header=BB370_1574 Depth=1
	s_or_b32 exec_lo, exec_lo, s18
.LBB370_2553:                           ;   in Loop: Header=BB370_1574 Depth=1
	s_delay_alu instid0(SALU_CYCLE_1)
	s_or_b32 exec_lo, exec_lo, s17
.LBB370_2554:                           ;   in Loop: Header=BB370_1574 Depth=1
	s_delay_alu instid0(SALU_CYCLE_1) | instskip(NEXT) | instid1(SALU_CYCLE_1)
	s_or_b32 exec_lo, exec_lo, s16
	s_mov_b32 s16, exec_lo
	v_cmpx_lt_u64_e64 s[2:3], v[18:19]
	s_cbranch_execz .LBB370_2562
; %bb.2555:                             ;   in Loop: Header=BB370_1574 Depth=1
	v_lshrrev_b32_e32 v5, 24, v19
	v_bfrev_b32_e32 v4, 1
	s_mov_b32 s17, exec_lo
	s_delay_alu instid0(VALU_DEP_2)
	v_cmpx_ne_u32_e32 0x80, v5
	s_cbranch_execz .LBB370_2561
; %bb.2556:                             ;   in Loop: Header=BB370_1574 Depth=1
	v_bfe_u32 v6, v19, 24, 7
	v_mov_b32_e32 v4, 0x7f800001
	s_mov_b32 s18, exec_lo
	s_delay_alu instid0(VALU_DEP_2)
	v_cmpx_ne_u32_e32 0x7f, v6
	s_cbranch_execz .LBB370_2560
; %bb.2557:                             ;   in Loop: Header=BB370_1574 Depth=1
	v_dual_lshrrev_b32 v4, 3, v6 :: v_dual_bitop2_b32 v22, 7, v5 bitop3:0x40
	s_mov_b32 s19, exec_lo
	s_delay_alu instid0(VALU_DEP_1)
	v_mov_b64_e32 v[18:19], v[22:23]
	v_cmpx_gt_u32_e32 8, v6
; %bb.2558:                             ;   in Loop: Header=BB370_1574 Depth=1
	v_clz_i32_u32_e32 v4, v22
	s_delay_alu instid0(VALU_DEP_1) | instskip(NEXT) | instid1(VALU_DEP_1)
	v_min_u32_e32 v4, 32, v4
	v_subrev_nc_u32_e32 v6, 28, v4
	s_delay_alu instid0(VALU_DEP_1) | instskip(NEXT) | instid1(VALU_DEP_1)
	v_lshlrev_b64_e32 v[18:19], v6, v[22:23]
	v_dual_sub_nc_u32 v4, 29, v4 :: v_dual_bitop2_b32 v18, 7, v18 bitop3:0x40
; %bb.2559:                             ;   in Loop: Header=BB370_1574 Depth=1
	s_or_b32 exec_lo, exec_lo, s19
	s_delay_alu instid0(VALU_DEP_1) | instskip(NEXT) | instid1(VALU_DEP_2)
	v_dual_lshlrev_b32 v5, 24, v5 :: v_dual_lshlrev_b32 v6, 20, v18
	v_lshl_add_u32 v4, v4, 23, 0x3c000000
	s_delay_alu instid0(VALU_DEP_2) | instskip(NEXT) | instid1(VALU_DEP_1)
	v_and_b32_e32 v5, 0x80000000, v5
	v_or3_b32 v4, v6, v5, v4
.LBB370_2560:                           ;   in Loop: Header=BB370_1574 Depth=1
	s_or_b32 exec_lo, exec_lo, s18
.LBB370_2561:                           ;   in Loop: Header=BB370_1574 Depth=1
	s_delay_alu instid0(SALU_CYCLE_1)
	s_or_b32 exec_lo, exec_lo, s17
.LBB370_2562:                           ;   in Loop: Header=BB370_1574 Depth=1
	s_delay_alu instid0(SALU_CYCLE_1)
	s_or_b32 exec_lo, exec_lo, s16
	v_fma_mixlo_bf16 v117, v64, v3, 0
	v_fma_mixlo_bf16 v118, v64, v2, 0
	;; [unrolled: 1-line block ×8, first 2 shown]
	s_and_saveexec_b32 s16, vcc_lo
	s_cbranch_execz .LBB370_2564
; %bb.2563:                             ;   in Loop: Header=BB370_1574 Depth=1
	v_cmp_lt_i32_e64 s0, v113, v88
	s_delay_alu instid0(VALU_DEP_1) | instskip(SKIP_1) | instid1(VALU_DEP_1)
	v_cndmask_b32_e64 v62, 0, v62, s0
	v_cmp_lt_i32_e64 s0, v56, v88
	v_cndmask_b32_e64 v60, 0, v60, s0
	v_cmp_lt_i32_e64 s0, v47, v88
	s_delay_alu instid0(VALU_DEP_1) | instskip(SKIP_1) | instid1(VALU_DEP_1)
	v_cndmask_b32_e64 v105, 0, v105, s0
	v_cmp_lt_i32_e64 s0, v46, v88
	v_cndmask_b32_e64 v40, 0, v40, s0
	;; [unrolled: 5-line block ×4, first 2 shown]
.LBB370_2564:                           ;   in Loop: Header=BB370_1574 Depth=1
	s_or_b32 exec_lo, exec_lo, s16
	flat_load_b64 v[18:19], v[0:1] offset:3840
	v_dual_mov_b32 v11, 0 :: v_dual_mov_b32 v10, 0
	s_mov_b32 s16, exec_lo
	s_wait_loadcnt_dscnt 0x0
	v_and_b32_e32 v2, 0xff, v18
	s_wait_xcnt 0x0
	s_delay_alu instid0(VALU_DEP_1)
	v_cmpx_ne_u16_e32 0, v2
	s_cbranch_execz .LBB370_2572
; %bb.2565:                             ;   in Loop: Header=BB370_1574 Depth=1
	v_bfrev_b32_e32 v10, 1
	s_mov_b32 s17, exec_lo
	v_cmpx_ne_u16_e32 0x80, v2
	s_cbranch_execz .LBB370_2571
; %bb.2566:                             ;   in Loop: Header=BB370_1574 Depth=1
	v_and_b32_e32 v3, 0x7f, v18
	v_mov_b32_e32 v10, 0x7f800001
	s_mov_b32 s18, exec_lo
	s_delay_alu instid0(VALU_DEP_2)
	v_cmpx_ne_u32_e32 0x7f, v3
	s_cbranch_execz .LBB370_2570
; %bb.2567:                             ;   in Loop: Header=BB370_1574 Depth=1
	v_mov_b64_e32 v[52:53], v[18:19]
	v_lshrrev_b32_e32 v2, 3, v3
	s_mov_b32 s19, exec_lo
	v_cmpx_gt_u32_e32 8, v3
; %bb.2568:                             ;   in Loop: Header=BB370_1574 Depth=1
	v_and_b32_e32 v2, 7, v18
	s_delay_alu instid0(VALU_DEP_1) | instskip(NEXT) | instid1(VALU_DEP_1)
	v_clz_i32_u32_e32 v2, v2
	v_min_u32_e32 v2, 32, v2
	s_delay_alu instid0(VALU_DEP_1) | instskip(SKIP_1) | instid1(VALU_DEP_2)
	v_subrev_nc_u32_e32 v3, 28, v2
	v_sub_nc_u32_e32 v2, 29, v2
	v_lshlrev_b64_e32 v[52:53], v3, v[18:19]
; %bb.2569:                             ;   in Loop: Header=BB370_1574 Depth=1
	s_or_b32 exec_lo, exec_lo, s19
	s_delay_alu instid0(VALU_DEP_1) | instskip(NEXT) | instid1(VALU_DEP_3)
	v_dual_lshlrev_b32 v3, 20, v52 :: v_dual_lshlrev_b32 v4, 24, v18
	v_lshl_add_u32 v2, v2, 23, 0x3c000000
	s_delay_alu instid0(VALU_DEP_2) | instskip(NEXT) | instid1(VALU_DEP_3)
	v_and_b32_e32 v3, 0x700000, v3
	v_and_b32_e32 v4, 0x80000000, v4
	s_delay_alu instid0(VALU_DEP_1)
	v_or3_b32 v10, v3, v4, v2
.LBB370_2570:                           ;   in Loop: Header=BB370_1574 Depth=1
	s_or_b32 exec_lo, exec_lo, s18
.LBB370_2571:                           ;   in Loop: Header=BB370_1574 Depth=1
	s_delay_alu instid0(SALU_CYCLE_1)
	s_or_b32 exec_lo, exec_lo, s17
.LBB370_2572:                           ;   in Loop: Header=BB370_1574 Depth=1
	s_delay_alu instid0(SALU_CYCLE_1) | instskip(SKIP_2) | instid1(VALU_DEP_1)
	s_or_b32 exec_lo, exec_lo, s16
	v_lshrrev_b16 v2, 8, v18
	s_mov_b32 s16, exec_lo
	v_cmpx_ne_u16_e32 0, v2
	s_cbranch_execz .LBB370_2580
; %bb.2573:                             ;   in Loop: Header=BB370_1574 Depth=1
	v_bfrev_b32_e32 v11, 1
	s_mov_b32 s17, exec_lo
	v_cmpx_ne_u16_e32 0x80, v2
	s_cbranch_execz .LBB370_2579
; %bb.2574:                             ;   in Loop: Header=BB370_1574 Depth=1
	v_and_b32_e32 v2, 0xffff, v2
	v_mov_b32_e32 v11, 0x7f800001
	s_mov_b32 s18, exec_lo
	s_delay_alu instid0(VALU_DEP_2) | instskip(NEXT) | instid1(VALU_DEP_1)
	v_and_b32_e32 v3, 0x7f, v2
	v_cmpx_ne_u32_e32 0x7f, v3
	s_cbranch_execz .LBB370_2578
; %bb.2575:                             ;   in Loop: Header=BB370_1574 Depth=1
	v_dual_lshrrev_b32 v2, 3, v3 :: v_dual_bitop2_b32 v22, 7, v2 bitop3:0x40
	s_mov_b32 s19, exec_lo
	s_delay_alu instid0(VALU_DEP_1)
	v_mov_b64_e32 v[52:53], v[22:23]
	v_cmpx_gt_u32_e32 8, v3
; %bb.2576:                             ;   in Loop: Header=BB370_1574 Depth=1
	v_clz_i32_u32_e32 v2, v22
	s_delay_alu instid0(VALU_DEP_1) | instskip(NEXT) | instid1(VALU_DEP_1)
	v_min_u32_e32 v2, 32, v2
	v_subrev_nc_u32_e32 v3, 28, v2
	s_delay_alu instid0(VALU_DEP_1) | instskip(NEXT) | instid1(VALU_DEP_1)
	v_lshlrev_b64_e32 v[4:5], v3, v[22:23]
	v_dual_sub_nc_u32 v2, 29, v2 :: v_dual_bitop2_b32 v52, 7, v4 bitop3:0x40
; %bb.2577:                             ;   in Loop: Header=BB370_1574 Depth=1
	s_or_b32 exec_lo, exec_lo, s19
	s_delay_alu instid0(VALU_DEP_1) | instskip(NEXT) | instid1(VALU_DEP_2)
	v_dual_lshlrev_b32 v3, 16, v18 :: v_dual_lshlrev_b32 v4, 20, v52
	v_lshl_add_u32 v2, v2, 23, 0x3c000000
	s_delay_alu instid0(VALU_DEP_2) | instskip(NEXT) | instid1(VALU_DEP_1)
	v_and_b32_e32 v3, 0x80000000, v3
	v_or3_b32 v11, v4, v3, v2
.LBB370_2578:                           ;   in Loop: Header=BB370_1574 Depth=1
	s_or_b32 exec_lo, exec_lo, s18
.LBB370_2579:                           ;   in Loop: Header=BB370_1574 Depth=1
	s_delay_alu instid0(SALU_CYCLE_1)
	s_or_b32 exec_lo, exec_lo, s17
.LBB370_2580:                           ;   in Loop: Header=BB370_1574 Depth=1
	s_delay_alu instid0(SALU_CYCLE_1) | instskip(SKIP_3) | instid1(VALU_DEP_2)
	s_or_b32 exec_lo, exec_lo, s16
	v_dual_mov_b32 v49, 0 :: v_dual_lshrrev_b32 v2, 16, v18
	v_mov_b32_e32 v48, 0
	s_mov_b32 s16, exec_lo
	v_and_b32_e32 v3, 0xff, v2
	s_delay_alu instid0(VALU_DEP_1)
	v_cmpx_ne_u16_e32 0, v3
	s_cbranch_execz .LBB370_2588
; %bb.2581:                             ;   in Loop: Header=BB370_1574 Depth=1
	v_bfrev_b32_e32 v48, 1
	s_mov_b32 s17, exec_lo
	v_cmpx_ne_u16_e32 0x80, v3
	s_cbranch_execz .LBB370_2587
; %bb.2582:                             ;   in Loop: Header=BB370_1574 Depth=1
	v_bfe_u32 v4, v18, 16, 7
	v_mov_b32_e32 v48, 0x7f800001
	s_mov_b32 s18, exec_lo
	s_delay_alu instid0(VALU_DEP_2)
	v_cmpx_ne_u32_e32 0x7f, v4
	s_cbranch_execz .LBB370_2586
; %bb.2583:                             ;   in Loop: Header=BB370_1574 Depth=1
	v_dual_lshrrev_b32 v3, 3, v4 :: v_dual_bitop2_b32 v22, 7, v2 bitop3:0x40
	s_mov_b32 s19, exec_lo
	s_delay_alu instid0(VALU_DEP_1)
	v_mov_b64_e32 v[52:53], v[22:23]
	v_cmpx_gt_u32_e32 8, v4
; %bb.2584:                             ;   in Loop: Header=BB370_1574 Depth=1
	v_clz_i32_u32_e32 v3, v22
	s_delay_alu instid0(VALU_DEP_1) | instskip(NEXT) | instid1(VALU_DEP_1)
	v_min_u32_e32 v3, 32, v3
	v_subrev_nc_u32_e32 v4, 28, v3
	s_delay_alu instid0(VALU_DEP_1) | instskip(NEXT) | instid1(VALU_DEP_1)
	v_lshlrev_b64_e32 v[4:5], v4, v[22:23]
	v_dual_sub_nc_u32 v3, 29, v3 :: v_dual_bitop2_b32 v52, 7, v4 bitop3:0x40
; %bb.2585:                             ;   in Loop: Header=BB370_1574 Depth=1
	s_or_b32 exec_lo, exec_lo, s19
	s_delay_alu instid0(VALU_DEP_1) | instskip(NEXT) | instid1(VALU_DEP_2)
	v_dual_lshlrev_b32 v2, 24, v2 :: v_dual_lshlrev_b32 v4, 20, v52
	v_lshl_add_u32 v3, v3, 23, 0x3c000000
	s_delay_alu instid0(VALU_DEP_2) | instskip(NEXT) | instid1(VALU_DEP_1)
	v_and_b32_e32 v2, 0x80000000, v2
	v_or3_b32 v48, v4, v2, v3
.LBB370_2586:                           ;   in Loop: Header=BB370_1574 Depth=1
	s_or_b32 exec_lo, exec_lo, s18
.LBB370_2587:                           ;   in Loop: Header=BB370_1574 Depth=1
	s_delay_alu instid0(SALU_CYCLE_1)
	s_or_b32 exec_lo, exec_lo, s17
.LBB370_2588:                           ;   in Loop: Header=BB370_1574 Depth=1
	s_delay_alu instid0(SALU_CYCLE_1) | instskip(NEXT) | instid1(SALU_CYCLE_1)
	s_or_b32 exec_lo, exec_lo, s16
	s_mov_b32 s16, exec_lo
	v_cmpx_lt_u32_e32 0xffffff, v18
	s_cbranch_execz .LBB370_2596
; %bb.2589:                             ;   in Loop: Header=BB370_1574 Depth=1
	v_lshrrev_b32_e32 v2, 24, v18
	v_bfrev_b32_e32 v49, 1
	s_mov_b32 s17, exec_lo
	s_delay_alu instid0(VALU_DEP_2)
	v_cmpx_ne_u32_e32 0x80, v2
	s_cbranch_execz .LBB370_2595
; %bb.2590:                             ;   in Loop: Header=BB370_1574 Depth=1
	v_bfe_u32 v4, v18, 24, 7
	v_mov_b32_e32 v49, 0x7f800001
	s_mov_b32 s18, exec_lo
	s_delay_alu instid0(VALU_DEP_2)
	v_cmpx_ne_u32_e32 0x7f, v4
	s_cbranch_execz .LBB370_2594
; %bb.2591:                             ;   in Loop: Header=BB370_1574 Depth=1
	v_dual_lshrrev_b32 v3, 3, v4 :: v_dual_bitop2_b32 v22, 7, v2 bitop3:0x40
	s_mov_b32 s19, exec_lo
	s_delay_alu instid0(VALU_DEP_1)
	v_mov_b64_e32 v[52:53], v[22:23]
	v_cmpx_gt_u32_e32 8, v4
; %bb.2592:                             ;   in Loop: Header=BB370_1574 Depth=1
	v_clz_i32_u32_e32 v3, v22
	s_delay_alu instid0(VALU_DEP_1) | instskip(NEXT) | instid1(VALU_DEP_1)
	v_min_u32_e32 v3, 32, v3
	v_subrev_nc_u32_e32 v4, 28, v3
	s_delay_alu instid0(VALU_DEP_1) | instskip(NEXT) | instid1(VALU_DEP_1)
	v_lshlrev_b64_e32 v[4:5], v4, v[22:23]
	v_dual_sub_nc_u32 v3, 29, v3 :: v_dual_bitop2_b32 v52, 7, v4 bitop3:0x40
; %bb.2593:                             ;   in Loop: Header=BB370_1574 Depth=1
	s_or_b32 exec_lo, exec_lo, s19
	s_delay_alu instid0(VALU_DEP_1) | instskip(NEXT) | instid1(VALU_DEP_2)
	v_dual_lshlrev_b32 v2, 24, v2 :: v_dual_lshlrev_b32 v4, 20, v52
	v_lshl_add_u32 v3, v3, 23, 0x3c000000
	s_delay_alu instid0(VALU_DEP_2) | instskip(NEXT) | instid1(VALU_DEP_1)
	v_and_b32_e32 v2, 0x80000000, v2
	v_or3_b32 v49, v4, v2, v3
.LBB370_2594:                           ;   in Loop: Header=BB370_1574 Depth=1
	s_or_b32 exec_lo, exec_lo, s18
.LBB370_2595:                           ;   in Loop: Header=BB370_1574 Depth=1
	s_delay_alu instid0(SALU_CYCLE_1)
	s_or_b32 exec_lo, exec_lo, s17
.LBB370_2596:                           ;   in Loop: Header=BB370_1574 Depth=1
	s_delay_alu instid0(SALU_CYCLE_1) | instskip(SKIP_4) | instid1(VALU_DEP_3)
	s_or_b32 exec_lo, exec_lo, s16
	v_and_b32_e32 v3, 0xff, v19
	v_dual_mov_b32 v22, v19 :: v_dual_mov_b32 v2, 0
	v_mov_b32_e32 v51, 0
	s_mov_b32 s16, exec_lo
	v_cmpx_ne_u16_e32 0, v3
	s_cbranch_execz .LBB370_2604
; %bb.2597:                             ;   in Loop: Header=BB370_1574 Depth=1
	v_bfrev_b32_e32 v51, 1
	s_mov_b32 s17, exec_lo
	v_cmpx_ne_u16_e32 0x80, v3
	s_cbranch_execz .LBB370_2603
; %bb.2598:                             ;   in Loop: Header=BB370_1574 Depth=1
	v_and_b32_e32 v4, 0x7f, v19
	v_mov_b32_e32 v51, 0x7f800001
	s_mov_b32 s18, exec_lo
	s_delay_alu instid0(VALU_DEP_2)
	v_cmpx_ne_u32_e32 0x7f, v4
	s_cbranch_execz .LBB370_2602
; %bb.2599:                             ;   in Loop: Header=BB370_1574 Depth=1
	v_mov_b64_e32 v[52:53], v[22:23]
	v_lshrrev_b32_e32 v3, 3, v4
	s_mov_b32 s19, exec_lo
	v_cmpx_gt_u32_e32 8, v4
; %bb.2600:                             ;   in Loop: Header=BB370_1574 Depth=1
	v_and_b32_e32 v3, 7, v19
	s_delay_alu instid0(VALU_DEP_1) | instskip(NEXT) | instid1(VALU_DEP_1)
	v_clz_i32_u32_e32 v3, v3
	v_min_u32_e32 v3, 32, v3
	s_delay_alu instid0(VALU_DEP_1) | instskip(SKIP_1) | instid1(VALU_DEP_2)
	v_subrev_nc_u32_e32 v4, 28, v3
	v_sub_nc_u32_e32 v3, 29, v3
	v_lshlrev_b64_e32 v[52:53], v4, v[22:23]
; %bb.2601:                             ;   in Loop: Header=BB370_1574 Depth=1
	s_or_b32 exec_lo, exec_lo, s19
	s_delay_alu instid0(VALU_DEP_1) | instskip(NEXT) | instid1(VALU_DEP_3)
	v_dual_lshlrev_b32 v4, 20, v52 :: v_dual_lshlrev_b32 v5, 24, v22
	v_lshl_add_u32 v3, v3, 23, 0x3c000000
	s_delay_alu instid0(VALU_DEP_2) | instskip(NEXT) | instid1(VALU_DEP_3)
	v_and_b32_e32 v4, 0x700000, v4
	v_and_b32_e32 v5, 0x80000000, v5
	s_delay_alu instid0(VALU_DEP_1)
	v_or3_b32 v51, v4, v5, v3
.LBB370_2602:                           ;   in Loop: Header=BB370_1574 Depth=1
	s_or_b32 exec_lo, exec_lo, s18
.LBB370_2603:                           ;   in Loop: Header=BB370_1574 Depth=1
	s_delay_alu instid0(SALU_CYCLE_1)
	s_or_b32 exec_lo, exec_lo, s17
.LBB370_2604:                           ;   in Loop: Header=BB370_1574 Depth=1
	s_delay_alu instid0(SALU_CYCLE_1) | instskip(SKIP_2) | instid1(VALU_DEP_1)
	s_or_b32 exec_lo, exec_lo, s16
	v_lshrrev_b16 v3, 8, v22
	s_mov_b32 s16, exec_lo
	v_cmpx_ne_u16_e32 0, v3
	s_cbranch_execz .LBB370_2612
; %bb.2605:                             ;   in Loop: Header=BB370_1574 Depth=1
	v_bfrev_b32_e32 v2, 1
	s_mov_b32 s17, exec_lo
	v_cmpx_ne_u16_e32 0x80, v3
	s_cbranch_execz .LBB370_2611
; %bb.2606:                             ;   in Loop: Header=BB370_1574 Depth=1
	v_and_b32_e32 v4, 0xffff, v3
	v_mov_b32_e32 v2, 0x7f800001
	s_mov_b32 s18, exec_lo
	s_delay_alu instid0(VALU_DEP_2) | instskip(NEXT) | instid1(VALU_DEP_1)
	v_and_b32_e32 v3, 0x7f, v4
	v_cmpx_ne_u32_e32 0x7f, v3
	s_cbranch_execz .LBB370_2610
; %bb.2607:                             ;   in Loop: Header=BB370_1574 Depth=1
	v_dual_mov_b32 v53, v23 :: v_dual_bitop2_b32 v52, 7, v4 bitop3:0x40
	v_lshrrev_b32_e32 v2, 3, v3
	s_mov_b32 s19, exec_lo
	v_cmpx_gt_u32_e32 8, v3
; %bb.2608:                             ;   in Loop: Header=BB370_1574 Depth=1
	s_delay_alu instid0(VALU_DEP_3) | instskip(NEXT) | instid1(VALU_DEP_1)
	v_clz_i32_u32_e32 v2, v52
	v_min_u32_e32 v2, 32, v2
	s_delay_alu instid0(VALU_DEP_1) | instskip(NEXT) | instid1(VALU_DEP_1)
	v_subrev_nc_u32_e32 v3, 28, v2
	v_lshlrev_b64_e32 v[4:5], v3, v[52:53]
	s_delay_alu instid0(VALU_DEP_1)
	v_dual_sub_nc_u32 v2, 29, v2 :: v_dual_bitop2_b32 v52, 7, v4 bitop3:0x40
; %bb.2609:                             ;   in Loop: Header=BB370_1574 Depth=1
	s_or_b32 exec_lo, exec_lo, s19
	s_delay_alu instid0(VALU_DEP_1) | instskip(NEXT) | instid1(VALU_DEP_2)
	v_dual_lshlrev_b32 v3, 16, v22 :: v_dual_lshlrev_b32 v4, 20, v52
	v_lshl_add_u32 v2, v2, 23, 0x3c000000
	s_delay_alu instid0(VALU_DEP_2) | instskip(NEXT) | instid1(VALU_DEP_1)
	v_and_b32_e32 v3, 0x80000000, v3
	v_or3_b32 v2, v4, v3, v2
.LBB370_2610:                           ;   in Loop: Header=BB370_1574 Depth=1
	s_or_b32 exec_lo, exec_lo, s18
.LBB370_2611:                           ;   in Loop: Header=BB370_1574 Depth=1
	s_delay_alu instid0(SALU_CYCLE_1)
	s_or_b32 exec_lo, exec_lo, s17
.LBB370_2612:                           ;   in Loop: Header=BB370_1574 Depth=1
	s_delay_alu instid0(SALU_CYCLE_1) | instskip(SKIP_3) | instid1(VALU_DEP_2)
	s_or_b32 exec_lo, exec_lo, s16
	v_dual_mov_b32 v3, 0 :: v_dual_lshrrev_b32 v54, 16, v19
	v_mov_b32_e32 v4, 0
	s_mov_b32 s16, exec_lo
	v_and_b32_e32 v5, 0xff, v54
	s_delay_alu instid0(VALU_DEP_1)
	v_cmpx_ne_u16_e32 0, v5
	s_cbranch_execz .LBB370_2620
; %bb.2613:                             ;   in Loop: Header=BB370_1574 Depth=1
	v_bfrev_b32_e32 v4, 1
	s_mov_b32 s17, exec_lo
	v_cmpx_ne_u16_e32 0x80, v5
	s_cbranch_execz .LBB370_2619
; %bb.2614:                             ;   in Loop: Header=BB370_1574 Depth=1
	v_bfe_u32 v5, v19, 16, 7
	v_mov_b32_e32 v4, 0x7f800001
	s_mov_b32 s18, exec_lo
	s_delay_alu instid0(VALU_DEP_2)
	v_cmpx_ne_u32_e32 0x7f, v5
	s_cbranch_execz .LBB370_2618
; %bb.2615:                             ;   in Loop: Header=BB370_1574 Depth=1
	v_dual_lshrrev_b32 v4, 3, v5 :: v_dual_bitop2_b32 v22, 7, v54 bitop3:0x40
	s_mov_b32 s19, exec_lo
	s_delay_alu instid0(VALU_DEP_1)
	v_mov_b64_e32 v[52:53], v[22:23]
	v_cmpx_gt_u32_e32 8, v5
; %bb.2616:                             ;   in Loop: Header=BB370_1574 Depth=1
	v_clz_i32_u32_e32 v4, v22
	s_delay_alu instid0(VALU_DEP_1) | instskip(NEXT) | instid1(VALU_DEP_1)
	v_min_u32_e32 v4, 32, v4
	v_subrev_nc_u32_e32 v5, 28, v4
	v_sub_nc_u32_e32 v4, 29, v4
	s_delay_alu instid0(VALU_DEP_2) | instskip(NEXT) | instid1(VALU_DEP_1)
	v_lshlrev_b64_e32 v[52:53], v5, v[22:23]
	v_and_b32_e32 v52, 7, v52
; %bb.2617:                             ;   in Loop: Header=BB370_1574 Depth=1
	s_or_b32 exec_lo, exec_lo, s19
	s_delay_alu instid0(VALU_DEP_1) | instskip(SKIP_1) | instid1(VALU_DEP_2)
	v_dual_lshlrev_b32 v5, 24, v54 :: v_dual_lshlrev_b32 v6, 20, v52
	v_lshl_add_u32 v4, v4, 23, 0x3c000000
	v_and_b32_e32 v5, 0x80000000, v5
	s_delay_alu instid0(VALU_DEP_1)
	v_or3_b32 v4, v6, v5, v4
.LBB370_2618:                           ;   in Loop: Header=BB370_1574 Depth=1
	s_or_b32 exec_lo, exec_lo, s18
.LBB370_2619:                           ;   in Loop: Header=BB370_1574 Depth=1
	s_delay_alu instid0(SALU_CYCLE_1)
	s_or_b32 exec_lo, exec_lo, s17
.LBB370_2620:                           ;   in Loop: Header=BB370_1574 Depth=1
	s_delay_alu instid0(SALU_CYCLE_1) | instskip(NEXT) | instid1(SALU_CYCLE_1)
	s_or_b32 exec_lo, exec_lo, s16
	s_mov_b32 s16, exec_lo
	v_cmpx_lt_u64_e64 s[2:3], v[18:19]
	s_cbranch_execz .LBB370_2628
; %bb.2621:                             ;   in Loop: Header=BB370_1574 Depth=1
	v_lshrrev_b32_e32 v5, 24, v19
	v_bfrev_b32_e32 v3, 1
	s_mov_b32 s17, exec_lo
	s_delay_alu instid0(VALU_DEP_2)
	v_cmpx_ne_u32_e32 0x80, v5
	s_cbranch_execz .LBB370_2627
; %bb.2622:                             ;   in Loop: Header=BB370_1574 Depth=1
	v_bfe_u32 v52, v19, 24, 7
	v_mov_b32_e32 v3, 0x7f800001
	s_mov_b32 s18, exec_lo
	s_delay_alu instid0(VALU_DEP_2)
	v_cmpx_ne_u32_e32 0x7f, v52
	s_cbranch_execz .LBB370_2626
; %bb.2623:                             ;   in Loop: Header=BB370_1574 Depth=1
	v_dual_lshrrev_b32 v3, 3, v52 :: v_dual_bitop2_b32 v22, 7, v5 bitop3:0x40
	s_mov_b32 s19, exec_lo
	s_delay_alu instid0(VALU_DEP_1)
	v_mov_b64_e32 v[18:19], v[22:23]
	v_cmpx_gt_u32_e32 8, v52
; %bb.2624:                             ;   in Loop: Header=BB370_1574 Depth=1
	v_clz_i32_u32_e32 v3, v22
	s_delay_alu instid0(VALU_DEP_1) | instskip(NEXT) | instid1(VALU_DEP_1)
	v_min_u32_e32 v3, 32, v3
	v_subrev_nc_u32_e32 v6, 28, v3
	s_delay_alu instid0(VALU_DEP_1) | instskip(NEXT) | instid1(VALU_DEP_1)
	v_lshlrev_b64_e32 v[18:19], v6, v[22:23]
	v_dual_sub_nc_u32 v3, 29, v3 :: v_dual_bitop2_b32 v18, 7, v18 bitop3:0x40
; %bb.2625:                             ;   in Loop: Header=BB370_1574 Depth=1
	s_or_b32 exec_lo, exec_lo, s19
	s_delay_alu instid0(VALU_DEP_1) | instskip(NEXT) | instid1(VALU_DEP_2)
	v_dual_lshlrev_b32 v5, 24, v5 :: v_dual_lshlrev_b32 v6, 20, v18
	v_lshl_add_u32 v3, v3, 23, 0x3c000000
	s_delay_alu instid0(VALU_DEP_2) | instskip(NEXT) | instid1(VALU_DEP_1)
	v_and_b32_e32 v5, 0x80000000, v5
	v_or3_b32 v3, v6, v5, v3
.LBB370_2626:                           ;   in Loop: Header=BB370_1574 Depth=1
	s_or_b32 exec_lo, exec_lo, s18
.LBB370_2627:                           ;   in Loop: Header=BB370_1574 Depth=1
	s_delay_alu instid0(SALU_CYCLE_1)
	s_or_b32 exec_lo, exec_lo, s17
.LBB370_2628:                           ;   in Loop: Header=BB370_1574 Depth=1
	s_delay_alu instid0(SALU_CYCLE_1)
	s_or_b32 exec_lo, exec_lo, s16
	v_fma_mixlo_bf16 v59, v64, v2, 0
	v_fma_mixlo_bf16 v61, v64, v51, 0
	;; [unrolled: 1-line block ×8, first 2 shown]
	s_and_saveexec_b32 s16, vcc_lo
	s_cbranch_execz .LBB370_2630
; %bb.2629:                             ;   in Loop: Header=BB370_1574 Depth=1
	v_cmp_lt_i32_e64 s0, v113, v88
	s_delay_alu instid0(VALU_DEP_1) | instskip(SKIP_1) | instid1(VALU_DEP_1)
	v_cndmask_b32_e64 v75, 0, v75, s0
	v_cmp_lt_i32_e64 s0, v56, v88
	v_cndmask_b32_e64 v74, 0, v74, s0
	v_cmp_lt_i32_e64 s0, v47, v88
	s_delay_alu instid0(VALU_DEP_1) | instskip(SKIP_1) | instid1(VALU_DEP_1)
	v_cndmask_b32_e64 v73, 0, v73, s0
	v_cmp_lt_i32_e64 s0, v46, v88
	v_cndmask_b32_e64 v72, 0, v72, s0
	;; [unrolled: 5-line block ×4, first 2 shown]
.LBB370_2630:                           ;   in Loop: Header=BB370_1574 Depth=1
	s_or_b32 exec_lo, exec_lo, s16
	flat_load_b64 v[18:19], v[0:1] offset:4096
	v_dual_mov_b32 v11, 0 :: v_dual_mov_b32 v10, 0
	s_mov_b32 s16, exec_lo
	s_wait_loadcnt_dscnt 0x0
	v_and_b32_e32 v2, 0xff, v18
	s_wait_xcnt 0x0
	s_delay_alu instid0(VALU_DEP_1)
	v_cmpx_ne_u16_e32 0, v2
	s_cbranch_execz .LBB370_2638
; %bb.2631:                             ;   in Loop: Header=BB370_1574 Depth=1
	v_bfrev_b32_e32 v10, 1
	s_mov_b32 s17, exec_lo
	v_cmpx_ne_u16_e32 0x80, v2
	s_cbranch_execz .LBB370_2637
; %bb.2632:                             ;   in Loop: Header=BB370_1574 Depth=1
	v_and_b32_e32 v3, 0x7f, v18
	v_mov_b32_e32 v10, 0x7f800001
	s_mov_b32 s18, exec_lo
	s_delay_alu instid0(VALU_DEP_2)
	v_cmpx_ne_u32_e32 0x7f, v3
	s_cbranch_execz .LBB370_2636
; %bb.2633:                             ;   in Loop: Header=BB370_1574 Depth=1
	v_mov_b64_e32 v[52:53], v[18:19]
	v_lshrrev_b32_e32 v2, 3, v3
	s_mov_b32 s19, exec_lo
	v_cmpx_gt_u32_e32 8, v3
; %bb.2634:                             ;   in Loop: Header=BB370_1574 Depth=1
	v_and_b32_e32 v2, 7, v18
	s_delay_alu instid0(VALU_DEP_1) | instskip(NEXT) | instid1(VALU_DEP_1)
	v_clz_i32_u32_e32 v2, v2
	v_min_u32_e32 v2, 32, v2
	s_delay_alu instid0(VALU_DEP_1) | instskip(SKIP_1) | instid1(VALU_DEP_2)
	v_subrev_nc_u32_e32 v3, 28, v2
	v_sub_nc_u32_e32 v2, 29, v2
	v_lshlrev_b64_e32 v[52:53], v3, v[18:19]
; %bb.2635:                             ;   in Loop: Header=BB370_1574 Depth=1
	s_or_b32 exec_lo, exec_lo, s19
	s_delay_alu instid0(VALU_DEP_1) | instskip(NEXT) | instid1(VALU_DEP_3)
	v_dual_lshlrev_b32 v3, 20, v52 :: v_dual_lshlrev_b32 v4, 24, v18
	v_lshl_add_u32 v2, v2, 23, 0x3c000000
	s_delay_alu instid0(VALU_DEP_2) | instskip(NEXT) | instid1(VALU_DEP_3)
	v_and_b32_e32 v3, 0x700000, v3
	v_and_b32_e32 v4, 0x80000000, v4
	s_delay_alu instid0(VALU_DEP_1)
	v_or3_b32 v10, v3, v4, v2
.LBB370_2636:                           ;   in Loop: Header=BB370_1574 Depth=1
	s_or_b32 exec_lo, exec_lo, s18
.LBB370_2637:                           ;   in Loop: Header=BB370_1574 Depth=1
	s_delay_alu instid0(SALU_CYCLE_1)
	s_or_b32 exec_lo, exec_lo, s17
.LBB370_2638:                           ;   in Loop: Header=BB370_1574 Depth=1
	s_delay_alu instid0(SALU_CYCLE_1) | instskip(SKIP_2) | instid1(VALU_DEP_1)
	s_or_b32 exec_lo, exec_lo, s16
	v_lshrrev_b16 v2, 8, v18
	s_mov_b32 s16, exec_lo
	v_cmpx_ne_u16_e32 0, v2
	s_cbranch_execz .LBB370_2646
; %bb.2639:                             ;   in Loop: Header=BB370_1574 Depth=1
	v_bfrev_b32_e32 v11, 1
	s_mov_b32 s17, exec_lo
	v_cmpx_ne_u16_e32 0x80, v2
	s_cbranch_execz .LBB370_2645
; %bb.2640:                             ;   in Loop: Header=BB370_1574 Depth=1
	v_and_b32_e32 v2, 0xffff, v2
	v_mov_b32_e32 v11, 0x7f800001
	s_mov_b32 s18, exec_lo
	s_delay_alu instid0(VALU_DEP_2) | instskip(NEXT) | instid1(VALU_DEP_1)
	v_and_b32_e32 v3, 0x7f, v2
	v_cmpx_ne_u32_e32 0x7f, v3
	s_cbranch_execz .LBB370_2644
; %bb.2641:                             ;   in Loop: Header=BB370_1574 Depth=1
	v_dual_lshrrev_b32 v2, 3, v3 :: v_dual_bitop2_b32 v22, 7, v2 bitop3:0x40
	s_mov_b32 s19, exec_lo
	s_delay_alu instid0(VALU_DEP_1)
	v_mov_b64_e32 v[52:53], v[22:23]
	v_cmpx_gt_u32_e32 8, v3
; %bb.2642:                             ;   in Loop: Header=BB370_1574 Depth=1
	v_clz_i32_u32_e32 v2, v22
	s_delay_alu instid0(VALU_DEP_1) | instskip(NEXT) | instid1(VALU_DEP_1)
	v_min_u32_e32 v2, 32, v2
	v_subrev_nc_u32_e32 v3, 28, v2
	s_delay_alu instid0(VALU_DEP_1) | instskip(NEXT) | instid1(VALU_DEP_1)
	v_lshlrev_b64_e32 v[4:5], v3, v[22:23]
	v_dual_sub_nc_u32 v2, 29, v2 :: v_dual_bitop2_b32 v52, 7, v4 bitop3:0x40
; %bb.2643:                             ;   in Loop: Header=BB370_1574 Depth=1
	s_or_b32 exec_lo, exec_lo, s19
	s_delay_alu instid0(VALU_DEP_1) | instskip(NEXT) | instid1(VALU_DEP_2)
	v_dual_lshlrev_b32 v3, 16, v18 :: v_dual_lshlrev_b32 v4, 20, v52
	v_lshl_add_u32 v2, v2, 23, 0x3c000000
	s_delay_alu instid0(VALU_DEP_2) | instskip(NEXT) | instid1(VALU_DEP_1)
	v_and_b32_e32 v3, 0x80000000, v3
	v_or3_b32 v11, v4, v3, v2
.LBB370_2644:                           ;   in Loop: Header=BB370_1574 Depth=1
	s_or_b32 exec_lo, exec_lo, s18
.LBB370_2645:                           ;   in Loop: Header=BB370_1574 Depth=1
	s_delay_alu instid0(SALU_CYCLE_1)
	s_or_b32 exec_lo, exec_lo, s17
.LBB370_2646:                           ;   in Loop: Header=BB370_1574 Depth=1
	s_delay_alu instid0(SALU_CYCLE_1) | instskip(SKIP_3) | instid1(VALU_DEP_2)
	s_or_b32 exec_lo, exec_lo, s16
	v_dual_mov_b32 v49, 0 :: v_dual_lshrrev_b32 v2, 16, v18
	v_mov_b32_e32 v48, 0
	s_mov_b32 s16, exec_lo
	v_and_b32_e32 v3, 0xff, v2
	s_delay_alu instid0(VALU_DEP_1)
	v_cmpx_ne_u16_e32 0, v3
	s_cbranch_execz .LBB370_2654
; %bb.2647:                             ;   in Loop: Header=BB370_1574 Depth=1
	v_bfrev_b32_e32 v48, 1
	s_mov_b32 s17, exec_lo
	v_cmpx_ne_u16_e32 0x80, v3
	s_cbranch_execz .LBB370_2653
; %bb.2648:                             ;   in Loop: Header=BB370_1574 Depth=1
	v_bfe_u32 v4, v18, 16, 7
	v_mov_b32_e32 v48, 0x7f800001
	s_mov_b32 s18, exec_lo
	s_delay_alu instid0(VALU_DEP_2)
	v_cmpx_ne_u32_e32 0x7f, v4
	s_cbranch_execz .LBB370_2652
; %bb.2649:                             ;   in Loop: Header=BB370_1574 Depth=1
	v_dual_lshrrev_b32 v3, 3, v4 :: v_dual_bitop2_b32 v22, 7, v2 bitop3:0x40
	s_mov_b32 s19, exec_lo
	s_delay_alu instid0(VALU_DEP_1)
	v_mov_b64_e32 v[52:53], v[22:23]
	v_cmpx_gt_u32_e32 8, v4
; %bb.2650:                             ;   in Loop: Header=BB370_1574 Depth=1
	v_clz_i32_u32_e32 v3, v22
	s_delay_alu instid0(VALU_DEP_1) | instskip(NEXT) | instid1(VALU_DEP_1)
	v_min_u32_e32 v3, 32, v3
	v_subrev_nc_u32_e32 v4, 28, v3
	s_delay_alu instid0(VALU_DEP_1) | instskip(NEXT) | instid1(VALU_DEP_1)
	v_lshlrev_b64_e32 v[4:5], v4, v[22:23]
	v_dual_sub_nc_u32 v3, 29, v3 :: v_dual_bitop2_b32 v52, 7, v4 bitop3:0x40
; %bb.2651:                             ;   in Loop: Header=BB370_1574 Depth=1
	s_or_b32 exec_lo, exec_lo, s19
	s_delay_alu instid0(VALU_DEP_1) | instskip(NEXT) | instid1(VALU_DEP_2)
	v_dual_lshlrev_b32 v2, 24, v2 :: v_dual_lshlrev_b32 v4, 20, v52
	v_lshl_add_u32 v3, v3, 23, 0x3c000000
	s_delay_alu instid0(VALU_DEP_2) | instskip(NEXT) | instid1(VALU_DEP_1)
	v_and_b32_e32 v2, 0x80000000, v2
	v_or3_b32 v48, v4, v2, v3
.LBB370_2652:                           ;   in Loop: Header=BB370_1574 Depth=1
	s_or_b32 exec_lo, exec_lo, s18
.LBB370_2653:                           ;   in Loop: Header=BB370_1574 Depth=1
	s_delay_alu instid0(SALU_CYCLE_1)
	s_or_b32 exec_lo, exec_lo, s17
.LBB370_2654:                           ;   in Loop: Header=BB370_1574 Depth=1
	s_delay_alu instid0(SALU_CYCLE_1) | instskip(NEXT) | instid1(SALU_CYCLE_1)
	s_or_b32 exec_lo, exec_lo, s16
	s_mov_b32 s16, exec_lo
	v_cmpx_lt_u32_e32 0xffffff, v18
	s_cbranch_execz .LBB370_2662
; %bb.2655:                             ;   in Loop: Header=BB370_1574 Depth=1
	v_lshrrev_b32_e32 v2, 24, v18
	v_bfrev_b32_e32 v49, 1
	s_mov_b32 s17, exec_lo
	s_delay_alu instid0(VALU_DEP_2)
	v_cmpx_ne_u32_e32 0x80, v2
	s_cbranch_execz .LBB370_2661
; %bb.2656:                             ;   in Loop: Header=BB370_1574 Depth=1
	v_bfe_u32 v4, v18, 24, 7
	v_mov_b32_e32 v49, 0x7f800001
	s_mov_b32 s18, exec_lo
	s_delay_alu instid0(VALU_DEP_2)
	v_cmpx_ne_u32_e32 0x7f, v4
	s_cbranch_execz .LBB370_2660
; %bb.2657:                             ;   in Loop: Header=BB370_1574 Depth=1
	v_dual_lshrrev_b32 v3, 3, v4 :: v_dual_bitop2_b32 v22, 7, v2 bitop3:0x40
	s_mov_b32 s19, exec_lo
	s_delay_alu instid0(VALU_DEP_1)
	v_mov_b64_e32 v[52:53], v[22:23]
	v_cmpx_gt_u32_e32 8, v4
; %bb.2658:                             ;   in Loop: Header=BB370_1574 Depth=1
	v_clz_i32_u32_e32 v3, v22
	s_delay_alu instid0(VALU_DEP_1) | instskip(NEXT) | instid1(VALU_DEP_1)
	v_min_u32_e32 v3, 32, v3
	v_subrev_nc_u32_e32 v4, 28, v3
	s_delay_alu instid0(VALU_DEP_1) | instskip(NEXT) | instid1(VALU_DEP_1)
	v_lshlrev_b64_e32 v[4:5], v4, v[22:23]
	v_dual_sub_nc_u32 v3, 29, v3 :: v_dual_bitop2_b32 v52, 7, v4 bitop3:0x40
; %bb.2659:                             ;   in Loop: Header=BB370_1574 Depth=1
	s_or_b32 exec_lo, exec_lo, s19
	s_delay_alu instid0(VALU_DEP_1) | instskip(NEXT) | instid1(VALU_DEP_2)
	v_dual_lshlrev_b32 v2, 24, v2 :: v_dual_lshlrev_b32 v4, 20, v52
	v_lshl_add_u32 v3, v3, 23, 0x3c000000
	s_delay_alu instid0(VALU_DEP_2) | instskip(NEXT) | instid1(VALU_DEP_1)
	v_and_b32_e32 v2, 0x80000000, v2
	v_or3_b32 v49, v4, v2, v3
.LBB370_2660:                           ;   in Loop: Header=BB370_1574 Depth=1
	s_or_b32 exec_lo, exec_lo, s18
.LBB370_2661:                           ;   in Loop: Header=BB370_1574 Depth=1
	s_delay_alu instid0(SALU_CYCLE_1)
	s_or_b32 exec_lo, exec_lo, s17
.LBB370_2662:                           ;   in Loop: Header=BB370_1574 Depth=1
	s_delay_alu instid0(SALU_CYCLE_1) | instskip(SKIP_4) | instid1(VALU_DEP_3)
	s_or_b32 exec_lo, exec_lo, s16
	v_and_b32_e32 v3, 0xff, v19
	v_dual_mov_b32 v22, v19 :: v_dual_mov_b32 v2, 0
	v_mov_b32_e32 v51, 0
	s_mov_b32 s16, exec_lo
	v_cmpx_ne_u16_e32 0, v3
	s_cbranch_execz .LBB370_2670
; %bb.2663:                             ;   in Loop: Header=BB370_1574 Depth=1
	v_bfrev_b32_e32 v51, 1
	s_mov_b32 s17, exec_lo
	v_cmpx_ne_u16_e32 0x80, v3
	s_cbranch_execz .LBB370_2669
; %bb.2664:                             ;   in Loop: Header=BB370_1574 Depth=1
	v_and_b32_e32 v4, 0x7f, v19
	v_mov_b32_e32 v51, 0x7f800001
	s_mov_b32 s18, exec_lo
	s_delay_alu instid0(VALU_DEP_2)
	v_cmpx_ne_u32_e32 0x7f, v4
	s_cbranch_execz .LBB370_2668
; %bb.2665:                             ;   in Loop: Header=BB370_1574 Depth=1
	v_mov_b64_e32 v[52:53], v[22:23]
	v_lshrrev_b32_e32 v3, 3, v4
	s_mov_b32 s19, exec_lo
	v_cmpx_gt_u32_e32 8, v4
; %bb.2666:                             ;   in Loop: Header=BB370_1574 Depth=1
	v_and_b32_e32 v3, 7, v19
	s_delay_alu instid0(VALU_DEP_1) | instskip(NEXT) | instid1(VALU_DEP_1)
	v_clz_i32_u32_e32 v3, v3
	v_min_u32_e32 v3, 32, v3
	s_delay_alu instid0(VALU_DEP_1) | instskip(SKIP_1) | instid1(VALU_DEP_2)
	v_subrev_nc_u32_e32 v4, 28, v3
	v_sub_nc_u32_e32 v3, 29, v3
	v_lshlrev_b64_e32 v[52:53], v4, v[22:23]
; %bb.2667:                             ;   in Loop: Header=BB370_1574 Depth=1
	s_or_b32 exec_lo, exec_lo, s19
	s_delay_alu instid0(VALU_DEP_1) | instskip(NEXT) | instid1(VALU_DEP_3)
	v_dual_lshlrev_b32 v4, 20, v52 :: v_dual_lshlrev_b32 v5, 24, v22
	v_lshl_add_u32 v3, v3, 23, 0x3c000000
	s_delay_alu instid0(VALU_DEP_2) | instskip(NEXT) | instid1(VALU_DEP_3)
	v_and_b32_e32 v4, 0x700000, v4
	v_and_b32_e32 v5, 0x80000000, v5
	s_delay_alu instid0(VALU_DEP_1)
	v_or3_b32 v51, v4, v5, v3
.LBB370_2668:                           ;   in Loop: Header=BB370_1574 Depth=1
	s_or_b32 exec_lo, exec_lo, s18
.LBB370_2669:                           ;   in Loop: Header=BB370_1574 Depth=1
	s_delay_alu instid0(SALU_CYCLE_1)
	s_or_b32 exec_lo, exec_lo, s17
.LBB370_2670:                           ;   in Loop: Header=BB370_1574 Depth=1
	s_delay_alu instid0(SALU_CYCLE_1) | instskip(SKIP_2) | instid1(VALU_DEP_1)
	s_or_b32 exec_lo, exec_lo, s16
	v_lshrrev_b16 v3, 8, v22
	s_mov_b32 s16, exec_lo
	v_cmpx_ne_u16_e32 0, v3
	s_cbranch_execz .LBB370_2678
; %bb.2671:                             ;   in Loop: Header=BB370_1574 Depth=1
	v_bfrev_b32_e32 v2, 1
	s_mov_b32 s17, exec_lo
	v_cmpx_ne_u16_e32 0x80, v3
	s_cbranch_execz .LBB370_2677
; %bb.2672:                             ;   in Loop: Header=BB370_1574 Depth=1
	v_and_b32_e32 v4, 0xffff, v3
	v_mov_b32_e32 v2, 0x7f800001
	s_mov_b32 s18, exec_lo
	s_delay_alu instid0(VALU_DEP_2) | instskip(NEXT) | instid1(VALU_DEP_1)
	v_and_b32_e32 v3, 0x7f, v4
	v_cmpx_ne_u32_e32 0x7f, v3
	s_cbranch_execz .LBB370_2676
; %bb.2673:                             ;   in Loop: Header=BB370_1574 Depth=1
	v_dual_mov_b32 v53, v23 :: v_dual_bitop2_b32 v52, 7, v4 bitop3:0x40
	v_lshrrev_b32_e32 v2, 3, v3
	s_mov_b32 s19, exec_lo
	v_cmpx_gt_u32_e32 8, v3
; %bb.2674:                             ;   in Loop: Header=BB370_1574 Depth=1
	s_delay_alu instid0(VALU_DEP_3) | instskip(NEXT) | instid1(VALU_DEP_1)
	v_clz_i32_u32_e32 v2, v52
	v_min_u32_e32 v2, 32, v2
	s_delay_alu instid0(VALU_DEP_1) | instskip(NEXT) | instid1(VALU_DEP_1)
	v_subrev_nc_u32_e32 v3, 28, v2
	v_lshlrev_b64_e32 v[4:5], v3, v[52:53]
	s_delay_alu instid0(VALU_DEP_1)
	v_dual_sub_nc_u32 v2, 29, v2 :: v_dual_bitop2_b32 v52, 7, v4 bitop3:0x40
; %bb.2675:                             ;   in Loop: Header=BB370_1574 Depth=1
	s_or_b32 exec_lo, exec_lo, s19
	s_delay_alu instid0(VALU_DEP_1) | instskip(NEXT) | instid1(VALU_DEP_2)
	v_dual_lshlrev_b32 v3, 16, v22 :: v_dual_lshlrev_b32 v4, 20, v52
	v_lshl_add_u32 v2, v2, 23, 0x3c000000
	s_delay_alu instid0(VALU_DEP_2) | instskip(NEXT) | instid1(VALU_DEP_1)
	v_and_b32_e32 v3, 0x80000000, v3
	v_or3_b32 v2, v4, v3, v2
.LBB370_2676:                           ;   in Loop: Header=BB370_1574 Depth=1
	s_or_b32 exec_lo, exec_lo, s18
.LBB370_2677:                           ;   in Loop: Header=BB370_1574 Depth=1
	s_delay_alu instid0(SALU_CYCLE_1)
	s_or_b32 exec_lo, exec_lo, s17
.LBB370_2678:                           ;   in Loop: Header=BB370_1574 Depth=1
	s_delay_alu instid0(SALU_CYCLE_1) | instskip(SKIP_3) | instid1(VALU_DEP_2)
	s_or_b32 exec_lo, exec_lo, s16
	v_dual_mov_b32 v3, 0 :: v_dual_lshrrev_b32 v54, 16, v19
	v_mov_b32_e32 v4, 0
	s_mov_b32 s16, exec_lo
	v_and_b32_e32 v5, 0xff, v54
	s_delay_alu instid0(VALU_DEP_1)
	v_cmpx_ne_u16_e32 0, v5
	s_cbranch_execz .LBB370_2686
; %bb.2679:                             ;   in Loop: Header=BB370_1574 Depth=1
	v_bfrev_b32_e32 v4, 1
	s_mov_b32 s17, exec_lo
	v_cmpx_ne_u16_e32 0x80, v5
	s_cbranch_execz .LBB370_2685
; %bb.2680:                             ;   in Loop: Header=BB370_1574 Depth=1
	v_bfe_u32 v5, v19, 16, 7
	v_mov_b32_e32 v4, 0x7f800001
	s_mov_b32 s18, exec_lo
	s_delay_alu instid0(VALU_DEP_2)
	v_cmpx_ne_u32_e32 0x7f, v5
	s_cbranch_execz .LBB370_2684
; %bb.2681:                             ;   in Loop: Header=BB370_1574 Depth=1
	v_dual_lshrrev_b32 v4, 3, v5 :: v_dual_bitop2_b32 v22, 7, v54 bitop3:0x40
	s_mov_b32 s19, exec_lo
	s_delay_alu instid0(VALU_DEP_1)
	v_mov_b64_e32 v[52:53], v[22:23]
	v_cmpx_gt_u32_e32 8, v5
; %bb.2682:                             ;   in Loop: Header=BB370_1574 Depth=1
	v_clz_i32_u32_e32 v4, v22
	s_delay_alu instid0(VALU_DEP_1) | instskip(NEXT) | instid1(VALU_DEP_1)
	v_min_u32_e32 v4, 32, v4
	v_subrev_nc_u32_e32 v5, 28, v4
	v_sub_nc_u32_e32 v4, 29, v4
	s_delay_alu instid0(VALU_DEP_2) | instskip(NEXT) | instid1(VALU_DEP_1)
	v_lshlrev_b64_e32 v[52:53], v5, v[22:23]
	v_and_b32_e32 v52, 7, v52
; %bb.2683:                             ;   in Loop: Header=BB370_1574 Depth=1
	s_or_b32 exec_lo, exec_lo, s19
	s_delay_alu instid0(VALU_DEP_1) | instskip(SKIP_1) | instid1(VALU_DEP_2)
	v_dual_lshlrev_b32 v5, 24, v54 :: v_dual_lshlrev_b32 v6, 20, v52
	v_lshl_add_u32 v4, v4, 23, 0x3c000000
	v_and_b32_e32 v5, 0x80000000, v5
	s_delay_alu instid0(VALU_DEP_1)
	v_or3_b32 v4, v6, v5, v4
.LBB370_2684:                           ;   in Loop: Header=BB370_1574 Depth=1
	s_or_b32 exec_lo, exec_lo, s18
.LBB370_2685:                           ;   in Loop: Header=BB370_1574 Depth=1
	s_delay_alu instid0(SALU_CYCLE_1)
	s_or_b32 exec_lo, exec_lo, s17
.LBB370_2686:                           ;   in Loop: Header=BB370_1574 Depth=1
	s_delay_alu instid0(SALU_CYCLE_1) | instskip(NEXT) | instid1(SALU_CYCLE_1)
	s_or_b32 exec_lo, exec_lo, s16
	s_mov_b32 s16, exec_lo
	v_cmpx_lt_u64_e64 s[2:3], v[18:19]
	s_cbranch_execz .LBB370_2694
; %bb.2687:                             ;   in Loop: Header=BB370_1574 Depth=1
	v_lshrrev_b32_e32 v5, 24, v19
	v_bfrev_b32_e32 v3, 1
	s_mov_b32 s17, exec_lo
	s_delay_alu instid0(VALU_DEP_2)
	v_cmpx_ne_u32_e32 0x80, v5
	s_cbranch_execz .LBB370_2693
; %bb.2688:                             ;   in Loop: Header=BB370_1574 Depth=1
	v_bfe_u32 v52, v19, 24, 7
	v_mov_b32_e32 v3, 0x7f800001
	s_mov_b32 s18, exec_lo
	s_delay_alu instid0(VALU_DEP_2)
	v_cmpx_ne_u32_e32 0x7f, v52
	s_cbranch_execz .LBB370_2692
; %bb.2689:                             ;   in Loop: Header=BB370_1574 Depth=1
	v_dual_lshrrev_b32 v3, 3, v52 :: v_dual_bitop2_b32 v22, 7, v5 bitop3:0x40
	s_mov_b32 s19, exec_lo
	s_delay_alu instid0(VALU_DEP_1)
	v_mov_b64_e32 v[18:19], v[22:23]
	v_cmpx_gt_u32_e32 8, v52
; %bb.2690:                             ;   in Loop: Header=BB370_1574 Depth=1
	v_clz_i32_u32_e32 v3, v22
	s_delay_alu instid0(VALU_DEP_1) | instskip(NEXT) | instid1(VALU_DEP_1)
	v_min_u32_e32 v3, 32, v3
	v_subrev_nc_u32_e32 v6, 28, v3
	s_delay_alu instid0(VALU_DEP_1) | instskip(NEXT) | instid1(VALU_DEP_1)
	v_lshlrev_b64_e32 v[18:19], v6, v[22:23]
	v_dual_sub_nc_u32 v3, 29, v3 :: v_dual_bitop2_b32 v18, 7, v18 bitop3:0x40
; %bb.2691:                             ;   in Loop: Header=BB370_1574 Depth=1
	s_or_b32 exec_lo, exec_lo, s19
	s_delay_alu instid0(VALU_DEP_1) | instskip(NEXT) | instid1(VALU_DEP_2)
	v_dual_lshlrev_b32 v5, 24, v5 :: v_dual_lshlrev_b32 v6, 20, v18
	v_lshl_add_u32 v3, v3, 23, 0x3c000000
	s_delay_alu instid0(VALU_DEP_2) | instskip(NEXT) | instid1(VALU_DEP_1)
	v_and_b32_e32 v5, 0x80000000, v5
	v_or3_b32 v3, v6, v5, v3
.LBB370_2692:                           ;   in Loop: Header=BB370_1574 Depth=1
	s_or_b32 exec_lo, exec_lo, s18
.LBB370_2693:                           ;   in Loop: Header=BB370_1574 Depth=1
	s_delay_alu instid0(SALU_CYCLE_1)
	s_or_b32 exec_lo, exec_lo, s17
.LBB370_2694:                           ;   in Loop: Header=BB370_1574 Depth=1
	s_delay_alu instid0(SALU_CYCLE_1)
	s_or_b32 exec_lo, exec_lo, s16
	v_fma_mixlo_bf16 v57, v64, v2, 0
	v_fma_mixlo_bf16 v77, v64, v51, 0
	;; [unrolled: 1-line block ×8, first 2 shown]
	s_and_saveexec_b32 s16, vcc_lo
	s_cbranch_execz .LBB370_2696
; %bb.2695:                             ;   in Loop: Header=BB370_1574 Depth=1
	v_cmp_lt_i32_e64 s0, v113, v88
	s_delay_alu instid0(VALU_DEP_1) | instskip(SKIP_1) | instid1(VALU_DEP_1)
	v_cndmask_b32_e64 v91, 0, v91, s0
	v_cmp_lt_i32_e64 s0, v56, v88
	v_cndmask_b32_e64 v90, 0, v90, s0
	v_cmp_lt_i32_e64 s0, v47, v88
	s_delay_alu instid0(VALU_DEP_1) | instskip(SKIP_1) | instid1(VALU_DEP_1)
	v_cndmask_b32_e64 v89, 0, v89, s0
	v_cmp_lt_i32_e64 s0, v46, v88
	v_cndmask_b32_e64 v79, 0, v79, s0
	;; [unrolled: 5-line block ×4, first 2 shown]
.LBB370_2696:                           ;   in Loop: Header=BB370_1574 Depth=1
	s_or_b32 exec_lo, exec_lo, s16
	flat_load_b64 v[18:19], v[0:1] offset:4352
	v_dual_mov_b32 v11, 0 :: v_dual_mov_b32 v10, 0
	s_mov_b32 s16, exec_lo
	s_wait_loadcnt_dscnt 0x0
	v_and_b32_e32 v2, 0xff, v18
	s_wait_xcnt 0x0
	s_delay_alu instid0(VALU_DEP_1)
	v_cmpx_ne_u16_e32 0, v2
	s_cbranch_execz .LBB370_2704
; %bb.2697:                             ;   in Loop: Header=BB370_1574 Depth=1
	v_bfrev_b32_e32 v10, 1
	s_mov_b32 s17, exec_lo
	v_cmpx_ne_u16_e32 0x80, v2
	s_cbranch_execz .LBB370_2703
; %bb.2698:                             ;   in Loop: Header=BB370_1574 Depth=1
	v_and_b32_e32 v3, 0x7f, v18
	v_mov_b32_e32 v10, 0x7f800001
	s_mov_b32 s18, exec_lo
	s_delay_alu instid0(VALU_DEP_2)
	v_cmpx_ne_u32_e32 0x7f, v3
	s_cbranch_execz .LBB370_2702
; %bb.2699:                             ;   in Loop: Header=BB370_1574 Depth=1
	v_mov_b64_e32 v[52:53], v[18:19]
	v_lshrrev_b32_e32 v2, 3, v3
	s_mov_b32 s19, exec_lo
	v_cmpx_gt_u32_e32 8, v3
; %bb.2700:                             ;   in Loop: Header=BB370_1574 Depth=1
	v_and_b32_e32 v2, 7, v18
	s_delay_alu instid0(VALU_DEP_1) | instskip(NEXT) | instid1(VALU_DEP_1)
	v_clz_i32_u32_e32 v2, v2
	v_min_u32_e32 v2, 32, v2
	s_delay_alu instid0(VALU_DEP_1) | instskip(SKIP_1) | instid1(VALU_DEP_2)
	v_subrev_nc_u32_e32 v3, 28, v2
	v_sub_nc_u32_e32 v2, 29, v2
	v_lshlrev_b64_e32 v[52:53], v3, v[18:19]
; %bb.2701:                             ;   in Loop: Header=BB370_1574 Depth=1
	s_or_b32 exec_lo, exec_lo, s19
	s_delay_alu instid0(VALU_DEP_1) | instskip(NEXT) | instid1(VALU_DEP_3)
	v_dual_lshlrev_b32 v3, 20, v52 :: v_dual_lshlrev_b32 v4, 24, v18
	v_lshl_add_u32 v2, v2, 23, 0x3c000000
	s_delay_alu instid0(VALU_DEP_2) | instskip(NEXT) | instid1(VALU_DEP_3)
	v_and_b32_e32 v3, 0x700000, v3
	v_and_b32_e32 v4, 0x80000000, v4
	s_delay_alu instid0(VALU_DEP_1)
	v_or3_b32 v10, v3, v4, v2
.LBB370_2702:                           ;   in Loop: Header=BB370_1574 Depth=1
	s_or_b32 exec_lo, exec_lo, s18
.LBB370_2703:                           ;   in Loop: Header=BB370_1574 Depth=1
	s_delay_alu instid0(SALU_CYCLE_1)
	s_or_b32 exec_lo, exec_lo, s17
.LBB370_2704:                           ;   in Loop: Header=BB370_1574 Depth=1
	s_delay_alu instid0(SALU_CYCLE_1) | instskip(SKIP_2) | instid1(VALU_DEP_1)
	s_or_b32 exec_lo, exec_lo, s16
	v_lshrrev_b16 v2, 8, v18
	s_mov_b32 s16, exec_lo
	v_cmpx_ne_u16_e32 0, v2
	s_cbranch_execz .LBB370_2712
; %bb.2705:                             ;   in Loop: Header=BB370_1574 Depth=1
	v_bfrev_b32_e32 v11, 1
	s_mov_b32 s17, exec_lo
	v_cmpx_ne_u16_e32 0x80, v2
	s_cbranch_execz .LBB370_2711
; %bb.2706:                             ;   in Loop: Header=BB370_1574 Depth=1
	v_and_b32_e32 v2, 0xffff, v2
	v_mov_b32_e32 v11, 0x7f800001
	s_mov_b32 s18, exec_lo
	s_delay_alu instid0(VALU_DEP_2) | instskip(NEXT) | instid1(VALU_DEP_1)
	v_and_b32_e32 v3, 0x7f, v2
	v_cmpx_ne_u32_e32 0x7f, v3
	s_cbranch_execz .LBB370_2710
; %bb.2707:                             ;   in Loop: Header=BB370_1574 Depth=1
	v_dual_lshrrev_b32 v2, 3, v3 :: v_dual_bitop2_b32 v22, 7, v2 bitop3:0x40
	s_mov_b32 s19, exec_lo
	s_delay_alu instid0(VALU_DEP_1)
	v_mov_b64_e32 v[52:53], v[22:23]
	v_cmpx_gt_u32_e32 8, v3
; %bb.2708:                             ;   in Loop: Header=BB370_1574 Depth=1
	v_clz_i32_u32_e32 v2, v22
	s_delay_alu instid0(VALU_DEP_1) | instskip(NEXT) | instid1(VALU_DEP_1)
	v_min_u32_e32 v2, 32, v2
	v_subrev_nc_u32_e32 v3, 28, v2
	s_delay_alu instid0(VALU_DEP_1) | instskip(NEXT) | instid1(VALU_DEP_1)
	v_lshlrev_b64_e32 v[4:5], v3, v[22:23]
	v_dual_sub_nc_u32 v2, 29, v2 :: v_dual_bitop2_b32 v52, 7, v4 bitop3:0x40
; %bb.2709:                             ;   in Loop: Header=BB370_1574 Depth=1
	s_or_b32 exec_lo, exec_lo, s19
	s_delay_alu instid0(VALU_DEP_1) | instskip(NEXT) | instid1(VALU_DEP_2)
	v_dual_lshlrev_b32 v3, 16, v18 :: v_dual_lshlrev_b32 v4, 20, v52
	v_lshl_add_u32 v2, v2, 23, 0x3c000000
	s_delay_alu instid0(VALU_DEP_2) | instskip(NEXT) | instid1(VALU_DEP_1)
	v_and_b32_e32 v3, 0x80000000, v3
	v_or3_b32 v11, v4, v3, v2
.LBB370_2710:                           ;   in Loop: Header=BB370_1574 Depth=1
	s_or_b32 exec_lo, exec_lo, s18
.LBB370_2711:                           ;   in Loop: Header=BB370_1574 Depth=1
	s_delay_alu instid0(SALU_CYCLE_1)
	s_or_b32 exec_lo, exec_lo, s17
.LBB370_2712:                           ;   in Loop: Header=BB370_1574 Depth=1
	s_delay_alu instid0(SALU_CYCLE_1) | instskip(SKIP_3) | instid1(VALU_DEP_2)
	s_or_b32 exec_lo, exec_lo, s16
	v_dual_mov_b32 v49, 0 :: v_dual_lshrrev_b32 v2, 16, v18
	v_mov_b32_e32 v48, 0
	s_mov_b32 s16, exec_lo
	v_and_b32_e32 v3, 0xff, v2
	s_delay_alu instid0(VALU_DEP_1)
	v_cmpx_ne_u16_e32 0, v3
	s_cbranch_execz .LBB370_2720
; %bb.2713:                             ;   in Loop: Header=BB370_1574 Depth=1
	v_bfrev_b32_e32 v48, 1
	s_mov_b32 s17, exec_lo
	v_cmpx_ne_u16_e32 0x80, v3
	s_cbranch_execz .LBB370_2719
; %bb.2714:                             ;   in Loop: Header=BB370_1574 Depth=1
	v_bfe_u32 v4, v18, 16, 7
	v_mov_b32_e32 v48, 0x7f800001
	s_mov_b32 s18, exec_lo
	s_delay_alu instid0(VALU_DEP_2)
	v_cmpx_ne_u32_e32 0x7f, v4
	s_cbranch_execz .LBB370_2718
; %bb.2715:                             ;   in Loop: Header=BB370_1574 Depth=1
	v_dual_lshrrev_b32 v3, 3, v4 :: v_dual_bitop2_b32 v22, 7, v2 bitop3:0x40
	s_mov_b32 s19, exec_lo
	s_delay_alu instid0(VALU_DEP_1)
	v_mov_b64_e32 v[52:53], v[22:23]
	v_cmpx_gt_u32_e32 8, v4
; %bb.2716:                             ;   in Loop: Header=BB370_1574 Depth=1
	v_clz_i32_u32_e32 v3, v22
	s_delay_alu instid0(VALU_DEP_1) | instskip(NEXT) | instid1(VALU_DEP_1)
	v_min_u32_e32 v3, 32, v3
	v_subrev_nc_u32_e32 v4, 28, v3
	s_delay_alu instid0(VALU_DEP_1) | instskip(NEXT) | instid1(VALU_DEP_1)
	v_lshlrev_b64_e32 v[4:5], v4, v[22:23]
	v_dual_sub_nc_u32 v3, 29, v3 :: v_dual_bitop2_b32 v52, 7, v4 bitop3:0x40
; %bb.2717:                             ;   in Loop: Header=BB370_1574 Depth=1
	s_or_b32 exec_lo, exec_lo, s19
	s_delay_alu instid0(VALU_DEP_1) | instskip(NEXT) | instid1(VALU_DEP_2)
	v_dual_lshlrev_b32 v2, 24, v2 :: v_dual_lshlrev_b32 v4, 20, v52
	v_lshl_add_u32 v3, v3, 23, 0x3c000000
	s_delay_alu instid0(VALU_DEP_2) | instskip(NEXT) | instid1(VALU_DEP_1)
	v_and_b32_e32 v2, 0x80000000, v2
	v_or3_b32 v48, v4, v2, v3
.LBB370_2718:                           ;   in Loop: Header=BB370_1574 Depth=1
	s_or_b32 exec_lo, exec_lo, s18
.LBB370_2719:                           ;   in Loop: Header=BB370_1574 Depth=1
	s_delay_alu instid0(SALU_CYCLE_1)
	s_or_b32 exec_lo, exec_lo, s17
.LBB370_2720:                           ;   in Loop: Header=BB370_1574 Depth=1
	s_delay_alu instid0(SALU_CYCLE_1) | instskip(NEXT) | instid1(SALU_CYCLE_1)
	s_or_b32 exec_lo, exec_lo, s16
	s_mov_b32 s16, exec_lo
	v_cmpx_lt_u32_e32 0xffffff, v18
	s_cbranch_execz .LBB370_2728
; %bb.2721:                             ;   in Loop: Header=BB370_1574 Depth=1
	v_lshrrev_b32_e32 v2, 24, v18
	v_bfrev_b32_e32 v49, 1
	s_mov_b32 s17, exec_lo
	s_delay_alu instid0(VALU_DEP_2)
	v_cmpx_ne_u32_e32 0x80, v2
	s_cbranch_execz .LBB370_2727
; %bb.2722:                             ;   in Loop: Header=BB370_1574 Depth=1
	v_bfe_u32 v4, v18, 24, 7
	v_mov_b32_e32 v49, 0x7f800001
	s_mov_b32 s18, exec_lo
	s_delay_alu instid0(VALU_DEP_2)
	v_cmpx_ne_u32_e32 0x7f, v4
	s_cbranch_execz .LBB370_2726
; %bb.2723:                             ;   in Loop: Header=BB370_1574 Depth=1
	v_dual_lshrrev_b32 v3, 3, v4 :: v_dual_bitop2_b32 v22, 7, v2 bitop3:0x40
	s_mov_b32 s19, exec_lo
	s_delay_alu instid0(VALU_DEP_1)
	v_mov_b64_e32 v[52:53], v[22:23]
	v_cmpx_gt_u32_e32 8, v4
; %bb.2724:                             ;   in Loop: Header=BB370_1574 Depth=1
	v_clz_i32_u32_e32 v3, v22
	s_delay_alu instid0(VALU_DEP_1) | instskip(NEXT) | instid1(VALU_DEP_1)
	v_min_u32_e32 v3, 32, v3
	v_subrev_nc_u32_e32 v4, 28, v3
	s_delay_alu instid0(VALU_DEP_1) | instskip(NEXT) | instid1(VALU_DEP_1)
	v_lshlrev_b64_e32 v[4:5], v4, v[22:23]
	v_dual_sub_nc_u32 v3, 29, v3 :: v_dual_bitop2_b32 v52, 7, v4 bitop3:0x40
; %bb.2725:                             ;   in Loop: Header=BB370_1574 Depth=1
	s_or_b32 exec_lo, exec_lo, s19
	s_delay_alu instid0(VALU_DEP_1) | instskip(NEXT) | instid1(VALU_DEP_2)
	v_dual_lshlrev_b32 v2, 24, v2 :: v_dual_lshlrev_b32 v4, 20, v52
	v_lshl_add_u32 v3, v3, 23, 0x3c000000
	s_delay_alu instid0(VALU_DEP_2) | instskip(NEXT) | instid1(VALU_DEP_1)
	v_and_b32_e32 v2, 0x80000000, v2
	v_or3_b32 v49, v4, v2, v3
.LBB370_2726:                           ;   in Loop: Header=BB370_1574 Depth=1
	s_or_b32 exec_lo, exec_lo, s18
.LBB370_2727:                           ;   in Loop: Header=BB370_1574 Depth=1
	s_delay_alu instid0(SALU_CYCLE_1)
	s_or_b32 exec_lo, exec_lo, s17
.LBB370_2728:                           ;   in Loop: Header=BB370_1574 Depth=1
	s_delay_alu instid0(SALU_CYCLE_1) | instskip(SKIP_4) | instid1(VALU_DEP_3)
	s_or_b32 exec_lo, exec_lo, s16
	v_and_b32_e32 v3, 0xff, v19
	v_dual_mov_b32 v22, v19 :: v_dual_mov_b32 v2, 0
	v_mov_b32_e32 v51, 0
	s_mov_b32 s16, exec_lo
	v_cmpx_ne_u16_e32 0, v3
	s_cbranch_execz .LBB370_2736
; %bb.2729:                             ;   in Loop: Header=BB370_1574 Depth=1
	v_bfrev_b32_e32 v51, 1
	s_mov_b32 s17, exec_lo
	v_cmpx_ne_u16_e32 0x80, v3
	s_cbranch_execz .LBB370_2735
; %bb.2730:                             ;   in Loop: Header=BB370_1574 Depth=1
	v_and_b32_e32 v4, 0x7f, v19
	v_mov_b32_e32 v51, 0x7f800001
	s_mov_b32 s18, exec_lo
	s_delay_alu instid0(VALU_DEP_2)
	v_cmpx_ne_u32_e32 0x7f, v4
	s_cbranch_execz .LBB370_2734
; %bb.2731:                             ;   in Loop: Header=BB370_1574 Depth=1
	v_mov_b64_e32 v[52:53], v[22:23]
	v_lshrrev_b32_e32 v3, 3, v4
	s_mov_b32 s19, exec_lo
	v_cmpx_gt_u32_e32 8, v4
; %bb.2732:                             ;   in Loop: Header=BB370_1574 Depth=1
	v_and_b32_e32 v3, 7, v19
	s_delay_alu instid0(VALU_DEP_1) | instskip(NEXT) | instid1(VALU_DEP_1)
	v_clz_i32_u32_e32 v3, v3
	v_min_u32_e32 v3, 32, v3
	s_delay_alu instid0(VALU_DEP_1) | instskip(SKIP_1) | instid1(VALU_DEP_2)
	v_subrev_nc_u32_e32 v4, 28, v3
	v_sub_nc_u32_e32 v3, 29, v3
	v_lshlrev_b64_e32 v[52:53], v4, v[22:23]
; %bb.2733:                             ;   in Loop: Header=BB370_1574 Depth=1
	s_or_b32 exec_lo, exec_lo, s19
	s_delay_alu instid0(VALU_DEP_1) | instskip(NEXT) | instid1(VALU_DEP_3)
	v_dual_lshlrev_b32 v4, 20, v52 :: v_dual_lshlrev_b32 v5, 24, v22
	v_lshl_add_u32 v3, v3, 23, 0x3c000000
	s_delay_alu instid0(VALU_DEP_2) | instskip(NEXT) | instid1(VALU_DEP_3)
	v_and_b32_e32 v4, 0x700000, v4
	v_and_b32_e32 v5, 0x80000000, v5
	s_delay_alu instid0(VALU_DEP_1)
	v_or3_b32 v51, v4, v5, v3
.LBB370_2734:                           ;   in Loop: Header=BB370_1574 Depth=1
	s_or_b32 exec_lo, exec_lo, s18
.LBB370_2735:                           ;   in Loop: Header=BB370_1574 Depth=1
	s_delay_alu instid0(SALU_CYCLE_1)
	s_or_b32 exec_lo, exec_lo, s17
.LBB370_2736:                           ;   in Loop: Header=BB370_1574 Depth=1
	s_delay_alu instid0(SALU_CYCLE_1) | instskip(SKIP_2) | instid1(VALU_DEP_1)
	s_or_b32 exec_lo, exec_lo, s16
	v_lshrrev_b16 v3, 8, v22
	s_mov_b32 s16, exec_lo
	v_cmpx_ne_u16_e32 0, v3
	s_cbranch_execz .LBB370_2744
; %bb.2737:                             ;   in Loop: Header=BB370_1574 Depth=1
	v_bfrev_b32_e32 v2, 1
	s_mov_b32 s17, exec_lo
	v_cmpx_ne_u16_e32 0x80, v3
	s_cbranch_execz .LBB370_2743
; %bb.2738:                             ;   in Loop: Header=BB370_1574 Depth=1
	v_and_b32_e32 v4, 0xffff, v3
	v_mov_b32_e32 v2, 0x7f800001
	s_mov_b32 s18, exec_lo
	s_delay_alu instid0(VALU_DEP_2) | instskip(NEXT) | instid1(VALU_DEP_1)
	v_and_b32_e32 v3, 0x7f, v4
	v_cmpx_ne_u32_e32 0x7f, v3
	s_cbranch_execz .LBB370_2742
; %bb.2739:                             ;   in Loop: Header=BB370_1574 Depth=1
	v_dual_mov_b32 v53, v23 :: v_dual_bitop2_b32 v52, 7, v4 bitop3:0x40
	v_lshrrev_b32_e32 v2, 3, v3
	s_mov_b32 s19, exec_lo
	v_cmpx_gt_u32_e32 8, v3
; %bb.2740:                             ;   in Loop: Header=BB370_1574 Depth=1
	s_delay_alu instid0(VALU_DEP_3) | instskip(NEXT) | instid1(VALU_DEP_1)
	v_clz_i32_u32_e32 v2, v52
	v_min_u32_e32 v2, 32, v2
	s_delay_alu instid0(VALU_DEP_1) | instskip(NEXT) | instid1(VALU_DEP_1)
	v_subrev_nc_u32_e32 v3, 28, v2
	v_lshlrev_b64_e32 v[4:5], v3, v[52:53]
	s_delay_alu instid0(VALU_DEP_1)
	v_dual_sub_nc_u32 v2, 29, v2 :: v_dual_bitop2_b32 v52, 7, v4 bitop3:0x40
; %bb.2741:                             ;   in Loop: Header=BB370_1574 Depth=1
	s_or_b32 exec_lo, exec_lo, s19
	s_delay_alu instid0(VALU_DEP_1) | instskip(NEXT) | instid1(VALU_DEP_2)
	v_dual_lshlrev_b32 v3, 16, v22 :: v_dual_lshlrev_b32 v4, 20, v52
	v_lshl_add_u32 v2, v2, 23, 0x3c000000
	s_delay_alu instid0(VALU_DEP_2) | instskip(NEXT) | instid1(VALU_DEP_1)
	v_and_b32_e32 v3, 0x80000000, v3
	v_or3_b32 v2, v4, v3, v2
.LBB370_2742:                           ;   in Loop: Header=BB370_1574 Depth=1
	s_or_b32 exec_lo, exec_lo, s18
.LBB370_2743:                           ;   in Loop: Header=BB370_1574 Depth=1
	s_delay_alu instid0(SALU_CYCLE_1)
	s_or_b32 exec_lo, exec_lo, s17
.LBB370_2744:                           ;   in Loop: Header=BB370_1574 Depth=1
	s_delay_alu instid0(SALU_CYCLE_1) | instskip(SKIP_3) | instid1(VALU_DEP_2)
	s_or_b32 exec_lo, exec_lo, s16
	v_dual_mov_b32 v3, 0 :: v_dual_lshrrev_b32 v54, 16, v19
	v_mov_b32_e32 v4, 0
	s_mov_b32 s16, exec_lo
	v_and_b32_e32 v5, 0xff, v54
	s_delay_alu instid0(VALU_DEP_1)
	v_cmpx_ne_u16_e32 0, v5
	s_cbranch_execz .LBB370_2752
; %bb.2745:                             ;   in Loop: Header=BB370_1574 Depth=1
	v_bfrev_b32_e32 v4, 1
	s_mov_b32 s17, exec_lo
	v_cmpx_ne_u16_e32 0x80, v5
	s_cbranch_execz .LBB370_2751
; %bb.2746:                             ;   in Loop: Header=BB370_1574 Depth=1
	v_bfe_u32 v5, v19, 16, 7
	v_mov_b32_e32 v4, 0x7f800001
	s_mov_b32 s18, exec_lo
	s_delay_alu instid0(VALU_DEP_2)
	v_cmpx_ne_u32_e32 0x7f, v5
	s_cbranch_execz .LBB370_2750
; %bb.2747:                             ;   in Loop: Header=BB370_1574 Depth=1
	v_dual_lshrrev_b32 v4, 3, v5 :: v_dual_bitop2_b32 v22, 7, v54 bitop3:0x40
	s_mov_b32 s19, exec_lo
	s_delay_alu instid0(VALU_DEP_1)
	v_mov_b64_e32 v[52:53], v[22:23]
	v_cmpx_gt_u32_e32 8, v5
; %bb.2748:                             ;   in Loop: Header=BB370_1574 Depth=1
	v_clz_i32_u32_e32 v4, v22
	s_delay_alu instid0(VALU_DEP_1) | instskip(NEXT) | instid1(VALU_DEP_1)
	v_min_u32_e32 v4, 32, v4
	v_subrev_nc_u32_e32 v5, 28, v4
	v_sub_nc_u32_e32 v4, 29, v4
	s_delay_alu instid0(VALU_DEP_2) | instskip(NEXT) | instid1(VALU_DEP_1)
	v_lshlrev_b64_e32 v[52:53], v5, v[22:23]
	v_and_b32_e32 v52, 7, v52
; %bb.2749:                             ;   in Loop: Header=BB370_1574 Depth=1
	s_or_b32 exec_lo, exec_lo, s19
	s_delay_alu instid0(VALU_DEP_1) | instskip(SKIP_1) | instid1(VALU_DEP_2)
	v_dual_lshlrev_b32 v5, 24, v54 :: v_dual_lshlrev_b32 v6, 20, v52
	v_lshl_add_u32 v4, v4, 23, 0x3c000000
	v_and_b32_e32 v5, 0x80000000, v5
	s_delay_alu instid0(VALU_DEP_1)
	v_or3_b32 v4, v6, v5, v4
.LBB370_2750:                           ;   in Loop: Header=BB370_1574 Depth=1
	s_or_b32 exec_lo, exec_lo, s18
.LBB370_2751:                           ;   in Loop: Header=BB370_1574 Depth=1
	s_delay_alu instid0(SALU_CYCLE_1)
	s_or_b32 exec_lo, exec_lo, s17
.LBB370_2752:                           ;   in Loop: Header=BB370_1574 Depth=1
	s_delay_alu instid0(SALU_CYCLE_1) | instskip(NEXT) | instid1(SALU_CYCLE_1)
	s_or_b32 exec_lo, exec_lo, s16
	s_mov_b32 s16, exec_lo
	v_cmpx_lt_u64_e64 s[2:3], v[18:19]
	s_cbranch_execz .LBB370_2760
; %bb.2753:                             ;   in Loop: Header=BB370_1574 Depth=1
	v_lshrrev_b32_e32 v5, 24, v19
	v_bfrev_b32_e32 v3, 1
	s_mov_b32 s17, exec_lo
	s_delay_alu instid0(VALU_DEP_2)
	v_cmpx_ne_u32_e32 0x80, v5
	s_cbranch_execz .LBB370_2759
; %bb.2754:                             ;   in Loop: Header=BB370_1574 Depth=1
	v_bfe_u32 v52, v19, 24, 7
	v_mov_b32_e32 v3, 0x7f800001
	s_mov_b32 s18, exec_lo
	s_delay_alu instid0(VALU_DEP_2)
	v_cmpx_ne_u32_e32 0x7f, v52
	s_cbranch_execz .LBB370_2758
; %bb.2755:                             ;   in Loop: Header=BB370_1574 Depth=1
	v_dual_lshrrev_b32 v3, 3, v52 :: v_dual_bitop2_b32 v22, 7, v5 bitop3:0x40
	s_mov_b32 s19, exec_lo
	s_delay_alu instid0(VALU_DEP_1)
	v_mov_b64_e32 v[18:19], v[22:23]
	v_cmpx_gt_u32_e32 8, v52
; %bb.2756:                             ;   in Loop: Header=BB370_1574 Depth=1
	v_clz_i32_u32_e32 v3, v22
	s_delay_alu instid0(VALU_DEP_1) | instskip(NEXT) | instid1(VALU_DEP_1)
	v_min_u32_e32 v3, 32, v3
	v_subrev_nc_u32_e32 v6, 28, v3
	s_delay_alu instid0(VALU_DEP_1) | instskip(NEXT) | instid1(VALU_DEP_1)
	v_lshlrev_b64_e32 v[18:19], v6, v[22:23]
	v_dual_sub_nc_u32 v3, 29, v3 :: v_dual_bitop2_b32 v18, 7, v18 bitop3:0x40
; %bb.2757:                             ;   in Loop: Header=BB370_1574 Depth=1
	s_or_b32 exec_lo, exec_lo, s19
	s_delay_alu instid0(VALU_DEP_1) | instskip(NEXT) | instid1(VALU_DEP_2)
	v_dual_lshlrev_b32 v5, 24, v5 :: v_dual_lshlrev_b32 v6, 20, v18
	v_lshl_add_u32 v3, v3, 23, 0x3c000000
	s_delay_alu instid0(VALU_DEP_2) | instskip(NEXT) | instid1(VALU_DEP_1)
	v_and_b32_e32 v5, 0x80000000, v5
	v_or3_b32 v3, v6, v5, v3
.LBB370_2758:                           ;   in Loop: Header=BB370_1574 Depth=1
	s_or_b32 exec_lo, exec_lo, s18
.LBB370_2759:                           ;   in Loop: Header=BB370_1574 Depth=1
	s_delay_alu instid0(SALU_CYCLE_1)
	s_or_b32 exec_lo, exec_lo, s17
.LBB370_2760:                           ;   in Loop: Header=BB370_1574 Depth=1
	s_delay_alu instid0(SALU_CYCLE_1)
	s_or_b32 exec_lo, exec_lo, s16
	v_fma_mixlo_bf16 v92, v64, v2, 0
	v_fma_mixlo_bf16 v93, v64, v51, 0
	;; [unrolled: 1-line block ×8, first 2 shown]
	s_and_saveexec_b32 s16, vcc_lo
	s_cbranch_execz .LBB370_2762
; %bb.2761:                             ;   in Loop: Header=BB370_1574 Depth=1
	v_cmp_lt_i32_e64 s0, v113, v88
	s_delay_alu instid0(VALU_DEP_1) | instskip(SKIP_1) | instid1(VALU_DEP_1)
	v_cndmask_b32_e64 v108, 0, v108, s0
	v_cmp_lt_i32_e64 s0, v56, v88
	v_cndmask_b32_e64 v107, 0, v107, s0
	v_cmp_lt_i32_e64 s0, v47, v88
	s_delay_alu instid0(VALU_DEP_1) | instskip(SKIP_1) | instid1(VALU_DEP_1)
	v_cndmask_b32_e64 v106, 0, v106, s0
	v_cmp_lt_i32_e64 s0, v46, v88
	v_cndmask_b32_e64 v104, 0, v104, s0
	;; [unrolled: 5-line block ×4, first 2 shown]
.LBB370_2762:                           ;   in Loop: Header=BB370_1574 Depth=1
	s_or_b32 exec_lo, exec_lo, s16
	flat_load_b64 v[18:19], v[0:1] offset:4608
	v_dual_mov_b32 v11, 0 :: v_dual_mov_b32 v10, 0
	s_mov_b32 s16, exec_lo
	s_wait_loadcnt_dscnt 0x0
	v_and_b32_e32 v2, 0xff, v18
	s_wait_xcnt 0x0
	s_delay_alu instid0(VALU_DEP_1)
	v_cmpx_ne_u16_e32 0, v2
	s_cbranch_execz .LBB370_2770
; %bb.2763:                             ;   in Loop: Header=BB370_1574 Depth=1
	v_bfrev_b32_e32 v10, 1
	s_mov_b32 s17, exec_lo
	v_cmpx_ne_u16_e32 0x80, v2
	s_cbranch_execz .LBB370_2769
; %bb.2764:                             ;   in Loop: Header=BB370_1574 Depth=1
	v_and_b32_e32 v3, 0x7f, v18
	v_mov_b32_e32 v10, 0x7f800001
	s_mov_b32 s18, exec_lo
	s_delay_alu instid0(VALU_DEP_2)
	v_cmpx_ne_u32_e32 0x7f, v3
	s_cbranch_execz .LBB370_2768
; %bb.2765:                             ;   in Loop: Header=BB370_1574 Depth=1
	v_mov_b64_e32 v[52:53], v[18:19]
	v_lshrrev_b32_e32 v2, 3, v3
	s_mov_b32 s19, exec_lo
	v_cmpx_gt_u32_e32 8, v3
; %bb.2766:                             ;   in Loop: Header=BB370_1574 Depth=1
	v_and_b32_e32 v2, 7, v18
	s_delay_alu instid0(VALU_DEP_1) | instskip(NEXT) | instid1(VALU_DEP_1)
	v_clz_i32_u32_e32 v2, v2
	v_min_u32_e32 v2, 32, v2
	s_delay_alu instid0(VALU_DEP_1) | instskip(SKIP_1) | instid1(VALU_DEP_2)
	v_subrev_nc_u32_e32 v3, 28, v2
	v_sub_nc_u32_e32 v2, 29, v2
	v_lshlrev_b64_e32 v[52:53], v3, v[18:19]
; %bb.2767:                             ;   in Loop: Header=BB370_1574 Depth=1
	s_or_b32 exec_lo, exec_lo, s19
	s_delay_alu instid0(VALU_DEP_1) | instskip(NEXT) | instid1(VALU_DEP_3)
	v_dual_lshlrev_b32 v3, 20, v52 :: v_dual_lshlrev_b32 v4, 24, v18
	v_lshl_add_u32 v2, v2, 23, 0x3c000000
	s_delay_alu instid0(VALU_DEP_2) | instskip(NEXT) | instid1(VALU_DEP_3)
	v_and_b32_e32 v3, 0x700000, v3
	v_and_b32_e32 v4, 0x80000000, v4
	s_delay_alu instid0(VALU_DEP_1)
	v_or3_b32 v10, v3, v4, v2
.LBB370_2768:                           ;   in Loop: Header=BB370_1574 Depth=1
	s_or_b32 exec_lo, exec_lo, s18
.LBB370_2769:                           ;   in Loop: Header=BB370_1574 Depth=1
	s_delay_alu instid0(SALU_CYCLE_1)
	s_or_b32 exec_lo, exec_lo, s17
.LBB370_2770:                           ;   in Loop: Header=BB370_1574 Depth=1
	s_delay_alu instid0(SALU_CYCLE_1) | instskip(SKIP_2) | instid1(VALU_DEP_1)
	s_or_b32 exec_lo, exec_lo, s16
	v_lshrrev_b16 v2, 8, v18
	s_mov_b32 s16, exec_lo
	v_cmpx_ne_u16_e32 0, v2
	s_cbranch_execz .LBB370_2778
; %bb.2771:                             ;   in Loop: Header=BB370_1574 Depth=1
	v_bfrev_b32_e32 v11, 1
	s_mov_b32 s17, exec_lo
	v_cmpx_ne_u16_e32 0x80, v2
	s_cbranch_execz .LBB370_2777
; %bb.2772:                             ;   in Loop: Header=BB370_1574 Depth=1
	v_and_b32_e32 v2, 0xffff, v2
	v_mov_b32_e32 v11, 0x7f800001
	s_mov_b32 s18, exec_lo
	s_delay_alu instid0(VALU_DEP_2) | instskip(NEXT) | instid1(VALU_DEP_1)
	v_and_b32_e32 v3, 0x7f, v2
	v_cmpx_ne_u32_e32 0x7f, v3
	s_cbranch_execz .LBB370_2776
; %bb.2773:                             ;   in Loop: Header=BB370_1574 Depth=1
	v_dual_lshrrev_b32 v2, 3, v3 :: v_dual_bitop2_b32 v22, 7, v2 bitop3:0x40
	s_mov_b32 s19, exec_lo
	s_delay_alu instid0(VALU_DEP_1)
	v_mov_b64_e32 v[52:53], v[22:23]
	v_cmpx_gt_u32_e32 8, v3
; %bb.2774:                             ;   in Loop: Header=BB370_1574 Depth=1
	v_clz_i32_u32_e32 v2, v22
	s_delay_alu instid0(VALU_DEP_1) | instskip(NEXT) | instid1(VALU_DEP_1)
	v_min_u32_e32 v2, 32, v2
	v_subrev_nc_u32_e32 v3, 28, v2
	s_delay_alu instid0(VALU_DEP_1) | instskip(NEXT) | instid1(VALU_DEP_1)
	v_lshlrev_b64_e32 v[4:5], v3, v[22:23]
	v_dual_sub_nc_u32 v2, 29, v2 :: v_dual_bitop2_b32 v52, 7, v4 bitop3:0x40
; %bb.2775:                             ;   in Loop: Header=BB370_1574 Depth=1
	s_or_b32 exec_lo, exec_lo, s19
	s_delay_alu instid0(VALU_DEP_1) | instskip(NEXT) | instid1(VALU_DEP_2)
	v_dual_lshlrev_b32 v3, 16, v18 :: v_dual_lshlrev_b32 v4, 20, v52
	v_lshl_add_u32 v2, v2, 23, 0x3c000000
	s_delay_alu instid0(VALU_DEP_2) | instskip(NEXT) | instid1(VALU_DEP_1)
	v_and_b32_e32 v3, 0x80000000, v3
	v_or3_b32 v11, v4, v3, v2
.LBB370_2776:                           ;   in Loop: Header=BB370_1574 Depth=1
	s_or_b32 exec_lo, exec_lo, s18
.LBB370_2777:                           ;   in Loop: Header=BB370_1574 Depth=1
	s_delay_alu instid0(SALU_CYCLE_1)
	s_or_b32 exec_lo, exec_lo, s17
.LBB370_2778:                           ;   in Loop: Header=BB370_1574 Depth=1
	s_delay_alu instid0(SALU_CYCLE_1) | instskip(SKIP_3) | instid1(VALU_DEP_2)
	s_or_b32 exec_lo, exec_lo, s16
	v_dual_mov_b32 v49, 0 :: v_dual_lshrrev_b32 v2, 16, v18
	v_mov_b32_e32 v48, 0
	s_mov_b32 s16, exec_lo
	v_and_b32_e32 v3, 0xff, v2
	s_delay_alu instid0(VALU_DEP_1)
	v_cmpx_ne_u16_e32 0, v3
	s_cbranch_execz .LBB370_2786
; %bb.2779:                             ;   in Loop: Header=BB370_1574 Depth=1
	v_bfrev_b32_e32 v48, 1
	s_mov_b32 s17, exec_lo
	v_cmpx_ne_u16_e32 0x80, v3
	s_cbranch_execz .LBB370_2785
; %bb.2780:                             ;   in Loop: Header=BB370_1574 Depth=1
	v_bfe_u32 v4, v18, 16, 7
	v_mov_b32_e32 v48, 0x7f800001
	s_mov_b32 s18, exec_lo
	s_delay_alu instid0(VALU_DEP_2)
	v_cmpx_ne_u32_e32 0x7f, v4
	s_cbranch_execz .LBB370_2784
; %bb.2781:                             ;   in Loop: Header=BB370_1574 Depth=1
	v_dual_lshrrev_b32 v3, 3, v4 :: v_dual_bitop2_b32 v22, 7, v2 bitop3:0x40
	s_mov_b32 s19, exec_lo
	s_delay_alu instid0(VALU_DEP_1)
	v_mov_b64_e32 v[52:53], v[22:23]
	v_cmpx_gt_u32_e32 8, v4
; %bb.2782:                             ;   in Loop: Header=BB370_1574 Depth=1
	v_clz_i32_u32_e32 v3, v22
	s_delay_alu instid0(VALU_DEP_1) | instskip(NEXT) | instid1(VALU_DEP_1)
	v_min_u32_e32 v3, 32, v3
	v_subrev_nc_u32_e32 v4, 28, v3
	s_delay_alu instid0(VALU_DEP_1) | instskip(NEXT) | instid1(VALU_DEP_1)
	v_lshlrev_b64_e32 v[4:5], v4, v[22:23]
	v_dual_sub_nc_u32 v3, 29, v3 :: v_dual_bitop2_b32 v52, 7, v4 bitop3:0x40
; %bb.2783:                             ;   in Loop: Header=BB370_1574 Depth=1
	s_or_b32 exec_lo, exec_lo, s19
	s_delay_alu instid0(VALU_DEP_1) | instskip(NEXT) | instid1(VALU_DEP_2)
	v_dual_lshlrev_b32 v2, 24, v2 :: v_dual_lshlrev_b32 v4, 20, v52
	v_lshl_add_u32 v3, v3, 23, 0x3c000000
	s_delay_alu instid0(VALU_DEP_2) | instskip(NEXT) | instid1(VALU_DEP_1)
	v_and_b32_e32 v2, 0x80000000, v2
	v_or3_b32 v48, v4, v2, v3
.LBB370_2784:                           ;   in Loop: Header=BB370_1574 Depth=1
	s_or_b32 exec_lo, exec_lo, s18
.LBB370_2785:                           ;   in Loop: Header=BB370_1574 Depth=1
	s_delay_alu instid0(SALU_CYCLE_1)
	s_or_b32 exec_lo, exec_lo, s17
.LBB370_2786:                           ;   in Loop: Header=BB370_1574 Depth=1
	s_delay_alu instid0(SALU_CYCLE_1) | instskip(NEXT) | instid1(SALU_CYCLE_1)
	s_or_b32 exec_lo, exec_lo, s16
	s_mov_b32 s16, exec_lo
	v_cmpx_lt_u32_e32 0xffffff, v18
	s_cbranch_execz .LBB370_2794
; %bb.2787:                             ;   in Loop: Header=BB370_1574 Depth=1
	v_lshrrev_b32_e32 v2, 24, v18
	v_bfrev_b32_e32 v49, 1
	s_mov_b32 s17, exec_lo
	s_delay_alu instid0(VALU_DEP_2)
	v_cmpx_ne_u32_e32 0x80, v2
	s_cbranch_execz .LBB370_2793
; %bb.2788:                             ;   in Loop: Header=BB370_1574 Depth=1
	v_bfe_u32 v4, v18, 24, 7
	v_mov_b32_e32 v49, 0x7f800001
	s_mov_b32 s18, exec_lo
	s_delay_alu instid0(VALU_DEP_2)
	v_cmpx_ne_u32_e32 0x7f, v4
	s_cbranch_execz .LBB370_2792
; %bb.2789:                             ;   in Loop: Header=BB370_1574 Depth=1
	v_dual_lshrrev_b32 v3, 3, v4 :: v_dual_bitop2_b32 v22, 7, v2 bitop3:0x40
	s_mov_b32 s19, exec_lo
	s_delay_alu instid0(VALU_DEP_1)
	v_mov_b64_e32 v[52:53], v[22:23]
	v_cmpx_gt_u32_e32 8, v4
; %bb.2790:                             ;   in Loop: Header=BB370_1574 Depth=1
	v_clz_i32_u32_e32 v3, v22
	s_delay_alu instid0(VALU_DEP_1) | instskip(NEXT) | instid1(VALU_DEP_1)
	v_min_u32_e32 v3, 32, v3
	v_subrev_nc_u32_e32 v4, 28, v3
	s_delay_alu instid0(VALU_DEP_1) | instskip(NEXT) | instid1(VALU_DEP_1)
	v_lshlrev_b64_e32 v[4:5], v4, v[22:23]
	v_dual_sub_nc_u32 v3, 29, v3 :: v_dual_bitop2_b32 v52, 7, v4 bitop3:0x40
; %bb.2791:                             ;   in Loop: Header=BB370_1574 Depth=1
	s_or_b32 exec_lo, exec_lo, s19
	s_delay_alu instid0(VALU_DEP_1) | instskip(NEXT) | instid1(VALU_DEP_2)
	v_dual_lshlrev_b32 v2, 24, v2 :: v_dual_lshlrev_b32 v4, 20, v52
	v_lshl_add_u32 v3, v3, 23, 0x3c000000
	s_delay_alu instid0(VALU_DEP_2) | instskip(NEXT) | instid1(VALU_DEP_1)
	v_and_b32_e32 v2, 0x80000000, v2
	v_or3_b32 v49, v4, v2, v3
.LBB370_2792:                           ;   in Loop: Header=BB370_1574 Depth=1
	s_or_b32 exec_lo, exec_lo, s18
.LBB370_2793:                           ;   in Loop: Header=BB370_1574 Depth=1
	s_delay_alu instid0(SALU_CYCLE_1)
	s_or_b32 exec_lo, exec_lo, s17
.LBB370_2794:                           ;   in Loop: Header=BB370_1574 Depth=1
	s_delay_alu instid0(SALU_CYCLE_1) | instskip(SKIP_4) | instid1(VALU_DEP_3)
	s_or_b32 exec_lo, exec_lo, s16
	v_and_b32_e32 v3, 0xff, v19
	v_dual_mov_b32 v22, v19 :: v_dual_mov_b32 v2, 0
	v_mov_b32_e32 v51, 0
	s_mov_b32 s16, exec_lo
	v_cmpx_ne_u16_e32 0, v3
	s_cbranch_execz .LBB370_2802
; %bb.2795:                             ;   in Loop: Header=BB370_1574 Depth=1
	v_bfrev_b32_e32 v51, 1
	s_mov_b32 s17, exec_lo
	v_cmpx_ne_u16_e32 0x80, v3
	s_cbranch_execz .LBB370_2801
; %bb.2796:                             ;   in Loop: Header=BB370_1574 Depth=1
	v_and_b32_e32 v4, 0x7f, v19
	v_mov_b32_e32 v51, 0x7f800001
	s_mov_b32 s18, exec_lo
	s_delay_alu instid0(VALU_DEP_2)
	v_cmpx_ne_u32_e32 0x7f, v4
	s_cbranch_execz .LBB370_2800
; %bb.2797:                             ;   in Loop: Header=BB370_1574 Depth=1
	v_mov_b64_e32 v[52:53], v[22:23]
	v_lshrrev_b32_e32 v3, 3, v4
	s_mov_b32 s19, exec_lo
	v_cmpx_gt_u32_e32 8, v4
; %bb.2798:                             ;   in Loop: Header=BB370_1574 Depth=1
	v_and_b32_e32 v3, 7, v19
	s_delay_alu instid0(VALU_DEP_1) | instskip(NEXT) | instid1(VALU_DEP_1)
	v_clz_i32_u32_e32 v3, v3
	v_min_u32_e32 v3, 32, v3
	s_delay_alu instid0(VALU_DEP_1) | instskip(SKIP_1) | instid1(VALU_DEP_2)
	v_subrev_nc_u32_e32 v4, 28, v3
	v_sub_nc_u32_e32 v3, 29, v3
	v_lshlrev_b64_e32 v[52:53], v4, v[22:23]
; %bb.2799:                             ;   in Loop: Header=BB370_1574 Depth=1
	s_or_b32 exec_lo, exec_lo, s19
	s_delay_alu instid0(VALU_DEP_1) | instskip(NEXT) | instid1(VALU_DEP_3)
	v_dual_lshlrev_b32 v4, 20, v52 :: v_dual_lshlrev_b32 v5, 24, v22
	v_lshl_add_u32 v3, v3, 23, 0x3c000000
	s_delay_alu instid0(VALU_DEP_2) | instskip(NEXT) | instid1(VALU_DEP_3)
	v_and_b32_e32 v4, 0x700000, v4
	v_and_b32_e32 v5, 0x80000000, v5
	s_delay_alu instid0(VALU_DEP_1)
	v_or3_b32 v51, v4, v5, v3
.LBB370_2800:                           ;   in Loop: Header=BB370_1574 Depth=1
	s_or_b32 exec_lo, exec_lo, s18
.LBB370_2801:                           ;   in Loop: Header=BB370_1574 Depth=1
	s_delay_alu instid0(SALU_CYCLE_1)
	s_or_b32 exec_lo, exec_lo, s17
.LBB370_2802:                           ;   in Loop: Header=BB370_1574 Depth=1
	s_delay_alu instid0(SALU_CYCLE_1) | instskip(SKIP_2) | instid1(VALU_DEP_1)
	s_or_b32 exec_lo, exec_lo, s16
	v_lshrrev_b16 v3, 8, v22
	s_mov_b32 s16, exec_lo
	v_cmpx_ne_u16_e32 0, v3
	s_cbranch_execz .LBB370_2810
; %bb.2803:                             ;   in Loop: Header=BB370_1574 Depth=1
	v_bfrev_b32_e32 v2, 1
	s_mov_b32 s17, exec_lo
	v_cmpx_ne_u16_e32 0x80, v3
	s_cbranch_execz .LBB370_2809
; %bb.2804:                             ;   in Loop: Header=BB370_1574 Depth=1
	v_and_b32_e32 v4, 0xffff, v3
	v_mov_b32_e32 v2, 0x7f800001
	s_mov_b32 s18, exec_lo
	s_delay_alu instid0(VALU_DEP_2) | instskip(NEXT) | instid1(VALU_DEP_1)
	v_and_b32_e32 v3, 0x7f, v4
	v_cmpx_ne_u32_e32 0x7f, v3
	s_cbranch_execz .LBB370_2808
; %bb.2805:                             ;   in Loop: Header=BB370_1574 Depth=1
	v_dual_mov_b32 v53, v23 :: v_dual_bitop2_b32 v52, 7, v4 bitop3:0x40
	v_lshrrev_b32_e32 v2, 3, v3
	s_mov_b32 s19, exec_lo
	v_cmpx_gt_u32_e32 8, v3
; %bb.2806:                             ;   in Loop: Header=BB370_1574 Depth=1
	s_delay_alu instid0(VALU_DEP_3) | instskip(NEXT) | instid1(VALU_DEP_1)
	v_clz_i32_u32_e32 v2, v52
	v_min_u32_e32 v2, 32, v2
	s_delay_alu instid0(VALU_DEP_1) | instskip(NEXT) | instid1(VALU_DEP_1)
	v_subrev_nc_u32_e32 v3, 28, v2
	v_lshlrev_b64_e32 v[4:5], v3, v[52:53]
	s_delay_alu instid0(VALU_DEP_1)
	v_dual_sub_nc_u32 v2, 29, v2 :: v_dual_bitop2_b32 v52, 7, v4 bitop3:0x40
; %bb.2807:                             ;   in Loop: Header=BB370_1574 Depth=1
	s_or_b32 exec_lo, exec_lo, s19
	s_delay_alu instid0(VALU_DEP_1) | instskip(NEXT) | instid1(VALU_DEP_2)
	v_dual_lshlrev_b32 v3, 16, v22 :: v_dual_lshlrev_b32 v4, 20, v52
	v_lshl_add_u32 v2, v2, 23, 0x3c000000
	s_delay_alu instid0(VALU_DEP_2) | instskip(NEXT) | instid1(VALU_DEP_1)
	v_and_b32_e32 v3, 0x80000000, v3
	v_or3_b32 v2, v4, v3, v2
.LBB370_2808:                           ;   in Loop: Header=BB370_1574 Depth=1
	s_or_b32 exec_lo, exec_lo, s18
.LBB370_2809:                           ;   in Loop: Header=BB370_1574 Depth=1
	s_delay_alu instid0(SALU_CYCLE_1)
	s_or_b32 exec_lo, exec_lo, s17
.LBB370_2810:                           ;   in Loop: Header=BB370_1574 Depth=1
	s_delay_alu instid0(SALU_CYCLE_1) | instskip(SKIP_3) | instid1(VALU_DEP_2)
	s_or_b32 exec_lo, exec_lo, s16
	v_dual_mov_b32 v3, 0 :: v_dual_lshrrev_b32 v54, 16, v19
	v_mov_b32_e32 v4, 0
	s_mov_b32 s16, exec_lo
	v_and_b32_e32 v5, 0xff, v54
	s_delay_alu instid0(VALU_DEP_1)
	v_cmpx_ne_u16_e32 0, v5
	s_cbranch_execz .LBB370_2818
; %bb.2811:                             ;   in Loop: Header=BB370_1574 Depth=1
	v_bfrev_b32_e32 v4, 1
	s_mov_b32 s17, exec_lo
	v_cmpx_ne_u16_e32 0x80, v5
	s_cbranch_execz .LBB370_2817
; %bb.2812:                             ;   in Loop: Header=BB370_1574 Depth=1
	v_bfe_u32 v5, v19, 16, 7
	v_mov_b32_e32 v4, 0x7f800001
	s_mov_b32 s18, exec_lo
	s_delay_alu instid0(VALU_DEP_2)
	v_cmpx_ne_u32_e32 0x7f, v5
	s_cbranch_execz .LBB370_2816
; %bb.2813:                             ;   in Loop: Header=BB370_1574 Depth=1
	v_dual_lshrrev_b32 v4, 3, v5 :: v_dual_bitop2_b32 v22, 7, v54 bitop3:0x40
	s_mov_b32 s19, exec_lo
	s_delay_alu instid0(VALU_DEP_1)
	v_mov_b64_e32 v[52:53], v[22:23]
	v_cmpx_gt_u32_e32 8, v5
; %bb.2814:                             ;   in Loop: Header=BB370_1574 Depth=1
	v_clz_i32_u32_e32 v4, v22
	s_delay_alu instid0(VALU_DEP_1) | instskip(NEXT) | instid1(VALU_DEP_1)
	v_min_u32_e32 v4, 32, v4
	v_subrev_nc_u32_e32 v5, 28, v4
	v_sub_nc_u32_e32 v4, 29, v4
	s_delay_alu instid0(VALU_DEP_2) | instskip(NEXT) | instid1(VALU_DEP_1)
	v_lshlrev_b64_e32 v[52:53], v5, v[22:23]
	v_and_b32_e32 v52, 7, v52
; %bb.2815:                             ;   in Loop: Header=BB370_1574 Depth=1
	s_or_b32 exec_lo, exec_lo, s19
	s_delay_alu instid0(VALU_DEP_1) | instskip(SKIP_1) | instid1(VALU_DEP_2)
	v_dual_lshlrev_b32 v5, 24, v54 :: v_dual_lshlrev_b32 v6, 20, v52
	v_lshl_add_u32 v4, v4, 23, 0x3c000000
	v_and_b32_e32 v5, 0x80000000, v5
	s_delay_alu instid0(VALU_DEP_1)
	v_or3_b32 v4, v6, v5, v4
.LBB370_2816:                           ;   in Loop: Header=BB370_1574 Depth=1
	s_or_b32 exec_lo, exec_lo, s18
.LBB370_2817:                           ;   in Loop: Header=BB370_1574 Depth=1
	s_delay_alu instid0(SALU_CYCLE_1)
	s_or_b32 exec_lo, exec_lo, s17
.LBB370_2818:                           ;   in Loop: Header=BB370_1574 Depth=1
	s_delay_alu instid0(SALU_CYCLE_1) | instskip(NEXT) | instid1(SALU_CYCLE_1)
	s_or_b32 exec_lo, exec_lo, s16
	s_mov_b32 s16, exec_lo
	v_cmpx_lt_u64_e64 s[2:3], v[18:19]
	s_cbranch_execz .LBB370_2826
; %bb.2819:                             ;   in Loop: Header=BB370_1574 Depth=1
	v_lshrrev_b32_e32 v5, 24, v19
	v_bfrev_b32_e32 v3, 1
	s_mov_b32 s17, exec_lo
	s_delay_alu instid0(VALU_DEP_2)
	v_cmpx_ne_u32_e32 0x80, v5
	s_cbranch_execz .LBB370_2825
; %bb.2820:                             ;   in Loop: Header=BB370_1574 Depth=1
	v_bfe_u32 v52, v19, 24, 7
	v_mov_b32_e32 v3, 0x7f800001
	s_mov_b32 s18, exec_lo
	s_delay_alu instid0(VALU_DEP_2)
	v_cmpx_ne_u32_e32 0x7f, v52
	s_cbranch_execz .LBB370_2824
; %bb.2821:                             ;   in Loop: Header=BB370_1574 Depth=1
	v_dual_lshrrev_b32 v3, 3, v52 :: v_dual_bitop2_b32 v22, 7, v5 bitop3:0x40
	s_mov_b32 s19, exec_lo
	s_delay_alu instid0(VALU_DEP_1)
	v_mov_b64_e32 v[18:19], v[22:23]
	v_cmpx_gt_u32_e32 8, v52
; %bb.2822:                             ;   in Loop: Header=BB370_1574 Depth=1
	v_clz_i32_u32_e32 v3, v22
	s_delay_alu instid0(VALU_DEP_1) | instskip(NEXT) | instid1(VALU_DEP_1)
	v_min_u32_e32 v3, 32, v3
	v_subrev_nc_u32_e32 v6, 28, v3
	s_delay_alu instid0(VALU_DEP_1) | instskip(NEXT) | instid1(VALU_DEP_1)
	v_lshlrev_b64_e32 v[18:19], v6, v[22:23]
	v_dual_sub_nc_u32 v3, 29, v3 :: v_dual_bitop2_b32 v18, 7, v18 bitop3:0x40
; %bb.2823:                             ;   in Loop: Header=BB370_1574 Depth=1
	s_or_b32 exec_lo, exec_lo, s19
	s_delay_alu instid0(VALU_DEP_1) | instskip(NEXT) | instid1(VALU_DEP_2)
	v_dual_lshlrev_b32 v5, 24, v5 :: v_dual_lshlrev_b32 v6, 20, v18
	v_lshl_add_u32 v3, v3, 23, 0x3c000000
	s_delay_alu instid0(VALU_DEP_2) | instskip(NEXT) | instid1(VALU_DEP_1)
	v_and_b32_e32 v5, 0x80000000, v5
	v_or3_b32 v3, v6, v5, v3
.LBB370_2824:                           ;   in Loop: Header=BB370_1574 Depth=1
	s_or_b32 exec_lo, exec_lo, s18
.LBB370_2825:                           ;   in Loop: Header=BB370_1574 Depth=1
	s_delay_alu instid0(SALU_CYCLE_1)
	s_or_b32 exec_lo, exec_lo, s17
.LBB370_2826:                           ;   in Loop: Header=BB370_1574 Depth=1
	s_delay_alu instid0(SALU_CYCLE_1)
	s_or_b32 exec_lo, exec_lo, s16
	v_fma_mixlo_bf16 v109, v64, v2, 0
	v_fma_mixlo_bf16 v110, v64, v51, 0
	v_fma_mixlo_bf16 v120, v64, v49, 0
	v_fma_mixlo_bf16 v122, v64, v48, 0
	v_fma_mixlo_bf16 v123, v64, v11, 0
	v_fma_mixlo_bf16 v124, v64, v10, 0
	v_fma_mixlo_bf16 v111, v64, v4, 0
	v_fma_mixlo_bf16 v121, v64, v3, 0
	s_and_saveexec_b32 s16, vcc_lo
	s_cbranch_execz .LBB370_2828
; %bb.2827:                             ;   in Loop: Header=BB370_1574 Depth=1
	v_cmp_lt_i32_e64 s0, v113, v88
	s_delay_alu instid0(VALU_DEP_1) | instskip(SKIP_1) | instid1(VALU_DEP_1)
	v_cndmask_b32_e64 v124, 0, v124, s0
	v_cmp_lt_i32_e64 s0, v56, v88
	v_cndmask_b32_e64 v123, 0, v123, s0
	v_cmp_lt_i32_e64 s0, v47, v88
	s_delay_alu instid0(VALU_DEP_1) | instskip(SKIP_1) | instid1(VALU_DEP_1)
	v_cndmask_b32_e64 v122, 0, v122, s0
	v_cmp_lt_i32_e64 s0, v46, v88
	v_cndmask_b32_e64 v120, 0, v120, s0
	;; [unrolled: 5-line block ×4, first 2 shown]
.LBB370_2828:                           ;   in Loop: Header=BB370_1574 Depth=1
	s_or_b32 exec_lo, exec_lo, s16
	flat_load_b64 v[18:19], v[0:1] offset:4864
	v_dual_mov_b32 v48, 0 :: v_dual_mov_b32 v11, 0
	s_mov_b32 s16, exec_lo
	s_wait_loadcnt_dscnt 0x0
	v_and_b32_e32 v2, 0xff, v18
	s_wait_xcnt 0x0
	s_delay_alu instid0(VALU_DEP_1)
	v_cmpx_ne_u16_e32 0, v2
	s_cbranch_execz .LBB370_2836
; %bb.2829:                             ;   in Loop: Header=BB370_1574 Depth=1
	v_bfrev_b32_e32 v11, 1
	s_mov_b32 s17, exec_lo
	v_cmpx_ne_u16_e32 0x80, v2
	s_cbranch_execz .LBB370_2835
; %bb.2830:                             ;   in Loop: Header=BB370_1574 Depth=1
	v_and_b32_e32 v3, 0x7f, v18
	v_mov_b32_e32 v11, 0x7f800001
	s_mov_b32 s18, exec_lo
	s_delay_alu instid0(VALU_DEP_2)
	v_cmpx_ne_u32_e32 0x7f, v3
	s_cbranch_execz .LBB370_2834
; %bb.2831:                             ;   in Loop: Header=BB370_1574 Depth=1
	v_mov_b64_e32 v[52:53], v[18:19]
	v_lshrrev_b32_e32 v2, 3, v3
	s_mov_b32 s19, exec_lo
	v_cmpx_gt_u32_e32 8, v3
; %bb.2832:                             ;   in Loop: Header=BB370_1574 Depth=1
	v_and_b32_e32 v2, 7, v18
	s_delay_alu instid0(VALU_DEP_1) | instskip(NEXT) | instid1(VALU_DEP_1)
	v_clz_i32_u32_e32 v2, v2
	v_min_u32_e32 v2, 32, v2
	s_delay_alu instid0(VALU_DEP_1) | instskip(SKIP_1) | instid1(VALU_DEP_2)
	v_subrev_nc_u32_e32 v3, 28, v2
	v_sub_nc_u32_e32 v2, 29, v2
	v_lshlrev_b64_e32 v[52:53], v3, v[18:19]
; %bb.2833:                             ;   in Loop: Header=BB370_1574 Depth=1
	s_or_b32 exec_lo, exec_lo, s19
	s_delay_alu instid0(VALU_DEP_1) | instskip(NEXT) | instid1(VALU_DEP_3)
	v_dual_lshlrev_b32 v3, 20, v52 :: v_dual_lshlrev_b32 v4, 24, v18
	v_lshl_add_u32 v2, v2, 23, 0x3c000000
	s_delay_alu instid0(VALU_DEP_2) | instskip(NEXT) | instid1(VALU_DEP_3)
	v_and_b32_e32 v3, 0x700000, v3
	v_and_b32_e32 v4, 0x80000000, v4
	s_delay_alu instid0(VALU_DEP_1)
	v_or3_b32 v11, v3, v4, v2
.LBB370_2834:                           ;   in Loop: Header=BB370_1574 Depth=1
	s_or_b32 exec_lo, exec_lo, s18
.LBB370_2835:                           ;   in Loop: Header=BB370_1574 Depth=1
	s_delay_alu instid0(SALU_CYCLE_1)
	s_or_b32 exec_lo, exec_lo, s17
.LBB370_2836:                           ;   in Loop: Header=BB370_1574 Depth=1
	s_delay_alu instid0(SALU_CYCLE_1) | instskip(SKIP_2) | instid1(VALU_DEP_1)
	s_or_b32 exec_lo, exec_lo, s16
	v_lshrrev_b16 v2, 8, v18
	s_mov_b32 s16, exec_lo
	v_cmpx_ne_u16_e32 0, v2
	s_cbranch_execz .LBB370_2844
; %bb.2837:                             ;   in Loop: Header=BB370_1574 Depth=1
	v_bfrev_b32_e32 v48, 1
	s_mov_b32 s17, exec_lo
	v_cmpx_ne_u16_e32 0x80, v2
	s_cbranch_execz .LBB370_2843
; %bb.2838:                             ;   in Loop: Header=BB370_1574 Depth=1
	v_and_b32_e32 v2, 0xffff, v2
	v_mov_b32_e32 v48, 0x7f800001
	s_mov_b32 s18, exec_lo
	s_delay_alu instid0(VALU_DEP_2) | instskip(NEXT) | instid1(VALU_DEP_1)
	v_and_b32_e32 v3, 0x7f, v2
	v_cmpx_ne_u32_e32 0x7f, v3
	s_cbranch_execz .LBB370_2842
; %bb.2839:                             ;   in Loop: Header=BB370_1574 Depth=1
	v_dual_lshrrev_b32 v2, 3, v3 :: v_dual_bitop2_b32 v22, 7, v2 bitop3:0x40
	s_mov_b32 s19, exec_lo
	s_delay_alu instid0(VALU_DEP_1)
	v_mov_b64_e32 v[52:53], v[22:23]
	v_cmpx_gt_u32_e32 8, v3
; %bb.2840:                             ;   in Loop: Header=BB370_1574 Depth=1
	v_clz_i32_u32_e32 v2, v22
	s_delay_alu instid0(VALU_DEP_1) | instskip(NEXT) | instid1(VALU_DEP_1)
	v_min_u32_e32 v2, 32, v2
	v_subrev_nc_u32_e32 v3, 28, v2
	s_delay_alu instid0(VALU_DEP_1) | instskip(NEXT) | instid1(VALU_DEP_1)
	v_lshlrev_b64_e32 v[4:5], v3, v[22:23]
	v_dual_sub_nc_u32 v2, 29, v2 :: v_dual_bitop2_b32 v52, 7, v4 bitop3:0x40
; %bb.2841:                             ;   in Loop: Header=BB370_1574 Depth=1
	s_or_b32 exec_lo, exec_lo, s19
	s_delay_alu instid0(VALU_DEP_1) | instskip(NEXT) | instid1(VALU_DEP_2)
	v_dual_lshlrev_b32 v3, 16, v18 :: v_dual_lshlrev_b32 v4, 20, v52
	v_lshl_add_u32 v2, v2, 23, 0x3c000000
	s_delay_alu instid0(VALU_DEP_2) | instskip(NEXT) | instid1(VALU_DEP_1)
	v_and_b32_e32 v3, 0x80000000, v3
	v_or3_b32 v48, v4, v3, v2
.LBB370_2842:                           ;   in Loop: Header=BB370_1574 Depth=1
	s_or_b32 exec_lo, exec_lo, s18
.LBB370_2843:                           ;   in Loop: Header=BB370_1574 Depth=1
	s_delay_alu instid0(SALU_CYCLE_1)
	s_or_b32 exec_lo, exec_lo, s17
.LBB370_2844:                           ;   in Loop: Header=BB370_1574 Depth=1
	s_delay_alu instid0(SALU_CYCLE_1) | instskip(SKIP_3) | instid1(VALU_DEP_2)
	s_or_b32 exec_lo, exec_lo, s16
	v_dual_lshrrev_b32 v2, 16, v18 :: v_dual_mov_b32 v10, 0
	v_mov_b32_e32 v49, 0
	s_mov_b32 s16, exec_lo
	v_and_b32_e32 v3, 0xff, v2
	s_delay_alu instid0(VALU_DEP_1)
	v_cmpx_ne_u16_e32 0, v3
	s_cbranch_execz .LBB370_2852
; %bb.2845:                             ;   in Loop: Header=BB370_1574 Depth=1
	v_bfrev_b32_e32 v49, 1
	s_mov_b32 s17, exec_lo
	v_cmpx_ne_u16_e32 0x80, v3
	s_cbranch_execz .LBB370_2851
; %bb.2846:                             ;   in Loop: Header=BB370_1574 Depth=1
	v_bfe_u32 v4, v18, 16, 7
	v_mov_b32_e32 v49, 0x7f800001
	s_mov_b32 s18, exec_lo
	s_delay_alu instid0(VALU_DEP_2)
	v_cmpx_ne_u32_e32 0x7f, v4
	s_cbranch_execz .LBB370_2850
; %bb.2847:                             ;   in Loop: Header=BB370_1574 Depth=1
	v_dual_lshrrev_b32 v3, 3, v4 :: v_dual_bitop2_b32 v22, 7, v2 bitop3:0x40
	s_mov_b32 s19, exec_lo
	s_delay_alu instid0(VALU_DEP_1)
	v_mov_b64_e32 v[52:53], v[22:23]
	v_cmpx_gt_u32_e32 8, v4
; %bb.2848:                             ;   in Loop: Header=BB370_1574 Depth=1
	v_clz_i32_u32_e32 v3, v22
	s_delay_alu instid0(VALU_DEP_1) | instskip(NEXT) | instid1(VALU_DEP_1)
	v_min_u32_e32 v3, 32, v3
	v_subrev_nc_u32_e32 v4, 28, v3
	s_delay_alu instid0(VALU_DEP_1) | instskip(NEXT) | instid1(VALU_DEP_1)
	v_lshlrev_b64_e32 v[4:5], v4, v[22:23]
	v_dual_sub_nc_u32 v3, 29, v3 :: v_dual_bitop2_b32 v52, 7, v4 bitop3:0x40
; %bb.2849:                             ;   in Loop: Header=BB370_1574 Depth=1
	s_or_b32 exec_lo, exec_lo, s19
	s_delay_alu instid0(VALU_DEP_1) | instskip(NEXT) | instid1(VALU_DEP_2)
	v_dual_lshlrev_b32 v2, 24, v2 :: v_dual_lshlrev_b32 v4, 20, v52
	v_lshl_add_u32 v3, v3, 23, 0x3c000000
	s_delay_alu instid0(VALU_DEP_2) | instskip(NEXT) | instid1(VALU_DEP_1)
	v_and_b32_e32 v2, 0x80000000, v2
	v_or3_b32 v49, v4, v2, v3
.LBB370_2850:                           ;   in Loop: Header=BB370_1574 Depth=1
	s_or_b32 exec_lo, exec_lo, s18
.LBB370_2851:                           ;   in Loop: Header=BB370_1574 Depth=1
	s_delay_alu instid0(SALU_CYCLE_1)
	s_or_b32 exec_lo, exec_lo, s17
.LBB370_2852:                           ;   in Loop: Header=BB370_1574 Depth=1
	s_delay_alu instid0(SALU_CYCLE_1) | instskip(NEXT) | instid1(SALU_CYCLE_1)
	s_or_b32 exec_lo, exec_lo, s16
	s_mov_b32 s16, exec_lo
	v_cmpx_lt_u32_e32 0xffffff, v18
	s_cbranch_execz .LBB370_2860
; %bb.2853:                             ;   in Loop: Header=BB370_1574 Depth=1
	v_lshrrev_b32_e32 v2, 24, v18
	v_bfrev_b32_e32 v10, 1
	s_mov_b32 s17, exec_lo
	s_delay_alu instid0(VALU_DEP_2)
	v_cmpx_ne_u32_e32 0x80, v2
	s_cbranch_execz .LBB370_2859
; %bb.2854:                             ;   in Loop: Header=BB370_1574 Depth=1
	v_bfe_u32 v4, v18, 24, 7
	v_mov_b32_e32 v10, 0x7f800001
	s_mov_b32 s18, exec_lo
	s_delay_alu instid0(VALU_DEP_2)
	v_cmpx_ne_u32_e32 0x7f, v4
	s_cbranch_execz .LBB370_2858
; %bb.2855:                             ;   in Loop: Header=BB370_1574 Depth=1
	v_dual_lshrrev_b32 v3, 3, v4 :: v_dual_bitop2_b32 v22, 7, v2 bitop3:0x40
	s_mov_b32 s19, exec_lo
	s_delay_alu instid0(VALU_DEP_1)
	v_mov_b64_e32 v[52:53], v[22:23]
	v_cmpx_gt_u32_e32 8, v4
; %bb.2856:                             ;   in Loop: Header=BB370_1574 Depth=1
	v_clz_i32_u32_e32 v3, v22
	s_delay_alu instid0(VALU_DEP_1) | instskip(NEXT) | instid1(VALU_DEP_1)
	v_min_u32_e32 v3, 32, v3
	v_subrev_nc_u32_e32 v4, 28, v3
	s_delay_alu instid0(VALU_DEP_1) | instskip(NEXT) | instid1(VALU_DEP_1)
	v_lshlrev_b64_e32 v[4:5], v4, v[22:23]
	v_dual_sub_nc_u32 v3, 29, v3 :: v_dual_bitop2_b32 v52, 7, v4 bitop3:0x40
; %bb.2857:                             ;   in Loop: Header=BB370_1574 Depth=1
	s_or_b32 exec_lo, exec_lo, s19
	s_delay_alu instid0(VALU_DEP_1) | instskip(NEXT) | instid1(VALU_DEP_2)
	v_dual_lshlrev_b32 v2, 24, v2 :: v_dual_lshlrev_b32 v4, 20, v52
	v_lshl_add_u32 v3, v3, 23, 0x3c000000
	s_delay_alu instid0(VALU_DEP_2) | instskip(NEXT) | instid1(VALU_DEP_1)
	v_and_b32_e32 v2, 0x80000000, v2
	v_or3_b32 v10, v4, v2, v3
.LBB370_2858:                           ;   in Loop: Header=BB370_1574 Depth=1
	s_or_b32 exec_lo, exec_lo, s18
.LBB370_2859:                           ;   in Loop: Header=BB370_1574 Depth=1
	s_delay_alu instid0(SALU_CYCLE_1)
	s_or_b32 exec_lo, exec_lo, s17
.LBB370_2860:                           ;   in Loop: Header=BB370_1574 Depth=1
	s_delay_alu instid0(SALU_CYCLE_1) | instskip(SKIP_4) | instid1(VALU_DEP_3)
	s_or_b32 exec_lo, exec_lo, s16
	v_and_b32_e32 v3, 0xff, v19
	v_dual_mov_b32 v22, v19 :: v_dual_mov_b32 v2, 0
	v_mov_b32_e32 v51, 0
	s_mov_b32 s16, exec_lo
	v_cmpx_ne_u16_e32 0, v3
	s_cbranch_execz .LBB370_2868
; %bb.2861:                             ;   in Loop: Header=BB370_1574 Depth=1
	v_bfrev_b32_e32 v51, 1
	s_mov_b32 s17, exec_lo
	v_cmpx_ne_u16_e32 0x80, v3
	s_cbranch_execz .LBB370_2867
; %bb.2862:                             ;   in Loop: Header=BB370_1574 Depth=1
	v_and_b32_e32 v4, 0x7f, v19
	v_mov_b32_e32 v51, 0x7f800001
	s_mov_b32 s18, exec_lo
	s_delay_alu instid0(VALU_DEP_2)
	v_cmpx_ne_u32_e32 0x7f, v4
	s_cbranch_execz .LBB370_2866
; %bb.2863:                             ;   in Loop: Header=BB370_1574 Depth=1
	v_mov_b64_e32 v[52:53], v[22:23]
	v_lshrrev_b32_e32 v3, 3, v4
	s_mov_b32 s19, exec_lo
	v_cmpx_gt_u32_e32 8, v4
; %bb.2864:                             ;   in Loop: Header=BB370_1574 Depth=1
	v_and_b32_e32 v3, 7, v19
	s_delay_alu instid0(VALU_DEP_1) | instskip(NEXT) | instid1(VALU_DEP_1)
	v_clz_i32_u32_e32 v3, v3
	v_min_u32_e32 v3, 32, v3
	s_delay_alu instid0(VALU_DEP_1) | instskip(SKIP_1) | instid1(VALU_DEP_2)
	v_subrev_nc_u32_e32 v4, 28, v3
	v_sub_nc_u32_e32 v3, 29, v3
	v_lshlrev_b64_e32 v[52:53], v4, v[22:23]
; %bb.2865:                             ;   in Loop: Header=BB370_1574 Depth=1
	s_or_b32 exec_lo, exec_lo, s19
	s_delay_alu instid0(VALU_DEP_1) | instskip(NEXT) | instid1(VALU_DEP_3)
	v_dual_lshlrev_b32 v4, 20, v52 :: v_dual_lshlrev_b32 v5, 24, v22
	v_lshl_add_u32 v3, v3, 23, 0x3c000000
	s_delay_alu instid0(VALU_DEP_2) | instskip(NEXT) | instid1(VALU_DEP_3)
	v_and_b32_e32 v4, 0x700000, v4
	v_and_b32_e32 v5, 0x80000000, v5
	s_delay_alu instid0(VALU_DEP_1)
	v_or3_b32 v51, v4, v5, v3
.LBB370_2866:                           ;   in Loop: Header=BB370_1574 Depth=1
	s_or_b32 exec_lo, exec_lo, s18
.LBB370_2867:                           ;   in Loop: Header=BB370_1574 Depth=1
	s_delay_alu instid0(SALU_CYCLE_1)
	s_or_b32 exec_lo, exec_lo, s17
.LBB370_2868:                           ;   in Loop: Header=BB370_1574 Depth=1
	s_delay_alu instid0(SALU_CYCLE_1) | instskip(SKIP_2) | instid1(VALU_DEP_1)
	s_or_b32 exec_lo, exec_lo, s16
	v_lshrrev_b16 v3, 8, v22
	s_mov_b32 s16, exec_lo
	v_cmpx_ne_u16_e32 0, v3
	s_cbranch_execz .LBB370_2876
; %bb.2869:                             ;   in Loop: Header=BB370_1574 Depth=1
	v_bfrev_b32_e32 v2, 1
	s_mov_b32 s17, exec_lo
	v_cmpx_ne_u16_e32 0x80, v3
	s_cbranch_execz .LBB370_2875
; %bb.2870:                             ;   in Loop: Header=BB370_1574 Depth=1
	v_and_b32_e32 v4, 0xffff, v3
	v_mov_b32_e32 v2, 0x7f800001
	s_mov_b32 s18, exec_lo
	s_delay_alu instid0(VALU_DEP_2) | instskip(NEXT) | instid1(VALU_DEP_1)
	v_and_b32_e32 v3, 0x7f, v4
	v_cmpx_ne_u32_e32 0x7f, v3
	s_cbranch_execz .LBB370_2874
; %bb.2871:                             ;   in Loop: Header=BB370_1574 Depth=1
	v_dual_mov_b32 v53, v23 :: v_dual_bitop2_b32 v52, 7, v4 bitop3:0x40
	v_lshrrev_b32_e32 v2, 3, v3
	s_mov_b32 s19, exec_lo
	v_cmpx_gt_u32_e32 8, v3
; %bb.2872:                             ;   in Loop: Header=BB370_1574 Depth=1
	s_delay_alu instid0(VALU_DEP_3) | instskip(NEXT) | instid1(VALU_DEP_1)
	v_clz_i32_u32_e32 v2, v52
	v_min_u32_e32 v2, 32, v2
	s_delay_alu instid0(VALU_DEP_1) | instskip(NEXT) | instid1(VALU_DEP_1)
	v_subrev_nc_u32_e32 v3, 28, v2
	v_lshlrev_b64_e32 v[4:5], v3, v[52:53]
	s_delay_alu instid0(VALU_DEP_1)
	v_dual_sub_nc_u32 v2, 29, v2 :: v_dual_bitop2_b32 v52, 7, v4 bitop3:0x40
; %bb.2873:                             ;   in Loop: Header=BB370_1574 Depth=1
	s_or_b32 exec_lo, exec_lo, s19
	s_delay_alu instid0(VALU_DEP_1) | instskip(NEXT) | instid1(VALU_DEP_2)
	v_dual_lshlrev_b32 v3, 16, v22 :: v_dual_lshlrev_b32 v4, 20, v52
	v_lshl_add_u32 v2, v2, 23, 0x3c000000
	s_delay_alu instid0(VALU_DEP_2) | instskip(NEXT) | instid1(VALU_DEP_1)
	v_and_b32_e32 v3, 0x80000000, v3
	v_or3_b32 v2, v4, v3, v2
.LBB370_2874:                           ;   in Loop: Header=BB370_1574 Depth=1
	s_or_b32 exec_lo, exec_lo, s18
.LBB370_2875:                           ;   in Loop: Header=BB370_1574 Depth=1
	s_delay_alu instid0(SALU_CYCLE_1)
	s_or_b32 exec_lo, exec_lo, s17
.LBB370_2876:                           ;   in Loop: Header=BB370_1574 Depth=1
	s_delay_alu instid0(SALU_CYCLE_1) | instskip(SKIP_3) | instid1(VALU_DEP_2)
	s_or_b32 exec_lo, exec_lo, s16
	v_dual_mov_b32 v3, 0 :: v_dual_lshrrev_b32 v54, 16, v19
	v_mov_b32_e32 v4, 0
	s_mov_b32 s16, exec_lo
	v_and_b32_e32 v5, 0xff, v54
	s_delay_alu instid0(VALU_DEP_1)
	v_cmpx_ne_u16_e32 0, v5
	s_cbranch_execz .LBB370_2884
; %bb.2877:                             ;   in Loop: Header=BB370_1574 Depth=1
	v_bfrev_b32_e32 v4, 1
	s_mov_b32 s17, exec_lo
	v_cmpx_ne_u16_e32 0x80, v5
	s_cbranch_execz .LBB370_2883
; %bb.2878:                             ;   in Loop: Header=BB370_1574 Depth=1
	v_bfe_u32 v5, v19, 16, 7
	v_mov_b32_e32 v4, 0x7f800001
	s_mov_b32 s18, exec_lo
	s_delay_alu instid0(VALU_DEP_2)
	v_cmpx_ne_u32_e32 0x7f, v5
	s_cbranch_execz .LBB370_2882
; %bb.2879:                             ;   in Loop: Header=BB370_1574 Depth=1
	v_dual_lshrrev_b32 v4, 3, v5 :: v_dual_bitop2_b32 v22, 7, v54 bitop3:0x40
	s_mov_b32 s19, exec_lo
	s_delay_alu instid0(VALU_DEP_1)
	v_mov_b64_e32 v[52:53], v[22:23]
	v_cmpx_gt_u32_e32 8, v5
; %bb.2880:                             ;   in Loop: Header=BB370_1574 Depth=1
	v_clz_i32_u32_e32 v4, v22
	s_delay_alu instid0(VALU_DEP_1) | instskip(NEXT) | instid1(VALU_DEP_1)
	v_min_u32_e32 v4, 32, v4
	v_subrev_nc_u32_e32 v5, 28, v4
	v_sub_nc_u32_e32 v4, 29, v4
	s_delay_alu instid0(VALU_DEP_2) | instskip(NEXT) | instid1(VALU_DEP_1)
	v_lshlrev_b64_e32 v[52:53], v5, v[22:23]
	v_and_b32_e32 v52, 7, v52
; %bb.2881:                             ;   in Loop: Header=BB370_1574 Depth=1
	s_or_b32 exec_lo, exec_lo, s19
	s_delay_alu instid0(VALU_DEP_1) | instskip(SKIP_1) | instid1(VALU_DEP_2)
	v_dual_lshlrev_b32 v5, 24, v54 :: v_dual_lshlrev_b32 v6, 20, v52
	v_lshl_add_u32 v4, v4, 23, 0x3c000000
	v_and_b32_e32 v5, 0x80000000, v5
	s_delay_alu instid0(VALU_DEP_1)
	v_or3_b32 v4, v6, v5, v4
.LBB370_2882:                           ;   in Loop: Header=BB370_1574 Depth=1
	s_or_b32 exec_lo, exec_lo, s18
.LBB370_2883:                           ;   in Loop: Header=BB370_1574 Depth=1
	s_delay_alu instid0(SALU_CYCLE_1)
	s_or_b32 exec_lo, exec_lo, s17
.LBB370_2884:                           ;   in Loop: Header=BB370_1574 Depth=1
	s_delay_alu instid0(SALU_CYCLE_1) | instskip(NEXT) | instid1(SALU_CYCLE_1)
	s_or_b32 exec_lo, exec_lo, s16
	s_mov_b32 s16, exec_lo
	v_cmpx_lt_u64_e64 s[2:3], v[18:19]
	s_cbranch_execz .LBB370_2892
; %bb.2885:                             ;   in Loop: Header=BB370_1574 Depth=1
	v_lshrrev_b32_e32 v5, 24, v19
	v_bfrev_b32_e32 v3, 1
	s_mov_b32 s17, exec_lo
	s_delay_alu instid0(VALU_DEP_2)
	v_cmpx_ne_u32_e32 0x80, v5
	s_cbranch_execz .LBB370_2891
; %bb.2886:                             ;   in Loop: Header=BB370_1574 Depth=1
	v_bfe_u32 v52, v19, 24, 7
	v_mov_b32_e32 v3, 0x7f800001
	s_mov_b32 s18, exec_lo
	s_delay_alu instid0(VALU_DEP_2)
	v_cmpx_ne_u32_e32 0x7f, v52
	s_cbranch_execz .LBB370_2890
; %bb.2887:                             ;   in Loop: Header=BB370_1574 Depth=1
	v_dual_lshrrev_b32 v3, 3, v52 :: v_dual_bitop2_b32 v22, 7, v5 bitop3:0x40
	s_mov_b32 s19, exec_lo
	s_delay_alu instid0(VALU_DEP_1)
	v_mov_b64_e32 v[18:19], v[22:23]
	v_cmpx_gt_u32_e32 8, v52
; %bb.2888:                             ;   in Loop: Header=BB370_1574 Depth=1
	v_clz_i32_u32_e32 v3, v22
	s_delay_alu instid0(VALU_DEP_1) | instskip(NEXT) | instid1(VALU_DEP_1)
	v_min_u32_e32 v3, 32, v3
	v_subrev_nc_u32_e32 v6, 28, v3
	s_delay_alu instid0(VALU_DEP_1) | instskip(NEXT) | instid1(VALU_DEP_1)
	v_lshlrev_b64_e32 v[18:19], v6, v[22:23]
	v_dual_sub_nc_u32 v3, 29, v3 :: v_dual_bitop2_b32 v18, 7, v18 bitop3:0x40
; %bb.2889:                             ;   in Loop: Header=BB370_1574 Depth=1
	s_or_b32 exec_lo, exec_lo, s19
	s_delay_alu instid0(VALU_DEP_1) | instskip(NEXT) | instid1(VALU_DEP_2)
	v_dual_lshlrev_b32 v5, 24, v5 :: v_dual_lshlrev_b32 v6, 20, v18
	v_lshl_add_u32 v3, v3, 23, 0x3c000000
	s_delay_alu instid0(VALU_DEP_2) | instskip(NEXT) | instid1(VALU_DEP_1)
	v_and_b32_e32 v5, 0x80000000, v5
	v_or3_b32 v3, v6, v5, v3
.LBB370_2890:                           ;   in Loop: Header=BB370_1574 Depth=1
	s_or_b32 exec_lo, exec_lo, s18
.LBB370_2891:                           ;   in Loop: Header=BB370_1574 Depth=1
	s_delay_alu instid0(SALU_CYCLE_1)
	s_or_b32 exec_lo, exec_lo, s17
.LBB370_2892:                           ;   in Loop: Header=BB370_1574 Depth=1
	s_delay_alu instid0(SALU_CYCLE_1)
	s_or_b32 exec_lo, exec_lo, s16
	v_fma_mixlo_bf16 v125, v64, v2, 0
	v_fma_mixlo_bf16 v126, v64, v51, 0
	;; [unrolled: 1-line block ×8, first 2 shown]
	s_and_saveexec_b32 s16, vcc_lo
	s_cbranch_execz .LBB370_2894
; %bb.2893:                             ;   in Loop: Header=BB370_1574 Depth=1
	v_cmp_lt_i32_e64 s0, v113, v88
	s_delay_alu instid0(VALU_DEP_1) | instskip(SKIP_1) | instid1(VALU_DEP_1)
	v_cndmask_b32_e64 v49, 0, v49, s0
	v_cmp_lt_i32_e64 s0, v56, v88
	v_cndmask_b32_e64 v48, 0, v48, s0
	v_cmp_lt_i32_e64 s0, v47, v88
	s_delay_alu instid0(VALU_DEP_1) | instskip(SKIP_1) | instid1(VALU_DEP_1)
	v_cndmask_b32_e64 v65, 0, v65, s0
	v_cmp_lt_i32_e64 s0, v46, v88
	v_cndmask_b32_e64 v10, 0, v10, s0
	;; [unrolled: 5-line block ×4, first 2 shown]
.LBB370_2894:                           ;   in Loop: Header=BB370_1574 Depth=1
	s_or_b32 exec_lo, exec_lo, s16
	flat_load_b64 v[18:19], v[0:1] offset:5120
	v_dual_mov_b32 v66, 0 :: v_dual_mov_b32 v54, 0
	s_mov_b32 s16, exec_lo
	s_wait_loadcnt_dscnt 0x0
	v_and_b32_e32 v2, 0xff, v18
	s_wait_xcnt 0x0
	s_delay_alu instid0(VALU_DEP_1)
	v_cmpx_ne_u16_e32 0, v2
	s_cbranch_execz .LBB370_2902
; %bb.2895:                             ;   in Loop: Header=BB370_1574 Depth=1
	v_bfrev_b32_e32 v54, 1
	s_mov_b32 s17, exec_lo
	v_cmpx_ne_u16_e32 0x80, v2
	s_cbranch_execz .LBB370_2901
; %bb.2896:                             ;   in Loop: Header=BB370_1574 Depth=1
	v_and_b32_e32 v3, 0x7f, v18
	v_mov_b32_e32 v54, 0x7f800001
	s_mov_b32 s18, exec_lo
	s_delay_alu instid0(VALU_DEP_2)
	v_cmpx_ne_u32_e32 0x7f, v3
	s_cbranch_execz .LBB370_2900
; %bb.2897:                             ;   in Loop: Header=BB370_1574 Depth=1
	v_mov_b64_e32 v[52:53], v[18:19]
	v_lshrrev_b32_e32 v2, 3, v3
	s_mov_b32 s19, exec_lo
	v_cmpx_gt_u32_e32 8, v3
; %bb.2898:                             ;   in Loop: Header=BB370_1574 Depth=1
	v_and_b32_e32 v2, 7, v18
	s_delay_alu instid0(VALU_DEP_1) | instskip(NEXT) | instid1(VALU_DEP_1)
	v_clz_i32_u32_e32 v2, v2
	v_min_u32_e32 v2, 32, v2
	s_delay_alu instid0(VALU_DEP_1) | instskip(SKIP_1) | instid1(VALU_DEP_2)
	v_subrev_nc_u32_e32 v3, 28, v2
	v_sub_nc_u32_e32 v2, 29, v2
	v_lshlrev_b64_e32 v[52:53], v3, v[18:19]
; %bb.2899:                             ;   in Loop: Header=BB370_1574 Depth=1
	s_or_b32 exec_lo, exec_lo, s19
	s_delay_alu instid0(VALU_DEP_1) | instskip(NEXT) | instid1(VALU_DEP_3)
	v_dual_lshlrev_b32 v3, 20, v52 :: v_dual_lshlrev_b32 v4, 24, v18
	v_lshl_add_u32 v2, v2, 23, 0x3c000000
	s_delay_alu instid0(VALU_DEP_2) | instskip(NEXT) | instid1(VALU_DEP_3)
	v_and_b32_e32 v3, 0x700000, v3
	v_and_b32_e32 v4, 0x80000000, v4
	s_delay_alu instid0(VALU_DEP_1)
	v_or3_b32 v54, v3, v4, v2
.LBB370_2900:                           ;   in Loop: Header=BB370_1574 Depth=1
	s_or_b32 exec_lo, exec_lo, s18
.LBB370_2901:                           ;   in Loop: Header=BB370_1574 Depth=1
	s_delay_alu instid0(SALU_CYCLE_1)
	s_or_b32 exec_lo, exec_lo, s17
.LBB370_2902:                           ;   in Loop: Header=BB370_1574 Depth=1
	s_delay_alu instid0(SALU_CYCLE_1) | instskip(SKIP_2) | instid1(VALU_DEP_1)
	s_or_b32 exec_lo, exec_lo, s16
	v_lshrrev_b16 v2, 8, v18
	s_mov_b32 s16, exec_lo
	v_cmpx_ne_u16_e32 0, v2
	s_cbranch_execz .LBB370_2910
; %bb.2903:                             ;   in Loop: Header=BB370_1574 Depth=1
	v_bfrev_b32_e32 v66, 1
	s_mov_b32 s17, exec_lo
	v_cmpx_ne_u16_e32 0x80, v2
	s_cbranch_execz .LBB370_2909
; %bb.2904:                             ;   in Loop: Header=BB370_1574 Depth=1
	v_and_b32_e32 v2, 0xffff, v2
	v_mov_b32_e32 v66, 0x7f800001
	s_mov_b32 s18, exec_lo
	s_delay_alu instid0(VALU_DEP_2) | instskip(NEXT) | instid1(VALU_DEP_1)
	v_and_b32_e32 v3, 0x7f, v2
	v_cmpx_ne_u32_e32 0x7f, v3
	s_cbranch_execz .LBB370_2908
; %bb.2905:                             ;   in Loop: Header=BB370_1574 Depth=1
	v_dual_lshrrev_b32 v2, 3, v3 :: v_dual_bitop2_b32 v22, 7, v2 bitop3:0x40
	s_mov_b32 s19, exec_lo
	s_delay_alu instid0(VALU_DEP_1)
	v_mov_b64_e32 v[52:53], v[22:23]
	v_cmpx_gt_u32_e32 8, v3
; %bb.2906:                             ;   in Loop: Header=BB370_1574 Depth=1
	v_clz_i32_u32_e32 v2, v22
	s_delay_alu instid0(VALU_DEP_1) | instskip(NEXT) | instid1(VALU_DEP_1)
	v_min_u32_e32 v2, 32, v2
	v_subrev_nc_u32_e32 v3, 28, v2
	s_delay_alu instid0(VALU_DEP_1) | instskip(NEXT) | instid1(VALU_DEP_1)
	v_lshlrev_b64_e32 v[4:5], v3, v[22:23]
	v_dual_sub_nc_u32 v2, 29, v2 :: v_dual_bitop2_b32 v52, 7, v4 bitop3:0x40
; %bb.2907:                             ;   in Loop: Header=BB370_1574 Depth=1
	s_or_b32 exec_lo, exec_lo, s19
	s_delay_alu instid0(VALU_DEP_1) | instskip(NEXT) | instid1(VALU_DEP_2)
	v_dual_lshlrev_b32 v3, 16, v18 :: v_dual_lshlrev_b32 v4, 20, v52
	v_lshl_add_u32 v2, v2, 23, 0x3c000000
	s_delay_alu instid0(VALU_DEP_2) | instskip(NEXT) | instid1(VALU_DEP_1)
	v_and_b32_e32 v3, 0x80000000, v3
	v_or3_b32 v66, v4, v3, v2
.LBB370_2908:                           ;   in Loop: Header=BB370_1574 Depth=1
	s_or_b32 exec_lo, exec_lo, s18
.LBB370_2909:                           ;   in Loop: Header=BB370_1574 Depth=1
	s_delay_alu instid0(SALU_CYCLE_1)
	s_or_b32 exec_lo, exec_lo, s17
.LBB370_2910:                           ;   in Loop: Header=BB370_1574 Depth=1
	s_delay_alu instid0(SALU_CYCLE_1) | instskip(SKIP_3) | instid1(VALU_DEP_2)
	s_or_b32 exec_lo, exec_lo, s16
	v_dual_mov_b32 v67, 0 :: v_dual_lshrrev_b32 v2, 16, v18
	v_mov_b32_e32 v68, 0
	s_mov_b32 s16, exec_lo
	v_and_b32_e32 v3, 0xff, v2
	s_delay_alu instid0(VALU_DEP_1)
	v_cmpx_ne_u16_e32 0, v3
	s_cbranch_execz .LBB370_2918
; %bb.2911:                             ;   in Loop: Header=BB370_1574 Depth=1
	v_bfrev_b32_e32 v68, 1
	s_mov_b32 s17, exec_lo
	v_cmpx_ne_u16_e32 0x80, v3
	s_cbranch_execz .LBB370_2917
; %bb.2912:                             ;   in Loop: Header=BB370_1574 Depth=1
	v_bfe_u32 v4, v18, 16, 7
	v_mov_b32_e32 v68, 0x7f800001
	s_mov_b32 s18, exec_lo
	s_delay_alu instid0(VALU_DEP_2)
	v_cmpx_ne_u32_e32 0x7f, v4
	s_cbranch_execz .LBB370_2916
; %bb.2913:                             ;   in Loop: Header=BB370_1574 Depth=1
	v_dual_lshrrev_b32 v3, 3, v4 :: v_dual_bitop2_b32 v22, 7, v2 bitop3:0x40
	s_mov_b32 s19, exec_lo
	s_delay_alu instid0(VALU_DEP_1)
	v_mov_b64_e32 v[52:53], v[22:23]
	v_cmpx_gt_u32_e32 8, v4
; %bb.2914:                             ;   in Loop: Header=BB370_1574 Depth=1
	v_clz_i32_u32_e32 v3, v22
	s_delay_alu instid0(VALU_DEP_1) | instskip(NEXT) | instid1(VALU_DEP_1)
	v_min_u32_e32 v3, 32, v3
	v_subrev_nc_u32_e32 v4, 28, v3
	s_delay_alu instid0(VALU_DEP_1) | instskip(NEXT) | instid1(VALU_DEP_1)
	v_lshlrev_b64_e32 v[4:5], v4, v[22:23]
	v_dual_sub_nc_u32 v3, 29, v3 :: v_dual_bitop2_b32 v52, 7, v4 bitop3:0x40
; %bb.2915:                             ;   in Loop: Header=BB370_1574 Depth=1
	s_or_b32 exec_lo, exec_lo, s19
	s_delay_alu instid0(VALU_DEP_1) | instskip(NEXT) | instid1(VALU_DEP_2)
	v_dual_lshlrev_b32 v2, 24, v2 :: v_dual_lshlrev_b32 v4, 20, v52
	v_lshl_add_u32 v3, v3, 23, 0x3c000000
	s_delay_alu instid0(VALU_DEP_2) | instskip(NEXT) | instid1(VALU_DEP_1)
	v_and_b32_e32 v2, 0x80000000, v2
	v_or3_b32 v68, v4, v2, v3
.LBB370_2916:                           ;   in Loop: Header=BB370_1574 Depth=1
	s_or_b32 exec_lo, exec_lo, s18
.LBB370_2917:                           ;   in Loop: Header=BB370_1574 Depth=1
	s_delay_alu instid0(SALU_CYCLE_1)
	s_or_b32 exec_lo, exec_lo, s17
.LBB370_2918:                           ;   in Loop: Header=BB370_1574 Depth=1
	s_delay_alu instid0(SALU_CYCLE_1) | instskip(NEXT) | instid1(SALU_CYCLE_1)
	s_or_b32 exec_lo, exec_lo, s16
	s_mov_b32 s16, exec_lo
	v_cmpx_lt_u32_e32 0xffffff, v18
	s_cbranch_execz .LBB370_2926
; %bb.2919:                             ;   in Loop: Header=BB370_1574 Depth=1
	v_lshrrev_b32_e32 v2, 24, v18
	v_bfrev_b32_e32 v67, 1
	s_mov_b32 s17, exec_lo
	s_delay_alu instid0(VALU_DEP_2)
	v_cmpx_ne_u32_e32 0x80, v2
	s_cbranch_execz .LBB370_2925
; %bb.2920:                             ;   in Loop: Header=BB370_1574 Depth=1
	v_bfe_u32 v4, v18, 24, 7
	v_mov_b32_e32 v67, 0x7f800001
	s_mov_b32 s18, exec_lo
	s_delay_alu instid0(VALU_DEP_2)
	v_cmpx_ne_u32_e32 0x7f, v4
	s_cbranch_execz .LBB370_2924
; %bb.2921:                             ;   in Loop: Header=BB370_1574 Depth=1
	v_dual_lshrrev_b32 v3, 3, v4 :: v_dual_bitop2_b32 v22, 7, v2 bitop3:0x40
	s_mov_b32 s19, exec_lo
	s_delay_alu instid0(VALU_DEP_1)
	v_mov_b64_e32 v[52:53], v[22:23]
	v_cmpx_gt_u32_e32 8, v4
; %bb.2922:                             ;   in Loop: Header=BB370_1574 Depth=1
	v_clz_i32_u32_e32 v3, v22
	s_delay_alu instid0(VALU_DEP_1) | instskip(NEXT) | instid1(VALU_DEP_1)
	v_min_u32_e32 v3, 32, v3
	v_subrev_nc_u32_e32 v4, 28, v3
	s_delay_alu instid0(VALU_DEP_1) | instskip(NEXT) | instid1(VALU_DEP_1)
	v_lshlrev_b64_e32 v[4:5], v4, v[22:23]
	v_dual_sub_nc_u32 v3, 29, v3 :: v_dual_bitop2_b32 v52, 7, v4 bitop3:0x40
; %bb.2923:                             ;   in Loop: Header=BB370_1574 Depth=1
	s_or_b32 exec_lo, exec_lo, s19
	s_delay_alu instid0(VALU_DEP_1) | instskip(NEXT) | instid1(VALU_DEP_2)
	v_dual_lshlrev_b32 v2, 24, v2 :: v_dual_lshlrev_b32 v4, 20, v52
	v_lshl_add_u32 v3, v3, 23, 0x3c000000
	s_delay_alu instid0(VALU_DEP_2) | instskip(NEXT) | instid1(VALU_DEP_1)
	v_and_b32_e32 v2, 0x80000000, v2
	v_or3_b32 v67, v4, v2, v3
.LBB370_2924:                           ;   in Loop: Header=BB370_1574 Depth=1
	s_or_b32 exec_lo, exec_lo, s18
.LBB370_2925:                           ;   in Loop: Header=BB370_1574 Depth=1
	s_delay_alu instid0(SALU_CYCLE_1)
	s_or_b32 exec_lo, exec_lo, s17
.LBB370_2926:                           ;   in Loop: Header=BB370_1574 Depth=1
	s_delay_alu instid0(SALU_CYCLE_1) | instskip(SKIP_4) | instid1(VALU_DEP_3)
	s_or_b32 exec_lo, exec_lo, s16
	v_and_b32_e32 v3, 0xff, v19
	v_dual_mov_b32 v22, v19 :: v_dual_mov_b32 v2, 0
	v_mov_b32_e32 v51, 0
	s_mov_b32 s16, exec_lo
	v_cmpx_ne_u16_e32 0, v3
	s_cbranch_execz .LBB370_2934
; %bb.2927:                             ;   in Loop: Header=BB370_1574 Depth=1
	v_bfrev_b32_e32 v51, 1
	s_mov_b32 s17, exec_lo
	v_cmpx_ne_u16_e32 0x80, v3
	s_cbranch_execz .LBB370_2933
; %bb.2928:                             ;   in Loop: Header=BB370_1574 Depth=1
	v_and_b32_e32 v4, 0x7f, v19
	v_mov_b32_e32 v51, 0x7f800001
	s_mov_b32 s18, exec_lo
	s_delay_alu instid0(VALU_DEP_2)
	v_cmpx_ne_u32_e32 0x7f, v4
	s_cbranch_execz .LBB370_2932
; %bb.2929:                             ;   in Loop: Header=BB370_1574 Depth=1
	v_mov_b64_e32 v[52:53], v[22:23]
	v_lshrrev_b32_e32 v3, 3, v4
	s_mov_b32 s19, exec_lo
	v_cmpx_gt_u32_e32 8, v4
; %bb.2930:                             ;   in Loop: Header=BB370_1574 Depth=1
	v_and_b32_e32 v3, 7, v19
	s_delay_alu instid0(VALU_DEP_1) | instskip(NEXT) | instid1(VALU_DEP_1)
	v_clz_i32_u32_e32 v3, v3
	v_min_u32_e32 v3, 32, v3
	s_delay_alu instid0(VALU_DEP_1) | instskip(SKIP_1) | instid1(VALU_DEP_2)
	v_subrev_nc_u32_e32 v4, 28, v3
	v_sub_nc_u32_e32 v3, 29, v3
	v_lshlrev_b64_e32 v[52:53], v4, v[22:23]
; %bb.2931:                             ;   in Loop: Header=BB370_1574 Depth=1
	s_or_b32 exec_lo, exec_lo, s19
	s_delay_alu instid0(VALU_DEP_1) | instskip(NEXT) | instid1(VALU_DEP_3)
	v_dual_lshlrev_b32 v4, 20, v52 :: v_dual_lshlrev_b32 v5, 24, v22
	v_lshl_add_u32 v3, v3, 23, 0x3c000000
	s_delay_alu instid0(VALU_DEP_2) | instskip(NEXT) | instid1(VALU_DEP_3)
	v_and_b32_e32 v4, 0x700000, v4
	v_and_b32_e32 v5, 0x80000000, v5
	s_delay_alu instid0(VALU_DEP_1)
	v_or3_b32 v51, v4, v5, v3
.LBB370_2932:                           ;   in Loop: Header=BB370_1574 Depth=1
	s_or_b32 exec_lo, exec_lo, s18
.LBB370_2933:                           ;   in Loop: Header=BB370_1574 Depth=1
	s_delay_alu instid0(SALU_CYCLE_1)
	s_or_b32 exec_lo, exec_lo, s17
.LBB370_2934:                           ;   in Loop: Header=BB370_1574 Depth=1
	s_delay_alu instid0(SALU_CYCLE_1) | instskip(SKIP_2) | instid1(VALU_DEP_1)
	s_or_b32 exec_lo, exec_lo, s16
	v_lshrrev_b16 v3, 8, v22
	s_mov_b32 s16, exec_lo
	v_cmpx_ne_u16_e32 0, v3
	s_cbranch_execz .LBB370_2942
; %bb.2935:                             ;   in Loop: Header=BB370_1574 Depth=1
	v_bfrev_b32_e32 v2, 1
	s_mov_b32 s17, exec_lo
	v_cmpx_ne_u16_e32 0x80, v3
	s_cbranch_execz .LBB370_2941
; %bb.2936:                             ;   in Loop: Header=BB370_1574 Depth=1
	v_and_b32_e32 v4, 0xffff, v3
	v_mov_b32_e32 v2, 0x7f800001
	s_mov_b32 s18, exec_lo
	s_delay_alu instid0(VALU_DEP_2) | instskip(NEXT) | instid1(VALU_DEP_1)
	v_and_b32_e32 v3, 0x7f, v4
	v_cmpx_ne_u32_e32 0x7f, v3
	s_cbranch_execz .LBB370_2940
; %bb.2937:                             ;   in Loop: Header=BB370_1574 Depth=1
	v_dual_mov_b32 v53, v23 :: v_dual_bitop2_b32 v52, 7, v4 bitop3:0x40
	v_lshrrev_b32_e32 v2, 3, v3
	s_mov_b32 s19, exec_lo
	v_cmpx_gt_u32_e32 8, v3
; %bb.2938:                             ;   in Loop: Header=BB370_1574 Depth=1
	s_delay_alu instid0(VALU_DEP_3) | instskip(NEXT) | instid1(VALU_DEP_1)
	v_clz_i32_u32_e32 v2, v52
	v_min_u32_e32 v2, 32, v2
	s_delay_alu instid0(VALU_DEP_1) | instskip(NEXT) | instid1(VALU_DEP_1)
	v_subrev_nc_u32_e32 v3, 28, v2
	v_lshlrev_b64_e32 v[4:5], v3, v[52:53]
	s_delay_alu instid0(VALU_DEP_1)
	v_dual_sub_nc_u32 v2, 29, v2 :: v_dual_bitop2_b32 v52, 7, v4 bitop3:0x40
; %bb.2939:                             ;   in Loop: Header=BB370_1574 Depth=1
	s_or_b32 exec_lo, exec_lo, s19
	s_delay_alu instid0(VALU_DEP_1) | instskip(NEXT) | instid1(VALU_DEP_2)
	v_dual_lshlrev_b32 v3, 16, v22 :: v_dual_lshlrev_b32 v4, 20, v52
	v_lshl_add_u32 v2, v2, 23, 0x3c000000
	s_delay_alu instid0(VALU_DEP_2) | instskip(NEXT) | instid1(VALU_DEP_1)
	v_and_b32_e32 v3, 0x80000000, v3
	v_or3_b32 v2, v4, v3, v2
.LBB370_2940:                           ;   in Loop: Header=BB370_1574 Depth=1
	s_or_b32 exec_lo, exec_lo, s18
.LBB370_2941:                           ;   in Loop: Header=BB370_1574 Depth=1
	s_delay_alu instid0(SALU_CYCLE_1)
	s_or_b32 exec_lo, exec_lo, s17
.LBB370_2942:                           ;   in Loop: Header=BB370_1574 Depth=1
	s_delay_alu instid0(SALU_CYCLE_1) | instskip(SKIP_3) | instid1(VALU_DEP_2)
	s_or_b32 exec_lo, exec_lo, s16
	v_dual_lshrrev_b32 v55, 16, v19 :: v_dual_mov_b32 v3, 0
	v_mov_b32_e32 v4, 0
	s_mov_b32 s16, exec_lo
	v_and_b32_e32 v5, 0xff, v55
	s_delay_alu instid0(VALU_DEP_1)
	v_cmpx_ne_u16_e32 0, v5
	s_cbranch_execz .LBB370_2950
; %bb.2943:                             ;   in Loop: Header=BB370_1574 Depth=1
	v_bfrev_b32_e32 v4, 1
	s_mov_b32 s17, exec_lo
	v_cmpx_ne_u16_e32 0x80, v5
	s_cbranch_execz .LBB370_2949
; %bb.2944:                             ;   in Loop: Header=BB370_1574 Depth=1
	v_bfe_u32 v5, v19, 16, 7
	v_mov_b32_e32 v4, 0x7f800001
	s_mov_b32 s18, exec_lo
	s_delay_alu instid0(VALU_DEP_2)
	v_cmpx_ne_u32_e32 0x7f, v5
	s_cbranch_execz .LBB370_2948
; %bb.2945:                             ;   in Loop: Header=BB370_1574 Depth=1
	v_dual_lshrrev_b32 v4, 3, v5 :: v_dual_bitop2_b32 v22, 7, v55 bitop3:0x40
	s_mov_b32 s19, exec_lo
	s_delay_alu instid0(VALU_DEP_1)
	v_mov_b64_e32 v[52:53], v[22:23]
	v_cmpx_gt_u32_e32 8, v5
; %bb.2946:                             ;   in Loop: Header=BB370_1574 Depth=1
	v_clz_i32_u32_e32 v4, v22
	s_delay_alu instid0(VALU_DEP_1) | instskip(NEXT) | instid1(VALU_DEP_1)
	v_min_u32_e32 v4, 32, v4
	v_subrev_nc_u32_e32 v5, 28, v4
	v_sub_nc_u32_e32 v4, 29, v4
	s_delay_alu instid0(VALU_DEP_2) | instskip(NEXT) | instid1(VALU_DEP_1)
	v_lshlrev_b64_e32 v[52:53], v5, v[22:23]
	v_and_b32_e32 v52, 7, v52
; %bb.2947:                             ;   in Loop: Header=BB370_1574 Depth=1
	s_or_b32 exec_lo, exec_lo, s19
	s_delay_alu instid0(VALU_DEP_1) | instskip(SKIP_1) | instid1(VALU_DEP_2)
	v_dual_lshlrev_b32 v5, 24, v55 :: v_dual_lshlrev_b32 v6, 20, v52
	v_lshl_add_u32 v4, v4, 23, 0x3c000000
	v_and_b32_e32 v5, 0x80000000, v5
	s_delay_alu instid0(VALU_DEP_1)
	v_or3_b32 v4, v6, v5, v4
.LBB370_2948:                           ;   in Loop: Header=BB370_1574 Depth=1
	s_or_b32 exec_lo, exec_lo, s18
.LBB370_2949:                           ;   in Loop: Header=BB370_1574 Depth=1
	s_delay_alu instid0(SALU_CYCLE_1)
	s_or_b32 exec_lo, exec_lo, s17
.LBB370_2950:                           ;   in Loop: Header=BB370_1574 Depth=1
	s_delay_alu instid0(SALU_CYCLE_1) | instskip(NEXT) | instid1(SALU_CYCLE_1)
	s_or_b32 exec_lo, exec_lo, s16
	s_mov_b32 s16, exec_lo
	v_cmpx_lt_u64_e64 s[2:3], v[18:19]
	s_cbranch_execz .LBB370_2958
; %bb.2951:                             ;   in Loop: Header=BB370_1574 Depth=1
	v_lshrrev_b32_e32 v5, 24, v19
	v_bfrev_b32_e32 v3, 1
	s_mov_b32 s17, exec_lo
	s_delay_alu instid0(VALU_DEP_2)
	v_cmpx_ne_u32_e32 0x80, v5
	s_cbranch_execz .LBB370_2957
; %bb.2952:                             ;   in Loop: Header=BB370_1574 Depth=1
	v_bfe_u32 v52, v19, 24, 7
	v_mov_b32_e32 v3, 0x7f800001
	s_mov_b32 s18, exec_lo
	s_delay_alu instid0(VALU_DEP_2)
	v_cmpx_ne_u32_e32 0x7f, v52
	s_cbranch_execz .LBB370_2956
; %bb.2953:                             ;   in Loop: Header=BB370_1574 Depth=1
	v_dual_lshrrev_b32 v3, 3, v52 :: v_dual_bitop2_b32 v22, 7, v5 bitop3:0x40
	s_mov_b32 s19, exec_lo
	s_delay_alu instid0(VALU_DEP_1)
	v_mov_b64_e32 v[18:19], v[22:23]
	v_cmpx_gt_u32_e32 8, v52
; %bb.2954:                             ;   in Loop: Header=BB370_1574 Depth=1
	v_clz_i32_u32_e32 v3, v22
	s_delay_alu instid0(VALU_DEP_1) | instskip(NEXT) | instid1(VALU_DEP_1)
	v_min_u32_e32 v3, 32, v3
	v_subrev_nc_u32_e32 v6, 28, v3
	s_delay_alu instid0(VALU_DEP_1) | instskip(NEXT) | instid1(VALU_DEP_1)
	v_lshlrev_b64_e32 v[18:19], v6, v[22:23]
	v_dual_sub_nc_u32 v3, 29, v3 :: v_dual_bitop2_b32 v18, 7, v18 bitop3:0x40
; %bb.2955:                             ;   in Loop: Header=BB370_1574 Depth=1
	s_or_b32 exec_lo, exec_lo, s19
	s_delay_alu instid0(VALU_DEP_1) | instskip(NEXT) | instid1(VALU_DEP_2)
	v_dual_lshlrev_b32 v5, 24, v5 :: v_dual_lshlrev_b32 v6, 20, v18
	v_lshl_add_u32 v3, v3, 23, 0x3c000000
	s_delay_alu instid0(VALU_DEP_2) | instskip(NEXT) | instid1(VALU_DEP_1)
	v_and_b32_e32 v5, 0x80000000, v5
	v_or3_b32 v3, v6, v5, v3
.LBB370_2956:                           ;   in Loop: Header=BB370_1574 Depth=1
	s_or_b32 exec_lo, exec_lo, s18
.LBB370_2957:                           ;   in Loop: Header=BB370_1574 Depth=1
	s_delay_alu instid0(SALU_CYCLE_1)
	s_or_b32 exec_lo, exec_lo, s17
.LBB370_2958:                           ;   in Loop: Header=BB370_1574 Depth=1
	s_delay_alu instid0(SALU_CYCLE_1)
	s_or_b32 exec_lo, exec_lo, s16
	v_fma_mixlo_bf16 v55, v64, v2, 0
	v_fma_mixlo_bf16 v51, v64, v51, 0
	;; [unrolled: 1-line block ×8, first 2 shown]
	s_and_saveexec_b32 s16, vcc_lo
	s_cbranch_execz .LBB370_2960
; %bb.2959:                             ;   in Loop: Header=BB370_1574 Depth=1
	v_cmp_lt_i32_e64 s0, v113, v88
	s_delay_alu instid0(VALU_DEP_1) | instskip(SKIP_1) | instid1(VALU_DEP_1)
	v_cndmask_b32_e64 v71, 0, v71, s0
	v_cmp_lt_i32_e64 s0, v56, v88
	v_cndmask_b32_e64 v70, 0, v70, s0
	v_cmp_lt_i32_e64 s0, v47, v88
	s_delay_alu instid0(VALU_DEP_1) | instskip(SKIP_1) | instid1(VALU_DEP_1)
	v_cndmask_b32_e64 v69, 0, v69, s0
	v_cmp_lt_i32_e64 s0, v46, v88
	v_cndmask_b32_e64 v67, 0, v67, s0
	;; [unrolled: 5-line block ×4, first 2 shown]
.LBB370_2960:                           ;   in Loop: Header=BB370_1574 Depth=1
	s_or_b32 exec_lo, exec_lo, s16
	flat_load_b64 v[18:19], v[0:1] offset:5376
	v_dual_mov_b32 v82, 0 :: v_dual_mov_b32 v54, 0
	s_mov_b32 s16, exec_lo
	s_wait_loadcnt_dscnt 0x0
	v_and_b32_e32 v2, 0xff, v18
	s_wait_xcnt 0x0
	s_delay_alu instid0(VALU_DEP_1)
	v_cmpx_ne_u16_e32 0, v2
	s_cbranch_execz .LBB370_2968
; %bb.2961:                             ;   in Loop: Header=BB370_1574 Depth=1
	v_bfrev_b32_e32 v54, 1
	s_mov_b32 s17, exec_lo
	v_cmpx_ne_u16_e32 0x80, v2
	s_cbranch_execz .LBB370_2967
; %bb.2962:                             ;   in Loop: Header=BB370_1574 Depth=1
	v_and_b32_e32 v3, 0x7f, v18
	v_mov_b32_e32 v54, 0x7f800001
	s_mov_b32 s18, exec_lo
	s_delay_alu instid0(VALU_DEP_2)
	v_cmpx_ne_u32_e32 0x7f, v3
	s_cbranch_execz .LBB370_2966
; %bb.2963:                             ;   in Loop: Header=BB370_1574 Depth=1
	v_mov_b64_e32 v[52:53], v[18:19]
	v_lshrrev_b32_e32 v2, 3, v3
	s_mov_b32 s19, exec_lo
	v_cmpx_gt_u32_e32 8, v3
; %bb.2964:                             ;   in Loop: Header=BB370_1574 Depth=1
	v_and_b32_e32 v2, 7, v18
	s_delay_alu instid0(VALU_DEP_1) | instskip(NEXT) | instid1(VALU_DEP_1)
	v_clz_i32_u32_e32 v2, v2
	v_min_u32_e32 v2, 32, v2
	s_delay_alu instid0(VALU_DEP_1) | instskip(SKIP_1) | instid1(VALU_DEP_2)
	v_subrev_nc_u32_e32 v3, 28, v2
	v_sub_nc_u32_e32 v2, 29, v2
	v_lshlrev_b64_e32 v[52:53], v3, v[18:19]
; %bb.2965:                             ;   in Loop: Header=BB370_1574 Depth=1
	s_or_b32 exec_lo, exec_lo, s19
	s_delay_alu instid0(VALU_DEP_1) | instskip(NEXT) | instid1(VALU_DEP_3)
	v_dual_lshlrev_b32 v3, 20, v52 :: v_dual_lshlrev_b32 v4, 24, v18
	v_lshl_add_u32 v2, v2, 23, 0x3c000000
	s_delay_alu instid0(VALU_DEP_2) | instskip(NEXT) | instid1(VALU_DEP_3)
	v_and_b32_e32 v3, 0x700000, v3
	v_and_b32_e32 v4, 0x80000000, v4
	s_delay_alu instid0(VALU_DEP_1)
	v_or3_b32 v54, v3, v4, v2
.LBB370_2966:                           ;   in Loop: Header=BB370_1574 Depth=1
	s_or_b32 exec_lo, exec_lo, s18
.LBB370_2967:                           ;   in Loop: Header=BB370_1574 Depth=1
	s_delay_alu instid0(SALU_CYCLE_1)
	s_or_b32 exec_lo, exec_lo, s17
.LBB370_2968:                           ;   in Loop: Header=BB370_1574 Depth=1
	s_delay_alu instid0(SALU_CYCLE_1) | instskip(SKIP_2) | instid1(VALU_DEP_1)
	s_or_b32 exec_lo, exec_lo, s16
	v_lshrrev_b16 v2, 8, v18
	s_mov_b32 s16, exec_lo
	v_cmpx_ne_u16_e32 0, v2
	s_cbranch_execz .LBB370_2976
; %bb.2969:                             ;   in Loop: Header=BB370_1574 Depth=1
	v_bfrev_b32_e32 v82, 1
	s_mov_b32 s17, exec_lo
	v_cmpx_ne_u16_e32 0x80, v2
	s_cbranch_execz .LBB370_2975
; %bb.2970:                             ;   in Loop: Header=BB370_1574 Depth=1
	v_and_b32_e32 v2, 0xffff, v2
	v_mov_b32_e32 v82, 0x7f800001
	s_mov_b32 s18, exec_lo
	s_delay_alu instid0(VALU_DEP_2) | instskip(NEXT) | instid1(VALU_DEP_1)
	v_and_b32_e32 v3, 0x7f, v2
	v_cmpx_ne_u32_e32 0x7f, v3
	s_cbranch_execz .LBB370_2974
; %bb.2971:                             ;   in Loop: Header=BB370_1574 Depth=1
	v_dual_lshrrev_b32 v2, 3, v3 :: v_dual_bitop2_b32 v22, 7, v2 bitop3:0x40
	s_mov_b32 s19, exec_lo
	s_delay_alu instid0(VALU_DEP_1)
	v_mov_b64_e32 v[52:53], v[22:23]
	v_cmpx_gt_u32_e32 8, v3
; %bb.2972:                             ;   in Loop: Header=BB370_1574 Depth=1
	v_clz_i32_u32_e32 v2, v22
	s_delay_alu instid0(VALU_DEP_1) | instskip(NEXT) | instid1(VALU_DEP_1)
	v_min_u32_e32 v2, 32, v2
	v_subrev_nc_u32_e32 v3, 28, v2
	s_delay_alu instid0(VALU_DEP_1) | instskip(NEXT) | instid1(VALU_DEP_1)
	v_lshlrev_b64_e32 v[4:5], v3, v[22:23]
	v_dual_sub_nc_u32 v2, 29, v2 :: v_dual_bitop2_b32 v52, 7, v4 bitop3:0x40
; %bb.2973:                             ;   in Loop: Header=BB370_1574 Depth=1
	s_or_b32 exec_lo, exec_lo, s19
	s_delay_alu instid0(VALU_DEP_1) | instskip(NEXT) | instid1(VALU_DEP_2)
	v_dual_lshlrev_b32 v3, 16, v18 :: v_dual_lshlrev_b32 v4, 20, v52
	v_lshl_add_u32 v2, v2, 23, 0x3c000000
	s_delay_alu instid0(VALU_DEP_2) | instskip(NEXT) | instid1(VALU_DEP_1)
	v_and_b32_e32 v3, 0x80000000, v3
	v_or3_b32 v82, v4, v3, v2
.LBB370_2974:                           ;   in Loop: Header=BB370_1574 Depth=1
	s_or_b32 exec_lo, exec_lo, s18
.LBB370_2975:                           ;   in Loop: Header=BB370_1574 Depth=1
	s_delay_alu instid0(SALU_CYCLE_1)
	s_or_b32 exec_lo, exec_lo, s17
.LBB370_2976:                           ;   in Loop: Header=BB370_1574 Depth=1
	s_delay_alu instid0(SALU_CYCLE_1) | instskip(SKIP_3) | instid1(VALU_DEP_2)
	s_or_b32 exec_lo, exec_lo, s16
	v_dual_lshrrev_b32 v2, 16, v18 :: v_dual_mov_b32 v84, 0
	v_mov_b32_e32 v83, 0
	s_mov_b32 s16, exec_lo
	v_and_b32_e32 v3, 0xff, v2
	s_delay_alu instid0(VALU_DEP_1)
	v_cmpx_ne_u16_e32 0, v3
	s_cbranch_execz .LBB370_2984
; %bb.2977:                             ;   in Loop: Header=BB370_1574 Depth=1
	v_bfrev_b32_e32 v83, 1
	s_mov_b32 s17, exec_lo
	v_cmpx_ne_u16_e32 0x80, v3
	s_cbranch_execz .LBB370_2983
; %bb.2978:                             ;   in Loop: Header=BB370_1574 Depth=1
	v_bfe_u32 v4, v18, 16, 7
	v_mov_b32_e32 v83, 0x7f800001
	s_mov_b32 s18, exec_lo
	s_delay_alu instid0(VALU_DEP_2)
	v_cmpx_ne_u32_e32 0x7f, v4
	s_cbranch_execz .LBB370_2982
; %bb.2979:                             ;   in Loop: Header=BB370_1574 Depth=1
	v_dual_lshrrev_b32 v3, 3, v4 :: v_dual_bitop2_b32 v22, 7, v2 bitop3:0x40
	s_mov_b32 s19, exec_lo
	s_delay_alu instid0(VALU_DEP_1)
	v_mov_b64_e32 v[52:53], v[22:23]
	v_cmpx_gt_u32_e32 8, v4
; %bb.2980:                             ;   in Loop: Header=BB370_1574 Depth=1
	v_clz_i32_u32_e32 v3, v22
	s_delay_alu instid0(VALU_DEP_1) | instskip(NEXT) | instid1(VALU_DEP_1)
	v_min_u32_e32 v3, 32, v3
	v_subrev_nc_u32_e32 v4, 28, v3
	s_delay_alu instid0(VALU_DEP_1) | instskip(NEXT) | instid1(VALU_DEP_1)
	v_lshlrev_b64_e32 v[4:5], v4, v[22:23]
	v_dual_sub_nc_u32 v3, 29, v3 :: v_dual_bitop2_b32 v52, 7, v4 bitop3:0x40
; %bb.2981:                             ;   in Loop: Header=BB370_1574 Depth=1
	s_or_b32 exec_lo, exec_lo, s19
	s_delay_alu instid0(VALU_DEP_1) | instskip(NEXT) | instid1(VALU_DEP_2)
	v_dual_lshlrev_b32 v2, 24, v2 :: v_dual_lshlrev_b32 v4, 20, v52
	v_lshl_add_u32 v3, v3, 23, 0x3c000000
	s_delay_alu instid0(VALU_DEP_2) | instskip(NEXT) | instid1(VALU_DEP_1)
	v_and_b32_e32 v2, 0x80000000, v2
	v_or3_b32 v83, v4, v2, v3
.LBB370_2982:                           ;   in Loop: Header=BB370_1574 Depth=1
	s_or_b32 exec_lo, exec_lo, s18
.LBB370_2983:                           ;   in Loop: Header=BB370_1574 Depth=1
	s_delay_alu instid0(SALU_CYCLE_1)
	s_or_b32 exec_lo, exec_lo, s17
.LBB370_2984:                           ;   in Loop: Header=BB370_1574 Depth=1
	s_delay_alu instid0(SALU_CYCLE_1) | instskip(NEXT) | instid1(SALU_CYCLE_1)
	s_or_b32 exec_lo, exec_lo, s16
	s_mov_b32 s16, exec_lo
	v_cmpx_lt_u32_e32 0xffffff, v18
	s_cbranch_execz .LBB370_2992
; %bb.2985:                             ;   in Loop: Header=BB370_1574 Depth=1
	v_lshrrev_b32_e32 v2, 24, v18
	v_bfrev_b32_e32 v84, 1
	s_mov_b32 s17, exec_lo
	s_delay_alu instid0(VALU_DEP_2)
	v_cmpx_ne_u32_e32 0x80, v2
	s_cbranch_execz .LBB370_2991
; %bb.2986:                             ;   in Loop: Header=BB370_1574 Depth=1
	v_bfe_u32 v4, v18, 24, 7
	v_mov_b32_e32 v84, 0x7f800001
	s_mov_b32 s18, exec_lo
	s_delay_alu instid0(VALU_DEP_2)
	v_cmpx_ne_u32_e32 0x7f, v4
	s_cbranch_execz .LBB370_2990
; %bb.2987:                             ;   in Loop: Header=BB370_1574 Depth=1
	v_dual_lshrrev_b32 v3, 3, v4 :: v_dual_bitop2_b32 v22, 7, v2 bitop3:0x40
	s_mov_b32 s19, exec_lo
	s_delay_alu instid0(VALU_DEP_1)
	v_mov_b64_e32 v[52:53], v[22:23]
	v_cmpx_gt_u32_e32 8, v4
; %bb.2988:                             ;   in Loop: Header=BB370_1574 Depth=1
	v_clz_i32_u32_e32 v3, v22
	s_delay_alu instid0(VALU_DEP_1) | instskip(NEXT) | instid1(VALU_DEP_1)
	v_min_u32_e32 v3, 32, v3
	v_subrev_nc_u32_e32 v4, 28, v3
	s_delay_alu instid0(VALU_DEP_1) | instskip(NEXT) | instid1(VALU_DEP_1)
	v_lshlrev_b64_e32 v[4:5], v4, v[22:23]
	v_dual_sub_nc_u32 v3, 29, v3 :: v_dual_bitop2_b32 v52, 7, v4 bitop3:0x40
; %bb.2989:                             ;   in Loop: Header=BB370_1574 Depth=1
	s_or_b32 exec_lo, exec_lo, s19
	s_delay_alu instid0(VALU_DEP_1) | instskip(NEXT) | instid1(VALU_DEP_2)
	v_dual_lshlrev_b32 v2, 24, v2 :: v_dual_lshlrev_b32 v4, 20, v52
	v_lshl_add_u32 v3, v3, 23, 0x3c000000
	s_delay_alu instid0(VALU_DEP_2) | instskip(NEXT) | instid1(VALU_DEP_1)
	v_and_b32_e32 v2, 0x80000000, v2
	v_or3_b32 v84, v4, v2, v3
.LBB370_2990:                           ;   in Loop: Header=BB370_1574 Depth=1
	s_or_b32 exec_lo, exec_lo, s18
.LBB370_2991:                           ;   in Loop: Header=BB370_1574 Depth=1
	s_delay_alu instid0(SALU_CYCLE_1)
	s_or_b32 exec_lo, exec_lo, s17
.LBB370_2992:                           ;   in Loop: Header=BB370_1574 Depth=1
	s_delay_alu instid0(SALU_CYCLE_1) | instskip(SKIP_4) | instid1(VALU_DEP_3)
	s_or_b32 exec_lo, exec_lo, s16
	v_and_b32_e32 v3, 0xff, v19
	v_dual_mov_b32 v22, v19 :: v_dual_mov_b32 v2, 0
	v_mov_b32_e32 v81, 0
	s_mov_b32 s16, exec_lo
	v_cmpx_ne_u16_e32 0, v3
	s_cbranch_execz .LBB370_3000
; %bb.2993:                             ;   in Loop: Header=BB370_1574 Depth=1
	v_bfrev_b32_e32 v81, 1
	s_mov_b32 s17, exec_lo
	v_cmpx_ne_u16_e32 0x80, v3
	s_cbranch_execz .LBB370_2999
; %bb.2994:                             ;   in Loop: Header=BB370_1574 Depth=1
	v_and_b32_e32 v4, 0x7f, v19
	v_mov_b32_e32 v81, 0x7f800001
	s_mov_b32 s18, exec_lo
	s_delay_alu instid0(VALU_DEP_2)
	v_cmpx_ne_u32_e32 0x7f, v4
	s_cbranch_execz .LBB370_2998
; %bb.2995:                             ;   in Loop: Header=BB370_1574 Depth=1
	v_mov_b64_e32 v[52:53], v[22:23]
	v_lshrrev_b32_e32 v3, 3, v4
	s_mov_b32 s19, exec_lo
	v_cmpx_gt_u32_e32 8, v4
; %bb.2996:                             ;   in Loop: Header=BB370_1574 Depth=1
	v_and_b32_e32 v3, 7, v19
	s_delay_alu instid0(VALU_DEP_1) | instskip(NEXT) | instid1(VALU_DEP_1)
	v_clz_i32_u32_e32 v3, v3
	v_min_u32_e32 v3, 32, v3
	s_delay_alu instid0(VALU_DEP_1) | instskip(SKIP_1) | instid1(VALU_DEP_2)
	v_subrev_nc_u32_e32 v4, 28, v3
	v_sub_nc_u32_e32 v3, 29, v3
	v_lshlrev_b64_e32 v[52:53], v4, v[22:23]
; %bb.2997:                             ;   in Loop: Header=BB370_1574 Depth=1
	s_or_b32 exec_lo, exec_lo, s19
	s_delay_alu instid0(VALU_DEP_1) | instskip(NEXT) | instid1(VALU_DEP_3)
	v_dual_lshlrev_b32 v4, 20, v52 :: v_dual_lshlrev_b32 v5, 24, v22
	v_lshl_add_u32 v3, v3, 23, 0x3c000000
	s_delay_alu instid0(VALU_DEP_2) | instskip(NEXT) | instid1(VALU_DEP_3)
	v_and_b32_e32 v4, 0x700000, v4
	v_and_b32_e32 v5, 0x80000000, v5
	s_delay_alu instid0(VALU_DEP_1)
	v_or3_b32 v81, v4, v5, v3
.LBB370_2998:                           ;   in Loop: Header=BB370_1574 Depth=1
	s_or_b32 exec_lo, exec_lo, s18
.LBB370_2999:                           ;   in Loop: Header=BB370_1574 Depth=1
	s_delay_alu instid0(SALU_CYCLE_1)
	s_or_b32 exec_lo, exec_lo, s17
.LBB370_3000:                           ;   in Loop: Header=BB370_1574 Depth=1
	s_delay_alu instid0(SALU_CYCLE_1) | instskip(SKIP_2) | instid1(VALU_DEP_1)
	s_or_b32 exec_lo, exec_lo, s16
	v_lshrrev_b16 v3, 8, v22
	s_mov_b32 s16, exec_lo
	v_cmpx_ne_u16_e32 0, v3
	s_cbranch_execz .LBB370_3008
; %bb.3001:                             ;   in Loop: Header=BB370_1574 Depth=1
	v_bfrev_b32_e32 v2, 1
	s_mov_b32 s17, exec_lo
	v_cmpx_ne_u16_e32 0x80, v3
	s_cbranch_execz .LBB370_3007
; %bb.3002:                             ;   in Loop: Header=BB370_1574 Depth=1
	v_and_b32_e32 v4, 0xffff, v3
	v_mov_b32_e32 v2, 0x7f800001
	s_mov_b32 s18, exec_lo
	s_delay_alu instid0(VALU_DEP_2) | instskip(NEXT) | instid1(VALU_DEP_1)
	v_and_b32_e32 v3, 0x7f, v4
	v_cmpx_ne_u32_e32 0x7f, v3
	s_cbranch_execz .LBB370_3006
; %bb.3003:                             ;   in Loop: Header=BB370_1574 Depth=1
	v_dual_mov_b32 v53, v23 :: v_dual_bitop2_b32 v52, 7, v4 bitop3:0x40
	v_lshrrev_b32_e32 v2, 3, v3
	s_mov_b32 s19, exec_lo
	v_cmpx_gt_u32_e32 8, v3
; %bb.3004:                             ;   in Loop: Header=BB370_1574 Depth=1
	s_delay_alu instid0(VALU_DEP_3) | instskip(NEXT) | instid1(VALU_DEP_1)
	v_clz_i32_u32_e32 v2, v52
	v_min_u32_e32 v2, 32, v2
	s_delay_alu instid0(VALU_DEP_1) | instskip(NEXT) | instid1(VALU_DEP_1)
	v_subrev_nc_u32_e32 v3, 28, v2
	v_lshlrev_b64_e32 v[4:5], v3, v[52:53]
	s_delay_alu instid0(VALU_DEP_1)
	v_dual_sub_nc_u32 v2, 29, v2 :: v_dual_bitop2_b32 v52, 7, v4 bitop3:0x40
; %bb.3005:                             ;   in Loop: Header=BB370_1574 Depth=1
	s_or_b32 exec_lo, exec_lo, s19
	s_delay_alu instid0(VALU_DEP_1) | instskip(NEXT) | instid1(VALU_DEP_2)
	v_dual_lshlrev_b32 v3, 16, v22 :: v_dual_lshlrev_b32 v4, 20, v52
	v_lshl_add_u32 v2, v2, 23, 0x3c000000
	s_delay_alu instid0(VALU_DEP_2) | instskip(NEXT) | instid1(VALU_DEP_1)
	v_and_b32_e32 v3, 0x80000000, v3
	v_or3_b32 v2, v4, v3, v2
.LBB370_3006:                           ;   in Loop: Header=BB370_1574 Depth=1
	s_or_b32 exec_lo, exec_lo, s18
.LBB370_3007:                           ;   in Loop: Header=BB370_1574 Depth=1
	s_delay_alu instid0(SALU_CYCLE_1)
	s_or_b32 exec_lo, exec_lo, s17
.LBB370_3008:                           ;   in Loop: Header=BB370_1574 Depth=1
	s_delay_alu instid0(SALU_CYCLE_1) | instskip(SKIP_3) | instid1(VALU_DEP_2)
	s_or_b32 exec_lo, exec_lo, s16
	v_dual_mov_b32 v3, 0 :: v_dual_lshrrev_b32 v80, 16, v19
	v_mov_b32_e32 v4, 0
	s_mov_b32 s16, exec_lo
	v_and_b32_e32 v5, 0xff, v80
	s_delay_alu instid0(VALU_DEP_1)
	v_cmpx_ne_u16_e32 0, v5
	s_cbranch_execz .LBB370_3016
; %bb.3009:                             ;   in Loop: Header=BB370_1574 Depth=1
	v_bfrev_b32_e32 v4, 1
	s_mov_b32 s17, exec_lo
	v_cmpx_ne_u16_e32 0x80, v5
	s_cbranch_execz .LBB370_3015
; %bb.3010:                             ;   in Loop: Header=BB370_1574 Depth=1
	v_bfe_u32 v5, v19, 16, 7
	v_mov_b32_e32 v4, 0x7f800001
	s_mov_b32 s18, exec_lo
	s_delay_alu instid0(VALU_DEP_2)
	v_cmpx_ne_u32_e32 0x7f, v5
	s_cbranch_execz .LBB370_3014
; %bb.3011:                             ;   in Loop: Header=BB370_1574 Depth=1
	v_dual_lshrrev_b32 v4, 3, v5 :: v_dual_bitop2_b32 v22, 7, v80 bitop3:0x40
	s_mov_b32 s19, exec_lo
	s_delay_alu instid0(VALU_DEP_1)
	v_mov_b64_e32 v[52:53], v[22:23]
	v_cmpx_gt_u32_e32 8, v5
; %bb.3012:                             ;   in Loop: Header=BB370_1574 Depth=1
	v_clz_i32_u32_e32 v4, v22
	s_delay_alu instid0(VALU_DEP_1) | instskip(NEXT) | instid1(VALU_DEP_1)
	v_min_u32_e32 v4, 32, v4
	v_subrev_nc_u32_e32 v5, 28, v4
	v_sub_nc_u32_e32 v4, 29, v4
	s_delay_alu instid0(VALU_DEP_2) | instskip(NEXT) | instid1(VALU_DEP_1)
	v_lshlrev_b64_e32 v[52:53], v5, v[22:23]
	v_and_b32_e32 v52, 7, v52
; %bb.3013:                             ;   in Loop: Header=BB370_1574 Depth=1
	s_or_b32 exec_lo, exec_lo, s19
	v_lshlrev_b32_e32 v5, 24, v80
	s_delay_alu instid0(VALU_DEP_2) | instskip(SKIP_1) | instid1(VALU_DEP_3)
	v_lshlrev_b32_e32 v6, 20, v52
	v_lshl_add_u32 v4, v4, 23, 0x3c000000
	v_and_b32_e32 v5, 0x80000000, v5
	s_delay_alu instid0(VALU_DEP_1)
	v_or3_b32 v4, v6, v5, v4
.LBB370_3014:                           ;   in Loop: Header=BB370_1574 Depth=1
	s_or_b32 exec_lo, exec_lo, s18
.LBB370_3015:                           ;   in Loop: Header=BB370_1574 Depth=1
	s_delay_alu instid0(SALU_CYCLE_1)
	s_or_b32 exec_lo, exec_lo, s17
.LBB370_3016:                           ;   in Loop: Header=BB370_1574 Depth=1
	s_delay_alu instid0(SALU_CYCLE_1) | instskip(NEXT) | instid1(SALU_CYCLE_1)
	s_or_b32 exec_lo, exec_lo, s16
	s_mov_b32 s16, exec_lo
	v_cmpx_lt_u64_e64 s[2:3], v[18:19]
	s_cbranch_execz .LBB370_3024
; %bb.3017:                             ;   in Loop: Header=BB370_1574 Depth=1
	v_lshrrev_b32_e32 v5, 24, v19
	v_bfrev_b32_e32 v3, 1
	s_mov_b32 s17, exec_lo
	s_delay_alu instid0(VALU_DEP_2)
	v_cmpx_ne_u32_e32 0x80, v5
	s_cbranch_execz .LBB370_3023
; %bb.3018:                             ;   in Loop: Header=BB370_1574 Depth=1
	v_bfe_u32 v52, v19, 24, 7
	v_mov_b32_e32 v3, 0x7f800001
	s_mov_b32 s18, exec_lo
	s_delay_alu instid0(VALU_DEP_2)
	v_cmpx_ne_u32_e32 0x7f, v52
	s_cbranch_execz .LBB370_3022
; %bb.3019:                             ;   in Loop: Header=BB370_1574 Depth=1
	v_dual_lshrrev_b32 v3, 3, v52 :: v_dual_bitop2_b32 v22, 7, v5 bitop3:0x40
	s_mov_b32 s19, exec_lo
	s_delay_alu instid0(VALU_DEP_1)
	v_mov_b64_e32 v[18:19], v[22:23]
	v_cmpx_gt_u32_e32 8, v52
; %bb.3020:                             ;   in Loop: Header=BB370_1574 Depth=1
	v_clz_i32_u32_e32 v3, v22
	s_delay_alu instid0(VALU_DEP_1) | instskip(NEXT) | instid1(VALU_DEP_1)
	v_min_u32_e32 v3, 32, v3
	v_subrev_nc_u32_e32 v6, 28, v3
	s_delay_alu instid0(VALU_DEP_1) | instskip(NEXT) | instid1(VALU_DEP_1)
	v_lshlrev_b64_e32 v[18:19], v6, v[22:23]
	v_dual_sub_nc_u32 v3, 29, v3 :: v_dual_bitop2_b32 v18, 7, v18 bitop3:0x40
; %bb.3021:                             ;   in Loop: Header=BB370_1574 Depth=1
	s_or_b32 exec_lo, exec_lo, s19
	s_delay_alu instid0(VALU_DEP_1) | instskip(NEXT) | instid1(VALU_DEP_2)
	v_dual_lshlrev_b32 v5, 24, v5 :: v_dual_lshlrev_b32 v6, 20, v18
	v_lshl_add_u32 v3, v3, 23, 0x3c000000
	s_delay_alu instid0(VALU_DEP_2) | instskip(NEXT) | instid1(VALU_DEP_1)
	v_and_b32_e32 v5, 0x80000000, v5
	v_or3_b32 v3, v6, v5, v3
.LBB370_3022:                           ;   in Loop: Header=BB370_1574 Depth=1
	s_or_b32 exec_lo, exec_lo, s18
.LBB370_3023:                           ;   in Loop: Header=BB370_1574 Depth=1
	s_delay_alu instid0(SALU_CYCLE_1)
	s_or_b32 exec_lo, exec_lo, s17
.LBB370_3024:                           ;   in Loop: Header=BB370_1574 Depth=1
	s_delay_alu instid0(SALU_CYCLE_1)
	s_or_b32 exec_lo, exec_lo, s16
	v_fma_mixlo_bf16 v80, v64, v2, 0
	v_fma_mixlo_bf16 v81, v64, v81, 0
	;; [unrolled: 1-line block ×8, first 2 shown]
	s_and_saveexec_b32 s16, vcc_lo
	s_cbranch_execz .LBB370_3026
; %bb.3025:                             ;   in Loop: Header=BB370_1574 Depth=1
	v_cmp_lt_i32_e64 s0, v113, v88
	s_delay_alu instid0(VALU_DEP_1) | instskip(SKIP_1) | instid1(VALU_DEP_1)
	v_cndmask_b32_e64 v87, 0, v87, s0
	v_cmp_lt_i32_e64 s0, v56, v88
	v_cndmask_b32_e64 v86, 0, v86, s0
	v_cmp_lt_i32_e64 s0, v47, v88
	s_delay_alu instid0(VALU_DEP_1) | instskip(SKIP_1) | instid1(VALU_DEP_1)
	v_cndmask_b32_e64 v85, 0, v85, s0
	v_cmp_lt_i32_e64 s0, v46, v88
	v_cndmask_b32_e64 v84, 0, v84, s0
	;; [unrolled: 5-line block ×4, first 2 shown]
.LBB370_3026:                           ;   in Loop: Header=BB370_1574 Depth=1
	s_or_b32 exec_lo, exec_lo, s16
	flat_load_b64 v[18:19], v[0:1] offset:5632
	v_dual_mov_b32 v98, 0 :: v_dual_mov_b32 v54, 0
	s_mov_b32 s16, exec_lo
	s_wait_loadcnt_dscnt 0x0
	v_and_b32_e32 v2, 0xff, v18
	s_wait_xcnt 0x0
	s_delay_alu instid0(VALU_DEP_1)
	v_cmpx_ne_u16_e32 0, v2
	s_cbranch_execz .LBB370_3034
; %bb.3027:                             ;   in Loop: Header=BB370_1574 Depth=1
	v_bfrev_b32_e32 v54, 1
	s_mov_b32 s17, exec_lo
	v_cmpx_ne_u16_e32 0x80, v2
	s_cbranch_execz .LBB370_3033
; %bb.3028:                             ;   in Loop: Header=BB370_1574 Depth=1
	v_and_b32_e32 v3, 0x7f, v18
	v_mov_b32_e32 v54, 0x7f800001
	s_mov_b32 s18, exec_lo
	s_delay_alu instid0(VALU_DEP_2)
	v_cmpx_ne_u32_e32 0x7f, v3
	s_cbranch_execz .LBB370_3032
; %bb.3029:                             ;   in Loop: Header=BB370_1574 Depth=1
	v_mov_b64_e32 v[52:53], v[18:19]
	v_lshrrev_b32_e32 v2, 3, v3
	s_mov_b32 s19, exec_lo
	v_cmpx_gt_u32_e32 8, v3
; %bb.3030:                             ;   in Loop: Header=BB370_1574 Depth=1
	v_and_b32_e32 v2, 7, v18
	s_delay_alu instid0(VALU_DEP_1) | instskip(NEXT) | instid1(VALU_DEP_1)
	v_clz_i32_u32_e32 v2, v2
	v_min_u32_e32 v2, 32, v2
	s_delay_alu instid0(VALU_DEP_1) | instskip(SKIP_1) | instid1(VALU_DEP_2)
	v_subrev_nc_u32_e32 v3, 28, v2
	v_sub_nc_u32_e32 v2, 29, v2
	v_lshlrev_b64_e32 v[52:53], v3, v[18:19]
; %bb.3031:                             ;   in Loop: Header=BB370_1574 Depth=1
	s_or_b32 exec_lo, exec_lo, s19
	s_delay_alu instid0(VALU_DEP_1) | instskip(NEXT) | instid1(VALU_DEP_3)
	v_dual_lshlrev_b32 v3, 20, v52 :: v_dual_lshlrev_b32 v4, 24, v18
	v_lshl_add_u32 v2, v2, 23, 0x3c000000
	s_delay_alu instid0(VALU_DEP_2) | instskip(NEXT) | instid1(VALU_DEP_3)
	v_and_b32_e32 v3, 0x700000, v3
	v_and_b32_e32 v4, 0x80000000, v4
	s_delay_alu instid0(VALU_DEP_1)
	v_or3_b32 v54, v3, v4, v2
.LBB370_3032:                           ;   in Loop: Header=BB370_1574 Depth=1
	s_or_b32 exec_lo, exec_lo, s18
.LBB370_3033:                           ;   in Loop: Header=BB370_1574 Depth=1
	s_delay_alu instid0(SALU_CYCLE_1)
	s_or_b32 exec_lo, exec_lo, s17
.LBB370_3034:                           ;   in Loop: Header=BB370_1574 Depth=1
	s_delay_alu instid0(SALU_CYCLE_1) | instskip(SKIP_2) | instid1(VALU_DEP_1)
	s_or_b32 exec_lo, exec_lo, s16
	v_lshrrev_b16 v2, 8, v18
	s_mov_b32 s16, exec_lo
	v_cmpx_ne_u16_e32 0, v2
	s_cbranch_execz .LBB370_3042
; %bb.3035:                             ;   in Loop: Header=BB370_1574 Depth=1
	v_bfrev_b32_e32 v98, 1
	s_mov_b32 s17, exec_lo
	v_cmpx_ne_u16_e32 0x80, v2
	s_cbranch_execz .LBB370_3041
; %bb.3036:                             ;   in Loop: Header=BB370_1574 Depth=1
	v_and_b32_e32 v2, 0xffff, v2
	v_mov_b32_e32 v98, 0x7f800001
	s_mov_b32 s18, exec_lo
	s_delay_alu instid0(VALU_DEP_2) | instskip(NEXT) | instid1(VALU_DEP_1)
	v_and_b32_e32 v3, 0x7f, v2
	v_cmpx_ne_u32_e32 0x7f, v3
	s_cbranch_execz .LBB370_3040
; %bb.3037:                             ;   in Loop: Header=BB370_1574 Depth=1
	v_dual_lshrrev_b32 v2, 3, v3 :: v_dual_bitop2_b32 v22, 7, v2 bitop3:0x40
	s_mov_b32 s19, exec_lo
	s_delay_alu instid0(VALU_DEP_1)
	v_mov_b64_e32 v[52:53], v[22:23]
	v_cmpx_gt_u32_e32 8, v3
; %bb.3038:                             ;   in Loop: Header=BB370_1574 Depth=1
	v_clz_i32_u32_e32 v2, v22
	s_delay_alu instid0(VALU_DEP_1) | instskip(NEXT) | instid1(VALU_DEP_1)
	v_min_u32_e32 v2, 32, v2
	v_subrev_nc_u32_e32 v3, 28, v2
	s_delay_alu instid0(VALU_DEP_1) | instskip(NEXT) | instid1(VALU_DEP_1)
	v_lshlrev_b64_e32 v[4:5], v3, v[22:23]
	v_dual_sub_nc_u32 v2, 29, v2 :: v_dual_bitop2_b32 v52, 7, v4 bitop3:0x40
; %bb.3039:                             ;   in Loop: Header=BB370_1574 Depth=1
	s_or_b32 exec_lo, exec_lo, s19
	s_delay_alu instid0(VALU_DEP_1) | instskip(NEXT) | instid1(VALU_DEP_2)
	v_dual_lshlrev_b32 v3, 16, v18 :: v_dual_lshlrev_b32 v4, 20, v52
	v_lshl_add_u32 v2, v2, 23, 0x3c000000
	s_delay_alu instid0(VALU_DEP_2) | instskip(NEXT) | instid1(VALU_DEP_1)
	v_and_b32_e32 v3, 0x80000000, v3
	v_or3_b32 v98, v4, v3, v2
.LBB370_3040:                           ;   in Loop: Header=BB370_1574 Depth=1
	s_or_b32 exec_lo, exec_lo, s18
.LBB370_3041:                           ;   in Loop: Header=BB370_1574 Depth=1
	s_delay_alu instid0(SALU_CYCLE_1)
	s_or_b32 exec_lo, exec_lo, s17
.LBB370_3042:                           ;   in Loop: Header=BB370_1574 Depth=1
	s_delay_alu instid0(SALU_CYCLE_1) | instskip(SKIP_3) | instid1(VALU_DEP_2)
	s_or_b32 exec_lo, exec_lo, s16
	v_dual_lshrrev_b32 v2, 16, v18 :: v_dual_mov_b32 v100, 0
	v_mov_b32_e32 v99, 0
	s_mov_b32 s16, exec_lo
	v_and_b32_e32 v3, 0xff, v2
	s_delay_alu instid0(VALU_DEP_1)
	v_cmpx_ne_u16_e32 0, v3
	s_cbranch_execz .LBB370_3050
; %bb.3043:                             ;   in Loop: Header=BB370_1574 Depth=1
	v_bfrev_b32_e32 v99, 1
	s_mov_b32 s17, exec_lo
	v_cmpx_ne_u16_e32 0x80, v3
	s_cbranch_execz .LBB370_3049
; %bb.3044:                             ;   in Loop: Header=BB370_1574 Depth=1
	v_bfe_u32 v4, v18, 16, 7
	v_mov_b32_e32 v99, 0x7f800001
	s_mov_b32 s18, exec_lo
	s_delay_alu instid0(VALU_DEP_2)
	v_cmpx_ne_u32_e32 0x7f, v4
	s_cbranch_execz .LBB370_3048
; %bb.3045:                             ;   in Loop: Header=BB370_1574 Depth=1
	v_dual_lshrrev_b32 v3, 3, v4 :: v_dual_bitop2_b32 v22, 7, v2 bitop3:0x40
	s_mov_b32 s19, exec_lo
	s_delay_alu instid0(VALU_DEP_1)
	v_mov_b64_e32 v[52:53], v[22:23]
	v_cmpx_gt_u32_e32 8, v4
; %bb.3046:                             ;   in Loop: Header=BB370_1574 Depth=1
	v_clz_i32_u32_e32 v3, v22
	s_delay_alu instid0(VALU_DEP_1) | instskip(NEXT) | instid1(VALU_DEP_1)
	v_min_u32_e32 v3, 32, v3
	v_subrev_nc_u32_e32 v4, 28, v3
	s_delay_alu instid0(VALU_DEP_1) | instskip(NEXT) | instid1(VALU_DEP_1)
	v_lshlrev_b64_e32 v[4:5], v4, v[22:23]
	v_dual_sub_nc_u32 v3, 29, v3 :: v_dual_bitop2_b32 v52, 7, v4 bitop3:0x40
; %bb.3047:                             ;   in Loop: Header=BB370_1574 Depth=1
	s_or_b32 exec_lo, exec_lo, s19
	s_delay_alu instid0(VALU_DEP_1) | instskip(NEXT) | instid1(VALU_DEP_2)
	v_dual_lshlrev_b32 v2, 24, v2 :: v_dual_lshlrev_b32 v4, 20, v52
	v_lshl_add_u32 v3, v3, 23, 0x3c000000
	s_delay_alu instid0(VALU_DEP_2) | instskip(NEXT) | instid1(VALU_DEP_1)
	v_and_b32_e32 v2, 0x80000000, v2
	v_or3_b32 v99, v4, v2, v3
.LBB370_3048:                           ;   in Loop: Header=BB370_1574 Depth=1
	s_or_b32 exec_lo, exec_lo, s18
.LBB370_3049:                           ;   in Loop: Header=BB370_1574 Depth=1
	s_delay_alu instid0(SALU_CYCLE_1)
	s_or_b32 exec_lo, exec_lo, s17
.LBB370_3050:                           ;   in Loop: Header=BB370_1574 Depth=1
	s_delay_alu instid0(SALU_CYCLE_1) | instskip(NEXT) | instid1(SALU_CYCLE_1)
	s_or_b32 exec_lo, exec_lo, s16
	s_mov_b32 s16, exec_lo
	v_cmpx_lt_u32_e32 0xffffff, v18
	s_cbranch_execz .LBB370_3058
; %bb.3051:                             ;   in Loop: Header=BB370_1574 Depth=1
	v_lshrrev_b32_e32 v2, 24, v18
	v_bfrev_b32_e32 v100, 1
	s_mov_b32 s17, exec_lo
	s_delay_alu instid0(VALU_DEP_2)
	v_cmpx_ne_u32_e32 0x80, v2
	s_cbranch_execz .LBB370_3057
; %bb.3052:                             ;   in Loop: Header=BB370_1574 Depth=1
	v_bfe_u32 v4, v18, 24, 7
	v_mov_b32_e32 v100, 0x7f800001
	s_mov_b32 s18, exec_lo
	s_delay_alu instid0(VALU_DEP_2)
	v_cmpx_ne_u32_e32 0x7f, v4
	s_cbranch_execz .LBB370_3056
; %bb.3053:                             ;   in Loop: Header=BB370_1574 Depth=1
	v_dual_lshrrev_b32 v3, 3, v4 :: v_dual_bitop2_b32 v22, 7, v2 bitop3:0x40
	s_mov_b32 s19, exec_lo
	s_delay_alu instid0(VALU_DEP_1)
	v_mov_b64_e32 v[52:53], v[22:23]
	v_cmpx_gt_u32_e32 8, v4
; %bb.3054:                             ;   in Loop: Header=BB370_1574 Depth=1
	v_clz_i32_u32_e32 v3, v22
	s_delay_alu instid0(VALU_DEP_1) | instskip(NEXT) | instid1(VALU_DEP_1)
	v_min_u32_e32 v3, 32, v3
	v_subrev_nc_u32_e32 v4, 28, v3
	s_delay_alu instid0(VALU_DEP_1) | instskip(NEXT) | instid1(VALU_DEP_1)
	v_lshlrev_b64_e32 v[4:5], v4, v[22:23]
	v_dual_sub_nc_u32 v3, 29, v3 :: v_dual_bitop2_b32 v52, 7, v4 bitop3:0x40
; %bb.3055:                             ;   in Loop: Header=BB370_1574 Depth=1
	s_or_b32 exec_lo, exec_lo, s19
	s_delay_alu instid0(VALU_DEP_1) | instskip(NEXT) | instid1(VALU_DEP_2)
	v_dual_lshlrev_b32 v2, 24, v2 :: v_dual_lshlrev_b32 v4, 20, v52
	v_lshl_add_u32 v3, v3, 23, 0x3c000000
	s_delay_alu instid0(VALU_DEP_2) | instskip(NEXT) | instid1(VALU_DEP_1)
	v_and_b32_e32 v2, 0x80000000, v2
	v_or3_b32 v100, v4, v2, v3
.LBB370_3056:                           ;   in Loop: Header=BB370_1574 Depth=1
	s_or_b32 exec_lo, exec_lo, s18
.LBB370_3057:                           ;   in Loop: Header=BB370_1574 Depth=1
	s_delay_alu instid0(SALU_CYCLE_1)
	s_or_b32 exec_lo, exec_lo, s17
.LBB370_3058:                           ;   in Loop: Header=BB370_1574 Depth=1
	s_delay_alu instid0(SALU_CYCLE_1) | instskip(SKIP_4) | instid1(VALU_DEP_3)
	s_or_b32 exec_lo, exec_lo, s16
	v_and_b32_e32 v3, 0xff, v19
	v_dual_mov_b32 v22, v19 :: v_dual_mov_b32 v2, 0
	v_mov_b32_e32 v97, 0
	s_mov_b32 s16, exec_lo
	v_cmpx_ne_u16_e32 0, v3
	s_cbranch_execz .LBB370_3066
; %bb.3059:                             ;   in Loop: Header=BB370_1574 Depth=1
	v_bfrev_b32_e32 v97, 1
	s_mov_b32 s17, exec_lo
	v_cmpx_ne_u16_e32 0x80, v3
	s_cbranch_execz .LBB370_3065
; %bb.3060:                             ;   in Loop: Header=BB370_1574 Depth=1
	v_and_b32_e32 v4, 0x7f, v19
	v_mov_b32_e32 v97, 0x7f800001
	s_mov_b32 s18, exec_lo
	s_delay_alu instid0(VALU_DEP_2)
	v_cmpx_ne_u32_e32 0x7f, v4
	s_cbranch_execz .LBB370_3064
; %bb.3061:                             ;   in Loop: Header=BB370_1574 Depth=1
	v_mov_b64_e32 v[52:53], v[22:23]
	v_lshrrev_b32_e32 v3, 3, v4
	s_mov_b32 s19, exec_lo
	v_cmpx_gt_u32_e32 8, v4
; %bb.3062:                             ;   in Loop: Header=BB370_1574 Depth=1
	v_and_b32_e32 v3, 7, v19
	s_delay_alu instid0(VALU_DEP_1) | instskip(NEXT) | instid1(VALU_DEP_1)
	v_clz_i32_u32_e32 v3, v3
	v_min_u32_e32 v3, 32, v3
	s_delay_alu instid0(VALU_DEP_1) | instskip(SKIP_1) | instid1(VALU_DEP_2)
	v_subrev_nc_u32_e32 v4, 28, v3
	v_sub_nc_u32_e32 v3, 29, v3
	v_lshlrev_b64_e32 v[52:53], v4, v[22:23]
; %bb.3063:                             ;   in Loop: Header=BB370_1574 Depth=1
	s_or_b32 exec_lo, exec_lo, s19
	s_delay_alu instid0(VALU_DEP_1) | instskip(NEXT) | instid1(VALU_DEP_3)
	v_dual_lshlrev_b32 v4, 20, v52 :: v_dual_lshlrev_b32 v5, 24, v22
	v_lshl_add_u32 v3, v3, 23, 0x3c000000
	s_delay_alu instid0(VALU_DEP_2) | instskip(NEXT) | instid1(VALU_DEP_3)
	v_and_b32_e32 v4, 0x700000, v4
	v_and_b32_e32 v5, 0x80000000, v5
	s_delay_alu instid0(VALU_DEP_1)
	v_or3_b32 v97, v4, v5, v3
.LBB370_3064:                           ;   in Loop: Header=BB370_1574 Depth=1
	s_or_b32 exec_lo, exec_lo, s18
.LBB370_3065:                           ;   in Loop: Header=BB370_1574 Depth=1
	s_delay_alu instid0(SALU_CYCLE_1)
	s_or_b32 exec_lo, exec_lo, s17
.LBB370_3066:                           ;   in Loop: Header=BB370_1574 Depth=1
	s_delay_alu instid0(SALU_CYCLE_1) | instskip(SKIP_2) | instid1(VALU_DEP_1)
	s_or_b32 exec_lo, exec_lo, s16
	v_lshrrev_b16 v3, 8, v22
	s_mov_b32 s16, exec_lo
	v_cmpx_ne_u16_e32 0, v3
	s_cbranch_execz .LBB370_3074
; %bb.3067:                             ;   in Loop: Header=BB370_1574 Depth=1
	v_bfrev_b32_e32 v2, 1
	s_mov_b32 s17, exec_lo
	v_cmpx_ne_u16_e32 0x80, v3
	s_cbranch_execz .LBB370_3073
; %bb.3068:                             ;   in Loop: Header=BB370_1574 Depth=1
	v_and_b32_e32 v4, 0xffff, v3
	v_mov_b32_e32 v2, 0x7f800001
	s_mov_b32 s18, exec_lo
	s_delay_alu instid0(VALU_DEP_2) | instskip(NEXT) | instid1(VALU_DEP_1)
	v_and_b32_e32 v3, 0x7f, v4
	v_cmpx_ne_u32_e32 0x7f, v3
	s_cbranch_execz .LBB370_3072
; %bb.3069:                             ;   in Loop: Header=BB370_1574 Depth=1
	v_dual_mov_b32 v53, v23 :: v_dual_bitop2_b32 v52, 7, v4 bitop3:0x40
	v_lshrrev_b32_e32 v2, 3, v3
	s_mov_b32 s19, exec_lo
	v_cmpx_gt_u32_e32 8, v3
; %bb.3070:                             ;   in Loop: Header=BB370_1574 Depth=1
	s_delay_alu instid0(VALU_DEP_3) | instskip(NEXT) | instid1(VALU_DEP_1)
	v_clz_i32_u32_e32 v2, v52
	v_min_u32_e32 v2, 32, v2
	s_delay_alu instid0(VALU_DEP_1) | instskip(NEXT) | instid1(VALU_DEP_1)
	v_subrev_nc_u32_e32 v3, 28, v2
	v_lshlrev_b64_e32 v[4:5], v3, v[52:53]
	s_delay_alu instid0(VALU_DEP_1)
	v_dual_sub_nc_u32 v2, 29, v2 :: v_dual_bitop2_b32 v52, 7, v4 bitop3:0x40
; %bb.3071:                             ;   in Loop: Header=BB370_1574 Depth=1
	s_or_b32 exec_lo, exec_lo, s19
	s_delay_alu instid0(VALU_DEP_1) | instskip(NEXT) | instid1(VALU_DEP_2)
	v_dual_lshlrev_b32 v3, 16, v22 :: v_dual_lshlrev_b32 v4, 20, v52
	v_lshl_add_u32 v2, v2, 23, 0x3c000000
	s_delay_alu instid0(VALU_DEP_2) | instskip(NEXT) | instid1(VALU_DEP_1)
	v_and_b32_e32 v3, 0x80000000, v3
	v_or3_b32 v2, v4, v3, v2
.LBB370_3072:                           ;   in Loop: Header=BB370_1574 Depth=1
	s_or_b32 exec_lo, exec_lo, s18
.LBB370_3073:                           ;   in Loop: Header=BB370_1574 Depth=1
	s_delay_alu instid0(SALU_CYCLE_1)
	s_or_b32 exec_lo, exec_lo, s17
.LBB370_3074:                           ;   in Loop: Header=BB370_1574 Depth=1
	s_delay_alu instid0(SALU_CYCLE_1) | instskip(SKIP_3) | instid1(VALU_DEP_2)
	s_or_b32 exec_lo, exec_lo, s16
	v_dual_mov_b32 v3, 0 :: v_dual_lshrrev_b32 v96, 16, v19
	v_mov_b32_e32 v4, 0
	s_mov_b32 s16, exec_lo
	v_and_b32_e32 v5, 0xff, v96
	s_delay_alu instid0(VALU_DEP_1)
	v_cmpx_ne_u16_e32 0, v5
	s_cbranch_execz .LBB370_3082
; %bb.3075:                             ;   in Loop: Header=BB370_1574 Depth=1
	v_bfrev_b32_e32 v4, 1
	s_mov_b32 s17, exec_lo
	v_cmpx_ne_u16_e32 0x80, v5
	s_cbranch_execz .LBB370_3081
; %bb.3076:                             ;   in Loop: Header=BB370_1574 Depth=1
	v_bfe_u32 v5, v19, 16, 7
	v_mov_b32_e32 v4, 0x7f800001
	s_mov_b32 s18, exec_lo
	s_delay_alu instid0(VALU_DEP_2)
	v_cmpx_ne_u32_e32 0x7f, v5
	s_cbranch_execz .LBB370_3080
; %bb.3077:                             ;   in Loop: Header=BB370_1574 Depth=1
	v_dual_lshrrev_b32 v4, 3, v5 :: v_dual_bitop2_b32 v22, 7, v96 bitop3:0x40
	s_mov_b32 s19, exec_lo
	s_delay_alu instid0(VALU_DEP_1)
	v_mov_b64_e32 v[52:53], v[22:23]
	v_cmpx_gt_u32_e32 8, v5
; %bb.3078:                             ;   in Loop: Header=BB370_1574 Depth=1
	v_clz_i32_u32_e32 v4, v22
	s_delay_alu instid0(VALU_DEP_1) | instskip(NEXT) | instid1(VALU_DEP_1)
	v_min_u32_e32 v4, 32, v4
	v_subrev_nc_u32_e32 v5, 28, v4
	v_sub_nc_u32_e32 v4, 29, v4
	s_delay_alu instid0(VALU_DEP_2) | instskip(NEXT) | instid1(VALU_DEP_1)
	v_lshlrev_b64_e32 v[52:53], v5, v[22:23]
	v_and_b32_e32 v52, 7, v52
; %bb.3079:                             ;   in Loop: Header=BB370_1574 Depth=1
	s_or_b32 exec_lo, exec_lo, s19
	v_lshlrev_b32_e32 v5, 24, v96
	s_delay_alu instid0(VALU_DEP_2) | instskip(SKIP_1) | instid1(VALU_DEP_3)
	v_lshlrev_b32_e32 v6, 20, v52
	v_lshl_add_u32 v4, v4, 23, 0x3c000000
	v_and_b32_e32 v5, 0x80000000, v5
	s_delay_alu instid0(VALU_DEP_1)
	v_or3_b32 v4, v6, v5, v4
.LBB370_3080:                           ;   in Loop: Header=BB370_1574 Depth=1
	s_or_b32 exec_lo, exec_lo, s18
.LBB370_3081:                           ;   in Loop: Header=BB370_1574 Depth=1
	s_delay_alu instid0(SALU_CYCLE_1)
	s_or_b32 exec_lo, exec_lo, s17
.LBB370_3082:                           ;   in Loop: Header=BB370_1574 Depth=1
	s_delay_alu instid0(SALU_CYCLE_1) | instskip(NEXT) | instid1(SALU_CYCLE_1)
	s_or_b32 exec_lo, exec_lo, s16
	s_mov_b32 s16, exec_lo
	v_cmpx_lt_u64_e64 s[2:3], v[18:19]
	s_cbranch_execz .LBB370_3090
; %bb.3083:                             ;   in Loop: Header=BB370_1574 Depth=1
	v_lshrrev_b32_e32 v5, 24, v19
	v_bfrev_b32_e32 v3, 1
	s_mov_b32 s17, exec_lo
	s_delay_alu instid0(VALU_DEP_2)
	v_cmpx_ne_u32_e32 0x80, v5
	s_cbranch_execz .LBB370_3089
; %bb.3084:                             ;   in Loop: Header=BB370_1574 Depth=1
	v_bfe_u32 v52, v19, 24, 7
	v_mov_b32_e32 v3, 0x7f800001
	s_mov_b32 s18, exec_lo
	s_delay_alu instid0(VALU_DEP_2)
	v_cmpx_ne_u32_e32 0x7f, v52
	s_cbranch_execz .LBB370_3088
; %bb.3085:                             ;   in Loop: Header=BB370_1574 Depth=1
	v_dual_lshrrev_b32 v3, 3, v52 :: v_dual_bitop2_b32 v22, 7, v5 bitop3:0x40
	s_mov_b32 s19, exec_lo
	s_delay_alu instid0(VALU_DEP_1)
	v_mov_b64_e32 v[18:19], v[22:23]
	v_cmpx_gt_u32_e32 8, v52
; %bb.3086:                             ;   in Loop: Header=BB370_1574 Depth=1
	v_clz_i32_u32_e32 v3, v22
	s_delay_alu instid0(VALU_DEP_1) | instskip(NEXT) | instid1(VALU_DEP_1)
	v_min_u32_e32 v3, 32, v3
	v_subrev_nc_u32_e32 v6, 28, v3
	s_delay_alu instid0(VALU_DEP_1) | instskip(NEXT) | instid1(VALU_DEP_1)
	v_lshlrev_b64_e32 v[18:19], v6, v[22:23]
	v_dual_sub_nc_u32 v3, 29, v3 :: v_dual_bitop2_b32 v18, 7, v18 bitop3:0x40
; %bb.3087:                             ;   in Loop: Header=BB370_1574 Depth=1
	s_or_b32 exec_lo, exec_lo, s19
	s_delay_alu instid0(VALU_DEP_1) | instskip(NEXT) | instid1(VALU_DEP_2)
	v_dual_lshlrev_b32 v5, 24, v5 :: v_dual_lshlrev_b32 v6, 20, v18
	v_lshl_add_u32 v3, v3, 23, 0x3c000000
	s_delay_alu instid0(VALU_DEP_2) | instskip(NEXT) | instid1(VALU_DEP_1)
	v_and_b32_e32 v5, 0x80000000, v5
	v_or3_b32 v3, v6, v5, v3
.LBB370_3088:                           ;   in Loop: Header=BB370_1574 Depth=1
	s_or_b32 exec_lo, exec_lo, s18
.LBB370_3089:                           ;   in Loop: Header=BB370_1574 Depth=1
	s_delay_alu instid0(SALU_CYCLE_1)
	s_or_b32 exec_lo, exec_lo, s17
.LBB370_3090:                           ;   in Loop: Header=BB370_1574 Depth=1
	s_delay_alu instid0(SALU_CYCLE_1)
	s_or_b32 exec_lo, exec_lo, s16
	v_fma_mixlo_bf16 v96, v64, v2, 0
	v_fma_mixlo_bf16 v97, v64, v97, 0
	;; [unrolled: 1-line block ×8, first 2 shown]
	s_and_saveexec_b32 s16, vcc_lo
	s_cbranch_execz .LBB370_3092
; %bb.3091:                             ;   in Loop: Header=BB370_1574 Depth=1
	v_cmp_lt_i32_e64 s0, v113, v88
	s_delay_alu instid0(VALU_DEP_1) | instskip(SKIP_1) | instid1(VALU_DEP_1)
	v_cndmask_b32_e64 v103, 0, v103, s0
	v_cmp_lt_i32_e64 s0, v56, v88
	v_cndmask_b32_e64 v102, 0, v102, s0
	v_cmp_lt_i32_e64 s0, v47, v88
	s_delay_alu instid0(VALU_DEP_1) | instskip(SKIP_1) | instid1(VALU_DEP_1)
	v_cndmask_b32_e64 v101, 0, v101, s0
	v_cmp_lt_i32_e64 s0, v46, v88
	v_cndmask_b32_e64 v100, 0, v100, s0
	;; [unrolled: 5-line block ×4, first 2 shown]
.LBB370_3092:                           ;   in Loop: Header=BB370_1574 Depth=1
	s_or_b32 exec_lo, exec_lo, s16
	flat_load_b64 v[0:1], v[0:1] offset:5888
	v_dual_mov_b32 v53, 0 :: v_dual_mov_b32 v54, 0
	s_mov_b32 s16, exec_lo
	s_wait_loadcnt_dscnt 0x0
	v_and_b32_e32 v2, 0xff, v0
	s_wait_xcnt 0x0
	s_delay_alu instid0(VALU_DEP_1)
	v_cmpx_ne_u16_e32 0, v2
	s_cbranch_execz .LBB370_3100
; %bb.3093:                             ;   in Loop: Header=BB370_1574 Depth=1
	v_bfrev_b32_e32 v54, 1
	s_mov_b32 s17, exec_lo
	v_cmpx_ne_u16_e32 0x80, v2
	s_cbranch_execz .LBB370_3099
; %bb.3094:                             ;   in Loop: Header=BB370_1574 Depth=1
	v_and_b32_e32 v3, 0x7f, v0
	v_mov_b32_e32 v54, 0x7f800001
	s_mov_b32 s18, exec_lo
	s_delay_alu instid0(VALU_DEP_2)
	v_cmpx_ne_u32_e32 0x7f, v3
	s_cbranch_execz .LBB370_3098
; %bb.3095:                             ;   in Loop: Header=BB370_1574 Depth=1
	v_mov_b64_e32 v[18:19], v[0:1]
	v_lshrrev_b32_e32 v2, 3, v3
	s_mov_b32 s19, exec_lo
	v_cmpx_gt_u32_e32 8, v3
; %bb.3096:                             ;   in Loop: Header=BB370_1574 Depth=1
	v_and_b32_e32 v2, 7, v0
	s_delay_alu instid0(VALU_DEP_1) | instskip(NEXT) | instid1(VALU_DEP_1)
	v_clz_i32_u32_e32 v2, v2
	v_min_u32_e32 v2, 32, v2
	s_delay_alu instid0(VALU_DEP_1) | instskip(SKIP_1) | instid1(VALU_DEP_2)
	v_subrev_nc_u32_e32 v3, 28, v2
	v_sub_nc_u32_e32 v2, 29, v2
	v_lshlrev_b64_e32 v[18:19], v3, v[0:1]
; %bb.3097:                             ;   in Loop: Header=BB370_1574 Depth=1
	s_or_b32 exec_lo, exec_lo, s19
	s_delay_alu instid0(VALU_DEP_1) | instskip(NEXT) | instid1(VALU_DEP_3)
	v_dual_lshlrev_b32 v3, 20, v18 :: v_dual_lshlrev_b32 v4, 24, v0
	v_lshl_add_u32 v2, v2, 23, 0x3c000000
	s_delay_alu instid0(VALU_DEP_2) | instskip(NEXT) | instid1(VALU_DEP_3)
	v_and_b32_e32 v3, 0x700000, v3
	v_and_b32_e32 v4, 0x80000000, v4
	s_delay_alu instid0(VALU_DEP_1)
	v_or3_b32 v54, v3, v4, v2
.LBB370_3098:                           ;   in Loop: Header=BB370_1574 Depth=1
	s_or_b32 exec_lo, exec_lo, s18
.LBB370_3099:                           ;   in Loop: Header=BB370_1574 Depth=1
	s_delay_alu instid0(SALU_CYCLE_1)
	s_or_b32 exec_lo, exec_lo, s17
.LBB370_3100:                           ;   in Loop: Header=BB370_1574 Depth=1
	s_delay_alu instid0(SALU_CYCLE_1) | instskip(SKIP_2) | instid1(VALU_DEP_1)
	s_or_b32 exec_lo, exec_lo, s16
	v_lshrrev_b16 v2, 8, v0
	s_mov_b32 s16, exec_lo
	v_cmpx_ne_u16_e32 0, v2
	s_cbranch_execz .LBB370_3108
; %bb.3101:                             ;   in Loop: Header=BB370_1574 Depth=1
	v_bfrev_b32_e32 v53, 1
	s_mov_b32 s17, exec_lo
	v_cmpx_ne_u16_e32 0x80, v2
	s_cbranch_execz .LBB370_3107
; %bb.3102:                             ;   in Loop: Header=BB370_1574 Depth=1
	v_and_b32_e32 v2, 0xffff, v2
	v_mov_b32_e32 v53, 0x7f800001
	s_mov_b32 s18, exec_lo
	s_delay_alu instid0(VALU_DEP_2) | instskip(NEXT) | instid1(VALU_DEP_1)
	v_and_b32_e32 v3, 0x7f, v2
	v_cmpx_ne_u32_e32 0x7f, v3
	s_cbranch_execz .LBB370_3106
; %bb.3103:                             ;   in Loop: Header=BB370_1574 Depth=1
	v_dual_lshrrev_b32 v2, 3, v3 :: v_dual_bitop2_b32 v22, 7, v2 bitop3:0x40
	s_mov_b32 s19, exec_lo
	s_delay_alu instid0(VALU_DEP_1)
	v_mov_b64_e32 v[18:19], v[22:23]
	v_cmpx_gt_u32_e32 8, v3
; %bb.3104:                             ;   in Loop: Header=BB370_1574 Depth=1
	v_clz_i32_u32_e32 v2, v22
	s_delay_alu instid0(VALU_DEP_1) | instskip(NEXT) | instid1(VALU_DEP_1)
	v_min_u32_e32 v2, 32, v2
	v_subrev_nc_u32_e32 v3, 28, v2
	s_delay_alu instid0(VALU_DEP_1) | instskip(NEXT) | instid1(VALU_DEP_1)
	v_lshlrev_b64_e32 v[4:5], v3, v[22:23]
	v_dual_sub_nc_u32 v2, 29, v2 :: v_dual_bitop2_b32 v18, 7, v4 bitop3:0x40
; %bb.3105:                             ;   in Loop: Header=BB370_1574 Depth=1
	s_or_b32 exec_lo, exec_lo, s19
	s_delay_alu instid0(VALU_DEP_1) | instskip(NEXT) | instid1(VALU_DEP_2)
	v_dual_lshlrev_b32 v3, 16, v0 :: v_dual_lshlrev_b32 v4, 20, v18
	v_lshl_add_u32 v2, v2, 23, 0x3c000000
	s_delay_alu instid0(VALU_DEP_2) | instskip(NEXT) | instid1(VALU_DEP_1)
	v_and_b32_e32 v3, 0x80000000, v3
	v_or3_b32 v53, v4, v3, v2
.LBB370_3106:                           ;   in Loop: Header=BB370_1574 Depth=1
	s_or_b32 exec_lo, exec_lo, s18
.LBB370_3107:                           ;   in Loop: Header=BB370_1574 Depth=1
	s_delay_alu instid0(SALU_CYCLE_1)
	s_or_b32 exec_lo, exec_lo, s17
.LBB370_3108:                           ;   in Loop: Header=BB370_1574 Depth=1
	s_delay_alu instid0(SALU_CYCLE_1) | instskip(SKIP_3) | instid1(VALU_DEP_2)
	s_or_b32 exec_lo, exec_lo, s16
	v_dual_lshrrev_b32 v2, 16, v0 :: v_dual_mov_b32 v112, 0
	v_mov_b32_e32 v52, 0
	s_mov_b32 s16, exec_lo
	v_and_b32_e32 v3, 0xff, v2
	s_delay_alu instid0(VALU_DEP_1)
	v_cmpx_ne_u16_e32 0, v3
	s_cbranch_execz .LBB370_3116
; %bb.3109:                             ;   in Loop: Header=BB370_1574 Depth=1
	v_bfrev_b32_e32 v52, 1
	s_mov_b32 s17, exec_lo
	v_cmpx_ne_u16_e32 0x80, v3
	s_cbranch_execz .LBB370_3115
; %bb.3110:                             ;   in Loop: Header=BB370_1574 Depth=1
	v_bfe_u32 v4, v0, 16, 7
	v_mov_b32_e32 v52, 0x7f800001
	s_mov_b32 s18, exec_lo
	s_delay_alu instid0(VALU_DEP_2)
	v_cmpx_ne_u32_e32 0x7f, v4
	s_cbranch_execz .LBB370_3114
; %bb.3111:                             ;   in Loop: Header=BB370_1574 Depth=1
	v_dual_lshrrev_b32 v3, 3, v4 :: v_dual_bitop2_b32 v22, 7, v2 bitop3:0x40
	s_mov_b32 s19, exec_lo
	s_delay_alu instid0(VALU_DEP_1)
	v_mov_b64_e32 v[18:19], v[22:23]
	v_cmpx_gt_u32_e32 8, v4
; %bb.3112:                             ;   in Loop: Header=BB370_1574 Depth=1
	v_clz_i32_u32_e32 v3, v22
	s_delay_alu instid0(VALU_DEP_1) | instskip(NEXT) | instid1(VALU_DEP_1)
	v_min_u32_e32 v3, 32, v3
	v_subrev_nc_u32_e32 v4, 28, v3
	s_delay_alu instid0(VALU_DEP_1) | instskip(NEXT) | instid1(VALU_DEP_1)
	v_lshlrev_b64_e32 v[4:5], v4, v[22:23]
	v_dual_sub_nc_u32 v3, 29, v3 :: v_dual_bitop2_b32 v18, 7, v4 bitop3:0x40
; %bb.3113:                             ;   in Loop: Header=BB370_1574 Depth=1
	s_or_b32 exec_lo, exec_lo, s19
	v_lshlrev_b32_e32 v2, 24, v2
	s_delay_alu instid0(VALU_DEP_2) | instskip(NEXT) | instid1(VALU_DEP_3)
	v_lshlrev_b32_e32 v4, 20, v18
	v_lshl_add_u32 v3, v3, 23, 0x3c000000
	s_delay_alu instid0(VALU_DEP_3) | instskip(NEXT) | instid1(VALU_DEP_1)
	v_and_b32_e32 v2, 0x80000000, v2
	v_or3_b32 v52, v4, v2, v3
.LBB370_3114:                           ;   in Loop: Header=BB370_1574 Depth=1
	s_or_b32 exec_lo, exec_lo, s18
.LBB370_3115:                           ;   in Loop: Header=BB370_1574 Depth=1
	s_delay_alu instid0(SALU_CYCLE_1)
	s_or_b32 exec_lo, exec_lo, s17
.LBB370_3116:                           ;   in Loop: Header=BB370_1574 Depth=1
	s_delay_alu instid0(SALU_CYCLE_1) | instskip(NEXT) | instid1(SALU_CYCLE_1)
	s_or_b32 exec_lo, exec_lo, s16
	s_mov_b32 s16, exec_lo
	v_cmpx_lt_u32_e32 0xffffff, v0
	s_cbranch_execz .LBB370_3124
; %bb.3117:                             ;   in Loop: Header=BB370_1574 Depth=1
	v_lshrrev_b32_e32 v2, 24, v0
	v_bfrev_b32_e32 v112, 1
	s_mov_b32 s17, exec_lo
	s_delay_alu instid0(VALU_DEP_2)
	v_cmpx_ne_u32_e32 0x80, v2
	s_cbranch_execz .LBB370_3123
; %bb.3118:                             ;   in Loop: Header=BB370_1574 Depth=1
	v_bfe_u32 v4, v0, 24, 7
	v_mov_b32_e32 v112, 0x7f800001
	s_mov_b32 s18, exec_lo
	s_delay_alu instid0(VALU_DEP_2)
	v_cmpx_ne_u32_e32 0x7f, v4
	s_cbranch_execz .LBB370_3122
; %bb.3119:                             ;   in Loop: Header=BB370_1574 Depth=1
	v_dual_lshrrev_b32 v3, 3, v4 :: v_dual_bitop2_b32 v22, 7, v2 bitop3:0x40
	s_mov_b32 s19, exec_lo
	s_delay_alu instid0(VALU_DEP_1)
	v_mov_b64_e32 v[18:19], v[22:23]
	v_cmpx_gt_u32_e32 8, v4
; %bb.3120:                             ;   in Loop: Header=BB370_1574 Depth=1
	v_clz_i32_u32_e32 v3, v22
	s_delay_alu instid0(VALU_DEP_1) | instskip(NEXT) | instid1(VALU_DEP_1)
	v_min_u32_e32 v3, 32, v3
	v_subrev_nc_u32_e32 v4, 28, v3
	s_delay_alu instid0(VALU_DEP_1) | instskip(NEXT) | instid1(VALU_DEP_1)
	v_lshlrev_b64_e32 v[4:5], v4, v[22:23]
	v_dual_sub_nc_u32 v3, 29, v3 :: v_dual_bitop2_b32 v18, 7, v4 bitop3:0x40
; %bb.3121:                             ;   in Loop: Header=BB370_1574 Depth=1
	s_or_b32 exec_lo, exec_lo, s19
	v_lshlrev_b32_e32 v2, 24, v2
	s_delay_alu instid0(VALU_DEP_2) | instskip(NEXT) | instid1(VALU_DEP_3)
	v_lshlrev_b32_e32 v4, 20, v18
	v_lshl_add_u32 v3, v3, 23, 0x3c000000
	s_delay_alu instid0(VALU_DEP_3) | instskip(NEXT) | instid1(VALU_DEP_1)
	v_and_b32_e32 v2, 0x80000000, v2
	v_or3_b32 v112, v4, v2, v3
.LBB370_3122:                           ;   in Loop: Header=BB370_1574 Depth=1
	s_or_b32 exec_lo, exec_lo, s18
.LBB370_3123:                           ;   in Loop: Header=BB370_1574 Depth=1
	s_delay_alu instid0(SALU_CYCLE_1)
	s_or_b32 exec_lo, exec_lo, s17
.LBB370_3124:                           ;   in Loop: Header=BB370_1574 Depth=1
	s_delay_alu instid0(SALU_CYCLE_1) | instskip(SKIP_4) | instid1(VALU_DEP_3)
	s_or_b32 exec_lo, exec_lo, s16
	v_and_b32_e32 v4, 0xff, v1
	v_dual_mov_b32 v22, v1 :: v_dual_mov_b32 v3, 0
	v_mov_b32_e32 v2, 0
	s_mov_b32 s16, exec_lo
	v_cmpx_ne_u16_e32 0, v4
	s_cbranch_execz .LBB370_3132
; %bb.3125:                             ;   in Loop: Header=BB370_1574 Depth=1
	v_bfrev_b32_e32 v2, 1
	s_mov_b32 s17, exec_lo
	v_cmpx_ne_u16_e32 0x80, v4
	s_cbranch_execz .LBB370_3131
; %bb.3126:                             ;   in Loop: Header=BB370_1574 Depth=1
	v_and_b32_e32 v4, 0x7f, v1
	v_mov_b32_e32 v2, 0x7f800001
	s_mov_b32 s18, exec_lo
	s_delay_alu instid0(VALU_DEP_2)
	v_cmpx_ne_u32_e32 0x7f, v4
	s_cbranch_execz .LBB370_3130
; %bb.3127:                             ;   in Loop: Header=BB370_1574 Depth=1
	v_mov_b64_e32 v[18:19], v[22:23]
	v_lshrrev_b32_e32 v2, 3, v4
	s_mov_b32 s19, exec_lo
	v_cmpx_gt_u32_e32 8, v4
; %bb.3128:                             ;   in Loop: Header=BB370_1574 Depth=1
	v_and_b32_e32 v2, 7, v1
	s_delay_alu instid0(VALU_DEP_1) | instskip(NEXT) | instid1(VALU_DEP_1)
	v_clz_i32_u32_e32 v2, v2
	v_min_u32_e32 v2, 32, v2
	s_delay_alu instid0(VALU_DEP_1) | instskip(SKIP_1) | instid1(VALU_DEP_2)
	v_subrev_nc_u32_e32 v4, 28, v2
	v_sub_nc_u32_e32 v2, 29, v2
	v_lshlrev_b64_e32 v[18:19], v4, v[22:23]
; %bb.3129:                             ;   in Loop: Header=BB370_1574 Depth=1
	s_or_b32 exec_lo, exec_lo, s19
	s_delay_alu instid0(VALU_DEP_1) | instskip(SKIP_2) | instid1(VALU_DEP_3)
	v_lshlrev_b32_e32 v4, 20, v18
	v_lshlrev_b32_e32 v5, 24, v22
	v_lshl_add_u32 v2, v2, 23, 0x3c000000
	v_and_b32_e32 v4, 0x700000, v4
	s_delay_alu instid0(VALU_DEP_3) | instskip(NEXT) | instid1(VALU_DEP_1)
	v_and_b32_e32 v5, 0x80000000, v5
	v_or3_b32 v2, v4, v5, v2
.LBB370_3130:                           ;   in Loop: Header=BB370_1574 Depth=1
	s_or_b32 exec_lo, exec_lo, s18
.LBB370_3131:                           ;   in Loop: Header=BB370_1574 Depth=1
	s_delay_alu instid0(SALU_CYCLE_1)
	s_or_b32 exec_lo, exec_lo, s17
.LBB370_3132:                           ;   in Loop: Header=BB370_1574 Depth=1
	s_delay_alu instid0(SALU_CYCLE_1) | instskip(SKIP_2) | instid1(VALU_DEP_1)
	s_or_b32 exec_lo, exec_lo, s16
	v_lshrrev_b16 v4, 8, v22
	s_mov_b32 s16, exec_lo
	v_cmpx_ne_u16_e32 0, v4
	s_cbranch_execz .LBB370_3140
; %bb.3133:                             ;   in Loop: Header=BB370_1574 Depth=1
	v_bfrev_b32_e32 v3, 1
	s_mov_b32 s17, exec_lo
	v_cmpx_ne_u16_e32 0x80, v4
	s_cbranch_execz .LBB370_3139
; %bb.3134:                             ;   in Loop: Header=BB370_1574 Depth=1
	v_and_b32_e32 v5, 0xffff, v4
	v_mov_b32_e32 v3, 0x7f800001
	s_mov_b32 s18, exec_lo
	s_delay_alu instid0(VALU_DEP_2) | instskip(NEXT) | instid1(VALU_DEP_1)
	v_and_b32_e32 v4, 0x7f, v5
	v_cmpx_ne_u32_e32 0x7f, v4
	s_cbranch_execz .LBB370_3138
; %bb.3135:                             ;   in Loop: Header=BB370_1574 Depth=1
	v_dual_mov_b32 v19, v23 :: v_dual_bitop2_b32 v18, 7, v5 bitop3:0x40
	v_lshrrev_b32_e32 v3, 3, v4
	s_mov_b32 s19, exec_lo
	v_cmpx_gt_u32_e32 8, v4
; %bb.3136:                             ;   in Loop: Header=BB370_1574 Depth=1
	s_delay_alu instid0(VALU_DEP_3) | instskip(NEXT) | instid1(VALU_DEP_1)
	v_clz_i32_u32_e32 v3, v18
	v_min_u32_e32 v3, 32, v3
	s_delay_alu instid0(VALU_DEP_1) | instskip(NEXT) | instid1(VALU_DEP_1)
	v_subrev_nc_u32_e32 v4, 28, v3
	v_lshlrev_b64_e32 v[4:5], v4, v[18:19]
	s_delay_alu instid0(VALU_DEP_1)
	v_dual_sub_nc_u32 v3, 29, v3 :: v_dual_bitop2_b32 v18, 7, v4 bitop3:0x40
; %bb.3137:                             ;   in Loop: Header=BB370_1574 Depth=1
	s_or_b32 exec_lo, exec_lo, s19
	v_lshlrev_b32_e32 v4, 16, v22
	s_delay_alu instid0(VALU_DEP_2) | instskip(NEXT) | instid1(VALU_DEP_3)
	v_lshlrev_b32_e32 v5, 20, v18
	v_lshl_add_u32 v3, v3, 23, 0x3c000000
	s_delay_alu instid0(VALU_DEP_3) | instskip(NEXT) | instid1(VALU_DEP_1)
	v_and_b32_e32 v4, 0x80000000, v4
	v_or3_b32 v3, v5, v4, v3
.LBB370_3138:                           ;   in Loop: Header=BB370_1574 Depth=1
	s_or_b32 exec_lo, exec_lo, s18
.LBB370_3139:                           ;   in Loop: Header=BB370_1574 Depth=1
	s_delay_alu instid0(SALU_CYCLE_1)
	s_or_b32 exec_lo, exec_lo, s17
.LBB370_3140:                           ;   in Loop: Header=BB370_1574 Depth=1
	s_delay_alu instid0(SALU_CYCLE_1) | instskip(SKIP_3) | instid1(VALU_DEP_2)
	s_or_b32 exec_lo, exec_lo, s16
	v_dual_mov_b32 v4, 0 :: v_dual_lshrrev_b32 v5, 16, v1
	v_mov_b32_e32 v18, 0
	s_mov_b32 s16, exec_lo
	v_and_b32_e32 v6, 0xff, v5
	s_delay_alu instid0(VALU_DEP_1)
	v_cmpx_ne_u16_e32 0, v6
	s_cbranch_execz .LBB370_3148
; %bb.3141:                             ;   in Loop: Header=BB370_1574 Depth=1
	v_bfrev_b32_e32 v18, 1
	s_mov_b32 s17, exec_lo
	v_cmpx_ne_u16_e32 0x80, v6
	s_cbranch_execz .LBB370_3147
; %bb.3142:                             ;   in Loop: Header=BB370_1574 Depth=1
	v_bfe_u32 v6, v1, 16, 7
	v_mov_b32_e32 v18, 0x7f800001
	s_mov_b32 s18, exec_lo
	s_delay_alu instid0(VALU_DEP_2)
	v_cmpx_ne_u32_e32 0x7f, v6
	s_cbranch_execz .LBB370_3146
; %bb.3143:                             ;   in Loop: Header=BB370_1574 Depth=1
	v_and_b32_e32 v22, 7, v5
	s_mov_b32 s19, exec_lo
	s_delay_alu instid0(VALU_DEP_1)
	v_mov_b64_e32 v[18:19], v[22:23]
	v_lshrrev_b32_e32 v19, 3, v6
	v_cmpx_gt_u32_e32 8, v6
; %bb.3144:                             ;   in Loop: Header=BB370_1574 Depth=1
	v_clz_i32_u32_e32 v6, v22
	s_delay_alu instid0(VALU_DEP_1) | instskip(NEXT) | instid1(VALU_DEP_1)
	v_min_u32_e32 v6, 32, v6
	v_subrev_nc_u32_e32 v18, 28, v6
	s_delay_alu instid0(VALU_DEP_1) | instskip(SKIP_1) | instid1(VALU_DEP_2)
	v_lshlrev_b64_e32 v[18:19], v18, v[22:23]
	v_sub_nc_u32_e32 v19, 29, v6
	v_and_b32_e32 v18, 7, v18
; %bb.3145:                             ;   in Loop: Header=BB370_1574 Depth=1
	s_or_b32 exec_lo, exec_lo, s19
	s_delay_alu instid0(VALU_DEP_1) | instskip(NEXT) | instid1(VALU_DEP_3)
	v_dual_lshlrev_b32 v5, 24, v5 :: v_dual_lshlrev_b32 v6, 20, v18
	v_lshl_add_u32 v18, v19, 23, 0x3c000000
	s_delay_alu instid0(VALU_DEP_2) | instskip(NEXT) | instid1(VALU_DEP_1)
	v_and_b32_e32 v5, 0x80000000, v5
	v_or3_b32 v18, v6, v5, v18
.LBB370_3146:                           ;   in Loop: Header=BB370_1574 Depth=1
	s_or_b32 exec_lo, exec_lo, s18
.LBB370_3147:                           ;   in Loop: Header=BB370_1574 Depth=1
	s_delay_alu instid0(SALU_CYCLE_1)
	s_or_b32 exec_lo, exec_lo, s17
.LBB370_3148:                           ;   in Loop: Header=BB370_1574 Depth=1
	s_delay_alu instid0(SALU_CYCLE_1) | instskip(NEXT) | instid1(SALU_CYCLE_1)
	s_or_b32 exec_lo, exec_lo, s16
	s_mov_b32 s16, exec_lo
	v_cmpx_lt_u64_e64 s[2:3], v[0:1]
	s_cbranch_execz .LBB370_3156
; %bb.3149:                             ;   in Loop: Header=BB370_1574 Depth=1
	v_lshrrev_b32_e32 v5, 24, v1
	v_bfrev_b32_e32 v4, 1
	s_mov_b32 s17, exec_lo
	s_delay_alu instid0(VALU_DEP_2)
	v_cmpx_ne_u32_e32 0x80, v5
	s_cbranch_execz .LBB370_3155
; %bb.3150:                             ;   in Loop: Header=BB370_1574 Depth=1
	v_bfe_u32 v6, v1, 24, 7
	v_mov_b32_e32 v4, 0x7f800001
	s_mov_b32 s18, exec_lo
	s_delay_alu instid0(VALU_DEP_2)
	v_cmpx_ne_u32_e32 0x7f, v6
	s_cbranch_execz .LBB370_3154
; %bb.3151:                             ;   in Loop: Header=BB370_1574 Depth=1
	v_and_b32_e32 v22, 7, v5
	s_mov_b32 s19, exec_lo
	s_delay_alu instid0(VALU_DEP_1)
	v_mov_b64_e32 v[0:1], v[22:23]
	v_lshrrev_b32_e32 v1, 3, v6
	v_cmpx_gt_u32_e32 8, v6
; %bb.3152:                             ;   in Loop: Header=BB370_1574 Depth=1
	v_clz_i32_u32_e32 v0, v22
	s_delay_alu instid0(VALU_DEP_1) | instskip(NEXT) | instid1(VALU_DEP_1)
	v_min_u32_e32 v4, 32, v0
	v_subrev_nc_u32_e32 v0, 28, v4
	s_delay_alu instid0(VALU_DEP_1) | instskip(SKIP_1) | instid1(VALU_DEP_2)
	v_lshlrev_b64_e32 v[0:1], v0, v[22:23]
	v_sub_nc_u32_e32 v1, 29, v4
	v_and_b32_e32 v0, 7, v0
; %bb.3153:                             ;   in Loop: Header=BB370_1574 Depth=1
	s_or_b32 exec_lo, exec_lo, s19
	s_delay_alu instid0(VALU_DEP_1) | instskip(NEXT) | instid1(VALU_DEP_3)
	v_dual_lshlrev_b32 v4, 24, v5 :: v_dual_lshlrev_b32 v0, 20, v0
	v_lshl_add_u32 v1, v1, 23, 0x3c000000
	s_delay_alu instid0(VALU_DEP_2) | instskip(NEXT) | instid1(VALU_DEP_1)
	v_and_b32_e32 v4, 0x80000000, v4
	v_or3_b32 v4, v0, v4, v1
.LBB370_3154:                           ;   in Loop: Header=BB370_1574 Depth=1
	s_or_b32 exec_lo, exec_lo, s18
.LBB370_3155:                           ;   in Loop: Header=BB370_1574 Depth=1
	s_delay_alu instid0(SALU_CYCLE_1)
	s_or_b32 exec_lo, exec_lo, s17
.LBB370_3156:                           ;   in Loop: Header=BB370_1574 Depth=1
	s_delay_alu instid0(SALU_CYCLE_1)
	s_or_b32 exec_lo, exec_lo, s16
	v_fma_mixlo_bf16 v1, v64, v3, 0
	v_fma_mixlo_bf16 v19, v64, v2, 0
	;; [unrolled: 1-line block ×8, first 2 shown]
	s_and_saveexec_b32 s0, vcc_lo
	s_cbranch_execz .LBB370_1573
; %bb.3157:                             ;   in Loop: Header=BB370_1574 Depth=1
	v_cmp_lt_i32_e32 vcc_lo, v113, v88
	v_cndmask_b32_e32 v54, 0, v54, vcc_lo
	v_cmp_lt_i32_e32 vcc_lo, v56, v88
	v_cndmask_b32_e32 v53, 0, v53, vcc_lo
	;; [unrolled: 2-line block ×8, first 2 shown]
	s_branch .LBB370_1573
.LBB370_3158:
	s_or_b32 exec_lo, exec_lo, s9
	s_clause 0x1
	scratch_load_b32 v49, off, s32 offset:996
	scratch_load_b32 v64, off, s32 offset:1004
	v_mov_b64_e32 v[0:1], s[10:11]
.LBB370_3159:
	s_wait_xcnt 0x0
	s_or_b32 exec_lo, exec_lo, s1
	s_delay_alu instid0(VALU_DEP_1)
	v_lshl_add_u64 v[0:1], v[0:1], 2, s[6:7]
	s_wait_loadcnt 0x0
	s_wait_storecnt 0x0
	s_barrier_signal -1
	s_barrier_wait -1
	global_load_b32 v48, v[0:1], off
	s_wait_xcnt 0x0
	ds_bpermute_b32 v0, v64, v38
	ds_bpermute_b32 v1, v64, v39
	;; [unrolled: 1-line block ×18, first 2 shown]
	s_mov_b32 s0, exec_lo
	s_wait_dscnt 0x10
	v_pk_add_f32 v[0:1], v[38:39], v[0:1]
	s_wait_dscnt 0xe
	v_pk_add_f32 v[2:3], v[36:37], v[2:3]
	;; [unrolled: 2-line block ×3, first 2 shown]
	ds_bpermute_b32 v8, v49, v0
	ds_bpermute_b32 v9, v49, v1
	;; [unrolled: 1-line block ×4, first 2 shown]
	s_wait_dscnt 0xe
	v_pk_add_f32 v[6:7], v[32:33], v[6:7]
	ds_bpermute_b32 v32, v64, v20
	ds_bpermute_b32 v33, v64, v21
	s_wait_dscnt 0xe
	v_pk_add_f32 v[28:29], v[28:29], v[18:19]
	ds_bpermute_b32 v18, v64, v12
	ds_bpermute_b32 v19, v64, v13
	;; [unrolled: 1-line block ×4, first 2 shown]
	s_wait_dscnt 0x10
	v_pk_add_f32 v[4:5], v[34:35], v[4:5]
	ds_bpermute_b32 v34, v64, v24
	ds_bpermute_b32 v35, v64, v25
	s_wait_dscnt 0x10
	v_pk_add_f32 v[10:11], v[30:31], v[10:11]
	s_wait_dscnt 0xe
	v_pk_add_f32 v[50:51], v[16:17], v[50:51]
	;; [unrolled: 2-line block ×3, first 2 shown]
	ds_bpermute_b32 v38, v49, v4
	ds_bpermute_b32 v39, v49, v5
	;; [unrolled: 1-line block ×8, first 2 shown]
	s_wait_dscnt 0xe
	v_pk_add_f32 v[32:33], v[20:21], v[32:33]
	v_pk_add_f32 v[20:21], v[0:1], v[8:9]
	ds_bpermute_b32 v80, v49, v50
	s_wait_dscnt 0xd
	v_pk_add_f32 v[22:23], v[12:13], v[18:19]
	v_pk_add_f32 v[18:19], v[2:3], v[36:37]
	s_wait_dscnt 0xb
	v_pk_add_f32 v[8:9], v[26:27], v[66:67]
	s_clause 0x1
	scratch_load_b32 v36, off, s32 offset:1604
	scratch_load_b32 v26, off, s32 offset:1608
	s_wait_dscnt 0x9
	v_pk_add_f32 v[34:35], v[24:25], v[34:35]
	ds_bpermute_b32 v70, v49, v32
	ds_bpermute_b32 v71, v49, v33
	;; [unrolled: 1-line block ×9, first 2 shown]
	s_wait_dscnt 0x10
	v_pk_add_f32 v[16:17], v[4:5], v[38:39]
	s_wait_dscnt 0xe
	v_pk_add_f32 v[14:15], v[6:7], v[54:55]
	;; [unrolled: 2-line block ×8, first 2 shown]
	s_wait_loadcnt 0x1
	v_and_b32_e32 v27, 0x3c3, v36
	s_wait_loadcnt 0x0
	v_and_b32_e32 v26, 28, v26
	s_delay_alu instid0(VALU_DEP_2) | instskip(SKIP_1) | instid1(SALU_CYCLE_1)
	v_cmpx_ne_u32_e32 64, v27
	s_xor_b32 s0, exec_lo, s0
	s_or_saveexec_b32 s0, s0
	s_wait_dscnt 0x0
	v_pk_add_f32 v[22:23], v[22:23], v[24:25]
	scratch_load_b32 v24, off, s32 offset:1608 th:TH_LOAD_LU ; 4-byte Folded Reload
	v_add_nc_u32_e32 v25, v48, v26
	scratch_load_b32 v26, off, s32 offset:1612 th:TH_LOAD_LU ; 4-byte Folded Reload
	s_wait_loadcnt 0x1
	v_lshrrev_b32_e32 v24, 2, v24
	s_wait_loadcnt 0x0
	v_mul_u32_u24_e32 v26, 0x300, v26
	s_xor_b32 exec_lo, exec_lo, s0
	s_cbranch_execz .LBB370_3161
; %bb.3160:
	s_delay_alu instid0(VALU_DEP_1) | instskip(NEXT) | instid1(VALU_DEP_1)
	v_add_nc_u32_e32 v27, v25, v26
	v_add_nc_u32_e32 v28, 0xfffffa00, v27
	;; [unrolled: 1-line block ×9, first 2 shown]
	ds_store_b32 v28, v20
	ds_store_b32 v29, v21
	;; [unrolled: 1-line block ×8, first 2 shown]
	v_add_nc_u32_e32 v28, 0xfffffb00, v27
	v_add_nc_u32_e32 v29, 0xfffffb20, v27
	;; [unrolled: 1-line block ×8, first 2 shown]
	ds_store_b32 v28, v12
	ds_store_b32 v29, v13
	;; [unrolled: 1-line block ×8, first 2 shown]
	v_add_nc_u32_e32 v28, 0xfffffc00, v27
	v_add_nc_u32_e32 v29, 0xfffffc20, v27
	;; [unrolled: 1-line block ×8, first 2 shown]
	ds_store_b32 v28, v4
	ds_store_b32 v29, v5
	;; [unrolled: 1-line block ×8, first 2 shown]
.LBB370_3161:
	s_or_b32 exec_lo, exec_lo, s0
	v_lshlrev_b32_e32 v24, 2, v24
	v_and_b32_e32 v27, 3, v36
	s_mov_b32 s1, exec_lo
	s_wait_dscnt 0x0
	s_barrier_signal -1
	v_add3_u32 v24, v48, v26, v24
	v_cmp_eq_u32_e32 vcc_lo, 0, v27
	s_barrier_wait -1
	v_cmpx_gt_u32_e32 64, v36
	s_cbranch_execz .LBB370_3188
; %bb.3162:
	s_and_saveexec_b32 s0, vcc_lo
	s_cbranch_execnz .LBB370_3220
; %bb.3163:
	s_or_b32 exec_lo, exec_lo, s0
	s_and_saveexec_b32 s0, vcc_lo
	s_cbranch_execnz .LBB370_3221
.LBB370_3164:
	s_or_b32 exec_lo, exec_lo, s0
	s_and_saveexec_b32 s0, vcc_lo
	s_cbranch_execnz .LBB370_3222
.LBB370_3165:
	s_or_b32 exec_lo, exec_lo, s0
	s_and_saveexec_b32 s0, vcc_lo
	s_cbranch_execnz .LBB370_3223
.LBB370_3166:
	s_or_b32 exec_lo, exec_lo, s0
	s_and_saveexec_b32 s0, vcc_lo
	s_cbranch_execnz .LBB370_3224
.LBB370_3167:
	s_or_b32 exec_lo, exec_lo, s0
	s_and_saveexec_b32 s0, vcc_lo
	s_cbranch_execnz .LBB370_3225
.LBB370_3168:
	s_or_b32 exec_lo, exec_lo, s0
	s_and_saveexec_b32 s0, vcc_lo
	s_cbranch_execnz .LBB370_3226
.LBB370_3169:
	s_or_b32 exec_lo, exec_lo, s0
	s_and_saveexec_b32 s0, vcc_lo
	s_cbranch_execnz .LBB370_3227
.LBB370_3170:
	s_or_b32 exec_lo, exec_lo, s0
	s_and_saveexec_b32 s0, vcc_lo
	s_cbranch_execnz .LBB370_3228
.LBB370_3171:
	s_or_b32 exec_lo, exec_lo, s0
	s_and_saveexec_b32 s0, vcc_lo
	s_cbranch_execnz .LBB370_3229
.LBB370_3172:
	s_or_b32 exec_lo, exec_lo, s0
	s_and_saveexec_b32 s0, vcc_lo
	s_cbranch_execnz .LBB370_3230
.LBB370_3173:
	s_or_b32 exec_lo, exec_lo, s0
	s_and_saveexec_b32 s0, vcc_lo
	s_cbranch_execnz .LBB370_3231
.LBB370_3174:
	s_or_b32 exec_lo, exec_lo, s0
	s_and_saveexec_b32 s0, vcc_lo
	s_cbranch_execnz .LBB370_3232
.LBB370_3175:
	s_or_b32 exec_lo, exec_lo, s0
	s_and_saveexec_b32 s0, vcc_lo
	s_cbranch_execnz .LBB370_3233
.LBB370_3176:
	s_or_b32 exec_lo, exec_lo, s0
	s_and_saveexec_b32 s0, vcc_lo
	s_cbranch_execnz .LBB370_3234
.LBB370_3177:
	s_or_b32 exec_lo, exec_lo, s0
	s_and_saveexec_b32 s0, vcc_lo
	s_cbranch_execnz .LBB370_3235
.LBB370_3178:
	s_or_b32 exec_lo, exec_lo, s0
	s_and_saveexec_b32 s0, vcc_lo
	s_cbranch_execnz .LBB370_3236
.LBB370_3179:
	s_or_b32 exec_lo, exec_lo, s0
	s_and_saveexec_b32 s0, vcc_lo
	s_cbranch_execnz .LBB370_3237
.LBB370_3180:
	s_or_b32 exec_lo, exec_lo, s0
	s_and_saveexec_b32 s0, vcc_lo
	s_cbranch_execnz .LBB370_3238
.LBB370_3181:
	s_or_b32 exec_lo, exec_lo, s0
	s_and_saveexec_b32 s0, vcc_lo
	s_cbranch_execnz .LBB370_3239
.LBB370_3182:
	s_or_b32 exec_lo, exec_lo, s0
	s_and_saveexec_b32 s0, vcc_lo
	s_cbranch_execnz .LBB370_3240
.LBB370_3183:
	s_or_b32 exec_lo, exec_lo, s0
	s_and_saveexec_b32 s0, vcc_lo
	s_cbranch_execnz .LBB370_3241
.LBB370_3184:
	s_or_b32 exec_lo, exec_lo, s0
	s_and_saveexec_b32 s0, vcc_lo
	s_cbranch_execnz .LBB370_3242
.LBB370_3185:
	s_or_b32 exec_lo, exec_lo, s0
	s_and_saveexec_b32 s0, vcc_lo
	s_cbranch_execz .LBB370_3187
.LBB370_3186:
	ds_load_b32 v26, v24 offset:736
	s_wait_dscnt 0x0
	v_add_f32_e32 v23, v26, v23
.LBB370_3187:
	s_or_b32 exec_lo, exec_lo, s0
.LBB370_3188:
	s_delay_alu instid0(SALU_CYCLE_1) | instskip(SKIP_4) | instid1(VALU_DEP_1)
	s_or_b32 exec_lo, exec_lo, s1
	v_and_b32_e32 v26, 0x3e3, v36
	s_mov_b32 s1, exec_lo
	s_barrier_signal -1
	s_barrier_wait -1
	v_cmpx_eq_u32_e32 32, v26
	s_cbranch_execz .LBB370_3190
; %bb.3189:
	ds_store_2addr_b32 v25, v20, v21 offset1:8
	ds_store_2addr_b32 v25, v18, v19 offset0:16 offset1:24
	ds_store_2addr_b32 v25, v16, v17 offset0:32 offset1:40
	;; [unrolled: 1-line block ×11, first 2 shown]
.LBB370_3190:
	s_or_b32 exec_lo, exec_lo, s1
	s_delay_alu instid0(SALU_CYCLE_1)
	s_mov_b32 s1, exec_lo
	s_wait_dscnt 0x0
	s_barrier_signal -1
	s_barrier_wait -1
	v_cmpx_gt_u32_e32 32, v36
	s_cbranch_execz .LBB370_3217
; %bb.3191:
	s_and_saveexec_b32 s0, vcc_lo
	s_cbranch_execnz .LBB370_3243
; %bb.3192:
	s_or_b32 exec_lo, exec_lo, s0
	s_and_saveexec_b32 s0, vcc_lo
	s_cbranch_execnz .LBB370_3244
.LBB370_3193:
	s_or_b32 exec_lo, exec_lo, s0
	s_and_saveexec_b32 s0, vcc_lo
	s_cbranch_execnz .LBB370_3245
.LBB370_3194:
	s_or_b32 exec_lo, exec_lo, s0
	s_and_saveexec_b32 s0, vcc_lo
	s_cbranch_execnz .LBB370_3246
.LBB370_3195:
	s_or_b32 exec_lo, exec_lo, s0
	s_and_saveexec_b32 s0, vcc_lo
	s_cbranch_execnz .LBB370_3247
.LBB370_3196:
	s_or_b32 exec_lo, exec_lo, s0
	s_and_saveexec_b32 s0, vcc_lo
	s_cbranch_execnz .LBB370_3248
.LBB370_3197:
	s_or_b32 exec_lo, exec_lo, s0
	s_and_saveexec_b32 s0, vcc_lo
	s_cbranch_execnz .LBB370_3249
.LBB370_3198:
	s_or_b32 exec_lo, exec_lo, s0
	s_and_saveexec_b32 s0, vcc_lo
	s_cbranch_execnz .LBB370_3250
.LBB370_3199:
	s_or_b32 exec_lo, exec_lo, s0
	s_and_saveexec_b32 s0, vcc_lo
	s_cbranch_execnz .LBB370_3251
.LBB370_3200:
	s_or_b32 exec_lo, exec_lo, s0
	s_and_saveexec_b32 s0, vcc_lo
	s_cbranch_execnz .LBB370_3252
.LBB370_3201:
	s_or_b32 exec_lo, exec_lo, s0
	s_and_saveexec_b32 s0, vcc_lo
	s_cbranch_execnz .LBB370_3253
.LBB370_3202:
	s_or_b32 exec_lo, exec_lo, s0
	s_and_saveexec_b32 s0, vcc_lo
	s_cbranch_execnz .LBB370_3254
.LBB370_3203:
	s_or_b32 exec_lo, exec_lo, s0
	s_and_saveexec_b32 s0, vcc_lo
	s_cbranch_execnz .LBB370_3255
.LBB370_3204:
	s_or_b32 exec_lo, exec_lo, s0
	s_and_saveexec_b32 s0, vcc_lo
	s_cbranch_execnz .LBB370_3256
.LBB370_3205:
	s_or_b32 exec_lo, exec_lo, s0
	s_and_saveexec_b32 s0, vcc_lo
	s_cbranch_execnz .LBB370_3257
.LBB370_3206:
	s_or_b32 exec_lo, exec_lo, s0
	s_and_saveexec_b32 s0, vcc_lo
	s_cbranch_execnz .LBB370_3258
.LBB370_3207:
	s_or_b32 exec_lo, exec_lo, s0
	s_and_saveexec_b32 s0, vcc_lo
	s_cbranch_execnz .LBB370_3259
.LBB370_3208:
	s_or_b32 exec_lo, exec_lo, s0
	s_and_saveexec_b32 s0, vcc_lo
	s_cbranch_execnz .LBB370_3260
.LBB370_3209:
	s_or_b32 exec_lo, exec_lo, s0
	s_and_saveexec_b32 s0, vcc_lo
	s_cbranch_execnz .LBB370_3261
.LBB370_3210:
	s_or_b32 exec_lo, exec_lo, s0
	s_and_saveexec_b32 s0, vcc_lo
	s_cbranch_execnz .LBB370_3262
.LBB370_3211:
	s_or_b32 exec_lo, exec_lo, s0
	s_and_saveexec_b32 s0, vcc_lo
	s_cbranch_execnz .LBB370_3263
.LBB370_3212:
	s_or_b32 exec_lo, exec_lo, s0
	s_and_saveexec_b32 s0, vcc_lo
	s_cbranch_execnz .LBB370_3264
.LBB370_3213:
	s_or_b32 exec_lo, exec_lo, s0
	s_and_saveexec_b32 s0, vcc_lo
	s_cbranch_execnz .LBB370_3265
.LBB370_3214:
	s_or_b32 exec_lo, exec_lo, s0
	s_and_saveexec_b32 s0, vcc_lo
	s_cbranch_execz .LBB370_3216
.LBB370_3215:
	ds_load_b32 v24, v24 offset:736
	s_wait_dscnt 0x0
	v_add_f32_e32 v23, v24, v23
.LBB370_3216:
	s_or_b32 exec_lo, exec_lo, s0
.LBB370_3217:
	s_delay_alu instid0(SALU_CYCLE_1)
	s_or_b32 exec_lo, exec_lo, s1
	s_mov_b32 s1, 0
	s_mov_b32 s2, exec_lo
	s_barrier_signal -1
	s_barrier_wait -1
	v_cmpx_eq_u32_e32 0, v26
	s_cbranch_execz .LBB370_3219
; %bb.3218:
	scratch_load_b64 v[24:25], off, s32 offset:1640 th:TH_LOAD_LU ; 8-byte Folded Reload
	s_and_b32 s0, 0xffff, s15
	v_dual_mov_b32 v27, 0 :: v_dual_lshrrev_b32 v26, 1, v36
	s_cmp_lg_u32 s0, 0
	s_cselect_b32 s0, -1, 0
	s_delay_alu instid0(SALU_CYCLE_1)
	s_cmp_lg_u32 s0, 0
	s_wait_kmcnt 0x0
	s_add_co_ci_u32 s0, s5, 0
	s_bfe_u32 s8, ttmp6, 0x40014
	s_mul_i32 s5, s0, s13
	s_lshr_b32 s3, ttmp7, 16
	s_mul_i32 s5, s5, s14
	s_add_co_i32 s8, s8, 1
	s_mul_i32 s6, s5, 0xc0
	s_bfe_u32 s9, ttmp6, 0x40008
	s_ashr_i32 s7, s6, 31
	s_mul_i32 s4, s4, s0
	s_mul_i32 s0, s3, s8
	s_ashr_i32 s5, s4, 31
	s_add_co_i32 s9, s9, s0
	s_cmp_eq_u32 s12, 0
	s_cselect_b32 s0, s3, s9
	s_delay_alu instid0(SALU_CYCLE_1) | instskip(NEXT) | instid1(SALU_CYCLE_1)
	s_mulk_i32 s0, 0x180
	v_cvt_pk_bf16_f32 v28, v20, s0
	v_cvt_pk_bf16_f32 v29, v21, s0
	;; [unrolled: 1-line block ×22, first 2 shown]
	s_wait_loadcnt 0x0
	v_lshl_add_u64 v[24:25], s[6:7], 1, v[24:25]
	s_delay_alu instid0(VALU_DEP_1) | instskip(NEXT) | instid1(VALU_DEP_1)
	v_lshl_add_u64 v[24:25], s[4:5], 1, v[24:25]
	v_add_nc_u64_e32 v[24:25], s[0:1], v[24:25]
	s_delay_alu instid0(VALU_DEP_1)
	v_add_nc_u64_e32 v[20:21], v[24:25], v[26:27]
	s_clause 0xf
	flat_store_b16 v[20:21], v28
	flat_store_b16 v[20:21], v29 offset:16
	flat_store_b16 v[20:21], v18 offset:32
	;; [unrolled: 1-line block ×15, first 2 shown]
	s_wait_xcnt 0x1
	v_cvt_pk_bf16_f32 v6, v22, s0
	s_wait_xcnt 0x0
	v_cvt_pk_bf16_f32 v7, v23, s0
	s_clause 0x7
	flat_store_b16 v[20:21], v4 offset:256
	flat_store_b16 v[20:21], v5 offset:272
	;; [unrolled: 1-line block ×8, first 2 shown]
.LBB370_3219:
	s_wait_xcnt 0x0
	s_or_b32 exec_lo, exec_lo, s2
	s_clause 0x2f
	scratch_load_b32 v127, off, s32
	scratch_load_b32 v126, off, s32 offset:4
	scratch_load_b32 v125, off, s32 offset:8
	;; [unrolled: 1-line block ×47, first 2 shown]
	s_wait_loadcnt_dscnt 0x0
	s_wait_kmcnt 0x0
	s_set_pc_i64 s[30:31]
.LBB370_3220:
	ds_load_b32 v26, v24
	s_wait_dscnt 0x0
	v_add_f32_e32 v20, v26, v20
	s_or_b32 exec_lo, exec_lo, s0
	s_and_saveexec_b32 s0, vcc_lo
	s_cbranch_execz .LBB370_3164
.LBB370_3221:
	ds_load_b32 v26, v24 offset:32
	s_wait_dscnt 0x0
	v_add_f32_e32 v21, v26, v21
	s_or_b32 exec_lo, exec_lo, s0
	s_and_saveexec_b32 s0, vcc_lo
	s_cbranch_execz .LBB370_3165
.LBB370_3222:
	ds_load_b32 v26, v24 offset:64
	s_wait_dscnt 0x0
	v_add_f32_e32 v18, v26, v18
	s_or_b32 exec_lo, exec_lo, s0
	s_and_saveexec_b32 s0, vcc_lo
	s_cbranch_execz .LBB370_3166
.LBB370_3223:
	ds_load_b32 v26, v24 offset:96
	s_wait_dscnt 0x0
	v_add_f32_e32 v19, v26, v19
	s_or_b32 exec_lo, exec_lo, s0
	s_and_saveexec_b32 s0, vcc_lo
	s_cbranch_execz .LBB370_3167
.LBB370_3224:
	ds_load_b32 v26, v24 offset:128
	s_wait_dscnt 0x0
	v_add_f32_e32 v16, v26, v16
	s_or_b32 exec_lo, exec_lo, s0
	s_and_saveexec_b32 s0, vcc_lo
	s_cbranch_execz .LBB370_3168
.LBB370_3225:
	ds_load_b32 v26, v24 offset:160
	s_wait_dscnt 0x0
	v_add_f32_e32 v17, v26, v17
	s_or_b32 exec_lo, exec_lo, s0
	s_and_saveexec_b32 s0, vcc_lo
	s_cbranch_execz .LBB370_3169
.LBB370_3226:
	ds_load_b32 v26, v24 offset:192
	s_wait_dscnt 0x0
	v_add_f32_e32 v14, v26, v14
	s_or_b32 exec_lo, exec_lo, s0
	s_and_saveexec_b32 s0, vcc_lo
	s_cbranch_execz .LBB370_3170
.LBB370_3227:
	ds_load_b32 v26, v24 offset:224
	s_wait_dscnt 0x0
	v_add_f32_e32 v15, v26, v15
	s_or_b32 exec_lo, exec_lo, s0
	s_and_saveexec_b32 s0, vcc_lo
	s_cbranch_execz .LBB370_3171
.LBB370_3228:
	ds_load_b32 v26, v24 offset:256
	s_wait_dscnt 0x0
	v_add_f32_e32 v12, v26, v12
	s_or_b32 exec_lo, exec_lo, s0
	s_and_saveexec_b32 s0, vcc_lo
	s_cbranch_execz .LBB370_3172
.LBB370_3229:
	ds_load_b32 v26, v24 offset:288
	s_wait_dscnt 0x0
	v_add_f32_e32 v13, v26, v13
	s_or_b32 exec_lo, exec_lo, s0
	s_and_saveexec_b32 s0, vcc_lo
	s_cbranch_execz .LBB370_3173
.LBB370_3230:
	ds_load_b32 v26, v24 offset:320
	s_wait_dscnt 0x0
	v_add_f32_e32 v10, v26, v10
	s_or_b32 exec_lo, exec_lo, s0
	s_and_saveexec_b32 s0, vcc_lo
	s_cbranch_execz .LBB370_3174
.LBB370_3231:
	ds_load_b32 v26, v24 offset:352
	s_wait_dscnt 0x0
	v_add_f32_e32 v11, v26, v11
	s_or_b32 exec_lo, exec_lo, s0
	s_and_saveexec_b32 s0, vcc_lo
	s_cbranch_execz .LBB370_3175
.LBB370_3232:
	ds_load_b32 v26, v24 offset:384
	s_wait_dscnt 0x0
	v_add_f32_e32 v8, v26, v8
	s_or_b32 exec_lo, exec_lo, s0
	s_and_saveexec_b32 s0, vcc_lo
	s_cbranch_execz .LBB370_3176
.LBB370_3233:
	ds_load_b32 v26, v24 offset:416
	s_wait_dscnt 0x0
	v_add_f32_e32 v9, v26, v9
	s_or_b32 exec_lo, exec_lo, s0
	s_and_saveexec_b32 s0, vcc_lo
	s_cbranch_execz .LBB370_3177
.LBB370_3234:
	ds_load_b32 v26, v24 offset:448
	s_wait_dscnt 0x0
	v_add_f32_e32 v6, v26, v6
	s_or_b32 exec_lo, exec_lo, s0
	s_and_saveexec_b32 s0, vcc_lo
	s_cbranch_execz .LBB370_3178
.LBB370_3235:
	ds_load_b32 v26, v24 offset:480
	s_wait_dscnt 0x0
	v_add_f32_e32 v7, v26, v7
	s_or_b32 exec_lo, exec_lo, s0
	s_and_saveexec_b32 s0, vcc_lo
	s_cbranch_execz .LBB370_3179
.LBB370_3236:
	ds_load_b32 v26, v24 offset:512
	s_wait_dscnt 0x0
	v_add_f32_e32 v4, v26, v4
	s_or_b32 exec_lo, exec_lo, s0
	s_and_saveexec_b32 s0, vcc_lo
	s_cbranch_execz .LBB370_3180
.LBB370_3237:
	ds_load_b32 v26, v24 offset:544
	s_wait_dscnt 0x0
	v_add_f32_e32 v5, v26, v5
	s_or_b32 exec_lo, exec_lo, s0
	s_and_saveexec_b32 s0, vcc_lo
	s_cbranch_execz .LBB370_3181
.LBB370_3238:
	ds_load_b32 v26, v24 offset:576
	s_wait_dscnt 0x0
	v_add_f32_e32 v2, v26, v2
	s_or_b32 exec_lo, exec_lo, s0
	s_and_saveexec_b32 s0, vcc_lo
	s_cbranch_execz .LBB370_3182
.LBB370_3239:
	ds_load_b32 v26, v24 offset:608
	s_wait_dscnt 0x0
	v_add_f32_e32 v3, v26, v3
	s_or_b32 exec_lo, exec_lo, s0
	s_and_saveexec_b32 s0, vcc_lo
	s_cbranch_execz .LBB370_3183
.LBB370_3240:
	ds_load_b32 v26, v24 offset:640
	s_wait_dscnt 0x0
	v_add_f32_e32 v0, v26, v0
	s_or_b32 exec_lo, exec_lo, s0
	s_and_saveexec_b32 s0, vcc_lo
	s_cbranch_execz .LBB370_3184
.LBB370_3241:
	ds_load_b32 v26, v24 offset:672
	s_wait_dscnt 0x0
	v_add_f32_e32 v1, v26, v1
	s_or_b32 exec_lo, exec_lo, s0
	s_and_saveexec_b32 s0, vcc_lo
	s_cbranch_execz .LBB370_3185
.LBB370_3242:
	ds_load_b32 v26, v24 offset:704
	s_wait_dscnt 0x0
	v_add_f32_e32 v22, v26, v22
	s_or_b32 exec_lo, exec_lo, s0
	s_and_saveexec_b32 s0, vcc_lo
	s_cbranch_execnz .LBB370_3186
	s_branch .LBB370_3187
.LBB370_3243:
	ds_load_b32 v25, v24
	s_wait_dscnt 0x0
	v_add_f32_e32 v20, v25, v20
	s_or_b32 exec_lo, exec_lo, s0
	s_and_saveexec_b32 s0, vcc_lo
	s_cbranch_execz .LBB370_3193
.LBB370_3244:
	ds_load_b32 v25, v24 offset:32
	s_wait_dscnt 0x0
	v_add_f32_e32 v21, v25, v21
	s_or_b32 exec_lo, exec_lo, s0
	s_and_saveexec_b32 s0, vcc_lo
	s_cbranch_execz .LBB370_3194
.LBB370_3245:
	ds_load_b32 v25, v24 offset:64
	s_wait_dscnt 0x0
	v_add_f32_e32 v18, v25, v18
	s_or_b32 exec_lo, exec_lo, s0
	s_and_saveexec_b32 s0, vcc_lo
	s_cbranch_execz .LBB370_3195
.LBB370_3246:
	ds_load_b32 v25, v24 offset:96
	s_wait_dscnt 0x0
	v_add_f32_e32 v19, v25, v19
	s_or_b32 exec_lo, exec_lo, s0
	s_and_saveexec_b32 s0, vcc_lo
	s_cbranch_execz .LBB370_3196
.LBB370_3247:
	ds_load_b32 v25, v24 offset:128
	s_wait_dscnt 0x0
	v_add_f32_e32 v16, v25, v16
	s_or_b32 exec_lo, exec_lo, s0
	s_and_saveexec_b32 s0, vcc_lo
	s_cbranch_execz .LBB370_3197
.LBB370_3248:
	ds_load_b32 v25, v24 offset:160
	s_wait_dscnt 0x0
	v_add_f32_e32 v17, v25, v17
	s_or_b32 exec_lo, exec_lo, s0
	s_and_saveexec_b32 s0, vcc_lo
	s_cbranch_execz .LBB370_3198
.LBB370_3249:
	ds_load_b32 v25, v24 offset:192
	s_wait_dscnt 0x0
	v_add_f32_e32 v14, v25, v14
	s_or_b32 exec_lo, exec_lo, s0
	s_and_saveexec_b32 s0, vcc_lo
	s_cbranch_execz .LBB370_3199
.LBB370_3250:
	ds_load_b32 v25, v24 offset:224
	s_wait_dscnt 0x0
	v_add_f32_e32 v15, v25, v15
	s_or_b32 exec_lo, exec_lo, s0
	s_and_saveexec_b32 s0, vcc_lo
	s_cbranch_execz .LBB370_3200
.LBB370_3251:
	ds_load_b32 v25, v24 offset:256
	s_wait_dscnt 0x0
	v_add_f32_e32 v12, v25, v12
	s_or_b32 exec_lo, exec_lo, s0
	s_and_saveexec_b32 s0, vcc_lo
	s_cbranch_execz .LBB370_3201
.LBB370_3252:
	ds_load_b32 v25, v24 offset:288
	s_wait_dscnt 0x0
	v_add_f32_e32 v13, v25, v13
	s_or_b32 exec_lo, exec_lo, s0
	s_and_saveexec_b32 s0, vcc_lo
	s_cbranch_execz .LBB370_3202
.LBB370_3253:
	ds_load_b32 v25, v24 offset:320
	s_wait_dscnt 0x0
	v_add_f32_e32 v10, v25, v10
	s_or_b32 exec_lo, exec_lo, s0
	s_and_saveexec_b32 s0, vcc_lo
	s_cbranch_execz .LBB370_3203
.LBB370_3254:
	ds_load_b32 v25, v24 offset:352
	s_wait_dscnt 0x0
	v_add_f32_e32 v11, v25, v11
	s_or_b32 exec_lo, exec_lo, s0
	s_and_saveexec_b32 s0, vcc_lo
	s_cbranch_execz .LBB370_3204
.LBB370_3255:
	ds_load_b32 v25, v24 offset:384
	s_wait_dscnt 0x0
	v_add_f32_e32 v8, v25, v8
	s_or_b32 exec_lo, exec_lo, s0
	s_and_saveexec_b32 s0, vcc_lo
	s_cbranch_execz .LBB370_3205
.LBB370_3256:
	ds_load_b32 v25, v24 offset:416
	s_wait_dscnt 0x0
	v_add_f32_e32 v9, v25, v9
	s_or_b32 exec_lo, exec_lo, s0
	s_and_saveexec_b32 s0, vcc_lo
	s_cbranch_execz .LBB370_3206
.LBB370_3257:
	ds_load_b32 v25, v24 offset:448
	s_wait_dscnt 0x0
	v_add_f32_e32 v6, v25, v6
	s_or_b32 exec_lo, exec_lo, s0
	s_and_saveexec_b32 s0, vcc_lo
	s_cbranch_execz .LBB370_3207
.LBB370_3258:
	ds_load_b32 v25, v24 offset:480
	s_wait_dscnt 0x0
	v_add_f32_e32 v7, v25, v7
	s_or_b32 exec_lo, exec_lo, s0
	s_and_saveexec_b32 s0, vcc_lo
	s_cbranch_execz .LBB370_3208
.LBB370_3259:
	ds_load_b32 v25, v24 offset:512
	s_wait_dscnt 0x0
	v_add_f32_e32 v4, v25, v4
	s_or_b32 exec_lo, exec_lo, s0
	s_and_saveexec_b32 s0, vcc_lo
	s_cbranch_execz .LBB370_3209
.LBB370_3260:
	ds_load_b32 v25, v24 offset:544
	s_wait_dscnt 0x0
	v_add_f32_e32 v5, v25, v5
	s_or_b32 exec_lo, exec_lo, s0
	s_and_saveexec_b32 s0, vcc_lo
	s_cbranch_execz .LBB370_3210
.LBB370_3261:
	ds_load_b32 v25, v24 offset:576
	s_wait_dscnt 0x0
	v_add_f32_e32 v2, v25, v2
	s_or_b32 exec_lo, exec_lo, s0
	s_and_saveexec_b32 s0, vcc_lo
	s_cbranch_execz .LBB370_3211
.LBB370_3262:
	ds_load_b32 v25, v24 offset:608
	s_wait_dscnt 0x0
	v_add_f32_e32 v3, v25, v3
	s_or_b32 exec_lo, exec_lo, s0
	s_and_saveexec_b32 s0, vcc_lo
	s_cbranch_execz .LBB370_3212
.LBB370_3263:
	ds_load_b32 v25, v24 offset:640
	s_wait_dscnt 0x0
	v_add_f32_e32 v0, v25, v0
	s_or_b32 exec_lo, exec_lo, s0
	s_and_saveexec_b32 s0, vcc_lo
	s_cbranch_execz .LBB370_3213
.LBB370_3264:
	ds_load_b32 v25, v24 offset:672
	s_wait_dscnt 0x0
	v_add_f32_e32 v1, v25, v1
	s_or_b32 exec_lo, exec_lo, s0
	s_and_saveexec_b32 s0, vcc_lo
	s_cbranch_execz .LBB370_3214
.LBB370_3265:
	ds_load_b32 v25, v24 offset:704
	s_wait_dscnt 0x0
	v_add_f32_e32 v22, v25, v22
	s_or_b32 exec_lo, exec_lo, s0
	s_and_saveexec_b32 s0, vcc_lo
	s_cbranch_execnz .LBB370_3215
	s_branch .LBB370_3216
.Lfunc_end370:
	.size	_ZN4vllm22paged_attention_kernelI14__hip_bfloat16hLi192ELi32ELi128ELNS_18Fp8KVCacheDataTypeE1ELb0ELi0EEEvPfS3_PT_PKS4_PKT0_SA_ifPKiSC_iPKfiiiSE_SE_iiiii, .Lfunc_end370-_ZN4vllm22paged_attention_kernelI14__hip_bfloat16hLi192ELi32ELi128ELNS_18Fp8KVCacheDataTypeE1ELb0ELi0EEEvPfS3_PT_PKS4_PKT0_SA_ifPKiSC_iPKfiiiSE_SE_iiiii
                                        ; -- End function
	.set .L_ZN4vllm22paged_attention_kernelI14__hip_bfloat16hLi192ELi32ELi128ELNS_18Fp8KVCacheDataTypeE1ELb0ELi0EEEvPfS3_PT_PKS4_PKT0_SA_ifPKiSC_iPKfiiiSE_SE_iiiii.num_vgpr, 128
	.set .L_ZN4vllm22paged_attention_kernelI14__hip_bfloat16hLi192ELi32ELi128ELNS_18Fp8KVCacheDataTypeE1ELb0ELi0EEEvPfS3_PT_PKS4_PKT0_SA_ifPKiSC_iPKfiiiSE_SE_iiiii.num_agpr, 0
	.set .L_ZN4vllm22paged_attention_kernelI14__hip_bfloat16hLi192ELi32ELi128ELNS_18Fp8KVCacheDataTypeE1ELb0ELi0EEEvPfS3_PT_PKS4_PKT0_SA_ifPKiSC_iPKfiiiSE_SE_iiiii.numbered_sgpr, 33
	.set .L_ZN4vllm22paged_attention_kernelI14__hip_bfloat16hLi192ELi32ELi128ELNS_18Fp8KVCacheDataTypeE1ELb0ELi0EEEvPfS3_PT_PKS4_PKT0_SA_ifPKiSC_iPKfiiiSE_SE_iiiii.num_named_barrier, 0
	.set .L_ZN4vllm22paged_attention_kernelI14__hip_bfloat16hLi192ELi32ELi128ELNS_18Fp8KVCacheDataTypeE1ELb0ELi0EEEvPfS3_PT_PKS4_PKT0_SA_ifPKiSC_iPKfiiiSE_SE_iiiii.private_seg_size, 1672
	.set .L_ZN4vllm22paged_attention_kernelI14__hip_bfloat16hLi192ELi32ELi128ELNS_18Fp8KVCacheDataTypeE1ELb0ELi0EEEvPfS3_PT_PKS4_PKT0_SA_ifPKiSC_iPKfiiiSE_SE_iiiii.uses_vcc, 1
	.set .L_ZN4vllm22paged_attention_kernelI14__hip_bfloat16hLi192ELi32ELi128ELNS_18Fp8KVCacheDataTypeE1ELb0ELi0EEEvPfS3_PT_PKS4_PKT0_SA_ifPKiSC_iPKfiiiSE_SE_iiiii.uses_flat_scratch, 1
	.set .L_ZN4vllm22paged_attention_kernelI14__hip_bfloat16hLi192ELi32ELi128ELNS_18Fp8KVCacheDataTypeE1ELb0ELi0EEEvPfS3_PT_PKS4_PKT0_SA_ifPKiSC_iPKfiiiSE_SE_iiiii.has_dyn_sized_stack, 0
	.set .L_ZN4vllm22paged_attention_kernelI14__hip_bfloat16hLi192ELi32ELi128ELNS_18Fp8KVCacheDataTypeE1ELb0ELi0EEEvPfS3_PT_PKS4_PKT0_SA_ifPKiSC_iPKfiiiSE_SE_iiiii.has_recursion, 0
	.set .L_ZN4vllm22paged_attention_kernelI14__hip_bfloat16hLi192ELi32ELi128ELNS_18Fp8KVCacheDataTypeE1ELb0ELi0EEEvPfS3_PT_PKS4_PKT0_SA_ifPKiSC_iPKfiiiSE_SE_iiiii.has_indirect_call, 0
	.section	.AMDGPU.csdata,"",@progbits
; Function info:
; codeLenInByte = 128488
; TotalNumSgprs: 35
; NumVgprs: 128
; ScratchSize: 1672
; MemoryBound: 0
	.section	.text._ZN4vllm25paged_attention_v1_kernelI14__hip_bfloat16hLi192ELi32ELi128ELNS_18Fp8KVCacheDataTypeE1ELb0EEEvPT_PKS3_PKT0_S9_ifPKiSB_iPKfiiiSD_SD_iiiii,"axG",@progbits,_ZN4vllm25paged_attention_v1_kernelI14__hip_bfloat16hLi192ELi32ELi128ELNS_18Fp8KVCacheDataTypeE1ELb0EEEvPT_PKS3_PKT0_S9_ifPKiSB_iPKfiiiSD_SD_iiiii,comdat
	.protected	_ZN4vllm25paged_attention_v1_kernelI14__hip_bfloat16hLi192ELi32ELi128ELNS_18Fp8KVCacheDataTypeE1ELb0EEEvPT_PKS3_PKT0_S9_ifPKiSB_iPKfiiiSD_SD_iiiii ; -- Begin function _ZN4vllm25paged_attention_v1_kernelI14__hip_bfloat16hLi192ELi32ELi128ELNS_18Fp8KVCacheDataTypeE1ELb0EEEvPT_PKS3_PKT0_S9_ifPKiSB_iPKfiiiSD_SD_iiiii
	.globl	_ZN4vllm25paged_attention_v1_kernelI14__hip_bfloat16hLi192ELi32ELi128ELNS_18Fp8KVCacheDataTypeE1ELb0EEEvPT_PKS3_PKT0_S9_ifPKiSB_iPKfiiiSD_SD_iiiii
	.p2align	8
	.type	_ZN4vllm25paged_attention_v1_kernelI14__hip_bfloat16hLi192ELi32ELi128ELNS_18Fp8KVCacheDataTypeE1ELb0EEEvPT_PKS3_PKT0_S9_ifPKiSB_iPKfiiiSD_SD_iiiii,@function
_ZN4vllm25paged_attention_v1_kernelI14__hip_bfloat16hLi192ELi32ELi128ELNS_18Fp8KVCacheDataTypeE1ELb0EEEvPT_PKS3_PKT0_S9_ifPKiSB_iPKfiiiSD_SD_iiiii: ; @_ZN4vllm25paged_attention_v1_kernelI14__hip_bfloat16hLi192ELi32ELi128ELNS_18Fp8KVCacheDataTypeE1ELb0EEEvPT_PKS3_PKT0_S9_ifPKiSB_iPKfiiiSD_SD_iiiii
; %bb.0:
	s_clause 0x5
	s_load_b256 s[12:19], s[0:1], 0x0
	s_load_b128 s[4:7], s[0:1], 0x20
	s_load_b96 s[20:22], s[0:1], 0x30
	s_load_b64 s[10:11], s[0:1], 0x40
	s_load_b96 s[28:30], s[0:1], 0x48
	s_load_b128 s[24:27], s[0:1], 0x58
	v_mov_b32_e32 v31, v0
	s_get_pc_i64 s[2:3]
	s_add_nc_u64 s[2:3], s[2:3], _ZN4vllm22paged_attention_kernelI14__hip_bfloat16hLi192ELi32ELi128ELNS_18Fp8KVCacheDataTypeE1ELb0ELi0EEEvPfS3_PT_PKS4_PKT0_SA_ifPKiSC_iPKfiiiSE_SE_iiiii@rel64+4
	s_add_nc_u64 s[8:9], s[0:1], 0x80
	s_mov_b32 s32, 0
	s_wait_kmcnt 0x0
	v_dual_mov_b32 v0, s12 :: v_dual_mov_b32 v1, s13
	v_dual_mov_b32 v2, s14 :: v_dual_mov_b32 v3, s15
	;; [unrolled: 1-line block ×12, first 2 shown]
	s_mov_b32 s15, 8
	s_swap_pc_i64 s[30:31], s[2:3]
	s_endpgm
	.section	.rodata,"a",@progbits
	.p2align	6, 0x0
	.amdhsa_kernel _ZN4vllm25paged_attention_v1_kernelI14__hip_bfloat16hLi192ELi32ELi128ELNS_18Fp8KVCacheDataTypeE1ELb0EEEvPT_PKS3_PKT0_S9_ifPKiSB_iPKfiiiSD_SD_iiiii
		.amdhsa_group_segment_fixed_size 416
		.amdhsa_private_segment_fixed_size 1672
		.amdhsa_kernarg_size 384
		.amdhsa_user_sgpr_count 2
		.amdhsa_user_sgpr_dispatch_ptr 0
		.amdhsa_user_sgpr_queue_ptr 0
		.amdhsa_user_sgpr_kernarg_segment_ptr 1
		.amdhsa_user_sgpr_dispatch_id 0
		.amdhsa_user_sgpr_kernarg_preload_length 0
		.amdhsa_user_sgpr_kernarg_preload_offset 0
		.amdhsa_user_sgpr_private_segment_size 0
		.amdhsa_wavefront_size32 1
		.amdhsa_uses_dynamic_stack 0
		.amdhsa_enable_private_segment 1
		.amdhsa_system_sgpr_workgroup_id_x 1
		.amdhsa_system_sgpr_workgroup_id_y 1
		.amdhsa_system_sgpr_workgroup_id_z 1
		.amdhsa_system_sgpr_workgroup_info 0
		.amdhsa_system_vgpr_workitem_id 0
		.amdhsa_next_free_vgpr 128
		.amdhsa_next_free_sgpr 33
		.amdhsa_named_barrier_count 0
		.amdhsa_reserve_vcc 1
		.amdhsa_float_round_mode_32 0
		.amdhsa_float_round_mode_16_64 0
		.amdhsa_float_denorm_mode_32 3
		.amdhsa_float_denorm_mode_16_64 3
		.amdhsa_fp16_overflow 0
		.amdhsa_memory_ordered 1
		.amdhsa_forward_progress 1
		.amdhsa_inst_pref_size 2
		.amdhsa_round_robin_scheduling 0
		.amdhsa_exception_fp_ieee_invalid_op 0
		.amdhsa_exception_fp_denorm_src 0
		.amdhsa_exception_fp_ieee_div_zero 0
		.amdhsa_exception_fp_ieee_overflow 0
		.amdhsa_exception_fp_ieee_underflow 0
		.amdhsa_exception_fp_ieee_inexact 0
		.amdhsa_exception_int_div_zero 0
	.end_amdhsa_kernel
	.section	.text._ZN4vllm25paged_attention_v1_kernelI14__hip_bfloat16hLi192ELi32ELi128ELNS_18Fp8KVCacheDataTypeE1ELb0EEEvPT_PKS3_PKT0_S9_ifPKiSB_iPKfiiiSD_SD_iiiii,"axG",@progbits,_ZN4vllm25paged_attention_v1_kernelI14__hip_bfloat16hLi192ELi32ELi128ELNS_18Fp8KVCacheDataTypeE1ELb0EEEvPT_PKS3_PKT0_S9_ifPKiSB_iPKfiiiSD_SD_iiiii,comdat
.Lfunc_end371:
	.size	_ZN4vllm25paged_attention_v1_kernelI14__hip_bfloat16hLi192ELi32ELi128ELNS_18Fp8KVCacheDataTypeE1ELb0EEEvPT_PKS3_PKT0_S9_ifPKiSB_iPKfiiiSD_SD_iiiii, .Lfunc_end371-_ZN4vllm25paged_attention_v1_kernelI14__hip_bfloat16hLi192ELi32ELi128ELNS_18Fp8KVCacheDataTypeE1ELb0EEEvPT_PKS3_PKT0_S9_ifPKiSB_iPKfiiiSD_SD_iiiii
                                        ; -- End function
	.set _ZN4vllm25paged_attention_v1_kernelI14__hip_bfloat16hLi192ELi32ELi128ELNS_18Fp8KVCacheDataTypeE1ELb0EEEvPT_PKS3_PKT0_S9_ifPKiSB_iPKfiiiSD_SD_iiiii.num_vgpr, max(32, .L_ZN4vllm22paged_attention_kernelI14__hip_bfloat16hLi192ELi32ELi128ELNS_18Fp8KVCacheDataTypeE1ELb0ELi0EEEvPfS3_PT_PKS4_PKT0_SA_ifPKiSC_iPKfiiiSE_SE_iiiii.num_vgpr)
	.set _ZN4vllm25paged_attention_v1_kernelI14__hip_bfloat16hLi192ELi32ELi128ELNS_18Fp8KVCacheDataTypeE1ELb0EEEvPT_PKS3_PKT0_S9_ifPKiSB_iPKfiiiSD_SD_iiiii.num_agpr, max(0, .L_ZN4vllm22paged_attention_kernelI14__hip_bfloat16hLi192ELi32ELi128ELNS_18Fp8KVCacheDataTypeE1ELb0ELi0EEEvPfS3_PT_PKS4_PKT0_SA_ifPKiSC_iPKfiiiSE_SE_iiiii.num_agpr)
	.set _ZN4vllm25paged_attention_v1_kernelI14__hip_bfloat16hLi192ELi32ELi128ELNS_18Fp8KVCacheDataTypeE1ELb0EEEvPT_PKS3_PKT0_S9_ifPKiSB_iPKfiiiSD_SD_iiiii.numbered_sgpr, max(33, .L_ZN4vllm22paged_attention_kernelI14__hip_bfloat16hLi192ELi32ELi128ELNS_18Fp8KVCacheDataTypeE1ELb0ELi0EEEvPfS3_PT_PKS4_PKT0_SA_ifPKiSC_iPKfiiiSE_SE_iiiii.numbered_sgpr)
	.set _ZN4vllm25paged_attention_v1_kernelI14__hip_bfloat16hLi192ELi32ELi128ELNS_18Fp8KVCacheDataTypeE1ELb0EEEvPT_PKS3_PKT0_S9_ifPKiSB_iPKfiiiSD_SD_iiiii.num_named_barrier, max(0, .L_ZN4vllm22paged_attention_kernelI14__hip_bfloat16hLi192ELi32ELi128ELNS_18Fp8KVCacheDataTypeE1ELb0ELi0EEEvPfS3_PT_PKS4_PKT0_SA_ifPKiSC_iPKfiiiSE_SE_iiiii.num_named_barrier)
	.set _ZN4vllm25paged_attention_v1_kernelI14__hip_bfloat16hLi192ELi32ELi128ELNS_18Fp8KVCacheDataTypeE1ELb0EEEvPT_PKS3_PKT0_S9_ifPKiSB_iPKfiiiSD_SD_iiiii.private_seg_size, 0+max(.L_ZN4vllm22paged_attention_kernelI14__hip_bfloat16hLi192ELi32ELi128ELNS_18Fp8KVCacheDataTypeE1ELb0ELi0EEEvPfS3_PT_PKS4_PKT0_SA_ifPKiSC_iPKfiiiSE_SE_iiiii.private_seg_size)
	.set _ZN4vllm25paged_attention_v1_kernelI14__hip_bfloat16hLi192ELi32ELi128ELNS_18Fp8KVCacheDataTypeE1ELb0EEEvPT_PKS3_PKT0_S9_ifPKiSB_iPKfiiiSD_SD_iiiii.uses_vcc, or(1, .L_ZN4vllm22paged_attention_kernelI14__hip_bfloat16hLi192ELi32ELi128ELNS_18Fp8KVCacheDataTypeE1ELb0ELi0EEEvPfS3_PT_PKS4_PKT0_SA_ifPKiSC_iPKfiiiSE_SE_iiiii.uses_vcc)
	.set _ZN4vllm25paged_attention_v1_kernelI14__hip_bfloat16hLi192ELi32ELi128ELNS_18Fp8KVCacheDataTypeE1ELb0EEEvPT_PKS3_PKT0_S9_ifPKiSB_iPKfiiiSD_SD_iiiii.uses_flat_scratch, or(0, .L_ZN4vllm22paged_attention_kernelI14__hip_bfloat16hLi192ELi32ELi128ELNS_18Fp8KVCacheDataTypeE1ELb0ELi0EEEvPfS3_PT_PKS4_PKT0_SA_ifPKiSC_iPKfiiiSE_SE_iiiii.uses_flat_scratch)
	.set _ZN4vllm25paged_attention_v1_kernelI14__hip_bfloat16hLi192ELi32ELi128ELNS_18Fp8KVCacheDataTypeE1ELb0EEEvPT_PKS3_PKT0_S9_ifPKiSB_iPKfiiiSD_SD_iiiii.has_dyn_sized_stack, or(0, .L_ZN4vllm22paged_attention_kernelI14__hip_bfloat16hLi192ELi32ELi128ELNS_18Fp8KVCacheDataTypeE1ELb0ELi0EEEvPfS3_PT_PKS4_PKT0_SA_ifPKiSC_iPKfiiiSE_SE_iiiii.has_dyn_sized_stack)
	.set _ZN4vllm25paged_attention_v1_kernelI14__hip_bfloat16hLi192ELi32ELi128ELNS_18Fp8KVCacheDataTypeE1ELb0EEEvPT_PKS3_PKT0_S9_ifPKiSB_iPKfiiiSD_SD_iiiii.has_recursion, or(0, .L_ZN4vllm22paged_attention_kernelI14__hip_bfloat16hLi192ELi32ELi128ELNS_18Fp8KVCacheDataTypeE1ELb0ELi0EEEvPfS3_PT_PKS4_PKT0_SA_ifPKiSC_iPKfiiiSE_SE_iiiii.has_recursion)
	.set _ZN4vllm25paged_attention_v1_kernelI14__hip_bfloat16hLi192ELi32ELi128ELNS_18Fp8KVCacheDataTypeE1ELb0EEEvPT_PKS3_PKT0_S9_ifPKiSB_iPKfiiiSD_SD_iiiii.has_indirect_call, or(0, .L_ZN4vllm22paged_attention_kernelI14__hip_bfloat16hLi192ELi32ELi128ELNS_18Fp8KVCacheDataTypeE1ELb0ELi0EEEvPfS3_PT_PKS4_PKT0_SA_ifPKiSC_iPKfiiiSE_SE_iiiii.has_indirect_call)
	.section	.AMDGPU.csdata,"",@progbits
; Kernel info:
; codeLenInByte = 196
; TotalNumSgprs: 35
; NumVgprs: 128
; ScratchSize: 1672
; MemoryBound: 0
; FloatMode: 240
; IeeeMode: 1
; LDSByteSize: 416 bytes/workgroup (compile time only)
; SGPRBlocks: 0
; VGPRBlocks: 7
; NumSGPRsForWavesPerEU: 35
; NumVGPRsForWavesPerEU: 128
; NamedBarCnt: 0
; Occupancy: 8
; WaveLimiterHint : 1
; COMPUTE_PGM_RSRC2:SCRATCH_EN: 1
; COMPUTE_PGM_RSRC2:USER_SGPR: 2
; COMPUTE_PGM_RSRC2:TRAP_HANDLER: 0
; COMPUTE_PGM_RSRC2:TGID_X_EN: 1
; COMPUTE_PGM_RSRC2:TGID_Y_EN: 1
; COMPUTE_PGM_RSRC2:TGID_Z_EN: 1
; COMPUTE_PGM_RSRC2:TIDIG_COMP_CNT: 0
	.text
	.p2align	2                               ; -- Begin function _ZN4vllm22paged_attention_kernelI14__hip_bfloat16hLi256ELi32ELi128ELNS_18Fp8KVCacheDataTypeE1ELb0ELi0EEEvPfS3_PT_PKS4_PKT0_SA_ifPKiSC_iPKfiiiSE_SE_iiiii
	.type	_ZN4vllm22paged_attention_kernelI14__hip_bfloat16hLi256ELi32ELi128ELNS_18Fp8KVCacheDataTypeE1ELb0ELi0EEEvPfS3_PT_PKS4_PKT0_SA_ifPKiSC_iPKfiiiSE_SE_iiiii,@function
_ZN4vllm22paged_attention_kernelI14__hip_bfloat16hLi256ELi32ELi128ELNS_18Fp8KVCacheDataTypeE1ELb0ELi0EEEvPfS3_PT_PKS4_PKT0_SA_ifPKiSC_iPKfiiiSE_SE_iiiii: ; @_ZN4vllm22paged_attention_kernelI14__hip_bfloat16hLi256ELi32ELi128ELNS_18Fp8KVCacheDataTypeE1ELb0ELi0EEEvPfS3_PT_PKS4_PKT0_SA_ifPKiSC_iPKfiiiSE_SE_iiiii
; %bb.0:
	s_wait_loadcnt_dscnt 0x0
	s_wait_kmcnt 0x0
	s_clause 0x2f
	scratch_store_b32 off, v40, s32 offset:188
	; meta instruction
	scratch_store_b32 off, v41, s32 offset:184
	; meta instruction
	;; [unrolled: 2-line block ×47, first 2 shown]
	scratch_store_b32 off, v127, s32
	s_bfe_u32 s0, ttmp6, 0x4000c
	s_bfe_u32 s2, ttmp6, 0x40010
	s_add_co_i32 s0, s0, 1
	s_and_b32 s1, ttmp6, 15
	s_mul_i32 s0, ttmp9, s0
	s_and_b32 s3, ttmp7, 0xffff
	s_add_co_i32 s2, s2, 1
	s_add_co_i32 s0, s1, s0
	s_mul_i32 s1, s3, s2
	s_bfe_u32 s2, ttmp6, 0x40004
	s_getreg_b32 s12, hwreg(HW_REG_IB_STS2, 6, 4)
	s_add_co_i32 s2, s2, s1
	s_cmp_eq_u32 s12, 0
	s_mov_b32 s1, 0
	s_cselect_b32 s13, s3, s2
	s_cselect_b32 s2, ttmp9, s0
	s_lshl_b32 s0, s13, 2
	s_clause 0x6
	scratch_store_b64 off, v[22:23], s32 offset:2312
	scratch_store_b64 off, v[20:21], s32 offset:1200
	;; [unrolled: 1-line block ×4, first 2 shown]
	scratch_store_b32 off, v9, s32 offset:1208
	scratch_store_b64 off, v[6:7], s32 offset:2320
	scratch_store_b64 off, v[0:1], s32 offset:2304
	s_wait_xcnt 0x1
	v_add_nc_u64_e32 v[6:7], s[0:1], v[12:13]
	s_wait_xcnt 0x0
	v_mov_b32_e32 v1, 0
	s_clause 0x1
	s_load_u16 s0, s[8:9], 0x12
	s_load_b32 s3, s[8:9], 0x0
	v_dual_mov_b32 v25, v16 :: v_dual_mov_b32 v24, v15
	s_mov_b32 s10, s15
	flat_load_b32 v6, v[6:7]
	s_mov_b32 s4, exec_lo
	s_wait_kmcnt 0x0
	s_cmp_lg_u32 s0, 0
	s_cselect_b32 s0, -1, 0
	s_delay_alu instid0(SALU_CYCLE_1) | instskip(SKIP_1) | instid1(SALU_CYCLE_1)
	s_cmp_lg_u32 s0, 0
	s_add_co_ci_u32 s14, s3, 0
	s_abs_i32 s0, s14
	s_wait_loadcnt_dscnt 0x0
	scratch_store_b32 off, v6, s32 offset:192 ; 4-byte Folded Spill
	s_wait_xcnt 0x0
	v_sub_nc_u32_e32 v6, 0, v8
	global_load_u16 v0, v1, s[8:9] offset:22
	v_max_i32_e32 v6, v8, v6
	v_xor_b32_e32 v8, s14, v8
	s_delay_alu instid0(VALU_DEP_2) | instskip(NEXT) | instid1(VALU_DEP_2)
	v_cvt_f32_u32_e32 v7, v6
	v_ashrrev_i32_e32 v8, 31, v8
	s_delay_alu instid0(VALU_DEP_2) | instskip(SKIP_1) | instid1(TRANS32_DEP_1)
	v_rcp_iflag_f32_e32 v7, v7
	v_nop
	v_mul_f32_e32 v7, 0x4f7ffffe, v7
	v_sub_nc_u32_e32 v9, 0, v6
	s_delay_alu instid0(VALU_DEP_2) | instskip(NEXT) | instid1(VALU_DEP_1)
	v_cvt_u32_f32_e32 v7, v7
	v_mul_lo_u32 v9, v9, v7
	s_delay_alu instid0(VALU_DEP_1) | instskip(NEXT) | instid1(VALU_DEP_1)
	v_mul_hi_u32 v9, v7, v9
	v_add_nc_u32_e32 v7, v7, v9
	s_delay_alu instid0(VALU_DEP_1) | instskip(NEXT) | instid1(VALU_DEP_1)
	v_mul_hi_u32 v7, s0, v7
	v_mul_lo_u32 v9, v7, v6
	s_delay_alu instid0(VALU_DEP_1) | instskip(SKIP_1) | instid1(VALU_DEP_1)
	v_dual_add_nc_u32 v10, 1, v7 :: v_dual_sub_nc_u32 v9, s0, v9
	s_abs_i32 s0, s2
	v_sub_nc_u32_e32 v11, v9, v6
	v_cmp_ge_u32_e32 vcc_lo, v9, v6
	s_delay_alu instid0(VALU_DEP_2) | instskip(NEXT) | instid1(VALU_DEP_1)
	v_dual_cndmask_b32 v7, v7, v10, vcc_lo :: v_dual_cndmask_b32 v9, v9, v11, vcc_lo
	v_add_nc_u32_e32 v10, 1, v7
	s_delay_alu instid0(VALU_DEP_2) | instskip(NEXT) | instid1(VALU_DEP_2)
	v_cmp_ge_u32_e32 vcc_lo, v9, v6
	v_cndmask_b32_e32 v6, v7, v10, vcc_lo
	s_delay_alu instid0(VALU_DEP_1) | instskip(NEXT) | instid1(VALU_DEP_1)
	v_xor_b32_e32 v6, v6, v8
	v_sub_nc_u32_e32 v7, v6, v8
	s_delay_alu instid0(VALU_DEP_1) | instskip(NEXT) | instid1(VALU_DEP_1)
	v_sub_nc_u32_e32 v6, 0, v7
	v_max_i32_e32 v6, v7, v6
	s_delay_alu instid0(VALU_DEP_1) | instskip(SKIP_1) | instid1(VALU_DEP_2)
	v_cvt_f32_u32_e32 v8, v6
	v_sub_nc_u32_e32 v9, 0, v6
	v_rcp_iflag_f32_e32 v8, v8
	v_nop
	s_delay_alu instid0(TRANS32_DEP_1) | instskip(NEXT) | instid1(VALU_DEP_1)
	v_mul_f32_e32 v8, 0x4f7ffffe, v8
	v_cvt_u32_f32_e32 v8, v8
	s_delay_alu instid0(VALU_DEP_1) | instskip(NEXT) | instid1(VALU_DEP_1)
	v_mul_lo_u32 v9, v9, v8
	v_mul_hi_u32 v9, v8, v9
	s_wait_loadcnt 0x0
	v_readfirstlane_b32 s15, v0
	s_delay_alu instid0(VALU_DEP_2)
	v_dual_add_nc_u32 v0, v8, v9 :: v_dual_mov_b32 v8, v1
	scratch_store_b32 off, v8, s32 offset:1196 ; 4-byte Folded Spill
	s_wait_xcnt 0x0
	v_cmpx_ne_u64_e32 0, v[24:25]
	s_cbranch_execz .LBB372_2
; %bb.1:
	s_ashr_i32 s3, s2, 31
	s_delay_alu instid0(SALU_CYCLE_1)
	v_lshl_add_u64 v[8:9], s[2:3], 2, v[24:25]
	flat_load_b32 v8, v[8:9]
	s_wait_loadcnt_dscnt 0x0
	scratch_store_b32 off, v8, s32 offset:1196 ; 4-byte Folded Spill
.LBB372_2:
	s_wait_xcnt 0x0
	s_or_b32 exec_lo, exec_lo, s4
	v_mul_u64_e32 v[0:1], s[0:1], v[0:1]
	v_and_b32_e32 v15, 0x3ff, v31
	v_ashrrev_i32_e32 v0, 31, v7
	s_ashr_i32 s1, s2, 31
	s_lshl_b32 s4, s2, 8
	s_mov_b32 s2, exec_lo
	v_cmpx_gt_u32_e32 32, v15
	s_cbranch_execz .LBB372_4
; %bb.3:
	v_mul_lo_u32 v8, v17, s13
	s_ashr_i32 s5, s4, 31
	v_dual_mov_b32 v13, 0 :: v_dual_lshlrev_b32 v12, 4, v15
	s_delay_alu instid0(VALU_DEP_2) | instskip(NEXT) | instid1(VALU_DEP_1)
	v_ashrrev_i32_e32 v9, 31, v8
	v_lshl_add_u64 v[2:3], v[8:9], 1, v[2:3]
	s_delay_alu instid0(VALU_DEP_1) | instskip(NEXT) | instid1(VALU_DEP_1)
	v_lshl_add_u64 v[2:3], s[4:5], 1, v[2:3]
	v_add_nc_u64_e32 v[2:3], v[2:3], v[12:13]
	flat_load_b128 v[8:11], v[2:3]
	s_wait_loadcnt_dscnt 0x0
	ds_store_b128 v12, v[8:11]
.LBB372_4:
	s_wait_xcnt 0x0
	s_or_b32 exec_lo, exec_lo, s2
	s_delay_alu instid0(VALU_DEP_4)
	v_mul_lo_u32 v2, v1, v6
	s_load_b32 s5, s[8:9], 0x8
	s_wait_xcnt 0x0
	s_mov_b32 s8, exec_lo
	s_get_pc_i64 s[6:7]
	s_add_nc_u64 s[6:7], s[6:7], llvm.amdgcn.dynlds.offset.table@rel64+4
	v_dual_add_nc_u32 v3, 1, v1 :: v_dual_bitop2_b32 v0, s1, v0 bitop3:0x14
	s_delay_alu instid0(VALU_DEP_2) | instskip(NEXT) | instid1(VALU_DEP_1)
	v_sub_nc_u32_e32 v2, s0, v2
	v_cmp_ge_u32_e32 vcc_lo, v2, v6
	s_delay_alu instid0(VALU_DEP_3) | instskip(NEXT) | instid1(VALU_DEP_1)
	v_dual_sub_nc_u32 v7, v2, v6 :: v_dual_cndmask_b32 v1, v1, v3, vcc_lo
	v_cndmask_b32_e32 v2, v2, v7, vcc_lo
	scratch_load_b32 v7, off, s32 offset:192 ; 4-byte Folded Reload
	v_add_nc_u32_e32 v3, 1, v1
	v_cmp_ge_u32_e32 vcc_lo, v2, v6
	v_mul_lo_u32 v6, v14, s13
	s_wait_loadcnt 0x0
	v_add_nc_u32_e32 v7, 31, v7
	s_delay_alu instid0(VALU_DEP_1) | instskip(NEXT) | instid1(VALU_DEP_1)
	v_ashrrev_i32_e32 v2, 31, v7
	v_dual_cndmask_b32 v1, v1, v3 :: v_dual_lshrrev_b32 v2, 27, v2
	s_delay_alu instid0(VALU_DEP_1) | instskip(NEXT) | instid1(VALU_DEP_1)
	v_xor_b32_e32 v1, v1, v0
	v_dual_sub_nc_u32 v0, v1, v0 :: v_dual_add_nc_u32 v1, v7, v2
	v_ashrrev_i32_e32 v7, 31, v6
	scratch_store_b32 off, v15, s32 offset:2268 ; 4-byte Folded Spill
	v_mul_lo_u32 v8, v0, v19
	v_dual_lshrrev_b32 v0, 5, v15 :: v_dual_ashrrev_i32 v2, 5, v1
	v_and_b32_e32 v1, 31, v15
	v_mov_b32_e32 v11, 0xff7fffff
	s_clause 0x2
	scratch_store_b64 off, v[6:7], s32 offset:2296
	scratch_store_b32 off, v0, s32 offset:2276
	scratch_store_b32 off, v2, s32 offset:644
	v_cmp_ge_i32_e64 s0, v0, v2
	v_dual_lshlrev_b32 v10, 2, v1 :: v_dual_ashrrev_i32 v9, 31, v8
	s_clause 0x1
	scratch_store_b64 off, v[8:9], s32 offset:2280
	scratch_store_b32 off, v1, s32 offset:2272
	s_wait_storecnt_dscnt 0x0
	s_barrier_signal -1
	s_barrier_wait -1
	s_wait_xcnt 0x0
	v_cmpx_lt_i32_e64 v0, v2
	s_cbranch_execz .LBB372_2056
; %bb.5:
	v_mov_b32_e32 v17, 0
	s_ashr_i32 s11, s10, 31
	s_mov_b32 s9, 0
	s_lshl_b64 s[2:3], s[10:11], 2
	ds_load_b128 v[0:3], v17
	ds_load_b128 v[6:9], v17 offset:16
	ds_load_b128 v[18:21], v17 offset:32
	;; [unrolled: 1-line block ×5, first 2 shown]
	s_add_nc_u64 s[2:3], s[6:7], s[2:3]
	v_mov_b32_e32 v11, 0xff7fffff
	s_wait_dscnt 0x5
	v_and_b32_e32 v23, 0xffff0000, v0
	s_wait_dscnt 0x4
	v_dual_lshlrev_b32 v22, 16, v0 :: v_dual_lshlrev_b32 v0, 16, v7
	scratch_store_b64 off, v[22:23], s32 offset:1212 ; 8-byte Folded Spill
	s_wait_xcnt 0x0
	v_and_b32_e32 v23, 0xffff0000, v6
	s_wait_dscnt 0x2
	v_dual_lshlrev_b32 v22, 16, v6 :: v_dual_lshlrev_b32 v6, 16, v27
	scratch_store_b64 off, v[22:23], s32 offset:1220 ; 8-byte Folded Spill
	s_wait_xcnt 0x0
	v_and_b32_e32 v23, 0xffff0000, v18
	v_lshlrev_b32_e32 v22, 16, v18
	scratch_store_b64 off, v[22:23], s32 offset:1228 ; 8-byte Folded Spill
	s_wait_xcnt 0x0
	v_and_b32_e32 v23, 0xffff0000, v24
	v_lshlrev_b32_e32 v22, 16, v24
	;; [unrolled: 4-line block ×3, first 2 shown]
	v_and_b32_e32 v1, 0xffff0000, v7
	v_and_b32_e32 v7, 0xffff0000, v27
	s_clause 0x2
	scratch_store_b64 off, v[22:23], s32 offset:1244
	scratch_store_b64 off, v[0:1], s32 offset:1252
	;; [unrolled: 1-line block ×3, first 2 shown]
	s_wait_xcnt 0x1
	v_and_b32_e32 v1, 0xffff0000, v19
	v_lshlrev_b32_e32 v0, 16, v19
	s_wait_dscnt 0x1
	s_wait_xcnt 0x0
	v_and_b32_e32 v7, 0xffff0000, v28
	v_lshlrev_b32_e32 v6, 16, v28
	scratch_store_b64 off, v[0:1], s32 offset:1260 ; 8-byte Folded Spill
	s_wait_xcnt 0x0
	v_and_b32_e32 v1, 0xffff0000, v25
	v_lshlrev_b32_e32 v0, 16, v25
	scratch_store_b64 off, v[6:7], s32 offset:1340 ; 8-byte Folded Spill
	s_wait_xcnt 0x0
	v_and_b32_e32 v7, 0xffff0000, v29
	v_lshlrev_b32_e32 v6, 16, v29
	scratch_store_b64 off, v[0:1], s32 offset:1268 ; 8-byte Folded Spill
	s_wait_xcnt 0x0
	v_and_b32_e32 v1, 0xffff0000, v2
	v_lshlrev_b32_e32 v0, 16, v2
	scratch_store_b64 off, v[6:7], s32 offset:1348 ; 8-byte Folded Spill
	s_wait_xcnt 0x0
	v_and_b32_e32 v7, 0xffff0000, v30
	v_lshlrev_b32_e32 v6, 16, v30
	scratch_store_b64 off, v[0:1], s32 offset:1276 ; 8-byte Folded Spill
	s_wait_xcnt 0x0
	v_and_b32_e32 v1, 0xffff0000, v3
	v_lshlrev_b32_e32 v0, 16, v3
	scratch_store_b64 off, v[6:7], s32 offset:1356 ; 8-byte Folded Spill
	s_wait_xcnt 0x0
	v_and_b32_e32 v7, 0xffff0000, v31
	v_lshlrev_b32_e32 v6, 16, v31
	scratch_store_b64 off, v[0:1], s32 offset:1284 ; 8-byte Folded Spill
	s_wait_xcnt 0x0
	v_and_b32_e32 v1, 0xffff0000, v8
	v_lshlrev_b32_e32 v0, 16, v8
	scratch_store_b64 off, v[6:7], s32 offset:1364 ; 8-byte Folded Spill
	s_wait_dscnt 0x0
	s_wait_xcnt 0x0
	v_and_b32_e32 v7, 0xffff0000, v12
	v_dual_lshlrev_b32 v6, 16, v12 :: v_dual_lshlrev_b32 v12, 16, v15
	scratch_store_b64 off, v[0:1], s32 offset:1292 ; 8-byte Folded Spill
	s_wait_xcnt 0x0
	v_and_b32_e32 v1, 0xffff0000, v9
	v_lshlrev_b32_e32 v0, 16, v9
	scratch_store_b64 off, v[6:7], s32 offset:1372 ; 8-byte Folded Spill
	s_wait_xcnt 0x0
	v_and_b32_e32 v7, 0xffff0000, v13
	v_lshlrev_b32_e32 v6, 16, v13
	v_and_b32_e32 v13, 0xffff0000, v15
	scratch_store_b64 off, v[0:1], s32 offset:1300 ; 8-byte Folded Spill
	s_wait_xcnt 0x0
	v_and_b32_e32 v1, 0xffff0000, v20
	v_lshlrev_b32_e32 v0, 16, v20
	scratch_store_b64 off, v[6:7], s32 offset:1380 ; 8-byte Folded Spill
	s_wait_xcnt 0x0
	v_and_b32_e32 v7, 0xffff0000, v14
	v_lshlrev_b32_e32 v6, 16, v14
	s_clause 0x1
	scratch_store_b64 off, v[12:13], s32 offset:1396
	scratch_store_b64 off, v[0:1], s32 offset:1308
	s_wait_xcnt 0x0
	v_and_b32_e32 v1, 0xffff0000, v21
	v_lshlrev_b32_e32 v0, 16, v21
	scratch_store_b64 off, v[0:1], s32 offset:1316 ; 8-byte Folded Spill
	s_wait_xcnt 0x0
	v_and_b32_e32 v1, 0xffff0000, v26
	v_lshlrev_b32_e32 v0, 16, v26
	ds_load_b128 v[26:29], v17 offset:112
	scratch_store_b64 off, v[0:1], s32 offset:1324 ; 8-byte Folded Spill
	s_wait_xcnt 0x0
	ds_load_b128 v[0:3], v17 offset:96
	s_wait_dscnt 0x0
	v_and_b32_e32 v13, 0xffff0000, v0
	v_lshlrev_b32_e32 v12, 16, v0
	scratch_store_b64 off, v[6:7], s32 offset:1388 ; 8-byte Folded Spill
	v_lshlrev_b32_e32 v0, 16, v2
	s_wait_xcnt 0x0
	ds_load_b128 v[6:9], v17 offset:128
	scratch_store_b64 off, v[12:13], s32 offset:1404 ; 8-byte Folded Spill
	s_wait_xcnt 0x0
	v_and_b32_e32 v13, 0xffff0000, v1
	v_lshlrev_b32_e32 v12, 16, v1
	v_and_b32_e32 v1, 0xffff0000, v2
	s_clause 0x1
	scratch_store_b64 off, v[12:13], s32 offset:1412
	scratch_store_b64 off, v[0:1], s32 offset:1420
	s_wait_xcnt 0x0
	v_and_b32_e32 v1, 0xffff0000, v3
	v_lshlrev_b32_e32 v0, 16, v3
	ds_load_b128 v[12:15], v17 offset:144
	scratch_store_b64 off, v[0:1], s32 offset:1428 ; 8-byte Folded Spill
	s_wait_xcnt 0x0
	v_and_b32_e32 v1, 0xffff0000, v26
	v_lshlrev_b32_e32 v0, 16, v26
	scratch_store_b64 off, v[0:1], s32 offset:1436 ; 8-byte Folded Spill
	s_wait_xcnt 0x0
	v_and_b32_e32 v1, 0xffff0000, v27
	v_lshlrev_b32_e32 v0, 16, v27
	ds_load_b128 v[24:27], v17 offset:160
	scratch_store_b64 off, v[0:1], s32 offset:1444 ; 8-byte Folded Spill
	s_wait_xcnt 0x0
	v_and_b32_e32 v1, 0xffff0000, v28
	v_lshlrev_b32_e32 v0, 16, v28
	scratch_store_b64 off, v[0:1], s32 offset:1452 ; 8-byte Folded Spill
	s_wait_xcnt 0x0
	v_and_b32_e32 v1, 0xffff0000, v29
	v_lshlrev_b32_e32 v0, 16, v29
	ds_load_b128 v[28:31], v17 offset:176
	scratch_store_b64 off, v[0:1], s32 offset:1460 ; 8-byte Folded Spill
	s_wait_dscnt 0x3
	s_wait_xcnt 0x0
	v_and_b32_e32 v1, 0xffff0000, v6
	s_wait_dscnt 0x2
	v_dual_lshlrev_b32 v0, 16, v6 :: v_dual_lshlrev_b32 v6, 16, v15
	scratch_store_b64 off, v[0:1], s32 offset:1476 ; 8-byte Folded Spill
	s_wait_xcnt 0x0
	v_and_b32_e32 v1, 0xffff0000, v7
	v_lshlrev_b32_e32 v0, 16, v7
	v_and_b32_e32 v7, 0xffff0000, v15
	s_clause 0x1
	scratch_store_b64 off, v[0:1], s32 offset:1492
	scratch_store_b64 off, v[6:7], s32 offset:1548
	s_wait_xcnt 0x1
	v_and_b32_e32 v1, 0xffff0000, v8
	v_lshlrev_b32_e32 v0, 16, v8
	s_wait_dscnt 0x1
	s_wait_xcnt 0x0
	v_and_b32_e32 v7, 0xffff0000, v24
	v_lshlrev_b32_e32 v6, 16, v24
	scratch_store_b64 off, v[0:1], s32 offset:1508 ; 8-byte Folded Spill
	s_wait_xcnt 0x0
	v_and_b32_e32 v1, 0xffff0000, v9
	v_lshlrev_b32_e32 v0, 16, v9
	scratch_store_b64 off, v[6:7], s32 offset:1556 ; 8-byte Folded Spill
	s_wait_xcnt 0x0
	v_and_b32_e32 v7, 0xffff0000, v25
	v_lshlrev_b32_e32 v6, 16, v25
	scratch_store_b64 off, v[0:1], s32 offset:1516 ; 8-byte Folded Spill
	s_wait_xcnt 0x0
	v_and_b32_e32 v1, 0xffff0000, v12
	v_dual_lshlrev_b32 v0, 16, v12 :: v_dual_lshlrev_b32 v12, 16, v26
	scratch_store_b64 off, v[0:1], s32 offset:1524 ; 8-byte Folded Spill
	s_wait_xcnt 0x0
	v_and_b32_e32 v1, 0xffff0000, v13
	v_lshlrev_b32_e32 v0, 16, v13
	v_and_b32_e32 v13, 0xffff0000, v26
	s_clause 0x1
	scratch_store_b64 off, v[0:1], s32 offset:1532
	scratch_store_b64 off, v[12:13], s32 offset:1572
	s_wait_xcnt 0x1
	v_and_b32_e32 v1, 0xffff0000, v14
	v_lshlrev_b32_e32 v0, 16, v14
	s_wait_xcnt 0x0
	v_and_b32_e32 v13, 0xffff0000, v27
	v_lshlrev_b32_e32 v12, 16, v27
	scratch_store_b64 off, v[0:1], s32 offset:1540 ; 8-byte Folded Spill
	s_wait_xcnt 0x0
	ds_load_b128 v[0:3], v17 offset:192
	scratch_store_b64 off, v[12:13], s32 offset:1580 ; 8-byte Folded Spill
	s_wait_dscnt 0x1
	s_wait_xcnt 0x0
	v_and_b32_e32 v13, 0xffff0000, v28
	v_lshlrev_b32_e32 v12, 16, v28
	scratch_store_b64 off, v[6:7], s32 offset:1564 ; 8-byte Folded Spill
	s_wait_xcnt 0x0
	ds_load_b128 v[6:9], v17 offset:208
	scratch_store_b64 off, v[12:13], s32 offset:1588 ; 8-byte Folded Spill
	s_wait_xcnt 0x0
	v_and_b32_e32 v13, 0xffff0000, v29
	v_lshlrev_b32_e32 v12, 16, v29
	scratch_store_b64 off, v[12:13], s32 offset:1596 ; 8-byte Folded Spill
	s_wait_xcnt 0x0
	v_and_b32_e32 v13, 0xffff0000, v30
	v_lshlrev_b32_e32 v12, 16, v30
	;; [unrolled: 4-line block ×3, first 2 shown]
	scratch_store_b64 off, v[12:13], s32 offset:1612 ; 8-byte Folded Spill
	s_wait_dscnt 0x1
	s_wait_xcnt 0x0
	v_and_b32_e32 v13, 0xffff0000, v0
	v_dual_lshlrev_b32 v12, 16, v0 :: v_dual_lshlrev_b32 v0, 16, v2
	scratch_store_b64 off, v[12:13], s32 offset:1620 ; 8-byte Folded Spill
	s_wait_xcnt 0x0
	v_and_b32_e32 v13, 0xffff0000, v1
	v_lshlrev_b32_e32 v12, 16, v1
	v_and_b32_e32 v1, 0xffff0000, v2
	s_clause 0x1
	scratch_store_b64 off, v[12:13], s32 offset:1628
	scratch_store_b64 off, v[0:1], s32 offset:1636
	s_wait_xcnt 0x0
	v_and_b32_e32 v1, 0xffff0000, v3
	v_lshlrev_b32_e32 v0, 16, v3
	scratch_store_b64 off, v[0:1], s32 offset:1644 ; 8-byte Folded Spill
	s_wait_dscnt 0x0
	s_wait_xcnt 0x0
	v_and_b32_e32 v1, 0xffff0000, v6
	v_lshlrev_b32_e32 v0, 16, v6
	scratch_store_b64 off, v[0:1], s32 offset:1652 ; 8-byte Folded Spill
	s_wait_xcnt 0x0
	v_and_b32_e32 v1, 0xffff0000, v7
	v_lshlrev_b32_e32 v0, 16, v7
	scratch_store_b64 off, v[0:1], s32 offset:1660 ; 8-byte Folded Spill
	s_wait_xcnt 0x0
	v_and_b32_e32 v1, 0xffff0000, v8
	v_lshlrev_b32_e32 v0, 16, v8
	scratch_store_b64 off, v[0:1], s32 offset:1668 ; 8-byte Folded Spill
	s_wait_xcnt 0x0
	v_and_b32_e32 v1, 0xffff0000, v9
	v_lshlrev_b32_e32 v0, 16, v9
	scratch_store_b64 off, v[0:1], s32 offset:1676 ; 8-byte Folded Spill
	s_wait_xcnt 0x0
	ds_load_b128 v[0:3], v17 offset:224
	ds_load_b128 v[6:9], v17 offset:240
	s_wait_dscnt 0x1
	v_and_b32_e32 v13, 0xffff0000, v0
	v_dual_lshlrev_b32 v12, 16, v0 :: v_dual_lshlrev_b32 v0, 16, v2
	scratch_store_b64 off, v[12:13], s32 offset:1684 ; 8-byte Folded Spill
	s_wait_xcnt 0x0
	v_and_b32_e32 v13, 0xffff0000, v1
	v_lshlrev_b32_e32 v12, 16, v1
	v_and_b32_e32 v1, 0xffff0000, v2
	s_clause 0x1
	scratch_store_b64 off, v[12:13], s32 offset:1692
	scratch_store_b64 off, v[0:1], s32 offset:1700
	s_wait_xcnt 0x0
	v_and_b32_e32 v1, 0xffff0000, v3
	v_lshlrev_b32_e32 v0, 16, v3
	scratch_store_b64 off, v[0:1], s32 offset:1708 ; 8-byte Folded Spill
	s_wait_dscnt 0x0
	s_wait_xcnt 0x0
	v_and_b32_e32 v1, 0xffff0000, v6
	v_lshlrev_b32_e32 v0, 16, v6
	scratch_store_b64 off, v[0:1], s32 offset:1716 ; 8-byte Folded Spill
	s_wait_xcnt 0x0
	v_and_b32_e32 v1, 0xffff0000, v7
	v_lshlrev_b32_e32 v0, 16, v7
	scratch_store_b64 off, v[0:1], s32 offset:1724 ; 8-byte Folded Spill
	s_wait_xcnt 0x0
	v_and_b32_e32 v1, 0xffff0000, v8
	v_lshlrev_b32_e32 v0, 16, v8
	scratch_store_b64 off, v[0:1], s32 offset:1732 ; 8-byte Folded Spill
	s_wait_xcnt 0x0
	v_and_b32_e32 v1, 0xffff0000, v9
	v_lshlrev_b32_e32 v0, 16, v9
	scratch_store_b64 off, v[0:1], s32 offset:1740 ; 8-byte Folded Spill
	s_wait_xcnt 0x0
	ds_load_b128 v[0:3], v17 offset:256
	ds_load_b128 v[6:9], v17 offset:272
	s_wait_dscnt 0x1
	;; [unrolled: 35-line block ×5, first 2 shown]
	v_and_b32_e32 v13, 0xffff0000, v2
	v_dual_lshlrev_b32 v12, 16, v2 :: v_dual_lshlrev_b32 v2, 16, v0
	scratch_store_b64 off, v[12:13], s32 offset:1940 ; 8-byte Folded Spill
	s_wait_xcnt 0x0
	v_and_b32_e32 v13, 0xffff0000, v3
	v_lshlrev_b32_e32 v12, 16, v3
	v_and_b32_e32 v3, 0xffff0000, v0
	s_wait_dscnt 0x0
	v_lshlrev_b32_e32 v0, 16, v8
	s_clause 0x1
	scratch_store_b64 off, v[12:13], s32 offset:1948
	scratch_store_b64 off, v[2:3], s32 offset:1956
	s_wait_xcnt 0x0
	v_and_b32_e32 v3, 0xffff0000, v1
	v_lshlrev_b32_e32 v2, 16, v1
	v_and_b32_e32 v1, 0xffff0000, v8
	s_clause 0x1
	scratch_store_b64 off, v[2:3], s32 offset:1964
	scratch_store_b64 off, v[0:1], s32 offset:1972
	s_wait_xcnt 0x0
	v_and_b32_e32 v1, 0xffff0000, v9
	v_lshlrev_b32_e32 v0, 16, v9
	scratch_store_b64 off, v[0:1], s32 offset:1980 ; 8-byte Folded Spill
	s_wait_xcnt 0x0
	v_and_b32_e32 v1, 0xffff0000, v6
	v_lshlrev_b32_e32 v0, 16, v6
	scratch_store_b64 off, v[0:1], s32 offset:1988 ; 8-byte Folded Spill
	s_wait_xcnt 0x0
	v_and_b32_e32 v1, 0xffff0000, v7
	v_lshlrev_b32_e32 v0, 16, v7
	scratch_store_b64 off, v[0:1], s32 offset:1996 ; 8-byte Folded Spill
	s_wait_xcnt 0x0
	ds_load_b128 v[0:3], v17 offset:384
	ds_load_b128 v[6:9], v17 offset:400
	s_wait_dscnt 0x1
	v_and_b32_e32 v13, 0xffff0000, v0
	v_dual_lshlrev_b32 v12, 16, v0 :: v_dual_lshlrev_b32 v0, 16, v2
	scratch_store_b64 off, v[12:13], s32 offset:2004 ; 8-byte Folded Spill
	s_wait_xcnt 0x0
	v_and_b32_e32 v13, 0xffff0000, v1
	v_lshlrev_b32_e32 v12, 16, v1
	v_and_b32_e32 v1, 0xffff0000, v2
	s_clause 0x1
	scratch_store_b64 off, v[12:13], s32 offset:2012
	scratch_store_b64 off, v[0:1], s32 offset:2020
	s_wait_xcnt 0x0
	v_and_b32_e32 v1, 0xffff0000, v3
	v_lshlrev_b32_e32 v0, 16, v3
	scratch_store_b64 off, v[0:1], s32 offset:2028 ; 8-byte Folded Spill
	s_wait_dscnt 0x0
	s_wait_xcnt 0x0
	v_and_b32_e32 v1, 0xffff0000, v6
	v_lshlrev_b32_e32 v0, 16, v6
	scratch_store_b64 off, v[0:1], s32 offset:2036 ; 8-byte Folded Spill
	s_wait_xcnt 0x0
	v_and_b32_e32 v1, 0xffff0000, v7
	v_lshlrev_b32_e32 v0, 16, v7
	scratch_store_b64 off, v[0:1], s32 offset:2044 ; 8-byte Folded Spill
	s_wait_xcnt 0x0
	v_and_b32_e32 v1, 0xffff0000, v8
	v_lshlrev_b32_e32 v0, 16, v8
	scratch_store_b64 off, v[0:1], s32 offset:2052 ; 8-byte Folded Spill
	s_wait_xcnt 0x0
	v_and_b32_e32 v1, 0xffff0000, v9
	v_lshlrev_b32_e32 v0, 16, v9
	scratch_store_b64 off, v[0:1], s32 offset:2060 ; 8-byte Folded Spill
	s_wait_xcnt 0x0
	ds_load_b128 v[0:3], v17 offset:416
	ds_load_b128 v[6:9], v17 offset:432
	s_wait_dscnt 0x1
	v_and_b32_e32 v13, 0xffff0000, v0
	v_dual_lshlrev_b32 v12, 16, v0 :: v_dual_lshlrev_b32 v0, 16, v2
	scratch_store_b64 off, v[12:13], s32 offset:2068 ; 8-byte Folded Spill
	s_wait_xcnt 0x0
	v_and_b32_e32 v13, 0xffff0000, v1
	v_lshlrev_b32_e32 v12, 16, v1
	v_and_b32_e32 v1, 0xffff0000, v2
	s_clause 0x1
	scratch_store_b64 off, v[12:13], s32 offset:2076
	scratch_store_b64 off, v[0:1], s32 offset:2084
	s_wait_xcnt 0x0
	v_and_b32_e32 v1, 0xffff0000, v3
	v_lshlrev_b32_e32 v0, 16, v3
	scratch_store_b64 off, v[0:1], s32 offset:2092 ; 8-byte Folded Spill
	s_wait_dscnt 0x0
	s_wait_xcnt 0x0
	v_and_b32_e32 v1, 0xffff0000, v6
	v_lshlrev_b32_e32 v0, 16, v6
	scratch_store_b64 off, v[0:1], s32 offset:2100 ; 8-byte Folded Spill
	;; [unrolled: 35-line block ×3, first 2 shown]
	s_wait_xcnt 0x0
	v_and_b32_e32 v1, 0xffff0000, v7
	v_lshlrev_b32_e32 v0, 16, v7
	scratch_store_b64 off, v[0:1], s32 offset:2172 ; 8-byte Folded Spill
	s_wait_xcnt 0x0
	v_and_b32_e32 v1, 0xffff0000, v8
	v_lshlrev_b32_e32 v0, 16, v8
	scratch_store_b64 off, v[0:1], s32 offset:2180 ; 8-byte Folded Spill
	;; [unrolled: 4-line block ×3, first 2 shown]
	s_wait_xcnt 0x0
	ds_load_b128 v[0:3], v17 offset:480
	ds_load_b128 v[6:9], v17 offset:496
	s_load_b32 s1, s[2:3], 0x0
	s_wait_xcnt 0x0
	s_mov_b64 s[2:3], 0xffffffffffffff
	s_clause 0x1
	scratch_store_b32 off, v10, s32 offset:2328
	scratch_load_b32 v46, off, s32 offset:2276
	s_wait_dscnt 0x1
	v_and_b32_e32 v13, 0xffff0000, v0
	v_dual_lshlrev_b32 v12, 16, v0 :: v_dual_lshlrev_b32 v0, 16, v2
	scratch_store_b64 off, v[12:13], s32 offset:2196 ; 8-byte Folded Spill
	s_wait_xcnt 0x0
	v_and_b32_e32 v13, 0xffff0000, v1
	v_lshlrev_b32_e32 v12, 16, v1
	v_and_b32_e32 v1, 0xffff0000, v2
	s_wait_dscnt 0x0
	v_lshlrev_b32_e32 v2, 16, v6
	s_clause 0x1
	scratch_store_b64 off, v[12:13], s32 offset:2204
	scratch_store_b64 off, v[0:1], s32 offset:2212
	s_wait_xcnt 0x0
	v_and_b32_e32 v1, 0xffff0000, v3
	v_lshlrev_b32_e32 v0, 16, v3
	v_and_b32_e32 v3, 0xffff0000, v6
	v_lshlrev_b32_e32 v6, 16, v9
	s_clause 0x2
	scratch_store_b64 off, v[0:1], s32 offset:2220
	scratch_store_b64 off, v[2:3], s32 offset:2228
	scratch_load_b64 v[0:1], off, s32 offset:2280
	s_wait_xcnt 0x1
	v_and_b32_e32 v3, 0xffff0000, v7
	v_lshlrev_b32_e32 v2, 16, v7
	v_and_b32_e32 v7, 0xffff0000, v9
	s_clause 0x1
	scratch_store_b64 off, v[2:3], s32 offset:2236
	scratch_store_b64 off, v[6:7], s32 offset:2252
	s_wait_xcnt 0x1
	v_and_b32_e32 v3, 0xffff0000, v8
	v_lshlrev_b32_e32 v2, 16, v8
	s_clause 0x1
	scratch_load_b64 v[6:7], off, s32 offset:2288
	scratch_store_b64 off, v[2:3], s32 offset:2244
	s_wait_xcnt 0x0
	v_mov_b32_e32 v3, v17
	s_wait_loadcnt 0x1
	v_add_nc_u64_e32 v[0:1], v[4:5], v[0:1]
	s_clause 0x1
	scratch_load_b32 v4, off, s32 offset:2272
	scratch_load_b32 v5, off, s32 offset:1196
	s_wait_loadcnt 0x1
	v_lshlrev_b32_e32 v2, 4, v4
	v_lshl_or_b32 v60, v46, 5, v4
	s_wait_loadcnt 0x0
	v_cmp_neq_f32_e32 vcc_lo, 0, v5
	s_delay_alu instid0(VALU_DEP_3)
	v_add_nc_u64_e32 v[0:1], v[0:1], v[2:3]
	s_clause 0x2
	scratch_load_b64 v[2:3], off, s32 offset:2296
	scratch_store_b64 off, v[0:1], s32 offset:2260
	scratch_load_b32 v0, off, s32 offset:2268
	s_wait_loadcnt 0x0
	v_dual_mov_b32 v1, v17 :: v_dual_lshrrev_b32 v0, 3, v0
	s_delay_alu instid0(VALU_DEP_1) | instskip(NEXT) | instid1(VALU_DEP_1)
	v_and_b32_e32 v0, 0x7c, v0
	v_lshl_add_u64 v[0:1], v[2:3], 2, v[0:1]
	v_lshl_or_b32 v2, v46, 7, v10
	s_delay_alu instid0(VALU_DEP_2) | instskip(SKIP_1) | instid1(VALU_DEP_2)
	v_add_nc_u64_e32 v[0:1], v[6:7], v[0:1]
	s_wait_kmcnt 0x0
	v_add_nc_u32_e32 v56, s1, v2
	s_branch .LBB372_10
.LBB372_6:                              ;   in Loop: Header=BB372_10 Depth=1
	s_or_b32 exec_lo, exec_lo, s18
	s_delay_alu instid0(VALU_DEP_1) | instskip(NEXT) | instid1(VALU_DEP_2)
	v_dual_lshlrev_b32 v16, 24, v96 :: v_dual_lshlrev_b32 v6, 20, v6
	v_lshl_add_u32 v7, v7, 23, 0x3c000000
	s_delay_alu instid0(VALU_DEP_2) | instskip(NEXT) | instid1(VALU_DEP_1)
	v_and_b32_e32 v16, 0x80000000, v16
	v_or3_b32 v125, v6, v16, v7
.LBB372_7:                              ;   in Loop: Header=BB372_10 Depth=1
	s_or_b32 exec_lo, exec_lo, s17
.LBB372_8:                              ;   in Loop: Header=BB372_10 Depth=1
	s_delay_alu instid0(SALU_CYCLE_1)
	s_or_b32 exec_lo, exec_lo, s16
	s_wait_loadcnt 0x2
	scratch_load_b32 v56, off, s32 offset:772 ; 4-byte Folded Reload
	s_wait_loadcnt 0x2
	scratch_load_b32 v60, off, s32 offset:776 ; 4-byte Folded Reload
	;; [unrolled: 2-line block ×3, first 2 shown]
.LBB372_9:                              ;   in Loop: Header=BB372_10 Depth=1
	s_wait_xcnt 0x0
	s_or_b32 exec_lo, exec_lo, s11
	v_pk_mul_f32 v[0:1], v[72:73], v[0:1] op_sel_hi:[0,1]
	v_pk_mul_f32 v[2:3], v[72:73], v[2:3] op_sel_hi:[0,1]
	scratch_load_b64 v[6:7], off, s32 offset:212 th:TH_LOAD_LU ; 8-byte Folded Reload
	s_wait_loadcnt 0x1
	v_add_nc_u32_e32 v46, 4, v46
	scratch_store_b64 off, v[0:1], s32 offset:860 ; 8-byte Folded Spill
	s_wait_xcnt 0x0
	v_pk_mul_f32 v[0:1], v[72:73], v[126:127] op_sel_hi:[0,1]
	v_pk_mul_f32 v[126:127], v[72:73], v[4:5] op_sel_hi:[0,1]
	scratch_store_b64 off, v[0:1], s32 offset:932 ; 8-byte Folded Spill
	s_wait_xcnt 0x0
	v_pk_mul_f32 v[0:1], v[72:73], v[22:23] op_sel_hi:[0,1]
	scratch_store_b64 off, v[0:1], s32 offset:796 ; 8-byte Folded Spill
	s_wait_xcnt 0x0
	;; [unrolled: 3-line block ×30, first 2 shown]
	v_fma_mixlo_bf16 v0, v72, v44, 0
	scratch_store_b32 off, v0, s32 offset:996 ; 4-byte Folded Spill
	s_wait_xcnt 0x0
	v_fma_mixlo_bf16 v0, v72, v73, 0
	scratch_store_b32 off, v0, s32 offset:1000 ; 4-byte Folded Spill
	s_wait_xcnt 0x0
	v_fma_mixlo_bf16 v0, v72, v47, 0
	v_fma_mixlo_bf16 v47, v72, v57, 0
	s_clause 0x1
	scratch_store_b32 off, v0, s32 offset:1044
	scratch_load_b32 v0, off, s32 offset:748 th:TH_LOAD_LU
	s_wait_loadcnt 0x0
	v_fma_mixlo_bf16 v0, v72, v0, 0
	s_clause 0x1
	scratch_store_b32 off, v0, s32 offset:748
	scratch_load_b32 v0, off, s32 offset:752 th:TH_LOAD_LU
	s_wait_loadcnt 0x0
	;; [unrolled: 5-line block ×3, first 2 shown]
	v_fma_mixlo_bf16 v0, v72, v0, 0
	scratch_store_b32 off, v0, s32 offset:1072 ; 4-byte Folded Spill
	s_wait_xcnt 0x0
	v_fma_mixlo_bf16 v0, v72, v61, 0
	s_clause 0x1
	scratch_store_b32 off, v0, s32 offset:744
	scratch_load_b32 v0, off, s32 offset:740 th:TH_LOAD_LU
	s_wait_loadcnt 0x0
	v_fma_mixlo_bf16 v0, v72, v0, 0
	s_clause 0x1
	scratch_store_b32 off, v0, s32 offset:740
	scratch_load_b32 v0, off, s32 offset:720 th:TH_LOAD_LU
	s_wait_loadcnt 0x0
	;; [unrolled: 5-line block ×8, first 2 shown]
	v_fma_mixlo_bf16 v0, v72, v0, 0
	scratch_store_b32 off, v0, s32 offset:708 ; 4-byte Folded Spill
	s_wait_xcnt 0x0
	v_pk_mul_f32 v[0:1], v[72:73], v[116:117] op_sel_hi:[0,1]
	scratch_store_b64 off, v[0:1], s32 offset:724 ; 8-byte Folded Spill
	s_wait_xcnt 0x0
	v_pk_mul_f32 v[0:1], v[72:73], v[114:115] op_sel_hi:[0,1]
	scratch_store_b64 off, v[0:1], s32 offset:732 ; 8-byte Folded Spill
	;; [unrolled: 3-line block ×16, first 2 shown]
	s_wait_xcnt 0x0
	v_pk_mul_f32 v[0:1], v[72:73], v[20:21] op_sel_hi:[0,1]
	s_clause 0x1
	scratch_store_b64 off, v[0:1], s32 offset:1180
	scratch_load_b64 v[0:1], off, s32 offset:636 th:TH_LOAD_LU
	s_wait_loadcnt 0x0
	v_pk_mul_f32 v[42:43], v[72:73], v[0:1] op_sel_hi:[0,1]
	v_pk_mul_f32 v[0:1], v[72:73], v[66:67] op_sel_hi:[0,1]
	scratch_store_b64 off, v[0:1], s32 offset:636 ; 8-byte Folded Spill
	s_wait_xcnt 0x0
	v_pk_mul_f32 v[0:1], v[72:73], v[88:89] op_sel_hi:[0,1]
	s_clause 0x1
	scratch_store_b64 off, v[0:1], s32 offset:1156
	scratch_load_b64 v[0:1], off, s32 offset:612 th:TH_LOAD_LU
	s_wait_loadcnt 0x0
	v_pk_mul_f32 v[0:1], v[72:73], v[0:1] op_sel_hi:[0,1]
	s_clause 0x1
	scratch_store_b64 off, v[0:1], s32 offset:612
	scratch_load_b64 v[0:1], off, s32 offset:604 th:TH_LOAD_LU
	s_wait_loadcnt 0x0
	v_pk_mul_f32 v[116:117], v[72:73], v[0:1] op_sel_hi:[0,1]
	scratch_load_b64 v[0:1], off, s32 offset:620 th:TH_LOAD_LU ; 8-byte Folded Reload
	s_wait_loadcnt 0x0
	v_pk_mul_f32 v[0:1], v[72:73], v[0:1] op_sel_hi:[0,1]
	s_clause 0x1
	scratch_store_b64 off, v[0:1], s32 offset:604
	scratch_load_b64 v[0:1], off, s32 offset:588 th:TH_LOAD_LU
	s_wait_loadcnt 0x0
	v_pk_mul_f32 v[0:1], v[72:73], v[0:1] op_sel_hi:[0,1]
	s_clause 0x1
	scratch_store_b64 off, v[0:1], s32 offset:588
	scratch_load_b64 v[0:1], off, s32 offset:580 th:TH_LOAD_LU
	s_wait_loadcnt 0x0
	v_pk_mul_f32 v[58:59], v[72:73], v[0:1] op_sel_hi:[0,1]
	scratch_load_b64 v[0:1], off, s32 offset:572 th:TH_LOAD_LU ; 8-byte Folded Reload
	s_wait_loadcnt 0x0
	v_pk_mul_f32 v[102:103], v[72:73], v[0:1] op_sel_hi:[0,1]
	scratch_load_b64 v[0:1], off, s32 offset:596 th:TH_LOAD_LU ; 8-byte Folded Reload
	s_wait_loadcnt 0x0
	v_pk_mul_f32 v[0:1], v[72:73], v[0:1] op_sel_hi:[0,1]
	s_clause 0x1
	scratch_store_b64 off, v[0:1], s32 offset:572
	scratch_load_b64 v[0:1], off, s32 offset:556 th:TH_LOAD_LU
	s_wait_loadcnt 0x0
	v_pk_mul_f32 v[0:1], v[72:73], v[0:1] op_sel_hi:[0,1]
	s_clause 0x1
	scratch_store_b64 off, v[0:1], s32 offset:556
	scratch_load_b64 v[0:1], off, s32 offset:548 th:TH_LOAD_LU
	s_wait_loadcnt 0x0
	v_pk_mul_f32 v[40:41], v[72:73], v[0:1] op_sel_hi:[0,1]
	scratch_load_b64 v[0:1], off, s32 offset:540 th:TH_LOAD_LU ; 8-byte Folded Reload
	s_wait_loadcnt 0x0
	v_pk_mul_f32 v[100:101], v[72:73], v[0:1] op_sel_hi:[0,1]
	scratch_load_b64 v[0:1], off, s32 offset:564 th:TH_LOAD_LU ; 8-byte Folded Reload
	s_wait_loadcnt 0x0
	v_pk_mul_f32 v[0:1], v[72:73], v[0:1] op_sel_hi:[0,1]
	s_clause 0x1
	scratch_store_b64 off, v[0:1], s32 offset:540
	scratch_load_b64 v[0:1], off, s32 offset:524 th:TH_LOAD_LU
	s_wait_loadcnt 0x0
	v_pk_mul_f32 v[122:123], v[72:73], v[0:1] op_sel_hi:[0,1]
	scratch_load_b64 v[0:1], off, s32 offset:516 th:TH_LOAD_LU ; 8-byte Folded Reload
	s_wait_loadcnt 0x0
	v_pk_mul_f32 v[112:113], v[72:73], v[0:1] op_sel_hi:[0,1]
	scratch_load_b64 v[0:1], off, s32 offset:508 th:TH_LOAD_LU ; 8-byte Folded Reload
	;; [unrolled: 3-line block ×3, first 2 shown]
	s_wait_loadcnt 0x0
	v_pk_mul_f32 v[0:1], v[72:73], v[0:1] op_sel_hi:[0,1]
	s_clause 0x2
	scratch_store_b64 off, v[2:3], s32 offset:812
	scratch_store_b64 off, v[0:1], s32 offset:508
	scratch_load_b32 v0, off, s32 offset:700 th:TH_LOAD_LU
	s_wait_loadcnt 0x0
	v_fma_mixlo_bf16 v61, v72, v0, 0
	scratch_load_b32 v0, off, s32 offset:688 th:TH_LOAD_LU ; 4-byte Folded Reload
	s_wait_loadcnt 0x0
	v_fma_mixlo_bf16 v118, v72, v0, 0
	scratch_load_b32 v0, off, s32 offset:692 th:TH_LOAD_LU ; 4-byte Folded Reload
	s_wait_loadcnt 0x0
	v_fma_mixlo_bf16 v63, v72, v0, 0
	scratch_load_b32 v0, off, s32 offset:680 th:TH_LOAD_LU ; 4-byte Folded Reload
	s_wait_loadcnt 0x0
	v_fma_mixlo_bf16 v62, v72, v0, 0
	scratch_load_b32 v0, off, s32 offset:684 th:TH_LOAD_LU ; 4-byte Folded Reload
	s_wait_loadcnt 0x0
	v_fma_mixlo_bf16 v121, v72, v0, 0
	scratch_load_b32 v0, off, s32 offset:676 th:TH_LOAD_LU ; 4-byte Folded Reload
	s_wait_loadcnt 0x0
	v_fma_mixlo_bf16 v45, v72, v0, 0
	scratch_load_b32 v0, off, s32 offset:696 th:TH_LOAD_LU ; 4-byte Folded Reload
	s_wait_loadcnt 0x0
	v_fma_mixlo_bf16 v0, v72, v0, 0
	s_clause 0x1
	scratch_store_b32 off, v0, s32 offset:516
	scratch_load_b32 v0, off, s32 offset:760 th:TH_LOAD_LU
	s_wait_loadcnt 0x0
	v_fma_mixlo_bf16 v0, v72, v0, 0
	s_clause 0x1
	scratch_store_b32 off, v0, s32 offset:524
	scratch_load_b32 v0, off, s32 offset:672 th:TH_LOAD_LU
	s_wait_loadcnt 0x0
	v_fma_mixlo_bf16 v57, v72, v0, 0
	scratch_load_b32 v0, off, s32 offset:660 th:TH_LOAD_LU ; 4-byte Folded Reload
	s_wait_loadcnt 0x0
	v_fma_mixlo_bf16 v73, v72, v0, 0
	scratch_load_b32 v0, off, s32 offset:664 th:TH_LOAD_LU ; 4-byte Folded Reload
	v_pk_mul_f32 v[124:125], v[72:73], v[124:125] op_sel_hi:[0,1]
	v_pk_mul_f32 v[6:7], v[72:73], v[6:7] op_sel_hi:[0,1]
	;; [unrolled: 1-line block ×5, first 2 shown]
	s_wait_loadcnt 0x0
	v_fma_mixlo_bf16 v111, v72, v0, 0
	scratch_load_b32 v0, off, s32 offset:652 th:TH_LOAD_LU ; 4-byte Folded Reload
	s_wait_loadcnt 0x0
	v_fma_mixlo_bf16 v44, v72, v0, 0
	scratch_load_b32 v0, off, s32 offset:656 th:TH_LOAD_LU ; 4-byte Folded Reload
	s_wait_loadcnt 0x0
	v_fma_mixlo_bf16 v16, v72, v0, 0
	scratch_load_b32 v0, off, s32 offset:648 th:TH_LOAD_LU ; 4-byte Folded Reload
	s_wait_loadcnt 0x0
	v_fma_mixlo_bf16 v119, v72, v0, 0
	scratch_load_b32 v0, off, s32 offset:668 th:TH_LOAD_LU ; 4-byte Folded Reload
	s_wait_loadcnt 0x0
	v_fma_mixlo_bf16 v120, v72, v0, 0
	scratch_load_b32 v0, off, s32 offset:756 th:TH_LOAD_LU ; 4-byte Folded Reload
	s_wait_loadcnt 0x0
	v_fma_mixlo_bf16 v110, v72, v0, 0
	scratch_load_b64 v[0:1], off, s32 offset:492 th:TH_LOAD_LU ; 8-byte Folded Reload
	s_wait_loadcnt 0x0
	v_pk_mul_f32 v[114:115], v[72:73], v[0:1] op_sel_hi:[0,1]
	scratch_load_b64 v[0:1], off, s32 offset:484 th:TH_LOAD_LU ; 8-byte Folded Reload
	s_wait_loadcnt 0x0
	v_pk_mul_f32 v[98:99], v[72:73], v[0:1] op_sel_hi:[0,1]
	;; [unrolled: 3-line block ×35, first 2 shown]
	scratch_load_b64 v[0:1], off, s32 offset:244 th:TH_LOAD_LU ; 8-byte Folded Reload
	v_cvt_pk_bf16_f32 v2, v2, v3
	s_wait_loadcnt 0x0
	v_pk_mul_f32 v[18:19], v[72:73], v[0:1] op_sel_hi:[0,1]
	scratch_load_b64 v[0:1], off, s32 offset:204 th:TH_LOAD_LU ; 8-byte Folded Reload
	s_wait_loadcnt 0x0
	v_pk_mul_f32 v[94:95], v[72:73], v[0:1] op_sel_hi:[0,1]
	s_clause 0x2
	scratch_load_b64 v[0:1], off, s32 offset:196 th:TH_LOAD_LU
	scratch_store_b64 off, v[124:125], s32 offset:196
	scratch_load_b64 v[124:125], off, s32 offset:1220
	s_wait_loadcnt 0x1
	v_pk_mul_f32 v[106:107], v[72:73], v[0:1] op_sel_hi:[0,1]
	scratch_load_b64 v[0:1], off, s32 offset:628 th:TH_LOAD_LU ; 8-byte Folded Reload
	s_wait_loadcnt 0x0
	v_pk_mul_f32 v[0:1], v[72:73], v[0:1] op_sel_hi:[0,1]
	s_delay_alu instid0(VALU_DEP_1) | instskip(SKIP_1) | instid1(VALU_DEP_2)
	v_cvt_pk_bf16_f32 v72, v0, v1
	v_and_b32_e32 v1, 0xffff0000, v2
	v_dual_lshlrev_b32 v0, 16, v2 :: v_dual_lshlrev_b32 v2, 16, v72
	v_and_b32_e32 v3, 0xffff0000, v72
	s_delay_alu instid0(VALU_DEP_2)
	v_pk_mul_f32 v[0:1], v[124:125], v[0:1]
	scratch_load_b64 v[124:125], off, s32 offset:1212 ; 8-byte Folded Reload
	s_wait_loadcnt 0x0
	v_pk_fma_f32 v[0:1], v[124:125], v[2:3], v[0:1]
	v_cvt_pk_bf16_f32 v2, v74, v75
	scratch_load_b64 v[74:75], off, s32 offset:1228 ; 8-byte Folded Reload
	v_and_b32_e32 v3, 0xffff0000, v2
	v_lshlrev_b32_e32 v2, 16, v2
	s_wait_loadcnt 0x0
	s_delay_alu instid0(VALU_DEP_1) | instskip(SKIP_2) | instid1(VALU_DEP_1)
	v_pk_fma_f32 v[0:1], v[74:75], v[2:3], v[0:1]
	scratch_load_b64 v[74:75], off, s32 offset:1236 ; 8-byte Folded Reload
	v_cvt_pk_bf16_f32 v2, v78, v79
	v_and_b32_e32 v3, 0xffff0000, v2
	v_lshlrev_b32_e32 v2, 16, v2
	s_wait_loadcnt 0x0
	s_delay_alu instid0(VALU_DEP_1) | instskip(SKIP_2) | instid1(VALU_DEP_1)
	v_pk_fma_f32 v[0:1], v[74:75], v[2:3], v[0:1]
	scratch_load_b64 v[74:75], off, s32 offset:1340 ; 8-byte Folded Reload
	v_cvt_pk_bf16_f32 v2, v88, v89
	v_and_b32_e32 v3, 0xffff0000, v2
	v_lshlrev_b32_e32 v2, 16, v2
	s_wait_loadcnt 0x0
	s_delay_alu instid0(VALU_DEP_1)
	v_pk_fma_f32 v[0:1], v[74:75], v[2:3], v[0:1]
	v_cvt_pk_bf16_f32 v2, v52, v53
	scratch_load_b64 v[52:53], off, s32 offset:1372 ; 8-byte Folded Reload
	v_and_b32_e32 v3, 0xffff0000, v2
	v_lshlrev_b32_e32 v2, 16, v2
	s_wait_loadcnt 0x0
	s_delay_alu instid0(VALU_DEP_1)
	v_pk_fma_f32 v[0:1], v[52:53], v[2:3], v[0:1]
	v_cvt_pk_bf16_f32 v2, v8, v9
	scratch_load_b64 v[8:9], off, s32 offset:1404 ; 8-byte Folded Reload
	v_and_b32_e32 v3, 0xffff0000, v2
	v_lshlrev_b32_e32 v2, 16, v2
	s_wait_loadcnt 0x0
	s_delay_alu instid0(VALU_DEP_1)
	v_pk_fma_f32 v[0:1], v[8:9], v[2:3], v[0:1]
	scratch_load_b64 v[8:9], off, s32 offset:1436 ; 8-byte Folded Reload
	v_cvt_pk_bf16_f32 v2, v14, v15
	scratch_load_b64 v[14:15], off, s32 offset:1252 ; 8-byte Folded Reload
	v_and_b32_e32 v3, 0xffff0000, v2
	v_lshlrev_b32_e32 v2, 16, v2
	s_wait_loadcnt 0x1
	s_delay_alu instid0(VALU_DEP_1) | instskip(SKIP_2) | instid1(VALU_DEP_1)
	v_pk_fma_f32 v[0:1], v[8:9], v[2:3], v[0:1]
	scratch_load_b64 v[8:9], off, s32 offset:1476 ; 8-byte Folded Reload
	v_cvt_pk_bf16_f32 v2, v26, v27
	v_and_b32_e32 v3, 0xffff0000, v2
	v_lshlrev_b32_e32 v2, 16, v2
	s_wait_loadcnt 0x0
	s_delay_alu instid0(VALU_DEP_1) | instskip(SKIP_2) | instid1(VALU_DEP_2)
	v_pk_fma_f32 v[8:9], v[8:9], v[2:3], v[0:1]
	v_cvt_pk_bf16_f32 v0, v76, v77
	v_cvt_pk_bf16_f32 v2, v106, v107
	v_and_b32_e32 v1, 0xffff0000, v0
	v_lshlrev_b32_e32 v0, 16, v0
	s_delay_alu instid0(VALU_DEP_3) | instskip(SKIP_1) | instid1(VALU_DEP_3)
	v_and_b32_e32 v3, 0xffff0000, v2
	v_lshlrev_b32_e32 v2, 16, v2
	v_pk_mul_f32 v[0:1], v[14:15], v[0:1]
	scratch_load_b64 v[14:15], off, s32 offset:1244 ; 8-byte Folded Reload
	s_wait_loadcnt 0x0
	v_pk_fma_f32 v[0:1], v[14:15], v[2:3], v[0:1]
	scratch_load_b64 v[14:15], off, s32 offset:1260 ; 8-byte Folded Reload
	v_cvt_pk_bf16_f32 v2, v92, v93
	s_delay_alu instid0(VALU_DEP_1) | instskip(SKIP_2) | instid1(VALU_DEP_1)
	v_and_b32_e32 v3, 0xffff0000, v2
	v_lshlrev_b32_e32 v2, 16, v2
	s_wait_loadcnt 0x0
	v_pk_fma_f32 v[0:1], v[14:15], v[2:3], v[0:1]
	v_cvt_pk_bf16_f32 v2, v4, v5
	scratch_load_b64 v[4:5], off, s32 offset:1268 ; 8-byte Folded Reload
	v_and_b32_e32 v3, 0xffff0000, v2
	v_lshlrev_b32_e32 v2, 16, v2
	s_wait_loadcnt 0x0
	s_delay_alu instid0(VALU_DEP_1)
	v_pk_fma_f32 v[0:1], v[4:5], v[2:3], v[0:1]
	scratch_load_b64 v[4:5], off, s32 offset:1348 ; 8-byte Folded Reload
	v_cvt_pk_bf16_f32 v2, v10, v11
	scratch_load_b64 v[10:11], off, s32 offset:1572 ; 8-byte Folded Reload
	v_and_b32_e32 v3, 0xffff0000, v2
	v_lshlrev_b32_e32 v2, 16, v2
	s_wait_loadcnt 0x1
	s_delay_alu instid0(VALU_DEP_1) | instskip(SKIP_2) | instid1(VALU_DEP_1)
	v_pk_fma_f32 v[0:1], v[4:5], v[2:3], v[0:1]
	scratch_load_b64 v[4:5], off, s32 offset:1380 ; 8-byte Folded Reload
	v_cvt_pk_bf16_f32 v2, v20, v21
	v_and_b32_e32 v3, 0xffff0000, v2
	v_lshlrev_b32_e32 v2, 16, v2
	s_wait_loadcnt 0x0
	s_delay_alu instid0(VALU_DEP_1) | instskip(SKIP_2) | instid1(VALU_DEP_1)
	v_pk_fma_f32 v[0:1], v[4:5], v[2:3], v[0:1]
	scratch_load_b64 v[4:5], off, s32 offset:1412 ; 8-byte Folded Reload
	v_cvt_pk_bf16_f32 v2, v28, v29
	;; [unrolled: 7-line block ×4, first 2 shown]
	v_and_b32_e32 v3, 0xffff0000, v2
	v_lshlrev_b32_e32 v2, 16, v2
	s_wait_loadcnt 0x0
	s_delay_alu instid0(VALU_DEP_1) | instskip(SKIP_3) | instid1(VALU_DEP_2)
	v_pk_fma_f32 v[14:15], v[4:5], v[2:3], v[0:1]
	scratch_load_b64 v[4:5], off, s32 offset:1292 ; 8-byte Folded Reload
	v_cvt_pk_bf16_f32 v0, v104, v105
	v_cvt_pk_bf16_f32 v2, v94, v95
	v_and_b32_e32 v1, 0xffff0000, v0
	v_lshlrev_b32_e32 v0, 16, v0
	s_delay_alu instid0(VALU_DEP_3) | instskip(SKIP_2) | instid1(VALU_DEP_3)
	v_and_b32_e32 v3, 0xffff0000, v2
	v_lshlrev_b32_e32 v2, 16, v2
	s_wait_loadcnt 0x0
	v_pk_mul_f32 v[0:1], v[4:5], v[0:1]
	scratch_load_b64 v[4:5], off, s32 offset:1276 ; 8-byte Folded Reload
	s_wait_loadcnt 0x0
	v_pk_fma_f32 v[0:1], v[4:5], v[2:3], v[0:1]
	scratch_load_b64 v[4:5], off, s32 offset:1308 ; 8-byte Folded Reload
	v_cvt_pk_bf16_f32 v2, v12, v13
	s_delay_alu instid0(VALU_DEP_1) | instskip(SKIP_2) | instid1(VALU_DEP_1)
	v_and_b32_e32 v3, 0xffff0000, v2
	v_lshlrev_b32_e32 v2, 16, v2
	s_wait_loadcnt 0x0
	v_pk_fma_f32 v[0:1], v[4:5], v[2:3], v[0:1]
	scratch_load_b64 v[4:5], off, s32 offset:1324 ; 8-byte Folded Reload
	v_cvt_pk_bf16_f32 v2, v22, v23
	s_delay_alu instid0(VALU_DEP_1) | instskip(SKIP_2) | instid1(VALU_DEP_1)
	v_and_b32_e32 v3, 0xffff0000, v2
	v_lshlrev_b32_e32 v2, 16, v2
	;; [unrolled: 7-line block ×7, first 2 shown]
	s_wait_loadcnt 0x0
	v_pk_fma_f32 v[12:13], v[4:5], v[2:3], v[0:1]
	scratch_load_b64 v[4:5], off, s32 offset:1300 ; 8-byte Folded Reload
	v_cvt_pk_bf16_f32 v0, v18, v19
	v_cvt_pk_bf16_f32 v2, v6, v7
	scratch_load_b64 v[6:7], off, s32 offset:1556 ; 8-byte Folded Reload
	v_and_b32_e32 v1, 0xffff0000, v0
	v_lshlrev_b32_e32 v0, 16, v0
	v_and_b32_e32 v3, 0xffff0000, v2
	v_lshlrev_b32_e32 v2, 16, v2
	s_wait_loadcnt 0x1
	s_delay_alu instid0(VALU_DEP_3)
	v_pk_mul_f32 v[0:1], v[4:5], v[0:1]
	scratch_load_b64 v[4:5], off, s32 offset:1284 ; 8-byte Folded Reload
	s_wait_loadcnt 0x0
	v_pk_fma_f32 v[0:1], v[4:5], v[2:3], v[0:1]
	scratch_load_b64 v[4:5], off, s32 offset:1316 ; 8-byte Folded Reload
	v_cvt_pk_bf16_f32 v2, v24, v25
	s_delay_alu instid0(VALU_DEP_1) | instskip(SKIP_2) | instid1(VALU_DEP_1)
	v_and_b32_e32 v3, 0xffff0000, v2
	v_lshlrev_b32_e32 v2, 16, v2
	s_wait_loadcnt 0x0
	v_pk_fma_f32 v[0:1], v[4:5], v[2:3], v[0:1]
	scratch_load_b64 v[4:5], off, s32 offset:1332 ; 8-byte Folded Reload
	v_cvt_pk_bf16_f32 v2, v34, v35
	s_delay_alu instid0(VALU_DEP_1) | instskip(SKIP_2) | instid1(VALU_DEP_1)
	v_and_b32_e32 v3, 0xffff0000, v2
	v_lshlrev_b32_e32 v2, 16, v2
	;; [unrolled: 7-line block ×8, first 2 shown]
	s_wait_loadcnt 0x0
	v_pk_fma_f32 v[2:3], v[4:5], v[2:3], v[8:9]
	v_dual_lshlrev_b32 v4, 16, v119 :: v_dual_lshlrev_b32 v5, 16, v16
	scratch_load_b64 v[8:9], off, s32 offset:1564 ; 8-byte Folded Reload
	v_pk_fma_f32 v[2:3], v[4:5], v[6:7], v[2:3]
	scratch_load_b64 v[6:7], off, s32 offset:1588 ; 8-byte Folded Reload
	v_lshlrev_b32_e32 v5, 16, v121
	v_lshlrev_b32_e32 v4, 16, v45
	s_wait_loadcnt 0x0
	s_delay_alu instid0(VALU_DEP_1) | instskip(SKIP_2) | instid1(VALU_DEP_1)
	v_pk_fma_f32 v[2:3], v[6:7], v[4:5], v[2:3]
	scratch_load_b64 v[6:7], off, s32 offset:1620 ; 8-byte Folded Reload
	v_cvt_pk_bf16_f32 v4, v96, v97
	v_and_b32_e32 v5, 0xffff0000, v4
	v_lshlrev_b32_e32 v4, 16, v4
	s_wait_loadcnt 0x0
	s_delay_alu instid0(VALU_DEP_1) | instskip(SKIP_2) | instid1(VALU_DEP_1)
	v_pk_fma_f32 v[2:3], v[6:7], v[4:5], v[2:3]
	scratch_load_b64 v[6:7], off, s32 offset:1652 ; 8-byte Folded Reload
	v_cvt_pk_bf16_f32 v4, v100, v101
	v_and_b32_e32 v5, 0xffff0000, v4
	;; [unrolled: 7-line block ×6, first 2 shown]
	v_lshlrev_b32_e32 v4, 16, v4
	s_wait_loadcnt 0x0
	s_delay_alu instid0(VALU_DEP_1)
	v_pk_fma_f32 v[2:3], v[6:7], v[4:5], v[2:3]
	s_clause 0x1
	scratch_load_b64 v[4:5], off, s32 offset:1188 th:TH_LOAD_LU
	scratch_load_b64 v[6:7], off, s32 offset:1812
	s_wait_loadcnt 0x1
	v_cvt_pk_bf16_f32 v4, v4, v5
	s_delay_alu instid0(VALU_DEP_1) | instskip(SKIP_2) | instid1(VALU_DEP_1)
	v_and_b32_e32 v5, 0xffff0000, v4
	v_lshlrev_b32_e32 v4, 16, v4
	s_wait_loadcnt 0x0
	v_pk_fma_f32 v[2:3], v[6:7], v[4:5], v[2:3]
	s_clause 0x1
	scratch_load_b64 v[4:5], off, s32 offset:1172 th:TH_LOAD_LU
	scratch_load_b64 v[6:7], off, s32 offset:1844
	s_wait_loadcnt 0x1
	v_cvt_pk_bf16_f32 v4, v4, v5
	s_delay_alu instid0(VALU_DEP_1) | instskip(SKIP_2) | instid1(VALU_DEP_1)
	v_and_b32_e32 v5, 0xffff0000, v4
	v_lshlrev_b32_e32 v4, 16, v4
	s_wait_loadcnt 0x0
	v_pk_fma_f32 v[6:7], v[6:7], v[4:5], v[2:3]
	scratch_load_b64 v[4:5], off, s32 offset:1532 ; 8-byte Folded Reload
	v_cvt_pk_bf16_f32 v2, v98, v99
	s_delay_alu instid0(VALU_DEP_1) | instskip(SKIP_2) | instid1(VALU_DEP_1)
	v_and_b32_e32 v3, 0xffff0000, v2
	v_lshlrev_b32_e32 v2, 16, v2
	s_wait_loadcnt 0x0
	v_pk_fma_f32 v[2:3], v[4:5], v[2:3], v[14:15]
	v_dual_lshlrev_b32 v4, 16, v44 :: v_dual_lshlrev_b32 v5, 16, v111
	s_delay_alu instid0(VALU_DEP_1) | instskip(SKIP_3) | instid1(VALU_DEP_1)
	v_pk_fma_f32 v[2:3], v[4:5], v[8:9], v[2:3]
	scratch_load_b64 v[8:9], off, s32 offset:1596 ; 8-byte Folded Reload
	v_dual_lshlrev_b32 v5, 16, v63 :: v_dual_lshlrev_b32 v4, 16, v62
	s_wait_loadcnt 0x0
	v_pk_fma_f32 v[2:3], v[8:9], v[4:5], v[2:3]
	scratch_load_b64 v[8:9], off, s32 offset:1628 ; 8-byte Folded Reload
	v_cvt_pk_bf16_f32 v4, v112, v113
	s_delay_alu instid0(VALU_DEP_1) | instskip(SKIP_2) | instid1(VALU_DEP_1)
	v_and_b32_e32 v5, 0xffff0000, v4
	v_lshlrev_b32_e32 v4, 16, v4
	s_wait_loadcnt 0x0
	v_pk_fma_f32 v[2:3], v[8:9], v[4:5], v[2:3]
	scratch_load_b64 v[8:9], off, s32 offset:1660 ; 8-byte Folded Reload
	v_cvt_pk_bf16_f32 v4, v40, v41
	s_delay_alu instid0(VALU_DEP_1) | instskip(SKIP_2) | instid1(VALU_DEP_1)
	v_and_b32_e32 v5, 0xffff0000, v4
	v_lshlrev_b32_e32 v4, 16, v4
	;; [unrolled: 7-line block ×3, first 2 shown]
	s_wait_loadcnt 0x0
	v_pk_fma_f32 v[2:3], v[8:9], v[4:5], v[2:3]
	s_clause 0x1
	scratch_load_b64 v[4:5], off, s32 offset:612 th:TH_LOAD_LU
	scratch_load_b64 v[8:9], off, s32 offset:1724
	s_wait_loadcnt 0x1
	v_cvt_pk_bf16_f32 v4, v4, v5
	s_delay_alu instid0(VALU_DEP_1) | instskip(SKIP_2) | instid1(VALU_DEP_1)
	v_and_b32_e32 v5, 0xffff0000, v4
	v_lshlrev_b32_e32 v4, 16, v4
	s_wait_loadcnt 0x0
	v_pk_fma_f32 v[2:3], v[8:9], v[4:5], v[2:3]
	s_clause 0x1
	scratch_load_b64 v[4:5], off, s32 offset:1180 th:TH_LOAD_LU
	scratch_load_b64 v[8:9], off, s32 offset:1756
	s_wait_loadcnt 0x1
	v_cvt_pk_bf16_f32 v4, v4, v5
	s_delay_alu instid0(VALU_DEP_1) | instskip(SKIP_2) | instid1(VALU_DEP_1)
	v_and_b32_e32 v5, 0xffff0000, v4
	v_lshlrev_b32_e32 v4, 16, v4
	;; [unrolled: 10-line block ×5, first 2 shown]
	s_wait_loadcnt 0x0
	v_pk_fma_f32 v[4:5], v[8:9], v[4:5], v[2:3]
	scratch_load_b64 v[8:9], off, s32 offset:1540 ; 8-byte Folded Reload
	v_cvt_pk_bf16_f32 v2, v114, v115
	s_delay_alu instid0(VALU_DEP_1) | instskip(SKIP_2) | instid1(VALU_DEP_1)
	v_and_b32_e32 v3, 0xffff0000, v2
	v_lshlrev_b32_e32 v2, 16, v2
	s_wait_loadcnt 0x0
	v_pk_fma_f32 v[2:3], v[8:9], v[2:3], v[12:13]
	v_lshlrev_b32_e32 v8, 16, v73
	v_lshlrev_b32_e32 v9, 16, v57
	s_delay_alu instid0(VALU_DEP_1) | instskip(SKIP_3) | instid1(VALU_DEP_1)
	v_pk_fma_f32 v[2:3], v[8:9], v[10:11], v[2:3]
	scratch_load_b64 v[10:11], off, s32 offset:1604 ; 8-byte Folded Reload
	v_dual_lshlrev_b32 v9, 16, v61 :: v_dual_lshlrev_b32 v8, 16, v118
	s_wait_loadcnt 0x0
	v_pk_fma_f32 v[2:3], v[10:11], v[8:9], v[2:3]
	scratch_load_b64 v[10:11], off, s32 offset:1636 ; 8-byte Folded Reload
	v_cvt_pk_bf16_f32 v8, v122, v123
	s_delay_alu instid0(VALU_DEP_1) | instskip(SKIP_2) | instid1(VALU_DEP_1)
	v_and_b32_e32 v9, 0xffff0000, v8
	v_lshlrev_b32_e32 v8, 16, v8
	s_wait_loadcnt 0x0
	v_pk_fma_f32 v[2:3], v[10:11], v[8:9], v[2:3]
	s_clause 0x1
	scratch_load_b64 v[8:9], off, s32 offset:556 th:TH_LOAD_LU
	scratch_load_b64 v[10:11], off, s32 offset:1668
	s_wait_loadcnt 0x1
	v_cvt_pk_bf16_f32 v8, v8, v9
	s_delay_alu instid0(VALU_DEP_1) | instskip(SKIP_2) | instid1(VALU_DEP_1)
	v_and_b32_e32 v9, 0xffff0000, v8
	v_lshlrev_b32_e32 v8, 16, v8
	s_wait_loadcnt 0x0
	v_pk_fma_f32 v[2:3], v[10:11], v[8:9], v[2:3]
	s_clause 0x1
	scratch_load_b64 v[8:9], off, s32 offset:588 th:TH_LOAD_LU
	scratch_load_b64 v[10:11], off, s32 offset:1700
	s_wait_loadcnt 0x1
	;; [unrolled: 10-line block ×7, first 2 shown]
	v_cvt_pk_bf16_f32 v8, v8, v9
	s_delay_alu instid0(VALU_DEP_1) | instskip(SKIP_2) | instid1(VALU_DEP_1)
	v_and_b32_e32 v9, 0xffff0000, v8
	v_lshlrev_b32_e32 v8, 16, v8
	s_wait_loadcnt 0x0
	v_pk_fma_f32 v[2:3], v[10:11], v[8:9], v[2:3]
	scratch_load_b64 v[10:11], off, s32 offset:1548 ; 8-byte Folded Reload
	v_cvt_pk_bf16_f32 v8, v108, v109
	s_delay_alu instid0(VALU_DEP_1) | instskip(SKIP_2) | instid1(VALU_DEP_1)
	v_and_b32_e32 v9, 0xffff0000, v8
	v_lshlrev_b32_e32 v8, 16, v8
	s_wait_loadcnt 0x0
	v_pk_fma_f32 v[0:1], v[10:11], v[8:9], v[0:1]
	scratch_load_b64 v[10:11], off, s32 offset:1580 ; 8-byte Folded Reload
	v_dual_lshlrev_b32 v8, 16, v120 :: v_dual_lshlrev_b32 v9, 16, v110
	s_wait_loadcnt 0x0
	s_delay_alu instid0(VALU_DEP_1)
	v_pk_fma_f32 v[0:1], v[8:9], v[10:11], v[0:1]
	s_clause 0x1
	scratch_load_b32 v8, off, s32 offset:524 th:TH_LOAD_LU
	scratch_load_b64 v[10:11], off, s32 offset:1612
	s_wait_loadcnt 0x1
	v_lshlrev_b32_e32 v9, 16, v8
	scratch_load_b32 v8, off, s32 offset:516 th:TH_LOAD_LU ; 4-byte Folded Reload
	s_wait_loadcnt 0x0
	v_lshlrev_b32_e32 v8, 16, v8
	s_delay_alu instid0(VALU_DEP_1)
	v_pk_fma_f32 v[0:1], v[10:11], v[8:9], v[0:1]
	s_clause 0x1
	scratch_load_b64 v[8:9], off, s32 offset:508 th:TH_LOAD_LU
	scratch_load_b64 v[10:11], off, s32 offset:1644
	s_wait_loadcnt 0x1
	v_cvt_pk_bf16_f32 v8, v8, v9
	s_delay_alu instid0(VALU_DEP_1) | instskip(SKIP_2) | instid1(VALU_DEP_1)
	v_and_b32_e32 v9, 0xffff0000, v8
	v_lshlrev_b32_e32 v8, 16, v8
	s_wait_loadcnt 0x0
	v_pk_fma_f32 v[0:1], v[10:11], v[8:9], v[0:1]
	s_clause 0x1
	scratch_load_b64 v[8:9], off, s32 offset:540 th:TH_LOAD_LU
	scratch_load_b64 v[10:11], off, s32 offset:1676
	s_wait_loadcnt 0x1
	v_cvt_pk_bf16_f32 v8, v8, v9
	s_delay_alu instid0(VALU_DEP_1) | instskip(SKIP_2) | instid1(VALU_DEP_1)
	v_and_b32_e32 v9, 0xffff0000, v8
	v_lshlrev_b32_e32 v8, 16, v8
	s_wait_loadcnt 0x0
	;; [unrolled: 10-line block ×9, first 2 shown]
	v_pk_fma_f32 v[6:7], v[10:11], v[8:9], v[6:7]
	s_clause 0x2
	scratch_load_b32 v8, off, s32 offset:1080 th:TH_LOAD_LU
	scratch_load_b64 v[10:11], off, s32 offset:1908
	scratch_load_b32 v9, off, s32 offset:1076 th:TH_LOAD_LU
	s_wait_loadcnt 0x0
	v_dual_lshlrev_b32 v8, 16, v8 :: v_dual_lshlrev_b32 v9, 16, v9
	s_delay_alu instid0(VALU_DEP_1)
	v_pk_fma_f32 v[6:7], v[8:9], v[10:11], v[6:7]
	s_clause 0x1
	scratch_load_b32 v8, off, s32 offset:1068 th:TH_LOAD_LU
	scratch_load_b64 v[10:11], off, s32 offset:1956
	s_wait_loadcnt 0x1
	v_lshlrev_b32_e32 v9, 16, v8
	scratch_load_b32 v8, off, s32 offset:1072 th:TH_LOAD_LU ; 4-byte Folded Reload
	s_wait_loadcnt 0x0
	v_lshlrev_b32_e32 v8, 16, v8
	s_delay_alu instid0(VALU_DEP_1)
	v_pk_fma_f32 v[6:7], v[10:11], v[8:9], v[6:7]
	s_clause 0x1
	scratch_load_b64 v[8:9], off, s32 offset:1060 th:TH_LOAD_LU
	scratch_load_b64 v[10:11], off, s32 offset:1988
	s_wait_loadcnt 0x1
	v_cvt_pk_bf16_f32 v8, v8, v9
	s_delay_alu instid0(VALU_DEP_1) | instskip(SKIP_2) | instid1(VALU_DEP_1)
	v_and_b32_e32 v9, 0xffff0000, v8
	v_lshlrev_b32_e32 v8, 16, v8
	s_wait_loadcnt 0x0
	v_pk_fma_f32 v[6:7], v[10:11], v[8:9], v[6:7]
	s_clause 0x1
	scratch_load_b64 v[8:9], off, s32 offset:1052 th:TH_LOAD_LU
	scratch_load_b64 v[10:11], off, s32 offset:2004
	s_wait_loadcnt 0x1
	v_cvt_pk_bf16_f32 v8, v8, v9
	s_delay_alu instid0(VALU_DEP_1) | instskip(SKIP_2) | instid1(VALU_DEP_1)
	v_and_b32_e32 v9, 0xffff0000, v8
	v_lshlrev_b32_e32 v8, 16, v8
	s_wait_loadcnt 0x0
	;; [unrolled: 10-line block ×8, first 2 shown]
	v_pk_fma_f32 v[6:7], v[10:11], v[8:9], v[6:7]
	scratch_load_b64 v[10:11], off, s32 offset:2228 ; 8-byte Folded Reload
	v_cvt_pk_bf16_f32 v8, v90, v91
	s_delay_alu instid0(VALU_DEP_1) | instskip(SKIP_2) | instid1(VALU_DEP_1)
	v_and_b32_e32 v9, 0xffff0000, v8
	v_lshlrev_b32_e32 v8, 16, v8
	s_wait_loadcnt 0x0
	v_pk_fma_f32 v[6:7], v[10:11], v[8:9], v[6:7]
	s_clause 0x1
	scratch_load_b64 v[8:9], off, s32 offset:732 th:TH_LOAD_LU
	scratch_load_b64 v[10:11], off, s32 offset:1884
	v_add_f32_e32 v6, v6, v7
	s_wait_loadcnt 0x1
	v_cvt_pk_bf16_f32 v8, v8, v9
	s_delay_alu instid0(VALU_DEP_1) | instskip(SKIP_2) | instid1(VALU_DEP_1)
	v_and_b32_e32 v9, 0xffff0000, v8
	v_lshlrev_b32_e32 v8, 16, v8
	s_wait_loadcnt 0x0
	v_pk_fma_f32 v[4:5], v[10:11], v[8:9], v[4:5]
	s_clause 0x2
	scratch_load_b32 v8, off, s32 offset:1048 th:TH_LOAD_LU
	scratch_load_b64 v[10:11], off, s32 offset:1916
	scratch_load_b32 v9, off, s32 offset:752 th:TH_LOAD_LU
	s_wait_loadcnt 0x0
	v_dual_lshlrev_b32 v8, 16, v8 :: v_dual_lshlrev_b32 v9, 16, v9
	s_delay_alu instid0(VALU_DEP_1)
	v_pk_fma_f32 v[4:5], v[8:9], v[10:11], v[4:5]
	s_clause 0x1
	scratch_load_b32 v8, off, s32 offset:1044 th:TH_LOAD_LU
	scratch_load_b64 v[10:11], off, s32 offset:1964
	s_wait_loadcnt 0x1
	v_lshlrev_b32_e32 v9, 16, v8
	scratch_load_b32 v8, off, s32 offset:748 th:TH_LOAD_LU ; 4-byte Folded Reload
	s_wait_loadcnt 0x0
	v_lshlrev_b32_e32 v8, 16, v8
	s_delay_alu instid0(VALU_DEP_1)
	v_pk_fma_f32 v[4:5], v[10:11], v[8:9], v[4:5]
	s_clause 0x1
	scratch_load_b64 v[8:9], off, s32 offset:1028 th:TH_LOAD_LU
	scratch_load_b64 v[10:11], off, s32 offset:1996
	s_wait_loadcnt 0x1
	v_cvt_pk_bf16_f32 v8, v8, v9
	s_delay_alu instid0(VALU_DEP_1) | instskip(SKIP_2) | instid1(VALU_DEP_1)
	v_and_b32_e32 v9, 0xffff0000, v8
	v_lshlrev_b32_e32 v8, 16, v8
	s_wait_loadcnt 0x0
	v_pk_fma_f32 v[4:5], v[10:11], v[8:9], v[4:5]
	s_clause 0x1
	scratch_load_b64 v[8:9], off, s32 offset:1012 th:TH_LOAD_LU
	scratch_load_b64 v[10:11], off, s32 offset:2012
	s_wait_loadcnt 0x1
	v_cvt_pk_bf16_f32 v8, v8, v9
	s_delay_alu instid0(VALU_DEP_1) | instskip(SKIP_2) | instid1(VALU_DEP_1)
	v_and_b32_e32 v9, 0xffff0000, v8
	v_lshlrev_b32_e32 v8, 16, v8
	s_wait_loadcnt 0x0
	;; [unrolled: 10-line block ×8, first 2 shown]
	v_pk_fma_f32 v[4:5], v[10:11], v[8:9], v[4:5]
	scratch_load_b64 v[10:11], off, s32 offset:2236 ; 8-byte Folded Reload
	v_cvt_pk_bf16_f32 v8, v64, v65
	s_delay_alu instid0(VALU_DEP_1) | instskip(SKIP_2) | instid1(VALU_DEP_1)
	v_and_b32_e32 v9, 0xffff0000, v8
	v_lshlrev_b32_e32 v8, 16, v8
	s_wait_loadcnt 0x0
	v_pk_fma_f32 v[4:5], v[10:11], v[8:9], v[4:5]
	s_clause 0x1
	scratch_load_b64 v[8:9], off, s32 offset:724 th:TH_LOAD_LU
	scratch_load_b64 v[10:11], off, s32 offset:1892
	v_add_f32_e32 v4, v6, v4
	s_delay_alu instid0(VALU_DEP_1) | instskip(SKIP_2) | instid1(VALU_DEP_1)
	v_add_f32_e32 v6, v5, v4
	s_wait_loadcnt 0x1
	v_cvt_pk_bf16_f32 v8, v8, v9
	v_and_b32_e32 v9, 0xffff0000, v8
	v_lshlrev_b32_e32 v8, 16, v8
	s_wait_loadcnt 0x0
	s_delay_alu instid0(VALU_DEP_1)
	v_pk_fma_f32 v[2:3], v[10:11], v[8:9], v[2:3]
	s_clause 0x2
	scratch_load_b32 v8, off, s32 offset:720 th:TH_LOAD_LU
	scratch_load_b32 v9, off, s32 offset:740 th:TH_LOAD_LU
	scratch_load_b64 v[10:11], off, s32 offset:1924
	s_wait_loadcnt 0x1
	v_dual_lshlrev_b32 v8, 16, v8 :: v_dual_lshlrev_b32 v9, 16, v9
	s_wait_loadcnt 0x0
	s_delay_alu instid0(VALU_DEP_1)
	v_pk_fma_f32 v[2:3], v[8:9], v[10:11], v[2:3]
	s_clause 0x1
	scratch_load_b32 v8, off, s32 offset:996 th:TH_LOAD_LU
	scratch_load_b64 v[10:11], off, s32 offset:1940
	s_wait_loadcnt 0x1
	v_lshlrev_b32_e32 v9, 16, v8
	scratch_load_b32 v8, off, s32 offset:1000 th:TH_LOAD_LU ; 4-byte Folded Reload
	s_wait_loadcnt 0x0
	v_lshlrev_b32_e32 v8, 16, v8
	s_delay_alu instid0(VALU_DEP_1)
	v_pk_fma_f32 v[2:3], v[10:11], v[8:9], v[2:3]
	s_clause 0x1
	scratch_load_b64 v[8:9], off, s32 offset:972 th:TH_LOAD_LU
	scratch_load_b64 v[10:11], off, s32 offset:1972
	s_wait_loadcnt 0x1
	v_cvt_pk_bf16_f32 v8, v8, v9
	s_delay_alu instid0(VALU_DEP_1) | instskip(SKIP_2) | instid1(VALU_DEP_1)
	v_and_b32_e32 v9, 0xffff0000, v8
	v_lshlrev_b32_e32 v8, 16, v8
	s_wait_loadcnt 0x0
	v_pk_fma_f32 v[2:3], v[10:11], v[8:9], v[2:3]
	s_clause 0x1
	scratch_load_b64 v[8:9], off, s32 offset:948 th:TH_LOAD_LU
	scratch_load_b64 v[10:11], off, s32 offset:2020
	s_wait_loadcnt 0x1
	v_cvt_pk_bf16_f32 v8, v8, v9
	s_delay_alu instid0(VALU_DEP_1) | instskip(SKIP_2) | instid1(VALU_DEP_1)
	v_and_b32_e32 v9, 0xffff0000, v8
	v_lshlrev_b32_e32 v8, 16, v8
	s_wait_loadcnt 0x0
	;; [unrolled: 10-line block ×8, first 2 shown]
	v_pk_fma_f32 v[2:3], v[10:11], v[8:9], v[2:3]
	scratch_load_b64 v[10:11], off, s32 offset:2244 ; 8-byte Folded Reload
	v_cvt_pk_bf16_f32 v8, v32, v33
	s_delay_alu instid0(VALU_DEP_1) | instskip(SKIP_2) | instid1(VALU_DEP_1)
	v_and_b32_e32 v9, 0xffff0000, v8
	v_lshlrev_b32_e32 v8, 16, v8
	s_wait_loadcnt 0x0
	v_pk_fma_f32 v[2:3], v[10:11], v[8:9], v[2:3]
	s_clause 0x1
	scratch_load_b64 v[8:9], off, s32 offset:712 th:TH_LOAD_LU
	scratch_load_b64 v[10:11], off, s32 offset:1900
	v_add_f32_e32 v2, v2, v6
	s_delay_alu instid0(VALU_DEP_1) | instskip(SKIP_3) | instid1(VALU_DEP_1)
	v_add_f32_e32 v2, v3, v2
	scratch_load_b32 v3, off, s32 offset:1196 ; 4-byte Folded Reload
	s_wait_loadcnt 0x2
	v_cvt_pk_bf16_f32 v8, v8, v9
	v_and_b32_e32 v9, 0xffff0000, v8
	v_lshlrev_b32_e32 v8, 16, v8
	s_wait_loadcnt 0x1
	s_delay_alu instid0(VALU_DEP_1)
	v_pk_fma_f32 v[0:1], v[10:11], v[8:9], v[0:1]
	s_clause 0x3
	scratch_load_b32 v8, off, s32 offset:704 th:TH_LOAD_LU
	scratch_load_b32 v9, off, s32 offset:708 th:TH_LOAD_LU
	scratch_load_b64 v[4:5], off, s32 offset:196 th:TH_LOAD_LU
	scratch_load_b64 v[10:11], off, s32 offset:1932
	s_wait_loadcnt 0x2
	v_dual_lshlrev_b32 v8, 16, v8 :: v_dual_lshlrev_b32 v9, 16, v9
	s_wait_loadcnt 0x1
	v_cvt_pk_bf16_f32 v4, v4, v5
	s_wait_loadcnt 0x0
	s_delay_alu instid0(VALU_DEP_2)
	v_pk_fma_f32 v[0:1], v[8:9], v[10:11], v[0:1]
	s_clause 0x1
	scratch_load_b32 v8, off, s32 offset:744 th:TH_LOAD_LU
	scratch_load_b64 v[10:11], off, s32 offset:1948
	v_and_b32_e32 v5, 0xffff0000, v4
	v_lshlrev_b32_e32 v4, 16, v4
	s_wait_loadcnt 0x1
	v_dual_lshlrev_b32 v9, 16, v8 :: v_dual_lshlrev_b32 v8, 16, v47
	s_wait_loadcnt 0x0
	s_delay_alu instid0(VALU_DEP_1)
	v_pk_fma_f32 v[0:1], v[10:11], v[8:9], v[0:1]
	s_clause 0x1
	scratch_load_b64 v[8:9], off, s32 offset:924 th:TH_LOAD_LU
	scratch_load_b64 v[10:11], off, s32 offset:1980
	s_wait_loadcnt 0x1
	v_cvt_pk_bf16_f32 v8, v8, v9
	s_delay_alu instid0(VALU_DEP_1) | instskip(SKIP_2) | instid1(VALU_DEP_1)
	v_and_b32_e32 v9, 0xffff0000, v8
	v_lshlrev_b32_e32 v8, 16, v8
	s_wait_loadcnt 0x0
	v_pk_fma_f32 v[0:1], v[10:11], v[8:9], v[0:1]
	s_clause 0x1
	scratch_load_b64 v[8:9], off, s32 offset:900 th:TH_LOAD_LU
	scratch_load_b64 v[10:11], off, s32 offset:2028
	s_wait_loadcnt 0x1
	v_cvt_pk_bf16_f32 v8, v8, v9
	s_delay_alu instid0(VALU_DEP_1) | instskip(SKIP_2) | instid1(VALU_DEP_1)
	v_and_b32_e32 v9, 0xffff0000, v8
	v_lshlrev_b32_e32 v8, 16, v8
	s_wait_loadcnt 0x0
	;; [unrolled: 10-line block ×8, first 2 shown]
	v_pk_fma_f32 v[0:1], v[10:11], v[8:9], v[0:1]
	s_clause 0x1
	scratch_load_b64 v[8:9], off, s32 offset:2252
	scratch_load_b32 v11, off, s32 offset:784 th:TH_LOAD_LU
	s_wait_loadcnt 0x1
	v_pk_fma_f32 v[0:1], v[8:9], v[4:5], v[0:1]
	s_delay_alu instid0(VALU_DEP_1) | instskip(SKIP_4) | instid1(VALU_DEP_2)
	v_add_f32_e32 v0, v0, v2
	scratch_load_b32 v2, off, s32 offset:192 ; 4-byte Folded Reload
	s_wait_loadcnt 0x0
	v_dual_add_f32 v0, v1, v0 :: v_dual_sub_nc_u32 v1, 1, v2
	v_cmp_lt_i32_e64 s1, v60, v2
	v_add_nc_u32_e32 v1, v1, v60
	v_add_nc_u32_e32 v60, 0x80, v60
	s_delay_alu instid0(VALU_DEP_2) | instskip(NEXT) | instid1(VALU_DEP_1)
	v_cvt_f32_i32_e32 v1, v1
	v_mul_f32_e32 v1, v3, v1
	scratch_load_b32 v3, off, s32 offset:1208 ; 4-byte Folded Reload
	v_cndmask_b32_e32 v1, 0, v1, vcc_lo
	s_wait_loadcnt 0x0
	s_delay_alu instid0(VALU_DEP_1) | instskip(SKIP_1) | instid1(VALU_DEP_1)
	v_fmac_f32_e32 v1, v3, v0
	v_max_num_f32_e32 v0, v11, v11
	v_dual_max_num_f32 v0, v0, v1 :: v_dual_cndmask_b32 v1, 0, v1, s1
	s_delay_alu instid0(VALU_DEP_1)
	v_cndmask_b32_e64 v11, v11, v0, s1
	scratch_load_b32 v0, off, s32 offset:644 ; 4-byte Folded Reload
	ds_store_b32 v56, v1
	v_add_nc_u32_e32 v56, 0x200, v56
	s_wait_loadcnt 0x0
	v_cmp_ge_i32_e64 s1, v46, v0
	scratch_load_b64 v[0:1], off, s32 offset:788 th:TH_LOAD_LU ; 8-byte Folded Reload
	s_or_b32 s9, s1, s9
	s_wait_loadcnt 0x0
	v_add_nc_u64_e32 v[0:1], 16, v[0:1]
	s_wait_xcnt 0x0
	s_and_not1_b32 exec_lo, exec_lo, s9
	s_cbranch_execz .LBB372_2055
.LBB372_10:                             ; =>This Inner Loop Header: Depth=1
	s_clause 0x4
	scratch_store_b32 off, v46, s32 offset:780
	scratch_store_b32 off, v60, s32 offset:776
	;; [unrolled: 1-line block ×4, first 2 shown]
	scratch_store_b64 off, v[0:1], s32 offset:788
	flat_load_b32 v0, v[0:1]
	s_clause 0x1
	scratch_load_b64 v[2:3], off, s32 offset:1468
	scratch_load_b64 v[4:5], off, s32 offset:2260
	s_mov_b32 s11, exec_lo
	s_wait_loadcnt_dscnt 0x0
	v_mad_nc_i64_i32 v[96:97], v0, v2, v[4:5]
	v_mov_b32_e32 v4, 0
	flat_load_b64 v[0:1], v[96:97]
	scratch_load_b64 v[2:3], off, s32 offset:1200 ; 8-byte Folded Reload
	s_wait_loadcnt 0x0
	flat_load_b32 v72, v[2:3]
	s_wait_dscnt 0x1
	s_wait_xcnt 0x0
	v_and_b32_e32 v2, 0xff, v0
	s_delay_alu instid0(VALU_DEP_1)
	v_cmpx_ne_u16_e32 0, v2
	s_cbranch_execz .LBB372_18
; %bb.11:                               ;   in Loop: Header=BB372_10 Depth=1
	v_bfrev_b32_e32 v4, 1
	s_mov_b32 s16, exec_lo
	v_cmpx_ne_u16_e32 0x80, v2
	s_cbranch_execz .LBB372_17
; %bb.12:                               ;   in Loop: Header=BB372_10 Depth=1
	v_and_b32_e32 v2, 0x7f, v0
	v_mov_b32_e32 v4, 0x7f800001
	s_mov_b32 s17, exec_lo
	s_delay_alu instid0(VALU_DEP_2)
	v_cmpx_ne_u32_e32 0x7f, v2
	s_cbranch_execz .LBB372_16
; %bb.13:                               ;   in Loop: Header=BB372_10 Depth=1
	v_lshrrev_b32_e32 v4, 3, v2
	v_cmp_gt_u32_e64 s1, 8, v2
	v_mov_b64_e32 v[2:3], v[0:1]
	s_and_saveexec_b32 s18, s1
; %bb.14:                               ;   in Loop: Header=BB372_10 Depth=1
	v_and_b32_e32 v2, 7, v0
	s_delay_alu instid0(VALU_DEP_1) | instskip(NEXT) | instid1(VALU_DEP_1)
	v_clz_i32_u32_e32 v2, v2
	v_min_u32_e32 v4, 32, v2
	s_delay_alu instid0(VALU_DEP_1) | instskip(SKIP_1) | instid1(VALU_DEP_2)
	v_subrev_nc_u32_e32 v2, 28, v4
	v_sub_nc_u32_e32 v4, 29, v4
	v_lshlrev_b64_e32 v[2:3], v2, v[0:1]
; %bb.15:                               ;   in Loop: Header=BB372_10 Depth=1
	s_or_b32 exec_lo, exec_lo, s18
	s_delay_alu instid0(VALU_DEP_1) | instskip(NEXT) | instid1(VALU_DEP_3)
	v_dual_lshlrev_b32 v2, 20, v2 :: v_dual_lshlrev_b32 v3, 24, v0
	v_lshl_add_u32 v4, v4, 23, 0x3c000000
	s_delay_alu instid0(VALU_DEP_2) | instskip(NEXT) | instid1(VALU_DEP_3)
	v_and_b32_e32 v2, 0x700000, v2
	v_and_b32_e32 v3, 0x80000000, v3
	s_delay_alu instid0(VALU_DEP_1)
	v_or3_b32 v4, v2, v3, v4
.LBB372_16:                             ;   in Loop: Header=BB372_10 Depth=1
	s_or_b32 exec_lo, exec_lo, s17
.LBB372_17:                             ;   in Loop: Header=BB372_10 Depth=1
	s_delay_alu instid0(SALU_CYCLE_1)
	s_or_b32 exec_lo, exec_lo, s16
.LBB372_18:                             ;   in Loop: Header=BB372_10 Depth=1
	s_delay_alu instid0(SALU_CYCLE_1)
	s_or_b32 exec_lo, exec_lo, s11
	v_lshrrev_b16 v2, 8, v0
	v_dual_mov_b32 v6, 0 :: v_dual_mov_b32 v5, 0
	s_mov_b32 s11, exec_lo
	s_clause 0x1
	scratch_store_b64 off, v[6:7], s32 offset:196
	scratch_store_b64 off, v[4:5], s32 offset:628
	s_wait_xcnt 0x0
	v_cmpx_ne_u16_e32 0, v2
	s_cbranch_execz .LBB372_26
; %bb.19:                               ;   in Loop: Header=BB372_10 Depth=1
	scratch_load_b64 v[4:5], off, s32 offset:628 ; 8-byte Folded Reload
	s_wait_loadcnt 0x0
	v_bfrev_b32_e32 v5, 1
	s_mov_b32 s16, exec_lo
	scratch_store_b64 off, v[4:5], s32 offset:628 ; 8-byte Folded Spill
	s_wait_xcnt 0x0
	v_cmpx_ne_u16_e32 0x80, v2
	s_cbranch_execz .LBB372_25
; %bb.20:                               ;   in Loop: Header=BB372_10 Depth=1
	scratch_load_b64 v[4:5], off, s32 offset:628 ; 8-byte Folded Reload
	v_and_b32_e32 v3, 0xffff, v2
	s_wait_loadcnt 0x0
	v_mov_b32_e32 v5, 0x7f800001
	s_mov_b32 s17, exec_lo
	s_delay_alu instid0(VALU_DEP_2)
	v_and_b32_e32 v2, 0x7f, v3
	scratch_store_b64 off, v[4:5], s32 offset:628 ; 8-byte Folded Spill
	s_wait_xcnt 0x0
	v_cmpx_ne_u32_e32 0x7f, v2
	s_cbranch_execz .LBB372_24
; %bb.21:                               ;   in Loop: Header=BB372_10 Depth=1
	v_dual_lshrrev_b32 v4, 3, v2 :: v_dual_bitop2_b32 v16, 7, v3 bitop3:0x40
	v_cmp_gt_u32_e64 s1, 8, v2
	s_delay_alu instid0(VALU_DEP_2)
	v_mov_b64_e32 v[2:3], v[16:17]
	s_and_saveexec_b32 s18, s1
; %bb.22:                               ;   in Loop: Header=BB372_10 Depth=1
	v_clz_i32_u32_e32 v2, v16
	s_delay_alu instid0(VALU_DEP_1) | instskip(NEXT) | instid1(VALU_DEP_1)
	v_min_u32_e32 v4, 32, v2
	v_subrev_nc_u32_e32 v2, 28, v4
	s_delay_alu instid0(VALU_DEP_1) | instskip(NEXT) | instid1(VALU_DEP_1)
	v_lshlrev_b64_e32 v[2:3], v2, v[16:17]
	v_dual_sub_nc_u32 v4, 29, v4 :: v_dual_bitop2_b32 v2, 7, v2 bitop3:0x40
; %bb.23:                               ;   in Loop: Header=BB372_10 Depth=1
	s_or_b32 exec_lo, exec_lo, s18
	scratch_load_b64 v[6:7], off, s32 offset:628 ; 8-byte Folded Reload
	v_dual_lshlrev_b32 v3, 16, v0 :: v_dual_lshlrev_b32 v2, 20, v2
	v_lshl_add_u32 v4, v4, 23, 0x3c000000
	s_delay_alu instid0(VALU_DEP_2) | instskip(SKIP_1) | instid1(VALU_DEP_1)
	v_and_b32_e32 v3, 0x80000000, v3
	s_wait_loadcnt 0x0
	v_or3_b32 v7, v2, v3, v4
	scratch_store_b64 off, v[6:7], s32 offset:628 ; 8-byte Folded Spill
.LBB372_24:                             ;   in Loop: Header=BB372_10 Depth=1
	s_wait_xcnt 0x0
	s_or_b32 exec_lo, exec_lo, s17
.LBB372_25:                             ;   in Loop: Header=BB372_10 Depth=1
	s_delay_alu instid0(SALU_CYCLE_1)
	s_or_b32 exec_lo, exec_lo, s16
.LBB372_26:                             ;   in Loop: Header=BB372_10 Depth=1
	s_delay_alu instid0(SALU_CYCLE_1) | instskip(SKIP_2) | instid1(VALU_DEP_1)
	s_or_b32 exec_lo, exec_lo, s11
	v_lshrrev_b32_e32 v4, 16, v0
	s_mov_b32 s11, exec_lo
	v_and_b32_e32 v2, 0xff, v4
	s_delay_alu instid0(VALU_DEP_1)
	v_cmpx_ne_u16_e32 0, v2
	s_cbranch_execz .LBB372_34
; %bb.27:                               ;   in Loop: Header=BB372_10 Depth=1
	v_cmp_ne_u16_e64 s1, 0x80, v2
	v_bfrev_b32_e32 v2, 1
	scratch_store_b64 off, v[2:3], s32 offset:196 ; 8-byte Folded Spill
	s_wait_xcnt 0x0
	s_and_saveexec_b32 s16, s1
	s_cbranch_execz .LBB372_33
; %bb.28:                               ;   in Loop: Header=BB372_10 Depth=1
	v_bfe_u32 v2, v0, 16, 7
	v_mov_b32_e32 v6, 0x7f800001
	s_mov_b32 s17, exec_lo
	scratch_store_b64 off, v[6:7], s32 offset:196 ; 8-byte Folded Spill
	s_wait_xcnt 0x0
	v_cmpx_ne_u32_e32 0x7f, v2
	s_cbranch_execz .LBB372_32
; %bb.29:                               ;   in Loop: Header=BB372_10 Depth=1
	v_dual_lshrrev_b32 v5, 3, v2 :: v_dual_bitop2_b32 v16, 7, v4 bitop3:0x40
	v_cmp_gt_u32_e64 s1, 8, v2
	s_delay_alu instid0(VALU_DEP_2)
	v_mov_b64_e32 v[2:3], v[16:17]
	s_and_saveexec_b32 s18, s1
; %bb.30:                               ;   in Loop: Header=BB372_10 Depth=1
	v_clz_i32_u32_e32 v2, v16
	s_delay_alu instid0(VALU_DEP_1) | instskip(NEXT) | instid1(VALU_DEP_1)
	v_min_u32_e32 v5, 32, v2
	v_subrev_nc_u32_e32 v2, 28, v5
	s_delay_alu instid0(VALU_DEP_1) | instskip(NEXT) | instid1(VALU_DEP_1)
	v_lshlrev_b64_e32 v[2:3], v2, v[16:17]
	v_dual_sub_nc_u32 v5, 29, v5 :: v_dual_bitop2_b32 v2, 7, v2 bitop3:0x40
; %bb.31:                               ;   in Loop: Header=BB372_10 Depth=1
	s_or_b32 exec_lo, exec_lo, s18
	s_delay_alu instid0(VALU_DEP_1) | instskip(NEXT) | instid1(VALU_DEP_2)
	v_dual_lshlrev_b32 v3, 24, v4 :: v_dual_lshlrev_b32 v2, 20, v2
	v_lshl_add_u32 v4, v5, 23, 0x3c000000
	s_delay_alu instid0(VALU_DEP_2) | instskip(NEXT) | instid1(VALU_DEP_1)
	v_and_b32_e32 v3, 0x80000000, v3
	v_or3_b32 v2, v2, v3, v4
	scratch_store_b64 off, v[2:3], s32 offset:196 ; 8-byte Folded Spill
.LBB372_32:                             ;   in Loop: Header=BB372_10 Depth=1
	s_wait_xcnt 0x0
	s_or_b32 exec_lo, exec_lo, s17
.LBB372_33:                             ;   in Loop: Header=BB372_10 Depth=1
	s_delay_alu instid0(SALU_CYCLE_1)
	s_or_b32 exec_lo, exec_lo, s16
.LBB372_34:                             ;   in Loop: Header=BB372_10 Depth=1
	s_delay_alu instid0(SALU_CYCLE_1)
	s_or_b32 exec_lo, exec_lo, s11
	v_mov_b32_e32 v2, 0
	s_mov_b32 s11, exec_lo
	s_clause 0x1
	scratch_store_b64 off, v[2:3], s32 offset:204
	scratch_load_b64 v[2:3], off, s32 offset:196
	s_wait_loadcnt 0x0
	v_mov_b32_e32 v3, 0
	scratch_store_b64 off, v[2:3], s32 offset:196 ; 8-byte Folded Spill
	s_wait_xcnt 0x0
	v_cmpx_lt_u32_e32 0xffffff, v0
	s_cbranch_execz .LBB372_42
; %bb.35:                               ;   in Loop: Header=BB372_10 Depth=1
	scratch_load_b64 v[2:3], off, s32 offset:196 ; 8-byte Folded Reload
	v_lshrrev_b32_e32 v4, 24, v0
	s_wait_loadcnt 0x0
	v_bfrev_b32_e32 v3, 1
	s_mov_b32 s16, exec_lo
	scratch_store_b64 off, v[2:3], s32 offset:196 ; 8-byte Folded Spill
	s_wait_xcnt 0x0
	v_cmpx_ne_u32_e32 0x80, v4
	s_cbranch_execz .LBB372_41
; %bb.36:                               ;   in Loop: Header=BB372_10 Depth=1
	scratch_load_b64 v[6:7], off, s32 offset:196 ; 8-byte Folded Reload
	v_bfe_u32 v2, v0, 24, 7
	s_wait_loadcnt 0x0
	v_mov_b32_e32 v7, 0x7f800001
	s_mov_b32 s17, exec_lo
	scratch_store_b64 off, v[6:7], s32 offset:196 ; 8-byte Folded Spill
	s_wait_xcnt 0x0
	v_cmpx_ne_u32_e32 0x7f, v2
	s_cbranch_execz .LBB372_40
; %bb.37:                               ;   in Loop: Header=BB372_10 Depth=1
	v_dual_lshrrev_b32 v5, 3, v2 :: v_dual_bitop2_b32 v16, 7, v4 bitop3:0x40
	v_cmp_gt_u32_e64 s1, 8, v2
	s_delay_alu instid0(VALU_DEP_2)
	v_mov_b64_e32 v[2:3], v[16:17]
	s_and_saveexec_b32 s18, s1
; %bb.38:                               ;   in Loop: Header=BB372_10 Depth=1
	v_clz_i32_u32_e32 v2, v16
	s_delay_alu instid0(VALU_DEP_1) | instskip(NEXT) | instid1(VALU_DEP_1)
	v_min_u32_e32 v5, 32, v2
	v_subrev_nc_u32_e32 v2, 28, v5
	s_delay_alu instid0(VALU_DEP_1) | instskip(NEXT) | instid1(VALU_DEP_1)
	v_lshlrev_b64_e32 v[2:3], v2, v[16:17]
	v_dual_sub_nc_u32 v5, 29, v5 :: v_dual_bitop2_b32 v2, 7, v2 bitop3:0x40
; %bb.39:                               ;   in Loop: Header=BB372_10 Depth=1
	s_or_b32 exec_lo, exec_lo, s18
	scratch_load_b64 v[6:7], off, s32 offset:196 ; 8-byte Folded Reload
	v_dual_lshlrev_b32 v3, 24, v4 :: v_dual_lshlrev_b32 v2, 20, v2
	v_lshl_add_u32 v4, v5, 23, 0x3c000000
	s_delay_alu instid0(VALU_DEP_2) | instskip(SKIP_1) | instid1(VALU_DEP_1)
	v_and_b32_e32 v3, 0x80000000, v3
	s_wait_loadcnt 0x0
	v_or3_b32 v7, v2, v3, v4
	scratch_store_b64 off, v[6:7], s32 offset:196 ; 8-byte Folded Spill
.LBB372_40:                             ;   in Loop: Header=BB372_10 Depth=1
	s_wait_xcnt 0x0
	s_or_b32 exec_lo, exec_lo, s17
.LBB372_41:                             ;   in Loop: Header=BB372_10 Depth=1
	s_delay_alu instid0(SALU_CYCLE_1)
	s_or_b32 exec_lo, exec_lo, s16
.LBB372_42:                             ;   in Loop: Header=BB372_10 Depth=1
	s_delay_alu instid0(SALU_CYCLE_1) | instskip(SKIP_3) | instid1(VALU_DEP_2)
	s_or_b32 exec_lo, exec_lo, s11
	v_and_b32_e32 v2, 0xff, v1
	v_mov_b32_e32 v16, v1
	s_mov_b32 s11, exec_lo
	v_cmpx_ne_u16_e32 0, v2
	s_cbranch_execz .LBB372_50
; %bb.43:                               ;   in Loop: Header=BB372_10 Depth=1
	v_cmp_ne_u16_e64 s1, 0x80, v2
	v_bfrev_b32_e32 v2, 1
	scratch_store_b64 off, v[2:3], s32 offset:204 ; 8-byte Folded Spill
	s_wait_xcnt 0x0
	s_and_saveexec_b32 s16, s1
	s_cbranch_execz .LBB372_49
; %bb.44:                               ;   in Loop: Header=BB372_10 Depth=1
	v_and_b32_e32 v2, 0x7f, v1
	v_mov_b32_e32 v4, 0x7f800001
	s_mov_b32 s17, exec_lo
	scratch_store_b64 off, v[4:5], s32 offset:204 ; 8-byte Folded Spill
	s_wait_xcnt 0x0
	v_cmpx_ne_u32_e32 0x7f, v2
	s_cbranch_execz .LBB372_48
; %bb.45:                               ;   in Loop: Header=BB372_10 Depth=1
	v_lshrrev_b32_e32 v4, 3, v2
	v_cmp_gt_u32_e64 s1, 8, v2
	v_mov_b64_e32 v[2:3], v[16:17]
	s_and_saveexec_b32 s18, s1
; %bb.46:                               ;   in Loop: Header=BB372_10 Depth=1
	v_and_b32_e32 v2, 7, v1
	s_delay_alu instid0(VALU_DEP_1) | instskip(NEXT) | instid1(VALU_DEP_1)
	v_clz_i32_u32_e32 v2, v2
	v_min_u32_e32 v4, 32, v2
	s_delay_alu instid0(VALU_DEP_1) | instskip(SKIP_1) | instid1(VALU_DEP_2)
	v_subrev_nc_u32_e32 v2, 28, v4
	v_sub_nc_u32_e32 v4, 29, v4
	v_lshlrev_b64_e32 v[2:3], v2, v[16:17]
; %bb.47:                               ;   in Loop: Header=BB372_10 Depth=1
	s_or_b32 exec_lo, exec_lo, s18
	s_delay_alu instid0(VALU_DEP_1) | instskip(NEXT) | instid1(VALU_DEP_3)
	v_dual_lshlrev_b32 v2, 20, v2 :: v_dual_lshlrev_b32 v3, 24, v16
	v_lshl_add_u32 v4, v4, 23, 0x3c000000
	s_delay_alu instid0(VALU_DEP_2) | instskip(NEXT) | instid1(VALU_DEP_3)
	v_and_b32_e32 v2, 0x700000, v2
	v_and_b32_e32 v3, 0x80000000, v3
	s_delay_alu instid0(VALU_DEP_1)
	v_or3_b32 v2, v2, v3, v4
	scratch_store_b64 off, v[2:3], s32 offset:204 ; 8-byte Folded Spill
.LBB372_48:                             ;   in Loop: Header=BB372_10 Depth=1
	s_wait_xcnt 0x0
	s_or_b32 exec_lo, exec_lo, s17
.LBB372_49:                             ;   in Loop: Header=BB372_10 Depth=1
	s_delay_alu instid0(SALU_CYCLE_1)
	s_or_b32 exec_lo, exec_lo, s16
.LBB372_50:                             ;   in Loop: Header=BB372_10 Depth=1
	s_delay_alu instid0(SALU_CYCLE_1)
	s_or_b32 exec_lo, exec_lo, s11
	v_mov_b32_e32 v4, 0
	v_lshrrev_b16 v2, 8, v16
	s_mov_b32 s11, exec_lo
	s_clause 0x1
	scratch_store_b64 off, v[4:5], s32 offset:212
	scratch_load_b64 v[4:5], off, s32 offset:204
	s_wait_loadcnt 0x0
	v_mov_b32_e32 v5, 0
	scratch_store_b64 off, v[4:5], s32 offset:204 ; 8-byte Folded Spill
	s_wait_xcnt 0x0
	v_cmpx_ne_u16_e32 0, v2
	s_cbranch_execz .LBB372_58
; %bb.51:                               ;   in Loop: Header=BB372_10 Depth=1
	scratch_load_b64 v[4:5], off, s32 offset:204 ; 8-byte Folded Reload
	s_wait_loadcnt 0x0
	v_bfrev_b32_e32 v5, 1
	s_mov_b32 s16, exec_lo
	scratch_store_b64 off, v[4:5], s32 offset:204 ; 8-byte Folded Spill
	s_wait_xcnt 0x0
	v_cmpx_ne_u16_e32 0x80, v2
	s_cbranch_execz .LBB372_57
; %bb.52:                               ;   in Loop: Header=BB372_10 Depth=1
	scratch_load_b64 v[6:7], off, s32 offset:204 ; 8-byte Folded Reload
	v_and_b32_e32 v2, 0xffff, v2
	s_wait_loadcnt 0x0
	v_mov_b32_e32 v7, 0x7f800001
	s_mov_b32 s17, exec_lo
	s_delay_alu instid0(VALU_DEP_2)
	v_and_b32_e32 v5, 0x7f, v2
	scratch_store_b64 off, v[6:7], s32 offset:204 ; 8-byte Folded Spill
	s_wait_xcnt 0x0
	v_cmpx_ne_u32_e32 0x7f, v5
	s_cbranch_execz .LBB372_56
; %bb.53:                               ;   in Loop: Header=BB372_10 Depth=1
	v_dual_mov_b32 v3, v17 :: v_dual_bitop2_b32 v2, 7, v2 bitop3:0x40
	v_lshrrev_b32_e32 v4, 3, v5
	s_mov_b32 s18, exec_lo
	v_cmpx_gt_u32_e32 8, v5
; %bb.54:                               ;   in Loop: Header=BB372_10 Depth=1
	s_delay_alu instid0(VALU_DEP_3) | instskip(NEXT) | instid1(VALU_DEP_1)
	v_clz_i32_u32_e32 v4, v2
	v_min_u32_e32 v4, 32, v4
	s_delay_alu instid0(VALU_DEP_1) | instskip(NEXT) | instid1(VALU_DEP_1)
	v_subrev_nc_u32_e32 v5, 28, v4
	v_lshlrev_b64_e32 v[2:3], v5, v[2:3]
	s_delay_alu instid0(VALU_DEP_1)
	v_dual_sub_nc_u32 v4, 29, v4 :: v_dual_bitop2_b32 v2, 7, v2 bitop3:0x40
; %bb.55:                               ;   in Loop: Header=BB372_10 Depth=1
	s_or_b32 exec_lo, exec_lo, s18
	scratch_load_b64 v[6:7], off, s32 offset:204 ; 8-byte Folded Reload
	v_dual_lshlrev_b32 v3, 16, v16 :: v_dual_lshlrev_b32 v2, 20, v2
	v_lshl_add_u32 v4, v4, 23, 0x3c000000
	s_delay_alu instid0(VALU_DEP_2) | instskip(SKIP_1) | instid1(VALU_DEP_1)
	v_and_b32_e32 v3, 0x80000000, v3
	s_wait_loadcnt 0x0
	v_or3_b32 v7, v2, v3, v4
	scratch_store_b64 off, v[6:7], s32 offset:204 ; 8-byte Folded Spill
.LBB372_56:                             ;   in Loop: Header=BB372_10 Depth=1
	s_wait_xcnt 0x0
	s_or_b32 exec_lo, exec_lo, s17
.LBB372_57:                             ;   in Loop: Header=BB372_10 Depth=1
	s_delay_alu instid0(SALU_CYCLE_1)
	s_or_b32 exec_lo, exec_lo, s16
.LBB372_58:                             ;   in Loop: Header=BB372_10 Depth=1
	s_delay_alu instid0(SALU_CYCLE_1) | instskip(SKIP_2) | instid1(VALU_DEP_1)
	s_or_b32 exec_lo, exec_lo, s11
	v_lshrrev_b32_e32 v4, 16, v1
	s_mov_b32 s11, exec_lo
	v_and_b32_e32 v2, 0xff, v4
	s_delay_alu instid0(VALU_DEP_1)
	v_cmpx_ne_u16_e32 0, v2
	s_cbranch_execz .LBB372_66
; %bb.59:                               ;   in Loop: Header=BB372_10 Depth=1
	v_cmp_ne_u16_e64 s1, 0x80, v2
	v_bfrev_b32_e32 v2, 1
	scratch_store_b64 off, v[2:3], s32 offset:212 ; 8-byte Folded Spill
	s_wait_xcnt 0x0
	s_and_saveexec_b32 s16, s1
	s_cbranch_execz .LBB372_65
; %bb.60:                               ;   in Loop: Header=BB372_10 Depth=1
	v_bfe_u32 v2, v1, 16, 7
	v_mov_b32_e32 v6, 0x7f800001
	s_mov_b32 s17, exec_lo
	scratch_store_b64 off, v[6:7], s32 offset:212 ; 8-byte Folded Spill
	s_wait_xcnt 0x0
	v_cmpx_ne_u32_e32 0x7f, v2
	s_cbranch_execz .LBB372_64
; %bb.61:                               ;   in Loop: Header=BB372_10 Depth=1
	v_dual_lshrrev_b32 v5, 3, v2 :: v_dual_bitop2_b32 v16, 7, v4 bitop3:0x40
	v_cmp_gt_u32_e64 s1, 8, v2
	s_delay_alu instid0(VALU_DEP_2)
	v_mov_b64_e32 v[2:3], v[16:17]
	s_and_saveexec_b32 s18, s1
; %bb.62:                               ;   in Loop: Header=BB372_10 Depth=1
	v_clz_i32_u32_e32 v2, v16
	s_delay_alu instid0(VALU_DEP_1) | instskip(NEXT) | instid1(VALU_DEP_1)
	v_min_u32_e32 v5, 32, v2
	v_subrev_nc_u32_e32 v2, 28, v5
	s_delay_alu instid0(VALU_DEP_1) | instskip(NEXT) | instid1(VALU_DEP_1)
	v_lshlrev_b64_e32 v[2:3], v2, v[16:17]
	v_dual_sub_nc_u32 v5, 29, v5 :: v_dual_bitop2_b32 v2, 7, v2 bitop3:0x40
; %bb.63:                               ;   in Loop: Header=BB372_10 Depth=1
	s_or_b32 exec_lo, exec_lo, s18
	s_delay_alu instid0(VALU_DEP_1) | instskip(NEXT) | instid1(VALU_DEP_2)
	v_dual_lshlrev_b32 v3, 24, v4 :: v_dual_lshlrev_b32 v2, 20, v2
	v_lshl_add_u32 v4, v5, 23, 0x3c000000
	s_delay_alu instid0(VALU_DEP_2) | instskip(NEXT) | instid1(VALU_DEP_1)
	v_and_b32_e32 v3, 0x80000000, v3
	v_or3_b32 v2, v2, v3, v4
	scratch_store_b64 off, v[2:3], s32 offset:212 ; 8-byte Folded Spill
.LBB372_64:                             ;   in Loop: Header=BB372_10 Depth=1
	s_wait_xcnt 0x0
	s_or_b32 exec_lo, exec_lo, s17
.LBB372_65:                             ;   in Loop: Header=BB372_10 Depth=1
	s_delay_alu instid0(SALU_CYCLE_1)
	s_or_b32 exec_lo, exec_lo, s16
.LBB372_66:                             ;   in Loop: Header=BB372_10 Depth=1
	s_delay_alu instid0(SALU_CYCLE_1)
	s_or_b32 exec_lo, exec_lo, s11
	scratch_load_b64 v[2:3], off, s32 offset:212 ; 8-byte Folded Reload
	v_cmp_lt_u64_e64 s1, s[2:3], v[0:1]
	s_wait_loadcnt 0x0
	v_dual_mov_b32 v0, 0 :: v_dual_mov_b32 v3, 0
	s_clause 0x1
	scratch_store_b64 off, v[0:1], s32 offset:220
	scratch_store_b64 off, v[2:3], s32 offset:212
	s_wait_xcnt 0x0
	s_and_saveexec_b32 s11, s1
	s_cbranch_execz .LBB372_74
; %bb.67:                               ;   in Loop: Header=BB372_10 Depth=1
	scratch_load_b64 v[4:5], off, s32 offset:212 ; 8-byte Folded Reload
	v_lshrrev_b32_e32 v2, 24, v1
	s_wait_loadcnt 0x0
	v_bfrev_b32_e32 v5, 1
	s_mov_b32 s16, exec_lo
	scratch_store_b64 off, v[4:5], s32 offset:212 ; 8-byte Folded Spill
	s_wait_xcnt 0x0
	v_cmpx_ne_u32_e32 0x80, v2
	s_cbranch_execz .LBB372_73
; %bb.68:                               ;   in Loop: Header=BB372_10 Depth=1
	scratch_load_b64 v[4:5], off, s32 offset:212 ; 8-byte Folded Reload
	v_bfe_u32 v0, v1, 24, 7
	s_wait_loadcnt 0x0
	v_mov_b32_e32 v5, 0x7f800001
	s_mov_b32 s17, exec_lo
	scratch_store_b64 off, v[4:5], s32 offset:212 ; 8-byte Folded Spill
	s_wait_xcnt 0x0
	v_cmpx_ne_u32_e32 0x7f, v0
	s_cbranch_execz .LBB372_72
; %bb.69:                               ;   in Loop: Header=BB372_10 Depth=1
	v_dual_lshrrev_b32 v3, 3, v0 :: v_dual_bitop2_b32 v16, 7, v2 bitop3:0x40
	v_cmp_gt_u32_e64 s1, 8, v0
	s_delay_alu instid0(VALU_DEP_2)
	v_mov_b64_e32 v[0:1], v[16:17]
	s_and_saveexec_b32 s18, s1
; %bb.70:                               ;   in Loop: Header=BB372_10 Depth=1
	v_clz_i32_u32_e32 v0, v16
	s_delay_alu instid0(VALU_DEP_1) | instskip(NEXT) | instid1(VALU_DEP_1)
	v_min_u32_e32 v3, 32, v0
	v_subrev_nc_u32_e32 v0, 28, v3
	s_delay_alu instid0(VALU_DEP_1) | instskip(NEXT) | instid1(VALU_DEP_1)
	v_lshlrev_b64_e32 v[0:1], v0, v[16:17]
	v_dual_sub_nc_u32 v3, 29, v3 :: v_dual_bitop2_b32 v0, 7, v0 bitop3:0x40
; %bb.71:                               ;   in Loop: Header=BB372_10 Depth=1
	s_or_b32 exec_lo, exec_lo, s18
	scratch_load_b64 v[4:5], off, s32 offset:212 ; 8-byte Folded Reload
	v_dual_lshlrev_b32 v1, 24, v2 :: v_dual_lshlrev_b32 v0, 20, v0
	v_lshl_add_u32 v2, v3, 23, 0x3c000000
	s_delay_alu instid0(VALU_DEP_2) | instskip(SKIP_1) | instid1(VALU_DEP_1)
	v_and_b32_e32 v1, 0x80000000, v1
	s_wait_loadcnt 0x0
	v_or3_b32 v5, v0, v1, v2
	scratch_store_b64 off, v[4:5], s32 offset:212 ; 8-byte Folded Spill
.LBB372_72:                             ;   in Loop: Header=BB372_10 Depth=1
	s_wait_xcnt 0x0
	s_or_b32 exec_lo, exec_lo, s17
.LBB372_73:                             ;   in Loop: Header=BB372_10 Depth=1
	s_delay_alu instid0(SALU_CYCLE_1)
	s_or_b32 exec_lo, exec_lo, s16
.LBB372_74:                             ;   in Loop: Header=BB372_10 Depth=1
	s_delay_alu instid0(SALU_CYCLE_1)
	s_or_b32 exec_lo, exec_lo, s11
	flat_load_b64 v[0:1], v[96:97] offset:8
	s_mov_b32 s11, exec_lo
	s_wait_loadcnt_dscnt 0x0
	v_and_b32_e32 v2, 0xff, v0
	s_wait_xcnt 0x0
	s_delay_alu instid0(VALU_DEP_1)
	v_cmpx_ne_u16_e32 0, v2
	s_cbranch_execz .LBB372_82
; %bb.75:                               ;   in Loop: Header=BB372_10 Depth=1
	v_cmp_ne_u16_e64 s1, 0x80, v2
	v_bfrev_b32_e32 v2, 1
	scratch_store_b64 off, v[2:3], s32 offset:220 ; 8-byte Folded Spill
	s_wait_xcnt 0x0
	s_and_saveexec_b32 s16, s1
	s_cbranch_execz .LBB372_81
; %bb.76:                               ;   in Loop: Header=BB372_10 Depth=1
	v_and_b32_e32 v2, 0x7f, v0
	v_mov_b32_e32 v4, 0x7f800001
	s_mov_b32 s17, exec_lo
	scratch_store_b64 off, v[4:5], s32 offset:220 ; 8-byte Folded Spill
	s_wait_xcnt 0x0
	v_cmpx_ne_u32_e32 0x7f, v2
	s_cbranch_execz .LBB372_80
; %bb.77:                               ;   in Loop: Header=BB372_10 Depth=1
	v_lshrrev_b32_e32 v4, 3, v2
	v_cmp_gt_u32_e64 s1, 8, v2
	v_mov_b64_e32 v[2:3], v[0:1]
	s_and_saveexec_b32 s18, s1
; %bb.78:                               ;   in Loop: Header=BB372_10 Depth=1
	v_and_b32_e32 v2, 7, v0
	s_delay_alu instid0(VALU_DEP_1) | instskip(NEXT) | instid1(VALU_DEP_1)
	v_clz_i32_u32_e32 v2, v2
	v_min_u32_e32 v4, 32, v2
	s_delay_alu instid0(VALU_DEP_1) | instskip(SKIP_1) | instid1(VALU_DEP_2)
	v_subrev_nc_u32_e32 v2, 28, v4
	v_sub_nc_u32_e32 v4, 29, v4
	v_lshlrev_b64_e32 v[2:3], v2, v[0:1]
; %bb.79:                               ;   in Loop: Header=BB372_10 Depth=1
	s_or_b32 exec_lo, exec_lo, s18
	s_delay_alu instid0(VALU_DEP_1) | instskip(NEXT) | instid1(VALU_DEP_3)
	v_dual_lshlrev_b32 v2, 20, v2 :: v_dual_lshlrev_b32 v3, 24, v0
	v_lshl_add_u32 v4, v4, 23, 0x3c000000
	s_delay_alu instid0(VALU_DEP_2) | instskip(NEXT) | instid1(VALU_DEP_3)
	v_and_b32_e32 v2, 0x700000, v2
	v_and_b32_e32 v3, 0x80000000, v3
	s_delay_alu instid0(VALU_DEP_1)
	v_or3_b32 v2, v2, v3, v4
	scratch_store_b64 off, v[2:3], s32 offset:220 ; 8-byte Folded Spill
.LBB372_80:                             ;   in Loop: Header=BB372_10 Depth=1
	s_wait_xcnt 0x0
	s_or_b32 exec_lo, exec_lo, s17
.LBB372_81:                             ;   in Loop: Header=BB372_10 Depth=1
	s_delay_alu instid0(SALU_CYCLE_1)
	s_or_b32 exec_lo, exec_lo, s16
.LBB372_82:                             ;   in Loop: Header=BB372_10 Depth=1
	s_delay_alu instid0(SALU_CYCLE_1)
	s_or_b32 exec_lo, exec_lo, s11
	v_mov_b32_e32 v4, 0
	v_lshrrev_b16 v2, 8, v0
	s_mov_b32 s11, exec_lo
	s_clause 0x1
	scratch_store_b64 off, v[4:5], s32 offset:228
	scratch_load_b64 v[4:5], off, s32 offset:220
	s_wait_loadcnt 0x0
	v_mov_b32_e32 v5, 0
	scratch_store_b64 off, v[4:5], s32 offset:220 ; 8-byte Folded Spill
	s_wait_xcnt 0x0
	v_cmpx_ne_u16_e32 0, v2
	s_cbranch_execz .LBB372_90
; %bb.83:                               ;   in Loop: Header=BB372_10 Depth=1
	scratch_load_b64 v[4:5], off, s32 offset:220 ; 8-byte Folded Reload
	s_wait_loadcnt 0x0
	v_bfrev_b32_e32 v5, 1
	s_mov_b32 s16, exec_lo
	scratch_store_b64 off, v[4:5], s32 offset:220 ; 8-byte Folded Spill
	s_wait_xcnt 0x0
	v_cmpx_ne_u16_e32 0x80, v2
	s_cbranch_execz .LBB372_89
; %bb.84:                               ;   in Loop: Header=BB372_10 Depth=1
	scratch_load_b64 v[4:5], off, s32 offset:220 ; 8-byte Folded Reload
	v_and_b32_e32 v3, 0xffff, v2
	s_wait_loadcnt 0x0
	v_mov_b32_e32 v5, 0x7f800001
	s_mov_b32 s17, exec_lo
	s_delay_alu instid0(VALU_DEP_2)
	v_and_b32_e32 v2, 0x7f, v3
	scratch_store_b64 off, v[4:5], s32 offset:220 ; 8-byte Folded Spill
	s_wait_xcnt 0x0
	v_cmpx_ne_u32_e32 0x7f, v2
	s_cbranch_execz .LBB372_88
; %bb.85:                               ;   in Loop: Header=BB372_10 Depth=1
	v_dual_lshrrev_b32 v4, 3, v2 :: v_dual_bitop2_b32 v16, 7, v3 bitop3:0x40
	v_cmp_gt_u32_e64 s1, 8, v2
	s_delay_alu instid0(VALU_DEP_2)
	v_mov_b64_e32 v[2:3], v[16:17]
	s_and_saveexec_b32 s18, s1
; %bb.86:                               ;   in Loop: Header=BB372_10 Depth=1
	v_clz_i32_u32_e32 v2, v16
	s_delay_alu instid0(VALU_DEP_1) | instskip(NEXT) | instid1(VALU_DEP_1)
	v_min_u32_e32 v4, 32, v2
	v_subrev_nc_u32_e32 v2, 28, v4
	s_delay_alu instid0(VALU_DEP_1) | instskip(NEXT) | instid1(VALU_DEP_1)
	v_lshlrev_b64_e32 v[2:3], v2, v[16:17]
	v_dual_sub_nc_u32 v4, 29, v4 :: v_dual_bitop2_b32 v2, 7, v2 bitop3:0x40
; %bb.87:                               ;   in Loop: Header=BB372_10 Depth=1
	s_or_b32 exec_lo, exec_lo, s18
	scratch_load_b64 v[6:7], off, s32 offset:220 ; 8-byte Folded Reload
	v_dual_lshlrev_b32 v3, 16, v0 :: v_dual_lshlrev_b32 v2, 20, v2
	v_lshl_add_u32 v4, v4, 23, 0x3c000000
	s_delay_alu instid0(VALU_DEP_2) | instskip(SKIP_1) | instid1(VALU_DEP_1)
	v_and_b32_e32 v3, 0x80000000, v3
	s_wait_loadcnt 0x0
	v_or3_b32 v7, v2, v3, v4
	scratch_store_b64 off, v[6:7], s32 offset:220 ; 8-byte Folded Spill
.LBB372_88:                             ;   in Loop: Header=BB372_10 Depth=1
	s_wait_xcnt 0x0
	s_or_b32 exec_lo, exec_lo, s17
.LBB372_89:                             ;   in Loop: Header=BB372_10 Depth=1
	s_delay_alu instid0(SALU_CYCLE_1)
	s_or_b32 exec_lo, exec_lo, s16
.LBB372_90:                             ;   in Loop: Header=BB372_10 Depth=1
	s_delay_alu instid0(SALU_CYCLE_1) | instskip(SKIP_2) | instid1(VALU_DEP_1)
	s_or_b32 exec_lo, exec_lo, s11
	v_lshrrev_b32_e32 v4, 16, v0
	s_mov_b32 s11, exec_lo
	v_and_b32_e32 v2, 0xff, v4
	s_delay_alu instid0(VALU_DEP_1)
	v_cmpx_ne_u16_e32 0, v2
	s_cbranch_execz .LBB372_98
; %bb.91:                               ;   in Loop: Header=BB372_10 Depth=1
	v_cmp_ne_u16_e64 s1, 0x80, v2
	v_bfrev_b32_e32 v2, 1
	scratch_store_b64 off, v[2:3], s32 offset:228 ; 8-byte Folded Spill
	s_wait_xcnt 0x0
	s_and_saveexec_b32 s16, s1
	s_cbranch_execz .LBB372_97
; %bb.92:                               ;   in Loop: Header=BB372_10 Depth=1
	v_bfe_u32 v2, v0, 16, 7
	v_mov_b32_e32 v6, 0x7f800001
	s_mov_b32 s17, exec_lo
	scratch_store_b64 off, v[6:7], s32 offset:228 ; 8-byte Folded Spill
	s_wait_xcnt 0x0
	v_cmpx_ne_u32_e32 0x7f, v2
	s_cbranch_execz .LBB372_96
; %bb.93:                               ;   in Loop: Header=BB372_10 Depth=1
	v_dual_lshrrev_b32 v5, 3, v2 :: v_dual_bitop2_b32 v16, 7, v4 bitop3:0x40
	v_cmp_gt_u32_e64 s1, 8, v2
	s_delay_alu instid0(VALU_DEP_2)
	v_mov_b64_e32 v[2:3], v[16:17]
	s_and_saveexec_b32 s18, s1
; %bb.94:                               ;   in Loop: Header=BB372_10 Depth=1
	v_clz_i32_u32_e32 v2, v16
	s_delay_alu instid0(VALU_DEP_1) | instskip(NEXT) | instid1(VALU_DEP_1)
	v_min_u32_e32 v5, 32, v2
	v_subrev_nc_u32_e32 v2, 28, v5
	s_delay_alu instid0(VALU_DEP_1) | instskip(NEXT) | instid1(VALU_DEP_1)
	v_lshlrev_b64_e32 v[2:3], v2, v[16:17]
	v_dual_sub_nc_u32 v5, 29, v5 :: v_dual_bitop2_b32 v2, 7, v2 bitop3:0x40
; %bb.95:                               ;   in Loop: Header=BB372_10 Depth=1
	s_or_b32 exec_lo, exec_lo, s18
	s_delay_alu instid0(VALU_DEP_1) | instskip(NEXT) | instid1(VALU_DEP_2)
	v_dual_lshlrev_b32 v3, 24, v4 :: v_dual_lshlrev_b32 v2, 20, v2
	v_lshl_add_u32 v4, v5, 23, 0x3c000000
	s_delay_alu instid0(VALU_DEP_2) | instskip(NEXT) | instid1(VALU_DEP_1)
	v_and_b32_e32 v3, 0x80000000, v3
	v_or3_b32 v2, v2, v3, v4
	scratch_store_b64 off, v[2:3], s32 offset:228 ; 8-byte Folded Spill
.LBB372_96:                             ;   in Loop: Header=BB372_10 Depth=1
	s_wait_xcnt 0x0
	s_or_b32 exec_lo, exec_lo, s17
.LBB372_97:                             ;   in Loop: Header=BB372_10 Depth=1
	s_delay_alu instid0(SALU_CYCLE_1)
	s_or_b32 exec_lo, exec_lo, s16
.LBB372_98:                             ;   in Loop: Header=BB372_10 Depth=1
	s_delay_alu instid0(SALU_CYCLE_1)
	s_or_b32 exec_lo, exec_lo, s11
	v_mov_b32_e32 v2, 0
	s_mov_b32 s11, exec_lo
	s_clause 0x1
	scratch_store_b64 off, v[2:3], s32 offset:236
	scratch_load_b64 v[2:3], off, s32 offset:228
	s_wait_loadcnt 0x0
	v_mov_b32_e32 v3, 0
	scratch_store_b64 off, v[2:3], s32 offset:228 ; 8-byte Folded Spill
	s_wait_xcnt 0x0
	v_cmpx_lt_u32_e32 0xffffff, v0
	s_cbranch_execz .LBB372_106
; %bb.99:                               ;   in Loop: Header=BB372_10 Depth=1
	scratch_load_b64 v[2:3], off, s32 offset:228 ; 8-byte Folded Reload
	v_lshrrev_b32_e32 v4, 24, v0
	s_wait_loadcnt 0x0
	v_bfrev_b32_e32 v3, 1
	s_mov_b32 s16, exec_lo
	scratch_store_b64 off, v[2:3], s32 offset:228 ; 8-byte Folded Spill
	s_wait_xcnt 0x0
	v_cmpx_ne_u32_e32 0x80, v4
	s_cbranch_execz .LBB372_105
; %bb.100:                              ;   in Loop: Header=BB372_10 Depth=1
	scratch_load_b64 v[6:7], off, s32 offset:228 ; 8-byte Folded Reload
	v_bfe_u32 v2, v0, 24, 7
	s_wait_loadcnt 0x0
	v_mov_b32_e32 v7, 0x7f800001
	s_mov_b32 s17, exec_lo
	scratch_store_b64 off, v[6:7], s32 offset:228 ; 8-byte Folded Spill
	s_wait_xcnt 0x0
	v_cmpx_ne_u32_e32 0x7f, v2
	s_cbranch_execz .LBB372_104
; %bb.101:                              ;   in Loop: Header=BB372_10 Depth=1
	v_dual_lshrrev_b32 v5, 3, v2 :: v_dual_bitop2_b32 v16, 7, v4 bitop3:0x40
	v_cmp_gt_u32_e64 s1, 8, v2
	s_delay_alu instid0(VALU_DEP_2)
	v_mov_b64_e32 v[2:3], v[16:17]
	s_and_saveexec_b32 s18, s1
; %bb.102:                              ;   in Loop: Header=BB372_10 Depth=1
	v_clz_i32_u32_e32 v2, v16
	s_delay_alu instid0(VALU_DEP_1) | instskip(NEXT) | instid1(VALU_DEP_1)
	v_min_u32_e32 v5, 32, v2
	v_subrev_nc_u32_e32 v2, 28, v5
	s_delay_alu instid0(VALU_DEP_1) | instskip(NEXT) | instid1(VALU_DEP_1)
	v_lshlrev_b64_e32 v[2:3], v2, v[16:17]
	v_dual_sub_nc_u32 v5, 29, v5 :: v_dual_bitop2_b32 v2, 7, v2 bitop3:0x40
; %bb.103:                              ;   in Loop: Header=BB372_10 Depth=1
	s_or_b32 exec_lo, exec_lo, s18
	scratch_load_b64 v[6:7], off, s32 offset:228 ; 8-byte Folded Reload
	v_dual_lshlrev_b32 v3, 24, v4 :: v_dual_lshlrev_b32 v2, 20, v2
	v_lshl_add_u32 v4, v5, 23, 0x3c000000
	s_delay_alu instid0(VALU_DEP_2) | instskip(SKIP_1) | instid1(VALU_DEP_1)
	v_and_b32_e32 v3, 0x80000000, v3
	s_wait_loadcnt 0x0
	v_or3_b32 v7, v2, v3, v4
	scratch_store_b64 off, v[6:7], s32 offset:228 ; 8-byte Folded Spill
.LBB372_104:                            ;   in Loop: Header=BB372_10 Depth=1
	s_wait_xcnt 0x0
	s_or_b32 exec_lo, exec_lo, s17
.LBB372_105:                            ;   in Loop: Header=BB372_10 Depth=1
	s_delay_alu instid0(SALU_CYCLE_1)
	s_or_b32 exec_lo, exec_lo, s16
.LBB372_106:                            ;   in Loop: Header=BB372_10 Depth=1
	s_delay_alu instid0(SALU_CYCLE_1) | instskip(SKIP_3) | instid1(VALU_DEP_2)
	s_or_b32 exec_lo, exec_lo, s11
	v_and_b32_e32 v2, 0xff, v1
	v_mov_b32_e32 v16, v1
	s_mov_b32 s11, exec_lo
	v_cmpx_ne_u16_e32 0, v2
	s_cbranch_execz .LBB372_114
; %bb.107:                              ;   in Loop: Header=BB372_10 Depth=1
	v_cmp_ne_u16_e64 s1, 0x80, v2
	v_bfrev_b32_e32 v2, 1
	scratch_store_b64 off, v[2:3], s32 offset:236 ; 8-byte Folded Spill
	s_wait_xcnt 0x0
	s_and_saveexec_b32 s16, s1
	s_cbranch_execz .LBB372_113
; %bb.108:                              ;   in Loop: Header=BB372_10 Depth=1
	v_and_b32_e32 v2, 0x7f, v1
	v_mov_b32_e32 v4, 0x7f800001
	s_mov_b32 s17, exec_lo
	scratch_store_b64 off, v[4:5], s32 offset:236 ; 8-byte Folded Spill
	s_wait_xcnt 0x0
	v_cmpx_ne_u32_e32 0x7f, v2
	s_cbranch_execz .LBB372_112
; %bb.109:                              ;   in Loop: Header=BB372_10 Depth=1
	v_lshrrev_b32_e32 v4, 3, v2
	v_cmp_gt_u32_e64 s1, 8, v2
	v_mov_b64_e32 v[2:3], v[16:17]
	s_and_saveexec_b32 s18, s1
; %bb.110:                              ;   in Loop: Header=BB372_10 Depth=1
	v_and_b32_e32 v2, 7, v1
	s_delay_alu instid0(VALU_DEP_1) | instskip(NEXT) | instid1(VALU_DEP_1)
	v_clz_i32_u32_e32 v2, v2
	v_min_u32_e32 v4, 32, v2
	s_delay_alu instid0(VALU_DEP_1) | instskip(SKIP_1) | instid1(VALU_DEP_2)
	v_subrev_nc_u32_e32 v2, 28, v4
	v_sub_nc_u32_e32 v4, 29, v4
	v_lshlrev_b64_e32 v[2:3], v2, v[16:17]
; %bb.111:                              ;   in Loop: Header=BB372_10 Depth=1
	s_or_b32 exec_lo, exec_lo, s18
	s_delay_alu instid0(VALU_DEP_1) | instskip(NEXT) | instid1(VALU_DEP_3)
	v_dual_lshlrev_b32 v2, 20, v2 :: v_dual_lshlrev_b32 v3, 24, v16
	v_lshl_add_u32 v4, v4, 23, 0x3c000000
	s_delay_alu instid0(VALU_DEP_2) | instskip(NEXT) | instid1(VALU_DEP_3)
	v_and_b32_e32 v2, 0x700000, v2
	v_and_b32_e32 v3, 0x80000000, v3
	s_delay_alu instid0(VALU_DEP_1)
	v_or3_b32 v2, v2, v3, v4
	scratch_store_b64 off, v[2:3], s32 offset:236 ; 8-byte Folded Spill
.LBB372_112:                            ;   in Loop: Header=BB372_10 Depth=1
	s_wait_xcnt 0x0
	s_or_b32 exec_lo, exec_lo, s17
.LBB372_113:                            ;   in Loop: Header=BB372_10 Depth=1
	s_delay_alu instid0(SALU_CYCLE_1)
	s_or_b32 exec_lo, exec_lo, s16
.LBB372_114:                            ;   in Loop: Header=BB372_10 Depth=1
	s_delay_alu instid0(SALU_CYCLE_1)
	s_or_b32 exec_lo, exec_lo, s11
	v_mov_b32_e32 v4, 0
	v_lshrrev_b16 v2, 8, v16
	s_mov_b32 s11, exec_lo
	s_clause 0x1
	scratch_store_b64 off, v[4:5], s32 offset:244
	scratch_load_b64 v[4:5], off, s32 offset:236
	s_wait_loadcnt 0x0
	v_mov_b32_e32 v5, 0
	scratch_store_b64 off, v[4:5], s32 offset:236 ; 8-byte Folded Spill
	s_wait_xcnt 0x0
	v_cmpx_ne_u16_e32 0, v2
	s_cbranch_execz .LBB372_122
; %bb.115:                              ;   in Loop: Header=BB372_10 Depth=1
	scratch_load_b64 v[4:5], off, s32 offset:236 ; 8-byte Folded Reload
	s_wait_loadcnt 0x0
	v_bfrev_b32_e32 v5, 1
	s_mov_b32 s16, exec_lo
	scratch_store_b64 off, v[4:5], s32 offset:236 ; 8-byte Folded Spill
	s_wait_xcnt 0x0
	v_cmpx_ne_u16_e32 0x80, v2
	s_cbranch_execz .LBB372_121
; %bb.116:                              ;   in Loop: Header=BB372_10 Depth=1
	scratch_load_b64 v[6:7], off, s32 offset:236 ; 8-byte Folded Reload
	v_and_b32_e32 v2, 0xffff, v2
	s_wait_loadcnt 0x0
	v_mov_b32_e32 v7, 0x7f800001
	s_mov_b32 s17, exec_lo
	s_delay_alu instid0(VALU_DEP_2)
	v_and_b32_e32 v5, 0x7f, v2
	scratch_store_b64 off, v[6:7], s32 offset:236 ; 8-byte Folded Spill
	s_wait_xcnt 0x0
	v_cmpx_ne_u32_e32 0x7f, v5
	s_cbranch_execz .LBB372_120
; %bb.117:                              ;   in Loop: Header=BB372_10 Depth=1
	v_dual_mov_b32 v3, v17 :: v_dual_bitop2_b32 v2, 7, v2 bitop3:0x40
	v_lshrrev_b32_e32 v4, 3, v5
	s_mov_b32 s18, exec_lo
	v_cmpx_gt_u32_e32 8, v5
; %bb.118:                              ;   in Loop: Header=BB372_10 Depth=1
	s_delay_alu instid0(VALU_DEP_3) | instskip(NEXT) | instid1(VALU_DEP_1)
	v_clz_i32_u32_e32 v4, v2
	v_min_u32_e32 v4, 32, v4
	s_delay_alu instid0(VALU_DEP_1) | instskip(NEXT) | instid1(VALU_DEP_1)
	v_subrev_nc_u32_e32 v5, 28, v4
	v_lshlrev_b64_e32 v[2:3], v5, v[2:3]
	s_delay_alu instid0(VALU_DEP_1)
	v_dual_sub_nc_u32 v4, 29, v4 :: v_dual_bitop2_b32 v2, 7, v2 bitop3:0x40
; %bb.119:                              ;   in Loop: Header=BB372_10 Depth=1
	s_or_b32 exec_lo, exec_lo, s18
	scratch_load_b64 v[6:7], off, s32 offset:236 ; 8-byte Folded Reload
	v_dual_lshlrev_b32 v3, 16, v16 :: v_dual_lshlrev_b32 v2, 20, v2
	v_lshl_add_u32 v4, v4, 23, 0x3c000000
	s_delay_alu instid0(VALU_DEP_2) | instskip(SKIP_1) | instid1(VALU_DEP_1)
	v_and_b32_e32 v3, 0x80000000, v3
	s_wait_loadcnt 0x0
	v_or3_b32 v7, v2, v3, v4
	scratch_store_b64 off, v[6:7], s32 offset:236 ; 8-byte Folded Spill
.LBB372_120:                            ;   in Loop: Header=BB372_10 Depth=1
	s_wait_xcnt 0x0
	s_or_b32 exec_lo, exec_lo, s17
.LBB372_121:                            ;   in Loop: Header=BB372_10 Depth=1
	s_delay_alu instid0(SALU_CYCLE_1)
	s_or_b32 exec_lo, exec_lo, s16
.LBB372_122:                            ;   in Loop: Header=BB372_10 Depth=1
	s_delay_alu instid0(SALU_CYCLE_1) | instskip(SKIP_2) | instid1(VALU_DEP_1)
	s_or_b32 exec_lo, exec_lo, s11
	v_lshrrev_b32_e32 v4, 16, v1
	s_mov_b32 s11, exec_lo
	v_and_b32_e32 v2, 0xff, v4
	s_delay_alu instid0(VALU_DEP_1)
	v_cmpx_ne_u16_e32 0, v2
	s_cbranch_execz .LBB372_130
; %bb.123:                              ;   in Loop: Header=BB372_10 Depth=1
	v_cmp_ne_u16_e64 s1, 0x80, v2
	v_bfrev_b32_e32 v2, 1
	scratch_store_b64 off, v[2:3], s32 offset:244 ; 8-byte Folded Spill
	s_wait_xcnt 0x0
	s_and_saveexec_b32 s16, s1
	s_cbranch_execz .LBB372_129
; %bb.124:                              ;   in Loop: Header=BB372_10 Depth=1
	v_bfe_u32 v2, v1, 16, 7
	v_mov_b32_e32 v6, 0x7f800001
	s_mov_b32 s17, exec_lo
	scratch_store_b64 off, v[6:7], s32 offset:244 ; 8-byte Folded Spill
	s_wait_xcnt 0x0
	v_cmpx_ne_u32_e32 0x7f, v2
	s_cbranch_execz .LBB372_128
; %bb.125:                              ;   in Loop: Header=BB372_10 Depth=1
	v_dual_lshrrev_b32 v5, 3, v2 :: v_dual_bitop2_b32 v16, 7, v4 bitop3:0x40
	v_cmp_gt_u32_e64 s1, 8, v2
	s_delay_alu instid0(VALU_DEP_2)
	v_mov_b64_e32 v[2:3], v[16:17]
	s_and_saveexec_b32 s18, s1
; %bb.126:                              ;   in Loop: Header=BB372_10 Depth=1
	v_clz_i32_u32_e32 v2, v16
	s_delay_alu instid0(VALU_DEP_1) | instskip(NEXT) | instid1(VALU_DEP_1)
	v_min_u32_e32 v5, 32, v2
	v_subrev_nc_u32_e32 v2, 28, v5
	s_delay_alu instid0(VALU_DEP_1) | instskip(NEXT) | instid1(VALU_DEP_1)
	v_lshlrev_b64_e32 v[2:3], v2, v[16:17]
	v_dual_sub_nc_u32 v5, 29, v5 :: v_dual_bitop2_b32 v2, 7, v2 bitop3:0x40
; %bb.127:                              ;   in Loop: Header=BB372_10 Depth=1
	s_or_b32 exec_lo, exec_lo, s18
	s_delay_alu instid0(VALU_DEP_1) | instskip(NEXT) | instid1(VALU_DEP_2)
	v_dual_lshlrev_b32 v3, 24, v4 :: v_dual_lshlrev_b32 v2, 20, v2
	v_lshl_add_u32 v4, v5, 23, 0x3c000000
	s_delay_alu instid0(VALU_DEP_2) | instskip(NEXT) | instid1(VALU_DEP_1)
	v_and_b32_e32 v3, 0x80000000, v3
	v_or3_b32 v2, v2, v3, v4
	scratch_store_b64 off, v[2:3], s32 offset:244 ; 8-byte Folded Spill
.LBB372_128:                            ;   in Loop: Header=BB372_10 Depth=1
	s_wait_xcnt 0x0
	s_or_b32 exec_lo, exec_lo, s17
.LBB372_129:                            ;   in Loop: Header=BB372_10 Depth=1
	s_delay_alu instid0(SALU_CYCLE_1)
	s_or_b32 exec_lo, exec_lo, s16
.LBB372_130:                            ;   in Loop: Header=BB372_10 Depth=1
	s_delay_alu instid0(SALU_CYCLE_1)
	s_or_b32 exec_lo, exec_lo, s11
	scratch_load_b64 v[2:3], off, s32 offset:244 ; 8-byte Folded Reload
	v_cmp_lt_u64_e64 s1, s[2:3], v[0:1]
	s_wait_loadcnt 0x0
	v_dual_mov_b32 v0, 0 :: v_dual_mov_b32 v3, 0
	s_clause 0x1
	scratch_store_b64 off, v[0:1], s32 offset:252
	scratch_store_b64 off, v[2:3], s32 offset:244
	s_wait_xcnt 0x0
	s_and_saveexec_b32 s11, s1
	s_cbranch_execz .LBB372_138
; %bb.131:                              ;   in Loop: Header=BB372_10 Depth=1
	scratch_load_b64 v[4:5], off, s32 offset:244 ; 8-byte Folded Reload
	v_lshrrev_b32_e32 v2, 24, v1
	s_wait_loadcnt 0x0
	v_bfrev_b32_e32 v5, 1
	s_mov_b32 s16, exec_lo
	scratch_store_b64 off, v[4:5], s32 offset:244 ; 8-byte Folded Spill
	s_wait_xcnt 0x0
	v_cmpx_ne_u32_e32 0x80, v2
	s_cbranch_execz .LBB372_137
; %bb.132:                              ;   in Loop: Header=BB372_10 Depth=1
	scratch_load_b64 v[4:5], off, s32 offset:244 ; 8-byte Folded Reload
	v_bfe_u32 v0, v1, 24, 7
	s_wait_loadcnt 0x0
	v_mov_b32_e32 v5, 0x7f800001
	s_mov_b32 s17, exec_lo
	scratch_store_b64 off, v[4:5], s32 offset:244 ; 8-byte Folded Spill
	s_wait_xcnt 0x0
	v_cmpx_ne_u32_e32 0x7f, v0
	s_cbranch_execz .LBB372_136
; %bb.133:                              ;   in Loop: Header=BB372_10 Depth=1
	v_dual_lshrrev_b32 v3, 3, v0 :: v_dual_bitop2_b32 v16, 7, v2 bitop3:0x40
	v_cmp_gt_u32_e64 s1, 8, v0
	s_delay_alu instid0(VALU_DEP_2)
	v_mov_b64_e32 v[0:1], v[16:17]
	s_and_saveexec_b32 s18, s1
; %bb.134:                              ;   in Loop: Header=BB372_10 Depth=1
	v_clz_i32_u32_e32 v0, v16
	s_delay_alu instid0(VALU_DEP_1) | instskip(NEXT) | instid1(VALU_DEP_1)
	v_min_u32_e32 v3, 32, v0
	v_subrev_nc_u32_e32 v0, 28, v3
	s_delay_alu instid0(VALU_DEP_1) | instskip(NEXT) | instid1(VALU_DEP_1)
	v_lshlrev_b64_e32 v[0:1], v0, v[16:17]
	v_dual_sub_nc_u32 v3, 29, v3 :: v_dual_bitop2_b32 v0, 7, v0 bitop3:0x40
; %bb.135:                              ;   in Loop: Header=BB372_10 Depth=1
	s_or_b32 exec_lo, exec_lo, s18
	scratch_load_b64 v[4:5], off, s32 offset:244 ; 8-byte Folded Reload
	v_dual_lshlrev_b32 v1, 24, v2 :: v_dual_lshlrev_b32 v0, 20, v0
	v_lshl_add_u32 v2, v3, 23, 0x3c000000
	s_delay_alu instid0(VALU_DEP_2) | instskip(SKIP_1) | instid1(VALU_DEP_1)
	v_and_b32_e32 v1, 0x80000000, v1
	s_wait_loadcnt 0x0
	v_or3_b32 v5, v0, v1, v2
	scratch_store_b64 off, v[4:5], s32 offset:244 ; 8-byte Folded Spill
.LBB372_136:                            ;   in Loop: Header=BB372_10 Depth=1
	s_wait_xcnt 0x0
	s_or_b32 exec_lo, exec_lo, s17
.LBB372_137:                            ;   in Loop: Header=BB372_10 Depth=1
	s_delay_alu instid0(SALU_CYCLE_1)
	s_or_b32 exec_lo, exec_lo, s16
.LBB372_138:                            ;   in Loop: Header=BB372_10 Depth=1
	s_delay_alu instid0(SALU_CYCLE_1)
	s_or_b32 exec_lo, exec_lo, s11
	flat_load_b64 v[0:1], v[96:97] offset:512
	s_mov_b32 s11, exec_lo
	s_wait_loadcnt_dscnt 0x0
	v_and_b32_e32 v2, 0xff, v0
	s_wait_xcnt 0x0
	s_delay_alu instid0(VALU_DEP_1)
	v_cmpx_ne_u16_e32 0, v2
	s_cbranch_execz .LBB372_146
; %bb.139:                              ;   in Loop: Header=BB372_10 Depth=1
	v_cmp_ne_u16_e64 s1, 0x80, v2
	v_bfrev_b32_e32 v2, 1
	scratch_store_b64 off, v[2:3], s32 offset:252 ; 8-byte Folded Spill
	s_wait_xcnt 0x0
	s_and_saveexec_b32 s16, s1
	s_cbranch_execz .LBB372_145
; %bb.140:                              ;   in Loop: Header=BB372_10 Depth=1
	v_and_b32_e32 v2, 0x7f, v0
	v_mov_b32_e32 v4, 0x7f800001
	s_mov_b32 s17, exec_lo
	scratch_store_b64 off, v[4:5], s32 offset:252 ; 8-byte Folded Spill
	s_wait_xcnt 0x0
	v_cmpx_ne_u32_e32 0x7f, v2
	s_cbranch_execz .LBB372_144
; %bb.141:                              ;   in Loop: Header=BB372_10 Depth=1
	v_lshrrev_b32_e32 v4, 3, v2
	v_cmp_gt_u32_e64 s1, 8, v2
	v_mov_b64_e32 v[2:3], v[0:1]
	s_and_saveexec_b32 s18, s1
; %bb.142:                              ;   in Loop: Header=BB372_10 Depth=1
	v_and_b32_e32 v2, 7, v0
	s_delay_alu instid0(VALU_DEP_1) | instskip(NEXT) | instid1(VALU_DEP_1)
	v_clz_i32_u32_e32 v2, v2
	v_min_u32_e32 v4, 32, v2
	s_delay_alu instid0(VALU_DEP_1) | instskip(SKIP_1) | instid1(VALU_DEP_2)
	v_subrev_nc_u32_e32 v2, 28, v4
	v_sub_nc_u32_e32 v4, 29, v4
	v_lshlrev_b64_e32 v[2:3], v2, v[0:1]
; %bb.143:                              ;   in Loop: Header=BB372_10 Depth=1
	s_or_b32 exec_lo, exec_lo, s18
	s_delay_alu instid0(VALU_DEP_1) | instskip(NEXT) | instid1(VALU_DEP_3)
	v_dual_lshlrev_b32 v2, 20, v2 :: v_dual_lshlrev_b32 v3, 24, v0
	v_lshl_add_u32 v4, v4, 23, 0x3c000000
	s_delay_alu instid0(VALU_DEP_2) | instskip(NEXT) | instid1(VALU_DEP_3)
	v_and_b32_e32 v2, 0x700000, v2
	v_and_b32_e32 v3, 0x80000000, v3
	s_delay_alu instid0(VALU_DEP_1)
	v_or3_b32 v2, v2, v3, v4
	scratch_store_b64 off, v[2:3], s32 offset:252 ; 8-byte Folded Spill
.LBB372_144:                            ;   in Loop: Header=BB372_10 Depth=1
	s_wait_xcnt 0x0
	s_or_b32 exec_lo, exec_lo, s17
.LBB372_145:                            ;   in Loop: Header=BB372_10 Depth=1
	s_delay_alu instid0(SALU_CYCLE_1)
	s_or_b32 exec_lo, exec_lo, s16
.LBB372_146:                            ;   in Loop: Header=BB372_10 Depth=1
	s_delay_alu instid0(SALU_CYCLE_1)
	s_or_b32 exec_lo, exec_lo, s11
	v_mov_b32_e32 v4, 0
	v_lshrrev_b16 v2, 8, v0
	s_mov_b32 s11, exec_lo
	s_clause 0x1
	scratch_store_b64 off, v[4:5], s32 offset:260
	scratch_load_b64 v[4:5], off, s32 offset:252
	s_wait_loadcnt 0x0
	v_mov_b32_e32 v5, 0
	scratch_store_b64 off, v[4:5], s32 offset:252 ; 8-byte Folded Spill
	s_wait_xcnt 0x0
	v_cmpx_ne_u16_e32 0, v2
	s_cbranch_execz .LBB372_154
; %bb.147:                              ;   in Loop: Header=BB372_10 Depth=1
	scratch_load_b64 v[4:5], off, s32 offset:252 ; 8-byte Folded Reload
	s_wait_loadcnt 0x0
	v_bfrev_b32_e32 v5, 1
	s_mov_b32 s16, exec_lo
	scratch_store_b64 off, v[4:5], s32 offset:252 ; 8-byte Folded Spill
	s_wait_xcnt 0x0
	v_cmpx_ne_u16_e32 0x80, v2
	s_cbranch_execz .LBB372_153
; %bb.148:                              ;   in Loop: Header=BB372_10 Depth=1
	scratch_load_b64 v[4:5], off, s32 offset:252 ; 8-byte Folded Reload
	v_and_b32_e32 v3, 0xffff, v2
	s_wait_loadcnt 0x0
	v_mov_b32_e32 v5, 0x7f800001
	s_mov_b32 s17, exec_lo
	s_delay_alu instid0(VALU_DEP_2)
	v_and_b32_e32 v2, 0x7f, v3
	scratch_store_b64 off, v[4:5], s32 offset:252 ; 8-byte Folded Spill
	s_wait_xcnt 0x0
	v_cmpx_ne_u32_e32 0x7f, v2
	s_cbranch_execz .LBB372_152
; %bb.149:                              ;   in Loop: Header=BB372_10 Depth=1
	v_dual_lshrrev_b32 v4, 3, v2 :: v_dual_bitop2_b32 v16, 7, v3 bitop3:0x40
	v_cmp_gt_u32_e64 s1, 8, v2
	s_delay_alu instid0(VALU_DEP_2)
	v_mov_b64_e32 v[2:3], v[16:17]
	s_and_saveexec_b32 s18, s1
; %bb.150:                              ;   in Loop: Header=BB372_10 Depth=1
	v_clz_i32_u32_e32 v2, v16
	s_delay_alu instid0(VALU_DEP_1) | instskip(NEXT) | instid1(VALU_DEP_1)
	v_min_u32_e32 v4, 32, v2
	v_subrev_nc_u32_e32 v2, 28, v4
	s_delay_alu instid0(VALU_DEP_1) | instskip(NEXT) | instid1(VALU_DEP_1)
	v_lshlrev_b64_e32 v[2:3], v2, v[16:17]
	v_dual_sub_nc_u32 v4, 29, v4 :: v_dual_bitop2_b32 v2, 7, v2 bitop3:0x40
; %bb.151:                              ;   in Loop: Header=BB372_10 Depth=1
	s_or_b32 exec_lo, exec_lo, s18
	scratch_load_b64 v[6:7], off, s32 offset:252 ; 8-byte Folded Reload
	v_dual_lshlrev_b32 v3, 16, v0 :: v_dual_lshlrev_b32 v2, 20, v2
	v_lshl_add_u32 v4, v4, 23, 0x3c000000
	s_delay_alu instid0(VALU_DEP_2) | instskip(SKIP_1) | instid1(VALU_DEP_1)
	v_and_b32_e32 v3, 0x80000000, v3
	s_wait_loadcnt 0x0
	v_or3_b32 v7, v2, v3, v4
	scratch_store_b64 off, v[6:7], s32 offset:252 ; 8-byte Folded Spill
.LBB372_152:                            ;   in Loop: Header=BB372_10 Depth=1
	s_wait_xcnt 0x0
	s_or_b32 exec_lo, exec_lo, s17
.LBB372_153:                            ;   in Loop: Header=BB372_10 Depth=1
	s_delay_alu instid0(SALU_CYCLE_1)
	s_or_b32 exec_lo, exec_lo, s16
.LBB372_154:                            ;   in Loop: Header=BB372_10 Depth=1
	s_delay_alu instid0(SALU_CYCLE_1) | instskip(SKIP_2) | instid1(VALU_DEP_1)
	s_or_b32 exec_lo, exec_lo, s11
	v_lshrrev_b32_e32 v4, 16, v0
	s_mov_b32 s11, exec_lo
	v_and_b32_e32 v2, 0xff, v4
	s_delay_alu instid0(VALU_DEP_1)
	v_cmpx_ne_u16_e32 0, v2
	s_cbranch_execz .LBB372_162
; %bb.155:                              ;   in Loop: Header=BB372_10 Depth=1
	v_cmp_ne_u16_e64 s1, 0x80, v2
	v_bfrev_b32_e32 v2, 1
	scratch_store_b64 off, v[2:3], s32 offset:260 ; 8-byte Folded Spill
	s_wait_xcnt 0x0
	s_and_saveexec_b32 s16, s1
	s_cbranch_execz .LBB372_161
; %bb.156:                              ;   in Loop: Header=BB372_10 Depth=1
	v_bfe_u32 v2, v0, 16, 7
	v_mov_b32_e32 v6, 0x7f800001
	s_mov_b32 s17, exec_lo
	scratch_store_b64 off, v[6:7], s32 offset:260 ; 8-byte Folded Spill
	s_wait_xcnt 0x0
	v_cmpx_ne_u32_e32 0x7f, v2
	s_cbranch_execz .LBB372_160
; %bb.157:                              ;   in Loop: Header=BB372_10 Depth=1
	v_dual_lshrrev_b32 v5, 3, v2 :: v_dual_bitop2_b32 v16, 7, v4 bitop3:0x40
	v_cmp_gt_u32_e64 s1, 8, v2
	s_delay_alu instid0(VALU_DEP_2)
	v_mov_b64_e32 v[2:3], v[16:17]
	s_and_saveexec_b32 s18, s1
; %bb.158:                              ;   in Loop: Header=BB372_10 Depth=1
	v_clz_i32_u32_e32 v2, v16
	s_delay_alu instid0(VALU_DEP_1) | instskip(NEXT) | instid1(VALU_DEP_1)
	v_min_u32_e32 v5, 32, v2
	v_subrev_nc_u32_e32 v2, 28, v5
	s_delay_alu instid0(VALU_DEP_1) | instskip(NEXT) | instid1(VALU_DEP_1)
	v_lshlrev_b64_e32 v[2:3], v2, v[16:17]
	v_dual_sub_nc_u32 v5, 29, v5 :: v_dual_bitop2_b32 v2, 7, v2 bitop3:0x40
; %bb.159:                              ;   in Loop: Header=BB372_10 Depth=1
	s_or_b32 exec_lo, exec_lo, s18
	s_delay_alu instid0(VALU_DEP_1) | instskip(NEXT) | instid1(VALU_DEP_2)
	v_dual_lshlrev_b32 v3, 24, v4 :: v_dual_lshlrev_b32 v2, 20, v2
	v_lshl_add_u32 v4, v5, 23, 0x3c000000
	s_delay_alu instid0(VALU_DEP_2) | instskip(NEXT) | instid1(VALU_DEP_1)
	v_and_b32_e32 v3, 0x80000000, v3
	v_or3_b32 v2, v2, v3, v4
	scratch_store_b64 off, v[2:3], s32 offset:260 ; 8-byte Folded Spill
.LBB372_160:                            ;   in Loop: Header=BB372_10 Depth=1
	s_wait_xcnt 0x0
	s_or_b32 exec_lo, exec_lo, s17
.LBB372_161:                            ;   in Loop: Header=BB372_10 Depth=1
	s_delay_alu instid0(SALU_CYCLE_1)
	s_or_b32 exec_lo, exec_lo, s16
.LBB372_162:                            ;   in Loop: Header=BB372_10 Depth=1
	s_delay_alu instid0(SALU_CYCLE_1)
	s_or_b32 exec_lo, exec_lo, s11
	v_mov_b32_e32 v2, 0
	s_mov_b32 s11, exec_lo
	s_clause 0x1
	scratch_store_b64 off, v[2:3], s32 offset:268
	scratch_load_b64 v[2:3], off, s32 offset:260
	s_wait_loadcnt 0x0
	v_mov_b32_e32 v3, 0
	scratch_store_b64 off, v[2:3], s32 offset:260 ; 8-byte Folded Spill
	s_wait_xcnt 0x0
	v_cmpx_lt_u32_e32 0xffffff, v0
	s_cbranch_execz .LBB372_170
; %bb.163:                              ;   in Loop: Header=BB372_10 Depth=1
	scratch_load_b64 v[2:3], off, s32 offset:260 ; 8-byte Folded Reload
	v_lshrrev_b32_e32 v4, 24, v0
	s_wait_loadcnt 0x0
	v_bfrev_b32_e32 v3, 1
	s_mov_b32 s16, exec_lo
	scratch_store_b64 off, v[2:3], s32 offset:260 ; 8-byte Folded Spill
	s_wait_xcnt 0x0
	v_cmpx_ne_u32_e32 0x80, v4
	s_cbranch_execz .LBB372_169
; %bb.164:                              ;   in Loop: Header=BB372_10 Depth=1
	scratch_load_b64 v[6:7], off, s32 offset:260 ; 8-byte Folded Reload
	v_bfe_u32 v2, v0, 24, 7
	s_wait_loadcnt 0x0
	v_mov_b32_e32 v7, 0x7f800001
	s_mov_b32 s17, exec_lo
	scratch_store_b64 off, v[6:7], s32 offset:260 ; 8-byte Folded Spill
	s_wait_xcnt 0x0
	v_cmpx_ne_u32_e32 0x7f, v2
	s_cbranch_execz .LBB372_168
; %bb.165:                              ;   in Loop: Header=BB372_10 Depth=1
	v_dual_lshrrev_b32 v5, 3, v2 :: v_dual_bitop2_b32 v16, 7, v4 bitop3:0x40
	v_cmp_gt_u32_e64 s1, 8, v2
	s_delay_alu instid0(VALU_DEP_2)
	v_mov_b64_e32 v[2:3], v[16:17]
	s_and_saveexec_b32 s18, s1
; %bb.166:                              ;   in Loop: Header=BB372_10 Depth=1
	v_clz_i32_u32_e32 v2, v16
	s_delay_alu instid0(VALU_DEP_1) | instskip(NEXT) | instid1(VALU_DEP_1)
	v_min_u32_e32 v5, 32, v2
	v_subrev_nc_u32_e32 v2, 28, v5
	s_delay_alu instid0(VALU_DEP_1) | instskip(NEXT) | instid1(VALU_DEP_1)
	v_lshlrev_b64_e32 v[2:3], v2, v[16:17]
	v_dual_sub_nc_u32 v5, 29, v5 :: v_dual_bitop2_b32 v2, 7, v2 bitop3:0x40
; %bb.167:                              ;   in Loop: Header=BB372_10 Depth=1
	s_or_b32 exec_lo, exec_lo, s18
	scratch_load_b64 v[6:7], off, s32 offset:260 ; 8-byte Folded Reload
	v_dual_lshlrev_b32 v3, 24, v4 :: v_dual_lshlrev_b32 v2, 20, v2
	v_lshl_add_u32 v4, v5, 23, 0x3c000000
	s_delay_alu instid0(VALU_DEP_2) | instskip(SKIP_1) | instid1(VALU_DEP_1)
	v_and_b32_e32 v3, 0x80000000, v3
	s_wait_loadcnt 0x0
	v_or3_b32 v7, v2, v3, v4
	scratch_store_b64 off, v[6:7], s32 offset:260 ; 8-byte Folded Spill
.LBB372_168:                            ;   in Loop: Header=BB372_10 Depth=1
	s_wait_xcnt 0x0
	s_or_b32 exec_lo, exec_lo, s17
.LBB372_169:                            ;   in Loop: Header=BB372_10 Depth=1
	s_delay_alu instid0(SALU_CYCLE_1)
	s_or_b32 exec_lo, exec_lo, s16
.LBB372_170:                            ;   in Loop: Header=BB372_10 Depth=1
	s_delay_alu instid0(SALU_CYCLE_1) | instskip(SKIP_3) | instid1(VALU_DEP_2)
	s_or_b32 exec_lo, exec_lo, s11
	v_and_b32_e32 v2, 0xff, v1
	v_mov_b32_e32 v16, v1
	s_mov_b32 s11, exec_lo
	v_cmpx_ne_u16_e32 0, v2
	s_cbranch_execz .LBB372_178
; %bb.171:                              ;   in Loop: Header=BB372_10 Depth=1
	v_cmp_ne_u16_e64 s1, 0x80, v2
	v_bfrev_b32_e32 v2, 1
	scratch_store_b64 off, v[2:3], s32 offset:268 ; 8-byte Folded Spill
	s_wait_xcnt 0x0
	s_and_saveexec_b32 s16, s1
	s_cbranch_execz .LBB372_177
; %bb.172:                              ;   in Loop: Header=BB372_10 Depth=1
	v_and_b32_e32 v2, 0x7f, v1
	v_mov_b32_e32 v4, 0x7f800001
	s_mov_b32 s17, exec_lo
	scratch_store_b64 off, v[4:5], s32 offset:268 ; 8-byte Folded Spill
	s_wait_xcnt 0x0
	v_cmpx_ne_u32_e32 0x7f, v2
	s_cbranch_execz .LBB372_176
; %bb.173:                              ;   in Loop: Header=BB372_10 Depth=1
	v_lshrrev_b32_e32 v4, 3, v2
	v_cmp_gt_u32_e64 s1, 8, v2
	v_mov_b64_e32 v[2:3], v[16:17]
	s_and_saveexec_b32 s18, s1
; %bb.174:                              ;   in Loop: Header=BB372_10 Depth=1
	v_and_b32_e32 v2, 7, v1
	s_delay_alu instid0(VALU_DEP_1) | instskip(NEXT) | instid1(VALU_DEP_1)
	v_clz_i32_u32_e32 v2, v2
	v_min_u32_e32 v4, 32, v2
	s_delay_alu instid0(VALU_DEP_1) | instskip(SKIP_1) | instid1(VALU_DEP_2)
	v_subrev_nc_u32_e32 v2, 28, v4
	v_sub_nc_u32_e32 v4, 29, v4
	v_lshlrev_b64_e32 v[2:3], v2, v[16:17]
; %bb.175:                              ;   in Loop: Header=BB372_10 Depth=1
	s_or_b32 exec_lo, exec_lo, s18
	s_delay_alu instid0(VALU_DEP_1) | instskip(NEXT) | instid1(VALU_DEP_3)
	v_dual_lshlrev_b32 v2, 20, v2 :: v_dual_lshlrev_b32 v3, 24, v16
	v_lshl_add_u32 v4, v4, 23, 0x3c000000
	s_delay_alu instid0(VALU_DEP_2) | instskip(NEXT) | instid1(VALU_DEP_3)
	v_and_b32_e32 v2, 0x700000, v2
	v_and_b32_e32 v3, 0x80000000, v3
	s_delay_alu instid0(VALU_DEP_1)
	v_or3_b32 v2, v2, v3, v4
	scratch_store_b64 off, v[2:3], s32 offset:268 ; 8-byte Folded Spill
.LBB372_176:                            ;   in Loop: Header=BB372_10 Depth=1
	s_wait_xcnt 0x0
	s_or_b32 exec_lo, exec_lo, s17
.LBB372_177:                            ;   in Loop: Header=BB372_10 Depth=1
	s_delay_alu instid0(SALU_CYCLE_1)
	s_or_b32 exec_lo, exec_lo, s16
.LBB372_178:                            ;   in Loop: Header=BB372_10 Depth=1
	s_delay_alu instid0(SALU_CYCLE_1)
	s_or_b32 exec_lo, exec_lo, s11
	v_mov_b32_e32 v4, 0
	v_lshrrev_b16 v2, 8, v16
	s_mov_b32 s11, exec_lo
	s_clause 0x1
	scratch_store_b64 off, v[4:5], s32 offset:276
	scratch_load_b64 v[4:5], off, s32 offset:268
	s_wait_loadcnt 0x0
	v_mov_b32_e32 v5, 0
	scratch_store_b64 off, v[4:5], s32 offset:268 ; 8-byte Folded Spill
	s_wait_xcnt 0x0
	v_cmpx_ne_u16_e32 0, v2
	s_cbranch_execz .LBB372_186
; %bb.179:                              ;   in Loop: Header=BB372_10 Depth=1
	scratch_load_b64 v[4:5], off, s32 offset:268 ; 8-byte Folded Reload
	s_wait_loadcnt 0x0
	v_bfrev_b32_e32 v5, 1
	s_mov_b32 s16, exec_lo
	scratch_store_b64 off, v[4:5], s32 offset:268 ; 8-byte Folded Spill
	s_wait_xcnt 0x0
	v_cmpx_ne_u16_e32 0x80, v2
	s_cbranch_execz .LBB372_185
; %bb.180:                              ;   in Loop: Header=BB372_10 Depth=1
	scratch_load_b64 v[6:7], off, s32 offset:268 ; 8-byte Folded Reload
	v_and_b32_e32 v2, 0xffff, v2
	s_wait_loadcnt 0x0
	v_mov_b32_e32 v7, 0x7f800001
	s_mov_b32 s17, exec_lo
	s_delay_alu instid0(VALU_DEP_2)
	v_and_b32_e32 v5, 0x7f, v2
	scratch_store_b64 off, v[6:7], s32 offset:268 ; 8-byte Folded Spill
	s_wait_xcnt 0x0
	v_cmpx_ne_u32_e32 0x7f, v5
	s_cbranch_execz .LBB372_184
; %bb.181:                              ;   in Loop: Header=BB372_10 Depth=1
	v_dual_mov_b32 v3, v17 :: v_dual_bitop2_b32 v2, 7, v2 bitop3:0x40
	v_lshrrev_b32_e32 v4, 3, v5
	s_mov_b32 s18, exec_lo
	v_cmpx_gt_u32_e32 8, v5
; %bb.182:                              ;   in Loop: Header=BB372_10 Depth=1
	s_delay_alu instid0(VALU_DEP_3) | instskip(NEXT) | instid1(VALU_DEP_1)
	v_clz_i32_u32_e32 v4, v2
	v_min_u32_e32 v4, 32, v4
	s_delay_alu instid0(VALU_DEP_1) | instskip(NEXT) | instid1(VALU_DEP_1)
	v_subrev_nc_u32_e32 v5, 28, v4
	v_lshlrev_b64_e32 v[2:3], v5, v[2:3]
	s_delay_alu instid0(VALU_DEP_1)
	v_dual_sub_nc_u32 v4, 29, v4 :: v_dual_bitop2_b32 v2, 7, v2 bitop3:0x40
; %bb.183:                              ;   in Loop: Header=BB372_10 Depth=1
	s_or_b32 exec_lo, exec_lo, s18
	scratch_load_b64 v[6:7], off, s32 offset:268 ; 8-byte Folded Reload
	v_dual_lshlrev_b32 v3, 16, v16 :: v_dual_lshlrev_b32 v2, 20, v2
	v_lshl_add_u32 v4, v4, 23, 0x3c000000
	s_delay_alu instid0(VALU_DEP_2) | instskip(SKIP_1) | instid1(VALU_DEP_1)
	v_and_b32_e32 v3, 0x80000000, v3
	s_wait_loadcnt 0x0
	v_or3_b32 v7, v2, v3, v4
	scratch_store_b64 off, v[6:7], s32 offset:268 ; 8-byte Folded Spill
.LBB372_184:                            ;   in Loop: Header=BB372_10 Depth=1
	s_wait_xcnt 0x0
	s_or_b32 exec_lo, exec_lo, s17
.LBB372_185:                            ;   in Loop: Header=BB372_10 Depth=1
	s_delay_alu instid0(SALU_CYCLE_1)
	s_or_b32 exec_lo, exec_lo, s16
.LBB372_186:                            ;   in Loop: Header=BB372_10 Depth=1
	s_delay_alu instid0(SALU_CYCLE_1) | instskip(SKIP_2) | instid1(VALU_DEP_1)
	s_or_b32 exec_lo, exec_lo, s11
	v_lshrrev_b32_e32 v4, 16, v1
	s_mov_b32 s11, exec_lo
	v_and_b32_e32 v2, 0xff, v4
	s_delay_alu instid0(VALU_DEP_1)
	v_cmpx_ne_u16_e32 0, v2
	s_cbranch_execz .LBB372_194
; %bb.187:                              ;   in Loop: Header=BB372_10 Depth=1
	v_cmp_ne_u16_e64 s1, 0x80, v2
	v_bfrev_b32_e32 v2, 1
	scratch_store_b64 off, v[2:3], s32 offset:276 ; 8-byte Folded Spill
	s_wait_xcnt 0x0
	s_and_saveexec_b32 s16, s1
	s_cbranch_execz .LBB372_193
; %bb.188:                              ;   in Loop: Header=BB372_10 Depth=1
	v_bfe_u32 v2, v1, 16, 7
	v_mov_b32_e32 v6, 0x7f800001
	s_mov_b32 s17, exec_lo
	scratch_store_b64 off, v[6:7], s32 offset:276 ; 8-byte Folded Spill
	s_wait_xcnt 0x0
	v_cmpx_ne_u32_e32 0x7f, v2
	s_cbranch_execz .LBB372_192
; %bb.189:                              ;   in Loop: Header=BB372_10 Depth=1
	v_dual_lshrrev_b32 v5, 3, v2 :: v_dual_bitop2_b32 v16, 7, v4 bitop3:0x40
	v_cmp_gt_u32_e64 s1, 8, v2
	s_delay_alu instid0(VALU_DEP_2)
	v_mov_b64_e32 v[2:3], v[16:17]
	s_and_saveexec_b32 s18, s1
; %bb.190:                              ;   in Loop: Header=BB372_10 Depth=1
	v_clz_i32_u32_e32 v2, v16
	s_delay_alu instid0(VALU_DEP_1) | instskip(NEXT) | instid1(VALU_DEP_1)
	v_min_u32_e32 v5, 32, v2
	v_subrev_nc_u32_e32 v2, 28, v5
	s_delay_alu instid0(VALU_DEP_1) | instskip(NEXT) | instid1(VALU_DEP_1)
	v_lshlrev_b64_e32 v[2:3], v2, v[16:17]
	v_dual_sub_nc_u32 v5, 29, v5 :: v_dual_bitop2_b32 v2, 7, v2 bitop3:0x40
; %bb.191:                              ;   in Loop: Header=BB372_10 Depth=1
	s_or_b32 exec_lo, exec_lo, s18
	s_delay_alu instid0(VALU_DEP_1) | instskip(NEXT) | instid1(VALU_DEP_2)
	v_dual_lshlrev_b32 v3, 24, v4 :: v_dual_lshlrev_b32 v2, 20, v2
	v_lshl_add_u32 v4, v5, 23, 0x3c000000
	s_delay_alu instid0(VALU_DEP_2) | instskip(NEXT) | instid1(VALU_DEP_1)
	v_and_b32_e32 v3, 0x80000000, v3
	v_or3_b32 v2, v2, v3, v4
	scratch_store_b64 off, v[2:3], s32 offset:276 ; 8-byte Folded Spill
.LBB372_192:                            ;   in Loop: Header=BB372_10 Depth=1
	s_wait_xcnt 0x0
	s_or_b32 exec_lo, exec_lo, s17
.LBB372_193:                            ;   in Loop: Header=BB372_10 Depth=1
	s_delay_alu instid0(SALU_CYCLE_1)
	s_or_b32 exec_lo, exec_lo, s16
.LBB372_194:                            ;   in Loop: Header=BB372_10 Depth=1
	s_delay_alu instid0(SALU_CYCLE_1)
	s_or_b32 exec_lo, exec_lo, s11
	scratch_load_b64 v[2:3], off, s32 offset:276 ; 8-byte Folded Reload
	v_cmp_lt_u64_e64 s1, s[2:3], v[0:1]
	s_wait_loadcnt 0x0
	v_dual_mov_b32 v0, 0 :: v_dual_mov_b32 v3, 0
	s_clause 0x1
	scratch_store_b64 off, v[0:1], s32 offset:284
	scratch_store_b64 off, v[2:3], s32 offset:276
	s_wait_xcnt 0x0
	s_and_saveexec_b32 s11, s1
	s_cbranch_execz .LBB372_202
; %bb.195:                              ;   in Loop: Header=BB372_10 Depth=1
	scratch_load_b64 v[4:5], off, s32 offset:276 ; 8-byte Folded Reload
	v_lshrrev_b32_e32 v2, 24, v1
	s_wait_loadcnt 0x0
	v_bfrev_b32_e32 v5, 1
	s_mov_b32 s16, exec_lo
	scratch_store_b64 off, v[4:5], s32 offset:276 ; 8-byte Folded Spill
	s_wait_xcnt 0x0
	v_cmpx_ne_u32_e32 0x80, v2
	s_cbranch_execz .LBB372_201
; %bb.196:                              ;   in Loop: Header=BB372_10 Depth=1
	scratch_load_b64 v[4:5], off, s32 offset:276 ; 8-byte Folded Reload
	v_bfe_u32 v0, v1, 24, 7
	s_wait_loadcnt 0x0
	v_mov_b32_e32 v5, 0x7f800001
	s_mov_b32 s17, exec_lo
	scratch_store_b64 off, v[4:5], s32 offset:276 ; 8-byte Folded Spill
	s_wait_xcnt 0x0
	v_cmpx_ne_u32_e32 0x7f, v0
	s_cbranch_execz .LBB372_200
; %bb.197:                              ;   in Loop: Header=BB372_10 Depth=1
	v_dual_lshrrev_b32 v3, 3, v0 :: v_dual_bitop2_b32 v16, 7, v2 bitop3:0x40
	v_cmp_gt_u32_e64 s1, 8, v0
	s_delay_alu instid0(VALU_DEP_2)
	v_mov_b64_e32 v[0:1], v[16:17]
	s_and_saveexec_b32 s18, s1
; %bb.198:                              ;   in Loop: Header=BB372_10 Depth=1
	v_clz_i32_u32_e32 v0, v16
	s_delay_alu instid0(VALU_DEP_1) | instskip(NEXT) | instid1(VALU_DEP_1)
	v_min_u32_e32 v3, 32, v0
	v_subrev_nc_u32_e32 v0, 28, v3
	s_delay_alu instid0(VALU_DEP_1) | instskip(NEXT) | instid1(VALU_DEP_1)
	v_lshlrev_b64_e32 v[0:1], v0, v[16:17]
	v_dual_sub_nc_u32 v3, 29, v3 :: v_dual_bitop2_b32 v0, 7, v0 bitop3:0x40
; %bb.199:                              ;   in Loop: Header=BB372_10 Depth=1
	s_or_b32 exec_lo, exec_lo, s18
	scratch_load_b64 v[4:5], off, s32 offset:276 ; 8-byte Folded Reload
	v_dual_lshlrev_b32 v1, 24, v2 :: v_dual_lshlrev_b32 v0, 20, v0
	v_lshl_add_u32 v2, v3, 23, 0x3c000000
	s_delay_alu instid0(VALU_DEP_2) | instskip(SKIP_1) | instid1(VALU_DEP_1)
	v_and_b32_e32 v1, 0x80000000, v1
	s_wait_loadcnt 0x0
	v_or3_b32 v5, v0, v1, v2
	scratch_store_b64 off, v[4:5], s32 offset:276 ; 8-byte Folded Spill
.LBB372_200:                            ;   in Loop: Header=BB372_10 Depth=1
	s_wait_xcnt 0x0
	s_or_b32 exec_lo, exec_lo, s17
.LBB372_201:                            ;   in Loop: Header=BB372_10 Depth=1
	s_delay_alu instid0(SALU_CYCLE_1)
	s_or_b32 exec_lo, exec_lo, s16
.LBB372_202:                            ;   in Loop: Header=BB372_10 Depth=1
	s_delay_alu instid0(SALU_CYCLE_1)
	s_or_b32 exec_lo, exec_lo, s11
	flat_load_b64 v[0:1], v[96:97] offset:520
	s_mov_b32 s11, exec_lo
	s_wait_loadcnt_dscnt 0x0
	v_and_b32_e32 v2, 0xff, v0
	s_wait_xcnt 0x0
	s_delay_alu instid0(VALU_DEP_1)
	v_cmpx_ne_u16_e32 0, v2
	s_cbranch_execz .LBB372_210
; %bb.203:                              ;   in Loop: Header=BB372_10 Depth=1
	v_cmp_ne_u16_e64 s1, 0x80, v2
	v_bfrev_b32_e32 v2, 1
	scratch_store_b64 off, v[2:3], s32 offset:284 ; 8-byte Folded Spill
	s_wait_xcnt 0x0
	s_and_saveexec_b32 s16, s1
	s_cbranch_execz .LBB372_209
; %bb.204:                              ;   in Loop: Header=BB372_10 Depth=1
	v_and_b32_e32 v2, 0x7f, v0
	v_mov_b32_e32 v4, 0x7f800001
	s_mov_b32 s17, exec_lo
	scratch_store_b64 off, v[4:5], s32 offset:284 ; 8-byte Folded Spill
	s_wait_xcnt 0x0
	v_cmpx_ne_u32_e32 0x7f, v2
	s_cbranch_execz .LBB372_208
; %bb.205:                              ;   in Loop: Header=BB372_10 Depth=1
	v_lshrrev_b32_e32 v4, 3, v2
	v_cmp_gt_u32_e64 s1, 8, v2
	v_mov_b64_e32 v[2:3], v[0:1]
	s_and_saveexec_b32 s18, s1
; %bb.206:                              ;   in Loop: Header=BB372_10 Depth=1
	v_and_b32_e32 v2, 7, v0
	s_delay_alu instid0(VALU_DEP_1) | instskip(NEXT) | instid1(VALU_DEP_1)
	v_clz_i32_u32_e32 v2, v2
	v_min_u32_e32 v4, 32, v2
	s_delay_alu instid0(VALU_DEP_1) | instskip(SKIP_1) | instid1(VALU_DEP_2)
	v_subrev_nc_u32_e32 v2, 28, v4
	v_sub_nc_u32_e32 v4, 29, v4
	v_lshlrev_b64_e32 v[2:3], v2, v[0:1]
; %bb.207:                              ;   in Loop: Header=BB372_10 Depth=1
	s_or_b32 exec_lo, exec_lo, s18
	s_delay_alu instid0(VALU_DEP_1) | instskip(NEXT) | instid1(VALU_DEP_3)
	v_dual_lshlrev_b32 v2, 20, v2 :: v_dual_lshlrev_b32 v3, 24, v0
	v_lshl_add_u32 v4, v4, 23, 0x3c000000
	s_delay_alu instid0(VALU_DEP_2) | instskip(NEXT) | instid1(VALU_DEP_3)
	v_and_b32_e32 v2, 0x700000, v2
	v_and_b32_e32 v3, 0x80000000, v3
	s_delay_alu instid0(VALU_DEP_1)
	v_or3_b32 v2, v2, v3, v4
	scratch_store_b64 off, v[2:3], s32 offset:284 ; 8-byte Folded Spill
.LBB372_208:                            ;   in Loop: Header=BB372_10 Depth=1
	s_wait_xcnt 0x0
	s_or_b32 exec_lo, exec_lo, s17
.LBB372_209:                            ;   in Loop: Header=BB372_10 Depth=1
	s_delay_alu instid0(SALU_CYCLE_1)
	s_or_b32 exec_lo, exec_lo, s16
.LBB372_210:                            ;   in Loop: Header=BB372_10 Depth=1
	s_delay_alu instid0(SALU_CYCLE_1)
	s_or_b32 exec_lo, exec_lo, s11
	v_mov_b32_e32 v4, 0
	v_lshrrev_b16 v2, 8, v0
	s_mov_b32 s11, exec_lo
	s_clause 0x1
	scratch_store_b64 off, v[4:5], s32 offset:292
	scratch_load_b64 v[4:5], off, s32 offset:284
	s_wait_loadcnt 0x0
	v_mov_b32_e32 v5, 0
	scratch_store_b64 off, v[4:5], s32 offset:284 ; 8-byte Folded Spill
	s_wait_xcnt 0x0
	v_cmpx_ne_u16_e32 0, v2
	s_cbranch_execz .LBB372_218
; %bb.211:                              ;   in Loop: Header=BB372_10 Depth=1
	scratch_load_b64 v[4:5], off, s32 offset:284 ; 8-byte Folded Reload
	s_wait_loadcnt 0x0
	v_bfrev_b32_e32 v5, 1
	s_mov_b32 s16, exec_lo
	scratch_store_b64 off, v[4:5], s32 offset:284 ; 8-byte Folded Spill
	s_wait_xcnt 0x0
	v_cmpx_ne_u16_e32 0x80, v2
	s_cbranch_execz .LBB372_217
; %bb.212:                              ;   in Loop: Header=BB372_10 Depth=1
	scratch_load_b64 v[4:5], off, s32 offset:284 ; 8-byte Folded Reload
	v_and_b32_e32 v3, 0xffff, v2
	s_wait_loadcnt 0x0
	v_mov_b32_e32 v5, 0x7f800001
	s_mov_b32 s17, exec_lo
	s_delay_alu instid0(VALU_DEP_2)
	v_and_b32_e32 v2, 0x7f, v3
	scratch_store_b64 off, v[4:5], s32 offset:284 ; 8-byte Folded Spill
	s_wait_xcnt 0x0
	v_cmpx_ne_u32_e32 0x7f, v2
	s_cbranch_execz .LBB372_216
; %bb.213:                              ;   in Loop: Header=BB372_10 Depth=1
	v_dual_lshrrev_b32 v4, 3, v2 :: v_dual_bitop2_b32 v16, 7, v3 bitop3:0x40
	v_cmp_gt_u32_e64 s1, 8, v2
	s_delay_alu instid0(VALU_DEP_2)
	v_mov_b64_e32 v[2:3], v[16:17]
	s_and_saveexec_b32 s18, s1
; %bb.214:                              ;   in Loop: Header=BB372_10 Depth=1
	v_clz_i32_u32_e32 v2, v16
	s_delay_alu instid0(VALU_DEP_1) | instskip(NEXT) | instid1(VALU_DEP_1)
	v_min_u32_e32 v4, 32, v2
	v_subrev_nc_u32_e32 v2, 28, v4
	s_delay_alu instid0(VALU_DEP_1) | instskip(NEXT) | instid1(VALU_DEP_1)
	v_lshlrev_b64_e32 v[2:3], v2, v[16:17]
	v_dual_sub_nc_u32 v4, 29, v4 :: v_dual_bitop2_b32 v2, 7, v2 bitop3:0x40
; %bb.215:                              ;   in Loop: Header=BB372_10 Depth=1
	s_or_b32 exec_lo, exec_lo, s18
	scratch_load_b64 v[6:7], off, s32 offset:284 ; 8-byte Folded Reload
	v_dual_lshlrev_b32 v3, 16, v0 :: v_dual_lshlrev_b32 v2, 20, v2
	v_lshl_add_u32 v4, v4, 23, 0x3c000000
	s_delay_alu instid0(VALU_DEP_2) | instskip(SKIP_1) | instid1(VALU_DEP_1)
	v_and_b32_e32 v3, 0x80000000, v3
	s_wait_loadcnt 0x0
	v_or3_b32 v7, v2, v3, v4
	scratch_store_b64 off, v[6:7], s32 offset:284 ; 8-byte Folded Spill
.LBB372_216:                            ;   in Loop: Header=BB372_10 Depth=1
	s_wait_xcnt 0x0
	s_or_b32 exec_lo, exec_lo, s17
.LBB372_217:                            ;   in Loop: Header=BB372_10 Depth=1
	s_delay_alu instid0(SALU_CYCLE_1)
	s_or_b32 exec_lo, exec_lo, s16
.LBB372_218:                            ;   in Loop: Header=BB372_10 Depth=1
	s_delay_alu instid0(SALU_CYCLE_1) | instskip(SKIP_2) | instid1(VALU_DEP_1)
	s_or_b32 exec_lo, exec_lo, s11
	v_lshrrev_b32_e32 v4, 16, v0
	s_mov_b32 s11, exec_lo
	v_and_b32_e32 v2, 0xff, v4
	s_delay_alu instid0(VALU_DEP_1)
	v_cmpx_ne_u16_e32 0, v2
	s_cbranch_execz .LBB372_226
; %bb.219:                              ;   in Loop: Header=BB372_10 Depth=1
	v_cmp_ne_u16_e64 s1, 0x80, v2
	v_bfrev_b32_e32 v2, 1
	scratch_store_b64 off, v[2:3], s32 offset:292 ; 8-byte Folded Spill
	s_wait_xcnt 0x0
	s_and_saveexec_b32 s16, s1
	s_cbranch_execz .LBB372_225
; %bb.220:                              ;   in Loop: Header=BB372_10 Depth=1
	v_bfe_u32 v2, v0, 16, 7
	v_mov_b32_e32 v6, 0x7f800001
	s_mov_b32 s17, exec_lo
	scratch_store_b64 off, v[6:7], s32 offset:292 ; 8-byte Folded Spill
	s_wait_xcnt 0x0
	v_cmpx_ne_u32_e32 0x7f, v2
	s_cbranch_execz .LBB372_224
; %bb.221:                              ;   in Loop: Header=BB372_10 Depth=1
	v_dual_lshrrev_b32 v5, 3, v2 :: v_dual_bitop2_b32 v16, 7, v4 bitop3:0x40
	v_cmp_gt_u32_e64 s1, 8, v2
	s_delay_alu instid0(VALU_DEP_2)
	v_mov_b64_e32 v[2:3], v[16:17]
	s_and_saveexec_b32 s18, s1
; %bb.222:                              ;   in Loop: Header=BB372_10 Depth=1
	v_clz_i32_u32_e32 v2, v16
	s_delay_alu instid0(VALU_DEP_1) | instskip(NEXT) | instid1(VALU_DEP_1)
	v_min_u32_e32 v5, 32, v2
	v_subrev_nc_u32_e32 v2, 28, v5
	s_delay_alu instid0(VALU_DEP_1) | instskip(NEXT) | instid1(VALU_DEP_1)
	v_lshlrev_b64_e32 v[2:3], v2, v[16:17]
	v_dual_sub_nc_u32 v5, 29, v5 :: v_dual_bitop2_b32 v2, 7, v2 bitop3:0x40
; %bb.223:                              ;   in Loop: Header=BB372_10 Depth=1
	s_or_b32 exec_lo, exec_lo, s18
	s_delay_alu instid0(VALU_DEP_1) | instskip(NEXT) | instid1(VALU_DEP_2)
	v_dual_lshlrev_b32 v3, 24, v4 :: v_dual_lshlrev_b32 v2, 20, v2
	v_lshl_add_u32 v4, v5, 23, 0x3c000000
	s_delay_alu instid0(VALU_DEP_2) | instskip(NEXT) | instid1(VALU_DEP_1)
	v_and_b32_e32 v3, 0x80000000, v3
	v_or3_b32 v2, v2, v3, v4
	scratch_store_b64 off, v[2:3], s32 offset:292 ; 8-byte Folded Spill
.LBB372_224:                            ;   in Loop: Header=BB372_10 Depth=1
	s_wait_xcnt 0x0
	s_or_b32 exec_lo, exec_lo, s17
.LBB372_225:                            ;   in Loop: Header=BB372_10 Depth=1
	s_delay_alu instid0(SALU_CYCLE_1)
	s_or_b32 exec_lo, exec_lo, s16
.LBB372_226:                            ;   in Loop: Header=BB372_10 Depth=1
	s_delay_alu instid0(SALU_CYCLE_1)
	s_or_b32 exec_lo, exec_lo, s11
	v_mov_b32_e32 v2, 0
	s_mov_b32 s11, exec_lo
	s_clause 0x1
	scratch_store_b64 off, v[2:3], s32 offset:300
	scratch_load_b64 v[2:3], off, s32 offset:292
	s_wait_loadcnt 0x0
	v_mov_b32_e32 v3, 0
	scratch_store_b64 off, v[2:3], s32 offset:292 ; 8-byte Folded Spill
	s_wait_xcnt 0x0
	v_cmpx_lt_u32_e32 0xffffff, v0
	s_cbranch_execz .LBB372_234
; %bb.227:                              ;   in Loop: Header=BB372_10 Depth=1
	scratch_load_b64 v[2:3], off, s32 offset:292 ; 8-byte Folded Reload
	v_lshrrev_b32_e32 v4, 24, v0
	s_wait_loadcnt 0x0
	v_bfrev_b32_e32 v3, 1
	s_mov_b32 s16, exec_lo
	scratch_store_b64 off, v[2:3], s32 offset:292 ; 8-byte Folded Spill
	s_wait_xcnt 0x0
	v_cmpx_ne_u32_e32 0x80, v4
	s_cbranch_execz .LBB372_233
; %bb.228:                              ;   in Loop: Header=BB372_10 Depth=1
	scratch_load_b64 v[6:7], off, s32 offset:292 ; 8-byte Folded Reload
	v_bfe_u32 v2, v0, 24, 7
	s_wait_loadcnt 0x0
	v_mov_b32_e32 v7, 0x7f800001
	s_mov_b32 s17, exec_lo
	scratch_store_b64 off, v[6:7], s32 offset:292 ; 8-byte Folded Spill
	s_wait_xcnt 0x0
	v_cmpx_ne_u32_e32 0x7f, v2
	s_cbranch_execz .LBB372_232
; %bb.229:                              ;   in Loop: Header=BB372_10 Depth=1
	v_dual_lshrrev_b32 v5, 3, v2 :: v_dual_bitop2_b32 v16, 7, v4 bitop3:0x40
	v_cmp_gt_u32_e64 s1, 8, v2
	s_delay_alu instid0(VALU_DEP_2)
	v_mov_b64_e32 v[2:3], v[16:17]
	s_and_saveexec_b32 s18, s1
; %bb.230:                              ;   in Loop: Header=BB372_10 Depth=1
	v_clz_i32_u32_e32 v2, v16
	s_delay_alu instid0(VALU_DEP_1) | instskip(NEXT) | instid1(VALU_DEP_1)
	v_min_u32_e32 v5, 32, v2
	v_subrev_nc_u32_e32 v2, 28, v5
	s_delay_alu instid0(VALU_DEP_1) | instskip(NEXT) | instid1(VALU_DEP_1)
	v_lshlrev_b64_e32 v[2:3], v2, v[16:17]
	v_dual_sub_nc_u32 v5, 29, v5 :: v_dual_bitop2_b32 v2, 7, v2 bitop3:0x40
; %bb.231:                              ;   in Loop: Header=BB372_10 Depth=1
	s_or_b32 exec_lo, exec_lo, s18
	scratch_load_b64 v[6:7], off, s32 offset:292 ; 8-byte Folded Reload
	v_dual_lshlrev_b32 v3, 24, v4 :: v_dual_lshlrev_b32 v2, 20, v2
	v_lshl_add_u32 v4, v5, 23, 0x3c000000
	s_delay_alu instid0(VALU_DEP_2) | instskip(SKIP_1) | instid1(VALU_DEP_1)
	v_and_b32_e32 v3, 0x80000000, v3
	s_wait_loadcnt 0x0
	v_or3_b32 v7, v2, v3, v4
	scratch_store_b64 off, v[6:7], s32 offset:292 ; 8-byte Folded Spill
.LBB372_232:                            ;   in Loop: Header=BB372_10 Depth=1
	s_wait_xcnt 0x0
	s_or_b32 exec_lo, exec_lo, s17
.LBB372_233:                            ;   in Loop: Header=BB372_10 Depth=1
	s_delay_alu instid0(SALU_CYCLE_1)
	s_or_b32 exec_lo, exec_lo, s16
.LBB372_234:                            ;   in Loop: Header=BB372_10 Depth=1
	s_delay_alu instid0(SALU_CYCLE_1) | instskip(SKIP_3) | instid1(VALU_DEP_2)
	s_or_b32 exec_lo, exec_lo, s11
	v_and_b32_e32 v2, 0xff, v1
	v_mov_b32_e32 v16, v1
	s_mov_b32 s11, exec_lo
	v_cmpx_ne_u16_e32 0, v2
	s_cbranch_execz .LBB372_242
; %bb.235:                              ;   in Loop: Header=BB372_10 Depth=1
	v_cmp_ne_u16_e64 s1, 0x80, v2
	v_bfrev_b32_e32 v2, 1
	scratch_store_b64 off, v[2:3], s32 offset:300 ; 8-byte Folded Spill
	s_wait_xcnt 0x0
	s_and_saveexec_b32 s16, s1
	s_cbranch_execz .LBB372_241
; %bb.236:                              ;   in Loop: Header=BB372_10 Depth=1
	v_and_b32_e32 v2, 0x7f, v1
	v_mov_b32_e32 v4, 0x7f800001
	s_mov_b32 s17, exec_lo
	scratch_store_b64 off, v[4:5], s32 offset:300 ; 8-byte Folded Spill
	s_wait_xcnt 0x0
	v_cmpx_ne_u32_e32 0x7f, v2
	s_cbranch_execz .LBB372_240
; %bb.237:                              ;   in Loop: Header=BB372_10 Depth=1
	v_lshrrev_b32_e32 v4, 3, v2
	v_cmp_gt_u32_e64 s1, 8, v2
	v_mov_b64_e32 v[2:3], v[16:17]
	s_and_saveexec_b32 s18, s1
; %bb.238:                              ;   in Loop: Header=BB372_10 Depth=1
	v_and_b32_e32 v2, 7, v1
	s_delay_alu instid0(VALU_DEP_1) | instskip(NEXT) | instid1(VALU_DEP_1)
	v_clz_i32_u32_e32 v2, v2
	v_min_u32_e32 v4, 32, v2
	s_delay_alu instid0(VALU_DEP_1) | instskip(SKIP_1) | instid1(VALU_DEP_2)
	v_subrev_nc_u32_e32 v2, 28, v4
	v_sub_nc_u32_e32 v4, 29, v4
	v_lshlrev_b64_e32 v[2:3], v2, v[16:17]
; %bb.239:                              ;   in Loop: Header=BB372_10 Depth=1
	s_or_b32 exec_lo, exec_lo, s18
	s_delay_alu instid0(VALU_DEP_1) | instskip(NEXT) | instid1(VALU_DEP_3)
	v_dual_lshlrev_b32 v2, 20, v2 :: v_dual_lshlrev_b32 v3, 24, v16
	v_lshl_add_u32 v4, v4, 23, 0x3c000000
	s_delay_alu instid0(VALU_DEP_2) | instskip(NEXT) | instid1(VALU_DEP_3)
	v_and_b32_e32 v2, 0x700000, v2
	v_and_b32_e32 v3, 0x80000000, v3
	s_delay_alu instid0(VALU_DEP_1)
	v_or3_b32 v2, v2, v3, v4
	scratch_store_b64 off, v[2:3], s32 offset:300 ; 8-byte Folded Spill
.LBB372_240:                            ;   in Loop: Header=BB372_10 Depth=1
	s_wait_xcnt 0x0
	s_or_b32 exec_lo, exec_lo, s17
.LBB372_241:                            ;   in Loop: Header=BB372_10 Depth=1
	s_delay_alu instid0(SALU_CYCLE_1)
	s_or_b32 exec_lo, exec_lo, s16
.LBB372_242:                            ;   in Loop: Header=BB372_10 Depth=1
	s_delay_alu instid0(SALU_CYCLE_1)
	s_or_b32 exec_lo, exec_lo, s11
	v_mov_b32_e32 v4, 0
	v_lshrrev_b16 v2, 8, v16
	s_mov_b32 s11, exec_lo
	s_clause 0x1
	scratch_store_b64 off, v[4:5], s32 offset:308
	scratch_load_b64 v[4:5], off, s32 offset:300
	s_wait_loadcnt 0x0
	v_mov_b32_e32 v5, 0
	scratch_store_b64 off, v[4:5], s32 offset:300 ; 8-byte Folded Spill
	s_wait_xcnt 0x0
	v_cmpx_ne_u16_e32 0, v2
	s_cbranch_execz .LBB372_250
; %bb.243:                              ;   in Loop: Header=BB372_10 Depth=1
	scratch_load_b64 v[4:5], off, s32 offset:300 ; 8-byte Folded Reload
	s_wait_loadcnt 0x0
	v_bfrev_b32_e32 v5, 1
	s_mov_b32 s16, exec_lo
	scratch_store_b64 off, v[4:5], s32 offset:300 ; 8-byte Folded Spill
	s_wait_xcnt 0x0
	v_cmpx_ne_u16_e32 0x80, v2
	s_cbranch_execz .LBB372_249
; %bb.244:                              ;   in Loop: Header=BB372_10 Depth=1
	scratch_load_b64 v[6:7], off, s32 offset:300 ; 8-byte Folded Reload
	v_and_b32_e32 v2, 0xffff, v2
	s_wait_loadcnt 0x0
	v_mov_b32_e32 v7, 0x7f800001
	s_mov_b32 s17, exec_lo
	s_delay_alu instid0(VALU_DEP_2)
	v_and_b32_e32 v5, 0x7f, v2
	scratch_store_b64 off, v[6:7], s32 offset:300 ; 8-byte Folded Spill
	s_wait_xcnt 0x0
	v_cmpx_ne_u32_e32 0x7f, v5
	s_cbranch_execz .LBB372_248
; %bb.245:                              ;   in Loop: Header=BB372_10 Depth=1
	v_dual_mov_b32 v3, v17 :: v_dual_bitop2_b32 v2, 7, v2 bitop3:0x40
	v_lshrrev_b32_e32 v4, 3, v5
	s_mov_b32 s18, exec_lo
	v_cmpx_gt_u32_e32 8, v5
; %bb.246:                              ;   in Loop: Header=BB372_10 Depth=1
	s_delay_alu instid0(VALU_DEP_3) | instskip(NEXT) | instid1(VALU_DEP_1)
	v_clz_i32_u32_e32 v4, v2
	v_min_u32_e32 v4, 32, v4
	s_delay_alu instid0(VALU_DEP_1) | instskip(NEXT) | instid1(VALU_DEP_1)
	v_subrev_nc_u32_e32 v5, 28, v4
	v_lshlrev_b64_e32 v[2:3], v5, v[2:3]
	s_delay_alu instid0(VALU_DEP_1)
	v_dual_sub_nc_u32 v4, 29, v4 :: v_dual_bitop2_b32 v2, 7, v2 bitop3:0x40
; %bb.247:                              ;   in Loop: Header=BB372_10 Depth=1
	s_or_b32 exec_lo, exec_lo, s18
	scratch_load_b64 v[6:7], off, s32 offset:300 ; 8-byte Folded Reload
	v_dual_lshlrev_b32 v3, 16, v16 :: v_dual_lshlrev_b32 v2, 20, v2
	v_lshl_add_u32 v4, v4, 23, 0x3c000000
	s_delay_alu instid0(VALU_DEP_2) | instskip(SKIP_1) | instid1(VALU_DEP_1)
	v_and_b32_e32 v3, 0x80000000, v3
	s_wait_loadcnt 0x0
	v_or3_b32 v7, v2, v3, v4
	scratch_store_b64 off, v[6:7], s32 offset:300 ; 8-byte Folded Spill
.LBB372_248:                            ;   in Loop: Header=BB372_10 Depth=1
	s_wait_xcnt 0x0
	s_or_b32 exec_lo, exec_lo, s17
.LBB372_249:                            ;   in Loop: Header=BB372_10 Depth=1
	s_delay_alu instid0(SALU_CYCLE_1)
	s_or_b32 exec_lo, exec_lo, s16
.LBB372_250:                            ;   in Loop: Header=BB372_10 Depth=1
	s_delay_alu instid0(SALU_CYCLE_1) | instskip(SKIP_2) | instid1(VALU_DEP_1)
	s_or_b32 exec_lo, exec_lo, s11
	v_lshrrev_b32_e32 v4, 16, v1
	s_mov_b32 s11, exec_lo
	v_and_b32_e32 v2, 0xff, v4
	s_delay_alu instid0(VALU_DEP_1)
	v_cmpx_ne_u16_e32 0, v2
	s_cbranch_execz .LBB372_258
; %bb.251:                              ;   in Loop: Header=BB372_10 Depth=1
	v_cmp_ne_u16_e64 s1, 0x80, v2
	v_bfrev_b32_e32 v2, 1
	scratch_store_b64 off, v[2:3], s32 offset:308 ; 8-byte Folded Spill
	s_wait_xcnt 0x0
	s_and_saveexec_b32 s16, s1
	s_cbranch_execz .LBB372_257
; %bb.252:                              ;   in Loop: Header=BB372_10 Depth=1
	v_bfe_u32 v2, v1, 16, 7
	v_mov_b32_e32 v6, 0x7f800001
	s_mov_b32 s17, exec_lo
	scratch_store_b64 off, v[6:7], s32 offset:308 ; 8-byte Folded Spill
	s_wait_xcnt 0x0
	v_cmpx_ne_u32_e32 0x7f, v2
	s_cbranch_execz .LBB372_256
; %bb.253:                              ;   in Loop: Header=BB372_10 Depth=1
	v_dual_lshrrev_b32 v5, 3, v2 :: v_dual_bitop2_b32 v16, 7, v4 bitop3:0x40
	v_cmp_gt_u32_e64 s1, 8, v2
	s_delay_alu instid0(VALU_DEP_2)
	v_mov_b64_e32 v[2:3], v[16:17]
	s_and_saveexec_b32 s18, s1
; %bb.254:                              ;   in Loop: Header=BB372_10 Depth=1
	v_clz_i32_u32_e32 v2, v16
	s_delay_alu instid0(VALU_DEP_1) | instskip(NEXT) | instid1(VALU_DEP_1)
	v_min_u32_e32 v5, 32, v2
	v_subrev_nc_u32_e32 v2, 28, v5
	s_delay_alu instid0(VALU_DEP_1) | instskip(NEXT) | instid1(VALU_DEP_1)
	v_lshlrev_b64_e32 v[2:3], v2, v[16:17]
	v_dual_sub_nc_u32 v5, 29, v5 :: v_dual_bitop2_b32 v2, 7, v2 bitop3:0x40
; %bb.255:                              ;   in Loop: Header=BB372_10 Depth=1
	s_or_b32 exec_lo, exec_lo, s18
	s_delay_alu instid0(VALU_DEP_1) | instskip(NEXT) | instid1(VALU_DEP_2)
	v_dual_lshlrev_b32 v3, 24, v4 :: v_dual_lshlrev_b32 v2, 20, v2
	v_lshl_add_u32 v4, v5, 23, 0x3c000000
	s_delay_alu instid0(VALU_DEP_2) | instskip(NEXT) | instid1(VALU_DEP_1)
	v_and_b32_e32 v3, 0x80000000, v3
	v_or3_b32 v2, v2, v3, v4
	scratch_store_b64 off, v[2:3], s32 offset:308 ; 8-byte Folded Spill
.LBB372_256:                            ;   in Loop: Header=BB372_10 Depth=1
	s_wait_xcnt 0x0
	s_or_b32 exec_lo, exec_lo, s17
.LBB372_257:                            ;   in Loop: Header=BB372_10 Depth=1
	s_delay_alu instid0(SALU_CYCLE_1)
	s_or_b32 exec_lo, exec_lo, s16
.LBB372_258:                            ;   in Loop: Header=BB372_10 Depth=1
	s_delay_alu instid0(SALU_CYCLE_1)
	s_or_b32 exec_lo, exec_lo, s11
	scratch_load_b64 v[2:3], off, s32 offset:308 ; 8-byte Folded Reload
	v_cmp_lt_u64_e64 s1, s[2:3], v[0:1]
	s_wait_loadcnt 0x0
	v_dual_mov_b32 v0, 0 :: v_dual_mov_b32 v3, 0
	s_clause 0x1
	scratch_store_b64 off, v[0:1], s32 offset:316
	scratch_store_b64 off, v[2:3], s32 offset:308
	s_wait_xcnt 0x0
	s_and_saveexec_b32 s11, s1
	s_cbranch_execz .LBB372_266
; %bb.259:                              ;   in Loop: Header=BB372_10 Depth=1
	scratch_load_b64 v[4:5], off, s32 offset:308 ; 8-byte Folded Reload
	v_lshrrev_b32_e32 v2, 24, v1
	s_wait_loadcnt 0x0
	v_bfrev_b32_e32 v5, 1
	s_mov_b32 s16, exec_lo
	scratch_store_b64 off, v[4:5], s32 offset:308 ; 8-byte Folded Spill
	s_wait_xcnt 0x0
	v_cmpx_ne_u32_e32 0x80, v2
	s_cbranch_execz .LBB372_265
; %bb.260:                              ;   in Loop: Header=BB372_10 Depth=1
	scratch_load_b64 v[4:5], off, s32 offset:308 ; 8-byte Folded Reload
	v_bfe_u32 v0, v1, 24, 7
	s_wait_loadcnt 0x0
	v_mov_b32_e32 v5, 0x7f800001
	s_mov_b32 s17, exec_lo
	scratch_store_b64 off, v[4:5], s32 offset:308 ; 8-byte Folded Spill
	s_wait_xcnt 0x0
	v_cmpx_ne_u32_e32 0x7f, v0
	s_cbranch_execz .LBB372_264
; %bb.261:                              ;   in Loop: Header=BB372_10 Depth=1
	v_dual_lshrrev_b32 v3, 3, v0 :: v_dual_bitop2_b32 v16, 7, v2 bitop3:0x40
	v_cmp_gt_u32_e64 s1, 8, v0
	s_delay_alu instid0(VALU_DEP_2)
	v_mov_b64_e32 v[0:1], v[16:17]
	s_and_saveexec_b32 s18, s1
; %bb.262:                              ;   in Loop: Header=BB372_10 Depth=1
	v_clz_i32_u32_e32 v0, v16
	s_delay_alu instid0(VALU_DEP_1) | instskip(NEXT) | instid1(VALU_DEP_1)
	v_min_u32_e32 v3, 32, v0
	v_subrev_nc_u32_e32 v0, 28, v3
	s_delay_alu instid0(VALU_DEP_1) | instskip(NEXT) | instid1(VALU_DEP_1)
	v_lshlrev_b64_e32 v[0:1], v0, v[16:17]
	v_dual_sub_nc_u32 v3, 29, v3 :: v_dual_bitop2_b32 v0, 7, v0 bitop3:0x40
; %bb.263:                              ;   in Loop: Header=BB372_10 Depth=1
	s_or_b32 exec_lo, exec_lo, s18
	scratch_load_b64 v[4:5], off, s32 offset:308 ; 8-byte Folded Reload
	v_dual_lshlrev_b32 v1, 24, v2 :: v_dual_lshlrev_b32 v0, 20, v0
	v_lshl_add_u32 v2, v3, 23, 0x3c000000
	s_delay_alu instid0(VALU_DEP_2) | instskip(SKIP_1) | instid1(VALU_DEP_1)
	v_and_b32_e32 v1, 0x80000000, v1
	s_wait_loadcnt 0x0
	v_or3_b32 v5, v0, v1, v2
	scratch_store_b64 off, v[4:5], s32 offset:308 ; 8-byte Folded Spill
.LBB372_264:                            ;   in Loop: Header=BB372_10 Depth=1
	s_wait_xcnt 0x0
	s_or_b32 exec_lo, exec_lo, s17
.LBB372_265:                            ;   in Loop: Header=BB372_10 Depth=1
	s_delay_alu instid0(SALU_CYCLE_1)
	s_or_b32 exec_lo, exec_lo, s16
.LBB372_266:                            ;   in Loop: Header=BB372_10 Depth=1
	s_delay_alu instid0(SALU_CYCLE_1)
	s_or_b32 exec_lo, exec_lo, s11
	flat_load_b64 v[0:1], v[96:97] offset:1024
	s_mov_b32 s11, exec_lo
	s_wait_loadcnt_dscnt 0x0
	v_and_b32_e32 v2, 0xff, v0
	s_wait_xcnt 0x0
	s_delay_alu instid0(VALU_DEP_1)
	v_cmpx_ne_u16_e32 0, v2
	s_cbranch_execz .LBB372_274
; %bb.267:                              ;   in Loop: Header=BB372_10 Depth=1
	v_cmp_ne_u16_e64 s1, 0x80, v2
	v_bfrev_b32_e32 v2, 1
	scratch_store_b64 off, v[2:3], s32 offset:316 ; 8-byte Folded Spill
	s_wait_xcnt 0x0
	s_and_saveexec_b32 s16, s1
	s_cbranch_execz .LBB372_273
; %bb.268:                              ;   in Loop: Header=BB372_10 Depth=1
	v_and_b32_e32 v2, 0x7f, v0
	v_mov_b32_e32 v4, 0x7f800001
	s_mov_b32 s17, exec_lo
	scratch_store_b64 off, v[4:5], s32 offset:316 ; 8-byte Folded Spill
	s_wait_xcnt 0x0
	v_cmpx_ne_u32_e32 0x7f, v2
	s_cbranch_execz .LBB372_272
; %bb.269:                              ;   in Loop: Header=BB372_10 Depth=1
	v_lshrrev_b32_e32 v4, 3, v2
	v_cmp_gt_u32_e64 s1, 8, v2
	v_mov_b64_e32 v[2:3], v[0:1]
	s_and_saveexec_b32 s18, s1
; %bb.270:                              ;   in Loop: Header=BB372_10 Depth=1
	v_and_b32_e32 v2, 7, v0
	s_delay_alu instid0(VALU_DEP_1) | instskip(NEXT) | instid1(VALU_DEP_1)
	v_clz_i32_u32_e32 v2, v2
	v_min_u32_e32 v4, 32, v2
	s_delay_alu instid0(VALU_DEP_1) | instskip(SKIP_1) | instid1(VALU_DEP_2)
	v_subrev_nc_u32_e32 v2, 28, v4
	v_sub_nc_u32_e32 v4, 29, v4
	v_lshlrev_b64_e32 v[2:3], v2, v[0:1]
; %bb.271:                              ;   in Loop: Header=BB372_10 Depth=1
	s_or_b32 exec_lo, exec_lo, s18
	s_delay_alu instid0(VALU_DEP_1) | instskip(NEXT) | instid1(VALU_DEP_3)
	v_dual_lshlrev_b32 v2, 20, v2 :: v_dual_lshlrev_b32 v3, 24, v0
	v_lshl_add_u32 v4, v4, 23, 0x3c000000
	s_delay_alu instid0(VALU_DEP_2) | instskip(NEXT) | instid1(VALU_DEP_3)
	v_and_b32_e32 v2, 0x700000, v2
	v_and_b32_e32 v3, 0x80000000, v3
	s_delay_alu instid0(VALU_DEP_1)
	v_or3_b32 v2, v2, v3, v4
	scratch_store_b64 off, v[2:3], s32 offset:316 ; 8-byte Folded Spill
.LBB372_272:                            ;   in Loop: Header=BB372_10 Depth=1
	s_wait_xcnt 0x0
	s_or_b32 exec_lo, exec_lo, s17
.LBB372_273:                            ;   in Loop: Header=BB372_10 Depth=1
	s_delay_alu instid0(SALU_CYCLE_1)
	s_or_b32 exec_lo, exec_lo, s16
.LBB372_274:                            ;   in Loop: Header=BB372_10 Depth=1
	s_delay_alu instid0(SALU_CYCLE_1)
	s_or_b32 exec_lo, exec_lo, s11
	v_mov_b32_e32 v4, 0
	v_lshrrev_b16 v2, 8, v0
	s_mov_b32 s11, exec_lo
	s_clause 0x1
	scratch_store_b64 off, v[4:5], s32 offset:324
	scratch_load_b64 v[4:5], off, s32 offset:316
	s_wait_loadcnt 0x0
	v_mov_b32_e32 v5, 0
	scratch_store_b64 off, v[4:5], s32 offset:316 ; 8-byte Folded Spill
	s_wait_xcnt 0x0
	v_cmpx_ne_u16_e32 0, v2
	s_cbranch_execz .LBB372_282
; %bb.275:                              ;   in Loop: Header=BB372_10 Depth=1
	scratch_load_b64 v[4:5], off, s32 offset:316 ; 8-byte Folded Reload
	s_wait_loadcnt 0x0
	v_bfrev_b32_e32 v5, 1
	s_mov_b32 s16, exec_lo
	scratch_store_b64 off, v[4:5], s32 offset:316 ; 8-byte Folded Spill
	s_wait_xcnt 0x0
	v_cmpx_ne_u16_e32 0x80, v2
	s_cbranch_execz .LBB372_281
; %bb.276:                              ;   in Loop: Header=BB372_10 Depth=1
	scratch_load_b64 v[4:5], off, s32 offset:316 ; 8-byte Folded Reload
	v_and_b32_e32 v3, 0xffff, v2
	s_wait_loadcnt 0x0
	v_mov_b32_e32 v5, 0x7f800001
	s_mov_b32 s17, exec_lo
	s_delay_alu instid0(VALU_DEP_2)
	v_and_b32_e32 v2, 0x7f, v3
	scratch_store_b64 off, v[4:5], s32 offset:316 ; 8-byte Folded Spill
	s_wait_xcnt 0x0
	v_cmpx_ne_u32_e32 0x7f, v2
	s_cbranch_execz .LBB372_280
; %bb.277:                              ;   in Loop: Header=BB372_10 Depth=1
	v_dual_lshrrev_b32 v4, 3, v2 :: v_dual_bitop2_b32 v16, 7, v3 bitop3:0x40
	v_cmp_gt_u32_e64 s1, 8, v2
	s_delay_alu instid0(VALU_DEP_2)
	v_mov_b64_e32 v[2:3], v[16:17]
	s_and_saveexec_b32 s18, s1
; %bb.278:                              ;   in Loop: Header=BB372_10 Depth=1
	v_clz_i32_u32_e32 v2, v16
	s_delay_alu instid0(VALU_DEP_1) | instskip(NEXT) | instid1(VALU_DEP_1)
	v_min_u32_e32 v4, 32, v2
	v_subrev_nc_u32_e32 v2, 28, v4
	s_delay_alu instid0(VALU_DEP_1) | instskip(NEXT) | instid1(VALU_DEP_1)
	v_lshlrev_b64_e32 v[2:3], v2, v[16:17]
	v_dual_sub_nc_u32 v4, 29, v4 :: v_dual_bitop2_b32 v2, 7, v2 bitop3:0x40
; %bb.279:                              ;   in Loop: Header=BB372_10 Depth=1
	s_or_b32 exec_lo, exec_lo, s18
	scratch_load_b64 v[6:7], off, s32 offset:316 ; 8-byte Folded Reload
	v_dual_lshlrev_b32 v3, 16, v0 :: v_dual_lshlrev_b32 v2, 20, v2
	v_lshl_add_u32 v4, v4, 23, 0x3c000000
	s_delay_alu instid0(VALU_DEP_2) | instskip(SKIP_1) | instid1(VALU_DEP_1)
	v_and_b32_e32 v3, 0x80000000, v3
	s_wait_loadcnt 0x0
	v_or3_b32 v7, v2, v3, v4
	scratch_store_b64 off, v[6:7], s32 offset:316 ; 8-byte Folded Spill
.LBB372_280:                            ;   in Loop: Header=BB372_10 Depth=1
	s_wait_xcnt 0x0
	s_or_b32 exec_lo, exec_lo, s17
.LBB372_281:                            ;   in Loop: Header=BB372_10 Depth=1
	s_delay_alu instid0(SALU_CYCLE_1)
	s_or_b32 exec_lo, exec_lo, s16
.LBB372_282:                            ;   in Loop: Header=BB372_10 Depth=1
	s_delay_alu instid0(SALU_CYCLE_1) | instskip(SKIP_2) | instid1(VALU_DEP_1)
	s_or_b32 exec_lo, exec_lo, s11
	v_lshrrev_b32_e32 v4, 16, v0
	s_mov_b32 s11, exec_lo
	v_and_b32_e32 v2, 0xff, v4
	s_delay_alu instid0(VALU_DEP_1)
	v_cmpx_ne_u16_e32 0, v2
	s_cbranch_execz .LBB372_290
; %bb.283:                              ;   in Loop: Header=BB372_10 Depth=1
	v_cmp_ne_u16_e64 s1, 0x80, v2
	v_bfrev_b32_e32 v2, 1
	scratch_store_b64 off, v[2:3], s32 offset:324 ; 8-byte Folded Spill
	s_wait_xcnt 0x0
	s_and_saveexec_b32 s16, s1
	s_cbranch_execz .LBB372_289
; %bb.284:                              ;   in Loop: Header=BB372_10 Depth=1
	v_bfe_u32 v2, v0, 16, 7
	v_mov_b32_e32 v6, 0x7f800001
	s_mov_b32 s17, exec_lo
	scratch_store_b64 off, v[6:7], s32 offset:324 ; 8-byte Folded Spill
	s_wait_xcnt 0x0
	v_cmpx_ne_u32_e32 0x7f, v2
	s_cbranch_execz .LBB372_288
; %bb.285:                              ;   in Loop: Header=BB372_10 Depth=1
	v_dual_lshrrev_b32 v5, 3, v2 :: v_dual_bitop2_b32 v16, 7, v4 bitop3:0x40
	v_cmp_gt_u32_e64 s1, 8, v2
	s_delay_alu instid0(VALU_DEP_2)
	v_mov_b64_e32 v[2:3], v[16:17]
	s_and_saveexec_b32 s18, s1
; %bb.286:                              ;   in Loop: Header=BB372_10 Depth=1
	v_clz_i32_u32_e32 v2, v16
	s_delay_alu instid0(VALU_DEP_1) | instskip(NEXT) | instid1(VALU_DEP_1)
	v_min_u32_e32 v5, 32, v2
	v_subrev_nc_u32_e32 v2, 28, v5
	s_delay_alu instid0(VALU_DEP_1) | instskip(NEXT) | instid1(VALU_DEP_1)
	v_lshlrev_b64_e32 v[2:3], v2, v[16:17]
	v_dual_sub_nc_u32 v5, 29, v5 :: v_dual_bitop2_b32 v2, 7, v2 bitop3:0x40
; %bb.287:                              ;   in Loop: Header=BB372_10 Depth=1
	s_or_b32 exec_lo, exec_lo, s18
	s_delay_alu instid0(VALU_DEP_1) | instskip(NEXT) | instid1(VALU_DEP_2)
	v_dual_lshlrev_b32 v3, 24, v4 :: v_dual_lshlrev_b32 v2, 20, v2
	v_lshl_add_u32 v4, v5, 23, 0x3c000000
	s_delay_alu instid0(VALU_DEP_2) | instskip(NEXT) | instid1(VALU_DEP_1)
	v_and_b32_e32 v3, 0x80000000, v3
	v_or3_b32 v2, v2, v3, v4
	scratch_store_b64 off, v[2:3], s32 offset:324 ; 8-byte Folded Spill
.LBB372_288:                            ;   in Loop: Header=BB372_10 Depth=1
	s_wait_xcnt 0x0
	s_or_b32 exec_lo, exec_lo, s17
.LBB372_289:                            ;   in Loop: Header=BB372_10 Depth=1
	s_delay_alu instid0(SALU_CYCLE_1)
	s_or_b32 exec_lo, exec_lo, s16
.LBB372_290:                            ;   in Loop: Header=BB372_10 Depth=1
	s_delay_alu instid0(SALU_CYCLE_1)
	s_or_b32 exec_lo, exec_lo, s11
	v_mov_b32_e32 v2, 0
	s_mov_b32 s11, exec_lo
	s_clause 0x1
	scratch_store_b64 off, v[2:3], s32 offset:332
	scratch_load_b64 v[2:3], off, s32 offset:324
	s_wait_loadcnt 0x0
	v_mov_b32_e32 v3, 0
	scratch_store_b64 off, v[2:3], s32 offset:324 ; 8-byte Folded Spill
	s_wait_xcnt 0x0
	v_cmpx_lt_u32_e32 0xffffff, v0
	s_cbranch_execz .LBB372_298
; %bb.291:                              ;   in Loop: Header=BB372_10 Depth=1
	scratch_load_b64 v[2:3], off, s32 offset:324 ; 8-byte Folded Reload
	v_lshrrev_b32_e32 v4, 24, v0
	s_wait_loadcnt 0x0
	v_bfrev_b32_e32 v3, 1
	s_mov_b32 s16, exec_lo
	scratch_store_b64 off, v[2:3], s32 offset:324 ; 8-byte Folded Spill
	s_wait_xcnt 0x0
	v_cmpx_ne_u32_e32 0x80, v4
	s_cbranch_execz .LBB372_297
; %bb.292:                              ;   in Loop: Header=BB372_10 Depth=1
	scratch_load_b64 v[6:7], off, s32 offset:324 ; 8-byte Folded Reload
	v_bfe_u32 v2, v0, 24, 7
	s_wait_loadcnt 0x0
	v_mov_b32_e32 v7, 0x7f800001
	s_mov_b32 s17, exec_lo
	scratch_store_b64 off, v[6:7], s32 offset:324 ; 8-byte Folded Spill
	s_wait_xcnt 0x0
	v_cmpx_ne_u32_e32 0x7f, v2
	s_cbranch_execz .LBB372_296
; %bb.293:                              ;   in Loop: Header=BB372_10 Depth=1
	v_dual_lshrrev_b32 v5, 3, v2 :: v_dual_bitop2_b32 v16, 7, v4 bitop3:0x40
	v_cmp_gt_u32_e64 s1, 8, v2
	s_delay_alu instid0(VALU_DEP_2)
	v_mov_b64_e32 v[2:3], v[16:17]
	s_and_saveexec_b32 s18, s1
; %bb.294:                              ;   in Loop: Header=BB372_10 Depth=1
	v_clz_i32_u32_e32 v2, v16
	s_delay_alu instid0(VALU_DEP_1) | instskip(NEXT) | instid1(VALU_DEP_1)
	v_min_u32_e32 v5, 32, v2
	v_subrev_nc_u32_e32 v2, 28, v5
	s_delay_alu instid0(VALU_DEP_1) | instskip(NEXT) | instid1(VALU_DEP_1)
	v_lshlrev_b64_e32 v[2:3], v2, v[16:17]
	v_dual_sub_nc_u32 v5, 29, v5 :: v_dual_bitop2_b32 v2, 7, v2 bitop3:0x40
; %bb.295:                              ;   in Loop: Header=BB372_10 Depth=1
	s_or_b32 exec_lo, exec_lo, s18
	scratch_load_b64 v[6:7], off, s32 offset:324 ; 8-byte Folded Reload
	v_dual_lshlrev_b32 v3, 24, v4 :: v_dual_lshlrev_b32 v2, 20, v2
	v_lshl_add_u32 v4, v5, 23, 0x3c000000
	s_delay_alu instid0(VALU_DEP_2) | instskip(SKIP_1) | instid1(VALU_DEP_1)
	v_and_b32_e32 v3, 0x80000000, v3
	s_wait_loadcnt 0x0
	v_or3_b32 v7, v2, v3, v4
	scratch_store_b64 off, v[6:7], s32 offset:324 ; 8-byte Folded Spill
.LBB372_296:                            ;   in Loop: Header=BB372_10 Depth=1
	s_wait_xcnt 0x0
	s_or_b32 exec_lo, exec_lo, s17
.LBB372_297:                            ;   in Loop: Header=BB372_10 Depth=1
	s_delay_alu instid0(SALU_CYCLE_1)
	s_or_b32 exec_lo, exec_lo, s16
.LBB372_298:                            ;   in Loop: Header=BB372_10 Depth=1
	s_delay_alu instid0(SALU_CYCLE_1) | instskip(SKIP_3) | instid1(VALU_DEP_2)
	s_or_b32 exec_lo, exec_lo, s11
	v_and_b32_e32 v2, 0xff, v1
	v_mov_b32_e32 v16, v1
	s_mov_b32 s11, exec_lo
	v_cmpx_ne_u16_e32 0, v2
	s_cbranch_execz .LBB372_306
; %bb.299:                              ;   in Loop: Header=BB372_10 Depth=1
	v_cmp_ne_u16_e64 s1, 0x80, v2
	v_bfrev_b32_e32 v2, 1
	scratch_store_b64 off, v[2:3], s32 offset:332 ; 8-byte Folded Spill
	s_wait_xcnt 0x0
	s_and_saveexec_b32 s16, s1
	s_cbranch_execz .LBB372_305
; %bb.300:                              ;   in Loop: Header=BB372_10 Depth=1
	v_and_b32_e32 v2, 0x7f, v1
	v_mov_b32_e32 v4, 0x7f800001
	s_mov_b32 s17, exec_lo
	scratch_store_b64 off, v[4:5], s32 offset:332 ; 8-byte Folded Spill
	s_wait_xcnt 0x0
	v_cmpx_ne_u32_e32 0x7f, v2
	s_cbranch_execz .LBB372_304
; %bb.301:                              ;   in Loop: Header=BB372_10 Depth=1
	v_lshrrev_b32_e32 v4, 3, v2
	v_cmp_gt_u32_e64 s1, 8, v2
	v_mov_b64_e32 v[2:3], v[16:17]
	s_and_saveexec_b32 s18, s1
; %bb.302:                              ;   in Loop: Header=BB372_10 Depth=1
	v_and_b32_e32 v2, 7, v1
	s_delay_alu instid0(VALU_DEP_1) | instskip(NEXT) | instid1(VALU_DEP_1)
	v_clz_i32_u32_e32 v2, v2
	v_min_u32_e32 v4, 32, v2
	s_delay_alu instid0(VALU_DEP_1) | instskip(SKIP_1) | instid1(VALU_DEP_2)
	v_subrev_nc_u32_e32 v2, 28, v4
	v_sub_nc_u32_e32 v4, 29, v4
	v_lshlrev_b64_e32 v[2:3], v2, v[16:17]
; %bb.303:                              ;   in Loop: Header=BB372_10 Depth=1
	s_or_b32 exec_lo, exec_lo, s18
	s_delay_alu instid0(VALU_DEP_1) | instskip(NEXT) | instid1(VALU_DEP_3)
	v_dual_lshlrev_b32 v2, 20, v2 :: v_dual_lshlrev_b32 v3, 24, v16
	v_lshl_add_u32 v4, v4, 23, 0x3c000000
	s_delay_alu instid0(VALU_DEP_2) | instskip(NEXT) | instid1(VALU_DEP_3)
	v_and_b32_e32 v2, 0x700000, v2
	v_and_b32_e32 v3, 0x80000000, v3
	s_delay_alu instid0(VALU_DEP_1)
	v_or3_b32 v2, v2, v3, v4
	scratch_store_b64 off, v[2:3], s32 offset:332 ; 8-byte Folded Spill
.LBB372_304:                            ;   in Loop: Header=BB372_10 Depth=1
	s_wait_xcnt 0x0
	s_or_b32 exec_lo, exec_lo, s17
.LBB372_305:                            ;   in Loop: Header=BB372_10 Depth=1
	s_delay_alu instid0(SALU_CYCLE_1)
	s_or_b32 exec_lo, exec_lo, s16
.LBB372_306:                            ;   in Loop: Header=BB372_10 Depth=1
	s_delay_alu instid0(SALU_CYCLE_1)
	s_or_b32 exec_lo, exec_lo, s11
	v_mov_b32_e32 v4, 0
	v_lshrrev_b16 v2, 8, v16
	s_mov_b32 s11, exec_lo
	s_clause 0x1
	scratch_store_b64 off, v[4:5], s32 offset:340
	scratch_load_b64 v[4:5], off, s32 offset:332
	s_wait_loadcnt 0x0
	v_mov_b32_e32 v5, 0
	scratch_store_b64 off, v[4:5], s32 offset:332 ; 8-byte Folded Spill
	s_wait_xcnt 0x0
	v_cmpx_ne_u16_e32 0, v2
	s_cbranch_execz .LBB372_314
; %bb.307:                              ;   in Loop: Header=BB372_10 Depth=1
	scratch_load_b64 v[4:5], off, s32 offset:332 ; 8-byte Folded Reload
	s_wait_loadcnt 0x0
	v_bfrev_b32_e32 v5, 1
	s_mov_b32 s16, exec_lo
	scratch_store_b64 off, v[4:5], s32 offset:332 ; 8-byte Folded Spill
	s_wait_xcnt 0x0
	v_cmpx_ne_u16_e32 0x80, v2
	s_cbranch_execz .LBB372_313
; %bb.308:                              ;   in Loop: Header=BB372_10 Depth=1
	scratch_load_b64 v[6:7], off, s32 offset:332 ; 8-byte Folded Reload
	v_and_b32_e32 v2, 0xffff, v2
	s_wait_loadcnt 0x0
	v_mov_b32_e32 v7, 0x7f800001
	s_mov_b32 s17, exec_lo
	s_delay_alu instid0(VALU_DEP_2)
	v_and_b32_e32 v5, 0x7f, v2
	scratch_store_b64 off, v[6:7], s32 offset:332 ; 8-byte Folded Spill
	s_wait_xcnt 0x0
	v_cmpx_ne_u32_e32 0x7f, v5
	s_cbranch_execz .LBB372_312
; %bb.309:                              ;   in Loop: Header=BB372_10 Depth=1
	v_dual_mov_b32 v3, v17 :: v_dual_bitop2_b32 v2, 7, v2 bitop3:0x40
	v_lshrrev_b32_e32 v4, 3, v5
	s_mov_b32 s18, exec_lo
	v_cmpx_gt_u32_e32 8, v5
; %bb.310:                              ;   in Loop: Header=BB372_10 Depth=1
	s_delay_alu instid0(VALU_DEP_3) | instskip(NEXT) | instid1(VALU_DEP_1)
	v_clz_i32_u32_e32 v4, v2
	v_min_u32_e32 v4, 32, v4
	s_delay_alu instid0(VALU_DEP_1) | instskip(NEXT) | instid1(VALU_DEP_1)
	v_subrev_nc_u32_e32 v5, 28, v4
	v_lshlrev_b64_e32 v[2:3], v5, v[2:3]
	s_delay_alu instid0(VALU_DEP_1)
	v_dual_sub_nc_u32 v4, 29, v4 :: v_dual_bitop2_b32 v2, 7, v2 bitop3:0x40
; %bb.311:                              ;   in Loop: Header=BB372_10 Depth=1
	s_or_b32 exec_lo, exec_lo, s18
	scratch_load_b64 v[6:7], off, s32 offset:332 ; 8-byte Folded Reload
	v_dual_lshlrev_b32 v3, 16, v16 :: v_dual_lshlrev_b32 v2, 20, v2
	v_lshl_add_u32 v4, v4, 23, 0x3c000000
	s_delay_alu instid0(VALU_DEP_2) | instskip(SKIP_1) | instid1(VALU_DEP_1)
	v_and_b32_e32 v3, 0x80000000, v3
	s_wait_loadcnt 0x0
	v_or3_b32 v7, v2, v3, v4
	scratch_store_b64 off, v[6:7], s32 offset:332 ; 8-byte Folded Spill
.LBB372_312:                            ;   in Loop: Header=BB372_10 Depth=1
	s_wait_xcnt 0x0
	s_or_b32 exec_lo, exec_lo, s17
.LBB372_313:                            ;   in Loop: Header=BB372_10 Depth=1
	s_delay_alu instid0(SALU_CYCLE_1)
	s_or_b32 exec_lo, exec_lo, s16
.LBB372_314:                            ;   in Loop: Header=BB372_10 Depth=1
	s_delay_alu instid0(SALU_CYCLE_1) | instskip(SKIP_2) | instid1(VALU_DEP_1)
	s_or_b32 exec_lo, exec_lo, s11
	v_lshrrev_b32_e32 v4, 16, v1
	s_mov_b32 s11, exec_lo
	v_and_b32_e32 v2, 0xff, v4
	s_delay_alu instid0(VALU_DEP_1)
	v_cmpx_ne_u16_e32 0, v2
	s_cbranch_execz .LBB372_322
; %bb.315:                              ;   in Loop: Header=BB372_10 Depth=1
	v_cmp_ne_u16_e64 s1, 0x80, v2
	v_bfrev_b32_e32 v2, 1
	scratch_store_b64 off, v[2:3], s32 offset:340 ; 8-byte Folded Spill
	s_wait_xcnt 0x0
	s_and_saveexec_b32 s16, s1
	s_cbranch_execz .LBB372_321
; %bb.316:                              ;   in Loop: Header=BB372_10 Depth=1
	v_bfe_u32 v2, v1, 16, 7
	v_mov_b32_e32 v6, 0x7f800001
	s_mov_b32 s17, exec_lo
	scratch_store_b64 off, v[6:7], s32 offset:340 ; 8-byte Folded Spill
	s_wait_xcnt 0x0
	v_cmpx_ne_u32_e32 0x7f, v2
	s_cbranch_execz .LBB372_320
; %bb.317:                              ;   in Loop: Header=BB372_10 Depth=1
	v_dual_lshrrev_b32 v5, 3, v2 :: v_dual_bitop2_b32 v16, 7, v4 bitop3:0x40
	v_cmp_gt_u32_e64 s1, 8, v2
	s_delay_alu instid0(VALU_DEP_2)
	v_mov_b64_e32 v[2:3], v[16:17]
	s_and_saveexec_b32 s18, s1
; %bb.318:                              ;   in Loop: Header=BB372_10 Depth=1
	v_clz_i32_u32_e32 v2, v16
	s_delay_alu instid0(VALU_DEP_1) | instskip(NEXT) | instid1(VALU_DEP_1)
	v_min_u32_e32 v5, 32, v2
	v_subrev_nc_u32_e32 v2, 28, v5
	s_delay_alu instid0(VALU_DEP_1) | instskip(NEXT) | instid1(VALU_DEP_1)
	v_lshlrev_b64_e32 v[2:3], v2, v[16:17]
	v_dual_sub_nc_u32 v5, 29, v5 :: v_dual_bitop2_b32 v2, 7, v2 bitop3:0x40
; %bb.319:                              ;   in Loop: Header=BB372_10 Depth=1
	s_or_b32 exec_lo, exec_lo, s18
	s_delay_alu instid0(VALU_DEP_1) | instskip(NEXT) | instid1(VALU_DEP_2)
	v_dual_lshlrev_b32 v3, 24, v4 :: v_dual_lshlrev_b32 v2, 20, v2
	v_lshl_add_u32 v4, v5, 23, 0x3c000000
	s_delay_alu instid0(VALU_DEP_2) | instskip(NEXT) | instid1(VALU_DEP_1)
	v_and_b32_e32 v3, 0x80000000, v3
	v_or3_b32 v2, v2, v3, v4
	scratch_store_b64 off, v[2:3], s32 offset:340 ; 8-byte Folded Spill
.LBB372_320:                            ;   in Loop: Header=BB372_10 Depth=1
	s_wait_xcnt 0x0
	s_or_b32 exec_lo, exec_lo, s17
.LBB372_321:                            ;   in Loop: Header=BB372_10 Depth=1
	s_delay_alu instid0(SALU_CYCLE_1)
	s_or_b32 exec_lo, exec_lo, s16
.LBB372_322:                            ;   in Loop: Header=BB372_10 Depth=1
	s_delay_alu instid0(SALU_CYCLE_1)
	s_or_b32 exec_lo, exec_lo, s11
	scratch_load_b64 v[2:3], off, s32 offset:340 ; 8-byte Folded Reload
	v_cmp_lt_u64_e64 s1, s[2:3], v[0:1]
	s_wait_loadcnt 0x0
	v_dual_mov_b32 v0, 0 :: v_dual_mov_b32 v3, 0
	s_clause 0x1
	scratch_store_b64 off, v[0:1], s32 offset:348
	scratch_store_b64 off, v[2:3], s32 offset:340
	s_wait_xcnt 0x0
	s_and_saveexec_b32 s11, s1
	s_cbranch_execz .LBB372_330
; %bb.323:                              ;   in Loop: Header=BB372_10 Depth=1
	scratch_load_b64 v[4:5], off, s32 offset:340 ; 8-byte Folded Reload
	v_lshrrev_b32_e32 v2, 24, v1
	s_wait_loadcnt 0x0
	v_bfrev_b32_e32 v5, 1
	s_mov_b32 s16, exec_lo
	scratch_store_b64 off, v[4:5], s32 offset:340 ; 8-byte Folded Spill
	s_wait_xcnt 0x0
	v_cmpx_ne_u32_e32 0x80, v2
	s_cbranch_execz .LBB372_329
; %bb.324:                              ;   in Loop: Header=BB372_10 Depth=1
	scratch_load_b64 v[4:5], off, s32 offset:340 ; 8-byte Folded Reload
	v_bfe_u32 v0, v1, 24, 7
	s_wait_loadcnt 0x0
	v_mov_b32_e32 v5, 0x7f800001
	s_mov_b32 s17, exec_lo
	scratch_store_b64 off, v[4:5], s32 offset:340 ; 8-byte Folded Spill
	s_wait_xcnt 0x0
	v_cmpx_ne_u32_e32 0x7f, v0
	s_cbranch_execz .LBB372_328
; %bb.325:                              ;   in Loop: Header=BB372_10 Depth=1
	v_dual_lshrrev_b32 v3, 3, v0 :: v_dual_bitop2_b32 v16, 7, v2 bitop3:0x40
	v_cmp_gt_u32_e64 s1, 8, v0
	s_delay_alu instid0(VALU_DEP_2)
	v_mov_b64_e32 v[0:1], v[16:17]
	s_and_saveexec_b32 s18, s1
; %bb.326:                              ;   in Loop: Header=BB372_10 Depth=1
	v_clz_i32_u32_e32 v0, v16
	s_delay_alu instid0(VALU_DEP_1) | instskip(NEXT) | instid1(VALU_DEP_1)
	v_min_u32_e32 v3, 32, v0
	v_subrev_nc_u32_e32 v0, 28, v3
	s_delay_alu instid0(VALU_DEP_1) | instskip(NEXT) | instid1(VALU_DEP_1)
	v_lshlrev_b64_e32 v[0:1], v0, v[16:17]
	v_dual_sub_nc_u32 v3, 29, v3 :: v_dual_bitop2_b32 v0, 7, v0 bitop3:0x40
; %bb.327:                              ;   in Loop: Header=BB372_10 Depth=1
	s_or_b32 exec_lo, exec_lo, s18
	scratch_load_b64 v[4:5], off, s32 offset:340 ; 8-byte Folded Reload
	v_dual_lshlrev_b32 v1, 24, v2 :: v_dual_lshlrev_b32 v0, 20, v0
	v_lshl_add_u32 v2, v3, 23, 0x3c000000
	s_delay_alu instid0(VALU_DEP_2) | instskip(SKIP_1) | instid1(VALU_DEP_1)
	v_and_b32_e32 v1, 0x80000000, v1
	s_wait_loadcnt 0x0
	v_or3_b32 v5, v0, v1, v2
	scratch_store_b64 off, v[4:5], s32 offset:340 ; 8-byte Folded Spill
.LBB372_328:                            ;   in Loop: Header=BB372_10 Depth=1
	s_wait_xcnt 0x0
	s_or_b32 exec_lo, exec_lo, s17
.LBB372_329:                            ;   in Loop: Header=BB372_10 Depth=1
	s_delay_alu instid0(SALU_CYCLE_1)
	s_or_b32 exec_lo, exec_lo, s16
.LBB372_330:                            ;   in Loop: Header=BB372_10 Depth=1
	s_delay_alu instid0(SALU_CYCLE_1)
	s_or_b32 exec_lo, exec_lo, s11
	flat_load_b64 v[0:1], v[96:97] offset:1032
	s_mov_b32 s11, exec_lo
	s_wait_loadcnt_dscnt 0x0
	v_and_b32_e32 v2, 0xff, v0
	s_wait_xcnt 0x0
	s_delay_alu instid0(VALU_DEP_1)
	v_cmpx_ne_u16_e32 0, v2
	s_cbranch_execz .LBB372_338
; %bb.331:                              ;   in Loop: Header=BB372_10 Depth=1
	v_cmp_ne_u16_e64 s1, 0x80, v2
	v_bfrev_b32_e32 v2, 1
	scratch_store_b64 off, v[2:3], s32 offset:348 ; 8-byte Folded Spill
	s_wait_xcnt 0x0
	s_and_saveexec_b32 s16, s1
	s_cbranch_execz .LBB372_337
; %bb.332:                              ;   in Loop: Header=BB372_10 Depth=1
	v_and_b32_e32 v2, 0x7f, v0
	v_mov_b32_e32 v4, 0x7f800001
	s_mov_b32 s17, exec_lo
	scratch_store_b64 off, v[4:5], s32 offset:348 ; 8-byte Folded Spill
	s_wait_xcnt 0x0
	v_cmpx_ne_u32_e32 0x7f, v2
	s_cbranch_execz .LBB372_336
; %bb.333:                              ;   in Loop: Header=BB372_10 Depth=1
	v_lshrrev_b32_e32 v4, 3, v2
	v_cmp_gt_u32_e64 s1, 8, v2
	v_mov_b64_e32 v[2:3], v[0:1]
	s_and_saveexec_b32 s18, s1
; %bb.334:                              ;   in Loop: Header=BB372_10 Depth=1
	v_and_b32_e32 v2, 7, v0
	s_delay_alu instid0(VALU_DEP_1) | instskip(NEXT) | instid1(VALU_DEP_1)
	v_clz_i32_u32_e32 v2, v2
	v_min_u32_e32 v4, 32, v2
	s_delay_alu instid0(VALU_DEP_1) | instskip(SKIP_1) | instid1(VALU_DEP_2)
	v_subrev_nc_u32_e32 v2, 28, v4
	v_sub_nc_u32_e32 v4, 29, v4
	v_lshlrev_b64_e32 v[2:3], v2, v[0:1]
; %bb.335:                              ;   in Loop: Header=BB372_10 Depth=1
	s_or_b32 exec_lo, exec_lo, s18
	s_delay_alu instid0(VALU_DEP_1) | instskip(NEXT) | instid1(VALU_DEP_3)
	v_dual_lshlrev_b32 v2, 20, v2 :: v_dual_lshlrev_b32 v3, 24, v0
	v_lshl_add_u32 v4, v4, 23, 0x3c000000
	s_delay_alu instid0(VALU_DEP_2) | instskip(NEXT) | instid1(VALU_DEP_3)
	v_and_b32_e32 v2, 0x700000, v2
	v_and_b32_e32 v3, 0x80000000, v3
	s_delay_alu instid0(VALU_DEP_1)
	v_or3_b32 v2, v2, v3, v4
	scratch_store_b64 off, v[2:3], s32 offset:348 ; 8-byte Folded Spill
.LBB372_336:                            ;   in Loop: Header=BB372_10 Depth=1
	s_wait_xcnt 0x0
	s_or_b32 exec_lo, exec_lo, s17
.LBB372_337:                            ;   in Loop: Header=BB372_10 Depth=1
	s_delay_alu instid0(SALU_CYCLE_1)
	s_or_b32 exec_lo, exec_lo, s16
.LBB372_338:                            ;   in Loop: Header=BB372_10 Depth=1
	s_delay_alu instid0(SALU_CYCLE_1)
	s_or_b32 exec_lo, exec_lo, s11
	v_mov_b32_e32 v4, 0
	v_lshrrev_b16 v2, 8, v0
	s_mov_b32 s11, exec_lo
	s_clause 0x1
	scratch_store_b64 off, v[4:5], s32 offset:356
	scratch_load_b64 v[4:5], off, s32 offset:348
	s_wait_loadcnt 0x0
	v_mov_b32_e32 v5, 0
	scratch_store_b64 off, v[4:5], s32 offset:348 ; 8-byte Folded Spill
	s_wait_xcnt 0x0
	v_cmpx_ne_u16_e32 0, v2
	s_cbranch_execz .LBB372_346
; %bb.339:                              ;   in Loop: Header=BB372_10 Depth=1
	scratch_load_b64 v[4:5], off, s32 offset:348 ; 8-byte Folded Reload
	s_wait_loadcnt 0x0
	v_bfrev_b32_e32 v5, 1
	s_mov_b32 s16, exec_lo
	scratch_store_b64 off, v[4:5], s32 offset:348 ; 8-byte Folded Spill
	s_wait_xcnt 0x0
	v_cmpx_ne_u16_e32 0x80, v2
	s_cbranch_execz .LBB372_345
; %bb.340:                              ;   in Loop: Header=BB372_10 Depth=1
	scratch_load_b64 v[4:5], off, s32 offset:348 ; 8-byte Folded Reload
	v_and_b32_e32 v3, 0xffff, v2
	s_wait_loadcnt 0x0
	v_mov_b32_e32 v5, 0x7f800001
	s_mov_b32 s17, exec_lo
	s_delay_alu instid0(VALU_DEP_2)
	v_and_b32_e32 v2, 0x7f, v3
	scratch_store_b64 off, v[4:5], s32 offset:348 ; 8-byte Folded Spill
	s_wait_xcnt 0x0
	v_cmpx_ne_u32_e32 0x7f, v2
	s_cbranch_execz .LBB372_344
; %bb.341:                              ;   in Loop: Header=BB372_10 Depth=1
	v_dual_lshrrev_b32 v4, 3, v2 :: v_dual_bitop2_b32 v16, 7, v3 bitop3:0x40
	v_cmp_gt_u32_e64 s1, 8, v2
	s_delay_alu instid0(VALU_DEP_2)
	v_mov_b64_e32 v[2:3], v[16:17]
	s_and_saveexec_b32 s18, s1
; %bb.342:                              ;   in Loop: Header=BB372_10 Depth=1
	v_clz_i32_u32_e32 v2, v16
	s_delay_alu instid0(VALU_DEP_1) | instskip(NEXT) | instid1(VALU_DEP_1)
	v_min_u32_e32 v4, 32, v2
	v_subrev_nc_u32_e32 v2, 28, v4
	s_delay_alu instid0(VALU_DEP_1) | instskip(NEXT) | instid1(VALU_DEP_1)
	v_lshlrev_b64_e32 v[2:3], v2, v[16:17]
	v_dual_sub_nc_u32 v4, 29, v4 :: v_dual_bitop2_b32 v2, 7, v2 bitop3:0x40
; %bb.343:                              ;   in Loop: Header=BB372_10 Depth=1
	s_or_b32 exec_lo, exec_lo, s18
	scratch_load_b64 v[6:7], off, s32 offset:348 ; 8-byte Folded Reload
	v_dual_lshlrev_b32 v3, 16, v0 :: v_dual_lshlrev_b32 v2, 20, v2
	v_lshl_add_u32 v4, v4, 23, 0x3c000000
	s_delay_alu instid0(VALU_DEP_2) | instskip(SKIP_1) | instid1(VALU_DEP_1)
	v_and_b32_e32 v3, 0x80000000, v3
	s_wait_loadcnt 0x0
	v_or3_b32 v7, v2, v3, v4
	scratch_store_b64 off, v[6:7], s32 offset:348 ; 8-byte Folded Spill
.LBB372_344:                            ;   in Loop: Header=BB372_10 Depth=1
	s_wait_xcnt 0x0
	s_or_b32 exec_lo, exec_lo, s17
.LBB372_345:                            ;   in Loop: Header=BB372_10 Depth=1
	s_delay_alu instid0(SALU_CYCLE_1)
	s_or_b32 exec_lo, exec_lo, s16
.LBB372_346:                            ;   in Loop: Header=BB372_10 Depth=1
	s_delay_alu instid0(SALU_CYCLE_1) | instskip(SKIP_2) | instid1(VALU_DEP_1)
	s_or_b32 exec_lo, exec_lo, s11
	v_lshrrev_b32_e32 v4, 16, v0
	s_mov_b32 s11, exec_lo
	v_and_b32_e32 v2, 0xff, v4
	s_delay_alu instid0(VALU_DEP_1)
	v_cmpx_ne_u16_e32 0, v2
	s_cbranch_execz .LBB372_354
; %bb.347:                              ;   in Loop: Header=BB372_10 Depth=1
	v_cmp_ne_u16_e64 s1, 0x80, v2
	v_bfrev_b32_e32 v2, 1
	scratch_store_b64 off, v[2:3], s32 offset:356 ; 8-byte Folded Spill
	s_wait_xcnt 0x0
	s_and_saveexec_b32 s16, s1
	s_cbranch_execz .LBB372_353
; %bb.348:                              ;   in Loop: Header=BB372_10 Depth=1
	v_bfe_u32 v2, v0, 16, 7
	v_mov_b32_e32 v6, 0x7f800001
	s_mov_b32 s17, exec_lo
	scratch_store_b64 off, v[6:7], s32 offset:356 ; 8-byte Folded Spill
	s_wait_xcnt 0x0
	v_cmpx_ne_u32_e32 0x7f, v2
	s_cbranch_execz .LBB372_352
; %bb.349:                              ;   in Loop: Header=BB372_10 Depth=1
	v_dual_lshrrev_b32 v5, 3, v2 :: v_dual_bitop2_b32 v16, 7, v4 bitop3:0x40
	v_cmp_gt_u32_e64 s1, 8, v2
	s_delay_alu instid0(VALU_DEP_2)
	v_mov_b64_e32 v[2:3], v[16:17]
	s_and_saveexec_b32 s18, s1
; %bb.350:                              ;   in Loop: Header=BB372_10 Depth=1
	v_clz_i32_u32_e32 v2, v16
	s_delay_alu instid0(VALU_DEP_1) | instskip(NEXT) | instid1(VALU_DEP_1)
	v_min_u32_e32 v5, 32, v2
	v_subrev_nc_u32_e32 v2, 28, v5
	s_delay_alu instid0(VALU_DEP_1) | instskip(NEXT) | instid1(VALU_DEP_1)
	v_lshlrev_b64_e32 v[2:3], v2, v[16:17]
	v_dual_sub_nc_u32 v5, 29, v5 :: v_dual_bitop2_b32 v2, 7, v2 bitop3:0x40
; %bb.351:                              ;   in Loop: Header=BB372_10 Depth=1
	s_or_b32 exec_lo, exec_lo, s18
	s_delay_alu instid0(VALU_DEP_1) | instskip(NEXT) | instid1(VALU_DEP_2)
	v_dual_lshlrev_b32 v3, 24, v4 :: v_dual_lshlrev_b32 v2, 20, v2
	v_lshl_add_u32 v4, v5, 23, 0x3c000000
	s_delay_alu instid0(VALU_DEP_2) | instskip(NEXT) | instid1(VALU_DEP_1)
	v_and_b32_e32 v3, 0x80000000, v3
	v_or3_b32 v2, v2, v3, v4
	scratch_store_b64 off, v[2:3], s32 offset:356 ; 8-byte Folded Spill
.LBB372_352:                            ;   in Loop: Header=BB372_10 Depth=1
	s_wait_xcnt 0x0
	s_or_b32 exec_lo, exec_lo, s17
.LBB372_353:                            ;   in Loop: Header=BB372_10 Depth=1
	s_delay_alu instid0(SALU_CYCLE_1)
	s_or_b32 exec_lo, exec_lo, s16
.LBB372_354:                            ;   in Loop: Header=BB372_10 Depth=1
	s_delay_alu instid0(SALU_CYCLE_1)
	s_or_b32 exec_lo, exec_lo, s11
	v_mov_b32_e32 v2, 0
	s_mov_b32 s11, exec_lo
	s_clause 0x1
	scratch_store_b64 off, v[2:3], s32 offset:364
	scratch_load_b64 v[2:3], off, s32 offset:356
	s_wait_loadcnt 0x0
	v_mov_b32_e32 v3, 0
	scratch_store_b64 off, v[2:3], s32 offset:356 ; 8-byte Folded Spill
	s_wait_xcnt 0x0
	v_cmpx_lt_u32_e32 0xffffff, v0
	s_cbranch_execz .LBB372_362
; %bb.355:                              ;   in Loop: Header=BB372_10 Depth=1
	scratch_load_b64 v[2:3], off, s32 offset:356 ; 8-byte Folded Reload
	v_lshrrev_b32_e32 v4, 24, v0
	s_wait_loadcnt 0x0
	v_bfrev_b32_e32 v3, 1
	s_mov_b32 s16, exec_lo
	scratch_store_b64 off, v[2:3], s32 offset:356 ; 8-byte Folded Spill
	s_wait_xcnt 0x0
	v_cmpx_ne_u32_e32 0x80, v4
	s_cbranch_execz .LBB372_361
; %bb.356:                              ;   in Loop: Header=BB372_10 Depth=1
	scratch_load_b64 v[6:7], off, s32 offset:356 ; 8-byte Folded Reload
	v_bfe_u32 v2, v0, 24, 7
	s_wait_loadcnt 0x0
	v_mov_b32_e32 v7, 0x7f800001
	s_mov_b32 s17, exec_lo
	scratch_store_b64 off, v[6:7], s32 offset:356 ; 8-byte Folded Spill
	s_wait_xcnt 0x0
	v_cmpx_ne_u32_e32 0x7f, v2
	s_cbranch_execz .LBB372_360
; %bb.357:                              ;   in Loop: Header=BB372_10 Depth=1
	v_dual_lshrrev_b32 v5, 3, v2 :: v_dual_bitop2_b32 v16, 7, v4 bitop3:0x40
	v_cmp_gt_u32_e64 s1, 8, v2
	s_delay_alu instid0(VALU_DEP_2)
	v_mov_b64_e32 v[2:3], v[16:17]
	s_and_saveexec_b32 s18, s1
; %bb.358:                              ;   in Loop: Header=BB372_10 Depth=1
	v_clz_i32_u32_e32 v2, v16
	s_delay_alu instid0(VALU_DEP_1) | instskip(NEXT) | instid1(VALU_DEP_1)
	v_min_u32_e32 v5, 32, v2
	v_subrev_nc_u32_e32 v2, 28, v5
	s_delay_alu instid0(VALU_DEP_1) | instskip(NEXT) | instid1(VALU_DEP_1)
	v_lshlrev_b64_e32 v[2:3], v2, v[16:17]
	v_dual_sub_nc_u32 v5, 29, v5 :: v_dual_bitop2_b32 v2, 7, v2 bitop3:0x40
; %bb.359:                              ;   in Loop: Header=BB372_10 Depth=1
	s_or_b32 exec_lo, exec_lo, s18
	scratch_load_b64 v[6:7], off, s32 offset:356 ; 8-byte Folded Reload
	v_dual_lshlrev_b32 v3, 24, v4 :: v_dual_lshlrev_b32 v2, 20, v2
	v_lshl_add_u32 v4, v5, 23, 0x3c000000
	s_delay_alu instid0(VALU_DEP_2) | instskip(SKIP_1) | instid1(VALU_DEP_1)
	v_and_b32_e32 v3, 0x80000000, v3
	s_wait_loadcnt 0x0
	v_or3_b32 v7, v2, v3, v4
	scratch_store_b64 off, v[6:7], s32 offset:356 ; 8-byte Folded Spill
.LBB372_360:                            ;   in Loop: Header=BB372_10 Depth=1
	s_wait_xcnt 0x0
	s_or_b32 exec_lo, exec_lo, s17
.LBB372_361:                            ;   in Loop: Header=BB372_10 Depth=1
	s_delay_alu instid0(SALU_CYCLE_1)
	s_or_b32 exec_lo, exec_lo, s16
.LBB372_362:                            ;   in Loop: Header=BB372_10 Depth=1
	s_delay_alu instid0(SALU_CYCLE_1) | instskip(SKIP_3) | instid1(VALU_DEP_2)
	s_or_b32 exec_lo, exec_lo, s11
	v_and_b32_e32 v2, 0xff, v1
	v_mov_b32_e32 v16, v1
	s_mov_b32 s11, exec_lo
	v_cmpx_ne_u16_e32 0, v2
	s_cbranch_execz .LBB372_370
; %bb.363:                              ;   in Loop: Header=BB372_10 Depth=1
	v_cmp_ne_u16_e64 s1, 0x80, v2
	v_bfrev_b32_e32 v2, 1
	scratch_store_b64 off, v[2:3], s32 offset:364 ; 8-byte Folded Spill
	s_wait_xcnt 0x0
	s_and_saveexec_b32 s16, s1
	s_cbranch_execz .LBB372_369
; %bb.364:                              ;   in Loop: Header=BB372_10 Depth=1
	v_and_b32_e32 v2, 0x7f, v1
	v_mov_b32_e32 v4, 0x7f800001
	s_mov_b32 s17, exec_lo
	scratch_store_b64 off, v[4:5], s32 offset:364 ; 8-byte Folded Spill
	s_wait_xcnt 0x0
	v_cmpx_ne_u32_e32 0x7f, v2
	s_cbranch_execz .LBB372_368
; %bb.365:                              ;   in Loop: Header=BB372_10 Depth=1
	v_lshrrev_b32_e32 v4, 3, v2
	v_cmp_gt_u32_e64 s1, 8, v2
	v_mov_b64_e32 v[2:3], v[16:17]
	s_and_saveexec_b32 s18, s1
; %bb.366:                              ;   in Loop: Header=BB372_10 Depth=1
	v_and_b32_e32 v2, 7, v1
	s_delay_alu instid0(VALU_DEP_1) | instskip(NEXT) | instid1(VALU_DEP_1)
	v_clz_i32_u32_e32 v2, v2
	v_min_u32_e32 v4, 32, v2
	s_delay_alu instid0(VALU_DEP_1) | instskip(SKIP_1) | instid1(VALU_DEP_2)
	v_subrev_nc_u32_e32 v2, 28, v4
	v_sub_nc_u32_e32 v4, 29, v4
	v_lshlrev_b64_e32 v[2:3], v2, v[16:17]
; %bb.367:                              ;   in Loop: Header=BB372_10 Depth=1
	s_or_b32 exec_lo, exec_lo, s18
	s_delay_alu instid0(VALU_DEP_1) | instskip(NEXT) | instid1(VALU_DEP_3)
	v_dual_lshlrev_b32 v2, 20, v2 :: v_dual_lshlrev_b32 v3, 24, v16
	v_lshl_add_u32 v4, v4, 23, 0x3c000000
	s_delay_alu instid0(VALU_DEP_2) | instskip(NEXT) | instid1(VALU_DEP_3)
	v_and_b32_e32 v2, 0x700000, v2
	v_and_b32_e32 v3, 0x80000000, v3
	s_delay_alu instid0(VALU_DEP_1)
	v_or3_b32 v2, v2, v3, v4
	scratch_store_b64 off, v[2:3], s32 offset:364 ; 8-byte Folded Spill
.LBB372_368:                            ;   in Loop: Header=BB372_10 Depth=1
	s_wait_xcnt 0x0
	s_or_b32 exec_lo, exec_lo, s17
.LBB372_369:                            ;   in Loop: Header=BB372_10 Depth=1
	s_delay_alu instid0(SALU_CYCLE_1)
	s_or_b32 exec_lo, exec_lo, s16
.LBB372_370:                            ;   in Loop: Header=BB372_10 Depth=1
	s_delay_alu instid0(SALU_CYCLE_1)
	s_or_b32 exec_lo, exec_lo, s11
	v_mov_b32_e32 v4, 0
	v_lshrrev_b16 v2, 8, v16
	s_mov_b32 s11, exec_lo
	s_clause 0x1
	scratch_store_b64 off, v[4:5], s32 offset:372
	scratch_load_b64 v[4:5], off, s32 offset:364
	s_wait_loadcnt 0x0
	v_mov_b32_e32 v5, 0
	scratch_store_b64 off, v[4:5], s32 offset:364 ; 8-byte Folded Spill
	s_wait_xcnt 0x0
	v_cmpx_ne_u16_e32 0, v2
	s_cbranch_execz .LBB372_378
; %bb.371:                              ;   in Loop: Header=BB372_10 Depth=1
	scratch_load_b64 v[4:5], off, s32 offset:364 ; 8-byte Folded Reload
	s_wait_loadcnt 0x0
	v_bfrev_b32_e32 v5, 1
	s_mov_b32 s16, exec_lo
	scratch_store_b64 off, v[4:5], s32 offset:364 ; 8-byte Folded Spill
	s_wait_xcnt 0x0
	v_cmpx_ne_u16_e32 0x80, v2
	s_cbranch_execz .LBB372_377
; %bb.372:                              ;   in Loop: Header=BB372_10 Depth=1
	scratch_load_b64 v[6:7], off, s32 offset:364 ; 8-byte Folded Reload
	v_and_b32_e32 v2, 0xffff, v2
	s_wait_loadcnt 0x0
	v_mov_b32_e32 v7, 0x7f800001
	s_mov_b32 s17, exec_lo
	s_delay_alu instid0(VALU_DEP_2)
	v_and_b32_e32 v5, 0x7f, v2
	scratch_store_b64 off, v[6:7], s32 offset:364 ; 8-byte Folded Spill
	s_wait_xcnt 0x0
	v_cmpx_ne_u32_e32 0x7f, v5
	s_cbranch_execz .LBB372_376
; %bb.373:                              ;   in Loop: Header=BB372_10 Depth=1
	v_dual_mov_b32 v3, v17 :: v_dual_bitop2_b32 v2, 7, v2 bitop3:0x40
	v_lshrrev_b32_e32 v4, 3, v5
	s_mov_b32 s18, exec_lo
	v_cmpx_gt_u32_e32 8, v5
; %bb.374:                              ;   in Loop: Header=BB372_10 Depth=1
	s_delay_alu instid0(VALU_DEP_3) | instskip(NEXT) | instid1(VALU_DEP_1)
	v_clz_i32_u32_e32 v4, v2
	v_min_u32_e32 v4, 32, v4
	s_delay_alu instid0(VALU_DEP_1) | instskip(NEXT) | instid1(VALU_DEP_1)
	v_subrev_nc_u32_e32 v5, 28, v4
	v_lshlrev_b64_e32 v[2:3], v5, v[2:3]
	s_delay_alu instid0(VALU_DEP_1)
	v_dual_sub_nc_u32 v4, 29, v4 :: v_dual_bitop2_b32 v2, 7, v2 bitop3:0x40
; %bb.375:                              ;   in Loop: Header=BB372_10 Depth=1
	s_or_b32 exec_lo, exec_lo, s18
	scratch_load_b64 v[6:7], off, s32 offset:364 ; 8-byte Folded Reload
	v_dual_lshlrev_b32 v3, 16, v16 :: v_dual_lshlrev_b32 v2, 20, v2
	v_lshl_add_u32 v4, v4, 23, 0x3c000000
	s_delay_alu instid0(VALU_DEP_2) | instskip(SKIP_1) | instid1(VALU_DEP_1)
	v_and_b32_e32 v3, 0x80000000, v3
	s_wait_loadcnt 0x0
	v_or3_b32 v7, v2, v3, v4
	scratch_store_b64 off, v[6:7], s32 offset:364 ; 8-byte Folded Spill
.LBB372_376:                            ;   in Loop: Header=BB372_10 Depth=1
	s_wait_xcnt 0x0
	s_or_b32 exec_lo, exec_lo, s17
.LBB372_377:                            ;   in Loop: Header=BB372_10 Depth=1
	s_delay_alu instid0(SALU_CYCLE_1)
	s_or_b32 exec_lo, exec_lo, s16
.LBB372_378:                            ;   in Loop: Header=BB372_10 Depth=1
	s_delay_alu instid0(SALU_CYCLE_1) | instskip(SKIP_2) | instid1(VALU_DEP_1)
	s_or_b32 exec_lo, exec_lo, s11
	v_lshrrev_b32_e32 v4, 16, v1
	s_mov_b32 s11, exec_lo
	v_and_b32_e32 v2, 0xff, v4
	s_delay_alu instid0(VALU_DEP_1)
	v_cmpx_ne_u16_e32 0, v2
	s_cbranch_execz .LBB372_386
; %bb.379:                              ;   in Loop: Header=BB372_10 Depth=1
	v_cmp_ne_u16_e64 s1, 0x80, v2
	v_bfrev_b32_e32 v2, 1
	scratch_store_b64 off, v[2:3], s32 offset:372 ; 8-byte Folded Spill
	s_wait_xcnt 0x0
	s_and_saveexec_b32 s16, s1
	s_cbranch_execz .LBB372_385
; %bb.380:                              ;   in Loop: Header=BB372_10 Depth=1
	v_bfe_u32 v2, v1, 16, 7
	v_mov_b32_e32 v6, 0x7f800001
	s_mov_b32 s17, exec_lo
	scratch_store_b64 off, v[6:7], s32 offset:372 ; 8-byte Folded Spill
	s_wait_xcnt 0x0
	v_cmpx_ne_u32_e32 0x7f, v2
	s_cbranch_execz .LBB372_384
; %bb.381:                              ;   in Loop: Header=BB372_10 Depth=1
	v_dual_lshrrev_b32 v5, 3, v2 :: v_dual_bitop2_b32 v16, 7, v4 bitop3:0x40
	v_cmp_gt_u32_e64 s1, 8, v2
	s_delay_alu instid0(VALU_DEP_2)
	v_mov_b64_e32 v[2:3], v[16:17]
	s_and_saveexec_b32 s18, s1
; %bb.382:                              ;   in Loop: Header=BB372_10 Depth=1
	v_clz_i32_u32_e32 v2, v16
	s_delay_alu instid0(VALU_DEP_1) | instskip(NEXT) | instid1(VALU_DEP_1)
	v_min_u32_e32 v5, 32, v2
	v_subrev_nc_u32_e32 v2, 28, v5
	s_delay_alu instid0(VALU_DEP_1) | instskip(NEXT) | instid1(VALU_DEP_1)
	v_lshlrev_b64_e32 v[2:3], v2, v[16:17]
	v_dual_sub_nc_u32 v5, 29, v5 :: v_dual_bitop2_b32 v2, 7, v2 bitop3:0x40
; %bb.383:                              ;   in Loop: Header=BB372_10 Depth=1
	s_or_b32 exec_lo, exec_lo, s18
	s_delay_alu instid0(VALU_DEP_1) | instskip(NEXT) | instid1(VALU_DEP_2)
	v_dual_lshlrev_b32 v3, 24, v4 :: v_dual_lshlrev_b32 v2, 20, v2
	v_lshl_add_u32 v4, v5, 23, 0x3c000000
	s_delay_alu instid0(VALU_DEP_2) | instskip(NEXT) | instid1(VALU_DEP_1)
	v_and_b32_e32 v3, 0x80000000, v3
	v_or3_b32 v2, v2, v3, v4
	scratch_store_b64 off, v[2:3], s32 offset:372 ; 8-byte Folded Spill
.LBB372_384:                            ;   in Loop: Header=BB372_10 Depth=1
	s_wait_xcnt 0x0
	s_or_b32 exec_lo, exec_lo, s17
.LBB372_385:                            ;   in Loop: Header=BB372_10 Depth=1
	s_delay_alu instid0(SALU_CYCLE_1)
	s_or_b32 exec_lo, exec_lo, s16
.LBB372_386:                            ;   in Loop: Header=BB372_10 Depth=1
	s_delay_alu instid0(SALU_CYCLE_1)
	s_or_b32 exec_lo, exec_lo, s11
	scratch_load_b64 v[2:3], off, s32 offset:372 ; 8-byte Folded Reload
	v_cmp_lt_u64_e64 s1, s[2:3], v[0:1]
	s_wait_loadcnt 0x0
	v_dual_mov_b32 v0, 0 :: v_dual_mov_b32 v3, 0
	s_clause 0x1
	scratch_store_b64 off, v[0:1], s32 offset:380
	scratch_store_b64 off, v[2:3], s32 offset:372
	s_wait_xcnt 0x0
	s_and_saveexec_b32 s11, s1
	s_cbranch_execz .LBB372_394
; %bb.387:                              ;   in Loop: Header=BB372_10 Depth=1
	scratch_load_b64 v[4:5], off, s32 offset:372 ; 8-byte Folded Reload
	v_lshrrev_b32_e32 v2, 24, v1
	s_wait_loadcnt 0x0
	v_bfrev_b32_e32 v5, 1
	s_mov_b32 s16, exec_lo
	scratch_store_b64 off, v[4:5], s32 offset:372 ; 8-byte Folded Spill
	s_wait_xcnt 0x0
	v_cmpx_ne_u32_e32 0x80, v2
	s_cbranch_execz .LBB372_393
; %bb.388:                              ;   in Loop: Header=BB372_10 Depth=1
	scratch_load_b64 v[4:5], off, s32 offset:372 ; 8-byte Folded Reload
	v_bfe_u32 v0, v1, 24, 7
	s_wait_loadcnt 0x0
	v_mov_b32_e32 v5, 0x7f800001
	s_mov_b32 s17, exec_lo
	scratch_store_b64 off, v[4:5], s32 offset:372 ; 8-byte Folded Spill
	s_wait_xcnt 0x0
	v_cmpx_ne_u32_e32 0x7f, v0
	s_cbranch_execz .LBB372_392
; %bb.389:                              ;   in Loop: Header=BB372_10 Depth=1
	v_dual_lshrrev_b32 v3, 3, v0 :: v_dual_bitop2_b32 v16, 7, v2 bitop3:0x40
	v_cmp_gt_u32_e64 s1, 8, v0
	s_delay_alu instid0(VALU_DEP_2)
	v_mov_b64_e32 v[0:1], v[16:17]
	s_and_saveexec_b32 s18, s1
; %bb.390:                              ;   in Loop: Header=BB372_10 Depth=1
	v_clz_i32_u32_e32 v0, v16
	s_delay_alu instid0(VALU_DEP_1) | instskip(NEXT) | instid1(VALU_DEP_1)
	v_min_u32_e32 v3, 32, v0
	v_subrev_nc_u32_e32 v0, 28, v3
	s_delay_alu instid0(VALU_DEP_1) | instskip(NEXT) | instid1(VALU_DEP_1)
	v_lshlrev_b64_e32 v[0:1], v0, v[16:17]
	v_dual_sub_nc_u32 v3, 29, v3 :: v_dual_bitop2_b32 v0, 7, v0 bitop3:0x40
; %bb.391:                              ;   in Loop: Header=BB372_10 Depth=1
	s_or_b32 exec_lo, exec_lo, s18
	scratch_load_b64 v[4:5], off, s32 offset:372 ; 8-byte Folded Reload
	v_dual_lshlrev_b32 v1, 24, v2 :: v_dual_lshlrev_b32 v0, 20, v0
	v_lshl_add_u32 v2, v3, 23, 0x3c000000
	s_delay_alu instid0(VALU_DEP_2) | instskip(SKIP_1) | instid1(VALU_DEP_1)
	v_and_b32_e32 v1, 0x80000000, v1
	s_wait_loadcnt 0x0
	v_or3_b32 v5, v0, v1, v2
	scratch_store_b64 off, v[4:5], s32 offset:372 ; 8-byte Folded Spill
.LBB372_392:                            ;   in Loop: Header=BB372_10 Depth=1
	s_wait_xcnt 0x0
	s_or_b32 exec_lo, exec_lo, s17
.LBB372_393:                            ;   in Loop: Header=BB372_10 Depth=1
	s_delay_alu instid0(SALU_CYCLE_1)
	s_or_b32 exec_lo, exec_lo, s16
.LBB372_394:                            ;   in Loop: Header=BB372_10 Depth=1
	s_delay_alu instid0(SALU_CYCLE_1)
	s_or_b32 exec_lo, exec_lo, s11
	flat_load_b64 v[0:1], v[96:97] offset:1536
	s_mov_b32 s11, exec_lo
	s_wait_loadcnt_dscnt 0x0
	v_and_b32_e32 v2, 0xff, v0
	s_wait_xcnt 0x0
	s_delay_alu instid0(VALU_DEP_1)
	v_cmpx_ne_u16_e32 0, v2
	s_cbranch_execz .LBB372_402
; %bb.395:                              ;   in Loop: Header=BB372_10 Depth=1
	v_cmp_ne_u16_e64 s1, 0x80, v2
	v_bfrev_b32_e32 v2, 1
	scratch_store_b64 off, v[2:3], s32 offset:380 ; 8-byte Folded Spill
	s_wait_xcnt 0x0
	s_and_saveexec_b32 s16, s1
	s_cbranch_execz .LBB372_401
; %bb.396:                              ;   in Loop: Header=BB372_10 Depth=1
	v_and_b32_e32 v2, 0x7f, v0
	v_mov_b32_e32 v4, 0x7f800001
	s_mov_b32 s17, exec_lo
	scratch_store_b64 off, v[4:5], s32 offset:380 ; 8-byte Folded Spill
	s_wait_xcnt 0x0
	v_cmpx_ne_u32_e32 0x7f, v2
	s_cbranch_execz .LBB372_400
; %bb.397:                              ;   in Loop: Header=BB372_10 Depth=1
	v_lshrrev_b32_e32 v4, 3, v2
	v_cmp_gt_u32_e64 s1, 8, v2
	v_mov_b64_e32 v[2:3], v[0:1]
	s_and_saveexec_b32 s18, s1
; %bb.398:                              ;   in Loop: Header=BB372_10 Depth=1
	v_and_b32_e32 v2, 7, v0
	s_delay_alu instid0(VALU_DEP_1) | instskip(NEXT) | instid1(VALU_DEP_1)
	v_clz_i32_u32_e32 v2, v2
	v_min_u32_e32 v4, 32, v2
	s_delay_alu instid0(VALU_DEP_1) | instskip(SKIP_1) | instid1(VALU_DEP_2)
	v_subrev_nc_u32_e32 v2, 28, v4
	v_sub_nc_u32_e32 v4, 29, v4
	v_lshlrev_b64_e32 v[2:3], v2, v[0:1]
; %bb.399:                              ;   in Loop: Header=BB372_10 Depth=1
	s_or_b32 exec_lo, exec_lo, s18
	s_delay_alu instid0(VALU_DEP_1) | instskip(NEXT) | instid1(VALU_DEP_3)
	v_dual_lshlrev_b32 v2, 20, v2 :: v_dual_lshlrev_b32 v3, 24, v0
	v_lshl_add_u32 v4, v4, 23, 0x3c000000
	s_delay_alu instid0(VALU_DEP_2) | instskip(NEXT) | instid1(VALU_DEP_3)
	v_and_b32_e32 v2, 0x700000, v2
	v_and_b32_e32 v3, 0x80000000, v3
	s_delay_alu instid0(VALU_DEP_1)
	v_or3_b32 v2, v2, v3, v4
	scratch_store_b64 off, v[2:3], s32 offset:380 ; 8-byte Folded Spill
.LBB372_400:                            ;   in Loop: Header=BB372_10 Depth=1
	s_wait_xcnt 0x0
	s_or_b32 exec_lo, exec_lo, s17
.LBB372_401:                            ;   in Loop: Header=BB372_10 Depth=1
	s_delay_alu instid0(SALU_CYCLE_1)
	s_or_b32 exec_lo, exec_lo, s16
.LBB372_402:                            ;   in Loop: Header=BB372_10 Depth=1
	s_delay_alu instid0(SALU_CYCLE_1)
	s_or_b32 exec_lo, exec_lo, s11
	v_mov_b32_e32 v4, 0
	v_lshrrev_b16 v2, 8, v0
	s_mov_b32 s11, exec_lo
	s_clause 0x1
	scratch_store_b64 off, v[4:5], s32 offset:388
	scratch_load_b64 v[4:5], off, s32 offset:380
	s_wait_loadcnt 0x0
	v_mov_b32_e32 v5, 0
	scratch_store_b64 off, v[4:5], s32 offset:380 ; 8-byte Folded Spill
	s_wait_xcnt 0x0
	v_cmpx_ne_u16_e32 0, v2
	s_cbranch_execz .LBB372_410
; %bb.403:                              ;   in Loop: Header=BB372_10 Depth=1
	scratch_load_b64 v[4:5], off, s32 offset:380 ; 8-byte Folded Reload
	s_wait_loadcnt 0x0
	v_bfrev_b32_e32 v5, 1
	s_mov_b32 s16, exec_lo
	scratch_store_b64 off, v[4:5], s32 offset:380 ; 8-byte Folded Spill
	s_wait_xcnt 0x0
	v_cmpx_ne_u16_e32 0x80, v2
	s_cbranch_execz .LBB372_409
; %bb.404:                              ;   in Loop: Header=BB372_10 Depth=1
	scratch_load_b64 v[4:5], off, s32 offset:380 ; 8-byte Folded Reload
	v_and_b32_e32 v3, 0xffff, v2
	s_wait_loadcnt 0x0
	v_mov_b32_e32 v5, 0x7f800001
	s_mov_b32 s17, exec_lo
	s_delay_alu instid0(VALU_DEP_2)
	v_and_b32_e32 v2, 0x7f, v3
	scratch_store_b64 off, v[4:5], s32 offset:380 ; 8-byte Folded Spill
	s_wait_xcnt 0x0
	v_cmpx_ne_u32_e32 0x7f, v2
	s_cbranch_execz .LBB372_408
; %bb.405:                              ;   in Loop: Header=BB372_10 Depth=1
	v_dual_lshrrev_b32 v4, 3, v2 :: v_dual_bitop2_b32 v16, 7, v3 bitop3:0x40
	v_cmp_gt_u32_e64 s1, 8, v2
	s_delay_alu instid0(VALU_DEP_2)
	v_mov_b64_e32 v[2:3], v[16:17]
	s_and_saveexec_b32 s18, s1
; %bb.406:                              ;   in Loop: Header=BB372_10 Depth=1
	v_clz_i32_u32_e32 v2, v16
	s_delay_alu instid0(VALU_DEP_1) | instskip(NEXT) | instid1(VALU_DEP_1)
	v_min_u32_e32 v4, 32, v2
	v_subrev_nc_u32_e32 v2, 28, v4
	s_delay_alu instid0(VALU_DEP_1) | instskip(NEXT) | instid1(VALU_DEP_1)
	v_lshlrev_b64_e32 v[2:3], v2, v[16:17]
	v_dual_sub_nc_u32 v4, 29, v4 :: v_dual_bitop2_b32 v2, 7, v2 bitop3:0x40
; %bb.407:                              ;   in Loop: Header=BB372_10 Depth=1
	s_or_b32 exec_lo, exec_lo, s18
	scratch_load_b64 v[6:7], off, s32 offset:380 ; 8-byte Folded Reload
	v_dual_lshlrev_b32 v3, 16, v0 :: v_dual_lshlrev_b32 v2, 20, v2
	v_lshl_add_u32 v4, v4, 23, 0x3c000000
	s_delay_alu instid0(VALU_DEP_2) | instskip(SKIP_1) | instid1(VALU_DEP_1)
	v_and_b32_e32 v3, 0x80000000, v3
	s_wait_loadcnt 0x0
	v_or3_b32 v7, v2, v3, v4
	scratch_store_b64 off, v[6:7], s32 offset:380 ; 8-byte Folded Spill
.LBB372_408:                            ;   in Loop: Header=BB372_10 Depth=1
	s_wait_xcnt 0x0
	s_or_b32 exec_lo, exec_lo, s17
.LBB372_409:                            ;   in Loop: Header=BB372_10 Depth=1
	s_delay_alu instid0(SALU_CYCLE_1)
	s_or_b32 exec_lo, exec_lo, s16
.LBB372_410:                            ;   in Loop: Header=BB372_10 Depth=1
	s_delay_alu instid0(SALU_CYCLE_1) | instskip(SKIP_2) | instid1(VALU_DEP_1)
	s_or_b32 exec_lo, exec_lo, s11
	v_lshrrev_b32_e32 v4, 16, v0
	s_mov_b32 s11, exec_lo
	v_and_b32_e32 v2, 0xff, v4
	s_delay_alu instid0(VALU_DEP_1)
	v_cmpx_ne_u16_e32 0, v2
	s_cbranch_execz .LBB372_418
; %bb.411:                              ;   in Loop: Header=BB372_10 Depth=1
	v_cmp_ne_u16_e64 s1, 0x80, v2
	v_bfrev_b32_e32 v2, 1
	scratch_store_b64 off, v[2:3], s32 offset:388 ; 8-byte Folded Spill
	s_wait_xcnt 0x0
	s_and_saveexec_b32 s16, s1
	s_cbranch_execz .LBB372_417
; %bb.412:                              ;   in Loop: Header=BB372_10 Depth=1
	v_bfe_u32 v2, v0, 16, 7
	v_mov_b32_e32 v6, 0x7f800001
	s_mov_b32 s17, exec_lo
	scratch_store_b64 off, v[6:7], s32 offset:388 ; 8-byte Folded Spill
	s_wait_xcnt 0x0
	v_cmpx_ne_u32_e32 0x7f, v2
	s_cbranch_execz .LBB372_416
; %bb.413:                              ;   in Loop: Header=BB372_10 Depth=1
	v_dual_lshrrev_b32 v5, 3, v2 :: v_dual_bitop2_b32 v16, 7, v4 bitop3:0x40
	v_cmp_gt_u32_e64 s1, 8, v2
	s_delay_alu instid0(VALU_DEP_2)
	v_mov_b64_e32 v[2:3], v[16:17]
	s_and_saveexec_b32 s18, s1
; %bb.414:                              ;   in Loop: Header=BB372_10 Depth=1
	v_clz_i32_u32_e32 v2, v16
	s_delay_alu instid0(VALU_DEP_1) | instskip(NEXT) | instid1(VALU_DEP_1)
	v_min_u32_e32 v5, 32, v2
	v_subrev_nc_u32_e32 v2, 28, v5
	s_delay_alu instid0(VALU_DEP_1) | instskip(NEXT) | instid1(VALU_DEP_1)
	v_lshlrev_b64_e32 v[2:3], v2, v[16:17]
	v_dual_sub_nc_u32 v5, 29, v5 :: v_dual_bitop2_b32 v2, 7, v2 bitop3:0x40
; %bb.415:                              ;   in Loop: Header=BB372_10 Depth=1
	s_or_b32 exec_lo, exec_lo, s18
	s_delay_alu instid0(VALU_DEP_1) | instskip(NEXT) | instid1(VALU_DEP_2)
	v_dual_lshlrev_b32 v3, 24, v4 :: v_dual_lshlrev_b32 v2, 20, v2
	v_lshl_add_u32 v4, v5, 23, 0x3c000000
	s_delay_alu instid0(VALU_DEP_2) | instskip(NEXT) | instid1(VALU_DEP_1)
	v_and_b32_e32 v3, 0x80000000, v3
	v_or3_b32 v2, v2, v3, v4
	scratch_store_b64 off, v[2:3], s32 offset:388 ; 8-byte Folded Spill
.LBB372_416:                            ;   in Loop: Header=BB372_10 Depth=1
	s_wait_xcnt 0x0
	s_or_b32 exec_lo, exec_lo, s17
.LBB372_417:                            ;   in Loop: Header=BB372_10 Depth=1
	s_delay_alu instid0(SALU_CYCLE_1)
	s_or_b32 exec_lo, exec_lo, s16
.LBB372_418:                            ;   in Loop: Header=BB372_10 Depth=1
	s_delay_alu instid0(SALU_CYCLE_1)
	s_or_b32 exec_lo, exec_lo, s11
	v_mov_b32_e32 v2, 0
	s_mov_b32 s11, exec_lo
	s_clause 0x1
	scratch_store_b64 off, v[2:3], s32 offset:396
	scratch_load_b64 v[2:3], off, s32 offset:388
	s_wait_loadcnt 0x0
	v_mov_b32_e32 v3, 0
	scratch_store_b64 off, v[2:3], s32 offset:388 ; 8-byte Folded Spill
	s_wait_xcnt 0x0
	v_cmpx_lt_u32_e32 0xffffff, v0
	s_cbranch_execz .LBB372_426
; %bb.419:                              ;   in Loop: Header=BB372_10 Depth=1
	scratch_load_b64 v[2:3], off, s32 offset:388 ; 8-byte Folded Reload
	v_lshrrev_b32_e32 v4, 24, v0
	s_wait_loadcnt 0x0
	v_bfrev_b32_e32 v3, 1
	s_mov_b32 s16, exec_lo
	scratch_store_b64 off, v[2:3], s32 offset:388 ; 8-byte Folded Spill
	s_wait_xcnt 0x0
	v_cmpx_ne_u32_e32 0x80, v4
	s_cbranch_execz .LBB372_425
; %bb.420:                              ;   in Loop: Header=BB372_10 Depth=1
	scratch_load_b64 v[6:7], off, s32 offset:388 ; 8-byte Folded Reload
	v_bfe_u32 v2, v0, 24, 7
	s_wait_loadcnt 0x0
	v_mov_b32_e32 v7, 0x7f800001
	s_mov_b32 s17, exec_lo
	scratch_store_b64 off, v[6:7], s32 offset:388 ; 8-byte Folded Spill
	s_wait_xcnt 0x0
	v_cmpx_ne_u32_e32 0x7f, v2
	s_cbranch_execz .LBB372_424
; %bb.421:                              ;   in Loop: Header=BB372_10 Depth=1
	v_dual_lshrrev_b32 v5, 3, v2 :: v_dual_bitop2_b32 v16, 7, v4 bitop3:0x40
	v_cmp_gt_u32_e64 s1, 8, v2
	s_delay_alu instid0(VALU_DEP_2)
	v_mov_b64_e32 v[2:3], v[16:17]
	s_and_saveexec_b32 s18, s1
; %bb.422:                              ;   in Loop: Header=BB372_10 Depth=1
	v_clz_i32_u32_e32 v2, v16
	s_delay_alu instid0(VALU_DEP_1) | instskip(NEXT) | instid1(VALU_DEP_1)
	v_min_u32_e32 v5, 32, v2
	v_subrev_nc_u32_e32 v2, 28, v5
	s_delay_alu instid0(VALU_DEP_1) | instskip(NEXT) | instid1(VALU_DEP_1)
	v_lshlrev_b64_e32 v[2:3], v2, v[16:17]
	v_dual_sub_nc_u32 v5, 29, v5 :: v_dual_bitop2_b32 v2, 7, v2 bitop3:0x40
; %bb.423:                              ;   in Loop: Header=BB372_10 Depth=1
	s_or_b32 exec_lo, exec_lo, s18
	scratch_load_b64 v[6:7], off, s32 offset:388 ; 8-byte Folded Reload
	v_dual_lshlrev_b32 v3, 24, v4 :: v_dual_lshlrev_b32 v2, 20, v2
	v_lshl_add_u32 v4, v5, 23, 0x3c000000
	s_delay_alu instid0(VALU_DEP_2) | instskip(SKIP_1) | instid1(VALU_DEP_1)
	v_and_b32_e32 v3, 0x80000000, v3
	s_wait_loadcnt 0x0
	v_or3_b32 v7, v2, v3, v4
	scratch_store_b64 off, v[6:7], s32 offset:388 ; 8-byte Folded Spill
.LBB372_424:                            ;   in Loop: Header=BB372_10 Depth=1
	s_wait_xcnt 0x0
	s_or_b32 exec_lo, exec_lo, s17
.LBB372_425:                            ;   in Loop: Header=BB372_10 Depth=1
	s_delay_alu instid0(SALU_CYCLE_1)
	s_or_b32 exec_lo, exec_lo, s16
.LBB372_426:                            ;   in Loop: Header=BB372_10 Depth=1
	s_delay_alu instid0(SALU_CYCLE_1) | instskip(SKIP_3) | instid1(VALU_DEP_2)
	s_or_b32 exec_lo, exec_lo, s11
	v_and_b32_e32 v2, 0xff, v1
	v_mov_b32_e32 v16, v1
	s_mov_b32 s11, exec_lo
	v_cmpx_ne_u16_e32 0, v2
	s_cbranch_execz .LBB372_434
; %bb.427:                              ;   in Loop: Header=BB372_10 Depth=1
	v_cmp_ne_u16_e64 s1, 0x80, v2
	v_bfrev_b32_e32 v2, 1
	scratch_store_b64 off, v[2:3], s32 offset:396 ; 8-byte Folded Spill
	s_wait_xcnt 0x0
	s_and_saveexec_b32 s16, s1
	s_cbranch_execz .LBB372_433
; %bb.428:                              ;   in Loop: Header=BB372_10 Depth=1
	v_and_b32_e32 v2, 0x7f, v1
	v_mov_b32_e32 v4, 0x7f800001
	s_mov_b32 s17, exec_lo
	scratch_store_b64 off, v[4:5], s32 offset:396 ; 8-byte Folded Spill
	s_wait_xcnt 0x0
	v_cmpx_ne_u32_e32 0x7f, v2
	s_cbranch_execz .LBB372_432
; %bb.429:                              ;   in Loop: Header=BB372_10 Depth=1
	v_lshrrev_b32_e32 v4, 3, v2
	v_cmp_gt_u32_e64 s1, 8, v2
	v_mov_b64_e32 v[2:3], v[16:17]
	s_and_saveexec_b32 s18, s1
; %bb.430:                              ;   in Loop: Header=BB372_10 Depth=1
	v_and_b32_e32 v2, 7, v1
	s_delay_alu instid0(VALU_DEP_1) | instskip(NEXT) | instid1(VALU_DEP_1)
	v_clz_i32_u32_e32 v2, v2
	v_min_u32_e32 v4, 32, v2
	s_delay_alu instid0(VALU_DEP_1) | instskip(SKIP_1) | instid1(VALU_DEP_2)
	v_subrev_nc_u32_e32 v2, 28, v4
	v_sub_nc_u32_e32 v4, 29, v4
	v_lshlrev_b64_e32 v[2:3], v2, v[16:17]
; %bb.431:                              ;   in Loop: Header=BB372_10 Depth=1
	s_or_b32 exec_lo, exec_lo, s18
	s_delay_alu instid0(VALU_DEP_1) | instskip(NEXT) | instid1(VALU_DEP_3)
	v_dual_lshlrev_b32 v2, 20, v2 :: v_dual_lshlrev_b32 v3, 24, v16
	v_lshl_add_u32 v4, v4, 23, 0x3c000000
	s_delay_alu instid0(VALU_DEP_2) | instskip(NEXT) | instid1(VALU_DEP_3)
	v_and_b32_e32 v2, 0x700000, v2
	v_and_b32_e32 v3, 0x80000000, v3
	s_delay_alu instid0(VALU_DEP_1)
	v_or3_b32 v2, v2, v3, v4
	scratch_store_b64 off, v[2:3], s32 offset:396 ; 8-byte Folded Spill
.LBB372_432:                            ;   in Loop: Header=BB372_10 Depth=1
	s_wait_xcnt 0x0
	s_or_b32 exec_lo, exec_lo, s17
.LBB372_433:                            ;   in Loop: Header=BB372_10 Depth=1
	s_delay_alu instid0(SALU_CYCLE_1)
	s_or_b32 exec_lo, exec_lo, s16
.LBB372_434:                            ;   in Loop: Header=BB372_10 Depth=1
	s_delay_alu instid0(SALU_CYCLE_1)
	s_or_b32 exec_lo, exec_lo, s11
	v_mov_b32_e32 v4, 0
	v_lshrrev_b16 v2, 8, v16
	s_mov_b32 s11, exec_lo
	s_clause 0x1
	scratch_store_b64 off, v[4:5], s32 offset:404
	scratch_load_b64 v[4:5], off, s32 offset:396
	s_wait_loadcnt 0x0
	v_mov_b32_e32 v5, 0
	scratch_store_b64 off, v[4:5], s32 offset:396 ; 8-byte Folded Spill
	s_wait_xcnt 0x0
	v_cmpx_ne_u16_e32 0, v2
	s_cbranch_execz .LBB372_442
; %bb.435:                              ;   in Loop: Header=BB372_10 Depth=1
	scratch_load_b64 v[4:5], off, s32 offset:396 ; 8-byte Folded Reload
	s_wait_loadcnt 0x0
	v_bfrev_b32_e32 v5, 1
	s_mov_b32 s16, exec_lo
	scratch_store_b64 off, v[4:5], s32 offset:396 ; 8-byte Folded Spill
	s_wait_xcnt 0x0
	v_cmpx_ne_u16_e32 0x80, v2
	s_cbranch_execz .LBB372_441
; %bb.436:                              ;   in Loop: Header=BB372_10 Depth=1
	scratch_load_b64 v[6:7], off, s32 offset:396 ; 8-byte Folded Reload
	v_and_b32_e32 v2, 0xffff, v2
	s_wait_loadcnt 0x0
	v_mov_b32_e32 v7, 0x7f800001
	s_mov_b32 s17, exec_lo
	s_delay_alu instid0(VALU_DEP_2)
	v_and_b32_e32 v5, 0x7f, v2
	scratch_store_b64 off, v[6:7], s32 offset:396 ; 8-byte Folded Spill
	s_wait_xcnt 0x0
	v_cmpx_ne_u32_e32 0x7f, v5
	s_cbranch_execz .LBB372_440
; %bb.437:                              ;   in Loop: Header=BB372_10 Depth=1
	v_dual_mov_b32 v3, v17 :: v_dual_bitop2_b32 v2, 7, v2 bitop3:0x40
	v_lshrrev_b32_e32 v4, 3, v5
	s_mov_b32 s18, exec_lo
	v_cmpx_gt_u32_e32 8, v5
; %bb.438:                              ;   in Loop: Header=BB372_10 Depth=1
	s_delay_alu instid0(VALU_DEP_3) | instskip(NEXT) | instid1(VALU_DEP_1)
	v_clz_i32_u32_e32 v4, v2
	v_min_u32_e32 v4, 32, v4
	s_delay_alu instid0(VALU_DEP_1) | instskip(NEXT) | instid1(VALU_DEP_1)
	v_subrev_nc_u32_e32 v5, 28, v4
	v_lshlrev_b64_e32 v[2:3], v5, v[2:3]
	s_delay_alu instid0(VALU_DEP_1)
	v_dual_sub_nc_u32 v4, 29, v4 :: v_dual_bitop2_b32 v2, 7, v2 bitop3:0x40
; %bb.439:                              ;   in Loop: Header=BB372_10 Depth=1
	s_or_b32 exec_lo, exec_lo, s18
	scratch_load_b64 v[6:7], off, s32 offset:396 ; 8-byte Folded Reload
	v_dual_lshlrev_b32 v3, 16, v16 :: v_dual_lshlrev_b32 v2, 20, v2
	v_lshl_add_u32 v4, v4, 23, 0x3c000000
	s_delay_alu instid0(VALU_DEP_2) | instskip(SKIP_1) | instid1(VALU_DEP_1)
	v_and_b32_e32 v3, 0x80000000, v3
	s_wait_loadcnt 0x0
	v_or3_b32 v7, v2, v3, v4
	scratch_store_b64 off, v[6:7], s32 offset:396 ; 8-byte Folded Spill
.LBB372_440:                            ;   in Loop: Header=BB372_10 Depth=1
	s_wait_xcnt 0x0
	s_or_b32 exec_lo, exec_lo, s17
.LBB372_441:                            ;   in Loop: Header=BB372_10 Depth=1
	s_delay_alu instid0(SALU_CYCLE_1)
	s_or_b32 exec_lo, exec_lo, s16
.LBB372_442:                            ;   in Loop: Header=BB372_10 Depth=1
	s_delay_alu instid0(SALU_CYCLE_1) | instskip(SKIP_2) | instid1(VALU_DEP_1)
	s_or_b32 exec_lo, exec_lo, s11
	v_lshrrev_b32_e32 v4, 16, v1
	s_mov_b32 s11, exec_lo
	v_and_b32_e32 v2, 0xff, v4
	s_delay_alu instid0(VALU_DEP_1)
	v_cmpx_ne_u16_e32 0, v2
	s_cbranch_execz .LBB372_450
; %bb.443:                              ;   in Loop: Header=BB372_10 Depth=1
	v_cmp_ne_u16_e64 s1, 0x80, v2
	v_bfrev_b32_e32 v2, 1
	scratch_store_b64 off, v[2:3], s32 offset:404 ; 8-byte Folded Spill
	s_wait_xcnt 0x0
	s_and_saveexec_b32 s16, s1
	s_cbranch_execz .LBB372_449
; %bb.444:                              ;   in Loop: Header=BB372_10 Depth=1
	v_bfe_u32 v2, v1, 16, 7
	v_mov_b32_e32 v6, 0x7f800001
	s_mov_b32 s17, exec_lo
	scratch_store_b64 off, v[6:7], s32 offset:404 ; 8-byte Folded Spill
	s_wait_xcnt 0x0
	v_cmpx_ne_u32_e32 0x7f, v2
	s_cbranch_execz .LBB372_448
; %bb.445:                              ;   in Loop: Header=BB372_10 Depth=1
	v_dual_lshrrev_b32 v5, 3, v2 :: v_dual_bitop2_b32 v16, 7, v4 bitop3:0x40
	v_cmp_gt_u32_e64 s1, 8, v2
	s_delay_alu instid0(VALU_DEP_2)
	v_mov_b64_e32 v[2:3], v[16:17]
	s_and_saveexec_b32 s18, s1
; %bb.446:                              ;   in Loop: Header=BB372_10 Depth=1
	v_clz_i32_u32_e32 v2, v16
	s_delay_alu instid0(VALU_DEP_1) | instskip(NEXT) | instid1(VALU_DEP_1)
	v_min_u32_e32 v5, 32, v2
	v_subrev_nc_u32_e32 v2, 28, v5
	s_delay_alu instid0(VALU_DEP_1) | instskip(NEXT) | instid1(VALU_DEP_1)
	v_lshlrev_b64_e32 v[2:3], v2, v[16:17]
	v_dual_sub_nc_u32 v5, 29, v5 :: v_dual_bitop2_b32 v2, 7, v2 bitop3:0x40
; %bb.447:                              ;   in Loop: Header=BB372_10 Depth=1
	s_or_b32 exec_lo, exec_lo, s18
	s_delay_alu instid0(VALU_DEP_1) | instskip(NEXT) | instid1(VALU_DEP_2)
	v_dual_lshlrev_b32 v3, 24, v4 :: v_dual_lshlrev_b32 v2, 20, v2
	v_lshl_add_u32 v4, v5, 23, 0x3c000000
	s_delay_alu instid0(VALU_DEP_2) | instskip(NEXT) | instid1(VALU_DEP_1)
	v_and_b32_e32 v3, 0x80000000, v3
	v_or3_b32 v2, v2, v3, v4
	scratch_store_b64 off, v[2:3], s32 offset:404 ; 8-byte Folded Spill
.LBB372_448:                            ;   in Loop: Header=BB372_10 Depth=1
	s_wait_xcnt 0x0
	s_or_b32 exec_lo, exec_lo, s17
.LBB372_449:                            ;   in Loop: Header=BB372_10 Depth=1
	s_delay_alu instid0(SALU_CYCLE_1)
	s_or_b32 exec_lo, exec_lo, s16
.LBB372_450:                            ;   in Loop: Header=BB372_10 Depth=1
	s_delay_alu instid0(SALU_CYCLE_1)
	s_or_b32 exec_lo, exec_lo, s11
	scratch_load_b64 v[2:3], off, s32 offset:404 ; 8-byte Folded Reload
	v_cmp_lt_u64_e64 s1, s[2:3], v[0:1]
	s_wait_loadcnt 0x0
	v_dual_mov_b32 v0, 0 :: v_dual_mov_b32 v3, 0
	s_clause 0x1
	scratch_store_b64 off, v[0:1], s32 offset:412
	scratch_store_b64 off, v[2:3], s32 offset:404
	s_wait_xcnt 0x0
	s_and_saveexec_b32 s11, s1
	s_cbranch_execz .LBB372_458
; %bb.451:                              ;   in Loop: Header=BB372_10 Depth=1
	scratch_load_b64 v[4:5], off, s32 offset:404 ; 8-byte Folded Reload
	v_lshrrev_b32_e32 v2, 24, v1
	s_wait_loadcnt 0x0
	v_bfrev_b32_e32 v5, 1
	s_mov_b32 s16, exec_lo
	scratch_store_b64 off, v[4:5], s32 offset:404 ; 8-byte Folded Spill
	s_wait_xcnt 0x0
	v_cmpx_ne_u32_e32 0x80, v2
	s_cbranch_execz .LBB372_457
; %bb.452:                              ;   in Loop: Header=BB372_10 Depth=1
	scratch_load_b64 v[4:5], off, s32 offset:404 ; 8-byte Folded Reload
	v_bfe_u32 v0, v1, 24, 7
	s_wait_loadcnt 0x0
	v_mov_b32_e32 v5, 0x7f800001
	s_mov_b32 s17, exec_lo
	scratch_store_b64 off, v[4:5], s32 offset:404 ; 8-byte Folded Spill
	s_wait_xcnt 0x0
	v_cmpx_ne_u32_e32 0x7f, v0
	s_cbranch_execz .LBB372_456
; %bb.453:                              ;   in Loop: Header=BB372_10 Depth=1
	v_dual_lshrrev_b32 v3, 3, v0 :: v_dual_bitop2_b32 v16, 7, v2 bitop3:0x40
	v_cmp_gt_u32_e64 s1, 8, v0
	s_delay_alu instid0(VALU_DEP_2)
	v_mov_b64_e32 v[0:1], v[16:17]
	s_and_saveexec_b32 s18, s1
; %bb.454:                              ;   in Loop: Header=BB372_10 Depth=1
	v_clz_i32_u32_e32 v0, v16
	s_delay_alu instid0(VALU_DEP_1) | instskip(NEXT) | instid1(VALU_DEP_1)
	v_min_u32_e32 v3, 32, v0
	v_subrev_nc_u32_e32 v0, 28, v3
	s_delay_alu instid0(VALU_DEP_1) | instskip(NEXT) | instid1(VALU_DEP_1)
	v_lshlrev_b64_e32 v[0:1], v0, v[16:17]
	v_dual_sub_nc_u32 v3, 29, v3 :: v_dual_bitop2_b32 v0, 7, v0 bitop3:0x40
; %bb.455:                              ;   in Loop: Header=BB372_10 Depth=1
	s_or_b32 exec_lo, exec_lo, s18
	scratch_load_b64 v[4:5], off, s32 offset:404 ; 8-byte Folded Reload
	v_dual_lshlrev_b32 v1, 24, v2 :: v_dual_lshlrev_b32 v0, 20, v0
	v_lshl_add_u32 v2, v3, 23, 0x3c000000
	s_delay_alu instid0(VALU_DEP_2) | instskip(SKIP_1) | instid1(VALU_DEP_1)
	v_and_b32_e32 v1, 0x80000000, v1
	s_wait_loadcnt 0x0
	v_or3_b32 v5, v0, v1, v2
	scratch_store_b64 off, v[4:5], s32 offset:404 ; 8-byte Folded Spill
.LBB372_456:                            ;   in Loop: Header=BB372_10 Depth=1
	s_wait_xcnt 0x0
	s_or_b32 exec_lo, exec_lo, s17
.LBB372_457:                            ;   in Loop: Header=BB372_10 Depth=1
	s_delay_alu instid0(SALU_CYCLE_1)
	s_or_b32 exec_lo, exec_lo, s16
.LBB372_458:                            ;   in Loop: Header=BB372_10 Depth=1
	s_delay_alu instid0(SALU_CYCLE_1)
	s_or_b32 exec_lo, exec_lo, s11
	flat_load_b64 v[0:1], v[96:97] offset:1544
	s_mov_b32 s11, exec_lo
	s_wait_loadcnt_dscnt 0x0
	v_and_b32_e32 v2, 0xff, v0
	s_wait_xcnt 0x0
	s_delay_alu instid0(VALU_DEP_1)
	v_cmpx_ne_u16_e32 0, v2
	s_cbranch_execz .LBB372_466
; %bb.459:                              ;   in Loop: Header=BB372_10 Depth=1
	v_cmp_ne_u16_e64 s1, 0x80, v2
	v_bfrev_b32_e32 v2, 1
	scratch_store_b64 off, v[2:3], s32 offset:412 ; 8-byte Folded Spill
	s_wait_xcnt 0x0
	s_and_saveexec_b32 s16, s1
	s_cbranch_execz .LBB372_465
; %bb.460:                              ;   in Loop: Header=BB372_10 Depth=1
	v_and_b32_e32 v2, 0x7f, v0
	v_mov_b32_e32 v4, 0x7f800001
	s_mov_b32 s17, exec_lo
	scratch_store_b64 off, v[4:5], s32 offset:412 ; 8-byte Folded Spill
	s_wait_xcnt 0x0
	v_cmpx_ne_u32_e32 0x7f, v2
	s_cbranch_execz .LBB372_464
; %bb.461:                              ;   in Loop: Header=BB372_10 Depth=1
	v_lshrrev_b32_e32 v4, 3, v2
	v_cmp_gt_u32_e64 s1, 8, v2
	v_mov_b64_e32 v[2:3], v[0:1]
	s_and_saveexec_b32 s18, s1
; %bb.462:                              ;   in Loop: Header=BB372_10 Depth=1
	v_and_b32_e32 v2, 7, v0
	s_delay_alu instid0(VALU_DEP_1) | instskip(NEXT) | instid1(VALU_DEP_1)
	v_clz_i32_u32_e32 v2, v2
	v_min_u32_e32 v4, 32, v2
	s_delay_alu instid0(VALU_DEP_1) | instskip(SKIP_1) | instid1(VALU_DEP_2)
	v_subrev_nc_u32_e32 v2, 28, v4
	v_sub_nc_u32_e32 v4, 29, v4
	v_lshlrev_b64_e32 v[2:3], v2, v[0:1]
; %bb.463:                              ;   in Loop: Header=BB372_10 Depth=1
	s_or_b32 exec_lo, exec_lo, s18
	s_delay_alu instid0(VALU_DEP_1) | instskip(NEXT) | instid1(VALU_DEP_3)
	v_dual_lshlrev_b32 v2, 20, v2 :: v_dual_lshlrev_b32 v3, 24, v0
	v_lshl_add_u32 v4, v4, 23, 0x3c000000
	s_delay_alu instid0(VALU_DEP_2) | instskip(NEXT) | instid1(VALU_DEP_3)
	v_and_b32_e32 v2, 0x700000, v2
	v_and_b32_e32 v3, 0x80000000, v3
	s_delay_alu instid0(VALU_DEP_1)
	v_or3_b32 v2, v2, v3, v4
	scratch_store_b64 off, v[2:3], s32 offset:412 ; 8-byte Folded Spill
.LBB372_464:                            ;   in Loop: Header=BB372_10 Depth=1
	s_wait_xcnt 0x0
	s_or_b32 exec_lo, exec_lo, s17
.LBB372_465:                            ;   in Loop: Header=BB372_10 Depth=1
	s_delay_alu instid0(SALU_CYCLE_1)
	s_or_b32 exec_lo, exec_lo, s16
.LBB372_466:                            ;   in Loop: Header=BB372_10 Depth=1
	s_delay_alu instid0(SALU_CYCLE_1)
	s_or_b32 exec_lo, exec_lo, s11
	v_mov_b32_e32 v4, 0
	v_lshrrev_b16 v2, 8, v0
	s_mov_b32 s11, exec_lo
	s_clause 0x1
	scratch_store_b64 off, v[4:5], s32 offset:420
	scratch_load_b64 v[4:5], off, s32 offset:412
	s_wait_loadcnt 0x0
	v_mov_b32_e32 v5, 0
	scratch_store_b64 off, v[4:5], s32 offset:412 ; 8-byte Folded Spill
	s_wait_xcnt 0x0
	v_cmpx_ne_u16_e32 0, v2
	s_cbranch_execz .LBB372_474
; %bb.467:                              ;   in Loop: Header=BB372_10 Depth=1
	scratch_load_b64 v[4:5], off, s32 offset:412 ; 8-byte Folded Reload
	s_wait_loadcnt 0x0
	v_bfrev_b32_e32 v5, 1
	s_mov_b32 s16, exec_lo
	scratch_store_b64 off, v[4:5], s32 offset:412 ; 8-byte Folded Spill
	s_wait_xcnt 0x0
	v_cmpx_ne_u16_e32 0x80, v2
	s_cbranch_execz .LBB372_473
; %bb.468:                              ;   in Loop: Header=BB372_10 Depth=1
	scratch_load_b64 v[4:5], off, s32 offset:412 ; 8-byte Folded Reload
	v_and_b32_e32 v3, 0xffff, v2
	s_wait_loadcnt 0x0
	v_mov_b32_e32 v5, 0x7f800001
	s_mov_b32 s17, exec_lo
	s_delay_alu instid0(VALU_DEP_2)
	v_and_b32_e32 v2, 0x7f, v3
	scratch_store_b64 off, v[4:5], s32 offset:412 ; 8-byte Folded Spill
	s_wait_xcnt 0x0
	v_cmpx_ne_u32_e32 0x7f, v2
	s_cbranch_execz .LBB372_472
; %bb.469:                              ;   in Loop: Header=BB372_10 Depth=1
	v_dual_lshrrev_b32 v4, 3, v2 :: v_dual_bitop2_b32 v16, 7, v3 bitop3:0x40
	v_cmp_gt_u32_e64 s1, 8, v2
	s_delay_alu instid0(VALU_DEP_2)
	v_mov_b64_e32 v[2:3], v[16:17]
	s_and_saveexec_b32 s18, s1
; %bb.470:                              ;   in Loop: Header=BB372_10 Depth=1
	v_clz_i32_u32_e32 v2, v16
	s_delay_alu instid0(VALU_DEP_1) | instskip(NEXT) | instid1(VALU_DEP_1)
	v_min_u32_e32 v4, 32, v2
	v_subrev_nc_u32_e32 v2, 28, v4
	s_delay_alu instid0(VALU_DEP_1) | instskip(NEXT) | instid1(VALU_DEP_1)
	v_lshlrev_b64_e32 v[2:3], v2, v[16:17]
	v_dual_sub_nc_u32 v4, 29, v4 :: v_dual_bitop2_b32 v2, 7, v2 bitop3:0x40
; %bb.471:                              ;   in Loop: Header=BB372_10 Depth=1
	s_or_b32 exec_lo, exec_lo, s18
	scratch_load_b64 v[6:7], off, s32 offset:412 ; 8-byte Folded Reload
	v_dual_lshlrev_b32 v3, 16, v0 :: v_dual_lshlrev_b32 v2, 20, v2
	v_lshl_add_u32 v4, v4, 23, 0x3c000000
	s_delay_alu instid0(VALU_DEP_2) | instskip(SKIP_1) | instid1(VALU_DEP_1)
	v_and_b32_e32 v3, 0x80000000, v3
	s_wait_loadcnt 0x0
	v_or3_b32 v7, v2, v3, v4
	scratch_store_b64 off, v[6:7], s32 offset:412 ; 8-byte Folded Spill
.LBB372_472:                            ;   in Loop: Header=BB372_10 Depth=1
	s_wait_xcnt 0x0
	s_or_b32 exec_lo, exec_lo, s17
.LBB372_473:                            ;   in Loop: Header=BB372_10 Depth=1
	s_delay_alu instid0(SALU_CYCLE_1)
	s_or_b32 exec_lo, exec_lo, s16
.LBB372_474:                            ;   in Loop: Header=BB372_10 Depth=1
	s_delay_alu instid0(SALU_CYCLE_1) | instskip(SKIP_2) | instid1(VALU_DEP_1)
	s_or_b32 exec_lo, exec_lo, s11
	v_lshrrev_b32_e32 v4, 16, v0
	s_mov_b32 s11, exec_lo
	v_and_b32_e32 v2, 0xff, v4
	s_delay_alu instid0(VALU_DEP_1)
	v_cmpx_ne_u16_e32 0, v2
	s_cbranch_execz .LBB372_482
; %bb.475:                              ;   in Loop: Header=BB372_10 Depth=1
	v_cmp_ne_u16_e64 s1, 0x80, v2
	v_bfrev_b32_e32 v2, 1
	scratch_store_b64 off, v[2:3], s32 offset:420 ; 8-byte Folded Spill
	s_wait_xcnt 0x0
	s_and_saveexec_b32 s16, s1
	s_cbranch_execz .LBB372_481
; %bb.476:                              ;   in Loop: Header=BB372_10 Depth=1
	v_bfe_u32 v2, v0, 16, 7
	v_mov_b32_e32 v6, 0x7f800001
	s_mov_b32 s17, exec_lo
	scratch_store_b64 off, v[6:7], s32 offset:420 ; 8-byte Folded Spill
	s_wait_xcnt 0x0
	v_cmpx_ne_u32_e32 0x7f, v2
	s_cbranch_execz .LBB372_480
; %bb.477:                              ;   in Loop: Header=BB372_10 Depth=1
	v_dual_lshrrev_b32 v5, 3, v2 :: v_dual_bitop2_b32 v16, 7, v4 bitop3:0x40
	v_cmp_gt_u32_e64 s1, 8, v2
	s_delay_alu instid0(VALU_DEP_2)
	v_mov_b64_e32 v[2:3], v[16:17]
	s_and_saveexec_b32 s18, s1
; %bb.478:                              ;   in Loop: Header=BB372_10 Depth=1
	v_clz_i32_u32_e32 v2, v16
	s_delay_alu instid0(VALU_DEP_1) | instskip(NEXT) | instid1(VALU_DEP_1)
	v_min_u32_e32 v5, 32, v2
	v_subrev_nc_u32_e32 v2, 28, v5
	s_delay_alu instid0(VALU_DEP_1) | instskip(NEXT) | instid1(VALU_DEP_1)
	v_lshlrev_b64_e32 v[2:3], v2, v[16:17]
	v_dual_sub_nc_u32 v5, 29, v5 :: v_dual_bitop2_b32 v2, 7, v2 bitop3:0x40
; %bb.479:                              ;   in Loop: Header=BB372_10 Depth=1
	s_or_b32 exec_lo, exec_lo, s18
	s_delay_alu instid0(VALU_DEP_1) | instskip(NEXT) | instid1(VALU_DEP_2)
	v_dual_lshlrev_b32 v3, 24, v4 :: v_dual_lshlrev_b32 v2, 20, v2
	v_lshl_add_u32 v4, v5, 23, 0x3c000000
	s_delay_alu instid0(VALU_DEP_2) | instskip(NEXT) | instid1(VALU_DEP_1)
	v_and_b32_e32 v3, 0x80000000, v3
	v_or3_b32 v2, v2, v3, v4
	scratch_store_b64 off, v[2:3], s32 offset:420 ; 8-byte Folded Spill
.LBB372_480:                            ;   in Loop: Header=BB372_10 Depth=1
	s_wait_xcnt 0x0
	s_or_b32 exec_lo, exec_lo, s17
.LBB372_481:                            ;   in Loop: Header=BB372_10 Depth=1
	s_delay_alu instid0(SALU_CYCLE_1)
	s_or_b32 exec_lo, exec_lo, s16
.LBB372_482:                            ;   in Loop: Header=BB372_10 Depth=1
	s_delay_alu instid0(SALU_CYCLE_1)
	s_or_b32 exec_lo, exec_lo, s11
	v_mov_b32_e32 v2, 0
	s_mov_b32 s11, exec_lo
	s_clause 0x1
	scratch_store_b64 off, v[2:3], s32 offset:428
	scratch_load_b64 v[2:3], off, s32 offset:420
	s_wait_loadcnt 0x0
	v_mov_b32_e32 v3, 0
	scratch_store_b64 off, v[2:3], s32 offset:420 ; 8-byte Folded Spill
	s_wait_xcnt 0x0
	v_cmpx_lt_u32_e32 0xffffff, v0
	s_cbranch_execz .LBB372_490
; %bb.483:                              ;   in Loop: Header=BB372_10 Depth=1
	scratch_load_b64 v[2:3], off, s32 offset:420 ; 8-byte Folded Reload
	v_lshrrev_b32_e32 v4, 24, v0
	s_wait_loadcnt 0x0
	v_bfrev_b32_e32 v3, 1
	s_mov_b32 s16, exec_lo
	scratch_store_b64 off, v[2:3], s32 offset:420 ; 8-byte Folded Spill
	s_wait_xcnt 0x0
	v_cmpx_ne_u32_e32 0x80, v4
	s_cbranch_execz .LBB372_489
; %bb.484:                              ;   in Loop: Header=BB372_10 Depth=1
	scratch_load_b64 v[6:7], off, s32 offset:420 ; 8-byte Folded Reload
	v_bfe_u32 v2, v0, 24, 7
	s_wait_loadcnt 0x0
	v_mov_b32_e32 v7, 0x7f800001
	s_mov_b32 s17, exec_lo
	scratch_store_b64 off, v[6:7], s32 offset:420 ; 8-byte Folded Spill
	s_wait_xcnt 0x0
	v_cmpx_ne_u32_e32 0x7f, v2
	s_cbranch_execz .LBB372_488
; %bb.485:                              ;   in Loop: Header=BB372_10 Depth=1
	v_dual_lshrrev_b32 v5, 3, v2 :: v_dual_bitop2_b32 v16, 7, v4 bitop3:0x40
	v_cmp_gt_u32_e64 s1, 8, v2
	s_delay_alu instid0(VALU_DEP_2)
	v_mov_b64_e32 v[2:3], v[16:17]
	s_and_saveexec_b32 s18, s1
; %bb.486:                              ;   in Loop: Header=BB372_10 Depth=1
	v_clz_i32_u32_e32 v2, v16
	s_delay_alu instid0(VALU_DEP_1) | instskip(NEXT) | instid1(VALU_DEP_1)
	v_min_u32_e32 v5, 32, v2
	v_subrev_nc_u32_e32 v2, 28, v5
	s_delay_alu instid0(VALU_DEP_1) | instskip(NEXT) | instid1(VALU_DEP_1)
	v_lshlrev_b64_e32 v[2:3], v2, v[16:17]
	v_dual_sub_nc_u32 v5, 29, v5 :: v_dual_bitop2_b32 v2, 7, v2 bitop3:0x40
; %bb.487:                              ;   in Loop: Header=BB372_10 Depth=1
	s_or_b32 exec_lo, exec_lo, s18
	scratch_load_b64 v[6:7], off, s32 offset:420 ; 8-byte Folded Reload
	v_dual_lshlrev_b32 v3, 24, v4 :: v_dual_lshlrev_b32 v2, 20, v2
	v_lshl_add_u32 v4, v5, 23, 0x3c000000
	s_delay_alu instid0(VALU_DEP_2) | instskip(SKIP_1) | instid1(VALU_DEP_1)
	v_and_b32_e32 v3, 0x80000000, v3
	s_wait_loadcnt 0x0
	v_or3_b32 v7, v2, v3, v4
	scratch_store_b64 off, v[6:7], s32 offset:420 ; 8-byte Folded Spill
.LBB372_488:                            ;   in Loop: Header=BB372_10 Depth=1
	s_wait_xcnt 0x0
	s_or_b32 exec_lo, exec_lo, s17
.LBB372_489:                            ;   in Loop: Header=BB372_10 Depth=1
	s_delay_alu instid0(SALU_CYCLE_1)
	s_or_b32 exec_lo, exec_lo, s16
.LBB372_490:                            ;   in Loop: Header=BB372_10 Depth=1
	s_delay_alu instid0(SALU_CYCLE_1) | instskip(SKIP_3) | instid1(VALU_DEP_2)
	s_or_b32 exec_lo, exec_lo, s11
	v_and_b32_e32 v2, 0xff, v1
	v_mov_b32_e32 v16, v1
	s_mov_b32 s11, exec_lo
	v_cmpx_ne_u16_e32 0, v2
	s_cbranch_execz .LBB372_498
; %bb.491:                              ;   in Loop: Header=BB372_10 Depth=1
	v_cmp_ne_u16_e64 s1, 0x80, v2
	v_bfrev_b32_e32 v2, 1
	scratch_store_b64 off, v[2:3], s32 offset:428 ; 8-byte Folded Spill
	s_wait_xcnt 0x0
	s_and_saveexec_b32 s16, s1
	s_cbranch_execz .LBB372_497
; %bb.492:                              ;   in Loop: Header=BB372_10 Depth=1
	v_and_b32_e32 v2, 0x7f, v1
	v_mov_b32_e32 v4, 0x7f800001
	s_mov_b32 s17, exec_lo
	scratch_store_b64 off, v[4:5], s32 offset:428 ; 8-byte Folded Spill
	s_wait_xcnt 0x0
	v_cmpx_ne_u32_e32 0x7f, v2
	s_cbranch_execz .LBB372_496
; %bb.493:                              ;   in Loop: Header=BB372_10 Depth=1
	v_lshrrev_b32_e32 v4, 3, v2
	v_cmp_gt_u32_e64 s1, 8, v2
	v_mov_b64_e32 v[2:3], v[16:17]
	s_and_saveexec_b32 s18, s1
; %bb.494:                              ;   in Loop: Header=BB372_10 Depth=1
	v_and_b32_e32 v2, 7, v1
	s_delay_alu instid0(VALU_DEP_1) | instskip(NEXT) | instid1(VALU_DEP_1)
	v_clz_i32_u32_e32 v2, v2
	v_min_u32_e32 v4, 32, v2
	s_delay_alu instid0(VALU_DEP_1) | instskip(SKIP_1) | instid1(VALU_DEP_2)
	v_subrev_nc_u32_e32 v2, 28, v4
	v_sub_nc_u32_e32 v4, 29, v4
	v_lshlrev_b64_e32 v[2:3], v2, v[16:17]
; %bb.495:                              ;   in Loop: Header=BB372_10 Depth=1
	s_or_b32 exec_lo, exec_lo, s18
	s_delay_alu instid0(VALU_DEP_1) | instskip(NEXT) | instid1(VALU_DEP_3)
	v_dual_lshlrev_b32 v2, 20, v2 :: v_dual_lshlrev_b32 v3, 24, v16
	v_lshl_add_u32 v4, v4, 23, 0x3c000000
	s_delay_alu instid0(VALU_DEP_2) | instskip(NEXT) | instid1(VALU_DEP_3)
	v_and_b32_e32 v2, 0x700000, v2
	v_and_b32_e32 v3, 0x80000000, v3
	s_delay_alu instid0(VALU_DEP_1)
	v_or3_b32 v2, v2, v3, v4
	scratch_store_b64 off, v[2:3], s32 offset:428 ; 8-byte Folded Spill
.LBB372_496:                            ;   in Loop: Header=BB372_10 Depth=1
	s_wait_xcnt 0x0
	s_or_b32 exec_lo, exec_lo, s17
.LBB372_497:                            ;   in Loop: Header=BB372_10 Depth=1
	s_delay_alu instid0(SALU_CYCLE_1)
	s_or_b32 exec_lo, exec_lo, s16
.LBB372_498:                            ;   in Loop: Header=BB372_10 Depth=1
	s_delay_alu instid0(SALU_CYCLE_1)
	s_or_b32 exec_lo, exec_lo, s11
	v_mov_b32_e32 v4, 0
	v_lshrrev_b16 v2, 8, v16
	s_mov_b32 s11, exec_lo
	s_clause 0x1
	scratch_store_b64 off, v[4:5], s32 offset:436
	scratch_load_b64 v[4:5], off, s32 offset:428
	s_wait_loadcnt 0x0
	v_mov_b32_e32 v5, 0
	scratch_store_b64 off, v[4:5], s32 offset:428 ; 8-byte Folded Spill
	s_wait_xcnt 0x0
	v_cmpx_ne_u16_e32 0, v2
	s_cbranch_execz .LBB372_506
; %bb.499:                              ;   in Loop: Header=BB372_10 Depth=1
	scratch_load_b64 v[4:5], off, s32 offset:428 ; 8-byte Folded Reload
	s_wait_loadcnt 0x0
	v_bfrev_b32_e32 v5, 1
	s_mov_b32 s16, exec_lo
	scratch_store_b64 off, v[4:5], s32 offset:428 ; 8-byte Folded Spill
	s_wait_xcnt 0x0
	v_cmpx_ne_u16_e32 0x80, v2
	s_cbranch_execz .LBB372_505
; %bb.500:                              ;   in Loop: Header=BB372_10 Depth=1
	scratch_load_b64 v[6:7], off, s32 offset:428 ; 8-byte Folded Reload
	v_and_b32_e32 v2, 0xffff, v2
	s_wait_loadcnt 0x0
	v_mov_b32_e32 v7, 0x7f800001
	s_mov_b32 s17, exec_lo
	s_delay_alu instid0(VALU_DEP_2)
	v_and_b32_e32 v5, 0x7f, v2
	scratch_store_b64 off, v[6:7], s32 offset:428 ; 8-byte Folded Spill
	s_wait_xcnt 0x0
	v_cmpx_ne_u32_e32 0x7f, v5
	s_cbranch_execz .LBB372_504
; %bb.501:                              ;   in Loop: Header=BB372_10 Depth=1
	v_dual_mov_b32 v3, v17 :: v_dual_bitop2_b32 v2, 7, v2 bitop3:0x40
	v_lshrrev_b32_e32 v4, 3, v5
	s_mov_b32 s18, exec_lo
	v_cmpx_gt_u32_e32 8, v5
; %bb.502:                              ;   in Loop: Header=BB372_10 Depth=1
	s_delay_alu instid0(VALU_DEP_3) | instskip(NEXT) | instid1(VALU_DEP_1)
	v_clz_i32_u32_e32 v4, v2
	v_min_u32_e32 v4, 32, v4
	s_delay_alu instid0(VALU_DEP_1) | instskip(NEXT) | instid1(VALU_DEP_1)
	v_subrev_nc_u32_e32 v5, 28, v4
	v_lshlrev_b64_e32 v[2:3], v5, v[2:3]
	s_delay_alu instid0(VALU_DEP_1)
	v_dual_sub_nc_u32 v4, 29, v4 :: v_dual_bitop2_b32 v2, 7, v2 bitop3:0x40
; %bb.503:                              ;   in Loop: Header=BB372_10 Depth=1
	s_or_b32 exec_lo, exec_lo, s18
	scratch_load_b64 v[6:7], off, s32 offset:428 ; 8-byte Folded Reload
	v_dual_lshlrev_b32 v3, 16, v16 :: v_dual_lshlrev_b32 v2, 20, v2
	v_lshl_add_u32 v4, v4, 23, 0x3c000000
	s_delay_alu instid0(VALU_DEP_2) | instskip(SKIP_1) | instid1(VALU_DEP_1)
	v_and_b32_e32 v3, 0x80000000, v3
	s_wait_loadcnt 0x0
	v_or3_b32 v7, v2, v3, v4
	scratch_store_b64 off, v[6:7], s32 offset:428 ; 8-byte Folded Spill
.LBB372_504:                            ;   in Loop: Header=BB372_10 Depth=1
	s_wait_xcnt 0x0
	s_or_b32 exec_lo, exec_lo, s17
.LBB372_505:                            ;   in Loop: Header=BB372_10 Depth=1
	s_delay_alu instid0(SALU_CYCLE_1)
	s_or_b32 exec_lo, exec_lo, s16
.LBB372_506:                            ;   in Loop: Header=BB372_10 Depth=1
	s_delay_alu instid0(SALU_CYCLE_1) | instskip(SKIP_2) | instid1(VALU_DEP_1)
	s_or_b32 exec_lo, exec_lo, s11
	v_lshrrev_b32_e32 v4, 16, v1
	s_mov_b32 s11, exec_lo
	v_and_b32_e32 v2, 0xff, v4
	s_delay_alu instid0(VALU_DEP_1)
	v_cmpx_ne_u16_e32 0, v2
	s_cbranch_execz .LBB372_514
; %bb.507:                              ;   in Loop: Header=BB372_10 Depth=1
	v_cmp_ne_u16_e64 s1, 0x80, v2
	v_bfrev_b32_e32 v2, 1
	scratch_store_b64 off, v[2:3], s32 offset:436 ; 8-byte Folded Spill
	s_wait_xcnt 0x0
	s_and_saveexec_b32 s16, s1
	s_cbranch_execz .LBB372_513
; %bb.508:                              ;   in Loop: Header=BB372_10 Depth=1
	v_bfe_u32 v2, v1, 16, 7
	v_mov_b32_e32 v6, 0x7f800001
	s_mov_b32 s17, exec_lo
	scratch_store_b64 off, v[6:7], s32 offset:436 ; 8-byte Folded Spill
	s_wait_xcnt 0x0
	v_cmpx_ne_u32_e32 0x7f, v2
	s_cbranch_execz .LBB372_512
; %bb.509:                              ;   in Loop: Header=BB372_10 Depth=1
	v_dual_lshrrev_b32 v5, 3, v2 :: v_dual_bitop2_b32 v16, 7, v4 bitop3:0x40
	v_cmp_gt_u32_e64 s1, 8, v2
	s_delay_alu instid0(VALU_DEP_2)
	v_mov_b64_e32 v[2:3], v[16:17]
	s_and_saveexec_b32 s18, s1
; %bb.510:                              ;   in Loop: Header=BB372_10 Depth=1
	v_clz_i32_u32_e32 v2, v16
	s_delay_alu instid0(VALU_DEP_1) | instskip(NEXT) | instid1(VALU_DEP_1)
	v_min_u32_e32 v5, 32, v2
	v_subrev_nc_u32_e32 v2, 28, v5
	s_delay_alu instid0(VALU_DEP_1) | instskip(NEXT) | instid1(VALU_DEP_1)
	v_lshlrev_b64_e32 v[2:3], v2, v[16:17]
	v_dual_sub_nc_u32 v5, 29, v5 :: v_dual_bitop2_b32 v2, 7, v2 bitop3:0x40
; %bb.511:                              ;   in Loop: Header=BB372_10 Depth=1
	s_or_b32 exec_lo, exec_lo, s18
	s_delay_alu instid0(VALU_DEP_1) | instskip(NEXT) | instid1(VALU_DEP_2)
	v_dual_lshlrev_b32 v3, 24, v4 :: v_dual_lshlrev_b32 v2, 20, v2
	v_lshl_add_u32 v4, v5, 23, 0x3c000000
	s_delay_alu instid0(VALU_DEP_2) | instskip(NEXT) | instid1(VALU_DEP_1)
	v_and_b32_e32 v3, 0x80000000, v3
	v_or3_b32 v2, v2, v3, v4
	scratch_store_b64 off, v[2:3], s32 offset:436 ; 8-byte Folded Spill
.LBB372_512:                            ;   in Loop: Header=BB372_10 Depth=1
	s_wait_xcnt 0x0
	s_or_b32 exec_lo, exec_lo, s17
.LBB372_513:                            ;   in Loop: Header=BB372_10 Depth=1
	s_delay_alu instid0(SALU_CYCLE_1)
	s_or_b32 exec_lo, exec_lo, s16
.LBB372_514:                            ;   in Loop: Header=BB372_10 Depth=1
	s_delay_alu instid0(SALU_CYCLE_1)
	s_or_b32 exec_lo, exec_lo, s11
	scratch_load_b64 v[2:3], off, s32 offset:436 ; 8-byte Folded Reload
	v_cmp_lt_u64_e64 s1, s[2:3], v[0:1]
	s_wait_loadcnt 0x0
	v_dual_mov_b32 v0, 0 :: v_dual_mov_b32 v3, 0
	s_clause 0x1
	scratch_store_b64 off, v[0:1], s32 offset:444
	scratch_store_b64 off, v[2:3], s32 offset:436
	s_wait_xcnt 0x0
	s_and_saveexec_b32 s11, s1
	s_cbranch_execz .LBB372_522
; %bb.515:                              ;   in Loop: Header=BB372_10 Depth=1
	scratch_load_b64 v[4:5], off, s32 offset:436 ; 8-byte Folded Reload
	v_lshrrev_b32_e32 v2, 24, v1
	s_wait_loadcnt 0x0
	v_bfrev_b32_e32 v5, 1
	s_mov_b32 s16, exec_lo
	scratch_store_b64 off, v[4:5], s32 offset:436 ; 8-byte Folded Spill
	s_wait_xcnt 0x0
	v_cmpx_ne_u32_e32 0x80, v2
	s_cbranch_execz .LBB372_521
; %bb.516:                              ;   in Loop: Header=BB372_10 Depth=1
	scratch_load_b64 v[4:5], off, s32 offset:436 ; 8-byte Folded Reload
	v_bfe_u32 v0, v1, 24, 7
	s_wait_loadcnt 0x0
	v_mov_b32_e32 v5, 0x7f800001
	s_mov_b32 s17, exec_lo
	scratch_store_b64 off, v[4:5], s32 offset:436 ; 8-byte Folded Spill
	s_wait_xcnt 0x0
	v_cmpx_ne_u32_e32 0x7f, v0
	s_cbranch_execz .LBB372_520
; %bb.517:                              ;   in Loop: Header=BB372_10 Depth=1
	v_dual_lshrrev_b32 v3, 3, v0 :: v_dual_bitop2_b32 v16, 7, v2 bitop3:0x40
	v_cmp_gt_u32_e64 s1, 8, v0
	s_delay_alu instid0(VALU_DEP_2)
	v_mov_b64_e32 v[0:1], v[16:17]
	s_and_saveexec_b32 s18, s1
; %bb.518:                              ;   in Loop: Header=BB372_10 Depth=1
	v_clz_i32_u32_e32 v0, v16
	s_delay_alu instid0(VALU_DEP_1) | instskip(NEXT) | instid1(VALU_DEP_1)
	v_min_u32_e32 v3, 32, v0
	v_subrev_nc_u32_e32 v0, 28, v3
	s_delay_alu instid0(VALU_DEP_1) | instskip(NEXT) | instid1(VALU_DEP_1)
	v_lshlrev_b64_e32 v[0:1], v0, v[16:17]
	v_dual_sub_nc_u32 v3, 29, v3 :: v_dual_bitop2_b32 v0, 7, v0 bitop3:0x40
; %bb.519:                              ;   in Loop: Header=BB372_10 Depth=1
	s_or_b32 exec_lo, exec_lo, s18
	scratch_load_b64 v[4:5], off, s32 offset:436 ; 8-byte Folded Reload
	v_dual_lshlrev_b32 v1, 24, v2 :: v_dual_lshlrev_b32 v0, 20, v0
	v_lshl_add_u32 v2, v3, 23, 0x3c000000
	s_delay_alu instid0(VALU_DEP_2) | instskip(SKIP_1) | instid1(VALU_DEP_1)
	v_and_b32_e32 v1, 0x80000000, v1
	s_wait_loadcnt 0x0
	v_or3_b32 v5, v0, v1, v2
	scratch_store_b64 off, v[4:5], s32 offset:436 ; 8-byte Folded Spill
.LBB372_520:                            ;   in Loop: Header=BB372_10 Depth=1
	s_wait_xcnt 0x0
	s_or_b32 exec_lo, exec_lo, s17
.LBB372_521:                            ;   in Loop: Header=BB372_10 Depth=1
	s_delay_alu instid0(SALU_CYCLE_1)
	s_or_b32 exec_lo, exec_lo, s16
.LBB372_522:                            ;   in Loop: Header=BB372_10 Depth=1
	s_delay_alu instid0(SALU_CYCLE_1)
	s_or_b32 exec_lo, exec_lo, s11
	flat_load_b64 v[0:1], v[96:97] offset:2048
	s_mov_b32 s11, exec_lo
	s_wait_loadcnt_dscnt 0x0
	v_and_b32_e32 v2, 0xff, v0
	s_wait_xcnt 0x0
	s_delay_alu instid0(VALU_DEP_1)
	v_cmpx_ne_u16_e32 0, v2
	s_cbranch_execz .LBB372_530
; %bb.523:                              ;   in Loop: Header=BB372_10 Depth=1
	v_cmp_ne_u16_e64 s1, 0x80, v2
	v_bfrev_b32_e32 v2, 1
	scratch_store_b64 off, v[2:3], s32 offset:444 ; 8-byte Folded Spill
	s_wait_xcnt 0x0
	s_and_saveexec_b32 s16, s1
	s_cbranch_execz .LBB372_529
; %bb.524:                              ;   in Loop: Header=BB372_10 Depth=1
	v_and_b32_e32 v2, 0x7f, v0
	v_mov_b32_e32 v4, 0x7f800001
	s_mov_b32 s17, exec_lo
	scratch_store_b64 off, v[4:5], s32 offset:444 ; 8-byte Folded Spill
	s_wait_xcnt 0x0
	v_cmpx_ne_u32_e32 0x7f, v2
	s_cbranch_execz .LBB372_528
; %bb.525:                              ;   in Loop: Header=BB372_10 Depth=1
	v_lshrrev_b32_e32 v4, 3, v2
	v_cmp_gt_u32_e64 s1, 8, v2
	v_mov_b64_e32 v[2:3], v[0:1]
	s_and_saveexec_b32 s18, s1
; %bb.526:                              ;   in Loop: Header=BB372_10 Depth=1
	v_and_b32_e32 v2, 7, v0
	s_delay_alu instid0(VALU_DEP_1) | instskip(NEXT) | instid1(VALU_DEP_1)
	v_clz_i32_u32_e32 v2, v2
	v_min_u32_e32 v4, 32, v2
	s_delay_alu instid0(VALU_DEP_1) | instskip(SKIP_1) | instid1(VALU_DEP_2)
	v_subrev_nc_u32_e32 v2, 28, v4
	v_sub_nc_u32_e32 v4, 29, v4
	v_lshlrev_b64_e32 v[2:3], v2, v[0:1]
; %bb.527:                              ;   in Loop: Header=BB372_10 Depth=1
	s_or_b32 exec_lo, exec_lo, s18
	s_delay_alu instid0(VALU_DEP_1) | instskip(NEXT) | instid1(VALU_DEP_3)
	v_dual_lshlrev_b32 v2, 20, v2 :: v_dual_lshlrev_b32 v3, 24, v0
	v_lshl_add_u32 v4, v4, 23, 0x3c000000
	s_delay_alu instid0(VALU_DEP_2) | instskip(NEXT) | instid1(VALU_DEP_3)
	v_and_b32_e32 v2, 0x700000, v2
	v_and_b32_e32 v3, 0x80000000, v3
	s_delay_alu instid0(VALU_DEP_1)
	v_or3_b32 v2, v2, v3, v4
	scratch_store_b64 off, v[2:3], s32 offset:444 ; 8-byte Folded Spill
.LBB372_528:                            ;   in Loop: Header=BB372_10 Depth=1
	s_wait_xcnt 0x0
	s_or_b32 exec_lo, exec_lo, s17
.LBB372_529:                            ;   in Loop: Header=BB372_10 Depth=1
	s_delay_alu instid0(SALU_CYCLE_1)
	s_or_b32 exec_lo, exec_lo, s16
.LBB372_530:                            ;   in Loop: Header=BB372_10 Depth=1
	s_delay_alu instid0(SALU_CYCLE_1)
	s_or_b32 exec_lo, exec_lo, s11
	v_mov_b32_e32 v4, 0
	v_lshrrev_b16 v2, 8, v0
	s_mov_b32 s11, exec_lo
	s_clause 0x1
	scratch_store_b64 off, v[4:5], s32 offset:452
	scratch_load_b64 v[4:5], off, s32 offset:444
	s_wait_loadcnt 0x0
	v_mov_b32_e32 v5, 0
	scratch_store_b64 off, v[4:5], s32 offset:444 ; 8-byte Folded Spill
	s_wait_xcnt 0x0
	v_cmpx_ne_u16_e32 0, v2
	s_cbranch_execz .LBB372_538
; %bb.531:                              ;   in Loop: Header=BB372_10 Depth=1
	scratch_load_b64 v[4:5], off, s32 offset:444 ; 8-byte Folded Reload
	s_wait_loadcnt 0x0
	v_bfrev_b32_e32 v5, 1
	s_mov_b32 s16, exec_lo
	scratch_store_b64 off, v[4:5], s32 offset:444 ; 8-byte Folded Spill
	s_wait_xcnt 0x0
	v_cmpx_ne_u16_e32 0x80, v2
	s_cbranch_execz .LBB372_537
; %bb.532:                              ;   in Loop: Header=BB372_10 Depth=1
	scratch_load_b64 v[4:5], off, s32 offset:444 ; 8-byte Folded Reload
	v_and_b32_e32 v3, 0xffff, v2
	s_wait_loadcnt 0x0
	v_mov_b32_e32 v5, 0x7f800001
	s_mov_b32 s17, exec_lo
	s_delay_alu instid0(VALU_DEP_2)
	v_and_b32_e32 v2, 0x7f, v3
	scratch_store_b64 off, v[4:5], s32 offset:444 ; 8-byte Folded Spill
	s_wait_xcnt 0x0
	v_cmpx_ne_u32_e32 0x7f, v2
	s_cbranch_execz .LBB372_536
; %bb.533:                              ;   in Loop: Header=BB372_10 Depth=1
	v_dual_lshrrev_b32 v4, 3, v2 :: v_dual_bitop2_b32 v16, 7, v3 bitop3:0x40
	v_cmp_gt_u32_e64 s1, 8, v2
	s_delay_alu instid0(VALU_DEP_2)
	v_mov_b64_e32 v[2:3], v[16:17]
	s_and_saveexec_b32 s18, s1
; %bb.534:                              ;   in Loop: Header=BB372_10 Depth=1
	v_clz_i32_u32_e32 v2, v16
	s_delay_alu instid0(VALU_DEP_1) | instskip(NEXT) | instid1(VALU_DEP_1)
	v_min_u32_e32 v4, 32, v2
	v_subrev_nc_u32_e32 v2, 28, v4
	s_delay_alu instid0(VALU_DEP_1) | instskip(NEXT) | instid1(VALU_DEP_1)
	v_lshlrev_b64_e32 v[2:3], v2, v[16:17]
	v_dual_sub_nc_u32 v4, 29, v4 :: v_dual_bitop2_b32 v2, 7, v2 bitop3:0x40
; %bb.535:                              ;   in Loop: Header=BB372_10 Depth=1
	s_or_b32 exec_lo, exec_lo, s18
	scratch_load_b64 v[6:7], off, s32 offset:444 ; 8-byte Folded Reload
	v_dual_lshlrev_b32 v3, 16, v0 :: v_dual_lshlrev_b32 v2, 20, v2
	v_lshl_add_u32 v4, v4, 23, 0x3c000000
	s_delay_alu instid0(VALU_DEP_2) | instskip(SKIP_1) | instid1(VALU_DEP_1)
	v_and_b32_e32 v3, 0x80000000, v3
	s_wait_loadcnt 0x0
	v_or3_b32 v7, v2, v3, v4
	scratch_store_b64 off, v[6:7], s32 offset:444 ; 8-byte Folded Spill
.LBB372_536:                            ;   in Loop: Header=BB372_10 Depth=1
	s_wait_xcnt 0x0
	s_or_b32 exec_lo, exec_lo, s17
.LBB372_537:                            ;   in Loop: Header=BB372_10 Depth=1
	s_delay_alu instid0(SALU_CYCLE_1)
	s_or_b32 exec_lo, exec_lo, s16
.LBB372_538:                            ;   in Loop: Header=BB372_10 Depth=1
	s_delay_alu instid0(SALU_CYCLE_1) | instskip(SKIP_2) | instid1(VALU_DEP_1)
	s_or_b32 exec_lo, exec_lo, s11
	v_lshrrev_b32_e32 v4, 16, v0
	s_mov_b32 s11, exec_lo
	v_and_b32_e32 v2, 0xff, v4
	s_delay_alu instid0(VALU_DEP_1)
	v_cmpx_ne_u16_e32 0, v2
	s_cbranch_execz .LBB372_546
; %bb.539:                              ;   in Loop: Header=BB372_10 Depth=1
	v_cmp_ne_u16_e64 s1, 0x80, v2
	v_bfrev_b32_e32 v2, 1
	scratch_store_b64 off, v[2:3], s32 offset:452 ; 8-byte Folded Spill
	s_wait_xcnt 0x0
	s_and_saveexec_b32 s16, s1
	s_cbranch_execz .LBB372_545
; %bb.540:                              ;   in Loop: Header=BB372_10 Depth=1
	v_bfe_u32 v2, v0, 16, 7
	v_mov_b32_e32 v6, 0x7f800001
	s_mov_b32 s17, exec_lo
	scratch_store_b64 off, v[6:7], s32 offset:452 ; 8-byte Folded Spill
	s_wait_xcnt 0x0
	v_cmpx_ne_u32_e32 0x7f, v2
	s_cbranch_execz .LBB372_544
; %bb.541:                              ;   in Loop: Header=BB372_10 Depth=1
	v_dual_lshrrev_b32 v5, 3, v2 :: v_dual_bitop2_b32 v16, 7, v4 bitop3:0x40
	v_cmp_gt_u32_e64 s1, 8, v2
	s_delay_alu instid0(VALU_DEP_2)
	v_mov_b64_e32 v[2:3], v[16:17]
	s_and_saveexec_b32 s18, s1
; %bb.542:                              ;   in Loop: Header=BB372_10 Depth=1
	v_clz_i32_u32_e32 v2, v16
	s_delay_alu instid0(VALU_DEP_1) | instskip(NEXT) | instid1(VALU_DEP_1)
	v_min_u32_e32 v5, 32, v2
	v_subrev_nc_u32_e32 v2, 28, v5
	s_delay_alu instid0(VALU_DEP_1) | instskip(NEXT) | instid1(VALU_DEP_1)
	v_lshlrev_b64_e32 v[2:3], v2, v[16:17]
	v_dual_sub_nc_u32 v5, 29, v5 :: v_dual_bitop2_b32 v2, 7, v2 bitop3:0x40
; %bb.543:                              ;   in Loop: Header=BB372_10 Depth=1
	s_or_b32 exec_lo, exec_lo, s18
	s_delay_alu instid0(VALU_DEP_1) | instskip(NEXT) | instid1(VALU_DEP_2)
	v_dual_lshlrev_b32 v3, 24, v4 :: v_dual_lshlrev_b32 v2, 20, v2
	v_lshl_add_u32 v4, v5, 23, 0x3c000000
	s_delay_alu instid0(VALU_DEP_2) | instskip(NEXT) | instid1(VALU_DEP_1)
	v_and_b32_e32 v3, 0x80000000, v3
	v_or3_b32 v2, v2, v3, v4
	scratch_store_b64 off, v[2:3], s32 offset:452 ; 8-byte Folded Spill
.LBB372_544:                            ;   in Loop: Header=BB372_10 Depth=1
	s_wait_xcnt 0x0
	s_or_b32 exec_lo, exec_lo, s17
.LBB372_545:                            ;   in Loop: Header=BB372_10 Depth=1
	s_delay_alu instid0(SALU_CYCLE_1)
	s_or_b32 exec_lo, exec_lo, s16
.LBB372_546:                            ;   in Loop: Header=BB372_10 Depth=1
	s_delay_alu instid0(SALU_CYCLE_1)
	s_or_b32 exec_lo, exec_lo, s11
	v_mov_b32_e32 v2, 0
	s_mov_b32 s11, exec_lo
	s_clause 0x1
	scratch_store_b64 off, v[2:3], s32 offset:460
	scratch_load_b64 v[2:3], off, s32 offset:452
	s_wait_loadcnt 0x0
	v_mov_b32_e32 v3, 0
	scratch_store_b64 off, v[2:3], s32 offset:452 ; 8-byte Folded Spill
	s_wait_xcnt 0x0
	v_cmpx_lt_u32_e32 0xffffff, v0
	s_cbranch_execz .LBB372_554
; %bb.547:                              ;   in Loop: Header=BB372_10 Depth=1
	scratch_load_b64 v[2:3], off, s32 offset:452 ; 8-byte Folded Reload
	v_lshrrev_b32_e32 v4, 24, v0
	s_wait_loadcnt 0x0
	v_bfrev_b32_e32 v3, 1
	s_mov_b32 s16, exec_lo
	scratch_store_b64 off, v[2:3], s32 offset:452 ; 8-byte Folded Spill
	s_wait_xcnt 0x0
	v_cmpx_ne_u32_e32 0x80, v4
	s_cbranch_execz .LBB372_553
; %bb.548:                              ;   in Loop: Header=BB372_10 Depth=1
	scratch_load_b64 v[6:7], off, s32 offset:452 ; 8-byte Folded Reload
	v_bfe_u32 v2, v0, 24, 7
	s_wait_loadcnt 0x0
	v_mov_b32_e32 v7, 0x7f800001
	s_mov_b32 s17, exec_lo
	scratch_store_b64 off, v[6:7], s32 offset:452 ; 8-byte Folded Spill
	s_wait_xcnt 0x0
	v_cmpx_ne_u32_e32 0x7f, v2
	s_cbranch_execz .LBB372_552
; %bb.549:                              ;   in Loop: Header=BB372_10 Depth=1
	v_dual_lshrrev_b32 v5, 3, v2 :: v_dual_bitop2_b32 v16, 7, v4 bitop3:0x40
	v_cmp_gt_u32_e64 s1, 8, v2
	s_delay_alu instid0(VALU_DEP_2)
	v_mov_b64_e32 v[2:3], v[16:17]
	s_and_saveexec_b32 s18, s1
; %bb.550:                              ;   in Loop: Header=BB372_10 Depth=1
	v_clz_i32_u32_e32 v2, v16
	s_delay_alu instid0(VALU_DEP_1) | instskip(NEXT) | instid1(VALU_DEP_1)
	v_min_u32_e32 v5, 32, v2
	v_subrev_nc_u32_e32 v2, 28, v5
	s_delay_alu instid0(VALU_DEP_1) | instskip(NEXT) | instid1(VALU_DEP_1)
	v_lshlrev_b64_e32 v[2:3], v2, v[16:17]
	v_dual_sub_nc_u32 v5, 29, v5 :: v_dual_bitop2_b32 v2, 7, v2 bitop3:0x40
; %bb.551:                              ;   in Loop: Header=BB372_10 Depth=1
	s_or_b32 exec_lo, exec_lo, s18
	scratch_load_b64 v[6:7], off, s32 offset:452 ; 8-byte Folded Reload
	v_dual_lshlrev_b32 v3, 24, v4 :: v_dual_lshlrev_b32 v2, 20, v2
	v_lshl_add_u32 v4, v5, 23, 0x3c000000
	s_delay_alu instid0(VALU_DEP_2) | instskip(SKIP_1) | instid1(VALU_DEP_1)
	v_and_b32_e32 v3, 0x80000000, v3
	s_wait_loadcnt 0x0
	v_or3_b32 v7, v2, v3, v4
	scratch_store_b64 off, v[6:7], s32 offset:452 ; 8-byte Folded Spill
.LBB372_552:                            ;   in Loop: Header=BB372_10 Depth=1
	s_wait_xcnt 0x0
	s_or_b32 exec_lo, exec_lo, s17
.LBB372_553:                            ;   in Loop: Header=BB372_10 Depth=1
	s_delay_alu instid0(SALU_CYCLE_1)
	s_or_b32 exec_lo, exec_lo, s16
.LBB372_554:                            ;   in Loop: Header=BB372_10 Depth=1
	s_delay_alu instid0(SALU_CYCLE_1) | instskip(SKIP_3) | instid1(VALU_DEP_2)
	s_or_b32 exec_lo, exec_lo, s11
	v_and_b32_e32 v2, 0xff, v1
	v_mov_b32_e32 v16, v1
	s_mov_b32 s11, exec_lo
	v_cmpx_ne_u16_e32 0, v2
	s_cbranch_execz .LBB372_562
; %bb.555:                              ;   in Loop: Header=BB372_10 Depth=1
	v_cmp_ne_u16_e64 s1, 0x80, v2
	v_bfrev_b32_e32 v2, 1
	scratch_store_b64 off, v[2:3], s32 offset:460 ; 8-byte Folded Spill
	s_wait_xcnt 0x0
	s_and_saveexec_b32 s16, s1
	s_cbranch_execz .LBB372_561
; %bb.556:                              ;   in Loop: Header=BB372_10 Depth=1
	v_and_b32_e32 v2, 0x7f, v1
	v_mov_b32_e32 v4, 0x7f800001
	s_mov_b32 s17, exec_lo
	scratch_store_b64 off, v[4:5], s32 offset:460 ; 8-byte Folded Spill
	s_wait_xcnt 0x0
	v_cmpx_ne_u32_e32 0x7f, v2
	s_cbranch_execz .LBB372_560
; %bb.557:                              ;   in Loop: Header=BB372_10 Depth=1
	v_lshrrev_b32_e32 v4, 3, v2
	v_cmp_gt_u32_e64 s1, 8, v2
	v_mov_b64_e32 v[2:3], v[16:17]
	s_and_saveexec_b32 s18, s1
; %bb.558:                              ;   in Loop: Header=BB372_10 Depth=1
	v_and_b32_e32 v2, 7, v1
	s_delay_alu instid0(VALU_DEP_1) | instskip(NEXT) | instid1(VALU_DEP_1)
	v_clz_i32_u32_e32 v2, v2
	v_min_u32_e32 v4, 32, v2
	s_delay_alu instid0(VALU_DEP_1) | instskip(SKIP_1) | instid1(VALU_DEP_2)
	v_subrev_nc_u32_e32 v2, 28, v4
	v_sub_nc_u32_e32 v4, 29, v4
	v_lshlrev_b64_e32 v[2:3], v2, v[16:17]
; %bb.559:                              ;   in Loop: Header=BB372_10 Depth=1
	s_or_b32 exec_lo, exec_lo, s18
	s_delay_alu instid0(VALU_DEP_1) | instskip(NEXT) | instid1(VALU_DEP_3)
	v_dual_lshlrev_b32 v2, 20, v2 :: v_dual_lshlrev_b32 v3, 24, v16
	v_lshl_add_u32 v4, v4, 23, 0x3c000000
	s_delay_alu instid0(VALU_DEP_2) | instskip(NEXT) | instid1(VALU_DEP_3)
	v_and_b32_e32 v2, 0x700000, v2
	v_and_b32_e32 v3, 0x80000000, v3
	s_delay_alu instid0(VALU_DEP_1)
	v_or3_b32 v2, v2, v3, v4
	scratch_store_b64 off, v[2:3], s32 offset:460 ; 8-byte Folded Spill
.LBB372_560:                            ;   in Loop: Header=BB372_10 Depth=1
	s_wait_xcnt 0x0
	s_or_b32 exec_lo, exec_lo, s17
.LBB372_561:                            ;   in Loop: Header=BB372_10 Depth=1
	s_delay_alu instid0(SALU_CYCLE_1)
	s_or_b32 exec_lo, exec_lo, s16
.LBB372_562:                            ;   in Loop: Header=BB372_10 Depth=1
	s_delay_alu instid0(SALU_CYCLE_1)
	s_or_b32 exec_lo, exec_lo, s11
	v_mov_b32_e32 v4, 0
	v_lshrrev_b16 v2, 8, v16
	s_mov_b32 s11, exec_lo
	s_clause 0x1
	scratch_store_b64 off, v[4:5], s32 offset:468
	scratch_load_b64 v[4:5], off, s32 offset:460
	s_wait_loadcnt 0x0
	v_mov_b32_e32 v5, 0
	scratch_store_b64 off, v[4:5], s32 offset:460 ; 8-byte Folded Spill
	s_wait_xcnt 0x0
	v_cmpx_ne_u16_e32 0, v2
	s_cbranch_execz .LBB372_570
; %bb.563:                              ;   in Loop: Header=BB372_10 Depth=1
	scratch_load_b64 v[4:5], off, s32 offset:460 ; 8-byte Folded Reload
	s_wait_loadcnt 0x0
	v_bfrev_b32_e32 v5, 1
	s_mov_b32 s16, exec_lo
	scratch_store_b64 off, v[4:5], s32 offset:460 ; 8-byte Folded Spill
	s_wait_xcnt 0x0
	v_cmpx_ne_u16_e32 0x80, v2
	s_cbranch_execz .LBB372_569
; %bb.564:                              ;   in Loop: Header=BB372_10 Depth=1
	scratch_load_b64 v[6:7], off, s32 offset:460 ; 8-byte Folded Reload
	v_and_b32_e32 v2, 0xffff, v2
	s_wait_loadcnt 0x0
	v_mov_b32_e32 v7, 0x7f800001
	s_mov_b32 s17, exec_lo
	s_delay_alu instid0(VALU_DEP_2)
	v_and_b32_e32 v5, 0x7f, v2
	scratch_store_b64 off, v[6:7], s32 offset:460 ; 8-byte Folded Spill
	s_wait_xcnt 0x0
	v_cmpx_ne_u32_e32 0x7f, v5
	s_cbranch_execz .LBB372_568
; %bb.565:                              ;   in Loop: Header=BB372_10 Depth=1
	v_dual_mov_b32 v3, v17 :: v_dual_bitop2_b32 v2, 7, v2 bitop3:0x40
	v_lshrrev_b32_e32 v4, 3, v5
	s_mov_b32 s18, exec_lo
	v_cmpx_gt_u32_e32 8, v5
; %bb.566:                              ;   in Loop: Header=BB372_10 Depth=1
	s_delay_alu instid0(VALU_DEP_3) | instskip(NEXT) | instid1(VALU_DEP_1)
	v_clz_i32_u32_e32 v4, v2
	v_min_u32_e32 v4, 32, v4
	s_delay_alu instid0(VALU_DEP_1) | instskip(NEXT) | instid1(VALU_DEP_1)
	v_subrev_nc_u32_e32 v5, 28, v4
	v_lshlrev_b64_e32 v[2:3], v5, v[2:3]
	s_delay_alu instid0(VALU_DEP_1)
	v_dual_sub_nc_u32 v4, 29, v4 :: v_dual_bitop2_b32 v2, 7, v2 bitop3:0x40
; %bb.567:                              ;   in Loop: Header=BB372_10 Depth=1
	s_or_b32 exec_lo, exec_lo, s18
	scratch_load_b64 v[6:7], off, s32 offset:460 ; 8-byte Folded Reload
	v_dual_lshlrev_b32 v3, 16, v16 :: v_dual_lshlrev_b32 v2, 20, v2
	v_lshl_add_u32 v4, v4, 23, 0x3c000000
	s_delay_alu instid0(VALU_DEP_2) | instskip(SKIP_1) | instid1(VALU_DEP_1)
	v_and_b32_e32 v3, 0x80000000, v3
	s_wait_loadcnt 0x0
	v_or3_b32 v7, v2, v3, v4
	scratch_store_b64 off, v[6:7], s32 offset:460 ; 8-byte Folded Spill
.LBB372_568:                            ;   in Loop: Header=BB372_10 Depth=1
	s_wait_xcnt 0x0
	s_or_b32 exec_lo, exec_lo, s17
.LBB372_569:                            ;   in Loop: Header=BB372_10 Depth=1
	s_delay_alu instid0(SALU_CYCLE_1)
	s_or_b32 exec_lo, exec_lo, s16
.LBB372_570:                            ;   in Loop: Header=BB372_10 Depth=1
	s_delay_alu instid0(SALU_CYCLE_1) | instskip(SKIP_2) | instid1(VALU_DEP_1)
	s_or_b32 exec_lo, exec_lo, s11
	v_lshrrev_b32_e32 v4, 16, v1
	s_mov_b32 s11, exec_lo
	v_and_b32_e32 v2, 0xff, v4
	s_delay_alu instid0(VALU_DEP_1)
	v_cmpx_ne_u16_e32 0, v2
	s_cbranch_execz .LBB372_578
; %bb.571:                              ;   in Loop: Header=BB372_10 Depth=1
	v_cmp_ne_u16_e64 s1, 0x80, v2
	v_bfrev_b32_e32 v2, 1
	scratch_store_b64 off, v[2:3], s32 offset:468 ; 8-byte Folded Spill
	s_wait_xcnt 0x0
	s_and_saveexec_b32 s16, s1
	s_cbranch_execz .LBB372_577
; %bb.572:                              ;   in Loop: Header=BB372_10 Depth=1
	v_bfe_u32 v2, v1, 16, 7
	v_mov_b32_e32 v6, 0x7f800001
	s_mov_b32 s17, exec_lo
	scratch_store_b64 off, v[6:7], s32 offset:468 ; 8-byte Folded Spill
	s_wait_xcnt 0x0
	v_cmpx_ne_u32_e32 0x7f, v2
	s_cbranch_execz .LBB372_576
; %bb.573:                              ;   in Loop: Header=BB372_10 Depth=1
	v_dual_lshrrev_b32 v5, 3, v2 :: v_dual_bitop2_b32 v16, 7, v4 bitop3:0x40
	v_cmp_gt_u32_e64 s1, 8, v2
	s_delay_alu instid0(VALU_DEP_2)
	v_mov_b64_e32 v[2:3], v[16:17]
	s_and_saveexec_b32 s18, s1
; %bb.574:                              ;   in Loop: Header=BB372_10 Depth=1
	v_clz_i32_u32_e32 v2, v16
	s_delay_alu instid0(VALU_DEP_1) | instskip(NEXT) | instid1(VALU_DEP_1)
	v_min_u32_e32 v5, 32, v2
	v_subrev_nc_u32_e32 v2, 28, v5
	s_delay_alu instid0(VALU_DEP_1) | instskip(NEXT) | instid1(VALU_DEP_1)
	v_lshlrev_b64_e32 v[2:3], v2, v[16:17]
	v_dual_sub_nc_u32 v5, 29, v5 :: v_dual_bitop2_b32 v2, 7, v2 bitop3:0x40
; %bb.575:                              ;   in Loop: Header=BB372_10 Depth=1
	s_or_b32 exec_lo, exec_lo, s18
	s_delay_alu instid0(VALU_DEP_1) | instskip(NEXT) | instid1(VALU_DEP_2)
	v_dual_lshlrev_b32 v3, 24, v4 :: v_dual_lshlrev_b32 v2, 20, v2
	v_lshl_add_u32 v4, v5, 23, 0x3c000000
	s_delay_alu instid0(VALU_DEP_2) | instskip(NEXT) | instid1(VALU_DEP_1)
	v_and_b32_e32 v3, 0x80000000, v3
	v_or3_b32 v2, v2, v3, v4
	scratch_store_b64 off, v[2:3], s32 offset:468 ; 8-byte Folded Spill
.LBB372_576:                            ;   in Loop: Header=BB372_10 Depth=1
	s_wait_xcnt 0x0
	s_or_b32 exec_lo, exec_lo, s17
.LBB372_577:                            ;   in Loop: Header=BB372_10 Depth=1
	s_delay_alu instid0(SALU_CYCLE_1)
	s_or_b32 exec_lo, exec_lo, s16
.LBB372_578:                            ;   in Loop: Header=BB372_10 Depth=1
	s_delay_alu instid0(SALU_CYCLE_1)
	s_or_b32 exec_lo, exec_lo, s11
	scratch_load_b64 v[2:3], off, s32 offset:468 ; 8-byte Folded Reload
	v_cmp_lt_u64_e64 s1, s[2:3], v[0:1]
	s_wait_loadcnt 0x0
	v_dual_mov_b32 v0, 0 :: v_dual_mov_b32 v3, 0
	s_clause 0x1
	scratch_store_b64 off, v[0:1], s32 offset:476
	scratch_store_b64 off, v[2:3], s32 offset:468
	s_wait_xcnt 0x0
	s_and_saveexec_b32 s11, s1
	s_cbranch_execz .LBB372_586
; %bb.579:                              ;   in Loop: Header=BB372_10 Depth=1
	scratch_load_b64 v[4:5], off, s32 offset:468 ; 8-byte Folded Reload
	v_lshrrev_b32_e32 v2, 24, v1
	s_wait_loadcnt 0x0
	v_bfrev_b32_e32 v5, 1
	s_mov_b32 s16, exec_lo
	scratch_store_b64 off, v[4:5], s32 offset:468 ; 8-byte Folded Spill
	s_wait_xcnt 0x0
	v_cmpx_ne_u32_e32 0x80, v2
	s_cbranch_execz .LBB372_585
; %bb.580:                              ;   in Loop: Header=BB372_10 Depth=1
	scratch_load_b64 v[4:5], off, s32 offset:468 ; 8-byte Folded Reload
	v_bfe_u32 v0, v1, 24, 7
	s_wait_loadcnt 0x0
	v_mov_b32_e32 v5, 0x7f800001
	s_mov_b32 s17, exec_lo
	scratch_store_b64 off, v[4:5], s32 offset:468 ; 8-byte Folded Spill
	s_wait_xcnt 0x0
	v_cmpx_ne_u32_e32 0x7f, v0
	s_cbranch_execz .LBB372_584
; %bb.581:                              ;   in Loop: Header=BB372_10 Depth=1
	v_dual_lshrrev_b32 v3, 3, v0 :: v_dual_bitop2_b32 v16, 7, v2 bitop3:0x40
	v_cmp_gt_u32_e64 s1, 8, v0
	s_delay_alu instid0(VALU_DEP_2)
	v_mov_b64_e32 v[0:1], v[16:17]
	s_and_saveexec_b32 s18, s1
; %bb.582:                              ;   in Loop: Header=BB372_10 Depth=1
	v_clz_i32_u32_e32 v0, v16
	s_delay_alu instid0(VALU_DEP_1) | instskip(NEXT) | instid1(VALU_DEP_1)
	v_min_u32_e32 v3, 32, v0
	v_subrev_nc_u32_e32 v0, 28, v3
	s_delay_alu instid0(VALU_DEP_1) | instskip(NEXT) | instid1(VALU_DEP_1)
	v_lshlrev_b64_e32 v[0:1], v0, v[16:17]
	v_dual_sub_nc_u32 v3, 29, v3 :: v_dual_bitop2_b32 v0, 7, v0 bitop3:0x40
; %bb.583:                              ;   in Loop: Header=BB372_10 Depth=1
	s_or_b32 exec_lo, exec_lo, s18
	scratch_load_b64 v[4:5], off, s32 offset:468 ; 8-byte Folded Reload
	v_dual_lshlrev_b32 v1, 24, v2 :: v_dual_lshlrev_b32 v0, 20, v0
	v_lshl_add_u32 v2, v3, 23, 0x3c000000
	s_delay_alu instid0(VALU_DEP_2) | instskip(SKIP_1) | instid1(VALU_DEP_1)
	v_and_b32_e32 v1, 0x80000000, v1
	s_wait_loadcnt 0x0
	v_or3_b32 v5, v0, v1, v2
	scratch_store_b64 off, v[4:5], s32 offset:468 ; 8-byte Folded Spill
.LBB372_584:                            ;   in Loop: Header=BB372_10 Depth=1
	s_wait_xcnt 0x0
	s_or_b32 exec_lo, exec_lo, s17
.LBB372_585:                            ;   in Loop: Header=BB372_10 Depth=1
	s_delay_alu instid0(SALU_CYCLE_1)
	s_or_b32 exec_lo, exec_lo, s16
.LBB372_586:                            ;   in Loop: Header=BB372_10 Depth=1
	s_delay_alu instid0(SALU_CYCLE_1)
	s_or_b32 exec_lo, exec_lo, s11
	flat_load_b64 v[0:1], v[96:97] offset:2056
	s_mov_b32 s11, exec_lo
	s_wait_loadcnt_dscnt 0x0
	v_and_b32_e32 v2, 0xff, v0
	s_wait_xcnt 0x0
	s_delay_alu instid0(VALU_DEP_1)
	v_cmpx_ne_u16_e32 0, v2
	s_cbranch_execz .LBB372_594
; %bb.587:                              ;   in Loop: Header=BB372_10 Depth=1
	v_cmp_ne_u16_e64 s1, 0x80, v2
	v_bfrev_b32_e32 v2, 1
	scratch_store_b64 off, v[2:3], s32 offset:476 ; 8-byte Folded Spill
	s_wait_xcnt 0x0
	s_and_saveexec_b32 s16, s1
	s_cbranch_execz .LBB372_593
; %bb.588:                              ;   in Loop: Header=BB372_10 Depth=1
	v_and_b32_e32 v2, 0x7f, v0
	v_mov_b32_e32 v4, 0x7f800001
	s_mov_b32 s17, exec_lo
	scratch_store_b64 off, v[4:5], s32 offset:476 ; 8-byte Folded Spill
	s_wait_xcnt 0x0
	v_cmpx_ne_u32_e32 0x7f, v2
	s_cbranch_execz .LBB372_592
; %bb.589:                              ;   in Loop: Header=BB372_10 Depth=1
	v_lshrrev_b32_e32 v4, 3, v2
	v_cmp_gt_u32_e64 s1, 8, v2
	v_mov_b64_e32 v[2:3], v[0:1]
	s_and_saveexec_b32 s18, s1
; %bb.590:                              ;   in Loop: Header=BB372_10 Depth=1
	v_and_b32_e32 v2, 7, v0
	s_delay_alu instid0(VALU_DEP_1) | instskip(NEXT) | instid1(VALU_DEP_1)
	v_clz_i32_u32_e32 v2, v2
	v_min_u32_e32 v4, 32, v2
	s_delay_alu instid0(VALU_DEP_1) | instskip(SKIP_1) | instid1(VALU_DEP_2)
	v_subrev_nc_u32_e32 v2, 28, v4
	v_sub_nc_u32_e32 v4, 29, v4
	v_lshlrev_b64_e32 v[2:3], v2, v[0:1]
; %bb.591:                              ;   in Loop: Header=BB372_10 Depth=1
	s_or_b32 exec_lo, exec_lo, s18
	s_delay_alu instid0(VALU_DEP_1) | instskip(NEXT) | instid1(VALU_DEP_3)
	v_dual_lshlrev_b32 v2, 20, v2 :: v_dual_lshlrev_b32 v3, 24, v0
	v_lshl_add_u32 v4, v4, 23, 0x3c000000
	s_delay_alu instid0(VALU_DEP_2) | instskip(NEXT) | instid1(VALU_DEP_3)
	v_and_b32_e32 v2, 0x700000, v2
	v_and_b32_e32 v3, 0x80000000, v3
	s_delay_alu instid0(VALU_DEP_1)
	v_or3_b32 v2, v2, v3, v4
	scratch_store_b64 off, v[2:3], s32 offset:476 ; 8-byte Folded Spill
.LBB372_592:                            ;   in Loop: Header=BB372_10 Depth=1
	s_wait_xcnt 0x0
	s_or_b32 exec_lo, exec_lo, s17
.LBB372_593:                            ;   in Loop: Header=BB372_10 Depth=1
	s_delay_alu instid0(SALU_CYCLE_1)
	s_or_b32 exec_lo, exec_lo, s16
.LBB372_594:                            ;   in Loop: Header=BB372_10 Depth=1
	s_delay_alu instid0(SALU_CYCLE_1)
	s_or_b32 exec_lo, exec_lo, s11
	v_mov_b32_e32 v4, 0
	v_lshrrev_b16 v2, 8, v0
	s_mov_b32 s11, exec_lo
	s_clause 0x1
	scratch_store_b64 off, v[4:5], s32 offset:484
	scratch_load_b64 v[4:5], off, s32 offset:476
	s_wait_loadcnt 0x0
	v_mov_b32_e32 v5, 0
	scratch_store_b64 off, v[4:5], s32 offset:476 ; 8-byte Folded Spill
	s_wait_xcnt 0x0
	v_cmpx_ne_u16_e32 0, v2
	s_cbranch_execz .LBB372_602
; %bb.595:                              ;   in Loop: Header=BB372_10 Depth=1
	scratch_load_b64 v[4:5], off, s32 offset:476 ; 8-byte Folded Reload
	s_wait_loadcnt 0x0
	v_bfrev_b32_e32 v5, 1
	s_mov_b32 s16, exec_lo
	scratch_store_b64 off, v[4:5], s32 offset:476 ; 8-byte Folded Spill
	s_wait_xcnt 0x0
	v_cmpx_ne_u16_e32 0x80, v2
	s_cbranch_execz .LBB372_601
; %bb.596:                              ;   in Loop: Header=BB372_10 Depth=1
	scratch_load_b64 v[4:5], off, s32 offset:476 ; 8-byte Folded Reload
	v_and_b32_e32 v3, 0xffff, v2
	s_wait_loadcnt 0x0
	v_mov_b32_e32 v5, 0x7f800001
	s_mov_b32 s17, exec_lo
	s_delay_alu instid0(VALU_DEP_2)
	v_and_b32_e32 v2, 0x7f, v3
	scratch_store_b64 off, v[4:5], s32 offset:476 ; 8-byte Folded Spill
	s_wait_xcnt 0x0
	v_cmpx_ne_u32_e32 0x7f, v2
	s_cbranch_execz .LBB372_600
; %bb.597:                              ;   in Loop: Header=BB372_10 Depth=1
	v_dual_lshrrev_b32 v4, 3, v2 :: v_dual_bitop2_b32 v16, 7, v3 bitop3:0x40
	v_cmp_gt_u32_e64 s1, 8, v2
	s_delay_alu instid0(VALU_DEP_2)
	v_mov_b64_e32 v[2:3], v[16:17]
	s_and_saveexec_b32 s18, s1
; %bb.598:                              ;   in Loop: Header=BB372_10 Depth=1
	v_clz_i32_u32_e32 v2, v16
	s_delay_alu instid0(VALU_DEP_1) | instskip(NEXT) | instid1(VALU_DEP_1)
	v_min_u32_e32 v4, 32, v2
	v_subrev_nc_u32_e32 v2, 28, v4
	s_delay_alu instid0(VALU_DEP_1) | instskip(NEXT) | instid1(VALU_DEP_1)
	v_lshlrev_b64_e32 v[2:3], v2, v[16:17]
	v_dual_sub_nc_u32 v4, 29, v4 :: v_dual_bitop2_b32 v2, 7, v2 bitop3:0x40
; %bb.599:                              ;   in Loop: Header=BB372_10 Depth=1
	s_or_b32 exec_lo, exec_lo, s18
	scratch_load_b64 v[6:7], off, s32 offset:476 ; 8-byte Folded Reload
	v_dual_lshlrev_b32 v3, 16, v0 :: v_dual_lshlrev_b32 v2, 20, v2
	v_lshl_add_u32 v4, v4, 23, 0x3c000000
	s_delay_alu instid0(VALU_DEP_2) | instskip(SKIP_1) | instid1(VALU_DEP_1)
	v_and_b32_e32 v3, 0x80000000, v3
	s_wait_loadcnt 0x0
	v_or3_b32 v7, v2, v3, v4
	scratch_store_b64 off, v[6:7], s32 offset:476 ; 8-byte Folded Spill
.LBB372_600:                            ;   in Loop: Header=BB372_10 Depth=1
	s_wait_xcnt 0x0
	s_or_b32 exec_lo, exec_lo, s17
.LBB372_601:                            ;   in Loop: Header=BB372_10 Depth=1
	s_delay_alu instid0(SALU_CYCLE_1)
	s_or_b32 exec_lo, exec_lo, s16
.LBB372_602:                            ;   in Loop: Header=BB372_10 Depth=1
	s_delay_alu instid0(SALU_CYCLE_1) | instskip(SKIP_2) | instid1(VALU_DEP_1)
	s_or_b32 exec_lo, exec_lo, s11
	v_lshrrev_b32_e32 v4, 16, v0
	s_mov_b32 s11, exec_lo
	v_and_b32_e32 v2, 0xff, v4
	s_delay_alu instid0(VALU_DEP_1)
	v_cmpx_ne_u16_e32 0, v2
	s_cbranch_execz .LBB372_610
; %bb.603:                              ;   in Loop: Header=BB372_10 Depth=1
	v_cmp_ne_u16_e64 s1, 0x80, v2
	v_bfrev_b32_e32 v2, 1
	scratch_store_b64 off, v[2:3], s32 offset:484 ; 8-byte Folded Spill
	s_wait_xcnt 0x0
	s_and_saveexec_b32 s16, s1
	s_cbranch_execz .LBB372_609
; %bb.604:                              ;   in Loop: Header=BB372_10 Depth=1
	v_bfe_u32 v2, v0, 16, 7
	v_mov_b32_e32 v6, 0x7f800001
	s_mov_b32 s17, exec_lo
	scratch_store_b64 off, v[6:7], s32 offset:484 ; 8-byte Folded Spill
	s_wait_xcnt 0x0
	v_cmpx_ne_u32_e32 0x7f, v2
	s_cbranch_execz .LBB372_608
; %bb.605:                              ;   in Loop: Header=BB372_10 Depth=1
	v_dual_lshrrev_b32 v5, 3, v2 :: v_dual_bitop2_b32 v16, 7, v4 bitop3:0x40
	v_cmp_gt_u32_e64 s1, 8, v2
	s_delay_alu instid0(VALU_DEP_2)
	v_mov_b64_e32 v[2:3], v[16:17]
	s_and_saveexec_b32 s18, s1
; %bb.606:                              ;   in Loop: Header=BB372_10 Depth=1
	v_clz_i32_u32_e32 v2, v16
	s_delay_alu instid0(VALU_DEP_1) | instskip(NEXT) | instid1(VALU_DEP_1)
	v_min_u32_e32 v5, 32, v2
	v_subrev_nc_u32_e32 v2, 28, v5
	s_delay_alu instid0(VALU_DEP_1) | instskip(NEXT) | instid1(VALU_DEP_1)
	v_lshlrev_b64_e32 v[2:3], v2, v[16:17]
	v_dual_sub_nc_u32 v5, 29, v5 :: v_dual_bitop2_b32 v2, 7, v2 bitop3:0x40
; %bb.607:                              ;   in Loop: Header=BB372_10 Depth=1
	s_or_b32 exec_lo, exec_lo, s18
	s_delay_alu instid0(VALU_DEP_1) | instskip(NEXT) | instid1(VALU_DEP_2)
	v_dual_lshlrev_b32 v3, 24, v4 :: v_dual_lshlrev_b32 v2, 20, v2
	v_lshl_add_u32 v4, v5, 23, 0x3c000000
	s_delay_alu instid0(VALU_DEP_2) | instskip(NEXT) | instid1(VALU_DEP_1)
	v_and_b32_e32 v3, 0x80000000, v3
	v_or3_b32 v2, v2, v3, v4
	scratch_store_b64 off, v[2:3], s32 offset:484 ; 8-byte Folded Spill
.LBB372_608:                            ;   in Loop: Header=BB372_10 Depth=1
	s_wait_xcnt 0x0
	s_or_b32 exec_lo, exec_lo, s17
.LBB372_609:                            ;   in Loop: Header=BB372_10 Depth=1
	s_delay_alu instid0(SALU_CYCLE_1)
	s_or_b32 exec_lo, exec_lo, s16
.LBB372_610:                            ;   in Loop: Header=BB372_10 Depth=1
	s_delay_alu instid0(SALU_CYCLE_1)
	s_or_b32 exec_lo, exec_lo, s11
	v_mov_b32_e32 v2, 0
	s_mov_b32 s11, exec_lo
	s_clause 0x1
	scratch_store_b64 off, v[2:3], s32 offset:492
	scratch_load_b64 v[2:3], off, s32 offset:484
	s_wait_loadcnt 0x0
	v_mov_b32_e32 v3, 0
	scratch_store_b64 off, v[2:3], s32 offset:484 ; 8-byte Folded Spill
	s_wait_xcnt 0x0
	v_cmpx_lt_u32_e32 0xffffff, v0
	s_cbranch_execz .LBB372_618
; %bb.611:                              ;   in Loop: Header=BB372_10 Depth=1
	scratch_load_b64 v[2:3], off, s32 offset:484 ; 8-byte Folded Reload
	v_lshrrev_b32_e32 v4, 24, v0
	s_wait_loadcnt 0x0
	v_bfrev_b32_e32 v3, 1
	s_mov_b32 s16, exec_lo
	scratch_store_b64 off, v[2:3], s32 offset:484 ; 8-byte Folded Spill
	s_wait_xcnt 0x0
	v_cmpx_ne_u32_e32 0x80, v4
	s_cbranch_execz .LBB372_617
; %bb.612:                              ;   in Loop: Header=BB372_10 Depth=1
	scratch_load_b64 v[6:7], off, s32 offset:484 ; 8-byte Folded Reload
	v_bfe_u32 v2, v0, 24, 7
	s_wait_loadcnt 0x0
	v_mov_b32_e32 v7, 0x7f800001
	s_mov_b32 s17, exec_lo
	scratch_store_b64 off, v[6:7], s32 offset:484 ; 8-byte Folded Spill
	s_wait_xcnt 0x0
	v_cmpx_ne_u32_e32 0x7f, v2
	s_cbranch_execz .LBB372_616
; %bb.613:                              ;   in Loop: Header=BB372_10 Depth=1
	v_dual_lshrrev_b32 v5, 3, v2 :: v_dual_bitop2_b32 v16, 7, v4 bitop3:0x40
	v_cmp_gt_u32_e64 s1, 8, v2
	s_delay_alu instid0(VALU_DEP_2)
	v_mov_b64_e32 v[2:3], v[16:17]
	s_and_saveexec_b32 s18, s1
; %bb.614:                              ;   in Loop: Header=BB372_10 Depth=1
	v_clz_i32_u32_e32 v2, v16
	s_delay_alu instid0(VALU_DEP_1) | instskip(NEXT) | instid1(VALU_DEP_1)
	v_min_u32_e32 v5, 32, v2
	v_subrev_nc_u32_e32 v2, 28, v5
	s_delay_alu instid0(VALU_DEP_1) | instskip(NEXT) | instid1(VALU_DEP_1)
	v_lshlrev_b64_e32 v[2:3], v2, v[16:17]
	v_dual_sub_nc_u32 v5, 29, v5 :: v_dual_bitop2_b32 v2, 7, v2 bitop3:0x40
; %bb.615:                              ;   in Loop: Header=BB372_10 Depth=1
	s_or_b32 exec_lo, exec_lo, s18
	scratch_load_b64 v[6:7], off, s32 offset:484 ; 8-byte Folded Reload
	v_dual_lshlrev_b32 v3, 24, v4 :: v_dual_lshlrev_b32 v2, 20, v2
	v_lshl_add_u32 v4, v5, 23, 0x3c000000
	s_delay_alu instid0(VALU_DEP_2) | instskip(SKIP_1) | instid1(VALU_DEP_1)
	v_and_b32_e32 v3, 0x80000000, v3
	s_wait_loadcnt 0x0
	v_or3_b32 v7, v2, v3, v4
	scratch_store_b64 off, v[6:7], s32 offset:484 ; 8-byte Folded Spill
.LBB372_616:                            ;   in Loop: Header=BB372_10 Depth=1
	s_wait_xcnt 0x0
	s_or_b32 exec_lo, exec_lo, s17
.LBB372_617:                            ;   in Loop: Header=BB372_10 Depth=1
	s_delay_alu instid0(SALU_CYCLE_1)
	s_or_b32 exec_lo, exec_lo, s16
.LBB372_618:                            ;   in Loop: Header=BB372_10 Depth=1
	s_delay_alu instid0(SALU_CYCLE_1) | instskip(SKIP_3) | instid1(VALU_DEP_2)
	s_or_b32 exec_lo, exec_lo, s11
	v_and_b32_e32 v2, 0xff, v1
	v_mov_b32_e32 v16, v1
	s_mov_b32 s11, exec_lo
	v_cmpx_ne_u16_e32 0, v2
	s_cbranch_execz .LBB372_626
; %bb.619:                              ;   in Loop: Header=BB372_10 Depth=1
	v_cmp_ne_u16_e64 s1, 0x80, v2
	v_bfrev_b32_e32 v2, 1
	scratch_store_b64 off, v[2:3], s32 offset:492 ; 8-byte Folded Spill
	s_wait_xcnt 0x0
	s_and_saveexec_b32 s16, s1
	s_cbranch_execz .LBB372_625
; %bb.620:                              ;   in Loop: Header=BB372_10 Depth=1
	v_and_b32_e32 v2, 0x7f, v1
	v_mov_b32_e32 v4, 0x7f800001
	s_mov_b32 s17, exec_lo
	scratch_store_b64 off, v[4:5], s32 offset:492 ; 8-byte Folded Spill
	s_wait_xcnt 0x0
	v_cmpx_ne_u32_e32 0x7f, v2
	s_cbranch_execz .LBB372_624
; %bb.621:                              ;   in Loop: Header=BB372_10 Depth=1
	v_lshrrev_b32_e32 v4, 3, v2
	v_cmp_gt_u32_e64 s1, 8, v2
	v_mov_b64_e32 v[2:3], v[16:17]
	s_and_saveexec_b32 s18, s1
; %bb.622:                              ;   in Loop: Header=BB372_10 Depth=1
	v_and_b32_e32 v2, 7, v1
	s_delay_alu instid0(VALU_DEP_1) | instskip(NEXT) | instid1(VALU_DEP_1)
	v_clz_i32_u32_e32 v2, v2
	v_min_u32_e32 v4, 32, v2
	s_delay_alu instid0(VALU_DEP_1) | instskip(SKIP_1) | instid1(VALU_DEP_2)
	v_subrev_nc_u32_e32 v2, 28, v4
	v_sub_nc_u32_e32 v4, 29, v4
	v_lshlrev_b64_e32 v[2:3], v2, v[16:17]
; %bb.623:                              ;   in Loop: Header=BB372_10 Depth=1
	s_or_b32 exec_lo, exec_lo, s18
	s_delay_alu instid0(VALU_DEP_1) | instskip(NEXT) | instid1(VALU_DEP_3)
	v_dual_lshlrev_b32 v2, 20, v2 :: v_dual_lshlrev_b32 v3, 24, v16
	v_lshl_add_u32 v4, v4, 23, 0x3c000000
	s_delay_alu instid0(VALU_DEP_2) | instskip(NEXT) | instid1(VALU_DEP_3)
	v_and_b32_e32 v2, 0x700000, v2
	v_and_b32_e32 v3, 0x80000000, v3
	s_delay_alu instid0(VALU_DEP_1)
	v_or3_b32 v2, v2, v3, v4
	scratch_store_b64 off, v[2:3], s32 offset:492 ; 8-byte Folded Spill
.LBB372_624:                            ;   in Loop: Header=BB372_10 Depth=1
	s_wait_xcnt 0x0
	s_or_b32 exec_lo, exec_lo, s17
.LBB372_625:                            ;   in Loop: Header=BB372_10 Depth=1
	s_delay_alu instid0(SALU_CYCLE_1)
	s_or_b32 exec_lo, exec_lo, s16
.LBB372_626:                            ;   in Loop: Header=BB372_10 Depth=1
	s_delay_alu instid0(SALU_CYCLE_1)
	s_or_b32 exec_lo, exec_lo, s11
	v_mov_b32_e32 v4, 0
	v_lshrrev_b16 v2, 8, v16
	s_mov_b32 s11, exec_lo
	s_clause 0x1
	scratch_store_b64 off, v[4:5], s32 offset:500
	scratch_load_b64 v[4:5], off, s32 offset:492
	s_wait_loadcnt 0x0
	v_mov_b32_e32 v5, 0
	scratch_store_b64 off, v[4:5], s32 offset:492 ; 8-byte Folded Spill
	s_wait_xcnt 0x0
	v_cmpx_ne_u16_e32 0, v2
	s_cbranch_execz .LBB372_634
; %bb.627:                              ;   in Loop: Header=BB372_10 Depth=1
	scratch_load_b64 v[4:5], off, s32 offset:492 ; 8-byte Folded Reload
	s_wait_loadcnt 0x0
	v_bfrev_b32_e32 v5, 1
	s_mov_b32 s16, exec_lo
	scratch_store_b64 off, v[4:5], s32 offset:492 ; 8-byte Folded Spill
	s_wait_xcnt 0x0
	v_cmpx_ne_u16_e32 0x80, v2
	s_cbranch_execz .LBB372_633
; %bb.628:                              ;   in Loop: Header=BB372_10 Depth=1
	scratch_load_b64 v[6:7], off, s32 offset:492 ; 8-byte Folded Reload
	v_and_b32_e32 v2, 0xffff, v2
	s_wait_loadcnt 0x0
	v_mov_b32_e32 v7, 0x7f800001
	s_mov_b32 s17, exec_lo
	s_delay_alu instid0(VALU_DEP_2)
	v_and_b32_e32 v5, 0x7f, v2
	scratch_store_b64 off, v[6:7], s32 offset:492 ; 8-byte Folded Spill
	s_wait_xcnt 0x0
	v_cmpx_ne_u32_e32 0x7f, v5
	s_cbranch_execz .LBB372_632
; %bb.629:                              ;   in Loop: Header=BB372_10 Depth=1
	v_dual_mov_b32 v3, v17 :: v_dual_bitop2_b32 v2, 7, v2 bitop3:0x40
	v_lshrrev_b32_e32 v4, 3, v5
	s_mov_b32 s18, exec_lo
	v_cmpx_gt_u32_e32 8, v5
; %bb.630:                              ;   in Loop: Header=BB372_10 Depth=1
	s_delay_alu instid0(VALU_DEP_3) | instskip(NEXT) | instid1(VALU_DEP_1)
	v_clz_i32_u32_e32 v4, v2
	v_min_u32_e32 v4, 32, v4
	s_delay_alu instid0(VALU_DEP_1) | instskip(NEXT) | instid1(VALU_DEP_1)
	v_subrev_nc_u32_e32 v5, 28, v4
	v_lshlrev_b64_e32 v[2:3], v5, v[2:3]
	s_delay_alu instid0(VALU_DEP_1)
	v_dual_sub_nc_u32 v4, 29, v4 :: v_dual_bitop2_b32 v2, 7, v2 bitop3:0x40
; %bb.631:                              ;   in Loop: Header=BB372_10 Depth=1
	s_or_b32 exec_lo, exec_lo, s18
	scratch_load_b64 v[6:7], off, s32 offset:492 ; 8-byte Folded Reload
	v_dual_lshlrev_b32 v3, 16, v16 :: v_dual_lshlrev_b32 v2, 20, v2
	v_lshl_add_u32 v4, v4, 23, 0x3c000000
	s_delay_alu instid0(VALU_DEP_2) | instskip(SKIP_1) | instid1(VALU_DEP_1)
	v_and_b32_e32 v3, 0x80000000, v3
	s_wait_loadcnt 0x0
	v_or3_b32 v7, v2, v3, v4
	scratch_store_b64 off, v[6:7], s32 offset:492 ; 8-byte Folded Spill
.LBB372_632:                            ;   in Loop: Header=BB372_10 Depth=1
	s_wait_xcnt 0x0
	s_or_b32 exec_lo, exec_lo, s17
.LBB372_633:                            ;   in Loop: Header=BB372_10 Depth=1
	s_delay_alu instid0(SALU_CYCLE_1)
	s_or_b32 exec_lo, exec_lo, s16
.LBB372_634:                            ;   in Loop: Header=BB372_10 Depth=1
	s_delay_alu instid0(SALU_CYCLE_1) | instskip(SKIP_2) | instid1(VALU_DEP_1)
	s_or_b32 exec_lo, exec_lo, s11
	v_lshrrev_b32_e32 v4, 16, v1
	s_mov_b32 s11, exec_lo
	v_and_b32_e32 v2, 0xff, v4
	s_delay_alu instid0(VALU_DEP_1)
	v_cmpx_ne_u16_e32 0, v2
	s_cbranch_execz .LBB372_642
; %bb.635:                              ;   in Loop: Header=BB372_10 Depth=1
	v_cmp_ne_u16_e64 s1, 0x80, v2
	v_bfrev_b32_e32 v2, 1
	scratch_store_b64 off, v[2:3], s32 offset:500 ; 8-byte Folded Spill
	s_wait_xcnt 0x0
	s_and_saveexec_b32 s16, s1
	s_cbranch_execz .LBB372_641
; %bb.636:                              ;   in Loop: Header=BB372_10 Depth=1
	v_bfe_u32 v2, v1, 16, 7
	v_mov_b32_e32 v6, 0x7f800001
	s_mov_b32 s17, exec_lo
	scratch_store_b64 off, v[6:7], s32 offset:500 ; 8-byte Folded Spill
	s_wait_xcnt 0x0
	v_cmpx_ne_u32_e32 0x7f, v2
	s_cbranch_execz .LBB372_640
; %bb.637:                              ;   in Loop: Header=BB372_10 Depth=1
	v_dual_lshrrev_b32 v5, 3, v2 :: v_dual_bitop2_b32 v16, 7, v4 bitop3:0x40
	v_cmp_gt_u32_e64 s1, 8, v2
	s_delay_alu instid0(VALU_DEP_2)
	v_mov_b64_e32 v[2:3], v[16:17]
	s_and_saveexec_b32 s18, s1
; %bb.638:                              ;   in Loop: Header=BB372_10 Depth=1
	v_clz_i32_u32_e32 v2, v16
	s_delay_alu instid0(VALU_DEP_1) | instskip(NEXT) | instid1(VALU_DEP_1)
	v_min_u32_e32 v5, 32, v2
	v_subrev_nc_u32_e32 v2, 28, v5
	s_delay_alu instid0(VALU_DEP_1) | instskip(NEXT) | instid1(VALU_DEP_1)
	v_lshlrev_b64_e32 v[2:3], v2, v[16:17]
	v_dual_sub_nc_u32 v5, 29, v5 :: v_dual_bitop2_b32 v2, 7, v2 bitop3:0x40
; %bb.639:                              ;   in Loop: Header=BB372_10 Depth=1
	s_or_b32 exec_lo, exec_lo, s18
	s_delay_alu instid0(VALU_DEP_1) | instskip(NEXT) | instid1(VALU_DEP_2)
	v_dual_lshlrev_b32 v3, 24, v4 :: v_dual_lshlrev_b32 v2, 20, v2
	v_lshl_add_u32 v4, v5, 23, 0x3c000000
	s_delay_alu instid0(VALU_DEP_2) | instskip(NEXT) | instid1(VALU_DEP_1)
	v_and_b32_e32 v3, 0x80000000, v3
	v_or3_b32 v2, v2, v3, v4
	scratch_store_b64 off, v[2:3], s32 offset:500 ; 8-byte Folded Spill
.LBB372_640:                            ;   in Loop: Header=BB372_10 Depth=1
	s_wait_xcnt 0x0
	s_or_b32 exec_lo, exec_lo, s17
.LBB372_641:                            ;   in Loop: Header=BB372_10 Depth=1
	s_delay_alu instid0(SALU_CYCLE_1)
	s_or_b32 exec_lo, exec_lo, s16
.LBB372_642:                            ;   in Loop: Header=BB372_10 Depth=1
	s_delay_alu instid0(SALU_CYCLE_1)
	s_or_b32 exec_lo, exec_lo, s11
	scratch_load_b64 v[2:3], off, s32 offset:500 ; 8-byte Folded Reload
	v_cmp_lt_u64_e64 s1, s[2:3], v[0:1]
	s_wait_loadcnt 0x0
	v_dual_mov_b32 v0, 0 :: v_dual_mov_b32 v3, 0
	s_clause 0x1
	scratch_store_b32 off, v0, s32 offset:648
	scratch_store_b64 off, v[2:3], s32 offset:500
	s_wait_xcnt 0x0
	s_and_saveexec_b32 s11, s1
	s_cbranch_execz .LBB372_650
; %bb.643:                              ;   in Loop: Header=BB372_10 Depth=1
	scratch_load_b64 v[4:5], off, s32 offset:500 ; 8-byte Folded Reload
	v_lshrrev_b32_e32 v2, 24, v1
	s_wait_loadcnt 0x0
	v_bfrev_b32_e32 v5, 1
	s_mov_b32 s16, exec_lo
	scratch_store_b64 off, v[4:5], s32 offset:500 ; 8-byte Folded Spill
	s_wait_xcnt 0x0
	v_cmpx_ne_u32_e32 0x80, v2
	s_cbranch_execz .LBB372_649
; %bb.644:                              ;   in Loop: Header=BB372_10 Depth=1
	scratch_load_b64 v[4:5], off, s32 offset:500 ; 8-byte Folded Reload
	v_bfe_u32 v0, v1, 24, 7
	s_wait_loadcnt 0x0
	v_mov_b32_e32 v5, 0x7f800001
	s_mov_b32 s17, exec_lo
	scratch_store_b64 off, v[4:5], s32 offset:500 ; 8-byte Folded Spill
	s_wait_xcnt 0x0
	v_cmpx_ne_u32_e32 0x7f, v0
	s_cbranch_execz .LBB372_648
; %bb.645:                              ;   in Loop: Header=BB372_10 Depth=1
	v_dual_lshrrev_b32 v3, 3, v0 :: v_dual_bitop2_b32 v16, 7, v2 bitop3:0x40
	v_cmp_gt_u32_e64 s1, 8, v0
	s_delay_alu instid0(VALU_DEP_2)
	v_mov_b64_e32 v[0:1], v[16:17]
	s_and_saveexec_b32 s18, s1
; %bb.646:                              ;   in Loop: Header=BB372_10 Depth=1
	v_clz_i32_u32_e32 v0, v16
	s_delay_alu instid0(VALU_DEP_1) | instskip(NEXT) | instid1(VALU_DEP_1)
	v_min_u32_e32 v3, 32, v0
	v_subrev_nc_u32_e32 v0, 28, v3
	s_delay_alu instid0(VALU_DEP_1) | instskip(NEXT) | instid1(VALU_DEP_1)
	v_lshlrev_b64_e32 v[0:1], v0, v[16:17]
	v_dual_sub_nc_u32 v3, 29, v3 :: v_dual_bitop2_b32 v0, 7, v0 bitop3:0x40
; %bb.647:                              ;   in Loop: Header=BB372_10 Depth=1
	s_or_b32 exec_lo, exec_lo, s18
	scratch_load_b64 v[4:5], off, s32 offset:500 ; 8-byte Folded Reload
	v_dual_lshlrev_b32 v1, 24, v2 :: v_dual_lshlrev_b32 v0, 20, v0
	v_lshl_add_u32 v2, v3, 23, 0x3c000000
	s_delay_alu instid0(VALU_DEP_2) | instskip(SKIP_1) | instid1(VALU_DEP_1)
	v_and_b32_e32 v1, 0x80000000, v1
	s_wait_loadcnt 0x0
	v_or3_b32 v5, v0, v1, v2
	scratch_store_b64 off, v[4:5], s32 offset:500 ; 8-byte Folded Spill
.LBB372_648:                            ;   in Loop: Header=BB372_10 Depth=1
	s_wait_xcnt 0x0
	s_or_b32 exec_lo, exec_lo, s17
.LBB372_649:                            ;   in Loop: Header=BB372_10 Depth=1
	s_delay_alu instid0(SALU_CYCLE_1)
	s_or_b32 exec_lo, exec_lo, s16
.LBB372_650:                            ;   in Loop: Header=BB372_10 Depth=1
	s_delay_alu instid0(SALU_CYCLE_1)
	s_or_b32 exec_lo, exec_lo, s11
	flat_load_b64 v[0:1], v[96:97] offset:2560
	s_mov_b32 s11, exec_lo
	s_wait_loadcnt_dscnt 0x0
	v_and_b32_e32 v2, 0xff, v0
	s_wait_xcnt 0x0
	s_delay_alu instid0(VALU_DEP_1)
	v_cmpx_ne_u16_e32 0, v2
	s_cbranch_execz .LBB372_658
; %bb.651:                              ;   in Loop: Header=BB372_10 Depth=1
	v_cmp_ne_u16_e64 s1, 0x80, v2
	v_bfrev_b32_e32 v2, 1
	scratch_store_b32 off, v2, s32 offset:648 ; 4-byte Folded Spill
	s_wait_xcnt 0x0
	s_and_saveexec_b32 s16, s1
	s_cbranch_execz .LBB372_657
; %bb.652:                              ;   in Loop: Header=BB372_10 Depth=1
	v_and_b32_e32 v2, 0x7f, v0
	v_mov_b32_e32 v3, 0x7f800001
	s_mov_b32 s17, exec_lo
	scratch_store_b32 off, v3, s32 offset:648 ; 4-byte Folded Spill
	s_wait_xcnt 0x0
	v_cmpx_ne_u32_e32 0x7f, v2
	s_cbranch_execz .LBB372_656
; %bb.653:                              ;   in Loop: Header=BB372_10 Depth=1
	v_lshrrev_b32_e32 v4, 3, v2
	v_cmp_gt_u32_e64 s1, 8, v2
	v_mov_b64_e32 v[2:3], v[0:1]
	s_and_saveexec_b32 s18, s1
; %bb.654:                              ;   in Loop: Header=BB372_10 Depth=1
	v_and_b32_e32 v2, 7, v0
	s_delay_alu instid0(VALU_DEP_1) | instskip(NEXT) | instid1(VALU_DEP_1)
	v_clz_i32_u32_e32 v2, v2
	v_min_u32_e32 v4, 32, v2
	s_delay_alu instid0(VALU_DEP_1) | instskip(SKIP_1) | instid1(VALU_DEP_2)
	v_subrev_nc_u32_e32 v2, 28, v4
	v_sub_nc_u32_e32 v4, 29, v4
	v_lshlrev_b64_e32 v[2:3], v2, v[0:1]
; %bb.655:                              ;   in Loop: Header=BB372_10 Depth=1
	s_or_b32 exec_lo, exec_lo, s18
	s_delay_alu instid0(VALU_DEP_1) | instskip(NEXT) | instid1(VALU_DEP_3)
	v_dual_lshlrev_b32 v2, 20, v2 :: v_dual_lshlrev_b32 v3, 24, v0
	v_lshl_add_u32 v4, v4, 23, 0x3c000000
	s_delay_alu instid0(VALU_DEP_2) | instskip(NEXT) | instid1(VALU_DEP_3)
	v_and_b32_e32 v2, 0x700000, v2
	v_and_b32_e32 v3, 0x80000000, v3
	s_delay_alu instid0(VALU_DEP_1)
	v_or3_b32 v2, v2, v3, v4
	scratch_store_b32 off, v2, s32 offset:648 ; 4-byte Folded Spill
.LBB372_656:                            ;   in Loop: Header=BB372_10 Depth=1
	s_wait_xcnt 0x0
	s_or_b32 exec_lo, exec_lo, s17
.LBB372_657:                            ;   in Loop: Header=BB372_10 Depth=1
	s_delay_alu instid0(SALU_CYCLE_1)
	s_or_b32 exec_lo, exec_lo, s16
.LBB372_658:                            ;   in Loop: Header=BB372_10 Depth=1
	s_delay_alu instid0(SALU_CYCLE_1)
	s_or_b32 exec_lo, exec_lo, s11
	v_mov_b32_e32 v3, 0
	v_lshrrev_b16 v2, 8, v0
	s_mov_b32 s11, exec_lo
	scratch_store_b32 off, v3, s32 offset:652 ; 4-byte Folded Spill
	s_wait_xcnt 0x0
	v_mov_b32_e32 v3, 0
	scratch_store_b32 off, v3, s32 offset:656 ; 4-byte Folded Spill
	s_wait_xcnt 0x0
	v_cmpx_ne_u16_e32 0, v2
	s_cbranch_execz .LBB372_666
; %bb.659:                              ;   in Loop: Header=BB372_10 Depth=1
	v_bfrev_b32_e32 v3, 1
	s_mov_b32 s16, exec_lo
	scratch_store_b32 off, v3, s32 offset:656 ; 4-byte Folded Spill
	s_wait_xcnt 0x0
	v_cmpx_ne_u16_e32 0x80, v2
	s_cbranch_execz .LBB372_665
; %bb.660:                              ;   in Loop: Header=BB372_10 Depth=1
	v_and_b32_e32 v3, 0xffff, v2
	v_mov_b32_e32 v4, 0x7f800001
	s_mov_b32 s17, exec_lo
	s_delay_alu instid0(VALU_DEP_2)
	v_and_b32_e32 v2, 0x7f, v3
	scratch_store_b32 off, v4, s32 offset:656 ; 4-byte Folded Spill
	s_wait_xcnt 0x0
	v_cmpx_ne_u32_e32 0x7f, v2
	s_cbranch_execz .LBB372_664
; %bb.661:                              ;   in Loop: Header=BB372_10 Depth=1
	v_dual_lshrrev_b32 v4, 3, v2 :: v_dual_bitop2_b32 v16, 7, v3 bitop3:0x40
	v_cmp_gt_u32_e64 s1, 8, v2
	s_delay_alu instid0(VALU_DEP_2)
	v_mov_b64_e32 v[2:3], v[16:17]
	s_and_saveexec_b32 s18, s1
; %bb.662:                              ;   in Loop: Header=BB372_10 Depth=1
	v_clz_i32_u32_e32 v2, v16
	s_delay_alu instid0(VALU_DEP_1) | instskip(NEXT) | instid1(VALU_DEP_1)
	v_min_u32_e32 v4, 32, v2
	v_subrev_nc_u32_e32 v2, 28, v4
	s_delay_alu instid0(VALU_DEP_1) | instskip(NEXT) | instid1(VALU_DEP_1)
	v_lshlrev_b64_e32 v[2:3], v2, v[16:17]
	v_dual_sub_nc_u32 v4, 29, v4 :: v_dual_bitop2_b32 v2, 7, v2 bitop3:0x40
; %bb.663:                              ;   in Loop: Header=BB372_10 Depth=1
	s_or_b32 exec_lo, exec_lo, s18
	s_delay_alu instid0(VALU_DEP_1) | instskip(NEXT) | instid1(VALU_DEP_2)
	v_dual_lshlrev_b32 v3, 16, v0 :: v_dual_lshlrev_b32 v2, 20, v2
	v_lshl_add_u32 v4, v4, 23, 0x3c000000
	s_delay_alu instid0(VALU_DEP_2) | instskip(NEXT) | instid1(VALU_DEP_1)
	v_and_b32_e32 v3, 0x80000000, v3
	v_or3_b32 v2, v2, v3, v4
	scratch_store_b32 off, v2, s32 offset:656 ; 4-byte Folded Spill
.LBB372_664:                            ;   in Loop: Header=BB372_10 Depth=1
	s_wait_xcnt 0x0
	s_or_b32 exec_lo, exec_lo, s17
.LBB372_665:                            ;   in Loop: Header=BB372_10 Depth=1
	s_delay_alu instid0(SALU_CYCLE_1)
	s_or_b32 exec_lo, exec_lo, s16
.LBB372_666:                            ;   in Loop: Header=BB372_10 Depth=1
	s_delay_alu instid0(SALU_CYCLE_1) | instskip(SKIP_2) | instid1(VALU_DEP_1)
	s_or_b32 exec_lo, exec_lo, s11
	v_lshrrev_b32_e32 v4, 16, v0
	s_mov_b32 s11, exec_lo
	v_and_b32_e32 v2, 0xff, v4
	s_delay_alu instid0(VALU_DEP_1)
	v_cmpx_ne_u16_e32 0, v2
	s_cbranch_execz .LBB372_674
; %bb.667:                              ;   in Loop: Header=BB372_10 Depth=1
	v_cmp_ne_u16_e64 s1, 0x80, v2
	v_bfrev_b32_e32 v2, 1
	scratch_store_b32 off, v2, s32 offset:652 ; 4-byte Folded Spill
	s_wait_xcnt 0x0
	s_and_saveexec_b32 s16, s1
	s_cbranch_execz .LBB372_673
; %bb.668:                              ;   in Loop: Header=BB372_10 Depth=1
	v_bfe_u32 v2, v0, 16, 7
	v_mov_b32_e32 v3, 0x7f800001
	s_mov_b32 s17, exec_lo
	scratch_store_b32 off, v3, s32 offset:652 ; 4-byte Folded Spill
	s_wait_xcnt 0x0
	v_cmpx_ne_u32_e32 0x7f, v2
	s_cbranch_execz .LBB372_672
; %bb.669:                              ;   in Loop: Header=BB372_10 Depth=1
	v_dual_lshrrev_b32 v5, 3, v2 :: v_dual_bitop2_b32 v16, 7, v4 bitop3:0x40
	v_cmp_gt_u32_e64 s1, 8, v2
	s_delay_alu instid0(VALU_DEP_2)
	v_mov_b64_e32 v[2:3], v[16:17]
	s_and_saveexec_b32 s18, s1
; %bb.670:                              ;   in Loop: Header=BB372_10 Depth=1
	v_clz_i32_u32_e32 v2, v16
	s_delay_alu instid0(VALU_DEP_1) | instskip(NEXT) | instid1(VALU_DEP_1)
	v_min_u32_e32 v5, 32, v2
	v_subrev_nc_u32_e32 v2, 28, v5
	s_delay_alu instid0(VALU_DEP_1) | instskip(NEXT) | instid1(VALU_DEP_1)
	v_lshlrev_b64_e32 v[2:3], v2, v[16:17]
	v_dual_sub_nc_u32 v5, 29, v5 :: v_dual_bitop2_b32 v2, 7, v2 bitop3:0x40
; %bb.671:                              ;   in Loop: Header=BB372_10 Depth=1
	s_or_b32 exec_lo, exec_lo, s18
	s_delay_alu instid0(VALU_DEP_1) | instskip(NEXT) | instid1(VALU_DEP_2)
	v_dual_lshlrev_b32 v3, 24, v4 :: v_dual_lshlrev_b32 v2, 20, v2
	v_lshl_add_u32 v4, v5, 23, 0x3c000000
	s_delay_alu instid0(VALU_DEP_2) | instskip(NEXT) | instid1(VALU_DEP_1)
	v_and_b32_e32 v3, 0x80000000, v3
	v_or3_b32 v2, v2, v3, v4
	scratch_store_b32 off, v2, s32 offset:652 ; 4-byte Folded Spill
.LBB372_672:                            ;   in Loop: Header=BB372_10 Depth=1
	s_wait_xcnt 0x0
	s_or_b32 exec_lo, exec_lo, s17
.LBB372_673:                            ;   in Loop: Header=BB372_10 Depth=1
	s_delay_alu instid0(SALU_CYCLE_1)
	s_or_b32 exec_lo, exec_lo, s16
.LBB372_674:                            ;   in Loop: Header=BB372_10 Depth=1
	s_delay_alu instid0(SALU_CYCLE_1)
	s_or_b32 exec_lo, exec_lo, s11
	v_mov_b32_e32 v2, 0
	s_mov_b32 s11, exec_lo
	scratch_store_b32 off, v2, s32 offset:660 ; 4-byte Folded Spill
	s_wait_xcnt 0x0
	v_mov_b32_e32 v2, 0
	scratch_store_b32 off, v2, s32 offset:664 ; 4-byte Folded Spill
	s_wait_xcnt 0x0
	v_cmpx_lt_u32_e32 0xffffff, v0
	s_cbranch_execz .LBB372_682
; %bb.675:                              ;   in Loop: Header=BB372_10 Depth=1
	v_lshrrev_b32_e32 v4, 24, v0
	v_bfrev_b32_e32 v2, 1
	s_mov_b32 s16, exec_lo
	scratch_store_b32 off, v2, s32 offset:664 ; 4-byte Folded Spill
	s_wait_xcnt 0x0
	v_cmpx_ne_u32_e32 0x80, v4
	s_cbranch_execz .LBB372_681
; %bb.676:                              ;   in Loop: Header=BB372_10 Depth=1
	v_bfe_u32 v2, v0, 24, 7
	v_mov_b32_e32 v3, 0x7f800001
	s_mov_b32 s17, exec_lo
	scratch_store_b32 off, v3, s32 offset:664 ; 4-byte Folded Spill
	s_wait_xcnt 0x0
	v_cmpx_ne_u32_e32 0x7f, v2
	s_cbranch_execz .LBB372_680
; %bb.677:                              ;   in Loop: Header=BB372_10 Depth=1
	v_dual_lshrrev_b32 v5, 3, v2 :: v_dual_bitop2_b32 v16, 7, v4 bitop3:0x40
	v_cmp_gt_u32_e64 s1, 8, v2
	s_delay_alu instid0(VALU_DEP_2)
	v_mov_b64_e32 v[2:3], v[16:17]
	s_and_saveexec_b32 s18, s1
; %bb.678:                              ;   in Loop: Header=BB372_10 Depth=1
	v_clz_i32_u32_e32 v2, v16
	s_delay_alu instid0(VALU_DEP_1) | instskip(NEXT) | instid1(VALU_DEP_1)
	v_min_u32_e32 v5, 32, v2
	v_subrev_nc_u32_e32 v2, 28, v5
	s_delay_alu instid0(VALU_DEP_1) | instskip(NEXT) | instid1(VALU_DEP_1)
	v_lshlrev_b64_e32 v[2:3], v2, v[16:17]
	v_dual_sub_nc_u32 v5, 29, v5 :: v_dual_bitop2_b32 v2, 7, v2 bitop3:0x40
; %bb.679:                              ;   in Loop: Header=BB372_10 Depth=1
	s_or_b32 exec_lo, exec_lo, s18
	s_delay_alu instid0(VALU_DEP_1) | instskip(NEXT) | instid1(VALU_DEP_2)
	v_dual_lshlrev_b32 v3, 24, v4 :: v_dual_lshlrev_b32 v2, 20, v2
	v_lshl_add_u32 v4, v5, 23, 0x3c000000
	s_delay_alu instid0(VALU_DEP_2) | instskip(NEXT) | instid1(VALU_DEP_1)
	v_and_b32_e32 v3, 0x80000000, v3
	v_or3_b32 v2, v2, v3, v4
	scratch_store_b32 off, v2, s32 offset:664 ; 4-byte Folded Spill
.LBB372_680:                            ;   in Loop: Header=BB372_10 Depth=1
	s_wait_xcnt 0x0
	s_or_b32 exec_lo, exec_lo, s17
.LBB372_681:                            ;   in Loop: Header=BB372_10 Depth=1
	s_delay_alu instid0(SALU_CYCLE_1)
	s_or_b32 exec_lo, exec_lo, s16
.LBB372_682:                            ;   in Loop: Header=BB372_10 Depth=1
	s_delay_alu instid0(SALU_CYCLE_1) | instskip(SKIP_3) | instid1(VALU_DEP_2)
	s_or_b32 exec_lo, exec_lo, s11
	v_and_b32_e32 v2, 0xff, v1
	v_mov_b32_e32 v16, v1
	s_mov_b32 s11, exec_lo
	v_cmpx_ne_u16_e32 0, v2
	s_cbranch_execz .LBB372_690
; %bb.683:                              ;   in Loop: Header=BB372_10 Depth=1
	v_cmp_ne_u16_e64 s1, 0x80, v2
	v_bfrev_b32_e32 v2, 1
	scratch_store_b32 off, v2, s32 offset:660 ; 4-byte Folded Spill
	s_wait_xcnt 0x0
	s_and_saveexec_b32 s16, s1
	s_cbranch_execz .LBB372_689
; %bb.684:                              ;   in Loop: Header=BB372_10 Depth=1
	v_and_b32_e32 v2, 0x7f, v1
	v_mov_b32_e32 v3, 0x7f800001
	s_mov_b32 s17, exec_lo
	scratch_store_b32 off, v3, s32 offset:660 ; 4-byte Folded Spill
	s_wait_xcnt 0x0
	v_cmpx_ne_u32_e32 0x7f, v2
	s_cbranch_execz .LBB372_688
; %bb.685:                              ;   in Loop: Header=BB372_10 Depth=1
	v_lshrrev_b32_e32 v4, 3, v2
	v_cmp_gt_u32_e64 s1, 8, v2
	v_mov_b64_e32 v[2:3], v[16:17]
	s_and_saveexec_b32 s18, s1
; %bb.686:                              ;   in Loop: Header=BB372_10 Depth=1
	v_and_b32_e32 v2, 7, v1
	s_delay_alu instid0(VALU_DEP_1) | instskip(NEXT) | instid1(VALU_DEP_1)
	v_clz_i32_u32_e32 v2, v2
	v_min_u32_e32 v4, 32, v2
	s_delay_alu instid0(VALU_DEP_1) | instskip(SKIP_1) | instid1(VALU_DEP_2)
	v_subrev_nc_u32_e32 v2, 28, v4
	v_sub_nc_u32_e32 v4, 29, v4
	v_lshlrev_b64_e32 v[2:3], v2, v[16:17]
; %bb.687:                              ;   in Loop: Header=BB372_10 Depth=1
	s_or_b32 exec_lo, exec_lo, s18
	s_delay_alu instid0(VALU_DEP_1) | instskip(NEXT) | instid1(VALU_DEP_3)
	v_dual_lshlrev_b32 v2, 20, v2 :: v_dual_lshlrev_b32 v3, 24, v16
	v_lshl_add_u32 v4, v4, 23, 0x3c000000
	s_delay_alu instid0(VALU_DEP_2) | instskip(NEXT) | instid1(VALU_DEP_3)
	v_and_b32_e32 v2, 0x700000, v2
	v_and_b32_e32 v3, 0x80000000, v3
	s_delay_alu instid0(VALU_DEP_1)
	v_or3_b32 v2, v2, v3, v4
	scratch_store_b32 off, v2, s32 offset:660 ; 4-byte Folded Spill
.LBB372_688:                            ;   in Loop: Header=BB372_10 Depth=1
	s_wait_xcnt 0x0
	s_or_b32 exec_lo, exec_lo, s17
.LBB372_689:                            ;   in Loop: Header=BB372_10 Depth=1
	s_delay_alu instid0(SALU_CYCLE_1)
	s_or_b32 exec_lo, exec_lo, s16
.LBB372_690:                            ;   in Loop: Header=BB372_10 Depth=1
	s_delay_alu instid0(SALU_CYCLE_1)
	s_or_b32 exec_lo, exec_lo, s11
	v_mov_b32_e32 v3, 0
	v_lshrrev_b16 v2, 8, v16
	s_mov_b32 s11, exec_lo
	scratch_store_b32 off, v3, s32 offset:668 ; 4-byte Folded Spill
	s_wait_xcnt 0x0
	v_mov_b32_e32 v3, 0
	scratch_store_b32 off, v3, s32 offset:672 ; 4-byte Folded Spill
	s_wait_xcnt 0x0
	v_cmpx_ne_u16_e32 0, v2
	s_cbranch_execz .LBB372_698
; %bb.691:                              ;   in Loop: Header=BB372_10 Depth=1
	v_bfrev_b32_e32 v3, 1
	s_mov_b32 s16, exec_lo
	scratch_store_b32 off, v3, s32 offset:672 ; 4-byte Folded Spill
	s_wait_xcnt 0x0
	v_cmpx_ne_u16_e32 0x80, v2
	s_cbranch_execz .LBB372_697
; %bb.692:                              ;   in Loop: Header=BB372_10 Depth=1
	v_and_b32_e32 v2, 0xffff, v2
	v_mov_b32_e32 v3, 0x7f800001
	s_mov_b32 s17, exec_lo
	s_delay_alu instid0(VALU_DEP_2)
	v_and_b32_e32 v5, 0x7f, v2
	scratch_store_b32 off, v3, s32 offset:672 ; 4-byte Folded Spill
	s_wait_xcnt 0x0
	v_cmpx_ne_u32_e32 0x7f, v5
	s_cbranch_execz .LBB372_696
; %bb.693:                              ;   in Loop: Header=BB372_10 Depth=1
	v_dual_mov_b32 v3, v17 :: v_dual_bitop2_b32 v2, 7, v2 bitop3:0x40
	v_lshrrev_b32_e32 v4, 3, v5
	s_mov_b32 s18, exec_lo
	v_cmpx_gt_u32_e32 8, v5
; %bb.694:                              ;   in Loop: Header=BB372_10 Depth=1
	s_delay_alu instid0(VALU_DEP_3) | instskip(NEXT) | instid1(VALU_DEP_1)
	v_clz_i32_u32_e32 v4, v2
	v_min_u32_e32 v4, 32, v4
	s_delay_alu instid0(VALU_DEP_1) | instskip(NEXT) | instid1(VALU_DEP_1)
	v_subrev_nc_u32_e32 v5, 28, v4
	v_lshlrev_b64_e32 v[2:3], v5, v[2:3]
	s_delay_alu instid0(VALU_DEP_1)
	v_dual_sub_nc_u32 v4, 29, v4 :: v_dual_bitop2_b32 v2, 7, v2 bitop3:0x40
; %bb.695:                              ;   in Loop: Header=BB372_10 Depth=1
	s_or_b32 exec_lo, exec_lo, s18
	s_delay_alu instid0(VALU_DEP_1) | instskip(NEXT) | instid1(VALU_DEP_2)
	v_dual_lshlrev_b32 v3, 16, v16 :: v_dual_lshlrev_b32 v2, 20, v2
	v_lshl_add_u32 v4, v4, 23, 0x3c000000
	s_delay_alu instid0(VALU_DEP_2) | instskip(NEXT) | instid1(VALU_DEP_1)
	v_and_b32_e32 v3, 0x80000000, v3
	v_or3_b32 v2, v2, v3, v4
	scratch_store_b32 off, v2, s32 offset:672 ; 4-byte Folded Spill
.LBB372_696:                            ;   in Loop: Header=BB372_10 Depth=1
	s_wait_xcnt 0x0
	s_or_b32 exec_lo, exec_lo, s17
.LBB372_697:                            ;   in Loop: Header=BB372_10 Depth=1
	s_delay_alu instid0(SALU_CYCLE_1)
	s_or_b32 exec_lo, exec_lo, s16
.LBB372_698:                            ;   in Loop: Header=BB372_10 Depth=1
	s_delay_alu instid0(SALU_CYCLE_1) | instskip(SKIP_2) | instid1(VALU_DEP_1)
	s_or_b32 exec_lo, exec_lo, s11
	v_lshrrev_b32_e32 v4, 16, v1
	s_mov_b32 s11, exec_lo
	v_and_b32_e32 v2, 0xff, v4
	s_delay_alu instid0(VALU_DEP_1)
	v_cmpx_ne_u16_e32 0, v2
	s_cbranch_execz .LBB372_706
; %bb.699:                              ;   in Loop: Header=BB372_10 Depth=1
	v_cmp_ne_u16_e64 s1, 0x80, v2
	v_bfrev_b32_e32 v2, 1
	scratch_store_b32 off, v2, s32 offset:668 ; 4-byte Folded Spill
	s_wait_xcnt 0x0
	s_and_saveexec_b32 s16, s1
	s_cbranch_execz .LBB372_705
; %bb.700:                              ;   in Loop: Header=BB372_10 Depth=1
	v_bfe_u32 v2, v1, 16, 7
	v_mov_b32_e32 v3, 0x7f800001
	s_mov_b32 s17, exec_lo
	scratch_store_b32 off, v3, s32 offset:668 ; 4-byte Folded Spill
	s_wait_xcnt 0x0
	v_cmpx_ne_u32_e32 0x7f, v2
	s_cbranch_execz .LBB372_704
; %bb.701:                              ;   in Loop: Header=BB372_10 Depth=1
	v_dual_lshrrev_b32 v5, 3, v2 :: v_dual_bitop2_b32 v16, 7, v4 bitop3:0x40
	v_cmp_gt_u32_e64 s1, 8, v2
	s_delay_alu instid0(VALU_DEP_2)
	v_mov_b64_e32 v[2:3], v[16:17]
	s_and_saveexec_b32 s18, s1
; %bb.702:                              ;   in Loop: Header=BB372_10 Depth=1
	v_clz_i32_u32_e32 v2, v16
	s_delay_alu instid0(VALU_DEP_1) | instskip(NEXT) | instid1(VALU_DEP_1)
	v_min_u32_e32 v5, 32, v2
	v_subrev_nc_u32_e32 v2, 28, v5
	s_delay_alu instid0(VALU_DEP_1) | instskip(NEXT) | instid1(VALU_DEP_1)
	v_lshlrev_b64_e32 v[2:3], v2, v[16:17]
	v_dual_sub_nc_u32 v5, 29, v5 :: v_dual_bitop2_b32 v2, 7, v2 bitop3:0x40
; %bb.703:                              ;   in Loop: Header=BB372_10 Depth=1
	s_or_b32 exec_lo, exec_lo, s18
	s_delay_alu instid0(VALU_DEP_1) | instskip(NEXT) | instid1(VALU_DEP_2)
	v_dual_lshlrev_b32 v3, 24, v4 :: v_dual_lshlrev_b32 v2, 20, v2
	v_lshl_add_u32 v4, v5, 23, 0x3c000000
	s_delay_alu instid0(VALU_DEP_2) | instskip(NEXT) | instid1(VALU_DEP_1)
	v_and_b32_e32 v3, 0x80000000, v3
	v_or3_b32 v2, v2, v3, v4
	scratch_store_b32 off, v2, s32 offset:668 ; 4-byte Folded Spill
.LBB372_704:                            ;   in Loop: Header=BB372_10 Depth=1
	s_wait_xcnt 0x0
	s_or_b32 exec_lo, exec_lo, s17
.LBB372_705:                            ;   in Loop: Header=BB372_10 Depth=1
	s_delay_alu instid0(SALU_CYCLE_1)
	s_or_b32 exec_lo, exec_lo, s16
.LBB372_706:                            ;   in Loop: Header=BB372_10 Depth=1
	s_delay_alu instid0(SALU_CYCLE_1)
	s_or_b32 exec_lo, exec_lo, s11
	v_cmp_lt_u64_e64 s1, s[2:3], v[0:1]
	v_mov_b32_e32 v0, 0
	scratch_store_b32 off, v0, s32 offset:676 ; 4-byte Folded Spill
	s_wait_xcnt 0x0
	v_mov_b32_e32 v0, 0
	scratch_store_b32 off, v0, s32 offset:756 ; 4-byte Folded Spill
	s_wait_xcnt 0x0
	s_and_saveexec_b32 s11, s1
	s_cbranch_execz .LBB372_714
; %bb.707:                              ;   in Loop: Header=BB372_10 Depth=1
	v_lshrrev_b32_e32 v2, 24, v1
	v_bfrev_b32_e32 v0, 1
	s_mov_b32 s16, exec_lo
	scratch_store_b32 off, v0, s32 offset:756 ; 4-byte Folded Spill
	s_wait_xcnt 0x0
	v_cmpx_ne_u32_e32 0x80, v2
	s_cbranch_execz .LBB372_713
; %bb.708:                              ;   in Loop: Header=BB372_10 Depth=1
	v_bfe_u32 v0, v1, 24, 7
	v_mov_b32_e32 v1, 0x7f800001
	s_mov_b32 s17, exec_lo
	s_delay_alu instid0(VALU_DEP_2)
	v_cmpx_ne_u32_e32 0x7f, v0
	s_cbranch_execz .LBB372_712
; %bb.709:                              ;   in Loop: Header=BB372_10 Depth=1
	v_dual_lshrrev_b32 v3, 3, v0 :: v_dual_bitop2_b32 v16, 7, v2 bitop3:0x40
	v_cmp_gt_u32_e64 s1, 8, v0
	s_delay_alu instid0(VALU_DEP_2)
	v_mov_b64_e32 v[0:1], v[16:17]
	s_and_saveexec_b32 s18, s1
; %bb.710:                              ;   in Loop: Header=BB372_10 Depth=1
	v_clz_i32_u32_e32 v0, v16
	s_delay_alu instid0(VALU_DEP_1) | instskip(NEXT) | instid1(VALU_DEP_1)
	v_min_u32_e32 v3, 32, v0
	v_subrev_nc_u32_e32 v0, 28, v3
	s_delay_alu instid0(VALU_DEP_1) | instskip(NEXT) | instid1(VALU_DEP_1)
	v_lshlrev_b64_e32 v[0:1], v0, v[16:17]
	v_dual_sub_nc_u32 v3, 29, v3 :: v_dual_bitop2_b32 v0, 7, v0 bitop3:0x40
; %bb.711:                              ;   in Loop: Header=BB372_10 Depth=1
	s_or_b32 exec_lo, exec_lo, s18
	s_delay_alu instid0(VALU_DEP_1) | instskip(NEXT) | instid1(VALU_DEP_2)
	v_dual_lshlrev_b32 v1, 24, v2 :: v_dual_lshlrev_b32 v0, 20, v0
	v_lshl_add_u32 v2, v3, 23, 0x3c000000
	s_delay_alu instid0(VALU_DEP_2) | instskip(NEXT) | instid1(VALU_DEP_1)
	v_and_b32_e32 v1, 0x80000000, v1
	v_or3_b32 v1, v0, v1, v2
.LBB372_712:                            ;   in Loop: Header=BB372_10 Depth=1
	s_or_b32 exec_lo, exec_lo, s17
	scratch_store_b32 off, v1, s32 offset:756 ; 4-byte Folded Spill
.LBB372_713:                            ;   in Loop: Header=BB372_10 Depth=1
	s_wait_xcnt 0x0
	s_or_b32 exec_lo, exec_lo, s16
.LBB372_714:                            ;   in Loop: Header=BB372_10 Depth=1
	s_delay_alu instid0(SALU_CYCLE_1)
	s_or_b32 exec_lo, exec_lo, s11
	flat_load_b64 v[0:1], v[96:97] offset:2568
	s_mov_b32 s11, exec_lo
	s_wait_loadcnt_dscnt 0x0
	v_and_b32_e32 v2, 0xff, v0
	s_wait_xcnt 0x0
	s_delay_alu instid0(VALU_DEP_1)
	v_cmpx_ne_u16_e32 0, v2
	s_cbranch_execz .LBB372_722
; %bb.715:                              ;   in Loop: Header=BB372_10 Depth=1
	v_cmp_ne_u16_e64 s1, 0x80, v2
	v_bfrev_b32_e32 v2, 1
	scratch_store_b32 off, v2, s32 offset:676 ; 4-byte Folded Spill
	s_wait_xcnt 0x0
	s_and_saveexec_b32 s16, s1
	s_cbranch_execz .LBB372_721
; %bb.716:                              ;   in Loop: Header=BB372_10 Depth=1
	v_and_b32_e32 v2, 0x7f, v0
	v_mov_b32_e32 v3, 0x7f800001
	s_mov_b32 s17, exec_lo
	scratch_store_b32 off, v3, s32 offset:676 ; 4-byte Folded Spill
	s_wait_xcnt 0x0
	v_cmpx_ne_u32_e32 0x7f, v2
	s_cbranch_execz .LBB372_720
; %bb.717:                              ;   in Loop: Header=BB372_10 Depth=1
	v_lshrrev_b32_e32 v4, 3, v2
	v_cmp_gt_u32_e64 s1, 8, v2
	v_mov_b64_e32 v[2:3], v[0:1]
	s_and_saveexec_b32 s18, s1
; %bb.718:                              ;   in Loop: Header=BB372_10 Depth=1
	v_and_b32_e32 v2, 7, v0
	s_delay_alu instid0(VALU_DEP_1) | instskip(NEXT) | instid1(VALU_DEP_1)
	v_clz_i32_u32_e32 v2, v2
	v_min_u32_e32 v4, 32, v2
	s_delay_alu instid0(VALU_DEP_1) | instskip(SKIP_1) | instid1(VALU_DEP_2)
	v_subrev_nc_u32_e32 v2, 28, v4
	v_sub_nc_u32_e32 v4, 29, v4
	v_lshlrev_b64_e32 v[2:3], v2, v[0:1]
; %bb.719:                              ;   in Loop: Header=BB372_10 Depth=1
	s_or_b32 exec_lo, exec_lo, s18
	s_delay_alu instid0(VALU_DEP_1) | instskip(NEXT) | instid1(VALU_DEP_3)
	v_dual_lshlrev_b32 v2, 20, v2 :: v_dual_lshlrev_b32 v3, 24, v0
	v_lshl_add_u32 v4, v4, 23, 0x3c000000
	s_delay_alu instid0(VALU_DEP_2) | instskip(NEXT) | instid1(VALU_DEP_3)
	v_and_b32_e32 v2, 0x700000, v2
	v_and_b32_e32 v3, 0x80000000, v3
	s_delay_alu instid0(VALU_DEP_1)
	v_or3_b32 v2, v2, v3, v4
	scratch_store_b32 off, v2, s32 offset:676 ; 4-byte Folded Spill
.LBB372_720:                            ;   in Loop: Header=BB372_10 Depth=1
	s_wait_xcnt 0x0
	s_or_b32 exec_lo, exec_lo, s17
.LBB372_721:                            ;   in Loop: Header=BB372_10 Depth=1
	s_delay_alu instid0(SALU_CYCLE_1)
	s_or_b32 exec_lo, exec_lo, s16
.LBB372_722:                            ;   in Loop: Header=BB372_10 Depth=1
	s_delay_alu instid0(SALU_CYCLE_1)
	s_or_b32 exec_lo, exec_lo, s11
	v_mov_b32_e32 v3, 0
	v_lshrrev_b16 v2, 8, v0
	s_mov_b32 s11, exec_lo
	scratch_store_b32 off, v3, s32 offset:680 ; 4-byte Folded Spill
	s_wait_xcnt 0x0
	v_mov_b32_e32 v3, 0
	scratch_store_b32 off, v3, s32 offset:684 ; 4-byte Folded Spill
	s_wait_xcnt 0x0
	v_cmpx_ne_u16_e32 0, v2
	s_cbranch_execz .LBB372_730
; %bb.723:                              ;   in Loop: Header=BB372_10 Depth=1
	v_bfrev_b32_e32 v3, 1
	s_mov_b32 s16, exec_lo
	scratch_store_b32 off, v3, s32 offset:684 ; 4-byte Folded Spill
	s_wait_xcnt 0x0
	v_cmpx_ne_u16_e32 0x80, v2
	s_cbranch_execz .LBB372_729
; %bb.724:                              ;   in Loop: Header=BB372_10 Depth=1
	v_and_b32_e32 v3, 0xffff, v2
	v_mov_b32_e32 v4, 0x7f800001
	s_mov_b32 s17, exec_lo
	s_delay_alu instid0(VALU_DEP_2)
	v_and_b32_e32 v2, 0x7f, v3
	scratch_store_b32 off, v4, s32 offset:684 ; 4-byte Folded Spill
	s_wait_xcnt 0x0
	v_cmpx_ne_u32_e32 0x7f, v2
	s_cbranch_execz .LBB372_728
; %bb.725:                              ;   in Loop: Header=BB372_10 Depth=1
	v_dual_lshrrev_b32 v4, 3, v2 :: v_dual_bitop2_b32 v16, 7, v3 bitop3:0x40
	v_cmp_gt_u32_e64 s1, 8, v2
	s_delay_alu instid0(VALU_DEP_2)
	v_mov_b64_e32 v[2:3], v[16:17]
	s_and_saveexec_b32 s18, s1
; %bb.726:                              ;   in Loop: Header=BB372_10 Depth=1
	v_clz_i32_u32_e32 v2, v16
	s_delay_alu instid0(VALU_DEP_1) | instskip(NEXT) | instid1(VALU_DEP_1)
	v_min_u32_e32 v4, 32, v2
	v_subrev_nc_u32_e32 v2, 28, v4
	s_delay_alu instid0(VALU_DEP_1) | instskip(NEXT) | instid1(VALU_DEP_1)
	v_lshlrev_b64_e32 v[2:3], v2, v[16:17]
	v_dual_sub_nc_u32 v4, 29, v4 :: v_dual_bitop2_b32 v2, 7, v2 bitop3:0x40
; %bb.727:                              ;   in Loop: Header=BB372_10 Depth=1
	s_or_b32 exec_lo, exec_lo, s18
	s_delay_alu instid0(VALU_DEP_1) | instskip(NEXT) | instid1(VALU_DEP_2)
	v_dual_lshlrev_b32 v3, 16, v0 :: v_dual_lshlrev_b32 v2, 20, v2
	v_lshl_add_u32 v4, v4, 23, 0x3c000000
	s_delay_alu instid0(VALU_DEP_2) | instskip(NEXT) | instid1(VALU_DEP_1)
	v_and_b32_e32 v3, 0x80000000, v3
	v_or3_b32 v2, v2, v3, v4
	scratch_store_b32 off, v2, s32 offset:684 ; 4-byte Folded Spill
.LBB372_728:                            ;   in Loop: Header=BB372_10 Depth=1
	s_wait_xcnt 0x0
	s_or_b32 exec_lo, exec_lo, s17
.LBB372_729:                            ;   in Loop: Header=BB372_10 Depth=1
	s_delay_alu instid0(SALU_CYCLE_1)
	s_or_b32 exec_lo, exec_lo, s16
.LBB372_730:                            ;   in Loop: Header=BB372_10 Depth=1
	s_delay_alu instid0(SALU_CYCLE_1) | instskip(SKIP_2) | instid1(VALU_DEP_1)
	s_or_b32 exec_lo, exec_lo, s11
	v_lshrrev_b32_e32 v4, 16, v0
	s_mov_b32 s11, exec_lo
	v_and_b32_e32 v2, 0xff, v4
	s_delay_alu instid0(VALU_DEP_1)
	v_cmpx_ne_u16_e32 0, v2
	s_cbranch_execz .LBB372_738
; %bb.731:                              ;   in Loop: Header=BB372_10 Depth=1
	v_cmp_ne_u16_e64 s1, 0x80, v2
	v_bfrev_b32_e32 v2, 1
	scratch_store_b32 off, v2, s32 offset:680 ; 4-byte Folded Spill
	s_wait_xcnt 0x0
	s_and_saveexec_b32 s16, s1
	s_cbranch_execz .LBB372_737
; %bb.732:                              ;   in Loop: Header=BB372_10 Depth=1
	v_bfe_u32 v2, v0, 16, 7
	v_mov_b32_e32 v3, 0x7f800001
	s_mov_b32 s17, exec_lo
	scratch_store_b32 off, v3, s32 offset:680 ; 4-byte Folded Spill
	s_wait_xcnt 0x0
	v_cmpx_ne_u32_e32 0x7f, v2
	s_cbranch_execz .LBB372_736
; %bb.733:                              ;   in Loop: Header=BB372_10 Depth=1
	v_dual_lshrrev_b32 v5, 3, v2 :: v_dual_bitop2_b32 v16, 7, v4 bitop3:0x40
	v_cmp_gt_u32_e64 s1, 8, v2
	s_delay_alu instid0(VALU_DEP_2)
	v_mov_b64_e32 v[2:3], v[16:17]
	s_and_saveexec_b32 s18, s1
; %bb.734:                              ;   in Loop: Header=BB372_10 Depth=1
	v_clz_i32_u32_e32 v2, v16
	s_delay_alu instid0(VALU_DEP_1) | instskip(NEXT) | instid1(VALU_DEP_1)
	v_min_u32_e32 v5, 32, v2
	v_subrev_nc_u32_e32 v2, 28, v5
	s_delay_alu instid0(VALU_DEP_1) | instskip(NEXT) | instid1(VALU_DEP_1)
	v_lshlrev_b64_e32 v[2:3], v2, v[16:17]
	v_dual_sub_nc_u32 v5, 29, v5 :: v_dual_bitop2_b32 v2, 7, v2 bitop3:0x40
; %bb.735:                              ;   in Loop: Header=BB372_10 Depth=1
	s_or_b32 exec_lo, exec_lo, s18
	s_delay_alu instid0(VALU_DEP_1) | instskip(NEXT) | instid1(VALU_DEP_2)
	v_dual_lshlrev_b32 v3, 24, v4 :: v_dual_lshlrev_b32 v2, 20, v2
	v_lshl_add_u32 v4, v5, 23, 0x3c000000
	s_delay_alu instid0(VALU_DEP_2) | instskip(NEXT) | instid1(VALU_DEP_1)
	v_and_b32_e32 v3, 0x80000000, v3
	v_or3_b32 v2, v2, v3, v4
	scratch_store_b32 off, v2, s32 offset:680 ; 4-byte Folded Spill
.LBB372_736:                            ;   in Loop: Header=BB372_10 Depth=1
	s_wait_xcnt 0x0
	s_or_b32 exec_lo, exec_lo, s17
.LBB372_737:                            ;   in Loop: Header=BB372_10 Depth=1
	s_delay_alu instid0(SALU_CYCLE_1)
	s_or_b32 exec_lo, exec_lo, s16
.LBB372_738:                            ;   in Loop: Header=BB372_10 Depth=1
	s_delay_alu instid0(SALU_CYCLE_1)
	s_or_b32 exec_lo, exec_lo, s11
	v_mov_b32_e32 v2, 0
	s_mov_b32 s11, exec_lo
	scratch_store_b32 off, v2, s32 offset:688 ; 4-byte Folded Spill
	s_wait_xcnt 0x0
	v_mov_b32_e32 v2, 0
	scratch_store_b32 off, v2, s32 offset:692 ; 4-byte Folded Spill
	s_wait_xcnt 0x0
	v_cmpx_lt_u32_e32 0xffffff, v0
	s_cbranch_execz .LBB372_746
; %bb.739:                              ;   in Loop: Header=BB372_10 Depth=1
	v_lshrrev_b32_e32 v4, 24, v0
	v_bfrev_b32_e32 v2, 1
	s_mov_b32 s16, exec_lo
	scratch_store_b32 off, v2, s32 offset:692 ; 4-byte Folded Spill
	s_wait_xcnt 0x0
	v_cmpx_ne_u32_e32 0x80, v4
	s_cbranch_execz .LBB372_745
; %bb.740:                              ;   in Loop: Header=BB372_10 Depth=1
	v_bfe_u32 v2, v0, 24, 7
	v_mov_b32_e32 v3, 0x7f800001
	s_mov_b32 s17, exec_lo
	scratch_store_b32 off, v3, s32 offset:692 ; 4-byte Folded Spill
	s_wait_xcnt 0x0
	v_cmpx_ne_u32_e32 0x7f, v2
	s_cbranch_execz .LBB372_744
; %bb.741:                              ;   in Loop: Header=BB372_10 Depth=1
	v_dual_lshrrev_b32 v5, 3, v2 :: v_dual_bitop2_b32 v16, 7, v4 bitop3:0x40
	v_cmp_gt_u32_e64 s1, 8, v2
	s_delay_alu instid0(VALU_DEP_2)
	v_mov_b64_e32 v[2:3], v[16:17]
	s_and_saveexec_b32 s18, s1
; %bb.742:                              ;   in Loop: Header=BB372_10 Depth=1
	v_clz_i32_u32_e32 v2, v16
	s_delay_alu instid0(VALU_DEP_1) | instskip(NEXT) | instid1(VALU_DEP_1)
	v_min_u32_e32 v5, 32, v2
	v_subrev_nc_u32_e32 v2, 28, v5
	s_delay_alu instid0(VALU_DEP_1) | instskip(NEXT) | instid1(VALU_DEP_1)
	v_lshlrev_b64_e32 v[2:3], v2, v[16:17]
	v_dual_sub_nc_u32 v5, 29, v5 :: v_dual_bitop2_b32 v2, 7, v2 bitop3:0x40
; %bb.743:                              ;   in Loop: Header=BB372_10 Depth=1
	s_or_b32 exec_lo, exec_lo, s18
	s_delay_alu instid0(VALU_DEP_1) | instskip(NEXT) | instid1(VALU_DEP_2)
	v_dual_lshlrev_b32 v3, 24, v4 :: v_dual_lshlrev_b32 v2, 20, v2
	v_lshl_add_u32 v4, v5, 23, 0x3c000000
	s_delay_alu instid0(VALU_DEP_2) | instskip(NEXT) | instid1(VALU_DEP_1)
	v_and_b32_e32 v3, 0x80000000, v3
	v_or3_b32 v2, v2, v3, v4
	scratch_store_b32 off, v2, s32 offset:692 ; 4-byte Folded Spill
.LBB372_744:                            ;   in Loop: Header=BB372_10 Depth=1
	s_wait_xcnt 0x0
	s_or_b32 exec_lo, exec_lo, s17
.LBB372_745:                            ;   in Loop: Header=BB372_10 Depth=1
	s_delay_alu instid0(SALU_CYCLE_1)
	s_or_b32 exec_lo, exec_lo, s16
.LBB372_746:                            ;   in Loop: Header=BB372_10 Depth=1
	s_delay_alu instid0(SALU_CYCLE_1) | instskip(SKIP_3) | instid1(VALU_DEP_2)
	s_or_b32 exec_lo, exec_lo, s11
	v_and_b32_e32 v2, 0xff, v1
	v_mov_b32_e32 v16, v1
	s_mov_b32 s11, exec_lo
	v_cmpx_ne_u16_e32 0, v2
	s_cbranch_execz .LBB372_754
; %bb.747:                              ;   in Loop: Header=BB372_10 Depth=1
	v_cmp_ne_u16_e64 s1, 0x80, v2
	v_bfrev_b32_e32 v2, 1
	scratch_store_b32 off, v2, s32 offset:688 ; 4-byte Folded Spill
	s_wait_xcnt 0x0
	s_and_saveexec_b32 s16, s1
	s_cbranch_execz .LBB372_753
; %bb.748:                              ;   in Loop: Header=BB372_10 Depth=1
	v_and_b32_e32 v2, 0x7f, v1
	v_mov_b32_e32 v3, 0x7f800001
	s_mov_b32 s17, exec_lo
	scratch_store_b32 off, v3, s32 offset:688 ; 4-byte Folded Spill
	s_wait_xcnt 0x0
	v_cmpx_ne_u32_e32 0x7f, v2
	s_cbranch_execz .LBB372_752
; %bb.749:                              ;   in Loop: Header=BB372_10 Depth=1
	v_lshrrev_b32_e32 v4, 3, v2
	v_cmp_gt_u32_e64 s1, 8, v2
	v_mov_b64_e32 v[2:3], v[16:17]
	s_and_saveexec_b32 s18, s1
; %bb.750:                              ;   in Loop: Header=BB372_10 Depth=1
	v_and_b32_e32 v2, 7, v1
	s_delay_alu instid0(VALU_DEP_1) | instskip(NEXT) | instid1(VALU_DEP_1)
	v_clz_i32_u32_e32 v2, v2
	v_min_u32_e32 v4, 32, v2
	s_delay_alu instid0(VALU_DEP_1) | instskip(SKIP_1) | instid1(VALU_DEP_2)
	v_subrev_nc_u32_e32 v2, 28, v4
	v_sub_nc_u32_e32 v4, 29, v4
	v_lshlrev_b64_e32 v[2:3], v2, v[16:17]
; %bb.751:                              ;   in Loop: Header=BB372_10 Depth=1
	s_or_b32 exec_lo, exec_lo, s18
	s_delay_alu instid0(VALU_DEP_1) | instskip(NEXT) | instid1(VALU_DEP_3)
	v_dual_lshlrev_b32 v2, 20, v2 :: v_dual_lshlrev_b32 v3, 24, v16
	v_lshl_add_u32 v4, v4, 23, 0x3c000000
	s_delay_alu instid0(VALU_DEP_2) | instskip(NEXT) | instid1(VALU_DEP_3)
	v_and_b32_e32 v2, 0x700000, v2
	v_and_b32_e32 v3, 0x80000000, v3
	s_delay_alu instid0(VALU_DEP_1)
	v_or3_b32 v2, v2, v3, v4
	scratch_store_b32 off, v2, s32 offset:688 ; 4-byte Folded Spill
.LBB372_752:                            ;   in Loop: Header=BB372_10 Depth=1
	s_wait_xcnt 0x0
	s_or_b32 exec_lo, exec_lo, s17
.LBB372_753:                            ;   in Loop: Header=BB372_10 Depth=1
	s_delay_alu instid0(SALU_CYCLE_1)
	s_or_b32 exec_lo, exec_lo, s16
.LBB372_754:                            ;   in Loop: Header=BB372_10 Depth=1
	s_delay_alu instid0(SALU_CYCLE_1)
	s_or_b32 exec_lo, exec_lo, s11
	v_mov_b32_e32 v3, 0
	v_lshrrev_b16 v2, 8, v16
	s_mov_b32 s11, exec_lo
	scratch_store_b32 off, v3, s32 offset:696 ; 4-byte Folded Spill
	s_wait_xcnt 0x0
	v_mov_b32_e32 v3, 0
	scratch_store_b32 off, v3, s32 offset:700 ; 4-byte Folded Spill
	s_wait_xcnt 0x0
	v_cmpx_ne_u16_e32 0, v2
	s_cbranch_execz .LBB372_762
; %bb.755:                              ;   in Loop: Header=BB372_10 Depth=1
	v_bfrev_b32_e32 v3, 1
	s_mov_b32 s16, exec_lo
	scratch_store_b32 off, v3, s32 offset:700 ; 4-byte Folded Spill
	s_wait_xcnt 0x0
	v_cmpx_ne_u16_e32 0x80, v2
	s_cbranch_execz .LBB372_761
; %bb.756:                              ;   in Loop: Header=BB372_10 Depth=1
	v_and_b32_e32 v2, 0xffff, v2
	v_mov_b32_e32 v3, 0x7f800001
	s_mov_b32 s17, exec_lo
	s_delay_alu instid0(VALU_DEP_2)
	v_and_b32_e32 v5, 0x7f, v2
	scratch_store_b32 off, v3, s32 offset:700 ; 4-byte Folded Spill
	s_wait_xcnt 0x0
	v_cmpx_ne_u32_e32 0x7f, v5
	s_cbranch_execz .LBB372_760
; %bb.757:                              ;   in Loop: Header=BB372_10 Depth=1
	v_dual_mov_b32 v3, v17 :: v_dual_bitop2_b32 v2, 7, v2 bitop3:0x40
	v_lshrrev_b32_e32 v4, 3, v5
	s_mov_b32 s18, exec_lo
	v_cmpx_gt_u32_e32 8, v5
; %bb.758:                              ;   in Loop: Header=BB372_10 Depth=1
	s_delay_alu instid0(VALU_DEP_3) | instskip(NEXT) | instid1(VALU_DEP_1)
	v_clz_i32_u32_e32 v4, v2
	v_min_u32_e32 v4, 32, v4
	s_delay_alu instid0(VALU_DEP_1) | instskip(NEXT) | instid1(VALU_DEP_1)
	v_subrev_nc_u32_e32 v5, 28, v4
	v_lshlrev_b64_e32 v[2:3], v5, v[2:3]
	s_delay_alu instid0(VALU_DEP_1)
	v_dual_sub_nc_u32 v4, 29, v4 :: v_dual_bitop2_b32 v2, 7, v2 bitop3:0x40
; %bb.759:                              ;   in Loop: Header=BB372_10 Depth=1
	s_or_b32 exec_lo, exec_lo, s18
	s_delay_alu instid0(VALU_DEP_1) | instskip(NEXT) | instid1(VALU_DEP_2)
	v_dual_lshlrev_b32 v3, 16, v16 :: v_dual_lshlrev_b32 v2, 20, v2
	v_lshl_add_u32 v4, v4, 23, 0x3c000000
	s_delay_alu instid0(VALU_DEP_2) | instskip(NEXT) | instid1(VALU_DEP_1)
	v_and_b32_e32 v3, 0x80000000, v3
	v_or3_b32 v2, v2, v3, v4
	scratch_store_b32 off, v2, s32 offset:700 ; 4-byte Folded Spill
.LBB372_760:                            ;   in Loop: Header=BB372_10 Depth=1
	s_wait_xcnt 0x0
	s_or_b32 exec_lo, exec_lo, s17
.LBB372_761:                            ;   in Loop: Header=BB372_10 Depth=1
	s_delay_alu instid0(SALU_CYCLE_1)
	s_or_b32 exec_lo, exec_lo, s16
.LBB372_762:                            ;   in Loop: Header=BB372_10 Depth=1
	s_delay_alu instid0(SALU_CYCLE_1) | instskip(SKIP_2) | instid1(VALU_DEP_1)
	s_or_b32 exec_lo, exec_lo, s11
	v_lshrrev_b32_e32 v4, 16, v1
	s_mov_b32 s11, exec_lo
	v_and_b32_e32 v2, 0xff, v4
	s_delay_alu instid0(VALU_DEP_1)
	v_cmpx_ne_u16_e32 0, v2
	s_cbranch_execz .LBB372_770
; %bb.763:                              ;   in Loop: Header=BB372_10 Depth=1
	v_cmp_ne_u16_e64 s1, 0x80, v2
	v_bfrev_b32_e32 v2, 1
	scratch_store_b32 off, v2, s32 offset:696 ; 4-byte Folded Spill
	s_wait_xcnt 0x0
	s_and_saveexec_b32 s16, s1
	s_cbranch_execz .LBB372_769
; %bb.764:                              ;   in Loop: Header=BB372_10 Depth=1
	v_bfe_u32 v2, v1, 16, 7
	v_mov_b32_e32 v3, 0x7f800001
	s_mov_b32 s17, exec_lo
	scratch_store_b32 off, v3, s32 offset:696 ; 4-byte Folded Spill
	s_wait_xcnt 0x0
	v_cmpx_ne_u32_e32 0x7f, v2
	s_cbranch_execz .LBB372_768
; %bb.765:                              ;   in Loop: Header=BB372_10 Depth=1
	v_dual_lshrrev_b32 v5, 3, v2 :: v_dual_bitop2_b32 v16, 7, v4 bitop3:0x40
	v_cmp_gt_u32_e64 s1, 8, v2
	s_delay_alu instid0(VALU_DEP_2)
	v_mov_b64_e32 v[2:3], v[16:17]
	s_and_saveexec_b32 s18, s1
; %bb.766:                              ;   in Loop: Header=BB372_10 Depth=1
	v_clz_i32_u32_e32 v2, v16
	s_delay_alu instid0(VALU_DEP_1) | instskip(NEXT) | instid1(VALU_DEP_1)
	v_min_u32_e32 v5, 32, v2
	v_subrev_nc_u32_e32 v2, 28, v5
	s_delay_alu instid0(VALU_DEP_1) | instskip(NEXT) | instid1(VALU_DEP_1)
	v_lshlrev_b64_e32 v[2:3], v2, v[16:17]
	v_dual_sub_nc_u32 v5, 29, v5 :: v_dual_bitop2_b32 v2, 7, v2 bitop3:0x40
; %bb.767:                              ;   in Loop: Header=BB372_10 Depth=1
	s_or_b32 exec_lo, exec_lo, s18
	s_delay_alu instid0(VALU_DEP_1) | instskip(NEXT) | instid1(VALU_DEP_2)
	v_dual_lshlrev_b32 v3, 24, v4 :: v_dual_lshlrev_b32 v2, 20, v2
	v_lshl_add_u32 v4, v5, 23, 0x3c000000
	s_delay_alu instid0(VALU_DEP_2) | instskip(NEXT) | instid1(VALU_DEP_1)
	v_and_b32_e32 v3, 0x80000000, v3
	v_or3_b32 v2, v2, v3, v4
	scratch_store_b32 off, v2, s32 offset:696 ; 4-byte Folded Spill
.LBB372_768:                            ;   in Loop: Header=BB372_10 Depth=1
	s_wait_xcnt 0x0
	s_or_b32 exec_lo, exec_lo, s17
.LBB372_769:                            ;   in Loop: Header=BB372_10 Depth=1
	s_delay_alu instid0(SALU_CYCLE_1)
	s_or_b32 exec_lo, exec_lo, s16
.LBB372_770:                            ;   in Loop: Header=BB372_10 Depth=1
	s_delay_alu instid0(SALU_CYCLE_1)
	s_or_b32 exec_lo, exec_lo, s11
	v_cmp_lt_u64_e64 s1, s[2:3], v[0:1]
	v_mov_b32_e32 v0, 0
	scratch_store_b64 off, v[0:1], s32 offset:508 ; 8-byte Folded Spill
	s_wait_xcnt 0x0
	v_mov_b32_e32 v0, 0
	scratch_store_b32 off, v0, s32 offset:760 ; 4-byte Folded Spill
	s_wait_xcnt 0x0
	s_and_saveexec_b32 s11, s1
	s_cbranch_execz .LBB372_778
; %bb.771:                              ;   in Loop: Header=BB372_10 Depth=1
	v_lshrrev_b32_e32 v2, 24, v1
	v_bfrev_b32_e32 v0, 1
	s_mov_b32 s16, exec_lo
	scratch_store_b32 off, v0, s32 offset:760 ; 4-byte Folded Spill
	s_wait_xcnt 0x0
	v_cmpx_ne_u32_e32 0x80, v2
	s_cbranch_execz .LBB372_777
; %bb.772:                              ;   in Loop: Header=BB372_10 Depth=1
	v_bfe_u32 v0, v1, 24, 7
	v_mov_b32_e32 v1, 0x7f800001
	s_mov_b32 s17, exec_lo
	s_delay_alu instid0(VALU_DEP_2)
	v_cmpx_ne_u32_e32 0x7f, v0
	s_cbranch_execz .LBB372_776
; %bb.773:                              ;   in Loop: Header=BB372_10 Depth=1
	v_dual_lshrrev_b32 v3, 3, v0 :: v_dual_bitop2_b32 v16, 7, v2 bitop3:0x40
	v_cmp_gt_u32_e64 s1, 8, v0
	s_delay_alu instid0(VALU_DEP_2)
	v_mov_b64_e32 v[0:1], v[16:17]
	s_and_saveexec_b32 s18, s1
; %bb.774:                              ;   in Loop: Header=BB372_10 Depth=1
	v_clz_i32_u32_e32 v0, v16
	s_delay_alu instid0(VALU_DEP_1) | instskip(NEXT) | instid1(VALU_DEP_1)
	v_min_u32_e32 v3, 32, v0
	v_subrev_nc_u32_e32 v0, 28, v3
	s_delay_alu instid0(VALU_DEP_1) | instskip(NEXT) | instid1(VALU_DEP_1)
	v_lshlrev_b64_e32 v[0:1], v0, v[16:17]
	v_dual_sub_nc_u32 v3, 29, v3 :: v_dual_bitop2_b32 v0, 7, v0 bitop3:0x40
; %bb.775:                              ;   in Loop: Header=BB372_10 Depth=1
	s_or_b32 exec_lo, exec_lo, s18
	s_delay_alu instid0(VALU_DEP_1) | instskip(NEXT) | instid1(VALU_DEP_2)
	v_dual_lshlrev_b32 v1, 24, v2 :: v_dual_lshlrev_b32 v0, 20, v0
	v_lshl_add_u32 v2, v3, 23, 0x3c000000
	s_delay_alu instid0(VALU_DEP_2) | instskip(NEXT) | instid1(VALU_DEP_1)
	v_and_b32_e32 v1, 0x80000000, v1
	v_or3_b32 v1, v0, v1, v2
.LBB372_776:                            ;   in Loop: Header=BB372_10 Depth=1
	s_or_b32 exec_lo, exec_lo, s17
	scratch_store_b32 off, v1, s32 offset:760 ; 4-byte Folded Spill
.LBB372_777:                            ;   in Loop: Header=BB372_10 Depth=1
	s_wait_xcnt 0x0
	s_or_b32 exec_lo, exec_lo, s16
.LBB372_778:                            ;   in Loop: Header=BB372_10 Depth=1
	s_delay_alu instid0(SALU_CYCLE_1)
	s_or_b32 exec_lo, exec_lo, s11
	flat_load_b64 v[0:1], v[96:97] offset:3072
	s_mov_b32 s11, exec_lo
	s_wait_loadcnt_dscnt 0x0
	v_and_b32_e32 v2, 0xff, v0
	s_wait_xcnt 0x0
	s_delay_alu instid0(VALU_DEP_1)
	v_cmpx_ne_u16_e32 0, v2
	s_cbranch_execz .LBB372_786
; %bb.779:                              ;   in Loop: Header=BB372_10 Depth=1
	v_cmp_ne_u16_e64 s1, 0x80, v2
	v_bfrev_b32_e32 v2, 1
	scratch_store_b64 off, v[2:3], s32 offset:508 ; 8-byte Folded Spill
	s_wait_xcnt 0x0
	s_and_saveexec_b32 s16, s1
	s_cbranch_execz .LBB372_785
; %bb.780:                              ;   in Loop: Header=BB372_10 Depth=1
	v_and_b32_e32 v2, 0x7f, v0
	v_mov_b32_e32 v4, 0x7f800001
	s_mov_b32 s17, exec_lo
	scratch_store_b64 off, v[4:5], s32 offset:508 ; 8-byte Folded Spill
	s_wait_xcnt 0x0
	v_cmpx_ne_u32_e32 0x7f, v2
	s_cbranch_execz .LBB372_784
; %bb.781:                              ;   in Loop: Header=BB372_10 Depth=1
	v_lshrrev_b32_e32 v4, 3, v2
	v_cmp_gt_u32_e64 s1, 8, v2
	v_mov_b64_e32 v[2:3], v[0:1]
	s_and_saveexec_b32 s18, s1
; %bb.782:                              ;   in Loop: Header=BB372_10 Depth=1
	v_and_b32_e32 v2, 7, v0
	s_delay_alu instid0(VALU_DEP_1) | instskip(NEXT) | instid1(VALU_DEP_1)
	v_clz_i32_u32_e32 v2, v2
	v_min_u32_e32 v4, 32, v2
	s_delay_alu instid0(VALU_DEP_1) | instskip(SKIP_1) | instid1(VALU_DEP_2)
	v_subrev_nc_u32_e32 v2, 28, v4
	v_sub_nc_u32_e32 v4, 29, v4
	v_lshlrev_b64_e32 v[2:3], v2, v[0:1]
; %bb.783:                              ;   in Loop: Header=BB372_10 Depth=1
	s_or_b32 exec_lo, exec_lo, s18
	s_delay_alu instid0(VALU_DEP_1) | instskip(NEXT) | instid1(VALU_DEP_3)
	v_dual_lshlrev_b32 v2, 20, v2 :: v_dual_lshlrev_b32 v3, 24, v0
	v_lshl_add_u32 v4, v4, 23, 0x3c000000
	s_delay_alu instid0(VALU_DEP_2) | instskip(NEXT) | instid1(VALU_DEP_3)
	v_and_b32_e32 v2, 0x700000, v2
	v_and_b32_e32 v3, 0x80000000, v3
	s_delay_alu instid0(VALU_DEP_1)
	v_or3_b32 v2, v2, v3, v4
	scratch_store_b64 off, v[2:3], s32 offset:508 ; 8-byte Folded Spill
.LBB372_784:                            ;   in Loop: Header=BB372_10 Depth=1
	s_wait_xcnt 0x0
	s_or_b32 exec_lo, exec_lo, s17
.LBB372_785:                            ;   in Loop: Header=BB372_10 Depth=1
	s_delay_alu instid0(SALU_CYCLE_1)
	s_or_b32 exec_lo, exec_lo, s16
.LBB372_786:                            ;   in Loop: Header=BB372_10 Depth=1
	s_delay_alu instid0(SALU_CYCLE_1)
	s_or_b32 exec_lo, exec_lo, s11
	v_mov_b32_e32 v4, 0
	v_lshrrev_b16 v2, 8, v0
	s_mov_b32 s11, exec_lo
	s_clause 0x1
	scratch_store_b64 off, v[4:5], s32 offset:516
	scratch_load_b64 v[4:5], off, s32 offset:508
	s_wait_loadcnt 0x0
	v_mov_b32_e32 v5, 0
	scratch_store_b64 off, v[4:5], s32 offset:508 ; 8-byte Folded Spill
	s_wait_xcnt 0x0
	v_cmpx_ne_u16_e32 0, v2
	s_cbranch_execz .LBB372_794
; %bb.787:                              ;   in Loop: Header=BB372_10 Depth=1
	scratch_load_b64 v[4:5], off, s32 offset:508 ; 8-byte Folded Reload
	s_wait_loadcnt 0x0
	v_bfrev_b32_e32 v5, 1
	s_mov_b32 s16, exec_lo
	scratch_store_b64 off, v[4:5], s32 offset:508 ; 8-byte Folded Spill
	s_wait_xcnt 0x0
	v_cmpx_ne_u16_e32 0x80, v2
	s_cbranch_execz .LBB372_793
; %bb.788:                              ;   in Loop: Header=BB372_10 Depth=1
	scratch_load_b64 v[4:5], off, s32 offset:508 ; 8-byte Folded Reload
	v_and_b32_e32 v3, 0xffff, v2
	s_wait_loadcnt 0x0
	v_mov_b32_e32 v5, 0x7f800001
	s_mov_b32 s17, exec_lo
	s_delay_alu instid0(VALU_DEP_2)
	v_and_b32_e32 v2, 0x7f, v3
	scratch_store_b64 off, v[4:5], s32 offset:508 ; 8-byte Folded Spill
	s_wait_xcnt 0x0
	v_cmpx_ne_u32_e32 0x7f, v2
	s_cbranch_execz .LBB372_792
; %bb.789:                              ;   in Loop: Header=BB372_10 Depth=1
	v_dual_lshrrev_b32 v4, 3, v2 :: v_dual_bitop2_b32 v16, 7, v3 bitop3:0x40
	v_cmp_gt_u32_e64 s1, 8, v2
	s_delay_alu instid0(VALU_DEP_2)
	v_mov_b64_e32 v[2:3], v[16:17]
	s_and_saveexec_b32 s18, s1
; %bb.790:                              ;   in Loop: Header=BB372_10 Depth=1
	v_clz_i32_u32_e32 v2, v16
	s_delay_alu instid0(VALU_DEP_1) | instskip(NEXT) | instid1(VALU_DEP_1)
	v_min_u32_e32 v4, 32, v2
	v_subrev_nc_u32_e32 v2, 28, v4
	s_delay_alu instid0(VALU_DEP_1) | instskip(NEXT) | instid1(VALU_DEP_1)
	v_lshlrev_b64_e32 v[2:3], v2, v[16:17]
	v_dual_sub_nc_u32 v4, 29, v4 :: v_dual_bitop2_b32 v2, 7, v2 bitop3:0x40
; %bb.791:                              ;   in Loop: Header=BB372_10 Depth=1
	s_or_b32 exec_lo, exec_lo, s18
	scratch_load_b64 v[6:7], off, s32 offset:508 ; 8-byte Folded Reload
	v_dual_lshlrev_b32 v3, 16, v0 :: v_dual_lshlrev_b32 v2, 20, v2
	v_lshl_add_u32 v4, v4, 23, 0x3c000000
	s_delay_alu instid0(VALU_DEP_2) | instskip(SKIP_1) | instid1(VALU_DEP_1)
	v_and_b32_e32 v3, 0x80000000, v3
	s_wait_loadcnt 0x0
	v_or3_b32 v7, v2, v3, v4
	scratch_store_b64 off, v[6:7], s32 offset:508 ; 8-byte Folded Spill
.LBB372_792:                            ;   in Loop: Header=BB372_10 Depth=1
	s_wait_xcnt 0x0
	s_or_b32 exec_lo, exec_lo, s17
.LBB372_793:                            ;   in Loop: Header=BB372_10 Depth=1
	s_delay_alu instid0(SALU_CYCLE_1)
	s_or_b32 exec_lo, exec_lo, s16
.LBB372_794:                            ;   in Loop: Header=BB372_10 Depth=1
	s_delay_alu instid0(SALU_CYCLE_1) | instskip(SKIP_2) | instid1(VALU_DEP_1)
	s_or_b32 exec_lo, exec_lo, s11
	v_lshrrev_b32_e32 v4, 16, v0
	s_mov_b32 s11, exec_lo
	v_and_b32_e32 v2, 0xff, v4
	s_delay_alu instid0(VALU_DEP_1)
	v_cmpx_ne_u16_e32 0, v2
	s_cbranch_execz .LBB372_802
; %bb.795:                              ;   in Loop: Header=BB372_10 Depth=1
	v_cmp_ne_u16_e64 s1, 0x80, v2
	v_bfrev_b32_e32 v2, 1
	scratch_store_b64 off, v[2:3], s32 offset:516 ; 8-byte Folded Spill
	s_wait_xcnt 0x0
	s_and_saveexec_b32 s16, s1
	s_cbranch_execz .LBB372_801
; %bb.796:                              ;   in Loop: Header=BB372_10 Depth=1
	v_bfe_u32 v2, v0, 16, 7
	v_mov_b32_e32 v6, 0x7f800001
	s_mov_b32 s17, exec_lo
	scratch_store_b64 off, v[6:7], s32 offset:516 ; 8-byte Folded Spill
	s_wait_xcnt 0x0
	v_cmpx_ne_u32_e32 0x7f, v2
	s_cbranch_execz .LBB372_800
; %bb.797:                              ;   in Loop: Header=BB372_10 Depth=1
	v_dual_lshrrev_b32 v5, 3, v2 :: v_dual_bitop2_b32 v16, 7, v4 bitop3:0x40
	v_cmp_gt_u32_e64 s1, 8, v2
	s_delay_alu instid0(VALU_DEP_2)
	v_mov_b64_e32 v[2:3], v[16:17]
	s_and_saveexec_b32 s18, s1
; %bb.798:                              ;   in Loop: Header=BB372_10 Depth=1
	v_clz_i32_u32_e32 v2, v16
	s_delay_alu instid0(VALU_DEP_1) | instskip(NEXT) | instid1(VALU_DEP_1)
	v_min_u32_e32 v5, 32, v2
	v_subrev_nc_u32_e32 v2, 28, v5
	s_delay_alu instid0(VALU_DEP_1) | instskip(NEXT) | instid1(VALU_DEP_1)
	v_lshlrev_b64_e32 v[2:3], v2, v[16:17]
	v_dual_sub_nc_u32 v5, 29, v5 :: v_dual_bitop2_b32 v2, 7, v2 bitop3:0x40
; %bb.799:                              ;   in Loop: Header=BB372_10 Depth=1
	s_or_b32 exec_lo, exec_lo, s18
	s_delay_alu instid0(VALU_DEP_1) | instskip(NEXT) | instid1(VALU_DEP_2)
	v_dual_lshlrev_b32 v3, 24, v4 :: v_dual_lshlrev_b32 v2, 20, v2
	v_lshl_add_u32 v4, v5, 23, 0x3c000000
	s_delay_alu instid0(VALU_DEP_2) | instskip(NEXT) | instid1(VALU_DEP_1)
	v_and_b32_e32 v3, 0x80000000, v3
	v_or3_b32 v2, v2, v3, v4
	scratch_store_b64 off, v[2:3], s32 offset:516 ; 8-byte Folded Spill
.LBB372_800:                            ;   in Loop: Header=BB372_10 Depth=1
	s_wait_xcnt 0x0
	s_or_b32 exec_lo, exec_lo, s17
.LBB372_801:                            ;   in Loop: Header=BB372_10 Depth=1
	s_delay_alu instid0(SALU_CYCLE_1)
	s_or_b32 exec_lo, exec_lo, s16
.LBB372_802:                            ;   in Loop: Header=BB372_10 Depth=1
	s_delay_alu instid0(SALU_CYCLE_1)
	s_or_b32 exec_lo, exec_lo, s11
	v_mov_b32_e32 v2, 0
	s_mov_b32 s11, exec_lo
	s_clause 0x1
	scratch_store_b64 off, v[2:3], s32 offset:524
	scratch_load_b64 v[2:3], off, s32 offset:516
	s_wait_loadcnt 0x0
	v_mov_b32_e32 v3, 0
	scratch_store_b64 off, v[2:3], s32 offset:516 ; 8-byte Folded Spill
	s_wait_xcnt 0x0
	v_cmpx_lt_u32_e32 0xffffff, v0
	s_cbranch_execz .LBB372_810
; %bb.803:                              ;   in Loop: Header=BB372_10 Depth=1
	scratch_load_b64 v[2:3], off, s32 offset:516 ; 8-byte Folded Reload
	v_lshrrev_b32_e32 v4, 24, v0
	s_wait_loadcnt 0x0
	v_bfrev_b32_e32 v3, 1
	s_mov_b32 s16, exec_lo
	scratch_store_b64 off, v[2:3], s32 offset:516 ; 8-byte Folded Spill
	s_wait_xcnt 0x0
	v_cmpx_ne_u32_e32 0x80, v4
	s_cbranch_execz .LBB372_809
; %bb.804:                              ;   in Loop: Header=BB372_10 Depth=1
	scratch_load_b64 v[6:7], off, s32 offset:516 ; 8-byte Folded Reload
	v_bfe_u32 v2, v0, 24, 7
	s_wait_loadcnt 0x0
	v_mov_b32_e32 v7, 0x7f800001
	s_mov_b32 s17, exec_lo
	scratch_store_b64 off, v[6:7], s32 offset:516 ; 8-byte Folded Spill
	s_wait_xcnt 0x0
	v_cmpx_ne_u32_e32 0x7f, v2
	s_cbranch_execz .LBB372_808
; %bb.805:                              ;   in Loop: Header=BB372_10 Depth=1
	v_dual_lshrrev_b32 v5, 3, v2 :: v_dual_bitop2_b32 v16, 7, v4 bitop3:0x40
	v_cmp_gt_u32_e64 s1, 8, v2
	s_delay_alu instid0(VALU_DEP_2)
	v_mov_b64_e32 v[2:3], v[16:17]
	s_and_saveexec_b32 s18, s1
; %bb.806:                              ;   in Loop: Header=BB372_10 Depth=1
	v_clz_i32_u32_e32 v2, v16
	s_delay_alu instid0(VALU_DEP_1) | instskip(NEXT) | instid1(VALU_DEP_1)
	v_min_u32_e32 v5, 32, v2
	v_subrev_nc_u32_e32 v2, 28, v5
	s_delay_alu instid0(VALU_DEP_1) | instskip(NEXT) | instid1(VALU_DEP_1)
	v_lshlrev_b64_e32 v[2:3], v2, v[16:17]
	v_dual_sub_nc_u32 v5, 29, v5 :: v_dual_bitop2_b32 v2, 7, v2 bitop3:0x40
; %bb.807:                              ;   in Loop: Header=BB372_10 Depth=1
	s_or_b32 exec_lo, exec_lo, s18
	scratch_load_b64 v[6:7], off, s32 offset:516 ; 8-byte Folded Reload
	v_dual_lshlrev_b32 v3, 24, v4 :: v_dual_lshlrev_b32 v2, 20, v2
	v_lshl_add_u32 v4, v5, 23, 0x3c000000
	s_delay_alu instid0(VALU_DEP_2) | instskip(SKIP_1) | instid1(VALU_DEP_1)
	v_and_b32_e32 v3, 0x80000000, v3
	s_wait_loadcnt 0x0
	v_or3_b32 v7, v2, v3, v4
	scratch_store_b64 off, v[6:7], s32 offset:516 ; 8-byte Folded Spill
.LBB372_808:                            ;   in Loop: Header=BB372_10 Depth=1
	s_wait_xcnt 0x0
	s_or_b32 exec_lo, exec_lo, s17
.LBB372_809:                            ;   in Loop: Header=BB372_10 Depth=1
	s_delay_alu instid0(SALU_CYCLE_1)
	s_or_b32 exec_lo, exec_lo, s16
.LBB372_810:                            ;   in Loop: Header=BB372_10 Depth=1
	s_delay_alu instid0(SALU_CYCLE_1) | instskip(SKIP_3) | instid1(VALU_DEP_2)
	s_or_b32 exec_lo, exec_lo, s11
	v_and_b32_e32 v2, 0xff, v1
	v_mov_b32_e32 v16, v1
	s_mov_b32 s11, exec_lo
	v_cmpx_ne_u16_e32 0, v2
	s_cbranch_execz .LBB372_818
; %bb.811:                              ;   in Loop: Header=BB372_10 Depth=1
	v_cmp_ne_u16_e64 s1, 0x80, v2
	v_bfrev_b32_e32 v2, 1
	scratch_store_b64 off, v[2:3], s32 offset:524 ; 8-byte Folded Spill
	s_wait_xcnt 0x0
	s_and_saveexec_b32 s16, s1
	s_cbranch_execz .LBB372_817
; %bb.812:                              ;   in Loop: Header=BB372_10 Depth=1
	v_and_b32_e32 v2, 0x7f, v1
	v_mov_b32_e32 v4, 0x7f800001
	s_mov_b32 s17, exec_lo
	scratch_store_b64 off, v[4:5], s32 offset:524 ; 8-byte Folded Spill
	s_wait_xcnt 0x0
	v_cmpx_ne_u32_e32 0x7f, v2
	s_cbranch_execz .LBB372_816
; %bb.813:                              ;   in Loop: Header=BB372_10 Depth=1
	v_lshrrev_b32_e32 v4, 3, v2
	v_cmp_gt_u32_e64 s1, 8, v2
	v_mov_b64_e32 v[2:3], v[16:17]
	s_and_saveexec_b32 s18, s1
; %bb.814:                              ;   in Loop: Header=BB372_10 Depth=1
	v_and_b32_e32 v2, 7, v1
	s_delay_alu instid0(VALU_DEP_1) | instskip(NEXT) | instid1(VALU_DEP_1)
	v_clz_i32_u32_e32 v2, v2
	v_min_u32_e32 v4, 32, v2
	s_delay_alu instid0(VALU_DEP_1) | instskip(SKIP_1) | instid1(VALU_DEP_2)
	v_subrev_nc_u32_e32 v2, 28, v4
	v_sub_nc_u32_e32 v4, 29, v4
	v_lshlrev_b64_e32 v[2:3], v2, v[16:17]
; %bb.815:                              ;   in Loop: Header=BB372_10 Depth=1
	s_or_b32 exec_lo, exec_lo, s18
	s_delay_alu instid0(VALU_DEP_1) | instskip(NEXT) | instid1(VALU_DEP_3)
	v_dual_lshlrev_b32 v2, 20, v2 :: v_dual_lshlrev_b32 v3, 24, v16
	v_lshl_add_u32 v4, v4, 23, 0x3c000000
	s_delay_alu instid0(VALU_DEP_2) | instskip(NEXT) | instid1(VALU_DEP_3)
	v_and_b32_e32 v2, 0x700000, v2
	v_and_b32_e32 v3, 0x80000000, v3
	s_delay_alu instid0(VALU_DEP_1)
	v_or3_b32 v2, v2, v3, v4
	scratch_store_b64 off, v[2:3], s32 offset:524 ; 8-byte Folded Spill
.LBB372_816:                            ;   in Loop: Header=BB372_10 Depth=1
	s_wait_xcnt 0x0
	s_or_b32 exec_lo, exec_lo, s17
.LBB372_817:                            ;   in Loop: Header=BB372_10 Depth=1
	s_delay_alu instid0(SALU_CYCLE_1)
	s_or_b32 exec_lo, exec_lo, s16
.LBB372_818:                            ;   in Loop: Header=BB372_10 Depth=1
	s_delay_alu instid0(SALU_CYCLE_1)
	s_or_b32 exec_lo, exec_lo, s11
	v_mov_b32_e32 v4, 0
	v_lshrrev_b16 v2, 8, v16
	s_mov_b32 s11, exec_lo
	s_clause 0x1
	scratch_store_b64 off, v[4:5], s32 offset:532
	scratch_load_b64 v[4:5], off, s32 offset:524
	s_wait_loadcnt 0x0
	v_mov_b32_e32 v5, 0
	scratch_store_b64 off, v[4:5], s32 offset:524 ; 8-byte Folded Spill
	s_wait_xcnt 0x0
	v_cmpx_ne_u16_e32 0, v2
	s_cbranch_execz .LBB372_826
; %bb.819:                              ;   in Loop: Header=BB372_10 Depth=1
	scratch_load_b64 v[4:5], off, s32 offset:524 ; 8-byte Folded Reload
	s_wait_loadcnt 0x0
	v_bfrev_b32_e32 v5, 1
	s_mov_b32 s16, exec_lo
	scratch_store_b64 off, v[4:5], s32 offset:524 ; 8-byte Folded Spill
	s_wait_xcnt 0x0
	v_cmpx_ne_u16_e32 0x80, v2
	s_cbranch_execz .LBB372_825
; %bb.820:                              ;   in Loop: Header=BB372_10 Depth=1
	scratch_load_b64 v[6:7], off, s32 offset:524 ; 8-byte Folded Reload
	v_and_b32_e32 v2, 0xffff, v2
	s_wait_loadcnt 0x0
	v_mov_b32_e32 v7, 0x7f800001
	s_mov_b32 s17, exec_lo
	s_delay_alu instid0(VALU_DEP_2)
	v_and_b32_e32 v5, 0x7f, v2
	scratch_store_b64 off, v[6:7], s32 offset:524 ; 8-byte Folded Spill
	s_wait_xcnt 0x0
	v_cmpx_ne_u32_e32 0x7f, v5
	s_cbranch_execz .LBB372_824
; %bb.821:                              ;   in Loop: Header=BB372_10 Depth=1
	v_dual_mov_b32 v3, v17 :: v_dual_bitop2_b32 v2, 7, v2 bitop3:0x40
	v_lshrrev_b32_e32 v4, 3, v5
	s_mov_b32 s18, exec_lo
	v_cmpx_gt_u32_e32 8, v5
; %bb.822:                              ;   in Loop: Header=BB372_10 Depth=1
	s_delay_alu instid0(VALU_DEP_3) | instskip(NEXT) | instid1(VALU_DEP_1)
	v_clz_i32_u32_e32 v4, v2
	v_min_u32_e32 v4, 32, v4
	s_delay_alu instid0(VALU_DEP_1) | instskip(NEXT) | instid1(VALU_DEP_1)
	v_subrev_nc_u32_e32 v5, 28, v4
	v_lshlrev_b64_e32 v[2:3], v5, v[2:3]
	s_delay_alu instid0(VALU_DEP_1)
	v_dual_sub_nc_u32 v4, 29, v4 :: v_dual_bitop2_b32 v2, 7, v2 bitop3:0x40
; %bb.823:                              ;   in Loop: Header=BB372_10 Depth=1
	s_or_b32 exec_lo, exec_lo, s18
	scratch_load_b64 v[6:7], off, s32 offset:524 ; 8-byte Folded Reload
	v_dual_lshlrev_b32 v3, 16, v16 :: v_dual_lshlrev_b32 v2, 20, v2
	v_lshl_add_u32 v4, v4, 23, 0x3c000000
	s_delay_alu instid0(VALU_DEP_2) | instskip(SKIP_1) | instid1(VALU_DEP_1)
	v_and_b32_e32 v3, 0x80000000, v3
	s_wait_loadcnt 0x0
	v_or3_b32 v7, v2, v3, v4
	scratch_store_b64 off, v[6:7], s32 offset:524 ; 8-byte Folded Spill
.LBB372_824:                            ;   in Loop: Header=BB372_10 Depth=1
	s_wait_xcnt 0x0
	s_or_b32 exec_lo, exec_lo, s17
.LBB372_825:                            ;   in Loop: Header=BB372_10 Depth=1
	s_delay_alu instid0(SALU_CYCLE_1)
	s_or_b32 exec_lo, exec_lo, s16
.LBB372_826:                            ;   in Loop: Header=BB372_10 Depth=1
	s_delay_alu instid0(SALU_CYCLE_1) | instskip(SKIP_2) | instid1(VALU_DEP_1)
	s_or_b32 exec_lo, exec_lo, s11
	v_lshrrev_b32_e32 v4, 16, v1
	s_mov_b32 s11, exec_lo
	v_and_b32_e32 v2, 0xff, v4
	s_delay_alu instid0(VALU_DEP_1)
	v_cmpx_ne_u16_e32 0, v2
	s_cbranch_execz .LBB372_834
; %bb.827:                              ;   in Loop: Header=BB372_10 Depth=1
	v_cmp_ne_u16_e64 s1, 0x80, v2
	v_bfrev_b32_e32 v2, 1
	scratch_store_b64 off, v[2:3], s32 offset:532 ; 8-byte Folded Spill
	s_wait_xcnt 0x0
	s_and_saveexec_b32 s16, s1
	s_cbranch_execz .LBB372_833
; %bb.828:                              ;   in Loop: Header=BB372_10 Depth=1
	v_bfe_u32 v2, v1, 16, 7
	v_mov_b32_e32 v6, 0x7f800001
	s_mov_b32 s17, exec_lo
	scratch_store_b64 off, v[6:7], s32 offset:532 ; 8-byte Folded Spill
	s_wait_xcnt 0x0
	v_cmpx_ne_u32_e32 0x7f, v2
	s_cbranch_execz .LBB372_832
; %bb.829:                              ;   in Loop: Header=BB372_10 Depth=1
	v_dual_lshrrev_b32 v5, 3, v2 :: v_dual_bitop2_b32 v16, 7, v4 bitop3:0x40
	v_cmp_gt_u32_e64 s1, 8, v2
	s_delay_alu instid0(VALU_DEP_2)
	v_mov_b64_e32 v[2:3], v[16:17]
	s_and_saveexec_b32 s18, s1
; %bb.830:                              ;   in Loop: Header=BB372_10 Depth=1
	v_clz_i32_u32_e32 v2, v16
	s_delay_alu instid0(VALU_DEP_1) | instskip(NEXT) | instid1(VALU_DEP_1)
	v_min_u32_e32 v5, 32, v2
	v_subrev_nc_u32_e32 v2, 28, v5
	s_delay_alu instid0(VALU_DEP_1) | instskip(NEXT) | instid1(VALU_DEP_1)
	v_lshlrev_b64_e32 v[2:3], v2, v[16:17]
	v_dual_sub_nc_u32 v5, 29, v5 :: v_dual_bitop2_b32 v2, 7, v2 bitop3:0x40
; %bb.831:                              ;   in Loop: Header=BB372_10 Depth=1
	s_or_b32 exec_lo, exec_lo, s18
	s_delay_alu instid0(VALU_DEP_1) | instskip(NEXT) | instid1(VALU_DEP_2)
	v_dual_lshlrev_b32 v3, 24, v4 :: v_dual_lshlrev_b32 v2, 20, v2
	v_lshl_add_u32 v4, v5, 23, 0x3c000000
	s_delay_alu instid0(VALU_DEP_2) | instskip(NEXT) | instid1(VALU_DEP_1)
	v_and_b32_e32 v3, 0x80000000, v3
	v_or3_b32 v2, v2, v3, v4
	scratch_store_b64 off, v[2:3], s32 offset:532 ; 8-byte Folded Spill
.LBB372_832:                            ;   in Loop: Header=BB372_10 Depth=1
	s_wait_xcnt 0x0
	s_or_b32 exec_lo, exec_lo, s17
.LBB372_833:                            ;   in Loop: Header=BB372_10 Depth=1
	s_delay_alu instid0(SALU_CYCLE_1)
	s_or_b32 exec_lo, exec_lo, s16
.LBB372_834:                            ;   in Loop: Header=BB372_10 Depth=1
	s_delay_alu instid0(SALU_CYCLE_1)
	s_or_b32 exec_lo, exec_lo, s11
	scratch_load_b64 v[2:3], off, s32 offset:532 ; 8-byte Folded Reload
	v_cmp_lt_u64_e64 s1, s[2:3], v[0:1]
	s_wait_loadcnt 0x0
	v_dual_mov_b32 v0, 0 :: v_dual_mov_b32 v3, 0
	s_clause 0x1
	scratch_store_b64 off, v[0:1], s32 offset:540
	scratch_store_b64 off, v[2:3], s32 offset:532
	s_wait_xcnt 0x0
	s_and_saveexec_b32 s11, s1
	s_cbranch_execz .LBB372_842
; %bb.835:                              ;   in Loop: Header=BB372_10 Depth=1
	scratch_load_b64 v[4:5], off, s32 offset:532 ; 8-byte Folded Reload
	v_lshrrev_b32_e32 v2, 24, v1
	s_wait_loadcnt 0x0
	v_bfrev_b32_e32 v5, 1
	s_mov_b32 s16, exec_lo
	scratch_store_b64 off, v[4:5], s32 offset:532 ; 8-byte Folded Spill
	s_wait_xcnt 0x0
	v_cmpx_ne_u32_e32 0x80, v2
	s_cbranch_execz .LBB372_841
; %bb.836:                              ;   in Loop: Header=BB372_10 Depth=1
	scratch_load_b64 v[4:5], off, s32 offset:532 ; 8-byte Folded Reload
	v_bfe_u32 v0, v1, 24, 7
	s_wait_loadcnt 0x0
	v_mov_b32_e32 v5, 0x7f800001
	s_mov_b32 s17, exec_lo
	scratch_store_b64 off, v[4:5], s32 offset:532 ; 8-byte Folded Spill
	s_wait_xcnt 0x0
	v_cmpx_ne_u32_e32 0x7f, v0
	s_cbranch_execz .LBB372_840
; %bb.837:                              ;   in Loop: Header=BB372_10 Depth=1
	v_dual_lshrrev_b32 v3, 3, v0 :: v_dual_bitop2_b32 v16, 7, v2 bitop3:0x40
	v_cmp_gt_u32_e64 s1, 8, v0
	s_delay_alu instid0(VALU_DEP_2)
	v_mov_b64_e32 v[0:1], v[16:17]
	s_and_saveexec_b32 s18, s1
; %bb.838:                              ;   in Loop: Header=BB372_10 Depth=1
	v_clz_i32_u32_e32 v0, v16
	s_delay_alu instid0(VALU_DEP_1) | instskip(NEXT) | instid1(VALU_DEP_1)
	v_min_u32_e32 v3, 32, v0
	v_subrev_nc_u32_e32 v0, 28, v3
	s_delay_alu instid0(VALU_DEP_1) | instskip(NEXT) | instid1(VALU_DEP_1)
	v_lshlrev_b64_e32 v[0:1], v0, v[16:17]
	v_dual_sub_nc_u32 v3, 29, v3 :: v_dual_bitop2_b32 v0, 7, v0 bitop3:0x40
; %bb.839:                              ;   in Loop: Header=BB372_10 Depth=1
	s_or_b32 exec_lo, exec_lo, s18
	scratch_load_b64 v[4:5], off, s32 offset:532 ; 8-byte Folded Reload
	v_dual_lshlrev_b32 v1, 24, v2 :: v_dual_lshlrev_b32 v0, 20, v0
	v_lshl_add_u32 v2, v3, 23, 0x3c000000
	s_delay_alu instid0(VALU_DEP_2) | instskip(SKIP_1) | instid1(VALU_DEP_1)
	v_and_b32_e32 v1, 0x80000000, v1
	s_wait_loadcnt 0x0
	v_or3_b32 v5, v0, v1, v2
	scratch_store_b64 off, v[4:5], s32 offset:532 ; 8-byte Folded Spill
.LBB372_840:                            ;   in Loop: Header=BB372_10 Depth=1
	s_wait_xcnt 0x0
	s_or_b32 exec_lo, exec_lo, s17
.LBB372_841:                            ;   in Loop: Header=BB372_10 Depth=1
	s_delay_alu instid0(SALU_CYCLE_1)
	s_or_b32 exec_lo, exec_lo, s16
.LBB372_842:                            ;   in Loop: Header=BB372_10 Depth=1
	s_delay_alu instid0(SALU_CYCLE_1)
	s_or_b32 exec_lo, exec_lo, s11
	flat_load_b64 v[0:1], v[96:97] offset:3080
	s_mov_b32 s11, exec_lo
	s_wait_loadcnt_dscnt 0x0
	v_and_b32_e32 v2, 0xff, v0
	s_wait_xcnt 0x0
	s_delay_alu instid0(VALU_DEP_1)
	v_cmpx_ne_u16_e32 0, v2
	s_cbranch_execz .LBB372_850
; %bb.843:                              ;   in Loop: Header=BB372_10 Depth=1
	v_cmp_ne_u16_e64 s1, 0x80, v2
	v_bfrev_b32_e32 v2, 1
	scratch_store_b64 off, v[2:3], s32 offset:540 ; 8-byte Folded Spill
	s_wait_xcnt 0x0
	s_and_saveexec_b32 s16, s1
	s_cbranch_execz .LBB372_849
; %bb.844:                              ;   in Loop: Header=BB372_10 Depth=1
	v_and_b32_e32 v2, 0x7f, v0
	v_mov_b32_e32 v4, 0x7f800001
	s_mov_b32 s17, exec_lo
	scratch_store_b64 off, v[4:5], s32 offset:540 ; 8-byte Folded Spill
	s_wait_xcnt 0x0
	v_cmpx_ne_u32_e32 0x7f, v2
	s_cbranch_execz .LBB372_848
; %bb.845:                              ;   in Loop: Header=BB372_10 Depth=1
	v_lshrrev_b32_e32 v4, 3, v2
	v_cmp_gt_u32_e64 s1, 8, v2
	v_mov_b64_e32 v[2:3], v[0:1]
	s_and_saveexec_b32 s18, s1
; %bb.846:                              ;   in Loop: Header=BB372_10 Depth=1
	v_and_b32_e32 v2, 7, v0
	s_delay_alu instid0(VALU_DEP_1) | instskip(NEXT) | instid1(VALU_DEP_1)
	v_clz_i32_u32_e32 v2, v2
	v_min_u32_e32 v4, 32, v2
	s_delay_alu instid0(VALU_DEP_1) | instskip(SKIP_1) | instid1(VALU_DEP_2)
	v_subrev_nc_u32_e32 v2, 28, v4
	v_sub_nc_u32_e32 v4, 29, v4
	v_lshlrev_b64_e32 v[2:3], v2, v[0:1]
; %bb.847:                              ;   in Loop: Header=BB372_10 Depth=1
	s_or_b32 exec_lo, exec_lo, s18
	s_delay_alu instid0(VALU_DEP_1) | instskip(NEXT) | instid1(VALU_DEP_3)
	v_dual_lshlrev_b32 v2, 20, v2 :: v_dual_lshlrev_b32 v3, 24, v0
	v_lshl_add_u32 v4, v4, 23, 0x3c000000
	s_delay_alu instid0(VALU_DEP_2) | instskip(NEXT) | instid1(VALU_DEP_3)
	v_and_b32_e32 v2, 0x700000, v2
	v_and_b32_e32 v3, 0x80000000, v3
	s_delay_alu instid0(VALU_DEP_1)
	v_or3_b32 v2, v2, v3, v4
	scratch_store_b64 off, v[2:3], s32 offset:540 ; 8-byte Folded Spill
.LBB372_848:                            ;   in Loop: Header=BB372_10 Depth=1
	s_wait_xcnt 0x0
	s_or_b32 exec_lo, exec_lo, s17
.LBB372_849:                            ;   in Loop: Header=BB372_10 Depth=1
	s_delay_alu instid0(SALU_CYCLE_1)
	s_or_b32 exec_lo, exec_lo, s16
.LBB372_850:                            ;   in Loop: Header=BB372_10 Depth=1
	s_delay_alu instid0(SALU_CYCLE_1)
	s_or_b32 exec_lo, exec_lo, s11
	v_mov_b32_e32 v4, 0
	v_lshrrev_b16 v2, 8, v0
	s_mov_b32 s11, exec_lo
	s_clause 0x1
	scratch_store_b64 off, v[4:5], s32 offset:548
	scratch_load_b64 v[4:5], off, s32 offset:540
	s_wait_loadcnt 0x0
	v_mov_b32_e32 v5, 0
	scratch_store_b64 off, v[4:5], s32 offset:540 ; 8-byte Folded Spill
	s_wait_xcnt 0x0
	v_cmpx_ne_u16_e32 0, v2
	s_cbranch_execz .LBB372_858
; %bb.851:                              ;   in Loop: Header=BB372_10 Depth=1
	scratch_load_b64 v[4:5], off, s32 offset:540 ; 8-byte Folded Reload
	s_wait_loadcnt 0x0
	v_bfrev_b32_e32 v5, 1
	s_mov_b32 s16, exec_lo
	scratch_store_b64 off, v[4:5], s32 offset:540 ; 8-byte Folded Spill
	s_wait_xcnt 0x0
	v_cmpx_ne_u16_e32 0x80, v2
	s_cbranch_execz .LBB372_857
; %bb.852:                              ;   in Loop: Header=BB372_10 Depth=1
	scratch_load_b64 v[4:5], off, s32 offset:540 ; 8-byte Folded Reload
	v_and_b32_e32 v3, 0xffff, v2
	s_wait_loadcnt 0x0
	v_mov_b32_e32 v5, 0x7f800001
	s_mov_b32 s17, exec_lo
	s_delay_alu instid0(VALU_DEP_2)
	v_and_b32_e32 v2, 0x7f, v3
	scratch_store_b64 off, v[4:5], s32 offset:540 ; 8-byte Folded Spill
	s_wait_xcnt 0x0
	v_cmpx_ne_u32_e32 0x7f, v2
	s_cbranch_execz .LBB372_856
; %bb.853:                              ;   in Loop: Header=BB372_10 Depth=1
	v_dual_lshrrev_b32 v4, 3, v2 :: v_dual_bitop2_b32 v16, 7, v3 bitop3:0x40
	v_cmp_gt_u32_e64 s1, 8, v2
	s_delay_alu instid0(VALU_DEP_2)
	v_mov_b64_e32 v[2:3], v[16:17]
	s_and_saveexec_b32 s18, s1
; %bb.854:                              ;   in Loop: Header=BB372_10 Depth=1
	v_clz_i32_u32_e32 v2, v16
	s_delay_alu instid0(VALU_DEP_1) | instskip(NEXT) | instid1(VALU_DEP_1)
	v_min_u32_e32 v4, 32, v2
	v_subrev_nc_u32_e32 v2, 28, v4
	s_delay_alu instid0(VALU_DEP_1) | instskip(NEXT) | instid1(VALU_DEP_1)
	v_lshlrev_b64_e32 v[2:3], v2, v[16:17]
	v_dual_sub_nc_u32 v4, 29, v4 :: v_dual_bitop2_b32 v2, 7, v2 bitop3:0x40
; %bb.855:                              ;   in Loop: Header=BB372_10 Depth=1
	s_or_b32 exec_lo, exec_lo, s18
	scratch_load_b64 v[6:7], off, s32 offset:540 ; 8-byte Folded Reload
	v_dual_lshlrev_b32 v3, 16, v0 :: v_dual_lshlrev_b32 v2, 20, v2
	v_lshl_add_u32 v4, v4, 23, 0x3c000000
	s_delay_alu instid0(VALU_DEP_2) | instskip(SKIP_1) | instid1(VALU_DEP_1)
	v_and_b32_e32 v3, 0x80000000, v3
	s_wait_loadcnt 0x0
	v_or3_b32 v7, v2, v3, v4
	scratch_store_b64 off, v[6:7], s32 offset:540 ; 8-byte Folded Spill
.LBB372_856:                            ;   in Loop: Header=BB372_10 Depth=1
	s_wait_xcnt 0x0
	s_or_b32 exec_lo, exec_lo, s17
.LBB372_857:                            ;   in Loop: Header=BB372_10 Depth=1
	s_delay_alu instid0(SALU_CYCLE_1)
	s_or_b32 exec_lo, exec_lo, s16
.LBB372_858:                            ;   in Loop: Header=BB372_10 Depth=1
	s_delay_alu instid0(SALU_CYCLE_1) | instskip(SKIP_2) | instid1(VALU_DEP_1)
	s_or_b32 exec_lo, exec_lo, s11
	v_lshrrev_b32_e32 v4, 16, v0
	s_mov_b32 s11, exec_lo
	v_and_b32_e32 v2, 0xff, v4
	s_delay_alu instid0(VALU_DEP_1)
	v_cmpx_ne_u16_e32 0, v2
	s_cbranch_execz .LBB372_866
; %bb.859:                              ;   in Loop: Header=BB372_10 Depth=1
	v_cmp_ne_u16_e64 s1, 0x80, v2
	v_bfrev_b32_e32 v2, 1
	scratch_store_b64 off, v[2:3], s32 offset:548 ; 8-byte Folded Spill
	s_wait_xcnt 0x0
	s_and_saveexec_b32 s16, s1
	s_cbranch_execz .LBB372_865
; %bb.860:                              ;   in Loop: Header=BB372_10 Depth=1
	v_bfe_u32 v2, v0, 16, 7
	v_mov_b32_e32 v6, 0x7f800001
	s_mov_b32 s17, exec_lo
	scratch_store_b64 off, v[6:7], s32 offset:548 ; 8-byte Folded Spill
	s_wait_xcnt 0x0
	v_cmpx_ne_u32_e32 0x7f, v2
	s_cbranch_execz .LBB372_864
; %bb.861:                              ;   in Loop: Header=BB372_10 Depth=1
	v_dual_lshrrev_b32 v5, 3, v2 :: v_dual_bitop2_b32 v16, 7, v4 bitop3:0x40
	v_cmp_gt_u32_e64 s1, 8, v2
	s_delay_alu instid0(VALU_DEP_2)
	v_mov_b64_e32 v[2:3], v[16:17]
	s_and_saveexec_b32 s18, s1
; %bb.862:                              ;   in Loop: Header=BB372_10 Depth=1
	v_clz_i32_u32_e32 v2, v16
	s_delay_alu instid0(VALU_DEP_1) | instskip(NEXT) | instid1(VALU_DEP_1)
	v_min_u32_e32 v5, 32, v2
	v_subrev_nc_u32_e32 v2, 28, v5
	s_delay_alu instid0(VALU_DEP_1) | instskip(NEXT) | instid1(VALU_DEP_1)
	v_lshlrev_b64_e32 v[2:3], v2, v[16:17]
	v_dual_sub_nc_u32 v5, 29, v5 :: v_dual_bitop2_b32 v2, 7, v2 bitop3:0x40
; %bb.863:                              ;   in Loop: Header=BB372_10 Depth=1
	s_or_b32 exec_lo, exec_lo, s18
	s_delay_alu instid0(VALU_DEP_1) | instskip(NEXT) | instid1(VALU_DEP_2)
	v_dual_lshlrev_b32 v3, 24, v4 :: v_dual_lshlrev_b32 v2, 20, v2
	v_lshl_add_u32 v4, v5, 23, 0x3c000000
	s_delay_alu instid0(VALU_DEP_2) | instskip(NEXT) | instid1(VALU_DEP_1)
	v_and_b32_e32 v3, 0x80000000, v3
	v_or3_b32 v2, v2, v3, v4
	scratch_store_b64 off, v[2:3], s32 offset:548 ; 8-byte Folded Spill
.LBB372_864:                            ;   in Loop: Header=BB372_10 Depth=1
	s_wait_xcnt 0x0
	s_or_b32 exec_lo, exec_lo, s17
.LBB372_865:                            ;   in Loop: Header=BB372_10 Depth=1
	s_delay_alu instid0(SALU_CYCLE_1)
	s_or_b32 exec_lo, exec_lo, s16
.LBB372_866:                            ;   in Loop: Header=BB372_10 Depth=1
	s_delay_alu instid0(SALU_CYCLE_1)
	s_or_b32 exec_lo, exec_lo, s11
	v_mov_b32_e32 v2, 0
	s_mov_b32 s11, exec_lo
	s_clause 0x1
	scratch_store_b64 off, v[2:3], s32 offset:556
	scratch_load_b64 v[2:3], off, s32 offset:548
	s_wait_loadcnt 0x0
	v_mov_b32_e32 v3, 0
	scratch_store_b64 off, v[2:3], s32 offset:548 ; 8-byte Folded Spill
	s_wait_xcnt 0x0
	v_cmpx_lt_u32_e32 0xffffff, v0
	s_cbranch_execz .LBB372_874
; %bb.867:                              ;   in Loop: Header=BB372_10 Depth=1
	scratch_load_b64 v[2:3], off, s32 offset:548 ; 8-byte Folded Reload
	v_lshrrev_b32_e32 v4, 24, v0
	s_wait_loadcnt 0x0
	v_bfrev_b32_e32 v3, 1
	s_mov_b32 s16, exec_lo
	scratch_store_b64 off, v[2:3], s32 offset:548 ; 8-byte Folded Spill
	s_wait_xcnt 0x0
	v_cmpx_ne_u32_e32 0x80, v4
	s_cbranch_execz .LBB372_873
; %bb.868:                              ;   in Loop: Header=BB372_10 Depth=1
	scratch_load_b64 v[6:7], off, s32 offset:548 ; 8-byte Folded Reload
	v_bfe_u32 v2, v0, 24, 7
	s_wait_loadcnt 0x0
	v_mov_b32_e32 v7, 0x7f800001
	s_mov_b32 s17, exec_lo
	scratch_store_b64 off, v[6:7], s32 offset:548 ; 8-byte Folded Spill
	s_wait_xcnt 0x0
	v_cmpx_ne_u32_e32 0x7f, v2
	s_cbranch_execz .LBB372_872
; %bb.869:                              ;   in Loop: Header=BB372_10 Depth=1
	v_dual_lshrrev_b32 v5, 3, v2 :: v_dual_bitop2_b32 v16, 7, v4 bitop3:0x40
	v_cmp_gt_u32_e64 s1, 8, v2
	s_delay_alu instid0(VALU_DEP_2)
	v_mov_b64_e32 v[2:3], v[16:17]
	s_and_saveexec_b32 s18, s1
; %bb.870:                              ;   in Loop: Header=BB372_10 Depth=1
	v_clz_i32_u32_e32 v2, v16
	s_delay_alu instid0(VALU_DEP_1) | instskip(NEXT) | instid1(VALU_DEP_1)
	v_min_u32_e32 v5, 32, v2
	v_subrev_nc_u32_e32 v2, 28, v5
	s_delay_alu instid0(VALU_DEP_1) | instskip(NEXT) | instid1(VALU_DEP_1)
	v_lshlrev_b64_e32 v[2:3], v2, v[16:17]
	v_dual_sub_nc_u32 v5, 29, v5 :: v_dual_bitop2_b32 v2, 7, v2 bitop3:0x40
; %bb.871:                              ;   in Loop: Header=BB372_10 Depth=1
	s_or_b32 exec_lo, exec_lo, s18
	scratch_load_b64 v[6:7], off, s32 offset:548 ; 8-byte Folded Reload
	v_dual_lshlrev_b32 v3, 24, v4 :: v_dual_lshlrev_b32 v2, 20, v2
	v_lshl_add_u32 v4, v5, 23, 0x3c000000
	s_delay_alu instid0(VALU_DEP_2) | instskip(SKIP_1) | instid1(VALU_DEP_1)
	v_and_b32_e32 v3, 0x80000000, v3
	s_wait_loadcnt 0x0
	v_or3_b32 v7, v2, v3, v4
	scratch_store_b64 off, v[6:7], s32 offset:548 ; 8-byte Folded Spill
.LBB372_872:                            ;   in Loop: Header=BB372_10 Depth=1
	s_wait_xcnt 0x0
	s_or_b32 exec_lo, exec_lo, s17
.LBB372_873:                            ;   in Loop: Header=BB372_10 Depth=1
	s_delay_alu instid0(SALU_CYCLE_1)
	s_or_b32 exec_lo, exec_lo, s16
.LBB372_874:                            ;   in Loop: Header=BB372_10 Depth=1
	s_delay_alu instid0(SALU_CYCLE_1) | instskip(SKIP_3) | instid1(VALU_DEP_2)
	s_or_b32 exec_lo, exec_lo, s11
	v_and_b32_e32 v2, 0xff, v1
	v_mov_b32_e32 v16, v1
	s_mov_b32 s11, exec_lo
	v_cmpx_ne_u16_e32 0, v2
	s_cbranch_execz .LBB372_882
; %bb.875:                              ;   in Loop: Header=BB372_10 Depth=1
	v_cmp_ne_u16_e64 s1, 0x80, v2
	v_bfrev_b32_e32 v2, 1
	scratch_store_b64 off, v[2:3], s32 offset:556 ; 8-byte Folded Spill
	s_wait_xcnt 0x0
	s_and_saveexec_b32 s16, s1
	s_cbranch_execz .LBB372_881
; %bb.876:                              ;   in Loop: Header=BB372_10 Depth=1
	v_and_b32_e32 v2, 0x7f, v1
	v_mov_b32_e32 v4, 0x7f800001
	s_mov_b32 s17, exec_lo
	scratch_store_b64 off, v[4:5], s32 offset:556 ; 8-byte Folded Spill
	s_wait_xcnt 0x0
	v_cmpx_ne_u32_e32 0x7f, v2
	s_cbranch_execz .LBB372_880
; %bb.877:                              ;   in Loop: Header=BB372_10 Depth=1
	v_lshrrev_b32_e32 v4, 3, v2
	v_cmp_gt_u32_e64 s1, 8, v2
	v_mov_b64_e32 v[2:3], v[16:17]
	s_and_saveexec_b32 s18, s1
; %bb.878:                              ;   in Loop: Header=BB372_10 Depth=1
	v_and_b32_e32 v2, 7, v1
	s_delay_alu instid0(VALU_DEP_1) | instskip(NEXT) | instid1(VALU_DEP_1)
	v_clz_i32_u32_e32 v2, v2
	v_min_u32_e32 v4, 32, v2
	s_delay_alu instid0(VALU_DEP_1) | instskip(SKIP_1) | instid1(VALU_DEP_2)
	v_subrev_nc_u32_e32 v2, 28, v4
	v_sub_nc_u32_e32 v4, 29, v4
	v_lshlrev_b64_e32 v[2:3], v2, v[16:17]
; %bb.879:                              ;   in Loop: Header=BB372_10 Depth=1
	s_or_b32 exec_lo, exec_lo, s18
	s_delay_alu instid0(VALU_DEP_1) | instskip(NEXT) | instid1(VALU_DEP_3)
	v_dual_lshlrev_b32 v2, 20, v2 :: v_dual_lshlrev_b32 v3, 24, v16
	v_lshl_add_u32 v4, v4, 23, 0x3c000000
	s_delay_alu instid0(VALU_DEP_2) | instskip(NEXT) | instid1(VALU_DEP_3)
	v_and_b32_e32 v2, 0x700000, v2
	v_and_b32_e32 v3, 0x80000000, v3
	s_delay_alu instid0(VALU_DEP_1)
	v_or3_b32 v2, v2, v3, v4
	scratch_store_b64 off, v[2:3], s32 offset:556 ; 8-byte Folded Spill
.LBB372_880:                            ;   in Loop: Header=BB372_10 Depth=1
	s_wait_xcnt 0x0
	s_or_b32 exec_lo, exec_lo, s17
.LBB372_881:                            ;   in Loop: Header=BB372_10 Depth=1
	s_delay_alu instid0(SALU_CYCLE_1)
	s_or_b32 exec_lo, exec_lo, s16
.LBB372_882:                            ;   in Loop: Header=BB372_10 Depth=1
	s_delay_alu instid0(SALU_CYCLE_1)
	s_or_b32 exec_lo, exec_lo, s11
	v_mov_b32_e32 v4, 0
	v_lshrrev_b16 v2, 8, v16
	s_mov_b32 s11, exec_lo
	s_clause 0x1
	scratch_store_b64 off, v[4:5], s32 offset:564
	scratch_load_b64 v[4:5], off, s32 offset:556
	s_wait_loadcnt 0x0
	v_mov_b32_e32 v5, 0
	scratch_store_b64 off, v[4:5], s32 offset:556 ; 8-byte Folded Spill
	s_wait_xcnt 0x0
	v_cmpx_ne_u16_e32 0, v2
	s_cbranch_execz .LBB372_890
; %bb.883:                              ;   in Loop: Header=BB372_10 Depth=1
	scratch_load_b64 v[4:5], off, s32 offset:556 ; 8-byte Folded Reload
	s_wait_loadcnt 0x0
	v_bfrev_b32_e32 v5, 1
	s_mov_b32 s16, exec_lo
	scratch_store_b64 off, v[4:5], s32 offset:556 ; 8-byte Folded Spill
	s_wait_xcnt 0x0
	v_cmpx_ne_u16_e32 0x80, v2
	s_cbranch_execz .LBB372_889
; %bb.884:                              ;   in Loop: Header=BB372_10 Depth=1
	scratch_load_b64 v[6:7], off, s32 offset:556 ; 8-byte Folded Reload
	v_and_b32_e32 v2, 0xffff, v2
	s_wait_loadcnt 0x0
	v_mov_b32_e32 v7, 0x7f800001
	s_mov_b32 s17, exec_lo
	s_delay_alu instid0(VALU_DEP_2)
	v_and_b32_e32 v5, 0x7f, v2
	scratch_store_b64 off, v[6:7], s32 offset:556 ; 8-byte Folded Spill
	s_wait_xcnt 0x0
	v_cmpx_ne_u32_e32 0x7f, v5
	s_cbranch_execz .LBB372_888
; %bb.885:                              ;   in Loop: Header=BB372_10 Depth=1
	v_dual_mov_b32 v3, v17 :: v_dual_bitop2_b32 v2, 7, v2 bitop3:0x40
	v_lshrrev_b32_e32 v4, 3, v5
	s_mov_b32 s18, exec_lo
	v_cmpx_gt_u32_e32 8, v5
; %bb.886:                              ;   in Loop: Header=BB372_10 Depth=1
	s_delay_alu instid0(VALU_DEP_3) | instskip(NEXT) | instid1(VALU_DEP_1)
	v_clz_i32_u32_e32 v4, v2
	v_min_u32_e32 v4, 32, v4
	s_delay_alu instid0(VALU_DEP_1) | instskip(NEXT) | instid1(VALU_DEP_1)
	v_subrev_nc_u32_e32 v5, 28, v4
	v_lshlrev_b64_e32 v[2:3], v5, v[2:3]
	s_delay_alu instid0(VALU_DEP_1)
	v_dual_sub_nc_u32 v4, 29, v4 :: v_dual_bitop2_b32 v2, 7, v2 bitop3:0x40
; %bb.887:                              ;   in Loop: Header=BB372_10 Depth=1
	s_or_b32 exec_lo, exec_lo, s18
	scratch_load_b64 v[6:7], off, s32 offset:556 ; 8-byte Folded Reload
	v_dual_lshlrev_b32 v3, 16, v16 :: v_dual_lshlrev_b32 v2, 20, v2
	v_lshl_add_u32 v4, v4, 23, 0x3c000000
	s_delay_alu instid0(VALU_DEP_2) | instskip(SKIP_1) | instid1(VALU_DEP_1)
	v_and_b32_e32 v3, 0x80000000, v3
	s_wait_loadcnt 0x0
	v_or3_b32 v7, v2, v3, v4
	scratch_store_b64 off, v[6:7], s32 offset:556 ; 8-byte Folded Spill
.LBB372_888:                            ;   in Loop: Header=BB372_10 Depth=1
	s_wait_xcnt 0x0
	s_or_b32 exec_lo, exec_lo, s17
.LBB372_889:                            ;   in Loop: Header=BB372_10 Depth=1
	s_delay_alu instid0(SALU_CYCLE_1)
	s_or_b32 exec_lo, exec_lo, s16
.LBB372_890:                            ;   in Loop: Header=BB372_10 Depth=1
	s_delay_alu instid0(SALU_CYCLE_1) | instskip(SKIP_2) | instid1(VALU_DEP_1)
	s_or_b32 exec_lo, exec_lo, s11
	v_lshrrev_b32_e32 v4, 16, v1
	s_mov_b32 s11, exec_lo
	v_and_b32_e32 v2, 0xff, v4
	s_delay_alu instid0(VALU_DEP_1)
	v_cmpx_ne_u16_e32 0, v2
	s_cbranch_execz .LBB372_898
; %bb.891:                              ;   in Loop: Header=BB372_10 Depth=1
	v_cmp_ne_u16_e64 s1, 0x80, v2
	v_bfrev_b32_e32 v2, 1
	scratch_store_b64 off, v[2:3], s32 offset:564 ; 8-byte Folded Spill
	s_wait_xcnt 0x0
	s_and_saveexec_b32 s16, s1
	s_cbranch_execz .LBB372_897
; %bb.892:                              ;   in Loop: Header=BB372_10 Depth=1
	v_bfe_u32 v2, v1, 16, 7
	v_mov_b32_e32 v6, 0x7f800001
	s_mov_b32 s17, exec_lo
	scratch_store_b64 off, v[6:7], s32 offset:564 ; 8-byte Folded Spill
	s_wait_xcnt 0x0
	v_cmpx_ne_u32_e32 0x7f, v2
	s_cbranch_execz .LBB372_896
; %bb.893:                              ;   in Loop: Header=BB372_10 Depth=1
	v_dual_lshrrev_b32 v5, 3, v2 :: v_dual_bitop2_b32 v16, 7, v4 bitop3:0x40
	v_cmp_gt_u32_e64 s1, 8, v2
	s_delay_alu instid0(VALU_DEP_2)
	v_mov_b64_e32 v[2:3], v[16:17]
	s_and_saveexec_b32 s18, s1
; %bb.894:                              ;   in Loop: Header=BB372_10 Depth=1
	v_clz_i32_u32_e32 v2, v16
	s_delay_alu instid0(VALU_DEP_1) | instskip(NEXT) | instid1(VALU_DEP_1)
	v_min_u32_e32 v5, 32, v2
	v_subrev_nc_u32_e32 v2, 28, v5
	s_delay_alu instid0(VALU_DEP_1) | instskip(NEXT) | instid1(VALU_DEP_1)
	v_lshlrev_b64_e32 v[2:3], v2, v[16:17]
	v_dual_sub_nc_u32 v5, 29, v5 :: v_dual_bitop2_b32 v2, 7, v2 bitop3:0x40
; %bb.895:                              ;   in Loop: Header=BB372_10 Depth=1
	s_or_b32 exec_lo, exec_lo, s18
	s_delay_alu instid0(VALU_DEP_1) | instskip(NEXT) | instid1(VALU_DEP_2)
	v_dual_lshlrev_b32 v3, 24, v4 :: v_dual_lshlrev_b32 v2, 20, v2
	v_lshl_add_u32 v4, v5, 23, 0x3c000000
	s_delay_alu instid0(VALU_DEP_2) | instskip(NEXT) | instid1(VALU_DEP_1)
	v_and_b32_e32 v3, 0x80000000, v3
	v_or3_b32 v2, v2, v3, v4
	scratch_store_b64 off, v[2:3], s32 offset:564 ; 8-byte Folded Spill
.LBB372_896:                            ;   in Loop: Header=BB372_10 Depth=1
	s_wait_xcnt 0x0
	s_or_b32 exec_lo, exec_lo, s17
.LBB372_897:                            ;   in Loop: Header=BB372_10 Depth=1
	s_delay_alu instid0(SALU_CYCLE_1)
	s_or_b32 exec_lo, exec_lo, s16
.LBB372_898:                            ;   in Loop: Header=BB372_10 Depth=1
	s_delay_alu instid0(SALU_CYCLE_1)
	s_or_b32 exec_lo, exec_lo, s11
	scratch_load_b64 v[2:3], off, s32 offset:564 ; 8-byte Folded Reload
	v_cmp_lt_u64_e64 s1, s[2:3], v[0:1]
	s_wait_loadcnt 0x0
	v_dual_mov_b32 v0, 0 :: v_dual_mov_b32 v3, 0
	s_clause 0x1
	scratch_store_b64 off, v[0:1], s32 offset:572
	scratch_store_b64 off, v[2:3], s32 offset:564
	s_wait_xcnt 0x0
	s_and_saveexec_b32 s11, s1
	s_cbranch_execz .LBB372_906
; %bb.899:                              ;   in Loop: Header=BB372_10 Depth=1
	scratch_load_b64 v[4:5], off, s32 offset:564 ; 8-byte Folded Reload
	v_lshrrev_b32_e32 v2, 24, v1
	s_wait_loadcnt 0x0
	v_bfrev_b32_e32 v5, 1
	s_mov_b32 s16, exec_lo
	scratch_store_b64 off, v[4:5], s32 offset:564 ; 8-byte Folded Spill
	s_wait_xcnt 0x0
	v_cmpx_ne_u32_e32 0x80, v2
	s_cbranch_execz .LBB372_905
; %bb.900:                              ;   in Loop: Header=BB372_10 Depth=1
	scratch_load_b64 v[4:5], off, s32 offset:564 ; 8-byte Folded Reload
	v_bfe_u32 v0, v1, 24, 7
	s_wait_loadcnt 0x0
	v_mov_b32_e32 v5, 0x7f800001
	s_mov_b32 s17, exec_lo
	scratch_store_b64 off, v[4:5], s32 offset:564 ; 8-byte Folded Spill
	s_wait_xcnt 0x0
	v_cmpx_ne_u32_e32 0x7f, v0
	s_cbranch_execz .LBB372_904
; %bb.901:                              ;   in Loop: Header=BB372_10 Depth=1
	v_dual_lshrrev_b32 v3, 3, v0 :: v_dual_bitop2_b32 v16, 7, v2 bitop3:0x40
	v_cmp_gt_u32_e64 s1, 8, v0
	s_delay_alu instid0(VALU_DEP_2)
	v_mov_b64_e32 v[0:1], v[16:17]
	s_and_saveexec_b32 s18, s1
; %bb.902:                              ;   in Loop: Header=BB372_10 Depth=1
	v_clz_i32_u32_e32 v0, v16
	s_delay_alu instid0(VALU_DEP_1) | instskip(NEXT) | instid1(VALU_DEP_1)
	v_min_u32_e32 v3, 32, v0
	v_subrev_nc_u32_e32 v0, 28, v3
	s_delay_alu instid0(VALU_DEP_1) | instskip(NEXT) | instid1(VALU_DEP_1)
	v_lshlrev_b64_e32 v[0:1], v0, v[16:17]
	v_dual_sub_nc_u32 v3, 29, v3 :: v_dual_bitop2_b32 v0, 7, v0 bitop3:0x40
; %bb.903:                              ;   in Loop: Header=BB372_10 Depth=1
	s_or_b32 exec_lo, exec_lo, s18
	scratch_load_b64 v[4:5], off, s32 offset:564 ; 8-byte Folded Reload
	v_dual_lshlrev_b32 v1, 24, v2 :: v_dual_lshlrev_b32 v0, 20, v0
	v_lshl_add_u32 v2, v3, 23, 0x3c000000
	s_delay_alu instid0(VALU_DEP_2) | instskip(SKIP_1) | instid1(VALU_DEP_1)
	v_and_b32_e32 v1, 0x80000000, v1
	s_wait_loadcnt 0x0
	v_or3_b32 v5, v0, v1, v2
	scratch_store_b64 off, v[4:5], s32 offset:564 ; 8-byte Folded Spill
.LBB372_904:                            ;   in Loop: Header=BB372_10 Depth=1
	s_wait_xcnt 0x0
	s_or_b32 exec_lo, exec_lo, s17
.LBB372_905:                            ;   in Loop: Header=BB372_10 Depth=1
	s_delay_alu instid0(SALU_CYCLE_1)
	s_or_b32 exec_lo, exec_lo, s16
.LBB372_906:                            ;   in Loop: Header=BB372_10 Depth=1
	s_delay_alu instid0(SALU_CYCLE_1)
	s_or_b32 exec_lo, exec_lo, s11
	flat_load_b64 v[0:1], v[96:97] offset:3584
	s_mov_b32 s11, exec_lo
	s_wait_loadcnt_dscnt 0x0
	v_and_b32_e32 v2, 0xff, v0
	s_wait_xcnt 0x0
	s_delay_alu instid0(VALU_DEP_1)
	v_cmpx_ne_u16_e32 0, v2
	s_cbranch_execz .LBB372_914
; %bb.907:                              ;   in Loop: Header=BB372_10 Depth=1
	v_cmp_ne_u16_e64 s1, 0x80, v2
	v_bfrev_b32_e32 v2, 1
	scratch_store_b64 off, v[2:3], s32 offset:572 ; 8-byte Folded Spill
	s_wait_xcnt 0x0
	s_and_saveexec_b32 s16, s1
	s_cbranch_execz .LBB372_913
; %bb.908:                              ;   in Loop: Header=BB372_10 Depth=1
	v_and_b32_e32 v2, 0x7f, v0
	v_mov_b32_e32 v4, 0x7f800001
	s_mov_b32 s17, exec_lo
	scratch_store_b64 off, v[4:5], s32 offset:572 ; 8-byte Folded Spill
	s_wait_xcnt 0x0
	v_cmpx_ne_u32_e32 0x7f, v2
	s_cbranch_execz .LBB372_912
; %bb.909:                              ;   in Loop: Header=BB372_10 Depth=1
	v_lshrrev_b32_e32 v4, 3, v2
	v_cmp_gt_u32_e64 s1, 8, v2
	v_mov_b64_e32 v[2:3], v[0:1]
	s_and_saveexec_b32 s18, s1
; %bb.910:                              ;   in Loop: Header=BB372_10 Depth=1
	v_and_b32_e32 v2, 7, v0
	s_delay_alu instid0(VALU_DEP_1) | instskip(NEXT) | instid1(VALU_DEP_1)
	v_clz_i32_u32_e32 v2, v2
	v_min_u32_e32 v4, 32, v2
	s_delay_alu instid0(VALU_DEP_1) | instskip(SKIP_1) | instid1(VALU_DEP_2)
	v_subrev_nc_u32_e32 v2, 28, v4
	v_sub_nc_u32_e32 v4, 29, v4
	v_lshlrev_b64_e32 v[2:3], v2, v[0:1]
; %bb.911:                              ;   in Loop: Header=BB372_10 Depth=1
	s_or_b32 exec_lo, exec_lo, s18
	s_delay_alu instid0(VALU_DEP_1) | instskip(NEXT) | instid1(VALU_DEP_3)
	v_dual_lshlrev_b32 v2, 20, v2 :: v_dual_lshlrev_b32 v3, 24, v0
	v_lshl_add_u32 v4, v4, 23, 0x3c000000
	s_delay_alu instid0(VALU_DEP_2) | instskip(NEXT) | instid1(VALU_DEP_3)
	v_and_b32_e32 v2, 0x700000, v2
	v_and_b32_e32 v3, 0x80000000, v3
	s_delay_alu instid0(VALU_DEP_1)
	v_or3_b32 v2, v2, v3, v4
	scratch_store_b64 off, v[2:3], s32 offset:572 ; 8-byte Folded Spill
.LBB372_912:                            ;   in Loop: Header=BB372_10 Depth=1
	s_wait_xcnt 0x0
	s_or_b32 exec_lo, exec_lo, s17
.LBB372_913:                            ;   in Loop: Header=BB372_10 Depth=1
	s_delay_alu instid0(SALU_CYCLE_1)
	s_or_b32 exec_lo, exec_lo, s16
.LBB372_914:                            ;   in Loop: Header=BB372_10 Depth=1
	s_delay_alu instid0(SALU_CYCLE_1)
	s_or_b32 exec_lo, exec_lo, s11
	v_mov_b32_e32 v4, 0
	v_lshrrev_b16 v2, 8, v0
	s_mov_b32 s11, exec_lo
	s_clause 0x1
	scratch_store_b64 off, v[4:5], s32 offset:580
	scratch_load_b64 v[4:5], off, s32 offset:572
	s_wait_loadcnt 0x0
	v_mov_b32_e32 v5, 0
	scratch_store_b64 off, v[4:5], s32 offset:572 ; 8-byte Folded Spill
	s_wait_xcnt 0x0
	v_cmpx_ne_u16_e32 0, v2
	s_cbranch_execz .LBB372_922
; %bb.915:                              ;   in Loop: Header=BB372_10 Depth=1
	scratch_load_b64 v[4:5], off, s32 offset:572 ; 8-byte Folded Reload
	s_wait_loadcnt 0x0
	v_bfrev_b32_e32 v5, 1
	s_mov_b32 s16, exec_lo
	scratch_store_b64 off, v[4:5], s32 offset:572 ; 8-byte Folded Spill
	s_wait_xcnt 0x0
	v_cmpx_ne_u16_e32 0x80, v2
	s_cbranch_execz .LBB372_921
; %bb.916:                              ;   in Loop: Header=BB372_10 Depth=1
	scratch_load_b64 v[4:5], off, s32 offset:572 ; 8-byte Folded Reload
	v_and_b32_e32 v3, 0xffff, v2
	s_wait_loadcnt 0x0
	v_mov_b32_e32 v5, 0x7f800001
	s_mov_b32 s17, exec_lo
	s_delay_alu instid0(VALU_DEP_2)
	v_and_b32_e32 v2, 0x7f, v3
	scratch_store_b64 off, v[4:5], s32 offset:572 ; 8-byte Folded Spill
	s_wait_xcnt 0x0
	v_cmpx_ne_u32_e32 0x7f, v2
	s_cbranch_execz .LBB372_920
; %bb.917:                              ;   in Loop: Header=BB372_10 Depth=1
	v_dual_lshrrev_b32 v4, 3, v2 :: v_dual_bitop2_b32 v16, 7, v3 bitop3:0x40
	v_cmp_gt_u32_e64 s1, 8, v2
	s_delay_alu instid0(VALU_DEP_2)
	v_mov_b64_e32 v[2:3], v[16:17]
	s_and_saveexec_b32 s18, s1
; %bb.918:                              ;   in Loop: Header=BB372_10 Depth=1
	v_clz_i32_u32_e32 v2, v16
	s_delay_alu instid0(VALU_DEP_1) | instskip(NEXT) | instid1(VALU_DEP_1)
	v_min_u32_e32 v4, 32, v2
	v_subrev_nc_u32_e32 v2, 28, v4
	s_delay_alu instid0(VALU_DEP_1) | instskip(NEXT) | instid1(VALU_DEP_1)
	v_lshlrev_b64_e32 v[2:3], v2, v[16:17]
	v_dual_sub_nc_u32 v4, 29, v4 :: v_dual_bitop2_b32 v2, 7, v2 bitop3:0x40
; %bb.919:                              ;   in Loop: Header=BB372_10 Depth=1
	s_or_b32 exec_lo, exec_lo, s18
	scratch_load_b64 v[6:7], off, s32 offset:572 ; 8-byte Folded Reload
	v_dual_lshlrev_b32 v3, 16, v0 :: v_dual_lshlrev_b32 v2, 20, v2
	v_lshl_add_u32 v4, v4, 23, 0x3c000000
	s_delay_alu instid0(VALU_DEP_2) | instskip(SKIP_1) | instid1(VALU_DEP_1)
	v_and_b32_e32 v3, 0x80000000, v3
	s_wait_loadcnt 0x0
	v_or3_b32 v7, v2, v3, v4
	scratch_store_b64 off, v[6:7], s32 offset:572 ; 8-byte Folded Spill
.LBB372_920:                            ;   in Loop: Header=BB372_10 Depth=1
	s_wait_xcnt 0x0
	s_or_b32 exec_lo, exec_lo, s17
.LBB372_921:                            ;   in Loop: Header=BB372_10 Depth=1
	s_delay_alu instid0(SALU_CYCLE_1)
	s_or_b32 exec_lo, exec_lo, s16
.LBB372_922:                            ;   in Loop: Header=BB372_10 Depth=1
	s_delay_alu instid0(SALU_CYCLE_1) | instskip(SKIP_2) | instid1(VALU_DEP_1)
	s_or_b32 exec_lo, exec_lo, s11
	v_lshrrev_b32_e32 v4, 16, v0
	s_mov_b32 s11, exec_lo
	v_and_b32_e32 v2, 0xff, v4
	s_delay_alu instid0(VALU_DEP_1)
	v_cmpx_ne_u16_e32 0, v2
	s_cbranch_execz .LBB372_930
; %bb.923:                              ;   in Loop: Header=BB372_10 Depth=1
	v_cmp_ne_u16_e64 s1, 0x80, v2
	v_bfrev_b32_e32 v2, 1
	scratch_store_b64 off, v[2:3], s32 offset:580 ; 8-byte Folded Spill
	s_wait_xcnt 0x0
	s_and_saveexec_b32 s16, s1
	s_cbranch_execz .LBB372_929
; %bb.924:                              ;   in Loop: Header=BB372_10 Depth=1
	v_bfe_u32 v2, v0, 16, 7
	v_mov_b32_e32 v6, 0x7f800001
	s_mov_b32 s17, exec_lo
	scratch_store_b64 off, v[6:7], s32 offset:580 ; 8-byte Folded Spill
	s_wait_xcnt 0x0
	v_cmpx_ne_u32_e32 0x7f, v2
	s_cbranch_execz .LBB372_928
; %bb.925:                              ;   in Loop: Header=BB372_10 Depth=1
	v_dual_lshrrev_b32 v5, 3, v2 :: v_dual_bitop2_b32 v16, 7, v4 bitop3:0x40
	v_cmp_gt_u32_e64 s1, 8, v2
	s_delay_alu instid0(VALU_DEP_2)
	v_mov_b64_e32 v[2:3], v[16:17]
	s_and_saveexec_b32 s18, s1
; %bb.926:                              ;   in Loop: Header=BB372_10 Depth=1
	v_clz_i32_u32_e32 v2, v16
	s_delay_alu instid0(VALU_DEP_1) | instskip(NEXT) | instid1(VALU_DEP_1)
	v_min_u32_e32 v5, 32, v2
	v_subrev_nc_u32_e32 v2, 28, v5
	s_delay_alu instid0(VALU_DEP_1) | instskip(NEXT) | instid1(VALU_DEP_1)
	v_lshlrev_b64_e32 v[2:3], v2, v[16:17]
	v_dual_sub_nc_u32 v5, 29, v5 :: v_dual_bitop2_b32 v2, 7, v2 bitop3:0x40
; %bb.927:                              ;   in Loop: Header=BB372_10 Depth=1
	s_or_b32 exec_lo, exec_lo, s18
	s_delay_alu instid0(VALU_DEP_1) | instskip(NEXT) | instid1(VALU_DEP_2)
	v_dual_lshlrev_b32 v3, 24, v4 :: v_dual_lshlrev_b32 v2, 20, v2
	v_lshl_add_u32 v4, v5, 23, 0x3c000000
	s_delay_alu instid0(VALU_DEP_2) | instskip(NEXT) | instid1(VALU_DEP_1)
	v_and_b32_e32 v3, 0x80000000, v3
	v_or3_b32 v2, v2, v3, v4
	scratch_store_b64 off, v[2:3], s32 offset:580 ; 8-byte Folded Spill
.LBB372_928:                            ;   in Loop: Header=BB372_10 Depth=1
	s_wait_xcnt 0x0
	s_or_b32 exec_lo, exec_lo, s17
.LBB372_929:                            ;   in Loop: Header=BB372_10 Depth=1
	s_delay_alu instid0(SALU_CYCLE_1)
	s_or_b32 exec_lo, exec_lo, s16
.LBB372_930:                            ;   in Loop: Header=BB372_10 Depth=1
	s_delay_alu instid0(SALU_CYCLE_1)
	s_or_b32 exec_lo, exec_lo, s11
	v_mov_b32_e32 v2, 0
	s_mov_b32 s11, exec_lo
	s_clause 0x1
	scratch_store_b64 off, v[2:3], s32 offset:588
	scratch_load_b64 v[2:3], off, s32 offset:580
	s_wait_loadcnt 0x0
	v_mov_b32_e32 v3, 0
	scratch_store_b64 off, v[2:3], s32 offset:580 ; 8-byte Folded Spill
	s_wait_xcnt 0x0
	v_cmpx_lt_u32_e32 0xffffff, v0
	s_cbranch_execz .LBB372_938
; %bb.931:                              ;   in Loop: Header=BB372_10 Depth=1
	scratch_load_b64 v[2:3], off, s32 offset:580 ; 8-byte Folded Reload
	v_lshrrev_b32_e32 v4, 24, v0
	s_wait_loadcnt 0x0
	v_bfrev_b32_e32 v3, 1
	s_mov_b32 s16, exec_lo
	scratch_store_b64 off, v[2:3], s32 offset:580 ; 8-byte Folded Spill
	s_wait_xcnt 0x0
	v_cmpx_ne_u32_e32 0x80, v4
	s_cbranch_execz .LBB372_937
; %bb.932:                              ;   in Loop: Header=BB372_10 Depth=1
	scratch_load_b64 v[6:7], off, s32 offset:580 ; 8-byte Folded Reload
	v_bfe_u32 v2, v0, 24, 7
	s_wait_loadcnt 0x0
	v_mov_b32_e32 v7, 0x7f800001
	s_mov_b32 s17, exec_lo
	scratch_store_b64 off, v[6:7], s32 offset:580 ; 8-byte Folded Spill
	s_wait_xcnt 0x0
	v_cmpx_ne_u32_e32 0x7f, v2
	s_cbranch_execz .LBB372_936
; %bb.933:                              ;   in Loop: Header=BB372_10 Depth=1
	v_dual_lshrrev_b32 v5, 3, v2 :: v_dual_bitop2_b32 v16, 7, v4 bitop3:0x40
	v_cmp_gt_u32_e64 s1, 8, v2
	s_delay_alu instid0(VALU_DEP_2)
	v_mov_b64_e32 v[2:3], v[16:17]
	s_and_saveexec_b32 s18, s1
; %bb.934:                              ;   in Loop: Header=BB372_10 Depth=1
	v_clz_i32_u32_e32 v2, v16
	s_delay_alu instid0(VALU_DEP_1) | instskip(NEXT) | instid1(VALU_DEP_1)
	v_min_u32_e32 v5, 32, v2
	v_subrev_nc_u32_e32 v2, 28, v5
	s_delay_alu instid0(VALU_DEP_1) | instskip(NEXT) | instid1(VALU_DEP_1)
	v_lshlrev_b64_e32 v[2:3], v2, v[16:17]
	v_dual_sub_nc_u32 v5, 29, v5 :: v_dual_bitop2_b32 v2, 7, v2 bitop3:0x40
; %bb.935:                              ;   in Loop: Header=BB372_10 Depth=1
	s_or_b32 exec_lo, exec_lo, s18
	scratch_load_b64 v[6:7], off, s32 offset:580 ; 8-byte Folded Reload
	v_dual_lshlrev_b32 v3, 24, v4 :: v_dual_lshlrev_b32 v2, 20, v2
	v_lshl_add_u32 v4, v5, 23, 0x3c000000
	s_delay_alu instid0(VALU_DEP_2) | instskip(SKIP_1) | instid1(VALU_DEP_1)
	v_and_b32_e32 v3, 0x80000000, v3
	s_wait_loadcnt 0x0
	v_or3_b32 v7, v2, v3, v4
	scratch_store_b64 off, v[6:7], s32 offset:580 ; 8-byte Folded Spill
.LBB372_936:                            ;   in Loop: Header=BB372_10 Depth=1
	s_wait_xcnt 0x0
	s_or_b32 exec_lo, exec_lo, s17
.LBB372_937:                            ;   in Loop: Header=BB372_10 Depth=1
	s_delay_alu instid0(SALU_CYCLE_1)
	s_or_b32 exec_lo, exec_lo, s16
.LBB372_938:                            ;   in Loop: Header=BB372_10 Depth=1
	s_delay_alu instid0(SALU_CYCLE_1) | instskip(SKIP_3) | instid1(VALU_DEP_2)
	s_or_b32 exec_lo, exec_lo, s11
	v_and_b32_e32 v2, 0xff, v1
	v_mov_b32_e32 v16, v1
	s_mov_b32 s11, exec_lo
	v_cmpx_ne_u16_e32 0, v2
	s_cbranch_execz .LBB372_946
; %bb.939:                              ;   in Loop: Header=BB372_10 Depth=1
	v_cmp_ne_u16_e64 s1, 0x80, v2
	v_bfrev_b32_e32 v2, 1
	scratch_store_b64 off, v[2:3], s32 offset:588 ; 8-byte Folded Spill
	s_wait_xcnt 0x0
	s_and_saveexec_b32 s16, s1
	s_cbranch_execz .LBB372_945
; %bb.940:                              ;   in Loop: Header=BB372_10 Depth=1
	v_and_b32_e32 v2, 0x7f, v1
	v_mov_b32_e32 v4, 0x7f800001
	s_mov_b32 s17, exec_lo
	scratch_store_b64 off, v[4:5], s32 offset:588 ; 8-byte Folded Spill
	s_wait_xcnt 0x0
	v_cmpx_ne_u32_e32 0x7f, v2
	s_cbranch_execz .LBB372_944
; %bb.941:                              ;   in Loop: Header=BB372_10 Depth=1
	v_lshrrev_b32_e32 v4, 3, v2
	v_cmp_gt_u32_e64 s1, 8, v2
	v_mov_b64_e32 v[2:3], v[16:17]
	s_and_saveexec_b32 s18, s1
; %bb.942:                              ;   in Loop: Header=BB372_10 Depth=1
	v_and_b32_e32 v2, 7, v1
	s_delay_alu instid0(VALU_DEP_1) | instskip(NEXT) | instid1(VALU_DEP_1)
	v_clz_i32_u32_e32 v2, v2
	v_min_u32_e32 v4, 32, v2
	s_delay_alu instid0(VALU_DEP_1) | instskip(SKIP_1) | instid1(VALU_DEP_2)
	v_subrev_nc_u32_e32 v2, 28, v4
	v_sub_nc_u32_e32 v4, 29, v4
	v_lshlrev_b64_e32 v[2:3], v2, v[16:17]
; %bb.943:                              ;   in Loop: Header=BB372_10 Depth=1
	s_or_b32 exec_lo, exec_lo, s18
	s_delay_alu instid0(VALU_DEP_1) | instskip(NEXT) | instid1(VALU_DEP_3)
	v_dual_lshlrev_b32 v2, 20, v2 :: v_dual_lshlrev_b32 v3, 24, v16
	v_lshl_add_u32 v4, v4, 23, 0x3c000000
	s_delay_alu instid0(VALU_DEP_2) | instskip(NEXT) | instid1(VALU_DEP_3)
	v_and_b32_e32 v2, 0x700000, v2
	v_and_b32_e32 v3, 0x80000000, v3
	s_delay_alu instid0(VALU_DEP_1)
	v_or3_b32 v2, v2, v3, v4
	scratch_store_b64 off, v[2:3], s32 offset:588 ; 8-byte Folded Spill
.LBB372_944:                            ;   in Loop: Header=BB372_10 Depth=1
	s_wait_xcnt 0x0
	s_or_b32 exec_lo, exec_lo, s17
.LBB372_945:                            ;   in Loop: Header=BB372_10 Depth=1
	s_delay_alu instid0(SALU_CYCLE_1)
	s_or_b32 exec_lo, exec_lo, s16
.LBB372_946:                            ;   in Loop: Header=BB372_10 Depth=1
	s_delay_alu instid0(SALU_CYCLE_1)
	s_or_b32 exec_lo, exec_lo, s11
	v_mov_b32_e32 v4, 0
	v_lshrrev_b16 v2, 8, v16
	s_mov_b32 s11, exec_lo
	s_clause 0x1
	scratch_store_b64 off, v[4:5], s32 offset:596
	scratch_load_b64 v[4:5], off, s32 offset:588
	s_wait_loadcnt 0x0
	v_mov_b32_e32 v5, 0
	scratch_store_b64 off, v[4:5], s32 offset:588 ; 8-byte Folded Spill
	s_wait_xcnt 0x0
	v_cmpx_ne_u16_e32 0, v2
	s_cbranch_execz .LBB372_954
; %bb.947:                              ;   in Loop: Header=BB372_10 Depth=1
	scratch_load_b64 v[4:5], off, s32 offset:588 ; 8-byte Folded Reload
	s_wait_loadcnt 0x0
	v_bfrev_b32_e32 v5, 1
	s_mov_b32 s16, exec_lo
	scratch_store_b64 off, v[4:5], s32 offset:588 ; 8-byte Folded Spill
	s_wait_xcnt 0x0
	v_cmpx_ne_u16_e32 0x80, v2
	s_cbranch_execz .LBB372_953
; %bb.948:                              ;   in Loop: Header=BB372_10 Depth=1
	scratch_load_b64 v[6:7], off, s32 offset:588 ; 8-byte Folded Reload
	v_and_b32_e32 v2, 0xffff, v2
	s_wait_loadcnt 0x0
	v_mov_b32_e32 v7, 0x7f800001
	s_mov_b32 s17, exec_lo
	s_delay_alu instid0(VALU_DEP_2)
	v_and_b32_e32 v5, 0x7f, v2
	scratch_store_b64 off, v[6:7], s32 offset:588 ; 8-byte Folded Spill
	s_wait_xcnt 0x0
	v_cmpx_ne_u32_e32 0x7f, v5
	s_cbranch_execz .LBB372_952
; %bb.949:                              ;   in Loop: Header=BB372_10 Depth=1
	v_dual_mov_b32 v3, v17 :: v_dual_bitop2_b32 v2, 7, v2 bitop3:0x40
	v_lshrrev_b32_e32 v4, 3, v5
	s_mov_b32 s18, exec_lo
	v_cmpx_gt_u32_e32 8, v5
; %bb.950:                              ;   in Loop: Header=BB372_10 Depth=1
	s_delay_alu instid0(VALU_DEP_3) | instskip(NEXT) | instid1(VALU_DEP_1)
	v_clz_i32_u32_e32 v4, v2
	v_min_u32_e32 v4, 32, v4
	s_delay_alu instid0(VALU_DEP_1) | instskip(NEXT) | instid1(VALU_DEP_1)
	v_subrev_nc_u32_e32 v5, 28, v4
	v_lshlrev_b64_e32 v[2:3], v5, v[2:3]
	s_delay_alu instid0(VALU_DEP_1)
	v_dual_sub_nc_u32 v4, 29, v4 :: v_dual_bitop2_b32 v2, 7, v2 bitop3:0x40
; %bb.951:                              ;   in Loop: Header=BB372_10 Depth=1
	s_or_b32 exec_lo, exec_lo, s18
	scratch_load_b64 v[6:7], off, s32 offset:588 ; 8-byte Folded Reload
	v_dual_lshlrev_b32 v3, 16, v16 :: v_dual_lshlrev_b32 v2, 20, v2
	v_lshl_add_u32 v4, v4, 23, 0x3c000000
	s_delay_alu instid0(VALU_DEP_2) | instskip(SKIP_1) | instid1(VALU_DEP_1)
	v_and_b32_e32 v3, 0x80000000, v3
	s_wait_loadcnt 0x0
	v_or3_b32 v7, v2, v3, v4
	scratch_store_b64 off, v[6:7], s32 offset:588 ; 8-byte Folded Spill
.LBB372_952:                            ;   in Loop: Header=BB372_10 Depth=1
	s_wait_xcnt 0x0
	s_or_b32 exec_lo, exec_lo, s17
.LBB372_953:                            ;   in Loop: Header=BB372_10 Depth=1
	s_delay_alu instid0(SALU_CYCLE_1)
	s_or_b32 exec_lo, exec_lo, s16
.LBB372_954:                            ;   in Loop: Header=BB372_10 Depth=1
	s_delay_alu instid0(SALU_CYCLE_1) | instskip(SKIP_2) | instid1(VALU_DEP_1)
	s_or_b32 exec_lo, exec_lo, s11
	v_lshrrev_b32_e32 v4, 16, v1
	s_mov_b32 s11, exec_lo
	v_and_b32_e32 v2, 0xff, v4
	s_delay_alu instid0(VALU_DEP_1)
	v_cmpx_ne_u16_e32 0, v2
	s_cbranch_execz .LBB372_962
; %bb.955:                              ;   in Loop: Header=BB372_10 Depth=1
	v_cmp_ne_u16_e64 s1, 0x80, v2
	v_bfrev_b32_e32 v2, 1
	scratch_store_b64 off, v[2:3], s32 offset:596 ; 8-byte Folded Spill
	s_wait_xcnt 0x0
	s_and_saveexec_b32 s16, s1
	s_cbranch_execz .LBB372_961
; %bb.956:                              ;   in Loop: Header=BB372_10 Depth=1
	v_bfe_u32 v2, v1, 16, 7
	v_mov_b32_e32 v6, 0x7f800001
	s_mov_b32 s17, exec_lo
	scratch_store_b64 off, v[6:7], s32 offset:596 ; 8-byte Folded Spill
	s_wait_xcnt 0x0
	v_cmpx_ne_u32_e32 0x7f, v2
	s_cbranch_execz .LBB372_960
; %bb.957:                              ;   in Loop: Header=BB372_10 Depth=1
	v_dual_lshrrev_b32 v5, 3, v2 :: v_dual_bitop2_b32 v16, 7, v4 bitop3:0x40
	v_cmp_gt_u32_e64 s1, 8, v2
	s_delay_alu instid0(VALU_DEP_2)
	v_mov_b64_e32 v[2:3], v[16:17]
	s_and_saveexec_b32 s18, s1
; %bb.958:                              ;   in Loop: Header=BB372_10 Depth=1
	v_clz_i32_u32_e32 v2, v16
	s_delay_alu instid0(VALU_DEP_1) | instskip(NEXT) | instid1(VALU_DEP_1)
	v_min_u32_e32 v5, 32, v2
	v_subrev_nc_u32_e32 v2, 28, v5
	s_delay_alu instid0(VALU_DEP_1) | instskip(NEXT) | instid1(VALU_DEP_1)
	v_lshlrev_b64_e32 v[2:3], v2, v[16:17]
	v_dual_sub_nc_u32 v5, 29, v5 :: v_dual_bitop2_b32 v2, 7, v2 bitop3:0x40
; %bb.959:                              ;   in Loop: Header=BB372_10 Depth=1
	s_or_b32 exec_lo, exec_lo, s18
	s_delay_alu instid0(VALU_DEP_1) | instskip(NEXT) | instid1(VALU_DEP_2)
	v_dual_lshlrev_b32 v3, 24, v4 :: v_dual_lshlrev_b32 v2, 20, v2
	v_lshl_add_u32 v4, v5, 23, 0x3c000000
	s_delay_alu instid0(VALU_DEP_2) | instskip(NEXT) | instid1(VALU_DEP_1)
	v_and_b32_e32 v3, 0x80000000, v3
	v_or3_b32 v2, v2, v3, v4
	scratch_store_b64 off, v[2:3], s32 offset:596 ; 8-byte Folded Spill
.LBB372_960:                            ;   in Loop: Header=BB372_10 Depth=1
	s_wait_xcnt 0x0
	s_or_b32 exec_lo, exec_lo, s17
.LBB372_961:                            ;   in Loop: Header=BB372_10 Depth=1
	s_delay_alu instid0(SALU_CYCLE_1)
	s_or_b32 exec_lo, exec_lo, s16
.LBB372_962:                            ;   in Loop: Header=BB372_10 Depth=1
	s_delay_alu instid0(SALU_CYCLE_1)
	s_or_b32 exec_lo, exec_lo, s11
	scratch_load_b64 v[2:3], off, s32 offset:596 ; 8-byte Folded Reload
	v_cmp_lt_u64_e64 s1, s[2:3], v[0:1]
	s_wait_loadcnt 0x0
	v_dual_mov_b32 v0, 0 :: v_dual_mov_b32 v3, 0
	s_clause 0x1
	scratch_store_b64 off, v[0:1], s32 offset:604
	scratch_store_b64 off, v[2:3], s32 offset:596
	s_wait_xcnt 0x0
	s_and_saveexec_b32 s11, s1
	s_cbranch_execz .LBB372_970
; %bb.963:                              ;   in Loop: Header=BB372_10 Depth=1
	scratch_load_b64 v[4:5], off, s32 offset:596 ; 8-byte Folded Reload
	v_lshrrev_b32_e32 v2, 24, v1
	s_wait_loadcnt 0x0
	v_bfrev_b32_e32 v5, 1
	s_mov_b32 s16, exec_lo
	scratch_store_b64 off, v[4:5], s32 offset:596 ; 8-byte Folded Spill
	s_wait_xcnt 0x0
	v_cmpx_ne_u32_e32 0x80, v2
	s_cbranch_execz .LBB372_969
; %bb.964:                              ;   in Loop: Header=BB372_10 Depth=1
	scratch_load_b64 v[4:5], off, s32 offset:596 ; 8-byte Folded Reload
	v_bfe_u32 v0, v1, 24, 7
	s_wait_loadcnt 0x0
	v_mov_b32_e32 v5, 0x7f800001
	s_mov_b32 s17, exec_lo
	scratch_store_b64 off, v[4:5], s32 offset:596 ; 8-byte Folded Spill
	s_wait_xcnt 0x0
	v_cmpx_ne_u32_e32 0x7f, v0
	s_cbranch_execz .LBB372_968
; %bb.965:                              ;   in Loop: Header=BB372_10 Depth=1
	v_dual_lshrrev_b32 v3, 3, v0 :: v_dual_bitop2_b32 v16, 7, v2 bitop3:0x40
	v_cmp_gt_u32_e64 s1, 8, v0
	s_delay_alu instid0(VALU_DEP_2)
	v_mov_b64_e32 v[0:1], v[16:17]
	s_and_saveexec_b32 s18, s1
; %bb.966:                              ;   in Loop: Header=BB372_10 Depth=1
	v_clz_i32_u32_e32 v0, v16
	s_delay_alu instid0(VALU_DEP_1) | instskip(NEXT) | instid1(VALU_DEP_1)
	v_min_u32_e32 v3, 32, v0
	v_subrev_nc_u32_e32 v0, 28, v3
	s_delay_alu instid0(VALU_DEP_1) | instskip(NEXT) | instid1(VALU_DEP_1)
	v_lshlrev_b64_e32 v[0:1], v0, v[16:17]
	v_dual_sub_nc_u32 v3, 29, v3 :: v_dual_bitop2_b32 v0, 7, v0 bitop3:0x40
; %bb.967:                              ;   in Loop: Header=BB372_10 Depth=1
	s_or_b32 exec_lo, exec_lo, s18
	scratch_load_b64 v[4:5], off, s32 offset:596 ; 8-byte Folded Reload
	v_dual_lshlrev_b32 v1, 24, v2 :: v_dual_lshlrev_b32 v0, 20, v0
	v_lshl_add_u32 v2, v3, 23, 0x3c000000
	s_delay_alu instid0(VALU_DEP_2) | instskip(SKIP_1) | instid1(VALU_DEP_1)
	v_and_b32_e32 v1, 0x80000000, v1
	s_wait_loadcnt 0x0
	v_or3_b32 v5, v0, v1, v2
	scratch_store_b64 off, v[4:5], s32 offset:596 ; 8-byte Folded Spill
.LBB372_968:                            ;   in Loop: Header=BB372_10 Depth=1
	s_wait_xcnt 0x0
	s_or_b32 exec_lo, exec_lo, s17
.LBB372_969:                            ;   in Loop: Header=BB372_10 Depth=1
	s_delay_alu instid0(SALU_CYCLE_1)
	s_or_b32 exec_lo, exec_lo, s16
.LBB372_970:                            ;   in Loop: Header=BB372_10 Depth=1
	s_delay_alu instid0(SALU_CYCLE_1)
	s_or_b32 exec_lo, exec_lo, s11
	flat_load_b64 v[0:1], v[96:97] offset:3592
	s_mov_b32 s11, exec_lo
	s_wait_loadcnt_dscnt 0x0
	v_and_b32_e32 v2, 0xff, v0
	s_wait_xcnt 0x0
	s_delay_alu instid0(VALU_DEP_1)
	v_cmpx_ne_u16_e32 0, v2
	s_cbranch_execz .LBB372_978
; %bb.971:                              ;   in Loop: Header=BB372_10 Depth=1
	v_cmp_ne_u16_e64 s1, 0x80, v2
	v_bfrev_b32_e32 v2, 1
	scratch_store_b64 off, v[2:3], s32 offset:604 ; 8-byte Folded Spill
	s_wait_xcnt 0x0
	s_and_saveexec_b32 s16, s1
	s_cbranch_execz .LBB372_977
; %bb.972:                              ;   in Loop: Header=BB372_10 Depth=1
	v_and_b32_e32 v2, 0x7f, v0
	v_mov_b32_e32 v4, 0x7f800001
	s_mov_b32 s17, exec_lo
	scratch_store_b64 off, v[4:5], s32 offset:604 ; 8-byte Folded Spill
	s_wait_xcnt 0x0
	v_cmpx_ne_u32_e32 0x7f, v2
	s_cbranch_execz .LBB372_976
; %bb.973:                              ;   in Loop: Header=BB372_10 Depth=1
	v_lshrrev_b32_e32 v4, 3, v2
	v_cmp_gt_u32_e64 s1, 8, v2
	v_mov_b64_e32 v[2:3], v[0:1]
	s_and_saveexec_b32 s18, s1
; %bb.974:                              ;   in Loop: Header=BB372_10 Depth=1
	v_and_b32_e32 v2, 7, v0
	s_delay_alu instid0(VALU_DEP_1) | instskip(NEXT) | instid1(VALU_DEP_1)
	v_clz_i32_u32_e32 v2, v2
	v_min_u32_e32 v4, 32, v2
	s_delay_alu instid0(VALU_DEP_1) | instskip(SKIP_1) | instid1(VALU_DEP_2)
	v_subrev_nc_u32_e32 v2, 28, v4
	v_sub_nc_u32_e32 v4, 29, v4
	v_lshlrev_b64_e32 v[2:3], v2, v[0:1]
; %bb.975:                              ;   in Loop: Header=BB372_10 Depth=1
	s_or_b32 exec_lo, exec_lo, s18
	s_delay_alu instid0(VALU_DEP_1) | instskip(NEXT) | instid1(VALU_DEP_3)
	v_dual_lshlrev_b32 v2, 20, v2 :: v_dual_lshlrev_b32 v3, 24, v0
	v_lshl_add_u32 v4, v4, 23, 0x3c000000
	s_delay_alu instid0(VALU_DEP_2) | instskip(NEXT) | instid1(VALU_DEP_3)
	v_and_b32_e32 v2, 0x700000, v2
	v_and_b32_e32 v3, 0x80000000, v3
	s_delay_alu instid0(VALU_DEP_1)
	v_or3_b32 v2, v2, v3, v4
	scratch_store_b64 off, v[2:3], s32 offset:604 ; 8-byte Folded Spill
.LBB372_976:                            ;   in Loop: Header=BB372_10 Depth=1
	s_wait_xcnt 0x0
	s_or_b32 exec_lo, exec_lo, s17
.LBB372_977:                            ;   in Loop: Header=BB372_10 Depth=1
	s_delay_alu instid0(SALU_CYCLE_1)
	s_or_b32 exec_lo, exec_lo, s16
.LBB372_978:                            ;   in Loop: Header=BB372_10 Depth=1
	s_delay_alu instid0(SALU_CYCLE_1)
	s_or_b32 exec_lo, exec_lo, s11
	v_mov_b32_e32 v4, 0
	v_lshrrev_b16 v2, 8, v0
	s_mov_b32 s11, exec_lo
	s_clause 0x1
	scratch_store_b64 off, v[4:5], s32 offset:612
	scratch_load_b64 v[4:5], off, s32 offset:604
	s_wait_loadcnt 0x0
	v_mov_b32_e32 v5, 0
	scratch_store_b64 off, v[4:5], s32 offset:604 ; 8-byte Folded Spill
	s_wait_xcnt 0x0
	v_cmpx_ne_u16_e32 0, v2
	s_cbranch_execz .LBB372_986
; %bb.979:                              ;   in Loop: Header=BB372_10 Depth=1
	scratch_load_b64 v[4:5], off, s32 offset:604 ; 8-byte Folded Reload
	s_wait_loadcnt 0x0
	v_bfrev_b32_e32 v5, 1
	s_mov_b32 s16, exec_lo
	scratch_store_b64 off, v[4:5], s32 offset:604 ; 8-byte Folded Spill
	s_wait_xcnt 0x0
	v_cmpx_ne_u16_e32 0x80, v2
	s_cbranch_execz .LBB372_985
; %bb.980:                              ;   in Loop: Header=BB372_10 Depth=1
	scratch_load_b64 v[6:7], off, s32 offset:604 ; 8-byte Folded Reload
	v_and_b32_e32 v2, 0xffff, v2
	s_wait_loadcnt 0x0
	v_mov_b32_e32 v7, 0x7f800001
	s_mov_b32 s17, exec_lo
	s_delay_alu instid0(VALU_DEP_2)
	v_and_b32_e32 v4, 0x7f, v2
	scratch_store_b64 off, v[6:7], s32 offset:604 ; 8-byte Folded Spill
	s_wait_xcnt 0x0
	v_cmpx_ne_u32_e32 0x7f, v4
	s_cbranch_execz .LBB372_984
; %bb.981:                              ;   in Loop: Header=BB372_10 Depth=1
	v_and_b32_e32 v16, 7, v2
	s_mov_b32 s18, exec_lo
	s_delay_alu instid0(VALU_DEP_1)
	v_mov_b64_e32 v[2:3], v[16:17]
	v_lshrrev_b32_e32 v3, 3, v4
	v_cmpx_gt_u32_e32 8, v4
; %bb.982:                              ;   in Loop: Header=BB372_10 Depth=1
	v_clz_i32_u32_e32 v2, v16
	s_delay_alu instid0(VALU_DEP_1) | instskip(NEXT) | instid1(VALU_DEP_1)
	v_min_u32_e32 v4, 32, v2
	v_subrev_nc_u32_e32 v2, 28, v4
	s_delay_alu instid0(VALU_DEP_1) | instskip(NEXT) | instid1(VALU_DEP_1)
	v_lshlrev_b64_e32 v[2:3], v2, v[16:17]
	v_dual_sub_nc_u32 v3, 29, v4 :: v_dual_bitop2_b32 v2, 7, v2 bitop3:0x40
; %bb.983:                              ;   in Loop: Header=BB372_10 Depth=1
	s_or_b32 exec_lo, exec_lo, s18
	scratch_load_b64 v[6:7], off, s32 offset:604 ; 8-byte Folded Reload
	v_dual_lshlrev_b32 v4, 16, v0 :: v_dual_lshlrev_b32 v2, 20, v2
	v_lshl_add_u32 v3, v3, 23, 0x3c000000
	s_delay_alu instid0(VALU_DEP_2) | instskip(SKIP_1) | instid1(VALU_DEP_1)
	v_and_b32_e32 v4, 0x80000000, v4
	s_wait_loadcnt 0x0
	v_or3_b32 v7, v2, v4, v3
	scratch_store_b64 off, v[6:7], s32 offset:604 ; 8-byte Folded Spill
.LBB372_984:                            ;   in Loop: Header=BB372_10 Depth=1
	s_wait_xcnt 0x0
	s_or_b32 exec_lo, exec_lo, s17
.LBB372_985:                            ;   in Loop: Header=BB372_10 Depth=1
	s_delay_alu instid0(SALU_CYCLE_1)
	s_or_b32 exec_lo, exec_lo, s16
.LBB372_986:                            ;   in Loop: Header=BB372_10 Depth=1
	s_delay_alu instid0(SALU_CYCLE_1) | instskip(SKIP_2) | instid1(VALU_DEP_1)
	s_or_b32 exec_lo, exec_lo, s11
	v_lshrrev_b32_e32 v4, 16, v0
	s_mov_b32 s11, exec_lo
	v_and_b32_e32 v2, 0xff, v4
	s_delay_alu instid0(VALU_DEP_1)
	v_cmpx_ne_u16_e32 0, v2
	s_cbranch_execz .LBB372_994
; %bb.987:                              ;   in Loop: Header=BB372_10 Depth=1
	v_cmp_ne_u16_e64 s1, 0x80, v2
	v_bfrev_b32_e32 v2, 1
	scratch_store_b64 off, v[2:3], s32 offset:612 ; 8-byte Folded Spill
	s_wait_xcnt 0x0
	s_and_saveexec_b32 s16, s1
	s_cbranch_execz .LBB372_993
; %bb.988:                              ;   in Loop: Header=BB372_10 Depth=1
	v_bfe_u32 v5, v0, 16, 7
	v_mov_b32_e32 v2, 0x7f800001
	s_mov_b32 s17, exec_lo
	scratch_store_b64 off, v[2:3], s32 offset:612 ; 8-byte Folded Spill
	s_wait_xcnt 0x0
	v_cmpx_ne_u32_e32 0x7f, v5
	s_cbranch_execz .LBB372_992
; %bb.989:                              ;   in Loop: Header=BB372_10 Depth=1
	v_and_b32_e32 v16, 7, v4
	s_mov_b32 s18, exec_lo
	s_delay_alu instid0(VALU_DEP_1)
	v_mov_b64_e32 v[2:3], v[16:17]
	v_lshrrev_b32_e32 v3, 3, v5
	v_cmpx_gt_u32_e32 8, v5
; %bb.990:                              ;   in Loop: Header=BB372_10 Depth=1
	v_clz_i32_u32_e32 v2, v16
	s_delay_alu instid0(VALU_DEP_1) | instskip(NEXT) | instid1(VALU_DEP_1)
	v_min_u32_e32 v5, 32, v2
	v_subrev_nc_u32_e32 v2, 28, v5
	s_delay_alu instid0(VALU_DEP_1) | instskip(NEXT) | instid1(VALU_DEP_1)
	v_lshlrev_b64_e32 v[2:3], v2, v[16:17]
	v_dual_sub_nc_u32 v3, 29, v5 :: v_dual_bitop2_b32 v2, 7, v2 bitop3:0x40
; %bb.991:                              ;   in Loop: Header=BB372_10 Depth=1
	s_or_b32 exec_lo, exec_lo, s18
	s_delay_alu instid0(VALU_DEP_1) | instskip(NEXT) | instid1(VALU_DEP_2)
	v_dual_lshlrev_b32 v4, 24, v4 :: v_dual_lshlrev_b32 v2, 20, v2
	v_lshl_add_u32 v3, v3, 23, 0x3c000000
	s_delay_alu instid0(VALU_DEP_2) | instskip(NEXT) | instid1(VALU_DEP_1)
	v_and_b32_e32 v4, 0x80000000, v4
	v_or3_b32 v2, v2, v4, v3
	scratch_store_b64 off, v[2:3], s32 offset:612 ; 8-byte Folded Spill
.LBB372_992:                            ;   in Loop: Header=BB372_10 Depth=1
	s_wait_xcnt 0x0
	s_or_b32 exec_lo, exec_lo, s17
.LBB372_993:                            ;   in Loop: Header=BB372_10 Depth=1
	s_delay_alu instid0(SALU_CYCLE_1)
	s_or_b32 exec_lo, exec_lo, s16
.LBB372_994:                            ;   in Loop: Header=BB372_10 Depth=1
	s_delay_alu instid0(SALU_CYCLE_1)
	s_or_b32 exec_lo, exec_lo, s11
	scratch_load_b64 v[2:3], off, s32 offset:612 ; 8-byte Folded Reload
	s_wait_loadcnt 0x0
	v_dual_mov_b32 v88, 0 :: v_dual_mov_b32 v3, 0
	s_mov_b32 s11, exec_lo
	scratch_store_b64 off, v[2:3], s32 offset:612 ; 8-byte Folded Spill
	s_wait_xcnt 0x0
	v_cmpx_lt_u32_e32 0xffffff, v0
	s_cbranch_execz .LBB372_1002
; %bb.995:                              ;   in Loop: Header=BB372_10 Depth=1
	scratch_load_b64 v[2:3], off, s32 offset:612 ; 8-byte Folded Reload
	v_lshrrev_b32_e32 v4, 24, v0
	s_wait_loadcnt 0x0
	v_bfrev_b32_e32 v3, 1
	s_mov_b32 s16, exec_lo
	scratch_store_b64 off, v[2:3], s32 offset:612 ; 8-byte Folded Spill
	s_wait_xcnt 0x0
	v_cmpx_ne_u32_e32 0x80, v4
	s_cbranch_execz .LBB372_1001
; %bb.996:                              ;   in Loop: Header=BB372_10 Depth=1
	scratch_load_b64 v[2:3], off, s32 offset:612 ; 8-byte Folded Reload
	v_bfe_u32 v5, v0, 24, 7
	s_wait_loadcnt 0x0
	v_mov_b32_e32 v3, 0x7f800001
	s_mov_b32 s17, exec_lo
	scratch_store_b64 off, v[2:3], s32 offset:612 ; 8-byte Folded Spill
	s_wait_xcnt 0x0
	v_cmpx_ne_u32_e32 0x7f, v5
	s_cbranch_execz .LBB372_1000
; %bb.997:                              ;   in Loop: Header=BB372_10 Depth=1
	v_and_b32_e32 v16, 7, v4
	s_mov_b32 s18, exec_lo
	s_delay_alu instid0(VALU_DEP_1)
	v_mov_b64_e32 v[2:3], v[16:17]
	v_lshrrev_b32_e32 v3, 3, v5
	v_cmpx_gt_u32_e32 8, v5
; %bb.998:                              ;   in Loop: Header=BB372_10 Depth=1
	v_clz_i32_u32_e32 v2, v16
	s_delay_alu instid0(VALU_DEP_1) | instskip(NEXT) | instid1(VALU_DEP_1)
	v_min_u32_e32 v5, 32, v2
	v_subrev_nc_u32_e32 v2, 28, v5
	s_delay_alu instid0(VALU_DEP_1) | instskip(NEXT) | instid1(VALU_DEP_1)
	v_lshlrev_b64_e32 v[2:3], v2, v[16:17]
	v_dual_sub_nc_u32 v3, 29, v5 :: v_dual_bitop2_b32 v2, 7, v2 bitop3:0x40
; %bb.999:                              ;   in Loop: Header=BB372_10 Depth=1
	s_or_b32 exec_lo, exec_lo, s18
	scratch_load_b64 v[6:7], off, s32 offset:612 ; 8-byte Folded Reload
	v_dual_lshlrev_b32 v4, 24, v4 :: v_dual_lshlrev_b32 v2, 20, v2
	v_lshl_add_u32 v3, v3, 23, 0x3c000000
	s_delay_alu instid0(VALU_DEP_2) | instskip(SKIP_1) | instid1(VALU_DEP_1)
	v_and_b32_e32 v4, 0x80000000, v4
	s_wait_loadcnt 0x0
	v_or3_b32 v7, v2, v4, v3
	scratch_store_b64 off, v[6:7], s32 offset:612 ; 8-byte Folded Spill
.LBB372_1000:                           ;   in Loop: Header=BB372_10 Depth=1
	s_wait_xcnt 0x0
	s_or_b32 exec_lo, exec_lo, s17
.LBB372_1001:                           ;   in Loop: Header=BB372_10 Depth=1
	s_delay_alu instid0(SALU_CYCLE_1)
	s_or_b32 exec_lo, exec_lo, s16
.LBB372_1002:                           ;   in Loop: Header=BB372_10 Depth=1
	s_delay_alu instid0(SALU_CYCLE_1) | instskip(SKIP_3) | instid1(VALU_DEP_2)
	s_or_b32 exec_lo, exec_lo, s11
	v_and_b32_e32 v2, 0xff, v1
	v_mov_b32_e32 v16, v1
	s_mov_b32 s11, exec_lo
	v_cmpx_ne_u16_e32 0, v2
	s_cbranch_execz .LBB372_1010
; %bb.1003:                             ;   in Loop: Header=BB372_10 Depth=1
	v_bfrev_b32_e32 v88, 1
	s_mov_b32 s16, exec_lo
	v_cmpx_ne_u16_e32 0x80, v2
	s_cbranch_execz .LBB372_1009
; %bb.1004:                             ;   in Loop: Header=BB372_10 Depth=1
	v_and_b32_e32 v4, 0x7f, v1
	v_mov_b32_e32 v88, 0x7f800001
	s_mov_b32 s17, exec_lo
	s_delay_alu instid0(VALU_DEP_2)
	v_cmpx_ne_u32_e32 0x7f, v4
	s_cbranch_execz .LBB372_1008
; %bb.1005:                             ;   in Loop: Header=BB372_10 Depth=1
	v_mov_b64_e32 v[2:3], v[16:17]
	v_lshrrev_b32_e32 v3, 3, v4
	s_mov_b32 s18, exec_lo
	v_cmpx_gt_u32_e32 8, v4
; %bb.1006:                             ;   in Loop: Header=BB372_10 Depth=1
	v_and_b32_e32 v2, 7, v1
	s_delay_alu instid0(VALU_DEP_1) | instskip(NEXT) | instid1(VALU_DEP_1)
	v_clz_i32_u32_e32 v2, v2
	v_min_u32_e32 v4, 32, v2
	s_delay_alu instid0(VALU_DEP_1) | instskip(NEXT) | instid1(VALU_DEP_1)
	v_subrev_nc_u32_e32 v2, 28, v4
	v_lshlrev_b64_e32 v[2:3], v2, v[16:17]
	v_sub_nc_u32_e32 v3, 29, v4
; %bb.1007:                             ;   in Loop: Header=BB372_10 Depth=1
	s_or_b32 exec_lo, exec_lo, s18
	s_delay_alu instid0(VALU_DEP_2) | instskip(NEXT) | instid1(VALU_DEP_2)
	v_dual_lshlrev_b32 v2, 20, v2 :: v_dual_lshlrev_b32 v4, 24, v16
	v_lshl_add_u32 v3, v3, 23, 0x3c000000
	s_delay_alu instid0(VALU_DEP_2) | instskip(NEXT) | instid1(VALU_DEP_3)
	v_and_b32_e32 v2, 0x700000, v2
	v_and_b32_e32 v4, 0x80000000, v4
	s_delay_alu instid0(VALU_DEP_1)
	v_or3_b32 v88, v2, v4, v3
.LBB372_1008:                           ;   in Loop: Header=BB372_10 Depth=1
	s_or_b32 exec_lo, exec_lo, s17
.LBB372_1009:                           ;   in Loop: Header=BB372_10 Depth=1
	s_delay_alu instid0(SALU_CYCLE_1)
	s_or_b32 exec_lo, exec_lo, s16
.LBB372_1010:                           ;   in Loop: Header=BB372_10 Depth=1
	s_delay_alu instid0(SALU_CYCLE_1)
	s_or_b32 exec_lo, exec_lo, s11
	v_lshrrev_b16 v2, 8, v16
	v_dual_mov_b32 v4, 0 :: v_dual_mov_b32 v89, 0
	s_mov_b32 s11, exec_lo
	scratch_store_b64 off, v[4:5], s32 offset:620 ; 8-byte Folded Spill
	s_wait_xcnt 0x0
	v_cmpx_ne_u16_e32 0, v2
	s_cbranch_execz .LBB372_1018
; %bb.1011:                             ;   in Loop: Header=BB372_10 Depth=1
	v_bfrev_b32_e32 v89, 1
	s_mov_b32 s16, exec_lo
	v_cmpx_ne_u16_e32 0x80, v2
	s_cbranch_execz .LBB372_1017
; %bb.1012:                             ;   in Loop: Header=BB372_10 Depth=1
	v_and_b32_e32 v2, 0xffff, v2
	v_mov_b32_e32 v89, 0x7f800001
	s_mov_b32 s17, exec_lo
	s_delay_alu instid0(VALU_DEP_2) | instskip(NEXT) | instid1(VALU_DEP_1)
	v_and_b32_e32 v5, 0x7f, v2
	v_cmpx_ne_u32_e32 0x7f, v5
	s_cbranch_execz .LBB372_1016
; %bb.1013:                             ;   in Loop: Header=BB372_10 Depth=1
	v_dual_mov_b32 v3, v17 :: v_dual_bitop2_b32 v2, 7, v2 bitop3:0x40
	v_lshrrev_b32_e32 v4, 3, v5
	s_mov_b32 s18, exec_lo
	v_cmpx_gt_u32_e32 8, v5
; %bb.1014:                             ;   in Loop: Header=BB372_10 Depth=1
	s_delay_alu instid0(VALU_DEP_3) | instskip(NEXT) | instid1(VALU_DEP_1)
	v_clz_i32_u32_e32 v4, v2
	v_min_u32_e32 v4, 32, v4
	s_delay_alu instid0(VALU_DEP_1) | instskip(NEXT) | instid1(VALU_DEP_1)
	v_subrev_nc_u32_e32 v5, 28, v4
	v_lshlrev_b64_e32 v[2:3], v5, v[2:3]
	s_delay_alu instid0(VALU_DEP_1)
	v_dual_sub_nc_u32 v4, 29, v4 :: v_dual_bitop2_b32 v2, 7, v2 bitop3:0x40
; %bb.1015:                             ;   in Loop: Header=BB372_10 Depth=1
	s_or_b32 exec_lo, exec_lo, s18
	s_delay_alu instid0(VALU_DEP_1) | instskip(NEXT) | instid1(VALU_DEP_2)
	v_dual_lshlrev_b32 v3, 16, v16 :: v_dual_lshlrev_b32 v2, 20, v2
	v_lshl_add_u32 v4, v4, 23, 0x3c000000
	s_delay_alu instid0(VALU_DEP_2) | instskip(NEXT) | instid1(VALU_DEP_1)
	v_and_b32_e32 v3, 0x80000000, v3
	v_or3_b32 v89, v2, v3, v4
.LBB372_1016:                           ;   in Loop: Header=BB372_10 Depth=1
	s_or_b32 exec_lo, exec_lo, s17
.LBB372_1017:                           ;   in Loop: Header=BB372_10 Depth=1
	s_delay_alu instid0(SALU_CYCLE_1)
	s_or_b32 exec_lo, exec_lo, s16
.LBB372_1018:                           ;   in Loop: Header=BB372_10 Depth=1
	s_delay_alu instid0(SALU_CYCLE_1) | instskip(SKIP_2) | instid1(VALU_DEP_1)
	s_or_b32 exec_lo, exec_lo, s11
	v_lshrrev_b32_e32 v4, 16, v1
	s_mov_b32 s11, exec_lo
	v_and_b32_e32 v2, 0xff, v4
	s_delay_alu instid0(VALU_DEP_1)
	v_cmpx_ne_u16_e32 0, v2
	s_cbranch_execz .LBB372_1026
; %bb.1019:                             ;   in Loop: Header=BB372_10 Depth=1
	v_cmp_ne_u16_e64 s1, 0x80, v2
	v_bfrev_b32_e32 v2, 1
	scratch_store_b64 off, v[2:3], s32 offset:620 ; 8-byte Folded Spill
	s_wait_xcnt 0x0
	s_and_saveexec_b32 s16, s1
	s_cbranch_execz .LBB372_1025
; %bb.1020:                             ;   in Loop: Header=BB372_10 Depth=1
	v_bfe_u32 v5, v1, 16, 7
	v_mov_b32_e32 v2, 0x7f800001
	s_mov_b32 s17, exec_lo
	scratch_store_b64 off, v[2:3], s32 offset:620 ; 8-byte Folded Spill
	s_wait_xcnt 0x0
	v_cmpx_ne_u32_e32 0x7f, v5
	s_cbranch_execz .LBB372_1024
; %bb.1021:                             ;   in Loop: Header=BB372_10 Depth=1
	v_and_b32_e32 v16, 7, v4
	s_mov_b32 s18, exec_lo
	s_delay_alu instid0(VALU_DEP_1)
	v_mov_b64_e32 v[2:3], v[16:17]
	v_lshrrev_b32_e32 v3, 3, v5
	v_cmpx_gt_u32_e32 8, v5
; %bb.1022:                             ;   in Loop: Header=BB372_10 Depth=1
	v_clz_i32_u32_e32 v2, v16
	s_delay_alu instid0(VALU_DEP_1) | instskip(NEXT) | instid1(VALU_DEP_1)
	v_min_u32_e32 v5, 32, v2
	v_subrev_nc_u32_e32 v2, 28, v5
	s_delay_alu instid0(VALU_DEP_1) | instskip(NEXT) | instid1(VALU_DEP_1)
	v_lshlrev_b64_e32 v[2:3], v2, v[16:17]
	v_dual_sub_nc_u32 v3, 29, v5 :: v_dual_bitop2_b32 v2, 7, v2 bitop3:0x40
; %bb.1023:                             ;   in Loop: Header=BB372_10 Depth=1
	s_or_b32 exec_lo, exec_lo, s18
	s_delay_alu instid0(VALU_DEP_1) | instskip(NEXT) | instid1(VALU_DEP_2)
	v_dual_lshlrev_b32 v4, 24, v4 :: v_dual_lshlrev_b32 v2, 20, v2
	v_lshl_add_u32 v3, v3, 23, 0x3c000000
	s_delay_alu instid0(VALU_DEP_2) | instskip(NEXT) | instid1(VALU_DEP_1)
	v_and_b32_e32 v4, 0x80000000, v4
	v_or3_b32 v2, v2, v4, v3
	scratch_store_b64 off, v[2:3], s32 offset:620 ; 8-byte Folded Spill
.LBB372_1024:                           ;   in Loop: Header=BB372_10 Depth=1
	s_wait_xcnt 0x0
	s_or_b32 exec_lo, exec_lo, s17
.LBB372_1025:                           ;   in Loop: Header=BB372_10 Depth=1
	s_delay_alu instid0(SALU_CYCLE_1)
	s_or_b32 exec_lo, exec_lo, s16
.LBB372_1026:                           ;   in Loop: Header=BB372_10 Depth=1
	s_delay_alu instid0(SALU_CYCLE_1)
	s_or_b32 exec_lo, exec_lo, s11
	scratch_load_b64 v[2:3], off, s32 offset:620 ; 8-byte Folded Reload
	s_wait_loadcnt 0x0
	v_dual_mov_b32 v6, 0 :: v_dual_mov_b32 v3, 0
	s_mov_b32 s11, exec_lo
	scratch_store_b64 off, v[2:3], s32 offset:620 ; 8-byte Folded Spill
	s_wait_xcnt 0x0
	v_cmpx_lt_u64_e64 s[2:3], v[0:1]
	s_cbranch_execz .LBB372_1034
; %bb.1027:                             ;   in Loop: Header=BB372_10 Depth=1
	scratch_load_b64 v[4:5], off, s32 offset:620 ; 8-byte Folded Reload
	v_lshrrev_b32_e32 v2, 24, v1
	s_wait_loadcnt 0x0
	v_bfrev_b32_e32 v5, 1
	s_mov_b32 s16, exec_lo
	scratch_store_b64 off, v[4:5], s32 offset:620 ; 8-byte Folded Spill
	s_wait_xcnt 0x0
	v_cmpx_ne_u32_e32 0x80, v2
	s_cbranch_execz .LBB372_1033
; %bb.1028:                             ;   in Loop: Header=BB372_10 Depth=1
	v_bfe_u32 v3, v1, 24, 7
	scratch_load_b64 v[0:1], off, s32 offset:620 ; 8-byte Folded Reload
	s_wait_loadcnt 0x0
	v_mov_b32_e32 v1, 0x7f800001
	s_mov_b32 s17, exec_lo
	scratch_store_b64 off, v[0:1], s32 offset:620 ; 8-byte Folded Spill
	s_wait_xcnt 0x0
	v_cmpx_ne_u32_e32 0x7f, v3
	s_cbranch_execz .LBB372_1032
; %bb.1029:                             ;   in Loop: Header=BB372_10 Depth=1
	v_and_b32_e32 v16, 7, v2
	s_mov_b32 s18, exec_lo
	s_delay_alu instid0(VALU_DEP_1)
	v_mov_b64_e32 v[0:1], v[16:17]
	v_lshrrev_b32_e32 v1, 3, v3
	v_cmpx_gt_u32_e32 8, v3
; %bb.1030:                             ;   in Loop: Header=BB372_10 Depth=1
	v_clz_i32_u32_e32 v0, v16
	s_delay_alu instid0(VALU_DEP_1) | instskip(NEXT) | instid1(VALU_DEP_1)
	v_min_u32_e32 v3, 32, v0
	v_subrev_nc_u32_e32 v0, 28, v3
	s_delay_alu instid0(VALU_DEP_1) | instskip(NEXT) | instid1(VALU_DEP_1)
	v_lshlrev_b64_e32 v[0:1], v0, v[16:17]
	v_dual_sub_nc_u32 v1, 29, v3 :: v_dual_bitop2_b32 v0, 7, v0 bitop3:0x40
; %bb.1031:                             ;   in Loop: Header=BB372_10 Depth=1
	s_or_b32 exec_lo, exec_lo, s18
	scratch_load_b64 v[4:5], off, s32 offset:620 ; 8-byte Folded Reload
	v_dual_lshlrev_b32 v2, 24, v2 :: v_dual_lshlrev_b32 v0, 20, v0
	v_lshl_add_u32 v1, v1, 23, 0x3c000000
	s_delay_alu instid0(VALU_DEP_2) | instskip(SKIP_1) | instid1(VALU_DEP_1)
	v_and_b32_e32 v2, 0x80000000, v2
	s_wait_loadcnt 0x0
	v_or3_b32 v5, v0, v2, v1
	scratch_store_b64 off, v[4:5], s32 offset:620 ; 8-byte Folded Spill
.LBB372_1032:                           ;   in Loop: Header=BB372_10 Depth=1
	s_wait_xcnt 0x0
	s_or_b32 exec_lo, exec_lo, s17
.LBB372_1033:                           ;   in Loop: Header=BB372_10 Depth=1
	s_delay_alu instid0(SALU_CYCLE_1)
	s_or_b32 exec_lo, exec_lo, s16
.LBB372_1034:                           ;   in Loop: Header=BB372_10 Depth=1
	s_delay_alu instid0(SALU_CYCLE_1)
	s_or_b32 exec_lo, exec_lo, s11
	flat_load_b64 v[0:1], v[96:97] offset:4096
	s_mov_b32 s11, exec_lo
	s_wait_loadcnt_dscnt 0x0
	v_and_b32_e32 v2, 0xff, v0
	s_wait_xcnt 0x0
	s_delay_alu instid0(VALU_DEP_1)
	v_cmpx_ne_u16_e32 0, v2
	s_cbranch_execz .LBB372_1042
; %bb.1035:                             ;   in Loop: Header=BB372_10 Depth=1
	v_bfrev_b32_e32 v6, 1
	s_mov_b32 s16, exec_lo
	v_cmpx_ne_u16_e32 0x80, v2
	s_cbranch_execz .LBB372_1041
; %bb.1036:                             ;   in Loop: Header=BB372_10 Depth=1
	v_and_b32_e32 v2, 0x7f, v0
	v_mov_b32_e32 v6, 0x7f800001
	s_mov_b32 s17, exec_lo
	s_delay_alu instid0(VALU_DEP_2)
	v_cmpx_ne_u32_e32 0x7f, v2
	s_cbranch_execz .LBB372_1040
; %bb.1037:                             ;   in Loop: Header=BB372_10 Depth=1
	v_lshrrev_b32_e32 v4, 3, v2
	v_cmp_gt_u32_e64 s1, 8, v2
	v_mov_b64_e32 v[2:3], v[0:1]
	s_and_saveexec_b32 s18, s1
; %bb.1038:                             ;   in Loop: Header=BB372_10 Depth=1
	v_and_b32_e32 v2, 7, v0
	s_delay_alu instid0(VALU_DEP_1) | instskip(NEXT) | instid1(VALU_DEP_1)
	v_clz_i32_u32_e32 v2, v2
	v_min_u32_e32 v4, 32, v2
	s_delay_alu instid0(VALU_DEP_1) | instskip(SKIP_1) | instid1(VALU_DEP_2)
	v_subrev_nc_u32_e32 v2, 28, v4
	v_sub_nc_u32_e32 v4, 29, v4
	v_lshlrev_b64_e32 v[2:3], v2, v[0:1]
; %bb.1039:                             ;   in Loop: Header=BB372_10 Depth=1
	s_or_b32 exec_lo, exec_lo, s18
	s_delay_alu instid0(VALU_DEP_1) | instskip(NEXT) | instid1(VALU_DEP_3)
	v_dual_lshlrev_b32 v2, 20, v2 :: v_dual_lshlrev_b32 v3, 24, v0
	v_lshl_add_u32 v4, v4, 23, 0x3c000000
	s_delay_alu instid0(VALU_DEP_2) | instskip(NEXT) | instid1(VALU_DEP_3)
	v_and_b32_e32 v2, 0x700000, v2
	v_and_b32_e32 v3, 0x80000000, v3
	s_delay_alu instid0(VALU_DEP_1)
	v_or3_b32 v6, v2, v3, v4
.LBB372_1040:                           ;   in Loop: Header=BB372_10 Depth=1
	s_or_b32 exec_lo, exec_lo, s17
.LBB372_1041:                           ;   in Loop: Header=BB372_10 Depth=1
	s_delay_alu instid0(SALU_CYCLE_1)
	s_or_b32 exec_lo, exec_lo, s16
.LBB372_1042:                           ;   in Loop: Header=BB372_10 Depth=1
	s_delay_alu instid0(SALU_CYCLE_1)
	s_or_b32 exec_lo, exec_lo, s11
	v_lshrrev_b16 v2, 8, v0
	v_dual_mov_b32 v20, 0 :: v_dual_mov_b32 v7, 0
	s_mov_b32 s11, exec_lo
	scratch_store_b64 off, v[6:7], s32 offset:636 ; 8-byte Folded Spill
	s_wait_xcnt 0x0
	v_cmpx_ne_u16_e32 0, v2
	s_cbranch_execz .LBB372_1050
; %bb.1043:                             ;   in Loop: Header=BB372_10 Depth=1
	scratch_load_b64 v[4:5], off, s32 offset:636 ; 8-byte Folded Reload
	s_wait_loadcnt 0x0
	v_bfrev_b32_e32 v5, 1
	s_mov_b32 s16, exec_lo
	scratch_store_b64 off, v[4:5], s32 offset:636 ; 8-byte Folded Spill
	s_wait_xcnt 0x0
	v_cmpx_ne_u16_e32 0x80, v2
	s_cbranch_execz .LBB372_1049
; %bb.1044:                             ;   in Loop: Header=BB372_10 Depth=1
	scratch_load_b64 v[6:7], off, s32 offset:636 ; 8-byte Folded Reload
	v_and_b32_e32 v2, 0xffff, v2
	s_wait_loadcnt 0x0
	v_mov_b32_e32 v7, 0x7f800001
	s_mov_b32 s17, exec_lo
	s_delay_alu instid0(VALU_DEP_2)
	v_and_b32_e32 v4, 0x7f, v2
	scratch_store_b64 off, v[6:7], s32 offset:636 ; 8-byte Folded Spill
	s_wait_xcnt 0x0
	v_cmpx_ne_u32_e32 0x7f, v4
	s_cbranch_execz .LBB372_1048
; %bb.1045:                             ;   in Loop: Header=BB372_10 Depth=1
	v_and_b32_e32 v16, 7, v2
	s_mov_b32 s18, exec_lo
	s_delay_alu instid0(VALU_DEP_1)
	v_mov_b64_e32 v[2:3], v[16:17]
	v_lshrrev_b32_e32 v3, 3, v4
	v_cmpx_gt_u32_e32 8, v4
; %bb.1046:                             ;   in Loop: Header=BB372_10 Depth=1
	v_clz_i32_u32_e32 v2, v16
	s_delay_alu instid0(VALU_DEP_1) | instskip(NEXT) | instid1(VALU_DEP_1)
	v_min_u32_e32 v4, 32, v2
	v_subrev_nc_u32_e32 v2, 28, v4
	s_delay_alu instid0(VALU_DEP_1) | instskip(NEXT) | instid1(VALU_DEP_1)
	v_lshlrev_b64_e32 v[2:3], v2, v[16:17]
	v_dual_sub_nc_u32 v3, 29, v4 :: v_dual_bitop2_b32 v2, 7, v2 bitop3:0x40
; %bb.1047:                             ;   in Loop: Header=BB372_10 Depth=1
	s_or_b32 exec_lo, exec_lo, s18
	scratch_load_b64 v[6:7], off, s32 offset:636 ; 8-byte Folded Reload
	v_dual_lshlrev_b32 v4, 16, v0 :: v_dual_lshlrev_b32 v2, 20, v2
	v_lshl_add_u32 v3, v3, 23, 0x3c000000
	s_delay_alu instid0(VALU_DEP_2) | instskip(SKIP_1) | instid1(VALU_DEP_1)
	v_and_b32_e32 v4, 0x80000000, v4
	s_wait_loadcnt 0x0
	v_or3_b32 v7, v2, v4, v3
	scratch_store_b64 off, v[6:7], s32 offset:636 ; 8-byte Folded Spill
.LBB372_1048:                           ;   in Loop: Header=BB372_10 Depth=1
	s_wait_xcnt 0x0
	s_or_b32 exec_lo, exec_lo, s17
.LBB372_1049:                           ;   in Loop: Header=BB372_10 Depth=1
	s_delay_alu instid0(SALU_CYCLE_1)
	s_or_b32 exec_lo, exec_lo, s16
.LBB372_1050:                           ;   in Loop: Header=BB372_10 Depth=1
	s_delay_alu instid0(SALU_CYCLE_1) | instskip(SKIP_2) | instid1(VALU_DEP_1)
	s_or_b32 exec_lo, exec_lo, s11
	v_lshrrev_b32_e32 v4, 16, v0
	s_mov_b32 s11, exec_lo
	v_and_b32_e32 v2, 0xff, v4
	s_delay_alu instid0(VALU_DEP_1)
	v_cmpx_ne_u16_e32 0, v2
	s_cbranch_execz .LBB372_1058
; %bb.1051:                             ;   in Loop: Header=BB372_10 Depth=1
	v_bfrev_b32_e32 v20, 1
	s_mov_b32 s16, exec_lo
	v_cmpx_ne_u16_e32 0x80, v2
	s_cbranch_execz .LBB372_1057
; %bb.1052:                             ;   in Loop: Header=BB372_10 Depth=1
	v_bfe_u32 v5, v0, 16, 7
	v_mov_b32_e32 v20, 0x7f800001
	s_mov_b32 s17, exec_lo
	s_delay_alu instid0(VALU_DEP_2)
	v_cmpx_ne_u32_e32 0x7f, v5
	s_cbranch_execz .LBB372_1056
; %bb.1053:                             ;   in Loop: Header=BB372_10 Depth=1
	v_and_b32_e32 v16, 7, v4
	s_mov_b32 s18, exec_lo
	s_delay_alu instid0(VALU_DEP_1)
	v_mov_b64_e32 v[2:3], v[16:17]
	v_lshrrev_b32_e32 v3, 3, v5
	v_cmpx_gt_u32_e32 8, v5
; %bb.1054:                             ;   in Loop: Header=BB372_10 Depth=1
	v_clz_i32_u32_e32 v2, v16
	s_delay_alu instid0(VALU_DEP_1) | instskip(NEXT) | instid1(VALU_DEP_1)
	v_min_u32_e32 v5, 32, v2
	v_subrev_nc_u32_e32 v2, 28, v5
	s_delay_alu instid0(VALU_DEP_1) | instskip(NEXT) | instid1(VALU_DEP_1)
	v_lshlrev_b64_e32 v[2:3], v2, v[16:17]
	v_dual_sub_nc_u32 v3, 29, v5 :: v_dual_bitop2_b32 v2, 7, v2 bitop3:0x40
; %bb.1055:                             ;   in Loop: Header=BB372_10 Depth=1
	s_or_b32 exec_lo, exec_lo, s18
	s_delay_alu instid0(VALU_DEP_1) | instskip(NEXT) | instid1(VALU_DEP_2)
	v_dual_lshlrev_b32 v4, 24, v4 :: v_dual_lshlrev_b32 v2, 20, v2
	v_lshl_add_u32 v3, v3, 23, 0x3c000000
	s_delay_alu instid0(VALU_DEP_2) | instskip(NEXT) | instid1(VALU_DEP_1)
	v_and_b32_e32 v4, 0x80000000, v4
	v_or3_b32 v20, v2, v4, v3
.LBB372_1056:                           ;   in Loop: Header=BB372_10 Depth=1
	s_or_b32 exec_lo, exec_lo, s17
.LBB372_1057:                           ;   in Loop: Header=BB372_10 Depth=1
	s_delay_alu instid0(SALU_CYCLE_1)
	s_or_b32 exec_lo, exec_lo, s16
.LBB372_1058:                           ;   in Loop: Header=BB372_10 Depth=1
	s_delay_alu instid0(SALU_CYCLE_1)
	s_or_b32 exec_lo, exec_lo, s11
	v_dual_mov_b32 v38, 0 :: v_dual_mov_b32 v21, 0
	s_mov_b32 s11, exec_lo
	v_cmpx_lt_u32_e32 0xffffff, v0
	s_cbranch_execz .LBB372_1066
; %bb.1059:                             ;   in Loop: Header=BB372_10 Depth=1
	v_lshrrev_b32_e32 v4, 24, v0
	v_bfrev_b32_e32 v21, 1
	s_mov_b32 s16, exec_lo
	s_delay_alu instid0(VALU_DEP_2)
	v_cmpx_ne_u32_e32 0x80, v4
	s_cbranch_execz .LBB372_1065
; %bb.1060:                             ;   in Loop: Header=BB372_10 Depth=1
	v_bfe_u32 v5, v0, 24, 7
	v_mov_b32_e32 v21, 0x7f800001
	s_mov_b32 s17, exec_lo
	s_delay_alu instid0(VALU_DEP_2)
	v_cmpx_ne_u32_e32 0x7f, v5
	s_cbranch_execz .LBB372_1064
; %bb.1061:                             ;   in Loop: Header=BB372_10 Depth=1
	v_and_b32_e32 v16, 7, v4
	s_mov_b32 s18, exec_lo
	s_delay_alu instid0(VALU_DEP_1)
	v_mov_b64_e32 v[2:3], v[16:17]
	v_lshrrev_b32_e32 v3, 3, v5
	v_cmpx_gt_u32_e32 8, v5
; %bb.1062:                             ;   in Loop: Header=BB372_10 Depth=1
	v_clz_i32_u32_e32 v2, v16
	s_delay_alu instid0(VALU_DEP_1) | instskip(NEXT) | instid1(VALU_DEP_1)
	v_min_u32_e32 v5, 32, v2
	v_subrev_nc_u32_e32 v2, 28, v5
	s_delay_alu instid0(VALU_DEP_1) | instskip(NEXT) | instid1(VALU_DEP_1)
	v_lshlrev_b64_e32 v[2:3], v2, v[16:17]
	v_dual_sub_nc_u32 v3, 29, v5 :: v_dual_bitop2_b32 v2, 7, v2 bitop3:0x40
; %bb.1063:                             ;   in Loop: Header=BB372_10 Depth=1
	s_or_b32 exec_lo, exec_lo, s18
	s_delay_alu instid0(VALU_DEP_1) | instskip(NEXT) | instid1(VALU_DEP_2)
	v_dual_lshlrev_b32 v4, 24, v4 :: v_dual_lshlrev_b32 v2, 20, v2
	v_lshl_add_u32 v3, v3, 23, 0x3c000000
	s_delay_alu instid0(VALU_DEP_2) | instskip(NEXT) | instid1(VALU_DEP_1)
	v_and_b32_e32 v4, 0x80000000, v4
	v_or3_b32 v21, v2, v4, v3
.LBB372_1064:                           ;   in Loop: Header=BB372_10 Depth=1
	s_or_b32 exec_lo, exec_lo, s17
.LBB372_1065:                           ;   in Loop: Header=BB372_10 Depth=1
	s_delay_alu instid0(SALU_CYCLE_1)
	s_or_b32 exec_lo, exec_lo, s16
.LBB372_1066:                           ;   in Loop: Header=BB372_10 Depth=1
	s_delay_alu instid0(SALU_CYCLE_1) | instskip(SKIP_3) | instid1(VALU_DEP_2)
	s_or_b32 exec_lo, exec_lo, s11
	v_and_b32_e32 v2, 0xff, v1
	v_mov_b32_e32 v16, v1
	s_mov_b32 s11, exec_lo
	v_cmpx_ne_u16_e32 0, v2
	s_cbranch_execz .LBB372_1074
; %bb.1067:                             ;   in Loop: Header=BB372_10 Depth=1
	v_bfrev_b32_e32 v38, 1
	s_mov_b32 s16, exec_lo
	v_cmpx_ne_u16_e32 0x80, v2
	s_cbranch_execz .LBB372_1073
; %bb.1068:                             ;   in Loop: Header=BB372_10 Depth=1
	v_and_b32_e32 v4, 0x7f, v1
	v_mov_b32_e32 v38, 0x7f800001
	s_mov_b32 s17, exec_lo
	s_delay_alu instid0(VALU_DEP_2)
	v_cmpx_ne_u32_e32 0x7f, v4
	s_cbranch_execz .LBB372_1072
; %bb.1069:                             ;   in Loop: Header=BB372_10 Depth=1
	v_mov_b64_e32 v[2:3], v[16:17]
	v_lshrrev_b32_e32 v3, 3, v4
	s_mov_b32 s18, exec_lo
	v_cmpx_gt_u32_e32 8, v4
; %bb.1070:                             ;   in Loop: Header=BB372_10 Depth=1
	v_and_b32_e32 v2, 7, v1
	s_delay_alu instid0(VALU_DEP_1) | instskip(NEXT) | instid1(VALU_DEP_1)
	v_clz_i32_u32_e32 v2, v2
	v_min_u32_e32 v4, 32, v2
	s_delay_alu instid0(VALU_DEP_1) | instskip(NEXT) | instid1(VALU_DEP_1)
	v_subrev_nc_u32_e32 v2, 28, v4
	v_lshlrev_b64_e32 v[2:3], v2, v[16:17]
	v_sub_nc_u32_e32 v3, 29, v4
; %bb.1071:                             ;   in Loop: Header=BB372_10 Depth=1
	s_or_b32 exec_lo, exec_lo, s18
	s_delay_alu instid0(VALU_DEP_2) | instskip(NEXT) | instid1(VALU_DEP_2)
	v_dual_lshlrev_b32 v2, 20, v2 :: v_dual_lshlrev_b32 v4, 24, v16
	v_lshl_add_u32 v3, v3, 23, 0x3c000000
	s_delay_alu instid0(VALU_DEP_2) | instskip(NEXT) | instid1(VALU_DEP_3)
	v_and_b32_e32 v2, 0x700000, v2
	v_and_b32_e32 v4, 0x80000000, v4
	s_delay_alu instid0(VALU_DEP_1)
	v_or3_b32 v38, v2, v4, v3
.LBB372_1072:                           ;   in Loop: Header=BB372_10 Depth=1
	s_or_b32 exec_lo, exec_lo, s17
.LBB372_1073:                           ;   in Loop: Header=BB372_10 Depth=1
	s_delay_alu instid0(SALU_CYCLE_1)
	s_or_b32 exec_lo, exec_lo, s16
.LBB372_1074:                           ;   in Loop: Header=BB372_10 Depth=1
	s_delay_alu instid0(SALU_CYCLE_1) | instskip(SKIP_3) | instid1(VALU_DEP_2)
	s_or_b32 exec_lo, exec_lo, s11
	v_lshrrev_b16 v2, 8, v16
	v_dual_mov_b32 v66, 0 :: v_dual_mov_b32 v39, 0
	s_mov_b32 s11, exec_lo
	v_cmpx_ne_u16_e32 0, v2
	s_cbranch_execz .LBB372_1082
; %bb.1075:                             ;   in Loop: Header=BB372_10 Depth=1
	v_bfrev_b32_e32 v39, 1
	s_mov_b32 s16, exec_lo
	v_cmpx_ne_u16_e32 0x80, v2
	s_cbranch_execz .LBB372_1081
; %bb.1076:                             ;   in Loop: Header=BB372_10 Depth=1
	v_and_b32_e32 v2, 0xffff, v2
	v_mov_b32_e32 v39, 0x7f800001
	s_mov_b32 s17, exec_lo
	s_delay_alu instid0(VALU_DEP_2) | instskip(NEXT) | instid1(VALU_DEP_1)
	v_and_b32_e32 v5, 0x7f, v2
	v_cmpx_ne_u32_e32 0x7f, v5
	s_cbranch_execz .LBB372_1080
; %bb.1077:                             ;   in Loop: Header=BB372_10 Depth=1
	v_dual_mov_b32 v3, v17 :: v_dual_bitop2_b32 v2, 7, v2 bitop3:0x40
	v_lshrrev_b32_e32 v4, 3, v5
	s_mov_b32 s18, exec_lo
	v_cmpx_gt_u32_e32 8, v5
; %bb.1078:                             ;   in Loop: Header=BB372_10 Depth=1
	s_delay_alu instid0(VALU_DEP_3) | instskip(NEXT) | instid1(VALU_DEP_1)
	v_clz_i32_u32_e32 v4, v2
	v_min_u32_e32 v4, 32, v4
	s_delay_alu instid0(VALU_DEP_1) | instskip(NEXT) | instid1(VALU_DEP_1)
	v_subrev_nc_u32_e32 v5, 28, v4
	v_lshlrev_b64_e32 v[2:3], v5, v[2:3]
	s_delay_alu instid0(VALU_DEP_1)
	v_dual_sub_nc_u32 v4, 29, v4 :: v_dual_bitop2_b32 v2, 7, v2 bitop3:0x40
; %bb.1079:                             ;   in Loop: Header=BB372_10 Depth=1
	s_or_b32 exec_lo, exec_lo, s18
	s_delay_alu instid0(VALU_DEP_1) | instskip(NEXT) | instid1(VALU_DEP_2)
	v_dual_lshlrev_b32 v3, 16, v16 :: v_dual_lshlrev_b32 v2, 20, v2
	v_lshl_add_u32 v4, v4, 23, 0x3c000000
	s_delay_alu instid0(VALU_DEP_2) | instskip(NEXT) | instid1(VALU_DEP_1)
	v_and_b32_e32 v3, 0x80000000, v3
	v_or3_b32 v39, v2, v3, v4
.LBB372_1080:                           ;   in Loop: Header=BB372_10 Depth=1
	s_or_b32 exec_lo, exec_lo, s17
.LBB372_1081:                           ;   in Loop: Header=BB372_10 Depth=1
	s_delay_alu instid0(SALU_CYCLE_1)
	s_or_b32 exec_lo, exec_lo, s16
.LBB372_1082:                           ;   in Loop: Header=BB372_10 Depth=1
	s_delay_alu instid0(SALU_CYCLE_1) | instskip(SKIP_2) | instid1(VALU_DEP_1)
	s_or_b32 exec_lo, exec_lo, s11
	v_lshrrev_b32_e32 v4, 16, v1
	s_mov_b32 s11, exec_lo
	v_and_b32_e32 v2, 0xff, v4
	s_delay_alu instid0(VALU_DEP_1)
	v_cmpx_ne_u16_e32 0, v2
	s_cbranch_execz .LBB372_1090
; %bb.1083:                             ;   in Loop: Header=BB372_10 Depth=1
	v_bfrev_b32_e32 v66, 1
	s_mov_b32 s16, exec_lo
	v_cmpx_ne_u16_e32 0x80, v2
	s_cbranch_execz .LBB372_1089
; %bb.1084:                             ;   in Loop: Header=BB372_10 Depth=1
	v_bfe_u32 v5, v1, 16, 7
	v_mov_b32_e32 v66, 0x7f800001
	s_mov_b32 s17, exec_lo
	s_delay_alu instid0(VALU_DEP_2)
	v_cmpx_ne_u32_e32 0x7f, v5
	s_cbranch_execz .LBB372_1088
; %bb.1085:                             ;   in Loop: Header=BB372_10 Depth=1
	v_and_b32_e32 v16, 7, v4
	s_mov_b32 s18, exec_lo
	s_delay_alu instid0(VALU_DEP_1)
	v_mov_b64_e32 v[2:3], v[16:17]
	v_lshrrev_b32_e32 v3, 3, v5
	v_cmpx_gt_u32_e32 8, v5
; %bb.1086:                             ;   in Loop: Header=BB372_10 Depth=1
	v_clz_i32_u32_e32 v2, v16
	s_delay_alu instid0(VALU_DEP_1) | instskip(NEXT) | instid1(VALU_DEP_1)
	v_min_u32_e32 v5, 32, v2
	v_subrev_nc_u32_e32 v2, 28, v5
	s_delay_alu instid0(VALU_DEP_1) | instskip(NEXT) | instid1(VALU_DEP_1)
	v_lshlrev_b64_e32 v[2:3], v2, v[16:17]
	v_dual_sub_nc_u32 v3, 29, v5 :: v_dual_bitop2_b32 v2, 7, v2 bitop3:0x40
; %bb.1087:                             ;   in Loop: Header=BB372_10 Depth=1
	s_or_b32 exec_lo, exec_lo, s18
	s_delay_alu instid0(VALU_DEP_1) | instskip(NEXT) | instid1(VALU_DEP_2)
	v_dual_lshlrev_b32 v4, 24, v4 :: v_dual_lshlrev_b32 v2, 20, v2
	v_lshl_add_u32 v3, v3, 23, 0x3c000000
	s_delay_alu instid0(VALU_DEP_2) | instskip(NEXT) | instid1(VALU_DEP_1)
	v_and_b32_e32 v4, 0x80000000, v4
	v_or3_b32 v66, v2, v4, v3
.LBB372_1088:                           ;   in Loop: Header=BB372_10 Depth=1
	s_or_b32 exec_lo, exec_lo, s17
.LBB372_1089:                           ;   in Loop: Header=BB372_10 Depth=1
	s_delay_alu instid0(SALU_CYCLE_1)
	s_or_b32 exec_lo, exec_lo, s16
.LBB372_1090:                           ;   in Loop: Header=BB372_10 Depth=1
	s_delay_alu instid0(SALU_CYCLE_1)
	s_or_b32 exec_lo, exec_lo, s11
	v_dual_mov_b32 v4, 0 :: v_dual_mov_b32 v67, 0
	s_mov_b32 s11, exec_lo
	v_cmpx_lt_u64_e64 s[2:3], v[0:1]
	s_cbranch_execz .LBB372_1098
; %bb.1091:                             ;   in Loop: Header=BB372_10 Depth=1
	v_lshrrev_b32_e32 v2, 24, v1
	v_bfrev_b32_e32 v67, 1
	s_mov_b32 s16, exec_lo
	s_delay_alu instid0(VALU_DEP_2)
	v_cmpx_ne_u32_e32 0x80, v2
	s_cbranch_execz .LBB372_1097
; %bb.1092:                             ;   in Loop: Header=BB372_10 Depth=1
	v_bfe_u32 v3, v1, 24, 7
	v_mov_b32_e32 v67, 0x7f800001
	s_mov_b32 s17, exec_lo
	s_delay_alu instid0(VALU_DEP_2)
	v_cmpx_ne_u32_e32 0x7f, v3
	s_cbranch_execz .LBB372_1096
; %bb.1093:                             ;   in Loop: Header=BB372_10 Depth=1
	v_and_b32_e32 v16, 7, v2
	s_mov_b32 s18, exec_lo
	s_delay_alu instid0(VALU_DEP_1)
	v_mov_b64_e32 v[0:1], v[16:17]
	v_lshrrev_b32_e32 v1, 3, v3
	v_cmpx_gt_u32_e32 8, v3
; %bb.1094:                             ;   in Loop: Header=BB372_10 Depth=1
	v_clz_i32_u32_e32 v0, v16
	s_delay_alu instid0(VALU_DEP_1) | instskip(NEXT) | instid1(VALU_DEP_1)
	v_min_u32_e32 v3, 32, v0
	v_subrev_nc_u32_e32 v0, 28, v3
	s_delay_alu instid0(VALU_DEP_1) | instskip(NEXT) | instid1(VALU_DEP_1)
	v_lshlrev_b64_e32 v[0:1], v0, v[16:17]
	v_dual_sub_nc_u32 v1, 29, v3 :: v_dual_bitop2_b32 v0, 7, v0 bitop3:0x40
; %bb.1095:                             ;   in Loop: Header=BB372_10 Depth=1
	s_or_b32 exec_lo, exec_lo, s18
	s_delay_alu instid0(VALU_DEP_1) | instskip(NEXT) | instid1(VALU_DEP_2)
	v_dual_lshlrev_b32 v2, 24, v2 :: v_dual_lshlrev_b32 v0, 20, v0
	v_lshl_add_u32 v1, v1, 23, 0x3c000000
	s_delay_alu instid0(VALU_DEP_2) | instskip(NEXT) | instid1(VALU_DEP_1)
	v_and_b32_e32 v2, 0x80000000, v2
	v_or3_b32 v67, v0, v2, v1
.LBB372_1096:                           ;   in Loop: Header=BB372_10 Depth=1
	s_or_b32 exec_lo, exec_lo, s17
.LBB372_1097:                           ;   in Loop: Header=BB372_10 Depth=1
	s_delay_alu instid0(SALU_CYCLE_1)
	s_or_b32 exec_lo, exec_lo, s16
.LBB372_1098:                           ;   in Loop: Header=BB372_10 Depth=1
	s_delay_alu instid0(SALU_CYCLE_1)
	s_or_b32 exec_lo, exec_lo, s11
	flat_load_b64 v[0:1], v[96:97] offset:4104
	s_mov_b32 s11, exec_lo
	s_wait_loadcnt_dscnt 0x0
	v_and_b32_e32 v2, 0xff, v0
	s_wait_xcnt 0x0
	s_delay_alu instid0(VALU_DEP_1)
	v_cmpx_ne_u16_e32 0, v2
	s_cbranch_execz .LBB372_1106
; %bb.1099:                             ;   in Loop: Header=BB372_10 Depth=1
	v_bfrev_b32_e32 v4, 1
	s_mov_b32 s16, exec_lo
	v_cmpx_ne_u16_e32 0x80, v2
	s_cbranch_execz .LBB372_1105
; %bb.1100:                             ;   in Loop: Header=BB372_10 Depth=1
	v_and_b32_e32 v2, 0x7f, v0
	v_mov_b32_e32 v4, 0x7f800001
	s_mov_b32 s17, exec_lo
	s_delay_alu instid0(VALU_DEP_2)
	v_cmpx_ne_u32_e32 0x7f, v2
	s_cbranch_execz .LBB372_1104
; %bb.1101:                             ;   in Loop: Header=BB372_10 Depth=1
	v_lshrrev_b32_e32 v4, 3, v2
	v_cmp_gt_u32_e64 s1, 8, v2
	v_mov_b64_e32 v[2:3], v[0:1]
	s_and_saveexec_b32 s18, s1
; %bb.1102:                             ;   in Loop: Header=BB372_10 Depth=1
	v_and_b32_e32 v2, 7, v0
	s_delay_alu instid0(VALU_DEP_1) | instskip(NEXT) | instid1(VALU_DEP_1)
	v_clz_i32_u32_e32 v2, v2
	v_min_u32_e32 v4, 32, v2
	s_delay_alu instid0(VALU_DEP_1) | instskip(SKIP_1) | instid1(VALU_DEP_2)
	v_subrev_nc_u32_e32 v2, 28, v4
	v_sub_nc_u32_e32 v4, 29, v4
	v_lshlrev_b64_e32 v[2:3], v2, v[0:1]
; %bb.1103:                             ;   in Loop: Header=BB372_10 Depth=1
	s_or_b32 exec_lo, exec_lo, s18
	s_delay_alu instid0(VALU_DEP_1) | instskip(NEXT) | instid1(VALU_DEP_3)
	v_dual_lshlrev_b32 v2, 20, v2 :: v_dual_lshlrev_b32 v3, 24, v0
	v_lshl_add_u32 v4, v4, 23, 0x3c000000
	s_delay_alu instid0(VALU_DEP_2) | instskip(NEXT) | instid1(VALU_DEP_3)
	v_and_b32_e32 v2, 0x700000, v2
	v_and_b32_e32 v3, 0x80000000, v3
	s_delay_alu instid0(VALU_DEP_1)
	v_or3_b32 v4, v2, v3, v4
.LBB372_1104:                           ;   in Loop: Header=BB372_10 Depth=1
	s_or_b32 exec_lo, exec_lo, s17
.LBB372_1105:                           ;   in Loop: Header=BB372_10 Depth=1
	s_delay_alu instid0(SALU_CYCLE_1)
	s_or_b32 exec_lo, exec_lo, s16
.LBB372_1106:                           ;   in Loop: Header=BB372_10 Depth=1
	s_delay_alu instid0(SALU_CYCLE_1) | instskip(SKIP_3) | instid1(VALU_DEP_2)
	s_or_b32 exec_lo, exec_lo, s11
	v_lshrrev_b16 v2, 8, v0
	v_dual_mov_b32 v48, 0 :: v_dual_mov_b32 v5, 0
	s_mov_b32 s11, exec_lo
	v_cmpx_ne_u16_e32 0, v2
	s_cbranch_execz .LBB372_1114
; %bb.1107:                             ;   in Loop: Header=BB372_10 Depth=1
	v_bfrev_b32_e32 v5, 1
	s_mov_b32 s16, exec_lo
	v_cmpx_ne_u16_e32 0x80, v2
	s_cbranch_execz .LBB372_1113
; %bb.1108:                             ;   in Loop: Header=BB372_10 Depth=1
	v_and_b32_e32 v2, 0xffff, v2
	v_mov_b32_e32 v5, 0x7f800001
	s_mov_b32 s17, exec_lo
	s_delay_alu instid0(VALU_DEP_2) | instskip(NEXT) | instid1(VALU_DEP_1)
	v_and_b32_e32 v6, 0x7f, v2
	v_cmpx_ne_u32_e32 0x7f, v6
	s_cbranch_execz .LBB372_1112
; %bb.1109:                             ;   in Loop: Header=BB372_10 Depth=1
	v_and_b32_e32 v16, 7, v2
	s_mov_b32 s18, exec_lo
	s_delay_alu instid0(VALU_DEP_1)
	v_mov_b64_e32 v[2:3], v[16:17]
	v_lshrrev_b32_e32 v3, 3, v6
	v_cmpx_gt_u32_e32 8, v6
; %bb.1110:                             ;   in Loop: Header=BB372_10 Depth=1
	v_clz_i32_u32_e32 v2, v16
	s_delay_alu instid0(VALU_DEP_1) | instskip(NEXT) | instid1(VALU_DEP_1)
	v_min_u32_e32 v5, 32, v2
	v_subrev_nc_u32_e32 v2, 28, v5
	s_delay_alu instid0(VALU_DEP_1) | instskip(NEXT) | instid1(VALU_DEP_1)
	v_lshlrev_b64_e32 v[2:3], v2, v[16:17]
	v_dual_sub_nc_u32 v3, 29, v5 :: v_dual_bitop2_b32 v2, 7, v2 bitop3:0x40
; %bb.1111:                             ;   in Loop: Header=BB372_10 Depth=1
	s_or_b32 exec_lo, exec_lo, s18
	s_delay_alu instid0(VALU_DEP_1) | instskip(NEXT) | instid1(VALU_DEP_2)
	v_dual_lshlrev_b32 v5, 16, v0 :: v_dual_lshlrev_b32 v2, 20, v2
	v_lshl_add_u32 v3, v3, 23, 0x3c000000
	s_delay_alu instid0(VALU_DEP_2) | instskip(NEXT) | instid1(VALU_DEP_1)
	v_and_b32_e32 v5, 0x80000000, v5
	v_or3_b32 v5, v2, v5, v3
.LBB372_1112:                           ;   in Loop: Header=BB372_10 Depth=1
	s_or_b32 exec_lo, exec_lo, s17
.LBB372_1113:                           ;   in Loop: Header=BB372_10 Depth=1
	s_delay_alu instid0(SALU_CYCLE_1)
	s_or_b32 exec_lo, exec_lo, s16
.LBB372_1114:                           ;   in Loop: Header=BB372_10 Depth=1
	s_delay_alu instid0(SALU_CYCLE_1) | instskip(SKIP_2) | instid1(VALU_DEP_1)
	s_or_b32 exec_lo, exec_lo, s11
	v_lshrrev_b32_e32 v6, 16, v0
	s_mov_b32 s11, exec_lo
	v_and_b32_e32 v2, 0xff, v6
	s_delay_alu instid0(VALU_DEP_1)
	v_cmpx_ne_u16_e32 0, v2
	s_cbranch_execz .LBB372_1122
; %bb.1115:                             ;   in Loop: Header=BB372_10 Depth=1
	v_bfrev_b32_e32 v48, 1
	s_mov_b32 s16, exec_lo
	v_cmpx_ne_u16_e32 0x80, v2
	s_cbranch_execz .LBB372_1121
; %bb.1116:                             ;   in Loop: Header=BB372_10 Depth=1
	v_bfe_u32 v7, v0, 16, 7
	v_mov_b32_e32 v48, 0x7f800001
	s_mov_b32 s17, exec_lo
	s_delay_alu instid0(VALU_DEP_2)
	v_cmpx_ne_u32_e32 0x7f, v7
	s_cbranch_execz .LBB372_1120
; %bb.1117:                             ;   in Loop: Header=BB372_10 Depth=1
	v_and_b32_e32 v16, 7, v6
	s_mov_b32 s18, exec_lo
	s_delay_alu instid0(VALU_DEP_1)
	v_mov_b64_e32 v[2:3], v[16:17]
	v_lshrrev_b32_e32 v3, 3, v7
	v_cmpx_gt_u32_e32 8, v7
; %bb.1118:                             ;   in Loop: Header=BB372_10 Depth=1
	v_clz_i32_u32_e32 v2, v16
	s_delay_alu instid0(VALU_DEP_1) | instskip(NEXT) | instid1(VALU_DEP_1)
	v_min_u32_e32 v7, 32, v2
	v_subrev_nc_u32_e32 v2, 28, v7
	s_delay_alu instid0(VALU_DEP_1) | instskip(NEXT) | instid1(VALU_DEP_1)
	v_lshlrev_b64_e32 v[2:3], v2, v[16:17]
	v_dual_sub_nc_u32 v3, 29, v7 :: v_dual_bitop2_b32 v2, 7, v2 bitop3:0x40
; %bb.1119:                             ;   in Loop: Header=BB372_10 Depth=1
	s_or_b32 exec_lo, exec_lo, s18
	v_lshlrev_b32_e32 v6, 24, v6
	s_delay_alu instid0(VALU_DEP_2) | instskip(NEXT) | instid1(VALU_DEP_3)
	v_lshlrev_b32_e32 v2, 20, v2
	v_lshl_add_u32 v3, v3, 23, 0x3c000000
	s_delay_alu instid0(VALU_DEP_3) | instskip(NEXT) | instid1(VALU_DEP_1)
	v_and_b32_e32 v6, 0x80000000, v6
	v_or3_b32 v48, v2, v6, v3
.LBB372_1120:                           ;   in Loop: Header=BB372_10 Depth=1
	s_or_b32 exec_lo, exec_lo, s17
.LBB372_1121:                           ;   in Loop: Header=BB372_10 Depth=1
	s_delay_alu instid0(SALU_CYCLE_1)
	s_or_b32 exec_lo, exec_lo, s16
.LBB372_1122:                           ;   in Loop: Header=BB372_10 Depth=1
	s_delay_alu instid0(SALU_CYCLE_1)
	s_or_b32 exec_lo, exec_lo, s11
	v_dual_mov_b32 v34, 0 :: v_dual_mov_b32 v49, 0
	s_mov_b32 s11, exec_lo
	v_cmpx_lt_u32_e32 0xffffff, v0
	s_cbranch_execz .LBB372_1130
; %bb.1123:                             ;   in Loop: Header=BB372_10 Depth=1
	v_lshrrev_b32_e32 v6, 24, v0
	v_bfrev_b32_e32 v49, 1
	s_mov_b32 s16, exec_lo
	s_delay_alu instid0(VALU_DEP_2)
	v_cmpx_ne_u32_e32 0x80, v6
	s_cbranch_execz .LBB372_1129
; %bb.1124:                             ;   in Loop: Header=BB372_10 Depth=1
	v_bfe_u32 v7, v0, 24, 7
	v_mov_b32_e32 v49, 0x7f800001
	s_mov_b32 s17, exec_lo
	s_delay_alu instid0(VALU_DEP_2)
	v_cmpx_ne_u32_e32 0x7f, v7
	s_cbranch_execz .LBB372_1128
; %bb.1125:                             ;   in Loop: Header=BB372_10 Depth=1
	v_and_b32_e32 v16, 7, v6
	s_mov_b32 s18, exec_lo
	s_delay_alu instid0(VALU_DEP_1)
	v_mov_b64_e32 v[2:3], v[16:17]
	v_lshrrev_b32_e32 v3, 3, v7
	v_cmpx_gt_u32_e32 8, v7
; %bb.1126:                             ;   in Loop: Header=BB372_10 Depth=1
	v_clz_i32_u32_e32 v2, v16
	s_delay_alu instid0(VALU_DEP_1) | instskip(NEXT) | instid1(VALU_DEP_1)
	v_min_u32_e32 v7, 32, v2
	v_subrev_nc_u32_e32 v2, 28, v7
	s_delay_alu instid0(VALU_DEP_1) | instskip(NEXT) | instid1(VALU_DEP_1)
	v_lshlrev_b64_e32 v[2:3], v2, v[16:17]
	v_dual_sub_nc_u32 v3, 29, v7 :: v_dual_bitop2_b32 v2, 7, v2 bitop3:0x40
; %bb.1127:                             ;   in Loop: Header=BB372_10 Depth=1
	s_or_b32 exec_lo, exec_lo, s18
	v_lshlrev_b32_e32 v6, 24, v6
	s_delay_alu instid0(VALU_DEP_2) | instskip(NEXT) | instid1(VALU_DEP_3)
	v_lshlrev_b32_e32 v2, 20, v2
	v_lshl_add_u32 v3, v3, 23, 0x3c000000
	s_delay_alu instid0(VALU_DEP_3) | instskip(NEXT) | instid1(VALU_DEP_1)
	v_and_b32_e32 v6, 0x80000000, v6
	v_or3_b32 v49, v2, v6, v3
.LBB372_1128:                           ;   in Loop: Header=BB372_10 Depth=1
	s_or_b32 exec_lo, exec_lo, s17
.LBB372_1129:                           ;   in Loop: Header=BB372_10 Depth=1
	s_delay_alu instid0(SALU_CYCLE_1)
	s_or_b32 exec_lo, exec_lo, s16
.LBB372_1130:                           ;   in Loop: Header=BB372_10 Depth=1
	s_delay_alu instid0(SALU_CYCLE_1) | instskip(SKIP_3) | instid1(VALU_DEP_2)
	s_or_b32 exec_lo, exec_lo, s11
	v_and_b32_e32 v2, 0xff, v1
	v_mov_b32_e32 v16, v1
	s_mov_b32 s11, exec_lo
	v_cmpx_ne_u16_e32 0, v2
	s_cbranch_execz .LBB372_1138
; %bb.1131:                             ;   in Loop: Header=BB372_10 Depth=1
	v_bfrev_b32_e32 v34, 1
	s_mov_b32 s16, exec_lo
	v_cmpx_ne_u16_e32 0x80, v2
	s_cbranch_execz .LBB372_1137
; %bb.1132:                             ;   in Loop: Header=BB372_10 Depth=1
	v_and_b32_e32 v6, 0x7f, v1
	v_mov_b32_e32 v34, 0x7f800001
	s_mov_b32 s17, exec_lo
	s_delay_alu instid0(VALU_DEP_2)
	v_cmpx_ne_u32_e32 0x7f, v6
	s_cbranch_execz .LBB372_1136
; %bb.1133:                             ;   in Loop: Header=BB372_10 Depth=1
	v_mov_b64_e32 v[2:3], v[16:17]
	v_lshrrev_b32_e32 v3, 3, v6
	s_mov_b32 s18, exec_lo
	v_cmpx_gt_u32_e32 8, v6
; %bb.1134:                             ;   in Loop: Header=BB372_10 Depth=1
	v_and_b32_e32 v2, 7, v1
	s_delay_alu instid0(VALU_DEP_1) | instskip(NEXT) | instid1(VALU_DEP_1)
	v_clz_i32_u32_e32 v2, v2
	v_min_u32_e32 v6, 32, v2
	s_delay_alu instid0(VALU_DEP_1) | instskip(NEXT) | instid1(VALU_DEP_1)
	v_subrev_nc_u32_e32 v2, 28, v6
	v_lshlrev_b64_e32 v[2:3], v2, v[16:17]
	v_sub_nc_u32_e32 v3, 29, v6
; %bb.1135:                             ;   in Loop: Header=BB372_10 Depth=1
	s_or_b32 exec_lo, exec_lo, s18
	s_delay_alu instid0(VALU_DEP_2) | instskip(NEXT) | instid1(VALU_DEP_2)
	v_dual_lshlrev_b32 v2, 20, v2 :: v_dual_lshlrev_b32 v6, 24, v16
	v_lshl_add_u32 v3, v3, 23, 0x3c000000
	s_delay_alu instid0(VALU_DEP_2) | instskip(NEXT) | instid1(VALU_DEP_3)
	v_and_b32_e32 v2, 0x700000, v2
	v_and_b32_e32 v6, 0x80000000, v6
	s_delay_alu instid0(VALU_DEP_1)
	v_or3_b32 v34, v2, v6, v3
.LBB372_1136:                           ;   in Loop: Header=BB372_10 Depth=1
	s_or_b32 exec_lo, exec_lo, s17
.LBB372_1137:                           ;   in Loop: Header=BB372_10 Depth=1
	s_delay_alu instid0(SALU_CYCLE_1)
	s_or_b32 exec_lo, exec_lo, s16
.LBB372_1138:                           ;   in Loop: Header=BB372_10 Depth=1
	s_delay_alu instid0(SALU_CYCLE_1) | instskip(SKIP_3) | instid1(VALU_DEP_2)
	s_or_b32 exec_lo, exec_lo, s11
	v_lshrrev_b16 v2, 8, v16
	v_dual_mov_b32 v54, 0 :: v_dual_mov_b32 v35, 0
	s_mov_b32 s11, exec_lo
	v_cmpx_ne_u16_e32 0, v2
	s_cbranch_execz .LBB372_1146
; %bb.1139:                             ;   in Loop: Header=BB372_10 Depth=1
	v_bfrev_b32_e32 v35, 1
	s_mov_b32 s16, exec_lo
	v_cmpx_ne_u16_e32 0x80, v2
	s_cbranch_execz .LBB372_1145
; %bb.1140:                             ;   in Loop: Header=BB372_10 Depth=1
	v_and_b32_e32 v2, 0xffff, v2
	v_mov_b32_e32 v35, 0x7f800001
	s_mov_b32 s17, exec_lo
	s_delay_alu instid0(VALU_DEP_2) | instskip(NEXT) | instid1(VALU_DEP_1)
	v_and_b32_e32 v7, 0x7f, v2
	v_cmpx_ne_u32_e32 0x7f, v7
	s_cbranch_execz .LBB372_1144
; %bb.1141:                             ;   in Loop: Header=BB372_10 Depth=1
	v_dual_mov_b32 v3, v17 :: v_dual_bitop2_b32 v2, 7, v2 bitop3:0x40
	v_lshrrev_b32_e32 v6, 3, v7
	s_mov_b32 s18, exec_lo
	v_cmpx_gt_u32_e32 8, v7
; %bb.1142:                             ;   in Loop: Header=BB372_10 Depth=1
	s_delay_alu instid0(VALU_DEP_3) | instskip(NEXT) | instid1(VALU_DEP_1)
	v_clz_i32_u32_e32 v6, v2
	v_min_u32_e32 v6, 32, v6
	s_delay_alu instid0(VALU_DEP_1) | instskip(SKIP_1) | instid1(VALU_DEP_2)
	v_subrev_nc_u32_e32 v7, 28, v6
	v_sub_nc_u32_e32 v6, 29, v6
	v_lshlrev_b64_e32 v[2:3], v7, v[2:3]
	s_delay_alu instid0(VALU_DEP_1)
	v_and_b32_e32 v2, 7, v2
; %bb.1143:                             ;   in Loop: Header=BB372_10 Depth=1
	s_or_b32 exec_lo, exec_lo, s18
	s_delay_alu instid0(VALU_DEP_1) | instskip(SKIP_1) | instid1(VALU_DEP_2)
	v_dual_lshlrev_b32 v3, 16, v16 :: v_dual_lshlrev_b32 v2, 20, v2
	v_lshl_add_u32 v6, v6, 23, 0x3c000000
	v_and_b32_e32 v3, 0x80000000, v3
	s_delay_alu instid0(VALU_DEP_1)
	v_or3_b32 v35, v2, v3, v6
.LBB372_1144:                           ;   in Loop: Header=BB372_10 Depth=1
	s_or_b32 exec_lo, exec_lo, s17
.LBB372_1145:                           ;   in Loop: Header=BB372_10 Depth=1
	s_delay_alu instid0(SALU_CYCLE_1)
	s_or_b32 exec_lo, exec_lo, s16
.LBB372_1146:                           ;   in Loop: Header=BB372_10 Depth=1
	s_delay_alu instid0(SALU_CYCLE_1) | instskip(SKIP_2) | instid1(VALU_DEP_1)
	s_or_b32 exec_lo, exec_lo, s11
	v_lshrrev_b32_e32 v6, 16, v1
	s_mov_b32 s11, exec_lo
	v_and_b32_e32 v2, 0xff, v6
	s_delay_alu instid0(VALU_DEP_1)
	v_cmpx_ne_u16_e32 0, v2
	s_cbranch_execz .LBB372_1154
; %bb.1147:                             ;   in Loop: Header=BB372_10 Depth=1
	v_bfrev_b32_e32 v54, 1
	s_mov_b32 s16, exec_lo
	v_cmpx_ne_u16_e32 0x80, v2
	s_cbranch_execz .LBB372_1153
; %bb.1148:                             ;   in Loop: Header=BB372_10 Depth=1
	v_bfe_u32 v7, v1, 16, 7
	v_mov_b32_e32 v54, 0x7f800001
	s_mov_b32 s17, exec_lo
	s_delay_alu instid0(VALU_DEP_2)
	v_cmpx_ne_u32_e32 0x7f, v7
	s_cbranch_execz .LBB372_1152
; %bb.1149:                             ;   in Loop: Header=BB372_10 Depth=1
	v_and_b32_e32 v16, 7, v6
	s_mov_b32 s18, exec_lo
	s_delay_alu instid0(VALU_DEP_1)
	v_mov_b64_e32 v[2:3], v[16:17]
	v_lshrrev_b32_e32 v3, 3, v7
	v_cmpx_gt_u32_e32 8, v7
; %bb.1150:                             ;   in Loop: Header=BB372_10 Depth=1
	v_clz_i32_u32_e32 v2, v16
	s_delay_alu instid0(VALU_DEP_1) | instskip(NEXT) | instid1(VALU_DEP_1)
	v_min_u32_e32 v7, 32, v2
	v_subrev_nc_u32_e32 v2, 28, v7
	s_delay_alu instid0(VALU_DEP_1) | instskip(NEXT) | instid1(VALU_DEP_1)
	v_lshlrev_b64_e32 v[2:3], v2, v[16:17]
	v_dual_sub_nc_u32 v3, 29, v7 :: v_dual_bitop2_b32 v2, 7, v2 bitop3:0x40
; %bb.1151:                             ;   in Loop: Header=BB372_10 Depth=1
	s_or_b32 exec_lo, exec_lo, s18
	v_lshlrev_b32_e32 v6, 24, v6
	s_delay_alu instid0(VALU_DEP_2) | instskip(NEXT) | instid1(VALU_DEP_3)
	v_lshlrev_b32_e32 v2, 20, v2
	v_lshl_add_u32 v3, v3, 23, 0x3c000000
	s_delay_alu instid0(VALU_DEP_3) | instskip(NEXT) | instid1(VALU_DEP_1)
	v_and_b32_e32 v6, 0x80000000, v6
	v_or3_b32 v54, v2, v6, v3
.LBB372_1152:                           ;   in Loop: Header=BB372_10 Depth=1
	s_or_b32 exec_lo, exec_lo, s17
.LBB372_1153:                           ;   in Loop: Header=BB372_10 Depth=1
	s_delay_alu instid0(SALU_CYCLE_1)
	s_or_b32 exec_lo, exec_lo, s16
.LBB372_1154:                           ;   in Loop: Header=BB372_10 Depth=1
	s_delay_alu instid0(SALU_CYCLE_1)
	s_or_b32 exec_lo, exec_lo, s11
	v_dual_mov_b32 v70, 0 :: v_dual_mov_b32 v55, 0
	s_mov_b32 s11, exec_lo
	v_cmpx_lt_u64_e64 s[2:3], v[0:1]
	s_cbranch_execz .LBB372_1162
; %bb.1155:                             ;   in Loop: Header=BB372_10 Depth=1
	v_lshrrev_b32_e32 v2, 24, v1
	v_bfrev_b32_e32 v55, 1
	s_mov_b32 s16, exec_lo
	s_delay_alu instid0(VALU_DEP_2)
	v_cmpx_ne_u32_e32 0x80, v2
	s_cbranch_execz .LBB372_1161
; %bb.1156:                             ;   in Loop: Header=BB372_10 Depth=1
	v_bfe_u32 v3, v1, 24, 7
	v_mov_b32_e32 v55, 0x7f800001
	s_mov_b32 s17, exec_lo
	s_delay_alu instid0(VALU_DEP_2)
	v_cmpx_ne_u32_e32 0x7f, v3
	s_cbranch_execz .LBB372_1160
; %bb.1157:                             ;   in Loop: Header=BB372_10 Depth=1
	v_and_b32_e32 v16, 7, v2
	s_mov_b32 s18, exec_lo
	s_delay_alu instid0(VALU_DEP_1)
	v_mov_b64_e32 v[0:1], v[16:17]
	v_lshrrev_b32_e32 v1, 3, v3
	v_cmpx_gt_u32_e32 8, v3
; %bb.1158:                             ;   in Loop: Header=BB372_10 Depth=1
	v_clz_i32_u32_e32 v0, v16
	s_delay_alu instid0(VALU_DEP_1) | instskip(NEXT) | instid1(VALU_DEP_1)
	v_min_u32_e32 v3, 32, v0
	v_subrev_nc_u32_e32 v0, 28, v3
	s_delay_alu instid0(VALU_DEP_1) | instskip(NEXT) | instid1(VALU_DEP_1)
	v_lshlrev_b64_e32 v[0:1], v0, v[16:17]
	v_dual_sub_nc_u32 v1, 29, v3 :: v_dual_bitop2_b32 v0, 7, v0 bitop3:0x40
; %bb.1159:                             ;   in Loop: Header=BB372_10 Depth=1
	s_or_b32 exec_lo, exec_lo, s18
	s_delay_alu instid0(VALU_DEP_1) | instskip(NEXT) | instid1(VALU_DEP_2)
	v_dual_lshlrev_b32 v2, 24, v2 :: v_dual_lshlrev_b32 v0, 20, v0
	v_lshl_add_u32 v1, v1, 23, 0x3c000000
	s_delay_alu instid0(VALU_DEP_2) | instskip(NEXT) | instid1(VALU_DEP_1)
	v_and_b32_e32 v2, 0x80000000, v2
	v_or3_b32 v55, v0, v2, v1
.LBB372_1160:                           ;   in Loop: Header=BB372_10 Depth=1
	s_or_b32 exec_lo, exec_lo, s17
.LBB372_1161:                           ;   in Loop: Header=BB372_10 Depth=1
	s_delay_alu instid0(SALU_CYCLE_1)
	s_or_b32 exec_lo, exec_lo, s16
.LBB372_1162:                           ;   in Loop: Header=BB372_10 Depth=1
	s_delay_alu instid0(SALU_CYCLE_1)
	s_or_b32 exec_lo, exec_lo, s11
	flat_load_b64 v[0:1], v[96:97] offset:4608
	s_mov_b32 s11, exec_lo
	s_wait_loadcnt_dscnt 0x0
	v_and_b32_e32 v2, 0xff, v0
	s_wait_xcnt 0x0
	s_delay_alu instid0(VALU_DEP_1)
	v_cmpx_ne_u16_e32 0, v2
	s_cbranch_execz .LBB372_1170
; %bb.1163:                             ;   in Loop: Header=BB372_10 Depth=1
	v_bfrev_b32_e32 v70, 1
	s_mov_b32 s16, exec_lo
	v_cmpx_ne_u16_e32 0x80, v2
	s_cbranch_execz .LBB372_1169
; %bb.1164:                             ;   in Loop: Header=BB372_10 Depth=1
	v_and_b32_e32 v2, 0x7f, v0
	v_mov_b32_e32 v70, 0x7f800001
	s_mov_b32 s17, exec_lo
	s_delay_alu instid0(VALU_DEP_2)
	v_cmpx_ne_u32_e32 0x7f, v2
	s_cbranch_execz .LBB372_1168
; %bb.1165:                             ;   in Loop: Header=BB372_10 Depth=1
	v_lshrrev_b32_e32 v6, 3, v2
	v_cmp_gt_u32_e64 s1, 8, v2
	v_mov_b64_e32 v[2:3], v[0:1]
	s_and_saveexec_b32 s18, s1
; %bb.1166:                             ;   in Loop: Header=BB372_10 Depth=1
	v_and_b32_e32 v2, 7, v0
	s_delay_alu instid0(VALU_DEP_1) | instskip(NEXT) | instid1(VALU_DEP_1)
	v_clz_i32_u32_e32 v2, v2
	v_min_u32_e32 v6, 32, v2
	s_delay_alu instid0(VALU_DEP_1) | instskip(SKIP_1) | instid1(VALU_DEP_2)
	v_subrev_nc_u32_e32 v2, 28, v6
	v_sub_nc_u32_e32 v6, 29, v6
	v_lshlrev_b64_e32 v[2:3], v2, v[0:1]
; %bb.1167:                             ;   in Loop: Header=BB372_10 Depth=1
	s_or_b32 exec_lo, exec_lo, s18
	s_delay_alu instid0(VALU_DEP_1) | instskip(NEXT) | instid1(VALU_DEP_3)
	v_dual_lshlrev_b32 v2, 20, v2 :: v_dual_lshlrev_b32 v3, 24, v0
	v_lshl_add_u32 v6, v6, 23, 0x3c000000
	s_delay_alu instid0(VALU_DEP_2) | instskip(NEXT) | instid1(VALU_DEP_3)
	v_and_b32_e32 v2, 0x700000, v2
	v_and_b32_e32 v3, 0x80000000, v3
	s_delay_alu instid0(VALU_DEP_1)
	v_or3_b32 v70, v2, v3, v6
.LBB372_1168:                           ;   in Loop: Header=BB372_10 Depth=1
	s_or_b32 exec_lo, exec_lo, s17
.LBB372_1169:                           ;   in Loop: Header=BB372_10 Depth=1
	s_delay_alu instid0(SALU_CYCLE_1)
	s_or_b32 exec_lo, exec_lo, s16
.LBB372_1170:                           ;   in Loop: Header=BB372_10 Depth=1
	s_delay_alu instid0(SALU_CYCLE_1) | instskip(SKIP_3) | instid1(VALU_DEP_2)
	s_or_b32 exec_lo, exec_lo, s11
	v_lshrrev_b16 v2, 8, v0
	v_dual_mov_b32 v80, 0 :: v_dual_mov_b32 v71, 0
	s_mov_b32 s11, exec_lo
	v_cmpx_ne_u16_e32 0, v2
	s_cbranch_execz .LBB372_1178
; %bb.1171:                             ;   in Loop: Header=BB372_10 Depth=1
	v_bfrev_b32_e32 v71, 1
	s_mov_b32 s16, exec_lo
	v_cmpx_ne_u16_e32 0x80, v2
	s_cbranch_execz .LBB372_1177
; %bb.1172:                             ;   in Loop: Header=BB372_10 Depth=1
	v_and_b32_e32 v2, 0xffff, v2
	v_mov_b32_e32 v71, 0x7f800001
	s_mov_b32 s17, exec_lo
	s_delay_alu instid0(VALU_DEP_2) | instskip(NEXT) | instid1(VALU_DEP_1)
	v_and_b32_e32 v6, 0x7f, v2
	v_cmpx_ne_u32_e32 0x7f, v6
	s_cbranch_execz .LBB372_1176
; %bb.1173:                             ;   in Loop: Header=BB372_10 Depth=1
	v_and_b32_e32 v16, 7, v2
	s_mov_b32 s18, exec_lo
	s_delay_alu instid0(VALU_DEP_1)
	v_mov_b64_e32 v[2:3], v[16:17]
	v_lshrrev_b32_e32 v3, 3, v6
	v_cmpx_gt_u32_e32 8, v6
; %bb.1174:                             ;   in Loop: Header=BB372_10 Depth=1
	v_clz_i32_u32_e32 v2, v16
	s_delay_alu instid0(VALU_DEP_1) | instskip(NEXT) | instid1(VALU_DEP_1)
	v_min_u32_e32 v6, 32, v2
	v_subrev_nc_u32_e32 v2, 28, v6
	s_delay_alu instid0(VALU_DEP_1) | instskip(SKIP_1) | instid1(VALU_DEP_2)
	v_lshlrev_b64_e32 v[2:3], v2, v[16:17]
	v_sub_nc_u32_e32 v3, 29, v6
	v_and_b32_e32 v2, 7, v2
; %bb.1175:                             ;   in Loop: Header=BB372_10 Depth=1
	s_or_b32 exec_lo, exec_lo, s18
	s_delay_alu instid0(VALU_DEP_1) | instskip(NEXT) | instid1(VALU_DEP_3)
	v_dual_lshlrev_b32 v6, 16, v0 :: v_dual_lshlrev_b32 v2, 20, v2
	v_lshl_add_u32 v3, v3, 23, 0x3c000000
	s_delay_alu instid0(VALU_DEP_2) | instskip(NEXT) | instid1(VALU_DEP_1)
	v_and_b32_e32 v6, 0x80000000, v6
	v_or3_b32 v71, v2, v6, v3
.LBB372_1176:                           ;   in Loop: Header=BB372_10 Depth=1
	s_or_b32 exec_lo, exec_lo, s17
.LBB372_1177:                           ;   in Loop: Header=BB372_10 Depth=1
	s_delay_alu instid0(SALU_CYCLE_1)
	s_or_b32 exec_lo, exec_lo, s16
.LBB372_1178:                           ;   in Loop: Header=BB372_10 Depth=1
	s_delay_alu instid0(SALU_CYCLE_1) | instskip(SKIP_2) | instid1(VALU_DEP_1)
	s_or_b32 exec_lo, exec_lo, s11
	v_lshrrev_b32_e32 v6, 16, v0
	s_mov_b32 s11, exec_lo
	v_and_b32_e32 v2, 0xff, v6
	s_delay_alu instid0(VALU_DEP_1)
	v_cmpx_ne_u16_e32 0, v2
	s_cbranch_execz .LBB372_1186
; %bb.1179:                             ;   in Loop: Header=BB372_10 Depth=1
	v_bfrev_b32_e32 v80, 1
	s_mov_b32 s16, exec_lo
	v_cmpx_ne_u16_e32 0x80, v2
	s_cbranch_execz .LBB372_1185
; %bb.1180:                             ;   in Loop: Header=BB372_10 Depth=1
	v_bfe_u32 v7, v0, 16, 7
	v_mov_b32_e32 v80, 0x7f800001
	s_mov_b32 s17, exec_lo
	s_delay_alu instid0(VALU_DEP_2)
	v_cmpx_ne_u32_e32 0x7f, v7
	s_cbranch_execz .LBB372_1184
; %bb.1181:                             ;   in Loop: Header=BB372_10 Depth=1
	v_and_b32_e32 v16, 7, v6
	s_mov_b32 s18, exec_lo
	s_delay_alu instid0(VALU_DEP_1)
	v_mov_b64_e32 v[2:3], v[16:17]
	v_lshrrev_b32_e32 v3, 3, v7
	v_cmpx_gt_u32_e32 8, v7
; %bb.1182:                             ;   in Loop: Header=BB372_10 Depth=1
	v_clz_i32_u32_e32 v2, v16
	s_delay_alu instid0(VALU_DEP_1) | instskip(NEXT) | instid1(VALU_DEP_1)
	v_min_u32_e32 v7, 32, v2
	v_subrev_nc_u32_e32 v2, 28, v7
	s_delay_alu instid0(VALU_DEP_1) | instskip(NEXT) | instid1(VALU_DEP_1)
	v_lshlrev_b64_e32 v[2:3], v2, v[16:17]
	v_dual_sub_nc_u32 v3, 29, v7 :: v_dual_bitop2_b32 v2, 7, v2 bitop3:0x40
; %bb.1183:                             ;   in Loop: Header=BB372_10 Depth=1
	s_or_b32 exec_lo, exec_lo, s18
	v_lshlrev_b32_e32 v6, 24, v6
	s_delay_alu instid0(VALU_DEP_2) | instskip(NEXT) | instid1(VALU_DEP_3)
	v_lshlrev_b32_e32 v2, 20, v2
	v_lshl_add_u32 v3, v3, 23, 0x3c000000
	s_delay_alu instid0(VALU_DEP_3) | instskip(NEXT) | instid1(VALU_DEP_1)
	v_and_b32_e32 v6, 0x80000000, v6
	v_or3_b32 v80, v2, v6, v3
.LBB372_1184:                           ;   in Loop: Header=BB372_10 Depth=1
	s_or_b32 exec_lo, exec_lo, s17
.LBB372_1185:                           ;   in Loop: Header=BB372_10 Depth=1
	s_delay_alu instid0(SALU_CYCLE_1)
	s_or_b32 exec_lo, exec_lo, s16
.LBB372_1186:                           ;   in Loop: Header=BB372_10 Depth=1
	s_delay_alu instid0(SALU_CYCLE_1)
	s_or_b32 exec_lo, exec_lo, s11
	v_dual_mov_b32 v82, 0 :: v_dual_mov_b32 v81, 0
	s_mov_b32 s11, exec_lo
	v_cmpx_lt_u32_e32 0xffffff, v0
	s_cbranch_execz .LBB372_1194
; %bb.1187:                             ;   in Loop: Header=BB372_10 Depth=1
	v_lshrrev_b32_e32 v6, 24, v0
	v_bfrev_b32_e32 v81, 1
	s_mov_b32 s16, exec_lo
	s_delay_alu instid0(VALU_DEP_2)
	v_cmpx_ne_u32_e32 0x80, v6
	s_cbranch_execz .LBB372_1193
; %bb.1188:                             ;   in Loop: Header=BB372_10 Depth=1
	v_bfe_u32 v7, v0, 24, 7
	v_mov_b32_e32 v81, 0x7f800001
	s_mov_b32 s17, exec_lo
	s_delay_alu instid0(VALU_DEP_2)
	v_cmpx_ne_u32_e32 0x7f, v7
	s_cbranch_execz .LBB372_1192
; %bb.1189:                             ;   in Loop: Header=BB372_10 Depth=1
	v_and_b32_e32 v16, 7, v6
	s_mov_b32 s18, exec_lo
	s_delay_alu instid0(VALU_DEP_1)
	v_mov_b64_e32 v[2:3], v[16:17]
	v_lshrrev_b32_e32 v3, 3, v7
	v_cmpx_gt_u32_e32 8, v7
; %bb.1190:                             ;   in Loop: Header=BB372_10 Depth=1
	v_clz_i32_u32_e32 v2, v16
	s_delay_alu instid0(VALU_DEP_1) | instskip(NEXT) | instid1(VALU_DEP_1)
	v_min_u32_e32 v7, 32, v2
	v_subrev_nc_u32_e32 v2, 28, v7
	s_delay_alu instid0(VALU_DEP_1) | instskip(NEXT) | instid1(VALU_DEP_1)
	v_lshlrev_b64_e32 v[2:3], v2, v[16:17]
	v_dual_sub_nc_u32 v3, 29, v7 :: v_dual_bitop2_b32 v2, 7, v2 bitop3:0x40
; %bb.1191:                             ;   in Loop: Header=BB372_10 Depth=1
	s_or_b32 exec_lo, exec_lo, s18
	v_lshlrev_b32_e32 v6, 24, v6
	s_delay_alu instid0(VALU_DEP_2) | instskip(NEXT) | instid1(VALU_DEP_3)
	v_lshlrev_b32_e32 v2, 20, v2
	v_lshl_add_u32 v3, v3, 23, 0x3c000000
	s_delay_alu instid0(VALU_DEP_3) | instskip(NEXT) | instid1(VALU_DEP_1)
	v_and_b32_e32 v6, 0x80000000, v6
	v_or3_b32 v81, v2, v6, v3
.LBB372_1192:                           ;   in Loop: Header=BB372_10 Depth=1
	s_or_b32 exec_lo, exec_lo, s17
.LBB372_1193:                           ;   in Loop: Header=BB372_10 Depth=1
	s_delay_alu instid0(SALU_CYCLE_1)
	s_or_b32 exec_lo, exec_lo, s16
.LBB372_1194:                           ;   in Loop: Header=BB372_10 Depth=1
	s_delay_alu instid0(SALU_CYCLE_1) | instskip(SKIP_3) | instid1(VALU_DEP_2)
	s_or_b32 exec_lo, exec_lo, s11
	v_and_b32_e32 v2, 0xff, v1
	v_mov_b32_e32 v16, v1
	s_mov_b32 s11, exec_lo
	v_cmpx_ne_u16_e32 0, v2
	s_cbranch_execz .LBB372_1202
; %bb.1195:                             ;   in Loop: Header=BB372_10 Depth=1
	v_bfrev_b32_e32 v82, 1
	s_mov_b32 s16, exec_lo
	v_cmpx_ne_u16_e32 0x80, v2
	s_cbranch_execz .LBB372_1201
; %bb.1196:                             ;   in Loop: Header=BB372_10 Depth=1
	v_and_b32_e32 v6, 0x7f, v1
	v_mov_b32_e32 v82, 0x7f800001
	s_mov_b32 s17, exec_lo
	s_delay_alu instid0(VALU_DEP_2)
	v_cmpx_ne_u32_e32 0x7f, v6
	s_cbranch_execz .LBB372_1200
; %bb.1197:                             ;   in Loop: Header=BB372_10 Depth=1
	v_mov_b64_e32 v[2:3], v[16:17]
	v_lshrrev_b32_e32 v3, 3, v6
	s_mov_b32 s18, exec_lo
	v_cmpx_gt_u32_e32 8, v6
; %bb.1198:                             ;   in Loop: Header=BB372_10 Depth=1
	v_and_b32_e32 v2, 7, v1
	s_delay_alu instid0(VALU_DEP_1) | instskip(NEXT) | instid1(VALU_DEP_1)
	v_clz_i32_u32_e32 v2, v2
	v_min_u32_e32 v6, 32, v2
	s_delay_alu instid0(VALU_DEP_1) | instskip(NEXT) | instid1(VALU_DEP_1)
	v_subrev_nc_u32_e32 v2, 28, v6
	v_lshlrev_b64_e32 v[2:3], v2, v[16:17]
	v_sub_nc_u32_e32 v3, 29, v6
; %bb.1199:                             ;   in Loop: Header=BB372_10 Depth=1
	s_or_b32 exec_lo, exec_lo, s18
	s_delay_alu instid0(VALU_DEP_2) | instskip(NEXT) | instid1(VALU_DEP_2)
	v_dual_lshlrev_b32 v2, 20, v2 :: v_dual_lshlrev_b32 v6, 24, v16
	v_lshl_add_u32 v3, v3, 23, 0x3c000000
	s_delay_alu instid0(VALU_DEP_2) | instskip(NEXT) | instid1(VALU_DEP_3)
	v_and_b32_e32 v2, 0x700000, v2
	v_and_b32_e32 v6, 0x80000000, v6
	s_delay_alu instid0(VALU_DEP_1)
	v_or3_b32 v82, v2, v6, v3
.LBB372_1200:                           ;   in Loop: Header=BB372_10 Depth=1
	s_or_b32 exec_lo, exec_lo, s17
.LBB372_1201:                           ;   in Loop: Header=BB372_10 Depth=1
	s_delay_alu instid0(SALU_CYCLE_1)
	s_or_b32 exec_lo, exec_lo, s16
.LBB372_1202:                           ;   in Loop: Header=BB372_10 Depth=1
	s_delay_alu instid0(SALU_CYCLE_1) | instskip(SKIP_3) | instid1(VALU_DEP_2)
	s_or_b32 exec_lo, exec_lo, s11
	v_lshrrev_b16 v2, 8, v16
	v_dual_mov_b32 v50, 0 :: v_dual_mov_b32 v83, 0
	s_mov_b32 s11, exec_lo
	v_cmpx_ne_u16_e32 0, v2
	s_cbranch_execz .LBB372_1210
; %bb.1203:                             ;   in Loop: Header=BB372_10 Depth=1
	v_bfrev_b32_e32 v83, 1
	s_mov_b32 s16, exec_lo
	v_cmpx_ne_u16_e32 0x80, v2
	s_cbranch_execz .LBB372_1209
; %bb.1204:                             ;   in Loop: Header=BB372_10 Depth=1
	v_and_b32_e32 v2, 0xffff, v2
	v_mov_b32_e32 v83, 0x7f800001
	s_mov_b32 s17, exec_lo
	s_delay_alu instid0(VALU_DEP_2) | instskip(NEXT) | instid1(VALU_DEP_1)
	v_and_b32_e32 v7, 0x7f, v2
	v_cmpx_ne_u32_e32 0x7f, v7
	s_cbranch_execz .LBB372_1208
; %bb.1205:                             ;   in Loop: Header=BB372_10 Depth=1
	v_dual_mov_b32 v3, v17 :: v_dual_bitop2_b32 v2, 7, v2 bitop3:0x40
	v_lshrrev_b32_e32 v6, 3, v7
	s_mov_b32 s18, exec_lo
	v_cmpx_gt_u32_e32 8, v7
; %bb.1206:                             ;   in Loop: Header=BB372_10 Depth=1
	s_delay_alu instid0(VALU_DEP_3) | instskip(NEXT) | instid1(VALU_DEP_1)
	v_clz_i32_u32_e32 v6, v2
	v_min_u32_e32 v6, 32, v6
	s_delay_alu instid0(VALU_DEP_1) | instskip(SKIP_1) | instid1(VALU_DEP_2)
	v_subrev_nc_u32_e32 v7, 28, v6
	v_sub_nc_u32_e32 v6, 29, v6
	v_lshlrev_b64_e32 v[2:3], v7, v[2:3]
	s_delay_alu instid0(VALU_DEP_1)
	v_and_b32_e32 v2, 7, v2
; %bb.1207:                             ;   in Loop: Header=BB372_10 Depth=1
	s_or_b32 exec_lo, exec_lo, s18
	s_delay_alu instid0(VALU_DEP_1) | instskip(SKIP_1) | instid1(VALU_DEP_2)
	v_dual_lshlrev_b32 v3, 16, v16 :: v_dual_lshlrev_b32 v2, 20, v2
	v_lshl_add_u32 v6, v6, 23, 0x3c000000
	v_and_b32_e32 v3, 0x80000000, v3
	s_delay_alu instid0(VALU_DEP_1)
	v_or3_b32 v83, v2, v3, v6
.LBB372_1208:                           ;   in Loop: Header=BB372_10 Depth=1
	s_or_b32 exec_lo, exec_lo, s17
.LBB372_1209:                           ;   in Loop: Header=BB372_10 Depth=1
	s_delay_alu instid0(SALU_CYCLE_1)
	s_or_b32 exec_lo, exec_lo, s16
.LBB372_1210:                           ;   in Loop: Header=BB372_10 Depth=1
	s_delay_alu instid0(SALU_CYCLE_1) | instskip(SKIP_2) | instid1(VALU_DEP_1)
	s_or_b32 exec_lo, exec_lo, s11
	v_lshrrev_b32_e32 v6, 16, v1
	s_mov_b32 s11, exec_lo
	v_and_b32_e32 v2, 0xff, v6
	s_delay_alu instid0(VALU_DEP_1)
	v_cmpx_ne_u16_e32 0, v2
	s_cbranch_execz .LBB372_1218
; %bb.1211:                             ;   in Loop: Header=BB372_10 Depth=1
	v_bfrev_b32_e32 v50, 1
	s_mov_b32 s16, exec_lo
	v_cmpx_ne_u16_e32 0x80, v2
	s_cbranch_execz .LBB372_1217
; %bb.1212:                             ;   in Loop: Header=BB372_10 Depth=1
	v_bfe_u32 v7, v1, 16, 7
	v_mov_b32_e32 v50, 0x7f800001
	s_mov_b32 s17, exec_lo
	s_delay_alu instid0(VALU_DEP_2)
	v_cmpx_ne_u32_e32 0x7f, v7
	s_cbranch_execz .LBB372_1216
; %bb.1213:                             ;   in Loop: Header=BB372_10 Depth=1
	v_and_b32_e32 v16, 7, v6
	s_mov_b32 s18, exec_lo
	s_delay_alu instid0(VALU_DEP_1)
	v_mov_b64_e32 v[2:3], v[16:17]
	v_lshrrev_b32_e32 v3, 3, v7
	v_cmpx_gt_u32_e32 8, v7
; %bb.1214:                             ;   in Loop: Header=BB372_10 Depth=1
	v_clz_i32_u32_e32 v2, v16
	s_delay_alu instid0(VALU_DEP_1) | instskip(NEXT) | instid1(VALU_DEP_1)
	v_min_u32_e32 v7, 32, v2
	v_subrev_nc_u32_e32 v2, 28, v7
	s_delay_alu instid0(VALU_DEP_1) | instskip(NEXT) | instid1(VALU_DEP_1)
	v_lshlrev_b64_e32 v[2:3], v2, v[16:17]
	v_dual_sub_nc_u32 v3, 29, v7 :: v_dual_bitop2_b32 v2, 7, v2 bitop3:0x40
; %bb.1215:                             ;   in Loop: Header=BB372_10 Depth=1
	s_or_b32 exec_lo, exec_lo, s18
	v_lshlrev_b32_e32 v6, 24, v6
	s_delay_alu instid0(VALU_DEP_2) | instskip(NEXT) | instid1(VALU_DEP_3)
	v_lshlrev_b32_e32 v2, 20, v2
	v_lshl_add_u32 v3, v3, 23, 0x3c000000
	s_delay_alu instid0(VALU_DEP_3) | instskip(NEXT) | instid1(VALU_DEP_1)
	v_and_b32_e32 v6, 0x80000000, v6
	v_or3_b32 v50, v2, v6, v3
.LBB372_1216:                           ;   in Loop: Header=BB372_10 Depth=1
	s_or_b32 exec_lo, exec_lo, s17
.LBB372_1217:                           ;   in Loop: Header=BB372_10 Depth=1
	s_delay_alu instid0(SALU_CYCLE_1)
	s_or_b32 exec_lo, exec_lo, s16
.LBB372_1218:                           ;   in Loop: Header=BB372_10 Depth=1
	s_delay_alu instid0(SALU_CYCLE_1)
	s_or_b32 exec_lo, exec_lo, s11
	v_dual_mov_b32 v86, 0 :: v_dual_mov_b32 v51, 0
	s_mov_b32 s11, exec_lo
	v_cmpx_lt_u64_e64 s[2:3], v[0:1]
	s_cbranch_execz .LBB372_1226
; %bb.1219:                             ;   in Loop: Header=BB372_10 Depth=1
	v_lshrrev_b32_e32 v2, 24, v1
	v_bfrev_b32_e32 v51, 1
	s_mov_b32 s16, exec_lo
	s_delay_alu instid0(VALU_DEP_2)
	v_cmpx_ne_u32_e32 0x80, v2
	s_cbranch_execz .LBB372_1225
; %bb.1220:                             ;   in Loop: Header=BB372_10 Depth=1
	v_bfe_u32 v3, v1, 24, 7
	v_mov_b32_e32 v51, 0x7f800001
	s_mov_b32 s17, exec_lo
	s_delay_alu instid0(VALU_DEP_2)
	v_cmpx_ne_u32_e32 0x7f, v3
	s_cbranch_execz .LBB372_1224
; %bb.1221:                             ;   in Loop: Header=BB372_10 Depth=1
	v_and_b32_e32 v16, 7, v2
	s_mov_b32 s18, exec_lo
	s_delay_alu instid0(VALU_DEP_1)
	v_mov_b64_e32 v[0:1], v[16:17]
	v_lshrrev_b32_e32 v1, 3, v3
	v_cmpx_gt_u32_e32 8, v3
; %bb.1222:                             ;   in Loop: Header=BB372_10 Depth=1
	v_clz_i32_u32_e32 v0, v16
	s_delay_alu instid0(VALU_DEP_1) | instskip(NEXT) | instid1(VALU_DEP_1)
	v_min_u32_e32 v3, 32, v0
	v_subrev_nc_u32_e32 v0, 28, v3
	s_delay_alu instid0(VALU_DEP_1) | instskip(NEXT) | instid1(VALU_DEP_1)
	v_lshlrev_b64_e32 v[0:1], v0, v[16:17]
	v_dual_sub_nc_u32 v1, 29, v3 :: v_dual_bitop2_b32 v0, 7, v0 bitop3:0x40
; %bb.1223:                             ;   in Loop: Header=BB372_10 Depth=1
	s_or_b32 exec_lo, exec_lo, s18
	s_delay_alu instid0(VALU_DEP_1) | instskip(NEXT) | instid1(VALU_DEP_2)
	v_dual_lshlrev_b32 v2, 24, v2 :: v_dual_lshlrev_b32 v0, 20, v0
	v_lshl_add_u32 v1, v1, 23, 0x3c000000
	s_delay_alu instid0(VALU_DEP_2) | instskip(NEXT) | instid1(VALU_DEP_1)
	v_and_b32_e32 v2, 0x80000000, v2
	v_or3_b32 v51, v0, v2, v1
.LBB372_1224:                           ;   in Loop: Header=BB372_10 Depth=1
	s_or_b32 exec_lo, exec_lo, s17
.LBB372_1225:                           ;   in Loop: Header=BB372_10 Depth=1
	s_delay_alu instid0(SALU_CYCLE_1)
	s_or_b32 exec_lo, exec_lo, s16
.LBB372_1226:                           ;   in Loop: Header=BB372_10 Depth=1
	s_delay_alu instid0(SALU_CYCLE_1)
	s_or_b32 exec_lo, exec_lo, s11
	flat_load_b64 v[0:1], v[96:97] offset:4616
	s_mov_b32 s11, exec_lo
	s_wait_loadcnt_dscnt 0x0
	v_and_b32_e32 v2, 0xff, v0
	s_wait_xcnt 0x0
	s_delay_alu instid0(VALU_DEP_1)
	v_cmpx_ne_u16_e32 0, v2
	s_cbranch_execz .LBB372_1234
; %bb.1227:                             ;   in Loop: Header=BB372_10 Depth=1
	v_bfrev_b32_e32 v86, 1
	s_mov_b32 s16, exec_lo
	v_cmpx_ne_u16_e32 0x80, v2
	s_cbranch_execz .LBB372_1233
; %bb.1228:                             ;   in Loop: Header=BB372_10 Depth=1
	v_and_b32_e32 v2, 0x7f, v0
	v_mov_b32_e32 v86, 0x7f800001
	s_mov_b32 s17, exec_lo
	s_delay_alu instid0(VALU_DEP_2)
	v_cmpx_ne_u32_e32 0x7f, v2
	s_cbranch_execz .LBB372_1232
; %bb.1229:                             ;   in Loop: Header=BB372_10 Depth=1
	v_lshrrev_b32_e32 v6, 3, v2
	v_cmp_gt_u32_e64 s1, 8, v2
	v_mov_b64_e32 v[2:3], v[0:1]
	s_and_saveexec_b32 s18, s1
; %bb.1230:                             ;   in Loop: Header=BB372_10 Depth=1
	v_and_b32_e32 v2, 7, v0
	s_delay_alu instid0(VALU_DEP_1) | instskip(NEXT) | instid1(VALU_DEP_1)
	v_clz_i32_u32_e32 v2, v2
	v_min_u32_e32 v6, 32, v2
	s_delay_alu instid0(VALU_DEP_1) | instskip(SKIP_1) | instid1(VALU_DEP_2)
	v_subrev_nc_u32_e32 v2, 28, v6
	v_sub_nc_u32_e32 v6, 29, v6
	v_lshlrev_b64_e32 v[2:3], v2, v[0:1]
; %bb.1231:                             ;   in Loop: Header=BB372_10 Depth=1
	s_or_b32 exec_lo, exec_lo, s18
	s_delay_alu instid0(VALU_DEP_1) | instskip(NEXT) | instid1(VALU_DEP_3)
	v_dual_lshlrev_b32 v2, 20, v2 :: v_dual_lshlrev_b32 v3, 24, v0
	v_lshl_add_u32 v6, v6, 23, 0x3c000000
	s_delay_alu instid0(VALU_DEP_2) | instskip(NEXT) | instid1(VALU_DEP_3)
	v_and_b32_e32 v2, 0x700000, v2
	v_and_b32_e32 v3, 0x80000000, v3
	s_delay_alu instid0(VALU_DEP_1)
	v_or3_b32 v86, v2, v3, v6
.LBB372_1232:                           ;   in Loop: Header=BB372_10 Depth=1
	s_or_b32 exec_lo, exec_lo, s17
.LBB372_1233:                           ;   in Loop: Header=BB372_10 Depth=1
	s_delay_alu instid0(SALU_CYCLE_1)
	s_or_b32 exec_lo, exec_lo, s16
.LBB372_1234:                           ;   in Loop: Header=BB372_10 Depth=1
	s_delay_alu instid0(SALU_CYCLE_1) | instskip(SKIP_3) | instid1(VALU_DEP_2)
	s_or_b32 exec_lo, exec_lo, s11
	v_lshrrev_b16 v2, 8, v0
	v_dual_mov_b32 v98, 0 :: v_dual_mov_b32 v87, 0
	s_mov_b32 s11, exec_lo
	v_cmpx_ne_u16_e32 0, v2
	s_cbranch_execz .LBB372_1242
; %bb.1235:                             ;   in Loop: Header=BB372_10 Depth=1
	v_bfrev_b32_e32 v87, 1
	s_mov_b32 s16, exec_lo
	v_cmpx_ne_u16_e32 0x80, v2
	s_cbranch_execz .LBB372_1241
; %bb.1236:                             ;   in Loop: Header=BB372_10 Depth=1
	v_and_b32_e32 v2, 0xffff, v2
	v_mov_b32_e32 v87, 0x7f800001
	s_mov_b32 s17, exec_lo
	s_delay_alu instid0(VALU_DEP_2) | instskip(NEXT) | instid1(VALU_DEP_1)
	v_and_b32_e32 v6, 0x7f, v2
	v_cmpx_ne_u32_e32 0x7f, v6
	s_cbranch_execz .LBB372_1240
; %bb.1237:                             ;   in Loop: Header=BB372_10 Depth=1
	v_and_b32_e32 v16, 7, v2
	s_mov_b32 s18, exec_lo
	s_delay_alu instid0(VALU_DEP_1)
	v_mov_b64_e32 v[2:3], v[16:17]
	v_lshrrev_b32_e32 v3, 3, v6
	v_cmpx_gt_u32_e32 8, v6
; %bb.1238:                             ;   in Loop: Header=BB372_10 Depth=1
	v_clz_i32_u32_e32 v2, v16
	s_delay_alu instid0(VALU_DEP_1) | instskip(NEXT) | instid1(VALU_DEP_1)
	v_min_u32_e32 v6, 32, v2
	v_subrev_nc_u32_e32 v2, 28, v6
	s_delay_alu instid0(VALU_DEP_1) | instskip(SKIP_1) | instid1(VALU_DEP_2)
	v_lshlrev_b64_e32 v[2:3], v2, v[16:17]
	v_sub_nc_u32_e32 v3, 29, v6
	v_and_b32_e32 v2, 7, v2
; %bb.1239:                             ;   in Loop: Header=BB372_10 Depth=1
	s_or_b32 exec_lo, exec_lo, s18
	s_delay_alu instid0(VALU_DEP_1) | instskip(NEXT) | instid1(VALU_DEP_3)
	v_dual_lshlrev_b32 v6, 16, v0 :: v_dual_lshlrev_b32 v2, 20, v2
	v_lshl_add_u32 v3, v3, 23, 0x3c000000
	s_delay_alu instid0(VALU_DEP_2) | instskip(NEXT) | instid1(VALU_DEP_1)
	v_and_b32_e32 v6, 0x80000000, v6
	v_or3_b32 v87, v2, v6, v3
.LBB372_1240:                           ;   in Loop: Header=BB372_10 Depth=1
	s_or_b32 exec_lo, exec_lo, s17
.LBB372_1241:                           ;   in Loop: Header=BB372_10 Depth=1
	s_delay_alu instid0(SALU_CYCLE_1)
	s_or_b32 exec_lo, exec_lo, s16
.LBB372_1242:                           ;   in Loop: Header=BB372_10 Depth=1
	s_delay_alu instid0(SALU_CYCLE_1) | instskip(SKIP_2) | instid1(VALU_DEP_1)
	s_or_b32 exec_lo, exec_lo, s11
	v_lshrrev_b32_e32 v6, 16, v0
	s_mov_b32 s11, exec_lo
	v_and_b32_e32 v2, 0xff, v6
	s_delay_alu instid0(VALU_DEP_1)
	v_cmpx_ne_u16_e32 0, v2
	s_cbranch_execz .LBB372_1250
; %bb.1243:                             ;   in Loop: Header=BB372_10 Depth=1
	v_bfrev_b32_e32 v98, 1
	s_mov_b32 s16, exec_lo
	v_cmpx_ne_u16_e32 0x80, v2
	s_cbranch_execz .LBB372_1249
; %bb.1244:                             ;   in Loop: Header=BB372_10 Depth=1
	v_bfe_u32 v7, v0, 16, 7
	v_mov_b32_e32 v98, 0x7f800001
	s_mov_b32 s17, exec_lo
	s_delay_alu instid0(VALU_DEP_2)
	v_cmpx_ne_u32_e32 0x7f, v7
	s_cbranch_execz .LBB372_1248
; %bb.1245:                             ;   in Loop: Header=BB372_10 Depth=1
	v_and_b32_e32 v16, 7, v6
	s_mov_b32 s18, exec_lo
	s_delay_alu instid0(VALU_DEP_1)
	v_mov_b64_e32 v[2:3], v[16:17]
	v_lshrrev_b32_e32 v3, 3, v7
	v_cmpx_gt_u32_e32 8, v7
; %bb.1246:                             ;   in Loop: Header=BB372_10 Depth=1
	v_clz_i32_u32_e32 v2, v16
	s_delay_alu instid0(VALU_DEP_1) | instskip(NEXT) | instid1(VALU_DEP_1)
	v_min_u32_e32 v7, 32, v2
	v_subrev_nc_u32_e32 v2, 28, v7
	s_delay_alu instid0(VALU_DEP_1) | instskip(NEXT) | instid1(VALU_DEP_1)
	v_lshlrev_b64_e32 v[2:3], v2, v[16:17]
	v_dual_sub_nc_u32 v3, 29, v7 :: v_dual_bitop2_b32 v2, 7, v2 bitop3:0x40
; %bb.1247:                             ;   in Loop: Header=BB372_10 Depth=1
	s_or_b32 exec_lo, exec_lo, s18
	v_lshlrev_b32_e32 v6, 24, v6
	s_delay_alu instid0(VALU_DEP_2) | instskip(NEXT) | instid1(VALU_DEP_3)
	v_lshlrev_b32_e32 v2, 20, v2
	v_lshl_add_u32 v3, v3, 23, 0x3c000000
	s_delay_alu instid0(VALU_DEP_3) | instskip(NEXT) | instid1(VALU_DEP_1)
	v_and_b32_e32 v6, 0x80000000, v6
	v_or3_b32 v98, v2, v6, v3
.LBB372_1248:                           ;   in Loop: Header=BB372_10 Depth=1
	s_or_b32 exec_lo, exec_lo, s17
.LBB372_1249:                           ;   in Loop: Header=BB372_10 Depth=1
	s_delay_alu instid0(SALU_CYCLE_1)
	s_or_b32 exec_lo, exec_lo, s16
.LBB372_1250:                           ;   in Loop: Header=BB372_10 Depth=1
	s_delay_alu instid0(SALU_CYCLE_1)
	s_or_b32 exec_lo, exec_lo, s11
	v_dual_mov_b32 v100, 0 :: v_dual_mov_b32 v99, 0
	s_mov_b32 s11, exec_lo
	v_cmpx_lt_u32_e32 0xffffff, v0
	s_cbranch_execz .LBB372_1258
; %bb.1251:                             ;   in Loop: Header=BB372_10 Depth=1
	v_lshrrev_b32_e32 v6, 24, v0
	v_bfrev_b32_e32 v99, 1
	s_mov_b32 s16, exec_lo
	s_delay_alu instid0(VALU_DEP_2)
	v_cmpx_ne_u32_e32 0x80, v6
	s_cbranch_execz .LBB372_1257
; %bb.1252:                             ;   in Loop: Header=BB372_10 Depth=1
	v_bfe_u32 v7, v0, 24, 7
	v_mov_b32_e32 v99, 0x7f800001
	s_mov_b32 s17, exec_lo
	s_delay_alu instid0(VALU_DEP_2)
	v_cmpx_ne_u32_e32 0x7f, v7
	s_cbranch_execz .LBB372_1256
; %bb.1253:                             ;   in Loop: Header=BB372_10 Depth=1
	v_and_b32_e32 v16, 7, v6
	s_mov_b32 s18, exec_lo
	s_delay_alu instid0(VALU_DEP_1)
	v_mov_b64_e32 v[2:3], v[16:17]
	v_lshrrev_b32_e32 v3, 3, v7
	v_cmpx_gt_u32_e32 8, v7
; %bb.1254:                             ;   in Loop: Header=BB372_10 Depth=1
	v_clz_i32_u32_e32 v2, v16
	s_delay_alu instid0(VALU_DEP_1) | instskip(NEXT) | instid1(VALU_DEP_1)
	v_min_u32_e32 v7, 32, v2
	v_subrev_nc_u32_e32 v2, 28, v7
	s_delay_alu instid0(VALU_DEP_1) | instskip(NEXT) | instid1(VALU_DEP_1)
	v_lshlrev_b64_e32 v[2:3], v2, v[16:17]
	v_dual_sub_nc_u32 v3, 29, v7 :: v_dual_bitop2_b32 v2, 7, v2 bitop3:0x40
; %bb.1255:                             ;   in Loop: Header=BB372_10 Depth=1
	s_or_b32 exec_lo, exec_lo, s18
	v_lshlrev_b32_e32 v6, 24, v6
	s_delay_alu instid0(VALU_DEP_2) | instskip(NEXT) | instid1(VALU_DEP_3)
	v_lshlrev_b32_e32 v2, 20, v2
	v_lshl_add_u32 v3, v3, 23, 0x3c000000
	s_delay_alu instid0(VALU_DEP_3) | instskip(NEXT) | instid1(VALU_DEP_1)
	v_and_b32_e32 v6, 0x80000000, v6
	v_or3_b32 v99, v2, v6, v3
.LBB372_1256:                           ;   in Loop: Header=BB372_10 Depth=1
	s_or_b32 exec_lo, exec_lo, s17
.LBB372_1257:                           ;   in Loop: Header=BB372_10 Depth=1
	s_delay_alu instid0(SALU_CYCLE_1)
	s_or_b32 exec_lo, exec_lo, s16
.LBB372_1258:                           ;   in Loop: Header=BB372_10 Depth=1
	s_delay_alu instid0(SALU_CYCLE_1) | instskip(SKIP_3) | instid1(VALU_DEP_2)
	s_or_b32 exec_lo, exec_lo, s11
	v_and_b32_e32 v2, 0xff, v1
	v_mov_b32_e32 v16, v1
	s_mov_b32 s11, exec_lo
	v_cmpx_ne_u16_e32 0, v2
	s_cbranch_execz .LBB372_1266
; %bb.1259:                             ;   in Loop: Header=BB372_10 Depth=1
	v_bfrev_b32_e32 v100, 1
	s_mov_b32 s16, exec_lo
	v_cmpx_ne_u16_e32 0x80, v2
	s_cbranch_execz .LBB372_1265
; %bb.1260:                             ;   in Loop: Header=BB372_10 Depth=1
	v_and_b32_e32 v6, 0x7f, v1
	v_mov_b32_e32 v100, 0x7f800001
	s_mov_b32 s17, exec_lo
	s_delay_alu instid0(VALU_DEP_2)
	v_cmpx_ne_u32_e32 0x7f, v6
	s_cbranch_execz .LBB372_1264
; %bb.1261:                             ;   in Loop: Header=BB372_10 Depth=1
	v_mov_b64_e32 v[2:3], v[16:17]
	v_lshrrev_b32_e32 v3, 3, v6
	s_mov_b32 s18, exec_lo
	v_cmpx_gt_u32_e32 8, v6
; %bb.1262:                             ;   in Loop: Header=BB372_10 Depth=1
	v_and_b32_e32 v2, 7, v1
	s_delay_alu instid0(VALU_DEP_1) | instskip(NEXT) | instid1(VALU_DEP_1)
	v_clz_i32_u32_e32 v2, v2
	v_min_u32_e32 v6, 32, v2
	s_delay_alu instid0(VALU_DEP_1) | instskip(NEXT) | instid1(VALU_DEP_1)
	v_subrev_nc_u32_e32 v2, 28, v6
	v_lshlrev_b64_e32 v[2:3], v2, v[16:17]
	v_sub_nc_u32_e32 v3, 29, v6
; %bb.1263:                             ;   in Loop: Header=BB372_10 Depth=1
	s_or_b32 exec_lo, exec_lo, s18
	s_delay_alu instid0(VALU_DEP_2) | instskip(NEXT) | instid1(VALU_DEP_2)
	v_dual_lshlrev_b32 v2, 20, v2 :: v_dual_lshlrev_b32 v6, 24, v16
	v_lshl_add_u32 v3, v3, 23, 0x3c000000
	s_delay_alu instid0(VALU_DEP_2) | instskip(NEXT) | instid1(VALU_DEP_3)
	v_and_b32_e32 v2, 0x700000, v2
	v_and_b32_e32 v6, 0x80000000, v6
	s_delay_alu instid0(VALU_DEP_1)
	v_or3_b32 v100, v2, v6, v3
.LBB372_1264:                           ;   in Loop: Header=BB372_10 Depth=1
	s_or_b32 exec_lo, exec_lo, s17
.LBB372_1265:                           ;   in Loop: Header=BB372_10 Depth=1
	s_delay_alu instid0(SALU_CYCLE_1)
	s_or_b32 exec_lo, exec_lo, s16
.LBB372_1266:                           ;   in Loop: Header=BB372_10 Depth=1
	s_delay_alu instid0(SALU_CYCLE_1) | instskip(SKIP_3) | instid1(VALU_DEP_2)
	s_or_b32 exec_lo, exec_lo, s11
	v_lshrrev_b16 v2, 8, v16
	v_dual_mov_b32 v102, 0 :: v_dual_mov_b32 v101, 0
	s_mov_b32 s11, exec_lo
	v_cmpx_ne_u16_e32 0, v2
	s_cbranch_execz .LBB372_1274
; %bb.1267:                             ;   in Loop: Header=BB372_10 Depth=1
	v_bfrev_b32_e32 v101, 1
	s_mov_b32 s16, exec_lo
	v_cmpx_ne_u16_e32 0x80, v2
	s_cbranch_execz .LBB372_1273
; %bb.1268:                             ;   in Loop: Header=BB372_10 Depth=1
	v_and_b32_e32 v2, 0xffff, v2
	v_mov_b32_e32 v101, 0x7f800001
	s_mov_b32 s17, exec_lo
	s_delay_alu instid0(VALU_DEP_2) | instskip(NEXT) | instid1(VALU_DEP_1)
	v_and_b32_e32 v7, 0x7f, v2
	v_cmpx_ne_u32_e32 0x7f, v7
	s_cbranch_execz .LBB372_1272
; %bb.1269:                             ;   in Loop: Header=BB372_10 Depth=1
	v_dual_mov_b32 v3, v17 :: v_dual_bitop2_b32 v2, 7, v2 bitop3:0x40
	v_lshrrev_b32_e32 v6, 3, v7
	s_mov_b32 s18, exec_lo
	v_cmpx_gt_u32_e32 8, v7
; %bb.1270:                             ;   in Loop: Header=BB372_10 Depth=1
	s_delay_alu instid0(VALU_DEP_3) | instskip(NEXT) | instid1(VALU_DEP_1)
	v_clz_i32_u32_e32 v6, v2
	v_min_u32_e32 v6, 32, v6
	s_delay_alu instid0(VALU_DEP_1) | instskip(SKIP_1) | instid1(VALU_DEP_2)
	v_subrev_nc_u32_e32 v7, 28, v6
	v_sub_nc_u32_e32 v6, 29, v6
	v_lshlrev_b64_e32 v[2:3], v7, v[2:3]
	s_delay_alu instid0(VALU_DEP_1)
	v_and_b32_e32 v2, 7, v2
; %bb.1271:                             ;   in Loop: Header=BB372_10 Depth=1
	s_or_b32 exec_lo, exec_lo, s18
	s_delay_alu instid0(VALU_DEP_1) | instskip(SKIP_1) | instid1(VALU_DEP_2)
	v_dual_lshlrev_b32 v3, 16, v16 :: v_dual_lshlrev_b32 v2, 20, v2
	v_lshl_add_u32 v6, v6, 23, 0x3c000000
	v_and_b32_e32 v3, 0x80000000, v3
	s_delay_alu instid0(VALU_DEP_1)
	v_or3_b32 v101, v2, v3, v6
.LBB372_1272:                           ;   in Loop: Header=BB372_10 Depth=1
	s_or_b32 exec_lo, exec_lo, s17
.LBB372_1273:                           ;   in Loop: Header=BB372_10 Depth=1
	s_delay_alu instid0(SALU_CYCLE_1)
	s_or_b32 exec_lo, exec_lo, s16
.LBB372_1274:                           ;   in Loop: Header=BB372_10 Depth=1
	s_delay_alu instid0(SALU_CYCLE_1) | instskip(SKIP_2) | instid1(VALU_DEP_1)
	s_or_b32 exec_lo, exec_lo, s11
	v_lshrrev_b32_e32 v6, 16, v1
	s_mov_b32 s11, exec_lo
	v_and_b32_e32 v2, 0xff, v6
	s_delay_alu instid0(VALU_DEP_1)
	v_cmpx_ne_u16_e32 0, v2
	s_cbranch_execz .LBB372_1282
; %bb.1275:                             ;   in Loop: Header=BB372_10 Depth=1
	v_bfrev_b32_e32 v102, 1
	s_mov_b32 s16, exec_lo
	v_cmpx_ne_u16_e32 0x80, v2
	s_cbranch_execz .LBB372_1281
; %bb.1276:                             ;   in Loop: Header=BB372_10 Depth=1
	v_bfe_u32 v7, v1, 16, 7
	v_mov_b32_e32 v102, 0x7f800001
	s_mov_b32 s17, exec_lo
	s_delay_alu instid0(VALU_DEP_2)
	v_cmpx_ne_u32_e32 0x7f, v7
	s_cbranch_execz .LBB372_1280
; %bb.1277:                             ;   in Loop: Header=BB372_10 Depth=1
	v_and_b32_e32 v16, 7, v6
	s_mov_b32 s18, exec_lo
	s_delay_alu instid0(VALU_DEP_1)
	v_mov_b64_e32 v[2:3], v[16:17]
	v_lshrrev_b32_e32 v3, 3, v7
	v_cmpx_gt_u32_e32 8, v7
; %bb.1278:                             ;   in Loop: Header=BB372_10 Depth=1
	v_clz_i32_u32_e32 v2, v16
	s_delay_alu instid0(VALU_DEP_1) | instskip(NEXT) | instid1(VALU_DEP_1)
	v_min_u32_e32 v7, 32, v2
	v_subrev_nc_u32_e32 v2, 28, v7
	s_delay_alu instid0(VALU_DEP_1) | instskip(NEXT) | instid1(VALU_DEP_1)
	v_lshlrev_b64_e32 v[2:3], v2, v[16:17]
	v_dual_sub_nc_u32 v3, 29, v7 :: v_dual_bitop2_b32 v2, 7, v2 bitop3:0x40
; %bb.1279:                             ;   in Loop: Header=BB372_10 Depth=1
	s_or_b32 exec_lo, exec_lo, s18
	v_lshlrev_b32_e32 v6, 24, v6
	s_delay_alu instid0(VALU_DEP_2) | instskip(NEXT) | instid1(VALU_DEP_3)
	v_lshlrev_b32_e32 v2, 20, v2
	v_lshl_add_u32 v3, v3, 23, 0x3c000000
	s_delay_alu instid0(VALU_DEP_3) | instskip(NEXT) | instid1(VALU_DEP_1)
	v_and_b32_e32 v6, 0x80000000, v6
	v_or3_b32 v102, v2, v6, v3
.LBB372_1280:                           ;   in Loop: Header=BB372_10 Depth=1
	s_or_b32 exec_lo, exec_lo, s17
.LBB372_1281:                           ;   in Loop: Header=BB372_10 Depth=1
	s_delay_alu instid0(SALU_CYCLE_1)
	s_or_b32 exec_lo, exec_lo, s16
.LBB372_1282:                           ;   in Loop: Header=BB372_10 Depth=1
	s_delay_alu instid0(SALU_CYCLE_1)
	s_or_b32 exec_lo, exec_lo, s11
	v_dual_mov_b32 v112, 0 :: v_dual_mov_b32 v103, 0
	s_mov_b32 s11, exec_lo
	v_cmpx_lt_u64_e64 s[2:3], v[0:1]
	s_cbranch_execz .LBB372_1290
; %bb.1283:                             ;   in Loop: Header=BB372_10 Depth=1
	v_lshrrev_b32_e32 v2, 24, v1
	v_bfrev_b32_e32 v103, 1
	s_mov_b32 s16, exec_lo
	s_delay_alu instid0(VALU_DEP_2)
	v_cmpx_ne_u32_e32 0x80, v2
	s_cbranch_execz .LBB372_1289
; %bb.1284:                             ;   in Loop: Header=BB372_10 Depth=1
	v_bfe_u32 v3, v1, 24, 7
	v_mov_b32_e32 v103, 0x7f800001
	s_mov_b32 s17, exec_lo
	s_delay_alu instid0(VALU_DEP_2)
	v_cmpx_ne_u32_e32 0x7f, v3
	s_cbranch_execz .LBB372_1288
; %bb.1285:                             ;   in Loop: Header=BB372_10 Depth=1
	v_and_b32_e32 v16, 7, v2
	s_mov_b32 s18, exec_lo
	s_delay_alu instid0(VALU_DEP_1)
	v_mov_b64_e32 v[0:1], v[16:17]
	v_lshrrev_b32_e32 v1, 3, v3
	v_cmpx_gt_u32_e32 8, v3
; %bb.1286:                             ;   in Loop: Header=BB372_10 Depth=1
	v_clz_i32_u32_e32 v0, v16
	s_delay_alu instid0(VALU_DEP_1) | instskip(NEXT) | instid1(VALU_DEP_1)
	v_min_u32_e32 v3, 32, v0
	v_subrev_nc_u32_e32 v0, 28, v3
	s_delay_alu instid0(VALU_DEP_1) | instskip(NEXT) | instid1(VALU_DEP_1)
	v_lshlrev_b64_e32 v[0:1], v0, v[16:17]
	v_dual_sub_nc_u32 v1, 29, v3 :: v_dual_bitop2_b32 v0, 7, v0 bitop3:0x40
; %bb.1287:                             ;   in Loop: Header=BB372_10 Depth=1
	s_or_b32 exec_lo, exec_lo, s18
	s_delay_alu instid0(VALU_DEP_1) | instskip(NEXT) | instid1(VALU_DEP_2)
	v_dual_lshlrev_b32 v2, 24, v2 :: v_dual_lshlrev_b32 v0, 20, v0
	v_lshl_add_u32 v1, v1, 23, 0x3c000000
	s_delay_alu instid0(VALU_DEP_2) | instskip(NEXT) | instid1(VALU_DEP_1)
	v_and_b32_e32 v2, 0x80000000, v2
	v_or3_b32 v103, v0, v2, v1
.LBB372_1288:                           ;   in Loop: Header=BB372_10 Depth=1
	s_or_b32 exec_lo, exec_lo, s17
.LBB372_1289:                           ;   in Loop: Header=BB372_10 Depth=1
	s_delay_alu instid0(SALU_CYCLE_1)
	s_or_b32 exec_lo, exec_lo, s16
.LBB372_1290:                           ;   in Loop: Header=BB372_10 Depth=1
	s_delay_alu instid0(SALU_CYCLE_1)
	s_or_b32 exec_lo, exec_lo, s11
	flat_load_b64 v[0:1], v[96:97] offset:5120
	s_mov_b32 s11, exec_lo
	s_wait_loadcnt_dscnt 0x0
	v_and_b32_e32 v2, 0xff, v0
	s_wait_xcnt 0x0
	s_delay_alu instid0(VALU_DEP_1)
	v_cmpx_ne_u16_e32 0, v2
	s_cbranch_execz .LBB372_1298
; %bb.1291:                             ;   in Loop: Header=BB372_10 Depth=1
	v_bfrev_b32_e32 v112, 1
	s_mov_b32 s16, exec_lo
	v_cmpx_ne_u16_e32 0x80, v2
	s_cbranch_execz .LBB372_1297
; %bb.1292:                             ;   in Loop: Header=BB372_10 Depth=1
	v_and_b32_e32 v2, 0x7f, v0
	v_mov_b32_e32 v112, 0x7f800001
	s_mov_b32 s17, exec_lo
	s_delay_alu instid0(VALU_DEP_2)
	v_cmpx_ne_u32_e32 0x7f, v2
	s_cbranch_execz .LBB372_1296
; %bb.1293:                             ;   in Loop: Header=BB372_10 Depth=1
	v_lshrrev_b32_e32 v6, 3, v2
	v_cmp_gt_u32_e64 s1, 8, v2
	v_mov_b64_e32 v[2:3], v[0:1]
	s_and_saveexec_b32 s18, s1
; %bb.1294:                             ;   in Loop: Header=BB372_10 Depth=1
	v_and_b32_e32 v2, 7, v0
	s_delay_alu instid0(VALU_DEP_1) | instskip(NEXT) | instid1(VALU_DEP_1)
	v_clz_i32_u32_e32 v2, v2
	v_min_u32_e32 v6, 32, v2
	s_delay_alu instid0(VALU_DEP_1) | instskip(SKIP_1) | instid1(VALU_DEP_2)
	v_subrev_nc_u32_e32 v2, 28, v6
	v_sub_nc_u32_e32 v6, 29, v6
	v_lshlrev_b64_e32 v[2:3], v2, v[0:1]
; %bb.1295:                             ;   in Loop: Header=BB372_10 Depth=1
	s_or_b32 exec_lo, exec_lo, s18
	s_delay_alu instid0(VALU_DEP_1) | instskip(NEXT) | instid1(VALU_DEP_3)
	v_dual_lshlrev_b32 v2, 20, v2 :: v_dual_lshlrev_b32 v3, 24, v0
	v_lshl_add_u32 v6, v6, 23, 0x3c000000
	s_delay_alu instid0(VALU_DEP_2) | instskip(NEXT) | instid1(VALU_DEP_3)
	v_and_b32_e32 v2, 0x700000, v2
	v_and_b32_e32 v3, 0x80000000, v3
	s_delay_alu instid0(VALU_DEP_1)
	v_or3_b32 v112, v2, v3, v6
.LBB372_1296:                           ;   in Loop: Header=BB372_10 Depth=1
	s_or_b32 exec_lo, exec_lo, s17
.LBB372_1297:                           ;   in Loop: Header=BB372_10 Depth=1
	s_delay_alu instid0(SALU_CYCLE_1)
	s_or_b32 exec_lo, exec_lo, s16
.LBB372_1298:                           ;   in Loop: Header=BB372_10 Depth=1
	s_delay_alu instid0(SALU_CYCLE_1) | instskip(SKIP_3) | instid1(VALU_DEP_2)
	s_or_b32 exec_lo, exec_lo, s11
	v_lshrrev_b16 v2, 8, v0
	v_dual_mov_b32 v114, 0 :: v_dual_mov_b32 v113, 0
	s_mov_b32 s11, exec_lo
	v_cmpx_ne_u16_e32 0, v2
	s_cbranch_execz .LBB372_1306
; %bb.1299:                             ;   in Loop: Header=BB372_10 Depth=1
	v_bfrev_b32_e32 v113, 1
	s_mov_b32 s16, exec_lo
	v_cmpx_ne_u16_e32 0x80, v2
	s_cbranch_execz .LBB372_1305
; %bb.1300:                             ;   in Loop: Header=BB372_10 Depth=1
	v_and_b32_e32 v2, 0xffff, v2
	v_mov_b32_e32 v113, 0x7f800001
	s_mov_b32 s17, exec_lo
	s_delay_alu instid0(VALU_DEP_2) | instskip(NEXT) | instid1(VALU_DEP_1)
	v_and_b32_e32 v6, 0x7f, v2
	v_cmpx_ne_u32_e32 0x7f, v6
	s_cbranch_execz .LBB372_1304
; %bb.1301:                             ;   in Loop: Header=BB372_10 Depth=1
	v_and_b32_e32 v16, 7, v2
	s_mov_b32 s18, exec_lo
	s_delay_alu instid0(VALU_DEP_1)
	v_mov_b64_e32 v[2:3], v[16:17]
	v_lshrrev_b32_e32 v3, 3, v6
	v_cmpx_gt_u32_e32 8, v6
; %bb.1302:                             ;   in Loop: Header=BB372_10 Depth=1
	v_clz_i32_u32_e32 v2, v16
	s_delay_alu instid0(VALU_DEP_1) | instskip(NEXT) | instid1(VALU_DEP_1)
	v_min_u32_e32 v6, 32, v2
	v_subrev_nc_u32_e32 v2, 28, v6
	s_delay_alu instid0(VALU_DEP_1) | instskip(SKIP_1) | instid1(VALU_DEP_2)
	v_lshlrev_b64_e32 v[2:3], v2, v[16:17]
	v_sub_nc_u32_e32 v3, 29, v6
	v_and_b32_e32 v2, 7, v2
; %bb.1303:                             ;   in Loop: Header=BB372_10 Depth=1
	s_or_b32 exec_lo, exec_lo, s18
	s_delay_alu instid0(VALU_DEP_1) | instskip(NEXT) | instid1(VALU_DEP_3)
	v_dual_lshlrev_b32 v6, 16, v0 :: v_dual_lshlrev_b32 v2, 20, v2
	v_lshl_add_u32 v3, v3, 23, 0x3c000000
	s_delay_alu instid0(VALU_DEP_2) | instskip(NEXT) | instid1(VALU_DEP_1)
	v_and_b32_e32 v6, 0x80000000, v6
	v_or3_b32 v113, v2, v6, v3
.LBB372_1304:                           ;   in Loop: Header=BB372_10 Depth=1
	s_or_b32 exec_lo, exec_lo, s17
.LBB372_1305:                           ;   in Loop: Header=BB372_10 Depth=1
	s_delay_alu instid0(SALU_CYCLE_1)
	s_or_b32 exec_lo, exec_lo, s16
.LBB372_1306:                           ;   in Loop: Header=BB372_10 Depth=1
	s_delay_alu instid0(SALU_CYCLE_1) | instskip(SKIP_2) | instid1(VALU_DEP_1)
	s_or_b32 exec_lo, exec_lo, s11
	v_lshrrev_b32_e32 v6, 16, v0
	s_mov_b32 s11, exec_lo
	v_and_b32_e32 v2, 0xff, v6
	s_delay_alu instid0(VALU_DEP_1)
	v_cmpx_ne_u16_e32 0, v2
	s_cbranch_execz .LBB372_1314
; %bb.1307:                             ;   in Loop: Header=BB372_10 Depth=1
	v_bfrev_b32_e32 v114, 1
	s_mov_b32 s16, exec_lo
	v_cmpx_ne_u16_e32 0x80, v2
	s_cbranch_execz .LBB372_1313
; %bb.1308:                             ;   in Loop: Header=BB372_10 Depth=1
	v_bfe_u32 v7, v0, 16, 7
	v_mov_b32_e32 v114, 0x7f800001
	s_mov_b32 s17, exec_lo
	s_delay_alu instid0(VALU_DEP_2)
	v_cmpx_ne_u32_e32 0x7f, v7
	s_cbranch_execz .LBB372_1312
; %bb.1309:                             ;   in Loop: Header=BB372_10 Depth=1
	v_and_b32_e32 v16, 7, v6
	s_mov_b32 s18, exec_lo
	s_delay_alu instid0(VALU_DEP_1)
	v_mov_b64_e32 v[2:3], v[16:17]
	v_lshrrev_b32_e32 v3, 3, v7
	v_cmpx_gt_u32_e32 8, v7
; %bb.1310:                             ;   in Loop: Header=BB372_10 Depth=1
	v_clz_i32_u32_e32 v2, v16
	s_delay_alu instid0(VALU_DEP_1) | instskip(NEXT) | instid1(VALU_DEP_1)
	v_min_u32_e32 v7, 32, v2
	v_subrev_nc_u32_e32 v2, 28, v7
	s_delay_alu instid0(VALU_DEP_1) | instskip(NEXT) | instid1(VALU_DEP_1)
	v_lshlrev_b64_e32 v[2:3], v2, v[16:17]
	v_dual_sub_nc_u32 v3, 29, v7 :: v_dual_bitop2_b32 v2, 7, v2 bitop3:0x40
; %bb.1311:                             ;   in Loop: Header=BB372_10 Depth=1
	s_or_b32 exec_lo, exec_lo, s18
	v_lshlrev_b32_e32 v6, 24, v6
	s_delay_alu instid0(VALU_DEP_2) | instskip(NEXT) | instid1(VALU_DEP_3)
	v_lshlrev_b32_e32 v2, 20, v2
	v_lshl_add_u32 v3, v3, 23, 0x3c000000
	s_delay_alu instid0(VALU_DEP_3) | instskip(NEXT) | instid1(VALU_DEP_1)
	v_and_b32_e32 v6, 0x80000000, v6
	v_or3_b32 v114, v2, v6, v3
.LBB372_1312:                           ;   in Loop: Header=BB372_10 Depth=1
	s_or_b32 exec_lo, exec_lo, s17
.LBB372_1313:                           ;   in Loop: Header=BB372_10 Depth=1
	s_delay_alu instid0(SALU_CYCLE_1)
	s_or_b32 exec_lo, exec_lo, s16
.LBB372_1314:                           ;   in Loop: Header=BB372_10 Depth=1
	s_delay_alu instid0(SALU_CYCLE_1)
	s_or_b32 exec_lo, exec_lo, s11
	v_dual_mov_b32 v116, 0 :: v_dual_mov_b32 v115, 0
	s_mov_b32 s11, exec_lo
	v_cmpx_lt_u32_e32 0xffffff, v0
	s_cbranch_execz .LBB372_1322
; %bb.1315:                             ;   in Loop: Header=BB372_10 Depth=1
	v_lshrrev_b32_e32 v6, 24, v0
	v_bfrev_b32_e32 v115, 1
	s_mov_b32 s16, exec_lo
	s_delay_alu instid0(VALU_DEP_2)
	v_cmpx_ne_u32_e32 0x80, v6
	s_cbranch_execz .LBB372_1321
; %bb.1316:                             ;   in Loop: Header=BB372_10 Depth=1
	v_bfe_u32 v7, v0, 24, 7
	v_mov_b32_e32 v115, 0x7f800001
	s_mov_b32 s17, exec_lo
	s_delay_alu instid0(VALU_DEP_2)
	v_cmpx_ne_u32_e32 0x7f, v7
	s_cbranch_execz .LBB372_1320
; %bb.1317:                             ;   in Loop: Header=BB372_10 Depth=1
	v_and_b32_e32 v16, 7, v6
	s_mov_b32 s18, exec_lo
	s_delay_alu instid0(VALU_DEP_1)
	v_mov_b64_e32 v[2:3], v[16:17]
	v_lshrrev_b32_e32 v3, 3, v7
	v_cmpx_gt_u32_e32 8, v7
; %bb.1318:                             ;   in Loop: Header=BB372_10 Depth=1
	v_clz_i32_u32_e32 v2, v16
	s_delay_alu instid0(VALU_DEP_1) | instskip(NEXT) | instid1(VALU_DEP_1)
	v_min_u32_e32 v7, 32, v2
	v_subrev_nc_u32_e32 v2, 28, v7
	s_delay_alu instid0(VALU_DEP_1) | instskip(NEXT) | instid1(VALU_DEP_1)
	v_lshlrev_b64_e32 v[2:3], v2, v[16:17]
	v_dual_sub_nc_u32 v3, 29, v7 :: v_dual_bitop2_b32 v2, 7, v2 bitop3:0x40
; %bb.1319:                             ;   in Loop: Header=BB372_10 Depth=1
	s_or_b32 exec_lo, exec_lo, s18
	v_lshlrev_b32_e32 v6, 24, v6
	s_delay_alu instid0(VALU_DEP_2) | instskip(NEXT) | instid1(VALU_DEP_3)
	v_lshlrev_b32_e32 v2, 20, v2
	v_lshl_add_u32 v3, v3, 23, 0x3c000000
	s_delay_alu instid0(VALU_DEP_3) | instskip(NEXT) | instid1(VALU_DEP_1)
	v_and_b32_e32 v6, 0x80000000, v6
	v_or3_b32 v115, v2, v6, v3
.LBB372_1320:                           ;   in Loop: Header=BB372_10 Depth=1
	s_or_b32 exec_lo, exec_lo, s17
.LBB372_1321:                           ;   in Loop: Header=BB372_10 Depth=1
	s_delay_alu instid0(SALU_CYCLE_1)
	s_or_b32 exec_lo, exec_lo, s16
.LBB372_1322:                           ;   in Loop: Header=BB372_10 Depth=1
	s_delay_alu instid0(SALU_CYCLE_1) | instskip(SKIP_3) | instid1(VALU_DEP_2)
	s_or_b32 exec_lo, exec_lo, s11
	v_and_b32_e32 v2, 0xff, v1
	v_mov_b32_e32 v16, v1
	s_mov_b32 s11, exec_lo
	v_cmpx_ne_u16_e32 0, v2
	s_cbranch_execz .LBB372_1330
; %bb.1323:                             ;   in Loop: Header=BB372_10 Depth=1
	v_bfrev_b32_e32 v116, 1
	s_mov_b32 s16, exec_lo
	v_cmpx_ne_u16_e32 0x80, v2
	s_cbranch_execz .LBB372_1329
; %bb.1324:                             ;   in Loop: Header=BB372_10 Depth=1
	v_and_b32_e32 v6, 0x7f, v1
	v_mov_b32_e32 v116, 0x7f800001
	s_mov_b32 s17, exec_lo
	s_delay_alu instid0(VALU_DEP_2)
	v_cmpx_ne_u32_e32 0x7f, v6
	s_cbranch_execz .LBB372_1328
; %bb.1325:                             ;   in Loop: Header=BB372_10 Depth=1
	v_mov_b64_e32 v[2:3], v[16:17]
	v_lshrrev_b32_e32 v3, 3, v6
	s_mov_b32 s18, exec_lo
	v_cmpx_gt_u32_e32 8, v6
; %bb.1326:                             ;   in Loop: Header=BB372_10 Depth=1
	v_and_b32_e32 v2, 7, v1
	s_delay_alu instid0(VALU_DEP_1) | instskip(NEXT) | instid1(VALU_DEP_1)
	v_clz_i32_u32_e32 v2, v2
	v_min_u32_e32 v6, 32, v2
	s_delay_alu instid0(VALU_DEP_1) | instskip(NEXT) | instid1(VALU_DEP_1)
	v_subrev_nc_u32_e32 v2, 28, v6
	v_lshlrev_b64_e32 v[2:3], v2, v[16:17]
	v_sub_nc_u32_e32 v3, 29, v6
; %bb.1327:                             ;   in Loop: Header=BB372_10 Depth=1
	s_or_b32 exec_lo, exec_lo, s18
	s_delay_alu instid0(VALU_DEP_2) | instskip(NEXT) | instid1(VALU_DEP_2)
	v_dual_lshlrev_b32 v2, 20, v2 :: v_dual_lshlrev_b32 v6, 24, v16
	v_lshl_add_u32 v3, v3, 23, 0x3c000000
	s_delay_alu instid0(VALU_DEP_2) | instskip(NEXT) | instid1(VALU_DEP_3)
	v_and_b32_e32 v2, 0x700000, v2
	v_and_b32_e32 v6, 0x80000000, v6
	s_delay_alu instid0(VALU_DEP_1)
	v_or3_b32 v116, v2, v6, v3
.LBB372_1328:                           ;   in Loop: Header=BB372_10 Depth=1
	s_or_b32 exec_lo, exec_lo, s17
.LBB372_1329:                           ;   in Loop: Header=BB372_10 Depth=1
	s_delay_alu instid0(SALU_CYCLE_1)
	s_or_b32 exec_lo, exec_lo, s16
.LBB372_1330:                           ;   in Loop: Header=BB372_10 Depth=1
	s_delay_alu instid0(SALU_CYCLE_1) | instskip(SKIP_3) | instid1(VALU_DEP_2)
	s_or_b32 exec_lo, exec_lo, s11
	v_lshrrev_b16 v2, 8, v16
	v_dual_mov_b32 v118, 0 :: v_dual_mov_b32 v117, 0
	s_mov_b32 s11, exec_lo
	v_cmpx_ne_u16_e32 0, v2
	s_cbranch_execz .LBB372_1338
; %bb.1331:                             ;   in Loop: Header=BB372_10 Depth=1
	v_bfrev_b32_e32 v117, 1
	s_mov_b32 s16, exec_lo
	v_cmpx_ne_u16_e32 0x80, v2
	s_cbranch_execz .LBB372_1337
; %bb.1332:                             ;   in Loop: Header=BB372_10 Depth=1
	v_and_b32_e32 v2, 0xffff, v2
	v_mov_b32_e32 v117, 0x7f800001
	s_mov_b32 s17, exec_lo
	s_delay_alu instid0(VALU_DEP_2) | instskip(NEXT) | instid1(VALU_DEP_1)
	v_and_b32_e32 v7, 0x7f, v2
	v_cmpx_ne_u32_e32 0x7f, v7
	s_cbranch_execz .LBB372_1336
; %bb.1333:                             ;   in Loop: Header=BB372_10 Depth=1
	v_dual_mov_b32 v3, v17 :: v_dual_bitop2_b32 v2, 7, v2 bitop3:0x40
	v_lshrrev_b32_e32 v6, 3, v7
	s_mov_b32 s18, exec_lo
	v_cmpx_gt_u32_e32 8, v7
; %bb.1334:                             ;   in Loop: Header=BB372_10 Depth=1
	s_delay_alu instid0(VALU_DEP_3) | instskip(NEXT) | instid1(VALU_DEP_1)
	v_clz_i32_u32_e32 v6, v2
	v_min_u32_e32 v6, 32, v6
	s_delay_alu instid0(VALU_DEP_1) | instskip(SKIP_1) | instid1(VALU_DEP_2)
	v_subrev_nc_u32_e32 v7, 28, v6
	v_sub_nc_u32_e32 v6, 29, v6
	v_lshlrev_b64_e32 v[2:3], v7, v[2:3]
	s_delay_alu instid0(VALU_DEP_1)
	v_and_b32_e32 v2, 7, v2
; %bb.1335:                             ;   in Loop: Header=BB372_10 Depth=1
	s_or_b32 exec_lo, exec_lo, s18
	s_delay_alu instid0(VALU_DEP_1) | instskip(SKIP_1) | instid1(VALU_DEP_2)
	v_dual_lshlrev_b32 v3, 16, v16 :: v_dual_lshlrev_b32 v2, 20, v2
	v_lshl_add_u32 v6, v6, 23, 0x3c000000
	v_and_b32_e32 v3, 0x80000000, v3
	s_delay_alu instid0(VALU_DEP_1)
	v_or3_b32 v117, v2, v3, v6
.LBB372_1336:                           ;   in Loop: Header=BB372_10 Depth=1
	s_or_b32 exec_lo, exec_lo, s17
.LBB372_1337:                           ;   in Loop: Header=BB372_10 Depth=1
	s_delay_alu instid0(SALU_CYCLE_1)
	s_or_b32 exec_lo, exec_lo, s16
.LBB372_1338:                           ;   in Loop: Header=BB372_10 Depth=1
	s_delay_alu instid0(SALU_CYCLE_1) | instskip(SKIP_2) | instid1(VALU_DEP_1)
	s_or_b32 exec_lo, exec_lo, s11
	v_lshrrev_b32_e32 v6, 16, v1
	s_mov_b32 s11, exec_lo
	v_and_b32_e32 v2, 0xff, v6
	s_delay_alu instid0(VALU_DEP_1)
	v_cmpx_ne_u16_e32 0, v2
	s_cbranch_execz .LBB372_1346
; %bb.1339:                             ;   in Loop: Header=BB372_10 Depth=1
	v_bfrev_b32_e32 v118, 1
	s_mov_b32 s16, exec_lo
	v_cmpx_ne_u16_e32 0x80, v2
	s_cbranch_execz .LBB372_1345
; %bb.1340:                             ;   in Loop: Header=BB372_10 Depth=1
	v_bfe_u32 v7, v1, 16, 7
	v_mov_b32_e32 v118, 0x7f800001
	s_mov_b32 s17, exec_lo
	s_delay_alu instid0(VALU_DEP_2)
	v_cmpx_ne_u32_e32 0x7f, v7
	s_cbranch_execz .LBB372_1344
; %bb.1341:                             ;   in Loop: Header=BB372_10 Depth=1
	v_and_b32_e32 v16, 7, v6
	s_mov_b32 s18, exec_lo
	s_delay_alu instid0(VALU_DEP_1)
	v_mov_b64_e32 v[2:3], v[16:17]
	v_lshrrev_b32_e32 v3, 3, v7
	v_cmpx_gt_u32_e32 8, v7
; %bb.1342:                             ;   in Loop: Header=BB372_10 Depth=1
	v_clz_i32_u32_e32 v2, v16
	s_delay_alu instid0(VALU_DEP_1) | instskip(NEXT) | instid1(VALU_DEP_1)
	v_min_u32_e32 v7, 32, v2
	v_subrev_nc_u32_e32 v2, 28, v7
	s_delay_alu instid0(VALU_DEP_1) | instskip(NEXT) | instid1(VALU_DEP_1)
	v_lshlrev_b64_e32 v[2:3], v2, v[16:17]
	v_dual_sub_nc_u32 v3, 29, v7 :: v_dual_bitop2_b32 v2, 7, v2 bitop3:0x40
; %bb.1343:                             ;   in Loop: Header=BB372_10 Depth=1
	s_or_b32 exec_lo, exec_lo, s18
	v_lshlrev_b32_e32 v6, 24, v6
	s_delay_alu instid0(VALU_DEP_2) | instskip(NEXT) | instid1(VALU_DEP_3)
	v_lshlrev_b32_e32 v2, 20, v2
	v_lshl_add_u32 v3, v3, 23, 0x3c000000
	s_delay_alu instid0(VALU_DEP_3) | instskip(NEXT) | instid1(VALU_DEP_1)
	v_and_b32_e32 v6, 0x80000000, v6
	v_or3_b32 v118, v2, v6, v3
.LBB372_1344:                           ;   in Loop: Header=BB372_10 Depth=1
	s_or_b32 exec_lo, exec_lo, s17
.LBB372_1345:                           ;   in Loop: Header=BB372_10 Depth=1
	s_delay_alu instid0(SALU_CYCLE_1)
	s_or_b32 exec_lo, exec_lo, s16
.LBB372_1346:                           ;   in Loop: Header=BB372_10 Depth=1
	s_delay_alu instid0(SALU_CYCLE_1)
	s_or_b32 exec_lo, exec_lo, s11
	v_cmp_lt_u64_e64 s1, s[2:3], v[0:1]
	v_dual_mov_b32 v0, 0 :: v_dual_mov_b32 v119, 0
	scratch_store_b32 off, v0, s32 offset:704 ; 4-byte Folded Spill
	s_wait_xcnt 0x0
	s_and_saveexec_b32 s11, s1
	s_cbranch_execz .LBB372_1354
; %bb.1347:                             ;   in Loop: Header=BB372_10 Depth=1
	v_lshrrev_b32_e32 v2, 24, v1
	v_bfrev_b32_e32 v119, 1
	s_mov_b32 s16, exec_lo
	s_delay_alu instid0(VALU_DEP_2)
	v_cmpx_ne_u32_e32 0x80, v2
	s_cbranch_execz .LBB372_1353
; %bb.1348:                             ;   in Loop: Header=BB372_10 Depth=1
	v_bfe_u32 v3, v1, 24, 7
	v_mov_b32_e32 v119, 0x7f800001
	s_mov_b32 s17, exec_lo
	s_delay_alu instid0(VALU_DEP_2)
	v_cmpx_ne_u32_e32 0x7f, v3
	s_cbranch_execz .LBB372_1352
; %bb.1349:                             ;   in Loop: Header=BB372_10 Depth=1
	v_and_b32_e32 v16, 7, v2
	s_mov_b32 s18, exec_lo
	s_delay_alu instid0(VALU_DEP_1)
	v_mov_b64_e32 v[0:1], v[16:17]
	v_lshrrev_b32_e32 v1, 3, v3
	v_cmpx_gt_u32_e32 8, v3
; %bb.1350:                             ;   in Loop: Header=BB372_10 Depth=1
	v_clz_i32_u32_e32 v0, v16
	s_delay_alu instid0(VALU_DEP_1) | instskip(NEXT) | instid1(VALU_DEP_1)
	v_min_u32_e32 v3, 32, v0
	v_subrev_nc_u32_e32 v0, 28, v3
	s_delay_alu instid0(VALU_DEP_1) | instskip(NEXT) | instid1(VALU_DEP_1)
	v_lshlrev_b64_e32 v[0:1], v0, v[16:17]
	v_dual_sub_nc_u32 v1, 29, v3 :: v_dual_bitop2_b32 v0, 7, v0 bitop3:0x40
; %bb.1351:                             ;   in Loop: Header=BB372_10 Depth=1
	s_or_b32 exec_lo, exec_lo, s18
	s_delay_alu instid0(VALU_DEP_1) | instskip(NEXT) | instid1(VALU_DEP_2)
	v_dual_lshlrev_b32 v2, 24, v2 :: v_dual_lshlrev_b32 v0, 20, v0
	v_lshl_add_u32 v1, v1, 23, 0x3c000000
	s_delay_alu instid0(VALU_DEP_2) | instskip(NEXT) | instid1(VALU_DEP_1)
	v_and_b32_e32 v2, 0x80000000, v2
	v_or3_b32 v119, v0, v2, v1
.LBB372_1352:                           ;   in Loop: Header=BB372_10 Depth=1
	s_or_b32 exec_lo, exec_lo, s17
.LBB372_1353:                           ;   in Loop: Header=BB372_10 Depth=1
	s_delay_alu instid0(SALU_CYCLE_1)
	s_or_b32 exec_lo, exec_lo, s16
.LBB372_1354:                           ;   in Loop: Header=BB372_10 Depth=1
	s_delay_alu instid0(SALU_CYCLE_1)
	s_or_b32 exec_lo, exec_lo, s11
	flat_load_b64 v[0:1], v[96:97] offset:5128
	s_mov_b32 s11, exec_lo
	s_wait_loadcnt_dscnt 0x0
	v_and_b32_e32 v2, 0xff, v0
	s_wait_xcnt 0x0
	s_delay_alu instid0(VALU_DEP_1)
	v_cmpx_ne_u16_e32 0, v2
	s_cbranch_execz .LBB372_1362
; %bb.1355:                             ;   in Loop: Header=BB372_10 Depth=1
	v_cmp_ne_u16_e64 s1, 0x80, v2
	v_bfrev_b32_e32 v2, 1
	scratch_store_b32 off, v2, s32 offset:704 ; 4-byte Folded Spill
	s_wait_xcnt 0x0
	s_and_saveexec_b32 s16, s1
	s_cbranch_execz .LBB372_1361
; %bb.1356:                             ;   in Loop: Header=BB372_10 Depth=1
	v_and_b32_e32 v2, 0x7f, v0
	v_mov_b32_e32 v3, 0x7f800001
	s_mov_b32 s17, exec_lo
	scratch_store_b32 off, v3, s32 offset:704 ; 4-byte Folded Spill
	s_wait_xcnt 0x0
	v_cmpx_ne_u32_e32 0x7f, v2
	s_cbranch_execz .LBB372_1360
; %bb.1357:                             ;   in Loop: Header=BB372_10 Depth=1
	v_lshrrev_b32_e32 v6, 3, v2
	v_cmp_gt_u32_e64 s1, 8, v2
	v_mov_b64_e32 v[2:3], v[0:1]
	s_and_saveexec_b32 s18, s1
; %bb.1358:                             ;   in Loop: Header=BB372_10 Depth=1
	v_and_b32_e32 v2, 7, v0
	s_delay_alu instid0(VALU_DEP_1) | instskip(NEXT) | instid1(VALU_DEP_1)
	v_clz_i32_u32_e32 v2, v2
	v_min_u32_e32 v6, 32, v2
	s_delay_alu instid0(VALU_DEP_1) | instskip(SKIP_1) | instid1(VALU_DEP_2)
	v_subrev_nc_u32_e32 v2, 28, v6
	v_sub_nc_u32_e32 v6, 29, v6
	v_lshlrev_b64_e32 v[2:3], v2, v[0:1]
; %bb.1359:                             ;   in Loop: Header=BB372_10 Depth=1
	s_or_b32 exec_lo, exec_lo, s18
	s_delay_alu instid0(VALU_DEP_1) | instskip(NEXT) | instid1(VALU_DEP_3)
	v_dual_lshlrev_b32 v2, 20, v2 :: v_dual_lshlrev_b32 v3, 24, v0
	v_lshl_add_u32 v6, v6, 23, 0x3c000000
	s_delay_alu instid0(VALU_DEP_2) | instskip(NEXT) | instid1(VALU_DEP_3)
	v_and_b32_e32 v2, 0x700000, v2
	v_and_b32_e32 v3, 0x80000000, v3
	s_delay_alu instid0(VALU_DEP_1)
	v_or3_b32 v2, v2, v3, v6
	scratch_store_b32 off, v2, s32 offset:704 ; 4-byte Folded Spill
.LBB372_1360:                           ;   in Loop: Header=BB372_10 Depth=1
	s_wait_xcnt 0x0
	s_or_b32 exec_lo, exec_lo, s17
.LBB372_1361:                           ;   in Loop: Header=BB372_10 Depth=1
	s_delay_alu instid0(SALU_CYCLE_1)
	s_or_b32 exec_lo, exec_lo, s16
.LBB372_1362:                           ;   in Loop: Header=BB372_10 Depth=1
	s_delay_alu instid0(SALU_CYCLE_1)
	s_or_b32 exec_lo, exec_lo, s11
	v_mov_b32_e32 v3, 0
	v_lshrrev_b16 v2, 8, v0
	s_mov_b32 s11, exec_lo
	scratch_store_b32 off, v3, s32 offset:708 ; 4-byte Folded Spill
	s_wait_xcnt 0x0
	v_mov_b32_e32 v3, 0
	scratch_store_b32 off, v3, s32 offset:712 ; 4-byte Folded Spill
	s_wait_xcnt 0x0
	v_cmpx_ne_u16_e32 0, v2
	s_cbranch_execz .LBB372_1370
; %bb.1363:                             ;   in Loop: Header=BB372_10 Depth=1
	v_bfrev_b32_e32 v3, 1
	s_mov_b32 s16, exec_lo
	scratch_store_b32 off, v3, s32 offset:712 ; 4-byte Folded Spill
	s_wait_xcnt 0x0
	v_cmpx_ne_u16_e32 0x80, v2
	s_cbranch_execz .LBB372_1369
; %bb.1364:                             ;   in Loop: Header=BB372_10 Depth=1
	v_and_b32_e32 v2, 0xffff, v2
	v_mov_b32_e32 v3, 0x7f800001
	s_mov_b32 s17, exec_lo
	s_delay_alu instid0(VALU_DEP_2)
	v_and_b32_e32 v6, 0x7f, v2
	scratch_store_b32 off, v3, s32 offset:712 ; 4-byte Folded Spill
	s_wait_xcnt 0x0
	v_cmpx_ne_u32_e32 0x7f, v6
	s_cbranch_execz .LBB372_1368
; %bb.1365:                             ;   in Loop: Header=BB372_10 Depth=1
	v_and_b32_e32 v16, 7, v2
	s_mov_b32 s18, exec_lo
	s_delay_alu instid0(VALU_DEP_1)
	v_mov_b64_e32 v[2:3], v[16:17]
	v_lshrrev_b32_e32 v3, 3, v6
	v_cmpx_gt_u32_e32 8, v6
; %bb.1366:                             ;   in Loop: Header=BB372_10 Depth=1
	v_clz_i32_u32_e32 v2, v16
	s_delay_alu instid0(VALU_DEP_1) | instskip(NEXT) | instid1(VALU_DEP_1)
	v_min_u32_e32 v6, 32, v2
	v_subrev_nc_u32_e32 v2, 28, v6
	s_delay_alu instid0(VALU_DEP_1) | instskip(SKIP_1) | instid1(VALU_DEP_2)
	v_lshlrev_b64_e32 v[2:3], v2, v[16:17]
	v_sub_nc_u32_e32 v3, 29, v6
	v_and_b32_e32 v2, 7, v2
; %bb.1367:                             ;   in Loop: Header=BB372_10 Depth=1
	s_or_b32 exec_lo, exec_lo, s18
	s_delay_alu instid0(VALU_DEP_1) | instskip(NEXT) | instid1(VALU_DEP_3)
	v_dual_lshlrev_b32 v6, 16, v0 :: v_dual_lshlrev_b32 v2, 20, v2
	v_lshl_add_u32 v3, v3, 23, 0x3c000000
	s_delay_alu instid0(VALU_DEP_2) | instskip(NEXT) | instid1(VALU_DEP_1)
	v_and_b32_e32 v6, 0x80000000, v6
	v_or3_b32 v2, v2, v6, v3
	scratch_store_b32 off, v2, s32 offset:712 ; 4-byte Folded Spill
.LBB372_1368:                           ;   in Loop: Header=BB372_10 Depth=1
	s_wait_xcnt 0x0
	s_or_b32 exec_lo, exec_lo, s17
.LBB372_1369:                           ;   in Loop: Header=BB372_10 Depth=1
	s_delay_alu instid0(SALU_CYCLE_1)
	s_or_b32 exec_lo, exec_lo, s16
.LBB372_1370:                           ;   in Loop: Header=BB372_10 Depth=1
	s_delay_alu instid0(SALU_CYCLE_1) | instskip(SKIP_2) | instid1(VALU_DEP_1)
	s_or_b32 exec_lo, exec_lo, s11
	v_lshrrev_b32_e32 v6, 16, v0
	s_mov_b32 s11, exec_lo
	v_and_b32_e32 v2, 0xff, v6
	s_delay_alu instid0(VALU_DEP_1)
	v_cmpx_ne_u16_e32 0, v2
	s_cbranch_execz .LBB372_1378
; %bb.1371:                             ;   in Loop: Header=BB372_10 Depth=1
	v_cmp_ne_u16_e64 s1, 0x80, v2
	v_bfrev_b32_e32 v2, 1
	scratch_store_b32 off, v2, s32 offset:708 ; 4-byte Folded Spill
	s_wait_xcnt 0x0
	s_and_saveexec_b32 s16, s1
	s_cbranch_execz .LBB372_1377
; %bb.1372:                             ;   in Loop: Header=BB372_10 Depth=1
	v_bfe_u32 v7, v0, 16, 7
	v_mov_b32_e32 v2, 0x7f800001
	s_mov_b32 s17, exec_lo
	scratch_store_b32 off, v2, s32 offset:708 ; 4-byte Folded Spill
	s_wait_xcnt 0x0
	v_cmpx_ne_u32_e32 0x7f, v7
	s_cbranch_execz .LBB372_1376
; %bb.1373:                             ;   in Loop: Header=BB372_10 Depth=1
	v_and_b32_e32 v16, 7, v6
	s_mov_b32 s18, exec_lo
	s_delay_alu instid0(VALU_DEP_1)
	v_mov_b64_e32 v[2:3], v[16:17]
	v_lshrrev_b32_e32 v3, 3, v7
	v_cmpx_gt_u32_e32 8, v7
; %bb.1374:                             ;   in Loop: Header=BB372_10 Depth=1
	v_clz_i32_u32_e32 v2, v16
	s_delay_alu instid0(VALU_DEP_1) | instskip(NEXT) | instid1(VALU_DEP_1)
	v_min_u32_e32 v7, 32, v2
	v_subrev_nc_u32_e32 v2, 28, v7
	s_delay_alu instid0(VALU_DEP_1) | instskip(NEXT) | instid1(VALU_DEP_1)
	v_lshlrev_b64_e32 v[2:3], v2, v[16:17]
	v_dual_sub_nc_u32 v3, 29, v7 :: v_dual_bitop2_b32 v2, 7, v2 bitop3:0x40
; %bb.1375:                             ;   in Loop: Header=BB372_10 Depth=1
	s_or_b32 exec_lo, exec_lo, s18
	v_lshlrev_b32_e32 v6, 24, v6
	s_delay_alu instid0(VALU_DEP_2) | instskip(NEXT) | instid1(VALU_DEP_3)
	v_lshlrev_b32_e32 v2, 20, v2
	v_lshl_add_u32 v3, v3, 23, 0x3c000000
	s_delay_alu instid0(VALU_DEP_3) | instskip(NEXT) | instid1(VALU_DEP_1)
	v_and_b32_e32 v6, 0x80000000, v6
	v_or3_b32 v2, v2, v6, v3
	scratch_store_b32 off, v2, s32 offset:708 ; 4-byte Folded Spill
.LBB372_1376:                           ;   in Loop: Header=BB372_10 Depth=1
	s_wait_xcnt 0x0
	s_or_b32 exec_lo, exec_lo, s17
.LBB372_1377:                           ;   in Loop: Header=BB372_10 Depth=1
	s_delay_alu instid0(SALU_CYCLE_1)
	s_or_b32 exec_lo, exec_lo, s16
.LBB372_1378:                           ;   in Loop: Header=BB372_10 Depth=1
	s_delay_alu instid0(SALU_CYCLE_1)
	s_or_b32 exec_lo, exec_lo, s11
	v_mov_b32_e32 v2, 0
	s_mov_b32 s11, exec_lo
	scratch_store_b32 off, v2, s32 offset:720 ; 4-byte Folded Spill
	s_wait_xcnt 0x0
	v_mov_b32_e32 v2, 0
	scratch_store_b32 off, v2, s32 offset:724 ; 4-byte Folded Spill
	s_wait_xcnt 0x0
	v_cmpx_lt_u32_e32 0xffffff, v0
	s_cbranch_execz .LBB372_1386
; %bb.1379:                             ;   in Loop: Header=BB372_10 Depth=1
	v_lshrrev_b32_e32 v6, 24, v0
	v_bfrev_b32_e32 v2, 1
	s_mov_b32 s16, exec_lo
	scratch_store_b32 off, v2, s32 offset:724 ; 4-byte Folded Spill
	s_wait_xcnt 0x0
	v_cmpx_ne_u32_e32 0x80, v6
	s_cbranch_execz .LBB372_1385
; %bb.1380:                             ;   in Loop: Header=BB372_10 Depth=1
	v_bfe_u32 v7, v0, 24, 7
	v_mov_b32_e32 v2, 0x7f800001
	s_mov_b32 s17, exec_lo
	scratch_store_b32 off, v2, s32 offset:724 ; 4-byte Folded Spill
	s_wait_xcnt 0x0
	v_cmpx_ne_u32_e32 0x7f, v7
	s_cbranch_execz .LBB372_1384
; %bb.1381:                             ;   in Loop: Header=BB372_10 Depth=1
	v_and_b32_e32 v16, 7, v6
	s_mov_b32 s18, exec_lo
	s_delay_alu instid0(VALU_DEP_1)
	v_mov_b64_e32 v[2:3], v[16:17]
	v_lshrrev_b32_e32 v3, 3, v7
	v_cmpx_gt_u32_e32 8, v7
; %bb.1382:                             ;   in Loop: Header=BB372_10 Depth=1
	v_clz_i32_u32_e32 v2, v16
	s_delay_alu instid0(VALU_DEP_1) | instskip(NEXT) | instid1(VALU_DEP_1)
	v_min_u32_e32 v7, 32, v2
	v_subrev_nc_u32_e32 v2, 28, v7
	s_delay_alu instid0(VALU_DEP_1) | instskip(NEXT) | instid1(VALU_DEP_1)
	v_lshlrev_b64_e32 v[2:3], v2, v[16:17]
	v_dual_sub_nc_u32 v3, 29, v7 :: v_dual_bitop2_b32 v2, 7, v2 bitop3:0x40
; %bb.1383:                             ;   in Loop: Header=BB372_10 Depth=1
	s_or_b32 exec_lo, exec_lo, s18
	v_lshlrev_b32_e32 v6, 24, v6
	s_delay_alu instid0(VALU_DEP_2) | instskip(NEXT) | instid1(VALU_DEP_3)
	v_lshlrev_b32_e32 v2, 20, v2
	v_lshl_add_u32 v3, v3, 23, 0x3c000000
	s_delay_alu instid0(VALU_DEP_3) | instskip(NEXT) | instid1(VALU_DEP_1)
	v_and_b32_e32 v6, 0x80000000, v6
	v_or3_b32 v2, v2, v6, v3
	scratch_store_b32 off, v2, s32 offset:724 ; 4-byte Folded Spill
.LBB372_1384:                           ;   in Loop: Header=BB372_10 Depth=1
	s_wait_xcnt 0x0
	s_or_b32 exec_lo, exec_lo, s17
.LBB372_1385:                           ;   in Loop: Header=BB372_10 Depth=1
	s_delay_alu instid0(SALU_CYCLE_1)
	s_or_b32 exec_lo, exec_lo, s16
.LBB372_1386:                           ;   in Loop: Header=BB372_10 Depth=1
	s_delay_alu instid0(SALU_CYCLE_1) | instskip(SKIP_3) | instid1(VALU_DEP_2)
	s_or_b32 exec_lo, exec_lo, s11
	v_and_b32_e32 v2, 0xff, v1
	v_mov_b32_e32 v16, v1
	s_mov_b32 s11, exec_lo
	v_cmpx_ne_u16_e32 0, v2
	s_cbranch_execz .LBB372_1394
; %bb.1387:                             ;   in Loop: Header=BB372_10 Depth=1
	v_cmp_ne_u16_e64 s1, 0x80, v2
	v_bfrev_b32_e32 v2, 1
	scratch_store_b32 off, v2, s32 offset:720 ; 4-byte Folded Spill
	s_wait_xcnt 0x0
	s_and_saveexec_b32 s16, s1
	s_cbranch_execz .LBB372_1393
; %bb.1388:                             ;   in Loop: Header=BB372_10 Depth=1
	v_and_b32_e32 v6, 0x7f, v1
	v_mov_b32_e32 v2, 0x7f800001
	s_mov_b32 s17, exec_lo
	scratch_store_b32 off, v2, s32 offset:720 ; 4-byte Folded Spill
	s_wait_xcnt 0x0
	v_cmpx_ne_u32_e32 0x7f, v6
	s_cbranch_execz .LBB372_1392
; %bb.1389:                             ;   in Loop: Header=BB372_10 Depth=1
	v_mov_b64_e32 v[2:3], v[16:17]
	v_lshrrev_b32_e32 v3, 3, v6
	s_mov_b32 s18, exec_lo
	v_cmpx_gt_u32_e32 8, v6
; %bb.1390:                             ;   in Loop: Header=BB372_10 Depth=1
	v_and_b32_e32 v2, 7, v1
	s_delay_alu instid0(VALU_DEP_1) | instskip(NEXT) | instid1(VALU_DEP_1)
	v_clz_i32_u32_e32 v2, v2
	v_min_u32_e32 v6, 32, v2
	s_delay_alu instid0(VALU_DEP_1) | instskip(NEXT) | instid1(VALU_DEP_1)
	v_subrev_nc_u32_e32 v2, 28, v6
	v_lshlrev_b64_e32 v[2:3], v2, v[16:17]
	v_sub_nc_u32_e32 v3, 29, v6
; %bb.1391:                             ;   in Loop: Header=BB372_10 Depth=1
	s_or_b32 exec_lo, exec_lo, s18
	s_delay_alu instid0(VALU_DEP_2) | instskip(NEXT) | instid1(VALU_DEP_2)
	v_dual_lshlrev_b32 v2, 20, v2 :: v_dual_lshlrev_b32 v6, 24, v16
	v_lshl_add_u32 v3, v3, 23, 0x3c000000
	s_delay_alu instid0(VALU_DEP_2) | instskip(NEXT) | instid1(VALU_DEP_3)
	v_and_b32_e32 v2, 0x700000, v2
	v_and_b32_e32 v6, 0x80000000, v6
	s_delay_alu instid0(VALU_DEP_1)
	v_or3_b32 v2, v2, v6, v3
	scratch_store_b32 off, v2, s32 offset:720 ; 4-byte Folded Spill
.LBB372_1392:                           ;   in Loop: Header=BB372_10 Depth=1
	s_wait_xcnt 0x0
	s_or_b32 exec_lo, exec_lo, s17
.LBB372_1393:                           ;   in Loop: Header=BB372_10 Depth=1
	s_delay_alu instid0(SALU_CYCLE_1)
	s_or_b32 exec_lo, exec_lo, s16
.LBB372_1394:                           ;   in Loop: Header=BB372_10 Depth=1
	s_delay_alu instid0(SALU_CYCLE_1)
	s_or_b32 exec_lo, exec_lo, s11
	v_mov_b32_e32 v3, 0
	v_lshrrev_b16 v2, 8, v16
	s_mov_b32 s11, exec_lo
	scratch_store_b32 off, v3, s32 offset:732 ; 4-byte Folded Spill
	s_wait_xcnt 0x0
	v_mov_b32_e32 v3, 0
	scratch_store_b32 off, v3, s32 offset:740 ; 4-byte Folded Spill
	s_wait_xcnt 0x0
	v_cmpx_ne_u16_e32 0, v2
	s_cbranch_execz .LBB372_1402
; %bb.1395:                             ;   in Loop: Header=BB372_10 Depth=1
	v_bfrev_b32_e32 v3, 1
	s_mov_b32 s16, exec_lo
	scratch_store_b32 off, v3, s32 offset:740 ; 4-byte Folded Spill
	s_wait_xcnt 0x0
	v_cmpx_ne_u16_e32 0x80, v2
	s_cbranch_execz .LBB372_1401
; %bb.1396:                             ;   in Loop: Header=BB372_10 Depth=1
	v_and_b32_e32 v2, 0xffff, v2
	v_mov_b32_e32 v3, 0x7f800001
	s_mov_b32 s17, exec_lo
	s_delay_alu instid0(VALU_DEP_2)
	v_and_b32_e32 v7, 0x7f, v2
	scratch_store_b32 off, v3, s32 offset:740 ; 4-byte Folded Spill
	s_wait_xcnt 0x0
	v_cmpx_ne_u32_e32 0x7f, v7
	s_cbranch_execz .LBB372_1400
; %bb.1397:                             ;   in Loop: Header=BB372_10 Depth=1
	v_dual_mov_b32 v3, v17 :: v_dual_bitop2_b32 v2, 7, v2 bitop3:0x40
	v_lshrrev_b32_e32 v6, 3, v7
	s_mov_b32 s18, exec_lo
	v_cmpx_gt_u32_e32 8, v7
; %bb.1398:                             ;   in Loop: Header=BB372_10 Depth=1
	s_delay_alu instid0(VALU_DEP_3) | instskip(NEXT) | instid1(VALU_DEP_1)
	v_clz_i32_u32_e32 v6, v2
	v_min_u32_e32 v6, 32, v6
	s_delay_alu instid0(VALU_DEP_1) | instskip(SKIP_1) | instid1(VALU_DEP_2)
	v_subrev_nc_u32_e32 v7, 28, v6
	v_sub_nc_u32_e32 v6, 29, v6
	v_lshlrev_b64_e32 v[2:3], v7, v[2:3]
	s_delay_alu instid0(VALU_DEP_1)
	v_and_b32_e32 v2, 7, v2
; %bb.1399:                             ;   in Loop: Header=BB372_10 Depth=1
	s_or_b32 exec_lo, exec_lo, s18
	s_delay_alu instid0(VALU_DEP_1) | instskip(SKIP_1) | instid1(VALU_DEP_2)
	v_dual_lshlrev_b32 v3, 16, v16 :: v_dual_lshlrev_b32 v2, 20, v2
	v_lshl_add_u32 v6, v6, 23, 0x3c000000
	v_and_b32_e32 v3, 0x80000000, v3
	s_delay_alu instid0(VALU_DEP_1)
	v_or3_b32 v2, v2, v3, v6
	scratch_store_b32 off, v2, s32 offset:740 ; 4-byte Folded Spill
.LBB372_1400:                           ;   in Loop: Header=BB372_10 Depth=1
	s_wait_xcnt 0x0
	s_or_b32 exec_lo, exec_lo, s17
.LBB372_1401:                           ;   in Loop: Header=BB372_10 Depth=1
	s_delay_alu instid0(SALU_CYCLE_1)
	s_or_b32 exec_lo, exec_lo, s16
.LBB372_1402:                           ;   in Loop: Header=BB372_10 Depth=1
	s_delay_alu instid0(SALU_CYCLE_1) | instskip(SKIP_2) | instid1(VALU_DEP_1)
	s_or_b32 exec_lo, exec_lo, s11
	v_lshrrev_b32_e32 v6, 16, v1
	s_mov_b32 s11, exec_lo
	v_and_b32_e32 v2, 0xff, v6
	s_delay_alu instid0(VALU_DEP_1)
	v_cmpx_ne_u16_e32 0, v2
	s_cbranch_execz .LBB372_1410
; %bb.1403:                             ;   in Loop: Header=BB372_10 Depth=1
	v_cmp_ne_u16_e64 s1, 0x80, v2
	v_bfrev_b32_e32 v2, 1
	scratch_store_b32 off, v2, s32 offset:732 ; 4-byte Folded Spill
	s_wait_xcnt 0x0
	s_and_saveexec_b32 s16, s1
	s_cbranch_execz .LBB372_1409
; %bb.1404:                             ;   in Loop: Header=BB372_10 Depth=1
	v_bfe_u32 v7, v1, 16, 7
	v_mov_b32_e32 v2, 0x7f800001
	s_mov_b32 s17, exec_lo
	scratch_store_b32 off, v2, s32 offset:732 ; 4-byte Folded Spill
	s_wait_xcnt 0x0
	v_cmpx_ne_u32_e32 0x7f, v7
	s_cbranch_execz .LBB372_1408
; %bb.1405:                             ;   in Loop: Header=BB372_10 Depth=1
	v_and_b32_e32 v16, 7, v6
	s_mov_b32 s18, exec_lo
	s_delay_alu instid0(VALU_DEP_1)
	v_mov_b64_e32 v[2:3], v[16:17]
	v_lshrrev_b32_e32 v3, 3, v7
	v_cmpx_gt_u32_e32 8, v7
; %bb.1406:                             ;   in Loop: Header=BB372_10 Depth=1
	v_clz_i32_u32_e32 v2, v16
	s_delay_alu instid0(VALU_DEP_1) | instskip(NEXT) | instid1(VALU_DEP_1)
	v_min_u32_e32 v7, 32, v2
	v_subrev_nc_u32_e32 v2, 28, v7
	s_delay_alu instid0(VALU_DEP_1) | instskip(NEXT) | instid1(VALU_DEP_1)
	v_lshlrev_b64_e32 v[2:3], v2, v[16:17]
	v_dual_sub_nc_u32 v3, 29, v7 :: v_dual_bitop2_b32 v2, 7, v2 bitop3:0x40
; %bb.1407:                             ;   in Loop: Header=BB372_10 Depth=1
	s_or_b32 exec_lo, exec_lo, s18
	v_lshlrev_b32_e32 v6, 24, v6
	s_delay_alu instid0(VALU_DEP_2) | instskip(NEXT) | instid1(VALU_DEP_3)
	v_lshlrev_b32_e32 v2, 20, v2
	v_lshl_add_u32 v3, v3, 23, 0x3c000000
	s_delay_alu instid0(VALU_DEP_3) | instskip(NEXT) | instid1(VALU_DEP_1)
	v_and_b32_e32 v6, 0x80000000, v6
	v_or3_b32 v2, v2, v6, v3
	scratch_store_b32 off, v2, s32 offset:732 ; 4-byte Folded Spill
.LBB372_1408:                           ;   in Loop: Header=BB372_10 Depth=1
	s_wait_xcnt 0x0
	s_or_b32 exec_lo, exec_lo, s17
.LBB372_1409:                           ;   in Loop: Header=BB372_10 Depth=1
	s_delay_alu instid0(SALU_CYCLE_1)
	s_or_b32 exec_lo, exec_lo, s16
.LBB372_1410:                           ;   in Loop: Header=BB372_10 Depth=1
	s_delay_alu instid0(SALU_CYCLE_1)
	s_or_b32 exec_lo, exec_lo, s11
	v_cmp_lt_u64_e64 s1, s[2:3], v[0:1]
	v_mov_b32_e32 v0, 0
	scratch_store_b32 off, v0, s32 offset:744 ; 4-byte Folded Spill
	s_wait_xcnt 0x0
	v_mov_b32_e32 v0, 0
	scratch_store_b32 off, v0, s32 offset:764 ; 4-byte Folded Spill
	s_wait_xcnt 0x0
	s_and_saveexec_b32 s11, s1
	s_cbranch_execz .LBB372_1418
; %bb.1411:                             ;   in Loop: Header=BB372_10 Depth=1
	v_lshrrev_b32_e32 v2, 24, v1
	v_bfrev_b32_e32 v0, 1
	s_mov_b32 s16, exec_lo
	scratch_store_b32 off, v0, s32 offset:764 ; 4-byte Folded Spill
	s_wait_xcnt 0x0
	v_cmpx_ne_u32_e32 0x80, v2
	s_cbranch_execz .LBB372_1417
; %bb.1412:                             ;   in Loop: Header=BB372_10 Depth=1
	v_bfe_u32 v3, v1, 24, 7
	v_mov_b32_e32 v0, 0x7f800001
	s_mov_b32 s17, exec_lo
	s_delay_alu instid0(VALU_DEP_2)
	v_cmpx_ne_u32_e32 0x7f, v3
	s_cbranch_execz .LBB372_1416
; %bb.1413:                             ;   in Loop: Header=BB372_10 Depth=1
	v_and_b32_e32 v16, 7, v2
	s_mov_b32 s18, exec_lo
	s_delay_alu instid0(VALU_DEP_1)
	v_mov_b64_e32 v[0:1], v[16:17]
	v_lshrrev_b32_e32 v1, 3, v3
	v_cmpx_gt_u32_e32 8, v3
; %bb.1414:                             ;   in Loop: Header=BB372_10 Depth=1
	v_clz_i32_u32_e32 v0, v16
	s_delay_alu instid0(VALU_DEP_1) | instskip(NEXT) | instid1(VALU_DEP_1)
	v_min_u32_e32 v3, 32, v0
	v_subrev_nc_u32_e32 v0, 28, v3
	s_delay_alu instid0(VALU_DEP_1) | instskip(NEXT) | instid1(VALU_DEP_1)
	v_lshlrev_b64_e32 v[0:1], v0, v[16:17]
	v_dual_sub_nc_u32 v1, 29, v3 :: v_dual_bitop2_b32 v0, 7, v0 bitop3:0x40
; %bb.1415:                             ;   in Loop: Header=BB372_10 Depth=1
	s_or_b32 exec_lo, exec_lo, s18
	s_delay_alu instid0(VALU_DEP_1) | instskip(NEXT) | instid1(VALU_DEP_2)
	v_dual_lshlrev_b32 v2, 24, v2 :: v_dual_lshlrev_b32 v0, 20, v0
	v_lshl_add_u32 v1, v1, 23, 0x3c000000
	s_delay_alu instid0(VALU_DEP_2) | instskip(NEXT) | instid1(VALU_DEP_1)
	v_and_b32_e32 v2, 0x80000000, v2
	v_or3_b32 v0, v0, v2, v1
.LBB372_1416:                           ;   in Loop: Header=BB372_10 Depth=1
	s_or_b32 exec_lo, exec_lo, s17
	scratch_store_b32 off, v0, s32 offset:764 ; 4-byte Folded Spill
.LBB372_1417:                           ;   in Loop: Header=BB372_10 Depth=1
	s_wait_xcnt 0x0
	s_or_b32 exec_lo, exec_lo, s16
.LBB372_1418:                           ;   in Loop: Header=BB372_10 Depth=1
	s_delay_alu instid0(SALU_CYCLE_1)
	s_or_b32 exec_lo, exec_lo, s11
	flat_load_b64 v[0:1], v[96:97] offset:5632
	s_mov_b32 s11, exec_lo
	s_wait_loadcnt_dscnt 0x0
	v_and_b32_e32 v2, 0xff, v0
	s_wait_xcnt 0x0
	s_delay_alu instid0(VALU_DEP_1)
	v_cmpx_ne_u16_e32 0, v2
	s_cbranch_execz .LBB372_1426
; %bb.1419:                             ;   in Loop: Header=BB372_10 Depth=1
	v_cmp_ne_u16_e64 s1, 0x80, v2
	v_bfrev_b32_e32 v2, 1
	scratch_store_b32 off, v2, s32 offset:744 ; 4-byte Folded Spill
	s_wait_xcnt 0x0
	s_and_saveexec_b32 s16, s1
	s_cbranch_execz .LBB372_1425
; %bb.1420:                             ;   in Loop: Header=BB372_10 Depth=1
	v_and_b32_e32 v2, 0x7f, v0
	v_mov_b32_e32 v3, 0x7f800001
	s_mov_b32 s17, exec_lo
	scratch_store_b32 off, v3, s32 offset:744 ; 4-byte Folded Spill
	s_wait_xcnt 0x0
	v_cmpx_ne_u32_e32 0x7f, v2
	s_cbranch_execz .LBB372_1424
; %bb.1421:                             ;   in Loop: Header=BB372_10 Depth=1
	v_lshrrev_b32_e32 v6, 3, v2
	v_cmp_gt_u32_e64 s1, 8, v2
	v_mov_b64_e32 v[2:3], v[0:1]
	s_and_saveexec_b32 s18, s1
; %bb.1422:                             ;   in Loop: Header=BB372_10 Depth=1
	v_and_b32_e32 v2, 7, v0
	s_delay_alu instid0(VALU_DEP_1) | instskip(NEXT) | instid1(VALU_DEP_1)
	v_clz_i32_u32_e32 v2, v2
	v_min_u32_e32 v6, 32, v2
	s_delay_alu instid0(VALU_DEP_1) | instskip(SKIP_1) | instid1(VALU_DEP_2)
	v_subrev_nc_u32_e32 v2, 28, v6
	v_sub_nc_u32_e32 v6, 29, v6
	v_lshlrev_b64_e32 v[2:3], v2, v[0:1]
; %bb.1423:                             ;   in Loop: Header=BB372_10 Depth=1
	s_or_b32 exec_lo, exec_lo, s18
	s_delay_alu instid0(VALU_DEP_1) | instskip(NEXT) | instid1(VALU_DEP_3)
	v_dual_lshlrev_b32 v2, 20, v2 :: v_dual_lshlrev_b32 v3, 24, v0
	v_lshl_add_u32 v6, v6, 23, 0x3c000000
	s_delay_alu instid0(VALU_DEP_2) | instskip(NEXT) | instid1(VALU_DEP_3)
	v_and_b32_e32 v2, 0x700000, v2
	v_and_b32_e32 v3, 0x80000000, v3
	s_delay_alu instid0(VALU_DEP_1)
	v_or3_b32 v2, v2, v3, v6
	scratch_store_b32 off, v2, s32 offset:744 ; 4-byte Folded Spill
.LBB372_1424:                           ;   in Loop: Header=BB372_10 Depth=1
	s_wait_xcnt 0x0
	s_or_b32 exec_lo, exec_lo, s17
.LBB372_1425:                           ;   in Loop: Header=BB372_10 Depth=1
	s_delay_alu instid0(SALU_CYCLE_1)
	s_or_b32 exec_lo, exec_lo, s16
.LBB372_1426:                           ;   in Loop: Header=BB372_10 Depth=1
	s_delay_alu instid0(SALU_CYCLE_1)
	s_or_b32 exec_lo, exec_lo, s11
	v_mov_b32_e32 v3, 0
	v_lshrrev_b16 v2, 8, v0
	s_mov_b32 s11, exec_lo
	scratch_store_b32 off, v3, s32 offset:748 ; 4-byte Folded Spill
	s_wait_xcnt 0x0
	v_mov_b32_e32 v3, 0
	scratch_store_b32 off, v3, s32 offset:752 ; 4-byte Folded Spill
	s_wait_xcnt 0x0
	v_cmpx_ne_u16_e32 0, v2
	s_cbranch_execz .LBB372_1434
; %bb.1427:                             ;   in Loop: Header=BB372_10 Depth=1
	v_bfrev_b32_e32 v3, 1
	s_mov_b32 s16, exec_lo
	scratch_store_b32 off, v3, s32 offset:752 ; 4-byte Folded Spill
	s_wait_xcnt 0x0
	v_cmpx_ne_u16_e32 0x80, v2
	s_cbranch_execz .LBB372_1433
; %bb.1428:                             ;   in Loop: Header=BB372_10 Depth=1
	v_and_b32_e32 v2, 0xffff, v2
	v_mov_b32_e32 v3, 0x7f800001
	s_mov_b32 s17, exec_lo
	s_delay_alu instid0(VALU_DEP_2)
	v_and_b32_e32 v6, 0x7f, v2
	scratch_store_b32 off, v3, s32 offset:752 ; 4-byte Folded Spill
	s_wait_xcnt 0x0
	v_cmpx_ne_u32_e32 0x7f, v6
	s_cbranch_execz .LBB372_1432
; %bb.1429:                             ;   in Loop: Header=BB372_10 Depth=1
	v_and_b32_e32 v16, 7, v2
	s_mov_b32 s18, exec_lo
	s_delay_alu instid0(VALU_DEP_1)
	v_mov_b64_e32 v[2:3], v[16:17]
	v_lshrrev_b32_e32 v3, 3, v6
	v_cmpx_gt_u32_e32 8, v6
; %bb.1430:                             ;   in Loop: Header=BB372_10 Depth=1
	v_clz_i32_u32_e32 v2, v16
	s_delay_alu instid0(VALU_DEP_1) | instskip(NEXT) | instid1(VALU_DEP_1)
	v_min_u32_e32 v6, 32, v2
	v_subrev_nc_u32_e32 v2, 28, v6
	s_delay_alu instid0(VALU_DEP_1) | instskip(SKIP_1) | instid1(VALU_DEP_2)
	v_lshlrev_b64_e32 v[2:3], v2, v[16:17]
	v_sub_nc_u32_e32 v3, 29, v6
	v_and_b32_e32 v2, 7, v2
; %bb.1431:                             ;   in Loop: Header=BB372_10 Depth=1
	s_or_b32 exec_lo, exec_lo, s18
	s_delay_alu instid0(VALU_DEP_1) | instskip(NEXT) | instid1(VALU_DEP_3)
	v_dual_lshlrev_b32 v6, 16, v0 :: v_dual_lshlrev_b32 v2, 20, v2
	v_lshl_add_u32 v3, v3, 23, 0x3c000000
	s_delay_alu instid0(VALU_DEP_2) | instskip(NEXT) | instid1(VALU_DEP_1)
	v_and_b32_e32 v6, 0x80000000, v6
	v_or3_b32 v2, v2, v6, v3
	scratch_store_b32 off, v2, s32 offset:752 ; 4-byte Folded Spill
.LBB372_1432:                           ;   in Loop: Header=BB372_10 Depth=1
	s_wait_xcnt 0x0
	s_or_b32 exec_lo, exec_lo, s17
.LBB372_1433:                           ;   in Loop: Header=BB372_10 Depth=1
	s_delay_alu instid0(SALU_CYCLE_1)
	s_or_b32 exec_lo, exec_lo, s16
.LBB372_1434:                           ;   in Loop: Header=BB372_10 Depth=1
	s_delay_alu instid0(SALU_CYCLE_1) | instskip(SKIP_2) | instid1(VALU_DEP_1)
	s_or_b32 exec_lo, exec_lo, s11
	v_lshrrev_b32_e32 v6, 16, v0
	s_mov_b32 s11, exec_lo
	v_and_b32_e32 v2, 0xff, v6
	s_delay_alu instid0(VALU_DEP_1)
	v_cmpx_ne_u16_e32 0, v2
	s_cbranch_execz .LBB372_1442
; %bb.1435:                             ;   in Loop: Header=BB372_10 Depth=1
	v_cmp_ne_u16_e64 s1, 0x80, v2
	v_bfrev_b32_e32 v2, 1
	scratch_store_b32 off, v2, s32 offset:748 ; 4-byte Folded Spill
	s_wait_xcnt 0x0
	s_and_saveexec_b32 s16, s1
	s_cbranch_execz .LBB372_1441
; %bb.1436:                             ;   in Loop: Header=BB372_10 Depth=1
	v_bfe_u32 v7, v0, 16, 7
	v_mov_b32_e32 v2, 0x7f800001
	s_mov_b32 s17, exec_lo
	scratch_store_b32 off, v2, s32 offset:748 ; 4-byte Folded Spill
	s_wait_xcnt 0x0
	v_cmpx_ne_u32_e32 0x7f, v7
	s_cbranch_execz .LBB372_1440
; %bb.1437:                             ;   in Loop: Header=BB372_10 Depth=1
	v_and_b32_e32 v16, 7, v6
	s_mov_b32 s18, exec_lo
	s_delay_alu instid0(VALU_DEP_1)
	v_mov_b64_e32 v[2:3], v[16:17]
	v_lshrrev_b32_e32 v3, 3, v7
	v_cmpx_gt_u32_e32 8, v7
; %bb.1438:                             ;   in Loop: Header=BB372_10 Depth=1
	v_clz_i32_u32_e32 v2, v16
	s_delay_alu instid0(VALU_DEP_1) | instskip(NEXT) | instid1(VALU_DEP_1)
	v_min_u32_e32 v7, 32, v2
	v_subrev_nc_u32_e32 v2, 28, v7
	s_delay_alu instid0(VALU_DEP_1) | instskip(NEXT) | instid1(VALU_DEP_1)
	v_lshlrev_b64_e32 v[2:3], v2, v[16:17]
	v_dual_sub_nc_u32 v3, 29, v7 :: v_dual_bitop2_b32 v2, 7, v2 bitop3:0x40
; %bb.1439:                             ;   in Loop: Header=BB372_10 Depth=1
	s_or_b32 exec_lo, exec_lo, s18
	v_lshlrev_b32_e32 v6, 24, v6
	s_delay_alu instid0(VALU_DEP_2) | instskip(NEXT) | instid1(VALU_DEP_3)
	v_lshlrev_b32_e32 v2, 20, v2
	v_lshl_add_u32 v3, v3, 23, 0x3c000000
	s_delay_alu instid0(VALU_DEP_3) | instskip(NEXT) | instid1(VALU_DEP_1)
	v_and_b32_e32 v6, 0x80000000, v6
	v_or3_b32 v2, v2, v6, v3
	scratch_store_b32 off, v2, s32 offset:748 ; 4-byte Folded Spill
.LBB372_1440:                           ;   in Loop: Header=BB372_10 Depth=1
	s_wait_xcnt 0x0
	s_or_b32 exec_lo, exec_lo, s17
.LBB372_1441:                           ;   in Loop: Header=BB372_10 Depth=1
	s_delay_alu instid0(SALU_CYCLE_1)
	s_or_b32 exec_lo, exec_lo, s16
.LBB372_1442:                           ;   in Loop: Header=BB372_10 Depth=1
	s_delay_alu instid0(SALU_CYCLE_1)
	s_or_b32 exec_lo, exec_lo, s11
	v_dual_mov_b32 v73, 0 :: v_dual_mov_b32 v47, 0
	s_mov_b32 s11, exec_lo
	v_cmpx_lt_u32_e32 0xffffff, v0
	s_cbranch_execz .LBB372_1450
; %bb.1443:                             ;   in Loop: Header=BB372_10 Depth=1
	v_lshrrev_b32_e32 v6, 24, v0
	v_bfrev_b32_e32 v47, 1
	s_mov_b32 s16, exec_lo
	s_delay_alu instid0(VALU_DEP_2)
	v_cmpx_ne_u32_e32 0x80, v6
	s_cbranch_execz .LBB372_1449
; %bb.1444:                             ;   in Loop: Header=BB372_10 Depth=1
	v_bfe_u32 v7, v0, 24, 7
	v_mov_b32_e32 v47, 0x7f800001
	s_mov_b32 s17, exec_lo
	s_delay_alu instid0(VALU_DEP_2)
	v_cmpx_ne_u32_e32 0x7f, v7
	s_cbranch_execz .LBB372_1448
; %bb.1445:                             ;   in Loop: Header=BB372_10 Depth=1
	v_and_b32_e32 v16, 7, v6
	s_mov_b32 s18, exec_lo
	s_delay_alu instid0(VALU_DEP_1)
	v_mov_b64_e32 v[2:3], v[16:17]
	v_lshrrev_b32_e32 v3, 3, v7
	v_cmpx_gt_u32_e32 8, v7
; %bb.1446:                             ;   in Loop: Header=BB372_10 Depth=1
	v_clz_i32_u32_e32 v2, v16
	s_delay_alu instid0(VALU_DEP_1) | instskip(NEXT) | instid1(VALU_DEP_1)
	v_min_u32_e32 v7, 32, v2
	v_subrev_nc_u32_e32 v2, 28, v7
	s_delay_alu instid0(VALU_DEP_1) | instskip(NEXT) | instid1(VALU_DEP_1)
	v_lshlrev_b64_e32 v[2:3], v2, v[16:17]
	v_dual_sub_nc_u32 v3, 29, v7 :: v_dual_bitop2_b32 v2, 7, v2 bitop3:0x40
; %bb.1447:                             ;   in Loop: Header=BB372_10 Depth=1
	s_or_b32 exec_lo, exec_lo, s18
	v_lshlrev_b32_e32 v6, 24, v6
	s_delay_alu instid0(VALU_DEP_2) | instskip(NEXT) | instid1(VALU_DEP_3)
	v_lshlrev_b32_e32 v2, 20, v2
	v_lshl_add_u32 v3, v3, 23, 0x3c000000
	s_delay_alu instid0(VALU_DEP_3) | instskip(NEXT) | instid1(VALU_DEP_1)
	v_and_b32_e32 v6, 0x80000000, v6
	v_or3_b32 v47, v2, v6, v3
.LBB372_1448:                           ;   in Loop: Header=BB372_10 Depth=1
	s_or_b32 exec_lo, exec_lo, s17
.LBB372_1449:                           ;   in Loop: Header=BB372_10 Depth=1
	s_delay_alu instid0(SALU_CYCLE_1)
	s_or_b32 exec_lo, exec_lo, s16
.LBB372_1450:                           ;   in Loop: Header=BB372_10 Depth=1
	s_delay_alu instid0(SALU_CYCLE_1) | instskip(SKIP_3) | instid1(VALU_DEP_2)
	s_or_b32 exec_lo, exec_lo, s11
	v_and_b32_e32 v2, 0xff, v1
	v_mov_b32_e32 v16, v1
	s_mov_b32 s11, exec_lo
	v_cmpx_ne_u16_e32 0, v2
	s_cbranch_execz .LBB372_1458
; %bb.1451:                             ;   in Loop: Header=BB372_10 Depth=1
	v_bfrev_b32_e32 v73, 1
	s_mov_b32 s16, exec_lo
	v_cmpx_ne_u16_e32 0x80, v2
	s_cbranch_execz .LBB372_1457
; %bb.1452:                             ;   in Loop: Header=BB372_10 Depth=1
	v_and_b32_e32 v6, 0x7f, v1
	v_mov_b32_e32 v73, 0x7f800001
	s_mov_b32 s17, exec_lo
	s_delay_alu instid0(VALU_DEP_2)
	v_cmpx_ne_u32_e32 0x7f, v6
	s_cbranch_execz .LBB372_1456
; %bb.1453:                             ;   in Loop: Header=BB372_10 Depth=1
	v_mov_b64_e32 v[2:3], v[16:17]
	v_lshrrev_b32_e32 v3, 3, v6
	s_mov_b32 s18, exec_lo
	v_cmpx_gt_u32_e32 8, v6
; %bb.1454:                             ;   in Loop: Header=BB372_10 Depth=1
	v_and_b32_e32 v2, 7, v1
	s_delay_alu instid0(VALU_DEP_1) | instskip(NEXT) | instid1(VALU_DEP_1)
	v_clz_i32_u32_e32 v2, v2
	v_min_u32_e32 v6, 32, v2
	s_delay_alu instid0(VALU_DEP_1) | instskip(NEXT) | instid1(VALU_DEP_1)
	v_subrev_nc_u32_e32 v2, 28, v6
	v_lshlrev_b64_e32 v[2:3], v2, v[16:17]
	v_sub_nc_u32_e32 v3, 29, v6
; %bb.1455:                             ;   in Loop: Header=BB372_10 Depth=1
	s_or_b32 exec_lo, exec_lo, s18
	s_delay_alu instid0(VALU_DEP_2) | instskip(NEXT) | instid1(VALU_DEP_2)
	v_dual_lshlrev_b32 v2, 20, v2 :: v_dual_lshlrev_b32 v6, 24, v16
	v_lshl_add_u32 v3, v3, 23, 0x3c000000
	s_delay_alu instid0(VALU_DEP_2) | instskip(NEXT) | instid1(VALU_DEP_3)
	v_and_b32_e32 v2, 0x700000, v2
	v_and_b32_e32 v6, 0x80000000, v6
	s_delay_alu instid0(VALU_DEP_1)
	v_or3_b32 v73, v2, v6, v3
.LBB372_1456:                           ;   in Loop: Header=BB372_10 Depth=1
	s_or_b32 exec_lo, exec_lo, s17
.LBB372_1457:                           ;   in Loop: Header=BB372_10 Depth=1
	s_delay_alu instid0(SALU_CYCLE_1)
	s_or_b32 exec_lo, exec_lo, s16
.LBB372_1458:                           ;   in Loop: Header=BB372_10 Depth=1
	s_delay_alu instid0(SALU_CYCLE_1) | instskip(SKIP_3) | instid1(VALU_DEP_2)
	s_or_b32 exec_lo, exec_lo, s11
	v_lshrrev_b16 v2, 8, v16
	v_dual_mov_b32 v57, 0 :: v_dual_mov_b32 v44, 0
	s_mov_b32 s11, exec_lo
	v_cmpx_ne_u16_e32 0, v2
	s_cbranch_execz .LBB372_1466
; %bb.1459:                             ;   in Loop: Header=BB372_10 Depth=1
	v_bfrev_b32_e32 v44, 1
	s_mov_b32 s16, exec_lo
	v_cmpx_ne_u16_e32 0x80, v2
	s_cbranch_execz .LBB372_1465
; %bb.1460:                             ;   in Loop: Header=BB372_10 Depth=1
	v_and_b32_e32 v2, 0xffff, v2
	v_mov_b32_e32 v44, 0x7f800001
	s_mov_b32 s17, exec_lo
	s_delay_alu instid0(VALU_DEP_2) | instskip(NEXT) | instid1(VALU_DEP_1)
	v_and_b32_e32 v7, 0x7f, v2
	v_cmpx_ne_u32_e32 0x7f, v7
	s_cbranch_execz .LBB372_1464
; %bb.1461:                             ;   in Loop: Header=BB372_10 Depth=1
	v_dual_mov_b32 v3, v17 :: v_dual_bitop2_b32 v2, 7, v2 bitop3:0x40
	v_lshrrev_b32_e32 v6, 3, v7
	s_mov_b32 s18, exec_lo
	v_cmpx_gt_u32_e32 8, v7
; %bb.1462:                             ;   in Loop: Header=BB372_10 Depth=1
	s_delay_alu instid0(VALU_DEP_3) | instskip(NEXT) | instid1(VALU_DEP_1)
	v_clz_i32_u32_e32 v6, v2
	v_min_u32_e32 v6, 32, v6
	s_delay_alu instid0(VALU_DEP_1) | instskip(SKIP_1) | instid1(VALU_DEP_2)
	v_subrev_nc_u32_e32 v7, 28, v6
	v_sub_nc_u32_e32 v6, 29, v6
	v_lshlrev_b64_e32 v[2:3], v7, v[2:3]
	s_delay_alu instid0(VALU_DEP_1)
	v_and_b32_e32 v2, 7, v2
; %bb.1463:                             ;   in Loop: Header=BB372_10 Depth=1
	s_or_b32 exec_lo, exec_lo, s18
	s_delay_alu instid0(VALU_DEP_1) | instskip(SKIP_1) | instid1(VALU_DEP_2)
	v_dual_lshlrev_b32 v3, 16, v16 :: v_dual_lshlrev_b32 v2, 20, v2
	v_lshl_add_u32 v6, v6, 23, 0x3c000000
	v_and_b32_e32 v3, 0x80000000, v3
	s_delay_alu instid0(VALU_DEP_1)
	v_or3_b32 v44, v2, v3, v6
.LBB372_1464:                           ;   in Loop: Header=BB372_10 Depth=1
	s_or_b32 exec_lo, exec_lo, s17
.LBB372_1465:                           ;   in Loop: Header=BB372_10 Depth=1
	s_delay_alu instid0(SALU_CYCLE_1)
	s_or_b32 exec_lo, exec_lo, s16
.LBB372_1466:                           ;   in Loop: Header=BB372_10 Depth=1
	s_delay_alu instid0(SALU_CYCLE_1) | instskip(SKIP_2) | instid1(VALU_DEP_1)
	s_or_b32 exec_lo, exec_lo, s11
	v_lshrrev_b32_e32 v6, 16, v1
	s_mov_b32 s11, exec_lo
	v_and_b32_e32 v2, 0xff, v6
	s_delay_alu instid0(VALU_DEP_1)
	v_cmpx_ne_u16_e32 0, v2
	s_cbranch_execz .LBB372_1474
; %bb.1467:                             ;   in Loop: Header=BB372_10 Depth=1
	v_bfrev_b32_e32 v57, 1
	s_mov_b32 s16, exec_lo
	v_cmpx_ne_u16_e32 0x80, v2
	s_cbranch_execz .LBB372_1473
; %bb.1468:                             ;   in Loop: Header=BB372_10 Depth=1
	v_bfe_u32 v7, v1, 16, 7
	v_mov_b32_e32 v57, 0x7f800001
	s_mov_b32 s17, exec_lo
	s_delay_alu instid0(VALU_DEP_2)
	v_cmpx_ne_u32_e32 0x7f, v7
	s_cbranch_execz .LBB372_1472
; %bb.1469:                             ;   in Loop: Header=BB372_10 Depth=1
	v_and_b32_e32 v16, 7, v6
	s_mov_b32 s18, exec_lo
	s_delay_alu instid0(VALU_DEP_1)
	v_mov_b64_e32 v[2:3], v[16:17]
	v_lshrrev_b32_e32 v3, 3, v7
	v_cmpx_gt_u32_e32 8, v7
; %bb.1470:                             ;   in Loop: Header=BB372_10 Depth=1
	v_clz_i32_u32_e32 v2, v16
	s_delay_alu instid0(VALU_DEP_1) | instskip(NEXT) | instid1(VALU_DEP_1)
	v_min_u32_e32 v7, 32, v2
	v_subrev_nc_u32_e32 v2, 28, v7
	s_delay_alu instid0(VALU_DEP_1) | instskip(NEXT) | instid1(VALU_DEP_1)
	v_lshlrev_b64_e32 v[2:3], v2, v[16:17]
	v_dual_sub_nc_u32 v3, 29, v7 :: v_dual_bitop2_b32 v2, 7, v2 bitop3:0x40
; %bb.1471:                             ;   in Loop: Header=BB372_10 Depth=1
	s_or_b32 exec_lo, exec_lo, s18
	v_lshlrev_b32_e32 v6, 24, v6
	s_delay_alu instid0(VALU_DEP_2) | instskip(NEXT) | instid1(VALU_DEP_3)
	v_lshlrev_b32_e32 v2, 20, v2
	v_lshl_add_u32 v3, v3, 23, 0x3c000000
	s_delay_alu instid0(VALU_DEP_3) | instskip(NEXT) | instid1(VALU_DEP_1)
	v_and_b32_e32 v6, 0x80000000, v6
	v_or3_b32 v57, v2, v6, v3
.LBB372_1472:                           ;   in Loop: Header=BB372_10 Depth=1
	s_or_b32 exec_lo, exec_lo, s17
.LBB372_1473:                           ;   in Loop: Header=BB372_10 Depth=1
	s_delay_alu instid0(SALU_CYCLE_1)
	s_or_b32 exec_lo, exec_lo, s16
.LBB372_1474:                           ;   in Loop: Header=BB372_10 Depth=1
	s_delay_alu instid0(SALU_CYCLE_1)
	s_or_b32 exec_lo, exec_lo, s11
	v_dual_mov_b32 v10, 0 :: v_dual_mov_b32 v61, 0
	s_mov_b32 s11, exec_lo
	v_cmpx_lt_u64_e64 s[2:3], v[0:1]
	s_cbranch_execz .LBB372_1482
; %bb.1475:                             ;   in Loop: Header=BB372_10 Depth=1
	v_lshrrev_b32_e32 v2, 24, v1
	v_bfrev_b32_e32 v61, 1
	s_mov_b32 s16, exec_lo
	s_delay_alu instid0(VALU_DEP_2)
	v_cmpx_ne_u32_e32 0x80, v2
	s_cbranch_execz .LBB372_1481
; %bb.1476:                             ;   in Loop: Header=BB372_10 Depth=1
	v_bfe_u32 v3, v1, 24, 7
	v_mov_b32_e32 v61, 0x7f800001
	s_mov_b32 s17, exec_lo
	s_delay_alu instid0(VALU_DEP_2)
	v_cmpx_ne_u32_e32 0x7f, v3
	s_cbranch_execz .LBB372_1480
; %bb.1477:                             ;   in Loop: Header=BB372_10 Depth=1
	v_and_b32_e32 v16, 7, v2
	s_mov_b32 s18, exec_lo
	s_delay_alu instid0(VALU_DEP_1)
	v_mov_b64_e32 v[0:1], v[16:17]
	v_lshrrev_b32_e32 v1, 3, v3
	v_cmpx_gt_u32_e32 8, v3
; %bb.1478:                             ;   in Loop: Header=BB372_10 Depth=1
	v_clz_i32_u32_e32 v0, v16
	s_delay_alu instid0(VALU_DEP_1) | instskip(NEXT) | instid1(VALU_DEP_1)
	v_min_u32_e32 v3, 32, v0
	v_subrev_nc_u32_e32 v0, 28, v3
	s_delay_alu instid0(VALU_DEP_1) | instskip(NEXT) | instid1(VALU_DEP_1)
	v_lshlrev_b64_e32 v[0:1], v0, v[16:17]
	v_dual_sub_nc_u32 v1, 29, v3 :: v_dual_bitop2_b32 v0, 7, v0 bitop3:0x40
; %bb.1479:                             ;   in Loop: Header=BB372_10 Depth=1
	s_or_b32 exec_lo, exec_lo, s18
	s_delay_alu instid0(VALU_DEP_1) | instskip(NEXT) | instid1(VALU_DEP_2)
	v_dual_lshlrev_b32 v2, 24, v2 :: v_dual_lshlrev_b32 v0, 20, v0
	v_lshl_add_u32 v1, v1, 23, 0x3c000000
	s_delay_alu instid0(VALU_DEP_2) | instskip(NEXT) | instid1(VALU_DEP_1)
	v_and_b32_e32 v2, 0x80000000, v2
	v_or3_b32 v61, v0, v2, v1
.LBB372_1480:                           ;   in Loop: Header=BB372_10 Depth=1
	s_or_b32 exec_lo, exec_lo, s17
.LBB372_1481:                           ;   in Loop: Header=BB372_10 Depth=1
	s_delay_alu instid0(SALU_CYCLE_1)
	s_or_b32 exec_lo, exec_lo, s16
.LBB372_1482:                           ;   in Loop: Header=BB372_10 Depth=1
	s_delay_alu instid0(SALU_CYCLE_1)
	s_or_b32 exec_lo, exec_lo, s11
	flat_load_b64 v[0:1], v[96:97] offset:5640
	s_mov_b32 s11, exec_lo
	s_wait_loadcnt_dscnt 0x0
	v_and_b32_e32 v2, 0xff, v0
	s_wait_xcnt 0x0
	s_delay_alu instid0(VALU_DEP_1)
	v_cmpx_ne_u16_e32 0, v2
	s_cbranch_execz .LBB372_1490
; %bb.1483:                             ;   in Loop: Header=BB372_10 Depth=1
	v_bfrev_b32_e32 v10, 1
	s_mov_b32 s16, exec_lo
	v_cmpx_ne_u16_e32 0x80, v2
	s_cbranch_execz .LBB372_1489
; %bb.1484:                             ;   in Loop: Header=BB372_10 Depth=1
	v_and_b32_e32 v2, 0x7f, v0
	v_mov_b32_e32 v10, 0x7f800001
	s_mov_b32 s17, exec_lo
	s_delay_alu instid0(VALU_DEP_2)
	v_cmpx_ne_u32_e32 0x7f, v2
	s_cbranch_execz .LBB372_1488
; %bb.1485:                             ;   in Loop: Header=BB372_10 Depth=1
	v_lshrrev_b32_e32 v6, 3, v2
	v_cmp_gt_u32_e64 s1, 8, v2
	v_mov_b64_e32 v[2:3], v[0:1]
	s_and_saveexec_b32 s18, s1
; %bb.1486:                             ;   in Loop: Header=BB372_10 Depth=1
	v_and_b32_e32 v2, 7, v0
	s_delay_alu instid0(VALU_DEP_1) | instskip(NEXT) | instid1(VALU_DEP_1)
	v_clz_i32_u32_e32 v2, v2
	v_min_u32_e32 v6, 32, v2
	s_delay_alu instid0(VALU_DEP_1) | instskip(SKIP_1) | instid1(VALU_DEP_2)
	v_subrev_nc_u32_e32 v2, 28, v6
	v_sub_nc_u32_e32 v6, 29, v6
	v_lshlrev_b64_e32 v[2:3], v2, v[0:1]
; %bb.1487:                             ;   in Loop: Header=BB372_10 Depth=1
	s_or_b32 exec_lo, exec_lo, s18
	s_delay_alu instid0(VALU_DEP_1) | instskip(NEXT) | instid1(VALU_DEP_3)
	v_dual_lshlrev_b32 v2, 20, v2 :: v_dual_lshlrev_b32 v3, 24, v0
	v_lshl_add_u32 v6, v6, 23, 0x3c000000
	s_delay_alu instid0(VALU_DEP_2) | instskip(NEXT) | instid1(VALU_DEP_3)
	v_and_b32_e32 v2, 0x700000, v2
	v_and_b32_e32 v3, 0x80000000, v3
	s_delay_alu instid0(VALU_DEP_1)
	v_or3_b32 v10, v2, v3, v6
.LBB372_1488:                           ;   in Loop: Header=BB372_10 Depth=1
	s_or_b32 exec_lo, exec_lo, s17
.LBB372_1489:                           ;   in Loop: Header=BB372_10 Depth=1
	s_delay_alu instid0(SALU_CYCLE_1)
	s_or_b32 exec_lo, exec_lo, s16
.LBB372_1490:                           ;   in Loop: Header=BB372_10 Depth=1
	s_delay_alu instid0(SALU_CYCLE_1) | instskip(SKIP_3) | instid1(VALU_DEP_2)
	s_or_b32 exec_lo, exec_lo, s11
	v_lshrrev_b16 v2, 8, v0
	v_dual_mov_b32 v42, 0 :: v_dual_mov_b32 v11, 0
	s_mov_b32 s11, exec_lo
	v_cmpx_ne_u16_e32 0, v2
	s_cbranch_execz .LBB372_1498
; %bb.1491:                             ;   in Loop: Header=BB372_10 Depth=1
	v_bfrev_b32_e32 v11, 1
	s_mov_b32 s16, exec_lo
	v_cmpx_ne_u16_e32 0x80, v2
	s_cbranch_execz .LBB372_1497
; %bb.1492:                             ;   in Loop: Header=BB372_10 Depth=1
	v_and_b32_e32 v2, 0xffff, v2
	v_mov_b32_e32 v11, 0x7f800001
	s_mov_b32 s17, exec_lo
	s_delay_alu instid0(VALU_DEP_2) | instskip(NEXT) | instid1(VALU_DEP_1)
	v_and_b32_e32 v6, 0x7f, v2
	v_cmpx_ne_u32_e32 0x7f, v6
	s_cbranch_execz .LBB372_1496
; %bb.1493:                             ;   in Loop: Header=BB372_10 Depth=1
	v_and_b32_e32 v16, 7, v2
	s_mov_b32 s18, exec_lo
	s_delay_alu instid0(VALU_DEP_1)
	v_mov_b64_e32 v[2:3], v[16:17]
	v_lshrrev_b32_e32 v3, 3, v6
	v_cmpx_gt_u32_e32 8, v6
; %bb.1494:                             ;   in Loop: Header=BB372_10 Depth=1
	v_clz_i32_u32_e32 v2, v16
	s_delay_alu instid0(VALU_DEP_1) | instskip(NEXT) | instid1(VALU_DEP_1)
	v_min_u32_e32 v6, 32, v2
	v_subrev_nc_u32_e32 v2, 28, v6
	s_delay_alu instid0(VALU_DEP_1) | instskip(SKIP_1) | instid1(VALU_DEP_2)
	v_lshlrev_b64_e32 v[2:3], v2, v[16:17]
	v_sub_nc_u32_e32 v3, 29, v6
	v_and_b32_e32 v2, 7, v2
; %bb.1495:                             ;   in Loop: Header=BB372_10 Depth=1
	s_or_b32 exec_lo, exec_lo, s18
	s_delay_alu instid0(VALU_DEP_1) | instskip(NEXT) | instid1(VALU_DEP_3)
	v_dual_lshlrev_b32 v6, 16, v0 :: v_dual_lshlrev_b32 v2, 20, v2
	v_lshl_add_u32 v3, v3, 23, 0x3c000000
	s_delay_alu instid0(VALU_DEP_2) | instskip(NEXT) | instid1(VALU_DEP_1)
	v_and_b32_e32 v6, 0x80000000, v6
	v_or3_b32 v11, v2, v6, v3
.LBB372_1496:                           ;   in Loop: Header=BB372_10 Depth=1
	s_or_b32 exec_lo, exec_lo, s17
.LBB372_1497:                           ;   in Loop: Header=BB372_10 Depth=1
	s_delay_alu instid0(SALU_CYCLE_1)
	s_or_b32 exec_lo, exec_lo, s16
.LBB372_1498:                           ;   in Loop: Header=BB372_10 Depth=1
	s_delay_alu instid0(SALU_CYCLE_1) | instskip(SKIP_2) | instid1(VALU_DEP_1)
	s_or_b32 exec_lo, exec_lo, s11
	v_lshrrev_b32_e32 v6, 16, v0
	s_mov_b32 s11, exec_lo
	v_and_b32_e32 v2, 0xff, v6
	s_delay_alu instid0(VALU_DEP_1)
	v_cmpx_ne_u16_e32 0, v2
	s_cbranch_execz .LBB372_1506
; %bb.1499:                             ;   in Loop: Header=BB372_10 Depth=1
	v_bfrev_b32_e32 v42, 1
	s_mov_b32 s16, exec_lo
	v_cmpx_ne_u16_e32 0x80, v2
	s_cbranch_execz .LBB372_1505
; %bb.1500:                             ;   in Loop: Header=BB372_10 Depth=1
	v_bfe_u32 v7, v0, 16, 7
	v_mov_b32_e32 v42, 0x7f800001
	s_mov_b32 s17, exec_lo
	s_delay_alu instid0(VALU_DEP_2)
	v_cmpx_ne_u32_e32 0x7f, v7
	s_cbranch_execz .LBB372_1504
; %bb.1501:                             ;   in Loop: Header=BB372_10 Depth=1
	v_and_b32_e32 v16, 7, v6
	s_mov_b32 s18, exec_lo
	s_delay_alu instid0(VALU_DEP_1)
	v_mov_b64_e32 v[2:3], v[16:17]
	v_lshrrev_b32_e32 v3, 3, v7
	v_cmpx_gt_u32_e32 8, v7
; %bb.1502:                             ;   in Loop: Header=BB372_10 Depth=1
	v_clz_i32_u32_e32 v2, v16
	s_delay_alu instid0(VALU_DEP_1) | instskip(NEXT) | instid1(VALU_DEP_1)
	v_min_u32_e32 v7, 32, v2
	v_subrev_nc_u32_e32 v2, 28, v7
	s_delay_alu instid0(VALU_DEP_1) | instskip(NEXT) | instid1(VALU_DEP_1)
	v_lshlrev_b64_e32 v[2:3], v2, v[16:17]
	v_dual_sub_nc_u32 v3, 29, v7 :: v_dual_bitop2_b32 v2, 7, v2 bitop3:0x40
; %bb.1503:                             ;   in Loop: Header=BB372_10 Depth=1
	s_or_b32 exec_lo, exec_lo, s18
	v_lshlrev_b32_e32 v6, 24, v6
	s_delay_alu instid0(VALU_DEP_2) | instskip(NEXT) | instid1(VALU_DEP_3)
	v_lshlrev_b32_e32 v2, 20, v2
	v_lshl_add_u32 v3, v3, 23, 0x3c000000
	s_delay_alu instid0(VALU_DEP_3) | instskip(NEXT) | instid1(VALU_DEP_1)
	v_and_b32_e32 v6, 0x80000000, v6
	v_or3_b32 v42, v2, v6, v3
.LBB372_1504:                           ;   in Loop: Header=BB372_10 Depth=1
	s_or_b32 exec_lo, exec_lo, s17
.LBB372_1505:                           ;   in Loop: Header=BB372_10 Depth=1
	s_delay_alu instid0(SALU_CYCLE_1)
	s_or_b32 exec_lo, exec_lo, s16
.LBB372_1506:                           ;   in Loop: Header=BB372_10 Depth=1
	s_delay_alu instid0(SALU_CYCLE_1)
	s_or_b32 exec_lo, exec_lo, s11
	v_dual_mov_b32 v62, 0 :: v_dual_mov_b32 v43, 0
	s_mov_b32 s11, exec_lo
	v_cmpx_lt_u32_e32 0xffffff, v0
	s_cbranch_execz .LBB372_1514
; %bb.1507:                             ;   in Loop: Header=BB372_10 Depth=1
	v_lshrrev_b32_e32 v6, 24, v0
	v_bfrev_b32_e32 v43, 1
	s_mov_b32 s16, exec_lo
	s_delay_alu instid0(VALU_DEP_2)
	v_cmpx_ne_u32_e32 0x80, v6
	s_cbranch_execz .LBB372_1513
; %bb.1508:                             ;   in Loop: Header=BB372_10 Depth=1
	v_bfe_u32 v7, v0, 24, 7
	v_mov_b32_e32 v43, 0x7f800001
	s_mov_b32 s17, exec_lo
	s_delay_alu instid0(VALU_DEP_2)
	v_cmpx_ne_u32_e32 0x7f, v7
	s_cbranch_execz .LBB372_1512
; %bb.1509:                             ;   in Loop: Header=BB372_10 Depth=1
	v_and_b32_e32 v16, 7, v6
	s_mov_b32 s18, exec_lo
	s_delay_alu instid0(VALU_DEP_1)
	v_mov_b64_e32 v[2:3], v[16:17]
	v_lshrrev_b32_e32 v3, 3, v7
	v_cmpx_gt_u32_e32 8, v7
; %bb.1510:                             ;   in Loop: Header=BB372_10 Depth=1
	v_clz_i32_u32_e32 v2, v16
	s_delay_alu instid0(VALU_DEP_1) | instskip(NEXT) | instid1(VALU_DEP_1)
	v_min_u32_e32 v7, 32, v2
	v_subrev_nc_u32_e32 v2, 28, v7
	s_delay_alu instid0(VALU_DEP_1) | instskip(NEXT) | instid1(VALU_DEP_1)
	v_lshlrev_b64_e32 v[2:3], v2, v[16:17]
	v_dual_sub_nc_u32 v3, 29, v7 :: v_dual_bitop2_b32 v2, 7, v2 bitop3:0x40
; %bb.1511:                             ;   in Loop: Header=BB372_10 Depth=1
	s_or_b32 exec_lo, exec_lo, s18
	v_lshlrev_b32_e32 v6, 24, v6
	s_delay_alu instid0(VALU_DEP_2) | instskip(NEXT) | instid1(VALU_DEP_3)
	v_lshlrev_b32_e32 v2, 20, v2
	v_lshl_add_u32 v3, v3, 23, 0x3c000000
	s_delay_alu instid0(VALU_DEP_3) | instskip(NEXT) | instid1(VALU_DEP_1)
	v_and_b32_e32 v6, 0x80000000, v6
	v_or3_b32 v43, v2, v6, v3
.LBB372_1512:                           ;   in Loop: Header=BB372_10 Depth=1
	s_or_b32 exec_lo, exec_lo, s17
.LBB372_1513:                           ;   in Loop: Header=BB372_10 Depth=1
	s_delay_alu instid0(SALU_CYCLE_1)
	s_or_b32 exec_lo, exec_lo, s16
.LBB372_1514:                           ;   in Loop: Header=BB372_10 Depth=1
	s_delay_alu instid0(SALU_CYCLE_1) | instskip(SKIP_3) | instid1(VALU_DEP_2)
	s_or_b32 exec_lo, exec_lo, s11
	v_and_b32_e32 v2, 0xff, v1
	v_mov_b32_e32 v16, v1
	s_mov_b32 s11, exec_lo
	v_cmpx_ne_u16_e32 0, v2
	s_cbranch_execz .LBB372_1522
; %bb.1515:                             ;   in Loop: Header=BB372_10 Depth=1
	v_bfrev_b32_e32 v62, 1
	s_mov_b32 s16, exec_lo
	v_cmpx_ne_u16_e32 0x80, v2
	s_cbranch_execz .LBB372_1521
; %bb.1516:                             ;   in Loop: Header=BB372_10 Depth=1
	v_and_b32_e32 v6, 0x7f, v1
	v_mov_b32_e32 v62, 0x7f800001
	s_mov_b32 s17, exec_lo
	s_delay_alu instid0(VALU_DEP_2)
	v_cmpx_ne_u32_e32 0x7f, v6
	s_cbranch_execz .LBB372_1520
; %bb.1517:                             ;   in Loop: Header=BB372_10 Depth=1
	v_mov_b64_e32 v[2:3], v[16:17]
	v_lshrrev_b32_e32 v3, 3, v6
	s_mov_b32 s18, exec_lo
	v_cmpx_gt_u32_e32 8, v6
; %bb.1518:                             ;   in Loop: Header=BB372_10 Depth=1
	v_and_b32_e32 v2, 7, v1
	s_delay_alu instid0(VALU_DEP_1) | instskip(NEXT) | instid1(VALU_DEP_1)
	v_clz_i32_u32_e32 v2, v2
	v_min_u32_e32 v6, 32, v2
	s_delay_alu instid0(VALU_DEP_1) | instskip(NEXT) | instid1(VALU_DEP_1)
	v_subrev_nc_u32_e32 v2, 28, v6
	v_lshlrev_b64_e32 v[2:3], v2, v[16:17]
	v_sub_nc_u32_e32 v3, 29, v6
; %bb.1519:                             ;   in Loop: Header=BB372_10 Depth=1
	s_or_b32 exec_lo, exec_lo, s18
	s_delay_alu instid0(VALU_DEP_2) | instskip(NEXT) | instid1(VALU_DEP_2)
	v_dual_lshlrev_b32 v2, 20, v2 :: v_dual_lshlrev_b32 v6, 24, v16
	v_lshl_add_u32 v3, v3, 23, 0x3c000000
	s_delay_alu instid0(VALU_DEP_2) | instskip(NEXT) | instid1(VALU_DEP_3)
	v_and_b32_e32 v2, 0x700000, v2
	v_and_b32_e32 v6, 0x80000000, v6
	s_delay_alu instid0(VALU_DEP_1)
	v_or3_b32 v62, v2, v6, v3
.LBB372_1520:                           ;   in Loop: Header=BB372_10 Depth=1
	s_or_b32 exec_lo, exec_lo, s17
.LBB372_1521:                           ;   in Loop: Header=BB372_10 Depth=1
	s_delay_alu instid0(SALU_CYCLE_1)
	s_or_b32 exec_lo, exec_lo, s16
.LBB372_1522:                           ;   in Loop: Header=BB372_10 Depth=1
	s_delay_alu instid0(SALU_CYCLE_1) | instskip(SKIP_3) | instid1(VALU_DEP_2)
	s_or_b32 exec_lo, exec_lo, s11
	v_lshrrev_b16 v2, 8, v16
	v_dual_mov_b32 v106, 0 :: v_dual_mov_b32 v63, 0
	s_mov_b32 s11, exec_lo
	v_cmpx_ne_u16_e32 0, v2
	s_cbranch_execz .LBB372_1530
; %bb.1523:                             ;   in Loop: Header=BB372_10 Depth=1
	v_bfrev_b32_e32 v63, 1
	s_mov_b32 s16, exec_lo
	v_cmpx_ne_u16_e32 0x80, v2
	s_cbranch_execz .LBB372_1529
; %bb.1524:                             ;   in Loop: Header=BB372_10 Depth=1
	v_and_b32_e32 v2, 0xffff, v2
	v_mov_b32_e32 v63, 0x7f800001
	s_mov_b32 s17, exec_lo
	s_delay_alu instid0(VALU_DEP_2) | instskip(NEXT) | instid1(VALU_DEP_1)
	v_and_b32_e32 v7, 0x7f, v2
	v_cmpx_ne_u32_e32 0x7f, v7
	s_cbranch_execz .LBB372_1528
; %bb.1525:                             ;   in Loop: Header=BB372_10 Depth=1
	v_dual_mov_b32 v3, v17 :: v_dual_bitop2_b32 v2, 7, v2 bitop3:0x40
	v_lshrrev_b32_e32 v6, 3, v7
	s_mov_b32 s18, exec_lo
	v_cmpx_gt_u32_e32 8, v7
; %bb.1526:                             ;   in Loop: Header=BB372_10 Depth=1
	s_delay_alu instid0(VALU_DEP_3) | instskip(NEXT) | instid1(VALU_DEP_1)
	v_clz_i32_u32_e32 v6, v2
	v_min_u32_e32 v6, 32, v6
	s_delay_alu instid0(VALU_DEP_1) | instskip(SKIP_1) | instid1(VALU_DEP_2)
	v_subrev_nc_u32_e32 v7, 28, v6
	v_sub_nc_u32_e32 v6, 29, v6
	v_lshlrev_b64_e32 v[2:3], v7, v[2:3]
	s_delay_alu instid0(VALU_DEP_1)
	v_and_b32_e32 v2, 7, v2
; %bb.1527:                             ;   in Loop: Header=BB372_10 Depth=1
	s_or_b32 exec_lo, exec_lo, s18
	s_delay_alu instid0(VALU_DEP_1) | instskip(SKIP_1) | instid1(VALU_DEP_2)
	v_dual_lshlrev_b32 v3, 16, v16 :: v_dual_lshlrev_b32 v2, 20, v2
	v_lshl_add_u32 v6, v6, 23, 0x3c000000
	v_and_b32_e32 v3, 0x80000000, v3
	s_delay_alu instid0(VALU_DEP_1)
	v_or3_b32 v63, v2, v3, v6
.LBB372_1528:                           ;   in Loop: Header=BB372_10 Depth=1
	s_or_b32 exec_lo, exec_lo, s17
.LBB372_1529:                           ;   in Loop: Header=BB372_10 Depth=1
	s_delay_alu instid0(SALU_CYCLE_1)
	s_or_b32 exec_lo, exec_lo, s16
.LBB372_1530:                           ;   in Loop: Header=BB372_10 Depth=1
	s_delay_alu instid0(SALU_CYCLE_1) | instskip(SKIP_2) | instid1(VALU_DEP_1)
	s_or_b32 exec_lo, exec_lo, s11
	v_lshrrev_b32_e32 v6, 16, v1
	s_mov_b32 s11, exec_lo
	v_and_b32_e32 v2, 0xff, v6
	s_delay_alu instid0(VALU_DEP_1)
	v_cmpx_ne_u16_e32 0, v2
	s_cbranch_execz .LBB372_1538
; %bb.1531:                             ;   in Loop: Header=BB372_10 Depth=1
	v_bfrev_b32_e32 v106, 1
	s_mov_b32 s16, exec_lo
	v_cmpx_ne_u16_e32 0x80, v2
	s_cbranch_execz .LBB372_1537
; %bb.1532:                             ;   in Loop: Header=BB372_10 Depth=1
	v_bfe_u32 v7, v1, 16, 7
	v_mov_b32_e32 v106, 0x7f800001
	s_mov_b32 s17, exec_lo
	s_delay_alu instid0(VALU_DEP_2)
	v_cmpx_ne_u32_e32 0x7f, v7
	s_cbranch_execz .LBB372_1536
; %bb.1533:                             ;   in Loop: Header=BB372_10 Depth=1
	v_and_b32_e32 v16, 7, v6
	s_mov_b32 s18, exec_lo
	s_delay_alu instid0(VALU_DEP_1)
	v_mov_b64_e32 v[2:3], v[16:17]
	v_lshrrev_b32_e32 v3, 3, v7
	v_cmpx_gt_u32_e32 8, v7
; %bb.1534:                             ;   in Loop: Header=BB372_10 Depth=1
	v_clz_i32_u32_e32 v2, v16
	s_delay_alu instid0(VALU_DEP_1) | instskip(NEXT) | instid1(VALU_DEP_1)
	v_min_u32_e32 v7, 32, v2
	v_subrev_nc_u32_e32 v2, 28, v7
	s_delay_alu instid0(VALU_DEP_1) | instskip(NEXT) | instid1(VALU_DEP_1)
	v_lshlrev_b64_e32 v[2:3], v2, v[16:17]
	v_dual_sub_nc_u32 v3, 29, v7 :: v_dual_bitop2_b32 v2, 7, v2 bitop3:0x40
; %bb.1535:                             ;   in Loop: Header=BB372_10 Depth=1
	s_or_b32 exec_lo, exec_lo, s18
	v_lshlrev_b32_e32 v6, 24, v6
	s_delay_alu instid0(VALU_DEP_2) | instskip(NEXT) | instid1(VALU_DEP_3)
	v_lshlrev_b32_e32 v2, 20, v2
	v_lshl_add_u32 v3, v3, 23, 0x3c000000
	s_delay_alu instid0(VALU_DEP_3) | instskip(NEXT) | instid1(VALU_DEP_1)
	v_and_b32_e32 v6, 0x80000000, v6
	v_or3_b32 v106, v2, v6, v3
.LBB372_1536:                           ;   in Loop: Header=BB372_10 Depth=1
	s_or_b32 exec_lo, exec_lo, s17
.LBB372_1537:                           ;   in Loop: Header=BB372_10 Depth=1
	s_delay_alu instid0(SALU_CYCLE_1)
	s_or_b32 exec_lo, exec_lo, s16
.LBB372_1538:                           ;   in Loop: Header=BB372_10 Depth=1
	s_delay_alu instid0(SALU_CYCLE_1)
	s_or_b32 exec_lo, exec_lo, s11
	v_dual_mov_b32 v8, 0 :: v_dual_mov_b32 v107, 0
	s_mov_b32 s11, exec_lo
	v_cmpx_lt_u64_e64 s[2:3], v[0:1]
	s_cbranch_execz .LBB372_1546
; %bb.1539:                             ;   in Loop: Header=BB372_10 Depth=1
	v_lshrrev_b32_e32 v2, 24, v1
	v_bfrev_b32_e32 v107, 1
	s_mov_b32 s16, exec_lo
	s_delay_alu instid0(VALU_DEP_2)
	v_cmpx_ne_u32_e32 0x80, v2
	s_cbranch_execz .LBB372_1545
; %bb.1540:                             ;   in Loop: Header=BB372_10 Depth=1
	v_bfe_u32 v3, v1, 24, 7
	v_mov_b32_e32 v107, 0x7f800001
	s_mov_b32 s17, exec_lo
	s_delay_alu instid0(VALU_DEP_2)
	v_cmpx_ne_u32_e32 0x7f, v3
	s_cbranch_execz .LBB372_1544
; %bb.1541:                             ;   in Loop: Header=BB372_10 Depth=1
	v_and_b32_e32 v16, 7, v2
	s_mov_b32 s18, exec_lo
	s_delay_alu instid0(VALU_DEP_1)
	v_mov_b64_e32 v[0:1], v[16:17]
	v_lshrrev_b32_e32 v1, 3, v3
	v_cmpx_gt_u32_e32 8, v3
; %bb.1542:                             ;   in Loop: Header=BB372_10 Depth=1
	v_clz_i32_u32_e32 v0, v16
	s_delay_alu instid0(VALU_DEP_1) | instskip(NEXT) | instid1(VALU_DEP_1)
	v_min_u32_e32 v3, 32, v0
	v_subrev_nc_u32_e32 v0, 28, v3
	s_delay_alu instid0(VALU_DEP_1) | instskip(NEXT) | instid1(VALU_DEP_1)
	v_lshlrev_b64_e32 v[0:1], v0, v[16:17]
	v_dual_sub_nc_u32 v1, 29, v3 :: v_dual_bitop2_b32 v0, 7, v0 bitop3:0x40
; %bb.1543:                             ;   in Loop: Header=BB372_10 Depth=1
	s_or_b32 exec_lo, exec_lo, s18
	s_delay_alu instid0(VALU_DEP_1) | instskip(NEXT) | instid1(VALU_DEP_2)
	v_dual_lshlrev_b32 v2, 24, v2 :: v_dual_lshlrev_b32 v0, 20, v0
	v_lshl_add_u32 v1, v1, 23, 0x3c000000
	s_delay_alu instid0(VALU_DEP_2) | instskip(NEXT) | instid1(VALU_DEP_1)
	v_and_b32_e32 v2, 0x80000000, v2
	v_or3_b32 v107, v0, v2, v1
.LBB372_1544:                           ;   in Loop: Header=BB372_10 Depth=1
	s_or_b32 exec_lo, exec_lo, s17
.LBB372_1545:                           ;   in Loop: Header=BB372_10 Depth=1
	s_delay_alu instid0(SALU_CYCLE_1)
	s_or_b32 exec_lo, exec_lo, s16
.LBB372_1546:                           ;   in Loop: Header=BB372_10 Depth=1
	s_delay_alu instid0(SALU_CYCLE_1)
	s_or_b32 exec_lo, exec_lo, s11
	flat_load_b64 v[0:1], v[96:97] offset:6144
	s_mov_b32 s11, exec_lo
	s_wait_loadcnt_dscnt 0x0
	v_and_b32_e32 v2, 0xff, v0
	s_wait_xcnt 0x0
	s_delay_alu instid0(VALU_DEP_1)
	v_cmpx_ne_u16_e32 0, v2
	s_cbranch_execz .LBB372_1554
; %bb.1547:                             ;   in Loop: Header=BB372_10 Depth=1
	v_bfrev_b32_e32 v8, 1
	s_mov_b32 s16, exec_lo
	v_cmpx_ne_u16_e32 0x80, v2
	s_cbranch_execz .LBB372_1553
; %bb.1548:                             ;   in Loop: Header=BB372_10 Depth=1
	v_and_b32_e32 v2, 0x7f, v0
	v_mov_b32_e32 v8, 0x7f800001
	s_mov_b32 s17, exec_lo
	s_delay_alu instid0(VALU_DEP_2)
	v_cmpx_ne_u32_e32 0x7f, v2
	s_cbranch_execz .LBB372_1552
; %bb.1549:                             ;   in Loop: Header=BB372_10 Depth=1
	v_lshrrev_b32_e32 v6, 3, v2
	v_cmp_gt_u32_e64 s1, 8, v2
	v_mov_b64_e32 v[2:3], v[0:1]
	s_and_saveexec_b32 s18, s1
; %bb.1550:                             ;   in Loop: Header=BB372_10 Depth=1
	v_and_b32_e32 v2, 7, v0
	s_delay_alu instid0(VALU_DEP_1) | instskip(NEXT) | instid1(VALU_DEP_1)
	v_clz_i32_u32_e32 v2, v2
	v_min_u32_e32 v6, 32, v2
	s_delay_alu instid0(VALU_DEP_1) | instskip(SKIP_1) | instid1(VALU_DEP_2)
	v_subrev_nc_u32_e32 v2, 28, v6
	v_sub_nc_u32_e32 v6, 29, v6
	v_lshlrev_b64_e32 v[2:3], v2, v[0:1]
; %bb.1551:                             ;   in Loop: Header=BB372_10 Depth=1
	s_or_b32 exec_lo, exec_lo, s18
	s_delay_alu instid0(VALU_DEP_1) | instskip(NEXT) | instid1(VALU_DEP_3)
	v_dual_lshlrev_b32 v2, 20, v2 :: v_dual_lshlrev_b32 v3, 24, v0
	v_lshl_add_u32 v6, v6, 23, 0x3c000000
	s_delay_alu instid0(VALU_DEP_2) | instskip(NEXT) | instid1(VALU_DEP_3)
	v_and_b32_e32 v2, 0x700000, v2
	v_and_b32_e32 v3, 0x80000000, v3
	s_delay_alu instid0(VALU_DEP_1)
	v_or3_b32 v8, v2, v3, v6
.LBB372_1552:                           ;   in Loop: Header=BB372_10 Depth=1
	s_or_b32 exec_lo, exec_lo, s17
.LBB372_1553:                           ;   in Loop: Header=BB372_10 Depth=1
	s_delay_alu instid0(SALU_CYCLE_1)
	s_or_b32 exec_lo, exec_lo, s16
.LBB372_1554:                           ;   in Loop: Header=BB372_10 Depth=1
	s_delay_alu instid0(SALU_CYCLE_1) | instskip(SKIP_3) | instid1(VALU_DEP_2)
	s_or_b32 exec_lo, exec_lo, s11
	v_lshrrev_b16 v2, 8, v0
	v_dual_mov_b32 v58, 0 :: v_dual_mov_b32 v9, 0
	s_mov_b32 s11, exec_lo
	v_cmpx_ne_u16_e32 0, v2
	s_cbranch_execz .LBB372_1562
; %bb.1555:                             ;   in Loop: Header=BB372_10 Depth=1
	v_bfrev_b32_e32 v9, 1
	s_mov_b32 s16, exec_lo
	v_cmpx_ne_u16_e32 0x80, v2
	s_cbranch_execz .LBB372_1561
; %bb.1556:                             ;   in Loop: Header=BB372_10 Depth=1
	v_and_b32_e32 v2, 0xffff, v2
	v_mov_b32_e32 v9, 0x7f800001
	s_mov_b32 s17, exec_lo
	s_delay_alu instid0(VALU_DEP_2) | instskip(NEXT) | instid1(VALU_DEP_1)
	v_and_b32_e32 v6, 0x7f, v2
	v_cmpx_ne_u32_e32 0x7f, v6
	s_cbranch_execz .LBB372_1560
; %bb.1557:                             ;   in Loop: Header=BB372_10 Depth=1
	v_and_b32_e32 v16, 7, v2
	s_mov_b32 s18, exec_lo
	s_delay_alu instid0(VALU_DEP_1)
	v_mov_b64_e32 v[2:3], v[16:17]
	v_lshrrev_b32_e32 v3, 3, v6
	v_cmpx_gt_u32_e32 8, v6
; %bb.1558:                             ;   in Loop: Header=BB372_10 Depth=1
	v_clz_i32_u32_e32 v2, v16
	s_delay_alu instid0(VALU_DEP_1) | instskip(NEXT) | instid1(VALU_DEP_1)
	v_min_u32_e32 v6, 32, v2
	v_subrev_nc_u32_e32 v2, 28, v6
	s_delay_alu instid0(VALU_DEP_1) | instskip(SKIP_1) | instid1(VALU_DEP_2)
	v_lshlrev_b64_e32 v[2:3], v2, v[16:17]
	v_sub_nc_u32_e32 v3, 29, v6
	v_and_b32_e32 v2, 7, v2
; %bb.1559:                             ;   in Loop: Header=BB372_10 Depth=1
	s_or_b32 exec_lo, exec_lo, s18
	s_delay_alu instid0(VALU_DEP_1) | instskip(NEXT) | instid1(VALU_DEP_3)
	v_dual_lshlrev_b32 v6, 16, v0 :: v_dual_lshlrev_b32 v2, 20, v2
	v_lshl_add_u32 v3, v3, 23, 0x3c000000
	s_delay_alu instid0(VALU_DEP_2) | instskip(NEXT) | instid1(VALU_DEP_1)
	v_and_b32_e32 v6, 0x80000000, v6
	v_or3_b32 v9, v2, v6, v3
.LBB372_1560:                           ;   in Loop: Header=BB372_10 Depth=1
	s_or_b32 exec_lo, exec_lo, s17
.LBB372_1561:                           ;   in Loop: Header=BB372_10 Depth=1
	s_delay_alu instid0(SALU_CYCLE_1)
	s_or_b32 exec_lo, exec_lo, s16
.LBB372_1562:                           ;   in Loop: Header=BB372_10 Depth=1
	s_delay_alu instid0(SALU_CYCLE_1) | instskip(SKIP_2) | instid1(VALU_DEP_1)
	s_or_b32 exec_lo, exec_lo, s11
	v_lshrrev_b32_e32 v6, 16, v0
	s_mov_b32 s11, exec_lo
	v_and_b32_e32 v2, 0xff, v6
	s_delay_alu instid0(VALU_DEP_1)
	v_cmpx_ne_u16_e32 0, v2
	s_cbranch_execz .LBB372_1570
; %bb.1563:                             ;   in Loop: Header=BB372_10 Depth=1
	v_bfrev_b32_e32 v58, 1
	s_mov_b32 s16, exec_lo
	v_cmpx_ne_u16_e32 0x80, v2
	s_cbranch_execz .LBB372_1569
; %bb.1564:                             ;   in Loop: Header=BB372_10 Depth=1
	v_bfe_u32 v7, v0, 16, 7
	v_mov_b32_e32 v58, 0x7f800001
	s_mov_b32 s17, exec_lo
	s_delay_alu instid0(VALU_DEP_2)
	v_cmpx_ne_u32_e32 0x7f, v7
	s_cbranch_execz .LBB372_1568
; %bb.1565:                             ;   in Loop: Header=BB372_10 Depth=1
	v_and_b32_e32 v16, 7, v6
	s_mov_b32 s18, exec_lo
	s_delay_alu instid0(VALU_DEP_1)
	v_mov_b64_e32 v[2:3], v[16:17]
	v_lshrrev_b32_e32 v3, 3, v7
	v_cmpx_gt_u32_e32 8, v7
; %bb.1566:                             ;   in Loop: Header=BB372_10 Depth=1
	v_clz_i32_u32_e32 v2, v16
	s_delay_alu instid0(VALU_DEP_1) | instskip(NEXT) | instid1(VALU_DEP_1)
	v_min_u32_e32 v7, 32, v2
	v_subrev_nc_u32_e32 v2, 28, v7
	s_delay_alu instid0(VALU_DEP_1) | instskip(NEXT) | instid1(VALU_DEP_1)
	v_lshlrev_b64_e32 v[2:3], v2, v[16:17]
	v_dual_sub_nc_u32 v3, 29, v7 :: v_dual_bitop2_b32 v2, 7, v2 bitop3:0x40
; %bb.1567:                             ;   in Loop: Header=BB372_10 Depth=1
	s_or_b32 exec_lo, exec_lo, s18
	v_lshlrev_b32_e32 v6, 24, v6
	s_delay_alu instid0(VALU_DEP_2) | instskip(NEXT) | instid1(VALU_DEP_3)
	v_lshlrev_b32_e32 v2, 20, v2
	v_lshl_add_u32 v3, v3, 23, 0x3c000000
	s_delay_alu instid0(VALU_DEP_3) | instskip(NEXT) | instid1(VALU_DEP_1)
	v_and_b32_e32 v6, 0x80000000, v6
	v_or3_b32 v58, v2, v6, v3
.LBB372_1568:                           ;   in Loop: Header=BB372_10 Depth=1
	s_or_b32 exec_lo, exec_lo, s17
.LBB372_1569:                           ;   in Loop: Header=BB372_10 Depth=1
	s_delay_alu instid0(SALU_CYCLE_1)
	s_or_b32 exec_lo, exec_lo, s16
.LBB372_1570:                           ;   in Loop: Header=BB372_10 Depth=1
	s_delay_alu instid0(SALU_CYCLE_1)
	s_or_b32 exec_lo, exec_lo, s11
	v_dual_mov_b32 v36, 0 :: v_dual_mov_b32 v59, 0
	s_mov_b32 s11, exec_lo
	v_cmpx_lt_u32_e32 0xffffff, v0
	s_cbranch_execz .LBB372_1578
; %bb.1571:                             ;   in Loop: Header=BB372_10 Depth=1
	v_lshrrev_b32_e32 v6, 24, v0
	v_bfrev_b32_e32 v59, 1
	s_mov_b32 s16, exec_lo
	s_delay_alu instid0(VALU_DEP_2)
	v_cmpx_ne_u32_e32 0x80, v6
	s_cbranch_execz .LBB372_1577
; %bb.1572:                             ;   in Loop: Header=BB372_10 Depth=1
	v_bfe_u32 v7, v0, 24, 7
	v_mov_b32_e32 v59, 0x7f800001
	s_mov_b32 s17, exec_lo
	s_delay_alu instid0(VALU_DEP_2)
	v_cmpx_ne_u32_e32 0x7f, v7
	s_cbranch_execz .LBB372_1576
; %bb.1573:                             ;   in Loop: Header=BB372_10 Depth=1
	v_and_b32_e32 v16, 7, v6
	s_mov_b32 s18, exec_lo
	s_delay_alu instid0(VALU_DEP_1)
	v_mov_b64_e32 v[2:3], v[16:17]
	v_lshrrev_b32_e32 v3, 3, v7
	v_cmpx_gt_u32_e32 8, v7
; %bb.1574:                             ;   in Loop: Header=BB372_10 Depth=1
	v_clz_i32_u32_e32 v2, v16
	s_delay_alu instid0(VALU_DEP_1) | instskip(NEXT) | instid1(VALU_DEP_1)
	v_min_u32_e32 v7, 32, v2
	v_subrev_nc_u32_e32 v2, 28, v7
	s_delay_alu instid0(VALU_DEP_1) | instskip(NEXT) | instid1(VALU_DEP_1)
	v_lshlrev_b64_e32 v[2:3], v2, v[16:17]
	v_dual_sub_nc_u32 v3, 29, v7 :: v_dual_bitop2_b32 v2, 7, v2 bitop3:0x40
; %bb.1575:                             ;   in Loop: Header=BB372_10 Depth=1
	s_or_b32 exec_lo, exec_lo, s18
	v_lshlrev_b32_e32 v6, 24, v6
	s_delay_alu instid0(VALU_DEP_2) | instskip(NEXT) | instid1(VALU_DEP_3)
	v_lshlrev_b32_e32 v2, 20, v2
	v_lshl_add_u32 v3, v3, 23, 0x3c000000
	s_delay_alu instid0(VALU_DEP_3) | instskip(NEXT) | instid1(VALU_DEP_1)
	v_and_b32_e32 v6, 0x80000000, v6
	v_or3_b32 v59, v2, v6, v3
.LBB372_1576:                           ;   in Loop: Header=BB372_10 Depth=1
	s_or_b32 exec_lo, exec_lo, s17
.LBB372_1577:                           ;   in Loop: Header=BB372_10 Depth=1
	s_delay_alu instid0(SALU_CYCLE_1)
	s_or_b32 exec_lo, exec_lo, s16
.LBB372_1578:                           ;   in Loop: Header=BB372_10 Depth=1
	s_delay_alu instid0(SALU_CYCLE_1) | instskip(SKIP_3) | instid1(VALU_DEP_2)
	s_or_b32 exec_lo, exec_lo, s11
	v_and_b32_e32 v2, 0xff, v1
	v_mov_b32_e32 v16, v1
	s_mov_b32 s11, exec_lo
	v_cmpx_ne_u16_e32 0, v2
	s_cbranch_execz .LBB372_1586
; %bb.1579:                             ;   in Loop: Header=BB372_10 Depth=1
	v_bfrev_b32_e32 v36, 1
	s_mov_b32 s16, exec_lo
	v_cmpx_ne_u16_e32 0x80, v2
	s_cbranch_execz .LBB372_1585
; %bb.1580:                             ;   in Loop: Header=BB372_10 Depth=1
	v_and_b32_e32 v6, 0x7f, v1
	v_mov_b32_e32 v36, 0x7f800001
	s_mov_b32 s17, exec_lo
	s_delay_alu instid0(VALU_DEP_2)
	v_cmpx_ne_u32_e32 0x7f, v6
	s_cbranch_execz .LBB372_1584
; %bb.1581:                             ;   in Loop: Header=BB372_10 Depth=1
	v_mov_b64_e32 v[2:3], v[16:17]
	v_lshrrev_b32_e32 v3, 3, v6
	s_mov_b32 s18, exec_lo
	v_cmpx_gt_u32_e32 8, v6
; %bb.1582:                             ;   in Loop: Header=BB372_10 Depth=1
	v_and_b32_e32 v2, 7, v1
	s_delay_alu instid0(VALU_DEP_1) | instskip(NEXT) | instid1(VALU_DEP_1)
	v_clz_i32_u32_e32 v2, v2
	v_min_u32_e32 v6, 32, v2
	s_delay_alu instid0(VALU_DEP_1) | instskip(NEXT) | instid1(VALU_DEP_1)
	v_subrev_nc_u32_e32 v2, 28, v6
	v_lshlrev_b64_e32 v[2:3], v2, v[16:17]
	v_sub_nc_u32_e32 v3, 29, v6
; %bb.1583:                             ;   in Loop: Header=BB372_10 Depth=1
	s_or_b32 exec_lo, exec_lo, s18
	s_delay_alu instid0(VALU_DEP_2) | instskip(NEXT) | instid1(VALU_DEP_2)
	v_dual_lshlrev_b32 v2, 20, v2 :: v_dual_lshlrev_b32 v6, 24, v16
	v_lshl_add_u32 v3, v3, 23, 0x3c000000
	s_delay_alu instid0(VALU_DEP_2) | instskip(NEXT) | instid1(VALU_DEP_3)
	v_and_b32_e32 v2, 0x700000, v2
	v_and_b32_e32 v6, 0x80000000, v6
	s_delay_alu instid0(VALU_DEP_1)
	v_or3_b32 v36, v2, v6, v3
.LBB372_1584:                           ;   in Loop: Header=BB372_10 Depth=1
	s_or_b32 exec_lo, exec_lo, s17
.LBB372_1585:                           ;   in Loop: Header=BB372_10 Depth=1
	s_delay_alu instid0(SALU_CYCLE_1)
	s_or_b32 exec_lo, exec_lo, s16
.LBB372_1586:                           ;   in Loop: Header=BB372_10 Depth=1
	s_delay_alu instid0(SALU_CYCLE_1) | instskip(SKIP_3) | instid1(VALU_DEP_2)
	s_or_b32 exec_lo, exec_lo, s11
	v_lshrrev_b16 v2, 8, v16
	v_dual_mov_b32 v92, 0 :: v_dual_mov_b32 v37, 0
	s_mov_b32 s11, exec_lo
	v_cmpx_ne_u16_e32 0, v2
	s_cbranch_execz .LBB372_1594
; %bb.1587:                             ;   in Loop: Header=BB372_10 Depth=1
	v_bfrev_b32_e32 v37, 1
	s_mov_b32 s16, exec_lo
	v_cmpx_ne_u16_e32 0x80, v2
	s_cbranch_execz .LBB372_1593
; %bb.1588:                             ;   in Loop: Header=BB372_10 Depth=1
	v_and_b32_e32 v2, 0xffff, v2
	v_mov_b32_e32 v37, 0x7f800001
	s_mov_b32 s17, exec_lo
	s_delay_alu instid0(VALU_DEP_2) | instskip(NEXT) | instid1(VALU_DEP_1)
	v_and_b32_e32 v7, 0x7f, v2
	v_cmpx_ne_u32_e32 0x7f, v7
	s_cbranch_execz .LBB372_1592
; %bb.1589:                             ;   in Loop: Header=BB372_10 Depth=1
	v_dual_mov_b32 v3, v17 :: v_dual_bitop2_b32 v2, 7, v2 bitop3:0x40
	v_lshrrev_b32_e32 v6, 3, v7
	s_mov_b32 s18, exec_lo
	v_cmpx_gt_u32_e32 8, v7
; %bb.1590:                             ;   in Loop: Header=BB372_10 Depth=1
	s_delay_alu instid0(VALU_DEP_3) | instskip(NEXT) | instid1(VALU_DEP_1)
	v_clz_i32_u32_e32 v6, v2
	v_min_u32_e32 v6, 32, v6
	s_delay_alu instid0(VALU_DEP_1) | instskip(SKIP_1) | instid1(VALU_DEP_2)
	v_subrev_nc_u32_e32 v7, 28, v6
	v_sub_nc_u32_e32 v6, 29, v6
	v_lshlrev_b64_e32 v[2:3], v7, v[2:3]
	s_delay_alu instid0(VALU_DEP_1)
	v_and_b32_e32 v2, 7, v2
; %bb.1591:                             ;   in Loop: Header=BB372_10 Depth=1
	s_or_b32 exec_lo, exec_lo, s18
	s_delay_alu instid0(VALU_DEP_1) | instskip(SKIP_1) | instid1(VALU_DEP_2)
	v_dual_lshlrev_b32 v3, 16, v16 :: v_dual_lshlrev_b32 v2, 20, v2
	v_lshl_add_u32 v6, v6, 23, 0x3c000000
	v_and_b32_e32 v3, 0x80000000, v3
	s_delay_alu instid0(VALU_DEP_1)
	v_or3_b32 v37, v2, v3, v6
.LBB372_1592:                           ;   in Loop: Header=BB372_10 Depth=1
	s_or_b32 exec_lo, exec_lo, s17
.LBB372_1593:                           ;   in Loop: Header=BB372_10 Depth=1
	s_delay_alu instid0(SALU_CYCLE_1)
	s_or_b32 exec_lo, exec_lo, s16
.LBB372_1594:                           ;   in Loop: Header=BB372_10 Depth=1
	s_delay_alu instid0(SALU_CYCLE_1) | instskip(SKIP_2) | instid1(VALU_DEP_1)
	s_or_b32 exec_lo, exec_lo, s11
	v_lshrrev_b32_e32 v6, 16, v1
	s_mov_b32 s11, exec_lo
	v_and_b32_e32 v2, 0xff, v6
	s_delay_alu instid0(VALU_DEP_1)
	v_cmpx_ne_u16_e32 0, v2
	s_cbranch_execz .LBB372_1602
; %bb.1595:                             ;   in Loop: Header=BB372_10 Depth=1
	v_bfrev_b32_e32 v92, 1
	s_mov_b32 s16, exec_lo
	v_cmpx_ne_u16_e32 0x80, v2
	s_cbranch_execz .LBB372_1601
; %bb.1596:                             ;   in Loop: Header=BB372_10 Depth=1
	v_bfe_u32 v7, v1, 16, 7
	v_mov_b32_e32 v92, 0x7f800001
	s_mov_b32 s17, exec_lo
	s_delay_alu instid0(VALU_DEP_2)
	v_cmpx_ne_u32_e32 0x7f, v7
	s_cbranch_execz .LBB372_1600
; %bb.1597:                             ;   in Loop: Header=BB372_10 Depth=1
	v_and_b32_e32 v16, 7, v6
	s_mov_b32 s18, exec_lo
	s_delay_alu instid0(VALU_DEP_1)
	v_mov_b64_e32 v[2:3], v[16:17]
	v_lshrrev_b32_e32 v3, 3, v7
	v_cmpx_gt_u32_e32 8, v7
; %bb.1598:                             ;   in Loop: Header=BB372_10 Depth=1
	v_clz_i32_u32_e32 v2, v16
	s_delay_alu instid0(VALU_DEP_1) | instskip(NEXT) | instid1(VALU_DEP_1)
	v_min_u32_e32 v7, 32, v2
	v_subrev_nc_u32_e32 v2, 28, v7
	s_delay_alu instid0(VALU_DEP_1) | instskip(NEXT) | instid1(VALU_DEP_1)
	v_lshlrev_b64_e32 v[2:3], v2, v[16:17]
	v_dual_sub_nc_u32 v3, 29, v7 :: v_dual_bitop2_b32 v2, 7, v2 bitop3:0x40
; %bb.1599:                             ;   in Loop: Header=BB372_10 Depth=1
	s_or_b32 exec_lo, exec_lo, s18
	v_lshlrev_b32_e32 v6, 24, v6
	s_delay_alu instid0(VALU_DEP_2) | instskip(NEXT) | instid1(VALU_DEP_3)
	v_lshlrev_b32_e32 v2, 20, v2
	v_lshl_add_u32 v3, v3, 23, 0x3c000000
	s_delay_alu instid0(VALU_DEP_3) | instskip(NEXT) | instid1(VALU_DEP_1)
	v_and_b32_e32 v6, 0x80000000, v6
	v_or3_b32 v92, v2, v6, v3
.LBB372_1600:                           ;   in Loop: Header=BB372_10 Depth=1
	s_or_b32 exec_lo, exec_lo, s17
.LBB372_1601:                           ;   in Loop: Header=BB372_10 Depth=1
	s_delay_alu instid0(SALU_CYCLE_1)
	s_or_b32 exec_lo, exec_lo, s16
.LBB372_1602:                           ;   in Loop: Header=BB372_10 Depth=1
	s_delay_alu instid0(SALU_CYCLE_1)
	s_or_b32 exec_lo, exec_lo, s11
	v_dual_mov_b32 v74, 0 :: v_dual_mov_b32 v93, 0
	s_mov_b32 s11, exec_lo
	v_cmpx_lt_u64_e64 s[2:3], v[0:1]
	s_cbranch_execz .LBB372_1610
; %bb.1603:                             ;   in Loop: Header=BB372_10 Depth=1
	v_lshrrev_b32_e32 v2, 24, v1
	v_bfrev_b32_e32 v93, 1
	s_mov_b32 s16, exec_lo
	s_delay_alu instid0(VALU_DEP_2)
	v_cmpx_ne_u32_e32 0x80, v2
	s_cbranch_execz .LBB372_1609
; %bb.1604:                             ;   in Loop: Header=BB372_10 Depth=1
	v_bfe_u32 v3, v1, 24, 7
	v_mov_b32_e32 v93, 0x7f800001
	s_mov_b32 s17, exec_lo
	s_delay_alu instid0(VALU_DEP_2)
	v_cmpx_ne_u32_e32 0x7f, v3
	s_cbranch_execz .LBB372_1608
; %bb.1605:                             ;   in Loop: Header=BB372_10 Depth=1
	v_and_b32_e32 v16, 7, v2
	s_mov_b32 s18, exec_lo
	s_delay_alu instid0(VALU_DEP_1)
	v_mov_b64_e32 v[0:1], v[16:17]
	v_lshrrev_b32_e32 v1, 3, v3
	v_cmpx_gt_u32_e32 8, v3
; %bb.1606:                             ;   in Loop: Header=BB372_10 Depth=1
	v_clz_i32_u32_e32 v0, v16
	s_delay_alu instid0(VALU_DEP_1) | instskip(NEXT) | instid1(VALU_DEP_1)
	v_min_u32_e32 v3, 32, v0
	v_subrev_nc_u32_e32 v0, 28, v3
	s_delay_alu instid0(VALU_DEP_1) | instskip(NEXT) | instid1(VALU_DEP_1)
	v_lshlrev_b64_e32 v[0:1], v0, v[16:17]
	v_dual_sub_nc_u32 v1, 29, v3 :: v_dual_bitop2_b32 v0, 7, v0 bitop3:0x40
; %bb.1607:                             ;   in Loop: Header=BB372_10 Depth=1
	s_or_b32 exec_lo, exec_lo, s18
	s_delay_alu instid0(VALU_DEP_1) | instskip(NEXT) | instid1(VALU_DEP_2)
	v_dual_lshlrev_b32 v2, 24, v2 :: v_dual_lshlrev_b32 v0, 20, v0
	v_lshl_add_u32 v1, v1, 23, 0x3c000000
	s_delay_alu instid0(VALU_DEP_2) | instskip(NEXT) | instid1(VALU_DEP_1)
	v_and_b32_e32 v2, 0x80000000, v2
	v_or3_b32 v93, v0, v2, v1
.LBB372_1608:                           ;   in Loop: Header=BB372_10 Depth=1
	s_or_b32 exec_lo, exec_lo, s17
.LBB372_1609:                           ;   in Loop: Header=BB372_10 Depth=1
	s_delay_alu instid0(SALU_CYCLE_1)
	s_or_b32 exec_lo, exec_lo, s16
.LBB372_1610:                           ;   in Loop: Header=BB372_10 Depth=1
	s_delay_alu instid0(SALU_CYCLE_1)
	s_or_b32 exec_lo, exec_lo, s11
	flat_load_b64 v[0:1], v[96:97] offset:6152
	s_mov_b32 s11, exec_lo
	s_wait_loadcnt_dscnt 0x0
	v_and_b32_e32 v2, 0xff, v0
	s_wait_xcnt 0x0
	s_delay_alu instid0(VALU_DEP_1)
	v_cmpx_ne_u16_e32 0, v2
	s_cbranch_execz .LBB372_1618
; %bb.1611:                             ;   in Loop: Header=BB372_10 Depth=1
	v_bfrev_b32_e32 v74, 1
	s_mov_b32 s16, exec_lo
	v_cmpx_ne_u16_e32 0x80, v2
	s_cbranch_execz .LBB372_1617
; %bb.1612:                             ;   in Loop: Header=BB372_10 Depth=1
	v_and_b32_e32 v2, 0x7f, v0
	v_mov_b32_e32 v74, 0x7f800001
	s_mov_b32 s17, exec_lo
	s_delay_alu instid0(VALU_DEP_2)
	v_cmpx_ne_u32_e32 0x7f, v2
	s_cbranch_execz .LBB372_1616
; %bb.1613:                             ;   in Loop: Header=BB372_10 Depth=1
	v_lshrrev_b32_e32 v6, 3, v2
	v_cmp_gt_u32_e64 s1, 8, v2
	v_mov_b64_e32 v[2:3], v[0:1]
	s_and_saveexec_b32 s18, s1
; %bb.1614:                             ;   in Loop: Header=BB372_10 Depth=1
	v_and_b32_e32 v2, 7, v0
	s_delay_alu instid0(VALU_DEP_1) | instskip(NEXT) | instid1(VALU_DEP_1)
	v_clz_i32_u32_e32 v2, v2
	v_min_u32_e32 v6, 32, v2
	s_delay_alu instid0(VALU_DEP_1) | instskip(SKIP_1) | instid1(VALU_DEP_2)
	v_subrev_nc_u32_e32 v2, 28, v6
	v_sub_nc_u32_e32 v6, 29, v6
	v_lshlrev_b64_e32 v[2:3], v2, v[0:1]
; %bb.1615:                             ;   in Loop: Header=BB372_10 Depth=1
	s_or_b32 exec_lo, exec_lo, s18
	s_delay_alu instid0(VALU_DEP_1) | instskip(NEXT) | instid1(VALU_DEP_3)
	v_dual_lshlrev_b32 v2, 20, v2 :: v_dual_lshlrev_b32 v3, 24, v0
	v_lshl_add_u32 v6, v6, 23, 0x3c000000
	s_delay_alu instid0(VALU_DEP_2) | instskip(NEXT) | instid1(VALU_DEP_3)
	v_and_b32_e32 v2, 0x700000, v2
	v_and_b32_e32 v3, 0x80000000, v3
	s_delay_alu instid0(VALU_DEP_1)
	v_or3_b32 v74, v2, v3, v6
.LBB372_1616:                           ;   in Loop: Header=BB372_10 Depth=1
	s_or_b32 exec_lo, exec_lo, s17
.LBB372_1617:                           ;   in Loop: Header=BB372_10 Depth=1
	s_delay_alu instid0(SALU_CYCLE_1)
	s_or_b32 exec_lo, exec_lo, s16
.LBB372_1618:                           ;   in Loop: Header=BB372_10 Depth=1
	s_delay_alu instid0(SALU_CYCLE_1) | instskip(SKIP_3) | instid1(VALU_DEP_2)
	s_or_b32 exec_lo, exec_lo, s11
	v_lshrrev_b16 v2, 8, v0
	v_dual_mov_b32 v78, 0 :: v_dual_mov_b32 v75, 0
	s_mov_b32 s11, exec_lo
	v_cmpx_ne_u16_e32 0, v2
	s_cbranch_execz .LBB372_1626
; %bb.1619:                             ;   in Loop: Header=BB372_10 Depth=1
	v_bfrev_b32_e32 v75, 1
	s_mov_b32 s16, exec_lo
	v_cmpx_ne_u16_e32 0x80, v2
	s_cbranch_execz .LBB372_1625
; %bb.1620:                             ;   in Loop: Header=BB372_10 Depth=1
	v_and_b32_e32 v2, 0xffff, v2
	v_mov_b32_e32 v75, 0x7f800001
	s_mov_b32 s17, exec_lo
	s_delay_alu instid0(VALU_DEP_2) | instskip(NEXT) | instid1(VALU_DEP_1)
	v_and_b32_e32 v6, 0x7f, v2
	v_cmpx_ne_u32_e32 0x7f, v6
	s_cbranch_execz .LBB372_1624
; %bb.1621:                             ;   in Loop: Header=BB372_10 Depth=1
	v_and_b32_e32 v16, 7, v2
	s_mov_b32 s18, exec_lo
	s_delay_alu instid0(VALU_DEP_1)
	v_mov_b64_e32 v[2:3], v[16:17]
	v_lshrrev_b32_e32 v3, 3, v6
	v_cmpx_gt_u32_e32 8, v6
; %bb.1622:                             ;   in Loop: Header=BB372_10 Depth=1
	v_clz_i32_u32_e32 v2, v16
	s_delay_alu instid0(VALU_DEP_1) | instskip(NEXT) | instid1(VALU_DEP_1)
	v_min_u32_e32 v6, 32, v2
	v_subrev_nc_u32_e32 v2, 28, v6
	s_delay_alu instid0(VALU_DEP_1) | instskip(SKIP_1) | instid1(VALU_DEP_2)
	v_lshlrev_b64_e32 v[2:3], v2, v[16:17]
	v_sub_nc_u32_e32 v3, 29, v6
	v_and_b32_e32 v2, 7, v2
; %bb.1623:                             ;   in Loop: Header=BB372_10 Depth=1
	s_or_b32 exec_lo, exec_lo, s18
	s_delay_alu instid0(VALU_DEP_1) | instskip(NEXT) | instid1(VALU_DEP_3)
	v_dual_lshlrev_b32 v6, 16, v0 :: v_dual_lshlrev_b32 v2, 20, v2
	v_lshl_add_u32 v3, v3, 23, 0x3c000000
	s_delay_alu instid0(VALU_DEP_2) | instskip(NEXT) | instid1(VALU_DEP_1)
	v_and_b32_e32 v6, 0x80000000, v6
	v_or3_b32 v75, v2, v6, v3
.LBB372_1624:                           ;   in Loop: Header=BB372_10 Depth=1
	s_or_b32 exec_lo, exec_lo, s17
.LBB372_1625:                           ;   in Loop: Header=BB372_10 Depth=1
	s_delay_alu instid0(SALU_CYCLE_1)
	s_or_b32 exec_lo, exec_lo, s16
.LBB372_1626:                           ;   in Loop: Header=BB372_10 Depth=1
	s_delay_alu instid0(SALU_CYCLE_1) | instskip(SKIP_2) | instid1(VALU_DEP_1)
	s_or_b32 exec_lo, exec_lo, s11
	v_lshrrev_b32_e32 v6, 16, v0
	s_mov_b32 s11, exec_lo
	v_and_b32_e32 v2, 0xff, v6
	s_delay_alu instid0(VALU_DEP_1)
	v_cmpx_ne_u16_e32 0, v2
	s_cbranch_execz .LBB372_1634
; %bb.1627:                             ;   in Loop: Header=BB372_10 Depth=1
	v_bfrev_b32_e32 v78, 1
	s_mov_b32 s16, exec_lo
	v_cmpx_ne_u16_e32 0x80, v2
	s_cbranch_execz .LBB372_1633
; %bb.1628:                             ;   in Loop: Header=BB372_10 Depth=1
	v_bfe_u32 v7, v0, 16, 7
	v_mov_b32_e32 v78, 0x7f800001
	s_mov_b32 s17, exec_lo
	s_delay_alu instid0(VALU_DEP_2)
	v_cmpx_ne_u32_e32 0x7f, v7
	s_cbranch_execz .LBB372_1632
; %bb.1629:                             ;   in Loop: Header=BB372_10 Depth=1
	v_and_b32_e32 v16, 7, v6
	s_mov_b32 s18, exec_lo
	s_delay_alu instid0(VALU_DEP_1)
	v_mov_b64_e32 v[2:3], v[16:17]
	v_lshrrev_b32_e32 v3, 3, v7
	v_cmpx_gt_u32_e32 8, v7
; %bb.1630:                             ;   in Loop: Header=BB372_10 Depth=1
	v_clz_i32_u32_e32 v2, v16
	s_delay_alu instid0(VALU_DEP_1) | instskip(NEXT) | instid1(VALU_DEP_1)
	v_min_u32_e32 v7, 32, v2
	v_subrev_nc_u32_e32 v2, 28, v7
	s_delay_alu instid0(VALU_DEP_1) | instskip(NEXT) | instid1(VALU_DEP_1)
	v_lshlrev_b64_e32 v[2:3], v2, v[16:17]
	v_dual_sub_nc_u32 v3, 29, v7 :: v_dual_bitop2_b32 v2, 7, v2 bitop3:0x40
; %bb.1631:                             ;   in Loop: Header=BB372_10 Depth=1
	s_or_b32 exec_lo, exec_lo, s18
	v_lshlrev_b32_e32 v6, 24, v6
	s_delay_alu instid0(VALU_DEP_2) | instskip(NEXT) | instid1(VALU_DEP_3)
	v_lshlrev_b32_e32 v2, 20, v2
	v_lshl_add_u32 v3, v3, 23, 0x3c000000
	s_delay_alu instid0(VALU_DEP_3) | instskip(NEXT) | instid1(VALU_DEP_1)
	v_and_b32_e32 v6, 0x80000000, v6
	v_or3_b32 v78, v2, v6, v3
.LBB372_1632:                           ;   in Loop: Header=BB372_10 Depth=1
	s_or_b32 exec_lo, exec_lo, s17
.LBB372_1633:                           ;   in Loop: Header=BB372_10 Depth=1
	s_delay_alu instid0(SALU_CYCLE_1)
	s_or_b32 exec_lo, exec_lo, s16
.LBB372_1634:                           ;   in Loop: Header=BB372_10 Depth=1
	s_delay_alu instid0(SALU_CYCLE_1)
	s_or_b32 exec_lo, exec_lo, s11
	v_dual_mov_b32 v18, 0 :: v_dual_mov_b32 v79, 0
	s_mov_b32 s11, exec_lo
	v_cmpx_lt_u32_e32 0xffffff, v0
	s_cbranch_execz .LBB372_1642
; %bb.1635:                             ;   in Loop: Header=BB372_10 Depth=1
	v_lshrrev_b32_e32 v6, 24, v0
	v_bfrev_b32_e32 v79, 1
	s_mov_b32 s16, exec_lo
	s_delay_alu instid0(VALU_DEP_2)
	v_cmpx_ne_u32_e32 0x80, v6
	s_cbranch_execz .LBB372_1641
; %bb.1636:                             ;   in Loop: Header=BB372_10 Depth=1
	v_bfe_u32 v7, v0, 24, 7
	v_mov_b32_e32 v79, 0x7f800001
	s_mov_b32 s17, exec_lo
	s_delay_alu instid0(VALU_DEP_2)
	v_cmpx_ne_u32_e32 0x7f, v7
	s_cbranch_execz .LBB372_1640
; %bb.1637:                             ;   in Loop: Header=BB372_10 Depth=1
	v_and_b32_e32 v16, 7, v6
	s_mov_b32 s18, exec_lo
	s_delay_alu instid0(VALU_DEP_1)
	v_mov_b64_e32 v[2:3], v[16:17]
	v_lshrrev_b32_e32 v3, 3, v7
	v_cmpx_gt_u32_e32 8, v7
; %bb.1638:                             ;   in Loop: Header=BB372_10 Depth=1
	v_clz_i32_u32_e32 v2, v16
	s_delay_alu instid0(VALU_DEP_1) | instskip(NEXT) | instid1(VALU_DEP_1)
	v_min_u32_e32 v7, 32, v2
	v_subrev_nc_u32_e32 v2, 28, v7
	s_delay_alu instid0(VALU_DEP_1) | instskip(NEXT) | instid1(VALU_DEP_1)
	v_lshlrev_b64_e32 v[2:3], v2, v[16:17]
	v_dual_sub_nc_u32 v3, 29, v7 :: v_dual_bitop2_b32 v2, 7, v2 bitop3:0x40
; %bb.1639:                             ;   in Loop: Header=BB372_10 Depth=1
	s_or_b32 exec_lo, exec_lo, s18
	v_lshlrev_b32_e32 v6, 24, v6
	s_delay_alu instid0(VALU_DEP_2) | instskip(NEXT) | instid1(VALU_DEP_3)
	v_lshlrev_b32_e32 v2, 20, v2
	v_lshl_add_u32 v3, v3, 23, 0x3c000000
	s_delay_alu instid0(VALU_DEP_3) | instskip(NEXT) | instid1(VALU_DEP_1)
	v_and_b32_e32 v6, 0x80000000, v6
	v_or3_b32 v79, v2, v6, v3
.LBB372_1640:                           ;   in Loop: Header=BB372_10 Depth=1
	s_or_b32 exec_lo, exec_lo, s17
.LBB372_1641:                           ;   in Loop: Header=BB372_10 Depth=1
	s_delay_alu instid0(SALU_CYCLE_1)
	s_or_b32 exec_lo, exec_lo, s16
.LBB372_1642:                           ;   in Loop: Header=BB372_10 Depth=1
	s_delay_alu instid0(SALU_CYCLE_1) | instskip(SKIP_3) | instid1(VALU_DEP_2)
	s_or_b32 exec_lo, exec_lo, s11
	v_and_b32_e32 v2, 0xff, v1
	v_mov_b32_e32 v16, v1
	s_mov_b32 s11, exec_lo
	v_cmpx_ne_u16_e32 0, v2
	s_cbranch_execz .LBB372_1650
; %bb.1643:                             ;   in Loop: Header=BB372_10 Depth=1
	v_bfrev_b32_e32 v18, 1
	s_mov_b32 s16, exec_lo
	v_cmpx_ne_u16_e32 0x80, v2
	s_cbranch_execz .LBB372_1649
; %bb.1644:                             ;   in Loop: Header=BB372_10 Depth=1
	v_and_b32_e32 v6, 0x7f, v1
	v_mov_b32_e32 v18, 0x7f800001
	s_mov_b32 s17, exec_lo
	s_delay_alu instid0(VALU_DEP_2)
	v_cmpx_ne_u32_e32 0x7f, v6
	s_cbranch_execz .LBB372_1648
; %bb.1645:                             ;   in Loop: Header=BB372_10 Depth=1
	v_mov_b64_e32 v[2:3], v[16:17]
	v_lshrrev_b32_e32 v3, 3, v6
	s_mov_b32 s18, exec_lo
	v_cmpx_gt_u32_e32 8, v6
; %bb.1646:                             ;   in Loop: Header=BB372_10 Depth=1
	v_and_b32_e32 v2, 7, v1
	s_delay_alu instid0(VALU_DEP_1) | instskip(NEXT) | instid1(VALU_DEP_1)
	v_clz_i32_u32_e32 v2, v2
	v_min_u32_e32 v6, 32, v2
	s_delay_alu instid0(VALU_DEP_1) | instskip(NEXT) | instid1(VALU_DEP_1)
	v_subrev_nc_u32_e32 v2, 28, v6
	v_lshlrev_b64_e32 v[2:3], v2, v[16:17]
	v_sub_nc_u32_e32 v3, 29, v6
; %bb.1647:                             ;   in Loop: Header=BB372_10 Depth=1
	s_or_b32 exec_lo, exec_lo, s18
	s_delay_alu instid0(VALU_DEP_2) | instskip(NEXT) | instid1(VALU_DEP_2)
	v_dual_lshlrev_b32 v2, 20, v2 :: v_dual_lshlrev_b32 v6, 24, v16
	v_lshl_add_u32 v3, v3, 23, 0x3c000000
	s_delay_alu instid0(VALU_DEP_2) | instskip(NEXT) | instid1(VALU_DEP_3)
	v_and_b32_e32 v2, 0x700000, v2
	v_and_b32_e32 v6, 0x80000000, v6
	s_delay_alu instid0(VALU_DEP_1)
	v_or3_b32 v18, v2, v6, v3
.LBB372_1648:                           ;   in Loop: Header=BB372_10 Depth=1
	s_or_b32 exec_lo, exec_lo, s17
.LBB372_1649:                           ;   in Loop: Header=BB372_10 Depth=1
	s_delay_alu instid0(SALU_CYCLE_1)
	s_or_b32 exec_lo, exec_lo, s16
.LBB372_1650:                           ;   in Loop: Header=BB372_10 Depth=1
	s_delay_alu instid0(SALU_CYCLE_1) | instskip(SKIP_3) | instid1(VALU_DEP_2)
	s_or_b32 exec_lo, exec_lo, s11
	v_lshrrev_b16 v2, 8, v16
	v_dual_mov_b32 v104, 0 :: v_dual_mov_b32 v19, 0
	s_mov_b32 s11, exec_lo
	v_cmpx_ne_u16_e32 0, v2
	s_cbranch_execz .LBB372_1658
; %bb.1651:                             ;   in Loop: Header=BB372_10 Depth=1
	v_bfrev_b32_e32 v19, 1
	s_mov_b32 s16, exec_lo
	v_cmpx_ne_u16_e32 0x80, v2
	s_cbranch_execz .LBB372_1657
; %bb.1652:                             ;   in Loop: Header=BB372_10 Depth=1
	v_and_b32_e32 v2, 0xffff, v2
	v_mov_b32_e32 v19, 0x7f800001
	s_mov_b32 s17, exec_lo
	s_delay_alu instid0(VALU_DEP_2) | instskip(NEXT) | instid1(VALU_DEP_1)
	v_and_b32_e32 v7, 0x7f, v2
	v_cmpx_ne_u32_e32 0x7f, v7
	s_cbranch_execz .LBB372_1656
; %bb.1653:                             ;   in Loop: Header=BB372_10 Depth=1
	v_dual_mov_b32 v3, v17 :: v_dual_bitop2_b32 v2, 7, v2 bitop3:0x40
	v_lshrrev_b32_e32 v6, 3, v7
	s_mov_b32 s18, exec_lo
	v_cmpx_gt_u32_e32 8, v7
; %bb.1654:                             ;   in Loop: Header=BB372_10 Depth=1
	s_delay_alu instid0(VALU_DEP_3) | instskip(NEXT) | instid1(VALU_DEP_1)
	v_clz_i32_u32_e32 v6, v2
	v_min_u32_e32 v6, 32, v6
	s_delay_alu instid0(VALU_DEP_1) | instskip(SKIP_1) | instid1(VALU_DEP_2)
	v_subrev_nc_u32_e32 v7, 28, v6
	v_sub_nc_u32_e32 v6, 29, v6
	v_lshlrev_b64_e32 v[2:3], v7, v[2:3]
	s_delay_alu instid0(VALU_DEP_1)
	v_and_b32_e32 v2, 7, v2
; %bb.1655:                             ;   in Loop: Header=BB372_10 Depth=1
	s_or_b32 exec_lo, exec_lo, s18
	s_delay_alu instid0(VALU_DEP_1) | instskip(SKIP_1) | instid1(VALU_DEP_2)
	v_dual_lshlrev_b32 v3, 16, v16 :: v_dual_lshlrev_b32 v2, 20, v2
	v_lshl_add_u32 v6, v6, 23, 0x3c000000
	v_and_b32_e32 v3, 0x80000000, v3
	s_delay_alu instid0(VALU_DEP_1)
	v_or3_b32 v19, v2, v3, v6
.LBB372_1656:                           ;   in Loop: Header=BB372_10 Depth=1
	s_or_b32 exec_lo, exec_lo, s17
.LBB372_1657:                           ;   in Loop: Header=BB372_10 Depth=1
	s_delay_alu instid0(SALU_CYCLE_1)
	s_or_b32 exec_lo, exec_lo, s16
.LBB372_1658:                           ;   in Loop: Header=BB372_10 Depth=1
	s_delay_alu instid0(SALU_CYCLE_1) | instskip(SKIP_2) | instid1(VALU_DEP_1)
	s_or_b32 exec_lo, exec_lo, s11
	v_lshrrev_b32_e32 v6, 16, v1
	s_mov_b32 s11, exec_lo
	v_and_b32_e32 v2, 0xff, v6
	s_delay_alu instid0(VALU_DEP_1)
	v_cmpx_ne_u16_e32 0, v2
	s_cbranch_execz .LBB372_1666
; %bb.1659:                             ;   in Loop: Header=BB372_10 Depth=1
	v_bfrev_b32_e32 v104, 1
	s_mov_b32 s16, exec_lo
	v_cmpx_ne_u16_e32 0x80, v2
	s_cbranch_execz .LBB372_1665
; %bb.1660:                             ;   in Loop: Header=BB372_10 Depth=1
	v_bfe_u32 v7, v1, 16, 7
	v_mov_b32_e32 v104, 0x7f800001
	s_mov_b32 s17, exec_lo
	s_delay_alu instid0(VALU_DEP_2)
	v_cmpx_ne_u32_e32 0x7f, v7
	s_cbranch_execz .LBB372_1664
; %bb.1661:                             ;   in Loop: Header=BB372_10 Depth=1
	v_and_b32_e32 v16, 7, v6
	s_mov_b32 s18, exec_lo
	s_delay_alu instid0(VALU_DEP_1)
	v_mov_b64_e32 v[2:3], v[16:17]
	v_lshrrev_b32_e32 v3, 3, v7
	v_cmpx_gt_u32_e32 8, v7
; %bb.1662:                             ;   in Loop: Header=BB372_10 Depth=1
	v_clz_i32_u32_e32 v2, v16
	s_delay_alu instid0(VALU_DEP_1) | instskip(NEXT) | instid1(VALU_DEP_1)
	v_min_u32_e32 v7, 32, v2
	v_subrev_nc_u32_e32 v2, 28, v7
	s_delay_alu instid0(VALU_DEP_1) | instskip(NEXT) | instid1(VALU_DEP_1)
	v_lshlrev_b64_e32 v[2:3], v2, v[16:17]
	v_dual_sub_nc_u32 v3, 29, v7 :: v_dual_bitop2_b32 v2, 7, v2 bitop3:0x40
; %bb.1663:                             ;   in Loop: Header=BB372_10 Depth=1
	s_or_b32 exec_lo, exec_lo, s18
	v_lshlrev_b32_e32 v6, 24, v6
	s_delay_alu instid0(VALU_DEP_2) | instskip(NEXT) | instid1(VALU_DEP_3)
	v_lshlrev_b32_e32 v2, 20, v2
	v_lshl_add_u32 v3, v3, 23, 0x3c000000
	s_delay_alu instid0(VALU_DEP_3) | instskip(NEXT) | instid1(VALU_DEP_1)
	v_and_b32_e32 v6, 0x80000000, v6
	v_or3_b32 v104, v2, v6, v3
.LBB372_1664:                           ;   in Loop: Header=BB372_10 Depth=1
	s_or_b32 exec_lo, exec_lo, s17
.LBB372_1665:                           ;   in Loop: Header=BB372_10 Depth=1
	s_delay_alu instid0(SALU_CYCLE_1)
	s_or_b32 exec_lo, exec_lo, s16
.LBB372_1666:                           ;   in Loop: Header=BB372_10 Depth=1
	s_delay_alu instid0(SALU_CYCLE_1)
	s_or_b32 exec_lo, exec_lo, s11
	v_dual_mov_b32 v94, 0 :: v_dual_mov_b32 v105, 0
	s_mov_b32 s11, exec_lo
	v_cmpx_lt_u64_e64 s[2:3], v[0:1]
	s_cbranch_execz .LBB372_1674
; %bb.1667:                             ;   in Loop: Header=BB372_10 Depth=1
	v_lshrrev_b32_e32 v2, 24, v1
	v_bfrev_b32_e32 v105, 1
	s_mov_b32 s16, exec_lo
	s_delay_alu instid0(VALU_DEP_2)
	v_cmpx_ne_u32_e32 0x80, v2
	s_cbranch_execz .LBB372_1673
; %bb.1668:                             ;   in Loop: Header=BB372_10 Depth=1
	v_bfe_u32 v3, v1, 24, 7
	v_mov_b32_e32 v105, 0x7f800001
	s_mov_b32 s17, exec_lo
	s_delay_alu instid0(VALU_DEP_2)
	v_cmpx_ne_u32_e32 0x7f, v3
	s_cbranch_execz .LBB372_1672
; %bb.1669:                             ;   in Loop: Header=BB372_10 Depth=1
	v_and_b32_e32 v16, 7, v2
	s_mov_b32 s18, exec_lo
	s_delay_alu instid0(VALU_DEP_1)
	v_mov_b64_e32 v[0:1], v[16:17]
	v_lshrrev_b32_e32 v1, 3, v3
	v_cmpx_gt_u32_e32 8, v3
; %bb.1670:                             ;   in Loop: Header=BB372_10 Depth=1
	v_clz_i32_u32_e32 v0, v16
	s_delay_alu instid0(VALU_DEP_1) | instskip(NEXT) | instid1(VALU_DEP_1)
	v_min_u32_e32 v3, 32, v0
	v_subrev_nc_u32_e32 v0, 28, v3
	s_delay_alu instid0(VALU_DEP_1) | instskip(NEXT) | instid1(VALU_DEP_1)
	v_lshlrev_b64_e32 v[0:1], v0, v[16:17]
	v_dual_sub_nc_u32 v1, 29, v3 :: v_dual_bitop2_b32 v0, 7, v0 bitop3:0x40
; %bb.1671:                             ;   in Loop: Header=BB372_10 Depth=1
	s_or_b32 exec_lo, exec_lo, s18
	s_delay_alu instid0(VALU_DEP_1) | instskip(NEXT) | instid1(VALU_DEP_2)
	v_dual_lshlrev_b32 v2, 24, v2 :: v_dual_lshlrev_b32 v0, 20, v0
	v_lshl_add_u32 v1, v1, 23, 0x3c000000
	s_delay_alu instid0(VALU_DEP_2) | instskip(NEXT) | instid1(VALU_DEP_1)
	v_and_b32_e32 v2, 0x80000000, v2
	v_or3_b32 v105, v0, v2, v1
.LBB372_1672:                           ;   in Loop: Header=BB372_10 Depth=1
	s_or_b32 exec_lo, exec_lo, s17
.LBB372_1673:                           ;   in Loop: Header=BB372_10 Depth=1
	s_delay_alu instid0(SALU_CYCLE_1)
	s_or_b32 exec_lo, exec_lo, s16
.LBB372_1674:                           ;   in Loop: Header=BB372_10 Depth=1
	s_delay_alu instid0(SALU_CYCLE_1)
	s_or_b32 exec_lo, exec_lo, s11
	flat_load_b64 v[0:1], v[96:97] offset:6656
	s_mov_b32 s11, exec_lo
	s_wait_loadcnt_dscnt 0x0
	v_and_b32_e32 v2, 0xff, v0
	s_wait_xcnt 0x0
	s_delay_alu instid0(VALU_DEP_1)
	v_cmpx_ne_u16_e32 0, v2
	s_cbranch_execz .LBB372_1682
; %bb.1675:                             ;   in Loop: Header=BB372_10 Depth=1
	v_bfrev_b32_e32 v94, 1
	s_mov_b32 s16, exec_lo
	v_cmpx_ne_u16_e32 0x80, v2
	s_cbranch_execz .LBB372_1681
; %bb.1676:                             ;   in Loop: Header=BB372_10 Depth=1
	v_and_b32_e32 v2, 0x7f, v0
	v_mov_b32_e32 v94, 0x7f800001
	s_mov_b32 s17, exec_lo
	s_delay_alu instid0(VALU_DEP_2)
	v_cmpx_ne_u32_e32 0x7f, v2
	s_cbranch_execz .LBB372_1680
; %bb.1677:                             ;   in Loop: Header=BB372_10 Depth=1
	v_lshrrev_b32_e32 v6, 3, v2
	v_cmp_gt_u32_e64 s1, 8, v2
	v_mov_b64_e32 v[2:3], v[0:1]
	s_and_saveexec_b32 s18, s1
; %bb.1678:                             ;   in Loop: Header=BB372_10 Depth=1
	v_and_b32_e32 v2, 7, v0
	s_delay_alu instid0(VALU_DEP_1) | instskip(NEXT) | instid1(VALU_DEP_1)
	v_clz_i32_u32_e32 v2, v2
	v_min_u32_e32 v6, 32, v2
	s_delay_alu instid0(VALU_DEP_1) | instskip(SKIP_1) | instid1(VALU_DEP_2)
	v_subrev_nc_u32_e32 v2, 28, v6
	v_sub_nc_u32_e32 v6, 29, v6
	v_lshlrev_b64_e32 v[2:3], v2, v[0:1]
; %bb.1679:                             ;   in Loop: Header=BB372_10 Depth=1
	s_or_b32 exec_lo, exec_lo, s18
	s_delay_alu instid0(VALU_DEP_1) | instskip(NEXT) | instid1(VALU_DEP_3)
	v_dual_lshlrev_b32 v2, 20, v2 :: v_dual_lshlrev_b32 v3, 24, v0
	v_lshl_add_u32 v6, v6, 23, 0x3c000000
	s_delay_alu instid0(VALU_DEP_2) | instskip(NEXT) | instid1(VALU_DEP_3)
	v_and_b32_e32 v2, 0x700000, v2
	v_and_b32_e32 v3, 0x80000000, v3
	s_delay_alu instid0(VALU_DEP_1)
	v_or3_b32 v94, v2, v3, v6
.LBB372_1680:                           ;   in Loop: Header=BB372_10 Depth=1
	s_or_b32 exec_lo, exec_lo, s17
.LBB372_1681:                           ;   in Loop: Header=BB372_10 Depth=1
	s_delay_alu instid0(SALU_CYCLE_1)
	s_or_b32 exec_lo, exec_lo, s16
.LBB372_1682:                           ;   in Loop: Header=BB372_10 Depth=1
	s_delay_alu instid0(SALU_CYCLE_1) | instskip(SKIP_3) | instid1(VALU_DEP_2)
	s_or_b32 exec_lo, exec_lo, s11
	v_lshrrev_b16 v2, 8, v0
	v_dual_mov_b32 v68, 0 :: v_dual_mov_b32 v95, 0
	s_mov_b32 s11, exec_lo
	v_cmpx_ne_u16_e32 0, v2
	s_cbranch_execz .LBB372_1690
; %bb.1683:                             ;   in Loop: Header=BB372_10 Depth=1
	v_bfrev_b32_e32 v95, 1
	s_mov_b32 s16, exec_lo
	v_cmpx_ne_u16_e32 0x80, v2
	s_cbranch_execz .LBB372_1689
; %bb.1684:                             ;   in Loop: Header=BB372_10 Depth=1
	v_and_b32_e32 v2, 0xffff, v2
	v_mov_b32_e32 v95, 0x7f800001
	s_mov_b32 s17, exec_lo
	s_delay_alu instid0(VALU_DEP_2) | instskip(NEXT) | instid1(VALU_DEP_1)
	v_and_b32_e32 v6, 0x7f, v2
	v_cmpx_ne_u32_e32 0x7f, v6
	s_cbranch_execz .LBB372_1688
; %bb.1685:                             ;   in Loop: Header=BB372_10 Depth=1
	v_and_b32_e32 v16, 7, v2
	s_mov_b32 s18, exec_lo
	s_delay_alu instid0(VALU_DEP_1)
	v_mov_b64_e32 v[2:3], v[16:17]
	v_lshrrev_b32_e32 v3, 3, v6
	v_cmpx_gt_u32_e32 8, v6
; %bb.1686:                             ;   in Loop: Header=BB372_10 Depth=1
	v_clz_i32_u32_e32 v2, v16
	s_delay_alu instid0(VALU_DEP_1) | instskip(NEXT) | instid1(VALU_DEP_1)
	v_min_u32_e32 v6, 32, v2
	v_subrev_nc_u32_e32 v2, 28, v6
	s_delay_alu instid0(VALU_DEP_1) | instskip(SKIP_1) | instid1(VALU_DEP_2)
	v_lshlrev_b64_e32 v[2:3], v2, v[16:17]
	v_sub_nc_u32_e32 v3, 29, v6
	v_and_b32_e32 v2, 7, v2
; %bb.1687:                             ;   in Loop: Header=BB372_10 Depth=1
	s_or_b32 exec_lo, exec_lo, s18
	s_delay_alu instid0(VALU_DEP_1) | instskip(NEXT) | instid1(VALU_DEP_3)
	v_dual_lshlrev_b32 v6, 16, v0 :: v_dual_lshlrev_b32 v2, 20, v2
	v_lshl_add_u32 v3, v3, 23, 0x3c000000
	s_delay_alu instid0(VALU_DEP_2) | instskip(NEXT) | instid1(VALU_DEP_1)
	v_and_b32_e32 v6, 0x80000000, v6
	v_or3_b32 v95, v2, v6, v3
.LBB372_1688:                           ;   in Loop: Header=BB372_10 Depth=1
	s_or_b32 exec_lo, exec_lo, s17
.LBB372_1689:                           ;   in Loop: Header=BB372_10 Depth=1
	s_delay_alu instid0(SALU_CYCLE_1)
	s_or_b32 exec_lo, exec_lo, s16
.LBB372_1690:                           ;   in Loop: Header=BB372_10 Depth=1
	s_delay_alu instid0(SALU_CYCLE_1) | instskip(SKIP_2) | instid1(VALU_DEP_1)
	s_or_b32 exec_lo, exec_lo, s11
	v_lshrrev_b32_e32 v6, 16, v0
	s_mov_b32 s11, exec_lo
	v_and_b32_e32 v2, 0xff, v6
	s_delay_alu instid0(VALU_DEP_1)
	v_cmpx_ne_u16_e32 0, v2
	s_cbranch_execz .LBB372_1698
; %bb.1691:                             ;   in Loop: Header=BB372_10 Depth=1
	v_bfrev_b32_e32 v68, 1
	s_mov_b32 s16, exec_lo
	v_cmpx_ne_u16_e32 0x80, v2
	s_cbranch_execz .LBB372_1697
; %bb.1692:                             ;   in Loop: Header=BB372_10 Depth=1
	v_bfe_u32 v7, v0, 16, 7
	v_mov_b32_e32 v68, 0x7f800001
	s_mov_b32 s17, exec_lo
	s_delay_alu instid0(VALU_DEP_2)
	v_cmpx_ne_u32_e32 0x7f, v7
	s_cbranch_execz .LBB372_1696
; %bb.1693:                             ;   in Loop: Header=BB372_10 Depth=1
	v_and_b32_e32 v16, 7, v6
	s_mov_b32 s18, exec_lo
	s_delay_alu instid0(VALU_DEP_1)
	v_mov_b64_e32 v[2:3], v[16:17]
	v_lshrrev_b32_e32 v3, 3, v7
	v_cmpx_gt_u32_e32 8, v7
; %bb.1694:                             ;   in Loop: Header=BB372_10 Depth=1
	v_clz_i32_u32_e32 v2, v16
	s_delay_alu instid0(VALU_DEP_1) | instskip(NEXT) | instid1(VALU_DEP_1)
	v_min_u32_e32 v7, 32, v2
	v_subrev_nc_u32_e32 v2, 28, v7
	s_delay_alu instid0(VALU_DEP_1) | instskip(NEXT) | instid1(VALU_DEP_1)
	v_lshlrev_b64_e32 v[2:3], v2, v[16:17]
	v_dual_sub_nc_u32 v3, 29, v7 :: v_dual_bitop2_b32 v2, 7, v2 bitop3:0x40
; %bb.1695:                             ;   in Loop: Header=BB372_10 Depth=1
	s_or_b32 exec_lo, exec_lo, s18
	v_lshlrev_b32_e32 v6, 24, v6
	s_delay_alu instid0(VALU_DEP_2) | instskip(NEXT) | instid1(VALU_DEP_3)
	v_lshlrev_b32_e32 v2, 20, v2
	v_lshl_add_u32 v3, v3, 23, 0x3c000000
	s_delay_alu instid0(VALU_DEP_3) | instskip(NEXT) | instid1(VALU_DEP_1)
	v_and_b32_e32 v6, 0x80000000, v6
	v_or3_b32 v68, v2, v6, v3
.LBB372_1696:                           ;   in Loop: Header=BB372_10 Depth=1
	s_or_b32 exec_lo, exec_lo, s17
.LBB372_1697:                           ;   in Loop: Header=BB372_10 Depth=1
	s_delay_alu instid0(SALU_CYCLE_1)
	s_or_b32 exec_lo, exec_lo, s16
.LBB372_1698:                           ;   in Loop: Header=BB372_10 Depth=1
	s_delay_alu instid0(SALU_CYCLE_1)
	s_or_b32 exec_lo, exec_lo, s11
	v_dual_mov_b32 v40, 0 :: v_dual_mov_b32 v69, 0
	s_mov_b32 s11, exec_lo
	v_cmpx_lt_u32_e32 0xffffff, v0
	s_cbranch_execz .LBB372_1706
; %bb.1699:                             ;   in Loop: Header=BB372_10 Depth=1
	v_lshrrev_b32_e32 v6, 24, v0
	v_bfrev_b32_e32 v69, 1
	s_mov_b32 s16, exec_lo
	s_delay_alu instid0(VALU_DEP_2)
	v_cmpx_ne_u32_e32 0x80, v6
	s_cbranch_execz .LBB372_1705
; %bb.1700:                             ;   in Loop: Header=BB372_10 Depth=1
	v_bfe_u32 v7, v0, 24, 7
	v_mov_b32_e32 v69, 0x7f800001
	s_mov_b32 s17, exec_lo
	s_delay_alu instid0(VALU_DEP_2)
	v_cmpx_ne_u32_e32 0x7f, v7
	s_cbranch_execz .LBB372_1704
; %bb.1701:                             ;   in Loop: Header=BB372_10 Depth=1
	v_and_b32_e32 v16, 7, v6
	s_mov_b32 s18, exec_lo
	s_delay_alu instid0(VALU_DEP_1)
	v_mov_b64_e32 v[2:3], v[16:17]
	v_lshrrev_b32_e32 v3, 3, v7
	v_cmpx_gt_u32_e32 8, v7
; %bb.1702:                             ;   in Loop: Header=BB372_10 Depth=1
	v_clz_i32_u32_e32 v2, v16
	s_delay_alu instid0(VALU_DEP_1) | instskip(NEXT) | instid1(VALU_DEP_1)
	v_min_u32_e32 v7, 32, v2
	v_subrev_nc_u32_e32 v2, 28, v7
	s_delay_alu instid0(VALU_DEP_1) | instskip(NEXT) | instid1(VALU_DEP_1)
	v_lshlrev_b64_e32 v[2:3], v2, v[16:17]
	v_dual_sub_nc_u32 v3, 29, v7 :: v_dual_bitop2_b32 v2, 7, v2 bitop3:0x40
; %bb.1703:                             ;   in Loop: Header=BB372_10 Depth=1
	s_or_b32 exec_lo, exec_lo, s18
	v_lshlrev_b32_e32 v6, 24, v6
	s_delay_alu instid0(VALU_DEP_2) | instskip(NEXT) | instid1(VALU_DEP_3)
	v_lshlrev_b32_e32 v2, 20, v2
	v_lshl_add_u32 v3, v3, 23, 0x3c000000
	s_delay_alu instid0(VALU_DEP_3) | instskip(NEXT) | instid1(VALU_DEP_1)
	v_and_b32_e32 v6, 0x80000000, v6
	v_or3_b32 v69, v2, v6, v3
.LBB372_1704:                           ;   in Loop: Header=BB372_10 Depth=1
	s_or_b32 exec_lo, exec_lo, s17
.LBB372_1705:                           ;   in Loop: Header=BB372_10 Depth=1
	s_delay_alu instid0(SALU_CYCLE_1)
	s_or_b32 exec_lo, exec_lo, s16
.LBB372_1706:                           ;   in Loop: Header=BB372_10 Depth=1
	s_delay_alu instid0(SALU_CYCLE_1) | instskip(SKIP_3) | instid1(VALU_DEP_2)
	s_or_b32 exec_lo, exec_lo, s11
	v_and_b32_e32 v2, 0xff, v1
	v_mov_b32_e32 v16, v1
	s_mov_b32 s11, exec_lo
	v_cmpx_ne_u16_e32 0, v2
	s_cbranch_execz .LBB372_1714
; %bb.1707:                             ;   in Loop: Header=BB372_10 Depth=1
	v_bfrev_b32_e32 v40, 1
	s_mov_b32 s16, exec_lo
	v_cmpx_ne_u16_e32 0x80, v2
	s_cbranch_execz .LBB372_1713
; %bb.1708:                             ;   in Loop: Header=BB372_10 Depth=1
	v_and_b32_e32 v6, 0x7f, v1
	v_mov_b32_e32 v40, 0x7f800001
	s_mov_b32 s17, exec_lo
	s_delay_alu instid0(VALU_DEP_2)
	v_cmpx_ne_u32_e32 0x7f, v6
	s_cbranch_execz .LBB372_1712
; %bb.1709:                             ;   in Loop: Header=BB372_10 Depth=1
	v_mov_b64_e32 v[2:3], v[16:17]
	v_lshrrev_b32_e32 v3, 3, v6
	s_mov_b32 s18, exec_lo
	v_cmpx_gt_u32_e32 8, v6
; %bb.1710:                             ;   in Loop: Header=BB372_10 Depth=1
	v_and_b32_e32 v2, 7, v1
	s_delay_alu instid0(VALU_DEP_1) | instskip(NEXT) | instid1(VALU_DEP_1)
	v_clz_i32_u32_e32 v2, v2
	v_min_u32_e32 v6, 32, v2
	s_delay_alu instid0(VALU_DEP_1) | instskip(NEXT) | instid1(VALU_DEP_1)
	v_subrev_nc_u32_e32 v2, 28, v6
	v_lshlrev_b64_e32 v[2:3], v2, v[16:17]
	v_sub_nc_u32_e32 v3, 29, v6
; %bb.1711:                             ;   in Loop: Header=BB372_10 Depth=1
	s_or_b32 exec_lo, exec_lo, s18
	s_delay_alu instid0(VALU_DEP_2) | instskip(NEXT) | instid1(VALU_DEP_2)
	v_dual_lshlrev_b32 v2, 20, v2 :: v_dual_lshlrev_b32 v6, 24, v16
	v_lshl_add_u32 v3, v3, 23, 0x3c000000
	s_delay_alu instid0(VALU_DEP_2) | instskip(NEXT) | instid1(VALU_DEP_3)
	v_and_b32_e32 v2, 0x700000, v2
	v_and_b32_e32 v6, 0x80000000, v6
	s_delay_alu instid0(VALU_DEP_1)
	v_or3_b32 v40, v2, v6, v3
.LBB372_1712:                           ;   in Loop: Header=BB372_10 Depth=1
	s_or_b32 exec_lo, exec_lo, s17
.LBB372_1713:                           ;   in Loop: Header=BB372_10 Depth=1
	s_delay_alu instid0(SALU_CYCLE_1)
	s_or_b32 exec_lo, exec_lo, s16
.LBB372_1714:                           ;   in Loop: Header=BB372_10 Depth=1
	s_delay_alu instid0(SALU_CYCLE_1) | instskip(SKIP_3) | instid1(VALU_DEP_2)
	s_or_b32 exec_lo, exec_lo, s11
	v_lshrrev_b16 v2, 8, v16
	v_dual_mov_b32 v12, 0 :: v_dual_mov_b32 v41, 0
	s_mov_b32 s11, exec_lo
	v_cmpx_ne_u16_e32 0, v2
	s_cbranch_execz .LBB372_1722
; %bb.1715:                             ;   in Loop: Header=BB372_10 Depth=1
	v_bfrev_b32_e32 v41, 1
	s_mov_b32 s16, exec_lo
	v_cmpx_ne_u16_e32 0x80, v2
	s_cbranch_execz .LBB372_1721
; %bb.1716:                             ;   in Loop: Header=BB372_10 Depth=1
	v_and_b32_e32 v2, 0xffff, v2
	v_mov_b32_e32 v41, 0x7f800001
	s_mov_b32 s17, exec_lo
	s_delay_alu instid0(VALU_DEP_2) | instskip(NEXT) | instid1(VALU_DEP_1)
	v_and_b32_e32 v7, 0x7f, v2
	v_cmpx_ne_u32_e32 0x7f, v7
	s_cbranch_execz .LBB372_1720
; %bb.1717:                             ;   in Loop: Header=BB372_10 Depth=1
	v_dual_mov_b32 v3, v17 :: v_dual_bitop2_b32 v2, 7, v2 bitop3:0x40
	v_lshrrev_b32_e32 v6, 3, v7
	s_mov_b32 s18, exec_lo
	v_cmpx_gt_u32_e32 8, v7
; %bb.1718:                             ;   in Loop: Header=BB372_10 Depth=1
	s_delay_alu instid0(VALU_DEP_3) | instskip(NEXT) | instid1(VALU_DEP_1)
	v_clz_i32_u32_e32 v6, v2
	v_min_u32_e32 v6, 32, v6
	s_delay_alu instid0(VALU_DEP_1) | instskip(SKIP_1) | instid1(VALU_DEP_2)
	v_subrev_nc_u32_e32 v7, 28, v6
	v_sub_nc_u32_e32 v6, 29, v6
	v_lshlrev_b64_e32 v[2:3], v7, v[2:3]
	s_delay_alu instid0(VALU_DEP_1)
	v_and_b32_e32 v2, 7, v2
; %bb.1719:                             ;   in Loop: Header=BB372_10 Depth=1
	s_or_b32 exec_lo, exec_lo, s18
	s_delay_alu instid0(VALU_DEP_1) | instskip(SKIP_1) | instid1(VALU_DEP_2)
	v_dual_lshlrev_b32 v3, 16, v16 :: v_dual_lshlrev_b32 v2, 20, v2
	v_lshl_add_u32 v6, v6, 23, 0x3c000000
	v_and_b32_e32 v3, 0x80000000, v3
	s_delay_alu instid0(VALU_DEP_1)
	v_or3_b32 v41, v2, v3, v6
.LBB372_1720:                           ;   in Loop: Header=BB372_10 Depth=1
	s_or_b32 exec_lo, exec_lo, s17
.LBB372_1721:                           ;   in Loop: Header=BB372_10 Depth=1
	s_delay_alu instid0(SALU_CYCLE_1)
	s_or_b32 exec_lo, exec_lo, s16
.LBB372_1722:                           ;   in Loop: Header=BB372_10 Depth=1
	s_delay_alu instid0(SALU_CYCLE_1) | instskip(SKIP_2) | instid1(VALU_DEP_1)
	s_or_b32 exec_lo, exec_lo, s11
	v_lshrrev_b32_e32 v6, 16, v1
	s_mov_b32 s11, exec_lo
	v_and_b32_e32 v2, 0xff, v6
	s_delay_alu instid0(VALU_DEP_1)
	v_cmpx_ne_u16_e32 0, v2
	s_cbranch_execz .LBB372_1730
; %bb.1723:                             ;   in Loop: Header=BB372_10 Depth=1
	v_bfrev_b32_e32 v12, 1
	s_mov_b32 s16, exec_lo
	v_cmpx_ne_u16_e32 0x80, v2
	s_cbranch_execz .LBB372_1729
; %bb.1724:                             ;   in Loop: Header=BB372_10 Depth=1
	v_bfe_u32 v7, v1, 16, 7
	v_mov_b32_e32 v12, 0x7f800001
	s_mov_b32 s17, exec_lo
	s_delay_alu instid0(VALU_DEP_2)
	v_cmpx_ne_u32_e32 0x7f, v7
	s_cbranch_execz .LBB372_1728
; %bb.1725:                             ;   in Loop: Header=BB372_10 Depth=1
	v_and_b32_e32 v16, 7, v6
	s_mov_b32 s18, exec_lo
	s_delay_alu instid0(VALU_DEP_1)
	v_mov_b64_e32 v[2:3], v[16:17]
	v_lshrrev_b32_e32 v3, 3, v7
	v_cmpx_gt_u32_e32 8, v7
; %bb.1726:                             ;   in Loop: Header=BB372_10 Depth=1
	v_clz_i32_u32_e32 v2, v16
	s_delay_alu instid0(VALU_DEP_1) | instskip(NEXT) | instid1(VALU_DEP_1)
	v_min_u32_e32 v7, 32, v2
	v_subrev_nc_u32_e32 v2, 28, v7
	s_delay_alu instid0(VALU_DEP_1) | instskip(NEXT) | instid1(VALU_DEP_1)
	v_lshlrev_b64_e32 v[2:3], v2, v[16:17]
	v_dual_sub_nc_u32 v3, 29, v7 :: v_dual_bitop2_b32 v2, 7, v2 bitop3:0x40
; %bb.1727:                             ;   in Loop: Header=BB372_10 Depth=1
	s_or_b32 exec_lo, exec_lo, s18
	v_lshlrev_b32_e32 v6, 24, v6
	s_delay_alu instid0(VALU_DEP_2) | instskip(NEXT) | instid1(VALU_DEP_3)
	v_lshlrev_b32_e32 v2, 20, v2
	v_lshl_add_u32 v3, v3, 23, 0x3c000000
	s_delay_alu instid0(VALU_DEP_3) | instskip(NEXT) | instid1(VALU_DEP_1)
	v_and_b32_e32 v6, 0x80000000, v6
	v_or3_b32 v12, v2, v6, v3
.LBB372_1728:                           ;   in Loop: Header=BB372_10 Depth=1
	s_or_b32 exec_lo, exec_lo, s17
.LBB372_1729:                           ;   in Loop: Header=BB372_10 Depth=1
	s_delay_alu instid0(SALU_CYCLE_1)
	s_or_b32 exec_lo, exec_lo, s16
.LBB372_1730:                           ;   in Loop: Header=BB372_10 Depth=1
	s_delay_alu instid0(SALU_CYCLE_1)
	s_or_b32 exec_lo, exec_lo, s11
	v_dual_mov_b32 v84, 0 :: v_dual_mov_b32 v13, 0
	s_mov_b32 s11, exec_lo
	v_cmpx_lt_u64_e64 s[2:3], v[0:1]
	s_cbranch_execz .LBB372_1738
; %bb.1731:                             ;   in Loop: Header=BB372_10 Depth=1
	v_lshrrev_b32_e32 v2, 24, v1
	v_bfrev_b32_e32 v13, 1
	s_mov_b32 s16, exec_lo
	s_delay_alu instid0(VALU_DEP_2)
	v_cmpx_ne_u32_e32 0x80, v2
	s_cbranch_execz .LBB372_1737
; %bb.1732:                             ;   in Loop: Header=BB372_10 Depth=1
	v_bfe_u32 v3, v1, 24, 7
	v_mov_b32_e32 v13, 0x7f800001
	s_mov_b32 s17, exec_lo
	s_delay_alu instid0(VALU_DEP_2)
	v_cmpx_ne_u32_e32 0x7f, v3
	s_cbranch_execz .LBB372_1736
; %bb.1733:                             ;   in Loop: Header=BB372_10 Depth=1
	v_and_b32_e32 v16, 7, v2
	s_mov_b32 s18, exec_lo
	s_delay_alu instid0(VALU_DEP_1)
	v_mov_b64_e32 v[0:1], v[16:17]
	v_lshrrev_b32_e32 v1, 3, v3
	v_cmpx_gt_u32_e32 8, v3
; %bb.1734:                             ;   in Loop: Header=BB372_10 Depth=1
	v_clz_i32_u32_e32 v0, v16
	s_delay_alu instid0(VALU_DEP_1) | instskip(NEXT) | instid1(VALU_DEP_1)
	v_min_u32_e32 v3, 32, v0
	v_subrev_nc_u32_e32 v0, 28, v3
	s_delay_alu instid0(VALU_DEP_1) | instskip(NEXT) | instid1(VALU_DEP_1)
	v_lshlrev_b64_e32 v[0:1], v0, v[16:17]
	v_dual_sub_nc_u32 v1, 29, v3 :: v_dual_bitop2_b32 v0, 7, v0 bitop3:0x40
; %bb.1735:                             ;   in Loop: Header=BB372_10 Depth=1
	s_or_b32 exec_lo, exec_lo, s18
	s_delay_alu instid0(VALU_DEP_1) | instskip(NEXT) | instid1(VALU_DEP_2)
	v_dual_lshlrev_b32 v2, 24, v2 :: v_dual_lshlrev_b32 v0, 20, v0
	v_lshl_add_u32 v1, v1, 23, 0x3c000000
	s_delay_alu instid0(VALU_DEP_2) | instskip(NEXT) | instid1(VALU_DEP_1)
	v_and_b32_e32 v2, 0x80000000, v2
	v_or3_b32 v13, v0, v2, v1
.LBB372_1736:                           ;   in Loop: Header=BB372_10 Depth=1
	s_or_b32 exec_lo, exec_lo, s17
.LBB372_1737:                           ;   in Loop: Header=BB372_10 Depth=1
	s_delay_alu instid0(SALU_CYCLE_1)
	s_or_b32 exec_lo, exec_lo, s16
.LBB372_1738:                           ;   in Loop: Header=BB372_10 Depth=1
	s_delay_alu instid0(SALU_CYCLE_1)
	s_or_b32 exec_lo, exec_lo, s11
	flat_load_b64 v[0:1], v[96:97] offset:6664
	s_mov_b32 s11, exec_lo
	s_wait_loadcnt_dscnt 0x0
	v_and_b32_e32 v2, 0xff, v0
	s_wait_xcnt 0x0
	s_delay_alu instid0(VALU_DEP_1)
	v_cmpx_ne_u16_e32 0, v2
	s_cbranch_execz .LBB372_1746
; %bb.1739:                             ;   in Loop: Header=BB372_10 Depth=1
	v_bfrev_b32_e32 v84, 1
	s_mov_b32 s16, exec_lo
	v_cmpx_ne_u16_e32 0x80, v2
	s_cbranch_execz .LBB372_1745
; %bb.1740:                             ;   in Loop: Header=BB372_10 Depth=1
	v_and_b32_e32 v2, 0x7f, v0
	v_mov_b32_e32 v84, 0x7f800001
	s_mov_b32 s17, exec_lo
	s_delay_alu instid0(VALU_DEP_2)
	v_cmpx_ne_u32_e32 0x7f, v2
	s_cbranch_execz .LBB372_1744
; %bb.1741:                             ;   in Loop: Header=BB372_10 Depth=1
	v_lshrrev_b32_e32 v6, 3, v2
	v_cmp_gt_u32_e64 s1, 8, v2
	v_mov_b64_e32 v[2:3], v[0:1]
	s_and_saveexec_b32 s18, s1
; %bb.1742:                             ;   in Loop: Header=BB372_10 Depth=1
	v_and_b32_e32 v2, 7, v0
	s_delay_alu instid0(VALU_DEP_1) | instskip(NEXT) | instid1(VALU_DEP_1)
	v_clz_i32_u32_e32 v2, v2
	v_min_u32_e32 v6, 32, v2
	s_delay_alu instid0(VALU_DEP_1) | instskip(SKIP_1) | instid1(VALU_DEP_2)
	v_subrev_nc_u32_e32 v2, 28, v6
	v_sub_nc_u32_e32 v6, 29, v6
	v_lshlrev_b64_e32 v[2:3], v2, v[0:1]
; %bb.1743:                             ;   in Loop: Header=BB372_10 Depth=1
	s_or_b32 exec_lo, exec_lo, s18
	s_delay_alu instid0(VALU_DEP_1) | instskip(NEXT) | instid1(VALU_DEP_3)
	v_dual_lshlrev_b32 v2, 20, v2 :: v_dual_lshlrev_b32 v3, 24, v0
	v_lshl_add_u32 v6, v6, 23, 0x3c000000
	s_delay_alu instid0(VALU_DEP_2) | instskip(NEXT) | instid1(VALU_DEP_3)
	v_and_b32_e32 v2, 0x700000, v2
	v_and_b32_e32 v3, 0x80000000, v3
	s_delay_alu instid0(VALU_DEP_1)
	v_or3_b32 v84, v2, v3, v6
.LBB372_1744:                           ;   in Loop: Header=BB372_10 Depth=1
	s_or_b32 exec_lo, exec_lo, s17
.LBB372_1745:                           ;   in Loop: Header=BB372_10 Depth=1
	s_delay_alu instid0(SALU_CYCLE_1)
	s_or_b32 exec_lo, exec_lo, s16
.LBB372_1746:                           ;   in Loop: Header=BB372_10 Depth=1
	s_delay_alu instid0(SALU_CYCLE_1) | instskip(SKIP_3) | instid1(VALU_DEP_2)
	s_or_b32 exec_lo, exec_lo, s11
	v_lshrrev_b16 v2, 8, v0
	v_dual_mov_b32 v14, 0 :: v_dual_mov_b32 v85, 0
	s_mov_b32 s11, exec_lo
	v_cmpx_ne_u16_e32 0, v2
	s_cbranch_execz .LBB372_1754
; %bb.1747:                             ;   in Loop: Header=BB372_10 Depth=1
	v_bfrev_b32_e32 v85, 1
	s_mov_b32 s16, exec_lo
	v_cmpx_ne_u16_e32 0x80, v2
	s_cbranch_execz .LBB372_1753
; %bb.1748:                             ;   in Loop: Header=BB372_10 Depth=1
	v_and_b32_e32 v2, 0xffff, v2
	v_mov_b32_e32 v85, 0x7f800001
	s_mov_b32 s17, exec_lo
	s_delay_alu instid0(VALU_DEP_2) | instskip(NEXT) | instid1(VALU_DEP_1)
	v_and_b32_e32 v6, 0x7f, v2
	v_cmpx_ne_u32_e32 0x7f, v6
	s_cbranch_execz .LBB372_1752
; %bb.1749:                             ;   in Loop: Header=BB372_10 Depth=1
	v_and_b32_e32 v16, 7, v2
	s_mov_b32 s18, exec_lo
	s_delay_alu instid0(VALU_DEP_1)
	v_mov_b64_e32 v[2:3], v[16:17]
	v_lshrrev_b32_e32 v3, 3, v6
	v_cmpx_gt_u32_e32 8, v6
; %bb.1750:                             ;   in Loop: Header=BB372_10 Depth=1
	v_clz_i32_u32_e32 v2, v16
	s_delay_alu instid0(VALU_DEP_1) | instskip(NEXT) | instid1(VALU_DEP_1)
	v_min_u32_e32 v6, 32, v2
	v_subrev_nc_u32_e32 v2, 28, v6
	s_delay_alu instid0(VALU_DEP_1) | instskip(SKIP_1) | instid1(VALU_DEP_2)
	v_lshlrev_b64_e32 v[2:3], v2, v[16:17]
	v_sub_nc_u32_e32 v3, 29, v6
	v_and_b32_e32 v2, 7, v2
; %bb.1751:                             ;   in Loop: Header=BB372_10 Depth=1
	s_or_b32 exec_lo, exec_lo, s18
	s_delay_alu instid0(VALU_DEP_1) | instskip(NEXT) | instid1(VALU_DEP_3)
	v_dual_lshlrev_b32 v6, 16, v0 :: v_dual_lshlrev_b32 v2, 20, v2
	v_lshl_add_u32 v3, v3, 23, 0x3c000000
	s_delay_alu instid0(VALU_DEP_2) | instskip(NEXT) | instid1(VALU_DEP_1)
	v_and_b32_e32 v6, 0x80000000, v6
	v_or3_b32 v85, v2, v6, v3
.LBB372_1752:                           ;   in Loop: Header=BB372_10 Depth=1
	s_or_b32 exec_lo, exec_lo, s17
.LBB372_1753:                           ;   in Loop: Header=BB372_10 Depth=1
	s_delay_alu instid0(SALU_CYCLE_1)
	s_or_b32 exec_lo, exec_lo, s16
.LBB372_1754:                           ;   in Loop: Header=BB372_10 Depth=1
	s_delay_alu instid0(SALU_CYCLE_1) | instskip(SKIP_2) | instid1(VALU_DEP_1)
	s_or_b32 exec_lo, exec_lo, s11
	v_lshrrev_b32_e32 v6, 16, v0
	s_mov_b32 s11, exec_lo
	v_and_b32_e32 v2, 0xff, v6
	s_delay_alu instid0(VALU_DEP_1)
	v_cmpx_ne_u16_e32 0, v2
	s_cbranch_execz .LBB372_1762
; %bb.1755:                             ;   in Loop: Header=BB372_10 Depth=1
	v_bfrev_b32_e32 v14, 1
	s_mov_b32 s16, exec_lo
	v_cmpx_ne_u16_e32 0x80, v2
	s_cbranch_execz .LBB372_1761
; %bb.1756:                             ;   in Loop: Header=BB372_10 Depth=1
	v_bfe_u32 v7, v0, 16, 7
	v_mov_b32_e32 v14, 0x7f800001
	s_mov_b32 s17, exec_lo
	s_delay_alu instid0(VALU_DEP_2)
	v_cmpx_ne_u32_e32 0x7f, v7
	s_cbranch_execz .LBB372_1760
; %bb.1757:                             ;   in Loop: Header=BB372_10 Depth=1
	v_and_b32_e32 v16, 7, v6
	s_mov_b32 s18, exec_lo
	s_delay_alu instid0(VALU_DEP_1)
	v_mov_b64_e32 v[2:3], v[16:17]
	v_lshrrev_b32_e32 v3, 3, v7
	v_cmpx_gt_u32_e32 8, v7
; %bb.1758:                             ;   in Loop: Header=BB372_10 Depth=1
	v_clz_i32_u32_e32 v2, v16
	s_delay_alu instid0(VALU_DEP_1) | instskip(NEXT) | instid1(VALU_DEP_1)
	v_min_u32_e32 v7, 32, v2
	v_subrev_nc_u32_e32 v2, 28, v7
	s_delay_alu instid0(VALU_DEP_1) | instskip(NEXT) | instid1(VALU_DEP_1)
	v_lshlrev_b64_e32 v[2:3], v2, v[16:17]
	v_dual_sub_nc_u32 v3, 29, v7 :: v_dual_bitop2_b32 v2, 7, v2 bitop3:0x40
; %bb.1759:                             ;   in Loop: Header=BB372_10 Depth=1
	s_or_b32 exec_lo, exec_lo, s18
	v_lshlrev_b32_e32 v6, 24, v6
	s_delay_alu instid0(VALU_DEP_2) | instskip(NEXT) | instid1(VALU_DEP_3)
	v_lshlrev_b32_e32 v2, 20, v2
	v_lshl_add_u32 v3, v3, 23, 0x3c000000
	s_delay_alu instid0(VALU_DEP_3) | instskip(NEXT) | instid1(VALU_DEP_1)
	v_and_b32_e32 v6, 0x80000000, v6
	v_or3_b32 v14, v2, v6, v3
.LBB372_1760:                           ;   in Loop: Header=BB372_10 Depth=1
	s_or_b32 exec_lo, exec_lo, s17
.LBB372_1761:                           ;   in Loop: Header=BB372_10 Depth=1
	s_delay_alu instid0(SALU_CYCLE_1)
	s_or_b32 exec_lo, exec_lo, s16
.LBB372_1762:                           ;   in Loop: Header=BB372_10 Depth=1
	s_delay_alu instid0(SALU_CYCLE_1)
	s_or_b32 exec_lo, exec_lo, s11
	v_dual_mov_b32 v52, 0 :: v_dual_mov_b32 v15, 0
	s_mov_b32 s11, exec_lo
	v_cmpx_lt_u32_e32 0xffffff, v0
	s_cbranch_execz .LBB372_1770
; %bb.1763:                             ;   in Loop: Header=BB372_10 Depth=1
	v_lshrrev_b32_e32 v6, 24, v0
	v_bfrev_b32_e32 v15, 1
	s_mov_b32 s16, exec_lo
	s_delay_alu instid0(VALU_DEP_2)
	v_cmpx_ne_u32_e32 0x80, v6
	s_cbranch_execz .LBB372_1769
; %bb.1764:                             ;   in Loop: Header=BB372_10 Depth=1
	v_bfe_u32 v7, v0, 24, 7
	v_mov_b32_e32 v15, 0x7f800001
	s_mov_b32 s17, exec_lo
	s_delay_alu instid0(VALU_DEP_2)
	v_cmpx_ne_u32_e32 0x7f, v7
	s_cbranch_execz .LBB372_1768
; %bb.1765:                             ;   in Loop: Header=BB372_10 Depth=1
	v_and_b32_e32 v16, 7, v6
	s_mov_b32 s18, exec_lo
	s_delay_alu instid0(VALU_DEP_1)
	v_mov_b64_e32 v[2:3], v[16:17]
	v_lshrrev_b32_e32 v3, 3, v7
	v_cmpx_gt_u32_e32 8, v7
; %bb.1766:                             ;   in Loop: Header=BB372_10 Depth=1
	v_clz_i32_u32_e32 v2, v16
	s_delay_alu instid0(VALU_DEP_1) | instskip(NEXT) | instid1(VALU_DEP_1)
	v_min_u32_e32 v7, 32, v2
	v_subrev_nc_u32_e32 v2, 28, v7
	s_delay_alu instid0(VALU_DEP_1) | instskip(NEXT) | instid1(VALU_DEP_1)
	v_lshlrev_b64_e32 v[2:3], v2, v[16:17]
	v_dual_sub_nc_u32 v3, 29, v7 :: v_dual_bitop2_b32 v2, 7, v2 bitop3:0x40
; %bb.1767:                             ;   in Loop: Header=BB372_10 Depth=1
	s_or_b32 exec_lo, exec_lo, s18
	v_lshlrev_b32_e32 v6, 24, v6
	s_delay_alu instid0(VALU_DEP_2) | instskip(NEXT) | instid1(VALU_DEP_3)
	v_lshlrev_b32_e32 v2, 20, v2
	v_lshl_add_u32 v3, v3, 23, 0x3c000000
	s_delay_alu instid0(VALU_DEP_3) | instskip(NEXT) | instid1(VALU_DEP_1)
	v_and_b32_e32 v6, 0x80000000, v6
	v_or3_b32 v15, v2, v6, v3
.LBB372_1768:                           ;   in Loop: Header=BB372_10 Depth=1
	s_or_b32 exec_lo, exec_lo, s17
.LBB372_1769:                           ;   in Loop: Header=BB372_10 Depth=1
	s_delay_alu instid0(SALU_CYCLE_1)
	s_or_b32 exec_lo, exec_lo, s16
.LBB372_1770:                           ;   in Loop: Header=BB372_10 Depth=1
	s_delay_alu instid0(SALU_CYCLE_1) | instskip(SKIP_3) | instid1(VALU_DEP_2)
	s_or_b32 exec_lo, exec_lo, s11
	v_and_b32_e32 v2, 0xff, v1
	v_mov_b32_e32 v16, v1
	s_mov_b32 s11, exec_lo
	v_cmpx_ne_u16_e32 0, v2
	s_cbranch_execz .LBB372_1778
; %bb.1771:                             ;   in Loop: Header=BB372_10 Depth=1
	v_bfrev_b32_e32 v52, 1
	s_mov_b32 s16, exec_lo
	v_cmpx_ne_u16_e32 0x80, v2
	s_cbranch_execz .LBB372_1777
; %bb.1772:                             ;   in Loop: Header=BB372_10 Depth=1
	v_and_b32_e32 v6, 0x7f, v1
	v_mov_b32_e32 v52, 0x7f800001
	s_mov_b32 s17, exec_lo
	s_delay_alu instid0(VALU_DEP_2)
	v_cmpx_ne_u32_e32 0x7f, v6
	s_cbranch_execz .LBB372_1776
; %bb.1773:                             ;   in Loop: Header=BB372_10 Depth=1
	v_mov_b64_e32 v[2:3], v[16:17]
	v_lshrrev_b32_e32 v3, 3, v6
	s_mov_b32 s18, exec_lo
	v_cmpx_gt_u32_e32 8, v6
; %bb.1774:                             ;   in Loop: Header=BB372_10 Depth=1
	v_and_b32_e32 v2, 7, v1
	s_delay_alu instid0(VALU_DEP_1) | instskip(NEXT) | instid1(VALU_DEP_1)
	v_clz_i32_u32_e32 v2, v2
	v_min_u32_e32 v6, 32, v2
	s_delay_alu instid0(VALU_DEP_1) | instskip(NEXT) | instid1(VALU_DEP_1)
	v_subrev_nc_u32_e32 v2, 28, v6
	v_lshlrev_b64_e32 v[2:3], v2, v[16:17]
	v_sub_nc_u32_e32 v3, 29, v6
; %bb.1775:                             ;   in Loop: Header=BB372_10 Depth=1
	s_or_b32 exec_lo, exec_lo, s18
	s_delay_alu instid0(VALU_DEP_2) | instskip(NEXT) | instid1(VALU_DEP_2)
	v_dual_lshlrev_b32 v2, 20, v2 :: v_dual_lshlrev_b32 v6, 24, v16
	v_lshl_add_u32 v3, v3, 23, 0x3c000000
	s_delay_alu instid0(VALU_DEP_2) | instskip(NEXT) | instid1(VALU_DEP_3)
	v_and_b32_e32 v2, 0x700000, v2
	v_and_b32_e32 v6, 0x80000000, v6
	s_delay_alu instid0(VALU_DEP_1)
	v_or3_b32 v52, v2, v6, v3
.LBB372_1776:                           ;   in Loop: Header=BB372_10 Depth=1
	s_or_b32 exec_lo, exec_lo, s17
.LBB372_1777:                           ;   in Loop: Header=BB372_10 Depth=1
	s_delay_alu instid0(SALU_CYCLE_1)
	s_or_b32 exec_lo, exec_lo, s16
.LBB372_1778:                           ;   in Loop: Header=BB372_10 Depth=1
	s_delay_alu instid0(SALU_CYCLE_1) | instskip(SKIP_3) | instid1(VALU_DEP_2)
	s_or_b32 exec_lo, exec_lo, s11
	v_lshrrev_b16 v2, 8, v16
	v_dual_mov_b32 v24, 0 :: v_dual_mov_b32 v53, 0
	s_mov_b32 s11, exec_lo
	v_cmpx_ne_u16_e32 0, v2
	s_cbranch_execz .LBB372_1786
; %bb.1779:                             ;   in Loop: Header=BB372_10 Depth=1
	v_bfrev_b32_e32 v53, 1
	s_mov_b32 s16, exec_lo
	v_cmpx_ne_u16_e32 0x80, v2
	s_cbranch_execz .LBB372_1785
; %bb.1780:                             ;   in Loop: Header=BB372_10 Depth=1
	v_and_b32_e32 v2, 0xffff, v2
	v_mov_b32_e32 v53, 0x7f800001
	s_mov_b32 s17, exec_lo
	s_delay_alu instid0(VALU_DEP_2) | instskip(NEXT) | instid1(VALU_DEP_1)
	v_and_b32_e32 v7, 0x7f, v2
	v_cmpx_ne_u32_e32 0x7f, v7
	s_cbranch_execz .LBB372_1784
; %bb.1781:                             ;   in Loop: Header=BB372_10 Depth=1
	v_dual_mov_b32 v3, v17 :: v_dual_bitop2_b32 v2, 7, v2 bitop3:0x40
	v_lshrrev_b32_e32 v6, 3, v7
	s_mov_b32 s18, exec_lo
	v_cmpx_gt_u32_e32 8, v7
; %bb.1782:                             ;   in Loop: Header=BB372_10 Depth=1
	s_delay_alu instid0(VALU_DEP_3) | instskip(NEXT) | instid1(VALU_DEP_1)
	v_clz_i32_u32_e32 v6, v2
	v_min_u32_e32 v6, 32, v6
	s_delay_alu instid0(VALU_DEP_1) | instskip(SKIP_1) | instid1(VALU_DEP_2)
	v_subrev_nc_u32_e32 v7, 28, v6
	v_sub_nc_u32_e32 v6, 29, v6
	v_lshlrev_b64_e32 v[2:3], v7, v[2:3]
	s_delay_alu instid0(VALU_DEP_1)
	v_and_b32_e32 v2, 7, v2
; %bb.1783:                             ;   in Loop: Header=BB372_10 Depth=1
	s_or_b32 exec_lo, exec_lo, s18
	s_delay_alu instid0(VALU_DEP_1) | instskip(SKIP_1) | instid1(VALU_DEP_2)
	v_dual_lshlrev_b32 v3, 16, v16 :: v_dual_lshlrev_b32 v2, 20, v2
	v_lshl_add_u32 v6, v6, 23, 0x3c000000
	v_and_b32_e32 v3, 0x80000000, v3
	s_delay_alu instid0(VALU_DEP_1)
	v_or3_b32 v53, v2, v3, v6
.LBB372_1784:                           ;   in Loop: Header=BB372_10 Depth=1
	s_or_b32 exec_lo, exec_lo, s17
.LBB372_1785:                           ;   in Loop: Header=BB372_10 Depth=1
	s_delay_alu instid0(SALU_CYCLE_1)
	s_or_b32 exec_lo, exec_lo, s16
.LBB372_1786:                           ;   in Loop: Header=BB372_10 Depth=1
	s_delay_alu instid0(SALU_CYCLE_1) | instskip(SKIP_2) | instid1(VALU_DEP_1)
	s_or_b32 exec_lo, exec_lo, s11
	v_lshrrev_b32_e32 v6, 16, v1
	s_mov_b32 s11, exec_lo
	v_and_b32_e32 v2, 0xff, v6
	s_delay_alu instid0(VALU_DEP_1)
	v_cmpx_ne_u16_e32 0, v2
	s_cbranch_execz .LBB372_1794
; %bb.1787:                             ;   in Loop: Header=BB372_10 Depth=1
	v_bfrev_b32_e32 v24, 1
	s_mov_b32 s16, exec_lo
	v_cmpx_ne_u16_e32 0x80, v2
	s_cbranch_execz .LBB372_1793
; %bb.1788:                             ;   in Loop: Header=BB372_10 Depth=1
	v_bfe_u32 v7, v1, 16, 7
	v_mov_b32_e32 v24, 0x7f800001
	s_mov_b32 s17, exec_lo
	s_delay_alu instid0(VALU_DEP_2)
	v_cmpx_ne_u32_e32 0x7f, v7
	s_cbranch_execz .LBB372_1792
; %bb.1789:                             ;   in Loop: Header=BB372_10 Depth=1
	v_and_b32_e32 v16, 7, v6
	s_mov_b32 s18, exec_lo
	s_delay_alu instid0(VALU_DEP_1)
	v_mov_b64_e32 v[2:3], v[16:17]
	v_lshrrev_b32_e32 v3, 3, v7
	v_cmpx_gt_u32_e32 8, v7
; %bb.1790:                             ;   in Loop: Header=BB372_10 Depth=1
	v_clz_i32_u32_e32 v2, v16
	s_delay_alu instid0(VALU_DEP_1) | instskip(NEXT) | instid1(VALU_DEP_1)
	v_min_u32_e32 v7, 32, v2
	v_subrev_nc_u32_e32 v2, 28, v7
	s_delay_alu instid0(VALU_DEP_1) | instskip(NEXT) | instid1(VALU_DEP_1)
	v_lshlrev_b64_e32 v[2:3], v2, v[16:17]
	v_dual_sub_nc_u32 v3, 29, v7 :: v_dual_bitop2_b32 v2, 7, v2 bitop3:0x40
; %bb.1791:                             ;   in Loop: Header=BB372_10 Depth=1
	s_or_b32 exec_lo, exec_lo, s18
	v_lshlrev_b32_e32 v6, 24, v6
	s_delay_alu instid0(VALU_DEP_2) | instskip(NEXT) | instid1(VALU_DEP_3)
	v_lshlrev_b32_e32 v2, 20, v2
	v_lshl_add_u32 v3, v3, 23, 0x3c000000
	s_delay_alu instid0(VALU_DEP_3) | instskip(NEXT) | instid1(VALU_DEP_1)
	v_and_b32_e32 v6, 0x80000000, v6
	v_or3_b32 v24, v2, v6, v3
.LBB372_1792:                           ;   in Loop: Header=BB372_10 Depth=1
	s_or_b32 exec_lo, exec_lo, s17
.LBB372_1793:                           ;   in Loop: Header=BB372_10 Depth=1
	s_delay_alu instid0(SALU_CYCLE_1)
	s_or_b32 exec_lo, exec_lo, s16
.LBB372_1794:                           ;   in Loop: Header=BB372_10 Depth=1
	s_delay_alu instid0(SALU_CYCLE_1)
	s_or_b32 exec_lo, exec_lo, s11
	v_dual_mov_b32 v76, 0 :: v_dual_mov_b32 v25, 0
	s_mov_b32 s11, exec_lo
	v_cmpx_lt_u64_e64 s[2:3], v[0:1]
	s_cbranch_execz .LBB372_1802
; %bb.1795:                             ;   in Loop: Header=BB372_10 Depth=1
	v_lshrrev_b32_e32 v2, 24, v1
	v_bfrev_b32_e32 v25, 1
	s_mov_b32 s16, exec_lo
	s_delay_alu instid0(VALU_DEP_2)
	v_cmpx_ne_u32_e32 0x80, v2
	s_cbranch_execz .LBB372_1801
; %bb.1796:                             ;   in Loop: Header=BB372_10 Depth=1
	v_bfe_u32 v3, v1, 24, 7
	v_mov_b32_e32 v25, 0x7f800001
	s_mov_b32 s17, exec_lo
	s_delay_alu instid0(VALU_DEP_2)
	v_cmpx_ne_u32_e32 0x7f, v3
	s_cbranch_execz .LBB372_1800
; %bb.1797:                             ;   in Loop: Header=BB372_10 Depth=1
	v_and_b32_e32 v16, 7, v2
	s_mov_b32 s18, exec_lo
	s_delay_alu instid0(VALU_DEP_1)
	v_mov_b64_e32 v[0:1], v[16:17]
	v_lshrrev_b32_e32 v1, 3, v3
	v_cmpx_gt_u32_e32 8, v3
; %bb.1798:                             ;   in Loop: Header=BB372_10 Depth=1
	v_clz_i32_u32_e32 v0, v16
	s_delay_alu instid0(VALU_DEP_1) | instskip(NEXT) | instid1(VALU_DEP_1)
	v_min_u32_e32 v3, 32, v0
	v_subrev_nc_u32_e32 v0, 28, v3
	s_delay_alu instid0(VALU_DEP_1) | instskip(NEXT) | instid1(VALU_DEP_1)
	v_lshlrev_b64_e32 v[0:1], v0, v[16:17]
	v_dual_sub_nc_u32 v1, 29, v3 :: v_dual_bitop2_b32 v0, 7, v0 bitop3:0x40
; %bb.1799:                             ;   in Loop: Header=BB372_10 Depth=1
	s_or_b32 exec_lo, exec_lo, s18
	s_delay_alu instid0(VALU_DEP_1) | instskip(NEXT) | instid1(VALU_DEP_2)
	v_dual_lshlrev_b32 v2, 24, v2 :: v_dual_lshlrev_b32 v0, 20, v0
	v_lshl_add_u32 v1, v1, 23, 0x3c000000
	s_delay_alu instid0(VALU_DEP_2) | instskip(NEXT) | instid1(VALU_DEP_1)
	v_and_b32_e32 v2, 0x80000000, v2
	v_or3_b32 v25, v0, v2, v1
.LBB372_1800:                           ;   in Loop: Header=BB372_10 Depth=1
	s_or_b32 exec_lo, exec_lo, s17
.LBB372_1801:                           ;   in Loop: Header=BB372_10 Depth=1
	s_delay_alu instid0(SALU_CYCLE_1)
	s_or_b32 exec_lo, exec_lo, s16
.LBB372_1802:                           ;   in Loop: Header=BB372_10 Depth=1
	s_delay_alu instid0(SALU_CYCLE_1)
	s_or_b32 exec_lo, exec_lo, s11
	flat_load_b64 v[0:1], v[96:97] offset:7168
	s_mov_b32 s11, exec_lo
	s_wait_loadcnt_dscnt 0x0
	v_and_b32_e32 v2, 0xff, v0
	s_wait_xcnt 0x0
	s_delay_alu instid0(VALU_DEP_1)
	v_cmpx_ne_u16_e32 0, v2
	s_cbranch_execz .LBB372_1810
; %bb.1803:                             ;   in Loop: Header=BB372_10 Depth=1
	v_bfrev_b32_e32 v76, 1
	s_mov_b32 s16, exec_lo
	v_cmpx_ne_u16_e32 0x80, v2
	s_cbranch_execz .LBB372_1809
; %bb.1804:                             ;   in Loop: Header=BB372_10 Depth=1
	v_and_b32_e32 v2, 0x7f, v0
	v_mov_b32_e32 v76, 0x7f800001
	s_mov_b32 s17, exec_lo
	s_delay_alu instid0(VALU_DEP_2)
	v_cmpx_ne_u32_e32 0x7f, v2
	s_cbranch_execz .LBB372_1808
; %bb.1805:                             ;   in Loop: Header=BB372_10 Depth=1
	v_lshrrev_b32_e32 v6, 3, v2
	v_cmp_gt_u32_e64 s1, 8, v2
	v_mov_b64_e32 v[2:3], v[0:1]
	s_and_saveexec_b32 s18, s1
; %bb.1806:                             ;   in Loop: Header=BB372_10 Depth=1
	v_and_b32_e32 v2, 7, v0
	s_delay_alu instid0(VALU_DEP_1) | instskip(NEXT) | instid1(VALU_DEP_1)
	v_clz_i32_u32_e32 v2, v2
	v_min_u32_e32 v6, 32, v2
	s_delay_alu instid0(VALU_DEP_1) | instskip(SKIP_1) | instid1(VALU_DEP_2)
	v_subrev_nc_u32_e32 v2, 28, v6
	v_sub_nc_u32_e32 v6, 29, v6
	v_lshlrev_b64_e32 v[2:3], v2, v[0:1]
; %bb.1807:                             ;   in Loop: Header=BB372_10 Depth=1
	s_or_b32 exec_lo, exec_lo, s18
	s_delay_alu instid0(VALU_DEP_1) | instskip(NEXT) | instid1(VALU_DEP_3)
	v_dual_lshlrev_b32 v2, 20, v2 :: v_dual_lshlrev_b32 v3, 24, v0
	v_lshl_add_u32 v6, v6, 23, 0x3c000000
	s_delay_alu instid0(VALU_DEP_2) | instskip(NEXT) | instid1(VALU_DEP_3)
	v_and_b32_e32 v2, 0x700000, v2
	v_and_b32_e32 v3, 0x80000000, v3
	s_delay_alu instid0(VALU_DEP_1)
	v_or3_b32 v76, v2, v3, v6
.LBB372_1808:                           ;   in Loop: Header=BB372_10 Depth=1
	s_or_b32 exec_lo, exec_lo, s17
.LBB372_1809:                           ;   in Loop: Header=BB372_10 Depth=1
	s_delay_alu instid0(SALU_CYCLE_1)
	s_or_b32 exec_lo, exec_lo, s16
.LBB372_1810:                           ;   in Loop: Header=BB372_10 Depth=1
	s_delay_alu instid0(SALU_CYCLE_1) | instskip(SKIP_3) | instid1(VALU_DEP_2)
	s_or_b32 exec_lo, exec_lo, s11
	v_lshrrev_b16 v2, 8, v0
	v_dual_mov_b32 v26, 0 :: v_dual_mov_b32 v77, 0
	s_mov_b32 s11, exec_lo
	v_cmpx_ne_u16_e32 0, v2
	s_cbranch_execz .LBB372_1818
; %bb.1811:                             ;   in Loop: Header=BB372_10 Depth=1
	v_bfrev_b32_e32 v77, 1
	s_mov_b32 s16, exec_lo
	v_cmpx_ne_u16_e32 0x80, v2
	s_cbranch_execz .LBB372_1817
; %bb.1812:                             ;   in Loop: Header=BB372_10 Depth=1
	v_and_b32_e32 v2, 0xffff, v2
	v_mov_b32_e32 v77, 0x7f800001
	s_mov_b32 s17, exec_lo
	s_delay_alu instid0(VALU_DEP_2) | instskip(NEXT) | instid1(VALU_DEP_1)
	v_and_b32_e32 v6, 0x7f, v2
	v_cmpx_ne_u32_e32 0x7f, v6
	s_cbranch_execz .LBB372_1816
; %bb.1813:                             ;   in Loop: Header=BB372_10 Depth=1
	v_and_b32_e32 v16, 7, v2
	s_mov_b32 s18, exec_lo
	s_delay_alu instid0(VALU_DEP_1)
	v_mov_b64_e32 v[2:3], v[16:17]
	v_lshrrev_b32_e32 v3, 3, v6
	v_cmpx_gt_u32_e32 8, v6
; %bb.1814:                             ;   in Loop: Header=BB372_10 Depth=1
	v_clz_i32_u32_e32 v2, v16
	s_delay_alu instid0(VALU_DEP_1) | instskip(NEXT) | instid1(VALU_DEP_1)
	v_min_u32_e32 v6, 32, v2
	v_subrev_nc_u32_e32 v2, 28, v6
	s_delay_alu instid0(VALU_DEP_1) | instskip(SKIP_1) | instid1(VALU_DEP_2)
	v_lshlrev_b64_e32 v[2:3], v2, v[16:17]
	v_sub_nc_u32_e32 v3, 29, v6
	v_and_b32_e32 v2, 7, v2
; %bb.1815:                             ;   in Loop: Header=BB372_10 Depth=1
	s_or_b32 exec_lo, exec_lo, s18
	s_delay_alu instid0(VALU_DEP_1) | instskip(NEXT) | instid1(VALU_DEP_3)
	v_dual_lshlrev_b32 v6, 16, v0 :: v_dual_lshlrev_b32 v2, 20, v2
	v_lshl_add_u32 v3, v3, 23, 0x3c000000
	s_delay_alu instid0(VALU_DEP_2) | instskip(NEXT) | instid1(VALU_DEP_1)
	v_and_b32_e32 v6, 0x80000000, v6
	v_or3_b32 v77, v2, v6, v3
.LBB372_1816:                           ;   in Loop: Header=BB372_10 Depth=1
	s_or_b32 exec_lo, exec_lo, s17
.LBB372_1817:                           ;   in Loop: Header=BB372_10 Depth=1
	s_delay_alu instid0(SALU_CYCLE_1)
	s_or_b32 exec_lo, exec_lo, s16
.LBB372_1818:                           ;   in Loop: Header=BB372_10 Depth=1
	s_delay_alu instid0(SALU_CYCLE_1) | instskip(SKIP_2) | instid1(VALU_DEP_1)
	s_or_b32 exec_lo, exec_lo, s11
	v_lshrrev_b32_e32 v6, 16, v0
	s_mov_b32 s11, exec_lo
	v_and_b32_e32 v2, 0xff, v6
	s_delay_alu instid0(VALU_DEP_1)
	v_cmpx_ne_u16_e32 0, v2
	s_cbranch_execz .LBB372_1826
; %bb.1819:                             ;   in Loop: Header=BB372_10 Depth=1
	v_bfrev_b32_e32 v26, 1
	s_mov_b32 s16, exec_lo
	v_cmpx_ne_u16_e32 0x80, v2
	s_cbranch_execz .LBB372_1825
; %bb.1820:                             ;   in Loop: Header=BB372_10 Depth=1
	v_bfe_u32 v7, v0, 16, 7
	v_mov_b32_e32 v26, 0x7f800001
	s_mov_b32 s17, exec_lo
	s_delay_alu instid0(VALU_DEP_2)
	v_cmpx_ne_u32_e32 0x7f, v7
	s_cbranch_execz .LBB372_1824
; %bb.1821:                             ;   in Loop: Header=BB372_10 Depth=1
	v_and_b32_e32 v16, 7, v6
	s_mov_b32 s18, exec_lo
	s_delay_alu instid0(VALU_DEP_1)
	v_mov_b64_e32 v[2:3], v[16:17]
	v_lshrrev_b32_e32 v3, 3, v7
	v_cmpx_gt_u32_e32 8, v7
; %bb.1822:                             ;   in Loop: Header=BB372_10 Depth=1
	v_clz_i32_u32_e32 v2, v16
	s_delay_alu instid0(VALU_DEP_1) | instskip(NEXT) | instid1(VALU_DEP_1)
	v_min_u32_e32 v7, 32, v2
	v_subrev_nc_u32_e32 v2, 28, v7
	s_delay_alu instid0(VALU_DEP_1) | instskip(NEXT) | instid1(VALU_DEP_1)
	v_lshlrev_b64_e32 v[2:3], v2, v[16:17]
	v_dual_sub_nc_u32 v3, 29, v7 :: v_dual_bitop2_b32 v2, 7, v2 bitop3:0x40
; %bb.1823:                             ;   in Loop: Header=BB372_10 Depth=1
	s_or_b32 exec_lo, exec_lo, s18
	v_lshlrev_b32_e32 v6, 24, v6
	s_delay_alu instid0(VALU_DEP_2) | instskip(NEXT) | instid1(VALU_DEP_3)
	v_lshlrev_b32_e32 v2, 20, v2
	v_lshl_add_u32 v3, v3, 23, 0x3c000000
	s_delay_alu instid0(VALU_DEP_3) | instskip(NEXT) | instid1(VALU_DEP_1)
	v_and_b32_e32 v6, 0x80000000, v6
	v_or3_b32 v26, v2, v6, v3
.LBB372_1824:                           ;   in Loop: Header=BB372_10 Depth=1
	s_or_b32 exec_lo, exec_lo, s17
.LBB372_1825:                           ;   in Loop: Header=BB372_10 Depth=1
	s_delay_alu instid0(SALU_CYCLE_1)
	s_or_b32 exec_lo, exec_lo, s16
.LBB372_1826:                           ;   in Loop: Header=BB372_10 Depth=1
	s_delay_alu instid0(SALU_CYCLE_1)
	s_or_b32 exec_lo, exec_lo, s11
	v_dual_mov_b32 v108, 0 :: v_dual_mov_b32 v27, 0
	s_mov_b32 s11, exec_lo
	v_cmpx_lt_u32_e32 0xffffff, v0
	s_cbranch_execz .LBB372_1834
; %bb.1827:                             ;   in Loop: Header=BB372_10 Depth=1
	v_lshrrev_b32_e32 v6, 24, v0
	v_bfrev_b32_e32 v27, 1
	s_mov_b32 s16, exec_lo
	s_delay_alu instid0(VALU_DEP_2)
	v_cmpx_ne_u32_e32 0x80, v6
	s_cbranch_execz .LBB372_1833
; %bb.1828:                             ;   in Loop: Header=BB372_10 Depth=1
	v_bfe_u32 v7, v0, 24, 7
	v_mov_b32_e32 v27, 0x7f800001
	s_mov_b32 s17, exec_lo
	s_delay_alu instid0(VALU_DEP_2)
	v_cmpx_ne_u32_e32 0x7f, v7
	s_cbranch_execz .LBB372_1832
; %bb.1829:                             ;   in Loop: Header=BB372_10 Depth=1
	v_and_b32_e32 v16, 7, v6
	s_mov_b32 s18, exec_lo
	s_delay_alu instid0(VALU_DEP_1)
	v_mov_b64_e32 v[2:3], v[16:17]
	v_lshrrev_b32_e32 v3, 3, v7
	v_cmpx_gt_u32_e32 8, v7
; %bb.1830:                             ;   in Loop: Header=BB372_10 Depth=1
	v_clz_i32_u32_e32 v2, v16
	s_delay_alu instid0(VALU_DEP_1) | instskip(NEXT) | instid1(VALU_DEP_1)
	v_min_u32_e32 v7, 32, v2
	v_subrev_nc_u32_e32 v2, 28, v7
	s_delay_alu instid0(VALU_DEP_1) | instskip(NEXT) | instid1(VALU_DEP_1)
	v_lshlrev_b64_e32 v[2:3], v2, v[16:17]
	v_dual_sub_nc_u32 v3, 29, v7 :: v_dual_bitop2_b32 v2, 7, v2 bitop3:0x40
; %bb.1831:                             ;   in Loop: Header=BB372_10 Depth=1
	s_or_b32 exec_lo, exec_lo, s18
	v_lshlrev_b32_e32 v6, 24, v6
	s_delay_alu instid0(VALU_DEP_2) | instskip(NEXT) | instid1(VALU_DEP_3)
	v_lshlrev_b32_e32 v2, 20, v2
	v_lshl_add_u32 v3, v3, 23, 0x3c000000
	s_delay_alu instid0(VALU_DEP_3) | instskip(NEXT) | instid1(VALU_DEP_1)
	v_and_b32_e32 v6, 0x80000000, v6
	v_or3_b32 v27, v2, v6, v3
.LBB372_1832:                           ;   in Loop: Header=BB372_10 Depth=1
	s_or_b32 exec_lo, exec_lo, s17
.LBB372_1833:                           ;   in Loop: Header=BB372_10 Depth=1
	s_delay_alu instid0(SALU_CYCLE_1)
	s_or_b32 exec_lo, exec_lo, s16
.LBB372_1834:                           ;   in Loop: Header=BB372_10 Depth=1
	s_delay_alu instid0(SALU_CYCLE_1) | instskip(SKIP_3) | instid1(VALU_DEP_2)
	s_or_b32 exec_lo, exec_lo, s11
	v_and_b32_e32 v2, 0xff, v1
	v_mov_b32_e32 v16, v1
	s_mov_b32 s11, exec_lo
	v_cmpx_ne_u16_e32 0, v2
	s_cbranch_execz .LBB372_1842
; %bb.1835:                             ;   in Loop: Header=BB372_10 Depth=1
	v_bfrev_b32_e32 v108, 1
	s_mov_b32 s16, exec_lo
	v_cmpx_ne_u16_e32 0x80, v2
	s_cbranch_execz .LBB372_1841
; %bb.1836:                             ;   in Loop: Header=BB372_10 Depth=1
	v_and_b32_e32 v6, 0x7f, v1
	v_mov_b32_e32 v108, 0x7f800001
	s_mov_b32 s17, exec_lo
	s_delay_alu instid0(VALU_DEP_2)
	v_cmpx_ne_u32_e32 0x7f, v6
	s_cbranch_execz .LBB372_1840
; %bb.1837:                             ;   in Loop: Header=BB372_10 Depth=1
	v_mov_b64_e32 v[2:3], v[16:17]
	v_lshrrev_b32_e32 v3, 3, v6
	s_mov_b32 s18, exec_lo
	v_cmpx_gt_u32_e32 8, v6
; %bb.1838:                             ;   in Loop: Header=BB372_10 Depth=1
	v_and_b32_e32 v2, 7, v1
	s_delay_alu instid0(VALU_DEP_1) | instskip(NEXT) | instid1(VALU_DEP_1)
	v_clz_i32_u32_e32 v2, v2
	v_min_u32_e32 v6, 32, v2
	s_delay_alu instid0(VALU_DEP_1) | instskip(NEXT) | instid1(VALU_DEP_1)
	v_subrev_nc_u32_e32 v2, 28, v6
	v_lshlrev_b64_e32 v[2:3], v2, v[16:17]
	v_sub_nc_u32_e32 v3, 29, v6
; %bb.1839:                             ;   in Loop: Header=BB372_10 Depth=1
	s_or_b32 exec_lo, exec_lo, s18
	s_delay_alu instid0(VALU_DEP_2) | instskip(NEXT) | instid1(VALU_DEP_2)
	v_dual_lshlrev_b32 v2, 20, v2 :: v_dual_lshlrev_b32 v6, 24, v16
	v_lshl_add_u32 v3, v3, 23, 0x3c000000
	s_delay_alu instid0(VALU_DEP_2) | instskip(NEXT) | instid1(VALU_DEP_3)
	v_and_b32_e32 v2, 0x700000, v2
	v_and_b32_e32 v6, 0x80000000, v6
	s_delay_alu instid0(VALU_DEP_1)
	v_or3_b32 v108, v2, v6, v3
.LBB372_1840:                           ;   in Loop: Header=BB372_10 Depth=1
	s_or_b32 exec_lo, exec_lo, s17
.LBB372_1841:                           ;   in Loop: Header=BB372_10 Depth=1
	s_delay_alu instid0(SALU_CYCLE_1)
	s_or_b32 exec_lo, exec_lo, s16
.LBB372_1842:                           ;   in Loop: Header=BB372_10 Depth=1
	s_delay_alu instid0(SALU_CYCLE_1) | instskip(SKIP_3) | instid1(VALU_DEP_2)
	s_or_b32 exec_lo, exec_lo, s11
	v_lshrrev_b16 v2, 8, v16
	v_dual_mov_b32 v28, 0 :: v_dual_mov_b32 v109, 0
	s_mov_b32 s11, exec_lo
	v_cmpx_ne_u16_e32 0, v2
	s_cbranch_execz .LBB372_1850
; %bb.1843:                             ;   in Loop: Header=BB372_10 Depth=1
	v_bfrev_b32_e32 v109, 1
	s_mov_b32 s16, exec_lo
	v_cmpx_ne_u16_e32 0x80, v2
	s_cbranch_execz .LBB372_1849
; %bb.1844:                             ;   in Loop: Header=BB372_10 Depth=1
	v_and_b32_e32 v2, 0xffff, v2
	v_mov_b32_e32 v109, 0x7f800001
	s_mov_b32 s17, exec_lo
	s_delay_alu instid0(VALU_DEP_2) | instskip(NEXT) | instid1(VALU_DEP_1)
	v_and_b32_e32 v7, 0x7f, v2
	v_cmpx_ne_u32_e32 0x7f, v7
	s_cbranch_execz .LBB372_1848
; %bb.1845:                             ;   in Loop: Header=BB372_10 Depth=1
	v_dual_mov_b32 v3, v17 :: v_dual_bitop2_b32 v2, 7, v2 bitop3:0x40
	v_lshrrev_b32_e32 v6, 3, v7
	s_mov_b32 s18, exec_lo
	v_cmpx_gt_u32_e32 8, v7
; %bb.1846:                             ;   in Loop: Header=BB372_10 Depth=1
	s_delay_alu instid0(VALU_DEP_3) | instskip(NEXT) | instid1(VALU_DEP_1)
	v_clz_i32_u32_e32 v6, v2
	v_min_u32_e32 v6, 32, v6
	s_delay_alu instid0(VALU_DEP_1) | instskip(SKIP_1) | instid1(VALU_DEP_2)
	v_subrev_nc_u32_e32 v7, 28, v6
	v_sub_nc_u32_e32 v6, 29, v6
	v_lshlrev_b64_e32 v[2:3], v7, v[2:3]
	s_delay_alu instid0(VALU_DEP_1)
	v_and_b32_e32 v2, 7, v2
; %bb.1847:                             ;   in Loop: Header=BB372_10 Depth=1
	s_or_b32 exec_lo, exec_lo, s18
	s_delay_alu instid0(VALU_DEP_1) | instskip(SKIP_1) | instid1(VALU_DEP_2)
	v_dual_lshlrev_b32 v3, 16, v16 :: v_dual_lshlrev_b32 v2, 20, v2
	v_lshl_add_u32 v6, v6, 23, 0x3c000000
	v_and_b32_e32 v3, 0x80000000, v3
	s_delay_alu instid0(VALU_DEP_1)
	v_or3_b32 v109, v2, v3, v6
.LBB372_1848:                           ;   in Loop: Header=BB372_10 Depth=1
	s_or_b32 exec_lo, exec_lo, s17
.LBB372_1849:                           ;   in Loop: Header=BB372_10 Depth=1
	s_delay_alu instid0(SALU_CYCLE_1)
	s_or_b32 exec_lo, exec_lo, s16
.LBB372_1850:                           ;   in Loop: Header=BB372_10 Depth=1
	s_delay_alu instid0(SALU_CYCLE_1) | instskip(SKIP_2) | instid1(VALU_DEP_1)
	s_or_b32 exec_lo, exec_lo, s11
	v_lshrrev_b32_e32 v6, 16, v1
	s_mov_b32 s11, exec_lo
	v_and_b32_e32 v2, 0xff, v6
	s_delay_alu instid0(VALU_DEP_1)
	v_cmpx_ne_u16_e32 0, v2
	s_cbranch_execz .LBB372_1858
; %bb.1851:                             ;   in Loop: Header=BB372_10 Depth=1
	v_bfrev_b32_e32 v28, 1
	s_mov_b32 s16, exec_lo
	v_cmpx_ne_u16_e32 0x80, v2
	s_cbranch_execz .LBB372_1857
; %bb.1852:                             ;   in Loop: Header=BB372_10 Depth=1
	v_bfe_u32 v7, v1, 16, 7
	v_mov_b32_e32 v28, 0x7f800001
	s_mov_b32 s17, exec_lo
	s_delay_alu instid0(VALU_DEP_2)
	v_cmpx_ne_u32_e32 0x7f, v7
	s_cbranch_execz .LBB372_1856
; %bb.1853:                             ;   in Loop: Header=BB372_10 Depth=1
	v_and_b32_e32 v16, 7, v6
	s_mov_b32 s18, exec_lo
	s_delay_alu instid0(VALU_DEP_1)
	v_mov_b64_e32 v[2:3], v[16:17]
	v_lshrrev_b32_e32 v3, 3, v7
	v_cmpx_gt_u32_e32 8, v7
; %bb.1854:                             ;   in Loop: Header=BB372_10 Depth=1
	v_clz_i32_u32_e32 v2, v16
	s_delay_alu instid0(VALU_DEP_1) | instskip(NEXT) | instid1(VALU_DEP_1)
	v_min_u32_e32 v7, 32, v2
	v_subrev_nc_u32_e32 v2, 28, v7
	s_delay_alu instid0(VALU_DEP_1) | instskip(NEXT) | instid1(VALU_DEP_1)
	v_lshlrev_b64_e32 v[2:3], v2, v[16:17]
	v_dual_sub_nc_u32 v3, 29, v7 :: v_dual_bitop2_b32 v2, 7, v2 bitop3:0x40
; %bb.1855:                             ;   in Loop: Header=BB372_10 Depth=1
	s_or_b32 exec_lo, exec_lo, s18
	v_lshlrev_b32_e32 v6, 24, v6
	s_delay_alu instid0(VALU_DEP_2) | instskip(NEXT) | instid1(VALU_DEP_3)
	v_lshlrev_b32_e32 v2, 20, v2
	v_lshl_add_u32 v3, v3, 23, 0x3c000000
	s_delay_alu instid0(VALU_DEP_3) | instskip(NEXT) | instid1(VALU_DEP_1)
	v_and_b32_e32 v6, 0x80000000, v6
	v_or3_b32 v28, v2, v6, v3
.LBB372_1856:                           ;   in Loop: Header=BB372_10 Depth=1
	s_or_b32 exec_lo, exec_lo, s17
.LBB372_1857:                           ;   in Loop: Header=BB372_10 Depth=1
	s_delay_alu instid0(SALU_CYCLE_1)
	s_or_b32 exec_lo, exec_lo, s16
.LBB372_1858:                           ;   in Loop: Header=BB372_10 Depth=1
	s_delay_alu instid0(SALU_CYCLE_1)
	s_or_b32 exec_lo, exec_lo, s11
	v_dual_mov_b32 v110, 0 :: v_dual_mov_b32 v29, 0
	s_mov_b32 s11, exec_lo
	v_cmpx_lt_u64_e64 s[2:3], v[0:1]
	s_cbranch_execz .LBB372_1866
; %bb.1859:                             ;   in Loop: Header=BB372_10 Depth=1
	v_lshrrev_b32_e32 v2, 24, v1
	v_bfrev_b32_e32 v29, 1
	s_mov_b32 s16, exec_lo
	s_delay_alu instid0(VALU_DEP_2)
	v_cmpx_ne_u32_e32 0x80, v2
	s_cbranch_execz .LBB372_1865
; %bb.1860:                             ;   in Loop: Header=BB372_10 Depth=1
	v_bfe_u32 v3, v1, 24, 7
	v_mov_b32_e32 v29, 0x7f800001
	s_mov_b32 s17, exec_lo
	s_delay_alu instid0(VALU_DEP_2)
	v_cmpx_ne_u32_e32 0x7f, v3
	s_cbranch_execz .LBB372_1864
; %bb.1861:                             ;   in Loop: Header=BB372_10 Depth=1
	v_and_b32_e32 v16, 7, v2
	s_mov_b32 s18, exec_lo
	s_delay_alu instid0(VALU_DEP_1)
	v_mov_b64_e32 v[0:1], v[16:17]
	v_lshrrev_b32_e32 v1, 3, v3
	v_cmpx_gt_u32_e32 8, v3
; %bb.1862:                             ;   in Loop: Header=BB372_10 Depth=1
	v_clz_i32_u32_e32 v0, v16
	s_delay_alu instid0(VALU_DEP_1) | instskip(NEXT) | instid1(VALU_DEP_1)
	v_min_u32_e32 v3, 32, v0
	v_subrev_nc_u32_e32 v0, 28, v3
	s_delay_alu instid0(VALU_DEP_1) | instskip(NEXT) | instid1(VALU_DEP_1)
	v_lshlrev_b64_e32 v[0:1], v0, v[16:17]
	v_dual_sub_nc_u32 v1, 29, v3 :: v_dual_bitop2_b32 v0, 7, v0 bitop3:0x40
; %bb.1863:                             ;   in Loop: Header=BB372_10 Depth=1
	s_or_b32 exec_lo, exec_lo, s18
	s_delay_alu instid0(VALU_DEP_1) | instskip(NEXT) | instid1(VALU_DEP_2)
	v_dual_lshlrev_b32 v2, 24, v2 :: v_dual_lshlrev_b32 v0, 20, v0
	v_lshl_add_u32 v1, v1, 23, 0x3c000000
	s_delay_alu instid0(VALU_DEP_2) | instskip(NEXT) | instid1(VALU_DEP_1)
	v_and_b32_e32 v2, 0x80000000, v2
	v_or3_b32 v29, v0, v2, v1
.LBB372_1864:                           ;   in Loop: Header=BB372_10 Depth=1
	s_or_b32 exec_lo, exec_lo, s17
.LBB372_1865:                           ;   in Loop: Header=BB372_10 Depth=1
	s_delay_alu instid0(SALU_CYCLE_1)
	s_or_b32 exec_lo, exec_lo, s16
.LBB372_1866:                           ;   in Loop: Header=BB372_10 Depth=1
	s_delay_alu instid0(SALU_CYCLE_1)
	s_or_b32 exec_lo, exec_lo, s11
	flat_load_b64 v[0:1], v[96:97] offset:7176
	s_mov_b32 s11, exec_lo
	s_wait_loadcnt_dscnt 0x0
	v_and_b32_e32 v2, 0xff, v0
	s_wait_xcnt 0x0
	s_delay_alu instid0(VALU_DEP_1)
	v_cmpx_ne_u16_e32 0, v2
	s_cbranch_execz .LBB372_1874
; %bb.1867:                             ;   in Loop: Header=BB372_10 Depth=1
	v_bfrev_b32_e32 v110, 1
	s_mov_b32 s16, exec_lo
	v_cmpx_ne_u16_e32 0x80, v2
	s_cbranch_execz .LBB372_1873
; %bb.1868:                             ;   in Loop: Header=BB372_10 Depth=1
	v_and_b32_e32 v2, 0x7f, v0
	v_mov_b32_e32 v110, 0x7f800001
	s_mov_b32 s17, exec_lo
	s_delay_alu instid0(VALU_DEP_2)
	v_cmpx_ne_u32_e32 0x7f, v2
	s_cbranch_execz .LBB372_1872
; %bb.1869:                             ;   in Loop: Header=BB372_10 Depth=1
	v_lshrrev_b32_e32 v6, 3, v2
	v_cmp_gt_u32_e64 s1, 8, v2
	v_mov_b64_e32 v[2:3], v[0:1]
	s_and_saveexec_b32 s18, s1
; %bb.1870:                             ;   in Loop: Header=BB372_10 Depth=1
	v_and_b32_e32 v2, 7, v0
	s_delay_alu instid0(VALU_DEP_1) | instskip(NEXT) | instid1(VALU_DEP_1)
	v_clz_i32_u32_e32 v2, v2
	v_min_u32_e32 v6, 32, v2
	s_delay_alu instid0(VALU_DEP_1) | instskip(SKIP_1) | instid1(VALU_DEP_2)
	v_subrev_nc_u32_e32 v2, 28, v6
	v_sub_nc_u32_e32 v6, 29, v6
	v_lshlrev_b64_e32 v[2:3], v2, v[0:1]
; %bb.1871:                             ;   in Loop: Header=BB372_10 Depth=1
	s_or_b32 exec_lo, exec_lo, s18
	s_delay_alu instid0(VALU_DEP_1) | instskip(NEXT) | instid1(VALU_DEP_3)
	v_dual_lshlrev_b32 v2, 20, v2 :: v_dual_lshlrev_b32 v3, 24, v0
	v_lshl_add_u32 v6, v6, 23, 0x3c000000
	s_delay_alu instid0(VALU_DEP_2) | instskip(NEXT) | instid1(VALU_DEP_3)
	v_and_b32_e32 v2, 0x700000, v2
	v_and_b32_e32 v3, 0x80000000, v3
	s_delay_alu instid0(VALU_DEP_1)
	v_or3_b32 v110, v2, v3, v6
.LBB372_1872:                           ;   in Loop: Header=BB372_10 Depth=1
	s_or_b32 exec_lo, exec_lo, s17
.LBB372_1873:                           ;   in Loop: Header=BB372_10 Depth=1
	s_delay_alu instid0(SALU_CYCLE_1)
	s_or_b32 exec_lo, exec_lo, s16
.LBB372_1874:                           ;   in Loop: Header=BB372_10 Depth=1
	s_delay_alu instid0(SALU_CYCLE_1) | instskip(SKIP_3) | instid1(VALU_DEP_2)
	s_or_b32 exec_lo, exec_lo, s11
	v_lshrrev_b16 v2, 8, v0
	v_dual_mov_b32 v30, 0 :: v_dual_mov_b32 v111, 0
	s_mov_b32 s11, exec_lo
	v_cmpx_ne_u16_e32 0, v2
	s_cbranch_execz .LBB372_1882
; %bb.1875:                             ;   in Loop: Header=BB372_10 Depth=1
	v_bfrev_b32_e32 v111, 1
	s_mov_b32 s16, exec_lo
	v_cmpx_ne_u16_e32 0x80, v2
	s_cbranch_execz .LBB372_1881
; %bb.1876:                             ;   in Loop: Header=BB372_10 Depth=1
	v_and_b32_e32 v2, 0xffff, v2
	v_mov_b32_e32 v111, 0x7f800001
	s_mov_b32 s17, exec_lo
	s_delay_alu instid0(VALU_DEP_2) | instskip(NEXT) | instid1(VALU_DEP_1)
	v_and_b32_e32 v6, 0x7f, v2
	v_cmpx_ne_u32_e32 0x7f, v6
	s_cbranch_execz .LBB372_1880
; %bb.1877:                             ;   in Loop: Header=BB372_10 Depth=1
	v_and_b32_e32 v16, 7, v2
	s_mov_b32 s18, exec_lo
	s_delay_alu instid0(VALU_DEP_1)
	v_mov_b64_e32 v[2:3], v[16:17]
	v_lshrrev_b32_e32 v3, 3, v6
	v_cmpx_gt_u32_e32 8, v6
; %bb.1878:                             ;   in Loop: Header=BB372_10 Depth=1
	v_clz_i32_u32_e32 v2, v16
	s_delay_alu instid0(VALU_DEP_1) | instskip(NEXT) | instid1(VALU_DEP_1)
	v_min_u32_e32 v6, 32, v2
	v_subrev_nc_u32_e32 v2, 28, v6
	s_delay_alu instid0(VALU_DEP_1) | instskip(SKIP_1) | instid1(VALU_DEP_2)
	v_lshlrev_b64_e32 v[2:3], v2, v[16:17]
	v_sub_nc_u32_e32 v3, 29, v6
	v_and_b32_e32 v2, 7, v2
; %bb.1879:                             ;   in Loop: Header=BB372_10 Depth=1
	s_or_b32 exec_lo, exec_lo, s18
	s_delay_alu instid0(VALU_DEP_1) | instskip(NEXT) | instid1(VALU_DEP_3)
	v_dual_lshlrev_b32 v6, 16, v0 :: v_dual_lshlrev_b32 v2, 20, v2
	v_lshl_add_u32 v3, v3, 23, 0x3c000000
	s_delay_alu instid0(VALU_DEP_2) | instskip(NEXT) | instid1(VALU_DEP_1)
	v_and_b32_e32 v6, 0x80000000, v6
	v_or3_b32 v111, v2, v6, v3
.LBB372_1880:                           ;   in Loop: Header=BB372_10 Depth=1
	s_or_b32 exec_lo, exec_lo, s17
.LBB372_1881:                           ;   in Loop: Header=BB372_10 Depth=1
	s_delay_alu instid0(SALU_CYCLE_1)
	s_or_b32 exec_lo, exec_lo, s16
.LBB372_1882:                           ;   in Loop: Header=BB372_10 Depth=1
	s_delay_alu instid0(SALU_CYCLE_1) | instskip(SKIP_2) | instid1(VALU_DEP_1)
	s_or_b32 exec_lo, exec_lo, s11
	v_lshrrev_b32_e32 v6, 16, v0
	s_mov_b32 s11, exec_lo
	v_and_b32_e32 v2, 0xff, v6
	s_delay_alu instid0(VALU_DEP_1)
	v_cmpx_ne_u16_e32 0, v2
	s_cbranch_execz .LBB372_1890
; %bb.1883:                             ;   in Loop: Header=BB372_10 Depth=1
	v_bfrev_b32_e32 v30, 1
	s_mov_b32 s16, exec_lo
	v_cmpx_ne_u16_e32 0x80, v2
	s_cbranch_execz .LBB372_1889
; %bb.1884:                             ;   in Loop: Header=BB372_10 Depth=1
	v_bfe_u32 v7, v0, 16, 7
	v_mov_b32_e32 v30, 0x7f800001
	s_mov_b32 s17, exec_lo
	s_delay_alu instid0(VALU_DEP_2)
	v_cmpx_ne_u32_e32 0x7f, v7
	s_cbranch_execz .LBB372_1888
; %bb.1885:                             ;   in Loop: Header=BB372_10 Depth=1
	v_and_b32_e32 v16, 7, v6
	s_mov_b32 s18, exec_lo
	s_delay_alu instid0(VALU_DEP_1)
	v_mov_b64_e32 v[2:3], v[16:17]
	v_lshrrev_b32_e32 v3, 3, v7
	v_cmpx_gt_u32_e32 8, v7
; %bb.1886:                             ;   in Loop: Header=BB372_10 Depth=1
	v_clz_i32_u32_e32 v2, v16
	s_delay_alu instid0(VALU_DEP_1) | instskip(NEXT) | instid1(VALU_DEP_1)
	v_min_u32_e32 v7, 32, v2
	v_subrev_nc_u32_e32 v2, 28, v7
	s_delay_alu instid0(VALU_DEP_1) | instskip(NEXT) | instid1(VALU_DEP_1)
	v_lshlrev_b64_e32 v[2:3], v2, v[16:17]
	v_dual_sub_nc_u32 v3, 29, v7 :: v_dual_bitop2_b32 v2, 7, v2 bitop3:0x40
; %bb.1887:                             ;   in Loop: Header=BB372_10 Depth=1
	s_or_b32 exec_lo, exec_lo, s18
	v_lshlrev_b32_e32 v6, 24, v6
	s_delay_alu instid0(VALU_DEP_2) | instskip(NEXT) | instid1(VALU_DEP_3)
	v_lshlrev_b32_e32 v2, 20, v2
	v_lshl_add_u32 v3, v3, 23, 0x3c000000
	s_delay_alu instid0(VALU_DEP_3) | instskip(NEXT) | instid1(VALU_DEP_1)
	v_and_b32_e32 v6, 0x80000000, v6
	v_or3_b32 v30, v2, v6, v3
.LBB372_1888:                           ;   in Loop: Header=BB372_10 Depth=1
	s_or_b32 exec_lo, exec_lo, s17
.LBB372_1889:                           ;   in Loop: Header=BB372_10 Depth=1
	s_delay_alu instid0(SALU_CYCLE_1)
	s_or_b32 exec_lo, exec_lo, s16
.LBB372_1890:                           ;   in Loop: Header=BB372_10 Depth=1
	s_delay_alu instid0(SALU_CYCLE_1)
	s_or_b32 exec_lo, exec_lo, s11
	v_dual_mov_b32 v120, 0 :: v_dual_mov_b32 v31, 0
	s_mov_b32 s11, exec_lo
	v_cmpx_lt_u32_e32 0xffffff, v0
	s_cbranch_execz .LBB372_1898
; %bb.1891:                             ;   in Loop: Header=BB372_10 Depth=1
	v_lshrrev_b32_e32 v6, 24, v0
	v_bfrev_b32_e32 v31, 1
	s_mov_b32 s16, exec_lo
	s_delay_alu instid0(VALU_DEP_2)
	v_cmpx_ne_u32_e32 0x80, v6
	s_cbranch_execz .LBB372_1897
; %bb.1892:                             ;   in Loop: Header=BB372_10 Depth=1
	v_bfe_u32 v7, v0, 24, 7
	v_mov_b32_e32 v31, 0x7f800001
	s_mov_b32 s17, exec_lo
	s_delay_alu instid0(VALU_DEP_2)
	v_cmpx_ne_u32_e32 0x7f, v7
	s_cbranch_execz .LBB372_1896
; %bb.1893:                             ;   in Loop: Header=BB372_10 Depth=1
	v_and_b32_e32 v16, 7, v6
	s_mov_b32 s18, exec_lo
	s_delay_alu instid0(VALU_DEP_1)
	v_mov_b64_e32 v[2:3], v[16:17]
	v_lshrrev_b32_e32 v3, 3, v7
	v_cmpx_gt_u32_e32 8, v7
; %bb.1894:                             ;   in Loop: Header=BB372_10 Depth=1
	v_clz_i32_u32_e32 v2, v16
	s_delay_alu instid0(VALU_DEP_1) | instskip(NEXT) | instid1(VALU_DEP_1)
	v_min_u32_e32 v7, 32, v2
	v_subrev_nc_u32_e32 v2, 28, v7
	s_delay_alu instid0(VALU_DEP_1) | instskip(NEXT) | instid1(VALU_DEP_1)
	v_lshlrev_b64_e32 v[2:3], v2, v[16:17]
	v_dual_sub_nc_u32 v3, 29, v7 :: v_dual_bitop2_b32 v2, 7, v2 bitop3:0x40
; %bb.1895:                             ;   in Loop: Header=BB372_10 Depth=1
	s_or_b32 exec_lo, exec_lo, s18
	v_lshlrev_b32_e32 v6, 24, v6
	s_delay_alu instid0(VALU_DEP_2) | instskip(NEXT) | instid1(VALU_DEP_3)
	v_lshlrev_b32_e32 v2, 20, v2
	v_lshl_add_u32 v3, v3, 23, 0x3c000000
	s_delay_alu instid0(VALU_DEP_3) | instskip(NEXT) | instid1(VALU_DEP_1)
	v_and_b32_e32 v6, 0x80000000, v6
	v_or3_b32 v31, v2, v6, v3
.LBB372_1896:                           ;   in Loop: Header=BB372_10 Depth=1
	s_or_b32 exec_lo, exec_lo, s17
.LBB372_1897:                           ;   in Loop: Header=BB372_10 Depth=1
	s_delay_alu instid0(SALU_CYCLE_1)
	s_or_b32 exec_lo, exec_lo, s16
.LBB372_1898:                           ;   in Loop: Header=BB372_10 Depth=1
	s_delay_alu instid0(SALU_CYCLE_1) | instskip(SKIP_3) | instid1(VALU_DEP_2)
	s_or_b32 exec_lo, exec_lo, s11
	v_and_b32_e32 v2, 0xff, v1
	v_mov_b32_e32 v16, v1
	s_mov_b32 s11, exec_lo
	v_cmpx_ne_u16_e32 0, v2
	s_cbranch_execz .LBB372_1906
; %bb.1899:                             ;   in Loop: Header=BB372_10 Depth=1
	v_bfrev_b32_e32 v120, 1
	s_mov_b32 s16, exec_lo
	v_cmpx_ne_u16_e32 0x80, v2
	s_cbranch_execz .LBB372_1905
; %bb.1900:                             ;   in Loop: Header=BB372_10 Depth=1
	v_and_b32_e32 v6, 0x7f, v1
	v_mov_b32_e32 v120, 0x7f800001
	s_mov_b32 s17, exec_lo
	s_delay_alu instid0(VALU_DEP_2)
	v_cmpx_ne_u32_e32 0x7f, v6
	s_cbranch_execz .LBB372_1904
; %bb.1901:                             ;   in Loop: Header=BB372_10 Depth=1
	v_mov_b64_e32 v[2:3], v[16:17]
	v_lshrrev_b32_e32 v3, 3, v6
	s_mov_b32 s18, exec_lo
	v_cmpx_gt_u32_e32 8, v6
; %bb.1902:                             ;   in Loop: Header=BB372_10 Depth=1
	v_and_b32_e32 v2, 7, v1
	s_delay_alu instid0(VALU_DEP_1) | instskip(NEXT) | instid1(VALU_DEP_1)
	v_clz_i32_u32_e32 v2, v2
	v_min_u32_e32 v6, 32, v2
	s_delay_alu instid0(VALU_DEP_1) | instskip(NEXT) | instid1(VALU_DEP_1)
	v_subrev_nc_u32_e32 v2, 28, v6
	v_lshlrev_b64_e32 v[2:3], v2, v[16:17]
	v_sub_nc_u32_e32 v3, 29, v6
; %bb.1903:                             ;   in Loop: Header=BB372_10 Depth=1
	s_or_b32 exec_lo, exec_lo, s18
	s_delay_alu instid0(VALU_DEP_2) | instskip(NEXT) | instid1(VALU_DEP_2)
	v_dual_lshlrev_b32 v2, 20, v2 :: v_dual_lshlrev_b32 v6, 24, v16
	v_lshl_add_u32 v3, v3, 23, 0x3c000000
	s_delay_alu instid0(VALU_DEP_2) | instskip(NEXT) | instid1(VALU_DEP_3)
	v_and_b32_e32 v2, 0x700000, v2
	v_and_b32_e32 v6, 0x80000000, v6
	s_delay_alu instid0(VALU_DEP_1)
	v_or3_b32 v120, v2, v6, v3
.LBB372_1904:                           ;   in Loop: Header=BB372_10 Depth=1
	s_or_b32 exec_lo, exec_lo, s17
.LBB372_1905:                           ;   in Loop: Header=BB372_10 Depth=1
	s_delay_alu instid0(SALU_CYCLE_1)
	s_or_b32 exec_lo, exec_lo, s16
.LBB372_1906:                           ;   in Loop: Header=BB372_10 Depth=1
	s_delay_alu instid0(SALU_CYCLE_1) | instskip(SKIP_3) | instid1(VALU_DEP_2)
	s_or_b32 exec_lo, exec_lo, s11
	v_lshrrev_b16 v2, 8, v16
	v_dual_mov_b32 v122, 0 :: v_dual_mov_b32 v121, 0
	s_mov_b32 s11, exec_lo
	v_cmpx_ne_u16_e32 0, v2
	s_cbranch_execz .LBB372_1914
; %bb.1907:                             ;   in Loop: Header=BB372_10 Depth=1
	v_bfrev_b32_e32 v121, 1
	s_mov_b32 s16, exec_lo
	v_cmpx_ne_u16_e32 0x80, v2
	s_cbranch_execz .LBB372_1913
; %bb.1908:                             ;   in Loop: Header=BB372_10 Depth=1
	v_and_b32_e32 v2, 0xffff, v2
	v_mov_b32_e32 v121, 0x7f800001
	s_mov_b32 s17, exec_lo
	s_delay_alu instid0(VALU_DEP_2) | instskip(NEXT) | instid1(VALU_DEP_1)
	v_and_b32_e32 v7, 0x7f, v2
	v_cmpx_ne_u32_e32 0x7f, v7
	s_cbranch_execz .LBB372_1912
; %bb.1909:                             ;   in Loop: Header=BB372_10 Depth=1
	v_dual_mov_b32 v3, v17 :: v_dual_bitop2_b32 v2, 7, v2 bitop3:0x40
	v_lshrrev_b32_e32 v6, 3, v7
	s_mov_b32 s18, exec_lo
	v_cmpx_gt_u32_e32 8, v7
; %bb.1910:                             ;   in Loop: Header=BB372_10 Depth=1
	s_delay_alu instid0(VALU_DEP_3) | instskip(NEXT) | instid1(VALU_DEP_1)
	v_clz_i32_u32_e32 v6, v2
	v_min_u32_e32 v6, 32, v6
	s_delay_alu instid0(VALU_DEP_1) | instskip(SKIP_1) | instid1(VALU_DEP_2)
	v_subrev_nc_u32_e32 v7, 28, v6
	v_sub_nc_u32_e32 v6, 29, v6
	v_lshlrev_b64_e32 v[2:3], v7, v[2:3]
	s_delay_alu instid0(VALU_DEP_1)
	v_and_b32_e32 v2, 7, v2
; %bb.1911:                             ;   in Loop: Header=BB372_10 Depth=1
	s_or_b32 exec_lo, exec_lo, s18
	s_delay_alu instid0(VALU_DEP_1) | instskip(SKIP_1) | instid1(VALU_DEP_2)
	v_dual_lshlrev_b32 v3, 16, v16 :: v_dual_lshlrev_b32 v2, 20, v2
	v_lshl_add_u32 v6, v6, 23, 0x3c000000
	v_and_b32_e32 v3, 0x80000000, v3
	s_delay_alu instid0(VALU_DEP_1)
	v_or3_b32 v121, v2, v3, v6
.LBB372_1912:                           ;   in Loop: Header=BB372_10 Depth=1
	s_or_b32 exec_lo, exec_lo, s17
.LBB372_1913:                           ;   in Loop: Header=BB372_10 Depth=1
	s_delay_alu instid0(SALU_CYCLE_1)
	s_or_b32 exec_lo, exec_lo, s16
.LBB372_1914:                           ;   in Loop: Header=BB372_10 Depth=1
	s_delay_alu instid0(SALU_CYCLE_1) | instskip(SKIP_2) | instid1(VALU_DEP_1)
	s_or_b32 exec_lo, exec_lo, s11
	v_lshrrev_b32_e32 v6, 16, v1
	s_mov_b32 s11, exec_lo
	v_and_b32_e32 v2, 0xff, v6
	s_delay_alu instid0(VALU_DEP_1)
	v_cmpx_ne_u16_e32 0, v2
	s_cbranch_execz .LBB372_1922
; %bb.1915:                             ;   in Loop: Header=BB372_10 Depth=1
	v_bfrev_b32_e32 v122, 1
	s_mov_b32 s16, exec_lo
	v_cmpx_ne_u16_e32 0x80, v2
	s_cbranch_execz .LBB372_1921
; %bb.1916:                             ;   in Loop: Header=BB372_10 Depth=1
	v_bfe_u32 v7, v1, 16, 7
	v_mov_b32_e32 v122, 0x7f800001
	s_mov_b32 s17, exec_lo
	s_delay_alu instid0(VALU_DEP_2)
	v_cmpx_ne_u32_e32 0x7f, v7
	s_cbranch_execz .LBB372_1920
; %bb.1917:                             ;   in Loop: Header=BB372_10 Depth=1
	v_and_b32_e32 v16, 7, v6
	s_mov_b32 s18, exec_lo
	s_delay_alu instid0(VALU_DEP_1)
	v_mov_b64_e32 v[2:3], v[16:17]
	v_lshrrev_b32_e32 v3, 3, v7
	v_cmpx_gt_u32_e32 8, v7
; %bb.1918:                             ;   in Loop: Header=BB372_10 Depth=1
	v_clz_i32_u32_e32 v2, v16
	s_delay_alu instid0(VALU_DEP_1) | instskip(NEXT) | instid1(VALU_DEP_1)
	v_min_u32_e32 v7, 32, v2
	v_subrev_nc_u32_e32 v2, 28, v7
	s_delay_alu instid0(VALU_DEP_1) | instskip(NEXT) | instid1(VALU_DEP_1)
	v_lshlrev_b64_e32 v[2:3], v2, v[16:17]
	v_dual_sub_nc_u32 v3, 29, v7 :: v_dual_bitop2_b32 v2, 7, v2 bitop3:0x40
; %bb.1919:                             ;   in Loop: Header=BB372_10 Depth=1
	s_or_b32 exec_lo, exec_lo, s18
	v_lshlrev_b32_e32 v6, 24, v6
	s_delay_alu instid0(VALU_DEP_2) | instskip(NEXT) | instid1(VALU_DEP_3)
	v_lshlrev_b32_e32 v2, 20, v2
	v_lshl_add_u32 v3, v3, 23, 0x3c000000
	s_delay_alu instid0(VALU_DEP_3) | instskip(NEXT) | instid1(VALU_DEP_1)
	v_and_b32_e32 v6, 0x80000000, v6
	v_or3_b32 v122, v2, v6, v3
.LBB372_1920:                           ;   in Loop: Header=BB372_10 Depth=1
	s_or_b32 exec_lo, exec_lo, s17
.LBB372_1921:                           ;   in Loop: Header=BB372_10 Depth=1
	s_delay_alu instid0(SALU_CYCLE_1)
	s_or_b32 exec_lo, exec_lo, s16
.LBB372_1922:                           ;   in Loop: Header=BB372_10 Depth=1
	s_delay_alu instid0(SALU_CYCLE_1)
	s_or_b32 exec_lo, exec_lo, s11
	v_dual_mov_b32 v126, 0 :: v_dual_mov_b32 v123, 0
	s_mov_b32 s11, exec_lo
	v_cmpx_lt_u64_e64 s[2:3], v[0:1]
	s_cbranch_execz .LBB372_1930
; %bb.1923:                             ;   in Loop: Header=BB372_10 Depth=1
	v_lshrrev_b32_e32 v2, 24, v1
	v_bfrev_b32_e32 v123, 1
	s_mov_b32 s16, exec_lo
	s_delay_alu instid0(VALU_DEP_2)
	v_cmpx_ne_u32_e32 0x80, v2
	s_cbranch_execz .LBB372_1929
; %bb.1924:                             ;   in Loop: Header=BB372_10 Depth=1
	v_bfe_u32 v3, v1, 24, 7
	v_mov_b32_e32 v123, 0x7f800001
	s_mov_b32 s17, exec_lo
	s_delay_alu instid0(VALU_DEP_2)
	v_cmpx_ne_u32_e32 0x7f, v3
	s_cbranch_execz .LBB372_1928
; %bb.1925:                             ;   in Loop: Header=BB372_10 Depth=1
	v_and_b32_e32 v16, 7, v2
	s_mov_b32 s18, exec_lo
	s_delay_alu instid0(VALU_DEP_1)
	v_mov_b64_e32 v[0:1], v[16:17]
	v_lshrrev_b32_e32 v1, 3, v3
	v_cmpx_gt_u32_e32 8, v3
; %bb.1926:                             ;   in Loop: Header=BB372_10 Depth=1
	v_clz_i32_u32_e32 v0, v16
	s_delay_alu instid0(VALU_DEP_1) | instskip(NEXT) | instid1(VALU_DEP_1)
	v_min_u32_e32 v3, 32, v0
	v_subrev_nc_u32_e32 v0, 28, v3
	s_delay_alu instid0(VALU_DEP_1) | instskip(NEXT) | instid1(VALU_DEP_1)
	v_lshlrev_b64_e32 v[0:1], v0, v[16:17]
	v_dual_sub_nc_u32 v1, 29, v3 :: v_dual_bitop2_b32 v0, 7, v0 bitop3:0x40
; %bb.1927:                             ;   in Loop: Header=BB372_10 Depth=1
	s_or_b32 exec_lo, exec_lo, s18
	s_delay_alu instid0(VALU_DEP_1) | instskip(NEXT) | instid1(VALU_DEP_2)
	v_dual_lshlrev_b32 v2, 24, v2 :: v_dual_lshlrev_b32 v0, 20, v0
	v_lshl_add_u32 v1, v1, 23, 0x3c000000
	s_delay_alu instid0(VALU_DEP_2) | instskip(NEXT) | instid1(VALU_DEP_1)
	v_and_b32_e32 v2, 0x80000000, v2
	v_or3_b32 v123, v0, v2, v1
.LBB372_1928:                           ;   in Loop: Header=BB372_10 Depth=1
	s_or_b32 exec_lo, exec_lo, s17
.LBB372_1929:                           ;   in Loop: Header=BB372_10 Depth=1
	s_delay_alu instid0(SALU_CYCLE_1)
	s_or_b32 exec_lo, exec_lo, s16
.LBB372_1930:                           ;   in Loop: Header=BB372_10 Depth=1
	s_delay_alu instid0(SALU_CYCLE_1)
	s_or_b32 exec_lo, exec_lo, s11
	flat_load_b64 v[6:7], v[96:97] offset:7680
	s_mov_b32 s11, exec_lo
	s_wait_loadcnt_dscnt 0x0
	v_and_b32_e32 v0, 0xff, v6
	s_wait_xcnt 0x0
	s_delay_alu instid0(VALU_DEP_1)
	v_cmpx_ne_u16_e32 0, v0
	s_cbranch_execz .LBB372_1938
; %bb.1931:                             ;   in Loop: Header=BB372_10 Depth=1
	v_bfrev_b32_e32 v126, 1
	s_mov_b32 s16, exec_lo
	v_cmpx_ne_u16_e32 0x80, v0
	s_cbranch_execz .LBB372_1937
; %bb.1932:                             ;   in Loop: Header=BB372_10 Depth=1
	v_and_b32_e32 v0, 0x7f, v6
	v_mov_b32_e32 v126, 0x7f800001
	s_mov_b32 s17, exec_lo
	s_delay_alu instid0(VALU_DEP_2)
	v_cmpx_ne_u32_e32 0x7f, v0
	s_cbranch_execz .LBB372_1936
; %bb.1933:                             ;   in Loop: Header=BB372_10 Depth=1
	v_lshrrev_b32_e32 v2, 3, v0
	v_cmp_gt_u32_e64 s1, 8, v0
	v_mov_b64_e32 v[0:1], v[6:7]
	s_and_saveexec_b32 s18, s1
; %bb.1934:                             ;   in Loop: Header=BB372_10 Depth=1
	v_and_b32_e32 v0, 7, v6
	s_delay_alu instid0(VALU_DEP_1) | instskip(NEXT) | instid1(VALU_DEP_1)
	v_clz_i32_u32_e32 v0, v0
	v_min_u32_e32 v2, 32, v0
	s_delay_alu instid0(VALU_DEP_1) | instskip(SKIP_1) | instid1(VALU_DEP_2)
	v_subrev_nc_u32_e32 v0, 28, v2
	v_sub_nc_u32_e32 v2, 29, v2
	v_lshlrev_b64_e32 v[0:1], v0, v[6:7]
; %bb.1935:                             ;   in Loop: Header=BB372_10 Depth=1
	s_or_b32 exec_lo, exec_lo, s18
	s_delay_alu instid0(VALU_DEP_1) | instskip(NEXT) | instid1(VALU_DEP_3)
	v_dual_lshlrev_b32 v0, 20, v0 :: v_dual_lshlrev_b32 v1, 24, v6
	v_lshl_add_u32 v2, v2, 23, 0x3c000000
	s_delay_alu instid0(VALU_DEP_2) | instskip(NEXT) | instid1(VALU_DEP_3)
	v_and_b32_e32 v0, 0x700000, v0
	v_and_b32_e32 v1, 0x80000000, v1
	s_delay_alu instid0(VALU_DEP_1)
	v_or3_b32 v126, v0, v1, v2
.LBB372_1936:                           ;   in Loop: Header=BB372_10 Depth=1
	s_or_b32 exec_lo, exec_lo, s17
.LBB372_1937:                           ;   in Loop: Header=BB372_10 Depth=1
	s_delay_alu instid0(SALU_CYCLE_1)
	s_or_b32 exec_lo, exec_lo, s16
.LBB372_1938:                           ;   in Loop: Header=BB372_10 Depth=1
	s_delay_alu instid0(SALU_CYCLE_1) | instskip(SKIP_3) | instid1(VALU_DEP_2)
	s_or_b32 exec_lo, exec_lo, s11
	v_lshrrev_b16 v1, 8, v6
	v_dual_mov_b32 v0, 0 :: v_dual_mov_b32 v127, 0
	s_mov_b32 s11, exec_lo
	v_cmpx_ne_u16_e32 0, v1
	s_cbranch_execz .LBB372_1946
; %bb.1939:                             ;   in Loop: Header=BB372_10 Depth=1
	v_bfrev_b32_e32 v127, 1
	s_mov_b32 s16, exec_lo
	v_cmpx_ne_u16_e32 0x80, v1
	s_cbranch_execz .LBB372_1945
; %bb.1940:                             ;   in Loop: Header=BB372_10 Depth=1
	v_and_b32_e32 v1, 0xffff, v1
	v_mov_b32_e32 v127, 0x7f800001
	s_mov_b32 s17, exec_lo
	s_delay_alu instid0(VALU_DEP_2) | instskip(NEXT) | instid1(VALU_DEP_1)
	v_and_b32_e32 v22, 0x7f, v1
	v_cmpx_ne_u32_e32 0x7f, v22
	s_cbranch_execz .LBB372_1944
; %bb.1941:                             ;   in Loop: Header=BB372_10 Depth=1
	v_dual_lshrrev_b32 v1, 3, v22 :: v_dual_bitop2_b32 v16, 7, v1 bitop3:0x40
	s_mov_b32 s18, exec_lo
	s_delay_alu instid0(VALU_DEP_1)
	v_mov_b64_e32 v[2:3], v[16:17]
	v_cmpx_gt_u32_e32 8, v22
; %bb.1942:                             ;   in Loop: Header=BB372_10 Depth=1
	v_clz_i32_u32_e32 v1, v16
	s_delay_alu instid0(VALU_DEP_1) | instskip(NEXT) | instid1(VALU_DEP_1)
	v_min_u32_e32 v1, 32, v1
	v_subrev_nc_u32_e32 v2, 28, v1
	s_delay_alu instid0(VALU_DEP_1) | instskip(NEXT) | instid1(VALU_DEP_1)
	v_lshlrev_b64_e32 v[2:3], v2, v[16:17]
	v_dual_sub_nc_u32 v1, 29, v1 :: v_dual_bitop2_b32 v2, 7, v2 bitop3:0x40
; %bb.1943:                             ;   in Loop: Header=BB372_10 Depth=1
	s_or_b32 exec_lo, exec_lo, s18
	v_lshlrev_b32_e32 v3, 16, v6
	s_delay_alu instid0(VALU_DEP_2) | instskip(NEXT) | instid1(VALU_DEP_3)
	v_lshlrev_b32_e32 v2, 20, v2
	v_lshl_add_u32 v1, v1, 23, 0x3c000000
	s_delay_alu instid0(VALU_DEP_3) | instskip(NEXT) | instid1(VALU_DEP_1)
	v_and_b32_e32 v3, 0x80000000, v3
	v_or3_b32 v127, v2, v3, v1
.LBB372_1944:                           ;   in Loop: Header=BB372_10 Depth=1
	s_or_b32 exec_lo, exec_lo, s17
.LBB372_1945:                           ;   in Loop: Header=BB372_10 Depth=1
	s_delay_alu instid0(SALU_CYCLE_1)
	s_or_b32 exec_lo, exec_lo, s16
.LBB372_1946:                           ;   in Loop: Header=BB372_10 Depth=1
	s_delay_alu instid0(SALU_CYCLE_1) | instskip(SKIP_2) | instid1(VALU_DEP_1)
	s_or_b32 exec_lo, exec_lo, s11
	v_lshrrev_b32_e32 v2, 16, v6
	s_mov_b32 s11, exec_lo
	v_and_b32_e32 v1, 0xff, v2
	s_delay_alu instid0(VALU_DEP_1)
	v_cmpx_ne_u16_e32 0, v1
	s_cbranch_execz .LBB372_1954
; %bb.1947:                             ;   in Loop: Header=BB372_10 Depth=1
	v_bfrev_b32_e32 v0, 1
	s_mov_b32 s16, exec_lo
	v_cmpx_ne_u16_e32 0x80, v1
	s_cbranch_execz .LBB372_1953
; %bb.1948:                             ;   in Loop: Header=BB372_10 Depth=1
	v_bfe_u32 v3, v6, 16, 7
	v_mov_b32_e32 v0, 0x7f800001
	s_mov_b32 s17, exec_lo
	s_delay_alu instid0(VALU_DEP_2)
	v_cmpx_ne_u32_e32 0x7f, v3
	s_cbranch_execz .LBB372_1952
; %bb.1949:                             ;   in Loop: Header=BB372_10 Depth=1
	v_and_b32_e32 v16, 7, v2
	s_mov_b32 s18, exec_lo
	s_delay_alu instid0(VALU_DEP_1)
	v_mov_b64_e32 v[0:1], v[16:17]
	v_lshrrev_b32_e32 v1, 3, v3
	v_cmpx_gt_u32_e32 8, v3
; %bb.1950:                             ;   in Loop: Header=BB372_10 Depth=1
	v_clz_i32_u32_e32 v0, v16
	s_delay_alu instid0(VALU_DEP_1) | instskip(NEXT) | instid1(VALU_DEP_1)
	v_min_u32_e32 v3, 32, v0
	v_subrev_nc_u32_e32 v0, 28, v3
	s_delay_alu instid0(VALU_DEP_1) | instskip(NEXT) | instid1(VALU_DEP_1)
	v_lshlrev_b64_e32 v[0:1], v0, v[16:17]
	v_dual_sub_nc_u32 v1, 29, v3 :: v_dual_bitop2_b32 v0, 7, v0 bitop3:0x40
; %bb.1951:                             ;   in Loop: Header=BB372_10 Depth=1
	s_or_b32 exec_lo, exec_lo, s18
	s_delay_alu instid0(VALU_DEP_1) | instskip(NEXT) | instid1(VALU_DEP_2)
	v_dual_lshlrev_b32 v2, 24, v2 :: v_dual_lshlrev_b32 v0, 20, v0
	v_lshl_add_u32 v1, v1, 23, 0x3c000000
	s_delay_alu instid0(VALU_DEP_2) | instskip(NEXT) | instid1(VALU_DEP_1)
	v_and_b32_e32 v2, 0x80000000, v2
	v_or3_b32 v0, v0, v2, v1
.LBB372_1952:                           ;   in Loop: Header=BB372_10 Depth=1
	s_or_b32 exec_lo, exec_lo, s17
.LBB372_1953:                           ;   in Loop: Header=BB372_10 Depth=1
	s_delay_alu instid0(SALU_CYCLE_1)
	s_or_b32 exec_lo, exec_lo, s16
.LBB372_1954:                           ;   in Loop: Header=BB372_10 Depth=1
	s_delay_alu instid0(SALU_CYCLE_1)
	s_or_b32 exec_lo, exec_lo, s11
	v_dual_mov_b32 v2, 0 :: v_dual_mov_b32 v1, 0
	s_mov_b32 s11, exec_lo
	v_cmpx_lt_u32_e32 0xffffff, v6
	s_cbranch_execz .LBB372_1962
; %bb.1955:                             ;   in Loop: Header=BB372_10 Depth=1
	v_lshrrev_b32_e32 v3, 24, v6
	v_bfrev_b32_e32 v1, 1
	s_mov_b32 s16, exec_lo
	s_delay_alu instid0(VALU_DEP_2)
	v_cmpx_ne_u32_e32 0x80, v3
	s_cbranch_execz .LBB372_1961
; %bb.1956:                             ;   in Loop: Header=BB372_10 Depth=1
	v_bfe_u32 v32, v6, 24, 7
	v_mov_b32_e32 v1, 0x7f800001
	s_mov_b32 s17, exec_lo
	s_delay_alu instid0(VALU_DEP_2)
	v_cmpx_ne_u32_e32 0x7f, v32
	s_cbranch_execz .LBB372_1960
; %bb.1957:                             ;   in Loop: Header=BB372_10 Depth=1
	v_dual_lshrrev_b32 v1, 3, v32 :: v_dual_bitop2_b32 v16, 7, v3 bitop3:0x40
	s_mov_b32 s18, exec_lo
	s_delay_alu instid0(VALU_DEP_1)
	v_mov_b64_e32 v[22:23], v[16:17]
	v_cmpx_gt_u32_e32 8, v32
; %bb.1958:                             ;   in Loop: Header=BB372_10 Depth=1
	v_clz_i32_u32_e32 v1, v16
	s_delay_alu instid0(VALU_DEP_1) | instskip(NEXT) | instid1(VALU_DEP_1)
	v_min_u32_e32 v1, 32, v1
	v_subrev_nc_u32_e32 v22, 28, v1
	s_delay_alu instid0(VALU_DEP_1) | instskip(NEXT) | instid1(VALU_DEP_1)
	v_lshlrev_b64_e32 v[22:23], v22, v[16:17]
	v_dual_sub_nc_u32 v1, 29, v1 :: v_dual_bitop2_b32 v22, 7, v22 bitop3:0x40
; %bb.1959:                             ;   in Loop: Header=BB372_10 Depth=1
	s_or_b32 exec_lo, exec_lo, s18
	s_delay_alu instid0(VALU_DEP_1) | instskip(NEXT) | instid1(VALU_DEP_2)
	v_dual_lshlrev_b32 v3, 24, v3 :: v_dual_lshlrev_b32 v16, 20, v22
	v_lshl_add_u32 v1, v1, 23, 0x3c000000
	s_delay_alu instid0(VALU_DEP_2) | instskip(NEXT) | instid1(VALU_DEP_1)
	v_and_b32_e32 v3, 0x80000000, v3
	v_or3_b32 v1, v16, v3, v1
.LBB372_1960:                           ;   in Loop: Header=BB372_10 Depth=1
	s_or_b32 exec_lo, exec_lo, s17
.LBB372_1961:                           ;   in Loop: Header=BB372_10 Depth=1
	s_delay_alu instid0(SALU_CYCLE_1)
	s_or_b32 exec_lo, exec_lo, s16
.LBB372_1962:                           ;   in Loop: Header=BB372_10 Depth=1
	s_delay_alu instid0(SALU_CYCLE_1) | instskip(SKIP_3) | instid1(VALU_DEP_2)
	s_or_b32 exec_lo, exec_lo, s11
	v_and_b32_e32 v3, 0xff, v7
	v_mov_b32_e32 v16, v7
	s_mov_b32 s11, exec_lo
	v_cmpx_ne_u16_e32 0, v3
	s_cbranch_execz .LBB372_1970
; %bb.1963:                             ;   in Loop: Header=BB372_10 Depth=1
	v_bfrev_b32_e32 v2, 1
	s_mov_b32 s16, exec_lo
	v_cmpx_ne_u16_e32 0x80, v3
	s_cbranch_execz .LBB372_1969
; %bb.1964:                             ;   in Loop: Header=BB372_10 Depth=1
	v_and_b32_e32 v22, 0x7f, v7
	v_mov_b32_e32 v2, 0x7f800001
	s_mov_b32 s17, exec_lo
	s_delay_alu instid0(VALU_DEP_2)
	v_cmpx_ne_u32_e32 0x7f, v22
	s_cbranch_execz .LBB372_1968
; %bb.1965:                             ;   in Loop: Header=BB372_10 Depth=1
	v_mov_b64_e32 v[2:3], v[16:17]
	v_lshrrev_b32_e32 v3, 3, v22
	s_mov_b32 s18, exec_lo
	v_cmpx_gt_u32_e32 8, v22
; %bb.1966:                             ;   in Loop: Header=BB372_10 Depth=1
	v_and_b32_e32 v2, 7, v7
	s_delay_alu instid0(VALU_DEP_1) | instskip(NEXT) | instid1(VALU_DEP_1)
	v_clz_i32_u32_e32 v2, v2
	v_min_u32_e32 v22, 32, v2
	s_delay_alu instid0(VALU_DEP_1) | instskip(NEXT) | instid1(VALU_DEP_1)
	v_subrev_nc_u32_e32 v2, 28, v22
	v_lshlrev_b64_e32 v[2:3], v2, v[16:17]
	v_sub_nc_u32_e32 v3, 29, v22
; %bb.1967:                             ;   in Loop: Header=BB372_10 Depth=1
	s_or_b32 exec_lo, exec_lo, s18
	s_delay_alu instid0(VALU_DEP_2) | instskip(NEXT) | instid1(VALU_DEP_2)
	v_dual_lshlrev_b32 v2, 20, v2 :: v_dual_lshlrev_b32 v22, 24, v16
	v_lshl_add_u32 v3, v3, 23, 0x3c000000
	s_delay_alu instid0(VALU_DEP_2) | instskip(NEXT) | instid1(VALU_DEP_3)
	v_and_b32_e32 v2, 0x700000, v2
	v_and_b32_e32 v22, 0x80000000, v22
	s_delay_alu instid0(VALU_DEP_1)
	v_or3_b32 v2, v2, v22, v3
.LBB372_1968:                           ;   in Loop: Header=BB372_10 Depth=1
	s_or_b32 exec_lo, exec_lo, s17
.LBB372_1969:                           ;   in Loop: Header=BB372_10 Depth=1
	s_delay_alu instid0(SALU_CYCLE_1)
	s_or_b32 exec_lo, exec_lo, s16
.LBB372_1970:                           ;   in Loop: Header=BB372_10 Depth=1
	s_delay_alu instid0(SALU_CYCLE_1) | instskip(SKIP_3) | instid1(VALU_DEP_2)
	s_or_b32 exec_lo, exec_lo, s11
	v_lshrrev_b16 v23, 8, v16
	v_dual_mov_b32 v22, 0 :: v_dual_mov_b32 v3, 0
	s_mov_b32 s11, exec_lo
	v_cmpx_ne_u16_e32 0, v23
	s_cbranch_execz .LBB372_1978
; %bb.1971:                             ;   in Loop: Header=BB372_10 Depth=1
	v_bfrev_b32_e32 v3, 1
	s_mov_b32 s16, exec_lo
	v_cmpx_ne_u16_e32 0x80, v23
	s_cbranch_execz .LBB372_1977
; %bb.1972:                             ;   in Loop: Header=BB372_10 Depth=1
	v_and_b32_e32 v32, 0xffff, v23
	v_mov_b32_e32 v3, 0x7f800001
	s_mov_b32 s17, exec_lo
	s_delay_alu instid0(VALU_DEP_2) | instskip(NEXT) | instid1(VALU_DEP_1)
	v_and_b32_e32 v23, 0x7f, v32
	v_cmpx_ne_u32_e32 0x7f, v23
	s_cbranch_execz .LBB372_1976
; %bb.1973:                             ;   in Loop: Header=BB372_10 Depth=1
	v_dual_mov_b32 v33, v17 :: v_dual_bitop2_b32 v32, 7, v32 bitop3:0x40
	v_lshrrev_b32_e32 v3, 3, v23
	s_mov_b32 s18, exec_lo
	v_cmpx_gt_u32_e32 8, v23
; %bb.1974:                             ;   in Loop: Header=BB372_10 Depth=1
	s_delay_alu instid0(VALU_DEP_3) | instskip(NEXT) | instid1(VALU_DEP_1)
	v_clz_i32_u32_e32 v3, v32
	v_min_u32_e32 v3, 32, v3
	s_delay_alu instid0(VALU_DEP_1) | instskip(NEXT) | instid1(VALU_DEP_1)
	v_subrev_nc_u32_e32 v23, 28, v3
	v_lshlrev_b64_e32 v[32:33], v23, v[32:33]
	s_delay_alu instid0(VALU_DEP_1)
	v_dual_sub_nc_u32 v3, 29, v3 :: v_dual_bitop2_b32 v32, 7, v32 bitop3:0x40
; %bb.1975:                             ;   in Loop: Header=BB372_10 Depth=1
	s_or_b32 exec_lo, exec_lo, s18
	v_lshlrev_b32_e32 v16, 16, v16
	s_delay_alu instid0(VALU_DEP_2) | instskip(NEXT) | instid1(VALU_DEP_3)
	v_lshlrev_b32_e32 v23, 20, v32
	v_lshl_add_u32 v3, v3, 23, 0x3c000000
	s_delay_alu instid0(VALU_DEP_3) | instskip(NEXT) | instid1(VALU_DEP_1)
	v_and_b32_e32 v16, 0x80000000, v16
	v_or3_b32 v3, v23, v16, v3
.LBB372_1976:                           ;   in Loop: Header=BB372_10 Depth=1
	s_or_b32 exec_lo, exec_lo, s17
.LBB372_1977:                           ;   in Loop: Header=BB372_10 Depth=1
	s_delay_alu instid0(SALU_CYCLE_1)
	s_or_b32 exec_lo, exec_lo, s16
.LBB372_1978:                           ;   in Loop: Header=BB372_10 Depth=1
	s_delay_alu instid0(SALU_CYCLE_1) | instskip(SKIP_2) | instid1(VALU_DEP_1)
	s_or_b32 exec_lo, exec_lo, s11
	v_lshrrev_b32_e32 v32, 16, v7
	s_mov_b32 s11, exec_lo
	v_and_b32_e32 v16, 0xff, v32
	s_delay_alu instid0(VALU_DEP_1)
	v_cmpx_ne_u16_e32 0, v16
	s_cbranch_execz .LBB372_1986
; %bb.1979:                             ;   in Loop: Header=BB372_10 Depth=1
	v_bfrev_b32_e32 v22, 1
	s_mov_b32 s16, exec_lo
	v_cmpx_ne_u16_e32 0x80, v16
	s_cbranch_execz .LBB372_1985
; %bb.1980:                             ;   in Loop: Header=BB372_10 Depth=1
	v_bfe_u32 v33, v7, 16, 7
	v_mov_b32_e32 v22, 0x7f800001
	s_mov_b32 s17, exec_lo
	s_delay_alu instid0(VALU_DEP_2)
	v_cmpx_ne_u32_e32 0x7f, v33
	s_cbranch_execz .LBB372_1984
; %bb.1981:                             ;   in Loop: Header=BB372_10 Depth=1
	v_and_b32_e32 v16, 7, v32
	s_mov_b32 s18, exec_lo
	s_delay_alu instid0(VALU_DEP_1)
	v_mov_b64_e32 v[22:23], v[16:17]
	v_lshrrev_b32_e32 v23, 3, v33
	v_cmpx_gt_u32_e32 8, v33
; %bb.1982:                             ;   in Loop: Header=BB372_10 Depth=1
	v_clz_i32_u32_e32 v22, v16
	s_delay_alu instid0(VALU_DEP_1) | instskip(NEXT) | instid1(VALU_DEP_1)
	v_min_u32_e32 v33, 32, v22
	v_subrev_nc_u32_e32 v22, 28, v33
	s_delay_alu instid0(VALU_DEP_1) | instskip(NEXT) | instid1(VALU_DEP_1)
	v_lshlrev_b64_e32 v[22:23], v22, v[16:17]
	v_dual_sub_nc_u32 v23, 29, v33 :: v_dual_bitop2_b32 v22, 7, v22 bitop3:0x40
; %bb.1983:                             ;   in Loop: Header=BB372_10 Depth=1
	s_or_b32 exec_lo, exec_lo, s18
	s_delay_alu instid0(VALU_DEP_1) | instskip(NEXT) | instid1(VALU_DEP_2)
	v_dual_lshlrev_b32 v16, 24, v32 :: v_dual_lshlrev_b32 v22, 20, v22
	v_lshl_add_u32 v23, v23, 23, 0x3c000000
	s_delay_alu instid0(VALU_DEP_2) | instskip(NEXT) | instid1(VALU_DEP_1)
	v_and_b32_e32 v16, 0x80000000, v16
	v_or3_b32 v22, v22, v16, v23
.LBB372_1984:                           ;   in Loop: Header=BB372_10 Depth=1
	s_or_b32 exec_lo, exec_lo, s17
.LBB372_1985:                           ;   in Loop: Header=BB372_10 Depth=1
	s_delay_alu instid0(SALU_CYCLE_1)
	s_or_b32 exec_lo, exec_lo, s16
.LBB372_1986:                           ;   in Loop: Header=BB372_10 Depth=1
	s_delay_alu instid0(SALU_CYCLE_1)
	s_or_b32 exec_lo, exec_lo, s11
	v_dual_mov_b32 v90, 0 :: v_dual_mov_b32 v23, 0
	s_mov_b32 s11, exec_lo
	v_cmpx_lt_u64_e64 s[2:3], v[6:7]
	s_cbranch_execz .LBB372_1994
; %bb.1987:                             ;   in Loop: Header=BB372_10 Depth=1
	v_lshrrev_b32_e32 v32, 24, v7
	v_bfrev_b32_e32 v23, 1
	s_mov_b32 s16, exec_lo
	s_delay_alu instid0(VALU_DEP_2)
	v_cmpx_ne_u32_e32 0x80, v32
	s_cbranch_execz .LBB372_1993
; %bb.1988:                             ;   in Loop: Header=BB372_10 Depth=1
	v_bfe_u32 v33, v7, 24, 7
	v_mov_b32_e32 v23, 0x7f800001
	s_mov_b32 s17, exec_lo
	s_delay_alu instid0(VALU_DEP_2)
	v_cmpx_ne_u32_e32 0x7f, v33
	s_cbranch_execz .LBB372_1992
; %bb.1989:                             ;   in Loop: Header=BB372_10 Depth=1
	v_and_b32_e32 v16, 7, v32
	s_mov_b32 s18, exec_lo
	s_delay_alu instid0(VALU_DEP_1)
	v_mov_b64_e32 v[6:7], v[16:17]
	v_lshrrev_b32_e32 v7, 3, v33
	v_cmpx_gt_u32_e32 8, v33
; %bb.1990:                             ;   in Loop: Header=BB372_10 Depth=1
	v_clz_i32_u32_e32 v6, v16
	s_delay_alu instid0(VALU_DEP_1) | instskip(NEXT) | instid1(VALU_DEP_1)
	v_min_u32_e32 v23, 32, v6
	v_subrev_nc_u32_e32 v6, 28, v23
	s_delay_alu instid0(VALU_DEP_1) | instskip(NEXT) | instid1(VALU_DEP_1)
	v_lshlrev_b64_e32 v[6:7], v6, v[16:17]
	v_dual_sub_nc_u32 v7, 29, v23 :: v_dual_bitop2_b32 v6, 7, v6 bitop3:0x40
; %bb.1991:                             ;   in Loop: Header=BB372_10 Depth=1
	s_or_b32 exec_lo, exec_lo, s18
	s_delay_alu instid0(VALU_DEP_1) | instskip(NEXT) | instid1(VALU_DEP_2)
	v_dual_lshlrev_b32 v16, 24, v32 :: v_dual_lshlrev_b32 v6, 20, v6
	v_lshl_add_u32 v7, v7, 23, 0x3c000000
	s_delay_alu instid0(VALU_DEP_2) | instskip(NEXT) | instid1(VALU_DEP_1)
	v_and_b32_e32 v16, 0x80000000, v16
	v_or3_b32 v23, v6, v16, v7
.LBB372_1992:                           ;   in Loop: Header=BB372_10 Depth=1
	s_or_b32 exec_lo, exec_lo, s17
.LBB372_1993:                           ;   in Loop: Header=BB372_10 Depth=1
	s_delay_alu instid0(SALU_CYCLE_1)
	s_or_b32 exec_lo, exec_lo, s16
.LBB372_1994:                           ;   in Loop: Header=BB372_10 Depth=1
	s_delay_alu instid0(SALU_CYCLE_1)
	s_or_b32 exec_lo, exec_lo, s11
	flat_load_b64 v[96:97], v[96:97] offset:7688
	s_mov_b32 s11, exec_lo
	s_wait_loadcnt_dscnt 0x0
	v_and_b32_e32 v6, 0xff, v96
	s_wait_xcnt 0x0
	s_delay_alu instid0(VALU_DEP_1)
	v_cmpx_ne_u16_e32 0, v6
	s_cbranch_execz .LBB372_2002
; %bb.1995:                             ;   in Loop: Header=BB372_10 Depth=1
	v_bfrev_b32_e32 v90, 1
	s_mov_b32 s16, exec_lo
	v_cmpx_ne_u16_e32 0x80, v6
	s_cbranch_execz .LBB372_2001
; %bb.1996:                             ;   in Loop: Header=BB372_10 Depth=1
	v_and_b32_e32 v6, 0x7f, v96
	v_mov_b32_e32 v90, 0x7f800001
	s_mov_b32 s17, exec_lo
	s_delay_alu instid0(VALU_DEP_2)
	v_cmpx_ne_u32_e32 0x7f, v6
	s_cbranch_execz .LBB372_2000
; %bb.1997:                             ;   in Loop: Header=BB372_10 Depth=1
	v_lshrrev_b32_e32 v16, 3, v6
	v_cmp_gt_u32_e64 s1, 8, v6
	v_mov_b64_e32 v[6:7], v[96:97]
	s_and_saveexec_b32 s18, s1
; %bb.1998:                             ;   in Loop: Header=BB372_10 Depth=1
	v_and_b32_e32 v6, 7, v96
	s_delay_alu instid0(VALU_DEP_1) | instskip(NEXT) | instid1(VALU_DEP_1)
	v_clz_i32_u32_e32 v6, v6
	v_min_u32_e32 v16, 32, v6
	s_delay_alu instid0(VALU_DEP_1) | instskip(SKIP_1) | instid1(VALU_DEP_2)
	v_subrev_nc_u32_e32 v6, 28, v16
	v_sub_nc_u32_e32 v16, 29, v16
	v_lshlrev_b64_e32 v[6:7], v6, v[96:97]
; %bb.1999:                             ;   in Loop: Header=BB372_10 Depth=1
	s_or_b32 exec_lo, exec_lo, s18
	s_delay_alu instid0(VALU_DEP_1) | instskip(NEXT) | instid1(VALU_DEP_3)
	v_dual_lshlrev_b32 v6, 20, v6 :: v_dual_lshlrev_b32 v7, 24, v96
	v_lshl_add_u32 v16, v16, 23, 0x3c000000
	s_delay_alu instid0(VALU_DEP_2) | instskip(NEXT) | instid1(VALU_DEP_3)
	v_and_b32_e32 v6, 0x700000, v6
	v_and_b32_e32 v7, 0x80000000, v7
	s_delay_alu instid0(VALU_DEP_1)
	v_or3_b32 v90, v6, v7, v16
.LBB372_2000:                           ;   in Loop: Header=BB372_10 Depth=1
	s_or_b32 exec_lo, exec_lo, s17
.LBB372_2001:                           ;   in Loop: Header=BB372_10 Depth=1
	s_delay_alu instid0(SALU_CYCLE_1)
	s_or_b32 exec_lo, exec_lo, s16
.LBB372_2002:                           ;   in Loop: Header=BB372_10 Depth=1
	s_delay_alu instid0(SALU_CYCLE_1) | instskip(SKIP_3) | instid1(VALU_DEP_2)
	s_or_b32 exec_lo, exec_lo, s11
	v_lshrrev_b16 v6, 8, v96
	v_dual_mov_b32 v64, 0 :: v_dual_mov_b32 v91, 0
	s_mov_b32 s11, exec_lo
	v_cmpx_ne_u16_e32 0, v6
	s_cbranch_execz .LBB372_2010
; %bb.2003:                             ;   in Loop: Header=BB372_10 Depth=1
	v_bfrev_b32_e32 v91, 1
	s_mov_b32 s16, exec_lo
	v_cmpx_ne_u16_e32 0x80, v6
	s_cbranch_execz .LBB372_2009
; %bb.2004:                             ;   in Loop: Header=BB372_10 Depth=1
	v_and_b32_e32 v6, 0xffff, v6
	v_mov_b32_e32 v91, 0x7f800001
	s_mov_b32 s17, exec_lo
	s_delay_alu instid0(VALU_DEP_2) | instskip(NEXT) | instid1(VALU_DEP_1)
	v_and_b32_e32 v32, 0x7f, v6
	v_cmpx_ne_u32_e32 0x7f, v32
	s_cbranch_execz .LBB372_2008
; %bb.2005:                             ;   in Loop: Header=BB372_10 Depth=1
	v_and_b32_e32 v16, 7, v6
	s_mov_b32 s18, exec_lo
	s_delay_alu instid0(VALU_DEP_1)
	v_mov_b64_e32 v[6:7], v[16:17]
	v_lshrrev_b32_e32 v7, 3, v32
	v_cmpx_gt_u32_e32 8, v32
; %bb.2006:                             ;   in Loop: Header=BB372_10 Depth=1
	v_clz_i32_u32_e32 v6, v16
	s_delay_alu instid0(VALU_DEP_1) | instskip(NEXT) | instid1(VALU_DEP_1)
	v_min_u32_e32 v32, 32, v6
	v_subrev_nc_u32_e32 v6, 28, v32
	s_delay_alu instid0(VALU_DEP_1) | instskip(NEXT) | instid1(VALU_DEP_1)
	v_lshlrev_b64_e32 v[6:7], v6, v[16:17]
	v_dual_sub_nc_u32 v7, 29, v32 :: v_dual_bitop2_b32 v6, 7, v6 bitop3:0x40
; %bb.2007:                             ;   in Loop: Header=BB372_10 Depth=1
	s_or_b32 exec_lo, exec_lo, s18
	s_delay_alu instid0(VALU_DEP_1) | instskip(NEXT) | instid1(VALU_DEP_2)
	v_dual_lshlrev_b32 v16, 16, v96 :: v_dual_lshlrev_b32 v6, 20, v6
	v_lshl_add_u32 v7, v7, 23, 0x3c000000
	s_delay_alu instid0(VALU_DEP_2) | instskip(NEXT) | instid1(VALU_DEP_1)
	v_and_b32_e32 v16, 0x80000000, v16
	v_or3_b32 v91, v6, v16, v7
.LBB372_2008:                           ;   in Loop: Header=BB372_10 Depth=1
	s_or_b32 exec_lo, exec_lo, s17
.LBB372_2009:                           ;   in Loop: Header=BB372_10 Depth=1
	s_delay_alu instid0(SALU_CYCLE_1)
	s_or_b32 exec_lo, exec_lo, s16
.LBB372_2010:                           ;   in Loop: Header=BB372_10 Depth=1
	s_delay_alu instid0(SALU_CYCLE_1) | instskip(SKIP_2) | instid1(VALU_DEP_1)
	s_or_b32 exec_lo, exec_lo, s11
	v_lshrrev_b32_e32 v32, 16, v96
	s_mov_b32 s11, exec_lo
	v_and_b32_e32 v6, 0xff, v32
	s_delay_alu instid0(VALU_DEP_1)
	v_cmpx_ne_u16_e32 0, v6
	s_cbranch_execz .LBB372_2018
; %bb.2011:                             ;   in Loop: Header=BB372_10 Depth=1
	v_bfrev_b32_e32 v64, 1
	s_mov_b32 s16, exec_lo
	v_cmpx_ne_u16_e32 0x80, v6
	s_cbranch_execz .LBB372_2017
; %bb.2012:                             ;   in Loop: Header=BB372_10 Depth=1
	v_bfe_u32 v33, v96, 16, 7
	v_mov_b32_e32 v64, 0x7f800001
	s_mov_b32 s17, exec_lo
	s_delay_alu instid0(VALU_DEP_2)
	v_cmpx_ne_u32_e32 0x7f, v33
	s_cbranch_execz .LBB372_2016
; %bb.2013:                             ;   in Loop: Header=BB372_10 Depth=1
	v_and_b32_e32 v16, 7, v32
	s_mov_b32 s18, exec_lo
	s_delay_alu instid0(VALU_DEP_1)
	v_mov_b64_e32 v[6:7], v[16:17]
	v_lshrrev_b32_e32 v7, 3, v33
	v_cmpx_gt_u32_e32 8, v33
; %bb.2014:                             ;   in Loop: Header=BB372_10 Depth=1
	v_clz_i32_u32_e32 v6, v16
	s_delay_alu instid0(VALU_DEP_1) | instskip(NEXT) | instid1(VALU_DEP_1)
	v_min_u32_e32 v33, 32, v6
	v_subrev_nc_u32_e32 v6, 28, v33
	s_delay_alu instid0(VALU_DEP_1) | instskip(NEXT) | instid1(VALU_DEP_1)
	v_lshlrev_b64_e32 v[6:7], v6, v[16:17]
	v_dual_sub_nc_u32 v7, 29, v33 :: v_dual_bitop2_b32 v6, 7, v6 bitop3:0x40
; %bb.2015:                             ;   in Loop: Header=BB372_10 Depth=1
	s_or_b32 exec_lo, exec_lo, s18
	s_delay_alu instid0(VALU_DEP_1) | instskip(NEXT) | instid1(VALU_DEP_2)
	v_dual_lshlrev_b32 v16, 24, v32 :: v_dual_lshlrev_b32 v6, 20, v6
	v_lshl_add_u32 v7, v7, 23, 0x3c000000
	s_delay_alu instid0(VALU_DEP_2) | instskip(NEXT) | instid1(VALU_DEP_1)
	v_and_b32_e32 v16, 0x80000000, v16
	v_or3_b32 v64, v6, v16, v7
.LBB372_2016:                           ;   in Loop: Header=BB372_10 Depth=1
	s_or_b32 exec_lo, exec_lo, s17
.LBB372_2017:                           ;   in Loop: Header=BB372_10 Depth=1
	s_delay_alu instid0(SALU_CYCLE_1)
	s_or_b32 exec_lo, exec_lo, s16
.LBB372_2018:                           ;   in Loop: Header=BB372_10 Depth=1
	s_delay_alu instid0(SALU_CYCLE_1)
	s_or_b32 exec_lo, exec_lo, s11
	v_dual_mov_b32 v32, 0 :: v_dual_mov_b32 v65, 0
	s_mov_b32 s11, exec_lo
	v_cmpx_lt_u32_e32 0xffffff, v96
	s_cbranch_execz .LBB372_2026
; %bb.2019:                             ;   in Loop: Header=BB372_10 Depth=1
	v_lshrrev_b32_e32 v33, 24, v96
	v_bfrev_b32_e32 v65, 1
	s_mov_b32 s16, exec_lo
	s_delay_alu instid0(VALU_DEP_2)
	v_cmpx_ne_u32_e32 0x80, v33
	s_cbranch_execz .LBB372_2025
; %bb.2020:                             ;   in Loop: Header=BB372_10 Depth=1
	v_bfe_u32 v45, v96, 24, 7
	v_mov_b32_e32 v65, 0x7f800001
	s_mov_b32 s17, exec_lo
	s_delay_alu instid0(VALU_DEP_2)
	v_cmpx_ne_u32_e32 0x7f, v45
	s_cbranch_execz .LBB372_2024
; %bb.2021:                             ;   in Loop: Header=BB372_10 Depth=1
	v_and_b32_e32 v16, 7, v33
	s_mov_b32 s18, exec_lo
	s_delay_alu instid0(VALU_DEP_1)
	v_mov_b64_e32 v[6:7], v[16:17]
	v_lshrrev_b32_e32 v7, 3, v45
	v_cmpx_gt_u32_e32 8, v45
; %bb.2022:                             ;   in Loop: Header=BB372_10 Depth=1
	v_clz_i32_u32_e32 v6, v16
	s_delay_alu instid0(VALU_DEP_1) | instskip(NEXT) | instid1(VALU_DEP_1)
	v_min_u32_e32 v65, 32, v6
	v_subrev_nc_u32_e32 v6, 28, v65
	s_delay_alu instid0(VALU_DEP_1) | instskip(NEXT) | instid1(VALU_DEP_1)
	v_lshlrev_b64_e32 v[6:7], v6, v[16:17]
	v_dual_sub_nc_u32 v7, 29, v65 :: v_dual_bitop2_b32 v6, 7, v6 bitop3:0x40
; %bb.2023:                             ;   in Loop: Header=BB372_10 Depth=1
	s_or_b32 exec_lo, exec_lo, s18
	s_delay_alu instid0(VALU_DEP_1) | instskip(NEXT) | instid1(VALU_DEP_2)
	v_dual_lshlrev_b32 v16, 24, v33 :: v_dual_lshlrev_b32 v6, 20, v6
	v_lshl_add_u32 v7, v7, 23, 0x3c000000
	s_delay_alu instid0(VALU_DEP_2) | instskip(NEXT) | instid1(VALU_DEP_1)
	v_and_b32_e32 v16, 0x80000000, v16
	v_or3_b32 v65, v6, v16, v7
.LBB372_2024:                           ;   in Loop: Header=BB372_10 Depth=1
	s_or_b32 exec_lo, exec_lo, s17
.LBB372_2025:                           ;   in Loop: Header=BB372_10 Depth=1
	s_delay_alu instid0(SALU_CYCLE_1)
	s_or_b32 exec_lo, exec_lo, s16
.LBB372_2026:                           ;   in Loop: Header=BB372_10 Depth=1
	s_delay_alu instid0(SALU_CYCLE_1) | instskip(SKIP_3) | instid1(VALU_DEP_2)
	s_or_b32 exec_lo, exec_lo, s11
	v_and_b32_e32 v6, 0xff, v97
	v_mov_b32_e32 v16, v97
	s_mov_b32 s11, exec_lo
	v_cmpx_ne_u16_e32 0, v6
	s_cbranch_execz .LBB372_2034
; %bb.2027:                             ;   in Loop: Header=BB372_10 Depth=1
	v_bfrev_b32_e32 v32, 1
	s_mov_b32 s16, exec_lo
	v_cmpx_ne_u16_e32 0x80, v6
	s_cbranch_execz .LBB372_2033
; %bb.2028:                             ;   in Loop: Header=BB372_10 Depth=1
	v_and_b32_e32 v33, 0x7f, v97
	v_mov_b32_e32 v32, 0x7f800001
	s_mov_b32 s17, exec_lo
	s_delay_alu instid0(VALU_DEP_2)
	v_cmpx_ne_u32_e32 0x7f, v33
	s_cbranch_execz .LBB372_2032
; %bb.2029:                             ;   in Loop: Header=BB372_10 Depth=1
	v_mov_b64_e32 v[6:7], v[16:17]
	v_lshrrev_b32_e32 v7, 3, v33
	s_mov_b32 s18, exec_lo
	v_cmpx_gt_u32_e32 8, v33
; %bb.2030:                             ;   in Loop: Header=BB372_10 Depth=1
	v_and_b32_e32 v6, 7, v97
	s_delay_alu instid0(VALU_DEP_1) | instskip(NEXT) | instid1(VALU_DEP_1)
	v_clz_i32_u32_e32 v6, v6
	v_min_u32_e32 v32, 32, v6
	s_delay_alu instid0(VALU_DEP_1) | instskip(NEXT) | instid1(VALU_DEP_1)
	v_subrev_nc_u32_e32 v6, 28, v32
	v_lshlrev_b64_e32 v[6:7], v6, v[16:17]
	v_sub_nc_u32_e32 v7, 29, v32
; %bb.2031:                             ;   in Loop: Header=BB372_10 Depth=1
	s_or_b32 exec_lo, exec_lo, s18
	s_delay_alu instid0(VALU_DEP_2) | instskip(NEXT) | instid1(VALU_DEP_2)
	v_dual_lshlrev_b32 v6, 20, v6 :: v_dual_lshlrev_b32 v32, 24, v16
	v_lshl_add_u32 v7, v7, 23, 0x3c000000
	s_delay_alu instid0(VALU_DEP_2) | instskip(NEXT) | instid1(VALU_DEP_3)
	v_and_b32_e32 v6, 0x700000, v6
	v_and_b32_e32 v32, 0x80000000, v32
	s_delay_alu instid0(VALU_DEP_1)
	v_or3_b32 v32, v6, v32, v7
.LBB372_2032:                           ;   in Loop: Header=BB372_10 Depth=1
	s_or_b32 exec_lo, exec_lo, s17
.LBB372_2033:                           ;   in Loop: Header=BB372_10 Depth=1
	s_delay_alu instid0(SALU_CYCLE_1)
	s_or_b32 exec_lo, exec_lo, s16
.LBB372_2034:                           ;   in Loop: Header=BB372_10 Depth=1
	s_delay_alu instid0(SALU_CYCLE_1) | instskip(SKIP_3) | instid1(VALU_DEP_2)
	s_or_b32 exec_lo, exec_lo, s11
	v_lshrrev_b16 v6, 8, v16
	v_dual_mov_b32 v124, 0 :: v_dual_mov_b32 v33, 0
	s_mov_b32 s11, exec_lo
	v_cmpx_ne_u16_e32 0, v6
	s_cbranch_execz .LBB372_2042
; %bb.2035:                             ;   in Loop: Header=BB372_10 Depth=1
	v_bfrev_b32_e32 v33, 1
	s_mov_b32 s16, exec_lo
	v_cmpx_ne_u16_e32 0x80, v6
	s_cbranch_execz .LBB372_2041
; %bb.2036:                             ;   in Loop: Header=BB372_10 Depth=1
	v_and_b32_e32 v6, 0xffff, v6
	v_mov_b32_e32 v33, 0x7f800001
	s_mov_b32 s17, exec_lo
	s_delay_alu instid0(VALU_DEP_2) | instskip(NEXT) | instid1(VALU_DEP_1)
	v_and_b32_e32 v45, 0x7f, v6
	v_cmpx_ne_u32_e32 0x7f, v45
	s_cbranch_execz .LBB372_2040
; %bb.2037:                             ;   in Loop: Header=BB372_10 Depth=1
	v_dual_mov_b32 v7, v17 :: v_dual_bitop2_b32 v6, 7, v6 bitop3:0x40
	v_lshrrev_b32_e32 v33, 3, v45
	s_mov_b32 s18, exec_lo
	v_cmpx_gt_u32_e32 8, v45
; %bb.2038:                             ;   in Loop: Header=BB372_10 Depth=1
	s_delay_alu instid0(VALU_DEP_3) | instskip(NEXT) | instid1(VALU_DEP_1)
	v_clz_i32_u32_e32 v33, v6
	v_min_u32_e32 v33, 32, v33
	s_delay_alu instid0(VALU_DEP_1) | instskip(NEXT) | instid1(VALU_DEP_1)
	v_subrev_nc_u32_e32 v45, 28, v33
	v_lshlrev_b64_e32 v[6:7], v45, v[6:7]
	s_delay_alu instid0(VALU_DEP_1)
	v_dual_sub_nc_u32 v33, 29, v33 :: v_dual_bitop2_b32 v6, 7, v6 bitop3:0x40
; %bb.2039:                             ;   in Loop: Header=BB372_10 Depth=1
	s_or_b32 exec_lo, exec_lo, s18
	s_delay_alu instid0(VALU_DEP_1) | instskip(NEXT) | instid1(VALU_DEP_2)
	v_dual_lshlrev_b32 v7, 16, v16 :: v_dual_lshlrev_b32 v6, 20, v6
	v_lshl_add_u32 v16, v33, 23, 0x3c000000
	s_delay_alu instid0(VALU_DEP_2) | instskip(NEXT) | instid1(VALU_DEP_1)
	v_and_b32_e32 v7, 0x80000000, v7
	v_or3_b32 v33, v6, v7, v16
.LBB372_2040:                           ;   in Loop: Header=BB372_10 Depth=1
	s_or_b32 exec_lo, exec_lo, s17
.LBB372_2041:                           ;   in Loop: Header=BB372_10 Depth=1
	s_delay_alu instid0(SALU_CYCLE_1)
	s_or_b32 exec_lo, exec_lo, s16
.LBB372_2042:                           ;   in Loop: Header=BB372_10 Depth=1
	s_delay_alu instid0(SALU_CYCLE_1) | instskip(SKIP_2) | instid1(VALU_DEP_1)
	s_or_b32 exec_lo, exec_lo, s11
	v_lshrrev_b32_e32 v45, 16, v97
	s_mov_b32 s11, exec_lo
	v_and_b32_e32 v6, 0xff, v45
	s_delay_alu instid0(VALU_DEP_1)
	v_cmpx_ne_u16_e32 0, v6
	s_cbranch_execz .LBB372_2050
; %bb.2043:                             ;   in Loop: Header=BB372_10 Depth=1
	v_bfrev_b32_e32 v124, 1
	s_mov_b32 s16, exec_lo
	v_cmpx_ne_u16_e32 0x80, v6
	s_cbranch_execz .LBB372_2049
; %bb.2044:                             ;   in Loop: Header=BB372_10 Depth=1
	v_bfe_u32 v125, v97, 16, 7
	v_mov_b32_e32 v124, 0x7f800001
	s_mov_b32 s17, exec_lo
	s_delay_alu instid0(VALU_DEP_2)
	v_cmpx_ne_u32_e32 0x7f, v125
	s_cbranch_execz .LBB372_2048
; %bb.2045:                             ;   in Loop: Header=BB372_10 Depth=1
	v_and_b32_e32 v16, 7, v45
	s_mov_b32 s18, exec_lo
	s_delay_alu instid0(VALU_DEP_1)
	v_mov_b64_e32 v[6:7], v[16:17]
	v_lshrrev_b32_e32 v7, 3, v125
	v_cmpx_gt_u32_e32 8, v125
; %bb.2046:                             ;   in Loop: Header=BB372_10 Depth=1
	v_clz_i32_u32_e32 v6, v16
	s_delay_alu instid0(VALU_DEP_1) | instskip(NEXT) | instid1(VALU_DEP_1)
	v_min_u32_e32 v124, 32, v6
	v_subrev_nc_u32_e32 v6, 28, v124
	s_delay_alu instid0(VALU_DEP_1) | instskip(NEXT) | instid1(VALU_DEP_1)
	v_lshlrev_b64_e32 v[6:7], v6, v[16:17]
	v_dual_sub_nc_u32 v7, 29, v124 :: v_dual_bitop2_b32 v6, 7, v6 bitop3:0x40
; %bb.2047:                             ;   in Loop: Header=BB372_10 Depth=1
	s_or_b32 exec_lo, exec_lo, s18
	s_delay_alu instid0(VALU_DEP_1) | instskip(NEXT) | instid1(VALU_DEP_2)
	v_dual_lshlrev_b32 v16, 24, v45 :: v_dual_lshlrev_b32 v6, 20, v6
	v_lshl_add_u32 v7, v7, 23, 0x3c000000
	s_delay_alu instid0(VALU_DEP_2) | instskip(NEXT) | instid1(VALU_DEP_1)
	v_and_b32_e32 v16, 0x80000000, v16
	v_or3_b32 v124, v6, v16, v7
.LBB372_2048:                           ;   in Loop: Header=BB372_10 Depth=1
	s_or_b32 exec_lo, exec_lo, s17
.LBB372_2049:                           ;   in Loop: Header=BB372_10 Depth=1
	s_delay_alu instid0(SALU_CYCLE_1)
	s_or_b32 exec_lo, exec_lo, s16
.LBB372_2050:                           ;   in Loop: Header=BB372_10 Depth=1
	s_delay_alu instid0(SALU_CYCLE_1)
	s_or_b32 exec_lo, exec_lo, s11
	v_mov_b32_e32 v125, 0
	v_cmp_lt_u64_e64 s1, s[2:3], v[96:97]
	s_mov_b32 s11, exec_lo
	s_clause 0x2
	scratch_load_b32 v56, off, s32 offset:772
	scratch_load_b32 v60, off, s32 offset:776
	;; [unrolled: 1-line block ×3, first 2 shown]
	s_and_b32 s1, s11, s1
	s_wait_xcnt 0x0
	s_mov_b32 exec_lo, s1
	s_cbranch_execz .LBB372_9
; %bb.2051:                             ;   in Loop: Header=BB372_10 Depth=1
	v_lshrrev_b32_e32 v96, 24, v97
	v_bfrev_b32_e32 v125, 1
	s_mov_b32 s16, exec_lo
	s_delay_alu instid0(VALU_DEP_2)
	v_cmpx_ne_u32_e32 0x80, v96
	s_cbranch_execz .LBB372_8
; %bb.2052:                             ;   in Loop: Header=BB372_10 Depth=1
	v_bfe_u32 v97, v97, 24, 7
	v_mov_b32_e32 v125, 0x7f800001
	s_mov_b32 s17, exec_lo
	s_delay_alu instid0(VALU_DEP_2)
	v_cmpx_ne_u32_e32 0x7f, v97
	s_cbranch_execz .LBB372_7
; %bb.2053:                             ;   in Loop: Header=BB372_10 Depth=1
	v_and_b32_e32 v16, 7, v96
	s_mov_b32 s18, exec_lo
	s_delay_alu instid0(VALU_DEP_1)
	v_mov_b64_e32 v[6:7], v[16:17]
	v_lshrrev_b32_e32 v7, 3, v97
	v_cmpx_gt_u32_e32 8, v97
	s_cbranch_execz .LBB372_6
; %bb.2054:                             ;   in Loop: Header=BB372_10 Depth=1
	v_clz_i32_u32_e32 v6, v16
	s_delay_alu instid0(VALU_DEP_1) | instskip(NEXT) | instid1(VALU_DEP_1)
	v_min_u32_e32 v97, 32, v6
	v_subrev_nc_u32_e32 v6, 28, v97
	s_delay_alu instid0(VALU_DEP_1) | instskip(NEXT) | instid1(VALU_DEP_1)
	v_lshlrev_b64_e32 v[6:7], v6, v[16:17]
	v_dual_sub_nc_u32 v7, 29, v97 :: v_dual_bitop2_b32 v6, 7, v6 bitop3:0x40
	s_branch .LBB372_6
.LBB372_2055:
	s_or_b32 exec_lo, exec_lo, s9
	scratch_load_b32 v10, off, s32 offset:2328 ; 4-byte Folded Reload
.LBB372_2056:
	s_wait_xcnt 0x0
	s_or_b32 exec_lo, exec_lo, s8
	v_mbcnt_lo_u32_b32 v2, -1, 0
	s_delay_alu instid0(VALU_DEP_1) | instskip(SKIP_1) | instid1(VALU_DEP_2)
	v_dual_max_num_f32 v4, v11, v11 :: v_dual_bitop2_b32 v0, 16, v2 bitop3:0x14
	v_xor_b32_e32 v3, 8, v2
	v_cmp_gt_i32_e32 vcc_lo, 32, v0
	v_cndmask_b32_e32 v0, v2, v0, vcc_lo
	s_delay_alu instid0(VALU_DEP_3) | instskip(NEXT) | instid1(VALU_DEP_2)
	v_cmp_gt_i32_e32 vcc_lo, 32, v3
	v_dual_cndmask_b32 v3, v2, v3 :: v_dual_lshlrev_b32 v0, 2, v0
	ds_bpermute_b32 v1, v0, v11
	s_wait_dscnt 0x0
	v_dual_max_num_f32 v5, v1, v1 :: v_dual_lshlrev_b32 v1, 2, v3
	s_delay_alu instid0(VALU_DEP_1) | instskip(SKIP_4) | instid1(VALU_DEP_1)
	v_dual_max_num_f32 v4, v4, v5 :: v_dual_bitop2_b32 v5, 4, v2 bitop3:0x14
	ds_bpermute_b32 v3, v1, v4
	v_cmp_gt_i32_e32 vcc_lo, 32, v5
	s_wait_dscnt 0x0
	v_dual_cndmask_b32 v5, v2, v5 :: v_dual_max_num_f32 v6, v3, v3
	v_dual_max_num_f32 v4, v4, v6 :: v_dual_lshlrev_b32 v3, 2, v5
	ds_bpermute_b32 v5, v3, v4
	s_wait_dscnt 0x0
	v_dual_max_num_f32 v5, v5, v5 :: v_dual_bitop2_b32 v6, 2, v2 bitop3:0x14
	s_delay_alu instid0(VALU_DEP_1) | instskip(NEXT) | instid1(VALU_DEP_2)
	v_cmp_gt_i32_e32 vcc_lo, 32, v6
	v_dual_max_num_f32 v4, v4, v5 :: v_dual_cndmask_b32 v6, v2, v6, vcc_lo
	s_delay_alu instid0(VALU_DEP_1) | instskip(SKIP_3) | instid1(VALU_DEP_1)
	v_lshlrev_b32_e32 v70, 2, v6
	ds_bpermute_b32 v5, v70, v4
	s_wait_dscnt 0x0
	v_dual_max_num_f32 v5, v5, v5 :: v_dual_bitop2_b32 v6, 1, v2 bitop3:0x14
	v_cmp_gt_i32_e32 vcc_lo, 32, v6
	s_delay_alu instid0(VALU_DEP_2)
	v_dual_cndmask_b32 v6, v2, v6, vcc_lo :: v_dual_max_num_f32 v2, v4, v5
	scratch_load_b32 v4, off, s32 offset:2272 ; 4-byte Folded Reload
	s_wait_loadcnt 0x0
	v_cmp_eq_u32_e32 vcc_lo, 0, v4
	scratch_load_b32 v4, off, s32 offset:2276 ; 4-byte Folded Reload
	s_wait_loadcnt 0x0
	v_dual_lshlrev_b32 v4, 2, v4 :: v_dual_lshlrev_b32 v65, 2, v6
	ds_bpermute_b32 v5, v65, v2
	s_wait_xcnt 0x0
	s_and_saveexec_b32 s1, vcc_lo
	s_cbranch_execz .LBB372_2058
; %bb.2057:
	s_wait_dscnt 0x0
	v_dual_max_num_f32 v5, v5, v5 :: v_dual_max_num_f32 v2, v2, v2
	s_delay_alu instid0(VALU_DEP_1)
	v_max_num_f32_e32 v2, v2, v5
	ds_store_b32 v4, v2 offset:512
.LBB372_2058:
	s_or_b32 exec_lo, exec_lo, s1
	scratch_load_b32 v2, off, s32 offset:2272 ; 4-byte Folded Reload
	s_wait_storecnt 0x0
	s_wait_loadcnt_dscnt 0x0
	s_barrier_signal -1
	s_barrier_wait -1
	v_cmp_gt_u32_e64 s1, 4, v2
	v_mov_b32_e32 v2, 0xff7fffff
	s_and_saveexec_b32 s2, s1
; %bb.2059:
	ds_load_b32 v2, v10 offset:512
; %bb.2060:
	s_or_b32 exec_lo, exec_lo, s2
	s_wait_dscnt 0x0
	ds_bpermute_b32 v5, v70, v2
	v_max_num_f32_e32 v2, v2, v2
	scratch_load_b32 v7, off, s32 offset:192 ; 4-byte Folded Reload
	s_wait_dscnt 0x0
	v_max_num_f32_e32 v5, v5, v5
	s_delay_alu instid0(VALU_DEP_1) | instskip(SKIP_3) | instid1(VALU_DEP_1)
	v_max_num_f32_e32 v2, v2, v5
	ds_bpermute_b32 v5, v65, v2
	s_wait_dscnt 0x0
	v_max_num_f32_e32 v5, v5, v5
	v_dual_max_num_f32 v2, v2, v5 :: v_dual_mov_b32 v5, 0
	ds_bpermute_b32 v6, v5, v2
	scratch_load_b32 v2, off, s32 offset:644 ; 4-byte Folded Reload
	s_wait_loadcnt 0x0
	v_lshlrev_b32_e32 v2, 5, v2
	s_delay_alu instid0(VALU_DEP_1)
	v_min_i32_e32 v2, v2, v7
	scratch_load_b32 v7, off, s32 offset:2268 ; 4-byte Folded Reload
	s_wait_loadcnt 0x0
	v_cmp_lt_i32_e64 s2, v7, v2
	s_and_saveexec_b32 s8, s2
	s_cbranch_execz .LBB372_2064
; %bb.2061:
	scratch_load_b32 v8, off, s32 offset:2268 ; 4-byte Folded Reload
	s_ashr_i32 s11, s10, 31
	v_mov_b32_e32 v5, 0
	s_lshl_b64 s[16:17], s[10:11], 2
	s_mov_b32 s9, 0
	s_add_nc_u64 s[16:17], s[6:7], s[16:17]
	s_load_b32 s3, s[16:17], 0x0
	s_wait_loadcnt 0x0
	s_wait_kmcnt 0x0
	v_lshl_add_u32 v7, v8, 2, s3
.LBB372_2062:                           ; =>This Inner Loop Header: Depth=1
	ds_load_b32 v9, v7
	v_add_nc_u32_e32 v8, 0x80, v8
	s_delay_alu instid0(VALU_DEP_1) | instskip(SKIP_3) | instid1(VALU_DEP_1)
	v_cmp_ge_i32_e64 s3, v8, v2
	s_or_b32 s9, s3, s9
	s_wait_dscnt 0x0
	v_sub_f32_e32 v9, v9, v6
	v_mul_f32_e32 v9, 0x3fb8aa3b, v9
	s_delay_alu instid0(VALU_DEP_1)
	v_exp_f32_e32 v9, v9
	ds_store_b32 v7, v9
	v_nop
	v_add_f32_e32 v5, v5, v9
	v_add_nc_u32_e32 v7, 0x200, v7
	s_and_not1_b32 exec_lo, exec_lo, s9
	s_cbranch_execnz .LBB372_2062
; %bb.2063:
	s_or_b32 exec_lo, exec_lo, s9
.LBB372_2064:
	s_delay_alu instid0(SALU_CYCLE_1)
	s_or_b32 exec_lo, exec_lo, s8
	ds_bpermute_b32 v0, v0, v5
	s_wait_dscnt 0x0
	v_add_f32_e32 v0, v5, v0
	ds_bpermute_b32 v1, v1, v0
	s_wait_dscnt 0x0
	v_add_f32_e32 v0, v0, v1
	;; [unrolled: 3-line block ×5, first 2 shown]
	s_and_saveexec_b32 s3, vcc_lo
; %bb.2065:
	ds_store_b32 v4, v0 offset:528
; %bb.2066:
	s_or_b32 exec_lo, exec_lo, s3
	s_wait_dscnt 0x0
	s_barrier_signal -1
	s_barrier_wait -1
	s_and_saveexec_b32 s3, s1
; %bb.2067:
	ds_load_b32 v0, v10 offset:528
; %bb.2068:
	s_or_b32 exec_lo, exec_lo, s3
	s_wait_dscnt 0x0
	ds_bpermute_b32 v1, v70, v0
	s_wait_dscnt 0x0
	v_add_f32_e32 v0, v0, v1
	ds_bpermute_b32 v1, v65, v0
	s_wait_dscnt 0x0
	v_dual_add_f32 v0, v0, v1 :: v_dual_mov_b32 v1, 0
	ds_bpermute_b32 v0, v1, v0
	s_and_saveexec_b32 s1, s2
	s_cbranch_execz .LBB372_2081
; %bb.2069:
	s_wait_dscnt 0x0
	v_add_f32_e32 v0, 0x358637bd, v0
	s_mov_b32 s3, -1
	s_mov_b32 s2, exec_lo
	s_delay_alu instid0(VALU_DEP_1) | instskip(SKIP_1) | instid1(VALU_DEP_2)
	v_div_scale_f32 v1, null, v0, v0, 1.0
	v_div_scale_f32 v5, vcc_lo, 1.0, v0, 1.0
	v_rcp_f32_e32 v4, v1
	v_nop
	s_delay_alu instid0(TRANS32_DEP_1) | instskip(NEXT) | instid1(VALU_DEP_1)
	v_fma_f32 v3, -v1, v4, 1.0
	v_fmac_f32_e32 v4, v3, v4
	s_delay_alu instid0(VALU_DEP_1) | instskip(NEXT) | instid1(VALU_DEP_1)
	v_mul_f32_e32 v6, v5, v4
	v_fma_f32 v3, -v1, v6, v5
	s_delay_alu instid0(VALU_DEP_1) | instskip(NEXT) | instid1(VALU_DEP_1)
	v_fmac_f32_e32 v6, v3, v4
	v_fma_f32 v1, -v1, v6, v5
	scratch_load_b32 v5, off, s32 offset:2268 ; 4-byte Folded Reload
	v_div_fmas_f32 v1, v1, v4, v6
	s_delay_alu instid0(VALU_DEP_1) | instskip(SKIP_3) | instid1(VALU_DEP_2)
	v_div_fixup_f32 v0, v1, v0, 1.0
	s_wait_loadcnt 0x0
	v_xad_u32 v3, v5, -1, v2
	v_mov_b32_e32 v1, v5
	v_cmpx_lt_u32_e32 0x7f, v3
	s_cbranch_execz .LBB372_2078
; %bb.2070:
	v_dual_lshrrev_b32 v3, 7, v3 :: v_dual_mov_b32 v1, v0
	s_delay_alu instid0(VALU_DEP_1) | instskip(NEXT) | instid1(VALU_DEP_1)
	v_dual_mov_b32 v7, 0 :: v_dual_add_nc_u32 v4, -1, v3
	v_lshrrev_b32_e32 v5, 1, v4
	v_cmp_lt_u32_e32 vcc_lo, 13, v4
	s_delay_alu instid0(VALU_DEP_2)
	v_add_nc_u32_e32 v4, 1, v5
	s_and_saveexec_b32 s3, vcc_lo
	s_cbranch_execz .LBB372_2074
; %bb.2071:
	scratch_load_b32 v6, off, s32 offset:2268 ; 4-byte Folded Reload
	s_ashr_i32 s11, s10, 31
	v_and_b32_e32 v5, -8, v4
	s_lshl_b64 s[8:9], s[10:11], 2
	s_delay_alu instid0(SALU_CYCLE_1)
	s_add_nc_u64 s[8:9], s[6:7], s[8:9]
	s_load_b32 s8, s[8:9], 0x0
	s_wait_xcnt 0x0
	s_mov_b32 s9, 0
	s_wait_loadcnt 0x0
	s_wait_kmcnt 0x0
	v_lshl_add_u32 v6, v6, 2, s8
	s_mov_b32 s8, 0
.LBB372_2072:                           ; =>This Inner Loop Header: Depth=1
	ds_load_2addr_stride64_b32 v[8:9], v6 offset1:2
	ds_load_2addr_stride64_b32 v[10:11], v6 offset0:4 offset1:6
	ds_load_2addr_stride64_b32 v[12:13], v6 offset0:8 offset1:10
	;; [unrolled: 1-line block ×7, first 2 shown]
	s_add_co_i32 s9, s9, 16
	s_delay_alu instid0(SALU_CYCLE_1) | instskip(NEXT) | instid1(VALU_DEP_1)
	v_dual_add_nc_u32 v5, -8, v5 :: v_dual_mov_b32 v7, s9
	v_cmp_eq_u32_e32 vcc_lo, 0, v5
	s_or_b32 s8, vcc_lo, s8
	s_wait_dscnt 0x7
	v_pk_mul_f32 v[8:9], v[0:1], v[8:9]
	s_wait_dscnt 0x6
	v_pk_mul_f32 v[10:11], v[0:1], v[10:11]
	;; [unrolled: 2-line block ×8, first 2 shown]
	ds_store_2addr_stride64_b32 v6, v8, v9 offset1:2
	ds_store_2addr_stride64_b32 v6, v10, v11 offset0:4 offset1:6
	ds_store_2addr_stride64_b32 v6, v12, v13 offset0:8 offset1:10
	;; [unrolled: 1-line block ×7, first 2 shown]
	v_add_nc_u32_e32 v6, 0x2000, v6
	s_and_not1_b32 exec_lo, exec_lo, s8
	s_cbranch_execnz .LBB372_2072
; %bb.2073:
	s_or_b32 exec_lo, exec_lo, s8
.LBB372_2074:
	s_delay_alu instid0(SALU_CYCLE_1) | instskip(NEXT) | instid1(VALU_DEP_1)
	s_or_b32 exec_lo, exec_lo, s3
	v_and_b32_e32 v4, 7, v4
	s_mov_b32 s8, 0
	s_mov_b32 s3, exec_lo
	s_delay_alu instid0(VALU_DEP_1)
	v_cmpx_ne_u32_e32 0, v4
	s_cbranch_execz .LBB372_2077
; %bb.2075:
	scratch_load_b32 v6, off, s32 offset:2268 ; 4-byte Folded Reload
	s_ashr_i32 s11, s10, 31
	v_lshlrev_b32_e32 v5, 9, v7
	s_lshl_b64 s[16:17], s[10:11], 2
	s_delay_alu instid0(SALU_CYCLE_1) | instskip(SKIP_4) | instid1(VALU_DEP_1)
	s_add_nc_u64 s[16:17], s[6:7], s[16:17]
	s_load_b32 s9, s[16:17], 0x0
	s_wait_loadcnt 0x0
	v_lshlrev_b32_e32 v6, 2, v6
	s_wait_kmcnt 0x0
	v_add3_u32 v5, v5, v6, s9
.LBB372_2076:                           ; =>This Inner Loop Header: Depth=1
	ds_load_2addr_stride64_b32 v[6:7], v5 offset1:2
	v_add_nc_u32_e32 v4, -1, v4
	s_delay_alu instid0(VALU_DEP_1)
	v_cmp_eq_u32_e32 vcc_lo, 0, v4
	s_or_b32 s8, vcc_lo, s8
	s_wait_dscnt 0x0
	v_pk_mul_f32 v[6:7], v[0:1], v[6:7]
	ds_store_2addr_stride64_b32 v5, v6, v7 offset1:2
	v_add_nc_u32_e32 v5, 0x400, v5
	s_and_not1_b32 exec_lo, exec_lo, s8
	s_cbranch_execnz .LBB372_2076
.LBB372_2077:
	s_or_b32 exec_lo, exec_lo, s3
	v_add_nc_u32_e32 v1, 1, v3
	s_delay_alu instid0(VALU_DEP_1) | instskip(NEXT) | instid1(VALU_DEP_1)
	v_and_b32_e32 v3, 0x3fffffe, v1
	v_cmp_ne_u32_e32 vcc_lo, v1, v3
	scratch_load_b32 v1, off, s32 offset:2268 ; 4-byte Folded Reload
	s_or_not1_b32 s3, vcc_lo, exec_lo
	s_wait_loadcnt 0x0
	v_lshl_add_u32 v1, v3, 7, v1
.LBB372_2078:
	s_or_b32 exec_lo, exec_lo, s2
	s_delay_alu instid0(SALU_CYCLE_1)
	s_and_b32 exec_lo, exec_lo, s3
	s_cbranch_execz .LBB372_2081
; %bb.2079:
	s_ashr_i32 s11, s10, 31
	s_delay_alu instid0(SALU_CYCLE_1) | instskip(NEXT) | instid1(SALU_CYCLE_1)
	s_lshl_b64 s[2:3], s[10:11], 2
	s_add_nc_u64 s[2:3], s[6:7], s[2:3]
	s_load_b32 s2, s[2:3], 0x0
	s_wait_kmcnt 0x0
	v_lshl_add_u32 v3, v1, 2, s2
	s_mov_b32 s2, 0
.LBB372_2080:                           ; =>This Inner Loop Header: Depth=1
	ds_load_b32 v4, v3
	s_wait_dscnt 0x0
	v_dual_mul_f32 v4, v0, v4 :: v_dual_add_nc_u32 v1, 0x80, v1
	s_delay_alu instid0(VALU_DEP_1) | instskip(SKIP_3) | instid1(SALU_CYCLE_1)
	v_cmp_ge_i32_e32 vcc_lo, v1, v2
	ds_store_b32 v3, v4
	v_add_nc_u32_e32 v3, 0x200, v3
	s_or_b32 s2, vcc_lo, s2
	s_and_not1_b32 exec_lo, exec_lo, s2
	s_cbranch_execnz .LBB372_2080
.LBB372_2081:
	s_or_b32 exec_lo, exec_lo, s1
	s_wait_dscnt 0x0
	s_barrier_signal -1
	s_barrier_wait -1
	s_and_saveexec_b32 s1, s0
	s_delay_alu instid0(SALU_CYCLE_1)
	s_xor_b32 s0, exec_lo, s1
	s_cbranch_execz .LBB372_2083
; %bb.2082:
                                        ; implicit-def: $vgpr0
	s_ashr_i32 s11, s10, 31
                                        ; kill: killed $vgpr0
                                        ; implicit-def: $vgpr0
                                        ; kill: killed $vgpr0
                                        ; implicit-def: $vgpr0
	s_clause 0x1
	scratch_store_b64 off, v[0:1], s32 offset:1468
	; meta instruction
	; meta instruction
	;; [unrolled: 1-line block ×9, first 2 shown]
	scratch_store_b64 off, v[0:1], s32 offset:2280
.LBB372_2083:
	s_wait_xcnt 0x0
	s_or_saveexec_b32 s1, s0
	v_mov_b64_e32 v[0:1], s[10:11]
	v_dual_mov_b32 v13, 0 :: v_dual_mov_b32 v12, 0
	v_dual_mov_b32 v15, 0 :: v_dual_mov_b32 v14, 0
	;; [unrolled: 1-line block ×16, first 2 shown]
	s_xor_b32 exec_lo, exec_lo, s1
	s_cbranch_execz .LBB372_4199
; %bb.2084:
	s_clause 0x2
	scratch_store_b32 off, v70, s32 offset:1556
	scratch_store_b32 off, v65, s32 offset:1548
	scratch_load_b64 v[0:1], off, s32 offset:2312 th:TH_LOAD_LU
	s_ashr_i32 s11, s10, 31
	v_dual_mov_b32 v12, 0 :: v_dual_mov_b32 v15, 0
	s_lshl_b64 s[2:3], s[10:11], 2
	v_dual_mov_b32 v14, 0 :: v_dual_mov_b32 v17, 0
	s_add_nc_u64 s[2:3], s[6:7], s[2:3]
	v_dual_mov_b32 v16, 0 :: v_dual_mov_b32 v21, 0
	v_dual_mov_b32 v20, 0 :: v_dual_mov_b32 v25, 0
	;; [unrolled: 1-line block ×13, first 2 shown]
	v_mov_b32_e32 v54, 0
	s_mov_b32 s9, 0
	s_wait_loadcnt 0x0
	flat_load_b32 v86, v[0:1]
	s_clause 0x2
	scratch_load_b32 v0, off, s32 offset:2268
	scratch_load_b64 v[2:3], off, s32 offset:2288 th:TH_LOAD_LU
	scratch_load_b64 v[4:5], off, s32 offset:2296 th:TH_LOAD_LU
	v_dual_mov_b32 v23, 0 :: v_dual_mov_b32 v13, 0
	s_wait_loadcnt 0x2
	v_lshlrev_b32_e32 v0, 3, v0
	s_wait_loadcnt 0x0
	v_lshl_add_u64 v[2:3], v[4:5], 2, v[2:3]
	s_delay_alu instid0(VALU_DEP_2)
	v_and_b32_e32 v1, 24, v0
	s_clause 0x4
	scratch_store_b64 off, v[2:3], s32 offset:1508
	scratch_store_b32 off, v1, s32 offset:1516
	scratch_load_b64 v[2:3], off, s32 offset:2320 th:TH_LOAD_LU
	scratch_load_b64 v[4:5], off, s32 offset:2280 th:TH_LOAD_LU
	scratch_load_b32 v70, off, s32 offset:2276
	s_load_b32 s8, s[2:3], 0x0
	v_mov_b32_e32 v1, v23
	s_wait_xcnt 0x0
	s_mov_b64 s[2:3], 0xffffffffffffff
	s_wait_loadcnt 0x1
	v_add_nc_u64_e32 v[2:3], v[2:3], v[4:5]
	scratch_store_b64 off, v[2:3], s32 offset:1524 ; 8-byte Folded Spill
	s_wait_xcnt 0x0
	v_and_b32_e32 v2, 0xf8, v0
	v_mov_b32_e32 v3, v23
	v_or_b32_e32 v0, 0x1f00, v0
	s_clause 0x1
	scratch_store_b64 off, v[2:3], s32 offset:1532
	scratch_store_b64 off, v[0:1], s32 offset:1540
	s_branch .LBB372_2086
.LBB372_2085:                           ;   in Loop: Header=BB372_2086 Depth=1
	s_wait_xcnt 0x0
	s_or_b32 exec_lo, exec_lo, s0
	scratch_load_b128 v[90:93], off, s32 offset:1492 th:TH_LOAD_LU ; 16-byte Folded Reload
	v_perm_b32 v2, v60, v2, 0x5040100
	v_perm_b32 v3, v58, v59, 0x5040100
	;; [unrolled: 1-line block ×6, first 2 shown]
	v_add_nc_u32_e32 v70, 4, v70
	s_wait_loadcnt 0x0
	v_cvt_pk_bf16_f32 v89, v92, v93
	scratch_load_b128 v[92:95], off, s32 offset:1476 th:TH_LOAD_LU ; 16-byte Folded Reload
	v_cvt_pk_bf16_f32 v90, v90, v91
	v_pk_mul_bf16 v3, v89, v3
	s_delay_alu instid0(VALU_DEP_2) | instskip(NEXT) | instid1(VALU_DEP_1)
	v_pk_mul_bf16 v2, v90, v2
	v_lshlrev_b32_e32 v46, 16, v2
	v_and_b32_e32 v2, 0xffff0000, v2
	s_delay_alu instid0(VALU_DEP_1) | instskip(SKIP_1) | instid1(VALU_DEP_1)
	v_dual_add_f32 v2, v46, v2 :: v_dual_lshlrev_b32 v46, 16, v3
	v_and_b32_e32 v3, 0xffff0000, v3
	v_add_f32_e32 v3, v46, v3
	s_delay_alu instid0(VALU_DEP_1) | instskip(SKIP_3) | instid1(VALU_DEP_2)
	v_add_f32_e32 v2, v2, v3
	s_wait_loadcnt 0x0
	v_cvt_pk_bf16_f32 v63, v92, v93
	v_cvt_pk_bf16_f32 v83, v94, v95
	v_pk_mul_bf16 v4, v63, v4
	s_delay_alu instid0(VALU_DEP_2) | instskip(NEXT) | instid1(VALU_DEP_2)
	v_pk_mul_bf16 v45, v83, v45
	v_lshlrev_b32_e32 v3, 16, v4
	v_and_b32_e32 v4, 0xffff0000, v4
	s_delay_alu instid0(VALU_DEP_1) | instskip(NEXT) | instid1(VALU_DEP_4)
	v_add_f32_e32 v3, v3, v4
	v_and_b32_e32 v4, 0xffff0000, v45
	s_delay_alu instid0(VALU_DEP_2) | instskip(NEXT) | instid1(VALU_DEP_1)
	v_dual_add_f32 v2, v2, v3 :: v_dual_lshlrev_b32 v3, 16, v45
	v_add_f32_e32 v3, v3, v4
	v_perm_b32 v4, v118, v119, 0x5040100
	v_perm_b32 v118, v42, v40, 0x5040100
	s_delay_alu instid0(VALU_DEP_3) | instskip(SKIP_1) | instid1(VALU_DEP_4)
	v_add_f32_e32 v2, v2, v3
	v_perm_b32 v3, v41, v43, 0x5040100
	v_pk_mul_bf16 v4, v63, v4
	s_delay_alu instid0(VALU_DEP_4) | instskip(NEXT) | instid1(VALU_DEP_4)
	v_pk_mul_bf16 v118, v83, v118
	v_add_f32_e32 v12, v12, v2
	v_perm_b32 v2, v62, v44, 0x5040100
	v_pk_mul_bf16 v3, v89, v3
	s_delay_alu instid0(VALU_DEP_2) | instskip(NEXT) | instid1(VALU_DEP_1)
	v_pk_mul_bf16 v2, v90, v2
	v_lshlrev_b32_e32 v119, 16, v2
	v_and_b32_e32 v2, 0xffff0000, v2
	s_delay_alu instid0(VALU_DEP_1) | instskip(SKIP_1) | instid1(VALU_DEP_1)
	v_dual_add_f32 v2, v119, v2 :: v_dual_lshlrev_b32 v119, 16, v3
	v_and_b32_e32 v3, 0xffff0000, v3
	v_add_f32_e32 v3, v119, v3
	s_delay_alu instid0(VALU_DEP_1) | instskip(SKIP_1) | instid1(VALU_DEP_1)
	v_dual_add_f32 v2, v2, v3 :: v_dual_lshlrev_b32 v3, 16, v4
	v_and_b32_e32 v4, 0xffff0000, v4
	v_add_f32_e32 v3, v3, v4
	v_and_b32_e32 v4, 0xffff0000, v118
	s_delay_alu instid0(VALU_DEP_2) | instskip(NEXT) | instid1(VALU_DEP_1)
	v_dual_add_f32 v2, v2, v3 :: v_dual_lshlrev_b32 v3, 16, v118
	v_add_f32_e32 v3, v3, v4
	v_perm_b32 v4, v102, v103, 0x5040100
	v_perm_b32 v102, v113, v112, 0x5040100
	s_delay_alu instid0(VALU_DEP_3) | instskip(SKIP_1) | instid1(VALU_DEP_4)
	v_add_f32_e32 v2, v2, v3
	v_perm_b32 v3, v114, v115, 0x5040100
	v_pk_mul_bf16 v4, v63, v4
	s_delay_alu instid0(VALU_DEP_4) | instskip(NEXT) | instid1(VALU_DEP_4)
	v_pk_mul_bf16 v102, v83, v102
	v_add_f32_e32 v15, v15, v2
	v_perm_b32 v2, v116, v117, 0x5040100
	v_pk_mul_bf16 v3, v89, v3
	s_delay_alu instid0(VALU_DEP_2) | instskip(NEXT) | instid1(VALU_DEP_1)
	v_pk_mul_bf16 v2, v90, v2
	v_lshlrev_b32_e32 v103, 16, v2
	v_and_b32_e32 v2, 0xffff0000, v2
	s_delay_alu instid0(VALU_DEP_1) | instskip(SKIP_1) | instid1(VALU_DEP_1)
	v_dual_add_f32 v2, v103, v2 :: v_dual_lshlrev_b32 v103, 16, v3
	v_and_b32_e32 v3, 0xffff0000, v3
	v_add_f32_e32 v3, v103, v3
	s_delay_alu instid0(VALU_DEP_1) | instskip(SKIP_1) | instid1(VALU_DEP_1)
	v_dual_add_f32 v2, v2, v3 :: v_dual_lshlrev_b32 v3, 16, v4
	v_and_b32_e32 v4, 0xffff0000, v4
	;; [unrolled: 27-line block ×3, first 2 shown]
	v_add_f32_e32 v3, v3, v4
	v_and_b32_e32 v4, 0xffff0000, v71
	s_delay_alu instid0(VALU_DEP_2) | instskip(SKIP_1) | instid1(VALU_DEP_1)
	v_add_f32_e32 v2, v2, v3
	v_lshlrev_b32_e32 v3, 16, v71
	v_add_f32_e32 v3, v3, v4
	v_perm_b32 v4, v87, v64, 0x5040100
	v_perm_b32 v64, v66, v65, 0x5040100
	s_delay_alu instid0(VALU_DEP_3) | instskip(SKIP_1) | instid1(VALU_DEP_4)
	v_add_f32_e32 v2, v2, v3
	v_perm_b32 v3, v67, v68, 0x5040100
	v_pk_mul_bf16 v4, v63, v4
	s_delay_alu instid0(VALU_DEP_4) | instskip(NEXT) | instid1(VALU_DEP_4)
	v_pk_mul_bf16 v64, v83, v64
	v_add_f32_e32 v17, v17, v2
	v_perm_b32 v2, v69, v84, 0x5040100
	v_pk_mul_bf16 v3, v89, v3
	s_delay_alu instid0(VALU_DEP_2) | instskip(NEXT) | instid1(VALU_DEP_1)
	v_pk_mul_bf16 v2, v90, v2
	v_lshlrev_b32_e32 v65, 16, v2
	v_and_b32_e32 v2, 0xffff0000, v2
	s_delay_alu instid0(VALU_DEP_1) | instskip(SKIP_1) | instid1(VALU_DEP_1)
	v_dual_add_f32 v2, v65, v2 :: v_dual_lshlrev_b32 v65, 16, v3
	v_and_b32_e32 v3, 0xffff0000, v3
	v_add_f32_e32 v3, v65, v3
	s_delay_alu instid0(VALU_DEP_1) | instskip(SKIP_1) | instid1(VALU_DEP_1)
	v_dual_add_f32 v2, v2, v3 :: v_dual_lshlrev_b32 v3, 16, v4
	v_and_b32_e32 v4, 0xffff0000, v4
	v_add_f32_e32 v3, v3, v4
	v_and_b32_e32 v4, 0xffff0000, v64
	s_delay_alu instid0(VALU_DEP_2) | instskip(NEXT) | instid1(VALU_DEP_1)
	v_dual_add_f32 v2, v2, v3 :: v_dual_lshlrev_b32 v3, 16, v64
	v_add_f32_e32 v3, v3, v4
	v_perm_b32 v4, v122, v123, 0x5040100
	s_delay_alu instid0(VALU_DEP_2) | instskip(SKIP_1) | instid1(VALU_DEP_3)
	v_add_f32_e32 v2, v2, v3
	v_perm_b32 v3, v125, v127, 0x5040100
	v_pk_mul_bf16 v4, v63, v4
	s_delay_alu instid0(VALU_DEP_3) | instskip(SKIP_1) | instid1(VALU_DEP_4)
	v_add_f32_e32 v16, v16, v2
	v_perm_b32 v2, v10, v11, 0x5040100
	v_pk_mul_bf16 v3, v89, v3
	v_perm_b32 v10, v126, v124, 0x5040100
	s_delay_alu instid0(VALU_DEP_3) | instskip(NEXT) | instid1(VALU_DEP_2)
	v_pk_mul_bf16 v2, v90, v2
	v_pk_mul_bf16 v10, v83, v10
	s_delay_alu instid0(VALU_DEP_2) | instskip(SKIP_1) | instid1(VALU_DEP_1)
	v_lshlrev_b32_e32 v11, 16, v2
	v_and_b32_e32 v2, 0xffff0000, v2
	v_dual_add_f32 v2, v11, v2 :: v_dual_lshlrev_b32 v11, 16, v3
	v_and_b32_e32 v3, 0xffff0000, v3
	s_delay_alu instid0(VALU_DEP_1) | instskip(NEXT) | instid1(VALU_DEP_1)
	v_add_f32_e32 v3, v11, v3
	v_dual_add_f32 v2, v2, v3 :: v_dual_lshlrev_b32 v3, 16, v4
	v_and_b32_e32 v4, 0xffff0000, v4
	s_delay_alu instid0(VALU_DEP_1) | instskip(SKIP_1) | instid1(VALU_DEP_2)
	v_add_f32_e32 v3, v3, v4
	v_and_b32_e32 v4, 0xffff0000, v10
	v_dual_add_f32 v2, v2, v3 :: v_dual_lshlrev_b32 v3, 16, v10
	v_perm_b32 v10, v110, v108, 0x5040100
	s_delay_alu instid0(VALU_DEP_2) | instskip(SKIP_1) | instid1(VALU_DEP_3)
	v_add_f32_e32 v3, v3, v4
	v_perm_b32 v4, v106, v107, 0x5040100
	v_pk_mul_bf16 v10, v83, v10
	s_delay_alu instid0(VALU_DEP_3) | instskip(SKIP_1) | instid1(VALU_DEP_4)
	v_add_f32_e32 v2, v2, v3
	v_perm_b32 v3, v109, v111, 0x5040100
	v_pk_mul_bf16 v4, v63, v4
	s_delay_alu instid0(VALU_DEP_3) | instskip(SKIP_1) | instid1(VALU_DEP_4)
	v_add_f32_e32 v21, v21, v2
	v_perm_b32 v2, v120, v121, 0x5040100
	v_pk_mul_bf16 v3, v89, v3
	s_delay_alu instid0(VALU_DEP_2) | instskip(NEXT) | instid1(VALU_DEP_1)
	v_pk_mul_bf16 v2, v90, v2
	v_lshlrev_b32_e32 v11, 16, v2
	v_and_b32_e32 v2, 0xffff0000, v2
	s_delay_alu instid0(VALU_DEP_1) | instskip(SKIP_1) | instid1(VALU_DEP_1)
	v_dual_add_f32 v2, v11, v2 :: v_dual_lshlrev_b32 v11, 16, v3
	v_and_b32_e32 v3, 0xffff0000, v3
	v_add_f32_e32 v3, v11, v3
	s_delay_alu instid0(VALU_DEP_1) | instskip(SKIP_1) | instid1(VALU_DEP_1)
	v_dual_add_f32 v2, v2, v3 :: v_dual_lshlrev_b32 v3, 16, v4
	v_and_b32_e32 v4, 0xffff0000, v4
	v_add_f32_e32 v3, v3, v4
	v_and_b32_e32 v4, 0xffff0000, v10
	s_delay_alu instid0(VALU_DEP_2) | instskip(SKIP_1) | instid1(VALU_DEP_2)
	v_dual_add_f32 v2, v2, v3 :: v_dual_lshlrev_b32 v3, 16, v10
	v_perm_b32 v10, v79, v77, 0x5040100
	v_add_f32_e32 v3, v3, v4
	v_perm_b32 v4, v75, v76, 0x5040100
	s_delay_alu instid0(VALU_DEP_3) | instskip(NEXT) | instid1(VALU_DEP_3)
	v_pk_mul_bf16 v10, v83, v10
	v_add_f32_e32 v2, v2, v3
	v_perm_b32 v3, v78, v88, 0x5040100
	s_delay_alu instid0(VALU_DEP_4) | instskip(NEXT) | instid1(VALU_DEP_3)
	v_pk_mul_bf16 v4, v63, v4
	v_add_f32_e32 v20, v20, v2
	v_perm_b32 v2, v104, v105, 0x5040100
	s_delay_alu instid0(VALU_DEP_4) | instskip(NEXT) | instid1(VALU_DEP_2)
	v_pk_mul_bf16 v3, v89, v3
	v_pk_mul_bf16 v2, v90, v2
	s_delay_alu instid0(VALU_DEP_1) | instskip(SKIP_1) | instid1(VALU_DEP_1)
	v_lshlrev_b32_e32 v11, 16, v2
	v_and_b32_e32 v2, 0xffff0000, v2
	v_dual_add_f32 v2, v11, v2 :: v_dual_lshlrev_b32 v11, 16, v3
	v_and_b32_e32 v3, 0xffff0000, v3
	s_delay_alu instid0(VALU_DEP_1) | instskip(NEXT) | instid1(VALU_DEP_1)
	v_add_f32_e32 v3, v11, v3
	v_dual_add_f32 v2, v2, v3 :: v_dual_lshlrev_b32 v3, 16, v4
	v_and_b32_e32 v4, 0xffff0000, v4
	s_delay_alu instid0(VALU_DEP_1) | instskip(SKIP_1) | instid1(VALU_DEP_2)
	v_add_f32_e32 v3, v3, v4
	v_and_b32_e32 v4, 0xffff0000, v10
	v_dual_add_f32 v2, v2, v3 :: v_dual_lshlrev_b32 v3, 16, v10
	s_delay_alu instid0(VALU_DEP_1) | instskip(SKIP_3) | instid1(VALU_DEP_2)
	v_add_f32_e32 v3, v3, v4
	scratch_load_b32 v4, off, s32 offset:1460 th:TH_LOAD_LU ; 4-byte Folded Reload
	v_add_f32_e32 v2, v2, v3
	v_perm_b32 v3, v8, v9, 0x5040100
	v_add_f32_e32 v25, v25, v2
	v_perm_b32 v2, v72, v74, 0x5040100
	s_delay_alu instid0(VALU_DEP_3) | instskip(NEXT) | instid1(VALU_DEP_2)
	v_pk_mul_bf16 v3, v89, v3
	v_pk_mul_bf16 v2, v90, v2
	s_wait_loadcnt 0x0
	v_perm_b32 v4, v4, v5, 0x5040100
	v_perm_b32 v5, v7, v6, 0x5040100
	s_delay_alu instid0(VALU_DEP_3) | instskip(SKIP_1) | instid1(VALU_DEP_4)
	v_lshlrev_b32_e32 v6, 16, v2
	v_and_b32_e32 v2, 0xffff0000, v2
	v_pk_mul_bf16 v4, v63, v4
	s_delay_alu instid0(VALU_DEP_4) | instskip(NEXT) | instid1(VALU_DEP_3)
	v_pk_mul_bf16 v5, v83, v5
	v_dual_add_f32 v2, v6, v2 :: v_dual_lshlrev_b32 v6, 16, v3
	v_and_b32_e32 v3, 0xffff0000, v3
	s_delay_alu instid0(VALU_DEP_1) | instskip(NEXT) | instid1(VALU_DEP_1)
	v_add_f32_e32 v3, v6, v3
	v_dual_add_f32 v2, v2, v3 :: v_dual_lshlrev_b32 v3, 16, v4
	v_and_b32_e32 v4, 0xffff0000, v4
	s_delay_alu instid0(VALU_DEP_1) | instskip(SKIP_1) | instid1(VALU_DEP_2)
	v_add_f32_e32 v3, v3, v4
	v_and_b32_e32 v4, 0xffff0000, v5
	v_dual_add_f32 v2, v2, v3 :: v_dual_lshlrev_b32 v3, 16, v5
	s_delay_alu instid0(VALU_DEP_1) | instskip(NEXT) | instid1(VALU_DEP_1)
	v_add_f32_e32 v3, v3, v4
	v_add_f32_e32 v2, v2, v3
	s_delay_alu instid0(VALU_DEP_1)
	v_add_f32_e32 v24, v24, v2
	s_clause 0x1
	scratch_load_b32 v2, off, s32 offset:1444 th:TH_LOAD_LU
	scratch_load_b32 v3, off, s32 offset:1452 th:TH_LOAD_LU
	s_wait_loadcnt 0x0
	v_perm_b32 v2, v2, v3, 0x5040100
	s_clause 0x1
	scratch_load_b32 v3, off, s32 offset:1420 th:TH_LOAD_LU
	scratch_load_b32 v4, off, s32 offset:1436 th:TH_LOAD_LU
	v_pk_mul_bf16 v2, v90, v2
	s_wait_loadcnt 0x0
	v_perm_b32 v3, v3, v4, 0x5040100
	s_clause 0x1
	scratch_load_b32 v4, off, s32 offset:1396 th:TH_LOAD_LU
	scratch_load_b32 v5, off, s32 offset:1404 th:TH_LOAD_LU
	v_pk_mul_bf16 v3, v89, v3
	s_wait_loadcnt 0x0
	v_perm_b32 v4, v4, v5, 0x5040100
	s_clause 0x1
	scratch_load_b32 v5, off, s32 offset:1412 th:TH_LOAD_LU
	scratch_load_b32 v6, off, s32 offset:1428 th:TH_LOAD_LU
	v_pk_mul_bf16 v4, v63, v4
	s_wait_loadcnt 0x0
	v_perm_b32 v5, v6, v5, 0x5040100
	v_lshlrev_b32_e32 v6, 16, v2
	v_and_b32_e32 v2, 0xffff0000, v2
	s_delay_alu instid0(VALU_DEP_3) | instskip(NEXT) | instid1(VALU_DEP_2)
	v_pk_mul_bf16 v5, v83, v5
	v_dual_add_f32 v2, v6, v2 :: v_dual_lshlrev_b32 v6, 16, v3
	v_and_b32_e32 v3, 0xffff0000, v3
	s_delay_alu instid0(VALU_DEP_1) | instskip(NEXT) | instid1(VALU_DEP_1)
	v_add_f32_e32 v3, v6, v3
	v_dual_add_f32 v2, v2, v3 :: v_dual_lshlrev_b32 v3, 16, v4
	v_and_b32_e32 v4, 0xffff0000, v4
	s_delay_alu instid0(VALU_DEP_1) | instskip(SKIP_1) | instid1(VALU_DEP_2)
	v_add_f32_e32 v3, v3, v4
	v_and_b32_e32 v4, 0xffff0000, v5
	v_dual_add_f32 v2, v2, v3 :: v_dual_lshlrev_b32 v3, 16, v5
	s_delay_alu instid0(VALU_DEP_1) | instskip(NEXT) | instid1(VALU_DEP_1)
	v_add_f32_e32 v3, v3, v4
	v_add_f32_e32 v2, v2, v3
	s_delay_alu instid0(VALU_DEP_1)
	v_add_f32_e32 v27, v27, v2
	s_clause 0x1
	scratch_load_b32 v2, off, s32 offset:1380 th:TH_LOAD_LU
	scratch_load_b32 v3, off, s32 offset:1388 th:TH_LOAD_LU
	s_wait_loadcnt 0x0
	v_perm_b32 v2, v2, v3, 0x5040100
	s_clause 0x1
	scratch_load_b32 v3, off, s32 offset:1364 th:TH_LOAD_LU
	scratch_load_b32 v4, off, s32 offset:1372 th:TH_LOAD_LU
	v_pk_mul_bf16 v2, v90, v2
	s_wait_loadcnt 0x0
	v_perm_b32 v3, v3, v4, 0x5040100
	s_clause 0x1
	scratch_load_b32 v4, off, s32 offset:1332 th:TH_LOAD_LU
	scratch_load_b32 v5, off, s32 offset:1340 th:TH_LOAD_LU
	v_pk_mul_bf16 v3, v89, v3
	s_wait_loadcnt 0x0
	v_perm_b32 v4, v4, v5, 0x5040100
	s_clause 0x1
	scratch_load_b32 v5, off, s32 offset:1348 th:TH_LOAD_LU
	scratch_load_b32 v6, off, s32 offset:1356 th:TH_LOAD_LU
	v_pk_mul_bf16 v4, v63, v4
	s_wait_loadcnt 0x0
	v_perm_b32 v5, v6, v5, 0x5040100
	v_lshlrev_b32_e32 v6, 16, v2
	v_and_b32_e32 v2, 0xffff0000, v2
	s_delay_alu instid0(VALU_DEP_3) | instskip(NEXT) | instid1(VALU_DEP_2)
	;; [unrolled: 42-line block ×22, first 2 shown]
	v_pk_mul_bf16 v5, v83, v5
	v_dual_add_f32 v2, v6, v2 :: v_dual_lshlrev_b32 v6, 16, v3
	v_and_b32_e32 v3, 0xffff0000, v3
	s_delay_alu instid0(VALU_DEP_1) | instskip(NEXT) | instid1(VALU_DEP_1)
	v_add_f32_e32 v3, v6, v3
	v_dual_add_f32 v2, v2, v3 :: v_dual_lshlrev_b32 v3, 16, v4
	v_and_b32_e32 v4, 0xffff0000, v4
	s_delay_alu instid0(VALU_DEP_1) | instskip(SKIP_1) | instid1(VALU_DEP_2)
	v_add_f32_e32 v3, v3, v4
	v_and_b32_e32 v4, 0xffff0000, v5
	v_dual_add_f32 v2, v2, v3 :: v_dual_lshlrev_b32 v3, 16, v5
	v_pk_mul_bf16 v5, v83, v0
	s_delay_alu instid0(VALU_DEP_2) | instskip(SKIP_1) | instid1(VALU_DEP_2)
	v_add_f32_e32 v3, v3, v4
	v_pk_mul_bf16 v4, v63, v1
	v_add_f32_e32 v2, v2, v3
	v_perm_b32 v3, v22, v80, 0x5040100
	s_delay_alu instid0(VALU_DEP_1) | instskip(NEXT) | instid1(VALU_DEP_1)
	v_pk_mul_bf16 v3, v89, v3
	v_and_b32_e32 v1, 0xffff0000, v3
	s_delay_alu instid0(VALU_DEP_4) | instskip(SKIP_1) | instid1(VALU_DEP_1)
	v_dual_add_f32 v54, v54, v2 :: v_dual_lshlrev_b32 v3, 16, v3
	v_perm_b32 v2, v81, v82, 0x5040100
	v_pk_mul_bf16 v2, v90, v2
	s_delay_alu instid0(VALU_DEP_1) | instskip(SKIP_1) | instid1(VALU_DEP_1)
	v_and_b32_e32 v0, 0xffff0000, v2
	v_lshlrev_b32_e32 v2, 16, v2
	v_pk_add_f32 v[0:1], v[2:3], v[0:1]
	v_and_b32_e32 v2, 0xffff0000, v4
	v_lshlrev_b32_e32 v4, 16, v4
	v_and_b32_e32 v3, 0xffff0000, v5
	v_lshlrev_b32_e32 v5, 16, v5
	v_add_f32_e32 v0, v0, v1
	s_delay_alu instid0(VALU_DEP_2) | instskip(NEXT) | instid1(VALU_DEP_1)
	v_pk_add_f32 v[2:3], v[4:5], v[2:3]
	v_add_f32_e32 v0, v0, v2
	s_delay_alu instid0(VALU_DEP_1) | instskip(NEXT) | instid1(VALU_DEP_1)
	v_add_f32_e32 v0, v0, v3
	v_add_f32_e32 v13, v13, v0
	scratch_load_b32 v0, off, s32 offset:644 ; 4-byte Folded Reload
	s_wait_loadcnt 0x0
	v_cmp_ge_i32_e32 vcc_lo, v70, v0
	s_or_b32 s9, vcc_lo, s9
	s_wait_xcnt 0x0
	s_and_not1_b32 exec_lo, exec_lo, s9
	s_cbranch_execz .LBB372_4198
.LBB372_2086:                           ; =>This Inner Loop Header: Depth=1
	scratch_load_b64 v[0:1], off, s32 offset:1508 ; 8-byte Folded Reload
	v_mov_b32_e32 v71, v23
	s_mov_b32 s0, exec_lo
	s_wait_loadcnt 0x0
	s_delay_alu instid0(VALU_DEP_1)
	v_lshl_add_u64 v[0:1], v[70:71], 2, v[0:1]
	flat_load_b32 v0, v[0:1]
	s_clause 0x1
	scratch_load_b64 v[2:3], off, s32 offset:1468
	scratch_load_b64 v[4:5], off, s32 offset:1524
	s_wait_loadcnt_dscnt 0x0
	s_wait_xcnt 0x2
	v_mad_nc_i64_i32 v[0:1], v0, v2, v[4:5]
	scratch_load_b64 v[2:3], off, s32 offset:1532 ; 8-byte Folded Reload
	s_wait_loadcnt 0x0
	v_add_nc_u64_e32 v[18:19], v[0:1], v[2:3]
	flat_load_b64 v[80:81], v[18:19]
	scratch_load_b32 v2, off, s32 offset:1516 ; 4-byte Folded Reload
	s_wait_loadcnt 0x0
	v_lshl_or_b32 v63, v70, 5, v2
	s_wait_kmcnt 0x0
	s_delay_alu instid0(VALU_DEP_1)
	v_lshl_add_u32 v2, v63, 2, s8
	ds_load_2addr_b64 v[4:7], v2 offset1:1
	s_wait_dscnt 0x0
	scratch_store_b128 off, v[4:7], s32 offset:1492 ; 16-byte Folded Spill
	s_wait_xcnt 0x0
	ds_load_2addr_b64 v[2:5], v2 offset0:2 offset1:3
	s_wait_dscnt 0x0
	scratch_store_b128 off, v[2:5], s32 offset:1476 ; 16-byte Folded Spill
	s_wait_xcnt 0x0
	v_and_b32_e32 v3, 0xff, v80
	v_mov_b32_e32 v2, 0
	s_delay_alu instid0(VALU_DEP_2)
	v_cmpx_ne_u16_e32 0, v3
	s_cbranch_execz .LBB372_2094
; %bb.2087:                             ;   in Loop: Header=BB372_2086 Depth=1
	v_bfrev_b32_e32 v2, 1
	s_mov_b32 s16, exec_lo
	v_cmpx_ne_u16_e32 0x80, v3
	s_cbranch_execz .LBB372_2093
; %bb.2088:                             ;   in Loop: Header=BB372_2086 Depth=1
	v_and_b32_e32 v3, 0x7f, v80
	v_mov_b32_e32 v2, 0x7f800001
	s_mov_b32 s17, exec_lo
	s_delay_alu instid0(VALU_DEP_2)
	v_cmpx_ne_u32_e32 0x7f, v3
	s_cbranch_execz .LBB372_2092
; %bb.2089:                             ;   in Loop: Header=BB372_2086 Depth=1
	v_mov_b64_e32 v[82:83], v[80:81]
	v_lshrrev_b32_e32 v2, 3, v3
	s_mov_b32 s18, exec_lo
	v_cmpx_gt_u32_e32 8, v3
; %bb.2090:                             ;   in Loop: Header=BB372_2086 Depth=1
	v_and_b32_e32 v2, 7, v80
	s_delay_alu instid0(VALU_DEP_1) | instskip(NEXT) | instid1(VALU_DEP_1)
	v_clz_i32_u32_e32 v2, v2
	v_min_u32_e32 v2, 32, v2
	s_delay_alu instid0(VALU_DEP_1) | instskip(SKIP_1) | instid1(VALU_DEP_2)
	v_subrev_nc_u32_e32 v3, 28, v2
	v_sub_nc_u32_e32 v2, 29, v2
	v_lshlrev_b64_e32 v[82:83], v3, v[80:81]
; %bb.2091:                             ;   in Loop: Header=BB372_2086 Depth=1
	s_or_b32 exec_lo, exec_lo, s18
	s_delay_alu instid0(VALU_DEP_1) | instskip(NEXT) | instid1(VALU_DEP_3)
	v_dual_lshlrev_b32 v3, 20, v82 :: v_dual_lshlrev_b32 v4, 24, v80
	v_lshl_add_u32 v2, v2, 23, 0x3c000000
	s_delay_alu instid0(VALU_DEP_2) | instskip(NEXT) | instid1(VALU_DEP_3)
	v_and_b32_e32 v3, 0x700000, v3
	v_and_b32_e32 v4, 0x80000000, v4
	s_delay_alu instid0(VALU_DEP_1)
	v_or3_b32 v2, v3, v4, v2
.LBB372_2092:                           ;   in Loop: Header=BB372_2086 Depth=1
	s_or_b32 exec_lo, exec_lo, s17
.LBB372_2093:                           ;   in Loop: Header=BB372_2086 Depth=1
	s_delay_alu instid0(SALU_CYCLE_1)
	s_or_b32 exec_lo, exec_lo, s16
.LBB372_2094:                           ;   in Loop: Header=BB372_2086 Depth=1
	s_delay_alu instid0(SALU_CYCLE_1) | instskip(SKIP_3) | instid1(VALU_DEP_2)
	s_or_b32 exec_lo, exec_lo, s0
	v_lshrrev_b16 v5, 8, v80
	v_dual_mov_b32 v3, 0 :: v_dual_mov_b32 v4, 0
	s_mov_b32 s0, exec_lo
	v_cmpx_ne_u16_e32 0, v5
	s_cbranch_execz .LBB372_2102
; %bb.2095:                             ;   in Loop: Header=BB372_2086 Depth=1
	v_bfrev_b32_e32 v4, 1
	s_mov_b32 s16, exec_lo
	v_cmpx_ne_u16_e32 0x80, v5
	s_cbranch_execz .LBB372_2101
; %bb.2096:                             ;   in Loop: Header=BB372_2086 Depth=1
	v_and_b32_e32 v6, 0xffff, v5
	v_mov_b32_e32 v4, 0x7f800001
	s_mov_b32 s17, exec_lo
	s_delay_alu instid0(VALU_DEP_2) | instskip(NEXT) | instid1(VALU_DEP_1)
	v_and_b32_e32 v5, 0x7f, v6
	v_cmpx_ne_u32_e32 0x7f, v5
	s_cbranch_execz .LBB372_2100
; %bb.2097:                             ;   in Loop: Header=BB372_2086 Depth=1
	v_dual_lshrrev_b32 v4, 3, v5 :: v_dual_bitop2_b32 v22, 7, v6 bitop3:0x40
	s_mov_b32 s18, exec_lo
	s_delay_alu instid0(VALU_DEP_1)
	v_mov_b64_e32 v[82:83], v[22:23]
	v_cmpx_gt_u32_e32 8, v5
; %bb.2098:                             ;   in Loop: Header=BB372_2086 Depth=1
	v_clz_i32_u32_e32 v4, v22
	s_delay_alu instid0(VALU_DEP_1) | instskip(NEXT) | instid1(VALU_DEP_1)
	v_min_u32_e32 v4, 32, v4
	v_subrev_nc_u32_e32 v5, 28, v4
	s_delay_alu instid0(VALU_DEP_1) | instskip(NEXT) | instid1(VALU_DEP_1)
	v_lshlrev_b64_e32 v[6:7], v5, v[22:23]
	v_dual_sub_nc_u32 v4, 29, v4 :: v_dual_bitop2_b32 v82, 7, v6 bitop3:0x40
; %bb.2099:                             ;   in Loop: Header=BB372_2086 Depth=1
	s_or_b32 exec_lo, exec_lo, s18
	s_delay_alu instid0(VALU_DEP_1) | instskip(NEXT) | instid1(VALU_DEP_2)
	v_dual_lshlrev_b32 v5, 16, v80 :: v_dual_lshlrev_b32 v6, 20, v82
	v_lshl_add_u32 v4, v4, 23, 0x3c000000
	s_delay_alu instid0(VALU_DEP_2) | instskip(NEXT) | instid1(VALU_DEP_1)
	v_and_b32_e32 v5, 0x80000000, v5
	v_or3_b32 v4, v6, v5, v4
.LBB372_2100:                           ;   in Loop: Header=BB372_2086 Depth=1
	s_or_b32 exec_lo, exec_lo, s17
.LBB372_2101:                           ;   in Loop: Header=BB372_2086 Depth=1
	s_delay_alu instid0(SALU_CYCLE_1)
	s_or_b32 exec_lo, exec_lo, s16
.LBB372_2102:                           ;   in Loop: Header=BB372_2086 Depth=1
	s_delay_alu instid0(SALU_CYCLE_1) | instskip(SKIP_2) | instid1(VALU_DEP_1)
	s_or_b32 exec_lo, exec_lo, s0
	v_lshrrev_b32_e32 v5, 16, v80
	s_mov_b32 s0, exec_lo
	v_and_b32_e32 v6, 0xff, v5
	s_delay_alu instid0(VALU_DEP_1)
	v_cmpx_ne_u16_e32 0, v6
	s_cbranch_execz .LBB372_2110
; %bb.2103:                             ;   in Loop: Header=BB372_2086 Depth=1
	v_bfrev_b32_e32 v3, 1
	s_mov_b32 s16, exec_lo
	v_cmpx_ne_u16_e32 0x80, v6
	s_cbranch_execz .LBB372_2109
; %bb.2104:                             ;   in Loop: Header=BB372_2086 Depth=1
	v_bfe_u32 v6, v80, 16, 7
	v_mov_b32_e32 v3, 0x7f800001
	s_mov_b32 s17, exec_lo
	s_delay_alu instid0(VALU_DEP_2)
	v_cmpx_ne_u32_e32 0x7f, v6
	s_cbranch_execz .LBB372_2108
; %bb.2105:                             ;   in Loop: Header=BB372_2086 Depth=1
	v_dual_lshrrev_b32 v3, 3, v6 :: v_dual_bitop2_b32 v22, 7, v5 bitop3:0x40
	s_mov_b32 s18, exec_lo
	s_delay_alu instid0(VALU_DEP_1)
	v_mov_b64_e32 v[82:83], v[22:23]
	v_cmpx_gt_u32_e32 8, v6
; %bb.2106:                             ;   in Loop: Header=BB372_2086 Depth=1
	v_clz_i32_u32_e32 v3, v22
	s_delay_alu instid0(VALU_DEP_1) | instskip(NEXT) | instid1(VALU_DEP_1)
	v_min_u32_e32 v3, 32, v3
	v_subrev_nc_u32_e32 v6, 28, v3
	s_delay_alu instid0(VALU_DEP_1) | instskip(NEXT) | instid1(VALU_DEP_1)
	v_lshlrev_b64_e32 v[6:7], v6, v[22:23]
	v_dual_sub_nc_u32 v3, 29, v3 :: v_dual_bitop2_b32 v82, 7, v6 bitop3:0x40
; %bb.2107:                             ;   in Loop: Header=BB372_2086 Depth=1
	s_or_b32 exec_lo, exec_lo, s18
	s_delay_alu instid0(VALU_DEP_1) | instskip(NEXT) | instid1(VALU_DEP_2)
	v_dual_lshlrev_b32 v5, 24, v5 :: v_dual_lshlrev_b32 v6, 20, v82
	v_lshl_add_u32 v3, v3, 23, 0x3c000000
	s_delay_alu instid0(VALU_DEP_2) | instskip(NEXT) | instid1(VALU_DEP_1)
	v_and_b32_e32 v5, 0x80000000, v5
	v_or3_b32 v3, v6, v5, v3
.LBB372_2108:                           ;   in Loop: Header=BB372_2086 Depth=1
	s_or_b32 exec_lo, exec_lo, s17
.LBB372_2109:                           ;   in Loop: Header=BB372_2086 Depth=1
	s_delay_alu instid0(SALU_CYCLE_1)
	s_or_b32 exec_lo, exec_lo, s16
.LBB372_2110:                           ;   in Loop: Header=BB372_2086 Depth=1
	s_delay_alu instid0(SALU_CYCLE_1)
	s_or_b32 exec_lo, exec_lo, s0
	v_dual_mov_b32 v5, 0 :: v_dual_mov_b32 v6, 0
	s_mov_b32 s0, exec_lo
	v_cmpx_lt_u32_e32 0xffffff, v80
	s_cbranch_execz .LBB372_2118
; %bb.2111:                             ;   in Loop: Header=BB372_2086 Depth=1
	v_lshrrev_b32_e32 v7, 24, v80
	v_bfrev_b32_e32 v6, 1
	s_mov_b32 s16, exec_lo
	s_delay_alu instid0(VALU_DEP_2)
	v_cmpx_ne_u32_e32 0x80, v7
	s_cbranch_execz .LBB372_2117
; %bb.2112:                             ;   in Loop: Header=BB372_2086 Depth=1
	v_bfe_u32 v8, v80, 24, 7
	v_mov_b32_e32 v6, 0x7f800001
	s_mov_b32 s17, exec_lo
	s_delay_alu instid0(VALU_DEP_2)
	v_cmpx_ne_u32_e32 0x7f, v8
	s_cbranch_execz .LBB372_2116
; %bb.2113:                             ;   in Loop: Header=BB372_2086 Depth=1
	v_dual_lshrrev_b32 v6, 3, v8 :: v_dual_bitop2_b32 v22, 7, v7 bitop3:0x40
	s_mov_b32 s18, exec_lo
	s_delay_alu instid0(VALU_DEP_1)
	v_mov_b64_e32 v[82:83], v[22:23]
	v_cmpx_gt_u32_e32 8, v8
; %bb.2114:                             ;   in Loop: Header=BB372_2086 Depth=1
	v_clz_i32_u32_e32 v6, v22
	s_delay_alu instid0(VALU_DEP_1) | instskip(NEXT) | instid1(VALU_DEP_1)
	v_min_u32_e32 v6, 32, v6
	v_subrev_nc_u32_e32 v8, 28, v6
	s_delay_alu instid0(VALU_DEP_1) | instskip(NEXT) | instid1(VALU_DEP_1)
	v_lshlrev_b64_e32 v[8:9], v8, v[22:23]
	v_dual_sub_nc_u32 v6, 29, v6 :: v_dual_bitop2_b32 v82, 7, v8 bitop3:0x40
; %bb.2115:                             ;   in Loop: Header=BB372_2086 Depth=1
	s_or_b32 exec_lo, exec_lo, s18
	s_delay_alu instid0(VALU_DEP_1) | instskip(NEXT) | instid1(VALU_DEP_2)
	v_dual_lshlrev_b32 v7, 24, v7 :: v_dual_lshlrev_b32 v8, 20, v82
	v_lshl_add_u32 v6, v6, 23, 0x3c000000
	s_delay_alu instid0(VALU_DEP_2) | instskip(NEXT) | instid1(VALU_DEP_1)
	v_and_b32_e32 v7, 0x80000000, v7
	v_or3_b32 v6, v8, v7, v6
.LBB372_2116:                           ;   in Loop: Header=BB372_2086 Depth=1
	s_or_b32 exec_lo, exec_lo, s17
.LBB372_2117:                           ;   in Loop: Header=BB372_2086 Depth=1
	s_delay_alu instid0(SALU_CYCLE_1)
	s_or_b32 exec_lo, exec_lo, s16
.LBB372_2118:                           ;   in Loop: Header=BB372_2086 Depth=1
	s_delay_alu instid0(SALU_CYCLE_1) | instskip(SKIP_3) | instid1(VALU_DEP_2)
	s_or_b32 exec_lo, exec_lo, s0
	v_and_b32_e32 v7, 0xff, v81
	v_mov_b32_e32 v22, v81
	s_mov_b32 s0, exec_lo
	v_cmpx_ne_u16_e32 0, v7
	s_cbranch_execz .LBB372_2126
; %bb.2119:                             ;   in Loop: Header=BB372_2086 Depth=1
	v_bfrev_b32_e32 v5, 1
	s_mov_b32 s16, exec_lo
	v_cmpx_ne_u16_e32 0x80, v7
	s_cbranch_execz .LBB372_2125
; %bb.2120:                             ;   in Loop: Header=BB372_2086 Depth=1
	v_and_b32_e32 v7, 0x7f, v81
	v_mov_b32_e32 v5, 0x7f800001
	s_mov_b32 s17, exec_lo
	s_delay_alu instid0(VALU_DEP_2)
	v_cmpx_ne_u32_e32 0x7f, v7
	s_cbranch_execz .LBB372_2124
; %bb.2121:                             ;   in Loop: Header=BB372_2086 Depth=1
	v_mov_b64_e32 v[82:83], v[22:23]
	v_lshrrev_b32_e32 v5, 3, v7
	s_mov_b32 s18, exec_lo
	v_cmpx_gt_u32_e32 8, v7
; %bb.2122:                             ;   in Loop: Header=BB372_2086 Depth=1
	v_and_b32_e32 v5, 7, v81
	s_delay_alu instid0(VALU_DEP_1) | instskip(NEXT) | instid1(VALU_DEP_1)
	v_clz_i32_u32_e32 v5, v5
	v_min_u32_e32 v5, 32, v5
	s_delay_alu instid0(VALU_DEP_1) | instskip(SKIP_1) | instid1(VALU_DEP_2)
	v_subrev_nc_u32_e32 v7, 28, v5
	v_sub_nc_u32_e32 v5, 29, v5
	v_lshlrev_b64_e32 v[82:83], v7, v[22:23]
; %bb.2123:                             ;   in Loop: Header=BB372_2086 Depth=1
	s_or_b32 exec_lo, exec_lo, s18
	s_delay_alu instid0(VALU_DEP_1) | instskip(SKIP_2) | instid1(VALU_DEP_3)
	v_lshlrev_b32_e32 v7, 20, v82
	v_lshlrev_b32_e32 v8, 24, v22
	v_lshl_add_u32 v5, v5, 23, 0x3c000000
	v_and_b32_e32 v7, 0x700000, v7
	s_delay_alu instid0(VALU_DEP_3) | instskip(NEXT) | instid1(VALU_DEP_1)
	v_and_b32_e32 v8, 0x80000000, v8
	v_or3_b32 v5, v7, v8, v5
.LBB372_2124:                           ;   in Loop: Header=BB372_2086 Depth=1
	s_or_b32 exec_lo, exec_lo, s17
.LBB372_2125:                           ;   in Loop: Header=BB372_2086 Depth=1
	s_delay_alu instid0(SALU_CYCLE_1)
	s_or_b32 exec_lo, exec_lo, s16
.LBB372_2126:                           ;   in Loop: Header=BB372_2086 Depth=1
	s_delay_alu instid0(SALU_CYCLE_1) | instskip(SKIP_3) | instid1(VALU_DEP_2)
	s_or_b32 exec_lo, exec_lo, s0
	v_lshrrev_b16 v9, 8, v22
	v_dual_mov_b32 v7, 0 :: v_dual_mov_b32 v8, 0
	s_mov_b32 s0, exec_lo
	v_cmpx_ne_u16_e32 0, v9
	s_cbranch_execz .LBB372_2134
; %bb.2127:                             ;   in Loop: Header=BB372_2086 Depth=1
	v_bfrev_b32_e32 v8, 1
	s_mov_b32 s16, exec_lo
	v_cmpx_ne_u16_e32 0x80, v9
	s_cbranch_execz .LBB372_2133
; %bb.2128:                             ;   in Loop: Header=BB372_2086 Depth=1
	v_and_b32_e32 v10, 0xffff, v9
	v_mov_b32_e32 v8, 0x7f800001
	s_mov_b32 s17, exec_lo
	s_delay_alu instid0(VALU_DEP_2) | instskip(NEXT) | instid1(VALU_DEP_1)
	v_and_b32_e32 v9, 0x7f, v10
	v_cmpx_ne_u32_e32 0x7f, v9
	s_cbranch_execz .LBB372_2132
; %bb.2129:                             ;   in Loop: Header=BB372_2086 Depth=1
	v_dual_mov_b32 v83, v23 :: v_dual_bitop2_b32 v82, 7, v10 bitop3:0x40
	v_lshrrev_b32_e32 v8, 3, v9
	s_mov_b32 s18, exec_lo
	v_cmpx_gt_u32_e32 8, v9
; %bb.2130:                             ;   in Loop: Header=BB372_2086 Depth=1
	s_delay_alu instid0(VALU_DEP_3) | instskip(NEXT) | instid1(VALU_DEP_1)
	v_clz_i32_u32_e32 v8, v82
	v_min_u32_e32 v8, 32, v8
	s_delay_alu instid0(VALU_DEP_1) | instskip(NEXT) | instid1(VALU_DEP_1)
	v_subrev_nc_u32_e32 v9, 28, v8
	v_lshlrev_b64_e32 v[10:11], v9, v[82:83]
	s_delay_alu instid0(VALU_DEP_1)
	v_dual_sub_nc_u32 v8, 29, v8 :: v_dual_bitop2_b32 v82, 7, v10 bitop3:0x40
; %bb.2131:                             ;   in Loop: Header=BB372_2086 Depth=1
	s_or_b32 exec_lo, exec_lo, s18
	v_lshlrev_b32_e32 v9, 16, v22
	s_delay_alu instid0(VALU_DEP_2) | instskip(NEXT) | instid1(VALU_DEP_3)
	v_lshlrev_b32_e32 v10, 20, v82
	v_lshl_add_u32 v8, v8, 23, 0x3c000000
	s_delay_alu instid0(VALU_DEP_3) | instskip(NEXT) | instid1(VALU_DEP_1)
	v_and_b32_e32 v9, 0x80000000, v9
	v_or3_b32 v8, v10, v9, v8
.LBB372_2132:                           ;   in Loop: Header=BB372_2086 Depth=1
	s_or_b32 exec_lo, exec_lo, s17
.LBB372_2133:                           ;   in Loop: Header=BB372_2086 Depth=1
	s_delay_alu instid0(SALU_CYCLE_1)
	s_or_b32 exec_lo, exec_lo, s16
.LBB372_2134:                           ;   in Loop: Header=BB372_2086 Depth=1
	s_delay_alu instid0(SALU_CYCLE_1) | instskip(SKIP_2) | instid1(VALU_DEP_1)
	s_or_b32 exec_lo, exec_lo, s0
	v_lshrrev_b32_e32 v9, 16, v81
	s_mov_b32 s0, exec_lo
	v_and_b32_e32 v10, 0xff, v9
	s_delay_alu instid0(VALU_DEP_1)
	v_cmpx_ne_u16_e32 0, v10
	s_cbranch_execz .LBB372_2142
; %bb.2135:                             ;   in Loop: Header=BB372_2086 Depth=1
	v_bfrev_b32_e32 v7, 1
	s_mov_b32 s16, exec_lo
	v_cmpx_ne_u16_e32 0x80, v10
	s_cbranch_execz .LBB372_2141
; %bb.2136:                             ;   in Loop: Header=BB372_2086 Depth=1
	v_bfe_u32 v10, v81, 16, 7
	v_mov_b32_e32 v7, 0x7f800001
	s_mov_b32 s17, exec_lo
	s_delay_alu instid0(VALU_DEP_2)
	v_cmpx_ne_u32_e32 0x7f, v10
	s_cbranch_execz .LBB372_2140
; %bb.2137:                             ;   in Loop: Header=BB372_2086 Depth=1
	v_dual_lshrrev_b32 v7, 3, v10 :: v_dual_bitop2_b32 v22, 7, v9 bitop3:0x40
	s_mov_b32 s18, exec_lo
	s_delay_alu instid0(VALU_DEP_1)
	v_mov_b64_e32 v[82:83], v[22:23]
	v_cmpx_gt_u32_e32 8, v10
; %bb.2138:                             ;   in Loop: Header=BB372_2086 Depth=1
	v_clz_i32_u32_e32 v7, v22
	s_delay_alu instid0(VALU_DEP_1) | instskip(NEXT) | instid1(VALU_DEP_1)
	v_min_u32_e32 v7, 32, v7
	v_subrev_nc_u32_e32 v10, 28, v7
	s_delay_alu instid0(VALU_DEP_1) | instskip(NEXT) | instid1(VALU_DEP_1)
	v_lshlrev_b64_e32 v[10:11], v10, v[22:23]
	v_dual_sub_nc_u32 v7, 29, v7 :: v_dual_bitop2_b32 v82, 7, v10 bitop3:0x40
; %bb.2139:                             ;   in Loop: Header=BB372_2086 Depth=1
	s_or_b32 exec_lo, exec_lo, s18
	s_delay_alu instid0(VALU_DEP_1) | instskip(NEXT) | instid1(VALU_DEP_2)
	v_dual_lshlrev_b32 v9, 24, v9 :: v_dual_lshlrev_b32 v10, 20, v82
	v_lshl_add_u32 v7, v7, 23, 0x3c000000
	s_delay_alu instid0(VALU_DEP_2) | instskip(NEXT) | instid1(VALU_DEP_1)
	v_and_b32_e32 v9, 0x80000000, v9
	v_or3_b32 v7, v10, v9, v7
.LBB372_2140:                           ;   in Loop: Header=BB372_2086 Depth=1
	s_or_b32 exec_lo, exec_lo, s17
.LBB372_2141:                           ;   in Loop: Header=BB372_2086 Depth=1
	s_delay_alu instid0(SALU_CYCLE_1)
	s_or_b32 exec_lo, exec_lo, s16
.LBB372_2142:                           ;   in Loop: Header=BB372_2086 Depth=1
	s_delay_alu instid0(SALU_CYCLE_1)
	s_or_b32 exec_lo, exec_lo, s0
	v_mov_b32_e32 v10, 0
	s_mov_b32 s0, exec_lo
	v_cmpx_lt_u64_e64 s[2:3], v[80:81]
	s_cbranch_execz .LBB372_2150
; %bb.2143:                             ;   in Loop: Header=BB372_2086 Depth=1
	v_lshrrev_b32_e32 v9, 24, v81
	v_bfrev_b32_e32 v10, 1
	s_mov_b32 s16, exec_lo
	s_delay_alu instid0(VALU_DEP_2)
	v_cmpx_ne_u32_e32 0x80, v9
	s_cbranch_execz .LBB372_2149
; %bb.2144:                             ;   in Loop: Header=BB372_2086 Depth=1
	v_bfe_u32 v11, v81, 24, 7
	v_mov_b32_e32 v10, 0x7f800001
	s_mov_b32 s17, exec_lo
	s_delay_alu instid0(VALU_DEP_2)
	v_cmpx_ne_u32_e32 0x7f, v11
	s_cbranch_execz .LBB372_2148
; %bb.2145:                             ;   in Loop: Header=BB372_2086 Depth=1
	v_dual_lshrrev_b32 v10, 3, v11 :: v_dual_bitop2_b32 v22, 7, v9 bitop3:0x40
	s_mov_b32 s18, exec_lo
	s_delay_alu instid0(VALU_DEP_1)
	v_mov_b64_e32 v[80:81], v[22:23]
	v_cmpx_gt_u32_e32 8, v11
; %bb.2146:                             ;   in Loop: Header=BB372_2086 Depth=1
	v_clz_i32_u32_e32 v10, v22
	s_delay_alu instid0(VALU_DEP_1) | instskip(NEXT) | instid1(VALU_DEP_1)
	v_min_u32_e32 v10, 32, v10
	v_subrev_nc_u32_e32 v11, 28, v10
	s_delay_alu instid0(VALU_DEP_1) | instskip(NEXT) | instid1(VALU_DEP_1)
	v_lshlrev_b64_e32 v[64:65], v11, v[22:23]
	v_dual_sub_nc_u32 v10, 29, v10 :: v_dual_bitop2_b32 v80, 7, v64 bitop3:0x40
; %bb.2147:                             ;   in Loop: Header=BB372_2086 Depth=1
	s_or_b32 exec_lo, exec_lo, s18
	s_delay_alu instid0(VALU_DEP_1) | instskip(NEXT) | instid1(VALU_DEP_2)
	v_dual_lshlrev_b32 v9, 24, v9 :: v_dual_lshlrev_b32 v11, 20, v80
	v_lshl_add_u32 v10, v10, 23, 0x3c000000
	s_delay_alu instid0(VALU_DEP_2) | instskip(NEXT) | instid1(VALU_DEP_1)
	v_and_b32_e32 v9, 0x80000000, v9
	v_or3_b32 v10, v11, v9, v10
.LBB372_2148:                           ;   in Loop: Header=BB372_2086 Depth=1
	s_or_b32 exec_lo, exec_lo, s17
.LBB372_2149:                           ;   in Loop: Header=BB372_2086 Depth=1
	s_delay_alu instid0(SALU_CYCLE_1)
	s_or_b32 exec_lo, exec_lo, s16
.LBB372_2150:                           ;   in Loop: Header=BB372_2086 Depth=1
	s_delay_alu instid0(SALU_CYCLE_1)
	s_or_b32 exec_lo, exec_lo, s0
	scratch_load_b32 v9, off, s32 offset:644 ; 4-byte Folded Reload
	v_fma_mixlo_bf16 v8, v86, v8, 0
	v_fma_mixlo_bf16 v5, v86, v5, 0
	;; [unrolled: 1-line block ×4, first 2 shown]
	v_or_b32_e32 v94, 2, v63
	scratch_store_b32 off, v8, s32 offset:196 ; 4-byte Folded Spill
	v_or_b32_e32 v93, 3, v63
	scratch_store_b32 off, v2, s32 offset:252 ; 4-byte Folded Spill
	s_wait_xcnt 0x0
	v_fma_mixlo_bf16 v2, v86, v7, 0
	scratch_store_b32 off, v5, s32 offset:204 ; 4-byte Folded Spill
	s_wait_xcnt 0x0
	v_fma_mixlo_bf16 v5, v86, v6, 0
	v_or_b32_e32 v92, 4, v63
	v_or_b32_e32 v91, 5, v63
	scratch_store_b32 off, v2, s32 offset:212 ; 4-byte Folded Spill
	s_wait_xcnt 0x0
	v_fma_mixlo_bf16 v2, v86, v10, 0
	s_clause 0x1
	scratch_store_b32 off, v5, s32 offset:228
	scratch_store_b32 off, v3, s32 offset:236
	s_wait_xcnt 0x0
	v_fma_mixlo_bf16 v3, v86, v4, 0
	v_or_b32_e32 v90, 6, v63
	v_or_b32_e32 v89, 7, v63
	scratch_store_b32 off, v2, s32 offset:220 ; 4-byte Folded Spill
	v_or_b32_e32 v95, 1, v63
	scratch_store_b32 off, v3, s32 offset:244 ; 4-byte Folded Spill
	s_wait_loadcnt 0x0
	v_add_nc_u32_e32 v9, -1, v9
	s_delay_alu instid0(VALU_DEP_1)
	v_cmp_eq_u32_e32 vcc_lo, v70, v9
	s_wait_xcnt 0x0
	s_and_saveexec_b32 s16, vcc_lo
	s_cbranch_execz .LBB372_2152
; %bb.2151:                             ;   in Loop: Header=BB372_2086 Depth=1
	s_clause 0x1
	scratch_load_b32 v2, off, s32 offset:192
	scratch_load_b32 v3, off, s32 offset:252
	s_wait_loadcnt 0x1
	v_cmp_lt_i32_e64 s0, v63, v2
	s_wait_loadcnt 0x0
	s_delay_alu instid0(VALU_DEP_1)
	v_cndmask_b32_e64 v3, 0, v3, s0
	v_cmp_lt_i32_e64 s0, v95, v2
	s_clause 0x1
	scratch_store_b32 off, v3, s32 offset:252
	scratch_load_b32 v3, off, s32 offset:244
	s_wait_loadcnt 0x0
	v_cndmask_b32_e64 v3, 0, v3, s0
	v_cmp_lt_i32_e64 s0, v94, v2
	s_clause 0x1
	scratch_store_b32 off, v3, s32 offset:244
	scratch_load_b32 v3, off, s32 offset:236
	s_wait_loadcnt 0x0
	v_cndmask_b32_e64 v3, 0, v3, s0
	v_cmp_lt_i32_e64 s0, v93, v2
	s_clause 0x1
	scratch_store_b32 off, v3, s32 offset:236
	scratch_load_b32 v3, off, s32 offset:228
	s_wait_loadcnt 0x0
	v_cndmask_b32_e64 v3, 0, v3, s0
	v_cmp_lt_i32_e64 s0, v92, v2
	s_clause 0x1
	scratch_store_b32 off, v3, s32 offset:228
	scratch_load_b32 v3, off, s32 offset:204
	s_wait_loadcnt 0x0
	v_cndmask_b32_e64 v3, 0, v3, s0
	v_cmp_lt_i32_e64 s0, v91, v2
	s_clause 0x1
	scratch_store_b32 off, v3, s32 offset:204
	scratch_load_b32 v3, off, s32 offset:196
	s_wait_loadcnt 0x0
	v_cndmask_b32_e64 v3, 0, v3, s0
	v_cmp_lt_i32_e64 s0, v90, v2
	s_clause 0x1
	scratch_store_b32 off, v3, s32 offset:196
	scratch_load_b32 v3, off, s32 offset:212
	s_wait_loadcnt 0x0
	v_cndmask_b32_e64 v3, 0, v3, s0
	v_cmp_lt_i32_e64 s0, v89, v2
	scratch_load_b32 v2, off, s32 offset:220 ; 4-byte Folded Reload
	s_wait_loadcnt 0x0
	v_cndmask_b32_e64 v2, 0, v2, s0
	s_clause 0x1
	scratch_store_b32 off, v3, s32 offset:212
	scratch_store_b32 off, v2, s32 offset:220
.LBB372_2152:                           ;   in Loop: Header=BB372_2086 Depth=1
	s_wait_xcnt 0x0
	s_or_b32 exec_lo, exec_lo, s16
	flat_load_b64 v[80:81], v[18:19] offset:256
	v_dual_mov_b32 v3, 0 :: v_dual_mov_b32 v2, 0
	s_mov_b32 s16, exec_lo
	s_wait_loadcnt_dscnt 0x0
	v_and_b32_e32 v4, 0xff, v80
	s_wait_xcnt 0x0
	s_delay_alu instid0(VALU_DEP_1)
	v_cmpx_ne_u16_e32 0, v4
	s_cbranch_execz .LBB372_2160
; %bb.2153:                             ;   in Loop: Header=BB372_2086 Depth=1
	v_bfrev_b32_e32 v2, 1
	s_mov_b32 s17, exec_lo
	v_cmpx_ne_u16_e32 0x80, v4
	s_cbranch_execz .LBB372_2159
; %bb.2154:                             ;   in Loop: Header=BB372_2086 Depth=1
	v_and_b32_e32 v4, 0x7f, v80
	v_mov_b32_e32 v2, 0x7f800001
	s_mov_b32 s18, exec_lo
	s_delay_alu instid0(VALU_DEP_2)
	v_cmpx_ne_u32_e32 0x7f, v4
	s_cbranch_execz .LBB372_2158
; %bb.2155:                             ;   in Loop: Header=BB372_2086 Depth=1
	v_mov_b64_e32 v[82:83], v[80:81]
	v_lshrrev_b32_e32 v2, 3, v4
	s_mov_b32 s19, exec_lo
	v_cmpx_gt_u32_e32 8, v4
; %bb.2156:                             ;   in Loop: Header=BB372_2086 Depth=1
	v_and_b32_e32 v2, 7, v80
	s_delay_alu instid0(VALU_DEP_1) | instskip(NEXT) | instid1(VALU_DEP_1)
	v_clz_i32_u32_e32 v2, v2
	v_min_u32_e32 v2, 32, v2
	s_delay_alu instid0(VALU_DEP_1) | instskip(SKIP_1) | instid1(VALU_DEP_2)
	v_subrev_nc_u32_e32 v4, 28, v2
	v_sub_nc_u32_e32 v2, 29, v2
	v_lshlrev_b64_e32 v[82:83], v4, v[80:81]
; %bb.2157:                             ;   in Loop: Header=BB372_2086 Depth=1
	s_or_b32 exec_lo, exec_lo, s19
	s_delay_alu instid0(VALU_DEP_1) | instskip(NEXT) | instid1(VALU_DEP_3)
	v_dual_lshlrev_b32 v4, 20, v82 :: v_dual_lshlrev_b32 v5, 24, v80
	v_lshl_add_u32 v2, v2, 23, 0x3c000000
	s_delay_alu instid0(VALU_DEP_2) | instskip(NEXT) | instid1(VALU_DEP_3)
	v_and_b32_e32 v4, 0x700000, v4
	v_and_b32_e32 v5, 0x80000000, v5
	s_delay_alu instid0(VALU_DEP_1)
	v_or3_b32 v2, v4, v5, v2
.LBB372_2158:                           ;   in Loop: Header=BB372_2086 Depth=1
	s_or_b32 exec_lo, exec_lo, s18
.LBB372_2159:                           ;   in Loop: Header=BB372_2086 Depth=1
	s_delay_alu instid0(SALU_CYCLE_1)
	s_or_b32 exec_lo, exec_lo, s17
.LBB372_2160:                           ;   in Loop: Header=BB372_2086 Depth=1
	s_delay_alu instid0(SALU_CYCLE_1) | instskip(SKIP_2) | instid1(VALU_DEP_1)
	s_or_b32 exec_lo, exec_lo, s16
	v_lshrrev_b16 v4, 8, v80
	s_mov_b32 s16, exec_lo
	v_cmpx_ne_u16_e32 0, v4
	s_cbranch_execz .LBB372_2168
; %bb.2161:                             ;   in Loop: Header=BB372_2086 Depth=1
	v_bfrev_b32_e32 v3, 1
	s_mov_b32 s17, exec_lo
	v_cmpx_ne_u16_e32 0x80, v4
	s_cbranch_execz .LBB372_2167
; %bb.2162:                             ;   in Loop: Header=BB372_2086 Depth=1
	v_and_b32_e32 v5, 0xffff, v4
	v_mov_b32_e32 v3, 0x7f800001
	s_mov_b32 s18, exec_lo
	s_delay_alu instid0(VALU_DEP_2) | instskip(NEXT) | instid1(VALU_DEP_1)
	v_and_b32_e32 v4, 0x7f, v5
	v_cmpx_ne_u32_e32 0x7f, v4
	s_cbranch_execz .LBB372_2166
; %bb.2163:                             ;   in Loop: Header=BB372_2086 Depth=1
	v_dual_lshrrev_b32 v3, 3, v4 :: v_dual_bitop2_b32 v22, 7, v5 bitop3:0x40
	s_mov_b32 s19, exec_lo
	s_delay_alu instid0(VALU_DEP_1)
	v_mov_b64_e32 v[82:83], v[22:23]
	v_cmpx_gt_u32_e32 8, v4
; %bb.2164:                             ;   in Loop: Header=BB372_2086 Depth=1
	v_clz_i32_u32_e32 v3, v22
	s_delay_alu instid0(VALU_DEP_1) | instskip(NEXT) | instid1(VALU_DEP_1)
	v_min_u32_e32 v3, 32, v3
	v_subrev_nc_u32_e32 v4, 28, v3
	s_delay_alu instid0(VALU_DEP_1) | instskip(NEXT) | instid1(VALU_DEP_1)
	v_lshlrev_b64_e32 v[4:5], v4, v[22:23]
	v_dual_sub_nc_u32 v3, 29, v3 :: v_dual_bitop2_b32 v82, 7, v4 bitop3:0x40
; %bb.2165:                             ;   in Loop: Header=BB372_2086 Depth=1
	s_or_b32 exec_lo, exec_lo, s19
	s_delay_alu instid0(VALU_DEP_1) | instskip(NEXT) | instid1(VALU_DEP_2)
	v_dual_lshlrev_b32 v4, 16, v80 :: v_dual_lshlrev_b32 v5, 20, v82
	v_lshl_add_u32 v3, v3, 23, 0x3c000000
	s_delay_alu instid0(VALU_DEP_2) | instskip(NEXT) | instid1(VALU_DEP_1)
	v_and_b32_e32 v4, 0x80000000, v4
	v_or3_b32 v3, v5, v4, v3
.LBB372_2166:                           ;   in Loop: Header=BB372_2086 Depth=1
	s_or_b32 exec_lo, exec_lo, s18
.LBB372_2167:                           ;   in Loop: Header=BB372_2086 Depth=1
	s_delay_alu instid0(SALU_CYCLE_1)
	s_or_b32 exec_lo, exec_lo, s17
.LBB372_2168:                           ;   in Loop: Header=BB372_2086 Depth=1
	s_delay_alu instid0(SALU_CYCLE_1) | instskip(SKIP_3) | instid1(VALU_DEP_2)
	s_or_b32 exec_lo, exec_lo, s16
	v_dual_mov_b32 v5, 0 :: v_dual_lshrrev_b32 v6, 16, v80
	v_mov_b32_e32 v4, 0
	s_mov_b32 s16, exec_lo
	v_and_b32_e32 v7, 0xff, v6
	s_delay_alu instid0(VALU_DEP_1)
	v_cmpx_ne_u16_e32 0, v7
	s_cbranch_execz .LBB372_2176
; %bb.2169:                             ;   in Loop: Header=BB372_2086 Depth=1
	v_bfrev_b32_e32 v4, 1
	s_mov_b32 s17, exec_lo
	v_cmpx_ne_u16_e32 0x80, v7
	s_cbranch_execz .LBB372_2175
; %bb.2170:                             ;   in Loop: Header=BB372_2086 Depth=1
	v_bfe_u32 v7, v80, 16, 7
	v_mov_b32_e32 v4, 0x7f800001
	s_mov_b32 s18, exec_lo
	s_delay_alu instid0(VALU_DEP_2)
	v_cmpx_ne_u32_e32 0x7f, v7
	s_cbranch_execz .LBB372_2174
; %bb.2171:                             ;   in Loop: Header=BB372_2086 Depth=1
	v_dual_lshrrev_b32 v4, 3, v7 :: v_dual_bitop2_b32 v22, 7, v6 bitop3:0x40
	s_mov_b32 s19, exec_lo
	s_delay_alu instid0(VALU_DEP_1)
	v_mov_b64_e32 v[82:83], v[22:23]
	v_cmpx_gt_u32_e32 8, v7
; %bb.2172:                             ;   in Loop: Header=BB372_2086 Depth=1
	v_clz_i32_u32_e32 v4, v22
	s_delay_alu instid0(VALU_DEP_1) | instskip(NEXT) | instid1(VALU_DEP_1)
	v_min_u32_e32 v4, 32, v4
	v_subrev_nc_u32_e32 v7, 28, v4
	v_sub_nc_u32_e32 v4, 29, v4
	s_delay_alu instid0(VALU_DEP_2) | instskip(NEXT) | instid1(VALU_DEP_1)
	v_lshlrev_b64_e32 v[8:9], v7, v[22:23]
	v_and_b32_e32 v82, 7, v8
; %bb.2173:                             ;   in Loop: Header=BB372_2086 Depth=1
	s_or_b32 exec_lo, exec_lo, s19
	v_lshlrev_b32_e32 v6, 24, v6
	s_delay_alu instid0(VALU_DEP_2) | instskip(SKIP_1) | instid1(VALU_DEP_3)
	v_lshlrev_b32_e32 v7, 20, v82
	v_lshl_add_u32 v4, v4, 23, 0x3c000000
	v_and_b32_e32 v6, 0x80000000, v6
	s_delay_alu instid0(VALU_DEP_1)
	v_or3_b32 v4, v7, v6, v4
.LBB372_2174:                           ;   in Loop: Header=BB372_2086 Depth=1
	s_or_b32 exec_lo, exec_lo, s18
.LBB372_2175:                           ;   in Loop: Header=BB372_2086 Depth=1
	s_delay_alu instid0(SALU_CYCLE_1)
	s_or_b32 exec_lo, exec_lo, s17
.LBB372_2176:                           ;   in Loop: Header=BB372_2086 Depth=1
	s_delay_alu instid0(SALU_CYCLE_1) | instskip(NEXT) | instid1(SALU_CYCLE_1)
	s_or_b32 exec_lo, exec_lo, s16
	s_mov_b32 s16, exec_lo
	v_cmpx_lt_u32_e32 0xffffff, v80
	s_cbranch_execz .LBB372_2184
; %bb.2177:                             ;   in Loop: Header=BB372_2086 Depth=1
	v_lshrrev_b32_e32 v6, 24, v80
	v_bfrev_b32_e32 v5, 1
	s_mov_b32 s17, exec_lo
	s_delay_alu instid0(VALU_DEP_2)
	v_cmpx_ne_u32_e32 0x80, v6
	s_cbranch_execz .LBB372_2183
; %bb.2178:                             ;   in Loop: Header=BB372_2086 Depth=1
	v_bfe_u32 v7, v80, 24, 7
	v_mov_b32_e32 v5, 0x7f800001
	s_mov_b32 s18, exec_lo
	s_delay_alu instid0(VALU_DEP_2)
	v_cmpx_ne_u32_e32 0x7f, v7
	s_cbranch_execz .LBB372_2182
; %bb.2179:                             ;   in Loop: Header=BB372_2086 Depth=1
	v_dual_lshrrev_b32 v5, 3, v7 :: v_dual_bitop2_b32 v22, 7, v6 bitop3:0x40
	s_mov_b32 s19, exec_lo
	s_delay_alu instid0(VALU_DEP_1)
	v_mov_b64_e32 v[82:83], v[22:23]
	v_cmpx_gt_u32_e32 8, v7
; %bb.2180:                             ;   in Loop: Header=BB372_2086 Depth=1
	v_clz_i32_u32_e32 v5, v22
	s_delay_alu instid0(VALU_DEP_1) | instskip(NEXT) | instid1(VALU_DEP_1)
	v_min_u32_e32 v5, 32, v5
	v_subrev_nc_u32_e32 v7, 28, v5
	s_delay_alu instid0(VALU_DEP_1) | instskip(NEXT) | instid1(VALU_DEP_1)
	v_lshlrev_b64_e32 v[8:9], v7, v[22:23]
	v_dual_sub_nc_u32 v5, 29, v5 :: v_dual_bitop2_b32 v82, 7, v8 bitop3:0x40
; %bb.2181:                             ;   in Loop: Header=BB372_2086 Depth=1
	s_or_b32 exec_lo, exec_lo, s19
	v_lshlrev_b32_e32 v6, 24, v6
	s_delay_alu instid0(VALU_DEP_2) | instskip(NEXT) | instid1(VALU_DEP_3)
	v_lshlrev_b32_e32 v7, 20, v82
	v_lshl_add_u32 v5, v5, 23, 0x3c000000
	s_delay_alu instid0(VALU_DEP_3) | instskip(NEXT) | instid1(VALU_DEP_1)
	v_and_b32_e32 v6, 0x80000000, v6
	v_or3_b32 v5, v7, v6, v5
.LBB372_2182:                           ;   in Loop: Header=BB372_2086 Depth=1
	s_or_b32 exec_lo, exec_lo, s18
.LBB372_2183:                           ;   in Loop: Header=BB372_2086 Depth=1
	s_delay_alu instid0(SALU_CYCLE_1)
	s_or_b32 exec_lo, exec_lo, s17
.LBB372_2184:                           ;   in Loop: Header=BB372_2086 Depth=1
	s_delay_alu instid0(SALU_CYCLE_1) | instskip(SKIP_4) | instid1(VALU_DEP_3)
	s_or_b32 exec_lo, exec_lo, s16
	v_and_b32_e32 v8, 0xff, v81
	v_dual_mov_b32 v22, v81 :: v_dual_mov_b32 v7, 0
	v_mov_b32_e32 v6, 0
	s_mov_b32 s16, exec_lo
	v_cmpx_ne_u16_e32 0, v8
	s_cbranch_execz .LBB372_2192
; %bb.2185:                             ;   in Loop: Header=BB372_2086 Depth=1
	v_bfrev_b32_e32 v6, 1
	s_mov_b32 s17, exec_lo
	v_cmpx_ne_u16_e32 0x80, v8
	s_cbranch_execz .LBB372_2191
; %bb.2186:                             ;   in Loop: Header=BB372_2086 Depth=1
	v_and_b32_e32 v8, 0x7f, v81
	v_mov_b32_e32 v6, 0x7f800001
	s_mov_b32 s18, exec_lo
	s_delay_alu instid0(VALU_DEP_2)
	v_cmpx_ne_u32_e32 0x7f, v8
	s_cbranch_execz .LBB372_2190
; %bb.2187:                             ;   in Loop: Header=BB372_2086 Depth=1
	v_mov_b64_e32 v[82:83], v[22:23]
	v_lshrrev_b32_e32 v6, 3, v8
	s_mov_b32 s19, exec_lo
	v_cmpx_gt_u32_e32 8, v8
; %bb.2188:                             ;   in Loop: Header=BB372_2086 Depth=1
	v_and_b32_e32 v6, 7, v81
	s_delay_alu instid0(VALU_DEP_1) | instskip(NEXT) | instid1(VALU_DEP_1)
	v_clz_i32_u32_e32 v6, v6
	v_min_u32_e32 v6, 32, v6
	s_delay_alu instid0(VALU_DEP_1) | instskip(SKIP_1) | instid1(VALU_DEP_2)
	v_subrev_nc_u32_e32 v8, 28, v6
	v_sub_nc_u32_e32 v6, 29, v6
	v_lshlrev_b64_e32 v[82:83], v8, v[22:23]
; %bb.2189:                             ;   in Loop: Header=BB372_2086 Depth=1
	s_or_b32 exec_lo, exec_lo, s19
	s_delay_alu instid0(VALU_DEP_1) | instskip(SKIP_2) | instid1(VALU_DEP_3)
	v_lshlrev_b32_e32 v8, 20, v82
	v_lshlrev_b32_e32 v9, 24, v22
	v_lshl_add_u32 v6, v6, 23, 0x3c000000
	v_and_b32_e32 v8, 0x700000, v8
	s_delay_alu instid0(VALU_DEP_3) | instskip(NEXT) | instid1(VALU_DEP_1)
	v_and_b32_e32 v9, 0x80000000, v9
	v_or3_b32 v6, v8, v9, v6
.LBB372_2190:                           ;   in Loop: Header=BB372_2086 Depth=1
	s_or_b32 exec_lo, exec_lo, s18
.LBB372_2191:                           ;   in Loop: Header=BB372_2086 Depth=1
	s_delay_alu instid0(SALU_CYCLE_1)
	s_or_b32 exec_lo, exec_lo, s17
.LBB372_2192:                           ;   in Loop: Header=BB372_2086 Depth=1
	s_delay_alu instid0(SALU_CYCLE_1) | instskip(SKIP_2) | instid1(VALU_DEP_1)
	s_or_b32 exec_lo, exec_lo, s16
	v_lshrrev_b16 v8, 8, v22
	s_mov_b32 s16, exec_lo
	v_cmpx_ne_u16_e32 0, v8
	s_cbranch_execz .LBB372_2200
; %bb.2193:                             ;   in Loop: Header=BB372_2086 Depth=1
	v_bfrev_b32_e32 v7, 1
	s_mov_b32 s17, exec_lo
	v_cmpx_ne_u16_e32 0x80, v8
	s_cbranch_execz .LBB372_2199
; %bb.2194:                             ;   in Loop: Header=BB372_2086 Depth=1
	v_and_b32_e32 v9, 0xffff, v8
	v_mov_b32_e32 v7, 0x7f800001
	s_mov_b32 s18, exec_lo
	s_delay_alu instid0(VALU_DEP_2) | instskip(NEXT) | instid1(VALU_DEP_1)
	v_and_b32_e32 v8, 0x7f, v9
	v_cmpx_ne_u32_e32 0x7f, v8
	s_cbranch_execz .LBB372_2198
; %bb.2195:                             ;   in Loop: Header=BB372_2086 Depth=1
	v_dual_mov_b32 v83, v23 :: v_dual_bitop2_b32 v82, 7, v9 bitop3:0x40
	v_lshrrev_b32_e32 v7, 3, v8
	s_mov_b32 s19, exec_lo
	v_cmpx_gt_u32_e32 8, v8
; %bb.2196:                             ;   in Loop: Header=BB372_2086 Depth=1
	s_delay_alu instid0(VALU_DEP_3) | instskip(NEXT) | instid1(VALU_DEP_1)
	v_clz_i32_u32_e32 v7, v82
	v_min_u32_e32 v7, 32, v7
	s_delay_alu instid0(VALU_DEP_1) | instskip(NEXT) | instid1(VALU_DEP_1)
	v_subrev_nc_u32_e32 v8, 28, v7
	v_lshlrev_b64_e32 v[8:9], v8, v[82:83]
	s_delay_alu instid0(VALU_DEP_1)
	v_dual_sub_nc_u32 v7, 29, v7 :: v_dual_bitop2_b32 v82, 7, v8 bitop3:0x40
; %bb.2197:                             ;   in Loop: Header=BB372_2086 Depth=1
	s_or_b32 exec_lo, exec_lo, s19
	v_lshlrev_b32_e32 v8, 16, v22
	s_delay_alu instid0(VALU_DEP_2) | instskip(NEXT) | instid1(VALU_DEP_3)
	v_lshlrev_b32_e32 v9, 20, v82
	v_lshl_add_u32 v7, v7, 23, 0x3c000000
	s_delay_alu instid0(VALU_DEP_3) | instskip(NEXT) | instid1(VALU_DEP_1)
	v_and_b32_e32 v8, 0x80000000, v8
	v_or3_b32 v7, v9, v8, v7
.LBB372_2198:                           ;   in Loop: Header=BB372_2086 Depth=1
	s_or_b32 exec_lo, exec_lo, s18
.LBB372_2199:                           ;   in Loop: Header=BB372_2086 Depth=1
	s_delay_alu instid0(SALU_CYCLE_1)
	s_or_b32 exec_lo, exec_lo, s17
.LBB372_2200:                           ;   in Loop: Header=BB372_2086 Depth=1
	s_delay_alu instid0(SALU_CYCLE_1) | instskip(SKIP_3) | instid1(VALU_DEP_2)
	s_or_b32 exec_lo, exec_lo, s16
	v_dual_lshrrev_b32 v10, 16, v81 :: v_dual_mov_b32 v8, 0
	v_mov_b32_e32 v9, 0
	s_mov_b32 s16, exec_lo
	v_and_b32_e32 v11, 0xff, v10
	s_delay_alu instid0(VALU_DEP_1)
	v_cmpx_ne_u16_e32 0, v11
	s_cbranch_execz .LBB372_2208
; %bb.2201:                             ;   in Loop: Header=BB372_2086 Depth=1
	v_bfrev_b32_e32 v9, 1
	s_mov_b32 s17, exec_lo
	v_cmpx_ne_u16_e32 0x80, v11
	s_cbranch_execz .LBB372_2207
; %bb.2202:                             ;   in Loop: Header=BB372_2086 Depth=1
	v_bfe_u32 v11, v81, 16, 7
	v_mov_b32_e32 v9, 0x7f800001
	s_mov_b32 s18, exec_lo
	s_delay_alu instid0(VALU_DEP_2)
	v_cmpx_ne_u32_e32 0x7f, v11
	s_cbranch_execz .LBB372_2206
; %bb.2203:                             ;   in Loop: Header=BB372_2086 Depth=1
	v_dual_lshrrev_b32 v9, 3, v11 :: v_dual_bitop2_b32 v22, 7, v10 bitop3:0x40
	s_mov_b32 s19, exec_lo
	s_delay_alu instid0(VALU_DEP_1)
	v_mov_b64_e32 v[82:83], v[22:23]
	v_cmpx_gt_u32_e32 8, v11
; %bb.2204:                             ;   in Loop: Header=BB372_2086 Depth=1
	v_clz_i32_u32_e32 v9, v22
	s_delay_alu instid0(VALU_DEP_1) | instskip(NEXT) | instid1(VALU_DEP_1)
	v_min_u32_e32 v9, 32, v9
	v_subrev_nc_u32_e32 v11, 28, v9
	s_delay_alu instid0(VALU_DEP_1) | instskip(NEXT) | instid1(VALU_DEP_1)
	v_lshlrev_b64_e32 v[64:65], v11, v[22:23]
	v_dual_sub_nc_u32 v9, 29, v9 :: v_dual_bitop2_b32 v82, 7, v64 bitop3:0x40
; %bb.2205:                             ;   in Loop: Header=BB372_2086 Depth=1
	s_or_b32 exec_lo, exec_lo, s19
	v_lshlrev_b32_e32 v10, 24, v10
	s_delay_alu instid0(VALU_DEP_2) | instskip(NEXT) | instid1(VALU_DEP_3)
	v_lshlrev_b32_e32 v11, 20, v82
	v_lshl_add_u32 v9, v9, 23, 0x3c000000
	s_delay_alu instid0(VALU_DEP_3) | instskip(NEXT) | instid1(VALU_DEP_1)
	v_and_b32_e32 v10, 0x80000000, v10
	v_or3_b32 v9, v11, v10, v9
.LBB372_2206:                           ;   in Loop: Header=BB372_2086 Depth=1
	s_or_b32 exec_lo, exec_lo, s18
.LBB372_2207:                           ;   in Loop: Header=BB372_2086 Depth=1
	s_delay_alu instid0(SALU_CYCLE_1)
	s_or_b32 exec_lo, exec_lo, s17
.LBB372_2208:                           ;   in Loop: Header=BB372_2086 Depth=1
	s_delay_alu instid0(SALU_CYCLE_1) | instskip(NEXT) | instid1(SALU_CYCLE_1)
	s_or_b32 exec_lo, exec_lo, s16
	s_mov_b32 s16, exec_lo
	v_cmpx_lt_u64_e64 s[2:3], v[80:81]
	s_cbranch_execz .LBB372_2216
; %bb.2209:                             ;   in Loop: Header=BB372_2086 Depth=1
	v_lshrrev_b32_e32 v10, 24, v81
	v_bfrev_b32_e32 v8, 1
	s_mov_b32 s17, exec_lo
	s_delay_alu instid0(VALU_DEP_2)
	v_cmpx_ne_u32_e32 0x80, v10
	s_cbranch_execz .LBB372_2215
; %bb.2210:                             ;   in Loop: Header=BB372_2086 Depth=1
	v_bfe_u32 v11, v81, 24, 7
	v_mov_b32_e32 v8, 0x7f800001
	s_mov_b32 s18, exec_lo
	s_delay_alu instid0(VALU_DEP_2)
	v_cmpx_ne_u32_e32 0x7f, v11
	s_cbranch_execz .LBB372_2214
; %bb.2211:                             ;   in Loop: Header=BB372_2086 Depth=1
	v_dual_lshrrev_b32 v8, 3, v11 :: v_dual_bitop2_b32 v22, 7, v10 bitop3:0x40
	s_mov_b32 s19, exec_lo
	s_delay_alu instid0(VALU_DEP_1)
	v_mov_b64_e32 v[80:81], v[22:23]
	v_cmpx_gt_u32_e32 8, v11
; %bb.2212:                             ;   in Loop: Header=BB372_2086 Depth=1
	v_clz_i32_u32_e32 v8, v22
	s_delay_alu instid0(VALU_DEP_1) | instskip(NEXT) | instid1(VALU_DEP_1)
	v_min_u32_e32 v8, 32, v8
	v_subrev_nc_u32_e32 v11, 28, v8
	v_sub_nc_u32_e32 v8, 29, v8
	s_delay_alu instid0(VALU_DEP_2) | instskip(NEXT) | instid1(VALU_DEP_1)
	v_lshlrev_b64_e32 v[64:65], v11, v[22:23]
	v_and_b32_e32 v80, 7, v64
; %bb.2213:                             ;   in Loop: Header=BB372_2086 Depth=1
	s_or_b32 exec_lo, exec_lo, s19
	s_delay_alu instid0(VALU_DEP_1) | instskip(SKIP_1) | instid1(VALU_DEP_2)
	v_dual_lshlrev_b32 v10, 24, v10 :: v_dual_lshlrev_b32 v11, 20, v80
	v_lshl_add_u32 v8, v8, 23, 0x3c000000
	v_and_b32_e32 v10, 0x80000000, v10
	s_delay_alu instid0(VALU_DEP_1)
	v_or3_b32 v8, v11, v10, v8
.LBB372_2214:                           ;   in Loop: Header=BB372_2086 Depth=1
	s_or_b32 exec_lo, exec_lo, s18
.LBB372_2215:                           ;   in Loop: Header=BB372_2086 Depth=1
	s_delay_alu instid0(SALU_CYCLE_1)
	s_or_b32 exec_lo, exec_lo, s17
.LBB372_2216:                           ;   in Loop: Header=BB372_2086 Depth=1
	s_delay_alu instid0(SALU_CYCLE_1)
	s_or_b32 exec_lo, exec_lo, s16
	v_fma_mixlo_bf16 v2, v86, v2, 0
	v_fma_mixlo_bf16 v7, v86, v7, 0
	;; [unrolled: 1-line block ×5, first 2 shown]
	scratch_store_b32 off, v2, s32 offset:316 ; 4-byte Folded Spill
	s_wait_xcnt 0x0
	v_fma_mixlo_bf16 v2, v86, v9, 0
	s_clause 0x1
	scratch_store_b32 off, v7, s32 offset:260
	scratch_store_b32 off, v6, s32 offset:268
	v_fma_mixlo_bf16 v3, v86, v3, 0
	s_clause 0x1
	scratch_store_b32 off, v5, s32 offset:292
	scratch_store_b32 off, v2, s32 offset:276
	s_wait_xcnt 0x0
	v_fma_mixlo_bf16 v2, v86, v8, 0
	s_clause 0x2
	scratch_store_b32 off, v4, s32 offset:300
	scratch_store_b32 off, v3, s32 offset:308
	;; [unrolled: 1-line block ×3, first 2 shown]
	s_wait_xcnt 0x0
	s_and_saveexec_b32 s16, vcc_lo
	s_cbranch_execz .LBB372_2218
; %bb.2217:                             ;   in Loop: Header=BB372_2086 Depth=1
	s_clause 0x1
	scratch_load_b32 v2, off, s32 offset:192
	scratch_load_b32 v3, off, s32 offset:316
	s_wait_loadcnt 0x1
	v_cmp_lt_i32_e64 s0, v63, v2
	s_wait_loadcnt 0x0
	s_delay_alu instid0(VALU_DEP_1)
	v_cndmask_b32_e64 v3, 0, v3, s0
	v_cmp_lt_i32_e64 s0, v95, v2
	s_clause 0x1
	scratch_store_b32 off, v3, s32 offset:316
	scratch_load_b32 v3, off, s32 offset:308
	s_wait_loadcnt 0x0
	v_cndmask_b32_e64 v3, 0, v3, s0
	v_cmp_lt_i32_e64 s0, v94, v2
	s_clause 0x1
	scratch_store_b32 off, v3, s32 offset:308
	scratch_load_b32 v3, off, s32 offset:300
	s_wait_loadcnt 0x0
	;; [unrolled: 6-line block ×6, first 2 shown]
	v_cndmask_b32_e64 v3, 0, v3, s0
	v_cmp_lt_i32_e64 s0, v89, v2
	scratch_load_b32 v2, off, s32 offset:284 ; 4-byte Folded Reload
	s_wait_loadcnt 0x0
	v_cndmask_b32_e64 v2, 0, v2, s0
	s_clause 0x1
	scratch_store_b32 off, v3, s32 offset:276
	scratch_store_b32 off, v2, s32 offset:284
.LBB372_2218:                           ;   in Loop: Header=BB372_2086 Depth=1
	s_wait_xcnt 0x0
	s_or_b32 exec_lo, exec_lo, s16
	flat_load_b64 v[80:81], v[18:19] offset:512
	v_dual_mov_b32 v3, 0 :: v_dual_mov_b32 v2, 0
	s_mov_b32 s16, exec_lo
	s_wait_loadcnt_dscnt 0x0
	v_and_b32_e32 v4, 0xff, v80
	s_wait_xcnt 0x0
	s_delay_alu instid0(VALU_DEP_1)
	v_cmpx_ne_u16_e32 0, v4
	s_cbranch_execz .LBB372_2226
; %bb.2219:                             ;   in Loop: Header=BB372_2086 Depth=1
	v_bfrev_b32_e32 v2, 1
	s_mov_b32 s17, exec_lo
	v_cmpx_ne_u16_e32 0x80, v4
	s_cbranch_execz .LBB372_2225
; %bb.2220:                             ;   in Loop: Header=BB372_2086 Depth=1
	v_and_b32_e32 v4, 0x7f, v80
	v_mov_b32_e32 v2, 0x7f800001
	s_mov_b32 s18, exec_lo
	s_delay_alu instid0(VALU_DEP_2)
	v_cmpx_ne_u32_e32 0x7f, v4
	s_cbranch_execz .LBB372_2224
; %bb.2221:                             ;   in Loop: Header=BB372_2086 Depth=1
	v_mov_b64_e32 v[82:83], v[80:81]
	v_lshrrev_b32_e32 v2, 3, v4
	s_mov_b32 s19, exec_lo
	v_cmpx_gt_u32_e32 8, v4
; %bb.2222:                             ;   in Loop: Header=BB372_2086 Depth=1
	v_and_b32_e32 v2, 7, v80
	s_delay_alu instid0(VALU_DEP_1) | instskip(NEXT) | instid1(VALU_DEP_1)
	v_clz_i32_u32_e32 v2, v2
	v_min_u32_e32 v2, 32, v2
	s_delay_alu instid0(VALU_DEP_1) | instskip(SKIP_1) | instid1(VALU_DEP_2)
	v_subrev_nc_u32_e32 v4, 28, v2
	v_sub_nc_u32_e32 v2, 29, v2
	v_lshlrev_b64_e32 v[82:83], v4, v[80:81]
; %bb.2223:                             ;   in Loop: Header=BB372_2086 Depth=1
	s_or_b32 exec_lo, exec_lo, s19
	s_delay_alu instid0(VALU_DEP_1) | instskip(NEXT) | instid1(VALU_DEP_3)
	v_dual_lshlrev_b32 v4, 20, v82 :: v_dual_lshlrev_b32 v5, 24, v80
	v_lshl_add_u32 v2, v2, 23, 0x3c000000
	s_delay_alu instid0(VALU_DEP_2) | instskip(NEXT) | instid1(VALU_DEP_3)
	v_and_b32_e32 v4, 0x700000, v4
	v_and_b32_e32 v5, 0x80000000, v5
	s_delay_alu instid0(VALU_DEP_1)
	v_or3_b32 v2, v4, v5, v2
.LBB372_2224:                           ;   in Loop: Header=BB372_2086 Depth=1
	s_or_b32 exec_lo, exec_lo, s18
.LBB372_2225:                           ;   in Loop: Header=BB372_2086 Depth=1
	s_delay_alu instid0(SALU_CYCLE_1)
	s_or_b32 exec_lo, exec_lo, s17
.LBB372_2226:                           ;   in Loop: Header=BB372_2086 Depth=1
	s_delay_alu instid0(SALU_CYCLE_1) | instskip(SKIP_2) | instid1(VALU_DEP_1)
	s_or_b32 exec_lo, exec_lo, s16
	v_lshrrev_b16 v4, 8, v80
	s_mov_b32 s16, exec_lo
	v_cmpx_ne_u16_e32 0, v4
	s_cbranch_execz .LBB372_2234
; %bb.2227:                             ;   in Loop: Header=BB372_2086 Depth=1
	v_bfrev_b32_e32 v3, 1
	s_mov_b32 s17, exec_lo
	v_cmpx_ne_u16_e32 0x80, v4
	s_cbranch_execz .LBB372_2233
; %bb.2228:                             ;   in Loop: Header=BB372_2086 Depth=1
	v_and_b32_e32 v5, 0xffff, v4
	v_mov_b32_e32 v3, 0x7f800001
	s_mov_b32 s18, exec_lo
	s_delay_alu instid0(VALU_DEP_2) | instskip(NEXT) | instid1(VALU_DEP_1)
	v_and_b32_e32 v4, 0x7f, v5
	v_cmpx_ne_u32_e32 0x7f, v4
	s_cbranch_execz .LBB372_2232
; %bb.2229:                             ;   in Loop: Header=BB372_2086 Depth=1
	v_dual_lshrrev_b32 v3, 3, v4 :: v_dual_bitop2_b32 v22, 7, v5 bitop3:0x40
	s_mov_b32 s19, exec_lo
	s_delay_alu instid0(VALU_DEP_1)
	v_mov_b64_e32 v[82:83], v[22:23]
	v_cmpx_gt_u32_e32 8, v4
; %bb.2230:                             ;   in Loop: Header=BB372_2086 Depth=1
	v_clz_i32_u32_e32 v3, v22
	s_delay_alu instid0(VALU_DEP_1) | instskip(NEXT) | instid1(VALU_DEP_1)
	v_min_u32_e32 v3, 32, v3
	v_subrev_nc_u32_e32 v4, 28, v3
	s_delay_alu instid0(VALU_DEP_1) | instskip(NEXT) | instid1(VALU_DEP_1)
	v_lshlrev_b64_e32 v[4:5], v4, v[22:23]
	v_dual_sub_nc_u32 v3, 29, v3 :: v_dual_bitop2_b32 v82, 7, v4 bitop3:0x40
; %bb.2231:                             ;   in Loop: Header=BB372_2086 Depth=1
	s_or_b32 exec_lo, exec_lo, s19
	s_delay_alu instid0(VALU_DEP_1) | instskip(NEXT) | instid1(VALU_DEP_2)
	v_dual_lshlrev_b32 v4, 16, v80 :: v_dual_lshlrev_b32 v5, 20, v82
	v_lshl_add_u32 v3, v3, 23, 0x3c000000
	s_delay_alu instid0(VALU_DEP_2) | instskip(NEXT) | instid1(VALU_DEP_1)
	v_and_b32_e32 v4, 0x80000000, v4
	v_or3_b32 v3, v5, v4, v3
.LBB372_2232:                           ;   in Loop: Header=BB372_2086 Depth=1
	s_or_b32 exec_lo, exec_lo, s18
.LBB372_2233:                           ;   in Loop: Header=BB372_2086 Depth=1
	s_delay_alu instid0(SALU_CYCLE_1)
	s_or_b32 exec_lo, exec_lo, s17
.LBB372_2234:                           ;   in Loop: Header=BB372_2086 Depth=1
	s_delay_alu instid0(SALU_CYCLE_1) | instskip(SKIP_3) | instid1(VALU_DEP_2)
	s_or_b32 exec_lo, exec_lo, s16
	v_dual_mov_b32 v5, 0 :: v_dual_lshrrev_b32 v6, 16, v80
	v_mov_b32_e32 v4, 0
	s_mov_b32 s16, exec_lo
	v_and_b32_e32 v7, 0xff, v6
	s_delay_alu instid0(VALU_DEP_1)
	v_cmpx_ne_u16_e32 0, v7
	s_cbranch_execz .LBB372_2242
; %bb.2235:                             ;   in Loop: Header=BB372_2086 Depth=1
	v_bfrev_b32_e32 v4, 1
	s_mov_b32 s17, exec_lo
	v_cmpx_ne_u16_e32 0x80, v7
	s_cbranch_execz .LBB372_2241
; %bb.2236:                             ;   in Loop: Header=BB372_2086 Depth=1
	v_bfe_u32 v7, v80, 16, 7
	v_mov_b32_e32 v4, 0x7f800001
	s_mov_b32 s18, exec_lo
	s_delay_alu instid0(VALU_DEP_2)
	v_cmpx_ne_u32_e32 0x7f, v7
	s_cbranch_execz .LBB372_2240
; %bb.2237:                             ;   in Loop: Header=BB372_2086 Depth=1
	v_dual_lshrrev_b32 v4, 3, v7 :: v_dual_bitop2_b32 v22, 7, v6 bitop3:0x40
	s_mov_b32 s19, exec_lo
	s_delay_alu instid0(VALU_DEP_1)
	v_mov_b64_e32 v[82:83], v[22:23]
	v_cmpx_gt_u32_e32 8, v7
; %bb.2238:                             ;   in Loop: Header=BB372_2086 Depth=1
	v_clz_i32_u32_e32 v4, v22
	s_delay_alu instid0(VALU_DEP_1) | instskip(NEXT) | instid1(VALU_DEP_1)
	v_min_u32_e32 v4, 32, v4
	v_subrev_nc_u32_e32 v7, 28, v4
	v_sub_nc_u32_e32 v4, 29, v4
	s_delay_alu instid0(VALU_DEP_2) | instskip(NEXT) | instid1(VALU_DEP_1)
	v_lshlrev_b64_e32 v[8:9], v7, v[22:23]
	v_and_b32_e32 v82, 7, v8
; %bb.2239:                             ;   in Loop: Header=BB372_2086 Depth=1
	s_or_b32 exec_lo, exec_lo, s19
	v_lshlrev_b32_e32 v6, 24, v6
	s_delay_alu instid0(VALU_DEP_2) | instskip(SKIP_1) | instid1(VALU_DEP_3)
	v_lshlrev_b32_e32 v7, 20, v82
	v_lshl_add_u32 v4, v4, 23, 0x3c000000
	v_and_b32_e32 v6, 0x80000000, v6
	s_delay_alu instid0(VALU_DEP_1)
	v_or3_b32 v4, v7, v6, v4
.LBB372_2240:                           ;   in Loop: Header=BB372_2086 Depth=1
	s_or_b32 exec_lo, exec_lo, s18
.LBB372_2241:                           ;   in Loop: Header=BB372_2086 Depth=1
	s_delay_alu instid0(SALU_CYCLE_1)
	s_or_b32 exec_lo, exec_lo, s17
.LBB372_2242:                           ;   in Loop: Header=BB372_2086 Depth=1
	s_delay_alu instid0(SALU_CYCLE_1) | instskip(NEXT) | instid1(SALU_CYCLE_1)
	s_or_b32 exec_lo, exec_lo, s16
	s_mov_b32 s16, exec_lo
	v_cmpx_lt_u32_e32 0xffffff, v80
	s_cbranch_execz .LBB372_2250
; %bb.2243:                             ;   in Loop: Header=BB372_2086 Depth=1
	v_lshrrev_b32_e32 v6, 24, v80
	v_bfrev_b32_e32 v5, 1
	s_mov_b32 s17, exec_lo
	s_delay_alu instid0(VALU_DEP_2)
	v_cmpx_ne_u32_e32 0x80, v6
	s_cbranch_execz .LBB372_2249
; %bb.2244:                             ;   in Loop: Header=BB372_2086 Depth=1
	v_bfe_u32 v7, v80, 24, 7
	v_mov_b32_e32 v5, 0x7f800001
	s_mov_b32 s18, exec_lo
	s_delay_alu instid0(VALU_DEP_2)
	v_cmpx_ne_u32_e32 0x7f, v7
	s_cbranch_execz .LBB372_2248
; %bb.2245:                             ;   in Loop: Header=BB372_2086 Depth=1
	v_dual_lshrrev_b32 v5, 3, v7 :: v_dual_bitop2_b32 v22, 7, v6 bitop3:0x40
	s_mov_b32 s19, exec_lo
	s_delay_alu instid0(VALU_DEP_1)
	v_mov_b64_e32 v[82:83], v[22:23]
	v_cmpx_gt_u32_e32 8, v7
; %bb.2246:                             ;   in Loop: Header=BB372_2086 Depth=1
	v_clz_i32_u32_e32 v5, v22
	s_delay_alu instid0(VALU_DEP_1) | instskip(NEXT) | instid1(VALU_DEP_1)
	v_min_u32_e32 v5, 32, v5
	v_subrev_nc_u32_e32 v7, 28, v5
	s_delay_alu instid0(VALU_DEP_1) | instskip(NEXT) | instid1(VALU_DEP_1)
	v_lshlrev_b64_e32 v[8:9], v7, v[22:23]
	v_dual_sub_nc_u32 v5, 29, v5 :: v_dual_bitop2_b32 v82, 7, v8 bitop3:0x40
; %bb.2247:                             ;   in Loop: Header=BB372_2086 Depth=1
	s_or_b32 exec_lo, exec_lo, s19
	v_lshlrev_b32_e32 v6, 24, v6
	s_delay_alu instid0(VALU_DEP_2) | instskip(NEXT) | instid1(VALU_DEP_3)
	v_lshlrev_b32_e32 v7, 20, v82
	v_lshl_add_u32 v5, v5, 23, 0x3c000000
	s_delay_alu instid0(VALU_DEP_3) | instskip(NEXT) | instid1(VALU_DEP_1)
	v_and_b32_e32 v6, 0x80000000, v6
	v_or3_b32 v5, v7, v6, v5
.LBB372_2248:                           ;   in Loop: Header=BB372_2086 Depth=1
	s_or_b32 exec_lo, exec_lo, s18
.LBB372_2249:                           ;   in Loop: Header=BB372_2086 Depth=1
	s_delay_alu instid0(SALU_CYCLE_1)
	s_or_b32 exec_lo, exec_lo, s17
.LBB372_2250:                           ;   in Loop: Header=BB372_2086 Depth=1
	s_delay_alu instid0(SALU_CYCLE_1) | instskip(SKIP_4) | instid1(VALU_DEP_3)
	s_or_b32 exec_lo, exec_lo, s16
	v_and_b32_e32 v8, 0xff, v81
	v_dual_mov_b32 v22, v81 :: v_dual_mov_b32 v7, 0
	v_mov_b32_e32 v6, 0
	s_mov_b32 s16, exec_lo
	v_cmpx_ne_u16_e32 0, v8
	s_cbranch_execz .LBB372_2258
; %bb.2251:                             ;   in Loop: Header=BB372_2086 Depth=1
	v_bfrev_b32_e32 v6, 1
	s_mov_b32 s17, exec_lo
	v_cmpx_ne_u16_e32 0x80, v8
	s_cbranch_execz .LBB372_2257
; %bb.2252:                             ;   in Loop: Header=BB372_2086 Depth=1
	v_and_b32_e32 v8, 0x7f, v81
	v_mov_b32_e32 v6, 0x7f800001
	s_mov_b32 s18, exec_lo
	s_delay_alu instid0(VALU_DEP_2)
	v_cmpx_ne_u32_e32 0x7f, v8
	s_cbranch_execz .LBB372_2256
; %bb.2253:                             ;   in Loop: Header=BB372_2086 Depth=1
	v_mov_b64_e32 v[82:83], v[22:23]
	v_lshrrev_b32_e32 v6, 3, v8
	s_mov_b32 s19, exec_lo
	v_cmpx_gt_u32_e32 8, v8
; %bb.2254:                             ;   in Loop: Header=BB372_2086 Depth=1
	v_and_b32_e32 v6, 7, v81
	s_delay_alu instid0(VALU_DEP_1) | instskip(NEXT) | instid1(VALU_DEP_1)
	v_clz_i32_u32_e32 v6, v6
	v_min_u32_e32 v6, 32, v6
	s_delay_alu instid0(VALU_DEP_1) | instskip(SKIP_1) | instid1(VALU_DEP_2)
	v_subrev_nc_u32_e32 v8, 28, v6
	v_sub_nc_u32_e32 v6, 29, v6
	v_lshlrev_b64_e32 v[82:83], v8, v[22:23]
; %bb.2255:                             ;   in Loop: Header=BB372_2086 Depth=1
	s_or_b32 exec_lo, exec_lo, s19
	s_delay_alu instid0(VALU_DEP_1) | instskip(SKIP_2) | instid1(VALU_DEP_3)
	v_lshlrev_b32_e32 v8, 20, v82
	v_lshlrev_b32_e32 v9, 24, v22
	v_lshl_add_u32 v6, v6, 23, 0x3c000000
	v_and_b32_e32 v8, 0x700000, v8
	s_delay_alu instid0(VALU_DEP_3) | instskip(NEXT) | instid1(VALU_DEP_1)
	v_and_b32_e32 v9, 0x80000000, v9
	v_or3_b32 v6, v8, v9, v6
.LBB372_2256:                           ;   in Loop: Header=BB372_2086 Depth=1
	s_or_b32 exec_lo, exec_lo, s18
.LBB372_2257:                           ;   in Loop: Header=BB372_2086 Depth=1
	s_delay_alu instid0(SALU_CYCLE_1)
	s_or_b32 exec_lo, exec_lo, s17
.LBB372_2258:                           ;   in Loop: Header=BB372_2086 Depth=1
	s_delay_alu instid0(SALU_CYCLE_1) | instskip(SKIP_2) | instid1(VALU_DEP_1)
	s_or_b32 exec_lo, exec_lo, s16
	v_lshrrev_b16 v8, 8, v22
	s_mov_b32 s16, exec_lo
	v_cmpx_ne_u16_e32 0, v8
	s_cbranch_execz .LBB372_2266
; %bb.2259:                             ;   in Loop: Header=BB372_2086 Depth=1
	v_bfrev_b32_e32 v7, 1
	s_mov_b32 s17, exec_lo
	v_cmpx_ne_u16_e32 0x80, v8
	s_cbranch_execz .LBB372_2265
; %bb.2260:                             ;   in Loop: Header=BB372_2086 Depth=1
	v_and_b32_e32 v9, 0xffff, v8
	v_mov_b32_e32 v7, 0x7f800001
	s_mov_b32 s18, exec_lo
	s_delay_alu instid0(VALU_DEP_2) | instskip(NEXT) | instid1(VALU_DEP_1)
	v_and_b32_e32 v8, 0x7f, v9
	v_cmpx_ne_u32_e32 0x7f, v8
	s_cbranch_execz .LBB372_2264
; %bb.2261:                             ;   in Loop: Header=BB372_2086 Depth=1
	v_dual_mov_b32 v83, v23 :: v_dual_bitop2_b32 v82, 7, v9 bitop3:0x40
	v_lshrrev_b32_e32 v7, 3, v8
	s_mov_b32 s19, exec_lo
	v_cmpx_gt_u32_e32 8, v8
; %bb.2262:                             ;   in Loop: Header=BB372_2086 Depth=1
	s_delay_alu instid0(VALU_DEP_3) | instskip(NEXT) | instid1(VALU_DEP_1)
	v_clz_i32_u32_e32 v7, v82
	v_min_u32_e32 v7, 32, v7
	s_delay_alu instid0(VALU_DEP_1) | instskip(NEXT) | instid1(VALU_DEP_1)
	v_subrev_nc_u32_e32 v8, 28, v7
	v_lshlrev_b64_e32 v[8:9], v8, v[82:83]
	s_delay_alu instid0(VALU_DEP_1)
	v_dual_sub_nc_u32 v7, 29, v7 :: v_dual_bitop2_b32 v82, 7, v8 bitop3:0x40
; %bb.2263:                             ;   in Loop: Header=BB372_2086 Depth=1
	s_or_b32 exec_lo, exec_lo, s19
	v_lshlrev_b32_e32 v8, 16, v22
	s_delay_alu instid0(VALU_DEP_2) | instskip(NEXT) | instid1(VALU_DEP_3)
	v_lshlrev_b32_e32 v9, 20, v82
	v_lshl_add_u32 v7, v7, 23, 0x3c000000
	s_delay_alu instid0(VALU_DEP_3) | instskip(NEXT) | instid1(VALU_DEP_1)
	v_and_b32_e32 v8, 0x80000000, v8
	v_or3_b32 v7, v9, v8, v7
.LBB372_2264:                           ;   in Loop: Header=BB372_2086 Depth=1
	s_or_b32 exec_lo, exec_lo, s18
.LBB372_2265:                           ;   in Loop: Header=BB372_2086 Depth=1
	s_delay_alu instid0(SALU_CYCLE_1)
	s_or_b32 exec_lo, exec_lo, s17
.LBB372_2266:                           ;   in Loop: Header=BB372_2086 Depth=1
	s_delay_alu instid0(SALU_CYCLE_1) | instskip(SKIP_3) | instid1(VALU_DEP_2)
	s_or_b32 exec_lo, exec_lo, s16
	v_dual_lshrrev_b32 v10, 16, v81 :: v_dual_mov_b32 v8, 0
	v_mov_b32_e32 v9, 0
	s_mov_b32 s16, exec_lo
	v_and_b32_e32 v11, 0xff, v10
	s_delay_alu instid0(VALU_DEP_1)
	v_cmpx_ne_u16_e32 0, v11
	s_cbranch_execz .LBB372_2274
; %bb.2267:                             ;   in Loop: Header=BB372_2086 Depth=1
	v_bfrev_b32_e32 v9, 1
	s_mov_b32 s17, exec_lo
	v_cmpx_ne_u16_e32 0x80, v11
	s_cbranch_execz .LBB372_2273
; %bb.2268:                             ;   in Loop: Header=BB372_2086 Depth=1
	v_bfe_u32 v11, v81, 16, 7
	v_mov_b32_e32 v9, 0x7f800001
	s_mov_b32 s18, exec_lo
	s_delay_alu instid0(VALU_DEP_2)
	v_cmpx_ne_u32_e32 0x7f, v11
	s_cbranch_execz .LBB372_2272
; %bb.2269:                             ;   in Loop: Header=BB372_2086 Depth=1
	v_dual_lshrrev_b32 v9, 3, v11 :: v_dual_bitop2_b32 v22, 7, v10 bitop3:0x40
	s_mov_b32 s19, exec_lo
	s_delay_alu instid0(VALU_DEP_1)
	v_mov_b64_e32 v[82:83], v[22:23]
	v_cmpx_gt_u32_e32 8, v11
; %bb.2270:                             ;   in Loop: Header=BB372_2086 Depth=1
	v_clz_i32_u32_e32 v9, v22
	s_delay_alu instid0(VALU_DEP_1) | instskip(NEXT) | instid1(VALU_DEP_1)
	v_min_u32_e32 v9, 32, v9
	v_subrev_nc_u32_e32 v11, 28, v9
	s_delay_alu instid0(VALU_DEP_1) | instskip(NEXT) | instid1(VALU_DEP_1)
	v_lshlrev_b64_e32 v[64:65], v11, v[22:23]
	v_dual_sub_nc_u32 v9, 29, v9 :: v_dual_bitop2_b32 v82, 7, v64 bitop3:0x40
; %bb.2271:                             ;   in Loop: Header=BB372_2086 Depth=1
	s_or_b32 exec_lo, exec_lo, s19
	v_lshlrev_b32_e32 v10, 24, v10
	s_delay_alu instid0(VALU_DEP_2) | instskip(NEXT) | instid1(VALU_DEP_3)
	v_lshlrev_b32_e32 v11, 20, v82
	v_lshl_add_u32 v9, v9, 23, 0x3c000000
	s_delay_alu instid0(VALU_DEP_3) | instskip(NEXT) | instid1(VALU_DEP_1)
	v_and_b32_e32 v10, 0x80000000, v10
	v_or3_b32 v9, v11, v10, v9
.LBB372_2272:                           ;   in Loop: Header=BB372_2086 Depth=1
	s_or_b32 exec_lo, exec_lo, s18
.LBB372_2273:                           ;   in Loop: Header=BB372_2086 Depth=1
	s_delay_alu instid0(SALU_CYCLE_1)
	s_or_b32 exec_lo, exec_lo, s17
.LBB372_2274:                           ;   in Loop: Header=BB372_2086 Depth=1
	s_delay_alu instid0(SALU_CYCLE_1) | instskip(NEXT) | instid1(SALU_CYCLE_1)
	s_or_b32 exec_lo, exec_lo, s16
	s_mov_b32 s16, exec_lo
	v_cmpx_lt_u64_e64 s[2:3], v[80:81]
	s_cbranch_execz .LBB372_2282
; %bb.2275:                             ;   in Loop: Header=BB372_2086 Depth=1
	v_lshrrev_b32_e32 v10, 24, v81
	v_bfrev_b32_e32 v8, 1
	s_mov_b32 s17, exec_lo
	s_delay_alu instid0(VALU_DEP_2)
	v_cmpx_ne_u32_e32 0x80, v10
	s_cbranch_execz .LBB372_2281
; %bb.2276:                             ;   in Loop: Header=BB372_2086 Depth=1
	v_bfe_u32 v11, v81, 24, 7
	v_mov_b32_e32 v8, 0x7f800001
	s_mov_b32 s18, exec_lo
	s_delay_alu instid0(VALU_DEP_2)
	v_cmpx_ne_u32_e32 0x7f, v11
	s_cbranch_execz .LBB372_2280
; %bb.2277:                             ;   in Loop: Header=BB372_2086 Depth=1
	v_dual_lshrrev_b32 v8, 3, v11 :: v_dual_bitop2_b32 v22, 7, v10 bitop3:0x40
	s_mov_b32 s19, exec_lo
	s_delay_alu instid0(VALU_DEP_1)
	v_mov_b64_e32 v[80:81], v[22:23]
	v_cmpx_gt_u32_e32 8, v11
; %bb.2278:                             ;   in Loop: Header=BB372_2086 Depth=1
	v_clz_i32_u32_e32 v8, v22
	s_delay_alu instid0(VALU_DEP_1) | instskip(NEXT) | instid1(VALU_DEP_1)
	v_min_u32_e32 v8, 32, v8
	v_subrev_nc_u32_e32 v11, 28, v8
	v_sub_nc_u32_e32 v8, 29, v8
	s_delay_alu instid0(VALU_DEP_2) | instskip(NEXT) | instid1(VALU_DEP_1)
	v_lshlrev_b64_e32 v[64:65], v11, v[22:23]
	v_and_b32_e32 v80, 7, v64
; %bb.2279:                             ;   in Loop: Header=BB372_2086 Depth=1
	s_or_b32 exec_lo, exec_lo, s19
	s_delay_alu instid0(VALU_DEP_1) | instskip(SKIP_1) | instid1(VALU_DEP_2)
	v_dual_lshlrev_b32 v10, 24, v10 :: v_dual_lshlrev_b32 v11, 20, v80
	v_lshl_add_u32 v8, v8, 23, 0x3c000000
	v_and_b32_e32 v10, 0x80000000, v10
	s_delay_alu instid0(VALU_DEP_1)
	v_or3_b32 v8, v11, v10, v8
.LBB372_2280:                           ;   in Loop: Header=BB372_2086 Depth=1
	s_or_b32 exec_lo, exec_lo, s18
.LBB372_2281:                           ;   in Loop: Header=BB372_2086 Depth=1
	s_delay_alu instid0(SALU_CYCLE_1)
	s_or_b32 exec_lo, exec_lo, s17
.LBB372_2282:                           ;   in Loop: Header=BB372_2086 Depth=1
	s_delay_alu instid0(SALU_CYCLE_1)
	s_or_b32 exec_lo, exec_lo, s16
	v_fma_mixlo_bf16 v2, v86, v2, 0
	v_fma_mixlo_bf16 v7, v86, v7, 0
	;; [unrolled: 1-line block ×5, first 2 shown]
	scratch_store_b32 off, v2, s32 offset:380 ; 4-byte Folded Spill
	s_wait_xcnt 0x0
	v_fma_mixlo_bf16 v2, v86, v9, 0
	s_clause 0x1
	scratch_store_b32 off, v7, s32 offset:324
	scratch_store_b32 off, v6, s32 offset:332
	v_fma_mixlo_bf16 v3, v86, v3, 0
	s_clause 0x1
	scratch_store_b32 off, v5, s32 offset:356
	scratch_store_b32 off, v2, s32 offset:340
	s_wait_xcnt 0x0
	v_fma_mixlo_bf16 v2, v86, v8, 0
	s_clause 0x2
	scratch_store_b32 off, v4, s32 offset:364
	scratch_store_b32 off, v3, s32 offset:372
	;; [unrolled: 1-line block ×3, first 2 shown]
	s_wait_xcnt 0x0
	s_and_saveexec_b32 s16, vcc_lo
	s_cbranch_execz .LBB372_2284
; %bb.2283:                             ;   in Loop: Header=BB372_2086 Depth=1
	s_clause 0x1
	scratch_load_b32 v2, off, s32 offset:192
	scratch_load_b32 v3, off, s32 offset:380
	s_wait_loadcnt 0x1
	v_cmp_lt_i32_e64 s0, v63, v2
	s_wait_loadcnt 0x0
	s_delay_alu instid0(VALU_DEP_1)
	v_cndmask_b32_e64 v3, 0, v3, s0
	v_cmp_lt_i32_e64 s0, v95, v2
	s_clause 0x1
	scratch_store_b32 off, v3, s32 offset:380
	scratch_load_b32 v3, off, s32 offset:372
	s_wait_loadcnt 0x0
	v_cndmask_b32_e64 v3, 0, v3, s0
	v_cmp_lt_i32_e64 s0, v94, v2
	s_clause 0x1
	scratch_store_b32 off, v3, s32 offset:372
	scratch_load_b32 v3, off, s32 offset:364
	s_wait_loadcnt 0x0
	;; [unrolled: 6-line block ×6, first 2 shown]
	v_cndmask_b32_e64 v3, 0, v3, s0
	v_cmp_lt_i32_e64 s0, v89, v2
	scratch_load_b32 v2, off, s32 offset:348 ; 4-byte Folded Reload
	s_wait_loadcnt 0x0
	v_cndmask_b32_e64 v2, 0, v2, s0
	s_clause 0x1
	scratch_store_b32 off, v3, s32 offset:340
	scratch_store_b32 off, v2, s32 offset:348
.LBB372_2284:                           ;   in Loop: Header=BB372_2086 Depth=1
	s_wait_xcnt 0x0
	s_or_b32 exec_lo, exec_lo, s16
	flat_load_b64 v[80:81], v[18:19] offset:768
	v_dual_mov_b32 v3, 0 :: v_dual_mov_b32 v2, 0
	s_mov_b32 s16, exec_lo
	s_wait_loadcnt_dscnt 0x0
	v_and_b32_e32 v4, 0xff, v80
	s_wait_xcnt 0x0
	s_delay_alu instid0(VALU_DEP_1)
	v_cmpx_ne_u16_e32 0, v4
	s_cbranch_execz .LBB372_2292
; %bb.2285:                             ;   in Loop: Header=BB372_2086 Depth=1
	v_bfrev_b32_e32 v2, 1
	s_mov_b32 s17, exec_lo
	v_cmpx_ne_u16_e32 0x80, v4
	s_cbranch_execz .LBB372_2291
; %bb.2286:                             ;   in Loop: Header=BB372_2086 Depth=1
	v_and_b32_e32 v4, 0x7f, v80
	v_mov_b32_e32 v2, 0x7f800001
	s_mov_b32 s18, exec_lo
	s_delay_alu instid0(VALU_DEP_2)
	v_cmpx_ne_u32_e32 0x7f, v4
	s_cbranch_execz .LBB372_2290
; %bb.2287:                             ;   in Loop: Header=BB372_2086 Depth=1
	v_mov_b64_e32 v[82:83], v[80:81]
	v_lshrrev_b32_e32 v2, 3, v4
	s_mov_b32 s19, exec_lo
	v_cmpx_gt_u32_e32 8, v4
; %bb.2288:                             ;   in Loop: Header=BB372_2086 Depth=1
	v_and_b32_e32 v2, 7, v80
	s_delay_alu instid0(VALU_DEP_1) | instskip(NEXT) | instid1(VALU_DEP_1)
	v_clz_i32_u32_e32 v2, v2
	v_min_u32_e32 v2, 32, v2
	s_delay_alu instid0(VALU_DEP_1) | instskip(SKIP_1) | instid1(VALU_DEP_2)
	v_subrev_nc_u32_e32 v4, 28, v2
	v_sub_nc_u32_e32 v2, 29, v2
	v_lshlrev_b64_e32 v[82:83], v4, v[80:81]
; %bb.2289:                             ;   in Loop: Header=BB372_2086 Depth=1
	s_or_b32 exec_lo, exec_lo, s19
	s_delay_alu instid0(VALU_DEP_1) | instskip(NEXT) | instid1(VALU_DEP_3)
	v_dual_lshlrev_b32 v4, 20, v82 :: v_dual_lshlrev_b32 v5, 24, v80
	v_lshl_add_u32 v2, v2, 23, 0x3c000000
	s_delay_alu instid0(VALU_DEP_2) | instskip(NEXT) | instid1(VALU_DEP_3)
	v_and_b32_e32 v4, 0x700000, v4
	v_and_b32_e32 v5, 0x80000000, v5
	s_delay_alu instid0(VALU_DEP_1)
	v_or3_b32 v2, v4, v5, v2
.LBB372_2290:                           ;   in Loop: Header=BB372_2086 Depth=1
	s_or_b32 exec_lo, exec_lo, s18
.LBB372_2291:                           ;   in Loop: Header=BB372_2086 Depth=1
	s_delay_alu instid0(SALU_CYCLE_1)
	s_or_b32 exec_lo, exec_lo, s17
.LBB372_2292:                           ;   in Loop: Header=BB372_2086 Depth=1
	s_delay_alu instid0(SALU_CYCLE_1) | instskip(SKIP_2) | instid1(VALU_DEP_1)
	s_or_b32 exec_lo, exec_lo, s16
	v_lshrrev_b16 v4, 8, v80
	s_mov_b32 s16, exec_lo
	v_cmpx_ne_u16_e32 0, v4
	s_cbranch_execz .LBB372_2300
; %bb.2293:                             ;   in Loop: Header=BB372_2086 Depth=1
	v_bfrev_b32_e32 v3, 1
	s_mov_b32 s17, exec_lo
	v_cmpx_ne_u16_e32 0x80, v4
	s_cbranch_execz .LBB372_2299
; %bb.2294:                             ;   in Loop: Header=BB372_2086 Depth=1
	v_and_b32_e32 v5, 0xffff, v4
	v_mov_b32_e32 v3, 0x7f800001
	s_mov_b32 s18, exec_lo
	s_delay_alu instid0(VALU_DEP_2) | instskip(NEXT) | instid1(VALU_DEP_1)
	v_and_b32_e32 v4, 0x7f, v5
	v_cmpx_ne_u32_e32 0x7f, v4
	s_cbranch_execz .LBB372_2298
; %bb.2295:                             ;   in Loop: Header=BB372_2086 Depth=1
	v_dual_lshrrev_b32 v3, 3, v4 :: v_dual_bitop2_b32 v22, 7, v5 bitop3:0x40
	s_mov_b32 s19, exec_lo
	s_delay_alu instid0(VALU_DEP_1)
	v_mov_b64_e32 v[82:83], v[22:23]
	v_cmpx_gt_u32_e32 8, v4
; %bb.2296:                             ;   in Loop: Header=BB372_2086 Depth=1
	v_clz_i32_u32_e32 v3, v22
	s_delay_alu instid0(VALU_DEP_1) | instskip(NEXT) | instid1(VALU_DEP_1)
	v_min_u32_e32 v3, 32, v3
	v_subrev_nc_u32_e32 v4, 28, v3
	s_delay_alu instid0(VALU_DEP_1) | instskip(NEXT) | instid1(VALU_DEP_1)
	v_lshlrev_b64_e32 v[4:5], v4, v[22:23]
	v_dual_sub_nc_u32 v3, 29, v3 :: v_dual_bitop2_b32 v82, 7, v4 bitop3:0x40
; %bb.2297:                             ;   in Loop: Header=BB372_2086 Depth=1
	s_or_b32 exec_lo, exec_lo, s19
	s_delay_alu instid0(VALU_DEP_1) | instskip(NEXT) | instid1(VALU_DEP_2)
	v_dual_lshlrev_b32 v4, 16, v80 :: v_dual_lshlrev_b32 v5, 20, v82
	v_lshl_add_u32 v3, v3, 23, 0x3c000000
	s_delay_alu instid0(VALU_DEP_2) | instskip(NEXT) | instid1(VALU_DEP_1)
	v_and_b32_e32 v4, 0x80000000, v4
	v_or3_b32 v3, v5, v4, v3
.LBB372_2298:                           ;   in Loop: Header=BB372_2086 Depth=1
	s_or_b32 exec_lo, exec_lo, s18
.LBB372_2299:                           ;   in Loop: Header=BB372_2086 Depth=1
	s_delay_alu instid0(SALU_CYCLE_1)
	s_or_b32 exec_lo, exec_lo, s17
.LBB372_2300:                           ;   in Loop: Header=BB372_2086 Depth=1
	s_delay_alu instid0(SALU_CYCLE_1) | instskip(SKIP_3) | instid1(VALU_DEP_2)
	s_or_b32 exec_lo, exec_lo, s16
	v_dual_mov_b32 v5, 0 :: v_dual_lshrrev_b32 v6, 16, v80
	v_mov_b32_e32 v4, 0
	s_mov_b32 s16, exec_lo
	v_and_b32_e32 v7, 0xff, v6
	s_delay_alu instid0(VALU_DEP_1)
	v_cmpx_ne_u16_e32 0, v7
	s_cbranch_execz .LBB372_2308
; %bb.2301:                             ;   in Loop: Header=BB372_2086 Depth=1
	v_bfrev_b32_e32 v4, 1
	s_mov_b32 s17, exec_lo
	v_cmpx_ne_u16_e32 0x80, v7
	s_cbranch_execz .LBB372_2307
; %bb.2302:                             ;   in Loop: Header=BB372_2086 Depth=1
	v_bfe_u32 v7, v80, 16, 7
	v_mov_b32_e32 v4, 0x7f800001
	s_mov_b32 s18, exec_lo
	s_delay_alu instid0(VALU_DEP_2)
	v_cmpx_ne_u32_e32 0x7f, v7
	s_cbranch_execz .LBB372_2306
; %bb.2303:                             ;   in Loop: Header=BB372_2086 Depth=1
	v_dual_lshrrev_b32 v4, 3, v7 :: v_dual_bitop2_b32 v22, 7, v6 bitop3:0x40
	s_mov_b32 s19, exec_lo
	s_delay_alu instid0(VALU_DEP_1)
	v_mov_b64_e32 v[82:83], v[22:23]
	v_cmpx_gt_u32_e32 8, v7
; %bb.2304:                             ;   in Loop: Header=BB372_2086 Depth=1
	v_clz_i32_u32_e32 v4, v22
	s_delay_alu instid0(VALU_DEP_1) | instskip(NEXT) | instid1(VALU_DEP_1)
	v_min_u32_e32 v4, 32, v4
	v_subrev_nc_u32_e32 v7, 28, v4
	v_sub_nc_u32_e32 v4, 29, v4
	s_delay_alu instid0(VALU_DEP_2) | instskip(NEXT) | instid1(VALU_DEP_1)
	v_lshlrev_b64_e32 v[8:9], v7, v[22:23]
	v_and_b32_e32 v82, 7, v8
; %bb.2305:                             ;   in Loop: Header=BB372_2086 Depth=1
	s_or_b32 exec_lo, exec_lo, s19
	v_lshlrev_b32_e32 v6, 24, v6
	s_delay_alu instid0(VALU_DEP_2) | instskip(SKIP_1) | instid1(VALU_DEP_3)
	v_lshlrev_b32_e32 v7, 20, v82
	v_lshl_add_u32 v4, v4, 23, 0x3c000000
	v_and_b32_e32 v6, 0x80000000, v6
	s_delay_alu instid0(VALU_DEP_1)
	v_or3_b32 v4, v7, v6, v4
.LBB372_2306:                           ;   in Loop: Header=BB372_2086 Depth=1
	s_or_b32 exec_lo, exec_lo, s18
.LBB372_2307:                           ;   in Loop: Header=BB372_2086 Depth=1
	s_delay_alu instid0(SALU_CYCLE_1)
	s_or_b32 exec_lo, exec_lo, s17
.LBB372_2308:                           ;   in Loop: Header=BB372_2086 Depth=1
	s_delay_alu instid0(SALU_CYCLE_1) | instskip(NEXT) | instid1(SALU_CYCLE_1)
	s_or_b32 exec_lo, exec_lo, s16
	s_mov_b32 s16, exec_lo
	v_cmpx_lt_u32_e32 0xffffff, v80
	s_cbranch_execz .LBB372_2316
; %bb.2309:                             ;   in Loop: Header=BB372_2086 Depth=1
	v_lshrrev_b32_e32 v6, 24, v80
	v_bfrev_b32_e32 v5, 1
	s_mov_b32 s17, exec_lo
	s_delay_alu instid0(VALU_DEP_2)
	v_cmpx_ne_u32_e32 0x80, v6
	s_cbranch_execz .LBB372_2315
; %bb.2310:                             ;   in Loop: Header=BB372_2086 Depth=1
	v_bfe_u32 v7, v80, 24, 7
	v_mov_b32_e32 v5, 0x7f800001
	s_mov_b32 s18, exec_lo
	s_delay_alu instid0(VALU_DEP_2)
	v_cmpx_ne_u32_e32 0x7f, v7
	s_cbranch_execz .LBB372_2314
; %bb.2311:                             ;   in Loop: Header=BB372_2086 Depth=1
	v_dual_lshrrev_b32 v5, 3, v7 :: v_dual_bitop2_b32 v22, 7, v6 bitop3:0x40
	s_mov_b32 s19, exec_lo
	s_delay_alu instid0(VALU_DEP_1)
	v_mov_b64_e32 v[82:83], v[22:23]
	v_cmpx_gt_u32_e32 8, v7
; %bb.2312:                             ;   in Loop: Header=BB372_2086 Depth=1
	v_clz_i32_u32_e32 v5, v22
	s_delay_alu instid0(VALU_DEP_1) | instskip(NEXT) | instid1(VALU_DEP_1)
	v_min_u32_e32 v5, 32, v5
	v_subrev_nc_u32_e32 v7, 28, v5
	s_delay_alu instid0(VALU_DEP_1) | instskip(NEXT) | instid1(VALU_DEP_1)
	v_lshlrev_b64_e32 v[8:9], v7, v[22:23]
	v_dual_sub_nc_u32 v5, 29, v5 :: v_dual_bitop2_b32 v82, 7, v8 bitop3:0x40
; %bb.2313:                             ;   in Loop: Header=BB372_2086 Depth=1
	s_or_b32 exec_lo, exec_lo, s19
	v_lshlrev_b32_e32 v6, 24, v6
	s_delay_alu instid0(VALU_DEP_2) | instskip(NEXT) | instid1(VALU_DEP_3)
	v_lshlrev_b32_e32 v7, 20, v82
	v_lshl_add_u32 v5, v5, 23, 0x3c000000
	s_delay_alu instid0(VALU_DEP_3) | instskip(NEXT) | instid1(VALU_DEP_1)
	v_and_b32_e32 v6, 0x80000000, v6
	v_or3_b32 v5, v7, v6, v5
.LBB372_2314:                           ;   in Loop: Header=BB372_2086 Depth=1
	s_or_b32 exec_lo, exec_lo, s18
.LBB372_2315:                           ;   in Loop: Header=BB372_2086 Depth=1
	s_delay_alu instid0(SALU_CYCLE_1)
	s_or_b32 exec_lo, exec_lo, s17
.LBB372_2316:                           ;   in Loop: Header=BB372_2086 Depth=1
	s_delay_alu instid0(SALU_CYCLE_1) | instskip(SKIP_4) | instid1(VALU_DEP_3)
	s_or_b32 exec_lo, exec_lo, s16
	v_and_b32_e32 v8, 0xff, v81
	v_dual_mov_b32 v22, v81 :: v_dual_mov_b32 v7, 0
	v_mov_b32_e32 v6, 0
	s_mov_b32 s16, exec_lo
	v_cmpx_ne_u16_e32 0, v8
	s_cbranch_execz .LBB372_2324
; %bb.2317:                             ;   in Loop: Header=BB372_2086 Depth=1
	v_bfrev_b32_e32 v6, 1
	s_mov_b32 s17, exec_lo
	v_cmpx_ne_u16_e32 0x80, v8
	s_cbranch_execz .LBB372_2323
; %bb.2318:                             ;   in Loop: Header=BB372_2086 Depth=1
	v_and_b32_e32 v8, 0x7f, v81
	v_mov_b32_e32 v6, 0x7f800001
	s_mov_b32 s18, exec_lo
	s_delay_alu instid0(VALU_DEP_2)
	v_cmpx_ne_u32_e32 0x7f, v8
	s_cbranch_execz .LBB372_2322
; %bb.2319:                             ;   in Loop: Header=BB372_2086 Depth=1
	v_mov_b64_e32 v[82:83], v[22:23]
	v_lshrrev_b32_e32 v6, 3, v8
	s_mov_b32 s19, exec_lo
	v_cmpx_gt_u32_e32 8, v8
; %bb.2320:                             ;   in Loop: Header=BB372_2086 Depth=1
	v_and_b32_e32 v6, 7, v81
	s_delay_alu instid0(VALU_DEP_1) | instskip(NEXT) | instid1(VALU_DEP_1)
	v_clz_i32_u32_e32 v6, v6
	v_min_u32_e32 v6, 32, v6
	s_delay_alu instid0(VALU_DEP_1) | instskip(SKIP_1) | instid1(VALU_DEP_2)
	v_subrev_nc_u32_e32 v8, 28, v6
	v_sub_nc_u32_e32 v6, 29, v6
	v_lshlrev_b64_e32 v[82:83], v8, v[22:23]
; %bb.2321:                             ;   in Loop: Header=BB372_2086 Depth=1
	s_or_b32 exec_lo, exec_lo, s19
	s_delay_alu instid0(VALU_DEP_1) | instskip(SKIP_2) | instid1(VALU_DEP_3)
	v_lshlrev_b32_e32 v8, 20, v82
	v_lshlrev_b32_e32 v9, 24, v22
	v_lshl_add_u32 v6, v6, 23, 0x3c000000
	v_and_b32_e32 v8, 0x700000, v8
	s_delay_alu instid0(VALU_DEP_3) | instskip(NEXT) | instid1(VALU_DEP_1)
	v_and_b32_e32 v9, 0x80000000, v9
	v_or3_b32 v6, v8, v9, v6
.LBB372_2322:                           ;   in Loop: Header=BB372_2086 Depth=1
	s_or_b32 exec_lo, exec_lo, s18
.LBB372_2323:                           ;   in Loop: Header=BB372_2086 Depth=1
	s_delay_alu instid0(SALU_CYCLE_1)
	s_or_b32 exec_lo, exec_lo, s17
.LBB372_2324:                           ;   in Loop: Header=BB372_2086 Depth=1
	s_delay_alu instid0(SALU_CYCLE_1) | instskip(SKIP_2) | instid1(VALU_DEP_1)
	s_or_b32 exec_lo, exec_lo, s16
	v_lshrrev_b16 v8, 8, v22
	s_mov_b32 s16, exec_lo
	v_cmpx_ne_u16_e32 0, v8
	s_cbranch_execz .LBB372_2332
; %bb.2325:                             ;   in Loop: Header=BB372_2086 Depth=1
	v_bfrev_b32_e32 v7, 1
	s_mov_b32 s17, exec_lo
	v_cmpx_ne_u16_e32 0x80, v8
	s_cbranch_execz .LBB372_2331
; %bb.2326:                             ;   in Loop: Header=BB372_2086 Depth=1
	v_and_b32_e32 v9, 0xffff, v8
	v_mov_b32_e32 v7, 0x7f800001
	s_mov_b32 s18, exec_lo
	s_delay_alu instid0(VALU_DEP_2) | instskip(NEXT) | instid1(VALU_DEP_1)
	v_and_b32_e32 v8, 0x7f, v9
	v_cmpx_ne_u32_e32 0x7f, v8
	s_cbranch_execz .LBB372_2330
; %bb.2327:                             ;   in Loop: Header=BB372_2086 Depth=1
	v_dual_mov_b32 v83, v23 :: v_dual_bitop2_b32 v82, 7, v9 bitop3:0x40
	v_lshrrev_b32_e32 v7, 3, v8
	s_mov_b32 s19, exec_lo
	v_cmpx_gt_u32_e32 8, v8
; %bb.2328:                             ;   in Loop: Header=BB372_2086 Depth=1
	s_delay_alu instid0(VALU_DEP_3) | instskip(NEXT) | instid1(VALU_DEP_1)
	v_clz_i32_u32_e32 v7, v82
	v_min_u32_e32 v7, 32, v7
	s_delay_alu instid0(VALU_DEP_1) | instskip(NEXT) | instid1(VALU_DEP_1)
	v_subrev_nc_u32_e32 v8, 28, v7
	v_lshlrev_b64_e32 v[8:9], v8, v[82:83]
	s_delay_alu instid0(VALU_DEP_1)
	v_dual_sub_nc_u32 v7, 29, v7 :: v_dual_bitop2_b32 v82, 7, v8 bitop3:0x40
; %bb.2329:                             ;   in Loop: Header=BB372_2086 Depth=1
	s_or_b32 exec_lo, exec_lo, s19
	v_lshlrev_b32_e32 v8, 16, v22
	s_delay_alu instid0(VALU_DEP_2) | instskip(NEXT) | instid1(VALU_DEP_3)
	v_lshlrev_b32_e32 v9, 20, v82
	v_lshl_add_u32 v7, v7, 23, 0x3c000000
	s_delay_alu instid0(VALU_DEP_3) | instskip(NEXT) | instid1(VALU_DEP_1)
	v_and_b32_e32 v8, 0x80000000, v8
	v_or3_b32 v7, v9, v8, v7
.LBB372_2330:                           ;   in Loop: Header=BB372_2086 Depth=1
	s_or_b32 exec_lo, exec_lo, s18
.LBB372_2331:                           ;   in Loop: Header=BB372_2086 Depth=1
	s_delay_alu instid0(SALU_CYCLE_1)
	s_or_b32 exec_lo, exec_lo, s17
.LBB372_2332:                           ;   in Loop: Header=BB372_2086 Depth=1
	s_delay_alu instid0(SALU_CYCLE_1) | instskip(SKIP_3) | instid1(VALU_DEP_2)
	s_or_b32 exec_lo, exec_lo, s16
	v_dual_lshrrev_b32 v10, 16, v81 :: v_dual_mov_b32 v8, 0
	v_mov_b32_e32 v9, 0
	s_mov_b32 s16, exec_lo
	v_and_b32_e32 v11, 0xff, v10
	s_delay_alu instid0(VALU_DEP_1)
	v_cmpx_ne_u16_e32 0, v11
	s_cbranch_execz .LBB372_2340
; %bb.2333:                             ;   in Loop: Header=BB372_2086 Depth=1
	v_bfrev_b32_e32 v9, 1
	s_mov_b32 s17, exec_lo
	v_cmpx_ne_u16_e32 0x80, v11
	s_cbranch_execz .LBB372_2339
; %bb.2334:                             ;   in Loop: Header=BB372_2086 Depth=1
	v_bfe_u32 v11, v81, 16, 7
	v_mov_b32_e32 v9, 0x7f800001
	s_mov_b32 s18, exec_lo
	s_delay_alu instid0(VALU_DEP_2)
	v_cmpx_ne_u32_e32 0x7f, v11
	s_cbranch_execz .LBB372_2338
; %bb.2335:                             ;   in Loop: Header=BB372_2086 Depth=1
	v_dual_lshrrev_b32 v9, 3, v11 :: v_dual_bitop2_b32 v22, 7, v10 bitop3:0x40
	s_mov_b32 s19, exec_lo
	s_delay_alu instid0(VALU_DEP_1)
	v_mov_b64_e32 v[82:83], v[22:23]
	v_cmpx_gt_u32_e32 8, v11
; %bb.2336:                             ;   in Loop: Header=BB372_2086 Depth=1
	v_clz_i32_u32_e32 v9, v22
	s_delay_alu instid0(VALU_DEP_1) | instskip(NEXT) | instid1(VALU_DEP_1)
	v_min_u32_e32 v9, 32, v9
	v_subrev_nc_u32_e32 v11, 28, v9
	s_delay_alu instid0(VALU_DEP_1) | instskip(NEXT) | instid1(VALU_DEP_1)
	v_lshlrev_b64_e32 v[64:65], v11, v[22:23]
	v_dual_sub_nc_u32 v9, 29, v9 :: v_dual_bitop2_b32 v82, 7, v64 bitop3:0x40
; %bb.2337:                             ;   in Loop: Header=BB372_2086 Depth=1
	s_or_b32 exec_lo, exec_lo, s19
	v_lshlrev_b32_e32 v10, 24, v10
	s_delay_alu instid0(VALU_DEP_2) | instskip(NEXT) | instid1(VALU_DEP_3)
	v_lshlrev_b32_e32 v11, 20, v82
	v_lshl_add_u32 v9, v9, 23, 0x3c000000
	s_delay_alu instid0(VALU_DEP_3) | instskip(NEXT) | instid1(VALU_DEP_1)
	v_and_b32_e32 v10, 0x80000000, v10
	v_or3_b32 v9, v11, v10, v9
.LBB372_2338:                           ;   in Loop: Header=BB372_2086 Depth=1
	s_or_b32 exec_lo, exec_lo, s18
.LBB372_2339:                           ;   in Loop: Header=BB372_2086 Depth=1
	s_delay_alu instid0(SALU_CYCLE_1)
	s_or_b32 exec_lo, exec_lo, s17
.LBB372_2340:                           ;   in Loop: Header=BB372_2086 Depth=1
	s_delay_alu instid0(SALU_CYCLE_1) | instskip(NEXT) | instid1(SALU_CYCLE_1)
	s_or_b32 exec_lo, exec_lo, s16
	s_mov_b32 s16, exec_lo
	v_cmpx_lt_u64_e64 s[2:3], v[80:81]
	s_cbranch_execz .LBB372_2348
; %bb.2341:                             ;   in Loop: Header=BB372_2086 Depth=1
	v_lshrrev_b32_e32 v10, 24, v81
	v_bfrev_b32_e32 v8, 1
	s_mov_b32 s17, exec_lo
	s_delay_alu instid0(VALU_DEP_2)
	v_cmpx_ne_u32_e32 0x80, v10
	s_cbranch_execz .LBB372_2347
; %bb.2342:                             ;   in Loop: Header=BB372_2086 Depth=1
	v_bfe_u32 v11, v81, 24, 7
	v_mov_b32_e32 v8, 0x7f800001
	s_mov_b32 s18, exec_lo
	s_delay_alu instid0(VALU_DEP_2)
	v_cmpx_ne_u32_e32 0x7f, v11
	s_cbranch_execz .LBB372_2346
; %bb.2343:                             ;   in Loop: Header=BB372_2086 Depth=1
	v_dual_lshrrev_b32 v8, 3, v11 :: v_dual_bitop2_b32 v22, 7, v10 bitop3:0x40
	s_mov_b32 s19, exec_lo
	s_delay_alu instid0(VALU_DEP_1)
	v_mov_b64_e32 v[80:81], v[22:23]
	v_cmpx_gt_u32_e32 8, v11
; %bb.2344:                             ;   in Loop: Header=BB372_2086 Depth=1
	v_clz_i32_u32_e32 v8, v22
	s_delay_alu instid0(VALU_DEP_1) | instskip(NEXT) | instid1(VALU_DEP_1)
	v_min_u32_e32 v8, 32, v8
	v_subrev_nc_u32_e32 v11, 28, v8
	v_sub_nc_u32_e32 v8, 29, v8
	s_delay_alu instid0(VALU_DEP_2) | instskip(NEXT) | instid1(VALU_DEP_1)
	v_lshlrev_b64_e32 v[64:65], v11, v[22:23]
	v_and_b32_e32 v80, 7, v64
; %bb.2345:                             ;   in Loop: Header=BB372_2086 Depth=1
	s_or_b32 exec_lo, exec_lo, s19
	s_delay_alu instid0(VALU_DEP_1) | instskip(SKIP_1) | instid1(VALU_DEP_2)
	v_dual_lshlrev_b32 v10, 24, v10 :: v_dual_lshlrev_b32 v11, 20, v80
	v_lshl_add_u32 v8, v8, 23, 0x3c000000
	v_and_b32_e32 v10, 0x80000000, v10
	s_delay_alu instid0(VALU_DEP_1)
	v_or3_b32 v8, v11, v10, v8
.LBB372_2346:                           ;   in Loop: Header=BB372_2086 Depth=1
	s_or_b32 exec_lo, exec_lo, s18
.LBB372_2347:                           ;   in Loop: Header=BB372_2086 Depth=1
	s_delay_alu instid0(SALU_CYCLE_1)
	s_or_b32 exec_lo, exec_lo, s17
.LBB372_2348:                           ;   in Loop: Header=BB372_2086 Depth=1
	s_delay_alu instid0(SALU_CYCLE_1)
	s_or_b32 exec_lo, exec_lo, s16
	v_fma_mixlo_bf16 v2, v86, v2, 0
	v_fma_mixlo_bf16 v7, v86, v7, 0
	;; [unrolled: 1-line block ×5, first 2 shown]
	scratch_store_b32 off, v2, s32 offset:444 ; 4-byte Folded Spill
	s_wait_xcnt 0x0
	v_fma_mixlo_bf16 v2, v86, v9, 0
	s_clause 0x1
	scratch_store_b32 off, v7, s32 offset:388
	scratch_store_b32 off, v6, s32 offset:396
	v_fma_mixlo_bf16 v3, v86, v3, 0
	s_clause 0x1
	scratch_store_b32 off, v5, s32 offset:420
	scratch_store_b32 off, v2, s32 offset:404
	s_wait_xcnt 0x0
	v_fma_mixlo_bf16 v2, v86, v8, 0
	s_clause 0x2
	scratch_store_b32 off, v4, s32 offset:428
	scratch_store_b32 off, v3, s32 offset:436
	;; [unrolled: 1-line block ×3, first 2 shown]
	s_wait_xcnt 0x0
	s_and_saveexec_b32 s16, vcc_lo
	s_cbranch_execz .LBB372_2350
; %bb.2349:                             ;   in Loop: Header=BB372_2086 Depth=1
	s_clause 0x1
	scratch_load_b32 v2, off, s32 offset:192
	scratch_load_b32 v3, off, s32 offset:444
	s_wait_loadcnt 0x1
	v_cmp_lt_i32_e64 s0, v63, v2
	s_wait_loadcnt 0x0
	s_delay_alu instid0(VALU_DEP_1)
	v_cndmask_b32_e64 v3, 0, v3, s0
	v_cmp_lt_i32_e64 s0, v95, v2
	s_clause 0x1
	scratch_store_b32 off, v3, s32 offset:444
	scratch_load_b32 v3, off, s32 offset:436
	s_wait_loadcnt 0x0
	v_cndmask_b32_e64 v3, 0, v3, s0
	v_cmp_lt_i32_e64 s0, v94, v2
	s_clause 0x1
	scratch_store_b32 off, v3, s32 offset:436
	scratch_load_b32 v3, off, s32 offset:428
	s_wait_loadcnt 0x0
	v_cndmask_b32_e64 v3, 0, v3, s0
	v_cmp_lt_i32_e64 s0, v93, v2
	s_clause 0x1
	scratch_store_b32 off, v3, s32 offset:428
	scratch_load_b32 v3, off, s32 offset:420
	s_wait_loadcnt 0x0
	v_cndmask_b32_e64 v3, 0, v3, s0
	v_cmp_lt_i32_e64 s0, v92, v2
	s_clause 0x1
	scratch_store_b32 off, v3, s32 offset:420
	scratch_load_b32 v3, off, s32 offset:396
	s_wait_loadcnt 0x0
	v_cndmask_b32_e64 v3, 0, v3, s0
	v_cmp_lt_i32_e64 s0, v91, v2
	s_clause 0x1
	scratch_store_b32 off, v3, s32 offset:396
	scratch_load_b32 v3, off, s32 offset:388
	s_wait_loadcnt 0x0
	v_cndmask_b32_e64 v3, 0, v3, s0
	v_cmp_lt_i32_e64 s0, v90, v2
	s_clause 0x1
	scratch_store_b32 off, v3, s32 offset:388
	scratch_load_b32 v3, off, s32 offset:404
	s_wait_loadcnt 0x0
	v_cndmask_b32_e64 v3, 0, v3, s0
	v_cmp_lt_i32_e64 s0, v89, v2
	scratch_load_b32 v2, off, s32 offset:412 ; 4-byte Folded Reload
	s_wait_loadcnt 0x0
	v_cndmask_b32_e64 v2, 0, v2, s0
	s_clause 0x1
	scratch_store_b32 off, v3, s32 offset:404
	scratch_store_b32 off, v2, s32 offset:412
.LBB372_2350:                           ;   in Loop: Header=BB372_2086 Depth=1
	s_wait_xcnt 0x0
	s_or_b32 exec_lo, exec_lo, s16
	flat_load_b64 v[80:81], v[18:19] offset:1024
	v_dual_mov_b32 v3, 0 :: v_dual_mov_b32 v2, 0
	s_mov_b32 s16, exec_lo
	s_wait_loadcnt_dscnt 0x0
	v_and_b32_e32 v4, 0xff, v80
	s_wait_xcnt 0x0
	s_delay_alu instid0(VALU_DEP_1)
	v_cmpx_ne_u16_e32 0, v4
	s_cbranch_execz .LBB372_2358
; %bb.2351:                             ;   in Loop: Header=BB372_2086 Depth=1
	v_bfrev_b32_e32 v2, 1
	s_mov_b32 s17, exec_lo
	v_cmpx_ne_u16_e32 0x80, v4
	s_cbranch_execz .LBB372_2357
; %bb.2352:                             ;   in Loop: Header=BB372_2086 Depth=1
	v_and_b32_e32 v4, 0x7f, v80
	v_mov_b32_e32 v2, 0x7f800001
	s_mov_b32 s18, exec_lo
	s_delay_alu instid0(VALU_DEP_2)
	v_cmpx_ne_u32_e32 0x7f, v4
	s_cbranch_execz .LBB372_2356
; %bb.2353:                             ;   in Loop: Header=BB372_2086 Depth=1
	v_mov_b64_e32 v[82:83], v[80:81]
	v_lshrrev_b32_e32 v2, 3, v4
	s_mov_b32 s19, exec_lo
	v_cmpx_gt_u32_e32 8, v4
; %bb.2354:                             ;   in Loop: Header=BB372_2086 Depth=1
	v_and_b32_e32 v2, 7, v80
	s_delay_alu instid0(VALU_DEP_1) | instskip(NEXT) | instid1(VALU_DEP_1)
	v_clz_i32_u32_e32 v2, v2
	v_min_u32_e32 v2, 32, v2
	s_delay_alu instid0(VALU_DEP_1) | instskip(SKIP_1) | instid1(VALU_DEP_2)
	v_subrev_nc_u32_e32 v4, 28, v2
	v_sub_nc_u32_e32 v2, 29, v2
	v_lshlrev_b64_e32 v[82:83], v4, v[80:81]
; %bb.2355:                             ;   in Loop: Header=BB372_2086 Depth=1
	s_or_b32 exec_lo, exec_lo, s19
	s_delay_alu instid0(VALU_DEP_1) | instskip(NEXT) | instid1(VALU_DEP_3)
	v_dual_lshlrev_b32 v4, 20, v82 :: v_dual_lshlrev_b32 v5, 24, v80
	v_lshl_add_u32 v2, v2, 23, 0x3c000000
	s_delay_alu instid0(VALU_DEP_2) | instskip(NEXT) | instid1(VALU_DEP_3)
	v_and_b32_e32 v4, 0x700000, v4
	v_and_b32_e32 v5, 0x80000000, v5
	s_delay_alu instid0(VALU_DEP_1)
	v_or3_b32 v2, v4, v5, v2
.LBB372_2356:                           ;   in Loop: Header=BB372_2086 Depth=1
	s_or_b32 exec_lo, exec_lo, s18
.LBB372_2357:                           ;   in Loop: Header=BB372_2086 Depth=1
	s_delay_alu instid0(SALU_CYCLE_1)
	s_or_b32 exec_lo, exec_lo, s17
.LBB372_2358:                           ;   in Loop: Header=BB372_2086 Depth=1
	s_delay_alu instid0(SALU_CYCLE_1) | instskip(SKIP_2) | instid1(VALU_DEP_1)
	s_or_b32 exec_lo, exec_lo, s16
	v_lshrrev_b16 v4, 8, v80
	s_mov_b32 s16, exec_lo
	v_cmpx_ne_u16_e32 0, v4
	s_cbranch_execz .LBB372_2366
; %bb.2359:                             ;   in Loop: Header=BB372_2086 Depth=1
	v_bfrev_b32_e32 v3, 1
	s_mov_b32 s17, exec_lo
	v_cmpx_ne_u16_e32 0x80, v4
	s_cbranch_execz .LBB372_2365
; %bb.2360:                             ;   in Loop: Header=BB372_2086 Depth=1
	v_and_b32_e32 v5, 0xffff, v4
	v_mov_b32_e32 v3, 0x7f800001
	s_mov_b32 s18, exec_lo
	s_delay_alu instid0(VALU_DEP_2) | instskip(NEXT) | instid1(VALU_DEP_1)
	v_and_b32_e32 v4, 0x7f, v5
	v_cmpx_ne_u32_e32 0x7f, v4
	s_cbranch_execz .LBB372_2364
; %bb.2361:                             ;   in Loop: Header=BB372_2086 Depth=1
	v_dual_lshrrev_b32 v3, 3, v4 :: v_dual_bitop2_b32 v22, 7, v5 bitop3:0x40
	s_mov_b32 s19, exec_lo
	s_delay_alu instid0(VALU_DEP_1)
	v_mov_b64_e32 v[82:83], v[22:23]
	v_cmpx_gt_u32_e32 8, v4
; %bb.2362:                             ;   in Loop: Header=BB372_2086 Depth=1
	v_clz_i32_u32_e32 v3, v22
	s_delay_alu instid0(VALU_DEP_1) | instskip(NEXT) | instid1(VALU_DEP_1)
	v_min_u32_e32 v3, 32, v3
	v_subrev_nc_u32_e32 v4, 28, v3
	s_delay_alu instid0(VALU_DEP_1) | instskip(NEXT) | instid1(VALU_DEP_1)
	v_lshlrev_b64_e32 v[4:5], v4, v[22:23]
	v_dual_sub_nc_u32 v3, 29, v3 :: v_dual_bitop2_b32 v82, 7, v4 bitop3:0x40
; %bb.2363:                             ;   in Loop: Header=BB372_2086 Depth=1
	s_or_b32 exec_lo, exec_lo, s19
	s_delay_alu instid0(VALU_DEP_1) | instskip(NEXT) | instid1(VALU_DEP_2)
	v_dual_lshlrev_b32 v4, 16, v80 :: v_dual_lshlrev_b32 v5, 20, v82
	v_lshl_add_u32 v3, v3, 23, 0x3c000000
	s_delay_alu instid0(VALU_DEP_2) | instskip(NEXT) | instid1(VALU_DEP_1)
	v_and_b32_e32 v4, 0x80000000, v4
	v_or3_b32 v3, v5, v4, v3
.LBB372_2364:                           ;   in Loop: Header=BB372_2086 Depth=1
	s_or_b32 exec_lo, exec_lo, s18
.LBB372_2365:                           ;   in Loop: Header=BB372_2086 Depth=1
	s_delay_alu instid0(SALU_CYCLE_1)
	s_or_b32 exec_lo, exec_lo, s17
.LBB372_2366:                           ;   in Loop: Header=BB372_2086 Depth=1
	s_delay_alu instid0(SALU_CYCLE_1) | instskip(SKIP_3) | instid1(VALU_DEP_2)
	s_or_b32 exec_lo, exec_lo, s16
	v_dual_mov_b32 v5, 0 :: v_dual_lshrrev_b32 v6, 16, v80
	v_mov_b32_e32 v4, 0
	s_mov_b32 s16, exec_lo
	v_and_b32_e32 v7, 0xff, v6
	s_delay_alu instid0(VALU_DEP_1)
	v_cmpx_ne_u16_e32 0, v7
	s_cbranch_execz .LBB372_2374
; %bb.2367:                             ;   in Loop: Header=BB372_2086 Depth=1
	v_bfrev_b32_e32 v4, 1
	s_mov_b32 s17, exec_lo
	v_cmpx_ne_u16_e32 0x80, v7
	s_cbranch_execz .LBB372_2373
; %bb.2368:                             ;   in Loop: Header=BB372_2086 Depth=1
	v_bfe_u32 v7, v80, 16, 7
	v_mov_b32_e32 v4, 0x7f800001
	s_mov_b32 s18, exec_lo
	s_delay_alu instid0(VALU_DEP_2)
	v_cmpx_ne_u32_e32 0x7f, v7
	s_cbranch_execz .LBB372_2372
; %bb.2369:                             ;   in Loop: Header=BB372_2086 Depth=1
	v_dual_lshrrev_b32 v4, 3, v7 :: v_dual_bitop2_b32 v22, 7, v6 bitop3:0x40
	s_mov_b32 s19, exec_lo
	s_delay_alu instid0(VALU_DEP_1)
	v_mov_b64_e32 v[82:83], v[22:23]
	v_cmpx_gt_u32_e32 8, v7
; %bb.2370:                             ;   in Loop: Header=BB372_2086 Depth=1
	v_clz_i32_u32_e32 v4, v22
	s_delay_alu instid0(VALU_DEP_1) | instskip(NEXT) | instid1(VALU_DEP_1)
	v_min_u32_e32 v4, 32, v4
	v_subrev_nc_u32_e32 v7, 28, v4
	v_sub_nc_u32_e32 v4, 29, v4
	s_delay_alu instid0(VALU_DEP_2) | instskip(NEXT) | instid1(VALU_DEP_1)
	v_lshlrev_b64_e32 v[8:9], v7, v[22:23]
	v_and_b32_e32 v82, 7, v8
; %bb.2371:                             ;   in Loop: Header=BB372_2086 Depth=1
	s_or_b32 exec_lo, exec_lo, s19
	v_lshlrev_b32_e32 v6, 24, v6
	s_delay_alu instid0(VALU_DEP_2) | instskip(SKIP_1) | instid1(VALU_DEP_3)
	v_lshlrev_b32_e32 v7, 20, v82
	v_lshl_add_u32 v4, v4, 23, 0x3c000000
	v_and_b32_e32 v6, 0x80000000, v6
	s_delay_alu instid0(VALU_DEP_1)
	v_or3_b32 v4, v7, v6, v4
.LBB372_2372:                           ;   in Loop: Header=BB372_2086 Depth=1
	s_or_b32 exec_lo, exec_lo, s18
.LBB372_2373:                           ;   in Loop: Header=BB372_2086 Depth=1
	s_delay_alu instid0(SALU_CYCLE_1)
	s_or_b32 exec_lo, exec_lo, s17
.LBB372_2374:                           ;   in Loop: Header=BB372_2086 Depth=1
	s_delay_alu instid0(SALU_CYCLE_1) | instskip(NEXT) | instid1(SALU_CYCLE_1)
	s_or_b32 exec_lo, exec_lo, s16
	s_mov_b32 s16, exec_lo
	v_cmpx_lt_u32_e32 0xffffff, v80
	s_cbranch_execz .LBB372_2382
; %bb.2375:                             ;   in Loop: Header=BB372_2086 Depth=1
	v_lshrrev_b32_e32 v6, 24, v80
	v_bfrev_b32_e32 v5, 1
	s_mov_b32 s17, exec_lo
	s_delay_alu instid0(VALU_DEP_2)
	v_cmpx_ne_u32_e32 0x80, v6
	s_cbranch_execz .LBB372_2381
; %bb.2376:                             ;   in Loop: Header=BB372_2086 Depth=1
	v_bfe_u32 v7, v80, 24, 7
	v_mov_b32_e32 v5, 0x7f800001
	s_mov_b32 s18, exec_lo
	s_delay_alu instid0(VALU_DEP_2)
	v_cmpx_ne_u32_e32 0x7f, v7
	s_cbranch_execz .LBB372_2380
; %bb.2377:                             ;   in Loop: Header=BB372_2086 Depth=1
	v_dual_lshrrev_b32 v5, 3, v7 :: v_dual_bitop2_b32 v22, 7, v6 bitop3:0x40
	s_mov_b32 s19, exec_lo
	s_delay_alu instid0(VALU_DEP_1)
	v_mov_b64_e32 v[82:83], v[22:23]
	v_cmpx_gt_u32_e32 8, v7
; %bb.2378:                             ;   in Loop: Header=BB372_2086 Depth=1
	v_clz_i32_u32_e32 v5, v22
	s_delay_alu instid0(VALU_DEP_1) | instskip(NEXT) | instid1(VALU_DEP_1)
	v_min_u32_e32 v5, 32, v5
	v_subrev_nc_u32_e32 v7, 28, v5
	s_delay_alu instid0(VALU_DEP_1) | instskip(NEXT) | instid1(VALU_DEP_1)
	v_lshlrev_b64_e32 v[8:9], v7, v[22:23]
	v_dual_sub_nc_u32 v5, 29, v5 :: v_dual_bitop2_b32 v82, 7, v8 bitop3:0x40
; %bb.2379:                             ;   in Loop: Header=BB372_2086 Depth=1
	s_or_b32 exec_lo, exec_lo, s19
	v_lshlrev_b32_e32 v6, 24, v6
	s_delay_alu instid0(VALU_DEP_2) | instskip(NEXT) | instid1(VALU_DEP_3)
	v_lshlrev_b32_e32 v7, 20, v82
	v_lshl_add_u32 v5, v5, 23, 0x3c000000
	s_delay_alu instid0(VALU_DEP_3) | instskip(NEXT) | instid1(VALU_DEP_1)
	v_and_b32_e32 v6, 0x80000000, v6
	v_or3_b32 v5, v7, v6, v5
.LBB372_2380:                           ;   in Loop: Header=BB372_2086 Depth=1
	s_or_b32 exec_lo, exec_lo, s18
.LBB372_2381:                           ;   in Loop: Header=BB372_2086 Depth=1
	s_delay_alu instid0(SALU_CYCLE_1)
	s_or_b32 exec_lo, exec_lo, s17
.LBB372_2382:                           ;   in Loop: Header=BB372_2086 Depth=1
	s_delay_alu instid0(SALU_CYCLE_1) | instskip(SKIP_4) | instid1(VALU_DEP_3)
	s_or_b32 exec_lo, exec_lo, s16
	v_and_b32_e32 v8, 0xff, v81
	v_dual_mov_b32 v22, v81 :: v_dual_mov_b32 v7, 0
	v_mov_b32_e32 v6, 0
	s_mov_b32 s16, exec_lo
	v_cmpx_ne_u16_e32 0, v8
	s_cbranch_execz .LBB372_2390
; %bb.2383:                             ;   in Loop: Header=BB372_2086 Depth=1
	v_bfrev_b32_e32 v6, 1
	s_mov_b32 s17, exec_lo
	v_cmpx_ne_u16_e32 0x80, v8
	s_cbranch_execz .LBB372_2389
; %bb.2384:                             ;   in Loop: Header=BB372_2086 Depth=1
	v_and_b32_e32 v8, 0x7f, v81
	v_mov_b32_e32 v6, 0x7f800001
	s_mov_b32 s18, exec_lo
	s_delay_alu instid0(VALU_DEP_2)
	v_cmpx_ne_u32_e32 0x7f, v8
	s_cbranch_execz .LBB372_2388
; %bb.2385:                             ;   in Loop: Header=BB372_2086 Depth=1
	v_mov_b64_e32 v[82:83], v[22:23]
	v_lshrrev_b32_e32 v6, 3, v8
	s_mov_b32 s19, exec_lo
	v_cmpx_gt_u32_e32 8, v8
; %bb.2386:                             ;   in Loop: Header=BB372_2086 Depth=1
	v_and_b32_e32 v6, 7, v81
	s_delay_alu instid0(VALU_DEP_1) | instskip(NEXT) | instid1(VALU_DEP_1)
	v_clz_i32_u32_e32 v6, v6
	v_min_u32_e32 v6, 32, v6
	s_delay_alu instid0(VALU_DEP_1) | instskip(SKIP_1) | instid1(VALU_DEP_2)
	v_subrev_nc_u32_e32 v8, 28, v6
	v_sub_nc_u32_e32 v6, 29, v6
	v_lshlrev_b64_e32 v[82:83], v8, v[22:23]
; %bb.2387:                             ;   in Loop: Header=BB372_2086 Depth=1
	s_or_b32 exec_lo, exec_lo, s19
	s_delay_alu instid0(VALU_DEP_1) | instskip(SKIP_2) | instid1(VALU_DEP_3)
	v_lshlrev_b32_e32 v8, 20, v82
	v_lshlrev_b32_e32 v9, 24, v22
	v_lshl_add_u32 v6, v6, 23, 0x3c000000
	v_and_b32_e32 v8, 0x700000, v8
	s_delay_alu instid0(VALU_DEP_3) | instskip(NEXT) | instid1(VALU_DEP_1)
	v_and_b32_e32 v9, 0x80000000, v9
	v_or3_b32 v6, v8, v9, v6
.LBB372_2388:                           ;   in Loop: Header=BB372_2086 Depth=1
	s_or_b32 exec_lo, exec_lo, s18
.LBB372_2389:                           ;   in Loop: Header=BB372_2086 Depth=1
	s_delay_alu instid0(SALU_CYCLE_1)
	s_or_b32 exec_lo, exec_lo, s17
.LBB372_2390:                           ;   in Loop: Header=BB372_2086 Depth=1
	s_delay_alu instid0(SALU_CYCLE_1) | instskip(SKIP_2) | instid1(VALU_DEP_1)
	s_or_b32 exec_lo, exec_lo, s16
	v_lshrrev_b16 v8, 8, v22
	s_mov_b32 s16, exec_lo
	v_cmpx_ne_u16_e32 0, v8
	s_cbranch_execz .LBB372_2398
; %bb.2391:                             ;   in Loop: Header=BB372_2086 Depth=1
	v_bfrev_b32_e32 v7, 1
	s_mov_b32 s17, exec_lo
	v_cmpx_ne_u16_e32 0x80, v8
	s_cbranch_execz .LBB372_2397
; %bb.2392:                             ;   in Loop: Header=BB372_2086 Depth=1
	v_and_b32_e32 v9, 0xffff, v8
	v_mov_b32_e32 v7, 0x7f800001
	s_mov_b32 s18, exec_lo
	s_delay_alu instid0(VALU_DEP_2) | instskip(NEXT) | instid1(VALU_DEP_1)
	v_and_b32_e32 v8, 0x7f, v9
	v_cmpx_ne_u32_e32 0x7f, v8
	s_cbranch_execz .LBB372_2396
; %bb.2393:                             ;   in Loop: Header=BB372_2086 Depth=1
	v_dual_mov_b32 v83, v23 :: v_dual_bitop2_b32 v82, 7, v9 bitop3:0x40
	v_lshrrev_b32_e32 v7, 3, v8
	s_mov_b32 s19, exec_lo
	v_cmpx_gt_u32_e32 8, v8
; %bb.2394:                             ;   in Loop: Header=BB372_2086 Depth=1
	s_delay_alu instid0(VALU_DEP_3) | instskip(NEXT) | instid1(VALU_DEP_1)
	v_clz_i32_u32_e32 v7, v82
	v_min_u32_e32 v7, 32, v7
	s_delay_alu instid0(VALU_DEP_1) | instskip(NEXT) | instid1(VALU_DEP_1)
	v_subrev_nc_u32_e32 v8, 28, v7
	v_lshlrev_b64_e32 v[8:9], v8, v[82:83]
	s_delay_alu instid0(VALU_DEP_1)
	v_dual_sub_nc_u32 v7, 29, v7 :: v_dual_bitop2_b32 v82, 7, v8 bitop3:0x40
; %bb.2395:                             ;   in Loop: Header=BB372_2086 Depth=1
	s_or_b32 exec_lo, exec_lo, s19
	v_lshlrev_b32_e32 v8, 16, v22
	s_delay_alu instid0(VALU_DEP_2) | instskip(NEXT) | instid1(VALU_DEP_3)
	v_lshlrev_b32_e32 v9, 20, v82
	v_lshl_add_u32 v7, v7, 23, 0x3c000000
	s_delay_alu instid0(VALU_DEP_3) | instskip(NEXT) | instid1(VALU_DEP_1)
	v_and_b32_e32 v8, 0x80000000, v8
	v_or3_b32 v7, v9, v8, v7
.LBB372_2396:                           ;   in Loop: Header=BB372_2086 Depth=1
	s_or_b32 exec_lo, exec_lo, s18
.LBB372_2397:                           ;   in Loop: Header=BB372_2086 Depth=1
	s_delay_alu instid0(SALU_CYCLE_1)
	s_or_b32 exec_lo, exec_lo, s17
.LBB372_2398:                           ;   in Loop: Header=BB372_2086 Depth=1
	s_delay_alu instid0(SALU_CYCLE_1) | instskip(SKIP_3) | instid1(VALU_DEP_2)
	s_or_b32 exec_lo, exec_lo, s16
	v_dual_lshrrev_b32 v10, 16, v81 :: v_dual_mov_b32 v8, 0
	v_mov_b32_e32 v9, 0
	s_mov_b32 s16, exec_lo
	v_and_b32_e32 v11, 0xff, v10
	s_delay_alu instid0(VALU_DEP_1)
	v_cmpx_ne_u16_e32 0, v11
	s_cbranch_execz .LBB372_2406
; %bb.2399:                             ;   in Loop: Header=BB372_2086 Depth=1
	v_bfrev_b32_e32 v9, 1
	s_mov_b32 s17, exec_lo
	v_cmpx_ne_u16_e32 0x80, v11
	s_cbranch_execz .LBB372_2405
; %bb.2400:                             ;   in Loop: Header=BB372_2086 Depth=1
	v_bfe_u32 v11, v81, 16, 7
	v_mov_b32_e32 v9, 0x7f800001
	s_mov_b32 s18, exec_lo
	s_delay_alu instid0(VALU_DEP_2)
	v_cmpx_ne_u32_e32 0x7f, v11
	s_cbranch_execz .LBB372_2404
; %bb.2401:                             ;   in Loop: Header=BB372_2086 Depth=1
	v_dual_lshrrev_b32 v9, 3, v11 :: v_dual_bitop2_b32 v22, 7, v10 bitop3:0x40
	s_mov_b32 s19, exec_lo
	s_delay_alu instid0(VALU_DEP_1)
	v_mov_b64_e32 v[82:83], v[22:23]
	v_cmpx_gt_u32_e32 8, v11
; %bb.2402:                             ;   in Loop: Header=BB372_2086 Depth=1
	v_clz_i32_u32_e32 v9, v22
	s_delay_alu instid0(VALU_DEP_1) | instskip(NEXT) | instid1(VALU_DEP_1)
	v_min_u32_e32 v9, 32, v9
	v_subrev_nc_u32_e32 v11, 28, v9
	s_delay_alu instid0(VALU_DEP_1) | instskip(NEXT) | instid1(VALU_DEP_1)
	v_lshlrev_b64_e32 v[64:65], v11, v[22:23]
	v_dual_sub_nc_u32 v9, 29, v9 :: v_dual_bitop2_b32 v82, 7, v64 bitop3:0x40
; %bb.2403:                             ;   in Loop: Header=BB372_2086 Depth=1
	s_or_b32 exec_lo, exec_lo, s19
	v_lshlrev_b32_e32 v10, 24, v10
	s_delay_alu instid0(VALU_DEP_2) | instskip(NEXT) | instid1(VALU_DEP_3)
	v_lshlrev_b32_e32 v11, 20, v82
	v_lshl_add_u32 v9, v9, 23, 0x3c000000
	s_delay_alu instid0(VALU_DEP_3) | instskip(NEXT) | instid1(VALU_DEP_1)
	v_and_b32_e32 v10, 0x80000000, v10
	v_or3_b32 v9, v11, v10, v9
.LBB372_2404:                           ;   in Loop: Header=BB372_2086 Depth=1
	s_or_b32 exec_lo, exec_lo, s18
.LBB372_2405:                           ;   in Loop: Header=BB372_2086 Depth=1
	s_delay_alu instid0(SALU_CYCLE_1)
	s_or_b32 exec_lo, exec_lo, s17
.LBB372_2406:                           ;   in Loop: Header=BB372_2086 Depth=1
	s_delay_alu instid0(SALU_CYCLE_1) | instskip(NEXT) | instid1(SALU_CYCLE_1)
	s_or_b32 exec_lo, exec_lo, s16
	s_mov_b32 s16, exec_lo
	v_cmpx_lt_u64_e64 s[2:3], v[80:81]
	s_cbranch_execz .LBB372_2414
; %bb.2407:                             ;   in Loop: Header=BB372_2086 Depth=1
	v_lshrrev_b32_e32 v10, 24, v81
	v_bfrev_b32_e32 v8, 1
	s_mov_b32 s17, exec_lo
	s_delay_alu instid0(VALU_DEP_2)
	v_cmpx_ne_u32_e32 0x80, v10
	s_cbranch_execz .LBB372_2413
; %bb.2408:                             ;   in Loop: Header=BB372_2086 Depth=1
	v_bfe_u32 v11, v81, 24, 7
	v_mov_b32_e32 v8, 0x7f800001
	s_mov_b32 s18, exec_lo
	s_delay_alu instid0(VALU_DEP_2)
	v_cmpx_ne_u32_e32 0x7f, v11
	s_cbranch_execz .LBB372_2412
; %bb.2409:                             ;   in Loop: Header=BB372_2086 Depth=1
	v_dual_lshrrev_b32 v8, 3, v11 :: v_dual_bitop2_b32 v22, 7, v10 bitop3:0x40
	s_mov_b32 s19, exec_lo
	s_delay_alu instid0(VALU_DEP_1)
	v_mov_b64_e32 v[80:81], v[22:23]
	v_cmpx_gt_u32_e32 8, v11
; %bb.2410:                             ;   in Loop: Header=BB372_2086 Depth=1
	v_clz_i32_u32_e32 v8, v22
	s_delay_alu instid0(VALU_DEP_1) | instskip(NEXT) | instid1(VALU_DEP_1)
	v_min_u32_e32 v8, 32, v8
	v_subrev_nc_u32_e32 v11, 28, v8
	v_sub_nc_u32_e32 v8, 29, v8
	s_delay_alu instid0(VALU_DEP_2) | instskip(NEXT) | instid1(VALU_DEP_1)
	v_lshlrev_b64_e32 v[64:65], v11, v[22:23]
	v_and_b32_e32 v80, 7, v64
; %bb.2411:                             ;   in Loop: Header=BB372_2086 Depth=1
	s_or_b32 exec_lo, exec_lo, s19
	s_delay_alu instid0(VALU_DEP_1) | instskip(SKIP_1) | instid1(VALU_DEP_2)
	v_dual_lshlrev_b32 v10, 24, v10 :: v_dual_lshlrev_b32 v11, 20, v80
	v_lshl_add_u32 v8, v8, 23, 0x3c000000
	v_and_b32_e32 v10, 0x80000000, v10
	s_delay_alu instid0(VALU_DEP_1)
	v_or3_b32 v8, v11, v10, v8
.LBB372_2412:                           ;   in Loop: Header=BB372_2086 Depth=1
	s_or_b32 exec_lo, exec_lo, s18
.LBB372_2413:                           ;   in Loop: Header=BB372_2086 Depth=1
	s_delay_alu instid0(SALU_CYCLE_1)
	s_or_b32 exec_lo, exec_lo, s17
.LBB372_2414:                           ;   in Loop: Header=BB372_2086 Depth=1
	s_delay_alu instid0(SALU_CYCLE_1)
	s_or_b32 exec_lo, exec_lo, s16
	v_fma_mixlo_bf16 v2, v86, v2, 0
	v_fma_mixlo_bf16 v7, v86, v7, 0
	;; [unrolled: 1-line block ×5, first 2 shown]
	scratch_store_b32 off, v2, s32 offset:508 ; 4-byte Folded Spill
	s_wait_xcnt 0x0
	v_fma_mixlo_bf16 v2, v86, v9, 0
	s_clause 0x1
	scratch_store_b32 off, v7, s32 offset:452
	scratch_store_b32 off, v6, s32 offset:460
	v_fma_mixlo_bf16 v3, v86, v3, 0
	s_clause 0x1
	scratch_store_b32 off, v5, s32 offset:484
	scratch_store_b32 off, v2, s32 offset:468
	s_wait_xcnt 0x0
	v_fma_mixlo_bf16 v2, v86, v8, 0
	s_clause 0x2
	scratch_store_b32 off, v4, s32 offset:492
	scratch_store_b32 off, v3, s32 offset:500
	;; [unrolled: 1-line block ×3, first 2 shown]
	s_wait_xcnt 0x0
	s_and_saveexec_b32 s16, vcc_lo
	s_cbranch_execz .LBB372_2416
; %bb.2415:                             ;   in Loop: Header=BB372_2086 Depth=1
	s_clause 0x1
	scratch_load_b32 v2, off, s32 offset:192
	scratch_load_b32 v3, off, s32 offset:508
	s_wait_loadcnt 0x1
	v_cmp_lt_i32_e64 s0, v63, v2
	s_wait_loadcnt 0x0
	s_delay_alu instid0(VALU_DEP_1)
	v_cndmask_b32_e64 v3, 0, v3, s0
	v_cmp_lt_i32_e64 s0, v95, v2
	s_clause 0x1
	scratch_store_b32 off, v3, s32 offset:508
	scratch_load_b32 v3, off, s32 offset:500
	s_wait_loadcnt 0x0
	v_cndmask_b32_e64 v3, 0, v3, s0
	v_cmp_lt_i32_e64 s0, v94, v2
	s_clause 0x1
	scratch_store_b32 off, v3, s32 offset:500
	scratch_load_b32 v3, off, s32 offset:492
	s_wait_loadcnt 0x0
	;; [unrolled: 6-line block ×6, first 2 shown]
	v_cndmask_b32_e64 v3, 0, v3, s0
	v_cmp_lt_i32_e64 s0, v89, v2
	scratch_load_b32 v2, off, s32 offset:476 ; 4-byte Folded Reload
	s_wait_loadcnt 0x0
	v_cndmask_b32_e64 v2, 0, v2, s0
	s_clause 0x1
	scratch_store_b32 off, v3, s32 offset:468
	scratch_store_b32 off, v2, s32 offset:476
.LBB372_2416:                           ;   in Loop: Header=BB372_2086 Depth=1
	s_wait_xcnt 0x0
	s_or_b32 exec_lo, exec_lo, s16
	flat_load_b64 v[80:81], v[18:19] offset:1280
	v_dual_mov_b32 v3, 0 :: v_dual_mov_b32 v2, 0
	s_mov_b32 s16, exec_lo
	s_wait_loadcnt_dscnt 0x0
	v_and_b32_e32 v4, 0xff, v80
	s_wait_xcnt 0x0
	s_delay_alu instid0(VALU_DEP_1)
	v_cmpx_ne_u16_e32 0, v4
	s_cbranch_execz .LBB372_2424
; %bb.2417:                             ;   in Loop: Header=BB372_2086 Depth=1
	v_bfrev_b32_e32 v2, 1
	s_mov_b32 s17, exec_lo
	v_cmpx_ne_u16_e32 0x80, v4
	s_cbranch_execz .LBB372_2423
; %bb.2418:                             ;   in Loop: Header=BB372_2086 Depth=1
	v_and_b32_e32 v4, 0x7f, v80
	v_mov_b32_e32 v2, 0x7f800001
	s_mov_b32 s18, exec_lo
	s_delay_alu instid0(VALU_DEP_2)
	v_cmpx_ne_u32_e32 0x7f, v4
	s_cbranch_execz .LBB372_2422
; %bb.2419:                             ;   in Loop: Header=BB372_2086 Depth=1
	v_mov_b64_e32 v[82:83], v[80:81]
	v_lshrrev_b32_e32 v2, 3, v4
	s_mov_b32 s19, exec_lo
	v_cmpx_gt_u32_e32 8, v4
; %bb.2420:                             ;   in Loop: Header=BB372_2086 Depth=1
	v_and_b32_e32 v2, 7, v80
	s_delay_alu instid0(VALU_DEP_1) | instskip(NEXT) | instid1(VALU_DEP_1)
	v_clz_i32_u32_e32 v2, v2
	v_min_u32_e32 v2, 32, v2
	s_delay_alu instid0(VALU_DEP_1) | instskip(SKIP_1) | instid1(VALU_DEP_2)
	v_subrev_nc_u32_e32 v4, 28, v2
	v_sub_nc_u32_e32 v2, 29, v2
	v_lshlrev_b64_e32 v[82:83], v4, v[80:81]
; %bb.2421:                             ;   in Loop: Header=BB372_2086 Depth=1
	s_or_b32 exec_lo, exec_lo, s19
	s_delay_alu instid0(VALU_DEP_1) | instskip(NEXT) | instid1(VALU_DEP_3)
	v_dual_lshlrev_b32 v4, 20, v82 :: v_dual_lshlrev_b32 v5, 24, v80
	v_lshl_add_u32 v2, v2, 23, 0x3c000000
	s_delay_alu instid0(VALU_DEP_2) | instskip(NEXT) | instid1(VALU_DEP_3)
	v_and_b32_e32 v4, 0x700000, v4
	v_and_b32_e32 v5, 0x80000000, v5
	s_delay_alu instid0(VALU_DEP_1)
	v_or3_b32 v2, v4, v5, v2
.LBB372_2422:                           ;   in Loop: Header=BB372_2086 Depth=1
	s_or_b32 exec_lo, exec_lo, s18
.LBB372_2423:                           ;   in Loop: Header=BB372_2086 Depth=1
	s_delay_alu instid0(SALU_CYCLE_1)
	s_or_b32 exec_lo, exec_lo, s17
.LBB372_2424:                           ;   in Loop: Header=BB372_2086 Depth=1
	s_delay_alu instid0(SALU_CYCLE_1) | instskip(SKIP_2) | instid1(VALU_DEP_1)
	s_or_b32 exec_lo, exec_lo, s16
	v_lshrrev_b16 v4, 8, v80
	s_mov_b32 s16, exec_lo
	v_cmpx_ne_u16_e32 0, v4
	s_cbranch_execz .LBB372_2432
; %bb.2425:                             ;   in Loop: Header=BB372_2086 Depth=1
	v_bfrev_b32_e32 v3, 1
	s_mov_b32 s17, exec_lo
	v_cmpx_ne_u16_e32 0x80, v4
	s_cbranch_execz .LBB372_2431
; %bb.2426:                             ;   in Loop: Header=BB372_2086 Depth=1
	v_and_b32_e32 v5, 0xffff, v4
	v_mov_b32_e32 v3, 0x7f800001
	s_mov_b32 s18, exec_lo
	s_delay_alu instid0(VALU_DEP_2) | instskip(NEXT) | instid1(VALU_DEP_1)
	v_and_b32_e32 v4, 0x7f, v5
	v_cmpx_ne_u32_e32 0x7f, v4
	s_cbranch_execz .LBB372_2430
; %bb.2427:                             ;   in Loop: Header=BB372_2086 Depth=1
	v_dual_lshrrev_b32 v3, 3, v4 :: v_dual_bitop2_b32 v22, 7, v5 bitop3:0x40
	s_mov_b32 s19, exec_lo
	s_delay_alu instid0(VALU_DEP_1)
	v_mov_b64_e32 v[82:83], v[22:23]
	v_cmpx_gt_u32_e32 8, v4
; %bb.2428:                             ;   in Loop: Header=BB372_2086 Depth=1
	v_clz_i32_u32_e32 v3, v22
	s_delay_alu instid0(VALU_DEP_1) | instskip(NEXT) | instid1(VALU_DEP_1)
	v_min_u32_e32 v3, 32, v3
	v_subrev_nc_u32_e32 v4, 28, v3
	s_delay_alu instid0(VALU_DEP_1) | instskip(NEXT) | instid1(VALU_DEP_1)
	v_lshlrev_b64_e32 v[4:5], v4, v[22:23]
	v_dual_sub_nc_u32 v3, 29, v3 :: v_dual_bitop2_b32 v82, 7, v4 bitop3:0x40
; %bb.2429:                             ;   in Loop: Header=BB372_2086 Depth=1
	s_or_b32 exec_lo, exec_lo, s19
	s_delay_alu instid0(VALU_DEP_1) | instskip(NEXT) | instid1(VALU_DEP_2)
	v_dual_lshlrev_b32 v4, 16, v80 :: v_dual_lshlrev_b32 v5, 20, v82
	v_lshl_add_u32 v3, v3, 23, 0x3c000000
	s_delay_alu instid0(VALU_DEP_2) | instskip(NEXT) | instid1(VALU_DEP_1)
	v_and_b32_e32 v4, 0x80000000, v4
	v_or3_b32 v3, v5, v4, v3
.LBB372_2430:                           ;   in Loop: Header=BB372_2086 Depth=1
	s_or_b32 exec_lo, exec_lo, s18
.LBB372_2431:                           ;   in Loop: Header=BB372_2086 Depth=1
	s_delay_alu instid0(SALU_CYCLE_1)
	s_or_b32 exec_lo, exec_lo, s17
.LBB372_2432:                           ;   in Loop: Header=BB372_2086 Depth=1
	s_delay_alu instid0(SALU_CYCLE_1) | instskip(SKIP_3) | instid1(VALU_DEP_2)
	s_or_b32 exec_lo, exec_lo, s16
	v_dual_mov_b32 v5, 0 :: v_dual_lshrrev_b32 v6, 16, v80
	v_mov_b32_e32 v4, 0
	s_mov_b32 s16, exec_lo
	v_and_b32_e32 v7, 0xff, v6
	s_delay_alu instid0(VALU_DEP_1)
	v_cmpx_ne_u16_e32 0, v7
	s_cbranch_execz .LBB372_2440
; %bb.2433:                             ;   in Loop: Header=BB372_2086 Depth=1
	v_bfrev_b32_e32 v4, 1
	s_mov_b32 s17, exec_lo
	v_cmpx_ne_u16_e32 0x80, v7
	s_cbranch_execz .LBB372_2439
; %bb.2434:                             ;   in Loop: Header=BB372_2086 Depth=1
	v_bfe_u32 v7, v80, 16, 7
	v_mov_b32_e32 v4, 0x7f800001
	s_mov_b32 s18, exec_lo
	s_delay_alu instid0(VALU_DEP_2)
	v_cmpx_ne_u32_e32 0x7f, v7
	s_cbranch_execz .LBB372_2438
; %bb.2435:                             ;   in Loop: Header=BB372_2086 Depth=1
	v_dual_lshrrev_b32 v4, 3, v7 :: v_dual_bitop2_b32 v22, 7, v6 bitop3:0x40
	s_mov_b32 s19, exec_lo
	s_delay_alu instid0(VALU_DEP_1)
	v_mov_b64_e32 v[82:83], v[22:23]
	v_cmpx_gt_u32_e32 8, v7
; %bb.2436:                             ;   in Loop: Header=BB372_2086 Depth=1
	v_clz_i32_u32_e32 v4, v22
	s_delay_alu instid0(VALU_DEP_1) | instskip(NEXT) | instid1(VALU_DEP_1)
	v_min_u32_e32 v4, 32, v4
	v_subrev_nc_u32_e32 v7, 28, v4
	v_sub_nc_u32_e32 v4, 29, v4
	s_delay_alu instid0(VALU_DEP_2) | instskip(NEXT) | instid1(VALU_DEP_1)
	v_lshlrev_b64_e32 v[8:9], v7, v[22:23]
	v_and_b32_e32 v82, 7, v8
; %bb.2437:                             ;   in Loop: Header=BB372_2086 Depth=1
	s_or_b32 exec_lo, exec_lo, s19
	v_lshlrev_b32_e32 v6, 24, v6
	s_delay_alu instid0(VALU_DEP_2) | instskip(SKIP_1) | instid1(VALU_DEP_3)
	v_lshlrev_b32_e32 v7, 20, v82
	v_lshl_add_u32 v4, v4, 23, 0x3c000000
	v_and_b32_e32 v6, 0x80000000, v6
	s_delay_alu instid0(VALU_DEP_1)
	v_or3_b32 v4, v7, v6, v4
.LBB372_2438:                           ;   in Loop: Header=BB372_2086 Depth=1
	s_or_b32 exec_lo, exec_lo, s18
.LBB372_2439:                           ;   in Loop: Header=BB372_2086 Depth=1
	s_delay_alu instid0(SALU_CYCLE_1)
	s_or_b32 exec_lo, exec_lo, s17
.LBB372_2440:                           ;   in Loop: Header=BB372_2086 Depth=1
	s_delay_alu instid0(SALU_CYCLE_1) | instskip(NEXT) | instid1(SALU_CYCLE_1)
	s_or_b32 exec_lo, exec_lo, s16
	s_mov_b32 s16, exec_lo
	v_cmpx_lt_u32_e32 0xffffff, v80
	s_cbranch_execz .LBB372_2448
; %bb.2441:                             ;   in Loop: Header=BB372_2086 Depth=1
	v_lshrrev_b32_e32 v6, 24, v80
	v_bfrev_b32_e32 v5, 1
	s_mov_b32 s17, exec_lo
	s_delay_alu instid0(VALU_DEP_2)
	v_cmpx_ne_u32_e32 0x80, v6
	s_cbranch_execz .LBB372_2447
; %bb.2442:                             ;   in Loop: Header=BB372_2086 Depth=1
	v_bfe_u32 v7, v80, 24, 7
	v_mov_b32_e32 v5, 0x7f800001
	s_mov_b32 s18, exec_lo
	s_delay_alu instid0(VALU_DEP_2)
	v_cmpx_ne_u32_e32 0x7f, v7
	s_cbranch_execz .LBB372_2446
; %bb.2443:                             ;   in Loop: Header=BB372_2086 Depth=1
	v_dual_lshrrev_b32 v5, 3, v7 :: v_dual_bitop2_b32 v22, 7, v6 bitop3:0x40
	s_mov_b32 s19, exec_lo
	s_delay_alu instid0(VALU_DEP_1)
	v_mov_b64_e32 v[82:83], v[22:23]
	v_cmpx_gt_u32_e32 8, v7
; %bb.2444:                             ;   in Loop: Header=BB372_2086 Depth=1
	v_clz_i32_u32_e32 v5, v22
	s_delay_alu instid0(VALU_DEP_1) | instskip(NEXT) | instid1(VALU_DEP_1)
	v_min_u32_e32 v5, 32, v5
	v_subrev_nc_u32_e32 v7, 28, v5
	s_delay_alu instid0(VALU_DEP_1) | instskip(NEXT) | instid1(VALU_DEP_1)
	v_lshlrev_b64_e32 v[8:9], v7, v[22:23]
	v_dual_sub_nc_u32 v5, 29, v5 :: v_dual_bitop2_b32 v82, 7, v8 bitop3:0x40
; %bb.2445:                             ;   in Loop: Header=BB372_2086 Depth=1
	s_or_b32 exec_lo, exec_lo, s19
	v_lshlrev_b32_e32 v6, 24, v6
	s_delay_alu instid0(VALU_DEP_2) | instskip(NEXT) | instid1(VALU_DEP_3)
	v_lshlrev_b32_e32 v7, 20, v82
	v_lshl_add_u32 v5, v5, 23, 0x3c000000
	s_delay_alu instid0(VALU_DEP_3) | instskip(NEXT) | instid1(VALU_DEP_1)
	v_and_b32_e32 v6, 0x80000000, v6
	v_or3_b32 v5, v7, v6, v5
.LBB372_2446:                           ;   in Loop: Header=BB372_2086 Depth=1
	s_or_b32 exec_lo, exec_lo, s18
.LBB372_2447:                           ;   in Loop: Header=BB372_2086 Depth=1
	s_delay_alu instid0(SALU_CYCLE_1)
	s_or_b32 exec_lo, exec_lo, s17
.LBB372_2448:                           ;   in Loop: Header=BB372_2086 Depth=1
	s_delay_alu instid0(SALU_CYCLE_1) | instskip(SKIP_4) | instid1(VALU_DEP_3)
	s_or_b32 exec_lo, exec_lo, s16
	v_and_b32_e32 v8, 0xff, v81
	v_dual_mov_b32 v22, v81 :: v_dual_mov_b32 v7, 0
	v_mov_b32_e32 v6, 0
	s_mov_b32 s16, exec_lo
	v_cmpx_ne_u16_e32 0, v8
	s_cbranch_execz .LBB372_2456
; %bb.2449:                             ;   in Loop: Header=BB372_2086 Depth=1
	v_bfrev_b32_e32 v6, 1
	s_mov_b32 s17, exec_lo
	v_cmpx_ne_u16_e32 0x80, v8
	s_cbranch_execz .LBB372_2455
; %bb.2450:                             ;   in Loop: Header=BB372_2086 Depth=1
	v_and_b32_e32 v8, 0x7f, v81
	v_mov_b32_e32 v6, 0x7f800001
	s_mov_b32 s18, exec_lo
	s_delay_alu instid0(VALU_DEP_2)
	v_cmpx_ne_u32_e32 0x7f, v8
	s_cbranch_execz .LBB372_2454
; %bb.2451:                             ;   in Loop: Header=BB372_2086 Depth=1
	v_mov_b64_e32 v[82:83], v[22:23]
	v_lshrrev_b32_e32 v6, 3, v8
	s_mov_b32 s19, exec_lo
	v_cmpx_gt_u32_e32 8, v8
; %bb.2452:                             ;   in Loop: Header=BB372_2086 Depth=1
	v_and_b32_e32 v6, 7, v81
	s_delay_alu instid0(VALU_DEP_1) | instskip(NEXT) | instid1(VALU_DEP_1)
	v_clz_i32_u32_e32 v6, v6
	v_min_u32_e32 v6, 32, v6
	s_delay_alu instid0(VALU_DEP_1) | instskip(SKIP_1) | instid1(VALU_DEP_2)
	v_subrev_nc_u32_e32 v8, 28, v6
	v_sub_nc_u32_e32 v6, 29, v6
	v_lshlrev_b64_e32 v[82:83], v8, v[22:23]
; %bb.2453:                             ;   in Loop: Header=BB372_2086 Depth=1
	s_or_b32 exec_lo, exec_lo, s19
	s_delay_alu instid0(VALU_DEP_1) | instskip(SKIP_2) | instid1(VALU_DEP_3)
	v_lshlrev_b32_e32 v8, 20, v82
	v_lshlrev_b32_e32 v9, 24, v22
	v_lshl_add_u32 v6, v6, 23, 0x3c000000
	v_and_b32_e32 v8, 0x700000, v8
	s_delay_alu instid0(VALU_DEP_3) | instskip(NEXT) | instid1(VALU_DEP_1)
	v_and_b32_e32 v9, 0x80000000, v9
	v_or3_b32 v6, v8, v9, v6
.LBB372_2454:                           ;   in Loop: Header=BB372_2086 Depth=1
	s_or_b32 exec_lo, exec_lo, s18
.LBB372_2455:                           ;   in Loop: Header=BB372_2086 Depth=1
	s_delay_alu instid0(SALU_CYCLE_1)
	s_or_b32 exec_lo, exec_lo, s17
.LBB372_2456:                           ;   in Loop: Header=BB372_2086 Depth=1
	s_delay_alu instid0(SALU_CYCLE_1) | instskip(SKIP_2) | instid1(VALU_DEP_1)
	s_or_b32 exec_lo, exec_lo, s16
	v_lshrrev_b16 v8, 8, v22
	s_mov_b32 s16, exec_lo
	v_cmpx_ne_u16_e32 0, v8
	s_cbranch_execz .LBB372_2464
; %bb.2457:                             ;   in Loop: Header=BB372_2086 Depth=1
	v_bfrev_b32_e32 v7, 1
	s_mov_b32 s17, exec_lo
	v_cmpx_ne_u16_e32 0x80, v8
	s_cbranch_execz .LBB372_2463
; %bb.2458:                             ;   in Loop: Header=BB372_2086 Depth=1
	v_and_b32_e32 v9, 0xffff, v8
	v_mov_b32_e32 v7, 0x7f800001
	s_mov_b32 s18, exec_lo
	s_delay_alu instid0(VALU_DEP_2) | instskip(NEXT) | instid1(VALU_DEP_1)
	v_and_b32_e32 v8, 0x7f, v9
	v_cmpx_ne_u32_e32 0x7f, v8
	s_cbranch_execz .LBB372_2462
; %bb.2459:                             ;   in Loop: Header=BB372_2086 Depth=1
	v_dual_mov_b32 v83, v23 :: v_dual_bitop2_b32 v82, 7, v9 bitop3:0x40
	v_lshrrev_b32_e32 v7, 3, v8
	s_mov_b32 s19, exec_lo
	v_cmpx_gt_u32_e32 8, v8
; %bb.2460:                             ;   in Loop: Header=BB372_2086 Depth=1
	s_delay_alu instid0(VALU_DEP_3) | instskip(NEXT) | instid1(VALU_DEP_1)
	v_clz_i32_u32_e32 v7, v82
	v_min_u32_e32 v7, 32, v7
	s_delay_alu instid0(VALU_DEP_1) | instskip(NEXT) | instid1(VALU_DEP_1)
	v_subrev_nc_u32_e32 v8, 28, v7
	v_lshlrev_b64_e32 v[8:9], v8, v[82:83]
	s_delay_alu instid0(VALU_DEP_1)
	v_dual_sub_nc_u32 v7, 29, v7 :: v_dual_bitop2_b32 v82, 7, v8 bitop3:0x40
; %bb.2461:                             ;   in Loop: Header=BB372_2086 Depth=1
	s_or_b32 exec_lo, exec_lo, s19
	v_lshlrev_b32_e32 v8, 16, v22
	s_delay_alu instid0(VALU_DEP_2) | instskip(NEXT) | instid1(VALU_DEP_3)
	v_lshlrev_b32_e32 v9, 20, v82
	v_lshl_add_u32 v7, v7, 23, 0x3c000000
	s_delay_alu instid0(VALU_DEP_3) | instskip(NEXT) | instid1(VALU_DEP_1)
	v_and_b32_e32 v8, 0x80000000, v8
	v_or3_b32 v7, v9, v8, v7
.LBB372_2462:                           ;   in Loop: Header=BB372_2086 Depth=1
	s_or_b32 exec_lo, exec_lo, s18
.LBB372_2463:                           ;   in Loop: Header=BB372_2086 Depth=1
	s_delay_alu instid0(SALU_CYCLE_1)
	s_or_b32 exec_lo, exec_lo, s17
.LBB372_2464:                           ;   in Loop: Header=BB372_2086 Depth=1
	s_delay_alu instid0(SALU_CYCLE_1) | instskip(SKIP_3) | instid1(VALU_DEP_2)
	s_or_b32 exec_lo, exec_lo, s16
	v_dual_lshrrev_b32 v10, 16, v81 :: v_dual_mov_b32 v8, 0
	v_mov_b32_e32 v9, 0
	s_mov_b32 s16, exec_lo
	v_and_b32_e32 v11, 0xff, v10
	s_delay_alu instid0(VALU_DEP_1)
	v_cmpx_ne_u16_e32 0, v11
	s_cbranch_execz .LBB372_2472
; %bb.2465:                             ;   in Loop: Header=BB372_2086 Depth=1
	v_bfrev_b32_e32 v9, 1
	s_mov_b32 s17, exec_lo
	v_cmpx_ne_u16_e32 0x80, v11
	s_cbranch_execz .LBB372_2471
; %bb.2466:                             ;   in Loop: Header=BB372_2086 Depth=1
	v_bfe_u32 v11, v81, 16, 7
	v_mov_b32_e32 v9, 0x7f800001
	s_mov_b32 s18, exec_lo
	s_delay_alu instid0(VALU_DEP_2)
	v_cmpx_ne_u32_e32 0x7f, v11
	s_cbranch_execz .LBB372_2470
; %bb.2467:                             ;   in Loop: Header=BB372_2086 Depth=1
	v_dual_lshrrev_b32 v9, 3, v11 :: v_dual_bitop2_b32 v22, 7, v10 bitop3:0x40
	s_mov_b32 s19, exec_lo
	s_delay_alu instid0(VALU_DEP_1)
	v_mov_b64_e32 v[82:83], v[22:23]
	v_cmpx_gt_u32_e32 8, v11
; %bb.2468:                             ;   in Loop: Header=BB372_2086 Depth=1
	v_clz_i32_u32_e32 v9, v22
	s_delay_alu instid0(VALU_DEP_1) | instskip(NEXT) | instid1(VALU_DEP_1)
	v_min_u32_e32 v9, 32, v9
	v_subrev_nc_u32_e32 v11, 28, v9
	s_delay_alu instid0(VALU_DEP_1) | instskip(NEXT) | instid1(VALU_DEP_1)
	v_lshlrev_b64_e32 v[64:65], v11, v[22:23]
	v_dual_sub_nc_u32 v9, 29, v9 :: v_dual_bitop2_b32 v82, 7, v64 bitop3:0x40
; %bb.2469:                             ;   in Loop: Header=BB372_2086 Depth=1
	s_or_b32 exec_lo, exec_lo, s19
	v_lshlrev_b32_e32 v10, 24, v10
	s_delay_alu instid0(VALU_DEP_2) | instskip(NEXT) | instid1(VALU_DEP_3)
	v_lshlrev_b32_e32 v11, 20, v82
	v_lshl_add_u32 v9, v9, 23, 0x3c000000
	s_delay_alu instid0(VALU_DEP_3) | instskip(NEXT) | instid1(VALU_DEP_1)
	v_and_b32_e32 v10, 0x80000000, v10
	v_or3_b32 v9, v11, v10, v9
.LBB372_2470:                           ;   in Loop: Header=BB372_2086 Depth=1
	s_or_b32 exec_lo, exec_lo, s18
.LBB372_2471:                           ;   in Loop: Header=BB372_2086 Depth=1
	s_delay_alu instid0(SALU_CYCLE_1)
	s_or_b32 exec_lo, exec_lo, s17
.LBB372_2472:                           ;   in Loop: Header=BB372_2086 Depth=1
	s_delay_alu instid0(SALU_CYCLE_1) | instskip(NEXT) | instid1(SALU_CYCLE_1)
	s_or_b32 exec_lo, exec_lo, s16
	s_mov_b32 s16, exec_lo
	v_cmpx_lt_u64_e64 s[2:3], v[80:81]
	s_cbranch_execz .LBB372_2480
; %bb.2473:                             ;   in Loop: Header=BB372_2086 Depth=1
	v_lshrrev_b32_e32 v10, 24, v81
	v_bfrev_b32_e32 v8, 1
	s_mov_b32 s17, exec_lo
	s_delay_alu instid0(VALU_DEP_2)
	v_cmpx_ne_u32_e32 0x80, v10
	s_cbranch_execz .LBB372_2479
; %bb.2474:                             ;   in Loop: Header=BB372_2086 Depth=1
	v_bfe_u32 v11, v81, 24, 7
	v_mov_b32_e32 v8, 0x7f800001
	s_mov_b32 s18, exec_lo
	s_delay_alu instid0(VALU_DEP_2)
	v_cmpx_ne_u32_e32 0x7f, v11
	s_cbranch_execz .LBB372_2478
; %bb.2475:                             ;   in Loop: Header=BB372_2086 Depth=1
	v_dual_lshrrev_b32 v8, 3, v11 :: v_dual_bitop2_b32 v22, 7, v10 bitop3:0x40
	s_mov_b32 s19, exec_lo
	s_delay_alu instid0(VALU_DEP_1)
	v_mov_b64_e32 v[80:81], v[22:23]
	v_cmpx_gt_u32_e32 8, v11
; %bb.2476:                             ;   in Loop: Header=BB372_2086 Depth=1
	v_clz_i32_u32_e32 v8, v22
	s_delay_alu instid0(VALU_DEP_1) | instskip(NEXT) | instid1(VALU_DEP_1)
	v_min_u32_e32 v8, 32, v8
	v_subrev_nc_u32_e32 v11, 28, v8
	v_sub_nc_u32_e32 v8, 29, v8
	s_delay_alu instid0(VALU_DEP_2) | instskip(NEXT) | instid1(VALU_DEP_1)
	v_lshlrev_b64_e32 v[64:65], v11, v[22:23]
	v_and_b32_e32 v80, 7, v64
; %bb.2477:                             ;   in Loop: Header=BB372_2086 Depth=1
	s_or_b32 exec_lo, exec_lo, s19
	s_delay_alu instid0(VALU_DEP_1) | instskip(SKIP_1) | instid1(VALU_DEP_2)
	v_dual_lshlrev_b32 v10, 24, v10 :: v_dual_lshlrev_b32 v11, 20, v80
	v_lshl_add_u32 v8, v8, 23, 0x3c000000
	v_and_b32_e32 v10, 0x80000000, v10
	s_delay_alu instid0(VALU_DEP_1)
	v_or3_b32 v8, v11, v10, v8
.LBB372_2478:                           ;   in Loop: Header=BB372_2086 Depth=1
	s_or_b32 exec_lo, exec_lo, s18
.LBB372_2479:                           ;   in Loop: Header=BB372_2086 Depth=1
	s_delay_alu instid0(SALU_CYCLE_1)
	s_or_b32 exec_lo, exec_lo, s17
.LBB372_2480:                           ;   in Loop: Header=BB372_2086 Depth=1
	s_delay_alu instid0(SALU_CYCLE_1)
	s_or_b32 exec_lo, exec_lo, s16
	v_fma_mixlo_bf16 v2, v86, v2, 0
	v_fma_mixlo_bf16 v7, v86, v7, 0
	;; [unrolled: 1-line block ×5, first 2 shown]
	scratch_store_b32 off, v2, s32 offset:572 ; 4-byte Folded Spill
	s_wait_xcnt 0x0
	v_fma_mixlo_bf16 v2, v86, v9, 0
	s_clause 0x1
	scratch_store_b32 off, v7, s32 offset:516
	scratch_store_b32 off, v6, s32 offset:524
	v_fma_mixlo_bf16 v3, v86, v3, 0
	s_clause 0x1
	scratch_store_b32 off, v5, s32 offset:548
	scratch_store_b32 off, v2, s32 offset:532
	s_wait_xcnt 0x0
	v_fma_mixlo_bf16 v2, v86, v8, 0
	s_clause 0x2
	scratch_store_b32 off, v4, s32 offset:556
	scratch_store_b32 off, v3, s32 offset:564
	;; [unrolled: 1-line block ×3, first 2 shown]
	s_wait_xcnt 0x0
	s_and_saveexec_b32 s16, vcc_lo
	s_cbranch_execz .LBB372_2482
; %bb.2481:                             ;   in Loop: Header=BB372_2086 Depth=1
	s_clause 0x1
	scratch_load_b32 v2, off, s32 offset:192
	scratch_load_b32 v3, off, s32 offset:572
	s_wait_loadcnt 0x1
	v_cmp_lt_i32_e64 s0, v63, v2
	s_wait_loadcnt 0x0
	s_delay_alu instid0(VALU_DEP_1)
	v_cndmask_b32_e64 v3, 0, v3, s0
	v_cmp_lt_i32_e64 s0, v95, v2
	s_clause 0x1
	scratch_store_b32 off, v3, s32 offset:572
	scratch_load_b32 v3, off, s32 offset:564
	s_wait_loadcnt 0x0
	v_cndmask_b32_e64 v3, 0, v3, s0
	v_cmp_lt_i32_e64 s0, v94, v2
	s_clause 0x1
	scratch_store_b32 off, v3, s32 offset:564
	scratch_load_b32 v3, off, s32 offset:556
	s_wait_loadcnt 0x0
	;; [unrolled: 6-line block ×6, first 2 shown]
	v_cndmask_b32_e64 v3, 0, v3, s0
	v_cmp_lt_i32_e64 s0, v89, v2
	scratch_load_b32 v2, off, s32 offset:540 ; 4-byte Folded Reload
	s_wait_loadcnt 0x0
	v_cndmask_b32_e64 v2, 0, v2, s0
	s_clause 0x1
	scratch_store_b32 off, v3, s32 offset:532
	scratch_store_b32 off, v2, s32 offset:540
.LBB372_2482:                           ;   in Loop: Header=BB372_2086 Depth=1
	s_wait_xcnt 0x0
	s_or_b32 exec_lo, exec_lo, s16
	flat_load_b64 v[80:81], v[18:19] offset:1536
	v_dual_mov_b32 v3, 0 :: v_dual_mov_b32 v2, 0
	s_mov_b32 s16, exec_lo
	s_wait_loadcnt_dscnt 0x0
	v_and_b32_e32 v4, 0xff, v80
	s_wait_xcnt 0x0
	s_delay_alu instid0(VALU_DEP_1)
	v_cmpx_ne_u16_e32 0, v4
	s_cbranch_execz .LBB372_2490
; %bb.2483:                             ;   in Loop: Header=BB372_2086 Depth=1
	v_bfrev_b32_e32 v2, 1
	s_mov_b32 s17, exec_lo
	v_cmpx_ne_u16_e32 0x80, v4
	s_cbranch_execz .LBB372_2489
; %bb.2484:                             ;   in Loop: Header=BB372_2086 Depth=1
	v_and_b32_e32 v4, 0x7f, v80
	v_mov_b32_e32 v2, 0x7f800001
	s_mov_b32 s18, exec_lo
	s_delay_alu instid0(VALU_DEP_2)
	v_cmpx_ne_u32_e32 0x7f, v4
	s_cbranch_execz .LBB372_2488
; %bb.2485:                             ;   in Loop: Header=BB372_2086 Depth=1
	v_mov_b64_e32 v[82:83], v[80:81]
	v_lshrrev_b32_e32 v2, 3, v4
	s_mov_b32 s19, exec_lo
	v_cmpx_gt_u32_e32 8, v4
; %bb.2486:                             ;   in Loop: Header=BB372_2086 Depth=1
	v_and_b32_e32 v2, 7, v80
	s_delay_alu instid0(VALU_DEP_1) | instskip(NEXT) | instid1(VALU_DEP_1)
	v_clz_i32_u32_e32 v2, v2
	v_min_u32_e32 v2, 32, v2
	s_delay_alu instid0(VALU_DEP_1) | instskip(SKIP_1) | instid1(VALU_DEP_2)
	v_subrev_nc_u32_e32 v4, 28, v2
	v_sub_nc_u32_e32 v2, 29, v2
	v_lshlrev_b64_e32 v[82:83], v4, v[80:81]
; %bb.2487:                             ;   in Loop: Header=BB372_2086 Depth=1
	s_or_b32 exec_lo, exec_lo, s19
	s_delay_alu instid0(VALU_DEP_1) | instskip(NEXT) | instid1(VALU_DEP_3)
	v_dual_lshlrev_b32 v4, 20, v82 :: v_dual_lshlrev_b32 v5, 24, v80
	v_lshl_add_u32 v2, v2, 23, 0x3c000000
	s_delay_alu instid0(VALU_DEP_2) | instskip(NEXT) | instid1(VALU_DEP_3)
	v_and_b32_e32 v4, 0x700000, v4
	v_and_b32_e32 v5, 0x80000000, v5
	s_delay_alu instid0(VALU_DEP_1)
	v_or3_b32 v2, v4, v5, v2
.LBB372_2488:                           ;   in Loop: Header=BB372_2086 Depth=1
	s_or_b32 exec_lo, exec_lo, s18
.LBB372_2489:                           ;   in Loop: Header=BB372_2086 Depth=1
	s_delay_alu instid0(SALU_CYCLE_1)
	s_or_b32 exec_lo, exec_lo, s17
.LBB372_2490:                           ;   in Loop: Header=BB372_2086 Depth=1
	s_delay_alu instid0(SALU_CYCLE_1) | instskip(SKIP_2) | instid1(VALU_DEP_1)
	s_or_b32 exec_lo, exec_lo, s16
	v_lshrrev_b16 v4, 8, v80
	s_mov_b32 s16, exec_lo
	v_cmpx_ne_u16_e32 0, v4
	s_cbranch_execz .LBB372_2498
; %bb.2491:                             ;   in Loop: Header=BB372_2086 Depth=1
	v_bfrev_b32_e32 v3, 1
	s_mov_b32 s17, exec_lo
	v_cmpx_ne_u16_e32 0x80, v4
	s_cbranch_execz .LBB372_2497
; %bb.2492:                             ;   in Loop: Header=BB372_2086 Depth=1
	v_and_b32_e32 v5, 0xffff, v4
	v_mov_b32_e32 v3, 0x7f800001
	s_mov_b32 s18, exec_lo
	s_delay_alu instid0(VALU_DEP_2) | instskip(NEXT) | instid1(VALU_DEP_1)
	v_and_b32_e32 v4, 0x7f, v5
	v_cmpx_ne_u32_e32 0x7f, v4
	s_cbranch_execz .LBB372_2496
; %bb.2493:                             ;   in Loop: Header=BB372_2086 Depth=1
	v_dual_lshrrev_b32 v3, 3, v4 :: v_dual_bitop2_b32 v22, 7, v5 bitop3:0x40
	s_mov_b32 s19, exec_lo
	s_delay_alu instid0(VALU_DEP_1)
	v_mov_b64_e32 v[82:83], v[22:23]
	v_cmpx_gt_u32_e32 8, v4
; %bb.2494:                             ;   in Loop: Header=BB372_2086 Depth=1
	v_clz_i32_u32_e32 v3, v22
	s_delay_alu instid0(VALU_DEP_1) | instskip(NEXT) | instid1(VALU_DEP_1)
	v_min_u32_e32 v3, 32, v3
	v_subrev_nc_u32_e32 v4, 28, v3
	s_delay_alu instid0(VALU_DEP_1) | instskip(NEXT) | instid1(VALU_DEP_1)
	v_lshlrev_b64_e32 v[4:5], v4, v[22:23]
	v_dual_sub_nc_u32 v3, 29, v3 :: v_dual_bitop2_b32 v82, 7, v4 bitop3:0x40
; %bb.2495:                             ;   in Loop: Header=BB372_2086 Depth=1
	s_or_b32 exec_lo, exec_lo, s19
	s_delay_alu instid0(VALU_DEP_1) | instskip(NEXT) | instid1(VALU_DEP_2)
	v_dual_lshlrev_b32 v4, 16, v80 :: v_dual_lshlrev_b32 v5, 20, v82
	v_lshl_add_u32 v3, v3, 23, 0x3c000000
	s_delay_alu instid0(VALU_DEP_2) | instskip(NEXT) | instid1(VALU_DEP_1)
	v_and_b32_e32 v4, 0x80000000, v4
	v_or3_b32 v3, v5, v4, v3
.LBB372_2496:                           ;   in Loop: Header=BB372_2086 Depth=1
	s_or_b32 exec_lo, exec_lo, s18
.LBB372_2497:                           ;   in Loop: Header=BB372_2086 Depth=1
	s_delay_alu instid0(SALU_CYCLE_1)
	s_or_b32 exec_lo, exec_lo, s17
.LBB372_2498:                           ;   in Loop: Header=BB372_2086 Depth=1
	s_delay_alu instid0(SALU_CYCLE_1) | instskip(SKIP_3) | instid1(VALU_DEP_2)
	s_or_b32 exec_lo, exec_lo, s16
	v_dual_mov_b32 v5, 0 :: v_dual_lshrrev_b32 v6, 16, v80
	v_mov_b32_e32 v4, 0
	s_mov_b32 s16, exec_lo
	v_and_b32_e32 v7, 0xff, v6
	s_delay_alu instid0(VALU_DEP_1)
	v_cmpx_ne_u16_e32 0, v7
	s_cbranch_execz .LBB372_2506
; %bb.2499:                             ;   in Loop: Header=BB372_2086 Depth=1
	v_bfrev_b32_e32 v4, 1
	s_mov_b32 s17, exec_lo
	v_cmpx_ne_u16_e32 0x80, v7
	s_cbranch_execz .LBB372_2505
; %bb.2500:                             ;   in Loop: Header=BB372_2086 Depth=1
	v_bfe_u32 v7, v80, 16, 7
	v_mov_b32_e32 v4, 0x7f800001
	s_mov_b32 s18, exec_lo
	s_delay_alu instid0(VALU_DEP_2)
	v_cmpx_ne_u32_e32 0x7f, v7
	s_cbranch_execz .LBB372_2504
; %bb.2501:                             ;   in Loop: Header=BB372_2086 Depth=1
	v_dual_lshrrev_b32 v4, 3, v7 :: v_dual_bitop2_b32 v22, 7, v6 bitop3:0x40
	s_mov_b32 s19, exec_lo
	s_delay_alu instid0(VALU_DEP_1)
	v_mov_b64_e32 v[82:83], v[22:23]
	v_cmpx_gt_u32_e32 8, v7
; %bb.2502:                             ;   in Loop: Header=BB372_2086 Depth=1
	v_clz_i32_u32_e32 v4, v22
	s_delay_alu instid0(VALU_DEP_1) | instskip(NEXT) | instid1(VALU_DEP_1)
	v_min_u32_e32 v4, 32, v4
	v_subrev_nc_u32_e32 v7, 28, v4
	v_sub_nc_u32_e32 v4, 29, v4
	s_delay_alu instid0(VALU_DEP_2) | instskip(NEXT) | instid1(VALU_DEP_1)
	v_lshlrev_b64_e32 v[8:9], v7, v[22:23]
	v_and_b32_e32 v82, 7, v8
; %bb.2503:                             ;   in Loop: Header=BB372_2086 Depth=1
	s_or_b32 exec_lo, exec_lo, s19
	v_lshlrev_b32_e32 v6, 24, v6
	s_delay_alu instid0(VALU_DEP_2) | instskip(SKIP_1) | instid1(VALU_DEP_3)
	v_lshlrev_b32_e32 v7, 20, v82
	v_lshl_add_u32 v4, v4, 23, 0x3c000000
	v_and_b32_e32 v6, 0x80000000, v6
	s_delay_alu instid0(VALU_DEP_1)
	v_or3_b32 v4, v7, v6, v4
.LBB372_2504:                           ;   in Loop: Header=BB372_2086 Depth=1
	s_or_b32 exec_lo, exec_lo, s18
.LBB372_2505:                           ;   in Loop: Header=BB372_2086 Depth=1
	s_delay_alu instid0(SALU_CYCLE_1)
	s_or_b32 exec_lo, exec_lo, s17
.LBB372_2506:                           ;   in Loop: Header=BB372_2086 Depth=1
	s_delay_alu instid0(SALU_CYCLE_1) | instskip(NEXT) | instid1(SALU_CYCLE_1)
	s_or_b32 exec_lo, exec_lo, s16
	s_mov_b32 s16, exec_lo
	v_cmpx_lt_u32_e32 0xffffff, v80
	s_cbranch_execz .LBB372_2514
; %bb.2507:                             ;   in Loop: Header=BB372_2086 Depth=1
	v_lshrrev_b32_e32 v6, 24, v80
	v_bfrev_b32_e32 v5, 1
	s_mov_b32 s17, exec_lo
	s_delay_alu instid0(VALU_DEP_2)
	v_cmpx_ne_u32_e32 0x80, v6
	s_cbranch_execz .LBB372_2513
; %bb.2508:                             ;   in Loop: Header=BB372_2086 Depth=1
	v_bfe_u32 v7, v80, 24, 7
	v_mov_b32_e32 v5, 0x7f800001
	s_mov_b32 s18, exec_lo
	s_delay_alu instid0(VALU_DEP_2)
	v_cmpx_ne_u32_e32 0x7f, v7
	s_cbranch_execz .LBB372_2512
; %bb.2509:                             ;   in Loop: Header=BB372_2086 Depth=1
	v_dual_lshrrev_b32 v5, 3, v7 :: v_dual_bitop2_b32 v22, 7, v6 bitop3:0x40
	s_mov_b32 s19, exec_lo
	s_delay_alu instid0(VALU_DEP_1)
	v_mov_b64_e32 v[82:83], v[22:23]
	v_cmpx_gt_u32_e32 8, v7
; %bb.2510:                             ;   in Loop: Header=BB372_2086 Depth=1
	v_clz_i32_u32_e32 v5, v22
	s_delay_alu instid0(VALU_DEP_1) | instskip(NEXT) | instid1(VALU_DEP_1)
	v_min_u32_e32 v5, 32, v5
	v_subrev_nc_u32_e32 v7, 28, v5
	s_delay_alu instid0(VALU_DEP_1) | instskip(NEXT) | instid1(VALU_DEP_1)
	v_lshlrev_b64_e32 v[8:9], v7, v[22:23]
	v_dual_sub_nc_u32 v5, 29, v5 :: v_dual_bitop2_b32 v82, 7, v8 bitop3:0x40
; %bb.2511:                             ;   in Loop: Header=BB372_2086 Depth=1
	s_or_b32 exec_lo, exec_lo, s19
	v_lshlrev_b32_e32 v6, 24, v6
	s_delay_alu instid0(VALU_DEP_2) | instskip(NEXT) | instid1(VALU_DEP_3)
	v_lshlrev_b32_e32 v7, 20, v82
	v_lshl_add_u32 v5, v5, 23, 0x3c000000
	s_delay_alu instid0(VALU_DEP_3) | instskip(NEXT) | instid1(VALU_DEP_1)
	v_and_b32_e32 v6, 0x80000000, v6
	v_or3_b32 v5, v7, v6, v5
.LBB372_2512:                           ;   in Loop: Header=BB372_2086 Depth=1
	s_or_b32 exec_lo, exec_lo, s18
.LBB372_2513:                           ;   in Loop: Header=BB372_2086 Depth=1
	s_delay_alu instid0(SALU_CYCLE_1)
	s_or_b32 exec_lo, exec_lo, s17
.LBB372_2514:                           ;   in Loop: Header=BB372_2086 Depth=1
	s_delay_alu instid0(SALU_CYCLE_1) | instskip(SKIP_4) | instid1(VALU_DEP_3)
	s_or_b32 exec_lo, exec_lo, s16
	v_and_b32_e32 v8, 0xff, v81
	v_dual_mov_b32 v22, v81 :: v_dual_mov_b32 v7, 0
	v_mov_b32_e32 v6, 0
	s_mov_b32 s16, exec_lo
	v_cmpx_ne_u16_e32 0, v8
	s_cbranch_execz .LBB372_2522
; %bb.2515:                             ;   in Loop: Header=BB372_2086 Depth=1
	v_bfrev_b32_e32 v6, 1
	s_mov_b32 s17, exec_lo
	v_cmpx_ne_u16_e32 0x80, v8
	s_cbranch_execz .LBB372_2521
; %bb.2516:                             ;   in Loop: Header=BB372_2086 Depth=1
	v_and_b32_e32 v8, 0x7f, v81
	v_mov_b32_e32 v6, 0x7f800001
	s_mov_b32 s18, exec_lo
	s_delay_alu instid0(VALU_DEP_2)
	v_cmpx_ne_u32_e32 0x7f, v8
	s_cbranch_execz .LBB372_2520
; %bb.2517:                             ;   in Loop: Header=BB372_2086 Depth=1
	v_mov_b64_e32 v[82:83], v[22:23]
	v_lshrrev_b32_e32 v6, 3, v8
	s_mov_b32 s19, exec_lo
	v_cmpx_gt_u32_e32 8, v8
; %bb.2518:                             ;   in Loop: Header=BB372_2086 Depth=1
	v_and_b32_e32 v6, 7, v81
	s_delay_alu instid0(VALU_DEP_1) | instskip(NEXT) | instid1(VALU_DEP_1)
	v_clz_i32_u32_e32 v6, v6
	v_min_u32_e32 v6, 32, v6
	s_delay_alu instid0(VALU_DEP_1) | instskip(SKIP_1) | instid1(VALU_DEP_2)
	v_subrev_nc_u32_e32 v8, 28, v6
	v_sub_nc_u32_e32 v6, 29, v6
	v_lshlrev_b64_e32 v[82:83], v8, v[22:23]
; %bb.2519:                             ;   in Loop: Header=BB372_2086 Depth=1
	s_or_b32 exec_lo, exec_lo, s19
	s_delay_alu instid0(VALU_DEP_1) | instskip(SKIP_2) | instid1(VALU_DEP_3)
	v_lshlrev_b32_e32 v8, 20, v82
	v_lshlrev_b32_e32 v9, 24, v22
	v_lshl_add_u32 v6, v6, 23, 0x3c000000
	v_and_b32_e32 v8, 0x700000, v8
	s_delay_alu instid0(VALU_DEP_3) | instskip(NEXT) | instid1(VALU_DEP_1)
	v_and_b32_e32 v9, 0x80000000, v9
	v_or3_b32 v6, v8, v9, v6
.LBB372_2520:                           ;   in Loop: Header=BB372_2086 Depth=1
	s_or_b32 exec_lo, exec_lo, s18
.LBB372_2521:                           ;   in Loop: Header=BB372_2086 Depth=1
	s_delay_alu instid0(SALU_CYCLE_1)
	s_or_b32 exec_lo, exec_lo, s17
.LBB372_2522:                           ;   in Loop: Header=BB372_2086 Depth=1
	s_delay_alu instid0(SALU_CYCLE_1) | instskip(SKIP_2) | instid1(VALU_DEP_1)
	s_or_b32 exec_lo, exec_lo, s16
	v_lshrrev_b16 v8, 8, v22
	s_mov_b32 s16, exec_lo
	v_cmpx_ne_u16_e32 0, v8
	s_cbranch_execz .LBB372_2530
; %bb.2523:                             ;   in Loop: Header=BB372_2086 Depth=1
	v_bfrev_b32_e32 v7, 1
	s_mov_b32 s17, exec_lo
	v_cmpx_ne_u16_e32 0x80, v8
	s_cbranch_execz .LBB372_2529
; %bb.2524:                             ;   in Loop: Header=BB372_2086 Depth=1
	v_and_b32_e32 v9, 0xffff, v8
	v_mov_b32_e32 v7, 0x7f800001
	s_mov_b32 s18, exec_lo
	s_delay_alu instid0(VALU_DEP_2) | instskip(NEXT) | instid1(VALU_DEP_1)
	v_and_b32_e32 v8, 0x7f, v9
	v_cmpx_ne_u32_e32 0x7f, v8
	s_cbranch_execz .LBB372_2528
; %bb.2525:                             ;   in Loop: Header=BB372_2086 Depth=1
	v_dual_mov_b32 v83, v23 :: v_dual_bitop2_b32 v82, 7, v9 bitop3:0x40
	v_lshrrev_b32_e32 v7, 3, v8
	s_mov_b32 s19, exec_lo
	v_cmpx_gt_u32_e32 8, v8
; %bb.2526:                             ;   in Loop: Header=BB372_2086 Depth=1
	s_delay_alu instid0(VALU_DEP_3) | instskip(NEXT) | instid1(VALU_DEP_1)
	v_clz_i32_u32_e32 v7, v82
	v_min_u32_e32 v7, 32, v7
	s_delay_alu instid0(VALU_DEP_1) | instskip(NEXT) | instid1(VALU_DEP_1)
	v_subrev_nc_u32_e32 v8, 28, v7
	v_lshlrev_b64_e32 v[8:9], v8, v[82:83]
	s_delay_alu instid0(VALU_DEP_1)
	v_dual_sub_nc_u32 v7, 29, v7 :: v_dual_bitop2_b32 v82, 7, v8 bitop3:0x40
; %bb.2527:                             ;   in Loop: Header=BB372_2086 Depth=1
	s_or_b32 exec_lo, exec_lo, s19
	v_lshlrev_b32_e32 v8, 16, v22
	s_delay_alu instid0(VALU_DEP_2) | instskip(NEXT) | instid1(VALU_DEP_3)
	v_lshlrev_b32_e32 v9, 20, v82
	v_lshl_add_u32 v7, v7, 23, 0x3c000000
	s_delay_alu instid0(VALU_DEP_3) | instskip(NEXT) | instid1(VALU_DEP_1)
	v_and_b32_e32 v8, 0x80000000, v8
	v_or3_b32 v7, v9, v8, v7
.LBB372_2528:                           ;   in Loop: Header=BB372_2086 Depth=1
	s_or_b32 exec_lo, exec_lo, s18
.LBB372_2529:                           ;   in Loop: Header=BB372_2086 Depth=1
	s_delay_alu instid0(SALU_CYCLE_1)
	s_or_b32 exec_lo, exec_lo, s17
.LBB372_2530:                           ;   in Loop: Header=BB372_2086 Depth=1
	s_delay_alu instid0(SALU_CYCLE_1) | instskip(SKIP_3) | instid1(VALU_DEP_2)
	s_or_b32 exec_lo, exec_lo, s16
	v_dual_lshrrev_b32 v10, 16, v81 :: v_dual_mov_b32 v8, 0
	v_mov_b32_e32 v9, 0
	s_mov_b32 s16, exec_lo
	v_and_b32_e32 v11, 0xff, v10
	s_delay_alu instid0(VALU_DEP_1)
	v_cmpx_ne_u16_e32 0, v11
	s_cbranch_execz .LBB372_2538
; %bb.2531:                             ;   in Loop: Header=BB372_2086 Depth=1
	v_bfrev_b32_e32 v9, 1
	s_mov_b32 s17, exec_lo
	v_cmpx_ne_u16_e32 0x80, v11
	s_cbranch_execz .LBB372_2537
; %bb.2532:                             ;   in Loop: Header=BB372_2086 Depth=1
	v_bfe_u32 v11, v81, 16, 7
	v_mov_b32_e32 v9, 0x7f800001
	s_mov_b32 s18, exec_lo
	s_delay_alu instid0(VALU_DEP_2)
	v_cmpx_ne_u32_e32 0x7f, v11
	s_cbranch_execz .LBB372_2536
; %bb.2533:                             ;   in Loop: Header=BB372_2086 Depth=1
	v_dual_lshrrev_b32 v9, 3, v11 :: v_dual_bitop2_b32 v22, 7, v10 bitop3:0x40
	s_mov_b32 s19, exec_lo
	s_delay_alu instid0(VALU_DEP_1)
	v_mov_b64_e32 v[82:83], v[22:23]
	v_cmpx_gt_u32_e32 8, v11
; %bb.2534:                             ;   in Loop: Header=BB372_2086 Depth=1
	v_clz_i32_u32_e32 v9, v22
	s_delay_alu instid0(VALU_DEP_1) | instskip(NEXT) | instid1(VALU_DEP_1)
	v_min_u32_e32 v9, 32, v9
	v_subrev_nc_u32_e32 v11, 28, v9
	s_delay_alu instid0(VALU_DEP_1) | instskip(NEXT) | instid1(VALU_DEP_1)
	v_lshlrev_b64_e32 v[64:65], v11, v[22:23]
	v_dual_sub_nc_u32 v9, 29, v9 :: v_dual_bitop2_b32 v82, 7, v64 bitop3:0x40
; %bb.2535:                             ;   in Loop: Header=BB372_2086 Depth=1
	s_or_b32 exec_lo, exec_lo, s19
	v_lshlrev_b32_e32 v10, 24, v10
	s_delay_alu instid0(VALU_DEP_2) | instskip(NEXT) | instid1(VALU_DEP_3)
	v_lshlrev_b32_e32 v11, 20, v82
	v_lshl_add_u32 v9, v9, 23, 0x3c000000
	s_delay_alu instid0(VALU_DEP_3) | instskip(NEXT) | instid1(VALU_DEP_1)
	v_and_b32_e32 v10, 0x80000000, v10
	v_or3_b32 v9, v11, v10, v9
.LBB372_2536:                           ;   in Loop: Header=BB372_2086 Depth=1
	s_or_b32 exec_lo, exec_lo, s18
.LBB372_2537:                           ;   in Loop: Header=BB372_2086 Depth=1
	s_delay_alu instid0(SALU_CYCLE_1)
	s_or_b32 exec_lo, exec_lo, s17
.LBB372_2538:                           ;   in Loop: Header=BB372_2086 Depth=1
	s_delay_alu instid0(SALU_CYCLE_1) | instskip(NEXT) | instid1(SALU_CYCLE_1)
	s_or_b32 exec_lo, exec_lo, s16
	s_mov_b32 s16, exec_lo
	v_cmpx_lt_u64_e64 s[2:3], v[80:81]
	s_cbranch_execz .LBB372_2546
; %bb.2539:                             ;   in Loop: Header=BB372_2086 Depth=1
	v_lshrrev_b32_e32 v10, 24, v81
	v_bfrev_b32_e32 v8, 1
	s_mov_b32 s17, exec_lo
	s_delay_alu instid0(VALU_DEP_2)
	v_cmpx_ne_u32_e32 0x80, v10
	s_cbranch_execz .LBB372_2545
; %bb.2540:                             ;   in Loop: Header=BB372_2086 Depth=1
	v_bfe_u32 v11, v81, 24, 7
	v_mov_b32_e32 v8, 0x7f800001
	s_mov_b32 s18, exec_lo
	s_delay_alu instid0(VALU_DEP_2)
	v_cmpx_ne_u32_e32 0x7f, v11
	s_cbranch_execz .LBB372_2544
; %bb.2541:                             ;   in Loop: Header=BB372_2086 Depth=1
	v_dual_lshrrev_b32 v8, 3, v11 :: v_dual_bitop2_b32 v22, 7, v10 bitop3:0x40
	s_mov_b32 s19, exec_lo
	s_delay_alu instid0(VALU_DEP_1)
	v_mov_b64_e32 v[80:81], v[22:23]
	v_cmpx_gt_u32_e32 8, v11
; %bb.2542:                             ;   in Loop: Header=BB372_2086 Depth=1
	v_clz_i32_u32_e32 v8, v22
	s_delay_alu instid0(VALU_DEP_1) | instskip(NEXT) | instid1(VALU_DEP_1)
	v_min_u32_e32 v8, 32, v8
	v_subrev_nc_u32_e32 v11, 28, v8
	v_sub_nc_u32_e32 v8, 29, v8
	s_delay_alu instid0(VALU_DEP_2) | instskip(NEXT) | instid1(VALU_DEP_1)
	v_lshlrev_b64_e32 v[64:65], v11, v[22:23]
	v_and_b32_e32 v80, 7, v64
; %bb.2543:                             ;   in Loop: Header=BB372_2086 Depth=1
	s_or_b32 exec_lo, exec_lo, s19
	s_delay_alu instid0(VALU_DEP_1) | instskip(SKIP_1) | instid1(VALU_DEP_2)
	v_dual_lshlrev_b32 v10, 24, v10 :: v_dual_lshlrev_b32 v11, 20, v80
	v_lshl_add_u32 v8, v8, 23, 0x3c000000
	v_and_b32_e32 v10, 0x80000000, v10
	s_delay_alu instid0(VALU_DEP_1)
	v_or3_b32 v8, v11, v10, v8
.LBB372_2544:                           ;   in Loop: Header=BB372_2086 Depth=1
	s_or_b32 exec_lo, exec_lo, s18
.LBB372_2545:                           ;   in Loop: Header=BB372_2086 Depth=1
	s_delay_alu instid0(SALU_CYCLE_1)
	s_or_b32 exec_lo, exec_lo, s17
.LBB372_2546:                           ;   in Loop: Header=BB372_2086 Depth=1
	s_delay_alu instid0(SALU_CYCLE_1)
	s_or_b32 exec_lo, exec_lo, s16
	v_fma_mixlo_bf16 v2, v86, v2, 0
	v_fma_mixlo_bf16 v7, v86, v7, 0
	v_fma_mixlo_bf16 v6, v86, v6, 0
	v_fma_mixlo_bf16 v5, v86, v5, 0
	v_fma_mixlo_bf16 v4, v86, v4, 0
	scratch_store_b32 off, v2, s32 offset:636 ; 4-byte Folded Spill
	s_wait_xcnt 0x0
	v_fma_mixlo_bf16 v2, v86, v9, 0
	s_clause 0x1
	scratch_store_b32 off, v7, s32 offset:580
	scratch_store_b32 off, v6, s32 offset:588
	v_fma_mixlo_bf16 v3, v86, v3, 0
	s_clause 0x1
	scratch_store_b32 off, v5, s32 offset:612
	scratch_store_b32 off, v2, s32 offset:596
	s_wait_xcnt 0x0
	v_fma_mixlo_bf16 v2, v86, v8, 0
	s_clause 0x2
	scratch_store_b32 off, v4, s32 offset:620
	scratch_store_b32 off, v3, s32 offset:628
	;; [unrolled: 1-line block ×3, first 2 shown]
	s_wait_xcnt 0x0
	s_and_saveexec_b32 s16, vcc_lo
	s_cbranch_execz .LBB372_2548
; %bb.2547:                             ;   in Loop: Header=BB372_2086 Depth=1
	s_clause 0x1
	scratch_load_b32 v2, off, s32 offset:192
	scratch_load_b32 v3, off, s32 offset:636
	s_wait_loadcnt 0x1
	v_cmp_lt_i32_e64 s0, v63, v2
	s_wait_loadcnt 0x0
	s_delay_alu instid0(VALU_DEP_1)
	v_cndmask_b32_e64 v3, 0, v3, s0
	v_cmp_lt_i32_e64 s0, v95, v2
	s_clause 0x1
	scratch_store_b32 off, v3, s32 offset:636
	scratch_load_b32 v3, off, s32 offset:628
	s_wait_loadcnt 0x0
	v_cndmask_b32_e64 v3, 0, v3, s0
	v_cmp_lt_i32_e64 s0, v94, v2
	s_clause 0x1
	scratch_store_b32 off, v3, s32 offset:628
	scratch_load_b32 v3, off, s32 offset:620
	s_wait_loadcnt 0x0
	;; [unrolled: 6-line block ×6, first 2 shown]
	v_cndmask_b32_e64 v3, 0, v3, s0
	v_cmp_lt_i32_e64 s0, v89, v2
	scratch_load_b32 v2, off, s32 offset:604 ; 4-byte Folded Reload
	s_wait_loadcnt 0x0
	v_cndmask_b32_e64 v2, 0, v2, s0
	s_clause 0x1
	scratch_store_b32 off, v3, s32 offset:596
	scratch_store_b32 off, v2, s32 offset:604
.LBB372_2548:                           ;   in Loop: Header=BB372_2086 Depth=1
	s_wait_xcnt 0x0
	s_or_b32 exec_lo, exec_lo, s16
	flat_load_b64 v[80:81], v[18:19] offset:1792
	v_dual_mov_b32 v3, 0 :: v_dual_mov_b32 v2, 0
	s_mov_b32 s16, exec_lo
	s_wait_loadcnt_dscnt 0x0
	v_and_b32_e32 v4, 0xff, v80
	s_wait_xcnt 0x0
	s_delay_alu instid0(VALU_DEP_1)
	v_cmpx_ne_u16_e32 0, v4
	s_cbranch_execz .LBB372_2556
; %bb.2549:                             ;   in Loop: Header=BB372_2086 Depth=1
	v_bfrev_b32_e32 v2, 1
	s_mov_b32 s17, exec_lo
	v_cmpx_ne_u16_e32 0x80, v4
	s_cbranch_execz .LBB372_2555
; %bb.2550:                             ;   in Loop: Header=BB372_2086 Depth=1
	v_and_b32_e32 v4, 0x7f, v80
	v_mov_b32_e32 v2, 0x7f800001
	s_mov_b32 s18, exec_lo
	s_delay_alu instid0(VALU_DEP_2)
	v_cmpx_ne_u32_e32 0x7f, v4
	s_cbranch_execz .LBB372_2554
; %bb.2551:                             ;   in Loop: Header=BB372_2086 Depth=1
	v_mov_b64_e32 v[82:83], v[80:81]
	v_lshrrev_b32_e32 v2, 3, v4
	s_mov_b32 s19, exec_lo
	v_cmpx_gt_u32_e32 8, v4
; %bb.2552:                             ;   in Loop: Header=BB372_2086 Depth=1
	v_and_b32_e32 v2, 7, v80
	s_delay_alu instid0(VALU_DEP_1) | instskip(NEXT) | instid1(VALU_DEP_1)
	v_clz_i32_u32_e32 v2, v2
	v_min_u32_e32 v2, 32, v2
	s_delay_alu instid0(VALU_DEP_1) | instskip(SKIP_1) | instid1(VALU_DEP_2)
	v_subrev_nc_u32_e32 v4, 28, v2
	v_sub_nc_u32_e32 v2, 29, v2
	v_lshlrev_b64_e32 v[82:83], v4, v[80:81]
; %bb.2553:                             ;   in Loop: Header=BB372_2086 Depth=1
	s_or_b32 exec_lo, exec_lo, s19
	s_delay_alu instid0(VALU_DEP_1) | instskip(NEXT) | instid1(VALU_DEP_3)
	v_dual_lshlrev_b32 v4, 20, v82 :: v_dual_lshlrev_b32 v5, 24, v80
	v_lshl_add_u32 v2, v2, 23, 0x3c000000
	s_delay_alu instid0(VALU_DEP_2) | instskip(NEXT) | instid1(VALU_DEP_3)
	v_and_b32_e32 v4, 0x700000, v4
	v_and_b32_e32 v5, 0x80000000, v5
	s_delay_alu instid0(VALU_DEP_1)
	v_or3_b32 v2, v4, v5, v2
.LBB372_2554:                           ;   in Loop: Header=BB372_2086 Depth=1
	s_or_b32 exec_lo, exec_lo, s18
.LBB372_2555:                           ;   in Loop: Header=BB372_2086 Depth=1
	s_delay_alu instid0(SALU_CYCLE_1)
	s_or_b32 exec_lo, exec_lo, s17
.LBB372_2556:                           ;   in Loop: Header=BB372_2086 Depth=1
	s_delay_alu instid0(SALU_CYCLE_1) | instskip(SKIP_2) | instid1(VALU_DEP_1)
	s_or_b32 exec_lo, exec_lo, s16
	v_lshrrev_b16 v4, 8, v80
	s_mov_b32 s16, exec_lo
	v_cmpx_ne_u16_e32 0, v4
	s_cbranch_execz .LBB372_2564
; %bb.2557:                             ;   in Loop: Header=BB372_2086 Depth=1
	v_bfrev_b32_e32 v3, 1
	s_mov_b32 s17, exec_lo
	v_cmpx_ne_u16_e32 0x80, v4
	s_cbranch_execz .LBB372_2563
; %bb.2558:                             ;   in Loop: Header=BB372_2086 Depth=1
	v_and_b32_e32 v5, 0xffff, v4
	v_mov_b32_e32 v3, 0x7f800001
	s_mov_b32 s18, exec_lo
	s_delay_alu instid0(VALU_DEP_2) | instskip(NEXT) | instid1(VALU_DEP_1)
	v_and_b32_e32 v4, 0x7f, v5
	v_cmpx_ne_u32_e32 0x7f, v4
	s_cbranch_execz .LBB372_2562
; %bb.2559:                             ;   in Loop: Header=BB372_2086 Depth=1
	v_dual_lshrrev_b32 v3, 3, v4 :: v_dual_bitop2_b32 v22, 7, v5 bitop3:0x40
	s_mov_b32 s19, exec_lo
	s_delay_alu instid0(VALU_DEP_1)
	v_mov_b64_e32 v[82:83], v[22:23]
	v_cmpx_gt_u32_e32 8, v4
; %bb.2560:                             ;   in Loop: Header=BB372_2086 Depth=1
	v_clz_i32_u32_e32 v3, v22
	s_delay_alu instid0(VALU_DEP_1) | instskip(NEXT) | instid1(VALU_DEP_1)
	v_min_u32_e32 v3, 32, v3
	v_subrev_nc_u32_e32 v4, 28, v3
	s_delay_alu instid0(VALU_DEP_1) | instskip(NEXT) | instid1(VALU_DEP_1)
	v_lshlrev_b64_e32 v[4:5], v4, v[22:23]
	v_dual_sub_nc_u32 v3, 29, v3 :: v_dual_bitop2_b32 v82, 7, v4 bitop3:0x40
; %bb.2561:                             ;   in Loop: Header=BB372_2086 Depth=1
	s_or_b32 exec_lo, exec_lo, s19
	s_delay_alu instid0(VALU_DEP_1) | instskip(NEXT) | instid1(VALU_DEP_2)
	v_dual_lshlrev_b32 v4, 16, v80 :: v_dual_lshlrev_b32 v5, 20, v82
	v_lshl_add_u32 v3, v3, 23, 0x3c000000
	s_delay_alu instid0(VALU_DEP_2) | instskip(NEXT) | instid1(VALU_DEP_1)
	v_and_b32_e32 v4, 0x80000000, v4
	v_or3_b32 v3, v5, v4, v3
.LBB372_2562:                           ;   in Loop: Header=BB372_2086 Depth=1
	s_or_b32 exec_lo, exec_lo, s18
.LBB372_2563:                           ;   in Loop: Header=BB372_2086 Depth=1
	s_delay_alu instid0(SALU_CYCLE_1)
	s_or_b32 exec_lo, exec_lo, s17
.LBB372_2564:                           ;   in Loop: Header=BB372_2086 Depth=1
	s_delay_alu instid0(SALU_CYCLE_1) | instskip(SKIP_3) | instid1(VALU_DEP_2)
	s_or_b32 exec_lo, exec_lo, s16
	v_dual_mov_b32 v5, 0 :: v_dual_lshrrev_b32 v6, 16, v80
	v_mov_b32_e32 v4, 0
	s_mov_b32 s16, exec_lo
	v_and_b32_e32 v7, 0xff, v6
	s_delay_alu instid0(VALU_DEP_1)
	v_cmpx_ne_u16_e32 0, v7
	s_cbranch_execz .LBB372_2572
; %bb.2565:                             ;   in Loop: Header=BB372_2086 Depth=1
	v_bfrev_b32_e32 v4, 1
	s_mov_b32 s17, exec_lo
	v_cmpx_ne_u16_e32 0x80, v7
	s_cbranch_execz .LBB372_2571
; %bb.2566:                             ;   in Loop: Header=BB372_2086 Depth=1
	v_bfe_u32 v7, v80, 16, 7
	v_mov_b32_e32 v4, 0x7f800001
	s_mov_b32 s18, exec_lo
	s_delay_alu instid0(VALU_DEP_2)
	v_cmpx_ne_u32_e32 0x7f, v7
	s_cbranch_execz .LBB372_2570
; %bb.2567:                             ;   in Loop: Header=BB372_2086 Depth=1
	v_dual_lshrrev_b32 v4, 3, v7 :: v_dual_bitop2_b32 v22, 7, v6 bitop3:0x40
	s_mov_b32 s19, exec_lo
	s_delay_alu instid0(VALU_DEP_1)
	v_mov_b64_e32 v[82:83], v[22:23]
	v_cmpx_gt_u32_e32 8, v7
; %bb.2568:                             ;   in Loop: Header=BB372_2086 Depth=1
	v_clz_i32_u32_e32 v4, v22
	s_delay_alu instid0(VALU_DEP_1) | instskip(NEXT) | instid1(VALU_DEP_1)
	v_min_u32_e32 v4, 32, v4
	v_subrev_nc_u32_e32 v7, 28, v4
	v_sub_nc_u32_e32 v4, 29, v4
	s_delay_alu instid0(VALU_DEP_2) | instskip(NEXT) | instid1(VALU_DEP_1)
	v_lshlrev_b64_e32 v[8:9], v7, v[22:23]
	v_and_b32_e32 v82, 7, v8
; %bb.2569:                             ;   in Loop: Header=BB372_2086 Depth=1
	s_or_b32 exec_lo, exec_lo, s19
	v_lshlrev_b32_e32 v6, 24, v6
	s_delay_alu instid0(VALU_DEP_2) | instskip(SKIP_1) | instid1(VALU_DEP_3)
	v_lshlrev_b32_e32 v7, 20, v82
	v_lshl_add_u32 v4, v4, 23, 0x3c000000
	v_and_b32_e32 v6, 0x80000000, v6
	s_delay_alu instid0(VALU_DEP_1)
	v_or3_b32 v4, v7, v6, v4
.LBB372_2570:                           ;   in Loop: Header=BB372_2086 Depth=1
	s_or_b32 exec_lo, exec_lo, s18
.LBB372_2571:                           ;   in Loop: Header=BB372_2086 Depth=1
	s_delay_alu instid0(SALU_CYCLE_1)
	s_or_b32 exec_lo, exec_lo, s17
.LBB372_2572:                           ;   in Loop: Header=BB372_2086 Depth=1
	s_delay_alu instid0(SALU_CYCLE_1) | instskip(NEXT) | instid1(SALU_CYCLE_1)
	s_or_b32 exec_lo, exec_lo, s16
	s_mov_b32 s16, exec_lo
	v_cmpx_lt_u32_e32 0xffffff, v80
	s_cbranch_execz .LBB372_2580
; %bb.2573:                             ;   in Loop: Header=BB372_2086 Depth=1
	v_lshrrev_b32_e32 v6, 24, v80
	v_bfrev_b32_e32 v5, 1
	s_mov_b32 s17, exec_lo
	s_delay_alu instid0(VALU_DEP_2)
	v_cmpx_ne_u32_e32 0x80, v6
	s_cbranch_execz .LBB372_2579
; %bb.2574:                             ;   in Loop: Header=BB372_2086 Depth=1
	v_bfe_u32 v7, v80, 24, 7
	v_mov_b32_e32 v5, 0x7f800001
	s_mov_b32 s18, exec_lo
	s_delay_alu instid0(VALU_DEP_2)
	v_cmpx_ne_u32_e32 0x7f, v7
	s_cbranch_execz .LBB372_2578
; %bb.2575:                             ;   in Loop: Header=BB372_2086 Depth=1
	v_dual_lshrrev_b32 v5, 3, v7 :: v_dual_bitop2_b32 v22, 7, v6 bitop3:0x40
	s_mov_b32 s19, exec_lo
	s_delay_alu instid0(VALU_DEP_1)
	v_mov_b64_e32 v[82:83], v[22:23]
	v_cmpx_gt_u32_e32 8, v7
; %bb.2576:                             ;   in Loop: Header=BB372_2086 Depth=1
	v_clz_i32_u32_e32 v5, v22
	s_delay_alu instid0(VALU_DEP_1) | instskip(NEXT) | instid1(VALU_DEP_1)
	v_min_u32_e32 v5, 32, v5
	v_subrev_nc_u32_e32 v7, 28, v5
	s_delay_alu instid0(VALU_DEP_1) | instskip(NEXT) | instid1(VALU_DEP_1)
	v_lshlrev_b64_e32 v[8:9], v7, v[22:23]
	v_dual_sub_nc_u32 v5, 29, v5 :: v_dual_bitop2_b32 v82, 7, v8 bitop3:0x40
; %bb.2577:                             ;   in Loop: Header=BB372_2086 Depth=1
	s_or_b32 exec_lo, exec_lo, s19
	v_lshlrev_b32_e32 v6, 24, v6
	s_delay_alu instid0(VALU_DEP_2) | instskip(NEXT) | instid1(VALU_DEP_3)
	v_lshlrev_b32_e32 v7, 20, v82
	v_lshl_add_u32 v5, v5, 23, 0x3c000000
	s_delay_alu instid0(VALU_DEP_3) | instskip(NEXT) | instid1(VALU_DEP_1)
	v_and_b32_e32 v6, 0x80000000, v6
	v_or3_b32 v5, v7, v6, v5
.LBB372_2578:                           ;   in Loop: Header=BB372_2086 Depth=1
	s_or_b32 exec_lo, exec_lo, s18
.LBB372_2579:                           ;   in Loop: Header=BB372_2086 Depth=1
	s_delay_alu instid0(SALU_CYCLE_1)
	s_or_b32 exec_lo, exec_lo, s17
.LBB372_2580:                           ;   in Loop: Header=BB372_2086 Depth=1
	s_delay_alu instid0(SALU_CYCLE_1) | instskip(SKIP_4) | instid1(VALU_DEP_3)
	s_or_b32 exec_lo, exec_lo, s16
	v_and_b32_e32 v8, 0xff, v81
	v_dual_mov_b32 v22, v81 :: v_dual_mov_b32 v7, 0
	v_mov_b32_e32 v6, 0
	s_mov_b32 s16, exec_lo
	v_cmpx_ne_u16_e32 0, v8
	s_cbranch_execz .LBB372_2588
; %bb.2581:                             ;   in Loop: Header=BB372_2086 Depth=1
	v_bfrev_b32_e32 v6, 1
	s_mov_b32 s17, exec_lo
	v_cmpx_ne_u16_e32 0x80, v8
	s_cbranch_execz .LBB372_2587
; %bb.2582:                             ;   in Loop: Header=BB372_2086 Depth=1
	v_and_b32_e32 v8, 0x7f, v81
	v_mov_b32_e32 v6, 0x7f800001
	s_mov_b32 s18, exec_lo
	s_delay_alu instid0(VALU_DEP_2)
	v_cmpx_ne_u32_e32 0x7f, v8
	s_cbranch_execz .LBB372_2586
; %bb.2583:                             ;   in Loop: Header=BB372_2086 Depth=1
	v_mov_b64_e32 v[82:83], v[22:23]
	v_lshrrev_b32_e32 v6, 3, v8
	s_mov_b32 s19, exec_lo
	v_cmpx_gt_u32_e32 8, v8
; %bb.2584:                             ;   in Loop: Header=BB372_2086 Depth=1
	v_and_b32_e32 v6, 7, v81
	s_delay_alu instid0(VALU_DEP_1) | instskip(NEXT) | instid1(VALU_DEP_1)
	v_clz_i32_u32_e32 v6, v6
	v_min_u32_e32 v6, 32, v6
	s_delay_alu instid0(VALU_DEP_1) | instskip(SKIP_1) | instid1(VALU_DEP_2)
	v_subrev_nc_u32_e32 v8, 28, v6
	v_sub_nc_u32_e32 v6, 29, v6
	v_lshlrev_b64_e32 v[82:83], v8, v[22:23]
; %bb.2585:                             ;   in Loop: Header=BB372_2086 Depth=1
	s_or_b32 exec_lo, exec_lo, s19
	s_delay_alu instid0(VALU_DEP_1) | instskip(SKIP_2) | instid1(VALU_DEP_3)
	v_lshlrev_b32_e32 v8, 20, v82
	v_lshlrev_b32_e32 v9, 24, v22
	v_lshl_add_u32 v6, v6, 23, 0x3c000000
	v_and_b32_e32 v8, 0x700000, v8
	s_delay_alu instid0(VALU_DEP_3) | instskip(NEXT) | instid1(VALU_DEP_1)
	v_and_b32_e32 v9, 0x80000000, v9
	v_or3_b32 v6, v8, v9, v6
.LBB372_2586:                           ;   in Loop: Header=BB372_2086 Depth=1
	s_or_b32 exec_lo, exec_lo, s18
.LBB372_2587:                           ;   in Loop: Header=BB372_2086 Depth=1
	s_delay_alu instid0(SALU_CYCLE_1)
	s_or_b32 exec_lo, exec_lo, s17
.LBB372_2588:                           ;   in Loop: Header=BB372_2086 Depth=1
	s_delay_alu instid0(SALU_CYCLE_1) | instskip(SKIP_2) | instid1(VALU_DEP_1)
	s_or_b32 exec_lo, exec_lo, s16
	v_lshrrev_b16 v8, 8, v22
	s_mov_b32 s16, exec_lo
	v_cmpx_ne_u16_e32 0, v8
	s_cbranch_execz .LBB372_2596
; %bb.2589:                             ;   in Loop: Header=BB372_2086 Depth=1
	v_bfrev_b32_e32 v7, 1
	s_mov_b32 s17, exec_lo
	v_cmpx_ne_u16_e32 0x80, v8
	s_cbranch_execz .LBB372_2595
; %bb.2590:                             ;   in Loop: Header=BB372_2086 Depth=1
	v_and_b32_e32 v9, 0xffff, v8
	v_mov_b32_e32 v7, 0x7f800001
	s_mov_b32 s18, exec_lo
	s_delay_alu instid0(VALU_DEP_2) | instskip(NEXT) | instid1(VALU_DEP_1)
	v_and_b32_e32 v8, 0x7f, v9
	v_cmpx_ne_u32_e32 0x7f, v8
	s_cbranch_execz .LBB372_2594
; %bb.2591:                             ;   in Loop: Header=BB372_2086 Depth=1
	v_dual_mov_b32 v83, v23 :: v_dual_bitop2_b32 v82, 7, v9 bitop3:0x40
	v_lshrrev_b32_e32 v7, 3, v8
	s_mov_b32 s19, exec_lo
	v_cmpx_gt_u32_e32 8, v8
; %bb.2592:                             ;   in Loop: Header=BB372_2086 Depth=1
	s_delay_alu instid0(VALU_DEP_3) | instskip(NEXT) | instid1(VALU_DEP_1)
	v_clz_i32_u32_e32 v7, v82
	v_min_u32_e32 v7, 32, v7
	s_delay_alu instid0(VALU_DEP_1) | instskip(NEXT) | instid1(VALU_DEP_1)
	v_subrev_nc_u32_e32 v8, 28, v7
	v_lshlrev_b64_e32 v[8:9], v8, v[82:83]
	s_delay_alu instid0(VALU_DEP_1)
	v_dual_sub_nc_u32 v7, 29, v7 :: v_dual_bitop2_b32 v82, 7, v8 bitop3:0x40
; %bb.2593:                             ;   in Loop: Header=BB372_2086 Depth=1
	s_or_b32 exec_lo, exec_lo, s19
	v_lshlrev_b32_e32 v8, 16, v22
	s_delay_alu instid0(VALU_DEP_2) | instskip(NEXT) | instid1(VALU_DEP_3)
	v_lshlrev_b32_e32 v9, 20, v82
	v_lshl_add_u32 v7, v7, 23, 0x3c000000
	s_delay_alu instid0(VALU_DEP_3) | instskip(NEXT) | instid1(VALU_DEP_1)
	v_and_b32_e32 v8, 0x80000000, v8
	v_or3_b32 v7, v9, v8, v7
.LBB372_2594:                           ;   in Loop: Header=BB372_2086 Depth=1
	s_or_b32 exec_lo, exec_lo, s18
.LBB372_2595:                           ;   in Loop: Header=BB372_2086 Depth=1
	s_delay_alu instid0(SALU_CYCLE_1)
	s_or_b32 exec_lo, exec_lo, s17
.LBB372_2596:                           ;   in Loop: Header=BB372_2086 Depth=1
	s_delay_alu instid0(SALU_CYCLE_1) | instskip(SKIP_3) | instid1(VALU_DEP_2)
	s_or_b32 exec_lo, exec_lo, s16
	v_dual_lshrrev_b32 v10, 16, v81 :: v_dual_mov_b32 v8, 0
	v_mov_b32_e32 v9, 0
	s_mov_b32 s16, exec_lo
	v_and_b32_e32 v11, 0xff, v10
	s_delay_alu instid0(VALU_DEP_1)
	v_cmpx_ne_u16_e32 0, v11
	s_cbranch_execz .LBB372_2604
; %bb.2597:                             ;   in Loop: Header=BB372_2086 Depth=1
	v_bfrev_b32_e32 v9, 1
	s_mov_b32 s17, exec_lo
	v_cmpx_ne_u16_e32 0x80, v11
	s_cbranch_execz .LBB372_2603
; %bb.2598:                             ;   in Loop: Header=BB372_2086 Depth=1
	v_bfe_u32 v11, v81, 16, 7
	v_mov_b32_e32 v9, 0x7f800001
	s_mov_b32 s18, exec_lo
	s_delay_alu instid0(VALU_DEP_2)
	v_cmpx_ne_u32_e32 0x7f, v11
	s_cbranch_execz .LBB372_2602
; %bb.2599:                             ;   in Loop: Header=BB372_2086 Depth=1
	v_dual_lshrrev_b32 v9, 3, v11 :: v_dual_bitop2_b32 v22, 7, v10 bitop3:0x40
	s_mov_b32 s19, exec_lo
	s_delay_alu instid0(VALU_DEP_1)
	v_mov_b64_e32 v[82:83], v[22:23]
	v_cmpx_gt_u32_e32 8, v11
; %bb.2600:                             ;   in Loop: Header=BB372_2086 Depth=1
	v_clz_i32_u32_e32 v9, v22
	s_delay_alu instid0(VALU_DEP_1) | instskip(NEXT) | instid1(VALU_DEP_1)
	v_min_u32_e32 v9, 32, v9
	v_subrev_nc_u32_e32 v11, 28, v9
	s_delay_alu instid0(VALU_DEP_1) | instskip(NEXT) | instid1(VALU_DEP_1)
	v_lshlrev_b64_e32 v[64:65], v11, v[22:23]
	v_dual_sub_nc_u32 v9, 29, v9 :: v_dual_bitop2_b32 v82, 7, v64 bitop3:0x40
; %bb.2601:                             ;   in Loop: Header=BB372_2086 Depth=1
	s_or_b32 exec_lo, exec_lo, s19
	v_lshlrev_b32_e32 v10, 24, v10
	s_delay_alu instid0(VALU_DEP_2) | instskip(NEXT) | instid1(VALU_DEP_3)
	v_lshlrev_b32_e32 v11, 20, v82
	v_lshl_add_u32 v9, v9, 23, 0x3c000000
	s_delay_alu instid0(VALU_DEP_3) | instskip(NEXT) | instid1(VALU_DEP_1)
	v_and_b32_e32 v10, 0x80000000, v10
	v_or3_b32 v9, v11, v10, v9
.LBB372_2602:                           ;   in Loop: Header=BB372_2086 Depth=1
	s_or_b32 exec_lo, exec_lo, s18
.LBB372_2603:                           ;   in Loop: Header=BB372_2086 Depth=1
	s_delay_alu instid0(SALU_CYCLE_1)
	s_or_b32 exec_lo, exec_lo, s17
.LBB372_2604:                           ;   in Loop: Header=BB372_2086 Depth=1
	s_delay_alu instid0(SALU_CYCLE_1) | instskip(NEXT) | instid1(SALU_CYCLE_1)
	s_or_b32 exec_lo, exec_lo, s16
	s_mov_b32 s16, exec_lo
	v_cmpx_lt_u64_e64 s[2:3], v[80:81]
	s_cbranch_execz .LBB372_2612
; %bb.2605:                             ;   in Loop: Header=BB372_2086 Depth=1
	v_lshrrev_b32_e32 v10, 24, v81
	v_bfrev_b32_e32 v8, 1
	s_mov_b32 s17, exec_lo
	s_delay_alu instid0(VALU_DEP_2)
	v_cmpx_ne_u32_e32 0x80, v10
	s_cbranch_execz .LBB372_2611
; %bb.2606:                             ;   in Loop: Header=BB372_2086 Depth=1
	v_bfe_u32 v11, v81, 24, 7
	v_mov_b32_e32 v8, 0x7f800001
	s_mov_b32 s18, exec_lo
	s_delay_alu instid0(VALU_DEP_2)
	v_cmpx_ne_u32_e32 0x7f, v11
	s_cbranch_execz .LBB372_2610
; %bb.2607:                             ;   in Loop: Header=BB372_2086 Depth=1
	v_dual_lshrrev_b32 v8, 3, v11 :: v_dual_bitop2_b32 v22, 7, v10 bitop3:0x40
	s_mov_b32 s19, exec_lo
	s_delay_alu instid0(VALU_DEP_1)
	v_mov_b64_e32 v[80:81], v[22:23]
	v_cmpx_gt_u32_e32 8, v11
; %bb.2608:                             ;   in Loop: Header=BB372_2086 Depth=1
	v_clz_i32_u32_e32 v8, v22
	s_delay_alu instid0(VALU_DEP_1) | instskip(NEXT) | instid1(VALU_DEP_1)
	v_min_u32_e32 v8, 32, v8
	v_subrev_nc_u32_e32 v11, 28, v8
	v_sub_nc_u32_e32 v8, 29, v8
	s_delay_alu instid0(VALU_DEP_2) | instskip(NEXT) | instid1(VALU_DEP_1)
	v_lshlrev_b64_e32 v[64:65], v11, v[22:23]
	v_and_b32_e32 v80, 7, v64
; %bb.2609:                             ;   in Loop: Header=BB372_2086 Depth=1
	s_or_b32 exec_lo, exec_lo, s19
	s_delay_alu instid0(VALU_DEP_1) | instskip(SKIP_1) | instid1(VALU_DEP_2)
	v_dual_lshlrev_b32 v10, 24, v10 :: v_dual_lshlrev_b32 v11, 20, v80
	v_lshl_add_u32 v8, v8, 23, 0x3c000000
	v_and_b32_e32 v10, 0x80000000, v10
	s_delay_alu instid0(VALU_DEP_1)
	v_or3_b32 v8, v11, v10, v8
.LBB372_2610:                           ;   in Loop: Header=BB372_2086 Depth=1
	s_or_b32 exec_lo, exec_lo, s18
.LBB372_2611:                           ;   in Loop: Header=BB372_2086 Depth=1
	s_delay_alu instid0(SALU_CYCLE_1)
	s_or_b32 exec_lo, exec_lo, s17
.LBB372_2612:                           ;   in Loop: Header=BB372_2086 Depth=1
	s_delay_alu instid0(SALU_CYCLE_1)
	s_or_b32 exec_lo, exec_lo, s16
	v_fma_mixlo_bf16 v2, v86, v2, 0
	v_fma_mixlo_bf16 v7, v86, v7, 0
	;; [unrolled: 1-line block ×5, first 2 shown]
	scratch_store_b32 off, v2, s32 offset:676 ; 4-byte Folded Spill
	s_wait_xcnt 0x0
	v_fma_mixlo_bf16 v2, v86, v9, 0
	s_clause 0x1
	scratch_store_b32 off, v7, s32 offset:648
	scratch_store_b32 off, v6, s32 offset:652
	v_fma_mixlo_bf16 v3, v86, v3, 0
	s_clause 0x1
	scratch_store_b32 off, v5, s32 offset:664
	scratch_store_b32 off, v2, s32 offset:656
	s_wait_xcnt 0x0
	v_fma_mixlo_bf16 v2, v86, v8, 0
	s_clause 0x2
	scratch_store_b32 off, v4, s32 offset:668
	scratch_store_b32 off, v3, s32 offset:672
	;; [unrolled: 1-line block ×3, first 2 shown]
	s_wait_xcnt 0x0
	s_and_saveexec_b32 s16, vcc_lo
	s_cbranch_execz .LBB372_2614
; %bb.2613:                             ;   in Loop: Header=BB372_2086 Depth=1
	s_clause 0x1
	scratch_load_b32 v2, off, s32 offset:192
	scratch_load_b32 v3, off, s32 offset:676
	s_wait_loadcnt 0x1
	v_cmp_lt_i32_e64 s0, v63, v2
	s_wait_loadcnt 0x0
	s_delay_alu instid0(VALU_DEP_1)
	v_cndmask_b32_e64 v3, 0, v3, s0
	v_cmp_lt_i32_e64 s0, v95, v2
	s_clause 0x1
	scratch_store_b32 off, v3, s32 offset:676
	scratch_load_b32 v3, off, s32 offset:672
	s_wait_loadcnt 0x0
	v_cndmask_b32_e64 v3, 0, v3, s0
	v_cmp_lt_i32_e64 s0, v94, v2
	s_clause 0x1
	scratch_store_b32 off, v3, s32 offset:672
	scratch_load_b32 v3, off, s32 offset:668
	s_wait_loadcnt 0x0
	v_cndmask_b32_e64 v3, 0, v3, s0
	v_cmp_lt_i32_e64 s0, v93, v2
	s_clause 0x1
	scratch_store_b32 off, v3, s32 offset:668
	scratch_load_b32 v3, off, s32 offset:664
	s_wait_loadcnt 0x0
	v_cndmask_b32_e64 v3, 0, v3, s0
	v_cmp_lt_i32_e64 s0, v92, v2
	s_clause 0x1
	scratch_store_b32 off, v3, s32 offset:664
	scratch_load_b32 v3, off, s32 offset:652
	s_wait_loadcnt 0x0
	v_cndmask_b32_e64 v3, 0, v3, s0
	v_cmp_lt_i32_e64 s0, v91, v2
	s_clause 0x1
	scratch_store_b32 off, v3, s32 offset:652
	scratch_load_b32 v3, off, s32 offset:648
	s_wait_loadcnt 0x0
	v_cndmask_b32_e64 v3, 0, v3, s0
	v_cmp_lt_i32_e64 s0, v90, v2
	s_clause 0x1
	scratch_store_b32 off, v3, s32 offset:648
	scratch_load_b32 v3, off, s32 offset:656
	s_wait_loadcnt 0x0
	v_cndmask_b32_e64 v3, 0, v3, s0
	v_cmp_lt_i32_e64 s0, v89, v2
	scratch_load_b32 v2, off, s32 offset:660 ; 4-byte Folded Reload
	s_wait_loadcnt 0x0
	v_cndmask_b32_e64 v2, 0, v2, s0
	s_clause 0x1
	scratch_store_b32 off, v3, s32 offset:656
	scratch_store_b32 off, v2, s32 offset:660
.LBB372_2614:                           ;   in Loop: Header=BB372_2086 Depth=1
	s_wait_xcnt 0x0
	s_or_b32 exec_lo, exec_lo, s16
	flat_load_b64 v[80:81], v[18:19] offset:2048
	v_dual_mov_b32 v3, 0 :: v_dual_mov_b32 v2, 0
	s_mov_b32 s16, exec_lo
	s_wait_loadcnt_dscnt 0x0
	v_and_b32_e32 v4, 0xff, v80
	s_wait_xcnt 0x0
	s_delay_alu instid0(VALU_DEP_1)
	v_cmpx_ne_u16_e32 0, v4
	s_cbranch_execz .LBB372_2622
; %bb.2615:                             ;   in Loop: Header=BB372_2086 Depth=1
	v_bfrev_b32_e32 v2, 1
	s_mov_b32 s17, exec_lo
	v_cmpx_ne_u16_e32 0x80, v4
	s_cbranch_execz .LBB372_2621
; %bb.2616:                             ;   in Loop: Header=BB372_2086 Depth=1
	v_and_b32_e32 v4, 0x7f, v80
	v_mov_b32_e32 v2, 0x7f800001
	s_mov_b32 s18, exec_lo
	s_delay_alu instid0(VALU_DEP_2)
	v_cmpx_ne_u32_e32 0x7f, v4
	s_cbranch_execz .LBB372_2620
; %bb.2617:                             ;   in Loop: Header=BB372_2086 Depth=1
	v_mov_b64_e32 v[82:83], v[80:81]
	v_lshrrev_b32_e32 v2, 3, v4
	s_mov_b32 s19, exec_lo
	v_cmpx_gt_u32_e32 8, v4
; %bb.2618:                             ;   in Loop: Header=BB372_2086 Depth=1
	v_and_b32_e32 v2, 7, v80
	s_delay_alu instid0(VALU_DEP_1) | instskip(NEXT) | instid1(VALU_DEP_1)
	v_clz_i32_u32_e32 v2, v2
	v_min_u32_e32 v2, 32, v2
	s_delay_alu instid0(VALU_DEP_1) | instskip(SKIP_1) | instid1(VALU_DEP_2)
	v_subrev_nc_u32_e32 v4, 28, v2
	v_sub_nc_u32_e32 v2, 29, v2
	v_lshlrev_b64_e32 v[82:83], v4, v[80:81]
; %bb.2619:                             ;   in Loop: Header=BB372_2086 Depth=1
	s_or_b32 exec_lo, exec_lo, s19
	s_delay_alu instid0(VALU_DEP_1) | instskip(NEXT) | instid1(VALU_DEP_3)
	v_dual_lshlrev_b32 v4, 20, v82 :: v_dual_lshlrev_b32 v5, 24, v80
	v_lshl_add_u32 v2, v2, 23, 0x3c000000
	s_delay_alu instid0(VALU_DEP_2) | instskip(NEXT) | instid1(VALU_DEP_3)
	v_and_b32_e32 v4, 0x700000, v4
	v_and_b32_e32 v5, 0x80000000, v5
	s_delay_alu instid0(VALU_DEP_1)
	v_or3_b32 v2, v4, v5, v2
.LBB372_2620:                           ;   in Loop: Header=BB372_2086 Depth=1
	s_or_b32 exec_lo, exec_lo, s18
.LBB372_2621:                           ;   in Loop: Header=BB372_2086 Depth=1
	s_delay_alu instid0(SALU_CYCLE_1)
	s_or_b32 exec_lo, exec_lo, s17
.LBB372_2622:                           ;   in Loop: Header=BB372_2086 Depth=1
	s_delay_alu instid0(SALU_CYCLE_1) | instskip(SKIP_2) | instid1(VALU_DEP_1)
	s_or_b32 exec_lo, exec_lo, s16
	v_lshrrev_b16 v4, 8, v80
	s_mov_b32 s16, exec_lo
	v_cmpx_ne_u16_e32 0, v4
	s_cbranch_execz .LBB372_2630
; %bb.2623:                             ;   in Loop: Header=BB372_2086 Depth=1
	v_bfrev_b32_e32 v3, 1
	s_mov_b32 s17, exec_lo
	v_cmpx_ne_u16_e32 0x80, v4
	s_cbranch_execz .LBB372_2629
; %bb.2624:                             ;   in Loop: Header=BB372_2086 Depth=1
	v_and_b32_e32 v5, 0xffff, v4
	v_mov_b32_e32 v3, 0x7f800001
	s_mov_b32 s18, exec_lo
	s_delay_alu instid0(VALU_DEP_2) | instskip(NEXT) | instid1(VALU_DEP_1)
	v_and_b32_e32 v4, 0x7f, v5
	v_cmpx_ne_u32_e32 0x7f, v4
	s_cbranch_execz .LBB372_2628
; %bb.2625:                             ;   in Loop: Header=BB372_2086 Depth=1
	v_dual_lshrrev_b32 v3, 3, v4 :: v_dual_bitop2_b32 v22, 7, v5 bitop3:0x40
	s_mov_b32 s19, exec_lo
	s_delay_alu instid0(VALU_DEP_1)
	v_mov_b64_e32 v[82:83], v[22:23]
	v_cmpx_gt_u32_e32 8, v4
; %bb.2626:                             ;   in Loop: Header=BB372_2086 Depth=1
	v_clz_i32_u32_e32 v3, v22
	s_delay_alu instid0(VALU_DEP_1) | instskip(NEXT) | instid1(VALU_DEP_1)
	v_min_u32_e32 v3, 32, v3
	v_subrev_nc_u32_e32 v4, 28, v3
	s_delay_alu instid0(VALU_DEP_1) | instskip(NEXT) | instid1(VALU_DEP_1)
	v_lshlrev_b64_e32 v[4:5], v4, v[22:23]
	v_dual_sub_nc_u32 v3, 29, v3 :: v_dual_bitop2_b32 v82, 7, v4 bitop3:0x40
; %bb.2627:                             ;   in Loop: Header=BB372_2086 Depth=1
	s_or_b32 exec_lo, exec_lo, s19
	s_delay_alu instid0(VALU_DEP_1) | instskip(NEXT) | instid1(VALU_DEP_2)
	v_dual_lshlrev_b32 v4, 16, v80 :: v_dual_lshlrev_b32 v5, 20, v82
	v_lshl_add_u32 v3, v3, 23, 0x3c000000
	s_delay_alu instid0(VALU_DEP_2) | instskip(NEXT) | instid1(VALU_DEP_1)
	v_and_b32_e32 v4, 0x80000000, v4
	v_or3_b32 v3, v5, v4, v3
.LBB372_2628:                           ;   in Loop: Header=BB372_2086 Depth=1
	s_or_b32 exec_lo, exec_lo, s18
.LBB372_2629:                           ;   in Loop: Header=BB372_2086 Depth=1
	s_delay_alu instid0(SALU_CYCLE_1)
	s_or_b32 exec_lo, exec_lo, s17
.LBB372_2630:                           ;   in Loop: Header=BB372_2086 Depth=1
	s_delay_alu instid0(SALU_CYCLE_1) | instskip(SKIP_3) | instid1(VALU_DEP_2)
	s_or_b32 exec_lo, exec_lo, s16
	v_dual_mov_b32 v5, 0 :: v_dual_lshrrev_b32 v6, 16, v80
	v_mov_b32_e32 v4, 0
	s_mov_b32 s16, exec_lo
	v_and_b32_e32 v7, 0xff, v6
	s_delay_alu instid0(VALU_DEP_1)
	v_cmpx_ne_u16_e32 0, v7
	s_cbranch_execz .LBB372_2638
; %bb.2631:                             ;   in Loop: Header=BB372_2086 Depth=1
	v_bfrev_b32_e32 v4, 1
	s_mov_b32 s17, exec_lo
	v_cmpx_ne_u16_e32 0x80, v7
	s_cbranch_execz .LBB372_2637
; %bb.2632:                             ;   in Loop: Header=BB372_2086 Depth=1
	v_bfe_u32 v7, v80, 16, 7
	v_mov_b32_e32 v4, 0x7f800001
	s_mov_b32 s18, exec_lo
	s_delay_alu instid0(VALU_DEP_2)
	v_cmpx_ne_u32_e32 0x7f, v7
	s_cbranch_execz .LBB372_2636
; %bb.2633:                             ;   in Loop: Header=BB372_2086 Depth=1
	v_dual_lshrrev_b32 v4, 3, v7 :: v_dual_bitop2_b32 v22, 7, v6 bitop3:0x40
	s_mov_b32 s19, exec_lo
	s_delay_alu instid0(VALU_DEP_1)
	v_mov_b64_e32 v[82:83], v[22:23]
	v_cmpx_gt_u32_e32 8, v7
; %bb.2634:                             ;   in Loop: Header=BB372_2086 Depth=1
	v_clz_i32_u32_e32 v4, v22
	s_delay_alu instid0(VALU_DEP_1) | instskip(NEXT) | instid1(VALU_DEP_1)
	v_min_u32_e32 v4, 32, v4
	v_subrev_nc_u32_e32 v7, 28, v4
	v_sub_nc_u32_e32 v4, 29, v4
	s_delay_alu instid0(VALU_DEP_2) | instskip(NEXT) | instid1(VALU_DEP_1)
	v_lshlrev_b64_e32 v[8:9], v7, v[22:23]
	v_and_b32_e32 v82, 7, v8
; %bb.2635:                             ;   in Loop: Header=BB372_2086 Depth=1
	s_or_b32 exec_lo, exec_lo, s19
	v_lshlrev_b32_e32 v6, 24, v6
	s_delay_alu instid0(VALU_DEP_2) | instskip(SKIP_1) | instid1(VALU_DEP_3)
	v_lshlrev_b32_e32 v7, 20, v82
	v_lshl_add_u32 v4, v4, 23, 0x3c000000
	v_and_b32_e32 v6, 0x80000000, v6
	s_delay_alu instid0(VALU_DEP_1)
	v_or3_b32 v4, v7, v6, v4
.LBB372_2636:                           ;   in Loop: Header=BB372_2086 Depth=1
	s_or_b32 exec_lo, exec_lo, s18
.LBB372_2637:                           ;   in Loop: Header=BB372_2086 Depth=1
	s_delay_alu instid0(SALU_CYCLE_1)
	s_or_b32 exec_lo, exec_lo, s17
.LBB372_2638:                           ;   in Loop: Header=BB372_2086 Depth=1
	s_delay_alu instid0(SALU_CYCLE_1) | instskip(NEXT) | instid1(SALU_CYCLE_1)
	s_or_b32 exec_lo, exec_lo, s16
	s_mov_b32 s16, exec_lo
	v_cmpx_lt_u32_e32 0xffffff, v80
	s_cbranch_execz .LBB372_2646
; %bb.2639:                             ;   in Loop: Header=BB372_2086 Depth=1
	v_lshrrev_b32_e32 v6, 24, v80
	v_bfrev_b32_e32 v5, 1
	s_mov_b32 s17, exec_lo
	s_delay_alu instid0(VALU_DEP_2)
	v_cmpx_ne_u32_e32 0x80, v6
	s_cbranch_execz .LBB372_2645
; %bb.2640:                             ;   in Loop: Header=BB372_2086 Depth=1
	v_bfe_u32 v7, v80, 24, 7
	v_mov_b32_e32 v5, 0x7f800001
	s_mov_b32 s18, exec_lo
	s_delay_alu instid0(VALU_DEP_2)
	v_cmpx_ne_u32_e32 0x7f, v7
	s_cbranch_execz .LBB372_2644
; %bb.2641:                             ;   in Loop: Header=BB372_2086 Depth=1
	v_dual_lshrrev_b32 v5, 3, v7 :: v_dual_bitop2_b32 v22, 7, v6 bitop3:0x40
	s_mov_b32 s19, exec_lo
	s_delay_alu instid0(VALU_DEP_1)
	v_mov_b64_e32 v[82:83], v[22:23]
	v_cmpx_gt_u32_e32 8, v7
; %bb.2642:                             ;   in Loop: Header=BB372_2086 Depth=1
	v_clz_i32_u32_e32 v5, v22
	s_delay_alu instid0(VALU_DEP_1) | instskip(NEXT) | instid1(VALU_DEP_1)
	v_min_u32_e32 v5, 32, v5
	v_subrev_nc_u32_e32 v7, 28, v5
	s_delay_alu instid0(VALU_DEP_1) | instskip(NEXT) | instid1(VALU_DEP_1)
	v_lshlrev_b64_e32 v[8:9], v7, v[22:23]
	v_dual_sub_nc_u32 v5, 29, v5 :: v_dual_bitop2_b32 v82, 7, v8 bitop3:0x40
; %bb.2643:                             ;   in Loop: Header=BB372_2086 Depth=1
	s_or_b32 exec_lo, exec_lo, s19
	v_lshlrev_b32_e32 v6, 24, v6
	s_delay_alu instid0(VALU_DEP_2) | instskip(NEXT) | instid1(VALU_DEP_3)
	v_lshlrev_b32_e32 v7, 20, v82
	v_lshl_add_u32 v5, v5, 23, 0x3c000000
	s_delay_alu instid0(VALU_DEP_3) | instskip(NEXT) | instid1(VALU_DEP_1)
	v_and_b32_e32 v6, 0x80000000, v6
	v_or3_b32 v5, v7, v6, v5
.LBB372_2644:                           ;   in Loop: Header=BB372_2086 Depth=1
	s_or_b32 exec_lo, exec_lo, s18
.LBB372_2645:                           ;   in Loop: Header=BB372_2086 Depth=1
	s_delay_alu instid0(SALU_CYCLE_1)
	s_or_b32 exec_lo, exec_lo, s17
.LBB372_2646:                           ;   in Loop: Header=BB372_2086 Depth=1
	s_delay_alu instid0(SALU_CYCLE_1) | instskip(SKIP_4) | instid1(VALU_DEP_3)
	s_or_b32 exec_lo, exec_lo, s16
	v_and_b32_e32 v8, 0xff, v81
	v_dual_mov_b32 v22, v81 :: v_dual_mov_b32 v7, 0
	v_mov_b32_e32 v6, 0
	s_mov_b32 s16, exec_lo
	v_cmpx_ne_u16_e32 0, v8
	s_cbranch_execz .LBB372_2654
; %bb.2647:                             ;   in Loop: Header=BB372_2086 Depth=1
	v_bfrev_b32_e32 v6, 1
	s_mov_b32 s17, exec_lo
	v_cmpx_ne_u16_e32 0x80, v8
	s_cbranch_execz .LBB372_2653
; %bb.2648:                             ;   in Loop: Header=BB372_2086 Depth=1
	v_and_b32_e32 v8, 0x7f, v81
	v_mov_b32_e32 v6, 0x7f800001
	s_mov_b32 s18, exec_lo
	s_delay_alu instid0(VALU_DEP_2)
	v_cmpx_ne_u32_e32 0x7f, v8
	s_cbranch_execz .LBB372_2652
; %bb.2649:                             ;   in Loop: Header=BB372_2086 Depth=1
	v_mov_b64_e32 v[82:83], v[22:23]
	v_lshrrev_b32_e32 v6, 3, v8
	s_mov_b32 s19, exec_lo
	v_cmpx_gt_u32_e32 8, v8
; %bb.2650:                             ;   in Loop: Header=BB372_2086 Depth=1
	v_and_b32_e32 v6, 7, v81
	s_delay_alu instid0(VALU_DEP_1) | instskip(NEXT) | instid1(VALU_DEP_1)
	v_clz_i32_u32_e32 v6, v6
	v_min_u32_e32 v6, 32, v6
	s_delay_alu instid0(VALU_DEP_1) | instskip(SKIP_1) | instid1(VALU_DEP_2)
	v_subrev_nc_u32_e32 v8, 28, v6
	v_sub_nc_u32_e32 v6, 29, v6
	v_lshlrev_b64_e32 v[82:83], v8, v[22:23]
; %bb.2651:                             ;   in Loop: Header=BB372_2086 Depth=1
	s_or_b32 exec_lo, exec_lo, s19
	s_delay_alu instid0(VALU_DEP_1) | instskip(SKIP_2) | instid1(VALU_DEP_3)
	v_lshlrev_b32_e32 v8, 20, v82
	v_lshlrev_b32_e32 v9, 24, v22
	v_lshl_add_u32 v6, v6, 23, 0x3c000000
	v_and_b32_e32 v8, 0x700000, v8
	s_delay_alu instid0(VALU_DEP_3) | instskip(NEXT) | instid1(VALU_DEP_1)
	v_and_b32_e32 v9, 0x80000000, v9
	v_or3_b32 v6, v8, v9, v6
.LBB372_2652:                           ;   in Loop: Header=BB372_2086 Depth=1
	s_or_b32 exec_lo, exec_lo, s18
.LBB372_2653:                           ;   in Loop: Header=BB372_2086 Depth=1
	s_delay_alu instid0(SALU_CYCLE_1)
	s_or_b32 exec_lo, exec_lo, s17
.LBB372_2654:                           ;   in Loop: Header=BB372_2086 Depth=1
	s_delay_alu instid0(SALU_CYCLE_1) | instskip(SKIP_2) | instid1(VALU_DEP_1)
	s_or_b32 exec_lo, exec_lo, s16
	v_lshrrev_b16 v8, 8, v22
	s_mov_b32 s16, exec_lo
	v_cmpx_ne_u16_e32 0, v8
	s_cbranch_execz .LBB372_2662
; %bb.2655:                             ;   in Loop: Header=BB372_2086 Depth=1
	v_bfrev_b32_e32 v7, 1
	s_mov_b32 s17, exec_lo
	v_cmpx_ne_u16_e32 0x80, v8
	s_cbranch_execz .LBB372_2661
; %bb.2656:                             ;   in Loop: Header=BB372_2086 Depth=1
	v_and_b32_e32 v9, 0xffff, v8
	v_mov_b32_e32 v7, 0x7f800001
	s_mov_b32 s18, exec_lo
	s_delay_alu instid0(VALU_DEP_2) | instskip(NEXT) | instid1(VALU_DEP_1)
	v_and_b32_e32 v8, 0x7f, v9
	v_cmpx_ne_u32_e32 0x7f, v8
	s_cbranch_execz .LBB372_2660
; %bb.2657:                             ;   in Loop: Header=BB372_2086 Depth=1
	v_dual_mov_b32 v83, v23 :: v_dual_bitop2_b32 v82, 7, v9 bitop3:0x40
	v_lshrrev_b32_e32 v7, 3, v8
	s_mov_b32 s19, exec_lo
	v_cmpx_gt_u32_e32 8, v8
; %bb.2658:                             ;   in Loop: Header=BB372_2086 Depth=1
	s_delay_alu instid0(VALU_DEP_3) | instskip(NEXT) | instid1(VALU_DEP_1)
	v_clz_i32_u32_e32 v7, v82
	v_min_u32_e32 v7, 32, v7
	s_delay_alu instid0(VALU_DEP_1) | instskip(NEXT) | instid1(VALU_DEP_1)
	v_subrev_nc_u32_e32 v8, 28, v7
	v_lshlrev_b64_e32 v[8:9], v8, v[82:83]
	s_delay_alu instid0(VALU_DEP_1)
	v_dual_sub_nc_u32 v7, 29, v7 :: v_dual_bitop2_b32 v82, 7, v8 bitop3:0x40
; %bb.2659:                             ;   in Loop: Header=BB372_2086 Depth=1
	s_or_b32 exec_lo, exec_lo, s19
	v_lshlrev_b32_e32 v8, 16, v22
	s_delay_alu instid0(VALU_DEP_2) | instskip(NEXT) | instid1(VALU_DEP_3)
	v_lshlrev_b32_e32 v9, 20, v82
	v_lshl_add_u32 v7, v7, 23, 0x3c000000
	s_delay_alu instid0(VALU_DEP_3) | instskip(NEXT) | instid1(VALU_DEP_1)
	v_and_b32_e32 v8, 0x80000000, v8
	v_or3_b32 v7, v9, v8, v7
.LBB372_2660:                           ;   in Loop: Header=BB372_2086 Depth=1
	s_or_b32 exec_lo, exec_lo, s18
.LBB372_2661:                           ;   in Loop: Header=BB372_2086 Depth=1
	s_delay_alu instid0(SALU_CYCLE_1)
	s_or_b32 exec_lo, exec_lo, s17
.LBB372_2662:                           ;   in Loop: Header=BB372_2086 Depth=1
	s_delay_alu instid0(SALU_CYCLE_1) | instskip(SKIP_3) | instid1(VALU_DEP_2)
	s_or_b32 exec_lo, exec_lo, s16
	v_dual_lshrrev_b32 v10, 16, v81 :: v_dual_mov_b32 v8, 0
	v_mov_b32_e32 v9, 0
	s_mov_b32 s16, exec_lo
	v_and_b32_e32 v11, 0xff, v10
	s_delay_alu instid0(VALU_DEP_1)
	v_cmpx_ne_u16_e32 0, v11
	s_cbranch_execz .LBB372_2670
; %bb.2663:                             ;   in Loop: Header=BB372_2086 Depth=1
	v_bfrev_b32_e32 v9, 1
	s_mov_b32 s17, exec_lo
	v_cmpx_ne_u16_e32 0x80, v11
	s_cbranch_execz .LBB372_2669
; %bb.2664:                             ;   in Loop: Header=BB372_2086 Depth=1
	v_bfe_u32 v11, v81, 16, 7
	v_mov_b32_e32 v9, 0x7f800001
	s_mov_b32 s18, exec_lo
	s_delay_alu instid0(VALU_DEP_2)
	v_cmpx_ne_u32_e32 0x7f, v11
	s_cbranch_execz .LBB372_2668
; %bb.2665:                             ;   in Loop: Header=BB372_2086 Depth=1
	v_dual_lshrrev_b32 v9, 3, v11 :: v_dual_bitop2_b32 v22, 7, v10 bitop3:0x40
	s_mov_b32 s19, exec_lo
	s_delay_alu instid0(VALU_DEP_1)
	v_mov_b64_e32 v[82:83], v[22:23]
	v_cmpx_gt_u32_e32 8, v11
; %bb.2666:                             ;   in Loop: Header=BB372_2086 Depth=1
	v_clz_i32_u32_e32 v9, v22
	s_delay_alu instid0(VALU_DEP_1) | instskip(NEXT) | instid1(VALU_DEP_1)
	v_min_u32_e32 v9, 32, v9
	v_subrev_nc_u32_e32 v11, 28, v9
	s_delay_alu instid0(VALU_DEP_1) | instskip(NEXT) | instid1(VALU_DEP_1)
	v_lshlrev_b64_e32 v[64:65], v11, v[22:23]
	v_dual_sub_nc_u32 v9, 29, v9 :: v_dual_bitop2_b32 v82, 7, v64 bitop3:0x40
; %bb.2667:                             ;   in Loop: Header=BB372_2086 Depth=1
	s_or_b32 exec_lo, exec_lo, s19
	v_lshlrev_b32_e32 v10, 24, v10
	s_delay_alu instid0(VALU_DEP_2) | instskip(NEXT) | instid1(VALU_DEP_3)
	v_lshlrev_b32_e32 v11, 20, v82
	v_lshl_add_u32 v9, v9, 23, 0x3c000000
	s_delay_alu instid0(VALU_DEP_3) | instskip(NEXT) | instid1(VALU_DEP_1)
	v_and_b32_e32 v10, 0x80000000, v10
	v_or3_b32 v9, v11, v10, v9
.LBB372_2668:                           ;   in Loop: Header=BB372_2086 Depth=1
	s_or_b32 exec_lo, exec_lo, s18
.LBB372_2669:                           ;   in Loop: Header=BB372_2086 Depth=1
	s_delay_alu instid0(SALU_CYCLE_1)
	s_or_b32 exec_lo, exec_lo, s17
.LBB372_2670:                           ;   in Loop: Header=BB372_2086 Depth=1
	s_delay_alu instid0(SALU_CYCLE_1) | instskip(NEXT) | instid1(SALU_CYCLE_1)
	s_or_b32 exec_lo, exec_lo, s16
	s_mov_b32 s16, exec_lo
	v_cmpx_lt_u64_e64 s[2:3], v[80:81]
	s_cbranch_execz .LBB372_2678
; %bb.2671:                             ;   in Loop: Header=BB372_2086 Depth=1
	v_lshrrev_b32_e32 v10, 24, v81
	v_bfrev_b32_e32 v8, 1
	s_mov_b32 s17, exec_lo
	s_delay_alu instid0(VALU_DEP_2)
	v_cmpx_ne_u32_e32 0x80, v10
	s_cbranch_execz .LBB372_2677
; %bb.2672:                             ;   in Loop: Header=BB372_2086 Depth=1
	v_bfe_u32 v11, v81, 24, 7
	v_mov_b32_e32 v8, 0x7f800001
	s_mov_b32 s18, exec_lo
	s_delay_alu instid0(VALU_DEP_2)
	v_cmpx_ne_u32_e32 0x7f, v11
	s_cbranch_execz .LBB372_2676
; %bb.2673:                             ;   in Loop: Header=BB372_2086 Depth=1
	v_dual_lshrrev_b32 v8, 3, v11 :: v_dual_bitop2_b32 v22, 7, v10 bitop3:0x40
	s_mov_b32 s19, exec_lo
	s_delay_alu instid0(VALU_DEP_1)
	v_mov_b64_e32 v[80:81], v[22:23]
	v_cmpx_gt_u32_e32 8, v11
; %bb.2674:                             ;   in Loop: Header=BB372_2086 Depth=1
	v_clz_i32_u32_e32 v8, v22
	s_delay_alu instid0(VALU_DEP_1) | instskip(NEXT) | instid1(VALU_DEP_1)
	v_min_u32_e32 v8, 32, v8
	v_subrev_nc_u32_e32 v11, 28, v8
	v_sub_nc_u32_e32 v8, 29, v8
	s_delay_alu instid0(VALU_DEP_2) | instskip(NEXT) | instid1(VALU_DEP_1)
	v_lshlrev_b64_e32 v[64:65], v11, v[22:23]
	v_and_b32_e32 v80, 7, v64
; %bb.2675:                             ;   in Loop: Header=BB372_2086 Depth=1
	s_or_b32 exec_lo, exec_lo, s19
	s_delay_alu instid0(VALU_DEP_1) | instskip(SKIP_1) | instid1(VALU_DEP_2)
	v_dual_lshlrev_b32 v10, 24, v10 :: v_dual_lshlrev_b32 v11, 20, v80
	v_lshl_add_u32 v8, v8, 23, 0x3c000000
	v_and_b32_e32 v10, 0x80000000, v10
	s_delay_alu instid0(VALU_DEP_1)
	v_or3_b32 v8, v11, v10, v8
.LBB372_2676:                           ;   in Loop: Header=BB372_2086 Depth=1
	s_or_b32 exec_lo, exec_lo, s18
.LBB372_2677:                           ;   in Loop: Header=BB372_2086 Depth=1
	s_delay_alu instid0(SALU_CYCLE_1)
	s_or_b32 exec_lo, exec_lo, s17
.LBB372_2678:                           ;   in Loop: Header=BB372_2086 Depth=1
	s_delay_alu instid0(SALU_CYCLE_1)
	s_or_b32 exec_lo, exec_lo, s16
	v_fma_mixlo_bf16 v2, v86, v2, 0
	v_fma_mixlo_bf16 v7, v86, v7, 0
	;; [unrolled: 1-line block ×5, first 2 shown]
	scratch_store_b32 off, v2, s32 offset:708 ; 4-byte Folded Spill
	s_wait_xcnt 0x0
	v_fma_mixlo_bf16 v2, v86, v9, 0
	s_clause 0x1
	scratch_store_b32 off, v7, s32 offset:680
	scratch_store_b32 off, v6, s32 offset:684
	v_fma_mixlo_bf16 v3, v86, v3, 0
	s_clause 0x1
	scratch_store_b32 off, v5, s32 offset:696
	scratch_store_b32 off, v2, s32 offset:688
	s_wait_xcnt 0x0
	v_fma_mixlo_bf16 v2, v86, v8, 0
	s_clause 0x2
	scratch_store_b32 off, v4, s32 offset:700
	scratch_store_b32 off, v3, s32 offset:704
	;; [unrolled: 1-line block ×3, first 2 shown]
	s_wait_xcnt 0x0
	s_and_saveexec_b32 s16, vcc_lo
	s_cbranch_execz .LBB372_2680
; %bb.2679:                             ;   in Loop: Header=BB372_2086 Depth=1
	s_clause 0x1
	scratch_load_b32 v2, off, s32 offset:192
	scratch_load_b32 v3, off, s32 offset:708
	s_wait_loadcnt 0x1
	v_cmp_lt_i32_e64 s0, v63, v2
	s_wait_loadcnt 0x0
	s_delay_alu instid0(VALU_DEP_1)
	v_cndmask_b32_e64 v3, 0, v3, s0
	v_cmp_lt_i32_e64 s0, v95, v2
	s_clause 0x1
	scratch_store_b32 off, v3, s32 offset:708
	scratch_load_b32 v3, off, s32 offset:704
	s_wait_loadcnt 0x0
	v_cndmask_b32_e64 v3, 0, v3, s0
	v_cmp_lt_i32_e64 s0, v94, v2
	s_clause 0x1
	scratch_store_b32 off, v3, s32 offset:704
	scratch_load_b32 v3, off, s32 offset:700
	s_wait_loadcnt 0x0
	;; [unrolled: 6-line block ×6, first 2 shown]
	v_cndmask_b32_e64 v3, 0, v3, s0
	v_cmp_lt_i32_e64 s0, v89, v2
	scratch_load_b32 v2, off, s32 offset:692 ; 4-byte Folded Reload
	s_wait_loadcnt 0x0
	v_cndmask_b32_e64 v2, 0, v2, s0
	s_clause 0x1
	scratch_store_b32 off, v3, s32 offset:688
	scratch_store_b32 off, v2, s32 offset:692
.LBB372_2680:                           ;   in Loop: Header=BB372_2086 Depth=1
	s_wait_xcnt 0x0
	s_or_b32 exec_lo, exec_lo, s16
	flat_load_b64 v[80:81], v[18:19] offset:2304
	v_dual_mov_b32 v3, 0 :: v_dual_mov_b32 v2, 0
	s_mov_b32 s16, exec_lo
	s_wait_loadcnt_dscnt 0x0
	v_and_b32_e32 v4, 0xff, v80
	s_wait_xcnt 0x0
	s_delay_alu instid0(VALU_DEP_1)
	v_cmpx_ne_u16_e32 0, v4
	s_cbranch_execz .LBB372_2688
; %bb.2681:                             ;   in Loop: Header=BB372_2086 Depth=1
	v_bfrev_b32_e32 v2, 1
	s_mov_b32 s17, exec_lo
	v_cmpx_ne_u16_e32 0x80, v4
	s_cbranch_execz .LBB372_2687
; %bb.2682:                             ;   in Loop: Header=BB372_2086 Depth=1
	v_and_b32_e32 v4, 0x7f, v80
	v_mov_b32_e32 v2, 0x7f800001
	s_mov_b32 s18, exec_lo
	s_delay_alu instid0(VALU_DEP_2)
	v_cmpx_ne_u32_e32 0x7f, v4
	s_cbranch_execz .LBB372_2686
; %bb.2683:                             ;   in Loop: Header=BB372_2086 Depth=1
	v_mov_b64_e32 v[82:83], v[80:81]
	v_lshrrev_b32_e32 v2, 3, v4
	s_mov_b32 s19, exec_lo
	v_cmpx_gt_u32_e32 8, v4
; %bb.2684:                             ;   in Loop: Header=BB372_2086 Depth=1
	v_and_b32_e32 v2, 7, v80
	s_delay_alu instid0(VALU_DEP_1) | instskip(NEXT) | instid1(VALU_DEP_1)
	v_clz_i32_u32_e32 v2, v2
	v_min_u32_e32 v2, 32, v2
	s_delay_alu instid0(VALU_DEP_1) | instskip(SKIP_1) | instid1(VALU_DEP_2)
	v_subrev_nc_u32_e32 v4, 28, v2
	v_sub_nc_u32_e32 v2, 29, v2
	v_lshlrev_b64_e32 v[82:83], v4, v[80:81]
; %bb.2685:                             ;   in Loop: Header=BB372_2086 Depth=1
	s_or_b32 exec_lo, exec_lo, s19
	s_delay_alu instid0(VALU_DEP_1) | instskip(NEXT) | instid1(VALU_DEP_3)
	v_dual_lshlrev_b32 v4, 20, v82 :: v_dual_lshlrev_b32 v5, 24, v80
	v_lshl_add_u32 v2, v2, 23, 0x3c000000
	s_delay_alu instid0(VALU_DEP_2) | instskip(NEXT) | instid1(VALU_DEP_3)
	v_and_b32_e32 v4, 0x700000, v4
	v_and_b32_e32 v5, 0x80000000, v5
	s_delay_alu instid0(VALU_DEP_1)
	v_or3_b32 v2, v4, v5, v2
.LBB372_2686:                           ;   in Loop: Header=BB372_2086 Depth=1
	s_or_b32 exec_lo, exec_lo, s18
.LBB372_2687:                           ;   in Loop: Header=BB372_2086 Depth=1
	s_delay_alu instid0(SALU_CYCLE_1)
	s_or_b32 exec_lo, exec_lo, s17
.LBB372_2688:                           ;   in Loop: Header=BB372_2086 Depth=1
	s_delay_alu instid0(SALU_CYCLE_1) | instskip(SKIP_2) | instid1(VALU_DEP_1)
	s_or_b32 exec_lo, exec_lo, s16
	v_lshrrev_b16 v4, 8, v80
	s_mov_b32 s16, exec_lo
	v_cmpx_ne_u16_e32 0, v4
	s_cbranch_execz .LBB372_2696
; %bb.2689:                             ;   in Loop: Header=BB372_2086 Depth=1
	v_bfrev_b32_e32 v3, 1
	s_mov_b32 s17, exec_lo
	v_cmpx_ne_u16_e32 0x80, v4
	s_cbranch_execz .LBB372_2695
; %bb.2690:                             ;   in Loop: Header=BB372_2086 Depth=1
	v_and_b32_e32 v5, 0xffff, v4
	v_mov_b32_e32 v3, 0x7f800001
	s_mov_b32 s18, exec_lo
	s_delay_alu instid0(VALU_DEP_2) | instskip(NEXT) | instid1(VALU_DEP_1)
	v_and_b32_e32 v4, 0x7f, v5
	v_cmpx_ne_u32_e32 0x7f, v4
	s_cbranch_execz .LBB372_2694
; %bb.2691:                             ;   in Loop: Header=BB372_2086 Depth=1
	v_dual_lshrrev_b32 v3, 3, v4 :: v_dual_bitop2_b32 v22, 7, v5 bitop3:0x40
	s_mov_b32 s19, exec_lo
	s_delay_alu instid0(VALU_DEP_1)
	v_mov_b64_e32 v[82:83], v[22:23]
	v_cmpx_gt_u32_e32 8, v4
; %bb.2692:                             ;   in Loop: Header=BB372_2086 Depth=1
	v_clz_i32_u32_e32 v3, v22
	s_delay_alu instid0(VALU_DEP_1) | instskip(NEXT) | instid1(VALU_DEP_1)
	v_min_u32_e32 v3, 32, v3
	v_subrev_nc_u32_e32 v4, 28, v3
	s_delay_alu instid0(VALU_DEP_1) | instskip(NEXT) | instid1(VALU_DEP_1)
	v_lshlrev_b64_e32 v[4:5], v4, v[22:23]
	v_dual_sub_nc_u32 v3, 29, v3 :: v_dual_bitop2_b32 v82, 7, v4 bitop3:0x40
; %bb.2693:                             ;   in Loop: Header=BB372_2086 Depth=1
	s_or_b32 exec_lo, exec_lo, s19
	s_delay_alu instid0(VALU_DEP_1) | instskip(NEXT) | instid1(VALU_DEP_2)
	v_dual_lshlrev_b32 v4, 16, v80 :: v_dual_lshlrev_b32 v5, 20, v82
	v_lshl_add_u32 v3, v3, 23, 0x3c000000
	s_delay_alu instid0(VALU_DEP_2) | instskip(NEXT) | instid1(VALU_DEP_1)
	v_and_b32_e32 v4, 0x80000000, v4
	v_or3_b32 v3, v5, v4, v3
.LBB372_2694:                           ;   in Loop: Header=BB372_2086 Depth=1
	s_or_b32 exec_lo, exec_lo, s18
.LBB372_2695:                           ;   in Loop: Header=BB372_2086 Depth=1
	s_delay_alu instid0(SALU_CYCLE_1)
	s_or_b32 exec_lo, exec_lo, s17
.LBB372_2696:                           ;   in Loop: Header=BB372_2086 Depth=1
	s_delay_alu instid0(SALU_CYCLE_1) | instskip(SKIP_3) | instid1(VALU_DEP_2)
	s_or_b32 exec_lo, exec_lo, s16
	v_dual_mov_b32 v5, 0 :: v_dual_lshrrev_b32 v6, 16, v80
	v_mov_b32_e32 v4, 0
	s_mov_b32 s16, exec_lo
	v_and_b32_e32 v7, 0xff, v6
	s_delay_alu instid0(VALU_DEP_1)
	v_cmpx_ne_u16_e32 0, v7
	s_cbranch_execz .LBB372_2704
; %bb.2697:                             ;   in Loop: Header=BB372_2086 Depth=1
	v_bfrev_b32_e32 v4, 1
	s_mov_b32 s17, exec_lo
	v_cmpx_ne_u16_e32 0x80, v7
	s_cbranch_execz .LBB372_2703
; %bb.2698:                             ;   in Loop: Header=BB372_2086 Depth=1
	v_bfe_u32 v7, v80, 16, 7
	v_mov_b32_e32 v4, 0x7f800001
	s_mov_b32 s18, exec_lo
	s_delay_alu instid0(VALU_DEP_2)
	v_cmpx_ne_u32_e32 0x7f, v7
	s_cbranch_execz .LBB372_2702
; %bb.2699:                             ;   in Loop: Header=BB372_2086 Depth=1
	v_dual_lshrrev_b32 v4, 3, v7 :: v_dual_bitop2_b32 v22, 7, v6 bitop3:0x40
	s_mov_b32 s19, exec_lo
	s_delay_alu instid0(VALU_DEP_1)
	v_mov_b64_e32 v[82:83], v[22:23]
	v_cmpx_gt_u32_e32 8, v7
; %bb.2700:                             ;   in Loop: Header=BB372_2086 Depth=1
	v_clz_i32_u32_e32 v4, v22
	s_delay_alu instid0(VALU_DEP_1) | instskip(NEXT) | instid1(VALU_DEP_1)
	v_min_u32_e32 v4, 32, v4
	v_subrev_nc_u32_e32 v7, 28, v4
	v_sub_nc_u32_e32 v4, 29, v4
	s_delay_alu instid0(VALU_DEP_2) | instskip(NEXT) | instid1(VALU_DEP_1)
	v_lshlrev_b64_e32 v[8:9], v7, v[22:23]
	v_and_b32_e32 v82, 7, v8
; %bb.2701:                             ;   in Loop: Header=BB372_2086 Depth=1
	s_or_b32 exec_lo, exec_lo, s19
	v_lshlrev_b32_e32 v6, 24, v6
	s_delay_alu instid0(VALU_DEP_2) | instskip(SKIP_1) | instid1(VALU_DEP_3)
	v_lshlrev_b32_e32 v7, 20, v82
	v_lshl_add_u32 v4, v4, 23, 0x3c000000
	v_and_b32_e32 v6, 0x80000000, v6
	s_delay_alu instid0(VALU_DEP_1)
	v_or3_b32 v4, v7, v6, v4
.LBB372_2702:                           ;   in Loop: Header=BB372_2086 Depth=1
	s_or_b32 exec_lo, exec_lo, s18
.LBB372_2703:                           ;   in Loop: Header=BB372_2086 Depth=1
	s_delay_alu instid0(SALU_CYCLE_1)
	s_or_b32 exec_lo, exec_lo, s17
.LBB372_2704:                           ;   in Loop: Header=BB372_2086 Depth=1
	s_delay_alu instid0(SALU_CYCLE_1) | instskip(NEXT) | instid1(SALU_CYCLE_1)
	s_or_b32 exec_lo, exec_lo, s16
	s_mov_b32 s16, exec_lo
	v_cmpx_lt_u32_e32 0xffffff, v80
	s_cbranch_execz .LBB372_2712
; %bb.2705:                             ;   in Loop: Header=BB372_2086 Depth=1
	v_lshrrev_b32_e32 v6, 24, v80
	v_bfrev_b32_e32 v5, 1
	s_mov_b32 s17, exec_lo
	s_delay_alu instid0(VALU_DEP_2)
	v_cmpx_ne_u32_e32 0x80, v6
	s_cbranch_execz .LBB372_2711
; %bb.2706:                             ;   in Loop: Header=BB372_2086 Depth=1
	v_bfe_u32 v7, v80, 24, 7
	v_mov_b32_e32 v5, 0x7f800001
	s_mov_b32 s18, exec_lo
	s_delay_alu instid0(VALU_DEP_2)
	v_cmpx_ne_u32_e32 0x7f, v7
	s_cbranch_execz .LBB372_2710
; %bb.2707:                             ;   in Loop: Header=BB372_2086 Depth=1
	v_dual_lshrrev_b32 v5, 3, v7 :: v_dual_bitop2_b32 v22, 7, v6 bitop3:0x40
	s_mov_b32 s19, exec_lo
	s_delay_alu instid0(VALU_DEP_1)
	v_mov_b64_e32 v[82:83], v[22:23]
	v_cmpx_gt_u32_e32 8, v7
; %bb.2708:                             ;   in Loop: Header=BB372_2086 Depth=1
	v_clz_i32_u32_e32 v5, v22
	s_delay_alu instid0(VALU_DEP_1) | instskip(NEXT) | instid1(VALU_DEP_1)
	v_min_u32_e32 v5, 32, v5
	v_subrev_nc_u32_e32 v7, 28, v5
	s_delay_alu instid0(VALU_DEP_1) | instskip(NEXT) | instid1(VALU_DEP_1)
	v_lshlrev_b64_e32 v[8:9], v7, v[22:23]
	v_dual_sub_nc_u32 v5, 29, v5 :: v_dual_bitop2_b32 v82, 7, v8 bitop3:0x40
; %bb.2709:                             ;   in Loop: Header=BB372_2086 Depth=1
	s_or_b32 exec_lo, exec_lo, s19
	v_lshlrev_b32_e32 v6, 24, v6
	s_delay_alu instid0(VALU_DEP_2) | instskip(NEXT) | instid1(VALU_DEP_3)
	v_lshlrev_b32_e32 v7, 20, v82
	v_lshl_add_u32 v5, v5, 23, 0x3c000000
	s_delay_alu instid0(VALU_DEP_3) | instskip(NEXT) | instid1(VALU_DEP_1)
	v_and_b32_e32 v6, 0x80000000, v6
	v_or3_b32 v5, v7, v6, v5
.LBB372_2710:                           ;   in Loop: Header=BB372_2086 Depth=1
	s_or_b32 exec_lo, exec_lo, s18
.LBB372_2711:                           ;   in Loop: Header=BB372_2086 Depth=1
	s_delay_alu instid0(SALU_CYCLE_1)
	s_or_b32 exec_lo, exec_lo, s17
.LBB372_2712:                           ;   in Loop: Header=BB372_2086 Depth=1
	s_delay_alu instid0(SALU_CYCLE_1) | instskip(SKIP_4) | instid1(VALU_DEP_3)
	s_or_b32 exec_lo, exec_lo, s16
	v_and_b32_e32 v8, 0xff, v81
	v_dual_mov_b32 v22, v81 :: v_dual_mov_b32 v7, 0
	v_mov_b32_e32 v6, 0
	s_mov_b32 s16, exec_lo
	v_cmpx_ne_u16_e32 0, v8
	s_cbranch_execz .LBB372_2720
; %bb.2713:                             ;   in Loop: Header=BB372_2086 Depth=1
	v_bfrev_b32_e32 v6, 1
	s_mov_b32 s17, exec_lo
	v_cmpx_ne_u16_e32 0x80, v8
	s_cbranch_execz .LBB372_2719
; %bb.2714:                             ;   in Loop: Header=BB372_2086 Depth=1
	v_and_b32_e32 v8, 0x7f, v81
	v_mov_b32_e32 v6, 0x7f800001
	s_mov_b32 s18, exec_lo
	s_delay_alu instid0(VALU_DEP_2)
	v_cmpx_ne_u32_e32 0x7f, v8
	s_cbranch_execz .LBB372_2718
; %bb.2715:                             ;   in Loop: Header=BB372_2086 Depth=1
	v_mov_b64_e32 v[82:83], v[22:23]
	v_lshrrev_b32_e32 v6, 3, v8
	s_mov_b32 s19, exec_lo
	v_cmpx_gt_u32_e32 8, v8
; %bb.2716:                             ;   in Loop: Header=BB372_2086 Depth=1
	v_and_b32_e32 v6, 7, v81
	s_delay_alu instid0(VALU_DEP_1) | instskip(NEXT) | instid1(VALU_DEP_1)
	v_clz_i32_u32_e32 v6, v6
	v_min_u32_e32 v6, 32, v6
	s_delay_alu instid0(VALU_DEP_1) | instskip(SKIP_1) | instid1(VALU_DEP_2)
	v_subrev_nc_u32_e32 v8, 28, v6
	v_sub_nc_u32_e32 v6, 29, v6
	v_lshlrev_b64_e32 v[82:83], v8, v[22:23]
; %bb.2717:                             ;   in Loop: Header=BB372_2086 Depth=1
	s_or_b32 exec_lo, exec_lo, s19
	s_delay_alu instid0(VALU_DEP_1) | instskip(SKIP_2) | instid1(VALU_DEP_3)
	v_lshlrev_b32_e32 v8, 20, v82
	v_lshlrev_b32_e32 v9, 24, v22
	v_lshl_add_u32 v6, v6, 23, 0x3c000000
	v_and_b32_e32 v8, 0x700000, v8
	s_delay_alu instid0(VALU_DEP_3) | instskip(NEXT) | instid1(VALU_DEP_1)
	v_and_b32_e32 v9, 0x80000000, v9
	v_or3_b32 v6, v8, v9, v6
.LBB372_2718:                           ;   in Loop: Header=BB372_2086 Depth=1
	s_or_b32 exec_lo, exec_lo, s18
.LBB372_2719:                           ;   in Loop: Header=BB372_2086 Depth=1
	s_delay_alu instid0(SALU_CYCLE_1)
	s_or_b32 exec_lo, exec_lo, s17
.LBB372_2720:                           ;   in Loop: Header=BB372_2086 Depth=1
	s_delay_alu instid0(SALU_CYCLE_1) | instskip(SKIP_2) | instid1(VALU_DEP_1)
	s_or_b32 exec_lo, exec_lo, s16
	v_lshrrev_b16 v8, 8, v22
	s_mov_b32 s16, exec_lo
	v_cmpx_ne_u16_e32 0, v8
	s_cbranch_execz .LBB372_2728
; %bb.2721:                             ;   in Loop: Header=BB372_2086 Depth=1
	v_bfrev_b32_e32 v7, 1
	s_mov_b32 s17, exec_lo
	v_cmpx_ne_u16_e32 0x80, v8
	s_cbranch_execz .LBB372_2727
; %bb.2722:                             ;   in Loop: Header=BB372_2086 Depth=1
	v_and_b32_e32 v9, 0xffff, v8
	v_mov_b32_e32 v7, 0x7f800001
	s_mov_b32 s18, exec_lo
	s_delay_alu instid0(VALU_DEP_2) | instskip(NEXT) | instid1(VALU_DEP_1)
	v_and_b32_e32 v8, 0x7f, v9
	v_cmpx_ne_u32_e32 0x7f, v8
	s_cbranch_execz .LBB372_2726
; %bb.2723:                             ;   in Loop: Header=BB372_2086 Depth=1
	v_dual_mov_b32 v83, v23 :: v_dual_bitop2_b32 v82, 7, v9 bitop3:0x40
	v_lshrrev_b32_e32 v7, 3, v8
	s_mov_b32 s19, exec_lo
	v_cmpx_gt_u32_e32 8, v8
; %bb.2724:                             ;   in Loop: Header=BB372_2086 Depth=1
	s_delay_alu instid0(VALU_DEP_3) | instskip(NEXT) | instid1(VALU_DEP_1)
	v_clz_i32_u32_e32 v7, v82
	v_min_u32_e32 v7, 32, v7
	s_delay_alu instid0(VALU_DEP_1) | instskip(NEXT) | instid1(VALU_DEP_1)
	v_subrev_nc_u32_e32 v8, 28, v7
	v_lshlrev_b64_e32 v[8:9], v8, v[82:83]
	s_delay_alu instid0(VALU_DEP_1)
	v_dual_sub_nc_u32 v7, 29, v7 :: v_dual_bitop2_b32 v82, 7, v8 bitop3:0x40
; %bb.2725:                             ;   in Loop: Header=BB372_2086 Depth=1
	s_or_b32 exec_lo, exec_lo, s19
	v_lshlrev_b32_e32 v8, 16, v22
	s_delay_alu instid0(VALU_DEP_2) | instskip(NEXT) | instid1(VALU_DEP_3)
	v_lshlrev_b32_e32 v9, 20, v82
	v_lshl_add_u32 v7, v7, 23, 0x3c000000
	s_delay_alu instid0(VALU_DEP_3) | instskip(NEXT) | instid1(VALU_DEP_1)
	v_and_b32_e32 v8, 0x80000000, v8
	v_or3_b32 v7, v9, v8, v7
.LBB372_2726:                           ;   in Loop: Header=BB372_2086 Depth=1
	s_or_b32 exec_lo, exec_lo, s18
.LBB372_2727:                           ;   in Loop: Header=BB372_2086 Depth=1
	s_delay_alu instid0(SALU_CYCLE_1)
	s_or_b32 exec_lo, exec_lo, s17
.LBB372_2728:                           ;   in Loop: Header=BB372_2086 Depth=1
	s_delay_alu instid0(SALU_CYCLE_1) | instskip(SKIP_3) | instid1(VALU_DEP_2)
	s_or_b32 exec_lo, exec_lo, s16
	v_dual_lshrrev_b32 v10, 16, v81 :: v_dual_mov_b32 v8, 0
	v_mov_b32_e32 v9, 0
	s_mov_b32 s16, exec_lo
	v_and_b32_e32 v11, 0xff, v10
	s_delay_alu instid0(VALU_DEP_1)
	v_cmpx_ne_u16_e32 0, v11
	s_cbranch_execz .LBB372_2736
; %bb.2729:                             ;   in Loop: Header=BB372_2086 Depth=1
	v_bfrev_b32_e32 v9, 1
	s_mov_b32 s17, exec_lo
	v_cmpx_ne_u16_e32 0x80, v11
	s_cbranch_execz .LBB372_2735
; %bb.2730:                             ;   in Loop: Header=BB372_2086 Depth=1
	v_bfe_u32 v11, v81, 16, 7
	v_mov_b32_e32 v9, 0x7f800001
	s_mov_b32 s18, exec_lo
	s_delay_alu instid0(VALU_DEP_2)
	v_cmpx_ne_u32_e32 0x7f, v11
	s_cbranch_execz .LBB372_2734
; %bb.2731:                             ;   in Loop: Header=BB372_2086 Depth=1
	v_dual_lshrrev_b32 v9, 3, v11 :: v_dual_bitop2_b32 v22, 7, v10 bitop3:0x40
	s_mov_b32 s19, exec_lo
	s_delay_alu instid0(VALU_DEP_1)
	v_mov_b64_e32 v[82:83], v[22:23]
	v_cmpx_gt_u32_e32 8, v11
; %bb.2732:                             ;   in Loop: Header=BB372_2086 Depth=1
	v_clz_i32_u32_e32 v9, v22
	s_delay_alu instid0(VALU_DEP_1) | instskip(NEXT) | instid1(VALU_DEP_1)
	v_min_u32_e32 v9, 32, v9
	v_subrev_nc_u32_e32 v11, 28, v9
	s_delay_alu instid0(VALU_DEP_1) | instskip(NEXT) | instid1(VALU_DEP_1)
	v_lshlrev_b64_e32 v[64:65], v11, v[22:23]
	v_dual_sub_nc_u32 v9, 29, v9 :: v_dual_bitop2_b32 v82, 7, v64 bitop3:0x40
; %bb.2733:                             ;   in Loop: Header=BB372_2086 Depth=1
	s_or_b32 exec_lo, exec_lo, s19
	v_lshlrev_b32_e32 v10, 24, v10
	s_delay_alu instid0(VALU_DEP_2) | instskip(NEXT) | instid1(VALU_DEP_3)
	v_lshlrev_b32_e32 v11, 20, v82
	v_lshl_add_u32 v9, v9, 23, 0x3c000000
	s_delay_alu instid0(VALU_DEP_3) | instskip(NEXT) | instid1(VALU_DEP_1)
	v_and_b32_e32 v10, 0x80000000, v10
	v_or3_b32 v9, v11, v10, v9
.LBB372_2734:                           ;   in Loop: Header=BB372_2086 Depth=1
	s_or_b32 exec_lo, exec_lo, s18
.LBB372_2735:                           ;   in Loop: Header=BB372_2086 Depth=1
	s_delay_alu instid0(SALU_CYCLE_1)
	s_or_b32 exec_lo, exec_lo, s17
.LBB372_2736:                           ;   in Loop: Header=BB372_2086 Depth=1
	s_delay_alu instid0(SALU_CYCLE_1) | instskip(NEXT) | instid1(SALU_CYCLE_1)
	s_or_b32 exec_lo, exec_lo, s16
	s_mov_b32 s16, exec_lo
	v_cmpx_lt_u64_e64 s[2:3], v[80:81]
	s_cbranch_execz .LBB372_2744
; %bb.2737:                             ;   in Loop: Header=BB372_2086 Depth=1
	v_lshrrev_b32_e32 v10, 24, v81
	v_bfrev_b32_e32 v8, 1
	s_mov_b32 s17, exec_lo
	s_delay_alu instid0(VALU_DEP_2)
	v_cmpx_ne_u32_e32 0x80, v10
	s_cbranch_execz .LBB372_2743
; %bb.2738:                             ;   in Loop: Header=BB372_2086 Depth=1
	v_bfe_u32 v11, v81, 24, 7
	v_mov_b32_e32 v8, 0x7f800001
	s_mov_b32 s18, exec_lo
	s_delay_alu instid0(VALU_DEP_2)
	v_cmpx_ne_u32_e32 0x7f, v11
	s_cbranch_execz .LBB372_2742
; %bb.2739:                             ;   in Loop: Header=BB372_2086 Depth=1
	v_dual_lshrrev_b32 v8, 3, v11 :: v_dual_bitop2_b32 v22, 7, v10 bitop3:0x40
	s_mov_b32 s19, exec_lo
	s_delay_alu instid0(VALU_DEP_1)
	v_mov_b64_e32 v[80:81], v[22:23]
	v_cmpx_gt_u32_e32 8, v11
; %bb.2740:                             ;   in Loop: Header=BB372_2086 Depth=1
	v_clz_i32_u32_e32 v8, v22
	s_delay_alu instid0(VALU_DEP_1) | instskip(NEXT) | instid1(VALU_DEP_1)
	v_min_u32_e32 v8, 32, v8
	v_subrev_nc_u32_e32 v11, 28, v8
	v_sub_nc_u32_e32 v8, 29, v8
	s_delay_alu instid0(VALU_DEP_2) | instskip(NEXT) | instid1(VALU_DEP_1)
	v_lshlrev_b64_e32 v[64:65], v11, v[22:23]
	v_and_b32_e32 v80, 7, v64
; %bb.2741:                             ;   in Loop: Header=BB372_2086 Depth=1
	s_or_b32 exec_lo, exec_lo, s19
	s_delay_alu instid0(VALU_DEP_1) | instskip(SKIP_1) | instid1(VALU_DEP_2)
	v_dual_lshlrev_b32 v10, 24, v10 :: v_dual_lshlrev_b32 v11, 20, v80
	v_lshl_add_u32 v8, v8, 23, 0x3c000000
	v_and_b32_e32 v10, 0x80000000, v10
	s_delay_alu instid0(VALU_DEP_1)
	v_or3_b32 v8, v11, v10, v8
.LBB372_2742:                           ;   in Loop: Header=BB372_2086 Depth=1
	s_or_b32 exec_lo, exec_lo, s18
.LBB372_2743:                           ;   in Loop: Header=BB372_2086 Depth=1
	s_delay_alu instid0(SALU_CYCLE_1)
	s_or_b32 exec_lo, exec_lo, s17
.LBB372_2744:                           ;   in Loop: Header=BB372_2086 Depth=1
	s_delay_alu instid0(SALU_CYCLE_1)
	s_or_b32 exec_lo, exec_lo, s16
	v_fma_mixlo_bf16 v2, v86, v2, 0
	v_fma_mixlo_bf16 v7, v86, v7, 0
	;; [unrolled: 1-line block ×5, first 2 shown]
	scratch_store_b32 off, v2, s32 offset:752 ; 4-byte Folded Spill
	s_wait_xcnt 0x0
	v_fma_mixlo_bf16 v2, v86, v9, 0
	s_clause 0x1
	scratch_store_b32 off, v7, s32 offset:712
	scratch_store_b32 off, v6, s32 offset:720
	v_fma_mixlo_bf16 v3, v86, v3, 0
	s_clause 0x1
	scratch_store_b32 off, v5, s32 offset:740
	scratch_store_b32 off, v2, s32 offset:724
	s_wait_xcnt 0x0
	v_fma_mixlo_bf16 v2, v86, v8, 0
	s_clause 0x2
	scratch_store_b32 off, v4, s32 offset:744
	scratch_store_b32 off, v3, s32 offset:748
	;; [unrolled: 1-line block ×3, first 2 shown]
	s_wait_xcnt 0x0
	s_and_saveexec_b32 s16, vcc_lo
	s_cbranch_execz .LBB372_2746
; %bb.2745:                             ;   in Loop: Header=BB372_2086 Depth=1
	s_clause 0x1
	scratch_load_b32 v2, off, s32 offset:192
	scratch_load_b32 v3, off, s32 offset:752
	s_wait_loadcnt 0x1
	v_cmp_lt_i32_e64 s0, v63, v2
	s_wait_loadcnt 0x0
	s_delay_alu instid0(VALU_DEP_1)
	v_cndmask_b32_e64 v3, 0, v3, s0
	v_cmp_lt_i32_e64 s0, v95, v2
	s_clause 0x1
	scratch_store_b32 off, v3, s32 offset:752
	scratch_load_b32 v3, off, s32 offset:748
	s_wait_loadcnt 0x0
	v_cndmask_b32_e64 v3, 0, v3, s0
	v_cmp_lt_i32_e64 s0, v94, v2
	s_clause 0x1
	scratch_store_b32 off, v3, s32 offset:748
	scratch_load_b32 v3, off, s32 offset:744
	s_wait_loadcnt 0x0
	;; [unrolled: 6-line block ×6, first 2 shown]
	v_cndmask_b32_e64 v3, 0, v3, s0
	v_cmp_lt_i32_e64 s0, v89, v2
	scratch_load_b32 v2, off, s32 offset:732 ; 4-byte Folded Reload
	s_wait_loadcnt 0x0
	v_cndmask_b32_e64 v2, 0, v2, s0
	s_clause 0x1
	scratch_store_b32 off, v3, s32 offset:724
	scratch_store_b32 off, v2, s32 offset:732
.LBB372_2746:                           ;   in Loop: Header=BB372_2086 Depth=1
	s_wait_xcnt 0x0
	s_or_b32 exec_lo, exec_lo, s16
	flat_load_b64 v[80:81], v[18:19] offset:2560
	v_dual_mov_b32 v3, 0 :: v_dual_mov_b32 v2, 0
	s_mov_b32 s16, exec_lo
	s_wait_loadcnt_dscnt 0x0
	v_and_b32_e32 v4, 0xff, v80
	s_wait_xcnt 0x0
	s_delay_alu instid0(VALU_DEP_1)
	v_cmpx_ne_u16_e32 0, v4
	s_cbranch_execz .LBB372_2754
; %bb.2747:                             ;   in Loop: Header=BB372_2086 Depth=1
	v_bfrev_b32_e32 v2, 1
	s_mov_b32 s17, exec_lo
	v_cmpx_ne_u16_e32 0x80, v4
	s_cbranch_execz .LBB372_2753
; %bb.2748:                             ;   in Loop: Header=BB372_2086 Depth=1
	v_and_b32_e32 v4, 0x7f, v80
	v_mov_b32_e32 v2, 0x7f800001
	s_mov_b32 s18, exec_lo
	s_delay_alu instid0(VALU_DEP_2)
	v_cmpx_ne_u32_e32 0x7f, v4
	s_cbranch_execz .LBB372_2752
; %bb.2749:                             ;   in Loop: Header=BB372_2086 Depth=1
	v_mov_b64_e32 v[82:83], v[80:81]
	v_lshrrev_b32_e32 v2, 3, v4
	s_mov_b32 s19, exec_lo
	v_cmpx_gt_u32_e32 8, v4
; %bb.2750:                             ;   in Loop: Header=BB372_2086 Depth=1
	v_and_b32_e32 v2, 7, v80
	s_delay_alu instid0(VALU_DEP_1) | instskip(NEXT) | instid1(VALU_DEP_1)
	v_clz_i32_u32_e32 v2, v2
	v_min_u32_e32 v2, 32, v2
	s_delay_alu instid0(VALU_DEP_1) | instskip(SKIP_1) | instid1(VALU_DEP_2)
	v_subrev_nc_u32_e32 v4, 28, v2
	v_sub_nc_u32_e32 v2, 29, v2
	v_lshlrev_b64_e32 v[82:83], v4, v[80:81]
; %bb.2751:                             ;   in Loop: Header=BB372_2086 Depth=1
	s_or_b32 exec_lo, exec_lo, s19
	s_delay_alu instid0(VALU_DEP_1) | instskip(NEXT) | instid1(VALU_DEP_3)
	v_dual_lshlrev_b32 v4, 20, v82 :: v_dual_lshlrev_b32 v5, 24, v80
	v_lshl_add_u32 v2, v2, 23, 0x3c000000
	s_delay_alu instid0(VALU_DEP_2) | instskip(NEXT) | instid1(VALU_DEP_3)
	v_and_b32_e32 v4, 0x700000, v4
	v_and_b32_e32 v5, 0x80000000, v5
	s_delay_alu instid0(VALU_DEP_1)
	v_or3_b32 v2, v4, v5, v2
.LBB372_2752:                           ;   in Loop: Header=BB372_2086 Depth=1
	s_or_b32 exec_lo, exec_lo, s18
.LBB372_2753:                           ;   in Loop: Header=BB372_2086 Depth=1
	s_delay_alu instid0(SALU_CYCLE_1)
	s_or_b32 exec_lo, exec_lo, s17
.LBB372_2754:                           ;   in Loop: Header=BB372_2086 Depth=1
	s_delay_alu instid0(SALU_CYCLE_1) | instskip(SKIP_2) | instid1(VALU_DEP_1)
	s_or_b32 exec_lo, exec_lo, s16
	v_lshrrev_b16 v4, 8, v80
	s_mov_b32 s16, exec_lo
	v_cmpx_ne_u16_e32 0, v4
	s_cbranch_execz .LBB372_2762
; %bb.2755:                             ;   in Loop: Header=BB372_2086 Depth=1
	v_bfrev_b32_e32 v3, 1
	s_mov_b32 s17, exec_lo
	v_cmpx_ne_u16_e32 0x80, v4
	s_cbranch_execz .LBB372_2761
; %bb.2756:                             ;   in Loop: Header=BB372_2086 Depth=1
	v_and_b32_e32 v5, 0xffff, v4
	v_mov_b32_e32 v3, 0x7f800001
	s_mov_b32 s18, exec_lo
	s_delay_alu instid0(VALU_DEP_2) | instskip(NEXT) | instid1(VALU_DEP_1)
	v_and_b32_e32 v4, 0x7f, v5
	v_cmpx_ne_u32_e32 0x7f, v4
	s_cbranch_execz .LBB372_2760
; %bb.2757:                             ;   in Loop: Header=BB372_2086 Depth=1
	v_dual_lshrrev_b32 v3, 3, v4 :: v_dual_bitop2_b32 v22, 7, v5 bitop3:0x40
	s_mov_b32 s19, exec_lo
	s_delay_alu instid0(VALU_DEP_1)
	v_mov_b64_e32 v[82:83], v[22:23]
	v_cmpx_gt_u32_e32 8, v4
; %bb.2758:                             ;   in Loop: Header=BB372_2086 Depth=1
	v_clz_i32_u32_e32 v3, v22
	s_delay_alu instid0(VALU_DEP_1) | instskip(NEXT) | instid1(VALU_DEP_1)
	v_min_u32_e32 v3, 32, v3
	v_subrev_nc_u32_e32 v4, 28, v3
	s_delay_alu instid0(VALU_DEP_1) | instskip(NEXT) | instid1(VALU_DEP_1)
	v_lshlrev_b64_e32 v[4:5], v4, v[22:23]
	v_dual_sub_nc_u32 v3, 29, v3 :: v_dual_bitop2_b32 v82, 7, v4 bitop3:0x40
; %bb.2759:                             ;   in Loop: Header=BB372_2086 Depth=1
	s_or_b32 exec_lo, exec_lo, s19
	s_delay_alu instid0(VALU_DEP_1) | instskip(NEXT) | instid1(VALU_DEP_2)
	v_dual_lshlrev_b32 v4, 16, v80 :: v_dual_lshlrev_b32 v5, 20, v82
	v_lshl_add_u32 v3, v3, 23, 0x3c000000
	s_delay_alu instid0(VALU_DEP_2) | instskip(NEXT) | instid1(VALU_DEP_1)
	v_and_b32_e32 v4, 0x80000000, v4
	v_or3_b32 v3, v5, v4, v3
.LBB372_2760:                           ;   in Loop: Header=BB372_2086 Depth=1
	s_or_b32 exec_lo, exec_lo, s18
.LBB372_2761:                           ;   in Loop: Header=BB372_2086 Depth=1
	s_delay_alu instid0(SALU_CYCLE_1)
	s_or_b32 exec_lo, exec_lo, s17
.LBB372_2762:                           ;   in Loop: Header=BB372_2086 Depth=1
	s_delay_alu instid0(SALU_CYCLE_1) | instskip(SKIP_3) | instid1(VALU_DEP_2)
	s_or_b32 exec_lo, exec_lo, s16
	v_dual_mov_b32 v5, 0 :: v_dual_lshrrev_b32 v6, 16, v80
	v_mov_b32_e32 v4, 0
	s_mov_b32 s16, exec_lo
	v_and_b32_e32 v7, 0xff, v6
	s_delay_alu instid0(VALU_DEP_1)
	v_cmpx_ne_u16_e32 0, v7
	s_cbranch_execz .LBB372_2770
; %bb.2763:                             ;   in Loop: Header=BB372_2086 Depth=1
	v_bfrev_b32_e32 v4, 1
	s_mov_b32 s17, exec_lo
	v_cmpx_ne_u16_e32 0x80, v7
	s_cbranch_execz .LBB372_2769
; %bb.2764:                             ;   in Loop: Header=BB372_2086 Depth=1
	v_bfe_u32 v7, v80, 16, 7
	v_mov_b32_e32 v4, 0x7f800001
	s_mov_b32 s18, exec_lo
	s_delay_alu instid0(VALU_DEP_2)
	v_cmpx_ne_u32_e32 0x7f, v7
	s_cbranch_execz .LBB372_2768
; %bb.2765:                             ;   in Loop: Header=BB372_2086 Depth=1
	v_dual_lshrrev_b32 v4, 3, v7 :: v_dual_bitop2_b32 v22, 7, v6 bitop3:0x40
	s_mov_b32 s19, exec_lo
	s_delay_alu instid0(VALU_DEP_1)
	v_mov_b64_e32 v[82:83], v[22:23]
	v_cmpx_gt_u32_e32 8, v7
; %bb.2766:                             ;   in Loop: Header=BB372_2086 Depth=1
	v_clz_i32_u32_e32 v4, v22
	s_delay_alu instid0(VALU_DEP_1) | instskip(NEXT) | instid1(VALU_DEP_1)
	v_min_u32_e32 v4, 32, v4
	v_subrev_nc_u32_e32 v7, 28, v4
	v_sub_nc_u32_e32 v4, 29, v4
	s_delay_alu instid0(VALU_DEP_2) | instskip(NEXT) | instid1(VALU_DEP_1)
	v_lshlrev_b64_e32 v[8:9], v7, v[22:23]
	v_and_b32_e32 v82, 7, v8
; %bb.2767:                             ;   in Loop: Header=BB372_2086 Depth=1
	s_or_b32 exec_lo, exec_lo, s19
	v_lshlrev_b32_e32 v6, 24, v6
	s_delay_alu instid0(VALU_DEP_2) | instskip(SKIP_1) | instid1(VALU_DEP_3)
	v_lshlrev_b32_e32 v7, 20, v82
	v_lshl_add_u32 v4, v4, 23, 0x3c000000
	v_and_b32_e32 v6, 0x80000000, v6
	s_delay_alu instid0(VALU_DEP_1)
	v_or3_b32 v4, v7, v6, v4
.LBB372_2768:                           ;   in Loop: Header=BB372_2086 Depth=1
	s_or_b32 exec_lo, exec_lo, s18
.LBB372_2769:                           ;   in Loop: Header=BB372_2086 Depth=1
	s_delay_alu instid0(SALU_CYCLE_1)
	s_or_b32 exec_lo, exec_lo, s17
.LBB372_2770:                           ;   in Loop: Header=BB372_2086 Depth=1
	s_delay_alu instid0(SALU_CYCLE_1) | instskip(NEXT) | instid1(SALU_CYCLE_1)
	s_or_b32 exec_lo, exec_lo, s16
	s_mov_b32 s16, exec_lo
	v_cmpx_lt_u32_e32 0xffffff, v80
	s_cbranch_execz .LBB372_2778
; %bb.2771:                             ;   in Loop: Header=BB372_2086 Depth=1
	v_lshrrev_b32_e32 v6, 24, v80
	v_bfrev_b32_e32 v5, 1
	s_mov_b32 s17, exec_lo
	s_delay_alu instid0(VALU_DEP_2)
	v_cmpx_ne_u32_e32 0x80, v6
	s_cbranch_execz .LBB372_2777
; %bb.2772:                             ;   in Loop: Header=BB372_2086 Depth=1
	v_bfe_u32 v7, v80, 24, 7
	v_mov_b32_e32 v5, 0x7f800001
	s_mov_b32 s18, exec_lo
	s_delay_alu instid0(VALU_DEP_2)
	v_cmpx_ne_u32_e32 0x7f, v7
	s_cbranch_execz .LBB372_2776
; %bb.2773:                             ;   in Loop: Header=BB372_2086 Depth=1
	v_dual_lshrrev_b32 v5, 3, v7 :: v_dual_bitop2_b32 v22, 7, v6 bitop3:0x40
	s_mov_b32 s19, exec_lo
	s_delay_alu instid0(VALU_DEP_1)
	v_mov_b64_e32 v[82:83], v[22:23]
	v_cmpx_gt_u32_e32 8, v7
; %bb.2774:                             ;   in Loop: Header=BB372_2086 Depth=1
	v_clz_i32_u32_e32 v5, v22
	s_delay_alu instid0(VALU_DEP_1) | instskip(NEXT) | instid1(VALU_DEP_1)
	v_min_u32_e32 v5, 32, v5
	v_subrev_nc_u32_e32 v7, 28, v5
	s_delay_alu instid0(VALU_DEP_1) | instskip(NEXT) | instid1(VALU_DEP_1)
	v_lshlrev_b64_e32 v[8:9], v7, v[22:23]
	v_dual_sub_nc_u32 v5, 29, v5 :: v_dual_bitop2_b32 v82, 7, v8 bitop3:0x40
; %bb.2775:                             ;   in Loop: Header=BB372_2086 Depth=1
	s_or_b32 exec_lo, exec_lo, s19
	v_lshlrev_b32_e32 v6, 24, v6
	s_delay_alu instid0(VALU_DEP_2) | instskip(NEXT) | instid1(VALU_DEP_3)
	v_lshlrev_b32_e32 v7, 20, v82
	v_lshl_add_u32 v5, v5, 23, 0x3c000000
	s_delay_alu instid0(VALU_DEP_3) | instskip(NEXT) | instid1(VALU_DEP_1)
	v_and_b32_e32 v6, 0x80000000, v6
	v_or3_b32 v5, v7, v6, v5
.LBB372_2776:                           ;   in Loop: Header=BB372_2086 Depth=1
	s_or_b32 exec_lo, exec_lo, s18
.LBB372_2777:                           ;   in Loop: Header=BB372_2086 Depth=1
	s_delay_alu instid0(SALU_CYCLE_1)
	s_or_b32 exec_lo, exec_lo, s17
.LBB372_2778:                           ;   in Loop: Header=BB372_2086 Depth=1
	s_delay_alu instid0(SALU_CYCLE_1) | instskip(SKIP_4) | instid1(VALU_DEP_3)
	s_or_b32 exec_lo, exec_lo, s16
	v_and_b32_e32 v8, 0xff, v81
	v_dual_mov_b32 v22, v81 :: v_dual_mov_b32 v7, 0
	v_mov_b32_e32 v6, 0
	s_mov_b32 s16, exec_lo
	v_cmpx_ne_u16_e32 0, v8
	s_cbranch_execz .LBB372_2786
; %bb.2779:                             ;   in Loop: Header=BB372_2086 Depth=1
	v_bfrev_b32_e32 v6, 1
	s_mov_b32 s17, exec_lo
	v_cmpx_ne_u16_e32 0x80, v8
	s_cbranch_execz .LBB372_2785
; %bb.2780:                             ;   in Loop: Header=BB372_2086 Depth=1
	v_and_b32_e32 v8, 0x7f, v81
	v_mov_b32_e32 v6, 0x7f800001
	s_mov_b32 s18, exec_lo
	s_delay_alu instid0(VALU_DEP_2)
	v_cmpx_ne_u32_e32 0x7f, v8
	s_cbranch_execz .LBB372_2784
; %bb.2781:                             ;   in Loop: Header=BB372_2086 Depth=1
	v_mov_b64_e32 v[82:83], v[22:23]
	v_lshrrev_b32_e32 v6, 3, v8
	s_mov_b32 s19, exec_lo
	v_cmpx_gt_u32_e32 8, v8
; %bb.2782:                             ;   in Loop: Header=BB372_2086 Depth=1
	v_and_b32_e32 v6, 7, v81
	s_delay_alu instid0(VALU_DEP_1) | instskip(NEXT) | instid1(VALU_DEP_1)
	v_clz_i32_u32_e32 v6, v6
	v_min_u32_e32 v6, 32, v6
	s_delay_alu instid0(VALU_DEP_1) | instskip(SKIP_1) | instid1(VALU_DEP_2)
	v_subrev_nc_u32_e32 v8, 28, v6
	v_sub_nc_u32_e32 v6, 29, v6
	v_lshlrev_b64_e32 v[82:83], v8, v[22:23]
; %bb.2783:                             ;   in Loop: Header=BB372_2086 Depth=1
	s_or_b32 exec_lo, exec_lo, s19
	s_delay_alu instid0(VALU_DEP_1) | instskip(SKIP_2) | instid1(VALU_DEP_3)
	v_lshlrev_b32_e32 v8, 20, v82
	v_lshlrev_b32_e32 v9, 24, v22
	v_lshl_add_u32 v6, v6, 23, 0x3c000000
	v_and_b32_e32 v8, 0x700000, v8
	s_delay_alu instid0(VALU_DEP_3) | instskip(NEXT) | instid1(VALU_DEP_1)
	v_and_b32_e32 v9, 0x80000000, v9
	v_or3_b32 v6, v8, v9, v6
.LBB372_2784:                           ;   in Loop: Header=BB372_2086 Depth=1
	s_or_b32 exec_lo, exec_lo, s18
.LBB372_2785:                           ;   in Loop: Header=BB372_2086 Depth=1
	s_delay_alu instid0(SALU_CYCLE_1)
	s_or_b32 exec_lo, exec_lo, s17
.LBB372_2786:                           ;   in Loop: Header=BB372_2086 Depth=1
	s_delay_alu instid0(SALU_CYCLE_1) | instskip(SKIP_2) | instid1(VALU_DEP_1)
	s_or_b32 exec_lo, exec_lo, s16
	v_lshrrev_b16 v8, 8, v22
	s_mov_b32 s16, exec_lo
	v_cmpx_ne_u16_e32 0, v8
	s_cbranch_execz .LBB372_2794
; %bb.2787:                             ;   in Loop: Header=BB372_2086 Depth=1
	v_bfrev_b32_e32 v7, 1
	s_mov_b32 s17, exec_lo
	v_cmpx_ne_u16_e32 0x80, v8
	s_cbranch_execz .LBB372_2793
; %bb.2788:                             ;   in Loop: Header=BB372_2086 Depth=1
	v_and_b32_e32 v9, 0xffff, v8
	v_mov_b32_e32 v7, 0x7f800001
	s_mov_b32 s18, exec_lo
	s_delay_alu instid0(VALU_DEP_2) | instskip(NEXT) | instid1(VALU_DEP_1)
	v_and_b32_e32 v8, 0x7f, v9
	v_cmpx_ne_u32_e32 0x7f, v8
	s_cbranch_execz .LBB372_2792
; %bb.2789:                             ;   in Loop: Header=BB372_2086 Depth=1
	v_dual_mov_b32 v83, v23 :: v_dual_bitop2_b32 v82, 7, v9 bitop3:0x40
	v_lshrrev_b32_e32 v7, 3, v8
	s_mov_b32 s19, exec_lo
	v_cmpx_gt_u32_e32 8, v8
; %bb.2790:                             ;   in Loop: Header=BB372_2086 Depth=1
	s_delay_alu instid0(VALU_DEP_3) | instskip(NEXT) | instid1(VALU_DEP_1)
	v_clz_i32_u32_e32 v7, v82
	v_min_u32_e32 v7, 32, v7
	s_delay_alu instid0(VALU_DEP_1) | instskip(NEXT) | instid1(VALU_DEP_1)
	v_subrev_nc_u32_e32 v8, 28, v7
	v_lshlrev_b64_e32 v[8:9], v8, v[82:83]
	s_delay_alu instid0(VALU_DEP_1)
	v_dual_sub_nc_u32 v7, 29, v7 :: v_dual_bitop2_b32 v82, 7, v8 bitop3:0x40
; %bb.2791:                             ;   in Loop: Header=BB372_2086 Depth=1
	s_or_b32 exec_lo, exec_lo, s19
	v_lshlrev_b32_e32 v8, 16, v22
	s_delay_alu instid0(VALU_DEP_2) | instskip(NEXT) | instid1(VALU_DEP_3)
	v_lshlrev_b32_e32 v9, 20, v82
	v_lshl_add_u32 v7, v7, 23, 0x3c000000
	s_delay_alu instid0(VALU_DEP_3) | instskip(NEXT) | instid1(VALU_DEP_1)
	v_and_b32_e32 v8, 0x80000000, v8
	v_or3_b32 v7, v9, v8, v7
.LBB372_2792:                           ;   in Loop: Header=BB372_2086 Depth=1
	s_or_b32 exec_lo, exec_lo, s18
.LBB372_2793:                           ;   in Loop: Header=BB372_2086 Depth=1
	s_delay_alu instid0(SALU_CYCLE_1)
	s_or_b32 exec_lo, exec_lo, s17
.LBB372_2794:                           ;   in Loop: Header=BB372_2086 Depth=1
	s_delay_alu instid0(SALU_CYCLE_1) | instskip(SKIP_3) | instid1(VALU_DEP_2)
	s_or_b32 exec_lo, exec_lo, s16
	v_dual_lshrrev_b32 v10, 16, v81 :: v_dual_mov_b32 v8, 0
	v_mov_b32_e32 v9, 0
	s_mov_b32 s16, exec_lo
	v_and_b32_e32 v11, 0xff, v10
	s_delay_alu instid0(VALU_DEP_1)
	v_cmpx_ne_u16_e32 0, v11
	s_cbranch_execz .LBB372_2802
; %bb.2795:                             ;   in Loop: Header=BB372_2086 Depth=1
	v_bfrev_b32_e32 v9, 1
	s_mov_b32 s17, exec_lo
	v_cmpx_ne_u16_e32 0x80, v11
	s_cbranch_execz .LBB372_2801
; %bb.2796:                             ;   in Loop: Header=BB372_2086 Depth=1
	v_bfe_u32 v11, v81, 16, 7
	v_mov_b32_e32 v9, 0x7f800001
	s_mov_b32 s18, exec_lo
	s_delay_alu instid0(VALU_DEP_2)
	v_cmpx_ne_u32_e32 0x7f, v11
	s_cbranch_execz .LBB372_2800
; %bb.2797:                             ;   in Loop: Header=BB372_2086 Depth=1
	v_dual_lshrrev_b32 v9, 3, v11 :: v_dual_bitop2_b32 v22, 7, v10 bitop3:0x40
	s_mov_b32 s19, exec_lo
	s_delay_alu instid0(VALU_DEP_1)
	v_mov_b64_e32 v[82:83], v[22:23]
	v_cmpx_gt_u32_e32 8, v11
; %bb.2798:                             ;   in Loop: Header=BB372_2086 Depth=1
	v_clz_i32_u32_e32 v9, v22
	s_delay_alu instid0(VALU_DEP_1) | instskip(NEXT) | instid1(VALU_DEP_1)
	v_min_u32_e32 v9, 32, v9
	v_subrev_nc_u32_e32 v11, 28, v9
	s_delay_alu instid0(VALU_DEP_1) | instskip(NEXT) | instid1(VALU_DEP_1)
	v_lshlrev_b64_e32 v[64:65], v11, v[22:23]
	v_dual_sub_nc_u32 v9, 29, v9 :: v_dual_bitop2_b32 v82, 7, v64 bitop3:0x40
; %bb.2799:                             ;   in Loop: Header=BB372_2086 Depth=1
	s_or_b32 exec_lo, exec_lo, s19
	v_lshlrev_b32_e32 v10, 24, v10
	s_delay_alu instid0(VALU_DEP_2) | instskip(NEXT) | instid1(VALU_DEP_3)
	v_lshlrev_b32_e32 v11, 20, v82
	v_lshl_add_u32 v9, v9, 23, 0x3c000000
	s_delay_alu instid0(VALU_DEP_3) | instskip(NEXT) | instid1(VALU_DEP_1)
	v_and_b32_e32 v10, 0x80000000, v10
	v_or3_b32 v9, v11, v10, v9
.LBB372_2800:                           ;   in Loop: Header=BB372_2086 Depth=1
	s_or_b32 exec_lo, exec_lo, s18
.LBB372_2801:                           ;   in Loop: Header=BB372_2086 Depth=1
	s_delay_alu instid0(SALU_CYCLE_1)
	s_or_b32 exec_lo, exec_lo, s17
.LBB372_2802:                           ;   in Loop: Header=BB372_2086 Depth=1
	s_delay_alu instid0(SALU_CYCLE_1) | instskip(NEXT) | instid1(SALU_CYCLE_1)
	s_or_b32 exec_lo, exec_lo, s16
	s_mov_b32 s16, exec_lo
	v_cmpx_lt_u64_e64 s[2:3], v[80:81]
	s_cbranch_execz .LBB372_2810
; %bb.2803:                             ;   in Loop: Header=BB372_2086 Depth=1
	v_lshrrev_b32_e32 v10, 24, v81
	v_bfrev_b32_e32 v8, 1
	s_mov_b32 s17, exec_lo
	s_delay_alu instid0(VALU_DEP_2)
	v_cmpx_ne_u32_e32 0x80, v10
	s_cbranch_execz .LBB372_2809
; %bb.2804:                             ;   in Loop: Header=BB372_2086 Depth=1
	v_bfe_u32 v11, v81, 24, 7
	v_mov_b32_e32 v8, 0x7f800001
	s_mov_b32 s18, exec_lo
	s_delay_alu instid0(VALU_DEP_2)
	v_cmpx_ne_u32_e32 0x7f, v11
	s_cbranch_execz .LBB372_2808
; %bb.2805:                             ;   in Loop: Header=BB372_2086 Depth=1
	v_dual_lshrrev_b32 v8, 3, v11 :: v_dual_bitop2_b32 v22, 7, v10 bitop3:0x40
	s_mov_b32 s19, exec_lo
	s_delay_alu instid0(VALU_DEP_1)
	v_mov_b64_e32 v[80:81], v[22:23]
	v_cmpx_gt_u32_e32 8, v11
; %bb.2806:                             ;   in Loop: Header=BB372_2086 Depth=1
	v_clz_i32_u32_e32 v8, v22
	s_delay_alu instid0(VALU_DEP_1) | instskip(NEXT) | instid1(VALU_DEP_1)
	v_min_u32_e32 v8, 32, v8
	v_subrev_nc_u32_e32 v11, 28, v8
	v_sub_nc_u32_e32 v8, 29, v8
	s_delay_alu instid0(VALU_DEP_2) | instskip(NEXT) | instid1(VALU_DEP_1)
	v_lshlrev_b64_e32 v[64:65], v11, v[22:23]
	v_and_b32_e32 v80, 7, v64
; %bb.2807:                             ;   in Loop: Header=BB372_2086 Depth=1
	s_or_b32 exec_lo, exec_lo, s19
	s_delay_alu instid0(VALU_DEP_1) | instskip(SKIP_1) | instid1(VALU_DEP_2)
	v_dual_lshlrev_b32 v10, 24, v10 :: v_dual_lshlrev_b32 v11, 20, v80
	v_lshl_add_u32 v8, v8, 23, 0x3c000000
	v_and_b32_e32 v10, 0x80000000, v10
	s_delay_alu instid0(VALU_DEP_1)
	v_or3_b32 v8, v11, v10, v8
.LBB372_2808:                           ;   in Loop: Header=BB372_2086 Depth=1
	s_or_b32 exec_lo, exec_lo, s18
.LBB372_2809:                           ;   in Loop: Header=BB372_2086 Depth=1
	s_delay_alu instid0(SALU_CYCLE_1)
	s_or_b32 exec_lo, exec_lo, s17
.LBB372_2810:                           ;   in Loop: Header=BB372_2086 Depth=1
	s_delay_alu instid0(SALU_CYCLE_1)
	s_or_b32 exec_lo, exec_lo, s16
	v_fma_mixlo_bf16 v2, v86, v2, 0
	v_fma_mixlo_bf16 v7, v86, v7, 0
	v_fma_mixlo_bf16 v6, v86, v6, 0
	v_fma_mixlo_bf16 v5, v86, v5, 0
	v_fma_mixlo_bf16 v4, v86, v4, 0
	scratch_store_b32 off, v2, s32 offset:788 ; 4-byte Folded Spill
	s_wait_xcnt 0x0
	v_fma_mixlo_bf16 v2, v86, v9, 0
	s_clause 0x1
	scratch_store_b32 off, v7, s32 offset:756
	scratch_store_b32 off, v6, s32 offset:760
	v_fma_mixlo_bf16 v3, v86, v3, 0
	s_clause 0x1
	scratch_store_b32 off, v5, s32 offset:776
	scratch_store_b32 off, v2, s32 offset:764
	s_wait_xcnt 0x0
	v_fma_mixlo_bf16 v2, v86, v8, 0
	s_clause 0x2
	scratch_store_b32 off, v4, s32 offset:780
	scratch_store_b32 off, v3, s32 offset:784
	;; [unrolled: 1-line block ×3, first 2 shown]
	s_wait_xcnt 0x0
	s_and_saveexec_b32 s16, vcc_lo
	s_cbranch_execz .LBB372_2812
; %bb.2811:                             ;   in Loop: Header=BB372_2086 Depth=1
	s_clause 0x1
	scratch_load_b32 v2, off, s32 offset:192
	scratch_load_b32 v3, off, s32 offset:788
	s_wait_loadcnt 0x1
	v_cmp_lt_i32_e64 s0, v63, v2
	s_wait_loadcnt 0x0
	s_delay_alu instid0(VALU_DEP_1)
	v_cndmask_b32_e64 v3, 0, v3, s0
	v_cmp_lt_i32_e64 s0, v95, v2
	s_clause 0x1
	scratch_store_b32 off, v3, s32 offset:788
	scratch_load_b32 v3, off, s32 offset:784
	s_wait_loadcnt 0x0
	v_cndmask_b32_e64 v3, 0, v3, s0
	v_cmp_lt_i32_e64 s0, v94, v2
	s_clause 0x1
	scratch_store_b32 off, v3, s32 offset:784
	scratch_load_b32 v3, off, s32 offset:780
	s_wait_loadcnt 0x0
	;; [unrolled: 6-line block ×6, first 2 shown]
	v_cndmask_b32_e64 v3, 0, v3, s0
	v_cmp_lt_i32_e64 s0, v89, v2
	scratch_load_b32 v2, off, s32 offset:772 ; 4-byte Folded Reload
	s_wait_loadcnt 0x0
	v_cndmask_b32_e64 v2, 0, v2, s0
	s_clause 0x1
	scratch_store_b32 off, v3, s32 offset:764
	scratch_store_b32 off, v2, s32 offset:772
.LBB372_2812:                           ;   in Loop: Header=BB372_2086 Depth=1
	s_wait_xcnt 0x0
	s_or_b32 exec_lo, exec_lo, s16
	flat_load_b64 v[80:81], v[18:19] offset:2816
	v_dual_mov_b32 v3, 0 :: v_dual_mov_b32 v2, 0
	s_mov_b32 s16, exec_lo
	s_wait_loadcnt_dscnt 0x0
	v_and_b32_e32 v4, 0xff, v80
	s_wait_xcnt 0x0
	s_delay_alu instid0(VALU_DEP_1)
	v_cmpx_ne_u16_e32 0, v4
	s_cbranch_execz .LBB372_2820
; %bb.2813:                             ;   in Loop: Header=BB372_2086 Depth=1
	v_bfrev_b32_e32 v2, 1
	s_mov_b32 s17, exec_lo
	v_cmpx_ne_u16_e32 0x80, v4
	s_cbranch_execz .LBB372_2819
; %bb.2814:                             ;   in Loop: Header=BB372_2086 Depth=1
	v_and_b32_e32 v4, 0x7f, v80
	v_mov_b32_e32 v2, 0x7f800001
	s_mov_b32 s18, exec_lo
	s_delay_alu instid0(VALU_DEP_2)
	v_cmpx_ne_u32_e32 0x7f, v4
	s_cbranch_execz .LBB372_2818
; %bb.2815:                             ;   in Loop: Header=BB372_2086 Depth=1
	v_mov_b64_e32 v[82:83], v[80:81]
	v_lshrrev_b32_e32 v2, 3, v4
	s_mov_b32 s19, exec_lo
	v_cmpx_gt_u32_e32 8, v4
; %bb.2816:                             ;   in Loop: Header=BB372_2086 Depth=1
	v_and_b32_e32 v2, 7, v80
	s_delay_alu instid0(VALU_DEP_1) | instskip(NEXT) | instid1(VALU_DEP_1)
	v_clz_i32_u32_e32 v2, v2
	v_min_u32_e32 v2, 32, v2
	s_delay_alu instid0(VALU_DEP_1) | instskip(SKIP_1) | instid1(VALU_DEP_2)
	v_subrev_nc_u32_e32 v4, 28, v2
	v_sub_nc_u32_e32 v2, 29, v2
	v_lshlrev_b64_e32 v[82:83], v4, v[80:81]
; %bb.2817:                             ;   in Loop: Header=BB372_2086 Depth=1
	s_or_b32 exec_lo, exec_lo, s19
	s_delay_alu instid0(VALU_DEP_1) | instskip(NEXT) | instid1(VALU_DEP_3)
	v_dual_lshlrev_b32 v4, 20, v82 :: v_dual_lshlrev_b32 v5, 24, v80
	v_lshl_add_u32 v2, v2, 23, 0x3c000000
	s_delay_alu instid0(VALU_DEP_2) | instskip(NEXT) | instid1(VALU_DEP_3)
	v_and_b32_e32 v4, 0x700000, v4
	v_and_b32_e32 v5, 0x80000000, v5
	s_delay_alu instid0(VALU_DEP_1)
	v_or3_b32 v2, v4, v5, v2
.LBB372_2818:                           ;   in Loop: Header=BB372_2086 Depth=1
	s_or_b32 exec_lo, exec_lo, s18
.LBB372_2819:                           ;   in Loop: Header=BB372_2086 Depth=1
	s_delay_alu instid0(SALU_CYCLE_1)
	s_or_b32 exec_lo, exec_lo, s17
.LBB372_2820:                           ;   in Loop: Header=BB372_2086 Depth=1
	s_delay_alu instid0(SALU_CYCLE_1) | instskip(SKIP_2) | instid1(VALU_DEP_1)
	s_or_b32 exec_lo, exec_lo, s16
	v_lshrrev_b16 v4, 8, v80
	s_mov_b32 s16, exec_lo
	v_cmpx_ne_u16_e32 0, v4
	s_cbranch_execz .LBB372_2828
; %bb.2821:                             ;   in Loop: Header=BB372_2086 Depth=1
	v_bfrev_b32_e32 v3, 1
	s_mov_b32 s17, exec_lo
	v_cmpx_ne_u16_e32 0x80, v4
	s_cbranch_execz .LBB372_2827
; %bb.2822:                             ;   in Loop: Header=BB372_2086 Depth=1
	v_and_b32_e32 v5, 0xffff, v4
	v_mov_b32_e32 v3, 0x7f800001
	s_mov_b32 s18, exec_lo
	s_delay_alu instid0(VALU_DEP_2) | instskip(NEXT) | instid1(VALU_DEP_1)
	v_and_b32_e32 v4, 0x7f, v5
	v_cmpx_ne_u32_e32 0x7f, v4
	s_cbranch_execz .LBB372_2826
; %bb.2823:                             ;   in Loop: Header=BB372_2086 Depth=1
	v_dual_lshrrev_b32 v3, 3, v4 :: v_dual_bitop2_b32 v22, 7, v5 bitop3:0x40
	s_mov_b32 s19, exec_lo
	s_delay_alu instid0(VALU_DEP_1)
	v_mov_b64_e32 v[82:83], v[22:23]
	v_cmpx_gt_u32_e32 8, v4
; %bb.2824:                             ;   in Loop: Header=BB372_2086 Depth=1
	v_clz_i32_u32_e32 v3, v22
	s_delay_alu instid0(VALU_DEP_1) | instskip(NEXT) | instid1(VALU_DEP_1)
	v_min_u32_e32 v3, 32, v3
	v_subrev_nc_u32_e32 v4, 28, v3
	s_delay_alu instid0(VALU_DEP_1) | instskip(NEXT) | instid1(VALU_DEP_1)
	v_lshlrev_b64_e32 v[4:5], v4, v[22:23]
	v_dual_sub_nc_u32 v3, 29, v3 :: v_dual_bitop2_b32 v82, 7, v4 bitop3:0x40
; %bb.2825:                             ;   in Loop: Header=BB372_2086 Depth=1
	s_or_b32 exec_lo, exec_lo, s19
	s_delay_alu instid0(VALU_DEP_1) | instskip(NEXT) | instid1(VALU_DEP_2)
	v_dual_lshlrev_b32 v4, 16, v80 :: v_dual_lshlrev_b32 v5, 20, v82
	v_lshl_add_u32 v3, v3, 23, 0x3c000000
	s_delay_alu instid0(VALU_DEP_2) | instskip(NEXT) | instid1(VALU_DEP_1)
	v_and_b32_e32 v4, 0x80000000, v4
	v_or3_b32 v3, v5, v4, v3
.LBB372_2826:                           ;   in Loop: Header=BB372_2086 Depth=1
	s_or_b32 exec_lo, exec_lo, s18
.LBB372_2827:                           ;   in Loop: Header=BB372_2086 Depth=1
	s_delay_alu instid0(SALU_CYCLE_1)
	s_or_b32 exec_lo, exec_lo, s17
.LBB372_2828:                           ;   in Loop: Header=BB372_2086 Depth=1
	s_delay_alu instid0(SALU_CYCLE_1) | instskip(SKIP_3) | instid1(VALU_DEP_2)
	s_or_b32 exec_lo, exec_lo, s16
	v_dual_mov_b32 v5, 0 :: v_dual_lshrrev_b32 v6, 16, v80
	v_mov_b32_e32 v4, 0
	s_mov_b32 s16, exec_lo
	v_and_b32_e32 v7, 0xff, v6
	s_delay_alu instid0(VALU_DEP_1)
	v_cmpx_ne_u16_e32 0, v7
	s_cbranch_execz .LBB372_2836
; %bb.2829:                             ;   in Loop: Header=BB372_2086 Depth=1
	v_bfrev_b32_e32 v4, 1
	s_mov_b32 s17, exec_lo
	v_cmpx_ne_u16_e32 0x80, v7
	s_cbranch_execz .LBB372_2835
; %bb.2830:                             ;   in Loop: Header=BB372_2086 Depth=1
	v_bfe_u32 v7, v80, 16, 7
	v_mov_b32_e32 v4, 0x7f800001
	s_mov_b32 s18, exec_lo
	s_delay_alu instid0(VALU_DEP_2)
	v_cmpx_ne_u32_e32 0x7f, v7
	s_cbranch_execz .LBB372_2834
; %bb.2831:                             ;   in Loop: Header=BB372_2086 Depth=1
	v_dual_lshrrev_b32 v4, 3, v7 :: v_dual_bitop2_b32 v22, 7, v6 bitop3:0x40
	s_mov_b32 s19, exec_lo
	s_delay_alu instid0(VALU_DEP_1)
	v_mov_b64_e32 v[82:83], v[22:23]
	v_cmpx_gt_u32_e32 8, v7
; %bb.2832:                             ;   in Loop: Header=BB372_2086 Depth=1
	v_clz_i32_u32_e32 v4, v22
	s_delay_alu instid0(VALU_DEP_1) | instskip(NEXT) | instid1(VALU_DEP_1)
	v_min_u32_e32 v4, 32, v4
	v_subrev_nc_u32_e32 v7, 28, v4
	v_sub_nc_u32_e32 v4, 29, v4
	s_delay_alu instid0(VALU_DEP_2) | instskip(NEXT) | instid1(VALU_DEP_1)
	v_lshlrev_b64_e32 v[8:9], v7, v[22:23]
	v_and_b32_e32 v82, 7, v8
; %bb.2833:                             ;   in Loop: Header=BB372_2086 Depth=1
	s_or_b32 exec_lo, exec_lo, s19
	v_lshlrev_b32_e32 v6, 24, v6
	s_delay_alu instid0(VALU_DEP_2) | instskip(SKIP_1) | instid1(VALU_DEP_3)
	v_lshlrev_b32_e32 v7, 20, v82
	v_lshl_add_u32 v4, v4, 23, 0x3c000000
	v_and_b32_e32 v6, 0x80000000, v6
	s_delay_alu instid0(VALU_DEP_1)
	v_or3_b32 v4, v7, v6, v4
.LBB372_2834:                           ;   in Loop: Header=BB372_2086 Depth=1
	s_or_b32 exec_lo, exec_lo, s18
.LBB372_2835:                           ;   in Loop: Header=BB372_2086 Depth=1
	s_delay_alu instid0(SALU_CYCLE_1)
	s_or_b32 exec_lo, exec_lo, s17
.LBB372_2836:                           ;   in Loop: Header=BB372_2086 Depth=1
	s_delay_alu instid0(SALU_CYCLE_1) | instskip(NEXT) | instid1(SALU_CYCLE_1)
	s_or_b32 exec_lo, exec_lo, s16
	s_mov_b32 s16, exec_lo
	v_cmpx_lt_u32_e32 0xffffff, v80
	s_cbranch_execz .LBB372_2844
; %bb.2837:                             ;   in Loop: Header=BB372_2086 Depth=1
	v_lshrrev_b32_e32 v6, 24, v80
	v_bfrev_b32_e32 v5, 1
	s_mov_b32 s17, exec_lo
	s_delay_alu instid0(VALU_DEP_2)
	v_cmpx_ne_u32_e32 0x80, v6
	s_cbranch_execz .LBB372_2843
; %bb.2838:                             ;   in Loop: Header=BB372_2086 Depth=1
	v_bfe_u32 v7, v80, 24, 7
	v_mov_b32_e32 v5, 0x7f800001
	s_mov_b32 s18, exec_lo
	s_delay_alu instid0(VALU_DEP_2)
	v_cmpx_ne_u32_e32 0x7f, v7
	s_cbranch_execz .LBB372_2842
; %bb.2839:                             ;   in Loop: Header=BB372_2086 Depth=1
	v_dual_lshrrev_b32 v5, 3, v7 :: v_dual_bitop2_b32 v22, 7, v6 bitop3:0x40
	s_mov_b32 s19, exec_lo
	s_delay_alu instid0(VALU_DEP_1)
	v_mov_b64_e32 v[82:83], v[22:23]
	v_cmpx_gt_u32_e32 8, v7
; %bb.2840:                             ;   in Loop: Header=BB372_2086 Depth=1
	v_clz_i32_u32_e32 v5, v22
	s_delay_alu instid0(VALU_DEP_1) | instskip(NEXT) | instid1(VALU_DEP_1)
	v_min_u32_e32 v5, 32, v5
	v_subrev_nc_u32_e32 v7, 28, v5
	s_delay_alu instid0(VALU_DEP_1) | instskip(NEXT) | instid1(VALU_DEP_1)
	v_lshlrev_b64_e32 v[8:9], v7, v[22:23]
	v_dual_sub_nc_u32 v5, 29, v5 :: v_dual_bitop2_b32 v82, 7, v8 bitop3:0x40
; %bb.2841:                             ;   in Loop: Header=BB372_2086 Depth=1
	s_or_b32 exec_lo, exec_lo, s19
	v_lshlrev_b32_e32 v6, 24, v6
	s_delay_alu instid0(VALU_DEP_2) | instskip(NEXT) | instid1(VALU_DEP_3)
	v_lshlrev_b32_e32 v7, 20, v82
	v_lshl_add_u32 v5, v5, 23, 0x3c000000
	s_delay_alu instid0(VALU_DEP_3) | instskip(NEXT) | instid1(VALU_DEP_1)
	v_and_b32_e32 v6, 0x80000000, v6
	v_or3_b32 v5, v7, v6, v5
.LBB372_2842:                           ;   in Loop: Header=BB372_2086 Depth=1
	s_or_b32 exec_lo, exec_lo, s18
.LBB372_2843:                           ;   in Loop: Header=BB372_2086 Depth=1
	s_delay_alu instid0(SALU_CYCLE_1)
	s_or_b32 exec_lo, exec_lo, s17
.LBB372_2844:                           ;   in Loop: Header=BB372_2086 Depth=1
	s_delay_alu instid0(SALU_CYCLE_1) | instskip(SKIP_4) | instid1(VALU_DEP_3)
	s_or_b32 exec_lo, exec_lo, s16
	v_and_b32_e32 v8, 0xff, v81
	v_dual_mov_b32 v22, v81 :: v_dual_mov_b32 v7, 0
	v_mov_b32_e32 v6, 0
	s_mov_b32 s16, exec_lo
	v_cmpx_ne_u16_e32 0, v8
	s_cbranch_execz .LBB372_2852
; %bb.2845:                             ;   in Loop: Header=BB372_2086 Depth=1
	v_bfrev_b32_e32 v6, 1
	s_mov_b32 s17, exec_lo
	v_cmpx_ne_u16_e32 0x80, v8
	s_cbranch_execz .LBB372_2851
; %bb.2846:                             ;   in Loop: Header=BB372_2086 Depth=1
	v_and_b32_e32 v8, 0x7f, v81
	v_mov_b32_e32 v6, 0x7f800001
	s_mov_b32 s18, exec_lo
	s_delay_alu instid0(VALU_DEP_2)
	v_cmpx_ne_u32_e32 0x7f, v8
	s_cbranch_execz .LBB372_2850
; %bb.2847:                             ;   in Loop: Header=BB372_2086 Depth=1
	v_mov_b64_e32 v[82:83], v[22:23]
	v_lshrrev_b32_e32 v6, 3, v8
	s_mov_b32 s19, exec_lo
	v_cmpx_gt_u32_e32 8, v8
; %bb.2848:                             ;   in Loop: Header=BB372_2086 Depth=1
	v_and_b32_e32 v6, 7, v81
	s_delay_alu instid0(VALU_DEP_1) | instskip(NEXT) | instid1(VALU_DEP_1)
	v_clz_i32_u32_e32 v6, v6
	v_min_u32_e32 v6, 32, v6
	s_delay_alu instid0(VALU_DEP_1) | instskip(SKIP_1) | instid1(VALU_DEP_2)
	v_subrev_nc_u32_e32 v8, 28, v6
	v_sub_nc_u32_e32 v6, 29, v6
	v_lshlrev_b64_e32 v[82:83], v8, v[22:23]
; %bb.2849:                             ;   in Loop: Header=BB372_2086 Depth=1
	s_or_b32 exec_lo, exec_lo, s19
	s_delay_alu instid0(VALU_DEP_1) | instskip(SKIP_2) | instid1(VALU_DEP_3)
	v_lshlrev_b32_e32 v8, 20, v82
	v_lshlrev_b32_e32 v9, 24, v22
	v_lshl_add_u32 v6, v6, 23, 0x3c000000
	v_and_b32_e32 v8, 0x700000, v8
	s_delay_alu instid0(VALU_DEP_3) | instskip(NEXT) | instid1(VALU_DEP_1)
	v_and_b32_e32 v9, 0x80000000, v9
	v_or3_b32 v6, v8, v9, v6
.LBB372_2850:                           ;   in Loop: Header=BB372_2086 Depth=1
	s_or_b32 exec_lo, exec_lo, s18
.LBB372_2851:                           ;   in Loop: Header=BB372_2086 Depth=1
	s_delay_alu instid0(SALU_CYCLE_1)
	s_or_b32 exec_lo, exec_lo, s17
.LBB372_2852:                           ;   in Loop: Header=BB372_2086 Depth=1
	s_delay_alu instid0(SALU_CYCLE_1) | instskip(SKIP_2) | instid1(VALU_DEP_1)
	s_or_b32 exec_lo, exec_lo, s16
	v_lshrrev_b16 v8, 8, v22
	s_mov_b32 s16, exec_lo
	v_cmpx_ne_u16_e32 0, v8
	s_cbranch_execz .LBB372_2860
; %bb.2853:                             ;   in Loop: Header=BB372_2086 Depth=1
	v_bfrev_b32_e32 v7, 1
	s_mov_b32 s17, exec_lo
	v_cmpx_ne_u16_e32 0x80, v8
	s_cbranch_execz .LBB372_2859
; %bb.2854:                             ;   in Loop: Header=BB372_2086 Depth=1
	v_and_b32_e32 v9, 0xffff, v8
	v_mov_b32_e32 v7, 0x7f800001
	s_mov_b32 s18, exec_lo
	s_delay_alu instid0(VALU_DEP_2) | instskip(NEXT) | instid1(VALU_DEP_1)
	v_and_b32_e32 v8, 0x7f, v9
	v_cmpx_ne_u32_e32 0x7f, v8
	s_cbranch_execz .LBB372_2858
; %bb.2855:                             ;   in Loop: Header=BB372_2086 Depth=1
	v_dual_mov_b32 v83, v23 :: v_dual_bitop2_b32 v82, 7, v9 bitop3:0x40
	v_lshrrev_b32_e32 v7, 3, v8
	s_mov_b32 s19, exec_lo
	v_cmpx_gt_u32_e32 8, v8
; %bb.2856:                             ;   in Loop: Header=BB372_2086 Depth=1
	s_delay_alu instid0(VALU_DEP_3) | instskip(NEXT) | instid1(VALU_DEP_1)
	v_clz_i32_u32_e32 v7, v82
	v_min_u32_e32 v7, 32, v7
	s_delay_alu instid0(VALU_DEP_1) | instskip(NEXT) | instid1(VALU_DEP_1)
	v_subrev_nc_u32_e32 v8, 28, v7
	v_lshlrev_b64_e32 v[8:9], v8, v[82:83]
	s_delay_alu instid0(VALU_DEP_1)
	v_dual_sub_nc_u32 v7, 29, v7 :: v_dual_bitop2_b32 v82, 7, v8 bitop3:0x40
; %bb.2857:                             ;   in Loop: Header=BB372_2086 Depth=1
	s_or_b32 exec_lo, exec_lo, s19
	v_lshlrev_b32_e32 v8, 16, v22
	s_delay_alu instid0(VALU_DEP_2) | instskip(NEXT) | instid1(VALU_DEP_3)
	v_lshlrev_b32_e32 v9, 20, v82
	v_lshl_add_u32 v7, v7, 23, 0x3c000000
	s_delay_alu instid0(VALU_DEP_3) | instskip(NEXT) | instid1(VALU_DEP_1)
	v_and_b32_e32 v8, 0x80000000, v8
	v_or3_b32 v7, v9, v8, v7
.LBB372_2858:                           ;   in Loop: Header=BB372_2086 Depth=1
	s_or_b32 exec_lo, exec_lo, s18
.LBB372_2859:                           ;   in Loop: Header=BB372_2086 Depth=1
	s_delay_alu instid0(SALU_CYCLE_1)
	s_or_b32 exec_lo, exec_lo, s17
.LBB372_2860:                           ;   in Loop: Header=BB372_2086 Depth=1
	s_delay_alu instid0(SALU_CYCLE_1) | instskip(SKIP_3) | instid1(VALU_DEP_2)
	s_or_b32 exec_lo, exec_lo, s16
	v_dual_lshrrev_b32 v10, 16, v81 :: v_dual_mov_b32 v8, 0
	v_mov_b32_e32 v9, 0
	s_mov_b32 s16, exec_lo
	v_and_b32_e32 v11, 0xff, v10
	s_delay_alu instid0(VALU_DEP_1)
	v_cmpx_ne_u16_e32 0, v11
	s_cbranch_execz .LBB372_2868
; %bb.2861:                             ;   in Loop: Header=BB372_2086 Depth=1
	v_bfrev_b32_e32 v9, 1
	s_mov_b32 s17, exec_lo
	v_cmpx_ne_u16_e32 0x80, v11
	s_cbranch_execz .LBB372_2867
; %bb.2862:                             ;   in Loop: Header=BB372_2086 Depth=1
	v_bfe_u32 v11, v81, 16, 7
	v_mov_b32_e32 v9, 0x7f800001
	s_mov_b32 s18, exec_lo
	s_delay_alu instid0(VALU_DEP_2)
	v_cmpx_ne_u32_e32 0x7f, v11
	s_cbranch_execz .LBB372_2866
; %bb.2863:                             ;   in Loop: Header=BB372_2086 Depth=1
	v_dual_lshrrev_b32 v9, 3, v11 :: v_dual_bitop2_b32 v22, 7, v10 bitop3:0x40
	s_mov_b32 s19, exec_lo
	s_delay_alu instid0(VALU_DEP_1)
	v_mov_b64_e32 v[82:83], v[22:23]
	v_cmpx_gt_u32_e32 8, v11
; %bb.2864:                             ;   in Loop: Header=BB372_2086 Depth=1
	v_clz_i32_u32_e32 v9, v22
	s_delay_alu instid0(VALU_DEP_1) | instskip(NEXT) | instid1(VALU_DEP_1)
	v_min_u32_e32 v9, 32, v9
	v_subrev_nc_u32_e32 v11, 28, v9
	s_delay_alu instid0(VALU_DEP_1) | instskip(NEXT) | instid1(VALU_DEP_1)
	v_lshlrev_b64_e32 v[64:65], v11, v[22:23]
	v_dual_sub_nc_u32 v9, 29, v9 :: v_dual_bitop2_b32 v82, 7, v64 bitop3:0x40
; %bb.2865:                             ;   in Loop: Header=BB372_2086 Depth=1
	s_or_b32 exec_lo, exec_lo, s19
	v_lshlrev_b32_e32 v10, 24, v10
	s_delay_alu instid0(VALU_DEP_2) | instskip(NEXT) | instid1(VALU_DEP_3)
	v_lshlrev_b32_e32 v11, 20, v82
	v_lshl_add_u32 v9, v9, 23, 0x3c000000
	s_delay_alu instid0(VALU_DEP_3) | instskip(NEXT) | instid1(VALU_DEP_1)
	v_and_b32_e32 v10, 0x80000000, v10
	v_or3_b32 v9, v11, v10, v9
.LBB372_2866:                           ;   in Loop: Header=BB372_2086 Depth=1
	s_or_b32 exec_lo, exec_lo, s18
.LBB372_2867:                           ;   in Loop: Header=BB372_2086 Depth=1
	s_delay_alu instid0(SALU_CYCLE_1)
	s_or_b32 exec_lo, exec_lo, s17
.LBB372_2868:                           ;   in Loop: Header=BB372_2086 Depth=1
	s_delay_alu instid0(SALU_CYCLE_1) | instskip(NEXT) | instid1(SALU_CYCLE_1)
	s_or_b32 exec_lo, exec_lo, s16
	s_mov_b32 s16, exec_lo
	v_cmpx_lt_u64_e64 s[2:3], v[80:81]
	s_cbranch_execz .LBB372_2876
; %bb.2869:                             ;   in Loop: Header=BB372_2086 Depth=1
	v_lshrrev_b32_e32 v10, 24, v81
	v_bfrev_b32_e32 v8, 1
	s_mov_b32 s17, exec_lo
	s_delay_alu instid0(VALU_DEP_2)
	v_cmpx_ne_u32_e32 0x80, v10
	s_cbranch_execz .LBB372_2875
; %bb.2870:                             ;   in Loop: Header=BB372_2086 Depth=1
	v_bfe_u32 v11, v81, 24, 7
	v_mov_b32_e32 v8, 0x7f800001
	s_mov_b32 s18, exec_lo
	s_delay_alu instid0(VALU_DEP_2)
	v_cmpx_ne_u32_e32 0x7f, v11
	s_cbranch_execz .LBB372_2874
; %bb.2871:                             ;   in Loop: Header=BB372_2086 Depth=1
	v_dual_lshrrev_b32 v8, 3, v11 :: v_dual_bitop2_b32 v22, 7, v10 bitop3:0x40
	s_mov_b32 s19, exec_lo
	s_delay_alu instid0(VALU_DEP_1)
	v_mov_b64_e32 v[80:81], v[22:23]
	v_cmpx_gt_u32_e32 8, v11
; %bb.2872:                             ;   in Loop: Header=BB372_2086 Depth=1
	v_clz_i32_u32_e32 v8, v22
	s_delay_alu instid0(VALU_DEP_1) | instskip(NEXT) | instid1(VALU_DEP_1)
	v_min_u32_e32 v8, 32, v8
	v_subrev_nc_u32_e32 v11, 28, v8
	v_sub_nc_u32_e32 v8, 29, v8
	s_delay_alu instid0(VALU_DEP_2) | instskip(NEXT) | instid1(VALU_DEP_1)
	v_lshlrev_b64_e32 v[64:65], v11, v[22:23]
	v_and_b32_e32 v80, 7, v64
; %bb.2873:                             ;   in Loop: Header=BB372_2086 Depth=1
	s_or_b32 exec_lo, exec_lo, s19
	s_delay_alu instid0(VALU_DEP_1) | instskip(SKIP_1) | instid1(VALU_DEP_2)
	v_dual_lshlrev_b32 v10, 24, v10 :: v_dual_lshlrev_b32 v11, 20, v80
	v_lshl_add_u32 v8, v8, 23, 0x3c000000
	v_and_b32_e32 v10, 0x80000000, v10
	s_delay_alu instid0(VALU_DEP_1)
	v_or3_b32 v8, v11, v10, v8
.LBB372_2874:                           ;   in Loop: Header=BB372_2086 Depth=1
	s_or_b32 exec_lo, exec_lo, s18
.LBB372_2875:                           ;   in Loop: Header=BB372_2086 Depth=1
	s_delay_alu instid0(SALU_CYCLE_1)
	s_or_b32 exec_lo, exec_lo, s17
.LBB372_2876:                           ;   in Loop: Header=BB372_2086 Depth=1
	s_delay_alu instid0(SALU_CYCLE_1)
	s_or_b32 exec_lo, exec_lo, s16
	v_fma_mixlo_bf16 v2, v86, v2, 0
	v_fma_mixlo_bf16 v7, v86, v7, 0
	;; [unrolled: 1-line block ×5, first 2 shown]
	scratch_store_b32 off, v2, s32 offset:852 ; 4-byte Folded Spill
	s_wait_xcnt 0x0
	v_fma_mixlo_bf16 v2, v86, v9, 0
	s_clause 0x1
	scratch_store_b32 off, v7, s32 offset:796
	scratch_store_b32 off, v6, s32 offset:804
	v_fma_mixlo_bf16 v3, v86, v3, 0
	s_clause 0x1
	scratch_store_b32 off, v5, s32 offset:828
	scratch_store_b32 off, v2, s32 offset:812
	s_wait_xcnt 0x0
	v_fma_mixlo_bf16 v2, v86, v8, 0
	s_clause 0x2
	scratch_store_b32 off, v4, s32 offset:836
	scratch_store_b32 off, v3, s32 offset:844
	;; [unrolled: 1-line block ×3, first 2 shown]
	s_wait_xcnt 0x0
	s_and_saveexec_b32 s16, vcc_lo
	s_cbranch_execz .LBB372_2878
; %bb.2877:                             ;   in Loop: Header=BB372_2086 Depth=1
	s_clause 0x1
	scratch_load_b32 v2, off, s32 offset:192
	scratch_load_b32 v3, off, s32 offset:852
	s_wait_loadcnt 0x1
	v_cmp_lt_i32_e64 s0, v63, v2
	s_wait_loadcnt 0x0
	s_delay_alu instid0(VALU_DEP_1)
	v_cndmask_b32_e64 v3, 0, v3, s0
	v_cmp_lt_i32_e64 s0, v95, v2
	s_clause 0x1
	scratch_store_b32 off, v3, s32 offset:852
	scratch_load_b32 v3, off, s32 offset:844
	s_wait_loadcnt 0x0
	v_cndmask_b32_e64 v3, 0, v3, s0
	v_cmp_lt_i32_e64 s0, v94, v2
	s_clause 0x1
	scratch_store_b32 off, v3, s32 offset:844
	scratch_load_b32 v3, off, s32 offset:836
	s_wait_loadcnt 0x0
	;; [unrolled: 6-line block ×6, first 2 shown]
	v_cndmask_b32_e64 v3, 0, v3, s0
	v_cmp_lt_i32_e64 s0, v89, v2
	scratch_load_b32 v2, off, s32 offset:820 ; 4-byte Folded Reload
	s_wait_loadcnt 0x0
	v_cndmask_b32_e64 v2, 0, v2, s0
	s_clause 0x1
	scratch_store_b32 off, v3, s32 offset:812
	scratch_store_b32 off, v2, s32 offset:820
.LBB372_2878:                           ;   in Loop: Header=BB372_2086 Depth=1
	s_wait_xcnt 0x0
	s_or_b32 exec_lo, exec_lo, s16
	flat_load_b64 v[80:81], v[18:19] offset:3072
	v_dual_mov_b32 v3, 0 :: v_dual_mov_b32 v2, 0
	s_mov_b32 s16, exec_lo
	s_wait_loadcnt_dscnt 0x0
	v_and_b32_e32 v4, 0xff, v80
	s_wait_xcnt 0x0
	s_delay_alu instid0(VALU_DEP_1)
	v_cmpx_ne_u16_e32 0, v4
	s_cbranch_execz .LBB372_2886
; %bb.2879:                             ;   in Loop: Header=BB372_2086 Depth=1
	v_bfrev_b32_e32 v2, 1
	s_mov_b32 s17, exec_lo
	v_cmpx_ne_u16_e32 0x80, v4
	s_cbranch_execz .LBB372_2885
; %bb.2880:                             ;   in Loop: Header=BB372_2086 Depth=1
	v_and_b32_e32 v4, 0x7f, v80
	v_mov_b32_e32 v2, 0x7f800001
	s_mov_b32 s18, exec_lo
	s_delay_alu instid0(VALU_DEP_2)
	v_cmpx_ne_u32_e32 0x7f, v4
	s_cbranch_execz .LBB372_2884
; %bb.2881:                             ;   in Loop: Header=BB372_2086 Depth=1
	v_mov_b64_e32 v[82:83], v[80:81]
	v_lshrrev_b32_e32 v2, 3, v4
	s_mov_b32 s19, exec_lo
	v_cmpx_gt_u32_e32 8, v4
; %bb.2882:                             ;   in Loop: Header=BB372_2086 Depth=1
	v_and_b32_e32 v2, 7, v80
	s_delay_alu instid0(VALU_DEP_1) | instskip(NEXT) | instid1(VALU_DEP_1)
	v_clz_i32_u32_e32 v2, v2
	v_min_u32_e32 v2, 32, v2
	s_delay_alu instid0(VALU_DEP_1) | instskip(SKIP_1) | instid1(VALU_DEP_2)
	v_subrev_nc_u32_e32 v4, 28, v2
	v_sub_nc_u32_e32 v2, 29, v2
	v_lshlrev_b64_e32 v[82:83], v4, v[80:81]
; %bb.2883:                             ;   in Loop: Header=BB372_2086 Depth=1
	s_or_b32 exec_lo, exec_lo, s19
	s_delay_alu instid0(VALU_DEP_1) | instskip(NEXT) | instid1(VALU_DEP_3)
	v_dual_lshlrev_b32 v4, 20, v82 :: v_dual_lshlrev_b32 v5, 24, v80
	v_lshl_add_u32 v2, v2, 23, 0x3c000000
	s_delay_alu instid0(VALU_DEP_2) | instskip(NEXT) | instid1(VALU_DEP_3)
	v_and_b32_e32 v4, 0x700000, v4
	v_and_b32_e32 v5, 0x80000000, v5
	s_delay_alu instid0(VALU_DEP_1)
	v_or3_b32 v2, v4, v5, v2
.LBB372_2884:                           ;   in Loop: Header=BB372_2086 Depth=1
	s_or_b32 exec_lo, exec_lo, s18
.LBB372_2885:                           ;   in Loop: Header=BB372_2086 Depth=1
	s_delay_alu instid0(SALU_CYCLE_1)
	s_or_b32 exec_lo, exec_lo, s17
.LBB372_2886:                           ;   in Loop: Header=BB372_2086 Depth=1
	s_delay_alu instid0(SALU_CYCLE_1) | instskip(SKIP_2) | instid1(VALU_DEP_1)
	s_or_b32 exec_lo, exec_lo, s16
	v_lshrrev_b16 v4, 8, v80
	s_mov_b32 s16, exec_lo
	v_cmpx_ne_u16_e32 0, v4
	s_cbranch_execz .LBB372_2894
; %bb.2887:                             ;   in Loop: Header=BB372_2086 Depth=1
	v_bfrev_b32_e32 v3, 1
	s_mov_b32 s17, exec_lo
	v_cmpx_ne_u16_e32 0x80, v4
	s_cbranch_execz .LBB372_2893
; %bb.2888:                             ;   in Loop: Header=BB372_2086 Depth=1
	v_and_b32_e32 v5, 0xffff, v4
	v_mov_b32_e32 v3, 0x7f800001
	s_mov_b32 s18, exec_lo
	s_delay_alu instid0(VALU_DEP_2) | instskip(NEXT) | instid1(VALU_DEP_1)
	v_and_b32_e32 v4, 0x7f, v5
	v_cmpx_ne_u32_e32 0x7f, v4
	s_cbranch_execz .LBB372_2892
; %bb.2889:                             ;   in Loop: Header=BB372_2086 Depth=1
	v_dual_lshrrev_b32 v3, 3, v4 :: v_dual_bitop2_b32 v22, 7, v5 bitop3:0x40
	s_mov_b32 s19, exec_lo
	s_delay_alu instid0(VALU_DEP_1)
	v_mov_b64_e32 v[82:83], v[22:23]
	v_cmpx_gt_u32_e32 8, v4
; %bb.2890:                             ;   in Loop: Header=BB372_2086 Depth=1
	v_clz_i32_u32_e32 v3, v22
	s_delay_alu instid0(VALU_DEP_1) | instskip(NEXT) | instid1(VALU_DEP_1)
	v_min_u32_e32 v3, 32, v3
	v_subrev_nc_u32_e32 v4, 28, v3
	s_delay_alu instid0(VALU_DEP_1) | instskip(NEXT) | instid1(VALU_DEP_1)
	v_lshlrev_b64_e32 v[4:5], v4, v[22:23]
	v_dual_sub_nc_u32 v3, 29, v3 :: v_dual_bitop2_b32 v82, 7, v4 bitop3:0x40
; %bb.2891:                             ;   in Loop: Header=BB372_2086 Depth=1
	s_or_b32 exec_lo, exec_lo, s19
	s_delay_alu instid0(VALU_DEP_1) | instskip(NEXT) | instid1(VALU_DEP_2)
	v_dual_lshlrev_b32 v4, 16, v80 :: v_dual_lshlrev_b32 v5, 20, v82
	v_lshl_add_u32 v3, v3, 23, 0x3c000000
	s_delay_alu instid0(VALU_DEP_2) | instskip(NEXT) | instid1(VALU_DEP_1)
	v_and_b32_e32 v4, 0x80000000, v4
	v_or3_b32 v3, v5, v4, v3
.LBB372_2892:                           ;   in Loop: Header=BB372_2086 Depth=1
	s_or_b32 exec_lo, exec_lo, s18
.LBB372_2893:                           ;   in Loop: Header=BB372_2086 Depth=1
	s_delay_alu instid0(SALU_CYCLE_1)
	s_or_b32 exec_lo, exec_lo, s17
.LBB372_2894:                           ;   in Loop: Header=BB372_2086 Depth=1
	s_delay_alu instid0(SALU_CYCLE_1) | instskip(SKIP_3) | instid1(VALU_DEP_2)
	s_or_b32 exec_lo, exec_lo, s16
	v_dual_mov_b32 v5, 0 :: v_dual_lshrrev_b32 v6, 16, v80
	v_mov_b32_e32 v4, 0
	s_mov_b32 s16, exec_lo
	v_and_b32_e32 v7, 0xff, v6
	s_delay_alu instid0(VALU_DEP_1)
	v_cmpx_ne_u16_e32 0, v7
	s_cbranch_execz .LBB372_2902
; %bb.2895:                             ;   in Loop: Header=BB372_2086 Depth=1
	v_bfrev_b32_e32 v4, 1
	s_mov_b32 s17, exec_lo
	v_cmpx_ne_u16_e32 0x80, v7
	s_cbranch_execz .LBB372_2901
; %bb.2896:                             ;   in Loop: Header=BB372_2086 Depth=1
	v_bfe_u32 v7, v80, 16, 7
	v_mov_b32_e32 v4, 0x7f800001
	s_mov_b32 s18, exec_lo
	s_delay_alu instid0(VALU_DEP_2)
	v_cmpx_ne_u32_e32 0x7f, v7
	s_cbranch_execz .LBB372_2900
; %bb.2897:                             ;   in Loop: Header=BB372_2086 Depth=1
	v_dual_lshrrev_b32 v4, 3, v7 :: v_dual_bitop2_b32 v22, 7, v6 bitop3:0x40
	s_mov_b32 s19, exec_lo
	s_delay_alu instid0(VALU_DEP_1)
	v_mov_b64_e32 v[82:83], v[22:23]
	v_cmpx_gt_u32_e32 8, v7
; %bb.2898:                             ;   in Loop: Header=BB372_2086 Depth=1
	v_clz_i32_u32_e32 v4, v22
	s_delay_alu instid0(VALU_DEP_1) | instskip(NEXT) | instid1(VALU_DEP_1)
	v_min_u32_e32 v4, 32, v4
	v_subrev_nc_u32_e32 v7, 28, v4
	v_sub_nc_u32_e32 v4, 29, v4
	s_delay_alu instid0(VALU_DEP_2) | instskip(NEXT) | instid1(VALU_DEP_1)
	v_lshlrev_b64_e32 v[8:9], v7, v[22:23]
	v_and_b32_e32 v82, 7, v8
; %bb.2899:                             ;   in Loop: Header=BB372_2086 Depth=1
	s_or_b32 exec_lo, exec_lo, s19
	v_lshlrev_b32_e32 v6, 24, v6
	s_delay_alu instid0(VALU_DEP_2) | instskip(SKIP_1) | instid1(VALU_DEP_3)
	v_lshlrev_b32_e32 v7, 20, v82
	v_lshl_add_u32 v4, v4, 23, 0x3c000000
	v_and_b32_e32 v6, 0x80000000, v6
	s_delay_alu instid0(VALU_DEP_1)
	v_or3_b32 v4, v7, v6, v4
.LBB372_2900:                           ;   in Loop: Header=BB372_2086 Depth=1
	s_or_b32 exec_lo, exec_lo, s18
.LBB372_2901:                           ;   in Loop: Header=BB372_2086 Depth=1
	s_delay_alu instid0(SALU_CYCLE_1)
	s_or_b32 exec_lo, exec_lo, s17
.LBB372_2902:                           ;   in Loop: Header=BB372_2086 Depth=1
	s_delay_alu instid0(SALU_CYCLE_1) | instskip(NEXT) | instid1(SALU_CYCLE_1)
	s_or_b32 exec_lo, exec_lo, s16
	s_mov_b32 s16, exec_lo
	v_cmpx_lt_u32_e32 0xffffff, v80
	s_cbranch_execz .LBB372_2910
; %bb.2903:                             ;   in Loop: Header=BB372_2086 Depth=1
	v_lshrrev_b32_e32 v6, 24, v80
	v_bfrev_b32_e32 v5, 1
	s_mov_b32 s17, exec_lo
	s_delay_alu instid0(VALU_DEP_2)
	v_cmpx_ne_u32_e32 0x80, v6
	s_cbranch_execz .LBB372_2909
; %bb.2904:                             ;   in Loop: Header=BB372_2086 Depth=1
	v_bfe_u32 v7, v80, 24, 7
	v_mov_b32_e32 v5, 0x7f800001
	s_mov_b32 s18, exec_lo
	s_delay_alu instid0(VALU_DEP_2)
	v_cmpx_ne_u32_e32 0x7f, v7
	s_cbranch_execz .LBB372_2908
; %bb.2905:                             ;   in Loop: Header=BB372_2086 Depth=1
	v_dual_lshrrev_b32 v5, 3, v7 :: v_dual_bitop2_b32 v22, 7, v6 bitop3:0x40
	s_mov_b32 s19, exec_lo
	s_delay_alu instid0(VALU_DEP_1)
	v_mov_b64_e32 v[82:83], v[22:23]
	v_cmpx_gt_u32_e32 8, v7
; %bb.2906:                             ;   in Loop: Header=BB372_2086 Depth=1
	v_clz_i32_u32_e32 v5, v22
	s_delay_alu instid0(VALU_DEP_1) | instskip(NEXT) | instid1(VALU_DEP_1)
	v_min_u32_e32 v5, 32, v5
	v_subrev_nc_u32_e32 v7, 28, v5
	s_delay_alu instid0(VALU_DEP_1) | instskip(NEXT) | instid1(VALU_DEP_1)
	v_lshlrev_b64_e32 v[8:9], v7, v[22:23]
	v_dual_sub_nc_u32 v5, 29, v5 :: v_dual_bitop2_b32 v82, 7, v8 bitop3:0x40
; %bb.2907:                             ;   in Loop: Header=BB372_2086 Depth=1
	s_or_b32 exec_lo, exec_lo, s19
	v_lshlrev_b32_e32 v6, 24, v6
	s_delay_alu instid0(VALU_DEP_2) | instskip(NEXT) | instid1(VALU_DEP_3)
	v_lshlrev_b32_e32 v7, 20, v82
	v_lshl_add_u32 v5, v5, 23, 0x3c000000
	s_delay_alu instid0(VALU_DEP_3) | instskip(NEXT) | instid1(VALU_DEP_1)
	v_and_b32_e32 v6, 0x80000000, v6
	v_or3_b32 v5, v7, v6, v5
.LBB372_2908:                           ;   in Loop: Header=BB372_2086 Depth=1
	s_or_b32 exec_lo, exec_lo, s18
.LBB372_2909:                           ;   in Loop: Header=BB372_2086 Depth=1
	s_delay_alu instid0(SALU_CYCLE_1)
	s_or_b32 exec_lo, exec_lo, s17
.LBB372_2910:                           ;   in Loop: Header=BB372_2086 Depth=1
	s_delay_alu instid0(SALU_CYCLE_1) | instskip(SKIP_4) | instid1(VALU_DEP_3)
	s_or_b32 exec_lo, exec_lo, s16
	v_and_b32_e32 v8, 0xff, v81
	v_dual_mov_b32 v22, v81 :: v_dual_mov_b32 v7, 0
	v_mov_b32_e32 v6, 0
	s_mov_b32 s16, exec_lo
	v_cmpx_ne_u16_e32 0, v8
	s_cbranch_execz .LBB372_2918
; %bb.2911:                             ;   in Loop: Header=BB372_2086 Depth=1
	v_bfrev_b32_e32 v6, 1
	s_mov_b32 s17, exec_lo
	v_cmpx_ne_u16_e32 0x80, v8
	s_cbranch_execz .LBB372_2917
; %bb.2912:                             ;   in Loop: Header=BB372_2086 Depth=1
	v_and_b32_e32 v8, 0x7f, v81
	v_mov_b32_e32 v6, 0x7f800001
	s_mov_b32 s18, exec_lo
	s_delay_alu instid0(VALU_DEP_2)
	v_cmpx_ne_u32_e32 0x7f, v8
	s_cbranch_execz .LBB372_2916
; %bb.2913:                             ;   in Loop: Header=BB372_2086 Depth=1
	v_mov_b64_e32 v[82:83], v[22:23]
	v_lshrrev_b32_e32 v6, 3, v8
	s_mov_b32 s19, exec_lo
	v_cmpx_gt_u32_e32 8, v8
; %bb.2914:                             ;   in Loop: Header=BB372_2086 Depth=1
	v_and_b32_e32 v6, 7, v81
	s_delay_alu instid0(VALU_DEP_1) | instskip(NEXT) | instid1(VALU_DEP_1)
	v_clz_i32_u32_e32 v6, v6
	v_min_u32_e32 v6, 32, v6
	s_delay_alu instid0(VALU_DEP_1) | instskip(SKIP_1) | instid1(VALU_DEP_2)
	v_subrev_nc_u32_e32 v8, 28, v6
	v_sub_nc_u32_e32 v6, 29, v6
	v_lshlrev_b64_e32 v[82:83], v8, v[22:23]
; %bb.2915:                             ;   in Loop: Header=BB372_2086 Depth=1
	s_or_b32 exec_lo, exec_lo, s19
	s_delay_alu instid0(VALU_DEP_1) | instskip(SKIP_2) | instid1(VALU_DEP_3)
	v_lshlrev_b32_e32 v8, 20, v82
	v_lshlrev_b32_e32 v9, 24, v22
	v_lshl_add_u32 v6, v6, 23, 0x3c000000
	v_and_b32_e32 v8, 0x700000, v8
	s_delay_alu instid0(VALU_DEP_3) | instskip(NEXT) | instid1(VALU_DEP_1)
	v_and_b32_e32 v9, 0x80000000, v9
	v_or3_b32 v6, v8, v9, v6
.LBB372_2916:                           ;   in Loop: Header=BB372_2086 Depth=1
	s_or_b32 exec_lo, exec_lo, s18
.LBB372_2917:                           ;   in Loop: Header=BB372_2086 Depth=1
	s_delay_alu instid0(SALU_CYCLE_1)
	s_or_b32 exec_lo, exec_lo, s17
.LBB372_2918:                           ;   in Loop: Header=BB372_2086 Depth=1
	s_delay_alu instid0(SALU_CYCLE_1) | instskip(SKIP_2) | instid1(VALU_DEP_1)
	s_or_b32 exec_lo, exec_lo, s16
	v_lshrrev_b16 v8, 8, v22
	s_mov_b32 s16, exec_lo
	v_cmpx_ne_u16_e32 0, v8
	s_cbranch_execz .LBB372_2926
; %bb.2919:                             ;   in Loop: Header=BB372_2086 Depth=1
	v_bfrev_b32_e32 v7, 1
	s_mov_b32 s17, exec_lo
	v_cmpx_ne_u16_e32 0x80, v8
	s_cbranch_execz .LBB372_2925
; %bb.2920:                             ;   in Loop: Header=BB372_2086 Depth=1
	v_and_b32_e32 v9, 0xffff, v8
	v_mov_b32_e32 v7, 0x7f800001
	s_mov_b32 s18, exec_lo
	s_delay_alu instid0(VALU_DEP_2) | instskip(NEXT) | instid1(VALU_DEP_1)
	v_and_b32_e32 v8, 0x7f, v9
	v_cmpx_ne_u32_e32 0x7f, v8
	s_cbranch_execz .LBB372_2924
; %bb.2921:                             ;   in Loop: Header=BB372_2086 Depth=1
	v_dual_mov_b32 v83, v23 :: v_dual_bitop2_b32 v82, 7, v9 bitop3:0x40
	v_lshrrev_b32_e32 v7, 3, v8
	s_mov_b32 s19, exec_lo
	v_cmpx_gt_u32_e32 8, v8
; %bb.2922:                             ;   in Loop: Header=BB372_2086 Depth=1
	s_delay_alu instid0(VALU_DEP_3) | instskip(NEXT) | instid1(VALU_DEP_1)
	v_clz_i32_u32_e32 v7, v82
	v_min_u32_e32 v7, 32, v7
	s_delay_alu instid0(VALU_DEP_1) | instskip(NEXT) | instid1(VALU_DEP_1)
	v_subrev_nc_u32_e32 v8, 28, v7
	v_lshlrev_b64_e32 v[8:9], v8, v[82:83]
	s_delay_alu instid0(VALU_DEP_1)
	v_dual_sub_nc_u32 v7, 29, v7 :: v_dual_bitop2_b32 v82, 7, v8 bitop3:0x40
; %bb.2923:                             ;   in Loop: Header=BB372_2086 Depth=1
	s_or_b32 exec_lo, exec_lo, s19
	v_lshlrev_b32_e32 v8, 16, v22
	s_delay_alu instid0(VALU_DEP_2) | instskip(NEXT) | instid1(VALU_DEP_3)
	v_lshlrev_b32_e32 v9, 20, v82
	v_lshl_add_u32 v7, v7, 23, 0x3c000000
	s_delay_alu instid0(VALU_DEP_3) | instskip(NEXT) | instid1(VALU_DEP_1)
	v_and_b32_e32 v8, 0x80000000, v8
	v_or3_b32 v7, v9, v8, v7
.LBB372_2924:                           ;   in Loop: Header=BB372_2086 Depth=1
	s_or_b32 exec_lo, exec_lo, s18
.LBB372_2925:                           ;   in Loop: Header=BB372_2086 Depth=1
	s_delay_alu instid0(SALU_CYCLE_1)
	s_or_b32 exec_lo, exec_lo, s17
.LBB372_2926:                           ;   in Loop: Header=BB372_2086 Depth=1
	s_delay_alu instid0(SALU_CYCLE_1) | instskip(SKIP_3) | instid1(VALU_DEP_2)
	s_or_b32 exec_lo, exec_lo, s16
	v_dual_lshrrev_b32 v10, 16, v81 :: v_dual_mov_b32 v8, 0
	v_mov_b32_e32 v9, 0
	s_mov_b32 s16, exec_lo
	v_and_b32_e32 v11, 0xff, v10
	s_delay_alu instid0(VALU_DEP_1)
	v_cmpx_ne_u16_e32 0, v11
	s_cbranch_execz .LBB372_2934
; %bb.2927:                             ;   in Loop: Header=BB372_2086 Depth=1
	v_bfrev_b32_e32 v9, 1
	s_mov_b32 s17, exec_lo
	v_cmpx_ne_u16_e32 0x80, v11
	s_cbranch_execz .LBB372_2933
; %bb.2928:                             ;   in Loop: Header=BB372_2086 Depth=1
	v_bfe_u32 v11, v81, 16, 7
	v_mov_b32_e32 v9, 0x7f800001
	s_mov_b32 s18, exec_lo
	s_delay_alu instid0(VALU_DEP_2)
	v_cmpx_ne_u32_e32 0x7f, v11
	s_cbranch_execz .LBB372_2932
; %bb.2929:                             ;   in Loop: Header=BB372_2086 Depth=1
	v_dual_lshrrev_b32 v9, 3, v11 :: v_dual_bitop2_b32 v22, 7, v10 bitop3:0x40
	s_mov_b32 s19, exec_lo
	s_delay_alu instid0(VALU_DEP_1)
	v_mov_b64_e32 v[82:83], v[22:23]
	v_cmpx_gt_u32_e32 8, v11
; %bb.2930:                             ;   in Loop: Header=BB372_2086 Depth=1
	v_clz_i32_u32_e32 v9, v22
	s_delay_alu instid0(VALU_DEP_1) | instskip(NEXT) | instid1(VALU_DEP_1)
	v_min_u32_e32 v9, 32, v9
	v_subrev_nc_u32_e32 v11, 28, v9
	s_delay_alu instid0(VALU_DEP_1) | instskip(NEXT) | instid1(VALU_DEP_1)
	v_lshlrev_b64_e32 v[64:65], v11, v[22:23]
	v_dual_sub_nc_u32 v9, 29, v9 :: v_dual_bitop2_b32 v82, 7, v64 bitop3:0x40
; %bb.2931:                             ;   in Loop: Header=BB372_2086 Depth=1
	s_or_b32 exec_lo, exec_lo, s19
	v_lshlrev_b32_e32 v10, 24, v10
	s_delay_alu instid0(VALU_DEP_2) | instskip(NEXT) | instid1(VALU_DEP_3)
	v_lshlrev_b32_e32 v11, 20, v82
	v_lshl_add_u32 v9, v9, 23, 0x3c000000
	s_delay_alu instid0(VALU_DEP_3) | instskip(NEXT) | instid1(VALU_DEP_1)
	v_and_b32_e32 v10, 0x80000000, v10
	v_or3_b32 v9, v11, v10, v9
.LBB372_2932:                           ;   in Loop: Header=BB372_2086 Depth=1
	s_or_b32 exec_lo, exec_lo, s18
.LBB372_2933:                           ;   in Loop: Header=BB372_2086 Depth=1
	s_delay_alu instid0(SALU_CYCLE_1)
	s_or_b32 exec_lo, exec_lo, s17
.LBB372_2934:                           ;   in Loop: Header=BB372_2086 Depth=1
	s_delay_alu instid0(SALU_CYCLE_1) | instskip(NEXT) | instid1(SALU_CYCLE_1)
	s_or_b32 exec_lo, exec_lo, s16
	s_mov_b32 s16, exec_lo
	v_cmpx_lt_u64_e64 s[2:3], v[80:81]
	s_cbranch_execz .LBB372_2942
; %bb.2935:                             ;   in Loop: Header=BB372_2086 Depth=1
	v_lshrrev_b32_e32 v10, 24, v81
	v_bfrev_b32_e32 v8, 1
	s_mov_b32 s17, exec_lo
	s_delay_alu instid0(VALU_DEP_2)
	v_cmpx_ne_u32_e32 0x80, v10
	s_cbranch_execz .LBB372_2941
; %bb.2936:                             ;   in Loop: Header=BB372_2086 Depth=1
	v_bfe_u32 v11, v81, 24, 7
	v_mov_b32_e32 v8, 0x7f800001
	s_mov_b32 s18, exec_lo
	s_delay_alu instid0(VALU_DEP_2)
	v_cmpx_ne_u32_e32 0x7f, v11
	s_cbranch_execz .LBB372_2940
; %bb.2937:                             ;   in Loop: Header=BB372_2086 Depth=1
	v_dual_lshrrev_b32 v8, 3, v11 :: v_dual_bitop2_b32 v22, 7, v10 bitop3:0x40
	s_mov_b32 s19, exec_lo
	s_delay_alu instid0(VALU_DEP_1)
	v_mov_b64_e32 v[80:81], v[22:23]
	v_cmpx_gt_u32_e32 8, v11
; %bb.2938:                             ;   in Loop: Header=BB372_2086 Depth=1
	v_clz_i32_u32_e32 v8, v22
	s_delay_alu instid0(VALU_DEP_1) | instskip(NEXT) | instid1(VALU_DEP_1)
	v_min_u32_e32 v8, 32, v8
	v_subrev_nc_u32_e32 v11, 28, v8
	v_sub_nc_u32_e32 v8, 29, v8
	s_delay_alu instid0(VALU_DEP_2) | instskip(NEXT) | instid1(VALU_DEP_1)
	v_lshlrev_b64_e32 v[64:65], v11, v[22:23]
	v_and_b32_e32 v80, 7, v64
; %bb.2939:                             ;   in Loop: Header=BB372_2086 Depth=1
	s_or_b32 exec_lo, exec_lo, s19
	s_delay_alu instid0(VALU_DEP_1) | instskip(SKIP_1) | instid1(VALU_DEP_2)
	v_dual_lshlrev_b32 v10, 24, v10 :: v_dual_lshlrev_b32 v11, 20, v80
	v_lshl_add_u32 v8, v8, 23, 0x3c000000
	v_and_b32_e32 v10, 0x80000000, v10
	s_delay_alu instid0(VALU_DEP_1)
	v_or3_b32 v8, v11, v10, v8
.LBB372_2940:                           ;   in Loop: Header=BB372_2086 Depth=1
	s_or_b32 exec_lo, exec_lo, s18
.LBB372_2941:                           ;   in Loop: Header=BB372_2086 Depth=1
	s_delay_alu instid0(SALU_CYCLE_1)
	s_or_b32 exec_lo, exec_lo, s17
.LBB372_2942:                           ;   in Loop: Header=BB372_2086 Depth=1
	s_delay_alu instid0(SALU_CYCLE_1)
	s_or_b32 exec_lo, exec_lo, s16
	v_fma_mixlo_bf16 v2, v86, v2, 0
	v_fma_mixlo_bf16 v7, v86, v7, 0
	;; [unrolled: 1-line block ×5, first 2 shown]
	scratch_store_b32 off, v2, s32 offset:916 ; 4-byte Folded Spill
	s_wait_xcnt 0x0
	v_fma_mixlo_bf16 v2, v86, v9, 0
	s_clause 0x4
	scratch_store_b32 off, v7, s32 offset:860
	scratch_store_b32 off, v6, s32 offset:868
	;; [unrolled: 1-line block ×5, first 2 shown]
	v_fma_mixlo_bf16 v3, v86, v3, 0
	s_wait_xcnt 0x0
	v_fma_mixlo_bf16 v2, v86, v8, 0
	s_clause 0x1
	scratch_store_b32 off, v3, s32 offset:908
	scratch_store_b32 off, v2, s32 offset:892
	s_wait_xcnt 0x0
	s_and_saveexec_b32 s16, vcc_lo
	s_cbranch_execz .LBB372_2944
; %bb.2943:                             ;   in Loop: Header=BB372_2086 Depth=1
	s_clause 0x1
	scratch_load_b32 v2, off, s32 offset:192
	scratch_load_b32 v3, off, s32 offset:916
	s_wait_loadcnt 0x1
	v_cmp_lt_i32_e64 s0, v63, v2
	s_wait_loadcnt 0x0
	s_delay_alu instid0(VALU_DEP_1)
	v_cndmask_b32_e64 v3, 0, v3, s0
	v_cmp_lt_i32_e64 s0, v95, v2
	s_clause 0x1
	scratch_store_b32 off, v3, s32 offset:916
	scratch_load_b32 v3, off, s32 offset:908
	s_wait_loadcnt 0x0
	v_cndmask_b32_e64 v3, 0, v3, s0
	v_cmp_lt_i32_e64 s0, v94, v2
	s_clause 0x1
	scratch_store_b32 off, v3, s32 offset:908
	scratch_load_b32 v3, off, s32 offset:900
	s_wait_loadcnt 0x0
	;; [unrolled: 6-line block ×6, first 2 shown]
	v_cndmask_b32_e64 v3, 0, v3, s0
	v_cmp_lt_i32_e64 s0, v89, v2
	scratch_load_b32 v2, off, s32 offset:892 ; 4-byte Folded Reload
	s_wait_loadcnt 0x0
	v_cndmask_b32_e64 v2, 0, v2, s0
	s_clause 0x1
	scratch_store_b32 off, v3, s32 offset:876
	scratch_store_b32 off, v2, s32 offset:892
.LBB372_2944:                           ;   in Loop: Header=BB372_2086 Depth=1
	s_wait_xcnt 0x0
	s_or_b32 exec_lo, exec_lo, s16
	flat_load_b64 v[80:81], v[18:19] offset:3328
	v_dual_mov_b32 v3, 0 :: v_dual_mov_b32 v2, 0
	s_mov_b32 s16, exec_lo
	s_wait_loadcnt_dscnt 0x0
	v_and_b32_e32 v4, 0xff, v80
	s_wait_xcnt 0x0
	s_delay_alu instid0(VALU_DEP_1)
	v_cmpx_ne_u16_e32 0, v4
	s_cbranch_execz .LBB372_2952
; %bb.2945:                             ;   in Loop: Header=BB372_2086 Depth=1
	v_bfrev_b32_e32 v2, 1
	s_mov_b32 s17, exec_lo
	v_cmpx_ne_u16_e32 0x80, v4
	s_cbranch_execz .LBB372_2951
; %bb.2946:                             ;   in Loop: Header=BB372_2086 Depth=1
	v_and_b32_e32 v4, 0x7f, v80
	v_mov_b32_e32 v2, 0x7f800001
	s_mov_b32 s18, exec_lo
	s_delay_alu instid0(VALU_DEP_2)
	v_cmpx_ne_u32_e32 0x7f, v4
	s_cbranch_execz .LBB372_2950
; %bb.2947:                             ;   in Loop: Header=BB372_2086 Depth=1
	v_mov_b64_e32 v[82:83], v[80:81]
	v_lshrrev_b32_e32 v2, 3, v4
	s_mov_b32 s19, exec_lo
	v_cmpx_gt_u32_e32 8, v4
; %bb.2948:                             ;   in Loop: Header=BB372_2086 Depth=1
	v_and_b32_e32 v2, 7, v80
	s_delay_alu instid0(VALU_DEP_1) | instskip(NEXT) | instid1(VALU_DEP_1)
	v_clz_i32_u32_e32 v2, v2
	v_min_u32_e32 v2, 32, v2
	s_delay_alu instid0(VALU_DEP_1) | instskip(SKIP_1) | instid1(VALU_DEP_2)
	v_subrev_nc_u32_e32 v4, 28, v2
	v_sub_nc_u32_e32 v2, 29, v2
	v_lshlrev_b64_e32 v[82:83], v4, v[80:81]
; %bb.2949:                             ;   in Loop: Header=BB372_2086 Depth=1
	s_or_b32 exec_lo, exec_lo, s19
	s_delay_alu instid0(VALU_DEP_1) | instskip(NEXT) | instid1(VALU_DEP_3)
	v_dual_lshlrev_b32 v4, 20, v82 :: v_dual_lshlrev_b32 v5, 24, v80
	v_lshl_add_u32 v2, v2, 23, 0x3c000000
	s_delay_alu instid0(VALU_DEP_2) | instskip(NEXT) | instid1(VALU_DEP_3)
	v_and_b32_e32 v4, 0x700000, v4
	v_and_b32_e32 v5, 0x80000000, v5
	s_delay_alu instid0(VALU_DEP_1)
	v_or3_b32 v2, v4, v5, v2
.LBB372_2950:                           ;   in Loop: Header=BB372_2086 Depth=1
	s_or_b32 exec_lo, exec_lo, s18
.LBB372_2951:                           ;   in Loop: Header=BB372_2086 Depth=1
	s_delay_alu instid0(SALU_CYCLE_1)
	s_or_b32 exec_lo, exec_lo, s17
.LBB372_2952:                           ;   in Loop: Header=BB372_2086 Depth=1
	s_delay_alu instid0(SALU_CYCLE_1) | instskip(SKIP_2) | instid1(VALU_DEP_1)
	s_or_b32 exec_lo, exec_lo, s16
	v_lshrrev_b16 v4, 8, v80
	s_mov_b32 s16, exec_lo
	v_cmpx_ne_u16_e32 0, v4
	s_cbranch_execz .LBB372_2960
; %bb.2953:                             ;   in Loop: Header=BB372_2086 Depth=1
	v_bfrev_b32_e32 v3, 1
	s_mov_b32 s17, exec_lo
	v_cmpx_ne_u16_e32 0x80, v4
	s_cbranch_execz .LBB372_2959
; %bb.2954:                             ;   in Loop: Header=BB372_2086 Depth=1
	v_and_b32_e32 v5, 0xffff, v4
	v_mov_b32_e32 v3, 0x7f800001
	s_mov_b32 s18, exec_lo
	s_delay_alu instid0(VALU_DEP_2) | instskip(NEXT) | instid1(VALU_DEP_1)
	v_and_b32_e32 v4, 0x7f, v5
	v_cmpx_ne_u32_e32 0x7f, v4
	s_cbranch_execz .LBB372_2958
; %bb.2955:                             ;   in Loop: Header=BB372_2086 Depth=1
	v_dual_lshrrev_b32 v3, 3, v4 :: v_dual_bitop2_b32 v22, 7, v5 bitop3:0x40
	s_mov_b32 s19, exec_lo
	s_delay_alu instid0(VALU_DEP_1)
	v_mov_b64_e32 v[82:83], v[22:23]
	v_cmpx_gt_u32_e32 8, v4
; %bb.2956:                             ;   in Loop: Header=BB372_2086 Depth=1
	v_clz_i32_u32_e32 v3, v22
	s_delay_alu instid0(VALU_DEP_1) | instskip(NEXT) | instid1(VALU_DEP_1)
	v_min_u32_e32 v3, 32, v3
	v_subrev_nc_u32_e32 v4, 28, v3
	s_delay_alu instid0(VALU_DEP_1) | instskip(NEXT) | instid1(VALU_DEP_1)
	v_lshlrev_b64_e32 v[4:5], v4, v[22:23]
	v_dual_sub_nc_u32 v3, 29, v3 :: v_dual_bitop2_b32 v82, 7, v4 bitop3:0x40
; %bb.2957:                             ;   in Loop: Header=BB372_2086 Depth=1
	s_or_b32 exec_lo, exec_lo, s19
	s_delay_alu instid0(VALU_DEP_1) | instskip(NEXT) | instid1(VALU_DEP_2)
	v_dual_lshlrev_b32 v4, 16, v80 :: v_dual_lshlrev_b32 v5, 20, v82
	v_lshl_add_u32 v3, v3, 23, 0x3c000000
	s_delay_alu instid0(VALU_DEP_2) | instskip(NEXT) | instid1(VALU_DEP_1)
	v_and_b32_e32 v4, 0x80000000, v4
	v_or3_b32 v3, v5, v4, v3
.LBB372_2958:                           ;   in Loop: Header=BB372_2086 Depth=1
	s_or_b32 exec_lo, exec_lo, s18
.LBB372_2959:                           ;   in Loop: Header=BB372_2086 Depth=1
	s_delay_alu instid0(SALU_CYCLE_1)
	s_or_b32 exec_lo, exec_lo, s17
.LBB372_2960:                           ;   in Loop: Header=BB372_2086 Depth=1
	s_delay_alu instid0(SALU_CYCLE_1) | instskip(SKIP_3) | instid1(VALU_DEP_2)
	s_or_b32 exec_lo, exec_lo, s16
	v_dual_mov_b32 v5, 0 :: v_dual_lshrrev_b32 v6, 16, v80
	v_mov_b32_e32 v4, 0
	s_mov_b32 s16, exec_lo
	v_and_b32_e32 v7, 0xff, v6
	s_delay_alu instid0(VALU_DEP_1)
	v_cmpx_ne_u16_e32 0, v7
	s_cbranch_execz .LBB372_2968
; %bb.2961:                             ;   in Loop: Header=BB372_2086 Depth=1
	v_bfrev_b32_e32 v4, 1
	s_mov_b32 s17, exec_lo
	v_cmpx_ne_u16_e32 0x80, v7
	s_cbranch_execz .LBB372_2967
; %bb.2962:                             ;   in Loop: Header=BB372_2086 Depth=1
	v_bfe_u32 v7, v80, 16, 7
	v_mov_b32_e32 v4, 0x7f800001
	s_mov_b32 s18, exec_lo
	s_delay_alu instid0(VALU_DEP_2)
	v_cmpx_ne_u32_e32 0x7f, v7
	s_cbranch_execz .LBB372_2966
; %bb.2963:                             ;   in Loop: Header=BB372_2086 Depth=1
	v_dual_lshrrev_b32 v4, 3, v7 :: v_dual_bitop2_b32 v22, 7, v6 bitop3:0x40
	s_mov_b32 s19, exec_lo
	s_delay_alu instid0(VALU_DEP_1)
	v_mov_b64_e32 v[82:83], v[22:23]
	v_cmpx_gt_u32_e32 8, v7
; %bb.2964:                             ;   in Loop: Header=BB372_2086 Depth=1
	v_clz_i32_u32_e32 v4, v22
	s_delay_alu instid0(VALU_DEP_1) | instskip(NEXT) | instid1(VALU_DEP_1)
	v_min_u32_e32 v4, 32, v4
	v_subrev_nc_u32_e32 v7, 28, v4
	v_sub_nc_u32_e32 v4, 29, v4
	s_delay_alu instid0(VALU_DEP_2) | instskip(NEXT) | instid1(VALU_DEP_1)
	v_lshlrev_b64_e32 v[8:9], v7, v[22:23]
	v_and_b32_e32 v82, 7, v8
; %bb.2965:                             ;   in Loop: Header=BB372_2086 Depth=1
	s_or_b32 exec_lo, exec_lo, s19
	v_lshlrev_b32_e32 v6, 24, v6
	s_delay_alu instid0(VALU_DEP_2) | instskip(SKIP_1) | instid1(VALU_DEP_3)
	v_lshlrev_b32_e32 v7, 20, v82
	v_lshl_add_u32 v4, v4, 23, 0x3c000000
	v_and_b32_e32 v6, 0x80000000, v6
	s_delay_alu instid0(VALU_DEP_1)
	v_or3_b32 v4, v7, v6, v4
.LBB372_2966:                           ;   in Loop: Header=BB372_2086 Depth=1
	s_or_b32 exec_lo, exec_lo, s18
.LBB372_2967:                           ;   in Loop: Header=BB372_2086 Depth=1
	s_delay_alu instid0(SALU_CYCLE_1)
	s_or_b32 exec_lo, exec_lo, s17
.LBB372_2968:                           ;   in Loop: Header=BB372_2086 Depth=1
	s_delay_alu instid0(SALU_CYCLE_1) | instskip(NEXT) | instid1(SALU_CYCLE_1)
	s_or_b32 exec_lo, exec_lo, s16
	s_mov_b32 s16, exec_lo
	v_cmpx_lt_u32_e32 0xffffff, v80
	s_cbranch_execz .LBB372_2976
; %bb.2969:                             ;   in Loop: Header=BB372_2086 Depth=1
	v_lshrrev_b32_e32 v6, 24, v80
	v_bfrev_b32_e32 v5, 1
	s_mov_b32 s17, exec_lo
	s_delay_alu instid0(VALU_DEP_2)
	v_cmpx_ne_u32_e32 0x80, v6
	s_cbranch_execz .LBB372_2975
; %bb.2970:                             ;   in Loop: Header=BB372_2086 Depth=1
	v_bfe_u32 v7, v80, 24, 7
	v_mov_b32_e32 v5, 0x7f800001
	s_mov_b32 s18, exec_lo
	s_delay_alu instid0(VALU_DEP_2)
	v_cmpx_ne_u32_e32 0x7f, v7
	s_cbranch_execz .LBB372_2974
; %bb.2971:                             ;   in Loop: Header=BB372_2086 Depth=1
	v_dual_lshrrev_b32 v5, 3, v7 :: v_dual_bitop2_b32 v22, 7, v6 bitop3:0x40
	s_mov_b32 s19, exec_lo
	s_delay_alu instid0(VALU_DEP_1)
	v_mov_b64_e32 v[82:83], v[22:23]
	v_cmpx_gt_u32_e32 8, v7
; %bb.2972:                             ;   in Loop: Header=BB372_2086 Depth=1
	v_clz_i32_u32_e32 v5, v22
	s_delay_alu instid0(VALU_DEP_1) | instskip(NEXT) | instid1(VALU_DEP_1)
	v_min_u32_e32 v5, 32, v5
	v_subrev_nc_u32_e32 v7, 28, v5
	s_delay_alu instid0(VALU_DEP_1) | instskip(NEXT) | instid1(VALU_DEP_1)
	v_lshlrev_b64_e32 v[8:9], v7, v[22:23]
	v_dual_sub_nc_u32 v5, 29, v5 :: v_dual_bitop2_b32 v82, 7, v8 bitop3:0x40
; %bb.2973:                             ;   in Loop: Header=BB372_2086 Depth=1
	s_or_b32 exec_lo, exec_lo, s19
	v_lshlrev_b32_e32 v6, 24, v6
	s_delay_alu instid0(VALU_DEP_2) | instskip(NEXT) | instid1(VALU_DEP_3)
	v_lshlrev_b32_e32 v7, 20, v82
	v_lshl_add_u32 v5, v5, 23, 0x3c000000
	s_delay_alu instid0(VALU_DEP_3) | instskip(NEXT) | instid1(VALU_DEP_1)
	v_and_b32_e32 v6, 0x80000000, v6
	v_or3_b32 v5, v7, v6, v5
.LBB372_2974:                           ;   in Loop: Header=BB372_2086 Depth=1
	s_or_b32 exec_lo, exec_lo, s18
.LBB372_2975:                           ;   in Loop: Header=BB372_2086 Depth=1
	s_delay_alu instid0(SALU_CYCLE_1)
	s_or_b32 exec_lo, exec_lo, s17
.LBB372_2976:                           ;   in Loop: Header=BB372_2086 Depth=1
	s_delay_alu instid0(SALU_CYCLE_1) | instskip(SKIP_4) | instid1(VALU_DEP_3)
	s_or_b32 exec_lo, exec_lo, s16
	v_and_b32_e32 v8, 0xff, v81
	v_dual_mov_b32 v22, v81 :: v_dual_mov_b32 v7, 0
	v_mov_b32_e32 v6, 0
	s_mov_b32 s16, exec_lo
	v_cmpx_ne_u16_e32 0, v8
	s_cbranch_execz .LBB372_2984
; %bb.2977:                             ;   in Loop: Header=BB372_2086 Depth=1
	v_bfrev_b32_e32 v6, 1
	s_mov_b32 s17, exec_lo
	v_cmpx_ne_u16_e32 0x80, v8
	s_cbranch_execz .LBB372_2983
; %bb.2978:                             ;   in Loop: Header=BB372_2086 Depth=1
	v_and_b32_e32 v8, 0x7f, v81
	v_mov_b32_e32 v6, 0x7f800001
	s_mov_b32 s18, exec_lo
	s_delay_alu instid0(VALU_DEP_2)
	v_cmpx_ne_u32_e32 0x7f, v8
	s_cbranch_execz .LBB372_2982
; %bb.2979:                             ;   in Loop: Header=BB372_2086 Depth=1
	v_mov_b64_e32 v[82:83], v[22:23]
	v_lshrrev_b32_e32 v6, 3, v8
	s_mov_b32 s19, exec_lo
	v_cmpx_gt_u32_e32 8, v8
; %bb.2980:                             ;   in Loop: Header=BB372_2086 Depth=1
	v_and_b32_e32 v6, 7, v81
	s_delay_alu instid0(VALU_DEP_1) | instskip(NEXT) | instid1(VALU_DEP_1)
	v_clz_i32_u32_e32 v6, v6
	v_min_u32_e32 v6, 32, v6
	s_delay_alu instid0(VALU_DEP_1) | instskip(SKIP_1) | instid1(VALU_DEP_2)
	v_subrev_nc_u32_e32 v8, 28, v6
	v_sub_nc_u32_e32 v6, 29, v6
	v_lshlrev_b64_e32 v[82:83], v8, v[22:23]
; %bb.2981:                             ;   in Loop: Header=BB372_2086 Depth=1
	s_or_b32 exec_lo, exec_lo, s19
	s_delay_alu instid0(VALU_DEP_1) | instskip(SKIP_2) | instid1(VALU_DEP_3)
	v_lshlrev_b32_e32 v8, 20, v82
	v_lshlrev_b32_e32 v9, 24, v22
	v_lshl_add_u32 v6, v6, 23, 0x3c000000
	v_and_b32_e32 v8, 0x700000, v8
	s_delay_alu instid0(VALU_DEP_3) | instskip(NEXT) | instid1(VALU_DEP_1)
	v_and_b32_e32 v9, 0x80000000, v9
	v_or3_b32 v6, v8, v9, v6
.LBB372_2982:                           ;   in Loop: Header=BB372_2086 Depth=1
	s_or_b32 exec_lo, exec_lo, s18
.LBB372_2983:                           ;   in Loop: Header=BB372_2086 Depth=1
	s_delay_alu instid0(SALU_CYCLE_1)
	s_or_b32 exec_lo, exec_lo, s17
.LBB372_2984:                           ;   in Loop: Header=BB372_2086 Depth=1
	s_delay_alu instid0(SALU_CYCLE_1) | instskip(SKIP_2) | instid1(VALU_DEP_1)
	s_or_b32 exec_lo, exec_lo, s16
	v_lshrrev_b16 v8, 8, v22
	s_mov_b32 s16, exec_lo
	v_cmpx_ne_u16_e32 0, v8
	s_cbranch_execz .LBB372_2992
; %bb.2985:                             ;   in Loop: Header=BB372_2086 Depth=1
	v_bfrev_b32_e32 v7, 1
	s_mov_b32 s17, exec_lo
	v_cmpx_ne_u16_e32 0x80, v8
	s_cbranch_execz .LBB372_2991
; %bb.2986:                             ;   in Loop: Header=BB372_2086 Depth=1
	v_and_b32_e32 v9, 0xffff, v8
	v_mov_b32_e32 v7, 0x7f800001
	s_mov_b32 s18, exec_lo
	s_delay_alu instid0(VALU_DEP_2) | instskip(NEXT) | instid1(VALU_DEP_1)
	v_and_b32_e32 v8, 0x7f, v9
	v_cmpx_ne_u32_e32 0x7f, v8
	s_cbranch_execz .LBB372_2990
; %bb.2987:                             ;   in Loop: Header=BB372_2086 Depth=1
	v_dual_mov_b32 v83, v23 :: v_dual_bitop2_b32 v82, 7, v9 bitop3:0x40
	v_lshrrev_b32_e32 v7, 3, v8
	s_mov_b32 s19, exec_lo
	v_cmpx_gt_u32_e32 8, v8
; %bb.2988:                             ;   in Loop: Header=BB372_2086 Depth=1
	s_delay_alu instid0(VALU_DEP_3) | instskip(NEXT) | instid1(VALU_DEP_1)
	v_clz_i32_u32_e32 v7, v82
	v_min_u32_e32 v7, 32, v7
	s_delay_alu instid0(VALU_DEP_1) | instskip(NEXT) | instid1(VALU_DEP_1)
	v_subrev_nc_u32_e32 v8, 28, v7
	v_lshlrev_b64_e32 v[8:9], v8, v[82:83]
	s_delay_alu instid0(VALU_DEP_1)
	v_dual_sub_nc_u32 v7, 29, v7 :: v_dual_bitop2_b32 v82, 7, v8 bitop3:0x40
; %bb.2989:                             ;   in Loop: Header=BB372_2086 Depth=1
	s_or_b32 exec_lo, exec_lo, s19
	v_lshlrev_b32_e32 v8, 16, v22
	s_delay_alu instid0(VALU_DEP_2) | instskip(NEXT) | instid1(VALU_DEP_3)
	v_lshlrev_b32_e32 v9, 20, v82
	v_lshl_add_u32 v7, v7, 23, 0x3c000000
	s_delay_alu instid0(VALU_DEP_3) | instskip(NEXT) | instid1(VALU_DEP_1)
	v_and_b32_e32 v8, 0x80000000, v8
	v_or3_b32 v7, v9, v8, v7
.LBB372_2990:                           ;   in Loop: Header=BB372_2086 Depth=1
	s_or_b32 exec_lo, exec_lo, s18
.LBB372_2991:                           ;   in Loop: Header=BB372_2086 Depth=1
	s_delay_alu instid0(SALU_CYCLE_1)
	s_or_b32 exec_lo, exec_lo, s17
.LBB372_2992:                           ;   in Loop: Header=BB372_2086 Depth=1
	s_delay_alu instid0(SALU_CYCLE_1) | instskip(SKIP_3) | instid1(VALU_DEP_2)
	s_or_b32 exec_lo, exec_lo, s16
	v_dual_lshrrev_b32 v10, 16, v81 :: v_dual_mov_b32 v8, 0
	v_mov_b32_e32 v9, 0
	s_mov_b32 s16, exec_lo
	v_and_b32_e32 v11, 0xff, v10
	s_delay_alu instid0(VALU_DEP_1)
	v_cmpx_ne_u16_e32 0, v11
	s_cbranch_execz .LBB372_3000
; %bb.2993:                             ;   in Loop: Header=BB372_2086 Depth=1
	v_bfrev_b32_e32 v9, 1
	s_mov_b32 s17, exec_lo
	v_cmpx_ne_u16_e32 0x80, v11
	s_cbranch_execz .LBB372_2999
; %bb.2994:                             ;   in Loop: Header=BB372_2086 Depth=1
	v_bfe_u32 v11, v81, 16, 7
	v_mov_b32_e32 v9, 0x7f800001
	s_mov_b32 s18, exec_lo
	s_delay_alu instid0(VALU_DEP_2)
	v_cmpx_ne_u32_e32 0x7f, v11
	s_cbranch_execz .LBB372_2998
; %bb.2995:                             ;   in Loop: Header=BB372_2086 Depth=1
	v_dual_lshrrev_b32 v9, 3, v11 :: v_dual_bitop2_b32 v22, 7, v10 bitop3:0x40
	s_mov_b32 s19, exec_lo
	s_delay_alu instid0(VALU_DEP_1)
	v_mov_b64_e32 v[82:83], v[22:23]
	v_cmpx_gt_u32_e32 8, v11
; %bb.2996:                             ;   in Loop: Header=BB372_2086 Depth=1
	v_clz_i32_u32_e32 v9, v22
	s_delay_alu instid0(VALU_DEP_1) | instskip(NEXT) | instid1(VALU_DEP_1)
	v_min_u32_e32 v9, 32, v9
	v_subrev_nc_u32_e32 v11, 28, v9
	s_delay_alu instid0(VALU_DEP_1) | instskip(NEXT) | instid1(VALU_DEP_1)
	v_lshlrev_b64_e32 v[64:65], v11, v[22:23]
	v_dual_sub_nc_u32 v9, 29, v9 :: v_dual_bitop2_b32 v82, 7, v64 bitop3:0x40
; %bb.2997:                             ;   in Loop: Header=BB372_2086 Depth=1
	s_or_b32 exec_lo, exec_lo, s19
	v_lshlrev_b32_e32 v10, 24, v10
	s_delay_alu instid0(VALU_DEP_2) | instskip(NEXT) | instid1(VALU_DEP_3)
	v_lshlrev_b32_e32 v11, 20, v82
	v_lshl_add_u32 v9, v9, 23, 0x3c000000
	s_delay_alu instid0(VALU_DEP_3) | instskip(NEXT) | instid1(VALU_DEP_1)
	v_and_b32_e32 v10, 0x80000000, v10
	v_or3_b32 v9, v11, v10, v9
.LBB372_2998:                           ;   in Loop: Header=BB372_2086 Depth=1
	s_or_b32 exec_lo, exec_lo, s18
.LBB372_2999:                           ;   in Loop: Header=BB372_2086 Depth=1
	s_delay_alu instid0(SALU_CYCLE_1)
	s_or_b32 exec_lo, exec_lo, s17
.LBB372_3000:                           ;   in Loop: Header=BB372_2086 Depth=1
	s_delay_alu instid0(SALU_CYCLE_1) | instskip(NEXT) | instid1(SALU_CYCLE_1)
	s_or_b32 exec_lo, exec_lo, s16
	s_mov_b32 s16, exec_lo
	v_cmpx_lt_u64_e64 s[2:3], v[80:81]
	s_cbranch_execz .LBB372_3008
; %bb.3001:                             ;   in Loop: Header=BB372_2086 Depth=1
	v_lshrrev_b32_e32 v10, 24, v81
	v_bfrev_b32_e32 v8, 1
	s_mov_b32 s17, exec_lo
	s_delay_alu instid0(VALU_DEP_2)
	v_cmpx_ne_u32_e32 0x80, v10
	s_cbranch_execz .LBB372_3007
; %bb.3002:                             ;   in Loop: Header=BB372_2086 Depth=1
	v_bfe_u32 v11, v81, 24, 7
	v_mov_b32_e32 v8, 0x7f800001
	s_mov_b32 s18, exec_lo
	s_delay_alu instid0(VALU_DEP_2)
	v_cmpx_ne_u32_e32 0x7f, v11
	s_cbranch_execz .LBB372_3006
; %bb.3003:                             ;   in Loop: Header=BB372_2086 Depth=1
	v_dual_lshrrev_b32 v8, 3, v11 :: v_dual_bitop2_b32 v22, 7, v10 bitop3:0x40
	s_mov_b32 s19, exec_lo
	s_delay_alu instid0(VALU_DEP_1)
	v_mov_b64_e32 v[80:81], v[22:23]
	v_cmpx_gt_u32_e32 8, v11
; %bb.3004:                             ;   in Loop: Header=BB372_2086 Depth=1
	v_clz_i32_u32_e32 v8, v22
	s_delay_alu instid0(VALU_DEP_1) | instskip(NEXT) | instid1(VALU_DEP_1)
	v_min_u32_e32 v8, 32, v8
	v_subrev_nc_u32_e32 v11, 28, v8
	v_sub_nc_u32_e32 v8, 29, v8
	s_delay_alu instid0(VALU_DEP_2) | instskip(NEXT) | instid1(VALU_DEP_1)
	v_lshlrev_b64_e32 v[64:65], v11, v[22:23]
	v_and_b32_e32 v80, 7, v64
; %bb.3005:                             ;   in Loop: Header=BB372_2086 Depth=1
	s_or_b32 exec_lo, exec_lo, s19
	s_delay_alu instid0(VALU_DEP_1) | instskip(SKIP_1) | instid1(VALU_DEP_2)
	v_dual_lshlrev_b32 v10, 24, v10 :: v_dual_lshlrev_b32 v11, 20, v80
	v_lshl_add_u32 v8, v8, 23, 0x3c000000
	v_and_b32_e32 v10, 0x80000000, v10
	s_delay_alu instid0(VALU_DEP_1)
	v_or3_b32 v8, v11, v10, v8
.LBB372_3006:                           ;   in Loop: Header=BB372_2086 Depth=1
	s_or_b32 exec_lo, exec_lo, s18
.LBB372_3007:                           ;   in Loop: Header=BB372_2086 Depth=1
	s_delay_alu instid0(SALU_CYCLE_1)
	s_or_b32 exec_lo, exec_lo, s17
.LBB372_3008:                           ;   in Loop: Header=BB372_2086 Depth=1
	s_delay_alu instid0(SALU_CYCLE_1)
	s_or_b32 exec_lo, exec_lo, s16
	v_fma_mixlo_bf16 v2, v86, v2, 0
	v_fma_mixlo_bf16 v7, v86, v7, 0
	;; [unrolled: 1-line block ×5, first 2 shown]
	scratch_store_b32 off, v2, s32 offset:980 ; 4-byte Folded Spill
	s_wait_xcnt 0x0
	v_fma_mixlo_bf16 v2, v86, v9, 0
	s_clause 0x4
	scratch_store_b32 off, v7, s32 offset:924
	scratch_store_b32 off, v6, s32 offset:932
	;; [unrolled: 1-line block ×5, first 2 shown]
	v_fma_mixlo_bf16 v3, v86, v3, 0
	s_wait_xcnt 0x0
	v_fma_mixlo_bf16 v2, v86, v8, 0
	s_clause 0x1
	scratch_store_b32 off, v3, s32 offset:972
	scratch_store_b32 off, v2, s32 offset:956
	s_wait_xcnt 0x0
	s_and_saveexec_b32 s16, vcc_lo
	s_cbranch_execz .LBB372_3010
; %bb.3009:                             ;   in Loop: Header=BB372_2086 Depth=1
	s_clause 0x1
	scratch_load_b32 v2, off, s32 offset:192
	scratch_load_b32 v3, off, s32 offset:980
	s_wait_loadcnt 0x1
	v_cmp_lt_i32_e64 s0, v63, v2
	s_wait_loadcnt 0x0
	s_delay_alu instid0(VALU_DEP_1)
	v_cndmask_b32_e64 v3, 0, v3, s0
	v_cmp_lt_i32_e64 s0, v95, v2
	s_clause 0x1
	scratch_store_b32 off, v3, s32 offset:980
	scratch_load_b32 v3, off, s32 offset:972
	s_wait_loadcnt 0x0
	v_cndmask_b32_e64 v3, 0, v3, s0
	v_cmp_lt_i32_e64 s0, v94, v2
	s_clause 0x1
	scratch_store_b32 off, v3, s32 offset:972
	scratch_load_b32 v3, off, s32 offset:964
	s_wait_loadcnt 0x0
	;; [unrolled: 6-line block ×6, first 2 shown]
	v_cndmask_b32_e64 v3, 0, v3, s0
	v_cmp_lt_i32_e64 s0, v89, v2
	scratch_load_b32 v2, off, s32 offset:956 ; 4-byte Folded Reload
	s_wait_loadcnt 0x0
	v_cndmask_b32_e64 v2, 0, v2, s0
	s_clause 0x1
	scratch_store_b32 off, v3, s32 offset:940
	scratch_store_b32 off, v2, s32 offset:956
.LBB372_3010:                           ;   in Loop: Header=BB372_2086 Depth=1
	s_wait_xcnt 0x0
	s_or_b32 exec_lo, exec_lo, s16
	flat_load_b64 v[80:81], v[18:19] offset:3584
	v_dual_mov_b32 v3, 0 :: v_dual_mov_b32 v2, 0
	s_mov_b32 s16, exec_lo
	s_wait_loadcnt_dscnt 0x0
	v_and_b32_e32 v4, 0xff, v80
	s_wait_xcnt 0x0
	s_delay_alu instid0(VALU_DEP_1)
	v_cmpx_ne_u16_e32 0, v4
	s_cbranch_execz .LBB372_3018
; %bb.3011:                             ;   in Loop: Header=BB372_2086 Depth=1
	v_bfrev_b32_e32 v2, 1
	s_mov_b32 s17, exec_lo
	v_cmpx_ne_u16_e32 0x80, v4
	s_cbranch_execz .LBB372_3017
; %bb.3012:                             ;   in Loop: Header=BB372_2086 Depth=1
	v_and_b32_e32 v4, 0x7f, v80
	v_mov_b32_e32 v2, 0x7f800001
	s_mov_b32 s18, exec_lo
	s_delay_alu instid0(VALU_DEP_2)
	v_cmpx_ne_u32_e32 0x7f, v4
	s_cbranch_execz .LBB372_3016
; %bb.3013:                             ;   in Loop: Header=BB372_2086 Depth=1
	v_mov_b64_e32 v[82:83], v[80:81]
	v_lshrrev_b32_e32 v2, 3, v4
	s_mov_b32 s19, exec_lo
	v_cmpx_gt_u32_e32 8, v4
; %bb.3014:                             ;   in Loop: Header=BB372_2086 Depth=1
	v_and_b32_e32 v2, 7, v80
	s_delay_alu instid0(VALU_DEP_1) | instskip(NEXT) | instid1(VALU_DEP_1)
	v_clz_i32_u32_e32 v2, v2
	v_min_u32_e32 v2, 32, v2
	s_delay_alu instid0(VALU_DEP_1) | instskip(SKIP_1) | instid1(VALU_DEP_2)
	v_subrev_nc_u32_e32 v4, 28, v2
	v_sub_nc_u32_e32 v2, 29, v2
	v_lshlrev_b64_e32 v[82:83], v4, v[80:81]
; %bb.3015:                             ;   in Loop: Header=BB372_2086 Depth=1
	s_or_b32 exec_lo, exec_lo, s19
	s_delay_alu instid0(VALU_DEP_1) | instskip(NEXT) | instid1(VALU_DEP_3)
	v_dual_lshlrev_b32 v4, 20, v82 :: v_dual_lshlrev_b32 v5, 24, v80
	v_lshl_add_u32 v2, v2, 23, 0x3c000000
	s_delay_alu instid0(VALU_DEP_2) | instskip(NEXT) | instid1(VALU_DEP_3)
	v_and_b32_e32 v4, 0x700000, v4
	v_and_b32_e32 v5, 0x80000000, v5
	s_delay_alu instid0(VALU_DEP_1)
	v_or3_b32 v2, v4, v5, v2
.LBB372_3016:                           ;   in Loop: Header=BB372_2086 Depth=1
	s_or_b32 exec_lo, exec_lo, s18
.LBB372_3017:                           ;   in Loop: Header=BB372_2086 Depth=1
	s_delay_alu instid0(SALU_CYCLE_1)
	s_or_b32 exec_lo, exec_lo, s17
.LBB372_3018:                           ;   in Loop: Header=BB372_2086 Depth=1
	s_delay_alu instid0(SALU_CYCLE_1) | instskip(SKIP_2) | instid1(VALU_DEP_1)
	s_or_b32 exec_lo, exec_lo, s16
	v_lshrrev_b16 v4, 8, v80
	s_mov_b32 s16, exec_lo
	v_cmpx_ne_u16_e32 0, v4
	s_cbranch_execz .LBB372_3026
; %bb.3019:                             ;   in Loop: Header=BB372_2086 Depth=1
	v_bfrev_b32_e32 v3, 1
	s_mov_b32 s17, exec_lo
	v_cmpx_ne_u16_e32 0x80, v4
	s_cbranch_execz .LBB372_3025
; %bb.3020:                             ;   in Loop: Header=BB372_2086 Depth=1
	v_and_b32_e32 v5, 0xffff, v4
	v_mov_b32_e32 v3, 0x7f800001
	s_mov_b32 s18, exec_lo
	s_delay_alu instid0(VALU_DEP_2) | instskip(NEXT) | instid1(VALU_DEP_1)
	v_and_b32_e32 v4, 0x7f, v5
	v_cmpx_ne_u32_e32 0x7f, v4
	s_cbranch_execz .LBB372_3024
; %bb.3021:                             ;   in Loop: Header=BB372_2086 Depth=1
	v_dual_lshrrev_b32 v3, 3, v4 :: v_dual_bitop2_b32 v22, 7, v5 bitop3:0x40
	s_mov_b32 s19, exec_lo
	s_delay_alu instid0(VALU_DEP_1)
	v_mov_b64_e32 v[82:83], v[22:23]
	v_cmpx_gt_u32_e32 8, v4
; %bb.3022:                             ;   in Loop: Header=BB372_2086 Depth=1
	v_clz_i32_u32_e32 v3, v22
	s_delay_alu instid0(VALU_DEP_1) | instskip(NEXT) | instid1(VALU_DEP_1)
	v_min_u32_e32 v3, 32, v3
	v_subrev_nc_u32_e32 v4, 28, v3
	s_delay_alu instid0(VALU_DEP_1) | instskip(NEXT) | instid1(VALU_DEP_1)
	v_lshlrev_b64_e32 v[4:5], v4, v[22:23]
	v_dual_sub_nc_u32 v3, 29, v3 :: v_dual_bitop2_b32 v82, 7, v4 bitop3:0x40
; %bb.3023:                             ;   in Loop: Header=BB372_2086 Depth=1
	s_or_b32 exec_lo, exec_lo, s19
	s_delay_alu instid0(VALU_DEP_1) | instskip(NEXT) | instid1(VALU_DEP_2)
	v_dual_lshlrev_b32 v4, 16, v80 :: v_dual_lshlrev_b32 v5, 20, v82
	v_lshl_add_u32 v3, v3, 23, 0x3c000000
	s_delay_alu instid0(VALU_DEP_2) | instskip(NEXT) | instid1(VALU_DEP_1)
	v_and_b32_e32 v4, 0x80000000, v4
	v_or3_b32 v3, v5, v4, v3
.LBB372_3024:                           ;   in Loop: Header=BB372_2086 Depth=1
	s_or_b32 exec_lo, exec_lo, s18
.LBB372_3025:                           ;   in Loop: Header=BB372_2086 Depth=1
	s_delay_alu instid0(SALU_CYCLE_1)
	s_or_b32 exec_lo, exec_lo, s17
.LBB372_3026:                           ;   in Loop: Header=BB372_2086 Depth=1
	s_delay_alu instid0(SALU_CYCLE_1) | instskip(SKIP_3) | instid1(VALU_DEP_2)
	s_or_b32 exec_lo, exec_lo, s16
	v_dual_mov_b32 v5, 0 :: v_dual_lshrrev_b32 v6, 16, v80
	v_mov_b32_e32 v4, 0
	s_mov_b32 s16, exec_lo
	v_and_b32_e32 v7, 0xff, v6
	s_delay_alu instid0(VALU_DEP_1)
	v_cmpx_ne_u16_e32 0, v7
	s_cbranch_execz .LBB372_3034
; %bb.3027:                             ;   in Loop: Header=BB372_2086 Depth=1
	v_bfrev_b32_e32 v4, 1
	s_mov_b32 s17, exec_lo
	v_cmpx_ne_u16_e32 0x80, v7
	s_cbranch_execz .LBB372_3033
; %bb.3028:                             ;   in Loop: Header=BB372_2086 Depth=1
	v_bfe_u32 v7, v80, 16, 7
	v_mov_b32_e32 v4, 0x7f800001
	s_mov_b32 s18, exec_lo
	s_delay_alu instid0(VALU_DEP_2)
	v_cmpx_ne_u32_e32 0x7f, v7
	s_cbranch_execz .LBB372_3032
; %bb.3029:                             ;   in Loop: Header=BB372_2086 Depth=1
	v_dual_lshrrev_b32 v4, 3, v7 :: v_dual_bitop2_b32 v22, 7, v6 bitop3:0x40
	s_mov_b32 s19, exec_lo
	s_delay_alu instid0(VALU_DEP_1)
	v_mov_b64_e32 v[82:83], v[22:23]
	v_cmpx_gt_u32_e32 8, v7
; %bb.3030:                             ;   in Loop: Header=BB372_2086 Depth=1
	v_clz_i32_u32_e32 v4, v22
	s_delay_alu instid0(VALU_DEP_1) | instskip(NEXT) | instid1(VALU_DEP_1)
	v_min_u32_e32 v4, 32, v4
	v_subrev_nc_u32_e32 v7, 28, v4
	v_sub_nc_u32_e32 v4, 29, v4
	s_delay_alu instid0(VALU_DEP_2) | instskip(NEXT) | instid1(VALU_DEP_1)
	v_lshlrev_b64_e32 v[8:9], v7, v[22:23]
	v_and_b32_e32 v82, 7, v8
; %bb.3031:                             ;   in Loop: Header=BB372_2086 Depth=1
	s_or_b32 exec_lo, exec_lo, s19
	v_lshlrev_b32_e32 v6, 24, v6
	s_delay_alu instid0(VALU_DEP_2) | instskip(SKIP_1) | instid1(VALU_DEP_3)
	v_lshlrev_b32_e32 v7, 20, v82
	v_lshl_add_u32 v4, v4, 23, 0x3c000000
	v_and_b32_e32 v6, 0x80000000, v6
	s_delay_alu instid0(VALU_DEP_1)
	v_or3_b32 v4, v7, v6, v4
.LBB372_3032:                           ;   in Loop: Header=BB372_2086 Depth=1
	s_or_b32 exec_lo, exec_lo, s18
.LBB372_3033:                           ;   in Loop: Header=BB372_2086 Depth=1
	s_delay_alu instid0(SALU_CYCLE_1)
	s_or_b32 exec_lo, exec_lo, s17
.LBB372_3034:                           ;   in Loop: Header=BB372_2086 Depth=1
	s_delay_alu instid0(SALU_CYCLE_1) | instskip(NEXT) | instid1(SALU_CYCLE_1)
	s_or_b32 exec_lo, exec_lo, s16
	s_mov_b32 s16, exec_lo
	v_cmpx_lt_u32_e32 0xffffff, v80
	s_cbranch_execz .LBB372_3042
; %bb.3035:                             ;   in Loop: Header=BB372_2086 Depth=1
	v_lshrrev_b32_e32 v6, 24, v80
	v_bfrev_b32_e32 v5, 1
	s_mov_b32 s17, exec_lo
	s_delay_alu instid0(VALU_DEP_2)
	v_cmpx_ne_u32_e32 0x80, v6
	s_cbranch_execz .LBB372_3041
; %bb.3036:                             ;   in Loop: Header=BB372_2086 Depth=1
	v_bfe_u32 v7, v80, 24, 7
	v_mov_b32_e32 v5, 0x7f800001
	s_mov_b32 s18, exec_lo
	s_delay_alu instid0(VALU_DEP_2)
	v_cmpx_ne_u32_e32 0x7f, v7
	s_cbranch_execz .LBB372_3040
; %bb.3037:                             ;   in Loop: Header=BB372_2086 Depth=1
	v_dual_lshrrev_b32 v5, 3, v7 :: v_dual_bitop2_b32 v22, 7, v6 bitop3:0x40
	s_mov_b32 s19, exec_lo
	s_delay_alu instid0(VALU_DEP_1)
	v_mov_b64_e32 v[82:83], v[22:23]
	v_cmpx_gt_u32_e32 8, v7
; %bb.3038:                             ;   in Loop: Header=BB372_2086 Depth=1
	v_clz_i32_u32_e32 v5, v22
	s_delay_alu instid0(VALU_DEP_1) | instskip(NEXT) | instid1(VALU_DEP_1)
	v_min_u32_e32 v5, 32, v5
	v_subrev_nc_u32_e32 v7, 28, v5
	s_delay_alu instid0(VALU_DEP_1) | instskip(NEXT) | instid1(VALU_DEP_1)
	v_lshlrev_b64_e32 v[8:9], v7, v[22:23]
	v_dual_sub_nc_u32 v5, 29, v5 :: v_dual_bitop2_b32 v82, 7, v8 bitop3:0x40
; %bb.3039:                             ;   in Loop: Header=BB372_2086 Depth=1
	s_or_b32 exec_lo, exec_lo, s19
	v_lshlrev_b32_e32 v6, 24, v6
	s_delay_alu instid0(VALU_DEP_2) | instskip(NEXT) | instid1(VALU_DEP_3)
	v_lshlrev_b32_e32 v7, 20, v82
	v_lshl_add_u32 v5, v5, 23, 0x3c000000
	s_delay_alu instid0(VALU_DEP_3) | instskip(NEXT) | instid1(VALU_DEP_1)
	v_and_b32_e32 v6, 0x80000000, v6
	v_or3_b32 v5, v7, v6, v5
.LBB372_3040:                           ;   in Loop: Header=BB372_2086 Depth=1
	s_or_b32 exec_lo, exec_lo, s18
.LBB372_3041:                           ;   in Loop: Header=BB372_2086 Depth=1
	s_delay_alu instid0(SALU_CYCLE_1)
	s_or_b32 exec_lo, exec_lo, s17
.LBB372_3042:                           ;   in Loop: Header=BB372_2086 Depth=1
	s_delay_alu instid0(SALU_CYCLE_1) | instskip(SKIP_4) | instid1(VALU_DEP_3)
	s_or_b32 exec_lo, exec_lo, s16
	v_and_b32_e32 v8, 0xff, v81
	v_dual_mov_b32 v22, v81 :: v_dual_mov_b32 v7, 0
	v_mov_b32_e32 v6, 0
	s_mov_b32 s16, exec_lo
	v_cmpx_ne_u16_e32 0, v8
	s_cbranch_execz .LBB372_3050
; %bb.3043:                             ;   in Loop: Header=BB372_2086 Depth=1
	v_bfrev_b32_e32 v6, 1
	s_mov_b32 s17, exec_lo
	v_cmpx_ne_u16_e32 0x80, v8
	s_cbranch_execz .LBB372_3049
; %bb.3044:                             ;   in Loop: Header=BB372_2086 Depth=1
	v_and_b32_e32 v8, 0x7f, v81
	v_mov_b32_e32 v6, 0x7f800001
	s_mov_b32 s18, exec_lo
	s_delay_alu instid0(VALU_DEP_2)
	v_cmpx_ne_u32_e32 0x7f, v8
	s_cbranch_execz .LBB372_3048
; %bb.3045:                             ;   in Loop: Header=BB372_2086 Depth=1
	v_mov_b64_e32 v[82:83], v[22:23]
	v_lshrrev_b32_e32 v6, 3, v8
	s_mov_b32 s19, exec_lo
	v_cmpx_gt_u32_e32 8, v8
; %bb.3046:                             ;   in Loop: Header=BB372_2086 Depth=1
	v_and_b32_e32 v6, 7, v81
	s_delay_alu instid0(VALU_DEP_1) | instskip(NEXT) | instid1(VALU_DEP_1)
	v_clz_i32_u32_e32 v6, v6
	v_min_u32_e32 v6, 32, v6
	s_delay_alu instid0(VALU_DEP_1) | instskip(SKIP_1) | instid1(VALU_DEP_2)
	v_subrev_nc_u32_e32 v8, 28, v6
	v_sub_nc_u32_e32 v6, 29, v6
	v_lshlrev_b64_e32 v[82:83], v8, v[22:23]
; %bb.3047:                             ;   in Loop: Header=BB372_2086 Depth=1
	s_or_b32 exec_lo, exec_lo, s19
	s_delay_alu instid0(VALU_DEP_1) | instskip(SKIP_2) | instid1(VALU_DEP_3)
	v_lshlrev_b32_e32 v8, 20, v82
	v_lshlrev_b32_e32 v9, 24, v22
	v_lshl_add_u32 v6, v6, 23, 0x3c000000
	v_and_b32_e32 v8, 0x700000, v8
	s_delay_alu instid0(VALU_DEP_3) | instskip(NEXT) | instid1(VALU_DEP_1)
	v_and_b32_e32 v9, 0x80000000, v9
	v_or3_b32 v6, v8, v9, v6
.LBB372_3048:                           ;   in Loop: Header=BB372_2086 Depth=1
	s_or_b32 exec_lo, exec_lo, s18
.LBB372_3049:                           ;   in Loop: Header=BB372_2086 Depth=1
	s_delay_alu instid0(SALU_CYCLE_1)
	s_or_b32 exec_lo, exec_lo, s17
.LBB372_3050:                           ;   in Loop: Header=BB372_2086 Depth=1
	s_delay_alu instid0(SALU_CYCLE_1) | instskip(SKIP_2) | instid1(VALU_DEP_1)
	s_or_b32 exec_lo, exec_lo, s16
	v_lshrrev_b16 v8, 8, v22
	s_mov_b32 s16, exec_lo
	v_cmpx_ne_u16_e32 0, v8
	s_cbranch_execz .LBB372_3058
; %bb.3051:                             ;   in Loop: Header=BB372_2086 Depth=1
	v_bfrev_b32_e32 v7, 1
	s_mov_b32 s17, exec_lo
	v_cmpx_ne_u16_e32 0x80, v8
	s_cbranch_execz .LBB372_3057
; %bb.3052:                             ;   in Loop: Header=BB372_2086 Depth=1
	v_and_b32_e32 v9, 0xffff, v8
	v_mov_b32_e32 v7, 0x7f800001
	s_mov_b32 s18, exec_lo
	s_delay_alu instid0(VALU_DEP_2) | instskip(NEXT) | instid1(VALU_DEP_1)
	v_and_b32_e32 v8, 0x7f, v9
	v_cmpx_ne_u32_e32 0x7f, v8
	s_cbranch_execz .LBB372_3056
; %bb.3053:                             ;   in Loop: Header=BB372_2086 Depth=1
	v_dual_mov_b32 v83, v23 :: v_dual_bitop2_b32 v82, 7, v9 bitop3:0x40
	v_lshrrev_b32_e32 v7, 3, v8
	s_mov_b32 s19, exec_lo
	v_cmpx_gt_u32_e32 8, v8
; %bb.3054:                             ;   in Loop: Header=BB372_2086 Depth=1
	s_delay_alu instid0(VALU_DEP_3) | instskip(NEXT) | instid1(VALU_DEP_1)
	v_clz_i32_u32_e32 v7, v82
	v_min_u32_e32 v7, 32, v7
	s_delay_alu instid0(VALU_DEP_1) | instskip(NEXT) | instid1(VALU_DEP_1)
	v_subrev_nc_u32_e32 v8, 28, v7
	v_lshlrev_b64_e32 v[8:9], v8, v[82:83]
	s_delay_alu instid0(VALU_DEP_1)
	v_dual_sub_nc_u32 v7, 29, v7 :: v_dual_bitop2_b32 v82, 7, v8 bitop3:0x40
; %bb.3055:                             ;   in Loop: Header=BB372_2086 Depth=1
	s_or_b32 exec_lo, exec_lo, s19
	v_lshlrev_b32_e32 v8, 16, v22
	s_delay_alu instid0(VALU_DEP_2) | instskip(NEXT) | instid1(VALU_DEP_3)
	v_lshlrev_b32_e32 v9, 20, v82
	v_lshl_add_u32 v7, v7, 23, 0x3c000000
	s_delay_alu instid0(VALU_DEP_3) | instskip(NEXT) | instid1(VALU_DEP_1)
	v_and_b32_e32 v8, 0x80000000, v8
	v_or3_b32 v7, v9, v8, v7
.LBB372_3056:                           ;   in Loop: Header=BB372_2086 Depth=1
	s_or_b32 exec_lo, exec_lo, s18
.LBB372_3057:                           ;   in Loop: Header=BB372_2086 Depth=1
	s_delay_alu instid0(SALU_CYCLE_1)
	s_or_b32 exec_lo, exec_lo, s17
.LBB372_3058:                           ;   in Loop: Header=BB372_2086 Depth=1
	s_delay_alu instid0(SALU_CYCLE_1) | instskip(SKIP_3) | instid1(VALU_DEP_2)
	s_or_b32 exec_lo, exec_lo, s16
	v_dual_lshrrev_b32 v10, 16, v81 :: v_dual_mov_b32 v8, 0
	v_mov_b32_e32 v9, 0
	s_mov_b32 s16, exec_lo
	v_and_b32_e32 v11, 0xff, v10
	s_delay_alu instid0(VALU_DEP_1)
	v_cmpx_ne_u16_e32 0, v11
	s_cbranch_execz .LBB372_3066
; %bb.3059:                             ;   in Loop: Header=BB372_2086 Depth=1
	v_bfrev_b32_e32 v9, 1
	s_mov_b32 s17, exec_lo
	v_cmpx_ne_u16_e32 0x80, v11
	s_cbranch_execz .LBB372_3065
; %bb.3060:                             ;   in Loop: Header=BB372_2086 Depth=1
	v_bfe_u32 v11, v81, 16, 7
	v_mov_b32_e32 v9, 0x7f800001
	s_mov_b32 s18, exec_lo
	s_delay_alu instid0(VALU_DEP_2)
	v_cmpx_ne_u32_e32 0x7f, v11
	s_cbranch_execz .LBB372_3064
; %bb.3061:                             ;   in Loop: Header=BB372_2086 Depth=1
	v_dual_lshrrev_b32 v9, 3, v11 :: v_dual_bitop2_b32 v22, 7, v10 bitop3:0x40
	s_mov_b32 s19, exec_lo
	s_delay_alu instid0(VALU_DEP_1)
	v_mov_b64_e32 v[82:83], v[22:23]
	v_cmpx_gt_u32_e32 8, v11
; %bb.3062:                             ;   in Loop: Header=BB372_2086 Depth=1
	v_clz_i32_u32_e32 v9, v22
	s_delay_alu instid0(VALU_DEP_1) | instskip(NEXT) | instid1(VALU_DEP_1)
	v_min_u32_e32 v9, 32, v9
	v_subrev_nc_u32_e32 v11, 28, v9
	s_delay_alu instid0(VALU_DEP_1) | instskip(NEXT) | instid1(VALU_DEP_1)
	v_lshlrev_b64_e32 v[64:65], v11, v[22:23]
	v_dual_sub_nc_u32 v9, 29, v9 :: v_dual_bitop2_b32 v82, 7, v64 bitop3:0x40
; %bb.3063:                             ;   in Loop: Header=BB372_2086 Depth=1
	s_or_b32 exec_lo, exec_lo, s19
	v_lshlrev_b32_e32 v10, 24, v10
	s_delay_alu instid0(VALU_DEP_2) | instskip(NEXT) | instid1(VALU_DEP_3)
	v_lshlrev_b32_e32 v11, 20, v82
	v_lshl_add_u32 v9, v9, 23, 0x3c000000
	s_delay_alu instid0(VALU_DEP_3) | instskip(NEXT) | instid1(VALU_DEP_1)
	v_and_b32_e32 v10, 0x80000000, v10
	v_or3_b32 v9, v11, v10, v9
.LBB372_3064:                           ;   in Loop: Header=BB372_2086 Depth=1
	s_or_b32 exec_lo, exec_lo, s18
.LBB372_3065:                           ;   in Loop: Header=BB372_2086 Depth=1
	s_delay_alu instid0(SALU_CYCLE_1)
	s_or_b32 exec_lo, exec_lo, s17
.LBB372_3066:                           ;   in Loop: Header=BB372_2086 Depth=1
	s_delay_alu instid0(SALU_CYCLE_1) | instskip(NEXT) | instid1(SALU_CYCLE_1)
	s_or_b32 exec_lo, exec_lo, s16
	s_mov_b32 s16, exec_lo
	v_cmpx_lt_u64_e64 s[2:3], v[80:81]
	s_cbranch_execz .LBB372_3074
; %bb.3067:                             ;   in Loop: Header=BB372_2086 Depth=1
	v_lshrrev_b32_e32 v10, 24, v81
	v_bfrev_b32_e32 v8, 1
	s_mov_b32 s17, exec_lo
	s_delay_alu instid0(VALU_DEP_2)
	v_cmpx_ne_u32_e32 0x80, v10
	s_cbranch_execz .LBB372_3073
; %bb.3068:                             ;   in Loop: Header=BB372_2086 Depth=1
	v_bfe_u32 v11, v81, 24, 7
	v_mov_b32_e32 v8, 0x7f800001
	s_mov_b32 s18, exec_lo
	s_delay_alu instid0(VALU_DEP_2)
	v_cmpx_ne_u32_e32 0x7f, v11
	s_cbranch_execz .LBB372_3072
; %bb.3069:                             ;   in Loop: Header=BB372_2086 Depth=1
	v_dual_lshrrev_b32 v8, 3, v11 :: v_dual_bitop2_b32 v22, 7, v10 bitop3:0x40
	s_mov_b32 s19, exec_lo
	s_delay_alu instid0(VALU_DEP_1)
	v_mov_b64_e32 v[80:81], v[22:23]
	v_cmpx_gt_u32_e32 8, v11
; %bb.3070:                             ;   in Loop: Header=BB372_2086 Depth=1
	v_clz_i32_u32_e32 v8, v22
	s_delay_alu instid0(VALU_DEP_1) | instskip(NEXT) | instid1(VALU_DEP_1)
	v_min_u32_e32 v8, 32, v8
	v_subrev_nc_u32_e32 v11, 28, v8
	v_sub_nc_u32_e32 v8, 29, v8
	s_delay_alu instid0(VALU_DEP_2) | instskip(NEXT) | instid1(VALU_DEP_1)
	v_lshlrev_b64_e32 v[64:65], v11, v[22:23]
	v_and_b32_e32 v80, 7, v64
; %bb.3071:                             ;   in Loop: Header=BB372_2086 Depth=1
	s_or_b32 exec_lo, exec_lo, s19
	s_delay_alu instid0(VALU_DEP_1) | instskip(SKIP_1) | instid1(VALU_DEP_2)
	v_dual_lshlrev_b32 v10, 24, v10 :: v_dual_lshlrev_b32 v11, 20, v80
	v_lshl_add_u32 v8, v8, 23, 0x3c000000
	v_and_b32_e32 v10, 0x80000000, v10
	s_delay_alu instid0(VALU_DEP_1)
	v_or3_b32 v8, v11, v10, v8
.LBB372_3072:                           ;   in Loop: Header=BB372_2086 Depth=1
	s_or_b32 exec_lo, exec_lo, s18
.LBB372_3073:                           ;   in Loop: Header=BB372_2086 Depth=1
	s_delay_alu instid0(SALU_CYCLE_1)
	s_or_b32 exec_lo, exec_lo, s17
.LBB372_3074:                           ;   in Loop: Header=BB372_2086 Depth=1
	s_delay_alu instid0(SALU_CYCLE_1)
	s_or_b32 exec_lo, exec_lo, s16
	v_fma_mixlo_bf16 v2, v86, v2, 0
	v_fma_mixlo_bf16 v7, v86, v7, 0
	;; [unrolled: 1-line block ×5, first 2 shown]
	scratch_store_b32 off, v2, s32 offset:1036 ; 4-byte Folded Spill
	s_wait_xcnt 0x0
	v_fma_mixlo_bf16 v2, v86, v9, 0
	s_clause 0x1
	scratch_store_b32 off, v7, s32 offset:988
	scratch_store_b32 off, v6, s32 offset:996
	v_fma_mixlo_bf16 v3, v86, v3, 0
	s_clause 0x1
	scratch_store_b32 off, v5, s32 offset:1012
	scratch_store_b32 off, v2, s32 offset:1000
	s_wait_xcnt 0x0
	v_fma_mixlo_bf16 v2, v86, v8, 0
	s_clause 0x2
	scratch_store_b32 off, v4, s32 offset:1020
	scratch_store_b32 off, v3, s32 offset:1028
	scratch_store_b32 off, v2, s32 offset:1004
	s_wait_xcnt 0x0
	s_and_saveexec_b32 s16, vcc_lo
	s_cbranch_execz .LBB372_3076
; %bb.3075:                             ;   in Loop: Header=BB372_2086 Depth=1
	s_clause 0x1
	scratch_load_b32 v2, off, s32 offset:192
	scratch_load_b32 v3, off, s32 offset:1036
	s_wait_loadcnt 0x1
	v_cmp_lt_i32_e64 s0, v63, v2
	s_wait_loadcnt 0x0
	s_delay_alu instid0(VALU_DEP_1)
	v_cndmask_b32_e64 v3, 0, v3, s0
	v_cmp_lt_i32_e64 s0, v95, v2
	s_clause 0x1
	scratch_store_b32 off, v3, s32 offset:1036
	scratch_load_b32 v3, off, s32 offset:1028
	s_wait_loadcnt 0x0
	v_cndmask_b32_e64 v3, 0, v3, s0
	v_cmp_lt_i32_e64 s0, v94, v2
	s_clause 0x1
	scratch_store_b32 off, v3, s32 offset:1028
	scratch_load_b32 v3, off, s32 offset:1020
	s_wait_loadcnt 0x0
	;; [unrolled: 6-line block ×6, first 2 shown]
	v_cndmask_b32_e64 v3, 0, v3, s0
	v_cmp_lt_i32_e64 s0, v89, v2
	scratch_load_b32 v2, off, s32 offset:1004 ; 4-byte Folded Reload
	s_wait_loadcnt 0x0
	v_cndmask_b32_e64 v2, 0, v2, s0
	s_clause 0x1
	scratch_store_b32 off, v3, s32 offset:1000
	scratch_store_b32 off, v2, s32 offset:1004
.LBB372_3076:                           ;   in Loop: Header=BB372_2086 Depth=1
	s_wait_xcnt 0x0
	s_or_b32 exec_lo, exec_lo, s16
	flat_load_b64 v[80:81], v[18:19] offset:3840
	v_dual_mov_b32 v3, 0 :: v_dual_mov_b32 v2, 0
	s_mov_b32 s16, exec_lo
	s_wait_loadcnt_dscnt 0x0
	v_and_b32_e32 v4, 0xff, v80
	s_wait_xcnt 0x0
	s_delay_alu instid0(VALU_DEP_1)
	v_cmpx_ne_u16_e32 0, v4
	s_cbranch_execz .LBB372_3084
; %bb.3077:                             ;   in Loop: Header=BB372_2086 Depth=1
	v_bfrev_b32_e32 v2, 1
	s_mov_b32 s17, exec_lo
	v_cmpx_ne_u16_e32 0x80, v4
	s_cbranch_execz .LBB372_3083
; %bb.3078:                             ;   in Loop: Header=BB372_2086 Depth=1
	v_and_b32_e32 v4, 0x7f, v80
	v_mov_b32_e32 v2, 0x7f800001
	s_mov_b32 s18, exec_lo
	s_delay_alu instid0(VALU_DEP_2)
	v_cmpx_ne_u32_e32 0x7f, v4
	s_cbranch_execz .LBB372_3082
; %bb.3079:                             ;   in Loop: Header=BB372_2086 Depth=1
	v_mov_b64_e32 v[82:83], v[80:81]
	v_lshrrev_b32_e32 v2, 3, v4
	s_mov_b32 s19, exec_lo
	v_cmpx_gt_u32_e32 8, v4
; %bb.3080:                             ;   in Loop: Header=BB372_2086 Depth=1
	v_and_b32_e32 v2, 7, v80
	s_delay_alu instid0(VALU_DEP_1) | instskip(NEXT) | instid1(VALU_DEP_1)
	v_clz_i32_u32_e32 v2, v2
	v_min_u32_e32 v2, 32, v2
	s_delay_alu instid0(VALU_DEP_1) | instskip(SKIP_1) | instid1(VALU_DEP_2)
	v_subrev_nc_u32_e32 v4, 28, v2
	v_sub_nc_u32_e32 v2, 29, v2
	v_lshlrev_b64_e32 v[82:83], v4, v[80:81]
; %bb.3081:                             ;   in Loop: Header=BB372_2086 Depth=1
	s_or_b32 exec_lo, exec_lo, s19
	s_delay_alu instid0(VALU_DEP_1) | instskip(NEXT) | instid1(VALU_DEP_3)
	v_dual_lshlrev_b32 v4, 20, v82 :: v_dual_lshlrev_b32 v5, 24, v80
	v_lshl_add_u32 v2, v2, 23, 0x3c000000
	s_delay_alu instid0(VALU_DEP_2) | instskip(NEXT) | instid1(VALU_DEP_3)
	v_and_b32_e32 v4, 0x700000, v4
	v_and_b32_e32 v5, 0x80000000, v5
	s_delay_alu instid0(VALU_DEP_1)
	v_or3_b32 v2, v4, v5, v2
.LBB372_3082:                           ;   in Loop: Header=BB372_2086 Depth=1
	s_or_b32 exec_lo, exec_lo, s18
.LBB372_3083:                           ;   in Loop: Header=BB372_2086 Depth=1
	s_delay_alu instid0(SALU_CYCLE_1)
	s_or_b32 exec_lo, exec_lo, s17
.LBB372_3084:                           ;   in Loop: Header=BB372_2086 Depth=1
	s_delay_alu instid0(SALU_CYCLE_1) | instskip(SKIP_2) | instid1(VALU_DEP_1)
	s_or_b32 exec_lo, exec_lo, s16
	v_lshrrev_b16 v4, 8, v80
	s_mov_b32 s16, exec_lo
	v_cmpx_ne_u16_e32 0, v4
	s_cbranch_execz .LBB372_3092
; %bb.3085:                             ;   in Loop: Header=BB372_2086 Depth=1
	v_bfrev_b32_e32 v3, 1
	s_mov_b32 s17, exec_lo
	v_cmpx_ne_u16_e32 0x80, v4
	s_cbranch_execz .LBB372_3091
; %bb.3086:                             ;   in Loop: Header=BB372_2086 Depth=1
	v_and_b32_e32 v5, 0xffff, v4
	v_mov_b32_e32 v3, 0x7f800001
	s_mov_b32 s18, exec_lo
	s_delay_alu instid0(VALU_DEP_2) | instskip(NEXT) | instid1(VALU_DEP_1)
	v_and_b32_e32 v4, 0x7f, v5
	v_cmpx_ne_u32_e32 0x7f, v4
	s_cbranch_execz .LBB372_3090
; %bb.3087:                             ;   in Loop: Header=BB372_2086 Depth=1
	v_dual_lshrrev_b32 v3, 3, v4 :: v_dual_bitop2_b32 v22, 7, v5 bitop3:0x40
	s_mov_b32 s19, exec_lo
	s_delay_alu instid0(VALU_DEP_1)
	v_mov_b64_e32 v[82:83], v[22:23]
	v_cmpx_gt_u32_e32 8, v4
; %bb.3088:                             ;   in Loop: Header=BB372_2086 Depth=1
	v_clz_i32_u32_e32 v3, v22
	s_delay_alu instid0(VALU_DEP_1) | instskip(NEXT) | instid1(VALU_DEP_1)
	v_min_u32_e32 v3, 32, v3
	v_subrev_nc_u32_e32 v4, 28, v3
	s_delay_alu instid0(VALU_DEP_1) | instskip(NEXT) | instid1(VALU_DEP_1)
	v_lshlrev_b64_e32 v[4:5], v4, v[22:23]
	v_dual_sub_nc_u32 v3, 29, v3 :: v_dual_bitop2_b32 v82, 7, v4 bitop3:0x40
; %bb.3089:                             ;   in Loop: Header=BB372_2086 Depth=1
	s_or_b32 exec_lo, exec_lo, s19
	s_delay_alu instid0(VALU_DEP_1) | instskip(NEXT) | instid1(VALU_DEP_2)
	v_dual_lshlrev_b32 v4, 16, v80 :: v_dual_lshlrev_b32 v5, 20, v82
	v_lshl_add_u32 v3, v3, 23, 0x3c000000
	s_delay_alu instid0(VALU_DEP_2) | instskip(NEXT) | instid1(VALU_DEP_1)
	v_and_b32_e32 v4, 0x80000000, v4
	v_or3_b32 v3, v5, v4, v3
.LBB372_3090:                           ;   in Loop: Header=BB372_2086 Depth=1
	s_or_b32 exec_lo, exec_lo, s18
.LBB372_3091:                           ;   in Loop: Header=BB372_2086 Depth=1
	s_delay_alu instid0(SALU_CYCLE_1)
	s_or_b32 exec_lo, exec_lo, s17
.LBB372_3092:                           ;   in Loop: Header=BB372_2086 Depth=1
	s_delay_alu instid0(SALU_CYCLE_1) | instskip(SKIP_3) | instid1(VALU_DEP_2)
	s_or_b32 exec_lo, exec_lo, s16
	v_dual_mov_b32 v5, 0 :: v_dual_lshrrev_b32 v6, 16, v80
	v_mov_b32_e32 v4, 0
	s_mov_b32 s16, exec_lo
	v_and_b32_e32 v7, 0xff, v6
	s_delay_alu instid0(VALU_DEP_1)
	v_cmpx_ne_u16_e32 0, v7
	s_cbranch_execz .LBB372_3100
; %bb.3093:                             ;   in Loop: Header=BB372_2086 Depth=1
	v_bfrev_b32_e32 v4, 1
	s_mov_b32 s17, exec_lo
	v_cmpx_ne_u16_e32 0x80, v7
	s_cbranch_execz .LBB372_3099
; %bb.3094:                             ;   in Loop: Header=BB372_2086 Depth=1
	v_bfe_u32 v7, v80, 16, 7
	v_mov_b32_e32 v4, 0x7f800001
	s_mov_b32 s18, exec_lo
	s_delay_alu instid0(VALU_DEP_2)
	v_cmpx_ne_u32_e32 0x7f, v7
	s_cbranch_execz .LBB372_3098
; %bb.3095:                             ;   in Loop: Header=BB372_2086 Depth=1
	v_dual_lshrrev_b32 v4, 3, v7 :: v_dual_bitop2_b32 v22, 7, v6 bitop3:0x40
	s_mov_b32 s19, exec_lo
	s_delay_alu instid0(VALU_DEP_1)
	v_mov_b64_e32 v[82:83], v[22:23]
	v_cmpx_gt_u32_e32 8, v7
; %bb.3096:                             ;   in Loop: Header=BB372_2086 Depth=1
	v_clz_i32_u32_e32 v4, v22
	s_delay_alu instid0(VALU_DEP_1) | instskip(NEXT) | instid1(VALU_DEP_1)
	v_min_u32_e32 v4, 32, v4
	v_subrev_nc_u32_e32 v7, 28, v4
	v_sub_nc_u32_e32 v4, 29, v4
	s_delay_alu instid0(VALU_DEP_2) | instskip(NEXT) | instid1(VALU_DEP_1)
	v_lshlrev_b64_e32 v[8:9], v7, v[22:23]
	v_and_b32_e32 v82, 7, v8
; %bb.3097:                             ;   in Loop: Header=BB372_2086 Depth=1
	s_or_b32 exec_lo, exec_lo, s19
	v_lshlrev_b32_e32 v6, 24, v6
	s_delay_alu instid0(VALU_DEP_2) | instskip(SKIP_1) | instid1(VALU_DEP_3)
	v_lshlrev_b32_e32 v7, 20, v82
	v_lshl_add_u32 v4, v4, 23, 0x3c000000
	v_and_b32_e32 v6, 0x80000000, v6
	s_delay_alu instid0(VALU_DEP_1)
	v_or3_b32 v4, v7, v6, v4
.LBB372_3098:                           ;   in Loop: Header=BB372_2086 Depth=1
	s_or_b32 exec_lo, exec_lo, s18
.LBB372_3099:                           ;   in Loop: Header=BB372_2086 Depth=1
	s_delay_alu instid0(SALU_CYCLE_1)
	s_or_b32 exec_lo, exec_lo, s17
.LBB372_3100:                           ;   in Loop: Header=BB372_2086 Depth=1
	s_delay_alu instid0(SALU_CYCLE_1) | instskip(NEXT) | instid1(SALU_CYCLE_1)
	s_or_b32 exec_lo, exec_lo, s16
	s_mov_b32 s16, exec_lo
	v_cmpx_lt_u32_e32 0xffffff, v80
	s_cbranch_execz .LBB372_3108
; %bb.3101:                             ;   in Loop: Header=BB372_2086 Depth=1
	v_lshrrev_b32_e32 v6, 24, v80
	v_bfrev_b32_e32 v5, 1
	s_mov_b32 s17, exec_lo
	s_delay_alu instid0(VALU_DEP_2)
	v_cmpx_ne_u32_e32 0x80, v6
	s_cbranch_execz .LBB372_3107
; %bb.3102:                             ;   in Loop: Header=BB372_2086 Depth=1
	v_bfe_u32 v7, v80, 24, 7
	v_mov_b32_e32 v5, 0x7f800001
	s_mov_b32 s18, exec_lo
	s_delay_alu instid0(VALU_DEP_2)
	v_cmpx_ne_u32_e32 0x7f, v7
	s_cbranch_execz .LBB372_3106
; %bb.3103:                             ;   in Loop: Header=BB372_2086 Depth=1
	v_dual_lshrrev_b32 v5, 3, v7 :: v_dual_bitop2_b32 v22, 7, v6 bitop3:0x40
	s_mov_b32 s19, exec_lo
	s_delay_alu instid0(VALU_DEP_1)
	v_mov_b64_e32 v[82:83], v[22:23]
	v_cmpx_gt_u32_e32 8, v7
; %bb.3104:                             ;   in Loop: Header=BB372_2086 Depth=1
	v_clz_i32_u32_e32 v5, v22
	s_delay_alu instid0(VALU_DEP_1) | instskip(NEXT) | instid1(VALU_DEP_1)
	v_min_u32_e32 v5, 32, v5
	v_subrev_nc_u32_e32 v7, 28, v5
	s_delay_alu instid0(VALU_DEP_1) | instskip(NEXT) | instid1(VALU_DEP_1)
	v_lshlrev_b64_e32 v[8:9], v7, v[22:23]
	v_dual_sub_nc_u32 v5, 29, v5 :: v_dual_bitop2_b32 v82, 7, v8 bitop3:0x40
; %bb.3105:                             ;   in Loop: Header=BB372_2086 Depth=1
	s_or_b32 exec_lo, exec_lo, s19
	v_lshlrev_b32_e32 v6, 24, v6
	s_delay_alu instid0(VALU_DEP_2) | instskip(NEXT) | instid1(VALU_DEP_3)
	v_lshlrev_b32_e32 v7, 20, v82
	v_lshl_add_u32 v5, v5, 23, 0x3c000000
	s_delay_alu instid0(VALU_DEP_3) | instskip(NEXT) | instid1(VALU_DEP_1)
	v_and_b32_e32 v6, 0x80000000, v6
	v_or3_b32 v5, v7, v6, v5
.LBB372_3106:                           ;   in Loop: Header=BB372_2086 Depth=1
	s_or_b32 exec_lo, exec_lo, s18
.LBB372_3107:                           ;   in Loop: Header=BB372_2086 Depth=1
	s_delay_alu instid0(SALU_CYCLE_1)
	s_or_b32 exec_lo, exec_lo, s17
.LBB372_3108:                           ;   in Loop: Header=BB372_2086 Depth=1
	s_delay_alu instid0(SALU_CYCLE_1) | instskip(SKIP_4) | instid1(VALU_DEP_3)
	s_or_b32 exec_lo, exec_lo, s16
	v_and_b32_e32 v8, 0xff, v81
	v_dual_mov_b32 v22, v81 :: v_dual_mov_b32 v7, 0
	v_mov_b32_e32 v6, 0
	s_mov_b32 s16, exec_lo
	v_cmpx_ne_u16_e32 0, v8
	s_cbranch_execz .LBB372_3116
; %bb.3109:                             ;   in Loop: Header=BB372_2086 Depth=1
	v_bfrev_b32_e32 v6, 1
	s_mov_b32 s17, exec_lo
	v_cmpx_ne_u16_e32 0x80, v8
	s_cbranch_execz .LBB372_3115
; %bb.3110:                             ;   in Loop: Header=BB372_2086 Depth=1
	v_and_b32_e32 v8, 0x7f, v81
	v_mov_b32_e32 v6, 0x7f800001
	s_mov_b32 s18, exec_lo
	s_delay_alu instid0(VALU_DEP_2)
	v_cmpx_ne_u32_e32 0x7f, v8
	s_cbranch_execz .LBB372_3114
; %bb.3111:                             ;   in Loop: Header=BB372_2086 Depth=1
	v_mov_b64_e32 v[82:83], v[22:23]
	v_lshrrev_b32_e32 v6, 3, v8
	s_mov_b32 s19, exec_lo
	v_cmpx_gt_u32_e32 8, v8
; %bb.3112:                             ;   in Loop: Header=BB372_2086 Depth=1
	v_and_b32_e32 v6, 7, v81
	s_delay_alu instid0(VALU_DEP_1) | instskip(NEXT) | instid1(VALU_DEP_1)
	v_clz_i32_u32_e32 v6, v6
	v_min_u32_e32 v6, 32, v6
	s_delay_alu instid0(VALU_DEP_1) | instskip(SKIP_1) | instid1(VALU_DEP_2)
	v_subrev_nc_u32_e32 v8, 28, v6
	v_sub_nc_u32_e32 v6, 29, v6
	v_lshlrev_b64_e32 v[82:83], v8, v[22:23]
; %bb.3113:                             ;   in Loop: Header=BB372_2086 Depth=1
	s_or_b32 exec_lo, exec_lo, s19
	s_delay_alu instid0(VALU_DEP_1) | instskip(SKIP_2) | instid1(VALU_DEP_3)
	v_lshlrev_b32_e32 v8, 20, v82
	v_lshlrev_b32_e32 v9, 24, v22
	v_lshl_add_u32 v6, v6, 23, 0x3c000000
	v_and_b32_e32 v8, 0x700000, v8
	s_delay_alu instid0(VALU_DEP_3) | instskip(NEXT) | instid1(VALU_DEP_1)
	v_and_b32_e32 v9, 0x80000000, v9
	v_or3_b32 v6, v8, v9, v6
.LBB372_3114:                           ;   in Loop: Header=BB372_2086 Depth=1
	s_or_b32 exec_lo, exec_lo, s18
.LBB372_3115:                           ;   in Loop: Header=BB372_2086 Depth=1
	s_delay_alu instid0(SALU_CYCLE_1)
	s_or_b32 exec_lo, exec_lo, s17
.LBB372_3116:                           ;   in Loop: Header=BB372_2086 Depth=1
	s_delay_alu instid0(SALU_CYCLE_1) | instskip(SKIP_2) | instid1(VALU_DEP_1)
	s_or_b32 exec_lo, exec_lo, s16
	v_lshrrev_b16 v8, 8, v22
	s_mov_b32 s16, exec_lo
	v_cmpx_ne_u16_e32 0, v8
	s_cbranch_execz .LBB372_3124
; %bb.3117:                             ;   in Loop: Header=BB372_2086 Depth=1
	v_bfrev_b32_e32 v7, 1
	s_mov_b32 s17, exec_lo
	v_cmpx_ne_u16_e32 0x80, v8
	s_cbranch_execz .LBB372_3123
; %bb.3118:                             ;   in Loop: Header=BB372_2086 Depth=1
	v_and_b32_e32 v9, 0xffff, v8
	v_mov_b32_e32 v7, 0x7f800001
	s_mov_b32 s18, exec_lo
	s_delay_alu instid0(VALU_DEP_2) | instskip(NEXT) | instid1(VALU_DEP_1)
	v_and_b32_e32 v8, 0x7f, v9
	v_cmpx_ne_u32_e32 0x7f, v8
	s_cbranch_execz .LBB372_3122
; %bb.3119:                             ;   in Loop: Header=BB372_2086 Depth=1
	v_dual_mov_b32 v83, v23 :: v_dual_bitop2_b32 v82, 7, v9 bitop3:0x40
	v_lshrrev_b32_e32 v7, 3, v8
	s_mov_b32 s19, exec_lo
	v_cmpx_gt_u32_e32 8, v8
; %bb.3120:                             ;   in Loop: Header=BB372_2086 Depth=1
	s_delay_alu instid0(VALU_DEP_3) | instskip(NEXT) | instid1(VALU_DEP_1)
	v_clz_i32_u32_e32 v7, v82
	v_min_u32_e32 v7, 32, v7
	s_delay_alu instid0(VALU_DEP_1) | instskip(NEXT) | instid1(VALU_DEP_1)
	v_subrev_nc_u32_e32 v8, 28, v7
	v_lshlrev_b64_e32 v[8:9], v8, v[82:83]
	s_delay_alu instid0(VALU_DEP_1)
	v_dual_sub_nc_u32 v7, 29, v7 :: v_dual_bitop2_b32 v82, 7, v8 bitop3:0x40
; %bb.3121:                             ;   in Loop: Header=BB372_2086 Depth=1
	s_or_b32 exec_lo, exec_lo, s19
	v_lshlrev_b32_e32 v8, 16, v22
	s_delay_alu instid0(VALU_DEP_2) | instskip(NEXT) | instid1(VALU_DEP_3)
	v_lshlrev_b32_e32 v9, 20, v82
	v_lshl_add_u32 v7, v7, 23, 0x3c000000
	s_delay_alu instid0(VALU_DEP_3) | instskip(NEXT) | instid1(VALU_DEP_1)
	v_and_b32_e32 v8, 0x80000000, v8
	v_or3_b32 v7, v9, v8, v7
.LBB372_3122:                           ;   in Loop: Header=BB372_2086 Depth=1
	s_or_b32 exec_lo, exec_lo, s18
.LBB372_3123:                           ;   in Loop: Header=BB372_2086 Depth=1
	s_delay_alu instid0(SALU_CYCLE_1)
	s_or_b32 exec_lo, exec_lo, s17
.LBB372_3124:                           ;   in Loop: Header=BB372_2086 Depth=1
	s_delay_alu instid0(SALU_CYCLE_1) | instskip(SKIP_3) | instid1(VALU_DEP_2)
	s_or_b32 exec_lo, exec_lo, s16
	v_dual_lshrrev_b32 v10, 16, v81 :: v_dual_mov_b32 v8, 0
	v_mov_b32_e32 v9, 0
	s_mov_b32 s16, exec_lo
	v_and_b32_e32 v11, 0xff, v10
	s_delay_alu instid0(VALU_DEP_1)
	v_cmpx_ne_u16_e32 0, v11
	s_cbranch_execz .LBB372_3132
; %bb.3125:                             ;   in Loop: Header=BB372_2086 Depth=1
	v_bfrev_b32_e32 v9, 1
	s_mov_b32 s17, exec_lo
	v_cmpx_ne_u16_e32 0x80, v11
	s_cbranch_execz .LBB372_3131
; %bb.3126:                             ;   in Loop: Header=BB372_2086 Depth=1
	v_bfe_u32 v11, v81, 16, 7
	v_mov_b32_e32 v9, 0x7f800001
	s_mov_b32 s18, exec_lo
	s_delay_alu instid0(VALU_DEP_2)
	v_cmpx_ne_u32_e32 0x7f, v11
	s_cbranch_execz .LBB372_3130
; %bb.3127:                             ;   in Loop: Header=BB372_2086 Depth=1
	v_dual_lshrrev_b32 v9, 3, v11 :: v_dual_bitop2_b32 v22, 7, v10 bitop3:0x40
	s_mov_b32 s19, exec_lo
	s_delay_alu instid0(VALU_DEP_1)
	v_mov_b64_e32 v[82:83], v[22:23]
	v_cmpx_gt_u32_e32 8, v11
; %bb.3128:                             ;   in Loop: Header=BB372_2086 Depth=1
	v_clz_i32_u32_e32 v9, v22
	s_delay_alu instid0(VALU_DEP_1) | instskip(NEXT) | instid1(VALU_DEP_1)
	v_min_u32_e32 v9, 32, v9
	v_subrev_nc_u32_e32 v11, 28, v9
	s_delay_alu instid0(VALU_DEP_1) | instskip(NEXT) | instid1(VALU_DEP_1)
	v_lshlrev_b64_e32 v[64:65], v11, v[22:23]
	v_dual_sub_nc_u32 v9, 29, v9 :: v_dual_bitop2_b32 v82, 7, v64 bitop3:0x40
; %bb.3129:                             ;   in Loop: Header=BB372_2086 Depth=1
	s_or_b32 exec_lo, exec_lo, s19
	v_lshlrev_b32_e32 v10, 24, v10
	s_delay_alu instid0(VALU_DEP_2) | instskip(NEXT) | instid1(VALU_DEP_3)
	v_lshlrev_b32_e32 v11, 20, v82
	v_lshl_add_u32 v9, v9, 23, 0x3c000000
	s_delay_alu instid0(VALU_DEP_3) | instskip(NEXT) | instid1(VALU_DEP_1)
	v_and_b32_e32 v10, 0x80000000, v10
	v_or3_b32 v9, v11, v10, v9
.LBB372_3130:                           ;   in Loop: Header=BB372_2086 Depth=1
	s_or_b32 exec_lo, exec_lo, s18
.LBB372_3131:                           ;   in Loop: Header=BB372_2086 Depth=1
	s_delay_alu instid0(SALU_CYCLE_1)
	s_or_b32 exec_lo, exec_lo, s17
.LBB372_3132:                           ;   in Loop: Header=BB372_2086 Depth=1
	s_delay_alu instid0(SALU_CYCLE_1) | instskip(NEXT) | instid1(SALU_CYCLE_1)
	s_or_b32 exec_lo, exec_lo, s16
	s_mov_b32 s16, exec_lo
	v_cmpx_lt_u64_e64 s[2:3], v[80:81]
	s_cbranch_execz .LBB372_3140
; %bb.3133:                             ;   in Loop: Header=BB372_2086 Depth=1
	v_lshrrev_b32_e32 v10, 24, v81
	v_bfrev_b32_e32 v8, 1
	s_mov_b32 s17, exec_lo
	s_delay_alu instid0(VALU_DEP_2)
	v_cmpx_ne_u32_e32 0x80, v10
	s_cbranch_execz .LBB372_3139
; %bb.3134:                             ;   in Loop: Header=BB372_2086 Depth=1
	v_bfe_u32 v11, v81, 24, 7
	v_mov_b32_e32 v8, 0x7f800001
	s_mov_b32 s18, exec_lo
	s_delay_alu instid0(VALU_DEP_2)
	v_cmpx_ne_u32_e32 0x7f, v11
	s_cbranch_execz .LBB372_3138
; %bb.3135:                             ;   in Loop: Header=BB372_2086 Depth=1
	v_dual_lshrrev_b32 v8, 3, v11 :: v_dual_bitop2_b32 v22, 7, v10 bitop3:0x40
	s_mov_b32 s19, exec_lo
	s_delay_alu instid0(VALU_DEP_1)
	v_mov_b64_e32 v[80:81], v[22:23]
	v_cmpx_gt_u32_e32 8, v11
; %bb.3136:                             ;   in Loop: Header=BB372_2086 Depth=1
	v_clz_i32_u32_e32 v8, v22
	s_delay_alu instid0(VALU_DEP_1) | instskip(NEXT) | instid1(VALU_DEP_1)
	v_min_u32_e32 v8, 32, v8
	v_subrev_nc_u32_e32 v11, 28, v8
	v_sub_nc_u32_e32 v8, 29, v8
	s_delay_alu instid0(VALU_DEP_2) | instskip(NEXT) | instid1(VALU_DEP_1)
	v_lshlrev_b64_e32 v[64:65], v11, v[22:23]
	v_and_b32_e32 v80, 7, v64
; %bb.3137:                             ;   in Loop: Header=BB372_2086 Depth=1
	s_or_b32 exec_lo, exec_lo, s19
	s_delay_alu instid0(VALU_DEP_1) | instskip(SKIP_1) | instid1(VALU_DEP_2)
	v_dual_lshlrev_b32 v10, 24, v10 :: v_dual_lshlrev_b32 v11, 20, v80
	v_lshl_add_u32 v8, v8, 23, 0x3c000000
	v_and_b32_e32 v10, 0x80000000, v10
	s_delay_alu instid0(VALU_DEP_1)
	v_or3_b32 v8, v11, v10, v8
.LBB372_3138:                           ;   in Loop: Header=BB372_2086 Depth=1
	s_or_b32 exec_lo, exec_lo, s18
.LBB372_3139:                           ;   in Loop: Header=BB372_2086 Depth=1
	s_delay_alu instid0(SALU_CYCLE_1)
	s_or_b32 exec_lo, exec_lo, s17
.LBB372_3140:                           ;   in Loop: Header=BB372_2086 Depth=1
	s_delay_alu instid0(SALU_CYCLE_1)
	s_or_b32 exec_lo, exec_lo, s16
	v_fma_mixlo_bf16 v2, v86, v2, 0
	v_fma_mixlo_bf16 v7, v86, v7, 0
	;; [unrolled: 1-line block ×5, first 2 shown]
	scratch_store_b32 off, v2, s32 offset:1080 ; 4-byte Folded Spill
	s_wait_xcnt 0x0
	v_fma_mixlo_bf16 v2, v86, v9, 0
	s_clause 0x4
	scratch_store_b32 off, v7, s32 offset:1044
	scratch_store_b32 off, v6, s32 offset:1048
	;; [unrolled: 1-line block ×5, first 2 shown]
	v_fma_mixlo_bf16 v3, v86, v3, 0
	s_wait_xcnt 0x0
	v_fma_mixlo_bf16 v2, v86, v8, 0
	s_clause 0x1
	scratch_store_b32 off, v3, s32 offset:1076
	scratch_store_b32 off, v2, s32 offset:1068
	s_wait_xcnt 0x0
	s_and_saveexec_b32 s16, vcc_lo
	s_cbranch_execz .LBB372_3142
; %bb.3141:                             ;   in Loop: Header=BB372_2086 Depth=1
	s_clause 0x1
	scratch_load_b32 v2, off, s32 offset:192
	scratch_load_b32 v3, off, s32 offset:1080
	s_wait_loadcnt 0x1
	v_cmp_lt_i32_e64 s0, v63, v2
	s_wait_loadcnt 0x0
	s_delay_alu instid0(VALU_DEP_1)
	v_cndmask_b32_e64 v3, 0, v3, s0
	v_cmp_lt_i32_e64 s0, v95, v2
	s_clause 0x1
	scratch_store_b32 off, v3, s32 offset:1080
	scratch_load_b32 v3, off, s32 offset:1076
	s_wait_loadcnt 0x0
	v_cndmask_b32_e64 v3, 0, v3, s0
	v_cmp_lt_i32_e64 s0, v94, v2
	s_clause 0x1
	scratch_store_b32 off, v3, s32 offset:1076
	scratch_load_b32 v3, off, s32 offset:1072
	s_wait_loadcnt 0x0
	;; [unrolled: 6-line block ×6, first 2 shown]
	v_cndmask_b32_e64 v3, 0, v3, s0
	v_cmp_lt_i32_e64 s0, v89, v2
	scratch_load_b32 v2, off, s32 offset:1068 ; 4-byte Folded Reload
	s_wait_loadcnt 0x0
	v_cndmask_b32_e64 v2, 0, v2, s0
	s_clause 0x1
	scratch_store_b32 off, v3, s32 offset:1052
	scratch_store_b32 off, v2, s32 offset:1068
.LBB372_3142:                           ;   in Loop: Header=BB372_2086 Depth=1
	s_wait_xcnt 0x0
	s_or_b32 exec_lo, exec_lo, s16
	flat_load_b64 v[80:81], v[18:19] offset:4096
	v_dual_mov_b32 v3, 0 :: v_dual_mov_b32 v2, 0
	s_mov_b32 s16, exec_lo
	s_wait_loadcnt_dscnt 0x0
	v_and_b32_e32 v4, 0xff, v80
	s_wait_xcnt 0x0
	s_delay_alu instid0(VALU_DEP_1)
	v_cmpx_ne_u16_e32 0, v4
	s_cbranch_execz .LBB372_3150
; %bb.3143:                             ;   in Loop: Header=BB372_2086 Depth=1
	v_bfrev_b32_e32 v2, 1
	s_mov_b32 s17, exec_lo
	v_cmpx_ne_u16_e32 0x80, v4
	s_cbranch_execz .LBB372_3149
; %bb.3144:                             ;   in Loop: Header=BB372_2086 Depth=1
	v_and_b32_e32 v4, 0x7f, v80
	v_mov_b32_e32 v2, 0x7f800001
	s_mov_b32 s18, exec_lo
	s_delay_alu instid0(VALU_DEP_2)
	v_cmpx_ne_u32_e32 0x7f, v4
	s_cbranch_execz .LBB372_3148
; %bb.3145:                             ;   in Loop: Header=BB372_2086 Depth=1
	v_mov_b64_e32 v[82:83], v[80:81]
	v_lshrrev_b32_e32 v2, 3, v4
	s_mov_b32 s19, exec_lo
	v_cmpx_gt_u32_e32 8, v4
; %bb.3146:                             ;   in Loop: Header=BB372_2086 Depth=1
	v_and_b32_e32 v2, 7, v80
	s_delay_alu instid0(VALU_DEP_1) | instskip(NEXT) | instid1(VALU_DEP_1)
	v_clz_i32_u32_e32 v2, v2
	v_min_u32_e32 v2, 32, v2
	s_delay_alu instid0(VALU_DEP_1) | instskip(SKIP_1) | instid1(VALU_DEP_2)
	v_subrev_nc_u32_e32 v4, 28, v2
	v_sub_nc_u32_e32 v2, 29, v2
	v_lshlrev_b64_e32 v[82:83], v4, v[80:81]
; %bb.3147:                             ;   in Loop: Header=BB372_2086 Depth=1
	s_or_b32 exec_lo, exec_lo, s19
	s_delay_alu instid0(VALU_DEP_1) | instskip(NEXT) | instid1(VALU_DEP_3)
	v_dual_lshlrev_b32 v4, 20, v82 :: v_dual_lshlrev_b32 v5, 24, v80
	v_lshl_add_u32 v2, v2, 23, 0x3c000000
	s_delay_alu instid0(VALU_DEP_2) | instskip(NEXT) | instid1(VALU_DEP_3)
	v_and_b32_e32 v4, 0x700000, v4
	v_and_b32_e32 v5, 0x80000000, v5
	s_delay_alu instid0(VALU_DEP_1)
	v_or3_b32 v2, v4, v5, v2
.LBB372_3148:                           ;   in Loop: Header=BB372_2086 Depth=1
	s_or_b32 exec_lo, exec_lo, s18
.LBB372_3149:                           ;   in Loop: Header=BB372_2086 Depth=1
	s_delay_alu instid0(SALU_CYCLE_1)
	s_or_b32 exec_lo, exec_lo, s17
.LBB372_3150:                           ;   in Loop: Header=BB372_2086 Depth=1
	s_delay_alu instid0(SALU_CYCLE_1) | instskip(SKIP_2) | instid1(VALU_DEP_1)
	s_or_b32 exec_lo, exec_lo, s16
	v_lshrrev_b16 v4, 8, v80
	s_mov_b32 s16, exec_lo
	v_cmpx_ne_u16_e32 0, v4
	s_cbranch_execz .LBB372_3158
; %bb.3151:                             ;   in Loop: Header=BB372_2086 Depth=1
	v_bfrev_b32_e32 v3, 1
	s_mov_b32 s17, exec_lo
	v_cmpx_ne_u16_e32 0x80, v4
	s_cbranch_execz .LBB372_3157
; %bb.3152:                             ;   in Loop: Header=BB372_2086 Depth=1
	v_and_b32_e32 v5, 0xffff, v4
	v_mov_b32_e32 v3, 0x7f800001
	s_mov_b32 s18, exec_lo
	s_delay_alu instid0(VALU_DEP_2) | instskip(NEXT) | instid1(VALU_DEP_1)
	v_and_b32_e32 v4, 0x7f, v5
	v_cmpx_ne_u32_e32 0x7f, v4
	s_cbranch_execz .LBB372_3156
; %bb.3153:                             ;   in Loop: Header=BB372_2086 Depth=1
	v_dual_lshrrev_b32 v3, 3, v4 :: v_dual_bitop2_b32 v22, 7, v5 bitop3:0x40
	s_mov_b32 s19, exec_lo
	s_delay_alu instid0(VALU_DEP_1)
	v_mov_b64_e32 v[82:83], v[22:23]
	v_cmpx_gt_u32_e32 8, v4
; %bb.3154:                             ;   in Loop: Header=BB372_2086 Depth=1
	v_clz_i32_u32_e32 v3, v22
	s_delay_alu instid0(VALU_DEP_1) | instskip(NEXT) | instid1(VALU_DEP_1)
	v_min_u32_e32 v3, 32, v3
	v_subrev_nc_u32_e32 v4, 28, v3
	s_delay_alu instid0(VALU_DEP_1) | instskip(NEXT) | instid1(VALU_DEP_1)
	v_lshlrev_b64_e32 v[4:5], v4, v[22:23]
	v_dual_sub_nc_u32 v3, 29, v3 :: v_dual_bitop2_b32 v82, 7, v4 bitop3:0x40
; %bb.3155:                             ;   in Loop: Header=BB372_2086 Depth=1
	s_or_b32 exec_lo, exec_lo, s19
	s_delay_alu instid0(VALU_DEP_1) | instskip(NEXT) | instid1(VALU_DEP_2)
	v_dual_lshlrev_b32 v4, 16, v80 :: v_dual_lshlrev_b32 v5, 20, v82
	v_lshl_add_u32 v3, v3, 23, 0x3c000000
	s_delay_alu instid0(VALU_DEP_2) | instskip(NEXT) | instid1(VALU_DEP_1)
	v_and_b32_e32 v4, 0x80000000, v4
	v_or3_b32 v3, v5, v4, v3
.LBB372_3156:                           ;   in Loop: Header=BB372_2086 Depth=1
	s_or_b32 exec_lo, exec_lo, s18
.LBB372_3157:                           ;   in Loop: Header=BB372_2086 Depth=1
	s_delay_alu instid0(SALU_CYCLE_1)
	s_or_b32 exec_lo, exec_lo, s17
.LBB372_3158:                           ;   in Loop: Header=BB372_2086 Depth=1
	s_delay_alu instid0(SALU_CYCLE_1) | instskip(SKIP_3) | instid1(VALU_DEP_2)
	s_or_b32 exec_lo, exec_lo, s16
	v_dual_mov_b32 v5, 0 :: v_dual_lshrrev_b32 v6, 16, v80
	v_mov_b32_e32 v4, 0
	s_mov_b32 s16, exec_lo
	v_and_b32_e32 v7, 0xff, v6
	s_delay_alu instid0(VALU_DEP_1)
	v_cmpx_ne_u16_e32 0, v7
	s_cbranch_execz .LBB372_3166
; %bb.3159:                             ;   in Loop: Header=BB372_2086 Depth=1
	v_bfrev_b32_e32 v4, 1
	s_mov_b32 s17, exec_lo
	v_cmpx_ne_u16_e32 0x80, v7
	s_cbranch_execz .LBB372_3165
; %bb.3160:                             ;   in Loop: Header=BB372_2086 Depth=1
	v_bfe_u32 v7, v80, 16, 7
	v_mov_b32_e32 v4, 0x7f800001
	s_mov_b32 s18, exec_lo
	s_delay_alu instid0(VALU_DEP_2)
	v_cmpx_ne_u32_e32 0x7f, v7
	s_cbranch_execz .LBB372_3164
; %bb.3161:                             ;   in Loop: Header=BB372_2086 Depth=1
	v_dual_lshrrev_b32 v4, 3, v7 :: v_dual_bitop2_b32 v22, 7, v6 bitop3:0x40
	s_mov_b32 s19, exec_lo
	s_delay_alu instid0(VALU_DEP_1)
	v_mov_b64_e32 v[82:83], v[22:23]
	v_cmpx_gt_u32_e32 8, v7
; %bb.3162:                             ;   in Loop: Header=BB372_2086 Depth=1
	v_clz_i32_u32_e32 v4, v22
	s_delay_alu instid0(VALU_DEP_1) | instskip(NEXT) | instid1(VALU_DEP_1)
	v_min_u32_e32 v4, 32, v4
	v_subrev_nc_u32_e32 v7, 28, v4
	v_sub_nc_u32_e32 v4, 29, v4
	s_delay_alu instid0(VALU_DEP_2) | instskip(NEXT) | instid1(VALU_DEP_1)
	v_lshlrev_b64_e32 v[8:9], v7, v[22:23]
	v_and_b32_e32 v82, 7, v8
; %bb.3163:                             ;   in Loop: Header=BB372_2086 Depth=1
	s_or_b32 exec_lo, exec_lo, s19
	v_lshlrev_b32_e32 v6, 24, v6
	s_delay_alu instid0(VALU_DEP_2) | instskip(SKIP_1) | instid1(VALU_DEP_3)
	v_lshlrev_b32_e32 v7, 20, v82
	v_lshl_add_u32 v4, v4, 23, 0x3c000000
	v_and_b32_e32 v6, 0x80000000, v6
	s_delay_alu instid0(VALU_DEP_1)
	v_or3_b32 v4, v7, v6, v4
.LBB372_3164:                           ;   in Loop: Header=BB372_2086 Depth=1
	s_or_b32 exec_lo, exec_lo, s18
.LBB372_3165:                           ;   in Loop: Header=BB372_2086 Depth=1
	s_delay_alu instid0(SALU_CYCLE_1)
	s_or_b32 exec_lo, exec_lo, s17
.LBB372_3166:                           ;   in Loop: Header=BB372_2086 Depth=1
	s_delay_alu instid0(SALU_CYCLE_1) | instskip(NEXT) | instid1(SALU_CYCLE_1)
	s_or_b32 exec_lo, exec_lo, s16
	s_mov_b32 s16, exec_lo
	v_cmpx_lt_u32_e32 0xffffff, v80
	s_cbranch_execz .LBB372_3174
; %bb.3167:                             ;   in Loop: Header=BB372_2086 Depth=1
	v_lshrrev_b32_e32 v6, 24, v80
	v_bfrev_b32_e32 v5, 1
	s_mov_b32 s17, exec_lo
	s_delay_alu instid0(VALU_DEP_2)
	v_cmpx_ne_u32_e32 0x80, v6
	s_cbranch_execz .LBB372_3173
; %bb.3168:                             ;   in Loop: Header=BB372_2086 Depth=1
	v_bfe_u32 v7, v80, 24, 7
	v_mov_b32_e32 v5, 0x7f800001
	s_mov_b32 s18, exec_lo
	s_delay_alu instid0(VALU_DEP_2)
	v_cmpx_ne_u32_e32 0x7f, v7
	s_cbranch_execz .LBB372_3172
; %bb.3169:                             ;   in Loop: Header=BB372_2086 Depth=1
	v_dual_lshrrev_b32 v5, 3, v7 :: v_dual_bitop2_b32 v22, 7, v6 bitop3:0x40
	s_mov_b32 s19, exec_lo
	s_delay_alu instid0(VALU_DEP_1)
	v_mov_b64_e32 v[82:83], v[22:23]
	v_cmpx_gt_u32_e32 8, v7
; %bb.3170:                             ;   in Loop: Header=BB372_2086 Depth=1
	v_clz_i32_u32_e32 v5, v22
	s_delay_alu instid0(VALU_DEP_1) | instskip(NEXT) | instid1(VALU_DEP_1)
	v_min_u32_e32 v5, 32, v5
	v_subrev_nc_u32_e32 v7, 28, v5
	s_delay_alu instid0(VALU_DEP_1) | instskip(NEXT) | instid1(VALU_DEP_1)
	v_lshlrev_b64_e32 v[8:9], v7, v[22:23]
	v_dual_sub_nc_u32 v5, 29, v5 :: v_dual_bitop2_b32 v82, 7, v8 bitop3:0x40
; %bb.3171:                             ;   in Loop: Header=BB372_2086 Depth=1
	s_or_b32 exec_lo, exec_lo, s19
	v_lshlrev_b32_e32 v6, 24, v6
	s_delay_alu instid0(VALU_DEP_2) | instskip(NEXT) | instid1(VALU_DEP_3)
	v_lshlrev_b32_e32 v7, 20, v82
	v_lshl_add_u32 v5, v5, 23, 0x3c000000
	s_delay_alu instid0(VALU_DEP_3) | instskip(NEXT) | instid1(VALU_DEP_1)
	v_and_b32_e32 v6, 0x80000000, v6
	v_or3_b32 v5, v7, v6, v5
.LBB372_3172:                           ;   in Loop: Header=BB372_2086 Depth=1
	s_or_b32 exec_lo, exec_lo, s18
.LBB372_3173:                           ;   in Loop: Header=BB372_2086 Depth=1
	s_delay_alu instid0(SALU_CYCLE_1)
	s_or_b32 exec_lo, exec_lo, s17
.LBB372_3174:                           ;   in Loop: Header=BB372_2086 Depth=1
	s_delay_alu instid0(SALU_CYCLE_1) | instskip(SKIP_4) | instid1(VALU_DEP_3)
	s_or_b32 exec_lo, exec_lo, s16
	v_and_b32_e32 v8, 0xff, v81
	v_dual_mov_b32 v22, v81 :: v_dual_mov_b32 v7, 0
	v_mov_b32_e32 v6, 0
	s_mov_b32 s16, exec_lo
	v_cmpx_ne_u16_e32 0, v8
	s_cbranch_execz .LBB372_3182
; %bb.3175:                             ;   in Loop: Header=BB372_2086 Depth=1
	v_bfrev_b32_e32 v6, 1
	s_mov_b32 s17, exec_lo
	v_cmpx_ne_u16_e32 0x80, v8
	s_cbranch_execz .LBB372_3181
; %bb.3176:                             ;   in Loop: Header=BB372_2086 Depth=1
	v_and_b32_e32 v8, 0x7f, v81
	v_mov_b32_e32 v6, 0x7f800001
	s_mov_b32 s18, exec_lo
	s_delay_alu instid0(VALU_DEP_2)
	v_cmpx_ne_u32_e32 0x7f, v8
	s_cbranch_execz .LBB372_3180
; %bb.3177:                             ;   in Loop: Header=BB372_2086 Depth=1
	v_mov_b64_e32 v[82:83], v[22:23]
	v_lshrrev_b32_e32 v6, 3, v8
	s_mov_b32 s19, exec_lo
	v_cmpx_gt_u32_e32 8, v8
; %bb.3178:                             ;   in Loop: Header=BB372_2086 Depth=1
	v_and_b32_e32 v6, 7, v81
	s_delay_alu instid0(VALU_DEP_1) | instskip(NEXT) | instid1(VALU_DEP_1)
	v_clz_i32_u32_e32 v6, v6
	v_min_u32_e32 v6, 32, v6
	s_delay_alu instid0(VALU_DEP_1) | instskip(SKIP_1) | instid1(VALU_DEP_2)
	v_subrev_nc_u32_e32 v8, 28, v6
	v_sub_nc_u32_e32 v6, 29, v6
	v_lshlrev_b64_e32 v[82:83], v8, v[22:23]
; %bb.3179:                             ;   in Loop: Header=BB372_2086 Depth=1
	s_or_b32 exec_lo, exec_lo, s19
	s_delay_alu instid0(VALU_DEP_1) | instskip(SKIP_2) | instid1(VALU_DEP_3)
	v_lshlrev_b32_e32 v8, 20, v82
	v_lshlrev_b32_e32 v9, 24, v22
	v_lshl_add_u32 v6, v6, 23, 0x3c000000
	v_and_b32_e32 v8, 0x700000, v8
	s_delay_alu instid0(VALU_DEP_3) | instskip(NEXT) | instid1(VALU_DEP_1)
	v_and_b32_e32 v9, 0x80000000, v9
	v_or3_b32 v6, v8, v9, v6
.LBB372_3180:                           ;   in Loop: Header=BB372_2086 Depth=1
	s_or_b32 exec_lo, exec_lo, s18
.LBB372_3181:                           ;   in Loop: Header=BB372_2086 Depth=1
	s_delay_alu instid0(SALU_CYCLE_1)
	s_or_b32 exec_lo, exec_lo, s17
.LBB372_3182:                           ;   in Loop: Header=BB372_2086 Depth=1
	s_delay_alu instid0(SALU_CYCLE_1) | instskip(SKIP_2) | instid1(VALU_DEP_1)
	s_or_b32 exec_lo, exec_lo, s16
	v_lshrrev_b16 v8, 8, v22
	s_mov_b32 s16, exec_lo
	v_cmpx_ne_u16_e32 0, v8
	s_cbranch_execz .LBB372_3190
; %bb.3183:                             ;   in Loop: Header=BB372_2086 Depth=1
	v_bfrev_b32_e32 v7, 1
	s_mov_b32 s17, exec_lo
	v_cmpx_ne_u16_e32 0x80, v8
	s_cbranch_execz .LBB372_3189
; %bb.3184:                             ;   in Loop: Header=BB372_2086 Depth=1
	v_and_b32_e32 v9, 0xffff, v8
	v_mov_b32_e32 v7, 0x7f800001
	s_mov_b32 s18, exec_lo
	s_delay_alu instid0(VALU_DEP_2) | instskip(NEXT) | instid1(VALU_DEP_1)
	v_and_b32_e32 v8, 0x7f, v9
	v_cmpx_ne_u32_e32 0x7f, v8
	s_cbranch_execz .LBB372_3188
; %bb.3185:                             ;   in Loop: Header=BB372_2086 Depth=1
	v_dual_mov_b32 v83, v23 :: v_dual_bitop2_b32 v82, 7, v9 bitop3:0x40
	v_lshrrev_b32_e32 v7, 3, v8
	s_mov_b32 s19, exec_lo
	v_cmpx_gt_u32_e32 8, v8
; %bb.3186:                             ;   in Loop: Header=BB372_2086 Depth=1
	s_delay_alu instid0(VALU_DEP_3) | instskip(NEXT) | instid1(VALU_DEP_1)
	v_clz_i32_u32_e32 v7, v82
	v_min_u32_e32 v7, 32, v7
	s_delay_alu instid0(VALU_DEP_1) | instskip(NEXT) | instid1(VALU_DEP_1)
	v_subrev_nc_u32_e32 v8, 28, v7
	v_lshlrev_b64_e32 v[8:9], v8, v[82:83]
	s_delay_alu instid0(VALU_DEP_1)
	v_dual_sub_nc_u32 v7, 29, v7 :: v_dual_bitop2_b32 v82, 7, v8 bitop3:0x40
; %bb.3187:                             ;   in Loop: Header=BB372_2086 Depth=1
	s_or_b32 exec_lo, exec_lo, s19
	v_lshlrev_b32_e32 v8, 16, v22
	s_delay_alu instid0(VALU_DEP_2) | instskip(NEXT) | instid1(VALU_DEP_3)
	v_lshlrev_b32_e32 v9, 20, v82
	v_lshl_add_u32 v7, v7, 23, 0x3c000000
	s_delay_alu instid0(VALU_DEP_3) | instskip(NEXT) | instid1(VALU_DEP_1)
	v_and_b32_e32 v8, 0x80000000, v8
	v_or3_b32 v7, v9, v8, v7
.LBB372_3188:                           ;   in Loop: Header=BB372_2086 Depth=1
	s_or_b32 exec_lo, exec_lo, s18
.LBB372_3189:                           ;   in Loop: Header=BB372_2086 Depth=1
	s_delay_alu instid0(SALU_CYCLE_1)
	s_or_b32 exec_lo, exec_lo, s17
.LBB372_3190:                           ;   in Loop: Header=BB372_2086 Depth=1
	s_delay_alu instid0(SALU_CYCLE_1) | instskip(SKIP_3) | instid1(VALU_DEP_2)
	s_or_b32 exec_lo, exec_lo, s16
	v_dual_lshrrev_b32 v10, 16, v81 :: v_dual_mov_b32 v8, 0
	v_mov_b32_e32 v9, 0
	s_mov_b32 s16, exec_lo
	v_and_b32_e32 v11, 0xff, v10
	s_delay_alu instid0(VALU_DEP_1)
	v_cmpx_ne_u16_e32 0, v11
	s_cbranch_execz .LBB372_3198
; %bb.3191:                             ;   in Loop: Header=BB372_2086 Depth=1
	v_bfrev_b32_e32 v9, 1
	s_mov_b32 s17, exec_lo
	v_cmpx_ne_u16_e32 0x80, v11
	s_cbranch_execz .LBB372_3197
; %bb.3192:                             ;   in Loop: Header=BB372_2086 Depth=1
	v_bfe_u32 v11, v81, 16, 7
	v_mov_b32_e32 v9, 0x7f800001
	s_mov_b32 s18, exec_lo
	s_delay_alu instid0(VALU_DEP_2)
	v_cmpx_ne_u32_e32 0x7f, v11
	s_cbranch_execz .LBB372_3196
; %bb.3193:                             ;   in Loop: Header=BB372_2086 Depth=1
	v_dual_lshrrev_b32 v9, 3, v11 :: v_dual_bitop2_b32 v22, 7, v10 bitop3:0x40
	s_mov_b32 s19, exec_lo
	s_delay_alu instid0(VALU_DEP_1)
	v_mov_b64_e32 v[82:83], v[22:23]
	v_cmpx_gt_u32_e32 8, v11
; %bb.3194:                             ;   in Loop: Header=BB372_2086 Depth=1
	v_clz_i32_u32_e32 v9, v22
	s_delay_alu instid0(VALU_DEP_1) | instskip(NEXT) | instid1(VALU_DEP_1)
	v_min_u32_e32 v9, 32, v9
	v_subrev_nc_u32_e32 v11, 28, v9
	s_delay_alu instid0(VALU_DEP_1) | instskip(NEXT) | instid1(VALU_DEP_1)
	v_lshlrev_b64_e32 v[64:65], v11, v[22:23]
	v_dual_sub_nc_u32 v9, 29, v9 :: v_dual_bitop2_b32 v82, 7, v64 bitop3:0x40
; %bb.3195:                             ;   in Loop: Header=BB372_2086 Depth=1
	s_or_b32 exec_lo, exec_lo, s19
	v_lshlrev_b32_e32 v10, 24, v10
	s_delay_alu instid0(VALU_DEP_2) | instskip(NEXT) | instid1(VALU_DEP_3)
	v_lshlrev_b32_e32 v11, 20, v82
	v_lshl_add_u32 v9, v9, 23, 0x3c000000
	s_delay_alu instid0(VALU_DEP_3) | instskip(NEXT) | instid1(VALU_DEP_1)
	v_and_b32_e32 v10, 0x80000000, v10
	v_or3_b32 v9, v11, v10, v9
.LBB372_3196:                           ;   in Loop: Header=BB372_2086 Depth=1
	s_or_b32 exec_lo, exec_lo, s18
.LBB372_3197:                           ;   in Loop: Header=BB372_2086 Depth=1
	s_delay_alu instid0(SALU_CYCLE_1)
	s_or_b32 exec_lo, exec_lo, s17
.LBB372_3198:                           ;   in Loop: Header=BB372_2086 Depth=1
	s_delay_alu instid0(SALU_CYCLE_1) | instskip(NEXT) | instid1(SALU_CYCLE_1)
	s_or_b32 exec_lo, exec_lo, s16
	s_mov_b32 s16, exec_lo
	v_cmpx_lt_u64_e64 s[2:3], v[80:81]
	s_cbranch_execz .LBB372_3206
; %bb.3199:                             ;   in Loop: Header=BB372_2086 Depth=1
	v_lshrrev_b32_e32 v10, 24, v81
	v_bfrev_b32_e32 v8, 1
	s_mov_b32 s17, exec_lo
	s_delay_alu instid0(VALU_DEP_2)
	v_cmpx_ne_u32_e32 0x80, v10
	s_cbranch_execz .LBB372_3205
; %bb.3200:                             ;   in Loop: Header=BB372_2086 Depth=1
	v_bfe_u32 v11, v81, 24, 7
	v_mov_b32_e32 v8, 0x7f800001
	s_mov_b32 s18, exec_lo
	s_delay_alu instid0(VALU_DEP_2)
	v_cmpx_ne_u32_e32 0x7f, v11
	s_cbranch_execz .LBB372_3204
; %bb.3201:                             ;   in Loop: Header=BB372_2086 Depth=1
	v_dual_lshrrev_b32 v8, 3, v11 :: v_dual_bitop2_b32 v22, 7, v10 bitop3:0x40
	s_mov_b32 s19, exec_lo
	s_delay_alu instid0(VALU_DEP_1)
	v_mov_b64_e32 v[80:81], v[22:23]
	v_cmpx_gt_u32_e32 8, v11
; %bb.3202:                             ;   in Loop: Header=BB372_2086 Depth=1
	v_clz_i32_u32_e32 v8, v22
	s_delay_alu instid0(VALU_DEP_1) | instskip(NEXT) | instid1(VALU_DEP_1)
	v_min_u32_e32 v8, 32, v8
	v_subrev_nc_u32_e32 v11, 28, v8
	v_sub_nc_u32_e32 v8, 29, v8
	s_delay_alu instid0(VALU_DEP_2) | instskip(NEXT) | instid1(VALU_DEP_1)
	v_lshlrev_b64_e32 v[64:65], v11, v[22:23]
	v_and_b32_e32 v80, 7, v64
; %bb.3203:                             ;   in Loop: Header=BB372_2086 Depth=1
	s_or_b32 exec_lo, exec_lo, s19
	s_delay_alu instid0(VALU_DEP_1) | instskip(SKIP_1) | instid1(VALU_DEP_2)
	v_dual_lshlrev_b32 v10, 24, v10 :: v_dual_lshlrev_b32 v11, 20, v80
	v_lshl_add_u32 v8, v8, 23, 0x3c000000
	v_and_b32_e32 v10, 0x80000000, v10
	s_delay_alu instid0(VALU_DEP_1)
	v_or3_b32 v8, v11, v10, v8
.LBB372_3204:                           ;   in Loop: Header=BB372_2086 Depth=1
	s_or_b32 exec_lo, exec_lo, s18
.LBB372_3205:                           ;   in Loop: Header=BB372_2086 Depth=1
	s_delay_alu instid0(SALU_CYCLE_1)
	s_or_b32 exec_lo, exec_lo, s17
.LBB372_3206:                           ;   in Loop: Header=BB372_2086 Depth=1
	s_delay_alu instid0(SALU_CYCLE_1)
	s_or_b32 exec_lo, exec_lo, s16
	v_fma_mixlo_bf16 v2, v86, v2, 0
	v_fma_mixlo_bf16 v7, v86, v7, 0
	v_fma_mixlo_bf16 v6, v86, v6, 0
	v_fma_mixlo_bf16 v5, v86, v5, 0
	v_fma_mixlo_bf16 v4, v86, v4, 0
	scratch_store_b32 off, v2, s32 offset:1140 ; 4-byte Folded Spill
	s_wait_xcnt 0x0
	v_fma_mixlo_bf16 v2, v86, v9, 0
	s_clause 0x1
	scratch_store_b32 off, v7, s32 offset:1084
	scratch_store_b32 off, v6, s32 offset:1092
	v_fma_mixlo_bf16 v3, v86, v3, 0
	s_clause 0x1
	scratch_store_b32 off, v5, s32 offset:1116
	scratch_store_b32 off, v2, s32 offset:1100
	s_wait_xcnt 0x0
	v_fma_mixlo_bf16 v2, v86, v8, 0
	s_clause 0x2
	scratch_store_b32 off, v4, s32 offset:1124
	scratch_store_b32 off, v3, s32 offset:1132
	;; [unrolled: 1-line block ×3, first 2 shown]
	s_wait_xcnt 0x0
	s_and_saveexec_b32 s16, vcc_lo
	s_cbranch_execz .LBB372_3208
; %bb.3207:                             ;   in Loop: Header=BB372_2086 Depth=1
	s_clause 0x1
	scratch_load_b32 v2, off, s32 offset:192
	scratch_load_b32 v3, off, s32 offset:1140
	s_wait_loadcnt 0x1
	v_cmp_lt_i32_e64 s0, v63, v2
	s_wait_loadcnt 0x0
	s_delay_alu instid0(VALU_DEP_1)
	v_cndmask_b32_e64 v3, 0, v3, s0
	v_cmp_lt_i32_e64 s0, v95, v2
	s_clause 0x1
	scratch_store_b32 off, v3, s32 offset:1140
	scratch_load_b32 v3, off, s32 offset:1132
	s_wait_loadcnt 0x0
	v_cndmask_b32_e64 v3, 0, v3, s0
	v_cmp_lt_i32_e64 s0, v94, v2
	s_clause 0x1
	scratch_store_b32 off, v3, s32 offset:1132
	scratch_load_b32 v3, off, s32 offset:1124
	s_wait_loadcnt 0x0
	;; [unrolled: 6-line block ×6, first 2 shown]
	v_cndmask_b32_e64 v3, 0, v3, s0
	v_cmp_lt_i32_e64 s0, v89, v2
	scratch_load_b32 v2, off, s32 offset:1108 ; 4-byte Folded Reload
	s_wait_loadcnt 0x0
	v_cndmask_b32_e64 v2, 0, v2, s0
	s_clause 0x1
	scratch_store_b32 off, v3, s32 offset:1100
	scratch_store_b32 off, v2, s32 offset:1108
.LBB372_3208:                           ;   in Loop: Header=BB372_2086 Depth=1
	s_wait_xcnt 0x0
	s_or_b32 exec_lo, exec_lo, s16
	flat_load_b64 v[80:81], v[18:19] offset:4352
	v_dual_mov_b32 v3, 0 :: v_dual_mov_b32 v2, 0
	s_mov_b32 s16, exec_lo
	s_wait_loadcnt_dscnt 0x0
	v_and_b32_e32 v4, 0xff, v80
	s_wait_xcnt 0x0
	s_delay_alu instid0(VALU_DEP_1)
	v_cmpx_ne_u16_e32 0, v4
	s_cbranch_execz .LBB372_3216
; %bb.3209:                             ;   in Loop: Header=BB372_2086 Depth=1
	v_bfrev_b32_e32 v2, 1
	s_mov_b32 s17, exec_lo
	v_cmpx_ne_u16_e32 0x80, v4
	s_cbranch_execz .LBB372_3215
; %bb.3210:                             ;   in Loop: Header=BB372_2086 Depth=1
	v_and_b32_e32 v4, 0x7f, v80
	v_mov_b32_e32 v2, 0x7f800001
	s_mov_b32 s18, exec_lo
	s_delay_alu instid0(VALU_DEP_2)
	v_cmpx_ne_u32_e32 0x7f, v4
	s_cbranch_execz .LBB372_3214
; %bb.3211:                             ;   in Loop: Header=BB372_2086 Depth=1
	v_mov_b64_e32 v[82:83], v[80:81]
	v_lshrrev_b32_e32 v2, 3, v4
	s_mov_b32 s19, exec_lo
	v_cmpx_gt_u32_e32 8, v4
; %bb.3212:                             ;   in Loop: Header=BB372_2086 Depth=1
	v_and_b32_e32 v2, 7, v80
	s_delay_alu instid0(VALU_DEP_1) | instskip(NEXT) | instid1(VALU_DEP_1)
	v_clz_i32_u32_e32 v2, v2
	v_min_u32_e32 v2, 32, v2
	s_delay_alu instid0(VALU_DEP_1) | instskip(SKIP_1) | instid1(VALU_DEP_2)
	v_subrev_nc_u32_e32 v4, 28, v2
	v_sub_nc_u32_e32 v2, 29, v2
	v_lshlrev_b64_e32 v[82:83], v4, v[80:81]
; %bb.3213:                             ;   in Loop: Header=BB372_2086 Depth=1
	s_or_b32 exec_lo, exec_lo, s19
	s_delay_alu instid0(VALU_DEP_1) | instskip(NEXT) | instid1(VALU_DEP_3)
	v_dual_lshlrev_b32 v4, 20, v82 :: v_dual_lshlrev_b32 v5, 24, v80
	v_lshl_add_u32 v2, v2, 23, 0x3c000000
	s_delay_alu instid0(VALU_DEP_2) | instskip(NEXT) | instid1(VALU_DEP_3)
	v_and_b32_e32 v4, 0x700000, v4
	v_and_b32_e32 v5, 0x80000000, v5
	s_delay_alu instid0(VALU_DEP_1)
	v_or3_b32 v2, v4, v5, v2
.LBB372_3214:                           ;   in Loop: Header=BB372_2086 Depth=1
	s_or_b32 exec_lo, exec_lo, s18
.LBB372_3215:                           ;   in Loop: Header=BB372_2086 Depth=1
	s_delay_alu instid0(SALU_CYCLE_1)
	s_or_b32 exec_lo, exec_lo, s17
.LBB372_3216:                           ;   in Loop: Header=BB372_2086 Depth=1
	s_delay_alu instid0(SALU_CYCLE_1) | instskip(SKIP_2) | instid1(VALU_DEP_1)
	s_or_b32 exec_lo, exec_lo, s16
	v_lshrrev_b16 v4, 8, v80
	s_mov_b32 s16, exec_lo
	v_cmpx_ne_u16_e32 0, v4
	s_cbranch_execz .LBB372_3224
; %bb.3217:                             ;   in Loop: Header=BB372_2086 Depth=1
	v_bfrev_b32_e32 v3, 1
	s_mov_b32 s17, exec_lo
	v_cmpx_ne_u16_e32 0x80, v4
	s_cbranch_execz .LBB372_3223
; %bb.3218:                             ;   in Loop: Header=BB372_2086 Depth=1
	v_and_b32_e32 v5, 0xffff, v4
	v_mov_b32_e32 v3, 0x7f800001
	s_mov_b32 s18, exec_lo
	s_delay_alu instid0(VALU_DEP_2) | instskip(NEXT) | instid1(VALU_DEP_1)
	v_and_b32_e32 v4, 0x7f, v5
	v_cmpx_ne_u32_e32 0x7f, v4
	s_cbranch_execz .LBB372_3222
; %bb.3219:                             ;   in Loop: Header=BB372_2086 Depth=1
	v_dual_lshrrev_b32 v3, 3, v4 :: v_dual_bitop2_b32 v22, 7, v5 bitop3:0x40
	s_mov_b32 s19, exec_lo
	s_delay_alu instid0(VALU_DEP_1)
	v_mov_b64_e32 v[82:83], v[22:23]
	v_cmpx_gt_u32_e32 8, v4
; %bb.3220:                             ;   in Loop: Header=BB372_2086 Depth=1
	v_clz_i32_u32_e32 v3, v22
	s_delay_alu instid0(VALU_DEP_1) | instskip(NEXT) | instid1(VALU_DEP_1)
	v_min_u32_e32 v3, 32, v3
	v_subrev_nc_u32_e32 v4, 28, v3
	s_delay_alu instid0(VALU_DEP_1) | instskip(NEXT) | instid1(VALU_DEP_1)
	v_lshlrev_b64_e32 v[4:5], v4, v[22:23]
	v_dual_sub_nc_u32 v3, 29, v3 :: v_dual_bitop2_b32 v82, 7, v4 bitop3:0x40
; %bb.3221:                             ;   in Loop: Header=BB372_2086 Depth=1
	s_or_b32 exec_lo, exec_lo, s19
	s_delay_alu instid0(VALU_DEP_1) | instskip(NEXT) | instid1(VALU_DEP_2)
	v_dual_lshlrev_b32 v4, 16, v80 :: v_dual_lshlrev_b32 v5, 20, v82
	v_lshl_add_u32 v3, v3, 23, 0x3c000000
	s_delay_alu instid0(VALU_DEP_2) | instskip(NEXT) | instid1(VALU_DEP_1)
	v_and_b32_e32 v4, 0x80000000, v4
	v_or3_b32 v3, v5, v4, v3
.LBB372_3222:                           ;   in Loop: Header=BB372_2086 Depth=1
	s_or_b32 exec_lo, exec_lo, s18
.LBB372_3223:                           ;   in Loop: Header=BB372_2086 Depth=1
	s_delay_alu instid0(SALU_CYCLE_1)
	s_or_b32 exec_lo, exec_lo, s17
.LBB372_3224:                           ;   in Loop: Header=BB372_2086 Depth=1
	s_delay_alu instid0(SALU_CYCLE_1) | instskip(SKIP_3) | instid1(VALU_DEP_2)
	s_or_b32 exec_lo, exec_lo, s16
	v_dual_mov_b32 v5, 0 :: v_dual_lshrrev_b32 v6, 16, v80
	v_mov_b32_e32 v4, 0
	s_mov_b32 s16, exec_lo
	v_and_b32_e32 v7, 0xff, v6
	s_delay_alu instid0(VALU_DEP_1)
	v_cmpx_ne_u16_e32 0, v7
	s_cbranch_execz .LBB372_3232
; %bb.3225:                             ;   in Loop: Header=BB372_2086 Depth=1
	v_bfrev_b32_e32 v4, 1
	s_mov_b32 s17, exec_lo
	v_cmpx_ne_u16_e32 0x80, v7
	s_cbranch_execz .LBB372_3231
; %bb.3226:                             ;   in Loop: Header=BB372_2086 Depth=1
	v_bfe_u32 v7, v80, 16, 7
	v_mov_b32_e32 v4, 0x7f800001
	s_mov_b32 s18, exec_lo
	s_delay_alu instid0(VALU_DEP_2)
	v_cmpx_ne_u32_e32 0x7f, v7
	s_cbranch_execz .LBB372_3230
; %bb.3227:                             ;   in Loop: Header=BB372_2086 Depth=1
	v_dual_lshrrev_b32 v4, 3, v7 :: v_dual_bitop2_b32 v22, 7, v6 bitop3:0x40
	s_mov_b32 s19, exec_lo
	s_delay_alu instid0(VALU_DEP_1)
	v_mov_b64_e32 v[82:83], v[22:23]
	v_cmpx_gt_u32_e32 8, v7
; %bb.3228:                             ;   in Loop: Header=BB372_2086 Depth=1
	v_clz_i32_u32_e32 v4, v22
	s_delay_alu instid0(VALU_DEP_1) | instskip(NEXT) | instid1(VALU_DEP_1)
	v_min_u32_e32 v4, 32, v4
	v_subrev_nc_u32_e32 v7, 28, v4
	v_sub_nc_u32_e32 v4, 29, v4
	s_delay_alu instid0(VALU_DEP_2) | instskip(NEXT) | instid1(VALU_DEP_1)
	v_lshlrev_b64_e32 v[8:9], v7, v[22:23]
	v_and_b32_e32 v82, 7, v8
; %bb.3229:                             ;   in Loop: Header=BB372_2086 Depth=1
	s_or_b32 exec_lo, exec_lo, s19
	v_lshlrev_b32_e32 v6, 24, v6
	s_delay_alu instid0(VALU_DEP_2) | instskip(SKIP_1) | instid1(VALU_DEP_3)
	v_lshlrev_b32_e32 v7, 20, v82
	v_lshl_add_u32 v4, v4, 23, 0x3c000000
	v_and_b32_e32 v6, 0x80000000, v6
	s_delay_alu instid0(VALU_DEP_1)
	v_or3_b32 v4, v7, v6, v4
.LBB372_3230:                           ;   in Loop: Header=BB372_2086 Depth=1
	s_or_b32 exec_lo, exec_lo, s18
.LBB372_3231:                           ;   in Loop: Header=BB372_2086 Depth=1
	s_delay_alu instid0(SALU_CYCLE_1)
	s_or_b32 exec_lo, exec_lo, s17
.LBB372_3232:                           ;   in Loop: Header=BB372_2086 Depth=1
	s_delay_alu instid0(SALU_CYCLE_1) | instskip(NEXT) | instid1(SALU_CYCLE_1)
	s_or_b32 exec_lo, exec_lo, s16
	s_mov_b32 s16, exec_lo
	v_cmpx_lt_u32_e32 0xffffff, v80
	s_cbranch_execz .LBB372_3240
; %bb.3233:                             ;   in Loop: Header=BB372_2086 Depth=1
	v_lshrrev_b32_e32 v6, 24, v80
	v_bfrev_b32_e32 v5, 1
	s_mov_b32 s17, exec_lo
	s_delay_alu instid0(VALU_DEP_2)
	v_cmpx_ne_u32_e32 0x80, v6
	s_cbranch_execz .LBB372_3239
; %bb.3234:                             ;   in Loop: Header=BB372_2086 Depth=1
	v_bfe_u32 v7, v80, 24, 7
	v_mov_b32_e32 v5, 0x7f800001
	s_mov_b32 s18, exec_lo
	s_delay_alu instid0(VALU_DEP_2)
	v_cmpx_ne_u32_e32 0x7f, v7
	s_cbranch_execz .LBB372_3238
; %bb.3235:                             ;   in Loop: Header=BB372_2086 Depth=1
	v_dual_lshrrev_b32 v5, 3, v7 :: v_dual_bitop2_b32 v22, 7, v6 bitop3:0x40
	s_mov_b32 s19, exec_lo
	s_delay_alu instid0(VALU_DEP_1)
	v_mov_b64_e32 v[82:83], v[22:23]
	v_cmpx_gt_u32_e32 8, v7
; %bb.3236:                             ;   in Loop: Header=BB372_2086 Depth=1
	v_clz_i32_u32_e32 v5, v22
	s_delay_alu instid0(VALU_DEP_1) | instskip(NEXT) | instid1(VALU_DEP_1)
	v_min_u32_e32 v5, 32, v5
	v_subrev_nc_u32_e32 v7, 28, v5
	s_delay_alu instid0(VALU_DEP_1) | instskip(NEXT) | instid1(VALU_DEP_1)
	v_lshlrev_b64_e32 v[8:9], v7, v[22:23]
	v_dual_sub_nc_u32 v5, 29, v5 :: v_dual_bitop2_b32 v82, 7, v8 bitop3:0x40
; %bb.3237:                             ;   in Loop: Header=BB372_2086 Depth=1
	s_or_b32 exec_lo, exec_lo, s19
	v_lshlrev_b32_e32 v6, 24, v6
	s_delay_alu instid0(VALU_DEP_2) | instskip(NEXT) | instid1(VALU_DEP_3)
	v_lshlrev_b32_e32 v7, 20, v82
	v_lshl_add_u32 v5, v5, 23, 0x3c000000
	s_delay_alu instid0(VALU_DEP_3) | instskip(NEXT) | instid1(VALU_DEP_1)
	v_and_b32_e32 v6, 0x80000000, v6
	v_or3_b32 v5, v7, v6, v5
.LBB372_3238:                           ;   in Loop: Header=BB372_2086 Depth=1
	s_or_b32 exec_lo, exec_lo, s18
.LBB372_3239:                           ;   in Loop: Header=BB372_2086 Depth=1
	s_delay_alu instid0(SALU_CYCLE_1)
	s_or_b32 exec_lo, exec_lo, s17
.LBB372_3240:                           ;   in Loop: Header=BB372_2086 Depth=1
	s_delay_alu instid0(SALU_CYCLE_1) | instskip(SKIP_4) | instid1(VALU_DEP_3)
	s_or_b32 exec_lo, exec_lo, s16
	v_and_b32_e32 v8, 0xff, v81
	v_dual_mov_b32 v22, v81 :: v_dual_mov_b32 v7, 0
	v_mov_b32_e32 v6, 0
	s_mov_b32 s16, exec_lo
	v_cmpx_ne_u16_e32 0, v8
	s_cbranch_execz .LBB372_3248
; %bb.3241:                             ;   in Loop: Header=BB372_2086 Depth=1
	v_bfrev_b32_e32 v6, 1
	s_mov_b32 s17, exec_lo
	v_cmpx_ne_u16_e32 0x80, v8
	s_cbranch_execz .LBB372_3247
; %bb.3242:                             ;   in Loop: Header=BB372_2086 Depth=1
	v_and_b32_e32 v8, 0x7f, v81
	v_mov_b32_e32 v6, 0x7f800001
	s_mov_b32 s18, exec_lo
	s_delay_alu instid0(VALU_DEP_2)
	v_cmpx_ne_u32_e32 0x7f, v8
	s_cbranch_execz .LBB372_3246
; %bb.3243:                             ;   in Loop: Header=BB372_2086 Depth=1
	v_mov_b64_e32 v[82:83], v[22:23]
	v_lshrrev_b32_e32 v6, 3, v8
	s_mov_b32 s19, exec_lo
	v_cmpx_gt_u32_e32 8, v8
; %bb.3244:                             ;   in Loop: Header=BB372_2086 Depth=1
	v_and_b32_e32 v6, 7, v81
	s_delay_alu instid0(VALU_DEP_1) | instskip(NEXT) | instid1(VALU_DEP_1)
	v_clz_i32_u32_e32 v6, v6
	v_min_u32_e32 v6, 32, v6
	s_delay_alu instid0(VALU_DEP_1) | instskip(SKIP_1) | instid1(VALU_DEP_2)
	v_subrev_nc_u32_e32 v8, 28, v6
	v_sub_nc_u32_e32 v6, 29, v6
	v_lshlrev_b64_e32 v[82:83], v8, v[22:23]
; %bb.3245:                             ;   in Loop: Header=BB372_2086 Depth=1
	s_or_b32 exec_lo, exec_lo, s19
	s_delay_alu instid0(VALU_DEP_1) | instskip(SKIP_2) | instid1(VALU_DEP_3)
	v_lshlrev_b32_e32 v8, 20, v82
	v_lshlrev_b32_e32 v9, 24, v22
	v_lshl_add_u32 v6, v6, 23, 0x3c000000
	v_and_b32_e32 v8, 0x700000, v8
	s_delay_alu instid0(VALU_DEP_3) | instskip(NEXT) | instid1(VALU_DEP_1)
	v_and_b32_e32 v9, 0x80000000, v9
	v_or3_b32 v6, v8, v9, v6
.LBB372_3246:                           ;   in Loop: Header=BB372_2086 Depth=1
	s_or_b32 exec_lo, exec_lo, s18
.LBB372_3247:                           ;   in Loop: Header=BB372_2086 Depth=1
	s_delay_alu instid0(SALU_CYCLE_1)
	s_or_b32 exec_lo, exec_lo, s17
.LBB372_3248:                           ;   in Loop: Header=BB372_2086 Depth=1
	s_delay_alu instid0(SALU_CYCLE_1) | instskip(SKIP_2) | instid1(VALU_DEP_1)
	s_or_b32 exec_lo, exec_lo, s16
	v_lshrrev_b16 v8, 8, v22
	s_mov_b32 s16, exec_lo
	v_cmpx_ne_u16_e32 0, v8
	s_cbranch_execz .LBB372_3256
; %bb.3249:                             ;   in Loop: Header=BB372_2086 Depth=1
	v_bfrev_b32_e32 v7, 1
	s_mov_b32 s17, exec_lo
	v_cmpx_ne_u16_e32 0x80, v8
	s_cbranch_execz .LBB372_3255
; %bb.3250:                             ;   in Loop: Header=BB372_2086 Depth=1
	v_and_b32_e32 v9, 0xffff, v8
	v_mov_b32_e32 v7, 0x7f800001
	s_mov_b32 s18, exec_lo
	s_delay_alu instid0(VALU_DEP_2) | instskip(NEXT) | instid1(VALU_DEP_1)
	v_and_b32_e32 v8, 0x7f, v9
	v_cmpx_ne_u32_e32 0x7f, v8
	s_cbranch_execz .LBB372_3254
; %bb.3251:                             ;   in Loop: Header=BB372_2086 Depth=1
	v_dual_mov_b32 v83, v23 :: v_dual_bitop2_b32 v82, 7, v9 bitop3:0x40
	v_lshrrev_b32_e32 v7, 3, v8
	s_mov_b32 s19, exec_lo
	v_cmpx_gt_u32_e32 8, v8
; %bb.3252:                             ;   in Loop: Header=BB372_2086 Depth=1
	s_delay_alu instid0(VALU_DEP_3) | instskip(NEXT) | instid1(VALU_DEP_1)
	v_clz_i32_u32_e32 v7, v82
	v_min_u32_e32 v7, 32, v7
	s_delay_alu instid0(VALU_DEP_1) | instskip(NEXT) | instid1(VALU_DEP_1)
	v_subrev_nc_u32_e32 v8, 28, v7
	v_lshlrev_b64_e32 v[8:9], v8, v[82:83]
	s_delay_alu instid0(VALU_DEP_1)
	v_dual_sub_nc_u32 v7, 29, v7 :: v_dual_bitop2_b32 v82, 7, v8 bitop3:0x40
; %bb.3253:                             ;   in Loop: Header=BB372_2086 Depth=1
	s_or_b32 exec_lo, exec_lo, s19
	v_lshlrev_b32_e32 v8, 16, v22
	s_delay_alu instid0(VALU_DEP_2) | instskip(NEXT) | instid1(VALU_DEP_3)
	v_lshlrev_b32_e32 v9, 20, v82
	v_lshl_add_u32 v7, v7, 23, 0x3c000000
	s_delay_alu instid0(VALU_DEP_3) | instskip(NEXT) | instid1(VALU_DEP_1)
	v_and_b32_e32 v8, 0x80000000, v8
	v_or3_b32 v7, v9, v8, v7
.LBB372_3254:                           ;   in Loop: Header=BB372_2086 Depth=1
	s_or_b32 exec_lo, exec_lo, s18
.LBB372_3255:                           ;   in Loop: Header=BB372_2086 Depth=1
	s_delay_alu instid0(SALU_CYCLE_1)
	s_or_b32 exec_lo, exec_lo, s17
.LBB372_3256:                           ;   in Loop: Header=BB372_2086 Depth=1
	s_delay_alu instid0(SALU_CYCLE_1) | instskip(SKIP_3) | instid1(VALU_DEP_2)
	s_or_b32 exec_lo, exec_lo, s16
	v_dual_lshrrev_b32 v10, 16, v81 :: v_dual_mov_b32 v8, 0
	v_mov_b32_e32 v9, 0
	s_mov_b32 s16, exec_lo
	v_and_b32_e32 v11, 0xff, v10
	s_delay_alu instid0(VALU_DEP_1)
	v_cmpx_ne_u16_e32 0, v11
	s_cbranch_execz .LBB372_3264
; %bb.3257:                             ;   in Loop: Header=BB372_2086 Depth=1
	v_bfrev_b32_e32 v9, 1
	s_mov_b32 s17, exec_lo
	v_cmpx_ne_u16_e32 0x80, v11
	s_cbranch_execz .LBB372_3263
; %bb.3258:                             ;   in Loop: Header=BB372_2086 Depth=1
	v_bfe_u32 v11, v81, 16, 7
	v_mov_b32_e32 v9, 0x7f800001
	s_mov_b32 s18, exec_lo
	s_delay_alu instid0(VALU_DEP_2)
	v_cmpx_ne_u32_e32 0x7f, v11
	s_cbranch_execz .LBB372_3262
; %bb.3259:                             ;   in Loop: Header=BB372_2086 Depth=1
	v_dual_lshrrev_b32 v9, 3, v11 :: v_dual_bitop2_b32 v22, 7, v10 bitop3:0x40
	s_mov_b32 s19, exec_lo
	s_delay_alu instid0(VALU_DEP_1)
	v_mov_b64_e32 v[82:83], v[22:23]
	v_cmpx_gt_u32_e32 8, v11
; %bb.3260:                             ;   in Loop: Header=BB372_2086 Depth=1
	v_clz_i32_u32_e32 v9, v22
	s_delay_alu instid0(VALU_DEP_1) | instskip(NEXT) | instid1(VALU_DEP_1)
	v_min_u32_e32 v9, 32, v9
	v_subrev_nc_u32_e32 v11, 28, v9
	s_delay_alu instid0(VALU_DEP_1) | instskip(NEXT) | instid1(VALU_DEP_1)
	v_lshlrev_b64_e32 v[64:65], v11, v[22:23]
	v_dual_sub_nc_u32 v9, 29, v9 :: v_dual_bitop2_b32 v82, 7, v64 bitop3:0x40
; %bb.3261:                             ;   in Loop: Header=BB372_2086 Depth=1
	s_or_b32 exec_lo, exec_lo, s19
	v_lshlrev_b32_e32 v10, 24, v10
	s_delay_alu instid0(VALU_DEP_2) | instskip(NEXT) | instid1(VALU_DEP_3)
	v_lshlrev_b32_e32 v11, 20, v82
	v_lshl_add_u32 v9, v9, 23, 0x3c000000
	s_delay_alu instid0(VALU_DEP_3) | instskip(NEXT) | instid1(VALU_DEP_1)
	v_and_b32_e32 v10, 0x80000000, v10
	v_or3_b32 v9, v11, v10, v9
.LBB372_3262:                           ;   in Loop: Header=BB372_2086 Depth=1
	s_or_b32 exec_lo, exec_lo, s18
.LBB372_3263:                           ;   in Loop: Header=BB372_2086 Depth=1
	s_delay_alu instid0(SALU_CYCLE_1)
	s_or_b32 exec_lo, exec_lo, s17
.LBB372_3264:                           ;   in Loop: Header=BB372_2086 Depth=1
	s_delay_alu instid0(SALU_CYCLE_1) | instskip(NEXT) | instid1(SALU_CYCLE_1)
	s_or_b32 exec_lo, exec_lo, s16
	s_mov_b32 s16, exec_lo
	v_cmpx_lt_u64_e64 s[2:3], v[80:81]
	s_cbranch_execz .LBB372_3272
; %bb.3265:                             ;   in Loop: Header=BB372_2086 Depth=1
	v_lshrrev_b32_e32 v10, 24, v81
	v_bfrev_b32_e32 v8, 1
	s_mov_b32 s17, exec_lo
	s_delay_alu instid0(VALU_DEP_2)
	v_cmpx_ne_u32_e32 0x80, v10
	s_cbranch_execz .LBB372_3271
; %bb.3266:                             ;   in Loop: Header=BB372_2086 Depth=1
	v_bfe_u32 v11, v81, 24, 7
	v_mov_b32_e32 v8, 0x7f800001
	s_mov_b32 s18, exec_lo
	s_delay_alu instid0(VALU_DEP_2)
	v_cmpx_ne_u32_e32 0x7f, v11
	s_cbranch_execz .LBB372_3270
; %bb.3267:                             ;   in Loop: Header=BB372_2086 Depth=1
	v_dual_lshrrev_b32 v8, 3, v11 :: v_dual_bitop2_b32 v22, 7, v10 bitop3:0x40
	s_mov_b32 s19, exec_lo
	s_delay_alu instid0(VALU_DEP_1)
	v_mov_b64_e32 v[80:81], v[22:23]
	v_cmpx_gt_u32_e32 8, v11
; %bb.3268:                             ;   in Loop: Header=BB372_2086 Depth=1
	v_clz_i32_u32_e32 v8, v22
	s_delay_alu instid0(VALU_DEP_1) | instskip(NEXT) | instid1(VALU_DEP_1)
	v_min_u32_e32 v8, 32, v8
	v_subrev_nc_u32_e32 v11, 28, v8
	v_sub_nc_u32_e32 v8, 29, v8
	s_delay_alu instid0(VALU_DEP_2) | instskip(NEXT) | instid1(VALU_DEP_1)
	v_lshlrev_b64_e32 v[64:65], v11, v[22:23]
	v_and_b32_e32 v80, 7, v64
; %bb.3269:                             ;   in Loop: Header=BB372_2086 Depth=1
	s_or_b32 exec_lo, exec_lo, s19
	s_delay_alu instid0(VALU_DEP_1) | instskip(SKIP_1) | instid1(VALU_DEP_2)
	v_dual_lshlrev_b32 v10, 24, v10 :: v_dual_lshlrev_b32 v11, 20, v80
	v_lshl_add_u32 v8, v8, 23, 0x3c000000
	v_and_b32_e32 v10, 0x80000000, v10
	s_delay_alu instid0(VALU_DEP_1)
	v_or3_b32 v8, v11, v10, v8
.LBB372_3270:                           ;   in Loop: Header=BB372_2086 Depth=1
	s_or_b32 exec_lo, exec_lo, s18
.LBB372_3271:                           ;   in Loop: Header=BB372_2086 Depth=1
	s_delay_alu instid0(SALU_CYCLE_1)
	s_or_b32 exec_lo, exec_lo, s17
.LBB372_3272:                           ;   in Loop: Header=BB372_2086 Depth=1
	s_delay_alu instid0(SALU_CYCLE_1)
	s_or_b32 exec_lo, exec_lo, s16
	v_fma_mixlo_bf16 v2, v86, v2, 0
	v_fma_mixlo_bf16 v7, v86, v7, 0
	v_fma_mixlo_bf16 v6, v86, v6, 0
	v_fma_mixlo_bf16 v5, v86, v5, 0
	v_fma_mixlo_bf16 v4, v86, v4, 0
	scratch_store_b32 off, v2, s32 offset:1200 ; 4-byte Folded Spill
	s_wait_xcnt 0x0
	v_fma_mixlo_bf16 v2, v86, v9, 0
	s_clause 0x4
	scratch_store_b32 off, v7, s32 offset:1148
	scratch_store_b32 off, v6, s32 offset:1156
	;; [unrolled: 1-line block ×5, first 2 shown]
	v_fma_mixlo_bf16 v3, v86, v3, 0
	s_wait_xcnt 0x0
	v_fma_mixlo_bf16 v2, v86, v8, 0
	s_clause 0x1
	scratch_store_b32 off, v3, s32 offset:1196
	scratch_store_b32 off, v2, s32 offset:1180
	s_wait_xcnt 0x0
	s_and_saveexec_b32 s16, vcc_lo
	s_cbranch_execz .LBB372_3274
; %bb.3273:                             ;   in Loop: Header=BB372_2086 Depth=1
	s_clause 0x1
	scratch_load_b32 v2, off, s32 offset:192
	scratch_load_b32 v3, off, s32 offset:1200
	s_wait_loadcnt 0x1
	v_cmp_lt_i32_e64 s0, v63, v2
	s_wait_loadcnt 0x0
	s_delay_alu instid0(VALU_DEP_1)
	v_cndmask_b32_e64 v3, 0, v3, s0
	v_cmp_lt_i32_e64 s0, v95, v2
	s_clause 0x1
	scratch_store_b32 off, v3, s32 offset:1200
	scratch_load_b32 v3, off, s32 offset:1196
	s_wait_loadcnt 0x0
	v_cndmask_b32_e64 v3, 0, v3, s0
	v_cmp_lt_i32_e64 s0, v94, v2
	s_clause 0x1
	scratch_store_b32 off, v3, s32 offset:1196
	scratch_load_b32 v3, off, s32 offset:1188
	s_wait_loadcnt 0x0
	;; [unrolled: 6-line block ×6, first 2 shown]
	v_cndmask_b32_e64 v3, 0, v3, s0
	v_cmp_lt_i32_e64 s0, v89, v2
	scratch_load_b32 v2, off, s32 offset:1180 ; 4-byte Folded Reload
	s_wait_loadcnt 0x0
	v_cndmask_b32_e64 v2, 0, v2, s0
	s_clause 0x1
	scratch_store_b32 off, v3, s32 offset:1164
	scratch_store_b32 off, v2, s32 offset:1180
.LBB372_3274:                           ;   in Loop: Header=BB372_2086 Depth=1
	s_wait_xcnt 0x0
	s_or_b32 exec_lo, exec_lo, s16
	flat_load_b64 v[80:81], v[18:19] offset:4608
	v_dual_mov_b32 v3, 0 :: v_dual_mov_b32 v2, 0
	s_mov_b32 s16, exec_lo
	s_wait_loadcnt_dscnt 0x0
	v_and_b32_e32 v4, 0xff, v80
	s_wait_xcnt 0x0
	s_delay_alu instid0(VALU_DEP_1)
	v_cmpx_ne_u16_e32 0, v4
	s_cbranch_execz .LBB372_3282
; %bb.3275:                             ;   in Loop: Header=BB372_2086 Depth=1
	v_bfrev_b32_e32 v2, 1
	s_mov_b32 s17, exec_lo
	v_cmpx_ne_u16_e32 0x80, v4
	s_cbranch_execz .LBB372_3281
; %bb.3276:                             ;   in Loop: Header=BB372_2086 Depth=1
	v_and_b32_e32 v4, 0x7f, v80
	v_mov_b32_e32 v2, 0x7f800001
	s_mov_b32 s18, exec_lo
	s_delay_alu instid0(VALU_DEP_2)
	v_cmpx_ne_u32_e32 0x7f, v4
	s_cbranch_execz .LBB372_3280
; %bb.3277:                             ;   in Loop: Header=BB372_2086 Depth=1
	v_mov_b64_e32 v[82:83], v[80:81]
	v_lshrrev_b32_e32 v2, 3, v4
	s_mov_b32 s19, exec_lo
	v_cmpx_gt_u32_e32 8, v4
; %bb.3278:                             ;   in Loop: Header=BB372_2086 Depth=1
	v_and_b32_e32 v2, 7, v80
	s_delay_alu instid0(VALU_DEP_1) | instskip(NEXT) | instid1(VALU_DEP_1)
	v_clz_i32_u32_e32 v2, v2
	v_min_u32_e32 v2, 32, v2
	s_delay_alu instid0(VALU_DEP_1) | instskip(SKIP_1) | instid1(VALU_DEP_2)
	v_subrev_nc_u32_e32 v4, 28, v2
	v_sub_nc_u32_e32 v2, 29, v2
	v_lshlrev_b64_e32 v[82:83], v4, v[80:81]
; %bb.3279:                             ;   in Loop: Header=BB372_2086 Depth=1
	s_or_b32 exec_lo, exec_lo, s19
	s_delay_alu instid0(VALU_DEP_1) | instskip(NEXT) | instid1(VALU_DEP_3)
	v_dual_lshlrev_b32 v4, 20, v82 :: v_dual_lshlrev_b32 v5, 24, v80
	v_lshl_add_u32 v2, v2, 23, 0x3c000000
	s_delay_alu instid0(VALU_DEP_2) | instskip(NEXT) | instid1(VALU_DEP_3)
	v_and_b32_e32 v4, 0x700000, v4
	v_and_b32_e32 v5, 0x80000000, v5
	s_delay_alu instid0(VALU_DEP_1)
	v_or3_b32 v2, v4, v5, v2
.LBB372_3280:                           ;   in Loop: Header=BB372_2086 Depth=1
	s_or_b32 exec_lo, exec_lo, s18
.LBB372_3281:                           ;   in Loop: Header=BB372_2086 Depth=1
	s_delay_alu instid0(SALU_CYCLE_1)
	s_or_b32 exec_lo, exec_lo, s17
.LBB372_3282:                           ;   in Loop: Header=BB372_2086 Depth=1
	s_delay_alu instid0(SALU_CYCLE_1) | instskip(SKIP_2) | instid1(VALU_DEP_1)
	s_or_b32 exec_lo, exec_lo, s16
	v_lshrrev_b16 v4, 8, v80
	s_mov_b32 s16, exec_lo
	v_cmpx_ne_u16_e32 0, v4
	s_cbranch_execz .LBB372_3290
; %bb.3283:                             ;   in Loop: Header=BB372_2086 Depth=1
	v_bfrev_b32_e32 v3, 1
	s_mov_b32 s17, exec_lo
	v_cmpx_ne_u16_e32 0x80, v4
	s_cbranch_execz .LBB372_3289
; %bb.3284:                             ;   in Loop: Header=BB372_2086 Depth=1
	v_and_b32_e32 v5, 0xffff, v4
	v_mov_b32_e32 v3, 0x7f800001
	s_mov_b32 s18, exec_lo
	s_delay_alu instid0(VALU_DEP_2) | instskip(NEXT) | instid1(VALU_DEP_1)
	v_and_b32_e32 v4, 0x7f, v5
	v_cmpx_ne_u32_e32 0x7f, v4
	s_cbranch_execz .LBB372_3288
; %bb.3285:                             ;   in Loop: Header=BB372_2086 Depth=1
	v_dual_lshrrev_b32 v3, 3, v4 :: v_dual_bitop2_b32 v22, 7, v5 bitop3:0x40
	s_mov_b32 s19, exec_lo
	s_delay_alu instid0(VALU_DEP_1)
	v_mov_b64_e32 v[82:83], v[22:23]
	v_cmpx_gt_u32_e32 8, v4
; %bb.3286:                             ;   in Loop: Header=BB372_2086 Depth=1
	v_clz_i32_u32_e32 v3, v22
	s_delay_alu instid0(VALU_DEP_1) | instskip(NEXT) | instid1(VALU_DEP_1)
	v_min_u32_e32 v3, 32, v3
	v_subrev_nc_u32_e32 v4, 28, v3
	s_delay_alu instid0(VALU_DEP_1) | instskip(NEXT) | instid1(VALU_DEP_1)
	v_lshlrev_b64_e32 v[4:5], v4, v[22:23]
	v_dual_sub_nc_u32 v3, 29, v3 :: v_dual_bitop2_b32 v82, 7, v4 bitop3:0x40
; %bb.3287:                             ;   in Loop: Header=BB372_2086 Depth=1
	s_or_b32 exec_lo, exec_lo, s19
	s_delay_alu instid0(VALU_DEP_1) | instskip(NEXT) | instid1(VALU_DEP_2)
	v_dual_lshlrev_b32 v4, 16, v80 :: v_dual_lshlrev_b32 v5, 20, v82
	v_lshl_add_u32 v3, v3, 23, 0x3c000000
	s_delay_alu instid0(VALU_DEP_2) | instskip(NEXT) | instid1(VALU_DEP_1)
	v_and_b32_e32 v4, 0x80000000, v4
	v_or3_b32 v3, v5, v4, v3
.LBB372_3288:                           ;   in Loop: Header=BB372_2086 Depth=1
	s_or_b32 exec_lo, exec_lo, s18
.LBB372_3289:                           ;   in Loop: Header=BB372_2086 Depth=1
	s_delay_alu instid0(SALU_CYCLE_1)
	s_or_b32 exec_lo, exec_lo, s17
.LBB372_3290:                           ;   in Loop: Header=BB372_2086 Depth=1
	s_delay_alu instid0(SALU_CYCLE_1) | instskip(SKIP_3) | instid1(VALU_DEP_2)
	s_or_b32 exec_lo, exec_lo, s16
	v_dual_mov_b32 v5, 0 :: v_dual_lshrrev_b32 v6, 16, v80
	v_mov_b32_e32 v4, 0
	s_mov_b32 s16, exec_lo
	v_and_b32_e32 v7, 0xff, v6
	s_delay_alu instid0(VALU_DEP_1)
	v_cmpx_ne_u16_e32 0, v7
	s_cbranch_execz .LBB372_3298
; %bb.3291:                             ;   in Loop: Header=BB372_2086 Depth=1
	v_bfrev_b32_e32 v4, 1
	s_mov_b32 s17, exec_lo
	v_cmpx_ne_u16_e32 0x80, v7
	s_cbranch_execz .LBB372_3297
; %bb.3292:                             ;   in Loop: Header=BB372_2086 Depth=1
	v_bfe_u32 v7, v80, 16, 7
	v_mov_b32_e32 v4, 0x7f800001
	s_mov_b32 s18, exec_lo
	s_delay_alu instid0(VALU_DEP_2)
	v_cmpx_ne_u32_e32 0x7f, v7
	s_cbranch_execz .LBB372_3296
; %bb.3293:                             ;   in Loop: Header=BB372_2086 Depth=1
	v_dual_lshrrev_b32 v4, 3, v7 :: v_dual_bitop2_b32 v22, 7, v6 bitop3:0x40
	s_mov_b32 s19, exec_lo
	s_delay_alu instid0(VALU_DEP_1)
	v_mov_b64_e32 v[82:83], v[22:23]
	v_cmpx_gt_u32_e32 8, v7
; %bb.3294:                             ;   in Loop: Header=BB372_2086 Depth=1
	v_clz_i32_u32_e32 v4, v22
	s_delay_alu instid0(VALU_DEP_1) | instskip(NEXT) | instid1(VALU_DEP_1)
	v_min_u32_e32 v4, 32, v4
	v_subrev_nc_u32_e32 v7, 28, v4
	v_sub_nc_u32_e32 v4, 29, v4
	s_delay_alu instid0(VALU_DEP_2) | instskip(NEXT) | instid1(VALU_DEP_1)
	v_lshlrev_b64_e32 v[8:9], v7, v[22:23]
	v_and_b32_e32 v82, 7, v8
; %bb.3295:                             ;   in Loop: Header=BB372_2086 Depth=1
	s_or_b32 exec_lo, exec_lo, s19
	v_lshlrev_b32_e32 v6, 24, v6
	s_delay_alu instid0(VALU_DEP_2) | instskip(SKIP_1) | instid1(VALU_DEP_3)
	v_lshlrev_b32_e32 v7, 20, v82
	v_lshl_add_u32 v4, v4, 23, 0x3c000000
	v_and_b32_e32 v6, 0x80000000, v6
	s_delay_alu instid0(VALU_DEP_1)
	v_or3_b32 v4, v7, v6, v4
.LBB372_3296:                           ;   in Loop: Header=BB372_2086 Depth=1
	s_or_b32 exec_lo, exec_lo, s18
.LBB372_3297:                           ;   in Loop: Header=BB372_2086 Depth=1
	s_delay_alu instid0(SALU_CYCLE_1)
	s_or_b32 exec_lo, exec_lo, s17
.LBB372_3298:                           ;   in Loop: Header=BB372_2086 Depth=1
	s_delay_alu instid0(SALU_CYCLE_1) | instskip(NEXT) | instid1(SALU_CYCLE_1)
	s_or_b32 exec_lo, exec_lo, s16
	s_mov_b32 s16, exec_lo
	v_cmpx_lt_u32_e32 0xffffff, v80
	s_cbranch_execz .LBB372_3306
; %bb.3299:                             ;   in Loop: Header=BB372_2086 Depth=1
	v_lshrrev_b32_e32 v6, 24, v80
	v_bfrev_b32_e32 v5, 1
	s_mov_b32 s17, exec_lo
	s_delay_alu instid0(VALU_DEP_2)
	v_cmpx_ne_u32_e32 0x80, v6
	s_cbranch_execz .LBB372_3305
; %bb.3300:                             ;   in Loop: Header=BB372_2086 Depth=1
	v_bfe_u32 v7, v80, 24, 7
	v_mov_b32_e32 v5, 0x7f800001
	s_mov_b32 s18, exec_lo
	s_delay_alu instid0(VALU_DEP_2)
	v_cmpx_ne_u32_e32 0x7f, v7
	s_cbranch_execz .LBB372_3304
; %bb.3301:                             ;   in Loop: Header=BB372_2086 Depth=1
	v_dual_lshrrev_b32 v5, 3, v7 :: v_dual_bitop2_b32 v22, 7, v6 bitop3:0x40
	s_mov_b32 s19, exec_lo
	s_delay_alu instid0(VALU_DEP_1)
	v_mov_b64_e32 v[82:83], v[22:23]
	v_cmpx_gt_u32_e32 8, v7
; %bb.3302:                             ;   in Loop: Header=BB372_2086 Depth=1
	v_clz_i32_u32_e32 v5, v22
	s_delay_alu instid0(VALU_DEP_1) | instskip(NEXT) | instid1(VALU_DEP_1)
	v_min_u32_e32 v5, 32, v5
	v_subrev_nc_u32_e32 v7, 28, v5
	s_delay_alu instid0(VALU_DEP_1) | instskip(NEXT) | instid1(VALU_DEP_1)
	v_lshlrev_b64_e32 v[8:9], v7, v[22:23]
	v_dual_sub_nc_u32 v5, 29, v5 :: v_dual_bitop2_b32 v82, 7, v8 bitop3:0x40
; %bb.3303:                             ;   in Loop: Header=BB372_2086 Depth=1
	s_or_b32 exec_lo, exec_lo, s19
	v_lshlrev_b32_e32 v6, 24, v6
	s_delay_alu instid0(VALU_DEP_2) | instskip(NEXT) | instid1(VALU_DEP_3)
	v_lshlrev_b32_e32 v7, 20, v82
	v_lshl_add_u32 v5, v5, 23, 0x3c000000
	s_delay_alu instid0(VALU_DEP_3) | instskip(NEXT) | instid1(VALU_DEP_1)
	v_and_b32_e32 v6, 0x80000000, v6
	v_or3_b32 v5, v7, v6, v5
.LBB372_3304:                           ;   in Loop: Header=BB372_2086 Depth=1
	s_or_b32 exec_lo, exec_lo, s18
.LBB372_3305:                           ;   in Loop: Header=BB372_2086 Depth=1
	s_delay_alu instid0(SALU_CYCLE_1)
	s_or_b32 exec_lo, exec_lo, s17
.LBB372_3306:                           ;   in Loop: Header=BB372_2086 Depth=1
	s_delay_alu instid0(SALU_CYCLE_1) | instskip(SKIP_4) | instid1(VALU_DEP_3)
	s_or_b32 exec_lo, exec_lo, s16
	v_and_b32_e32 v8, 0xff, v81
	v_dual_mov_b32 v22, v81 :: v_dual_mov_b32 v7, 0
	v_mov_b32_e32 v6, 0
	s_mov_b32 s16, exec_lo
	v_cmpx_ne_u16_e32 0, v8
	s_cbranch_execz .LBB372_3314
; %bb.3307:                             ;   in Loop: Header=BB372_2086 Depth=1
	v_bfrev_b32_e32 v6, 1
	s_mov_b32 s17, exec_lo
	v_cmpx_ne_u16_e32 0x80, v8
	s_cbranch_execz .LBB372_3313
; %bb.3308:                             ;   in Loop: Header=BB372_2086 Depth=1
	v_and_b32_e32 v8, 0x7f, v81
	v_mov_b32_e32 v6, 0x7f800001
	s_mov_b32 s18, exec_lo
	s_delay_alu instid0(VALU_DEP_2)
	v_cmpx_ne_u32_e32 0x7f, v8
	s_cbranch_execz .LBB372_3312
; %bb.3309:                             ;   in Loop: Header=BB372_2086 Depth=1
	v_mov_b64_e32 v[82:83], v[22:23]
	v_lshrrev_b32_e32 v6, 3, v8
	s_mov_b32 s19, exec_lo
	v_cmpx_gt_u32_e32 8, v8
; %bb.3310:                             ;   in Loop: Header=BB372_2086 Depth=1
	v_and_b32_e32 v6, 7, v81
	s_delay_alu instid0(VALU_DEP_1) | instskip(NEXT) | instid1(VALU_DEP_1)
	v_clz_i32_u32_e32 v6, v6
	v_min_u32_e32 v6, 32, v6
	s_delay_alu instid0(VALU_DEP_1) | instskip(SKIP_1) | instid1(VALU_DEP_2)
	v_subrev_nc_u32_e32 v8, 28, v6
	v_sub_nc_u32_e32 v6, 29, v6
	v_lshlrev_b64_e32 v[82:83], v8, v[22:23]
; %bb.3311:                             ;   in Loop: Header=BB372_2086 Depth=1
	s_or_b32 exec_lo, exec_lo, s19
	s_delay_alu instid0(VALU_DEP_1) | instskip(SKIP_2) | instid1(VALU_DEP_3)
	v_lshlrev_b32_e32 v8, 20, v82
	v_lshlrev_b32_e32 v9, 24, v22
	v_lshl_add_u32 v6, v6, 23, 0x3c000000
	v_and_b32_e32 v8, 0x700000, v8
	s_delay_alu instid0(VALU_DEP_3) | instskip(NEXT) | instid1(VALU_DEP_1)
	v_and_b32_e32 v9, 0x80000000, v9
	v_or3_b32 v6, v8, v9, v6
.LBB372_3312:                           ;   in Loop: Header=BB372_2086 Depth=1
	s_or_b32 exec_lo, exec_lo, s18
.LBB372_3313:                           ;   in Loop: Header=BB372_2086 Depth=1
	s_delay_alu instid0(SALU_CYCLE_1)
	s_or_b32 exec_lo, exec_lo, s17
.LBB372_3314:                           ;   in Loop: Header=BB372_2086 Depth=1
	s_delay_alu instid0(SALU_CYCLE_1) | instskip(SKIP_2) | instid1(VALU_DEP_1)
	s_or_b32 exec_lo, exec_lo, s16
	v_lshrrev_b16 v8, 8, v22
	s_mov_b32 s16, exec_lo
	v_cmpx_ne_u16_e32 0, v8
	s_cbranch_execz .LBB372_3322
; %bb.3315:                             ;   in Loop: Header=BB372_2086 Depth=1
	v_bfrev_b32_e32 v7, 1
	s_mov_b32 s17, exec_lo
	v_cmpx_ne_u16_e32 0x80, v8
	s_cbranch_execz .LBB372_3321
; %bb.3316:                             ;   in Loop: Header=BB372_2086 Depth=1
	v_and_b32_e32 v9, 0xffff, v8
	v_mov_b32_e32 v7, 0x7f800001
	s_mov_b32 s18, exec_lo
	s_delay_alu instid0(VALU_DEP_2) | instskip(NEXT) | instid1(VALU_DEP_1)
	v_and_b32_e32 v8, 0x7f, v9
	v_cmpx_ne_u32_e32 0x7f, v8
	s_cbranch_execz .LBB372_3320
; %bb.3317:                             ;   in Loop: Header=BB372_2086 Depth=1
	v_dual_mov_b32 v83, v23 :: v_dual_bitop2_b32 v82, 7, v9 bitop3:0x40
	v_lshrrev_b32_e32 v7, 3, v8
	s_mov_b32 s19, exec_lo
	v_cmpx_gt_u32_e32 8, v8
; %bb.3318:                             ;   in Loop: Header=BB372_2086 Depth=1
	s_delay_alu instid0(VALU_DEP_3) | instskip(NEXT) | instid1(VALU_DEP_1)
	v_clz_i32_u32_e32 v7, v82
	v_min_u32_e32 v7, 32, v7
	s_delay_alu instid0(VALU_DEP_1) | instskip(NEXT) | instid1(VALU_DEP_1)
	v_subrev_nc_u32_e32 v8, 28, v7
	v_lshlrev_b64_e32 v[8:9], v8, v[82:83]
	s_delay_alu instid0(VALU_DEP_1)
	v_dual_sub_nc_u32 v7, 29, v7 :: v_dual_bitop2_b32 v82, 7, v8 bitop3:0x40
; %bb.3319:                             ;   in Loop: Header=BB372_2086 Depth=1
	s_or_b32 exec_lo, exec_lo, s19
	v_lshlrev_b32_e32 v8, 16, v22
	s_delay_alu instid0(VALU_DEP_2) | instskip(NEXT) | instid1(VALU_DEP_3)
	v_lshlrev_b32_e32 v9, 20, v82
	v_lshl_add_u32 v7, v7, 23, 0x3c000000
	s_delay_alu instid0(VALU_DEP_3) | instskip(NEXT) | instid1(VALU_DEP_1)
	v_and_b32_e32 v8, 0x80000000, v8
	v_or3_b32 v7, v9, v8, v7
.LBB372_3320:                           ;   in Loop: Header=BB372_2086 Depth=1
	s_or_b32 exec_lo, exec_lo, s18
.LBB372_3321:                           ;   in Loop: Header=BB372_2086 Depth=1
	s_delay_alu instid0(SALU_CYCLE_1)
	s_or_b32 exec_lo, exec_lo, s17
.LBB372_3322:                           ;   in Loop: Header=BB372_2086 Depth=1
	s_delay_alu instid0(SALU_CYCLE_1) | instskip(SKIP_3) | instid1(VALU_DEP_2)
	s_or_b32 exec_lo, exec_lo, s16
	v_dual_lshrrev_b32 v10, 16, v81 :: v_dual_mov_b32 v8, 0
	v_mov_b32_e32 v9, 0
	s_mov_b32 s16, exec_lo
	v_and_b32_e32 v11, 0xff, v10
	s_delay_alu instid0(VALU_DEP_1)
	v_cmpx_ne_u16_e32 0, v11
	s_cbranch_execz .LBB372_3330
; %bb.3323:                             ;   in Loop: Header=BB372_2086 Depth=1
	v_bfrev_b32_e32 v9, 1
	s_mov_b32 s17, exec_lo
	v_cmpx_ne_u16_e32 0x80, v11
	s_cbranch_execz .LBB372_3329
; %bb.3324:                             ;   in Loop: Header=BB372_2086 Depth=1
	v_bfe_u32 v11, v81, 16, 7
	v_mov_b32_e32 v9, 0x7f800001
	s_mov_b32 s18, exec_lo
	s_delay_alu instid0(VALU_DEP_2)
	v_cmpx_ne_u32_e32 0x7f, v11
	s_cbranch_execz .LBB372_3328
; %bb.3325:                             ;   in Loop: Header=BB372_2086 Depth=1
	v_dual_lshrrev_b32 v9, 3, v11 :: v_dual_bitop2_b32 v22, 7, v10 bitop3:0x40
	s_mov_b32 s19, exec_lo
	s_delay_alu instid0(VALU_DEP_1)
	v_mov_b64_e32 v[82:83], v[22:23]
	v_cmpx_gt_u32_e32 8, v11
; %bb.3326:                             ;   in Loop: Header=BB372_2086 Depth=1
	v_clz_i32_u32_e32 v9, v22
	s_delay_alu instid0(VALU_DEP_1) | instskip(NEXT) | instid1(VALU_DEP_1)
	v_min_u32_e32 v9, 32, v9
	v_subrev_nc_u32_e32 v11, 28, v9
	s_delay_alu instid0(VALU_DEP_1) | instskip(NEXT) | instid1(VALU_DEP_1)
	v_lshlrev_b64_e32 v[64:65], v11, v[22:23]
	v_dual_sub_nc_u32 v9, 29, v9 :: v_dual_bitop2_b32 v82, 7, v64 bitop3:0x40
; %bb.3327:                             ;   in Loop: Header=BB372_2086 Depth=1
	s_or_b32 exec_lo, exec_lo, s19
	v_lshlrev_b32_e32 v10, 24, v10
	s_delay_alu instid0(VALU_DEP_2) | instskip(NEXT) | instid1(VALU_DEP_3)
	v_lshlrev_b32_e32 v11, 20, v82
	v_lshl_add_u32 v9, v9, 23, 0x3c000000
	s_delay_alu instid0(VALU_DEP_3) | instskip(NEXT) | instid1(VALU_DEP_1)
	v_and_b32_e32 v10, 0x80000000, v10
	v_or3_b32 v9, v11, v10, v9
.LBB372_3328:                           ;   in Loop: Header=BB372_2086 Depth=1
	s_or_b32 exec_lo, exec_lo, s18
.LBB372_3329:                           ;   in Loop: Header=BB372_2086 Depth=1
	s_delay_alu instid0(SALU_CYCLE_1)
	s_or_b32 exec_lo, exec_lo, s17
.LBB372_3330:                           ;   in Loop: Header=BB372_2086 Depth=1
	s_delay_alu instid0(SALU_CYCLE_1) | instskip(NEXT) | instid1(SALU_CYCLE_1)
	s_or_b32 exec_lo, exec_lo, s16
	s_mov_b32 s16, exec_lo
	v_cmpx_lt_u64_e64 s[2:3], v[80:81]
	s_cbranch_execz .LBB372_3338
; %bb.3331:                             ;   in Loop: Header=BB372_2086 Depth=1
	v_lshrrev_b32_e32 v10, 24, v81
	v_bfrev_b32_e32 v8, 1
	s_mov_b32 s17, exec_lo
	s_delay_alu instid0(VALU_DEP_2)
	v_cmpx_ne_u32_e32 0x80, v10
	s_cbranch_execz .LBB372_3337
; %bb.3332:                             ;   in Loop: Header=BB372_2086 Depth=1
	v_bfe_u32 v11, v81, 24, 7
	v_mov_b32_e32 v8, 0x7f800001
	s_mov_b32 s18, exec_lo
	s_delay_alu instid0(VALU_DEP_2)
	v_cmpx_ne_u32_e32 0x7f, v11
	s_cbranch_execz .LBB372_3336
; %bb.3333:                             ;   in Loop: Header=BB372_2086 Depth=1
	v_dual_lshrrev_b32 v8, 3, v11 :: v_dual_bitop2_b32 v22, 7, v10 bitop3:0x40
	s_mov_b32 s19, exec_lo
	s_delay_alu instid0(VALU_DEP_1)
	v_mov_b64_e32 v[80:81], v[22:23]
	v_cmpx_gt_u32_e32 8, v11
; %bb.3334:                             ;   in Loop: Header=BB372_2086 Depth=1
	v_clz_i32_u32_e32 v8, v22
	s_delay_alu instid0(VALU_DEP_1) | instskip(NEXT) | instid1(VALU_DEP_1)
	v_min_u32_e32 v8, 32, v8
	v_subrev_nc_u32_e32 v11, 28, v8
	v_sub_nc_u32_e32 v8, 29, v8
	s_delay_alu instid0(VALU_DEP_2) | instskip(NEXT) | instid1(VALU_DEP_1)
	v_lshlrev_b64_e32 v[64:65], v11, v[22:23]
	v_and_b32_e32 v80, 7, v64
; %bb.3335:                             ;   in Loop: Header=BB372_2086 Depth=1
	s_or_b32 exec_lo, exec_lo, s19
	s_delay_alu instid0(VALU_DEP_1) | instskip(SKIP_1) | instid1(VALU_DEP_2)
	v_dual_lshlrev_b32 v10, 24, v10 :: v_dual_lshlrev_b32 v11, 20, v80
	v_lshl_add_u32 v8, v8, 23, 0x3c000000
	v_and_b32_e32 v10, 0x80000000, v10
	s_delay_alu instid0(VALU_DEP_1)
	v_or3_b32 v8, v11, v10, v8
.LBB372_3336:                           ;   in Loop: Header=BB372_2086 Depth=1
	s_or_b32 exec_lo, exec_lo, s18
.LBB372_3337:                           ;   in Loop: Header=BB372_2086 Depth=1
	s_delay_alu instid0(SALU_CYCLE_1)
	s_or_b32 exec_lo, exec_lo, s17
.LBB372_3338:                           ;   in Loop: Header=BB372_2086 Depth=1
	s_delay_alu instid0(SALU_CYCLE_1)
	s_or_b32 exec_lo, exec_lo, s16
	v_fma_mixlo_bf16 v2, v86, v2, 0
	v_fma_mixlo_bf16 v7, v86, v7, 0
	;; [unrolled: 1-line block ×5, first 2 shown]
	scratch_store_b32 off, v2, s32 offset:1260 ; 4-byte Folded Spill
	s_wait_xcnt 0x0
	v_fma_mixlo_bf16 v2, v86, v9, 0
	s_clause 0x4
	scratch_store_b32 off, v7, s32 offset:1208
	scratch_store_b32 off, v6, s32 offset:1212
	;; [unrolled: 1-line block ×5, first 2 shown]
	v_fma_mixlo_bf16 v3, v86, v3, 0
	s_wait_xcnt 0x0
	v_fma_mixlo_bf16 v2, v86, v8, 0
	s_clause 0x1
	scratch_store_b32 off, v3, s32 offset:1252
	scratch_store_b32 off, v2, s32 offset:1236
	s_wait_xcnt 0x0
	s_and_saveexec_b32 s16, vcc_lo
	s_cbranch_execz .LBB372_3340
; %bb.3339:                             ;   in Loop: Header=BB372_2086 Depth=1
	s_clause 0x1
	scratch_load_b32 v2, off, s32 offset:192
	scratch_load_b32 v3, off, s32 offset:1260
	s_wait_loadcnt 0x1
	v_cmp_lt_i32_e64 s0, v63, v2
	s_wait_loadcnt 0x0
	s_delay_alu instid0(VALU_DEP_1)
	v_cndmask_b32_e64 v3, 0, v3, s0
	v_cmp_lt_i32_e64 s0, v95, v2
	s_clause 0x1
	scratch_store_b32 off, v3, s32 offset:1260
	scratch_load_b32 v3, off, s32 offset:1252
	s_wait_loadcnt 0x0
	v_cndmask_b32_e64 v3, 0, v3, s0
	v_cmp_lt_i32_e64 s0, v94, v2
	s_clause 0x1
	scratch_store_b32 off, v3, s32 offset:1252
	scratch_load_b32 v3, off, s32 offset:1244
	s_wait_loadcnt 0x0
	;; [unrolled: 6-line block ×6, first 2 shown]
	v_cndmask_b32_e64 v3, 0, v3, s0
	v_cmp_lt_i32_e64 s0, v89, v2
	scratch_load_b32 v2, off, s32 offset:1236 ; 4-byte Folded Reload
	s_wait_loadcnt 0x0
	v_cndmask_b32_e64 v2, 0, v2, s0
	s_clause 0x1
	scratch_store_b32 off, v3, s32 offset:1220
	scratch_store_b32 off, v2, s32 offset:1236
.LBB372_3340:                           ;   in Loop: Header=BB372_2086 Depth=1
	s_wait_xcnt 0x0
	s_or_b32 exec_lo, exec_lo, s16
	flat_load_b64 v[80:81], v[18:19] offset:4864
	v_dual_mov_b32 v3, 0 :: v_dual_mov_b32 v2, 0
	s_mov_b32 s16, exec_lo
	s_wait_loadcnt_dscnt 0x0
	v_and_b32_e32 v4, 0xff, v80
	s_wait_xcnt 0x0
	s_delay_alu instid0(VALU_DEP_1)
	v_cmpx_ne_u16_e32 0, v4
	s_cbranch_execz .LBB372_3348
; %bb.3341:                             ;   in Loop: Header=BB372_2086 Depth=1
	v_bfrev_b32_e32 v2, 1
	s_mov_b32 s17, exec_lo
	v_cmpx_ne_u16_e32 0x80, v4
	s_cbranch_execz .LBB372_3347
; %bb.3342:                             ;   in Loop: Header=BB372_2086 Depth=1
	v_and_b32_e32 v4, 0x7f, v80
	v_mov_b32_e32 v2, 0x7f800001
	s_mov_b32 s18, exec_lo
	s_delay_alu instid0(VALU_DEP_2)
	v_cmpx_ne_u32_e32 0x7f, v4
	s_cbranch_execz .LBB372_3346
; %bb.3343:                             ;   in Loop: Header=BB372_2086 Depth=1
	v_mov_b64_e32 v[82:83], v[80:81]
	v_lshrrev_b32_e32 v2, 3, v4
	s_mov_b32 s19, exec_lo
	v_cmpx_gt_u32_e32 8, v4
; %bb.3344:                             ;   in Loop: Header=BB372_2086 Depth=1
	v_and_b32_e32 v2, 7, v80
	s_delay_alu instid0(VALU_DEP_1) | instskip(NEXT) | instid1(VALU_DEP_1)
	v_clz_i32_u32_e32 v2, v2
	v_min_u32_e32 v2, 32, v2
	s_delay_alu instid0(VALU_DEP_1) | instskip(SKIP_1) | instid1(VALU_DEP_2)
	v_subrev_nc_u32_e32 v4, 28, v2
	v_sub_nc_u32_e32 v2, 29, v2
	v_lshlrev_b64_e32 v[82:83], v4, v[80:81]
; %bb.3345:                             ;   in Loop: Header=BB372_2086 Depth=1
	s_or_b32 exec_lo, exec_lo, s19
	s_delay_alu instid0(VALU_DEP_1) | instskip(NEXT) | instid1(VALU_DEP_3)
	v_dual_lshlrev_b32 v4, 20, v82 :: v_dual_lshlrev_b32 v5, 24, v80
	v_lshl_add_u32 v2, v2, 23, 0x3c000000
	s_delay_alu instid0(VALU_DEP_2) | instskip(NEXT) | instid1(VALU_DEP_3)
	v_and_b32_e32 v4, 0x700000, v4
	v_and_b32_e32 v5, 0x80000000, v5
	s_delay_alu instid0(VALU_DEP_1)
	v_or3_b32 v2, v4, v5, v2
.LBB372_3346:                           ;   in Loop: Header=BB372_2086 Depth=1
	s_or_b32 exec_lo, exec_lo, s18
.LBB372_3347:                           ;   in Loop: Header=BB372_2086 Depth=1
	s_delay_alu instid0(SALU_CYCLE_1)
	s_or_b32 exec_lo, exec_lo, s17
.LBB372_3348:                           ;   in Loop: Header=BB372_2086 Depth=1
	s_delay_alu instid0(SALU_CYCLE_1) | instskip(SKIP_2) | instid1(VALU_DEP_1)
	s_or_b32 exec_lo, exec_lo, s16
	v_lshrrev_b16 v4, 8, v80
	s_mov_b32 s16, exec_lo
	v_cmpx_ne_u16_e32 0, v4
	s_cbranch_execz .LBB372_3356
; %bb.3349:                             ;   in Loop: Header=BB372_2086 Depth=1
	v_bfrev_b32_e32 v3, 1
	s_mov_b32 s17, exec_lo
	v_cmpx_ne_u16_e32 0x80, v4
	s_cbranch_execz .LBB372_3355
; %bb.3350:                             ;   in Loop: Header=BB372_2086 Depth=1
	v_and_b32_e32 v5, 0xffff, v4
	v_mov_b32_e32 v3, 0x7f800001
	s_mov_b32 s18, exec_lo
	s_delay_alu instid0(VALU_DEP_2) | instskip(NEXT) | instid1(VALU_DEP_1)
	v_and_b32_e32 v4, 0x7f, v5
	v_cmpx_ne_u32_e32 0x7f, v4
	s_cbranch_execz .LBB372_3354
; %bb.3351:                             ;   in Loop: Header=BB372_2086 Depth=1
	v_dual_lshrrev_b32 v3, 3, v4 :: v_dual_bitop2_b32 v22, 7, v5 bitop3:0x40
	s_mov_b32 s19, exec_lo
	s_delay_alu instid0(VALU_DEP_1)
	v_mov_b64_e32 v[82:83], v[22:23]
	v_cmpx_gt_u32_e32 8, v4
; %bb.3352:                             ;   in Loop: Header=BB372_2086 Depth=1
	v_clz_i32_u32_e32 v3, v22
	s_delay_alu instid0(VALU_DEP_1) | instskip(NEXT) | instid1(VALU_DEP_1)
	v_min_u32_e32 v3, 32, v3
	v_subrev_nc_u32_e32 v4, 28, v3
	s_delay_alu instid0(VALU_DEP_1) | instskip(NEXT) | instid1(VALU_DEP_1)
	v_lshlrev_b64_e32 v[4:5], v4, v[22:23]
	v_dual_sub_nc_u32 v3, 29, v3 :: v_dual_bitop2_b32 v82, 7, v4 bitop3:0x40
; %bb.3353:                             ;   in Loop: Header=BB372_2086 Depth=1
	s_or_b32 exec_lo, exec_lo, s19
	s_delay_alu instid0(VALU_DEP_1) | instskip(NEXT) | instid1(VALU_DEP_2)
	v_dual_lshlrev_b32 v4, 16, v80 :: v_dual_lshlrev_b32 v5, 20, v82
	v_lshl_add_u32 v3, v3, 23, 0x3c000000
	s_delay_alu instid0(VALU_DEP_2) | instskip(NEXT) | instid1(VALU_DEP_1)
	v_and_b32_e32 v4, 0x80000000, v4
	v_or3_b32 v3, v5, v4, v3
.LBB372_3354:                           ;   in Loop: Header=BB372_2086 Depth=1
	s_or_b32 exec_lo, exec_lo, s18
.LBB372_3355:                           ;   in Loop: Header=BB372_2086 Depth=1
	s_delay_alu instid0(SALU_CYCLE_1)
	s_or_b32 exec_lo, exec_lo, s17
.LBB372_3356:                           ;   in Loop: Header=BB372_2086 Depth=1
	s_delay_alu instid0(SALU_CYCLE_1) | instskip(SKIP_3) | instid1(VALU_DEP_2)
	s_or_b32 exec_lo, exec_lo, s16
	v_dual_mov_b32 v5, 0 :: v_dual_lshrrev_b32 v6, 16, v80
	v_mov_b32_e32 v4, 0
	s_mov_b32 s16, exec_lo
	v_and_b32_e32 v7, 0xff, v6
	s_delay_alu instid0(VALU_DEP_1)
	v_cmpx_ne_u16_e32 0, v7
	s_cbranch_execz .LBB372_3364
; %bb.3357:                             ;   in Loop: Header=BB372_2086 Depth=1
	v_bfrev_b32_e32 v4, 1
	s_mov_b32 s17, exec_lo
	v_cmpx_ne_u16_e32 0x80, v7
	s_cbranch_execz .LBB372_3363
; %bb.3358:                             ;   in Loop: Header=BB372_2086 Depth=1
	v_bfe_u32 v7, v80, 16, 7
	v_mov_b32_e32 v4, 0x7f800001
	s_mov_b32 s18, exec_lo
	s_delay_alu instid0(VALU_DEP_2)
	v_cmpx_ne_u32_e32 0x7f, v7
	s_cbranch_execz .LBB372_3362
; %bb.3359:                             ;   in Loop: Header=BB372_2086 Depth=1
	v_dual_lshrrev_b32 v4, 3, v7 :: v_dual_bitop2_b32 v22, 7, v6 bitop3:0x40
	s_mov_b32 s19, exec_lo
	s_delay_alu instid0(VALU_DEP_1)
	v_mov_b64_e32 v[82:83], v[22:23]
	v_cmpx_gt_u32_e32 8, v7
; %bb.3360:                             ;   in Loop: Header=BB372_2086 Depth=1
	v_clz_i32_u32_e32 v4, v22
	s_delay_alu instid0(VALU_DEP_1) | instskip(NEXT) | instid1(VALU_DEP_1)
	v_min_u32_e32 v4, 32, v4
	v_subrev_nc_u32_e32 v7, 28, v4
	v_sub_nc_u32_e32 v4, 29, v4
	s_delay_alu instid0(VALU_DEP_2) | instskip(NEXT) | instid1(VALU_DEP_1)
	v_lshlrev_b64_e32 v[8:9], v7, v[22:23]
	v_and_b32_e32 v82, 7, v8
; %bb.3361:                             ;   in Loop: Header=BB372_2086 Depth=1
	s_or_b32 exec_lo, exec_lo, s19
	v_lshlrev_b32_e32 v6, 24, v6
	s_delay_alu instid0(VALU_DEP_2) | instskip(SKIP_1) | instid1(VALU_DEP_3)
	v_lshlrev_b32_e32 v7, 20, v82
	v_lshl_add_u32 v4, v4, 23, 0x3c000000
	v_and_b32_e32 v6, 0x80000000, v6
	s_delay_alu instid0(VALU_DEP_1)
	v_or3_b32 v4, v7, v6, v4
.LBB372_3362:                           ;   in Loop: Header=BB372_2086 Depth=1
	s_or_b32 exec_lo, exec_lo, s18
.LBB372_3363:                           ;   in Loop: Header=BB372_2086 Depth=1
	s_delay_alu instid0(SALU_CYCLE_1)
	s_or_b32 exec_lo, exec_lo, s17
.LBB372_3364:                           ;   in Loop: Header=BB372_2086 Depth=1
	s_delay_alu instid0(SALU_CYCLE_1) | instskip(NEXT) | instid1(SALU_CYCLE_1)
	s_or_b32 exec_lo, exec_lo, s16
	s_mov_b32 s16, exec_lo
	v_cmpx_lt_u32_e32 0xffffff, v80
	s_cbranch_execz .LBB372_3372
; %bb.3365:                             ;   in Loop: Header=BB372_2086 Depth=1
	v_lshrrev_b32_e32 v6, 24, v80
	v_bfrev_b32_e32 v5, 1
	s_mov_b32 s17, exec_lo
	s_delay_alu instid0(VALU_DEP_2)
	v_cmpx_ne_u32_e32 0x80, v6
	s_cbranch_execz .LBB372_3371
; %bb.3366:                             ;   in Loop: Header=BB372_2086 Depth=1
	v_bfe_u32 v7, v80, 24, 7
	v_mov_b32_e32 v5, 0x7f800001
	s_mov_b32 s18, exec_lo
	s_delay_alu instid0(VALU_DEP_2)
	v_cmpx_ne_u32_e32 0x7f, v7
	s_cbranch_execz .LBB372_3370
; %bb.3367:                             ;   in Loop: Header=BB372_2086 Depth=1
	v_dual_lshrrev_b32 v5, 3, v7 :: v_dual_bitop2_b32 v22, 7, v6 bitop3:0x40
	s_mov_b32 s19, exec_lo
	s_delay_alu instid0(VALU_DEP_1)
	v_mov_b64_e32 v[82:83], v[22:23]
	v_cmpx_gt_u32_e32 8, v7
; %bb.3368:                             ;   in Loop: Header=BB372_2086 Depth=1
	v_clz_i32_u32_e32 v5, v22
	s_delay_alu instid0(VALU_DEP_1) | instskip(NEXT) | instid1(VALU_DEP_1)
	v_min_u32_e32 v5, 32, v5
	v_subrev_nc_u32_e32 v7, 28, v5
	s_delay_alu instid0(VALU_DEP_1) | instskip(NEXT) | instid1(VALU_DEP_1)
	v_lshlrev_b64_e32 v[8:9], v7, v[22:23]
	v_dual_sub_nc_u32 v5, 29, v5 :: v_dual_bitop2_b32 v82, 7, v8 bitop3:0x40
; %bb.3369:                             ;   in Loop: Header=BB372_2086 Depth=1
	s_or_b32 exec_lo, exec_lo, s19
	v_lshlrev_b32_e32 v6, 24, v6
	s_delay_alu instid0(VALU_DEP_2) | instskip(NEXT) | instid1(VALU_DEP_3)
	v_lshlrev_b32_e32 v7, 20, v82
	v_lshl_add_u32 v5, v5, 23, 0x3c000000
	s_delay_alu instid0(VALU_DEP_3) | instskip(NEXT) | instid1(VALU_DEP_1)
	v_and_b32_e32 v6, 0x80000000, v6
	v_or3_b32 v5, v7, v6, v5
.LBB372_3370:                           ;   in Loop: Header=BB372_2086 Depth=1
	s_or_b32 exec_lo, exec_lo, s18
.LBB372_3371:                           ;   in Loop: Header=BB372_2086 Depth=1
	s_delay_alu instid0(SALU_CYCLE_1)
	s_or_b32 exec_lo, exec_lo, s17
.LBB372_3372:                           ;   in Loop: Header=BB372_2086 Depth=1
	s_delay_alu instid0(SALU_CYCLE_1) | instskip(SKIP_4) | instid1(VALU_DEP_3)
	s_or_b32 exec_lo, exec_lo, s16
	v_and_b32_e32 v8, 0xff, v81
	v_dual_mov_b32 v22, v81 :: v_dual_mov_b32 v7, 0
	v_mov_b32_e32 v6, 0
	s_mov_b32 s16, exec_lo
	v_cmpx_ne_u16_e32 0, v8
	s_cbranch_execz .LBB372_3380
; %bb.3373:                             ;   in Loop: Header=BB372_2086 Depth=1
	v_bfrev_b32_e32 v6, 1
	s_mov_b32 s17, exec_lo
	v_cmpx_ne_u16_e32 0x80, v8
	s_cbranch_execz .LBB372_3379
; %bb.3374:                             ;   in Loop: Header=BB372_2086 Depth=1
	v_and_b32_e32 v8, 0x7f, v81
	v_mov_b32_e32 v6, 0x7f800001
	s_mov_b32 s18, exec_lo
	s_delay_alu instid0(VALU_DEP_2)
	v_cmpx_ne_u32_e32 0x7f, v8
	s_cbranch_execz .LBB372_3378
; %bb.3375:                             ;   in Loop: Header=BB372_2086 Depth=1
	v_mov_b64_e32 v[82:83], v[22:23]
	v_lshrrev_b32_e32 v6, 3, v8
	s_mov_b32 s19, exec_lo
	v_cmpx_gt_u32_e32 8, v8
; %bb.3376:                             ;   in Loop: Header=BB372_2086 Depth=1
	v_and_b32_e32 v6, 7, v81
	s_delay_alu instid0(VALU_DEP_1) | instskip(NEXT) | instid1(VALU_DEP_1)
	v_clz_i32_u32_e32 v6, v6
	v_min_u32_e32 v6, 32, v6
	s_delay_alu instid0(VALU_DEP_1) | instskip(SKIP_1) | instid1(VALU_DEP_2)
	v_subrev_nc_u32_e32 v8, 28, v6
	v_sub_nc_u32_e32 v6, 29, v6
	v_lshlrev_b64_e32 v[82:83], v8, v[22:23]
; %bb.3377:                             ;   in Loop: Header=BB372_2086 Depth=1
	s_or_b32 exec_lo, exec_lo, s19
	s_delay_alu instid0(VALU_DEP_1) | instskip(SKIP_2) | instid1(VALU_DEP_3)
	v_lshlrev_b32_e32 v8, 20, v82
	v_lshlrev_b32_e32 v9, 24, v22
	v_lshl_add_u32 v6, v6, 23, 0x3c000000
	v_and_b32_e32 v8, 0x700000, v8
	s_delay_alu instid0(VALU_DEP_3) | instskip(NEXT) | instid1(VALU_DEP_1)
	v_and_b32_e32 v9, 0x80000000, v9
	v_or3_b32 v6, v8, v9, v6
.LBB372_3378:                           ;   in Loop: Header=BB372_2086 Depth=1
	s_or_b32 exec_lo, exec_lo, s18
.LBB372_3379:                           ;   in Loop: Header=BB372_2086 Depth=1
	s_delay_alu instid0(SALU_CYCLE_1)
	s_or_b32 exec_lo, exec_lo, s17
.LBB372_3380:                           ;   in Loop: Header=BB372_2086 Depth=1
	s_delay_alu instid0(SALU_CYCLE_1) | instskip(SKIP_2) | instid1(VALU_DEP_1)
	s_or_b32 exec_lo, exec_lo, s16
	v_lshrrev_b16 v8, 8, v22
	s_mov_b32 s16, exec_lo
	v_cmpx_ne_u16_e32 0, v8
	s_cbranch_execz .LBB372_3388
; %bb.3381:                             ;   in Loop: Header=BB372_2086 Depth=1
	v_bfrev_b32_e32 v7, 1
	s_mov_b32 s17, exec_lo
	v_cmpx_ne_u16_e32 0x80, v8
	s_cbranch_execz .LBB372_3387
; %bb.3382:                             ;   in Loop: Header=BB372_2086 Depth=1
	v_and_b32_e32 v9, 0xffff, v8
	v_mov_b32_e32 v7, 0x7f800001
	s_mov_b32 s18, exec_lo
	s_delay_alu instid0(VALU_DEP_2) | instskip(NEXT) | instid1(VALU_DEP_1)
	v_and_b32_e32 v8, 0x7f, v9
	v_cmpx_ne_u32_e32 0x7f, v8
	s_cbranch_execz .LBB372_3386
; %bb.3383:                             ;   in Loop: Header=BB372_2086 Depth=1
	v_dual_mov_b32 v83, v23 :: v_dual_bitop2_b32 v82, 7, v9 bitop3:0x40
	v_lshrrev_b32_e32 v7, 3, v8
	s_mov_b32 s19, exec_lo
	v_cmpx_gt_u32_e32 8, v8
; %bb.3384:                             ;   in Loop: Header=BB372_2086 Depth=1
	s_delay_alu instid0(VALU_DEP_3) | instskip(NEXT) | instid1(VALU_DEP_1)
	v_clz_i32_u32_e32 v7, v82
	v_min_u32_e32 v7, 32, v7
	s_delay_alu instid0(VALU_DEP_1) | instskip(NEXT) | instid1(VALU_DEP_1)
	v_subrev_nc_u32_e32 v8, 28, v7
	v_lshlrev_b64_e32 v[8:9], v8, v[82:83]
	s_delay_alu instid0(VALU_DEP_1)
	v_dual_sub_nc_u32 v7, 29, v7 :: v_dual_bitop2_b32 v82, 7, v8 bitop3:0x40
; %bb.3385:                             ;   in Loop: Header=BB372_2086 Depth=1
	s_or_b32 exec_lo, exec_lo, s19
	v_lshlrev_b32_e32 v8, 16, v22
	s_delay_alu instid0(VALU_DEP_2) | instskip(NEXT) | instid1(VALU_DEP_3)
	v_lshlrev_b32_e32 v9, 20, v82
	v_lshl_add_u32 v7, v7, 23, 0x3c000000
	s_delay_alu instid0(VALU_DEP_3) | instskip(NEXT) | instid1(VALU_DEP_1)
	v_and_b32_e32 v8, 0x80000000, v8
	v_or3_b32 v7, v9, v8, v7
.LBB372_3386:                           ;   in Loop: Header=BB372_2086 Depth=1
	s_or_b32 exec_lo, exec_lo, s18
.LBB372_3387:                           ;   in Loop: Header=BB372_2086 Depth=1
	s_delay_alu instid0(SALU_CYCLE_1)
	s_or_b32 exec_lo, exec_lo, s17
.LBB372_3388:                           ;   in Loop: Header=BB372_2086 Depth=1
	s_delay_alu instid0(SALU_CYCLE_1) | instskip(SKIP_3) | instid1(VALU_DEP_2)
	s_or_b32 exec_lo, exec_lo, s16
	v_dual_lshrrev_b32 v10, 16, v81 :: v_dual_mov_b32 v8, 0
	v_mov_b32_e32 v9, 0
	s_mov_b32 s16, exec_lo
	v_and_b32_e32 v11, 0xff, v10
	s_delay_alu instid0(VALU_DEP_1)
	v_cmpx_ne_u16_e32 0, v11
	s_cbranch_execz .LBB372_3396
; %bb.3389:                             ;   in Loop: Header=BB372_2086 Depth=1
	v_bfrev_b32_e32 v9, 1
	s_mov_b32 s17, exec_lo
	v_cmpx_ne_u16_e32 0x80, v11
	s_cbranch_execz .LBB372_3395
; %bb.3390:                             ;   in Loop: Header=BB372_2086 Depth=1
	v_bfe_u32 v11, v81, 16, 7
	v_mov_b32_e32 v9, 0x7f800001
	s_mov_b32 s18, exec_lo
	s_delay_alu instid0(VALU_DEP_2)
	v_cmpx_ne_u32_e32 0x7f, v11
	s_cbranch_execz .LBB372_3394
; %bb.3391:                             ;   in Loop: Header=BB372_2086 Depth=1
	v_dual_lshrrev_b32 v9, 3, v11 :: v_dual_bitop2_b32 v22, 7, v10 bitop3:0x40
	s_mov_b32 s19, exec_lo
	s_delay_alu instid0(VALU_DEP_1)
	v_mov_b64_e32 v[82:83], v[22:23]
	v_cmpx_gt_u32_e32 8, v11
; %bb.3392:                             ;   in Loop: Header=BB372_2086 Depth=1
	v_clz_i32_u32_e32 v9, v22
	s_delay_alu instid0(VALU_DEP_1) | instskip(NEXT) | instid1(VALU_DEP_1)
	v_min_u32_e32 v9, 32, v9
	v_subrev_nc_u32_e32 v11, 28, v9
	s_delay_alu instid0(VALU_DEP_1) | instskip(NEXT) | instid1(VALU_DEP_1)
	v_lshlrev_b64_e32 v[64:65], v11, v[22:23]
	v_dual_sub_nc_u32 v9, 29, v9 :: v_dual_bitop2_b32 v82, 7, v64 bitop3:0x40
; %bb.3393:                             ;   in Loop: Header=BB372_2086 Depth=1
	s_or_b32 exec_lo, exec_lo, s19
	v_lshlrev_b32_e32 v10, 24, v10
	s_delay_alu instid0(VALU_DEP_2) | instskip(NEXT) | instid1(VALU_DEP_3)
	v_lshlrev_b32_e32 v11, 20, v82
	v_lshl_add_u32 v9, v9, 23, 0x3c000000
	s_delay_alu instid0(VALU_DEP_3) | instskip(NEXT) | instid1(VALU_DEP_1)
	v_and_b32_e32 v10, 0x80000000, v10
	v_or3_b32 v9, v11, v10, v9
.LBB372_3394:                           ;   in Loop: Header=BB372_2086 Depth=1
	s_or_b32 exec_lo, exec_lo, s18
.LBB372_3395:                           ;   in Loop: Header=BB372_2086 Depth=1
	s_delay_alu instid0(SALU_CYCLE_1)
	s_or_b32 exec_lo, exec_lo, s17
.LBB372_3396:                           ;   in Loop: Header=BB372_2086 Depth=1
	s_delay_alu instid0(SALU_CYCLE_1) | instskip(NEXT) | instid1(SALU_CYCLE_1)
	s_or_b32 exec_lo, exec_lo, s16
	s_mov_b32 s16, exec_lo
	v_cmpx_lt_u64_e64 s[2:3], v[80:81]
	s_cbranch_execz .LBB372_3404
; %bb.3397:                             ;   in Loop: Header=BB372_2086 Depth=1
	v_lshrrev_b32_e32 v10, 24, v81
	v_bfrev_b32_e32 v8, 1
	s_mov_b32 s17, exec_lo
	s_delay_alu instid0(VALU_DEP_2)
	v_cmpx_ne_u32_e32 0x80, v10
	s_cbranch_execz .LBB372_3403
; %bb.3398:                             ;   in Loop: Header=BB372_2086 Depth=1
	v_bfe_u32 v11, v81, 24, 7
	v_mov_b32_e32 v8, 0x7f800001
	s_mov_b32 s18, exec_lo
	s_delay_alu instid0(VALU_DEP_2)
	v_cmpx_ne_u32_e32 0x7f, v11
	s_cbranch_execz .LBB372_3402
; %bb.3399:                             ;   in Loop: Header=BB372_2086 Depth=1
	v_dual_lshrrev_b32 v8, 3, v11 :: v_dual_bitop2_b32 v22, 7, v10 bitop3:0x40
	s_mov_b32 s19, exec_lo
	s_delay_alu instid0(VALU_DEP_1)
	v_mov_b64_e32 v[80:81], v[22:23]
	v_cmpx_gt_u32_e32 8, v11
; %bb.3400:                             ;   in Loop: Header=BB372_2086 Depth=1
	v_clz_i32_u32_e32 v8, v22
	s_delay_alu instid0(VALU_DEP_1) | instskip(NEXT) | instid1(VALU_DEP_1)
	v_min_u32_e32 v8, 32, v8
	v_subrev_nc_u32_e32 v11, 28, v8
	v_sub_nc_u32_e32 v8, 29, v8
	s_delay_alu instid0(VALU_DEP_2) | instskip(NEXT) | instid1(VALU_DEP_1)
	v_lshlrev_b64_e32 v[64:65], v11, v[22:23]
	v_and_b32_e32 v80, 7, v64
; %bb.3401:                             ;   in Loop: Header=BB372_2086 Depth=1
	s_or_b32 exec_lo, exec_lo, s19
	s_delay_alu instid0(VALU_DEP_1) | instskip(SKIP_1) | instid1(VALU_DEP_2)
	v_dual_lshlrev_b32 v10, 24, v10 :: v_dual_lshlrev_b32 v11, 20, v80
	v_lshl_add_u32 v8, v8, 23, 0x3c000000
	v_and_b32_e32 v10, 0x80000000, v10
	s_delay_alu instid0(VALU_DEP_1)
	v_or3_b32 v8, v11, v10, v8
.LBB372_3402:                           ;   in Loop: Header=BB372_2086 Depth=1
	s_or_b32 exec_lo, exec_lo, s18
.LBB372_3403:                           ;   in Loop: Header=BB372_2086 Depth=1
	s_delay_alu instid0(SALU_CYCLE_1)
	s_or_b32 exec_lo, exec_lo, s17
.LBB372_3404:                           ;   in Loop: Header=BB372_2086 Depth=1
	s_delay_alu instid0(SALU_CYCLE_1)
	s_or_b32 exec_lo, exec_lo, s16
	v_fma_mixlo_bf16 v2, v86, v2, 0
	v_fma_mixlo_bf16 v7, v86, v7, 0
	;; [unrolled: 1-line block ×5, first 2 shown]
	scratch_store_b32 off, v2, s32 offset:1324 ; 4-byte Folded Spill
	s_wait_xcnt 0x0
	v_fma_mixlo_bf16 v2, v86, v9, 0
	s_clause 0x4
	scratch_store_b32 off, v7, s32 offset:1268
	scratch_store_b32 off, v6, s32 offset:1276
	scratch_store_b32 off, v5, s32 offset:1292
	scratch_store_b32 off, v4, s32 offset:1308
	scratch_store_b32 off, v2, s32 offset:1284
	v_fma_mixlo_bf16 v3, v86, v3, 0
	s_wait_xcnt 0x0
	v_fma_mixlo_bf16 v2, v86, v8, 0
	s_clause 0x1
	scratch_store_b32 off, v3, s32 offset:1316
	scratch_store_b32 off, v2, s32 offset:1300
	s_wait_xcnt 0x0
	s_and_saveexec_b32 s16, vcc_lo
	s_cbranch_execz .LBB372_3406
; %bb.3405:                             ;   in Loop: Header=BB372_2086 Depth=1
	s_clause 0x1
	scratch_load_b32 v2, off, s32 offset:192
	scratch_load_b32 v3, off, s32 offset:1324
	s_wait_loadcnt 0x1
	v_cmp_lt_i32_e64 s0, v63, v2
	s_wait_loadcnt 0x0
	s_delay_alu instid0(VALU_DEP_1)
	v_cndmask_b32_e64 v3, 0, v3, s0
	v_cmp_lt_i32_e64 s0, v95, v2
	s_clause 0x1
	scratch_store_b32 off, v3, s32 offset:1324
	scratch_load_b32 v3, off, s32 offset:1316
	s_wait_loadcnt 0x0
	v_cndmask_b32_e64 v3, 0, v3, s0
	v_cmp_lt_i32_e64 s0, v94, v2
	s_clause 0x1
	scratch_store_b32 off, v3, s32 offset:1316
	scratch_load_b32 v3, off, s32 offset:1308
	s_wait_loadcnt 0x0
	;; [unrolled: 6-line block ×6, first 2 shown]
	v_cndmask_b32_e64 v3, 0, v3, s0
	v_cmp_lt_i32_e64 s0, v89, v2
	scratch_load_b32 v2, off, s32 offset:1300 ; 4-byte Folded Reload
	s_wait_loadcnt 0x0
	v_cndmask_b32_e64 v2, 0, v2, s0
	s_clause 0x1
	scratch_store_b32 off, v3, s32 offset:1284
	scratch_store_b32 off, v2, s32 offset:1300
.LBB372_3406:                           ;   in Loop: Header=BB372_2086 Depth=1
	s_wait_xcnt 0x0
	s_or_b32 exec_lo, exec_lo, s16
	flat_load_b64 v[80:81], v[18:19] offset:5120
	v_dual_mov_b32 v3, 0 :: v_dual_mov_b32 v2, 0
	s_mov_b32 s16, exec_lo
	s_wait_loadcnt_dscnt 0x0
	v_and_b32_e32 v4, 0xff, v80
	s_wait_xcnt 0x0
	s_delay_alu instid0(VALU_DEP_1)
	v_cmpx_ne_u16_e32 0, v4
	s_cbranch_execz .LBB372_3414
; %bb.3407:                             ;   in Loop: Header=BB372_2086 Depth=1
	v_bfrev_b32_e32 v2, 1
	s_mov_b32 s17, exec_lo
	v_cmpx_ne_u16_e32 0x80, v4
	s_cbranch_execz .LBB372_3413
; %bb.3408:                             ;   in Loop: Header=BB372_2086 Depth=1
	v_and_b32_e32 v4, 0x7f, v80
	v_mov_b32_e32 v2, 0x7f800001
	s_mov_b32 s18, exec_lo
	s_delay_alu instid0(VALU_DEP_2)
	v_cmpx_ne_u32_e32 0x7f, v4
	s_cbranch_execz .LBB372_3412
; %bb.3409:                             ;   in Loop: Header=BB372_2086 Depth=1
	v_mov_b64_e32 v[82:83], v[80:81]
	v_lshrrev_b32_e32 v2, 3, v4
	s_mov_b32 s19, exec_lo
	v_cmpx_gt_u32_e32 8, v4
; %bb.3410:                             ;   in Loop: Header=BB372_2086 Depth=1
	v_and_b32_e32 v2, 7, v80
	s_delay_alu instid0(VALU_DEP_1) | instskip(NEXT) | instid1(VALU_DEP_1)
	v_clz_i32_u32_e32 v2, v2
	v_min_u32_e32 v2, 32, v2
	s_delay_alu instid0(VALU_DEP_1) | instskip(SKIP_1) | instid1(VALU_DEP_2)
	v_subrev_nc_u32_e32 v4, 28, v2
	v_sub_nc_u32_e32 v2, 29, v2
	v_lshlrev_b64_e32 v[82:83], v4, v[80:81]
; %bb.3411:                             ;   in Loop: Header=BB372_2086 Depth=1
	s_or_b32 exec_lo, exec_lo, s19
	s_delay_alu instid0(VALU_DEP_1) | instskip(NEXT) | instid1(VALU_DEP_3)
	v_dual_lshlrev_b32 v4, 20, v82 :: v_dual_lshlrev_b32 v5, 24, v80
	v_lshl_add_u32 v2, v2, 23, 0x3c000000
	s_delay_alu instid0(VALU_DEP_2) | instskip(NEXT) | instid1(VALU_DEP_3)
	v_and_b32_e32 v4, 0x700000, v4
	v_and_b32_e32 v5, 0x80000000, v5
	s_delay_alu instid0(VALU_DEP_1)
	v_or3_b32 v2, v4, v5, v2
.LBB372_3412:                           ;   in Loop: Header=BB372_2086 Depth=1
	s_or_b32 exec_lo, exec_lo, s18
.LBB372_3413:                           ;   in Loop: Header=BB372_2086 Depth=1
	s_delay_alu instid0(SALU_CYCLE_1)
	s_or_b32 exec_lo, exec_lo, s17
.LBB372_3414:                           ;   in Loop: Header=BB372_2086 Depth=1
	s_delay_alu instid0(SALU_CYCLE_1) | instskip(SKIP_2) | instid1(VALU_DEP_1)
	s_or_b32 exec_lo, exec_lo, s16
	v_lshrrev_b16 v4, 8, v80
	s_mov_b32 s16, exec_lo
	v_cmpx_ne_u16_e32 0, v4
	s_cbranch_execz .LBB372_3422
; %bb.3415:                             ;   in Loop: Header=BB372_2086 Depth=1
	v_bfrev_b32_e32 v3, 1
	s_mov_b32 s17, exec_lo
	v_cmpx_ne_u16_e32 0x80, v4
	s_cbranch_execz .LBB372_3421
; %bb.3416:                             ;   in Loop: Header=BB372_2086 Depth=1
	v_and_b32_e32 v5, 0xffff, v4
	v_mov_b32_e32 v3, 0x7f800001
	s_mov_b32 s18, exec_lo
	s_delay_alu instid0(VALU_DEP_2) | instskip(NEXT) | instid1(VALU_DEP_1)
	v_and_b32_e32 v4, 0x7f, v5
	v_cmpx_ne_u32_e32 0x7f, v4
	s_cbranch_execz .LBB372_3420
; %bb.3417:                             ;   in Loop: Header=BB372_2086 Depth=1
	v_dual_lshrrev_b32 v3, 3, v4 :: v_dual_bitop2_b32 v22, 7, v5 bitop3:0x40
	s_mov_b32 s19, exec_lo
	s_delay_alu instid0(VALU_DEP_1)
	v_mov_b64_e32 v[82:83], v[22:23]
	v_cmpx_gt_u32_e32 8, v4
; %bb.3418:                             ;   in Loop: Header=BB372_2086 Depth=1
	v_clz_i32_u32_e32 v3, v22
	s_delay_alu instid0(VALU_DEP_1) | instskip(NEXT) | instid1(VALU_DEP_1)
	v_min_u32_e32 v3, 32, v3
	v_subrev_nc_u32_e32 v4, 28, v3
	s_delay_alu instid0(VALU_DEP_1) | instskip(NEXT) | instid1(VALU_DEP_1)
	v_lshlrev_b64_e32 v[4:5], v4, v[22:23]
	v_dual_sub_nc_u32 v3, 29, v3 :: v_dual_bitop2_b32 v82, 7, v4 bitop3:0x40
; %bb.3419:                             ;   in Loop: Header=BB372_2086 Depth=1
	s_or_b32 exec_lo, exec_lo, s19
	s_delay_alu instid0(VALU_DEP_1) | instskip(NEXT) | instid1(VALU_DEP_2)
	v_dual_lshlrev_b32 v4, 16, v80 :: v_dual_lshlrev_b32 v5, 20, v82
	v_lshl_add_u32 v3, v3, 23, 0x3c000000
	s_delay_alu instid0(VALU_DEP_2) | instskip(NEXT) | instid1(VALU_DEP_1)
	v_and_b32_e32 v4, 0x80000000, v4
	v_or3_b32 v3, v5, v4, v3
.LBB372_3420:                           ;   in Loop: Header=BB372_2086 Depth=1
	s_or_b32 exec_lo, exec_lo, s18
.LBB372_3421:                           ;   in Loop: Header=BB372_2086 Depth=1
	s_delay_alu instid0(SALU_CYCLE_1)
	s_or_b32 exec_lo, exec_lo, s17
.LBB372_3422:                           ;   in Loop: Header=BB372_2086 Depth=1
	s_delay_alu instid0(SALU_CYCLE_1) | instskip(SKIP_3) | instid1(VALU_DEP_2)
	s_or_b32 exec_lo, exec_lo, s16
	v_dual_mov_b32 v5, 0 :: v_dual_lshrrev_b32 v6, 16, v80
	v_mov_b32_e32 v4, 0
	s_mov_b32 s16, exec_lo
	v_and_b32_e32 v7, 0xff, v6
	s_delay_alu instid0(VALU_DEP_1)
	v_cmpx_ne_u16_e32 0, v7
	s_cbranch_execz .LBB372_3430
; %bb.3423:                             ;   in Loop: Header=BB372_2086 Depth=1
	v_bfrev_b32_e32 v4, 1
	s_mov_b32 s17, exec_lo
	v_cmpx_ne_u16_e32 0x80, v7
	s_cbranch_execz .LBB372_3429
; %bb.3424:                             ;   in Loop: Header=BB372_2086 Depth=1
	v_bfe_u32 v7, v80, 16, 7
	v_mov_b32_e32 v4, 0x7f800001
	s_mov_b32 s18, exec_lo
	s_delay_alu instid0(VALU_DEP_2)
	v_cmpx_ne_u32_e32 0x7f, v7
	s_cbranch_execz .LBB372_3428
; %bb.3425:                             ;   in Loop: Header=BB372_2086 Depth=1
	v_dual_lshrrev_b32 v4, 3, v7 :: v_dual_bitop2_b32 v22, 7, v6 bitop3:0x40
	s_mov_b32 s19, exec_lo
	s_delay_alu instid0(VALU_DEP_1)
	v_mov_b64_e32 v[82:83], v[22:23]
	v_cmpx_gt_u32_e32 8, v7
; %bb.3426:                             ;   in Loop: Header=BB372_2086 Depth=1
	v_clz_i32_u32_e32 v4, v22
	s_delay_alu instid0(VALU_DEP_1) | instskip(NEXT) | instid1(VALU_DEP_1)
	v_min_u32_e32 v4, 32, v4
	v_subrev_nc_u32_e32 v7, 28, v4
	v_sub_nc_u32_e32 v4, 29, v4
	s_delay_alu instid0(VALU_DEP_2) | instskip(NEXT) | instid1(VALU_DEP_1)
	v_lshlrev_b64_e32 v[8:9], v7, v[22:23]
	v_and_b32_e32 v82, 7, v8
; %bb.3427:                             ;   in Loop: Header=BB372_2086 Depth=1
	s_or_b32 exec_lo, exec_lo, s19
	v_lshlrev_b32_e32 v6, 24, v6
	s_delay_alu instid0(VALU_DEP_2) | instskip(SKIP_1) | instid1(VALU_DEP_3)
	v_lshlrev_b32_e32 v7, 20, v82
	v_lshl_add_u32 v4, v4, 23, 0x3c000000
	v_and_b32_e32 v6, 0x80000000, v6
	s_delay_alu instid0(VALU_DEP_1)
	v_or3_b32 v4, v7, v6, v4
.LBB372_3428:                           ;   in Loop: Header=BB372_2086 Depth=1
	s_or_b32 exec_lo, exec_lo, s18
.LBB372_3429:                           ;   in Loop: Header=BB372_2086 Depth=1
	s_delay_alu instid0(SALU_CYCLE_1)
	s_or_b32 exec_lo, exec_lo, s17
.LBB372_3430:                           ;   in Loop: Header=BB372_2086 Depth=1
	s_delay_alu instid0(SALU_CYCLE_1) | instskip(NEXT) | instid1(SALU_CYCLE_1)
	s_or_b32 exec_lo, exec_lo, s16
	s_mov_b32 s16, exec_lo
	v_cmpx_lt_u32_e32 0xffffff, v80
	s_cbranch_execz .LBB372_3438
; %bb.3431:                             ;   in Loop: Header=BB372_2086 Depth=1
	v_lshrrev_b32_e32 v6, 24, v80
	v_bfrev_b32_e32 v5, 1
	s_mov_b32 s17, exec_lo
	s_delay_alu instid0(VALU_DEP_2)
	v_cmpx_ne_u32_e32 0x80, v6
	s_cbranch_execz .LBB372_3437
; %bb.3432:                             ;   in Loop: Header=BB372_2086 Depth=1
	v_bfe_u32 v7, v80, 24, 7
	v_mov_b32_e32 v5, 0x7f800001
	s_mov_b32 s18, exec_lo
	s_delay_alu instid0(VALU_DEP_2)
	v_cmpx_ne_u32_e32 0x7f, v7
	s_cbranch_execz .LBB372_3436
; %bb.3433:                             ;   in Loop: Header=BB372_2086 Depth=1
	v_dual_lshrrev_b32 v5, 3, v7 :: v_dual_bitop2_b32 v22, 7, v6 bitop3:0x40
	s_mov_b32 s19, exec_lo
	s_delay_alu instid0(VALU_DEP_1)
	v_mov_b64_e32 v[82:83], v[22:23]
	v_cmpx_gt_u32_e32 8, v7
; %bb.3434:                             ;   in Loop: Header=BB372_2086 Depth=1
	v_clz_i32_u32_e32 v5, v22
	s_delay_alu instid0(VALU_DEP_1) | instskip(NEXT) | instid1(VALU_DEP_1)
	v_min_u32_e32 v5, 32, v5
	v_subrev_nc_u32_e32 v7, 28, v5
	s_delay_alu instid0(VALU_DEP_1) | instskip(NEXT) | instid1(VALU_DEP_1)
	v_lshlrev_b64_e32 v[8:9], v7, v[22:23]
	v_dual_sub_nc_u32 v5, 29, v5 :: v_dual_bitop2_b32 v82, 7, v8 bitop3:0x40
; %bb.3435:                             ;   in Loop: Header=BB372_2086 Depth=1
	s_or_b32 exec_lo, exec_lo, s19
	v_lshlrev_b32_e32 v6, 24, v6
	s_delay_alu instid0(VALU_DEP_2) | instskip(NEXT) | instid1(VALU_DEP_3)
	v_lshlrev_b32_e32 v7, 20, v82
	v_lshl_add_u32 v5, v5, 23, 0x3c000000
	s_delay_alu instid0(VALU_DEP_3) | instskip(NEXT) | instid1(VALU_DEP_1)
	v_and_b32_e32 v6, 0x80000000, v6
	v_or3_b32 v5, v7, v6, v5
.LBB372_3436:                           ;   in Loop: Header=BB372_2086 Depth=1
	s_or_b32 exec_lo, exec_lo, s18
.LBB372_3437:                           ;   in Loop: Header=BB372_2086 Depth=1
	s_delay_alu instid0(SALU_CYCLE_1)
	s_or_b32 exec_lo, exec_lo, s17
.LBB372_3438:                           ;   in Loop: Header=BB372_2086 Depth=1
	s_delay_alu instid0(SALU_CYCLE_1) | instskip(SKIP_4) | instid1(VALU_DEP_3)
	s_or_b32 exec_lo, exec_lo, s16
	v_and_b32_e32 v8, 0xff, v81
	v_dual_mov_b32 v22, v81 :: v_dual_mov_b32 v7, 0
	v_mov_b32_e32 v6, 0
	s_mov_b32 s16, exec_lo
	v_cmpx_ne_u16_e32 0, v8
	s_cbranch_execz .LBB372_3446
; %bb.3439:                             ;   in Loop: Header=BB372_2086 Depth=1
	v_bfrev_b32_e32 v6, 1
	s_mov_b32 s17, exec_lo
	v_cmpx_ne_u16_e32 0x80, v8
	s_cbranch_execz .LBB372_3445
; %bb.3440:                             ;   in Loop: Header=BB372_2086 Depth=1
	v_and_b32_e32 v8, 0x7f, v81
	v_mov_b32_e32 v6, 0x7f800001
	s_mov_b32 s18, exec_lo
	s_delay_alu instid0(VALU_DEP_2)
	v_cmpx_ne_u32_e32 0x7f, v8
	s_cbranch_execz .LBB372_3444
; %bb.3441:                             ;   in Loop: Header=BB372_2086 Depth=1
	v_mov_b64_e32 v[82:83], v[22:23]
	v_lshrrev_b32_e32 v6, 3, v8
	s_mov_b32 s19, exec_lo
	v_cmpx_gt_u32_e32 8, v8
; %bb.3442:                             ;   in Loop: Header=BB372_2086 Depth=1
	v_and_b32_e32 v6, 7, v81
	s_delay_alu instid0(VALU_DEP_1) | instskip(NEXT) | instid1(VALU_DEP_1)
	v_clz_i32_u32_e32 v6, v6
	v_min_u32_e32 v6, 32, v6
	s_delay_alu instid0(VALU_DEP_1) | instskip(SKIP_1) | instid1(VALU_DEP_2)
	v_subrev_nc_u32_e32 v8, 28, v6
	v_sub_nc_u32_e32 v6, 29, v6
	v_lshlrev_b64_e32 v[82:83], v8, v[22:23]
; %bb.3443:                             ;   in Loop: Header=BB372_2086 Depth=1
	s_or_b32 exec_lo, exec_lo, s19
	s_delay_alu instid0(VALU_DEP_1) | instskip(SKIP_2) | instid1(VALU_DEP_3)
	v_lshlrev_b32_e32 v8, 20, v82
	v_lshlrev_b32_e32 v9, 24, v22
	v_lshl_add_u32 v6, v6, 23, 0x3c000000
	v_and_b32_e32 v8, 0x700000, v8
	s_delay_alu instid0(VALU_DEP_3) | instskip(NEXT) | instid1(VALU_DEP_1)
	v_and_b32_e32 v9, 0x80000000, v9
	v_or3_b32 v6, v8, v9, v6
.LBB372_3444:                           ;   in Loop: Header=BB372_2086 Depth=1
	s_or_b32 exec_lo, exec_lo, s18
.LBB372_3445:                           ;   in Loop: Header=BB372_2086 Depth=1
	s_delay_alu instid0(SALU_CYCLE_1)
	s_or_b32 exec_lo, exec_lo, s17
.LBB372_3446:                           ;   in Loop: Header=BB372_2086 Depth=1
	s_delay_alu instid0(SALU_CYCLE_1) | instskip(SKIP_2) | instid1(VALU_DEP_1)
	s_or_b32 exec_lo, exec_lo, s16
	v_lshrrev_b16 v8, 8, v22
	s_mov_b32 s16, exec_lo
	v_cmpx_ne_u16_e32 0, v8
	s_cbranch_execz .LBB372_3454
; %bb.3447:                             ;   in Loop: Header=BB372_2086 Depth=1
	v_bfrev_b32_e32 v7, 1
	s_mov_b32 s17, exec_lo
	v_cmpx_ne_u16_e32 0x80, v8
	s_cbranch_execz .LBB372_3453
; %bb.3448:                             ;   in Loop: Header=BB372_2086 Depth=1
	v_and_b32_e32 v9, 0xffff, v8
	v_mov_b32_e32 v7, 0x7f800001
	s_mov_b32 s18, exec_lo
	s_delay_alu instid0(VALU_DEP_2) | instskip(NEXT) | instid1(VALU_DEP_1)
	v_and_b32_e32 v8, 0x7f, v9
	v_cmpx_ne_u32_e32 0x7f, v8
	s_cbranch_execz .LBB372_3452
; %bb.3449:                             ;   in Loop: Header=BB372_2086 Depth=1
	v_dual_mov_b32 v83, v23 :: v_dual_bitop2_b32 v82, 7, v9 bitop3:0x40
	v_lshrrev_b32_e32 v7, 3, v8
	s_mov_b32 s19, exec_lo
	v_cmpx_gt_u32_e32 8, v8
; %bb.3450:                             ;   in Loop: Header=BB372_2086 Depth=1
	s_delay_alu instid0(VALU_DEP_3) | instskip(NEXT) | instid1(VALU_DEP_1)
	v_clz_i32_u32_e32 v7, v82
	v_min_u32_e32 v7, 32, v7
	s_delay_alu instid0(VALU_DEP_1) | instskip(NEXT) | instid1(VALU_DEP_1)
	v_subrev_nc_u32_e32 v8, 28, v7
	v_lshlrev_b64_e32 v[8:9], v8, v[82:83]
	s_delay_alu instid0(VALU_DEP_1)
	v_dual_sub_nc_u32 v7, 29, v7 :: v_dual_bitop2_b32 v82, 7, v8 bitop3:0x40
; %bb.3451:                             ;   in Loop: Header=BB372_2086 Depth=1
	s_or_b32 exec_lo, exec_lo, s19
	v_lshlrev_b32_e32 v8, 16, v22
	s_delay_alu instid0(VALU_DEP_2) | instskip(NEXT) | instid1(VALU_DEP_3)
	v_lshlrev_b32_e32 v9, 20, v82
	v_lshl_add_u32 v7, v7, 23, 0x3c000000
	s_delay_alu instid0(VALU_DEP_3) | instskip(NEXT) | instid1(VALU_DEP_1)
	v_and_b32_e32 v8, 0x80000000, v8
	v_or3_b32 v7, v9, v8, v7
.LBB372_3452:                           ;   in Loop: Header=BB372_2086 Depth=1
	s_or_b32 exec_lo, exec_lo, s18
.LBB372_3453:                           ;   in Loop: Header=BB372_2086 Depth=1
	s_delay_alu instid0(SALU_CYCLE_1)
	s_or_b32 exec_lo, exec_lo, s17
.LBB372_3454:                           ;   in Loop: Header=BB372_2086 Depth=1
	s_delay_alu instid0(SALU_CYCLE_1) | instskip(SKIP_3) | instid1(VALU_DEP_2)
	s_or_b32 exec_lo, exec_lo, s16
	v_dual_lshrrev_b32 v10, 16, v81 :: v_dual_mov_b32 v8, 0
	v_mov_b32_e32 v9, 0
	s_mov_b32 s16, exec_lo
	v_and_b32_e32 v11, 0xff, v10
	s_delay_alu instid0(VALU_DEP_1)
	v_cmpx_ne_u16_e32 0, v11
	s_cbranch_execz .LBB372_3462
; %bb.3455:                             ;   in Loop: Header=BB372_2086 Depth=1
	v_bfrev_b32_e32 v9, 1
	s_mov_b32 s17, exec_lo
	v_cmpx_ne_u16_e32 0x80, v11
	s_cbranch_execz .LBB372_3461
; %bb.3456:                             ;   in Loop: Header=BB372_2086 Depth=1
	v_bfe_u32 v11, v81, 16, 7
	v_mov_b32_e32 v9, 0x7f800001
	s_mov_b32 s18, exec_lo
	s_delay_alu instid0(VALU_DEP_2)
	v_cmpx_ne_u32_e32 0x7f, v11
	s_cbranch_execz .LBB372_3460
; %bb.3457:                             ;   in Loop: Header=BB372_2086 Depth=1
	v_dual_lshrrev_b32 v9, 3, v11 :: v_dual_bitop2_b32 v22, 7, v10 bitop3:0x40
	s_mov_b32 s19, exec_lo
	s_delay_alu instid0(VALU_DEP_1)
	v_mov_b64_e32 v[82:83], v[22:23]
	v_cmpx_gt_u32_e32 8, v11
; %bb.3458:                             ;   in Loop: Header=BB372_2086 Depth=1
	v_clz_i32_u32_e32 v9, v22
	s_delay_alu instid0(VALU_DEP_1) | instskip(NEXT) | instid1(VALU_DEP_1)
	v_min_u32_e32 v9, 32, v9
	v_subrev_nc_u32_e32 v11, 28, v9
	s_delay_alu instid0(VALU_DEP_1) | instskip(NEXT) | instid1(VALU_DEP_1)
	v_lshlrev_b64_e32 v[64:65], v11, v[22:23]
	v_dual_sub_nc_u32 v9, 29, v9 :: v_dual_bitop2_b32 v82, 7, v64 bitop3:0x40
; %bb.3459:                             ;   in Loop: Header=BB372_2086 Depth=1
	s_or_b32 exec_lo, exec_lo, s19
	v_lshlrev_b32_e32 v10, 24, v10
	s_delay_alu instid0(VALU_DEP_2) | instskip(NEXT) | instid1(VALU_DEP_3)
	v_lshlrev_b32_e32 v11, 20, v82
	v_lshl_add_u32 v9, v9, 23, 0x3c000000
	s_delay_alu instid0(VALU_DEP_3) | instskip(NEXT) | instid1(VALU_DEP_1)
	v_and_b32_e32 v10, 0x80000000, v10
	v_or3_b32 v9, v11, v10, v9
.LBB372_3460:                           ;   in Loop: Header=BB372_2086 Depth=1
	s_or_b32 exec_lo, exec_lo, s18
.LBB372_3461:                           ;   in Loop: Header=BB372_2086 Depth=1
	s_delay_alu instid0(SALU_CYCLE_1)
	s_or_b32 exec_lo, exec_lo, s17
.LBB372_3462:                           ;   in Loop: Header=BB372_2086 Depth=1
	s_delay_alu instid0(SALU_CYCLE_1) | instskip(NEXT) | instid1(SALU_CYCLE_1)
	s_or_b32 exec_lo, exec_lo, s16
	s_mov_b32 s16, exec_lo
	v_cmpx_lt_u64_e64 s[2:3], v[80:81]
	s_cbranch_execz .LBB372_3470
; %bb.3463:                             ;   in Loop: Header=BB372_2086 Depth=1
	v_lshrrev_b32_e32 v10, 24, v81
	v_bfrev_b32_e32 v8, 1
	s_mov_b32 s17, exec_lo
	s_delay_alu instid0(VALU_DEP_2)
	v_cmpx_ne_u32_e32 0x80, v10
	s_cbranch_execz .LBB372_3469
; %bb.3464:                             ;   in Loop: Header=BB372_2086 Depth=1
	v_bfe_u32 v11, v81, 24, 7
	v_mov_b32_e32 v8, 0x7f800001
	s_mov_b32 s18, exec_lo
	s_delay_alu instid0(VALU_DEP_2)
	v_cmpx_ne_u32_e32 0x7f, v11
	s_cbranch_execz .LBB372_3468
; %bb.3465:                             ;   in Loop: Header=BB372_2086 Depth=1
	v_dual_lshrrev_b32 v8, 3, v11 :: v_dual_bitop2_b32 v22, 7, v10 bitop3:0x40
	s_mov_b32 s19, exec_lo
	s_delay_alu instid0(VALU_DEP_1)
	v_mov_b64_e32 v[80:81], v[22:23]
	v_cmpx_gt_u32_e32 8, v11
; %bb.3466:                             ;   in Loop: Header=BB372_2086 Depth=1
	v_clz_i32_u32_e32 v8, v22
	s_delay_alu instid0(VALU_DEP_1) | instskip(NEXT) | instid1(VALU_DEP_1)
	v_min_u32_e32 v8, 32, v8
	v_subrev_nc_u32_e32 v11, 28, v8
	v_sub_nc_u32_e32 v8, 29, v8
	s_delay_alu instid0(VALU_DEP_2) | instskip(NEXT) | instid1(VALU_DEP_1)
	v_lshlrev_b64_e32 v[64:65], v11, v[22:23]
	v_and_b32_e32 v80, 7, v64
; %bb.3467:                             ;   in Loop: Header=BB372_2086 Depth=1
	s_or_b32 exec_lo, exec_lo, s19
	s_delay_alu instid0(VALU_DEP_1) | instskip(SKIP_1) | instid1(VALU_DEP_2)
	v_dual_lshlrev_b32 v10, 24, v10 :: v_dual_lshlrev_b32 v11, 20, v80
	v_lshl_add_u32 v8, v8, 23, 0x3c000000
	v_and_b32_e32 v10, 0x80000000, v10
	s_delay_alu instid0(VALU_DEP_1)
	v_or3_b32 v8, v11, v10, v8
.LBB372_3468:                           ;   in Loop: Header=BB372_2086 Depth=1
	s_or_b32 exec_lo, exec_lo, s18
.LBB372_3469:                           ;   in Loop: Header=BB372_2086 Depth=1
	s_delay_alu instid0(SALU_CYCLE_1)
	s_or_b32 exec_lo, exec_lo, s17
.LBB372_3470:                           ;   in Loop: Header=BB372_2086 Depth=1
	s_delay_alu instid0(SALU_CYCLE_1)
	s_or_b32 exec_lo, exec_lo, s16
	v_fma_mixlo_bf16 v2, v86, v2, 0
	v_fma_mixlo_bf16 v7, v86, v7, 0
	;; [unrolled: 1-line block ×5, first 2 shown]
	scratch_store_b32 off, v2, s32 offset:1388 ; 4-byte Folded Spill
	s_wait_xcnt 0x0
	v_fma_mixlo_bf16 v2, v86, v9, 0
	s_clause 0x1
	scratch_store_b32 off, v7, s32 offset:1332
	scratch_store_b32 off, v6, s32 offset:1340
	v_fma_mixlo_bf16 v3, v86, v3, 0
	s_clause 0x1
	scratch_store_b32 off, v5, s32 offset:1364
	scratch_store_b32 off, v2, s32 offset:1348
	s_wait_xcnt 0x0
	v_fma_mixlo_bf16 v2, v86, v8, 0
	s_clause 0x2
	scratch_store_b32 off, v4, s32 offset:1372
	scratch_store_b32 off, v3, s32 offset:1380
	;; [unrolled: 1-line block ×3, first 2 shown]
	s_wait_xcnt 0x0
	s_and_saveexec_b32 s16, vcc_lo
	s_cbranch_execz .LBB372_3472
; %bb.3471:                             ;   in Loop: Header=BB372_2086 Depth=1
	s_clause 0x1
	scratch_load_b32 v2, off, s32 offset:192
	scratch_load_b32 v3, off, s32 offset:1388
	s_wait_loadcnt 0x1
	v_cmp_lt_i32_e64 s0, v63, v2
	s_wait_loadcnt 0x0
	s_delay_alu instid0(VALU_DEP_1)
	v_cndmask_b32_e64 v3, 0, v3, s0
	v_cmp_lt_i32_e64 s0, v95, v2
	s_clause 0x1
	scratch_store_b32 off, v3, s32 offset:1388
	scratch_load_b32 v3, off, s32 offset:1380
	s_wait_loadcnt 0x0
	v_cndmask_b32_e64 v3, 0, v3, s0
	v_cmp_lt_i32_e64 s0, v94, v2
	s_clause 0x1
	scratch_store_b32 off, v3, s32 offset:1380
	scratch_load_b32 v3, off, s32 offset:1372
	s_wait_loadcnt 0x0
	;; [unrolled: 6-line block ×6, first 2 shown]
	v_cndmask_b32_e64 v3, 0, v3, s0
	v_cmp_lt_i32_e64 s0, v89, v2
	scratch_load_b32 v2, off, s32 offset:1356 ; 4-byte Folded Reload
	s_wait_loadcnt 0x0
	v_cndmask_b32_e64 v2, 0, v2, s0
	s_clause 0x1
	scratch_store_b32 off, v3, s32 offset:1348
	scratch_store_b32 off, v2, s32 offset:1356
.LBB372_3472:                           ;   in Loop: Header=BB372_2086 Depth=1
	s_wait_xcnt 0x0
	s_or_b32 exec_lo, exec_lo, s16
	flat_load_b64 v[80:81], v[18:19] offset:5376
	v_dual_mov_b32 v3, 0 :: v_dual_mov_b32 v2, 0
	s_mov_b32 s16, exec_lo
	s_wait_loadcnt_dscnt 0x0
	v_and_b32_e32 v4, 0xff, v80
	s_wait_xcnt 0x0
	s_delay_alu instid0(VALU_DEP_1)
	v_cmpx_ne_u16_e32 0, v4
	s_cbranch_execz .LBB372_3480
; %bb.3473:                             ;   in Loop: Header=BB372_2086 Depth=1
	v_bfrev_b32_e32 v2, 1
	s_mov_b32 s17, exec_lo
	v_cmpx_ne_u16_e32 0x80, v4
	s_cbranch_execz .LBB372_3479
; %bb.3474:                             ;   in Loop: Header=BB372_2086 Depth=1
	v_and_b32_e32 v4, 0x7f, v80
	v_mov_b32_e32 v2, 0x7f800001
	s_mov_b32 s18, exec_lo
	s_delay_alu instid0(VALU_DEP_2)
	v_cmpx_ne_u32_e32 0x7f, v4
	s_cbranch_execz .LBB372_3478
; %bb.3475:                             ;   in Loop: Header=BB372_2086 Depth=1
	v_mov_b64_e32 v[82:83], v[80:81]
	v_lshrrev_b32_e32 v2, 3, v4
	s_mov_b32 s19, exec_lo
	v_cmpx_gt_u32_e32 8, v4
; %bb.3476:                             ;   in Loop: Header=BB372_2086 Depth=1
	v_and_b32_e32 v2, 7, v80
	s_delay_alu instid0(VALU_DEP_1) | instskip(NEXT) | instid1(VALU_DEP_1)
	v_clz_i32_u32_e32 v2, v2
	v_min_u32_e32 v2, 32, v2
	s_delay_alu instid0(VALU_DEP_1) | instskip(SKIP_1) | instid1(VALU_DEP_2)
	v_subrev_nc_u32_e32 v4, 28, v2
	v_sub_nc_u32_e32 v2, 29, v2
	v_lshlrev_b64_e32 v[82:83], v4, v[80:81]
; %bb.3477:                             ;   in Loop: Header=BB372_2086 Depth=1
	s_or_b32 exec_lo, exec_lo, s19
	s_delay_alu instid0(VALU_DEP_1) | instskip(NEXT) | instid1(VALU_DEP_3)
	v_dual_lshlrev_b32 v4, 20, v82 :: v_dual_lshlrev_b32 v5, 24, v80
	v_lshl_add_u32 v2, v2, 23, 0x3c000000
	s_delay_alu instid0(VALU_DEP_2) | instskip(NEXT) | instid1(VALU_DEP_3)
	v_and_b32_e32 v4, 0x700000, v4
	v_and_b32_e32 v5, 0x80000000, v5
	s_delay_alu instid0(VALU_DEP_1)
	v_or3_b32 v2, v4, v5, v2
.LBB372_3478:                           ;   in Loop: Header=BB372_2086 Depth=1
	s_or_b32 exec_lo, exec_lo, s18
.LBB372_3479:                           ;   in Loop: Header=BB372_2086 Depth=1
	s_delay_alu instid0(SALU_CYCLE_1)
	s_or_b32 exec_lo, exec_lo, s17
.LBB372_3480:                           ;   in Loop: Header=BB372_2086 Depth=1
	s_delay_alu instid0(SALU_CYCLE_1) | instskip(SKIP_2) | instid1(VALU_DEP_1)
	s_or_b32 exec_lo, exec_lo, s16
	v_lshrrev_b16 v4, 8, v80
	s_mov_b32 s16, exec_lo
	v_cmpx_ne_u16_e32 0, v4
	s_cbranch_execz .LBB372_3488
; %bb.3481:                             ;   in Loop: Header=BB372_2086 Depth=1
	v_bfrev_b32_e32 v3, 1
	s_mov_b32 s17, exec_lo
	v_cmpx_ne_u16_e32 0x80, v4
	s_cbranch_execz .LBB372_3487
; %bb.3482:                             ;   in Loop: Header=BB372_2086 Depth=1
	v_and_b32_e32 v5, 0xffff, v4
	v_mov_b32_e32 v3, 0x7f800001
	s_mov_b32 s18, exec_lo
	s_delay_alu instid0(VALU_DEP_2) | instskip(NEXT) | instid1(VALU_DEP_1)
	v_and_b32_e32 v4, 0x7f, v5
	v_cmpx_ne_u32_e32 0x7f, v4
	s_cbranch_execz .LBB372_3486
; %bb.3483:                             ;   in Loop: Header=BB372_2086 Depth=1
	v_dual_lshrrev_b32 v3, 3, v4 :: v_dual_bitop2_b32 v22, 7, v5 bitop3:0x40
	s_mov_b32 s19, exec_lo
	s_delay_alu instid0(VALU_DEP_1)
	v_mov_b64_e32 v[82:83], v[22:23]
	v_cmpx_gt_u32_e32 8, v4
; %bb.3484:                             ;   in Loop: Header=BB372_2086 Depth=1
	v_clz_i32_u32_e32 v3, v22
	s_delay_alu instid0(VALU_DEP_1) | instskip(NEXT) | instid1(VALU_DEP_1)
	v_min_u32_e32 v3, 32, v3
	v_subrev_nc_u32_e32 v4, 28, v3
	s_delay_alu instid0(VALU_DEP_1) | instskip(NEXT) | instid1(VALU_DEP_1)
	v_lshlrev_b64_e32 v[4:5], v4, v[22:23]
	v_dual_sub_nc_u32 v3, 29, v3 :: v_dual_bitop2_b32 v82, 7, v4 bitop3:0x40
; %bb.3485:                             ;   in Loop: Header=BB372_2086 Depth=1
	s_or_b32 exec_lo, exec_lo, s19
	s_delay_alu instid0(VALU_DEP_1) | instskip(NEXT) | instid1(VALU_DEP_2)
	v_dual_lshlrev_b32 v4, 16, v80 :: v_dual_lshlrev_b32 v5, 20, v82
	v_lshl_add_u32 v3, v3, 23, 0x3c000000
	s_delay_alu instid0(VALU_DEP_2) | instskip(NEXT) | instid1(VALU_DEP_1)
	v_and_b32_e32 v4, 0x80000000, v4
	v_or3_b32 v3, v5, v4, v3
.LBB372_3486:                           ;   in Loop: Header=BB372_2086 Depth=1
	s_or_b32 exec_lo, exec_lo, s18
.LBB372_3487:                           ;   in Loop: Header=BB372_2086 Depth=1
	s_delay_alu instid0(SALU_CYCLE_1)
	s_or_b32 exec_lo, exec_lo, s17
.LBB372_3488:                           ;   in Loop: Header=BB372_2086 Depth=1
	s_delay_alu instid0(SALU_CYCLE_1) | instskip(SKIP_3) | instid1(VALU_DEP_2)
	s_or_b32 exec_lo, exec_lo, s16
	v_dual_mov_b32 v5, 0 :: v_dual_lshrrev_b32 v6, 16, v80
	v_mov_b32_e32 v4, 0
	s_mov_b32 s16, exec_lo
	v_and_b32_e32 v7, 0xff, v6
	s_delay_alu instid0(VALU_DEP_1)
	v_cmpx_ne_u16_e32 0, v7
	s_cbranch_execz .LBB372_3496
; %bb.3489:                             ;   in Loop: Header=BB372_2086 Depth=1
	v_bfrev_b32_e32 v4, 1
	s_mov_b32 s17, exec_lo
	v_cmpx_ne_u16_e32 0x80, v7
	s_cbranch_execz .LBB372_3495
; %bb.3490:                             ;   in Loop: Header=BB372_2086 Depth=1
	v_bfe_u32 v7, v80, 16, 7
	v_mov_b32_e32 v4, 0x7f800001
	s_mov_b32 s18, exec_lo
	s_delay_alu instid0(VALU_DEP_2)
	v_cmpx_ne_u32_e32 0x7f, v7
	s_cbranch_execz .LBB372_3494
; %bb.3491:                             ;   in Loop: Header=BB372_2086 Depth=1
	v_dual_lshrrev_b32 v4, 3, v7 :: v_dual_bitop2_b32 v22, 7, v6 bitop3:0x40
	s_mov_b32 s19, exec_lo
	s_delay_alu instid0(VALU_DEP_1)
	v_mov_b64_e32 v[82:83], v[22:23]
	v_cmpx_gt_u32_e32 8, v7
; %bb.3492:                             ;   in Loop: Header=BB372_2086 Depth=1
	v_clz_i32_u32_e32 v4, v22
	s_delay_alu instid0(VALU_DEP_1) | instskip(NEXT) | instid1(VALU_DEP_1)
	v_min_u32_e32 v4, 32, v4
	v_subrev_nc_u32_e32 v7, 28, v4
	v_sub_nc_u32_e32 v4, 29, v4
	s_delay_alu instid0(VALU_DEP_2) | instskip(NEXT) | instid1(VALU_DEP_1)
	v_lshlrev_b64_e32 v[8:9], v7, v[22:23]
	v_and_b32_e32 v82, 7, v8
; %bb.3493:                             ;   in Loop: Header=BB372_2086 Depth=1
	s_or_b32 exec_lo, exec_lo, s19
	v_lshlrev_b32_e32 v6, 24, v6
	s_delay_alu instid0(VALU_DEP_2) | instskip(SKIP_1) | instid1(VALU_DEP_3)
	v_lshlrev_b32_e32 v7, 20, v82
	v_lshl_add_u32 v4, v4, 23, 0x3c000000
	v_and_b32_e32 v6, 0x80000000, v6
	s_delay_alu instid0(VALU_DEP_1)
	v_or3_b32 v4, v7, v6, v4
.LBB372_3494:                           ;   in Loop: Header=BB372_2086 Depth=1
	s_or_b32 exec_lo, exec_lo, s18
.LBB372_3495:                           ;   in Loop: Header=BB372_2086 Depth=1
	s_delay_alu instid0(SALU_CYCLE_1)
	s_or_b32 exec_lo, exec_lo, s17
.LBB372_3496:                           ;   in Loop: Header=BB372_2086 Depth=1
	s_delay_alu instid0(SALU_CYCLE_1) | instskip(NEXT) | instid1(SALU_CYCLE_1)
	s_or_b32 exec_lo, exec_lo, s16
	s_mov_b32 s16, exec_lo
	v_cmpx_lt_u32_e32 0xffffff, v80
	s_cbranch_execz .LBB372_3504
; %bb.3497:                             ;   in Loop: Header=BB372_2086 Depth=1
	v_lshrrev_b32_e32 v6, 24, v80
	v_bfrev_b32_e32 v5, 1
	s_mov_b32 s17, exec_lo
	s_delay_alu instid0(VALU_DEP_2)
	v_cmpx_ne_u32_e32 0x80, v6
	s_cbranch_execz .LBB372_3503
; %bb.3498:                             ;   in Loop: Header=BB372_2086 Depth=1
	v_bfe_u32 v7, v80, 24, 7
	v_mov_b32_e32 v5, 0x7f800001
	s_mov_b32 s18, exec_lo
	s_delay_alu instid0(VALU_DEP_2)
	v_cmpx_ne_u32_e32 0x7f, v7
	s_cbranch_execz .LBB372_3502
; %bb.3499:                             ;   in Loop: Header=BB372_2086 Depth=1
	v_dual_lshrrev_b32 v5, 3, v7 :: v_dual_bitop2_b32 v22, 7, v6 bitop3:0x40
	s_mov_b32 s19, exec_lo
	s_delay_alu instid0(VALU_DEP_1)
	v_mov_b64_e32 v[82:83], v[22:23]
	v_cmpx_gt_u32_e32 8, v7
; %bb.3500:                             ;   in Loop: Header=BB372_2086 Depth=1
	v_clz_i32_u32_e32 v5, v22
	s_delay_alu instid0(VALU_DEP_1) | instskip(NEXT) | instid1(VALU_DEP_1)
	v_min_u32_e32 v5, 32, v5
	v_subrev_nc_u32_e32 v7, 28, v5
	s_delay_alu instid0(VALU_DEP_1) | instskip(NEXT) | instid1(VALU_DEP_1)
	v_lshlrev_b64_e32 v[8:9], v7, v[22:23]
	v_dual_sub_nc_u32 v5, 29, v5 :: v_dual_bitop2_b32 v82, 7, v8 bitop3:0x40
; %bb.3501:                             ;   in Loop: Header=BB372_2086 Depth=1
	s_or_b32 exec_lo, exec_lo, s19
	v_lshlrev_b32_e32 v6, 24, v6
	s_delay_alu instid0(VALU_DEP_2) | instskip(NEXT) | instid1(VALU_DEP_3)
	v_lshlrev_b32_e32 v7, 20, v82
	v_lshl_add_u32 v5, v5, 23, 0x3c000000
	s_delay_alu instid0(VALU_DEP_3) | instskip(NEXT) | instid1(VALU_DEP_1)
	v_and_b32_e32 v6, 0x80000000, v6
	v_or3_b32 v5, v7, v6, v5
.LBB372_3502:                           ;   in Loop: Header=BB372_2086 Depth=1
	s_or_b32 exec_lo, exec_lo, s18
.LBB372_3503:                           ;   in Loop: Header=BB372_2086 Depth=1
	s_delay_alu instid0(SALU_CYCLE_1)
	s_or_b32 exec_lo, exec_lo, s17
.LBB372_3504:                           ;   in Loop: Header=BB372_2086 Depth=1
	s_delay_alu instid0(SALU_CYCLE_1) | instskip(SKIP_4) | instid1(VALU_DEP_3)
	s_or_b32 exec_lo, exec_lo, s16
	v_and_b32_e32 v8, 0xff, v81
	v_dual_mov_b32 v22, v81 :: v_dual_mov_b32 v7, 0
	v_mov_b32_e32 v6, 0
	s_mov_b32 s16, exec_lo
	v_cmpx_ne_u16_e32 0, v8
	s_cbranch_execz .LBB372_3512
; %bb.3505:                             ;   in Loop: Header=BB372_2086 Depth=1
	v_bfrev_b32_e32 v6, 1
	s_mov_b32 s17, exec_lo
	v_cmpx_ne_u16_e32 0x80, v8
	s_cbranch_execz .LBB372_3511
; %bb.3506:                             ;   in Loop: Header=BB372_2086 Depth=1
	v_and_b32_e32 v8, 0x7f, v81
	v_mov_b32_e32 v6, 0x7f800001
	s_mov_b32 s18, exec_lo
	s_delay_alu instid0(VALU_DEP_2)
	v_cmpx_ne_u32_e32 0x7f, v8
	s_cbranch_execz .LBB372_3510
; %bb.3507:                             ;   in Loop: Header=BB372_2086 Depth=1
	v_mov_b64_e32 v[82:83], v[22:23]
	v_lshrrev_b32_e32 v6, 3, v8
	s_mov_b32 s19, exec_lo
	v_cmpx_gt_u32_e32 8, v8
; %bb.3508:                             ;   in Loop: Header=BB372_2086 Depth=1
	v_and_b32_e32 v6, 7, v81
	s_delay_alu instid0(VALU_DEP_1) | instskip(NEXT) | instid1(VALU_DEP_1)
	v_clz_i32_u32_e32 v6, v6
	v_min_u32_e32 v6, 32, v6
	s_delay_alu instid0(VALU_DEP_1) | instskip(SKIP_1) | instid1(VALU_DEP_2)
	v_subrev_nc_u32_e32 v8, 28, v6
	v_sub_nc_u32_e32 v6, 29, v6
	v_lshlrev_b64_e32 v[82:83], v8, v[22:23]
; %bb.3509:                             ;   in Loop: Header=BB372_2086 Depth=1
	s_or_b32 exec_lo, exec_lo, s19
	s_delay_alu instid0(VALU_DEP_1) | instskip(SKIP_2) | instid1(VALU_DEP_3)
	v_lshlrev_b32_e32 v8, 20, v82
	v_lshlrev_b32_e32 v9, 24, v22
	v_lshl_add_u32 v6, v6, 23, 0x3c000000
	v_and_b32_e32 v8, 0x700000, v8
	s_delay_alu instid0(VALU_DEP_3) | instskip(NEXT) | instid1(VALU_DEP_1)
	v_and_b32_e32 v9, 0x80000000, v9
	v_or3_b32 v6, v8, v9, v6
.LBB372_3510:                           ;   in Loop: Header=BB372_2086 Depth=1
	s_or_b32 exec_lo, exec_lo, s18
.LBB372_3511:                           ;   in Loop: Header=BB372_2086 Depth=1
	s_delay_alu instid0(SALU_CYCLE_1)
	s_or_b32 exec_lo, exec_lo, s17
.LBB372_3512:                           ;   in Loop: Header=BB372_2086 Depth=1
	s_delay_alu instid0(SALU_CYCLE_1) | instskip(SKIP_2) | instid1(VALU_DEP_1)
	s_or_b32 exec_lo, exec_lo, s16
	v_lshrrev_b16 v8, 8, v22
	s_mov_b32 s16, exec_lo
	v_cmpx_ne_u16_e32 0, v8
	s_cbranch_execz .LBB372_3520
; %bb.3513:                             ;   in Loop: Header=BB372_2086 Depth=1
	v_bfrev_b32_e32 v7, 1
	s_mov_b32 s17, exec_lo
	v_cmpx_ne_u16_e32 0x80, v8
	s_cbranch_execz .LBB372_3519
; %bb.3514:                             ;   in Loop: Header=BB372_2086 Depth=1
	v_and_b32_e32 v9, 0xffff, v8
	v_mov_b32_e32 v7, 0x7f800001
	s_mov_b32 s18, exec_lo
	s_delay_alu instid0(VALU_DEP_2) | instskip(NEXT) | instid1(VALU_DEP_1)
	v_and_b32_e32 v8, 0x7f, v9
	v_cmpx_ne_u32_e32 0x7f, v8
	s_cbranch_execz .LBB372_3518
; %bb.3515:                             ;   in Loop: Header=BB372_2086 Depth=1
	v_dual_mov_b32 v83, v23 :: v_dual_bitop2_b32 v82, 7, v9 bitop3:0x40
	v_lshrrev_b32_e32 v7, 3, v8
	s_mov_b32 s19, exec_lo
	v_cmpx_gt_u32_e32 8, v8
; %bb.3516:                             ;   in Loop: Header=BB372_2086 Depth=1
	s_delay_alu instid0(VALU_DEP_3) | instskip(NEXT) | instid1(VALU_DEP_1)
	v_clz_i32_u32_e32 v7, v82
	v_min_u32_e32 v7, 32, v7
	s_delay_alu instid0(VALU_DEP_1) | instskip(NEXT) | instid1(VALU_DEP_1)
	v_subrev_nc_u32_e32 v8, 28, v7
	v_lshlrev_b64_e32 v[8:9], v8, v[82:83]
	s_delay_alu instid0(VALU_DEP_1)
	v_dual_sub_nc_u32 v7, 29, v7 :: v_dual_bitop2_b32 v82, 7, v8 bitop3:0x40
; %bb.3517:                             ;   in Loop: Header=BB372_2086 Depth=1
	s_or_b32 exec_lo, exec_lo, s19
	v_lshlrev_b32_e32 v8, 16, v22
	s_delay_alu instid0(VALU_DEP_2) | instskip(NEXT) | instid1(VALU_DEP_3)
	v_lshlrev_b32_e32 v9, 20, v82
	v_lshl_add_u32 v7, v7, 23, 0x3c000000
	s_delay_alu instid0(VALU_DEP_3) | instskip(NEXT) | instid1(VALU_DEP_1)
	v_and_b32_e32 v8, 0x80000000, v8
	v_or3_b32 v7, v9, v8, v7
.LBB372_3518:                           ;   in Loop: Header=BB372_2086 Depth=1
	s_or_b32 exec_lo, exec_lo, s18
.LBB372_3519:                           ;   in Loop: Header=BB372_2086 Depth=1
	s_delay_alu instid0(SALU_CYCLE_1)
	s_or_b32 exec_lo, exec_lo, s17
.LBB372_3520:                           ;   in Loop: Header=BB372_2086 Depth=1
	s_delay_alu instid0(SALU_CYCLE_1) | instskip(SKIP_3) | instid1(VALU_DEP_2)
	s_or_b32 exec_lo, exec_lo, s16
	v_dual_lshrrev_b32 v10, 16, v81 :: v_dual_mov_b32 v8, 0
	v_mov_b32_e32 v9, 0
	s_mov_b32 s16, exec_lo
	v_and_b32_e32 v11, 0xff, v10
	s_delay_alu instid0(VALU_DEP_1)
	v_cmpx_ne_u16_e32 0, v11
	s_cbranch_execz .LBB372_3528
; %bb.3521:                             ;   in Loop: Header=BB372_2086 Depth=1
	v_bfrev_b32_e32 v9, 1
	s_mov_b32 s17, exec_lo
	v_cmpx_ne_u16_e32 0x80, v11
	s_cbranch_execz .LBB372_3527
; %bb.3522:                             ;   in Loop: Header=BB372_2086 Depth=1
	v_bfe_u32 v11, v81, 16, 7
	v_mov_b32_e32 v9, 0x7f800001
	s_mov_b32 s18, exec_lo
	s_delay_alu instid0(VALU_DEP_2)
	v_cmpx_ne_u32_e32 0x7f, v11
	s_cbranch_execz .LBB372_3526
; %bb.3523:                             ;   in Loop: Header=BB372_2086 Depth=1
	v_dual_lshrrev_b32 v9, 3, v11 :: v_dual_bitop2_b32 v22, 7, v10 bitop3:0x40
	s_mov_b32 s19, exec_lo
	s_delay_alu instid0(VALU_DEP_1)
	v_mov_b64_e32 v[82:83], v[22:23]
	v_cmpx_gt_u32_e32 8, v11
; %bb.3524:                             ;   in Loop: Header=BB372_2086 Depth=1
	v_clz_i32_u32_e32 v9, v22
	s_delay_alu instid0(VALU_DEP_1) | instskip(NEXT) | instid1(VALU_DEP_1)
	v_min_u32_e32 v9, 32, v9
	v_subrev_nc_u32_e32 v11, 28, v9
	s_delay_alu instid0(VALU_DEP_1) | instskip(NEXT) | instid1(VALU_DEP_1)
	v_lshlrev_b64_e32 v[64:65], v11, v[22:23]
	v_dual_sub_nc_u32 v9, 29, v9 :: v_dual_bitop2_b32 v82, 7, v64 bitop3:0x40
; %bb.3525:                             ;   in Loop: Header=BB372_2086 Depth=1
	s_or_b32 exec_lo, exec_lo, s19
	v_lshlrev_b32_e32 v10, 24, v10
	s_delay_alu instid0(VALU_DEP_2) | instskip(NEXT) | instid1(VALU_DEP_3)
	v_lshlrev_b32_e32 v11, 20, v82
	v_lshl_add_u32 v9, v9, 23, 0x3c000000
	s_delay_alu instid0(VALU_DEP_3) | instskip(NEXT) | instid1(VALU_DEP_1)
	v_and_b32_e32 v10, 0x80000000, v10
	v_or3_b32 v9, v11, v10, v9
.LBB372_3526:                           ;   in Loop: Header=BB372_2086 Depth=1
	s_or_b32 exec_lo, exec_lo, s18
.LBB372_3527:                           ;   in Loop: Header=BB372_2086 Depth=1
	s_delay_alu instid0(SALU_CYCLE_1)
	s_or_b32 exec_lo, exec_lo, s17
.LBB372_3528:                           ;   in Loop: Header=BB372_2086 Depth=1
	s_delay_alu instid0(SALU_CYCLE_1) | instskip(NEXT) | instid1(SALU_CYCLE_1)
	s_or_b32 exec_lo, exec_lo, s16
	s_mov_b32 s16, exec_lo
	v_cmpx_lt_u64_e64 s[2:3], v[80:81]
	s_cbranch_execz .LBB372_3536
; %bb.3529:                             ;   in Loop: Header=BB372_2086 Depth=1
	v_lshrrev_b32_e32 v10, 24, v81
	v_bfrev_b32_e32 v8, 1
	s_mov_b32 s17, exec_lo
	s_delay_alu instid0(VALU_DEP_2)
	v_cmpx_ne_u32_e32 0x80, v10
	s_cbranch_execz .LBB372_3535
; %bb.3530:                             ;   in Loop: Header=BB372_2086 Depth=1
	v_bfe_u32 v11, v81, 24, 7
	v_mov_b32_e32 v8, 0x7f800001
	s_mov_b32 s18, exec_lo
	s_delay_alu instid0(VALU_DEP_2)
	v_cmpx_ne_u32_e32 0x7f, v11
	s_cbranch_execz .LBB372_3534
; %bb.3531:                             ;   in Loop: Header=BB372_2086 Depth=1
	v_dual_lshrrev_b32 v8, 3, v11 :: v_dual_bitop2_b32 v22, 7, v10 bitop3:0x40
	s_mov_b32 s19, exec_lo
	s_delay_alu instid0(VALU_DEP_1)
	v_mov_b64_e32 v[80:81], v[22:23]
	v_cmpx_gt_u32_e32 8, v11
; %bb.3532:                             ;   in Loop: Header=BB372_2086 Depth=1
	v_clz_i32_u32_e32 v8, v22
	s_delay_alu instid0(VALU_DEP_1) | instskip(NEXT) | instid1(VALU_DEP_1)
	v_min_u32_e32 v8, 32, v8
	v_subrev_nc_u32_e32 v11, 28, v8
	v_sub_nc_u32_e32 v8, 29, v8
	s_delay_alu instid0(VALU_DEP_2) | instskip(NEXT) | instid1(VALU_DEP_1)
	v_lshlrev_b64_e32 v[64:65], v11, v[22:23]
	v_and_b32_e32 v80, 7, v64
; %bb.3533:                             ;   in Loop: Header=BB372_2086 Depth=1
	s_or_b32 exec_lo, exec_lo, s19
	s_delay_alu instid0(VALU_DEP_1) | instskip(SKIP_1) | instid1(VALU_DEP_2)
	v_dual_lshlrev_b32 v10, 24, v10 :: v_dual_lshlrev_b32 v11, 20, v80
	v_lshl_add_u32 v8, v8, 23, 0x3c000000
	v_and_b32_e32 v10, 0x80000000, v10
	s_delay_alu instid0(VALU_DEP_1)
	v_or3_b32 v8, v11, v10, v8
.LBB372_3534:                           ;   in Loop: Header=BB372_2086 Depth=1
	s_or_b32 exec_lo, exec_lo, s18
.LBB372_3535:                           ;   in Loop: Header=BB372_2086 Depth=1
	s_delay_alu instid0(SALU_CYCLE_1)
	s_or_b32 exec_lo, exec_lo, s17
.LBB372_3536:                           ;   in Loop: Header=BB372_2086 Depth=1
	s_delay_alu instid0(SALU_CYCLE_1)
	s_or_b32 exec_lo, exec_lo, s16
	v_fma_mixlo_bf16 v2, v86, v2, 0
	v_fma_mixlo_bf16 v7, v86, v7, 0
	;; [unrolled: 1-line block ×5, first 2 shown]
	scratch_store_b32 off, v2, s32 offset:1452 ; 4-byte Folded Spill
	s_wait_xcnt 0x0
	v_fma_mixlo_bf16 v2, v86, v9, 0
	s_clause 0x4
	scratch_store_b32 off, v7, s32 offset:1396
	scratch_store_b32 off, v6, s32 offset:1404
	;; [unrolled: 1-line block ×5, first 2 shown]
	v_fma_mixlo_bf16 v3, v86, v3, 0
	s_wait_xcnt 0x0
	v_fma_mixlo_bf16 v2, v86, v8, 0
	s_clause 0x1
	scratch_store_b32 off, v3, s32 offset:1444
	scratch_store_b32 off, v2, s32 offset:1428
	s_wait_xcnt 0x0
	s_and_saveexec_b32 s16, vcc_lo
	s_cbranch_execz .LBB372_3538
; %bb.3537:                             ;   in Loop: Header=BB372_2086 Depth=1
	s_clause 0x1
	scratch_load_b32 v2, off, s32 offset:192
	scratch_load_b32 v3, off, s32 offset:1452
	s_wait_loadcnt 0x1
	v_cmp_lt_i32_e64 s0, v63, v2
	s_wait_loadcnt 0x0
	s_delay_alu instid0(VALU_DEP_1)
	v_cndmask_b32_e64 v3, 0, v3, s0
	v_cmp_lt_i32_e64 s0, v95, v2
	s_clause 0x1
	scratch_store_b32 off, v3, s32 offset:1452
	scratch_load_b32 v3, off, s32 offset:1444
	s_wait_loadcnt 0x0
	v_cndmask_b32_e64 v3, 0, v3, s0
	v_cmp_lt_i32_e64 s0, v94, v2
	s_clause 0x1
	scratch_store_b32 off, v3, s32 offset:1444
	scratch_load_b32 v3, off, s32 offset:1436
	s_wait_loadcnt 0x0
	v_cndmask_b32_e64 v3, 0, v3, s0
	v_cmp_lt_i32_e64 s0, v93, v2
	s_clause 0x1
	scratch_store_b32 off, v3, s32 offset:1436
	scratch_load_b32 v3, off, s32 offset:1420
	s_wait_loadcnt 0x0
	v_cndmask_b32_e64 v3, 0, v3, s0
	v_cmp_lt_i32_e64 s0, v92, v2
	s_clause 0x1
	scratch_store_b32 off, v3, s32 offset:1420
	scratch_load_b32 v3, off, s32 offset:1404
	s_wait_loadcnt 0x0
	v_cndmask_b32_e64 v3, 0, v3, s0
	v_cmp_lt_i32_e64 s0, v91, v2
	s_clause 0x1
	scratch_store_b32 off, v3, s32 offset:1404
	scratch_load_b32 v3, off, s32 offset:1396
	s_wait_loadcnt 0x0
	v_cndmask_b32_e64 v3, 0, v3, s0
	v_cmp_lt_i32_e64 s0, v90, v2
	s_clause 0x1
	scratch_store_b32 off, v3, s32 offset:1396
	scratch_load_b32 v3, off, s32 offset:1412
	s_wait_loadcnt 0x0
	v_cndmask_b32_e64 v3, 0, v3, s0
	v_cmp_lt_i32_e64 s0, v89, v2
	scratch_load_b32 v2, off, s32 offset:1428 ; 4-byte Folded Reload
	s_wait_loadcnt 0x0
	v_cndmask_b32_e64 v2, 0, v2, s0
	s_clause 0x1
	scratch_store_b32 off, v3, s32 offset:1412
	scratch_store_b32 off, v2, s32 offset:1428
.LBB372_3538:                           ;   in Loop: Header=BB372_2086 Depth=1
	s_wait_xcnt 0x0
	s_or_b32 exec_lo, exec_lo, s16
	flat_load_b64 v[80:81], v[18:19] offset:5632
	v_dual_mov_b32 v6, 0 :: v_dual_mov_b32 v2, 0
	s_mov_b32 s16, exec_lo
	s_wait_loadcnt_dscnt 0x0
	v_and_b32_e32 v3, 0xff, v80
	s_wait_xcnt 0x0
	s_delay_alu instid0(VALU_DEP_1)
	v_cmpx_ne_u16_e32 0, v3
	s_cbranch_execz .LBB372_3546
; %bb.3539:                             ;   in Loop: Header=BB372_2086 Depth=1
	v_bfrev_b32_e32 v2, 1
	s_mov_b32 s17, exec_lo
	v_cmpx_ne_u16_e32 0x80, v3
	s_cbranch_execz .LBB372_3545
; %bb.3540:                             ;   in Loop: Header=BB372_2086 Depth=1
	v_and_b32_e32 v3, 0x7f, v80
	v_mov_b32_e32 v2, 0x7f800001
	s_mov_b32 s18, exec_lo
	s_delay_alu instid0(VALU_DEP_2)
	v_cmpx_ne_u32_e32 0x7f, v3
	s_cbranch_execz .LBB372_3544
; %bb.3541:                             ;   in Loop: Header=BB372_2086 Depth=1
	v_mov_b64_e32 v[82:83], v[80:81]
	v_lshrrev_b32_e32 v2, 3, v3
	s_mov_b32 s19, exec_lo
	v_cmpx_gt_u32_e32 8, v3
; %bb.3542:                             ;   in Loop: Header=BB372_2086 Depth=1
	v_and_b32_e32 v2, 7, v80
	s_delay_alu instid0(VALU_DEP_1) | instskip(NEXT) | instid1(VALU_DEP_1)
	v_clz_i32_u32_e32 v2, v2
	v_min_u32_e32 v2, 32, v2
	s_delay_alu instid0(VALU_DEP_1) | instskip(SKIP_1) | instid1(VALU_DEP_2)
	v_subrev_nc_u32_e32 v3, 28, v2
	v_sub_nc_u32_e32 v2, 29, v2
	v_lshlrev_b64_e32 v[82:83], v3, v[80:81]
; %bb.3543:                             ;   in Loop: Header=BB372_2086 Depth=1
	s_or_b32 exec_lo, exec_lo, s19
	s_delay_alu instid0(VALU_DEP_1) | instskip(NEXT) | instid1(VALU_DEP_3)
	v_dual_lshlrev_b32 v3, 20, v82 :: v_dual_lshlrev_b32 v4, 24, v80
	v_lshl_add_u32 v2, v2, 23, 0x3c000000
	s_delay_alu instid0(VALU_DEP_2) | instskip(NEXT) | instid1(VALU_DEP_3)
	v_and_b32_e32 v3, 0x700000, v3
	v_and_b32_e32 v4, 0x80000000, v4
	s_delay_alu instid0(VALU_DEP_1)
	v_or3_b32 v2, v3, v4, v2
.LBB372_3544:                           ;   in Loop: Header=BB372_2086 Depth=1
	s_or_b32 exec_lo, exec_lo, s18
.LBB372_3545:                           ;   in Loop: Header=BB372_2086 Depth=1
	s_delay_alu instid0(SALU_CYCLE_1)
	s_or_b32 exec_lo, exec_lo, s17
.LBB372_3546:                           ;   in Loop: Header=BB372_2086 Depth=1
	s_delay_alu instid0(SALU_CYCLE_1) | instskip(SKIP_2) | instid1(VALU_DEP_1)
	s_or_b32 exec_lo, exec_lo, s16
	v_lshrrev_b16 v3, 8, v80
	s_mov_b32 s16, exec_lo
	v_cmpx_ne_u16_e32 0, v3
	s_cbranch_execz .LBB372_3554
; %bb.3547:                             ;   in Loop: Header=BB372_2086 Depth=1
	v_bfrev_b32_e32 v6, 1
	s_mov_b32 s17, exec_lo
	v_cmpx_ne_u16_e32 0x80, v3
	s_cbranch_execz .LBB372_3553
; %bb.3548:                             ;   in Loop: Header=BB372_2086 Depth=1
	v_and_b32_e32 v3, 0xffff, v3
	v_mov_b32_e32 v6, 0x7f800001
	s_mov_b32 s18, exec_lo
	s_delay_alu instid0(VALU_DEP_2) | instskip(NEXT) | instid1(VALU_DEP_1)
	v_and_b32_e32 v4, 0x7f, v3
	v_cmpx_ne_u32_e32 0x7f, v4
	s_cbranch_execz .LBB372_3552
; %bb.3549:                             ;   in Loop: Header=BB372_2086 Depth=1
	v_dual_lshrrev_b32 v3, 3, v4 :: v_dual_bitop2_b32 v22, 7, v3 bitop3:0x40
	s_mov_b32 s19, exec_lo
	s_delay_alu instid0(VALU_DEP_1)
	v_mov_b64_e32 v[82:83], v[22:23]
	v_cmpx_gt_u32_e32 8, v4
; %bb.3550:                             ;   in Loop: Header=BB372_2086 Depth=1
	v_clz_i32_u32_e32 v3, v22
	s_delay_alu instid0(VALU_DEP_1) | instskip(NEXT) | instid1(VALU_DEP_1)
	v_min_u32_e32 v3, 32, v3
	v_subrev_nc_u32_e32 v4, 28, v3
	s_delay_alu instid0(VALU_DEP_1) | instskip(NEXT) | instid1(VALU_DEP_1)
	v_lshlrev_b64_e32 v[4:5], v4, v[22:23]
	v_dual_sub_nc_u32 v3, 29, v3 :: v_dual_bitop2_b32 v82, 7, v4 bitop3:0x40
; %bb.3551:                             ;   in Loop: Header=BB372_2086 Depth=1
	s_or_b32 exec_lo, exec_lo, s19
	s_delay_alu instid0(VALU_DEP_1) | instskip(NEXT) | instid1(VALU_DEP_2)
	v_dual_lshlrev_b32 v4, 16, v80 :: v_dual_lshlrev_b32 v5, 20, v82
	v_lshl_add_u32 v3, v3, 23, 0x3c000000
	s_delay_alu instid0(VALU_DEP_2) | instskip(NEXT) | instid1(VALU_DEP_1)
	v_and_b32_e32 v4, 0x80000000, v4
	v_or3_b32 v6, v5, v4, v3
.LBB372_3552:                           ;   in Loop: Header=BB372_2086 Depth=1
	s_or_b32 exec_lo, exec_lo, s18
.LBB372_3553:                           ;   in Loop: Header=BB372_2086 Depth=1
	s_delay_alu instid0(SALU_CYCLE_1)
	s_or_b32 exec_lo, exec_lo, s17
.LBB372_3554:                           ;   in Loop: Header=BB372_2086 Depth=1
	s_delay_alu instid0(SALU_CYCLE_1) | instskip(SKIP_3) | instid1(VALU_DEP_2)
	s_or_b32 exec_lo, exec_lo, s16
	v_dual_lshrrev_b32 v4, 16, v80 :: v_dual_mov_b32 v8, 0
	v_mov_b32_e32 v7, 0
	s_mov_b32 s16, exec_lo
	v_and_b32_e32 v3, 0xff, v4
	s_delay_alu instid0(VALU_DEP_1)
	v_cmpx_ne_u16_e32 0, v3
	s_cbranch_execz .LBB372_3562
; %bb.3555:                             ;   in Loop: Header=BB372_2086 Depth=1
	v_bfrev_b32_e32 v7, 1
	s_mov_b32 s17, exec_lo
	v_cmpx_ne_u16_e32 0x80, v3
	s_cbranch_execz .LBB372_3561
; %bb.3556:                             ;   in Loop: Header=BB372_2086 Depth=1
	v_bfe_u32 v5, v80, 16, 7
	v_mov_b32_e32 v7, 0x7f800001
	s_mov_b32 s18, exec_lo
	s_delay_alu instid0(VALU_DEP_2)
	v_cmpx_ne_u32_e32 0x7f, v5
	s_cbranch_execz .LBB372_3560
; %bb.3557:                             ;   in Loop: Header=BB372_2086 Depth=1
	v_dual_lshrrev_b32 v3, 3, v5 :: v_dual_bitop2_b32 v22, 7, v4 bitop3:0x40
	s_mov_b32 s19, exec_lo
	s_delay_alu instid0(VALU_DEP_1)
	v_mov_b64_e32 v[82:83], v[22:23]
	v_cmpx_gt_u32_e32 8, v5
; %bb.3558:                             ;   in Loop: Header=BB372_2086 Depth=1
	v_clz_i32_u32_e32 v3, v22
	s_delay_alu instid0(VALU_DEP_1) | instskip(NEXT) | instid1(VALU_DEP_1)
	v_min_u32_e32 v3, 32, v3
	v_subrev_nc_u32_e32 v5, 28, v3
	s_delay_alu instid0(VALU_DEP_1) | instskip(NEXT) | instid1(VALU_DEP_1)
	v_lshlrev_b64_e32 v[10:11], v5, v[22:23]
	v_dual_sub_nc_u32 v3, 29, v3 :: v_dual_bitop2_b32 v82, 7, v10 bitop3:0x40
; %bb.3559:                             ;   in Loop: Header=BB372_2086 Depth=1
	s_or_b32 exec_lo, exec_lo, s19
	s_delay_alu instid0(VALU_DEP_1) | instskip(NEXT) | instid1(VALU_DEP_2)
	v_dual_lshlrev_b32 v4, 24, v4 :: v_dual_lshlrev_b32 v5, 20, v82
	v_lshl_add_u32 v3, v3, 23, 0x3c000000
	s_delay_alu instid0(VALU_DEP_2) | instskip(NEXT) | instid1(VALU_DEP_1)
	v_and_b32_e32 v4, 0x80000000, v4
	v_or3_b32 v7, v5, v4, v3
.LBB372_3560:                           ;   in Loop: Header=BB372_2086 Depth=1
	s_or_b32 exec_lo, exec_lo, s18
.LBB372_3561:                           ;   in Loop: Header=BB372_2086 Depth=1
	s_delay_alu instid0(SALU_CYCLE_1)
	s_or_b32 exec_lo, exec_lo, s17
.LBB372_3562:                           ;   in Loop: Header=BB372_2086 Depth=1
	s_delay_alu instid0(SALU_CYCLE_1) | instskip(NEXT) | instid1(SALU_CYCLE_1)
	s_or_b32 exec_lo, exec_lo, s16
	s_mov_b32 s16, exec_lo
	v_cmpx_lt_u32_e32 0xffffff, v80
	s_cbranch_execz .LBB372_3570
; %bb.3563:                             ;   in Loop: Header=BB372_2086 Depth=1
	v_lshrrev_b32_e32 v3, 24, v80
	v_bfrev_b32_e32 v8, 1
	s_mov_b32 s17, exec_lo
	s_delay_alu instid0(VALU_DEP_2)
	v_cmpx_ne_u32_e32 0x80, v3
	s_cbranch_execz .LBB372_3569
; %bb.3564:                             ;   in Loop: Header=BB372_2086 Depth=1
	v_bfe_u32 v5, v80, 24, 7
	v_mov_b32_e32 v8, 0x7f800001
	s_mov_b32 s18, exec_lo
	s_delay_alu instid0(VALU_DEP_2)
	v_cmpx_ne_u32_e32 0x7f, v5
	s_cbranch_execz .LBB372_3568
; %bb.3565:                             ;   in Loop: Header=BB372_2086 Depth=1
	v_dual_lshrrev_b32 v4, 3, v5 :: v_dual_bitop2_b32 v22, 7, v3 bitop3:0x40
	s_mov_b32 s19, exec_lo
	s_delay_alu instid0(VALU_DEP_1)
	v_mov_b64_e32 v[82:83], v[22:23]
	v_cmpx_gt_u32_e32 8, v5
; %bb.3566:                             ;   in Loop: Header=BB372_2086 Depth=1
	v_clz_i32_u32_e32 v4, v22
	s_delay_alu instid0(VALU_DEP_1) | instskip(NEXT) | instid1(VALU_DEP_1)
	v_min_u32_e32 v4, 32, v4
	v_subrev_nc_u32_e32 v5, 28, v4
	v_sub_nc_u32_e32 v4, 29, v4
	s_delay_alu instid0(VALU_DEP_2) | instskip(NEXT) | instid1(VALU_DEP_1)
	v_lshlrev_b64_e32 v[8:9], v5, v[22:23]
	v_and_b32_e32 v82, 7, v8
; %bb.3567:                             ;   in Loop: Header=BB372_2086 Depth=1
	s_or_b32 exec_lo, exec_lo, s19
	s_delay_alu instid0(VALU_DEP_1) | instskip(SKIP_1) | instid1(VALU_DEP_2)
	v_dual_lshlrev_b32 v3, 24, v3 :: v_dual_lshlrev_b32 v5, 20, v82
	v_lshl_add_u32 v4, v4, 23, 0x3c000000
	v_and_b32_e32 v3, 0x80000000, v3
	s_delay_alu instid0(VALU_DEP_1)
	v_or3_b32 v8, v5, v3, v4
.LBB372_3568:                           ;   in Loop: Header=BB372_2086 Depth=1
	s_or_b32 exec_lo, exec_lo, s18
.LBB372_3569:                           ;   in Loop: Header=BB372_2086 Depth=1
	s_delay_alu instid0(SALU_CYCLE_1)
	s_or_b32 exec_lo, exec_lo, s17
.LBB372_3570:                           ;   in Loop: Header=BB372_2086 Depth=1
	s_delay_alu instid0(SALU_CYCLE_1) | instskip(SKIP_4) | instid1(VALU_DEP_3)
	s_or_b32 exec_lo, exec_lo, s16
	v_and_b32_e32 v3, 0xff, v81
	v_dual_mov_b32 v22, v81 :: v_dual_mov_b32 v4, 0
	v_mov_b32_e32 v5, 0
	s_mov_b32 s16, exec_lo
	v_cmpx_ne_u16_e32 0, v3
	s_cbranch_execz .LBB372_3578
; %bb.3571:                             ;   in Loop: Header=BB372_2086 Depth=1
	v_bfrev_b32_e32 v5, 1
	s_mov_b32 s17, exec_lo
	v_cmpx_ne_u16_e32 0x80, v3
	s_cbranch_execz .LBB372_3577
; %bb.3572:                             ;   in Loop: Header=BB372_2086 Depth=1
	v_and_b32_e32 v9, 0x7f, v81
	v_mov_b32_e32 v5, 0x7f800001
	s_mov_b32 s18, exec_lo
	s_delay_alu instid0(VALU_DEP_2)
	v_cmpx_ne_u32_e32 0x7f, v9
	s_cbranch_execz .LBB372_3576
; %bb.3573:                             ;   in Loop: Header=BB372_2086 Depth=1
	v_mov_b64_e32 v[82:83], v[22:23]
	v_lshrrev_b32_e32 v3, 3, v9
	s_mov_b32 s19, exec_lo
	v_cmpx_gt_u32_e32 8, v9
; %bb.3574:                             ;   in Loop: Header=BB372_2086 Depth=1
	v_and_b32_e32 v3, 7, v81
	s_delay_alu instid0(VALU_DEP_1) | instskip(NEXT) | instid1(VALU_DEP_1)
	v_clz_i32_u32_e32 v3, v3
	v_min_u32_e32 v3, 32, v3
	s_delay_alu instid0(VALU_DEP_1) | instskip(SKIP_1) | instid1(VALU_DEP_2)
	v_subrev_nc_u32_e32 v5, 28, v3
	v_sub_nc_u32_e32 v3, 29, v3
	v_lshlrev_b64_e32 v[82:83], v5, v[22:23]
; %bb.3575:                             ;   in Loop: Header=BB372_2086 Depth=1
	s_or_b32 exec_lo, exec_lo, s19
	s_delay_alu instid0(VALU_DEP_1) | instskip(SKIP_2) | instid1(VALU_DEP_3)
	v_lshlrev_b32_e32 v5, 20, v82
	v_lshlrev_b32_e32 v9, 24, v22
	v_lshl_add_u32 v3, v3, 23, 0x3c000000
	v_and_b32_e32 v5, 0x700000, v5
	s_delay_alu instid0(VALU_DEP_3) | instskip(NEXT) | instid1(VALU_DEP_1)
	v_and_b32_e32 v9, 0x80000000, v9
	v_or3_b32 v5, v5, v9, v3
.LBB372_3576:                           ;   in Loop: Header=BB372_2086 Depth=1
	s_or_b32 exec_lo, exec_lo, s18
.LBB372_3577:                           ;   in Loop: Header=BB372_2086 Depth=1
	s_delay_alu instid0(SALU_CYCLE_1)
	s_or_b32 exec_lo, exec_lo, s17
.LBB372_3578:                           ;   in Loop: Header=BB372_2086 Depth=1
	s_delay_alu instid0(SALU_CYCLE_1) | instskip(SKIP_2) | instid1(VALU_DEP_1)
	s_or_b32 exec_lo, exec_lo, s16
	v_lshrrev_b16 v3, 8, v22
	s_mov_b32 s16, exec_lo
	v_cmpx_ne_u16_e32 0, v3
	s_cbranch_execz .LBB372_3586
; %bb.3579:                             ;   in Loop: Header=BB372_2086 Depth=1
	v_bfrev_b32_e32 v4, 1
	s_mov_b32 s17, exec_lo
	v_cmpx_ne_u16_e32 0x80, v3
	s_cbranch_execz .LBB372_3585
; %bb.3580:                             ;   in Loop: Header=BB372_2086 Depth=1
	v_and_b32_e32 v3, 0xffff, v3
	v_mov_b32_e32 v4, 0x7f800001
	s_mov_b32 s18, exec_lo
	s_delay_alu instid0(VALU_DEP_2) | instskip(NEXT) | instid1(VALU_DEP_1)
	v_and_b32_e32 v9, 0x7f, v3
	v_cmpx_ne_u32_e32 0x7f, v9
	s_cbranch_execz .LBB372_3584
; %bb.3581:                             ;   in Loop: Header=BB372_2086 Depth=1
	v_dual_mov_b32 v83, v23 :: v_dual_bitop2_b32 v82, 7, v3 bitop3:0x40
	v_lshrrev_b32_e32 v3, 3, v9
	s_mov_b32 s19, exec_lo
	v_cmpx_gt_u32_e32 8, v9
; %bb.3582:                             ;   in Loop: Header=BB372_2086 Depth=1
	s_delay_alu instid0(VALU_DEP_3) | instskip(NEXT) | instid1(VALU_DEP_1)
	v_clz_i32_u32_e32 v3, v82
	v_min_u32_e32 v3, 32, v3
	s_delay_alu instid0(VALU_DEP_1) | instskip(NEXT) | instid1(VALU_DEP_1)
	v_subrev_nc_u32_e32 v4, 28, v3
	v_lshlrev_b64_e32 v[10:11], v4, v[82:83]
	s_delay_alu instid0(VALU_DEP_1)
	v_dual_sub_nc_u32 v3, 29, v3 :: v_dual_bitop2_b32 v82, 7, v10 bitop3:0x40
; %bb.3583:                             ;   in Loop: Header=BB372_2086 Depth=1
	s_or_b32 exec_lo, exec_lo, s19
	v_lshlrev_b32_e32 v4, 16, v22
	s_delay_alu instid0(VALU_DEP_2) | instskip(NEXT) | instid1(VALU_DEP_3)
	v_lshlrev_b32_e32 v9, 20, v82
	v_lshl_add_u32 v3, v3, 23, 0x3c000000
	s_delay_alu instid0(VALU_DEP_3) | instskip(NEXT) | instid1(VALU_DEP_1)
	v_and_b32_e32 v4, 0x80000000, v4
	v_or3_b32 v4, v9, v4, v3
.LBB372_3584:                           ;   in Loop: Header=BB372_2086 Depth=1
	s_or_b32 exec_lo, exec_lo, s18
.LBB372_3585:                           ;   in Loop: Header=BB372_2086 Depth=1
	s_delay_alu instid0(SALU_CYCLE_1)
	s_or_b32 exec_lo, exec_lo, s17
.LBB372_3586:                           ;   in Loop: Header=BB372_2086 Depth=1
	s_delay_alu instid0(SALU_CYCLE_1) | instskip(SKIP_3) | instid1(VALU_DEP_2)
	s_or_b32 exec_lo, exec_lo, s16
	v_dual_mov_b32 v10, 0 :: v_dual_lshrrev_b32 v9, 16, v81
	v_mov_b32_e32 v11, 0
	s_mov_b32 s16, exec_lo
	v_and_b32_e32 v3, 0xff, v9
	s_delay_alu instid0(VALU_DEP_1)
	v_cmpx_ne_u16_e32 0, v3
	s_cbranch_execz .LBB372_3594
; %bb.3587:                             ;   in Loop: Header=BB372_2086 Depth=1
	v_bfrev_b32_e32 v11, 1
	s_mov_b32 s17, exec_lo
	v_cmpx_ne_u16_e32 0x80, v3
	s_cbranch_execz .LBB372_3593
; %bb.3588:                             ;   in Loop: Header=BB372_2086 Depth=1
	v_bfe_u32 v64, v81, 16, 7
	v_mov_b32_e32 v11, 0x7f800001
	s_mov_b32 s18, exec_lo
	s_delay_alu instid0(VALU_DEP_2)
	v_cmpx_ne_u32_e32 0x7f, v64
	s_cbranch_execz .LBB372_3592
; %bb.3589:                             ;   in Loop: Header=BB372_2086 Depth=1
	v_dual_lshrrev_b32 v3, 3, v64 :: v_dual_bitop2_b32 v22, 7, v9 bitop3:0x40
	s_mov_b32 s19, exec_lo
	s_delay_alu instid0(VALU_DEP_1)
	v_mov_b64_e32 v[82:83], v[22:23]
	v_cmpx_gt_u32_e32 8, v64
; %bb.3590:                             ;   in Loop: Header=BB372_2086 Depth=1
	v_clz_i32_u32_e32 v3, v22
	s_delay_alu instid0(VALU_DEP_1) | instskip(NEXT) | instid1(VALU_DEP_1)
	v_min_u32_e32 v3, 32, v3
	v_subrev_nc_u32_e32 v11, 28, v3
	s_delay_alu instid0(VALU_DEP_1) | instskip(NEXT) | instid1(VALU_DEP_1)
	v_lshlrev_b64_e32 v[64:65], v11, v[22:23]
	v_dual_sub_nc_u32 v3, 29, v3 :: v_dual_bitop2_b32 v82, 7, v64 bitop3:0x40
; %bb.3591:                             ;   in Loop: Header=BB372_2086 Depth=1
	s_or_b32 exec_lo, exec_lo, s19
	s_delay_alu instid0(VALU_DEP_1) | instskip(NEXT) | instid1(VALU_DEP_2)
	v_dual_lshlrev_b32 v9, 24, v9 :: v_dual_lshlrev_b32 v11, 20, v82
	v_lshl_add_u32 v3, v3, 23, 0x3c000000
	s_delay_alu instid0(VALU_DEP_2) | instskip(NEXT) | instid1(VALU_DEP_1)
	v_and_b32_e32 v9, 0x80000000, v9
	v_or3_b32 v11, v11, v9, v3
.LBB372_3592:                           ;   in Loop: Header=BB372_2086 Depth=1
	s_or_b32 exec_lo, exec_lo, s18
.LBB372_3593:                           ;   in Loop: Header=BB372_2086 Depth=1
	s_delay_alu instid0(SALU_CYCLE_1)
	s_or_b32 exec_lo, exec_lo, s17
.LBB372_3594:                           ;   in Loop: Header=BB372_2086 Depth=1
	s_delay_alu instid0(SALU_CYCLE_1) | instskip(NEXT) | instid1(SALU_CYCLE_1)
	s_or_b32 exec_lo, exec_lo, s16
	s_mov_b32 s16, exec_lo
	v_cmpx_lt_u64_e64 s[2:3], v[80:81]
	s_cbranch_execz .LBB372_3602
; %bb.3595:                             ;   in Loop: Header=BB372_2086 Depth=1
	v_lshrrev_b32_e32 v3, 24, v81
	v_bfrev_b32_e32 v10, 1
	s_mov_b32 s17, exec_lo
	s_delay_alu instid0(VALU_DEP_2)
	v_cmpx_ne_u32_e32 0x80, v3
	s_cbranch_execz .LBB372_3601
; %bb.3596:                             ;   in Loop: Header=BB372_2086 Depth=1
	v_bfe_u32 v64, v81, 24, 7
	v_mov_b32_e32 v10, 0x7f800001
	s_mov_b32 s18, exec_lo
	s_delay_alu instid0(VALU_DEP_2)
	v_cmpx_ne_u32_e32 0x7f, v64
	s_cbranch_execz .LBB372_3600
; %bb.3597:                             ;   in Loop: Header=BB372_2086 Depth=1
	v_dual_lshrrev_b32 v9, 3, v64 :: v_dual_bitop2_b32 v22, 7, v3 bitop3:0x40
	s_mov_b32 s19, exec_lo
	s_delay_alu instid0(VALU_DEP_1)
	v_mov_b64_e32 v[80:81], v[22:23]
	v_cmpx_gt_u32_e32 8, v64
; %bb.3598:                             ;   in Loop: Header=BB372_2086 Depth=1
	v_clz_i32_u32_e32 v9, v22
	s_delay_alu instid0(VALU_DEP_1) | instskip(NEXT) | instid1(VALU_DEP_1)
	v_min_u32_e32 v9, 32, v9
	v_subrev_nc_u32_e32 v10, 28, v9
	s_delay_alu instid0(VALU_DEP_1) | instskip(NEXT) | instid1(VALU_DEP_1)
	v_lshlrev_b64_e32 v[64:65], v10, v[22:23]
	v_dual_sub_nc_u32 v9, 29, v9 :: v_dual_bitop2_b32 v80, 7, v64 bitop3:0x40
; %bb.3599:                             ;   in Loop: Header=BB372_2086 Depth=1
	s_or_b32 exec_lo, exec_lo, s19
	s_delay_alu instid0(VALU_DEP_1) | instskip(NEXT) | instid1(VALU_DEP_2)
	v_dual_lshlrev_b32 v3, 24, v3 :: v_dual_lshlrev_b32 v10, 20, v80
	v_lshl_add_u32 v9, v9, 23, 0x3c000000
	s_delay_alu instid0(VALU_DEP_2) | instskip(NEXT) | instid1(VALU_DEP_1)
	v_and_b32_e32 v3, 0x80000000, v3
	v_or3_b32 v10, v10, v3, v9
.LBB372_3600:                           ;   in Loop: Header=BB372_2086 Depth=1
	s_or_b32 exec_lo, exec_lo, s18
.LBB372_3601:                           ;   in Loop: Header=BB372_2086 Depth=1
	s_delay_alu instid0(SALU_CYCLE_1)
	s_or_b32 exec_lo, exec_lo, s17
.LBB372_3602:                           ;   in Loop: Header=BB372_2086 Depth=1
	s_delay_alu instid0(SALU_CYCLE_1)
	s_or_b32 exec_lo, exec_lo, s16
	v_fma_mixlo_bf16 v3, v86, v4, 0
	v_fma_mixlo_bf16 v5, v86, v5, 0
	;; [unrolled: 1-line block ×8, first 2 shown]
	scratch_store_b32 off, v3, s32 offset:1460 ; 4-byte Folded Spill
	s_wait_xcnt 0x0
	s_and_saveexec_b32 s16, vcc_lo
	s_cbranch_execz .LBB372_3604
; %bb.3603:                             ;   in Loop: Header=BB372_2086 Depth=1
	s_clause 0x1
	scratch_load_b32 v2, off, s32 offset:192
	scratch_load_b32 v3, off, s32 offset:1460
	s_wait_loadcnt 0x1
	v_cmp_lt_i32_e64 s0, v63, v2
	s_delay_alu instid0(VALU_DEP_1) | instskip(SKIP_1) | instid1(VALU_DEP_1)
	v_cndmask_b32_e64 v74, 0, v74, s0
	v_cmp_lt_i32_e64 s0, v95, v2
	v_cndmask_b32_e64 v72, 0, v72, s0
	v_cmp_lt_i32_e64 s0, v94, v2
	s_delay_alu instid0(VALU_DEP_1) | instskip(SKIP_1) | instid1(VALU_DEP_1)
	v_cndmask_b32_e64 v9, 0, v9, s0
	v_cmp_lt_i32_e64 s0, v93, v2
	v_cndmask_b32_e64 v8, 0, v8, s0
	v_cmp_lt_i32_e64 s0, v92, v2
	s_delay_alu instid0(VALU_DEP_1) | instskip(SKIP_2) | instid1(VALU_DEP_1)
	v_cndmask_b32_e64 v5, 0, v5, s0
	v_cmp_lt_i32_e64 s0, v91, v2
	s_wait_loadcnt 0x0
	v_cndmask_b32_e64 v3, 0, v3, s0
	v_cmp_lt_i32_e64 s0, v90, v2
	scratch_store_b32 off, v3, s32 offset:1460 ; 4-byte Folded Spill
	v_cndmask_b32_e64 v6, 0, v6, s0
	v_cmp_lt_i32_e64 s0, v89, v2
	s_delay_alu instid0(VALU_DEP_1)
	v_cndmask_b32_e64 v7, 0, v7, s0
.LBB372_3604:                           ;   in Loop: Header=BB372_2086 Depth=1
	s_wait_xcnt 0x0
	s_or_b32 exec_lo, exec_lo, s16
	flat_load_b64 v[80:81], v[18:19] offset:5888
	v_dual_mov_b32 v10, 0 :: v_dual_mov_b32 v2, 0
	s_mov_b32 s16, exec_lo
	s_wait_loadcnt_dscnt 0x0
	v_and_b32_e32 v3, 0xff, v80
	s_wait_xcnt 0x0
	s_delay_alu instid0(VALU_DEP_1)
	v_cmpx_ne_u16_e32 0, v3
	s_cbranch_execz .LBB372_3612
; %bb.3605:                             ;   in Loop: Header=BB372_2086 Depth=1
	v_bfrev_b32_e32 v2, 1
	s_mov_b32 s17, exec_lo
	v_cmpx_ne_u16_e32 0x80, v3
	s_cbranch_execz .LBB372_3611
; %bb.3606:                             ;   in Loop: Header=BB372_2086 Depth=1
	v_and_b32_e32 v3, 0x7f, v80
	v_mov_b32_e32 v2, 0x7f800001
	s_mov_b32 s18, exec_lo
	s_delay_alu instid0(VALU_DEP_2)
	v_cmpx_ne_u32_e32 0x7f, v3
	s_cbranch_execz .LBB372_3610
; %bb.3607:                             ;   in Loop: Header=BB372_2086 Depth=1
	v_mov_b64_e32 v[82:83], v[80:81]
	v_lshrrev_b32_e32 v2, 3, v3
	s_mov_b32 s19, exec_lo
	v_cmpx_gt_u32_e32 8, v3
; %bb.3608:                             ;   in Loop: Header=BB372_2086 Depth=1
	v_and_b32_e32 v2, 7, v80
	s_delay_alu instid0(VALU_DEP_1) | instskip(NEXT) | instid1(VALU_DEP_1)
	v_clz_i32_u32_e32 v2, v2
	v_min_u32_e32 v2, 32, v2
	s_delay_alu instid0(VALU_DEP_1) | instskip(SKIP_1) | instid1(VALU_DEP_2)
	v_subrev_nc_u32_e32 v3, 28, v2
	v_sub_nc_u32_e32 v2, 29, v2
	v_lshlrev_b64_e32 v[82:83], v3, v[80:81]
; %bb.3609:                             ;   in Loop: Header=BB372_2086 Depth=1
	s_or_b32 exec_lo, exec_lo, s19
	s_delay_alu instid0(VALU_DEP_1) | instskip(NEXT) | instid1(VALU_DEP_3)
	v_dual_lshlrev_b32 v3, 20, v82 :: v_dual_lshlrev_b32 v4, 24, v80
	v_lshl_add_u32 v2, v2, 23, 0x3c000000
	s_delay_alu instid0(VALU_DEP_2) | instskip(NEXT) | instid1(VALU_DEP_3)
	v_and_b32_e32 v3, 0x700000, v3
	v_and_b32_e32 v4, 0x80000000, v4
	s_delay_alu instid0(VALU_DEP_1)
	v_or3_b32 v2, v3, v4, v2
.LBB372_3610:                           ;   in Loop: Header=BB372_2086 Depth=1
	s_or_b32 exec_lo, exec_lo, s18
.LBB372_3611:                           ;   in Loop: Header=BB372_2086 Depth=1
	s_delay_alu instid0(SALU_CYCLE_1)
	s_or_b32 exec_lo, exec_lo, s17
.LBB372_3612:                           ;   in Loop: Header=BB372_2086 Depth=1
	s_delay_alu instid0(SALU_CYCLE_1) | instskip(SKIP_2) | instid1(VALU_DEP_1)
	s_or_b32 exec_lo, exec_lo, s16
	v_lshrrev_b16 v3, 8, v80
	s_mov_b32 s16, exec_lo
	v_cmpx_ne_u16_e32 0, v3
	s_cbranch_execz .LBB372_3620
; %bb.3613:                             ;   in Loop: Header=BB372_2086 Depth=1
	v_bfrev_b32_e32 v10, 1
	s_mov_b32 s17, exec_lo
	v_cmpx_ne_u16_e32 0x80, v3
	s_cbranch_execz .LBB372_3619
; %bb.3614:                             ;   in Loop: Header=BB372_2086 Depth=1
	v_and_b32_e32 v3, 0xffff, v3
	v_mov_b32_e32 v10, 0x7f800001
	s_mov_b32 s18, exec_lo
	s_delay_alu instid0(VALU_DEP_2) | instskip(NEXT) | instid1(VALU_DEP_1)
	v_and_b32_e32 v11, 0x7f, v3
	v_cmpx_ne_u32_e32 0x7f, v11
	s_cbranch_execz .LBB372_3618
; %bb.3615:                             ;   in Loop: Header=BB372_2086 Depth=1
	v_and_b32_e32 v22, 7, v3
	v_lshrrev_b32_e32 v3, 3, v11
	s_mov_b32 s19, exec_lo
	s_delay_alu instid0(VALU_DEP_2)
	v_mov_b64_e32 v[82:83], v[22:23]
	v_cmpx_gt_u32_e32 8, v11
; %bb.3616:                             ;   in Loop: Header=BB372_2086 Depth=1
	v_clz_i32_u32_e32 v3, v22
	s_delay_alu instid0(VALU_DEP_1) | instskip(NEXT) | instid1(VALU_DEP_1)
	v_min_u32_e32 v3, 32, v3
	v_subrev_nc_u32_e32 v4, 28, v3
	s_delay_alu instid0(VALU_DEP_1) | instskip(NEXT) | instid1(VALU_DEP_1)
	v_lshlrev_b64_e32 v[10:11], v4, v[22:23]
	v_dual_sub_nc_u32 v3, 29, v3 :: v_dual_bitop2_b32 v82, 7, v10 bitop3:0x40
; %bb.3617:                             ;   in Loop: Header=BB372_2086 Depth=1
	s_or_b32 exec_lo, exec_lo, s19
	s_delay_alu instid0(VALU_DEP_1) | instskip(NEXT) | instid1(VALU_DEP_2)
	v_dual_lshlrev_b32 v4, 16, v80 :: v_dual_lshlrev_b32 v10, 20, v82
	v_lshl_add_u32 v3, v3, 23, 0x3c000000
	s_delay_alu instid0(VALU_DEP_2) | instskip(NEXT) | instid1(VALU_DEP_1)
	v_and_b32_e32 v4, 0x80000000, v4
	v_or3_b32 v10, v10, v4, v3
.LBB372_3618:                           ;   in Loop: Header=BB372_2086 Depth=1
	s_or_b32 exec_lo, exec_lo, s18
.LBB372_3619:                           ;   in Loop: Header=BB372_2086 Depth=1
	s_delay_alu instid0(SALU_CYCLE_1)
	s_or_b32 exec_lo, exec_lo, s17
.LBB372_3620:                           ;   in Loop: Header=BB372_2086 Depth=1
	s_delay_alu instid0(SALU_CYCLE_1) | instskip(SKIP_3) | instid1(VALU_DEP_2)
	s_or_b32 exec_lo, exec_lo, s16
	v_dual_mov_b32 v64, 0 :: v_dual_lshrrev_b32 v65, 16, v80
	v_mov_b32_e32 v11, 0
	s_mov_b32 s16, exec_lo
	v_and_b32_e32 v3, 0xff, v65
	s_delay_alu instid0(VALU_DEP_1)
	v_cmpx_ne_u16_e32 0, v3
	s_cbranch_execz .LBB372_3628
; %bb.3621:                             ;   in Loop: Header=BB372_2086 Depth=1
	v_bfrev_b32_e32 v11, 1
	s_mov_b32 s17, exec_lo
	v_cmpx_ne_u16_e32 0x80, v3
	s_cbranch_execz .LBB372_3627
; %bb.3622:                             ;   in Loop: Header=BB372_2086 Depth=1
	v_bfe_u32 v66, v80, 16, 7
	v_mov_b32_e32 v11, 0x7f800001
	s_mov_b32 s18, exec_lo
	s_delay_alu instid0(VALU_DEP_2)
	v_cmpx_ne_u32_e32 0x7f, v66
	s_cbranch_execz .LBB372_3626
; %bb.3623:                             ;   in Loop: Header=BB372_2086 Depth=1
	v_dual_lshrrev_b32 v3, 3, v66 :: v_dual_bitop2_b32 v22, 7, v65 bitop3:0x40
	s_mov_b32 s19, exec_lo
	s_delay_alu instid0(VALU_DEP_1)
	v_mov_b64_e32 v[82:83], v[22:23]
	v_cmpx_gt_u32_e32 8, v66
; %bb.3624:                             ;   in Loop: Header=BB372_2086 Depth=1
	v_clz_i32_u32_e32 v3, v22
	s_delay_alu instid0(VALU_DEP_1) | instskip(NEXT) | instid1(VALU_DEP_1)
	v_min_u32_e32 v3, 32, v3
	v_subrev_nc_u32_e32 v4, 28, v3
	s_delay_alu instid0(VALU_DEP_1) | instskip(NEXT) | instid1(VALU_DEP_1)
	v_lshlrev_b64_e32 v[66:67], v4, v[22:23]
	v_dual_sub_nc_u32 v3, 29, v3 :: v_dual_bitop2_b32 v82, 7, v66 bitop3:0x40
; %bb.3625:                             ;   in Loop: Header=BB372_2086 Depth=1
	s_or_b32 exec_lo, exec_lo, s19
	s_delay_alu instid0(VALU_DEP_1) | instskip(NEXT) | instid1(VALU_DEP_2)
	v_dual_lshlrev_b32 v4, 24, v65 :: v_dual_lshlrev_b32 v11, 20, v82
	v_lshl_add_u32 v3, v3, 23, 0x3c000000
	s_delay_alu instid0(VALU_DEP_2) | instskip(NEXT) | instid1(VALU_DEP_1)
	v_and_b32_e32 v4, 0x80000000, v4
	v_or3_b32 v11, v11, v4, v3
.LBB372_3626:                           ;   in Loop: Header=BB372_2086 Depth=1
	s_or_b32 exec_lo, exec_lo, s18
.LBB372_3627:                           ;   in Loop: Header=BB372_2086 Depth=1
	s_delay_alu instid0(SALU_CYCLE_1)
	s_or_b32 exec_lo, exec_lo, s17
.LBB372_3628:                           ;   in Loop: Header=BB372_2086 Depth=1
	s_delay_alu instid0(SALU_CYCLE_1) | instskip(NEXT) | instid1(SALU_CYCLE_1)
	s_or_b32 exec_lo, exec_lo, s16
	s_mov_b32 s16, exec_lo
	v_cmpx_lt_u32_e32 0xffffff, v80
	s_cbranch_execz .LBB372_3636
; %bb.3629:                             ;   in Loop: Header=BB372_2086 Depth=1
	v_lshrrev_b32_e32 v3, 24, v80
	v_bfrev_b32_e32 v64, 1
	s_mov_b32 s17, exec_lo
	s_delay_alu instid0(VALU_DEP_2)
	v_cmpx_ne_u32_e32 0x80, v3
	s_cbranch_execz .LBB372_3635
; %bb.3630:                             ;   in Loop: Header=BB372_2086 Depth=1
	v_bfe_u32 v65, v80, 24, 7
	v_mov_b32_e32 v64, 0x7f800001
	s_mov_b32 s18, exec_lo
	s_delay_alu instid0(VALU_DEP_2)
	v_cmpx_ne_u32_e32 0x7f, v65
	s_cbranch_execz .LBB372_3634
; %bb.3631:                             ;   in Loop: Header=BB372_2086 Depth=1
	v_dual_lshrrev_b32 v64, 3, v65 :: v_dual_bitop2_b32 v22, 7, v3 bitop3:0x40
	s_mov_b32 s19, exec_lo
	s_delay_alu instid0(VALU_DEP_1)
	v_mov_b64_e32 v[82:83], v[22:23]
	v_cmpx_gt_u32_e32 8, v65
; %bb.3632:                             ;   in Loop: Header=BB372_2086 Depth=1
	v_clz_i32_u32_e32 v4, v22
	s_delay_alu instid0(VALU_DEP_1) | instskip(NEXT) | instid1(VALU_DEP_1)
	v_min_u32_e32 v4, 32, v4
	v_subrev_nc_u32_e32 v64, 28, v4
	s_delay_alu instid0(VALU_DEP_1) | instskip(NEXT) | instid1(VALU_DEP_1)
	v_lshlrev_b64_e32 v[66:67], v64, v[22:23]
	v_dual_sub_nc_u32 v64, 29, v4 :: v_dual_bitop2_b32 v82, 7, v66 bitop3:0x40
; %bb.3633:                             ;   in Loop: Header=BB372_2086 Depth=1
	s_or_b32 exec_lo, exec_lo, s19
	s_delay_alu instid0(VALU_DEP_1) | instskip(NEXT) | instid1(VALU_DEP_2)
	v_dual_lshlrev_b32 v3, 24, v3 :: v_dual_lshlrev_b32 v4, 20, v82
	v_lshl_add_u32 v22, v64, 23, 0x3c000000
	s_delay_alu instid0(VALU_DEP_2) | instskip(NEXT) | instid1(VALU_DEP_1)
	v_and_b32_e32 v3, 0x80000000, v3
	v_or3_b32 v64, v4, v3, v22
.LBB372_3634:                           ;   in Loop: Header=BB372_2086 Depth=1
	s_or_b32 exec_lo, exec_lo, s18
.LBB372_3635:                           ;   in Loop: Header=BB372_2086 Depth=1
	s_delay_alu instid0(SALU_CYCLE_1)
	s_or_b32 exec_lo, exec_lo, s17
.LBB372_3636:                           ;   in Loop: Header=BB372_2086 Depth=1
	s_delay_alu instid0(SALU_CYCLE_1) | instskip(SKIP_4) | instid1(VALU_DEP_3)
	s_or_b32 exec_lo, exec_lo, s16
	v_and_b32_e32 v3, 0xff, v81
	v_dual_mov_b32 v22, v81 :: v_dual_mov_b32 v66, 0
	v_mov_b32_e32 v65, 0
	s_mov_b32 s16, exec_lo
	v_cmpx_ne_u16_e32 0, v3
	s_cbranch_execz .LBB372_3644
; %bb.3637:                             ;   in Loop: Header=BB372_2086 Depth=1
	v_bfrev_b32_e32 v65, 1
	s_mov_b32 s17, exec_lo
	v_cmpx_ne_u16_e32 0x80, v3
	s_cbranch_execz .LBB372_3643
; %bb.3638:                             ;   in Loop: Header=BB372_2086 Depth=1
	v_and_b32_e32 v4, 0x7f, v81
	v_mov_b32_e32 v65, 0x7f800001
	s_mov_b32 s18, exec_lo
	s_delay_alu instid0(VALU_DEP_2)
	v_cmpx_ne_u32_e32 0x7f, v4
	s_cbranch_execz .LBB372_3642
; %bb.3639:                             ;   in Loop: Header=BB372_2086 Depth=1
	v_mov_b64_e32 v[82:83], v[22:23]
	v_lshrrev_b32_e32 v3, 3, v4
	s_mov_b32 s19, exec_lo
	v_cmpx_gt_u32_e32 8, v4
; %bb.3640:                             ;   in Loop: Header=BB372_2086 Depth=1
	v_and_b32_e32 v3, 7, v81
	s_delay_alu instid0(VALU_DEP_1) | instskip(NEXT) | instid1(VALU_DEP_1)
	v_clz_i32_u32_e32 v3, v3
	v_min_u32_e32 v3, 32, v3
	s_delay_alu instid0(VALU_DEP_1) | instskip(SKIP_1) | instid1(VALU_DEP_2)
	v_subrev_nc_u32_e32 v4, 28, v3
	v_sub_nc_u32_e32 v3, 29, v3
	v_lshlrev_b64_e32 v[82:83], v4, v[22:23]
; %bb.3641:                             ;   in Loop: Header=BB372_2086 Depth=1
	s_or_b32 exec_lo, exec_lo, s19
	s_delay_alu instid0(VALU_DEP_1) | instskip(SKIP_2) | instid1(VALU_DEP_3)
	v_lshlrev_b32_e32 v4, 20, v82
	v_lshlrev_b32_e32 v65, 24, v22
	v_lshl_add_u32 v3, v3, 23, 0x3c000000
	v_and_b32_e32 v4, 0x700000, v4
	s_delay_alu instid0(VALU_DEP_3) | instskip(NEXT) | instid1(VALU_DEP_1)
	v_and_b32_e32 v65, 0x80000000, v65
	v_or3_b32 v65, v4, v65, v3
.LBB372_3642:                           ;   in Loop: Header=BB372_2086 Depth=1
	s_or_b32 exec_lo, exec_lo, s18
.LBB372_3643:                           ;   in Loop: Header=BB372_2086 Depth=1
	s_delay_alu instid0(SALU_CYCLE_1)
	s_or_b32 exec_lo, exec_lo, s17
.LBB372_3644:                           ;   in Loop: Header=BB372_2086 Depth=1
	s_delay_alu instid0(SALU_CYCLE_1) | instskip(SKIP_2) | instid1(VALU_DEP_1)
	s_or_b32 exec_lo, exec_lo, s16
	v_lshrrev_b16 v3, 8, v22
	s_mov_b32 s16, exec_lo
	v_cmpx_ne_u16_e32 0, v3
	s_cbranch_execz .LBB372_3652
; %bb.3645:                             ;   in Loop: Header=BB372_2086 Depth=1
	v_bfrev_b32_e32 v66, 1
	s_mov_b32 s17, exec_lo
	v_cmpx_ne_u16_e32 0x80, v3
	s_cbranch_execz .LBB372_3651
; %bb.3646:                             ;   in Loop: Header=BB372_2086 Depth=1
	v_and_b32_e32 v3, 0xffff, v3
	v_mov_b32_e32 v66, 0x7f800001
	s_mov_b32 s18, exec_lo
	s_delay_alu instid0(VALU_DEP_2) | instskip(NEXT) | instid1(VALU_DEP_1)
	v_and_b32_e32 v4, 0x7f, v3
	v_cmpx_ne_u32_e32 0x7f, v4
	s_cbranch_execz .LBB372_3650
; %bb.3647:                             ;   in Loop: Header=BB372_2086 Depth=1
	v_dual_mov_b32 v83, v23 :: v_dual_bitop2_b32 v82, 7, v3 bitop3:0x40
	v_lshrrev_b32_e32 v3, 3, v4
	s_mov_b32 s19, exec_lo
	v_cmpx_gt_u32_e32 8, v4
; %bb.3648:                             ;   in Loop: Header=BB372_2086 Depth=1
	s_delay_alu instid0(VALU_DEP_3) | instskip(NEXT) | instid1(VALU_DEP_1)
	v_clz_i32_u32_e32 v3, v82
	v_min_u32_e32 v3, 32, v3
	s_delay_alu instid0(VALU_DEP_1) | instskip(NEXT) | instid1(VALU_DEP_1)
	v_subrev_nc_u32_e32 v4, 28, v3
	v_lshlrev_b64_e32 v[66:67], v4, v[82:83]
	s_delay_alu instid0(VALU_DEP_1)
	v_dual_sub_nc_u32 v3, 29, v3 :: v_dual_bitop2_b32 v82, 7, v66 bitop3:0x40
; %bb.3649:                             ;   in Loop: Header=BB372_2086 Depth=1
	s_or_b32 exec_lo, exec_lo, s19
	v_lshlrev_b32_e32 v4, 16, v22
	s_delay_alu instid0(VALU_DEP_2) | instskip(NEXT) | instid1(VALU_DEP_3)
	v_lshlrev_b32_e32 v22, 20, v82
	v_lshl_add_u32 v3, v3, 23, 0x3c000000
	s_delay_alu instid0(VALU_DEP_3) | instskip(NEXT) | instid1(VALU_DEP_1)
	v_and_b32_e32 v4, 0x80000000, v4
	v_or3_b32 v66, v22, v4, v3
.LBB372_3650:                           ;   in Loop: Header=BB372_2086 Depth=1
	s_or_b32 exec_lo, exec_lo, s18
.LBB372_3651:                           ;   in Loop: Header=BB372_2086 Depth=1
	s_delay_alu instid0(SALU_CYCLE_1)
	s_or_b32 exec_lo, exec_lo, s17
.LBB372_3652:                           ;   in Loop: Header=BB372_2086 Depth=1
	s_delay_alu instid0(SALU_CYCLE_1) | instskip(SKIP_3) | instid1(VALU_DEP_2)
	s_or_b32 exec_lo, exec_lo, s16
	v_dual_lshrrev_b32 v69, 16, v81 :: v_dual_mov_b32 v67, 0
	v_mov_b32_e32 v68, 0
	s_mov_b32 s16, exec_lo
	v_and_b32_e32 v3, 0xff, v69
	s_delay_alu instid0(VALU_DEP_1)
	v_cmpx_ne_u16_e32 0, v3
	s_cbranch_execz .LBB372_3660
; %bb.3653:                             ;   in Loop: Header=BB372_2086 Depth=1
	v_bfrev_b32_e32 v68, 1
	s_mov_b32 s17, exec_lo
	v_cmpx_ne_u16_e32 0x80, v3
	s_cbranch_execz .LBB372_3659
; %bb.3654:                             ;   in Loop: Header=BB372_2086 Depth=1
	v_bfe_u32 v71, v81, 16, 7
	v_mov_b32_e32 v68, 0x7f800001
	s_mov_b32 s18, exec_lo
	s_delay_alu instid0(VALU_DEP_2)
	v_cmpx_ne_u32_e32 0x7f, v71
	s_cbranch_execz .LBB372_3658
; %bb.3655:                             ;   in Loop: Header=BB372_2086 Depth=1
	v_dual_lshrrev_b32 v3, 3, v71 :: v_dual_bitop2_b32 v22, 7, v69 bitop3:0x40
	s_mov_b32 s19, exec_lo
	s_delay_alu instid0(VALU_DEP_1)
	v_mov_b64_e32 v[82:83], v[22:23]
	v_cmpx_gt_u32_e32 8, v71
; %bb.3656:                             ;   in Loop: Header=BB372_2086 Depth=1
	v_clz_i32_u32_e32 v3, v22
	s_delay_alu instid0(VALU_DEP_1) | instskip(NEXT) | instid1(VALU_DEP_1)
	v_min_u32_e32 v3, 32, v3
	v_subrev_nc_u32_e32 v4, 28, v3
	s_delay_alu instid0(VALU_DEP_1) | instskip(NEXT) | instid1(VALU_DEP_1)
	v_lshlrev_b64_e32 v[82:83], v4, v[22:23]
	v_dual_sub_nc_u32 v3, 29, v3 :: v_dual_bitop2_b32 v82, 7, v82 bitop3:0x40
; %bb.3657:                             ;   in Loop: Header=BB372_2086 Depth=1
	s_or_b32 exec_lo, exec_lo, s19
	s_delay_alu instid0(VALU_DEP_1) | instskip(NEXT) | instid1(VALU_DEP_2)
	v_dual_lshlrev_b32 v4, 24, v69 :: v_dual_lshlrev_b32 v22, 20, v82
	v_lshl_add_u32 v3, v3, 23, 0x3c000000
	s_delay_alu instid0(VALU_DEP_2) | instskip(NEXT) | instid1(VALU_DEP_1)
	v_and_b32_e32 v4, 0x80000000, v4
	v_or3_b32 v68, v22, v4, v3
.LBB372_3658:                           ;   in Loop: Header=BB372_2086 Depth=1
	s_or_b32 exec_lo, exec_lo, s18
.LBB372_3659:                           ;   in Loop: Header=BB372_2086 Depth=1
	s_delay_alu instid0(SALU_CYCLE_1)
	s_or_b32 exec_lo, exec_lo, s17
.LBB372_3660:                           ;   in Loop: Header=BB372_2086 Depth=1
	s_delay_alu instid0(SALU_CYCLE_1) | instskip(NEXT) | instid1(SALU_CYCLE_1)
	s_or_b32 exec_lo, exec_lo, s16
	s_mov_b32 s16, exec_lo
	v_cmpx_lt_u64_e64 s[2:3], v[80:81]
	s_cbranch_execz .LBB372_3668
; %bb.3661:                             ;   in Loop: Header=BB372_2086 Depth=1
	v_lshrrev_b32_e32 v3, 24, v81
	v_bfrev_b32_e32 v67, 1
	s_mov_b32 s17, exec_lo
	s_delay_alu instid0(VALU_DEP_2)
	v_cmpx_ne_u32_e32 0x80, v3
	s_cbranch_execz .LBB372_3667
; %bb.3662:                             ;   in Loop: Header=BB372_2086 Depth=1
	v_bfe_u32 v69, v81, 24, 7
	v_mov_b32_e32 v67, 0x7f800001
	s_mov_b32 s18, exec_lo
	s_delay_alu instid0(VALU_DEP_2)
	v_cmpx_ne_u32_e32 0x7f, v69
	s_cbranch_execz .LBB372_3666
; %bb.3663:                             ;   in Loop: Header=BB372_2086 Depth=1
	v_dual_lshrrev_b32 v67, 3, v69 :: v_dual_bitop2_b32 v22, 7, v3 bitop3:0x40
	s_mov_b32 s19, exec_lo
	s_delay_alu instid0(VALU_DEP_1)
	v_mov_b64_e32 v[80:81], v[22:23]
	v_cmpx_gt_u32_e32 8, v69
; %bb.3664:                             ;   in Loop: Header=BB372_2086 Depth=1
	v_clz_i32_u32_e32 v4, v22
	s_delay_alu instid0(VALU_DEP_1) | instskip(NEXT) | instid1(VALU_DEP_1)
	v_min_u32_e32 v4, 32, v4
	v_subrev_nc_u32_e32 v67, 28, v4
	s_delay_alu instid0(VALU_DEP_1) | instskip(SKIP_1) | instid1(VALU_DEP_2)
	v_lshlrev_b64_e32 v[80:81], v67, v[22:23]
	v_sub_nc_u32_e32 v67, 29, v4
	v_and_b32_e32 v80, 7, v80
; %bb.3665:                             ;   in Loop: Header=BB372_2086 Depth=1
	s_or_b32 exec_lo, exec_lo, s19
	s_delay_alu instid0(VALU_DEP_1) | instskip(NEXT) | instid1(VALU_DEP_3)
	v_dual_lshlrev_b32 v3, 24, v3 :: v_dual_lshlrev_b32 v4, 20, v80
	v_lshl_add_u32 v22, v67, 23, 0x3c000000
	s_delay_alu instid0(VALU_DEP_2) | instskip(NEXT) | instid1(VALU_DEP_1)
	v_and_b32_e32 v3, 0x80000000, v3
	v_or3_b32 v67, v4, v3, v22
.LBB372_3666:                           ;   in Loop: Header=BB372_2086 Depth=1
	s_or_b32 exec_lo, exec_lo, s18
.LBB372_3667:                           ;   in Loop: Header=BB372_2086 Depth=1
	s_delay_alu instid0(SALU_CYCLE_1)
	s_or_b32 exec_lo, exec_lo, s17
.LBB372_3668:                           ;   in Loop: Header=BB372_2086 Depth=1
	s_delay_alu instid0(SALU_CYCLE_1)
	s_or_b32 exec_lo, exec_lo, s16
	v_fma_mixlo_bf16 v75, v86, v66, 0
	v_fma_mixlo_bf16 v76, v86, v65, 0
	;; [unrolled: 1-line block ×8, first 2 shown]
	s_and_saveexec_b32 s16, vcc_lo
	s_cbranch_execz .LBB372_3670
; %bb.3669:                             ;   in Loop: Header=BB372_2086 Depth=1
	scratch_load_b32 v2, off, s32 offset:192 ; 4-byte Folded Reload
	s_wait_loadcnt 0x0
	v_cmp_lt_i32_e64 s0, v63, v2
	s_delay_alu instid0(VALU_DEP_1) | instskip(SKIP_1) | instid1(VALU_DEP_1)
	v_cndmask_b32_e64 v105, 0, v105, s0
	v_cmp_lt_i32_e64 s0, v95, v2
	v_cndmask_b32_e64 v104, 0, v104, s0
	v_cmp_lt_i32_e64 s0, v94, v2
	s_delay_alu instid0(VALU_DEP_1) | instskip(SKIP_1) | instid1(VALU_DEP_1)
	v_cndmask_b32_e64 v88, 0, v88, s0
	v_cmp_lt_i32_e64 s0, v93, v2
	v_cndmask_b32_e64 v78, 0, v78, s0
	;; [unrolled: 5-line block ×4, first 2 shown]
.LBB372_3670:                           ;   in Loop: Header=BB372_2086 Depth=1
	s_wait_xcnt 0x0
	s_or_b32 exec_lo, exec_lo, s16
	flat_load_b64 v[80:81], v[18:19] offset:6144
	v_dual_mov_b32 v10, 0 :: v_dual_mov_b32 v2, 0
	s_mov_b32 s16, exec_lo
	s_wait_loadcnt_dscnt 0x0
	v_and_b32_e32 v3, 0xff, v80
	s_wait_xcnt 0x0
	s_delay_alu instid0(VALU_DEP_1)
	v_cmpx_ne_u16_e32 0, v3
	s_cbranch_execz .LBB372_3678
; %bb.3671:                             ;   in Loop: Header=BB372_2086 Depth=1
	v_bfrev_b32_e32 v2, 1
	s_mov_b32 s17, exec_lo
	v_cmpx_ne_u16_e32 0x80, v3
	s_cbranch_execz .LBB372_3677
; %bb.3672:                             ;   in Loop: Header=BB372_2086 Depth=1
	v_and_b32_e32 v3, 0x7f, v80
	v_mov_b32_e32 v2, 0x7f800001
	s_mov_b32 s18, exec_lo
	s_delay_alu instid0(VALU_DEP_2)
	v_cmpx_ne_u32_e32 0x7f, v3
	s_cbranch_execz .LBB372_3676
; %bb.3673:                             ;   in Loop: Header=BB372_2086 Depth=1
	v_mov_b64_e32 v[82:83], v[80:81]
	v_lshrrev_b32_e32 v2, 3, v3
	s_mov_b32 s19, exec_lo
	v_cmpx_gt_u32_e32 8, v3
; %bb.3674:                             ;   in Loop: Header=BB372_2086 Depth=1
	v_and_b32_e32 v2, 7, v80
	s_delay_alu instid0(VALU_DEP_1) | instskip(NEXT) | instid1(VALU_DEP_1)
	v_clz_i32_u32_e32 v2, v2
	v_min_u32_e32 v2, 32, v2
	s_delay_alu instid0(VALU_DEP_1) | instskip(SKIP_1) | instid1(VALU_DEP_2)
	v_subrev_nc_u32_e32 v3, 28, v2
	v_sub_nc_u32_e32 v2, 29, v2
	v_lshlrev_b64_e32 v[82:83], v3, v[80:81]
; %bb.3675:                             ;   in Loop: Header=BB372_2086 Depth=1
	s_or_b32 exec_lo, exec_lo, s19
	s_delay_alu instid0(VALU_DEP_1) | instskip(NEXT) | instid1(VALU_DEP_3)
	v_dual_lshlrev_b32 v3, 20, v82 :: v_dual_lshlrev_b32 v4, 24, v80
	v_lshl_add_u32 v2, v2, 23, 0x3c000000
	s_delay_alu instid0(VALU_DEP_2) | instskip(NEXT) | instid1(VALU_DEP_3)
	v_and_b32_e32 v3, 0x700000, v3
	v_and_b32_e32 v4, 0x80000000, v4
	s_delay_alu instid0(VALU_DEP_1)
	v_or3_b32 v2, v3, v4, v2
.LBB372_3676:                           ;   in Loop: Header=BB372_2086 Depth=1
	s_or_b32 exec_lo, exec_lo, s18
.LBB372_3677:                           ;   in Loop: Header=BB372_2086 Depth=1
	s_delay_alu instid0(SALU_CYCLE_1)
	s_or_b32 exec_lo, exec_lo, s17
.LBB372_3678:                           ;   in Loop: Header=BB372_2086 Depth=1
	s_delay_alu instid0(SALU_CYCLE_1) | instskip(SKIP_2) | instid1(VALU_DEP_1)
	s_or_b32 exec_lo, exec_lo, s16
	v_lshrrev_b16 v3, 8, v80
	s_mov_b32 s16, exec_lo
	v_cmpx_ne_u16_e32 0, v3
	s_cbranch_execz .LBB372_3686
; %bb.3679:                             ;   in Loop: Header=BB372_2086 Depth=1
	v_bfrev_b32_e32 v10, 1
	s_mov_b32 s17, exec_lo
	v_cmpx_ne_u16_e32 0x80, v3
	s_cbranch_execz .LBB372_3685
; %bb.3680:                             ;   in Loop: Header=BB372_2086 Depth=1
	v_and_b32_e32 v3, 0xffff, v3
	v_mov_b32_e32 v10, 0x7f800001
	s_mov_b32 s18, exec_lo
	s_delay_alu instid0(VALU_DEP_2) | instskip(NEXT) | instid1(VALU_DEP_1)
	v_and_b32_e32 v11, 0x7f, v3
	v_cmpx_ne_u32_e32 0x7f, v11
	s_cbranch_execz .LBB372_3684
; %bb.3681:                             ;   in Loop: Header=BB372_2086 Depth=1
	v_and_b32_e32 v22, 7, v3
	v_lshrrev_b32_e32 v3, 3, v11
	s_mov_b32 s19, exec_lo
	s_delay_alu instid0(VALU_DEP_2)
	v_mov_b64_e32 v[82:83], v[22:23]
	v_cmpx_gt_u32_e32 8, v11
; %bb.3682:                             ;   in Loop: Header=BB372_2086 Depth=1
	v_clz_i32_u32_e32 v3, v22
	s_delay_alu instid0(VALU_DEP_1) | instskip(NEXT) | instid1(VALU_DEP_1)
	v_min_u32_e32 v3, 32, v3
	v_subrev_nc_u32_e32 v4, 28, v3
	s_delay_alu instid0(VALU_DEP_1) | instskip(NEXT) | instid1(VALU_DEP_1)
	v_lshlrev_b64_e32 v[10:11], v4, v[22:23]
	v_dual_sub_nc_u32 v3, 29, v3 :: v_dual_bitop2_b32 v82, 7, v10 bitop3:0x40
; %bb.3683:                             ;   in Loop: Header=BB372_2086 Depth=1
	s_or_b32 exec_lo, exec_lo, s19
	s_delay_alu instid0(VALU_DEP_1) | instskip(NEXT) | instid1(VALU_DEP_2)
	v_dual_lshlrev_b32 v4, 16, v80 :: v_dual_lshlrev_b32 v10, 20, v82
	v_lshl_add_u32 v3, v3, 23, 0x3c000000
	s_delay_alu instid0(VALU_DEP_2) | instskip(NEXT) | instid1(VALU_DEP_1)
	v_and_b32_e32 v4, 0x80000000, v4
	v_or3_b32 v10, v10, v4, v3
.LBB372_3684:                           ;   in Loop: Header=BB372_2086 Depth=1
	s_or_b32 exec_lo, exec_lo, s18
.LBB372_3685:                           ;   in Loop: Header=BB372_2086 Depth=1
	s_delay_alu instid0(SALU_CYCLE_1)
	s_or_b32 exec_lo, exec_lo, s17
.LBB372_3686:                           ;   in Loop: Header=BB372_2086 Depth=1
	s_delay_alu instid0(SALU_CYCLE_1) | instskip(SKIP_3) | instid1(VALU_DEP_2)
	s_or_b32 exec_lo, exec_lo, s16
	v_dual_mov_b32 v64, 0 :: v_dual_lshrrev_b32 v65, 16, v80
	v_mov_b32_e32 v11, 0
	s_mov_b32 s16, exec_lo
	v_and_b32_e32 v3, 0xff, v65
	s_delay_alu instid0(VALU_DEP_1)
	v_cmpx_ne_u16_e32 0, v3
	s_cbranch_execz .LBB372_3694
; %bb.3687:                             ;   in Loop: Header=BB372_2086 Depth=1
	v_bfrev_b32_e32 v11, 1
	s_mov_b32 s17, exec_lo
	v_cmpx_ne_u16_e32 0x80, v3
	s_cbranch_execz .LBB372_3693
; %bb.3688:                             ;   in Loop: Header=BB372_2086 Depth=1
	v_bfe_u32 v66, v80, 16, 7
	v_mov_b32_e32 v11, 0x7f800001
	s_mov_b32 s18, exec_lo
	s_delay_alu instid0(VALU_DEP_2)
	v_cmpx_ne_u32_e32 0x7f, v66
	s_cbranch_execz .LBB372_3692
; %bb.3689:                             ;   in Loop: Header=BB372_2086 Depth=1
	v_dual_lshrrev_b32 v3, 3, v66 :: v_dual_bitop2_b32 v22, 7, v65 bitop3:0x40
	s_mov_b32 s19, exec_lo
	s_delay_alu instid0(VALU_DEP_1)
	v_mov_b64_e32 v[82:83], v[22:23]
	v_cmpx_gt_u32_e32 8, v66
; %bb.3690:                             ;   in Loop: Header=BB372_2086 Depth=1
	v_clz_i32_u32_e32 v3, v22
	s_delay_alu instid0(VALU_DEP_1) | instskip(NEXT) | instid1(VALU_DEP_1)
	v_min_u32_e32 v3, 32, v3
	v_subrev_nc_u32_e32 v4, 28, v3
	s_delay_alu instid0(VALU_DEP_1) | instskip(NEXT) | instid1(VALU_DEP_1)
	v_lshlrev_b64_e32 v[66:67], v4, v[22:23]
	v_dual_sub_nc_u32 v3, 29, v3 :: v_dual_bitop2_b32 v82, 7, v66 bitop3:0x40
; %bb.3691:                             ;   in Loop: Header=BB372_2086 Depth=1
	s_or_b32 exec_lo, exec_lo, s19
	s_delay_alu instid0(VALU_DEP_1) | instskip(NEXT) | instid1(VALU_DEP_2)
	v_dual_lshlrev_b32 v4, 24, v65 :: v_dual_lshlrev_b32 v11, 20, v82
	v_lshl_add_u32 v3, v3, 23, 0x3c000000
	s_delay_alu instid0(VALU_DEP_2) | instskip(NEXT) | instid1(VALU_DEP_1)
	v_and_b32_e32 v4, 0x80000000, v4
	v_or3_b32 v11, v11, v4, v3
.LBB372_3692:                           ;   in Loop: Header=BB372_2086 Depth=1
	s_or_b32 exec_lo, exec_lo, s18
.LBB372_3693:                           ;   in Loop: Header=BB372_2086 Depth=1
	s_delay_alu instid0(SALU_CYCLE_1)
	s_or_b32 exec_lo, exec_lo, s17
.LBB372_3694:                           ;   in Loop: Header=BB372_2086 Depth=1
	s_delay_alu instid0(SALU_CYCLE_1) | instskip(NEXT) | instid1(SALU_CYCLE_1)
	s_or_b32 exec_lo, exec_lo, s16
	s_mov_b32 s16, exec_lo
	v_cmpx_lt_u32_e32 0xffffff, v80
	s_cbranch_execz .LBB372_3702
; %bb.3695:                             ;   in Loop: Header=BB372_2086 Depth=1
	v_lshrrev_b32_e32 v3, 24, v80
	v_bfrev_b32_e32 v64, 1
	s_mov_b32 s17, exec_lo
	s_delay_alu instid0(VALU_DEP_2)
	v_cmpx_ne_u32_e32 0x80, v3
	s_cbranch_execz .LBB372_3701
; %bb.3696:                             ;   in Loop: Header=BB372_2086 Depth=1
	v_bfe_u32 v65, v80, 24, 7
	v_mov_b32_e32 v64, 0x7f800001
	s_mov_b32 s18, exec_lo
	s_delay_alu instid0(VALU_DEP_2)
	v_cmpx_ne_u32_e32 0x7f, v65
	s_cbranch_execz .LBB372_3700
; %bb.3697:                             ;   in Loop: Header=BB372_2086 Depth=1
	v_dual_lshrrev_b32 v64, 3, v65 :: v_dual_bitop2_b32 v22, 7, v3 bitop3:0x40
	s_mov_b32 s19, exec_lo
	s_delay_alu instid0(VALU_DEP_1)
	v_mov_b64_e32 v[82:83], v[22:23]
	v_cmpx_gt_u32_e32 8, v65
; %bb.3698:                             ;   in Loop: Header=BB372_2086 Depth=1
	v_clz_i32_u32_e32 v4, v22
	s_delay_alu instid0(VALU_DEP_1) | instskip(NEXT) | instid1(VALU_DEP_1)
	v_min_u32_e32 v4, 32, v4
	v_subrev_nc_u32_e32 v64, 28, v4
	s_delay_alu instid0(VALU_DEP_1) | instskip(NEXT) | instid1(VALU_DEP_1)
	v_lshlrev_b64_e32 v[66:67], v64, v[22:23]
	v_dual_sub_nc_u32 v64, 29, v4 :: v_dual_bitop2_b32 v82, 7, v66 bitop3:0x40
; %bb.3699:                             ;   in Loop: Header=BB372_2086 Depth=1
	s_or_b32 exec_lo, exec_lo, s19
	s_delay_alu instid0(VALU_DEP_1) | instskip(NEXT) | instid1(VALU_DEP_2)
	v_dual_lshlrev_b32 v3, 24, v3 :: v_dual_lshlrev_b32 v4, 20, v82
	v_lshl_add_u32 v22, v64, 23, 0x3c000000
	s_delay_alu instid0(VALU_DEP_2) | instskip(NEXT) | instid1(VALU_DEP_1)
	v_and_b32_e32 v3, 0x80000000, v3
	v_or3_b32 v64, v4, v3, v22
.LBB372_3700:                           ;   in Loop: Header=BB372_2086 Depth=1
	s_or_b32 exec_lo, exec_lo, s18
.LBB372_3701:                           ;   in Loop: Header=BB372_2086 Depth=1
	s_delay_alu instid0(SALU_CYCLE_1)
	s_or_b32 exec_lo, exec_lo, s17
.LBB372_3702:                           ;   in Loop: Header=BB372_2086 Depth=1
	s_delay_alu instid0(SALU_CYCLE_1) | instskip(SKIP_4) | instid1(VALU_DEP_3)
	s_or_b32 exec_lo, exec_lo, s16
	v_and_b32_e32 v3, 0xff, v81
	v_dual_mov_b32 v22, v81 :: v_dual_mov_b32 v66, 0
	v_mov_b32_e32 v65, 0
	s_mov_b32 s16, exec_lo
	v_cmpx_ne_u16_e32 0, v3
	s_cbranch_execz .LBB372_3710
; %bb.3703:                             ;   in Loop: Header=BB372_2086 Depth=1
	v_bfrev_b32_e32 v65, 1
	s_mov_b32 s17, exec_lo
	v_cmpx_ne_u16_e32 0x80, v3
	s_cbranch_execz .LBB372_3709
; %bb.3704:                             ;   in Loop: Header=BB372_2086 Depth=1
	v_and_b32_e32 v4, 0x7f, v81
	v_mov_b32_e32 v65, 0x7f800001
	s_mov_b32 s18, exec_lo
	s_delay_alu instid0(VALU_DEP_2)
	v_cmpx_ne_u32_e32 0x7f, v4
	s_cbranch_execz .LBB372_3708
; %bb.3705:                             ;   in Loop: Header=BB372_2086 Depth=1
	v_mov_b64_e32 v[82:83], v[22:23]
	v_lshrrev_b32_e32 v3, 3, v4
	s_mov_b32 s19, exec_lo
	v_cmpx_gt_u32_e32 8, v4
; %bb.3706:                             ;   in Loop: Header=BB372_2086 Depth=1
	v_and_b32_e32 v3, 7, v81
	s_delay_alu instid0(VALU_DEP_1) | instskip(NEXT) | instid1(VALU_DEP_1)
	v_clz_i32_u32_e32 v3, v3
	v_min_u32_e32 v3, 32, v3
	s_delay_alu instid0(VALU_DEP_1) | instskip(SKIP_1) | instid1(VALU_DEP_2)
	v_subrev_nc_u32_e32 v4, 28, v3
	v_sub_nc_u32_e32 v3, 29, v3
	v_lshlrev_b64_e32 v[82:83], v4, v[22:23]
; %bb.3707:                             ;   in Loop: Header=BB372_2086 Depth=1
	s_or_b32 exec_lo, exec_lo, s19
	s_delay_alu instid0(VALU_DEP_1) | instskip(SKIP_2) | instid1(VALU_DEP_3)
	v_lshlrev_b32_e32 v4, 20, v82
	v_lshlrev_b32_e32 v65, 24, v22
	v_lshl_add_u32 v3, v3, 23, 0x3c000000
	v_and_b32_e32 v4, 0x700000, v4
	s_delay_alu instid0(VALU_DEP_3) | instskip(NEXT) | instid1(VALU_DEP_1)
	v_and_b32_e32 v65, 0x80000000, v65
	v_or3_b32 v65, v4, v65, v3
.LBB372_3708:                           ;   in Loop: Header=BB372_2086 Depth=1
	s_or_b32 exec_lo, exec_lo, s18
.LBB372_3709:                           ;   in Loop: Header=BB372_2086 Depth=1
	s_delay_alu instid0(SALU_CYCLE_1)
	s_or_b32 exec_lo, exec_lo, s17
.LBB372_3710:                           ;   in Loop: Header=BB372_2086 Depth=1
	s_delay_alu instid0(SALU_CYCLE_1) | instskip(SKIP_2) | instid1(VALU_DEP_1)
	s_or_b32 exec_lo, exec_lo, s16
	v_lshrrev_b16 v3, 8, v22
	s_mov_b32 s16, exec_lo
	v_cmpx_ne_u16_e32 0, v3
	s_cbranch_execz .LBB372_3718
; %bb.3711:                             ;   in Loop: Header=BB372_2086 Depth=1
	v_bfrev_b32_e32 v66, 1
	s_mov_b32 s17, exec_lo
	v_cmpx_ne_u16_e32 0x80, v3
	s_cbranch_execz .LBB372_3717
; %bb.3712:                             ;   in Loop: Header=BB372_2086 Depth=1
	v_and_b32_e32 v3, 0xffff, v3
	v_mov_b32_e32 v66, 0x7f800001
	s_mov_b32 s18, exec_lo
	s_delay_alu instid0(VALU_DEP_2) | instskip(NEXT) | instid1(VALU_DEP_1)
	v_and_b32_e32 v4, 0x7f, v3
	v_cmpx_ne_u32_e32 0x7f, v4
	s_cbranch_execz .LBB372_3716
; %bb.3713:                             ;   in Loop: Header=BB372_2086 Depth=1
	v_dual_mov_b32 v83, v23 :: v_dual_bitop2_b32 v82, 7, v3 bitop3:0x40
	v_lshrrev_b32_e32 v3, 3, v4
	s_mov_b32 s19, exec_lo
	v_cmpx_gt_u32_e32 8, v4
; %bb.3714:                             ;   in Loop: Header=BB372_2086 Depth=1
	s_delay_alu instid0(VALU_DEP_3) | instskip(NEXT) | instid1(VALU_DEP_1)
	v_clz_i32_u32_e32 v3, v82
	v_min_u32_e32 v3, 32, v3
	s_delay_alu instid0(VALU_DEP_1) | instskip(NEXT) | instid1(VALU_DEP_1)
	v_subrev_nc_u32_e32 v4, 28, v3
	v_lshlrev_b64_e32 v[66:67], v4, v[82:83]
	s_delay_alu instid0(VALU_DEP_1)
	v_dual_sub_nc_u32 v3, 29, v3 :: v_dual_bitop2_b32 v82, 7, v66 bitop3:0x40
; %bb.3715:                             ;   in Loop: Header=BB372_2086 Depth=1
	s_or_b32 exec_lo, exec_lo, s19
	v_lshlrev_b32_e32 v4, 16, v22
	s_delay_alu instid0(VALU_DEP_2) | instskip(NEXT) | instid1(VALU_DEP_3)
	v_lshlrev_b32_e32 v22, 20, v82
	v_lshl_add_u32 v3, v3, 23, 0x3c000000
	s_delay_alu instid0(VALU_DEP_3) | instskip(NEXT) | instid1(VALU_DEP_1)
	v_and_b32_e32 v4, 0x80000000, v4
	v_or3_b32 v66, v22, v4, v3
.LBB372_3716:                           ;   in Loop: Header=BB372_2086 Depth=1
	s_or_b32 exec_lo, exec_lo, s18
.LBB372_3717:                           ;   in Loop: Header=BB372_2086 Depth=1
	s_delay_alu instid0(SALU_CYCLE_1)
	s_or_b32 exec_lo, exec_lo, s17
.LBB372_3718:                           ;   in Loop: Header=BB372_2086 Depth=1
	s_delay_alu instid0(SALU_CYCLE_1) | instskip(SKIP_3) | instid1(VALU_DEP_2)
	s_or_b32 exec_lo, exec_lo, s16
	v_dual_lshrrev_b32 v69, 16, v81 :: v_dual_mov_b32 v67, 0
	v_mov_b32_e32 v68, 0
	s_mov_b32 s16, exec_lo
	v_and_b32_e32 v3, 0xff, v69
	s_delay_alu instid0(VALU_DEP_1)
	v_cmpx_ne_u16_e32 0, v3
	s_cbranch_execz .LBB372_3726
; %bb.3719:                             ;   in Loop: Header=BB372_2086 Depth=1
	v_bfrev_b32_e32 v68, 1
	s_mov_b32 s17, exec_lo
	v_cmpx_ne_u16_e32 0x80, v3
	s_cbranch_execz .LBB372_3725
; %bb.3720:                             ;   in Loop: Header=BB372_2086 Depth=1
	v_bfe_u32 v71, v81, 16, 7
	v_mov_b32_e32 v68, 0x7f800001
	s_mov_b32 s18, exec_lo
	s_delay_alu instid0(VALU_DEP_2)
	v_cmpx_ne_u32_e32 0x7f, v71
	s_cbranch_execz .LBB372_3724
; %bb.3721:                             ;   in Loop: Header=BB372_2086 Depth=1
	v_dual_lshrrev_b32 v3, 3, v71 :: v_dual_bitop2_b32 v22, 7, v69 bitop3:0x40
	s_mov_b32 s19, exec_lo
	s_delay_alu instid0(VALU_DEP_1)
	v_mov_b64_e32 v[82:83], v[22:23]
	v_cmpx_gt_u32_e32 8, v71
; %bb.3722:                             ;   in Loop: Header=BB372_2086 Depth=1
	v_clz_i32_u32_e32 v3, v22
	s_delay_alu instid0(VALU_DEP_1) | instskip(NEXT) | instid1(VALU_DEP_1)
	v_min_u32_e32 v3, 32, v3
	v_subrev_nc_u32_e32 v4, 28, v3
	s_delay_alu instid0(VALU_DEP_1) | instskip(NEXT) | instid1(VALU_DEP_1)
	v_lshlrev_b64_e32 v[82:83], v4, v[22:23]
	v_dual_sub_nc_u32 v3, 29, v3 :: v_dual_bitop2_b32 v82, 7, v82 bitop3:0x40
; %bb.3723:                             ;   in Loop: Header=BB372_2086 Depth=1
	s_or_b32 exec_lo, exec_lo, s19
	s_delay_alu instid0(VALU_DEP_1) | instskip(NEXT) | instid1(VALU_DEP_2)
	v_dual_lshlrev_b32 v4, 24, v69 :: v_dual_lshlrev_b32 v22, 20, v82
	v_lshl_add_u32 v3, v3, 23, 0x3c000000
	s_delay_alu instid0(VALU_DEP_2) | instskip(NEXT) | instid1(VALU_DEP_1)
	v_and_b32_e32 v4, 0x80000000, v4
	v_or3_b32 v68, v22, v4, v3
.LBB372_3724:                           ;   in Loop: Header=BB372_2086 Depth=1
	s_or_b32 exec_lo, exec_lo, s18
.LBB372_3725:                           ;   in Loop: Header=BB372_2086 Depth=1
	s_delay_alu instid0(SALU_CYCLE_1)
	s_or_b32 exec_lo, exec_lo, s17
.LBB372_3726:                           ;   in Loop: Header=BB372_2086 Depth=1
	s_delay_alu instid0(SALU_CYCLE_1) | instskip(NEXT) | instid1(SALU_CYCLE_1)
	s_or_b32 exec_lo, exec_lo, s16
	s_mov_b32 s16, exec_lo
	v_cmpx_lt_u64_e64 s[2:3], v[80:81]
	s_cbranch_execz .LBB372_3734
; %bb.3727:                             ;   in Loop: Header=BB372_2086 Depth=1
	v_lshrrev_b32_e32 v3, 24, v81
	v_bfrev_b32_e32 v67, 1
	s_mov_b32 s17, exec_lo
	s_delay_alu instid0(VALU_DEP_2)
	v_cmpx_ne_u32_e32 0x80, v3
	s_cbranch_execz .LBB372_3733
; %bb.3728:                             ;   in Loop: Header=BB372_2086 Depth=1
	v_bfe_u32 v69, v81, 24, 7
	v_mov_b32_e32 v67, 0x7f800001
	s_mov_b32 s18, exec_lo
	s_delay_alu instid0(VALU_DEP_2)
	v_cmpx_ne_u32_e32 0x7f, v69
	s_cbranch_execz .LBB372_3732
; %bb.3729:                             ;   in Loop: Header=BB372_2086 Depth=1
	v_dual_lshrrev_b32 v67, 3, v69 :: v_dual_bitop2_b32 v22, 7, v3 bitop3:0x40
	s_mov_b32 s19, exec_lo
	s_delay_alu instid0(VALU_DEP_1)
	v_mov_b64_e32 v[80:81], v[22:23]
	v_cmpx_gt_u32_e32 8, v69
; %bb.3730:                             ;   in Loop: Header=BB372_2086 Depth=1
	v_clz_i32_u32_e32 v4, v22
	s_delay_alu instid0(VALU_DEP_1) | instskip(NEXT) | instid1(VALU_DEP_1)
	v_min_u32_e32 v4, 32, v4
	v_subrev_nc_u32_e32 v67, 28, v4
	s_delay_alu instid0(VALU_DEP_1) | instskip(SKIP_1) | instid1(VALU_DEP_2)
	v_lshlrev_b64_e32 v[80:81], v67, v[22:23]
	v_sub_nc_u32_e32 v67, 29, v4
	v_and_b32_e32 v80, 7, v80
; %bb.3731:                             ;   in Loop: Header=BB372_2086 Depth=1
	s_or_b32 exec_lo, exec_lo, s19
	s_delay_alu instid0(VALU_DEP_1) | instskip(NEXT) | instid1(VALU_DEP_3)
	v_dual_lshlrev_b32 v3, 24, v3 :: v_dual_lshlrev_b32 v4, 20, v80
	v_lshl_add_u32 v22, v67, 23, 0x3c000000
	s_delay_alu instid0(VALU_DEP_2) | instskip(NEXT) | instid1(VALU_DEP_1)
	v_and_b32_e32 v3, 0x80000000, v3
	v_or3_b32 v67, v4, v3, v22
.LBB372_3732:                           ;   in Loop: Header=BB372_2086 Depth=1
	s_or_b32 exec_lo, exec_lo, s18
.LBB372_3733:                           ;   in Loop: Header=BB372_2086 Depth=1
	s_delay_alu instid0(SALU_CYCLE_1)
	s_or_b32 exec_lo, exec_lo, s17
.LBB372_3734:                           ;   in Loop: Header=BB372_2086 Depth=1
	s_delay_alu instid0(SALU_CYCLE_1)
	s_or_b32 exec_lo, exec_lo, s16
	v_fma_mixlo_bf16 v106, v86, v66, 0
	v_fma_mixlo_bf16 v107, v86, v65, 0
	;; [unrolled: 1-line block ×8, first 2 shown]
	s_and_saveexec_b32 s16, vcc_lo
	s_cbranch_execz .LBB372_3736
; %bb.3735:                             ;   in Loop: Header=BB372_2086 Depth=1
	scratch_load_b32 v2, off, s32 offset:192 ; 4-byte Folded Reload
	s_wait_loadcnt 0x0
	v_cmp_lt_i32_e64 s0, v63, v2
	s_delay_alu instid0(VALU_DEP_1) | instskip(SKIP_1) | instid1(VALU_DEP_1)
	v_cndmask_b32_e64 v121, 0, v121, s0
	v_cmp_lt_i32_e64 s0, v95, v2
	v_cndmask_b32_e64 v120, 0, v120, s0
	v_cmp_lt_i32_e64 s0, v94, v2
	s_delay_alu instid0(VALU_DEP_1) | instskip(SKIP_1) | instid1(VALU_DEP_1)
	v_cndmask_b32_e64 v111, 0, v111, s0
	v_cmp_lt_i32_e64 s0, v93, v2
	v_cndmask_b32_e64 v109, 0, v109, s0
	;; [unrolled: 5-line block ×4, first 2 shown]
.LBB372_3736:                           ;   in Loop: Header=BB372_2086 Depth=1
	s_wait_xcnt 0x0
	s_or_b32 exec_lo, exec_lo, s16
	flat_load_b64 v[80:81], v[18:19] offset:6400
	v_dual_mov_b32 v10, 0 :: v_dual_mov_b32 v2, 0
	s_mov_b32 s16, exec_lo
	s_wait_loadcnt_dscnt 0x0
	v_and_b32_e32 v3, 0xff, v80
	s_wait_xcnt 0x0
	s_delay_alu instid0(VALU_DEP_1)
	v_cmpx_ne_u16_e32 0, v3
	s_cbranch_execz .LBB372_3744
; %bb.3737:                             ;   in Loop: Header=BB372_2086 Depth=1
	v_bfrev_b32_e32 v2, 1
	s_mov_b32 s17, exec_lo
	v_cmpx_ne_u16_e32 0x80, v3
	s_cbranch_execz .LBB372_3743
; %bb.3738:                             ;   in Loop: Header=BB372_2086 Depth=1
	v_and_b32_e32 v3, 0x7f, v80
	v_mov_b32_e32 v2, 0x7f800001
	s_mov_b32 s18, exec_lo
	s_delay_alu instid0(VALU_DEP_2)
	v_cmpx_ne_u32_e32 0x7f, v3
	s_cbranch_execz .LBB372_3742
; %bb.3739:                             ;   in Loop: Header=BB372_2086 Depth=1
	v_mov_b64_e32 v[82:83], v[80:81]
	v_lshrrev_b32_e32 v2, 3, v3
	s_mov_b32 s19, exec_lo
	v_cmpx_gt_u32_e32 8, v3
; %bb.3740:                             ;   in Loop: Header=BB372_2086 Depth=1
	v_and_b32_e32 v2, 7, v80
	s_delay_alu instid0(VALU_DEP_1) | instskip(NEXT) | instid1(VALU_DEP_1)
	v_clz_i32_u32_e32 v2, v2
	v_min_u32_e32 v2, 32, v2
	s_delay_alu instid0(VALU_DEP_1) | instskip(SKIP_1) | instid1(VALU_DEP_2)
	v_subrev_nc_u32_e32 v3, 28, v2
	v_sub_nc_u32_e32 v2, 29, v2
	v_lshlrev_b64_e32 v[82:83], v3, v[80:81]
; %bb.3741:                             ;   in Loop: Header=BB372_2086 Depth=1
	s_or_b32 exec_lo, exec_lo, s19
	s_delay_alu instid0(VALU_DEP_1) | instskip(NEXT) | instid1(VALU_DEP_3)
	v_dual_lshlrev_b32 v3, 20, v82 :: v_dual_lshlrev_b32 v4, 24, v80
	v_lshl_add_u32 v2, v2, 23, 0x3c000000
	s_delay_alu instid0(VALU_DEP_2) | instskip(NEXT) | instid1(VALU_DEP_3)
	v_and_b32_e32 v3, 0x700000, v3
	v_and_b32_e32 v4, 0x80000000, v4
	s_delay_alu instid0(VALU_DEP_1)
	v_or3_b32 v2, v3, v4, v2
.LBB372_3742:                           ;   in Loop: Header=BB372_2086 Depth=1
	s_or_b32 exec_lo, exec_lo, s18
.LBB372_3743:                           ;   in Loop: Header=BB372_2086 Depth=1
	s_delay_alu instid0(SALU_CYCLE_1)
	s_or_b32 exec_lo, exec_lo, s17
.LBB372_3744:                           ;   in Loop: Header=BB372_2086 Depth=1
	s_delay_alu instid0(SALU_CYCLE_1) | instskip(SKIP_2) | instid1(VALU_DEP_1)
	s_or_b32 exec_lo, exec_lo, s16
	v_lshrrev_b16 v3, 8, v80
	s_mov_b32 s16, exec_lo
	v_cmpx_ne_u16_e32 0, v3
	s_cbranch_execz .LBB372_3752
; %bb.3745:                             ;   in Loop: Header=BB372_2086 Depth=1
	v_bfrev_b32_e32 v10, 1
	s_mov_b32 s17, exec_lo
	v_cmpx_ne_u16_e32 0x80, v3
	s_cbranch_execz .LBB372_3751
; %bb.3746:                             ;   in Loop: Header=BB372_2086 Depth=1
	v_and_b32_e32 v3, 0xffff, v3
	v_mov_b32_e32 v10, 0x7f800001
	s_mov_b32 s18, exec_lo
	s_delay_alu instid0(VALU_DEP_2) | instskip(NEXT) | instid1(VALU_DEP_1)
	v_and_b32_e32 v11, 0x7f, v3
	v_cmpx_ne_u32_e32 0x7f, v11
	s_cbranch_execz .LBB372_3750
; %bb.3747:                             ;   in Loop: Header=BB372_2086 Depth=1
	v_and_b32_e32 v22, 7, v3
	v_lshrrev_b32_e32 v3, 3, v11
	s_mov_b32 s19, exec_lo
	s_delay_alu instid0(VALU_DEP_2)
	v_mov_b64_e32 v[82:83], v[22:23]
	v_cmpx_gt_u32_e32 8, v11
; %bb.3748:                             ;   in Loop: Header=BB372_2086 Depth=1
	v_clz_i32_u32_e32 v3, v22
	s_delay_alu instid0(VALU_DEP_1) | instskip(NEXT) | instid1(VALU_DEP_1)
	v_min_u32_e32 v3, 32, v3
	v_subrev_nc_u32_e32 v4, 28, v3
	s_delay_alu instid0(VALU_DEP_1) | instskip(NEXT) | instid1(VALU_DEP_1)
	v_lshlrev_b64_e32 v[10:11], v4, v[22:23]
	v_dual_sub_nc_u32 v3, 29, v3 :: v_dual_bitop2_b32 v82, 7, v10 bitop3:0x40
; %bb.3749:                             ;   in Loop: Header=BB372_2086 Depth=1
	s_or_b32 exec_lo, exec_lo, s19
	s_delay_alu instid0(VALU_DEP_1) | instskip(NEXT) | instid1(VALU_DEP_2)
	v_dual_lshlrev_b32 v4, 16, v80 :: v_dual_lshlrev_b32 v10, 20, v82
	v_lshl_add_u32 v3, v3, 23, 0x3c000000
	s_delay_alu instid0(VALU_DEP_2) | instskip(NEXT) | instid1(VALU_DEP_1)
	v_and_b32_e32 v4, 0x80000000, v4
	v_or3_b32 v10, v10, v4, v3
.LBB372_3750:                           ;   in Loop: Header=BB372_2086 Depth=1
	s_or_b32 exec_lo, exec_lo, s18
.LBB372_3751:                           ;   in Loop: Header=BB372_2086 Depth=1
	s_delay_alu instid0(SALU_CYCLE_1)
	s_or_b32 exec_lo, exec_lo, s17
.LBB372_3752:                           ;   in Loop: Header=BB372_2086 Depth=1
	s_delay_alu instid0(SALU_CYCLE_1) | instskip(SKIP_3) | instid1(VALU_DEP_2)
	s_or_b32 exec_lo, exec_lo, s16
	v_dual_mov_b32 v64, 0 :: v_dual_lshrrev_b32 v65, 16, v80
	v_mov_b32_e32 v11, 0
	s_mov_b32 s16, exec_lo
	v_and_b32_e32 v3, 0xff, v65
	s_delay_alu instid0(VALU_DEP_1)
	v_cmpx_ne_u16_e32 0, v3
	s_cbranch_execz .LBB372_3760
; %bb.3753:                             ;   in Loop: Header=BB372_2086 Depth=1
	v_bfrev_b32_e32 v11, 1
	s_mov_b32 s17, exec_lo
	v_cmpx_ne_u16_e32 0x80, v3
	s_cbranch_execz .LBB372_3759
; %bb.3754:                             ;   in Loop: Header=BB372_2086 Depth=1
	v_bfe_u32 v66, v80, 16, 7
	v_mov_b32_e32 v11, 0x7f800001
	s_mov_b32 s18, exec_lo
	s_delay_alu instid0(VALU_DEP_2)
	v_cmpx_ne_u32_e32 0x7f, v66
	s_cbranch_execz .LBB372_3758
; %bb.3755:                             ;   in Loop: Header=BB372_2086 Depth=1
	v_dual_lshrrev_b32 v3, 3, v66 :: v_dual_bitop2_b32 v22, 7, v65 bitop3:0x40
	s_mov_b32 s19, exec_lo
	s_delay_alu instid0(VALU_DEP_1)
	v_mov_b64_e32 v[82:83], v[22:23]
	v_cmpx_gt_u32_e32 8, v66
; %bb.3756:                             ;   in Loop: Header=BB372_2086 Depth=1
	v_clz_i32_u32_e32 v3, v22
	s_delay_alu instid0(VALU_DEP_1) | instskip(NEXT) | instid1(VALU_DEP_1)
	v_min_u32_e32 v3, 32, v3
	v_subrev_nc_u32_e32 v4, 28, v3
	s_delay_alu instid0(VALU_DEP_1) | instskip(NEXT) | instid1(VALU_DEP_1)
	v_lshlrev_b64_e32 v[66:67], v4, v[22:23]
	v_dual_sub_nc_u32 v3, 29, v3 :: v_dual_bitop2_b32 v82, 7, v66 bitop3:0x40
; %bb.3757:                             ;   in Loop: Header=BB372_2086 Depth=1
	s_or_b32 exec_lo, exec_lo, s19
	s_delay_alu instid0(VALU_DEP_1) | instskip(NEXT) | instid1(VALU_DEP_2)
	v_dual_lshlrev_b32 v4, 24, v65 :: v_dual_lshlrev_b32 v11, 20, v82
	v_lshl_add_u32 v3, v3, 23, 0x3c000000
	s_delay_alu instid0(VALU_DEP_2) | instskip(NEXT) | instid1(VALU_DEP_1)
	v_and_b32_e32 v4, 0x80000000, v4
	v_or3_b32 v11, v11, v4, v3
.LBB372_3758:                           ;   in Loop: Header=BB372_2086 Depth=1
	s_or_b32 exec_lo, exec_lo, s18
.LBB372_3759:                           ;   in Loop: Header=BB372_2086 Depth=1
	s_delay_alu instid0(SALU_CYCLE_1)
	s_or_b32 exec_lo, exec_lo, s17
.LBB372_3760:                           ;   in Loop: Header=BB372_2086 Depth=1
	s_delay_alu instid0(SALU_CYCLE_1) | instskip(NEXT) | instid1(SALU_CYCLE_1)
	s_or_b32 exec_lo, exec_lo, s16
	s_mov_b32 s16, exec_lo
	v_cmpx_lt_u32_e32 0xffffff, v80
	s_cbranch_execz .LBB372_3768
; %bb.3761:                             ;   in Loop: Header=BB372_2086 Depth=1
	v_lshrrev_b32_e32 v3, 24, v80
	v_bfrev_b32_e32 v64, 1
	s_mov_b32 s17, exec_lo
	s_delay_alu instid0(VALU_DEP_2)
	v_cmpx_ne_u32_e32 0x80, v3
	s_cbranch_execz .LBB372_3767
; %bb.3762:                             ;   in Loop: Header=BB372_2086 Depth=1
	v_bfe_u32 v65, v80, 24, 7
	v_mov_b32_e32 v64, 0x7f800001
	s_mov_b32 s18, exec_lo
	s_delay_alu instid0(VALU_DEP_2)
	v_cmpx_ne_u32_e32 0x7f, v65
	s_cbranch_execz .LBB372_3766
; %bb.3763:                             ;   in Loop: Header=BB372_2086 Depth=1
	v_dual_lshrrev_b32 v64, 3, v65 :: v_dual_bitop2_b32 v22, 7, v3 bitop3:0x40
	s_mov_b32 s19, exec_lo
	s_delay_alu instid0(VALU_DEP_1)
	v_mov_b64_e32 v[82:83], v[22:23]
	v_cmpx_gt_u32_e32 8, v65
; %bb.3764:                             ;   in Loop: Header=BB372_2086 Depth=1
	v_clz_i32_u32_e32 v4, v22
	s_delay_alu instid0(VALU_DEP_1) | instskip(NEXT) | instid1(VALU_DEP_1)
	v_min_u32_e32 v4, 32, v4
	v_subrev_nc_u32_e32 v64, 28, v4
	s_delay_alu instid0(VALU_DEP_1) | instskip(NEXT) | instid1(VALU_DEP_1)
	v_lshlrev_b64_e32 v[66:67], v64, v[22:23]
	v_dual_sub_nc_u32 v64, 29, v4 :: v_dual_bitop2_b32 v82, 7, v66 bitop3:0x40
; %bb.3765:                             ;   in Loop: Header=BB372_2086 Depth=1
	s_or_b32 exec_lo, exec_lo, s19
	s_delay_alu instid0(VALU_DEP_1) | instskip(NEXT) | instid1(VALU_DEP_2)
	v_dual_lshlrev_b32 v3, 24, v3 :: v_dual_lshlrev_b32 v4, 20, v82
	v_lshl_add_u32 v22, v64, 23, 0x3c000000
	s_delay_alu instid0(VALU_DEP_2) | instskip(NEXT) | instid1(VALU_DEP_1)
	v_and_b32_e32 v3, 0x80000000, v3
	v_or3_b32 v64, v4, v3, v22
.LBB372_3766:                           ;   in Loop: Header=BB372_2086 Depth=1
	s_or_b32 exec_lo, exec_lo, s18
.LBB372_3767:                           ;   in Loop: Header=BB372_2086 Depth=1
	s_delay_alu instid0(SALU_CYCLE_1)
	s_or_b32 exec_lo, exec_lo, s17
.LBB372_3768:                           ;   in Loop: Header=BB372_2086 Depth=1
	s_delay_alu instid0(SALU_CYCLE_1) | instskip(SKIP_4) | instid1(VALU_DEP_3)
	s_or_b32 exec_lo, exec_lo, s16
	v_and_b32_e32 v3, 0xff, v81
	v_dual_mov_b32 v22, v81 :: v_dual_mov_b32 v66, 0
	v_mov_b32_e32 v65, 0
	s_mov_b32 s16, exec_lo
	v_cmpx_ne_u16_e32 0, v3
	s_cbranch_execz .LBB372_3776
; %bb.3769:                             ;   in Loop: Header=BB372_2086 Depth=1
	v_bfrev_b32_e32 v65, 1
	s_mov_b32 s17, exec_lo
	v_cmpx_ne_u16_e32 0x80, v3
	s_cbranch_execz .LBB372_3775
; %bb.3770:                             ;   in Loop: Header=BB372_2086 Depth=1
	v_and_b32_e32 v4, 0x7f, v81
	v_mov_b32_e32 v65, 0x7f800001
	s_mov_b32 s18, exec_lo
	s_delay_alu instid0(VALU_DEP_2)
	v_cmpx_ne_u32_e32 0x7f, v4
	s_cbranch_execz .LBB372_3774
; %bb.3771:                             ;   in Loop: Header=BB372_2086 Depth=1
	v_mov_b64_e32 v[82:83], v[22:23]
	v_lshrrev_b32_e32 v3, 3, v4
	s_mov_b32 s19, exec_lo
	v_cmpx_gt_u32_e32 8, v4
; %bb.3772:                             ;   in Loop: Header=BB372_2086 Depth=1
	v_and_b32_e32 v3, 7, v81
	s_delay_alu instid0(VALU_DEP_1) | instskip(NEXT) | instid1(VALU_DEP_1)
	v_clz_i32_u32_e32 v3, v3
	v_min_u32_e32 v3, 32, v3
	s_delay_alu instid0(VALU_DEP_1) | instskip(SKIP_1) | instid1(VALU_DEP_2)
	v_subrev_nc_u32_e32 v4, 28, v3
	v_sub_nc_u32_e32 v3, 29, v3
	v_lshlrev_b64_e32 v[82:83], v4, v[22:23]
; %bb.3773:                             ;   in Loop: Header=BB372_2086 Depth=1
	s_or_b32 exec_lo, exec_lo, s19
	s_delay_alu instid0(VALU_DEP_1) | instskip(SKIP_2) | instid1(VALU_DEP_3)
	v_lshlrev_b32_e32 v4, 20, v82
	v_lshlrev_b32_e32 v65, 24, v22
	v_lshl_add_u32 v3, v3, 23, 0x3c000000
	v_and_b32_e32 v4, 0x700000, v4
	s_delay_alu instid0(VALU_DEP_3) | instskip(NEXT) | instid1(VALU_DEP_1)
	v_and_b32_e32 v65, 0x80000000, v65
	v_or3_b32 v65, v4, v65, v3
.LBB372_3774:                           ;   in Loop: Header=BB372_2086 Depth=1
	s_or_b32 exec_lo, exec_lo, s18
.LBB372_3775:                           ;   in Loop: Header=BB372_2086 Depth=1
	s_delay_alu instid0(SALU_CYCLE_1)
	s_or_b32 exec_lo, exec_lo, s17
.LBB372_3776:                           ;   in Loop: Header=BB372_2086 Depth=1
	s_delay_alu instid0(SALU_CYCLE_1) | instskip(SKIP_2) | instid1(VALU_DEP_1)
	s_or_b32 exec_lo, exec_lo, s16
	v_lshrrev_b16 v3, 8, v22
	s_mov_b32 s16, exec_lo
	v_cmpx_ne_u16_e32 0, v3
	s_cbranch_execz .LBB372_3784
; %bb.3777:                             ;   in Loop: Header=BB372_2086 Depth=1
	v_bfrev_b32_e32 v66, 1
	s_mov_b32 s17, exec_lo
	v_cmpx_ne_u16_e32 0x80, v3
	s_cbranch_execz .LBB372_3783
; %bb.3778:                             ;   in Loop: Header=BB372_2086 Depth=1
	v_and_b32_e32 v3, 0xffff, v3
	v_mov_b32_e32 v66, 0x7f800001
	s_mov_b32 s18, exec_lo
	s_delay_alu instid0(VALU_DEP_2) | instskip(NEXT) | instid1(VALU_DEP_1)
	v_and_b32_e32 v4, 0x7f, v3
	v_cmpx_ne_u32_e32 0x7f, v4
	s_cbranch_execz .LBB372_3782
; %bb.3779:                             ;   in Loop: Header=BB372_2086 Depth=1
	v_dual_mov_b32 v83, v23 :: v_dual_bitop2_b32 v82, 7, v3 bitop3:0x40
	v_lshrrev_b32_e32 v3, 3, v4
	s_mov_b32 s19, exec_lo
	v_cmpx_gt_u32_e32 8, v4
; %bb.3780:                             ;   in Loop: Header=BB372_2086 Depth=1
	s_delay_alu instid0(VALU_DEP_3) | instskip(NEXT) | instid1(VALU_DEP_1)
	v_clz_i32_u32_e32 v3, v82
	v_min_u32_e32 v3, 32, v3
	s_delay_alu instid0(VALU_DEP_1) | instskip(NEXT) | instid1(VALU_DEP_1)
	v_subrev_nc_u32_e32 v4, 28, v3
	v_lshlrev_b64_e32 v[66:67], v4, v[82:83]
	s_delay_alu instid0(VALU_DEP_1)
	v_dual_sub_nc_u32 v3, 29, v3 :: v_dual_bitop2_b32 v82, 7, v66 bitop3:0x40
; %bb.3781:                             ;   in Loop: Header=BB372_2086 Depth=1
	s_or_b32 exec_lo, exec_lo, s19
	v_lshlrev_b32_e32 v4, 16, v22
	s_delay_alu instid0(VALU_DEP_2) | instskip(NEXT) | instid1(VALU_DEP_3)
	v_lshlrev_b32_e32 v22, 20, v82
	v_lshl_add_u32 v3, v3, 23, 0x3c000000
	s_delay_alu instid0(VALU_DEP_3) | instskip(NEXT) | instid1(VALU_DEP_1)
	v_and_b32_e32 v4, 0x80000000, v4
	v_or3_b32 v66, v22, v4, v3
.LBB372_3782:                           ;   in Loop: Header=BB372_2086 Depth=1
	s_or_b32 exec_lo, exec_lo, s18
.LBB372_3783:                           ;   in Loop: Header=BB372_2086 Depth=1
	s_delay_alu instid0(SALU_CYCLE_1)
	s_or_b32 exec_lo, exec_lo, s17
.LBB372_3784:                           ;   in Loop: Header=BB372_2086 Depth=1
	s_delay_alu instid0(SALU_CYCLE_1) | instskip(SKIP_3) | instid1(VALU_DEP_2)
	s_or_b32 exec_lo, exec_lo, s16
	v_dual_lshrrev_b32 v69, 16, v81 :: v_dual_mov_b32 v67, 0
	v_mov_b32_e32 v68, 0
	s_mov_b32 s16, exec_lo
	v_and_b32_e32 v3, 0xff, v69
	s_delay_alu instid0(VALU_DEP_1)
	v_cmpx_ne_u16_e32 0, v3
	s_cbranch_execz .LBB372_3792
; %bb.3785:                             ;   in Loop: Header=BB372_2086 Depth=1
	v_bfrev_b32_e32 v68, 1
	s_mov_b32 s17, exec_lo
	v_cmpx_ne_u16_e32 0x80, v3
	s_cbranch_execz .LBB372_3791
; %bb.3786:                             ;   in Loop: Header=BB372_2086 Depth=1
	v_bfe_u32 v71, v81, 16, 7
	v_mov_b32_e32 v68, 0x7f800001
	s_mov_b32 s18, exec_lo
	s_delay_alu instid0(VALU_DEP_2)
	v_cmpx_ne_u32_e32 0x7f, v71
	s_cbranch_execz .LBB372_3790
; %bb.3787:                             ;   in Loop: Header=BB372_2086 Depth=1
	v_dual_lshrrev_b32 v3, 3, v71 :: v_dual_bitop2_b32 v22, 7, v69 bitop3:0x40
	s_mov_b32 s19, exec_lo
	s_delay_alu instid0(VALU_DEP_1)
	v_mov_b64_e32 v[82:83], v[22:23]
	v_cmpx_gt_u32_e32 8, v71
; %bb.3788:                             ;   in Loop: Header=BB372_2086 Depth=1
	v_clz_i32_u32_e32 v3, v22
	s_delay_alu instid0(VALU_DEP_1) | instskip(NEXT) | instid1(VALU_DEP_1)
	v_min_u32_e32 v3, 32, v3
	v_subrev_nc_u32_e32 v4, 28, v3
	s_delay_alu instid0(VALU_DEP_1) | instskip(NEXT) | instid1(VALU_DEP_1)
	v_lshlrev_b64_e32 v[82:83], v4, v[22:23]
	v_dual_sub_nc_u32 v3, 29, v3 :: v_dual_bitop2_b32 v82, 7, v82 bitop3:0x40
; %bb.3789:                             ;   in Loop: Header=BB372_2086 Depth=1
	s_or_b32 exec_lo, exec_lo, s19
	s_delay_alu instid0(VALU_DEP_1) | instskip(NEXT) | instid1(VALU_DEP_2)
	v_dual_lshlrev_b32 v4, 24, v69 :: v_dual_lshlrev_b32 v22, 20, v82
	v_lshl_add_u32 v3, v3, 23, 0x3c000000
	s_delay_alu instid0(VALU_DEP_2) | instskip(NEXT) | instid1(VALU_DEP_1)
	v_and_b32_e32 v4, 0x80000000, v4
	v_or3_b32 v68, v22, v4, v3
.LBB372_3790:                           ;   in Loop: Header=BB372_2086 Depth=1
	s_or_b32 exec_lo, exec_lo, s18
.LBB372_3791:                           ;   in Loop: Header=BB372_2086 Depth=1
	s_delay_alu instid0(SALU_CYCLE_1)
	s_or_b32 exec_lo, exec_lo, s17
.LBB372_3792:                           ;   in Loop: Header=BB372_2086 Depth=1
	s_delay_alu instid0(SALU_CYCLE_1) | instskip(NEXT) | instid1(SALU_CYCLE_1)
	s_or_b32 exec_lo, exec_lo, s16
	s_mov_b32 s16, exec_lo
	v_cmpx_lt_u64_e64 s[2:3], v[80:81]
	s_cbranch_execz .LBB372_3800
; %bb.3793:                             ;   in Loop: Header=BB372_2086 Depth=1
	v_lshrrev_b32_e32 v3, 24, v81
	v_bfrev_b32_e32 v67, 1
	s_mov_b32 s17, exec_lo
	s_delay_alu instid0(VALU_DEP_2)
	v_cmpx_ne_u32_e32 0x80, v3
	s_cbranch_execz .LBB372_3799
; %bb.3794:                             ;   in Loop: Header=BB372_2086 Depth=1
	v_bfe_u32 v69, v81, 24, 7
	v_mov_b32_e32 v67, 0x7f800001
	s_mov_b32 s18, exec_lo
	s_delay_alu instid0(VALU_DEP_2)
	v_cmpx_ne_u32_e32 0x7f, v69
	s_cbranch_execz .LBB372_3798
; %bb.3795:                             ;   in Loop: Header=BB372_2086 Depth=1
	v_dual_lshrrev_b32 v67, 3, v69 :: v_dual_bitop2_b32 v22, 7, v3 bitop3:0x40
	s_mov_b32 s19, exec_lo
	s_delay_alu instid0(VALU_DEP_1)
	v_mov_b64_e32 v[80:81], v[22:23]
	v_cmpx_gt_u32_e32 8, v69
; %bb.3796:                             ;   in Loop: Header=BB372_2086 Depth=1
	v_clz_i32_u32_e32 v4, v22
	s_delay_alu instid0(VALU_DEP_1) | instskip(NEXT) | instid1(VALU_DEP_1)
	v_min_u32_e32 v4, 32, v4
	v_subrev_nc_u32_e32 v67, 28, v4
	s_delay_alu instid0(VALU_DEP_1) | instskip(SKIP_1) | instid1(VALU_DEP_2)
	v_lshlrev_b64_e32 v[80:81], v67, v[22:23]
	v_sub_nc_u32_e32 v67, 29, v4
	v_and_b32_e32 v80, 7, v80
; %bb.3797:                             ;   in Loop: Header=BB372_2086 Depth=1
	s_or_b32 exec_lo, exec_lo, s19
	s_delay_alu instid0(VALU_DEP_1) | instskip(NEXT) | instid1(VALU_DEP_3)
	v_dual_lshlrev_b32 v3, 24, v3 :: v_dual_lshlrev_b32 v4, 20, v80
	v_lshl_add_u32 v22, v67, 23, 0x3c000000
	s_delay_alu instid0(VALU_DEP_2) | instskip(NEXT) | instid1(VALU_DEP_1)
	v_and_b32_e32 v3, 0x80000000, v3
	v_or3_b32 v67, v4, v3, v22
.LBB372_3798:                           ;   in Loop: Header=BB372_2086 Depth=1
	s_or_b32 exec_lo, exec_lo, s18
.LBB372_3799:                           ;   in Loop: Header=BB372_2086 Depth=1
	s_delay_alu instid0(SALU_CYCLE_1)
	s_or_b32 exec_lo, exec_lo, s17
.LBB372_3800:                           ;   in Loop: Header=BB372_2086 Depth=1
	s_delay_alu instid0(SALU_CYCLE_1)
	s_or_b32 exec_lo, exec_lo, s16
	v_fma_mixlo_bf16 v122, v86, v66, 0
	v_fma_mixlo_bf16 v123, v86, v65, 0
	;; [unrolled: 1-line block ×8, first 2 shown]
	s_and_saveexec_b32 s16, vcc_lo
	s_cbranch_execz .LBB372_3802
; %bb.3801:                             ;   in Loop: Header=BB372_2086 Depth=1
	scratch_load_b32 v2, off, s32 offset:192 ; 4-byte Folded Reload
	s_wait_loadcnt 0x0
	v_cmp_lt_i32_e64 s0, v63, v2
	s_delay_alu instid0(VALU_DEP_1) | instskip(SKIP_1) | instid1(VALU_DEP_1)
	v_cndmask_b32_e64 v11, 0, v11, s0
	v_cmp_lt_i32_e64 s0, v95, v2
	v_cndmask_b32_e64 v10, 0, v10, s0
	v_cmp_lt_i32_e64 s0, v94, v2
	s_delay_alu instid0(VALU_DEP_1) | instskip(SKIP_1) | instid1(VALU_DEP_1)
	v_cndmask_b32_e64 v127, 0, v127, s0
	v_cmp_lt_i32_e64 s0, v93, v2
	v_cndmask_b32_e64 v125, 0, v125, s0
	;; [unrolled: 5-line block ×4, first 2 shown]
.LBB372_3802:                           ;   in Loop: Header=BB372_2086 Depth=1
	s_wait_xcnt 0x0
	s_or_b32 exec_lo, exec_lo, s16
	flat_load_b64 v[80:81], v[18:19] offset:6656
	v_dual_mov_b32 v65, 0 :: v_dual_mov_b32 v2, 0
	s_mov_b32 s16, exec_lo
	s_wait_loadcnt_dscnt 0x0
	v_and_b32_e32 v3, 0xff, v80
	s_wait_xcnt 0x0
	s_delay_alu instid0(VALU_DEP_1)
	v_cmpx_ne_u16_e32 0, v3
	s_cbranch_execz .LBB372_3810
; %bb.3803:                             ;   in Loop: Header=BB372_2086 Depth=1
	v_bfrev_b32_e32 v2, 1
	s_mov_b32 s17, exec_lo
	v_cmpx_ne_u16_e32 0x80, v3
	s_cbranch_execz .LBB372_3809
; %bb.3804:                             ;   in Loop: Header=BB372_2086 Depth=1
	v_and_b32_e32 v3, 0x7f, v80
	v_mov_b32_e32 v2, 0x7f800001
	s_mov_b32 s18, exec_lo
	s_delay_alu instid0(VALU_DEP_2)
	v_cmpx_ne_u32_e32 0x7f, v3
	s_cbranch_execz .LBB372_3808
; %bb.3805:                             ;   in Loop: Header=BB372_2086 Depth=1
	v_mov_b64_e32 v[82:83], v[80:81]
	v_lshrrev_b32_e32 v2, 3, v3
	s_mov_b32 s19, exec_lo
	v_cmpx_gt_u32_e32 8, v3
; %bb.3806:                             ;   in Loop: Header=BB372_2086 Depth=1
	v_and_b32_e32 v2, 7, v80
	s_delay_alu instid0(VALU_DEP_1) | instskip(NEXT) | instid1(VALU_DEP_1)
	v_clz_i32_u32_e32 v2, v2
	v_min_u32_e32 v2, 32, v2
	s_delay_alu instid0(VALU_DEP_1) | instskip(SKIP_1) | instid1(VALU_DEP_2)
	v_subrev_nc_u32_e32 v3, 28, v2
	v_sub_nc_u32_e32 v2, 29, v2
	v_lshlrev_b64_e32 v[82:83], v3, v[80:81]
; %bb.3807:                             ;   in Loop: Header=BB372_2086 Depth=1
	s_or_b32 exec_lo, exec_lo, s19
	s_delay_alu instid0(VALU_DEP_1) | instskip(NEXT) | instid1(VALU_DEP_3)
	v_dual_lshlrev_b32 v3, 20, v82 :: v_dual_lshlrev_b32 v4, 24, v80
	v_lshl_add_u32 v2, v2, 23, 0x3c000000
	s_delay_alu instid0(VALU_DEP_2) | instskip(NEXT) | instid1(VALU_DEP_3)
	v_and_b32_e32 v3, 0x700000, v3
	v_and_b32_e32 v4, 0x80000000, v4
	s_delay_alu instid0(VALU_DEP_1)
	v_or3_b32 v2, v3, v4, v2
.LBB372_3808:                           ;   in Loop: Header=BB372_2086 Depth=1
	s_or_b32 exec_lo, exec_lo, s18
.LBB372_3809:                           ;   in Loop: Header=BB372_2086 Depth=1
	s_delay_alu instid0(SALU_CYCLE_1)
	s_or_b32 exec_lo, exec_lo, s17
.LBB372_3810:                           ;   in Loop: Header=BB372_2086 Depth=1
	s_delay_alu instid0(SALU_CYCLE_1) | instskip(SKIP_2) | instid1(VALU_DEP_1)
	s_or_b32 exec_lo, exec_lo, s16
	v_lshrrev_b16 v3, 8, v80
	s_mov_b32 s16, exec_lo
	v_cmpx_ne_u16_e32 0, v3
	s_cbranch_execz .LBB372_3818
; %bb.3811:                             ;   in Loop: Header=BB372_2086 Depth=1
	v_bfrev_b32_e32 v65, 1
	s_mov_b32 s17, exec_lo
	v_cmpx_ne_u16_e32 0x80, v3
	s_cbranch_execz .LBB372_3817
; %bb.3812:                             ;   in Loop: Header=BB372_2086 Depth=1
	v_and_b32_e32 v3, 0xffff, v3
	v_mov_b32_e32 v65, 0x7f800001
	s_mov_b32 s18, exec_lo
	s_delay_alu instid0(VALU_DEP_2) | instskip(NEXT) | instid1(VALU_DEP_1)
	v_and_b32_e32 v64, 0x7f, v3
	v_cmpx_ne_u32_e32 0x7f, v64
	s_cbranch_execz .LBB372_3816
; %bb.3813:                             ;   in Loop: Header=BB372_2086 Depth=1
	v_dual_lshrrev_b32 v3, 3, v64 :: v_dual_bitop2_b32 v22, 7, v3 bitop3:0x40
	s_mov_b32 s19, exec_lo
	s_delay_alu instid0(VALU_DEP_1)
	v_mov_b64_e32 v[82:83], v[22:23]
	v_cmpx_gt_u32_e32 8, v64
; %bb.3814:                             ;   in Loop: Header=BB372_2086 Depth=1
	v_clz_i32_u32_e32 v3, v22
	s_delay_alu instid0(VALU_DEP_1) | instskip(NEXT) | instid1(VALU_DEP_1)
	v_min_u32_e32 v3, 32, v3
	v_subrev_nc_u32_e32 v4, 28, v3
	s_delay_alu instid0(VALU_DEP_1) | instskip(NEXT) | instid1(VALU_DEP_1)
	v_lshlrev_b64_e32 v[64:65], v4, v[22:23]
	v_dual_sub_nc_u32 v3, 29, v3 :: v_dual_bitop2_b32 v82, 7, v64 bitop3:0x40
; %bb.3815:                             ;   in Loop: Header=BB372_2086 Depth=1
	s_or_b32 exec_lo, exec_lo, s19
	s_delay_alu instid0(VALU_DEP_1) | instskip(NEXT) | instid1(VALU_DEP_2)
	v_dual_lshlrev_b32 v4, 16, v80 :: v_dual_lshlrev_b32 v22, 20, v82
	v_lshl_add_u32 v3, v3, 23, 0x3c000000
	s_delay_alu instid0(VALU_DEP_2) | instskip(NEXT) | instid1(VALU_DEP_1)
	v_and_b32_e32 v4, 0x80000000, v4
	v_or3_b32 v65, v22, v4, v3
.LBB372_3816:                           ;   in Loop: Header=BB372_2086 Depth=1
	s_or_b32 exec_lo, exec_lo, s18
.LBB372_3817:                           ;   in Loop: Header=BB372_2086 Depth=1
	s_delay_alu instid0(SALU_CYCLE_1)
	s_or_b32 exec_lo, exec_lo, s17
.LBB372_3818:                           ;   in Loop: Header=BB372_2086 Depth=1
	s_delay_alu instid0(SALU_CYCLE_1) | instskip(SKIP_3) | instid1(VALU_DEP_2)
	s_or_b32 exec_lo, exec_lo, s16
	v_dual_mov_b32 v67, 0 :: v_dual_lshrrev_b32 v64, 16, v80
	v_mov_b32_e32 v66, 0
	s_mov_b32 s16, exec_lo
	v_and_b32_e32 v3, 0xff, v64
	s_delay_alu instid0(VALU_DEP_1)
	v_cmpx_ne_u16_e32 0, v3
	s_cbranch_execz .LBB372_3826
; %bb.3819:                             ;   in Loop: Header=BB372_2086 Depth=1
	v_bfrev_b32_e32 v66, 1
	s_mov_b32 s17, exec_lo
	v_cmpx_ne_u16_e32 0x80, v3
	s_cbranch_execz .LBB372_3825
; %bb.3820:                             ;   in Loop: Header=BB372_2086 Depth=1
	v_bfe_u32 v68, v80, 16, 7
	v_mov_b32_e32 v66, 0x7f800001
	s_mov_b32 s18, exec_lo
	s_delay_alu instid0(VALU_DEP_2)
	v_cmpx_ne_u32_e32 0x7f, v68
	s_cbranch_execz .LBB372_3824
; %bb.3821:                             ;   in Loop: Header=BB372_2086 Depth=1
	v_and_b32_e32 v22, 7, v64
	v_lshrrev_b32_e32 v3, 3, v68
	s_mov_b32 s19, exec_lo
	s_delay_alu instid0(VALU_DEP_2)
	v_mov_b64_e32 v[82:83], v[22:23]
	v_cmpx_gt_u32_e32 8, v68
; %bb.3822:                             ;   in Loop: Header=BB372_2086 Depth=1
	v_clz_i32_u32_e32 v3, v22
	s_delay_alu instid0(VALU_DEP_1) | instskip(NEXT) | instid1(VALU_DEP_1)
	v_min_u32_e32 v3, 32, v3
	v_subrev_nc_u32_e32 v4, 28, v3
	s_delay_alu instid0(VALU_DEP_1) | instskip(NEXT) | instid1(VALU_DEP_1)
	v_lshlrev_b64_e32 v[68:69], v4, v[22:23]
	v_dual_sub_nc_u32 v3, 29, v3 :: v_dual_bitop2_b32 v82, 7, v68 bitop3:0x40
; %bb.3823:                             ;   in Loop: Header=BB372_2086 Depth=1
	s_or_b32 exec_lo, exec_lo, s19
	s_delay_alu instid0(VALU_DEP_1) | instskip(NEXT) | instid1(VALU_DEP_2)
	v_dual_lshlrev_b32 v4, 24, v64 :: v_dual_lshlrev_b32 v22, 20, v82
	v_lshl_add_u32 v3, v3, 23, 0x3c000000
	s_delay_alu instid0(VALU_DEP_2) | instskip(NEXT) | instid1(VALU_DEP_1)
	v_and_b32_e32 v4, 0x80000000, v4
	v_or3_b32 v66, v22, v4, v3
.LBB372_3824:                           ;   in Loop: Header=BB372_2086 Depth=1
	s_or_b32 exec_lo, exec_lo, s18
.LBB372_3825:                           ;   in Loop: Header=BB372_2086 Depth=1
	s_delay_alu instid0(SALU_CYCLE_1)
	s_or_b32 exec_lo, exec_lo, s17
.LBB372_3826:                           ;   in Loop: Header=BB372_2086 Depth=1
	s_delay_alu instid0(SALU_CYCLE_1) | instskip(NEXT) | instid1(SALU_CYCLE_1)
	s_or_b32 exec_lo, exec_lo, s16
	s_mov_b32 s16, exec_lo
	v_cmpx_lt_u32_e32 0xffffff, v80
	s_cbranch_execz .LBB372_3834
; %bb.3827:                             ;   in Loop: Header=BB372_2086 Depth=1
	v_lshrrev_b32_e32 v3, 24, v80
	v_bfrev_b32_e32 v67, 1
	s_mov_b32 s17, exec_lo
	s_delay_alu instid0(VALU_DEP_2)
	v_cmpx_ne_u32_e32 0x80, v3
	s_cbranch_execz .LBB372_3833
; %bb.3828:                             ;   in Loop: Header=BB372_2086 Depth=1
	v_bfe_u32 v68, v80, 24, 7
	v_mov_b32_e32 v67, 0x7f800001
	s_mov_b32 s18, exec_lo
	s_delay_alu instid0(VALU_DEP_2)
	v_cmpx_ne_u32_e32 0x7f, v68
	s_cbranch_execz .LBB372_3832
; %bb.3829:                             ;   in Loop: Header=BB372_2086 Depth=1
	v_dual_lshrrev_b32 v64, 3, v68 :: v_dual_bitop2_b32 v22, 7, v3 bitop3:0x40
	s_mov_b32 s19, exec_lo
	s_delay_alu instid0(VALU_DEP_1)
	v_mov_b64_e32 v[82:83], v[22:23]
	v_cmpx_gt_u32_e32 8, v68
; %bb.3830:                             ;   in Loop: Header=BB372_2086 Depth=1
	v_clz_i32_u32_e32 v4, v22
	s_delay_alu instid0(VALU_DEP_1) | instskip(NEXT) | instid1(VALU_DEP_1)
	v_min_u32_e32 v4, 32, v4
	v_subrev_nc_u32_e32 v64, 28, v4
	s_delay_alu instid0(VALU_DEP_1) | instskip(SKIP_1) | instid1(VALU_DEP_2)
	v_lshlrev_b64_e32 v[68:69], v64, v[22:23]
	v_sub_nc_u32_e32 v64, 29, v4
	v_and_b32_e32 v82, 7, v68
; %bb.3831:                             ;   in Loop: Header=BB372_2086 Depth=1
	s_or_b32 exec_lo, exec_lo, s19
	s_delay_alu instid0(VALU_DEP_1) | instskip(NEXT) | instid1(VALU_DEP_3)
	v_dual_lshlrev_b32 v3, 24, v3 :: v_dual_lshlrev_b32 v4, 20, v82
	v_lshl_add_u32 v22, v64, 23, 0x3c000000
	s_delay_alu instid0(VALU_DEP_2) | instskip(NEXT) | instid1(VALU_DEP_1)
	v_and_b32_e32 v3, 0x80000000, v3
	v_or3_b32 v67, v4, v3, v22
.LBB372_3832:                           ;   in Loop: Header=BB372_2086 Depth=1
	s_or_b32 exec_lo, exec_lo, s18
.LBB372_3833:                           ;   in Loop: Header=BB372_2086 Depth=1
	s_delay_alu instid0(SALU_CYCLE_1)
	s_or_b32 exec_lo, exec_lo, s17
.LBB372_3834:                           ;   in Loop: Header=BB372_2086 Depth=1
	s_delay_alu instid0(SALU_CYCLE_1) | instskip(SKIP_4) | instid1(VALU_DEP_3)
	s_or_b32 exec_lo, exec_lo, s16
	v_and_b32_e32 v3, 0xff, v81
	v_dual_mov_b32 v22, v81 :: v_dual_mov_b32 v68, 0
	v_mov_b32_e32 v64, 0
	s_mov_b32 s16, exec_lo
	v_cmpx_ne_u16_e32 0, v3
	s_cbranch_execz .LBB372_3842
; %bb.3835:                             ;   in Loop: Header=BB372_2086 Depth=1
	v_bfrev_b32_e32 v64, 1
	s_mov_b32 s17, exec_lo
	v_cmpx_ne_u16_e32 0x80, v3
	s_cbranch_execz .LBB372_3841
; %bb.3836:                             ;   in Loop: Header=BB372_2086 Depth=1
	v_and_b32_e32 v4, 0x7f, v81
	v_mov_b32_e32 v64, 0x7f800001
	s_mov_b32 s18, exec_lo
	s_delay_alu instid0(VALU_DEP_2)
	v_cmpx_ne_u32_e32 0x7f, v4
	s_cbranch_execz .LBB372_3840
; %bb.3837:                             ;   in Loop: Header=BB372_2086 Depth=1
	v_mov_b64_e32 v[82:83], v[22:23]
	v_lshrrev_b32_e32 v3, 3, v4
	s_mov_b32 s19, exec_lo
	v_cmpx_gt_u32_e32 8, v4
; %bb.3838:                             ;   in Loop: Header=BB372_2086 Depth=1
	v_and_b32_e32 v3, 7, v81
	s_delay_alu instid0(VALU_DEP_1) | instskip(NEXT) | instid1(VALU_DEP_1)
	v_clz_i32_u32_e32 v3, v3
	v_min_u32_e32 v3, 32, v3
	s_delay_alu instid0(VALU_DEP_1) | instskip(SKIP_1) | instid1(VALU_DEP_2)
	v_subrev_nc_u32_e32 v4, 28, v3
	v_sub_nc_u32_e32 v3, 29, v3
	v_lshlrev_b64_e32 v[82:83], v4, v[22:23]
; %bb.3839:                             ;   in Loop: Header=BB372_2086 Depth=1
	s_or_b32 exec_lo, exec_lo, s19
	s_delay_alu instid0(VALU_DEP_1) | instskip(SKIP_2) | instid1(VALU_DEP_3)
	v_lshlrev_b32_e32 v4, 20, v82
	v_lshlrev_b32_e32 v64, 24, v22
	v_lshl_add_u32 v3, v3, 23, 0x3c000000
	v_and_b32_e32 v4, 0x700000, v4
	s_delay_alu instid0(VALU_DEP_3) | instskip(NEXT) | instid1(VALU_DEP_1)
	v_and_b32_e32 v64, 0x80000000, v64
	v_or3_b32 v64, v4, v64, v3
.LBB372_3840:                           ;   in Loop: Header=BB372_2086 Depth=1
	s_or_b32 exec_lo, exec_lo, s18
.LBB372_3841:                           ;   in Loop: Header=BB372_2086 Depth=1
	s_delay_alu instid0(SALU_CYCLE_1)
	s_or_b32 exec_lo, exec_lo, s17
.LBB372_3842:                           ;   in Loop: Header=BB372_2086 Depth=1
	s_delay_alu instid0(SALU_CYCLE_1) | instskip(SKIP_2) | instid1(VALU_DEP_1)
	s_or_b32 exec_lo, exec_lo, s16
	v_lshrrev_b16 v3, 8, v22
	s_mov_b32 s16, exec_lo
	v_cmpx_ne_u16_e32 0, v3
	s_cbranch_execz .LBB372_3850
; %bb.3843:                             ;   in Loop: Header=BB372_2086 Depth=1
	v_bfrev_b32_e32 v68, 1
	s_mov_b32 s17, exec_lo
	v_cmpx_ne_u16_e32 0x80, v3
	s_cbranch_execz .LBB372_3849
; %bb.3844:                             ;   in Loop: Header=BB372_2086 Depth=1
	v_and_b32_e32 v3, 0xffff, v3
	v_mov_b32_e32 v68, 0x7f800001
	s_mov_b32 s18, exec_lo
	s_delay_alu instid0(VALU_DEP_2) | instskip(NEXT) | instid1(VALU_DEP_1)
	v_and_b32_e32 v4, 0x7f, v3
	v_cmpx_ne_u32_e32 0x7f, v4
	s_cbranch_execz .LBB372_3848
; %bb.3845:                             ;   in Loop: Header=BB372_2086 Depth=1
	v_dual_mov_b32 v83, v23 :: v_dual_bitop2_b32 v82, 7, v3 bitop3:0x40
	v_lshrrev_b32_e32 v3, 3, v4
	s_mov_b32 s19, exec_lo
	v_cmpx_gt_u32_e32 8, v4
; %bb.3846:                             ;   in Loop: Header=BB372_2086 Depth=1
	s_delay_alu instid0(VALU_DEP_3) | instskip(NEXT) | instid1(VALU_DEP_1)
	v_clz_i32_u32_e32 v3, v82
	v_min_u32_e32 v3, 32, v3
	s_delay_alu instid0(VALU_DEP_1) | instskip(NEXT) | instid1(VALU_DEP_1)
	v_subrev_nc_u32_e32 v4, 28, v3
	v_lshlrev_b64_e32 v[68:69], v4, v[82:83]
	s_delay_alu instid0(VALU_DEP_1)
	v_dual_sub_nc_u32 v3, 29, v3 :: v_dual_bitop2_b32 v82, 7, v68 bitop3:0x40
; %bb.3847:                             ;   in Loop: Header=BB372_2086 Depth=1
	s_or_b32 exec_lo, exec_lo, s19
	v_lshlrev_b32_e32 v4, 16, v22
	s_delay_alu instid0(VALU_DEP_2) | instskip(NEXT) | instid1(VALU_DEP_3)
	v_lshlrev_b32_e32 v22, 20, v82
	v_lshl_add_u32 v3, v3, 23, 0x3c000000
	s_delay_alu instid0(VALU_DEP_3) | instskip(NEXT) | instid1(VALU_DEP_1)
	v_and_b32_e32 v4, 0x80000000, v4
	v_or3_b32 v68, v22, v4, v3
.LBB372_3848:                           ;   in Loop: Header=BB372_2086 Depth=1
	s_or_b32 exec_lo, exec_lo, s18
.LBB372_3849:                           ;   in Loop: Header=BB372_2086 Depth=1
	s_delay_alu instid0(SALU_CYCLE_1)
	s_or_b32 exec_lo, exec_lo, s17
.LBB372_3850:                           ;   in Loop: Header=BB372_2086 Depth=1
	s_delay_alu instid0(SALU_CYCLE_1) | instskip(SKIP_3) | instid1(VALU_DEP_2)
	s_or_b32 exec_lo, exec_lo, s16
	v_dual_lshrrev_b32 v69, 16, v81 :: v_dual_mov_b32 v71, 0
	v_mov_b32_e32 v82, 0
	s_mov_b32 s16, exec_lo
	v_and_b32_e32 v3, 0xff, v69
	s_delay_alu instid0(VALU_DEP_1)
	v_cmpx_ne_u16_e32 0, v3
	s_cbranch_execz .LBB372_3858
; %bb.3851:                             ;   in Loop: Header=BB372_2086 Depth=1
	v_bfrev_b32_e32 v82, 1
	s_mov_b32 s17, exec_lo
	v_cmpx_ne_u16_e32 0x80, v3
	s_cbranch_execz .LBB372_3857
; %bb.3852:                             ;   in Loop: Header=BB372_2086 Depth=1
	v_bfe_u32 v84, v81, 16, 7
	v_mov_b32_e32 v82, 0x7f800001
	s_mov_b32 s18, exec_lo
	s_delay_alu instid0(VALU_DEP_2)
	v_cmpx_ne_u32_e32 0x7f, v84
	s_cbranch_execz .LBB372_3856
; %bb.3853:                             ;   in Loop: Header=BB372_2086 Depth=1
	v_dual_lshrrev_b32 v3, 3, v84 :: v_dual_bitop2_b32 v22, 7, v69 bitop3:0x40
	s_mov_b32 s19, exec_lo
	s_delay_alu instid0(VALU_DEP_1)
	v_mov_b64_e32 v[82:83], v[22:23]
	v_cmpx_gt_u32_e32 8, v84
; %bb.3854:                             ;   in Loop: Header=BB372_2086 Depth=1
	v_clz_i32_u32_e32 v3, v22
	s_delay_alu instid0(VALU_DEP_1) | instskip(NEXT) | instid1(VALU_DEP_1)
	v_min_u32_e32 v3, 32, v3
	v_subrev_nc_u32_e32 v4, 28, v3
	s_delay_alu instid0(VALU_DEP_1) | instskip(NEXT) | instid1(VALU_DEP_1)
	v_lshlrev_b64_e32 v[82:83], v4, v[22:23]
	v_dual_sub_nc_u32 v3, 29, v3 :: v_dual_bitop2_b32 v82, 7, v82 bitop3:0x40
; %bb.3855:                             ;   in Loop: Header=BB372_2086 Depth=1
	s_or_b32 exec_lo, exec_lo, s19
	s_delay_alu instid0(VALU_DEP_1) | instskip(NEXT) | instid1(VALU_DEP_2)
	v_dual_lshlrev_b32 v4, 24, v69 :: v_dual_lshlrev_b32 v22, 20, v82
	v_lshl_add_u32 v3, v3, 23, 0x3c000000
	s_delay_alu instid0(VALU_DEP_2) | instskip(NEXT) | instid1(VALU_DEP_1)
	v_and_b32_e32 v4, 0x80000000, v4
	v_or3_b32 v82, v22, v4, v3
.LBB372_3856:                           ;   in Loop: Header=BB372_2086 Depth=1
	s_or_b32 exec_lo, exec_lo, s18
.LBB372_3857:                           ;   in Loop: Header=BB372_2086 Depth=1
	s_delay_alu instid0(SALU_CYCLE_1)
	s_or_b32 exec_lo, exec_lo, s17
.LBB372_3858:                           ;   in Loop: Header=BB372_2086 Depth=1
	s_delay_alu instid0(SALU_CYCLE_1) | instskip(NEXT) | instid1(SALU_CYCLE_1)
	s_or_b32 exec_lo, exec_lo, s16
	s_mov_b32 s16, exec_lo
	v_cmpx_lt_u64_e64 s[2:3], v[80:81]
	s_cbranch_execz .LBB372_3866
; %bb.3859:                             ;   in Loop: Header=BB372_2086 Depth=1
	v_lshrrev_b32_e32 v3, 24, v81
	v_bfrev_b32_e32 v71, 1
	s_mov_b32 s17, exec_lo
	s_delay_alu instid0(VALU_DEP_2)
	v_cmpx_ne_u32_e32 0x80, v3
	s_cbranch_execz .LBB372_3865
; %bb.3860:                             ;   in Loop: Header=BB372_2086 Depth=1
	v_bfe_u32 v83, v81, 24, 7
	v_mov_b32_e32 v71, 0x7f800001
	s_mov_b32 s18, exec_lo
	s_delay_alu instid0(VALU_DEP_2)
	v_cmpx_ne_u32_e32 0x7f, v83
	s_cbranch_execz .LBB372_3864
; %bb.3861:                             ;   in Loop: Header=BB372_2086 Depth=1
	v_and_b32_e32 v22, 7, v3
	v_lshrrev_b32_e32 v69, 3, v83
	s_mov_b32 s19, exec_lo
	s_delay_alu instid0(VALU_DEP_2)
	v_mov_b64_e32 v[80:81], v[22:23]
	v_cmpx_gt_u32_e32 8, v83
; %bb.3862:                             ;   in Loop: Header=BB372_2086 Depth=1
	v_clz_i32_u32_e32 v4, v22
	s_delay_alu instid0(VALU_DEP_1) | instskip(NEXT) | instid1(VALU_DEP_1)
	v_min_u32_e32 v4, 32, v4
	v_subrev_nc_u32_e32 v69, 28, v4
	s_delay_alu instid0(VALU_DEP_1) | instskip(SKIP_1) | instid1(VALU_DEP_2)
	v_lshlrev_b64_e32 v[80:81], v69, v[22:23]
	v_sub_nc_u32_e32 v69, 29, v4
	v_and_b32_e32 v80, 7, v80
; %bb.3863:                             ;   in Loop: Header=BB372_2086 Depth=1
	s_or_b32 exec_lo, exec_lo, s19
	s_delay_alu instid0(VALU_DEP_1) | instskip(NEXT) | instid1(VALU_DEP_3)
	v_dual_lshlrev_b32 v3, 24, v3 :: v_dual_lshlrev_b32 v4, 20, v80
	v_lshl_add_u32 v22, v69, 23, 0x3c000000
	s_delay_alu instid0(VALU_DEP_2) | instskip(NEXT) | instid1(VALU_DEP_1)
	v_and_b32_e32 v3, 0x80000000, v3
	v_or3_b32 v71, v4, v3, v22
.LBB372_3864:                           ;   in Loop: Header=BB372_2086 Depth=1
	s_or_b32 exec_lo, exec_lo, s18
.LBB372_3865:                           ;   in Loop: Header=BB372_2086 Depth=1
	s_delay_alu instid0(SALU_CYCLE_1)
	s_or_b32 exec_lo, exec_lo, s17
.LBB372_3866:                           ;   in Loop: Header=BB372_2086 Depth=1
	s_delay_alu instid0(SALU_CYCLE_1)
	s_or_b32 exec_lo, exec_lo, s16
	v_fma_mixlo_bf16 v87, v86, v68, 0
	v_fma_mixlo_bf16 v64, v86, v64, 0
	;; [unrolled: 1-line block ×8, first 2 shown]
	s_and_saveexec_b32 s16, vcc_lo
	s_cbranch_execz .LBB372_3868
; %bb.3867:                             ;   in Loop: Header=BB372_2086 Depth=1
	scratch_load_b32 v2, off, s32 offset:192 ; 4-byte Folded Reload
	s_wait_loadcnt 0x0
	v_cmp_lt_i32_e64 s0, v63, v2
	s_delay_alu instid0(VALU_DEP_1) | instskip(SKIP_1) | instid1(VALU_DEP_1)
	v_cndmask_b32_e64 v84, 0, v84, s0
	v_cmp_lt_i32_e64 s0, v95, v2
	v_cndmask_b32_e64 v69, 0, v69, s0
	v_cmp_lt_i32_e64 s0, v94, v2
	s_delay_alu instid0(VALU_DEP_1) | instskip(SKIP_1) | instid1(VALU_DEP_1)
	v_cndmask_b32_e64 v68, 0, v68, s0
	v_cmp_lt_i32_e64 s0, v93, v2
	v_cndmask_b32_e64 v67, 0, v67, s0
	;; [unrolled: 5-line block ×4, first 2 shown]
.LBB372_3868:                           ;   in Loop: Header=BB372_2086 Depth=1
	s_wait_xcnt 0x0
	s_or_b32 exec_lo, exec_lo, s16
	flat_load_b64 v[80:81], v[18:19] offset:6912
	v_dual_mov_b32 v96, 0 :: v_dual_mov_b32 v2, 0
	s_mov_b32 s16, exec_lo
	s_wait_loadcnt_dscnt 0x0
	v_and_b32_e32 v3, 0xff, v80
	s_wait_xcnt 0x0
	s_delay_alu instid0(VALU_DEP_1)
	v_cmpx_ne_u16_e32 0, v3
	s_cbranch_execz .LBB372_3876
; %bb.3869:                             ;   in Loop: Header=BB372_2086 Depth=1
	v_bfrev_b32_e32 v2, 1
	s_mov_b32 s17, exec_lo
	v_cmpx_ne_u16_e32 0x80, v3
	s_cbranch_execz .LBB372_3875
; %bb.3870:                             ;   in Loop: Header=BB372_2086 Depth=1
	v_and_b32_e32 v3, 0x7f, v80
	v_mov_b32_e32 v2, 0x7f800001
	s_mov_b32 s18, exec_lo
	s_delay_alu instid0(VALU_DEP_2)
	v_cmpx_ne_u32_e32 0x7f, v3
	s_cbranch_execz .LBB372_3874
; %bb.3871:                             ;   in Loop: Header=BB372_2086 Depth=1
	v_mov_b64_e32 v[82:83], v[80:81]
	v_lshrrev_b32_e32 v2, 3, v3
	s_mov_b32 s19, exec_lo
	v_cmpx_gt_u32_e32 8, v3
; %bb.3872:                             ;   in Loop: Header=BB372_2086 Depth=1
	v_and_b32_e32 v2, 7, v80
	s_delay_alu instid0(VALU_DEP_1) | instskip(NEXT) | instid1(VALU_DEP_1)
	v_clz_i32_u32_e32 v2, v2
	v_min_u32_e32 v2, 32, v2
	s_delay_alu instid0(VALU_DEP_1) | instskip(SKIP_1) | instid1(VALU_DEP_2)
	v_subrev_nc_u32_e32 v3, 28, v2
	v_sub_nc_u32_e32 v2, 29, v2
	v_lshlrev_b64_e32 v[82:83], v3, v[80:81]
; %bb.3873:                             ;   in Loop: Header=BB372_2086 Depth=1
	s_or_b32 exec_lo, exec_lo, s19
	s_delay_alu instid0(VALU_DEP_1) | instskip(NEXT) | instid1(VALU_DEP_3)
	v_dual_lshlrev_b32 v3, 20, v82 :: v_dual_lshlrev_b32 v4, 24, v80
	v_lshl_add_u32 v2, v2, 23, 0x3c000000
	s_delay_alu instid0(VALU_DEP_2) | instskip(NEXT) | instid1(VALU_DEP_3)
	v_and_b32_e32 v3, 0x700000, v3
	v_and_b32_e32 v4, 0x80000000, v4
	s_delay_alu instid0(VALU_DEP_1)
	v_or3_b32 v2, v3, v4, v2
.LBB372_3874:                           ;   in Loop: Header=BB372_2086 Depth=1
	s_or_b32 exec_lo, exec_lo, s18
.LBB372_3875:                           ;   in Loop: Header=BB372_2086 Depth=1
	s_delay_alu instid0(SALU_CYCLE_1)
	s_or_b32 exec_lo, exec_lo, s17
.LBB372_3876:                           ;   in Loop: Header=BB372_2086 Depth=1
	s_delay_alu instid0(SALU_CYCLE_1) | instskip(SKIP_2) | instid1(VALU_DEP_1)
	s_or_b32 exec_lo, exec_lo, s16
	v_lshrrev_b16 v3, 8, v80
	s_mov_b32 s16, exec_lo
	v_cmpx_ne_u16_e32 0, v3
	s_cbranch_execz .LBB372_3884
; %bb.3877:                             ;   in Loop: Header=BB372_2086 Depth=1
	v_bfrev_b32_e32 v96, 1
	s_mov_b32 s17, exec_lo
	v_cmpx_ne_u16_e32 0x80, v3
	s_cbranch_execz .LBB372_3883
; %bb.3878:                             ;   in Loop: Header=BB372_2086 Depth=1
	v_and_b32_e32 v3, 0xffff, v3
	v_mov_b32_e32 v96, 0x7f800001
	s_mov_b32 s18, exec_lo
	s_delay_alu instid0(VALU_DEP_2) | instskip(NEXT) | instid1(VALU_DEP_1)
	v_and_b32_e32 v71, 0x7f, v3
	v_cmpx_ne_u32_e32 0x7f, v71
	s_cbranch_execz .LBB372_3882
; %bb.3879:                             ;   in Loop: Header=BB372_2086 Depth=1
	v_and_b32_e32 v22, 7, v3
	v_lshrrev_b32_e32 v3, 3, v71
	s_mov_b32 s19, exec_lo
	s_delay_alu instid0(VALU_DEP_2)
	v_mov_b64_e32 v[82:83], v[22:23]
	v_cmpx_gt_u32_e32 8, v71
; %bb.3880:                             ;   in Loop: Header=BB372_2086 Depth=1
	v_clz_i32_u32_e32 v3, v22
	s_delay_alu instid0(VALU_DEP_1) | instskip(NEXT) | instid1(VALU_DEP_1)
	v_min_u32_e32 v3, 32, v3
	v_subrev_nc_u32_e32 v4, 28, v3
	s_delay_alu instid0(VALU_DEP_1) | instskip(NEXT) | instid1(VALU_DEP_1)
	v_lshlrev_b64_e32 v[82:83], v4, v[22:23]
	v_dual_sub_nc_u32 v3, 29, v3 :: v_dual_bitop2_b32 v82, 7, v82 bitop3:0x40
; %bb.3881:                             ;   in Loop: Header=BB372_2086 Depth=1
	s_or_b32 exec_lo, exec_lo, s19
	s_delay_alu instid0(VALU_DEP_1) | instskip(NEXT) | instid1(VALU_DEP_2)
	v_dual_lshlrev_b32 v4, 16, v80 :: v_dual_lshlrev_b32 v22, 20, v82
	v_lshl_add_u32 v3, v3, 23, 0x3c000000
	s_delay_alu instid0(VALU_DEP_2) | instskip(NEXT) | instid1(VALU_DEP_1)
	v_and_b32_e32 v4, 0x80000000, v4
	v_or3_b32 v96, v22, v4, v3
.LBB372_3882:                           ;   in Loop: Header=BB372_2086 Depth=1
	s_or_b32 exec_lo, exec_lo, s18
.LBB372_3883:                           ;   in Loop: Header=BB372_2086 Depth=1
	s_delay_alu instid0(SALU_CYCLE_1)
	s_or_b32 exec_lo, exec_lo, s17
.LBB372_3884:                           ;   in Loop: Header=BB372_2086 Depth=1
	s_delay_alu instid0(SALU_CYCLE_1) | instskip(SKIP_3) | instid1(VALU_DEP_2)
	s_or_b32 exec_lo, exec_lo, s16
	v_dual_lshrrev_b32 v71, 16, v80 :: v_dual_mov_b32 v97, 0
	v_mov_b32_e32 v98, 0
	s_mov_b32 s16, exec_lo
	v_and_b32_e32 v3, 0xff, v71
	s_delay_alu instid0(VALU_DEP_1)
	v_cmpx_ne_u16_e32 0, v3
	s_cbranch_execz .LBB372_3892
; %bb.3885:                             ;   in Loop: Header=BB372_2086 Depth=1
	v_bfrev_b32_e32 v98, 1
	s_mov_b32 s17, exec_lo
	v_cmpx_ne_u16_e32 0x80, v3
	s_cbranch_execz .LBB372_3891
; %bb.3886:                             ;   in Loop: Header=BB372_2086 Depth=1
	v_bfe_u32 v85, v80, 16, 7
	v_mov_b32_e32 v98, 0x7f800001
	s_mov_b32 s18, exec_lo
	s_delay_alu instid0(VALU_DEP_2)
	v_cmpx_ne_u32_e32 0x7f, v85
	s_cbranch_execz .LBB372_3890
; %bb.3887:                             ;   in Loop: Header=BB372_2086 Depth=1
	v_dual_lshrrev_b32 v3, 3, v85 :: v_dual_bitop2_b32 v22, 7, v71 bitop3:0x40
	s_mov_b32 s19, exec_lo
	s_delay_alu instid0(VALU_DEP_1)
	v_mov_b64_e32 v[82:83], v[22:23]
	v_cmpx_gt_u32_e32 8, v85
; %bb.3888:                             ;   in Loop: Header=BB372_2086 Depth=1
	v_clz_i32_u32_e32 v3, v22
	s_delay_alu instid0(VALU_DEP_1) | instskip(NEXT) | instid1(VALU_DEP_1)
	v_min_u32_e32 v3, 32, v3
	v_subrev_nc_u32_e32 v4, 28, v3
	s_delay_alu instid0(VALU_DEP_1) | instskip(NEXT) | instid1(VALU_DEP_1)
	v_lshlrev_b64_e32 v[82:83], v4, v[22:23]
	v_dual_sub_nc_u32 v3, 29, v3 :: v_dual_bitop2_b32 v82, 7, v82 bitop3:0x40
; %bb.3889:                             ;   in Loop: Header=BB372_2086 Depth=1
	s_or_b32 exec_lo, exec_lo, s19
	s_delay_alu instid0(VALU_DEP_1) | instskip(NEXT) | instid1(VALU_DEP_2)
	v_dual_lshlrev_b32 v4, 24, v71 :: v_dual_lshlrev_b32 v22, 20, v82
	v_lshl_add_u32 v3, v3, 23, 0x3c000000
	s_delay_alu instid0(VALU_DEP_2) | instskip(NEXT) | instid1(VALU_DEP_1)
	v_and_b32_e32 v4, 0x80000000, v4
	v_or3_b32 v98, v22, v4, v3
.LBB372_3890:                           ;   in Loop: Header=BB372_2086 Depth=1
	s_or_b32 exec_lo, exec_lo, s18
.LBB372_3891:                           ;   in Loop: Header=BB372_2086 Depth=1
	s_delay_alu instid0(SALU_CYCLE_1)
	s_or_b32 exec_lo, exec_lo, s17
.LBB372_3892:                           ;   in Loop: Header=BB372_2086 Depth=1
	s_delay_alu instid0(SALU_CYCLE_1) | instskip(NEXT) | instid1(SALU_CYCLE_1)
	s_or_b32 exec_lo, exec_lo, s16
	s_mov_b32 s16, exec_lo
	v_cmpx_lt_u32_e32 0xffffff, v80
	s_cbranch_execz .LBB372_3900
; %bb.3893:                             ;   in Loop: Header=BB372_2086 Depth=1
	v_lshrrev_b32_e32 v3, 24, v80
	v_bfrev_b32_e32 v97, 1
	s_mov_b32 s17, exec_lo
	s_delay_alu instid0(VALU_DEP_2)
	v_cmpx_ne_u32_e32 0x80, v3
	s_cbranch_execz .LBB372_3899
; %bb.3894:                             ;   in Loop: Header=BB372_2086 Depth=1
	v_bfe_u32 v85, v80, 24, 7
	v_mov_b32_e32 v97, 0x7f800001
	s_mov_b32 s18, exec_lo
	s_delay_alu instid0(VALU_DEP_2)
	v_cmpx_ne_u32_e32 0x7f, v85
	s_cbranch_execz .LBB372_3898
; %bb.3895:                             ;   in Loop: Header=BB372_2086 Depth=1
	v_dual_lshrrev_b32 v71, 3, v85 :: v_dual_bitop2_b32 v22, 7, v3 bitop3:0x40
	s_mov_b32 s19, exec_lo
	s_delay_alu instid0(VALU_DEP_1)
	v_mov_b64_e32 v[82:83], v[22:23]
	v_cmpx_gt_u32_e32 8, v85
; %bb.3896:                             ;   in Loop: Header=BB372_2086 Depth=1
	v_clz_i32_u32_e32 v4, v22
	s_delay_alu instid0(VALU_DEP_1) | instskip(NEXT) | instid1(VALU_DEP_1)
	v_min_u32_e32 v4, 32, v4
	v_subrev_nc_u32_e32 v71, 28, v4
	s_delay_alu instid0(VALU_DEP_1) | instskip(NEXT) | instid1(VALU_DEP_1)
	v_lshlrev_b64_e32 v[82:83], v71, v[22:23]
	v_dual_sub_nc_u32 v71, 29, v4 :: v_dual_bitop2_b32 v82, 7, v82 bitop3:0x40
; %bb.3897:                             ;   in Loop: Header=BB372_2086 Depth=1
	s_or_b32 exec_lo, exec_lo, s19
	s_delay_alu instid0(VALU_DEP_1) | instskip(NEXT) | instid1(VALU_DEP_2)
	v_dual_lshlrev_b32 v3, 24, v3 :: v_dual_lshlrev_b32 v4, 20, v82
	v_lshl_add_u32 v22, v71, 23, 0x3c000000
	s_delay_alu instid0(VALU_DEP_2) | instskip(NEXT) | instid1(VALU_DEP_1)
	v_and_b32_e32 v3, 0x80000000, v3
	v_or3_b32 v97, v4, v3, v22
.LBB372_3898:                           ;   in Loop: Header=BB372_2086 Depth=1
	s_or_b32 exec_lo, exec_lo, s18
.LBB372_3899:                           ;   in Loop: Header=BB372_2086 Depth=1
	s_delay_alu instid0(SALU_CYCLE_1)
	s_or_b32 exec_lo, exec_lo, s17
.LBB372_3900:                           ;   in Loop: Header=BB372_2086 Depth=1
	s_delay_alu instid0(SALU_CYCLE_1) | instskip(SKIP_4) | instid1(VALU_DEP_3)
	s_or_b32 exec_lo, exec_lo, s16
	v_and_b32_e32 v3, 0xff, v81
	v_dual_mov_b32 v22, v81 :: v_dual_mov_b32 v85, 0
	v_mov_b32_e32 v71, 0
	s_mov_b32 s16, exec_lo
	v_cmpx_ne_u16_e32 0, v3
	s_cbranch_execz .LBB372_3908
; %bb.3901:                             ;   in Loop: Header=BB372_2086 Depth=1
	v_bfrev_b32_e32 v71, 1
	s_mov_b32 s17, exec_lo
	v_cmpx_ne_u16_e32 0x80, v3
	s_cbranch_execz .LBB372_3907
; %bb.3902:                             ;   in Loop: Header=BB372_2086 Depth=1
	v_and_b32_e32 v4, 0x7f, v81
	v_mov_b32_e32 v71, 0x7f800001
	s_mov_b32 s18, exec_lo
	s_delay_alu instid0(VALU_DEP_2)
	v_cmpx_ne_u32_e32 0x7f, v4
	s_cbranch_execz .LBB372_3906
; %bb.3903:                             ;   in Loop: Header=BB372_2086 Depth=1
	v_mov_b64_e32 v[82:83], v[22:23]
	v_lshrrev_b32_e32 v3, 3, v4
	s_mov_b32 s19, exec_lo
	v_cmpx_gt_u32_e32 8, v4
; %bb.3904:                             ;   in Loop: Header=BB372_2086 Depth=1
	v_and_b32_e32 v3, 7, v81
	s_delay_alu instid0(VALU_DEP_1) | instskip(NEXT) | instid1(VALU_DEP_1)
	v_clz_i32_u32_e32 v3, v3
	v_min_u32_e32 v3, 32, v3
	s_delay_alu instid0(VALU_DEP_1) | instskip(SKIP_1) | instid1(VALU_DEP_2)
	v_subrev_nc_u32_e32 v4, 28, v3
	v_sub_nc_u32_e32 v3, 29, v3
	v_lshlrev_b64_e32 v[82:83], v4, v[22:23]
; %bb.3905:                             ;   in Loop: Header=BB372_2086 Depth=1
	s_or_b32 exec_lo, exec_lo, s19
	s_delay_alu instid0(VALU_DEP_1) | instskip(SKIP_2) | instid1(VALU_DEP_3)
	v_lshlrev_b32_e32 v4, 20, v82
	v_lshlrev_b32_e32 v71, 24, v22
	v_lshl_add_u32 v3, v3, 23, 0x3c000000
	v_and_b32_e32 v4, 0x700000, v4
	s_delay_alu instid0(VALU_DEP_3) | instskip(NEXT) | instid1(VALU_DEP_1)
	v_and_b32_e32 v71, 0x80000000, v71
	v_or3_b32 v71, v4, v71, v3
.LBB372_3906:                           ;   in Loop: Header=BB372_2086 Depth=1
	s_or_b32 exec_lo, exec_lo, s18
.LBB372_3907:                           ;   in Loop: Header=BB372_2086 Depth=1
	s_delay_alu instid0(SALU_CYCLE_1)
	s_or_b32 exec_lo, exec_lo, s17
.LBB372_3908:                           ;   in Loop: Header=BB372_2086 Depth=1
	s_delay_alu instid0(SALU_CYCLE_1) | instskip(SKIP_2) | instid1(VALU_DEP_1)
	s_or_b32 exec_lo, exec_lo, s16
	v_lshrrev_b16 v3, 8, v22
	s_mov_b32 s16, exec_lo
	v_cmpx_ne_u16_e32 0, v3
	s_cbranch_execz .LBB372_3916
; %bb.3909:                             ;   in Loop: Header=BB372_2086 Depth=1
	v_bfrev_b32_e32 v85, 1
	s_mov_b32 s17, exec_lo
	v_cmpx_ne_u16_e32 0x80, v3
	s_cbranch_execz .LBB372_3915
; %bb.3910:                             ;   in Loop: Header=BB372_2086 Depth=1
	v_and_b32_e32 v3, 0xffff, v3
	v_mov_b32_e32 v85, 0x7f800001
	s_mov_b32 s18, exec_lo
	s_delay_alu instid0(VALU_DEP_2) | instskip(NEXT) | instid1(VALU_DEP_1)
	v_and_b32_e32 v4, 0x7f, v3
	v_cmpx_ne_u32_e32 0x7f, v4
	s_cbranch_execz .LBB372_3914
; %bb.3911:                             ;   in Loop: Header=BB372_2086 Depth=1
	v_dual_mov_b32 v83, v23 :: v_dual_bitop2_b32 v82, 7, v3 bitop3:0x40
	v_lshrrev_b32_e32 v3, 3, v4
	s_mov_b32 s19, exec_lo
	v_cmpx_gt_u32_e32 8, v4
; %bb.3912:                             ;   in Loop: Header=BB372_2086 Depth=1
	s_delay_alu instid0(VALU_DEP_3) | instskip(NEXT) | instid1(VALU_DEP_1)
	v_clz_i32_u32_e32 v3, v82
	v_min_u32_e32 v3, 32, v3
	s_delay_alu instid0(VALU_DEP_1) | instskip(NEXT) | instid1(VALU_DEP_1)
	v_subrev_nc_u32_e32 v4, 28, v3
	v_lshlrev_b64_e32 v[82:83], v4, v[82:83]
	s_delay_alu instid0(VALU_DEP_1)
	v_dual_sub_nc_u32 v3, 29, v3 :: v_dual_bitop2_b32 v82, 7, v82 bitop3:0x40
; %bb.3913:                             ;   in Loop: Header=BB372_2086 Depth=1
	s_or_b32 exec_lo, exec_lo, s19
	v_lshlrev_b32_e32 v4, 16, v22
	s_delay_alu instid0(VALU_DEP_2) | instskip(NEXT) | instid1(VALU_DEP_3)
	v_lshlrev_b32_e32 v22, 20, v82
	v_lshl_add_u32 v3, v3, 23, 0x3c000000
	s_delay_alu instid0(VALU_DEP_3) | instskip(NEXT) | instid1(VALU_DEP_1)
	v_and_b32_e32 v4, 0x80000000, v4
	v_or3_b32 v85, v22, v4, v3
.LBB372_3914:                           ;   in Loop: Header=BB372_2086 Depth=1
	s_or_b32 exec_lo, exec_lo, s18
.LBB372_3915:                           ;   in Loop: Header=BB372_2086 Depth=1
	s_delay_alu instid0(SALU_CYCLE_1)
	s_or_b32 exec_lo, exec_lo, s17
.LBB372_3916:                           ;   in Loop: Header=BB372_2086 Depth=1
	s_delay_alu instid0(SALU_CYCLE_1) | instskip(SKIP_3) | instid1(VALU_DEP_2)
	s_or_b32 exec_lo, exec_lo, s16
	v_dual_mov_b32 v102, 0 :: v_dual_lshrrev_b32 v99, 16, v81
	v_mov_b32_e32 v82, 0
	s_mov_b32 s16, exec_lo
	v_and_b32_e32 v3, 0xff, v99
	s_delay_alu instid0(VALU_DEP_1)
	v_cmpx_ne_u16_e32 0, v3
	s_cbranch_execz .LBB372_3924
; %bb.3917:                             ;   in Loop: Header=BB372_2086 Depth=1
	v_bfrev_b32_e32 v82, 1
	s_mov_b32 s17, exec_lo
	v_cmpx_ne_u16_e32 0x80, v3
	s_cbranch_execz .LBB372_3923
; %bb.3918:                             ;   in Loop: Header=BB372_2086 Depth=1
	v_bfe_u32 v100, v81, 16, 7
	v_mov_b32_e32 v82, 0x7f800001
	s_mov_b32 s18, exec_lo
	s_delay_alu instid0(VALU_DEP_2)
	v_cmpx_ne_u32_e32 0x7f, v100
	s_cbranch_execz .LBB372_3922
; %bb.3919:                             ;   in Loop: Header=BB372_2086 Depth=1
	v_dual_lshrrev_b32 v3, 3, v100 :: v_dual_bitop2_b32 v22, 7, v99 bitop3:0x40
	s_mov_b32 s19, exec_lo
	s_delay_alu instid0(VALU_DEP_1)
	v_mov_b64_e32 v[82:83], v[22:23]
	v_cmpx_gt_u32_e32 8, v100
; %bb.3920:                             ;   in Loop: Header=BB372_2086 Depth=1
	v_clz_i32_u32_e32 v3, v22
	s_delay_alu instid0(VALU_DEP_1) | instskip(NEXT) | instid1(VALU_DEP_1)
	v_min_u32_e32 v3, 32, v3
	v_subrev_nc_u32_e32 v4, 28, v3
	s_delay_alu instid0(VALU_DEP_1) | instskip(NEXT) | instid1(VALU_DEP_1)
	v_lshlrev_b64_e32 v[82:83], v4, v[22:23]
	v_dual_sub_nc_u32 v3, 29, v3 :: v_dual_bitop2_b32 v82, 7, v82 bitop3:0x40
; %bb.3921:                             ;   in Loop: Header=BB372_2086 Depth=1
	s_or_b32 exec_lo, exec_lo, s19
	s_delay_alu instid0(VALU_DEP_1) | instskip(NEXT) | instid1(VALU_DEP_2)
	v_dual_lshlrev_b32 v4, 24, v99 :: v_dual_lshlrev_b32 v22, 20, v82
	v_lshl_add_u32 v3, v3, 23, 0x3c000000
	s_delay_alu instid0(VALU_DEP_2) | instskip(NEXT) | instid1(VALU_DEP_1)
	v_and_b32_e32 v4, 0x80000000, v4
	v_or3_b32 v82, v22, v4, v3
.LBB372_3922:                           ;   in Loop: Header=BB372_2086 Depth=1
	s_or_b32 exec_lo, exec_lo, s18
.LBB372_3923:                           ;   in Loop: Header=BB372_2086 Depth=1
	s_delay_alu instid0(SALU_CYCLE_1)
	s_or_b32 exec_lo, exec_lo, s17
.LBB372_3924:                           ;   in Loop: Header=BB372_2086 Depth=1
	s_delay_alu instid0(SALU_CYCLE_1) | instskip(NEXT) | instid1(SALU_CYCLE_1)
	s_or_b32 exec_lo, exec_lo, s16
	s_mov_b32 s16, exec_lo
	v_cmpx_lt_u64_e64 s[2:3], v[80:81]
	s_cbranch_execz .LBB372_3932
; %bb.3925:                             ;   in Loop: Header=BB372_2086 Depth=1
	v_lshrrev_b32_e32 v3, 24, v81
	v_bfrev_b32_e32 v102, 1
	s_mov_b32 s17, exec_lo
	s_delay_alu instid0(VALU_DEP_2)
	v_cmpx_ne_u32_e32 0x80, v3
	s_cbranch_execz .LBB372_3931
; %bb.3926:                             ;   in Loop: Header=BB372_2086 Depth=1
	v_bfe_u32 v83, v81, 24, 7
	v_mov_b32_e32 v102, 0x7f800001
	s_mov_b32 s18, exec_lo
	s_delay_alu instid0(VALU_DEP_2)
	v_cmpx_ne_u32_e32 0x7f, v83
	s_cbranch_execz .LBB372_3930
; %bb.3927:                             ;   in Loop: Header=BB372_2086 Depth=1
	v_and_b32_e32 v22, 7, v3
	s_mov_b32 s19, exec_lo
	s_delay_alu instid0(VALU_DEP_1)
	v_mov_b64_e32 v[80:81], v[22:23]
	v_lshrrev_b32_e32 v81, 3, v83
	v_cmpx_gt_u32_e32 8, v83
; %bb.3928:                             ;   in Loop: Header=BB372_2086 Depth=1
	v_clz_i32_u32_e32 v4, v22
	s_delay_alu instid0(VALU_DEP_1) | instskip(NEXT) | instid1(VALU_DEP_1)
	v_min_u32_e32 v4, 32, v4
	v_subrev_nc_u32_e32 v80, 28, v4
	s_delay_alu instid0(VALU_DEP_1) | instskip(SKIP_1) | instid1(VALU_DEP_2)
	v_lshlrev_b64_e32 v[80:81], v80, v[22:23]
	v_sub_nc_u32_e32 v81, 29, v4
	v_and_b32_e32 v80, 7, v80
; %bb.3929:                             ;   in Loop: Header=BB372_2086 Depth=1
	s_or_b32 exec_lo, exec_lo, s19
	s_delay_alu instid0(VALU_DEP_1) | instskip(NEXT) | instid1(VALU_DEP_3)
	v_dual_lshlrev_b32 v3, 24, v3 :: v_dual_lshlrev_b32 v4, 20, v80
	v_lshl_add_u32 v22, v81, 23, 0x3c000000
	s_delay_alu instid0(VALU_DEP_2) | instskip(NEXT) | instid1(VALU_DEP_1)
	v_and_b32_e32 v3, 0x80000000, v3
	v_or3_b32 v102, v4, v3, v22
.LBB372_3930:                           ;   in Loop: Header=BB372_2086 Depth=1
	s_or_b32 exec_lo, exec_lo, s18
.LBB372_3931:                           ;   in Loop: Header=BB372_2086 Depth=1
	s_delay_alu instid0(SALU_CYCLE_1)
	s_or_b32 exec_lo, exec_lo, s17
.LBB372_3932:                           ;   in Loop: Header=BB372_2086 Depth=1
	s_delay_alu instid0(SALU_CYCLE_1)
	s_or_b32 exec_lo, exec_lo, s16
	v_fma_mixlo_bf16 v85, v86, v85, 0
	v_fma_mixlo_bf16 v71, v86, v71, 0
	v_fma_mixlo_bf16 v97, v86, v97, 0
	v_fma_mixlo_bf16 v99, v86, v98, 0
	v_fma_mixlo_bf16 v100, v86, v96, 0
	v_fma_mixlo_bf16 v101, v86, v2, 0
	v_fma_mixlo_bf16 v96, v86, v82, 0
	v_fma_mixlo_bf16 v98, v86, v102, 0
	s_and_saveexec_b32 s16, vcc_lo
	s_cbranch_execz .LBB372_3934
; %bb.3933:                             ;   in Loop: Header=BB372_2086 Depth=1
	scratch_load_b32 v2, off, s32 offset:192 ; 4-byte Folded Reload
	s_wait_loadcnt 0x0
	v_cmp_lt_i32_e64 s0, v63, v2
	s_delay_alu instid0(VALU_DEP_1) | instskip(SKIP_1) | instid1(VALU_DEP_1)
	v_cndmask_b32_e64 v101, 0, v101, s0
	v_cmp_lt_i32_e64 s0, v95, v2
	v_cndmask_b32_e64 v100, 0, v100, s0
	v_cmp_lt_i32_e64 s0, v94, v2
	s_delay_alu instid0(VALU_DEP_1) | instskip(SKIP_1) | instid1(VALU_DEP_1)
	v_cndmask_b32_e64 v99, 0, v99, s0
	v_cmp_lt_i32_e64 s0, v93, v2
	v_cndmask_b32_e64 v97, 0, v97, s0
	;; [unrolled: 5-line block ×4, first 2 shown]
.LBB372_3934:                           ;   in Loop: Header=BB372_2086 Depth=1
	s_wait_xcnt 0x0
	s_or_b32 exec_lo, exec_lo, s16
	flat_load_b64 v[80:81], v[18:19] offset:7168
	v_dual_mov_b32 v112, 0 :: v_dual_mov_b32 v2, 0
	s_mov_b32 s16, exec_lo
	s_wait_loadcnt_dscnt 0x0
	v_and_b32_e32 v3, 0xff, v80
	s_wait_xcnt 0x0
	s_delay_alu instid0(VALU_DEP_1)
	v_cmpx_ne_u16_e32 0, v3
	s_cbranch_execz .LBB372_3942
; %bb.3935:                             ;   in Loop: Header=BB372_2086 Depth=1
	v_bfrev_b32_e32 v2, 1
	s_mov_b32 s17, exec_lo
	v_cmpx_ne_u16_e32 0x80, v3
	s_cbranch_execz .LBB372_3941
; %bb.3936:                             ;   in Loop: Header=BB372_2086 Depth=1
	v_and_b32_e32 v3, 0x7f, v80
	v_mov_b32_e32 v2, 0x7f800001
	s_mov_b32 s18, exec_lo
	s_delay_alu instid0(VALU_DEP_2)
	v_cmpx_ne_u32_e32 0x7f, v3
	s_cbranch_execz .LBB372_3940
; %bb.3937:                             ;   in Loop: Header=BB372_2086 Depth=1
	v_mov_b64_e32 v[82:83], v[80:81]
	v_lshrrev_b32_e32 v2, 3, v3
	s_mov_b32 s19, exec_lo
	v_cmpx_gt_u32_e32 8, v3
; %bb.3938:                             ;   in Loop: Header=BB372_2086 Depth=1
	v_and_b32_e32 v2, 7, v80
	s_delay_alu instid0(VALU_DEP_1) | instskip(NEXT) | instid1(VALU_DEP_1)
	v_clz_i32_u32_e32 v2, v2
	v_min_u32_e32 v2, 32, v2
	s_delay_alu instid0(VALU_DEP_1) | instskip(SKIP_1) | instid1(VALU_DEP_2)
	v_subrev_nc_u32_e32 v3, 28, v2
	v_sub_nc_u32_e32 v2, 29, v2
	v_lshlrev_b64_e32 v[82:83], v3, v[80:81]
; %bb.3939:                             ;   in Loop: Header=BB372_2086 Depth=1
	s_or_b32 exec_lo, exec_lo, s19
	s_delay_alu instid0(VALU_DEP_1) | instskip(NEXT) | instid1(VALU_DEP_3)
	v_dual_lshlrev_b32 v3, 20, v82 :: v_dual_lshlrev_b32 v4, 24, v80
	v_lshl_add_u32 v2, v2, 23, 0x3c000000
	s_delay_alu instid0(VALU_DEP_2) | instskip(NEXT) | instid1(VALU_DEP_3)
	v_and_b32_e32 v3, 0x700000, v3
	v_and_b32_e32 v4, 0x80000000, v4
	s_delay_alu instid0(VALU_DEP_1)
	v_or3_b32 v2, v3, v4, v2
.LBB372_3940:                           ;   in Loop: Header=BB372_2086 Depth=1
	s_or_b32 exec_lo, exec_lo, s18
.LBB372_3941:                           ;   in Loop: Header=BB372_2086 Depth=1
	s_delay_alu instid0(SALU_CYCLE_1)
	s_or_b32 exec_lo, exec_lo, s17
.LBB372_3942:                           ;   in Loop: Header=BB372_2086 Depth=1
	s_delay_alu instid0(SALU_CYCLE_1) | instskip(SKIP_2) | instid1(VALU_DEP_1)
	s_or_b32 exec_lo, exec_lo, s16
	v_lshrrev_b16 v3, 8, v80
	s_mov_b32 s16, exec_lo
	v_cmpx_ne_u16_e32 0, v3
	s_cbranch_execz .LBB372_3950
; %bb.3943:                             ;   in Loop: Header=BB372_2086 Depth=1
	v_bfrev_b32_e32 v112, 1
	s_mov_b32 s17, exec_lo
	v_cmpx_ne_u16_e32 0x80, v3
	s_cbranch_execz .LBB372_3949
; %bb.3944:                             ;   in Loop: Header=BB372_2086 Depth=1
	v_and_b32_e32 v3, 0xffff, v3
	v_mov_b32_e32 v112, 0x7f800001
	s_mov_b32 s18, exec_lo
	s_delay_alu instid0(VALU_DEP_2) | instskip(NEXT) | instid1(VALU_DEP_1)
	v_and_b32_e32 v102, 0x7f, v3
	v_cmpx_ne_u32_e32 0x7f, v102
	s_cbranch_execz .LBB372_3948
; %bb.3945:                             ;   in Loop: Header=BB372_2086 Depth=1
	v_dual_lshrrev_b32 v3, 3, v102 :: v_dual_bitop2_b32 v22, 7, v3 bitop3:0x40
	s_mov_b32 s19, exec_lo
	s_delay_alu instid0(VALU_DEP_1)
	v_mov_b64_e32 v[82:83], v[22:23]
	v_cmpx_gt_u32_e32 8, v102
; %bb.3946:                             ;   in Loop: Header=BB372_2086 Depth=1
	v_clz_i32_u32_e32 v3, v22
	s_delay_alu instid0(VALU_DEP_1) | instskip(NEXT) | instid1(VALU_DEP_1)
	v_min_u32_e32 v3, 32, v3
	v_subrev_nc_u32_e32 v4, 28, v3
	s_delay_alu instid0(VALU_DEP_1) | instskip(NEXT) | instid1(VALU_DEP_1)
	v_lshlrev_b64_e32 v[82:83], v4, v[22:23]
	v_dual_sub_nc_u32 v3, 29, v3 :: v_dual_bitop2_b32 v82, 7, v82 bitop3:0x40
; %bb.3947:                             ;   in Loop: Header=BB372_2086 Depth=1
	s_or_b32 exec_lo, exec_lo, s19
	s_delay_alu instid0(VALU_DEP_1) | instskip(NEXT) | instid1(VALU_DEP_2)
	v_dual_lshlrev_b32 v4, 16, v80 :: v_dual_lshlrev_b32 v22, 20, v82
	v_lshl_add_u32 v3, v3, 23, 0x3c000000
	s_delay_alu instid0(VALU_DEP_2) | instskip(NEXT) | instid1(VALU_DEP_1)
	v_and_b32_e32 v4, 0x80000000, v4
	v_or3_b32 v112, v22, v4, v3
.LBB372_3948:                           ;   in Loop: Header=BB372_2086 Depth=1
	s_or_b32 exec_lo, exec_lo, s18
.LBB372_3949:                           ;   in Loop: Header=BB372_2086 Depth=1
	s_delay_alu instid0(SALU_CYCLE_1)
	s_or_b32 exec_lo, exec_lo, s17
.LBB372_3950:                           ;   in Loop: Header=BB372_2086 Depth=1
	s_delay_alu instid0(SALU_CYCLE_1) | instskip(SKIP_3) | instid1(VALU_DEP_2)
	s_or_b32 exec_lo, exec_lo, s16
	v_dual_lshrrev_b32 v102, 16, v80 :: v_dual_mov_b32 v114, 0
	v_mov_b32_e32 v113, 0
	s_mov_b32 s16, exec_lo
	v_and_b32_e32 v3, 0xff, v102
	s_delay_alu instid0(VALU_DEP_1)
	v_cmpx_ne_u16_e32 0, v3
	s_cbranch_execz .LBB372_3958
; %bb.3951:                             ;   in Loop: Header=BB372_2086 Depth=1
	v_bfrev_b32_e32 v113, 1
	s_mov_b32 s17, exec_lo
	v_cmpx_ne_u16_e32 0x80, v3
	s_cbranch_execz .LBB372_3957
; %bb.3952:                             ;   in Loop: Header=BB372_2086 Depth=1
	v_bfe_u32 v103, v80, 16, 7
	v_mov_b32_e32 v113, 0x7f800001
	s_mov_b32 s18, exec_lo
	s_delay_alu instid0(VALU_DEP_2)
	v_cmpx_ne_u32_e32 0x7f, v103
	s_cbranch_execz .LBB372_3956
; %bb.3953:                             ;   in Loop: Header=BB372_2086 Depth=1
	v_dual_lshrrev_b32 v3, 3, v103 :: v_dual_bitop2_b32 v22, 7, v102 bitop3:0x40
	s_mov_b32 s19, exec_lo
	s_delay_alu instid0(VALU_DEP_1)
	v_mov_b64_e32 v[82:83], v[22:23]
	v_cmpx_gt_u32_e32 8, v103
; %bb.3954:                             ;   in Loop: Header=BB372_2086 Depth=1
	v_clz_i32_u32_e32 v3, v22
	s_delay_alu instid0(VALU_DEP_1) | instskip(NEXT) | instid1(VALU_DEP_1)
	v_min_u32_e32 v3, 32, v3
	v_subrev_nc_u32_e32 v4, 28, v3
	s_delay_alu instid0(VALU_DEP_1) | instskip(NEXT) | instid1(VALU_DEP_1)
	v_lshlrev_b64_e32 v[82:83], v4, v[22:23]
	v_dual_sub_nc_u32 v3, 29, v3 :: v_dual_bitop2_b32 v82, 7, v82 bitop3:0x40
; %bb.3955:                             ;   in Loop: Header=BB372_2086 Depth=1
	s_or_b32 exec_lo, exec_lo, s19
	v_lshlrev_b32_e32 v4, 24, v102
	s_delay_alu instid0(VALU_DEP_2) | instskip(NEXT) | instid1(VALU_DEP_3)
	v_lshlrev_b32_e32 v22, 20, v82
	v_lshl_add_u32 v3, v3, 23, 0x3c000000
	s_delay_alu instid0(VALU_DEP_3) | instskip(NEXT) | instid1(VALU_DEP_1)
	v_and_b32_e32 v4, 0x80000000, v4
	v_or3_b32 v113, v22, v4, v3
.LBB372_3956:                           ;   in Loop: Header=BB372_2086 Depth=1
	s_or_b32 exec_lo, exec_lo, s18
.LBB372_3957:                           ;   in Loop: Header=BB372_2086 Depth=1
	s_delay_alu instid0(SALU_CYCLE_1)
	s_or_b32 exec_lo, exec_lo, s17
.LBB372_3958:                           ;   in Loop: Header=BB372_2086 Depth=1
	s_delay_alu instid0(SALU_CYCLE_1) | instskip(NEXT) | instid1(SALU_CYCLE_1)
	s_or_b32 exec_lo, exec_lo, s16
	s_mov_b32 s16, exec_lo
	v_cmpx_lt_u32_e32 0xffffff, v80
	s_cbranch_execz .LBB372_3966
; %bb.3959:                             ;   in Loop: Header=BB372_2086 Depth=1
	v_lshrrev_b32_e32 v3, 24, v80
	v_bfrev_b32_e32 v114, 1
	s_mov_b32 s17, exec_lo
	s_delay_alu instid0(VALU_DEP_2)
	v_cmpx_ne_u32_e32 0x80, v3
	s_cbranch_execz .LBB372_3965
; %bb.3960:                             ;   in Loop: Header=BB372_2086 Depth=1
	v_bfe_u32 v102, v80, 24, 7
	v_mov_b32_e32 v114, 0x7f800001
	s_mov_b32 s18, exec_lo
	s_delay_alu instid0(VALU_DEP_2)
	v_cmpx_ne_u32_e32 0x7f, v102
	s_cbranch_execz .LBB372_3964
; %bb.3961:                             ;   in Loop: Header=BB372_2086 Depth=1
	v_and_b32_e32 v22, 7, v3
	s_mov_b32 s19, exec_lo
	s_delay_alu instid0(VALU_DEP_1)
	v_mov_b64_e32 v[82:83], v[22:23]
	v_lshrrev_b32_e32 v83, 3, v102
	v_cmpx_gt_u32_e32 8, v102
; %bb.3962:                             ;   in Loop: Header=BB372_2086 Depth=1
	v_clz_i32_u32_e32 v4, v22
	s_delay_alu instid0(VALU_DEP_1) | instskip(NEXT) | instid1(VALU_DEP_1)
	v_min_u32_e32 v4, 32, v4
	v_subrev_nc_u32_e32 v82, 28, v4
	s_delay_alu instid0(VALU_DEP_1) | instskip(NEXT) | instid1(VALU_DEP_1)
	v_lshlrev_b64_e32 v[82:83], v82, v[22:23]
	v_dual_sub_nc_u32 v83, 29, v4 :: v_dual_bitop2_b32 v82, 7, v82 bitop3:0x40
; %bb.3963:                             ;   in Loop: Header=BB372_2086 Depth=1
	s_or_b32 exec_lo, exec_lo, s19
	s_delay_alu instid0(VALU_DEP_1) | instskip(NEXT) | instid1(VALU_DEP_2)
	v_dual_lshlrev_b32 v3, 24, v3 :: v_dual_lshlrev_b32 v4, 20, v82
	v_lshl_add_u32 v22, v83, 23, 0x3c000000
	s_delay_alu instid0(VALU_DEP_2) | instskip(NEXT) | instid1(VALU_DEP_1)
	v_and_b32_e32 v3, 0x80000000, v3
	v_or3_b32 v114, v4, v3, v22
.LBB372_3964:                           ;   in Loop: Header=BB372_2086 Depth=1
	s_or_b32 exec_lo, exec_lo, s18
.LBB372_3965:                           ;   in Loop: Header=BB372_2086 Depth=1
	s_delay_alu instid0(SALU_CYCLE_1)
	s_or_b32 exec_lo, exec_lo, s17
.LBB372_3966:                           ;   in Loop: Header=BB372_2086 Depth=1
	s_delay_alu instid0(SALU_CYCLE_1) | instskip(SKIP_4) | instid1(VALU_DEP_3)
	s_or_b32 exec_lo, exec_lo, s16
	v_and_b32_e32 v3, 0xff, v81
	v_dual_mov_b32 v22, v81 :: v_dual_mov_b32 v102, 0
	v_mov_b32_e32 v103, 0
	s_mov_b32 s16, exec_lo
	v_cmpx_ne_u16_e32 0, v3
	s_cbranch_execz .LBB372_3974
; %bb.3967:                             ;   in Loop: Header=BB372_2086 Depth=1
	v_bfrev_b32_e32 v103, 1
	s_mov_b32 s17, exec_lo
	v_cmpx_ne_u16_e32 0x80, v3
	s_cbranch_execz .LBB372_3973
; %bb.3968:                             ;   in Loop: Header=BB372_2086 Depth=1
	v_and_b32_e32 v4, 0x7f, v81
	v_mov_b32_e32 v103, 0x7f800001
	s_mov_b32 s18, exec_lo
	s_delay_alu instid0(VALU_DEP_2)
	v_cmpx_ne_u32_e32 0x7f, v4
	s_cbranch_execz .LBB372_3972
; %bb.3969:                             ;   in Loop: Header=BB372_2086 Depth=1
	v_mov_b64_e32 v[82:83], v[22:23]
	v_lshrrev_b32_e32 v3, 3, v4
	s_mov_b32 s19, exec_lo
	v_cmpx_gt_u32_e32 8, v4
; %bb.3970:                             ;   in Loop: Header=BB372_2086 Depth=1
	v_and_b32_e32 v3, 7, v81
	s_delay_alu instid0(VALU_DEP_1) | instskip(NEXT) | instid1(VALU_DEP_1)
	v_clz_i32_u32_e32 v3, v3
	v_min_u32_e32 v3, 32, v3
	s_delay_alu instid0(VALU_DEP_1) | instskip(SKIP_1) | instid1(VALU_DEP_2)
	v_subrev_nc_u32_e32 v4, 28, v3
	v_sub_nc_u32_e32 v3, 29, v3
	v_lshlrev_b64_e32 v[82:83], v4, v[22:23]
; %bb.3971:                             ;   in Loop: Header=BB372_2086 Depth=1
	s_or_b32 exec_lo, exec_lo, s19
	s_delay_alu instid0(VALU_DEP_1) | instskip(SKIP_2) | instid1(VALU_DEP_3)
	v_lshlrev_b32_e32 v4, 20, v82
	v_lshlrev_b32_e32 v82, 24, v22
	v_lshl_add_u32 v3, v3, 23, 0x3c000000
	v_and_b32_e32 v4, 0x700000, v4
	s_delay_alu instid0(VALU_DEP_3) | instskip(NEXT) | instid1(VALU_DEP_1)
	v_and_b32_e32 v82, 0x80000000, v82
	v_or3_b32 v103, v4, v82, v3
.LBB372_3972:                           ;   in Loop: Header=BB372_2086 Depth=1
	s_or_b32 exec_lo, exec_lo, s18
.LBB372_3973:                           ;   in Loop: Header=BB372_2086 Depth=1
	s_delay_alu instid0(SALU_CYCLE_1)
	s_or_b32 exec_lo, exec_lo, s17
.LBB372_3974:                           ;   in Loop: Header=BB372_2086 Depth=1
	s_delay_alu instid0(SALU_CYCLE_1) | instskip(SKIP_2) | instid1(VALU_DEP_1)
	s_or_b32 exec_lo, exec_lo, s16
	v_lshrrev_b16 v3, 8, v22
	s_mov_b32 s16, exec_lo
	v_cmpx_ne_u16_e32 0, v3
	s_cbranch_execz .LBB372_3982
; %bb.3975:                             ;   in Loop: Header=BB372_2086 Depth=1
	v_bfrev_b32_e32 v102, 1
	s_mov_b32 s17, exec_lo
	v_cmpx_ne_u16_e32 0x80, v3
	s_cbranch_execz .LBB372_3981
; %bb.3976:                             ;   in Loop: Header=BB372_2086 Depth=1
	v_and_b32_e32 v3, 0xffff, v3
	v_mov_b32_e32 v102, 0x7f800001
	s_mov_b32 s18, exec_lo
	s_delay_alu instid0(VALU_DEP_2) | instskip(NEXT) | instid1(VALU_DEP_1)
	v_and_b32_e32 v4, 0x7f, v3
	v_cmpx_ne_u32_e32 0x7f, v4
	s_cbranch_execz .LBB372_3980
; %bb.3977:                             ;   in Loop: Header=BB372_2086 Depth=1
	v_dual_mov_b32 v83, v23 :: v_dual_bitop2_b32 v82, 7, v3 bitop3:0x40
	v_lshrrev_b32_e32 v3, 3, v4
	s_mov_b32 s19, exec_lo
	v_cmpx_gt_u32_e32 8, v4
; %bb.3978:                             ;   in Loop: Header=BB372_2086 Depth=1
	s_delay_alu instid0(VALU_DEP_3) | instskip(NEXT) | instid1(VALU_DEP_1)
	v_clz_i32_u32_e32 v3, v82
	v_min_u32_e32 v3, 32, v3
	s_delay_alu instid0(VALU_DEP_1) | instskip(NEXT) | instid1(VALU_DEP_1)
	v_subrev_nc_u32_e32 v4, 28, v3
	v_lshlrev_b64_e32 v[82:83], v4, v[82:83]
	s_delay_alu instid0(VALU_DEP_1)
	v_dual_sub_nc_u32 v3, 29, v3 :: v_dual_bitop2_b32 v82, 7, v82 bitop3:0x40
; %bb.3979:                             ;   in Loop: Header=BB372_2086 Depth=1
	s_or_b32 exec_lo, exec_lo, s19
	v_lshlrev_b32_e32 v4, 16, v22
	s_delay_alu instid0(VALU_DEP_2) | instskip(NEXT) | instid1(VALU_DEP_3)
	v_lshlrev_b32_e32 v22, 20, v82
	v_lshl_add_u32 v3, v3, 23, 0x3c000000
	s_delay_alu instid0(VALU_DEP_3) | instskip(NEXT) | instid1(VALU_DEP_1)
	v_and_b32_e32 v4, 0x80000000, v4
	v_or3_b32 v102, v22, v4, v3
.LBB372_3980:                           ;   in Loop: Header=BB372_2086 Depth=1
	s_or_b32 exec_lo, exec_lo, s18
.LBB372_3981:                           ;   in Loop: Header=BB372_2086 Depth=1
	s_delay_alu instid0(SALU_CYCLE_1)
	s_or_b32 exec_lo, exec_lo, s17
.LBB372_3982:                           ;   in Loop: Header=BB372_2086 Depth=1
	s_delay_alu instid0(SALU_CYCLE_1) | instskip(SKIP_3) | instid1(VALU_DEP_2)
	s_or_b32 exec_lo, exec_lo, s16
	v_dual_mov_b32 v118, 0 :: v_dual_lshrrev_b32 v115, 16, v81
	v_mov_b32_e32 v82, 0
	s_mov_b32 s16, exec_lo
	v_and_b32_e32 v3, 0xff, v115
	s_delay_alu instid0(VALU_DEP_1)
	v_cmpx_ne_u16_e32 0, v3
	s_cbranch_execz .LBB372_3990
; %bb.3983:                             ;   in Loop: Header=BB372_2086 Depth=1
	v_bfrev_b32_e32 v82, 1
	s_mov_b32 s17, exec_lo
	v_cmpx_ne_u16_e32 0x80, v3
	s_cbranch_execz .LBB372_3989
; %bb.3984:                             ;   in Loop: Header=BB372_2086 Depth=1
	v_bfe_u32 v116, v81, 16, 7
	v_mov_b32_e32 v82, 0x7f800001
	s_mov_b32 s18, exec_lo
	s_delay_alu instid0(VALU_DEP_2)
	v_cmpx_ne_u32_e32 0x7f, v116
	s_cbranch_execz .LBB372_3988
; %bb.3985:                             ;   in Loop: Header=BB372_2086 Depth=1
	v_dual_lshrrev_b32 v3, 3, v116 :: v_dual_bitop2_b32 v22, 7, v115 bitop3:0x40
	s_mov_b32 s19, exec_lo
	s_delay_alu instid0(VALU_DEP_1)
	v_mov_b64_e32 v[82:83], v[22:23]
	v_cmpx_gt_u32_e32 8, v116
; %bb.3986:                             ;   in Loop: Header=BB372_2086 Depth=1
	v_clz_i32_u32_e32 v3, v22
	s_delay_alu instid0(VALU_DEP_1) | instskip(NEXT) | instid1(VALU_DEP_1)
	v_min_u32_e32 v3, 32, v3
	v_subrev_nc_u32_e32 v4, 28, v3
	s_delay_alu instid0(VALU_DEP_1) | instskip(NEXT) | instid1(VALU_DEP_1)
	v_lshlrev_b64_e32 v[82:83], v4, v[22:23]
	v_dual_sub_nc_u32 v3, 29, v3 :: v_dual_bitop2_b32 v82, 7, v82 bitop3:0x40
; %bb.3987:                             ;   in Loop: Header=BB372_2086 Depth=1
	s_or_b32 exec_lo, exec_lo, s19
	s_delay_alu instid0(VALU_DEP_1) | instskip(NEXT) | instid1(VALU_DEP_2)
	v_dual_lshlrev_b32 v4, 24, v115 :: v_dual_lshlrev_b32 v22, 20, v82
	v_lshl_add_u32 v3, v3, 23, 0x3c000000
	s_delay_alu instid0(VALU_DEP_2) | instskip(NEXT) | instid1(VALU_DEP_1)
	v_and_b32_e32 v4, 0x80000000, v4
	v_or3_b32 v82, v22, v4, v3
.LBB372_3988:                           ;   in Loop: Header=BB372_2086 Depth=1
	s_or_b32 exec_lo, exec_lo, s18
.LBB372_3989:                           ;   in Loop: Header=BB372_2086 Depth=1
	s_delay_alu instid0(SALU_CYCLE_1)
	s_or_b32 exec_lo, exec_lo, s17
.LBB372_3990:                           ;   in Loop: Header=BB372_2086 Depth=1
	s_delay_alu instid0(SALU_CYCLE_1) | instskip(NEXT) | instid1(SALU_CYCLE_1)
	s_or_b32 exec_lo, exec_lo, s16
	s_mov_b32 s16, exec_lo
	v_cmpx_lt_u64_e64 s[2:3], v[80:81]
	s_cbranch_execz .LBB372_3998
; %bb.3991:                             ;   in Loop: Header=BB372_2086 Depth=1
	v_lshrrev_b32_e32 v3, 24, v81
	v_bfrev_b32_e32 v118, 1
	s_mov_b32 s17, exec_lo
	s_delay_alu instid0(VALU_DEP_2)
	v_cmpx_ne_u32_e32 0x80, v3
	s_cbranch_execz .LBB372_3997
; %bb.3992:                             ;   in Loop: Header=BB372_2086 Depth=1
	v_bfe_u32 v83, v81, 24, 7
	v_mov_b32_e32 v118, 0x7f800001
	s_mov_b32 s18, exec_lo
	s_delay_alu instid0(VALU_DEP_2)
	v_cmpx_ne_u32_e32 0x7f, v83
	s_cbranch_execz .LBB372_3996
; %bb.3993:                             ;   in Loop: Header=BB372_2086 Depth=1
	v_and_b32_e32 v22, 7, v3
	s_mov_b32 s19, exec_lo
	s_delay_alu instid0(VALU_DEP_1)
	v_mov_b64_e32 v[80:81], v[22:23]
	v_lshrrev_b32_e32 v81, 3, v83
	v_cmpx_gt_u32_e32 8, v83
; %bb.3994:                             ;   in Loop: Header=BB372_2086 Depth=1
	v_clz_i32_u32_e32 v4, v22
	s_delay_alu instid0(VALU_DEP_1) | instskip(NEXT) | instid1(VALU_DEP_1)
	v_min_u32_e32 v4, 32, v4
	v_subrev_nc_u32_e32 v80, 28, v4
	s_delay_alu instid0(VALU_DEP_1) | instskip(SKIP_1) | instid1(VALU_DEP_2)
	v_lshlrev_b64_e32 v[80:81], v80, v[22:23]
	v_sub_nc_u32_e32 v81, 29, v4
	v_and_b32_e32 v80, 7, v80
; %bb.3995:                             ;   in Loop: Header=BB372_2086 Depth=1
	s_or_b32 exec_lo, exec_lo, s19
	s_delay_alu instid0(VALU_DEP_1) | instskip(NEXT) | instid1(VALU_DEP_3)
	v_dual_lshlrev_b32 v3, 24, v3 :: v_dual_lshlrev_b32 v4, 20, v80
	v_lshl_add_u32 v22, v81, 23, 0x3c000000
	s_delay_alu instid0(VALU_DEP_2) | instskip(NEXT) | instid1(VALU_DEP_1)
	v_and_b32_e32 v3, 0x80000000, v3
	v_or3_b32 v118, v4, v3, v22
.LBB372_3996:                           ;   in Loop: Header=BB372_2086 Depth=1
	s_or_b32 exec_lo, exec_lo, s18
.LBB372_3997:                           ;   in Loop: Header=BB372_2086 Depth=1
	s_delay_alu instid0(SALU_CYCLE_1)
	s_or_b32 exec_lo, exec_lo, s17
.LBB372_3998:                           ;   in Loop: Header=BB372_2086 Depth=1
	s_delay_alu instid0(SALU_CYCLE_1)
	s_or_b32 exec_lo, exec_lo, s16
	v_fma_mixlo_bf16 v102, v86, v102, 0
	v_fma_mixlo_bf16 v103, v86, v103, 0
	;; [unrolled: 1-line block ×8, first 2 shown]
	s_and_saveexec_b32 s16, vcc_lo
	s_cbranch_execz .LBB372_4000
; %bb.3999:                             ;   in Loop: Header=BB372_2086 Depth=1
	scratch_load_b32 v2, off, s32 offset:192 ; 4-byte Folded Reload
	s_wait_loadcnt 0x0
	v_cmp_lt_i32_e64 s0, v63, v2
	s_delay_alu instid0(VALU_DEP_1) | instskip(SKIP_1) | instid1(VALU_DEP_1)
	v_cndmask_b32_e64 v117, 0, v117, s0
	v_cmp_lt_i32_e64 s0, v95, v2
	v_cndmask_b32_e64 v116, 0, v116, s0
	v_cmp_lt_i32_e64 s0, v94, v2
	s_delay_alu instid0(VALU_DEP_1) | instskip(SKIP_1) | instid1(VALU_DEP_1)
	v_cndmask_b32_e64 v115, 0, v115, s0
	v_cmp_lt_i32_e64 s0, v93, v2
	v_cndmask_b32_e64 v114, 0, v114, s0
	;; [unrolled: 5-line block ×4, first 2 shown]
.LBB372_4000:                           ;   in Loop: Header=BB372_2086 Depth=1
	s_wait_xcnt 0x0
	s_or_b32 exec_lo, exec_lo, s16
	flat_load_b64 v[80:81], v[18:19] offset:7424
	v_dual_mov_b32 v40, 0 :: v_dual_mov_b32 v2, 0
	s_mov_b32 s16, exec_lo
	s_wait_loadcnt_dscnt 0x0
	v_and_b32_e32 v3, 0xff, v80
	s_wait_xcnt 0x0
	s_delay_alu instid0(VALU_DEP_1)
	v_cmpx_ne_u16_e32 0, v3
	s_cbranch_execz .LBB372_4008
; %bb.4001:                             ;   in Loop: Header=BB372_2086 Depth=1
	v_bfrev_b32_e32 v2, 1
	s_mov_b32 s17, exec_lo
	v_cmpx_ne_u16_e32 0x80, v3
	s_cbranch_execz .LBB372_4007
; %bb.4002:                             ;   in Loop: Header=BB372_2086 Depth=1
	v_and_b32_e32 v3, 0x7f, v80
	v_mov_b32_e32 v2, 0x7f800001
	s_mov_b32 s18, exec_lo
	s_delay_alu instid0(VALU_DEP_2)
	v_cmpx_ne_u32_e32 0x7f, v3
	s_cbranch_execz .LBB372_4006
; %bb.4003:                             ;   in Loop: Header=BB372_2086 Depth=1
	v_mov_b64_e32 v[82:83], v[80:81]
	v_lshrrev_b32_e32 v2, 3, v3
	s_mov_b32 s19, exec_lo
	v_cmpx_gt_u32_e32 8, v3
; %bb.4004:                             ;   in Loop: Header=BB372_2086 Depth=1
	v_and_b32_e32 v2, 7, v80
	s_delay_alu instid0(VALU_DEP_1) | instskip(NEXT) | instid1(VALU_DEP_1)
	v_clz_i32_u32_e32 v2, v2
	v_min_u32_e32 v2, 32, v2
	s_delay_alu instid0(VALU_DEP_1) | instskip(SKIP_1) | instid1(VALU_DEP_2)
	v_subrev_nc_u32_e32 v3, 28, v2
	v_sub_nc_u32_e32 v2, 29, v2
	v_lshlrev_b64_e32 v[82:83], v3, v[80:81]
; %bb.4005:                             ;   in Loop: Header=BB372_2086 Depth=1
	s_or_b32 exec_lo, exec_lo, s19
	s_delay_alu instid0(VALU_DEP_1) | instskip(NEXT) | instid1(VALU_DEP_3)
	v_dual_lshlrev_b32 v3, 20, v82 :: v_dual_lshlrev_b32 v4, 24, v80
	v_lshl_add_u32 v2, v2, 23, 0x3c000000
	s_delay_alu instid0(VALU_DEP_2) | instskip(NEXT) | instid1(VALU_DEP_3)
	v_and_b32_e32 v3, 0x700000, v3
	v_and_b32_e32 v4, 0x80000000, v4
	s_delay_alu instid0(VALU_DEP_1)
	v_or3_b32 v2, v3, v4, v2
.LBB372_4006:                           ;   in Loop: Header=BB372_2086 Depth=1
	s_or_b32 exec_lo, exec_lo, s18
.LBB372_4007:                           ;   in Loop: Header=BB372_2086 Depth=1
	s_delay_alu instid0(SALU_CYCLE_1)
	s_or_b32 exec_lo, exec_lo, s17
.LBB372_4008:                           ;   in Loop: Header=BB372_2086 Depth=1
	s_delay_alu instid0(SALU_CYCLE_1) | instskip(SKIP_2) | instid1(VALU_DEP_1)
	s_or_b32 exec_lo, exec_lo, s16
	v_lshrrev_b16 v3, 8, v80
	s_mov_b32 s16, exec_lo
	v_cmpx_ne_u16_e32 0, v3
	s_cbranch_execz .LBB372_4016
; %bb.4009:                             ;   in Loop: Header=BB372_2086 Depth=1
	v_bfrev_b32_e32 v40, 1
	s_mov_b32 s17, exec_lo
	v_cmpx_ne_u16_e32 0x80, v3
	s_cbranch_execz .LBB372_4015
; %bb.4010:                             ;   in Loop: Header=BB372_2086 Depth=1
	v_and_b32_e32 v3, 0xffff, v3
	v_mov_b32_e32 v40, 0x7f800001
	s_mov_b32 s18, exec_lo
	s_delay_alu instid0(VALU_DEP_2) | instskip(NEXT) | instid1(VALU_DEP_1)
	v_and_b32_e32 v118, 0x7f, v3
	v_cmpx_ne_u32_e32 0x7f, v118
	s_cbranch_execz .LBB372_4014
; %bb.4011:                             ;   in Loop: Header=BB372_2086 Depth=1
	v_dual_lshrrev_b32 v3, 3, v118 :: v_dual_bitop2_b32 v22, 7, v3 bitop3:0x40
	s_mov_b32 s19, exec_lo
	s_delay_alu instid0(VALU_DEP_1)
	v_mov_b64_e32 v[82:83], v[22:23]
	v_cmpx_gt_u32_e32 8, v118
; %bb.4012:                             ;   in Loop: Header=BB372_2086 Depth=1
	v_clz_i32_u32_e32 v3, v22
	s_delay_alu instid0(VALU_DEP_1) | instskip(NEXT) | instid1(VALU_DEP_1)
	v_min_u32_e32 v3, 32, v3
	v_subrev_nc_u32_e32 v4, 28, v3
	s_delay_alu instid0(VALU_DEP_1) | instskip(NEXT) | instid1(VALU_DEP_1)
	v_lshlrev_b64_e32 v[82:83], v4, v[22:23]
	v_dual_sub_nc_u32 v3, 29, v3 :: v_dual_bitop2_b32 v82, 7, v82 bitop3:0x40
; %bb.4013:                             ;   in Loop: Header=BB372_2086 Depth=1
	s_or_b32 exec_lo, exec_lo, s19
	s_delay_alu instid0(VALU_DEP_1) | instskip(NEXT) | instid1(VALU_DEP_2)
	v_dual_lshlrev_b32 v4, 16, v80 :: v_dual_lshlrev_b32 v22, 20, v82
	v_lshl_add_u32 v3, v3, 23, 0x3c000000
	s_delay_alu instid0(VALU_DEP_2) | instskip(NEXT) | instid1(VALU_DEP_1)
	v_and_b32_e32 v4, 0x80000000, v4
	v_or3_b32 v40, v22, v4, v3
.LBB372_4014:                           ;   in Loop: Header=BB372_2086 Depth=1
	s_or_b32 exec_lo, exec_lo, s18
.LBB372_4015:                           ;   in Loop: Header=BB372_2086 Depth=1
	s_delay_alu instid0(SALU_CYCLE_1)
	s_or_b32 exec_lo, exec_lo, s17
.LBB372_4016:                           ;   in Loop: Header=BB372_2086 Depth=1
	s_delay_alu instid0(SALU_CYCLE_1) | instskip(SKIP_3) | instid1(VALU_DEP_2)
	s_or_b32 exec_lo, exec_lo, s16
	v_dual_mov_b32 v41, 0 :: v_dual_lshrrev_b32 v118, 16, v80
	v_mov_b32_e32 v42, 0
	s_mov_b32 s16, exec_lo
	v_and_b32_e32 v3, 0xff, v118
	s_delay_alu instid0(VALU_DEP_1)
	v_cmpx_ne_u16_e32 0, v3
	s_cbranch_execz .LBB372_4024
; %bb.4017:                             ;   in Loop: Header=BB372_2086 Depth=1
	v_bfrev_b32_e32 v42, 1
	s_mov_b32 s17, exec_lo
	v_cmpx_ne_u16_e32 0x80, v3
	s_cbranch_execz .LBB372_4023
; %bb.4018:                             ;   in Loop: Header=BB372_2086 Depth=1
	v_bfe_u32 v119, v80, 16, 7
	v_mov_b32_e32 v42, 0x7f800001
	s_mov_b32 s18, exec_lo
	s_delay_alu instid0(VALU_DEP_2)
	v_cmpx_ne_u32_e32 0x7f, v119
	s_cbranch_execz .LBB372_4022
; %bb.4019:                             ;   in Loop: Header=BB372_2086 Depth=1
	v_dual_lshrrev_b32 v3, 3, v119 :: v_dual_bitop2_b32 v22, 7, v118 bitop3:0x40
	s_mov_b32 s19, exec_lo
	s_delay_alu instid0(VALU_DEP_1)
	v_mov_b64_e32 v[82:83], v[22:23]
	v_cmpx_gt_u32_e32 8, v119
; %bb.4020:                             ;   in Loop: Header=BB372_2086 Depth=1
	v_clz_i32_u32_e32 v3, v22
	s_delay_alu instid0(VALU_DEP_1) | instskip(NEXT) | instid1(VALU_DEP_1)
	v_min_u32_e32 v3, 32, v3
	v_subrev_nc_u32_e32 v4, 28, v3
	s_delay_alu instid0(VALU_DEP_1) | instskip(NEXT) | instid1(VALU_DEP_1)
	v_lshlrev_b64_e32 v[82:83], v4, v[22:23]
	v_dual_sub_nc_u32 v3, 29, v3 :: v_dual_bitop2_b32 v82, 7, v82 bitop3:0x40
; %bb.4021:                             ;   in Loop: Header=BB372_2086 Depth=1
	s_or_b32 exec_lo, exec_lo, s19
	v_lshlrev_b32_e32 v4, 24, v118
	s_delay_alu instid0(VALU_DEP_2) | instskip(NEXT) | instid1(VALU_DEP_3)
	v_lshlrev_b32_e32 v22, 20, v82
	v_lshl_add_u32 v3, v3, 23, 0x3c000000
	s_delay_alu instid0(VALU_DEP_3) | instskip(NEXT) | instid1(VALU_DEP_1)
	v_and_b32_e32 v4, 0x80000000, v4
	v_or3_b32 v42, v22, v4, v3
.LBB372_4022:                           ;   in Loop: Header=BB372_2086 Depth=1
	s_or_b32 exec_lo, exec_lo, s18
.LBB372_4023:                           ;   in Loop: Header=BB372_2086 Depth=1
	s_delay_alu instid0(SALU_CYCLE_1)
	s_or_b32 exec_lo, exec_lo, s17
.LBB372_4024:                           ;   in Loop: Header=BB372_2086 Depth=1
	s_delay_alu instid0(SALU_CYCLE_1) | instskip(NEXT) | instid1(SALU_CYCLE_1)
	s_or_b32 exec_lo, exec_lo, s16
	s_mov_b32 s16, exec_lo
	v_cmpx_lt_u32_e32 0xffffff, v80
	s_cbranch_execz .LBB372_4032
; %bb.4025:                             ;   in Loop: Header=BB372_2086 Depth=1
	v_lshrrev_b32_e32 v3, 24, v80
	v_bfrev_b32_e32 v41, 1
	s_mov_b32 s17, exec_lo
	s_delay_alu instid0(VALU_DEP_2)
	v_cmpx_ne_u32_e32 0x80, v3
	s_cbranch_execz .LBB372_4031
; %bb.4026:                             ;   in Loop: Header=BB372_2086 Depth=1
	v_bfe_u32 v118, v80, 24, 7
	v_mov_b32_e32 v41, 0x7f800001
	s_mov_b32 s18, exec_lo
	s_delay_alu instid0(VALU_DEP_2)
	v_cmpx_ne_u32_e32 0x7f, v118
	s_cbranch_execz .LBB372_4030
; %bb.4027:                             ;   in Loop: Header=BB372_2086 Depth=1
	v_and_b32_e32 v22, 7, v3
	s_mov_b32 s19, exec_lo
	s_delay_alu instid0(VALU_DEP_1)
	v_mov_b64_e32 v[82:83], v[22:23]
	v_lshrrev_b32_e32 v83, 3, v118
	v_cmpx_gt_u32_e32 8, v118
; %bb.4028:                             ;   in Loop: Header=BB372_2086 Depth=1
	v_clz_i32_u32_e32 v4, v22
	s_delay_alu instid0(VALU_DEP_1) | instskip(NEXT) | instid1(VALU_DEP_1)
	v_min_u32_e32 v4, 32, v4
	v_subrev_nc_u32_e32 v82, 28, v4
	s_delay_alu instid0(VALU_DEP_1) | instskip(NEXT) | instid1(VALU_DEP_1)
	v_lshlrev_b64_e32 v[82:83], v82, v[22:23]
	v_dual_sub_nc_u32 v83, 29, v4 :: v_dual_bitop2_b32 v82, 7, v82 bitop3:0x40
; %bb.4029:                             ;   in Loop: Header=BB372_2086 Depth=1
	s_or_b32 exec_lo, exec_lo, s19
	s_delay_alu instid0(VALU_DEP_1) | instskip(NEXT) | instid1(VALU_DEP_2)
	v_dual_lshlrev_b32 v3, 24, v3 :: v_dual_lshlrev_b32 v4, 20, v82
	v_lshl_add_u32 v22, v83, 23, 0x3c000000
	s_delay_alu instid0(VALU_DEP_2) | instskip(NEXT) | instid1(VALU_DEP_1)
	v_and_b32_e32 v3, 0x80000000, v3
	v_or3_b32 v41, v4, v3, v22
.LBB372_4030:                           ;   in Loop: Header=BB372_2086 Depth=1
	s_or_b32 exec_lo, exec_lo, s18
.LBB372_4031:                           ;   in Loop: Header=BB372_2086 Depth=1
	s_delay_alu instid0(SALU_CYCLE_1)
	s_or_b32 exec_lo, exec_lo, s17
.LBB372_4032:                           ;   in Loop: Header=BB372_2086 Depth=1
	s_delay_alu instid0(SALU_CYCLE_1) | instskip(SKIP_4) | instid1(VALU_DEP_3)
	s_or_b32 exec_lo, exec_lo, s16
	v_and_b32_e32 v3, 0xff, v81
	v_dual_mov_b32 v22, v81 :: v_dual_mov_b32 v118, 0
	v_mov_b32_e32 v119, 0
	s_mov_b32 s16, exec_lo
	v_cmpx_ne_u16_e32 0, v3
	s_cbranch_execz .LBB372_4040
; %bb.4033:                             ;   in Loop: Header=BB372_2086 Depth=1
	v_bfrev_b32_e32 v119, 1
	s_mov_b32 s17, exec_lo
	v_cmpx_ne_u16_e32 0x80, v3
	s_cbranch_execz .LBB372_4039
; %bb.4034:                             ;   in Loop: Header=BB372_2086 Depth=1
	v_and_b32_e32 v4, 0x7f, v81
	v_mov_b32_e32 v119, 0x7f800001
	s_mov_b32 s18, exec_lo
	s_delay_alu instid0(VALU_DEP_2)
	v_cmpx_ne_u32_e32 0x7f, v4
	s_cbranch_execz .LBB372_4038
; %bb.4035:                             ;   in Loop: Header=BB372_2086 Depth=1
	v_mov_b64_e32 v[82:83], v[22:23]
	v_lshrrev_b32_e32 v3, 3, v4
	s_mov_b32 s19, exec_lo
	v_cmpx_gt_u32_e32 8, v4
; %bb.4036:                             ;   in Loop: Header=BB372_2086 Depth=1
	v_and_b32_e32 v3, 7, v81
	s_delay_alu instid0(VALU_DEP_1) | instskip(NEXT) | instid1(VALU_DEP_1)
	v_clz_i32_u32_e32 v3, v3
	v_min_u32_e32 v3, 32, v3
	s_delay_alu instid0(VALU_DEP_1) | instskip(SKIP_1) | instid1(VALU_DEP_2)
	v_subrev_nc_u32_e32 v4, 28, v3
	v_sub_nc_u32_e32 v3, 29, v3
	v_lshlrev_b64_e32 v[82:83], v4, v[22:23]
; %bb.4037:                             ;   in Loop: Header=BB372_2086 Depth=1
	s_or_b32 exec_lo, exec_lo, s19
	s_delay_alu instid0(VALU_DEP_1) | instskip(SKIP_2) | instid1(VALU_DEP_3)
	v_lshlrev_b32_e32 v4, 20, v82
	v_lshlrev_b32_e32 v82, 24, v22
	v_lshl_add_u32 v3, v3, 23, 0x3c000000
	v_and_b32_e32 v4, 0x700000, v4
	s_delay_alu instid0(VALU_DEP_3) | instskip(NEXT) | instid1(VALU_DEP_1)
	v_and_b32_e32 v82, 0x80000000, v82
	v_or3_b32 v119, v4, v82, v3
.LBB372_4038:                           ;   in Loop: Header=BB372_2086 Depth=1
	s_or_b32 exec_lo, exec_lo, s18
.LBB372_4039:                           ;   in Loop: Header=BB372_2086 Depth=1
	s_delay_alu instid0(SALU_CYCLE_1)
	s_or_b32 exec_lo, exec_lo, s17
.LBB372_4040:                           ;   in Loop: Header=BB372_2086 Depth=1
	s_delay_alu instid0(SALU_CYCLE_1) | instskip(SKIP_2) | instid1(VALU_DEP_1)
	s_or_b32 exec_lo, exec_lo, s16
	v_lshrrev_b16 v3, 8, v22
	s_mov_b32 s16, exec_lo
	v_cmpx_ne_u16_e32 0, v3
	s_cbranch_execz .LBB372_4048
; %bb.4041:                             ;   in Loop: Header=BB372_2086 Depth=1
	v_bfrev_b32_e32 v118, 1
	s_mov_b32 s17, exec_lo
	v_cmpx_ne_u16_e32 0x80, v3
	s_cbranch_execz .LBB372_4047
; %bb.4042:                             ;   in Loop: Header=BB372_2086 Depth=1
	v_and_b32_e32 v3, 0xffff, v3
	v_mov_b32_e32 v118, 0x7f800001
	s_mov_b32 s18, exec_lo
	s_delay_alu instid0(VALU_DEP_2) | instskip(NEXT) | instid1(VALU_DEP_1)
	v_and_b32_e32 v4, 0x7f, v3
	v_cmpx_ne_u32_e32 0x7f, v4
	s_cbranch_execz .LBB372_4046
; %bb.4043:                             ;   in Loop: Header=BB372_2086 Depth=1
	v_dual_mov_b32 v83, v23 :: v_dual_bitop2_b32 v82, 7, v3 bitop3:0x40
	v_lshrrev_b32_e32 v3, 3, v4
	s_mov_b32 s19, exec_lo
	v_cmpx_gt_u32_e32 8, v4
; %bb.4044:                             ;   in Loop: Header=BB372_2086 Depth=1
	s_delay_alu instid0(VALU_DEP_3) | instskip(NEXT) | instid1(VALU_DEP_1)
	v_clz_i32_u32_e32 v3, v82
	v_min_u32_e32 v3, 32, v3
	s_delay_alu instid0(VALU_DEP_1) | instskip(NEXT) | instid1(VALU_DEP_1)
	v_subrev_nc_u32_e32 v4, 28, v3
	v_lshlrev_b64_e32 v[82:83], v4, v[82:83]
	s_delay_alu instid0(VALU_DEP_1)
	v_dual_sub_nc_u32 v3, 29, v3 :: v_dual_bitop2_b32 v82, 7, v82 bitop3:0x40
; %bb.4045:                             ;   in Loop: Header=BB372_2086 Depth=1
	s_or_b32 exec_lo, exec_lo, s19
	v_lshlrev_b32_e32 v4, 16, v22
	s_delay_alu instid0(VALU_DEP_2) | instskip(NEXT) | instid1(VALU_DEP_3)
	v_lshlrev_b32_e32 v22, 20, v82
	v_lshl_add_u32 v3, v3, 23, 0x3c000000
	s_delay_alu instid0(VALU_DEP_3) | instskip(NEXT) | instid1(VALU_DEP_1)
	v_and_b32_e32 v4, 0x80000000, v4
	v_or3_b32 v118, v22, v4, v3
.LBB372_4046:                           ;   in Loop: Header=BB372_2086 Depth=1
	s_or_b32 exec_lo, exec_lo, s18
.LBB372_4047:                           ;   in Loop: Header=BB372_2086 Depth=1
	s_delay_alu instid0(SALU_CYCLE_1)
	s_or_b32 exec_lo, exec_lo, s17
.LBB372_4048:                           ;   in Loop: Header=BB372_2086 Depth=1
	s_delay_alu instid0(SALU_CYCLE_1) | instskip(SKIP_3) | instid1(VALU_DEP_2)
	s_or_b32 exec_lo, exec_lo, s16
	v_dual_lshrrev_b32 v43, 16, v81 :: v_dual_mov_b32 v45, 0
	v_mov_b32_e32 v82, 0
	s_mov_b32 s16, exec_lo
	v_and_b32_e32 v3, 0xff, v43
	s_delay_alu instid0(VALU_DEP_1)
	v_cmpx_ne_u16_e32 0, v3
	s_cbranch_execz .LBB372_4056
; %bb.4049:                             ;   in Loop: Header=BB372_2086 Depth=1
	v_bfrev_b32_e32 v82, 1
	s_mov_b32 s17, exec_lo
	v_cmpx_ne_u16_e32 0x80, v3
	s_cbranch_execz .LBB372_4055
; %bb.4050:                             ;   in Loop: Header=BB372_2086 Depth=1
	v_bfe_u32 v44, v81, 16, 7
	v_mov_b32_e32 v82, 0x7f800001
	s_mov_b32 s18, exec_lo
	s_delay_alu instid0(VALU_DEP_2)
	v_cmpx_ne_u32_e32 0x7f, v44
	s_cbranch_execz .LBB372_4054
; %bb.4051:                             ;   in Loop: Header=BB372_2086 Depth=1
	v_dual_lshrrev_b32 v3, 3, v44 :: v_dual_bitop2_b32 v22, 7, v43 bitop3:0x40
	s_mov_b32 s19, exec_lo
	s_delay_alu instid0(VALU_DEP_1)
	v_mov_b64_e32 v[82:83], v[22:23]
	v_cmpx_gt_u32_e32 8, v44
; %bb.4052:                             ;   in Loop: Header=BB372_2086 Depth=1
	v_clz_i32_u32_e32 v3, v22
	s_delay_alu instid0(VALU_DEP_1) | instskip(NEXT) | instid1(VALU_DEP_1)
	v_min_u32_e32 v3, 32, v3
	v_subrev_nc_u32_e32 v4, 28, v3
	s_delay_alu instid0(VALU_DEP_1) | instskip(NEXT) | instid1(VALU_DEP_1)
	v_lshlrev_b64_e32 v[82:83], v4, v[22:23]
	v_dual_sub_nc_u32 v3, 29, v3 :: v_dual_bitop2_b32 v82, 7, v82 bitop3:0x40
; %bb.4053:                             ;   in Loop: Header=BB372_2086 Depth=1
	s_or_b32 exec_lo, exec_lo, s19
	s_delay_alu instid0(VALU_DEP_1) | instskip(NEXT) | instid1(VALU_DEP_2)
	v_dual_lshlrev_b32 v4, 24, v43 :: v_dual_lshlrev_b32 v22, 20, v82
	v_lshl_add_u32 v3, v3, 23, 0x3c000000
	s_delay_alu instid0(VALU_DEP_2) | instskip(NEXT) | instid1(VALU_DEP_1)
	v_and_b32_e32 v4, 0x80000000, v4
	v_or3_b32 v82, v22, v4, v3
.LBB372_4054:                           ;   in Loop: Header=BB372_2086 Depth=1
	s_or_b32 exec_lo, exec_lo, s18
.LBB372_4055:                           ;   in Loop: Header=BB372_2086 Depth=1
	s_delay_alu instid0(SALU_CYCLE_1)
	s_or_b32 exec_lo, exec_lo, s17
.LBB372_4056:                           ;   in Loop: Header=BB372_2086 Depth=1
	s_delay_alu instid0(SALU_CYCLE_1) | instskip(NEXT) | instid1(SALU_CYCLE_1)
	s_or_b32 exec_lo, exec_lo, s16
	s_mov_b32 s16, exec_lo
	v_cmpx_lt_u64_e64 s[2:3], v[80:81]
	s_cbranch_execz .LBB372_4064
; %bb.4057:                             ;   in Loop: Header=BB372_2086 Depth=1
	v_lshrrev_b32_e32 v3, 24, v81
	v_bfrev_b32_e32 v45, 1
	s_mov_b32 s17, exec_lo
	s_delay_alu instid0(VALU_DEP_2)
	v_cmpx_ne_u32_e32 0x80, v3
	s_cbranch_execz .LBB372_4063
; %bb.4058:                             ;   in Loop: Header=BB372_2086 Depth=1
	v_bfe_u32 v83, v81, 24, 7
	v_mov_b32_e32 v45, 0x7f800001
	s_mov_b32 s18, exec_lo
	s_delay_alu instid0(VALU_DEP_2)
	v_cmpx_ne_u32_e32 0x7f, v83
	s_cbranch_execz .LBB372_4062
; %bb.4059:                             ;   in Loop: Header=BB372_2086 Depth=1
	v_and_b32_e32 v22, 7, v3
	s_mov_b32 s19, exec_lo
	s_delay_alu instid0(VALU_DEP_1)
	v_mov_b64_e32 v[80:81], v[22:23]
	v_lshrrev_b32_e32 v81, 3, v83
	v_cmpx_gt_u32_e32 8, v83
; %bb.4060:                             ;   in Loop: Header=BB372_2086 Depth=1
	v_clz_i32_u32_e32 v4, v22
	s_delay_alu instid0(VALU_DEP_1) | instskip(NEXT) | instid1(VALU_DEP_1)
	v_min_u32_e32 v4, 32, v4
	v_subrev_nc_u32_e32 v80, 28, v4
	s_delay_alu instid0(VALU_DEP_1) | instskip(SKIP_1) | instid1(VALU_DEP_2)
	v_lshlrev_b64_e32 v[80:81], v80, v[22:23]
	v_sub_nc_u32_e32 v81, 29, v4
	v_and_b32_e32 v80, 7, v80
; %bb.4061:                             ;   in Loop: Header=BB372_2086 Depth=1
	s_or_b32 exec_lo, exec_lo, s19
	s_delay_alu instid0(VALU_DEP_1) | instskip(NEXT) | instid1(VALU_DEP_3)
	v_dual_lshlrev_b32 v3, 24, v3 :: v_dual_lshlrev_b32 v4, 20, v80
	v_lshl_add_u32 v22, v81, 23, 0x3c000000
	s_delay_alu instid0(VALU_DEP_2) | instskip(NEXT) | instid1(VALU_DEP_1)
	v_and_b32_e32 v3, 0x80000000, v3
	v_or3_b32 v45, v4, v3, v22
.LBB372_4062:                           ;   in Loop: Header=BB372_2086 Depth=1
	s_or_b32 exec_lo, exec_lo, s18
.LBB372_4063:                           ;   in Loop: Header=BB372_2086 Depth=1
	s_delay_alu instid0(SALU_CYCLE_1)
	s_or_b32 exec_lo, exec_lo, s17
.LBB372_4064:                           ;   in Loop: Header=BB372_2086 Depth=1
	s_delay_alu instid0(SALU_CYCLE_1)
	s_or_b32 exec_lo, exec_lo, s16
	v_fma_mixlo_bf16 v118, v86, v118, 0
	v_fma_mixlo_bf16 v119, v86, v119, 0
	;; [unrolled: 1-line block ×8, first 2 shown]
	s_and_saveexec_b32 s16, vcc_lo
	s_cbranch_execz .LBB372_4066
; %bb.4065:                             ;   in Loop: Header=BB372_2086 Depth=1
	scratch_load_b32 v2, off, s32 offset:192 ; 4-byte Folded Reload
	s_wait_loadcnt 0x0
	v_cmp_lt_i32_e64 s0, v63, v2
	s_delay_alu instid0(VALU_DEP_1) | instskip(SKIP_1) | instid1(VALU_DEP_1)
	v_cndmask_b32_e64 v44, 0, v44, s0
	v_cmp_lt_i32_e64 s0, v95, v2
	v_cndmask_b32_e64 v62, 0, v62, s0
	v_cmp_lt_i32_e64 s0, v94, v2
	s_delay_alu instid0(VALU_DEP_1) | instskip(SKIP_1) | instid1(VALU_DEP_1)
	v_cndmask_b32_e64 v43, 0, v43, s0
	v_cmp_lt_i32_e64 s0, v93, v2
	v_cndmask_b32_e64 v41, 0, v41, s0
	;; [unrolled: 5-line block ×4, first 2 shown]
.LBB372_4066:                           ;   in Loop: Header=BB372_2086 Depth=1
	s_wait_xcnt 0x0
	s_or_b32 exec_lo, exec_lo, s16
	flat_load_b64 v[18:19], v[18:19] offset:7680
	v_dual_mov_b32 v82, 0 :: v_dual_mov_b32 v2, 0
	s_mov_b32 s16, exec_lo
	s_wait_loadcnt_dscnt 0x0
	v_and_b32_e32 v3, 0xff, v18
	s_wait_xcnt 0x0
	s_delay_alu instid0(VALU_DEP_1)
	v_cmpx_ne_u16_e32 0, v3
	s_cbranch_execz .LBB372_4074
; %bb.4067:                             ;   in Loop: Header=BB372_2086 Depth=1
	v_bfrev_b32_e32 v2, 1
	s_mov_b32 s17, exec_lo
	v_cmpx_ne_u16_e32 0x80, v3
	s_cbranch_execz .LBB372_4073
; %bb.4068:                             ;   in Loop: Header=BB372_2086 Depth=1
	v_and_b32_e32 v3, 0x7f, v18
	v_mov_b32_e32 v2, 0x7f800001
	s_mov_b32 s18, exec_lo
	s_delay_alu instid0(VALU_DEP_2)
	v_cmpx_ne_u32_e32 0x7f, v3
	s_cbranch_execz .LBB372_4072
; %bb.4069:                             ;   in Loop: Header=BB372_2086 Depth=1
	v_mov_b64_e32 v[80:81], v[18:19]
	v_lshrrev_b32_e32 v2, 3, v3
	s_mov_b32 s19, exec_lo
	v_cmpx_gt_u32_e32 8, v3
; %bb.4070:                             ;   in Loop: Header=BB372_2086 Depth=1
	v_and_b32_e32 v2, 7, v18
	s_delay_alu instid0(VALU_DEP_1) | instskip(NEXT) | instid1(VALU_DEP_1)
	v_clz_i32_u32_e32 v2, v2
	v_min_u32_e32 v2, 32, v2
	s_delay_alu instid0(VALU_DEP_1) | instskip(SKIP_1) | instid1(VALU_DEP_2)
	v_subrev_nc_u32_e32 v3, 28, v2
	v_sub_nc_u32_e32 v2, 29, v2
	v_lshlrev_b64_e32 v[80:81], v3, v[18:19]
; %bb.4071:                             ;   in Loop: Header=BB372_2086 Depth=1
	s_or_b32 exec_lo, exec_lo, s19
	s_delay_alu instid0(VALU_DEP_1) | instskip(NEXT) | instid1(VALU_DEP_3)
	v_dual_lshlrev_b32 v3, 20, v80 :: v_dual_lshlrev_b32 v4, 24, v18
	v_lshl_add_u32 v2, v2, 23, 0x3c000000
	s_delay_alu instid0(VALU_DEP_2) | instskip(NEXT) | instid1(VALU_DEP_3)
	v_and_b32_e32 v3, 0x700000, v3
	v_and_b32_e32 v4, 0x80000000, v4
	s_delay_alu instid0(VALU_DEP_1)
	v_or3_b32 v2, v3, v4, v2
.LBB372_4072:                           ;   in Loop: Header=BB372_2086 Depth=1
	s_or_b32 exec_lo, exec_lo, s18
.LBB372_4073:                           ;   in Loop: Header=BB372_2086 Depth=1
	s_delay_alu instid0(SALU_CYCLE_1)
	s_or_b32 exec_lo, exec_lo, s17
.LBB372_4074:                           ;   in Loop: Header=BB372_2086 Depth=1
	s_delay_alu instid0(SALU_CYCLE_1) | instskip(SKIP_2) | instid1(VALU_DEP_1)
	s_or_b32 exec_lo, exec_lo, s16
	v_lshrrev_b16 v3, 8, v18
	s_mov_b32 s16, exec_lo
	v_cmpx_ne_u16_e32 0, v3
	s_cbranch_execz .LBB372_4082
; %bb.4075:                             ;   in Loop: Header=BB372_2086 Depth=1
	v_bfrev_b32_e32 v82, 1
	s_mov_b32 s17, exec_lo
	v_cmpx_ne_u16_e32 0x80, v3
	s_cbranch_execz .LBB372_4081
; %bb.4076:                             ;   in Loop: Header=BB372_2086 Depth=1
	v_and_b32_e32 v3, 0xffff, v3
	v_mov_b32_e32 v82, 0x7f800001
	s_mov_b32 s18, exec_lo
	s_delay_alu instid0(VALU_DEP_2) | instskip(NEXT) | instid1(VALU_DEP_1)
	v_and_b32_e32 v83, 0x7f, v3
	v_cmpx_ne_u32_e32 0x7f, v83
	s_cbranch_execz .LBB372_4080
; %bb.4077:                             ;   in Loop: Header=BB372_2086 Depth=1
	v_and_b32_e32 v22, 7, v3
	v_lshrrev_b32_e32 v3, 3, v83
	s_mov_b32 s19, exec_lo
	s_delay_alu instid0(VALU_DEP_2)
	v_mov_b64_e32 v[80:81], v[22:23]
	v_cmpx_gt_u32_e32 8, v83
; %bb.4078:                             ;   in Loop: Header=BB372_2086 Depth=1
	v_clz_i32_u32_e32 v3, v22
	s_delay_alu instid0(VALU_DEP_1) | instskip(NEXT) | instid1(VALU_DEP_1)
	v_min_u32_e32 v3, 32, v3
	v_subrev_nc_u32_e32 v4, 28, v3
	s_delay_alu instid0(VALU_DEP_1) | instskip(NEXT) | instid1(VALU_DEP_1)
	v_lshlrev_b64_e32 v[80:81], v4, v[22:23]
	v_dual_sub_nc_u32 v3, 29, v3 :: v_dual_bitop2_b32 v80, 7, v80 bitop3:0x40
; %bb.4079:                             ;   in Loop: Header=BB372_2086 Depth=1
	s_or_b32 exec_lo, exec_lo, s19
	s_delay_alu instid0(VALU_DEP_1) | instskip(NEXT) | instid1(VALU_DEP_2)
	v_dual_lshlrev_b32 v4, 16, v18 :: v_dual_lshlrev_b32 v22, 20, v80
	v_lshl_add_u32 v3, v3, 23, 0x3c000000
	s_delay_alu instid0(VALU_DEP_2) | instskip(NEXT) | instid1(VALU_DEP_1)
	v_and_b32_e32 v4, 0x80000000, v4
	v_or3_b32 v82, v22, v4, v3
.LBB372_4080:                           ;   in Loop: Header=BB372_2086 Depth=1
	s_or_b32 exec_lo, exec_lo, s18
.LBB372_4081:                           ;   in Loop: Header=BB372_2086 Depth=1
	s_delay_alu instid0(SALU_CYCLE_1)
	s_or_b32 exec_lo, exec_lo, s17
.LBB372_4082:                           ;   in Loop: Header=BB372_2086 Depth=1
	s_delay_alu instid0(SALU_CYCLE_1) | instskip(SKIP_3) | instid1(VALU_DEP_2)
	s_or_b32 exec_lo, exec_lo, s16
	v_dual_mov_b32 v45, 0 :: v_dual_lshrrev_b32 v46, 16, v18
	v_mov_b32_e32 v83, 0
	s_mov_b32 s16, exec_lo
	v_and_b32_e32 v3, 0xff, v46
	s_delay_alu instid0(VALU_DEP_1)
	v_cmpx_ne_u16_e32 0, v3
	s_cbranch_execz .LBB372_4090
; %bb.4083:                             ;   in Loop: Header=BB372_2086 Depth=1
	v_bfrev_b32_e32 v83, 1
	s_mov_b32 s17, exec_lo
	v_cmpx_ne_u16_e32 0x80, v3
	s_cbranch_execz .LBB372_4089
; %bb.4084:                             ;   in Loop: Header=BB372_2086 Depth=1
	v_bfe_u32 v47, v18, 16, 7
	v_mov_b32_e32 v83, 0x7f800001
	s_mov_b32 s18, exec_lo
	s_delay_alu instid0(VALU_DEP_2)
	v_cmpx_ne_u32_e32 0x7f, v47
	s_cbranch_execz .LBB372_4088
; %bb.4085:                             ;   in Loop: Header=BB372_2086 Depth=1
	v_dual_lshrrev_b32 v3, 3, v47 :: v_dual_bitop2_b32 v22, 7, v46 bitop3:0x40
	s_mov_b32 s19, exec_lo
	s_delay_alu instid0(VALU_DEP_1)
	v_mov_b64_e32 v[80:81], v[22:23]
	v_cmpx_gt_u32_e32 8, v47
; %bb.4086:                             ;   in Loop: Header=BB372_2086 Depth=1
	v_clz_i32_u32_e32 v3, v22
	s_delay_alu instid0(VALU_DEP_1) | instskip(NEXT) | instid1(VALU_DEP_1)
	v_min_u32_e32 v3, 32, v3
	v_subrev_nc_u32_e32 v4, 28, v3
	s_delay_alu instid0(VALU_DEP_1) | instskip(NEXT) | instid1(VALU_DEP_1)
	v_lshlrev_b64_e32 v[80:81], v4, v[22:23]
	v_dual_sub_nc_u32 v3, 29, v3 :: v_dual_bitop2_b32 v80, 7, v80 bitop3:0x40
; %bb.4087:                             ;   in Loop: Header=BB372_2086 Depth=1
	s_or_b32 exec_lo, exec_lo, s19
	s_delay_alu instid0(VALU_DEP_1) | instskip(NEXT) | instid1(VALU_DEP_2)
	v_dual_lshlrev_b32 v4, 24, v46 :: v_dual_lshlrev_b32 v22, 20, v80
	v_lshl_add_u32 v3, v3, 23, 0x3c000000
	s_delay_alu instid0(VALU_DEP_2) | instskip(NEXT) | instid1(VALU_DEP_1)
	v_and_b32_e32 v4, 0x80000000, v4
	v_or3_b32 v83, v22, v4, v3
.LBB372_4088:                           ;   in Loop: Header=BB372_2086 Depth=1
	s_or_b32 exec_lo, exec_lo, s18
.LBB372_4089:                           ;   in Loop: Header=BB372_2086 Depth=1
	s_delay_alu instid0(SALU_CYCLE_1)
	s_or_b32 exec_lo, exec_lo, s17
.LBB372_4090:                           ;   in Loop: Header=BB372_2086 Depth=1
	s_delay_alu instid0(SALU_CYCLE_1) | instskip(NEXT) | instid1(SALU_CYCLE_1)
	s_or_b32 exec_lo, exec_lo, s16
	s_mov_b32 s16, exec_lo
	v_cmpx_lt_u32_e32 0xffffff, v18
	s_cbranch_execz .LBB372_4098
; %bb.4091:                             ;   in Loop: Header=BB372_2086 Depth=1
	v_lshrrev_b32_e32 v3, 24, v18
	v_bfrev_b32_e32 v45, 1
	s_mov_b32 s17, exec_lo
	s_delay_alu instid0(VALU_DEP_2)
	v_cmpx_ne_u32_e32 0x80, v3
	s_cbranch_execz .LBB372_4097
; %bb.4092:                             ;   in Loop: Header=BB372_2086 Depth=1
	v_bfe_u32 v46, v18, 24, 7
	v_mov_b32_e32 v45, 0x7f800001
	s_mov_b32 s18, exec_lo
	s_delay_alu instid0(VALU_DEP_2)
	v_cmpx_ne_u32_e32 0x7f, v46
	s_cbranch_execz .LBB372_4096
; %bb.4093:                             ;   in Loop: Header=BB372_2086 Depth=1
	v_and_b32_e32 v22, 7, v3
	s_mov_b32 s19, exec_lo
	s_delay_alu instid0(VALU_DEP_1)
	v_mov_b64_e32 v[80:81], v[22:23]
	v_lshrrev_b32_e32 v81, 3, v46
	v_cmpx_gt_u32_e32 8, v46
; %bb.4094:                             ;   in Loop: Header=BB372_2086 Depth=1
	v_clz_i32_u32_e32 v4, v22
	s_delay_alu instid0(VALU_DEP_1) | instskip(NEXT) | instid1(VALU_DEP_1)
	v_min_u32_e32 v4, 32, v4
	v_subrev_nc_u32_e32 v80, 28, v4
	s_delay_alu instid0(VALU_DEP_1) | instskip(SKIP_1) | instid1(VALU_DEP_2)
	v_lshlrev_b64_e32 v[80:81], v80, v[22:23]
	v_sub_nc_u32_e32 v81, 29, v4
	v_and_b32_e32 v80, 7, v80
; %bb.4095:                             ;   in Loop: Header=BB372_2086 Depth=1
	s_or_b32 exec_lo, exec_lo, s19
	s_delay_alu instid0(VALU_DEP_1) | instskip(NEXT) | instid1(VALU_DEP_3)
	v_dual_lshlrev_b32 v3, 24, v3 :: v_dual_lshlrev_b32 v4, 20, v80
	v_lshl_add_u32 v22, v81, 23, 0x3c000000
	s_delay_alu instid0(VALU_DEP_2) | instskip(NEXT) | instid1(VALU_DEP_1)
	v_and_b32_e32 v3, 0x80000000, v3
	v_or3_b32 v45, v4, v3, v22
.LBB372_4096:                           ;   in Loop: Header=BB372_2086 Depth=1
	s_or_b32 exec_lo, exec_lo, s18
.LBB372_4097:                           ;   in Loop: Header=BB372_2086 Depth=1
	s_delay_alu instid0(SALU_CYCLE_1)
	s_or_b32 exec_lo, exec_lo, s17
.LBB372_4098:                           ;   in Loop: Header=BB372_2086 Depth=1
	s_delay_alu instid0(SALU_CYCLE_1) | instskip(SKIP_4) | instid1(VALU_DEP_3)
	s_or_b32 exec_lo, exec_lo, s16
	v_and_b32_e32 v3, 0xff, v19
	v_dual_mov_b32 v22, v19 :: v_dual_mov_b32 v46, 0
	v_mov_b32_e32 v47, 0
	s_mov_b32 s16, exec_lo
	v_cmpx_ne_u16_e32 0, v3
	s_cbranch_execz .LBB372_4106
; %bb.4099:                             ;   in Loop: Header=BB372_2086 Depth=1
	v_bfrev_b32_e32 v47, 1
	s_mov_b32 s17, exec_lo
	v_cmpx_ne_u16_e32 0x80, v3
	s_cbranch_execz .LBB372_4105
; %bb.4100:                             ;   in Loop: Header=BB372_2086 Depth=1
	v_and_b32_e32 v4, 0x7f, v19
	v_mov_b32_e32 v47, 0x7f800001
	s_mov_b32 s18, exec_lo
	s_delay_alu instid0(VALU_DEP_2)
	v_cmpx_ne_u32_e32 0x7f, v4
	s_cbranch_execz .LBB372_4104
; %bb.4101:                             ;   in Loop: Header=BB372_2086 Depth=1
	v_mov_b64_e32 v[80:81], v[22:23]
	v_lshrrev_b32_e32 v3, 3, v4
	s_mov_b32 s19, exec_lo
	v_cmpx_gt_u32_e32 8, v4
; %bb.4102:                             ;   in Loop: Header=BB372_2086 Depth=1
	v_and_b32_e32 v3, 7, v19
	s_delay_alu instid0(VALU_DEP_1) | instskip(NEXT) | instid1(VALU_DEP_1)
	v_clz_i32_u32_e32 v3, v3
	v_min_u32_e32 v3, 32, v3
	s_delay_alu instid0(VALU_DEP_1) | instskip(SKIP_1) | instid1(VALU_DEP_2)
	v_subrev_nc_u32_e32 v4, 28, v3
	v_sub_nc_u32_e32 v3, 29, v3
	v_lshlrev_b64_e32 v[80:81], v4, v[22:23]
; %bb.4103:                             ;   in Loop: Header=BB372_2086 Depth=1
	s_or_b32 exec_lo, exec_lo, s19
	s_delay_alu instid0(VALU_DEP_1) | instskip(NEXT) | instid1(VALU_DEP_3)
	v_dual_lshlrev_b32 v4, 20, v80 :: v_dual_lshlrev_b32 v80, 24, v22
	v_lshl_add_u32 v3, v3, 23, 0x3c000000
	s_delay_alu instid0(VALU_DEP_2) | instskip(NEXT) | instid1(VALU_DEP_3)
	v_and_b32_e32 v4, 0x700000, v4
	v_and_b32_e32 v80, 0x80000000, v80
	s_delay_alu instid0(VALU_DEP_1)
	v_or3_b32 v47, v4, v80, v3
.LBB372_4104:                           ;   in Loop: Header=BB372_2086 Depth=1
	s_or_b32 exec_lo, exec_lo, s18
.LBB372_4105:                           ;   in Loop: Header=BB372_2086 Depth=1
	s_delay_alu instid0(SALU_CYCLE_1)
	s_or_b32 exec_lo, exec_lo, s17
.LBB372_4106:                           ;   in Loop: Header=BB372_2086 Depth=1
	s_delay_alu instid0(SALU_CYCLE_1) | instskip(SKIP_2) | instid1(VALU_DEP_1)
	s_or_b32 exec_lo, exec_lo, s16
	v_lshrrev_b16 v3, 8, v22
	s_mov_b32 s16, exec_lo
	v_cmpx_ne_u16_e32 0, v3
	s_cbranch_execz .LBB372_4114
; %bb.4107:                             ;   in Loop: Header=BB372_2086 Depth=1
	v_bfrev_b32_e32 v46, 1
	s_mov_b32 s17, exec_lo
	v_cmpx_ne_u16_e32 0x80, v3
	s_cbranch_execz .LBB372_4113
; %bb.4108:                             ;   in Loop: Header=BB372_2086 Depth=1
	v_and_b32_e32 v3, 0xffff, v3
	v_mov_b32_e32 v46, 0x7f800001
	s_mov_b32 s18, exec_lo
	s_delay_alu instid0(VALU_DEP_2) | instskip(NEXT) | instid1(VALU_DEP_1)
	v_and_b32_e32 v4, 0x7f, v3
	v_cmpx_ne_u32_e32 0x7f, v4
	s_cbranch_execz .LBB372_4112
; %bb.4109:                             ;   in Loop: Header=BB372_2086 Depth=1
	v_dual_mov_b32 v81, v23 :: v_dual_bitop2_b32 v80, 7, v3 bitop3:0x40
	v_lshrrev_b32_e32 v3, 3, v4
	s_mov_b32 s19, exec_lo
	v_cmpx_gt_u32_e32 8, v4
; %bb.4110:                             ;   in Loop: Header=BB372_2086 Depth=1
	s_delay_alu instid0(VALU_DEP_3) | instskip(NEXT) | instid1(VALU_DEP_1)
	v_clz_i32_u32_e32 v3, v80
	v_min_u32_e32 v3, 32, v3
	s_delay_alu instid0(VALU_DEP_1) | instskip(NEXT) | instid1(VALU_DEP_1)
	v_subrev_nc_u32_e32 v4, 28, v3
	v_lshlrev_b64_e32 v[80:81], v4, v[80:81]
	s_delay_alu instid0(VALU_DEP_1)
	v_dual_sub_nc_u32 v3, 29, v3 :: v_dual_bitop2_b32 v80, 7, v80 bitop3:0x40
; %bb.4111:                             ;   in Loop: Header=BB372_2086 Depth=1
	s_or_b32 exec_lo, exec_lo, s19
	s_delay_alu instid0(VALU_DEP_1) | instskip(NEXT) | instid1(VALU_DEP_2)
	v_dual_lshlrev_b32 v4, 16, v22 :: v_dual_lshlrev_b32 v22, 20, v80
	v_lshl_add_u32 v3, v3, 23, 0x3c000000
	s_delay_alu instid0(VALU_DEP_2) | instskip(NEXT) | instid1(VALU_DEP_1)
	v_and_b32_e32 v4, 0x80000000, v4
	v_or3_b32 v46, v22, v4, v3
.LBB372_4112:                           ;   in Loop: Header=BB372_2086 Depth=1
	s_or_b32 exec_lo, exec_lo, s18
.LBB372_4113:                           ;   in Loop: Header=BB372_2086 Depth=1
	s_delay_alu instid0(SALU_CYCLE_1)
	s_or_b32 exec_lo, exec_lo, s17
.LBB372_4114:                           ;   in Loop: Header=BB372_2086 Depth=1
	s_delay_alu instid0(SALU_CYCLE_1) | instskip(SKIP_3) | instid1(VALU_DEP_2)
	s_or_b32 exec_lo, exec_lo, s16
	v_dual_mov_b32 v57, 0 :: v_dual_lshrrev_b32 v56, 16, v19
	v_mov_b32_e32 v80, 0
	s_mov_b32 s16, exec_lo
	v_and_b32_e32 v3, 0xff, v56
	s_delay_alu instid0(VALU_DEP_1)
	v_cmpx_ne_u16_e32 0, v3
	s_cbranch_execz .LBB372_4122
; %bb.4115:                             ;   in Loop: Header=BB372_2086 Depth=1
	v_bfrev_b32_e32 v80, 1
	s_mov_b32 s17, exec_lo
	v_cmpx_ne_u16_e32 0x80, v3
	s_cbranch_execz .LBB372_4121
; %bb.4116:                             ;   in Loop: Header=BB372_2086 Depth=1
	v_bfe_u32 v58, v19, 16, 7
	v_mov_b32_e32 v80, 0x7f800001
	s_mov_b32 s18, exec_lo
	s_delay_alu instid0(VALU_DEP_2)
	v_cmpx_ne_u32_e32 0x7f, v58
	s_cbranch_execz .LBB372_4120
; %bb.4117:                             ;   in Loop: Header=BB372_2086 Depth=1
	v_dual_lshrrev_b32 v3, 3, v58 :: v_dual_bitop2_b32 v22, 7, v56 bitop3:0x40
	s_mov_b32 s19, exec_lo
	s_delay_alu instid0(VALU_DEP_1)
	v_mov_b64_e32 v[80:81], v[22:23]
	v_cmpx_gt_u32_e32 8, v58
; %bb.4118:                             ;   in Loop: Header=BB372_2086 Depth=1
	v_clz_i32_u32_e32 v3, v22
	s_delay_alu instid0(VALU_DEP_1) | instskip(NEXT) | instid1(VALU_DEP_1)
	v_min_u32_e32 v3, 32, v3
	v_subrev_nc_u32_e32 v4, 28, v3
	s_delay_alu instid0(VALU_DEP_1) | instskip(NEXT) | instid1(VALU_DEP_1)
	v_lshlrev_b64_e32 v[80:81], v4, v[22:23]
	v_dual_sub_nc_u32 v3, 29, v3 :: v_dual_bitop2_b32 v80, 7, v80 bitop3:0x40
; %bb.4119:                             ;   in Loop: Header=BB372_2086 Depth=1
	s_or_b32 exec_lo, exec_lo, s19
	v_lshlrev_b32_e32 v4, 24, v56
	s_delay_alu instid0(VALU_DEP_2) | instskip(NEXT) | instid1(VALU_DEP_3)
	v_lshlrev_b32_e32 v22, 20, v80
	v_lshl_add_u32 v3, v3, 23, 0x3c000000
	s_delay_alu instid0(VALU_DEP_3) | instskip(NEXT) | instid1(VALU_DEP_1)
	v_and_b32_e32 v4, 0x80000000, v4
	v_or3_b32 v80, v22, v4, v3
.LBB372_4120:                           ;   in Loop: Header=BB372_2086 Depth=1
	s_or_b32 exec_lo, exec_lo, s18
.LBB372_4121:                           ;   in Loop: Header=BB372_2086 Depth=1
	s_delay_alu instid0(SALU_CYCLE_1)
	s_or_b32 exec_lo, exec_lo, s17
.LBB372_4122:                           ;   in Loop: Header=BB372_2086 Depth=1
	s_delay_alu instid0(SALU_CYCLE_1) | instskip(NEXT) | instid1(SALU_CYCLE_1)
	s_or_b32 exec_lo, exec_lo, s16
	s_mov_b32 s16, exec_lo
	v_cmpx_lt_u64_e64 s[2:3], v[18:19]
	s_cbranch_execz .LBB372_4130
; %bb.4123:                             ;   in Loop: Header=BB372_2086 Depth=1
	v_lshrrev_b32_e32 v3, 24, v19
	v_bfrev_b32_e32 v57, 1
	s_mov_b32 s17, exec_lo
	s_delay_alu instid0(VALU_DEP_2)
	v_cmpx_ne_u32_e32 0x80, v3
	s_cbranch_execz .LBB372_4129
; %bb.4124:                             ;   in Loop: Header=BB372_2086 Depth=1
	v_bfe_u32 v81, v19, 24, 7
	v_mov_b32_e32 v57, 0x7f800001
	s_mov_b32 s18, exec_lo
	s_delay_alu instid0(VALU_DEP_2)
	v_cmpx_ne_u32_e32 0x7f, v81
	s_cbranch_execz .LBB372_4128
; %bb.4125:                             ;   in Loop: Header=BB372_2086 Depth=1
	v_and_b32_e32 v22, 7, v3
	s_mov_b32 s19, exec_lo
	s_delay_alu instid0(VALU_DEP_1)
	v_mov_b64_e32 v[18:19], v[22:23]
	v_lshrrev_b32_e32 v19, 3, v81
	v_cmpx_gt_u32_e32 8, v81
; %bb.4126:                             ;   in Loop: Header=BB372_2086 Depth=1
	v_clz_i32_u32_e32 v4, v22
	s_delay_alu instid0(VALU_DEP_1) | instskip(NEXT) | instid1(VALU_DEP_1)
	v_min_u32_e32 v4, 32, v4
	v_subrev_nc_u32_e32 v18, 28, v4
	s_delay_alu instid0(VALU_DEP_1) | instskip(NEXT) | instid1(VALU_DEP_1)
	v_lshlrev_b64_e32 v[18:19], v18, v[22:23]
	v_dual_sub_nc_u32 v19, 29, v4 :: v_dual_bitop2_b32 v18, 7, v18 bitop3:0x40
; %bb.4127:                             ;   in Loop: Header=BB372_2086 Depth=1
	s_or_b32 exec_lo, exec_lo, s19
	s_delay_alu instid0(VALU_DEP_1) | instskip(NEXT) | instid1(VALU_DEP_2)
	v_dual_lshlrev_b32 v3, 24, v3 :: v_dual_lshlrev_b32 v4, 20, v18
	v_lshl_add_u32 v18, v19, 23, 0x3c000000
	s_delay_alu instid0(VALU_DEP_2) | instskip(NEXT) | instid1(VALU_DEP_1)
	v_and_b32_e32 v3, 0x80000000, v3
	v_or3_b32 v57, v4, v3, v18
.LBB372_4128:                           ;   in Loop: Header=BB372_2086 Depth=1
	s_or_b32 exec_lo, exec_lo, s18
.LBB372_4129:                           ;   in Loop: Header=BB372_2086 Depth=1
	s_delay_alu instid0(SALU_CYCLE_1)
	s_or_b32 exec_lo, exec_lo, s17
.LBB372_4130:                           ;   in Loop: Header=BB372_2086 Depth=1
	s_delay_alu instid0(SALU_CYCLE_1)
	s_or_b32 exec_lo, exec_lo, s16
	v_fma_mixlo_bf16 v46, v86, v46, 0
	v_fma_mixlo_bf16 v47, v86, v47, 0
	v_fma_mixlo_bf16 v58, v86, v45, 0
	v_fma_mixlo_bf16 v59, v86, v83, 0
	v_fma_mixlo_bf16 v60, v86, v82, 0
	v_fma_mixlo_bf16 v2, v86, v2, 0
	v_fma_mixlo_bf16 v56, v86, v80, 0
	v_fma_mixlo_bf16 v57, v86, v57, 0
	s_and_saveexec_b32 s16, vcc_lo
	s_cbranch_execz .LBB372_4132
; %bb.4131:                             ;   in Loop: Header=BB372_2086 Depth=1
	scratch_load_b32 v3, off, s32 offset:192 ; 4-byte Folded Reload
	s_wait_loadcnt 0x0
	v_cmp_lt_i32_e64 s0, v63, v3
	s_delay_alu instid0(VALU_DEP_1) | instskip(SKIP_1) | instid1(VALU_DEP_1)
	v_cndmask_b32_e64 v2, 0, v2, s0
	v_cmp_lt_i32_e64 s0, v95, v3
	v_cndmask_b32_e64 v60, 0, v60, s0
	v_cmp_lt_i32_e64 s0, v94, v3
	s_delay_alu instid0(VALU_DEP_1) | instskip(SKIP_1) | instid1(VALU_DEP_1)
	v_cndmask_b32_e64 v59, 0, v59, s0
	v_cmp_lt_i32_e64 s0, v93, v3
	v_cndmask_b32_e64 v58, 0, v58, s0
	v_cmp_lt_i32_e64 s0, v92, v3
	s_delay_alu instid0(VALU_DEP_1) | instskip(SKIP_1) | instid1(VALU_DEP_1)
	v_cndmask_b32_e64 v47, 0, v47, s0
	v_cmp_lt_i32_e64 s0, v91, v3
	v_cndmask_b32_e64 v46, 0, v46, s0
	v_cmp_lt_i32_e64 s0, v90, v3
	s_delay_alu instid0(VALU_DEP_1) | instskip(SKIP_1) | instid1(VALU_DEP_1)
	v_cndmask_b32_e64 v56, 0, v56, s0
	v_cmp_lt_i32_e64 s0, v89, v3
	v_cndmask_b32_e64 v57, 0, v57, s0
.LBB372_4132:                           ;   in Loop: Header=BB372_2086 Depth=1
	s_wait_xcnt 0x0
	s_or_b32 exec_lo, exec_lo, s16
	scratch_load_b64 v[18:19], off, s32 offset:1540 ; 8-byte Folded Reload
	v_dual_mov_b32 v81, 0 :: v_dual_mov_b32 v82, 0
	s_mov_b32 s16, exec_lo
	s_wait_loadcnt 0x0
	v_add_nc_u64_e32 v[0:1], v[0:1], v[18:19]
	flat_load_b64 v[0:1], v[0:1]
	s_wait_loadcnt_dscnt 0x0
	v_and_b32_e32 v3, 0xff, v0
	s_wait_xcnt 0x0
	s_delay_alu instid0(VALU_DEP_1)
	v_cmpx_ne_u16_e32 0, v3
	s_cbranch_execz .LBB372_4140
; %bb.4133:                             ;   in Loop: Header=BB372_2086 Depth=1
	v_bfrev_b32_e32 v82, 1
	s_mov_b32 s17, exec_lo
	v_cmpx_ne_u16_e32 0x80, v3
	s_cbranch_execz .LBB372_4139
; %bb.4134:                             ;   in Loop: Header=BB372_2086 Depth=1
	v_and_b32_e32 v4, 0x7f, v0
	v_mov_b32_e32 v82, 0x7f800001
	s_mov_b32 s18, exec_lo
	s_delay_alu instid0(VALU_DEP_2)
	v_cmpx_ne_u32_e32 0x7f, v4
	s_cbranch_execz .LBB372_4138
; %bb.4135:                             ;   in Loop: Header=BB372_2086 Depth=1
	v_mov_b64_e32 v[18:19], v[0:1]
	v_lshrrev_b32_e32 v3, 3, v4
	s_mov_b32 s19, exec_lo
	v_cmpx_gt_u32_e32 8, v4
; %bb.4136:                             ;   in Loop: Header=BB372_2086 Depth=1
	v_and_b32_e32 v3, 7, v0
	s_delay_alu instid0(VALU_DEP_1) | instskip(NEXT) | instid1(VALU_DEP_1)
	v_clz_i32_u32_e32 v3, v3
	v_min_u32_e32 v3, 32, v3
	s_delay_alu instid0(VALU_DEP_1) | instskip(SKIP_1) | instid1(VALU_DEP_2)
	v_subrev_nc_u32_e32 v4, 28, v3
	v_sub_nc_u32_e32 v3, 29, v3
	v_lshlrev_b64_e32 v[18:19], v4, v[0:1]
; %bb.4137:                             ;   in Loop: Header=BB372_2086 Depth=1
	s_or_b32 exec_lo, exec_lo, s19
	s_delay_alu instid0(VALU_DEP_1) | instskip(NEXT) | instid1(VALU_DEP_3)
	v_dual_lshlrev_b32 v4, 20, v18 :: v_dual_lshlrev_b32 v18, 24, v0
	v_lshl_add_u32 v3, v3, 23, 0x3c000000
	s_delay_alu instid0(VALU_DEP_2) | instskip(NEXT) | instid1(VALU_DEP_3)
	v_and_b32_e32 v4, 0x700000, v4
	v_and_b32_e32 v18, 0x80000000, v18
	s_delay_alu instid0(VALU_DEP_1)
	v_or3_b32 v82, v4, v18, v3
.LBB372_4138:                           ;   in Loop: Header=BB372_2086 Depth=1
	s_or_b32 exec_lo, exec_lo, s18
.LBB372_4139:                           ;   in Loop: Header=BB372_2086 Depth=1
	s_delay_alu instid0(SALU_CYCLE_1)
	s_or_b32 exec_lo, exec_lo, s17
.LBB372_4140:                           ;   in Loop: Header=BB372_2086 Depth=1
	s_delay_alu instid0(SALU_CYCLE_1) | instskip(SKIP_2) | instid1(VALU_DEP_1)
	s_or_b32 exec_lo, exec_lo, s16
	v_lshrrev_b16 v3, 8, v0
	s_mov_b32 s16, exec_lo
	v_cmpx_ne_u16_e32 0, v3
	s_cbranch_execz .LBB372_4148
; %bb.4141:                             ;   in Loop: Header=BB372_2086 Depth=1
	v_bfrev_b32_e32 v81, 1
	s_mov_b32 s17, exec_lo
	v_cmpx_ne_u16_e32 0x80, v3
	s_cbranch_execz .LBB372_4147
; %bb.4142:                             ;   in Loop: Header=BB372_2086 Depth=1
	v_and_b32_e32 v3, 0xffff, v3
	v_mov_b32_e32 v81, 0x7f800001
	s_mov_b32 s18, exec_lo
	s_delay_alu instid0(VALU_DEP_2) | instskip(NEXT) | instid1(VALU_DEP_1)
	v_and_b32_e32 v80, 0x7f, v3
	v_cmpx_ne_u32_e32 0x7f, v80
	s_cbranch_execz .LBB372_4146
; %bb.4143:                             ;   in Loop: Header=BB372_2086 Depth=1
	v_dual_lshrrev_b32 v3, 3, v80 :: v_dual_bitop2_b32 v22, 7, v3 bitop3:0x40
	s_mov_b32 s19, exec_lo
	s_delay_alu instid0(VALU_DEP_1)
	v_mov_b64_e32 v[18:19], v[22:23]
	v_cmpx_gt_u32_e32 8, v80
; %bb.4144:                             ;   in Loop: Header=BB372_2086 Depth=1
	v_clz_i32_u32_e32 v3, v22
	s_delay_alu instid0(VALU_DEP_1) | instskip(NEXT) | instid1(VALU_DEP_1)
	v_min_u32_e32 v3, 32, v3
	v_subrev_nc_u32_e32 v4, 28, v3
	s_delay_alu instid0(VALU_DEP_1) | instskip(NEXT) | instid1(VALU_DEP_1)
	v_lshlrev_b64_e32 v[18:19], v4, v[22:23]
	v_dual_sub_nc_u32 v3, 29, v3 :: v_dual_bitop2_b32 v18, 7, v18 bitop3:0x40
; %bb.4145:                             ;   in Loop: Header=BB372_2086 Depth=1
	s_or_b32 exec_lo, exec_lo, s19
	s_delay_alu instid0(VALU_DEP_1) | instskip(NEXT) | instid1(VALU_DEP_2)
	v_dual_lshlrev_b32 v4, 16, v0 :: v_dual_lshlrev_b32 v18, 20, v18
	v_lshl_add_u32 v3, v3, 23, 0x3c000000
	s_delay_alu instid0(VALU_DEP_2) | instskip(NEXT) | instid1(VALU_DEP_1)
	v_and_b32_e32 v4, 0x80000000, v4
	v_or3_b32 v81, v18, v4, v3
.LBB372_4146:                           ;   in Loop: Header=BB372_2086 Depth=1
	s_or_b32 exec_lo, exec_lo, s18
.LBB372_4147:                           ;   in Loop: Header=BB372_2086 Depth=1
	s_delay_alu instid0(SALU_CYCLE_1)
	s_or_b32 exec_lo, exec_lo, s17
.LBB372_4148:                           ;   in Loop: Header=BB372_2086 Depth=1
	s_delay_alu instid0(SALU_CYCLE_1) | instskip(SKIP_3) | instid1(VALU_DEP_2)
	s_or_b32 exec_lo, exec_lo, s16
	v_dual_lshrrev_b32 v45, 16, v0 :: v_dual_mov_b32 v83, 0
	v_mov_b32_e32 v80, 0
	s_mov_b32 s16, exec_lo
	v_and_b32_e32 v3, 0xff, v45
	s_delay_alu instid0(VALU_DEP_1)
	v_cmpx_ne_u16_e32 0, v3
	s_cbranch_execz .LBB372_4156
; %bb.4149:                             ;   in Loop: Header=BB372_2086 Depth=1
	v_bfrev_b32_e32 v80, 1
	s_mov_b32 s17, exec_lo
	v_cmpx_ne_u16_e32 0x80, v3
	s_cbranch_execz .LBB372_4155
; %bb.4150:                             ;   in Loop: Header=BB372_2086 Depth=1
	v_bfe_u32 v61, v0, 16, 7
	v_mov_b32_e32 v80, 0x7f800001
	s_mov_b32 s18, exec_lo
	s_delay_alu instid0(VALU_DEP_2)
	v_cmpx_ne_u32_e32 0x7f, v61
	s_cbranch_execz .LBB372_4154
; %bb.4151:                             ;   in Loop: Header=BB372_2086 Depth=1
	v_and_b32_e32 v22, 7, v45
	v_lshrrev_b32_e32 v3, 3, v61
	s_mov_b32 s19, exec_lo
	s_delay_alu instid0(VALU_DEP_2)
	v_mov_b64_e32 v[18:19], v[22:23]
	v_cmpx_gt_u32_e32 8, v61
; %bb.4152:                             ;   in Loop: Header=BB372_2086 Depth=1
	v_clz_i32_u32_e32 v3, v22
	s_delay_alu instid0(VALU_DEP_1) | instskip(NEXT) | instid1(VALU_DEP_1)
	v_min_u32_e32 v3, 32, v3
	v_subrev_nc_u32_e32 v4, 28, v3
	s_delay_alu instid0(VALU_DEP_1) | instskip(NEXT) | instid1(VALU_DEP_1)
	v_lshlrev_b64_e32 v[18:19], v4, v[22:23]
	v_dual_sub_nc_u32 v3, 29, v3 :: v_dual_bitop2_b32 v18, 7, v18 bitop3:0x40
; %bb.4153:                             ;   in Loop: Header=BB372_2086 Depth=1
	s_or_b32 exec_lo, exec_lo, s19
	s_delay_alu instid0(VALU_DEP_1) | instskip(NEXT) | instid1(VALU_DEP_2)
	v_dual_lshlrev_b32 v4, 24, v45 :: v_dual_lshlrev_b32 v18, 20, v18
	v_lshl_add_u32 v3, v3, 23, 0x3c000000
	s_delay_alu instid0(VALU_DEP_2) | instskip(NEXT) | instid1(VALU_DEP_1)
	v_and_b32_e32 v4, 0x80000000, v4
	v_or3_b32 v80, v18, v4, v3
.LBB372_4154:                           ;   in Loop: Header=BB372_2086 Depth=1
	s_or_b32 exec_lo, exec_lo, s18
.LBB372_4155:                           ;   in Loop: Header=BB372_2086 Depth=1
	s_delay_alu instid0(SALU_CYCLE_1)
	s_or_b32 exec_lo, exec_lo, s17
.LBB372_4156:                           ;   in Loop: Header=BB372_2086 Depth=1
	s_delay_alu instid0(SALU_CYCLE_1) | instskip(NEXT) | instid1(SALU_CYCLE_1)
	s_or_b32 exec_lo, exec_lo, s16
	s_mov_b32 s16, exec_lo
	v_cmpx_lt_u32_e32 0xffffff, v0
	s_cbranch_execz .LBB372_4164
; %bb.4157:                             ;   in Loop: Header=BB372_2086 Depth=1
	v_lshrrev_b32_e32 v3, 24, v0
	v_bfrev_b32_e32 v83, 1
	s_mov_b32 s17, exec_lo
	s_delay_alu instid0(VALU_DEP_2)
	v_cmpx_ne_u32_e32 0x80, v3
	s_cbranch_execz .LBB372_4163
; %bb.4158:                             ;   in Loop: Header=BB372_2086 Depth=1
	v_bfe_u32 v45, v0, 24, 7
	v_mov_b32_e32 v83, 0x7f800001
	s_mov_b32 s18, exec_lo
	s_delay_alu instid0(VALU_DEP_2)
	v_cmpx_ne_u32_e32 0x7f, v45
	s_cbranch_execz .LBB372_4162
; %bb.4159:                             ;   in Loop: Header=BB372_2086 Depth=1
	v_and_b32_e32 v22, 7, v3
	s_mov_b32 s19, exec_lo
	s_delay_alu instid0(VALU_DEP_1)
	v_mov_b64_e32 v[18:19], v[22:23]
	v_lshrrev_b32_e32 v19, 3, v45
	v_cmpx_gt_u32_e32 8, v45
; %bb.4160:                             ;   in Loop: Header=BB372_2086 Depth=1
	v_clz_i32_u32_e32 v4, v22
	s_delay_alu instid0(VALU_DEP_1) | instskip(NEXT) | instid1(VALU_DEP_1)
	v_min_u32_e32 v4, 32, v4
	v_subrev_nc_u32_e32 v18, 28, v4
	s_delay_alu instid0(VALU_DEP_1) | instskip(NEXT) | instid1(VALU_DEP_1)
	v_lshlrev_b64_e32 v[18:19], v18, v[22:23]
	v_dual_sub_nc_u32 v19, 29, v4 :: v_dual_bitop2_b32 v18, 7, v18 bitop3:0x40
; %bb.4161:                             ;   in Loop: Header=BB372_2086 Depth=1
	s_or_b32 exec_lo, exec_lo, s19
	s_delay_alu instid0(VALU_DEP_1) | instskip(NEXT) | instid1(VALU_DEP_2)
	v_dual_lshlrev_b32 v3, 24, v3 :: v_dual_lshlrev_b32 v4, 20, v18
	v_lshl_add_u32 v18, v19, 23, 0x3c000000
	s_delay_alu instid0(VALU_DEP_2) | instskip(NEXT) | instid1(VALU_DEP_1)
	v_and_b32_e32 v3, 0x80000000, v3
	v_or3_b32 v83, v4, v3, v18
.LBB372_4162:                           ;   in Loop: Header=BB372_2086 Depth=1
	s_or_b32 exec_lo, exec_lo, s18
.LBB372_4163:                           ;   in Loop: Header=BB372_2086 Depth=1
	s_delay_alu instid0(SALU_CYCLE_1)
	s_or_b32 exec_lo, exec_lo, s17
.LBB372_4164:                           ;   in Loop: Header=BB372_2086 Depth=1
	s_delay_alu instid0(SALU_CYCLE_1) | instskip(SKIP_4) | instid1(VALU_DEP_3)
	s_or_b32 exec_lo, exec_lo, s16
	v_and_b32_e32 v3, 0xff, v1
	v_dual_mov_b32 v22, v1 :: v_dual_mov_b32 v61, 0
	v_mov_b32_e32 v45, 0
	s_mov_b32 s16, exec_lo
	v_cmpx_ne_u16_e32 0, v3
	s_cbranch_execz .LBB372_4172
; %bb.4165:                             ;   in Loop: Header=BB372_2086 Depth=1
	v_bfrev_b32_e32 v45, 1
	s_mov_b32 s17, exec_lo
	v_cmpx_ne_u16_e32 0x80, v3
	s_cbranch_execz .LBB372_4171
; %bb.4166:                             ;   in Loop: Header=BB372_2086 Depth=1
	v_and_b32_e32 v4, 0x7f, v1
	v_mov_b32_e32 v45, 0x7f800001
	s_mov_b32 s18, exec_lo
	s_delay_alu instid0(VALU_DEP_2)
	v_cmpx_ne_u32_e32 0x7f, v4
	s_cbranch_execz .LBB372_4170
; %bb.4167:                             ;   in Loop: Header=BB372_2086 Depth=1
	v_mov_b64_e32 v[18:19], v[22:23]
	v_lshrrev_b32_e32 v3, 3, v4
	s_mov_b32 s19, exec_lo
	v_cmpx_gt_u32_e32 8, v4
; %bb.4168:                             ;   in Loop: Header=BB372_2086 Depth=1
	v_and_b32_e32 v3, 7, v1
	s_delay_alu instid0(VALU_DEP_1) | instskip(NEXT) | instid1(VALU_DEP_1)
	v_clz_i32_u32_e32 v3, v3
	v_min_u32_e32 v3, 32, v3
	s_delay_alu instid0(VALU_DEP_1) | instskip(SKIP_1) | instid1(VALU_DEP_2)
	v_subrev_nc_u32_e32 v4, 28, v3
	v_sub_nc_u32_e32 v3, 29, v3
	v_lshlrev_b64_e32 v[18:19], v4, v[22:23]
; %bb.4169:                             ;   in Loop: Header=BB372_2086 Depth=1
	s_or_b32 exec_lo, exec_lo, s19
	s_delay_alu instid0(VALU_DEP_1) | instskip(SKIP_2) | instid1(VALU_DEP_3)
	v_lshlrev_b32_e32 v4, 20, v18
	v_lshlrev_b32_e32 v18, 24, v22
	v_lshl_add_u32 v3, v3, 23, 0x3c000000
	v_and_b32_e32 v4, 0x700000, v4
	s_delay_alu instid0(VALU_DEP_3) | instskip(NEXT) | instid1(VALU_DEP_1)
	v_and_b32_e32 v18, 0x80000000, v18
	v_or3_b32 v45, v4, v18, v3
.LBB372_4170:                           ;   in Loop: Header=BB372_2086 Depth=1
	s_or_b32 exec_lo, exec_lo, s18
.LBB372_4171:                           ;   in Loop: Header=BB372_2086 Depth=1
	s_delay_alu instid0(SALU_CYCLE_1)
	s_or_b32 exec_lo, exec_lo, s17
.LBB372_4172:                           ;   in Loop: Header=BB372_2086 Depth=1
	s_delay_alu instid0(SALU_CYCLE_1) | instskip(SKIP_2) | instid1(VALU_DEP_1)
	s_or_b32 exec_lo, exec_lo, s16
	v_lshrrev_b16 v3, 8, v22
	s_mov_b32 s16, exec_lo
	v_cmpx_ne_u16_e32 0, v3
	s_cbranch_execz .LBB372_4180
; %bb.4173:                             ;   in Loop: Header=BB372_2086 Depth=1
	v_bfrev_b32_e32 v61, 1
	s_mov_b32 s17, exec_lo
	v_cmpx_ne_u16_e32 0x80, v3
	s_cbranch_execz .LBB372_4179
; %bb.4174:                             ;   in Loop: Header=BB372_2086 Depth=1
	v_and_b32_e32 v3, 0xffff, v3
	v_mov_b32_e32 v61, 0x7f800001
	s_mov_b32 s18, exec_lo
	s_delay_alu instid0(VALU_DEP_2) | instskip(NEXT) | instid1(VALU_DEP_1)
	v_and_b32_e32 v4, 0x7f, v3
	v_cmpx_ne_u32_e32 0x7f, v4
	s_cbranch_execz .LBB372_4178
; %bb.4175:                             ;   in Loop: Header=BB372_2086 Depth=1
	v_dual_mov_b32 v19, v23 :: v_dual_bitop2_b32 v18, 7, v3 bitop3:0x40
	v_lshrrev_b32_e32 v3, 3, v4
	s_mov_b32 s19, exec_lo
	v_cmpx_gt_u32_e32 8, v4
; %bb.4176:                             ;   in Loop: Header=BB372_2086 Depth=1
	s_delay_alu instid0(VALU_DEP_3) | instskip(NEXT) | instid1(VALU_DEP_1)
	v_clz_i32_u32_e32 v3, v18
	v_min_u32_e32 v3, 32, v3
	s_delay_alu instid0(VALU_DEP_1) | instskip(NEXT) | instid1(VALU_DEP_1)
	v_subrev_nc_u32_e32 v4, 28, v3
	v_lshlrev_b64_e32 v[18:19], v4, v[18:19]
	s_delay_alu instid0(VALU_DEP_1)
	v_dual_sub_nc_u32 v3, 29, v3 :: v_dual_bitop2_b32 v18, 7, v18 bitop3:0x40
; %bb.4177:                             ;   in Loop: Header=BB372_2086 Depth=1
	s_or_b32 exec_lo, exec_lo, s19
	v_lshlrev_b32_e32 v4, 16, v22
	s_delay_alu instid0(VALU_DEP_2) | instskip(NEXT) | instid1(VALU_DEP_3)
	v_lshlrev_b32_e32 v18, 20, v18
	v_lshl_add_u32 v3, v3, 23, 0x3c000000
	s_delay_alu instid0(VALU_DEP_3) | instskip(NEXT) | instid1(VALU_DEP_1)
	v_and_b32_e32 v4, 0x80000000, v4
	v_or3_b32 v61, v18, v4, v3
.LBB372_4178:                           ;   in Loop: Header=BB372_2086 Depth=1
	s_or_b32 exec_lo, exec_lo, s18
.LBB372_4179:                           ;   in Loop: Header=BB372_2086 Depth=1
	s_delay_alu instid0(SALU_CYCLE_1)
	s_or_b32 exec_lo, exec_lo, s17
.LBB372_4180:                           ;   in Loop: Header=BB372_2086 Depth=1
	s_delay_alu instid0(SALU_CYCLE_1) | instskip(SKIP_3) | instid1(VALU_DEP_2)
	s_or_b32 exec_lo, exec_lo, s16
	v_dual_lshrrev_b32 v3, 16, v1 :: v_dual_mov_b32 v73, 0
	v_mov_b32_e32 v18, 0
	s_mov_b32 s16, exec_lo
	v_and_b32_e32 v4, 0xff, v3
	s_delay_alu instid0(VALU_DEP_1)
	v_cmpx_ne_u16_e32 0, v4
	s_cbranch_execz .LBB372_4188
; %bb.4181:                             ;   in Loop: Header=BB372_2086 Depth=1
	v_bfrev_b32_e32 v18, 1
	s_mov_b32 s17, exec_lo
	v_cmpx_ne_u16_e32 0x80, v4
	s_cbranch_execz .LBB372_4187
; %bb.4182:                             ;   in Loop: Header=BB372_2086 Depth=1
	v_bfe_u32 v4, v1, 16, 7
	v_mov_b32_e32 v18, 0x7f800001
	s_mov_b32 s18, exec_lo
	s_delay_alu instid0(VALU_DEP_2)
	v_cmpx_ne_u32_e32 0x7f, v4
	s_cbranch_execz .LBB372_4186
; %bb.4183:                             ;   in Loop: Header=BB372_2086 Depth=1
	v_and_b32_e32 v22, 7, v3
	s_mov_b32 s19, exec_lo
	s_delay_alu instid0(VALU_DEP_1)
	v_mov_b64_e32 v[18:19], v[22:23]
	v_lshrrev_b32_e32 v19, 3, v4
	v_cmpx_gt_u32_e32 8, v4
; %bb.4184:                             ;   in Loop: Header=BB372_2086 Depth=1
	v_clz_i32_u32_e32 v4, v22
	s_delay_alu instid0(VALU_DEP_1) | instskip(NEXT) | instid1(VALU_DEP_1)
	v_min_u32_e32 v4, 32, v4
	v_subrev_nc_u32_e32 v18, 28, v4
	s_delay_alu instid0(VALU_DEP_1) | instskip(NEXT) | instid1(VALU_DEP_1)
	v_lshlrev_b64_e32 v[18:19], v18, v[22:23]
	v_dual_sub_nc_u32 v19, 29, v4 :: v_dual_bitop2_b32 v18, 7, v18 bitop3:0x40
; %bb.4185:                             ;   in Loop: Header=BB372_2086 Depth=1
	s_or_b32 exec_lo, exec_lo, s19
	s_delay_alu instid0(VALU_DEP_1) | instskip(NEXT) | instid1(VALU_DEP_2)
	v_dual_lshlrev_b32 v3, 24, v3 :: v_dual_lshlrev_b32 v4, 20, v18
	v_lshl_add_u32 v18, v19, 23, 0x3c000000
	s_delay_alu instid0(VALU_DEP_2) | instskip(NEXT) | instid1(VALU_DEP_1)
	v_and_b32_e32 v3, 0x80000000, v3
	v_or3_b32 v18, v4, v3, v18
.LBB372_4186:                           ;   in Loop: Header=BB372_2086 Depth=1
	s_or_b32 exec_lo, exec_lo, s18
.LBB372_4187:                           ;   in Loop: Header=BB372_2086 Depth=1
	s_delay_alu instid0(SALU_CYCLE_1)
	s_or_b32 exec_lo, exec_lo, s17
.LBB372_4188:                           ;   in Loop: Header=BB372_2086 Depth=1
	s_delay_alu instid0(SALU_CYCLE_1) | instskip(NEXT) | instid1(SALU_CYCLE_1)
	s_or_b32 exec_lo, exec_lo, s16
	s_mov_b32 s16, exec_lo
	v_cmpx_lt_u64_e64 s[2:3], v[0:1]
	s_cbranch_execz .LBB372_4196
; %bb.4189:                             ;   in Loop: Header=BB372_2086 Depth=1
	v_lshrrev_b32_e32 v3, 24, v1
	v_bfrev_b32_e32 v73, 1
	s_mov_b32 s17, exec_lo
	s_delay_alu instid0(VALU_DEP_2)
	v_cmpx_ne_u32_e32 0x80, v3
	s_cbranch_execz .LBB372_4195
; %bb.4190:                             ;   in Loop: Header=BB372_2086 Depth=1
	v_bfe_u32 v4, v1, 24, 7
	v_mov_b32_e32 v73, 0x7f800001
	s_mov_b32 s18, exec_lo
	s_delay_alu instid0(VALU_DEP_2)
	v_cmpx_ne_u32_e32 0x7f, v4
	s_cbranch_execz .LBB372_4194
; %bb.4191:                             ;   in Loop: Header=BB372_2086 Depth=1
	v_and_b32_e32 v22, 7, v3
	s_mov_b32 s19, exec_lo
	s_delay_alu instid0(VALU_DEP_1)
	v_mov_b64_e32 v[0:1], v[22:23]
	v_lshrrev_b32_e32 v1, 3, v4
	v_cmpx_gt_u32_e32 8, v4
; %bb.4192:                             ;   in Loop: Header=BB372_2086 Depth=1
	v_clz_i32_u32_e32 v0, v22
	s_delay_alu instid0(VALU_DEP_1) | instskip(NEXT) | instid1(VALU_DEP_1)
	v_min_u32_e32 v4, 32, v0
	v_subrev_nc_u32_e32 v0, 28, v4
	s_delay_alu instid0(VALU_DEP_1) | instskip(SKIP_1) | instid1(VALU_DEP_2)
	v_lshlrev_b64_e32 v[0:1], v0, v[22:23]
	v_sub_nc_u32_e32 v1, 29, v4
	v_and_b32_e32 v0, 7, v0
; %bb.4193:                             ;   in Loop: Header=BB372_2086 Depth=1
	s_or_b32 exec_lo, exec_lo, s19
	s_delay_alu instid0(VALU_DEP_1) | instskip(NEXT) | instid1(VALU_DEP_3)
	v_dual_lshlrev_b32 v3, 24, v3 :: v_dual_lshlrev_b32 v0, 20, v0
	v_lshl_add_u32 v1, v1, 23, 0x3c000000
	s_delay_alu instid0(VALU_DEP_2) | instskip(NEXT) | instid1(VALU_DEP_1)
	v_and_b32_e32 v3, 0x80000000, v3
	v_or3_b32 v73, v0, v3, v1
.LBB372_4194:                           ;   in Loop: Header=BB372_2086 Depth=1
	s_or_b32 exec_lo, exec_lo, s18
.LBB372_4195:                           ;   in Loop: Header=BB372_2086 Depth=1
	s_delay_alu instid0(SALU_CYCLE_1)
	s_or_b32 exec_lo, exec_lo, s17
.LBB372_4196:                           ;   in Loop: Header=BB372_2086 Depth=1
	s_delay_alu instid0(SALU_CYCLE_1)
	s_or_b32 exec_lo, exec_lo, s16
	v_fma_mixlo_bf16 v1, v86, v61, 0
	v_fma_mixlo_bf16 v19, v86, v45, 0
	;; [unrolled: 1-line block ×8, first 2 shown]
	s_and_saveexec_b32 s0, vcc_lo
	s_cbranch_execz .LBB372_2085
; %bb.4197:                             ;   in Loop: Header=BB372_2086 Depth=1
	scratch_load_b32 v3, off, s32 offset:192 ; 4-byte Folded Reload
	s_wait_loadcnt 0x0
	v_cmp_lt_i32_e32 vcc_lo, v63, v3
	v_cndmask_b32_e32 v82, 0, v82, vcc_lo
	v_cmp_lt_i32_e32 vcc_lo, v95, v3
	v_cndmask_b32_e32 v81, 0, v81, vcc_lo
	;; [unrolled: 2-line block ×8, first 2 shown]
	s_branch .LBB372_2085
.LBB372_4198:
	s_or_b32 exec_lo, exec_lo, s9
	s_clause 0x1
	scratch_load_b32 v65, off, s32 offset:1548
	scratch_load_b32 v70, off, s32 offset:1556
	v_mov_b64_e32 v[0:1], s[10:11]
.LBB372_4199:
	s_wait_xcnt 0x0
	s_or_b32 exec_lo, exec_lo, s1
	s_delay_alu instid0(VALU_DEP_1)
	v_lshl_add_u64 v[0:1], v[0:1], 2, s[6:7]
	s_wait_loadcnt 0x0
	s_wait_storecnt 0x0
	s_barrier_signal -1
	s_barrier_wait -1
	global_load_b32 v64, v[0:1], off
	s_wait_xcnt 0x0
	ds_bpermute_b32 v0, v70, v54
	ds_bpermute_b32 v1, v70, v55
	;; [unrolled: 1-line block ×8, first 2 shown]
	v_mov_b32_e32 v96, v70
	ds_bpermute_b32 v8, v70, v38
	ds_bpermute_b32 v9, v70, v39
	;; [unrolled: 1-line block ×10, first 2 shown]
	s_mov_b32 s0, exec_lo
	s_wait_dscnt 0x10
	v_pk_add_f32 v[0:1], v[54:55], v[0:1]
	s_wait_dscnt 0xe
	v_pk_add_f32 v[34:35], v[34:35], v[22:23]
	ds_bpermute_b32 v22, v70, v26
	s_wait_dscnt 0xd
	v_pk_add_f32 v[10:11], v[36:37], v[10:11]
	ds_bpermute_b32 v18, v65, v0
	ds_bpermute_b32 v19, v65, v1
	;; [unrolled: 1-line block ×6, first 2 shown]
	s_wait_dscnt 0x11
	v_pk_add_f32 v[66:67], v[28:29], v[66:67]
	ds_bpermute_b32 v28, v96, v12
	ds_bpermute_b32 v29, v96, v13
	s_wait_dscnt 0xd
	v_pk_add_f32 v[82:83], v[16:17], v[82:83]
	v_pk_add_f32 v[8:9], v[38:39], v[8:9]
	ds_bpermute_b32 v38, v70, v32
	ds_bpermute_b32 v39, v70, v33
	;; [unrolled: 1-line block ×4, first 2 shown]
	v_pk_add_f32 v[2:3], v[52:53], v[2:3]
	s_wait_dscnt 0xf
	v_pk_add_f32 v[4:5], v[50:51], v[4:5]
	s_wait_dscnt 0xd
	v_pk_add_f32 v[6:7], v[48:49], v[6:7]
	ds_bpermute_b32 v54, v65, v8
	ds_bpermute_b32 v55, v65, v9
	;; [unrolled: 1-line block ×5, first 2 shown]
	s_wait_dscnt 0xd
	v_pk_add_f32 v[36:37], v[30:31], v[36:37]
	ds_bpermute_b32 v49, v65, v5
	s_wait_dscnt 0xc
	v_pk_add_f32 v[16:17], v[34:35], v[80:81]
	scratch_load_b32 v34, off, s32 offset:2272 ; 4-byte Folded Reload
	ds_bpermute_b32 v50, v65, v6
	s_wait_dscnt 0xb
	v_pk_add_f32 v[30:31], v[12:13], v[28:29]
	v_pk_add_f32 v[28:29], v[0:1], v[18:19]
	scratch_load_b32 v0, off, s32 offset:2268 ; 4-byte Folded Reload
	ds_bpermute_b32 v51, v65, v7
	s_wait_dscnt 0xa
	v_pk_add_f32 v[38:39], v[32:33], v[38:39]
	s_wait_dscnt 0x9
	v_pk_add_f32 v[98:99], v[26:27], v[22:23]
	ds_bpermute_b32 v68, v65, v10
	ds_bpermute_b32 v69, v65, v11
	;; [unrolled: 1-line block ×11, first 2 shown]
	s_wait_dscnt 0xf
	v_pk_add_f32 v[26:27], v[2:3], v[52:53]
	s_wait_dscnt 0xb
	v_pk_add_f32 v[22:23], v[6:7], v[50:51]
	s_wait_dscnt 0x9
	v_pk_add_f32 v[18:19], v[10:11], v[68:69]
	s_wait_dscnt 0x4
	v_pk_add_f32 v[10:11], v[66:67], v[100:101]
	s_wait_dscnt 0x0
	v_pk_add_f32 v[2:3], v[82:83], v[118:119]
	s_wait_loadcnt 0x1
	v_and_b32_e32 v34, 28, v34
	ds_bpermute_b32 v71, v96, v25
	ds_bpermute_b32 v32, v96, v20
	;; [unrolled: 1-line block ×6, first 2 shown]
	s_wait_loadcnt 0x0
	v_and_b32_e32 v35, 0x3c3, v0
	s_wait_dscnt 0x5
	v_pk_add_f32 v[70:71], v[24:25], v[70:71]
	v_pk_add_f32 v[24:25], v[4:5], v[48:49]
	s_wait_dscnt 0x3
	v_pk_add_f32 v[112:113], v[20:21], v[32:33]
	ds_bpermute_b32 v32, v65, v30
	s_wait_dscnt 0x2
	v_pk_add_f32 v[84:85], v[14:15], v[84:85]
	ds_bpermute_b32 v114, v65, v70
	ds_bpermute_b32 v115, v65, v71
	;; [unrolled: 1-line block ×7, first 2 shown]
	v_pk_add_f32 v[20:21], v[8:9], v[54:55]
	v_pk_add_f32 v[14:15], v[38:39], v[86:87]
	s_wait_dscnt 0x8
	v_pk_add_f32 v[12:13], v[36:37], v[96:97]
	v_pk_add_f32 v[8:9], v[98:99], v[102:103]
	s_wait_dscnt 0x5
	v_pk_add_f32 v[6:7], v[70:71], v[114:115]
	s_wait_dscnt 0x3
	;; [unrolled: 2-line block ×3, first 2 shown]
	v_pk_add_f32 v[0:1], v[84:85], v[40:41]
	v_cmpx_ne_u32_e32 64, v35
	s_xor_b32 s0, exec_lo, s0
	s_delay_alu instid0(SALU_CYCLE_1)
	s_or_saveexec_b32 s0, s0
	s_wait_dscnt 0x0
	v_pk_add_f32 v[30:31], v[30:31], v[32:33]
	scratch_load_b32 v32, off, s32 offset:2272 th:TH_LOAD_LU ; 4-byte Folded Reload
	v_add_nc_u32_e32 v33, v64, v34
	scratch_load_b32 v34, off, s32 offset:2276 th:TH_LOAD_LU ; 4-byte Folded Reload
	s_wait_loadcnt 0x0
	v_dual_lshrrev_b32 v32, 2, v32 :: v_dual_lshlrev_b32 v34, 10, v34
	s_xor_b32 exec_lo, exec_lo, s0
	s_cbranch_execz .LBB372_4201
; %bb.4200:
	s_delay_alu instid0(VALU_DEP_1) | instskip(NEXT) | instid1(VALU_DEP_1)
	v_add_nc_u32_e32 v35, v33, v34
	v_add_nc_u32_e32 v36, 0xfffff800, v35
	;; [unrolled: 1-line block ×9, first 2 shown]
	ds_store_b32 v36, v28
	ds_store_b32 v37, v29
	ds_store_b32 v38, v26
	ds_store_b32 v39, v27
	ds_store_b32 v48, v24
	ds_store_b32 v49, v25
	ds_store_b32 v50, v22
	ds_store_b32 v51, v23
	v_add_nc_u32_e32 v36, 0xfffff900, v35
	v_add_nc_u32_e32 v37, 0xfffff920, v35
	v_add_nc_u32_e32 v38, 0xfffff940, v35
	v_add_nc_u32_e32 v39, 0xfffff960, v35
	v_add_nc_u32_e32 v48, 0xfffff980, v35
	v_add_nc_u32_e32 v49, 0xfffff9a0, v35
	v_add_nc_u32_e32 v50, 0xfffff9c0, v35
	v_add_nc_u32_e32 v51, 0xfffff9e0, v35
	ds_store_b32 v36, v20
	ds_store_b32 v37, v21
	ds_store_b32 v38, v18
	ds_store_b32 v39, v19
	ds_store_b32 v48, v16
	ds_store_b32 v49, v17
	ds_store_b32 v50, v14
	ds_store_b32 v51, v15
	v_add_nc_u32_e32 v36, 0xfffffa00, v35
	v_add_nc_u32_e32 v37, 0xfffffa20, v35
	v_add_nc_u32_e32 v38, 0xfffffa40, v35
	v_add_nc_u32_e32 v39, 0xfffffa60, v35
	v_add_nc_u32_e32 v48, 0xfffffa80, v35
	v_add_nc_u32_e32 v49, 0xfffffaa0, v35
	v_add_nc_u32_e32 v50, 0xfffffac0, v35
	v_add_nc_u32_e32 v51, 0xfffffae0, v35
	;; [unrolled: 16-line block ×3, first 2 shown]
	ds_store_b32 v36, v4
	ds_store_b32 v37, v5
	;; [unrolled: 1-line block ×8, first 2 shown]
.LBB372_4201:
	s_or_b32 exec_lo, exec_lo, s0
	scratch_load_b32 v36, off, s32 offset:2268 ; 4-byte Folded Reload
	v_lshlrev_b32_e32 v32, 2, v32
	s_mov_b32 s1, exec_lo
	s_wait_loadcnt_dscnt 0x0
	s_barrier_signal -1
	s_barrier_wait -1
	v_add3_u32 v32, v64, v34, v32
	v_and_b32_e32 v35, 3, v36
	s_delay_alu instid0(VALU_DEP_1)
	v_cmp_eq_u32_e32 vcc_lo, 0, v35
	v_cmpx_gt_u32_e32 64, v36
	s_cbranch_execz .LBB372_4236
; %bb.4202:
	s_and_saveexec_b32 s0, vcc_lo
	s_cbranch_execnz .LBB372_4276
; %bb.4203:
	s_or_b32 exec_lo, exec_lo, s0
	s_and_saveexec_b32 s0, vcc_lo
	s_cbranch_execnz .LBB372_4277
.LBB372_4204:
	s_or_b32 exec_lo, exec_lo, s0
	s_and_saveexec_b32 s0, vcc_lo
	s_cbranch_execnz .LBB372_4278
.LBB372_4205:
	s_or_b32 exec_lo, exec_lo, s0
	s_and_saveexec_b32 s0, vcc_lo
	s_cbranch_execnz .LBB372_4279
.LBB372_4206:
	s_or_b32 exec_lo, exec_lo, s0
	s_and_saveexec_b32 s0, vcc_lo
	s_cbranch_execnz .LBB372_4280
.LBB372_4207:
	s_or_b32 exec_lo, exec_lo, s0
	s_and_saveexec_b32 s0, vcc_lo
	s_cbranch_execnz .LBB372_4281
.LBB372_4208:
	s_or_b32 exec_lo, exec_lo, s0
	s_and_saveexec_b32 s0, vcc_lo
	s_cbranch_execnz .LBB372_4282
.LBB372_4209:
	s_or_b32 exec_lo, exec_lo, s0
	s_and_saveexec_b32 s0, vcc_lo
	s_cbranch_execnz .LBB372_4283
.LBB372_4210:
	s_or_b32 exec_lo, exec_lo, s0
	s_and_saveexec_b32 s0, vcc_lo
	s_cbranch_execnz .LBB372_4284
.LBB372_4211:
	s_or_b32 exec_lo, exec_lo, s0
	s_and_saveexec_b32 s0, vcc_lo
	s_cbranch_execnz .LBB372_4285
.LBB372_4212:
	s_or_b32 exec_lo, exec_lo, s0
	s_and_saveexec_b32 s0, vcc_lo
	s_cbranch_execnz .LBB372_4286
.LBB372_4213:
	s_or_b32 exec_lo, exec_lo, s0
	s_and_saveexec_b32 s0, vcc_lo
	s_cbranch_execnz .LBB372_4287
.LBB372_4214:
	s_or_b32 exec_lo, exec_lo, s0
	s_and_saveexec_b32 s0, vcc_lo
	s_cbranch_execnz .LBB372_4288
.LBB372_4215:
	s_or_b32 exec_lo, exec_lo, s0
	s_and_saveexec_b32 s0, vcc_lo
	s_cbranch_execnz .LBB372_4289
.LBB372_4216:
	s_or_b32 exec_lo, exec_lo, s0
	s_and_saveexec_b32 s0, vcc_lo
	s_cbranch_execnz .LBB372_4290
.LBB372_4217:
	s_or_b32 exec_lo, exec_lo, s0
	s_and_saveexec_b32 s0, vcc_lo
	s_cbranch_execnz .LBB372_4291
.LBB372_4218:
	s_or_b32 exec_lo, exec_lo, s0
	s_and_saveexec_b32 s0, vcc_lo
	s_cbranch_execnz .LBB372_4292
.LBB372_4219:
	s_or_b32 exec_lo, exec_lo, s0
	s_and_saveexec_b32 s0, vcc_lo
	s_cbranch_execnz .LBB372_4293
.LBB372_4220:
	s_or_b32 exec_lo, exec_lo, s0
	s_and_saveexec_b32 s0, vcc_lo
	s_cbranch_execnz .LBB372_4294
.LBB372_4221:
	s_or_b32 exec_lo, exec_lo, s0
	s_and_saveexec_b32 s0, vcc_lo
	s_cbranch_execnz .LBB372_4295
.LBB372_4222:
	s_or_b32 exec_lo, exec_lo, s0
	s_and_saveexec_b32 s0, vcc_lo
	s_cbranch_execnz .LBB372_4296
.LBB372_4223:
	s_or_b32 exec_lo, exec_lo, s0
	s_and_saveexec_b32 s0, vcc_lo
	s_cbranch_execnz .LBB372_4297
.LBB372_4224:
	s_or_b32 exec_lo, exec_lo, s0
	s_and_saveexec_b32 s0, vcc_lo
	s_cbranch_execnz .LBB372_4298
.LBB372_4225:
	s_or_b32 exec_lo, exec_lo, s0
	s_and_saveexec_b32 s0, vcc_lo
	s_cbranch_execnz .LBB372_4299
.LBB372_4226:
	s_or_b32 exec_lo, exec_lo, s0
	s_and_saveexec_b32 s0, vcc_lo
	s_cbranch_execnz .LBB372_4300
.LBB372_4227:
	s_or_b32 exec_lo, exec_lo, s0
	s_and_saveexec_b32 s0, vcc_lo
	s_cbranch_execnz .LBB372_4301
.LBB372_4228:
	s_or_b32 exec_lo, exec_lo, s0
	s_and_saveexec_b32 s0, vcc_lo
	s_cbranch_execnz .LBB372_4302
.LBB372_4229:
	s_or_b32 exec_lo, exec_lo, s0
	s_and_saveexec_b32 s0, vcc_lo
	s_cbranch_execnz .LBB372_4303
.LBB372_4230:
	s_or_b32 exec_lo, exec_lo, s0
	s_and_saveexec_b32 s0, vcc_lo
	s_cbranch_execnz .LBB372_4304
.LBB372_4231:
	s_or_b32 exec_lo, exec_lo, s0
	s_and_saveexec_b32 s0, vcc_lo
	s_cbranch_execnz .LBB372_4305
.LBB372_4232:
	s_or_b32 exec_lo, exec_lo, s0
	s_and_saveexec_b32 s0, vcc_lo
	s_cbranch_execnz .LBB372_4306
.LBB372_4233:
	s_or_b32 exec_lo, exec_lo, s0
	s_and_saveexec_b32 s0, vcc_lo
	s_cbranch_execz .LBB372_4235
.LBB372_4234:
	ds_load_b32 v34, v32 offset:992
	s_wait_dscnt 0x0
	v_add_f32_e32 v31, v34, v31
.LBB372_4235:
	s_or_b32 exec_lo, exec_lo, s0
.LBB372_4236:
	s_delay_alu instid0(SALU_CYCLE_1)
	s_or_b32 exec_lo, exec_lo, s1
	scratch_load_b32 v34, off, s32 offset:2268 ; 4-byte Folded Reload
	s_mov_b32 s1, exec_lo
	s_wait_loadcnt 0x0
	s_barrier_signal -1
	s_barrier_wait -1
	v_and_b32_e32 v34, 0x3e3, v34
	s_wait_xcnt 0x0
	s_delay_alu instid0(VALU_DEP_1)
	v_cmpx_eq_u32_e32 32, v34
	s_cbranch_execz .LBB372_4238
; %bb.4237:
	ds_store_2addr_b32 v33, v28, v29 offset1:8
	ds_store_2addr_b32 v33, v26, v27 offset0:16 offset1:24
	ds_store_2addr_b32 v33, v24, v25 offset0:32 offset1:40
	;; [unrolled: 1-line block ×15, first 2 shown]
.LBB372_4238:
	s_or_b32 exec_lo, exec_lo, s1
	scratch_load_b32 v33, off, s32 offset:2268 ; 4-byte Folded Reload
	s_mov_b32 s1, exec_lo
	s_wait_loadcnt_dscnt 0x0
	s_barrier_signal -1
	s_barrier_wait -1
	v_cmpx_gt_u32_e32 32, v33
	s_cbranch_execz .LBB372_4273
; %bb.4239:
	s_and_saveexec_b32 s0, vcc_lo
	s_cbranch_execnz .LBB372_4307
; %bb.4240:
	s_or_b32 exec_lo, exec_lo, s0
	s_and_saveexec_b32 s0, vcc_lo
	s_cbranch_execnz .LBB372_4308
.LBB372_4241:
	s_or_b32 exec_lo, exec_lo, s0
	s_and_saveexec_b32 s0, vcc_lo
	s_cbranch_execnz .LBB372_4309
.LBB372_4242:
	s_or_b32 exec_lo, exec_lo, s0
	s_and_saveexec_b32 s0, vcc_lo
	s_cbranch_execnz .LBB372_4310
.LBB372_4243:
	s_or_b32 exec_lo, exec_lo, s0
	s_and_saveexec_b32 s0, vcc_lo
	s_cbranch_execnz .LBB372_4311
.LBB372_4244:
	s_or_b32 exec_lo, exec_lo, s0
	s_and_saveexec_b32 s0, vcc_lo
	s_cbranch_execnz .LBB372_4312
.LBB372_4245:
	s_or_b32 exec_lo, exec_lo, s0
	s_and_saveexec_b32 s0, vcc_lo
	s_cbranch_execnz .LBB372_4313
.LBB372_4246:
	s_or_b32 exec_lo, exec_lo, s0
	s_and_saveexec_b32 s0, vcc_lo
	s_cbranch_execnz .LBB372_4314
.LBB372_4247:
	s_or_b32 exec_lo, exec_lo, s0
	s_and_saveexec_b32 s0, vcc_lo
	s_cbranch_execnz .LBB372_4315
.LBB372_4248:
	s_or_b32 exec_lo, exec_lo, s0
	s_and_saveexec_b32 s0, vcc_lo
	s_cbranch_execnz .LBB372_4316
.LBB372_4249:
	s_or_b32 exec_lo, exec_lo, s0
	s_and_saveexec_b32 s0, vcc_lo
	s_cbranch_execnz .LBB372_4317
.LBB372_4250:
	s_or_b32 exec_lo, exec_lo, s0
	s_and_saveexec_b32 s0, vcc_lo
	s_cbranch_execnz .LBB372_4318
.LBB372_4251:
	s_or_b32 exec_lo, exec_lo, s0
	s_and_saveexec_b32 s0, vcc_lo
	s_cbranch_execnz .LBB372_4319
.LBB372_4252:
	s_or_b32 exec_lo, exec_lo, s0
	s_and_saveexec_b32 s0, vcc_lo
	s_cbranch_execnz .LBB372_4320
.LBB372_4253:
	s_or_b32 exec_lo, exec_lo, s0
	s_and_saveexec_b32 s0, vcc_lo
	s_cbranch_execnz .LBB372_4321
.LBB372_4254:
	s_or_b32 exec_lo, exec_lo, s0
	s_and_saveexec_b32 s0, vcc_lo
	s_cbranch_execnz .LBB372_4322
.LBB372_4255:
	s_or_b32 exec_lo, exec_lo, s0
	s_and_saveexec_b32 s0, vcc_lo
	s_cbranch_execnz .LBB372_4323
.LBB372_4256:
	s_or_b32 exec_lo, exec_lo, s0
	s_and_saveexec_b32 s0, vcc_lo
	s_cbranch_execnz .LBB372_4324
.LBB372_4257:
	s_or_b32 exec_lo, exec_lo, s0
	s_and_saveexec_b32 s0, vcc_lo
	s_cbranch_execnz .LBB372_4325
.LBB372_4258:
	s_or_b32 exec_lo, exec_lo, s0
	s_and_saveexec_b32 s0, vcc_lo
	s_cbranch_execnz .LBB372_4326
.LBB372_4259:
	s_or_b32 exec_lo, exec_lo, s0
	s_and_saveexec_b32 s0, vcc_lo
	s_cbranch_execnz .LBB372_4327
.LBB372_4260:
	s_or_b32 exec_lo, exec_lo, s0
	s_and_saveexec_b32 s0, vcc_lo
	s_cbranch_execnz .LBB372_4328
.LBB372_4261:
	s_or_b32 exec_lo, exec_lo, s0
	s_and_saveexec_b32 s0, vcc_lo
	s_cbranch_execnz .LBB372_4329
.LBB372_4262:
	s_or_b32 exec_lo, exec_lo, s0
	s_and_saveexec_b32 s0, vcc_lo
	s_cbranch_execnz .LBB372_4330
.LBB372_4263:
	s_or_b32 exec_lo, exec_lo, s0
	s_and_saveexec_b32 s0, vcc_lo
	s_cbranch_execnz .LBB372_4331
.LBB372_4264:
	s_or_b32 exec_lo, exec_lo, s0
	s_and_saveexec_b32 s0, vcc_lo
	s_cbranch_execnz .LBB372_4332
.LBB372_4265:
	s_or_b32 exec_lo, exec_lo, s0
	s_and_saveexec_b32 s0, vcc_lo
	s_cbranch_execnz .LBB372_4333
.LBB372_4266:
	s_or_b32 exec_lo, exec_lo, s0
	s_and_saveexec_b32 s0, vcc_lo
	s_cbranch_execnz .LBB372_4334
.LBB372_4267:
	s_or_b32 exec_lo, exec_lo, s0
	s_and_saveexec_b32 s0, vcc_lo
	s_cbranch_execnz .LBB372_4335
.LBB372_4268:
	s_or_b32 exec_lo, exec_lo, s0
	s_and_saveexec_b32 s0, vcc_lo
	s_cbranch_execnz .LBB372_4336
.LBB372_4269:
	s_or_b32 exec_lo, exec_lo, s0
	s_and_saveexec_b32 s0, vcc_lo
	s_cbranch_execnz .LBB372_4337
.LBB372_4270:
	s_or_b32 exec_lo, exec_lo, s0
	s_and_saveexec_b32 s0, vcc_lo
	s_cbranch_execz .LBB372_4272
.LBB372_4271:
	ds_load_b32 v32, v32 offset:992
	s_wait_dscnt 0x0
	v_add_f32_e32 v31, v32, v31
.LBB372_4272:
	s_or_b32 exec_lo, exec_lo, s0
.LBB372_4273:
	s_delay_alu instid0(SALU_CYCLE_1)
	s_or_b32 exec_lo, exec_lo, s1
	s_mov_b32 s1, 0
	s_mov_b32 s2, exec_lo
	s_barrier_signal -1
	s_barrier_wait -1
	v_cmpx_eq_u32_e32 0, v34
	s_cbranch_execz .LBB372_4275
; %bb.4274:
	s_clause 0x1
	scratch_load_b64 v[32:33], off, s32 offset:2304 th:TH_LOAD_LU
	scratch_load_b32 v34, off, s32 offset:2268 th:TH_LOAD_LU
	s_and_b32 s0, 0xffff, s15
	v_mov_b32_e32 v35, 0
	s_cmp_lg_u32 s0, 0
	s_cselect_b32 s0, -1, 0
	s_delay_alu instid0(SALU_CYCLE_1)
	s_cmp_lg_u32 s0, 0
	s_wait_kmcnt 0x0
	s_add_co_ci_u32 s0, s5, 0
	s_bfe_u32 s8, ttmp6, 0x40014
	s_mul_i32 s5, s13, s0
	s_lshr_b32 s3, ttmp7, 16
	s_mul_i32 s5, s5, s14
	s_add_co_i32 s8, s8, 1
	s_lshl_b32 s6, s5, 8
	s_bfe_u32 s9, ttmp6, 0x40008
	s_ashr_i32 s7, s6, 31
	s_mul_i32 s4, s4, s0
	s_mul_i32 s0, s3, s8
	s_ashr_i32 s5, s4, 31
	s_add_co_i32 s9, s9, s0
	s_cmp_eq_u32 s12, 0
	s_cselect_b32 s0, s3, s9
	s_delay_alu instid0(SALU_CYCLE_1) | instskip(NEXT) | instid1(SALU_CYCLE_1)
	s_lshl_b32 s0, s0, 9
	v_cvt_pk_bf16_f32 v36, v28, s0
	v_cvt_pk_bf16_f32 v37, v29, s0
	;; [unrolled: 1-line block ×30, first 2 shown]
	s_wait_loadcnt 0x1
	v_lshl_add_u64 v[32:33], s[6:7], 1, v[32:33]
	s_wait_loadcnt 0x0
	v_lshrrev_b32_e32 v34, 1, v34
	s_delay_alu instid0(VALU_DEP_2) | instskip(NEXT) | instid1(VALU_DEP_1)
	v_lshl_add_u64 v[32:33], s[4:5], 1, v[32:33]
	v_add_nc_u64_e32 v[32:33], s[0:1], v[32:33]
	s_delay_alu instid0(VALU_DEP_1)
	v_add_nc_u64_e32 v[28:29], v[32:33], v[34:35]
	s_clause 0x17
	flat_store_b16 v[28:29], v36
	flat_store_b16 v[28:29], v37 offset:16
	flat_store_b16 v[28:29], v26 offset:32
	;; [unrolled: 1-line block ×23, first 2 shown]
	s_wait_xcnt 0x1
	v_cvt_pk_bf16_f32 v6, v30, s0
	s_wait_xcnt 0x0
	v_cvt_pk_bf16_f32 v7, v31, s0
	s_clause 0x7
	flat_store_b16 v[28:29], v4 offset:384
	flat_store_b16 v[28:29], v5 offset:400
	;; [unrolled: 1-line block ×8, first 2 shown]
.LBB372_4275:
	s_wait_xcnt 0x0
	s_or_b32 exec_lo, exec_lo, s2
	s_clause 0x2f
	scratch_load_b32 v127, off, s32
	scratch_load_b32 v126, off, s32 offset:4
	scratch_load_b32 v125, off, s32 offset:8
	;; [unrolled: 1-line block ×47, first 2 shown]
	s_wait_loadcnt_dscnt 0x0
	s_wait_kmcnt 0x0
	s_set_pc_i64 s[30:31]
.LBB372_4276:
	ds_load_b32 v34, v32
	s_wait_dscnt 0x0
	v_add_f32_e32 v28, v34, v28
	s_or_b32 exec_lo, exec_lo, s0
	s_and_saveexec_b32 s0, vcc_lo
	s_cbranch_execz .LBB372_4204
.LBB372_4277:
	ds_load_b32 v34, v32 offset:32
	s_wait_dscnt 0x0
	v_add_f32_e32 v29, v34, v29
	s_or_b32 exec_lo, exec_lo, s0
	s_and_saveexec_b32 s0, vcc_lo
	s_cbranch_execz .LBB372_4205
.LBB372_4278:
	ds_load_b32 v34, v32 offset:64
	s_wait_dscnt 0x0
	v_add_f32_e32 v26, v34, v26
	s_or_b32 exec_lo, exec_lo, s0
	s_and_saveexec_b32 s0, vcc_lo
	s_cbranch_execz .LBB372_4206
.LBB372_4279:
	ds_load_b32 v34, v32 offset:96
	s_wait_dscnt 0x0
	v_add_f32_e32 v27, v34, v27
	s_or_b32 exec_lo, exec_lo, s0
	s_and_saveexec_b32 s0, vcc_lo
	s_cbranch_execz .LBB372_4207
.LBB372_4280:
	ds_load_b32 v34, v32 offset:128
	s_wait_dscnt 0x0
	v_add_f32_e32 v24, v34, v24
	s_or_b32 exec_lo, exec_lo, s0
	s_and_saveexec_b32 s0, vcc_lo
	s_cbranch_execz .LBB372_4208
.LBB372_4281:
	ds_load_b32 v34, v32 offset:160
	s_wait_dscnt 0x0
	v_add_f32_e32 v25, v34, v25
	s_or_b32 exec_lo, exec_lo, s0
	s_and_saveexec_b32 s0, vcc_lo
	s_cbranch_execz .LBB372_4209
.LBB372_4282:
	ds_load_b32 v34, v32 offset:192
	s_wait_dscnt 0x0
	v_add_f32_e32 v22, v34, v22
	s_or_b32 exec_lo, exec_lo, s0
	s_and_saveexec_b32 s0, vcc_lo
	s_cbranch_execz .LBB372_4210
.LBB372_4283:
	ds_load_b32 v34, v32 offset:224
	s_wait_dscnt 0x0
	v_add_f32_e32 v23, v34, v23
	s_or_b32 exec_lo, exec_lo, s0
	s_and_saveexec_b32 s0, vcc_lo
	s_cbranch_execz .LBB372_4211
.LBB372_4284:
	ds_load_b32 v34, v32 offset:256
	s_wait_dscnt 0x0
	v_add_f32_e32 v20, v34, v20
	s_or_b32 exec_lo, exec_lo, s0
	s_and_saveexec_b32 s0, vcc_lo
	s_cbranch_execz .LBB372_4212
.LBB372_4285:
	ds_load_b32 v34, v32 offset:288
	s_wait_dscnt 0x0
	v_add_f32_e32 v21, v34, v21
	s_or_b32 exec_lo, exec_lo, s0
	s_and_saveexec_b32 s0, vcc_lo
	s_cbranch_execz .LBB372_4213
.LBB372_4286:
	ds_load_b32 v34, v32 offset:320
	s_wait_dscnt 0x0
	v_add_f32_e32 v18, v34, v18
	s_or_b32 exec_lo, exec_lo, s0
	s_and_saveexec_b32 s0, vcc_lo
	s_cbranch_execz .LBB372_4214
.LBB372_4287:
	ds_load_b32 v34, v32 offset:352
	s_wait_dscnt 0x0
	v_add_f32_e32 v19, v34, v19
	s_or_b32 exec_lo, exec_lo, s0
	s_and_saveexec_b32 s0, vcc_lo
	s_cbranch_execz .LBB372_4215
.LBB372_4288:
	ds_load_b32 v34, v32 offset:384
	s_wait_dscnt 0x0
	v_add_f32_e32 v16, v34, v16
	s_or_b32 exec_lo, exec_lo, s0
	s_and_saveexec_b32 s0, vcc_lo
	s_cbranch_execz .LBB372_4216
.LBB372_4289:
	ds_load_b32 v34, v32 offset:416
	s_wait_dscnt 0x0
	v_add_f32_e32 v17, v34, v17
	s_or_b32 exec_lo, exec_lo, s0
	s_and_saveexec_b32 s0, vcc_lo
	s_cbranch_execz .LBB372_4217
.LBB372_4290:
	ds_load_b32 v34, v32 offset:448
	s_wait_dscnt 0x0
	v_add_f32_e32 v14, v34, v14
	s_or_b32 exec_lo, exec_lo, s0
	s_and_saveexec_b32 s0, vcc_lo
	s_cbranch_execz .LBB372_4218
.LBB372_4291:
	ds_load_b32 v34, v32 offset:480
	s_wait_dscnt 0x0
	v_add_f32_e32 v15, v34, v15
	s_or_b32 exec_lo, exec_lo, s0
	s_and_saveexec_b32 s0, vcc_lo
	s_cbranch_execz .LBB372_4219
.LBB372_4292:
	ds_load_b32 v34, v32 offset:512
	s_wait_dscnt 0x0
	v_add_f32_e32 v12, v34, v12
	s_or_b32 exec_lo, exec_lo, s0
	s_and_saveexec_b32 s0, vcc_lo
	s_cbranch_execz .LBB372_4220
.LBB372_4293:
	ds_load_b32 v34, v32 offset:544
	s_wait_dscnt 0x0
	v_add_f32_e32 v13, v34, v13
	s_or_b32 exec_lo, exec_lo, s0
	s_and_saveexec_b32 s0, vcc_lo
	s_cbranch_execz .LBB372_4221
.LBB372_4294:
	ds_load_b32 v34, v32 offset:576
	s_wait_dscnt 0x0
	v_add_f32_e32 v10, v34, v10
	s_or_b32 exec_lo, exec_lo, s0
	s_and_saveexec_b32 s0, vcc_lo
	s_cbranch_execz .LBB372_4222
.LBB372_4295:
	ds_load_b32 v34, v32 offset:608
	s_wait_dscnt 0x0
	v_add_f32_e32 v11, v34, v11
	s_or_b32 exec_lo, exec_lo, s0
	s_and_saveexec_b32 s0, vcc_lo
	s_cbranch_execz .LBB372_4223
.LBB372_4296:
	ds_load_b32 v34, v32 offset:640
	s_wait_dscnt 0x0
	v_add_f32_e32 v8, v34, v8
	s_or_b32 exec_lo, exec_lo, s0
	s_and_saveexec_b32 s0, vcc_lo
	s_cbranch_execz .LBB372_4224
.LBB372_4297:
	ds_load_b32 v34, v32 offset:672
	s_wait_dscnt 0x0
	v_add_f32_e32 v9, v34, v9
	s_or_b32 exec_lo, exec_lo, s0
	s_and_saveexec_b32 s0, vcc_lo
	s_cbranch_execz .LBB372_4225
.LBB372_4298:
	ds_load_b32 v34, v32 offset:704
	s_wait_dscnt 0x0
	v_add_f32_e32 v6, v34, v6
	s_or_b32 exec_lo, exec_lo, s0
	s_and_saveexec_b32 s0, vcc_lo
	s_cbranch_execz .LBB372_4226
.LBB372_4299:
	ds_load_b32 v34, v32 offset:736
	s_wait_dscnt 0x0
	v_add_f32_e32 v7, v34, v7
	s_or_b32 exec_lo, exec_lo, s0
	s_and_saveexec_b32 s0, vcc_lo
	s_cbranch_execz .LBB372_4227
.LBB372_4300:
	ds_load_b32 v34, v32 offset:768
	s_wait_dscnt 0x0
	v_add_f32_e32 v4, v34, v4
	s_or_b32 exec_lo, exec_lo, s0
	s_and_saveexec_b32 s0, vcc_lo
	s_cbranch_execz .LBB372_4228
.LBB372_4301:
	ds_load_b32 v34, v32 offset:800
	s_wait_dscnt 0x0
	v_add_f32_e32 v5, v34, v5
	s_or_b32 exec_lo, exec_lo, s0
	s_and_saveexec_b32 s0, vcc_lo
	s_cbranch_execz .LBB372_4229
.LBB372_4302:
	ds_load_b32 v34, v32 offset:832
	s_wait_dscnt 0x0
	v_add_f32_e32 v2, v34, v2
	s_or_b32 exec_lo, exec_lo, s0
	s_and_saveexec_b32 s0, vcc_lo
	s_cbranch_execz .LBB372_4230
.LBB372_4303:
	ds_load_b32 v34, v32 offset:864
	s_wait_dscnt 0x0
	v_add_f32_e32 v3, v34, v3
	s_or_b32 exec_lo, exec_lo, s0
	s_and_saveexec_b32 s0, vcc_lo
	s_cbranch_execz .LBB372_4231
.LBB372_4304:
	ds_load_b32 v34, v32 offset:896
	s_wait_dscnt 0x0
	v_add_f32_e32 v0, v34, v0
	s_or_b32 exec_lo, exec_lo, s0
	s_and_saveexec_b32 s0, vcc_lo
	s_cbranch_execz .LBB372_4232
.LBB372_4305:
	ds_load_b32 v34, v32 offset:928
	s_wait_dscnt 0x0
	v_add_f32_e32 v1, v34, v1
	s_or_b32 exec_lo, exec_lo, s0
	s_and_saveexec_b32 s0, vcc_lo
	s_cbranch_execz .LBB372_4233
.LBB372_4306:
	ds_load_b32 v34, v32 offset:960
	s_wait_dscnt 0x0
	v_add_f32_e32 v30, v34, v30
	s_or_b32 exec_lo, exec_lo, s0
	s_and_saveexec_b32 s0, vcc_lo
	s_cbranch_execnz .LBB372_4234
	s_branch .LBB372_4235
.LBB372_4307:
	ds_load_b32 v33, v32
	s_wait_dscnt 0x0
	v_add_f32_e32 v28, v33, v28
	s_or_b32 exec_lo, exec_lo, s0
	s_and_saveexec_b32 s0, vcc_lo
	s_cbranch_execz .LBB372_4241
.LBB372_4308:
	ds_load_b32 v33, v32 offset:32
	s_wait_dscnt 0x0
	v_add_f32_e32 v29, v33, v29
	s_or_b32 exec_lo, exec_lo, s0
	s_and_saveexec_b32 s0, vcc_lo
	s_cbranch_execz .LBB372_4242
.LBB372_4309:
	ds_load_b32 v33, v32 offset:64
	s_wait_dscnt 0x0
	v_add_f32_e32 v26, v33, v26
	s_or_b32 exec_lo, exec_lo, s0
	s_and_saveexec_b32 s0, vcc_lo
	s_cbranch_execz .LBB372_4243
.LBB372_4310:
	ds_load_b32 v33, v32 offset:96
	s_wait_dscnt 0x0
	v_add_f32_e32 v27, v33, v27
	s_or_b32 exec_lo, exec_lo, s0
	s_and_saveexec_b32 s0, vcc_lo
	s_cbranch_execz .LBB372_4244
.LBB372_4311:
	ds_load_b32 v33, v32 offset:128
	s_wait_dscnt 0x0
	v_add_f32_e32 v24, v33, v24
	s_or_b32 exec_lo, exec_lo, s0
	s_and_saveexec_b32 s0, vcc_lo
	s_cbranch_execz .LBB372_4245
.LBB372_4312:
	ds_load_b32 v33, v32 offset:160
	s_wait_dscnt 0x0
	v_add_f32_e32 v25, v33, v25
	s_or_b32 exec_lo, exec_lo, s0
	s_and_saveexec_b32 s0, vcc_lo
	s_cbranch_execz .LBB372_4246
.LBB372_4313:
	ds_load_b32 v33, v32 offset:192
	s_wait_dscnt 0x0
	v_add_f32_e32 v22, v33, v22
	s_or_b32 exec_lo, exec_lo, s0
	s_and_saveexec_b32 s0, vcc_lo
	s_cbranch_execz .LBB372_4247
.LBB372_4314:
	ds_load_b32 v33, v32 offset:224
	s_wait_dscnt 0x0
	v_add_f32_e32 v23, v33, v23
	s_or_b32 exec_lo, exec_lo, s0
	s_and_saveexec_b32 s0, vcc_lo
	s_cbranch_execz .LBB372_4248
.LBB372_4315:
	ds_load_b32 v33, v32 offset:256
	s_wait_dscnt 0x0
	v_add_f32_e32 v20, v33, v20
	s_or_b32 exec_lo, exec_lo, s0
	s_and_saveexec_b32 s0, vcc_lo
	s_cbranch_execz .LBB372_4249
.LBB372_4316:
	ds_load_b32 v33, v32 offset:288
	s_wait_dscnt 0x0
	v_add_f32_e32 v21, v33, v21
	s_or_b32 exec_lo, exec_lo, s0
	s_and_saveexec_b32 s0, vcc_lo
	s_cbranch_execz .LBB372_4250
.LBB372_4317:
	ds_load_b32 v33, v32 offset:320
	s_wait_dscnt 0x0
	v_add_f32_e32 v18, v33, v18
	s_or_b32 exec_lo, exec_lo, s0
	s_and_saveexec_b32 s0, vcc_lo
	s_cbranch_execz .LBB372_4251
.LBB372_4318:
	ds_load_b32 v33, v32 offset:352
	s_wait_dscnt 0x0
	v_add_f32_e32 v19, v33, v19
	s_or_b32 exec_lo, exec_lo, s0
	s_and_saveexec_b32 s0, vcc_lo
	s_cbranch_execz .LBB372_4252
.LBB372_4319:
	ds_load_b32 v33, v32 offset:384
	s_wait_dscnt 0x0
	v_add_f32_e32 v16, v33, v16
	s_or_b32 exec_lo, exec_lo, s0
	s_and_saveexec_b32 s0, vcc_lo
	s_cbranch_execz .LBB372_4253
.LBB372_4320:
	ds_load_b32 v33, v32 offset:416
	s_wait_dscnt 0x0
	v_add_f32_e32 v17, v33, v17
	s_or_b32 exec_lo, exec_lo, s0
	s_and_saveexec_b32 s0, vcc_lo
	s_cbranch_execz .LBB372_4254
.LBB372_4321:
	ds_load_b32 v33, v32 offset:448
	s_wait_dscnt 0x0
	v_add_f32_e32 v14, v33, v14
	s_or_b32 exec_lo, exec_lo, s0
	s_and_saveexec_b32 s0, vcc_lo
	s_cbranch_execz .LBB372_4255
.LBB372_4322:
	ds_load_b32 v33, v32 offset:480
	s_wait_dscnt 0x0
	v_add_f32_e32 v15, v33, v15
	s_or_b32 exec_lo, exec_lo, s0
	s_and_saveexec_b32 s0, vcc_lo
	s_cbranch_execz .LBB372_4256
.LBB372_4323:
	ds_load_b32 v33, v32 offset:512
	s_wait_dscnt 0x0
	v_add_f32_e32 v12, v33, v12
	s_or_b32 exec_lo, exec_lo, s0
	s_and_saveexec_b32 s0, vcc_lo
	s_cbranch_execz .LBB372_4257
.LBB372_4324:
	ds_load_b32 v33, v32 offset:544
	s_wait_dscnt 0x0
	v_add_f32_e32 v13, v33, v13
	s_or_b32 exec_lo, exec_lo, s0
	s_and_saveexec_b32 s0, vcc_lo
	s_cbranch_execz .LBB372_4258
.LBB372_4325:
	ds_load_b32 v33, v32 offset:576
	s_wait_dscnt 0x0
	v_add_f32_e32 v10, v33, v10
	s_or_b32 exec_lo, exec_lo, s0
	s_and_saveexec_b32 s0, vcc_lo
	s_cbranch_execz .LBB372_4259
.LBB372_4326:
	ds_load_b32 v33, v32 offset:608
	s_wait_dscnt 0x0
	v_add_f32_e32 v11, v33, v11
	s_or_b32 exec_lo, exec_lo, s0
	s_and_saveexec_b32 s0, vcc_lo
	s_cbranch_execz .LBB372_4260
.LBB372_4327:
	ds_load_b32 v33, v32 offset:640
	s_wait_dscnt 0x0
	v_add_f32_e32 v8, v33, v8
	s_or_b32 exec_lo, exec_lo, s0
	s_and_saveexec_b32 s0, vcc_lo
	s_cbranch_execz .LBB372_4261
.LBB372_4328:
	ds_load_b32 v33, v32 offset:672
	s_wait_dscnt 0x0
	v_add_f32_e32 v9, v33, v9
	s_or_b32 exec_lo, exec_lo, s0
	s_and_saveexec_b32 s0, vcc_lo
	s_cbranch_execz .LBB372_4262
.LBB372_4329:
	ds_load_b32 v33, v32 offset:704
	s_wait_dscnt 0x0
	v_add_f32_e32 v6, v33, v6
	s_or_b32 exec_lo, exec_lo, s0
	s_and_saveexec_b32 s0, vcc_lo
	s_cbranch_execz .LBB372_4263
.LBB372_4330:
	ds_load_b32 v33, v32 offset:736
	s_wait_dscnt 0x0
	v_add_f32_e32 v7, v33, v7
	s_or_b32 exec_lo, exec_lo, s0
	s_and_saveexec_b32 s0, vcc_lo
	s_cbranch_execz .LBB372_4264
.LBB372_4331:
	ds_load_b32 v33, v32 offset:768
	s_wait_dscnt 0x0
	v_add_f32_e32 v4, v33, v4
	s_or_b32 exec_lo, exec_lo, s0
	s_and_saveexec_b32 s0, vcc_lo
	s_cbranch_execz .LBB372_4265
.LBB372_4332:
	ds_load_b32 v33, v32 offset:800
	s_wait_dscnt 0x0
	v_add_f32_e32 v5, v33, v5
	s_or_b32 exec_lo, exec_lo, s0
	s_and_saveexec_b32 s0, vcc_lo
	s_cbranch_execz .LBB372_4266
.LBB372_4333:
	ds_load_b32 v33, v32 offset:832
	s_wait_dscnt 0x0
	v_add_f32_e32 v2, v33, v2
	s_or_b32 exec_lo, exec_lo, s0
	s_and_saveexec_b32 s0, vcc_lo
	s_cbranch_execz .LBB372_4267
.LBB372_4334:
	ds_load_b32 v33, v32 offset:864
	s_wait_dscnt 0x0
	v_add_f32_e32 v3, v33, v3
	s_or_b32 exec_lo, exec_lo, s0
	s_and_saveexec_b32 s0, vcc_lo
	s_cbranch_execz .LBB372_4268
.LBB372_4335:
	ds_load_b32 v33, v32 offset:896
	s_wait_dscnt 0x0
	v_add_f32_e32 v0, v33, v0
	s_or_b32 exec_lo, exec_lo, s0
	s_and_saveexec_b32 s0, vcc_lo
	s_cbranch_execz .LBB372_4269
.LBB372_4336:
	ds_load_b32 v33, v32 offset:928
	s_wait_dscnt 0x0
	v_add_f32_e32 v1, v33, v1
	s_or_b32 exec_lo, exec_lo, s0
	s_and_saveexec_b32 s0, vcc_lo
	s_cbranch_execz .LBB372_4270
.LBB372_4337:
	ds_load_b32 v33, v32 offset:960
	s_wait_dscnt 0x0
	v_add_f32_e32 v30, v33, v30
	s_or_b32 exec_lo, exec_lo, s0
	s_and_saveexec_b32 s0, vcc_lo
	s_cbranch_execnz .LBB372_4271
	s_branch .LBB372_4272
.Lfunc_end372:
	.size	_ZN4vllm22paged_attention_kernelI14__hip_bfloat16hLi256ELi32ELi128ELNS_18Fp8KVCacheDataTypeE1ELb0ELi0EEEvPfS3_PT_PKS4_PKT0_SA_ifPKiSC_iPKfiiiSE_SE_iiiii, .Lfunc_end372-_ZN4vllm22paged_attention_kernelI14__hip_bfloat16hLi256ELi32ELi128ELNS_18Fp8KVCacheDataTypeE1ELb0ELi0EEEvPfS3_PT_PKS4_PKT0_SA_ifPKiSC_iPKfiiiSE_SE_iiiii
                                        ; -- End function
	.set .L_ZN4vllm22paged_attention_kernelI14__hip_bfloat16hLi256ELi32ELi128ELNS_18Fp8KVCacheDataTypeE1ELb0ELi0EEEvPfS3_PT_PKS4_PKT0_SA_ifPKiSC_iPKfiiiSE_SE_iiiii.num_vgpr, 128
	.set .L_ZN4vllm22paged_attention_kernelI14__hip_bfloat16hLi256ELi32ELi128ELNS_18Fp8KVCacheDataTypeE1ELb0ELi0EEEvPfS3_PT_PKS4_PKT0_SA_ifPKiSC_iPKfiiiSE_SE_iiiii.num_agpr, 0
	.set .L_ZN4vllm22paged_attention_kernelI14__hip_bfloat16hLi256ELi32ELi128ELNS_18Fp8KVCacheDataTypeE1ELb0ELi0EEEvPfS3_PT_PKS4_PKT0_SA_ifPKiSC_iPKfiiiSE_SE_iiiii.numbered_sgpr, 33
	.set .L_ZN4vllm22paged_attention_kernelI14__hip_bfloat16hLi256ELi32ELi128ELNS_18Fp8KVCacheDataTypeE1ELb0ELi0EEEvPfS3_PT_PKS4_PKT0_SA_ifPKiSC_iPKfiiiSE_SE_iiiii.num_named_barrier, 0
	.set .L_ZN4vllm22paged_attention_kernelI14__hip_bfloat16hLi256ELi32ELi128ELNS_18Fp8KVCacheDataTypeE1ELb0ELi0EEEvPfS3_PT_PKS4_PKT0_SA_ifPKiSC_iPKfiiiSE_SE_iiiii.private_seg_size, 2336
	.set .L_ZN4vllm22paged_attention_kernelI14__hip_bfloat16hLi256ELi32ELi128ELNS_18Fp8KVCacheDataTypeE1ELb0ELi0EEEvPfS3_PT_PKS4_PKT0_SA_ifPKiSC_iPKfiiiSE_SE_iiiii.uses_vcc, 1
	.set .L_ZN4vllm22paged_attention_kernelI14__hip_bfloat16hLi256ELi32ELi128ELNS_18Fp8KVCacheDataTypeE1ELb0ELi0EEEvPfS3_PT_PKS4_PKT0_SA_ifPKiSC_iPKfiiiSE_SE_iiiii.uses_flat_scratch, 1
	.set .L_ZN4vllm22paged_attention_kernelI14__hip_bfloat16hLi256ELi32ELi128ELNS_18Fp8KVCacheDataTypeE1ELb0ELi0EEEvPfS3_PT_PKS4_PKT0_SA_ifPKiSC_iPKfiiiSE_SE_iiiii.has_dyn_sized_stack, 0
	.set .L_ZN4vllm22paged_attention_kernelI14__hip_bfloat16hLi256ELi32ELi128ELNS_18Fp8KVCacheDataTypeE1ELb0ELi0EEEvPfS3_PT_PKS4_PKT0_SA_ifPKiSC_iPKfiiiSE_SE_iiiii.has_recursion, 0
	.set .L_ZN4vllm22paged_attention_kernelI14__hip_bfloat16hLi256ELi32ELi128ELNS_18Fp8KVCacheDataTypeE1ELb0ELi0EEEvPfS3_PT_PKS4_PKT0_SA_ifPKiSC_iPKfiiiSE_SE_iiiii.has_indirect_call, 0
	.section	.AMDGPU.csdata,"",@progbits
; Function info:
; codeLenInByte = 175976
; TotalNumSgprs: 35
; NumVgprs: 128
; ScratchSize: 2336
; MemoryBound: 0
	.section	.text._ZN4vllm25paged_attention_v1_kernelI14__hip_bfloat16hLi256ELi32ELi128ELNS_18Fp8KVCacheDataTypeE1ELb0EEEvPT_PKS3_PKT0_S9_ifPKiSB_iPKfiiiSD_SD_iiiii,"axG",@progbits,_ZN4vllm25paged_attention_v1_kernelI14__hip_bfloat16hLi256ELi32ELi128ELNS_18Fp8KVCacheDataTypeE1ELb0EEEvPT_PKS3_PKT0_S9_ifPKiSB_iPKfiiiSD_SD_iiiii,comdat
	.protected	_ZN4vllm25paged_attention_v1_kernelI14__hip_bfloat16hLi256ELi32ELi128ELNS_18Fp8KVCacheDataTypeE1ELb0EEEvPT_PKS3_PKT0_S9_ifPKiSB_iPKfiiiSD_SD_iiiii ; -- Begin function _ZN4vllm25paged_attention_v1_kernelI14__hip_bfloat16hLi256ELi32ELi128ELNS_18Fp8KVCacheDataTypeE1ELb0EEEvPT_PKS3_PKT0_S9_ifPKiSB_iPKfiiiSD_SD_iiiii
	.globl	_ZN4vllm25paged_attention_v1_kernelI14__hip_bfloat16hLi256ELi32ELi128ELNS_18Fp8KVCacheDataTypeE1ELb0EEEvPT_PKS3_PKT0_S9_ifPKiSB_iPKfiiiSD_SD_iiiii
	.p2align	8
	.type	_ZN4vllm25paged_attention_v1_kernelI14__hip_bfloat16hLi256ELi32ELi128ELNS_18Fp8KVCacheDataTypeE1ELb0EEEvPT_PKS3_PKT0_S9_ifPKiSB_iPKfiiiSD_SD_iiiii,@function
_ZN4vllm25paged_attention_v1_kernelI14__hip_bfloat16hLi256ELi32ELi128ELNS_18Fp8KVCacheDataTypeE1ELb0EEEvPT_PKS3_PKT0_S9_ifPKiSB_iPKfiiiSD_SD_iiiii: ; @_ZN4vllm25paged_attention_v1_kernelI14__hip_bfloat16hLi256ELi32ELi128ELNS_18Fp8KVCacheDataTypeE1ELb0EEEvPT_PKS3_PKT0_S9_ifPKiSB_iPKfiiiSD_SD_iiiii
; %bb.0:
	s_clause 0x5
	s_load_b256 s[12:19], s[0:1], 0x0
	s_load_b128 s[4:7], s[0:1], 0x20
	s_load_b96 s[20:22], s[0:1], 0x30
	s_load_b64 s[10:11], s[0:1], 0x40
	s_load_b96 s[28:30], s[0:1], 0x48
	s_load_b128 s[24:27], s[0:1], 0x58
	v_mov_b32_e32 v31, v0
	s_get_pc_i64 s[2:3]
	s_add_nc_u64 s[2:3], s[2:3], _ZN4vllm22paged_attention_kernelI14__hip_bfloat16hLi256ELi32ELi128ELNS_18Fp8KVCacheDataTypeE1ELb0ELi0EEEvPfS3_PT_PKS4_PKT0_SA_ifPKiSC_iPKfiiiSE_SE_iiiii@rel64+4
	s_add_nc_u64 s[8:9], s[0:1], 0x80
	s_mov_b32 s32, 0
	s_wait_kmcnt 0x0
	v_dual_mov_b32 v0, s12 :: v_dual_mov_b32 v1, s13
	v_dual_mov_b32 v2, s14 :: v_dual_mov_b32 v3, s15
	;; [unrolled: 1-line block ×12, first 2 shown]
	s_mov_b32 s15, 12
	s_swap_pc_i64 s[30:31], s[2:3]
	s_endpgm
	.section	.rodata,"a",@progbits
	.p2align	6, 0x0
	.amdhsa_kernel _ZN4vllm25paged_attention_v1_kernelI14__hip_bfloat16hLi256ELi32ELi128ELNS_18Fp8KVCacheDataTypeE1ELb0EEEvPT_PKS3_PKT0_S9_ifPKiSB_iPKfiiiSD_SD_iiiii
		.amdhsa_group_segment_fixed_size 544
		.amdhsa_private_segment_fixed_size 2336
		.amdhsa_kernarg_size 384
		.amdhsa_user_sgpr_count 2
		.amdhsa_user_sgpr_dispatch_ptr 0
		.amdhsa_user_sgpr_queue_ptr 0
		.amdhsa_user_sgpr_kernarg_segment_ptr 1
		.amdhsa_user_sgpr_dispatch_id 0
		.amdhsa_user_sgpr_kernarg_preload_length 0
		.amdhsa_user_sgpr_kernarg_preload_offset 0
		.amdhsa_user_sgpr_private_segment_size 0
		.amdhsa_wavefront_size32 1
		.amdhsa_uses_dynamic_stack 0
		.amdhsa_enable_private_segment 1
		.amdhsa_system_sgpr_workgroup_id_x 1
		.amdhsa_system_sgpr_workgroup_id_y 1
		.amdhsa_system_sgpr_workgroup_id_z 1
		.amdhsa_system_sgpr_workgroup_info 0
		.amdhsa_system_vgpr_workitem_id 0
		.amdhsa_next_free_vgpr 128
		.amdhsa_next_free_sgpr 33
		.amdhsa_named_barrier_count 0
		.amdhsa_reserve_vcc 1
		.amdhsa_float_round_mode_32 0
		.amdhsa_float_round_mode_16_64 0
		.amdhsa_float_denorm_mode_32 3
		.amdhsa_float_denorm_mode_16_64 3
		.amdhsa_fp16_overflow 0
		.amdhsa_memory_ordered 1
		.amdhsa_forward_progress 1
		.amdhsa_inst_pref_size 2
		.amdhsa_round_robin_scheduling 0
		.amdhsa_exception_fp_ieee_invalid_op 0
		.amdhsa_exception_fp_denorm_src 0
		.amdhsa_exception_fp_ieee_div_zero 0
		.amdhsa_exception_fp_ieee_overflow 0
		.amdhsa_exception_fp_ieee_underflow 0
		.amdhsa_exception_fp_ieee_inexact 0
		.amdhsa_exception_int_div_zero 0
	.end_amdhsa_kernel
	.section	.text._ZN4vllm25paged_attention_v1_kernelI14__hip_bfloat16hLi256ELi32ELi128ELNS_18Fp8KVCacheDataTypeE1ELb0EEEvPT_PKS3_PKT0_S9_ifPKiSB_iPKfiiiSD_SD_iiiii,"axG",@progbits,_ZN4vllm25paged_attention_v1_kernelI14__hip_bfloat16hLi256ELi32ELi128ELNS_18Fp8KVCacheDataTypeE1ELb0EEEvPT_PKS3_PKT0_S9_ifPKiSB_iPKfiiiSD_SD_iiiii,comdat
.Lfunc_end373:
	.size	_ZN4vllm25paged_attention_v1_kernelI14__hip_bfloat16hLi256ELi32ELi128ELNS_18Fp8KVCacheDataTypeE1ELb0EEEvPT_PKS3_PKT0_S9_ifPKiSB_iPKfiiiSD_SD_iiiii, .Lfunc_end373-_ZN4vllm25paged_attention_v1_kernelI14__hip_bfloat16hLi256ELi32ELi128ELNS_18Fp8KVCacheDataTypeE1ELb0EEEvPT_PKS3_PKT0_S9_ifPKiSB_iPKfiiiSD_SD_iiiii
                                        ; -- End function
	.set _ZN4vllm25paged_attention_v1_kernelI14__hip_bfloat16hLi256ELi32ELi128ELNS_18Fp8KVCacheDataTypeE1ELb0EEEvPT_PKS3_PKT0_S9_ifPKiSB_iPKfiiiSD_SD_iiiii.num_vgpr, max(32, .L_ZN4vllm22paged_attention_kernelI14__hip_bfloat16hLi256ELi32ELi128ELNS_18Fp8KVCacheDataTypeE1ELb0ELi0EEEvPfS3_PT_PKS4_PKT0_SA_ifPKiSC_iPKfiiiSE_SE_iiiii.num_vgpr)
	.set _ZN4vllm25paged_attention_v1_kernelI14__hip_bfloat16hLi256ELi32ELi128ELNS_18Fp8KVCacheDataTypeE1ELb0EEEvPT_PKS3_PKT0_S9_ifPKiSB_iPKfiiiSD_SD_iiiii.num_agpr, max(0, .L_ZN4vllm22paged_attention_kernelI14__hip_bfloat16hLi256ELi32ELi128ELNS_18Fp8KVCacheDataTypeE1ELb0ELi0EEEvPfS3_PT_PKS4_PKT0_SA_ifPKiSC_iPKfiiiSE_SE_iiiii.num_agpr)
	.set _ZN4vllm25paged_attention_v1_kernelI14__hip_bfloat16hLi256ELi32ELi128ELNS_18Fp8KVCacheDataTypeE1ELb0EEEvPT_PKS3_PKT0_S9_ifPKiSB_iPKfiiiSD_SD_iiiii.numbered_sgpr, max(33, .L_ZN4vllm22paged_attention_kernelI14__hip_bfloat16hLi256ELi32ELi128ELNS_18Fp8KVCacheDataTypeE1ELb0ELi0EEEvPfS3_PT_PKS4_PKT0_SA_ifPKiSC_iPKfiiiSE_SE_iiiii.numbered_sgpr)
	.set _ZN4vllm25paged_attention_v1_kernelI14__hip_bfloat16hLi256ELi32ELi128ELNS_18Fp8KVCacheDataTypeE1ELb0EEEvPT_PKS3_PKT0_S9_ifPKiSB_iPKfiiiSD_SD_iiiii.num_named_barrier, max(0, .L_ZN4vllm22paged_attention_kernelI14__hip_bfloat16hLi256ELi32ELi128ELNS_18Fp8KVCacheDataTypeE1ELb0ELi0EEEvPfS3_PT_PKS4_PKT0_SA_ifPKiSC_iPKfiiiSE_SE_iiiii.num_named_barrier)
	.set _ZN4vllm25paged_attention_v1_kernelI14__hip_bfloat16hLi256ELi32ELi128ELNS_18Fp8KVCacheDataTypeE1ELb0EEEvPT_PKS3_PKT0_S9_ifPKiSB_iPKfiiiSD_SD_iiiii.private_seg_size, 0+max(.L_ZN4vllm22paged_attention_kernelI14__hip_bfloat16hLi256ELi32ELi128ELNS_18Fp8KVCacheDataTypeE1ELb0ELi0EEEvPfS3_PT_PKS4_PKT0_SA_ifPKiSC_iPKfiiiSE_SE_iiiii.private_seg_size)
	.set _ZN4vllm25paged_attention_v1_kernelI14__hip_bfloat16hLi256ELi32ELi128ELNS_18Fp8KVCacheDataTypeE1ELb0EEEvPT_PKS3_PKT0_S9_ifPKiSB_iPKfiiiSD_SD_iiiii.uses_vcc, or(1, .L_ZN4vllm22paged_attention_kernelI14__hip_bfloat16hLi256ELi32ELi128ELNS_18Fp8KVCacheDataTypeE1ELb0ELi0EEEvPfS3_PT_PKS4_PKT0_SA_ifPKiSC_iPKfiiiSE_SE_iiiii.uses_vcc)
	.set _ZN4vllm25paged_attention_v1_kernelI14__hip_bfloat16hLi256ELi32ELi128ELNS_18Fp8KVCacheDataTypeE1ELb0EEEvPT_PKS3_PKT0_S9_ifPKiSB_iPKfiiiSD_SD_iiiii.uses_flat_scratch, or(0, .L_ZN4vllm22paged_attention_kernelI14__hip_bfloat16hLi256ELi32ELi128ELNS_18Fp8KVCacheDataTypeE1ELb0ELi0EEEvPfS3_PT_PKS4_PKT0_SA_ifPKiSC_iPKfiiiSE_SE_iiiii.uses_flat_scratch)
	.set _ZN4vllm25paged_attention_v1_kernelI14__hip_bfloat16hLi256ELi32ELi128ELNS_18Fp8KVCacheDataTypeE1ELb0EEEvPT_PKS3_PKT0_S9_ifPKiSB_iPKfiiiSD_SD_iiiii.has_dyn_sized_stack, or(0, .L_ZN4vllm22paged_attention_kernelI14__hip_bfloat16hLi256ELi32ELi128ELNS_18Fp8KVCacheDataTypeE1ELb0ELi0EEEvPfS3_PT_PKS4_PKT0_SA_ifPKiSC_iPKfiiiSE_SE_iiiii.has_dyn_sized_stack)
	.set _ZN4vllm25paged_attention_v1_kernelI14__hip_bfloat16hLi256ELi32ELi128ELNS_18Fp8KVCacheDataTypeE1ELb0EEEvPT_PKS3_PKT0_S9_ifPKiSB_iPKfiiiSD_SD_iiiii.has_recursion, or(0, .L_ZN4vllm22paged_attention_kernelI14__hip_bfloat16hLi256ELi32ELi128ELNS_18Fp8KVCacheDataTypeE1ELb0ELi0EEEvPfS3_PT_PKS4_PKT0_SA_ifPKiSC_iPKfiiiSE_SE_iiiii.has_recursion)
	.set _ZN4vllm25paged_attention_v1_kernelI14__hip_bfloat16hLi256ELi32ELi128ELNS_18Fp8KVCacheDataTypeE1ELb0EEEvPT_PKS3_PKT0_S9_ifPKiSB_iPKfiiiSD_SD_iiiii.has_indirect_call, or(0, .L_ZN4vllm22paged_attention_kernelI14__hip_bfloat16hLi256ELi32ELi128ELNS_18Fp8KVCacheDataTypeE1ELb0ELi0EEEvPfS3_PT_PKS4_PKT0_SA_ifPKiSC_iPKfiiiSE_SE_iiiii.has_indirect_call)
	.section	.AMDGPU.csdata,"",@progbits
; Kernel info:
; codeLenInByte = 196
; TotalNumSgprs: 35
; NumVgprs: 128
; ScratchSize: 2336
; MemoryBound: 0
; FloatMode: 240
; IeeeMode: 1
; LDSByteSize: 544 bytes/workgroup (compile time only)
; SGPRBlocks: 0
; VGPRBlocks: 7
; NumSGPRsForWavesPerEU: 35
; NumVGPRsForWavesPerEU: 128
; NamedBarCnt: 0
; Occupancy: 8
; WaveLimiterHint : 1
; COMPUTE_PGM_RSRC2:SCRATCH_EN: 1
; COMPUTE_PGM_RSRC2:USER_SGPR: 2
; COMPUTE_PGM_RSRC2:TRAP_HANDLER: 0
; COMPUTE_PGM_RSRC2:TGID_X_EN: 1
; COMPUTE_PGM_RSRC2:TGID_Y_EN: 1
; COMPUTE_PGM_RSRC2:TGID_Z_EN: 1
; COMPUTE_PGM_RSRC2:TIDIG_COMP_CNT: 0
	.text
	.p2alignl 7, 3214868480
	.fill 96, 4, 3214868480
	.section	.AMDGPU.gpr_maximums,"",@progbits
	.set amdgpu.max_num_vgpr, 128
	.set amdgpu.max_num_agpr, 0
	.set amdgpu.max_num_sgpr, 33
	.text
	.type	__hip_cuid_d251df782e12aa9b,@object ; @__hip_cuid_d251df782e12aa9b
	.section	.bss,"aw",@nobits
	.globl	__hip_cuid_d251df782e12aa9b
__hip_cuid_d251df782e12aa9b:
	.byte	0                               ; 0x0
	.size	__hip_cuid_d251df782e12aa9b, 1

	.type	llvm.amdgcn.dynlds.offset.table,@object ; @llvm.amdgcn.dynlds.offset.table
	.section	.data.rel.ro,"aw",@progbits
	.p2align	4, 0x0
llvm.amdgcn.dynlds.offset.table:
	.long	256
	.long	256
	;; [unrolled: 1-line block ×50, first 2 shown]
	.size	llvm.amdgcn.dynlds.offset.table, 200

	.ident	"AMD clang version 22.0.0git (https://github.com/RadeonOpenCompute/llvm-project roc-7.2.4 26084 f58b06dce1f9c15707c5f808fd002e18c2accf7e)"
	.section	".note.GNU-stack","",@progbits
	.addrsig
	.addrsig_sym __hip_cuid_d251df782e12aa9b
	.amdgpu_metadata
---
amdhsa.kernels:
  - .args:
      - .actual_access:  write_only
        .address_space:  global
        .offset:         0
        .size:           8
        .value_kind:     global_buffer
      - .actual_access:  read_only
        .address_space:  global
        .offset:         8
        .size:           8
        .value_kind:     global_buffer
      - .actual_access:  read_only
        .address_space:  global
        .offset:         16
        .size:           8
        .value_kind:     global_buffer
      - .actual_access:  read_only
        .address_space:  global
        .offset:         24
        .size:           8
        .value_kind:     global_buffer
      - .offset:         32
        .size:           4
        .value_kind:     by_value
      - .offset:         36
        .size:           4
        .value_kind:     by_value
      - .actual_access:  read_only
        .address_space:  global
        .offset:         40
        .size:           8
        .value_kind:     global_buffer
      - .actual_access:  read_only
        .address_space:  global
        .offset:         48
        .size:           8
        .value_kind:     global_buffer
      - .offset:         56
        .size:           4
        .value_kind:     by_value
      - .actual_access:  read_only
        .address_space:  global
        .offset:         64
        .size:           8
        .value_kind:     global_buffer
      - .offset:         72
        .size:           4
        .value_kind:     by_value
      - .offset:         76
        .size:           4
        .value_kind:     by_value
      - .offset:         80
        .size:           4
        .value_kind:     by_value
      - .address_space:  global
        .offset:         88
        .size:           8
        .value_kind:     global_buffer
      - .address_space:  global
        .offset:         96
        .size:           8
        .value_kind:     global_buffer
      - .offset:         104
        .size:           4
        .value_kind:     by_value
      - .offset:         108
        .size:           4
        .value_kind:     by_value
      - .offset:         112
        .size:           4
        .value_kind:     by_value
      - .offset:         116
        .size:           4
        .value_kind:     by_value
      - .offset:         120
        .size:           4
        .value_kind:     by_value
      - .offset:         128
        .size:           4
        .value_kind:     hidden_block_count_x
      - .offset:         132
        .size:           4
        .value_kind:     hidden_block_count_y
      - .offset:         136
        .size:           4
        .value_kind:     hidden_block_count_z
      - .offset:         140
        .size:           2
        .value_kind:     hidden_group_size_x
      - .offset:         142
        .size:           2
        .value_kind:     hidden_group_size_y
      - .offset:         144
        .size:           2
        .value_kind:     hidden_group_size_z
      - .offset:         146
        .size:           2
        .value_kind:     hidden_remainder_x
      - .offset:         148
        .size:           2
        .value_kind:     hidden_remainder_y
      - .offset:         150
        .size:           2
        .value_kind:     hidden_remainder_z
      - .offset:         168
        .size:           8
        .value_kind:     hidden_global_offset_x
      - .offset:         176
        .size:           8
        .value_kind:     hidden_global_offset_y
      - .offset:         184
        .size:           8
        .value_kind:     hidden_global_offset_z
      - .offset:         192
        .size:           2
        .value_kind:     hidden_grid_dims
      - .offset:         248
        .size:           4
        .value_kind:     hidden_dynamic_lds_size
    .group_segment_fixed_size: 160
    .kernarg_segment_align: 8
    .kernarg_segment_size: 384
    .language:       OpenCL C
    .language_version:
      - 2
      - 0
    .max_flat_workgroup_size: 1024
    .name:           _ZN4vllm25paged_attention_v1_kernelIffLi32ELi8ELi128ELNS_18Fp8KVCacheDataTypeE0ELb1EEEvPT_PKS2_PKT0_S8_ifPKiSA_iPKfiiiSC_SC_iiiii
    .private_segment_fixed_size: 0
    .sgpr_count:     44
    .sgpr_spill_count: 0
    .symbol:         _ZN4vllm25paged_attention_v1_kernelIffLi32ELi8ELi128ELNS_18Fp8KVCacheDataTypeE0ELb1EEEvPT_PKS2_PKT0_S8_ifPKiSA_iPKfiiiSC_SC_iiiii.kd
    .uniform_work_group_size: 1
    .uses_dynamic_stack: false
    .vgpr_count:     36
    .vgpr_spill_count: 0
    .wavefront_size: 32
  - .args:
      - .actual_access:  write_only
        .address_space:  global
        .offset:         0
        .size:           8
        .value_kind:     global_buffer
      - .actual_access:  read_only
        .address_space:  global
        .offset:         8
        .size:           8
        .value_kind:     global_buffer
      - .actual_access:  read_only
        .address_space:  global
        .offset:         16
        .size:           8
        .value_kind:     global_buffer
      - .actual_access:  read_only
        .address_space:  global
        .offset:         24
        .size:           8
        .value_kind:     global_buffer
      - .offset:         32
        .size:           4
        .value_kind:     by_value
      - .offset:         36
        .size:           4
        .value_kind:     by_value
      - .actual_access:  read_only
        .address_space:  global
        .offset:         40
        .size:           8
        .value_kind:     global_buffer
      - .actual_access:  read_only
        .address_space:  global
        .offset:         48
        .size:           8
        .value_kind:     global_buffer
      - .offset:         56
        .size:           4
        .value_kind:     by_value
      - .actual_access:  read_only
        .address_space:  global
        .offset:         64
        .size:           8
        .value_kind:     global_buffer
      - .offset:         72
        .size:           4
        .value_kind:     by_value
      - .offset:         76
        .size:           4
        .value_kind:     by_value
      - .offset:         80
        .size:           4
        .value_kind:     by_value
      - .address_space:  global
        .offset:         88
        .size:           8
        .value_kind:     global_buffer
      - .address_space:  global
        .offset:         96
        .size:           8
        .value_kind:     global_buffer
      - .offset:         104
        .size:           4
        .value_kind:     by_value
      - .offset:         108
        .size:           4
        .value_kind:     by_value
      - .offset:         112
        .size:           4
        .value_kind:     by_value
      - .offset:         116
        .size:           4
        .value_kind:     by_value
      - .offset:         120
        .size:           4
        .value_kind:     by_value
      - .offset:         128
        .size:           4
        .value_kind:     hidden_block_count_x
      - .offset:         132
        .size:           4
        .value_kind:     hidden_block_count_y
      - .offset:         136
        .size:           4
        .value_kind:     hidden_block_count_z
      - .offset:         140
        .size:           2
        .value_kind:     hidden_group_size_x
      - .offset:         142
        .size:           2
        .value_kind:     hidden_group_size_y
      - .offset:         144
        .size:           2
        .value_kind:     hidden_group_size_z
      - .offset:         146
        .size:           2
        .value_kind:     hidden_remainder_x
      - .offset:         148
        .size:           2
        .value_kind:     hidden_remainder_y
      - .offset:         150
        .size:           2
        .value_kind:     hidden_remainder_z
      - .offset:         168
        .size:           8
        .value_kind:     hidden_global_offset_x
      - .offset:         176
        .size:           8
        .value_kind:     hidden_global_offset_y
      - .offset:         184
        .size:           8
        .value_kind:     hidden_global_offset_z
      - .offset:         192
        .size:           2
        .value_kind:     hidden_grid_dims
      - .offset:         248
        .size:           4
        .value_kind:     hidden_dynamic_lds_size
    .group_segment_fixed_size: 288
    .kernarg_segment_align: 8
    .kernarg_segment_size: 384
    .language:       OpenCL C
    .language_version:
      - 2
      - 0
    .max_flat_workgroup_size: 1024
    .name:           _ZN4vllm25paged_attention_v1_kernelIffLi64ELi8ELi128ELNS_18Fp8KVCacheDataTypeE0ELb1EEEvPT_PKS2_PKT0_S8_ifPKiSA_iPKfiiiSC_SC_iiiii
    .private_segment_fixed_size: 0
    .sgpr_count:     44
    .sgpr_spill_count: 0
    .symbol:         _ZN4vllm25paged_attention_v1_kernelIffLi64ELi8ELi128ELNS_18Fp8KVCacheDataTypeE0ELb1EEEvPT_PKS2_PKT0_S8_ifPKiSA_iPKfiiiSC_SC_iiiii.kd
    .uniform_work_group_size: 1
    .uses_dynamic_stack: false
    .vgpr_count:     45
    .vgpr_spill_count: 0
    .wavefront_size: 32
  - .args:
      - .actual_access:  write_only
        .address_space:  global
        .offset:         0
        .size:           8
        .value_kind:     global_buffer
      - .actual_access:  read_only
        .address_space:  global
        .offset:         8
        .size:           8
        .value_kind:     global_buffer
      - .actual_access:  read_only
        .address_space:  global
        .offset:         16
        .size:           8
        .value_kind:     global_buffer
      - .actual_access:  read_only
        .address_space:  global
        .offset:         24
        .size:           8
        .value_kind:     global_buffer
      - .offset:         32
        .size:           4
        .value_kind:     by_value
      - .offset:         36
        .size:           4
        .value_kind:     by_value
      - .actual_access:  read_only
        .address_space:  global
        .offset:         40
        .size:           8
        .value_kind:     global_buffer
      - .actual_access:  read_only
        .address_space:  global
        .offset:         48
        .size:           8
        .value_kind:     global_buffer
      - .offset:         56
        .size:           4
        .value_kind:     by_value
      - .actual_access:  read_only
        .address_space:  global
        .offset:         64
        .size:           8
        .value_kind:     global_buffer
      - .offset:         72
        .size:           4
        .value_kind:     by_value
      - .offset:         76
        .size:           4
        .value_kind:     by_value
      - .offset:         80
        .size:           4
        .value_kind:     by_value
      - .address_space:  global
        .offset:         88
        .size:           8
        .value_kind:     global_buffer
      - .address_space:  global
        .offset:         96
        .size:           8
        .value_kind:     global_buffer
      - .offset:         104
        .size:           4
        .value_kind:     by_value
      - .offset:         108
        .size:           4
        .value_kind:     by_value
      - .offset:         112
        .size:           4
        .value_kind:     by_value
      - .offset:         116
        .size:           4
        .value_kind:     by_value
      - .offset:         120
        .size:           4
        .value_kind:     by_value
      - .offset:         128
        .size:           4
        .value_kind:     hidden_block_count_x
      - .offset:         132
        .size:           4
        .value_kind:     hidden_block_count_y
      - .offset:         136
        .size:           4
        .value_kind:     hidden_block_count_z
      - .offset:         140
        .size:           2
        .value_kind:     hidden_group_size_x
      - .offset:         142
        .size:           2
        .value_kind:     hidden_group_size_y
      - .offset:         144
        .size:           2
        .value_kind:     hidden_group_size_z
      - .offset:         146
        .size:           2
        .value_kind:     hidden_remainder_x
      - .offset:         148
        .size:           2
        .value_kind:     hidden_remainder_y
      - .offset:         150
        .size:           2
        .value_kind:     hidden_remainder_z
      - .offset:         168
        .size:           8
        .value_kind:     hidden_global_offset_x
      - .offset:         176
        .size:           8
        .value_kind:     hidden_global_offset_y
      - .offset:         184
        .size:           8
        .value_kind:     hidden_global_offset_z
      - .offset:         192
        .size:           2
        .value_kind:     hidden_grid_dims
      - .offset:         248
        .size:           4
        .value_kind:     hidden_dynamic_lds_size
    .group_segment_fixed_size: 352
    .kernarg_segment_align: 8
    .kernarg_segment_size: 384
    .language:       OpenCL C
    .language_version:
      - 2
      - 0
    .max_flat_workgroup_size: 1024
    .name:           _ZN4vllm25paged_attention_v1_kernelIffLi80ELi8ELi128ELNS_18Fp8KVCacheDataTypeE0ELb1EEEvPT_PKS2_PKT0_S8_ifPKiSA_iPKfiiiSC_SC_iiiii
    .private_segment_fixed_size: 0
    .sgpr_count:     42
    .sgpr_spill_count: 0
    .symbol:         _ZN4vllm25paged_attention_v1_kernelIffLi80ELi8ELi128ELNS_18Fp8KVCacheDataTypeE0ELb1EEEvPT_PKS2_PKT0_S8_ifPKiSA_iPKfiiiSC_SC_iiiii.kd
    .uniform_work_group_size: 1
    .uses_dynamic_stack: false
    .vgpr_count:     48
    .vgpr_spill_count: 0
    .wavefront_size: 32
  - .args:
      - .actual_access:  write_only
        .address_space:  global
        .offset:         0
        .size:           8
        .value_kind:     global_buffer
      - .actual_access:  read_only
        .address_space:  global
        .offset:         8
        .size:           8
        .value_kind:     global_buffer
      - .actual_access:  read_only
        .address_space:  global
        .offset:         16
        .size:           8
        .value_kind:     global_buffer
      - .actual_access:  read_only
        .address_space:  global
        .offset:         24
        .size:           8
        .value_kind:     global_buffer
      - .offset:         32
        .size:           4
        .value_kind:     by_value
      - .offset:         36
        .size:           4
        .value_kind:     by_value
      - .actual_access:  read_only
        .address_space:  global
        .offset:         40
        .size:           8
        .value_kind:     global_buffer
      - .actual_access:  read_only
        .address_space:  global
        .offset:         48
        .size:           8
        .value_kind:     global_buffer
      - .offset:         56
        .size:           4
        .value_kind:     by_value
      - .actual_access:  read_only
        .address_space:  global
        .offset:         64
        .size:           8
        .value_kind:     global_buffer
      - .offset:         72
        .size:           4
        .value_kind:     by_value
      - .offset:         76
        .size:           4
        .value_kind:     by_value
      - .offset:         80
        .size:           4
        .value_kind:     by_value
      - .address_space:  global
        .offset:         88
        .size:           8
        .value_kind:     global_buffer
      - .address_space:  global
        .offset:         96
        .size:           8
        .value_kind:     global_buffer
      - .offset:         104
        .size:           4
        .value_kind:     by_value
      - .offset:         108
        .size:           4
        .value_kind:     by_value
      - .offset:         112
        .size:           4
        .value_kind:     by_value
      - .offset:         116
        .size:           4
        .value_kind:     by_value
      - .offset:         120
        .size:           4
        .value_kind:     by_value
      - .offset:         128
        .size:           4
        .value_kind:     hidden_block_count_x
      - .offset:         132
        .size:           4
        .value_kind:     hidden_block_count_y
      - .offset:         136
        .size:           4
        .value_kind:     hidden_block_count_z
      - .offset:         140
        .size:           2
        .value_kind:     hidden_group_size_x
      - .offset:         142
        .size:           2
        .value_kind:     hidden_group_size_y
      - .offset:         144
        .size:           2
        .value_kind:     hidden_group_size_z
      - .offset:         146
        .size:           2
        .value_kind:     hidden_remainder_x
      - .offset:         148
        .size:           2
        .value_kind:     hidden_remainder_y
      - .offset:         150
        .size:           2
        .value_kind:     hidden_remainder_z
      - .offset:         168
        .size:           8
        .value_kind:     hidden_global_offset_x
      - .offset:         176
        .size:           8
        .value_kind:     hidden_global_offset_y
      - .offset:         184
        .size:           8
        .value_kind:     hidden_global_offset_z
      - .offset:         192
        .size:           2
        .value_kind:     hidden_grid_dims
      - .offset:         248
        .size:           4
        .value_kind:     hidden_dynamic_lds_size
    .group_segment_fixed_size: 416
    .kernarg_segment_align: 8
    .kernarg_segment_size: 384
    .language:       OpenCL C
    .language_version:
      - 2
      - 0
    .max_flat_workgroup_size: 1024
    .name:           _ZN4vllm25paged_attention_v1_kernelIffLi96ELi8ELi128ELNS_18Fp8KVCacheDataTypeE0ELb1EEEvPT_PKS2_PKT0_S8_ifPKiSA_iPKfiiiSC_SC_iiiii
    .private_segment_fixed_size: 0
    .sgpr_count:     42
    .sgpr_spill_count: 0
    .symbol:         _ZN4vllm25paged_attention_v1_kernelIffLi96ELi8ELi128ELNS_18Fp8KVCacheDataTypeE0ELb1EEEvPT_PKS2_PKT0_S8_ifPKiSA_iPKfiiiSC_SC_iiiii.kd
    .uniform_work_group_size: 1
    .uses_dynamic_stack: false
    .vgpr_count:     52
    .vgpr_spill_count: 0
    .wavefront_size: 32
  - .args:
      - .actual_access:  write_only
        .address_space:  global
        .offset:         0
        .size:           8
        .value_kind:     global_buffer
      - .actual_access:  read_only
        .address_space:  global
        .offset:         8
        .size:           8
        .value_kind:     global_buffer
      - .actual_access:  read_only
        .address_space:  global
        .offset:         16
        .size:           8
        .value_kind:     global_buffer
      - .actual_access:  read_only
        .address_space:  global
        .offset:         24
        .size:           8
        .value_kind:     global_buffer
      - .offset:         32
        .size:           4
        .value_kind:     by_value
      - .offset:         36
        .size:           4
        .value_kind:     by_value
      - .actual_access:  read_only
        .address_space:  global
        .offset:         40
        .size:           8
        .value_kind:     global_buffer
      - .actual_access:  read_only
        .address_space:  global
        .offset:         48
        .size:           8
        .value_kind:     global_buffer
      - .offset:         56
        .size:           4
        .value_kind:     by_value
      - .actual_access:  read_only
        .address_space:  global
        .offset:         64
        .size:           8
        .value_kind:     global_buffer
      - .offset:         72
        .size:           4
        .value_kind:     by_value
      - .offset:         76
        .size:           4
        .value_kind:     by_value
      - .offset:         80
        .size:           4
        .value_kind:     by_value
      - .address_space:  global
        .offset:         88
        .size:           8
        .value_kind:     global_buffer
      - .address_space:  global
        .offset:         96
        .size:           8
        .value_kind:     global_buffer
      - .offset:         104
        .size:           4
        .value_kind:     by_value
      - .offset:         108
        .size:           4
        .value_kind:     by_value
      - .offset:         112
        .size:           4
        .value_kind:     by_value
      - .offset:         116
        .size:           4
        .value_kind:     by_value
      - .offset:         120
        .size:           4
        .value_kind:     by_value
      - .offset:         128
        .size:           4
        .value_kind:     hidden_block_count_x
      - .offset:         132
        .size:           4
        .value_kind:     hidden_block_count_y
      - .offset:         136
        .size:           4
        .value_kind:     hidden_block_count_z
      - .offset:         140
        .size:           2
        .value_kind:     hidden_group_size_x
      - .offset:         142
        .size:           2
        .value_kind:     hidden_group_size_y
      - .offset:         144
        .size:           2
        .value_kind:     hidden_group_size_z
      - .offset:         146
        .size:           2
        .value_kind:     hidden_remainder_x
      - .offset:         148
        .size:           2
        .value_kind:     hidden_remainder_y
      - .offset:         150
        .size:           2
        .value_kind:     hidden_remainder_z
      - .offset:         168
        .size:           8
        .value_kind:     hidden_global_offset_x
      - .offset:         176
        .size:           8
        .value_kind:     hidden_global_offset_y
      - .offset:         184
        .size:           8
        .value_kind:     hidden_global_offset_z
      - .offset:         192
        .size:           2
        .value_kind:     hidden_grid_dims
      - .offset:         248
        .size:           4
        .value_kind:     hidden_dynamic_lds_size
    .group_segment_fixed_size: 480
    .kernarg_segment_align: 8
    .kernarg_segment_size: 384
    .language:       OpenCL C
    .language_version:
      - 2
      - 0
    .max_flat_workgroup_size: 1024
    .name:           _ZN4vllm25paged_attention_v1_kernelIffLi112ELi8ELi128ELNS_18Fp8KVCacheDataTypeE0ELb1EEEvPT_PKS2_PKT0_S8_ifPKiSA_iPKfiiiSC_SC_iiiii
    .private_segment_fixed_size: 0
    .sgpr_count:     42
    .sgpr_spill_count: 0
    .symbol:         _ZN4vllm25paged_attention_v1_kernelIffLi112ELi8ELi128ELNS_18Fp8KVCacheDataTypeE0ELb1EEEvPT_PKS2_PKT0_S8_ifPKiSA_iPKfiiiSC_SC_iiiii.kd
    .uniform_work_group_size: 1
    .uses_dynamic_stack: false
    .vgpr_count:     57
    .vgpr_spill_count: 0
    .wavefront_size: 32
  - .args:
      - .actual_access:  write_only
        .address_space:  global
        .offset:         0
        .size:           8
        .value_kind:     global_buffer
      - .actual_access:  read_only
        .address_space:  global
        .offset:         8
        .size:           8
        .value_kind:     global_buffer
      - .actual_access:  read_only
        .address_space:  global
        .offset:         16
        .size:           8
        .value_kind:     global_buffer
      - .actual_access:  read_only
        .address_space:  global
        .offset:         24
        .size:           8
        .value_kind:     global_buffer
      - .offset:         32
        .size:           4
        .value_kind:     by_value
      - .offset:         36
        .size:           4
        .value_kind:     by_value
      - .actual_access:  read_only
        .address_space:  global
        .offset:         40
        .size:           8
        .value_kind:     global_buffer
      - .actual_access:  read_only
        .address_space:  global
        .offset:         48
        .size:           8
        .value_kind:     global_buffer
      - .offset:         56
        .size:           4
        .value_kind:     by_value
      - .actual_access:  read_only
        .address_space:  global
        .offset:         64
        .size:           8
        .value_kind:     global_buffer
      - .offset:         72
        .size:           4
        .value_kind:     by_value
      - .offset:         76
        .size:           4
        .value_kind:     by_value
      - .offset:         80
        .size:           4
        .value_kind:     by_value
      - .address_space:  global
        .offset:         88
        .size:           8
        .value_kind:     global_buffer
      - .address_space:  global
        .offset:         96
        .size:           8
        .value_kind:     global_buffer
      - .offset:         104
        .size:           4
        .value_kind:     by_value
      - .offset:         108
        .size:           4
        .value_kind:     by_value
      - .offset:         112
        .size:           4
        .value_kind:     by_value
      - .offset:         116
        .size:           4
        .value_kind:     by_value
      - .offset:         120
        .size:           4
        .value_kind:     by_value
      - .offset:         128
        .size:           4
        .value_kind:     hidden_block_count_x
      - .offset:         132
        .size:           4
        .value_kind:     hidden_block_count_y
      - .offset:         136
        .size:           4
        .value_kind:     hidden_block_count_z
      - .offset:         140
        .size:           2
        .value_kind:     hidden_group_size_x
      - .offset:         142
        .size:           2
        .value_kind:     hidden_group_size_y
      - .offset:         144
        .size:           2
        .value_kind:     hidden_group_size_z
      - .offset:         146
        .size:           2
        .value_kind:     hidden_remainder_x
      - .offset:         148
        .size:           2
        .value_kind:     hidden_remainder_y
      - .offset:         150
        .size:           2
        .value_kind:     hidden_remainder_z
      - .offset:         168
        .size:           8
        .value_kind:     hidden_global_offset_x
      - .offset:         176
        .size:           8
        .value_kind:     hidden_global_offset_y
      - .offset:         184
        .size:           8
        .value_kind:     hidden_global_offset_z
      - .offset:         192
        .size:           2
        .value_kind:     hidden_grid_dims
      - .offset:         248
        .size:           4
        .value_kind:     hidden_dynamic_lds_size
    .group_segment_fixed_size: 512
    .kernarg_segment_align: 8
    .kernarg_segment_size: 384
    .language:       OpenCL C
    .language_version:
      - 2
      - 0
    .max_flat_workgroup_size: 1024
    .name:           _ZN4vllm25paged_attention_v1_kernelIffLi120ELi8ELi128ELNS_18Fp8KVCacheDataTypeE0ELb1EEEvPT_PKS2_PKT0_S8_ifPKiSA_iPKfiiiSC_SC_iiiii
    .private_segment_fixed_size: 0
    .sgpr_count:     42
    .sgpr_spill_count: 0
    .symbol:         _ZN4vllm25paged_attention_v1_kernelIffLi120ELi8ELi128ELNS_18Fp8KVCacheDataTypeE0ELb1EEEvPT_PKS2_PKT0_S8_ifPKiSA_iPKfiiiSC_SC_iiiii.kd
    .uniform_work_group_size: 1
    .uses_dynamic_stack: false
    .vgpr_count:     62
    .vgpr_spill_count: 0
    .wavefront_size: 32
  - .args:
      - .actual_access:  write_only
        .address_space:  global
        .offset:         0
        .size:           8
        .value_kind:     global_buffer
      - .actual_access:  read_only
        .address_space:  global
        .offset:         8
        .size:           8
        .value_kind:     global_buffer
      - .actual_access:  read_only
        .address_space:  global
        .offset:         16
        .size:           8
        .value_kind:     global_buffer
      - .actual_access:  read_only
        .address_space:  global
        .offset:         24
        .size:           8
        .value_kind:     global_buffer
      - .offset:         32
        .size:           4
        .value_kind:     by_value
      - .offset:         36
        .size:           4
        .value_kind:     by_value
      - .actual_access:  read_only
        .address_space:  global
        .offset:         40
        .size:           8
        .value_kind:     global_buffer
      - .actual_access:  read_only
        .address_space:  global
        .offset:         48
        .size:           8
        .value_kind:     global_buffer
      - .offset:         56
        .size:           4
        .value_kind:     by_value
      - .actual_access:  read_only
        .address_space:  global
        .offset:         64
        .size:           8
        .value_kind:     global_buffer
      - .offset:         72
        .size:           4
        .value_kind:     by_value
      - .offset:         76
        .size:           4
        .value_kind:     by_value
      - .offset:         80
        .size:           4
        .value_kind:     by_value
      - .address_space:  global
        .offset:         88
        .size:           8
        .value_kind:     global_buffer
      - .address_space:  global
        .offset:         96
        .size:           8
        .value_kind:     global_buffer
      - .offset:         104
        .size:           4
        .value_kind:     by_value
      - .offset:         108
        .size:           4
        .value_kind:     by_value
      - .offset:         112
        .size:           4
        .value_kind:     by_value
      - .offset:         116
        .size:           4
        .value_kind:     by_value
      - .offset:         120
        .size:           4
        .value_kind:     by_value
      - .offset:         128
        .size:           4
        .value_kind:     hidden_block_count_x
      - .offset:         132
        .size:           4
        .value_kind:     hidden_block_count_y
      - .offset:         136
        .size:           4
        .value_kind:     hidden_block_count_z
      - .offset:         140
        .size:           2
        .value_kind:     hidden_group_size_x
      - .offset:         142
        .size:           2
        .value_kind:     hidden_group_size_y
      - .offset:         144
        .size:           2
        .value_kind:     hidden_group_size_z
      - .offset:         146
        .size:           2
        .value_kind:     hidden_remainder_x
      - .offset:         148
        .size:           2
        .value_kind:     hidden_remainder_y
      - .offset:         150
        .size:           2
        .value_kind:     hidden_remainder_z
      - .offset:         168
        .size:           8
        .value_kind:     hidden_global_offset_x
      - .offset:         176
        .size:           8
        .value_kind:     hidden_global_offset_y
      - .offset:         184
        .size:           8
        .value_kind:     hidden_global_offset_z
      - .offset:         192
        .size:           2
        .value_kind:     hidden_grid_dims
      - .offset:         248
        .size:           4
        .value_kind:     hidden_dynamic_lds_size
    .group_segment_fixed_size: 544
    .kernarg_segment_align: 8
    .kernarg_segment_size: 384
    .language:       OpenCL C
    .language_version:
      - 2
      - 0
    .max_flat_workgroup_size: 1024
    .name:           _ZN4vllm25paged_attention_v1_kernelIffLi128ELi8ELi128ELNS_18Fp8KVCacheDataTypeE0ELb1EEEvPT_PKS2_PKT0_S8_ifPKiSA_iPKfiiiSC_SC_iiiii
    .private_segment_fixed_size: 0
    .sgpr_count:     42
    .sgpr_spill_count: 0
    .symbol:         _ZN4vllm25paged_attention_v1_kernelIffLi128ELi8ELi128ELNS_18Fp8KVCacheDataTypeE0ELb1EEEvPT_PKS2_PKT0_S8_ifPKiSA_iPKfiiiSC_SC_iiiii.kd
    .uniform_work_group_size: 1
    .uses_dynamic_stack: false
    .vgpr_count:     62
    .vgpr_spill_count: 0
    .wavefront_size: 32
  - .args:
      - .actual_access:  write_only
        .address_space:  global
        .offset:         0
        .size:           8
        .value_kind:     global_buffer
      - .actual_access:  read_only
        .address_space:  global
        .offset:         8
        .size:           8
        .value_kind:     global_buffer
      - .actual_access:  read_only
        .address_space:  global
        .offset:         16
        .size:           8
        .value_kind:     global_buffer
      - .actual_access:  read_only
        .address_space:  global
        .offset:         24
        .size:           8
        .value_kind:     global_buffer
      - .offset:         32
        .size:           4
        .value_kind:     by_value
      - .offset:         36
        .size:           4
        .value_kind:     by_value
      - .actual_access:  read_only
        .address_space:  global
        .offset:         40
        .size:           8
        .value_kind:     global_buffer
      - .actual_access:  read_only
        .address_space:  global
        .offset:         48
        .size:           8
        .value_kind:     global_buffer
      - .offset:         56
        .size:           4
        .value_kind:     by_value
      - .actual_access:  read_only
        .address_space:  global
        .offset:         64
        .size:           8
        .value_kind:     global_buffer
      - .offset:         72
        .size:           4
        .value_kind:     by_value
      - .offset:         76
        .size:           4
        .value_kind:     by_value
      - .offset:         80
        .size:           4
        .value_kind:     by_value
      - .address_space:  global
        .offset:         88
        .size:           8
        .value_kind:     global_buffer
      - .address_space:  global
        .offset:         96
        .size:           8
        .value_kind:     global_buffer
      - .offset:         104
        .size:           4
        .value_kind:     by_value
      - .offset:         108
        .size:           4
        .value_kind:     by_value
      - .offset:         112
        .size:           4
        .value_kind:     by_value
      - .offset:         116
        .size:           4
        .value_kind:     by_value
      - .offset:         120
        .size:           4
        .value_kind:     by_value
      - .offset:         128
        .size:           4
        .value_kind:     hidden_block_count_x
      - .offset:         132
        .size:           4
        .value_kind:     hidden_block_count_y
      - .offset:         136
        .size:           4
        .value_kind:     hidden_block_count_z
      - .offset:         140
        .size:           2
        .value_kind:     hidden_group_size_x
      - .offset:         142
        .size:           2
        .value_kind:     hidden_group_size_y
      - .offset:         144
        .size:           2
        .value_kind:     hidden_group_size_z
      - .offset:         146
        .size:           2
        .value_kind:     hidden_remainder_x
      - .offset:         148
        .size:           2
        .value_kind:     hidden_remainder_y
      - .offset:         150
        .size:           2
        .value_kind:     hidden_remainder_z
      - .offset:         168
        .size:           8
        .value_kind:     hidden_global_offset_x
      - .offset:         176
        .size:           8
        .value_kind:     hidden_global_offset_y
      - .offset:         184
        .size:           8
        .value_kind:     hidden_global_offset_z
      - .offset:         192
        .size:           2
        .value_kind:     hidden_grid_dims
      - .offset:         248
        .size:           4
        .value_kind:     hidden_dynamic_lds_size
    .group_segment_fixed_size: 800
    .kernarg_segment_align: 8
    .kernarg_segment_size: 384
    .language:       OpenCL C
    .language_version:
      - 2
      - 0
    .max_flat_workgroup_size: 1024
    .name:           _ZN4vllm25paged_attention_v1_kernelIffLi192ELi8ELi128ELNS_18Fp8KVCacheDataTypeE0ELb1EEEvPT_PKS2_PKT0_S8_ifPKiSA_iPKfiiiSC_SC_iiiii
    .private_segment_fixed_size: 0
    .sgpr_count:     42
    .sgpr_spill_count: 0
    .symbol:         _ZN4vllm25paged_attention_v1_kernelIffLi192ELi8ELi128ELNS_18Fp8KVCacheDataTypeE0ELb1EEEvPT_PKS2_PKT0_S8_ifPKiSA_iPKfiiiSC_SC_iiiii.kd
    .uniform_work_group_size: 1
    .uses_dynamic_stack: false
    .vgpr_count:     82
    .vgpr_spill_count: 0
    .wavefront_size: 32
  - .args:
      - .actual_access:  write_only
        .address_space:  global
        .offset:         0
        .size:           8
        .value_kind:     global_buffer
      - .actual_access:  read_only
        .address_space:  global
        .offset:         8
        .size:           8
        .value_kind:     global_buffer
      - .actual_access:  read_only
        .address_space:  global
        .offset:         16
        .size:           8
        .value_kind:     global_buffer
      - .actual_access:  read_only
        .address_space:  global
        .offset:         24
        .size:           8
        .value_kind:     global_buffer
      - .offset:         32
        .size:           4
        .value_kind:     by_value
      - .offset:         36
        .size:           4
        .value_kind:     by_value
      - .actual_access:  read_only
        .address_space:  global
        .offset:         40
        .size:           8
        .value_kind:     global_buffer
      - .actual_access:  read_only
        .address_space:  global
        .offset:         48
        .size:           8
        .value_kind:     global_buffer
      - .offset:         56
        .size:           4
        .value_kind:     by_value
      - .actual_access:  read_only
        .address_space:  global
        .offset:         64
        .size:           8
        .value_kind:     global_buffer
      - .offset:         72
        .size:           4
        .value_kind:     by_value
      - .offset:         76
        .size:           4
        .value_kind:     by_value
      - .offset:         80
        .size:           4
        .value_kind:     by_value
      - .address_space:  global
        .offset:         88
        .size:           8
        .value_kind:     global_buffer
      - .address_space:  global
        .offset:         96
        .size:           8
        .value_kind:     global_buffer
      - .offset:         104
        .size:           4
        .value_kind:     by_value
      - .offset:         108
        .size:           4
        .value_kind:     by_value
      - .offset:         112
        .size:           4
        .value_kind:     by_value
      - .offset:         116
        .size:           4
        .value_kind:     by_value
      - .offset:         120
        .size:           4
        .value_kind:     by_value
      - .offset:         128
        .size:           4
        .value_kind:     hidden_block_count_x
      - .offset:         132
        .size:           4
        .value_kind:     hidden_block_count_y
      - .offset:         136
        .size:           4
        .value_kind:     hidden_block_count_z
      - .offset:         140
        .size:           2
        .value_kind:     hidden_group_size_x
      - .offset:         142
        .size:           2
        .value_kind:     hidden_group_size_y
      - .offset:         144
        .size:           2
        .value_kind:     hidden_group_size_z
      - .offset:         146
        .size:           2
        .value_kind:     hidden_remainder_x
      - .offset:         148
        .size:           2
        .value_kind:     hidden_remainder_y
      - .offset:         150
        .size:           2
        .value_kind:     hidden_remainder_z
      - .offset:         168
        .size:           8
        .value_kind:     hidden_global_offset_x
      - .offset:         176
        .size:           8
        .value_kind:     hidden_global_offset_y
      - .offset:         184
        .size:           8
        .value_kind:     hidden_global_offset_z
      - .offset:         192
        .size:           2
        .value_kind:     hidden_grid_dims
      - .offset:         248
        .size:           4
        .value_kind:     hidden_dynamic_lds_size
    .group_segment_fixed_size: 1056
    .kernarg_segment_align: 8
    .kernarg_segment_size: 384
    .language:       OpenCL C
    .language_version:
      - 2
      - 0
    .max_flat_workgroup_size: 1024
    .name:           _ZN4vllm25paged_attention_v1_kernelIffLi256ELi8ELi128ELNS_18Fp8KVCacheDataTypeE0ELb1EEEvPT_PKS2_PKT0_S8_ifPKiSA_iPKfiiiSC_SC_iiiii
    .private_segment_fixed_size: 0
    .sgpr_count:     42
    .sgpr_spill_count: 0
    .symbol:         _ZN4vllm25paged_attention_v1_kernelIffLi256ELi8ELi128ELNS_18Fp8KVCacheDataTypeE0ELb1EEEvPT_PKS2_PKT0_S8_ifPKiSA_iPKfiiiSC_SC_iiiii.kd
    .uniform_work_group_size: 1
    .uses_dynamic_stack: false
    .vgpr_count:     102
    .vgpr_spill_count: 0
    .wavefront_size: 32
  - .args:
      - .actual_access:  write_only
        .address_space:  global
        .offset:         0
        .size:           8
        .value_kind:     global_buffer
      - .actual_access:  read_only
        .address_space:  global
        .offset:         8
        .size:           8
        .value_kind:     global_buffer
      - .actual_access:  read_only
        .address_space:  global
        .offset:         16
        .size:           8
        .value_kind:     global_buffer
      - .actual_access:  read_only
        .address_space:  global
        .offset:         24
        .size:           8
        .value_kind:     global_buffer
      - .offset:         32
        .size:           4
        .value_kind:     by_value
      - .offset:         36
        .size:           4
        .value_kind:     by_value
      - .actual_access:  read_only
        .address_space:  global
        .offset:         40
        .size:           8
        .value_kind:     global_buffer
      - .actual_access:  read_only
        .address_space:  global
        .offset:         48
        .size:           8
        .value_kind:     global_buffer
      - .offset:         56
        .size:           4
        .value_kind:     by_value
      - .actual_access:  read_only
        .address_space:  global
        .offset:         64
        .size:           8
        .value_kind:     global_buffer
      - .offset:         72
        .size:           4
        .value_kind:     by_value
      - .offset:         76
        .size:           4
        .value_kind:     by_value
      - .offset:         80
        .size:           4
        .value_kind:     by_value
      - .address_space:  global
        .offset:         88
        .size:           8
        .value_kind:     global_buffer
      - .address_space:  global
        .offset:         96
        .size:           8
        .value_kind:     global_buffer
      - .offset:         104
        .size:           4
        .value_kind:     by_value
      - .offset:         108
        .size:           4
        .value_kind:     by_value
      - .offset:         112
        .size:           4
        .value_kind:     by_value
      - .offset:         116
        .size:           4
        .value_kind:     by_value
      - .offset:         120
        .size:           4
        .value_kind:     by_value
      - .offset:         128
        .size:           4
        .value_kind:     hidden_block_count_x
      - .offset:         132
        .size:           4
        .value_kind:     hidden_block_count_y
      - .offset:         136
        .size:           4
        .value_kind:     hidden_block_count_z
      - .offset:         140
        .size:           2
        .value_kind:     hidden_group_size_x
      - .offset:         142
        .size:           2
        .value_kind:     hidden_group_size_y
      - .offset:         144
        .size:           2
        .value_kind:     hidden_group_size_z
      - .offset:         146
        .size:           2
        .value_kind:     hidden_remainder_x
      - .offset:         148
        .size:           2
        .value_kind:     hidden_remainder_y
      - .offset:         150
        .size:           2
        .value_kind:     hidden_remainder_z
      - .offset:         168
        .size:           8
        .value_kind:     hidden_global_offset_x
      - .offset:         176
        .size:           8
        .value_kind:     hidden_global_offset_y
      - .offset:         184
        .size:           8
        .value_kind:     hidden_global_offset_z
      - .offset:         192
        .size:           2
        .value_kind:     hidden_grid_dims
      - .offset:         248
        .size:           4
        .value_kind:     hidden_dynamic_lds_size
    .group_segment_fixed_size: 160
    .kernarg_segment_align: 8
    .kernarg_segment_size: 384
    .language:       OpenCL C
    .language_version:
      - 2
      - 0
    .max_flat_workgroup_size: 1024
    .name:           _ZN4vllm25paged_attention_v1_kernelIffLi32ELi8ELi128ELNS_18Fp8KVCacheDataTypeE0ELb0EEEvPT_PKS2_PKT0_S8_ifPKiSA_iPKfiiiSC_SC_iiiii
    .private_segment_fixed_size: 0
    .sgpr_count:     32
    .sgpr_spill_count: 0
    .symbol:         _ZN4vllm25paged_attention_v1_kernelIffLi32ELi8ELi128ELNS_18Fp8KVCacheDataTypeE0ELb0EEEvPT_PKS2_PKT0_S8_ifPKiSA_iPKfiiiSC_SC_iiiii.kd
    .uniform_work_group_size: 1
    .uses_dynamic_stack: false
    .vgpr_count:     34
    .vgpr_spill_count: 0
    .wavefront_size: 32
  - .args:
      - .actual_access:  write_only
        .address_space:  global
        .offset:         0
        .size:           8
        .value_kind:     global_buffer
      - .actual_access:  read_only
        .address_space:  global
        .offset:         8
        .size:           8
        .value_kind:     global_buffer
      - .actual_access:  read_only
        .address_space:  global
        .offset:         16
        .size:           8
        .value_kind:     global_buffer
      - .actual_access:  read_only
        .address_space:  global
        .offset:         24
        .size:           8
        .value_kind:     global_buffer
      - .offset:         32
        .size:           4
        .value_kind:     by_value
      - .offset:         36
        .size:           4
        .value_kind:     by_value
      - .actual_access:  read_only
        .address_space:  global
        .offset:         40
        .size:           8
        .value_kind:     global_buffer
      - .actual_access:  read_only
        .address_space:  global
        .offset:         48
        .size:           8
        .value_kind:     global_buffer
      - .offset:         56
        .size:           4
        .value_kind:     by_value
      - .actual_access:  read_only
        .address_space:  global
        .offset:         64
        .size:           8
        .value_kind:     global_buffer
      - .offset:         72
        .size:           4
        .value_kind:     by_value
      - .offset:         76
        .size:           4
        .value_kind:     by_value
      - .offset:         80
        .size:           4
        .value_kind:     by_value
      - .address_space:  global
        .offset:         88
        .size:           8
        .value_kind:     global_buffer
      - .address_space:  global
        .offset:         96
        .size:           8
        .value_kind:     global_buffer
      - .offset:         104
        .size:           4
        .value_kind:     by_value
      - .offset:         108
        .size:           4
        .value_kind:     by_value
      - .offset:         112
        .size:           4
        .value_kind:     by_value
      - .offset:         116
        .size:           4
        .value_kind:     by_value
      - .offset:         120
        .size:           4
        .value_kind:     by_value
      - .offset:         128
        .size:           4
        .value_kind:     hidden_block_count_x
      - .offset:         132
        .size:           4
        .value_kind:     hidden_block_count_y
      - .offset:         136
        .size:           4
        .value_kind:     hidden_block_count_z
      - .offset:         140
        .size:           2
        .value_kind:     hidden_group_size_x
      - .offset:         142
        .size:           2
        .value_kind:     hidden_group_size_y
      - .offset:         144
        .size:           2
        .value_kind:     hidden_group_size_z
      - .offset:         146
        .size:           2
        .value_kind:     hidden_remainder_x
      - .offset:         148
        .size:           2
        .value_kind:     hidden_remainder_y
      - .offset:         150
        .size:           2
        .value_kind:     hidden_remainder_z
      - .offset:         168
        .size:           8
        .value_kind:     hidden_global_offset_x
      - .offset:         176
        .size:           8
        .value_kind:     hidden_global_offset_y
      - .offset:         184
        .size:           8
        .value_kind:     hidden_global_offset_z
      - .offset:         192
        .size:           2
        .value_kind:     hidden_grid_dims
      - .offset:         248
        .size:           4
        .value_kind:     hidden_dynamic_lds_size
    .group_segment_fixed_size: 288
    .kernarg_segment_align: 8
    .kernarg_segment_size: 384
    .language:       OpenCL C
    .language_version:
      - 2
      - 0
    .max_flat_workgroup_size: 1024
    .name:           _ZN4vllm25paged_attention_v1_kernelIffLi64ELi8ELi128ELNS_18Fp8KVCacheDataTypeE0ELb0EEEvPT_PKS2_PKT0_S8_ifPKiSA_iPKfiiiSC_SC_iiiii
    .private_segment_fixed_size: 0
    .sgpr_count:     32
    .sgpr_spill_count: 0
    .symbol:         _ZN4vllm25paged_attention_v1_kernelIffLi64ELi8ELi128ELNS_18Fp8KVCacheDataTypeE0ELb0EEEvPT_PKS2_PKT0_S8_ifPKiSA_iPKfiiiSC_SC_iiiii.kd
    .uniform_work_group_size: 1
    .uses_dynamic_stack: false
    .vgpr_count:     49
    .vgpr_spill_count: 0
    .wavefront_size: 32
  - .args:
      - .actual_access:  write_only
        .address_space:  global
        .offset:         0
        .size:           8
        .value_kind:     global_buffer
      - .actual_access:  read_only
        .address_space:  global
        .offset:         8
        .size:           8
        .value_kind:     global_buffer
      - .actual_access:  read_only
        .address_space:  global
        .offset:         16
        .size:           8
        .value_kind:     global_buffer
      - .actual_access:  read_only
        .address_space:  global
        .offset:         24
        .size:           8
        .value_kind:     global_buffer
      - .offset:         32
        .size:           4
        .value_kind:     by_value
      - .offset:         36
        .size:           4
        .value_kind:     by_value
      - .actual_access:  read_only
        .address_space:  global
        .offset:         40
        .size:           8
        .value_kind:     global_buffer
      - .actual_access:  read_only
        .address_space:  global
        .offset:         48
        .size:           8
        .value_kind:     global_buffer
      - .offset:         56
        .size:           4
        .value_kind:     by_value
      - .actual_access:  read_only
        .address_space:  global
        .offset:         64
        .size:           8
        .value_kind:     global_buffer
      - .offset:         72
        .size:           4
        .value_kind:     by_value
      - .offset:         76
        .size:           4
        .value_kind:     by_value
      - .offset:         80
        .size:           4
        .value_kind:     by_value
      - .address_space:  global
        .offset:         88
        .size:           8
        .value_kind:     global_buffer
      - .address_space:  global
        .offset:         96
        .size:           8
        .value_kind:     global_buffer
      - .offset:         104
        .size:           4
        .value_kind:     by_value
      - .offset:         108
        .size:           4
        .value_kind:     by_value
      - .offset:         112
        .size:           4
        .value_kind:     by_value
      - .offset:         116
        .size:           4
        .value_kind:     by_value
      - .offset:         120
        .size:           4
        .value_kind:     by_value
      - .offset:         128
        .size:           4
        .value_kind:     hidden_block_count_x
      - .offset:         132
        .size:           4
        .value_kind:     hidden_block_count_y
      - .offset:         136
        .size:           4
        .value_kind:     hidden_block_count_z
      - .offset:         140
        .size:           2
        .value_kind:     hidden_group_size_x
      - .offset:         142
        .size:           2
        .value_kind:     hidden_group_size_y
      - .offset:         144
        .size:           2
        .value_kind:     hidden_group_size_z
      - .offset:         146
        .size:           2
        .value_kind:     hidden_remainder_x
      - .offset:         148
        .size:           2
        .value_kind:     hidden_remainder_y
      - .offset:         150
        .size:           2
        .value_kind:     hidden_remainder_z
      - .offset:         168
        .size:           8
        .value_kind:     hidden_global_offset_x
      - .offset:         176
        .size:           8
        .value_kind:     hidden_global_offset_y
      - .offset:         184
        .size:           8
        .value_kind:     hidden_global_offset_z
      - .offset:         192
        .size:           2
        .value_kind:     hidden_grid_dims
      - .offset:         248
        .size:           4
        .value_kind:     hidden_dynamic_lds_size
    .group_segment_fixed_size: 352
    .kernarg_segment_align: 8
    .kernarg_segment_size: 384
    .language:       OpenCL C
    .language_version:
      - 2
      - 0
    .max_flat_workgroup_size: 1024
    .name:           _ZN4vllm25paged_attention_v1_kernelIffLi80ELi8ELi128ELNS_18Fp8KVCacheDataTypeE0ELb0EEEvPT_PKS2_PKT0_S8_ifPKiSA_iPKfiiiSC_SC_iiiii
    .private_segment_fixed_size: 0
    .sgpr_count:     32
    .sgpr_spill_count: 0
    .symbol:         _ZN4vllm25paged_attention_v1_kernelIffLi80ELi8ELi128ELNS_18Fp8KVCacheDataTypeE0ELb0EEEvPT_PKS2_PKT0_S8_ifPKiSA_iPKfiiiSC_SC_iiiii.kd
    .uniform_work_group_size: 1
    .uses_dynamic_stack: false
    .vgpr_count:     58
    .vgpr_spill_count: 0
    .wavefront_size: 32
  - .args:
      - .actual_access:  write_only
        .address_space:  global
        .offset:         0
        .size:           8
        .value_kind:     global_buffer
      - .actual_access:  read_only
        .address_space:  global
        .offset:         8
        .size:           8
        .value_kind:     global_buffer
      - .actual_access:  read_only
        .address_space:  global
        .offset:         16
        .size:           8
        .value_kind:     global_buffer
      - .actual_access:  read_only
        .address_space:  global
        .offset:         24
        .size:           8
        .value_kind:     global_buffer
      - .offset:         32
        .size:           4
        .value_kind:     by_value
      - .offset:         36
        .size:           4
        .value_kind:     by_value
      - .actual_access:  read_only
        .address_space:  global
        .offset:         40
        .size:           8
        .value_kind:     global_buffer
      - .actual_access:  read_only
        .address_space:  global
        .offset:         48
        .size:           8
        .value_kind:     global_buffer
      - .offset:         56
        .size:           4
        .value_kind:     by_value
      - .actual_access:  read_only
        .address_space:  global
        .offset:         64
        .size:           8
        .value_kind:     global_buffer
      - .offset:         72
        .size:           4
        .value_kind:     by_value
      - .offset:         76
        .size:           4
        .value_kind:     by_value
      - .offset:         80
        .size:           4
        .value_kind:     by_value
      - .address_space:  global
        .offset:         88
        .size:           8
        .value_kind:     global_buffer
      - .address_space:  global
        .offset:         96
        .size:           8
        .value_kind:     global_buffer
      - .offset:         104
        .size:           4
        .value_kind:     by_value
      - .offset:         108
        .size:           4
        .value_kind:     by_value
      - .offset:         112
        .size:           4
        .value_kind:     by_value
      - .offset:         116
        .size:           4
        .value_kind:     by_value
      - .offset:         120
        .size:           4
        .value_kind:     by_value
      - .offset:         128
        .size:           4
        .value_kind:     hidden_block_count_x
      - .offset:         132
        .size:           4
        .value_kind:     hidden_block_count_y
      - .offset:         136
        .size:           4
        .value_kind:     hidden_block_count_z
      - .offset:         140
        .size:           2
        .value_kind:     hidden_group_size_x
      - .offset:         142
        .size:           2
        .value_kind:     hidden_group_size_y
      - .offset:         144
        .size:           2
        .value_kind:     hidden_group_size_z
      - .offset:         146
        .size:           2
        .value_kind:     hidden_remainder_x
      - .offset:         148
        .size:           2
        .value_kind:     hidden_remainder_y
      - .offset:         150
        .size:           2
        .value_kind:     hidden_remainder_z
      - .offset:         168
        .size:           8
        .value_kind:     hidden_global_offset_x
      - .offset:         176
        .size:           8
        .value_kind:     hidden_global_offset_y
      - .offset:         184
        .size:           8
        .value_kind:     hidden_global_offset_z
      - .offset:         192
        .size:           2
        .value_kind:     hidden_grid_dims
      - .offset:         248
        .size:           4
        .value_kind:     hidden_dynamic_lds_size
    .group_segment_fixed_size: 416
    .kernarg_segment_align: 8
    .kernarg_segment_size: 384
    .language:       OpenCL C
    .language_version:
      - 2
      - 0
    .max_flat_workgroup_size: 1024
    .name:           _ZN4vllm25paged_attention_v1_kernelIffLi96ELi8ELi128ELNS_18Fp8KVCacheDataTypeE0ELb0EEEvPT_PKS2_PKT0_S8_ifPKiSA_iPKfiiiSC_SC_iiiii
    .private_segment_fixed_size: 0
    .sgpr_count:     32
    .sgpr_spill_count: 0
    .symbol:         _ZN4vllm25paged_attention_v1_kernelIffLi96ELi8ELi128ELNS_18Fp8KVCacheDataTypeE0ELb0EEEvPT_PKS2_PKT0_S8_ifPKiSA_iPKfiiiSC_SC_iiiii.kd
    .uniform_work_group_size: 1
    .uses_dynamic_stack: false
    .vgpr_count:     65
    .vgpr_spill_count: 0
    .wavefront_size: 32
  - .args:
      - .actual_access:  write_only
        .address_space:  global
        .offset:         0
        .size:           8
        .value_kind:     global_buffer
      - .actual_access:  read_only
        .address_space:  global
        .offset:         8
        .size:           8
        .value_kind:     global_buffer
      - .actual_access:  read_only
        .address_space:  global
        .offset:         16
        .size:           8
        .value_kind:     global_buffer
      - .actual_access:  read_only
        .address_space:  global
        .offset:         24
        .size:           8
        .value_kind:     global_buffer
      - .offset:         32
        .size:           4
        .value_kind:     by_value
      - .offset:         36
        .size:           4
        .value_kind:     by_value
      - .actual_access:  read_only
        .address_space:  global
        .offset:         40
        .size:           8
        .value_kind:     global_buffer
      - .actual_access:  read_only
        .address_space:  global
        .offset:         48
        .size:           8
        .value_kind:     global_buffer
      - .offset:         56
        .size:           4
        .value_kind:     by_value
      - .actual_access:  read_only
        .address_space:  global
        .offset:         64
        .size:           8
        .value_kind:     global_buffer
      - .offset:         72
        .size:           4
        .value_kind:     by_value
      - .offset:         76
        .size:           4
        .value_kind:     by_value
      - .offset:         80
        .size:           4
        .value_kind:     by_value
      - .address_space:  global
        .offset:         88
        .size:           8
        .value_kind:     global_buffer
      - .address_space:  global
        .offset:         96
        .size:           8
        .value_kind:     global_buffer
      - .offset:         104
        .size:           4
        .value_kind:     by_value
      - .offset:         108
        .size:           4
        .value_kind:     by_value
      - .offset:         112
        .size:           4
        .value_kind:     by_value
      - .offset:         116
        .size:           4
        .value_kind:     by_value
      - .offset:         120
        .size:           4
        .value_kind:     by_value
      - .offset:         128
        .size:           4
        .value_kind:     hidden_block_count_x
      - .offset:         132
        .size:           4
        .value_kind:     hidden_block_count_y
      - .offset:         136
        .size:           4
        .value_kind:     hidden_block_count_z
      - .offset:         140
        .size:           2
        .value_kind:     hidden_group_size_x
      - .offset:         142
        .size:           2
        .value_kind:     hidden_group_size_y
      - .offset:         144
        .size:           2
        .value_kind:     hidden_group_size_z
      - .offset:         146
        .size:           2
        .value_kind:     hidden_remainder_x
      - .offset:         148
        .size:           2
        .value_kind:     hidden_remainder_y
      - .offset:         150
        .size:           2
        .value_kind:     hidden_remainder_z
      - .offset:         168
        .size:           8
        .value_kind:     hidden_global_offset_x
      - .offset:         176
        .size:           8
        .value_kind:     hidden_global_offset_y
      - .offset:         184
        .size:           8
        .value_kind:     hidden_global_offset_z
      - .offset:         192
        .size:           2
        .value_kind:     hidden_grid_dims
      - .offset:         248
        .size:           4
        .value_kind:     hidden_dynamic_lds_size
    .group_segment_fixed_size: 480
    .kernarg_segment_align: 8
    .kernarg_segment_size: 384
    .language:       OpenCL C
    .language_version:
      - 2
      - 0
    .max_flat_workgroup_size: 1024
    .name:           _ZN4vllm25paged_attention_v1_kernelIffLi112ELi8ELi128ELNS_18Fp8KVCacheDataTypeE0ELb0EEEvPT_PKS2_PKT0_S8_ifPKiSA_iPKfiiiSC_SC_iiiii
    .private_segment_fixed_size: 0
    .sgpr_count:     32
    .sgpr_spill_count: 0
    .symbol:         _ZN4vllm25paged_attention_v1_kernelIffLi112ELi8ELi128ELNS_18Fp8KVCacheDataTypeE0ELb0EEEvPT_PKS2_PKT0_S8_ifPKiSA_iPKfiiiSC_SC_iiiii.kd
    .uniform_work_group_size: 1
    .uses_dynamic_stack: false
    .vgpr_count:     73
    .vgpr_spill_count: 0
    .wavefront_size: 32
  - .args:
      - .actual_access:  write_only
        .address_space:  global
        .offset:         0
        .size:           8
        .value_kind:     global_buffer
      - .actual_access:  read_only
        .address_space:  global
        .offset:         8
        .size:           8
        .value_kind:     global_buffer
      - .actual_access:  read_only
        .address_space:  global
        .offset:         16
        .size:           8
        .value_kind:     global_buffer
      - .actual_access:  read_only
        .address_space:  global
        .offset:         24
        .size:           8
        .value_kind:     global_buffer
      - .offset:         32
        .size:           4
        .value_kind:     by_value
      - .offset:         36
        .size:           4
        .value_kind:     by_value
      - .actual_access:  read_only
        .address_space:  global
        .offset:         40
        .size:           8
        .value_kind:     global_buffer
      - .actual_access:  read_only
        .address_space:  global
        .offset:         48
        .size:           8
        .value_kind:     global_buffer
      - .offset:         56
        .size:           4
        .value_kind:     by_value
      - .actual_access:  read_only
        .address_space:  global
        .offset:         64
        .size:           8
        .value_kind:     global_buffer
      - .offset:         72
        .size:           4
        .value_kind:     by_value
      - .offset:         76
        .size:           4
        .value_kind:     by_value
      - .offset:         80
        .size:           4
        .value_kind:     by_value
      - .address_space:  global
        .offset:         88
        .size:           8
        .value_kind:     global_buffer
      - .address_space:  global
        .offset:         96
        .size:           8
        .value_kind:     global_buffer
      - .offset:         104
        .size:           4
        .value_kind:     by_value
      - .offset:         108
        .size:           4
        .value_kind:     by_value
      - .offset:         112
        .size:           4
        .value_kind:     by_value
      - .offset:         116
        .size:           4
        .value_kind:     by_value
      - .offset:         120
        .size:           4
        .value_kind:     by_value
      - .offset:         128
        .size:           4
        .value_kind:     hidden_block_count_x
      - .offset:         132
        .size:           4
        .value_kind:     hidden_block_count_y
      - .offset:         136
        .size:           4
        .value_kind:     hidden_block_count_z
      - .offset:         140
        .size:           2
        .value_kind:     hidden_group_size_x
      - .offset:         142
        .size:           2
        .value_kind:     hidden_group_size_y
      - .offset:         144
        .size:           2
        .value_kind:     hidden_group_size_z
      - .offset:         146
        .size:           2
        .value_kind:     hidden_remainder_x
      - .offset:         148
        .size:           2
        .value_kind:     hidden_remainder_y
      - .offset:         150
        .size:           2
        .value_kind:     hidden_remainder_z
      - .offset:         168
        .size:           8
        .value_kind:     hidden_global_offset_x
      - .offset:         176
        .size:           8
        .value_kind:     hidden_global_offset_y
      - .offset:         184
        .size:           8
        .value_kind:     hidden_global_offset_z
      - .offset:         192
        .size:           2
        .value_kind:     hidden_grid_dims
      - .offset:         248
        .size:           4
        .value_kind:     hidden_dynamic_lds_size
    .group_segment_fixed_size: 512
    .kernarg_segment_align: 8
    .kernarg_segment_size: 384
    .language:       OpenCL C
    .language_version:
      - 2
      - 0
    .max_flat_workgroup_size: 1024
    .name:           _ZN4vllm25paged_attention_v1_kernelIffLi120ELi8ELi128ELNS_18Fp8KVCacheDataTypeE0ELb0EEEvPT_PKS2_PKT0_S8_ifPKiSA_iPKfiiiSC_SC_iiiii
    .private_segment_fixed_size: 0
    .sgpr_count:     32
    .sgpr_spill_count: 0
    .symbol:         _ZN4vllm25paged_attention_v1_kernelIffLi120ELi8ELi128ELNS_18Fp8KVCacheDataTypeE0ELb0EEEvPT_PKS2_PKT0_S8_ifPKiSA_iPKfiiiSC_SC_iiiii.kd
    .uniform_work_group_size: 1
    .uses_dynamic_stack: false
    .vgpr_count:     77
    .vgpr_spill_count: 0
    .wavefront_size: 32
  - .args:
      - .actual_access:  write_only
        .address_space:  global
        .offset:         0
        .size:           8
        .value_kind:     global_buffer
      - .actual_access:  read_only
        .address_space:  global
        .offset:         8
        .size:           8
        .value_kind:     global_buffer
      - .actual_access:  read_only
        .address_space:  global
        .offset:         16
        .size:           8
        .value_kind:     global_buffer
      - .actual_access:  read_only
        .address_space:  global
        .offset:         24
        .size:           8
        .value_kind:     global_buffer
      - .offset:         32
        .size:           4
        .value_kind:     by_value
      - .offset:         36
        .size:           4
        .value_kind:     by_value
      - .actual_access:  read_only
        .address_space:  global
        .offset:         40
        .size:           8
        .value_kind:     global_buffer
      - .actual_access:  read_only
        .address_space:  global
        .offset:         48
        .size:           8
        .value_kind:     global_buffer
      - .offset:         56
        .size:           4
        .value_kind:     by_value
      - .actual_access:  read_only
        .address_space:  global
        .offset:         64
        .size:           8
        .value_kind:     global_buffer
      - .offset:         72
        .size:           4
        .value_kind:     by_value
      - .offset:         76
        .size:           4
        .value_kind:     by_value
      - .offset:         80
        .size:           4
        .value_kind:     by_value
      - .address_space:  global
        .offset:         88
        .size:           8
        .value_kind:     global_buffer
      - .address_space:  global
        .offset:         96
        .size:           8
        .value_kind:     global_buffer
      - .offset:         104
        .size:           4
        .value_kind:     by_value
      - .offset:         108
        .size:           4
        .value_kind:     by_value
      - .offset:         112
        .size:           4
        .value_kind:     by_value
      - .offset:         116
        .size:           4
        .value_kind:     by_value
      - .offset:         120
        .size:           4
        .value_kind:     by_value
      - .offset:         128
        .size:           4
        .value_kind:     hidden_block_count_x
      - .offset:         132
        .size:           4
        .value_kind:     hidden_block_count_y
      - .offset:         136
        .size:           4
        .value_kind:     hidden_block_count_z
      - .offset:         140
        .size:           2
        .value_kind:     hidden_group_size_x
      - .offset:         142
        .size:           2
        .value_kind:     hidden_group_size_y
      - .offset:         144
        .size:           2
        .value_kind:     hidden_group_size_z
      - .offset:         146
        .size:           2
        .value_kind:     hidden_remainder_x
      - .offset:         148
        .size:           2
        .value_kind:     hidden_remainder_y
      - .offset:         150
        .size:           2
        .value_kind:     hidden_remainder_z
      - .offset:         168
        .size:           8
        .value_kind:     hidden_global_offset_x
      - .offset:         176
        .size:           8
        .value_kind:     hidden_global_offset_y
      - .offset:         184
        .size:           8
        .value_kind:     hidden_global_offset_z
      - .offset:         192
        .size:           2
        .value_kind:     hidden_grid_dims
      - .offset:         248
        .size:           4
        .value_kind:     hidden_dynamic_lds_size
    .group_segment_fixed_size: 544
    .kernarg_segment_align: 8
    .kernarg_segment_size: 384
    .language:       OpenCL C
    .language_version:
      - 2
      - 0
    .max_flat_workgroup_size: 1024
    .name:           _ZN4vllm25paged_attention_v1_kernelIffLi128ELi8ELi128ELNS_18Fp8KVCacheDataTypeE0ELb0EEEvPT_PKS2_PKT0_S8_ifPKiSA_iPKfiiiSC_SC_iiiii
    .private_segment_fixed_size: 0
    .sgpr_count:     32
    .sgpr_spill_count: 0
    .symbol:         _ZN4vllm25paged_attention_v1_kernelIffLi128ELi8ELi128ELNS_18Fp8KVCacheDataTypeE0ELb0EEEvPT_PKS2_PKT0_S8_ifPKiSA_iPKfiiiSC_SC_iiiii.kd
    .uniform_work_group_size: 1
    .uses_dynamic_stack: false
    .vgpr_count:     81
    .vgpr_spill_count: 0
    .wavefront_size: 32
  - .args:
      - .actual_access:  write_only
        .address_space:  global
        .offset:         0
        .size:           8
        .value_kind:     global_buffer
      - .actual_access:  read_only
        .address_space:  global
        .offset:         8
        .size:           8
        .value_kind:     global_buffer
      - .actual_access:  read_only
        .address_space:  global
        .offset:         16
        .size:           8
        .value_kind:     global_buffer
      - .actual_access:  read_only
        .address_space:  global
        .offset:         24
        .size:           8
        .value_kind:     global_buffer
      - .offset:         32
        .size:           4
        .value_kind:     by_value
      - .offset:         36
        .size:           4
        .value_kind:     by_value
      - .actual_access:  read_only
        .address_space:  global
        .offset:         40
        .size:           8
        .value_kind:     global_buffer
      - .actual_access:  read_only
        .address_space:  global
        .offset:         48
        .size:           8
        .value_kind:     global_buffer
      - .offset:         56
        .size:           4
        .value_kind:     by_value
      - .actual_access:  read_only
        .address_space:  global
        .offset:         64
        .size:           8
        .value_kind:     global_buffer
      - .offset:         72
        .size:           4
        .value_kind:     by_value
      - .offset:         76
        .size:           4
        .value_kind:     by_value
      - .offset:         80
        .size:           4
        .value_kind:     by_value
      - .address_space:  global
        .offset:         88
        .size:           8
        .value_kind:     global_buffer
      - .address_space:  global
        .offset:         96
        .size:           8
        .value_kind:     global_buffer
      - .offset:         104
        .size:           4
        .value_kind:     by_value
      - .offset:         108
        .size:           4
        .value_kind:     by_value
      - .offset:         112
        .size:           4
        .value_kind:     by_value
      - .offset:         116
        .size:           4
        .value_kind:     by_value
      - .offset:         120
        .size:           4
        .value_kind:     by_value
      - .offset:         128
        .size:           4
        .value_kind:     hidden_block_count_x
      - .offset:         132
        .size:           4
        .value_kind:     hidden_block_count_y
      - .offset:         136
        .size:           4
        .value_kind:     hidden_block_count_z
      - .offset:         140
        .size:           2
        .value_kind:     hidden_group_size_x
      - .offset:         142
        .size:           2
        .value_kind:     hidden_group_size_y
      - .offset:         144
        .size:           2
        .value_kind:     hidden_group_size_z
      - .offset:         146
        .size:           2
        .value_kind:     hidden_remainder_x
      - .offset:         148
        .size:           2
        .value_kind:     hidden_remainder_y
      - .offset:         150
        .size:           2
        .value_kind:     hidden_remainder_z
      - .offset:         168
        .size:           8
        .value_kind:     hidden_global_offset_x
      - .offset:         176
        .size:           8
        .value_kind:     hidden_global_offset_y
      - .offset:         184
        .size:           8
        .value_kind:     hidden_global_offset_z
      - .offset:         192
        .size:           2
        .value_kind:     hidden_grid_dims
      - .offset:         248
        .size:           4
        .value_kind:     hidden_dynamic_lds_size
    .group_segment_fixed_size: 800
    .kernarg_segment_align: 8
    .kernarg_segment_size: 384
    .language:       OpenCL C
    .language_version:
      - 2
      - 0
    .max_flat_workgroup_size: 1024
    .name:           _ZN4vllm25paged_attention_v1_kernelIffLi192ELi8ELi128ELNS_18Fp8KVCacheDataTypeE0ELb0EEEvPT_PKS2_PKT0_S8_ifPKiSA_iPKfiiiSC_SC_iiiii
    .private_segment_fixed_size: 0
    .sgpr_count:     32
    .sgpr_spill_count: 0
    .symbol:         _ZN4vllm25paged_attention_v1_kernelIffLi192ELi8ELi128ELNS_18Fp8KVCacheDataTypeE0ELb0EEEvPT_PKS2_PKT0_S8_ifPKiSA_iPKfiiiSC_SC_iiiii.kd
    .uniform_work_group_size: 1
    .uses_dynamic_stack: false
    .vgpr_count:     113
    .vgpr_spill_count: 0
    .wavefront_size: 32
  - .args:
      - .actual_access:  write_only
        .address_space:  global
        .offset:         0
        .size:           8
        .value_kind:     global_buffer
      - .actual_access:  read_only
        .address_space:  global
        .offset:         8
        .size:           8
        .value_kind:     global_buffer
      - .actual_access:  read_only
        .address_space:  global
        .offset:         16
        .size:           8
        .value_kind:     global_buffer
      - .actual_access:  read_only
        .address_space:  global
        .offset:         24
        .size:           8
        .value_kind:     global_buffer
      - .offset:         32
        .size:           4
        .value_kind:     by_value
      - .offset:         36
        .size:           4
        .value_kind:     by_value
      - .actual_access:  read_only
        .address_space:  global
        .offset:         40
        .size:           8
        .value_kind:     global_buffer
      - .actual_access:  read_only
        .address_space:  global
        .offset:         48
        .size:           8
        .value_kind:     global_buffer
      - .offset:         56
        .size:           4
        .value_kind:     by_value
      - .actual_access:  read_only
        .address_space:  global
        .offset:         64
        .size:           8
        .value_kind:     global_buffer
      - .offset:         72
        .size:           4
        .value_kind:     by_value
      - .offset:         76
        .size:           4
        .value_kind:     by_value
      - .offset:         80
        .size:           4
        .value_kind:     by_value
      - .address_space:  global
        .offset:         88
        .size:           8
        .value_kind:     global_buffer
      - .address_space:  global
        .offset:         96
        .size:           8
        .value_kind:     global_buffer
      - .offset:         104
        .size:           4
        .value_kind:     by_value
      - .offset:         108
        .size:           4
        .value_kind:     by_value
      - .offset:         112
        .size:           4
        .value_kind:     by_value
      - .offset:         116
        .size:           4
        .value_kind:     by_value
      - .offset:         120
        .size:           4
        .value_kind:     by_value
      - .offset:         128
        .size:           4
        .value_kind:     hidden_block_count_x
      - .offset:         132
        .size:           4
        .value_kind:     hidden_block_count_y
      - .offset:         136
        .size:           4
        .value_kind:     hidden_block_count_z
      - .offset:         140
        .size:           2
        .value_kind:     hidden_group_size_x
      - .offset:         142
        .size:           2
        .value_kind:     hidden_group_size_y
      - .offset:         144
        .size:           2
        .value_kind:     hidden_group_size_z
      - .offset:         146
        .size:           2
        .value_kind:     hidden_remainder_x
      - .offset:         148
        .size:           2
        .value_kind:     hidden_remainder_y
      - .offset:         150
        .size:           2
        .value_kind:     hidden_remainder_z
      - .offset:         168
        .size:           8
        .value_kind:     hidden_global_offset_x
      - .offset:         176
        .size:           8
        .value_kind:     hidden_global_offset_y
      - .offset:         184
        .size:           8
        .value_kind:     hidden_global_offset_z
      - .offset:         192
        .size:           2
        .value_kind:     hidden_grid_dims
      - .offset:         248
        .size:           4
        .value_kind:     hidden_dynamic_lds_size
    .group_segment_fixed_size: 1056
    .kernarg_segment_align: 8
    .kernarg_segment_size: 384
    .language:       OpenCL C
    .language_version:
      - 2
      - 0
    .max_flat_workgroup_size: 1024
    .name:           _ZN4vllm25paged_attention_v1_kernelIffLi256ELi8ELi128ELNS_18Fp8KVCacheDataTypeE0ELb0EEEvPT_PKS2_PKT0_S8_ifPKiSA_iPKfiiiSC_SC_iiiii
    .private_segment_fixed_size: 96
    .sgpr_count:     32
    .sgpr_spill_count: 0
    .symbol:         _ZN4vllm25paged_attention_v1_kernelIffLi256ELi8ELi128ELNS_18Fp8KVCacheDataTypeE0ELb0EEEvPT_PKS2_PKT0_S8_ifPKiSA_iPKfiiiSC_SC_iiiii.kd
    .uniform_work_group_size: 1
    .uses_dynamic_stack: false
    .vgpr_count:     128
    .vgpr_spill_count: 24
    .wavefront_size: 32
  - .args:
      - .actual_access:  write_only
        .address_space:  global
        .offset:         0
        .size:           8
        .value_kind:     global_buffer
      - .actual_access:  read_only
        .address_space:  global
        .offset:         8
        .size:           8
        .value_kind:     global_buffer
      - .actual_access:  read_only
        .address_space:  global
        .offset:         16
        .size:           8
        .value_kind:     global_buffer
      - .actual_access:  read_only
        .address_space:  global
        .offset:         24
        .size:           8
        .value_kind:     global_buffer
      - .offset:         32
        .size:           4
        .value_kind:     by_value
      - .offset:         36
        .size:           4
        .value_kind:     by_value
      - .actual_access:  read_only
        .address_space:  global
        .offset:         40
        .size:           8
        .value_kind:     global_buffer
      - .actual_access:  read_only
        .address_space:  global
        .offset:         48
        .size:           8
        .value_kind:     global_buffer
      - .offset:         56
        .size:           4
        .value_kind:     by_value
      - .actual_access:  read_only
        .address_space:  global
        .offset:         64
        .size:           8
        .value_kind:     global_buffer
      - .offset:         72
        .size:           4
        .value_kind:     by_value
      - .offset:         76
        .size:           4
        .value_kind:     by_value
      - .offset:         80
        .size:           4
        .value_kind:     by_value
      - .address_space:  global
        .offset:         88
        .size:           8
        .value_kind:     global_buffer
      - .address_space:  global
        .offset:         96
        .size:           8
        .value_kind:     global_buffer
      - .offset:         104
        .size:           4
        .value_kind:     by_value
      - .offset:         108
        .size:           4
        .value_kind:     by_value
      - .offset:         112
        .size:           4
        .value_kind:     by_value
      - .offset:         116
        .size:           4
        .value_kind:     by_value
      - .offset:         120
        .size:           4
        .value_kind:     by_value
      - .offset:         128
        .size:           4
        .value_kind:     hidden_block_count_x
      - .offset:         132
        .size:           4
        .value_kind:     hidden_block_count_y
      - .offset:         136
        .size:           4
        .value_kind:     hidden_block_count_z
      - .offset:         140
        .size:           2
        .value_kind:     hidden_group_size_x
      - .offset:         142
        .size:           2
        .value_kind:     hidden_group_size_y
      - .offset:         144
        .size:           2
        .value_kind:     hidden_group_size_z
      - .offset:         146
        .size:           2
        .value_kind:     hidden_remainder_x
      - .offset:         148
        .size:           2
        .value_kind:     hidden_remainder_y
      - .offset:         150
        .size:           2
        .value_kind:     hidden_remainder_z
      - .offset:         168
        .size:           8
        .value_kind:     hidden_global_offset_x
      - .offset:         176
        .size:           8
        .value_kind:     hidden_global_offset_y
      - .offset:         184
        .size:           8
        .value_kind:     hidden_global_offset_z
      - .offset:         192
        .size:           2
        .value_kind:     hidden_grid_dims
      - .offset:         248
        .size:           4
        .value_kind:     hidden_dynamic_lds_size
    .group_segment_fixed_size: 160
    .kernarg_segment_align: 8
    .kernarg_segment_size: 384
    .language:       OpenCL C
    .language_version:
      - 2
      - 0
    .max_flat_workgroup_size: 1024
    .name:           _ZN4vllm25paged_attention_v1_kernelIffLi32ELi16ELi128ELNS_18Fp8KVCacheDataTypeE0ELb1EEEvPT_PKS2_PKT0_S8_ifPKiSA_iPKfiiiSC_SC_iiiii
    .private_segment_fixed_size: 0
    .sgpr_count:     42
    .sgpr_spill_count: 0
    .symbol:         _ZN4vllm25paged_attention_v1_kernelIffLi32ELi16ELi128ELNS_18Fp8KVCacheDataTypeE0ELb1EEEvPT_PKS2_PKT0_S8_ifPKiSA_iPKfiiiSC_SC_iiiii.kd
    .uniform_work_group_size: 1
    .uses_dynamic_stack: false
    .vgpr_count:     52
    .vgpr_spill_count: 0
    .wavefront_size: 32
  - .args:
      - .actual_access:  write_only
        .address_space:  global
        .offset:         0
        .size:           8
        .value_kind:     global_buffer
      - .actual_access:  read_only
        .address_space:  global
        .offset:         8
        .size:           8
        .value_kind:     global_buffer
      - .actual_access:  read_only
        .address_space:  global
        .offset:         16
        .size:           8
        .value_kind:     global_buffer
      - .actual_access:  read_only
        .address_space:  global
        .offset:         24
        .size:           8
        .value_kind:     global_buffer
      - .offset:         32
        .size:           4
        .value_kind:     by_value
      - .offset:         36
        .size:           4
        .value_kind:     by_value
      - .actual_access:  read_only
        .address_space:  global
        .offset:         40
        .size:           8
        .value_kind:     global_buffer
      - .actual_access:  read_only
        .address_space:  global
        .offset:         48
        .size:           8
        .value_kind:     global_buffer
      - .offset:         56
        .size:           4
        .value_kind:     by_value
      - .actual_access:  read_only
        .address_space:  global
        .offset:         64
        .size:           8
        .value_kind:     global_buffer
      - .offset:         72
        .size:           4
        .value_kind:     by_value
      - .offset:         76
        .size:           4
        .value_kind:     by_value
      - .offset:         80
        .size:           4
        .value_kind:     by_value
      - .address_space:  global
        .offset:         88
        .size:           8
        .value_kind:     global_buffer
      - .address_space:  global
        .offset:         96
        .size:           8
        .value_kind:     global_buffer
      - .offset:         104
        .size:           4
        .value_kind:     by_value
      - .offset:         108
        .size:           4
        .value_kind:     by_value
      - .offset:         112
        .size:           4
        .value_kind:     by_value
      - .offset:         116
        .size:           4
        .value_kind:     by_value
      - .offset:         120
        .size:           4
        .value_kind:     by_value
      - .offset:         128
        .size:           4
        .value_kind:     hidden_block_count_x
      - .offset:         132
        .size:           4
        .value_kind:     hidden_block_count_y
      - .offset:         136
        .size:           4
        .value_kind:     hidden_block_count_z
      - .offset:         140
        .size:           2
        .value_kind:     hidden_group_size_x
      - .offset:         142
        .size:           2
        .value_kind:     hidden_group_size_y
      - .offset:         144
        .size:           2
        .value_kind:     hidden_group_size_z
      - .offset:         146
        .size:           2
        .value_kind:     hidden_remainder_x
      - .offset:         148
        .size:           2
        .value_kind:     hidden_remainder_y
      - .offset:         150
        .size:           2
        .value_kind:     hidden_remainder_z
      - .offset:         168
        .size:           8
        .value_kind:     hidden_global_offset_x
      - .offset:         176
        .size:           8
        .value_kind:     hidden_global_offset_y
      - .offset:         184
        .size:           8
        .value_kind:     hidden_global_offset_z
      - .offset:         192
        .size:           2
        .value_kind:     hidden_grid_dims
      - .offset:         248
        .size:           4
        .value_kind:     hidden_dynamic_lds_size
    .group_segment_fixed_size: 288
    .kernarg_segment_align: 8
    .kernarg_segment_size: 384
    .language:       OpenCL C
    .language_version:
      - 2
      - 0
    .max_flat_workgroup_size: 1024
    .name:           _ZN4vllm25paged_attention_v1_kernelIffLi64ELi16ELi128ELNS_18Fp8KVCacheDataTypeE0ELb1EEEvPT_PKS2_PKT0_S8_ifPKiSA_iPKfiiiSC_SC_iiiii
    .private_segment_fixed_size: 0
    .sgpr_count:     44
    .sgpr_spill_count: 0
    .symbol:         _ZN4vllm25paged_attention_v1_kernelIffLi64ELi16ELi128ELNS_18Fp8KVCacheDataTypeE0ELb1EEEvPT_PKS2_PKT0_S8_ifPKiSA_iPKfiiiSC_SC_iiiii.kd
    .uniform_work_group_size: 1
    .uses_dynamic_stack: false
    .vgpr_count:     66
    .vgpr_spill_count: 0
    .wavefront_size: 32
  - .args:
      - .actual_access:  write_only
        .address_space:  global
        .offset:         0
        .size:           8
        .value_kind:     global_buffer
      - .actual_access:  read_only
        .address_space:  global
        .offset:         8
        .size:           8
        .value_kind:     global_buffer
      - .actual_access:  read_only
        .address_space:  global
        .offset:         16
        .size:           8
        .value_kind:     global_buffer
      - .actual_access:  read_only
        .address_space:  global
        .offset:         24
        .size:           8
        .value_kind:     global_buffer
      - .offset:         32
        .size:           4
        .value_kind:     by_value
      - .offset:         36
        .size:           4
        .value_kind:     by_value
      - .actual_access:  read_only
        .address_space:  global
        .offset:         40
        .size:           8
        .value_kind:     global_buffer
      - .actual_access:  read_only
        .address_space:  global
        .offset:         48
        .size:           8
        .value_kind:     global_buffer
      - .offset:         56
        .size:           4
        .value_kind:     by_value
      - .actual_access:  read_only
        .address_space:  global
        .offset:         64
        .size:           8
        .value_kind:     global_buffer
      - .offset:         72
        .size:           4
        .value_kind:     by_value
      - .offset:         76
        .size:           4
        .value_kind:     by_value
      - .offset:         80
        .size:           4
        .value_kind:     by_value
      - .address_space:  global
        .offset:         88
        .size:           8
        .value_kind:     global_buffer
      - .address_space:  global
        .offset:         96
        .size:           8
        .value_kind:     global_buffer
      - .offset:         104
        .size:           4
        .value_kind:     by_value
      - .offset:         108
        .size:           4
        .value_kind:     by_value
      - .offset:         112
        .size:           4
        .value_kind:     by_value
      - .offset:         116
        .size:           4
        .value_kind:     by_value
      - .offset:         120
        .size:           4
        .value_kind:     by_value
      - .offset:         128
        .size:           4
        .value_kind:     hidden_block_count_x
      - .offset:         132
        .size:           4
        .value_kind:     hidden_block_count_y
      - .offset:         136
        .size:           4
        .value_kind:     hidden_block_count_z
      - .offset:         140
        .size:           2
        .value_kind:     hidden_group_size_x
      - .offset:         142
        .size:           2
        .value_kind:     hidden_group_size_y
      - .offset:         144
        .size:           2
        .value_kind:     hidden_group_size_z
      - .offset:         146
        .size:           2
        .value_kind:     hidden_remainder_x
      - .offset:         148
        .size:           2
        .value_kind:     hidden_remainder_y
      - .offset:         150
        .size:           2
        .value_kind:     hidden_remainder_z
      - .offset:         168
        .size:           8
        .value_kind:     hidden_global_offset_x
      - .offset:         176
        .size:           8
        .value_kind:     hidden_global_offset_y
      - .offset:         184
        .size:           8
        .value_kind:     hidden_global_offset_z
      - .offset:         192
        .size:           2
        .value_kind:     hidden_grid_dims
      - .offset:         248
        .size:           4
        .value_kind:     hidden_dynamic_lds_size
    .group_segment_fixed_size: 352
    .kernarg_segment_align: 8
    .kernarg_segment_size: 384
    .language:       OpenCL C
    .language_version:
      - 2
      - 0
    .max_flat_workgroup_size: 1024
    .name:           _ZN4vllm25paged_attention_v1_kernelIffLi80ELi16ELi128ELNS_18Fp8KVCacheDataTypeE0ELb1EEEvPT_PKS2_PKT0_S8_ifPKiSA_iPKfiiiSC_SC_iiiii
    .private_segment_fixed_size: 0
    .sgpr_count:     42
    .sgpr_spill_count: 0
    .symbol:         _ZN4vllm25paged_attention_v1_kernelIffLi80ELi16ELi128ELNS_18Fp8KVCacheDataTypeE0ELb1EEEvPT_PKS2_PKT0_S8_ifPKiSA_iPKfiiiSC_SC_iiiii.kd
    .uniform_work_group_size: 1
    .uses_dynamic_stack: false
    .vgpr_count:     74
    .vgpr_spill_count: 0
    .wavefront_size: 32
  - .args:
      - .actual_access:  write_only
        .address_space:  global
        .offset:         0
        .size:           8
        .value_kind:     global_buffer
      - .actual_access:  read_only
        .address_space:  global
        .offset:         8
        .size:           8
        .value_kind:     global_buffer
      - .actual_access:  read_only
        .address_space:  global
        .offset:         16
        .size:           8
        .value_kind:     global_buffer
      - .actual_access:  read_only
        .address_space:  global
        .offset:         24
        .size:           8
        .value_kind:     global_buffer
      - .offset:         32
        .size:           4
        .value_kind:     by_value
      - .offset:         36
        .size:           4
        .value_kind:     by_value
      - .actual_access:  read_only
        .address_space:  global
        .offset:         40
        .size:           8
        .value_kind:     global_buffer
      - .actual_access:  read_only
        .address_space:  global
        .offset:         48
        .size:           8
        .value_kind:     global_buffer
      - .offset:         56
        .size:           4
        .value_kind:     by_value
      - .actual_access:  read_only
        .address_space:  global
        .offset:         64
        .size:           8
        .value_kind:     global_buffer
      - .offset:         72
        .size:           4
        .value_kind:     by_value
      - .offset:         76
        .size:           4
        .value_kind:     by_value
      - .offset:         80
        .size:           4
        .value_kind:     by_value
      - .address_space:  global
        .offset:         88
        .size:           8
        .value_kind:     global_buffer
      - .address_space:  global
        .offset:         96
        .size:           8
        .value_kind:     global_buffer
      - .offset:         104
        .size:           4
        .value_kind:     by_value
      - .offset:         108
        .size:           4
        .value_kind:     by_value
      - .offset:         112
        .size:           4
        .value_kind:     by_value
      - .offset:         116
        .size:           4
        .value_kind:     by_value
      - .offset:         120
        .size:           4
        .value_kind:     by_value
      - .offset:         128
        .size:           4
        .value_kind:     hidden_block_count_x
      - .offset:         132
        .size:           4
        .value_kind:     hidden_block_count_y
      - .offset:         136
        .size:           4
        .value_kind:     hidden_block_count_z
      - .offset:         140
        .size:           2
        .value_kind:     hidden_group_size_x
      - .offset:         142
        .size:           2
        .value_kind:     hidden_group_size_y
      - .offset:         144
        .size:           2
        .value_kind:     hidden_group_size_z
      - .offset:         146
        .size:           2
        .value_kind:     hidden_remainder_x
      - .offset:         148
        .size:           2
        .value_kind:     hidden_remainder_y
      - .offset:         150
        .size:           2
        .value_kind:     hidden_remainder_z
      - .offset:         168
        .size:           8
        .value_kind:     hidden_global_offset_x
      - .offset:         176
        .size:           8
        .value_kind:     hidden_global_offset_y
      - .offset:         184
        .size:           8
        .value_kind:     hidden_global_offset_z
      - .offset:         192
        .size:           2
        .value_kind:     hidden_grid_dims
      - .offset:         248
        .size:           4
        .value_kind:     hidden_dynamic_lds_size
    .group_segment_fixed_size: 416
    .kernarg_segment_align: 8
    .kernarg_segment_size: 384
    .language:       OpenCL C
    .language_version:
      - 2
      - 0
    .max_flat_workgroup_size: 1024
    .name:           _ZN4vllm25paged_attention_v1_kernelIffLi96ELi16ELi128ELNS_18Fp8KVCacheDataTypeE0ELb1EEEvPT_PKS2_PKT0_S8_ifPKiSA_iPKfiiiSC_SC_iiiii
    .private_segment_fixed_size: 0
    .sgpr_count:     42
    .sgpr_spill_count: 0
    .symbol:         _ZN4vllm25paged_attention_v1_kernelIffLi96ELi16ELi128ELNS_18Fp8KVCacheDataTypeE0ELb1EEEvPT_PKS2_PKT0_S8_ifPKiSA_iPKfiiiSC_SC_iiiii.kd
    .uniform_work_group_size: 1
    .uses_dynamic_stack: false
    .vgpr_count:     83
    .vgpr_spill_count: 0
    .wavefront_size: 32
  - .args:
      - .actual_access:  write_only
        .address_space:  global
        .offset:         0
        .size:           8
        .value_kind:     global_buffer
      - .actual_access:  read_only
        .address_space:  global
        .offset:         8
        .size:           8
        .value_kind:     global_buffer
      - .actual_access:  read_only
        .address_space:  global
        .offset:         16
        .size:           8
        .value_kind:     global_buffer
      - .actual_access:  read_only
        .address_space:  global
        .offset:         24
        .size:           8
        .value_kind:     global_buffer
      - .offset:         32
        .size:           4
        .value_kind:     by_value
      - .offset:         36
        .size:           4
        .value_kind:     by_value
      - .actual_access:  read_only
        .address_space:  global
        .offset:         40
        .size:           8
        .value_kind:     global_buffer
      - .actual_access:  read_only
        .address_space:  global
        .offset:         48
        .size:           8
        .value_kind:     global_buffer
      - .offset:         56
        .size:           4
        .value_kind:     by_value
      - .actual_access:  read_only
        .address_space:  global
        .offset:         64
        .size:           8
        .value_kind:     global_buffer
      - .offset:         72
        .size:           4
        .value_kind:     by_value
      - .offset:         76
        .size:           4
        .value_kind:     by_value
      - .offset:         80
        .size:           4
        .value_kind:     by_value
      - .address_space:  global
        .offset:         88
        .size:           8
        .value_kind:     global_buffer
      - .address_space:  global
        .offset:         96
        .size:           8
        .value_kind:     global_buffer
      - .offset:         104
        .size:           4
        .value_kind:     by_value
      - .offset:         108
        .size:           4
        .value_kind:     by_value
      - .offset:         112
        .size:           4
        .value_kind:     by_value
      - .offset:         116
        .size:           4
        .value_kind:     by_value
      - .offset:         120
        .size:           4
        .value_kind:     by_value
      - .offset:         128
        .size:           4
        .value_kind:     hidden_block_count_x
      - .offset:         132
        .size:           4
        .value_kind:     hidden_block_count_y
      - .offset:         136
        .size:           4
        .value_kind:     hidden_block_count_z
      - .offset:         140
        .size:           2
        .value_kind:     hidden_group_size_x
      - .offset:         142
        .size:           2
        .value_kind:     hidden_group_size_y
      - .offset:         144
        .size:           2
        .value_kind:     hidden_group_size_z
      - .offset:         146
        .size:           2
        .value_kind:     hidden_remainder_x
      - .offset:         148
        .size:           2
        .value_kind:     hidden_remainder_y
      - .offset:         150
        .size:           2
        .value_kind:     hidden_remainder_z
      - .offset:         168
        .size:           8
        .value_kind:     hidden_global_offset_x
      - .offset:         176
        .size:           8
        .value_kind:     hidden_global_offset_y
      - .offset:         184
        .size:           8
        .value_kind:     hidden_global_offset_z
      - .offset:         192
        .size:           2
        .value_kind:     hidden_grid_dims
      - .offset:         248
        .size:           4
        .value_kind:     hidden_dynamic_lds_size
    .group_segment_fixed_size: 480
    .kernarg_segment_align: 8
    .kernarg_segment_size: 384
    .language:       OpenCL C
    .language_version:
      - 2
      - 0
    .max_flat_workgroup_size: 1024
    .name:           _ZN4vllm25paged_attention_v1_kernelIffLi112ELi16ELi128ELNS_18Fp8KVCacheDataTypeE0ELb1EEEvPT_PKS2_PKT0_S8_ifPKiSA_iPKfiiiSC_SC_iiiii
    .private_segment_fixed_size: 0
    .sgpr_count:     42
    .sgpr_spill_count: 0
    .symbol:         _ZN4vllm25paged_attention_v1_kernelIffLi112ELi16ELi128ELNS_18Fp8KVCacheDataTypeE0ELb1EEEvPT_PKS2_PKT0_S8_ifPKiSA_iPKfiiiSC_SC_iiiii.kd
    .uniform_work_group_size: 1
    .uses_dynamic_stack: false
    .vgpr_count:     93
    .vgpr_spill_count: 0
    .wavefront_size: 32
  - .args:
      - .actual_access:  write_only
        .address_space:  global
        .offset:         0
        .size:           8
        .value_kind:     global_buffer
      - .actual_access:  read_only
        .address_space:  global
        .offset:         8
        .size:           8
        .value_kind:     global_buffer
      - .actual_access:  read_only
        .address_space:  global
        .offset:         16
        .size:           8
        .value_kind:     global_buffer
      - .actual_access:  read_only
        .address_space:  global
        .offset:         24
        .size:           8
        .value_kind:     global_buffer
      - .offset:         32
        .size:           4
        .value_kind:     by_value
      - .offset:         36
        .size:           4
        .value_kind:     by_value
      - .actual_access:  read_only
        .address_space:  global
        .offset:         40
        .size:           8
        .value_kind:     global_buffer
      - .actual_access:  read_only
        .address_space:  global
        .offset:         48
        .size:           8
        .value_kind:     global_buffer
      - .offset:         56
        .size:           4
        .value_kind:     by_value
      - .actual_access:  read_only
        .address_space:  global
        .offset:         64
        .size:           8
        .value_kind:     global_buffer
      - .offset:         72
        .size:           4
        .value_kind:     by_value
      - .offset:         76
        .size:           4
        .value_kind:     by_value
      - .offset:         80
        .size:           4
        .value_kind:     by_value
      - .address_space:  global
        .offset:         88
        .size:           8
        .value_kind:     global_buffer
      - .address_space:  global
        .offset:         96
        .size:           8
        .value_kind:     global_buffer
      - .offset:         104
        .size:           4
        .value_kind:     by_value
      - .offset:         108
        .size:           4
        .value_kind:     by_value
      - .offset:         112
        .size:           4
        .value_kind:     by_value
      - .offset:         116
        .size:           4
        .value_kind:     by_value
      - .offset:         120
        .size:           4
        .value_kind:     by_value
      - .offset:         128
        .size:           4
        .value_kind:     hidden_block_count_x
      - .offset:         132
        .size:           4
        .value_kind:     hidden_block_count_y
      - .offset:         136
        .size:           4
        .value_kind:     hidden_block_count_z
      - .offset:         140
        .size:           2
        .value_kind:     hidden_group_size_x
      - .offset:         142
        .size:           2
        .value_kind:     hidden_group_size_y
      - .offset:         144
        .size:           2
        .value_kind:     hidden_group_size_z
      - .offset:         146
        .size:           2
        .value_kind:     hidden_remainder_x
      - .offset:         148
        .size:           2
        .value_kind:     hidden_remainder_y
      - .offset:         150
        .size:           2
        .value_kind:     hidden_remainder_z
      - .offset:         168
        .size:           8
        .value_kind:     hidden_global_offset_x
      - .offset:         176
        .size:           8
        .value_kind:     hidden_global_offset_y
      - .offset:         184
        .size:           8
        .value_kind:     hidden_global_offset_z
      - .offset:         192
        .size:           2
        .value_kind:     hidden_grid_dims
      - .offset:         248
        .size:           4
        .value_kind:     hidden_dynamic_lds_size
    .group_segment_fixed_size: 512
    .kernarg_segment_align: 8
    .kernarg_segment_size: 384
    .language:       OpenCL C
    .language_version:
      - 2
      - 0
    .max_flat_workgroup_size: 1024
    .name:           _ZN4vllm25paged_attention_v1_kernelIffLi120ELi16ELi128ELNS_18Fp8KVCacheDataTypeE0ELb1EEEvPT_PKS2_PKT0_S8_ifPKiSA_iPKfiiiSC_SC_iiiii
    .private_segment_fixed_size: 0
    .sgpr_count:     42
    .sgpr_spill_count: 0
    .symbol:         _ZN4vllm25paged_attention_v1_kernelIffLi120ELi16ELi128ELNS_18Fp8KVCacheDataTypeE0ELb1EEEvPT_PKS2_PKT0_S8_ifPKiSA_iPKfiiiSC_SC_iiiii.kd
    .uniform_work_group_size: 1
    .uses_dynamic_stack: false
    .vgpr_count:     98
    .vgpr_spill_count: 0
    .wavefront_size: 32
  - .args:
      - .actual_access:  write_only
        .address_space:  global
        .offset:         0
        .size:           8
        .value_kind:     global_buffer
      - .actual_access:  read_only
        .address_space:  global
        .offset:         8
        .size:           8
        .value_kind:     global_buffer
      - .actual_access:  read_only
        .address_space:  global
        .offset:         16
        .size:           8
        .value_kind:     global_buffer
      - .actual_access:  read_only
        .address_space:  global
        .offset:         24
        .size:           8
        .value_kind:     global_buffer
      - .offset:         32
        .size:           4
        .value_kind:     by_value
      - .offset:         36
        .size:           4
        .value_kind:     by_value
      - .actual_access:  read_only
        .address_space:  global
        .offset:         40
        .size:           8
        .value_kind:     global_buffer
      - .actual_access:  read_only
        .address_space:  global
        .offset:         48
        .size:           8
        .value_kind:     global_buffer
      - .offset:         56
        .size:           4
        .value_kind:     by_value
      - .actual_access:  read_only
        .address_space:  global
        .offset:         64
        .size:           8
        .value_kind:     global_buffer
      - .offset:         72
        .size:           4
        .value_kind:     by_value
      - .offset:         76
        .size:           4
        .value_kind:     by_value
      - .offset:         80
        .size:           4
        .value_kind:     by_value
      - .address_space:  global
        .offset:         88
        .size:           8
        .value_kind:     global_buffer
      - .address_space:  global
        .offset:         96
        .size:           8
        .value_kind:     global_buffer
      - .offset:         104
        .size:           4
        .value_kind:     by_value
      - .offset:         108
        .size:           4
        .value_kind:     by_value
      - .offset:         112
        .size:           4
        .value_kind:     by_value
      - .offset:         116
        .size:           4
        .value_kind:     by_value
      - .offset:         120
        .size:           4
        .value_kind:     by_value
      - .offset:         128
        .size:           4
        .value_kind:     hidden_block_count_x
      - .offset:         132
        .size:           4
        .value_kind:     hidden_block_count_y
      - .offset:         136
        .size:           4
        .value_kind:     hidden_block_count_z
      - .offset:         140
        .size:           2
        .value_kind:     hidden_group_size_x
      - .offset:         142
        .size:           2
        .value_kind:     hidden_group_size_y
      - .offset:         144
        .size:           2
        .value_kind:     hidden_group_size_z
      - .offset:         146
        .size:           2
        .value_kind:     hidden_remainder_x
      - .offset:         148
        .size:           2
        .value_kind:     hidden_remainder_y
      - .offset:         150
        .size:           2
        .value_kind:     hidden_remainder_z
      - .offset:         168
        .size:           8
        .value_kind:     hidden_global_offset_x
      - .offset:         176
        .size:           8
        .value_kind:     hidden_global_offset_y
      - .offset:         184
        .size:           8
        .value_kind:     hidden_global_offset_z
      - .offset:         192
        .size:           2
        .value_kind:     hidden_grid_dims
      - .offset:         248
        .size:           4
        .value_kind:     hidden_dynamic_lds_size
    .group_segment_fixed_size: 544
    .kernarg_segment_align: 8
    .kernarg_segment_size: 384
    .language:       OpenCL C
    .language_version:
      - 2
      - 0
    .max_flat_workgroup_size: 1024
    .name:           _ZN4vllm25paged_attention_v1_kernelIffLi128ELi16ELi128ELNS_18Fp8KVCacheDataTypeE0ELb1EEEvPT_PKS2_PKT0_S8_ifPKiSA_iPKfiiiSC_SC_iiiii
    .private_segment_fixed_size: 0
    .sgpr_count:     44
    .sgpr_spill_count: 0
    .symbol:         _ZN4vllm25paged_attention_v1_kernelIffLi128ELi16ELi128ELNS_18Fp8KVCacheDataTypeE0ELb1EEEvPT_PKS2_PKT0_S8_ifPKiSA_iPKfiiiSC_SC_iiiii.kd
    .uniform_work_group_size: 1
    .uses_dynamic_stack: false
    .vgpr_count:     103
    .vgpr_spill_count: 0
    .wavefront_size: 32
  - .args:
      - .actual_access:  write_only
        .address_space:  global
        .offset:         0
        .size:           8
        .value_kind:     global_buffer
      - .actual_access:  read_only
        .address_space:  global
        .offset:         8
        .size:           8
        .value_kind:     global_buffer
      - .actual_access:  read_only
        .address_space:  global
        .offset:         16
        .size:           8
        .value_kind:     global_buffer
      - .actual_access:  read_only
        .address_space:  global
        .offset:         24
        .size:           8
        .value_kind:     global_buffer
      - .offset:         32
        .size:           4
        .value_kind:     by_value
      - .offset:         36
        .size:           4
        .value_kind:     by_value
      - .actual_access:  read_only
        .address_space:  global
        .offset:         40
        .size:           8
        .value_kind:     global_buffer
      - .actual_access:  read_only
        .address_space:  global
        .offset:         48
        .size:           8
        .value_kind:     global_buffer
      - .offset:         56
        .size:           4
        .value_kind:     by_value
      - .actual_access:  read_only
        .address_space:  global
        .offset:         64
        .size:           8
        .value_kind:     global_buffer
      - .offset:         72
        .size:           4
        .value_kind:     by_value
      - .offset:         76
        .size:           4
        .value_kind:     by_value
      - .offset:         80
        .size:           4
        .value_kind:     by_value
      - .address_space:  global
        .offset:         88
        .size:           8
        .value_kind:     global_buffer
      - .address_space:  global
        .offset:         96
        .size:           8
        .value_kind:     global_buffer
      - .offset:         104
        .size:           4
        .value_kind:     by_value
      - .offset:         108
        .size:           4
        .value_kind:     by_value
      - .offset:         112
        .size:           4
        .value_kind:     by_value
      - .offset:         116
        .size:           4
        .value_kind:     by_value
      - .offset:         120
        .size:           4
        .value_kind:     by_value
      - .offset:         128
        .size:           4
        .value_kind:     hidden_block_count_x
      - .offset:         132
        .size:           4
        .value_kind:     hidden_block_count_y
      - .offset:         136
        .size:           4
        .value_kind:     hidden_block_count_z
      - .offset:         140
        .size:           2
        .value_kind:     hidden_group_size_x
      - .offset:         142
        .size:           2
        .value_kind:     hidden_group_size_y
      - .offset:         144
        .size:           2
        .value_kind:     hidden_group_size_z
      - .offset:         146
        .size:           2
        .value_kind:     hidden_remainder_x
      - .offset:         148
        .size:           2
        .value_kind:     hidden_remainder_y
      - .offset:         150
        .size:           2
        .value_kind:     hidden_remainder_z
      - .offset:         168
        .size:           8
        .value_kind:     hidden_global_offset_x
      - .offset:         176
        .size:           8
        .value_kind:     hidden_global_offset_y
      - .offset:         184
        .size:           8
        .value_kind:     hidden_global_offset_z
      - .offset:         192
        .size:           2
        .value_kind:     hidden_grid_dims
      - .offset:         248
        .size:           4
        .value_kind:     hidden_dynamic_lds_size
    .group_segment_fixed_size: 800
    .kernarg_segment_align: 8
    .kernarg_segment_size: 384
    .language:       OpenCL C
    .language_version:
      - 2
      - 0
    .max_flat_workgroup_size: 1024
    .name:           _ZN4vllm25paged_attention_v1_kernelIffLi192ELi16ELi128ELNS_18Fp8KVCacheDataTypeE0ELb1EEEvPT_PKS2_PKT0_S8_ifPKiSA_iPKfiiiSC_SC_iiiii
    .private_segment_fixed_size: 64
    .sgpr_count:     42
    .sgpr_spill_count: 0
    .symbol:         _ZN4vllm25paged_attention_v1_kernelIffLi192ELi16ELi128ELNS_18Fp8KVCacheDataTypeE0ELb1EEEvPT_PKS2_PKT0_S8_ifPKiSA_iPKfiiiSC_SC_iiiii.kd
    .uniform_work_group_size: 1
    .uses_dynamic_stack: false
    .vgpr_count:     128
    .vgpr_spill_count: 21
    .wavefront_size: 32
  - .args:
      - .actual_access:  write_only
        .address_space:  global
        .offset:         0
        .size:           8
        .value_kind:     global_buffer
      - .actual_access:  read_only
        .address_space:  global
        .offset:         8
        .size:           8
        .value_kind:     global_buffer
      - .actual_access:  read_only
        .address_space:  global
        .offset:         16
        .size:           8
        .value_kind:     global_buffer
      - .actual_access:  read_only
        .address_space:  global
        .offset:         24
        .size:           8
        .value_kind:     global_buffer
      - .offset:         32
        .size:           4
        .value_kind:     by_value
      - .offset:         36
        .size:           4
        .value_kind:     by_value
      - .actual_access:  read_only
        .address_space:  global
        .offset:         40
        .size:           8
        .value_kind:     global_buffer
      - .actual_access:  read_only
        .address_space:  global
        .offset:         48
        .size:           8
        .value_kind:     global_buffer
      - .offset:         56
        .size:           4
        .value_kind:     by_value
      - .actual_access:  read_only
        .address_space:  global
        .offset:         64
        .size:           8
        .value_kind:     global_buffer
      - .offset:         72
        .size:           4
        .value_kind:     by_value
      - .offset:         76
        .size:           4
        .value_kind:     by_value
      - .offset:         80
        .size:           4
        .value_kind:     by_value
      - .address_space:  global
        .offset:         88
        .size:           8
        .value_kind:     global_buffer
      - .address_space:  global
        .offset:         96
        .size:           8
        .value_kind:     global_buffer
      - .offset:         104
        .size:           4
        .value_kind:     by_value
      - .offset:         108
        .size:           4
        .value_kind:     by_value
      - .offset:         112
        .size:           4
        .value_kind:     by_value
      - .offset:         116
        .size:           4
        .value_kind:     by_value
      - .offset:         120
        .size:           4
        .value_kind:     by_value
      - .offset:         128
        .size:           4
        .value_kind:     hidden_block_count_x
      - .offset:         132
        .size:           4
        .value_kind:     hidden_block_count_y
      - .offset:         136
        .size:           4
        .value_kind:     hidden_block_count_z
      - .offset:         140
        .size:           2
        .value_kind:     hidden_group_size_x
      - .offset:         142
        .size:           2
        .value_kind:     hidden_group_size_y
      - .offset:         144
        .size:           2
        .value_kind:     hidden_group_size_z
      - .offset:         146
        .size:           2
        .value_kind:     hidden_remainder_x
      - .offset:         148
        .size:           2
        .value_kind:     hidden_remainder_y
      - .offset:         150
        .size:           2
        .value_kind:     hidden_remainder_z
      - .offset:         168
        .size:           8
        .value_kind:     hidden_global_offset_x
      - .offset:         176
        .size:           8
        .value_kind:     hidden_global_offset_y
      - .offset:         184
        .size:           8
        .value_kind:     hidden_global_offset_z
      - .offset:         192
        .size:           2
        .value_kind:     hidden_grid_dims
      - .offset:         248
        .size:           4
        .value_kind:     hidden_dynamic_lds_size
    .group_segment_fixed_size: 1056
    .kernarg_segment_align: 8
    .kernarg_segment_size: 384
    .language:       OpenCL C
    .language_version:
      - 2
      - 0
    .max_flat_workgroup_size: 1024
    .name:           _ZN4vllm25paged_attention_v1_kernelIffLi256ELi16ELi128ELNS_18Fp8KVCacheDataTypeE0ELb1EEEvPT_PKS2_PKT0_S8_ifPKiSA_iPKfiiiSC_SC_iiiii
    .private_segment_fixed_size: 240
    .sgpr_count:     42
    .sgpr_spill_count: 0
    .symbol:         _ZN4vllm25paged_attention_v1_kernelIffLi256ELi16ELi128ELNS_18Fp8KVCacheDataTypeE0ELb1EEEvPT_PKS2_PKT0_S8_ifPKiSA_iPKfiiiSC_SC_iiiii.kd
    .uniform_work_group_size: 1
    .uses_dynamic_stack: false
    .vgpr_count:     128
    .vgpr_spill_count: 119
    .wavefront_size: 32
  - .args:
      - .actual_access:  write_only
        .address_space:  global
        .offset:         0
        .size:           8
        .value_kind:     global_buffer
      - .actual_access:  read_only
        .address_space:  global
        .offset:         8
        .size:           8
        .value_kind:     global_buffer
      - .actual_access:  read_only
        .address_space:  global
        .offset:         16
        .size:           8
        .value_kind:     global_buffer
      - .actual_access:  read_only
        .address_space:  global
        .offset:         24
        .size:           8
        .value_kind:     global_buffer
      - .offset:         32
        .size:           4
        .value_kind:     by_value
      - .offset:         36
        .size:           4
        .value_kind:     by_value
      - .actual_access:  read_only
        .address_space:  global
        .offset:         40
        .size:           8
        .value_kind:     global_buffer
      - .actual_access:  read_only
        .address_space:  global
        .offset:         48
        .size:           8
        .value_kind:     global_buffer
      - .offset:         56
        .size:           4
        .value_kind:     by_value
      - .actual_access:  read_only
        .address_space:  global
        .offset:         64
        .size:           8
        .value_kind:     global_buffer
      - .offset:         72
        .size:           4
        .value_kind:     by_value
      - .offset:         76
        .size:           4
        .value_kind:     by_value
      - .offset:         80
        .size:           4
        .value_kind:     by_value
      - .address_space:  global
        .offset:         88
        .size:           8
        .value_kind:     global_buffer
      - .address_space:  global
        .offset:         96
        .size:           8
        .value_kind:     global_buffer
      - .offset:         104
        .size:           4
        .value_kind:     by_value
      - .offset:         108
        .size:           4
        .value_kind:     by_value
      - .offset:         112
        .size:           4
        .value_kind:     by_value
      - .offset:         116
        .size:           4
        .value_kind:     by_value
      - .offset:         120
        .size:           4
        .value_kind:     by_value
      - .offset:         128
        .size:           4
        .value_kind:     hidden_block_count_x
      - .offset:         132
        .size:           4
        .value_kind:     hidden_block_count_y
      - .offset:         136
        .size:           4
        .value_kind:     hidden_block_count_z
      - .offset:         140
        .size:           2
        .value_kind:     hidden_group_size_x
      - .offset:         142
        .size:           2
        .value_kind:     hidden_group_size_y
      - .offset:         144
        .size:           2
        .value_kind:     hidden_group_size_z
      - .offset:         146
        .size:           2
        .value_kind:     hidden_remainder_x
      - .offset:         148
        .size:           2
        .value_kind:     hidden_remainder_y
      - .offset:         150
        .size:           2
        .value_kind:     hidden_remainder_z
      - .offset:         168
        .size:           8
        .value_kind:     hidden_global_offset_x
      - .offset:         176
        .size:           8
        .value_kind:     hidden_global_offset_y
      - .offset:         184
        .size:           8
        .value_kind:     hidden_global_offset_z
      - .offset:         192
        .size:           2
        .value_kind:     hidden_grid_dims
      - .offset:         248
        .size:           4
        .value_kind:     hidden_dynamic_lds_size
    .group_segment_fixed_size: 160
    .kernarg_segment_align: 8
    .kernarg_segment_size: 384
    .language:       OpenCL C
    .language_version:
      - 2
      - 0
    .max_flat_workgroup_size: 1024
    .name:           _ZN4vllm25paged_attention_v1_kernelIffLi32ELi16ELi128ELNS_18Fp8KVCacheDataTypeE0ELb0EEEvPT_PKS2_PKT0_S8_ifPKiSA_iPKfiiiSC_SC_iiiii
    .private_segment_fixed_size: 0
    .sgpr_count:     32
    .sgpr_spill_count: 0
    .symbol:         _ZN4vllm25paged_attention_v1_kernelIffLi32ELi16ELi128ELNS_18Fp8KVCacheDataTypeE0ELb0EEEvPT_PKS2_PKT0_S8_ifPKiSA_iPKfiiiSC_SC_iiiii.kd
    .uniform_work_group_size: 1
    .uses_dynamic_stack: false
    .vgpr_count:     50
    .vgpr_spill_count: 0
    .wavefront_size: 32
  - .args:
      - .actual_access:  write_only
        .address_space:  global
        .offset:         0
        .size:           8
        .value_kind:     global_buffer
      - .actual_access:  read_only
        .address_space:  global
        .offset:         8
        .size:           8
        .value_kind:     global_buffer
      - .actual_access:  read_only
        .address_space:  global
        .offset:         16
        .size:           8
        .value_kind:     global_buffer
      - .actual_access:  read_only
        .address_space:  global
        .offset:         24
        .size:           8
        .value_kind:     global_buffer
      - .offset:         32
        .size:           4
        .value_kind:     by_value
      - .offset:         36
        .size:           4
        .value_kind:     by_value
      - .actual_access:  read_only
        .address_space:  global
        .offset:         40
        .size:           8
        .value_kind:     global_buffer
      - .actual_access:  read_only
        .address_space:  global
        .offset:         48
        .size:           8
        .value_kind:     global_buffer
      - .offset:         56
        .size:           4
        .value_kind:     by_value
      - .actual_access:  read_only
        .address_space:  global
        .offset:         64
        .size:           8
        .value_kind:     global_buffer
      - .offset:         72
        .size:           4
        .value_kind:     by_value
      - .offset:         76
        .size:           4
        .value_kind:     by_value
      - .offset:         80
        .size:           4
        .value_kind:     by_value
      - .address_space:  global
        .offset:         88
        .size:           8
        .value_kind:     global_buffer
      - .address_space:  global
        .offset:         96
        .size:           8
        .value_kind:     global_buffer
      - .offset:         104
        .size:           4
        .value_kind:     by_value
      - .offset:         108
        .size:           4
        .value_kind:     by_value
      - .offset:         112
        .size:           4
        .value_kind:     by_value
      - .offset:         116
        .size:           4
        .value_kind:     by_value
      - .offset:         120
        .size:           4
        .value_kind:     by_value
      - .offset:         128
        .size:           4
        .value_kind:     hidden_block_count_x
      - .offset:         132
        .size:           4
        .value_kind:     hidden_block_count_y
      - .offset:         136
        .size:           4
        .value_kind:     hidden_block_count_z
      - .offset:         140
        .size:           2
        .value_kind:     hidden_group_size_x
      - .offset:         142
        .size:           2
        .value_kind:     hidden_group_size_y
      - .offset:         144
        .size:           2
        .value_kind:     hidden_group_size_z
      - .offset:         146
        .size:           2
        .value_kind:     hidden_remainder_x
      - .offset:         148
        .size:           2
        .value_kind:     hidden_remainder_y
      - .offset:         150
        .size:           2
        .value_kind:     hidden_remainder_z
      - .offset:         168
        .size:           8
        .value_kind:     hidden_global_offset_x
      - .offset:         176
        .size:           8
        .value_kind:     hidden_global_offset_y
      - .offset:         184
        .size:           8
        .value_kind:     hidden_global_offset_z
      - .offset:         192
        .size:           2
        .value_kind:     hidden_grid_dims
      - .offset:         248
        .size:           4
        .value_kind:     hidden_dynamic_lds_size
    .group_segment_fixed_size: 288
    .kernarg_segment_align: 8
    .kernarg_segment_size: 384
    .language:       OpenCL C
    .language_version:
      - 2
      - 0
    .max_flat_workgroup_size: 1024
    .name:           _ZN4vllm25paged_attention_v1_kernelIffLi64ELi16ELi128ELNS_18Fp8KVCacheDataTypeE0ELb0EEEvPT_PKS2_PKT0_S8_ifPKiSA_iPKfiiiSC_SC_iiiii
    .private_segment_fixed_size: 0
    .sgpr_count:     30
    .sgpr_spill_count: 0
    .symbol:         _ZN4vllm25paged_attention_v1_kernelIffLi64ELi16ELi128ELNS_18Fp8KVCacheDataTypeE0ELb0EEEvPT_PKS2_PKT0_S8_ifPKiSA_iPKfiiiSC_SC_iiiii.kd
    .uniform_work_group_size: 1
    .uses_dynamic_stack: false
    .vgpr_count:     82
    .vgpr_spill_count: 0
    .wavefront_size: 32
  - .args:
      - .actual_access:  write_only
        .address_space:  global
        .offset:         0
        .size:           8
        .value_kind:     global_buffer
      - .actual_access:  read_only
        .address_space:  global
        .offset:         8
        .size:           8
        .value_kind:     global_buffer
      - .actual_access:  read_only
        .address_space:  global
        .offset:         16
        .size:           8
        .value_kind:     global_buffer
      - .actual_access:  read_only
        .address_space:  global
        .offset:         24
        .size:           8
        .value_kind:     global_buffer
      - .offset:         32
        .size:           4
        .value_kind:     by_value
      - .offset:         36
        .size:           4
        .value_kind:     by_value
      - .actual_access:  read_only
        .address_space:  global
        .offset:         40
        .size:           8
        .value_kind:     global_buffer
      - .actual_access:  read_only
        .address_space:  global
        .offset:         48
        .size:           8
        .value_kind:     global_buffer
      - .offset:         56
        .size:           4
        .value_kind:     by_value
      - .actual_access:  read_only
        .address_space:  global
        .offset:         64
        .size:           8
        .value_kind:     global_buffer
      - .offset:         72
        .size:           4
        .value_kind:     by_value
      - .offset:         76
        .size:           4
        .value_kind:     by_value
      - .offset:         80
        .size:           4
        .value_kind:     by_value
      - .address_space:  global
        .offset:         88
        .size:           8
        .value_kind:     global_buffer
      - .address_space:  global
        .offset:         96
        .size:           8
        .value_kind:     global_buffer
      - .offset:         104
        .size:           4
        .value_kind:     by_value
      - .offset:         108
        .size:           4
        .value_kind:     by_value
      - .offset:         112
        .size:           4
        .value_kind:     by_value
      - .offset:         116
        .size:           4
        .value_kind:     by_value
      - .offset:         120
        .size:           4
        .value_kind:     by_value
      - .offset:         128
        .size:           4
        .value_kind:     hidden_block_count_x
      - .offset:         132
        .size:           4
        .value_kind:     hidden_block_count_y
      - .offset:         136
        .size:           4
        .value_kind:     hidden_block_count_z
      - .offset:         140
        .size:           2
        .value_kind:     hidden_group_size_x
      - .offset:         142
        .size:           2
        .value_kind:     hidden_group_size_y
      - .offset:         144
        .size:           2
        .value_kind:     hidden_group_size_z
      - .offset:         146
        .size:           2
        .value_kind:     hidden_remainder_x
      - .offset:         148
        .size:           2
        .value_kind:     hidden_remainder_y
      - .offset:         150
        .size:           2
        .value_kind:     hidden_remainder_z
      - .offset:         168
        .size:           8
        .value_kind:     hidden_global_offset_x
      - .offset:         176
        .size:           8
        .value_kind:     hidden_global_offset_y
      - .offset:         184
        .size:           8
        .value_kind:     hidden_global_offset_z
      - .offset:         192
        .size:           2
        .value_kind:     hidden_grid_dims
      - .offset:         248
        .size:           4
        .value_kind:     hidden_dynamic_lds_size
    .group_segment_fixed_size: 352
    .kernarg_segment_align: 8
    .kernarg_segment_size: 384
    .language:       OpenCL C
    .language_version:
      - 2
      - 0
    .max_flat_workgroup_size: 1024
    .name:           _ZN4vllm25paged_attention_v1_kernelIffLi80ELi16ELi128ELNS_18Fp8KVCacheDataTypeE0ELb0EEEvPT_PKS2_PKT0_S8_ifPKiSA_iPKfiiiSC_SC_iiiii
    .private_segment_fixed_size: 0
    .sgpr_count:     32
    .sgpr_spill_count: 0
    .symbol:         _ZN4vllm25paged_attention_v1_kernelIffLi80ELi16ELi128ELNS_18Fp8KVCacheDataTypeE0ELb0EEEvPT_PKS2_PKT0_S8_ifPKiSA_iPKfiiiSC_SC_iiiii.kd
    .uniform_work_group_size: 1
    .uses_dynamic_stack: false
    .vgpr_count:     86
    .vgpr_spill_count: 0
    .wavefront_size: 32
  - .args:
      - .actual_access:  write_only
        .address_space:  global
        .offset:         0
        .size:           8
        .value_kind:     global_buffer
      - .actual_access:  read_only
        .address_space:  global
        .offset:         8
        .size:           8
        .value_kind:     global_buffer
      - .actual_access:  read_only
        .address_space:  global
        .offset:         16
        .size:           8
        .value_kind:     global_buffer
      - .actual_access:  read_only
        .address_space:  global
        .offset:         24
        .size:           8
        .value_kind:     global_buffer
      - .offset:         32
        .size:           4
        .value_kind:     by_value
      - .offset:         36
        .size:           4
        .value_kind:     by_value
      - .actual_access:  read_only
        .address_space:  global
        .offset:         40
        .size:           8
        .value_kind:     global_buffer
      - .actual_access:  read_only
        .address_space:  global
        .offset:         48
        .size:           8
        .value_kind:     global_buffer
      - .offset:         56
        .size:           4
        .value_kind:     by_value
      - .actual_access:  read_only
        .address_space:  global
        .offset:         64
        .size:           8
        .value_kind:     global_buffer
      - .offset:         72
        .size:           4
        .value_kind:     by_value
      - .offset:         76
        .size:           4
        .value_kind:     by_value
      - .offset:         80
        .size:           4
        .value_kind:     by_value
      - .address_space:  global
        .offset:         88
        .size:           8
        .value_kind:     global_buffer
      - .address_space:  global
        .offset:         96
        .size:           8
        .value_kind:     global_buffer
      - .offset:         104
        .size:           4
        .value_kind:     by_value
      - .offset:         108
        .size:           4
        .value_kind:     by_value
      - .offset:         112
        .size:           4
        .value_kind:     by_value
      - .offset:         116
        .size:           4
        .value_kind:     by_value
      - .offset:         120
        .size:           4
        .value_kind:     by_value
      - .offset:         128
        .size:           4
        .value_kind:     hidden_block_count_x
      - .offset:         132
        .size:           4
        .value_kind:     hidden_block_count_y
      - .offset:         136
        .size:           4
        .value_kind:     hidden_block_count_z
      - .offset:         140
        .size:           2
        .value_kind:     hidden_group_size_x
      - .offset:         142
        .size:           2
        .value_kind:     hidden_group_size_y
      - .offset:         144
        .size:           2
        .value_kind:     hidden_group_size_z
      - .offset:         146
        .size:           2
        .value_kind:     hidden_remainder_x
      - .offset:         148
        .size:           2
        .value_kind:     hidden_remainder_y
      - .offset:         150
        .size:           2
        .value_kind:     hidden_remainder_z
      - .offset:         168
        .size:           8
        .value_kind:     hidden_global_offset_x
      - .offset:         176
        .size:           8
        .value_kind:     hidden_global_offset_y
      - .offset:         184
        .size:           8
        .value_kind:     hidden_global_offset_z
      - .offset:         192
        .size:           2
        .value_kind:     hidden_grid_dims
      - .offset:         248
        .size:           4
        .value_kind:     hidden_dynamic_lds_size
    .group_segment_fixed_size: 416
    .kernarg_segment_align: 8
    .kernarg_segment_size: 384
    .language:       OpenCL C
    .language_version:
      - 2
      - 0
    .max_flat_workgroup_size: 1024
    .name:           _ZN4vllm25paged_attention_v1_kernelIffLi96ELi16ELi128ELNS_18Fp8KVCacheDataTypeE0ELb0EEEvPT_PKS2_PKT0_S8_ifPKiSA_iPKfiiiSC_SC_iiiii
    .private_segment_fixed_size: 0
    .sgpr_count:     32
    .sgpr_spill_count: 0
    .symbol:         _ZN4vllm25paged_attention_v1_kernelIffLi96ELi16ELi128ELNS_18Fp8KVCacheDataTypeE0ELb0EEEvPT_PKS2_PKT0_S8_ifPKiSA_iPKfiiiSC_SC_iiiii.kd
    .uniform_work_group_size: 1
    .uses_dynamic_stack: false
    .vgpr_count:     102
    .vgpr_spill_count: 0
    .wavefront_size: 32
  - .args:
      - .actual_access:  write_only
        .address_space:  global
        .offset:         0
        .size:           8
        .value_kind:     global_buffer
      - .actual_access:  read_only
        .address_space:  global
        .offset:         8
        .size:           8
        .value_kind:     global_buffer
      - .actual_access:  read_only
        .address_space:  global
        .offset:         16
        .size:           8
        .value_kind:     global_buffer
      - .actual_access:  read_only
        .address_space:  global
        .offset:         24
        .size:           8
        .value_kind:     global_buffer
      - .offset:         32
        .size:           4
        .value_kind:     by_value
      - .offset:         36
        .size:           4
        .value_kind:     by_value
      - .actual_access:  read_only
        .address_space:  global
        .offset:         40
        .size:           8
        .value_kind:     global_buffer
      - .actual_access:  read_only
        .address_space:  global
        .offset:         48
        .size:           8
        .value_kind:     global_buffer
      - .offset:         56
        .size:           4
        .value_kind:     by_value
      - .actual_access:  read_only
        .address_space:  global
        .offset:         64
        .size:           8
        .value_kind:     global_buffer
      - .offset:         72
        .size:           4
        .value_kind:     by_value
      - .offset:         76
        .size:           4
        .value_kind:     by_value
      - .offset:         80
        .size:           4
        .value_kind:     by_value
      - .address_space:  global
        .offset:         88
        .size:           8
        .value_kind:     global_buffer
      - .address_space:  global
        .offset:         96
        .size:           8
        .value_kind:     global_buffer
      - .offset:         104
        .size:           4
        .value_kind:     by_value
      - .offset:         108
        .size:           4
        .value_kind:     by_value
      - .offset:         112
        .size:           4
        .value_kind:     by_value
      - .offset:         116
        .size:           4
        .value_kind:     by_value
      - .offset:         120
        .size:           4
        .value_kind:     by_value
      - .offset:         128
        .size:           4
        .value_kind:     hidden_block_count_x
      - .offset:         132
        .size:           4
        .value_kind:     hidden_block_count_y
      - .offset:         136
        .size:           4
        .value_kind:     hidden_block_count_z
      - .offset:         140
        .size:           2
        .value_kind:     hidden_group_size_x
      - .offset:         142
        .size:           2
        .value_kind:     hidden_group_size_y
      - .offset:         144
        .size:           2
        .value_kind:     hidden_group_size_z
      - .offset:         146
        .size:           2
        .value_kind:     hidden_remainder_x
      - .offset:         148
        .size:           2
        .value_kind:     hidden_remainder_y
      - .offset:         150
        .size:           2
        .value_kind:     hidden_remainder_z
      - .offset:         168
        .size:           8
        .value_kind:     hidden_global_offset_x
      - .offset:         176
        .size:           8
        .value_kind:     hidden_global_offset_y
      - .offset:         184
        .size:           8
        .value_kind:     hidden_global_offset_z
      - .offset:         192
        .size:           2
        .value_kind:     hidden_grid_dims
      - .offset:         248
        .size:           4
        .value_kind:     hidden_dynamic_lds_size
    .group_segment_fixed_size: 480
    .kernarg_segment_align: 8
    .kernarg_segment_size: 384
    .language:       OpenCL C
    .language_version:
      - 2
      - 0
    .max_flat_workgroup_size: 1024
    .name:           _ZN4vllm25paged_attention_v1_kernelIffLi112ELi16ELi128ELNS_18Fp8KVCacheDataTypeE0ELb0EEEvPT_PKS2_PKT0_S8_ifPKiSA_iPKfiiiSC_SC_iiiii
    .private_segment_fixed_size: 0
    .sgpr_count:     32
    .sgpr_spill_count: 0
    .symbol:         _ZN4vllm25paged_attention_v1_kernelIffLi112ELi16ELi128ELNS_18Fp8KVCacheDataTypeE0ELb0EEEvPT_PKS2_PKT0_S8_ifPKiSA_iPKfiiiSC_SC_iiiii.kd
    .uniform_work_group_size: 1
    .uses_dynamic_stack: false
    .vgpr_count:     104
    .vgpr_spill_count: 0
    .wavefront_size: 32
  - .args:
      - .actual_access:  write_only
        .address_space:  global
        .offset:         0
        .size:           8
        .value_kind:     global_buffer
      - .actual_access:  read_only
        .address_space:  global
        .offset:         8
        .size:           8
        .value_kind:     global_buffer
      - .actual_access:  read_only
        .address_space:  global
        .offset:         16
        .size:           8
        .value_kind:     global_buffer
      - .actual_access:  read_only
        .address_space:  global
        .offset:         24
        .size:           8
        .value_kind:     global_buffer
      - .offset:         32
        .size:           4
        .value_kind:     by_value
      - .offset:         36
        .size:           4
        .value_kind:     by_value
      - .actual_access:  read_only
        .address_space:  global
        .offset:         40
        .size:           8
        .value_kind:     global_buffer
      - .actual_access:  read_only
        .address_space:  global
        .offset:         48
        .size:           8
        .value_kind:     global_buffer
      - .offset:         56
        .size:           4
        .value_kind:     by_value
      - .actual_access:  read_only
        .address_space:  global
        .offset:         64
        .size:           8
        .value_kind:     global_buffer
      - .offset:         72
        .size:           4
        .value_kind:     by_value
      - .offset:         76
        .size:           4
        .value_kind:     by_value
      - .offset:         80
        .size:           4
        .value_kind:     by_value
      - .address_space:  global
        .offset:         88
        .size:           8
        .value_kind:     global_buffer
      - .address_space:  global
        .offset:         96
        .size:           8
        .value_kind:     global_buffer
      - .offset:         104
        .size:           4
        .value_kind:     by_value
      - .offset:         108
        .size:           4
        .value_kind:     by_value
      - .offset:         112
        .size:           4
        .value_kind:     by_value
      - .offset:         116
        .size:           4
        .value_kind:     by_value
      - .offset:         120
        .size:           4
        .value_kind:     by_value
      - .offset:         128
        .size:           4
        .value_kind:     hidden_block_count_x
      - .offset:         132
        .size:           4
        .value_kind:     hidden_block_count_y
      - .offset:         136
        .size:           4
        .value_kind:     hidden_block_count_z
      - .offset:         140
        .size:           2
        .value_kind:     hidden_group_size_x
      - .offset:         142
        .size:           2
        .value_kind:     hidden_group_size_y
      - .offset:         144
        .size:           2
        .value_kind:     hidden_group_size_z
      - .offset:         146
        .size:           2
        .value_kind:     hidden_remainder_x
      - .offset:         148
        .size:           2
        .value_kind:     hidden_remainder_y
      - .offset:         150
        .size:           2
        .value_kind:     hidden_remainder_z
      - .offset:         168
        .size:           8
        .value_kind:     hidden_global_offset_x
      - .offset:         176
        .size:           8
        .value_kind:     hidden_global_offset_y
      - .offset:         184
        .size:           8
        .value_kind:     hidden_global_offset_z
      - .offset:         192
        .size:           2
        .value_kind:     hidden_grid_dims
      - .offset:         248
        .size:           4
        .value_kind:     hidden_dynamic_lds_size
    .group_segment_fixed_size: 512
    .kernarg_segment_align: 8
    .kernarg_segment_size: 384
    .language:       OpenCL C
    .language_version:
      - 2
      - 0
    .max_flat_workgroup_size: 1024
    .name:           _ZN4vllm25paged_attention_v1_kernelIffLi120ELi16ELi128ELNS_18Fp8KVCacheDataTypeE0ELb0EEEvPT_PKS2_PKT0_S8_ifPKiSA_iPKfiiiSC_SC_iiiii
    .private_segment_fixed_size: 0
    .sgpr_count:     32
    .sgpr_spill_count: 0
    .symbol:         _ZN4vllm25paged_attention_v1_kernelIffLi120ELi16ELi128ELNS_18Fp8KVCacheDataTypeE0ELb0EEEvPT_PKS2_PKT0_S8_ifPKiSA_iPKfiiiSC_SC_iiiii.kd
    .uniform_work_group_size: 1
    .uses_dynamic_stack: false
    .vgpr_count:     102
    .vgpr_spill_count: 0
    .wavefront_size: 32
  - .args:
      - .actual_access:  write_only
        .address_space:  global
        .offset:         0
        .size:           8
        .value_kind:     global_buffer
      - .actual_access:  read_only
        .address_space:  global
        .offset:         8
        .size:           8
        .value_kind:     global_buffer
      - .actual_access:  read_only
        .address_space:  global
        .offset:         16
        .size:           8
        .value_kind:     global_buffer
      - .actual_access:  read_only
        .address_space:  global
        .offset:         24
        .size:           8
        .value_kind:     global_buffer
      - .offset:         32
        .size:           4
        .value_kind:     by_value
      - .offset:         36
        .size:           4
        .value_kind:     by_value
      - .actual_access:  read_only
        .address_space:  global
        .offset:         40
        .size:           8
        .value_kind:     global_buffer
      - .actual_access:  read_only
        .address_space:  global
        .offset:         48
        .size:           8
        .value_kind:     global_buffer
      - .offset:         56
        .size:           4
        .value_kind:     by_value
      - .actual_access:  read_only
        .address_space:  global
        .offset:         64
        .size:           8
        .value_kind:     global_buffer
      - .offset:         72
        .size:           4
        .value_kind:     by_value
      - .offset:         76
        .size:           4
        .value_kind:     by_value
      - .offset:         80
        .size:           4
        .value_kind:     by_value
      - .address_space:  global
        .offset:         88
        .size:           8
        .value_kind:     global_buffer
      - .address_space:  global
        .offset:         96
        .size:           8
        .value_kind:     global_buffer
      - .offset:         104
        .size:           4
        .value_kind:     by_value
      - .offset:         108
        .size:           4
        .value_kind:     by_value
      - .offset:         112
        .size:           4
        .value_kind:     by_value
      - .offset:         116
        .size:           4
        .value_kind:     by_value
      - .offset:         120
        .size:           4
        .value_kind:     by_value
      - .offset:         128
        .size:           4
        .value_kind:     hidden_block_count_x
      - .offset:         132
        .size:           4
        .value_kind:     hidden_block_count_y
      - .offset:         136
        .size:           4
        .value_kind:     hidden_block_count_z
      - .offset:         140
        .size:           2
        .value_kind:     hidden_group_size_x
      - .offset:         142
        .size:           2
        .value_kind:     hidden_group_size_y
      - .offset:         144
        .size:           2
        .value_kind:     hidden_group_size_z
      - .offset:         146
        .size:           2
        .value_kind:     hidden_remainder_x
      - .offset:         148
        .size:           2
        .value_kind:     hidden_remainder_y
      - .offset:         150
        .size:           2
        .value_kind:     hidden_remainder_z
      - .offset:         168
        .size:           8
        .value_kind:     hidden_global_offset_x
      - .offset:         176
        .size:           8
        .value_kind:     hidden_global_offset_y
      - .offset:         184
        .size:           8
        .value_kind:     hidden_global_offset_z
      - .offset:         192
        .size:           2
        .value_kind:     hidden_grid_dims
      - .offset:         248
        .size:           4
        .value_kind:     hidden_dynamic_lds_size
    .group_segment_fixed_size: 544
    .kernarg_segment_align: 8
    .kernarg_segment_size: 384
    .language:       OpenCL C
    .language_version:
      - 2
      - 0
    .max_flat_workgroup_size: 1024
    .name:           _ZN4vllm25paged_attention_v1_kernelIffLi128ELi16ELi128ELNS_18Fp8KVCacheDataTypeE0ELb0EEEvPT_PKS2_PKT0_S8_ifPKiSA_iPKfiiiSC_SC_iiiii
    .private_segment_fixed_size: 0
    .sgpr_count:     30
    .sgpr_spill_count: 0
    .symbol:         _ZN4vllm25paged_attention_v1_kernelIffLi128ELi16ELi128ELNS_18Fp8KVCacheDataTypeE0ELb0EEEvPT_PKS2_PKT0_S8_ifPKiSA_iPKfiiiSC_SC_iiiii.kd
    .uniform_work_group_size: 1
    .uses_dynamic_stack: false
    .vgpr_count:     118
    .vgpr_spill_count: 0
    .wavefront_size: 32
  - .args:
      - .actual_access:  write_only
        .address_space:  global
        .offset:         0
        .size:           8
        .value_kind:     global_buffer
      - .actual_access:  read_only
        .address_space:  global
        .offset:         8
        .size:           8
        .value_kind:     global_buffer
      - .actual_access:  read_only
        .address_space:  global
        .offset:         16
        .size:           8
        .value_kind:     global_buffer
      - .actual_access:  read_only
        .address_space:  global
        .offset:         24
        .size:           8
        .value_kind:     global_buffer
      - .offset:         32
        .size:           4
        .value_kind:     by_value
      - .offset:         36
        .size:           4
        .value_kind:     by_value
      - .actual_access:  read_only
        .address_space:  global
        .offset:         40
        .size:           8
        .value_kind:     global_buffer
      - .actual_access:  read_only
        .address_space:  global
        .offset:         48
        .size:           8
        .value_kind:     global_buffer
      - .offset:         56
        .size:           4
        .value_kind:     by_value
      - .actual_access:  read_only
        .address_space:  global
        .offset:         64
        .size:           8
        .value_kind:     global_buffer
      - .offset:         72
        .size:           4
        .value_kind:     by_value
      - .offset:         76
        .size:           4
        .value_kind:     by_value
      - .offset:         80
        .size:           4
        .value_kind:     by_value
      - .address_space:  global
        .offset:         88
        .size:           8
        .value_kind:     global_buffer
      - .address_space:  global
        .offset:         96
        .size:           8
        .value_kind:     global_buffer
      - .offset:         104
        .size:           4
        .value_kind:     by_value
      - .offset:         108
        .size:           4
        .value_kind:     by_value
      - .offset:         112
        .size:           4
        .value_kind:     by_value
      - .offset:         116
        .size:           4
        .value_kind:     by_value
      - .offset:         120
        .size:           4
        .value_kind:     by_value
      - .offset:         128
        .size:           4
        .value_kind:     hidden_block_count_x
      - .offset:         132
        .size:           4
        .value_kind:     hidden_block_count_y
      - .offset:         136
        .size:           4
        .value_kind:     hidden_block_count_z
      - .offset:         140
        .size:           2
        .value_kind:     hidden_group_size_x
      - .offset:         142
        .size:           2
        .value_kind:     hidden_group_size_y
      - .offset:         144
        .size:           2
        .value_kind:     hidden_group_size_z
      - .offset:         146
        .size:           2
        .value_kind:     hidden_remainder_x
      - .offset:         148
        .size:           2
        .value_kind:     hidden_remainder_y
      - .offset:         150
        .size:           2
        .value_kind:     hidden_remainder_z
      - .offset:         168
        .size:           8
        .value_kind:     hidden_global_offset_x
      - .offset:         176
        .size:           8
        .value_kind:     hidden_global_offset_y
      - .offset:         184
        .size:           8
        .value_kind:     hidden_global_offset_z
      - .offset:         192
        .size:           2
        .value_kind:     hidden_grid_dims
      - .offset:         248
        .size:           4
        .value_kind:     hidden_dynamic_lds_size
    .group_segment_fixed_size: 800
    .kernarg_segment_align: 8
    .kernarg_segment_size: 384
    .language:       OpenCL C
    .language_version:
      - 2
      - 0
    .max_flat_workgroup_size: 1024
    .name:           _ZN4vllm25paged_attention_v1_kernelIffLi192ELi16ELi128ELNS_18Fp8KVCacheDataTypeE0ELb0EEEvPT_PKS2_PKT0_S8_ifPKiSA_iPKfiiiSC_SC_iiiii
    .private_segment_fixed_size: 52
    .sgpr_count:     32
    .sgpr_spill_count: 0
    .symbol:         _ZN4vllm25paged_attention_v1_kernelIffLi192ELi16ELi128ELNS_18Fp8KVCacheDataTypeE0ELb0EEEvPT_PKS2_PKT0_S8_ifPKiSA_iPKfiiiSC_SC_iiiii.kd
    .uniform_work_group_size: 1
    .uses_dynamic_stack: false
    .vgpr_count:     128
    .vgpr_spill_count: 12
    .wavefront_size: 32
  - .args:
      - .actual_access:  write_only
        .address_space:  global
        .offset:         0
        .size:           8
        .value_kind:     global_buffer
      - .actual_access:  read_only
        .address_space:  global
        .offset:         8
        .size:           8
        .value_kind:     global_buffer
      - .actual_access:  read_only
        .address_space:  global
        .offset:         16
        .size:           8
        .value_kind:     global_buffer
      - .actual_access:  read_only
        .address_space:  global
        .offset:         24
        .size:           8
        .value_kind:     global_buffer
      - .offset:         32
        .size:           4
        .value_kind:     by_value
      - .offset:         36
        .size:           4
        .value_kind:     by_value
      - .actual_access:  read_only
        .address_space:  global
        .offset:         40
        .size:           8
        .value_kind:     global_buffer
      - .actual_access:  read_only
        .address_space:  global
        .offset:         48
        .size:           8
        .value_kind:     global_buffer
      - .offset:         56
        .size:           4
        .value_kind:     by_value
      - .actual_access:  read_only
        .address_space:  global
        .offset:         64
        .size:           8
        .value_kind:     global_buffer
      - .offset:         72
        .size:           4
        .value_kind:     by_value
      - .offset:         76
        .size:           4
        .value_kind:     by_value
      - .offset:         80
        .size:           4
        .value_kind:     by_value
      - .address_space:  global
        .offset:         88
        .size:           8
        .value_kind:     global_buffer
      - .address_space:  global
        .offset:         96
        .size:           8
        .value_kind:     global_buffer
      - .offset:         104
        .size:           4
        .value_kind:     by_value
      - .offset:         108
        .size:           4
        .value_kind:     by_value
      - .offset:         112
        .size:           4
        .value_kind:     by_value
      - .offset:         116
        .size:           4
        .value_kind:     by_value
      - .offset:         120
        .size:           4
        .value_kind:     by_value
      - .offset:         128
        .size:           4
        .value_kind:     hidden_block_count_x
      - .offset:         132
        .size:           4
        .value_kind:     hidden_block_count_y
      - .offset:         136
        .size:           4
        .value_kind:     hidden_block_count_z
      - .offset:         140
        .size:           2
        .value_kind:     hidden_group_size_x
      - .offset:         142
        .size:           2
        .value_kind:     hidden_group_size_y
      - .offset:         144
        .size:           2
        .value_kind:     hidden_group_size_z
      - .offset:         146
        .size:           2
        .value_kind:     hidden_remainder_x
      - .offset:         148
        .size:           2
        .value_kind:     hidden_remainder_y
      - .offset:         150
        .size:           2
        .value_kind:     hidden_remainder_z
      - .offset:         168
        .size:           8
        .value_kind:     hidden_global_offset_x
      - .offset:         176
        .size:           8
        .value_kind:     hidden_global_offset_y
      - .offset:         184
        .size:           8
        .value_kind:     hidden_global_offset_z
      - .offset:         192
        .size:           2
        .value_kind:     hidden_grid_dims
      - .offset:         248
        .size:           4
        .value_kind:     hidden_dynamic_lds_size
    .group_segment_fixed_size: 1056
    .kernarg_segment_align: 8
    .kernarg_segment_size: 384
    .language:       OpenCL C
    .language_version:
      - 2
      - 0
    .max_flat_workgroup_size: 1024
    .name:           _ZN4vllm25paged_attention_v1_kernelIffLi256ELi16ELi128ELNS_18Fp8KVCacheDataTypeE0ELb0EEEvPT_PKS2_PKT0_S8_ifPKiSA_iPKfiiiSC_SC_iiiii
    .private_segment_fixed_size: 228
    .sgpr_count:     32
    .sgpr_spill_count: 0
    .symbol:         _ZN4vllm25paged_attention_v1_kernelIffLi256ELi16ELi128ELNS_18Fp8KVCacheDataTypeE0ELb0EEEvPT_PKS2_PKT0_S8_ifPKiSA_iPKfiiiSC_SC_iiiii.kd
    .uniform_work_group_size: 1
    .uses_dynamic_stack: false
    .vgpr_count:     128
    .vgpr_spill_count: 124
    .wavefront_size: 32
  - .args:
      - .actual_access:  write_only
        .address_space:  global
        .offset:         0
        .size:           8
        .value_kind:     global_buffer
      - .actual_access:  read_only
        .address_space:  global
        .offset:         8
        .size:           8
        .value_kind:     global_buffer
      - .actual_access:  read_only
        .address_space:  global
        .offset:         16
        .size:           8
        .value_kind:     global_buffer
      - .actual_access:  read_only
        .address_space:  global
        .offset:         24
        .size:           8
        .value_kind:     global_buffer
      - .offset:         32
        .size:           4
        .value_kind:     by_value
      - .offset:         36
        .size:           4
        .value_kind:     by_value
      - .actual_access:  read_only
        .address_space:  global
        .offset:         40
        .size:           8
        .value_kind:     global_buffer
      - .actual_access:  read_only
        .address_space:  global
        .offset:         48
        .size:           8
        .value_kind:     global_buffer
      - .offset:         56
        .size:           4
        .value_kind:     by_value
      - .actual_access:  read_only
        .address_space:  global
        .offset:         64
        .size:           8
        .value_kind:     global_buffer
      - .offset:         72
        .size:           4
        .value_kind:     by_value
      - .offset:         76
        .size:           4
        .value_kind:     by_value
      - .offset:         80
        .size:           4
        .value_kind:     by_value
      - .address_space:  global
        .offset:         88
        .size:           8
        .value_kind:     global_buffer
      - .address_space:  global
        .offset:         96
        .size:           8
        .value_kind:     global_buffer
      - .offset:         104
        .size:           4
        .value_kind:     by_value
      - .offset:         108
        .size:           4
        .value_kind:     by_value
      - .offset:         112
        .size:           4
        .value_kind:     by_value
      - .offset:         116
        .size:           4
        .value_kind:     by_value
      - .offset:         120
        .size:           4
        .value_kind:     by_value
      - .offset:         128
        .size:           4
        .value_kind:     hidden_block_count_x
      - .offset:         132
        .size:           4
        .value_kind:     hidden_block_count_y
      - .offset:         136
        .size:           4
        .value_kind:     hidden_block_count_z
      - .offset:         140
        .size:           2
        .value_kind:     hidden_group_size_x
      - .offset:         142
        .size:           2
        .value_kind:     hidden_group_size_y
      - .offset:         144
        .size:           2
        .value_kind:     hidden_group_size_z
      - .offset:         146
        .size:           2
        .value_kind:     hidden_remainder_x
      - .offset:         148
        .size:           2
        .value_kind:     hidden_remainder_y
      - .offset:         150
        .size:           2
        .value_kind:     hidden_remainder_z
      - .offset:         168
        .size:           8
        .value_kind:     hidden_global_offset_x
      - .offset:         176
        .size:           8
        .value_kind:     hidden_global_offset_y
      - .offset:         184
        .size:           8
        .value_kind:     hidden_global_offset_z
      - .offset:         192
        .size:           2
        .value_kind:     hidden_grid_dims
      - .offset:         248
        .size:           4
        .value_kind:     hidden_dynamic_lds_size
    .group_segment_fixed_size: 160
    .kernarg_segment_align: 8
    .kernarg_segment_size: 384
    .language:       OpenCL C
    .language_version:
      - 2
      - 0
    .max_flat_workgroup_size: 1024
    .name:           _ZN4vllm25paged_attention_v1_kernelIffLi32ELi32ELi128ELNS_18Fp8KVCacheDataTypeE0ELb1EEEvPT_PKS2_PKT0_S8_ifPKiSA_iPKfiiiSC_SC_iiiii
    .private_segment_fixed_size: 0
    .sgpr_count:     40
    .sgpr_spill_count: 0
    .symbol:         _ZN4vllm25paged_attention_v1_kernelIffLi32ELi32ELi128ELNS_18Fp8KVCacheDataTypeE0ELb1EEEvPT_PKS2_PKT0_S8_ifPKiSA_iPKfiiiSC_SC_iiiii.kd
    .uniform_work_group_size: 1
    .uses_dynamic_stack: false
    .vgpr_count:     70
    .vgpr_spill_count: 0
    .wavefront_size: 32
  - .args:
      - .actual_access:  write_only
        .address_space:  global
        .offset:         0
        .size:           8
        .value_kind:     global_buffer
      - .actual_access:  read_only
        .address_space:  global
        .offset:         8
        .size:           8
        .value_kind:     global_buffer
      - .actual_access:  read_only
        .address_space:  global
        .offset:         16
        .size:           8
        .value_kind:     global_buffer
      - .actual_access:  read_only
        .address_space:  global
        .offset:         24
        .size:           8
        .value_kind:     global_buffer
      - .offset:         32
        .size:           4
        .value_kind:     by_value
      - .offset:         36
        .size:           4
        .value_kind:     by_value
      - .actual_access:  read_only
        .address_space:  global
        .offset:         40
        .size:           8
        .value_kind:     global_buffer
      - .actual_access:  read_only
        .address_space:  global
        .offset:         48
        .size:           8
        .value_kind:     global_buffer
      - .offset:         56
        .size:           4
        .value_kind:     by_value
      - .actual_access:  read_only
        .address_space:  global
        .offset:         64
        .size:           8
        .value_kind:     global_buffer
      - .offset:         72
        .size:           4
        .value_kind:     by_value
      - .offset:         76
        .size:           4
        .value_kind:     by_value
      - .offset:         80
        .size:           4
        .value_kind:     by_value
      - .address_space:  global
        .offset:         88
        .size:           8
        .value_kind:     global_buffer
      - .address_space:  global
        .offset:         96
        .size:           8
        .value_kind:     global_buffer
      - .offset:         104
        .size:           4
        .value_kind:     by_value
      - .offset:         108
        .size:           4
        .value_kind:     by_value
      - .offset:         112
        .size:           4
        .value_kind:     by_value
      - .offset:         116
        .size:           4
        .value_kind:     by_value
      - .offset:         120
        .size:           4
        .value_kind:     by_value
      - .offset:         128
        .size:           4
        .value_kind:     hidden_block_count_x
      - .offset:         132
        .size:           4
        .value_kind:     hidden_block_count_y
      - .offset:         136
        .size:           4
        .value_kind:     hidden_block_count_z
      - .offset:         140
        .size:           2
        .value_kind:     hidden_group_size_x
      - .offset:         142
        .size:           2
        .value_kind:     hidden_group_size_y
      - .offset:         144
        .size:           2
        .value_kind:     hidden_group_size_z
      - .offset:         146
        .size:           2
        .value_kind:     hidden_remainder_x
      - .offset:         148
        .size:           2
        .value_kind:     hidden_remainder_y
      - .offset:         150
        .size:           2
        .value_kind:     hidden_remainder_z
      - .offset:         168
        .size:           8
        .value_kind:     hidden_global_offset_x
      - .offset:         176
        .size:           8
        .value_kind:     hidden_global_offset_y
      - .offset:         184
        .size:           8
        .value_kind:     hidden_global_offset_z
      - .offset:         192
        .size:           2
        .value_kind:     hidden_grid_dims
      - .offset:         248
        .size:           4
        .value_kind:     hidden_dynamic_lds_size
    .group_segment_fixed_size: 288
    .kernarg_segment_align: 8
    .kernarg_segment_size: 384
    .language:       OpenCL C
    .language_version:
      - 2
      - 0
    .max_flat_workgroup_size: 1024
    .name:           _ZN4vllm25paged_attention_v1_kernelIffLi64ELi32ELi128ELNS_18Fp8KVCacheDataTypeE0ELb1EEEvPT_PKS2_PKT0_S8_ifPKiSA_iPKfiiiSC_SC_iiiii
    .private_segment_fixed_size: 0
    .sgpr_count:     40
    .sgpr_spill_count: 0
    .symbol:         _ZN4vllm25paged_attention_v1_kernelIffLi64ELi32ELi128ELNS_18Fp8KVCacheDataTypeE0ELb1EEEvPT_PKS2_PKT0_S8_ifPKiSA_iPKfiiiSC_SC_iiiii.kd
    .uniform_work_group_size: 1
    .uses_dynamic_stack: false
    .vgpr_count:     118
    .vgpr_spill_count: 0
    .wavefront_size: 32
  - .args:
      - .actual_access:  write_only
        .address_space:  global
        .offset:         0
        .size:           8
        .value_kind:     global_buffer
      - .actual_access:  read_only
        .address_space:  global
        .offset:         8
        .size:           8
        .value_kind:     global_buffer
      - .actual_access:  read_only
        .address_space:  global
        .offset:         16
        .size:           8
        .value_kind:     global_buffer
      - .actual_access:  read_only
        .address_space:  global
        .offset:         24
        .size:           8
        .value_kind:     global_buffer
      - .offset:         32
        .size:           4
        .value_kind:     by_value
      - .offset:         36
        .size:           4
        .value_kind:     by_value
      - .actual_access:  read_only
        .address_space:  global
        .offset:         40
        .size:           8
        .value_kind:     global_buffer
      - .actual_access:  read_only
        .address_space:  global
        .offset:         48
        .size:           8
        .value_kind:     global_buffer
      - .offset:         56
        .size:           4
        .value_kind:     by_value
      - .actual_access:  read_only
        .address_space:  global
        .offset:         64
        .size:           8
        .value_kind:     global_buffer
      - .offset:         72
        .size:           4
        .value_kind:     by_value
      - .offset:         76
        .size:           4
        .value_kind:     by_value
      - .offset:         80
        .size:           4
        .value_kind:     by_value
      - .address_space:  global
        .offset:         88
        .size:           8
        .value_kind:     global_buffer
      - .address_space:  global
        .offset:         96
        .size:           8
        .value_kind:     global_buffer
      - .offset:         104
        .size:           4
        .value_kind:     by_value
      - .offset:         108
        .size:           4
        .value_kind:     by_value
      - .offset:         112
        .size:           4
        .value_kind:     by_value
      - .offset:         116
        .size:           4
        .value_kind:     by_value
      - .offset:         120
        .size:           4
        .value_kind:     by_value
      - .offset:         128
        .size:           4
        .value_kind:     hidden_block_count_x
      - .offset:         132
        .size:           4
        .value_kind:     hidden_block_count_y
      - .offset:         136
        .size:           4
        .value_kind:     hidden_block_count_z
      - .offset:         140
        .size:           2
        .value_kind:     hidden_group_size_x
      - .offset:         142
        .size:           2
        .value_kind:     hidden_group_size_y
      - .offset:         144
        .size:           2
        .value_kind:     hidden_group_size_z
      - .offset:         146
        .size:           2
        .value_kind:     hidden_remainder_x
      - .offset:         148
        .size:           2
        .value_kind:     hidden_remainder_y
      - .offset:         150
        .size:           2
        .value_kind:     hidden_remainder_z
      - .offset:         168
        .size:           8
        .value_kind:     hidden_global_offset_x
      - .offset:         176
        .size:           8
        .value_kind:     hidden_global_offset_y
      - .offset:         184
        .size:           8
        .value_kind:     hidden_global_offset_z
      - .offset:         192
        .size:           2
        .value_kind:     hidden_grid_dims
      - .offset:         248
        .size:           4
        .value_kind:     hidden_dynamic_lds_size
    .group_segment_fixed_size: 352
    .kernarg_segment_align: 8
    .kernarg_segment_size: 384
    .language:       OpenCL C
    .language_version:
      - 2
      - 0
    .max_flat_workgroup_size: 1024
    .name:           _ZN4vllm25paged_attention_v1_kernelIffLi80ELi32ELi128ELNS_18Fp8KVCacheDataTypeE0ELb1EEEvPT_PKS2_PKT0_S8_ifPKiSA_iPKfiiiSC_SC_iiiii
    .private_segment_fixed_size: 0
    .sgpr_count:     40
    .sgpr_spill_count: 0
    .symbol:         _ZN4vllm25paged_attention_v1_kernelIffLi80ELi32ELi128ELNS_18Fp8KVCacheDataTypeE0ELb1EEEvPT_PKS2_PKT0_S8_ifPKiSA_iPKfiiiSC_SC_iiiii.kd
    .uniform_work_group_size: 1
    .uses_dynamic_stack: false
    .vgpr_count:     124
    .vgpr_spill_count: 0
    .wavefront_size: 32
  - .args:
      - .actual_access:  write_only
        .address_space:  global
        .offset:         0
        .size:           8
        .value_kind:     global_buffer
      - .actual_access:  read_only
        .address_space:  global
        .offset:         8
        .size:           8
        .value_kind:     global_buffer
      - .actual_access:  read_only
        .address_space:  global
        .offset:         16
        .size:           8
        .value_kind:     global_buffer
      - .actual_access:  read_only
        .address_space:  global
        .offset:         24
        .size:           8
        .value_kind:     global_buffer
      - .offset:         32
        .size:           4
        .value_kind:     by_value
      - .offset:         36
        .size:           4
        .value_kind:     by_value
      - .actual_access:  read_only
        .address_space:  global
        .offset:         40
        .size:           8
        .value_kind:     global_buffer
      - .actual_access:  read_only
        .address_space:  global
        .offset:         48
        .size:           8
        .value_kind:     global_buffer
      - .offset:         56
        .size:           4
        .value_kind:     by_value
      - .actual_access:  read_only
        .address_space:  global
        .offset:         64
        .size:           8
        .value_kind:     global_buffer
      - .offset:         72
        .size:           4
        .value_kind:     by_value
      - .offset:         76
        .size:           4
        .value_kind:     by_value
      - .offset:         80
        .size:           4
        .value_kind:     by_value
      - .address_space:  global
        .offset:         88
        .size:           8
        .value_kind:     global_buffer
      - .address_space:  global
        .offset:         96
        .size:           8
        .value_kind:     global_buffer
      - .offset:         104
        .size:           4
        .value_kind:     by_value
      - .offset:         108
        .size:           4
        .value_kind:     by_value
      - .offset:         112
        .size:           4
        .value_kind:     by_value
      - .offset:         116
        .size:           4
        .value_kind:     by_value
      - .offset:         120
        .size:           4
        .value_kind:     by_value
      - .offset:         128
        .size:           4
        .value_kind:     hidden_block_count_x
      - .offset:         132
        .size:           4
        .value_kind:     hidden_block_count_y
      - .offset:         136
        .size:           4
        .value_kind:     hidden_block_count_z
      - .offset:         140
        .size:           2
        .value_kind:     hidden_group_size_x
      - .offset:         142
        .size:           2
        .value_kind:     hidden_group_size_y
      - .offset:         144
        .size:           2
        .value_kind:     hidden_group_size_z
      - .offset:         146
        .size:           2
        .value_kind:     hidden_remainder_x
      - .offset:         148
        .size:           2
        .value_kind:     hidden_remainder_y
      - .offset:         150
        .size:           2
        .value_kind:     hidden_remainder_z
      - .offset:         168
        .size:           8
        .value_kind:     hidden_global_offset_x
      - .offset:         176
        .size:           8
        .value_kind:     hidden_global_offset_y
      - .offset:         184
        .size:           8
        .value_kind:     hidden_global_offset_z
      - .offset:         192
        .size:           2
        .value_kind:     hidden_grid_dims
      - .offset:         248
        .size:           4
        .value_kind:     hidden_dynamic_lds_size
    .group_segment_fixed_size: 416
    .kernarg_segment_align: 8
    .kernarg_segment_size: 384
    .language:       OpenCL C
    .language_version:
      - 2
      - 0
    .max_flat_workgroup_size: 1024
    .name:           _ZN4vllm25paged_attention_v1_kernelIffLi96ELi32ELi128ELNS_18Fp8KVCacheDataTypeE0ELb1EEEvPT_PKS2_PKT0_S8_ifPKiSA_iPKfiiiSC_SC_iiiii
    .private_segment_fixed_size: 68
    .sgpr_count:     40
    .sgpr_spill_count: 0
    .symbol:         _ZN4vllm25paged_attention_v1_kernelIffLi96ELi32ELi128ELNS_18Fp8KVCacheDataTypeE0ELb1EEEvPT_PKS2_PKT0_S8_ifPKiSA_iPKfiiiSC_SC_iiiii.kd
    .uniform_work_group_size: 1
    .uses_dynamic_stack: false
    .vgpr_count:     128
    .vgpr_spill_count: 28
    .wavefront_size: 32
  - .args:
      - .actual_access:  write_only
        .address_space:  global
        .offset:         0
        .size:           8
        .value_kind:     global_buffer
      - .actual_access:  read_only
        .address_space:  global
        .offset:         8
        .size:           8
        .value_kind:     global_buffer
      - .actual_access:  read_only
        .address_space:  global
        .offset:         16
        .size:           8
        .value_kind:     global_buffer
      - .actual_access:  read_only
        .address_space:  global
        .offset:         24
        .size:           8
        .value_kind:     global_buffer
      - .offset:         32
        .size:           4
        .value_kind:     by_value
      - .offset:         36
        .size:           4
        .value_kind:     by_value
      - .actual_access:  read_only
        .address_space:  global
        .offset:         40
        .size:           8
        .value_kind:     global_buffer
      - .actual_access:  read_only
        .address_space:  global
        .offset:         48
        .size:           8
        .value_kind:     global_buffer
      - .offset:         56
        .size:           4
        .value_kind:     by_value
      - .actual_access:  read_only
        .address_space:  global
        .offset:         64
        .size:           8
        .value_kind:     global_buffer
      - .offset:         72
        .size:           4
        .value_kind:     by_value
      - .offset:         76
        .size:           4
        .value_kind:     by_value
      - .offset:         80
        .size:           4
        .value_kind:     by_value
      - .address_space:  global
        .offset:         88
        .size:           8
        .value_kind:     global_buffer
      - .address_space:  global
        .offset:         96
        .size:           8
        .value_kind:     global_buffer
      - .offset:         104
        .size:           4
        .value_kind:     by_value
      - .offset:         108
        .size:           4
        .value_kind:     by_value
      - .offset:         112
        .size:           4
        .value_kind:     by_value
      - .offset:         116
        .size:           4
        .value_kind:     by_value
      - .offset:         120
        .size:           4
        .value_kind:     by_value
      - .offset:         128
        .size:           4
        .value_kind:     hidden_block_count_x
      - .offset:         132
        .size:           4
        .value_kind:     hidden_block_count_y
      - .offset:         136
        .size:           4
        .value_kind:     hidden_block_count_z
      - .offset:         140
        .size:           2
        .value_kind:     hidden_group_size_x
      - .offset:         142
        .size:           2
        .value_kind:     hidden_group_size_y
      - .offset:         144
        .size:           2
        .value_kind:     hidden_group_size_z
      - .offset:         146
        .size:           2
        .value_kind:     hidden_remainder_x
      - .offset:         148
        .size:           2
        .value_kind:     hidden_remainder_y
      - .offset:         150
        .size:           2
        .value_kind:     hidden_remainder_z
      - .offset:         168
        .size:           8
        .value_kind:     hidden_global_offset_x
      - .offset:         176
        .size:           8
        .value_kind:     hidden_global_offset_y
      - .offset:         184
        .size:           8
        .value_kind:     hidden_global_offset_z
      - .offset:         192
        .size:           2
        .value_kind:     hidden_grid_dims
      - .offset:         248
        .size:           4
        .value_kind:     hidden_dynamic_lds_size
    .group_segment_fixed_size: 480
    .kernarg_segment_align: 8
    .kernarg_segment_size: 384
    .language:       OpenCL C
    .language_version:
      - 2
      - 0
    .max_flat_workgroup_size: 1024
    .name:           _ZN4vllm25paged_attention_v1_kernelIffLi112ELi32ELi128ELNS_18Fp8KVCacheDataTypeE0ELb1EEEvPT_PKS2_PKT0_S8_ifPKiSA_iPKfiiiSC_SC_iiiii
    .private_segment_fixed_size: 164
    .sgpr_count:     40
    .sgpr_spill_count: 0
    .symbol:         _ZN4vllm25paged_attention_v1_kernelIffLi112ELi32ELi128ELNS_18Fp8KVCacheDataTypeE0ELb1EEEvPT_PKS2_PKT0_S8_ifPKiSA_iPKfiiiSC_SC_iiiii.kd
    .uniform_work_group_size: 1
    .uses_dynamic_stack: false
    .vgpr_count:     128
    .vgpr_spill_count: 73
    .wavefront_size: 32
  - .args:
      - .actual_access:  write_only
        .address_space:  global
        .offset:         0
        .size:           8
        .value_kind:     global_buffer
      - .actual_access:  read_only
        .address_space:  global
        .offset:         8
        .size:           8
        .value_kind:     global_buffer
      - .actual_access:  read_only
        .address_space:  global
        .offset:         16
        .size:           8
        .value_kind:     global_buffer
      - .actual_access:  read_only
        .address_space:  global
        .offset:         24
        .size:           8
        .value_kind:     global_buffer
      - .offset:         32
        .size:           4
        .value_kind:     by_value
      - .offset:         36
        .size:           4
        .value_kind:     by_value
      - .actual_access:  read_only
        .address_space:  global
        .offset:         40
        .size:           8
        .value_kind:     global_buffer
      - .actual_access:  read_only
        .address_space:  global
        .offset:         48
        .size:           8
        .value_kind:     global_buffer
      - .offset:         56
        .size:           4
        .value_kind:     by_value
      - .actual_access:  read_only
        .address_space:  global
        .offset:         64
        .size:           8
        .value_kind:     global_buffer
      - .offset:         72
        .size:           4
        .value_kind:     by_value
      - .offset:         76
        .size:           4
        .value_kind:     by_value
      - .offset:         80
        .size:           4
        .value_kind:     by_value
      - .address_space:  global
        .offset:         88
        .size:           8
        .value_kind:     global_buffer
      - .address_space:  global
        .offset:         96
        .size:           8
        .value_kind:     global_buffer
      - .offset:         104
        .size:           4
        .value_kind:     by_value
      - .offset:         108
        .size:           4
        .value_kind:     by_value
      - .offset:         112
        .size:           4
        .value_kind:     by_value
      - .offset:         116
        .size:           4
        .value_kind:     by_value
      - .offset:         120
        .size:           4
        .value_kind:     by_value
      - .offset:         128
        .size:           4
        .value_kind:     hidden_block_count_x
      - .offset:         132
        .size:           4
        .value_kind:     hidden_block_count_y
      - .offset:         136
        .size:           4
        .value_kind:     hidden_block_count_z
      - .offset:         140
        .size:           2
        .value_kind:     hidden_group_size_x
      - .offset:         142
        .size:           2
        .value_kind:     hidden_group_size_y
      - .offset:         144
        .size:           2
        .value_kind:     hidden_group_size_z
      - .offset:         146
        .size:           2
        .value_kind:     hidden_remainder_x
      - .offset:         148
        .size:           2
        .value_kind:     hidden_remainder_y
      - .offset:         150
        .size:           2
        .value_kind:     hidden_remainder_z
      - .offset:         168
        .size:           8
        .value_kind:     hidden_global_offset_x
      - .offset:         176
        .size:           8
        .value_kind:     hidden_global_offset_y
      - .offset:         184
        .size:           8
        .value_kind:     hidden_global_offset_z
      - .offset:         192
        .size:           2
        .value_kind:     hidden_grid_dims
      - .offset:         248
        .size:           4
        .value_kind:     hidden_dynamic_lds_size
    .group_segment_fixed_size: 512
    .kernarg_segment_align: 8
    .kernarg_segment_size: 384
    .language:       OpenCL C
    .language_version:
      - 2
      - 0
    .max_flat_workgroup_size: 1024
    .name:           _ZN4vllm25paged_attention_v1_kernelIffLi120ELi32ELi128ELNS_18Fp8KVCacheDataTypeE0ELb1EEEvPT_PKS2_PKT0_S8_ifPKiSA_iPKfiiiSC_SC_iiiii
    .private_segment_fixed_size: 220
    .sgpr_count:     40
    .sgpr_spill_count: 0
    .symbol:         _ZN4vllm25paged_attention_v1_kernelIffLi120ELi32ELi128ELNS_18Fp8KVCacheDataTypeE0ELb1EEEvPT_PKS2_PKT0_S8_ifPKiSA_iPKfiiiSC_SC_iiiii.kd
    .uniform_work_group_size: 1
    .uses_dynamic_stack: false
    .vgpr_count:     128
    .vgpr_spill_count: 124
    .wavefront_size: 32
  - .args:
      - .actual_access:  write_only
        .address_space:  global
        .offset:         0
        .size:           8
        .value_kind:     global_buffer
      - .actual_access:  read_only
        .address_space:  global
        .offset:         8
        .size:           8
        .value_kind:     global_buffer
      - .actual_access:  read_only
        .address_space:  global
        .offset:         16
        .size:           8
        .value_kind:     global_buffer
      - .actual_access:  read_only
        .address_space:  global
        .offset:         24
        .size:           8
        .value_kind:     global_buffer
      - .offset:         32
        .size:           4
        .value_kind:     by_value
      - .offset:         36
        .size:           4
        .value_kind:     by_value
      - .actual_access:  read_only
        .address_space:  global
        .offset:         40
        .size:           8
        .value_kind:     global_buffer
      - .actual_access:  read_only
        .address_space:  global
        .offset:         48
        .size:           8
        .value_kind:     global_buffer
      - .offset:         56
        .size:           4
        .value_kind:     by_value
      - .actual_access:  read_only
        .address_space:  global
        .offset:         64
        .size:           8
        .value_kind:     global_buffer
      - .offset:         72
        .size:           4
        .value_kind:     by_value
      - .offset:         76
        .size:           4
        .value_kind:     by_value
      - .offset:         80
        .size:           4
        .value_kind:     by_value
      - .address_space:  global
        .offset:         88
        .size:           8
        .value_kind:     global_buffer
      - .address_space:  global
        .offset:         96
        .size:           8
        .value_kind:     global_buffer
      - .offset:         104
        .size:           4
        .value_kind:     by_value
      - .offset:         108
        .size:           4
        .value_kind:     by_value
      - .offset:         112
        .size:           4
        .value_kind:     by_value
      - .offset:         116
        .size:           4
        .value_kind:     by_value
      - .offset:         120
        .size:           4
        .value_kind:     by_value
      - .offset:         128
        .size:           4
        .value_kind:     hidden_block_count_x
      - .offset:         132
        .size:           4
        .value_kind:     hidden_block_count_y
      - .offset:         136
        .size:           4
        .value_kind:     hidden_block_count_z
      - .offset:         140
        .size:           2
        .value_kind:     hidden_group_size_x
      - .offset:         142
        .size:           2
        .value_kind:     hidden_group_size_y
      - .offset:         144
        .size:           2
        .value_kind:     hidden_group_size_z
      - .offset:         146
        .size:           2
        .value_kind:     hidden_remainder_x
      - .offset:         148
        .size:           2
        .value_kind:     hidden_remainder_y
      - .offset:         150
        .size:           2
        .value_kind:     hidden_remainder_z
      - .offset:         168
        .size:           8
        .value_kind:     hidden_global_offset_x
      - .offset:         176
        .size:           8
        .value_kind:     hidden_global_offset_y
      - .offset:         184
        .size:           8
        .value_kind:     hidden_global_offset_z
      - .offset:         192
        .size:           2
        .value_kind:     hidden_grid_dims
      - .offset:         248
        .size:           4
        .value_kind:     hidden_dynamic_lds_size
    .group_segment_fixed_size: 544
    .kernarg_segment_align: 8
    .kernarg_segment_size: 384
    .language:       OpenCL C
    .language_version:
      - 2
      - 0
    .max_flat_workgroup_size: 1024
    .name:           _ZN4vllm25paged_attention_v1_kernelIffLi128ELi32ELi128ELNS_18Fp8KVCacheDataTypeE0ELb1EEEvPT_PKS2_PKT0_S8_ifPKiSA_iPKfiiiSC_SC_iiiii
    .private_segment_fixed_size: 268
    .sgpr_count:     40
    .sgpr_spill_count: 0
    .symbol:         _ZN4vllm25paged_attention_v1_kernelIffLi128ELi32ELi128ELNS_18Fp8KVCacheDataTypeE0ELb1EEEvPT_PKS2_PKT0_S8_ifPKiSA_iPKfiiiSC_SC_iiiii.kd
    .uniform_work_group_size: 1
    .uses_dynamic_stack: false
    .vgpr_count:     128
    .vgpr_spill_count: 147
    .wavefront_size: 32
  - .args:
      - .actual_access:  write_only
        .address_space:  global
        .offset:         0
        .size:           8
        .value_kind:     global_buffer
      - .actual_access:  read_only
        .address_space:  global
        .offset:         8
        .size:           8
        .value_kind:     global_buffer
      - .actual_access:  read_only
        .address_space:  global
        .offset:         16
        .size:           8
        .value_kind:     global_buffer
      - .actual_access:  read_only
        .address_space:  global
        .offset:         24
        .size:           8
        .value_kind:     global_buffer
      - .offset:         32
        .size:           4
        .value_kind:     by_value
      - .offset:         36
        .size:           4
        .value_kind:     by_value
      - .actual_access:  read_only
        .address_space:  global
        .offset:         40
        .size:           8
        .value_kind:     global_buffer
      - .actual_access:  read_only
        .address_space:  global
        .offset:         48
        .size:           8
        .value_kind:     global_buffer
      - .offset:         56
        .size:           4
        .value_kind:     by_value
      - .actual_access:  read_only
        .address_space:  global
        .offset:         64
        .size:           8
        .value_kind:     global_buffer
      - .offset:         72
        .size:           4
        .value_kind:     by_value
      - .offset:         76
        .size:           4
        .value_kind:     by_value
      - .offset:         80
        .size:           4
        .value_kind:     by_value
      - .address_space:  global
        .offset:         88
        .size:           8
        .value_kind:     global_buffer
      - .address_space:  global
        .offset:         96
        .size:           8
        .value_kind:     global_buffer
      - .offset:         104
        .size:           4
        .value_kind:     by_value
      - .offset:         108
        .size:           4
        .value_kind:     by_value
      - .offset:         112
        .size:           4
        .value_kind:     by_value
      - .offset:         116
        .size:           4
        .value_kind:     by_value
      - .offset:         120
        .size:           4
        .value_kind:     by_value
      - .offset:         128
        .size:           4
        .value_kind:     hidden_block_count_x
      - .offset:         132
        .size:           4
        .value_kind:     hidden_block_count_y
      - .offset:         136
        .size:           4
        .value_kind:     hidden_block_count_z
      - .offset:         140
        .size:           2
        .value_kind:     hidden_group_size_x
      - .offset:         142
        .size:           2
        .value_kind:     hidden_group_size_y
      - .offset:         144
        .size:           2
        .value_kind:     hidden_group_size_z
      - .offset:         146
        .size:           2
        .value_kind:     hidden_remainder_x
      - .offset:         148
        .size:           2
        .value_kind:     hidden_remainder_y
      - .offset:         150
        .size:           2
        .value_kind:     hidden_remainder_z
      - .offset:         168
        .size:           8
        .value_kind:     hidden_global_offset_x
      - .offset:         176
        .size:           8
        .value_kind:     hidden_global_offset_y
      - .offset:         184
        .size:           8
        .value_kind:     hidden_global_offset_z
      - .offset:         192
        .size:           2
        .value_kind:     hidden_grid_dims
      - .offset:         248
        .size:           4
        .value_kind:     hidden_dynamic_lds_size
    .group_segment_fixed_size: 800
    .kernarg_segment_align: 8
    .kernarg_segment_size: 384
    .language:       OpenCL C
    .language_version:
      - 2
      - 0
    .max_flat_workgroup_size: 1024
    .name:           _ZN4vllm25paged_attention_v1_kernelIffLi192ELi32ELi128ELNS_18Fp8KVCacheDataTypeE0ELb1EEEvPT_PKS2_PKT0_S8_ifPKiSA_iPKfiiiSC_SC_iiiii
    .private_segment_fixed_size: 596
    .sgpr_count:     40
    .sgpr_spill_count: 0
    .symbol:         _ZN4vllm25paged_attention_v1_kernelIffLi192ELi32ELi128ELNS_18Fp8KVCacheDataTypeE0ELb1EEEvPT_PKS2_PKT0_S8_ifPKiSA_iPKfiiiSC_SC_iiiii.kd
    .uniform_work_group_size: 1
    .uses_dynamic_stack: false
    .vgpr_count:     128
    .vgpr_spill_count: 395
    .wavefront_size: 32
  - .args:
      - .actual_access:  write_only
        .address_space:  global
        .offset:         0
        .size:           8
        .value_kind:     global_buffer
      - .actual_access:  read_only
        .address_space:  global
        .offset:         8
        .size:           8
        .value_kind:     global_buffer
      - .actual_access:  read_only
        .address_space:  global
        .offset:         16
        .size:           8
        .value_kind:     global_buffer
      - .actual_access:  read_only
        .address_space:  global
        .offset:         24
        .size:           8
        .value_kind:     global_buffer
      - .offset:         32
        .size:           4
        .value_kind:     by_value
      - .offset:         36
        .size:           4
        .value_kind:     by_value
      - .actual_access:  read_only
        .address_space:  global
        .offset:         40
        .size:           8
        .value_kind:     global_buffer
      - .actual_access:  read_only
        .address_space:  global
        .offset:         48
        .size:           8
        .value_kind:     global_buffer
      - .offset:         56
        .size:           4
        .value_kind:     by_value
      - .actual_access:  read_only
        .address_space:  global
        .offset:         64
        .size:           8
        .value_kind:     global_buffer
      - .offset:         72
        .size:           4
        .value_kind:     by_value
      - .offset:         76
        .size:           4
        .value_kind:     by_value
      - .offset:         80
        .size:           4
        .value_kind:     by_value
      - .address_space:  global
        .offset:         88
        .size:           8
        .value_kind:     global_buffer
      - .address_space:  global
        .offset:         96
        .size:           8
        .value_kind:     global_buffer
      - .offset:         104
        .size:           4
        .value_kind:     by_value
      - .offset:         108
        .size:           4
        .value_kind:     by_value
      - .offset:         112
        .size:           4
        .value_kind:     by_value
      - .offset:         116
        .size:           4
        .value_kind:     by_value
      - .offset:         120
        .size:           4
        .value_kind:     by_value
      - .offset:         128
        .size:           4
        .value_kind:     hidden_block_count_x
      - .offset:         132
        .size:           4
        .value_kind:     hidden_block_count_y
      - .offset:         136
        .size:           4
        .value_kind:     hidden_block_count_z
      - .offset:         140
        .size:           2
        .value_kind:     hidden_group_size_x
      - .offset:         142
        .size:           2
        .value_kind:     hidden_group_size_y
      - .offset:         144
        .size:           2
        .value_kind:     hidden_group_size_z
      - .offset:         146
        .size:           2
        .value_kind:     hidden_remainder_x
      - .offset:         148
        .size:           2
        .value_kind:     hidden_remainder_y
      - .offset:         150
        .size:           2
        .value_kind:     hidden_remainder_z
      - .offset:         168
        .size:           8
        .value_kind:     hidden_global_offset_x
      - .offset:         176
        .size:           8
        .value_kind:     hidden_global_offset_y
      - .offset:         184
        .size:           8
        .value_kind:     hidden_global_offset_z
      - .offset:         192
        .size:           2
        .value_kind:     hidden_grid_dims
      - .offset:         248
        .size:           4
        .value_kind:     hidden_dynamic_lds_size
    .group_segment_fixed_size: 1056
    .kernarg_segment_align: 8
    .kernarg_segment_size: 384
    .language:       OpenCL C
    .language_version:
      - 2
      - 0
    .max_flat_workgroup_size: 1024
    .name:           _ZN4vllm25paged_attention_v1_kernelIffLi256ELi32ELi128ELNS_18Fp8KVCacheDataTypeE0ELb1EEEvPT_PKS2_PKT0_S8_ifPKiSA_iPKfiiiSC_SC_iiiii
    .private_segment_fixed_size: 932
    .sgpr_count:     40
    .sgpr_spill_count: 0
    .symbol:         _ZN4vllm25paged_attention_v1_kernelIffLi256ELi32ELi128ELNS_18Fp8KVCacheDataTypeE0ELb1EEEvPT_PKS2_PKT0_S8_ifPKiSA_iPKfiiiSC_SC_iiiii.kd
    .uniform_work_group_size: 1
    .uses_dynamic_stack: false
    .vgpr_count:     128
    .vgpr_spill_count: 634
    .wavefront_size: 32
  - .args:
      - .actual_access:  write_only
        .address_space:  global
        .offset:         0
        .size:           8
        .value_kind:     global_buffer
      - .actual_access:  read_only
        .address_space:  global
        .offset:         8
        .size:           8
        .value_kind:     global_buffer
      - .actual_access:  read_only
        .address_space:  global
        .offset:         16
        .size:           8
        .value_kind:     global_buffer
      - .actual_access:  read_only
        .address_space:  global
        .offset:         24
        .size:           8
        .value_kind:     global_buffer
      - .offset:         32
        .size:           4
        .value_kind:     by_value
      - .offset:         36
        .size:           4
        .value_kind:     by_value
      - .actual_access:  read_only
        .address_space:  global
        .offset:         40
        .size:           8
        .value_kind:     global_buffer
      - .actual_access:  read_only
        .address_space:  global
        .offset:         48
        .size:           8
        .value_kind:     global_buffer
      - .offset:         56
        .size:           4
        .value_kind:     by_value
      - .actual_access:  read_only
        .address_space:  global
        .offset:         64
        .size:           8
        .value_kind:     global_buffer
      - .offset:         72
        .size:           4
        .value_kind:     by_value
      - .offset:         76
        .size:           4
        .value_kind:     by_value
      - .offset:         80
        .size:           4
        .value_kind:     by_value
      - .address_space:  global
        .offset:         88
        .size:           8
        .value_kind:     global_buffer
      - .address_space:  global
        .offset:         96
        .size:           8
        .value_kind:     global_buffer
      - .offset:         104
        .size:           4
        .value_kind:     by_value
      - .offset:         108
        .size:           4
        .value_kind:     by_value
      - .offset:         112
        .size:           4
        .value_kind:     by_value
      - .offset:         116
        .size:           4
        .value_kind:     by_value
      - .offset:         120
        .size:           4
        .value_kind:     by_value
      - .offset:         128
        .size:           4
        .value_kind:     hidden_block_count_x
      - .offset:         132
        .size:           4
        .value_kind:     hidden_block_count_y
      - .offset:         136
        .size:           4
        .value_kind:     hidden_block_count_z
      - .offset:         140
        .size:           2
        .value_kind:     hidden_group_size_x
      - .offset:         142
        .size:           2
        .value_kind:     hidden_group_size_y
      - .offset:         144
        .size:           2
        .value_kind:     hidden_group_size_z
      - .offset:         146
        .size:           2
        .value_kind:     hidden_remainder_x
      - .offset:         148
        .size:           2
        .value_kind:     hidden_remainder_y
      - .offset:         150
        .size:           2
        .value_kind:     hidden_remainder_z
      - .offset:         168
        .size:           8
        .value_kind:     hidden_global_offset_x
      - .offset:         176
        .size:           8
        .value_kind:     hidden_global_offset_y
      - .offset:         184
        .size:           8
        .value_kind:     hidden_global_offset_z
      - .offset:         192
        .size:           2
        .value_kind:     hidden_grid_dims
      - .offset:         248
        .size:           4
        .value_kind:     hidden_dynamic_lds_size
    .group_segment_fixed_size: 160
    .kernarg_segment_align: 8
    .kernarg_segment_size: 384
    .language:       OpenCL C
    .language_version:
      - 2
      - 0
    .max_flat_workgroup_size: 1024
    .name:           _ZN4vllm25paged_attention_v1_kernelIffLi32ELi32ELi128ELNS_18Fp8KVCacheDataTypeE0ELb0EEEvPT_PKS2_PKT0_S8_ifPKiSA_iPKfiiiSC_SC_iiiii
    .private_segment_fixed_size: 0
    .sgpr_count:     30
    .sgpr_spill_count: 0
    .symbol:         _ZN4vllm25paged_attention_v1_kernelIffLi32ELi32ELi128ELNS_18Fp8KVCacheDataTypeE0ELb0EEEvPT_PKS2_PKT0_S8_ifPKiSA_iPKfiiiSC_SC_iiiii.kd
    .uniform_work_group_size: 1
    .uses_dynamic_stack: false
    .vgpr_count:     72
    .vgpr_spill_count: 0
    .wavefront_size: 32
  - .args:
      - .actual_access:  write_only
        .address_space:  global
        .offset:         0
        .size:           8
        .value_kind:     global_buffer
      - .actual_access:  read_only
        .address_space:  global
        .offset:         8
        .size:           8
        .value_kind:     global_buffer
      - .actual_access:  read_only
        .address_space:  global
        .offset:         16
        .size:           8
        .value_kind:     global_buffer
      - .actual_access:  read_only
        .address_space:  global
        .offset:         24
        .size:           8
        .value_kind:     global_buffer
      - .offset:         32
        .size:           4
        .value_kind:     by_value
      - .offset:         36
        .size:           4
        .value_kind:     by_value
      - .actual_access:  read_only
        .address_space:  global
        .offset:         40
        .size:           8
        .value_kind:     global_buffer
      - .actual_access:  read_only
        .address_space:  global
        .offset:         48
        .size:           8
        .value_kind:     global_buffer
      - .offset:         56
        .size:           4
        .value_kind:     by_value
      - .actual_access:  read_only
        .address_space:  global
        .offset:         64
        .size:           8
        .value_kind:     global_buffer
      - .offset:         72
        .size:           4
        .value_kind:     by_value
      - .offset:         76
        .size:           4
        .value_kind:     by_value
      - .offset:         80
        .size:           4
        .value_kind:     by_value
      - .address_space:  global
        .offset:         88
        .size:           8
        .value_kind:     global_buffer
      - .address_space:  global
        .offset:         96
        .size:           8
        .value_kind:     global_buffer
      - .offset:         104
        .size:           4
        .value_kind:     by_value
      - .offset:         108
        .size:           4
        .value_kind:     by_value
      - .offset:         112
        .size:           4
        .value_kind:     by_value
      - .offset:         116
        .size:           4
        .value_kind:     by_value
      - .offset:         120
        .size:           4
        .value_kind:     by_value
      - .offset:         128
        .size:           4
        .value_kind:     hidden_block_count_x
      - .offset:         132
        .size:           4
        .value_kind:     hidden_block_count_y
      - .offset:         136
        .size:           4
        .value_kind:     hidden_block_count_z
      - .offset:         140
        .size:           2
        .value_kind:     hidden_group_size_x
      - .offset:         142
        .size:           2
        .value_kind:     hidden_group_size_y
      - .offset:         144
        .size:           2
        .value_kind:     hidden_group_size_z
      - .offset:         146
        .size:           2
        .value_kind:     hidden_remainder_x
      - .offset:         148
        .size:           2
        .value_kind:     hidden_remainder_y
      - .offset:         150
        .size:           2
        .value_kind:     hidden_remainder_z
      - .offset:         168
        .size:           8
        .value_kind:     hidden_global_offset_x
      - .offset:         176
        .size:           8
        .value_kind:     hidden_global_offset_y
      - .offset:         184
        .size:           8
        .value_kind:     hidden_global_offset_z
      - .offset:         192
        .size:           2
        .value_kind:     hidden_grid_dims
      - .offset:         248
        .size:           4
        .value_kind:     hidden_dynamic_lds_size
    .group_segment_fixed_size: 288
    .kernarg_segment_align: 8
    .kernarg_segment_size: 384
    .language:       OpenCL C
    .language_version:
      - 2
      - 0
    .max_flat_workgroup_size: 1024
    .name:           _ZN4vllm25paged_attention_v1_kernelIffLi64ELi32ELi128ELNS_18Fp8KVCacheDataTypeE0ELb0EEEvPT_PKS2_PKT0_S8_ifPKiSA_iPKfiiiSC_SC_iiiii
    .private_segment_fixed_size: 0
    .sgpr_count:     30
    .sgpr_spill_count: 0
    .symbol:         _ZN4vllm25paged_attention_v1_kernelIffLi64ELi32ELi128ELNS_18Fp8KVCacheDataTypeE0ELb0EEEvPT_PKS2_PKT0_S8_ifPKiSA_iPKfiiiSC_SC_iiiii.kd
    .uniform_work_group_size: 1
    .uses_dynamic_stack: false
    .vgpr_count:     120
    .vgpr_spill_count: 0
    .wavefront_size: 32
  - .args:
      - .actual_access:  write_only
        .address_space:  global
        .offset:         0
        .size:           8
        .value_kind:     global_buffer
      - .actual_access:  read_only
        .address_space:  global
        .offset:         8
        .size:           8
        .value_kind:     global_buffer
      - .actual_access:  read_only
        .address_space:  global
        .offset:         16
        .size:           8
        .value_kind:     global_buffer
      - .actual_access:  read_only
        .address_space:  global
        .offset:         24
        .size:           8
        .value_kind:     global_buffer
      - .offset:         32
        .size:           4
        .value_kind:     by_value
      - .offset:         36
        .size:           4
        .value_kind:     by_value
      - .actual_access:  read_only
        .address_space:  global
        .offset:         40
        .size:           8
        .value_kind:     global_buffer
      - .actual_access:  read_only
        .address_space:  global
        .offset:         48
        .size:           8
        .value_kind:     global_buffer
      - .offset:         56
        .size:           4
        .value_kind:     by_value
      - .actual_access:  read_only
        .address_space:  global
        .offset:         64
        .size:           8
        .value_kind:     global_buffer
      - .offset:         72
        .size:           4
        .value_kind:     by_value
      - .offset:         76
        .size:           4
        .value_kind:     by_value
      - .offset:         80
        .size:           4
        .value_kind:     by_value
      - .address_space:  global
        .offset:         88
        .size:           8
        .value_kind:     global_buffer
      - .address_space:  global
        .offset:         96
        .size:           8
        .value_kind:     global_buffer
      - .offset:         104
        .size:           4
        .value_kind:     by_value
      - .offset:         108
        .size:           4
        .value_kind:     by_value
      - .offset:         112
        .size:           4
        .value_kind:     by_value
      - .offset:         116
        .size:           4
        .value_kind:     by_value
      - .offset:         120
        .size:           4
        .value_kind:     by_value
      - .offset:         128
        .size:           4
        .value_kind:     hidden_block_count_x
      - .offset:         132
        .size:           4
        .value_kind:     hidden_block_count_y
      - .offset:         136
        .size:           4
        .value_kind:     hidden_block_count_z
      - .offset:         140
        .size:           2
        .value_kind:     hidden_group_size_x
      - .offset:         142
        .size:           2
        .value_kind:     hidden_group_size_y
      - .offset:         144
        .size:           2
        .value_kind:     hidden_group_size_z
      - .offset:         146
        .size:           2
        .value_kind:     hidden_remainder_x
      - .offset:         148
        .size:           2
        .value_kind:     hidden_remainder_y
      - .offset:         150
        .size:           2
        .value_kind:     hidden_remainder_z
      - .offset:         168
        .size:           8
        .value_kind:     hidden_global_offset_x
      - .offset:         176
        .size:           8
        .value_kind:     hidden_global_offset_y
      - .offset:         184
        .size:           8
        .value_kind:     hidden_global_offset_z
      - .offset:         192
        .size:           2
        .value_kind:     hidden_grid_dims
      - .offset:         248
        .size:           4
        .value_kind:     hidden_dynamic_lds_size
    .group_segment_fixed_size: 352
    .kernarg_segment_align: 8
    .kernarg_segment_size: 384
    .language:       OpenCL C
    .language_version:
      - 2
      - 0
    .max_flat_workgroup_size: 1024
    .name:           _ZN4vllm25paged_attention_v1_kernelIffLi80ELi32ELi128ELNS_18Fp8KVCacheDataTypeE0ELb0EEEvPT_PKS2_PKT0_S8_ifPKiSA_iPKfiiiSC_SC_iiiii
    .private_segment_fixed_size: 0
    .sgpr_count:     30
    .sgpr_spill_count: 0
    .symbol:         _ZN4vllm25paged_attention_v1_kernelIffLi80ELi32ELi128ELNS_18Fp8KVCacheDataTypeE0ELb0EEEvPT_PKS2_PKT0_S8_ifPKiSA_iPKfiiiSC_SC_iiiii.kd
    .uniform_work_group_size: 1
    .uses_dynamic_stack: false
    .vgpr_count:     121
    .vgpr_spill_count: 0
    .wavefront_size: 32
  - .args:
      - .actual_access:  write_only
        .address_space:  global
        .offset:         0
        .size:           8
        .value_kind:     global_buffer
      - .actual_access:  read_only
        .address_space:  global
        .offset:         8
        .size:           8
        .value_kind:     global_buffer
      - .actual_access:  read_only
        .address_space:  global
        .offset:         16
        .size:           8
        .value_kind:     global_buffer
      - .actual_access:  read_only
        .address_space:  global
        .offset:         24
        .size:           8
        .value_kind:     global_buffer
      - .offset:         32
        .size:           4
        .value_kind:     by_value
      - .offset:         36
        .size:           4
        .value_kind:     by_value
      - .actual_access:  read_only
        .address_space:  global
        .offset:         40
        .size:           8
        .value_kind:     global_buffer
      - .actual_access:  read_only
        .address_space:  global
        .offset:         48
        .size:           8
        .value_kind:     global_buffer
      - .offset:         56
        .size:           4
        .value_kind:     by_value
      - .actual_access:  read_only
        .address_space:  global
        .offset:         64
        .size:           8
        .value_kind:     global_buffer
      - .offset:         72
        .size:           4
        .value_kind:     by_value
      - .offset:         76
        .size:           4
        .value_kind:     by_value
      - .offset:         80
        .size:           4
        .value_kind:     by_value
      - .address_space:  global
        .offset:         88
        .size:           8
        .value_kind:     global_buffer
      - .address_space:  global
        .offset:         96
        .size:           8
        .value_kind:     global_buffer
      - .offset:         104
        .size:           4
        .value_kind:     by_value
      - .offset:         108
        .size:           4
        .value_kind:     by_value
      - .offset:         112
        .size:           4
        .value_kind:     by_value
      - .offset:         116
        .size:           4
        .value_kind:     by_value
      - .offset:         120
        .size:           4
        .value_kind:     by_value
      - .offset:         128
        .size:           4
        .value_kind:     hidden_block_count_x
      - .offset:         132
        .size:           4
        .value_kind:     hidden_block_count_y
      - .offset:         136
        .size:           4
        .value_kind:     hidden_block_count_z
      - .offset:         140
        .size:           2
        .value_kind:     hidden_group_size_x
      - .offset:         142
        .size:           2
        .value_kind:     hidden_group_size_y
      - .offset:         144
        .size:           2
        .value_kind:     hidden_group_size_z
      - .offset:         146
        .size:           2
        .value_kind:     hidden_remainder_x
      - .offset:         148
        .size:           2
        .value_kind:     hidden_remainder_y
      - .offset:         150
        .size:           2
        .value_kind:     hidden_remainder_z
      - .offset:         168
        .size:           8
        .value_kind:     hidden_global_offset_x
      - .offset:         176
        .size:           8
        .value_kind:     hidden_global_offset_y
      - .offset:         184
        .size:           8
        .value_kind:     hidden_global_offset_z
      - .offset:         192
        .size:           2
        .value_kind:     hidden_grid_dims
      - .offset:         248
        .size:           4
        .value_kind:     hidden_dynamic_lds_size
    .group_segment_fixed_size: 416
    .kernarg_segment_align: 8
    .kernarg_segment_size: 384
    .language:       OpenCL C
    .language_version:
      - 2
      - 0
    .max_flat_workgroup_size: 1024
    .name:           _ZN4vllm25paged_attention_v1_kernelIffLi96ELi32ELi128ELNS_18Fp8KVCacheDataTypeE0ELb0EEEvPT_PKS2_PKT0_S8_ifPKiSA_iPKfiiiSC_SC_iiiii
    .private_segment_fixed_size: 56
    .sgpr_count:     30
    .sgpr_spill_count: 0
    .symbol:         _ZN4vllm25paged_attention_v1_kernelIffLi96ELi32ELi128ELNS_18Fp8KVCacheDataTypeE0ELb0EEEvPT_PKS2_PKT0_S8_ifPKiSA_iPKfiiiSC_SC_iiiii.kd
    .uniform_work_group_size: 1
    .uses_dynamic_stack: false
    .vgpr_count:     128
    .vgpr_spill_count: 13
    .wavefront_size: 32
  - .args:
      - .actual_access:  write_only
        .address_space:  global
        .offset:         0
        .size:           8
        .value_kind:     global_buffer
      - .actual_access:  read_only
        .address_space:  global
        .offset:         8
        .size:           8
        .value_kind:     global_buffer
      - .actual_access:  read_only
        .address_space:  global
        .offset:         16
        .size:           8
        .value_kind:     global_buffer
      - .actual_access:  read_only
        .address_space:  global
        .offset:         24
        .size:           8
        .value_kind:     global_buffer
      - .offset:         32
        .size:           4
        .value_kind:     by_value
      - .offset:         36
        .size:           4
        .value_kind:     by_value
      - .actual_access:  read_only
        .address_space:  global
        .offset:         40
        .size:           8
        .value_kind:     global_buffer
      - .actual_access:  read_only
        .address_space:  global
        .offset:         48
        .size:           8
        .value_kind:     global_buffer
      - .offset:         56
        .size:           4
        .value_kind:     by_value
      - .actual_access:  read_only
        .address_space:  global
        .offset:         64
        .size:           8
        .value_kind:     global_buffer
      - .offset:         72
        .size:           4
        .value_kind:     by_value
      - .offset:         76
        .size:           4
        .value_kind:     by_value
      - .offset:         80
        .size:           4
        .value_kind:     by_value
      - .address_space:  global
        .offset:         88
        .size:           8
        .value_kind:     global_buffer
      - .address_space:  global
        .offset:         96
        .size:           8
        .value_kind:     global_buffer
      - .offset:         104
        .size:           4
        .value_kind:     by_value
      - .offset:         108
        .size:           4
        .value_kind:     by_value
      - .offset:         112
        .size:           4
        .value_kind:     by_value
      - .offset:         116
        .size:           4
        .value_kind:     by_value
      - .offset:         120
        .size:           4
        .value_kind:     by_value
      - .offset:         128
        .size:           4
        .value_kind:     hidden_block_count_x
      - .offset:         132
        .size:           4
        .value_kind:     hidden_block_count_y
      - .offset:         136
        .size:           4
        .value_kind:     hidden_block_count_z
      - .offset:         140
        .size:           2
        .value_kind:     hidden_group_size_x
      - .offset:         142
        .size:           2
        .value_kind:     hidden_group_size_y
      - .offset:         144
        .size:           2
        .value_kind:     hidden_group_size_z
      - .offset:         146
        .size:           2
        .value_kind:     hidden_remainder_x
      - .offset:         148
        .size:           2
        .value_kind:     hidden_remainder_y
      - .offset:         150
        .size:           2
        .value_kind:     hidden_remainder_z
      - .offset:         168
        .size:           8
        .value_kind:     hidden_global_offset_x
      - .offset:         176
        .size:           8
        .value_kind:     hidden_global_offset_y
      - .offset:         184
        .size:           8
        .value_kind:     hidden_global_offset_z
      - .offset:         192
        .size:           2
        .value_kind:     hidden_grid_dims
      - .offset:         248
        .size:           4
        .value_kind:     hidden_dynamic_lds_size
    .group_segment_fixed_size: 480
    .kernarg_segment_align: 8
    .kernarg_segment_size: 384
    .language:       OpenCL C
    .language_version:
      - 2
      - 0
    .max_flat_workgroup_size: 1024
    .name:           _ZN4vllm25paged_attention_v1_kernelIffLi112ELi32ELi128ELNS_18Fp8KVCacheDataTypeE0ELb0EEEvPT_PKS2_PKT0_S8_ifPKiSA_iPKfiiiSC_SC_iiiii
    .private_segment_fixed_size: 136
    .sgpr_count:     30
    .sgpr_spill_count: 0
    .symbol:         _ZN4vllm25paged_attention_v1_kernelIffLi112ELi32ELi128ELNS_18Fp8KVCacheDataTypeE0ELb0EEEvPT_PKS2_PKT0_S8_ifPKiSA_iPKfiiiSC_SC_iiiii.kd
    .uniform_work_group_size: 1
    .uses_dynamic_stack: false
    .vgpr_count:     128
    .vgpr_spill_count: 65
    .wavefront_size: 32
  - .args:
      - .actual_access:  write_only
        .address_space:  global
        .offset:         0
        .size:           8
        .value_kind:     global_buffer
      - .actual_access:  read_only
        .address_space:  global
        .offset:         8
        .size:           8
        .value_kind:     global_buffer
      - .actual_access:  read_only
        .address_space:  global
        .offset:         16
        .size:           8
        .value_kind:     global_buffer
      - .actual_access:  read_only
        .address_space:  global
        .offset:         24
        .size:           8
        .value_kind:     global_buffer
      - .offset:         32
        .size:           4
        .value_kind:     by_value
      - .offset:         36
        .size:           4
        .value_kind:     by_value
      - .actual_access:  read_only
        .address_space:  global
        .offset:         40
        .size:           8
        .value_kind:     global_buffer
      - .actual_access:  read_only
        .address_space:  global
        .offset:         48
        .size:           8
        .value_kind:     global_buffer
      - .offset:         56
        .size:           4
        .value_kind:     by_value
      - .actual_access:  read_only
        .address_space:  global
        .offset:         64
        .size:           8
        .value_kind:     global_buffer
      - .offset:         72
        .size:           4
        .value_kind:     by_value
      - .offset:         76
        .size:           4
        .value_kind:     by_value
      - .offset:         80
        .size:           4
        .value_kind:     by_value
      - .address_space:  global
        .offset:         88
        .size:           8
        .value_kind:     global_buffer
      - .address_space:  global
        .offset:         96
        .size:           8
        .value_kind:     global_buffer
      - .offset:         104
        .size:           4
        .value_kind:     by_value
      - .offset:         108
        .size:           4
        .value_kind:     by_value
      - .offset:         112
        .size:           4
        .value_kind:     by_value
      - .offset:         116
        .size:           4
        .value_kind:     by_value
      - .offset:         120
        .size:           4
        .value_kind:     by_value
      - .offset:         128
        .size:           4
        .value_kind:     hidden_block_count_x
      - .offset:         132
        .size:           4
        .value_kind:     hidden_block_count_y
      - .offset:         136
        .size:           4
        .value_kind:     hidden_block_count_z
      - .offset:         140
        .size:           2
        .value_kind:     hidden_group_size_x
      - .offset:         142
        .size:           2
        .value_kind:     hidden_group_size_y
      - .offset:         144
        .size:           2
        .value_kind:     hidden_group_size_z
      - .offset:         146
        .size:           2
        .value_kind:     hidden_remainder_x
      - .offset:         148
        .size:           2
        .value_kind:     hidden_remainder_y
      - .offset:         150
        .size:           2
        .value_kind:     hidden_remainder_z
      - .offset:         168
        .size:           8
        .value_kind:     hidden_global_offset_x
      - .offset:         176
        .size:           8
        .value_kind:     hidden_global_offset_y
      - .offset:         184
        .size:           8
        .value_kind:     hidden_global_offset_z
      - .offset:         192
        .size:           2
        .value_kind:     hidden_grid_dims
      - .offset:         248
        .size:           4
        .value_kind:     hidden_dynamic_lds_size
    .group_segment_fixed_size: 512
    .kernarg_segment_align: 8
    .kernarg_segment_size: 384
    .language:       OpenCL C
    .language_version:
      - 2
      - 0
    .max_flat_workgroup_size: 1024
    .name:           _ZN4vllm25paged_attention_v1_kernelIffLi120ELi32ELi128ELNS_18Fp8KVCacheDataTypeE0ELb0EEEvPT_PKS2_PKT0_S8_ifPKiSA_iPKfiiiSC_SC_iiiii
    .private_segment_fixed_size: 176
    .sgpr_count:     30
    .sgpr_spill_count: 0
    .symbol:         _ZN4vllm25paged_attention_v1_kernelIffLi120ELi32ELi128ELNS_18Fp8KVCacheDataTypeE0ELb0EEEvPT_PKS2_PKT0_S8_ifPKiSA_iPKfiiiSC_SC_iiiii.kd
    .uniform_work_group_size: 1
    .uses_dynamic_stack: false
    .vgpr_count:     128
    .vgpr_spill_count: 92
    .wavefront_size: 32
  - .args:
      - .actual_access:  write_only
        .address_space:  global
        .offset:         0
        .size:           8
        .value_kind:     global_buffer
      - .actual_access:  read_only
        .address_space:  global
        .offset:         8
        .size:           8
        .value_kind:     global_buffer
      - .actual_access:  read_only
        .address_space:  global
        .offset:         16
        .size:           8
        .value_kind:     global_buffer
      - .actual_access:  read_only
        .address_space:  global
        .offset:         24
        .size:           8
        .value_kind:     global_buffer
      - .offset:         32
        .size:           4
        .value_kind:     by_value
      - .offset:         36
        .size:           4
        .value_kind:     by_value
      - .actual_access:  read_only
        .address_space:  global
        .offset:         40
        .size:           8
        .value_kind:     global_buffer
      - .actual_access:  read_only
        .address_space:  global
        .offset:         48
        .size:           8
        .value_kind:     global_buffer
      - .offset:         56
        .size:           4
        .value_kind:     by_value
      - .actual_access:  read_only
        .address_space:  global
        .offset:         64
        .size:           8
        .value_kind:     global_buffer
      - .offset:         72
        .size:           4
        .value_kind:     by_value
      - .offset:         76
        .size:           4
        .value_kind:     by_value
      - .offset:         80
        .size:           4
        .value_kind:     by_value
      - .address_space:  global
        .offset:         88
        .size:           8
        .value_kind:     global_buffer
      - .address_space:  global
        .offset:         96
        .size:           8
        .value_kind:     global_buffer
      - .offset:         104
        .size:           4
        .value_kind:     by_value
      - .offset:         108
        .size:           4
        .value_kind:     by_value
      - .offset:         112
        .size:           4
        .value_kind:     by_value
      - .offset:         116
        .size:           4
        .value_kind:     by_value
      - .offset:         120
        .size:           4
        .value_kind:     by_value
      - .offset:         128
        .size:           4
        .value_kind:     hidden_block_count_x
      - .offset:         132
        .size:           4
        .value_kind:     hidden_block_count_y
      - .offset:         136
        .size:           4
        .value_kind:     hidden_block_count_z
      - .offset:         140
        .size:           2
        .value_kind:     hidden_group_size_x
      - .offset:         142
        .size:           2
        .value_kind:     hidden_group_size_y
      - .offset:         144
        .size:           2
        .value_kind:     hidden_group_size_z
      - .offset:         146
        .size:           2
        .value_kind:     hidden_remainder_x
      - .offset:         148
        .size:           2
        .value_kind:     hidden_remainder_y
      - .offset:         150
        .size:           2
        .value_kind:     hidden_remainder_z
      - .offset:         168
        .size:           8
        .value_kind:     hidden_global_offset_x
      - .offset:         176
        .size:           8
        .value_kind:     hidden_global_offset_y
      - .offset:         184
        .size:           8
        .value_kind:     hidden_global_offset_z
      - .offset:         192
        .size:           2
        .value_kind:     hidden_grid_dims
      - .offset:         248
        .size:           4
        .value_kind:     hidden_dynamic_lds_size
    .group_segment_fixed_size: 544
    .kernarg_segment_align: 8
    .kernarg_segment_size: 384
    .language:       OpenCL C
    .language_version:
      - 2
      - 0
    .max_flat_workgroup_size: 1024
    .name:           _ZN4vllm25paged_attention_v1_kernelIffLi128ELi32ELi128ELNS_18Fp8KVCacheDataTypeE0ELb0EEEvPT_PKS2_PKT0_S8_ifPKiSA_iPKfiiiSC_SC_iiiii
    .private_segment_fixed_size: 232
    .sgpr_count:     32
    .sgpr_spill_count: 0
    .symbol:         _ZN4vllm25paged_attention_v1_kernelIffLi128ELi32ELi128ELNS_18Fp8KVCacheDataTypeE0ELb0EEEvPT_PKS2_PKT0_S8_ifPKiSA_iPKfiiiSC_SC_iiiii.kd
    .uniform_work_group_size: 1
    .uses_dynamic_stack: false
    .vgpr_count:     128
    .vgpr_spill_count: 125
    .wavefront_size: 32
  - .args:
      - .actual_access:  write_only
        .address_space:  global
        .offset:         0
        .size:           8
        .value_kind:     global_buffer
      - .actual_access:  read_only
        .address_space:  global
        .offset:         8
        .size:           8
        .value_kind:     global_buffer
      - .actual_access:  read_only
        .address_space:  global
        .offset:         16
        .size:           8
        .value_kind:     global_buffer
      - .actual_access:  read_only
        .address_space:  global
        .offset:         24
        .size:           8
        .value_kind:     global_buffer
      - .offset:         32
        .size:           4
        .value_kind:     by_value
      - .offset:         36
        .size:           4
        .value_kind:     by_value
      - .actual_access:  read_only
        .address_space:  global
        .offset:         40
        .size:           8
        .value_kind:     global_buffer
      - .actual_access:  read_only
        .address_space:  global
        .offset:         48
        .size:           8
        .value_kind:     global_buffer
      - .offset:         56
        .size:           4
        .value_kind:     by_value
      - .actual_access:  read_only
        .address_space:  global
        .offset:         64
        .size:           8
        .value_kind:     global_buffer
      - .offset:         72
        .size:           4
        .value_kind:     by_value
      - .offset:         76
        .size:           4
        .value_kind:     by_value
      - .offset:         80
        .size:           4
        .value_kind:     by_value
      - .address_space:  global
        .offset:         88
        .size:           8
        .value_kind:     global_buffer
      - .address_space:  global
        .offset:         96
        .size:           8
        .value_kind:     global_buffer
      - .offset:         104
        .size:           4
        .value_kind:     by_value
      - .offset:         108
        .size:           4
        .value_kind:     by_value
      - .offset:         112
        .size:           4
        .value_kind:     by_value
      - .offset:         116
        .size:           4
        .value_kind:     by_value
      - .offset:         120
        .size:           4
        .value_kind:     by_value
      - .offset:         128
        .size:           4
        .value_kind:     hidden_block_count_x
      - .offset:         132
        .size:           4
        .value_kind:     hidden_block_count_y
      - .offset:         136
        .size:           4
        .value_kind:     hidden_block_count_z
      - .offset:         140
        .size:           2
        .value_kind:     hidden_group_size_x
      - .offset:         142
        .size:           2
        .value_kind:     hidden_group_size_y
      - .offset:         144
        .size:           2
        .value_kind:     hidden_group_size_z
      - .offset:         146
        .size:           2
        .value_kind:     hidden_remainder_x
      - .offset:         148
        .size:           2
        .value_kind:     hidden_remainder_y
      - .offset:         150
        .size:           2
        .value_kind:     hidden_remainder_z
      - .offset:         168
        .size:           8
        .value_kind:     hidden_global_offset_x
      - .offset:         176
        .size:           8
        .value_kind:     hidden_global_offset_y
      - .offset:         184
        .size:           8
        .value_kind:     hidden_global_offset_z
      - .offset:         192
        .size:           2
        .value_kind:     hidden_grid_dims
      - .offset:         248
        .size:           4
        .value_kind:     hidden_dynamic_lds_size
    .group_segment_fixed_size: 800
    .kernarg_segment_align: 8
    .kernarg_segment_size: 384
    .language:       OpenCL C
    .language_version:
      - 2
      - 0
    .max_flat_workgroup_size: 1024
    .name:           _ZN4vllm25paged_attention_v1_kernelIffLi192ELi32ELi128ELNS_18Fp8KVCacheDataTypeE0ELb0EEEvPT_PKS2_PKT0_S8_ifPKiSA_iPKfiiiSC_SC_iiiii
    .private_segment_fixed_size: 576
    .sgpr_count:     30
    .sgpr_spill_count: 0
    .symbol:         _ZN4vllm25paged_attention_v1_kernelIffLi192ELi32ELi128ELNS_18Fp8KVCacheDataTypeE0ELb0EEEvPT_PKS2_PKT0_S8_ifPKiSA_iPKfiiiSC_SC_iiiii.kd
    .uniform_work_group_size: 1
    .uses_dynamic_stack: false
    .vgpr_count:     128
    .vgpr_spill_count: 371
    .wavefront_size: 32
  - .args:
      - .actual_access:  write_only
        .address_space:  global
        .offset:         0
        .size:           8
        .value_kind:     global_buffer
      - .actual_access:  read_only
        .address_space:  global
        .offset:         8
        .size:           8
        .value_kind:     global_buffer
      - .actual_access:  read_only
        .address_space:  global
        .offset:         16
        .size:           8
        .value_kind:     global_buffer
      - .actual_access:  read_only
        .address_space:  global
        .offset:         24
        .size:           8
        .value_kind:     global_buffer
      - .offset:         32
        .size:           4
        .value_kind:     by_value
      - .offset:         36
        .size:           4
        .value_kind:     by_value
      - .actual_access:  read_only
        .address_space:  global
        .offset:         40
        .size:           8
        .value_kind:     global_buffer
      - .actual_access:  read_only
        .address_space:  global
        .offset:         48
        .size:           8
        .value_kind:     global_buffer
      - .offset:         56
        .size:           4
        .value_kind:     by_value
      - .actual_access:  read_only
        .address_space:  global
        .offset:         64
        .size:           8
        .value_kind:     global_buffer
      - .offset:         72
        .size:           4
        .value_kind:     by_value
      - .offset:         76
        .size:           4
        .value_kind:     by_value
      - .offset:         80
        .size:           4
        .value_kind:     by_value
      - .address_space:  global
        .offset:         88
        .size:           8
        .value_kind:     global_buffer
      - .address_space:  global
        .offset:         96
        .size:           8
        .value_kind:     global_buffer
      - .offset:         104
        .size:           4
        .value_kind:     by_value
      - .offset:         108
        .size:           4
        .value_kind:     by_value
      - .offset:         112
        .size:           4
        .value_kind:     by_value
      - .offset:         116
        .size:           4
        .value_kind:     by_value
      - .offset:         120
        .size:           4
        .value_kind:     by_value
      - .offset:         128
        .size:           4
        .value_kind:     hidden_block_count_x
      - .offset:         132
        .size:           4
        .value_kind:     hidden_block_count_y
      - .offset:         136
        .size:           4
        .value_kind:     hidden_block_count_z
      - .offset:         140
        .size:           2
        .value_kind:     hidden_group_size_x
      - .offset:         142
        .size:           2
        .value_kind:     hidden_group_size_y
      - .offset:         144
        .size:           2
        .value_kind:     hidden_group_size_z
      - .offset:         146
        .size:           2
        .value_kind:     hidden_remainder_x
      - .offset:         148
        .size:           2
        .value_kind:     hidden_remainder_y
      - .offset:         150
        .size:           2
        .value_kind:     hidden_remainder_z
      - .offset:         168
        .size:           8
        .value_kind:     hidden_global_offset_x
      - .offset:         176
        .size:           8
        .value_kind:     hidden_global_offset_y
      - .offset:         184
        .size:           8
        .value_kind:     hidden_global_offset_z
      - .offset:         192
        .size:           2
        .value_kind:     hidden_grid_dims
      - .offset:         248
        .size:           4
        .value_kind:     hidden_dynamic_lds_size
    .group_segment_fixed_size: 1056
    .kernarg_segment_align: 8
    .kernarg_segment_size: 384
    .language:       OpenCL C
    .language_version:
      - 2
      - 0
    .max_flat_workgroup_size: 1024
    .name:           _ZN4vllm25paged_attention_v1_kernelIffLi256ELi32ELi128ELNS_18Fp8KVCacheDataTypeE0ELb0EEEvPT_PKS2_PKT0_S8_ifPKiSA_iPKfiiiSC_SC_iiiii
    .private_segment_fixed_size: 912
    .sgpr_count:     32
    .sgpr_spill_count: 0
    .symbol:         _ZN4vllm25paged_attention_v1_kernelIffLi256ELi32ELi128ELNS_18Fp8KVCacheDataTypeE0ELb0EEEvPT_PKS2_PKT0_S8_ifPKiSA_iPKfiiiSC_SC_iiiii.kd
    .uniform_work_group_size: 1
    .uses_dynamic_stack: false
    .vgpr_count:     128
    .vgpr_spill_count: 589
    .wavefront_size: 32
  - .args:
      - .actual_access:  write_only
        .address_space:  global
        .offset:         0
        .size:           8
        .value_kind:     global_buffer
      - .actual_access:  read_only
        .address_space:  global
        .offset:         8
        .size:           8
        .value_kind:     global_buffer
      - .actual_access:  read_only
        .address_space:  global
        .offset:         16
        .size:           8
        .value_kind:     global_buffer
      - .actual_access:  read_only
        .address_space:  global
        .offset:         24
        .size:           8
        .value_kind:     global_buffer
      - .offset:         32
        .size:           4
        .value_kind:     by_value
      - .offset:         36
        .size:           4
        .value_kind:     by_value
      - .actual_access:  read_only
        .address_space:  global
        .offset:         40
        .size:           8
        .value_kind:     global_buffer
      - .actual_access:  read_only
        .address_space:  global
        .offset:         48
        .size:           8
        .value_kind:     global_buffer
      - .offset:         56
        .size:           4
        .value_kind:     by_value
      - .actual_access:  read_only
        .address_space:  global
        .offset:         64
        .size:           8
        .value_kind:     global_buffer
      - .offset:         72
        .size:           4
        .value_kind:     by_value
      - .offset:         76
        .size:           4
        .value_kind:     by_value
      - .offset:         80
        .size:           4
        .value_kind:     by_value
      - .address_space:  global
        .offset:         88
        .size:           8
        .value_kind:     global_buffer
      - .address_space:  global
        .offset:         96
        .size:           8
        .value_kind:     global_buffer
      - .offset:         104
        .size:           4
        .value_kind:     by_value
      - .offset:         108
        .size:           4
        .value_kind:     by_value
      - .offset:         112
        .size:           4
        .value_kind:     by_value
      - .offset:         116
        .size:           4
        .value_kind:     by_value
      - .offset:         120
        .size:           4
        .value_kind:     by_value
      - .offset:         128
        .size:           4
        .value_kind:     hidden_block_count_x
      - .offset:         132
        .size:           4
        .value_kind:     hidden_block_count_y
      - .offset:         136
        .size:           4
        .value_kind:     hidden_block_count_z
      - .offset:         140
        .size:           2
        .value_kind:     hidden_group_size_x
      - .offset:         142
        .size:           2
        .value_kind:     hidden_group_size_y
      - .offset:         144
        .size:           2
        .value_kind:     hidden_group_size_z
      - .offset:         146
        .size:           2
        .value_kind:     hidden_remainder_x
      - .offset:         148
        .size:           2
        .value_kind:     hidden_remainder_y
      - .offset:         150
        .size:           2
        .value_kind:     hidden_remainder_z
      - .offset:         168
        .size:           8
        .value_kind:     hidden_global_offset_x
      - .offset:         176
        .size:           8
        .value_kind:     hidden_global_offset_y
      - .offset:         184
        .size:           8
        .value_kind:     hidden_global_offset_z
      - .offset:         192
        .size:           2
        .value_kind:     hidden_grid_dims
      - .offset:         248
        .size:           4
        .value_kind:     hidden_dynamic_lds_size
    .group_segment_fixed_size: 96
    .kernarg_segment_align: 8
    .kernarg_segment_size: 384
    .language:       OpenCL C
    .language_version:
      - 2
      - 0
    .max_flat_workgroup_size: 1024
    .name:           _ZN4vllm25paged_attention_v1_kernelIttLi32ELi8ELi128ELNS_18Fp8KVCacheDataTypeE0ELb1EEEvPT_PKS2_PKT0_S8_ifPKiSA_iPKfiiiSC_SC_iiiii
    .private_segment_fixed_size: 0
    .sgpr_count:     42
    .sgpr_spill_count: 0
    .symbol:         _ZN4vllm25paged_attention_v1_kernelIttLi32ELi8ELi128ELNS_18Fp8KVCacheDataTypeE0ELb1EEEvPT_PKS2_PKT0_S8_ifPKiSA_iPKfiiiSC_SC_iiiii.kd
    .uniform_work_group_size: 1
    .uses_dynamic_stack: false
    .vgpr_count:     34
    .vgpr_spill_count: 0
    .wavefront_size: 32
  - .args:
      - .actual_access:  write_only
        .address_space:  global
        .offset:         0
        .size:           8
        .value_kind:     global_buffer
      - .actual_access:  read_only
        .address_space:  global
        .offset:         8
        .size:           8
        .value_kind:     global_buffer
      - .actual_access:  read_only
        .address_space:  global
        .offset:         16
        .size:           8
        .value_kind:     global_buffer
      - .actual_access:  read_only
        .address_space:  global
        .offset:         24
        .size:           8
        .value_kind:     global_buffer
      - .offset:         32
        .size:           4
        .value_kind:     by_value
      - .offset:         36
        .size:           4
        .value_kind:     by_value
      - .actual_access:  read_only
        .address_space:  global
        .offset:         40
        .size:           8
        .value_kind:     global_buffer
      - .actual_access:  read_only
        .address_space:  global
        .offset:         48
        .size:           8
        .value_kind:     global_buffer
      - .offset:         56
        .size:           4
        .value_kind:     by_value
      - .actual_access:  read_only
        .address_space:  global
        .offset:         64
        .size:           8
        .value_kind:     global_buffer
      - .offset:         72
        .size:           4
        .value_kind:     by_value
      - .offset:         76
        .size:           4
        .value_kind:     by_value
      - .offset:         80
        .size:           4
        .value_kind:     by_value
      - .address_space:  global
        .offset:         88
        .size:           8
        .value_kind:     global_buffer
      - .address_space:  global
        .offset:         96
        .size:           8
        .value_kind:     global_buffer
      - .offset:         104
        .size:           4
        .value_kind:     by_value
      - .offset:         108
        .size:           4
        .value_kind:     by_value
      - .offset:         112
        .size:           4
        .value_kind:     by_value
      - .offset:         116
        .size:           4
        .value_kind:     by_value
      - .offset:         120
        .size:           4
        .value_kind:     by_value
      - .offset:         128
        .size:           4
        .value_kind:     hidden_block_count_x
      - .offset:         132
        .size:           4
        .value_kind:     hidden_block_count_y
      - .offset:         136
        .size:           4
        .value_kind:     hidden_block_count_z
      - .offset:         140
        .size:           2
        .value_kind:     hidden_group_size_x
      - .offset:         142
        .size:           2
        .value_kind:     hidden_group_size_y
      - .offset:         144
        .size:           2
        .value_kind:     hidden_group_size_z
      - .offset:         146
        .size:           2
        .value_kind:     hidden_remainder_x
      - .offset:         148
        .size:           2
        .value_kind:     hidden_remainder_y
      - .offset:         150
        .size:           2
        .value_kind:     hidden_remainder_z
      - .offset:         168
        .size:           8
        .value_kind:     hidden_global_offset_x
      - .offset:         176
        .size:           8
        .value_kind:     hidden_global_offset_y
      - .offset:         184
        .size:           8
        .value_kind:     hidden_global_offset_z
      - .offset:         192
        .size:           2
        .value_kind:     hidden_grid_dims
      - .offset:         248
        .size:           4
        .value_kind:     hidden_dynamic_lds_size
    .group_segment_fixed_size: 160
    .kernarg_segment_align: 8
    .kernarg_segment_size: 384
    .language:       OpenCL C
    .language_version:
      - 2
      - 0
    .max_flat_workgroup_size: 1024
    .name:           _ZN4vllm25paged_attention_v1_kernelIttLi64ELi8ELi128ELNS_18Fp8KVCacheDataTypeE0ELb1EEEvPT_PKS2_PKT0_S8_ifPKiSA_iPKfiiiSC_SC_iiiii
    .private_segment_fixed_size: 0
    .sgpr_count:     44
    .sgpr_spill_count: 0
    .symbol:         _ZN4vllm25paged_attention_v1_kernelIttLi64ELi8ELi128ELNS_18Fp8KVCacheDataTypeE0ELb1EEEvPT_PKS2_PKT0_S8_ifPKiSA_iPKfiiiSC_SC_iiiii.kd
    .uniform_work_group_size: 1
    .uses_dynamic_stack: false
    .vgpr_count:     48
    .vgpr_spill_count: 0
    .wavefront_size: 32
  - .args:
      - .actual_access:  write_only
        .address_space:  global
        .offset:         0
        .size:           8
        .value_kind:     global_buffer
      - .actual_access:  read_only
        .address_space:  global
        .offset:         8
        .size:           8
        .value_kind:     global_buffer
      - .actual_access:  read_only
        .address_space:  global
        .offset:         16
        .size:           8
        .value_kind:     global_buffer
      - .actual_access:  read_only
        .address_space:  global
        .offset:         24
        .size:           8
        .value_kind:     global_buffer
      - .offset:         32
        .size:           4
        .value_kind:     by_value
      - .offset:         36
        .size:           4
        .value_kind:     by_value
      - .actual_access:  read_only
        .address_space:  global
        .offset:         40
        .size:           8
        .value_kind:     global_buffer
      - .actual_access:  read_only
        .address_space:  global
        .offset:         48
        .size:           8
        .value_kind:     global_buffer
      - .offset:         56
        .size:           4
        .value_kind:     by_value
      - .actual_access:  read_only
        .address_space:  global
        .offset:         64
        .size:           8
        .value_kind:     global_buffer
      - .offset:         72
        .size:           4
        .value_kind:     by_value
      - .offset:         76
        .size:           4
        .value_kind:     by_value
      - .offset:         80
        .size:           4
        .value_kind:     by_value
      - .address_space:  global
        .offset:         88
        .size:           8
        .value_kind:     global_buffer
      - .address_space:  global
        .offset:         96
        .size:           8
        .value_kind:     global_buffer
      - .offset:         104
        .size:           4
        .value_kind:     by_value
      - .offset:         108
        .size:           4
        .value_kind:     by_value
      - .offset:         112
        .size:           4
        .value_kind:     by_value
      - .offset:         116
        .size:           4
        .value_kind:     by_value
      - .offset:         120
        .size:           4
        .value_kind:     by_value
      - .offset:         128
        .size:           4
        .value_kind:     hidden_block_count_x
      - .offset:         132
        .size:           4
        .value_kind:     hidden_block_count_y
      - .offset:         136
        .size:           4
        .value_kind:     hidden_block_count_z
      - .offset:         140
        .size:           2
        .value_kind:     hidden_group_size_x
      - .offset:         142
        .size:           2
        .value_kind:     hidden_group_size_y
      - .offset:         144
        .size:           2
        .value_kind:     hidden_group_size_z
      - .offset:         146
        .size:           2
        .value_kind:     hidden_remainder_x
      - .offset:         148
        .size:           2
        .value_kind:     hidden_remainder_y
      - .offset:         150
        .size:           2
        .value_kind:     hidden_remainder_z
      - .offset:         168
        .size:           8
        .value_kind:     hidden_global_offset_x
      - .offset:         176
        .size:           8
        .value_kind:     hidden_global_offset_y
      - .offset:         184
        .size:           8
        .value_kind:     hidden_global_offset_z
      - .offset:         192
        .size:           2
        .value_kind:     hidden_grid_dims
      - .offset:         248
        .size:           4
        .value_kind:     hidden_dynamic_lds_size
    .group_segment_fixed_size: 192
    .kernarg_segment_align: 8
    .kernarg_segment_size: 384
    .language:       OpenCL C
    .language_version:
      - 2
      - 0
    .max_flat_workgroup_size: 1024
    .name:           _ZN4vllm25paged_attention_v1_kernelIttLi80ELi8ELi128ELNS_18Fp8KVCacheDataTypeE0ELb1EEEvPT_PKS2_PKT0_S8_ifPKiSA_iPKfiiiSC_SC_iiiii
    .private_segment_fixed_size: 0
    .sgpr_count:     42
    .sgpr_spill_count: 0
    .symbol:         _ZN4vllm25paged_attention_v1_kernelIttLi80ELi8ELi128ELNS_18Fp8KVCacheDataTypeE0ELb1EEEvPT_PKS2_PKT0_S8_ifPKiSA_iPKfiiiSC_SC_iiiii.kd
    .uniform_work_group_size: 1
    .uses_dynamic_stack: false
    .vgpr_count:     56
    .vgpr_spill_count: 0
    .wavefront_size: 32
  - .args:
      - .actual_access:  write_only
        .address_space:  global
        .offset:         0
        .size:           8
        .value_kind:     global_buffer
      - .actual_access:  read_only
        .address_space:  global
        .offset:         8
        .size:           8
        .value_kind:     global_buffer
      - .actual_access:  read_only
        .address_space:  global
        .offset:         16
        .size:           8
        .value_kind:     global_buffer
      - .actual_access:  read_only
        .address_space:  global
        .offset:         24
        .size:           8
        .value_kind:     global_buffer
      - .offset:         32
        .size:           4
        .value_kind:     by_value
      - .offset:         36
        .size:           4
        .value_kind:     by_value
      - .actual_access:  read_only
        .address_space:  global
        .offset:         40
        .size:           8
        .value_kind:     global_buffer
      - .actual_access:  read_only
        .address_space:  global
        .offset:         48
        .size:           8
        .value_kind:     global_buffer
      - .offset:         56
        .size:           4
        .value_kind:     by_value
      - .actual_access:  read_only
        .address_space:  global
        .offset:         64
        .size:           8
        .value_kind:     global_buffer
      - .offset:         72
        .size:           4
        .value_kind:     by_value
      - .offset:         76
        .size:           4
        .value_kind:     by_value
      - .offset:         80
        .size:           4
        .value_kind:     by_value
      - .address_space:  global
        .offset:         88
        .size:           8
        .value_kind:     global_buffer
      - .address_space:  global
        .offset:         96
        .size:           8
        .value_kind:     global_buffer
      - .offset:         104
        .size:           4
        .value_kind:     by_value
      - .offset:         108
        .size:           4
        .value_kind:     by_value
      - .offset:         112
        .size:           4
        .value_kind:     by_value
      - .offset:         116
        .size:           4
        .value_kind:     by_value
      - .offset:         120
        .size:           4
        .value_kind:     by_value
      - .offset:         128
        .size:           4
        .value_kind:     hidden_block_count_x
      - .offset:         132
        .size:           4
        .value_kind:     hidden_block_count_y
      - .offset:         136
        .size:           4
        .value_kind:     hidden_block_count_z
      - .offset:         140
        .size:           2
        .value_kind:     hidden_group_size_x
      - .offset:         142
        .size:           2
        .value_kind:     hidden_group_size_y
      - .offset:         144
        .size:           2
        .value_kind:     hidden_group_size_z
      - .offset:         146
        .size:           2
        .value_kind:     hidden_remainder_x
      - .offset:         148
        .size:           2
        .value_kind:     hidden_remainder_y
      - .offset:         150
        .size:           2
        .value_kind:     hidden_remainder_z
      - .offset:         168
        .size:           8
        .value_kind:     hidden_global_offset_x
      - .offset:         176
        .size:           8
        .value_kind:     hidden_global_offset_y
      - .offset:         184
        .size:           8
        .value_kind:     hidden_global_offset_z
      - .offset:         192
        .size:           2
        .value_kind:     hidden_grid_dims
      - .offset:         248
        .size:           4
        .value_kind:     hidden_dynamic_lds_size
    .group_segment_fixed_size: 224
    .kernarg_segment_align: 8
    .kernarg_segment_size: 384
    .language:       OpenCL C
    .language_version:
      - 2
      - 0
    .max_flat_workgroup_size: 1024
    .name:           _ZN4vllm25paged_attention_v1_kernelIttLi96ELi8ELi128ELNS_18Fp8KVCacheDataTypeE0ELb1EEEvPT_PKS2_PKT0_S8_ifPKiSA_iPKfiiiSC_SC_iiiii
    .private_segment_fixed_size: 0
    .sgpr_count:     42
    .sgpr_spill_count: 0
    .symbol:         _ZN4vllm25paged_attention_v1_kernelIttLi96ELi8ELi128ELNS_18Fp8KVCacheDataTypeE0ELb1EEEvPT_PKS2_PKT0_S8_ifPKiSA_iPKfiiiSC_SC_iiiii.kd
    .uniform_work_group_size: 1
    .uses_dynamic_stack: false
    .vgpr_count:     63
    .vgpr_spill_count: 0
    .wavefront_size: 32
  - .args:
      - .actual_access:  write_only
        .address_space:  global
        .offset:         0
        .size:           8
        .value_kind:     global_buffer
      - .actual_access:  read_only
        .address_space:  global
        .offset:         8
        .size:           8
        .value_kind:     global_buffer
      - .actual_access:  read_only
        .address_space:  global
        .offset:         16
        .size:           8
        .value_kind:     global_buffer
      - .actual_access:  read_only
        .address_space:  global
        .offset:         24
        .size:           8
        .value_kind:     global_buffer
      - .offset:         32
        .size:           4
        .value_kind:     by_value
      - .offset:         36
        .size:           4
        .value_kind:     by_value
      - .actual_access:  read_only
        .address_space:  global
        .offset:         40
        .size:           8
        .value_kind:     global_buffer
      - .actual_access:  read_only
        .address_space:  global
        .offset:         48
        .size:           8
        .value_kind:     global_buffer
      - .offset:         56
        .size:           4
        .value_kind:     by_value
      - .actual_access:  read_only
        .address_space:  global
        .offset:         64
        .size:           8
        .value_kind:     global_buffer
      - .offset:         72
        .size:           4
        .value_kind:     by_value
      - .offset:         76
        .size:           4
        .value_kind:     by_value
      - .offset:         80
        .size:           4
        .value_kind:     by_value
      - .address_space:  global
        .offset:         88
        .size:           8
        .value_kind:     global_buffer
      - .address_space:  global
        .offset:         96
        .size:           8
        .value_kind:     global_buffer
      - .offset:         104
        .size:           4
        .value_kind:     by_value
      - .offset:         108
        .size:           4
        .value_kind:     by_value
      - .offset:         112
        .size:           4
        .value_kind:     by_value
      - .offset:         116
        .size:           4
        .value_kind:     by_value
      - .offset:         120
        .size:           4
        .value_kind:     by_value
      - .offset:         128
        .size:           4
        .value_kind:     hidden_block_count_x
      - .offset:         132
        .size:           4
        .value_kind:     hidden_block_count_y
      - .offset:         136
        .size:           4
        .value_kind:     hidden_block_count_z
      - .offset:         140
        .size:           2
        .value_kind:     hidden_group_size_x
      - .offset:         142
        .size:           2
        .value_kind:     hidden_group_size_y
      - .offset:         144
        .size:           2
        .value_kind:     hidden_group_size_z
      - .offset:         146
        .size:           2
        .value_kind:     hidden_remainder_x
      - .offset:         148
        .size:           2
        .value_kind:     hidden_remainder_y
      - .offset:         150
        .size:           2
        .value_kind:     hidden_remainder_z
      - .offset:         168
        .size:           8
        .value_kind:     hidden_global_offset_x
      - .offset:         176
        .size:           8
        .value_kind:     hidden_global_offset_y
      - .offset:         184
        .size:           8
        .value_kind:     hidden_global_offset_z
      - .offset:         192
        .size:           2
        .value_kind:     hidden_grid_dims
      - .offset:         248
        .size:           4
        .value_kind:     hidden_dynamic_lds_size
    .group_segment_fixed_size: 256
    .kernarg_segment_align: 8
    .kernarg_segment_size: 384
    .language:       OpenCL C
    .language_version:
      - 2
      - 0
    .max_flat_workgroup_size: 1024
    .name:           _ZN4vllm25paged_attention_v1_kernelIttLi112ELi8ELi128ELNS_18Fp8KVCacheDataTypeE0ELb1EEEvPT_PKS2_PKT0_S8_ifPKiSA_iPKfiiiSC_SC_iiiii
    .private_segment_fixed_size: 0
    .sgpr_count:     42
    .sgpr_spill_count: 0
    .symbol:         _ZN4vllm25paged_attention_v1_kernelIttLi112ELi8ELi128ELNS_18Fp8KVCacheDataTypeE0ELb1EEEvPT_PKS2_PKT0_S8_ifPKiSA_iPKfiiiSC_SC_iiiii.kd
    .uniform_work_group_size: 1
    .uses_dynamic_stack: false
    .vgpr_count:     68
    .vgpr_spill_count: 0
    .wavefront_size: 32
  - .args:
      - .actual_access:  write_only
        .address_space:  global
        .offset:         0
        .size:           8
        .value_kind:     global_buffer
      - .actual_access:  read_only
        .address_space:  global
        .offset:         8
        .size:           8
        .value_kind:     global_buffer
      - .actual_access:  read_only
        .address_space:  global
        .offset:         16
        .size:           8
        .value_kind:     global_buffer
      - .actual_access:  read_only
        .address_space:  global
        .offset:         24
        .size:           8
        .value_kind:     global_buffer
      - .offset:         32
        .size:           4
        .value_kind:     by_value
      - .offset:         36
        .size:           4
        .value_kind:     by_value
      - .actual_access:  read_only
        .address_space:  global
        .offset:         40
        .size:           8
        .value_kind:     global_buffer
      - .actual_access:  read_only
        .address_space:  global
        .offset:         48
        .size:           8
        .value_kind:     global_buffer
      - .offset:         56
        .size:           4
        .value_kind:     by_value
      - .actual_access:  read_only
        .address_space:  global
        .offset:         64
        .size:           8
        .value_kind:     global_buffer
      - .offset:         72
        .size:           4
        .value_kind:     by_value
      - .offset:         76
        .size:           4
        .value_kind:     by_value
      - .offset:         80
        .size:           4
        .value_kind:     by_value
      - .address_space:  global
        .offset:         88
        .size:           8
        .value_kind:     global_buffer
      - .address_space:  global
        .offset:         96
        .size:           8
        .value_kind:     global_buffer
      - .offset:         104
        .size:           4
        .value_kind:     by_value
      - .offset:         108
        .size:           4
        .value_kind:     by_value
      - .offset:         112
        .size:           4
        .value_kind:     by_value
      - .offset:         116
        .size:           4
        .value_kind:     by_value
      - .offset:         120
        .size:           4
        .value_kind:     by_value
      - .offset:         128
        .size:           4
        .value_kind:     hidden_block_count_x
      - .offset:         132
        .size:           4
        .value_kind:     hidden_block_count_y
      - .offset:         136
        .size:           4
        .value_kind:     hidden_block_count_z
      - .offset:         140
        .size:           2
        .value_kind:     hidden_group_size_x
      - .offset:         142
        .size:           2
        .value_kind:     hidden_group_size_y
      - .offset:         144
        .size:           2
        .value_kind:     hidden_group_size_z
      - .offset:         146
        .size:           2
        .value_kind:     hidden_remainder_x
      - .offset:         148
        .size:           2
        .value_kind:     hidden_remainder_y
      - .offset:         150
        .size:           2
        .value_kind:     hidden_remainder_z
      - .offset:         168
        .size:           8
        .value_kind:     hidden_global_offset_x
      - .offset:         176
        .size:           8
        .value_kind:     hidden_global_offset_y
      - .offset:         184
        .size:           8
        .value_kind:     hidden_global_offset_z
      - .offset:         192
        .size:           2
        .value_kind:     hidden_grid_dims
      - .offset:         248
        .size:           4
        .value_kind:     hidden_dynamic_lds_size
    .group_segment_fixed_size: 272
    .kernarg_segment_align: 8
    .kernarg_segment_size: 384
    .language:       OpenCL C
    .language_version:
      - 2
      - 0
    .max_flat_workgroup_size: 1024
    .name:           _ZN4vllm25paged_attention_v1_kernelIttLi120ELi8ELi128ELNS_18Fp8KVCacheDataTypeE0ELb1EEEvPT_PKS2_PKT0_S8_ifPKiSA_iPKfiiiSC_SC_iiiii
    .private_segment_fixed_size: 0
    .sgpr_count:     42
    .sgpr_spill_count: 0
    .symbol:         _ZN4vllm25paged_attention_v1_kernelIttLi120ELi8ELi128ELNS_18Fp8KVCacheDataTypeE0ELb1EEEvPT_PKS2_PKT0_S8_ifPKiSA_iPKfiiiSC_SC_iiiii.kd
    .uniform_work_group_size: 1
    .uses_dynamic_stack: false
    .vgpr_count:     72
    .vgpr_spill_count: 0
    .wavefront_size: 32
  - .args:
      - .actual_access:  write_only
        .address_space:  global
        .offset:         0
        .size:           8
        .value_kind:     global_buffer
      - .actual_access:  read_only
        .address_space:  global
        .offset:         8
        .size:           8
        .value_kind:     global_buffer
      - .actual_access:  read_only
        .address_space:  global
        .offset:         16
        .size:           8
        .value_kind:     global_buffer
      - .actual_access:  read_only
        .address_space:  global
        .offset:         24
        .size:           8
        .value_kind:     global_buffer
      - .offset:         32
        .size:           4
        .value_kind:     by_value
      - .offset:         36
        .size:           4
        .value_kind:     by_value
      - .actual_access:  read_only
        .address_space:  global
        .offset:         40
        .size:           8
        .value_kind:     global_buffer
      - .actual_access:  read_only
        .address_space:  global
        .offset:         48
        .size:           8
        .value_kind:     global_buffer
      - .offset:         56
        .size:           4
        .value_kind:     by_value
      - .actual_access:  read_only
        .address_space:  global
        .offset:         64
        .size:           8
        .value_kind:     global_buffer
      - .offset:         72
        .size:           4
        .value_kind:     by_value
      - .offset:         76
        .size:           4
        .value_kind:     by_value
      - .offset:         80
        .size:           4
        .value_kind:     by_value
      - .address_space:  global
        .offset:         88
        .size:           8
        .value_kind:     global_buffer
      - .address_space:  global
        .offset:         96
        .size:           8
        .value_kind:     global_buffer
      - .offset:         104
        .size:           4
        .value_kind:     by_value
      - .offset:         108
        .size:           4
        .value_kind:     by_value
      - .offset:         112
        .size:           4
        .value_kind:     by_value
      - .offset:         116
        .size:           4
        .value_kind:     by_value
      - .offset:         120
        .size:           4
        .value_kind:     by_value
      - .offset:         128
        .size:           4
        .value_kind:     hidden_block_count_x
      - .offset:         132
        .size:           4
        .value_kind:     hidden_block_count_y
      - .offset:         136
        .size:           4
        .value_kind:     hidden_block_count_z
      - .offset:         140
        .size:           2
        .value_kind:     hidden_group_size_x
      - .offset:         142
        .size:           2
        .value_kind:     hidden_group_size_y
      - .offset:         144
        .size:           2
        .value_kind:     hidden_group_size_z
      - .offset:         146
        .size:           2
        .value_kind:     hidden_remainder_x
      - .offset:         148
        .size:           2
        .value_kind:     hidden_remainder_y
      - .offset:         150
        .size:           2
        .value_kind:     hidden_remainder_z
      - .offset:         168
        .size:           8
        .value_kind:     hidden_global_offset_x
      - .offset:         176
        .size:           8
        .value_kind:     hidden_global_offset_y
      - .offset:         184
        .size:           8
        .value_kind:     hidden_global_offset_z
      - .offset:         192
        .size:           2
        .value_kind:     hidden_grid_dims
      - .offset:         248
        .size:           4
        .value_kind:     hidden_dynamic_lds_size
    .group_segment_fixed_size: 288
    .kernarg_segment_align: 8
    .kernarg_segment_size: 384
    .language:       OpenCL C
    .language_version:
      - 2
      - 0
    .max_flat_workgroup_size: 1024
    .name:           _ZN4vllm25paged_attention_v1_kernelIttLi128ELi8ELi128ELNS_18Fp8KVCacheDataTypeE0ELb1EEEvPT_PKS2_PKT0_S8_ifPKiSA_iPKfiiiSC_SC_iiiii
    .private_segment_fixed_size: 0
    .sgpr_count:     44
    .sgpr_spill_count: 0
    .symbol:         _ZN4vllm25paged_attention_v1_kernelIttLi128ELi8ELi128ELNS_18Fp8KVCacheDataTypeE0ELb1EEEvPT_PKS2_PKT0_S8_ifPKiSA_iPKfiiiSC_SC_iiiii.kd
    .uniform_work_group_size: 1
    .uses_dynamic_stack: false
    .vgpr_count:     78
    .vgpr_spill_count: 0
    .wavefront_size: 32
  - .args:
      - .actual_access:  write_only
        .address_space:  global
        .offset:         0
        .size:           8
        .value_kind:     global_buffer
      - .actual_access:  read_only
        .address_space:  global
        .offset:         8
        .size:           8
        .value_kind:     global_buffer
      - .actual_access:  read_only
        .address_space:  global
        .offset:         16
        .size:           8
        .value_kind:     global_buffer
      - .actual_access:  read_only
        .address_space:  global
        .offset:         24
        .size:           8
        .value_kind:     global_buffer
      - .offset:         32
        .size:           4
        .value_kind:     by_value
      - .offset:         36
        .size:           4
        .value_kind:     by_value
      - .actual_access:  read_only
        .address_space:  global
        .offset:         40
        .size:           8
        .value_kind:     global_buffer
      - .actual_access:  read_only
        .address_space:  global
        .offset:         48
        .size:           8
        .value_kind:     global_buffer
      - .offset:         56
        .size:           4
        .value_kind:     by_value
      - .actual_access:  read_only
        .address_space:  global
        .offset:         64
        .size:           8
        .value_kind:     global_buffer
      - .offset:         72
        .size:           4
        .value_kind:     by_value
      - .offset:         76
        .size:           4
        .value_kind:     by_value
      - .offset:         80
        .size:           4
        .value_kind:     by_value
      - .address_space:  global
        .offset:         88
        .size:           8
        .value_kind:     global_buffer
      - .address_space:  global
        .offset:         96
        .size:           8
        .value_kind:     global_buffer
      - .offset:         104
        .size:           4
        .value_kind:     by_value
      - .offset:         108
        .size:           4
        .value_kind:     by_value
      - .offset:         112
        .size:           4
        .value_kind:     by_value
      - .offset:         116
        .size:           4
        .value_kind:     by_value
      - .offset:         120
        .size:           4
        .value_kind:     by_value
      - .offset:         128
        .size:           4
        .value_kind:     hidden_block_count_x
      - .offset:         132
        .size:           4
        .value_kind:     hidden_block_count_y
      - .offset:         136
        .size:           4
        .value_kind:     hidden_block_count_z
      - .offset:         140
        .size:           2
        .value_kind:     hidden_group_size_x
      - .offset:         142
        .size:           2
        .value_kind:     hidden_group_size_y
      - .offset:         144
        .size:           2
        .value_kind:     hidden_group_size_z
      - .offset:         146
        .size:           2
        .value_kind:     hidden_remainder_x
      - .offset:         148
        .size:           2
        .value_kind:     hidden_remainder_y
      - .offset:         150
        .size:           2
        .value_kind:     hidden_remainder_z
      - .offset:         168
        .size:           8
        .value_kind:     hidden_global_offset_x
      - .offset:         176
        .size:           8
        .value_kind:     hidden_global_offset_y
      - .offset:         184
        .size:           8
        .value_kind:     hidden_global_offset_z
      - .offset:         192
        .size:           2
        .value_kind:     hidden_grid_dims
      - .offset:         248
        .size:           4
        .value_kind:     hidden_dynamic_lds_size
    .group_segment_fixed_size: 416
    .kernarg_segment_align: 8
    .kernarg_segment_size: 384
    .language:       OpenCL C
    .language_version:
      - 2
      - 0
    .max_flat_workgroup_size: 1024
    .name:           _ZN4vllm25paged_attention_v1_kernelIttLi192ELi8ELi128ELNS_18Fp8KVCacheDataTypeE0ELb1EEEvPT_PKS2_PKT0_S8_ifPKiSA_iPKfiiiSC_SC_iiiii
    .private_segment_fixed_size: 0
    .sgpr_count:     42
    .sgpr_spill_count: 0
    .symbol:         _ZN4vllm25paged_attention_v1_kernelIttLi192ELi8ELi128ELNS_18Fp8KVCacheDataTypeE0ELb1EEEvPT_PKS2_PKT0_S8_ifPKiSA_iPKfiiiSC_SC_iiiii.kd
    .uniform_work_group_size: 1
    .uses_dynamic_stack: false
    .vgpr_count:     89
    .vgpr_spill_count: 0
    .wavefront_size: 32
  - .args:
      - .actual_access:  write_only
        .address_space:  global
        .offset:         0
        .size:           8
        .value_kind:     global_buffer
      - .actual_access:  read_only
        .address_space:  global
        .offset:         8
        .size:           8
        .value_kind:     global_buffer
      - .actual_access:  read_only
        .address_space:  global
        .offset:         16
        .size:           8
        .value_kind:     global_buffer
      - .actual_access:  read_only
        .address_space:  global
        .offset:         24
        .size:           8
        .value_kind:     global_buffer
      - .offset:         32
        .size:           4
        .value_kind:     by_value
      - .offset:         36
        .size:           4
        .value_kind:     by_value
      - .actual_access:  read_only
        .address_space:  global
        .offset:         40
        .size:           8
        .value_kind:     global_buffer
      - .actual_access:  read_only
        .address_space:  global
        .offset:         48
        .size:           8
        .value_kind:     global_buffer
      - .offset:         56
        .size:           4
        .value_kind:     by_value
      - .actual_access:  read_only
        .address_space:  global
        .offset:         64
        .size:           8
        .value_kind:     global_buffer
      - .offset:         72
        .size:           4
        .value_kind:     by_value
      - .offset:         76
        .size:           4
        .value_kind:     by_value
      - .offset:         80
        .size:           4
        .value_kind:     by_value
      - .address_space:  global
        .offset:         88
        .size:           8
        .value_kind:     global_buffer
      - .address_space:  global
        .offset:         96
        .size:           8
        .value_kind:     global_buffer
      - .offset:         104
        .size:           4
        .value_kind:     by_value
      - .offset:         108
        .size:           4
        .value_kind:     by_value
      - .offset:         112
        .size:           4
        .value_kind:     by_value
      - .offset:         116
        .size:           4
        .value_kind:     by_value
      - .offset:         120
        .size:           4
        .value_kind:     by_value
      - .offset:         128
        .size:           4
        .value_kind:     hidden_block_count_x
      - .offset:         132
        .size:           4
        .value_kind:     hidden_block_count_y
      - .offset:         136
        .size:           4
        .value_kind:     hidden_block_count_z
      - .offset:         140
        .size:           2
        .value_kind:     hidden_group_size_x
      - .offset:         142
        .size:           2
        .value_kind:     hidden_group_size_y
      - .offset:         144
        .size:           2
        .value_kind:     hidden_group_size_z
      - .offset:         146
        .size:           2
        .value_kind:     hidden_remainder_x
      - .offset:         148
        .size:           2
        .value_kind:     hidden_remainder_y
      - .offset:         150
        .size:           2
        .value_kind:     hidden_remainder_z
      - .offset:         168
        .size:           8
        .value_kind:     hidden_global_offset_x
      - .offset:         176
        .size:           8
        .value_kind:     hidden_global_offset_y
      - .offset:         184
        .size:           8
        .value_kind:     hidden_global_offset_z
      - .offset:         192
        .size:           2
        .value_kind:     hidden_grid_dims
      - .offset:         248
        .size:           4
        .value_kind:     hidden_dynamic_lds_size
    .group_segment_fixed_size: 544
    .kernarg_segment_align: 8
    .kernarg_segment_size: 384
    .language:       OpenCL C
    .language_version:
      - 2
      - 0
    .max_flat_workgroup_size: 1024
    .name:           _ZN4vllm25paged_attention_v1_kernelIttLi256ELi8ELi128ELNS_18Fp8KVCacheDataTypeE0ELb1EEEvPT_PKS2_PKT0_S8_ifPKiSA_iPKfiiiSC_SC_iiiii
    .private_segment_fixed_size: 0
    .sgpr_count:     42
    .sgpr_spill_count: 0
    .symbol:         _ZN4vllm25paged_attention_v1_kernelIttLi256ELi8ELi128ELNS_18Fp8KVCacheDataTypeE0ELb1EEEvPT_PKS2_PKT0_S8_ifPKiSA_iPKfiiiSC_SC_iiiii.kd
    .uniform_work_group_size: 1
    .uses_dynamic_stack: false
    .vgpr_count:     91
    .vgpr_spill_count: 0
    .wavefront_size: 32
  - .args:
      - .actual_access:  write_only
        .address_space:  global
        .offset:         0
        .size:           8
        .value_kind:     global_buffer
      - .actual_access:  read_only
        .address_space:  global
        .offset:         8
        .size:           8
        .value_kind:     global_buffer
      - .actual_access:  read_only
        .address_space:  global
        .offset:         16
        .size:           8
        .value_kind:     global_buffer
      - .actual_access:  read_only
        .address_space:  global
        .offset:         24
        .size:           8
        .value_kind:     global_buffer
      - .offset:         32
        .size:           4
        .value_kind:     by_value
      - .offset:         36
        .size:           4
        .value_kind:     by_value
      - .actual_access:  read_only
        .address_space:  global
        .offset:         40
        .size:           8
        .value_kind:     global_buffer
      - .actual_access:  read_only
        .address_space:  global
        .offset:         48
        .size:           8
        .value_kind:     global_buffer
      - .offset:         56
        .size:           4
        .value_kind:     by_value
      - .actual_access:  read_only
        .address_space:  global
        .offset:         64
        .size:           8
        .value_kind:     global_buffer
      - .offset:         72
        .size:           4
        .value_kind:     by_value
      - .offset:         76
        .size:           4
        .value_kind:     by_value
      - .offset:         80
        .size:           4
        .value_kind:     by_value
      - .address_space:  global
        .offset:         88
        .size:           8
        .value_kind:     global_buffer
      - .address_space:  global
        .offset:         96
        .size:           8
        .value_kind:     global_buffer
      - .offset:         104
        .size:           4
        .value_kind:     by_value
      - .offset:         108
        .size:           4
        .value_kind:     by_value
      - .offset:         112
        .size:           4
        .value_kind:     by_value
      - .offset:         116
        .size:           4
        .value_kind:     by_value
      - .offset:         120
        .size:           4
        .value_kind:     by_value
      - .offset:         128
        .size:           4
        .value_kind:     hidden_block_count_x
      - .offset:         132
        .size:           4
        .value_kind:     hidden_block_count_y
      - .offset:         136
        .size:           4
        .value_kind:     hidden_block_count_z
      - .offset:         140
        .size:           2
        .value_kind:     hidden_group_size_x
      - .offset:         142
        .size:           2
        .value_kind:     hidden_group_size_y
      - .offset:         144
        .size:           2
        .value_kind:     hidden_group_size_z
      - .offset:         146
        .size:           2
        .value_kind:     hidden_remainder_x
      - .offset:         148
        .size:           2
        .value_kind:     hidden_remainder_y
      - .offset:         150
        .size:           2
        .value_kind:     hidden_remainder_z
      - .offset:         168
        .size:           8
        .value_kind:     hidden_global_offset_x
      - .offset:         176
        .size:           8
        .value_kind:     hidden_global_offset_y
      - .offset:         184
        .size:           8
        .value_kind:     hidden_global_offset_z
      - .offset:         192
        .size:           2
        .value_kind:     hidden_grid_dims
      - .offset:         248
        .size:           4
        .value_kind:     hidden_dynamic_lds_size
    .group_segment_fixed_size: 96
    .kernarg_segment_align: 8
    .kernarg_segment_size: 384
    .language:       OpenCL C
    .language_version:
      - 2
      - 0
    .max_flat_workgroup_size: 1024
    .name:           _ZN4vllm25paged_attention_v1_kernelIttLi32ELi8ELi128ELNS_18Fp8KVCacheDataTypeE0ELb0EEEvPT_PKS2_PKT0_S8_ifPKiSA_iPKfiiiSC_SC_iiiii
    .private_segment_fixed_size: 0
    .sgpr_count:     32
    .sgpr_spill_count: 0
    .symbol:         _ZN4vllm25paged_attention_v1_kernelIttLi32ELi8ELi128ELNS_18Fp8KVCacheDataTypeE0ELb0EEEvPT_PKS2_PKT0_S8_ifPKiSA_iPKfiiiSC_SC_iiiii.kd
    .uniform_work_group_size: 1
    .uses_dynamic_stack: false
    .vgpr_count:     31
    .vgpr_spill_count: 0
    .wavefront_size: 32
  - .args:
      - .actual_access:  write_only
        .address_space:  global
        .offset:         0
        .size:           8
        .value_kind:     global_buffer
      - .actual_access:  read_only
        .address_space:  global
        .offset:         8
        .size:           8
        .value_kind:     global_buffer
      - .actual_access:  read_only
        .address_space:  global
        .offset:         16
        .size:           8
        .value_kind:     global_buffer
      - .actual_access:  read_only
        .address_space:  global
        .offset:         24
        .size:           8
        .value_kind:     global_buffer
      - .offset:         32
        .size:           4
        .value_kind:     by_value
      - .offset:         36
        .size:           4
        .value_kind:     by_value
      - .actual_access:  read_only
        .address_space:  global
        .offset:         40
        .size:           8
        .value_kind:     global_buffer
      - .actual_access:  read_only
        .address_space:  global
        .offset:         48
        .size:           8
        .value_kind:     global_buffer
      - .offset:         56
        .size:           4
        .value_kind:     by_value
      - .actual_access:  read_only
        .address_space:  global
        .offset:         64
        .size:           8
        .value_kind:     global_buffer
      - .offset:         72
        .size:           4
        .value_kind:     by_value
      - .offset:         76
        .size:           4
        .value_kind:     by_value
      - .offset:         80
        .size:           4
        .value_kind:     by_value
      - .address_space:  global
        .offset:         88
        .size:           8
        .value_kind:     global_buffer
      - .address_space:  global
        .offset:         96
        .size:           8
        .value_kind:     global_buffer
      - .offset:         104
        .size:           4
        .value_kind:     by_value
      - .offset:         108
        .size:           4
        .value_kind:     by_value
      - .offset:         112
        .size:           4
        .value_kind:     by_value
      - .offset:         116
        .size:           4
        .value_kind:     by_value
      - .offset:         120
        .size:           4
        .value_kind:     by_value
      - .offset:         128
        .size:           4
        .value_kind:     hidden_block_count_x
      - .offset:         132
        .size:           4
        .value_kind:     hidden_block_count_y
      - .offset:         136
        .size:           4
        .value_kind:     hidden_block_count_z
      - .offset:         140
        .size:           2
        .value_kind:     hidden_group_size_x
      - .offset:         142
        .size:           2
        .value_kind:     hidden_group_size_y
      - .offset:         144
        .size:           2
        .value_kind:     hidden_group_size_z
      - .offset:         146
        .size:           2
        .value_kind:     hidden_remainder_x
      - .offset:         148
        .size:           2
        .value_kind:     hidden_remainder_y
      - .offset:         150
        .size:           2
        .value_kind:     hidden_remainder_z
      - .offset:         168
        .size:           8
        .value_kind:     hidden_global_offset_x
      - .offset:         176
        .size:           8
        .value_kind:     hidden_global_offset_y
      - .offset:         184
        .size:           8
        .value_kind:     hidden_global_offset_z
      - .offset:         192
        .size:           2
        .value_kind:     hidden_grid_dims
      - .offset:         248
        .size:           4
        .value_kind:     hidden_dynamic_lds_size
    .group_segment_fixed_size: 160
    .kernarg_segment_align: 8
    .kernarg_segment_size: 384
    .language:       OpenCL C
    .language_version:
      - 2
      - 0
    .max_flat_workgroup_size: 1024
    .name:           _ZN4vllm25paged_attention_v1_kernelIttLi64ELi8ELi128ELNS_18Fp8KVCacheDataTypeE0ELb0EEEvPT_PKS2_PKT0_S8_ifPKiSA_iPKfiiiSC_SC_iiiii
    .private_segment_fixed_size: 0
    .sgpr_count:     30
    .sgpr_spill_count: 0
    .symbol:         _ZN4vllm25paged_attention_v1_kernelIttLi64ELi8ELi128ELNS_18Fp8KVCacheDataTypeE0ELb0EEEvPT_PKS2_PKT0_S8_ifPKiSA_iPKfiiiSC_SC_iiiii.kd
    .uniform_work_group_size: 1
    .uses_dynamic_stack: false
    .vgpr_count:     45
    .vgpr_spill_count: 0
    .wavefront_size: 32
  - .args:
      - .actual_access:  write_only
        .address_space:  global
        .offset:         0
        .size:           8
        .value_kind:     global_buffer
      - .actual_access:  read_only
        .address_space:  global
        .offset:         8
        .size:           8
        .value_kind:     global_buffer
      - .actual_access:  read_only
        .address_space:  global
        .offset:         16
        .size:           8
        .value_kind:     global_buffer
      - .actual_access:  read_only
        .address_space:  global
        .offset:         24
        .size:           8
        .value_kind:     global_buffer
      - .offset:         32
        .size:           4
        .value_kind:     by_value
      - .offset:         36
        .size:           4
        .value_kind:     by_value
      - .actual_access:  read_only
        .address_space:  global
        .offset:         40
        .size:           8
        .value_kind:     global_buffer
      - .actual_access:  read_only
        .address_space:  global
        .offset:         48
        .size:           8
        .value_kind:     global_buffer
      - .offset:         56
        .size:           4
        .value_kind:     by_value
      - .actual_access:  read_only
        .address_space:  global
        .offset:         64
        .size:           8
        .value_kind:     global_buffer
      - .offset:         72
        .size:           4
        .value_kind:     by_value
      - .offset:         76
        .size:           4
        .value_kind:     by_value
      - .offset:         80
        .size:           4
        .value_kind:     by_value
      - .address_space:  global
        .offset:         88
        .size:           8
        .value_kind:     global_buffer
      - .address_space:  global
        .offset:         96
        .size:           8
        .value_kind:     global_buffer
      - .offset:         104
        .size:           4
        .value_kind:     by_value
      - .offset:         108
        .size:           4
        .value_kind:     by_value
      - .offset:         112
        .size:           4
        .value_kind:     by_value
      - .offset:         116
        .size:           4
        .value_kind:     by_value
      - .offset:         120
        .size:           4
        .value_kind:     by_value
      - .offset:         128
        .size:           4
        .value_kind:     hidden_block_count_x
      - .offset:         132
        .size:           4
        .value_kind:     hidden_block_count_y
      - .offset:         136
        .size:           4
        .value_kind:     hidden_block_count_z
      - .offset:         140
        .size:           2
        .value_kind:     hidden_group_size_x
      - .offset:         142
        .size:           2
        .value_kind:     hidden_group_size_y
      - .offset:         144
        .size:           2
        .value_kind:     hidden_group_size_z
      - .offset:         146
        .size:           2
        .value_kind:     hidden_remainder_x
      - .offset:         148
        .size:           2
        .value_kind:     hidden_remainder_y
      - .offset:         150
        .size:           2
        .value_kind:     hidden_remainder_z
      - .offset:         168
        .size:           8
        .value_kind:     hidden_global_offset_x
      - .offset:         176
        .size:           8
        .value_kind:     hidden_global_offset_y
      - .offset:         184
        .size:           8
        .value_kind:     hidden_global_offset_z
      - .offset:         192
        .size:           2
        .value_kind:     hidden_grid_dims
      - .offset:         248
        .size:           4
        .value_kind:     hidden_dynamic_lds_size
    .group_segment_fixed_size: 192
    .kernarg_segment_align: 8
    .kernarg_segment_size: 384
    .language:       OpenCL C
    .language_version:
      - 2
      - 0
    .max_flat_workgroup_size: 1024
    .name:           _ZN4vllm25paged_attention_v1_kernelIttLi80ELi8ELi128ELNS_18Fp8KVCacheDataTypeE0ELb0EEEvPT_PKS2_PKT0_S8_ifPKiSA_iPKfiiiSC_SC_iiiii
    .private_segment_fixed_size: 0
    .sgpr_count:     32
    .sgpr_spill_count: 0
    .symbol:         _ZN4vllm25paged_attention_v1_kernelIttLi80ELi8ELi128ELNS_18Fp8KVCacheDataTypeE0ELb0EEEvPT_PKS2_PKT0_S8_ifPKiSA_iPKfiiiSC_SC_iiiii.kd
    .uniform_work_group_size: 1
    .uses_dynamic_stack: false
    .vgpr_count:     52
    .vgpr_spill_count: 0
    .wavefront_size: 32
  - .args:
      - .actual_access:  write_only
        .address_space:  global
        .offset:         0
        .size:           8
        .value_kind:     global_buffer
      - .actual_access:  read_only
        .address_space:  global
        .offset:         8
        .size:           8
        .value_kind:     global_buffer
      - .actual_access:  read_only
        .address_space:  global
        .offset:         16
        .size:           8
        .value_kind:     global_buffer
      - .actual_access:  read_only
        .address_space:  global
        .offset:         24
        .size:           8
        .value_kind:     global_buffer
      - .offset:         32
        .size:           4
        .value_kind:     by_value
      - .offset:         36
        .size:           4
        .value_kind:     by_value
      - .actual_access:  read_only
        .address_space:  global
        .offset:         40
        .size:           8
        .value_kind:     global_buffer
      - .actual_access:  read_only
        .address_space:  global
        .offset:         48
        .size:           8
        .value_kind:     global_buffer
      - .offset:         56
        .size:           4
        .value_kind:     by_value
      - .actual_access:  read_only
        .address_space:  global
        .offset:         64
        .size:           8
        .value_kind:     global_buffer
      - .offset:         72
        .size:           4
        .value_kind:     by_value
      - .offset:         76
        .size:           4
        .value_kind:     by_value
      - .offset:         80
        .size:           4
        .value_kind:     by_value
      - .address_space:  global
        .offset:         88
        .size:           8
        .value_kind:     global_buffer
      - .address_space:  global
        .offset:         96
        .size:           8
        .value_kind:     global_buffer
      - .offset:         104
        .size:           4
        .value_kind:     by_value
      - .offset:         108
        .size:           4
        .value_kind:     by_value
      - .offset:         112
        .size:           4
        .value_kind:     by_value
      - .offset:         116
        .size:           4
        .value_kind:     by_value
      - .offset:         120
        .size:           4
        .value_kind:     by_value
      - .offset:         128
        .size:           4
        .value_kind:     hidden_block_count_x
      - .offset:         132
        .size:           4
        .value_kind:     hidden_block_count_y
      - .offset:         136
        .size:           4
        .value_kind:     hidden_block_count_z
      - .offset:         140
        .size:           2
        .value_kind:     hidden_group_size_x
      - .offset:         142
        .size:           2
        .value_kind:     hidden_group_size_y
      - .offset:         144
        .size:           2
        .value_kind:     hidden_group_size_z
      - .offset:         146
        .size:           2
        .value_kind:     hidden_remainder_x
      - .offset:         148
        .size:           2
        .value_kind:     hidden_remainder_y
      - .offset:         150
        .size:           2
        .value_kind:     hidden_remainder_z
      - .offset:         168
        .size:           8
        .value_kind:     hidden_global_offset_x
      - .offset:         176
        .size:           8
        .value_kind:     hidden_global_offset_y
      - .offset:         184
        .size:           8
        .value_kind:     hidden_global_offset_z
      - .offset:         192
        .size:           2
        .value_kind:     hidden_grid_dims
      - .offset:         248
        .size:           4
        .value_kind:     hidden_dynamic_lds_size
    .group_segment_fixed_size: 224
    .kernarg_segment_align: 8
    .kernarg_segment_size: 384
    .language:       OpenCL C
    .language_version:
      - 2
      - 0
    .max_flat_workgroup_size: 1024
    .name:           _ZN4vllm25paged_attention_v1_kernelIttLi96ELi8ELi128ELNS_18Fp8KVCacheDataTypeE0ELb0EEEvPT_PKS2_PKT0_S8_ifPKiSA_iPKfiiiSC_SC_iiiii
    .private_segment_fixed_size: 0
    .sgpr_count:     32
    .sgpr_spill_count: 0
    .symbol:         _ZN4vllm25paged_attention_v1_kernelIttLi96ELi8ELi128ELNS_18Fp8KVCacheDataTypeE0ELb0EEEvPT_PKS2_PKT0_S8_ifPKiSA_iPKfiiiSC_SC_iiiii.kd
    .uniform_work_group_size: 1
    .uses_dynamic_stack: false
    .vgpr_count:     60
    .vgpr_spill_count: 0
    .wavefront_size: 32
  - .args:
      - .actual_access:  write_only
        .address_space:  global
        .offset:         0
        .size:           8
        .value_kind:     global_buffer
      - .actual_access:  read_only
        .address_space:  global
        .offset:         8
        .size:           8
        .value_kind:     global_buffer
      - .actual_access:  read_only
        .address_space:  global
        .offset:         16
        .size:           8
        .value_kind:     global_buffer
      - .actual_access:  read_only
        .address_space:  global
        .offset:         24
        .size:           8
        .value_kind:     global_buffer
      - .offset:         32
        .size:           4
        .value_kind:     by_value
      - .offset:         36
        .size:           4
        .value_kind:     by_value
      - .actual_access:  read_only
        .address_space:  global
        .offset:         40
        .size:           8
        .value_kind:     global_buffer
      - .actual_access:  read_only
        .address_space:  global
        .offset:         48
        .size:           8
        .value_kind:     global_buffer
      - .offset:         56
        .size:           4
        .value_kind:     by_value
      - .actual_access:  read_only
        .address_space:  global
        .offset:         64
        .size:           8
        .value_kind:     global_buffer
      - .offset:         72
        .size:           4
        .value_kind:     by_value
      - .offset:         76
        .size:           4
        .value_kind:     by_value
      - .offset:         80
        .size:           4
        .value_kind:     by_value
      - .address_space:  global
        .offset:         88
        .size:           8
        .value_kind:     global_buffer
      - .address_space:  global
        .offset:         96
        .size:           8
        .value_kind:     global_buffer
      - .offset:         104
        .size:           4
        .value_kind:     by_value
      - .offset:         108
        .size:           4
        .value_kind:     by_value
      - .offset:         112
        .size:           4
        .value_kind:     by_value
      - .offset:         116
        .size:           4
        .value_kind:     by_value
      - .offset:         120
        .size:           4
        .value_kind:     by_value
      - .offset:         128
        .size:           4
        .value_kind:     hidden_block_count_x
      - .offset:         132
        .size:           4
        .value_kind:     hidden_block_count_y
      - .offset:         136
        .size:           4
        .value_kind:     hidden_block_count_z
      - .offset:         140
        .size:           2
        .value_kind:     hidden_group_size_x
      - .offset:         142
        .size:           2
        .value_kind:     hidden_group_size_y
      - .offset:         144
        .size:           2
        .value_kind:     hidden_group_size_z
      - .offset:         146
        .size:           2
        .value_kind:     hidden_remainder_x
      - .offset:         148
        .size:           2
        .value_kind:     hidden_remainder_y
      - .offset:         150
        .size:           2
        .value_kind:     hidden_remainder_z
      - .offset:         168
        .size:           8
        .value_kind:     hidden_global_offset_x
      - .offset:         176
        .size:           8
        .value_kind:     hidden_global_offset_y
      - .offset:         184
        .size:           8
        .value_kind:     hidden_global_offset_z
      - .offset:         192
        .size:           2
        .value_kind:     hidden_grid_dims
      - .offset:         248
        .size:           4
        .value_kind:     hidden_dynamic_lds_size
    .group_segment_fixed_size: 256
    .kernarg_segment_align: 8
    .kernarg_segment_size: 384
    .language:       OpenCL C
    .language_version:
      - 2
      - 0
    .max_flat_workgroup_size: 1024
    .name:           _ZN4vllm25paged_attention_v1_kernelIttLi112ELi8ELi128ELNS_18Fp8KVCacheDataTypeE0ELb0EEEvPT_PKS2_PKT0_S8_ifPKiSA_iPKfiiiSC_SC_iiiii
    .private_segment_fixed_size: 0
    .sgpr_count:     32
    .sgpr_spill_count: 0
    .symbol:         _ZN4vllm25paged_attention_v1_kernelIttLi112ELi8ELi128ELNS_18Fp8KVCacheDataTypeE0ELb0EEEvPT_PKS2_PKT0_S8_ifPKiSA_iPKfiiiSC_SC_iiiii.kd
    .uniform_work_group_size: 1
    .uses_dynamic_stack: false
    .vgpr_count:     65
    .vgpr_spill_count: 0
    .wavefront_size: 32
  - .args:
      - .actual_access:  write_only
        .address_space:  global
        .offset:         0
        .size:           8
        .value_kind:     global_buffer
      - .actual_access:  read_only
        .address_space:  global
        .offset:         8
        .size:           8
        .value_kind:     global_buffer
      - .actual_access:  read_only
        .address_space:  global
        .offset:         16
        .size:           8
        .value_kind:     global_buffer
      - .actual_access:  read_only
        .address_space:  global
        .offset:         24
        .size:           8
        .value_kind:     global_buffer
      - .offset:         32
        .size:           4
        .value_kind:     by_value
      - .offset:         36
        .size:           4
        .value_kind:     by_value
      - .actual_access:  read_only
        .address_space:  global
        .offset:         40
        .size:           8
        .value_kind:     global_buffer
      - .actual_access:  read_only
        .address_space:  global
        .offset:         48
        .size:           8
        .value_kind:     global_buffer
      - .offset:         56
        .size:           4
        .value_kind:     by_value
      - .actual_access:  read_only
        .address_space:  global
        .offset:         64
        .size:           8
        .value_kind:     global_buffer
      - .offset:         72
        .size:           4
        .value_kind:     by_value
      - .offset:         76
        .size:           4
        .value_kind:     by_value
      - .offset:         80
        .size:           4
        .value_kind:     by_value
      - .address_space:  global
        .offset:         88
        .size:           8
        .value_kind:     global_buffer
      - .address_space:  global
        .offset:         96
        .size:           8
        .value_kind:     global_buffer
      - .offset:         104
        .size:           4
        .value_kind:     by_value
      - .offset:         108
        .size:           4
        .value_kind:     by_value
      - .offset:         112
        .size:           4
        .value_kind:     by_value
      - .offset:         116
        .size:           4
        .value_kind:     by_value
      - .offset:         120
        .size:           4
        .value_kind:     by_value
      - .offset:         128
        .size:           4
        .value_kind:     hidden_block_count_x
      - .offset:         132
        .size:           4
        .value_kind:     hidden_block_count_y
      - .offset:         136
        .size:           4
        .value_kind:     hidden_block_count_z
      - .offset:         140
        .size:           2
        .value_kind:     hidden_group_size_x
      - .offset:         142
        .size:           2
        .value_kind:     hidden_group_size_y
      - .offset:         144
        .size:           2
        .value_kind:     hidden_group_size_z
      - .offset:         146
        .size:           2
        .value_kind:     hidden_remainder_x
      - .offset:         148
        .size:           2
        .value_kind:     hidden_remainder_y
      - .offset:         150
        .size:           2
        .value_kind:     hidden_remainder_z
      - .offset:         168
        .size:           8
        .value_kind:     hidden_global_offset_x
      - .offset:         176
        .size:           8
        .value_kind:     hidden_global_offset_y
      - .offset:         184
        .size:           8
        .value_kind:     hidden_global_offset_z
      - .offset:         192
        .size:           2
        .value_kind:     hidden_grid_dims
      - .offset:         248
        .size:           4
        .value_kind:     hidden_dynamic_lds_size
    .group_segment_fixed_size: 272
    .kernarg_segment_align: 8
    .kernarg_segment_size: 384
    .language:       OpenCL C
    .language_version:
      - 2
      - 0
    .max_flat_workgroup_size: 1024
    .name:           _ZN4vllm25paged_attention_v1_kernelIttLi120ELi8ELi128ELNS_18Fp8KVCacheDataTypeE0ELb0EEEvPT_PKS2_PKT0_S8_ifPKiSA_iPKfiiiSC_SC_iiiii
    .private_segment_fixed_size: 0
    .sgpr_count:     32
    .sgpr_spill_count: 0
    .symbol:         _ZN4vllm25paged_attention_v1_kernelIttLi120ELi8ELi128ELNS_18Fp8KVCacheDataTypeE0ELb0EEEvPT_PKS2_PKT0_S8_ifPKiSA_iPKfiiiSC_SC_iiiii.kd
    .uniform_work_group_size: 1
    .uses_dynamic_stack: false
    .vgpr_count:     69
    .vgpr_spill_count: 0
    .wavefront_size: 32
  - .args:
      - .actual_access:  write_only
        .address_space:  global
        .offset:         0
        .size:           8
        .value_kind:     global_buffer
      - .actual_access:  read_only
        .address_space:  global
        .offset:         8
        .size:           8
        .value_kind:     global_buffer
      - .actual_access:  read_only
        .address_space:  global
        .offset:         16
        .size:           8
        .value_kind:     global_buffer
      - .actual_access:  read_only
        .address_space:  global
        .offset:         24
        .size:           8
        .value_kind:     global_buffer
      - .offset:         32
        .size:           4
        .value_kind:     by_value
      - .offset:         36
        .size:           4
        .value_kind:     by_value
      - .actual_access:  read_only
        .address_space:  global
        .offset:         40
        .size:           8
        .value_kind:     global_buffer
      - .actual_access:  read_only
        .address_space:  global
        .offset:         48
        .size:           8
        .value_kind:     global_buffer
      - .offset:         56
        .size:           4
        .value_kind:     by_value
      - .actual_access:  read_only
        .address_space:  global
        .offset:         64
        .size:           8
        .value_kind:     global_buffer
      - .offset:         72
        .size:           4
        .value_kind:     by_value
      - .offset:         76
        .size:           4
        .value_kind:     by_value
      - .offset:         80
        .size:           4
        .value_kind:     by_value
      - .address_space:  global
        .offset:         88
        .size:           8
        .value_kind:     global_buffer
      - .address_space:  global
        .offset:         96
        .size:           8
        .value_kind:     global_buffer
      - .offset:         104
        .size:           4
        .value_kind:     by_value
      - .offset:         108
        .size:           4
        .value_kind:     by_value
      - .offset:         112
        .size:           4
        .value_kind:     by_value
      - .offset:         116
        .size:           4
        .value_kind:     by_value
      - .offset:         120
        .size:           4
        .value_kind:     by_value
      - .offset:         128
        .size:           4
        .value_kind:     hidden_block_count_x
      - .offset:         132
        .size:           4
        .value_kind:     hidden_block_count_y
      - .offset:         136
        .size:           4
        .value_kind:     hidden_block_count_z
      - .offset:         140
        .size:           2
        .value_kind:     hidden_group_size_x
      - .offset:         142
        .size:           2
        .value_kind:     hidden_group_size_y
      - .offset:         144
        .size:           2
        .value_kind:     hidden_group_size_z
      - .offset:         146
        .size:           2
        .value_kind:     hidden_remainder_x
      - .offset:         148
        .size:           2
        .value_kind:     hidden_remainder_y
      - .offset:         150
        .size:           2
        .value_kind:     hidden_remainder_z
      - .offset:         168
        .size:           8
        .value_kind:     hidden_global_offset_x
      - .offset:         176
        .size:           8
        .value_kind:     hidden_global_offset_y
      - .offset:         184
        .size:           8
        .value_kind:     hidden_global_offset_z
      - .offset:         192
        .size:           2
        .value_kind:     hidden_grid_dims
      - .offset:         248
        .size:           4
        .value_kind:     hidden_dynamic_lds_size
    .group_segment_fixed_size: 288
    .kernarg_segment_align: 8
    .kernarg_segment_size: 384
    .language:       OpenCL C
    .language_version:
      - 2
      - 0
    .max_flat_workgroup_size: 1024
    .name:           _ZN4vllm25paged_attention_v1_kernelIttLi128ELi8ELi128ELNS_18Fp8KVCacheDataTypeE0ELb0EEEvPT_PKS2_PKT0_S8_ifPKiSA_iPKfiiiSC_SC_iiiii
    .private_segment_fixed_size: 0
    .sgpr_count:     30
    .sgpr_spill_count: 0
    .symbol:         _ZN4vllm25paged_attention_v1_kernelIttLi128ELi8ELi128ELNS_18Fp8KVCacheDataTypeE0ELb0EEEvPT_PKS2_PKT0_S8_ifPKiSA_iPKfiiiSC_SC_iiiii.kd
    .uniform_work_group_size: 1
    .uses_dynamic_stack: false
    .vgpr_count:     70
    .vgpr_spill_count: 0
    .wavefront_size: 32
  - .args:
      - .actual_access:  write_only
        .address_space:  global
        .offset:         0
        .size:           8
        .value_kind:     global_buffer
      - .actual_access:  read_only
        .address_space:  global
        .offset:         8
        .size:           8
        .value_kind:     global_buffer
      - .actual_access:  read_only
        .address_space:  global
        .offset:         16
        .size:           8
        .value_kind:     global_buffer
      - .actual_access:  read_only
        .address_space:  global
        .offset:         24
        .size:           8
        .value_kind:     global_buffer
      - .offset:         32
        .size:           4
        .value_kind:     by_value
      - .offset:         36
        .size:           4
        .value_kind:     by_value
      - .actual_access:  read_only
        .address_space:  global
        .offset:         40
        .size:           8
        .value_kind:     global_buffer
      - .actual_access:  read_only
        .address_space:  global
        .offset:         48
        .size:           8
        .value_kind:     global_buffer
      - .offset:         56
        .size:           4
        .value_kind:     by_value
      - .actual_access:  read_only
        .address_space:  global
        .offset:         64
        .size:           8
        .value_kind:     global_buffer
      - .offset:         72
        .size:           4
        .value_kind:     by_value
      - .offset:         76
        .size:           4
        .value_kind:     by_value
      - .offset:         80
        .size:           4
        .value_kind:     by_value
      - .address_space:  global
        .offset:         88
        .size:           8
        .value_kind:     global_buffer
      - .address_space:  global
        .offset:         96
        .size:           8
        .value_kind:     global_buffer
      - .offset:         104
        .size:           4
        .value_kind:     by_value
      - .offset:         108
        .size:           4
        .value_kind:     by_value
      - .offset:         112
        .size:           4
        .value_kind:     by_value
      - .offset:         116
        .size:           4
        .value_kind:     by_value
      - .offset:         120
        .size:           4
        .value_kind:     by_value
      - .offset:         128
        .size:           4
        .value_kind:     hidden_block_count_x
      - .offset:         132
        .size:           4
        .value_kind:     hidden_block_count_y
      - .offset:         136
        .size:           4
        .value_kind:     hidden_block_count_z
      - .offset:         140
        .size:           2
        .value_kind:     hidden_group_size_x
      - .offset:         142
        .size:           2
        .value_kind:     hidden_group_size_y
      - .offset:         144
        .size:           2
        .value_kind:     hidden_group_size_z
      - .offset:         146
        .size:           2
        .value_kind:     hidden_remainder_x
      - .offset:         148
        .size:           2
        .value_kind:     hidden_remainder_y
      - .offset:         150
        .size:           2
        .value_kind:     hidden_remainder_z
      - .offset:         168
        .size:           8
        .value_kind:     hidden_global_offset_x
      - .offset:         176
        .size:           8
        .value_kind:     hidden_global_offset_y
      - .offset:         184
        .size:           8
        .value_kind:     hidden_global_offset_z
      - .offset:         192
        .size:           2
        .value_kind:     hidden_grid_dims
      - .offset:         248
        .size:           4
        .value_kind:     hidden_dynamic_lds_size
    .group_segment_fixed_size: 416
    .kernarg_segment_align: 8
    .kernarg_segment_size: 384
    .language:       OpenCL C
    .language_version:
      - 2
      - 0
    .max_flat_workgroup_size: 1024
    .name:           _ZN4vllm25paged_attention_v1_kernelIttLi192ELi8ELi128ELNS_18Fp8KVCacheDataTypeE0ELb0EEEvPT_PKS2_PKT0_S8_ifPKiSA_iPKfiiiSC_SC_iiiii
    .private_segment_fixed_size: 0
    .sgpr_count:     32
    .sgpr_spill_count: 0
    .symbol:         _ZN4vllm25paged_attention_v1_kernelIttLi192ELi8ELi128ELNS_18Fp8KVCacheDataTypeE0ELb0EEEvPT_PKS2_PKT0_S8_ifPKiSA_iPKfiiiSC_SC_iiiii.kd
    .uniform_work_group_size: 1
    .uses_dynamic_stack: false
    .vgpr_count:     71
    .vgpr_spill_count: 0
    .wavefront_size: 32
  - .args:
      - .actual_access:  write_only
        .address_space:  global
        .offset:         0
        .size:           8
        .value_kind:     global_buffer
      - .actual_access:  read_only
        .address_space:  global
        .offset:         8
        .size:           8
        .value_kind:     global_buffer
      - .actual_access:  read_only
        .address_space:  global
        .offset:         16
        .size:           8
        .value_kind:     global_buffer
      - .actual_access:  read_only
        .address_space:  global
        .offset:         24
        .size:           8
        .value_kind:     global_buffer
      - .offset:         32
        .size:           4
        .value_kind:     by_value
      - .offset:         36
        .size:           4
        .value_kind:     by_value
      - .actual_access:  read_only
        .address_space:  global
        .offset:         40
        .size:           8
        .value_kind:     global_buffer
      - .actual_access:  read_only
        .address_space:  global
        .offset:         48
        .size:           8
        .value_kind:     global_buffer
      - .offset:         56
        .size:           4
        .value_kind:     by_value
      - .actual_access:  read_only
        .address_space:  global
        .offset:         64
        .size:           8
        .value_kind:     global_buffer
      - .offset:         72
        .size:           4
        .value_kind:     by_value
      - .offset:         76
        .size:           4
        .value_kind:     by_value
      - .offset:         80
        .size:           4
        .value_kind:     by_value
      - .address_space:  global
        .offset:         88
        .size:           8
        .value_kind:     global_buffer
      - .address_space:  global
        .offset:         96
        .size:           8
        .value_kind:     global_buffer
      - .offset:         104
        .size:           4
        .value_kind:     by_value
      - .offset:         108
        .size:           4
        .value_kind:     by_value
      - .offset:         112
        .size:           4
        .value_kind:     by_value
      - .offset:         116
        .size:           4
        .value_kind:     by_value
      - .offset:         120
        .size:           4
        .value_kind:     by_value
      - .offset:         128
        .size:           4
        .value_kind:     hidden_block_count_x
      - .offset:         132
        .size:           4
        .value_kind:     hidden_block_count_y
      - .offset:         136
        .size:           4
        .value_kind:     hidden_block_count_z
      - .offset:         140
        .size:           2
        .value_kind:     hidden_group_size_x
      - .offset:         142
        .size:           2
        .value_kind:     hidden_group_size_y
      - .offset:         144
        .size:           2
        .value_kind:     hidden_group_size_z
      - .offset:         146
        .size:           2
        .value_kind:     hidden_remainder_x
      - .offset:         148
        .size:           2
        .value_kind:     hidden_remainder_y
      - .offset:         150
        .size:           2
        .value_kind:     hidden_remainder_z
      - .offset:         168
        .size:           8
        .value_kind:     hidden_global_offset_x
      - .offset:         176
        .size:           8
        .value_kind:     hidden_global_offset_y
      - .offset:         184
        .size:           8
        .value_kind:     hidden_global_offset_z
      - .offset:         192
        .size:           2
        .value_kind:     hidden_grid_dims
      - .offset:         248
        .size:           4
        .value_kind:     hidden_dynamic_lds_size
    .group_segment_fixed_size: 544
    .kernarg_segment_align: 8
    .kernarg_segment_size: 384
    .language:       OpenCL C
    .language_version:
      - 2
      - 0
    .max_flat_workgroup_size: 1024
    .name:           _ZN4vllm25paged_attention_v1_kernelIttLi256ELi8ELi128ELNS_18Fp8KVCacheDataTypeE0ELb0EEEvPT_PKS2_PKT0_S8_ifPKiSA_iPKfiiiSC_SC_iiiii
    .private_segment_fixed_size: 0
    .sgpr_count:     30
    .sgpr_spill_count: 0
    .symbol:         _ZN4vllm25paged_attention_v1_kernelIttLi256ELi8ELi128ELNS_18Fp8KVCacheDataTypeE0ELb0EEEvPT_PKS2_PKT0_S8_ifPKiSA_iPKfiiiSC_SC_iiiii.kd
    .uniform_work_group_size: 1
    .uses_dynamic_stack: false
    .vgpr_count:     83
    .vgpr_spill_count: 0
    .wavefront_size: 32
  - .args:
      - .actual_access:  write_only
        .address_space:  global
        .offset:         0
        .size:           8
        .value_kind:     global_buffer
      - .actual_access:  read_only
        .address_space:  global
        .offset:         8
        .size:           8
        .value_kind:     global_buffer
      - .actual_access:  read_only
        .address_space:  global
        .offset:         16
        .size:           8
        .value_kind:     global_buffer
      - .actual_access:  read_only
        .address_space:  global
        .offset:         24
        .size:           8
        .value_kind:     global_buffer
      - .offset:         32
        .size:           4
        .value_kind:     by_value
      - .offset:         36
        .size:           4
        .value_kind:     by_value
      - .actual_access:  read_only
        .address_space:  global
        .offset:         40
        .size:           8
        .value_kind:     global_buffer
      - .actual_access:  read_only
        .address_space:  global
        .offset:         48
        .size:           8
        .value_kind:     global_buffer
      - .offset:         56
        .size:           4
        .value_kind:     by_value
      - .actual_access:  read_only
        .address_space:  global
        .offset:         64
        .size:           8
        .value_kind:     global_buffer
      - .offset:         72
        .size:           4
        .value_kind:     by_value
      - .offset:         76
        .size:           4
        .value_kind:     by_value
      - .offset:         80
        .size:           4
        .value_kind:     by_value
      - .address_space:  global
        .offset:         88
        .size:           8
        .value_kind:     global_buffer
      - .address_space:  global
        .offset:         96
        .size:           8
        .value_kind:     global_buffer
      - .offset:         104
        .size:           4
        .value_kind:     by_value
      - .offset:         108
        .size:           4
        .value_kind:     by_value
      - .offset:         112
        .size:           4
        .value_kind:     by_value
      - .offset:         116
        .size:           4
        .value_kind:     by_value
      - .offset:         120
        .size:           4
        .value_kind:     by_value
      - .offset:         128
        .size:           4
        .value_kind:     hidden_block_count_x
      - .offset:         132
        .size:           4
        .value_kind:     hidden_block_count_y
      - .offset:         136
        .size:           4
        .value_kind:     hidden_block_count_z
      - .offset:         140
        .size:           2
        .value_kind:     hidden_group_size_x
      - .offset:         142
        .size:           2
        .value_kind:     hidden_group_size_y
      - .offset:         144
        .size:           2
        .value_kind:     hidden_group_size_z
      - .offset:         146
        .size:           2
        .value_kind:     hidden_remainder_x
      - .offset:         148
        .size:           2
        .value_kind:     hidden_remainder_y
      - .offset:         150
        .size:           2
        .value_kind:     hidden_remainder_z
      - .offset:         168
        .size:           8
        .value_kind:     hidden_global_offset_x
      - .offset:         176
        .size:           8
        .value_kind:     hidden_global_offset_y
      - .offset:         184
        .size:           8
        .value_kind:     hidden_global_offset_z
      - .offset:         192
        .size:           2
        .value_kind:     hidden_grid_dims
      - .offset:         248
        .size:           4
        .value_kind:     hidden_dynamic_lds_size
    .group_segment_fixed_size: 96
    .kernarg_segment_align: 8
    .kernarg_segment_size: 384
    .language:       OpenCL C
    .language_version:
      - 2
      - 0
    .max_flat_workgroup_size: 1024
    .name:           _ZN4vllm25paged_attention_v1_kernelIttLi32ELi16ELi128ELNS_18Fp8KVCacheDataTypeE0ELb1EEEvPT_PKS2_PKT0_S8_ifPKiSA_iPKfiiiSC_SC_iiiii
    .private_segment_fixed_size: 0
    .sgpr_count:     42
    .sgpr_spill_count: 0
    .symbol:         _ZN4vllm25paged_attention_v1_kernelIttLi32ELi16ELi128ELNS_18Fp8KVCacheDataTypeE0ELb1EEEvPT_PKS2_PKT0_S8_ifPKiSA_iPKfiiiSC_SC_iiiii.kd
    .uniform_work_group_size: 1
    .uses_dynamic_stack: false
    .vgpr_count:     52
    .vgpr_spill_count: 0
    .wavefront_size: 32
  - .args:
      - .actual_access:  write_only
        .address_space:  global
        .offset:         0
        .size:           8
        .value_kind:     global_buffer
      - .actual_access:  read_only
        .address_space:  global
        .offset:         8
        .size:           8
        .value_kind:     global_buffer
      - .actual_access:  read_only
        .address_space:  global
        .offset:         16
        .size:           8
        .value_kind:     global_buffer
      - .actual_access:  read_only
        .address_space:  global
        .offset:         24
        .size:           8
        .value_kind:     global_buffer
      - .offset:         32
        .size:           4
        .value_kind:     by_value
      - .offset:         36
        .size:           4
        .value_kind:     by_value
      - .actual_access:  read_only
        .address_space:  global
        .offset:         40
        .size:           8
        .value_kind:     global_buffer
      - .actual_access:  read_only
        .address_space:  global
        .offset:         48
        .size:           8
        .value_kind:     global_buffer
      - .offset:         56
        .size:           4
        .value_kind:     by_value
      - .actual_access:  read_only
        .address_space:  global
        .offset:         64
        .size:           8
        .value_kind:     global_buffer
      - .offset:         72
        .size:           4
        .value_kind:     by_value
      - .offset:         76
        .size:           4
        .value_kind:     by_value
      - .offset:         80
        .size:           4
        .value_kind:     by_value
      - .address_space:  global
        .offset:         88
        .size:           8
        .value_kind:     global_buffer
      - .address_space:  global
        .offset:         96
        .size:           8
        .value_kind:     global_buffer
      - .offset:         104
        .size:           4
        .value_kind:     by_value
      - .offset:         108
        .size:           4
        .value_kind:     by_value
      - .offset:         112
        .size:           4
        .value_kind:     by_value
      - .offset:         116
        .size:           4
        .value_kind:     by_value
      - .offset:         120
        .size:           4
        .value_kind:     by_value
      - .offset:         128
        .size:           4
        .value_kind:     hidden_block_count_x
      - .offset:         132
        .size:           4
        .value_kind:     hidden_block_count_y
      - .offset:         136
        .size:           4
        .value_kind:     hidden_block_count_z
      - .offset:         140
        .size:           2
        .value_kind:     hidden_group_size_x
      - .offset:         142
        .size:           2
        .value_kind:     hidden_group_size_y
      - .offset:         144
        .size:           2
        .value_kind:     hidden_group_size_z
      - .offset:         146
        .size:           2
        .value_kind:     hidden_remainder_x
      - .offset:         148
        .size:           2
        .value_kind:     hidden_remainder_y
      - .offset:         150
        .size:           2
        .value_kind:     hidden_remainder_z
      - .offset:         168
        .size:           8
        .value_kind:     hidden_global_offset_x
      - .offset:         176
        .size:           8
        .value_kind:     hidden_global_offset_y
      - .offset:         184
        .size:           8
        .value_kind:     hidden_global_offset_z
      - .offset:         192
        .size:           2
        .value_kind:     hidden_grid_dims
      - .offset:         248
        .size:           4
        .value_kind:     hidden_dynamic_lds_size
    .group_segment_fixed_size: 160
    .kernarg_segment_align: 8
    .kernarg_segment_size: 384
    .language:       OpenCL C
    .language_version:
      - 2
      - 0
    .max_flat_workgroup_size: 1024
    .name:           _ZN4vllm25paged_attention_v1_kernelIttLi64ELi16ELi128ELNS_18Fp8KVCacheDataTypeE0ELb1EEEvPT_PKS2_PKT0_S8_ifPKiSA_iPKfiiiSC_SC_iiiii
    .private_segment_fixed_size: 0
    .sgpr_count:     42
    .sgpr_spill_count: 0
    .symbol:         _ZN4vllm25paged_attention_v1_kernelIttLi64ELi16ELi128ELNS_18Fp8KVCacheDataTypeE0ELb1EEEvPT_PKS2_PKT0_S8_ifPKiSA_iPKfiiiSC_SC_iiiii.kd
    .uniform_work_group_size: 1
    .uses_dynamic_stack: false
    .vgpr_count:     82
    .vgpr_spill_count: 0
    .wavefront_size: 32
  - .args:
      - .actual_access:  write_only
        .address_space:  global
        .offset:         0
        .size:           8
        .value_kind:     global_buffer
      - .actual_access:  read_only
        .address_space:  global
        .offset:         8
        .size:           8
        .value_kind:     global_buffer
      - .actual_access:  read_only
        .address_space:  global
        .offset:         16
        .size:           8
        .value_kind:     global_buffer
      - .actual_access:  read_only
        .address_space:  global
        .offset:         24
        .size:           8
        .value_kind:     global_buffer
      - .offset:         32
        .size:           4
        .value_kind:     by_value
      - .offset:         36
        .size:           4
        .value_kind:     by_value
      - .actual_access:  read_only
        .address_space:  global
        .offset:         40
        .size:           8
        .value_kind:     global_buffer
      - .actual_access:  read_only
        .address_space:  global
        .offset:         48
        .size:           8
        .value_kind:     global_buffer
      - .offset:         56
        .size:           4
        .value_kind:     by_value
      - .actual_access:  read_only
        .address_space:  global
        .offset:         64
        .size:           8
        .value_kind:     global_buffer
      - .offset:         72
        .size:           4
        .value_kind:     by_value
      - .offset:         76
        .size:           4
        .value_kind:     by_value
      - .offset:         80
        .size:           4
        .value_kind:     by_value
      - .address_space:  global
        .offset:         88
        .size:           8
        .value_kind:     global_buffer
      - .address_space:  global
        .offset:         96
        .size:           8
        .value_kind:     global_buffer
      - .offset:         104
        .size:           4
        .value_kind:     by_value
      - .offset:         108
        .size:           4
        .value_kind:     by_value
      - .offset:         112
        .size:           4
        .value_kind:     by_value
      - .offset:         116
        .size:           4
        .value_kind:     by_value
      - .offset:         120
        .size:           4
        .value_kind:     by_value
      - .offset:         128
        .size:           4
        .value_kind:     hidden_block_count_x
      - .offset:         132
        .size:           4
        .value_kind:     hidden_block_count_y
      - .offset:         136
        .size:           4
        .value_kind:     hidden_block_count_z
      - .offset:         140
        .size:           2
        .value_kind:     hidden_group_size_x
      - .offset:         142
        .size:           2
        .value_kind:     hidden_group_size_y
      - .offset:         144
        .size:           2
        .value_kind:     hidden_group_size_z
      - .offset:         146
        .size:           2
        .value_kind:     hidden_remainder_x
      - .offset:         148
        .size:           2
        .value_kind:     hidden_remainder_y
      - .offset:         150
        .size:           2
        .value_kind:     hidden_remainder_z
      - .offset:         168
        .size:           8
        .value_kind:     hidden_global_offset_x
      - .offset:         176
        .size:           8
        .value_kind:     hidden_global_offset_y
      - .offset:         184
        .size:           8
        .value_kind:     hidden_global_offset_z
      - .offset:         192
        .size:           2
        .value_kind:     hidden_grid_dims
      - .offset:         248
        .size:           4
        .value_kind:     hidden_dynamic_lds_size
    .group_segment_fixed_size: 192
    .kernarg_segment_align: 8
    .kernarg_segment_size: 384
    .language:       OpenCL C
    .language_version:
      - 2
      - 0
    .max_flat_workgroup_size: 1024
    .name:           _ZN4vllm25paged_attention_v1_kernelIttLi80ELi16ELi128ELNS_18Fp8KVCacheDataTypeE0ELb1EEEvPT_PKS2_PKT0_S8_ifPKiSA_iPKfiiiSC_SC_iiiii
    .private_segment_fixed_size: 0
    .sgpr_count:     42
    .sgpr_spill_count: 0
    .symbol:         _ZN4vllm25paged_attention_v1_kernelIttLi80ELi16ELi128ELNS_18Fp8KVCacheDataTypeE0ELb1EEEvPT_PKS2_PKT0_S8_ifPKiSA_iPKfiiiSC_SC_iiiii.kd
    .uniform_work_group_size: 1
    .uses_dynamic_stack: false
    .vgpr_count:     91
    .vgpr_spill_count: 0
    .wavefront_size: 32
  - .args:
      - .actual_access:  write_only
        .address_space:  global
        .offset:         0
        .size:           8
        .value_kind:     global_buffer
      - .actual_access:  read_only
        .address_space:  global
        .offset:         8
        .size:           8
        .value_kind:     global_buffer
      - .actual_access:  read_only
        .address_space:  global
        .offset:         16
        .size:           8
        .value_kind:     global_buffer
      - .actual_access:  read_only
        .address_space:  global
        .offset:         24
        .size:           8
        .value_kind:     global_buffer
      - .offset:         32
        .size:           4
        .value_kind:     by_value
      - .offset:         36
        .size:           4
        .value_kind:     by_value
      - .actual_access:  read_only
        .address_space:  global
        .offset:         40
        .size:           8
        .value_kind:     global_buffer
      - .actual_access:  read_only
        .address_space:  global
        .offset:         48
        .size:           8
        .value_kind:     global_buffer
      - .offset:         56
        .size:           4
        .value_kind:     by_value
      - .actual_access:  read_only
        .address_space:  global
        .offset:         64
        .size:           8
        .value_kind:     global_buffer
      - .offset:         72
        .size:           4
        .value_kind:     by_value
      - .offset:         76
        .size:           4
        .value_kind:     by_value
      - .offset:         80
        .size:           4
        .value_kind:     by_value
      - .address_space:  global
        .offset:         88
        .size:           8
        .value_kind:     global_buffer
      - .address_space:  global
        .offset:         96
        .size:           8
        .value_kind:     global_buffer
      - .offset:         104
        .size:           4
        .value_kind:     by_value
      - .offset:         108
        .size:           4
        .value_kind:     by_value
      - .offset:         112
        .size:           4
        .value_kind:     by_value
      - .offset:         116
        .size:           4
        .value_kind:     by_value
      - .offset:         120
        .size:           4
        .value_kind:     by_value
      - .offset:         128
        .size:           4
        .value_kind:     hidden_block_count_x
      - .offset:         132
        .size:           4
        .value_kind:     hidden_block_count_y
      - .offset:         136
        .size:           4
        .value_kind:     hidden_block_count_z
      - .offset:         140
        .size:           2
        .value_kind:     hidden_group_size_x
      - .offset:         142
        .size:           2
        .value_kind:     hidden_group_size_y
      - .offset:         144
        .size:           2
        .value_kind:     hidden_group_size_z
      - .offset:         146
        .size:           2
        .value_kind:     hidden_remainder_x
      - .offset:         148
        .size:           2
        .value_kind:     hidden_remainder_y
      - .offset:         150
        .size:           2
        .value_kind:     hidden_remainder_z
      - .offset:         168
        .size:           8
        .value_kind:     hidden_global_offset_x
      - .offset:         176
        .size:           8
        .value_kind:     hidden_global_offset_y
      - .offset:         184
        .size:           8
        .value_kind:     hidden_global_offset_z
      - .offset:         192
        .size:           2
        .value_kind:     hidden_grid_dims
      - .offset:         248
        .size:           4
        .value_kind:     hidden_dynamic_lds_size
    .group_segment_fixed_size: 224
    .kernarg_segment_align: 8
    .kernarg_segment_size: 384
    .language:       OpenCL C
    .language_version:
      - 2
      - 0
    .max_flat_workgroup_size: 1024
    .name:           _ZN4vllm25paged_attention_v1_kernelIttLi96ELi16ELi128ELNS_18Fp8KVCacheDataTypeE0ELb1EEEvPT_PKS2_PKT0_S8_ifPKiSA_iPKfiiiSC_SC_iiiii
    .private_segment_fixed_size: 0
    .sgpr_count:     42
    .sgpr_spill_count: 0
    .symbol:         _ZN4vllm25paged_attention_v1_kernelIttLi96ELi16ELi128ELNS_18Fp8KVCacheDataTypeE0ELb1EEEvPT_PKS2_PKT0_S8_ifPKiSA_iPKfiiiSC_SC_iiiii.kd
    .uniform_work_group_size: 1
    .uses_dynamic_stack: false
    .vgpr_count:     93
    .vgpr_spill_count: 0
    .wavefront_size: 32
  - .args:
      - .actual_access:  write_only
        .address_space:  global
        .offset:         0
        .size:           8
        .value_kind:     global_buffer
      - .actual_access:  read_only
        .address_space:  global
        .offset:         8
        .size:           8
        .value_kind:     global_buffer
      - .actual_access:  read_only
        .address_space:  global
        .offset:         16
        .size:           8
        .value_kind:     global_buffer
      - .actual_access:  read_only
        .address_space:  global
        .offset:         24
        .size:           8
        .value_kind:     global_buffer
      - .offset:         32
        .size:           4
        .value_kind:     by_value
      - .offset:         36
        .size:           4
        .value_kind:     by_value
      - .actual_access:  read_only
        .address_space:  global
        .offset:         40
        .size:           8
        .value_kind:     global_buffer
      - .actual_access:  read_only
        .address_space:  global
        .offset:         48
        .size:           8
        .value_kind:     global_buffer
      - .offset:         56
        .size:           4
        .value_kind:     by_value
      - .actual_access:  read_only
        .address_space:  global
        .offset:         64
        .size:           8
        .value_kind:     global_buffer
      - .offset:         72
        .size:           4
        .value_kind:     by_value
      - .offset:         76
        .size:           4
        .value_kind:     by_value
      - .offset:         80
        .size:           4
        .value_kind:     by_value
      - .address_space:  global
        .offset:         88
        .size:           8
        .value_kind:     global_buffer
      - .address_space:  global
        .offset:         96
        .size:           8
        .value_kind:     global_buffer
      - .offset:         104
        .size:           4
        .value_kind:     by_value
      - .offset:         108
        .size:           4
        .value_kind:     by_value
      - .offset:         112
        .size:           4
        .value_kind:     by_value
      - .offset:         116
        .size:           4
        .value_kind:     by_value
      - .offset:         120
        .size:           4
        .value_kind:     by_value
      - .offset:         128
        .size:           4
        .value_kind:     hidden_block_count_x
      - .offset:         132
        .size:           4
        .value_kind:     hidden_block_count_y
      - .offset:         136
        .size:           4
        .value_kind:     hidden_block_count_z
      - .offset:         140
        .size:           2
        .value_kind:     hidden_group_size_x
      - .offset:         142
        .size:           2
        .value_kind:     hidden_group_size_y
      - .offset:         144
        .size:           2
        .value_kind:     hidden_group_size_z
      - .offset:         146
        .size:           2
        .value_kind:     hidden_remainder_x
      - .offset:         148
        .size:           2
        .value_kind:     hidden_remainder_y
      - .offset:         150
        .size:           2
        .value_kind:     hidden_remainder_z
      - .offset:         168
        .size:           8
        .value_kind:     hidden_global_offset_x
      - .offset:         176
        .size:           8
        .value_kind:     hidden_global_offset_y
      - .offset:         184
        .size:           8
        .value_kind:     hidden_global_offset_z
      - .offset:         192
        .size:           2
        .value_kind:     hidden_grid_dims
      - .offset:         248
        .size:           4
        .value_kind:     hidden_dynamic_lds_size
    .group_segment_fixed_size: 256
    .kernarg_segment_align: 8
    .kernarg_segment_size: 384
    .language:       OpenCL C
    .language_version:
      - 2
      - 0
    .max_flat_workgroup_size: 1024
    .name:           _ZN4vllm25paged_attention_v1_kernelIttLi112ELi16ELi128ELNS_18Fp8KVCacheDataTypeE0ELb1EEEvPT_PKS2_PKT0_S8_ifPKiSA_iPKfiiiSC_SC_iiiii
    .private_segment_fixed_size: 0
    .sgpr_count:     42
    .sgpr_spill_count: 0
    .symbol:         _ZN4vllm25paged_attention_v1_kernelIttLi112ELi16ELi128ELNS_18Fp8KVCacheDataTypeE0ELb1EEEvPT_PKS2_PKT0_S8_ifPKiSA_iPKfiiiSC_SC_iiiii.kd
    .uniform_work_group_size: 1
    .uses_dynamic_stack: false
    .vgpr_count:     94
    .vgpr_spill_count: 0
    .wavefront_size: 32
  - .args:
      - .actual_access:  write_only
        .address_space:  global
        .offset:         0
        .size:           8
        .value_kind:     global_buffer
      - .actual_access:  read_only
        .address_space:  global
        .offset:         8
        .size:           8
        .value_kind:     global_buffer
      - .actual_access:  read_only
        .address_space:  global
        .offset:         16
        .size:           8
        .value_kind:     global_buffer
      - .actual_access:  read_only
        .address_space:  global
        .offset:         24
        .size:           8
        .value_kind:     global_buffer
      - .offset:         32
        .size:           4
        .value_kind:     by_value
      - .offset:         36
        .size:           4
        .value_kind:     by_value
      - .actual_access:  read_only
        .address_space:  global
        .offset:         40
        .size:           8
        .value_kind:     global_buffer
      - .actual_access:  read_only
        .address_space:  global
        .offset:         48
        .size:           8
        .value_kind:     global_buffer
      - .offset:         56
        .size:           4
        .value_kind:     by_value
      - .actual_access:  read_only
        .address_space:  global
        .offset:         64
        .size:           8
        .value_kind:     global_buffer
      - .offset:         72
        .size:           4
        .value_kind:     by_value
      - .offset:         76
        .size:           4
        .value_kind:     by_value
      - .offset:         80
        .size:           4
        .value_kind:     by_value
      - .address_space:  global
        .offset:         88
        .size:           8
        .value_kind:     global_buffer
      - .address_space:  global
        .offset:         96
        .size:           8
        .value_kind:     global_buffer
      - .offset:         104
        .size:           4
        .value_kind:     by_value
      - .offset:         108
        .size:           4
        .value_kind:     by_value
      - .offset:         112
        .size:           4
        .value_kind:     by_value
      - .offset:         116
        .size:           4
        .value_kind:     by_value
      - .offset:         120
        .size:           4
        .value_kind:     by_value
      - .offset:         128
        .size:           4
        .value_kind:     hidden_block_count_x
      - .offset:         132
        .size:           4
        .value_kind:     hidden_block_count_y
      - .offset:         136
        .size:           4
        .value_kind:     hidden_block_count_z
      - .offset:         140
        .size:           2
        .value_kind:     hidden_group_size_x
      - .offset:         142
        .size:           2
        .value_kind:     hidden_group_size_y
      - .offset:         144
        .size:           2
        .value_kind:     hidden_group_size_z
      - .offset:         146
        .size:           2
        .value_kind:     hidden_remainder_x
      - .offset:         148
        .size:           2
        .value_kind:     hidden_remainder_y
      - .offset:         150
        .size:           2
        .value_kind:     hidden_remainder_z
      - .offset:         168
        .size:           8
        .value_kind:     hidden_global_offset_x
      - .offset:         176
        .size:           8
        .value_kind:     hidden_global_offset_y
      - .offset:         184
        .size:           8
        .value_kind:     hidden_global_offset_z
      - .offset:         192
        .size:           2
        .value_kind:     hidden_grid_dims
      - .offset:         248
        .size:           4
        .value_kind:     hidden_dynamic_lds_size
    .group_segment_fixed_size: 272
    .kernarg_segment_align: 8
    .kernarg_segment_size: 384
    .language:       OpenCL C
    .language_version:
      - 2
      - 0
    .max_flat_workgroup_size: 1024
    .name:           _ZN4vllm25paged_attention_v1_kernelIttLi120ELi16ELi128ELNS_18Fp8KVCacheDataTypeE0ELb1EEEvPT_PKS2_PKT0_S8_ifPKiSA_iPKfiiiSC_SC_iiiii
    .private_segment_fixed_size: 0
    .sgpr_count:     42
    .sgpr_spill_count: 0
    .symbol:         _ZN4vllm25paged_attention_v1_kernelIttLi120ELi16ELi128ELNS_18Fp8KVCacheDataTypeE0ELb1EEEvPT_PKS2_PKT0_S8_ifPKiSA_iPKfiiiSC_SC_iiiii.kd
    .uniform_work_group_size: 1
    .uses_dynamic_stack: false
    .vgpr_count:     93
    .vgpr_spill_count: 0
    .wavefront_size: 32
  - .args:
      - .actual_access:  write_only
        .address_space:  global
        .offset:         0
        .size:           8
        .value_kind:     global_buffer
      - .actual_access:  read_only
        .address_space:  global
        .offset:         8
        .size:           8
        .value_kind:     global_buffer
      - .actual_access:  read_only
        .address_space:  global
        .offset:         16
        .size:           8
        .value_kind:     global_buffer
      - .actual_access:  read_only
        .address_space:  global
        .offset:         24
        .size:           8
        .value_kind:     global_buffer
      - .offset:         32
        .size:           4
        .value_kind:     by_value
      - .offset:         36
        .size:           4
        .value_kind:     by_value
      - .actual_access:  read_only
        .address_space:  global
        .offset:         40
        .size:           8
        .value_kind:     global_buffer
      - .actual_access:  read_only
        .address_space:  global
        .offset:         48
        .size:           8
        .value_kind:     global_buffer
      - .offset:         56
        .size:           4
        .value_kind:     by_value
      - .actual_access:  read_only
        .address_space:  global
        .offset:         64
        .size:           8
        .value_kind:     global_buffer
      - .offset:         72
        .size:           4
        .value_kind:     by_value
      - .offset:         76
        .size:           4
        .value_kind:     by_value
      - .offset:         80
        .size:           4
        .value_kind:     by_value
      - .address_space:  global
        .offset:         88
        .size:           8
        .value_kind:     global_buffer
      - .address_space:  global
        .offset:         96
        .size:           8
        .value_kind:     global_buffer
      - .offset:         104
        .size:           4
        .value_kind:     by_value
      - .offset:         108
        .size:           4
        .value_kind:     by_value
      - .offset:         112
        .size:           4
        .value_kind:     by_value
      - .offset:         116
        .size:           4
        .value_kind:     by_value
      - .offset:         120
        .size:           4
        .value_kind:     by_value
      - .offset:         128
        .size:           4
        .value_kind:     hidden_block_count_x
      - .offset:         132
        .size:           4
        .value_kind:     hidden_block_count_y
      - .offset:         136
        .size:           4
        .value_kind:     hidden_block_count_z
      - .offset:         140
        .size:           2
        .value_kind:     hidden_group_size_x
      - .offset:         142
        .size:           2
        .value_kind:     hidden_group_size_y
      - .offset:         144
        .size:           2
        .value_kind:     hidden_group_size_z
      - .offset:         146
        .size:           2
        .value_kind:     hidden_remainder_x
      - .offset:         148
        .size:           2
        .value_kind:     hidden_remainder_y
      - .offset:         150
        .size:           2
        .value_kind:     hidden_remainder_z
      - .offset:         168
        .size:           8
        .value_kind:     hidden_global_offset_x
      - .offset:         176
        .size:           8
        .value_kind:     hidden_global_offset_y
      - .offset:         184
        .size:           8
        .value_kind:     hidden_global_offset_z
      - .offset:         192
        .size:           2
        .value_kind:     hidden_grid_dims
      - .offset:         248
        .size:           4
        .value_kind:     hidden_dynamic_lds_size
    .group_segment_fixed_size: 288
    .kernarg_segment_align: 8
    .kernarg_segment_size: 384
    .language:       OpenCL C
    .language_version:
      - 2
      - 0
    .max_flat_workgroup_size: 1024
    .name:           _ZN4vllm25paged_attention_v1_kernelIttLi128ELi16ELi128ELNS_18Fp8KVCacheDataTypeE0ELb1EEEvPT_PKS2_PKT0_S8_ifPKiSA_iPKfiiiSC_SC_iiiii
    .private_segment_fixed_size: 0
    .sgpr_count:     44
    .sgpr_spill_count: 0
    .symbol:         _ZN4vllm25paged_attention_v1_kernelIttLi128ELi16ELi128ELNS_18Fp8KVCacheDataTypeE0ELb1EEEvPT_PKS2_PKT0_S8_ifPKiSA_iPKfiiiSC_SC_iiiii.kd
    .uniform_work_group_size: 1
    .uses_dynamic_stack: false
    .vgpr_count:     93
    .vgpr_spill_count: 0
    .wavefront_size: 32
  - .args:
      - .actual_access:  write_only
        .address_space:  global
        .offset:         0
        .size:           8
        .value_kind:     global_buffer
      - .actual_access:  read_only
        .address_space:  global
        .offset:         8
        .size:           8
        .value_kind:     global_buffer
      - .actual_access:  read_only
        .address_space:  global
        .offset:         16
        .size:           8
        .value_kind:     global_buffer
      - .actual_access:  read_only
        .address_space:  global
        .offset:         24
        .size:           8
        .value_kind:     global_buffer
      - .offset:         32
        .size:           4
        .value_kind:     by_value
      - .offset:         36
        .size:           4
        .value_kind:     by_value
      - .actual_access:  read_only
        .address_space:  global
        .offset:         40
        .size:           8
        .value_kind:     global_buffer
      - .actual_access:  read_only
        .address_space:  global
        .offset:         48
        .size:           8
        .value_kind:     global_buffer
      - .offset:         56
        .size:           4
        .value_kind:     by_value
      - .actual_access:  read_only
        .address_space:  global
        .offset:         64
        .size:           8
        .value_kind:     global_buffer
      - .offset:         72
        .size:           4
        .value_kind:     by_value
      - .offset:         76
        .size:           4
        .value_kind:     by_value
      - .offset:         80
        .size:           4
        .value_kind:     by_value
      - .address_space:  global
        .offset:         88
        .size:           8
        .value_kind:     global_buffer
      - .address_space:  global
        .offset:         96
        .size:           8
        .value_kind:     global_buffer
      - .offset:         104
        .size:           4
        .value_kind:     by_value
      - .offset:         108
        .size:           4
        .value_kind:     by_value
      - .offset:         112
        .size:           4
        .value_kind:     by_value
      - .offset:         116
        .size:           4
        .value_kind:     by_value
      - .offset:         120
        .size:           4
        .value_kind:     by_value
      - .offset:         128
        .size:           4
        .value_kind:     hidden_block_count_x
      - .offset:         132
        .size:           4
        .value_kind:     hidden_block_count_y
      - .offset:         136
        .size:           4
        .value_kind:     hidden_block_count_z
      - .offset:         140
        .size:           2
        .value_kind:     hidden_group_size_x
      - .offset:         142
        .size:           2
        .value_kind:     hidden_group_size_y
      - .offset:         144
        .size:           2
        .value_kind:     hidden_group_size_z
      - .offset:         146
        .size:           2
        .value_kind:     hidden_remainder_x
      - .offset:         148
        .size:           2
        .value_kind:     hidden_remainder_y
      - .offset:         150
        .size:           2
        .value_kind:     hidden_remainder_z
      - .offset:         168
        .size:           8
        .value_kind:     hidden_global_offset_x
      - .offset:         176
        .size:           8
        .value_kind:     hidden_global_offset_y
      - .offset:         184
        .size:           8
        .value_kind:     hidden_global_offset_z
      - .offset:         192
        .size:           2
        .value_kind:     hidden_grid_dims
      - .offset:         248
        .size:           4
        .value_kind:     hidden_dynamic_lds_size
    .group_segment_fixed_size: 416
    .kernarg_segment_align: 8
    .kernarg_segment_size: 384
    .language:       OpenCL C
    .language_version:
      - 2
      - 0
    .max_flat_workgroup_size: 1024
    .name:           _ZN4vllm25paged_attention_v1_kernelIttLi192ELi16ELi128ELNS_18Fp8KVCacheDataTypeE0ELb1EEEvPT_PKS2_PKT0_S8_ifPKiSA_iPKfiiiSC_SC_iiiii
    .private_segment_fixed_size: 0
    .sgpr_count:     42
    .sgpr_spill_count: 0
    .symbol:         _ZN4vllm25paged_attention_v1_kernelIttLi192ELi16ELi128ELNS_18Fp8KVCacheDataTypeE0ELb1EEEvPT_PKS2_PKT0_S8_ifPKiSA_iPKfiiiSC_SC_iiiii.kd
    .uniform_work_group_size: 1
    .uses_dynamic_stack: false
    .vgpr_count:     110
    .vgpr_spill_count: 0
    .wavefront_size: 32
  - .args:
      - .actual_access:  write_only
        .address_space:  global
        .offset:         0
        .size:           8
        .value_kind:     global_buffer
      - .actual_access:  read_only
        .address_space:  global
        .offset:         8
        .size:           8
        .value_kind:     global_buffer
      - .actual_access:  read_only
        .address_space:  global
        .offset:         16
        .size:           8
        .value_kind:     global_buffer
      - .actual_access:  read_only
        .address_space:  global
        .offset:         24
        .size:           8
        .value_kind:     global_buffer
      - .offset:         32
        .size:           4
        .value_kind:     by_value
      - .offset:         36
        .size:           4
        .value_kind:     by_value
      - .actual_access:  read_only
        .address_space:  global
        .offset:         40
        .size:           8
        .value_kind:     global_buffer
      - .actual_access:  read_only
        .address_space:  global
        .offset:         48
        .size:           8
        .value_kind:     global_buffer
      - .offset:         56
        .size:           4
        .value_kind:     by_value
      - .actual_access:  read_only
        .address_space:  global
        .offset:         64
        .size:           8
        .value_kind:     global_buffer
      - .offset:         72
        .size:           4
        .value_kind:     by_value
      - .offset:         76
        .size:           4
        .value_kind:     by_value
      - .offset:         80
        .size:           4
        .value_kind:     by_value
      - .address_space:  global
        .offset:         88
        .size:           8
        .value_kind:     global_buffer
      - .address_space:  global
        .offset:         96
        .size:           8
        .value_kind:     global_buffer
      - .offset:         104
        .size:           4
        .value_kind:     by_value
      - .offset:         108
        .size:           4
        .value_kind:     by_value
      - .offset:         112
        .size:           4
        .value_kind:     by_value
      - .offset:         116
        .size:           4
        .value_kind:     by_value
      - .offset:         120
        .size:           4
        .value_kind:     by_value
      - .offset:         128
        .size:           4
        .value_kind:     hidden_block_count_x
      - .offset:         132
        .size:           4
        .value_kind:     hidden_block_count_y
      - .offset:         136
        .size:           4
        .value_kind:     hidden_block_count_z
      - .offset:         140
        .size:           2
        .value_kind:     hidden_group_size_x
      - .offset:         142
        .size:           2
        .value_kind:     hidden_group_size_y
      - .offset:         144
        .size:           2
        .value_kind:     hidden_group_size_z
      - .offset:         146
        .size:           2
        .value_kind:     hidden_remainder_x
      - .offset:         148
        .size:           2
        .value_kind:     hidden_remainder_y
      - .offset:         150
        .size:           2
        .value_kind:     hidden_remainder_z
      - .offset:         168
        .size:           8
        .value_kind:     hidden_global_offset_x
      - .offset:         176
        .size:           8
        .value_kind:     hidden_global_offset_y
      - .offset:         184
        .size:           8
        .value_kind:     hidden_global_offset_z
      - .offset:         192
        .size:           2
        .value_kind:     hidden_grid_dims
      - .offset:         248
        .size:           4
        .value_kind:     hidden_dynamic_lds_size
    .group_segment_fixed_size: 544
    .kernarg_segment_align: 8
    .kernarg_segment_size: 384
    .language:       OpenCL C
    .language_version:
      - 2
      - 0
    .max_flat_workgroup_size: 1024
    .name:           _ZN4vllm25paged_attention_v1_kernelIttLi256ELi16ELi128ELNS_18Fp8KVCacheDataTypeE0ELb1EEEvPT_PKS2_PKT0_S8_ifPKiSA_iPKfiiiSC_SC_iiiii
    .private_segment_fixed_size: 0
    .sgpr_count:     44
    .sgpr_spill_count: 0
    .symbol:         _ZN4vllm25paged_attention_v1_kernelIttLi256ELi16ELi128ELNS_18Fp8KVCacheDataTypeE0ELb1EEEvPT_PKS2_PKT0_S8_ifPKiSA_iPKfiiiSC_SC_iiiii.kd
    .uniform_work_group_size: 1
    .uses_dynamic_stack: false
    .vgpr_count:     128
    .vgpr_spill_count: 0
    .wavefront_size: 32
  - .args:
      - .actual_access:  write_only
        .address_space:  global
        .offset:         0
        .size:           8
        .value_kind:     global_buffer
      - .actual_access:  read_only
        .address_space:  global
        .offset:         8
        .size:           8
        .value_kind:     global_buffer
      - .actual_access:  read_only
        .address_space:  global
        .offset:         16
        .size:           8
        .value_kind:     global_buffer
      - .actual_access:  read_only
        .address_space:  global
        .offset:         24
        .size:           8
        .value_kind:     global_buffer
      - .offset:         32
        .size:           4
        .value_kind:     by_value
      - .offset:         36
        .size:           4
        .value_kind:     by_value
      - .actual_access:  read_only
        .address_space:  global
        .offset:         40
        .size:           8
        .value_kind:     global_buffer
      - .actual_access:  read_only
        .address_space:  global
        .offset:         48
        .size:           8
        .value_kind:     global_buffer
      - .offset:         56
        .size:           4
        .value_kind:     by_value
      - .actual_access:  read_only
        .address_space:  global
        .offset:         64
        .size:           8
        .value_kind:     global_buffer
      - .offset:         72
        .size:           4
        .value_kind:     by_value
      - .offset:         76
        .size:           4
        .value_kind:     by_value
      - .offset:         80
        .size:           4
        .value_kind:     by_value
      - .address_space:  global
        .offset:         88
        .size:           8
        .value_kind:     global_buffer
      - .address_space:  global
        .offset:         96
        .size:           8
        .value_kind:     global_buffer
      - .offset:         104
        .size:           4
        .value_kind:     by_value
      - .offset:         108
        .size:           4
        .value_kind:     by_value
      - .offset:         112
        .size:           4
        .value_kind:     by_value
      - .offset:         116
        .size:           4
        .value_kind:     by_value
      - .offset:         120
        .size:           4
        .value_kind:     by_value
      - .offset:         128
        .size:           4
        .value_kind:     hidden_block_count_x
      - .offset:         132
        .size:           4
        .value_kind:     hidden_block_count_y
      - .offset:         136
        .size:           4
        .value_kind:     hidden_block_count_z
      - .offset:         140
        .size:           2
        .value_kind:     hidden_group_size_x
      - .offset:         142
        .size:           2
        .value_kind:     hidden_group_size_y
      - .offset:         144
        .size:           2
        .value_kind:     hidden_group_size_z
      - .offset:         146
        .size:           2
        .value_kind:     hidden_remainder_x
      - .offset:         148
        .size:           2
        .value_kind:     hidden_remainder_y
      - .offset:         150
        .size:           2
        .value_kind:     hidden_remainder_z
      - .offset:         168
        .size:           8
        .value_kind:     hidden_global_offset_x
      - .offset:         176
        .size:           8
        .value_kind:     hidden_global_offset_y
      - .offset:         184
        .size:           8
        .value_kind:     hidden_global_offset_z
      - .offset:         192
        .size:           2
        .value_kind:     hidden_grid_dims
      - .offset:         248
        .size:           4
        .value_kind:     hidden_dynamic_lds_size
    .group_segment_fixed_size: 96
    .kernarg_segment_align: 8
    .kernarg_segment_size: 384
    .language:       OpenCL C
    .language_version:
      - 2
      - 0
    .max_flat_workgroup_size: 1024
    .name:           _ZN4vllm25paged_attention_v1_kernelIttLi32ELi16ELi128ELNS_18Fp8KVCacheDataTypeE0ELb0EEEvPT_PKS2_PKT0_S8_ifPKiSA_iPKfiiiSC_SC_iiiii
    .private_segment_fixed_size: 0
    .sgpr_count:     32
    .sgpr_spill_count: 0
    .symbol:         _ZN4vllm25paged_attention_v1_kernelIttLi32ELi16ELi128ELNS_18Fp8KVCacheDataTypeE0ELb0EEEvPT_PKS2_PKT0_S8_ifPKiSA_iPKfiiiSC_SC_iiiii.kd
    .uniform_work_group_size: 1
    .uses_dynamic_stack: false
    .vgpr_count:     49
    .vgpr_spill_count: 0
    .wavefront_size: 32
  - .args:
      - .actual_access:  write_only
        .address_space:  global
        .offset:         0
        .size:           8
        .value_kind:     global_buffer
      - .actual_access:  read_only
        .address_space:  global
        .offset:         8
        .size:           8
        .value_kind:     global_buffer
      - .actual_access:  read_only
        .address_space:  global
        .offset:         16
        .size:           8
        .value_kind:     global_buffer
      - .actual_access:  read_only
        .address_space:  global
        .offset:         24
        .size:           8
        .value_kind:     global_buffer
      - .offset:         32
        .size:           4
        .value_kind:     by_value
      - .offset:         36
        .size:           4
        .value_kind:     by_value
      - .actual_access:  read_only
        .address_space:  global
        .offset:         40
        .size:           8
        .value_kind:     global_buffer
      - .actual_access:  read_only
        .address_space:  global
        .offset:         48
        .size:           8
        .value_kind:     global_buffer
      - .offset:         56
        .size:           4
        .value_kind:     by_value
      - .actual_access:  read_only
        .address_space:  global
        .offset:         64
        .size:           8
        .value_kind:     global_buffer
      - .offset:         72
        .size:           4
        .value_kind:     by_value
      - .offset:         76
        .size:           4
        .value_kind:     by_value
      - .offset:         80
        .size:           4
        .value_kind:     by_value
      - .address_space:  global
        .offset:         88
        .size:           8
        .value_kind:     global_buffer
      - .address_space:  global
        .offset:         96
        .size:           8
        .value_kind:     global_buffer
      - .offset:         104
        .size:           4
        .value_kind:     by_value
      - .offset:         108
        .size:           4
        .value_kind:     by_value
      - .offset:         112
        .size:           4
        .value_kind:     by_value
      - .offset:         116
        .size:           4
        .value_kind:     by_value
      - .offset:         120
        .size:           4
        .value_kind:     by_value
      - .offset:         128
        .size:           4
        .value_kind:     hidden_block_count_x
      - .offset:         132
        .size:           4
        .value_kind:     hidden_block_count_y
      - .offset:         136
        .size:           4
        .value_kind:     hidden_block_count_z
      - .offset:         140
        .size:           2
        .value_kind:     hidden_group_size_x
      - .offset:         142
        .size:           2
        .value_kind:     hidden_group_size_y
      - .offset:         144
        .size:           2
        .value_kind:     hidden_group_size_z
      - .offset:         146
        .size:           2
        .value_kind:     hidden_remainder_x
      - .offset:         148
        .size:           2
        .value_kind:     hidden_remainder_y
      - .offset:         150
        .size:           2
        .value_kind:     hidden_remainder_z
      - .offset:         168
        .size:           8
        .value_kind:     hidden_global_offset_x
      - .offset:         176
        .size:           8
        .value_kind:     hidden_global_offset_y
      - .offset:         184
        .size:           8
        .value_kind:     hidden_global_offset_z
      - .offset:         192
        .size:           2
        .value_kind:     hidden_grid_dims
      - .offset:         248
        .size:           4
        .value_kind:     hidden_dynamic_lds_size
    .group_segment_fixed_size: 160
    .kernarg_segment_align: 8
    .kernarg_segment_size: 384
    .language:       OpenCL C
    .language_version:
      - 2
      - 0
    .max_flat_workgroup_size: 1024
    .name:           _ZN4vllm25paged_attention_v1_kernelIttLi64ELi16ELi128ELNS_18Fp8KVCacheDataTypeE0ELb0EEEvPT_PKS2_PKT0_S8_ifPKiSA_iPKfiiiSC_SC_iiiii
    .private_segment_fixed_size: 0
    .sgpr_count:     32
    .sgpr_spill_count: 0
    .symbol:         _ZN4vllm25paged_attention_v1_kernelIttLi64ELi16ELi128ELNS_18Fp8KVCacheDataTypeE0ELb0EEEvPT_PKS2_PKT0_S8_ifPKiSA_iPKfiiiSC_SC_iiiii.kd
    .uniform_work_group_size: 1
    .uses_dynamic_stack: false
    .vgpr_count:     79
    .vgpr_spill_count: 0
    .wavefront_size: 32
  - .args:
      - .actual_access:  write_only
        .address_space:  global
        .offset:         0
        .size:           8
        .value_kind:     global_buffer
      - .actual_access:  read_only
        .address_space:  global
        .offset:         8
        .size:           8
        .value_kind:     global_buffer
      - .actual_access:  read_only
        .address_space:  global
        .offset:         16
        .size:           8
        .value_kind:     global_buffer
      - .actual_access:  read_only
        .address_space:  global
        .offset:         24
        .size:           8
        .value_kind:     global_buffer
      - .offset:         32
        .size:           4
        .value_kind:     by_value
      - .offset:         36
        .size:           4
        .value_kind:     by_value
      - .actual_access:  read_only
        .address_space:  global
        .offset:         40
        .size:           8
        .value_kind:     global_buffer
      - .actual_access:  read_only
        .address_space:  global
        .offset:         48
        .size:           8
        .value_kind:     global_buffer
      - .offset:         56
        .size:           4
        .value_kind:     by_value
      - .actual_access:  read_only
        .address_space:  global
        .offset:         64
        .size:           8
        .value_kind:     global_buffer
      - .offset:         72
        .size:           4
        .value_kind:     by_value
      - .offset:         76
        .size:           4
        .value_kind:     by_value
      - .offset:         80
        .size:           4
        .value_kind:     by_value
      - .address_space:  global
        .offset:         88
        .size:           8
        .value_kind:     global_buffer
      - .address_space:  global
        .offset:         96
        .size:           8
        .value_kind:     global_buffer
      - .offset:         104
        .size:           4
        .value_kind:     by_value
      - .offset:         108
        .size:           4
        .value_kind:     by_value
      - .offset:         112
        .size:           4
        .value_kind:     by_value
      - .offset:         116
        .size:           4
        .value_kind:     by_value
      - .offset:         120
        .size:           4
        .value_kind:     by_value
      - .offset:         128
        .size:           4
        .value_kind:     hidden_block_count_x
      - .offset:         132
        .size:           4
        .value_kind:     hidden_block_count_y
      - .offset:         136
        .size:           4
        .value_kind:     hidden_block_count_z
      - .offset:         140
        .size:           2
        .value_kind:     hidden_group_size_x
      - .offset:         142
        .size:           2
        .value_kind:     hidden_group_size_y
      - .offset:         144
        .size:           2
        .value_kind:     hidden_group_size_z
      - .offset:         146
        .size:           2
        .value_kind:     hidden_remainder_x
      - .offset:         148
        .size:           2
        .value_kind:     hidden_remainder_y
      - .offset:         150
        .size:           2
        .value_kind:     hidden_remainder_z
      - .offset:         168
        .size:           8
        .value_kind:     hidden_global_offset_x
      - .offset:         176
        .size:           8
        .value_kind:     hidden_global_offset_y
      - .offset:         184
        .size:           8
        .value_kind:     hidden_global_offset_z
      - .offset:         192
        .size:           2
        .value_kind:     hidden_grid_dims
      - .offset:         248
        .size:           4
        .value_kind:     hidden_dynamic_lds_size
    .group_segment_fixed_size: 192
    .kernarg_segment_align: 8
    .kernarg_segment_size: 384
    .language:       OpenCL C
    .language_version:
      - 2
      - 0
    .max_flat_workgroup_size: 1024
    .name:           _ZN4vllm25paged_attention_v1_kernelIttLi80ELi16ELi128ELNS_18Fp8KVCacheDataTypeE0ELb0EEEvPT_PKS2_PKT0_S8_ifPKiSA_iPKfiiiSC_SC_iiiii
    .private_segment_fixed_size: 0
    .sgpr_count:     32
    .sgpr_spill_count: 0
    .symbol:         _ZN4vllm25paged_attention_v1_kernelIttLi80ELi16ELi128ELNS_18Fp8KVCacheDataTypeE0ELb0EEEvPT_PKS2_PKT0_S8_ifPKiSA_iPKfiiiSC_SC_iiiii.kd
    .uniform_work_group_size: 1
    .uses_dynamic_stack: false
    .vgpr_count:     88
    .vgpr_spill_count: 0
    .wavefront_size: 32
  - .args:
      - .actual_access:  write_only
        .address_space:  global
        .offset:         0
        .size:           8
        .value_kind:     global_buffer
      - .actual_access:  read_only
        .address_space:  global
        .offset:         8
        .size:           8
        .value_kind:     global_buffer
      - .actual_access:  read_only
        .address_space:  global
        .offset:         16
        .size:           8
        .value_kind:     global_buffer
      - .actual_access:  read_only
        .address_space:  global
        .offset:         24
        .size:           8
        .value_kind:     global_buffer
      - .offset:         32
        .size:           4
        .value_kind:     by_value
      - .offset:         36
        .size:           4
        .value_kind:     by_value
      - .actual_access:  read_only
        .address_space:  global
        .offset:         40
        .size:           8
        .value_kind:     global_buffer
      - .actual_access:  read_only
        .address_space:  global
        .offset:         48
        .size:           8
        .value_kind:     global_buffer
      - .offset:         56
        .size:           4
        .value_kind:     by_value
      - .actual_access:  read_only
        .address_space:  global
        .offset:         64
        .size:           8
        .value_kind:     global_buffer
      - .offset:         72
        .size:           4
        .value_kind:     by_value
      - .offset:         76
        .size:           4
        .value_kind:     by_value
      - .offset:         80
        .size:           4
        .value_kind:     by_value
      - .address_space:  global
        .offset:         88
        .size:           8
        .value_kind:     global_buffer
      - .address_space:  global
        .offset:         96
        .size:           8
        .value_kind:     global_buffer
      - .offset:         104
        .size:           4
        .value_kind:     by_value
      - .offset:         108
        .size:           4
        .value_kind:     by_value
      - .offset:         112
        .size:           4
        .value_kind:     by_value
      - .offset:         116
        .size:           4
        .value_kind:     by_value
      - .offset:         120
        .size:           4
        .value_kind:     by_value
      - .offset:         128
        .size:           4
        .value_kind:     hidden_block_count_x
      - .offset:         132
        .size:           4
        .value_kind:     hidden_block_count_y
      - .offset:         136
        .size:           4
        .value_kind:     hidden_block_count_z
      - .offset:         140
        .size:           2
        .value_kind:     hidden_group_size_x
      - .offset:         142
        .size:           2
        .value_kind:     hidden_group_size_y
      - .offset:         144
        .size:           2
        .value_kind:     hidden_group_size_z
      - .offset:         146
        .size:           2
        .value_kind:     hidden_remainder_x
      - .offset:         148
        .size:           2
        .value_kind:     hidden_remainder_y
      - .offset:         150
        .size:           2
        .value_kind:     hidden_remainder_z
      - .offset:         168
        .size:           8
        .value_kind:     hidden_global_offset_x
      - .offset:         176
        .size:           8
        .value_kind:     hidden_global_offset_y
      - .offset:         184
        .size:           8
        .value_kind:     hidden_global_offset_z
      - .offset:         192
        .size:           2
        .value_kind:     hidden_grid_dims
      - .offset:         248
        .size:           4
        .value_kind:     hidden_dynamic_lds_size
    .group_segment_fixed_size: 224
    .kernarg_segment_align: 8
    .kernarg_segment_size: 384
    .language:       OpenCL C
    .language_version:
      - 2
      - 0
    .max_flat_workgroup_size: 1024
    .name:           _ZN4vllm25paged_attention_v1_kernelIttLi96ELi16ELi128ELNS_18Fp8KVCacheDataTypeE0ELb0EEEvPT_PKS2_PKT0_S8_ifPKiSA_iPKfiiiSC_SC_iiiii
    .private_segment_fixed_size: 0
    .sgpr_count:     32
    .sgpr_spill_count: 0
    .symbol:         _ZN4vllm25paged_attention_v1_kernelIttLi96ELi16ELi128ELNS_18Fp8KVCacheDataTypeE0ELb0EEEvPT_PKS2_PKT0_S8_ifPKiSA_iPKfiiiSC_SC_iiiii.kd
    .uniform_work_group_size: 1
    .uses_dynamic_stack: false
    .vgpr_count:     90
    .vgpr_spill_count: 0
    .wavefront_size: 32
  - .args:
      - .actual_access:  write_only
        .address_space:  global
        .offset:         0
        .size:           8
        .value_kind:     global_buffer
      - .actual_access:  read_only
        .address_space:  global
        .offset:         8
        .size:           8
        .value_kind:     global_buffer
      - .actual_access:  read_only
        .address_space:  global
        .offset:         16
        .size:           8
        .value_kind:     global_buffer
      - .actual_access:  read_only
        .address_space:  global
        .offset:         24
        .size:           8
        .value_kind:     global_buffer
      - .offset:         32
        .size:           4
        .value_kind:     by_value
      - .offset:         36
        .size:           4
        .value_kind:     by_value
      - .actual_access:  read_only
        .address_space:  global
        .offset:         40
        .size:           8
        .value_kind:     global_buffer
      - .actual_access:  read_only
        .address_space:  global
        .offset:         48
        .size:           8
        .value_kind:     global_buffer
      - .offset:         56
        .size:           4
        .value_kind:     by_value
      - .actual_access:  read_only
        .address_space:  global
        .offset:         64
        .size:           8
        .value_kind:     global_buffer
      - .offset:         72
        .size:           4
        .value_kind:     by_value
      - .offset:         76
        .size:           4
        .value_kind:     by_value
      - .offset:         80
        .size:           4
        .value_kind:     by_value
      - .address_space:  global
        .offset:         88
        .size:           8
        .value_kind:     global_buffer
      - .address_space:  global
        .offset:         96
        .size:           8
        .value_kind:     global_buffer
      - .offset:         104
        .size:           4
        .value_kind:     by_value
      - .offset:         108
        .size:           4
        .value_kind:     by_value
      - .offset:         112
        .size:           4
        .value_kind:     by_value
      - .offset:         116
        .size:           4
        .value_kind:     by_value
      - .offset:         120
        .size:           4
        .value_kind:     by_value
      - .offset:         128
        .size:           4
        .value_kind:     hidden_block_count_x
      - .offset:         132
        .size:           4
        .value_kind:     hidden_block_count_y
      - .offset:         136
        .size:           4
        .value_kind:     hidden_block_count_z
      - .offset:         140
        .size:           2
        .value_kind:     hidden_group_size_x
      - .offset:         142
        .size:           2
        .value_kind:     hidden_group_size_y
      - .offset:         144
        .size:           2
        .value_kind:     hidden_group_size_z
      - .offset:         146
        .size:           2
        .value_kind:     hidden_remainder_x
      - .offset:         148
        .size:           2
        .value_kind:     hidden_remainder_y
      - .offset:         150
        .size:           2
        .value_kind:     hidden_remainder_z
      - .offset:         168
        .size:           8
        .value_kind:     hidden_global_offset_x
      - .offset:         176
        .size:           8
        .value_kind:     hidden_global_offset_y
      - .offset:         184
        .size:           8
        .value_kind:     hidden_global_offset_z
      - .offset:         192
        .size:           2
        .value_kind:     hidden_grid_dims
      - .offset:         248
        .size:           4
        .value_kind:     hidden_dynamic_lds_size
    .group_segment_fixed_size: 256
    .kernarg_segment_align: 8
    .kernarg_segment_size: 384
    .language:       OpenCL C
    .language_version:
      - 2
      - 0
    .max_flat_workgroup_size: 1024
    .name:           _ZN4vllm25paged_attention_v1_kernelIttLi112ELi16ELi128ELNS_18Fp8KVCacheDataTypeE0ELb0EEEvPT_PKS2_PKT0_S8_ifPKiSA_iPKfiiiSC_SC_iiiii
    .private_segment_fixed_size: 0
    .sgpr_count:     32
    .sgpr_spill_count: 0
    .symbol:         _ZN4vllm25paged_attention_v1_kernelIttLi112ELi16ELi128ELNS_18Fp8KVCacheDataTypeE0ELb0EEEvPT_PKS2_PKT0_S8_ifPKiSA_iPKfiiiSC_SC_iiiii.kd
    .uniform_work_group_size: 1
    .uses_dynamic_stack: false
    .vgpr_count:     91
    .vgpr_spill_count: 0
    .wavefront_size: 32
  - .args:
      - .actual_access:  write_only
        .address_space:  global
        .offset:         0
        .size:           8
        .value_kind:     global_buffer
      - .actual_access:  read_only
        .address_space:  global
        .offset:         8
        .size:           8
        .value_kind:     global_buffer
      - .actual_access:  read_only
        .address_space:  global
        .offset:         16
        .size:           8
        .value_kind:     global_buffer
      - .actual_access:  read_only
        .address_space:  global
        .offset:         24
        .size:           8
        .value_kind:     global_buffer
      - .offset:         32
        .size:           4
        .value_kind:     by_value
      - .offset:         36
        .size:           4
        .value_kind:     by_value
      - .actual_access:  read_only
        .address_space:  global
        .offset:         40
        .size:           8
        .value_kind:     global_buffer
      - .actual_access:  read_only
        .address_space:  global
        .offset:         48
        .size:           8
        .value_kind:     global_buffer
      - .offset:         56
        .size:           4
        .value_kind:     by_value
      - .actual_access:  read_only
        .address_space:  global
        .offset:         64
        .size:           8
        .value_kind:     global_buffer
      - .offset:         72
        .size:           4
        .value_kind:     by_value
      - .offset:         76
        .size:           4
        .value_kind:     by_value
      - .offset:         80
        .size:           4
        .value_kind:     by_value
      - .address_space:  global
        .offset:         88
        .size:           8
        .value_kind:     global_buffer
      - .address_space:  global
        .offset:         96
        .size:           8
        .value_kind:     global_buffer
      - .offset:         104
        .size:           4
        .value_kind:     by_value
      - .offset:         108
        .size:           4
        .value_kind:     by_value
      - .offset:         112
        .size:           4
        .value_kind:     by_value
      - .offset:         116
        .size:           4
        .value_kind:     by_value
      - .offset:         120
        .size:           4
        .value_kind:     by_value
      - .offset:         128
        .size:           4
        .value_kind:     hidden_block_count_x
      - .offset:         132
        .size:           4
        .value_kind:     hidden_block_count_y
      - .offset:         136
        .size:           4
        .value_kind:     hidden_block_count_z
      - .offset:         140
        .size:           2
        .value_kind:     hidden_group_size_x
      - .offset:         142
        .size:           2
        .value_kind:     hidden_group_size_y
      - .offset:         144
        .size:           2
        .value_kind:     hidden_group_size_z
      - .offset:         146
        .size:           2
        .value_kind:     hidden_remainder_x
      - .offset:         148
        .size:           2
        .value_kind:     hidden_remainder_y
      - .offset:         150
        .size:           2
        .value_kind:     hidden_remainder_z
      - .offset:         168
        .size:           8
        .value_kind:     hidden_global_offset_x
      - .offset:         176
        .size:           8
        .value_kind:     hidden_global_offset_y
      - .offset:         184
        .size:           8
        .value_kind:     hidden_global_offset_z
      - .offset:         192
        .size:           2
        .value_kind:     hidden_grid_dims
      - .offset:         248
        .size:           4
        .value_kind:     hidden_dynamic_lds_size
    .group_segment_fixed_size: 272
    .kernarg_segment_align: 8
    .kernarg_segment_size: 384
    .language:       OpenCL C
    .language_version:
      - 2
      - 0
    .max_flat_workgroup_size: 1024
    .name:           _ZN4vllm25paged_attention_v1_kernelIttLi120ELi16ELi128ELNS_18Fp8KVCacheDataTypeE0ELb0EEEvPT_PKS2_PKT0_S8_ifPKiSA_iPKfiiiSC_SC_iiiii
    .private_segment_fixed_size: 0
    .sgpr_count:     32
    .sgpr_spill_count: 0
    .symbol:         _ZN4vllm25paged_attention_v1_kernelIttLi120ELi16ELi128ELNS_18Fp8KVCacheDataTypeE0ELb0EEEvPT_PKS2_PKT0_S8_ifPKiSA_iPKfiiiSC_SC_iiiii.kd
    .uniform_work_group_size: 1
    .uses_dynamic_stack: false
    .vgpr_count:     90
    .vgpr_spill_count: 0
    .wavefront_size: 32
  - .args:
      - .actual_access:  write_only
        .address_space:  global
        .offset:         0
        .size:           8
        .value_kind:     global_buffer
      - .actual_access:  read_only
        .address_space:  global
        .offset:         8
        .size:           8
        .value_kind:     global_buffer
      - .actual_access:  read_only
        .address_space:  global
        .offset:         16
        .size:           8
        .value_kind:     global_buffer
      - .actual_access:  read_only
        .address_space:  global
        .offset:         24
        .size:           8
        .value_kind:     global_buffer
      - .offset:         32
        .size:           4
        .value_kind:     by_value
      - .offset:         36
        .size:           4
        .value_kind:     by_value
      - .actual_access:  read_only
        .address_space:  global
        .offset:         40
        .size:           8
        .value_kind:     global_buffer
      - .actual_access:  read_only
        .address_space:  global
        .offset:         48
        .size:           8
        .value_kind:     global_buffer
      - .offset:         56
        .size:           4
        .value_kind:     by_value
      - .actual_access:  read_only
        .address_space:  global
        .offset:         64
        .size:           8
        .value_kind:     global_buffer
      - .offset:         72
        .size:           4
        .value_kind:     by_value
      - .offset:         76
        .size:           4
        .value_kind:     by_value
      - .offset:         80
        .size:           4
        .value_kind:     by_value
      - .address_space:  global
        .offset:         88
        .size:           8
        .value_kind:     global_buffer
      - .address_space:  global
        .offset:         96
        .size:           8
        .value_kind:     global_buffer
      - .offset:         104
        .size:           4
        .value_kind:     by_value
      - .offset:         108
        .size:           4
        .value_kind:     by_value
      - .offset:         112
        .size:           4
        .value_kind:     by_value
      - .offset:         116
        .size:           4
        .value_kind:     by_value
      - .offset:         120
        .size:           4
        .value_kind:     by_value
      - .offset:         128
        .size:           4
        .value_kind:     hidden_block_count_x
      - .offset:         132
        .size:           4
        .value_kind:     hidden_block_count_y
      - .offset:         136
        .size:           4
        .value_kind:     hidden_block_count_z
      - .offset:         140
        .size:           2
        .value_kind:     hidden_group_size_x
      - .offset:         142
        .size:           2
        .value_kind:     hidden_group_size_y
      - .offset:         144
        .size:           2
        .value_kind:     hidden_group_size_z
      - .offset:         146
        .size:           2
        .value_kind:     hidden_remainder_x
      - .offset:         148
        .size:           2
        .value_kind:     hidden_remainder_y
      - .offset:         150
        .size:           2
        .value_kind:     hidden_remainder_z
      - .offset:         168
        .size:           8
        .value_kind:     hidden_global_offset_x
      - .offset:         176
        .size:           8
        .value_kind:     hidden_global_offset_y
      - .offset:         184
        .size:           8
        .value_kind:     hidden_global_offset_z
      - .offset:         192
        .size:           2
        .value_kind:     hidden_grid_dims
      - .offset:         248
        .size:           4
        .value_kind:     hidden_dynamic_lds_size
    .group_segment_fixed_size: 288
    .kernarg_segment_align: 8
    .kernarg_segment_size: 384
    .language:       OpenCL C
    .language_version:
      - 2
      - 0
    .max_flat_workgroup_size: 1024
    .name:           _ZN4vllm25paged_attention_v1_kernelIttLi128ELi16ELi128ELNS_18Fp8KVCacheDataTypeE0ELb0EEEvPT_PKS2_PKT0_S8_ifPKiSA_iPKfiiiSC_SC_iiiii
    .private_segment_fixed_size: 0
    .sgpr_count:     30
    .sgpr_spill_count: 0
    .symbol:         _ZN4vllm25paged_attention_v1_kernelIttLi128ELi16ELi128ELNS_18Fp8KVCacheDataTypeE0ELb0EEEvPT_PKS2_PKT0_S8_ifPKiSA_iPKfiiiSC_SC_iiiii.kd
    .uniform_work_group_size: 1
    .uses_dynamic_stack: false
    .vgpr_count:     90
    .vgpr_spill_count: 0
    .wavefront_size: 32
  - .args:
      - .actual_access:  write_only
        .address_space:  global
        .offset:         0
        .size:           8
        .value_kind:     global_buffer
      - .actual_access:  read_only
        .address_space:  global
        .offset:         8
        .size:           8
        .value_kind:     global_buffer
      - .actual_access:  read_only
        .address_space:  global
        .offset:         16
        .size:           8
        .value_kind:     global_buffer
      - .actual_access:  read_only
        .address_space:  global
        .offset:         24
        .size:           8
        .value_kind:     global_buffer
      - .offset:         32
        .size:           4
        .value_kind:     by_value
      - .offset:         36
        .size:           4
        .value_kind:     by_value
      - .actual_access:  read_only
        .address_space:  global
        .offset:         40
        .size:           8
        .value_kind:     global_buffer
      - .actual_access:  read_only
        .address_space:  global
        .offset:         48
        .size:           8
        .value_kind:     global_buffer
      - .offset:         56
        .size:           4
        .value_kind:     by_value
      - .actual_access:  read_only
        .address_space:  global
        .offset:         64
        .size:           8
        .value_kind:     global_buffer
      - .offset:         72
        .size:           4
        .value_kind:     by_value
      - .offset:         76
        .size:           4
        .value_kind:     by_value
      - .offset:         80
        .size:           4
        .value_kind:     by_value
      - .address_space:  global
        .offset:         88
        .size:           8
        .value_kind:     global_buffer
      - .address_space:  global
        .offset:         96
        .size:           8
        .value_kind:     global_buffer
      - .offset:         104
        .size:           4
        .value_kind:     by_value
      - .offset:         108
        .size:           4
        .value_kind:     by_value
      - .offset:         112
        .size:           4
        .value_kind:     by_value
      - .offset:         116
        .size:           4
        .value_kind:     by_value
      - .offset:         120
        .size:           4
        .value_kind:     by_value
      - .offset:         128
        .size:           4
        .value_kind:     hidden_block_count_x
      - .offset:         132
        .size:           4
        .value_kind:     hidden_block_count_y
      - .offset:         136
        .size:           4
        .value_kind:     hidden_block_count_z
      - .offset:         140
        .size:           2
        .value_kind:     hidden_group_size_x
      - .offset:         142
        .size:           2
        .value_kind:     hidden_group_size_y
      - .offset:         144
        .size:           2
        .value_kind:     hidden_group_size_z
      - .offset:         146
        .size:           2
        .value_kind:     hidden_remainder_x
      - .offset:         148
        .size:           2
        .value_kind:     hidden_remainder_y
      - .offset:         150
        .size:           2
        .value_kind:     hidden_remainder_z
      - .offset:         168
        .size:           8
        .value_kind:     hidden_global_offset_x
      - .offset:         176
        .size:           8
        .value_kind:     hidden_global_offset_y
      - .offset:         184
        .size:           8
        .value_kind:     hidden_global_offset_z
      - .offset:         192
        .size:           2
        .value_kind:     hidden_grid_dims
      - .offset:         248
        .size:           4
        .value_kind:     hidden_dynamic_lds_size
    .group_segment_fixed_size: 416
    .kernarg_segment_align: 8
    .kernarg_segment_size: 384
    .language:       OpenCL C
    .language_version:
      - 2
      - 0
    .max_flat_workgroup_size: 1024
    .name:           _ZN4vllm25paged_attention_v1_kernelIttLi192ELi16ELi128ELNS_18Fp8KVCacheDataTypeE0ELb0EEEvPT_PKS2_PKT0_S8_ifPKiSA_iPKfiiiSC_SC_iiiii
    .private_segment_fixed_size: 0
    .sgpr_count:     32
    .sgpr_spill_count: 0
    .symbol:         _ZN4vllm25paged_attention_v1_kernelIttLi192ELi16ELi128ELNS_18Fp8KVCacheDataTypeE0ELb0EEEvPT_PKS2_PKT0_S8_ifPKiSA_iPKfiiiSC_SC_iiiii.kd
    .uniform_work_group_size: 1
    .uses_dynamic_stack: false
    .vgpr_count:     94
    .vgpr_spill_count: 0
    .wavefront_size: 32
  - .args:
      - .actual_access:  write_only
        .address_space:  global
        .offset:         0
        .size:           8
        .value_kind:     global_buffer
      - .actual_access:  read_only
        .address_space:  global
        .offset:         8
        .size:           8
        .value_kind:     global_buffer
      - .actual_access:  read_only
        .address_space:  global
        .offset:         16
        .size:           8
        .value_kind:     global_buffer
      - .actual_access:  read_only
        .address_space:  global
        .offset:         24
        .size:           8
        .value_kind:     global_buffer
      - .offset:         32
        .size:           4
        .value_kind:     by_value
      - .offset:         36
        .size:           4
        .value_kind:     by_value
      - .actual_access:  read_only
        .address_space:  global
        .offset:         40
        .size:           8
        .value_kind:     global_buffer
      - .actual_access:  read_only
        .address_space:  global
        .offset:         48
        .size:           8
        .value_kind:     global_buffer
      - .offset:         56
        .size:           4
        .value_kind:     by_value
      - .actual_access:  read_only
        .address_space:  global
        .offset:         64
        .size:           8
        .value_kind:     global_buffer
      - .offset:         72
        .size:           4
        .value_kind:     by_value
      - .offset:         76
        .size:           4
        .value_kind:     by_value
      - .offset:         80
        .size:           4
        .value_kind:     by_value
      - .address_space:  global
        .offset:         88
        .size:           8
        .value_kind:     global_buffer
      - .address_space:  global
        .offset:         96
        .size:           8
        .value_kind:     global_buffer
      - .offset:         104
        .size:           4
        .value_kind:     by_value
      - .offset:         108
        .size:           4
        .value_kind:     by_value
      - .offset:         112
        .size:           4
        .value_kind:     by_value
      - .offset:         116
        .size:           4
        .value_kind:     by_value
      - .offset:         120
        .size:           4
        .value_kind:     by_value
      - .offset:         128
        .size:           4
        .value_kind:     hidden_block_count_x
      - .offset:         132
        .size:           4
        .value_kind:     hidden_block_count_y
      - .offset:         136
        .size:           4
        .value_kind:     hidden_block_count_z
      - .offset:         140
        .size:           2
        .value_kind:     hidden_group_size_x
      - .offset:         142
        .size:           2
        .value_kind:     hidden_group_size_y
      - .offset:         144
        .size:           2
        .value_kind:     hidden_group_size_z
      - .offset:         146
        .size:           2
        .value_kind:     hidden_remainder_x
      - .offset:         148
        .size:           2
        .value_kind:     hidden_remainder_y
      - .offset:         150
        .size:           2
        .value_kind:     hidden_remainder_z
      - .offset:         168
        .size:           8
        .value_kind:     hidden_global_offset_x
      - .offset:         176
        .size:           8
        .value_kind:     hidden_global_offset_y
      - .offset:         184
        .size:           8
        .value_kind:     hidden_global_offset_z
      - .offset:         192
        .size:           2
        .value_kind:     hidden_grid_dims
      - .offset:         248
        .size:           4
        .value_kind:     hidden_dynamic_lds_size
    .group_segment_fixed_size: 544
    .kernarg_segment_align: 8
    .kernarg_segment_size: 384
    .language:       OpenCL C
    .language_version:
      - 2
      - 0
    .max_flat_workgroup_size: 1024
    .name:           _ZN4vllm25paged_attention_v1_kernelIttLi256ELi16ELi128ELNS_18Fp8KVCacheDataTypeE0ELb0EEEvPT_PKS2_PKT0_S8_ifPKiSA_iPKfiiiSC_SC_iiiii
    .private_segment_fixed_size: 0
    .sgpr_count:     30
    .sgpr_spill_count: 0
    .symbol:         _ZN4vllm25paged_attention_v1_kernelIttLi256ELi16ELi128ELNS_18Fp8KVCacheDataTypeE0ELb0EEEvPT_PKS2_PKT0_S8_ifPKiSA_iPKfiiiSC_SC_iiiii.kd
    .uniform_work_group_size: 1
    .uses_dynamic_stack: false
    .vgpr_count:     111
    .vgpr_spill_count: 0
    .wavefront_size: 32
  - .args:
      - .actual_access:  write_only
        .address_space:  global
        .offset:         0
        .size:           8
        .value_kind:     global_buffer
      - .actual_access:  read_only
        .address_space:  global
        .offset:         8
        .size:           8
        .value_kind:     global_buffer
      - .actual_access:  read_only
        .address_space:  global
        .offset:         16
        .size:           8
        .value_kind:     global_buffer
      - .actual_access:  read_only
        .address_space:  global
        .offset:         24
        .size:           8
        .value_kind:     global_buffer
      - .offset:         32
        .size:           4
        .value_kind:     by_value
      - .offset:         36
        .size:           4
        .value_kind:     by_value
      - .actual_access:  read_only
        .address_space:  global
        .offset:         40
        .size:           8
        .value_kind:     global_buffer
      - .actual_access:  read_only
        .address_space:  global
        .offset:         48
        .size:           8
        .value_kind:     global_buffer
      - .offset:         56
        .size:           4
        .value_kind:     by_value
      - .actual_access:  read_only
        .address_space:  global
        .offset:         64
        .size:           8
        .value_kind:     global_buffer
      - .offset:         72
        .size:           4
        .value_kind:     by_value
      - .offset:         76
        .size:           4
        .value_kind:     by_value
      - .offset:         80
        .size:           4
        .value_kind:     by_value
      - .address_space:  global
        .offset:         88
        .size:           8
        .value_kind:     global_buffer
      - .address_space:  global
        .offset:         96
        .size:           8
        .value_kind:     global_buffer
      - .offset:         104
        .size:           4
        .value_kind:     by_value
      - .offset:         108
        .size:           4
        .value_kind:     by_value
      - .offset:         112
        .size:           4
        .value_kind:     by_value
      - .offset:         116
        .size:           4
        .value_kind:     by_value
      - .offset:         120
        .size:           4
        .value_kind:     by_value
      - .offset:         128
        .size:           4
        .value_kind:     hidden_block_count_x
      - .offset:         132
        .size:           4
        .value_kind:     hidden_block_count_y
      - .offset:         136
        .size:           4
        .value_kind:     hidden_block_count_z
      - .offset:         140
        .size:           2
        .value_kind:     hidden_group_size_x
      - .offset:         142
        .size:           2
        .value_kind:     hidden_group_size_y
      - .offset:         144
        .size:           2
        .value_kind:     hidden_group_size_z
      - .offset:         146
        .size:           2
        .value_kind:     hidden_remainder_x
      - .offset:         148
        .size:           2
        .value_kind:     hidden_remainder_y
      - .offset:         150
        .size:           2
        .value_kind:     hidden_remainder_z
      - .offset:         168
        .size:           8
        .value_kind:     hidden_global_offset_x
      - .offset:         176
        .size:           8
        .value_kind:     hidden_global_offset_y
      - .offset:         184
        .size:           8
        .value_kind:     hidden_global_offset_z
      - .offset:         192
        .size:           2
        .value_kind:     hidden_grid_dims
      - .offset:         248
        .size:           4
        .value_kind:     hidden_dynamic_lds_size
    .group_segment_fixed_size: 96
    .kernarg_segment_align: 8
    .kernarg_segment_size: 384
    .language:       OpenCL C
    .language_version:
      - 2
      - 0
    .max_flat_workgroup_size: 1024
    .name:           _ZN4vllm25paged_attention_v1_kernelIttLi32ELi32ELi128ELNS_18Fp8KVCacheDataTypeE0ELb1EEEvPT_PKS2_PKT0_S8_ifPKiSA_iPKfiiiSC_SC_iiiii
    .private_segment_fixed_size: 0
    .sgpr_count:     40
    .sgpr_spill_count: 0
    .symbol:         _ZN4vllm25paged_attention_v1_kernelIttLi32ELi32ELi128ELNS_18Fp8KVCacheDataTypeE0ELb1EEEvPT_PKS2_PKT0_S8_ifPKiSA_iPKfiiiSC_SC_iiiii.kd
    .uniform_work_group_size: 1
    .uses_dynamic_stack: false
    .vgpr_count:     71
    .vgpr_spill_count: 0
    .wavefront_size: 32
  - .args:
      - .actual_access:  write_only
        .address_space:  global
        .offset:         0
        .size:           8
        .value_kind:     global_buffer
      - .actual_access:  read_only
        .address_space:  global
        .offset:         8
        .size:           8
        .value_kind:     global_buffer
      - .actual_access:  read_only
        .address_space:  global
        .offset:         16
        .size:           8
        .value_kind:     global_buffer
      - .actual_access:  read_only
        .address_space:  global
        .offset:         24
        .size:           8
        .value_kind:     global_buffer
      - .offset:         32
        .size:           4
        .value_kind:     by_value
      - .offset:         36
        .size:           4
        .value_kind:     by_value
      - .actual_access:  read_only
        .address_space:  global
        .offset:         40
        .size:           8
        .value_kind:     global_buffer
      - .actual_access:  read_only
        .address_space:  global
        .offset:         48
        .size:           8
        .value_kind:     global_buffer
      - .offset:         56
        .size:           4
        .value_kind:     by_value
      - .actual_access:  read_only
        .address_space:  global
        .offset:         64
        .size:           8
        .value_kind:     global_buffer
      - .offset:         72
        .size:           4
        .value_kind:     by_value
      - .offset:         76
        .size:           4
        .value_kind:     by_value
      - .offset:         80
        .size:           4
        .value_kind:     by_value
      - .address_space:  global
        .offset:         88
        .size:           8
        .value_kind:     global_buffer
      - .address_space:  global
        .offset:         96
        .size:           8
        .value_kind:     global_buffer
      - .offset:         104
        .size:           4
        .value_kind:     by_value
      - .offset:         108
        .size:           4
        .value_kind:     by_value
      - .offset:         112
        .size:           4
        .value_kind:     by_value
      - .offset:         116
        .size:           4
        .value_kind:     by_value
      - .offset:         120
        .size:           4
        .value_kind:     by_value
      - .offset:         128
        .size:           4
        .value_kind:     hidden_block_count_x
      - .offset:         132
        .size:           4
        .value_kind:     hidden_block_count_y
      - .offset:         136
        .size:           4
        .value_kind:     hidden_block_count_z
      - .offset:         140
        .size:           2
        .value_kind:     hidden_group_size_x
      - .offset:         142
        .size:           2
        .value_kind:     hidden_group_size_y
      - .offset:         144
        .size:           2
        .value_kind:     hidden_group_size_z
      - .offset:         146
        .size:           2
        .value_kind:     hidden_remainder_x
      - .offset:         148
        .size:           2
        .value_kind:     hidden_remainder_y
      - .offset:         150
        .size:           2
        .value_kind:     hidden_remainder_z
      - .offset:         168
        .size:           8
        .value_kind:     hidden_global_offset_x
      - .offset:         176
        .size:           8
        .value_kind:     hidden_global_offset_y
      - .offset:         184
        .size:           8
        .value_kind:     hidden_global_offset_z
      - .offset:         192
        .size:           2
        .value_kind:     hidden_grid_dims
      - .offset:         248
        .size:           4
        .value_kind:     hidden_dynamic_lds_size
    .group_segment_fixed_size: 160
    .kernarg_segment_align: 8
    .kernarg_segment_size: 384
    .language:       OpenCL C
    .language_version:
      - 2
      - 0
    .max_flat_workgroup_size: 1024
    .name:           _ZN4vllm25paged_attention_v1_kernelIttLi64ELi32ELi128ELNS_18Fp8KVCacheDataTypeE0ELb1EEEvPT_PKS2_PKT0_S8_ifPKiSA_iPKfiiiSC_SC_iiiii
    .private_segment_fixed_size: 0
    .sgpr_count:     40
    .sgpr_spill_count: 0
    .symbol:         _ZN4vllm25paged_attention_v1_kernelIttLi64ELi32ELi128ELNS_18Fp8KVCacheDataTypeE0ELb1EEEvPT_PKS2_PKT0_S8_ifPKiSA_iPKfiiiSC_SC_iiiii.kd
    .uniform_work_group_size: 1
    .uses_dynamic_stack: false
    .vgpr_count:     106
    .vgpr_spill_count: 0
    .wavefront_size: 32
  - .args:
      - .actual_access:  write_only
        .address_space:  global
        .offset:         0
        .size:           8
        .value_kind:     global_buffer
      - .actual_access:  read_only
        .address_space:  global
        .offset:         8
        .size:           8
        .value_kind:     global_buffer
      - .actual_access:  read_only
        .address_space:  global
        .offset:         16
        .size:           8
        .value_kind:     global_buffer
      - .actual_access:  read_only
        .address_space:  global
        .offset:         24
        .size:           8
        .value_kind:     global_buffer
      - .offset:         32
        .size:           4
        .value_kind:     by_value
      - .offset:         36
        .size:           4
        .value_kind:     by_value
      - .actual_access:  read_only
        .address_space:  global
        .offset:         40
        .size:           8
        .value_kind:     global_buffer
      - .actual_access:  read_only
        .address_space:  global
        .offset:         48
        .size:           8
        .value_kind:     global_buffer
      - .offset:         56
        .size:           4
        .value_kind:     by_value
      - .actual_access:  read_only
        .address_space:  global
        .offset:         64
        .size:           8
        .value_kind:     global_buffer
      - .offset:         72
        .size:           4
        .value_kind:     by_value
      - .offset:         76
        .size:           4
        .value_kind:     by_value
      - .offset:         80
        .size:           4
        .value_kind:     by_value
      - .address_space:  global
        .offset:         88
        .size:           8
        .value_kind:     global_buffer
      - .address_space:  global
        .offset:         96
        .size:           8
        .value_kind:     global_buffer
      - .offset:         104
        .size:           4
        .value_kind:     by_value
      - .offset:         108
        .size:           4
        .value_kind:     by_value
      - .offset:         112
        .size:           4
        .value_kind:     by_value
      - .offset:         116
        .size:           4
        .value_kind:     by_value
      - .offset:         120
        .size:           4
        .value_kind:     by_value
      - .offset:         128
        .size:           4
        .value_kind:     hidden_block_count_x
      - .offset:         132
        .size:           4
        .value_kind:     hidden_block_count_y
      - .offset:         136
        .size:           4
        .value_kind:     hidden_block_count_z
      - .offset:         140
        .size:           2
        .value_kind:     hidden_group_size_x
      - .offset:         142
        .size:           2
        .value_kind:     hidden_group_size_y
      - .offset:         144
        .size:           2
        .value_kind:     hidden_group_size_z
      - .offset:         146
        .size:           2
        .value_kind:     hidden_remainder_x
      - .offset:         148
        .size:           2
        .value_kind:     hidden_remainder_y
      - .offset:         150
        .size:           2
        .value_kind:     hidden_remainder_z
      - .offset:         168
        .size:           8
        .value_kind:     hidden_global_offset_x
      - .offset:         176
        .size:           8
        .value_kind:     hidden_global_offset_y
      - .offset:         184
        .size:           8
        .value_kind:     hidden_global_offset_z
      - .offset:         192
        .size:           2
        .value_kind:     hidden_grid_dims
      - .offset:         248
        .size:           4
        .value_kind:     hidden_dynamic_lds_size
    .group_segment_fixed_size: 192
    .kernarg_segment_align: 8
    .kernarg_segment_size: 384
    .language:       OpenCL C
    .language_version:
      - 2
      - 0
    .max_flat_workgroup_size: 1024
    .name:           _ZN4vllm25paged_attention_v1_kernelIttLi80ELi32ELi128ELNS_18Fp8KVCacheDataTypeE0ELb1EEEvPT_PKS2_PKT0_S8_ifPKiSA_iPKfiiiSC_SC_iiiii
    .private_segment_fixed_size: 0
    .sgpr_count:     40
    .sgpr_spill_count: 0
    .symbol:         _ZN4vllm25paged_attention_v1_kernelIttLi80ELi32ELi128ELNS_18Fp8KVCacheDataTypeE0ELb1EEEvPT_PKS2_PKT0_S8_ifPKiSA_iPKfiiiSC_SC_iiiii.kd
    .uniform_work_group_size: 1
    .uses_dynamic_stack: false
    .vgpr_count:     95
    .vgpr_spill_count: 0
    .wavefront_size: 32
  - .args:
      - .actual_access:  write_only
        .address_space:  global
        .offset:         0
        .size:           8
        .value_kind:     global_buffer
      - .actual_access:  read_only
        .address_space:  global
        .offset:         8
        .size:           8
        .value_kind:     global_buffer
      - .actual_access:  read_only
        .address_space:  global
        .offset:         16
        .size:           8
        .value_kind:     global_buffer
      - .actual_access:  read_only
        .address_space:  global
        .offset:         24
        .size:           8
        .value_kind:     global_buffer
      - .offset:         32
        .size:           4
        .value_kind:     by_value
      - .offset:         36
        .size:           4
        .value_kind:     by_value
      - .actual_access:  read_only
        .address_space:  global
        .offset:         40
        .size:           8
        .value_kind:     global_buffer
      - .actual_access:  read_only
        .address_space:  global
        .offset:         48
        .size:           8
        .value_kind:     global_buffer
      - .offset:         56
        .size:           4
        .value_kind:     by_value
      - .actual_access:  read_only
        .address_space:  global
        .offset:         64
        .size:           8
        .value_kind:     global_buffer
      - .offset:         72
        .size:           4
        .value_kind:     by_value
      - .offset:         76
        .size:           4
        .value_kind:     by_value
      - .offset:         80
        .size:           4
        .value_kind:     by_value
      - .address_space:  global
        .offset:         88
        .size:           8
        .value_kind:     global_buffer
      - .address_space:  global
        .offset:         96
        .size:           8
        .value_kind:     global_buffer
      - .offset:         104
        .size:           4
        .value_kind:     by_value
      - .offset:         108
        .size:           4
        .value_kind:     by_value
      - .offset:         112
        .size:           4
        .value_kind:     by_value
      - .offset:         116
        .size:           4
        .value_kind:     by_value
      - .offset:         120
        .size:           4
        .value_kind:     by_value
      - .offset:         128
        .size:           4
        .value_kind:     hidden_block_count_x
      - .offset:         132
        .size:           4
        .value_kind:     hidden_block_count_y
      - .offset:         136
        .size:           4
        .value_kind:     hidden_block_count_z
      - .offset:         140
        .size:           2
        .value_kind:     hidden_group_size_x
      - .offset:         142
        .size:           2
        .value_kind:     hidden_group_size_y
      - .offset:         144
        .size:           2
        .value_kind:     hidden_group_size_z
      - .offset:         146
        .size:           2
        .value_kind:     hidden_remainder_x
      - .offset:         148
        .size:           2
        .value_kind:     hidden_remainder_y
      - .offset:         150
        .size:           2
        .value_kind:     hidden_remainder_z
      - .offset:         168
        .size:           8
        .value_kind:     hidden_global_offset_x
      - .offset:         176
        .size:           8
        .value_kind:     hidden_global_offset_y
      - .offset:         184
        .size:           8
        .value_kind:     hidden_global_offset_z
      - .offset:         192
        .size:           2
        .value_kind:     hidden_grid_dims
      - .offset:         248
        .size:           4
        .value_kind:     hidden_dynamic_lds_size
    .group_segment_fixed_size: 224
    .kernarg_segment_align: 8
    .kernarg_segment_size: 384
    .language:       OpenCL C
    .language_version:
      - 2
      - 0
    .max_flat_workgroup_size: 1024
    .name:           _ZN4vllm25paged_attention_v1_kernelIttLi96ELi32ELi128ELNS_18Fp8KVCacheDataTypeE0ELb1EEEvPT_PKS2_PKT0_S8_ifPKiSA_iPKfiiiSC_SC_iiiii
    .private_segment_fixed_size: 0
    .sgpr_count:     40
    .sgpr_spill_count: 0
    .symbol:         _ZN4vllm25paged_attention_v1_kernelIttLi96ELi32ELi128ELNS_18Fp8KVCacheDataTypeE0ELb1EEEvPT_PKS2_PKT0_S8_ifPKiSA_iPKfiiiSC_SC_iiiii.kd
    .uniform_work_group_size: 1
    .uses_dynamic_stack: false
    .vgpr_count:     118
    .vgpr_spill_count: 0
    .wavefront_size: 32
  - .args:
      - .actual_access:  write_only
        .address_space:  global
        .offset:         0
        .size:           8
        .value_kind:     global_buffer
      - .actual_access:  read_only
        .address_space:  global
        .offset:         8
        .size:           8
        .value_kind:     global_buffer
      - .actual_access:  read_only
        .address_space:  global
        .offset:         16
        .size:           8
        .value_kind:     global_buffer
      - .actual_access:  read_only
        .address_space:  global
        .offset:         24
        .size:           8
        .value_kind:     global_buffer
      - .offset:         32
        .size:           4
        .value_kind:     by_value
      - .offset:         36
        .size:           4
        .value_kind:     by_value
      - .actual_access:  read_only
        .address_space:  global
        .offset:         40
        .size:           8
        .value_kind:     global_buffer
      - .actual_access:  read_only
        .address_space:  global
        .offset:         48
        .size:           8
        .value_kind:     global_buffer
      - .offset:         56
        .size:           4
        .value_kind:     by_value
      - .actual_access:  read_only
        .address_space:  global
        .offset:         64
        .size:           8
        .value_kind:     global_buffer
      - .offset:         72
        .size:           4
        .value_kind:     by_value
      - .offset:         76
        .size:           4
        .value_kind:     by_value
      - .offset:         80
        .size:           4
        .value_kind:     by_value
      - .address_space:  global
        .offset:         88
        .size:           8
        .value_kind:     global_buffer
      - .address_space:  global
        .offset:         96
        .size:           8
        .value_kind:     global_buffer
      - .offset:         104
        .size:           4
        .value_kind:     by_value
      - .offset:         108
        .size:           4
        .value_kind:     by_value
      - .offset:         112
        .size:           4
        .value_kind:     by_value
      - .offset:         116
        .size:           4
        .value_kind:     by_value
      - .offset:         120
        .size:           4
        .value_kind:     by_value
      - .offset:         128
        .size:           4
        .value_kind:     hidden_block_count_x
      - .offset:         132
        .size:           4
        .value_kind:     hidden_block_count_y
      - .offset:         136
        .size:           4
        .value_kind:     hidden_block_count_z
      - .offset:         140
        .size:           2
        .value_kind:     hidden_group_size_x
      - .offset:         142
        .size:           2
        .value_kind:     hidden_group_size_y
      - .offset:         144
        .size:           2
        .value_kind:     hidden_group_size_z
      - .offset:         146
        .size:           2
        .value_kind:     hidden_remainder_x
      - .offset:         148
        .size:           2
        .value_kind:     hidden_remainder_y
      - .offset:         150
        .size:           2
        .value_kind:     hidden_remainder_z
      - .offset:         168
        .size:           8
        .value_kind:     hidden_global_offset_x
      - .offset:         176
        .size:           8
        .value_kind:     hidden_global_offset_y
      - .offset:         184
        .size:           8
        .value_kind:     hidden_global_offset_z
      - .offset:         192
        .size:           2
        .value_kind:     hidden_grid_dims
      - .offset:         248
        .size:           4
        .value_kind:     hidden_dynamic_lds_size
    .group_segment_fixed_size: 256
    .kernarg_segment_align: 8
    .kernarg_segment_size: 384
    .language:       OpenCL C
    .language_version:
      - 2
      - 0
    .max_flat_workgroup_size: 1024
    .name:           _ZN4vllm25paged_attention_v1_kernelIttLi112ELi32ELi128ELNS_18Fp8KVCacheDataTypeE0ELb1EEEvPT_PKS2_PKT0_S8_ifPKiSA_iPKfiiiSC_SC_iiiii
    .private_segment_fixed_size: 0
    .sgpr_count:     40
    .sgpr_spill_count: 0
    .symbol:         _ZN4vllm25paged_attention_v1_kernelIttLi112ELi32ELi128ELNS_18Fp8KVCacheDataTypeE0ELb1EEEvPT_PKS2_PKT0_S8_ifPKiSA_iPKfiiiSC_SC_iiiii.kd
    .uniform_work_group_size: 1
    .uses_dynamic_stack: false
    .vgpr_count:     114
    .vgpr_spill_count: 0
    .wavefront_size: 32
  - .args:
      - .actual_access:  write_only
        .address_space:  global
        .offset:         0
        .size:           8
        .value_kind:     global_buffer
      - .actual_access:  read_only
        .address_space:  global
        .offset:         8
        .size:           8
        .value_kind:     global_buffer
      - .actual_access:  read_only
        .address_space:  global
        .offset:         16
        .size:           8
        .value_kind:     global_buffer
      - .actual_access:  read_only
        .address_space:  global
        .offset:         24
        .size:           8
        .value_kind:     global_buffer
      - .offset:         32
        .size:           4
        .value_kind:     by_value
      - .offset:         36
        .size:           4
        .value_kind:     by_value
      - .actual_access:  read_only
        .address_space:  global
        .offset:         40
        .size:           8
        .value_kind:     global_buffer
      - .actual_access:  read_only
        .address_space:  global
        .offset:         48
        .size:           8
        .value_kind:     global_buffer
      - .offset:         56
        .size:           4
        .value_kind:     by_value
      - .actual_access:  read_only
        .address_space:  global
        .offset:         64
        .size:           8
        .value_kind:     global_buffer
      - .offset:         72
        .size:           4
        .value_kind:     by_value
      - .offset:         76
        .size:           4
        .value_kind:     by_value
      - .offset:         80
        .size:           4
        .value_kind:     by_value
      - .address_space:  global
        .offset:         88
        .size:           8
        .value_kind:     global_buffer
      - .address_space:  global
        .offset:         96
        .size:           8
        .value_kind:     global_buffer
      - .offset:         104
        .size:           4
        .value_kind:     by_value
      - .offset:         108
        .size:           4
        .value_kind:     by_value
      - .offset:         112
        .size:           4
        .value_kind:     by_value
      - .offset:         116
        .size:           4
        .value_kind:     by_value
      - .offset:         120
        .size:           4
        .value_kind:     by_value
      - .offset:         128
        .size:           4
        .value_kind:     hidden_block_count_x
      - .offset:         132
        .size:           4
        .value_kind:     hidden_block_count_y
      - .offset:         136
        .size:           4
        .value_kind:     hidden_block_count_z
      - .offset:         140
        .size:           2
        .value_kind:     hidden_group_size_x
      - .offset:         142
        .size:           2
        .value_kind:     hidden_group_size_y
      - .offset:         144
        .size:           2
        .value_kind:     hidden_group_size_z
      - .offset:         146
        .size:           2
        .value_kind:     hidden_remainder_x
      - .offset:         148
        .size:           2
        .value_kind:     hidden_remainder_y
      - .offset:         150
        .size:           2
        .value_kind:     hidden_remainder_z
      - .offset:         168
        .size:           8
        .value_kind:     hidden_global_offset_x
      - .offset:         176
        .size:           8
        .value_kind:     hidden_global_offset_y
      - .offset:         184
        .size:           8
        .value_kind:     hidden_global_offset_z
      - .offset:         192
        .size:           2
        .value_kind:     hidden_grid_dims
      - .offset:         248
        .size:           4
        .value_kind:     hidden_dynamic_lds_size
    .group_segment_fixed_size: 272
    .kernarg_segment_align: 8
    .kernarg_segment_size: 384
    .language:       OpenCL C
    .language_version:
      - 2
      - 0
    .max_flat_workgroup_size: 1024
    .name:           _ZN4vllm25paged_attention_v1_kernelIttLi120ELi32ELi128ELNS_18Fp8KVCacheDataTypeE0ELb1EEEvPT_PKS2_PKT0_S8_ifPKiSA_iPKfiiiSC_SC_iiiii
    .private_segment_fixed_size: 32
    .sgpr_count:     40
    .sgpr_spill_count: 0
    .symbol:         _ZN4vllm25paged_attention_v1_kernelIttLi120ELi32ELi128ELNS_18Fp8KVCacheDataTypeE0ELb1EEEvPT_PKS2_PKT0_S8_ifPKiSA_iPKfiiiSC_SC_iiiii.kd
    .uniform_work_group_size: 1
    .uses_dynamic_stack: false
    .vgpr_count:     128
    .vgpr_spill_count: 7
    .wavefront_size: 32
  - .args:
      - .actual_access:  write_only
        .address_space:  global
        .offset:         0
        .size:           8
        .value_kind:     global_buffer
      - .actual_access:  read_only
        .address_space:  global
        .offset:         8
        .size:           8
        .value_kind:     global_buffer
      - .actual_access:  read_only
        .address_space:  global
        .offset:         16
        .size:           8
        .value_kind:     global_buffer
      - .actual_access:  read_only
        .address_space:  global
        .offset:         24
        .size:           8
        .value_kind:     global_buffer
      - .offset:         32
        .size:           4
        .value_kind:     by_value
      - .offset:         36
        .size:           4
        .value_kind:     by_value
      - .actual_access:  read_only
        .address_space:  global
        .offset:         40
        .size:           8
        .value_kind:     global_buffer
      - .actual_access:  read_only
        .address_space:  global
        .offset:         48
        .size:           8
        .value_kind:     global_buffer
      - .offset:         56
        .size:           4
        .value_kind:     by_value
      - .actual_access:  read_only
        .address_space:  global
        .offset:         64
        .size:           8
        .value_kind:     global_buffer
      - .offset:         72
        .size:           4
        .value_kind:     by_value
      - .offset:         76
        .size:           4
        .value_kind:     by_value
      - .offset:         80
        .size:           4
        .value_kind:     by_value
      - .address_space:  global
        .offset:         88
        .size:           8
        .value_kind:     global_buffer
      - .address_space:  global
        .offset:         96
        .size:           8
        .value_kind:     global_buffer
      - .offset:         104
        .size:           4
        .value_kind:     by_value
      - .offset:         108
        .size:           4
        .value_kind:     by_value
      - .offset:         112
        .size:           4
        .value_kind:     by_value
      - .offset:         116
        .size:           4
        .value_kind:     by_value
      - .offset:         120
        .size:           4
        .value_kind:     by_value
      - .offset:         128
        .size:           4
        .value_kind:     hidden_block_count_x
      - .offset:         132
        .size:           4
        .value_kind:     hidden_block_count_y
      - .offset:         136
        .size:           4
        .value_kind:     hidden_block_count_z
      - .offset:         140
        .size:           2
        .value_kind:     hidden_group_size_x
      - .offset:         142
        .size:           2
        .value_kind:     hidden_group_size_y
      - .offset:         144
        .size:           2
        .value_kind:     hidden_group_size_z
      - .offset:         146
        .size:           2
        .value_kind:     hidden_remainder_x
      - .offset:         148
        .size:           2
        .value_kind:     hidden_remainder_y
      - .offset:         150
        .size:           2
        .value_kind:     hidden_remainder_z
      - .offset:         168
        .size:           8
        .value_kind:     hidden_global_offset_x
      - .offset:         176
        .size:           8
        .value_kind:     hidden_global_offset_y
      - .offset:         184
        .size:           8
        .value_kind:     hidden_global_offset_z
      - .offset:         192
        .size:           2
        .value_kind:     hidden_grid_dims
      - .offset:         248
        .size:           4
        .value_kind:     hidden_dynamic_lds_size
    .group_segment_fixed_size: 288
    .kernarg_segment_align: 8
    .kernarg_segment_size: 384
    .language:       OpenCL C
    .language_version:
      - 2
      - 0
    .max_flat_workgroup_size: 1024
    .name:           _ZN4vllm25paged_attention_v1_kernelIttLi128ELi32ELi128ELNS_18Fp8KVCacheDataTypeE0ELb1EEEvPT_PKS2_PKT0_S8_ifPKiSA_iPKfiiiSC_SC_iiiii
    .private_segment_fixed_size: 32
    .sgpr_count:     40
    .sgpr_spill_count: 0
    .symbol:         _ZN4vllm25paged_attention_v1_kernelIttLi128ELi32ELi128ELNS_18Fp8KVCacheDataTypeE0ELb1EEEvPT_PKS2_PKT0_S8_ifPKiSA_iPKfiiiSC_SC_iiiii.kd
    .uniform_work_group_size: 1
    .uses_dynamic_stack: false
    .vgpr_count:     128
    .vgpr_spill_count: 7
    .wavefront_size: 32
  - .args:
      - .actual_access:  write_only
        .address_space:  global
        .offset:         0
        .size:           8
        .value_kind:     global_buffer
      - .actual_access:  read_only
        .address_space:  global
        .offset:         8
        .size:           8
        .value_kind:     global_buffer
      - .actual_access:  read_only
        .address_space:  global
        .offset:         16
        .size:           8
        .value_kind:     global_buffer
      - .actual_access:  read_only
        .address_space:  global
        .offset:         24
        .size:           8
        .value_kind:     global_buffer
      - .offset:         32
        .size:           4
        .value_kind:     by_value
      - .offset:         36
        .size:           4
        .value_kind:     by_value
      - .actual_access:  read_only
        .address_space:  global
        .offset:         40
        .size:           8
        .value_kind:     global_buffer
      - .actual_access:  read_only
        .address_space:  global
        .offset:         48
        .size:           8
        .value_kind:     global_buffer
      - .offset:         56
        .size:           4
        .value_kind:     by_value
      - .actual_access:  read_only
        .address_space:  global
        .offset:         64
        .size:           8
        .value_kind:     global_buffer
      - .offset:         72
        .size:           4
        .value_kind:     by_value
      - .offset:         76
        .size:           4
        .value_kind:     by_value
      - .offset:         80
        .size:           4
        .value_kind:     by_value
      - .address_space:  global
        .offset:         88
        .size:           8
        .value_kind:     global_buffer
      - .address_space:  global
        .offset:         96
        .size:           8
        .value_kind:     global_buffer
      - .offset:         104
        .size:           4
        .value_kind:     by_value
      - .offset:         108
        .size:           4
        .value_kind:     by_value
      - .offset:         112
        .size:           4
        .value_kind:     by_value
      - .offset:         116
        .size:           4
        .value_kind:     by_value
      - .offset:         120
        .size:           4
        .value_kind:     by_value
      - .offset:         128
        .size:           4
        .value_kind:     hidden_block_count_x
      - .offset:         132
        .size:           4
        .value_kind:     hidden_block_count_y
      - .offset:         136
        .size:           4
        .value_kind:     hidden_block_count_z
      - .offset:         140
        .size:           2
        .value_kind:     hidden_group_size_x
      - .offset:         142
        .size:           2
        .value_kind:     hidden_group_size_y
      - .offset:         144
        .size:           2
        .value_kind:     hidden_group_size_z
      - .offset:         146
        .size:           2
        .value_kind:     hidden_remainder_x
      - .offset:         148
        .size:           2
        .value_kind:     hidden_remainder_y
      - .offset:         150
        .size:           2
        .value_kind:     hidden_remainder_z
      - .offset:         168
        .size:           8
        .value_kind:     hidden_global_offset_x
      - .offset:         176
        .size:           8
        .value_kind:     hidden_global_offset_y
      - .offset:         184
        .size:           8
        .value_kind:     hidden_global_offset_z
      - .offset:         192
        .size:           2
        .value_kind:     hidden_grid_dims
      - .offset:         248
        .size:           4
        .value_kind:     hidden_dynamic_lds_size
    .group_segment_fixed_size: 416
    .kernarg_segment_align: 8
    .kernarg_segment_size: 384
    .language:       OpenCL C
    .language_version:
      - 2
      - 0
    .max_flat_workgroup_size: 1024
    .name:           _ZN4vllm25paged_attention_v1_kernelIttLi192ELi32ELi128ELNS_18Fp8KVCacheDataTypeE0ELb1EEEvPT_PKS2_PKT0_S8_ifPKiSA_iPKfiiiSC_SC_iiiii
    .private_segment_fixed_size: 140
    .sgpr_count:     40
    .sgpr_spill_count: 0
    .symbol:         _ZN4vllm25paged_attention_v1_kernelIttLi192ELi32ELi128ELNS_18Fp8KVCacheDataTypeE0ELb1EEEvPT_PKS2_PKT0_S8_ifPKiSA_iPKfiiiSC_SC_iiiii.kd
    .uniform_work_group_size: 1
    .uses_dynamic_stack: false
    .vgpr_count:     128
    .vgpr_spill_count: 39
    .wavefront_size: 32
  - .args:
      - .actual_access:  write_only
        .address_space:  global
        .offset:         0
        .size:           8
        .value_kind:     global_buffer
      - .actual_access:  read_only
        .address_space:  global
        .offset:         8
        .size:           8
        .value_kind:     global_buffer
      - .actual_access:  read_only
        .address_space:  global
        .offset:         16
        .size:           8
        .value_kind:     global_buffer
      - .actual_access:  read_only
        .address_space:  global
        .offset:         24
        .size:           8
        .value_kind:     global_buffer
      - .offset:         32
        .size:           4
        .value_kind:     by_value
      - .offset:         36
        .size:           4
        .value_kind:     by_value
      - .actual_access:  read_only
        .address_space:  global
        .offset:         40
        .size:           8
        .value_kind:     global_buffer
      - .actual_access:  read_only
        .address_space:  global
        .offset:         48
        .size:           8
        .value_kind:     global_buffer
      - .offset:         56
        .size:           4
        .value_kind:     by_value
      - .actual_access:  read_only
        .address_space:  global
        .offset:         64
        .size:           8
        .value_kind:     global_buffer
      - .offset:         72
        .size:           4
        .value_kind:     by_value
      - .offset:         76
        .size:           4
        .value_kind:     by_value
      - .offset:         80
        .size:           4
        .value_kind:     by_value
      - .address_space:  global
        .offset:         88
        .size:           8
        .value_kind:     global_buffer
      - .address_space:  global
        .offset:         96
        .size:           8
        .value_kind:     global_buffer
      - .offset:         104
        .size:           4
        .value_kind:     by_value
      - .offset:         108
        .size:           4
        .value_kind:     by_value
      - .offset:         112
        .size:           4
        .value_kind:     by_value
      - .offset:         116
        .size:           4
        .value_kind:     by_value
      - .offset:         120
        .size:           4
        .value_kind:     by_value
      - .offset:         128
        .size:           4
        .value_kind:     hidden_block_count_x
      - .offset:         132
        .size:           4
        .value_kind:     hidden_block_count_y
      - .offset:         136
        .size:           4
        .value_kind:     hidden_block_count_z
      - .offset:         140
        .size:           2
        .value_kind:     hidden_group_size_x
      - .offset:         142
        .size:           2
        .value_kind:     hidden_group_size_y
      - .offset:         144
        .size:           2
        .value_kind:     hidden_group_size_z
      - .offset:         146
        .size:           2
        .value_kind:     hidden_remainder_x
      - .offset:         148
        .size:           2
        .value_kind:     hidden_remainder_y
      - .offset:         150
        .size:           2
        .value_kind:     hidden_remainder_z
      - .offset:         168
        .size:           8
        .value_kind:     hidden_global_offset_x
      - .offset:         176
        .size:           8
        .value_kind:     hidden_global_offset_y
      - .offset:         184
        .size:           8
        .value_kind:     hidden_global_offset_z
      - .offset:         192
        .size:           2
        .value_kind:     hidden_grid_dims
      - .offset:         248
        .size:           4
        .value_kind:     hidden_dynamic_lds_size
    .group_segment_fixed_size: 544
    .kernarg_segment_align: 8
    .kernarg_segment_size: 384
    .language:       OpenCL C
    .language_version:
      - 2
      - 0
    .max_flat_workgroup_size: 1024
    .name:           _ZN4vllm25paged_attention_v1_kernelIttLi256ELi32ELi128ELNS_18Fp8KVCacheDataTypeE0ELb1EEEvPT_PKS2_PKT0_S8_ifPKiSA_iPKfiiiSC_SC_iiiii
    .private_segment_fixed_size: 156
    .sgpr_count:     40
    .sgpr_spill_count: 0
    .symbol:         _ZN4vllm25paged_attention_v1_kernelIttLi256ELi32ELi128ELNS_18Fp8KVCacheDataTypeE0ELb1EEEvPT_PKS2_PKT0_S8_ifPKiSA_iPKfiiiSC_SC_iiiii.kd
    .uniform_work_group_size: 1
    .uses_dynamic_stack: false
    .vgpr_count:     128
    .vgpr_spill_count: 41
    .wavefront_size: 32
  - .args:
      - .actual_access:  write_only
        .address_space:  global
        .offset:         0
        .size:           8
        .value_kind:     global_buffer
      - .actual_access:  read_only
        .address_space:  global
        .offset:         8
        .size:           8
        .value_kind:     global_buffer
      - .actual_access:  read_only
        .address_space:  global
        .offset:         16
        .size:           8
        .value_kind:     global_buffer
      - .actual_access:  read_only
        .address_space:  global
        .offset:         24
        .size:           8
        .value_kind:     global_buffer
      - .offset:         32
        .size:           4
        .value_kind:     by_value
      - .offset:         36
        .size:           4
        .value_kind:     by_value
      - .actual_access:  read_only
        .address_space:  global
        .offset:         40
        .size:           8
        .value_kind:     global_buffer
      - .actual_access:  read_only
        .address_space:  global
        .offset:         48
        .size:           8
        .value_kind:     global_buffer
      - .offset:         56
        .size:           4
        .value_kind:     by_value
      - .actual_access:  read_only
        .address_space:  global
        .offset:         64
        .size:           8
        .value_kind:     global_buffer
      - .offset:         72
        .size:           4
        .value_kind:     by_value
      - .offset:         76
        .size:           4
        .value_kind:     by_value
      - .offset:         80
        .size:           4
        .value_kind:     by_value
      - .address_space:  global
        .offset:         88
        .size:           8
        .value_kind:     global_buffer
      - .address_space:  global
        .offset:         96
        .size:           8
        .value_kind:     global_buffer
      - .offset:         104
        .size:           4
        .value_kind:     by_value
      - .offset:         108
        .size:           4
        .value_kind:     by_value
      - .offset:         112
        .size:           4
        .value_kind:     by_value
      - .offset:         116
        .size:           4
        .value_kind:     by_value
      - .offset:         120
        .size:           4
        .value_kind:     by_value
      - .offset:         128
        .size:           4
        .value_kind:     hidden_block_count_x
      - .offset:         132
        .size:           4
        .value_kind:     hidden_block_count_y
      - .offset:         136
        .size:           4
        .value_kind:     hidden_block_count_z
      - .offset:         140
        .size:           2
        .value_kind:     hidden_group_size_x
      - .offset:         142
        .size:           2
        .value_kind:     hidden_group_size_y
      - .offset:         144
        .size:           2
        .value_kind:     hidden_group_size_z
      - .offset:         146
        .size:           2
        .value_kind:     hidden_remainder_x
      - .offset:         148
        .size:           2
        .value_kind:     hidden_remainder_y
      - .offset:         150
        .size:           2
        .value_kind:     hidden_remainder_z
      - .offset:         168
        .size:           8
        .value_kind:     hidden_global_offset_x
      - .offset:         176
        .size:           8
        .value_kind:     hidden_global_offset_y
      - .offset:         184
        .size:           8
        .value_kind:     hidden_global_offset_z
      - .offset:         192
        .size:           2
        .value_kind:     hidden_grid_dims
      - .offset:         248
        .size:           4
        .value_kind:     hidden_dynamic_lds_size
    .group_segment_fixed_size: 96
    .kernarg_segment_align: 8
    .kernarg_segment_size: 384
    .language:       OpenCL C
    .language_version:
      - 2
      - 0
    .max_flat_workgroup_size: 1024
    .name:           _ZN4vllm25paged_attention_v1_kernelIttLi32ELi32ELi128ELNS_18Fp8KVCacheDataTypeE0ELb0EEEvPT_PKS2_PKT0_S8_ifPKiSA_iPKfiiiSC_SC_iiiii
    .private_segment_fixed_size: 0
    .sgpr_count:     30
    .sgpr_spill_count: 0
    .symbol:         _ZN4vllm25paged_attention_v1_kernelIttLi32ELi32ELi128ELNS_18Fp8KVCacheDataTypeE0ELb0EEEvPT_PKS2_PKT0_S8_ifPKiSA_iPKfiiiSC_SC_iiiii.kd
    .uniform_work_group_size: 1
    .uses_dynamic_stack: false
    .vgpr_count:     70
    .vgpr_spill_count: 0
    .wavefront_size: 32
  - .args:
      - .actual_access:  write_only
        .address_space:  global
        .offset:         0
        .size:           8
        .value_kind:     global_buffer
      - .actual_access:  read_only
        .address_space:  global
        .offset:         8
        .size:           8
        .value_kind:     global_buffer
      - .actual_access:  read_only
        .address_space:  global
        .offset:         16
        .size:           8
        .value_kind:     global_buffer
      - .actual_access:  read_only
        .address_space:  global
        .offset:         24
        .size:           8
        .value_kind:     global_buffer
      - .offset:         32
        .size:           4
        .value_kind:     by_value
      - .offset:         36
        .size:           4
        .value_kind:     by_value
      - .actual_access:  read_only
        .address_space:  global
        .offset:         40
        .size:           8
        .value_kind:     global_buffer
      - .actual_access:  read_only
        .address_space:  global
        .offset:         48
        .size:           8
        .value_kind:     global_buffer
      - .offset:         56
        .size:           4
        .value_kind:     by_value
      - .actual_access:  read_only
        .address_space:  global
        .offset:         64
        .size:           8
        .value_kind:     global_buffer
      - .offset:         72
        .size:           4
        .value_kind:     by_value
      - .offset:         76
        .size:           4
        .value_kind:     by_value
      - .offset:         80
        .size:           4
        .value_kind:     by_value
      - .address_space:  global
        .offset:         88
        .size:           8
        .value_kind:     global_buffer
      - .address_space:  global
        .offset:         96
        .size:           8
        .value_kind:     global_buffer
      - .offset:         104
        .size:           4
        .value_kind:     by_value
      - .offset:         108
        .size:           4
        .value_kind:     by_value
      - .offset:         112
        .size:           4
        .value_kind:     by_value
      - .offset:         116
        .size:           4
        .value_kind:     by_value
      - .offset:         120
        .size:           4
        .value_kind:     by_value
      - .offset:         128
        .size:           4
        .value_kind:     hidden_block_count_x
      - .offset:         132
        .size:           4
        .value_kind:     hidden_block_count_y
      - .offset:         136
        .size:           4
        .value_kind:     hidden_block_count_z
      - .offset:         140
        .size:           2
        .value_kind:     hidden_group_size_x
      - .offset:         142
        .size:           2
        .value_kind:     hidden_group_size_y
      - .offset:         144
        .size:           2
        .value_kind:     hidden_group_size_z
      - .offset:         146
        .size:           2
        .value_kind:     hidden_remainder_x
      - .offset:         148
        .size:           2
        .value_kind:     hidden_remainder_y
      - .offset:         150
        .size:           2
        .value_kind:     hidden_remainder_z
      - .offset:         168
        .size:           8
        .value_kind:     hidden_global_offset_x
      - .offset:         176
        .size:           8
        .value_kind:     hidden_global_offset_y
      - .offset:         184
        .size:           8
        .value_kind:     hidden_global_offset_z
      - .offset:         192
        .size:           2
        .value_kind:     hidden_grid_dims
      - .offset:         248
        .size:           4
        .value_kind:     hidden_dynamic_lds_size
    .group_segment_fixed_size: 160
    .kernarg_segment_align: 8
    .kernarg_segment_size: 384
    .language:       OpenCL C
    .language_version:
      - 2
      - 0
    .max_flat_workgroup_size: 1024
    .name:           _ZN4vllm25paged_attention_v1_kernelIttLi64ELi32ELi128ELNS_18Fp8KVCacheDataTypeE0ELb0EEEvPT_PKS2_PKT0_S8_ifPKiSA_iPKfiiiSC_SC_iiiii
    .private_segment_fixed_size: 0
    .sgpr_count:     30
    .sgpr_spill_count: 0
    .symbol:         _ZN4vllm25paged_attention_v1_kernelIttLi64ELi32ELi128ELNS_18Fp8KVCacheDataTypeE0ELb0EEEvPT_PKS2_PKT0_S8_ifPKiSA_iPKfiiiSC_SC_iiiii.kd
    .uniform_work_group_size: 1
    .uses_dynamic_stack: false
    .vgpr_count:     94
    .vgpr_spill_count: 0
    .wavefront_size: 32
  - .args:
      - .actual_access:  write_only
        .address_space:  global
        .offset:         0
        .size:           8
        .value_kind:     global_buffer
      - .actual_access:  read_only
        .address_space:  global
        .offset:         8
        .size:           8
        .value_kind:     global_buffer
      - .actual_access:  read_only
        .address_space:  global
        .offset:         16
        .size:           8
        .value_kind:     global_buffer
      - .actual_access:  read_only
        .address_space:  global
        .offset:         24
        .size:           8
        .value_kind:     global_buffer
      - .offset:         32
        .size:           4
        .value_kind:     by_value
      - .offset:         36
        .size:           4
        .value_kind:     by_value
      - .actual_access:  read_only
        .address_space:  global
        .offset:         40
        .size:           8
        .value_kind:     global_buffer
      - .actual_access:  read_only
        .address_space:  global
        .offset:         48
        .size:           8
        .value_kind:     global_buffer
      - .offset:         56
        .size:           4
        .value_kind:     by_value
      - .actual_access:  read_only
        .address_space:  global
        .offset:         64
        .size:           8
        .value_kind:     global_buffer
      - .offset:         72
        .size:           4
        .value_kind:     by_value
      - .offset:         76
        .size:           4
        .value_kind:     by_value
      - .offset:         80
        .size:           4
        .value_kind:     by_value
      - .address_space:  global
        .offset:         88
        .size:           8
        .value_kind:     global_buffer
      - .address_space:  global
        .offset:         96
        .size:           8
        .value_kind:     global_buffer
      - .offset:         104
        .size:           4
        .value_kind:     by_value
      - .offset:         108
        .size:           4
        .value_kind:     by_value
      - .offset:         112
        .size:           4
        .value_kind:     by_value
      - .offset:         116
        .size:           4
        .value_kind:     by_value
      - .offset:         120
        .size:           4
        .value_kind:     by_value
      - .offset:         128
        .size:           4
        .value_kind:     hidden_block_count_x
      - .offset:         132
        .size:           4
        .value_kind:     hidden_block_count_y
      - .offset:         136
        .size:           4
        .value_kind:     hidden_block_count_z
      - .offset:         140
        .size:           2
        .value_kind:     hidden_group_size_x
      - .offset:         142
        .size:           2
        .value_kind:     hidden_group_size_y
      - .offset:         144
        .size:           2
        .value_kind:     hidden_group_size_z
      - .offset:         146
        .size:           2
        .value_kind:     hidden_remainder_x
      - .offset:         148
        .size:           2
        .value_kind:     hidden_remainder_y
      - .offset:         150
        .size:           2
        .value_kind:     hidden_remainder_z
      - .offset:         168
        .size:           8
        .value_kind:     hidden_global_offset_x
      - .offset:         176
        .size:           8
        .value_kind:     hidden_global_offset_y
      - .offset:         184
        .size:           8
        .value_kind:     hidden_global_offset_z
      - .offset:         192
        .size:           2
        .value_kind:     hidden_grid_dims
      - .offset:         248
        .size:           4
        .value_kind:     hidden_dynamic_lds_size
    .group_segment_fixed_size: 192
    .kernarg_segment_align: 8
    .kernarg_segment_size: 384
    .language:       OpenCL C
    .language_version:
      - 2
      - 0
    .max_flat_workgroup_size: 1024
    .name:           _ZN4vllm25paged_attention_v1_kernelIttLi80ELi32ELi128ELNS_18Fp8KVCacheDataTypeE0ELb0EEEvPT_PKS2_PKT0_S8_ifPKiSA_iPKfiiiSC_SC_iiiii
    .private_segment_fixed_size: 0
    .sgpr_count:     30
    .sgpr_spill_count: 0
    .symbol:         _ZN4vllm25paged_attention_v1_kernelIttLi80ELi32ELi128ELNS_18Fp8KVCacheDataTypeE0ELb0EEEvPT_PKS2_PKT0_S8_ifPKiSA_iPKfiiiSC_SC_iiiii.kd
    .uniform_work_group_size: 1
    .uses_dynamic_stack: false
    .vgpr_count:     92
    .vgpr_spill_count: 0
    .wavefront_size: 32
  - .args:
      - .actual_access:  write_only
        .address_space:  global
        .offset:         0
        .size:           8
        .value_kind:     global_buffer
      - .actual_access:  read_only
        .address_space:  global
        .offset:         8
        .size:           8
        .value_kind:     global_buffer
      - .actual_access:  read_only
        .address_space:  global
        .offset:         16
        .size:           8
        .value_kind:     global_buffer
      - .actual_access:  read_only
        .address_space:  global
        .offset:         24
        .size:           8
        .value_kind:     global_buffer
      - .offset:         32
        .size:           4
        .value_kind:     by_value
      - .offset:         36
        .size:           4
        .value_kind:     by_value
      - .actual_access:  read_only
        .address_space:  global
        .offset:         40
        .size:           8
        .value_kind:     global_buffer
      - .actual_access:  read_only
        .address_space:  global
        .offset:         48
        .size:           8
        .value_kind:     global_buffer
      - .offset:         56
        .size:           4
        .value_kind:     by_value
      - .actual_access:  read_only
        .address_space:  global
        .offset:         64
        .size:           8
        .value_kind:     global_buffer
      - .offset:         72
        .size:           4
        .value_kind:     by_value
      - .offset:         76
        .size:           4
        .value_kind:     by_value
      - .offset:         80
        .size:           4
        .value_kind:     by_value
      - .address_space:  global
        .offset:         88
        .size:           8
        .value_kind:     global_buffer
      - .address_space:  global
        .offset:         96
        .size:           8
        .value_kind:     global_buffer
      - .offset:         104
        .size:           4
        .value_kind:     by_value
      - .offset:         108
        .size:           4
        .value_kind:     by_value
      - .offset:         112
        .size:           4
        .value_kind:     by_value
      - .offset:         116
        .size:           4
        .value_kind:     by_value
      - .offset:         120
        .size:           4
        .value_kind:     by_value
      - .offset:         128
        .size:           4
        .value_kind:     hidden_block_count_x
      - .offset:         132
        .size:           4
        .value_kind:     hidden_block_count_y
      - .offset:         136
        .size:           4
        .value_kind:     hidden_block_count_z
      - .offset:         140
        .size:           2
        .value_kind:     hidden_group_size_x
      - .offset:         142
        .size:           2
        .value_kind:     hidden_group_size_y
      - .offset:         144
        .size:           2
        .value_kind:     hidden_group_size_z
      - .offset:         146
        .size:           2
        .value_kind:     hidden_remainder_x
      - .offset:         148
        .size:           2
        .value_kind:     hidden_remainder_y
      - .offset:         150
        .size:           2
        .value_kind:     hidden_remainder_z
      - .offset:         168
        .size:           8
        .value_kind:     hidden_global_offset_x
      - .offset:         176
        .size:           8
        .value_kind:     hidden_global_offset_y
      - .offset:         184
        .size:           8
        .value_kind:     hidden_global_offset_z
      - .offset:         192
        .size:           2
        .value_kind:     hidden_grid_dims
      - .offset:         248
        .size:           4
        .value_kind:     hidden_dynamic_lds_size
    .group_segment_fixed_size: 224
    .kernarg_segment_align: 8
    .kernarg_segment_size: 384
    .language:       OpenCL C
    .language_version:
      - 2
      - 0
    .max_flat_workgroup_size: 1024
    .name:           _ZN4vllm25paged_attention_v1_kernelIttLi96ELi32ELi128ELNS_18Fp8KVCacheDataTypeE0ELb0EEEvPT_PKS2_PKT0_S8_ifPKiSA_iPKfiiiSC_SC_iiiii
    .private_segment_fixed_size: 0
    .sgpr_count:     30
    .sgpr_spill_count: 0
    .symbol:         _ZN4vllm25paged_attention_v1_kernelIttLi96ELi32ELi128ELNS_18Fp8KVCacheDataTypeE0ELb0EEEvPT_PKS2_PKT0_S8_ifPKiSA_iPKfiiiSC_SC_iiiii.kd
    .uniform_work_group_size: 1
    .uses_dynamic_stack: false
    .vgpr_count:     108
    .vgpr_spill_count: 0
    .wavefront_size: 32
  - .args:
      - .actual_access:  write_only
        .address_space:  global
        .offset:         0
        .size:           8
        .value_kind:     global_buffer
      - .actual_access:  read_only
        .address_space:  global
        .offset:         8
        .size:           8
        .value_kind:     global_buffer
      - .actual_access:  read_only
        .address_space:  global
        .offset:         16
        .size:           8
        .value_kind:     global_buffer
      - .actual_access:  read_only
        .address_space:  global
        .offset:         24
        .size:           8
        .value_kind:     global_buffer
      - .offset:         32
        .size:           4
        .value_kind:     by_value
      - .offset:         36
        .size:           4
        .value_kind:     by_value
      - .actual_access:  read_only
        .address_space:  global
        .offset:         40
        .size:           8
        .value_kind:     global_buffer
      - .actual_access:  read_only
        .address_space:  global
        .offset:         48
        .size:           8
        .value_kind:     global_buffer
      - .offset:         56
        .size:           4
        .value_kind:     by_value
      - .actual_access:  read_only
        .address_space:  global
        .offset:         64
        .size:           8
        .value_kind:     global_buffer
      - .offset:         72
        .size:           4
        .value_kind:     by_value
      - .offset:         76
        .size:           4
        .value_kind:     by_value
      - .offset:         80
        .size:           4
        .value_kind:     by_value
      - .address_space:  global
        .offset:         88
        .size:           8
        .value_kind:     global_buffer
      - .address_space:  global
        .offset:         96
        .size:           8
        .value_kind:     global_buffer
      - .offset:         104
        .size:           4
        .value_kind:     by_value
      - .offset:         108
        .size:           4
        .value_kind:     by_value
      - .offset:         112
        .size:           4
        .value_kind:     by_value
      - .offset:         116
        .size:           4
        .value_kind:     by_value
      - .offset:         120
        .size:           4
        .value_kind:     by_value
      - .offset:         128
        .size:           4
        .value_kind:     hidden_block_count_x
      - .offset:         132
        .size:           4
        .value_kind:     hidden_block_count_y
      - .offset:         136
        .size:           4
        .value_kind:     hidden_block_count_z
      - .offset:         140
        .size:           2
        .value_kind:     hidden_group_size_x
      - .offset:         142
        .size:           2
        .value_kind:     hidden_group_size_y
      - .offset:         144
        .size:           2
        .value_kind:     hidden_group_size_z
      - .offset:         146
        .size:           2
        .value_kind:     hidden_remainder_x
      - .offset:         148
        .size:           2
        .value_kind:     hidden_remainder_y
      - .offset:         150
        .size:           2
        .value_kind:     hidden_remainder_z
      - .offset:         168
        .size:           8
        .value_kind:     hidden_global_offset_x
      - .offset:         176
        .size:           8
        .value_kind:     hidden_global_offset_y
      - .offset:         184
        .size:           8
        .value_kind:     hidden_global_offset_z
      - .offset:         192
        .size:           2
        .value_kind:     hidden_grid_dims
      - .offset:         248
        .size:           4
        .value_kind:     hidden_dynamic_lds_size
    .group_segment_fixed_size: 256
    .kernarg_segment_align: 8
    .kernarg_segment_size: 384
    .language:       OpenCL C
    .language_version:
      - 2
      - 0
    .max_flat_workgroup_size: 1024
    .name:           _ZN4vllm25paged_attention_v1_kernelIttLi112ELi32ELi128ELNS_18Fp8KVCacheDataTypeE0ELb0EEEvPT_PKS2_PKT0_S8_ifPKiSA_iPKfiiiSC_SC_iiiii
    .private_segment_fixed_size: 0
    .sgpr_count:     30
    .sgpr_spill_count: 0
    .symbol:         _ZN4vllm25paged_attention_v1_kernelIttLi112ELi32ELi128ELNS_18Fp8KVCacheDataTypeE0ELb0EEEvPT_PKS2_PKT0_S8_ifPKiSA_iPKfiiiSC_SC_iiiii.kd
    .uniform_work_group_size: 1
    .uses_dynamic_stack: false
    .vgpr_count:     107
    .vgpr_spill_count: 0
    .wavefront_size: 32
  - .args:
      - .actual_access:  write_only
        .address_space:  global
        .offset:         0
        .size:           8
        .value_kind:     global_buffer
      - .actual_access:  read_only
        .address_space:  global
        .offset:         8
        .size:           8
        .value_kind:     global_buffer
      - .actual_access:  read_only
        .address_space:  global
        .offset:         16
        .size:           8
        .value_kind:     global_buffer
      - .actual_access:  read_only
        .address_space:  global
        .offset:         24
        .size:           8
        .value_kind:     global_buffer
      - .offset:         32
        .size:           4
        .value_kind:     by_value
      - .offset:         36
        .size:           4
        .value_kind:     by_value
      - .actual_access:  read_only
        .address_space:  global
        .offset:         40
        .size:           8
        .value_kind:     global_buffer
      - .actual_access:  read_only
        .address_space:  global
        .offset:         48
        .size:           8
        .value_kind:     global_buffer
      - .offset:         56
        .size:           4
        .value_kind:     by_value
      - .actual_access:  read_only
        .address_space:  global
        .offset:         64
        .size:           8
        .value_kind:     global_buffer
      - .offset:         72
        .size:           4
        .value_kind:     by_value
      - .offset:         76
        .size:           4
        .value_kind:     by_value
      - .offset:         80
        .size:           4
        .value_kind:     by_value
      - .address_space:  global
        .offset:         88
        .size:           8
        .value_kind:     global_buffer
      - .address_space:  global
        .offset:         96
        .size:           8
        .value_kind:     global_buffer
      - .offset:         104
        .size:           4
        .value_kind:     by_value
      - .offset:         108
        .size:           4
        .value_kind:     by_value
      - .offset:         112
        .size:           4
        .value_kind:     by_value
      - .offset:         116
        .size:           4
        .value_kind:     by_value
      - .offset:         120
        .size:           4
        .value_kind:     by_value
      - .offset:         128
        .size:           4
        .value_kind:     hidden_block_count_x
      - .offset:         132
        .size:           4
        .value_kind:     hidden_block_count_y
      - .offset:         136
        .size:           4
        .value_kind:     hidden_block_count_z
      - .offset:         140
        .size:           2
        .value_kind:     hidden_group_size_x
      - .offset:         142
        .size:           2
        .value_kind:     hidden_group_size_y
      - .offset:         144
        .size:           2
        .value_kind:     hidden_group_size_z
      - .offset:         146
        .size:           2
        .value_kind:     hidden_remainder_x
      - .offset:         148
        .size:           2
        .value_kind:     hidden_remainder_y
      - .offset:         150
        .size:           2
        .value_kind:     hidden_remainder_z
      - .offset:         168
        .size:           8
        .value_kind:     hidden_global_offset_x
      - .offset:         176
        .size:           8
        .value_kind:     hidden_global_offset_y
      - .offset:         184
        .size:           8
        .value_kind:     hidden_global_offset_z
      - .offset:         192
        .size:           2
        .value_kind:     hidden_grid_dims
      - .offset:         248
        .size:           4
        .value_kind:     hidden_dynamic_lds_size
    .group_segment_fixed_size: 272
    .kernarg_segment_align: 8
    .kernarg_segment_size: 384
    .language:       OpenCL C
    .language_version:
      - 2
      - 0
    .max_flat_workgroup_size: 1024
    .name:           _ZN4vllm25paged_attention_v1_kernelIttLi120ELi32ELi128ELNS_18Fp8KVCacheDataTypeE0ELb0EEEvPT_PKS2_PKT0_S8_ifPKiSA_iPKfiiiSC_SC_iiiii
    .private_segment_fixed_size: 0
    .sgpr_count:     30
    .sgpr_spill_count: 0
    .symbol:         _ZN4vllm25paged_attention_v1_kernelIttLi120ELi32ELi128ELNS_18Fp8KVCacheDataTypeE0ELb0EEEvPT_PKS2_PKT0_S8_ifPKiSA_iPKfiiiSC_SC_iiiii.kd
    .uniform_work_group_size: 1
    .uses_dynamic_stack: false
    .vgpr_count:     110
    .vgpr_spill_count: 0
    .wavefront_size: 32
  - .args:
      - .actual_access:  write_only
        .address_space:  global
        .offset:         0
        .size:           8
        .value_kind:     global_buffer
      - .actual_access:  read_only
        .address_space:  global
        .offset:         8
        .size:           8
        .value_kind:     global_buffer
      - .actual_access:  read_only
        .address_space:  global
        .offset:         16
        .size:           8
        .value_kind:     global_buffer
      - .actual_access:  read_only
        .address_space:  global
        .offset:         24
        .size:           8
        .value_kind:     global_buffer
      - .offset:         32
        .size:           4
        .value_kind:     by_value
      - .offset:         36
        .size:           4
        .value_kind:     by_value
      - .actual_access:  read_only
        .address_space:  global
        .offset:         40
        .size:           8
        .value_kind:     global_buffer
      - .actual_access:  read_only
        .address_space:  global
        .offset:         48
        .size:           8
        .value_kind:     global_buffer
      - .offset:         56
        .size:           4
        .value_kind:     by_value
      - .actual_access:  read_only
        .address_space:  global
        .offset:         64
        .size:           8
        .value_kind:     global_buffer
      - .offset:         72
        .size:           4
        .value_kind:     by_value
      - .offset:         76
        .size:           4
        .value_kind:     by_value
      - .offset:         80
        .size:           4
        .value_kind:     by_value
      - .address_space:  global
        .offset:         88
        .size:           8
        .value_kind:     global_buffer
      - .address_space:  global
        .offset:         96
        .size:           8
        .value_kind:     global_buffer
      - .offset:         104
        .size:           4
        .value_kind:     by_value
      - .offset:         108
        .size:           4
        .value_kind:     by_value
      - .offset:         112
        .size:           4
        .value_kind:     by_value
      - .offset:         116
        .size:           4
        .value_kind:     by_value
      - .offset:         120
        .size:           4
        .value_kind:     by_value
      - .offset:         128
        .size:           4
        .value_kind:     hidden_block_count_x
      - .offset:         132
        .size:           4
        .value_kind:     hidden_block_count_y
      - .offset:         136
        .size:           4
        .value_kind:     hidden_block_count_z
      - .offset:         140
        .size:           2
        .value_kind:     hidden_group_size_x
      - .offset:         142
        .size:           2
        .value_kind:     hidden_group_size_y
      - .offset:         144
        .size:           2
        .value_kind:     hidden_group_size_z
      - .offset:         146
        .size:           2
        .value_kind:     hidden_remainder_x
      - .offset:         148
        .size:           2
        .value_kind:     hidden_remainder_y
      - .offset:         150
        .size:           2
        .value_kind:     hidden_remainder_z
      - .offset:         168
        .size:           8
        .value_kind:     hidden_global_offset_x
      - .offset:         176
        .size:           8
        .value_kind:     hidden_global_offset_y
      - .offset:         184
        .size:           8
        .value_kind:     hidden_global_offset_z
      - .offset:         192
        .size:           2
        .value_kind:     hidden_grid_dims
      - .offset:         248
        .size:           4
        .value_kind:     hidden_dynamic_lds_size
    .group_segment_fixed_size: 288
    .kernarg_segment_align: 8
    .kernarg_segment_size: 384
    .language:       OpenCL C
    .language_version:
      - 2
      - 0
    .max_flat_workgroup_size: 1024
    .name:           _ZN4vllm25paged_attention_v1_kernelIttLi128ELi32ELi128ELNS_18Fp8KVCacheDataTypeE0ELb0EEEvPT_PKS2_PKT0_S8_ifPKiSA_iPKfiiiSC_SC_iiiii
    .private_segment_fixed_size: 0
    .sgpr_count:     30
    .sgpr_spill_count: 0
    .symbol:         _ZN4vllm25paged_attention_v1_kernelIttLi128ELi32ELi128ELNS_18Fp8KVCacheDataTypeE0ELb0EEEvPT_PKS2_PKT0_S8_ifPKiSA_iPKfiiiSC_SC_iiiii.kd
    .uniform_work_group_size: 1
    .uses_dynamic_stack: false
    .vgpr_count:     126
    .vgpr_spill_count: 0
    .wavefront_size: 32
  - .args:
      - .actual_access:  write_only
        .address_space:  global
        .offset:         0
        .size:           8
        .value_kind:     global_buffer
      - .actual_access:  read_only
        .address_space:  global
        .offset:         8
        .size:           8
        .value_kind:     global_buffer
      - .actual_access:  read_only
        .address_space:  global
        .offset:         16
        .size:           8
        .value_kind:     global_buffer
      - .actual_access:  read_only
        .address_space:  global
        .offset:         24
        .size:           8
        .value_kind:     global_buffer
      - .offset:         32
        .size:           4
        .value_kind:     by_value
      - .offset:         36
        .size:           4
        .value_kind:     by_value
      - .actual_access:  read_only
        .address_space:  global
        .offset:         40
        .size:           8
        .value_kind:     global_buffer
      - .actual_access:  read_only
        .address_space:  global
        .offset:         48
        .size:           8
        .value_kind:     global_buffer
      - .offset:         56
        .size:           4
        .value_kind:     by_value
      - .actual_access:  read_only
        .address_space:  global
        .offset:         64
        .size:           8
        .value_kind:     global_buffer
      - .offset:         72
        .size:           4
        .value_kind:     by_value
      - .offset:         76
        .size:           4
        .value_kind:     by_value
      - .offset:         80
        .size:           4
        .value_kind:     by_value
      - .address_space:  global
        .offset:         88
        .size:           8
        .value_kind:     global_buffer
      - .address_space:  global
        .offset:         96
        .size:           8
        .value_kind:     global_buffer
      - .offset:         104
        .size:           4
        .value_kind:     by_value
      - .offset:         108
        .size:           4
        .value_kind:     by_value
      - .offset:         112
        .size:           4
        .value_kind:     by_value
      - .offset:         116
        .size:           4
        .value_kind:     by_value
      - .offset:         120
        .size:           4
        .value_kind:     by_value
      - .offset:         128
        .size:           4
        .value_kind:     hidden_block_count_x
      - .offset:         132
        .size:           4
        .value_kind:     hidden_block_count_y
      - .offset:         136
        .size:           4
        .value_kind:     hidden_block_count_z
      - .offset:         140
        .size:           2
        .value_kind:     hidden_group_size_x
      - .offset:         142
        .size:           2
        .value_kind:     hidden_group_size_y
      - .offset:         144
        .size:           2
        .value_kind:     hidden_group_size_z
      - .offset:         146
        .size:           2
        .value_kind:     hidden_remainder_x
      - .offset:         148
        .size:           2
        .value_kind:     hidden_remainder_y
      - .offset:         150
        .size:           2
        .value_kind:     hidden_remainder_z
      - .offset:         168
        .size:           8
        .value_kind:     hidden_global_offset_x
      - .offset:         176
        .size:           8
        .value_kind:     hidden_global_offset_y
      - .offset:         184
        .size:           8
        .value_kind:     hidden_global_offset_z
      - .offset:         192
        .size:           2
        .value_kind:     hidden_grid_dims
      - .offset:         248
        .size:           4
        .value_kind:     hidden_dynamic_lds_size
    .group_segment_fixed_size: 416
    .kernarg_segment_align: 8
    .kernarg_segment_size: 384
    .language:       OpenCL C
    .language_version:
      - 2
      - 0
    .max_flat_workgroup_size: 1024
    .name:           _ZN4vllm25paged_attention_v1_kernelIttLi192ELi32ELi128ELNS_18Fp8KVCacheDataTypeE0ELb0EEEvPT_PKS2_PKT0_S8_ifPKiSA_iPKfiiiSC_SC_iiiii
    .private_segment_fixed_size: 56
    .sgpr_count:     30
    .sgpr_spill_count: 0
    .symbol:         _ZN4vllm25paged_attention_v1_kernelIttLi192ELi32ELi128ELNS_18Fp8KVCacheDataTypeE0ELb0EEEvPT_PKS2_PKT0_S8_ifPKiSA_iPKfiiiSC_SC_iiiii.kd
    .uniform_work_group_size: 1
    .uses_dynamic_stack: false
    .vgpr_count:     128
    .vgpr_spill_count: 13
    .wavefront_size: 32
  - .args:
      - .actual_access:  write_only
        .address_space:  global
        .offset:         0
        .size:           8
        .value_kind:     global_buffer
      - .actual_access:  read_only
        .address_space:  global
        .offset:         8
        .size:           8
        .value_kind:     global_buffer
      - .actual_access:  read_only
        .address_space:  global
        .offset:         16
        .size:           8
        .value_kind:     global_buffer
      - .actual_access:  read_only
        .address_space:  global
        .offset:         24
        .size:           8
        .value_kind:     global_buffer
      - .offset:         32
        .size:           4
        .value_kind:     by_value
      - .offset:         36
        .size:           4
        .value_kind:     by_value
      - .actual_access:  read_only
        .address_space:  global
        .offset:         40
        .size:           8
        .value_kind:     global_buffer
      - .actual_access:  read_only
        .address_space:  global
        .offset:         48
        .size:           8
        .value_kind:     global_buffer
      - .offset:         56
        .size:           4
        .value_kind:     by_value
      - .actual_access:  read_only
        .address_space:  global
        .offset:         64
        .size:           8
        .value_kind:     global_buffer
      - .offset:         72
        .size:           4
        .value_kind:     by_value
      - .offset:         76
        .size:           4
        .value_kind:     by_value
      - .offset:         80
        .size:           4
        .value_kind:     by_value
      - .address_space:  global
        .offset:         88
        .size:           8
        .value_kind:     global_buffer
      - .address_space:  global
        .offset:         96
        .size:           8
        .value_kind:     global_buffer
      - .offset:         104
        .size:           4
        .value_kind:     by_value
      - .offset:         108
        .size:           4
        .value_kind:     by_value
      - .offset:         112
        .size:           4
        .value_kind:     by_value
      - .offset:         116
        .size:           4
        .value_kind:     by_value
      - .offset:         120
        .size:           4
        .value_kind:     by_value
      - .offset:         128
        .size:           4
        .value_kind:     hidden_block_count_x
      - .offset:         132
        .size:           4
        .value_kind:     hidden_block_count_y
      - .offset:         136
        .size:           4
        .value_kind:     hidden_block_count_z
      - .offset:         140
        .size:           2
        .value_kind:     hidden_group_size_x
      - .offset:         142
        .size:           2
        .value_kind:     hidden_group_size_y
      - .offset:         144
        .size:           2
        .value_kind:     hidden_group_size_z
      - .offset:         146
        .size:           2
        .value_kind:     hidden_remainder_x
      - .offset:         148
        .size:           2
        .value_kind:     hidden_remainder_y
      - .offset:         150
        .size:           2
        .value_kind:     hidden_remainder_z
      - .offset:         168
        .size:           8
        .value_kind:     hidden_global_offset_x
      - .offset:         176
        .size:           8
        .value_kind:     hidden_global_offset_y
      - .offset:         184
        .size:           8
        .value_kind:     hidden_global_offset_z
      - .offset:         192
        .size:           2
        .value_kind:     hidden_grid_dims
      - .offset:         248
        .size:           4
        .value_kind:     hidden_dynamic_lds_size
    .group_segment_fixed_size: 544
    .kernarg_segment_align: 8
    .kernarg_segment_size: 384
    .language:       OpenCL C
    .language_version:
      - 2
      - 0
    .max_flat_workgroup_size: 1024
    .name:           _ZN4vllm25paged_attention_v1_kernelIttLi256ELi32ELi128ELNS_18Fp8KVCacheDataTypeE0ELb0EEEvPT_PKS2_PKT0_S8_ifPKiSA_iPKfiiiSC_SC_iiiii
    .private_segment_fixed_size: 140
    .sgpr_count:     30
    .sgpr_spill_count: 0
    .symbol:         _ZN4vllm25paged_attention_v1_kernelIttLi256ELi32ELi128ELNS_18Fp8KVCacheDataTypeE0ELb0EEEvPT_PKS2_PKT0_S8_ifPKiSA_iPKfiiiSC_SC_iiiii.kd
    .uniform_work_group_size: 1
    .uses_dynamic_stack: false
    .vgpr_count:     128
    .vgpr_spill_count: 34
    .wavefront_size: 32
  - .args:
      - .actual_access:  write_only
        .address_space:  global
        .offset:         0
        .size:           8
        .value_kind:     global_buffer
      - .actual_access:  read_only
        .address_space:  global
        .offset:         8
        .size:           8
        .value_kind:     global_buffer
      - .actual_access:  read_only
        .address_space:  global
        .offset:         16
        .size:           8
        .value_kind:     global_buffer
      - .actual_access:  read_only
        .address_space:  global
        .offset:         24
        .size:           8
        .value_kind:     global_buffer
      - .offset:         32
        .size:           4
        .value_kind:     by_value
      - .offset:         36
        .size:           4
        .value_kind:     by_value
      - .actual_access:  read_only
        .address_space:  global
        .offset:         40
        .size:           8
        .value_kind:     global_buffer
      - .actual_access:  read_only
        .address_space:  global
        .offset:         48
        .size:           8
        .value_kind:     global_buffer
      - .offset:         56
        .size:           4
        .value_kind:     by_value
      - .actual_access:  read_only
        .address_space:  global
        .offset:         64
        .size:           8
        .value_kind:     global_buffer
      - .offset:         72
        .size:           4
        .value_kind:     by_value
      - .offset:         76
        .size:           4
        .value_kind:     by_value
      - .offset:         80
        .size:           4
        .value_kind:     by_value
      - .address_space:  global
        .offset:         88
        .size:           8
        .value_kind:     global_buffer
      - .address_space:  global
        .offset:         96
        .size:           8
        .value_kind:     global_buffer
      - .offset:         104
        .size:           4
        .value_kind:     by_value
      - .offset:         108
        .size:           4
        .value_kind:     by_value
      - .offset:         112
        .size:           4
        .value_kind:     by_value
      - .offset:         116
        .size:           4
        .value_kind:     by_value
      - .offset:         120
        .size:           4
        .value_kind:     by_value
      - .offset:         128
        .size:           4
        .value_kind:     hidden_block_count_x
      - .offset:         132
        .size:           4
        .value_kind:     hidden_block_count_y
      - .offset:         136
        .size:           4
        .value_kind:     hidden_block_count_z
      - .offset:         140
        .size:           2
        .value_kind:     hidden_group_size_x
      - .offset:         142
        .size:           2
        .value_kind:     hidden_group_size_y
      - .offset:         144
        .size:           2
        .value_kind:     hidden_group_size_z
      - .offset:         146
        .size:           2
        .value_kind:     hidden_remainder_x
      - .offset:         148
        .size:           2
        .value_kind:     hidden_remainder_y
      - .offset:         150
        .size:           2
        .value_kind:     hidden_remainder_z
      - .offset:         168
        .size:           8
        .value_kind:     hidden_global_offset_x
      - .offset:         176
        .size:           8
        .value_kind:     hidden_global_offset_y
      - .offset:         184
        .size:           8
        .value_kind:     hidden_global_offset_z
      - .offset:         192
        .size:           2
        .value_kind:     hidden_grid_dims
      - .offset:         248
        .size:           4
        .value_kind:     hidden_dynamic_lds_size
    .group_segment_fixed_size: 96
    .kernarg_segment_align: 8
    .kernarg_segment_size: 384
    .language:       OpenCL C
    .language_version:
      - 2
      - 0
    .max_flat_workgroup_size: 1024
    .name:           _ZN4vllm25paged_attention_v1_kernelI14__hip_bfloat16S1_Li32ELi8ELi128ELNS_18Fp8KVCacheDataTypeE0ELb1EEEvPT_PKS3_PKT0_S9_ifPKiSB_iPKfiiiSD_SD_iiiii
    .private_segment_fixed_size: 0
    .sgpr_count:     42
    .sgpr_spill_count: 0
    .symbol:         _ZN4vllm25paged_attention_v1_kernelI14__hip_bfloat16S1_Li32ELi8ELi128ELNS_18Fp8KVCacheDataTypeE0ELb1EEEvPT_PKS3_PKT0_S9_ifPKiSB_iPKfiiiSD_SD_iiiii.kd
    .uniform_work_group_size: 1
    .uses_dynamic_stack: false
    .vgpr_count:     31
    .vgpr_spill_count: 0
    .wavefront_size: 32
  - .args:
      - .actual_access:  write_only
        .address_space:  global
        .offset:         0
        .size:           8
        .value_kind:     global_buffer
      - .actual_access:  read_only
        .address_space:  global
        .offset:         8
        .size:           8
        .value_kind:     global_buffer
      - .actual_access:  read_only
        .address_space:  global
        .offset:         16
        .size:           8
        .value_kind:     global_buffer
      - .actual_access:  read_only
        .address_space:  global
        .offset:         24
        .size:           8
        .value_kind:     global_buffer
      - .offset:         32
        .size:           4
        .value_kind:     by_value
      - .offset:         36
        .size:           4
        .value_kind:     by_value
      - .actual_access:  read_only
        .address_space:  global
        .offset:         40
        .size:           8
        .value_kind:     global_buffer
      - .actual_access:  read_only
        .address_space:  global
        .offset:         48
        .size:           8
        .value_kind:     global_buffer
      - .offset:         56
        .size:           4
        .value_kind:     by_value
      - .actual_access:  read_only
        .address_space:  global
        .offset:         64
        .size:           8
        .value_kind:     global_buffer
      - .offset:         72
        .size:           4
        .value_kind:     by_value
      - .offset:         76
        .size:           4
        .value_kind:     by_value
      - .offset:         80
        .size:           4
        .value_kind:     by_value
      - .address_space:  global
        .offset:         88
        .size:           8
        .value_kind:     global_buffer
      - .address_space:  global
        .offset:         96
        .size:           8
        .value_kind:     global_buffer
      - .offset:         104
        .size:           4
        .value_kind:     by_value
      - .offset:         108
        .size:           4
        .value_kind:     by_value
      - .offset:         112
        .size:           4
        .value_kind:     by_value
      - .offset:         116
        .size:           4
        .value_kind:     by_value
      - .offset:         120
        .size:           4
        .value_kind:     by_value
      - .offset:         128
        .size:           4
        .value_kind:     hidden_block_count_x
      - .offset:         132
        .size:           4
        .value_kind:     hidden_block_count_y
      - .offset:         136
        .size:           4
        .value_kind:     hidden_block_count_z
      - .offset:         140
        .size:           2
        .value_kind:     hidden_group_size_x
      - .offset:         142
        .size:           2
        .value_kind:     hidden_group_size_y
      - .offset:         144
        .size:           2
        .value_kind:     hidden_group_size_z
      - .offset:         146
        .size:           2
        .value_kind:     hidden_remainder_x
      - .offset:         148
        .size:           2
        .value_kind:     hidden_remainder_y
      - .offset:         150
        .size:           2
        .value_kind:     hidden_remainder_z
      - .offset:         168
        .size:           8
        .value_kind:     hidden_global_offset_x
      - .offset:         176
        .size:           8
        .value_kind:     hidden_global_offset_y
      - .offset:         184
        .size:           8
        .value_kind:     hidden_global_offset_z
      - .offset:         192
        .size:           2
        .value_kind:     hidden_grid_dims
      - .offset:         248
        .size:           4
        .value_kind:     hidden_dynamic_lds_size
    .group_segment_fixed_size: 160
    .kernarg_segment_align: 8
    .kernarg_segment_size: 384
    .language:       OpenCL C
    .language_version:
      - 2
      - 0
    .max_flat_workgroup_size: 1024
    .name:           _ZN4vllm25paged_attention_v1_kernelI14__hip_bfloat16S1_Li64ELi8ELi128ELNS_18Fp8KVCacheDataTypeE0ELb1EEEvPT_PKS3_PKT0_S9_ifPKiSB_iPKfiiiSD_SD_iiiii
    .private_segment_fixed_size: 0
    .sgpr_count:     44
    .sgpr_spill_count: 0
    .symbol:         _ZN4vllm25paged_attention_v1_kernelI14__hip_bfloat16S1_Li64ELi8ELi128ELNS_18Fp8KVCacheDataTypeE0ELb1EEEvPT_PKS3_PKT0_S9_ifPKiSB_iPKfiiiSD_SD_iiiii.kd
    .uniform_work_group_size: 1
    .uses_dynamic_stack: false
    .vgpr_count:     38
    .vgpr_spill_count: 0
    .wavefront_size: 32
  - .args:
      - .actual_access:  write_only
        .address_space:  global
        .offset:         0
        .size:           8
        .value_kind:     global_buffer
      - .actual_access:  read_only
        .address_space:  global
        .offset:         8
        .size:           8
        .value_kind:     global_buffer
      - .actual_access:  read_only
        .address_space:  global
        .offset:         16
        .size:           8
        .value_kind:     global_buffer
      - .actual_access:  read_only
        .address_space:  global
        .offset:         24
        .size:           8
        .value_kind:     global_buffer
      - .offset:         32
        .size:           4
        .value_kind:     by_value
      - .offset:         36
        .size:           4
        .value_kind:     by_value
      - .actual_access:  read_only
        .address_space:  global
        .offset:         40
        .size:           8
        .value_kind:     global_buffer
      - .actual_access:  read_only
        .address_space:  global
        .offset:         48
        .size:           8
        .value_kind:     global_buffer
      - .offset:         56
        .size:           4
        .value_kind:     by_value
      - .actual_access:  read_only
        .address_space:  global
        .offset:         64
        .size:           8
        .value_kind:     global_buffer
      - .offset:         72
        .size:           4
        .value_kind:     by_value
      - .offset:         76
        .size:           4
        .value_kind:     by_value
      - .offset:         80
        .size:           4
        .value_kind:     by_value
      - .address_space:  global
        .offset:         88
        .size:           8
        .value_kind:     global_buffer
      - .address_space:  global
        .offset:         96
        .size:           8
        .value_kind:     global_buffer
      - .offset:         104
        .size:           4
        .value_kind:     by_value
      - .offset:         108
        .size:           4
        .value_kind:     by_value
      - .offset:         112
        .size:           4
        .value_kind:     by_value
      - .offset:         116
        .size:           4
        .value_kind:     by_value
      - .offset:         120
        .size:           4
        .value_kind:     by_value
      - .offset:         128
        .size:           4
        .value_kind:     hidden_block_count_x
      - .offset:         132
        .size:           4
        .value_kind:     hidden_block_count_y
      - .offset:         136
        .size:           4
        .value_kind:     hidden_block_count_z
      - .offset:         140
        .size:           2
        .value_kind:     hidden_group_size_x
      - .offset:         142
        .size:           2
        .value_kind:     hidden_group_size_y
      - .offset:         144
        .size:           2
        .value_kind:     hidden_group_size_z
      - .offset:         146
        .size:           2
        .value_kind:     hidden_remainder_x
      - .offset:         148
        .size:           2
        .value_kind:     hidden_remainder_y
      - .offset:         150
        .size:           2
        .value_kind:     hidden_remainder_z
      - .offset:         168
        .size:           8
        .value_kind:     hidden_global_offset_x
      - .offset:         176
        .size:           8
        .value_kind:     hidden_global_offset_y
      - .offset:         184
        .size:           8
        .value_kind:     hidden_global_offset_z
      - .offset:         192
        .size:           2
        .value_kind:     hidden_grid_dims
      - .offset:         248
        .size:           4
        .value_kind:     hidden_dynamic_lds_size
    .group_segment_fixed_size: 192
    .kernarg_segment_align: 8
    .kernarg_segment_size: 384
    .language:       OpenCL C
    .language_version:
      - 2
      - 0
    .max_flat_workgroup_size: 1024
    .name:           _ZN4vllm25paged_attention_v1_kernelI14__hip_bfloat16S1_Li80ELi8ELi128ELNS_18Fp8KVCacheDataTypeE0ELb1EEEvPT_PKS3_PKT0_S9_ifPKiSB_iPKfiiiSD_SD_iiiii
    .private_segment_fixed_size: 0
    .sgpr_count:     42
    .sgpr_spill_count: 0
    .symbol:         _ZN4vllm25paged_attention_v1_kernelI14__hip_bfloat16S1_Li80ELi8ELi128ELNS_18Fp8KVCacheDataTypeE0ELb1EEEvPT_PKS3_PKT0_S9_ifPKiSB_iPKfiiiSD_SD_iiiii.kd
    .uniform_work_group_size: 1
    .uses_dynamic_stack: false
    .vgpr_count:     41
    .vgpr_spill_count: 0
    .wavefront_size: 32
  - .args:
      - .actual_access:  write_only
        .address_space:  global
        .offset:         0
        .size:           8
        .value_kind:     global_buffer
      - .actual_access:  read_only
        .address_space:  global
        .offset:         8
        .size:           8
        .value_kind:     global_buffer
      - .actual_access:  read_only
        .address_space:  global
        .offset:         16
        .size:           8
        .value_kind:     global_buffer
      - .actual_access:  read_only
        .address_space:  global
        .offset:         24
        .size:           8
        .value_kind:     global_buffer
      - .offset:         32
        .size:           4
        .value_kind:     by_value
      - .offset:         36
        .size:           4
        .value_kind:     by_value
      - .actual_access:  read_only
        .address_space:  global
        .offset:         40
        .size:           8
        .value_kind:     global_buffer
      - .actual_access:  read_only
        .address_space:  global
        .offset:         48
        .size:           8
        .value_kind:     global_buffer
      - .offset:         56
        .size:           4
        .value_kind:     by_value
      - .actual_access:  read_only
        .address_space:  global
        .offset:         64
        .size:           8
        .value_kind:     global_buffer
      - .offset:         72
        .size:           4
        .value_kind:     by_value
      - .offset:         76
        .size:           4
        .value_kind:     by_value
      - .offset:         80
        .size:           4
        .value_kind:     by_value
      - .address_space:  global
        .offset:         88
        .size:           8
        .value_kind:     global_buffer
      - .address_space:  global
        .offset:         96
        .size:           8
        .value_kind:     global_buffer
      - .offset:         104
        .size:           4
        .value_kind:     by_value
      - .offset:         108
        .size:           4
        .value_kind:     by_value
      - .offset:         112
        .size:           4
        .value_kind:     by_value
      - .offset:         116
        .size:           4
        .value_kind:     by_value
      - .offset:         120
        .size:           4
        .value_kind:     by_value
      - .offset:         128
        .size:           4
        .value_kind:     hidden_block_count_x
      - .offset:         132
        .size:           4
        .value_kind:     hidden_block_count_y
      - .offset:         136
        .size:           4
        .value_kind:     hidden_block_count_z
      - .offset:         140
        .size:           2
        .value_kind:     hidden_group_size_x
      - .offset:         142
        .size:           2
        .value_kind:     hidden_group_size_y
      - .offset:         144
        .size:           2
        .value_kind:     hidden_group_size_z
      - .offset:         146
        .size:           2
        .value_kind:     hidden_remainder_x
      - .offset:         148
        .size:           2
        .value_kind:     hidden_remainder_y
      - .offset:         150
        .size:           2
        .value_kind:     hidden_remainder_z
      - .offset:         168
        .size:           8
        .value_kind:     hidden_global_offset_x
      - .offset:         176
        .size:           8
        .value_kind:     hidden_global_offset_y
      - .offset:         184
        .size:           8
        .value_kind:     hidden_global_offset_z
      - .offset:         192
        .size:           2
        .value_kind:     hidden_grid_dims
      - .offset:         248
        .size:           4
        .value_kind:     hidden_dynamic_lds_size
    .group_segment_fixed_size: 224
    .kernarg_segment_align: 8
    .kernarg_segment_size: 384
    .language:       OpenCL C
    .language_version:
      - 2
      - 0
    .max_flat_workgroup_size: 1024
    .name:           _ZN4vllm25paged_attention_v1_kernelI14__hip_bfloat16S1_Li96ELi8ELi128ELNS_18Fp8KVCacheDataTypeE0ELb1EEEvPT_PKS3_PKT0_S9_ifPKiSB_iPKfiiiSD_SD_iiiii
    .private_segment_fixed_size: 0
    .sgpr_count:     42
    .sgpr_spill_count: 0
    .symbol:         _ZN4vllm25paged_attention_v1_kernelI14__hip_bfloat16S1_Li96ELi8ELi128ELNS_18Fp8KVCacheDataTypeE0ELb1EEEvPT_PKS3_PKT0_S9_ifPKiSB_iPKfiiiSD_SD_iiiii.kd
    .uniform_work_group_size: 1
    .uses_dynamic_stack: false
    .vgpr_count:     43
    .vgpr_spill_count: 0
    .wavefront_size: 32
  - .args:
      - .actual_access:  write_only
        .address_space:  global
        .offset:         0
        .size:           8
        .value_kind:     global_buffer
      - .actual_access:  read_only
        .address_space:  global
        .offset:         8
        .size:           8
        .value_kind:     global_buffer
      - .actual_access:  read_only
        .address_space:  global
        .offset:         16
        .size:           8
        .value_kind:     global_buffer
      - .actual_access:  read_only
        .address_space:  global
        .offset:         24
        .size:           8
        .value_kind:     global_buffer
      - .offset:         32
        .size:           4
        .value_kind:     by_value
      - .offset:         36
        .size:           4
        .value_kind:     by_value
      - .actual_access:  read_only
        .address_space:  global
        .offset:         40
        .size:           8
        .value_kind:     global_buffer
      - .actual_access:  read_only
        .address_space:  global
        .offset:         48
        .size:           8
        .value_kind:     global_buffer
      - .offset:         56
        .size:           4
        .value_kind:     by_value
      - .actual_access:  read_only
        .address_space:  global
        .offset:         64
        .size:           8
        .value_kind:     global_buffer
      - .offset:         72
        .size:           4
        .value_kind:     by_value
      - .offset:         76
        .size:           4
        .value_kind:     by_value
      - .offset:         80
        .size:           4
        .value_kind:     by_value
      - .address_space:  global
        .offset:         88
        .size:           8
        .value_kind:     global_buffer
      - .address_space:  global
        .offset:         96
        .size:           8
        .value_kind:     global_buffer
      - .offset:         104
        .size:           4
        .value_kind:     by_value
      - .offset:         108
        .size:           4
        .value_kind:     by_value
      - .offset:         112
        .size:           4
        .value_kind:     by_value
      - .offset:         116
        .size:           4
        .value_kind:     by_value
      - .offset:         120
        .size:           4
        .value_kind:     by_value
      - .offset:         128
        .size:           4
        .value_kind:     hidden_block_count_x
      - .offset:         132
        .size:           4
        .value_kind:     hidden_block_count_y
      - .offset:         136
        .size:           4
        .value_kind:     hidden_block_count_z
      - .offset:         140
        .size:           2
        .value_kind:     hidden_group_size_x
      - .offset:         142
        .size:           2
        .value_kind:     hidden_group_size_y
      - .offset:         144
        .size:           2
        .value_kind:     hidden_group_size_z
      - .offset:         146
        .size:           2
        .value_kind:     hidden_remainder_x
      - .offset:         148
        .size:           2
        .value_kind:     hidden_remainder_y
      - .offset:         150
        .size:           2
        .value_kind:     hidden_remainder_z
      - .offset:         168
        .size:           8
        .value_kind:     hidden_global_offset_x
      - .offset:         176
        .size:           8
        .value_kind:     hidden_global_offset_y
      - .offset:         184
        .size:           8
        .value_kind:     hidden_global_offset_z
      - .offset:         192
        .size:           2
        .value_kind:     hidden_grid_dims
      - .offset:         248
        .size:           4
        .value_kind:     hidden_dynamic_lds_size
    .group_segment_fixed_size: 256
    .kernarg_segment_align: 8
    .kernarg_segment_size: 384
    .language:       OpenCL C
    .language_version:
      - 2
      - 0
    .max_flat_workgroup_size: 1024
    .name:           _ZN4vllm25paged_attention_v1_kernelI14__hip_bfloat16S1_Li112ELi8ELi128ELNS_18Fp8KVCacheDataTypeE0ELb1EEEvPT_PKS3_PKT0_S9_ifPKiSB_iPKfiiiSD_SD_iiiii
    .private_segment_fixed_size: 0
    .sgpr_count:     42
    .sgpr_spill_count: 0
    .symbol:         _ZN4vllm25paged_attention_v1_kernelI14__hip_bfloat16S1_Li112ELi8ELi128ELNS_18Fp8KVCacheDataTypeE0ELb1EEEvPT_PKS3_PKT0_S9_ifPKiSB_iPKfiiiSD_SD_iiiii.kd
    .uniform_work_group_size: 1
    .uses_dynamic_stack: false
    .vgpr_count:     45
    .vgpr_spill_count: 0
    .wavefront_size: 32
  - .args:
      - .actual_access:  write_only
        .address_space:  global
        .offset:         0
        .size:           8
        .value_kind:     global_buffer
      - .actual_access:  read_only
        .address_space:  global
        .offset:         8
        .size:           8
        .value_kind:     global_buffer
      - .actual_access:  read_only
        .address_space:  global
        .offset:         16
        .size:           8
        .value_kind:     global_buffer
      - .actual_access:  read_only
        .address_space:  global
        .offset:         24
        .size:           8
        .value_kind:     global_buffer
      - .offset:         32
        .size:           4
        .value_kind:     by_value
      - .offset:         36
        .size:           4
        .value_kind:     by_value
      - .actual_access:  read_only
        .address_space:  global
        .offset:         40
        .size:           8
        .value_kind:     global_buffer
      - .actual_access:  read_only
        .address_space:  global
        .offset:         48
        .size:           8
        .value_kind:     global_buffer
      - .offset:         56
        .size:           4
        .value_kind:     by_value
      - .actual_access:  read_only
        .address_space:  global
        .offset:         64
        .size:           8
        .value_kind:     global_buffer
      - .offset:         72
        .size:           4
        .value_kind:     by_value
      - .offset:         76
        .size:           4
        .value_kind:     by_value
      - .offset:         80
        .size:           4
        .value_kind:     by_value
      - .address_space:  global
        .offset:         88
        .size:           8
        .value_kind:     global_buffer
      - .address_space:  global
        .offset:         96
        .size:           8
        .value_kind:     global_buffer
      - .offset:         104
        .size:           4
        .value_kind:     by_value
      - .offset:         108
        .size:           4
        .value_kind:     by_value
      - .offset:         112
        .size:           4
        .value_kind:     by_value
      - .offset:         116
        .size:           4
        .value_kind:     by_value
      - .offset:         120
        .size:           4
        .value_kind:     by_value
      - .offset:         128
        .size:           4
        .value_kind:     hidden_block_count_x
      - .offset:         132
        .size:           4
        .value_kind:     hidden_block_count_y
      - .offset:         136
        .size:           4
        .value_kind:     hidden_block_count_z
      - .offset:         140
        .size:           2
        .value_kind:     hidden_group_size_x
      - .offset:         142
        .size:           2
        .value_kind:     hidden_group_size_y
      - .offset:         144
        .size:           2
        .value_kind:     hidden_group_size_z
      - .offset:         146
        .size:           2
        .value_kind:     hidden_remainder_x
      - .offset:         148
        .size:           2
        .value_kind:     hidden_remainder_y
      - .offset:         150
        .size:           2
        .value_kind:     hidden_remainder_z
      - .offset:         168
        .size:           8
        .value_kind:     hidden_global_offset_x
      - .offset:         176
        .size:           8
        .value_kind:     hidden_global_offset_y
      - .offset:         184
        .size:           8
        .value_kind:     hidden_global_offset_z
      - .offset:         192
        .size:           2
        .value_kind:     hidden_grid_dims
      - .offset:         248
        .size:           4
        .value_kind:     hidden_dynamic_lds_size
    .group_segment_fixed_size: 272
    .kernarg_segment_align: 8
    .kernarg_segment_size: 384
    .language:       OpenCL C
    .language_version:
      - 2
      - 0
    .max_flat_workgroup_size: 1024
    .name:           _ZN4vllm25paged_attention_v1_kernelI14__hip_bfloat16S1_Li120ELi8ELi128ELNS_18Fp8KVCacheDataTypeE0ELb1EEEvPT_PKS3_PKT0_S9_ifPKiSB_iPKfiiiSD_SD_iiiii
    .private_segment_fixed_size: 0
    .sgpr_count:     42
    .sgpr_spill_count: 0
    .symbol:         _ZN4vllm25paged_attention_v1_kernelI14__hip_bfloat16S1_Li120ELi8ELi128ELNS_18Fp8KVCacheDataTypeE0ELb1EEEvPT_PKS3_PKT0_S9_ifPKiSB_iPKfiiiSD_SD_iiiii.kd
    .uniform_work_group_size: 1
    .uses_dynamic_stack: false
    .vgpr_count:     45
    .vgpr_spill_count: 0
    .wavefront_size: 32
  - .args:
      - .actual_access:  write_only
        .address_space:  global
        .offset:         0
        .size:           8
        .value_kind:     global_buffer
      - .actual_access:  read_only
        .address_space:  global
        .offset:         8
        .size:           8
        .value_kind:     global_buffer
      - .actual_access:  read_only
        .address_space:  global
        .offset:         16
        .size:           8
        .value_kind:     global_buffer
      - .actual_access:  read_only
        .address_space:  global
        .offset:         24
        .size:           8
        .value_kind:     global_buffer
      - .offset:         32
        .size:           4
        .value_kind:     by_value
      - .offset:         36
        .size:           4
        .value_kind:     by_value
      - .actual_access:  read_only
        .address_space:  global
        .offset:         40
        .size:           8
        .value_kind:     global_buffer
      - .actual_access:  read_only
        .address_space:  global
        .offset:         48
        .size:           8
        .value_kind:     global_buffer
      - .offset:         56
        .size:           4
        .value_kind:     by_value
      - .actual_access:  read_only
        .address_space:  global
        .offset:         64
        .size:           8
        .value_kind:     global_buffer
      - .offset:         72
        .size:           4
        .value_kind:     by_value
      - .offset:         76
        .size:           4
        .value_kind:     by_value
      - .offset:         80
        .size:           4
        .value_kind:     by_value
      - .address_space:  global
        .offset:         88
        .size:           8
        .value_kind:     global_buffer
      - .address_space:  global
        .offset:         96
        .size:           8
        .value_kind:     global_buffer
      - .offset:         104
        .size:           4
        .value_kind:     by_value
      - .offset:         108
        .size:           4
        .value_kind:     by_value
      - .offset:         112
        .size:           4
        .value_kind:     by_value
      - .offset:         116
        .size:           4
        .value_kind:     by_value
      - .offset:         120
        .size:           4
        .value_kind:     by_value
      - .offset:         128
        .size:           4
        .value_kind:     hidden_block_count_x
      - .offset:         132
        .size:           4
        .value_kind:     hidden_block_count_y
      - .offset:         136
        .size:           4
        .value_kind:     hidden_block_count_z
      - .offset:         140
        .size:           2
        .value_kind:     hidden_group_size_x
      - .offset:         142
        .size:           2
        .value_kind:     hidden_group_size_y
      - .offset:         144
        .size:           2
        .value_kind:     hidden_group_size_z
      - .offset:         146
        .size:           2
        .value_kind:     hidden_remainder_x
      - .offset:         148
        .size:           2
        .value_kind:     hidden_remainder_y
      - .offset:         150
        .size:           2
        .value_kind:     hidden_remainder_z
      - .offset:         168
        .size:           8
        .value_kind:     hidden_global_offset_x
      - .offset:         176
        .size:           8
        .value_kind:     hidden_global_offset_y
      - .offset:         184
        .size:           8
        .value_kind:     hidden_global_offset_z
      - .offset:         192
        .size:           2
        .value_kind:     hidden_grid_dims
      - .offset:         248
        .size:           4
        .value_kind:     hidden_dynamic_lds_size
    .group_segment_fixed_size: 288
    .kernarg_segment_align: 8
    .kernarg_segment_size: 384
    .language:       OpenCL C
    .language_version:
      - 2
      - 0
    .max_flat_workgroup_size: 1024
    .name:           _ZN4vllm25paged_attention_v1_kernelI14__hip_bfloat16S1_Li128ELi8ELi128ELNS_18Fp8KVCacheDataTypeE0ELb1EEEvPT_PKS3_PKT0_S9_ifPKiSB_iPKfiiiSD_SD_iiiii
    .private_segment_fixed_size: 0
    .sgpr_count:     44
    .sgpr_spill_count: 0
    .symbol:         _ZN4vllm25paged_attention_v1_kernelI14__hip_bfloat16S1_Li128ELi8ELi128ELNS_18Fp8KVCacheDataTypeE0ELb1EEEvPT_PKS3_PKT0_S9_ifPKiSB_iPKfiiiSD_SD_iiiii.kd
    .uniform_work_group_size: 1
    .uses_dynamic_stack: false
    .vgpr_count:     49
    .vgpr_spill_count: 0
    .wavefront_size: 32
  - .args:
      - .actual_access:  write_only
        .address_space:  global
        .offset:         0
        .size:           8
        .value_kind:     global_buffer
      - .actual_access:  read_only
        .address_space:  global
        .offset:         8
        .size:           8
        .value_kind:     global_buffer
      - .actual_access:  read_only
        .address_space:  global
        .offset:         16
        .size:           8
        .value_kind:     global_buffer
      - .actual_access:  read_only
        .address_space:  global
        .offset:         24
        .size:           8
        .value_kind:     global_buffer
      - .offset:         32
        .size:           4
        .value_kind:     by_value
      - .offset:         36
        .size:           4
        .value_kind:     by_value
      - .actual_access:  read_only
        .address_space:  global
        .offset:         40
        .size:           8
        .value_kind:     global_buffer
      - .actual_access:  read_only
        .address_space:  global
        .offset:         48
        .size:           8
        .value_kind:     global_buffer
      - .offset:         56
        .size:           4
        .value_kind:     by_value
      - .actual_access:  read_only
        .address_space:  global
        .offset:         64
        .size:           8
        .value_kind:     global_buffer
      - .offset:         72
        .size:           4
        .value_kind:     by_value
      - .offset:         76
        .size:           4
        .value_kind:     by_value
      - .offset:         80
        .size:           4
        .value_kind:     by_value
      - .address_space:  global
        .offset:         88
        .size:           8
        .value_kind:     global_buffer
      - .address_space:  global
        .offset:         96
        .size:           8
        .value_kind:     global_buffer
      - .offset:         104
        .size:           4
        .value_kind:     by_value
      - .offset:         108
        .size:           4
        .value_kind:     by_value
      - .offset:         112
        .size:           4
        .value_kind:     by_value
      - .offset:         116
        .size:           4
        .value_kind:     by_value
      - .offset:         120
        .size:           4
        .value_kind:     by_value
      - .offset:         128
        .size:           4
        .value_kind:     hidden_block_count_x
      - .offset:         132
        .size:           4
        .value_kind:     hidden_block_count_y
      - .offset:         136
        .size:           4
        .value_kind:     hidden_block_count_z
      - .offset:         140
        .size:           2
        .value_kind:     hidden_group_size_x
      - .offset:         142
        .size:           2
        .value_kind:     hidden_group_size_y
      - .offset:         144
        .size:           2
        .value_kind:     hidden_group_size_z
      - .offset:         146
        .size:           2
        .value_kind:     hidden_remainder_x
      - .offset:         148
        .size:           2
        .value_kind:     hidden_remainder_y
      - .offset:         150
        .size:           2
        .value_kind:     hidden_remainder_z
      - .offset:         168
        .size:           8
        .value_kind:     hidden_global_offset_x
      - .offset:         176
        .size:           8
        .value_kind:     hidden_global_offset_y
      - .offset:         184
        .size:           8
        .value_kind:     hidden_global_offset_z
      - .offset:         192
        .size:           2
        .value_kind:     hidden_grid_dims
      - .offset:         248
        .size:           4
        .value_kind:     hidden_dynamic_lds_size
    .group_segment_fixed_size: 416
    .kernarg_segment_align: 8
    .kernarg_segment_size: 384
    .language:       OpenCL C
    .language_version:
      - 2
      - 0
    .max_flat_workgroup_size: 1024
    .name:           _ZN4vllm25paged_attention_v1_kernelI14__hip_bfloat16S1_Li192ELi8ELi128ELNS_18Fp8KVCacheDataTypeE0ELb1EEEvPT_PKS3_PKT0_S9_ifPKiSB_iPKfiiiSD_SD_iiiii
    .private_segment_fixed_size: 0
    .sgpr_count:     42
    .sgpr_spill_count: 0
    .symbol:         _ZN4vllm25paged_attention_v1_kernelI14__hip_bfloat16S1_Li192ELi8ELi128ELNS_18Fp8KVCacheDataTypeE0ELb1EEEvPT_PKS3_PKT0_S9_ifPKiSB_iPKfiiiSD_SD_iiiii.kd
    .uniform_work_group_size: 1
    .uses_dynamic_stack: false
    .vgpr_count:     59
    .vgpr_spill_count: 0
    .wavefront_size: 32
  - .args:
      - .actual_access:  write_only
        .address_space:  global
        .offset:         0
        .size:           8
        .value_kind:     global_buffer
      - .actual_access:  read_only
        .address_space:  global
        .offset:         8
        .size:           8
        .value_kind:     global_buffer
      - .actual_access:  read_only
        .address_space:  global
        .offset:         16
        .size:           8
        .value_kind:     global_buffer
      - .actual_access:  read_only
        .address_space:  global
        .offset:         24
        .size:           8
        .value_kind:     global_buffer
      - .offset:         32
        .size:           4
        .value_kind:     by_value
      - .offset:         36
        .size:           4
        .value_kind:     by_value
      - .actual_access:  read_only
        .address_space:  global
        .offset:         40
        .size:           8
        .value_kind:     global_buffer
      - .actual_access:  read_only
        .address_space:  global
        .offset:         48
        .size:           8
        .value_kind:     global_buffer
      - .offset:         56
        .size:           4
        .value_kind:     by_value
      - .actual_access:  read_only
        .address_space:  global
        .offset:         64
        .size:           8
        .value_kind:     global_buffer
      - .offset:         72
        .size:           4
        .value_kind:     by_value
      - .offset:         76
        .size:           4
        .value_kind:     by_value
      - .offset:         80
        .size:           4
        .value_kind:     by_value
      - .address_space:  global
        .offset:         88
        .size:           8
        .value_kind:     global_buffer
      - .address_space:  global
        .offset:         96
        .size:           8
        .value_kind:     global_buffer
      - .offset:         104
        .size:           4
        .value_kind:     by_value
      - .offset:         108
        .size:           4
        .value_kind:     by_value
      - .offset:         112
        .size:           4
        .value_kind:     by_value
      - .offset:         116
        .size:           4
        .value_kind:     by_value
      - .offset:         120
        .size:           4
        .value_kind:     by_value
      - .offset:         128
        .size:           4
        .value_kind:     hidden_block_count_x
      - .offset:         132
        .size:           4
        .value_kind:     hidden_block_count_y
      - .offset:         136
        .size:           4
        .value_kind:     hidden_block_count_z
      - .offset:         140
        .size:           2
        .value_kind:     hidden_group_size_x
      - .offset:         142
        .size:           2
        .value_kind:     hidden_group_size_y
      - .offset:         144
        .size:           2
        .value_kind:     hidden_group_size_z
      - .offset:         146
        .size:           2
        .value_kind:     hidden_remainder_x
      - .offset:         148
        .size:           2
        .value_kind:     hidden_remainder_y
      - .offset:         150
        .size:           2
        .value_kind:     hidden_remainder_z
      - .offset:         168
        .size:           8
        .value_kind:     hidden_global_offset_x
      - .offset:         176
        .size:           8
        .value_kind:     hidden_global_offset_y
      - .offset:         184
        .size:           8
        .value_kind:     hidden_global_offset_z
      - .offset:         192
        .size:           2
        .value_kind:     hidden_grid_dims
      - .offset:         248
        .size:           4
        .value_kind:     hidden_dynamic_lds_size
    .group_segment_fixed_size: 544
    .kernarg_segment_align: 8
    .kernarg_segment_size: 384
    .language:       OpenCL C
    .language_version:
      - 2
      - 0
    .max_flat_workgroup_size: 1024
    .name:           _ZN4vllm25paged_attention_v1_kernelI14__hip_bfloat16S1_Li256ELi8ELi128ELNS_18Fp8KVCacheDataTypeE0ELb1EEEvPT_PKS3_PKT0_S9_ifPKiSB_iPKfiiiSD_SD_iiiii
    .private_segment_fixed_size: 0
    .sgpr_count:     42
    .sgpr_spill_count: 0
    .symbol:         _ZN4vllm25paged_attention_v1_kernelI14__hip_bfloat16S1_Li256ELi8ELi128ELNS_18Fp8KVCacheDataTypeE0ELb1EEEvPT_PKS3_PKT0_S9_ifPKiSB_iPKfiiiSD_SD_iiiii.kd
    .uniform_work_group_size: 1
    .uses_dynamic_stack: false
    .vgpr_count:     69
    .vgpr_spill_count: 0
    .wavefront_size: 32
  - .args:
      - .actual_access:  write_only
        .address_space:  global
        .offset:         0
        .size:           8
        .value_kind:     global_buffer
      - .actual_access:  read_only
        .address_space:  global
        .offset:         8
        .size:           8
        .value_kind:     global_buffer
      - .actual_access:  read_only
        .address_space:  global
        .offset:         16
        .size:           8
        .value_kind:     global_buffer
      - .actual_access:  read_only
        .address_space:  global
        .offset:         24
        .size:           8
        .value_kind:     global_buffer
      - .offset:         32
        .size:           4
        .value_kind:     by_value
      - .offset:         36
        .size:           4
        .value_kind:     by_value
      - .actual_access:  read_only
        .address_space:  global
        .offset:         40
        .size:           8
        .value_kind:     global_buffer
      - .actual_access:  read_only
        .address_space:  global
        .offset:         48
        .size:           8
        .value_kind:     global_buffer
      - .offset:         56
        .size:           4
        .value_kind:     by_value
      - .actual_access:  read_only
        .address_space:  global
        .offset:         64
        .size:           8
        .value_kind:     global_buffer
      - .offset:         72
        .size:           4
        .value_kind:     by_value
      - .offset:         76
        .size:           4
        .value_kind:     by_value
      - .offset:         80
        .size:           4
        .value_kind:     by_value
      - .address_space:  global
        .offset:         88
        .size:           8
        .value_kind:     global_buffer
      - .address_space:  global
        .offset:         96
        .size:           8
        .value_kind:     global_buffer
      - .offset:         104
        .size:           4
        .value_kind:     by_value
      - .offset:         108
        .size:           4
        .value_kind:     by_value
      - .offset:         112
        .size:           4
        .value_kind:     by_value
      - .offset:         116
        .size:           4
        .value_kind:     by_value
      - .offset:         120
        .size:           4
        .value_kind:     by_value
      - .offset:         128
        .size:           4
        .value_kind:     hidden_block_count_x
      - .offset:         132
        .size:           4
        .value_kind:     hidden_block_count_y
      - .offset:         136
        .size:           4
        .value_kind:     hidden_block_count_z
      - .offset:         140
        .size:           2
        .value_kind:     hidden_group_size_x
      - .offset:         142
        .size:           2
        .value_kind:     hidden_group_size_y
      - .offset:         144
        .size:           2
        .value_kind:     hidden_group_size_z
      - .offset:         146
        .size:           2
        .value_kind:     hidden_remainder_x
      - .offset:         148
        .size:           2
        .value_kind:     hidden_remainder_y
      - .offset:         150
        .size:           2
        .value_kind:     hidden_remainder_z
      - .offset:         168
        .size:           8
        .value_kind:     hidden_global_offset_x
      - .offset:         176
        .size:           8
        .value_kind:     hidden_global_offset_y
      - .offset:         184
        .size:           8
        .value_kind:     hidden_global_offset_z
      - .offset:         192
        .size:           2
        .value_kind:     hidden_grid_dims
      - .offset:         248
        .size:           4
        .value_kind:     hidden_dynamic_lds_size
    .group_segment_fixed_size: 96
    .kernarg_segment_align: 8
    .kernarg_segment_size: 384
    .language:       OpenCL C
    .language_version:
      - 2
      - 0
    .max_flat_workgroup_size: 1024
    .name:           _ZN4vllm25paged_attention_v1_kernelI14__hip_bfloat16S1_Li32ELi8ELi128ELNS_18Fp8KVCacheDataTypeE0ELb0EEEvPT_PKS3_PKT0_S9_ifPKiSB_iPKfiiiSD_SD_iiiii
    .private_segment_fixed_size: 0
    .sgpr_count:     32
    .sgpr_spill_count: 0
    .symbol:         _ZN4vllm25paged_attention_v1_kernelI14__hip_bfloat16S1_Li32ELi8ELi128ELNS_18Fp8KVCacheDataTypeE0ELb0EEEvPT_PKS3_PKT0_S9_ifPKiSB_iPKfiiiSD_SD_iiiii.kd
    .uniform_work_group_size: 1
    .uses_dynamic_stack: false
    .vgpr_count:     30
    .vgpr_spill_count: 0
    .wavefront_size: 32
  - .args:
      - .actual_access:  write_only
        .address_space:  global
        .offset:         0
        .size:           8
        .value_kind:     global_buffer
      - .actual_access:  read_only
        .address_space:  global
        .offset:         8
        .size:           8
        .value_kind:     global_buffer
      - .actual_access:  read_only
        .address_space:  global
        .offset:         16
        .size:           8
        .value_kind:     global_buffer
      - .actual_access:  read_only
        .address_space:  global
        .offset:         24
        .size:           8
        .value_kind:     global_buffer
      - .offset:         32
        .size:           4
        .value_kind:     by_value
      - .offset:         36
        .size:           4
        .value_kind:     by_value
      - .actual_access:  read_only
        .address_space:  global
        .offset:         40
        .size:           8
        .value_kind:     global_buffer
      - .actual_access:  read_only
        .address_space:  global
        .offset:         48
        .size:           8
        .value_kind:     global_buffer
      - .offset:         56
        .size:           4
        .value_kind:     by_value
      - .actual_access:  read_only
        .address_space:  global
        .offset:         64
        .size:           8
        .value_kind:     global_buffer
      - .offset:         72
        .size:           4
        .value_kind:     by_value
      - .offset:         76
        .size:           4
        .value_kind:     by_value
      - .offset:         80
        .size:           4
        .value_kind:     by_value
      - .address_space:  global
        .offset:         88
        .size:           8
        .value_kind:     global_buffer
      - .address_space:  global
        .offset:         96
        .size:           8
        .value_kind:     global_buffer
      - .offset:         104
        .size:           4
        .value_kind:     by_value
      - .offset:         108
        .size:           4
        .value_kind:     by_value
      - .offset:         112
        .size:           4
        .value_kind:     by_value
      - .offset:         116
        .size:           4
        .value_kind:     by_value
      - .offset:         120
        .size:           4
        .value_kind:     by_value
      - .offset:         128
        .size:           4
        .value_kind:     hidden_block_count_x
      - .offset:         132
        .size:           4
        .value_kind:     hidden_block_count_y
      - .offset:         136
        .size:           4
        .value_kind:     hidden_block_count_z
      - .offset:         140
        .size:           2
        .value_kind:     hidden_group_size_x
      - .offset:         142
        .size:           2
        .value_kind:     hidden_group_size_y
      - .offset:         144
        .size:           2
        .value_kind:     hidden_group_size_z
      - .offset:         146
        .size:           2
        .value_kind:     hidden_remainder_x
      - .offset:         148
        .size:           2
        .value_kind:     hidden_remainder_y
      - .offset:         150
        .size:           2
        .value_kind:     hidden_remainder_z
      - .offset:         168
        .size:           8
        .value_kind:     hidden_global_offset_x
      - .offset:         176
        .size:           8
        .value_kind:     hidden_global_offset_y
      - .offset:         184
        .size:           8
        .value_kind:     hidden_global_offset_z
      - .offset:         192
        .size:           2
        .value_kind:     hidden_grid_dims
      - .offset:         248
        .size:           4
        .value_kind:     hidden_dynamic_lds_size
    .group_segment_fixed_size: 160
    .kernarg_segment_align: 8
    .kernarg_segment_size: 384
    .language:       OpenCL C
    .language_version:
      - 2
      - 0
    .max_flat_workgroup_size: 1024
    .name:           _ZN4vllm25paged_attention_v1_kernelI14__hip_bfloat16S1_Li64ELi8ELi128ELNS_18Fp8KVCacheDataTypeE0ELb0EEEvPT_PKS3_PKT0_S9_ifPKiSB_iPKfiiiSD_SD_iiiii
    .private_segment_fixed_size: 0
    .sgpr_count:     30
    .sgpr_spill_count: 0
    .symbol:         _ZN4vllm25paged_attention_v1_kernelI14__hip_bfloat16S1_Li64ELi8ELi128ELNS_18Fp8KVCacheDataTypeE0ELb0EEEvPT_PKS3_PKT0_S9_ifPKiSB_iPKfiiiSD_SD_iiiii.kd
    .uniform_work_group_size: 1
    .uses_dynamic_stack: false
    .vgpr_count:     42
    .vgpr_spill_count: 0
    .wavefront_size: 32
  - .args:
      - .actual_access:  write_only
        .address_space:  global
        .offset:         0
        .size:           8
        .value_kind:     global_buffer
      - .actual_access:  read_only
        .address_space:  global
        .offset:         8
        .size:           8
        .value_kind:     global_buffer
      - .actual_access:  read_only
        .address_space:  global
        .offset:         16
        .size:           8
        .value_kind:     global_buffer
      - .actual_access:  read_only
        .address_space:  global
        .offset:         24
        .size:           8
        .value_kind:     global_buffer
      - .offset:         32
        .size:           4
        .value_kind:     by_value
      - .offset:         36
        .size:           4
        .value_kind:     by_value
      - .actual_access:  read_only
        .address_space:  global
        .offset:         40
        .size:           8
        .value_kind:     global_buffer
      - .actual_access:  read_only
        .address_space:  global
        .offset:         48
        .size:           8
        .value_kind:     global_buffer
      - .offset:         56
        .size:           4
        .value_kind:     by_value
      - .actual_access:  read_only
        .address_space:  global
        .offset:         64
        .size:           8
        .value_kind:     global_buffer
      - .offset:         72
        .size:           4
        .value_kind:     by_value
      - .offset:         76
        .size:           4
        .value_kind:     by_value
      - .offset:         80
        .size:           4
        .value_kind:     by_value
      - .address_space:  global
        .offset:         88
        .size:           8
        .value_kind:     global_buffer
      - .address_space:  global
        .offset:         96
        .size:           8
        .value_kind:     global_buffer
      - .offset:         104
        .size:           4
        .value_kind:     by_value
      - .offset:         108
        .size:           4
        .value_kind:     by_value
      - .offset:         112
        .size:           4
        .value_kind:     by_value
      - .offset:         116
        .size:           4
        .value_kind:     by_value
      - .offset:         120
        .size:           4
        .value_kind:     by_value
      - .offset:         128
        .size:           4
        .value_kind:     hidden_block_count_x
      - .offset:         132
        .size:           4
        .value_kind:     hidden_block_count_y
      - .offset:         136
        .size:           4
        .value_kind:     hidden_block_count_z
      - .offset:         140
        .size:           2
        .value_kind:     hidden_group_size_x
      - .offset:         142
        .size:           2
        .value_kind:     hidden_group_size_y
      - .offset:         144
        .size:           2
        .value_kind:     hidden_group_size_z
      - .offset:         146
        .size:           2
        .value_kind:     hidden_remainder_x
      - .offset:         148
        .size:           2
        .value_kind:     hidden_remainder_y
      - .offset:         150
        .size:           2
        .value_kind:     hidden_remainder_z
      - .offset:         168
        .size:           8
        .value_kind:     hidden_global_offset_x
      - .offset:         176
        .size:           8
        .value_kind:     hidden_global_offset_y
      - .offset:         184
        .size:           8
        .value_kind:     hidden_global_offset_z
      - .offset:         192
        .size:           2
        .value_kind:     hidden_grid_dims
      - .offset:         248
        .size:           4
        .value_kind:     hidden_dynamic_lds_size
    .group_segment_fixed_size: 192
    .kernarg_segment_align: 8
    .kernarg_segment_size: 384
    .language:       OpenCL C
    .language_version:
      - 2
      - 0
    .max_flat_workgroup_size: 1024
    .name:           _ZN4vllm25paged_attention_v1_kernelI14__hip_bfloat16S1_Li80ELi8ELi128ELNS_18Fp8KVCacheDataTypeE0ELb0EEEvPT_PKS3_PKT0_S9_ifPKiSB_iPKfiiiSD_SD_iiiii
    .private_segment_fixed_size: 0
    .sgpr_count:     32
    .sgpr_spill_count: 0
    .symbol:         _ZN4vllm25paged_attention_v1_kernelI14__hip_bfloat16S1_Li80ELi8ELi128ELNS_18Fp8KVCacheDataTypeE0ELb0EEEvPT_PKS3_PKT0_S9_ifPKiSB_iPKfiiiSD_SD_iiiii.kd
    .uniform_work_group_size: 1
    .uses_dynamic_stack: false
    .vgpr_count:     48
    .vgpr_spill_count: 0
    .wavefront_size: 32
  - .args:
      - .actual_access:  write_only
        .address_space:  global
        .offset:         0
        .size:           8
        .value_kind:     global_buffer
      - .actual_access:  read_only
        .address_space:  global
        .offset:         8
        .size:           8
        .value_kind:     global_buffer
      - .actual_access:  read_only
        .address_space:  global
        .offset:         16
        .size:           8
        .value_kind:     global_buffer
      - .actual_access:  read_only
        .address_space:  global
        .offset:         24
        .size:           8
        .value_kind:     global_buffer
      - .offset:         32
        .size:           4
        .value_kind:     by_value
      - .offset:         36
        .size:           4
        .value_kind:     by_value
      - .actual_access:  read_only
        .address_space:  global
        .offset:         40
        .size:           8
        .value_kind:     global_buffer
      - .actual_access:  read_only
        .address_space:  global
        .offset:         48
        .size:           8
        .value_kind:     global_buffer
      - .offset:         56
        .size:           4
        .value_kind:     by_value
      - .actual_access:  read_only
        .address_space:  global
        .offset:         64
        .size:           8
        .value_kind:     global_buffer
      - .offset:         72
        .size:           4
        .value_kind:     by_value
      - .offset:         76
        .size:           4
        .value_kind:     by_value
      - .offset:         80
        .size:           4
        .value_kind:     by_value
      - .address_space:  global
        .offset:         88
        .size:           8
        .value_kind:     global_buffer
      - .address_space:  global
        .offset:         96
        .size:           8
        .value_kind:     global_buffer
      - .offset:         104
        .size:           4
        .value_kind:     by_value
      - .offset:         108
        .size:           4
        .value_kind:     by_value
      - .offset:         112
        .size:           4
        .value_kind:     by_value
      - .offset:         116
        .size:           4
        .value_kind:     by_value
      - .offset:         120
        .size:           4
        .value_kind:     by_value
      - .offset:         128
        .size:           4
        .value_kind:     hidden_block_count_x
      - .offset:         132
        .size:           4
        .value_kind:     hidden_block_count_y
      - .offset:         136
        .size:           4
        .value_kind:     hidden_block_count_z
      - .offset:         140
        .size:           2
        .value_kind:     hidden_group_size_x
      - .offset:         142
        .size:           2
        .value_kind:     hidden_group_size_y
      - .offset:         144
        .size:           2
        .value_kind:     hidden_group_size_z
      - .offset:         146
        .size:           2
        .value_kind:     hidden_remainder_x
      - .offset:         148
        .size:           2
        .value_kind:     hidden_remainder_y
      - .offset:         150
        .size:           2
        .value_kind:     hidden_remainder_z
      - .offset:         168
        .size:           8
        .value_kind:     hidden_global_offset_x
      - .offset:         176
        .size:           8
        .value_kind:     hidden_global_offset_y
      - .offset:         184
        .size:           8
        .value_kind:     hidden_global_offset_z
      - .offset:         192
        .size:           2
        .value_kind:     hidden_grid_dims
      - .offset:         248
        .size:           4
        .value_kind:     hidden_dynamic_lds_size
    .group_segment_fixed_size: 224
    .kernarg_segment_align: 8
    .kernarg_segment_size: 384
    .language:       OpenCL C
    .language_version:
      - 2
      - 0
    .max_flat_workgroup_size: 1024
    .name:           _ZN4vllm25paged_attention_v1_kernelI14__hip_bfloat16S1_Li96ELi8ELi128ELNS_18Fp8KVCacheDataTypeE0ELb0EEEvPT_PKS3_PKT0_S9_ifPKiSB_iPKfiiiSD_SD_iiiii
    .private_segment_fixed_size: 0
    .sgpr_count:     32
    .sgpr_spill_count: 0
    .symbol:         _ZN4vllm25paged_attention_v1_kernelI14__hip_bfloat16S1_Li96ELi8ELi128ELNS_18Fp8KVCacheDataTypeE0ELb0EEEvPT_PKS3_PKT0_S9_ifPKiSB_iPKfiiiSD_SD_iiiii.kd
    .uniform_work_group_size: 1
    .uses_dynamic_stack: false
    .vgpr_count:     54
    .vgpr_spill_count: 0
    .wavefront_size: 32
  - .args:
      - .actual_access:  write_only
        .address_space:  global
        .offset:         0
        .size:           8
        .value_kind:     global_buffer
      - .actual_access:  read_only
        .address_space:  global
        .offset:         8
        .size:           8
        .value_kind:     global_buffer
      - .actual_access:  read_only
        .address_space:  global
        .offset:         16
        .size:           8
        .value_kind:     global_buffer
      - .actual_access:  read_only
        .address_space:  global
        .offset:         24
        .size:           8
        .value_kind:     global_buffer
      - .offset:         32
        .size:           4
        .value_kind:     by_value
      - .offset:         36
        .size:           4
        .value_kind:     by_value
      - .actual_access:  read_only
        .address_space:  global
        .offset:         40
        .size:           8
        .value_kind:     global_buffer
      - .actual_access:  read_only
        .address_space:  global
        .offset:         48
        .size:           8
        .value_kind:     global_buffer
      - .offset:         56
        .size:           4
        .value_kind:     by_value
      - .actual_access:  read_only
        .address_space:  global
        .offset:         64
        .size:           8
        .value_kind:     global_buffer
      - .offset:         72
        .size:           4
        .value_kind:     by_value
      - .offset:         76
        .size:           4
        .value_kind:     by_value
      - .offset:         80
        .size:           4
        .value_kind:     by_value
      - .address_space:  global
        .offset:         88
        .size:           8
        .value_kind:     global_buffer
      - .address_space:  global
        .offset:         96
        .size:           8
        .value_kind:     global_buffer
      - .offset:         104
        .size:           4
        .value_kind:     by_value
      - .offset:         108
        .size:           4
        .value_kind:     by_value
      - .offset:         112
        .size:           4
        .value_kind:     by_value
      - .offset:         116
        .size:           4
        .value_kind:     by_value
      - .offset:         120
        .size:           4
        .value_kind:     by_value
      - .offset:         128
        .size:           4
        .value_kind:     hidden_block_count_x
      - .offset:         132
        .size:           4
        .value_kind:     hidden_block_count_y
      - .offset:         136
        .size:           4
        .value_kind:     hidden_block_count_z
      - .offset:         140
        .size:           2
        .value_kind:     hidden_group_size_x
      - .offset:         142
        .size:           2
        .value_kind:     hidden_group_size_y
      - .offset:         144
        .size:           2
        .value_kind:     hidden_group_size_z
      - .offset:         146
        .size:           2
        .value_kind:     hidden_remainder_x
      - .offset:         148
        .size:           2
        .value_kind:     hidden_remainder_y
      - .offset:         150
        .size:           2
        .value_kind:     hidden_remainder_z
      - .offset:         168
        .size:           8
        .value_kind:     hidden_global_offset_x
      - .offset:         176
        .size:           8
        .value_kind:     hidden_global_offset_y
      - .offset:         184
        .size:           8
        .value_kind:     hidden_global_offset_z
      - .offset:         192
        .size:           2
        .value_kind:     hidden_grid_dims
      - .offset:         248
        .size:           4
        .value_kind:     hidden_dynamic_lds_size
    .group_segment_fixed_size: 256
    .kernarg_segment_align: 8
    .kernarg_segment_size: 384
    .language:       OpenCL C
    .language_version:
      - 2
      - 0
    .max_flat_workgroup_size: 1024
    .name:           _ZN4vllm25paged_attention_v1_kernelI14__hip_bfloat16S1_Li112ELi8ELi128ELNS_18Fp8KVCacheDataTypeE0ELb0EEEvPT_PKS3_PKT0_S9_ifPKiSB_iPKfiiiSD_SD_iiiii
    .private_segment_fixed_size: 0
    .sgpr_count:     32
    .sgpr_spill_count: 0
    .symbol:         _ZN4vllm25paged_attention_v1_kernelI14__hip_bfloat16S1_Li112ELi8ELi128ELNS_18Fp8KVCacheDataTypeE0ELb0EEEvPT_PKS3_PKT0_S9_ifPKiSB_iPKfiiiSD_SD_iiiii.kd
    .uniform_work_group_size: 1
    .uses_dynamic_stack: false
    .vgpr_count:     60
    .vgpr_spill_count: 0
    .wavefront_size: 32
  - .args:
      - .actual_access:  write_only
        .address_space:  global
        .offset:         0
        .size:           8
        .value_kind:     global_buffer
      - .actual_access:  read_only
        .address_space:  global
        .offset:         8
        .size:           8
        .value_kind:     global_buffer
      - .actual_access:  read_only
        .address_space:  global
        .offset:         16
        .size:           8
        .value_kind:     global_buffer
      - .actual_access:  read_only
        .address_space:  global
        .offset:         24
        .size:           8
        .value_kind:     global_buffer
      - .offset:         32
        .size:           4
        .value_kind:     by_value
      - .offset:         36
        .size:           4
        .value_kind:     by_value
      - .actual_access:  read_only
        .address_space:  global
        .offset:         40
        .size:           8
        .value_kind:     global_buffer
      - .actual_access:  read_only
        .address_space:  global
        .offset:         48
        .size:           8
        .value_kind:     global_buffer
      - .offset:         56
        .size:           4
        .value_kind:     by_value
      - .actual_access:  read_only
        .address_space:  global
        .offset:         64
        .size:           8
        .value_kind:     global_buffer
      - .offset:         72
        .size:           4
        .value_kind:     by_value
      - .offset:         76
        .size:           4
        .value_kind:     by_value
      - .offset:         80
        .size:           4
        .value_kind:     by_value
      - .address_space:  global
        .offset:         88
        .size:           8
        .value_kind:     global_buffer
      - .address_space:  global
        .offset:         96
        .size:           8
        .value_kind:     global_buffer
      - .offset:         104
        .size:           4
        .value_kind:     by_value
      - .offset:         108
        .size:           4
        .value_kind:     by_value
      - .offset:         112
        .size:           4
        .value_kind:     by_value
      - .offset:         116
        .size:           4
        .value_kind:     by_value
      - .offset:         120
        .size:           4
        .value_kind:     by_value
      - .offset:         128
        .size:           4
        .value_kind:     hidden_block_count_x
      - .offset:         132
        .size:           4
        .value_kind:     hidden_block_count_y
      - .offset:         136
        .size:           4
        .value_kind:     hidden_block_count_z
      - .offset:         140
        .size:           2
        .value_kind:     hidden_group_size_x
      - .offset:         142
        .size:           2
        .value_kind:     hidden_group_size_y
      - .offset:         144
        .size:           2
        .value_kind:     hidden_group_size_z
      - .offset:         146
        .size:           2
        .value_kind:     hidden_remainder_x
      - .offset:         148
        .size:           2
        .value_kind:     hidden_remainder_y
      - .offset:         150
        .size:           2
        .value_kind:     hidden_remainder_z
      - .offset:         168
        .size:           8
        .value_kind:     hidden_global_offset_x
      - .offset:         176
        .size:           8
        .value_kind:     hidden_global_offset_y
      - .offset:         184
        .size:           8
        .value_kind:     hidden_global_offset_z
      - .offset:         192
        .size:           2
        .value_kind:     hidden_grid_dims
      - .offset:         248
        .size:           4
        .value_kind:     hidden_dynamic_lds_size
    .group_segment_fixed_size: 272
    .kernarg_segment_align: 8
    .kernarg_segment_size: 384
    .language:       OpenCL C
    .language_version:
      - 2
      - 0
    .max_flat_workgroup_size: 1024
    .name:           _ZN4vllm25paged_attention_v1_kernelI14__hip_bfloat16S1_Li120ELi8ELi128ELNS_18Fp8KVCacheDataTypeE0ELb0EEEvPT_PKS3_PKT0_S9_ifPKiSB_iPKfiiiSD_SD_iiiii
    .private_segment_fixed_size: 0
    .sgpr_count:     32
    .sgpr_spill_count: 0
    .symbol:         _ZN4vllm25paged_attention_v1_kernelI14__hip_bfloat16S1_Li120ELi8ELi128ELNS_18Fp8KVCacheDataTypeE0ELb0EEEvPT_PKS3_PKT0_S9_ifPKiSB_iPKfiiiSD_SD_iiiii.kd
    .uniform_work_group_size: 1
    .uses_dynamic_stack: false
    .vgpr_count:     63
    .vgpr_spill_count: 0
    .wavefront_size: 32
  - .args:
      - .actual_access:  write_only
        .address_space:  global
        .offset:         0
        .size:           8
        .value_kind:     global_buffer
      - .actual_access:  read_only
        .address_space:  global
        .offset:         8
        .size:           8
        .value_kind:     global_buffer
      - .actual_access:  read_only
        .address_space:  global
        .offset:         16
        .size:           8
        .value_kind:     global_buffer
      - .actual_access:  read_only
        .address_space:  global
        .offset:         24
        .size:           8
        .value_kind:     global_buffer
      - .offset:         32
        .size:           4
        .value_kind:     by_value
      - .offset:         36
        .size:           4
        .value_kind:     by_value
      - .actual_access:  read_only
        .address_space:  global
        .offset:         40
        .size:           8
        .value_kind:     global_buffer
      - .actual_access:  read_only
        .address_space:  global
        .offset:         48
        .size:           8
        .value_kind:     global_buffer
      - .offset:         56
        .size:           4
        .value_kind:     by_value
      - .actual_access:  read_only
        .address_space:  global
        .offset:         64
        .size:           8
        .value_kind:     global_buffer
      - .offset:         72
        .size:           4
        .value_kind:     by_value
      - .offset:         76
        .size:           4
        .value_kind:     by_value
      - .offset:         80
        .size:           4
        .value_kind:     by_value
      - .address_space:  global
        .offset:         88
        .size:           8
        .value_kind:     global_buffer
      - .address_space:  global
        .offset:         96
        .size:           8
        .value_kind:     global_buffer
      - .offset:         104
        .size:           4
        .value_kind:     by_value
      - .offset:         108
        .size:           4
        .value_kind:     by_value
      - .offset:         112
        .size:           4
        .value_kind:     by_value
      - .offset:         116
        .size:           4
        .value_kind:     by_value
      - .offset:         120
        .size:           4
        .value_kind:     by_value
      - .offset:         128
        .size:           4
        .value_kind:     hidden_block_count_x
      - .offset:         132
        .size:           4
        .value_kind:     hidden_block_count_y
      - .offset:         136
        .size:           4
        .value_kind:     hidden_block_count_z
      - .offset:         140
        .size:           2
        .value_kind:     hidden_group_size_x
      - .offset:         142
        .size:           2
        .value_kind:     hidden_group_size_y
      - .offset:         144
        .size:           2
        .value_kind:     hidden_group_size_z
      - .offset:         146
        .size:           2
        .value_kind:     hidden_remainder_x
      - .offset:         148
        .size:           2
        .value_kind:     hidden_remainder_y
      - .offset:         150
        .size:           2
        .value_kind:     hidden_remainder_z
      - .offset:         168
        .size:           8
        .value_kind:     hidden_global_offset_x
      - .offset:         176
        .size:           8
        .value_kind:     hidden_global_offset_y
      - .offset:         184
        .size:           8
        .value_kind:     hidden_global_offset_z
      - .offset:         192
        .size:           2
        .value_kind:     hidden_grid_dims
      - .offset:         248
        .size:           4
        .value_kind:     hidden_dynamic_lds_size
    .group_segment_fixed_size: 288
    .kernarg_segment_align: 8
    .kernarg_segment_size: 384
    .language:       OpenCL C
    .language_version:
      - 2
      - 0
    .max_flat_workgroup_size: 1024
    .name:           _ZN4vllm25paged_attention_v1_kernelI14__hip_bfloat16S1_Li128ELi8ELi128ELNS_18Fp8KVCacheDataTypeE0ELb0EEEvPT_PKS3_PKT0_S9_ifPKiSB_iPKfiiiSD_SD_iiiii
    .private_segment_fixed_size: 0
    .sgpr_count:     30
    .sgpr_spill_count: 0
    .symbol:         _ZN4vllm25paged_attention_v1_kernelI14__hip_bfloat16S1_Li128ELi8ELi128ELNS_18Fp8KVCacheDataTypeE0ELb0EEEvPT_PKS3_PKT0_S9_ifPKiSB_iPKfiiiSD_SD_iiiii.kd
    .uniform_work_group_size: 1
    .uses_dynamic_stack: false
    .vgpr_count:     65
    .vgpr_spill_count: 0
    .wavefront_size: 32
  - .args:
      - .actual_access:  write_only
        .address_space:  global
        .offset:         0
        .size:           8
        .value_kind:     global_buffer
      - .actual_access:  read_only
        .address_space:  global
        .offset:         8
        .size:           8
        .value_kind:     global_buffer
      - .actual_access:  read_only
        .address_space:  global
        .offset:         16
        .size:           8
        .value_kind:     global_buffer
      - .actual_access:  read_only
        .address_space:  global
        .offset:         24
        .size:           8
        .value_kind:     global_buffer
      - .offset:         32
        .size:           4
        .value_kind:     by_value
      - .offset:         36
        .size:           4
        .value_kind:     by_value
      - .actual_access:  read_only
        .address_space:  global
        .offset:         40
        .size:           8
        .value_kind:     global_buffer
      - .actual_access:  read_only
        .address_space:  global
        .offset:         48
        .size:           8
        .value_kind:     global_buffer
      - .offset:         56
        .size:           4
        .value_kind:     by_value
      - .actual_access:  read_only
        .address_space:  global
        .offset:         64
        .size:           8
        .value_kind:     global_buffer
      - .offset:         72
        .size:           4
        .value_kind:     by_value
      - .offset:         76
        .size:           4
        .value_kind:     by_value
      - .offset:         80
        .size:           4
        .value_kind:     by_value
      - .address_space:  global
        .offset:         88
        .size:           8
        .value_kind:     global_buffer
      - .address_space:  global
        .offset:         96
        .size:           8
        .value_kind:     global_buffer
      - .offset:         104
        .size:           4
        .value_kind:     by_value
      - .offset:         108
        .size:           4
        .value_kind:     by_value
      - .offset:         112
        .size:           4
        .value_kind:     by_value
      - .offset:         116
        .size:           4
        .value_kind:     by_value
      - .offset:         120
        .size:           4
        .value_kind:     by_value
      - .offset:         128
        .size:           4
        .value_kind:     hidden_block_count_x
      - .offset:         132
        .size:           4
        .value_kind:     hidden_block_count_y
      - .offset:         136
        .size:           4
        .value_kind:     hidden_block_count_z
      - .offset:         140
        .size:           2
        .value_kind:     hidden_group_size_x
      - .offset:         142
        .size:           2
        .value_kind:     hidden_group_size_y
      - .offset:         144
        .size:           2
        .value_kind:     hidden_group_size_z
      - .offset:         146
        .size:           2
        .value_kind:     hidden_remainder_x
      - .offset:         148
        .size:           2
        .value_kind:     hidden_remainder_y
      - .offset:         150
        .size:           2
        .value_kind:     hidden_remainder_z
      - .offset:         168
        .size:           8
        .value_kind:     hidden_global_offset_x
      - .offset:         176
        .size:           8
        .value_kind:     hidden_global_offset_y
      - .offset:         184
        .size:           8
        .value_kind:     hidden_global_offset_z
      - .offset:         192
        .size:           2
        .value_kind:     hidden_grid_dims
      - .offset:         248
        .size:           4
        .value_kind:     hidden_dynamic_lds_size
    .group_segment_fixed_size: 416
    .kernarg_segment_align: 8
    .kernarg_segment_size: 384
    .language:       OpenCL C
    .language_version:
      - 2
      - 0
    .max_flat_workgroup_size: 1024
    .name:           _ZN4vllm25paged_attention_v1_kernelI14__hip_bfloat16S1_Li192ELi8ELi128ELNS_18Fp8KVCacheDataTypeE0ELb0EEEvPT_PKS3_PKT0_S9_ifPKiSB_iPKfiiiSD_SD_iiiii
    .private_segment_fixed_size: 0
    .sgpr_count:     30
    .sgpr_spill_count: 0
    .symbol:         _ZN4vllm25paged_attention_v1_kernelI14__hip_bfloat16S1_Li192ELi8ELi128ELNS_18Fp8KVCacheDataTypeE0ELb0EEEvPT_PKS3_PKT0_S9_ifPKiSB_iPKfiiiSD_SD_iiiii.kd
    .uniform_work_group_size: 1
    .uses_dynamic_stack: false
    .vgpr_count:     89
    .vgpr_spill_count: 0
    .wavefront_size: 32
  - .args:
      - .actual_access:  write_only
        .address_space:  global
        .offset:         0
        .size:           8
        .value_kind:     global_buffer
      - .actual_access:  read_only
        .address_space:  global
        .offset:         8
        .size:           8
        .value_kind:     global_buffer
      - .actual_access:  read_only
        .address_space:  global
        .offset:         16
        .size:           8
        .value_kind:     global_buffer
      - .actual_access:  read_only
        .address_space:  global
        .offset:         24
        .size:           8
        .value_kind:     global_buffer
      - .offset:         32
        .size:           4
        .value_kind:     by_value
      - .offset:         36
        .size:           4
        .value_kind:     by_value
      - .actual_access:  read_only
        .address_space:  global
        .offset:         40
        .size:           8
        .value_kind:     global_buffer
      - .actual_access:  read_only
        .address_space:  global
        .offset:         48
        .size:           8
        .value_kind:     global_buffer
      - .offset:         56
        .size:           4
        .value_kind:     by_value
      - .actual_access:  read_only
        .address_space:  global
        .offset:         64
        .size:           8
        .value_kind:     global_buffer
      - .offset:         72
        .size:           4
        .value_kind:     by_value
      - .offset:         76
        .size:           4
        .value_kind:     by_value
      - .offset:         80
        .size:           4
        .value_kind:     by_value
      - .address_space:  global
        .offset:         88
        .size:           8
        .value_kind:     global_buffer
      - .address_space:  global
        .offset:         96
        .size:           8
        .value_kind:     global_buffer
      - .offset:         104
        .size:           4
        .value_kind:     by_value
      - .offset:         108
        .size:           4
        .value_kind:     by_value
      - .offset:         112
        .size:           4
        .value_kind:     by_value
      - .offset:         116
        .size:           4
        .value_kind:     by_value
      - .offset:         120
        .size:           4
        .value_kind:     by_value
      - .offset:         128
        .size:           4
        .value_kind:     hidden_block_count_x
      - .offset:         132
        .size:           4
        .value_kind:     hidden_block_count_y
      - .offset:         136
        .size:           4
        .value_kind:     hidden_block_count_z
      - .offset:         140
        .size:           2
        .value_kind:     hidden_group_size_x
      - .offset:         142
        .size:           2
        .value_kind:     hidden_group_size_y
      - .offset:         144
        .size:           2
        .value_kind:     hidden_group_size_z
      - .offset:         146
        .size:           2
        .value_kind:     hidden_remainder_x
      - .offset:         148
        .size:           2
        .value_kind:     hidden_remainder_y
      - .offset:         150
        .size:           2
        .value_kind:     hidden_remainder_z
      - .offset:         168
        .size:           8
        .value_kind:     hidden_global_offset_x
      - .offset:         176
        .size:           8
        .value_kind:     hidden_global_offset_y
      - .offset:         184
        .size:           8
        .value_kind:     hidden_global_offset_z
      - .offset:         192
        .size:           2
        .value_kind:     hidden_grid_dims
      - .offset:         248
        .size:           4
        .value_kind:     hidden_dynamic_lds_size
    .group_segment_fixed_size: 544
    .kernarg_segment_align: 8
    .kernarg_segment_size: 384
    .language:       OpenCL C
    .language_version:
      - 2
      - 0
    .max_flat_workgroup_size: 1024
    .name:           _ZN4vllm25paged_attention_v1_kernelI14__hip_bfloat16S1_Li256ELi8ELi128ELNS_18Fp8KVCacheDataTypeE0ELb0EEEvPT_PKS3_PKT0_S9_ifPKiSB_iPKfiiiSD_SD_iiiii
    .private_segment_fixed_size: 0
    .sgpr_count:     30
    .sgpr_spill_count: 0
    .symbol:         _ZN4vllm25paged_attention_v1_kernelI14__hip_bfloat16S1_Li256ELi8ELi128ELNS_18Fp8KVCacheDataTypeE0ELb0EEEvPT_PKS3_PKT0_S9_ifPKiSB_iPKfiiiSD_SD_iiiii.kd
    .uniform_work_group_size: 1
    .uses_dynamic_stack: false
    .vgpr_count:     113
    .vgpr_spill_count: 0
    .wavefront_size: 32
  - .args:
      - .actual_access:  write_only
        .address_space:  global
        .offset:         0
        .size:           8
        .value_kind:     global_buffer
      - .actual_access:  read_only
        .address_space:  global
        .offset:         8
        .size:           8
        .value_kind:     global_buffer
      - .actual_access:  read_only
        .address_space:  global
        .offset:         16
        .size:           8
        .value_kind:     global_buffer
      - .actual_access:  read_only
        .address_space:  global
        .offset:         24
        .size:           8
        .value_kind:     global_buffer
      - .offset:         32
        .size:           4
        .value_kind:     by_value
      - .offset:         36
        .size:           4
        .value_kind:     by_value
      - .actual_access:  read_only
        .address_space:  global
        .offset:         40
        .size:           8
        .value_kind:     global_buffer
      - .actual_access:  read_only
        .address_space:  global
        .offset:         48
        .size:           8
        .value_kind:     global_buffer
      - .offset:         56
        .size:           4
        .value_kind:     by_value
      - .actual_access:  read_only
        .address_space:  global
        .offset:         64
        .size:           8
        .value_kind:     global_buffer
      - .offset:         72
        .size:           4
        .value_kind:     by_value
      - .offset:         76
        .size:           4
        .value_kind:     by_value
      - .offset:         80
        .size:           4
        .value_kind:     by_value
      - .address_space:  global
        .offset:         88
        .size:           8
        .value_kind:     global_buffer
      - .address_space:  global
        .offset:         96
        .size:           8
        .value_kind:     global_buffer
      - .offset:         104
        .size:           4
        .value_kind:     by_value
      - .offset:         108
        .size:           4
        .value_kind:     by_value
      - .offset:         112
        .size:           4
        .value_kind:     by_value
      - .offset:         116
        .size:           4
        .value_kind:     by_value
      - .offset:         120
        .size:           4
        .value_kind:     by_value
      - .offset:         128
        .size:           4
        .value_kind:     hidden_block_count_x
      - .offset:         132
        .size:           4
        .value_kind:     hidden_block_count_y
      - .offset:         136
        .size:           4
        .value_kind:     hidden_block_count_z
      - .offset:         140
        .size:           2
        .value_kind:     hidden_group_size_x
      - .offset:         142
        .size:           2
        .value_kind:     hidden_group_size_y
      - .offset:         144
        .size:           2
        .value_kind:     hidden_group_size_z
      - .offset:         146
        .size:           2
        .value_kind:     hidden_remainder_x
      - .offset:         148
        .size:           2
        .value_kind:     hidden_remainder_y
      - .offset:         150
        .size:           2
        .value_kind:     hidden_remainder_z
      - .offset:         168
        .size:           8
        .value_kind:     hidden_global_offset_x
      - .offset:         176
        .size:           8
        .value_kind:     hidden_global_offset_y
      - .offset:         184
        .size:           8
        .value_kind:     hidden_global_offset_z
      - .offset:         192
        .size:           2
        .value_kind:     hidden_grid_dims
      - .offset:         248
        .size:           4
        .value_kind:     hidden_dynamic_lds_size
    .group_segment_fixed_size: 96
    .kernarg_segment_align: 8
    .kernarg_segment_size: 384
    .language:       OpenCL C
    .language_version:
      - 2
      - 0
    .max_flat_workgroup_size: 1024
    .name:           _ZN4vllm25paged_attention_v1_kernelI14__hip_bfloat16S1_Li32ELi16ELi128ELNS_18Fp8KVCacheDataTypeE0ELb1EEEvPT_PKS3_PKT0_S9_ifPKiSB_iPKfiiiSD_SD_iiiii
    .private_segment_fixed_size: 0
    .sgpr_count:     42
    .sgpr_spill_count: 0
    .symbol:         _ZN4vllm25paged_attention_v1_kernelI14__hip_bfloat16S1_Li32ELi16ELi128ELNS_18Fp8KVCacheDataTypeE0ELb1EEEvPT_PKS3_PKT0_S9_ifPKiSB_iPKfiiiSD_SD_iiiii.kd
    .uniform_work_group_size: 1
    .uses_dynamic_stack: false
    .vgpr_count:     43
    .vgpr_spill_count: 0
    .wavefront_size: 32
  - .args:
      - .actual_access:  write_only
        .address_space:  global
        .offset:         0
        .size:           8
        .value_kind:     global_buffer
      - .actual_access:  read_only
        .address_space:  global
        .offset:         8
        .size:           8
        .value_kind:     global_buffer
      - .actual_access:  read_only
        .address_space:  global
        .offset:         16
        .size:           8
        .value_kind:     global_buffer
      - .actual_access:  read_only
        .address_space:  global
        .offset:         24
        .size:           8
        .value_kind:     global_buffer
      - .offset:         32
        .size:           4
        .value_kind:     by_value
      - .offset:         36
        .size:           4
        .value_kind:     by_value
      - .actual_access:  read_only
        .address_space:  global
        .offset:         40
        .size:           8
        .value_kind:     global_buffer
      - .actual_access:  read_only
        .address_space:  global
        .offset:         48
        .size:           8
        .value_kind:     global_buffer
      - .offset:         56
        .size:           4
        .value_kind:     by_value
      - .actual_access:  read_only
        .address_space:  global
        .offset:         64
        .size:           8
        .value_kind:     global_buffer
      - .offset:         72
        .size:           4
        .value_kind:     by_value
      - .offset:         76
        .size:           4
        .value_kind:     by_value
      - .offset:         80
        .size:           4
        .value_kind:     by_value
      - .address_space:  global
        .offset:         88
        .size:           8
        .value_kind:     global_buffer
      - .address_space:  global
        .offset:         96
        .size:           8
        .value_kind:     global_buffer
      - .offset:         104
        .size:           4
        .value_kind:     by_value
      - .offset:         108
        .size:           4
        .value_kind:     by_value
      - .offset:         112
        .size:           4
        .value_kind:     by_value
      - .offset:         116
        .size:           4
        .value_kind:     by_value
      - .offset:         120
        .size:           4
        .value_kind:     by_value
      - .offset:         128
        .size:           4
        .value_kind:     hidden_block_count_x
      - .offset:         132
        .size:           4
        .value_kind:     hidden_block_count_y
      - .offset:         136
        .size:           4
        .value_kind:     hidden_block_count_z
      - .offset:         140
        .size:           2
        .value_kind:     hidden_group_size_x
      - .offset:         142
        .size:           2
        .value_kind:     hidden_group_size_y
      - .offset:         144
        .size:           2
        .value_kind:     hidden_group_size_z
      - .offset:         146
        .size:           2
        .value_kind:     hidden_remainder_x
      - .offset:         148
        .size:           2
        .value_kind:     hidden_remainder_y
      - .offset:         150
        .size:           2
        .value_kind:     hidden_remainder_z
      - .offset:         168
        .size:           8
        .value_kind:     hidden_global_offset_x
      - .offset:         176
        .size:           8
        .value_kind:     hidden_global_offset_y
      - .offset:         184
        .size:           8
        .value_kind:     hidden_global_offset_z
      - .offset:         192
        .size:           2
        .value_kind:     hidden_grid_dims
      - .offset:         248
        .size:           4
        .value_kind:     hidden_dynamic_lds_size
    .group_segment_fixed_size: 160
    .kernarg_segment_align: 8
    .kernarg_segment_size: 384
    .language:       OpenCL C
    .language_version:
      - 2
      - 0
    .max_flat_workgroup_size: 1024
    .name:           _ZN4vllm25paged_attention_v1_kernelI14__hip_bfloat16S1_Li64ELi16ELi128ELNS_18Fp8KVCacheDataTypeE0ELb1EEEvPT_PKS3_PKT0_S9_ifPKiSB_iPKfiiiSD_SD_iiiii
    .private_segment_fixed_size: 0
    .sgpr_count:     42
    .sgpr_spill_count: 0
    .symbol:         _ZN4vllm25paged_attention_v1_kernelI14__hip_bfloat16S1_Li64ELi16ELi128ELNS_18Fp8KVCacheDataTypeE0ELb1EEEvPT_PKS3_PKT0_S9_ifPKiSB_iPKfiiiSD_SD_iiiii.kd
    .uniform_work_group_size: 1
    .uses_dynamic_stack: false
    .vgpr_count:     55
    .vgpr_spill_count: 0
    .wavefront_size: 32
  - .args:
      - .actual_access:  write_only
        .address_space:  global
        .offset:         0
        .size:           8
        .value_kind:     global_buffer
      - .actual_access:  read_only
        .address_space:  global
        .offset:         8
        .size:           8
        .value_kind:     global_buffer
      - .actual_access:  read_only
        .address_space:  global
        .offset:         16
        .size:           8
        .value_kind:     global_buffer
      - .actual_access:  read_only
        .address_space:  global
        .offset:         24
        .size:           8
        .value_kind:     global_buffer
      - .offset:         32
        .size:           4
        .value_kind:     by_value
      - .offset:         36
        .size:           4
        .value_kind:     by_value
      - .actual_access:  read_only
        .address_space:  global
        .offset:         40
        .size:           8
        .value_kind:     global_buffer
      - .actual_access:  read_only
        .address_space:  global
        .offset:         48
        .size:           8
        .value_kind:     global_buffer
      - .offset:         56
        .size:           4
        .value_kind:     by_value
      - .actual_access:  read_only
        .address_space:  global
        .offset:         64
        .size:           8
        .value_kind:     global_buffer
      - .offset:         72
        .size:           4
        .value_kind:     by_value
      - .offset:         76
        .size:           4
        .value_kind:     by_value
      - .offset:         80
        .size:           4
        .value_kind:     by_value
      - .address_space:  global
        .offset:         88
        .size:           8
        .value_kind:     global_buffer
      - .address_space:  global
        .offset:         96
        .size:           8
        .value_kind:     global_buffer
      - .offset:         104
        .size:           4
        .value_kind:     by_value
      - .offset:         108
        .size:           4
        .value_kind:     by_value
      - .offset:         112
        .size:           4
        .value_kind:     by_value
      - .offset:         116
        .size:           4
        .value_kind:     by_value
      - .offset:         120
        .size:           4
        .value_kind:     by_value
      - .offset:         128
        .size:           4
        .value_kind:     hidden_block_count_x
      - .offset:         132
        .size:           4
        .value_kind:     hidden_block_count_y
      - .offset:         136
        .size:           4
        .value_kind:     hidden_block_count_z
      - .offset:         140
        .size:           2
        .value_kind:     hidden_group_size_x
      - .offset:         142
        .size:           2
        .value_kind:     hidden_group_size_y
      - .offset:         144
        .size:           2
        .value_kind:     hidden_group_size_z
      - .offset:         146
        .size:           2
        .value_kind:     hidden_remainder_x
      - .offset:         148
        .size:           2
        .value_kind:     hidden_remainder_y
      - .offset:         150
        .size:           2
        .value_kind:     hidden_remainder_z
      - .offset:         168
        .size:           8
        .value_kind:     hidden_global_offset_x
      - .offset:         176
        .size:           8
        .value_kind:     hidden_global_offset_y
      - .offset:         184
        .size:           8
        .value_kind:     hidden_global_offset_z
      - .offset:         192
        .size:           2
        .value_kind:     hidden_grid_dims
      - .offset:         248
        .size:           4
        .value_kind:     hidden_dynamic_lds_size
    .group_segment_fixed_size: 192
    .kernarg_segment_align: 8
    .kernarg_segment_size: 384
    .language:       OpenCL C
    .language_version:
      - 2
      - 0
    .max_flat_workgroup_size: 1024
    .name:           _ZN4vllm25paged_attention_v1_kernelI14__hip_bfloat16S1_Li80ELi16ELi128ELNS_18Fp8KVCacheDataTypeE0ELb1EEEvPT_PKS3_PKT0_S9_ifPKiSB_iPKfiiiSD_SD_iiiii
    .private_segment_fixed_size: 0
    .sgpr_count:     42
    .sgpr_spill_count: 0
    .symbol:         _ZN4vllm25paged_attention_v1_kernelI14__hip_bfloat16S1_Li80ELi16ELi128ELNS_18Fp8KVCacheDataTypeE0ELb1EEEvPT_PKS3_PKT0_S9_ifPKiSB_iPKfiiiSD_SD_iiiii.kd
    .uniform_work_group_size: 1
    .uses_dynamic_stack: false
    .vgpr_count:     60
    .vgpr_spill_count: 0
    .wavefront_size: 32
  - .args:
      - .actual_access:  write_only
        .address_space:  global
        .offset:         0
        .size:           8
        .value_kind:     global_buffer
      - .actual_access:  read_only
        .address_space:  global
        .offset:         8
        .size:           8
        .value_kind:     global_buffer
      - .actual_access:  read_only
        .address_space:  global
        .offset:         16
        .size:           8
        .value_kind:     global_buffer
      - .actual_access:  read_only
        .address_space:  global
        .offset:         24
        .size:           8
        .value_kind:     global_buffer
      - .offset:         32
        .size:           4
        .value_kind:     by_value
      - .offset:         36
        .size:           4
        .value_kind:     by_value
      - .actual_access:  read_only
        .address_space:  global
        .offset:         40
        .size:           8
        .value_kind:     global_buffer
      - .actual_access:  read_only
        .address_space:  global
        .offset:         48
        .size:           8
        .value_kind:     global_buffer
      - .offset:         56
        .size:           4
        .value_kind:     by_value
      - .actual_access:  read_only
        .address_space:  global
        .offset:         64
        .size:           8
        .value_kind:     global_buffer
      - .offset:         72
        .size:           4
        .value_kind:     by_value
      - .offset:         76
        .size:           4
        .value_kind:     by_value
      - .offset:         80
        .size:           4
        .value_kind:     by_value
      - .address_space:  global
        .offset:         88
        .size:           8
        .value_kind:     global_buffer
      - .address_space:  global
        .offset:         96
        .size:           8
        .value_kind:     global_buffer
      - .offset:         104
        .size:           4
        .value_kind:     by_value
      - .offset:         108
        .size:           4
        .value_kind:     by_value
      - .offset:         112
        .size:           4
        .value_kind:     by_value
      - .offset:         116
        .size:           4
        .value_kind:     by_value
      - .offset:         120
        .size:           4
        .value_kind:     by_value
      - .offset:         128
        .size:           4
        .value_kind:     hidden_block_count_x
      - .offset:         132
        .size:           4
        .value_kind:     hidden_block_count_y
      - .offset:         136
        .size:           4
        .value_kind:     hidden_block_count_z
      - .offset:         140
        .size:           2
        .value_kind:     hidden_group_size_x
      - .offset:         142
        .size:           2
        .value_kind:     hidden_group_size_y
      - .offset:         144
        .size:           2
        .value_kind:     hidden_group_size_z
      - .offset:         146
        .size:           2
        .value_kind:     hidden_remainder_x
      - .offset:         148
        .size:           2
        .value_kind:     hidden_remainder_y
      - .offset:         150
        .size:           2
        .value_kind:     hidden_remainder_z
      - .offset:         168
        .size:           8
        .value_kind:     hidden_global_offset_x
      - .offset:         176
        .size:           8
        .value_kind:     hidden_global_offset_y
      - .offset:         184
        .size:           8
        .value_kind:     hidden_global_offset_z
      - .offset:         192
        .size:           2
        .value_kind:     hidden_grid_dims
      - .offset:         248
        .size:           4
        .value_kind:     hidden_dynamic_lds_size
    .group_segment_fixed_size: 224
    .kernarg_segment_align: 8
    .kernarg_segment_size: 384
    .language:       OpenCL C
    .language_version:
      - 2
      - 0
    .max_flat_workgroup_size: 1024
    .name:           _ZN4vllm25paged_attention_v1_kernelI14__hip_bfloat16S1_Li96ELi16ELi128ELNS_18Fp8KVCacheDataTypeE0ELb1EEEvPT_PKS3_PKT0_S9_ifPKiSB_iPKfiiiSD_SD_iiiii
    .private_segment_fixed_size: 0
    .sgpr_count:     42
    .sgpr_spill_count: 0
    .symbol:         _ZN4vllm25paged_attention_v1_kernelI14__hip_bfloat16S1_Li96ELi16ELi128ELNS_18Fp8KVCacheDataTypeE0ELb1EEEvPT_PKS3_PKT0_S9_ifPKiSB_iPKfiiiSD_SD_iiiii.kd
    .uniform_work_group_size: 1
    .uses_dynamic_stack: false
    .vgpr_count:     64
    .vgpr_spill_count: 0
    .wavefront_size: 32
  - .args:
      - .actual_access:  write_only
        .address_space:  global
        .offset:         0
        .size:           8
        .value_kind:     global_buffer
      - .actual_access:  read_only
        .address_space:  global
        .offset:         8
        .size:           8
        .value_kind:     global_buffer
      - .actual_access:  read_only
        .address_space:  global
        .offset:         16
        .size:           8
        .value_kind:     global_buffer
      - .actual_access:  read_only
        .address_space:  global
        .offset:         24
        .size:           8
        .value_kind:     global_buffer
      - .offset:         32
        .size:           4
        .value_kind:     by_value
      - .offset:         36
        .size:           4
        .value_kind:     by_value
      - .actual_access:  read_only
        .address_space:  global
        .offset:         40
        .size:           8
        .value_kind:     global_buffer
      - .actual_access:  read_only
        .address_space:  global
        .offset:         48
        .size:           8
        .value_kind:     global_buffer
      - .offset:         56
        .size:           4
        .value_kind:     by_value
      - .actual_access:  read_only
        .address_space:  global
        .offset:         64
        .size:           8
        .value_kind:     global_buffer
      - .offset:         72
        .size:           4
        .value_kind:     by_value
      - .offset:         76
        .size:           4
        .value_kind:     by_value
      - .offset:         80
        .size:           4
        .value_kind:     by_value
      - .address_space:  global
        .offset:         88
        .size:           8
        .value_kind:     global_buffer
      - .address_space:  global
        .offset:         96
        .size:           8
        .value_kind:     global_buffer
      - .offset:         104
        .size:           4
        .value_kind:     by_value
      - .offset:         108
        .size:           4
        .value_kind:     by_value
      - .offset:         112
        .size:           4
        .value_kind:     by_value
      - .offset:         116
        .size:           4
        .value_kind:     by_value
      - .offset:         120
        .size:           4
        .value_kind:     by_value
      - .offset:         128
        .size:           4
        .value_kind:     hidden_block_count_x
      - .offset:         132
        .size:           4
        .value_kind:     hidden_block_count_y
      - .offset:         136
        .size:           4
        .value_kind:     hidden_block_count_z
      - .offset:         140
        .size:           2
        .value_kind:     hidden_group_size_x
      - .offset:         142
        .size:           2
        .value_kind:     hidden_group_size_y
      - .offset:         144
        .size:           2
        .value_kind:     hidden_group_size_z
      - .offset:         146
        .size:           2
        .value_kind:     hidden_remainder_x
      - .offset:         148
        .size:           2
        .value_kind:     hidden_remainder_y
      - .offset:         150
        .size:           2
        .value_kind:     hidden_remainder_z
      - .offset:         168
        .size:           8
        .value_kind:     hidden_global_offset_x
      - .offset:         176
        .size:           8
        .value_kind:     hidden_global_offset_y
      - .offset:         184
        .size:           8
        .value_kind:     hidden_global_offset_z
      - .offset:         192
        .size:           2
        .value_kind:     hidden_grid_dims
      - .offset:         248
        .size:           4
        .value_kind:     hidden_dynamic_lds_size
    .group_segment_fixed_size: 256
    .kernarg_segment_align: 8
    .kernarg_segment_size: 384
    .language:       OpenCL C
    .language_version:
      - 2
      - 0
    .max_flat_workgroup_size: 1024
    .name:           _ZN4vllm25paged_attention_v1_kernelI14__hip_bfloat16S1_Li112ELi16ELi128ELNS_18Fp8KVCacheDataTypeE0ELb1EEEvPT_PKS3_PKT0_S9_ifPKiSB_iPKfiiiSD_SD_iiiii
    .private_segment_fixed_size: 0
    .sgpr_count:     42
    .sgpr_spill_count: 0
    .symbol:         _ZN4vllm25paged_attention_v1_kernelI14__hip_bfloat16S1_Li112ELi16ELi128ELNS_18Fp8KVCacheDataTypeE0ELb1EEEvPT_PKS3_PKT0_S9_ifPKiSB_iPKfiiiSD_SD_iiiii.kd
    .uniform_work_group_size: 1
    .uses_dynamic_stack: false
    .vgpr_count:     69
    .vgpr_spill_count: 0
    .wavefront_size: 32
  - .args:
      - .actual_access:  write_only
        .address_space:  global
        .offset:         0
        .size:           8
        .value_kind:     global_buffer
      - .actual_access:  read_only
        .address_space:  global
        .offset:         8
        .size:           8
        .value_kind:     global_buffer
      - .actual_access:  read_only
        .address_space:  global
        .offset:         16
        .size:           8
        .value_kind:     global_buffer
      - .actual_access:  read_only
        .address_space:  global
        .offset:         24
        .size:           8
        .value_kind:     global_buffer
      - .offset:         32
        .size:           4
        .value_kind:     by_value
      - .offset:         36
        .size:           4
        .value_kind:     by_value
      - .actual_access:  read_only
        .address_space:  global
        .offset:         40
        .size:           8
        .value_kind:     global_buffer
      - .actual_access:  read_only
        .address_space:  global
        .offset:         48
        .size:           8
        .value_kind:     global_buffer
      - .offset:         56
        .size:           4
        .value_kind:     by_value
      - .actual_access:  read_only
        .address_space:  global
        .offset:         64
        .size:           8
        .value_kind:     global_buffer
      - .offset:         72
        .size:           4
        .value_kind:     by_value
      - .offset:         76
        .size:           4
        .value_kind:     by_value
      - .offset:         80
        .size:           4
        .value_kind:     by_value
      - .address_space:  global
        .offset:         88
        .size:           8
        .value_kind:     global_buffer
      - .address_space:  global
        .offset:         96
        .size:           8
        .value_kind:     global_buffer
      - .offset:         104
        .size:           4
        .value_kind:     by_value
      - .offset:         108
        .size:           4
        .value_kind:     by_value
      - .offset:         112
        .size:           4
        .value_kind:     by_value
      - .offset:         116
        .size:           4
        .value_kind:     by_value
      - .offset:         120
        .size:           4
        .value_kind:     by_value
      - .offset:         128
        .size:           4
        .value_kind:     hidden_block_count_x
      - .offset:         132
        .size:           4
        .value_kind:     hidden_block_count_y
      - .offset:         136
        .size:           4
        .value_kind:     hidden_block_count_z
      - .offset:         140
        .size:           2
        .value_kind:     hidden_group_size_x
      - .offset:         142
        .size:           2
        .value_kind:     hidden_group_size_y
      - .offset:         144
        .size:           2
        .value_kind:     hidden_group_size_z
      - .offset:         146
        .size:           2
        .value_kind:     hidden_remainder_x
      - .offset:         148
        .size:           2
        .value_kind:     hidden_remainder_y
      - .offset:         150
        .size:           2
        .value_kind:     hidden_remainder_z
      - .offset:         168
        .size:           8
        .value_kind:     hidden_global_offset_x
      - .offset:         176
        .size:           8
        .value_kind:     hidden_global_offset_y
      - .offset:         184
        .size:           8
        .value_kind:     hidden_global_offset_z
      - .offset:         192
        .size:           2
        .value_kind:     hidden_grid_dims
      - .offset:         248
        .size:           4
        .value_kind:     hidden_dynamic_lds_size
    .group_segment_fixed_size: 272
    .kernarg_segment_align: 8
    .kernarg_segment_size: 384
    .language:       OpenCL C
    .language_version:
      - 2
      - 0
    .max_flat_workgroup_size: 1024
    .name:           _ZN4vllm25paged_attention_v1_kernelI14__hip_bfloat16S1_Li120ELi16ELi128ELNS_18Fp8KVCacheDataTypeE0ELb1EEEvPT_PKS3_PKT0_S9_ifPKiSB_iPKfiiiSD_SD_iiiii
    .private_segment_fixed_size: 0
    .sgpr_count:     42
    .sgpr_spill_count: 0
    .symbol:         _ZN4vllm25paged_attention_v1_kernelI14__hip_bfloat16S1_Li120ELi16ELi128ELNS_18Fp8KVCacheDataTypeE0ELb1EEEvPT_PKS3_PKT0_S9_ifPKiSB_iPKfiiiSD_SD_iiiii.kd
    .uniform_work_group_size: 1
    .uses_dynamic_stack: false
    .vgpr_count:     69
    .vgpr_spill_count: 0
    .wavefront_size: 32
  - .args:
      - .actual_access:  write_only
        .address_space:  global
        .offset:         0
        .size:           8
        .value_kind:     global_buffer
      - .actual_access:  read_only
        .address_space:  global
        .offset:         8
        .size:           8
        .value_kind:     global_buffer
      - .actual_access:  read_only
        .address_space:  global
        .offset:         16
        .size:           8
        .value_kind:     global_buffer
      - .actual_access:  read_only
        .address_space:  global
        .offset:         24
        .size:           8
        .value_kind:     global_buffer
      - .offset:         32
        .size:           4
        .value_kind:     by_value
      - .offset:         36
        .size:           4
        .value_kind:     by_value
      - .actual_access:  read_only
        .address_space:  global
        .offset:         40
        .size:           8
        .value_kind:     global_buffer
      - .actual_access:  read_only
        .address_space:  global
        .offset:         48
        .size:           8
        .value_kind:     global_buffer
      - .offset:         56
        .size:           4
        .value_kind:     by_value
      - .actual_access:  read_only
        .address_space:  global
        .offset:         64
        .size:           8
        .value_kind:     global_buffer
      - .offset:         72
        .size:           4
        .value_kind:     by_value
      - .offset:         76
        .size:           4
        .value_kind:     by_value
      - .offset:         80
        .size:           4
        .value_kind:     by_value
      - .address_space:  global
        .offset:         88
        .size:           8
        .value_kind:     global_buffer
      - .address_space:  global
        .offset:         96
        .size:           8
        .value_kind:     global_buffer
      - .offset:         104
        .size:           4
        .value_kind:     by_value
      - .offset:         108
        .size:           4
        .value_kind:     by_value
      - .offset:         112
        .size:           4
        .value_kind:     by_value
      - .offset:         116
        .size:           4
        .value_kind:     by_value
      - .offset:         120
        .size:           4
        .value_kind:     by_value
      - .offset:         128
        .size:           4
        .value_kind:     hidden_block_count_x
      - .offset:         132
        .size:           4
        .value_kind:     hidden_block_count_y
      - .offset:         136
        .size:           4
        .value_kind:     hidden_block_count_z
      - .offset:         140
        .size:           2
        .value_kind:     hidden_group_size_x
      - .offset:         142
        .size:           2
        .value_kind:     hidden_group_size_y
      - .offset:         144
        .size:           2
        .value_kind:     hidden_group_size_z
      - .offset:         146
        .size:           2
        .value_kind:     hidden_remainder_x
      - .offset:         148
        .size:           2
        .value_kind:     hidden_remainder_y
      - .offset:         150
        .size:           2
        .value_kind:     hidden_remainder_z
      - .offset:         168
        .size:           8
        .value_kind:     hidden_global_offset_x
      - .offset:         176
        .size:           8
        .value_kind:     hidden_global_offset_y
      - .offset:         184
        .size:           8
        .value_kind:     hidden_global_offset_z
      - .offset:         192
        .size:           2
        .value_kind:     hidden_grid_dims
      - .offset:         248
        .size:           4
        .value_kind:     hidden_dynamic_lds_size
    .group_segment_fixed_size: 288
    .kernarg_segment_align: 8
    .kernarg_segment_size: 384
    .language:       OpenCL C
    .language_version:
      - 2
      - 0
    .max_flat_workgroup_size: 1024
    .name:           _ZN4vllm25paged_attention_v1_kernelI14__hip_bfloat16S1_Li128ELi16ELi128ELNS_18Fp8KVCacheDataTypeE0ELb1EEEvPT_PKS3_PKT0_S9_ifPKiSB_iPKfiiiSD_SD_iiiii
    .private_segment_fixed_size: 0
    .sgpr_count:     44
    .sgpr_spill_count: 0
    .symbol:         _ZN4vllm25paged_attention_v1_kernelI14__hip_bfloat16S1_Li128ELi16ELi128ELNS_18Fp8KVCacheDataTypeE0ELb1EEEvPT_PKS3_PKT0_S9_ifPKiSB_iPKfiiiSD_SD_iiiii.kd
    .uniform_work_group_size: 1
    .uses_dynamic_stack: false
    .vgpr_count:     74
    .vgpr_spill_count: 0
    .wavefront_size: 32
  - .args:
      - .actual_access:  write_only
        .address_space:  global
        .offset:         0
        .size:           8
        .value_kind:     global_buffer
      - .actual_access:  read_only
        .address_space:  global
        .offset:         8
        .size:           8
        .value_kind:     global_buffer
      - .actual_access:  read_only
        .address_space:  global
        .offset:         16
        .size:           8
        .value_kind:     global_buffer
      - .actual_access:  read_only
        .address_space:  global
        .offset:         24
        .size:           8
        .value_kind:     global_buffer
      - .offset:         32
        .size:           4
        .value_kind:     by_value
      - .offset:         36
        .size:           4
        .value_kind:     by_value
      - .actual_access:  read_only
        .address_space:  global
        .offset:         40
        .size:           8
        .value_kind:     global_buffer
      - .actual_access:  read_only
        .address_space:  global
        .offset:         48
        .size:           8
        .value_kind:     global_buffer
      - .offset:         56
        .size:           4
        .value_kind:     by_value
      - .actual_access:  read_only
        .address_space:  global
        .offset:         64
        .size:           8
        .value_kind:     global_buffer
      - .offset:         72
        .size:           4
        .value_kind:     by_value
      - .offset:         76
        .size:           4
        .value_kind:     by_value
      - .offset:         80
        .size:           4
        .value_kind:     by_value
      - .address_space:  global
        .offset:         88
        .size:           8
        .value_kind:     global_buffer
      - .address_space:  global
        .offset:         96
        .size:           8
        .value_kind:     global_buffer
      - .offset:         104
        .size:           4
        .value_kind:     by_value
      - .offset:         108
        .size:           4
        .value_kind:     by_value
      - .offset:         112
        .size:           4
        .value_kind:     by_value
      - .offset:         116
        .size:           4
        .value_kind:     by_value
      - .offset:         120
        .size:           4
        .value_kind:     by_value
      - .offset:         128
        .size:           4
        .value_kind:     hidden_block_count_x
      - .offset:         132
        .size:           4
        .value_kind:     hidden_block_count_y
      - .offset:         136
        .size:           4
        .value_kind:     hidden_block_count_z
      - .offset:         140
        .size:           2
        .value_kind:     hidden_group_size_x
      - .offset:         142
        .size:           2
        .value_kind:     hidden_group_size_y
      - .offset:         144
        .size:           2
        .value_kind:     hidden_group_size_z
      - .offset:         146
        .size:           2
        .value_kind:     hidden_remainder_x
      - .offset:         148
        .size:           2
        .value_kind:     hidden_remainder_y
      - .offset:         150
        .size:           2
        .value_kind:     hidden_remainder_z
      - .offset:         168
        .size:           8
        .value_kind:     hidden_global_offset_x
      - .offset:         176
        .size:           8
        .value_kind:     hidden_global_offset_y
      - .offset:         184
        .size:           8
        .value_kind:     hidden_global_offset_z
      - .offset:         192
        .size:           2
        .value_kind:     hidden_grid_dims
      - .offset:         248
        .size:           4
        .value_kind:     hidden_dynamic_lds_size
    .group_segment_fixed_size: 416
    .kernarg_segment_align: 8
    .kernarg_segment_size: 384
    .language:       OpenCL C
    .language_version:
      - 2
      - 0
    .max_flat_workgroup_size: 1024
    .name:           _ZN4vllm25paged_attention_v1_kernelI14__hip_bfloat16S1_Li192ELi16ELi128ELNS_18Fp8KVCacheDataTypeE0ELb1EEEvPT_PKS3_PKT0_S9_ifPKiSB_iPKfiiiSD_SD_iiiii
    .private_segment_fixed_size: 0
    .sgpr_count:     42
    .sgpr_spill_count: 0
    .symbol:         _ZN4vllm25paged_attention_v1_kernelI14__hip_bfloat16S1_Li192ELi16ELi128ELNS_18Fp8KVCacheDataTypeE0ELb1EEEvPT_PKS3_PKT0_S9_ifPKiSB_iPKfiiiSD_SD_iiiii.kd
    .uniform_work_group_size: 1
    .uses_dynamic_stack: false
    .vgpr_count:     94
    .vgpr_spill_count: 0
    .wavefront_size: 32
  - .args:
      - .actual_access:  write_only
        .address_space:  global
        .offset:         0
        .size:           8
        .value_kind:     global_buffer
      - .actual_access:  read_only
        .address_space:  global
        .offset:         8
        .size:           8
        .value_kind:     global_buffer
      - .actual_access:  read_only
        .address_space:  global
        .offset:         16
        .size:           8
        .value_kind:     global_buffer
      - .actual_access:  read_only
        .address_space:  global
        .offset:         24
        .size:           8
        .value_kind:     global_buffer
      - .offset:         32
        .size:           4
        .value_kind:     by_value
      - .offset:         36
        .size:           4
        .value_kind:     by_value
      - .actual_access:  read_only
        .address_space:  global
        .offset:         40
        .size:           8
        .value_kind:     global_buffer
      - .actual_access:  read_only
        .address_space:  global
        .offset:         48
        .size:           8
        .value_kind:     global_buffer
      - .offset:         56
        .size:           4
        .value_kind:     by_value
      - .actual_access:  read_only
        .address_space:  global
        .offset:         64
        .size:           8
        .value_kind:     global_buffer
      - .offset:         72
        .size:           4
        .value_kind:     by_value
      - .offset:         76
        .size:           4
        .value_kind:     by_value
      - .offset:         80
        .size:           4
        .value_kind:     by_value
      - .address_space:  global
        .offset:         88
        .size:           8
        .value_kind:     global_buffer
      - .address_space:  global
        .offset:         96
        .size:           8
        .value_kind:     global_buffer
      - .offset:         104
        .size:           4
        .value_kind:     by_value
      - .offset:         108
        .size:           4
        .value_kind:     by_value
      - .offset:         112
        .size:           4
        .value_kind:     by_value
      - .offset:         116
        .size:           4
        .value_kind:     by_value
      - .offset:         120
        .size:           4
        .value_kind:     by_value
      - .offset:         128
        .size:           4
        .value_kind:     hidden_block_count_x
      - .offset:         132
        .size:           4
        .value_kind:     hidden_block_count_y
      - .offset:         136
        .size:           4
        .value_kind:     hidden_block_count_z
      - .offset:         140
        .size:           2
        .value_kind:     hidden_group_size_x
      - .offset:         142
        .size:           2
        .value_kind:     hidden_group_size_y
      - .offset:         144
        .size:           2
        .value_kind:     hidden_group_size_z
      - .offset:         146
        .size:           2
        .value_kind:     hidden_remainder_x
      - .offset:         148
        .size:           2
        .value_kind:     hidden_remainder_y
      - .offset:         150
        .size:           2
        .value_kind:     hidden_remainder_z
      - .offset:         168
        .size:           8
        .value_kind:     hidden_global_offset_x
      - .offset:         176
        .size:           8
        .value_kind:     hidden_global_offset_y
      - .offset:         184
        .size:           8
        .value_kind:     hidden_global_offset_z
      - .offset:         192
        .size:           2
        .value_kind:     hidden_grid_dims
      - .offset:         248
        .size:           4
        .value_kind:     hidden_dynamic_lds_size
    .group_segment_fixed_size: 544
    .kernarg_segment_align: 8
    .kernarg_segment_size: 384
    .language:       OpenCL C
    .language_version:
      - 2
      - 0
    .max_flat_workgroup_size: 1024
    .name:           _ZN4vllm25paged_attention_v1_kernelI14__hip_bfloat16S1_Li256ELi16ELi128ELNS_18Fp8KVCacheDataTypeE0ELb1EEEvPT_PKS3_PKT0_S9_ifPKiSB_iPKfiiiSD_SD_iiiii
    .private_segment_fixed_size: 0
    .sgpr_count:     44
    .sgpr_spill_count: 0
    .symbol:         _ZN4vllm25paged_attention_v1_kernelI14__hip_bfloat16S1_Li256ELi16ELi128ELNS_18Fp8KVCacheDataTypeE0ELb1EEEvPT_PKS3_PKT0_S9_ifPKiSB_iPKfiiiSD_SD_iiiii.kd
    .uniform_work_group_size: 1
    .uses_dynamic_stack: false
    .vgpr_count:     113
    .vgpr_spill_count: 0
    .wavefront_size: 32
  - .args:
      - .actual_access:  write_only
        .address_space:  global
        .offset:         0
        .size:           8
        .value_kind:     global_buffer
      - .actual_access:  read_only
        .address_space:  global
        .offset:         8
        .size:           8
        .value_kind:     global_buffer
      - .actual_access:  read_only
        .address_space:  global
        .offset:         16
        .size:           8
        .value_kind:     global_buffer
      - .actual_access:  read_only
        .address_space:  global
        .offset:         24
        .size:           8
        .value_kind:     global_buffer
      - .offset:         32
        .size:           4
        .value_kind:     by_value
      - .offset:         36
        .size:           4
        .value_kind:     by_value
      - .actual_access:  read_only
        .address_space:  global
        .offset:         40
        .size:           8
        .value_kind:     global_buffer
      - .actual_access:  read_only
        .address_space:  global
        .offset:         48
        .size:           8
        .value_kind:     global_buffer
      - .offset:         56
        .size:           4
        .value_kind:     by_value
      - .actual_access:  read_only
        .address_space:  global
        .offset:         64
        .size:           8
        .value_kind:     global_buffer
      - .offset:         72
        .size:           4
        .value_kind:     by_value
      - .offset:         76
        .size:           4
        .value_kind:     by_value
      - .offset:         80
        .size:           4
        .value_kind:     by_value
      - .address_space:  global
        .offset:         88
        .size:           8
        .value_kind:     global_buffer
      - .address_space:  global
        .offset:         96
        .size:           8
        .value_kind:     global_buffer
      - .offset:         104
        .size:           4
        .value_kind:     by_value
      - .offset:         108
        .size:           4
        .value_kind:     by_value
      - .offset:         112
        .size:           4
        .value_kind:     by_value
      - .offset:         116
        .size:           4
        .value_kind:     by_value
      - .offset:         120
        .size:           4
        .value_kind:     by_value
      - .offset:         128
        .size:           4
        .value_kind:     hidden_block_count_x
      - .offset:         132
        .size:           4
        .value_kind:     hidden_block_count_y
      - .offset:         136
        .size:           4
        .value_kind:     hidden_block_count_z
      - .offset:         140
        .size:           2
        .value_kind:     hidden_group_size_x
      - .offset:         142
        .size:           2
        .value_kind:     hidden_group_size_y
      - .offset:         144
        .size:           2
        .value_kind:     hidden_group_size_z
      - .offset:         146
        .size:           2
        .value_kind:     hidden_remainder_x
      - .offset:         148
        .size:           2
        .value_kind:     hidden_remainder_y
      - .offset:         150
        .size:           2
        .value_kind:     hidden_remainder_z
      - .offset:         168
        .size:           8
        .value_kind:     hidden_global_offset_x
      - .offset:         176
        .size:           8
        .value_kind:     hidden_global_offset_y
      - .offset:         184
        .size:           8
        .value_kind:     hidden_global_offset_z
      - .offset:         192
        .size:           2
        .value_kind:     hidden_grid_dims
      - .offset:         248
        .size:           4
        .value_kind:     hidden_dynamic_lds_size
    .group_segment_fixed_size: 96
    .kernarg_segment_align: 8
    .kernarg_segment_size: 384
    .language:       OpenCL C
    .language_version:
      - 2
      - 0
    .max_flat_workgroup_size: 1024
    .name:           _ZN4vllm25paged_attention_v1_kernelI14__hip_bfloat16S1_Li32ELi16ELi128ELNS_18Fp8KVCacheDataTypeE0ELb0EEEvPT_PKS3_PKT0_S9_ifPKiSB_iPKfiiiSD_SD_iiiii
    .private_segment_fixed_size: 0
    .sgpr_count:     32
    .sgpr_spill_count: 0
    .symbol:         _ZN4vllm25paged_attention_v1_kernelI14__hip_bfloat16S1_Li32ELi16ELi128ELNS_18Fp8KVCacheDataTypeE0ELb0EEEvPT_PKS3_PKT0_S9_ifPKiSB_iPKfiiiSD_SD_iiiii.kd
    .uniform_work_group_size: 1
    .uses_dynamic_stack: false
    .vgpr_count:     44
    .vgpr_spill_count: 0
    .wavefront_size: 32
  - .args:
      - .actual_access:  write_only
        .address_space:  global
        .offset:         0
        .size:           8
        .value_kind:     global_buffer
      - .actual_access:  read_only
        .address_space:  global
        .offset:         8
        .size:           8
        .value_kind:     global_buffer
      - .actual_access:  read_only
        .address_space:  global
        .offset:         16
        .size:           8
        .value_kind:     global_buffer
      - .actual_access:  read_only
        .address_space:  global
        .offset:         24
        .size:           8
        .value_kind:     global_buffer
      - .offset:         32
        .size:           4
        .value_kind:     by_value
      - .offset:         36
        .size:           4
        .value_kind:     by_value
      - .actual_access:  read_only
        .address_space:  global
        .offset:         40
        .size:           8
        .value_kind:     global_buffer
      - .actual_access:  read_only
        .address_space:  global
        .offset:         48
        .size:           8
        .value_kind:     global_buffer
      - .offset:         56
        .size:           4
        .value_kind:     by_value
      - .actual_access:  read_only
        .address_space:  global
        .offset:         64
        .size:           8
        .value_kind:     global_buffer
      - .offset:         72
        .size:           4
        .value_kind:     by_value
      - .offset:         76
        .size:           4
        .value_kind:     by_value
      - .offset:         80
        .size:           4
        .value_kind:     by_value
      - .address_space:  global
        .offset:         88
        .size:           8
        .value_kind:     global_buffer
      - .address_space:  global
        .offset:         96
        .size:           8
        .value_kind:     global_buffer
      - .offset:         104
        .size:           4
        .value_kind:     by_value
      - .offset:         108
        .size:           4
        .value_kind:     by_value
      - .offset:         112
        .size:           4
        .value_kind:     by_value
      - .offset:         116
        .size:           4
        .value_kind:     by_value
      - .offset:         120
        .size:           4
        .value_kind:     by_value
      - .offset:         128
        .size:           4
        .value_kind:     hidden_block_count_x
      - .offset:         132
        .size:           4
        .value_kind:     hidden_block_count_y
      - .offset:         136
        .size:           4
        .value_kind:     hidden_block_count_z
      - .offset:         140
        .size:           2
        .value_kind:     hidden_group_size_x
      - .offset:         142
        .size:           2
        .value_kind:     hidden_group_size_y
      - .offset:         144
        .size:           2
        .value_kind:     hidden_group_size_z
      - .offset:         146
        .size:           2
        .value_kind:     hidden_remainder_x
      - .offset:         148
        .size:           2
        .value_kind:     hidden_remainder_y
      - .offset:         150
        .size:           2
        .value_kind:     hidden_remainder_z
      - .offset:         168
        .size:           8
        .value_kind:     hidden_global_offset_x
      - .offset:         176
        .size:           8
        .value_kind:     hidden_global_offset_y
      - .offset:         184
        .size:           8
        .value_kind:     hidden_global_offset_z
      - .offset:         192
        .size:           2
        .value_kind:     hidden_grid_dims
      - .offset:         248
        .size:           4
        .value_kind:     hidden_dynamic_lds_size
    .group_segment_fixed_size: 160
    .kernarg_segment_align: 8
    .kernarg_segment_size: 384
    .language:       OpenCL C
    .language_version:
      - 2
      - 0
    .max_flat_workgroup_size: 1024
    .name:           _ZN4vllm25paged_attention_v1_kernelI14__hip_bfloat16S1_Li64ELi16ELi128ELNS_18Fp8KVCacheDataTypeE0ELb0EEEvPT_PKS3_PKT0_S9_ifPKiSB_iPKfiiiSD_SD_iiiii
    .private_segment_fixed_size: 0
    .sgpr_count:     32
    .sgpr_spill_count: 0
    .symbol:         _ZN4vllm25paged_attention_v1_kernelI14__hip_bfloat16S1_Li64ELi16ELi128ELNS_18Fp8KVCacheDataTypeE0ELb0EEEvPT_PKS3_PKT0_S9_ifPKiSB_iPKfiiiSD_SD_iiiii.kd
    .uniform_work_group_size: 1
    .uses_dynamic_stack: false
    .vgpr_count:     68
    .vgpr_spill_count: 0
    .wavefront_size: 32
  - .args:
      - .actual_access:  write_only
        .address_space:  global
        .offset:         0
        .size:           8
        .value_kind:     global_buffer
      - .actual_access:  read_only
        .address_space:  global
        .offset:         8
        .size:           8
        .value_kind:     global_buffer
      - .actual_access:  read_only
        .address_space:  global
        .offset:         16
        .size:           8
        .value_kind:     global_buffer
      - .actual_access:  read_only
        .address_space:  global
        .offset:         24
        .size:           8
        .value_kind:     global_buffer
      - .offset:         32
        .size:           4
        .value_kind:     by_value
      - .offset:         36
        .size:           4
        .value_kind:     by_value
      - .actual_access:  read_only
        .address_space:  global
        .offset:         40
        .size:           8
        .value_kind:     global_buffer
      - .actual_access:  read_only
        .address_space:  global
        .offset:         48
        .size:           8
        .value_kind:     global_buffer
      - .offset:         56
        .size:           4
        .value_kind:     by_value
      - .actual_access:  read_only
        .address_space:  global
        .offset:         64
        .size:           8
        .value_kind:     global_buffer
      - .offset:         72
        .size:           4
        .value_kind:     by_value
      - .offset:         76
        .size:           4
        .value_kind:     by_value
      - .offset:         80
        .size:           4
        .value_kind:     by_value
      - .address_space:  global
        .offset:         88
        .size:           8
        .value_kind:     global_buffer
      - .address_space:  global
        .offset:         96
        .size:           8
        .value_kind:     global_buffer
      - .offset:         104
        .size:           4
        .value_kind:     by_value
      - .offset:         108
        .size:           4
        .value_kind:     by_value
      - .offset:         112
        .size:           4
        .value_kind:     by_value
      - .offset:         116
        .size:           4
        .value_kind:     by_value
      - .offset:         120
        .size:           4
        .value_kind:     by_value
      - .offset:         128
        .size:           4
        .value_kind:     hidden_block_count_x
      - .offset:         132
        .size:           4
        .value_kind:     hidden_block_count_y
      - .offset:         136
        .size:           4
        .value_kind:     hidden_block_count_z
      - .offset:         140
        .size:           2
        .value_kind:     hidden_group_size_x
      - .offset:         142
        .size:           2
        .value_kind:     hidden_group_size_y
      - .offset:         144
        .size:           2
        .value_kind:     hidden_group_size_z
      - .offset:         146
        .size:           2
        .value_kind:     hidden_remainder_x
      - .offset:         148
        .size:           2
        .value_kind:     hidden_remainder_y
      - .offset:         150
        .size:           2
        .value_kind:     hidden_remainder_z
      - .offset:         168
        .size:           8
        .value_kind:     hidden_global_offset_x
      - .offset:         176
        .size:           8
        .value_kind:     hidden_global_offset_y
      - .offset:         184
        .size:           8
        .value_kind:     hidden_global_offset_z
      - .offset:         192
        .size:           2
        .value_kind:     hidden_grid_dims
      - .offset:         248
        .size:           4
        .value_kind:     hidden_dynamic_lds_size
    .group_segment_fixed_size: 192
    .kernarg_segment_align: 8
    .kernarg_segment_size: 384
    .language:       OpenCL C
    .language_version:
      - 2
      - 0
    .max_flat_workgroup_size: 1024
    .name:           _ZN4vllm25paged_attention_v1_kernelI14__hip_bfloat16S1_Li80ELi16ELi128ELNS_18Fp8KVCacheDataTypeE0ELb0EEEvPT_PKS3_PKT0_S9_ifPKiSB_iPKfiiiSD_SD_iiiii
    .private_segment_fixed_size: 0
    .sgpr_count:     32
    .sgpr_spill_count: 0
    .symbol:         _ZN4vllm25paged_attention_v1_kernelI14__hip_bfloat16S1_Li80ELi16ELi128ELNS_18Fp8KVCacheDataTypeE0ELb0EEEvPT_PKS3_PKT0_S9_ifPKiSB_iPKfiiiSD_SD_iiiii.kd
    .uniform_work_group_size: 1
    .uses_dynamic_stack: false
    .vgpr_count:     80
    .vgpr_spill_count: 0
    .wavefront_size: 32
  - .args:
      - .actual_access:  write_only
        .address_space:  global
        .offset:         0
        .size:           8
        .value_kind:     global_buffer
      - .actual_access:  read_only
        .address_space:  global
        .offset:         8
        .size:           8
        .value_kind:     global_buffer
      - .actual_access:  read_only
        .address_space:  global
        .offset:         16
        .size:           8
        .value_kind:     global_buffer
      - .actual_access:  read_only
        .address_space:  global
        .offset:         24
        .size:           8
        .value_kind:     global_buffer
      - .offset:         32
        .size:           4
        .value_kind:     by_value
      - .offset:         36
        .size:           4
        .value_kind:     by_value
      - .actual_access:  read_only
        .address_space:  global
        .offset:         40
        .size:           8
        .value_kind:     global_buffer
      - .actual_access:  read_only
        .address_space:  global
        .offset:         48
        .size:           8
        .value_kind:     global_buffer
      - .offset:         56
        .size:           4
        .value_kind:     by_value
      - .actual_access:  read_only
        .address_space:  global
        .offset:         64
        .size:           8
        .value_kind:     global_buffer
      - .offset:         72
        .size:           4
        .value_kind:     by_value
      - .offset:         76
        .size:           4
        .value_kind:     by_value
      - .offset:         80
        .size:           4
        .value_kind:     by_value
      - .address_space:  global
        .offset:         88
        .size:           8
        .value_kind:     global_buffer
      - .address_space:  global
        .offset:         96
        .size:           8
        .value_kind:     global_buffer
      - .offset:         104
        .size:           4
        .value_kind:     by_value
      - .offset:         108
        .size:           4
        .value_kind:     by_value
      - .offset:         112
        .size:           4
        .value_kind:     by_value
      - .offset:         116
        .size:           4
        .value_kind:     by_value
      - .offset:         120
        .size:           4
        .value_kind:     by_value
      - .offset:         128
        .size:           4
        .value_kind:     hidden_block_count_x
      - .offset:         132
        .size:           4
        .value_kind:     hidden_block_count_y
      - .offset:         136
        .size:           4
        .value_kind:     hidden_block_count_z
      - .offset:         140
        .size:           2
        .value_kind:     hidden_group_size_x
      - .offset:         142
        .size:           2
        .value_kind:     hidden_group_size_y
      - .offset:         144
        .size:           2
        .value_kind:     hidden_group_size_z
      - .offset:         146
        .size:           2
        .value_kind:     hidden_remainder_x
      - .offset:         148
        .size:           2
        .value_kind:     hidden_remainder_y
      - .offset:         150
        .size:           2
        .value_kind:     hidden_remainder_z
      - .offset:         168
        .size:           8
        .value_kind:     hidden_global_offset_x
      - .offset:         176
        .size:           8
        .value_kind:     hidden_global_offset_y
      - .offset:         184
        .size:           8
        .value_kind:     hidden_global_offset_z
      - .offset:         192
        .size:           2
        .value_kind:     hidden_grid_dims
      - .offset:         248
        .size:           4
        .value_kind:     hidden_dynamic_lds_size
    .group_segment_fixed_size: 224
    .kernarg_segment_align: 8
    .kernarg_segment_size: 384
    .language:       OpenCL C
    .language_version:
      - 2
      - 0
    .max_flat_workgroup_size: 1024
    .name:           _ZN4vllm25paged_attention_v1_kernelI14__hip_bfloat16S1_Li96ELi16ELi128ELNS_18Fp8KVCacheDataTypeE0ELb0EEEvPT_PKS3_PKT0_S9_ifPKiSB_iPKfiiiSD_SD_iiiii
    .private_segment_fixed_size: 0
    .sgpr_count:     30
    .sgpr_spill_count: 0
    .symbol:         _ZN4vllm25paged_attention_v1_kernelI14__hip_bfloat16S1_Li96ELi16ELi128ELNS_18Fp8KVCacheDataTypeE0ELb0EEEvPT_PKS3_PKT0_S9_ifPKiSB_iPKfiiiSD_SD_iiiii.kd
    .uniform_work_group_size: 1
    .uses_dynamic_stack: false
    .vgpr_count:     92
    .vgpr_spill_count: 0
    .wavefront_size: 32
  - .args:
      - .actual_access:  write_only
        .address_space:  global
        .offset:         0
        .size:           8
        .value_kind:     global_buffer
      - .actual_access:  read_only
        .address_space:  global
        .offset:         8
        .size:           8
        .value_kind:     global_buffer
      - .actual_access:  read_only
        .address_space:  global
        .offset:         16
        .size:           8
        .value_kind:     global_buffer
      - .actual_access:  read_only
        .address_space:  global
        .offset:         24
        .size:           8
        .value_kind:     global_buffer
      - .offset:         32
        .size:           4
        .value_kind:     by_value
      - .offset:         36
        .size:           4
        .value_kind:     by_value
      - .actual_access:  read_only
        .address_space:  global
        .offset:         40
        .size:           8
        .value_kind:     global_buffer
      - .actual_access:  read_only
        .address_space:  global
        .offset:         48
        .size:           8
        .value_kind:     global_buffer
      - .offset:         56
        .size:           4
        .value_kind:     by_value
      - .actual_access:  read_only
        .address_space:  global
        .offset:         64
        .size:           8
        .value_kind:     global_buffer
      - .offset:         72
        .size:           4
        .value_kind:     by_value
      - .offset:         76
        .size:           4
        .value_kind:     by_value
      - .offset:         80
        .size:           4
        .value_kind:     by_value
      - .address_space:  global
        .offset:         88
        .size:           8
        .value_kind:     global_buffer
      - .address_space:  global
        .offset:         96
        .size:           8
        .value_kind:     global_buffer
      - .offset:         104
        .size:           4
        .value_kind:     by_value
      - .offset:         108
        .size:           4
        .value_kind:     by_value
      - .offset:         112
        .size:           4
        .value_kind:     by_value
      - .offset:         116
        .size:           4
        .value_kind:     by_value
      - .offset:         120
        .size:           4
        .value_kind:     by_value
      - .offset:         128
        .size:           4
        .value_kind:     hidden_block_count_x
      - .offset:         132
        .size:           4
        .value_kind:     hidden_block_count_y
      - .offset:         136
        .size:           4
        .value_kind:     hidden_block_count_z
      - .offset:         140
        .size:           2
        .value_kind:     hidden_group_size_x
      - .offset:         142
        .size:           2
        .value_kind:     hidden_group_size_y
      - .offset:         144
        .size:           2
        .value_kind:     hidden_group_size_z
      - .offset:         146
        .size:           2
        .value_kind:     hidden_remainder_x
      - .offset:         148
        .size:           2
        .value_kind:     hidden_remainder_y
      - .offset:         150
        .size:           2
        .value_kind:     hidden_remainder_z
      - .offset:         168
        .size:           8
        .value_kind:     hidden_global_offset_x
      - .offset:         176
        .size:           8
        .value_kind:     hidden_global_offset_y
      - .offset:         184
        .size:           8
        .value_kind:     hidden_global_offset_z
      - .offset:         192
        .size:           2
        .value_kind:     hidden_grid_dims
      - .offset:         248
        .size:           4
        .value_kind:     hidden_dynamic_lds_size
    .group_segment_fixed_size: 256
    .kernarg_segment_align: 8
    .kernarg_segment_size: 384
    .language:       OpenCL C
    .language_version:
      - 2
      - 0
    .max_flat_workgroup_size: 1024
    .name:           _ZN4vllm25paged_attention_v1_kernelI14__hip_bfloat16S1_Li112ELi16ELi128ELNS_18Fp8KVCacheDataTypeE0ELb0EEEvPT_PKS3_PKT0_S9_ifPKiSB_iPKfiiiSD_SD_iiiii
    .private_segment_fixed_size: 0
    .sgpr_count:     30
    .sgpr_spill_count: 0
    .symbol:         _ZN4vllm25paged_attention_v1_kernelI14__hip_bfloat16S1_Li112ELi16ELi128ELNS_18Fp8KVCacheDataTypeE0ELb0EEEvPT_PKS3_PKT0_S9_ifPKiSB_iPKfiiiSD_SD_iiiii.kd
    .uniform_work_group_size: 1
    .uses_dynamic_stack: false
    .vgpr_count:     104
    .vgpr_spill_count: 0
    .wavefront_size: 32
  - .args:
      - .actual_access:  write_only
        .address_space:  global
        .offset:         0
        .size:           8
        .value_kind:     global_buffer
      - .actual_access:  read_only
        .address_space:  global
        .offset:         8
        .size:           8
        .value_kind:     global_buffer
      - .actual_access:  read_only
        .address_space:  global
        .offset:         16
        .size:           8
        .value_kind:     global_buffer
      - .actual_access:  read_only
        .address_space:  global
        .offset:         24
        .size:           8
        .value_kind:     global_buffer
      - .offset:         32
        .size:           4
        .value_kind:     by_value
      - .offset:         36
        .size:           4
        .value_kind:     by_value
      - .actual_access:  read_only
        .address_space:  global
        .offset:         40
        .size:           8
        .value_kind:     global_buffer
      - .actual_access:  read_only
        .address_space:  global
        .offset:         48
        .size:           8
        .value_kind:     global_buffer
      - .offset:         56
        .size:           4
        .value_kind:     by_value
      - .actual_access:  read_only
        .address_space:  global
        .offset:         64
        .size:           8
        .value_kind:     global_buffer
      - .offset:         72
        .size:           4
        .value_kind:     by_value
      - .offset:         76
        .size:           4
        .value_kind:     by_value
      - .offset:         80
        .size:           4
        .value_kind:     by_value
      - .address_space:  global
        .offset:         88
        .size:           8
        .value_kind:     global_buffer
      - .address_space:  global
        .offset:         96
        .size:           8
        .value_kind:     global_buffer
      - .offset:         104
        .size:           4
        .value_kind:     by_value
      - .offset:         108
        .size:           4
        .value_kind:     by_value
      - .offset:         112
        .size:           4
        .value_kind:     by_value
      - .offset:         116
        .size:           4
        .value_kind:     by_value
      - .offset:         120
        .size:           4
        .value_kind:     by_value
      - .offset:         128
        .size:           4
        .value_kind:     hidden_block_count_x
      - .offset:         132
        .size:           4
        .value_kind:     hidden_block_count_y
      - .offset:         136
        .size:           4
        .value_kind:     hidden_block_count_z
      - .offset:         140
        .size:           2
        .value_kind:     hidden_group_size_x
      - .offset:         142
        .size:           2
        .value_kind:     hidden_group_size_y
      - .offset:         144
        .size:           2
        .value_kind:     hidden_group_size_z
      - .offset:         146
        .size:           2
        .value_kind:     hidden_remainder_x
      - .offset:         148
        .size:           2
        .value_kind:     hidden_remainder_y
      - .offset:         150
        .size:           2
        .value_kind:     hidden_remainder_z
      - .offset:         168
        .size:           8
        .value_kind:     hidden_global_offset_x
      - .offset:         176
        .size:           8
        .value_kind:     hidden_global_offset_y
      - .offset:         184
        .size:           8
        .value_kind:     hidden_global_offset_z
      - .offset:         192
        .size:           2
        .value_kind:     hidden_grid_dims
      - .offset:         248
        .size:           4
        .value_kind:     hidden_dynamic_lds_size
    .group_segment_fixed_size: 272
    .kernarg_segment_align: 8
    .kernarg_segment_size: 384
    .language:       OpenCL C
    .language_version:
      - 2
      - 0
    .max_flat_workgroup_size: 1024
    .name:           _ZN4vllm25paged_attention_v1_kernelI14__hip_bfloat16S1_Li120ELi16ELi128ELNS_18Fp8KVCacheDataTypeE0ELb0EEEvPT_PKS3_PKT0_S9_ifPKiSB_iPKfiiiSD_SD_iiiii
    .private_segment_fixed_size: 0
    .sgpr_count:     30
    .sgpr_spill_count: 0
    .symbol:         _ZN4vllm25paged_attention_v1_kernelI14__hip_bfloat16S1_Li120ELi16ELi128ELNS_18Fp8KVCacheDataTypeE0ELb0EEEvPT_PKS3_PKT0_S9_ifPKiSB_iPKfiiiSD_SD_iiiii.kd
    .uniform_work_group_size: 1
    .uses_dynamic_stack: false
    .vgpr_count:     104
    .vgpr_spill_count: 0
    .wavefront_size: 32
  - .args:
      - .actual_access:  write_only
        .address_space:  global
        .offset:         0
        .size:           8
        .value_kind:     global_buffer
      - .actual_access:  read_only
        .address_space:  global
        .offset:         8
        .size:           8
        .value_kind:     global_buffer
      - .actual_access:  read_only
        .address_space:  global
        .offset:         16
        .size:           8
        .value_kind:     global_buffer
      - .actual_access:  read_only
        .address_space:  global
        .offset:         24
        .size:           8
        .value_kind:     global_buffer
      - .offset:         32
        .size:           4
        .value_kind:     by_value
      - .offset:         36
        .size:           4
        .value_kind:     by_value
      - .actual_access:  read_only
        .address_space:  global
        .offset:         40
        .size:           8
        .value_kind:     global_buffer
      - .actual_access:  read_only
        .address_space:  global
        .offset:         48
        .size:           8
        .value_kind:     global_buffer
      - .offset:         56
        .size:           4
        .value_kind:     by_value
      - .actual_access:  read_only
        .address_space:  global
        .offset:         64
        .size:           8
        .value_kind:     global_buffer
      - .offset:         72
        .size:           4
        .value_kind:     by_value
      - .offset:         76
        .size:           4
        .value_kind:     by_value
      - .offset:         80
        .size:           4
        .value_kind:     by_value
      - .address_space:  global
        .offset:         88
        .size:           8
        .value_kind:     global_buffer
      - .address_space:  global
        .offset:         96
        .size:           8
        .value_kind:     global_buffer
      - .offset:         104
        .size:           4
        .value_kind:     by_value
      - .offset:         108
        .size:           4
        .value_kind:     by_value
      - .offset:         112
        .size:           4
        .value_kind:     by_value
      - .offset:         116
        .size:           4
        .value_kind:     by_value
      - .offset:         120
        .size:           4
        .value_kind:     by_value
      - .offset:         128
        .size:           4
        .value_kind:     hidden_block_count_x
      - .offset:         132
        .size:           4
        .value_kind:     hidden_block_count_y
      - .offset:         136
        .size:           4
        .value_kind:     hidden_block_count_z
      - .offset:         140
        .size:           2
        .value_kind:     hidden_group_size_x
      - .offset:         142
        .size:           2
        .value_kind:     hidden_group_size_y
      - .offset:         144
        .size:           2
        .value_kind:     hidden_group_size_z
      - .offset:         146
        .size:           2
        .value_kind:     hidden_remainder_x
      - .offset:         148
        .size:           2
        .value_kind:     hidden_remainder_y
      - .offset:         150
        .size:           2
        .value_kind:     hidden_remainder_z
      - .offset:         168
        .size:           8
        .value_kind:     hidden_global_offset_x
      - .offset:         176
        .size:           8
        .value_kind:     hidden_global_offset_y
      - .offset:         184
        .size:           8
        .value_kind:     hidden_global_offset_z
      - .offset:         192
        .size:           2
        .value_kind:     hidden_grid_dims
      - .offset:         248
        .size:           4
        .value_kind:     hidden_dynamic_lds_size
    .group_segment_fixed_size: 288
    .kernarg_segment_align: 8
    .kernarg_segment_size: 384
    .language:       OpenCL C
    .language_version:
      - 2
      - 0
    .max_flat_workgroup_size: 1024
    .name:           _ZN4vllm25paged_attention_v1_kernelI14__hip_bfloat16S1_Li128ELi16ELi128ELNS_18Fp8KVCacheDataTypeE0ELb0EEEvPT_PKS3_PKT0_S9_ifPKiSB_iPKfiiiSD_SD_iiiii
    .private_segment_fixed_size: 0
    .sgpr_count:     30
    .sgpr_spill_count: 0
    .symbol:         _ZN4vllm25paged_attention_v1_kernelI14__hip_bfloat16S1_Li128ELi16ELi128ELNS_18Fp8KVCacheDataTypeE0ELb0EEEvPT_PKS3_PKT0_S9_ifPKiSB_iPKfiiiSD_SD_iiiii.kd
    .uniform_work_group_size: 1
    .uses_dynamic_stack: false
    .vgpr_count:     116
    .vgpr_spill_count: 0
    .wavefront_size: 32
  - .args:
      - .actual_access:  write_only
        .address_space:  global
        .offset:         0
        .size:           8
        .value_kind:     global_buffer
      - .actual_access:  read_only
        .address_space:  global
        .offset:         8
        .size:           8
        .value_kind:     global_buffer
      - .actual_access:  read_only
        .address_space:  global
        .offset:         16
        .size:           8
        .value_kind:     global_buffer
      - .actual_access:  read_only
        .address_space:  global
        .offset:         24
        .size:           8
        .value_kind:     global_buffer
      - .offset:         32
        .size:           4
        .value_kind:     by_value
      - .offset:         36
        .size:           4
        .value_kind:     by_value
      - .actual_access:  read_only
        .address_space:  global
        .offset:         40
        .size:           8
        .value_kind:     global_buffer
      - .actual_access:  read_only
        .address_space:  global
        .offset:         48
        .size:           8
        .value_kind:     global_buffer
      - .offset:         56
        .size:           4
        .value_kind:     by_value
      - .actual_access:  read_only
        .address_space:  global
        .offset:         64
        .size:           8
        .value_kind:     global_buffer
      - .offset:         72
        .size:           4
        .value_kind:     by_value
      - .offset:         76
        .size:           4
        .value_kind:     by_value
      - .offset:         80
        .size:           4
        .value_kind:     by_value
      - .address_space:  global
        .offset:         88
        .size:           8
        .value_kind:     global_buffer
      - .address_space:  global
        .offset:         96
        .size:           8
        .value_kind:     global_buffer
      - .offset:         104
        .size:           4
        .value_kind:     by_value
      - .offset:         108
        .size:           4
        .value_kind:     by_value
      - .offset:         112
        .size:           4
        .value_kind:     by_value
      - .offset:         116
        .size:           4
        .value_kind:     by_value
      - .offset:         120
        .size:           4
        .value_kind:     by_value
      - .offset:         128
        .size:           4
        .value_kind:     hidden_block_count_x
      - .offset:         132
        .size:           4
        .value_kind:     hidden_block_count_y
      - .offset:         136
        .size:           4
        .value_kind:     hidden_block_count_z
      - .offset:         140
        .size:           2
        .value_kind:     hidden_group_size_x
      - .offset:         142
        .size:           2
        .value_kind:     hidden_group_size_y
      - .offset:         144
        .size:           2
        .value_kind:     hidden_group_size_z
      - .offset:         146
        .size:           2
        .value_kind:     hidden_remainder_x
      - .offset:         148
        .size:           2
        .value_kind:     hidden_remainder_y
      - .offset:         150
        .size:           2
        .value_kind:     hidden_remainder_z
      - .offset:         168
        .size:           8
        .value_kind:     hidden_global_offset_x
      - .offset:         176
        .size:           8
        .value_kind:     hidden_global_offset_y
      - .offset:         184
        .size:           8
        .value_kind:     hidden_global_offset_z
      - .offset:         192
        .size:           2
        .value_kind:     hidden_grid_dims
      - .offset:         248
        .size:           4
        .value_kind:     hidden_dynamic_lds_size
    .group_segment_fixed_size: 416
    .kernarg_segment_align: 8
    .kernarg_segment_size: 384
    .language:       OpenCL C
    .language_version:
      - 2
      - 0
    .max_flat_workgroup_size: 1024
    .name:           _ZN4vllm25paged_attention_v1_kernelI14__hip_bfloat16S1_Li192ELi16ELi128ELNS_18Fp8KVCacheDataTypeE0ELb0EEEvPT_PKS3_PKT0_S9_ifPKiSB_iPKfiiiSD_SD_iiiii
    .private_segment_fixed_size: 0
    .sgpr_count:     30
    .sgpr_spill_count: 0
    .symbol:         _ZN4vllm25paged_attention_v1_kernelI14__hip_bfloat16S1_Li192ELi16ELi128ELNS_18Fp8KVCacheDataTypeE0ELb0EEEvPT_PKS3_PKT0_S9_ifPKiSB_iPKfiiiSD_SD_iiiii.kd
    .uniform_work_group_size: 1
    .uses_dynamic_stack: false
    .vgpr_count:     128
    .vgpr_spill_count: 0
    .wavefront_size: 32
  - .args:
      - .actual_access:  write_only
        .address_space:  global
        .offset:         0
        .size:           8
        .value_kind:     global_buffer
      - .actual_access:  read_only
        .address_space:  global
        .offset:         8
        .size:           8
        .value_kind:     global_buffer
      - .actual_access:  read_only
        .address_space:  global
        .offset:         16
        .size:           8
        .value_kind:     global_buffer
      - .actual_access:  read_only
        .address_space:  global
        .offset:         24
        .size:           8
        .value_kind:     global_buffer
      - .offset:         32
        .size:           4
        .value_kind:     by_value
      - .offset:         36
        .size:           4
        .value_kind:     by_value
      - .actual_access:  read_only
        .address_space:  global
        .offset:         40
        .size:           8
        .value_kind:     global_buffer
      - .actual_access:  read_only
        .address_space:  global
        .offset:         48
        .size:           8
        .value_kind:     global_buffer
      - .offset:         56
        .size:           4
        .value_kind:     by_value
      - .actual_access:  read_only
        .address_space:  global
        .offset:         64
        .size:           8
        .value_kind:     global_buffer
      - .offset:         72
        .size:           4
        .value_kind:     by_value
      - .offset:         76
        .size:           4
        .value_kind:     by_value
      - .offset:         80
        .size:           4
        .value_kind:     by_value
      - .address_space:  global
        .offset:         88
        .size:           8
        .value_kind:     global_buffer
      - .address_space:  global
        .offset:         96
        .size:           8
        .value_kind:     global_buffer
      - .offset:         104
        .size:           4
        .value_kind:     by_value
      - .offset:         108
        .size:           4
        .value_kind:     by_value
      - .offset:         112
        .size:           4
        .value_kind:     by_value
      - .offset:         116
        .size:           4
        .value_kind:     by_value
      - .offset:         120
        .size:           4
        .value_kind:     by_value
      - .offset:         128
        .size:           4
        .value_kind:     hidden_block_count_x
      - .offset:         132
        .size:           4
        .value_kind:     hidden_block_count_y
      - .offset:         136
        .size:           4
        .value_kind:     hidden_block_count_z
      - .offset:         140
        .size:           2
        .value_kind:     hidden_group_size_x
      - .offset:         142
        .size:           2
        .value_kind:     hidden_group_size_y
      - .offset:         144
        .size:           2
        .value_kind:     hidden_group_size_z
      - .offset:         146
        .size:           2
        .value_kind:     hidden_remainder_x
      - .offset:         148
        .size:           2
        .value_kind:     hidden_remainder_y
      - .offset:         150
        .size:           2
        .value_kind:     hidden_remainder_z
      - .offset:         168
        .size:           8
        .value_kind:     hidden_global_offset_x
      - .offset:         176
        .size:           8
        .value_kind:     hidden_global_offset_y
      - .offset:         184
        .size:           8
        .value_kind:     hidden_global_offset_z
      - .offset:         192
        .size:           2
        .value_kind:     hidden_grid_dims
      - .offset:         248
        .size:           4
        .value_kind:     hidden_dynamic_lds_size
    .group_segment_fixed_size: 544
    .kernarg_segment_align: 8
    .kernarg_segment_size: 384
    .language:       OpenCL C
    .language_version:
      - 2
      - 0
    .max_flat_workgroup_size: 1024
    .name:           _ZN4vllm25paged_attention_v1_kernelI14__hip_bfloat16S1_Li256ELi16ELi128ELNS_18Fp8KVCacheDataTypeE0ELb0EEEvPT_PKS3_PKT0_S9_ifPKiSB_iPKfiiiSD_SD_iiiii
    .private_segment_fixed_size: 108
    .sgpr_count:     30
    .sgpr_spill_count: 0
    .symbol:         _ZN4vllm25paged_attention_v1_kernelI14__hip_bfloat16S1_Li256ELi16ELi128ELNS_18Fp8KVCacheDataTypeE0ELb0EEEvPT_PKS3_PKT0_S9_ifPKiSB_iPKfiiiSD_SD_iiiii.kd
    .uniform_work_group_size: 1
    .uses_dynamic_stack: false
    .vgpr_count:     128
    .vgpr_spill_count: 26
    .wavefront_size: 32
  - .args:
      - .actual_access:  write_only
        .address_space:  global
        .offset:         0
        .size:           8
        .value_kind:     global_buffer
      - .actual_access:  read_only
        .address_space:  global
        .offset:         8
        .size:           8
        .value_kind:     global_buffer
      - .actual_access:  read_only
        .address_space:  global
        .offset:         16
        .size:           8
        .value_kind:     global_buffer
      - .actual_access:  read_only
        .address_space:  global
        .offset:         24
        .size:           8
        .value_kind:     global_buffer
      - .offset:         32
        .size:           4
        .value_kind:     by_value
      - .offset:         36
        .size:           4
        .value_kind:     by_value
      - .actual_access:  read_only
        .address_space:  global
        .offset:         40
        .size:           8
        .value_kind:     global_buffer
      - .actual_access:  read_only
        .address_space:  global
        .offset:         48
        .size:           8
        .value_kind:     global_buffer
      - .offset:         56
        .size:           4
        .value_kind:     by_value
      - .actual_access:  read_only
        .address_space:  global
        .offset:         64
        .size:           8
        .value_kind:     global_buffer
      - .offset:         72
        .size:           4
        .value_kind:     by_value
      - .offset:         76
        .size:           4
        .value_kind:     by_value
      - .offset:         80
        .size:           4
        .value_kind:     by_value
      - .address_space:  global
        .offset:         88
        .size:           8
        .value_kind:     global_buffer
      - .address_space:  global
        .offset:         96
        .size:           8
        .value_kind:     global_buffer
      - .offset:         104
        .size:           4
        .value_kind:     by_value
      - .offset:         108
        .size:           4
        .value_kind:     by_value
      - .offset:         112
        .size:           4
        .value_kind:     by_value
      - .offset:         116
        .size:           4
        .value_kind:     by_value
      - .offset:         120
        .size:           4
        .value_kind:     by_value
      - .offset:         128
        .size:           4
        .value_kind:     hidden_block_count_x
      - .offset:         132
        .size:           4
        .value_kind:     hidden_block_count_y
      - .offset:         136
        .size:           4
        .value_kind:     hidden_block_count_z
      - .offset:         140
        .size:           2
        .value_kind:     hidden_group_size_x
      - .offset:         142
        .size:           2
        .value_kind:     hidden_group_size_y
      - .offset:         144
        .size:           2
        .value_kind:     hidden_group_size_z
      - .offset:         146
        .size:           2
        .value_kind:     hidden_remainder_x
      - .offset:         148
        .size:           2
        .value_kind:     hidden_remainder_y
      - .offset:         150
        .size:           2
        .value_kind:     hidden_remainder_z
      - .offset:         168
        .size:           8
        .value_kind:     hidden_global_offset_x
      - .offset:         176
        .size:           8
        .value_kind:     hidden_global_offset_y
      - .offset:         184
        .size:           8
        .value_kind:     hidden_global_offset_z
      - .offset:         192
        .size:           2
        .value_kind:     hidden_grid_dims
      - .offset:         248
        .size:           4
        .value_kind:     hidden_dynamic_lds_size
    .group_segment_fixed_size: 96
    .kernarg_segment_align: 8
    .kernarg_segment_size: 384
    .language:       OpenCL C
    .language_version:
      - 2
      - 0
    .max_flat_workgroup_size: 1024
    .name:           _ZN4vllm25paged_attention_v1_kernelI14__hip_bfloat16S1_Li32ELi32ELi128ELNS_18Fp8KVCacheDataTypeE0ELb1EEEvPT_PKS3_PKT0_S9_ifPKiSB_iPKfiiiSD_SD_iiiii
    .private_segment_fixed_size: 0
    .sgpr_count:     40
    .sgpr_spill_count: 0
    .symbol:         _ZN4vllm25paged_attention_v1_kernelI14__hip_bfloat16S1_Li32ELi32ELi128ELNS_18Fp8KVCacheDataTypeE0ELb1EEEvPT_PKS3_PKT0_S9_ifPKiSB_iPKfiiiSD_SD_iiiii.kd
    .uniform_work_group_size: 1
    .uses_dynamic_stack: false
    .vgpr_count:     78
    .vgpr_spill_count: 0
    .wavefront_size: 32
  - .args:
      - .actual_access:  write_only
        .address_space:  global
        .offset:         0
        .size:           8
        .value_kind:     global_buffer
      - .actual_access:  read_only
        .address_space:  global
        .offset:         8
        .size:           8
        .value_kind:     global_buffer
      - .actual_access:  read_only
        .address_space:  global
        .offset:         16
        .size:           8
        .value_kind:     global_buffer
      - .actual_access:  read_only
        .address_space:  global
        .offset:         24
        .size:           8
        .value_kind:     global_buffer
      - .offset:         32
        .size:           4
        .value_kind:     by_value
      - .offset:         36
        .size:           4
        .value_kind:     by_value
      - .actual_access:  read_only
        .address_space:  global
        .offset:         40
        .size:           8
        .value_kind:     global_buffer
      - .actual_access:  read_only
        .address_space:  global
        .offset:         48
        .size:           8
        .value_kind:     global_buffer
      - .offset:         56
        .size:           4
        .value_kind:     by_value
      - .actual_access:  read_only
        .address_space:  global
        .offset:         64
        .size:           8
        .value_kind:     global_buffer
      - .offset:         72
        .size:           4
        .value_kind:     by_value
      - .offset:         76
        .size:           4
        .value_kind:     by_value
      - .offset:         80
        .size:           4
        .value_kind:     by_value
      - .address_space:  global
        .offset:         88
        .size:           8
        .value_kind:     global_buffer
      - .address_space:  global
        .offset:         96
        .size:           8
        .value_kind:     global_buffer
      - .offset:         104
        .size:           4
        .value_kind:     by_value
      - .offset:         108
        .size:           4
        .value_kind:     by_value
      - .offset:         112
        .size:           4
        .value_kind:     by_value
      - .offset:         116
        .size:           4
        .value_kind:     by_value
      - .offset:         120
        .size:           4
        .value_kind:     by_value
      - .offset:         128
        .size:           4
        .value_kind:     hidden_block_count_x
      - .offset:         132
        .size:           4
        .value_kind:     hidden_block_count_y
      - .offset:         136
        .size:           4
        .value_kind:     hidden_block_count_z
      - .offset:         140
        .size:           2
        .value_kind:     hidden_group_size_x
      - .offset:         142
        .size:           2
        .value_kind:     hidden_group_size_y
      - .offset:         144
        .size:           2
        .value_kind:     hidden_group_size_z
      - .offset:         146
        .size:           2
        .value_kind:     hidden_remainder_x
      - .offset:         148
        .size:           2
        .value_kind:     hidden_remainder_y
      - .offset:         150
        .size:           2
        .value_kind:     hidden_remainder_z
      - .offset:         168
        .size:           8
        .value_kind:     hidden_global_offset_x
      - .offset:         176
        .size:           8
        .value_kind:     hidden_global_offset_y
      - .offset:         184
        .size:           8
        .value_kind:     hidden_global_offset_z
      - .offset:         192
        .size:           2
        .value_kind:     hidden_grid_dims
      - .offset:         248
        .size:           4
        .value_kind:     hidden_dynamic_lds_size
    .group_segment_fixed_size: 160
    .kernarg_segment_align: 8
    .kernarg_segment_size: 384
    .language:       OpenCL C
    .language_version:
      - 2
      - 0
    .max_flat_workgroup_size: 1024
    .name:           _ZN4vllm25paged_attention_v1_kernelI14__hip_bfloat16S1_Li64ELi32ELi128ELNS_18Fp8KVCacheDataTypeE0ELb1EEEvPT_PKS3_PKT0_S9_ifPKiSB_iPKfiiiSD_SD_iiiii
    .private_segment_fixed_size: 0
    .sgpr_count:     40
    .sgpr_spill_count: 0
    .symbol:         _ZN4vllm25paged_attention_v1_kernelI14__hip_bfloat16S1_Li64ELi32ELi128ELNS_18Fp8KVCacheDataTypeE0ELb1EEEvPT_PKS3_PKT0_S9_ifPKiSB_iPKfiiiSD_SD_iiiii.kd
    .uniform_work_group_size: 1
    .uses_dynamic_stack: false
    .vgpr_count:     120
    .vgpr_spill_count: 0
    .wavefront_size: 32
  - .args:
      - .actual_access:  write_only
        .address_space:  global
        .offset:         0
        .size:           8
        .value_kind:     global_buffer
      - .actual_access:  read_only
        .address_space:  global
        .offset:         8
        .size:           8
        .value_kind:     global_buffer
      - .actual_access:  read_only
        .address_space:  global
        .offset:         16
        .size:           8
        .value_kind:     global_buffer
      - .actual_access:  read_only
        .address_space:  global
        .offset:         24
        .size:           8
        .value_kind:     global_buffer
      - .offset:         32
        .size:           4
        .value_kind:     by_value
      - .offset:         36
        .size:           4
        .value_kind:     by_value
      - .actual_access:  read_only
        .address_space:  global
        .offset:         40
        .size:           8
        .value_kind:     global_buffer
      - .actual_access:  read_only
        .address_space:  global
        .offset:         48
        .size:           8
        .value_kind:     global_buffer
      - .offset:         56
        .size:           4
        .value_kind:     by_value
      - .actual_access:  read_only
        .address_space:  global
        .offset:         64
        .size:           8
        .value_kind:     global_buffer
      - .offset:         72
        .size:           4
        .value_kind:     by_value
      - .offset:         76
        .size:           4
        .value_kind:     by_value
      - .offset:         80
        .size:           4
        .value_kind:     by_value
      - .address_space:  global
        .offset:         88
        .size:           8
        .value_kind:     global_buffer
      - .address_space:  global
        .offset:         96
        .size:           8
        .value_kind:     global_buffer
      - .offset:         104
        .size:           4
        .value_kind:     by_value
      - .offset:         108
        .size:           4
        .value_kind:     by_value
      - .offset:         112
        .size:           4
        .value_kind:     by_value
      - .offset:         116
        .size:           4
        .value_kind:     by_value
      - .offset:         120
        .size:           4
        .value_kind:     by_value
      - .offset:         128
        .size:           4
        .value_kind:     hidden_block_count_x
      - .offset:         132
        .size:           4
        .value_kind:     hidden_block_count_y
      - .offset:         136
        .size:           4
        .value_kind:     hidden_block_count_z
      - .offset:         140
        .size:           2
        .value_kind:     hidden_group_size_x
      - .offset:         142
        .size:           2
        .value_kind:     hidden_group_size_y
      - .offset:         144
        .size:           2
        .value_kind:     hidden_group_size_z
      - .offset:         146
        .size:           2
        .value_kind:     hidden_remainder_x
      - .offset:         148
        .size:           2
        .value_kind:     hidden_remainder_y
      - .offset:         150
        .size:           2
        .value_kind:     hidden_remainder_z
      - .offset:         168
        .size:           8
        .value_kind:     hidden_global_offset_x
      - .offset:         176
        .size:           8
        .value_kind:     hidden_global_offset_y
      - .offset:         184
        .size:           8
        .value_kind:     hidden_global_offset_z
      - .offset:         192
        .size:           2
        .value_kind:     hidden_grid_dims
      - .offset:         248
        .size:           4
        .value_kind:     hidden_dynamic_lds_size
    .group_segment_fixed_size: 192
    .kernarg_segment_align: 8
    .kernarg_segment_size: 384
    .language:       OpenCL C
    .language_version:
      - 2
      - 0
    .max_flat_workgroup_size: 1024
    .name:           _ZN4vllm25paged_attention_v1_kernelI14__hip_bfloat16S1_Li80ELi32ELi128ELNS_18Fp8KVCacheDataTypeE0ELb1EEEvPT_PKS3_PKT0_S9_ifPKiSB_iPKfiiiSD_SD_iiiii
    .private_segment_fixed_size: 68
    .sgpr_count:     40
    .sgpr_spill_count: 0
    .symbol:         _ZN4vllm25paged_attention_v1_kernelI14__hip_bfloat16S1_Li80ELi32ELi128ELNS_18Fp8KVCacheDataTypeE0ELb1EEEvPT_PKS3_PKT0_S9_ifPKiSB_iPKfiiiSD_SD_iiiii.kd
    .uniform_work_group_size: 1
    .uses_dynamic_stack: false
    .vgpr_count:     128
    .vgpr_spill_count: 16
    .wavefront_size: 32
  - .args:
      - .actual_access:  write_only
        .address_space:  global
        .offset:         0
        .size:           8
        .value_kind:     global_buffer
      - .actual_access:  read_only
        .address_space:  global
        .offset:         8
        .size:           8
        .value_kind:     global_buffer
      - .actual_access:  read_only
        .address_space:  global
        .offset:         16
        .size:           8
        .value_kind:     global_buffer
      - .actual_access:  read_only
        .address_space:  global
        .offset:         24
        .size:           8
        .value_kind:     global_buffer
      - .offset:         32
        .size:           4
        .value_kind:     by_value
      - .offset:         36
        .size:           4
        .value_kind:     by_value
      - .actual_access:  read_only
        .address_space:  global
        .offset:         40
        .size:           8
        .value_kind:     global_buffer
      - .actual_access:  read_only
        .address_space:  global
        .offset:         48
        .size:           8
        .value_kind:     global_buffer
      - .offset:         56
        .size:           4
        .value_kind:     by_value
      - .actual_access:  read_only
        .address_space:  global
        .offset:         64
        .size:           8
        .value_kind:     global_buffer
      - .offset:         72
        .size:           4
        .value_kind:     by_value
      - .offset:         76
        .size:           4
        .value_kind:     by_value
      - .offset:         80
        .size:           4
        .value_kind:     by_value
      - .address_space:  global
        .offset:         88
        .size:           8
        .value_kind:     global_buffer
      - .address_space:  global
        .offset:         96
        .size:           8
        .value_kind:     global_buffer
      - .offset:         104
        .size:           4
        .value_kind:     by_value
      - .offset:         108
        .size:           4
        .value_kind:     by_value
      - .offset:         112
        .size:           4
        .value_kind:     by_value
      - .offset:         116
        .size:           4
        .value_kind:     by_value
      - .offset:         120
        .size:           4
        .value_kind:     by_value
      - .offset:         128
        .size:           4
        .value_kind:     hidden_block_count_x
      - .offset:         132
        .size:           4
        .value_kind:     hidden_block_count_y
      - .offset:         136
        .size:           4
        .value_kind:     hidden_block_count_z
      - .offset:         140
        .size:           2
        .value_kind:     hidden_group_size_x
      - .offset:         142
        .size:           2
        .value_kind:     hidden_group_size_y
      - .offset:         144
        .size:           2
        .value_kind:     hidden_group_size_z
      - .offset:         146
        .size:           2
        .value_kind:     hidden_remainder_x
      - .offset:         148
        .size:           2
        .value_kind:     hidden_remainder_y
      - .offset:         150
        .size:           2
        .value_kind:     hidden_remainder_z
      - .offset:         168
        .size:           8
        .value_kind:     hidden_global_offset_x
      - .offset:         176
        .size:           8
        .value_kind:     hidden_global_offset_y
      - .offset:         184
        .size:           8
        .value_kind:     hidden_global_offset_z
      - .offset:         192
        .size:           2
        .value_kind:     hidden_grid_dims
      - .offset:         248
        .size:           4
        .value_kind:     hidden_dynamic_lds_size
    .group_segment_fixed_size: 224
    .kernarg_segment_align: 8
    .kernarg_segment_size: 384
    .language:       OpenCL C
    .language_version:
      - 2
      - 0
    .max_flat_workgroup_size: 1024
    .name:           _ZN4vllm25paged_attention_v1_kernelI14__hip_bfloat16S1_Li96ELi32ELi128ELNS_18Fp8KVCacheDataTypeE0ELb1EEEvPT_PKS3_PKT0_S9_ifPKiSB_iPKfiiiSD_SD_iiiii
    .private_segment_fixed_size: 180
    .sgpr_count:     40
    .sgpr_spill_count: 0
    .symbol:         _ZN4vllm25paged_attention_v1_kernelI14__hip_bfloat16S1_Li96ELi32ELi128ELNS_18Fp8KVCacheDataTypeE0ELb1EEEvPT_PKS3_PKT0_S9_ifPKiSB_iPKfiiiSD_SD_iiiii.kd
    .uniform_work_group_size: 1
    .uses_dynamic_stack: false
    .vgpr_count:     128
    .vgpr_spill_count: 44
    .wavefront_size: 32
  - .args:
      - .actual_access:  write_only
        .address_space:  global
        .offset:         0
        .size:           8
        .value_kind:     global_buffer
      - .actual_access:  read_only
        .address_space:  global
        .offset:         8
        .size:           8
        .value_kind:     global_buffer
      - .actual_access:  read_only
        .address_space:  global
        .offset:         16
        .size:           8
        .value_kind:     global_buffer
      - .actual_access:  read_only
        .address_space:  global
        .offset:         24
        .size:           8
        .value_kind:     global_buffer
      - .offset:         32
        .size:           4
        .value_kind:     by_value
      - .offset:         36
        .size:           4
        .value_kind:     by_value
      - .actual_access:  read_only
        .address_space:  global
        .offset:         40
        .size:           8
        .value_kind:     global_buffer
      - .actual_access:  read_only
        .address_space:  global
        .offset:         48
        .size:           8
        .value_kind:     global_buffer
      - .offset:         56
        .size:           4
        .value_kind:     by_value
      - .actual_access:  read_only
        .address_space:  global
        .offset:         64
        .size:           8
        .value_kind:     global_buffer
      - .offset:         72
        .size:           4
        .value_kind:     by_value
      - .offset:         76
        .size:           4
        .value_kind:     by_value
      - .offset:         80
        .size:           4
        .value_kind:     by_value
      - .address_space:  global
        .offset:         88
        .size:           8
        .value_kind:     global_buffer
      - .address_space:  global
        .offset:         96
        .size:           8
        .value_kind:     global_buffer
      - .offset:         104
        .size:           4
        .value_kind:     by_value
      - .offset:         108
        .size:           4
        .value_kind:     by_value
      - .offset:         112
        .size:           4
        .value_kind:     by_value
      - .offset:         116
        .size:           4
        .value_kind:     by_value
      - .offset:         120
        .size:           4
        .value_kind:     by_value
      - .offset:         128
        .size:           4
        .value_kind:     hidden_block_count_x
      - .offset:         132
        .size:           4
        .value_kind:     hidden_block_count_y
      - .offset:         136
        .size:           4
        .value_kind:     hidden_block_count_z
      - .offset:         140
        .size:           2
        .value_kind:     hidden_group_size_x
      - .offset:         142
        .size:           2
        .value_kind:     hidden_group_size_y
      - .offset:         144
        .size:           2
        .value_kind:     hidden_group_size_z
      - .offset:         146
        .size:           2
        .value_kind:     hidden_remainder_x
      - .offset:         148
        .size:           2
        .value_kind:     hidden_remainder_y
      - .offset:         150
        .size:           2
        .value_kind:     hidden_remainder_z
      - .offset:         168
        .size:           8
        .value_kind:     hidden_global_offset_x
      - .offset:         176
        .size:           8
        .value_kind:     hidden_global_offset_y
      - .offset:         184
        .size:           8
        .value_kind:     hidden_global_offset_z
      - .offset:         192
        .size:           2
        .value_kind:     hidden_grid_dims
      - .offset:         248
        .size:           4
        .value_kind:     hidden_dynamic_lds_size
    .group_segment_fixed_size: 256
    .kernarg_segment_align: 8
    .kernarg_segment_size: 384
    .language:       OpenCL C
    .language_version:
      - 2
      - 0
    .max_flat_workgroup_size: 1024
    .name:           _ZN4vllm25paged_attention_v1_kernelI14__hip_bfloat16S1_Li112ELi32ELi128ELNS_18Fp8KVCacheDataTypeE0ELb1EEEvPT_PKS3_PKT0_S9_ifPKiSB_iPKfiiiSD_SD_iiiii
    .private_segment_fixed_size: 276
    .sgpr_count:     40
    .sgpr_spill_count: 0
    .symbol:         _ZN4vllm25paged_attention_v1_kernelI14__hip_bfloat16S1_Li112ELi32ELi128ELNS_18Fp8KVCacheDataTypeE0ELb1EEEvPT_PKS3_PKT0_S9_ifPKiSB_iPKfiiiSD_SD_iiiii.kd
    .uniform_work_group_size: 1
    .uses_dynamic_stack: false
    .vgpr_count:     128
    .vgpr_spill_count: 68
    .wavefront_size: 32
  - .args:
      - .actual_access:  write_only
        .address_space:  global
        .offset:         0
        .size:           8
        .value_kind:     global_buffer
      - .actual_access:  read_only
        .address_space:  global
        .offset:         8
        .size:           8
        .value_kind:     global_buffer
      - .actual_access:  read_only
        .address_space:  global
        .offset:         16
        .size:           8
        .value_kind:     global_buffer
      - .actual_access:  read_only
        .address_space:  global
        .offset:         24
        .size:           8
        .value_kind:     global_buffer
      - .offset:         32
        .size:           4
        .value_kind:     by_value
      - .offset:         36
        .size:           4
        .value_kind:     by_value
      - .actual_access:  read_only
        .address_space:  global
        .offset:         40
        .size:           8
        .value_kind:     global_buffer
      - .actual_access:  read_only
        .address_space:  global
        .offset:         48
        .size:           8
        .value_kind:     global_buffer
      - .offset:         56
        .size:           4
        .value_kind:     by_value
      - .actual_access:  read_only
        .address_space:  global
        .offset:         64
        .size:           8
        .value_kind:     global_buffer
      - .offset:         72
        .size:           4
        .value_kind:     by_value
      - .offset:         76
        .size:           4
        .value_kind:     by_value
      - .offset:         80
        .size:           4
        .value_kind:     by_value
      - .address_space:  global
        .offset:         88
        .size:           8
        .value_kind:     global_buffer
      - .address_space:  global
        .offset:         96
        .size:           8
        .value_kind:     global_buffer
      - .offset:         104
        .size:           4
        .value_kind:     by_value
      - .offset:         108
        .size:           4
        .value_kind:     by_value
      - .offset:         112
        .size:           4
        .value_kind:     by_value
      - .offset:         116
        .size:           4
        .value_kind:     by_value
      - .offset:         120
        .size:           4
        .value_kind:     by_value
      - .offset:         128
        .size:           4
        .value_kind:     hidden_block_count_x
      - .offset:         132
        .size:           4
        .value_kind:     hidden_block_count_y
      - .offset:         136
        .size:           4
        .value_kind:     hidden_block_count_z
      - .offset:         140
        .size:           2
        .value_kind:     hidden_group_size_x
      - .offset:         142
        .size:           2
        .value_kind:     hidden_group_size_y
      - .offset:         144
        .size:           2
        .value_kind:     hidden_group_size_z
      - .offset:         146
        .size:           2
        .value_kind:     hidden_remainder_x
      - .offset:         148
        .size:           2
        .value_kind:     hidden_remainder_y
      - .offset:         150
        .size:           2
        .value_kind:     hidden_remainder_z
      - .offset:         168
        .size:           8
        .value_kind:     hidden_global_offset_x
      - .offset:         176
        .size:           8
        .value_kind:     hidden_global_offset_y
      - .offset:         184
        .size:           8
        .value_kind:     hidden_global_offset_z
      - .offset:         192
        .size:           2
        .value_kind:     hidden_grid_dims
      - .offset:         248
        .size:           4
        .value_kind:     hidden_dynamic_lds_size
    .group_segment_fixed_size: 272
    .kernarg_segment_align: 8
    .kernarg_segment_size: 384
    .language:       OpenCL C
    .language_version:
      - 2
      - 0
    .max_flat_workgroup_size: 1024
    .name:           _ZN4vllm25paged_attention_v1_kernelI14__hip_bfloat16S1_Li120ELi32ELi128ELNS_18Fp8KVCacheDataTypeE0ELb1EEEvPT_PKS3_PKT0_S9_ifPKiSB_iPKfiiiSD_SD_iiiii
    .private_segment_fixed_size: 308
    .sgpr_count:     40
    .sgpr_spill_count: 0
    .symbol:         _ZN4vllm25paged_attention_v1_kernelI14__hip_bfloat16S1_Li120ELi32ELi128ELNS_18Fp8KVCacheDataTypeE0ELb1EEEvPT_PKS3_PKT0_S9_ifPKiSB_iPKfiiiSD_SD_iiiii.kd
    .uniform_work_group_size: 1
    .uses_dynamic_stack: false
    .vgpr_count:     128
    .vgpr_spill_count: 76
    .wavefront_size: 32
  - .args:
      - .actual_access:  write_only
        .address_space:  global
        .offset:         0
        .size:           8
        .value_kind:     global_buffer
      - .actual_access:  read_only
        .address_space:  global
        .offset:         8
        .size:           8
        .value_kind:     global_buffer
      - .actual_access:  read_only
        .address_space:  global
        .offset:         16
        .size:           8
        .value_kind:     global_buffer
      - .actual_access:  read_only
        .address_space:  global
        .offset:         24
        .size:           8
        .value_kind:     global_buffer
      - .offset:         32
        .size:           4
        .value_kind:     by_value
      - .offset:         36
        .size:           4
        .value_kind:     by_value
      - .actual_access:  read_only
        .address_space:  global
        .offset:         40
        .size:           8
        .value_kind:     global_buffer
      - .actual_access:  read_only
        .address_space:  global
        .offset:         48
        .size:           8
        .value_kind:     global_buffer
      - .offset:         56
        .size:           4
        .value_kind:     by_value
      - .actual_access:  read_only
        .address_space:  global
        .offset:         64
        .size:           8
        .value_kind:     global_buffer
      - .offset:         72
        .size:           4
        .value_kind:     by_value
      - .offset:         76
        .size:           4
        .value_kind:     by_value
      - .offset:         80
        .size:           4
        .value_kind:     by_value
      - .address_space:  global
        .offset:         88
        .size:           8
        .value_kind:     global_buffer
      - .address_space:  global
        .offset:         96
        .size:           8
        .value_kind:     global_buffer
      - .offset:         104
        .size:           4
        .value_kind:     by_value
      - .offset:         108
        .size:           4
        .value_kind:     by_value
      - .offset:         112
        .size:           4
        .value_kind:     by_value
      - .offset:         116
        .size:           4
        .value_kind:     by_value
      - .offset:         120
        .size:           4
        .value_kind:     by_value
      - .offset:         128
        .size:           4
        .value_kind:     hidden_block_count_x
      - .offset:         132
        .size:           4
        .value_kind:     hidden_block_count_y
      - .offset:         136
        .size:           4
        .value_kind:     hidden_block_count_z
      - .offset:         140
        .size:           2
        .value_kind:     hidden_group_size_x
      - .offset:         142
        .size:           2
        .value_kind:     hidden_group_size_y
      - .offset:         144
        .size:           2
        .value_kind:     hidden_group_size_z
      - .offset:         146
        .size:           2
        .value_kind:     hidden_remainder_x
      - .offset:         148
        .size:           2
        .value_kind:     hidden_remainder_y
      - .offset:         150
        .size:           2
        .value_kind:     hidden_remainder_z
      - .offset:         168
        .size:           8
        .value_kind:     hidden_global_offset_x
      - .offset:         176
        .size:           8
        .value_kind:     hidden_global_offset_y
      - .offset:         184
        .size:           8
        .value_kind:     hidden_global_offset_z
      - .offset:         192
        .size:           2
        .value_kind:     hidden_grid_dims
      - .offset:         248
        .size:           4
        .value_kind:     hidden_dynamic_lds_size
    .group_segment_fixed_size: 288
    .kernarg_segment_align: 8
    .kernarg_segment_size: 384
    .language:       OpenCL C
    .language_version:
      - 2
      - 0
    .max_flat_workgroup_size: 1024
    .name:           _ZN4vllm25paged_attention_v1_kernelI14__hip_bfloat16S1_Li128ELi32ELi128ELNS_18Fp8KVCacheDataTypeE0ELb1EEEvPT_PKS3_PKT0_S9_ifPKiSB_iPKfiiiSD_SD_iiiii
    .private_segment_fixed_size: 324
    .sgpr_count:     40
    .sgpr_spill_count: 0
    .symbol:         _ZN4vllm25paged_attention_v1_kernelI14__hip_bfloat16S1_Li128ELi32ELi128ELNS_18Fp8KVCacheDataTypeE0ELb1EEEvPT_PKS3_PKT0_S9_ifPKiSB_iPKfiiiSD_SD_iiiii.kd
    .uniform_work_group_size: 1
    .uses_dynamic_stack: false
    .vgpr_count:     128
    .vgpr_spill_count: 80
    .wavefront_size: 32
  - .args:
      - .actual_access:  write_only
        .address_space:  global
        .offset:         0
        .size:           8
        .value_kind:     global_buffer
      - .actual_access:  read_only
        .address_space:  global
        .offset:         8
        .size:           8
        .value_kind:     global_buffer
      - .actual_access:  read_only
        .address_space:  global
        .offset:         16
        .size:           8
        .value_kind:     global_buffer
      - .actual_access:  read_only
        .address_space:  global
        .offset:         24
        .size:           8
        .value_kind:     global_buffer
      - .offset:         32
        .size:           4
        .value_kind:     by_value
      - .offset:         36
        .size:           4
        .value_kind:     by_value
      - .actual_access:  read_only
        .address_space:  global
        .offset:         40
        .size:           8
        .value_kind:     global_buffer
      - .actual_access:  read_only
        .address_space:  global
        .offset:         48
        .size:           8
        .value_kind:     global_buffer
      - .offset:         56
        .size:           4
        .value_kind:     by_value
      - .actual_access:  read_only
        .address_space:  global
        .offset:         64
        .size:           8
        .value_kind:     global_buffer
      - .offset:         72
        .size:           4
        .value_kind:     by_value
      - .offset:         76
        .size:           4
        .value_kind:     by_value
      - .offset:         80
        .size:           4
        .value_kind:     by_value
      - .address_space:  global
        .offset:         88
        .size:           8
        .value_kind:     global_buffer
      - .address_space:  global
        .offset:         96
        .size:           8
        .value_kind:     global_buffer
      - .offset:         104
        .size:           4
        .value_kind:     by_value
      - .offset:         108
        .size:           4
        .value_kind:     by_value
      - .offset:         112
        .size:           4
        .value_kind:     by_value
      - .offset:         116
        .size:           4
        .value_kind:     by_value
      - .offset:         120
        .size:           4
        .value_kind:     by_value
      - .offset:         128
        .size:           4
        .value_kind:     hidden_block_count_x
      - .offset:         132
        .size:           4
        .value_kind:     hidden_block_count_y
      - .offset:         136
        .size:           4
        .value_kind:     hidden_block_count_z
      - .offset:         140
        .size:           2
        .value_kind:     hidden_group_size_x
      - .offset:         142
        .size:           2
        .value_kind:     hidden_group_size_y
      - .offset:         144
        .size:           2
        .value_kind:     hidden_group_size_z
      - .offset:         146
        .size:           2
        .value_kind:     hidden_remainder_x
      - .offset:         148
        .size:           2
        .value_kind:     hidden_remainder_y
      - .offset:         150
        .size:           2
        .value_kind:     hidden_remainder_z
      - .offset:         168
        .size:           8
        .value_kind:     hidden_global_offset_x
      - .offset:         176
        .size:           8
        .value_kind:     hidden_global_offset_y
      - .offset:         184
        .size:           8
        .value_kind:     hidden_global_offset_z
      - .offset:         192
        .size:           2
        .value_kind:     hidden_grid_dims
      - .offset:         248
        .size:           4
        .value_kind:     hidden_dynamic_lds_size
    .group_segment_fixed_size: 416
    .kernarg_segment_align: 8
    .kernarg_segment_size: 384
    .language:       OpenCL C
    .language_version:
      - 2
      - 0
    .max_flat_workgroup_size: 1024
    .name:           _ZN4vllm25paged_attention_v1_kernelI14__hip_bfloat16S1_Li192ELi32ELi128ELNS_18Fp8KVCacheDataTypeE0ELb1EEEvPT_PKS3_PKT0_S9_ifPKiSB_iPKfiiiSD_SD_iiiii
    .private_segment_fixed_size: 612
    .sgpr_count:     40
    .sgpr_spill_count: 0
    .symbol:         _ZN4vllm25paged_attention_v1_kernelI14__hip_bfloat16S1_Li192ELi32ELi128ELNS_18Fp8KVCacheDataTypeE0ELb1EEEvPT_PKS3_PKT0_S9_ifPKiSB_iPKfiiiSD_SD_iiiii.kd
    .uniform_work_group_size: 1
    .uses_dynamic_stack: false
    .vgpr_count:     128
    .vgpr_spill_count: 170
    .wavefront_size: 32
  - .args:
      - .actual_access:  write_only
        .address_space:  global
        .offset:         0
        .size:           8
        .value_kind:     global_buffer
      - .actual_access:  read_only
        .address_space:  global
        .offset:         8
        .size:           8
        .value_kind:     global_buffer
      - .actual_access:  read_only
        .address_space:  global
        .offset:         16
        .size:           8
        .value_kind:     global_buffer
      - .actual_access:  read_only
        .address_space:  global
        .offset:         24
        .size:           8
        .value_kind:     global_buffer
      - .offset:         32
        .size:           4
        .value_kind:     by_value
      - .offset:         36
        .size:           4
        .value_kind:     by_value
      - .actual_access:  read_only
        .address_space:  global
        .offset:         40
        .size:           8
        .value_kind:     global_buffer
      - .actual_access:  read_only
        .address_space:  global
        .offset:         48
        .size:           8
        .value_kind:     global_buffer
      - .offset:         56
        .size:           4
        .value_kind:     by_value
      - .actual_access:  read_only
        .address_space:  global
        .offset:         64
        .size:           8
        .value_kind:     global_buffer
      - .offset:         72
        .size:           4
        .value_kind:     by_value
      - .offset:         76
        .size:           4
        .value_kind:     by_value
      - .offset:         80
        .size:           4
        .value_kind:     by_value
      - .address_space:  global
        .offset:         88
        .size:           8
        .value_kind:     global_buffer
      - .address_space:  global
        .offset:         96
        .size:           8
        .value_kind:     global_buffer
      - .offset:         104
        .size:           4
        .value_kind:     by_value
      - .offset:         108
        .size:           4
        .value_kind:     by_value
      - .offset:         112
        .size:           4
        .value_kind:     by_value
      - .offset:         116
        .size:           4
        .value_kind:     by_value
      - .offset:         120
        .size:           4
        .value_kind:     by_value
      - .offset:         128
        .size:           4
        .value_kind:     hidden_block_count_x
      - .offset:         132
        .size:           4
        .value_kind:     hidden_block_count_y
      - .offset:         136
        .size:           4
        .value_kind:     hidden_block_count_z
      - .offset:         140
        .size:           2
        .value_kind:     hidden_group_size_x
      - .offset:         142
        .size:           2
        .value_kind:     hidden_group_size_y
      - .offset:         144
        .size:           2
        .value_kind:     hidden_group_size_z
      - .offset:         146
        .size:           2
        .value_kind:     hidden_remainder_x
      - .offset:         148
        .size:           2
        .value_kind:     hidden_remainder_y
      - .offset:         150
        .size:           2
        .value_kind:     hidden_remainder_z
      - .offset:         168
        .size:           8
        .value_kind:     hidden_global_offset_x
      - .offset:         176
        .size:           8
        .value_kind:     hidden_global_offset_y
      - .offset:         184
        .size:           8
        .value_kind:     hidden_global_offset_z
      - .offset:         192
        .size:           2
        .value_kind:     hidden_grid_dims
      - .offset:         248
        .size:           4
        .value_kind:     hidden_dynamic_lds_size
    .group_segment_fixed_size: 544
    .kernarg_segment_align: 8
    .kernarg_segment_size: 384
    .language:       OpenCL C
    .language_version:
      - 2
      - 0
    .max_flat_workgroup_size: 1024
    .name:           _ZN4vllm25paged_attention_v1_kernelI14__hip_bfloat16S1_Li256ELi32ELi128ELNS_18Fp8KVCacheDataTypeE0ELb1EEEvPT_PKS3_PKT0_S9_ifPKiSB_iPKfiiiSD_SD_iiiii
    .private_segment_fixed_size: 892
    .sgpr_count:     41
    .sgpr_spill_count: 0
    .symbol:         _ZN4vllm25paged_attention_v1_kernelI14__hip_bfloat16S1_Li256ELi32ELi128ELNS_18Fp8KVCacheDataTypeE0ELb1EEEvPT_PKS3_PKT0_S9_ifPKiSB_iPKfiiiSD_SD_iiiii.kd
    .uniform_work_group_size: 1
    .uses_dynamic_stack: false
    .vgpr_count:     128
    .vgpr_spill_count: 348
    .wavefront_size: 32
  - .args:
      - .actual_access:  write_only
        .address_space:  global
        .offset:         0
        .size:           8
        .value_kind:     global_buffer
      - .actual_access:  read_only
        .address_space:  global
        .offset:         8
        .size:           8
        .value_kind:     global_buffer
      - .actual_access:  read_only
        .address_space:  global
        .offset:         16
        .size:           8
        .value_kind:     global_buffer
      - .actual_access:  read_only
        .address_space:  global
        .offset:         24
        .size:           8
        .value_kind:     global_buffer
      - .offset:         32
        .size:           4
        .value_kind:     by_value
      - .offset:         36
        .size:           4
        .value_kind:     by_value
      - .actual_access:  read_only
        .address_space:  global
        .offset:         40
        .size:           8
        .value_kind:     global_buffer
      - .actual_access:  read_only
        .address_space:  global
        .offset:         48
        .size:           8
        .value_kind:     global_buffer
      - .offset:         56
        .size:           4
        .value_kind:     by_value
      - .actual_access:  read_only
        .address_space:  global
        .offset:         64
        .size:           8
        .value_kind:     global_buffer
      - .offset:         72
        .size:           4
        .value_kind:     by_value
      - .offset:         76
        .size:           4
        .value_kind:     by_value
      - .offset:         80
        .size:           4
        .value_kind:     by_value
      - .address_space:  global
        .offset:         88
        .size:           8
        .value_kind:     global_buffer
      - .address_space:  global
        .offset:         96
        .size:           8
        .value_kind:     global_buffer
      - .offset:         104
        .size:           4
        .value_kind:     by_value
      - .offset:         108
        .size:           4
        .value_kind:     by_value
      - .offset:         112
        .size:           4
        .value_kind:     by_value
      - .offset:         116
        .size:           4
        .value_kind:     by_value
      - .offset:         120
        .size:           4
        .value_kind:     by_value
      - .offset:         128
        .size:           4
        .value_kind:     hidden_block_count_x
      - .offset:         132
        .size:           4
        .value_kind:     hidden_block_count_y
      - .offset:         136
        .size:           4
        .value_kind:     hidden_block_count_z
      - .offset:         140
        .size:           2
        .value_kind:     hidden_group_size_x
      - .offset:         142
        .size:           2
        .value_kind:     hidden_group_size_y
      - .offset:         144
        .size:           2
        .value_kind:     hidden_group_size_z
      - .offset:         146
        .size:           2
        .value_kind:     hidden_remainder_x
      - .offset:         148
        .size:           2
        .value_kind:     hidden_remainder_y
      - .offset:         150
        .size:           2
        .value_kind:     hidden_remainder_z
      - .offset:         168
        .size:           8
        .value_kind:     hidden_global_offset_x
      - .offset:         176
        .size:           8
        .value_kind:     hidden_global_offset_y
      - .offset:         184
        .size:           8
        .value_kind:     hidden_global_offset_z
      - .offset:         192
        .size:           2
        .value_kind:     hidden_grid_dims
      - .offset:         248
        .size:           4
        .value_kind:     hidden_dynamic_lds_size
    .group_segment_fixed_size: 96
    .kernarg_segment_align: 8
    .kernarg_segment_size: 384
    .language:       OpenCL C
    .language_version:
      - 2
      - 0
    .max_flat_workgroup_size: 1024
    .name:           _ZN4vllm25paged_attention_v1_kernelI14__hip_bfloat16S1_Li32ELi32ELi128ELNS_18Fp8KVCacheDataTypeE0ELb0EEEvPT_PKS3_PKT0_S9_ifPKiSB_iPKfiiiSD_SD_iiiii
    .private_segment_fixed_size: 0
    .sgpr_count:     30
    .sgpr_spill_count: 0
    .symbol:         _ZN4vllm25paged_attention_v1_kernelI14__hip_bfloat16S1_Li32ELi32ELi128ELNS_18Fp8KVCacheDataTypeE0ELb0EEEvPT_PKS3_PKT0_S9_ifPKiSB_iPKfiiiSD_SD_iiiii.kd
    .uniform_work_group_size: 1
    .uses_dynamic_stack: false
    .vgpr_count:     79
    .vgpr_spill_count: 0
    .wavefront_size: 32
  - .args:
      - .actual_access:  write_only
        .address_space:  global
        .offset:         0
        .size:           8
        .value_kind:     global_buffer
      - .actual_access:  read_only
        .address_space:  global
        .offset:         8
        .size:           8
        .value_kind:     global_buffer
      - .actual_access:  read_only
        .address_space:  global
        .offset:         16
        .size:           8
        .value_kind:     global_buffer
      - .actual_access:  read_only
        .address_space:  global
        .offset:         24
        .size:           8
        .value_kind:     global_buffer
      - .offset:         32
        .size:           4
        .value_kind:     by_value
      - .offset:         36
        .size:           4
        .value_kind:     by_value
      - .actual_access:  read_only
        .address_space:  global
        .offset:         40
        .size:           8
        .value_kind:     global_buffer
      - .actual_access:  read_only
        .address_space:  global
        .offset:         48
        .size:           8
        .value_kind:     global_buffer
      - .offset:         56
        .size:           4
        .value_kind:     by_value
      - .actual_access:  read_only
        .address_space:  global
        .offset:         64
        .size:           8
        .value_kind:     global_buffer
      - .offset:         72
        .size:           4
        .value_kind:     by_value
      - .offset:         76
        .size:           4
        .value_kind:     by_value
      - .offset:         80
        .size:           4
        .value_kind:     by_value
      - .address_space:  global
        .offset:         88
        .size:           8
        .value_kind:     global_buffer
      - .address_space:  global
        .offset:         96
        .size:           8
        .value_kind:     global_buffer
      - .offset:         104
        .size:           4
        .value_kind:     by_value
      - .offset:         108
        .size:           4
        .value_kind:     by_value
      - .offset:         112
        .size:           4
        .value_kind:     by_value
      - .offset:         116
        .size:           4
        .value_kind:     by_value
      - .offset:         120
        .size:           4
        .value_kind:     by_value
      - .offset:         128
        .size:           4
        .value_kind:     hidden_block_count_x
      - .offset:         132
        .size:           4
        .value_kind:     hidden_block_count_y
      - .offset:         136
        .size:           4
        .value_kind:     hidden_block_count_z
      - .offset:         140
        .size:           2
        .value_kind:     hidden_group_size_x
      - .offset:         142
        .size:           2
        .value_kind:     hidden_group_size_y
      - .offset:         144
        .size:           2
        .value_kind:     hidden_group_size_z
      - .offset:         146
        .size:           2
        .value_kind:     hidden_remainder_x
      - .offset:         148
        .size:           2
        .value_kind:     hidden_remainder_y
      - .offset:         150
        .size:           2
        .value_kind:     hidden_remainder_z
      - .offset:         168
        .size:           8
        .value_kind:     hidden_global_offset_x
      - .offset:         176
        .size:           8
        .value_kind:     hidden_global_offset_y
      - .offset:         184
        .size:           8
        .value_kind:     hidden_global_offset_z
      - .offset:         192
        .size:           2
        .value_kind:     hidden_grid_dims
      - .offset:         248
        .size:           4
        .value_kind:     hidden_dynamic_lds_size
    .group_segment_fixed_size: 160
    .kernarg_segment_align: 8
    .kernarg_segment_size: 384
    .language:       OpenCL C
    .language_version:
      - 2
      - 0
    .max_flat_workgroup_size: 1024
    .name:           _ZN4vllm25paged_attention_v1_kernelI14__hip_bfloat16S1_Li64ELi32ELi128ELNS_18Fp8KVCacheDataTypeE0ELb0EEEvPT_PKS3_PKT0_S9_ifPKiSB_iPKfiiiSD_SD_iiiii
    .private_segment_fixed_size: 0
    .sgpr_count:     30
    .sgpr_spill_count: 0
    .symbol:         _ZN4vllm25paged_attention_v1_kernelI14__hip_bfloat16S1_Li64ELi32ELi128ELNS_18Fp8KVCacheDataTypeE0ELb0EEEvPT_PKS3_PKT0_S9_ifPKiSB_iPKfiiiSD_SD_iiiii.kd
    .uniform_work_group_size: 1
    .uses_dynamic_stack: false
    .vgpr_count:     116
    .vgpr_spill_count: 0
    .wavefront_size: 32
  - .args:
      - .actual_access:  write_only
        .address_space:  global
        .offset:         0
        .size:           8
        .value_kind:     global_buffer
      - .actual_access:  read_only
        .address_space:  global
        .offset:         8
        .size:           8
        .value_kind:     global_buffer
      - .actual_access:  read_only
        .address_space:  global
        .offset:         16
        .size:           8
        .value_kind:     global_buffer
      - .actual_access:  read_only
        .address_space:  global
        .offset:         24
        .size:           8
        .value_kind:     global_buffer
      - .offset:         32
        .size:           4
        .value_kind:     by_value
      - .offset:         36
        .size:           4
        .value_kind:     by_value
      - .actual_access:  read_only
        .address_space:  global
        .offset:         40
        .size:           8
        .value_kind:     global_buffer
      - .actual_access:  read_only
        .address_space:  global
        .offset:         48
        .size:           8
        .value_kind:     global_buffer
      - .offset:         56
        .size:           4
        .value_kind:     by_value
      - .actual_access:  read_only
        .address_space:  global
        .offset:         64
        .size:           8
        .value_kind:     global_buffer
      - .offset:         72
        .size:           4
        .value_kind:     by_value
      - .offset:         76
        .size:           4
        .value_kind:     by_value
      - .offset:         80
        .size:           4
        .value_kind:     by_value
      - .address_space:  global
        .offset:         88
        .size:           8
        .value_kind:     global_buffer
      - .address_space:  global
        .offset:         96
        .size:           8
        .value_kind:     global_buffer
      - .offset:         104
        .size:           4
        .value_kind:     by_value
      - .offset:         108
        .size:           4
        .value_kind:     by_value
      - .offset:         112
        .size:           4
        .value_kind:     by_value
      - .offset:         116
        .size:           4
        .value_kind:     by_value
      - .offset:         120
        .size:           4
        .value_kind:     by_value
      - .offset:         128
        .size:           4
        .value_kind:     hidden_block_count_x
      - .offset:         132
        .size:           4
        .value_kind:     hidden_block_count_y
      - .offset:         136
        .size:           4
        .value_kind:     hidden_block_count_z
      - .offset:         140
        .size:           2
        .value_kind:     hidden_group_size_x
      - .offset:         142
        .size:           2
        .value_kind:     hidden_group_size_y
      - .offset:         144
        .size:           2
        .value_kind:     hidden_group_size_z
      - .offset:         146
        .size:           2
        .value_kind:     hidden_remainder_x
      - .offset:         148
        .size:           2
        .value_kind:     hidden_remainder_y
      - .offset:         150
        .size:           2
        .value_kind:     hidden_remainder_z
      - .offset:         168
        .size:           8
        .value_kind:     hidden_global_offset_x
      - .offset:         176
        .size:           8
        .value_kind:     hidden_global_offset_y
      - .offset:         184
        .size:           8
        .value_kind:     hidden_global_offset_z
      - .offset:         192
        .size:           2
        .value_kind:     hidden_grid_dims
      - .offset:         248
        .size:           4
        .value_kind:     hidden_dynamic_lds_size
    .group_segment_fixed_size: 192
    .kernarg_segment_align: 8
    .kernarg_segment_size: 384
    .language:       OpenCL C
    .language_version:
      - 2
      - 0
    .max_flat_workgroup_size: 1024
    .name:           _ZN4vllm25paged_attention_v1_kernelI14__hip_bfloat16S1_Li80ELi32ELi128ELNS_18Fp8KVCacheDataTypeE0ELb0EEEvPT_PKS3_PKT0_S9_ifPKiSB_iPKfiiiSD_SD_iiiii
    .private_segment_fixed_size: 40
    .sgpr_count:     30
    .sgpr_spill_count: 0
    .symbol:         _ZN4vllm25paged_attention_v1_kernelI14__hip_bfloat16S1_Li80ELi32ELi128ELNS_18Fp8KVCacheDataTypeE0ELb0EEEvPT_PKS3_PKT0_S9_ifPKiSB_iPKfiiiSD_SD_iiiii.kd
    .uniform_work_group_size: 1
    .uses_dynamic_stack: false
    .vgpr_count:     128
    .vgpr_spill_count: 9
    .wavefront_size: 32
  - .args:
      - .actual_access:  write_only
        .address_space:  global
        .offset:         0
        .size:           8
        .value_kind:     global_buffer
      - .actual_access:  read_only
        .address_space:  global
        .offset:         8
        .size:           8
        .value_kind:     global_buffer
      - .actual_access:  read_only
        .address_space:  global
        .offset:         16
        .size:           8
        .value_kind:     global_buffer
      - .actual_access:  read_only
        .address_space:  global
        .offset:         24
        .size:           8
        .value_kind:     global_buffer
      - .offset:         32
        .size:           4
        .value_kind:     by_value
      - .offset:         36
        .size:           4
        .value_kind:     by_value
      - .actual_access:  read_only
        .address_space:  global
        .offset:         40
        .size:           8
        .value_kind:     global_buffer
      - .actual_access:  read_only
        .address_space:  global
        .offset:         48
        .size:           8
        .value_kind:     global_buffer
      - .offset:         56
        .size:           4
        .value_kind:     by_value
      - .actual_access:  read_only
        .address_space:  global
        .offset:         64
        .size:           8
        .value_kind:     global_buffer
      - .offset:         72
        .size:           4
        .value_kind:     by_value
      - .offset:         76
        .size:           4
        .value_kind:     by_value
      - .offset:         80
        .size:           4
        .value_kind:     by_value
      - .address_space:  global
        .offset:         88
        .size:           8
        .value_kind:     global_buffer
      - .address_space:  global
        .offset:         96
        .size:           8
        .value_kind:     global_buffer
      - .offset:         104
        .size:           4
        .value_kind:     by_value
      - .offset:         108
        .size:           4
        .value_kind:     by_value
      - .offset:         112
        .size:           4
        .value_kind:     by_value
      - .offset:         116
        .size:           4
        .value_kind:     by_value
      - .offset:         120
        .size:           4
        .value_kind:     by_value
      - .offset:         128
        .size:           4
        .value_kind:     hidden_block_count_x
      - .offset:         132
        .size:           4
        .value_kind:     hidden_block_count_y
      - .offset:         136
        .size:           4
        .value_kind:     hidden_block_count_z
      - .offset:         140
        .size:           2
        .value_kind:     hidden_group_size_x
      - .offset:         142
        .size:           2
        .value_kind:     hidden_group_size_y
      - .offset:         144
        .size:           2
        .value_kind:     hidden_group_size_z
      - .offset:         146
        .size:           2
        .value_kind:     hidden_remainder_x
      - .offset:         148
        .size:           2
        .value_kind:     hidden_remainder_y
      - .offset:         150
        .size:           2
        .value_kind:     hidden_remainder_z
      - .offset:         168
        .size:           8
        .value_kind:     hidden_global_offset_x
      - .offset:         176
        .size:           8
        .value_kind:     hidden_global_offset_y
      - .offset:         184
        .size:           8
        .value_kind:     hidden_global_offset_z
      - .offset:         192
        .size:           2
        .value_kind:     hidden_grid_dims
      - .offset:         248
        .size:           4
        .value_kind:     hidden_dynamic_lds_size
    .group_segment_fixed_size: 224
    .kernarg_segment_align: 8
    .kernarg_segment_size: 384
    .language:       OpenCL C
    .language_version:
      - 2
      - 0
    .max_flat_workgroup_size: 1024
    .name:           _ZN4vllm25paged_attention_v1_kernelI14__hip_bfloat16S1_Li96ELi32ELi128ELNS_18Fp8KVCacheDataTypeE0ELb0EEEvPT_PKS3_PKT0_S9_ifPKiSB_iPKfiiiSD_SD_iiiii
    .private_segment_fixed_size: 152
    .sgpr_count:     30
    .sgpr_spill_count: 0
    .symbol:         _ZN4vllm25paged_attention_v1_kernelI14__hip_bfloat16S1_Li96ELi32ELi128ELNS_18Fp8KVCacheDataTypeE0ELb0EEEvPT_PKS3_PKT0_S9_ifPKiSB_iPKfiiiSD_SD_iiiii.kd
    .uniform_work_group_size: 1
    .uses_dynamic_stack: false
    .vgpr_count:     128
    .vgpr_spill_count: 37
    .wavefront_size: 32
  - .args:
      - .actual_access:  write_only
        .address_space:  global
        .offset:         0
        .size:           8
        .value_kind:     global_buffer
      - .actual_access:  read_only
        .address_space:  global
        .offset:         8
        .size:           8
        .value_kind:     global_buffer
      - .actual_access:  read_only
        .address_space:  global
        .offset:         16
        .size:           8
        .value_kind:     global_buffer
      - .actual_access:  read_only
        .address_space:  global
        .offset:         24
        .size:           8
        .value_kind:     global_buffer
      - .offset:         32
        .size:           4
        .value_kind:     by_value
      - .offset:         36
        .size:           4
        .value_kind:     by_value
      - .actual_access:  read_only
        .address_space:  global
        .offset:         40
        .size:           8
        .value_kind:     global_buffer
      - .actual_access:  read_only
        .address_space:  global
        .offset:         48
        .size:           8
        .value_kind:     global_buffer
      - .offset:         56
        .size:           4
        .value_kind:     by_value
      - .actual_access:  read_only
        .address_space:  global
        .offset:         64
        .size:           8
        .value_kind:     global_buffer
      - .offset:         72
        .size:           4
        .value_kind:     by_value
      - .offset:         76
        .size:           4
        .value_kind:     by_value
      - .offset:         80
        .size:           4
        .value_kind:     by_value
      - .address_space:  global
        .offset:         88
        .size:           8
        .value_kind:     global_buffer
      - .address_space:  global
        .offset:         96
        .size:           8
        .value_kind:     global_buffer
      - .offset:         104
        .size:           4
        .value_kind:     by_value
      - .offset:         108
        .size:           4
        .value_kind:     by_value
      - .offset:         112
        .size:           4
        .value_kind:     by_value
      - .offset:         116
        .size:           4
        .value_kind:     by_value
      - .offset:         120
        .size:           4
        .value_kind:     by_value
      - .offset:         128
        .size:           4
        .value_kind:     hidden_block_count_x
      - .offset:         132
        .size:           4
        .value_kind:     hidden_block_count_y
      - .offset:         136
        .size:           4
        .value_kind:     hidden_block_count_z
      - .offset:         140
        .size:           2
        .value_kind:     hidden_group_size_x
      - .offset:         142
        .size:           2
        .value_kind:     hidden_group_size_y
      - .offset:         144
        .size:           2
        .value_kind:     hidden_group_size_z
      - .offset:         146
        .size:           2
        .value_kind:     hidden_remainder_x
      - .offset:         148
        .size:           2
        .value_kind:     hidden_remainder_y
      - .offset:         150
        .size:           2
        .value_kind:     hidden_remainder_z
      - .offset:         168
        .size:           8
        .value_kind:     hidden_global_offset_x
      - .offset:         176
        .size:           8
        .value_kind:     hidden_global_offset_y
      - .offset:         184
        .size:           8
        .value_kind:     hidden_global_offset_z
      - .offset:         192
        .size:           2
        .value_kind:     hidden_grid_dims
      - .offset:         248
        .size:           4
        .value_kind:     hidden_dynamic_lds_size
    .group_segment_fixed_size: 256
    .kernarg_segment_align: 8
    .kernarg_segment_size: 384
    .language:       OpenCL C
    .language_version:
      - 2
      - 0
    .max_flat_workgroup_size: 1024
    .name:           _ZN4vllm25paged_attention_v1_kernelI14__hip_bfloat16S1_Li112ELi32ELi128ELNS_18Fp8KVCacheDataTypeE0ELb0EEEvPT_PKS3_PKT0_S9_ifPKiSB_iPKfiiiSD_SD_iiiii
    .private_segment_fixed_size: 264
    .sgpr_count:     30
    .sgpr_spill_count: 0
    .symbol:         _ZN4vllm25paged_attention_v1_kernelI14__hip_bfloat16S1_Li112ELi32ELi128ELNS_18Fp8KVCacheDataTypeE0ELb0EEEvPT_PKS3_PKT0_S9_ifPKiSB_iPKfiiiSD_SD_iiiii.kd
    .uniform_work_group_size: 1
    .uses_dynamic_stack: false
    .vgpr_count:     128
    .vgpr_spill_count: 65
    .wavefront_size: 32
  - .args:
      - .actual_access:  write_only
        .address_space:  global
        .offset:         0
        .size:           8
        .value_kind:     global_buffer
      - .actual_access:  read_only
        .address_space:  global
        .offset:         8
        .size:           8
        .value_kind:     global_buffer
      - .actual_access:  read_only
        .address_space:  global
        .offset:         16
        .size:           8
        .value_kind:     global_buffer
      - .actual_access:  read_only
        .address_space:  global
        .offset:         24
        .size:           8
        .value_kind:     global_buffer
      - .offset:         32
        .size:           4
        .value_kind:     by_value
      - .offset:         36
        .size:           4
        .value_kind:     by_value
      - .actual_access:  read_only
        .address_space:  global
        .offset:         40
        .size:           8
        .value_kind:     global_buffer
      - .actual_access:  read_only
        .address_space:  global
        .offset:         48
        .size:           8
        .value_kind:     global_buffer
      - .offset:         56
        .size:           4
        .value_kind:     by_value
      - .actual_access:  read_only
        .address_space:  global
        .offset:         64
        .size:           8
        .value_kind:     global_buffer
      - .offset:         72
        .size:           4
        .value_kind:     by_value
      - .offset:         76
        .size:           4
        .value_kind:     by_value
      - .offset:         80
        .size:           4
        .value_kind:     by_value
      - .address_space:  global
        .offset:         88
        .size:           8
        .value_kind:     global_buffer
      - .address_space:  global
        .offset:         96
        .size:           8
        .value_kind:     global_buffer
      - .offset:         104
        .size:           4
        .value_kind:     by_value
      - .offset:         108
        .size:           4
        .value_kind:     by_value
      - .offset:         112
        .size:           4
        .value_kind:     by_value
      - .offset:         116
        .size:           4
        .value_kind:     by_value
      - .offset:         120
        .size:           4
        .value_kind:     by_value
      - .offset:         128
        .size:           4
        .value_kind:     hidden_block_count_x
      - .offset:         132
        .size:           4
        .value_kind:     hidden_block_count_y
      - .offset:         136
        .size:           4
        .value_kind:     hidden_block_count_z
      - .offset:         140
        .size:           2
        .value_kind:     hidden_group_size_x
      - .offset:         142
        .size:           2
        .value_kind:     hidden_group_size_y
      - .offset:         144
        .size:           2
        .value_kind:     hidden_group_size_z
      - .offset:         146
        .size:           2
        .value_kind:     hidden_remainder_x
      - .offset:         148
        .size:           2
        .value_kind:     hidden_remainder_y
      - .offset:         150
        .size:           2
        .value_kind:     hidden_remainder_z
      - .offset:         168
        .size:           8
        .value_kind:     hidden_global_offset_x
      - .offset:         176
        .size:           8
        .value_kind:     hidden_global_offset_y
      - .offset:         184
        .size:           8
        .value_kind:     hidden_global_offset_z
      - .offset:         192
        .size:           2
        .value_kind:     hidden_grid_dims
      - .offset:         248
        .size:           4
        .value_kind:     hidden_dynamic_lds_size
    .group_segment_fixed_size: 272
    .kernarg_segment_align: 8
    .kernarg_segment_size: 384
    .language:       OpenCL C
    .language_version:
      - 2
      - 0
    .max_flat_workgroup_size: 1024
    .name:           _ZN4vllm25paged_attention_v1_kernelI14__hip_bfloat16S1_Li120ELi32ELi128ELNS_18Fp8KVCacheDataTypeE0ELb0EEEvPT_PKS3_PKT0_S9_ifPKiSB_iPKfiiiSD_SD_iiiii
    .private_segment_fixed_size: 296
    .sgpr_count:     30
    .sgpr_spill_count: 0
    .symbol:         _ZN4vllm25paged_attention_v1_kernelI14__hip_bfloat16S1_Li120ELi32ELi128ELNS_18Fp8KVCacheDataTypeE0ELb0EEEvPT_PKS3_PKT0_S9_ifPKiSB_iPKfiiiSD_SD_iiiii.kd
    .uniform_work_group_size: 1
    .uses_dynamic_stack: false
    .vgpr_count:     128
    .vgpr_spill_count: 73
    .wavefront_size: 32
  - .args:
      - .actual_access:  write_only
        .address_space:  global
        .offset:         0
        .size:           8
        .value_kind:     global_buffer
      - .actual_access:  read_only
        .address_space:  global
        .offset:         8
        .size:           8
        .value_kind:     global_buffer
      - .actual_access:  read_only
        .address_space:  global
        .offset:         16
        .size:           8
        .value_kind:     global_buffer
      - .actual_access:  read_only
        .address_space:  global
        .offset:         24
        .size:           8
        .value_kind:     global_buffer
      - .offset:         32
        .size:           4
        .value_kind:     by_value
      - .offset:         36
        .size:           4
        .value_kind:     by_value
      - .actual_access:  read_only
        .address_space:  global
        .offset:         40
        .size:           8
        .value_kind:     global_buffer
      - .actual_access:  read_only
        .address_space:  global
        .offset:         48
        .size:           8
        .value_kind:     global_buffer
      - .offset:         56
        .size:           4
        .value_kind:     by_value
      - .actual_access:  read_only
        .address_space:  global
        .offset:         64
        .size:           8
        .value_kind:     global_buffer
      - .offset:         72
        .size:           4
        .value_kind:     by_value
      - .offset:         76
        .size:           4
        .value_kind:     by_value
      - .offset:         80
        .size:           4
        .value_kind:     by_value
      - .address_space:  global
        .offset:         88
        .size:           8
        .value_kind:     global_buffer
      - .address_space:  global
        .offset:         96
        .size:           8
        .value_kind:     global_buffer
      - .offset:         104
        .size:           4
        .value_kind:     by_value
      - .offset:         108
        .size:           4
        .value_kind:     by_value
      - .offset:         112
        .size:           4
        .value_kind:     by_value
      - .offset:         116
        .size:           4
        .value_kind:     by_value
      - .offset:         120
        .size:           4
        .value_kind:     by_value
      - .offset:         128
        .size:           4
        .value_kind:     hidden_block_count_x
      - .offset:         132
        .size:           4
        .value_kind:     hidden_block_count_y
      - .offset:         136
        .size:           4
        .value_kind:     hidden_block_count_z
      - .offset:         140
        .size:           2
        .value_kind:     hidden_group_size_x
      - .offset:         142
        .size:           2
        .value_kind:     hidden_group_size_y
      - .offset:         144
        .size:           2
        .value_kind:     hidden_group_size_z
      - .offset:         146
        .size:           2
        .value_kind:     hidden_remainder_x
      - .offset:         148
        .size:           2
        .value_kind:     hidden_remainder_y
      - .offset:         150
        .size:           2
        .value_kind:     hidden_remainder_z
      - .offset:         168
        .size:           8
        .value_kind:     hidden_global_offset_x
      - .offset:         176
        .size:           8
        .value_kind:     hidden_global_offset_y
      - .offset:         184
        .size:           8
        .value_kind:     hidden_global_offset_z
      - .offset:         192
        .size:           2
        .value_kind:     hidden_grid_dims
      - .offset:         248
        .size:           4
        .value_kind:     hidden_dynamic_lds_size
    .group_segment_fixed_size: 288
    .kernarg_segment_align: 8
    .kernarg_segment_size: 384
    .language:       OpenCL C
    .language_version:
      - 2
      - 0
    .max_flat_workgroup_size: 1024
    .name:           _ZN4vllm25paged_attention_v1_kernelI14__hip_bfloat16S1_Li128ELi32ELi128ELNS_18Fp8KVCacheDataTypeE0ELb0EEEvPT_PKS3_PKT0_S9_ifPKiSB_iPKfiiiSD_SD_iiiii
    .private_segment_fixed_size: 312
    .sgpr_count:     30
    .sgpr_spill_count: 0
    .symbol:         _ZN4vllm25paged_attention_v1_kernelI14__hip_bfloat16S1_Li128ELi32ELi128ELNS_18Fp8KVCacheDataTypeE0ELb0EEEvPT_PKS3_PKT0_S9_ifPKiSB_iPKfiiiSD_SD_iiiii.kd
    .uniform_work_group_size: 1
    .uses_dynamic_stack: false
    .vgpr_count:     128
    .vgpr_spill_count: 77
    .wavefront_size: 32
  - .args:
      - .actual_access:  write_only
        .address_space:  global
        .offset:         0
        .size:           8
        .value_kind:     global_buffer
      - .actual_access:  read_only
        .address_space:  global
        .offset:         8
        .size:           8
        .value_kind:     global_buffer
      - .actual_access:  read_only
        .address_space:  global
        .offset:         16
        .size:           8
        .value_kind:     global_buffer
      - .actual_access:  read_only
        .address_space:  global
        .offset:         24
        .size:           8
        .value_kind:     global_buffer
      - .offset:         32
        .size:           4
        .value_kind:     by_value
      - .offset:         36
        .size:           4
        .value_kind:     by_value
      - .actual_access:  read_only
        .address_space:  global
        .offset:         40
        .size:           8
        .value_kind:     global_buffer
      - .actual_access:  read_only
        .address_space:  global
        .offset:         48
        .size:           8
        .value_kind:     global_buffer
      - .offset:         56
        .size:           4
        .value_kind:     by_value
      - .actual_access:  read_only
        .address_space:  global
        .offset:         64
        .size:           8
        .value_kind:     global_buffer
      - .offset:         72
        .size:           4
        .value_kind:     by_value
      - .offset:         76
        .size:           4
        .value_kind:     by_value
      - .offset:         80
        .size:           4
        .value_kind:     by_value
      - .address_space:  global
        .offset:         88
        .size:           8
        .value_kind:     global_buffer
      - .address_space:  global
        .offset:         96
        .size:           8
        .value_kind:     global_buffer
      - .offset:         104
        .size:           4
        .value_kind:     by_value
      - .offset:         108
        .size:           4
        .value_kind:     by_value
      - .offset:         112
        .size:           4
        .value_kind:     by_value
      - .offset:         116
        .size:           4
        .value_kind:     by_value
      - .offset:         120
        .size:           4
        .value_kind:     by_value
      - .offset:         128
        .size:           4
        .value_kind:     hidden_block_count_x
      - .offset:         132
        .size:           4
        .value_kind:     hidden_block_count_y
      - .offset:         136
        .size:           4
        .value_kind:     hidden_block_count_z
      - .offset:         140
        .size:           2
        .value_kind:     hidden_group_size_x
      - .offset:         142
        .size:           2
        .value_kind:     hidden_group_size_y
      - .offset:         144
        .size:           2
        .value_kind:     hidden_group_size_z
      - .offset:         146
        .size:           2
        .value_kind:     hidden_remainder_x
      - .offset:         148
        .size:           2
        .value_kind:     hidden_remainder_y
      - .offset:         150
        .size:           2
        .value_kind:     hidden_remainder_z
      - .offset:         168
        .size:           8
        .value_kind:     hidden_global_offset_x
      - .offset:         176
        .size:           8
        .value_kind:     hidden_global_offset_y
      - .offset:         184
        .size:           8
        .value_kind:     hidden_global_offset_z
      - .offset:         192
        .size:           2
        .value_kind:     hidden_grid_dims
      - .offset:         248
        .size:           4
        .value_kind:     hidden_dynamic_lds_size
    .group_segment_fixed_size: 416
    .kernarg_segment_align: 8
    .kernarg_segment_size: 384
    .language:       OpenCL C
    .language_version:
      - 2
      - 0
    .max_flat_workgroup_size: 1024
    .name:           _ZN4vllm25paged_attention_v1_kernelI14__hip_bfloat16S1_Li192ELi32ELi128ELNS_18Fp8KVCacheDataTypeE0ELb0EEEvPT_PKS3_PKT0_S9_ifPKiSB_iPKfiiiSD_SD_iiiii
    .private_segment_fixed_size: 600
    .sgpr_count:     30
    .sgpr_spill_count: 0
    .symbol:         _ZN4vllm25paged_attention_v1_kernelI14__hip_bfloat16S1_Li192ELi32ELi128ELNS_18Fp8KVCacheDataTypeE0ELb0EEEvPT_PKS3_PKT0_S9_ifPKiSB_iPKfiiiSD_SD_iiiii.kd
    .uniform_work_group_size: 1
    .uses_dynamic_stack: false
    .vgpr_count:     128
    .vgpr_spill_count: 170
    .wavefront_size: 32
  - .args:
      - .actual_access:  write_only
        .address_space:  global
        .offset:         0
        .size:           8
        .value_kind:     global_buffer
      - .actual_access:  read_only
        .address_space:  global
        .offset:         8
        .size:           8
        .value_kind:     global_buffer
      - .actual_access:  read_only
        .address_space:  global
        .offset:         16
        .size:           8
        .value_kind:     global_buffer
      - .actual_access:  read_only
        .address_space:  global
        .offset:         24
        .size:           8
        .value_kind:     global_buffer
      - .offset:         32
        .size:           4
        .value_kind:     by_value
      - .offset:         36
        .size:           4
        .value_kind:     by_value
      - .actual_access:  read_only
        .address_space:  global
        .offset:         40
        .size:           8
        .value_kind:     global_buffer
      - .actual_access:  read_only
        .address_space:  global
        .offset:         48
        .size:           8
        .value_kind:     global_buffer
      - .offset:         56
        .size:           4
        .value_kind:     by_value
      - .actual_access:  read_only
        .address_space:  global
        .offset:         64
        .size:           8
        .value_kind:     global_buffer
      - .offset:         72
        .size:           4
        .value_kind:     by_value
      - .offset:         76
        .size:           4
        .value_kind:     by_value
      - .offset:         80
        .size:           4
        .value_kind:     by_value
      - .address_space:  global
        .offset:         88
        .size:           8
        .value_kind:     global_buffer
      - .address_space:  global
        .offset:         96
        .size:           8
        .value_kind:     global_buffer
      - .offset:         104
        .size:           4
        .value_kind:     by_value
      - .offset:         108
        .size:           4
        .value_kind:     by_value
      - .offset:         112
        .size:           4
        .value_kind:     by_value
      - .offset:         116
        .size:           4
        .value_kind:     by_value
      - .offset:         120
        .size:           4
        .value_kind:     by_value
      - .offset:         128
        .size:           4
        .value_kind:     hidden_block_count_x
      - .offset:         132
        .size:           4
        .value_kind:     hidden_block_count_y
      - .offset:         136
        .size:           4
        .value_kind:     hidden_block_count_z
      - .offset:         140
        .size:           2
        .value_kind:     hidden_group_size_x
      - .offset:         142
        .size:           2
        .value_kind:     hidden_group_size_y
      - .offset:         144
        .size:           2
        .value_kind:     hidden_group_size_z
      - .offset:         146
        .size:           2
        .value_kind:     hidden_remainder_x
      - .offset:         148
        .size:           2
        .value_kind:     hidden_remainder_y
      - .offset:         150
        .size:           2
        .value_kind:     hidden_remainder_z
      - .offset:         168
        .size:           8
        .value_kind:     hidden_global_offset_x
      - .offset:         176
        .size:           8
        .value_kind:     hidden_global_offset_y
      - .offset:         184
        .size:           8
        .value_kind:     hidden_global_offset_z
      - .offset:         192
        .size:           2
        .value_kind:     hidden_grid_dims
      - .offset:         248
        .size:           4
        .value_kind:     hidden_dynamic_lds_size
    .group_segment_fixed_size: 544
    .kernarg_segment_align: 8
    .kernarg_segment_size: 384
    .language:       OpenCL C
    .language_version:
      - 2
      - 0
    .max_flat_workgroup_size: 1024
    .name:           _ZN4vllm25paged_attention_v1_kernelI14__hip_bfloat16S1_Li256ELi32ELi128ELNS_18Fp8KVCacheDataTypeE0ELb0EEEvPT_PKS3_PKT0_S9_ifPKiSB_iPKfiiiSD_SD_iiiii
    .private_segment_fixed_size: 876
    .sgpr_count:     32
    .sgpr_spill_count: 0
    .symbol:         _ZN4vllm25paged_attention_v1_kernelI14__hip_bfloat16S1_Li256ELi32ELi128ELNS_18Fp8KVCacheDataTypeE0ELb0EEEvPT_PKS3_PKT0_S9_ifPKiSB_iPKfiiiSD_SD_iiiii.kd
    .uniform_work_group_size: 1
    .uses_dynamic_stack: false
    .vgpr_count:     128
    .vgpr_spill_count: 315
    .wavefront_size: 32
  - .args:
      - .actual_access:  write_only
        .address_space:  global
        .offset:         0
        .size:           8
        .value_kind:     global_buffer
      - .actual_access:  read_only
        .address_space:  global
        .offset:         8
        .size:           8
        .value_kind:     global_buffer
      - .actual_access:  read_only
        .address_space:  global
        .offset:         16
        .size:           8
        .value_kind:     global_buffer
      - .actual_access:  read_only
        .address_space:  global
        .offset:         24
        .size:           8
        .value_kind:     global_buffer
      - .offset:         32
        .size:           4
        .value_kind:     by_value
      - .offset:         36
        .size:           4
        .value_kind:     by_value
      - .actual_access:  read_only
        .address_space:  global
        .offset:         40
        .size:           8
        .value_kind:     global_buffer
      - .actual_access:  read_only
        .address_space:  global
        .offset:         48
        .size:           8
        .value_kind:     global_buffer
      - .offset:         56
        .size:           4
        .value_kind:     by_value
      - .actual_access:  read_only
        .address_space:  global
        .offset:         64
        .size:           8
        .value_kind:     global_buffer
      - .offset:         72
        .size:           4
        .value_kind:     by_value
      - .offset:         76
        .size:           4
        .value_kind:     by_value
      - .offset:         80
        .size:           4
        .value_kind:     by_value
      - .address_space:  global
        .offset:         88
        .size:           8
        .value_kind:     global_buffer
      - .address_space:  global
        .offset:         96
        .size:           8
        .value_kind:     global_buffer
      - .offset:         104
        .size:           4
        .value_kind:     by_value
      - .offset:         108
        .size:           4
        .value_kind:     by_value
      - .offset:         112
        .size:           4
        .value_kind:     by_value
      - .offset:         116
        .size:           4
        .value_kind:     by_value
      - .offset:         120
        .size:           4
        .value_kind:     by_value
      - .offset:         128
        .size:           4
        .value_kind:     hidden_block_count_x
      - .offset:         132
        .size:           4
        .value_kind:     hidden_block_count_y
      - .offset:         136
        .size:           4
        .value_kind:     hidden_block_count_z
      - .offset:         140
        .size:           2
        .value_kind:     hidden_group_size_x
      - .offset:         142
        .size:           2
        .value_kind:     hidden_group_size_y
      - .offset:         144
        .size:           2
        .value_kind:     hidden_group_size_z
      - .offset:         146
        .size:           2
        .value_kind:     hidden_remainder_x
      - .offset:         148
        .size:           2
        .value_kind:     hidden_remainder_y
      - .offset:         150
        .size:           2
        .value_kind:     hidden_remainder_z
      - .offset:         168
        .size:           8
        .value_kind:     hidden_global_offset_x
      - .offset:         176
        .size:           8
        .value_kind:     hidden_global_offset_y
      - .offset:         184
        .size:           8
        .value_kind:     hidden_global_offset_z
      - .offset:         192
        .size:           2
        .value_kind:     hidden_grid_dims
      - .offset:         248
        .size:           4
        .value_kind:     hidden_dynamic_lds_size
    .group_segment_fixed_size: 160
    .kernarg_segment_align: 8
    .kernarg_segment_size: 384
    .language:       OpenCL C
    .language_version:
      - 2
      - 0
    .max_flat_workgroup_size: 1024
    .name:           _ZN4vllm25paged_attention_v1_kernelIfhLi32ELi8ELi128ELNS_18Fp8KVCacheDataTypeE1ELb1EEEvPT_PKS2_PKT0_S8_ifPKiSA_iPKfiiiSC_SC_iiiii
    .private_segment_fixed_size: 0
    .sgpr_count:     49
    .sgpr_spill_count: 0
    .symbol:         _ZN4vllm25paged_attention_v1_kernelIfhLi32ELi8ELi128ELNS_18Fp8KVCacheDataTypeE1ELb1EEEvPT_PKS2_PKT0_S8_ifPKiSA_iPKfiiiSC_SC_iiiii.kd
    .uniform_work_group_size: 1
    .uses_dynamic_stack: false
    .vgpr_count:     40
    .vgpr_spill_count: 0
    .wavefront_size: 32
  - .args:
      - .actual_access:  write_only
        .address_space:  global
        .offset:         0
        .size:           8
        .value_kind:     global_buffer
      - .actual_access:  read_only
        .address_space:  global
        .offset:         8
        .size:           8
        .value_kind:     global_buffer
      - .actual_access:  read_only
        .address_space:  global
        .offset:         16
        .size:           8
        .value_kind:     global_buffer
      - .actual_access:  read_only
        .address_space:  global
        .offset:         24
        .size:           8
        .value_kind:     global_buffer
      - .offset:         32
        .size:           4
        .value_kind:     by_value
      - .offset:         36
        .size:           4
        .value_kind:     by_value
      - .actual_access:  read_only
        .address_space:  global
        .offset:         40
        .size:           8
        .value_kind:     global_buffer
      - .actual_access:  read_only
        .address_space:  global
        .offset:         48
        .size:           8
        .value_kind:     global_buffer
      - .offset:         56
        .size:           4
        .value_kind:     by_value
      - .actual_access:  read_only
        .address_space:  global
        .offset:         64
        .size:           8
        .value_kind:     global_buffer
      - .offset:         72
        .size:           4
        .value_kind:     by_value
      - .offset:         76
        .size:           4
        .value_kind:     by_value
      - .offset:         80
        .size:           4
        .value_kind:     by_value
      - .address_space:  global
        .offset:         88
        .size:           8
        .value_kind:     global_buffer
      - .address_space:  global
        .offset:         96
        .size:           8
        .value_kind:     global_buffer
      - .offset:         104
        .size:           4
        .value_kind:     by_value
      - .offset:         108
        .size:           4
        .value_kind:     by_value
      - .offset:         112
        .size:           4
        .value_kind:     by_value
      - .offset:         116
        .size:           4
        .value_kind:     by_value
      - .offset:         120
        .size:           4
        .value_kind:     by_value
      - .offset:         128
        .size:           4
        .value_kind:     hidden_block_count_x
      - .offset:         132
        .size:           4
        .value_kind:     hidden_block_count_y
      - .offset:         136
        .size:           4
        .value_kind:     hidden_block_count_z
      - .offset:         140
        .size:           2
        .value_kind:     hidden_group_size_x
      - .offset:         142
        .size:           2
        .value_kind:     hidden_group_size_y
      - .offset:         144
        .size:           2
        .value_kind:     hidden_group_size_z
      - .offset:         146
        .size:           2
        .value_kind:     hidden_remainder_x
      - .offset:         148
        .size:           2
        .value_kind:     hidden_remainder_y
      - .offset:         150
        .size:           2
        .value_kind:     hidden_remainder_z
      - .offset:         168
        .size:           8
        .value_kind:     hidden_global_offset_x
      - .offset:         176
        .size:           8
        .value_kind:     hidden_global_offset_y
      - .offset:         184
        .size:           8
        .value_kind:     hidden_global_offset_z
      - .offset:         192
        .size:           2
        .value_kind:     hidden_grid_dims
      - .offset:         248
        .size:           4
        .value_kind:     hidden_dynamic_lds_size
    .group_segment_fixed_size: 288
    .kernarg_segment_align: 8
    .kernarg_segment_size: 384
    .language:       OpenCL C
    .language_version:
      - 2
      - 0
    .max_flat_workgroup_size: 1024
    .name:           _ZN4vllm25paged_attention_v1_kernelIfhLi64ELi8ELi128ELNS_18Fp8KVCacheDataTypeE1ELb1EEEvPT_PKS2_PKT0_S8_ifPKiSA_iPKfiiiSC_SC_iiiii
    .private_segment_fixed_size: 0
    .sgpr_count:     49
    .sgpr_spill_count: 0
    .symbol:         _ZN4vllm25paged_attention_v1_kernelIfhLi64ELi8ELi128ELNS_18Fp8KVCacheDataTypeE1ELb1EEEvPT_PKS2_PKT0_S8_ifPKiSA_iPKfiiiSC_SC_iiiii.kd
    .uniform_work_group_size: 1
    .uses_dynamic_stack: false
    .vgpr_count:     56
    .vgpr_spill_count: 0
    .wavefront_size: 32
  - .args:
      - .actual_access:  write_only
        .address_space:  global
        .offset:         0
        .size:           8
        .value_kind:     global_buffer
      - .actual_access:  read_only
        .address_space:  global
        .offset:         8
        .size:           8
        .value_kind:     global_buffer
      - .actual_access:  read_only
        .address_space:  global
        .offset:         16
        .size:           8
        .value_kind:     global_buffer
      - .actual_access:  read_only
        .address_space:  global
        .offset:         24
        .size:           8
        .value_kind:     global_buffer
      - .offset:         32
        .size:           4
        .value_kind:     by_value
      - .offset:         36
        .size:           4
        .value_kind:     by_value
      - .actual_access:  read_only
        .address_space:  global
        .offset:         40
        .size:           8
        .value_kind:     global_buffer
      - .actual_access:  read_only
        .address_space:  global
        .offset:         48
        .size:           8
        .value_kind:     global_buffer
      - .offset:         56
        .size:           4
        .value_kind:     by_value
      - .actual_access:  read_only
        .address_space:  global
        .offset:         64
        .size:           8
        .value_kind:     global_buffer
      - .offset:         72
        .size:           4
        .value_kind:     by_value
      - .offset:         76
        .size:           4
        .value_kind:     by_value
      - .offset:         80
        .size:           4
        .value_kind:     by_value
      - .address_space:  global
        .offset:         88
        .size:           8
        .value_kind:     global_buffer
      - .address_space:  global
        .offset:         96
        .size:           8
        .value_kind:     global_buffer
      - .offset:         104
        .size:           4
        .value_kind:     by_value
      - .offset:         108
        .size:           4
        .value_kind:     by_value
      - .offset:         112
        .size:           4
        .value_kind:     by_value
      - .offset:         116
        .size:           4
        .value_kind:     by_value
      - .offset:         120
        .size:           4
        .value_kind:     by_value
      - .offset:         128
        .size:           4
        .value_kind:     hidden_block_count_x
      - .offset:         132
        .size:           4
        .value_kind:     hidden_block_count_y
      - .offset:         136
        .size:           4
        .value_kind:     hidden_block_count_z
      - .offset:         140
        .size:           2
        .value_kind:     hidden_group_size_x
      - .offset:         142
        .size:           2
        .value_kind:     hidden_group_size_y
      - .offset:         144
        .size:           2
        .value_kind:     hidden_group_size_z
      - .offset:         146
        .size:           2
        .value_kind:     hidden_remainder_x
      - .offset:         148
        .size:           2
        .value_kind:     hidden_remainder_y
      - .offset:         150
        .size:           2
        .value_kind:     hidden_remainder_z
      - .offset:         168
        .size:           8
        .value_kind:     hidden_global_offset_x
      - .offset:         176
        .size:           8
        .value_kind:     hidden_global_offset_y
      - .offset:         184
        .size:           8
        .value_kind:     hidden_global_offset_z
      - .offset:         192
        .size:           2
        .value_kind:     hidden_grid_dims
      - .offset:         248
        .size:           4
        .value_kind:     hidden_dynamic_lds_size
    .group_segment_fixed_size: 352
    .kernarg_segment_align: 8
    .kernarg_segment_size: 384
    .language:       OpenCL C
    .language_version:
      - 2
      - 0
    .max_flat_workgroup_size: 1024
    .name:           _ZN4vllm25paged_attention_v1_kernelIfhLi80ELi8ELi128ELNS_18Fp8KVCacheDataTypeE1ELb1EEEvPT_PKS2_PKT0_S8_ifPKiSA_iPKfiiiSC_SC_iiiii
    .private_segment_fixed_size: 0
    .sgpr_count:     48
    .sgpr_spill_count: 0
    .symbol:         _ZN4vllm25paged_attention_v1_kernelIfhLi80ELi8ELi128ELNS_18Fp8KVCacheDataTypeE1ELb1EEEvPT_PKS2_PKT0_S8_ifPKiSA_iPKfiiiSC_SC_iiiii.kd
    .uniform_work_group_size: 1
    .uses_dynamic_stack: false
    .vgpr_count:     64
    .vgpr_spill_count: 0
    .wavefront_size: 32
  - .args:
      - .actual_access:  write_only
        .address_space:  global
        .offset:         0
        .size:           8
        .value_kind:     global_buffer
      - .actual_access:  read_only
        .address_space:  global
        .offset:         8
        .size:           8
        .value_kind:     global_buffer
      - .actual_access:  read_only
        .address_space:  global
        .offset:         16
        .size:           8
        .value_kind:     global_buffer
      - .actual_access:  read_only
        .address_space:  global
        .offset:         24
        .size:           8
        .value_kind:     global_buffer
      - .offset:         32
        .size:           4
        .value_kind:     by_value
      - .offset:         36
        .size:           4
        .value_kind:     by_value
      - .actual_access:  read_only
        .address_space:  global
        .offset:         40
        .size:           8
        .value_kind:     global_buffer
      - .actual_access:  read_only
        .address_space:  global
        .offset:         48
        .size:           8
        .value_kind:     global_buffer
      - .offset:         56
        .size:           4
        .value_kind:     by_value
      - .actual_access:  read_only
        .address_space:  global
        .offset:         64
        .size:           8
        .value_kind:     global_buffer
      - .offset:         72
        .size:           4
        .value_kind:     by_value
      - .offset:         76
        .size:           4
        .value_kind:     by_value
      - .offset:         80
        .size:           4
        .value_kind:     by_value
      - .address_space:  global
        .offset:         88
        .size:           8
        .value_kind:     global_buffer
      - .address_space:  global
        .offset:         96
        .size:           8
        .value_kind:     global_buffer
      - .offset:         104
        .size:           4
        .value_kind:     by_value
      - .offset:         108
        .size:           4
        .value_kind:     by_value
      - .offset:         112
        .size:           4
        .value_kind:     by_value
      - .offset:         116
        .size:           4
        .value_kind:     by_value
      - .offset:         120
        .size:           4
        .value_kind:     by_value
      - .offset:         128
        .size:           4
        .value_kind:     hidden_block_count_x
      - .offset:         132
        .size:           4
        .value_kind:     hidden_block_count_y
      - .offset:         136
        .size:           4
        .value_kind:     hidden_block_count_z
      - .offset:         140
        .size:           2
        .value_kind:     hidden_group_size_x
      - .offset:         142
        .size:           2
        .value_kind:     hidden_group_size_y
      - .offset:         144
        .size:           2
        .value_kind:     hidden_group_size_z
      - .offset:         146
        .size:           2
        .value_kind:     hidden_remainder_x
      - .offset:         148
        .size:           2
        .value_kind:     hidden_remainder_y
      - .offset:         150
        .size:           2
        .value_kind:     hidden_remainder_z
      - .offset:         168
        .size:           8
        .value_kind:     hidden_global_offset_x
      - .offset:         176
        .size:           8
        .value_kind:     hidden_global_offset_y
      - .offset:         184
        .size:           8
        .value_kind:     hidden_global_offset_z
      - .offset:         192
        .size:           2
        .value_kind:     hidden_grid_dims
      - .offset:         248
        .size:           4
        .value_kind:     hidden_dynamic_lds_size
    .group_segment_fixed_size: 416
    .kernarg_segment_align: 8
    .kernarg_segment_size: 384
    .language:       OpenCL C
    .language_version:
      - 2
      - 0
    .max_flat_workgroup_size: 1024
    .name:           _ZN4vllm25paged_attention_v1_kernelIfhLi96ELi8ELi128ELNS_18Fp8KVCacheDataTypeE1ELb1EEEvPT_PKS2_PKT0_S8_ifPKiSA_iPKfiiiSC_SC_iiiii
    .private_segment_fixed_size: 0
    .sgpr_count:     48
    .sgpr_spill_count: 0
    .symbol:         _ZN4vllm25paged_attention_v1_kernelIfhLi96ELi8ELi128ELNS_18Fp8KVCacheDataTypeE1ELb1EEEvPT_PKS2_PKT0_S8_ifPKiSA_iPKfiiiSC_SC_iiiii.kd
    .uniform_work_group_size: 1
    .uses_dynamic_stack: false
    .vgpr_count:     72
    .vgpr_spill_count: 0
    .wavefront_size: 32
  - .args:
      - .actual_access:  write_only
        .address_space:  global
        .offset:         0
        .size:           8
        .value_kind:     global_buffer
      - .actual_access:  read_only
        .address_space:  global
        .offset:         8
        .size:           8
        .value_kind:     global_buffer
      - .actual_access:  read_only
        .address_space:  global
        .offset:         16
        .size:           8
        .value_kind:     global_buffer
      - .actual_access:  read_only
        .address_space:  global
        .offset:         24
        .size:           8
        .value_kind:     global_buffer
      - .offset:         32
        .size:           4
        .value_kind:     by_value
      - .offset:         36
        .size:           4
        .value_kind:     by_value
      - .actual_access:  read_only
        .address_space:  global
        .offset:         40
        .size:           8
        .value_kind:     global_buffer
      - .actual_access:  read_only
        .address_space:  global
        .offset:         48
        .size:           8
        .value_kind:     global_buffer
      - .offset:         56
        .size:           4
        .value_kind:     by_value
      - .actual_access:  read_only
        .address_space:  global
        .offset:         64
        .size:           8
        .value_kind:     global_buffer
      - .offset:         72
        .size:           4
        .value_kind:     by_value
      - .offset:         76
        .size:           4
        .value_kind:     by_value
      - .offset:         80
        .size:           4
        .value_kind:     by_value
      - .address_space:  global
        .offset:         88
        .size:           8
        .value_kind:     global_buffer
      - .address_space:  global
        .offset:         96
        .size:           8
        .value_kind:     global_buffer
      - .offset:         104
        .size:           4
        .value_kind:     by_value
      - .offset:         108
        .size:           4
        .value_kind:     by_value
      - .offset:         112
        .size:           4
        .value_kind:     by_value
      - .offset:         116
        .size:           4
        .value_kind:     by_value
      - .offset:         120
        .size:           4
        .value_kind:     by_value
      - .offset:         128
        .size:           4
        .value_kind:     hidden_block_count_x
      - .offset:         132
        .size:           4
        .value_kind:     hidden_block_count_y
      - .offset:         136
        .size:           4
        .value_kind:     hidden_block_count_z
      - .offset:         140
        .size:           2
        .value_kind:     hidden_group_size_x
      - .offset:         142
        .size:           2
        .value_kind:     hidden_group_size_y
      - .offset:         144
        .size:           2
        .value_kind:     hidden_group_size_z
      - .offset:         146
        .size:           2
        .value_kind:     hidden_remainder_x
      - .offset:         148
        .size:           2
        .value_kind:     hidden_remainder_y
      - .offset:         150
        .size:           2
        .value_kind:     hidden_remainder_z
      - .offset:         168
        .size:           8
        .value_kind:     hidden_global_offset_x
      - .offset:         176
        .size:           8
        .value_kind:     hidden_global_offset_y
      - .offset:         184
        .size:           8
        .value_kind:     hidden_global_offset_z
      - .offset:         192
        .size:           2
        .value_kind:     hidden_grid_dims
      - .offset:         248
        .size:           4
        .value_kind:     hidden_dynamic_lds_size
    .group_segment_fixed_size: 480
    .kernarg_segment_align: 8
    .kernarg_segment_size: 384
    .language:       OpenCL C
    .language_version:
      - 2
      - 0
    .max_flat_workgroup_size: 1024
    .name:           _ZN4vllm25paged_attention_v1_kernelIfhLi112ELi8ELi128ELNS_18Fp8KVCacheDataTypeE1ELb1EEEvPT_PKS2_PKT0_S8_ifPKiSA_iPKfiiiSC_SC_iiiii
    .private_segment_fixed_size: 0
    .sgpr_count:     48
    .sgpr_spill_count: 0
    .symbol:         _ZN4vllm25paged_attention_v1_kernelIfhLi112ELi8ELi128ELNS_18Fp8KVCacheDataTypeE1ELb1EEEvPT_PKS2_PKT0_S8_ifPKiSA_iPKfiiiSC_SC_iiiii.kd
    .uniform_work_group_size: 1
    .uses_dynamic_stack: false
    .vgpr_count:     80
    .vgpr_spill_count: 0
    .wavefront_size: 32
  - .args:
      - .actual_access:  write_only
        .address_space:  global
        .offset:         0
        .size:           8
        .value_kind:     global_buffer
      - .actual_access:  read_only
        .address_space:  global
        .offset:         8
        .size:           8
        .value_kind:     global_buffer
      - .actual_access:  read_only
        .address_space:  global
        .offset:         16
        .size:           8
        .value_kind:     global_buffer
      - .actual_access:  read_only
        .address_space:  global
        .offset:         24
        .size:           8
        .value_kind:     global_buffer
      - .offset:         32
        .size:           4
        .value_kind:     by_value
      - .offset:         36
        .size:           4
        .value_kind:     by_value
      - .actual_access:  read_only
        .address_space:  global
        .offset:         40
        .size:           8
        .value_kind:     global_buffer
      - .actual_access:  read_only
        .address_space:  global
        .offset:         48
        .size:           8
        .value_kind:     global_buffer
      - .offset:         56
        .size:           4
        .value_kind:     by_value
      - .actual_access:  read_only
        .address_space:  global
        .offset:         64
        .size:           8
        .value_kind:     global_buffer
      - .offset:         72
        .size:           4
        .value_kind:     by_value
      - .offset:         76
        .size:           4
        .value_kind:     by_value
      - .offset:         80
        .size:           4
        .value_kind:     by_value
      - .address_space:  global
        .offset:         88
        .size:           8
        .value_kind:     global_buffer
      - .address_space:  global
        .offset:         96
        .size:           8
        .value_kind:     global_buffer
      - .offset:         104
        .size:           4
        .value_kind:     by_value
      - .offset:         108
        .size:           4
        .value_kind:     by_value
      - .offset:         112
        .size:           4
        .value_kind:     by_value
      - .offset:         116
        .size:           4
        .value_kind:     by_value
      - .offset:         120
        .size:           4
        .value_kind:     by_value
      - .offset:         128
        .size:           4
        .value_kind:     hidden_block_count_x
      - .offset:         132
        .size:           4
        .value_kind:     hidden_block_count_y
      - .offset:         136
        .size:           4
        .value_kind:     hidden_block_count_z
      - .offset:         140
        .size:           2
        .value_kind:     hidden_group_size_x
      - .offset:         142
        .size:           2
        .value_kind:     hidden_group_size_y
      - .offset:         144
        .size:           2
        .value_kind:     hidden_group_size_z
      - .offset:         146
        .size:           2
        .value_kind:     hidden_remainder_x
      - .offset:         148
        .size:           2
        .value_kind:     hidden_remainder_y
      - .offset:         150
        .size:           2
        .value_kind:     hidden_remainder_z
      - .offset:         168
        .size:           8
        .value_kind:     hidden_global_offset_x
      - .offset:         176
        .size:           8
        .value_kind:     hidden_global_offset_y
      - .offset:         184
        .size:           8
        .value_kind:     hidden_global_offset_z
      - .offset:         192
        .size:           2
        .value_kind:     hidden_grid_dims
      - .offset:         248
        .size:           4
        .value_kind:     hidden_dynamic_lds_size
    .group_segment_fixed_size: 512
    .kernarg_segment_align: 8
    .kernarg_segment_size: 384
    .language:       OpenCL C
    .language_version:
      - 2
      - 0
    .max_flat_workgroup_size: 1024
    .name:           _ZN4vllm25paged_attention_v1_kernelIfhLi120ELi8ELi128ELNS_18Fp8KVCacheDataTypeE1ELb1EEEvPT_PKS2_PKT0_S8_ifPKiSA_iPKfiiiSC_SC_iiiii
    .private_segment_fixed_size: 0
    .sgpr_count:     48
    .sgpr_spill_count: 0
    .symbol:         _ZN4vllm25paged_attention_v1_kernelIfhLi120ELi8ELi128ELNS_18Fp8KVCacheDataTypeE1ELb1EEEvPT_PKS2_PKT0_S8_ifPKiSA_iPKfiiiSC_SC_iiiii.kd
    .uniform_work_group_size: 1
    .uses_dynamic_stack: false
    .vgpr_count:     84
    .vgpr_spill_count: 0
    .wavefront_size: 32
  - .args:
      - .actual_access:  write_only
        .address_space:  global
        .offset:         0
        .size:           8
        .value_kind:     global_buffer
      - .actual_access:  read_only
        .address_space:  global
        .offset:         8
        .size:           8
        .value_kind:     global_buffer
      - .actual_access:  read_only
        .address_space:  global
        .offset:         16
        .size:           8
        .value_kind:     global_buffer
      - .actual_access:  read_only
        .address_space:  global
        .offset:         24
        .size:           8
        .value_kind:     global_buffer
      - .offset:         32
        .size:           4
        .value_kind:     by_value
      - .offset:         36
        .size:           4
        .value_kind:     by_value
      - .actual_access:  read_only
        .address_space:  global
        .offset:         40
        .size:           8
        .value_kind:     global_buffer
      - .actual_access:  read_only
        .address_space:  global
        .offset:         48
        .size:           8
        .value_kind:     global_buffer
      - .offset:         56
        .size:           4
        .value_kind:     by_value
      - .actual_access:  read_only
        .address_space:  global
        .offset:         64
        .size:           8
        .value_kind:     global_buffer
      - .offset:         72
        .size:           4
        .value_kind:     by_value
      - .offset:         76
        .size:           4
        .value_kind:     by_value
      - .offset:         80
        .size:           4
        .value_kind:     by_value
      - .address_space:  global
        .offset:         88
        .size:           8
        .value_kind:     global_buffer
      - .address_space:  global
        .offset:         96
        .size:           8
        .value_kind:     global_buffer
      - .offset:         104
        .size:           4
        .value_kind:     by_value
      - .offset:         108
        .size:           4
        .value_kind:     by_value
      - .offset:         112
        .size:           4
        .value_kind:     by_value
      - .offset:         116
        .size:           4
        .value_kind:     by_value
      - .offset:         120
        .size:           4
        .value_kind:     by_value
      - .offset:         128
        .size:           4
        .value_kind:     hidden_block_count_x
      - .offset:         132
        .size:           4
        .value_kind:     hidden_block_count_y
      - .offset:         136
        .size:           4
        .value_kind:     hidden_block_count_z
      - .offset:         140
        .size:           2
        .value_kind:     hidden_group_size_x
      - .offset:         142
        .size:           2
        .value_kind:     hidden_group_size_y
      - .offset:         144
        .size:           2
        .value_kind:     hidden_group_size_z
      - .offset:         146
        .size:           2
        .value_kind:     hidden_remainder_x
      - .offset:         148
        .size:           2
        .value_kind:     hidden_remainder_y
      - .offset:         150
        .size:           2
        .value_kind:     hidden_remainder_z
      - .offset:         168
        .size:           8
        .value_kind:     hidden_global_offset_x
      - .offset:         176
        .size:           8
        .value_kind:     hidden_global_offset_y
      - .offset:         184
        .size:           8
        .value_kind:     hidden_global_offset_z
      - .offset:         192
        .size:           2
        .value_kind:     hidden_grid_dims
      - .offset:         248
        .size:           4
        .value_kind:     hidden_dynamic_lds_size
    .group_segment_fixed_size: 544
    .kernarg_segment_align: 8
    .kernarg_segment_size: 384
    .language:       OpenCL C
    .language_version:
      - 2
      - 0
    .max_flat_workgroup_size: 1024
    .name:           _ZN4vllm25paged_attention_v1_kernelIfhLi128ELi8ELi128ELNS_18Fp8KVCacheDataTypeE1ELb1EEEvPT_PKS2_PKT0_S8_ifPKiSA_iPKfiiiSC_SC_iiiii
    .private_segment_fixed_size: 0
    .sgpr_count:     48
    .sgpr_spill_count: 0
    .symbol:         _ZN4vllm25paged_attention_v1_kernelIfhLi128ELi8ELi128ELNS_18Fp8KVCacheDataTypeE1ELb1EEEvPT_PKS2_PKT0_S8_ifPKiSA_iPKfiiiSC_SC_iiiii.kd
    .uniform_work_group_size: 1
    .uses_dynamic_stack: false
    .vgpr_count:     88
    .vgpr_spill_count: 0
    .wavefront_size: 32
  - .args:
      - .actual_access:  write_only
        .address_space:  global
        .offset:         0
        .size:           8
        .value_kind:     global_buffer
      - .actual_access:  read_only
        .address_space:  global
        .offset:         8
        .size:           8
        .value_kind:     global_buffer
      - .actual_access:  read_only
        .address_space:  global
        .offset:         16
        .size:           8
        .value_kind:     global_buffer
      - .actual_access:  read_only
        .address_space:  global
        .offset:         24
        .size:           8
        .value_kind:     global_buffer
      - .offset:         32
        .size:           4
        .value_kind:     by_value
      - .offset:         36
        .size:           4
        .value_kind:     by_value
      - .actual_access:  read_only
        .address_space:  global
        .offset:         40
        .size:           8
        .value_kind:     global_buffer
      - .actual_access:  read_only
        .address_space:  global
        .offset:         48
        .size:           8
        .value_kind:     global_buffer
      - .offset:         56
        .size:           4
        .value_kind:     by_value
      - .actual_access:  read_only
        .address_space:  global
        .offset:         64
        .size:           8
        .value_kind:     global_buffer
      - .offset:         72
        .size:           4
        .value_kind:     by_value
      - .offset:         76
        .size:           4
        .value_kind:     by_value
      - .offset:         80
        .size:           4
        .value_kind:     by_value
      - .address_space:  global
        .offset:         88
        .size:           8
        .value_kind:     global_buffer
      - .address_space:  global
        .offset:         96
        .size:           8
        .value_kind:     global_buffer
      - .offset:         104
        .size:           4
        .value_kind:     by_value
      - .offset:         108
        .size:           4
        .value_kind:     by_value
      - .offset:         112
        .size:           4
        .value_kind:     by_value
      - .offset:         116
        .size:           4
        .value_kind:     by_value
      - .offset:         120
        .size:           4
        .value_kind:     by_value
      - .offset:         128
        .size:           4
        .value_kind:     hidden_block_count_x
      - .offset:         132
        .size:           4
        .value_kind:     hidden_block_count_y
      - .offset:         136
        .size:           4
        .value_kind:     hidden_block_count_z
      - .offset:         140
        .size:           2
        .value_kind:     hidden_group_size_x
      - .offset:         142
        .size:           2
        .value_kind:     hidden_group_size_y
      - .offset:         144
        .size:           2
        .value_kind:     hidden_group_size_z
      - .offset:         146
        .size:           2
        .value_kind:     hidden_remainder_x
      - .offset:         148
        .size:           2
        .value_kind:     hidden_remainder_y
      - .offset:         150
        .size:           2
        .value_kind:     hidden_remainder_z
      - .offset:         168
        .size:           8
        .value_kind:     hidden_global_offset_x
      - .offset:         176
        .size:           8
        .value_kind:     hidden_global_offset_y
      - .offset:         184
        .size:           8
        .value_kind:     hidden_global_offset_z
      - .offset:         192
        .size:           2
        .value_kind:     hidden_grid_dims
      - .offset:         248
        .size:           4
        .value_kind:     hidden_dynamic_lds_size
    .group_segment_fixed_size: 800
    .kernarg_segment_align: 8
    .kernarg_segment_size: 384
    .language:       OpenCL C
    .language_version:
      - 2
      - 0
    .max_flat_workgroup_size: 1024
    .name:           _ZN4vllm25paged_attention_v1_kernelIfhLi192ELi8ELi128ELNS_18Fp8KVCacheDataTypeE1ELb1EEEvPT_PKS2_PKT0_S8_ifPKiSA_iPKfiiiSC_SC_iiiii
    .private_segment_fixed_size: 0
    .sgpr_count:     48
    .sgpr_spill_count: 0
    .symbol:         _ZN4vllm25paged_attention_v1_kernelIfhLi192ELi8ELi128ELNS_18Fp8KVCacheDataTypeE1ELb1EEEvPT_PKS2_PKT0_S8_ifPKiSA_iPKfiiiSC_SC_iiiii.kd
    .uniform_work_group_size: 1
    .uses_dynamic_stack: false
    .vgpr_count:     120
    .vgpr_spill_count: 0
    .wavefront_size: 32
  - .args:
      - .actual_access:  write_only
        .address_space:  global
        .offset:         0
        .size:           8
        .value_kind:     global_buffer
      - .actual_access:  read_only
        .address_space:  global
        .offset:         8
        .size:           8
        .value_kind:     global_buffer
      - .actual_access:  read_only
        .address_space:  global
        .offset:         16
        .size:           8
        .value_kind:     global_buffer
      - .actual_access:  read_only
        .address_space:  global
        .offset:         24
        .size:           8
        .value_kind:     global_buffer
      - .offset:         32
        .size:           4
        .value_kind:     by_value
      - .offset:         36
        .size:           4
        .value_kind:     by_value
      - .actual_access:  read_only
        .address_space:  global
        .offset:         40
        .size:           8
        .value_kind:     global_buffer
      - .actual_access:  read_only
        .address_space:  global
        .offset:         48
        .size:           8
        .value_kind:     global_buffer
      - .offset:         56
        .size:           4
        .value_kind:     by_value
      - .actual_access:  read_only
        .address_space:  global
        .offset:         64
        .size:           8
        .value_kind:     global_buffer
      - .offset:         72
        .size:           4
        .value_kind:     by_value
      - .offset:         76
        .size:           4
        .value_kind:     by_value
      - .offset:         80
        .size:           4
        .value_kind:     by_value
      - .address_space:  global
        .offset:         88
        .size:           8
        .value_kind:     global_buffer
      - .address_space:  global
        .offset:         96
        .size:           8
        .value_kind:     global_buffer
      - .offset:         104
        .size:           4
        .value_kind:     by_value
      - .offset:         108
        .size:           4
        .value_kind:     by_value
      - .offset:         112
        .size:           4
        .value_kind:     by_value
      - .offset:         116
        .size:           4
        .value_kind:     by_value
      - .offset:         120
        .size:           4
        .value_kind:     by_value
      - .offset:         128
        .size:           4
        .value_kind:     hidden_block_count_x
      - .offset:         132
        .size:           4
        .value_kind:     hidden_block_count_y
      - .offset:         136
        .size:           4
        .value_kind:     hidden_block_count_z
      - .offset:         140
        .size:           2
        .value_kind:     hidden_group_size_x
      - .offset:         142
        .size:           2
        .value_kind:     hidden_group_size_y
      - .offset:         144
        .size:           2
        .value_kind:     hidden_group_size_z
      - .offset:         146
        .size:           2
        .value_kind:     hidden_remainder_x
      - .offset:         148
        .size:           2
        .value_kind:     hidden_remainder_y
      - .offset:         150
        .size:           2
        .value_kind:     hidden_remainder_z
      - .offset:         168
        .size:           8
        .value_kind:     hidden_global_offset_x
      - .offset:         176
        .size:           8
        .value_kind:     hidden_global_offset_y
      - .offset:         184
        .size:           8
        .value_kind:     hidden_global_offset_z
      - .offset:         192
        .size:           2
        .value_kind:     hidden_grid_dims
      - .offset:         248
        .size:           4
        .value_kind:     hidden_dynamic_lds_size
    .group_segment_fixed_size: 1056
    .kernarg_segment_align: 8
    .kernarg_segment_size: 384
    .language:       OpenCL C
    .language_version:
      - 2
      - 0
    .max_flat_workgroup_size: 1024
    .name:           _ZN4vllm25paged_attention_v1_kernelIfhLi256ELi8ELi128ELNS_18Fp8KVCacheDataTypeE1ELb1EEEvPT_PKS2_PKT0_S8_ifPKiSA_iPKfiiiSC_SC_iiiii
    .private_segment_fixed_size: 52
    .sgpr_count:     48
    .sgpr_spill_count: 0
    .symbol:         _ZN4vllm25paged_attention_v1_kernelIfhLi256ELi8ELi128ELNS_18Fp8KVCacheDataTypeE1ELb1EEEvPT_PKS2_PKT0_S8_ifPKiSA_iPKfiiiSC_SC_iiiii.kd
    .uniform_work_group_size: 1
    .uses_dynamic_stack: false
    .vgpr_count:     128
    .vgpr_spill_count: 12
    .wavefront_size: 32
  - .args:
      - .actual_access:  write_only
        .address_space:  global
        .offset:         0
        .size:           8
        .value_kind:     global_buffer
      - .actual_access:  read_only
        .address_space:  global
        .offset:         8
        .size:           8
        .value_kind:     global_buffer
      - .actual_access:  read_only
        .address_space:  global
        .offset:         16
        .size:           8
        .value_kind:     global_buffer
      - .actual_access:  read_only
        .address_space:  global
        .offset:         24
        .size:           8
        .value_kind:     global_buffer
      - .offset:         32
        .size:           4
        .value_kind:     by_value
      - .offset:         36
        .size:           4
        .value_kind:     by_value
      - .actual_access:  read_only
        .address_space:  global
        .offset:         40
        .size:           8
        .value_kind:     global_buffer
      - .actual_access:  read_only
        .address_space:  global
        .offset:         48
        .size:           8
        .value_kind:     global_buffer
      - .offset:         56
        .size:           4
        .value_kind:     by_value
      - .actual_access:  read_only
        .address_space:  global
        .offset:         64
        .size:           8
        .value_kind:     global_buffer
      - .offset:         72
        .size:           4
        .value_kind:     by_value
      - .offset:         76
        .size:           4
        .value_kind:     by_value
      - .offset:         80
        .size:           4
        .value_kind:     by_value
      - .address_space:  global
        .offset:         88
        .size:           8
        .value_kind:     global_buffer
      - .address_space:  global
        .offset:         96
        .size:           8
        .value_kind:     global_buffer
      - .offset:         104
        .size:           4
        .value_kind:     by_value
      - .offset:         108
        .size:           4
        .value_kind:     by_value
      - .offset:         112
        .size:           4
        .value_kind:     by_value
      - .offset:         116
        .size:           4
        .value_kind:     by_value
      - .offset:         120
        .size:           4
        .value_kind:     by_value
      - .offset:         128
        .size:           4
        .value_kind:     hidden_block_count_x
      - .offset:         132
        .size:           4
        .value_kind:     hidden_block_count_y
      - .offset:         136
        .size:           4
        .value_kind:     hidden_block_count_z
      - .offset:         140
        .size:           2
        .value_kind:     hidden_group_size_x
      - .offset:         142
        .size:           2
        .value_kind:     hidden_group_size_y
      - .offset:         144
        .size:           2
        .value_kind:     hidden_group_size_z
      - .offset:         146
        .size:           2
        .value_kind:     hidden_remainder_x
      - .offset:         148
        .size:           2
        .value_kind:     hidden_remainder_y
      - .offset:         150
        .size:           2
        .value_kind:     hidden_remainder_z
      - .offset:         168
        .size:           8
        .value_kind:     hidden_global_offset_x
      - .offset:         176
        .size:           8
        .value_kind:     hidden_global_offset_y
      - .offset:         184
        .size:           8
        .value_kind:     hidden_global_offset_z
      - .offset:         192
        .size:           2
        .value_kind:     hidden_grid_dims
      - .offset:         248
        .size:           4
        .value_kind:     hidden_dynamic_lds_size
    .group_segment_fixed_size: 160
    .kernarg_segment_align: 8
    .kernarg_segment_size: 384
    .language:       OpenCL C
    .language_version:
      - 2
      - 0
    .max_flat_workgroup_size: 1024
    .name:           _ZN4vllm25paged_attention_v1_kernelIfhLi32ELi8ELi128ELNS_18Fp8KVCacheDataTypeE1ELb0EEEvPT_PKS2_PKT0_S8_ifPKiSA_iPKfiiiSC_SC_iiiii
    .private_segment_fixed_size: 0
    .sgpr_count:     34
    .sgpr_spill_count: 0
    .symbol:         _ZN4vllm25paged_attention_v1_kernelIfhLi32ELi8ELi128ELNS_18Fp8KVCacheDataTypeE1ELb0EEEvPT_PKS2_PKT0_S8_ifPKiSA_iPKfiiiSC_SC_iiiii.kd
    .uniform_work_group_size: 1
    .uses_dynamic_stack: false
    .vgpr_count:     38
    .vgpr_spill_count: 0
    .wavefront_size: 32
  - .args:
      - .actual_access:  write_only
        .address_space:  global
        .offset:         0
        .size:           8
        .value_kind:     global_buffer
      - .actual_access:  read_only
        .address_space:  global
        .offset:         8
        .size:           8
        .value_kind:     global_buffer
      - .actual_access:  read_only
        .address_space:  global
        .offset:         16
        .size:           8
        .value_kind:     global_buffer
      - .actual_access:  read_only
        .address_space:  global
        .offset:         24
        .size:           8
        .value_kind:     global_buffer
      - .offset:         32
        .size:           4
        .value_kind:     by_value
      - .offset:         36
        .size:           4
        .value_kind:     by_value
      - .actual_access:  read_only
        .address_space:  global
        .offset:         40
        .size:           8
        .value_kind:     global_buffer
      - .actual_access:  read_only
        .address_space:  global
        .offset:         48
        .size:           8
        .value_kind:     global_buffer
      - .offset:         56
        .size:           4
        .value_kind:     by_value
      - .actual_access:  read_only
        .address_space:  global
        .offset:         64
        .size:           8
        .value_kind:     global_buffer
      - .offset:         72
        .size:           4
        .value_kind:     by_value
      - .offset:         76
        .size:           4
        .value_kind:     by_value
      - .offset:         80
        .size:           4
        .value_kind:     by_value
      - .address_space:  global
        .offset:         88
        .size:           8
        .value_kind:     global_buffer
      - .address_space:  global
        .offset:         96
        .size:           8
        .value_kind:     global_buffer
      - .offset:         104
        .size:           4
        .value_kind:     by_value
      - .offset:         108
        .size:           4
        .value_kind:     by_value
      - .offset:         112
        .size:           4
        .value_kind:     by_value
      - .offset:         116
        .size:           4
        .value_kind:     by_value
      - .offset:         120
        .size:           4
        .value_kind:     by_value
      - .offset:         128
        .size:           4
        .value_kind:     hidden_block_count_x
      - .offset:         132
        .size:           4
        .value_kind:     hidden_block_count_y
      - .offset:         136
        .size:           4
        .value_kind:     hidden_block_count_z
      - .offset:         140
        .size:           2
        .value_kind:     hidden_group_size_x
      - .offset:         142
        .size:           2
        .value_kind:     hidden_group_size_y
      - .offset:         144
        .size:           2
        .value_kind:     hidden_group_size_z
      - .offset:         146
        .size:           2
        .value_kind:     hidden_remainder_x
      - .offset:         148
        .size:           2
        .value_kind:     hidden_remainder_y
      - .offset:         150
        .size:           2
        .value_kind:     hidden_remainder_z
      - .offset:         168
        .size:           8
        .value_kind:     hidden_global_offset_x
      - .offset:         176
        .size:           8
        .value_kind:     hidden_global_offset_y
      - .offset:         184
        .size:           8
        .value_kind:     hidden_global_offset_z
      - .offset:         192
        .size:           2
        .value_kind:     hidden_grid_dims
      - .offset:         248
        .size:           4
        .value_kind:     hidden_dynamic_lds_size
    .group_segment_fixed_size: 288
    .kernarg_segment_align: 8
    .kernarg_segment_size: 384
    .language:       OpenCL C
    .language_version:
      - 2
      - 0
    .max_flat_workgroup_size: 1024
    .name:           _ZN4vllm25paged_attention_v1_kernelIfhLi64ELi8ELi128ELNS_18Fp8KVCacheDataTypeE1ELb0EEEvPT_PKS2_PKT0_S8_ifPKiSA_iPKfiiiSC_SC_iiiii
    .private_segment_fixed_size: 0
    .sgpr_count:     34
    .sgpr_spill_count: 0
    .symbol:         _ZN4vllm25paged_attention_v1_kernelIfhLi64ELi8ELi128ELNS_18Fp8KVCacheDataTypeE1ELb0EEEvPT_PKS2_PKT0_S8_ifPKiSA_iPKfiiiSC_SC_iiiii.kd
    .uniform_work_group_size: 1
    .uses_dynamic_stack: false
    .vgpr_count:     54
    .vgpr_spill_count: 0
    .wavefront_size: 32
  - .args:
      - .actual_access:  write_only
        .address_space:  global
        .offset:         0
        .size:           8
        .value_kind:     global_buffer
      - .actual_access:  read_only
        .address_space:  global
        .offset:         8
        .size:           8
        .value_kind:     global_buffer
      - .actual_access:  read_only
        .address_space:  global
        .offset:         16
        .size:           8
        .value_kind:     global_buffer
      - .actual_access:  read_only
        .address_space:  global
        .offset:         24
        .size:           8
        .value_kind:     global_buffer
      - .offset:         32
        .size:           4
        .value_kind:     by_value
      - .offset:         36
        .size:           4
        .value_kind:     by_value
      - .actual_access:  read_only
        .address_space:  global
        .offset:         40
        .size:           8
        .value_kind:     global_buffer
      - .actual_access:  read_only
        .address_space:  global
        .offset:         48
        .size:           8
        .value_kind:     global_buffer
      - .offset:         56
        .size:           4
        .value_kind:     by_value
      - .actual_access:  read_only
        .address_space:  global
        .offset:         64
        .size:           8
        .value_kind:     global_buffer
      - .offset:         72
        .size:           4
        .value_kind:     by_value
      - .offset:         76
        .size:           4
        .value_kind:     by_value
      - .offset:         80
        .size:           4
        .value_kind:     by_value
      - .address_space:  global
        .offset:         88
        .size:           8
        .value_kind:     global_buffer
      - .address_space:  global
        .offset:         96
        .size:           8
        .value_kind:     global_buffer
      - .offset:         104
        .size:           4
        .value_kind:     by_value
      - .offset:         108
        .size:           4
        .value_kind:     by_value
      - .offset:         112
        .size:           4
        .value_kind:     by_value
      - .offset:         116
        .size:           4
        .value_kind:     by_value
      - .offset:         120
        .size:           4
        .value_kind:     by_value
      - .offset:         128
        .size:           4
        .value_kind:     hidden_block_count_x
      - .offset:         132
        .size:           4
        .value_kind:     hidden_block_count_y
      - .offset:         136
        .size:           4
        .value_kind:     hidden_block_count_z
      - .offset:         140
        .size:           2
        .value_kind:     hidden_group_size_x
      - .offset:         142
        .size:           2
        .value_kind:     hidden_group_size_y
      - .offset:         144
        .size:           2
        .value_kind:     hidden_group_size_z
      - .offset:         146
        .size:           2
        .value_kind:     hidden_remainder_x
      - .offset:         148
        .size:           2
        .value_kind:     hidden_remainder_y
      - .offset:         150
        .size:           2
        .value_kind:     hidden_remainder_z
      - .offset:         168
        .size:           8
        .value_kind:     hidden_global_offset_x
      - .offset:         176
        .size:           8
        .value_kind:     hidden_global_offset_y
      - .offset:         184
        .size:           8
        .value_kind:     hidden_global_offset_z
      - .offset:         192
        .size:           2
        .value_kind:     hidden_grid_dims
      - .offset:         248
        .size:           4
        .value_kind:     hidden_dynamic_lds_size
    .group_segment_fixed_size: 352
    .kernarg_segment_align: 8
    .kernarg_segment_size: 384
    .language:       OpenCL C
    .language_version:
      - 2
      - 0
    .max_flat_workgroup_size: 1024
    .name:           _ZN4vllm25paged_attention_v1_kernelIfhLi80ELi8ELi128ELNS_18Fp8KVCacheDataTypeE1ELb0EEEvPT_PKS2_PKT0_S8_ifPKiSA_iPKfiiiSC_SC_iiiii
    .private_segment_fixed_size: 0
    .sgpr_count:     33
    .sgpr_spill_count: 0
    .symbol:         _ZN4vllm25paged_attention_v1_kernelIfhLi80ELi8ELi128ELNS_18Fp8KVCacheDataTypeE1ELb0EEEvPT_PKS2_PKT0_S8_ifPKiSA_iPKfiiiSC_SC_iiiii.kd
    .uniform_work_group_size: 1
    .uses_dynamic_stack: false
    .vgpr_count:     62
    .vgpr_spill_count: 0
    .wavefront_size: 32
  - .args:
      - .actual_access:  write_only
        .address_space:  global
        .offset:         0
        .size:           8
        .value_kind:     global_buffer
      - .actual_access:  read_only
        .address_space:  global
        .offset:         8
        .size:           8
        .value_kind:     global_buffer
      - .actual_access:  read_only
        .address_space:  global
        .offset:         16
        .size:           8
        .value_kind:     global_buffer
      - .actual_access:  read_only
        .address_space:  global
        .offset:         24
        .size:           8
        .value_kind:     global_buffer
      - .offset:         32
        .size:           4
        .value_kind:     by_value
      - .offset:         36
        .size:           4
        .value_kind:     by_value
      - .actual_access:  read_only
        .address_space:  global
        .offset:         40
        .size:           8
        .value_kind:     global_buffer
      - .actual_access:  read_only
        .address_space:  global
        .offset:         48
        .size:           8
        .value_kind:     global_buffer
      - .offset:         56
        .size:           4
        .value_kind:     by_value
      - .actual_access:  read_only
        .address_space:  global
        .offset:         64
        .size:           8
        .value_kind:     global_buffer
      - .offset:         72
        .size:           4
        .value_kind:     by_value
      - .offset:         76
        .size:           4
        .value_kind:     by_value
      - .offset:         80
        .size:           4
        .value_kind:     by_value
      - .address_space:  global
        .offset:         88
        .size:           8
        .value_kind:     global_buffer
      - .address_space:  global
        .offset:         96
        .size:           8
        .value_kind:     global_buffer
      - .offset:         104
        .size:           4
        .value_kind:     by_value
      - .offset:         108
        .size:           4
        .value_kind:     by_value
      - .offset:         112
        .size:           4
        .value_kind:     by_value
      - .offset:         116
        .size:           4
        .value_kind:     by_value
      - .offset:         120
        .size:           4
        .value_kind:     by_value
      - .offset:         128
        .size:           4
        .value_kind:     hidden_block_count_x
      - .offset:         132
        .size:           4
        .value_kind:     hidden_block_count_y
      - .offset:         136
        .size:           4
        .value_kind:     hidden_block_count_z
      - .offset:         140
        .size:           2
        .value_kind:     hidden_group_size_x
      - .offset:         142
        .size:           2
        .value_kind:     hidden_group_size_y
      - .offset:         144
        .size:           2
        .value_kind:     hidden_group_size_z
      - .offset:         146
        .size:           2
        .value_kind:     hidden_remainder_x
      - .offset:         148
        .size:           2
        .value_kind:     hidden_remainder_y
      - .offset:         150
        .size:           2
        .value_kind:     hidden_remainder_z
      - .offset:         168
        .size:           8
        .value_kind:     hidden_global_offset_x
      - .offset:         176
        .size:           8
        .value_kind:     hidden_global_offset_y
      - .offset:         184
        .size:           8
        .value_kind:     hidden_global_offset_z
      - .offset:         192
        .size:           2
        .value_kind:     hidden_grid_dims
      - .offset:         248
        .size:           4
        .value_kind:     hidden_dynamic_lds_size
    .group_segment_fixed_size: 416
    .kernarg_segment_align: 8
    .kernarg_segment_size: 384
    .language:       OpenCL C
    .language_version:
      - 2
      - 0
    .max_flat_workgroup_size: 1024
    .name:           _ZN4vllm25paged_attention_v1_kernelIfhLi96ELi8ELi128ELNS_18Fp8KVCacheDataTypeE1ELb0EEEvPT_PKS2_PKT0_S8_ifPKiSA_iPKfiiiSC_SC_iiiii
    .private_segment_fixed_size: 0
    .sgpr_count:     33
    .sgpr_spill_count: 0
    .symbol:         _ZN4vllm25paged_attention_v1_kernelIfhLi96ELi8ELi128ELNS_18Fp8KVCacheDataTypeE1ELb0EEEvPT_PKS2_PKT0_S8_ifPKiSA_iPKfiiiSC_SC_iiiii.kd
    .uniform_work_group_size: 1
    .uses_dynamic_stack: false
    .vgpr_count:     70
    .vgpr_spill_count: 0
    .wavefront_size: 32
  - .args:
      - .actual_access:  write_only
        .address_space:  global
        .offset:         0
        .size:           8
        .value_kind:     global_buffer
      - .actual_access:  read_only
        .address_space:  global
        .offset:         8
        .size:           8
        .value_kind:     global_buffer
      - .actual_access:  read_only
        .address_space:  global
        .offset:         16
        .size:           8
        .value_kind:     global_buffer
      - .actual_access:  read_only
        .address_space:  global
        .offset:         24
        .size:           8
        .value_kind:     global_buffer
      - .offset:         32
        .size:           4
        .value_kind:     by_value
      - .offset:         36
        .size:           4
        .value_kind:     by_value
      - .actual_access:  read_only
        .address_space:  global
        .offset:         40
        .size:           8
        .value_kind:     global_buffer
      - .actual_access:  read_only
        .address_space:  global
        .offset:         48
        .size:           8
        .value_kind:     global_buffer
      - .offset:         56
        .size:           4
        .value_kind:     by_value
      - .actual_access:  read_only
        .address_space:  global
        .offset:         64
        .size:           8
        .value_kind:     global_buffer
      - .offset:         72
        .size:           4
        .value_kind:     by_value
      - .offset:         76
        .size:           4
        .value_kind:     by_value
      - .offset:         80
        .size:           4
        .value_kind:     by_value
      - .address_space:  global
        .offset:         88
        .size:           8
        .value_kind:     global_buffer
      - .address_space:  global
        .offset:         96
        .size:           8
        .value_kind:     global_buffer
      - .offset:         104
        .size:           4
        .value_kind:     by_value
      - .offset:         108
        .size:           4
        .value_kind:     by_value
      - .offset:         112
        .size:           4
        .value_kind:     by_value
      - .offset:         116
        .size:           4
        .value_kind:     by_value
      - .offset:         120
        .size:           4
        .value_kind:     by_value
      - .offset:         128
        .size:           4
        .value_kind:     hidden_block_count_x
      - .offset:         132
        .size:           4
        .value_kind:     hidden_block_count_y
      - .offset:         136
        .size:           4
        .value_kind:     hidden_block_count_z
      - .offset:         140
        .size:           2
        .value_kind:     hidden_group_size_x
      - .offset:         142
        .size:           2
        .value_kind:     hidden_group_size_y
      - .offset:         144
        .size:           2
        .value_kind:     hidden_group_size_z
      - .offset:         146
        .size:           2
        .value_kind:     hidden_remainder_x
      - .offset:         148
        .size:           2
        .value_kind:     hidden_remainder_y
      - .offset:         150
        .size:           2
        .value_kind:     hidden_remainder_z
      - .offset:         168
        .size:           8
        .value_kind:     hidden_global_offset_x
      - .offset:         176
        .size:           8
        .value_kind:     hidden_global_offset_y
      - .offset:         184
        .size:           8
        .value_kind:     hidden_global_offset_z
      - .offset:         192
        .size:           2
        .value_kind:     hidden_grid_dims
      - .offset:         248
        .size:           4
        .value_kind:     hidden_dynamic_lds_size
    .group_segment_fixed_size: 480
    .kernarg_segment_align: 8
    .kernarg_segment_size: 384
    .language:       OpenCL C
    .language_version:
      - 2
      - 0
    .max_flat_workgroup_size: 1024
    .name:           _ZN4vllm25paged_attention_v1_kernelIfhLi112ELi8ELi128ELNS_18Fp8KVCacheDataTypeE1ELb0EEEvPT_PKS2_PKT0_S8_ifPKiSA_iPKfiiiSC_SC_iiiii
    .private_segment_fixed_size: 0
    .sgpr_count:     33
    .sgpr_spill_count: 0
    .symbol:         _ZN4vllm25paged_attention_v1_kernelIfhLi112ELi8ELi128ELNS_18Fp8KVCacheDataTypeE1ELb0EEEvPT_PKS2_PKT0_S8_ifPKiSA_iPKfiiiSC_SC_iiiii.kd
    .uniform_work_group_size: 1
    .uses_dynamic_stack: false
    .vgpr_count:     78
    .vgpr_spill_count: 0
    .wavefront_size: 32
  - .args:
      - .actual_access:  write_only
        .address_space:  global
        .offset:         0
        .size:           8
        .value_kind:     global_buffer
      - .actual_access:  read_only
        .address_space:  global
        .offset:         8
        .size:           8
        .value_kind:     global_buffer
      - .actual_access:  read_only
        .address_space:  global
        .offset:         16
        .size:           8
        .value_kind:     global_buffer
      - .actual_access:  read_only
        .address_space:  global
        .offset:         24
        .size:           8
        .value_kind:     global_buffer
      - .offset:         32
        .size:           4
        .value_kind:     by_value
      - .offset:         36
        .size:           4
        .value_kind:     by_value
      - .actual_access:  read_only
        .address_space:  global
        .offset:         40
        .size:           8
        .value_kind:     global_buffer
      - .actual_access:  read_only
        .address_space:  global
        .offset:         48
        .size:           8
        .value_kind:     global_buffer
      - .offset:         56
        .size:           4
        .value_kind:     by_value
      - .actual_access:  read_only
        .address_space:  global
        .offset:         64
        .size:           8
        .value_kind:     global_buffer
      - .offset:         72
        .size:           4
        .value_kind:     by_value
      - .offset:         76
        .size:           4
        .value_kind:     by_value
      - .offset:         80
        .size:           4
        .value_kind:     by_value
      - .address_space:  global
        .offset:         88
        .size:           8
        .value_kind:     global_buffer
      - .address_space:  global
        .offset:         96
        .size:           8
        .value_kind:     global_buffer
      - .offset:         104
        .size:           4
        .value_kind:     by_value
      - .offset:         108
        .size:           4
        .value_kind:     by_value
      - .offset:         112
        .size:           4
        .value_kind:     by_value
      - .offset:         116
        .size:           4
        .value_kind:     by_value
      - .offset:         120
        .size:           4
        .value_kind:     by_value
      - .offset:         128
        .size:           4
        .value_kind:     hidden_block_count_x
      - .offset:         132
        .size:           4
        .value_kind:     hidden_block_count_y
      - .offset:         136
        .size:           4
        .value_kind:     hidden_block_count_z
      - .offset:         140
        .size:           2
        .value_kind:     hidden_group_size_x
      - .offset:         142
        .size:           2
        .value_kind:     hidden_group_size_y
      - .offset:         144
        .size:           2
        .value_kind:     hidden_group_size_z
      - .offset:         146
        .size:           2
        .value_kind:     hidden_remainder_x
      - .offset:         148
        .size:           2
        .value_kind:     hidden_remainder_y
      - .offset:         150
        .size:           2
        .value_kind:     hidden_remainder_z
      - .offset:         168
        .size:           8
        .value_kind:     hidden_global_offset_x
      - .offset:         176
        .size:           8
        .value_kind:     hidden_global_offset_y
      - .offset:         184
        .size:           8
        .value_kind:     hidden_global_offset_z
      - .offset:         192
        .size:           2
        .value_kind:     hidden_grid_dims
      - .offset:         248
        .size:           4
        .value_kind:     hidden_dynamic_lds_size
    .group_segment_fixed_size: 512
    .kernarg_segment_align: 8
    .kernarg_segment_size: 384
    .language:       OpenCL C
    .language_version:
      - 2
      - 0
    .max_flat_workgroup_size: 1024
    .name:           _ZN4vllm25paged_attention_v1_kernelIfhLi120ELi8ELi128ELNS_18Fp8KVCacheDataTypeE1ELb0EEEvPT_PKS2_PKT0_S8_ifPKiSA_iPKfiiiSC_SC_iiiii
    .private_segment_fixed_size: 0
    .sgpr_count:     33
    .sgpr_spill_count: 0
    .symbol:         _ZN4vllm25paged_attention_v1_kernelIfhLi120ELi8ELi128ELNS_18Fp8KVCacheDataTypeE1ELb0EEEvPT_PKS2_PKT0_S8_ifPKiSA_iPKfiiiSC_SC_iiiii.kd
    .uniform_work_group_size: 1
    .uses_dynamic_stack: false
    .vgpr_count:     82
    .vgpr_spill_count: 0
    .wavefront_size: 32
  - .args:
      - .actual_access:  write_only
        .address_space:  global
        .offset:         0
        .size:           8
        .value_kind:     global_buffer
      - .actual_access:  read_only
        .address_space:  global
        .offset:         8
        .size:           8
        .value_kind:     global_buffer
      - .actual_access:  read_only
        .address_space:  global
        .offset:         16
        .size:           8
        .value_kind:     global_buffer
      - .actual_access:  read_only
        .address_space:  global
        .offset:         24
        .size:           8
        .value_kind:     global_buffer
      - .offset:         32
        .size:           4
        .value_kind:     by_value
      - .offset:         36
        .size:           4
        .value_kind:     by_value
      - .actual_access:  read_only
        .address_space:  global
        .offset:         40
        .size:           8
        .value_kind:     global_buffer
      - .actual_access:  read_only
        .address_space:  global
        .offset:         48
        .size:           8
        .value_kind:     global_buffer
      - .offset:         56
        .size:           4
        .value_kind:     by_value
      - .actual_access:  read_only
        .address_space:  global
        .offset:         64
        .size:           8
        .value_kind:     global_buffer
      - .offset:         72
        .size:           4
        .value_kind:     by_value
      - .offset:         76
        .size:           4
        .value_kind:     by_value
      - .offset:         80
        .size:           4
        .value_kind:     by_value
      - .address_space:  global
        .offset:         88
        .size:           8
        .value_kind:     global_buffer
      - .address_space:  global
        .offset:         96
        .size:           8
        .value_kind:     global_buffer
      - .offset:         104
        .size:           4
        .value_kind:     by_value
      - .offset:         108
        .size:           4
        .value_kind:     by_value
      - .offset:         112
        .size:           4
        .value_kind:     by_value
      - .offset:         116
        .size:           4
        .value_kind:     by_value
      - .offset:         120
        .size:           4
        .value_kind:     by_value
      - .offset:         128
        .size:           4
        .value_kind:     hidden_block_count_x
      - .offset:         132
        .size:           4
        .value_kind:     hidden_block_count_y
      - .offset:         136
        .size:           4
        .value_kind:     hidden_block_count_z
      - .offset:         140
        .size:           2
        .value_kind:     hidden_group_size_x
      - .offset:         142
        .size:           2
        .value_kind:     hidden_group_size_y
      - .offset:         144
        .size:           2
        .value_kind:     hidden_group_size_z
      - .offset:         146
        .size:           2
        .value_kind:     hidden_remainder_x
      - .offset:         148
        .size:           2
        .value_kind:     hidden_remainder_y
      - .offset:         150
        .size:           2
        .value_kind:     hidden_remainder_z
      - .offset:         168
        .size:           8
        .value_kind:     hidden_global_offset_x
      - .offset:         176
        .size:           8
        .value_kind:     hidden_global_offset_y
      - .offset:         184
        .size:           8
        .value_kind:     hidden_global_offset_z
      - .offset:         192
        .size:           2
        .value_kind:     hidden_grid_dims
      - .offset:         248
        .size:           4
        .value_kind:     hidden_dynamic_lds_size
    .group_segment_fixed_size: 544
    .kernarg_segment_align: 8
    .kernarg_segment_size: 384
    .language:       OpenCL C
    .language_version:
      - 2
      - 0
    .max_flat_workgroup_size: 1024
    .name:           _ZN4vllm25paged_attention_v1_kernelIfhLi128ELi8ELi128ELNS_18Fp8KVCacheDataTypeE1ELb0EEEvPT_PKS2_PKT0_S8_ifPKiSA_iPKfiiiSC_SC_iiiii
    .private_segment_fixed_size: 0
    .sgpr_count:     33
    .sgpr_spill_count: 0
    .symbol:         _ZN4vllm25paged_attention_v1_kernelIfhLi128ELi8ELi128ELNS_18Fp8KVCacheDataTypeE1ELb0EEEvPT_PKS2_PKT0_S8_ifPKiSA_iPKfiiiSC_SC_iiiii.kd
    .uniform_work_group_size: 1
    .uses_dynamic_stack: false
    .vgpr_count:     86
    .vgpr_spill_count: 0
    .wavefront_size: 32
  - .args:
      - .actual_access:  write_only
        .address_space:  global
        .offset:         0
        .size:           8
        .value_kind:     global_buffer
      - .actual_access:  read_only
        .address_space:  global
        .offset:         8
        .size:           8
        .value_kind:     global_buffer
      - .actual_access:  read_only
        .address_space:  global
        .offset:         16
        .size:           8
        .value_kind:     global_buffer
      - .actual_access:  read_only
        .address_space:  global
        .offset:         24
        .size:           8
        .value_kind:     global_buffer
      - .offset:         32
        .size:           4
        .value_kind:     by_value
      - .offset:         36
        .size:           4
        .value_kind:     by_value
      - .actual_access:  read_only
        .address_space:  global
        .offset:         40
        .size:           8
        .value_kind:     global_buffer
      - .actual_access:  read_only
        .address_space:  global
        .offset:         48
        .size:           8
        .value_kind:     global_buffer
      - .offset:         56
        .size:           4
        .value_kind:     by_value
      - .actual_access:  read_only
        .address_space:  global
        .offset:         64
        .size:           8
        .value_kind:     global_buffer
      - .offset:         72
        .size:           4
        .value_kind:     by_value
      - .offset:         76
        .size:           4
        .value_kind:     by_value
      - .offset:         80
        .size:           4
        .value_kind:     by_value
      - .address_space:  global
        .offset:         88
        .size:           8
        .value_kind:     global_buffer
      - .address_space:  global
        .offset:         96
        .size:           8
        .value_kind:     global_buffer
      - .offset:         104
        .size:           4
        .value_kind:     by_value
      - .offset:         108
        .size:           4
        .value_kind:     by_value
      - .offset:         112
        .size:           4
        .value_kind:     by_value
      - .offset:         116
        .size:           4
        .value_kind:     by_value
      - .offset:         120
        .size:           4
        .value_kind:     by_value
      - .offset:         128
        .size:           4
        .value_kind:     hidden_block_count_x
      - .offset:         132
        .size:           4
        .value_kind:     hidden_block_count_y
      - .offset:         136
        .size:           4
        .value_kind:     hidden_block_count_z
      - .offset:         140
        .size:           2
        .value_kind:     hidden_group_size_x
      - .offset:         142
        .size:           2
        .value_kind:     hidden_group_size_y
      - .offset:         144
        .size:           2
        .value_kind:     hidden_group_size_z
      - .offset:         146
        .size:           2
        .value_kind:     hidden_remainder_x
      - .offset:         148
        .size:           2
        .value_kind:     hidden_remainder_y
      - .offset:         150
        .size:           2
        .value_kind:     hidden_remainder_z
      - .offset:         168
        .size:           8
        .value_kind:     hidden_global_offset_x
      - .offset:         176
        .size:           8
        .value_kind:     hidden_global_offset_y
      - .offset:         184
        .size:           8
        .value_kind:     hidden_global_offset_z
      - .offset:         192
        .size:           2
        .value_kind:     hidden_grid_dims
      - .offset:         248
        .size:           4
        .value_kind:     hidden_dynamic_lds_size
    .group_segment_fixed_size: 800
    .kernarg_segment_align: 8
    .kernarg_segment_size: 384
    .language:       OpenCL C
    .language_version:
      - 2
      - 0
    .max_flat_workgroup_size: 1024
    .name:           _ZN4vllm25paged_attention_v1_kernelIfhLi192ELi8ELi128ELNS_18Fp8KVCacheDataTypeE1ELb0EEEvPT_PKS2_PKT0_S8_ifPKiSA_iPKfiiiSC_SC_iiiii
    .private_segment_fixed_size: 0
    .sgpr_count:     33
    .sgpr_spill_count: 0
    .symbol:         _ZN4vllm25paged_attention_v1_kernelIfhLi192ELi8ELi128ELNS_18Fp8KVCacheDataTypeE1ELb0EEEvPT_PKS2_PKT0_S8_ifPKiSA_iPKfiiiSC_SC_iiiii.kd
    .uniform_work_group_size: 1
    .uses_dynamic_stack: false
    .vgpr_count:     118
    .vgpr_spill_count: 0
    .wavefront_size: 32
  - .args:
      - .actual_access:  write_only
        .address_space:  global
        .offset:         0
        .size:           8
        .value_kind:     global_buffer
      - .actual_access:  read_only
        .address_space:  global
        .offset:         8
        .size:           8
        .value_kind:     global_buffer
      - .actual_access:  read_only
        .address_space:  global
        .offset:         16
        .size:           8
        .value_kind:     global_buffer
      - .actual_access:  read_only
        .address_space:  global
        .offset:         24
        .size:           8
        .value_kind:     global_buffer
      - .offset:         32
        .size:           4
        .value_kind:     by_value
      - .offset:         36
        .size:           4
        .value_kind:     by_value
      - .actual_access:  read_only
        .address_space:  global
        .offset:         40
        .size:           8
        .value_kind:     global_buffer
      - .actual_access:  read_only
        .address_space:  global
        .offset:         48
        .size:           8
        .value_kind:     global_buffer
      - .offset:         56
        .size:           4
        .value_kind:     by_value
      - .actual_access:  read_only
        .address_space:  global
        .offset:         64
        .size:           8
        .value_kind:     global_buffer
      - .offset:         72
        .size:           4
        .value_kind:     by_value
      - .offset:         76
        .size:           4
        .value_kind:     by_value
      - .offset:         80
        .size:           4
        .value_kind:     by_value
      - .address_space:  global
        .offset:         88
        .size:           8
        .value_kind:     global_buffer
      - .address_space:  global
        .offset:         96
        .size:           8
        .value_kind:     global_buffer
      - .offset:         104
        .size:           4
        .value_kind:     by_value
      - .offset:         108
        .size:           4
        .value_kind:     by_value
      - .offset:         112
        .size:           4
        .value_kind:     by_value
      - .offset:         116
        .size:           4
        .value_kind:     by_value
      - .offset:         120
        .size:           4
        .value_kind:     by_value
      - .offset:         128
        .size:           4
        .value_kind:     hidden_block_count_x
      - .offset:         132
        .size:           4
        .value_kind:     hidden_block_count_y
      - .offset:         136
        .size:           4
        .value_kind:     hidden_block_count_z
      - .offset:         140
        .size:           2
        .value_kind:     hidden_group_size_x
      - .offset:         142
        .size:           2
        .value_kind:     hidden_group_size_y
      - .offset:         144
        .size:           2
        .value_kind:     hidden_group_size_z
      - .offset:         146
        .size:           2
        .value_kind:     hidden_remainder_x
      - .offset:         148
        .size:           2
        .value_kind:     hidden_remainder_y
      - .offset:         150
        .size:           2
        .value_kind:     hidden_remainder_z
      - .offset:         168
        .size:           8
        .value_kind:     hidden_global_offset_x
      - .offset:         176
        .size:           8
        .value_kind:     hidden_global_offset_y
      - .offset:         184
        .size:           8
        .value_kind:     hidden_global_offset_z
      - .offset:         192
        .size:           2
        .value_kind:     hidden_grid_dims
      - .offset:         248
        .size:           4
        .value_kind:     hidden_dynamic_lds_size
    .group_segment_fixed_size: 1056
    .kernarg_segment_align: 8
    .kernarg_segment_size: 384
    .language:       OpenCL C
    .language_version:
      - 2
      - 0
    .max_flat_workgroup_size: 1024
    .name:           _ZN4vllm25paged_attention_v1_kernelIfhLi256ELi8ELi128ELNS_18Fp8KVCacheDataTypeE1ELb0EEEvPT_PKS2_PKT0_S8_ifPKiSA_iPKfiiiSC_SC_iiiii
    .private_segment_fixed_size: 96
    .sgpr_count:     33
    .sgpr_spill_count: 0
    .symbol:         _ZN4vllm25paged_attention_v1_kernelIfhLi256ELi8ELi128ELNS_18Fp8KVCacheDataTypeE1ELb0EEEvPT_PKS2_PKT0_S8_ifPKiSA_iPKfiiiSC_SC_iiiii.kd
    .uniform_work_group_size: 1
    .uses_dynamic_stack: false
    .vgpr_count:     128
    .vgpr_spill_count: 74
    .wavefront_size: 32
  - .args:
      - .actual_access:  write_only
        .address_space:  global
        .offset:         0
        .size:           8
        .value_kind:     global_buffer
      - .actual_access:  read_only
        .address_space:  global
        .offset:         8
        .size:           8
        .value_kind:     global_buffer
      - .actual_access:  read_only
        .address_space:  global
        .offset:         16
        .size:           8
        .value_kind:     global_buffer
      - .actual_access:  read_only
        .address_space:  global
        .offset:         24
        .size:           8
        .value_kind:     global_buffer
      - .offset:         32
        .size:           4
        .value_kind:     by_value
      - .offset:         36
        .size:           4
        .value_kind:     by_value
      - .actual_access:  read_only
        .address_space:  global
        .offset:         40
        .size:           8
        .value_kind:     global_buffer
      - .actual_access:  read_only
        .address_space:  global
        .offset:         48
        .size:           8
        .value_kind:     global_buffer
      - .offset:         56
        .size:           4
        .value_kind:     by_value
      - .actual_access:  read_only
        .address_space:  global
        .offset:         64
        .size:           8
        .value_kind:     global_buffer
      - .offset:         72
        .size:           4
        .value_kind:     by_value
      - .offset:         76
        .size:           4
        .value_kind:     by_value
      - .offset:         80
        .size:           4
        .value_kind:     by_value
      - .address_space:  global
        .offset:         88
        .size:           8
        .value_kind:     global_buffer
      - .address_space:  global
        .offset:         96
        .size:           8
        .value_kind:     global_buffer
      - .offset:         104
        .size:           4
        .value_kind:     by_value
      - .offset:         108
        .size:           4
        .value_kind:     by_value
      - .offset:         112
        .size:           4
        .value_kind:     by_value
      - .offset:         116
        .size:           4
        .value_kind:     by_value
      - .offset:         120
        .size:           4
        .value_kind:     by_value
      - .offset:         128
        .size:           4
        .value_kind:     hidden_block_count_x
      - .offset:         132
        .size:           4
        .value_kind:     hidden_block_count_y
      - .offset:         136
        .size:           4
        .value_kind:     hidden_block_count_z
      - .offset:         140
        .size:           2
        .value_kind:     hidden_group_size_x
      - .offset:         142
        .size:           2
        .value_kind:     hidden_group_size_y
      - .offset:         144
        .size:           2
        .value_kind:     hidden_group_size_z
      - .offset:         146
        .size:           2
        .value_kind:     hidden_remainder_x
      - .offset:         148
        .size:           2
        .value_kind:     hidden_remainder_y
      - .offset:         150
        .size:           2
        .value_kind:     hidden_remainder_z
      - .offset:         168
        .size:           8
        .value_kind:     hidden_global_offset_x
      - .offset:         176
        .size:           8
        .value_kind:     hidden_global_offset_y
      - .offset:         184
        .size:           8
        .value_kind:     hidden_global_offset_z
      - .offset:         192
        .size:           2
        .value_kind:     hidden_grid_dims
      - .offset:         248
        .size:           4
        .value_kind:     hidden_dynamic_lds_size
    .group_segment_fixed_size: 160
    .kernarg_segment_align: 8
    .kernarg_segment_size: 384
    .language:       OpenCL C
    .language_version:
      - 2
      - 0
    .max_flat_workgroup_size: 1024
    .name:           _ZN4vllm25paged_attention_v1_kernelIfhLi32ELi16ELi128ELNS_18Fp8KVCacheDataTypeE1ELb1EEEvPT_PKS2_PKT0_S8_ifPKiSA_iPKfiiiSC_SC_iiiii
    .private_segment_fixed_size: 0
    .sgpr_count:     48
    .sgpr_spill_count: 0
    .symbol:         _ZN4vllm25paged_attention_v1_kernelIfhLi32ELi16ELi128ELNS_18Fp8KVCacheDataTypeE1ELb1EEEvPT_PKS2_PKT0_S8_ifPKiSA_iPKfiiiSC_SC_iiiii.kd
    .uniform_work_group_size: 1
    .uses_dynamic_stack: false
    .vgpr_count:     72
    .vgpr_spill_count: 0
    .wavefront_size: 32
  - .args:
      - .actual_access:  write_only
        .address_space:  global
        .offset:         0
        .size:           8
        .value_kind:     global_buffer
      - .actual_access:  read_only
        .address_space:  global
        .offset:         8
        .size:           8
        .value_kind:     global_buffer
      - .actual_access:  read_only
        .address_space:  global
        .offset:         16
        .size:           8
        .value_kind:     global_buffer
      - .actual_access:  read_only
        .address_space:  global
        .offset:         24
        .size:           8
        .value_kind:     global_buffer
      - .offset:         32
        .size:           4
        .value_kind:     by_value
      - .offset:         36
        .size:           4
        .value_kind:     by_value
      - .actual_access:  read_only
        .address_space:  global
        .offset:         40
        .size:           8
        .value_kind:     global_buffer
      - .actual_access:  read_only
        .address_space:  global
        .offset:         48
        .size:           8
        .value_kind:     global_buffer
      - .offset:         56
        .size:           4
        .value_kind:     by_value
      - .actual_access:  read_only
        .address_space:  global
        .offset:         64
        .size:           8
        .value_kind:     global_buffer
      - .offset:         72
        .size:           4
        .value_kind:     by_value
      - .offset:         76
        .size:           4
        .value_kind:     by_value
      - .offset:         80
        .size:           4
        .value_kind:     by_value
      - .address_space:  global
        .offset:         88
        .size:           8
        .value_kind:     global_buffer
      - .address_space:  global
        .offset:         96
        .size:           8
        .value_kind:     global_buffer
      - .offset:         104
        .size:           4
        .value_kind:     by_value
      - .offset:         108
        .size:           4
        .value_kind:     by_value
      - .offset:         112
        .size:           4
        .value_kind:     by_value
      - .offset:         116
        .size:           4
        .value_kind:     by_value
      - .offset:         120
        .size:           4
        .value_kind:     by_value
      - .offset:         128
        .size:           4
        .value_kind:     hidden_block_count_x
      - .offset:         132
        .size:           4
        .value_kind:     hidden_block_count_y
      - .offset:         136
        .size:           4
        .value_kind:     hidden_block_count_z
      - .offset:         140
        .size:           2
        .value_kind:     hidden_group_size_x
      - .offset:         142
        .size:           2
        .value_kind:     hidden_group_size_y
      - .offset:         144
        .size:           2
        .value_kind:     hidden_group_size_z
      - .offset:         146
        .size:           2
        .value_kind:     hidden_remainder_x
      - .offset:         148
        .size:           2
        .value_kind:     hidden_remainder_y
      - .offset:         150
        .size:           2
        .value_kind:     hidden_remainder_z
      - .offset:         168
        .size:           8
        .value_kind:     hidden_global_offset_x
      - .offset:         176
        .size:           8
        .value_kind:     hidden_global_offset_y
      - .offset:         184
        .size:           8
        .value_kind:     hidden_global_offset_z
      - .offset:         192
        .size:           2
        .value_kind:     hidden_grid_dims
      - .offset:         248
        .size:           4
        .value_kind:     hidden_dynamic_lds_size
    .group_segment_fixed_size: 288
    .kernarg_segment_align: 8
    .kernarg_segment_size: 384
    .language:       OpenCL C
    .language_version:
      - 2
      - 0
    .max_flat_workgroup_size: 1024
    .name:           _ZN4vllm25paged_attention_v1_kernelIfhLi64ELi16ELi128ELNS_18Fp8KVCacheDataTypeE1ELb1EEEvPT_PKS2_PKT0_S8_ifPKiSA_iPKfiiiSC_SC_iiiii
    .private_segment_fixed_size: 0
    .sgpr_count:     49
    .sgpr_spill_count: 0
    .symbol:         _ZN4vllm25paged_attention_v1_kernelIfhLi64ELi16ELi128ELNS_18Fp8KVCacheDataTypeE1ELb1EEEvPT_PKS2_PKT0_S8_ifPKiSA_iPKfiiiSC_SC_iiiii.kd
    .uniform_work_group_size: 1
    .uses_dynamic_stack: false
    .vgpr_count:     120
    .vgpr_spill_count: 0
    .wavefront_size: 32
  - .args:
      - .actual_access:  write_only
        .address_space:  global
        .offset:         0
        .size:           8
        .value_kind:     global_buffer
      - .actual_access:  read_only
        .address_space:  global
        .offset:         8
        .size:           8
        .value_kind:     global_buffer
      - .actual_access:  read_only
        .address_space:  global
        .offset:         16
        .size:           8
        .value_kind:     global_buffer
      - .actual_access:  read_only
        .address_space:  global
        .offset:         24
        .size:           8
        .value_kind:     global_buffer
      - .offset:         32
        .size:           4
        .value_kind:     by_value
      - .offset:         36
        .size:           4
        .value_kind:     by_value
      - .actual_access:  read_only
        .address_space:  global
        .offset:         40
        .size:           8
        .value_kind:     global_buffer
      - .actual_access:  read_only
        .address_space:  global
        .offset:         48
        .size:           8
        .value_kind:     global_buffer
      - .offset:         56
        .size:           4
        .value_kind:     by_value
      - .actual_access:  read_only
        .address_space:  global
        .offset:         64
        .size:           8
        .value_kind:     global_buffer
      - .offset:         72
        .size:           4
        .value_kind:     by_value
      - .offset:         76
        .size:           4
        .value_kind:     by_value
      - .offset:         80
        .size:           4
        .value_kind:     by_value
      - .address_space:  global
        .offset:         88
        .size:           8
        .value_kind:     global_buffer
      - .address_space:  global
        .offset:         96
        .size:           8
        .value_kind:     global_buffer
      - .offset:         104
        .size:           4
        .value_kind:     by_value
      - .offset:         108
        .size:           4
        .value_kind:     by_value
      - .offset:         112
        .size:           4
        .value_kind:     by_value
      - .offset:         116
        .size:           4
        .value_kind:     by_value
      - .offset:         120
        .size:           4
        .value_kind:     by_value
      - .offset:         128
        .size:           4
        .value_kind:     hidden_block_count_x
      - .offset:         132
        .size:           4
        .value_kind:     hidden_block_count_y
      - .offset:         136
        .size:           4
        .value_kind:     hidden_block_count_z
      - .offset:         140
        .size:           2
        .value_kind:     hidden_group_size_x
      - .offset:         142
        .size:           2
        .value_kind:     hidden_group_size_y
      - .offset:         144
        .size:           2
        .value_kind:     hidden_group_size_z
      - .offset:         146
        .size:           2
        .value_kind:     hidden_remainder_x
      - .offset:         148
        .size:           2
        .value_kind:     hidden_remainder_y
      - .offset:         150
        .size:           2
        .value_kind:     hidden_remainder_z
      - .offset:         168
        .size:           8
        .value_kind:     hidden_global_offset_x
      - .offset:         176
        .size:           8
        .value_kind:     hidden_global_offset_y
      - .offset:         184
        .size:           8
        .value_kind:     hidden_global_offset_z
      - .offset:         192
        .size:           2
        .value_kind:     hidden_grid_dims
      - .offset:         248
        .size:           4
        .value_kind:     hidden_dynamic_lds_size
    .group_segment_fixed_size: 352
    .kernarg_segment_align: 8
    .kernarg_segment_size: 384
    .language:       OpenCL C
    .language_version:
      - 2
      - 0
    .max_flat_workgroup_size: 1024
    .name:           _ZN4vllm25paged_attention_v1_kernelIfhLi80ELi16ELi128ELNS_18Fp8KVCacheDataTypeE1ELb1EEEvPT_PKS2_PKT0_S8_ifPKiSA_iPKfiiiSC_SC_iiiii
    .private_segment_fixed_size: 56
    .sgpr_count:     48
    .sgpr_spill_count: 0
    .symbol:         _ZN4vllm25paged_attention_v1_kernelIfhLi80ELi16ELi128ELNS_18Fp8KVCacheDataTypeE1ELb1EEEvPT_PKS2_PKT0_S8_ifPKiSA_iPKfiiiSC_SC_iiiii.kd
    .uniform_work_group_size: 1
    .uses_dynamic_stack: false
    .vgpr_count:     128
    .vgpr_spill_count: 26
    .wavefront_size: 32
  - .args:
      - .actual_access:  write_only
        .address_space:  global
        .offset:         0
        .size:           8
        .value_kind:     global_buffer
      - .actual_access:  read_only
        .address_space:  global
        .offset:         8
        .size:           8
        .value_kind:     global_buffer
      - .actual_access:  read_only
        .address_space:  global
        .offset:         16
        .size:           8
        .value_kind:     global_buffer
      - .actual_access:  read_only
        .address_space:  global
        .offset:         24
        .size:           8
        .value_kind:     global_buffer
      - .offset:         32
        .size:           4
        .value_kind:     by_value
      - .offset:         36
        .size:           4
        .value_kind:     by_value
      - .actual_access:  read_only
        .address_space:  global
        .offset:         40
        .size:           8
        .value_kind:     global_buffer
      - .actual_access:  read_only
        .address_space:  global
        .offset:         48
        .size:           8
        .value_kind:     global_buffer
      - .offset:         56
        .size:           4
        .value_kind:     by_value
      - .actual_access:  read_only
        .address_space:  global
        .offset:         64
        .size:           8
        .value_kind:     global_buffer
      - .offset:         72
        .size:           4
        .value_kind:     by_value
      - .offset:         76
        .size:           4
        .value_kind:     by_value
      - .offset:         80
        .size:           4
        .value_kind:     by_value
      - .address_space:  global
        .offset:         88
        .size:           8
        .value_kind:     global_buffer
      - .address_space:  global
        .offset:         96
        .size:           8
        .value_kind:     global_buffer
      - .offset:         104
        .size:           4
        .value_kind:     by_value
      - .offset:         108
        .size:           4
        .value_kind:     by_value
      - .offset:         112
        .size:           4
        .value_kind:     by_value
      - .offset:         116
        .size:           4
        .value_kind:     by_value
      - .offset:         120
        .size:           4
        .value_kind:     by_value
      - .offset:         128
        .size:           4
        .value_kind:     hidden_block_count_x
      - .offset:         132
        .size:           4
        .value_kind:     hidden_block_count_y
      - .offset:         136
        .size:           4
        .value_kind:     hidden_block_count_z
      - .offset:         140
        .size:           2
        .value_kind:     hidden_group_size_x
      - .offset:         142
        .size:           2
        .value_kind:     hidden_group_size_y
      - .offset:         144
        .size:           2
        .value_kind:     hidden_group_size_z
      - .offset:         146
        .size:           2
        .value_kind:     hidden_remainder_x
      - .offset:         148
        .size:           2
        .value_kind:     hidden_remainder_y
      - .offset:         150
        .size:           2
        .value_kind:     hidden_remainder_z
      - .offset:         168
        .size:           8
        .value_kind:     hidden_global_offset_x
      - .offset:         176
        .size:           8
        .value_kind:     hidden_global_offset_y
      - .offset:         184
        .size:           8
        .value_kind:     hidden_global_offset_z
      - .offset:         192
        .size:           2
        .value_kind:     hidden_grid_dims
      - .offset:         248
        .size:           4
        .value_kind:     hidden_dynamic_lds_size
    .group_segment_fixed_size: 416
    .kernarg_segment_align: 8
    .kernarg_segment_size: 384
    .language:       OpenCL C
    .language_version:
      - 2
      - 0
    .max_flat_workgroup_size: 1024
    .name:           _ZN4vllm25paged_attention_v1_kernelIfhLi96ELi16ELi128ELNS_18Fp8KVCacheDataTypeE1ELb1EEEvPT_PKS2_PKT0_S8_ifPKiSA_iPKfiiiSC_SC_iiiii
    .private_segment_fixed_size: 160
    .sgpr_count:     48
    .sgpr_spill_count: 0
    .symbol:         _ZN4vllm25paged_attention_v1_kernelIfhLi96ELi16ELi128ELNS_18Fp8KVCacheDataTypeE1ELb1EEEvPT_PKS2_PKT0_S8_ifPKiSA_iPKfiiiSC_SC_iiiii.kd
    .uniform_work_group_size: 1
    .uses_dynamic_stack: false
    .vgpr_count:     128
    .vgpr_spill_count: 70
    .wavefront_size: 32
  - .args:
      - .actual_access:  write_only
        .address_space:  global
        .offset:         0
        .size:           8
        .value_kind:     global_buffer
      - .actual_access:  read_only
        .address_space:  global
        .offset:         8
        .size:           8
        .value_kind:     global_buffer
      - .actual_access:  read_only
        .address_space:  global
        .offset:         16
        .size:           8
        .value_kind:     global_buffer
      - .actual_access:  read_only
        .address_space:  global
        .offset:         24
        .size:           8
        .value_kind:     global_buffer
      - .offset:         32
        .size:           4
        .value_kind:     by_value
      - .offset:         36
        .size:           4
        .value_kind:     by_value
      - .actual_access:  read_only
        .address_space:  global
        .offset:         40
        .size:           8
        .value_kind:     global_buffer
      - .actual_access:  read_only
        .address_space:  global
        .offset:         48
        .size:           8
        .value_kind:     global_buffer
      - .offset:         56
        .size:           4
        .value_kind:     by_value
      - .actual_access:  read_only
        .address_space:  global
        .offset:         64
        .size:           8
        .value_kind:     global_buffer
      - .offset:         72
        .size:           4
        .value_kind:     by_value
      - .offset:         76
        .size:           4
        .value_kind:     by_value
      - .offset:         80
        .size:           4
        .value_kind:     by_value
      - .address_space:  global
        .offset:         88
        .size:           8
        .value_kind:     global_buffer
      - .address_space:  global
        .offset:         96
        .size:           8
        .value_kind:     global_buffer
      - .offset:         104
        .size:           4
        .value_kind:     by_value
      - .offset:         108
        .size:           4
        .value_kind:     by_value
      - .offset:         112
        .size:           4
        .value_kind:     by_value
      - .offset:         116
        .size:           4
        .value_kind:     by_value
      - .offset:         120
        .size:           4
        .value_kind:     by_value
      - .offset:         128
        .size:           4
        .value_kind:     hidden_block_count_x
      - .offset:         132
        .size:           4
        .value_kind:     hidden_block_count_y
      - .offset:         136
        .size:           4
        .value_kind:     hidden_block_count_z
      - .offset:         140
        .size:           2
        .value_kind:     hidden_group_size_x
      - .offset:         142
        .size:           2
        .value_kind:     hidden_group_size_y
      - .offset:         144
        .size:           2
        .value_kind:     hidden_group_size_z
      - .offset:         146
        .size:           2
        .value_kind:     hidden_remainder_x
      - .offset:         148
        .size:           2
        .value_kind:     hidden_remainder_y
      - .offset:         150
        .size:           2
        .value_kind:     hidden_remainder_z
      - .offset:         168
        .size:           8
        .value_kind:     hidden_global_offset_x
      - .offset:         176
        .size:           8
        .value_kind:     hidden_global_offset_y
      - .offset:         184
        .size:           8
        .value_kind:     hidden_global_offset_z
      - .offset:         192
        .size:           2
        .value_kind:     hidden_grid_dims
      - .offset:         248
        .size:           4
        .value_kind:     hidden_dynamic_lds_size
    .group_segment_fixed_size: 480
    .kernarg_segment_align: 8
    .kernarg_segment_size: 384
    .language:       OpenCL C
    .language_version:
      - 2
      - 0
    .max_flat_workgroup_size: 1024
    .name:           _ZN4vllm25paged_attention_v1_kernelIfhLi112ELi16ELi128ELNS_18Fp8KVCacheDataTypeE1ELb1EEEvPT_PKS2_PKT0_S8_ifPKiSA_iPKfiiiSC_SC_iiiii
    .private_segment_fixed_size: 232
    .sgpr_count:     48
    .sgpr_spill_count: 0
    .symbol:         _ZN4vllm25paged_attention_v1_kernelIfhLi112ELi16ELi128ELNS_18Fp8KVCacheDataTypeE1ELb1EEEvPT_PKS2_PKT0_S8_ifPKiSA_iPKfiiiSC_SC_iiiii.kd
    .uniform_work_group_size: 1
    .uses_dynamic_stack: false
    .vgpr_count:     128
    .vgpr_spill_count: 100
    .wavefront_size: 32
  - .args:
      - .actual_access:  write_only
        .address_space:  global
        .offset:         0
        .size:           8
        .value_kind:     global_buffer
      - .actual_access:  read_only
        .address_space:  global
        .offset:         8
        .size:           8
        .value_kind:     global_buffer
      - .actual_access:  read_only
        .address_space:  global
        .offset:         16
        .size:           8
        .value_kind:     global_buffer
      - .actual_access:  read_only
        .address_space:  global
        .offset:         24
        .size:           8
        .value_kind:     global_buffer
      - .offset:         32
        .size:           4
        .value_kind:     by_value
      - .offset:         36
        .size:           4
        .value_kind:     by_value
      - .actual_access:  read_only
        .address_space:  global
        .offset:         40
        .size:           8
        .value_kind:     global_buffer
      - .actual_access:  read_only
        .address_space:  global
        .offset:         48
        .size:           8
        .value_kind:     global_buffer
      - .offset:         56
        .size:           4
        .value_kind:     by_value
      - .actual_access:  read_only
        .address_space:  global
        .offset:         64
        .size:           8
        .value_kind:     global_buffer
      - .offset:         72
        .size:           4
        .value_kind:     by_value
      - .offset:         76
        .size:           4
        .value_kind:     by_value
      - .offset:         80
        .size:           4
        .value_kind:     by_value
      - .address_space:  global
        .offset:         88
        .size:           8
        .value_kind:     global_buffer
      - .address_space:  global
        .offset:         96
        .size:           8
        .value_kind:     global_buffer
      - .offset:         104
        .size:           4
        .value_kind:     by_value
      - .offset:         108
        .size:           4
        .value_kind:     by_value
      - .offset:         112
        .size:           4
        .value_kind:     by_value
      - .offset:         116
        .size:           4
        .value_kind:     by_value
      - .offset:         120
        .size:           4
        .value_kind:     by_value
      - .offset:         128
        .size:           4
        .value_kind:     hidden_block_count_x
      - .offset:         132
        .size:           4
        .value_kind:     hidden_block_count_y
      - .offset:         136
        .size:           4
        .value_kind:     hidden_block_count_z
      - .offset:         140
        .size:           2
        .value_kind:     hidden_group_size_x
      - .offset:         142
        .size:           2
        .value_kind:     hidden_group_size_y
      - .offset:         144
        .size:           2
        .value_kind:     hidden_group_size_z
      - .offset:         146
        .size:           2
        .value_kind:     hidden_remainder_x
      - .offset:         148
        .size:           2
        .value_kind:     hidden_remainder_y
      - .offset:         150
        .size:           2
        .value_kind:     hidden_remainder_z
      - .offset:         168
        .size:           8
        .value_kind:     hidden_global_offset_x
      - .offset:         176
        .size:           8
        .value_kind:     hidden_global_offset_y
      - .offset:         184
        .size:           8
        .value_kind:     hidden_global_offset_z
      - .offset:         192
        .size:           2
        .value_kind:     hidden_grid_dims
      - .offset:         248
        .size:           4
        .value_kind:     hidden_dynamic_lds_size
    .group_segment_fixed_size: 512
    .kernarg_segment_align: 8
    .kernarg_segment_size: 384
    .language:       OpenCL C
    .language_version:
      - 2
      - 0
    .max_flat_workgroup_size: 1024
    .name:           _ZN4vllm25paged_attention_v1_kernelIfhLi120ELi16ELi128ELNS_18Fp8KVCacheDataTypeE1ELb1EEEvPT_PKS2_PKT0_S8_ifPKiSA_iPKfiiiSC_SC_iiiii
    .private_segment_fixed_size: 256
    .sgpr_count:     48
    .sgpr_spill_count: 0
    .symbol:         _ZN4vllm25paged_attention_v1_kernelIfhLi120ELi16ELi128ELNS_18Fp8KVCacheDataTypeE1ELb1EEEvPT_PKS2_PKT0_S8_ifPKiSA_iPKfiiiSC_SC_iiiii.kd
    .uniform_work_group_size: 1
    .uses_dynamic_stack: false
    .vgpr_count:     128
    .vgpr_spill_count: 112
    .wavefront_size: 32
  - .args:
      - .actual_access:  write_only
        .address_space:  global
        .offset:         0
        .size:           8
        .value_kind:     global_buffer
      - .actual_access:  read_only
        .address_space:  global
        .offset:         8
        .size:           8
        .value_kind:     global_buffer
      - .actual_access:  read_only
        .address_space:  global
        .offset:         16
        .size:           8
        .value_kind:     global_buffer
      - .actual_access:  read_only
        .address_space:  global
        .offset:         24
        .size:           8
        .value_kind:     global_buffer
      - .offset:         32
        .size:           4
        .value_kind:     by_value
      - .offset:         36
        .size:           4
        .value_kind:     by_value
      - .actual_access:  read_only
        .address_space:  global
        .offset:         40
        .size:           8
        .value_kind:     global_buffer
      - .actual_access:  read_only
        .address_space:  global
        .offset:         48
        .size:           8
        .value_kind:     global_buffer
      - .offset:         56
        .size:           4
        .value_kind:     by_value
      - .actual_access:  read_only
        .address_space:  global
        .offset:         64
        .size:           8
        .value_kind:     global_buffer
      - .offset:         72
        .size:           4
        .value_kind:     by_value
      - .offset:         76
        .size:           4
        .value_kind:     by_value
      - .offset:         80
        .size:           4
        .value_kind:     by_value
      - .address_space:  global
        .offset:         88
        .size:           8
        .value_kind:     global_buffer
      - .address_space:  global
        .offset:         96
        .size:           8
        .value_kind:     global_buffer
      - .offset:         104
        .size:           4
        .value_kind:     by_value
      - .offset:         108
        .size:           4
        .value_kind:     by_value
      - .offset:         112
        .size:           4
        .value_kind:     by_value
      - .offset:         116
        .size:           4
        .value_kind:     by_value
      - .offset:         120
        .size:           4
        .value_kind:     by_value
      - .offset:         128
        .size:           4
        .value_kind:     hidden_block_count_x
      - .offset:         132
        .size:           4
        .value_kind:     hidden_block_count_y
      - .offset:         136
        .size:           4
        .value_kind:     hidden_block_count_z
      - .offset:         140
        .size:           2
        .value_kind:     hidden_group_size_x
      - .offset:         142
        .size:           2
        .value_kind:     hidden_group_size_y
      - .offset:         144
        .size:           2
        .value_kind:     hidden_group_size_z
      - .offset:         146
        .size:           2
        .value_kind:     hidden_remainder_x
      - .offset:         148
        .size:           2
        .value_kind:     hidden_remainder_y
      - .offset:         150
        .size:           2
        .value_kind:     hidden_remainder_z
      - .offset:         168
        .size:           8
        .value_kind:     hidden_global_offset_x
      - .offset:         176
        .size:           8
        .value_kind:     hidden_global_offset_y
      - .offset:         184
        .size:           8
        .value_kind:     hidden_global_offset_z
      - .offset:         192
        .size:           2
        .value_kind:     hidden_grid_dims
      - .offset:         248
        .size:           4
        .value_kind:     hidden_dynamic_lds_size
    .group_segment_fixed_size: 544
    .kernarg_segment_align: 8
    .kernarg_segment_size: 384
    .language:       OpenCL C
    .language_version:
      - 2
      - 0
    .max_flat_workgroup_size: 1024
    .name:           _ZN4vllm25paged_attention_v1_kernelIfhLi128ELi16ELi128ELNS_18Fp8KVCacheDataTypeE1ELb1EEEvPT_PKS2_PKT0_S8_ifPKiSA_iPKfiiiSC_SC_iiiii
    .private_segment_fixed_size: 296
    .sgpr_count:     49
    .sgpr_spill_count: 0
    .symbol:         _ZN4vllm25paged_attention_v1_kernelIfhLi128ELi16ELi128ELNS_18Fp8KVCacheDataTypeE1ELb1EEEvPT_PKS2_PKT0_S8_ifPKiSA_iPKfiiiSC_SC_iiiii.kd
    .uniform_work_group_size: 1
    .uses_dynamic_stack: false
    .vgpr_count:     128
    .vgpr_spill_count: 128
    .wavefront_size: 32
  - .args:
      - .address_space:  global
        .offset:         0
        .size:           8
        .value_kind:     global_buffer
      - .address_space:  global
        .offset:         8
        .size:           8
        .value_kind:     global_buffer
      - .address_space:  global
        .offset:         16
        .size:           8
        .value_kind:     global_buffer
      - .address_space:  global
        .offset:         24
        .size:           8
        .value_kind:     global_buffer
      - .offset:         32
        .size:           4
        .value_kind:     by_value
      - .offset:         36
        .size:           4
        .value_kind:     by_value
      - .address_space:  global
        .offset:         40
        .size:           8
        .value_kind:     global_buffer
      - .address_space:  global
        .offset:         48
        .size:           8
        .value_kind:     global_buffer
      - .offset:         56
        .size:           4
        .value_kind:     by_value
      - .address_space:  global
        .offset:         64
        .size:           8
        .value_kind:     global_buffer
      - .offset:         72
        .size:           4
        .value_kind:     by_value
      - .offset:         76
        .size:           4
        .value_kind:     by_value
      - .offset:         80
        .size:           4
        .value_kind:     by_value
      - .address_space:  global
        .offset:         88
        .size:           8
        .value_kind:     global_buffer
      - .address_space:  global
        .offset:         96
        .size:           8
        .value_kind:     global_buffer
      - .offset:         104
        .size:           4
        .value_kind:     by_value
      - .offset:         108
        .size:           4
        .value_kind:     by_value
      - .offset:         112
        .size:           4
        .value_kind:     by_value
      - .offset:         116
        .size:           4
        .value_kind:     by_value
      - .offset:         120
        .size:           4
        .value_kind:     by_value
      - .offset:         128
        .size:           4
        .value_kind:     hidden_block_count_x
      - .offset:         132
        .size:           4
        .value_kind:     hidden_block_count_y
      - .offset:         136
        .size:           4
        .value_kind:     hidden_block_count_z
      - .offset:         140
        .size:           2
        .value_kind:     hidden_group_size_x
      - .offset:         142
        .size:           2
        .value_kind:     hidden_group_size_y
      - .offset:         144
        .size:           2
        .value_kind:     hidden_group_size_z
      - .offset:         146
        .size:           2
        .value_kind:     hidden_remainder_x
      - .offset:         148
        .size:           2
        .value_kind:     hidden_remainder_y
      - .offset:         150
        .size:           2
        .value_kind:     hidden_remainder_z
      - .offset:         168
        .size:           8
        .value_kind:     hidden_global_offset_x
      - .offset:         176
        .size:           8
        .value_kind:     hidden_global_offset_y
      - .offset:         184
        .size:           8
        .value_kind:     hidden_global_offset_z
      - .offset:         192
        .size:           2
        .value_kind:     hidden_grid_dims
      - .offset:         248
        .size:           4
        .value_kind:     hidden_dynamic_lds_size
    .group_segment_fixed_size: 800
    .kernarg_segment_align: 8
    .kernarg_segment_size: 384
    .language:       OpenCL C
    .language_version:
      - 2
      - 0
    .max_flat_workgroup_size: 1024
    .name:           _ZN4vllm25paged_attention_v1_kernelIfhLi192ELi16ELi128ELNS_18Fp8KVCacheDataTypeE1ELb1EEEvPT_PKS2_PKT0_S8_ifPKiSA_iPKfiiiSC_SC_iiiii
    .private_segment_fixed_size: 872
    .sgpr_count:     41
    .sgpr_spill_count: 0
    .symbol:         _ZN4vllm25paged_attention_v1_kernelIfhLi192ELi16ELi128ELNS_18Fp8KVCacheDataTypeE1ELb1EEEvPT_PKS2_PKT0_S8_ifPKiSA_iPKfiiiSC_SC_iiiii.kd
    .uniform_work_group_size: 1
    .uses_dynamic_stack: false
    .vgpr_count:     128
    .vgpr_spill_count: 0
    .wavefront_size: 32
  - .args:
      - .address_space:  global
        .offset:         0
        .size:           8
        .value_kind:     global_buffer
      - .address_space:  global
        .offset:         8
        .size:           8
        .value_kind:     global_buffer
      - .address_space:  global
        .offset:         16
        .size:           8
        .value_kind:     global_buffer
      - .address_space:  global
        .offset:         24
        .size:           8
        .value_kind:     global_buffer
      - .offset:         32
        .size:           4
        .value_kind:     by_value
      - .offset:         36
        .size:           4
        .value_kind:     by_value
      - .address_space:  global
        .offset:         40
        .size:           8
        .value_kind:     global_buffer
      - .address_space:  global
        .offset:         48
        .size:           8
        .value_kind:     global_buffer
      - .offset:         56
        .size:           4
        .value_kind:     by_value
      - .address_space:  global
        .offset:         64
        .size:           8
        .value_kind:     global_buffer
      - .offset:         72
        .size:           4
        .value_kind:     by_value
      - .offset:         76
        .size:           4
        .value_kind:     by_value
      - .offset:         80
        .size:           4
        .value_kind:     by_value
      - .address_space:  global
        .offset:         88
        .size:           8
        .value_kind:     global_buffer
      - .address_space:  global
        .offset:         96
        .size:           8
        .value_kind:     global_buffer
      - .offset:         104
        .size:           4
        .value_kind:     by_value
      - .offset:         108
        .size:           4
        .value_kind:     by_value
      - .offset:         112
        .size:           4
        .value_kind:     by_value
      - .offset:         116
        .size:           4
        .value_kind:     by_value
      - .offset:         120
        .size:           4
        .value_kind:     by_value
      - .offset:         128
        .size:           4
        .value_kind:     hidden_block_count_x
      - .offset:         132
        .size:           4
        .value_kind:     hidden_block_count_y
      - .offset:         136
        .size:           4
        .value_kind:     hidden_block_count_z
      - .offset:         140
        .size:           2
        .value_kind:     hidden_group_size_x
      - .offset:         142
        .size:           2
        .value_kind:     hidden_group_size_y
      - .offset:         144
        .size:           2
        .value_kind:     hidden_group_size_z
      - .offset:         146
        .size:           2
        .value_kind:     hidden_remainder_x
      - .offset:         148
        .size:           2
        .value_kind:     hidden_remainder_y
      - .offset:         150
        .size:           2
        .value_kind:     hidden_remainder_z
      - .offset:         168
        .size:           8
        .value_kind:     hidden_global_offset_x
      - .offset:         176
        .size:           8
        .value_kind:     hidden_global_offset_y
      - .offset:         184
        .size:           8
        .value_kind:     hidden_global_offset_z
      - .offset:         192
        .size:           2
        .value_kind:     hidden_grid_dims
      - .offset:         248
        .size:           4
        .value_kind:     hidden_dynamic_lds_size
    .group_segment_fixed_size: 1056
    .kernarg_segment_align: 8
    .kernarg_segment_size: 384
    .language:       OpenCL C
    .language_version:
      - 2
      - 0
    .max_flat_workgroup_size: 1024
    .name:           _ZN4vllm25paged_attention_v1_kernelIfhLi256ELi16ELi128ELNS_18Fp8KVCacheDataTypeE1ELb1EEEvPT_PKS2_PKT0_S8_ifPKiSA_iPKfiiiSC_SC_iiiii
    .private_segment_fixed_size: 1140
    .sgpr_count:     41
    .sgpr_spill_count: 0
    .symbol:         _ZN4vllm25paged_attention_v1_kernelIfhLi256ELi16ELi128ELNS_18Fp8KVCacheDataTypeE1ELb1EEEvPT_PKS2_PKT0_S8_ifPKiSA_iPKfiiiSC_SC_iiiii.kd
    .uniform_work_group_size: 1
    .uses_dynamic_stack: false
    .vgpr_count:     128
    .vgpr_spill_count: 0
    .wavefront_size: 32
  - .args:
      - .actual_access:  write_only
        .address_space:  global
        .offset:         0
        .size:           8
        .value_kind:     global_buffer
      - .actual_access:  read_only
        .address_space:  global
        .offset:         8
        .size:           8
        .value_kind:     global_buffer
      - .actual_access:  read_only
        .address_space:  global
        .offset:         16
        .size:           8
        .value_kind:     global_buffer
      - .actual_access:  read_only
        .address_space:  global
        .offset:         24
        .size:           8
        .value_kind:     global_buffer
      - .offset:         32
        .size:           4
        .value_kind:     by_value
      - .offset:         36
        .size:           4
        .value_kind:     by_value
      - .actual_access:  read_only
        .address_space:  global
        .offset:         40
        .size:           8
        .value_kind:     global_buffer
      - .actual_access:  read_only
        .address_space:  global
        .offset:         48
        .size:           8
        .value_kind:     global_buffer
      - .offset:         56
        .size:           4
        .value_kind:     by_value
      - .actual_access:  read_only
        .address_space:  global
        .offset:         64
        .size:           8
        .value_kind:     global_buffer
      - .offset:         72
        .size:           4
        .value_kind:     by_value
      - .offset:         76
        .size:           4
        .value_kind:     by_value
      - .offset:         80
        .size:           4
        .value_kind:     by_value
      - .address_space:  global
        .offset:         88
        .size:           8
        .value_kind:     global_buffer
      - .address_space:  global
        .offset:         96
        .size:           8
        .value_kind:     global_buffer
      - .offset:         104
        .size:           4
        .value_kind:     by_value
      - .offset:         108
        .size:           4
        .value_kind:     by_value
      - .offset:         112
        .size:           4
        .value_kind:     by_value
      - .offset:         116
        .size:           4
        .value_kind:     by_value
      - .offset:         120
        .size:           4
        .value_kind:     by_value
      - .offset:         128
        .size:           4
        .value_kind:     hidden_block_count_x
      - .offset:         132
        .size:           4
        .value_kind:     hidden_block_count_y
      - .offset:         136
        .size:           4
        .value_kind:     hidden_block_count_z
      - .offset:         140
        .size:           2
        .value_kind:     hidden_group_size_x
      - .offset:         142
        .size:           2
        .value_kind:     hidden_group_size_y
      - .offset:         144
        .size:           2
        .value_kind:     hidden_group_size_z
      - .offset:         146
        .size:           2
        .value_kind:     hidden_remainder_x
      - .offset:         148
        .size:           2
        .value_kind:     hidden_remainder_y
      - .offset:         150
        .size:           2
        .value_kind:     hidden_remainder_z
      - .offset:         168
        .size:           8
        .value_kind:     hidden_global_offset_x
      - .offset:         176
        .size:           8
        .value_kind:     hidden_global_offset_y
      - .offset:         184
        .size:           8
        .value_kind:     hidden_global_offset_z
      - .offset:         192
        .size:           2
        .value_kind:     hidden_grid_dims
      - .offset:         248
        .size:           4
        .value_kind:     hidden_dynamic_lds_size
    .group_segment_fixed_size: 160
    .kernarg_segment_align: 8
    .kernarg_segment_size: 384
    .language:       OpenCL C
    .language_version:
      - 2
      - 0
    .max_flat_workgroup_size: 1024
    .name:           _ZN4vllm25paged_attention_v1_kernelIfhLi32ELi16ELi128ELNS_18Fp8KVCacheDataTypeE1ELb0EEEvPT_PKS2_PKT0_S8_ifPKiSA_iPKfiiiSC_SC_iiiii
    .private_segment_fixed_size: 0
    .sgpr_count:     34
    .sgpr_spill_count: 0
    .symbol:         _ZN4vllm25paged_attention_v1_kernelIfhLi32ELi16ELi128ELNS_18Fp8KVCacheDataTypeE1ELb0EEEvPT_PKS2_PKT0_S8_ifPKiSA_iPKfiiiSC_SC_iiiii.kd
    .uniform_work_group_size: 1
    .uses_dynamic_stack: false
    .vgpr_count:     68
    .vgpr_spill_count: 0
    .wavefront_size: 32
  - .args:
      - .actual_access:  write_only
        .address_space:  global
        .offset:         0
        .size:           8
        .value_kind:     global_buffer
      - .actual_access:  read_only
        .address_space:  global
        .offset:         8
        .size:           8
        .value_kind:     global_buffer
      - .actual_access:  read_only
        .address_space:  global
        .offset:         16
        .size:           8
        .value_kind:     global_buffer
      - .actual_access:  read_only
        .address_space:  global
        .offset:         24
        .size:           8
        .value_kind:     global_buffer
      - .offset:         32
        .size:           4
        .value_kind:     by_value
      - .offset:         36
        .size:           4
        .value_kind:     by_value
      - .actual_access:  read_only
        .address_space:  global
        .offset:         40
        .size:           8
        .value_kind:     global_buffer
      - .actual_access:  read_only
        .address_space:  global
        .offset:         48
        .size:           8
        .value_kind:     global_buffer
      - .offset:         56
        .size:           4
        .value_kind:     by_value
      - .actual_access:  read_only
        .address_space:  global
        .offset:         64
        .size:           8
        .value_kind:     global_buffer
      - .offset:         72
        .size:           4
        .value_kind:     by_value
      - .offset:         76
        .size:           4
        .value_kind:     by_value
      - .offset:         80
        .size:           4
        .value_kind:     by_value
      - .address_space:  global
        .offset:         88
        .size:           8
        .value_kind:     global_buffer
      - .address_space:  global
        .offset:         96
        .size:           8
        .value_kind:     global_buffer
      - .offset:         104
        .size:           4
        .value_kind:     by_value
      - .offset:         108
        .size:           4
        .value_kind:     by_value
      - .offset:         112
        .size:           4
        .value_kind:     by_value
      - .offset:         116
        .size:           4
        .value_kind:     by_value
      - .offset:         120
        .size:           4
        .value_kind:     by_value
      - .offset:         128
        .size:           4
        .value_kind:     hidden_block_count_x
      - .offset:         132
        .size:           4
        .value_kind:     hidden_block_count_y
      - .offset:         136
        .size:           4
        .value_kind:     hidden_block_count_z
      - .offset:         140
        .size:           2
        .value_kind:     hidden_group_size_x
      - .offset:         142
        .size:           2
        .value_kind:     hidden_group_size_y
      - .offset:         144
        .size:           2
        .value_kind:     hidden_group_size_z
      - .offset:         146
        .size:           2
        .value_kind:     hidden_remainder_x
      - .offset:         148
        .size:           2
        .value_kind:     hidden_remainder_y
      - .offset:         150
        .size:           2
        .value_kind:     hidden_remainder_z
      - .offset:         168
        .size:           8
        .value_kind:     hidden_global_offset_x
      - .offset:         176
        .size:           8
        .value_kind:     hidden_global_offset_y
      - .offset:         184
        .size:           8
        .value_kind:     hidden_global_offset_z
      - .offset:         192
        .size:           2
        .value_kind:     hidden_grid_dims
      - .offset:         248
        .size:           4
        .value_kind:     hidden_dynamic_lds_size
    .group_segment_fixed_size: 288
    .kernarg_segment_align: 8
    .kernarg_segment_size: 384
    .language:       OpenCL C
    .language_version:
      - 2
      - 0
    .max_flat_workgroup_size: 1024
    .name:           _ZN4vllm25paged_attention_v1_kernelIfhLi64ELi16ELi128ELNS_18Fp8KVCacheDataTypeE1ELb0EEEvPT_PKS2_PKT0_S8_ifPKiSA_iPKfiiiSC_SC_iiiii
    .private_segment_fixed_size: 0
    .sgpr_count:     36
    .sgpr_spill_count: 0
    .symbol:         _ZN4vllm25paged_attention_v1_kernelIfhLi64ELi16ELi128ELNS_18Fp8KVCacheDataTypeE1ELb0EEEvPT_PKS2_PKT0_S8_ifPKiSA_iPKfiiiSC_SC_iiiii.kd
    .uniform_work_group_size: 1
    .uses_dynamic_stack: false
    .vgpr_count:     118
    .vgpr_spill_count: 0
    .wavefront_size: 32
  - .args:
      - .actual_access:  write_only
        .address_space:  global
        .offset:         0
        .size:           8
        .value_kind:     global_buffer
      - .actual_access:  read_only
        .address_space:  global
        .offset:         8
        .size:           8
        .value_kind:     global_buffer
      - .actual_access:  read_only
        .address_space:  global
        .offset:         16
        .size:           8
        .value_kind:     global_buffer
      - .actual_access:  read_only
        .address_space:  global
        .offset:         24
        .size:           8
        .value_kind:     global_buffer
      - .offset:         32
        .size:           4
        .value_kind:     by_value
      - .offset:         36
        .size:           4
        .value_kind:     by_value
      - .actual_access:  read_only
        .address_space:  global
        .offset:         40
        .size:           8
        .value_kind:     global_buffer
      - .actual_access:  read_only
        .address_space:  global
        .offset:         48
        .size:           8
        .value_kind:     global_buffer
      - .offset:         56
        .size:           4
        .value_kind:     by_value
      - .actual_access:  read_only
        .address_space:  global
        .offset:         64
        .size:           8
        .value_kind:     global_buffer
      - .offset:         72
        .size:           4
        .value_kind:     by_value
      - .offset:         76
        .size:           4
        .value_kind:     by_value
      - .offset:         80
        .size:           4
        .value_kind:     by_value
      - .address_space:  global
        .offset:         88
        .size:           8
        .value_kind:     global_buffer
      - .address_space:  global
        .offset:         96
        .size:           8
        .value_kind:     global_buffer
      - .offset:         104
        .size:           4
        .value_kind:     by_value
      - .offset:         108
        .size:           4
        .value_kind:     by_value
      - .offset:         112
        .size:           4
        .value_kind:     by_value
      - .offset:         116
        .size:           4
        .value_kind:     by_value
      - .offset:         120
        .size:           4
        .value_kind:     by_value
      - .offset:         128
        .size:           4
        .value_kind:     hidden_block_count_x
      - .offset:         132
        .size:           4
        .value_kind:     hidden_block_count_y
      - .offset:         136
        .size:           4
        .value_kind:     hidden_block_count_z
      - .offset:         140
        .size:           2
        .value_kind:     hidden_group_size_x
      - .offset:         142
        .size:           2
        .value_kind:     hidden_group_size_y
      - .offset:         144
        .size:           2
        .value_kind:     hidden_group_size_z
      - .offset:         146
        .size:           2
        .value_kind:     hidden_remainder_x
      - .offset:         148
        .size:           2
        .value_kind:     hidden_remainder_y
      - .offset:         150
        .size:           2
        .value_kind:     hidden_remainder_z
      - .offset:         168
        .size:           8
        .value_kind:     hidden_global_offset_x
      - .offset:         176
        .size:           8
        .value_kind:     hidden_global_offset_y
      - .offset:         184
        .size:           8
        .value_kind:     hidden_global_offset_z
      - .offset:         192
        .size:           2
        .value_kind:     hidden_grid_dims
      - .offset:         248
        .size:           4
        .value_kind:     hidden_dynamic_lds_size
    .group_segment_fixed_size: 352
    .kernarg_segment_align: 8
    .kernarg_segment_size: 384
    .language:       OpenCL C
    .language_version:
      - 2
      - 0
    .max_flat_workgroup_size: 1024
    .name:           _ZN4vllm25paged_attention_v1_kernelIfhLi80ELi16ELi128ELNS_18Fp8KVCacheDataTypeE1ELb0EEEvPT_PKS2_PKT0_S8_ifPKiSA_iPKfiiiSC_SC_iiiii
    .private_segment_fixed_size: 56
    .sgpr_count:     34
    .sgpr_spill_count: 0
    .symbol:         _ZN4vllm25paged_attention_v1_kernelIfhLi80ELi16ELi128ELNS_18Fp8KVCacheDataTypeE1ELb0EEEvPT_PKS2_PKT0_S8_ifPKiSA_iPKfiiiSC_SC_iiiii.kd
    .uniform_work_group_size: 1
    .uses_dynamic_stack: false
    .vgpr_count:     128
    .vgpr_spill_count: 14
    .wavefront_size: 32
  - .args:
      - .actual_access:  write_only
        .address_space:  global
        .offset:         0
        .size:           8
        .value_kind:     global_buffer
      - .actual_access:  read_only
        .address_space:  global
        .offset:         8
        .size:           8
        .value_kind:     global_buffer
      - .actual_access:  read_only
        .address_space:  global
        .offset:         16
        .size:           8
        .value_kind:     global_buffer
      - .actual_access:  read_only
        .address_space:  global
        .offset:         24
        .size:           8
        .value_kind:     global_buffer
      - .offset:         32
        .size:           4
        .value_kind:     by_value
      - .offset:         36
        .size:           4
        .value_kind:     by_value
      - .actual_access:  read_only
        .address_space:  global
        .offset:         40
        .size:           8
        .value_kind:     global_buffer
      - .actual_access:  read_only
        .address_space:  global
        .offset:         48
        .size:           8
        .value_kind:     global_buffer
      - .offset:         56
        .size:           4
        .value_kind:     by_value
      - .actual_access:  read_only
        .address_space:  global
        .offset:         64
        .size:           8
        .value_kind:     global_buffer
      - .offset:         72
        .size:           4
        .value_kind:     by_value
      - .offset:         76
        .size:           4
        .value_kind:     by_value
      - .offset:         80
        .size:           4
        .value_kind:     by_value
      - .address_space:  global
        .offset:         88
        .size:           8
        .value_kind:     global_buffer
      - .address_space:  global
        .offset:         96
        .size:           8
        .value_kind:     global_buffer
      - .offset:         104
        .size:           4
        .value_kind:     by_value
      - .offset:         108
        .size:           4
        .value_kind:     by_value
      - .offset:         112
        .size:           4
        .value_kind:     by_value
      - .offset:         116
        .size:           4
        .value_kind:     by_value
      - .offset:         120
        .size:           4
        .value_kind:     by_value
      - .offset:         128
        .size:           4
        .value_kind:     hidden_block_count_x
      - .offset:         132
        .size:           4
        .value_kind:     hidden_block_count_y
      - .offset:         136
        .size:           4
        .value_kind:     hidden_block_count_z
      - .offset:         140
        .size:           2
        .value_kind:     hidden_group_size_x
      - .offset:         142
        .size:           2
        .value_kind:     hidden_group_size_y
      - .offset:         144
        .size:           2
        .value_kind:     hidden_group_size_z
      - .offset:         146
        .size:           2
        .value_kind:     hidden_remainder_x
      - .offset:         148
        .size:           2
        .value_kind:     hidden_remainder_y
      - .offset:         150
        .size:           2
        .value_kind:     hidden_remainder_z
      - .offset:         168
        .size:           8
        .value_kind:     hidden_global_offset_x
      - .offset:         176
        .size:           8
        .value_kind:     hidden_global_offset_y
      - .offset:         184
        .size:           8
        .value_kind:     hidden_global_offset_z
      - .offset:         192
        .size:           2
        .value_kind:     hidden_grid_dims
      - .offset:         248
        .size:           4
        .value_kind:     hidden_dynamic_lds_size
    .group_segment_fixed_size: 416
    .kernarg_segment_align: 8
    .kernarg_segment_size: 384
    .language:       OpenCL C
    .language_version:
      - 2
      - 0
    .max_flat_workgroup_size: 1024
    .name:           _ZN4vllm25paged_attention_v1_kernelIfhLi96ELi16ELi128ELNS_18Fp8KVCacheDataTypeE1ELb0EEEvPT_PKS2_PKT0_S8_ifPKiSA_iPKfiiiSC_SC_iiiii
    .private_segment_fixed_size: 152
    .sgpr_count:     34
    .sgpr_spill_count: 0
    .symbol:         _ZN4vllm25paged_attention_v1_kernelIfhLi96ELi16ELi128ELNS_18Fp8KVCacheDataTypeE1ELb0EEEvPT_PKS2_PKT0_S8_ifPKiSA_iPKfiiiSC_SC_iiiii.kd
    .uniform_work_group_size: 1
    .uses_dynamic_stack: false
    .vgpr_count:     128
    .vgpr_spill_count: 38
    .wavefront_size: 32
  - .args:
      - .actual_access:  write_only
        .address_space:  global
        .offset:         0
        .size:           8
        .value_kind:     global_buffer
      - .actual_access:  read_only
        .address_space:  global
        .offset:         8
        .size:           8
        .value_kind:     global_buffer
      - .actual_access:  read_only
        .address_space:  global
        .offset:         16
        .size:           8
        .value_kind:     global_buffer
      - .actual_access:  read_only
        .address_space:  global
        .offset:         24
        .size:           8
        .value_kind:     global_buffer
      - .offset:         32
        .size:           4
        .value_kind:     by_value
      - .offset:         36
        .size:           4
        .value_kind:     by_value
      - .actual_access:  read_only
        .address_space:  global
        .offset:         40
        .size:           8
        .value_kind:     global_buffer
      - .actual_access:  read_only
        .address_space:  global
        .offset:         48
        .size:           8
        .value_kind:     global_buffer
      - .offset:         56
        .size:           4
        .value_kind:     by_value
      - .actual_access:  read_only
        .address_space:  global
        .offset:         64
        .size:           8
        .value_kind:     global_buffer
      - .offset:         72
        .size:           4
        .value_kind:     by_value
      - .offset:         76
        .size:           4
        .value_kind:     by_value
      - .offset:         80
        .size:           4
        .value_kind:     by_value
      - .address_space:  global
        .offset:         88
        .size:           8
        .value_kind:     global_buffer
      - .address_space:  global
        .offset:         96
        .size:           8
        .value_kind:     global_buffer
      - .offset:         104
        .size:           4
        .value_kind:     by_value
      - .offset:         108
        .size:           4
        .value_kind:     by_value
      - .offset:         112
        .size:           4
        .value_kind:     by_value
      - .offset:         116
        .size:           4
        .value_kind:     by_value
      - .offset:         120
        .size:           4
        .value_kind:     by_value
      - .offset:         128
        .size:           4
        .value_kind:     hidden_block_count_x
      - .offset:         132
        .size:           4
        .value_kind:     hidden_block_count_y
      - .offset:         136
        .size:           4
        .value_kind:     hidden_block_count_z
      - .offset:         140
        .size:           2
        .value_kind:     hidden_group_size_x
      - .offset:         142
        .size:           2
        .value_kind:     hidden_group_size_y
      - .offset:         144
        .size:           2
        .value_kind:     hidden_group_size_z
      - .offset:         146
        .size:           2
        .value_kind:     hidden_remainder_x
      - .offset:         148
        .size:           2
        .value_kind:     hidden_remainder_y
      - .offset:         150
        .size:           2
        .value_kind:     hidden_remainder_z
      - .offset:         168
        .size:           8
        .value_kind:     hidden_global_offset_x
      - .offset:         176
        .size:           8
        .value_kind:     hidden_global_offset_y
      - .offset:         184
        .size:           8
        .value_kind:     hidden_global_offset_z
      - .offset:         192
        .size:           2
        .value_kind:     hidden_grid_dims
      - .offset:         248
        .size:           4
        .value_kind:     hidden_dynamic_lds_size
    .group_segment_fixed_size: 480
    .kernarg_segment_align: 8
    .kernarg_segment_size: 384
    .language:       OpenCL C
    .language_version:
      - 2
      - 0
    .max_flat_workgroup_size: 1024
    .name:           _ZN4vllm25paged_attention_v1_kernelIfhLi112ELi16ELi128ELNS_18Fp8KVCacheDataTypeE1ELb0EEEvPT_PKS2_PKT0_S8_ifPKiSA_iPKfiiiSC_SC_iiiii
    .private_segment_fixed_size: 248
    .sgpr_count:     34
    .sgpr_spill_count: 0
    .symbol:         _ZN4vllm25paged_attention_v1_kernelIfhLi112ELi16ELi128ELNS_18Fp8KVCacheDataTypeE1ELb0EEEvPT_PKS2_PKT0_S8_ifPKiSA_iPKfiiiSC_SC_iiiii.kd
    .uniform_work_group_size: 1
    .uses_dynamic_stack: false
    .vgpr_count:     128
    .vgpr_spill_count: 62
    .wavefront_size: 32
  - .args:
      - .actual_access:  write_only
        .address_space:  global
        .offset:         0
        .size:           8
        .value_kind:     global_buffer
      - .actual_access:  read_only
        .address_space:  global
        .offset:         8
        .size:           8
        .value_kind:     global_buffer
      - .actual_access:  read_only
        .address_space:  global
        .offset:         16
        .size:           8
        .value_kind:     global_buffer
      - .actual_access:  read_only
        .address_space:  global
        .offset:         24
        .size:           8
        .value_kind:     global_buffer
      - .offset:         32
        .size:           4
        .value_kind:     by_value
      - .offset:         36
        .size:           4
        .value_kind:     by_value
      - .actual_access:  read_only
        .address_space:  global
        .offset:         40
        .size:           8
        .value_kind:     global_buffer
      - .actual_access:  read_only
        .address_space:  global
        .offset:         48
        .size:           8
        .value_kind:     global_buffer
      - .offset:         56
        .size:           4
        .value_kind:     by_value
      - .actual_access:  read_only
        .address_space:  global
        .offset:         64
        .size:           8
        .value_kind:     global_buffer
      - .offset:         72
        .size:           4
        .value_kind:     by_value
      - .offset:         76
        .size:           4
        .value_kind:     by_value
      - .offset:         80
        .size:           4
        .value_kind:     by_value
      - .address_space:  global
        .offset:         88
        .size:           8
        .value_kind:     global_buffer
      - .address_space:  global
        .offset:         96
        .size:           8
        .value_kind:     global_buffer
      - .offset:         104
        .size:           4
        .value_kind:     by_value
      - .offset:         108
        .size:           4
        .value_kind:     by_value
      - .offset:         112
        .size:           4
        .value_kind:     by_value
      - .offset:         116
        .size:           4
        .value_kind:     by_value
      - .offset:         120
        .size:           4
        .value_kind:     by_value
      - .offset:         128
        .size:           4
        .value_kind:     hidden_block_count_x
      - .offset:         132
        .size:           4
        .value_kind:     hidden_block_count_y
      - .offset:         136
        .size:           4
        .value_kind:     hidden_block_count_z
      - .offset:         140
        .size:           2
        .value_kind:     hidden_group_size_x
      - .offset:         142
        .size:           2
        .value_kind:     hidden_group_size_y
      - .offset:         144
        .size:           2
        .value_kind:     hidden_group_size_z
      - .offset:         146
        .size:           2
        .value_kind:     hidden_remainder_x
      - .offset:         148
        .size:           2
        .value_kind:     hidden_remainder_y
      - .offset:         150
        .size:           2
        .value_kind:     hidden_remainder_z
      - .offset:         168
        .size:           8
        .value_kind:     hidden_global_offset_x
      - .offset:         176
        .size:           8
        .value_kind:     hidden_global_offset_y
      - .offset:         184
        .size:           8
        .value_kind:     hidden_global_offset_z
      - .offset:         192
        .size:           2
        .value_kind:     hidden_grid_dims
      - .offset:         248
        .size:           4
        .value_kind:     hidden_dynamic_lds_size
    .group_segment_fixed_size: 512
    .kernarg_segment_align: 8
    .kernarg_segment_size: 384
    .language:       OpenCL C
    .language_version:
      - 2
      - 0
    .max_flat_workgroup_size: 1024
    .name:           _ZN4vllm25paged_attention_v1_kernelIfhLi120ELi16ELi128ELNS_18Fp8KVCacheDataTypeE1ELb0EEEvPT_PKS2_PKT0_S8_ifPKiSA_iPKfiiiSC_SC_iiiii
    .private_segment_fixed_size: 288
    .sgpr_count:     34
    .sgpr_spill_count: 0
    .symbol:         _ZN4vllm25paged_attention_v1_kernelIfhLi120ELi16ELi128ELNS_18Fp8KVCacheDataTypeE1ELb0EEEvPT_PKS2_PKT0_S8_ifPKiSA_iPKfiiiSC_SC_iiiii.kd
    .uniform_work_group_size: 1
    .uses_dynamic_stack: false
    .vgpr_count:     128
    .vgpr_spill_count: 78
    .wavefront_size: 32
  - .args:
      - .actual_access:  write_only
        .address_space:  global
        .offset:         0
        .size:           8
        .value_kind:     global_buffer
      - .actual_access:  read_only
        .address_space:  global
        .offset:         8
        .size:           8
        .value_kind:     global_buffer
      - .actual_access:  read_only
        .address_space:  global
        .offset:         16
        .size:           8
        .value_kind:     global_buffer
      - .actual_access:  read_only
        .address_space:  global
        .offset:         24
        .size:           8
        .value_kind:     global_buffer
      - .offset:         32
        .size:           4
        .value_kind:     by_value
      - .offset:         36
        .size:           4
        .value_kind:     by_value
      - .actual_access:  read_only
        .address_space:  global
        .offset:         40
        .size:           8
        .value_kind:     global_buffer
      - .actual_access:  read_only
        .address_space:  global
        .offset:         48
        .size:           8
        .value_kind:     global_buffer
      - .offset:         56
        .size:           4
        .value_kind:     by_value
      - .actual_access:  read_only
        .address_space:  global
        .offset:         64
        .size:           8
        .value_kind:     global_buffer
      - .offset:         72
        .size:           4
        .value_kind:     by_value
      - .offset:         76
        .size:           4
        .value_kind:     by_value
      - .offset:         80
        .size:           4
        .value_kind:     by_value
      - .address_space:  global
        .offset:         88
        .size:           8
        .value_kind:     global_buffer
      - .address_space:  global
        .offset:         96
        .size:           8
        .value_kind:     global_buffer
      - .offset:         104
        .size:           4
        .value_kind:     by_value
      - .offset:         108
        .size:           4
        .value_kind:     by_value
      - .offset:         112
        .size:           4
        .value_kind:     by_value
      - .offset:         116
        .size:           4
        .value_kind:     by_value
      - .offset:         120
        .size:           4
        .value_kind:     by_value
      - .offset:         128
        .size:           4
        .value_kind:     hidden_block_count_x
      - .offset:         132
        .size:           4
        .value_kind:     hidden_block_count_y
      - .offset:         136
        .size:           4
        .value_kind:     hidden_block_count_z
      - .offset:         140
        .size:           2
        .value_kind:     hidden_group_size_x
      - .offset:         142
        .size:           2
        .value_kind:     hidden_group_size_y
      - .offset:         144
        .size:           2
        .value_kind:     hidden_group_size_z
      - .offset:         146
        .size:           2
        .value_kind:     hidden_remainder_x
      - .offset:         148
        .size:           2
        .value_kind:     hidden_remainder_y
      - .offset:         150
        .size:           2
        .value_kind:     hidden_remainder_z
      - .offset:         168
        .size:           8
        .value_kind:     hidden_global_offset_x
      - .offset:         176
        .size:           8
        .value_kind:     hidden_global_offset_y
      - .offset:         184
        .size:           8
        .value_kind:     hidden_global_offset_z
      - .offset:         192
        .size:           2
        .value_kind:     hidden_grid_dims
      - .offset:         248
        .size:           4
        .value_kind:     hidden_dynamic_lds_size
    .group_segment_fixed_size: 544
    .kernarg_segment_align: 8
    .kernarg_segment_size: 384
    .language:       OpenCL C
    .language_version:
      - 2
      - 0
    .max_flat_workgroup_size: 1024
    .name:           _ZN4vllm25paged_attention_v1_kernelIfhLi128ELi16ELi128ELNS_18Fp8KVCacheDataTypeE1ELb0EEEvPT_PKS2_PKT0_S8_ifPKiSA_iPKfiiiSC_SC_iiiii
    .private_segment_fixed_size: 336
    .sgpr_count:     36
    .sgpr_spill_count: 0
    .symbol:         _ZN4vllm25paged_attention_v1_kernelIfhLi128ELi16ELi128ELNS_18Fp8KVCacheDataTypeE1ELb0EEEvPT_PKS2_PKT0_S8_ifPKiSA_iPKfiiiSC_SC_iiiii.kd
    .uniform_work_group_size: 1
    .uses_dynamic_stack: false
    .vgpr_count:     128
    .vgpr_spill_count: 114
    .wavefront_size: 32
  - .args:
      - .address_space:  global
        .offset:         0
        .size:           8
        .value_kind:     global_buffer
      - .address_space:  global
        .offset:         8
        .size:           8
        .value_kind:     global_buffer
      - .address_space:  global
        .offset:         16
        .size:           8
        .value_kind:     global_buffer
      - .address_space:  global
        .offset:         24
        .size:           8
        .value_kind:     global_buffer
      - .offset:         32
        .size:           4
        .value_kind:     by_value
      - .offset:         36
        .size:           4
        .value_kind:     by_value
      - .address_space:  global
        .offset:         40
        .size:           8
        .value_kind:     global_buffer
      - .address_space:  global
        .offset:         48
        .size:           8
        .value_kind:     global_buffer
      - .offset:         56
        .size:           4
        .value_kind:     by_value
      - .address_space:  global
        .offset:         64
        .size:           8
        .value_kind:     global_buffer
      - .offset:         72
        .size:           4
        .value_kind:     by_value
      - .offset:         76
        .size:           4
        .value_kind:     by_value
      - .offset:         80
        .size:           4
        .value_kind:     by_value
      - .address_space:  global
        .offset:         88
        .size:           8
        .value_kind:     global_buffer
      - .address_space:  global
        .offset:         96
        .size:           8
        .value_kind:     global_buffer
      - .offset:         104
        .size:           4
        .value_kind:     by_value
      - .offset:         108
        .size:           4
        .value_kind:     by_value
      - .offset:         112
        .size:           4
        .value_kind:     by_value
      - .offset:         116
        .size:           4
        .value_kind:     by_value
      - .offset:         120
        .size:           4
        .value_kind:     by_value
      - .offset:         128
        .size:           4
        .value_kind:     hidden_block_count_x
      - .offset:         132
        .size:           4
        .value_kind:     hidden_block_count_y
      - .offset:         136
        .size:           4
        .value_kind:     hidden_block_count_z
      - .offset:         140
        .size:           2
        .value_kind:     hidden_group_size_x
      - .offset:         142
        .size:           2
        .value_kind:     hidden_group_size_y
      - .offset:         144
        .size:           2
        .value_kind:     hidden_group_size_z
      - .offset:         146
        .size:           2
        .value_kind:     hidden_remainder_x
      - .offset:         148
        .size:           2
        .value_kind:     hidden_remainder_y
      - .offset:         150
        .size:           2
        .value_kind:     hidden_remainder_z
      - .offset:         168
        .size:           8
        .value_kind:     hidden_global_offset_x
      - .offset:         176
        .size:           8
        .value_kind:     hidden_global_offset_y
      - .offset:         184
        .size:           8
        .value_kind:     hidden_global_offset_z
      - .offset:         192
        .size:           2
        .value_kind:     hidden_grid_dims
      - .offset:         248
        .size:           4
        .value_kind:     hidden_dynamic_lds_size
    .group_segment_fixed_size: 800
    .kernarg_segment_align: 8
    .kernarg_segment_size: 384
    .language:       OpenCL C
    .language_version:
      - 2
      - 0
    .max_flat_workgroup_size: 1024
    .name:           _ZN4vllm25paged_attention_v1_kernelIfhLi192ELi16ELi128ELNS_18Fp8KVCacheDataTypeE1ELb0EEEvPT_PKS2_PKT0_S8_ifPKiSA_iPKfiiiSC_SC_iiiii
    .private_segment_fixed_size: 1004
    .sgpr_count:     35
    .sgpr_spill_count: 0
    .symbol:         _ZN4vllm25paged_attention_v1_kernelIfhLi192ELi16ELi128ELNS_18Fp8KVCacheDataTypeE1ELb0EEEvPT_PKS2_PKT0_S8_ifPKiSA_iPKfiiiSC_SC_iiiii.kd
    .uniform_work_group_size: 1
    .uses_dynamic_stack: false
    .vgpr_count:     128
    .vgpr_spill_count: 0
    .wavefront_size: 32
  - .args:
      - .address_space:  global
        .offset:         0
        .size:           8
        .value_kind:     global_buffer
      - .address_space:  global
        .offset:         8
        .size:           8
        .value_kind:     global_buffer
      - .address_space:  global
        .offset:         16
        .size:           8
        .value_kind:     global_buffer
      - .address_space:  global
        .offset:         24
        .size:           8
        .value_kind:     global_buffer
      - .offset:         32
        .size:           4
        .value_kind:     by_value
      - .offset:         36
        .size:           4
        .value_kind:     by_value
      - .address_space:  global
        .offset:         40
        .size:           8
        .value_kind:     global_buffer
      - .address_space:  global
        .offset:         48
        .size:           8
        .value_kind:     global_buffer
      - .offset:         56
        .size:           4
        .value_kind:     by_value
      - .address_space:  global
        .offset:         64
        .size:           8
        .value_kind:     global_buffer
      - .offset:         72
        .size:           4
        .value_kind:     by_value
      - .offset:         76
        .size:           4
        .value_kind:     by_value
      - .offset:         80
        .size:           4
        .value_kind:     by_value
      - .address_space:  global
        .offset:         88
        .size:           8
        .value_kind:     global_buffer
      - .address_space:  global
        .offset:         96
        .size:           8
        .value_kind:     global_buffer
      - .offset:         104
        .size:           4
        .value_kind:     by_value
      - .offset:         108
        .size:           4
        .value_kind:     by_value
      - .offset:         112
        .size:           4
        .value_kind:     by_value
      - .offset:         116
        .size:           4
        .value_kind:     by_value
      - .offset:         120
        .size:           4
        .value_kind:     by_value
      - .offset:         128
        .size:           4
        .value_kind:     hidden_block_count_x
      - .offset:         132
        .size:           4
        .value_kind:     hidden_block_count_y
      - .offset:         136
        .size:           4
        .value_kind:     hidden_block_count_z
      - .offset:         140
        .size:           2
        .value_kind:     hidden_group_size_x
      - .offset:         142
        .size:           2
        .value_kind:     hidden_group_size_y
      - .offset:         144
        .size:           2
        .value_kind:     hidden_group_size_z
      - .offset:         146
        .size:           2
        .value_kind:     hidden_remainder_x
      - .offset:         148
        .size:           2
        .value_kind:     hidden_remainder_y
      - .offset:         150
        .size:           2
        .value_kind:     hidden_remainder_z
      - .offset:         168
        .size:           8
        .value_kind:     hidden_global_offset_x
      - .offset:         176
        .size:           8
        .value_kind:     hidden_global_offset_y
      - .offset:         184
        .size:           8
        .value_kind:     hidden_global_offset_z
      - .offset:         192
        .size:           2
        .value_kind:     hidden_grid_dims
      - .offset:         248
        .size:           4
        .value_kind:     hidden_dynamic_lds_size
    .group_segment_fixed_size: 1056
    .kernarg_segment_align: 8
    .kernarg_segment_size: 384
    .language:       OpenCL C
    .language_version:
      - 2
      - 0
    .max_flat_workgroup_size: 1024
    .name:           _ZN4vllm25paged_attention_v1_kernelIfhLi256ELi16ELi128ELNS_18Fp8KVCacheDataTypeE1ELb0EEEvPT_PKS2_PKT0_S8_ifPKiSA_iPKfiiiSC_SC_iiiii
    .private_segment_fixed_size: 1444
    .sgpr_count:     35
    .sgpr_spill_count: 0
    .symbol:         _ZN4vllm25paged_attention_v1_kernelIfhLi256ELi16ELi128ELNS_18Fp8KVCacheDataTypeE1ELb0EEEvPT_PKS2_PKT0_S8_ifPKiSA_iPKfiiiSC_SC_iiiii.kd
    .uniform_work_group_size: 1
    .uses_dynamic_stack: false
    .vgpr_count:     128
    .vgpr_spill_count: 0
    .wavefront_size: 32
  - .args:
      - .actual_access:  write_only
        .address_space:  global
        .offset:         0
        .size:           8
        .value_kind:     global_buffer
      - .actual_access:  read_only
        .address_space:  global
        .offset:         8
        .size:           8
        .value_kind:     global_buffer
      - .actual_access:  read_only
        .address_space:  global
        .offset:         16
        .size:           8
        .value_kind:     global_buffer
      - .actual_access:  read_only
        .address_space:  global
        .offset:         24
        .size:           8
        .value_kind:     global_buffer
      - .offset:         32
        .size:           4
        .value_kind:     by_value
      - .offset:         36
        .size:           4
        .value_kind:     by_value
      - .actual_access:  read_only
        .address_space:  global
        .offset:         40
        .size:           8
        .value_kind:     global_buffer
      - .actual_access:  read_only
        .address_space:  global
        .offset:         48
        .size:           8
        .value_kind:     global_buffer
      - .offset:         56
        .size:           4
        .value_kind:     by_value
      - .actual_access:  read_only
        .address_space:  global
        .offset:         64
        .size:           8
        .value_kind:     global_buffer
      - .offset:         72
        .size:           4
        .value_kind:     by_value
      - .offset:         76
        .size:           4
        .value_kind:     by_value
      - .offset:         80
        .size:           4
        .value_kind:     by_value
      - .address_space:  global
        .offset:         88
        .size:           8
        .value_kind:     global_buffer
      - .address_space:  global
        .offset:         96
        .size:           8
        .value_kind:     global_buffer
      - .offset:         104
        .size:           4
        .value_kind:     by_value
      - .offset:         108
        .size:           4
        .value_kind:     by_value
      - .offset:         112
        .size:           4
        .value_kind:     by_value
      - .offset:         116
        .size:           4
        .value_kind:     by_value
      - .offset:         120
        .size:           4
        .value_kind:     by_value
      - .offset:         128
        .size:           4
        .value_kind:     hidden_block_count_x
      - .offset:         132
        .size:           4
        .value_kind:     hidden_block_count_y
      - .offset:         136
        .size:           4
        .value_kind:     hidden_block_count_z
      - .offset:         140
        .size:           2
        .value_kind:     hidden_group_size_x
      - .offset:         142
        .size:           2
        .value_kind:     hidden_group_size_y
      - .offset:         144
        .size:           2
        .value_kind:     hidden_group_size_z
      - .offset:         146
        .size:           2
        .value_kind:     hidden_remainder_x
      - .offset:         148
        .size:           2
        .value_kind:     hidden_remainder_y
      - .offset:         150
        .size:           2
        .value_kind:     hidden_remainder_z
      - .offset:         168
        .size:           8
        .value_kind:     hidden_global_offset_x
      - .offset:         176
        .size:           8
        .value_kind:     hidden_global_offset_y
      - .offset:         184
        .size:           8
        .value_kind:     hidden_global_offset_z
      - .offset:         192
        .size:           2
        .value_kind:     hidden_grid_dims
      - .offset:         248
        .size:           4
        .value_kind:     hidden_dynamic_lds_size
    .group_segment_fixed_size: 160
    .kernarg_segment_align: 8
    .kernarg_segment_size: 384
    .language:       OpenCL C
    .language_version:
      - 2
      - 0
    .max_flat_workgroup_size: 1024
    .name:           _ZN4vllm25paged_attention_v1_kernelIfhLi32ELi32ELi128ELNS_18Fp8KVCacheDataTypeE1ELb1EEEvPT_PKS2_PKT0_S8_ifPKiSA_iPKfiiiSC_SC_iiiii
    .private_segment_fixed_size: 0
    .sgpr_count:     47
    .sgpr_spill_count: 0
    .symbol:         _ZN4vllm25paged_attention_v1_kernelIfhLi32ELi32ELi128ELNS_18Fp8KVCacheDataTypeE1ELb1EEEvPT_PKS2_PKT0_S8_ifPKiSA_iPKfiiiSC_SC_iiiii.kd
    .uniform_work_group_size: 1
    .uses_dynamic_stack: false
    .vgpr_count:     118
    .vgpr_spill_count: 0
    .wavefront_size: 32
  - .args:
      - .actual_access:  write_only
        .address_space:  global
        .offset:         0
        .size:           8
        .value_kind:     global_buffer
      - .actual_access:  read_only
        .address_space:  global
        .offset:         8
        .size:           8
        .value_kind:     global_buffer
      - .actual_access:  read_only
        .address_space:  global
        .offset:         16
        .size:           8
        .value_kind:     global_buffer
      - .actual_access:  read_only
        .address_space:  global
        .offset:         24
        .size:           8
        .value_kind:     global_buffer
      - .offset:         32
        .size:           4
        .value_kind:     by_value
      - .offset:         36
        .size:           4
        .value_kind:     by_value
      - .actual_access:  read_only
        .address_space:  global
        .offset:         40
        .size:           8
        .value_kind:     global_buffer
      - .actual_access:  read_only
        .address_space:  global
        .offset:         48
        .size:           8
        .value_kind:     global_buffer
      - .offset:         56
        .size:           4
        .value_kind:     by_value
      - .actual_access:  read_only
        .address_space:  global
        .offset:         64
        .size:           8
        .value_kind:     global_buffer
      - .offset:         72
        .size:           4
        .value_kind:     by_value
      - .offset:         76
        .size:           4
        .value_kind:     by_value
      - .offset:         80
        .size:           4
        .value_kind:     by_value
      - .address_space:  global
        .offset:         88
        .size:           8
        .value_kind:     global_buffer
      - .address_space:  global
        .offset:         96
        .size:           8
        .value_kind:     global_buffer
      - .offset:         104
        .size:           4
        .value_kind:     by_value
      - .offset:         108
        .size:           4
        .value_kind:     by_value
      - .offset:         112
        .size:           4
        .value_kind:     by_value
      - .offset:         116
        .size:           4
        .value_kind:     by_value
      - .offset:         120
        .size:           4
        .value_kind:     by_value
      - .offset:         128
        .size:           4
        .value_kind:     hidden_block_count_x
      - .offset:         132
        .size:           4
        .value_kind:     hidden_block_count_y
      - .offset:         136
        .size:           4
        .value_kind:     hidden_block_count_z
      - .offset:         140
        .size:           2
        .value_kind:     hidden_group_size_x
      - .offset:         142
        .size:           2
        .value_kind:     hidden_group_size_y
      - .offset:         144
        .size:           2
        .value_kind:     hidden_group_size_z
      - .offset:         146
        .size:           2
        .value_kind:     hidden_remainder_x
      - .offset:         148
        .size:           2
        .value_kind:     hidden_remainder_y
      - .offset:         150
        .size:           2
        .value_kind:     hidden_remainder_z
      - .offset:         168
        .size:           8
        .value_kind:     hidden_global_offset_x
      - .offset:         176
        .size:           8
        .value_kind:     hidden_global_offset_y
      - .offset:         184
        .size:           8
        .value_kind:     hidden_global_offset_z
      - .offset:         192
        .size:           2
        .value_kind:     hidden_grid_dims
      - .offset:         248
        .size:           4
        .value_kind:     hidden_dynamic_lds_size
    .group_segment_fixed_size: 288
    .kernarg_segment_align: 8
    .kernarg_segment_size: 384
    .language:       OpenCL C
    .language_version:
      - 2
      - 0
    .max_flat_workgroup_size: 1024
    .name:           _ZN4vllm25paged_attention_v1_kernelIfhLi64ELi32ELi128ELNS_18Fp8KVCacheDataTypeE1ELb1EEEvPT_PKS2_PKT0_S8_ifPKiSA_iPKfiiiSC_SC_iiiii
    .private_segment_fixed_size: 356
    .sgpr_count:     47
    .sgpr_spill_count: 0
    .symbol:         _ZN4vllm25paged_attention_v1_kernelIfhLi64ELi32ELi128ELNS_18Fp8KVCacheDataTypeE1ELb1EEEvPT_PKS2_PKT0_S8_ifPKiSA_iPKfiiiSC_SC_iiiii.kd
    .uniform_work_group_size: 1
    .uses_dynamic_stack: false
    .vgpr_count:     128
    .vgpr_spill_count: 136
    .wavefront_size: 32
  - .args:
      - .address_space:  global
        .offset:         0
        .size:           8
        .value_kind:     global_buffer
      - .address_space:  global
        .offset:         8
        .size:           8
        .value_kind:     global_buffer
      - .address_space:  global
        .offset:         16
        .size:           8
        .value_kind:     global_buffer
      - .address_space:  global
        .offset:         24
        .size:           8
        .value_kind:     global_buffer
      - .offset:         32
        .size:           4
        .value_kind:     by_value
      - .offset:         36
        .size:           4
        .value_kind:     by_value
      - .address_space:  global
        .offset:         40
        .size:           8
        .value_kind:     global_buffer
      - .address_space:  global
        .offset:         48
        .size:           8
        .value_kind:     global_buffer
      - .offset:         56
        .size:           4
        .value_kind:     by_value
      - .address_space:  global
        .offset:         64
        .size:           8
        .value_kind:     global_buffer
      - .offset:         72
        .size:           4
        .value_kind:     by_value
      - .offset:         76
        .size:           4
        .value_kind:     by_value
      - .offset:         80
        .size:           4
        .value_kind:     by_value
      - .address_space:  global
        .offset:         88
        .size:           8
        .value_kind:     global_buffer
      - .address_space:  global
        .offset:         96
        .size:           8
        .value_kind:     global_buffer
      - .offset:         104
        .size:           4
        .value_kind:     by_value
      - .offset:         108
        .size:           4
        .value_kind:     by_value
      - .offset:         112
        .size:           4
        .value_kind:     by_value
      - .offset:         116
        .size:           4
        .value_kind:     by_value
      - .offset:         120
        .size:           4
        .value_kind:     by_value
      - .offset:         128
        .size:           4
        .value_kind:     hidden_block_count_x
      - .offset:         132
        .size:           4
        .value_kind:     hidden_block_count_y
      - .offset:         136
        .size:           4
        .value_kind:     hidden_block_count_z
      - .offset:         140
        .size:           2
        .value_kind:     hidden_group_size_x
      - .offset:         142
        .size:           2
        .value_kind:     hidden_group_size_y
      - .offset:         144
        .size:           2
        .value_kind:     hidden_group_size_z
      - .offset:         146
        .size:           2
        .value_kind:     hidden_remainder_x
      - .offset:         148
        .size:           2
        .value_kind:     hidden_remainder_y
      - .offset:         150
        .size:           2
        .value_kind:     hidden_remainder_z
      - .offset:         168
        .size:           8
        .value_kind:     hidden_global_offset_x
      - .offset:         176
        .size:           8
        .value_kind:     hidden_global_offset_y
      - .offset:         184
        .size:           8
        .value_kind:     hidden_global_offset_z
      - .offset:         192
        .size:           2
        .value_kind:     hidden_grid_dims
      - .offset:         248
        .size:           4
        .value_kind:     hidden_dynamic_lds_size
    .group_segment_fixed_size: 352
    .kernarg_segment_align: 8
    .kernarg_segment_size: 384
    .language:       OpenCL C
    .language_version:
      - 2
      - 0
    .max_flat_workgroup_size: 1024
    .name:           _ZN4vllm25paged_attention_v1_kernelIfhLi80ELi32ELi128ELNS_18Fp8KVCacheDataTypeE1ELb1EEEvPT_PKS2_PKT0_S8_ifPKiSA_iPKfiiiSC_SC_iiiii
    .private_segment_fixed_size: 868
    .sgpr_count:     41
    .sgpr_spill_count: 0
    .symbol:         _ZN4vllm25paged_attention_v1_kernelIfhLi80ELi32ELi128ELNS_18Fp8KVCacheDataTypeE1ELb1EEEvPT_PKS2_PKT0_S8_ifPKiSA_iPKfiiiSC_SC_iiiii.kd
    .uniform_work_group_size: 1
    .uses_dynamic_stack: false
    .vgpr_count:     128
    .vgpr_spill_count: 0
    .wavefront_size: 32
  - .args:
      - .address_space:  global
        .offset:         0
        .size:           8
        .value_kind:     global_buffer
      - .address_space:  global
        .offset:         8
        .size:           8
        .value_kind:     global_buffer
      - .address_space:  global
        .offset:         16
        .size:           8
        .value_kind:     global_buffer
      - .address_space:  global
        .offset:         24
        .size:           8
        .value_kind:     global_buffer
      - .offset:         32
        .size:           4
        .value_kind:     by_value
      - .offset:         36
        .size:           4
        .value_kind:     by_value
      - .address_space:  global
        .offset:         40
        .size:           8
        .value_kind:     global_buffer
      - .address_space:  global
        .offset:         48
        .size:           8
        .value_kind:     global_buffer
      - .offset:         56
        .size:           4
        .value_kind:     by_value
      - .address_space:  global
        .offset:         64
        .size:           8
        .value_kind:     global_buffer
      - .offset:         72
        .size:           4
        .value_kind:     by_value
      - .offset:         76
        .size:           4
        .value_kind:     by_value
      - .offset:         80
        .size:           4
        .value_kind:     by_value
      - .address_space:  global
        .offset:         88
        .size:           8
        .value_kind:     global_buffer
      - .address_space:  global
        .offset:         96
        .size:           8
        .value_kind:     global_buffer
      - .offset:         104
        .size:           4
        .value_kind:     by_value
      - .offset:         108
        .size:           4
        .value_kind:     by_value
      - .offset:         112
        .size:           4
        .value_kind:     by_value
      - .offset:         116
        .size:           4
        .value_kind:     by_value
      - .offset:         120
        .size:           4
        .value_kind:     by_value
      - .offset:         128
        .size:           4
        .value_kind:     hidden_block_count_x
      - .offset:         132
        .size:           4
        .value_kind:     hidden_block_count_y
      - .offset:         136
        .size:           4
        .value_kind:     hidden_block_count_z
      - .offset:         140
        .size:           2
        .value_kind:     hidden_group_size_x
      - .offset:         142
        .size:           2
        .value_kind:     hidden_group_size_y
      - .offset:         144
        .size:           2
        .value_kind:     hidden_group_size_z
      - .offset:         146
        .size:           2
        .value_kind:     hidden_remainder_x
      - .offset:         148
        .size:           2
        .value_kind:     hidden_remainder_y
      - .offset:         150
        .size:           2
        .value_kind:     hidden_remainder_z
      - .offset:         168
        .size:           8
        .value_kind:     hidden_global_offset_x
      - .offset:         176
        .size:           8
        .value_kind:     hidden_global_offset_y
      - .offset:         184
        .size:           8
        .value_kind:     hidden_global_offset_z
      - .offset:         192
        .size:           2
        .value_kind:     hidden_grid_dims
      - .offset:         248
        .size:           4
        .value_kind:     hidden_dynamic_lds_size
    .group_segment_fixed_size: 416
    .kernarg_segment_align: 8
    .kernarg_segment_size: 384
    .language:       OpenCL C
    .language_version:
      - 2
      - 0
    .max_flat_workgroup_size: 1024
    .name:           _ZN4vllm25paged_attention_v1_kernelIfhLi96ELi32ELi128ELNS_18Fp8KVCacheDataTypeE1ELb1EEEvPT_PKS2_PKT0_S8_ifPKiSA_iPKfiiiSC_SC_iiiii
    .private_segment_fixed_size: 1132
    .sgpr_count:     41
    .sgpr_spill_count: 0
    .symbol:         _ZN4vllm25paged_attention_v1_kernelIfhLi96ELi32ELi128ELNS_18Fp8KVCacheDataTypeE1ELb1EEEvPT_PKS2_PKT0_S8_ifPKiSA_iPKfiiiSC_SC_iiiii.kd
    .uniform_work_group_size: 1
    .uses_dynamic_stack: false
    .vgpr_count:     128
    .vgpr_spill_count: 0
    .wavefront_size: 32
  - .args:
      - .address_space:  global
        .offset:         0
        .size:           8
        .value_kind:     global_buffer
      - .address_space:  global
        .offset:         8
        .size:           8
        .value_kind:     global_buffer
      - .address_space:  global
        .offset:         16
        .size:           8
        .value_kind:     global_buffer
      - .address_space:  global
        .offset:         24
        .size:           8
        .value_kind:     global_buffer
      - .offset:         32
        .size:           4
        .value_kind:     by_value
      - .offset:         36
        .size:           4
        .value_kind:     by_value
      - .address_space:  global
        .offset:         40
        .size:           8
        .value_kind:     global_buffer
      - .address_space:  global
        .offset:         48
        .size:           8
        .value_kind:     global_buffer
      - .offset:         56
        .size:           4
        .value_kind:     by_value
      - .address_space:  global
        .offset:         64
        .size:           8
        .value_kind:     global_buffer
      - .offset:         72
        .size:           4
        .value_kind:     by_value
      - .offset:         76
        .size:           4
        .value_kind:     by_value
      - .offset:         80
        .size:           4
        .value_kind:     by_value
      - .address_space:  global
        .offset:         88
        .size:           8
        .value_kind:     global_buffer
      - .address_space:  global
        .offset:         96
        .size:           8
        .value_kind:     global_buffer
      - .offset:         104
        .size:           4
        .value_kind:     by_value
      - .offset:         108
        .size:           4
        .value_kind:     by_value
      - .offset:         112
        .size:           4
        .value_kind:     by_value
      - .offset:         116
        .size:           4
        .value_kind:     by_value
      - .offset:         120
        .size:           4
        .value_kind:     by_value
      - .offset:         128
        .size:           4
        .value_kind:     hidden_block_count_x
      - .offset:         132
        .size:           4
        .value_kind:     hidden_block_count_y
      - .offset:         136
        .size:           4
        .value_kind:     hidden_block_count_z
      - .offset:         140
        .size:           2
        .value_kind:     hidden_group_size_x
      - .offset:         142
        .size:           2
        .value_kind:     hidden_group_size_y
      - .offset:         144
        .size:           2
        .value_kind:     hidden_group_size_z
      - .offset:         146
        .size:           2
        .value_kind:     hidden_remainder_x
      - .offset:         148
        .size:           2
        .value_kind:     hidden_remainder_y
      - .offset:         150
        .size:           2
        .value_kind:     hidden_remainder_z
      - .offset:         168
        .size:           8
        .value_kind:     hidden_global_offset_x
      - .offset:         176
        .size:           8
        .value_kind:     hidden_global_offset_y
      - .offset:         184
        .size:           8
        .value_kind:     hidden_global_offset_z
      - .offset:         192
        .size:           2
        .value_kind:     hidden_grid_dims
      - .offset:         248
        .size:           4
        .value_kind:     hidden_dynamic_lds_size
    .group_segment_fixed_size: 480
    .kernarg_segment_align: 8
    .kernarg_segment_size: 384
    .language:       OpenCL C
    .language_version:
      - 2
      - 0
    .max_flat_workgroup_size: 1024
    .name:           _ZN4vllm25paged_attention_v1_kernelIfhLi112ELi32ELi128ELNS_18Fp8KVCacheDataTypeE1ELb1EEEvPT_PKS2_PKT0_S8_ifPKiSA_iPKfiiiSC_SC_iiiii
    .private_segment_fixed_size: 1292
    .sgpr_count:     41
    .sgpr_spill_count: 0
    .symbol:         _ZN4vllm25paged_attention_v1_kernelIfhLi112ELi32ELi128ELNS_18Fp8KVCacheDataTypeE1ELb1EEEvPT_PKS2_PKT0_S8_ifPKiSA_iPKfiiiSC_SC_iiiii.kd
    .uniform_work_group_size: 1
    .uses_dynamic_stack: false
    .vgpr_count:     128
    .vgpr_spill_count: 0
    .wavefront_size: 32
  - .args:
      - .address_space:  global
        .offset:         0
        .size:           8
        .value_kind:     global_buffer
      - .address_space:  global
        .offset:         8
        .size:           8
        .value_kind:     global_buffer
      - .address_space:  global
        .offset:         16
        .size:           8
        .value_kind:     global_buffer
      - .address_space:  global
        .offset:         24
        .size:           8
        .value_kind:     global_buffer
      - .offset:         32
        .size:           4
        .value_kind:     by_value
      - .offset:         36
        .size:           4
        .value_kind:     by_value
      - .address_space:  global
        .offset:         40
        .size:           8
        .value_kind:     global_buffer
      - .address_space:  global
        .offset:         48
        .size:           8
        .value_kind:     global_buffer
      - .offset:         56
        .size:           4
        .value_kind:     by_value
      - .address_space:  global
        .offset:         64
        .size:           8
        .value_kind:     global_buffer
      - .offset:         72
        .size:           4
        .value_kind:     by_value
      - .offset:         76
        .size:           4
        .value_kind:     by_value
      - .offset:         80
        .size:           4
        .value_kind:     by_value
      - .address_space:  global
        .offset:         88
        .size:           8
        .value_kind:     global_buffer
      - .address_space:  global
        .offset:         96
        .size:           8
        .value_kind:     global_buffer
      - .offset:         104
        .size:           4
        .value_kind:     by_value
      - .offset:         108
        .size:           4
        .value_kind:     by_value
      - .offset:         112
        .size:           4
        .value_kind:     by_value
      - .offset:         116
        .size:           4
        .value_kind:     by_value
      - .offset:         120
        .size:           4
        .value_kind:     by_value
      - .offset:         128
        .size:           4
        .value_kind:     hidden_block_count_x
      - .offset:         132
        .size:           4
        .value_kind:     hidden_block_count_y
      - .offset:         136
        .size:           4
        .value_kind:     hidden_block_count_z
      - .offset:         140
        .size:           2
        .value_kind:     hidden_group_size_x
      - .offset:         142
        .size:           2
        .value_kind:     hidden_group_size_y
      - .offset:         144
        .size:           2
        .value_kind:     hidden_group_size_z
      - .offset:         146
        .size:           2
        .value_kind:     hidden_remainder_x
      - .offset:         148
        .size:           2
        .value_kind:     hidden_remainder_y
      - .offset:         150
        .size:           2
        .value_kind:     hidden_remainder_z
      - .offset:         168
        .size:           8
        .value_kind:     hidden_global_offset_x
      - .offset:         176
        .size:           8
        .value_kind:     hidden_global_offset_y
      - .offset:         184
        .size:           8
        .value_kind:     hidden_global_offset_z
      - .offset:         192
        .size:           2
        .value_kind:     hidden_grid_dims
      - .offset:         248
        .size:           4
        .value_kind:     hidden_dynamic_lds_size
    .group_segment_fixed_size: 512
    .kernarg_segment_align: 8
    .kernarg_segment_size: 384
    .language:       OpenCL C
    .language_version:
      - 2
      - 0
    .max_flat_workgroup_size: 1024
    .name:           _ZN4vllm25paged_attention_v1_kernelIfhLi120ELi32ELi128ELNS_18Fp8KVCacheDataTypeE1ELb1EEEvPT_PKS2_PKT0_S8_ifPKiSA_iPKfiiiSC_SC_iiiii
    .private_segment_fixed_size: 1476
    .sgpr_count:     41
    .sgpr_spill_count: 0
    .symbol:         _ZN4vllm25paged_attention_v1_kernelIfhLi120ELi32ELi128ELNS_18Fp8KVCacheDataTypeE1ELb1EEEvPT_PKS2_PKT0_S8_ifPKiSA_iPKfiiiSC_SC_iiiii.kd
    .uniform_work_group_size: 1
    .uses_dynamic_stack: false
    .vgpr_count:     128
    .vgpr_spill_count: 0
    .wavefront_size: 32
  - .args:
      - .address_space:  global
        .offset:         0
        .size:           8
        .value_kind:     global_buffer
      - .address_space:  global
        .offset:         8
        .size:           8
        .value_kind:     global_buffer
      - .address_space:  global
        .offset:         16
        .size:           8
        .value_kind:     global_buffer
      - .address_space:  global
        .offset:         24
        .size:           8
        .value_kind:     global_buffer
      - .offset:         32
        .size:           4
        .value_kind:     by_value
      - .offset:         36
        .size:           4
        .value_kind:     by_value
      - .address_space:  global
        .offset:         40
        .size:           8
        .value_kind:     global_buffer
      - .address_space:  global
        .offset:         48
        .size:           8
        .value_kind:     global_buffer
      - .offset:         56
        .size:           4
        .value_kind:     by_value
      - .address_space:  global
        .offset:         64
        .size:           8
        .value_kind:     global_buffer
      - .offset:         72
        .size:           4
        .value_kind:     by_value
      - .offset:         76
        .size:           4
        .value_kind:     by_value
      - .offset:         80
        .size:           4
        .value_kind:     by_value
      - .address_space:  global
        .offset:         88
        .size:           8
        .value_kind:     global_buffer
      - .address_space:  global
        .offset:         96
        .size:           8
        .value_kind:     global_buffer
      - .offset:         104
        .size:           4
        .value_kind:     by_value
      - .offset:         108
        .size:           4
        .value_kind:     by_value
      - .offset:         112
        .size:           4
        .value_kind:     by_value
      - .offset:         116
        .size:           4
        .value_kind:     by_value
      - .offset:         120
        .size:           4
        .value_kind:     by_value
      - .offset:         128
        .size:           4
        .value_kind:     hidden_block_count_x
      - .offset:         132
        .size:           4
        .value_kind:     hidden_block_count_y
      - .offset:         136
        .size:           4
        .value_kind:     hidden_block_count_z
      - .offset:         140
        .size:           2
        .value_kind:     hidden_group_size_x
      - .offset:         142
        .size:           2
        .value_kind:     hidden_group_size_y
      - .offset:         144
        .size:           2
        .value_kind:     hidden_group_size_z
      - .offset:         146
        .size:           2
        .value_kind:     hidden_remainder_x
      - .offset:         148
        .size:           2
        .value_kind:     hidden_remainder_y
      - .offset:         150
        .size:           2
        .value_kind:     hidden_remainder_z
      - .offset:         168
        .size:           8
        .value_kind:     hidden_global_offset_x
      - .offset:         176
        .size:           8
        .value_kind:     hidden_global_offset_y
      - .offset:         184
        .size:           8
        .value_kind:     hidden_global_offset_z
      - .offset:         192
        .size:           2
        .value_kind:     hidden_grid_dims
      - .offset:         248
        .size:           4
        .value_kind:     hidden_dynamic_lds_size
    .group_segment_fixed_size: 544
    .kernarg_segment_align: 8
    .kernarg_segment_size: 384
    .language:       OpenCL C
    .language_version:
      - 2
      - 0
    .max_flat_workgroup_size: 1024
    .name:           _ZN4vllm25paged_attention_v1_kernelIfhLi128ELi32ELi128ELNS_18Fp8KVCacheDataTypeE1ELb1EEEvPT_PKS2_PKT0_S8_ifPKiSA_iPKfiiiSC_SC_iiiii
    .private_segment_fixed_size: 1612
    .sgpr_count:     41
    .sgpr_spill_count: 0
    .symbol:         _ZN4vllm25paged_attention_v1_kernelIfhLi128ELi32ELi128ELNS_18Fp8KVCacheDataTypeE1ELb1EEEvPT_PKS2_PKT0_S8_ifPKiSA_iPKfiiiSC_SC_iiiii.kd
    .uniform_work_group_size: 1
    .uses_dynamic_stack: false
    .vgpr_count:     128
    .vgpr_spill_count: 0
    .wavefront_size: 32
  - .args:
      - .address_space:  global
        .offset:         0
        .size:           8
        .value_kind:     global_buffer
      - .address_space:  global
        .offset:         8
        .size:           8
        .value_kind:     global_buffer
      - .address_space:  global
        .offset:         16
        .size:           8
        .value_kind:     global_buffer
      - .address_space:  global
        .offset:         24
        .size:           8
        .value_kind:     global_buffer
      - .offset:         32
        .size:           4
        .value_kind:     by_value
      - .offset:         36
        .size:           4
        .value_kind:     by_value
      - .address_space:  global
        .offset:         40
        .size:           8
        .value_kind:     global_buffer
      - .address_space:  global
        .offset:         48
        .size:           8
        .value_kind:     global_buffer
      - .offset:         56
        .size:           4
        .value_kind:     by_value
      - .address_space:  global
        .offset:         64
        .size:           8
        .value_kind:     global_buffer
      - .offset:         72
        .size:           4
        .value_kind:     by_value
      - .offset:         76
        .size:           4
        .value_kind:     by_value
      - .offset:         80
        .size:           4
        .value_kind:     by_value
      - .address_space:  global
        .offset:         88
        .size:           8
        .value_kind:     global_buffer
      - .address_space:  global
        .offset:         96
        .size:           8
        .value_kind:     global_buffer
      - .offset:         104
        .size:           4
        .value_kind:     by_value
      - .offset:         108
        .size:           4
        .value_kind:     by_value
      - .offset:         112
        .size:           4
        .value_kind:     by_value
      - .offset:         116
        .size:           4
        .value_kind:     by_value
      - .offset:         120
        .size:           4
        .value_kind:     by_value
      - .offset:         128
        .size:           4
        .value_kind:     hidden_block_count_x
      - .offset:         132
        .size:           4
        .value_kind:     hidden_block_count_y
      - .offset:         136
        .size:           4
        .value_kind:     hidden_block_count_z
      - .offset:         140
        .size:           2
        .value_kind:     hidden_group_size_x
      - .offset:         142
        .size:           2
        .value_kind:     hidden_group_size_y
      - .offset:         144
        .size:           2
        .value_kind:     hidden_group_size_z
      - .offset:         146
        .size:           2
        .value_kind:     hidden_remainder_x
      - .offset:         148
        .size:           2
        .value_kind:     hidden_remainder_y
      - .offset:         150
        .size:           2
        .value_kind:     hidden_remainder_z
      - .offset:         168
        .size:           8
        .value_kind:     hidden_global_offset_x
      - .offset:         176
        .size:           8
        .value_kind:     hidden_global_offset_y
      - .offset:         184
        .size:           8
        .value_kind:     hidden_global_offset_z
      - .offset:         192
        .size:           2
        .value_kind:     hidden_grid_dims
      - .offset:         248
        .size:           4
        .value_kind:     hidden_dynamic_lds_size
    .group_segment_fixed_size: 800
    .kernarg_segment_align: 8
    .kernarg_segment_size: 384
    .language:       OpenCL C
    .language_version:
      - 2
      - 0
    .max_flat_workgroup_size: 1024
    .name:           _ZN4vllm25paged_attention_v1_kernelIfhLi192ELi32ELi128ELNS_18Fp8KVCacheDataTypeE1ELb1EEEvPT_PKS2_PKT0_S8_ifPKiSA_iPKfiiiSC_SC_iiiii
    .private_segment_fixed_size: 2468
    .sgpr_count:     41
    .sgpr_spill_count: 0
    .symbol:         _ZN4vllm25paged_attention_v1_kernelIfhLi192ELi32ELi128ELNS_18Fp8KVCacheDataTypeE1ELb1EEEvPT_PKS2_PKT0_S8_ifPKiSA_iPKfiiiSC_SC_iiiii.kd
    .uniform_work_group_size: 1
    .uses_dynamic_stack: false
    .vgpr_count:     128
    .vgpr_spill_count: 0
    .wavefront_size: 32
  - .args:
      - .address_space:  global
        .offset:         0
        .size:           8
        .value_kind:     global_buffer
      - .address_space:  global
        .offset:         8
        .size:           8
        .value_kind:     global_buffer
      - .address_space:  global
        .offset:         16
        .size:           8
        .value_kind:     global_buffer
      - .address_space:  global
        .offset:         24
        .size:           8
        .value_kind:     global_buffer
      - .offset:         32
        .size:           4
        .value_kind:     by_value
      - .offset:         36
        .size:           4
        .value_kind:     by_value
      - .address_space:  global
        .offset:         40
        .size:           8
        .value_kind:     global_buffer
      - .address_space:  global
        .offset:         48
        .size:           8
        .value_kind:     global_buffer
      - .offset:         56
        .size:           4
        .value_kind:     by_value
      - .address_space:  global
        .offset:         64
        .size:           8
        .value_kind:     global_buffer
      - .offset:         72
        .size:           4
        .value_kind:     by_value
      - .offset:         76
        .size:           4
        .value_kind:     by_value
      - .offset:         80
        .size:           4
        .value_kind:     by_value
      - .address_space:  global
        .offset:         88
        .size:           8
        .value_kind:     global_buffer
      - .address_space:  global
        .offset:         96
        .size:           8
        .value_kind:     global_buffer
      - .offset:         104
        .size:           4
        .value_kind:     by_value
      - .offset:         108
        .size:           4
        .value_kind:     by_value
      - .offset:         112
        .size:           4
        .value_kind:     by_value
      - .offset:         116
        .size:           4
        .value_kind:     by_value
      - .offset:         120
        .size:           4
        .value_kind:     by_value
      - .offset:         128
        .size:           4
        .value_kind:     hidden_block_count_x
      - .offset:         132
        .size:           4
        .value_kind:     hidden_block_count_y
      - .offset:         136
        .size:           4
        .value_kind:     hidden_block_count_z
      - .offset:         140
        .size:           2
        .value_kind:     hidden_group_size_x
      - .offset:         142
        .size:           2
        .value_kind:     hidden_group_size_y
      - .offset:         144
        .size:           2
        .value_kind:     hidden_group_size_z
      - .offset:         146
        .size:           2
        .value_kind:     hidden_remainder_x
      - .offset:         148
        .size:           2
        .value_kind:     hidden_remainder_y
      - .offset:         150
        .size:           2
        .value_kind:     hidden_remainder_z
      - .offset:         168
        .size:           8
        .value_kind:     hidden_global_offset_x
      - .offset:         176
        .size:           8
        .value_kind:     hidden_global_offset_y
      - .offset:         184
        .size:           8
        .value_kind:     hidden_global_offset_z
      - .offset:         192
        .size:           2
        .value_kind:     hidden_grid_dims
      - .offset:         248
        .size:           4
        .value_kind:     hidden_dynamic_lds_size
    .group_segment_fixed_size: 1056
    .kernarg_segment_align: 8
    .kernarg_segment_size: 384
    .language:       OpenCL C
    .language_version:
      - 2
      - 0
    .max_flat_workgroup_size: 1024
    .name:           _ZN4vllm25paged_attention_v1_kernelIfhLi256ELi32ELi128ELNS_18Fp8KVCacheDataTypeE1ELb1EEEvPT_PKS2_PKT0_S8_ifPKiSA_iPKfiiiSC_SC_iiiii
    .private_segment_fixed_size: 3252
    .sgpr_count:     41
    .sgpr_spill_count: 0
    .symbol:         _ZN4vllm25paged_attention_v1_kernelIfhLi256ELi32ELi128ELNS_18Fp8KVCacheDataTypeE1ELb1EEEvPT_PKS2_PKT0_S8_ifPKiSA_iPKfiiiSC_SC_iiiii.kd
    .uniform_work_group_size: 1
    .uses_dynamic_stack: false
    .vgpr_count:     128
    .vgpr_spill_count: 0
    .wavefront_size: 32
  - .args:
      - .actual_access:  write_only
        .address_space:  global
        .offset:         0
        .size:           8
        .value_kind:     global_buffer
      - .actual_access:  read_only
        .address_space:  global
        .offset:         8
        .size:           8
        .value_kind:     global_buffer
      - .actual_access:  read_only
        .address_space:  global
        .offset:         16
        .size:           8
        .value_kind:     global_buffer
      - .actual_access:  read_only
        .address_space:  global
        .offset:         24
        .size:           8
        .value_kind:     global_buffer
      - .offset:         32
        .size:           4
        .value_kind:     by_value
      - .offset:         36
        .size:           4
        .value_kind:     by_value
      - .actual_access:  read_only
        .address_space:  global
        .offset:         40
        .size:           8
        .value_kind:     global_buffer
      - .actual_access:  read_only
        .address_space:  global
        .offset:         48
        .size:           8
        .value_kind:     global_buffer
      - .offset:         56
        .size:           4
        .value_kind:     by_value
      - .actual_access:  read_only
        .address_space:  global
        .offset:         64
        .size:           8
        .value_kind:     global_buffer
      - .offset:         72
        .size:           4
        .value_kind:     by_value
      - .offset:         76
        .size:           4
        .value_kind:     by_value
      - .offset:         80
        .size:           4
        .value_kind:     by_value
      - .address_space:  global
        .offset:         88
        .size:           8
        .value_kind:     global_buffer
      - .address_space:  global
        .offset:         96
        .size:           8
        .value_kind:     global_buffer
      - .offset:         104
        .size:           4
        .value_kind:     by_value
      - .offset:         108
        .size:           4
        .value_kind:     by_value
      - .offset:         112
        .size:           4
        .value_kind:     by_value
      - .offset:         116
        .size:           4
        .value_kind:     by_value
      - .offset:         120
        .size:           4
        .value_kind:     by_value
      - .offset:         128
        .size:           4
        .value_kind:     hidden_block_count_x
      - .offset:         132
        .size:           4
        .value_kind:     hidden_block_count_y
      - .offset:         136
        .size:           4
        .value_kind:     hidden_block_count_z
      - .offset:         140
        .size:           2
        .value_kind:     hidden_group_size_x
      - .offset:         142
        .size:           2
        .value_kind:     hidden_group_size_y
      - .offset:         144
        .size:           2
        .value_kind:     hidden_group_size_z
      - .offset:         146
        .size:           2
        .value_kind:     hidden_remainder_x
      - .offset:         148
        .size:           2
        .value_kind:     hidden_remainder_y
      - .offset:         150
        .size:           2
        .value_kind:     hidden_remainder_z
      - .offset:         168
        .size:           8
        .value_kind:     hidden_global_offset_x
      - .offset:         176
        .size:           8
        .value_kind:     hidden_global_offset_y
      - .offset:         184
        .size:           8
        .value_kind:     hidden_global_offset_z
      - .offset:         192
        .size:           2
        .value_kind:     hidden_grid_dims
      - .offset:         248
        .size:           4
        .value_kind:     hidden_dynamic_lds_size
    .group_segment_fixed_size: 160
    .kernarg_segment_align: 8
    .kernarg_segment_size: 384
    .language:       OpenCL C
    .language_version:
      - 2
      - 0
    .max_flat_workgroup_size: 1024
    .name:           _ZN4vllm25paged_attention_v1_kernelIfhLi32ELi32ELi128ELNS_18Fp8KVCacheDataTypeE1ELb0EEEvPT_PKS2_PKT0_S8_ifPKiSA_iPKfiiiSC_SC_iiiii
    .private_segment_fixed_size: 0
    .sgpr_count:     33
    .sgpr_spill_count: 0
    .symbol:         _ZN4vllm25paged_attention_v1_kernelIfhLi32ELi32ELi128ELNS_18Fp8KVCacheDataTypeE1ELb0EEEvPT_PKS2_PKT0_S8_ifPKiSA_iPKfiiiSC_SC_iiiii.kd
    .uniform_work_group_size: 1
    .uses_dynamic_stack: false
    .vgpr_count:     116
    .vgpr_spill_count: 0
    .wavefront_size: 32
  - .args:
      - .actual_access:  write_only
        .address_space:  global
        .offset:         0
        .size:           8
        .value_kind:     global_buffer
      - .actual_access:  read_only
        .address_space:  global
        .offset:         8
        .size:           8
        .value_kind:     global_buffer
      - .actual_access:  read_only
        .address_space:  global
        .offset:         16
        .size:           8
        .value_kind:     global_buffer
      - .actual_access:  read_only
        .address_space:  global
        .offset:         24
        .size:           8
        .value_kind:     global_buffer
      - .offset:         32
        .size:           4
        .value_kind:     by_value
      - .offset:         36
        .size:           4
        .value_kind:     by_value
      - .actual_access:  read_only
        .address_space:  global
        .offset:         40
        .size:           8
        .value_kind:     global_buffer
      - .actual_access:  read_only
        .address_space:  global
        .offset:         48
        .size:           8
        .value_kind:     global_buffer
      - .offset:         56
        .size:           4
        .value_kind:     by_value
      - .actual_access:  read_only
        .address_space:  global
        .offset:         64
        .size:           8
        .value_kind:     global_buffer
      - .offset:         72
        .size:           4
        .value_kind:     by_value
      - .offset:         76
        .size:           4
        .value_kind:     by_value
      - .offset:         80
        .size:           4
        .value_kind:     by_value
      - .address_space:  global
        .offset:         88
        .size:           8
        .value_kind:     global_buffer
      - .address_space:  global
        .offset:         96
        .size:           8
        .value_kind:     global_buffer
      - .offset:         104
        .size:           4
        .value_kind:     by_value
      - .offset:         108
        .size:           4
        .value_kind:     by_value
      - .offset:         112
        .size:           4
        .value_kind:     by_value
      - .offset:         116
        .size:           4
        .value_kind:     by_value
      - .offset:         120
        .size:           4
        .value_kind:     by_value
      - .offset:         128
        .size:           4
        .value_kind:     hidden_block_count_x
      - .offset:         132
        .size:           4
        .value_kind:     hidden_block_count_y
      - .offset:         136
        .size:           4
        .value_kind:     hidden_block_count_z
      - .offset:         140
        .size:           2
        .value_kind:     hidden_group_size_x
      - .offset:         142
        .size:           2
        .value_kind:     hidden_group_size_y
      - .offset:         144
        .size:           2
        .value_kind:     hidden_group_size_z
      - .offset:         146
        .size:           2
        .value_kind:     hidden_remainder_x
      - .offset:         148
        .size:           2
        .value_kind:     hidden_remainder_y
      - .offset:         150
        .size:           2
        .value_kind:     hidden_remainder_z
      - .offset:         168
        .size:           8
        .value_kind:     hidden_global_offset_x
      - .offset:         176
        .size:           8
        .value_kind:     hidden_global_offset_y
      - .offset:         184
        .size:           8
        .value_kind:     hidden_global_offset_z
      - .offset:         192
        .size:           2
        .value_kind:     hidden_grid_dims
      - .offset:         248
        .size:           4
        .value_kind:     hidden_dynamic_lds_size
    .group_segment_fixed_size: 288
    .kernarg_segment_align: 8
    .kernarg_segment_size: 384
    .language:       OpenCL C
    .language_version:
      - 2
      - 0
    .max_flat_workgroup_size: 1024
    .name:           _ZN4vllm25paged_attention_v1_kernelIfhLi64ELi32ELi128ELNS_18Fp8KVCacheDataTypeE1ELb0EEEvPT_PKS2_PKT0_S8_ifPKiSA_iPKfiiiSC_SC_iiiii
    .private_segment_fixed_size: 336
    .sgpr_count:     33
    .sgpr_spill_count: 0
    .symbol:         _ZN4vllm25paged_attention_v1_kernelIfhLi64ELi32ELi128ELNS_18Fp8KVCacheDataTypeE1ELb0EEEvPT_PKS2_PKT0_S8_ifPKiSA_iPKfiiiSC_SC_iiiii.kd
    .uniform_work_group_size: 1
    .uses_dynamic_stack: false
    .vgpr_count:     128
    .vgpr_spill_count: 119
    .wavefront_size: 32
  - .args:
      - .address_space:  global
        .offset:         0
        .size:           8
        .value_kind:     global_buffer
      - .address_space:  global
        .offset:         8
        .size:           8
        .value_kind:     global_buffer
      - .address_space:  global
        .offset:         16
        .size:           8
        .value_kind:     global_buffer
      - .address_space:  global
        .offset:         24
        .size:           8
        .value_kind:     global_buffer
      - .offset:         32
        .size:           4
        .value_kind:     by_value
      - .offset:         36
        .size:           4
        .value_kind:     by_value
      - .address_space:  global
        .offset:         40
        .size:           8
        .value_kind:     global_buffer
      - .address_space:  global
        .offset:         48
        .size:           8
        .value_kind:     global_buffer
      - .offset:         56
        .size:           4
        .value_kind:     by_value
      - .address_space:  global
        .offset:         64
        .size:           8
        .value_kind:     global_buffer
      - .offset:         72
        .size:           4
        .value_kind:     by_value
      - .offset:         76
        .size:           4
        .value_kind:     by_value
      - .offset:         80
        .size:           4
        .value_kind:     by_value
      - .address_space:  global
        .offset:         88
        .size:           8
        .value_kind:     global_buffer
      - .address_space:  global
        .offset:         96
        .size:           8
        .value_kind:     global_buffer
      - .offset:         104
        .size:           4
        .value_kind:     by_value
      - .offset:         108
        .size:           4
        .value_kind:     by_value
      - .offset:         112
        .size:           4
        .value_kind:     by_value
      - .offset:         116
        .size:           4
        .value_kind:     by_value
      - .offset:         120
        .size:           4
        .value_kind:     by_value
      - .offset:         128
        .size:           4
        .value_kind:     hidden_block_count_x
      - .offset:         132
        .size:           4
        .value_kind:     hidden_block_count_y
      - .offset:         136
        .size:           4
        .value_kind:     hidden_block_count_z
      - .offset:         140
        .size:           2
        .value_kind:     hidden_group_size_x
      - .offset:         142
        .size:           2
        .value_kind:     hidden_group_size_y
      - .offset:         144
        .size:           2
        .value_kind:     hidden_group_size_z
      - .offset:         146
        .size:           2
        .value_kind:     hidden_remainder_x
      - .offset:         148
        .size:           2
        .value_kind:     hidden_remainder_y
      - .offset:         150
        .size:           2
        .value_kind:     hidden_remainder_z
      - .offset:         168
        .size:           8
        .value_kind:     hidden_global_offset_x
      - .offset:         176
        .size:           8
        .value_kind:     hidden_global_offset_y
      - .offset:         184
        .size:           8
        .value_kind:     hidden_global_offset_z
      - .offset:         192
        .size:           2
        .value_kind:     hidden_grid_dims
      - .offset:         248
        .size:           4
        .value_kind:     hidden_dynamic_lds_size
    .group_segment_fixed_size: 352
    .kernarg_segment_align: 8
    .kernarg_segment_size: 384
    .language:       OpenCL C
    .language_version:
      - 2
      - 0
    .max_flat_workgroup_size: 1024
    .name:           _ZN4vllm25paged_attention_v1_kernelIfhLi80ELi32ELi128ELNS_18Fp8KVCacheDataTypeE1ELb0EEEvPT_PKS2_PKT0_S8_ifPKiSA_iPKfiiiSC_SC_iiiii
    .private_segment_fixed_size: 804
    .sgpr_count:     35
    .sgpr_spill_count: 0
    .symbol:         _ZN4vllm25paged_attention_v1_kernelIfhLi80ELi32ELi128ELNS_18Fp8KVCacheDataTypeE1ELb0EEEvPT_PKS2_PKT0_S8_ifPKiSA_iPKfiiiSC_SC_iiiii.kd
    .uniform_work_group_size: 1
    .uses_dynamic_stack: false
    .vgpr_count:     128
    .vgpr_spill_count: 0
    .wavefront_size: 32
  - .args:
      - .address_space:  global
        .offset:         0
        .size:           8
        .value_kind:     global_buffer
      - .address_space:  global
        .offset:         8
        .size:           8
        .value_kind:     global_buffer
      - .address_space:  global
        .offset:         16
        .size:           8
        .value_kind:     global_buffer
      - .address_space:  global
        .offset:         24
        .size:           8
        .value_kind:     global_buffer
      - .offset:         32
        .size:           4
        .value_kind:     by_value
      - .offset:         36
        .size:           4
        .value_kind:     by_value
      - .address_space:  global
        .offset:         40
        .size:           8
        .value_kind:     global_buffer
      - .address_space:  global
        .offset:         48
        .size:           8
        .value_kind:     global_buffer
      - .offset:         56
        .size:           4
        .value_kind:     by_value
      - .address_space:  global
        .offset:         64
        .size:           8
        .value_kind:     global_buffer
      - .offset:         72
        .size:           4
        .value_kind:     by_value
      - .offset:         76
        .size:           4
        .value_kind:     by_value
      - .offset:         80
        .size:           4
        .value_kind:     by_value
      - .address_space:  global
        .offset:         88
        .size:           8
        .value_kind:     global_buffer
      - .address_space:  global
        .offset:         96
        .size:           8
        .value_kind:     global_buffer
      - .offset:         104
        .size:           4
        .value_kind:     by_value
      - .offset:         108
        .size:           4
        .value_kind:     by_value
      - .offset:         112
        .size:           4
        .value_kind:     by_value
      - .offset:         116
        .size:           4
        .value_kind:     by_value
      - .offset:         120
        .size:           4
        .value_kind:     by_value
      - .offset:         128
        .size:           4
        .value_kind:     hidden_block_count_x
      - .offset:         132
        .size:           4
        .value_kind:     hidden_block_count_y
      - .offset:         136
        .size:           4
        .value_kind:     hidden_block_count_z
      - .offset:         140
        .size:           2
        .value_kind:     hidden_group_size_x
      - .offset:         142
        .size:           2
        .value_kind:     hidden_group_size_y
      - .offset:         144
        .size:           2
        .value_kind:     hidden_group_size_z
      - .offset:         146
        .size:           2
        .value_kind:     hidden_remainder_x
      - .offset:         148
        .size:           2
        .value_kind:     hidden_remainder_y
      - .offset:         150
        .size:           2
        .value_kind:     hidden_remainder_z
      - .offset:         168
        .size:           8
        .value_kind:     hidden_global_offset_x
      - .offset:         176
        .size:           8
        .value_kind:     hidden_global_offset_y
      - .offset:         184
        .size:           8
        .value_kind:     hidden_global_offset_z
      - .offset:         192
        .size:           2
        .value_kind:     hidden_grid_dims
      - .offset:         248
        .size:           4
        .value_kind:     hidden_dynamic_lds_size
    .group_segment_fixed_size: 416
    .kernarg_segment_align: 8
    .kernarg_segment_size: 384
    .language:       OpenCL C
    .language_version:
      - 2
      - 0
    .max_flat_workgroup_size: 1024
    .name:           _ZN4vllm25paged_attention_v1_kernelIfhLi96ELi32ELi128ELNS_18Fp8KVCacheDataTypeE1ELb0EEEvPT_PKS2_PKT0_S8_ifPKiSA_iPKfiiiSC_SC_iiiii
    .private_segment_fixed_size: 1012
    .sgpr_count:     35
    .sgpr_spill_count: 0
    .symbol:         _ZN4vllm25paged_attention_v1_kernelIfhLi96ELi32ELi128ELNS_18Fp8KVCacheDataTypeE1ELb0EEEvPT_PKS2_PKT0_S8_ifPKiSA_iPKfiiiSC_SC_iiiii.kd
    .uniform_work_group_size: 1
    .uses_dynamic_stack: false
    .vgpr_count:     128
    .vgpr_spill_count: 0
    .wavefront_size: 32
  - .args:
      - .address_space:  global
        .offset:         0
        .size:           8
        .value_kind:     global_buffer
      - .address_space:  global
        .offset:         8
        .size:           8
        .value_kind:     global_buffer
      - .address_space:  global
        .offset:         16
        .size:           8
        .value_kind:     global_buffer
      - .address_space:  global
        .offset:         24
        .size:           8
        .value_kind:     global_buffer
      - .offset:         32
        .size:           4
        .value_kind:     by_value
      - .offset:         36
        .size:           4
        .value_kind:     by_value
      - .address_space:  global
        .offset:         40
        .size:           8
        .value_kind:     global_buffer
      - .address_space:  global
        .offset:         48
        .size:           8
        .value_kind:     global_buffer
      - .offset:         56
        .size:           4
        .value_kind:     by_value
      - .address_space:  global
        .offset:         64
        .size:           8
        .value_kind:     global_buffer
      - .offset:         72
        .size:           4
        .value_kind:     by_value
      - .offset:         76
        .size:           4
        .value_kind:     by_value
      - .offset:         80
        .size:           4
        .value_kind:     by_value
      - .address_space:  global
        .offset:         88
        .size:           8
        .value_kind:     global_buffer
      - .address_space:  global
        .offset:         96
        .size:           8
        .value_kind:     global_buffer
      - .offset:         104
        .size:           4
        .value_kind:     by_value
      - .offset:         108
        .size:           4
        .value_kind:     by_value
      - .offset:         112
        .size:           4
        .value_kind:     by_value
      - .offset:         116
        .size:           4
        .value_kind:     by_value
      - .offset:         120
        .size:           4
        .value_kind:     by_value
      - .offset:         128
        .size:           4
        .value_kind:     hidden_block_count_x
      - .offset:         132
        .size:           4
        .value_kind:     hidden_block_count_y
      - .offset:         136
        .size:           4
        .value_kind:     hidden_block_count_z
      - .offset:         140
        .size:           2
        .value_kind:     hidden_group_size_x
      - .offset:         142
        .size:           2
        .value_kind:     hidden_group_size_y
      - .offset:         144
        .size:           2
        .value_kind:     hidden_group_size_z
      - .offset:         146
        .size:           2
        .value_kind:     hidden_remainder_x
      - .offset:         148
        .size:           2
        .value_kind:     hidden_remainder_y
      - .offset:         150
        .size:           2
        .value_kind:     hidden_remainder_z
      - .offset:         168
        .size:           8
        .value_kind:     hidden_global_offset_x
      - .offset:         176
        .size:           8
        .value_kind:     hidden_global_offset_y
      - .offset:         184
        .size:           8
        .value_kind:     hidden_global_offset_z
      - .offset:         192
        .size:           2
        .value_kind:     hidden_grid_dims
      - .offset:         248
        .size:           4
        .value_kind:     hidden_dynamic_lds_size
    .group_segment_fixed_size: 480
    .kernarg_segment_align: 8
    .kernarg_segment_size: 384
    .language:       OpenCL C
    .language_version:
      - 2
      - 0
    .max_flat_workgroup_size: 1024
    .name:           _ZN4vllm25paged_attention_v1_kernelIfhLi112ELi32ELi128ELNS_18Fp8KVCacheDataTypeE1ELb0EEEvPT_PKS2_PKT0_S8_ifPKiSA_iPKfiiiSC_SC_iiiii
    .private_segment_fixed_size: 1280
    .sgpr_count:     35
    .sgpr_spill_count: 0
    .symbol:         _ZN4vllm25paged_attention_v1_kernelIfhLi112ELi32ELi128ELNS_18Fp8KVCacheDataTypeE1ELb0EEEvPT_PKS2_PKT0_S8_ifPKiSA_iPKfiiiSC_SC_iiiii.kd
    .uniform_work_group_size: 1
    .uses_dynamic_stack: false
    .vgpr_count:     128
    .vgpr_spill_count: 0
    .wavefront_size: 32
  - .args:
      - .address_space:  global
        .offset:         0
        .size:           8
        .value_kind:     global_buffer
      - .address_space:  global
        .offset:         8
        .size:           8
        .value_kind:     global_buffer
      - .address_space:  global
        .offset:         16
        .size:           8
        .value_kind:     global_buffer
      - .address_space:  global
        .offset:         24
        .size:           8
        .value_kind:     global_buffer
      - .offset:         32
        .size:           4
        .value_kind:     by_value
      - .offset:         36
        .size:           4
        .value_kind:     by_value
      - .address_space:  global
        .offset:         40
        .size:           8
        .value_kind:     global_buffer
      - .address_space:  global
        .offset:         48
        .size:           8
        .value_kind:     global_buffer
      - .offset:         56
        .size:           4
        .value_kind:     by_value
      - .address_space:  global
        .offset:         64
        .size:           8
        .value_kind:     global_buffer
      - .offset:         72
        .size:           4
        .value_kind:     by_value
      - .offset:         76
        .size:           4
        .value_kind:     by_value
      - .offset:         80
        .size:           4
        .value_kind:     by_value
      - .address_space:  global
        .offset:         88
        .size:           8
        .value_kind:     global_buffer
      - .address_space:  global
        .offset:         96
        .size:           8
        .value_kind:     global_buffer
      - .offset:         104
        .size:           4
        .value_kind:     by_value
      - .offset:         108
        .size:           4
        .value_kind:     by_value
      - .offset:         112
        .size:           4
        .value_kind:     by_value
      - .offset:         116
        .size:           4
        .value_kind:     by_value
      - .offset:         120
        .size:           4
        .value_kind:     by_value
      - .offset:         128
        .size:           4
        .value_kind:     hidden_block_count_x
      - .offset:         132
        .size:           4
        .value_kind:     hidden_block_count_y
      - .offset:         136
        .size:           4
        .value_kind:     hidden_block_count_z
      - .offset:         140
        .size:           2
        .value_kind:     hidden_group_size_x
      - .offset:         142
        .size:           2
        .value_kind:     hidden_group_size_y
      - .offset:         144
        .size:           2
        .value_kind:     hidden_group_size_z
      - .offset:         146
        .size:           2
        .value_kind:     hidden_remainder_x
      - .offset:         148
        .size:           2
        .value_kind:     hidden_remainder_y
      - .offset:         150
        .size:           2
        .value_kind:     hidden_remainder_z
      - .offset:         168
        .size:           8
        .value_kind:     hidden_global_offset_x
      - .offset:         176
        .size:           8
        .value_kind:     hidden_global_offset_y
      - .offset:         184
        .size:           8
        .value_kind:     hidden_global_offset_z
      - .offset:         192
        .size:           2
        .value_kind:     hidden_grid_dims
      - .offset:         248
        .size:           4
        .value_kind:     hidden_dynamic_lds_size
    .group_segment_fixed_size: 512
    .kernarg_segment_align: 8
    .kernarg_segment_size: 384
    .language:       OpenCL C
    .language_version:
      - 2
      - 0
    .max_flat_workgroup_size: 1024
    .name:           _ZN4vllm25paged_attention_v1_kernelIfhLi120ELi32ELi128ELNS_18Fp8KVCacheDataTypeE1ELb0EEEvPT_PKS2_PKT0_S8_ifPKiSA_iPKfiiiSC_SC_iiiii
    .private_segment_fixed_size: 1412
    .sgpr_count:     35
    .sgpr_spill_count: 0
    .symbol:         _ZN4vllm25paged_attention_v1_kernelIfhLi120ELi32ELi128ELNS_18Fp8KVCacheDataTypeE1ELb0EEEvPT_PKS2_PKT0_S8_ifPKiSA_iPKfiiiSC_SC_iiiii.kd
    .uniform_work_group_size: 1
    .uses_dynamic_stack: false
    .vgpr_count:     128
    .vgpr_spill_count: 0
    .wavefront_size: 32
  - .args:
      - .address_space:  global
        .offset:         0
        .size:           8
        .value_kind:     global_buffer
      - .address_space:  global
        .offset:         8
        .size:           8
        .value_kind:     global_buffer
      - .address_space:  global
        .offset:         16
        .size:           8
        .value_kind:     global_buffer
      - .address_space:  global
        .offset:         24
        .size:           8
        .value_kind:     global_buffer
      - .offset:         32
        .size:           4
        .value_kind:     by_value
      - .offset:         36
        .size:           4
        .value_kind:     by_value
      - .address_space:  global
        .offset:         40
        .size:           8
        .value_kind:     global_buffer
      - .address_space:  global
        .offset:         48
        .size:           8
        .value_kind:     global_buffer
      - .offset:         56
        .size:           4
        .value_kind:     by_value
      - .address_space:  global
        .offset:         64
        .size:           8
        .value_kind:     global_buffer
      - .offset:         72
        .size:           4
        .value_kind:     by_value
      - .offset:         76
        .size:           4
        .value_kind:     by_value
      - .offset:         80
        .size:           4
        .value_kind:     by_value
      - .address_space:  global
        .offset:         88
        .size:           8
        .value_kind:     global_buffer
      - .address_space:  global
        .offset:         96
        .size:           8
        .value_kind:     global_buffer
      - .offset:         104
        .size:           4
        .value_kind:     by_value
      - .offset:         108
        .size:           4
        .value_kind:     by_value
      - .offset:         112
        .size:           4
        .value_kind:     by_value
      - .offset:         116
        .size:           4
        .value_kind:     by_value
      - .offset:         120
        .size:           4
        .value_kind:     by_value
      - .offset:         128
        .size:           4
        .value_kind:     hidden_block_count_x
      - .offset:         132
        .size:           4
        .value_kind:     hidden_block_count_y
      - .offset:         136
        .size:           4
        .value_kind:     hidden_block_count_z
      - .offset:         140
        .size:           2
        .value_kind:     hidden_group_size_x
      - .offset:         142
        .size:           2
        .value_kind:     hidden_group_size_y
      - .offset:         144
        .size:           2
        .value_kind:     hidden_group_size_z
      - .offset:         146
        .size:           2
        .value_kind:     hidden_remainder_x
      - .offset:         148
        .size:           2
        .value_kind:     hidden_remainder_y
      - .offset:         150
        .size:           2
        .value_kind:     hidden_remainder_z
      - .offset:         168
        .size:           8
        .value_kind:     hidden_global_offset_x
      - .offset:         176
        .size:           8
        .value_kind:     hidden_global_offset_y
      - .offset:         184
        .size:           8
        .value_kind:     hidden_global_offset_z
      - .offset:         192
        .size:           2
        .value_kind:     hidden_grid_dims
      - .offset:         248
        .size:           4
        .value_kind:     hidden_dynamic_lds_size
    .group_segment_fixed_size: 544
    .kernarg_segment_align: 8
    .kernarg_segment_size: 384
    .language:       OpenCL C
    .language_version:
      - 2
      - 0
    .max_flat_workgroup_size: 1024
    .name:           _ZN4vllm25paged_attention_v1_kernelIfhLi128ELi32ELi128ELNS_18Fp8KVCacheDataTypeE1ELb0EEEvPT_PKS2_PKT0_S8_ifPKiSA_iPKfiiiSC_SC_iiiii
    .private_segment_fixed_size: 1560
    .sgpr_count:     35
    .sgpr_spill_count: 0
    .symbol:         _ZN4vllm25paged_attention_v1_kernelIfhLi128ELi32ELi128ELNS_18Fp8KVCacheDataTypeE1ELb0EEEvPT_PKS2_PKT0_S8_ifPKiSA_iPKfiiiSC_SC_iiiii.kd
    .uniform_work_group_size: 1
    .uses_dynamic_stack: false
    .vgpr_count:     128
    .vgpr_spill_count: 0
    .wavefront_size: 32
  - .args:
      - .address_space:  global
        .offset:         0
        .size:           8
        .value_kind:     global_buffer
      - .address_space:  global
        .offset:         8
        .size:           8
        .value_kind:     global_buffer
      - .address_space:  global
        .offset:         16
        .size:           8
        .value_kind:     global_buffer
      - .address_space:  global
        .offset:         24
        .size:           8
        .value_kind:     global_buffer
      - .offset:         32
        .size:           4
        .value_kind:     by_value
      - .offset:         36
        .size:           4
        .value_kind:     by_value
      - .address_space:  global
        .offset:         40
        .size:           8
        .value_kind:     global_buffer
      - .address_space:  global
        .offset:         48
        .size:           8
        .value_kind:     global_buffer
      - .offset:         56
        .size:           4
        .value_kind:     by_value
      - .address_space:  global
        .offset:         64
        .size:           8
        .value_kind:     global_buffer
      - .offset:         72
        .size:           4
        .value_kind:     by_value
      - .offset:         76
        .size:           4
        .value_kind:     by_value
      - .offset:         80
        .size:           4
        .value_kind:     by_value
      - .address_space:  global
        .offset:         88
        .size:           8
        .value_kind:     global_buffer
      - .address_space:  global
        .offset:         96
        .size:           8
        .value_kind:     global_buffer
      - .offset:         104
        .size:           4
        .value_kind:     by_value
      - .offset:         108
        .size:           4
        .value_kind:     by_value
      - .offset:         112
        .size:           4
        .value_kind:     by_value
      - .offset:         116
        .size:           4
        .value_kind:     by_value
      - .offset:         120
        .size:           4
        .value_kind:     by_value
      - .offset:         128
        .size:           4
        .value_kind:     hidden_block_count_x
      - .offset:         132
        .size:           4
        .value_kind:     hidden_block_count_y
      - .offset:         136
        .size:           4
        .value_kind:     hidden_block_count_z
      - .offset:         140
        .size:           2
        .value_kind:     hidden_group_size_x
      - .offset:         142
        .size:           2
        .value_kind:     hidden_group_size_y
      - .offset:         144
        .size:           2
        .value_kind:     hidden_group_size_z
      - .offset:         146
        .size:           2
        .value_kind:     hidden_remainder_x
      - .offset:         148
        .size:           2
        .value_kind:     hidden_remainder_y
      - .offset:         150
        .size:           2
        .value_kind:     hidden_remainder_z
      - .offset:         168
        .size:           8
        .value_kind:     hidden_global_offset_x
      - .offset:         176
        .size:           8
        .value_kind:     hidden_global_offset_y
      - .offset:         184
        .size:           8
        .value_kind:     hidden_global_offset_z
      - .offset:         192
        .size:           2
        .value_kind:     hidden_grid_dims
      - .offset:         248
        .size:           4
        .value_kind:     hidden_dynamic_lds_size
    .group_segment_fixed_size: 800
    .kernarg_segment_align: 8
    .kernarg_segment_size: 384
    .language:       OpenCL C
    .language_version:
      - 2
      - 0
    .max_flat_workgroup_size: 1024
    .name:           _ZN4vllm25paged_attention_v1_kernelIfhLi192ELi32ELi128ELNS_18Fp8KVCacheDataTypeE1ELb0EEEvPT_PKS2_PKT0_S8_ifPKiSA_iPKfiiiSC_SC_iiiii
    .private_segment_fixed_size: 2392
    .sgpr_count:     35
    .sgpr_spill_count: 0
    .symbol:         _ZN4vllm25paged_attention_v1_kernelIfhLi192ELi32ELi128ELNS_18Fp8KVCacheDataTypeE1ELb0EEEvPT_PKS2_PKT0_S8_ifPKiSA_iPKfiiiSC_SC_iiiii.kd
    .uniform_work_group_size: 1
    .uses_dynamic_stack: false
    .vgpr_count:     128
    .vgpr_spill_count: 0
    .wavefront_size: 32
  - .args:
      - .address_space:  global
        .offset:         0
        .size:           8
        .value_kind:     global_buffer
      - .address_space:  global
        .offset:         8
        .size:           8
        .value_kind:     global_buffer
      - .address_space:  global
        .offset:         16
        .size:           8
        .value_kind:     global_buffer
      - .address_space:  global
        .offset:         24
        .size:           8
        .value_kind:     global_buffer
      - .offset:         32
        .size:           4
        .value_kind:     by_value
      - .offset:         36
        .size:           4
        .value_kind:     by_value
      - .address_space:  global
        .offset:         40
        .size:           8
        .value_kind:     global_buffer
      - .address_space:  global
        .offset:         48
        .size:           8
        .value_kind:     global_buffer
      - .offset:         56
        .size:           4
        .value_kind:     by_value
      - .address_space:  global
        .offset:         64
        .size:           8
        .value_kind:     global_buffer
      - .offset:         72
        .size:           4
        .value_kind:     by_value
      - .offset:         76
        .size:           4
        .value_kind:     by_value
      - .offset:         80
        .size:           4
        .value_kind:     by_value
      - .address_space:  global
        .offset:         88
        .size:           8
        .value_kind:     global_buffer
      - .address_space:  global
        .offset:         96
        .size:           8
        .value_kind:     global_buffer
      - .offset:         104
        .size:           4
        .value_kind:     by_value
      - .offset:         108
        .size:           4
        .value_kind:     by_value
      - .offset:         112
        .size:           4
        .value_kind:     by_value
      - .offset:         116
        .size:           4
        .value_kind:     by_value
      - .offset:         120
        .size:           4
        .value_kind:     by_value
      - .offset:         128
        .size:           4
        .value_kind:     hidden_block_count_x
      - .offset:         132
        .size:           4
        .value_kind:     hidden_block_count_y
      - .offset:         136
        .size:           4
        .value_kind:     hidden_block_count_z
      - .offset:         140
        .size:           2
        .value_kind:     hidden_group_size_x
      - .offset:         142
        .size:           2
        .value_kind:     hidden_group_size_y
      - .offset:         144
        .size:           2
        .value_kind:     hidden_group_size_z
      - .offset:         146
        .size:           2
        .value_kind:     hidden_remainder_x
      - .offset:         148
        .size:           2
        .value_kind:     hidden_remainder_y
      - .offset:         150
        .size:           2
        .value_kind:     hidden_remainder_z
      - .offset:         168
        .size:           8
        .value_kind:     hidden_global_offset_x
      - .offset:         176
        .size:           8
        .value_kind:     hidden_global_offset_y
      - .offset:         184
        .size:           8
        .value_kind:     hidden_global_offset_z
      - .offset:         192
        .size:           2
        .value_kind:     hidden_grid_dims
      - .offset:         248
        .size:           4
        .value_kind:     hidden_dynamic_lds_size
    .group_segment_fixed_size: 1056
    .kernarg_segment_align: 8
    .kernarg_segment_size: 384
    .language:       OpenCL C
    .language_version:
      - 2
      - 0
    .max_flat_workgroup_size: 1024
    .name:           _ZN4vllm25paged_attention_v1_kernelIfhLi256ELi32ELi128ELNS_18Fp8KVCacheDataTypeE1ELb0EEEvPT_PKS2_PKT0_S8_ifPKiSA_iPKfiiiSC_SC_iiiii
    .private_segment_fixed_size: 3180
    .sgpr_count:     35
    .sgpr_spill_count: 0
    .symbol:         _ZN4vllm25paged_attention_v1_kernelIfhLi256ELi32ELi128ELNS_18Fp8KVCacheDataTypeE1ELb0EEEvPT_PKS2_PKT0_S8_ifPKiSA_iPKfiiiSC_SC_iiiii.kd
    .uniform_work_group_size: 1
    .uses_dynamic_stack: false
    .vgpr_count:     128
    .vgpr_spill_count: 0
    .wavefront_size: 32
  - .args:
      - .actual_access:  write_only
        .address_space:  global
        .offset:         0
        .size:           8
        .value_kind:     global_buffer
      - .actual_access:  read_only
        .address_space:  global
        .offset:         8
        .size:           8
        .value_kind:     global_buffer
      - .actual_access:  read_only
        .address_space:  global
        .offset:         16
        .size:           8
        .value_kind:     global_buffer
      - .actual_access:  read_only
        .address_space:  global
        .offset:         24
        .size:           8
        .value_kind:     global_buffer
      - .offset:         32
        .size:           4
        .value_kind:     by_value
      - .offset:         36
        .size:           4
        .value_kind:     by_value
      - .actual_access:  read_only
        .address_space:  global
        .offset:         40
        .size:           8
        .value_kind:     global_buffer
      - .actual_access:  read_only
        .address_space:  global
        .offset:         48
        .size:           8
        .value_kind:     global_buffer
      - .offset:         56
        .size:           4
        .value_kind:     by_value
      - .actual_access:  read_only
        .address_space:  global
        .offset:         64
        .size:           8
        .value_kind:     global_buffer
      - .offset:         72
        .size:           4
        .value_kind:     by_value
      - .offset:         76
        .size:           4
        .value_kind:     by_value
      - .offset:         80
        .size:           4
        .value_kind:     by_value
      - .address_space:  global
        .offset:         88
        .size:           8
        .value_kind:     global_buffer
      - .address_space:  global
        .offset:         96
        .size:           8
        .value_kind:     global_buffer
      - .offset:         104
        .size:           4
        .value_kind:     by_value
      - .offset:         108
        .size:           4
        .value_kind:     by_value
      - .offset:         112
        .size:           4
        .value_kind:     by_value
      - .offset:         116
        .size:           4
        .value_kind:     by_value
      - .offset:         120
        .size:           4
        .value_kind:     by_value
      - .offset:         128
        .size:           4
        .value_kind:     hidden_block_count_x
      - .offset:         132
        .size:           4
        .value_kind:     hidden_block_count_y
      - .offset:         136
        .size:           4
        .value_kind:     hidden_block_count_z
      - .offset:         140
        .size:           2
        .value_kind:     hidden_group_size_x
      - .offset:         142
        .size:           2
        .value_kind:     hidden_group_size_y
      - .offset:         144
        .size:           2
        .value_kind:     hidden_group_size_z
      - .offset:         146
        .size:           2
        .value_kind:     hidden_remainder_x
      - .offset:         148
        .size:           2
        .value_kind:     hidden_remainder_y
      - .offset:         150
        .size:           2
        .value_kind:     hidden_remainder_z
      - .offset:         168
        .size:           8
        .value_kind:     hidden_global_offset_x
      - .offset:         176
        .size:           8
        .value_kind:     hidden_global_offset_y
      - .offset:         184
        .size:           8
        .value_kind:     hidden_global_offset_z
      - .offset:         192
        .size:           2
        .value_kind:     hidden_grid_dims
      - .offset:         248
        .size:           4
        .value_kind:     hidden_dynamic_lds_size
    .group_segment_fixed_size: 96
    .kernarg_segment_align: 8
    .kernarg_segment_size: 384
    .language:       OpenCL C
    .language_version:
      - 2
      - 0
    .max_flat_workgroup_size: 1024
    .name:           _ZN4vllm25paged_attention_v1_kernelIthLi32ELi8ELi128ELNS_18Fp8KVCacheDataTypeE1ELb1EEEvPT_PKS2_PKT0_S8_ifPKiSA_iPKfiiiSC_SC_iiiii
    .private_segment_fixed_size: 0
    .sgpr_count:     47
    .sgpr_spill_count: 0
    .symbol:         _ZN4vllm25paged_attention_v1_kernelIthLi32ELi8ELi128ELNS_18Fp8KVCacheDataTypeE1ELb1EEEvPT_PKS2_PKT0_S8_ifPKiSA_iPKfiiiSC_SC_iiiii.kd
    .uniform_work_group_size: 1
    .uses_dynamic_stack: false
    .vgpr_count:     36
    .vgpr_spill_count: 0
    .wavefront_size: 32
  - .args:
      - .actual_access:  write_only
        .address_space:  global
        .offset:         0
        .size:           8
        .value_kind:     global_buffer
      - .actual_access:  read_only
        .address_space:  global
        .offset:         8
        .size:           8
        .value_kind:     global_buffer
      - .actual_access:  read_only
        .address_space:  global
        .offset:         16
        .size:           8
        .value_kind:     global_buffer
      - .actual_access:  read_only
        .address_space:  global
        .offset:         24
        .size:           8
        .value_kind:     global_buffer
      - .offset:         32
        .size:           4
        .value_kind:     by_value
      - .offset:         36
        .size:           4
        .value_kind:     by_value
      - .actual_access:  read_only
        .address_space:  global
        .offset:         40
        .size:           8
        .value_kind:     global_buffer
      - .actual_access:  read_only
        .address_space:  global
        .offset:         48
        .size:           8
        .value_kind:     global_buffer
      - .offset:         56
        .size:           4
        .value_kind:     by_value
      - .actual_access:  read_only
        .address_space:  global
        .offset:         64
        .size:           8
        .value_kind:     global_buffer
      - .offset:         72
        .size:           4
        .value_kind:     by_value
      - .offset:         76
        .size:           4
        .value_kind:     by_value
      - .offset:         80
        .size:           4
        .value_kind:     by_value
      - .address_space:  global
        .offset:         88
        .size:           8
        .value_kind:     global_buffer
      - .address_space:  global
        .offset:         96
        .size:           8
        .value_kind:     global_buffer
      - .offset:         104
        .size:           4
        .value_kind:     by_value
      - .offset:         108
        .size:           4
        .value_kind:     by_value
      - .offset:         112
        .size:           4
        .value_kind:     by_value
      - .offset:         116
        .size:           4
        .value_kind:     by_value
      - .offset:         120
        .size:           4
        .value_kind:     by_value
      - .offset:         128
        .size:           4
        .value_kind:     hidden_block_count_x
      - .offset:         132
        .size:           4
        .value_kind:     hidden_block_count_y
      - .offset:         136
        .size:           4
        .value_kind:     hidden_block_count_z
      - .offset:         140
        .size:           2
        .value_kind:     hidden_group_size_x
      - .offset:         142
        .size:           2
        .value_kind:     hidden_group_size_y
      - .offset:         144
        .size:           2
        .value_kind:     hidden_group_size_z
      - .offset:         146
        .size:           2
        .value_kind:     hidden_remainder_x
      - .offset:         148
        .size:           2
        .value_kind:     hidden_remainder_y
      - .offset:         150
        .size:           2
        .value_kind:     hidden_remainder_z
      - .offset:         168
        .size:           8
        .value_kind:     hidden_global_offset_x
      - .offset:         176
        .size:           8
        .value_kind:     hidden_global_offset_y
      - .offset:         184
        .size:           8
        .value_kind:     hidden_global_offset_z
      - .offset:         192
        .size:           2
        .value_kind:     hidden_grid_dims
      - .offset:         248
        .size:           4
        .value_kind:     hidden_dynamic_lds_size
    .group_segment_fixed_size: 160
    .kernarg_segment_align: 8
    .kernarg_segment_size: 384
    .language:       OpenCL C
    .language_version:
      - 2
      - 0
    .max_flat_workgroup_size: 1024
    .name:           _ZN4vllm25paged_attention_v1_kernelIthLi64ELi8ELi128ELNS_18Fp8KVCacheDataTypeE1ELb1EEEvPT_PKS2_PKT0_S8_ifPKiSA_iPKfiiiSC_SC_iiiii
    .private_segment_fixed_size: 0
    .sgpr_count:     48
    .sgpr_spill_count: 0
    .symbol:         _ZN4vllm25paged_attention_v1_kernelIthLi64ELi8ELi128ELNS_18Fp8KVCacheDataTypeE1ELb1EEEvPT_PKS2_PKT0_S8_ifPKiSA_iPKfiiiSC_SC_iiiii.kd
    .uniform_work_group_size: 1
    .uses_dynamic_stack: false
    .vgpr_count:     50
    .vgpr_spill_count: 0
    .wavefront_size: 32
  - .args:
      - .actual_access:  write_only
        .address_space:  global
        .offset:         0
        .size:           8
        .value_kind:     global_buffer
      - .actual_access:  read_only
        .address_space:  global
        .offset:         8
        .size:           8
        .value_kind:     global_buffer
      - .actual_access:  read_only
        .address_space:  global
        .offset:         16
        .size:           8
        .value_kind:     global_buffer
      - .actual_access:  read_only
        .address_space:  global
        .offset:         24
        .size:           8
        .value_kind:     global_buffer
      - .offset:         32
        .size:           4
        .value_kind:     by_value
      - .offset:         36
        .size:           4
        .value_kind:     by_value
      - .actual_access:  read_only
        .address_space:  global
        .offset:         40
        .size:           8
        .value_kind:     global_buffer
      - .actual_access:  read_only
        .address_space:  global
        .offset:         48
        .size:           8
        .value_kind:     global_buffer
      - .offset:         56
        .size:           4
        .value_kind:     by_value
      - .actual_access:  read_only
        .address_space:  global
        .offset:         64
        .size:           8
        .value_kind:     global_buffer
      - .offset:         72
        .size:           4
        .value_kind:     by_value
      - .offset:         76
        .size:           4
        .value_kind:     by_value
      - .offset:         80
        .size:           4
        .value_kind:     by_value
      - .address_space:  global
        .offset:         88
        .size:           8
        .value_kind:     global_buffer
      - .address_space:  global
        .offset:         96
        .size:           8
        .value_kind:     global_buffer
      - .offset:         104
        .size:           4
        .value_kind:     by_value
      - .offset:         108
        .size:           4
        .value_kind:     by_value
      - .offset:         112
        .size:           4
        .value_kind:     by_value
      - .offset:         116
        .size:           4
        .value_kind:     by_value
      - .offset:         120
        .size:           4
        .value_kind:     by_value
      - .offset:         128
        .size:           4
        .value_kind:     hidden_block_count_x
      - .offset:         132
        .size:           4
        .value_kind:     hidden_block_count_y
      - .offset:         136
        .size:           4
        .value_kind:     hidden_block_count_z
      - .offset:         140
        .size:           2
        .value_kind:     hidden_group_size_x
      - .offset:         142
        .size:           2
        .value_kind:     hidden_group_size_y
      - .offset:         144
        .size:           2
        .value_kind:     hidden_group_size_z
      - .offset:         146
        .size:           2
        .value_kind:     hidden_remainder_x
      - .offset:         148
        .size:           2
        .value_kind:     hidden_remainder_y
      - .offset:         150
        .size:           2
        .value_kind:     hidden_remainder_z
      - .offset:         168
        .size:           8
        .value_kind:     hidden_global_offset_x
      - .offset:         176
        .size:           8
        .value_kind:     hidden_global_offset_y
      - .offset:         184
        .size:           8
        .value_kind:     hidden_global_offset_z
      - .offset:         192
        .size:           2
        .value_kind:     hidden_grid_dims
      - .offset:         248
        .size:           4
        .value_kind:     hidden_dynamic_lds_size
    .group_segment_fixed_size: 192
    .kernarg_segment_align: 8
    .kernarg_segment_size: 384
    .language:       OpenCL C
    .language_version:
      - 2
      - 0
    .max_flat_workgroup_size: 1024
    .name:           _ZN4vllm25paged_attention_v1_kernelIthLi80ELi8ELi128ELNS_18Fp8KVCacheDataTypeE1ELb1EEEvPT_PKS2_PKT0_S8_ifPKiSA_iPKfiiiSC_SC_iiiii
    .private_segment_fixed_size: 0
    .sgpr_count:     47
    .sgpr_spill_count: 0
    .symbol:         _ZN4vllm25paged_attention_v1_kernelIthLi80ELi8ELi128ELNS_18Fp8KVCacheDataTypeE1ELb1EEEvPT_PKS2_PKT0_S8_ifPKiSA_iPKfiiiSC_SC_iiiii.kd
    .uniform_work_group_size: 1
    .uses_dynamic_stack: false
    .vgpr_count:     58
    .vgpr_spill_count: 0
    .wavefront_size: 32
  - .args:
      - .actual_access:  write_only
        .address_space:  global
        .offset:         0
        .size:           8
        .value_kind:     global_buffer
      - .actual_access:  read_only
        .address_space:  global
        .offset:         8
        .size:           8
        .value_kind:     global_buffer
      - .actual_access:  read_only
        .address_space:  global
        .offset:         16
        .size:           8
        .value_kind:     global_buffer
      - .actual_access:  read_only
        .address_space:  global
        .offset:         24
        .size:           8
        .value_kind:     global_buffer
      - .offset:         32
        .size:           4
        .value_kind:     by_value
      - .offset:         36
        .size:           4
        .value_kind:     by_value
      - .actual_access:  read_only
        .address_space:  global
        .offset:         40
        .size:           8
        .value_kind:     global_buffer
      - .actual_access:  read_only
        .address_space:  global
        .offset:         48
        .size:           8
        .value_kind:     global_buffer
      - .offset:         56
        .size:           4
        .value_kind:     by_value
      - .actual_access:  read_only
        .address_space:  global
        .offset:         64
        .size:           8
        .value_kind:     global_buffer
      - .offset:         72
        .size:           4
        .value_kind:     by_value
      - .offset:         76
        .size:           4
        .value_kind:     by_value
      - .offset:         80
        .size:           4
        .value_kind:     by_value
      - .address_space:  global
        .offset:         88
        .size:           8
        .value_kind:     global_buffer
      - .address_space:  global
        .offset:         96
        .size:           8
        .value_kind:     global_buffer
      - .offset:         104
        .size:           4
        .value_kind:     by_value
      - .offset:         108
        .size:           4
        .value_kind:     by_value
      - .offset:         112
        .size:           4
        .value_kind:     by_value
      - .offset:         116
        .size:           4
        .value_kind:     by_value
      - .offset:         120
        .size:           4
        .value_kind:     by_value
      - .offset:         128
        .size:           4
        .value_kind:     hidden_block_count_x
      - .offset:         132
        .size:           4
        .value_kind:     hidden_block_count_y
      - .offset:         136
        .size:           4
        .value_kind:     hidden_block_count_z
      - .offset:         140
        .size:           2
        .value_kind:     hidden_group_size_x
      - .offset:         142
        .size:           2
        .value_kind:     hidden_group_size_y
      - .offset:         144
        .size:           2
        .value_kind:     hidden_group_size_z
      - .offset:         146
        .size:           2
        .value_kind:     hidden_remainder_x
      - .offset:         148
        .size:           2
        .value_kind:     hidden_remainder_y
      - .offset:         150
        .size:           2
        .value_kind:     hidden_remainder_z
      - .offset:         168
        .size:           8
        .value_kind:     hidden_global_offset_x
      - .offset:         176
        .size:           8
        .value_kind:     hidden_global_offset_y
      - .offset:         184
        .size:           8
        .value_kind:     hidden_global_offset_z
      - .offset:         192
        .size:           2
        .value_kind:     hidden_grid_dims
      - .offset:         248
        .size:           4
        .value_kind:     hidden_dynamic_lds_size
    .group_segment_fixed_size: 224
    .kernarg_segment_align: 8
    .kernarg_segment_size: 384
    .language:       OpenCL C
    .language_version:
      - 2
      - 0
    .max_flat_workgroup_size: 1024
    .name:           _ZN4vllm25paged_attention_v1_kernelIthLi96ELi8ELi128ELNS_18Fp8KVCacheDataTypeE1ELb1EEEvPT_PKS2_PKT0_S8_ifPKiSA_iPKfiiiSC_SC_iiiii
    .private_segment_fixed_size: 0
    .sgpr_count:     47
    .sgpr_spill_count: 0
    .symbol:         _ZN4vllm25paged_attention_v1_kernelIthLi96ELi8ELi128ELNS_18Fp8KVCacheDataTypeE1ELb1EEEvPT_PKS2_PKT0_S8_ifPKiSA_iPKfiiiSC_SC_iiiii.kd
    .uniform_work_group_size: 1
    .uses_dynamic_stack: false
    .vgpr_count:     65
    .vgpr_spill_count: 0
    .wavefront_size: 32
  - .args:
      - .actual_access:  write_only
        .address_space:  global
        .offset:         0
        .size:           8
        .value_kind:     global_buffer
      - .actual_access:  read_only
        .address_space:  global
        .offset:         8
        .size:           8
        .value_kind:     global_buffer
      - .actual_access:  read_only
        .address_space:  global
        .offset:         16
        .size:           8
        .value_kind:     global_buffer
      - .actual_access:  read_only
        .address_space:  global
        .offset:         24
        .size:           8
        .value_kind:     global_buffer
      - .offset:         32
        .size:           4
        .value_kind:     by_value
      - .offset:         36
        .size:           4
        .value_kind:     by_value
      - .actual_access:  read_only
        .address_space:  global
        .offset:         40
        .size:           8
        .value_kind:     global_buffer
      - .actual_access:  read_only
        .address_space:  global
        .offset:         48
        .size:           8
        .value_kind:     global_buffer
      - .offset:         56
        .size:           4
        .value_kind:     by_value
      - .actual_access:  read_only
        .address_space:  global
        .offset:         64
        .size:           8
        .value_kind:     global_buffer
      - .offset:         72
        .size:           4
        .value_kind:     by_value
      - .offset:         76
        .size:           4
        .value_kind:     by_value
      - .offset:         80
        .size:           4
        .value_kind:     by_value
      - .address_space:  global
        .offset:         88
        .size:           8
        .value_kind:     global_buffer
      - .address_space:  global
        .offset:         96
        .size:           8
        .value_kind:     global_buffer
      - .offset:         104
        .size:           4
        .value_kind:     by_value
      - .offset:         108
        .size:           4
        .value_kind:     by_value
      - .offset:         112
        .size:           4
        .value_kind:     by_value
      - .offset:         116
        .size:           4
        .value_kind:     by_value
      - .offset:         120
        .size:           4
        .value_kind:     by_value
      - .offset:         128
        .size:           4
        .value_kind:     hidden_block_count_x
      - .offset:         132
        .size:           4
        .value_kind:     hidden_block_count_y
      - .offset:         136
        .size:           4
        .value_kind:     hidden_block_count_z
      - .offset:         140
        .size:           2
        .value_kind:     hidden_group_size_x
      - .offset:         142
        .size:           2
        .value_kind:     hidden_group_size_y
      - .offset:         144
        .size:           2
        .value_kind:     hidden_group_size_z
      - .offset:         146
        .size:           2
        .value_kind:     hidden_remainder_x
      - .offset:         148
        .size:           2
        .value_kind:     hidden_remainder_y
      - .offset:         150
        .size:           2
        .value_kind:     hidden_remainder_z
      - .offset:         168
        .size:           8
        .value_kind:     hidden_global_offset_x
      - .offset:         176
        .size:           8
        .value_kind:     hidden_global_offset_y
      - .offset:         184
        .size:           8
        .value_kind:     hidden_global_offset_z
      - .offset:         192
        .size:           2
        .value_kind:     hidden_grid_dims
      - .offset:         248
        .size:           4
        .value_kind:     hidden_dynamic_lds_size
    .group_segment_fixed_size: 256
    .kernarg_segment_align: 8
    .kernarg_segment_size: 384
    .language:       OpenCL C
    .language_version:
      - 2
      - 0
    .max_flat_workgroup_size: 1024
    .name:           _ZN4vllm25paged_attention_v1_kernelIthLi112ELi8ELi128ELNS_18Fp8KVCacheDataTypeE1ELb1EEEvPT_PKS2_PKT0_S8_ifPKiSA_iPKfiiiSC_SC_iiiii
    .private_segment_fixed_size: 0
    .sgpr_count:     47
    .sgpr_spill_count: 0
    .symbol:         _ZN4vllm25paged_attention_v1_kernelIthLi112ELi8ELi128ELNS_18Fp8KVCacheDataTypeE1ELb1EEEvPT_PKS2_PKT0_S8_ifPKiSA_iPKfiiiSC_SC_iiiii.kd
    .uniform_work_group_size: 1
    .uses_dynamic_stack: false
    .vgpr_count:     74
    .vgpr_spill_count: 0
    .wavefront_size: 32
  - .args:
      - .actual_access:  write_only
        .address_space:  global
        .offset:         0
        .size:           8
        .value_kind:     global_buffer
      - .actual_access:  read_only
        .address_space:  global
        .offset:         8
        .size:           8
        .value_kind:     global_buffer
      - .actual_access:  read_only
        .address_space:  global
        .offset:         16
        .size:           8
        .value_kind:     global_buffer
      - .actual_access:  read_only
        .address_space:  global
        .offset:         24
        .size:           8
        .value_kind:     global_buffer
      - .offset:         32
        .size:           4
        .value_kind:     by_value
      - .offset:         36
        .size:           4
        .value_kind:     by_value
      - .actual_access:  read_only
        .address_space:  global
        .offset:         40
        .size:           8
        .value_kind:     global_buffer
      - .actual_access:  read_only
        .address_space:  global
        .offset:         48
        .size:           8
        .value_kind:     global_buffer
      - .offset:         56
        .size:           4
        .value_kind:     by_value
      - .actual_access:  read_only
        .address_space:  global
        .offset:         64
        .size:           8
        .value_kind:     global_buffer
      - .offset:         72
        .size:           4
        .value_kind:     by_value
      - .offset:         76
        .size:           4
        .value_kind:     by_value
      - .offset:         80
        .size:           4
        .value_kind:     by_value
      - .address_space:  global
        .offset:         88
        .size:           8
        .value_kind:     global_buffer
      - .address_space:  global
        .offset:         96
        .size:           8
        .value_kind:     global_buffer
      - .offset:         104
        .size:           4
        .value_kind:     by_value
      - .offset:         108
        .size:           4
        .value_kind:     by_value
      - .offset:         112
        .size:           4
        .value_kind:     by_value
      - .offset:         116
        .size:           4
        .value_kind:     by_value
      - .offset:         120
        .size:           4
        .value_kind:     by_value
      - .offset:         128
        .size:           4
        .value_kind:     hidden_block_count_x
      - .offset:         132
        .size:           4
        .value_kind:     hidden_block_count_y
      - .offset:         136
        .size:           4
        .value_kind:     hidden_block_count_z
      - .offset:         140
        .size:           2
        .value_kind:     hidden_group_size_x
      - .offset:         142
        .size:           2
        .value_kind:     hidden_group_size_y
      - .offset:         144
        .size:           2
        .value_kind:     hidden_group_size_z
      - .offset:         146
        .size:           2
        .value_kind:     hidden_remainder_x
      - .offset:         148
        .size:           2
        .value_kind:     hidden_remainder_y
      - .offset:         150
        .size:           2
        .value_kind:     hidden_remainder_z
      - .offset:         168
        .size:           8
        .value_kind:     hidden_global_offset_x
      - .offset:         176
        .size:           8
        .value_kind:     hidden_global_offset_y
      - .offset:         184
        .size:           8
        .value_kind:     hidden_global_offset_z
      - .offset:         192
        .size:           2
        .value_kind:     hidden_grid_dims
      - .offset:         248
        .size:           4
        .value_kind:     hidden_dynamic_lds_size
    .group_segment_fixed_size: 272
    .kernarg_segment_align: 8
    .kernarg_segment_size: 384
    .language:       OpenCL C
    .language_version:
      - 2
      - 0
    .max_flat_workgroup_size: 1024
    .name:           _ZN4vllm25paged_attention_v1_kernelIthLi120ELi8ELi128ELNS_18Fp8KVCacheDataTypeE1ELb1EEEvPT_PKS2_PKT0_S8_ifPKiSA_iPKfiiiSC_SC_iiiii
    .private_segment_fixed_size: 0
    .sgpr_count:     47
    .sgpr_spill_count: 0
    .symbol:         _ZN4vllm25paged_attention_v1_kernelIthLi120ELi8ELi128ELNS_18Fp8KVCacheDataTypeE1ELb1EEEvPT_PKS2_PKT0_S8_ifPKiSA_iPKfiiiSC_SC_iiiii.kd
    .uniform_work_group_size: 1
    .uses_dynamic_stack: false
    .vgpr_count:     78
    .vgpr_spill_count: 0
    .wavefront_size: 32
  - .args:
      - .actual_access:  write_only
        .address_space:  global
        .offset:         0
        .size:           8
        .value_kind:     global_buffer
      - .actual_access:  read_only
        .address_space:  global
        .offset:         8
        .size:           8
        .value_kind:     global_buffer
      - .actual_access:  read_only
        .address_space:  global
        .offset:         16
        .size:           8
        .value_kind:     global_buffer
      - .actual_access:  read_only
        .address_space:  global
        .offset:         24
        .size:           8
        .value_kind:     global_buffer
      - .offset:         32
        .size:           4
        .value_kind:     by_value
      - .offset:         36
        .size:           4
        .value_kind:     by_value
      - .actual_access:  read_only
        .address_space:  global
        .offset:         40
        .size:           8
        .value_kind:     global_buffer
      - .actual_access:  read_only
        .address_space:  global
        .offset:         48
        .size:           8
        .value_kind:     global_buffer
      - .offset:         56
        .size:           4
        .value_kind:     by_value
      - .actual_access:  read_only
        .address_space:  global
        .offset:         64
        .size:           8
        .value_kind:     global_buffer
      - .offset:         72
        .size:           4
        .value_kind:     by_value
      - .offset:         76
        .size:           4
        .value_kind:     by_value
      - .offset:         80
        .size:           4
        .value_kind:     by_value
      - .address_space:  global
        .offset:         88
        .size:           8
        .value_kind:     global_buffer
      - .address_space:  global
        .offset:         96
        .size:           8
        .value_kind:     global_buffer
      - .offset:         104
        .size:           4
        .value_kind:     by_value
      - .offset:         108
        .size:           4
        .value_kind:     by_value
      - .offset:         112
        .size:           4
        .value_kind:     by_value
      - .offset:         116
        .size:           4
        .value_kind:     by_value
      - .offset:         120
        .size:           4
        .value_kind:     by_value
      - .offset:         128
        .size:           4
        .value_kind:     hidden_block_count_x
      - .offset:         132
        .size:           4
        .value_kind:     hidden_block_count_y
      - .offset:         136
        .size:           4
        .value_kind:     hidden_block_count_z
      - .offset:         140
        .size:           2
        .value_kind:     hidden_group_size_x
      - .offset:         142
        .size:           2
        .value_kind:     hidden_group_size_y
      - .offset:         144
        .size:           2
        .value_kind:     hidden_group_size_z
      - .offset:         146
        .size:           2
        .value_kind:     hidden_remainder_x
      - .offset:         148
        .size:           2
        .value_kind:     hidden_remainder_y
      - .offset:         150
        .size:           2
        .value_kind:     hidden_remainder_z
      - .offset:         168
        .size:           8
        .value_kind:     hidden_global_offset_x
      - .offset:         176
        .size:           8
        .value_kind:     hidden_global_offset_y
      - .offset:         184
        .size:           8
        .value_kind:     hidden_global_offset_z
      - .offset:         192
        .size:           2
        .value_kind:     hidden_grid_dims
      - .offset:         248
        .size:           4
        .value_kind:     hidden_dynamic_lds_size
    .group_segment_fixed_size: 288
    .kernarg_segment_align: 8
    .kernarg_segment_size: 384
    .language:       OpenCL C
    .language_version:
      - 2
      - 0
    .max_flat_workgroup_size: 1024
    .name:           _ZN4vllm25paged_attention_v1_kernelIthLi128ELi8ELi128ELNS_18Fp8KVCacheDataTypeE1ELb1EEEvPT_PKS2_PKT0_S8_ifPKiSA_iPKfiiiSC_SC_iiiii
    .private_segment_fixed_size: 0
    .sgpr_count:     48
    .sgpr_spill_count: 0
    .symbol:         _ZN4vllm25paged_attention_v1_kernelIthLi128ELi8ELi128ELNS_18Fp8KVCacheDataTypeE1ELb1EEEvPT_PKS2_PKT0_S8_ifPKiSA_iPKfiiiSC_SC_iiiii.kd
    .uniform_work_group_size: 1
    .uses_dynamic_stack: false
    .vgpr_count:     78
    .vgpr_spill_count: 0
    .wavefront_size: 32
  - .args:
      - .actual_access:  write_only
        .address_space:  global
        .offset:         0
        .size:           8
        .value_kind:     global_buffer
      - .actual_access:  read_only
        .address_space:  global
        .offset:         8
        .size:           8
        .value_kind:     global_buffer
      - .actual_access:  read_only
        .address_space:  global
        .offset:         16
        .size:           8
        .value_kind:     global_buffer
      - .actual_access:  read_only
        .address_space:  global
        .offset:         24
        .size:           8
        .value_kind:     global_buffer
      - .offset:         32
        .size:           4
        .value_kind:     by_value
      - .offset:         36
        .size:           4
        .value_kind:     by_value
      - .actual_access:  read_only
        .address_space:  global
        .offset:         40
        .size:           8
        .value_kind:     global_buffer
      - .actual_access:  read_only
        .address_space:  global
        .offset:         48
        .size:           8
        .value_kind:     global_buffer
      - .offset:         56
        .size:           4
        .value_kind:     by_value
      - .actual_access:  read_only
        .address_space:  global
        .offset:         64
        .size:           8
        .value_kind:     global_buffer
      - .offset:         72
        .size:           4
        .value_kind:     by_value
      - .offset:         76
        .size:           4
        .value_kind:     by_value
      - .offset:         80
        .size:           4
        .value_kind:     by_value
      - .address_space:  global
        .offset:         88
        .size:           8
        .value_kind:     global_buffer
      - .address_space:  global
        .offset:         96
        .size:           8
        .value_kind:     global_buffer
      - .offset:         104
        .size:           4
        .value_kind:     by_value
      - .offset:         108
        .size:           4
        .value_kind:     by_value
      - .offset:         112
        .size:           4
        .value_kind:     by_value
      - .offset:         116
        .size:           4
        .value_kind:     by_value
      - .offset:         120
        .size:           4
        .value_kind:     by_value
      - .offset:         128
        .size:           4
        .value_kind:     hidden_block_count_x
      - .offset:         132
        .size:           4
        .value_kind:     hidden_block_count_y
      - .offset:         136
        .size:           4
        .value_kind:     hidden_block_count_z
      - .offset:         140
        .size:           2
        .value_kind:     hidden_group_size_x
      - .offset:         142
        .size:           2
        .value_kind:     hidden_group_size_y
      - .offset:         144
        .size:           2
        .value_kind:     hidden_group_size_z
      - .offset:         146
        .size:           2
        .value_kind:     hidden_remainder_x
      - .offset:         148
        .size:           2
        .value_kind:     hidden_remainder_y
      - .offset:         150
        .size:           2
        .value_kind:     hidden_remainder_z
      - .offset:         168
        .size:           8
        .value_kind:     hidden_global_offset_x
      - .offset:         176
        .size:           8
        .value_kind:     hidden_global_offset_y
      - .offset:         184
        .size:           8
        .value_kind:     hidden_global_offset_z
      - .offset:         192
        .size:           2
        .value_kind:     hidden_grid_dims
      - .offset:         248
        .size:           4
        .value_kind:     hidden_dynamic_lds_size
    .group_segment_fixed_size: 416
    .kernarg_segment_align: 8
    .kernarg_segment_size: 384
    .language:       OpenCL C
    .language_version:
      - 2
      - 0
    .max_flat_workgroup_size: 1024
    .name:           _ZN4vllm25paged_attention_v1_kernelIthLi192ELi8ELi128ELNS_18Fp8KVCacheDataTypeE1ELb1EEEvPT_PKS2_PKT0_S8_ifPKiSA_iPKfiiiSC_SC_iiiii
    .private_segment_fixed_size: 0
    .sgpr_count:     47
    .sgpr_spill_count: 0
    .symbol:         _ZN4vllm25paged_attention_v1_kernelIthLi192ELi8ELi128ELNS_18Fp8KVCacheDataTypeE1ELb1EEEvPT_PKS2_PKT0_S8_ifPKiSA_iPKfiiiSC_SC_iiiii.kd
    .uniform_work_group_size: 1
    .uses_dynamic_stack: false
    .vgpr_count:     108
    .vgpr_spill_count: 0
    .wavefront_size: 32
  - .args:
      - .actual_access:  write_only
        .address_space:  global
        .offset:         0
        .size:           8
        .value_kind:     global_buffer
      - .actual_access:  read_only
        .address_space:  global
        .offset:         8
        .size:           8
        .value_kind:     global_buffer
      - .actual_access:  read_only
        .address_space:  global
        .offset:         16
        .size:           8
        .value_kind:     global_buffer
      - .actual_access:  read_only
        .address_space:  global
        .offset:         24
        .size:           8
        .value_kind:     global_buffer
      - .offset:         32
        .size:           4
        .value_kind:     by_value
      - .offset:         36
        .size:           4
        .value_kind:     by_value
      - .actual_access:  read_only
        .address_space:  global
        .offset:         40
        .size:           8
        .value_kind:     global_buffer
      - .actual_access:  read_only
        .address_space:  global
        .offset:         48
        .size:           8
        .value_kind:     global_buffer
      - .offset:         56
        .size:           4
        .value_kind:     by_value
      - .actual_access:  read_only
        .address_space:  global
        .offset:         64
        .size:           8
        .value_kind:     global_buffer
      - .offset:         72
        .size:           4
        .value_kind:     by_value
      - .offset:         76
        .size:           4
        .value_kind:     by_value
      - .offset:         80
        .size:           4
        .value_kind:     by_value
      - .address_space:  global
        .offset:         88
        .size:           8
        .value_kind:     global_buffer
      - .address_space:  global
        .offset:         96
        .size:           8
        .value_kind:     global_buffer
      - .offset:         104
        .size:           4
        .value_kind:     by_value
      - .offset:         108
        .size:           4
        .value_kind:     by_value
      - .offset:         112
        .size:           4
        .value_kind:     by_value
      - .offset:         116
        .size:           4
        .value_kind:     by_value
      - .offset:         120
        .size:           4
        .value_kind:     by_value
      - .offset:         128
        .size:           4
        .value_kind:     hidden_block_count_x
      - .offset:         132
        .size:           4
        .value_kind:     hidden_block_count_y
      - .offset:         136
        .size:           4
        .value_kind:     hidden_block_count_z
      - .offset:         140
        .size:           2
        .value_kind:     hidden_group_size_x
      - .offset:         142
        .size:           2
        .value_kind:     hidden_group_size_y
      - .offset:         144
        .size:           2
        .value_kind:     hidden_group_size_z
      - .offset:         146
        .size:           2
        .value_kind:     hidden_remainder_x
      - .offset:         148
        .size:           2
        .value_kind:     hidden_remainder_y
      - .offset:         150
        .size:           2
        .value_kind:     hidden_remainder_z
      - .offset:         168
        .size:           8
        .value_kind:     hidden_global_offset_x
      - .offset:         176
        .size:           8
        .value_kind:     hidden_global_offset_y
      - .offset:         184
        .size:           8
        .value_kind:     hidden_global_offset_z
      - .offset:         192
        .size:           2
        .value_kind:     hidden_grid_dims
      - .offset:         248
        .size:           4
        .value_kind:     hidden_dynamic_lds_size
    .group_segment_fixed_size: 544
    .kernarg_segment_align: 8
    .kernarg_segment_size: 384
    .language:       OpenCL C
    .language_version:
      - 2
      - 0
    .max_flat_workgroup_size: 1024
    .name:           _ZN4vllm25paged_attention_v1_kernelIthLi256ELi8ELi128ELNS_18Fp8KVCacheDataTypeE1ELb1EEEvPT_PKS2_PKT0_S8_ifPKiSA_iPKfiiiSC_SC_iiiii
    .private_segment_fixed_size: 0
    .sgpr_count:     47
    .sgpr_spill_count: 0
    .symbol:         _ZN4vllm25paged_attention_v1_kernelIthLi256ELi8ELi128ELNS_18Fp8KVCacheDataTypeE1ELb1EEEvPT_PKS2_PKT0_S8_ifPKiSA_iPKfiiiSC_SC_iiiii.kd
    .uniform_work_group_size: 1
    .uses_dynamic_stack: false
    .vgpr_count:     126
    .vgpr_spill_count: 0
    .wavefront_size: 32
  - .args:
      - .actual_access:  write_only
        .address_space:  global
        .offset:         0
        .size:           8
        .value_kind:     global_buffer
      - .actual_access:  read_only
        .address_space:  global
        .offset:         8
        .size:           8
        .value_kind:     global_buffer
      - .actual_access:  read_only
        .address_space:  global
        .offset:         16
        .size:           8
        .value_kind:     global_buffer
      - .actual_access:  read_only
        .address_space:  global
        .offset:         24
        .size:           8
        .value_kind:     global_buffer
      - .offset:         32
        .size:           4
        .value_kind:     by_value
      - .offset:         36
        .size:           4
        .value_kind:     by_value
      - .actual_access:  read_only
        .address_space:  global
        .offset:         40
        .size:           8
        .value_kind:     global_buffer
      - .actual_access:  read_only
        .address_space:  global
        .offset:         48
        .size:           8
        .value_kind:     global_buffer
      - .offset:         56
        .size:           4
        .value_kind:     by_value
      - .actual_access:  read_only
        .address_space:  global
        .offset:         64
        .size:           8
        .value_kind:     global_buffer
      - .offset:         72
        .size:           4
        .value_kind:     by_value
      - .offset:         76
        .size:           4
        .value_kind:     by_value
      - .offset:         80
        .size:           4
        .value_kind:     by_value
      - .address_space:  global
        .offset:         88
        .size:           8
        .value_kind:     global_buffer
      - .address_space:  global
        .offset:         96
        .size:           8
        .value_kind:     global_buffer
      - .offset:         104
        .size:           4
        .value_kind:     by_value
      - .offset:         108
        .size:           4
        .value_kind:     by_value
      - .offset:         112
        .size:           4
        .value_kind:     by_value
      - .offset:         116
        .size:           4
        .value_kind:     by_value
      - .offset:         120
        .size:           4
        .value_kind:     by_value
      - .offset:         128
        .size:           4
        .value_kind:     hidden_block_count_x
      - .offset:         132
        .size:           4
        .value_kind:     hidden_block_count_y
      - .offset:         136
        .size:           4
        .value_kind:     hidden_block_count_z
      - .offset:         140
        .size:           2
        .value_kind:     hidden_group_size_x
      - .offset:         142
        .size:           2
        .value_kind:     hidden_group_size_y
      - .offset:         144
        .size:           2
        .value_kind:     hidden_group_size_z
      - .offset:         146
        .size:           2
        .value_kind:     hidden_remainder_x
      - .offset:         148
        .size:           2
        .value_kind:     hidden_remainder_y
      - .offset:         150
        .size:           2
        .value_kind:     hidden_remainder_z
      - .offset:         168
        .size:           8
        .value_kind:     hidden_global_offset_x
      - .offset:         176
        .size:           8
        .value_kind:     hidden_global_offset_y
      - .offset:         184
        .size:           8
        .value_kind:     hidden_global_offset_z
      - .offset:         192
        .size:           2
        .value_kind:     hidden_grid_dims
      - .offset:         248
        .size:           4
        .value_kind:     hidden_dynamic_lds_size
    .group_segment_fixed_size: 96
    .kernarg_segment_align: 8
    .kernarg_segment_size: 384
    .language:       OpenCL C
    .language_version:
      - 2
      - 0
    .max_flat_workgroup_size: 1024
    .name:           _ZN4vllm25paged_attention_v1_kernelIthLi32ELi8ELi128ELNS_18Fp8KVCacheDataTypeE1ELb0EEEvPT_PKS2_PKT0_S8_ifPKiSA_iPKfiiiSC_SC_iiiii
    .private_segment_fixed_size: 0
    .sgpr_count:     34
    .sgpr_spill_count: 0
    .symbol:         _ZN4vllm25paged_attention_v1_kernelIthLi32ELi8ELi128ELNS_18Fp8KVCacheDataTypeE1ELb0EEEvPT_PKS2_PKT0_S8_ifPKiSA_iPKfiiiSC_SC_iiiii.kd
    .uniform_work_group_size: 1
    .uses_dynamic_stack: false
    .vgpr_count:     36
    .vgpr_spill_count: 0
    .wavefront_size: 32
  - .args:
      - .actual_access:  write_only
        .address_space:  global
        .offset:         0
        .size:           8
        .value_kind:     global_buffer
      - .actual_access:  read_only
        .address_space:  global
        .offset:         8
        .size:           8
        .value_kind:     global_buffer
      - .actual_access:  read_only
        .address_space:  global
        .offset:         16
        .size:           8
        .value_kind:     global_buffer
      - .actual_access:  read_only
        .address_space:  global
        .offset:         24
        .size:           8
        .value_kind:     global_buffer
      - .offset:         32
        .size:           4
        .value_kind:     by_value
      - .offset:         36
        .size:           4
        .value_kind:     by_value
      - .actual_access:  read_only
        .address_space:  global
        .offset:         40
        .size:           8
        .value_kind:     global_buffer
      - .actual_access:  read_only
        .address_space:  global
        .offset:         48
        .size:           8
        .value_kind:     global_buffer
      - .offset:         56
        .size:           4
        .value_kind:     by_value
      - .actual_access:  read_only
        .address_space:  global
        .offset:         64
        .size:           8
        .value_kind:     global_buffer
      - .offset:         72
        .size:           4
        .value_kind:     by_value
      - .offset:         76
        .size:           4
        .value_kind:     by_value
      - .offset:         80
        .size:           4
        .value_kind:     by_value
      - .address_space:  global
        .offset:         88
        .size:           8
        .value_kind:     global_buffer
      - .address_space:  global
        .offset:         96
        .size:           8
        .value_kind:     global_buffer
      - .offset:         104
        .size:           4
        .value_kind:     by_value
      - .offset:         108
        .size:           4
        .value_kind:     by_value
      - .offset:         112
        .size:           4
        .value_kind:     by_value
      - .offset:         116
        .size:           4
        .value_kind:     by_value
      - .offset:         120
        .size:           4
        .value_kind:     by_value
      - .offset:         128
        .size:           4
        .value_kind:     hidden_block_count_x
      - .offset:         132
        .size:           4
        .value_kind:     hidden_block_count_y
      - .offset:         136
        .size:           4
        .value_kind:     hidden_block_count_z
      - .offset:         140
        .size:           2
        .value_kind:     hidden_group_size_x
      - .offset:         142
        .size:           2
        .value_kind:     hidden_group_size_y
      - .offset:         144
        .size:           2
        .value_kind:     hidden_group_size_z
      - .offset:         146
        .size:           2
        .value_kind:     hidden_remainder_x
      - .offset:         148
        .size:           2
        .value_kind:     hidden_remainder_y
      - .offset:         150
        .size:           2
        .value_kind:     hidden_remainder_z
      - .offset:         168
        .size:           8
        .value_kind:     hidden_global_offset_x
      - .offset:         176
        .size:           8
        .value_kind:     hidden_global_offset_y
      - .offset:         184
        .size:           8
        .value_kind:     hidden_global_offset_z
      - .offset:         192
        .size:           2
        .value_kind:     hidden_grid_dims
      - .offset:         248
        .size:           4
        .value_kind:     hidden_dynamic_lds_size
    .group_segment_fixed_size: 160
    .kernarg_segment_align: 8
    .kernarg_segment_size: 384
    .language:       OpenCL C
    .language_version:
      - 2
      - 0
    .max_flat_workgroup_size: 1024
    .name:           _ZN4vllm25paged_attention_v1_kernelIthLi64ELi8ELi128ELNS_18Fp8KVCacheDataTypeE1ELb0EEEvPT_PKS2_PKT0_S8_ifPKiSA_iPKfiiiSC_SC_iiiii
    .private_segment_fixed_size: 0
    .sgpr_count:     36
    .sgpr_spill_count: 0
    .symbol:         _ZN4vllm25paged_attention_v1_kernelIthLi64ELi8ELi128ELNS_18Fp8KVCacheDataTypeE1ELb0EEEvPT_PKS2_PKT0_S8_ifPKiSA_iPKfiiiSC_SC_iiiii.kd
    .uniform_work_group_size: 1
    .uses_dynamic_stack: false
    .vgpr_count:     47
    .vgpr_spill_count: 0
    .wavefront_size: 32
  - .args:
      - .actual_access:  write_only
        .address_space:  global
        .offset:         0
        .size:           8
        .value_kind:     global_buffer
      - .actual_access:  read_only
        .address_space:  global
        .offset:         8
        .size:           8
        .value_kind:     global_buffer
      - .actual_access:  read_only
        .address_space:  global
        .offset:         16
        .size:           8
        .value_kind:     global_buffer
      - .actual_access:  read_only
        .address_space:  global
        .offset:         24
        .size:           8
        .value_kind:     global_buffer
      - .offset:         32
        .size:           4
        .value_kind:     by_value
      - .offset:         36
        .size:           4
        .value_kind:     by_value
      - .actual_access:  read_only
        .address_space:  global
        .offset:         40
        .size:           8
        .value_kind:     global_buffer
      - .actual_access:  read_only
        .address_space:  global
        .offset:         48
        .size:           8
        .value_kind:     global_buffer
      - .offset:         56
        .size:           4
        .value_kind:     by_value
      - .actual_access:  read_only
        .address_space:  global
        .offset:         64
        .size:           8
        .value_kind:     global_buffer
      - .offset:         72
        .size:           4
        .value_kind:     by_value
      - .offset:         76
        .size:           4
        .value_kind:     by_value
      - .offset:         80
        .size:           4
        .value_kind:     by_value
      - .address_space:  global
        .offset:         88
        .size:           8
        .value_kind:     global_buffer
      - .address_space:  global
        .offset:         96
        .size:           8
        .value_kind:     global_buffer
      - .offset:         104
        .size:           4
        .value_kind:     by_value
      - .offset:         108
        .size:           4
        .value_kind:     by_value
      - .offset:         112
        .size:           4
        .value_kind:     by_value
      - .offset:         116
        .size:           4
        .value_kind:     by_value
      - .offset:         120
        .size:           4
        .value_kind:     by_value
      - .offset:         128
        .size:           4
        .value_kind:     hidden_block_count_x
      - .offset:         132
        .size:           4
        .value_kind:     hidden_block_count_y
      - .offset:         136
        .size:           4
        .value_kind:     hidden_block_count_z
      - .offset:         140
        .size:           2
        .value_kind:     hidden_group_size_x
      - .offset:         142
        .size:           2
        .value_kind:     hidden_group_size_y
      - .offset:         144
        .size:           2
        .value_kind:     hidden_group_size_z
      - .offset:         146
        .size:           2
        .value_kind:     hidden_remainder_x
      - .offset:         148
        .size:           2
        .value_kind:     hidden_remainder_y
      - .offset:         150
        .size:           2
        .value_kind:     hidden_remainder_z
      - .offset:         168
        .size:           8
        .value_kind:     hidden_global_offset_x
      - .offset:         176
        .size:           8
        .value_kind:     hidden_global_offset_y
      - .offset:         184
        .size:           8
        .value_kind:     hidden_global_offset_z
      - .offset:         192
        .size:           2
        .value_kind:     hidden_grid_dims
      - .offset:         248
        .size:           4
        .value_kind:     hidden_dynamic_lds_size
    .group_segment_fixed_size: 192
    .kernarg_segment_align: 8
    .kernarg_segment_size: 384
    .language:       OpenCL C
    .language_version:
      - 2
      - 0
    .max_flat_workgroup_size: 1024
    .name:           _ZN4vllm25paged_attention_v1_kernelIthLi80ELi8ELi128ELNS_18Fp8KVCacheDataTypeE1ELb0EEEvPT_PKS2_PKT0_S8_ifPKiSA_iPKfiiiSC_SC_iiiii
    .private_segment_fixed_size: 0
    .sgpr_count:     34
    .sgpr_spill_count: 0
    .symbol:         _ZN4vllm25paged_attention_v1_kernelIthLi80ELi8ELi128ELNS_18Fp8KVCacheDataTypeE1ELb0EEEvPT_PKS2_PKT0_S8_ifPKiSA_iPKfiiiSC_SC_iiiii.kd
    .uniform_work_group_size: 1
    .uses_dynamic_stack: false
    .vgpr_count:     55
    .vgpr_spill_count: 0
    .wavefront_size: 32
  - .args:
      - .actual_access:  write_only
        .address_space:  global
        .offset:         0
        .size:           8
        .value_kind:     global_buffer
      - .actual_access:  read_only
        .address_space:  global
        .offset:         8
        .size:           8
        .value_kind:     global_buffer
      - .actual_access:  read_only
        .address_space:  global
        .offset:         16
        .size:           8
        .value_kind:     global_buffer
      - .actual_access:  read_only
        .address_space:  global
        .offset:         24
        .size:           8
        .value_kind:     global_buffer
      - .offset:         32
        .size:           4
        .value_kind:     by_value
      - .offset:         36
        .size:           4
        .value_kind:     by_value
      - .actual_access:  read_only
        .address_space:  global
        .offset:         40
        .size:           8
        .value_kind:     global_buffer
      - .actual_access:  read_only
        .address_space:  global
        .offset:         48
        .size:           8
        .value_kind:     global_buffer
      - .offset:         56
        .size:           4
        .value_kind:     by_value
      - .actual_access:  read_only
        .address_space:  global
        .offset:         64
        .size:           8
        .value_kind:     global_buffer
      - .offset:         72
        .size:           4
        .value_kind:     by_value
      - .offset:         76
        .size:           4
        .value_kind:     by_value
      - .offset:         80
        .size:           4
        .value_kind:     by_value
      - .address_space:  global
        .offset:         88
        .size:           8
        .value_kind:     global_buffer
      - .address_space:  global
        .offset:         96
        .size:           8
        .value_kind:     global_buffer
      - .offset:         104
        .size:           4
        .value_kind:     by_value
      - .offset:         108
        .size:           4
        .value_kind:     by_value
      - .offset:         112
        .size:           4
        .value_kind:     by_value
      - .offset:         116
        .size:           4
        .value_kind:     by_value
      - .offset:         120
        .size:           4
        .value_kind:     by_value
      - .offset:         128
        .size:           4
        .value_kind:     hidden_block_count_x
      - .offset:         132
        .size:           4
        .value_kind:     hidden_block_count_y
      - .offset:         136
        .size:           4
        .value_kind:     hidden_block_count_z
      - .offset:         140
        .size:           2
        .value_kind:     hidden_group_size_x
      - .offset:         142
        .size:           2
        .value_kind:     hidden_group_size_y
      - .offset:         144
        .size:           2
        .value_kind:     hidden_group_size_z
      - .offset:         146
        .size:           2
        .value_kind:     hidden_remainder_x
      - .offset:         148
        .size:           2
        .value_kind:     hidden_remainder_y
      - .offset:         150
        .size:           2
        .value_kind:     hidden_remainder_z
      - .offset:         168
        .size:           8
        .value_kind:     hidden_global_offset_x
      - .offset:         176
        .size:           8
        .value_kind:     hidden_global_offset_y
      - .offset:         184
        .size:           8
        .value_kind:     hidden_global_offset_z
      - .offset:         192
        .size:           2
        .value_kind:     hidden_grid_dims
      - .offset:         248
        .size:           4
        .value_kind:     hidden_dynamic_lds_size
    .group_segment_fixed_size: 224
    .kernarg_segment_align: 8
    .kernarg_segment_size: 384
    .language:       OpenCL C
    .language_version:
      - 2
      - 0
    .max_flat_workgroup_size: 1024
    .name:           _ZN4vllm25paged_attention_v1_kernelIthLi96ELi8ELi128ELNS_18Fp8KVCacheDataTypeE1ELb0EEEvPT_PKS2_PKT0_S8_ifPKiSA_iPKfiiiSC_SC_iiiii
    .private_segment_fixed_size: 0
    .sgpr_count:     34
    .sgpr_spill_count: 0
    .symbol:         _ZN4vllm25paged_attention_v1_kernelIthLi96ELi8ELi128ELNS_18Fp8KVCacheDataTypeE1ELb0EEEvPT_PKS2_PKT0_S8_ifPKiSA_iPKfiiiSC_SC_iiiii.kd
    .uniform_work_group_size: 1
    .uses_dynamic_stack: false
    .vgpr_count:     62
    .vgpr_spill_count: 0
    .wavefront_size: 32
  - .args:
      - .actual_access:  write_only
        .address_space:  global
        .offset:         0
        .size:           8
        .value_kind:     global_buffer
      - .actual_access:  read_only
        .address_space:  global
        .offset:         8
        .size:           8
        .value_kind:     global_buffer
      - .actual_access:  read_only
        .address_space:  global
        .offset:         16
        .size:           8
        .value_kind:     global_buffer
      - .actual_access:  read_only
        .address_space:  global
        .offset:         24
        .size:           8
        .value_kind:     global_buffer
      - .offset:         32
        .size:           4
        .value_kind:     by_value
      - .offset:         36
        .size:           4
        .value_kind:     by_value
      - .actual_access:  read_only
        .address_space:  global
        .offset:         40
        .size:           8
        .value_kind:     global_buffer
      - .actual_access:  read_only
        .address_space:  global
        .offset:         48
        .size:           8
        .value_kind:     global_buffer
      - .offset:         56
        .size:           4
        .value_kind:     by_value
      - .actual_access:  read_only
        .address_space:  global
        .offset:         64
        .size:           8
        .value_kind:     global_buffer
      - .offset:         72
        .size:           4
        .value_kind:     by_value
      - .offset:         76
        .size:           4
        .value_kind:     by_value
      - .offset:         80
        .size:           4
        .value_kind:     by_value
      - .address_space:  global
        .offset:         88
        .size:           8
        .value_kind:     global_buffer
      - .address_space:  global
        .offset:         96
        .size:           8
        .value_kind:     global_buffer
      - .offset:         104
        .size:           4
        .value_kind:     by_value
      - .offset:         108
        .size:           4
        .value_kind:     by_value
      - .offset:         112
        .size:           4
        .value_kind:     by_value
      - .offset:         116
        .size:           4
        .value_kind:     by_value
      - .offset:         120
        .size:           4
        .value_kind:     by_value
      - .offset:         128
        .size:           4
        .value_kind:     hidden_block_count_x
      - .offset:         132
        .size:           4
        .value_kind:     hidden_block_count_y
      - .offset:         136
        .size:           4
        .value_kind:     hidden_block_count_z
      - .offset:         140
        .size:           2
        .value_kind:     hidden_group_size_x
      - .offset:         142
        .size:           2
        .value_kind:     hidden_group_size_y
      - .offset:         144
        .size:           2
        .value_kind:     hidden_group_size_z
      - .offset:         146
        .size:           2
        .value_kind:     hidden_remainder_x
      - .offset:         148
        .size:           2
        .value_kind:     hidden_remainder_y
      - .offset:         150
        .size:           2
        .value_kind:     hidden_remainder_z
      - .offset:         168
        .size:           8
        .value_kind:     hidden_global_offset_x
      - .offset:         176
        .size:           8
        .value_kind:     hidden_global_offset_y
      - .offset:         184
        .size:           8
        .value_kind:     hidden_global_offset_z
      - .offset:         192
        .size:           2
        .value_kind:     hidden_grid_dims
      - .offset:         248
        .size:           4
        .value_kind:     hidden_dynamic_lds_size
    .group_segment_fixed_size: 256
    .kernarg_segment_align: 8
    .kernarg_segment_size: 384
    .language:       OpenCL C
    .language_version:
      - 2
      - 0
    .max_flat_workgroup_size: 1024
    .name:           _ZN4vllm25paged_attention_v1_kernelIthLi112ELi8ELi128ELNS_18Fp8KVCacheDataTypeE1ELb0EEEvPT_PKS2_PKT0_S8_ifPKiSA_iPKfiiiSC_SC_iiiii
    .private_segment_fixed_size: 0
    .sgpr_count:     34
    .sgpr_spill_count: 0
    .symbol:         _ZN4vllm25paged_attention_v1_kernelIthLi112ELi8ELi128ELNS_18Fp8KVCacheDataTypeE1ELb0EEEvPT_PKS2_PKT0_S8_ifPKiSA_iPKfiiiSC_SC_iiiii.kd
    .uniform_work_group_size: 1
    .uses_dynamic_stack: false
    .vgpr_count:     71
    .vgpr_spill_count: 0
    .wavefront_size: 32
  - .args:
      - .actual_access:  write_only
        .address_space:  global
        .offset:         0
        .size:           8
        .value_kind:     global_buffer
      - .actual_access:  read_only
        .address_space:  global
        .offset:         8
        .size:           8
        .value_kind:     global_buffer
      - .actual_access:  read_only
        .address_space:  global
        .offset:         16
        .size:           8
        .value_kind:     global_buffer
      - .actual_access:  read_only
        .address_space:  global
        .offset:         24
        .size:           8
        .value_kind:     global_buffer
      - .offset:         32
        .size:           4
        .value_kind:     by_value
      - .offset:         36
        .size:           4
        .value_kind:     by_value
      - .actual_access:  read_only
        .address_space:  global
        .offset:         40
        .size:           8
        .value_kind:     global_buffer
      - .actual_access:  read_only
        .address_space:  global
        .offset:         48
        .size:           8
        .value_kind:     global_buffer
      - .offset:         56
        .size:           4
        .value_kind:     by_value
      - .actual_access:  read_only
        .address_space:  global
        .offset:         64
        .size:           8
        .value_kind:     global_buffer
      - .offset:         72
        .size:           4
        .value_kind:     by_value
      - .offset:         76
        .size:           4
        .value_kind:     by_value
      - .offset:         80
        .size:           4
        .value_kind:     by_value
      - .address_space:  global
        .offset:         88
        .size:           8
        .value_kind:     global_buffer
      - .address_space:  global
        .offset:         96
        .size:           8
        .value_kind:     global_buffer
      - .offset:         104
        .size:           4
        .value_kind:     by_value
      - .offset:         108
        .size:           4
        .value_kind:     by_value
      - .offset:         112
        .size:           4
        .value_kind:     by_value
      - .offset:         116
        .size:           4
        .value_kind:     by_value
      - .offset:         120
        .size:           4
        .value_kind:     by_value
      - .offset:         128
        .size:           4
        .value_kind:     hidden_block_count_x
      - .offset:         132
        .size:           4
        .value_kind:     hidden_block_count_y
      - .offset:         136
        .size:           4
        .value_kind:     hidden_block_count_z
      - .offset:         140
        .size:           2
        .value_kind:     hidden_group_size_x
      - .offset:         142
        .size:           2
        .value_kind:     hidden_group_size_y
      - .offset:         144
        .size:           2
        .value_kind:     hidden_group_size_z
      - .offset:         146
        .size:           2
        .value_kind:     hidden_remainder_x
      - .offset:         148
        .size:           2
        .value_kind:     hidden_remainder_y
      - .offset:         150
        .size:           2
        .value_kind:     hidden_remainder_z
      - .offset:         168
        .size:           8
        .value_kind:     hidden_global_offset_x
      - .offset:         176
        .size:           8
        .value_kind:     hidden_global_offset_y
      - .offset:         184
        .size:           8
        .value_kind:     hidden_global_offset_z
      - .offset:         192
        .size:           2
        .value_kind:     hidden_grid_dims
      - .offset:         248
        .size:           4
        .value_kind:     hidden_dynamic_lds_size
    .group_segment_fixed_size: 272
    .kernarg_segment_align: 8
    .kernarg_segment_size: 384
    .language:       OpenCL C
    .language_version:
      - 2
      - 0
    .max_flat_workgroup_size: 1024
    .name:           _ZN4vllm25paged_attention_v1_kernelIthLi120ELi8ELi128ELNS_18Fp8KVCacheDataTypeE1ELb0EEEvPT_PKS2_PKT0_S8_ifPKiSA_iPKfiiiSC_SC_iiiii
    .private_segment_fixed_size: 0
    .sgpr_count:     34
    .sgpr_spill_count: 0
    .symbol:         _ZN4vllm25paged_attention_v1_kernelIthLi120ELi8ELi128ELNS_18Fp8KVCacheDataTypeE1ELb0EEEvPT_PKS2_PKT0_S8_ifPKiSA_iPKfiiiSC_SC_iiiii.kd
    .uniform_work_group_size: 1
    .uses_dynamic_stack: false
    .vgpr_count:     75
    .vgpr_spill_count: 0
    .wavefront_size: 32
  - .args:
      - .actual_access:  write_only
        .address_space:  global
        .offset:         0
        .size:           8
        .value_kind:     global_buffer
      - .actual_access:  read_only
        .address_space:  global
        .offset:         8
        .size:           8
        .value_kind:     global_buffer
      - .actual_access:  read_only
        .address_space:  global
        .offset:         16
        .size:           8
        .value_kind:     global_buffer
      - .actual_access:  read_only
        .address_space:  global
        .offset:         24
        .size:           8
        .value_kind:     global_buffer
      - .offset:         32
        .size:           4
        .value_kind:     by_value
      - .offset:         36
        .size:           4
        .value_kind:     by_value
      - .actual_access:  read_only
        .address_space:  global
        .offset:         40
        .size:           8
        .value_kind:     global_buffer
      - .actual_access:  read_only
        .address_space:  global
        .offset:         48
        .size:           8
        .value_kind:     global_buffer
      - .offset:         56
        .size:           4
        .value_kind:     by_value
      - .actual_access:  read_only
        .address_space:  global
        .offset:         64
        .size:           8
        .value_kind:     global_buffer
      - .offset:         72
        .size:           4
        .value_kind:     by_value
      - .offset:         76
        .size:           4
        .value_kind:     by_value
      - .offset:         80
        .size:           4
        .value_kind:     by_value
      - .address_space:  global
        .offset:         88
        .size:           8
        .value_kind:     global_buffer
      - .address_space:  global
        .offset:         96
        .size:           8
        .value_kind:     global_buffer
      - .offset:         104
        .size:           4
        .value_kind:     by_value
      - .offset:         108
        .size:           4
        .value_kind:     by_value
      - .offset:         112
        .size:           4
        .value_kind:     by_value
      - .offset:         116
        .size:           4
        .value_kind:     by_value
      - .offset:         120
        .size:           4
        .value_kind:     by_value
      - .offset:         128
        .size:           4
        .value_kind:     hidden_block_count_x
      - .offset:         132
        .size:           4
        .value_kind:     hidden_block_count_y
      - .offset:         136
        .size:           4
        .value_kind:     hidden_block_count_z
      - .offset:         140
        .size:           2
        .value_kind:     hidden_group_size_x
      - .offset:         142
        .size:           2
        .value_kind:     hidden_group_size_y
      - .offset:         144
        .size:           2
        .value_kind:     hidden_group_size_z
      - .offset:         146
        .size:           2
        .value_kind:     hidden_remainder_x
      - .offset:         148
        .size:           2
        .value_kind:     hidden_remainder_y
      - .offset:         150
        .size:           2
        .value_kind:     hidden_remainder_z
      - .offset:         168
        .size:           8
        .value_kind:     hidden_global_offset_x
      - .offset:         176
        .size:           8
        .value_kind:     hidden_global_offset_y
      - .offset:         184
        .size:           8
        .value_kind:     hidden_global_offset_z
      - .offset:         192
        .size:           2
        .value_kind:     hidden_grid_dims
      - .offset:         248
        .size:           4
        .value_kind:     hidden_dynamic_lds_size
    .group_segment_fixed_size: 288
    .kernarg_segment_align: 8
    .kernarg_segment_size: 384
    .language:       OpenCL C
    .language_version:
      - 2
      - 0
    .max_flat_workgroup_size: 1024
    .name:           _ZN4vllm25paged_attention_v1_kernelIthLi128ELi8ELi128ELNS_18Fp8KVCacheDataTypeE1ELb0EEEvPT_PKS2_PKT0_S8_ifPKiSA_iPKfiiiSC_SC_iiiii
    .private_segment_fixed_size: 0
    .sgpr_count:     36
    .sgpr_spill_count: 0
    .symbol:         _ZN4vllm25paged_attention_v1_kernelIthLi128ELi8ELi128ELNS_18Fp8KVCacheDataTypeE1ELb0EEEvPT_PKS2_PKT0_S8_ifPKiSA_iPKfiiiSC_SC_iiiii.kd
    .uniform_work_group_size: 1
    .uses_dynamic_stack: false
    .vgpr_count:     75
    .vgpr_spill_count: 0
    .wavefront_size: 32
  - .args:
      - .actual_access:  write_only
        .address_space:  global
        .offset:         0
        .size:           8
        .value_kind:     global_buffer
      - .actual_access:  read_only
        .address_space:  global
        .offset:         8
        .size:           8
        .value_kind:     global_buffer
      - .actual_access:  read_only
        .address_space:  global
        .offset:         16
        .size:           8
        .value_kind:     global_buffer
      - .actual_access:  read_only
        .address_space:  global
        .offset:         24
        .size:           8
        .value_kind:     global_buffer
      - .offset:         32
        .size:           4
        .value_kind:     by_value
      - .offset:         36
        .size:           4
        .value_kind:     by_value
      - .actual_access:  read_only
        .address_space:  global
        .offset:         40
        .size:           8
        .value_kind:     global_buffer
      - .actual_access:  read_only
        .address_space:  global
        .offset:         48
        .size:           8
        .value_kind:     global_buffer
      - .offset:         56
        .size:           4
        .value_kind:     by_value
      - .actual_access:  read_only
        .address_space:  global
        .offset:         64
        .size:           8
        .value_kind:     global_buffer
      - .offset:         72
        .size:           4
        .value_kind:     by_value
      - .offset:         76
        .size:           4
        .value_kind:     by_value
      - .offset:         80
        .size:           4
        .value_kind:     by_value
      - .address_space:  global
        .offset:         88
        .size:           8
        .value_kind:     global_buffer
      - .address_space:  global
        .offset:         96
        .size:           8
        .value_kind:     global_buffer
      - .offset:         104
        .size:           4
        .value_kind:     by_value
      - .offset:         108
        .size:           4
        .value_kind:     by_value
      - .offset:         112
        .size:           4
        .value_kind:     by_value
      - .offset:         116
        .size:           4
        .value_kind:     by_value
      - .offset:         120
        .size:           4
        .value_kind:     by_value
      - .offset:         128
        .size:           4
        .value_kind:     hidden_block_count_x
      - .offset:         132
        .size:           4
        .value_kind:     hidden_block_count_y
      - .offset:         136
        .size:           4
        .value_kind:     hidden_block_count_z
      - .offset:         140
        .size:           2
        .value_kind:     hidden_group_size_x
      - .offset:         142
        .size:           2
        .value_kind:     hidden_group_size_y
      - .offset:         144
        .size:           2
        .value_kind:     hidden_group_size_z
      - .offset:         146
        .size:           2
        .value_kind:     hidden_remainder_x
      - .offset:         148
        .size:           2
        .value_kind:     hidden_remainder_y
      - .offset:         150
        .size:           2
        .value_kind:     hidden_remainder_z
      - .offset:         168
        .size:           8
        .value_kind:     hidden_global_offset_x
      - .offset:         176
        .size:           8
        .value_kind:     hidden_global_offset_y
      - .offset:         184
        .size:           8
        .value_kind:     hidden_global_offset_z
      - .offset:         192
        .size:           2
        .value_kind:     hidden_grid_dims
      - .offset:         248
        .size:           4
        .value_kind:     hidden_dynamic_lds_size
    .group_segment_fixed_size: 416
    .kernarg_segment_align: 8
    .kernarg_segment_size: 384
    .language:       OpenCL C
    .language_version:
      - 2
      - 0
    .max_flat_workgroup_size: 1024
    .name:           _ZN4vllm25paged_attention_v1_kernelIthLi192ELi8ELi128ELNS_18Fp8KVCacheDataTypeE1ELb0EEEvPT_PKS2_PKT0_S8_ifPKiSA_iPKfiiiSC_SC_iiiii
    .private_segment_fixed_size: 0
    .sgpr_count:     34
    .sgpr_spill_count: 0
    .symbol:         _ZN4vllm25paged_attention_v1_kernelIthLi192ELi8ELi128ELNS_18Fp8KVCacheDataTypeE1ELb0EEEvPT_PKS2_PKT0_S8_ifPKiSA_iPKfiiiSC_SC_iiiii.kd
    .uniform_work_group_size: 1
    .uses_dynamic_stack: false
    .vgpr_count:     105
    .vgpr_spill_count: 0
    .wavefront_size: 32
  - .args:
      - .actual_access:  write_only
        .address_space:  global
        .offset:         0
        .size:           8
        .value_kind:     global_buffer
      - .actual_access:  read_only
        .address_space:  global
        .offset:         8
        .size:           8
        .value_kind:     global_buffer
      - .actual_access:  read_only
        .address_space:  global
        .offset:         16
        .size:           8
        .value_kind:     global_buffer
      - .actual_access:  read_only
        .address_space:  global
        .offset:         24
        .size:           8
        .value_kind:     global_buffer
      - .offset:         32
        .size:           4
        .value_kind:     by_value
      - .offset:         36
        .size:           4
        .value_kind:     by_value
      - .actual_access:  read_only
        .address_space:  global
        .offset:         40
        .size:           8
        .value_kind:     global_buffer
      - .actual_access:  read_only
        .address_space:  global
        .offset:         48
        .size:           8
        .value_kind:     global_buffer
      - .offset:         56
        .size:           4
        .value_kind:     by_value
      - .actual_access:  read_only
        .address_space:  global
        .offset:         64
        .size:           8
        .value_kind:     global_buffer
      - .offset:         72
        .size:           4
        .value_kind:     by_value
      - .offset:         76
        .size:           4
        .value_kind:     by_value
      - .offset:         80
        .size:           4
        .value_kind:     by_value
      - .address_space:  global
        .offset:         88
        .size:           8
        .value_kind:     global_buffer
      - .address_space:  global
        .offset:         96
        .size:           8
        .value_kind:     global_buffer
      - .offset:         104
        .size:           4
        .value_kind:     by_value
      - .offset:         108
        .size:           4
        .value_kind:     by_value
      - .offset:         112
        .size:           4
        .value_kind:     by_value
      - .offset:         116
        .size:           4
        .value_kind:     by_value
      - .offset:         120
        .size:           4
        .value_kind:     by_value
      - .offset:         128
        .size:           4
        .value_kind:     hidden_block_count_x
      - .offset:         132
        .size:           4
        .value_kind:     hidden_block_count_y
      - .offset:         136
        .size:           4
        .value_kind:     hidden_block_count_z
      - .offset:         140
        .size:           2
        .value_kind:     hidden_group_size_x
      - .offset:         142
        .size:           2
        .value_kind:     hidden_group_size_y
      - .offset:         144
        .size:           2
        .value_kind:     hidden_group_size_z
      - .offset:         146
        .size:           2
        .value_kind:     hidden_remainder_x
      - .offset:         148
        .size:           2
        .value_kind:     hidden_remainder_y
      - .offset:         150
        .size:           2
        .value_kind:     hidden_remainder_z
      - .offset:         168
        .size:           8
        .value_kind:     hidden_global_offset_x
      - .offset:         176
        .size:           8
        .value_kind:     hidden_global_offset_y
      - .offset:         184
        .size:           8
        .value_kind:     hidden_global_offset_z
      - .offset:         192
        .size:           2
        .value_kind:     hidden_grid_dims
      - .offset:         248
        .size:           4
        .value_kind:     hidden_dynamic_lds_size
    .group_segment_fixed_size: 544
    .kernarg_segment_align: 8
    .kernarg_segment_size: 384
    .language:       OpenCL C
    .language_version:
      - 2
      - 0
    .max_flat_workgroup_size: 1024
    .name:           _ZN4vllm25paged_attention_v1_kernelIthLi256ELi8ELi128ELNS_18Fp8KVCacheDataTypeE1ELb0EEEvPT_PKS2_PKT0_S8_ifPKiSA_iPKfiiiSC_SC_iiiii
    .private_segment_fixed_size: 0
    .sgpr_count:     34
    .sgpr_spill_count: 0
    .symbol:         _ZN4vllm25paged_attention_v1_kernelIthLi256ELi8ELi128ELNS_18Fp8KVCacheDataTypeE1ELb0EEEvPT_PKS2_PKT0_S8_ifPKiSA_iPKfiiiSC_SC_iiiii.kd
    .uniform_work_group_size: 1
    .uses_dynamic_stack: false
    .vgpr_count:     123
    .vgpr_spill_count: 0
    .wavefront_size: 32
  - .args:
      - .actual_access:  write_only
        .address_space:  global
        .offset:         0
        .size:           8
        .value_kind:     global_buffer
      - .actual_access:  read_only
        .address_space:  global
        .offset:         8
        .size:           8
        .value_kind:     global_buffer
      - .actual_access:  read_only
        .address_space:  global
        .offset:         16
        .size:           8
        .value_kind:     global_buffer
      - .actual_access:  read_only
        .address_space:  global
        .offset:         24
        .size:           8
        .value_kind:     global_buffer
      - .offset:         32
        .size:           4
        .value_kind:     by_value
      - .offset:         36
        .size:           4
        .value_kind:     by_value
      - .actual_access:  read_only
        .address_space:  global
        .offset:         40
        .size:           8
        .value_kind:     global_buffer
      - .actual_access:  read_only
        .address_space:  global
        .offset:         48
        .size:           8
        .value_kind:     global_buffer
      - .offset:         56
        .size:           4
        .value_kind:     by_value
      - .actual_access:  read_only
        .address_space:  global
        .offset:         64
        .size:           8
        .value_kind:     global_buffer
      - .offset:         72
        .size:           4
        .value_kind:     by_value
      - .offset:         76
        .size:           4
        .value_kind:     by_value
      - .offset:         80
        .size:           4
        .value_kind:     by_value
      - .address_space:  global
        .offset:         88
        .size:           8
        .value_kind:     global_buffer
      - .address_space:  global
        .offset:         96
        .size:           8
        .value_kind:     global_buffer
      - .offset:         104
        .size:           4
        .value_kind:     by_value
      - .offset:         108
        .size:           4
        .value_kind:     by_value
      - .offset:         112
        .size:           4
        .value_kind:     by_value
      - .offset:         116
        .size:           4
        .value_kind:     by_value
      - .offset:         120
        .size:           4
        .value_kind:     by_value
      - .offset:         128
        .size:           4
        .value_kind:     hidden_block_count_x
      - .offset:         132
        .size:           4
        .value_kind:     hidden_block_count_y
      - .offset:         136
        .size:           4
        .value_kind:     hidden_block_count_z
      - .offset:         140
        .size:           2
        .value_kind:     hidden_group_size_x
      - .offset:         142
        .size:           2
        .value_kind:     hidden_group_size_y
      - .offset:         144
        .size:           2
        .value_kind:     hidden_group_size_z
      - .offset:         146
        .size:           2
        .value_kind:     hidden_remainder_x
      - .offset:         148
        .size:           2
        .value_kind:     hidden_remainder_y
      - .offset:         150
        .size:           2
        .value_kind:     hidden_remainder_z
      - .offset:         168
        .size:           8
        .value_kind:     hidden_global_offset_x
      - .offset:         176
        .size:           8
        .value_kind:     hidden_global_offset_y
      - .offset:         184
        .size:           8
        .value_kind:     hidden_global_offset_z
      - .offset:         192
        .size:           2
        .value_kind:     hidden_grid_dims
      - .offset:         248
        .size:           4
        .value_kind:     hidden_dynamic_lds_size
    .group_segment_fixed_size: 96
    .kernarg_segment_align: 8
    .kernarg_segment_size: 384
    .language:       OpenCL C
    .language_version:
      - 2
      - 0
    .max_flat_workgroup_size: 1024
    .name:           _ZN4vllm25paged_attention_v1_kernelIthLi32ELi16ELi128ELNS_18Fp8KVCacheDataTypeE1ELb1EEEvPT_PKS2_PKT0_S8_ifPKiSA_iPKfiiiSC_SC_iiiii
    .private_segment_fixed_size: 0
    .sgpr_count:     47
    .sgpr_spill_count: 0
    .symbol:         _ZN4vllm25paged_attention_v1_kernelIthLi32ELi16ELi128ELNS_18Fp8KVCacheDataTypeE1ELb1EEEvPT_PKS2_PKT0_S8_ifPKiSA_iPKfiiiSC_SC_iiiii.kd
    .uniform_work_group_size: 1
    .uses_dynamic_stack: false
    .vgpr_count:     54
    .vgpr_spill_count: 0
    .wavefront_size: 32
  - .args:
      - .actual_access:  write_only
        .address_space:  global
        .offset:         0
        .size:           8
        .value_kind:     global_buffer
      - .actual_access:  read_only
        .address_space:  global
        .offset:         8
        .size:           8
        .value_kind:     global_buffer
      - .actual_access:  read_only
        .address_space:  global
        .offset:         16
        .size:           8
        .value_kind:     global_buffer
      - .actual_access:  read_only
        .address_space:  global
        .offset:         24
        .size:           8
        .value_kind:     global_buffer
      - .offset:         32
        .size:           4
        .value_kind:     by_value
      - .offset:         36
        .size:           4
        .value_kind:     by_value
      - .actual_access:  read_only
        .address_space:  global
        .offset:         40
        .size:           8
        .value_kind:     global_buffer
      - .actual_access:  read_only
        .address_space:  global
        .offset:         48
        .size:           8
        .value_kind:     global_buffer
      - .offset:         56
        .size:           4
        .value_kind:     by_value
      - .actual_access:  read_only
        .address_space:  global
        .offset:         64
        .size:           8
        .value_kind:     global_buffer
      - .offset:         72
        .size:           4
        .value_kind:     by_value
      - .offset:         76
        .size:           4
        .value_kind:     by_value
      - .offset:         80
        .size:           4
        .value_kind:     by_value
      - .address_space:  global
        .offset:         88
        .size:           8
        .value_kind:     global_buffer
      - .address_space:  global
        .offset:         96
        .size:           8
        .value_kind:     global_buffer
      - .offset:         104
        .size:           4
        .value_kind:     by_value
      - .offset:         108
        .size:           4
        .value_kind:     by_value
      - .offset:         112
        .size:           4
        .value_kind:     by_value
      - .offset:         116
        .size:           4
        .value_kind:     by_value
      - .offset:         120
        .size:           4
        .value_kind:     by_value
      - .offset:         128
        .size:           4
        .value_kind:     hidden_block_count_x
      - .offset:         132
        .size:           4
        .value_kind:     hidden_block_count_y
      - .offset:         136
        .size:           4
        .value_kind:     hidden_block_count_z
      - .offset:         140
        .size:           2
        .value_kind:     hidden_group_size_x
      - .offset:         142
        .size:           2
        .value_kind:     hidden_group_size_y
      - .offset:         144
        .size:           2
        .value_kind:     hidden_group_size_z
      - .offset:         146
        .size:           2
        .value_kind:     hidden_remainder_x
      - .offset:         148
        .size:           2
        .value_kind:     hidden_remainder_y
      - .offset:         150
        .size:           2
        .value_kind:     hidden_remainder_z
      - .offset:         168
        .size:           8
        .value_kind:     hidden_global_offset_x
      - .offset:         176
        .size:           8
        .value_kind:     hidden_global_offset_y
      - .offset:         184
        .size:           8
        .value_kind:     hidden_global_offset_z
      - .offset:         192
        .size:           2
        .value_kind:     hidden_grid_dims
      - .offset:         248
        .size:           4
        .value_kind:     hidden_dynamic_lds_size
    .group_segment_fixed_size: 160
    .kernarg_segment_align: 8
    .kernarg_segment_size: 384
    .language:       OpenCL C
    .language_version:
      - 2
      - 0
    .max_flat_workgroup_size: 1024
    .name:           _ZN4vllm25paged_attention_v1_kernelIthLi64ELi16ELi128ELNS_18Fp8KVCacheDataTypeE1ELb1EEEvPT_PKS2_PKT0_S8_ifPKiSA_iPKfiiiSC_SC_iiiii
    .private_segment_fixed_size: 0
    .sgpr_count:     47
    .sgpr_spill_count: 0
    .symbol:         _ZN4vllm25paged_attention_v1_kernelIthLi64ELi16ELi128ELNS_18Fp8KVCacheDataTypeE1ELb1EEEvPT_PKS2_PKT0_S8_ifPKiSA_iPKfiiiSC_SC_iiiii.kd
    .uniform_work_group_size: 1
    .uses_dynamic_stack: false
    .vgpr_count:     83
    .vgpr_spill_count: 0
    .wavefront_size: 32
  - .args:
      - .actual_access:  write_only
        .address_space:  global
        .offset:         0
        .size:           8
        .value_kind:     global_buffer
      - .actual_access:  read_only
        .address_space:  global
        .offset:         8
        .size:           8
        .value_kind:     global_buffer
      - .actual_access:  read_only
        .address_space:  global
        .offset:         16
        .size:           8
        .value_kind:     global_buffer
      - .actual_access:  read_only
        .address_space:  global
        .offset:         24
        .size:           8
        .value_kind:     global_buffer
      - .offset:         32
        .size:           4
        .value_kind:     by_value
      - .offset:         36
        .size:           4
        .value_kind:     by_value
      - .actual_access:  read_only
        .address_space:  global
        .offset:         40
        .size:           8
        .value_kind:     global_buffer
      - .actual_access:  read_only
        .address_space:  global
        .offset:         48
        .size:           8
        .value_kind:     global_buffer
      - .offset:         56
        .size:           4
        .value_kind:     by_value
      - .actual_access:  read_only
        .address_space:  global
        .offset:         64
        .size:           8
        .value_kind:     global_buffer
      - .offset:         72
        .size:           4
        .value_kind:     by_value
      - .offset:         76
        .size:           4
        .value_kind:     by_value
      - .offset:         80
        .size:           4
        .value_kind:     by_value
      - .address_space:  global
        .offset:         88
        .size:           8
        .value_kind:     global_buffer
      - .address_space:  global
        .offset:         96
        .size:           8
        .value_kind:     global_buffer
      - .offset:         104
        .size:           4
        .value_kind:     by_value
      - .offset:         108
        .size:           4
        .value_kind:     by_value
      - .offset:         112
        .size:           4
        .value_kind:     by_value
      - .offset:         116
        .size:           4
        .value_kind:     by_value
      - .offset:         120
        .size:           4
        .value_kind:     by_value
      - .offset:         128
        .size:           4
        .value_kind:     hidden_block_count_x
      - .offset:         132
        .size:           4
        .value_kind:     hidden_block_count_y
      - .offset:         136
        .size:           4
        .value_kind:     hidden_block_count_z
      - .offset:         140
        .size:           2
        .value_kind:     hidden_group_size_x
      - .offset:         142
        .size:           2
        .value_kind:     hidden_group_size_y
      - .offset:         144
        .size:           2
        .value_kind:     hidden_group_size_z
      - .offset:         146
        .size:           2
        .value_kind:     hidden_remainder_x
      - .offset:         148
        .size:           2
        .value_kind:     hidden_remainder_y
      - .offset:         150
        .size:           2
        .value_kind:     hidden_remainder_z
      - .offset:         168
        .size:           8
        .value_kind:     hidden_global_offset_x
      - .offset:         176
        .size:           8
        .value_kind:     hidden_global_offset_y
      - .offset:         184
        .size:           8
        .value_kind:     hidden_global_offset_z
      - .offset:         192
        .size:           2
        .value_kind:     hidden_grid_dims
      - .offset:         248
        .size:           4
        .value_kind:     hidden_dynamic_lds_size
    .group_segment_fixed_size: 192
    .kernarg_segment_align: 8
    .kernarg_segment_size: 384
    .language:       OpenCL C
    .language_version:
      - 2
      - 0
    .max_flat_workgroup_size: 1024
    .name:           _ZN4vllm25paged_attention_v1_kernelIthLi80ELi16ELi128ELNS_18Fp8KVCacheDataTypeE1ELb1EEEvPT_PKS2_PKT0_S8_ifPKiSA_iPKfiiiSC_SC_iiiii
    .private_segment_fixed_size: 0
    .sgpr_count:     47
    .sgpr_spill_count: 0
    .symbol:         _ZN4vllm25paged_attention_v1_kernelIthLi80ELi16ELi128ELNS_18Fp8KVCacheDataTypeE1ELb1EEEvPT_PKS2_PKT0_S8_ifPKiSA_iPKfiiiSC_SC_iiiii.kd
    .uniform_work_group_size: 1
    .uses_dynamic_stack: false
    .vgpr_count:     98
    .vgpr_spill_count: 0
    .wavefront_size: 32
  - .args:
      - .actual_access:  write_only
        .address_space:  global
        .offset:         0
        .size:           8
        .value_kind:     global_buffer
      - .actual_access:  read_only
        .address_space:  global
        .offset:         8
        .size:           8
        .value_kind:     global_buffer
      - .actual_access:  read_only
        .address_space:  global
        .offset:         16
        .size:           8
        .value_kind:     global_buffer
      - .actual_access:  read_only
        .address_space:  global
        .offset:         24
        .size:           8
        .value_kind:     global_buffer
      - .offset:         32
        .size:           4
        .value_kind:     by_value
      - .offset:         36
        .size:           4
        .value_kind:     by_value
      - .actual_access:  read_only
        .address_space:  global
        .offset:         40
        .size:           8
        .value_kind:     global_buffer
      - .actual_access:  read_only
        .address_space:  global
        .offset:         48
        .size:           8
        .value_kind:     global_buffer
      - .offset:         56
        .size:           4
        .value_kind:     by_value
      - .actual_access:  read_only
        .address_space:  global
        .offset:         64
        .size:           8
        .value_kind:     global_buffer
      - .offset:         72
        .size:           4
        .value_kind:     by_value
      - .offset:         76
        .size:           4
        .value_kind:     by_value
      - .offset:         80
        .size:           4
        .value_kind:     by_value
      - .address_space:  global
        .offset:         88
        .size:           8
        .value_kind:     global_buffer
      - .address_space:  global
        .offset:         96
        .size:           8
        .value_kind:     global_buffer
      - .offset:         104
        .size:           4
        .value_kind:     by_value
      - .offset:         108
        .size:           4
        .value_kind:     by_value
      - .offset:         112
        .size:           4
        .value_kind:     by_value
      - .offset:         116
        .size:           4
        .value_kind:     by_value
      - .offset:         120
        .size:           4
        .value_kind:     by_value
      - .offset:         128
        .size:           4
        .value_kind:     hidden_block_count_x
      - .offset:         132
        .size:           4
        .value_kind:     hidden_block_count_y
      - .offset:         136
        .size:           4
        .value_kind:     hidden_block_count_z
      - .offset:         140
        .size:           2
        .value_kind:     hidden_group_size_x
      - .offset:         142
        .size:           2
        .value_kind:     hidden_group_size_y
      - .offset:         144
        .size:           2
        .value_kind:     hidden_group_size_z
      - .offset:         146
        .size:           2
        .value_kind:     hidden_remainder_x
      - .offset:         148
        .size:           2
        .value_kind:     hidden_remainder_y
      - .offset:         150
        .size:           2
        .value_kind:     hidden_remainder_z
      - .offset:         168
        .size:           8
        .value_kind:     hidden_global_offset_x
      - .offset:         176
        .size:           8
        .value_kind:     hidden_global_offset_y
      - .offset:         184
        .size:           8
        .value_kind:     hidden_global_offset_z
      - .offset:         192
        .size:           2
        .value_kind:     hidden_grid_dims
      - .offset:         248
        .size:           4
        .value_kind:     hidden_dynamic_lds_size
    .group_segment_fixed_size: 224
    .kernarg_segment_align: 8
    .kernarg_segment_size: 384
    .language:       OpenCL C
    .language_version:
      - 2
      - 0
    .max_flat_workgroup_size: 1024
    .name:           _ZN4vllm25paged_attention_v1_kernelIthLi96ELi16ELi128ELNS_18Fp8KVCacheDataTypeE1ELb1EEEvPT_PKS2_PKT0_S8_ifPKiSA_iPKfiiiSC_SC_iiiii
    .private_segment_fixed_size: 0
    .sgpr_count:     47
    .sgpr_spill_count: 0
    .symbol:         _ZN4vllm25paged_attention_v1_kernelIthLi96ELi16ELi128ELNS_18Fp8KVCacheDataTypeE1ELb1EEEvPT_PKS2_PKT0_S8_ifPKiSA_iPKfiiiSC_SC_iiiii.kd
    .uniform_work_group_size: 1
    .uses_dynamic_stack: false
    .vgpr_count:     111
    .vgpr_spill_count: 0
    .wavefront_size: 32
  - .args:
      - .actual_access:  write_only
        .address_space:  global
        .offset:         0
        .size:           8
        .value_kind:     global_buffer
      - .actual_access:  read_only
        .address_space:  global
        .offset:         8
        .size:           8
        .value_kind:     global_buffer
      - .actual_access:  read_only
        .address_space:  global
        .offset:         16
        .size:           8
        .value_kind:     global_buffer
      - .actual_access:  read_only
        .address_space:  global
        .offset:         24
        .size:           8
        .value_kind:     global_buffer
      - .offset:         32
        .size:           4
        .value_kind:     by_value
      - .offset:         36
        .size:           4
        .value_kind:     by_value
      - .actual_access:  read_only
        .address_space:  global
        .offset:         40
        .size:           8
        .value_kind:     global_buffer
      - .actual_access:  read_only
        .address_space:  global
        .offset:         48
        .size:           8
        .value_kind:     global_buffer
      - .offset:         56
        .size:           4
        .value_kind:     by_value
      - .actual_access:  read_only
        .address_space:  global
        .offset:         64
        .size:           8
        .value_kind:     global_buffer
      - .offset:         72
        .size:           4
        .value_kind:     by_value
      - .offset:         76
        .size:           4
        .value_kind:     by_value
      - .offset:         80
        .size:           4
        .value_kind:     by_value
      - .address_space:  global
        .offset:         88
        .size:           8
        .value_kind:     global_buffer
      - .address_space:  global
        .offset:         96
        .size:           8
        .value_kind:     global_buffer
      - .offset:         104
        .size:           4
        .value_kind:     by_value
      - .offset:         108
        .size:           4
        .value_kind:     by_value
      - .offset:         112
        .size:           4
        .value_kind:     by_value
      - .offset:         116
        .size:           4
        .value_kind:     by_value
      - .offset:         120
        .size:           4
        .value_kind:     by_value
      - .offset:         128
        .size:           4
        .value_kind:     hidden_block_count_x
      - .offset:         132
        .size:           4
        .value_kind:     hidden_block_count_y
      - .offset:         136
        .size:           4
        .value_kind:     hidden_block_count_z
      - .offset:         140
        .size:           2
        .value_kind:     hidden_group_size_x
      - .offset:         142
        .size:           2
        .value_kind:     hidden_group_size_y
      - .offset:         144
        .size:           2
        .value_kind:     hidden_group_size_z
      - .offset:         146
        .size:           2
        .value_kind:     hidden_remainder_x
      - .offset:         148
        .size:           2
        .value_kind:     hidden_remainder_y
      - .offset:         150
        .size:           2
        .value_kind:     hidden_remainder_z
      - .offset:         168
        .size:           8
        .value_kind:     hidden_global_offset_x
      - .offset:         176
        .size:           8
        .value_kind:     hidden_global_offset_y
      - .offset:         184
        .size:           8
        .value_kind:     hidden_global_offset_z
      - .offset:         192
        .size:           2
        .value_kind:     hidden_grid_dims
      - .offset:         248
        .size:           4
        .value_kind:     hidden_dynamic_lds_size
    .group_segment_fixed_size: 256
    .kernarg_segment_align: 8
    .kernarg_segment_size: 384
    .language:       OpenCL C
    .language_version:
      - 2
      - 0
    .max_flat_workgroup_size: 1024
    .name:           _ZN4vllm25paged_attention_v1_kernelIthLi112ELi16ELi128ELNS_18Fp8KVCacheDataTypeE1ELb1EEEvPT_PKS2_PKT0_S8_ifPKiSA_iPKfiiiSC_SC_iiiii
    .private_segment_fixed_size: 0
    .sgpr_count:     47
    .sgpr_spill_count: 0
    .symbol:         _ZN4vllm25paged_attention_v1_kernelIthLi112ELi16ELi128ELNS_18Fp8KVCacheDataTypeE1ELb1EEEvPT_PKS2_PKT0_S8_ifPKiSA_iPKfiiiSC_SC_iiiii.kd
    .uniform_work_group_size: 1
    .uses_dynamic_stack: false
    .vgpr_count:     123
    .vgpr_spill_count: 0
    .wavefront_size: 32
  - .args:
      - .actual_access:  write_only
        .address_space:  global
        .offset:         0
        .size:           8
        .value_kind:     global_buffer
      - .actual_access:  read_only
        .address_space:  global
        .offset:         8
        .size:           8
        .value_kind:     global_buffer
      - .actual_access:  read_only
        .address_space:  global
        .offset:         16
        .size:           8
        .value_kind:     global_buffer
      - .actual_access:  read_only
        .address_space:  global
        .offset:         24
        .size:           8
        .value_kind:     global_buffer
      - .offset:         32
        .size:           4
        .value_kind:     by_value
      - .offset:         36
        .size:           4
        .value_kind:     by_value
      - .actual_access:  read_only
        .address_space:  global
        .offset:         40
        .size:           8
        .value_kind:     global_buffer
      - .actual_access:  read_only
        .address_space:  global
        .offset:         48
        .size:           8
        .value_kind:     global_buffer
      - .offset:         56
        .size:           4
        .value_kind:     by_value
      - .actual_access:  read_only
        .address_space:  global
        .offset:         64
        .size:           8
        .value_kind:     global_buffer
      - .offset:         72
        .size:           4
        .value_kind:     by_value
      - .offset:         76
        .size:           4
        .value_kind:     by_value
      - .offset:         80
        .size:           4
        .value_kind:     by_value
      - .address_space:  global
        .offset:         88
        .size:           8
        .value_kind:     global_buffer
      - .address_space:  global
        .offset:         96
        .size:           8
        .value_kind:     global_buffer
      - .offset:         104
        .size:           4
        .value_kind:     by_value
      - .offset:         108
        .size:           4
        .value_kind:     by_value
      - .offset:         112
        .size:           4
        .value_kind:     by_value
      - .offset:         116
        .size:           4
        .value_kind:     by_value
      - .offset:         120
        .size:           4
        .value_kind:     by_value
      - .offset:         128
        .size:           4
        .value_kind:     hidden_block_count_x
      - .offset:         132
        .size:           4
        .value_kind:     hidden_block_count_y
      - .offset:         136
        .size:           4
        .value_kind:     hidden_block_count_z
      - .offset:         140
        .size:           2
        .value_kind:     hidden_group_size_x
      - .offset:         142
        .size:           2
        .value_kind:     hidden_group_size_y
      - .offset:         144
        .size:           2
        .value_kind:     hidden_group_size_z
      - .offset:         146
        .size:           2
        .value_kind:     hidden_remainder_x
      - .offset:         148
        .size:           2
        .value_kind:     hidden_remainder_y
      - .offset:         150
        .size:           2
        .value_kind:     hidden_remainder_z
      - .offset:         168
        .size:           8
        .value_kind:     hidden_global_offset_x
      - .offset:         176
        .size:           8
        .value_kind:     hidden_global_offset_y
      - .offset:         184
        .size:           8
        .value_kind:     hidden_global_offset_z
      - .offset:         192
        .size:           2
        .value_kind:     hidden_grid_dims
      - .offset:         248
        .size:           4
        .value_kind:     hidden_dynamic_lds_size
    .group_segment_fixed_size: 272
    .kernarg_segment_align: 8
    .kernarg_segment_size: 384
    .language:       OpenCL C
    .language_version:
      - 2
      - 0
    .max_flat_workgroup_size: 1024
    .name:           _ZN4vllm25paged_attention_v1_kernelIthLi120ELi16ELi128ELNS_18Fp8KVCacheDataTypeE1ELb1EEEvPT_PKS2_PKT0_S8_ifPKiSA_iPKfiiiSC_SC_iiiii
    .private_segment_fixed_size: 0
    .sgpr_count:     47
    .sgpr_spill_count: 0
    .symbol:         _ZN4vllm25paged_attention_v1_kernelIthLi120ELi16ELi128ELNS_18Fp8KVCacheDataTypeE1ELb1EEEvPT_PKS2_PKT0_S8_ifPKiSA_iPKfiiiSC_SC_iiiii.kd
    .uniform_work_group_size: 1
    .uses_dynamic_stack: false
    .vgpr_count:     128
    .vgpr_spill_count: 0
    .wavefront_size: 32
  - .args:
      - .actual_access:  write_only
        .address_space:  global
        .offset:         0
        .size:           8
        .value_kind:     global_buffer
      - .actual_access:  read_only
        .address_space:  global
        .offset:         8
        .size:           8
        .value_kind:     global_buffer
      - .actual_access:  read_only
        .address_space:  global
        .offset:         16
        .size:           8
        .value_kind:     global_buffer
      - .actual_access:  read_only
        .address_space:  global
        .offset:         24
        .size:           8
        .value_kind:     global_buffer
      - .offset:         32
        .size:           4
        .value_kind:     by_value
      - .offset:         36
        .size:           4
        .value_kind:     by_value
      - .actual_access:  read_only
        .address_space:  global
        .offset:         40
        .size:           8
        .value_kind:     global_buffer
      - .actual_access:  read_only
        .address_space:  global
        .offset:         48
        .size:           8
        .value_kind:     global_buffer
      - .offset:         56
        .size:           4
        .value_kind:     by_value
      - .actual_access:  read_only
        .address_space:  global
        .offset:         64
        .size:           8
        .value_kind:     global_buffer
      - .offset:         72
        .size:           4
        .value_kind:     by_value
      - .offset:         76
        .size:           4
        .value_kind:     by_value
      - .offset:         80
        .size:           4
        .value_kind:     by_value
      - .address_space:  global
        .offset:         88
        .size:           8
        .value_kind:     global_buffer
      - .address_space:  global
        .offset:         96
        .size:           8
        .value_kind:     global_buffer
      - .offset:         104
        .size:           4
        .value_kind:     by_value
      - .offset:         108
        .size:           4
        .value_kind:     by_value
      - .offset:         112
        .size:           4
        .value_kind:     by_value
      - .offset:         116
        .size:           4
        .value_kind:     by_value
      - .offset:         120
        .size:           4
        .value_kind:     by_value
      - .offset:         128
        .size:           4
        .value_kind:     hidden_block_count_x
      - .offset:         132
        .size:           4
        .value_kind:     hidden_block_count_y
      - .offset:         136
        .size:           4
        .value_kind:     hidden_block_count_z
      - .offset:         140
        .size:           2
        .value_kind:     hidden_group_size_x
      - .offset:         142
        .size:           2
        .value_kind:     hidden_group_size_y
      - .offset:         144
        .size:           2
        .value_kind:     hidden_group_size_z
      - .offset:         146
        .size:           2
        .value_kind:     hidden_remainder_x
      - .offset:         148
        .size:           2
        .value_kind:     hidden_remainder_y
      - .offset:         150
        .size:           2
        .value_kind:     hidden_remainder_z
      - .offset:         168
        .size:           8
        .value_kind:     hidden_global_offset_x
      - .offset:         176
        .size:           8
        .value_kind:     hidden_global_offset_y
      - .offset:         184
        .size:           8
        .value_kind:     hidden_global_offset_z
      - .offset:         192
        .size:           2
        .value_kind:     hidden_grid_dims
      - .offset:         248
        .size:           4
        .value_kind:     hidden_dynamic_lds_size
    .group_segment_fixed_size: 288
    .kernarg_segment_align: 8
    .kernarg_segment_size: 384
    .language:       OpenCL C
    .language_version:
      - 2
      - 0
    .max_flat_workgroup_size: 1024
    .name:           _ZN4vllm25paged_attention_v1_kernelIthLi128ELi16ELi128ELNS_18Fp8KVCacheDataTypeE1ELb1EEEvPT_PKS2_PKT0_S8_ifPKiSA_iPKfiiiSC_SC_iiiii
    .private_segment_fixed_size: 0
    .sgpr_count:     48
    .sgpr_spill_count: 0
    .symbol:         _ZN4vllm25paged_attention_v1_kernelIthLi128ELi16ELi128ELNS_18Fp8KVCacheDataTypeE1ELb1EEEvPT_PKS2_PKT0_S8_ifPKiSA_iPKfiiiSC_SC_iiiii.kd
    .uniform_work_group_size: 1
    .uses_dynamic_stack: false
    .vgpr_count:     128
    .vgpr_spill_count: 0
    .wavefront_size: 32
  - .args:
      - .address_space:  global
        .offset:         0
        .size:           8
        .value_kind:     global_buffer
      - .address_space:  global
        .offset:         8
        .size:           8
        .value_kind:     global_buffer
      - .address_space:  global
        .offset:         16
        .size:           8
        .value_kind:     global_buffer
      - .address_space:  global
        .offset:         24
        .size:           8
        .value_kind:     global_buffer
      - .offset:         32
        .size:           4
        .value_kind:     by_value
      - .offset:         36
        .size:           4
        .value_kind:     by_value
      - .address_space:  global
        .offset:         40
        .size:           8
        .value_kind:     global_buffer
      - .address_space:  global
        .offset:         48
        .size:           8
        .value_kind:     global_buffer
      - .offset:         56
        .size:           4
        .value_kind:     by_value
      - .address_space:  global
        .offset:         64
        .size:           8
        .value_kind:     global_buffer
      - .offset:         72
        .size:           4
        .value_kind:     by_value
      - .offset:         76
        .size:           4
        .value_kind:     by_value
      - .offset:         80
        .size:           4
        .value_kind:     by_value
      - .address_space:  global
        .offset:         88
        .size:           8
        .value_kind:     global_buffer
      - .address_space:  global
        .offset:         96
        .size:           8
        .value_kind:     global_buffer
      - .offset:         104
        .size:           4
        .value_kind:     by_value
      - .offset:         108
        .size:           4
        .value_kind:     by_value
      - .offset:         112
        .size:           4
        .value_kind:     by_value
      - .offset:         116
        .size:           4
        .value_kind:     by_value
      - .offset:         120
        .size:           4
        .value_kind:     by_value
      - .offset:         128
        .size:           4
        .value_kind:     hidden_block_count_x
      - .offset:         132
        .size:           4
        .value_kind:     hidden_block_count_y
      - .offset:         136
        .size:           4
        .value_kind:     hidden_block_count_z
      - .offset:         140
        .size:           2
        .value_kind:     hidden_group_size_x
      - .offset:         142
        .size:           2
        .value_kind:     hidden_group_size_y
      - .offset:         144
        .size:           2
        .value_kind:     hidden_group_size_z
      - .offset:         146
        .size:           2
        .value_kind:     hidden_remainder_x
      - .offset:         148
        .size:           2
        .value_kind:     hidden_remainder_y
      - .offset:         150
        .size:           2
        .value_kind:     hidden_remainder_z
      - .offset:         168
        .size:           8
        .value_kind:     hidden_global_offset_x
      - .offset:         176
        .size:           8
        .value_kind:     hidden_global_offset_y
      - .offset:         184
        .size:           8
        .value_kind:     hidden_global_offset_z
      - .offset:         192
        .size:           2
        .value_kind:     hidden_grid_dims
      - .offset:         248
        .size:           4
        .value_kind:     hidden_dynamic_lds_size
    .group_segment_fixed_size: 416
    .kernarg_segment_align: 8
    .kernarg_segment_size: 384
    .language:       OpenCL C
    .language_version:
      - 2
      - 0
    .max_flat_workgroup_size: 1024
    .name:           _ZN4vllm25paged_attention_v1_kernelIthLi192ELi16ELi128ELNS_18Fp8KVCacheDataTypeE1ELb1EEEvPT_PKS2_PKT0_S8_ifPKiSA_iPKfiiiSC_SC_iiiii
    .private_segment_fixed_size: 304
    .sgpr_count:     41
    .sgpr_spill_count: 0
    .symbol:         _ZN4vllm25paged_attention_v1_kernelIthLi192ELi16ELi128ELNS_18Fp8KVCacheDataTypeE1ELb1EEEvPT_PKS2_PKT0_S8_ifPKiSA_iPKfiiiSC_SC_iiiii.kd
    .uniform_work_group_size: 1
    .uses_dynamic_stack: false
    .vgpr_count:     128
    .vgpr_spill_count: 0
    .wavefront_size: 32
  - .args:
      - .address_space:  global
        .offset:         0
        .size:           8
        .value_kind:     global_buffer
      - .address_space:  global
        .offset:         8
        .size:           8
        .value_kind:     global_buffer
      - .address_space:  global
        .offset:         16
        .size:           8
        .value_kind:     global_buffer
      - .address_space:  global
        .offset:         24
        .size:           8
        .value_kind:     global_buffer
      - .offset:         32
        .size:           4
        .value_kind:     by_value
      - .offset:         36
        .size:           4
        .value_kind:     by_value
      - .address_space:  global
        .offset:         40
        .size:           8
        .value_kind:     global_buffer
      - .address_space:  global
        .offset:         48
        .size:           8
        .value_kind:     global_buffer
      - .offset:         56
        .size:           4
        .value_kind:     by_value
      - .address_space:  global
        .offset:         64
        .size:           8
        .value_kind:     global_buffer
      - .offset:         72
        .size:           4
        .value_kind:     by_value
      - .offset:         76
        .size:           4
        .value_kind:     by_value
      - .offset:         80
        .size:           4
        .value_kind:     by_value
      - .address_space:  global
        .offset:         88
        .size:           8
        .value_kind:     global_buffer
      - .address_space:  global
        .offset:         96
        .size:           8
        .value_kind:     global_buffer
      - .offset:         104
        .size:           4
        .value_kind:     by_value
      - .offset:         108
        .size:           4
        .value_kind:     by_value
      - .offset:         112
        .size:           4
        .value_kind:     by_value
      - .offset:         116
        .size:           4
        .value_kind:     by_value
      - .offset:         120
        .size:           4
        .value_kind:     by_value
      - .offset:         128
        .size:           4
        .value_kind:     hidden_block_count_x
      - .offset:         132
        .size:           4
        .value_kind:     hidden_block_count_y
      - .offset:         136
        .size:           4
        .value_kind:     hidden_block_count_z
      - .offset:         140
        .size:           2
        .value_kind:     hidden_group_size_x
      - .offset:         142
        .size:           2
        .value_kind:     hidden_group_size_y
      - .offset:         144
        .size:           2
        .value_kind:     hidden_group_size_z
      - .offset:         146
        .size:           2
        .value_kind:     hidden_remainder_x
      - .offset:         148
        .size:           2
        .value_kind:     hidden_remainder_y
      - .offset:         150
        .size:           2
        .value_kind:     hidden_remainder_z
      - .offset:         168
        .size:           8
        .value_kind:     hidden_global_offset_x
      - .offset:         176
        .size:           8
        .value_kind:     hidden_global_offset_y
      - .offset:         184
        .size:           8
        .value_kind:     hidden_global_offset_z
      - .offset:         192
        .size:           2
        .value_kind:     hidden_grid_dims
      - .offset:         248
        .size:           4
        .value_kind:     hidden_dynamic_lds_size
    .group_segment_fixed_size: 544
    .kernarg_segment_align: 8
    .kernarg_segment_size: 384
    .language:       OpenCL C
    .language_version:
      - 2
      - 0
    .max_flat_workgroup_size: 1024
    .name:           _ZN4vllm25paged_attention_v1_kernelIthLi256ELi16ELi128ELNS_18Fp8KVCacheDataTypeE1ELb1EEEvPT_PKS2_PKT0_S8_ifPKiSA_iPKfiiiSC_SC_iiiii
    .private_segment_fixed_size: 548
    .sgpr_count:     41
    .sgpr_spill_count: 0
    .symbol:         _ZN4vllm25paged_attention_v1_kernelIthLi256ELi16ELi128ELNS_18Fp8KVCacheDataTypeE1ELb1EEEvPT_PKS2_PKT0_S8_ifPKiSA_iPKfiiiSC_SC_iiiii.kd
    .uniform_work_group_size: 1
    .uses_dynamic_stack: false
    .vgpr_count:     128
    .vgpr_spill_count: 0
    .wavefront_size: 32
  - .args:
      - .actual_access:  write_only
        .address_space:  global
        .offset:         0
        .size:           8
        .value_kind:     global_buffer
      - .actual_access:  read_only
        .address_space:  global
        .offset:         8
        .size:           8
        .value_kind:     global_buffer
      - .actual_access:  read_only
        .address_space:  global
        .offset:         16
        .size:           8
        .value_kind:     global_buffer
      - .actual_access:  read_only
        .address_space:  global
        .offset:         24
        .size:           8
        .value_kind:     global_buffer
      - .offset:         32
        .size:           4
        .value_kind:     by_value
      - .offset:         36
        .size:           4
        .value_kind:     by_value
      - .actual_access:  read_only
        .address_space:  global
        .offset:         40
        .size:           8
        .value_kind:     global_buffer
      - .actual_access:  read_only
        .address_space:  global
        .offset:         48
        .size:           8
        .value_kind:     global_buffer
      - .offset:         56
        .size:           4
        .value_kind:     by_value
      - .actual_access:  read_only
        .address_space:  global
        .offset:         64
        .size:           8
        .value_kind:     global_buffer
      - .offset:         72
        .size:           4
        .value_kind:     by_value
      - .offset:         76
        .size:           4
        .value_kind:     by_value
      - .offset:         80
        .size:           4
        .value_kind:     by_value
      - .address_space:  global
        .offset:         88
        .size:           8
        .value_kind:     global_buffer
      - .address_space:  global
        .offset:         96
        .size:           8
        .value_kind:     global_buffer
      - .offset:         104
        .size:           4
        .value_kind:     by_value
      - .offset:         108
        .size:           4
        .value_kind:     by_value
      - .offset:         112
        .size:           4
        .value_kind:     by_value
      - .offset:         116
        .size:           4
        .value_kind:     by_value
      - .offset:         120
        .size:           4
        .value_kind:     by_value
      - .offset:         128
        .size:           4
        .value_kind:     hidden_block_count_x
      - .offset:         132
        .size:           4
        .value_kind:     hidden_block_count_y
      - .offset:         136
        .size:           4
        .value_kind:     hidden_block_count_z
      - .offset:         140
        .size:           2
        .value_kind:     hidden_group_size_x
      - .offset:         142
        .size:           2
        .value_kind:     hidden_group_size_y
      - .offset:         144
        .size:           2
        .value_kind:     hidden_group_size_z
      - .offset:         146
        .size:           2
        .value_kind:     hidden_remainder_x
      - .offset:         148
        .size:           2
        .value_kind:     hidden_remainder_y
      - .offset:         150
        .size:           2
        .value_kind:     hidden_remainder_z
      - .offset:         168
        .size:           8
        .value_kind:     hidden_global_offset_x
      - .offset:         176
        .size:           8
        .value_kind:     hidden_global_offset_y
      - .offset:         184
        .size:           8
        .value_kind:     hidden_global_offset_z
      - .offset:         192
        .size:           2
        .value_kind:     hidden_grid_dims
      - .offset:         248
        .size:           4
        .value_kind:     hidden_dynamic_lds_size
    .group_segment_fixed_size: 96
    .kernarg_segment_align: 8
    .kernarg_segment_size: 384
    .language:       OpenCL C
    .language_version:
      - 2
      - 0
    .max_flat_workgroup_size: 1024
    .name:           _ZN4vllm25paged_attention_v1_kernelIthLi32ELi16ELi128ELNS_18Fp8KVCacheDataTypeE1ELb0EEEvPT_PKS2_PKT0_S8_ifPKiSA_iPKfiiiSC_SC_iiiii
    .private_segment_fixed_size: 0
    .sgpr_count:     34
    .sgpr_spill_count: 0
    .symbol:         _ZN4vllm25paged_attention_v1_kernelIthLi32ELi16ELi128ELNS_18Fp8KVCacheDataTypeE1ELb0EEEvPT_PKS2_PKT0_S8_ifPKiSA_iPKfiiiSC_SC_iiiii.kd
    .uniform_work_group_size: 1
    .uses_dynamic_stack: false
    .vgpr_count:     51
    .vgpr_spill_count: 0
    .wavefront_size: 32
  - .args:
      - .actual_access:  write_only
        .address_space:  global
        .offset:         0
        .size:           8
        .value_kind:     global_buffer
      - .actual_access:  read_only
        .address_space:  global
        .offset:         8
        .size:           8
        .value_kind:     global_buffer
      - .actual_access:  read_only
        .address_space:  global
        .offset:         16
        .size:           8
        .value_kind:     global_buffer
      - .actual_access:  read_only
        .address_space:  global
        .offset:         24
        .size:           8
        .value_kind:     global_buffer
      - .offset:         32
        .size:           4
        .value_kind:     by_value
      - .offset:         36
        .size:           4
        .value_kind:     by_value
      - .actual_access:  read_only
        .address_space:  global
        .offset:         40
        .size:           8
        .value_kind:     global_buffer
      - .actual_access:  read_only
        .address_space:  global
        .offset:         48
        .size:           8
        .value_kind:     global_buffer
      - .offset:         56
        .size:           4
        .value_kind:     by_value
      - .actual_access:  read_only
        .address_space:  global
        .offset:         64
        .size:           8
        .value_kind:     global_buffer
      - .offset:         72
        .size:           4
        .value_kind:     by_value
      - .offset:         76
        .size:           4
        .value_kind:     by_value
      - .offset:         80
        .size:           4
        .value_kind:     by_value
      - .address_space:  global
        .offset:         88
        .size:           8
        .value_kind:     global_buffer
      - .address_space:  global
        .offset:         96
        .size:           8
        .value_kind:     global_buffer
      - .offset:         104
        .size:           4
        .value_kind:     by_value
      - .offset:         108
        .size:           4
        .value_kind:     by_value
      - .offset:         112
        .size:           4
        .value_kind:     by_value
      - .offset:         116
        .size:           4
        .value_kind:     by_value
      - .offset:         120
        .size:           4
        .value_kind:     by_value
      - .offset:         128
        .size:           4
        .value_kind:     hidden_block_count_x
      - .offset:         132
        .size:           4
        .value_kind:     hidden_block_count_y
      - .offset:         136
        .size:           4
        .value_kind:     hidden_block_count_z
      - .offset:         140
        .size:           2
        .value_kind:     hidden_group_size_x
      - .offset:         142
        .size:           2
        .value_kind:     hidden_group_size_y
      - .offset:         144
        .size:           2
        .value_kind:     hidden_group_size_z
      - .offset:         146
        .size:           2
        .value_kind:     hidden_remainder_x
      - .offset:         148
        .size:           2
        .value_kind:     hidden_remainder_y
      - .offset:         150
        .size:           2
        .value_kind:     hidden_remainder_z
      - .offset:         168
        .size:           8
        .value_kind:     hidden_global_offset_x
      - .offset:         176
        .size:           8
        .value_kind:     hidden_global_offset_y
      - .offset:         184
        .size:           8
        .value_kind:     hidden_global_offset_z
      - .offset:         192
        .size:           2
        .value_kind:     hidden_grid_dims
      - .offset:         248
        .size:           4
        .value_kind:     hidden_dynamic_lds_size
    .group_segment_fixed_size: 160
    .kernarg_segment_align: 8
    .kernarg_segment_size: 384
    .language:       OpenCL C
    .language_version:
      - 2
      - 0
    .max_flat_workgroup_size: 1024
    .name:           _ZN4vllm25paged_attention_v1_kernelIthLi64ELi16ELi128ELNS_18Fp8KVCacheDataTypeE1ELb0EEEvPT_PKS2_PKT0_S8_ifPKiSA_iPKfiiiSC_SC_iiiii
    .private_segment_fixed_size: 0
    .sgpr_count:     34
    .sgpr_spill_count: 0
    .symbol:         _ZN4vllm25paged_attention_v1_kernelIthLi64ELi16ELi128ELNS_18Fp8KVCacheDataTypeE1ELb0EEEvPT_PKS2_PKT0_S8_ifPKiSA_iPKfiiiSC_SC_iiiii.kd
    .uniform_work_group_size: 1
    .uses_dynamic_stack: false
    .vgpr_count:     80
    .vgpr_spill_count: 0
    .wavefront_size: 32
  - .args:
      - .actual_access:  write_only
        .address_space:  global
        .offset:         0
        .size:           8
        .value_kind:     global_buffer
      - .actual_access:  read_only
        .address_space:  global
        .offset:         8
        .size:           8
        .value_kind:     global_buffer
      - .actual_access:  read_only
        .address_space:  global
        .offset:         16
        .size:           8
        .value_kind:     global_buffer
      - .actual_access:  read_only
        .address_space:  global
        .offset:         24
        .size:           8
        .value_kind:     global_buffer
      - .offset:         32
        .size:           4
        .value_kind:     by_value
      - .offset:         36
        .size:           4
        .value_kind:     by_value
      - .actual_access:  read_only
        .address_space:  global
        .offset:         40
        .size:           8
        .value_kind:     global_buffer
      - .actual_access:  read_only
        .address_space:  global
        .offset:         48
        .size:           8
        .value_kind:     global_buffer
      - .offset:         56
        .size:           4
        .value_kind:     by_value
      - .actual_access:  read_only
        .address_space:  global
        .offset:         64
        .size:           8
        .value_kind:     global_buffer
      - .offset:         72
        .size:           4
        .value_kind:     by_value
      - .offset:         76
        .size:           4
        .value_kind:     by_value
      - .offset:         80
        .size:           4
        .value_kind:     by_value
      - .address_space:  global
        .offset:         88
        .size:           8
        .value_kind:     global_buffer
      - .address_space:  global
        .offset:         96
        .size:           8
        .value_kind:     global_buffer
      - .offset:         104
        .size:           4
        .value_kind:     by_value
      - .offset:         108
        .size:           4
        .value_kind:     by_value
      - .offset:         112
        .size:           4
        .value_kind:     by_value
      - .offset:         116
        .size:           4
        .value_kind:     by_value
      - .offset:         120
        .size:           4
        .value_kind:     by_value
      - .offset:         128
        .size:           4
        .value_kind:     hidden_block_count_x
      - .offset:         132
        .size:           4
        .value_kind:     hidden_block_count_y
      - .offset:         136
        .size:           4
        .value_kind:     hidden_block_count_z
      - .offset:         140
        .size:           2
        .value_kind:     hidden_group_size_x
      - .offset:         142
        .size:           2
        .value_kind:     hidden_group_size_y
      - .offset:         144
        .size:           2
        .value_kind:     hidden_group_size_z
      - .offset:         146
        .size:           2
        .value_kind:     hidden_remainder_x
      - .offset:         148
        .size:           2
        .value_kind:     hidden_remainder_y
      - .offset:         150
        .size:           2
        .value_kind:     hidden_remainder_z
      - .offset:         168
        .size:           8
        .value_kind:     hidden_global_offset_x
      - .offset:         176
        .size:           8
        .value_kind:     hidden_global_offset_y
      - .offset:         184
        .size:           8
        .value_kind:     hidden_global_offset_z
      - .offset:         192
        .size:           2
        .value_kind:     hidden_grid_dims
      - .offset:         248
        .size:           4
        .value_kind:     hidden_dynamic_lds_size
    .group_segment_fixed_size: 192
    .kernarg_segment_align: 8
    .kernarg_segment_size: 384
    .language:       OpenCL C
    .language_version:
      - 2
      - 0
    .max_flat_workgroup_size: 1024
    .name:           _ZN4vllm25paged_attention_v1_kernelIthLi80ELi16ELi128ELNS_18Fp8KVCacheDataTypeE1ELb0EEEvPT_PKS2_PKT0_S8_ifPKiSA_iPKfiiiSC_SC_iiiii
    .private_segment_fixed_size: 0
    .sgpr_count:     34
    .sgpr_spill_count: 0
    .symbol:         _ZN4vllm25paged_attention_v1_kernelIthLi80ELi16ELi128ELNS_18Fp8KVCacheDataTypeE1ELb0EEEvPT_PKS2_PKT0_S8_ifPKiSA_iPKfiiiSC_SC_iiiii.kd
    .uniform_work_group_size: 1
    .uses_dynamic_stack: false
    .vgpr_count:     93
    .vgpr_spill_count: 0
    .wavefront_size: 32
  - .args:
      - .actual_access:  write_only
        .address_space:  global
        .offset:         0
        .size:           8
        .value_kind:     global_buffer
      - .actual_access:  read_only
        .address_space:  global
        .offset:         8
        .size:           8
        .value_kind:     global_buffer
      - .actual_access:  read_only
        .address_space:  global
        .offset:         16
        .size:           8
        .value_kind:     global_buffer
      - .actual_access:  read_only
        .address_space:  global
        .offset:         24
        .size:           8
        .value_kind:     global_buffer
      - .offset:         32
        .size:           4
        .value_kind:     by_value
      - .offset:         36
        .size:           4
        .value_kind:     by_value
      - .actual_access:  read_only
        .address_space:  global
        .offset:         40
        .size:           8
        .value_kind:     global_buffer
      - .actual_access:  read_only
        .address_space:  global
        .offset:         48
        .size:           8
        .value_kind:     global_buffer
      - .offset:         56
        .size:           4
        .value_kind:     by_value
      - .actual_access:  read_only
        .address_space:  global
        .offset:         64
        .size:           8
        .value_kind:     global_buffer
      - .offset:         72
        .size:           4
        .value_kind:     by_value
      - .offset:         76
        .size:           4
        .value_kind:     by_value
      - .offset:         80
        .size:           4
        .value_kind:     by_value
      - .address_space:  global
        .offset:         88
        .size:           8
        .value_kind:     global_buffer
      - .address_space:  global
        .offset:         96
        .size:           8
        .value_kind:     global_buffer
      - .offset:         104
        .size:           4
        .value_kind:     by_value
      - .offset:         108
        .size:           4
        .value_kind:     by_value
      - .offset:         112
        .size:           4
        .value_kind:     by_value
      - .offset:         116
        .size:           4
        .value_kind:     by_value
      - .offset:         120
        .size:           4
        .value_kind:     by_value
      - .offset:         128
        .size:           4
        .value_kind:     hidden_block_count_x
      - .offset:         132
        .size:           4
        .value_kind:     hidden_block_count_y
      - .offset:         136
        .size:           4
        .value_kind:     hidden_block_count_z
      - .offset:         140
        .size:           2
        .value_kind:     hidden_group_size_x
      - .offset:         142
        .size:           2
        .value_kind:     hidden_group_size_y
      - .offset:         144
        .size:           2
        .value_kind:     hidden_group_size_z
      - .offset:         146
        .size:           2
        .value_kind:     hidden_remainder_x
      - .offset:         148
        .size:           2
        .value_kind:     hidden_remainder_y
      - .offset:         150
        .size:           2
        .value_kind:     hidden_remainder_z
      - .offset:         168
        .size:           8
        .value_kind:     hidden_global_offset_x
      - .offset:         176
        .size:           8
        .value_kind:     hidden_global_offset_y
      - .offset:         184
        .size:           8
        .value_kind:     hidden_global_offset_z
      - .offset:         192
        .size:           2
        .value_kind:     hidden_grid_dims
      - .offset:         248
        .size:           4
        .value_kind:     hidden_dynamic_lds_size
    .group_segment_fixed_size: 224
    .kernarg_segment_align: 8
    .kernarg_segment_size: 384
    .language:       OpenCL C
    .language_version:
      - 2
      - 0
    .max_flat_workgroup_size: 1024
    .name:           _ZN4vllm25paged_attention_v1_kernelIthLi96ELi16ELi128ELNS_18Fp8KVCacheDataTypeE1ELb0EEEvPT_PKS2_PKT0_S8_ifPKiSA_iPKfiiiSC_SC_iiiii
    .private_segment_fixed_size: 0
    .sgpr_count:     34
    .sgpr_spill_count: 0
    .symbol:         _ZN4vllm25paged_attention_v1_kernelIthLi96ELi16ELi128ELNS_18Fp8KVCacheDataTypeE1ELb0EEEvPT_PKS2_PKT0_S8_ifPKiSA_iPKfiiiSC_SC_iiiii.kd
    .uniform_work_group_size: 1
    .uses_dynamic_stack: false
    .vgpr_count:     108
    .vgpr_spill_count: 0
    .wavefront_size: 32
  - .args:
      - .actual_access:  write_only
        .address_space:  global
        .offset:         0
        .size:           8
        .value_kind:     global_buffer
      - .actual_access:  read_only
        .address_space:  global
        .offset:         8
        .size:           8
        .value_kind:     global_buffer
      - .actual_access:  read_only
        .address_space:  global
        .offset:         16
        .size:           8
        .value_kind:     global_buffer
      - .actual_access:  read_only
        .address_space:  global
        .offset:         24
        .size:           8
        .value_kind:     global_buffer
      - .offset:         32
        .size:           4
        .value_kind:     by_value
      - .offset:         36
        .size:           4
        .value_kind:     by_value
      - .actual_access:  read_only
        .address_space:  global
        .offset:         40
        .size:           8
        .value_kind:     global_buffer
      - .actual_access:  read_only
        .address_space:  global
        .offset:         48
        .size:           8
        .value_kind:     global_buffer
      - .offset:         56
        .size:           4
        .value_kind:     by_value
      - .actual_access:  read_only
        .address_space:  global
        .offset:         64
        .size:           8
        .value_kind:     global_buffer
      - .offset:         72
        .size:           4
        .value_kind:     by_value
      - .offset:         76
        .size:           4
        .value_kind:     by_value
      - .offset:         80
        .size:           4
        .value_kind:     by_value
      - .address_space:  global
        .offset:         88
        .size:           8
        .value_kind:     global_buffer
      - .address_space:  global
        .offset:         96
        .size:           8
        .value_kind:     global_buffer
      - .offset:         104
        .size:           4
        .value_kind:     by_value
      - .offset:         108
        .size:           4
        .value_kind:     by_value
      - .offset:         112
        .size:           4
        .value_kind:     by_value
      - .offset:         116
        .size:           4
        .value_kind:     by_value
      - .offset:         120
        .size:           4
        .value_kind:     by_value
      - .offset:         128
        .size:           4
        .value_kind:     hidden_block_count_x
      - .offset:         132
        .size:           4
        .value_kind:     hidden_block_count_y
      - .offset:         136
        .size:           4
        .value_kind:     hidden_block_count_z
      - .offset:         140
        .size:           2
        .value_kind:     hidden_group_size_x
      - .offset:         142
        .size:           2
        .value_kind:     hidden_group_size_y
      - .offset:         144
        .size:           2
        .value_kind:     hidden_group_size_z
      - .offset:         146
        .size:           2
        .value_kind:     hidden_remainder_x
      - .offset:         148
        .size:           2
        .value_kind:     hidden_remainder_y
      - .offset:         150
        .size:           2
        .value_kind:     hidden_remainder_z
      - .offset:         168
        .size:           8
        .value_kind:     hidden_global_offset_x
      - .offset:         176
        .size:           8
        .value_kind:     hidden_global_offset_y
      - .offset:         184
        .size:           8
        .value_kind:     hidden_global_offset_z
      - .offset:         192
        .size:           2
        .value_kind:     hidden_grid_dims
      - .offset:         248
        .size:           4
        .value_kind:     hidden_dynamic_lds_size
    .group_segment_fixed_size: 256
    .kernarg_segment_align: 8
    .kernarg_segment_size: 384
    .language:       OpenCL C
    .language_version:
      - 2
      - 0
    .max_flat_workgroup_size: 1024
    .name:           _ZN4vllm25paged_attention_v1_kernelIthLi112ELi16ELi128ELNS_18Fp8KVCacheDataTypeE1ELb0EEEvPT_PKS2_PKT0_S8_ifPKiSA_iPKfiiiSC_SC_iiiii
    .private_segment_fixed_size: 0
    .sgpr_count:     34
    .sgpr_spill_count: 0
    .symbol:         _ZN4vllm25paged_attention_v1_kernelIthLi112ELi16ELi128ELNS_18Fp8KVCacheDataTypeE1ELb0EEEvPT_PKS2_PKT0_S8_ifPKiSA_iPKfiiiSC_SC_iiiii.kd
    .uniform_work_group_size: 1
    .uses_dynamic_stack: false
    .vgpr_count:     113
    .vgpr_spill_count: 0
    .wavefront_size: 32
  - .args:
      - .actual_access:  write_only
        .address_space:  global
        .offset:         0
        .size:           8
        .value_kind:     global_buffer
      - .actual_access:  read_only
        .address_space:  global
        .offset:         8
        .size:           8
        .value_kind:     global_buffer
      - .actual_access:  read_only
        .address_space:  global
        .offset:         16
        .size:           8
        .value_kind:     global_buffer
      - .actual_access:  read_only
        .address_space:  global
        .offset:         24
        .size:           8
        .value_kind:     global_buffer
      - .offset:         32
        .size:           4
        .value_kind:     by_value
      - .offset:         36
        .size:           4
        .value_kind:     by_value
      - .actual_access:  read_only
        .address_space:  global
        .offset:         40
        .size:           8
        .value_kind:     global_buffer
      - .actual_access:  read_only
        .address_space:  global
        .offset:         48
        .size:           8
        .value_kind:     global_buffer
      - .offset:         56
        .size:           4
        .value_kind:     by_value
      - .actual_access:  read_only
        .address_space:  global
        .offset:         64
        .size:           8
        .value_kind:     global_buffer
      - .offset:         72
        .size:           4
        .value_kind:     by_value
      - .offset:         76
        .size:           4
        .value_kind:     by_value
      - .offset:         80
        .size:           4
        .value_kind:     by_value
      - .address_space:  global
        .offset:         88
        .size:           8
        .value_kind:     global_buffer
      - .address_space:  global
        .offset:         96
        .size:           8
        .value_kind:     global_buffer
      - .offset:         104
        .size:           4
        .value_kind:     by_value
      - .offset:         108
        .size:           4
        .value_kind:     by_value
      - .offset:         112
        .size:           4
        .value_kind:     by_value
      - .offset:         116
        .size:           4
        .value_kind:     by_value
      - .offset:         120
        .size:           4
        .value_kind:     by_value
      - .offset:         128
        .size:           4
        .value_kind:     hidden_block_count_x
      - .offset:         132
        .size:           4
        .value_kind:     hidden_block_count_y
      - .offset:         136
        .size:           4
        .value_kind:     hidden_block_count_z
      - .offset:         140
        .size:           2
        .value_kind:     hidden_group_size_x
      - .offset:         142
        .size:           2
        .value_kind:     hidden_group_size_y
      - .offset:         144
        .size:           2
        .value_kind:     hidden_group_size_z
      - .offset:         146
        .size:           2
        .value_kind:     hidden_remainder_x
      - .offset:         148
        .size:           2
        .value_kind:     hidden_remainder_y
      - .offset:         150
        .size:           2
        .value_kind:     hidden_remainder_z
      - .offset:         168
        .size:           8
        .value_kind:     hidden_global_offset_x
      - .offset:         176
        .size:           8
        .value_kind:     hidden_global_offset_y
      - .offset:         184
        .size:           8
        .value_kind:     hidden_global_offset_z
      - .offset:         192
        .size:           2
        .value_kind:     hidden_grid_dims
      - .offset:         248
        .size:           4
        .value_kind:     hidden_dynamic_lds_size
    .group_segment_fixed_size: 272
    .kernarg_segment_align: 8
    .kernarg_segment_size: 384
    .language:       OpenCL C
    .language_version:
      - 2
      - 0
    .max_flat_workgroup_size: 1024
    .name:           _ZN4vllm25paged_attention_v1_kernelIthLi120ELi16ELi128ELNS_18Fp8KVCacheDataTypeE1ELb0EEEvPT_PKS2_PKT0_S8_ifPKiSA_iPKfiiiSC_SC_iiiii
    .private_segment_fixed_size: 0
    .sgpr_count:     34
    .sgpr_spill_count: 0
    .symbol:         _ZN4vllm25paged_attention_v1_kernelIthLi120ELi16ELi128ELNS_18Fp8KVCacheDataTypeE1ELb0EEEvPT_PKS2_PKT0_S8_ifPKiSA_iPKfiiiSC_SC_iiiii.kd
    .uniform_work_group_size: 1
    .uses_dynamic_stack: false
    .vgpr_count:     126
    .vgpr_spill_count: 0
    .wavefront_size: 32
  - .args:
      - .actual_access:  write_only
        .address_space:  global
        .offset:         0
        .size:           8
        .value_kind:     global_buffer
      - .actual_access:  read_only
        .address_space:  global
        .offset:         8
        .size:           8
        .value_kind:     global_buffer
      - .actual_access:  read_only
        .address_space:  global
        .offset:         16
        .size:           8
        .value_kind:     global_buffer
      - .actual_access:  read_only
        .address_space:  global
        .offset:         24
        .size:           8
        .value_kind:     global_buffer
      - .offset:         32
        .size:           4
        .value_kind:     by_value
      - .offset:         36
        .size:           4
        .value_kind:     by_value
      - .actual_access:  read_only
        .address_space:  global
        .offset:         40
        .size:           8
        .value_kind:     global_buffer
      - .actual_access:  read_only
        .address_space:  global
        .offset:         48
        .size:           8
        .value_kind:     global_buffer
      - .offset:         56
        .size:           4
        .value_kind:     by_value
      - .actual_access:  read_only
        .address_space:  global
        .offset:         64
        .size:           8
        .value_kind:     global_buffer
      - .offset:         72
        .size:           4
        .value_kind:     by_value
      - .offset:         76
        .size:           4
        .value_kind:     by_value
      - .offset:         80
        .size:           4
        .value_kind:     by_value
      - .address_space:  global
        .offset:         88
        .size:           8
        .value_kind:     global_buffer
      - .address_space:  global
        .offset:         96
        .size:           8
        .value_kind:     global_buffer
      - .offset:         104
        .size:           4
        .value_kind:     by_value
      - .offset:         108
        .size:           4
        .value_kind:     by_value
      - .offset:         112
        .size:           4
        .value_kind:     by_value
      - .offset:         116
        .size:           4
        .value_kind:     by_value
      - .offset:         120
        .size:           4
        .value_kind:     by_value
      - .offset:         128
        .size:           4
        .value_kind:     hidden_block_count_x
      - .offset:         132
        .size:           4
        .value_kind:     hidden_block_count_y
      - .offset:         136
        .size:           4
        .value_kind:     hidden_block_count_z
      - .offset:         140
        .size:           2
        .value_kind:     hidden_group_size_x
      - .offset:         142
        .size:           2
        .value_kind:     hidden_group_size_y
      - .offset:         144
        .size:           2
        .value_kind:     hidden_group_size_z
      - .offset:         146
        .size:           2
        .value_kind:     hidden_remainder_x
      - .offset:         148
        .size:           2
        .value_kind:     hidden_remainder_y
      - .offset:         150
        .size:           2
        .value_kind:     hidden_remainder_z
      - .offset:         168
        .size:           8
        .value_kind:     hidden_global_offset_x
      - .offset:         176
        .size:           8
        .value_kind:     hidden_global_offset_y
      - .offset:         184
        .size:           8
        .value_kind:     hidden_global_offset_z
      - .offset:         192
        .size:           2
        .value_kind:     hidden_grid_dims
      - .offset:         248
        .size:           4
        .value_kind:     hidden_dynamic_lds_size
    .group_segment_fixed_size: 288
    .kernarg_segment_align: 8
    .kernarg_segment_size: 384
    .language:       OpenCL C
    .language_version:
      - 2
      - 0
    .max_flat_workgroup_size: 1024
    .name:           _ZN4vllm25paged_attention_v1_kernelIthLi128ELi16ELi128ELNS_18Fp8KVCacheDataTypeE1ELb0EEEvPT_PKS2_PKT0_S8_ifPKiSA_iPKfiiiSC_SC_iiiii
    .private_segment_fixed_size: 0
    .sgpr_count:     36
    .sgpr_spill_count: 0
    .symbol:         _ZN4vllm25paged_attention_v1_kernelIthLi128ELi16ELi128ELNS_18Fp8KVCacheDataTypeE1ELb0EEEvPT_PKS2_PKT0_S8_ifPKiSA_iPKfiiiSC_SC_iiiii.kd
    .uniform_work_group_size: 1
    .uses_dynamic_stack: false
    .vgpr_count:     128
    .vgpr_spill_count: 0
    .wavefront_size: 32
  - .args:
      - .address_space:  global
        .offset:         0
        .size:           8
        .value_kind:     global_buffer
      - .address_space:  global
        .offset:         8
        .size:           8
        .value_kind:     global_buffer
      - .address_space:  global
        .offset:         16
        .size:           8
        .value_kind:     global_buffer
      - .address_space:  global
        .offset:         24
        .size:           8
        .value_kind:     global_buffer
      - .offset:         32
        .size:           4
        .value_kind:     by_value
      - .offset:         36
        .size:           4
        .value_kind:     by_value
      - .address_space:  global
        .offset:         40
        .size:           8
        .value_kind:     global_buffer
      - .address_space:  global
        .offset:         48
        .size:           8
        .value_kind:     global_buffer
      - .offset:         56
        .size:           4
        .value_kind:     by_value
      - .address_space:  global
        .offset:         64
        .size:           8
        .value_kind:     global_buffer
      - .offset:         72
        .size:           4
        .value_kind:     by_value
      - .offset:         76
        .size:           4
        .value_kind:     by_value
      - .offset:         80
        .size:           4
        .value_kind:     by_value
      - .address_space:  global
        .offset:         88
        .size:           8
        .value_kind:     global_buffer
      - .address_space:  global
        .offset:         96
        .size:           8
        .value_kind:     global_buffer
      - .offset:         104
        .size:           4
        .value_kind:     by_value
      - .offset:         108
        .size:           4
        .value_kind:     by_value
      - .offset:         112
        .size:           4
        .value_kind:     by_value
      - .offset:         116
        .size:           4
        .value_kind:     by_value
      - .offset:         120
        .size:           4
        .value_kind:     by_value
      - .offset:         128
        .size:           4
        .value_kind:     hidden_block_count_x
      - .offset:         132
        .size:           4
        .value_kind:     hidden_block_count_y
      - .offset:         136
        .size:           4
        .value_kind:     hidden_block_count_z
      - .offset:         140
        .size:           2
        .value_kind:     hidden_group_size_x
      - .offset:         142
        .size:           2
        .value_kind:     hidden_group_size_y
      - .offset:         144
        .size:           2
        .value_kind:     hidden_group_size_z
      - .offset:         146
        .size:           2
        .value_kind:     hidden_remainder_x
      - .offset:         148
        .size:           2
        .value_kind:     hidden_remainder_y
      - .offset:         150
        .size:           2
        .value_kind:     hidden_remainder_z
      - .offset:         168
        .size:           8
        .value_kind:     hidden_global_offset_x
      - .offset:         176
        .size:           8
        .value_kind:     hidden_global_offset_y
      - .offset:         184
        .size:           8
        .value_kind:     hidden_global_offset_z
      - .offset:         192
        .size:           2
        .value_kind:     hidden_grid_dims
      - .offset:         248
        .size:           4
        .value_kind:     hidden_dynamic_lds_size
    .group_segment_fixed_size: 416
    .kernarg_segment_align: 8
    .kernarg_segment_size: 384
    .language:       OpenCL C
    .language_version:
      - 2
      - 0
    .max_flat_workgroup_size: 1024
    .name:           _ZN4vllm25paged_attention_v1_kernelIthLi192ELi16ELi128ELNS_18Fp8KVCacheDataTypeE1ELb0EEEvPT_PKS2_PKT0_S8_ifPKiSA_iPKfiiiSC_SC_iiiii
    .private_segment_fixed_size: 248
    .sgpr_count:     35
    .sgpr_spill_count: 0
    .symbol:         _ZN4vllm25paged_attention_v1_kernelIthLi192ELi16ELi128ELNS_18Fp8KVCacheDataTypeE1ELb0EEEvPT_PKS2_PKT0_S8_ifPKiSA_iPKfiiiSC_SC_iiiii.kd
    .uniform_work_group_size: 1
    .uses_dynamic_stack: false
    .vgpr_count:     128
    .vgpr_spill_count: 0
    .wavefront_size: 32
  - .args:
      - .address_space:  global
        .offset:         0
        .size:           8
        .value_kind:     global_buffer
      - .address_space:  global
        .offset:         8
        .size:           8
        .value_kind:     global_buffer
      - .address_space:  global
        .offset:         16
        .size:           8
        .value_kind:     global_buffer
      - .address_space:  global
        .offset:         24
        .size:           8
        .value_kind:     global_buffer
      - .offset:         32
        .size:           4
        .value_kind:     by_value
      - .offset:         36
        .size:           4
        .value_kind:     by_value
      - .address_space:  global
        .offset:         40
        .size:           8
        .value_kind:     global_buffer
      - .address_space:  global
        .offset:         48
        .size:           8
        .value_kind:     global_buffer
      - .offset:         56
        .size:           4
        .value_kind:     by_value
      - .address_space:  global
        .offset:         64
        .size:           8
        .value_kind:     global_buffer
      - .offset:         72
        .size:           4
        .value_kind:     by_value
      - .offset:         76
        .size:           4
        .value_kind:     by_value
      - .offset:         80
        .size:           4
        .value_kind:     by_value
      - .address_space:  global
        .offset:         88
        .size:           8
        .value_kind:     global_buffer
      - .address_space:  global
        .offset:         96
        .size:           8
        .value_kind:     global_buffer
      - .offset:         104
        .size:           4
        .value_kind:     by_value
      - .offset:         108
        .size:           4
        .value_kind:     by_value
      - .offset:         112
        .size:           4
        .value_kind:     by_value
      - .offset:         116
        .size:           4
        .value_kind:     by_value
      - .offset:         120
        .size:           4
        .value_kind:     by_value
      - .offset:         128
        .size:           4
        .value_kind:     hidden_block_count_x
      - .offset:         132
        .size:           4
        .value_kind:     hidden_block_count_y
      - .offset:         136
        .size:           4
        .value_kind:     hidden_block_count_z
      - .offset:         140
        .size:           2
        .value_kind:     hidden_group_size_x
      - .offset:         142
        .size:           2
        .value_kind:     hidden_group_size_y
      - .offset:         144
        .size:           2
        .value_kind:     hidden_group_size_z
      - .offset:         146
        .size:           2
        .value_kind:     hidden_remainder_x
      - .offset:         148
        .size:           2
        .value_kind:     hidden_remainder_y
      - .offset:         150
        .size:           2
        .value_kind:     hidden_remainder_z
      - .offset:         168
        .size:           8
        .value_kind:     hidden_global_offset_x
      - .offset:         176
        .size:           8
        .value_kind:     hidden_global_offset_y
      - .offset:         184
        .size:           8
        .value_kind:     hidden_global_offset_z
      - .offset:         192
        .size:           2
        .value_kind:     hidden_grid_dims
      - .offset:         248
        .size:           4
        .value_kind:     hidden_dynamic_lds_size
    .group_segment_fixed_size: 544
    .kernarg_segment_align: 8
    .kernarg_segment_size: 384
    .language:       OpenCL C
    .language_version:
      - 2
      - 0
    .max_flat_workgroup_size: 1024
    .name:           _ZN4vllm25paged_attention_v1_kernelIthLi256ELi16ELi128ELNS_18Fp8KVCacheDataTypeE1ELb0EEEvPT_PKS2_PKT0_S8_ifPKiSA_iPKfiiiSC_SC_iiiii
    .private_segment_fixed_size: 436
    .sgpr_count:     35
    .sgpr_spill_count: 0
    .symbol:         _ZN4vllm25paged_attention_v1_kernelIthLi256ELi16ELi128ELNS_18Fp8KVCacheDataTypeE1ELb0EEEvPT_PKS2_PKT0_S8_ifPKiSA_iPKfiiiSC_SC_iiiii.kd
    .uniform_work_group_size: 1
    .uses_dynamic_stack: false
    .vgpr_count:     128
    .vgpr_spill_count: 0
    .wavefront_size: 32
  - .args:
      - .actual_access:  write_only
        .address_space:  global
        .offset:         0
        .size:           8
        .value_kind:     global_buffer
      - .actual_access:  read_only
        .address_space:  global
        .offset:         8
        .size:           8
        .value_kind:     global_buffer
      - .actual_access:  read_only
        .address_space:  global
        .offset:         16
        .size:           8
        .value_kind:     global_buffer
      - .actual_access:  read_only
        .address_space:  global
        .offset:         24
        .size:           8
        .value_kind:     global_buffer
      - .offset:         32
        .size:           4
        .value_kind:     by_value
      - .offset:         36
        .size:           4
        .value_kind:     by_value
      - .actual_access:  read_only
        .address_space:  global
        .offset:         40
        .size:           8
        .value_kind:     global_buffer
      - .actual_access:  read_only
        .address_space:  global
        .offset:         48
        .size:           8
        .value_kind:     global_buffer
      - .offset:         56
        .size:           4
        .value_kind:     by_value
      - .actual_access:  read_only
        .address_space:  global
        .offset:         64
        .size:           8
        .value_kind:     global_buffer
      - .offset:         72
        .size:           4
        .value_kind:     by_value
      - .offset:         76
        .size:           4
        .value_kind:     by_value
      - .offset:         80
        .size:           4
        .value_kind:     by_value
      - .address_space:  global
        .offset:         88
        .size:           8
        .value_kind:     global_buffer
      - .address_space:  global
        .offset:         96
        .size:           8
        .value_kind:     global_buffer
      - .offset:         104
        .size:           4
        .value_kind:     by_value
      - .offset:         108
        .size:           4
        .value_kind:     by_value
      - .offset:         112
        .size:           4
        .value_kind:     by_value
      - .offset:         116
        .size:           4
        .value_kind:     by_value
      - .offset:         120
        .size:           4
        .value_kind:     by_value
      - .offset:         128
        .size:           4
        .value_kind:     hidden_block_count_x
      - .offset:         132
        .size:           4
        .value_kind:     hidden_block_count_y
      - .offset:         136
        .size:           4
        .value_kind:     hidden_block_count_z
      - .offset:         140
        .size:           2
        .value_kind:     hidden_group_size_x
      - .offset:         142
        .size:           2
        .value_kind:     hidden_group_size_y
      - .offset:         144
        .size:           2
        .value_kind:     hidden_group_size_z
      - .offset:         146
        .size:           2
        .value_kind:     hidden_remainder_x
      - .offset:         148
        .size:           2
        .value_kind:     hidden_remainder_y
      - .offset:         150
        .size:           2
        .value_kind:     hidden_remainder_z
      - .offset:         168
        .size:           8
        .value_kind:     hidden_global_offset_x
      - .offset:         176
        .size:           8
        .value_kind:     hidden_global_offset_y
      - .offset:         184
        .size:           8
        .value_kind:     hidden_global_offset_z
      - .offset:         192
        .size:           2
        .value_kind:     hidden_grid_dims
      - .offset:         248
        .size:           4
        .value_kind:     hidden_dynamic_lds_size
    .group_segment_fixed_size: 96
    .kernarg_segment_align: 8
    .kernarg_segment_size: 384
    .language:       OpenCL C
    .language_version:
      - 2
      - 0
    .max_flat_workgroup_size: 1024
    .name:           _ZN4vllm25paged_attention_v1_kernelIthLi32ELi32ELi128ELNS_18Fp8KVCacheDataTypeE1ELb1EEEvPT_PKS2_PKT0_S8_ifPKiSA_iPKfiiiSC_SC_iiiii
    .private_segment_fixed_size: 0
    .sgpr_count:     48
    .sgpr_spill_count: 0
    .symbol:         _ZN4vllm25paged_attention_v1_kernelIthLi32ELi32ELi128ELNS_18Fp8KVCacheDataTypeE1ELb1EEEvPT_PKS2_PKT0_S8_ifPKiSA_iPKfiiiSC_SC_iiiii.kd
    .uniform_work_group_size: 1
    .uses_dynamic_stack: false
    .vgpr_count:     82
    .vgpr_spill_count: 0
    .wavefront_size: 32
  - .args:
      - .actual_access:  write_only
        .address_space:  global
        .offset:         0
        .size:           8
        .value_kind:     global_buffer
      - .actual_access:  read_only
        .address_space:  global
        .offset:         8
        .size:           8
        .value_kind:     global_buffer
      - .actual_access:  read_only
        .address_space:  global
        .offset:         16
        .size:           8
        .value_kind:     global_buffer
      - .actual_access:  read_only
        .address_space:  global
        .offset:         24
        .size:           8
        .value_kind:     global_buffer
      - .offset:         32
        .size:           4
        .value_kind:     by_value
      - .offset:         36
        .size:           4
        .value_kind:     by_value
      - .actual_access:  read_only
        .address_space:  global
        .offset:         40
        .size:           8
        .value_kind:     global_buffer
      - .actual_access:  read_only
        .address_space:  global
        .offset:         48
        .size:           8
        .value_kind:     global_buffer
      - .offset:         56
        .size:           4
        .value_kind:     by_value
      - .actual_access:  read_only
        .address_space:  global
        .offset:         64
        .size:           8
        .value_kind:     global_buffer
      - .offset:         72
        .size:           4
        .value_kind:     by_value
      - .offset:         76
        .size:           4
        .value_kind:     by_value
      - .offset:         80
        .size:           4
        .value_kind:     by_value
      - .address_space:  global
        .offset:         88
        .size:           8
        .value_kind:     global_buffer
      - .address_space:  global
        .offset:         96
        .size:           8
        .value_kind:     global_buffer
      - .offset:         104
        .size:           4
        .value_kind:     by_value
      - .offset:         108
        .size:           4
        .value_kind:     by_value
      - .offset:         112
        .size:           4
        .value_kind:     by_value
      - .offset:         116
        .size:           4
        .value_kind:     by_value
      - .offset:         120
        .size:           4
        .value_kind:     by_value
      - .offset:         128
        .size:           4
        .value_kind:     hidden_block_count_x
      - .offset:         132
        .size:           4
        .value_kind:     hidden_block_count_y
      - .offset:         136
        .size:           4
        .value_kind:     hidden_block_count_z
      - .offset:         140
        .size:           2
        .value_kind:     hidden_group_size_x
      - .offset:         142
        .size:           2
        .value_kind:     hidden_group_size_y
      - .offset:         144
        .size:           2
        .value_kind:     hidden_group_size_z
      - .offset:         146
        .size:           2
        .value_kind:     hidden_remainder_x
      - .offset:         148
        .size:           2
        .value_kind:     hidden_remainder_y
      - .offset:         150
        .size:           2
        .value_kind:     hidden_remainder_z
      - .offset:         168
        .size:           8
        .value_kind:     hidden_global_offset_x
      - .offset:         176
        .size:           8
        .value_kind:     hidden_global_offset_y
      - .offset:         184
        .size:           8
        .value_kind:     hidden_global_offset_z
      - .offset:         192
        .size:           2
        .value_kind:     hidden_grid_dims
      - .offset:         248
        .size:           4
        .value_kind:     hidden_dynamic_lds_size
    .group_segment_fixed_size: 160
    .kernarg_segment_align: 8
    .kernarg_segment_size: 384
    .language:       OpenCL C
    .language_version:
      - 2
      - 0
    .max_flat_workgroup_size: 1024
    .name:           _ZN4vllm25paged_attention_v1_kernelIthLi64ELi32ELi128ELNS_18Fp8KVCacheDataTypeE1ELb1EEEvPT_PKS2_PKT0_S8_ifPKiSA_iPKfiiiSC_SC_iiiii
    .private_segment_fixed_size: 0
    .sgpr_count:     48
    .sgpr_spill_count: 0
    .symbol:         _ZN4vllm25paged_attention_v1_kernelIthLi64ELi32ELi128ELNS_18Fp8KVCacheDataTypeE1ELb1EEEvPT_PKS2_PKT0_S8_ifPKiSA_iPKfiiiSC_SC_iiiii.kd
    .uniform_work_group_size: 1
    .uses_dynamic_stack: false
    .vgpr_count:     124
    .vgpr_spill_count: 0
    .wavefront_size: 32
  - .args:
      - .actual_access:  write_only
        .address_space:  global
        .offset:         0
        .size:           8
        .value_kind:     global_buffer
      - .actual_access:  read_only
        .address_space:  global
        .offset:         8
        .size:           8
        .value_kind:     global_buffer
      - .actual_access:  read_only
        .address_space:  global
        .offset:         16
        .size:           8
        .value_kind:     global_buffer
      - .actual_access:  read_only
        .address_space:  global
        .offset:         24
        .size:           8
        .value_kind:     global_buffer
      - .offset:         32
        .size:           4
        .value_kind:     by_value
      - .offset:         36
        .size:           4
        .value_kind:     by_value
      - .actual_access:  read_only
        .address_space:  global
        .offset:         40
        .size:           8
        .value_kind:     global_buffer
      - .actual_access:  read_only
        .address_space:  global
        .offset:         48
        .size:           8
        .value_kind:     global_buffer
      - .offset:         56
        .size:           4
        .value_kind:     by_value
      - .actual_access:  read_only
        .address_space:  global
        .offset:         64
        .size:           8
        .value_kind:     global_buffer
      - .offset:         72
        .size:           4
        .value_kind:     by_value
      - .offset:         76
        .size:           4
        .value_kind:     by_value
      - .offset:         80
        .size:           4
        .value_kind:     by_value
      - .address_space:  global
        .offset:         88
        .size:           8
        .value_kind:     global_buffer
      - .address_space:  global
        .offset:         96
        .size:           8
        .value_kind:     global_buffer
      - .offset:         104
        .size:           4
        .value_kind:     by_value
      - .offset:         108
        .size:           4
        .value_kind:     by_value
      - .offset:         112
        .size:           4
        .value_kind:     by_value
      - .offset:         116
        .size:           4
        .value_kind:     by_value
      - .offset:         120
        .size:           4
        .value_kind:     by_value
      - .offset:         128
        .size:           4
        .value_kind:     hidden_block_count_x
      - .offset:         132
        .size:           4
        .value_kind:     hidden_block_count_y
      - .offset:         136
        .size:           4
        .value_kind:     hidden_block_count_z
      - .offset:         140
        .size:           2
        .value_kind:     hidden_group_size_x
      - .offset:         142
        .size:           2
        .value_kind:     hidden_group_size_y
      - .offset:         144
        .size:           2
        .value_kind:     hidden_group_size_z
      - .offset:         146
        .size:           2
        .value_kind:     hidden_remainder_x
      - .offset:         148
        .size:           2
        .value_kind:     hidden_remainder_y
      - .offset:         150
        .size:           2
        .value_kind:     hidden_remainder_z
      - .offset:         168
        .size:           8
        .value_kind:     hidden_global_offset_x
      - .offset:         176
        .size:           8
        .value_kind:     hidden_global_offset_y
      - .offset:         184
        .size:           8
        .value_kind:     hidden_global_offset_z
      - .offset:         192
        .size:           2
        .value_kind:     hidden_grid_dims
      - .offset:         248
        .size:           4
        .value_kind:     hidden_dynamic_lds_size
    .group_segment_fixed_size: 192
    .kernarg_segment_align: 8
    .kernarg_segment_size: 384
    .language:       OpenCL C
    .language_version:
      - 2
      - 0
    .max_flat_workgroup_size: 1024
    .name:           _ZN4vllm25paged_attention_v1_kernelIthLi80ELi32ELi128ELNS_18Fp8KVCacheDataTypeE1ELb1EEEvPT_PKS2_PKT0_S8_ifPKiSA_iPKfiiiSC_SC_iiiii
    .private_segment_fixed_size: 12
    .sgpr_count:     48
    .sgpr_spill_count: 0
    .symbol:         _ZN4vllm25paged_attention_v1_kernelIthLi80ELi32ELi128ELNS_18Fp8KVCacheDataTypeE1ELb1EEEvPT_PKS2_PKT0_S8_ifPKiSA_iPKfiiiSC_SC_iiiii.kd
    .uniform_work_group_size: 1
    .uses_dynamic_stack: false
    .vgpr_count:     128
    .vgpr_spill_count: 2
    .wavefront_size: 32
  - .args:
      - .address_space:  global
        .offset:         0
        .size:           8
        .value_kind:     global_buffer
      - .address_space:  global
        .offset:         8
        .size:           8
        .value_kind:     global_buffer
      - .address_space:  global
        .offset:         16
        .size:           8
        .value_kind:     global_buffer
      - .address_space:  global
        .offset:         24
        .size:           8
        .value_kind:     global_buffer
      - .offset:         32
        .size:           4
        .value_kind:     by_value
      - .offset:         36
        .size:           4
        .value_kind:     by_value
      - .address_space:  global
        .offset:         40
        .size:           8
        .value_kind:     global_buffer
      - .address_space:  global
        .offset:         48
        .size:           8
        .value_kind:     global_buffer
      - .offset:         56
        .size:           4
        .value_kind:     by_value
      - .address_space:  global
        .offset:         64
        .size:           8
        .value_kind:     global_buffer
      - .offset:         72
        .size:           4
        .value_kind:     by_value
      - .offset:         76
        .size:           4
        .value_kind:     by_value
      - .offset:         80
        .size:           4
        .value_kind:     by_value
      - .address_space:  global
        .offset:         88
        .size:           8
        .value_kind:     global_buffer
      - .address_space:  global
        .offset:         96
        .size:           8
        .value_kind:     global_buffer
      - .offset:         104
        .size:           4
        .value_kind:     by_value
      - .offset:         108
        .size:           4
        .value_kind:     by_value
      - .offset:         112
        .size:           4
        .value_kind:     by_value
      - .offset:         116
        .size:           4
        .value_kind:     by_value
      - .offset:         120
        .size:           4
        .value_kind:     by_value
      - .offset:         128
        .size:           4
        .value_kind:     hidden_block_count_x
      - .offset:         132
        .size:           4
        .value_kind:     hidden_block_count_y
      - .offset:         136
        .size:           4
        .value_kind:     hidden_block_count_z
      - .offset:         140
        .size:           2
        .value_kind:     hidden_group_size_x
      - .offset:         142
        .size:           2
        .value_kind:     hidden_group_size_y
      - .offset:         144
        .size:           2
        .value_kind:     hidden_group_size_z
      - .offset:         146
        .size:           2
        .value_kind:     hidden_remainder_x
      - .offset:         148
        .size:           2
        .value_kind:     hidden_remainder_y
      - .offset:         150
        .size:           2
        .value_kind:     hidden_remainder_z
      - .offset:         168
        .size:           8
        .value_kind:     hidden_global_offset_x
      - .offset:         176
        .size:           8
        .value_kind:     hidden_global_offset_y
      - .offset:         184
        .size:           8
        .value_kind:     hidden_global_offset_z
      - .offset:         192
        .size:           2
        .value_kind:     hidden_grid_dims
      - .offset:         248
        .size:           4
        .value_kind:     hidden_dynamic_lds_size
    .group_segment_fixed_size: 224
    .kernarg_segment_align: 8
    .kernarg_segment_size: 384
    .language:       OpenCL C
    .language_version:
      - 2
      - 0
    .max_flat_workgroup_size: 1024
    .name:           _ZN4vllm25paged_attention_v1_kernelIthLi96ELi32ELi128ELNS_18Fp8KVCacheDataTypeE1ELb1EEEvPT_PKS2_PKT0_S8_ifPKiSA_iPKfiiiSC_SC_iiiii
    .private_segment_fixed_size: 420
    .sgpr_count:     41
    .sgpr_spill_count: 0
    .symbol:         _ZN4vllm25paged_attention_v1_kernelIthLi96ELi32ELi128ELNS_18Fp8KVCacheDataTypeE1ELb1EEEvPT_PKS2_PKT0_S8_ifPKiSA_iPKfiiiSC_SC_iiiii.kd
    .uniform_work_group_size: 1
    .uses_dynamic_stack: false
    .vgpr_count:     128
    .vgpr_spill_count: 0
    .wavefront_size: 32
  - .args:
      - .address_space:  global
        .offset:         0
        .size:           8
        .value_kind:     global_buffer
      - .address_space:  global
        .offset:         8
        .size:           8
        .value_kind:     global_buffer
      - .address_space:  global
        .offset:         16
        .size:           8
        .value_kind:     global_buffer
      - .address_space:  global
        .offset:         24
        .size:           8
        .value_kind:     global_buffer
      - .offset:         32
        .size:           4
        .value_kind:     by_value
      - .offset:         36
        .size:           4
        .value_kind:     by_value
      - .address_space:  global
        .offset:         40
        .size:           8
        .value_kind:     global_buffer
      - .address_space:  global
        .offset:         48
        .size:           8
        .value_kind:     global_buffer
      - .offset:         56
        .size:           4
        .value_kind:     by_value
      - .address_space:  global
        .offset:         64
        .size:           8
        .value_kind:     global_buffer
      - .offset:         72
        .size:           4
        .value_kind:     by_value
      - .offset:         76
        .size:           4
        .value_kind:     by_value
      - .offset:         80
        .size:           4
        .value_kind:     by_value
      - .address_space:  global
        .offset:         88
        .size:           8
        .value_kind:     global_buffer
      - .address_space:  global
        .offset:         96
        .size:           8
        .value_kind:     global_buffer
      - .offset:         104
        .size:           4
        .value_kind:     by_value
      - .offset:         108
        .size:           4
        .value_kind:     by_value
      - .offset:         112
        .size:           4
        .value_kind:     by_value
      - .offset:         116
        .size:           4
        .value_kind:     by_value
      - .offset:         120
        .size:           4
        .value_kind:     by_value
      - .offset:         128
        .size:           4
        .value_kind:     hidden_block_count_x
      - .offset:         132
        .size:           4
        .value_kind:     hidden_block_count_y
      - .offset:         136
        .size:           4
        .value_kind:     hidden_block_count_z
      - .offset:         140
        .size:           2
        .value_kind:     hidden_group_size_x
      - .offset:         142
        .size:           2
        .value_kind:     hidden_group_size_y
      - .offset:         144
        .size:           2
        .value_kind:     hidden_group_size_z
      - .offset:         146
        .size:           2
        .value_kind:     hidden_remainder_x
      - .offset:         148
        .size:           2
        .value_kind:     hidden_remainder_y
      - .offset:         150
        .size:           2
        .value_kind:     hidden_remainder_z
      - .offset:         168
        .size:           8
        .value_kind:     hidden_global_offset_x
      - .offset:         176
        .size:           8
        .value_kind:     hidden_global_offset_y
      - .offset:         184
        .size:           8
        .value_kind:     hidden_global_offset_z
      - .offset:         192
        .size:           2
        .value_kind:     hidden_grid_dims
      - .offset:         248
        .size:           4
        .value_kind:     hidden_dynamic_lds_size
    .group_segment_fixed_size: 256
    .kernarg_segment_align: 8
    .kernarg_segment_size: 384
    .language:       OpenCL C
    .language_version:
      - 2
      - 0
    .max_flat_workgroup_size: 1024
    .name:           _ZN4vllm25paged_attention_v1_kernelIthLi112ELi32ELi128ELNS_18Fp8KVCacheDataTypeE1ELb1EEEvPT_PKS2_PKT0_S8_ifPKiSA_iPKfiiiSC_SC_iiiii
    .private_segment_fixed_size: 428
    .sgpr_count:     41
    .sgpr_spill_count: 0
    .symbol:         _ZN4vllm25paged_attention_v1_kernelIthLi112ELi32ELi128ELNS_18Fp8KVCacheDataTypeE1ELb1EEEvPT_PKS2_PKT0_S8_ifPKiSA_iPKfiiiSC_SC_iiiii.kd
    .uniform_work_group_size: 1
    .uses_dynamic_stack: false
    .vgpr_count:     128
    .vgpr_spill_count: 0
    .wavefront_size: 32
  - .args:
      - .address_space:  global
        .offset:         0
        .size:           8
        .value_kind:     global_buffer
      - .address_space:  global
        .offset:         8
        .size:           8
        .value_kind:     global_buffer
      - .address_space:  global
        .offset:         16
        .size:           8
        .value_kind:     global_buffer
      - .address_space:  global
        .offset:         24
        .size:           8
        .value_kind:     global_buffer
      - .offset:         32
        .size:           4
        .value_kind:     by_value
      - .offset:         36
        .size:           4
        .value_kind:     by_value
      - .address_space:  global
        .offset:         40
        .size:           8
        .value_kind:     global_buffer
      - .address_space:  global
        .offset:         48
        .size:           8
        .value_kind:     global_buffer
      - .offset:         56
        .size:           4
        .value_kind:     by_value
      - .address_space:  global
        .offset:         64
        .size:           8
        .value_kind:     global_buffer
      - .offset:         72
        .size:           4
        .value_kind:     by_value
      - .offset:         76
        .size:           4
        .value_kind:     by_value
      - .offset:         80
        .size:           4
        .value_kind:     by_value
      - .address_space:  global
        .offset:         88
        .size:           8
        .value_kind:     global_buffer
      - .address_space:  global
        .offset:         96
        .size:           8
        .value_kind:     global_buffer
      - .offset:         104
        .size:           4
        .value_kind:     by_value
      - .offset:         108
        .size:           4
        .value_kind:     by_value
      - .offset:         112
        .size:           4
        .value_kind:     by_value
      - .offset:         116
        .size:           4
        .value_kind:     by_value
      - .offset:         120
        .size:           4
        .value_kind:     by_value
      - .offset:         128
        .size:           4
        .value_kind:     hidden_block_count_x
      - .offset:         132
        .size:           4
        .value_kind:     hidden_block_count_y
      - .offset:         136
        .size:           4
        .value_kind:     hidden_block_count_z
      - .offset:         140
        .size:           2
        .value_kind:     hidden_group_size_x
      - .offset:         142
        .size:           2
        .value_kind:     hidden_group_size_y
      - .offset:         144
        .size:           2
        .value_kind:     hidden_group_size_z
      - .offset:         146
        .size:           2
        .value_kind:     hidden_remainder_x
      - .offset:         148
        .size:           2
        .value_kind:     hidden_remainder_y
      - .offset:         150
        .size:           2
        .value_kind:     hidden_remainder_z
      - .offset:         168
        .size:           8
        .value_kind:     hidden_global_offset_x
      - .offset:         176
        .size:           8
        .value_kind:     hidden_global_offset_y
      - .offset:         184
        .size:           8
        .value_kind:     hidden_global_offset_z
      - .offset:         192
        .size:           2
        .value_kind:     hidden_grid_dims
      - .offset:         248
        .size:           4
        .value_kind:     hidden_dynamic_lds_size
    .group_segment_fixed_size: 272
    .kernarg_segment_align: 8
    .kernarg_segment_size: 384
    .language:       OpenCL C
    .language_version:
      - 2
      - 0
    .max_flat_workgroup_size: 1024
    .name:           _ZN4vllm25paged_attention_v1_kernelIthLi120ELi32ELi128ELNS_18Fp8KVCacheDataTypeE1ELb1EEEvPT_PKS2_PKT0_S8_ifPKiSA_iPKfiiiSC_SC_iiiii
    .private_segment_fixed_size: 444
    .sgpr_count:     41
    .sgpr_spill_count: 0
    .symbol:         _ZN4vllm25paged_attention_v1_kernelIthLi120ELi32ELi128ELNS_18Fp8KVCacheDataTypeE1ELb1EEEvPT_PKS2_PKT0_S8_ifPKiSA_iPKfiiiSC_SC_iiiii.kd
    .uniform_work_group_size: 1
    .uses_dynamic_stack: false
    .vgpr_count:     128
    .vgpr_spill_count: 0
    .wavefront_size: 32
  - .args:
      - .address_space:  global
        .offset:         0
        .size:           8
        .value_kind:     global_buffer
      - .address_space:  global
        .offset:         8
        .size:           8
        .value_kind:     global_buffer
      - .address_space:  global
        .offset:         16
        .size:           8
        .value_kind:     global_buffer
      - .address_space:  global
        .offset:         24
        .size:           8
        .value_kind:     global_buffer
      - .offset:         32
        .size:           4
        .value_kind:     by_value
      - .offset:         36
        .size:           4
        .value_kind:     by_value
      - .address_space:  global
        .offset:         40
        .size:           8
        .value_kind:     global_buffer
      - .address_space:  global
        .offset:         48
        .size:           8
        .value_kind:     global_buffer
      - .offset:         56
        .size:           4
        .value_kind:     by_value
      - .address_space:  global
        .offset:         64
        .size:           8
        .value_kind:     global_buffer
      - .offset:         72
        .size:           4
        .value_kind:     by_value
      - .offset:         76
        .size:           4
        .value_kind:     by_value
      - .offset:         80
        .size:           4
        .value_kind:     by_value
      - .address_space:  global
        .offset:         88
        .size:           8
        .value_kind:     global_buffer
      - .address_space:  global
        .offset:         96
        .size:           8
        .value_kind:     global_buffer
      - .offset:         104
        .size:           4
        .value_kind:     by_value
      - .offset:         108
        .size:           4
        .value_kind:     by_value
      - .offset:         112
        .size:           4
        .value_kind:     by_value
      - .offset:         116
        .size:           4
        .value_kind:     by_value
      - .offset:         120
        .size:           4
        .value_kind:     by_value
      - .offset:         128
        .size:           4
        .value_kind:     hidden_block_count_x
      - .offset:         132
        .size:           4
        .value_kind:     hidden_block_count_y
      - .offset:         136
        .size:           4
        .value_kind:     hidden_block_count_z
      - .offset:         140
        .size:           2
        .value_kind:     hidden_group_size_x
      - .offset:         142
        .size:           2
        .value_kind:     hidden_group_size_y
      - .offset:         144
        .size:           2
        .value_kind:     hidden_group_size_z
      - .offset:         146
        .size:           2
        .value_kind:     hidden_remainder_x
      - .offset:         148
        .size:           2
        .value_kind:     hidden_remainder_y
      - .offset:         150
        .size:           2
        .value_kind:     hidden_remainder_z
      - .offset:         168
        .size:           8
        .value_kind:     hidden_global_offset_x
      - .offset:         176
        .size:           8
        .value_kind:     hidden_global_offset_y
      - .offset:         184
        .size:           8
        .value_kind:     hidden_global_offset_z
      - .offset:         192
        .size:           2
        .value_kind:     hidden_grid_dims
      - .offset:         248
        .size:           4
        .value_kind:     hidden_dynamic_lds_size
    .group_segment_fixed_size: 288
    .kernarg_segment_align: 8
    .kernarg_segment_size: 384
    .language:       OpenCL C
    .language_version:
      - 2
      - 0
    .max_flat_workgroup_size: 1024
    .name:           _ZN4vllm25paged_attention_v1_kernelIthLi128ELi32ELi128ELNS_18Fp8KVCacheDataTypeE1ELb1EEEvPT_PKS2_PKT0_S8_ifPKiSA_iPKfiiiSC_SC_iiiii
    .private_segment_fixed_size: 484
    .sgpr_count:     41
    .sgpr_spill_count: 0
    .symbol:         _ZN4vllm25paged_attention_v1_kernelIthLi128ELi32ELi128ELNS_18Fp8KVCacheDataTypeE1ELb1EEEvPT_PKS2_PKT0_S8_ifPKiSA_iPKfiiiSC_SC_iiiii.kd
    .uniform_work_group_size: 1
    .uses_dynamic_stack: false
    .vgpr_count:     128
    .vgpr_spill_count: 0
    .wavefront_size: 32
  - .args:
      - .address_space:  global
        .offset:         0
        .size:           8
        .value_kind:     global_buffer
      - .address_space:  global
        .offset:         8
        .size:           8
        .value_kind:     global_buffer
      - .address_space:  global
        .offset:         16
        .size:           8
        .value_kind:     global_buffer
      - .address_space:  global
        .offset:         24
        .size:           8
        .value_kind:     global_buffer
      - .offset:         32
        .size:           4
        .value_kind:     by_value
      - .offset:         36
        .size:           4
        .value_kind:     by_value
      - .address_space:  global
        .offset:         40
        .size:           8
        .value_kind:     global_buffer
      - .address_space:  global
        .offset:         48
        .size:           8
        .value_kind:     global_buffer
      - .offset:         56
        .size:           4
        .value_kind:     by_value
      - .address_space:  global
        .offset:         64
        .size:           8
        .value_kind:     global_buffer
      - .offset:         72
        .size:           4
        .value_kind:     by_value
      - .offset:         76
        .size:           4
        .value_kind:     by_value
      - .offset:         80
        .size:           4
        .value_kind:     by_value
      - .address_space:  global
        .offset:         88
        .size:           8
        .value_kind:     global_buffer
      - .address_space:  global
        .offset:         96
        .size:           8
        .value_kind:     global_buffer
      - .offset:         104
        .size:           4
        .value_kind:     by_value
      - .offset:         108
        .size:           4
        .value_kind:     by_value
      - .offset:         112
        .size:           4
        .value_kind:     by_value
      - .offset:         116
        .size:           4
        .value_kind:     by_value
      - .offset:         120
        .size:           4
        .value_kind:     by_value
      - .offset:         128
        .size:           4
        .value_kind:     hidden_block_count_x
      - .offset:         132
        .size:           4
        .value_kind:     hidden_block_count_y
      - .offset:         136
        .size:           4
        .value_kind:     hidden_block_count_z
      - .offset:         140
        .size:           2
        .value_kind:     hidden_group_size_x
      - .offset:         142
        .size:           2
        .value_kind:     hidden_group_size_y
      - .offset:         144
        .size:           2
        .value_kind:     hidden_group_size_z
      - .offset:         146
        .size:           2
        .value_kind:     hidden_remainder_x
      - .offset:         148
        .size:           2
        .value_kind:     hidden_remainder_y
      - .offset:         150
        .size:           2
        .value_kind:     hidden_remainder_z
      - .offset:         168
        .size:           8
        .value_kind:     hidden_global_offset_x
      - .offset:         176
        .size:           8
        .value_kind:     hidden_global_offset_y
      - .offset:         184
        .size:           8
        .value_kind:     hidden_global_offset_z
      - .offset:         192
        .size:           2
        .value_kind:     hidden_grid_dims
      - .offset:         248
        .size:           4
        .value_kind:     hidden_dynamic_lds_size
    .group_segment_fixed_size: 416
    .kernarg_segment_align: 8
    .kernarg_segment_size: 384
    .language:       OpenCL C
    .language_version:
      - 2
      - 0
    .max_flat_workgroup_size: 1024
    .name:           _ZN4vllm25paged_attention_v1_kernelIthLi192ELi32ELi128ELNS_18Fp8KVCacheDataTypeE1ELb1EEEvPT_PKS2_PKT0_S8_ifPKiSA_iPKfiiiSC_SC_iiiii
    .private_segment_fixed_size: 732
    .sgpr_count:     41
    .sgpr_spill_count: 0
    .symbol:         _ZN4vllm25paged_attention_v1_kernelIthLi192ELi32ELi128ELNS_18Fp8KVCacheDataTypeE1ELb1EEEvPT_PKS2_PKT0_S8_ifPKiSA_iPKfiiiSC_SC_iiiii.kd
    .uniform_work_group_size: 1
    .uses_dynamic_stack: false
    .vgpr_count:     128
    .vgpr_spill_count: 0
    .wavefront_size: 32
  - .args:
      - .address_space:  global
        .offset:         0
        .size:           8
        .value_kind:     global_buffer
      - .address_space:  global
        .offset:         8
        .size:           8
        .value_kind:     global_buffer
      - .address_space:  global
        .offset:         16
        .size:           8
        .value_kind:     global_buffer
      - .address_space:  global
        .offset:         24
        .size:           8
        .value_kind:     global_buffer
      - .offset:         32
        .size:           4
        .value_kind:     by_value
      - .offset:         36
        .size:           4
        .value_kind:     by_value
      - .address_space:  global
        .offset:         40
        .size:           8
        .value_kind:     global_buffer
      - .address_space:  global
        .offset:         48
        .size:           8
        .value_kind:     global_buffer
      - .offset:         56
        .size:           4
        .value_kind:     by_value
      - .address_space:  global
        .offset:         64
        .size:           8
        .value_kind:     global_buffer
      - .offset:         72
        .size:           4
        .value_kind:     by_value
      - .offset:         76
        .size:           4
        .value_kind:     by_value
      - .offset:         80
        .size:           4
        .value_kind:     by_value
      - .address_space:  global
        .offset:         88
        .size:           8
        .value_kind:     global_buffer
      - .address_space:  global
        .offset:         96
        .size:           8
        .value_kind:     global_buffer
      - .offset:         104
        .size:           4
        .value_kind:     by_value
      - .offset:         108
        .size:           4
        .value_kind:     by_value
      - .offset:         112
        .size:           4
        .value_kind:     by_value
      - .offset:         116
        .size:           4
        .value_kind:     by_value
      - .offset:         120
        .size:           4
        .value_kind:     by_value
      - .offset:         128
        .size:           4
        .value_kind:     hidden_block_count_x
      - .offset:         132
        .size:           4
        .value_kind:     hidden_block_count_y
      - .offset:         136
        .size:           4
        .value_kind:     hidden_block_count_z
      - .offset:         140
        .size:           2
        .value_kind:     hidden_group_size_x
      - .offset:         142
        .size:           2
        .value_kind:     hidden_group_size_y
      - .offset:         144
        .size:           2
        .value_kind:     hidden_group_size_z
      - .offset:         146
        .size:           2
        .value_kind:     hidden_remainder_x
      - .offset:         148
        .size:           2
        .value_kind:     hidden_remainder_y
      - .offset:         150
        .size:           2
        .value_kind:     hidden_remainder_z
      - .offset:         168
        .size:           8
        .value_kind:     hidden_global_offset_x
      - .offset:         176
        .size:           8
        .value_kind:     hidden_global_offset_y
      - .offset:         184
        .size:           8
        .value_kind:     hidden_global_offset_z
      - .offset:         192
        .size:           2
        .value_kind:     hidden_grid_dims
      - .offset:         248
        .size:           4
        .value_kind:     hidden_dynamic_lds_size
    .group_segment_fixed_size: 544
    .kernarg_segment_align: 8
    .kernarg_segment_size: 384
    .language:       OpenCL C
    .language_version:
      - 2
      - 0
    .max_flat_workgroup_size: 1024
    .name:           _ZN4vllm25paged_attention_v1_kernelIthLi256ELi32ELi128ELNS_18Fp8KVCacheDataTypeE1ELb1EEEvPT_PKS2_PKT0_S8_ifPKiSA_iPKfiiiSC_SC_iiiii
    .private_segment_fixed_size: 1000
    .sgpr_count:     41
    .sgpr_spill_count: 0
    .symbol:         _ZN4vllm25paged_attention_v1_kernelIthLi256ELi32ELi128ELNS_18Fp8KVCacheDataTypeE1ELb1EEEvPT_PKS2_PKT0_S8_ifPKiSA_iPKfiiiSC_SC_iiiii.kd
    .uniform_work_group_size: 1
    .uses_dynamic_stack: false
    .vgpr_count:     128
    .vgpr_spill_count: 0
    .wavefront_size: 32
  - .args:
      - .actual_access:  write_only
        .address_space:  global
        .offset:         0
        .size:           8
        .value_kind:     global_buffer
      - .actual_access:  read_only
        .address_space:  global
        .offset:         8
        .size:           8
        .value_kind:     global_buffer
      - .actual_access:  read_only
        .address_space:  global
        .offset:         16
        .size:           8
        .value_kind:     global_buffer
      - .actual_access:  read_only
        .address_space:  global
        .offset:         24
        .size:           8
        .value_kind:     global_buffer
      - .offset:         32
        .size:           4
        .value_kind:     by_value
      - .offset:         36
        .size:           4
        .value_kind:     by_value
      - .actual_access:  read_only
        .address_space:  global
        .offset:         40
        .size:           8
        .value_kind:     global_buffer
      - .actual_access:  read_only
        .address_space:  global
        .offset:         48
        .size:           8
        .value_kind:     global_buffer
      - .offset:         56
        .size:           4
        .value_kind:     by_value
      - .actual_access:  read_only
        .address_space:  global
        .offset:         64
        .size:           8
        .value_kind:     global_buffer
      - .offset:         72
        .size:           4
        .value_kind:     by_value
      - .offset:         76
        .size:           4
        .value_kind:     by_value
      - .offset:         80
        .size:           4
        .value_kind:     by_value
      - .address_space:  global
        .offset:         88
        .size:           8
        .value_kind:     global_buffer
      - .address_space:  global
        .offset:         96
        .size:           8
        .value_kind:     global_buffer
      - .offset:         104
        .size:           4
        .value_kind:     by_value
      - .offset:         108
        .size:           4
        .value_kind:     by_value
      - .offset:         112
        .size:           4
        .value_kind:     by_value
      - .offset:         116
        .size:           4
        .value_kind:     by_value
      - .offset:         120
        .size:           4
        .value_kind:     by_value
      - .offset:         128
        .size:           4
        .value_kind:     hidden_block_count_x
      - .offset:         132
        .size:           4
        .value_kind:     hidden_block_count_y
      - .offset:         136
        .size:           4
        .value_kind:     hidden_block_count_z
      - .offset:         140
        .size:           2
        .value_kind:     hidden_group_size_x
      - .offset:         142
        .size:           2
        .value_kind:     hidden_group_size_y
      - .offset:         144
        .size:           2
        .value_kind:     hidden_group_size_z
      - .offset:         146
        .size:           2
        .value_kind:     hidden_remainder_x
      - .offset:         148
        .size:           2
        .value_kind:     hidden_remainder_y
      - .offset:         150
        .size:           2
        .value_kind:     hidden_remainder_z
      - .offset:         168
        .size:           8
        .value_kind:     hidden_global_offset_x
      - .offset:         176
        .size:           8
        .value_kind:     hidden_global_offset_y
      - .offset:         184
        .size:           8
        .value_kind:     hidden_global_offset_z
      - .offset:         192
        .size:           2
        .value_kind:     hidden_grid_dims
      - .offset:         248
        .size:           4
        .value_kind:     hidden_dynamic_lds_size
    .group_segment_fixed_size: 96
    .kernarg_segment_align: 8
    .kernarg_segment_size: 384
    .language:       OpenCL C
    .language_version:
      - 2
      - 0
    .max_flat_workgroup_size: 1024
    .name:           _ZN4vllm25paged_attention_v1_kernelIthLi32ELi32ELi128ELNS_18Fp8KVCacheDataTypeE1ELb0EEEvPT_PKS2_PKT0_S8_ifPKiSA_iPKfiiiSC_SC_iiiii
    .private_segment_fixed_size: 0
    .sgpr_count:     36
    .sgpr_spill_count: 0
    .symbol:         _ZN4vllm25paged_attention_v1_kernelIthLi32ELi32ELi128ELNS_18Fp8KVCacheDataTypeE1ELb0EEEvPT_PKS2_PKT0_S8_ifPKiSA_iPKfiiiSC_SC_iiiii.kd
    .uniform_work_group_size: 1
    .uses_dynamic_stack: false
    .vgpr_count:     78
    .vgpr_spill_count: 0
    .wavefront_size: 32
  - .args:
      - .actual_access:  write_only
        .address_space:  global
        .offset:         0
        .size:           8
        .value_kind:     global_buffer
      - .actual_access:  read_only
        .address_space:  global
        .offset:         8
        .size:           8
        .value_kind:     global_buffer
      - .actual_access:  read_only
        .address_space:  global
        .offset:         16
        .size:           8
        .value_kind:     global_buffer
      - .actual_access:  read_only
        .address_space:  global
        .offset:         24
        .size:           8
        .value_kind:     global_buffer
      - .offset:         32
        .size:           4
        .value_kind:     by_value
      - .offset:         36
        .size:           4
        .value_kind:     by_value
      - .actual_access:  read_only
        .address_space:  global
        .offset:         40
        .size:           8
        .value_kind:     global_buffer
      - .actual_access:  read_only
        .address_space:  global
        .offset:         48
        .size:           8
        .value_kind:     global_buffer
      - .offset:         56
        .size:           4
        .value_kind:     by_value
      - .actual_access:  read_only
        .address_space:  global
        .offset:         64
        .size:           8
        .value_kind:     global_buffer
      - .offset:         72
        .size:           4
        .value_kind:     by_value
      - .offset:         76
        .size:           4
        .value_kind:     by_value
      - .offset:         80
        .size:           4
        .value_kind:     by_value
      - .address_space:  global
        .offset:         88
        .size:           8
        .value_kind:     global_buffer
      - .address_space:  global
        .offset:         96
        .size:           8
        .value_kind:     global_buffer
      - .offset:         104
        .size:           4
        .value_kind:     by_value
      - .offset:         108
        .size:           4
        .value_kind:     by_value
      - .offset:         112
        .size:           4
        .value_kind:     by_value
      - .offset:         116
        .size:           4
        .value_kind:     by_value
      - .offset:         120
        .size:           4
        .value_kind:     by_value
      - .offset:         128
        .size:           4
        .value_kind:     hidden_block_count_x
      - .offset:         132
        .size:           4
        .value_kind:     hidden_block_count_y
      - .offset:         136
        .size:           4
        .value_kind:     hidden_block_count_z
      - .offset:         140
        .size:           2
        .value_kind:     hidden_group_size_x
      - .offset:         142
        .size:           2
        .value_kind:     hidden_group_size_y
      - .offset:         144
        .size:           2
        .value_kind:     hidden_group_size_z
      - .offset:         146
        .size:           2
        .value_kind:     hidden_remainder_x
      - .offset:         148
        .size:           2
        .value_kind:     hidden_remainder_y
      - .offset:         150
        .size:           2
        .value_kind:     hidden_remainder_z
      - .offset:         168
        .size:           8
        .value_kind:     hidden_global_offset_x
      - .offset:         176
        .size:           8
        .value_kind:     hidden_global_offset_y
      - .offset:         184
        .size:           8
        .value_kind:     hidden_global_offset_z
      - .offset:         192
        .size:           2
        .value_kind:     hidden_grid_dims
      - .offset:         248
        .size:           4
        .value_kind:     hidden_dynamic_lds_size
    .group_segment_fixed_size: 160
    .kernarg_segment_align: 8
    .kernarg_segment_size: 384
    .language:       OpenCL C
    .language_version:
      - 2
      - 0
    .max_flat_workgroup_size: 1024
    .name:           _ZN4vllm25paged_attention_v1_kernelIthLi64ELi32ELi128ELNS_18Fp8KVCacheDataTypeE1ELb0EEEvPT_PKS2_PKT0_S8_ifPKiSA_iPKfiiiSC_SC_iiiii
    .private_segment_fixed_size: 0
    .sgpr_count:     36
    .sgpr_spill_count: 0
    .symbol:         _ZN4vllm25paged_attention_v1_kernelIthLi64ELi32ELi128ELNS_18Fp8KVCacheDataTypeE1ELb0EEEvPT_PKS2_PKT0_S8_ifPKiSA_iPKfiiiSC_SC_iiiii.kd
    .uniform_work_group_size: 1
    .uses_dynamic_stack: false
    .vgpr_count:     122
    .vgpr_spill_count: 0
    .wavefront_size: 32
  - .args:
      - .actual_access:  write_only
        .address_space:  global
        .offset:         0
        .size:           8
        .value_kind:     global_buffer
      - .actual_access:  read_only
        .address_space:  global
        .offset:         8
        .size:           8
        .value_kind:     global_buffer
      - .actual_access:  read_only
        .address_space:  global
        .offset:         16
        .size:           8
        .value_kind:     global_buffer
      - .actual_access:  read_only
        .address_space:  global
        .offset:         24
        .size:           8
        .value_kind:     global_buffer
      - .offset:         32
        .size:           4
        .value_kind:     by_value
      - .offset:         36
        .size:           4
        .value_kind:     by_value
      - .actual_access:  read_only
        .address_space:  global
        .offset:         40
        .size:           8
        .value_kind:     global_buffer
      - .actual_access:  read_only
        .address_space:  global
        .offset:         48
        .size:           8
        .value_kind:     global_buffer
      - .offset:         56
        .size:           4
        .value_kind:     by_value
      - .actual_access:  read_only
        .address_space:  global
        .offset:         64
        .size:           8
        .value_kind:     global_buffer
      - .offset:         72
        .size:           4
        .value_kind:     by_value
      - .offset:         76
        .size:           4
        .value_kind:     by_value
      - .offset:         80
        .size:           4
        .value_kind:     by_value
      - .address_space:  global
        .offset:         88
        .size:           8
        .value_kind:     global_buffer
      - .address_space:  global
        .offset:         96
        .size:           8
        .value_kind:     global_buffer
      - .offset:         104
        .size:           4
        .value_kind:     by_value
      - .offset:         108
        .size:           4
        .value_kind:     by_value
      - .offset:         112
        .size:           4
        .value_kind:     by_value
      - .offset:         116
        .size:           4
        .value_kind:     by_value
      - .offset:         120
        .size:           4
        .value_kind:     by_value
      - .offset:         128
        .size:           4
        .value_kind:     hidden_block_count_x
      - .offset:         132
        .size:           4
        .value_kind:     hidden_block_count_y
      - .offset:         136
        .size:           4
        .value_kind:     hidden_block_count_z
      - .offset:         140
        .size:           2
        .value_kind:     hidden_group_size_x
      - .offset:         142
        .size:           2
        .value_kind:     hidden_group_size_y
      - .offset:         144
        .size:           2
        .value_kind:     hidden_group_size_z
      - .offset:         146
        .size:           2
        .value_kind:     hidden_remainder_x
      - .offset:         148
        .size:           2
        .value_kind:     hidden_remainder_y
      - .offset:         150
        .size:           2
        .value_kind:     hidden_remainder_z
      - .offset:         168
        .size:           8
        .value_kind:     hidden_global_offset_x
      - .offset:         176
        .size:           8
        .value_kind:     hidden_global_offset_y
      - .offset:         184
        .size:           8
        .value_kind:     hidden_global_offset_z
      - .offset:         192
        .size:           2
        .value_kind:     hidden_grid_dims
      - .offset:         248
        .size:           4
        .value_kind:     hidden_dynamic_lds_size
    .group_segment_fixed_size: 192
    .kernarg_segment_align: 8
    .kernarg_segment_size: 384
    .language:       OpenCL C
    .language_version:
      - 2
      - 0
    .max_flat_workgroup_size: 1024
    .name:           _ZN4vllm25paged_attention_v1_kernelIthLi80ELi32ELi128ELNS_18Fp8KVCacheDataTypeE1ELb0EEEvPT_PKS2_PKT0_S8_ifPKiSA_iPKfiiiSC_SC_iiiii
    .private_segment_fixed_size: 0
    .sgpr_count:     36
    .sgpr_spill_count: 0
    .symbol:         _ZN4vllm25paged_attention_v1_kernelIthLi80ELi32ELi128ELNS_18Fp8KVCacheDataTypeE1ELb0EEEvPT_PKS2_PKT0_S8_ifPKiSA_iPKfiiiSC_SC_iiiii.kd
    .uniform_work_group_size: 1
    .uses_dynamic_stack: false
    .vgpr_count:     128
    .vgpr_spill_count: 0
    .wavefront_size: 32
  - .args:
      - .address_space:  global
        .offset:         0
        .size:           8
        .value_kind:     global_buffer
      - .address_space:  global
        .offset:         8
        .size:           8
        .value_kind:     global_buffer
      - .address_space:  global
        .offset:         16
        .size:           8
        .value_kind:     global_buffer
      - .address_space:  global
        .offset:         24
        .size:           8
        .value_kind:     global_buffer
      - .offset:         32
        .size:           4
        .value_kind:     by_value
      - .offset:         36
        .size:           4
        .value_kind:     by_value
      - .address_space:  global
        .offset:         40
        .size:           8
        .value_kind:     global_buffer
      - .address_space:  global
        .offset:         48
        .size:           8
        .value_kind:     global_buffer
      - .offset:         56
        .size:           4
        .value_kind:     by_value
      - .address_space:  global
        .offset:         64
        .size:           8
        .value_kind:     global_buffer
      - .offset:         72
        .size:           4
        .value_kind:     by_value
      - .offset:         76
        .size:           4
        .value_kind:     by_value
      - .offset:         80
        .size:           4
        .value_kind:     by_value
      - .address_space:  global
        .offset:         88
        .size:           8
        .value_kind:     global_buffer
      - .address_space:  global
        .offset:         96
        .size:           8
        .value_kind:     global_buffer
      - .offset:         104
        .size:           4
        .value_kind:     by_value
      - .offset:         108
        .size:           4
        .value_kind:     by_value
      - .offset:         112
        .size:           4
        .value_kind:     by_value
      - .offset:         116
        .size:           4
        .value_kind:     by_value
      - .offset:         120
        .size:           4
        .value_kind:     by_value
      - .offset:         128
        .size:           4
        .value_kind:     hidden_block_count_x
      - .offset:         132
        .size:           4
        .value_kind:     hidden_block_count_y
      - .offset:         136
        .size:           4
        .value_kind:     hidden_block_count_z
      - .offset:         140
        .size:           2
        .value_kind:     hidden_group_size_x
      - .offset:         142
        .size:           2
        .value_kind:     hidden_group_size_y
      - .offset:         144
        .size:           2
        .value_kind:     hidden_group_size_z
      - .offset:         146
        .size:           2
        .value_kind:     hidden_remainder_x
      - .offset:         148
        .size:           2
        .value_kind:     hidden_remainder_y
      - .offset:         150
        .size:           2
        .value_kind:     hidden_remainder_z
      - .offset:         168
        .size:           8
        .value_kind:     hidden_global_offset_x
      - .offset:         176
        .size:           8
        .value_kind:     hidden_global_offset_y
      - .offset:         184
        .size:           8
        .value_kind:     hidden_global_offset_z
      - .offset:         192
        .size:           2
        .value_kind:     hidden_grid_dims
      - .offset:         248
        .size:           4
        .value_kind:     hidden_dynamic_lds_size
    .group_segment_fixed_size: 224
    .kernarg_segment_align: 8
    .kernarg_segment_size: 384
    .language:       OpenCL C
    .language_version:
      - 2
      - 0
    .max_flat_workgroup_size: 1024
    .name:           _ZN4vllm25paged_attention_v1_kernelIthLi96ELi32ELi128ELNS_18Fp8KVCacheDataTypeE1ELb0EEEvPT_PKS2_PKT0_S8_ifPKiSA_iPKfiiiSC_SC_iiiii
    .private_segment_fixed_size: 360
    .sgpr_count:     35
    .sgpr_spill_count: 0
    .symbol:         _ZN4vllm25paged_attention_v1_kernelIthLi96ELi32ELi128ELNS_18Fp8KVCacheDataTypeE1ELb0EEEvPT_PKS2_PKT0_S8_ifPKiSA_iPKfiiiSC_SC_iiiii.kd
    .uniform_work_group_size: 1
    .uses_dynamic_stack: false
    .vgpr_count:     128
    .vgpr_spill_count: 0
    .wavefront_size: 32
  - .args:
      - .address_space:  global
        .offset:         0
        .size:           8
        .value_kind:     global_buffer
      - .address_space:  global
        .offset:         8
        .size:           8
        .value_kind:     global_buffer
      - .address_space:  global
        .offset:         16
        .size:           8
        .value_kind:     global_buffer
      - .address_space:  global
        .offset:         24
        .size:           8
        .value_kind:     global_buffer
      - .offset:         32
        .size:           4
        .value_kind:     by_value
      - .offset:         36
        .size:           4
        .value_kind:     by_value
      - .address_space:  global
        .offset:         40
        .size:           8
        .value_kind:     global_buffer
      - .address_space:  global
        .offset:         48
        .size:           8
        .value_kind:     global_buffer
      - .offset:         56
        .size:           4
        .value_kind:     by_value
      - .address_space:  global
        .offset:         64
        .size:           8
        .value_kind:     global_buffer
      - .offset:         72
        .size:           4
        .value_kind:     by_value
      - .offset:         76
        .size:           4
        .value_kind:     by_value
      - .offset:         80
        .size:           4
        .value_kind:     by_value
      - .address_space:  global
        .offset:         88
        .size:           8
        .value_kind:     global_buffer
      - .address_space:  global
        .offset:         96
        .size:           8
        .value_kind:     global_buffer
      - .offset:         104
        .size:           4
        .value_kind:     by_value
      - .offset:         108
        .size:           4
        .value_kind:     by_value
      - .offset:         112
        .size:           4
        .value_kind:     by_value
      - .offset:         116
        .size:           4
        .value_kind:     by_value
      - .offset:         120
        .size:           4
        .value_kind:     by_value
      - .offset:         128
        .size:           4
        .value_kind:     hidden_block_count_x
      - .offset:         132
        .size:           4
        .value_kind:     hidden_block_count_y
      - .offset:         136
        .size:           4
        .value_kind:     hidden_block_count_z
      - .offset:         140
        .size:           2
        .value_kind:     hidden_group_size_x
      - .offset:         142
        .size:           2
        .value_kind:     hidden_group_size_y
      - .offset:         144
        .size:           2
        .value_kind:     hidden_group_size_z
      - .offset:         146
        .size:           2
        .value_kind:     hidden_remainder_x
      - .offset:         148
        .size:           2
        .value_kind:     hidden_remainder_y
      - .offset:         150
        .size:           2
        .value_kind:     hidden_remainder_z
      - .offset:         168
        .size:           8
        .value_kind:     hidden_global_offset_x
      - .offset:         176
        .size:           8
        .value_kind:     hidden_global_offset_y
      - .offset:         184
        .size:           8
        .value_kind:     hidden_global_offset_z
      - .offset:         192
        .size:           2
        .value_kind:     hidden_grid_dims
      - .offset:         248
        .size:           4
        .value_kind:     hidden_dynamic_lds_size
    .group_segment_fixed_size: 256
    .kernarg_segment_align: 8
    .kernarg_segment_size: 384
    .language:       OpenCL C
    .language_version:
      - 2
      - 0
    .max_flat_workgroup_size: 1024
    .name:           _ZN4vllm25paged_attention_v1_kernelIthLi112ELi32ELi128ELNS_18Fp8KVCacheDataTypeE1ELb0EEEvPT_PKS2_PKT0_S8_ifPKiSA_iPKfiiiSC_SC_iiiii
    .private_segment_fixed_size: 376
    .sgpr_count:     35
    .sgpr_spill_count: 0
    .symbol:         _ZN4vllm25paged_attention_v1_kernelIthLi112ELi32ELi128ELNS_18Fp8KVCacheDataTypeE1ELb0EEEvPT_PKS2_PKT0_S8_ifPKiSA_iPKfiiiSC_SC_iiiii.kd
    .uniform_work_group_size: 1
    .uses_dynamic_stack: false
    .vgpr_count:     128
    .vgpr_spill_count: 0
    .wavefront_size: 32
  - .args:
      - .address_space:  global
        .offset:         0
        .size:           8
        .value_kind:     global_buffer
      - .address_space:  global
        .offset:         8
        .size:           8
        .value_kind:     global_buffer
      - .address_space:  global
        .offset:         16
        .size:           8
        .value_kind:     global_buffer
      - .address_space:  global
        .offset:         24
        .size:           8
        .value_kind:     global_buffer
      - .offset:         32
        .size:           4
        .value_kind:     by_value
      - .offset:         36
        .size:           4
        .value_kind:     by_value
      - .address_space:  global
        .offset:         40
        .size:           8
        .value_kind:     global_buffer
      - .address_space:  global
        .offset:         48
        .size:           8
        .value_kind:     global_buffer
      - .offset:         56
        .size:           4
        .value_kind:     by_value
      - .address_space:  global
        .offset:         64
        .size:           8
        .value_kind:     global_buffer
      - .offset:         72
        .size:           4
        .value_kind:     by_value
      - .offset:         76
        .size:           4
        .value_kind:     by_value
      - .offset:         80
        .size:           4
        .value_kind:     by_value
      - .address_space:  global
        .offset:         88
        .size:           8
        .value_kind:     global_buffer
      - .address_space:  global
        .offset:         96
        .size:           8
        .value_kind:     global_buffer
      - .offset:         104
        .size:           4
        .value_kind:     by_value
      - .offset:         108
        .size:           4
        .value_kind:     by_value
      - .offset:         112
        .size:           4
        .value_kind:     by_value
      - .offset:         116
        .size:           4
        .value_kind:     by_value
      - .offset:         120
        .size:           4
        .value_kind:     by_value
      - .offset:         128
        .size:           4
        .value_kind:     hidden_block_count_x
      - .offset:         132
        .size:           4
        .value_kind:     hidden_block_count_y
      - .offset:         136
        .size:           4
        .value_kind:     hidden_block_count_z
      - .offset:         140
        .size:           2
        .value_kind:     hidden_group_size_x
      - .offset:         142
        .size:           2
        .value_kind:     hidden_group_size_y
      - .offset:         144
        .size:           2
        .value_kind:     hidden_group_size_z
      - .offset:         146
        .size:           2
        .value_kind:     hidden_remainder_x
      - .offset:         148
        .size:           2
        .value_kind:     hidden_remainder_y
      - .offset:         150
        .size:           2
        .value_kind:     hidden_remainder_z
      - .offset:         168
        .size:           8
        .value_kind:     hidden_global_offset_x
      - .offset:         176
        .size:           8
        .value_kind:     hidden_global_offset_y
      - .offset:         184
        .size:           8
        .value_kind:     hidden_global_offset_z
      - .offset:         192
        .size:           2
        .value_kind:     hidden_grid_dims
      - .offset:         248
        .size:           4
        .value_kind:     hidden_dynamic_lds_size
    .group_segment_fixed_size: 272
    .kernarg_segment_align: 8
    .kernarg_segment_size: 384
    .language:       OpenCL C
    .language_version:
      - 2
      - 0
    .max_flat_workgroup_size: 1024
    .name:           _ZN4vllm25paged_attention_v1_kernelIthLi120ELi32ELi128ELNS_18Fp8KVCacheDataTypeE1ELb0EEEvPT_PKS2_PKT0_S8_ifPKiSA_iPKfiiiSC_SC_iiiii
    .private_segment_fixed_size: 396
    .sgpr_count:     35
    .sgpr_spill_count: 0
    .symbol:         _ZN4vllm25paged_attention_v1_kernelIthLi120ELi32ELi128ELNS_18Fp8KVCacheDataTypeE1ELb0EEEvPT_PKS2_PKT0_S8_ifPKiSA_iPKfiiiSC_SC_iiiii.kd
    .uniform_work_group_size: 1
    .uses_dynamic_stack: false
    .vgpr_count:     128
    .vgpr_spill_count: 0
    .wavefront_size: 32
  - .args:
      - .address_space:  global
        .offset:         0
        .size:           8
        .value_kind:     global_buffer
      - .address_space:  global
        .offset:         8
        .size:           8
        .value_kind:     global_buffer
      - .address_space:  global
        .offset:         16
        .size:           8
        .value_kind:     global_buffer
      - .address_space:  global
        .offset:         24
        .size:           8
        .value_kind:     global_buffer
      - .offset:         32
        .size:           4
        .value_kind:     by_value
      - .offset:         36
        .size:           4
        .value_kind:     by_value
      - .address_space:  global
        .offset:         40
        .size:           8
        .value_kind:     global_buffer
      - .address_space:  global
        .offset:         48
        .size:           8
        .value_kind:     global_buffer
      - .offset:         56
        .size:           4
        .value_kind:     by_value
      - .address_space:  global
        .offset:         64
        .size:           8
        .value_kind:     global_buffer
      - .offset:         72
        .size:           4
        .value_kind:     by_value
      - .offset:         76
        .size:           4
        .value_kind:     by_value
      - .offset:         80
        .size:           4
        .value_kind:     by_value
      - .address_space:  global
        .offset:         88
        .size:           8
        .value_kind:     global_buffer
      - .address_space:  global
        .offset:         96
        .size:           8
        .value_kind:     global_buffer
      - .offset:         104
        .size:           4
        .value_kind:     by_value
      - .offset:         108
        .size:           4
        .value_kind:     by_value
      - .offset:         112
        .size:           4
        .value_kind:     by_value
      - .offset:         116
        .size:           4
        .value_kind:     by_value
      - .offset:         120
        .size:           4
        .value_kind:     by_value
      - .offset:         128
        .size:           4
        .value_kind:     hidden_block_count_x
      - .offset:         132
        .size:           4
        .value_kind:     hidden_block_count_y
      - .offset:         136
        .size:           4
        .value_kind:     hidden_block_count_z
      - .offset:         140
        .size:           2
        .value_kind:     hidden_group_size_x
      - .offset:         142
        .size:           2
        .value_kind:     hidden_group_size_y
      - .offset:         144
        .size:           2
        .value_kind:     hidden_group_size_z
      - .offset:         146
        .size:           2
        .value_kind:     hidden_remainder_x
      - .offset:         148
        .size:           2
        .value_kind:     hidden_remainder_y
      - .offset:         150
        .size:           2
        .value_kind:     hidden_remainder_z
      - .offset:         168
        .size:           8
        .value_kind:     hidden_global_offset_x
      - .offset:         176
        .size:           8
        .value_kind:     hidden_global_offset_y
      - .offset:         184
        .size:           8
        .value_kind:     hidden_global_offset_z
      - .offset:         192
        .size:           2
        .value_kind:     hidden_grid_dims
      - .offset:         248
        .size:           4
        .value_kind:     hidden_dynamic_lds_size
    .group_segment_fixed_size: 288
    .kernarg_segment_align: 8
    .kernarg_segment_size: 384
    .language:       OpenCL C
    .language_version:
      - 2
      - 0
    .max_flat_workgroup_size: 1024
    .name:           _ZN4vllm25paged_attention_v1_kernelIthLi128ELi32ELi128ELNS_18Fp8KVCacheDataTypeE1ELb0EEEvPT_PKS2_PKT0_S8_ifPKiSA_iPKfiiiSC_SC_iiiii
    .private_segment_fixed_size: 436
    .sgpr_count:     35
    .sgpr_spill_count: 0
    .symbol:         _ZN4vllm25paged_attention_v1_kernelIthLi128ELi32ELi128ELNS_18Fp8KVCacheDataTypeE1ELb0EEEvPT_PKS2_PKT0_S8_ifPKiSA_iPKfiiiSC_SC_iiiii.kd
    .uniform_work_group_size: 1
    .uses_dynamic_stack: false
    .vgpr_count:     128
    .vgpr_spill_count: 0
    .wavefront_size: 32
  - .args:
      - .address_space:  global
        .offset:         0
        .size:           8
        .value_kind:     global_buffer
      - .address_space:  global
        .offset:         8
        .size:           8
        .value_kind:     global_buffer
      - .address_space:  global
        .offset:         16
        .size:           8
        .value_kind:     global_buffer
      - .address_space:  global
        .offset:         24
        .size:           8
        .value_kind:     global_buffer
      - .offset:         32
        .size:           4
        .value_kind:     by_value
      - .offset:         36
        .size:           4
        .value_kind:     by_value
      - .address_space:  global
        .offset:         40
        .size:           8
        .value_kind:     global_buffer
      - .address_space:  global
        .offset:         48
        .size:           8
        .value_kind:     global_buffer
      - .offset:         56
        .size:           4
        .value_kind:     by_value
      - .address_space:  global
        .offset:         64
        .size:           8
        .value_kind:     global_buffer
      - .offset:         72
        .size:           4
        .value_kind:     by_value
      - .offset:         76
        .size:           4
        .value_kind:     by_value
      - .offset:         80
        .size:           4
        .value_kind:     by_value
      - .address_space:  global
        .offset:         88
        .size:           8
        .value_kind:     global_buffer
      - .address_space:  global
        .offset:         96
        .size:           8
        .value_kind:     global_buffer
      - .offset:         104
        .size:           4
        .value_kind:     by_value
      - .offset:         108
        .size:           4
        .value_kind:     by_value
      - .offset:         112
        .size:           4
        .value_kind:     by_value
      - .offset:         116
        .size:           4
        .value_kind:     by_value
      - .offset:         120
        .size:           4
        .value_kind:     by_value
      - .offset:         128
        .size:           4
        .value_kind:     hidden_block_count_x
      - .offset:         132
        .size:           4
        .value_kind:     hidden_block_count_y
      - .offset:         136
        .size:           4
        .value_kind:     hidden_block_count_z
      - .offset:         140
        .size:           2
        .value_kind:     hidden_group_size_x
      - .offset:         142
        .size:           2
        .value_kind:     hidden_group_size_y
      - .offset:         144
        .size:           2
        .value_kind:     hidden_group_size_z
      - .offset:         146
        .size:           2
        .value_kind:     hidden_remainder_x
      - .offset:         148
        .size:           2
        .value_kind:     hidden_remainder_y
      - .offset:         150
        .size:           2
        .value_kind:     hidden_remainder_z
      - .offset:         168
        .size:           8
        .value_kind:     hidden_global_offset_x
      - .offset:         176
        .size:           8
        .value_kind:     hidden_global_offset_y
      - .offset:         184
        .size:           8
        .value_kind:     hidden_global_offset_z
      - .offset:         192
        .size:           2
        .value_kind:     hidden_grid_dims
      - .offset:         248
        .size:           4
        .value_kind:     hidden_dynamic_lds_size
    .group_segment_fixed_size: 416
    .kernarg_segment_align: 8
    .kernarg_segment_size: 384
    .language:       OpenCL C
    .language_version:
      - 2
      - 0
    .max_flat_workgroup_size: 1024
    .name:           _ZN4vllm25paged_attention_v1_kernelIthLi192ELi32ELi128ELNS_18Fp8KVCacheDataTypeE1ELb0EEEvPT_PKS2_PKT0_S8_ifPKiSA_iPKfiiiSC_SC_iiiii
    .private_segment_fixed_size: 680
    .sgpr_count:     35
    .sgpr_spill_count: 0
    .symbol:         _ZN4vllm25paged_attention_v1_kernelIthLi192ELi32ELi128ELNS_18Fp8KVCacheDataTypeE1ELb0EEEvPT_PKS2_PKT0_S8_ifPKiSA_iPKfiiiSC_SC_iiiii.kd
    .uniform_work_group_size: 1
    .uses_dynamic_stack: false
    .vgpr_count:     128
    .vgpr_spill_count: 0
    .wavefront_size: 32
  - .args:
      - .address_space:  global
        .offset:         0
        .size:           8
        .value_kind:     global_buffer
      - .address_space:  global
        .offset:         8
        .size:           8
        .value_kind:     global_buffer
      - .address_space:  global
        .offset:         16
        .size:           8
        .value_kind:     global_buffer
      - .address_space:  global
        .offset:         24
        .size:           8
        .value_kind:     global_buffer
      - .offset:         32
        .size:           4
        .value_kind:     by_value
      - .offset:         36
        .size:           4
        .value_kind:     by_value
      - .address_space:  global
        .offset:         40
        .size:           8
        .value_kind:     global_buffer
      - .address_space:  global
        .offset:         48
        .size:           8
        .value_kind:     global_buffer
      - .offset:         56
        .size:           4
        .value_kind:     by_value
      - .address_space:  global
        .offset:         64
        .size:           8
        .value_kind:     global_buffer
      - .offset:         72
        .size:           4
        .value_kind:     by_value
      - .offset:         76
        .size:           4
        .value_kind:     by_value
      - .offset:         80
        .size:           4
        .value_kind:     by_value
      - .address_space:  global
        .offset:         88
        .size:           8
        .value_kind:     global_buffer
      - .address_space:  global
        .offset:         96
        .size:           8
        .value_kind:     global_buffer
      - .offset:         104
        .size:           4
        .value_kind:     by_value
      - .offset:         108
        .size:           4
        .value_kind:     by_value
      - .offset:         112
        .size:           4
        .value_kind:     by_value
      - .offset:         116
        .size:           4
        .value_kind:     by_value
      - .offset:         120
        .size:           4
        .value_kind:     by_value
      - .offset:         128
        .size:           4
        .value_kind:     hidden_block_count_x
      - .offset:         132
        .size:           4
        .value_kind:     hidden_block_count_y
      - .offset:         136
        .size:           4
        .value_kind:     hidden_block_count_z
      - .offset:         140
        .size:           2
        .value_kind:     hidden_group_size_x
      - .offset:         142
        .size:           2
        .value_kind:     hidden_group_size_y
      - .offset:         144
        .size:           2
        .value_kind:     hidden_group_size_z
      - .offset:         146
        .size:           2
        .value_kind:     hidden_remainder_x
      - .offset:         148
        .size:           2
        .value_kind:     hidden_remainder_y
      - .offset:         150
        .size:           2
        .value_kind:     hidden_remainder_z
      - .offset:         168
        .size:           8
        .value_kind:     hidden_global_offset_x
      - .offset:         176
        .size:           8
        .value_kind:     hidden_global_offset_y
      - .offset:         184
        .size:           8
        .value_kind:     hidden_global_offset_z
      - .offset:         192
        .size:           2
        .value_kind:     hidden_grid_dims
      - .offset:         248
        .size:           4
        .value_kind:     hidden_dynamic_lds_size
    .group_segment_fixed_size: 544
    .kernarg_segment_align: 8
    .kernarg_segment_size: 384
    .language:       OpenCL C
    .language_version:
      - 2
      - 0
    .max_flat_workgroup_size: 1024
    .name:           _ZN4vllm25paged_attention_v1_kernelIthLi256ELi32ELi128ELNS_18Fp8KVCacheDataTypeE1ELb0EEEvPT_PKS2_PKT0_S8_ifPKiSA_iPKfiiiSC_SC_iiiii
    .private_segment_fixed_size: 940
    .sgpr_count:     35
    .sgpr_spill_count: 0
    .symbol:         _ZN4vllm25paged_attention_v1_kernelIthLi256ELi32ELi128ELNS_18Fp8KVCacheDataTypeE1ELb0EEEvPT_PKS2_PKT0_S8_ifPKiSA_iPKfiiiSC_SC_iiiii.kd
    .uniform_work_group_size: 1
    .uses_dynamic_stack: false
    .vgpr_count:     128
    .vgpr_spill_count: 0
    .wavefront_size: 32
  - .args:
      - .actual_access:  write_only
        .address_space:  global
        .offset:         0
        .size:           8
        .value_kind:     global_buffer
      - .actual_access:  read_only
        .address_space:  global
        .offset:         8
        .size:           8
        .value_kind:     global_buffer
      - .actual_access:  read_only
        .address_space:  global
        .offset:         16
        .size:           8
        .value_kind:     global_buffer
      - .actual_access:  read_only
        .address_space:  global
        .offset:         24
        .size:           8
        .value_kind:     global_buffer
      - .offset:         32
        .size:           4
        .value_kind:     by_value
      - .offset:         36
        .size:           4
        .value_kind:     by_value
      - .actual_access:  read_only
        .address_space:  global
        .offset:         40
        .size:           8
        .value_kind:     global_buffer
      - .actual_access:  read_only
        .address_space:  global
        .offset:         48
        .size:           8
        .value_kind:     global_buffer
      - .offset:         56
        .size:           4
        .value_kind:     by_value
      - .actual_access:  read_only
        .address_space:  global
        .offset:         64
        .size:           8
        .value_kind:     global_buffer
      - .offset:         72
        .size:           4
        .value_kind:     by_value
      - .offset:         76
        .size:           4
        .value_kind:     by_value
      - .offset:         80
        .size:           4
        .value_kind:     by_value
      - .address_space:  global
        .offset:         88
        .size:           8
        .value_kind:     global_buffer
      - .address_space:  global
        .offset:         96
        .size:           8
        .value_kind:     global_buffer
      - .offset:         104
        .size:           4
        .value_kind:     by_value
      - .offset:         108
        .size:           4
        .value_kind:     by_value
      - .offset:         112
        .size:           4
        .value_kind:     by_value
      - .offset:         116
        .size:           4
        .value_kind:     by_value
      - .offset:         120
        .size:           4
        .value_kind:     by_value
      - .offset:         128
        .size:           4
        .value_kind:     hidden_block_count_x
      - .offset:         132
        .size:           4
        .value_kind:     hidden_block_count_y
      - .offset:         136
        .size:           4
        .value_kind:     hidden_block_count_z
      - .offset:         140
        .size:           2
        .value_kind:     hidden_group_size_x
      - .offset:         142
        .size:           2
        .value_kind:     hidden_group_size_y
      - .offset:         144
        .size:           2
        .value_kind:     hidden_group_size_z
      - .offset:         146
        .size:           2
        .value_kind:     hidden_remainder_x
      - .offset:         148
        .size:           2
        .value_kind:     hidden_remainder_y
      - .offset:         150
        .size:           2
        .value_kind:     hidden_remainder_z
      - .offset:         168
        .size:           8
        .value_kind:     hidden_global_offset_x
      - .offset:         176
        .size:           8
        .value_kind:     hidden_global_offset_y
      - .offset:         184
        .size:           8
        .value_kind:     hidden_global_offset_z
      - .offset:         192
        .size:           2
        .value_kind:     hidden_grid_dims
      - .offset:         248
        .size:           4
        .value_kind:     hidden_dynamic_lds_size
    .group_segment_fixed_size: 96
    .kernarg_segment_align: 8
    .kernarg_segment_size: 384
    .language:       OpenCL C
    .language_version:
      - 2
      - 0
    .max_flat_workgroup_size: 1024
    .name:           _ZN4vllm25paged_attention_v1_kernelI14__hip_bfloat16hLi32ELi8ELi128ELNS_18Fp8KVCacheDataTypeE1ELb1EEEvPT_PKS3_PKT0_S9_ifPKiSB_iPKfiiiSD_SD_iiiii
    .private_segment_fixed_size: 0
    .sgpr_count:     48
    .sgpr_spill_count: 0
    .symbol:         _ZN4vllm25paged_attention_v1_kernelI14__hip_bfloat16hLi32ELi8ELi128ELNS_18Fp8KVCacheDataTypeE1ELb1EEEvPT_PKS3_PKT0_S9_ifPKiSB_iPKfiiiSD_SD_iiiii.kd
    .uniform_work_group_size: 1
    .uses_dynamic_stack: false
    .vgpr_count:     35
    .vgpr_spill_count: 0
    .wavefront_size: 32
  - .args:
      - .actual_access:  write_only
        .address_space:  global
        .offset:         0
        .size:           8
        .value_kind:     global_buffer
      - .actual_access:  read_only
        .address_space:  global
        .offset:         8
        .size:           8
        .value_kind:     global_buffer
      - .actual_access:  read_only
        .address_space:  global
        .offset:         16
        .size:           8
        .value_kind:     global_buffer
      - .actual_access:  read_only
        .address_space:  global
        .offset:         24
        .size:           8
        .value_kind:     global_buffer
      - .offset:         32
        .size:           4
        .value_kind:     by_value
      - .offset:         36
        .size:           4
        .value_kind:     by_value
      - .actual_access:  read_only
        .address_space:  global
        .offset:         40
        .size:           8
        .value_kind:     global_buffer
      - .actual_access:  read_only
        .address_space:  global
        .offset:         48
        .size:           8
        .value_kind:     global_buffer
      - .offset:         56
        .size:           4
        .value_kind:     by_value
      - .actual_access:  read_only
        .address_space:  global
        .offset:         64
        .size:           8
        .value_kind:     global_buffer
      - .offset:         72
        .size:           4
        .value_kind:     by_value
      - .offset:         76
        .size:           4
        .value_kind:     by_value
      - .offset:         80
        .size:           4
        .value_kind:     by_value
      - .address_space:  global
        .offset:         88
        .size:           8
        .value_kind:     global_buffer
      - .address_space:  global
        .offset:         96
        .size:           8
        .value_kind:     global_buffer
      - .offset:         104
        .size:           4
        .value_kind:     by_value
      - .offset:         108
        .size:           4
        .value_kind:     by_value
      - .offset:         112
        .size:           4
        .value_kind:     by_value
      - .offset:         116
        .size:           4
        .value_kind:     by_value
      - .offset:         120
        .size:           4
        .value_kind:     by_value
      - .offset:         128
        .size:           4
        .value_kind:     hidden_block_count_x
      - .offset:         132
        .size:           4
        .value_kind:     hidden_block_count_y
      - .offset:         136
        .size:           4
        .value_kind:     hidden_block_count_z
      - .offset:         140
        .size:           2
        .value_kind:     hidden_group_size_x
      - .offset:         142
        .size:           2
        .value_kind:     hidden_group_size_y
      - .offset:         144
        .size:           2
        .value_kind:     hidden_group_size_z
      - .offset:         146
        .size:           2
        .value_kind:     hidden_remainder_x
      - .offset:         148
        .size:           2
        .value_kind:     hidden_remainder_y
      - .offset:         150
        .size:           2
        .value_kind:     hidden_remainder_z
      - .offset:         168
        .size:           8
        .value_kind:     hidden_global_offset_x
      - .offset:         176
        .size:           8
        .value_kind:     hidden_global_offset_y
      - .offset:         184
        .size:           8
        .value_kind:     hidden_global_offset_z
      - .offset:         192
        .size:           2
        .value_kind:     hidden_grid_dims
      - .offset:         248
        .size:           4
        .value_kind:     hidden_dynamic_lds_size
    .group_segment_fixed_size: 160
    .kernarg_segment_align: 8
    .kernarg_segment_size: 384
    .language:       OpenCL C
    .language_version:
      - 2
      - 0
    .max_flat_workgroup_size: 1024
    .name:           _ZN4vllm25paged_attention_v1_kernelI14__hip_bfloat16hLi64ELi8ELi128ELNS_18Fp8KVCacheDataTypeE1ELb1EEEvPT_PKS3_PKT0_S9_ifPKiSB_iPKfiiiSD_SD_iiiii
    .private_segment_fixed_size: 0
    .sgpr_count:     49
    .sgpr_spill_count: 0
    .symbol:         _ZN4vllm25paged_attention_v1_kernelI14__hip_bfloat16hLi64ELi8ELi128ELNS_18Fp8KVCacheDataTypeE1ELb1EEEvPT_PKS3_PKT0_S9_ifPKiSB_iPKfiiiSD_SD_iiiii.kd
    .uniform_work_group_size: 1
    .uses_dynamic_stack: false
    .vgpr_count:     50
    .vgpr_spill_count: 0
    .wavefront_size: 32
  - .args:
      - .actual_access:  write_only
        .address_space:  global
        .offset:         0
        .size:           8
        .value_kind:     global_buffer
      - .actual_access:  read_only
        .address_space:  global
        .offset:         8
        .size:           8
        .value_kind:     global_buffer
      - .actual_access:  read_only
        .address_space:  global
        .offset:         16
        .size:           8
        .value_kind:     global_buffer
      - .actual_access:  read_only
        .address_space:  global
        .offset:         24
        .size:           8
        .value_kind:     global_buffer
      - .offset:         32
        .size:           4
        .value_kind:     by_value
      - .offset:         36
        .size:           4
        .value_kind:     by_value
      - .actual_access:  read_only
        .address_space:  global
        .offset:         40
        .size:           8
        .value_kind:     global_buffer
      - .actual_access:  read_only
        .address_space:  global
        .offset:         48
        .size:           8
        .value_kind:     global_buffer
      - .offset:         56
        .size:           4
        .value_kind:     by_value
      - .actual_access:  read_only
        .address_space:  global
        .offset:         64
        .size:           8
        .value_kind:     global_buffer
      - .offset:         72
        .size:           4
        .value_kind:     by_value
      - .offset:         76
        .size:           4
        .value_kind:     by_value
      - .offset:         80
        .size:           4
        .value_kind:     by_value
      - .address_space:  global
        .offset:         88
        .size:           8
        .value_kind:     global_buffer
      - .address_space:  global
        .offset:         96
        .size:           8
        .value_kind:     global_buffer
      - .offset:         104
        .size:           4
        .value_kind:     by_value
      - .offset:         108
        .size:           4
        .value_kind:     by_value
      - .offset:         112
        .size:           4
        .value_kind:     by_value
      - .offset:         116
        .size:           4
        .value_kind:     by_value
      - .offset:         120
        .size:           4
        .value_kind:     by_value
      - .offset:         128
        .size:           4
        .value_kind:     hidden_block_count_x
      - .offset:         132
        .size:           4
        .value_kind:     hidden_block_count_y
      - .offset:         136
        .size:           4
        .value_kind:     hidden_block_count_z
      - .offset:         140
        .size:           2
        .value_kind:     hidden_group_size_x
      - .offset:         142
        .size:           2
        .value_kind:     hidden_group_size_y
      - .offset:         144
        .size:           2
        .value_kind:     hidden_group_size_z
      - .offset:         146
        .size:           2
        .value_kind:     hidden_remainder_x
      - .offset:         148
        .size:           2
        .value_kind:     hidden_remainder_y
      - .offset:         150
        .size:           2
        .value_kind:     hidden_remainder_z
      - .offset:         168
        .size:           8
        .value_kind:     hidden_global_offset_x
      - .offset:         176
        .size:           8
        .value_kind:     hidden_global_offset_y
      - .offset:         184
        .size:           8
        .value_kind:     hidden_global_offset_z
      - .offset:         192
        .size:           2
        .value_kind:     hidden_grid_dims
      - .offset:         248
        .size:           4
        .value_kind:     hidden_dynamic_lds_size
    .group_segment_fixed_size: 192
    .kernarg_segment_align: 8
    .kernarg_segment_size: 384
    .language:       OpenCL C
    .language_version:
      - 2
      - 0
    .max_flat_workgroup_size: 1024
    .name:           _ZN4vllm25paged_attention_v1_kernelI14__hip_bfloat16hLi80ELi8ELi128ELNS_18Fp8KVCacheDataTypeE1ELb1EEEvPT_PKS3_PKT0_S9_ifPKiSB_iPKfiiiSD_SD_iiiii
    .private_segment_fixed_size: 0
    .sgpr_count:     48
    .sgpr_spill_count: 0
    .symbol:         _ZN4vllm25paged_attention_v1_kernelI14__hip_bfloat16hLi80ELi8ELi128ELNS_18Fp8KVCacheDataTypeE1ELb1EEEvPT_PKS3_PKT0_S9_ifPKiSB_iPKfiiiSD_SD_iiiii.kd
    .uniform_work_group_size: 1
    .uses_dynamic_stack: false
    .vgpr_count:     52
    .vgpr_spill_count: 0
    .wavefront_size: 32
  - .args:
      - .actual_access:  write_only
        .address_space:  global
        .offset:         0
        .size:           8
        .value_kind:     global_buffer
      - .actual_access:  read_only
        .address_space:  global
        .offset:         8
        .size:           8
        .value_kind:     global_buffer
      - .actual_access:  read_only
        .address_space:  global
        .offset:         16
        .size:           8
        .value_kind:     global_buffer
      - .actual_access:  read_only
        .address_space:  global
        .offset:         24
        .size:           8
        .value_kind:     global_buffer
      - .offset:         32
        .size:           4
        .value_kind:     by_value
      - .offset:         36
        .size:           4
        .value_kind:     by_value
      - .actual_access:  read_only
        .address_space:  global
        .offset:         40
        .size:           8
        .value_kind:     global_buffer
      - .actual_access:  read_only
        .address_space:  global
        .offset:         48
        .size:           8
        .value_kind:     global_buffer
      - .offset:         56
        .size:           4
        .value_kind:     by_value
      - .actual_access:  read_only
        .address_space:  global
        .offset:         64
        .size:           8
        .value_kind:     global_buffer
      - .offset:         72
        .size:           4
        .value_kind:     by_value
      - .offset:         76
        .size:           4
        .value_kind:     by_value
      - .offset:         80
        .size:           4
        .value_kind:     by_value
      - .address_space:  global
        .offset:         88
        .size:           8
        .value_kind:     global_buffer
      - .address_space:  global
        .offset:         96
        .size:           8
        .value_kind:     global_buffer
      - .offset:         104
        .size:           4
        .value_kind:     by_value
      - .offset:         108
        .size:           4
        .value_kind:     by_value
      - .offset:         112
        .size:           4
        .value_kind:     by_value
      - .offset:         116
        .size:           4
        .value_kind:     by_value
      - .offset:         120
        .size:           4
        .value_kind:     by_value
      - .offset:         128
        .size:           4
        .value_kind:     hidden_block_count_x
      - .offset:         132
        .size:           4
        .value_kind:     hidden_block_count_y
      - .offset:         136
        .size:           4
        .value_kind:     hidden_block_count_z
      - .offset:         140
        .size:           2
        .value_kind:     hidden_group_size_x
      - .offset:         142
        .size:           2
        .value_kind:     hidden_group_size_y
      - .offset:         144
        .size:           2
        .value_kind:     hidden_group_size_z
      - .offset:         146
        .size:           2
        .value_kind:     hidden_remainder_x
      - .offset:         148
        .size:           2
        .value_kind:     hidden_remainder_y
      - .offset:         150
        .size:           2
        .value_kind:     hidden_remainder_z
      - .offset:         168
        .size:           8
        .value_kind:     hidden_global_offset_x
      - .offset:         176
        .size:           8
        .value_kind:     hidden_global_offset_y
      - .offset:         184
        .size:           8
        .value_kind:     hidden_global_offset_z
      - .offset:         192
        .size:           2
        .value_kind:     hidden_grid_dims
      - .offset:         248
        .size:           4
        .value_kind:     hidden_dynamic_lds_size
    .group_segment_fixed_size: 224
    .kernarg_segment_align: 8
    .kernarg_segment_size: 384
    .language:       OpenCL C
    .language_version:
      - 2
      - 0
    .max_flat_workgroup_size: 1024
    .name:           _ZN4vllm25paged_attention_v1_kernelI14__hip_bfloat16hLi96ELi8ELi128ELNS_18Fp8KVCacheDataTypeE1ELb1EEEvPT_PKS3_PKT0_S9_ifPKiSB_iPKfiiiSD_SD_iiiii
    .private_segment_fixed_size: 0
    .sgpr_count:     48
    .sgpr_spill_count: 0
    .symbol:         _ZN4vllm25paged_attention_v1_kernelI14__hip_bfloat16hLi96ELi8ELi128ELNS_18Fp8KVCacheDataTypeE1ELb1EEEvPT_PKS3_PKT0_S9_ifPKiSB_iPKfiiiSD_SD_iiiii.kd
    .uniform_work_group_size: 1
    .uses_dynamic_stack: false
    .vgpr_count:     60
    .vgpr_spill_count: 0
    .wavefront_size: 32
  - .args:
      - .actual_access:  write_only
        .address_space:  global
        .offset:         0
        .size:           8
        .value_kind:     global_buffer
      - .actual_access:  read_only
        .address_space:  global
        .offset:         8
        .size:           8
        .value_kind:     global_buffer
      - .actual_access:  read_only
        .address_space:  global
        .offset:         16
        .size:           8
        .value_kind:     global_buffer
      - .actual_access:  read_only
        .address_space:  global
        .offset:         24
        .size:           8
        .value_kind:     global_buffer
      - .offset:         32
        .size:           4
        .value_kind:     by_value
      - .offset:         36
        .size:           4
        .value_kind:     by_value
      - .actual_access:  read_only
        .address_space:  global
        .offset:         40
        .size:           8
        .value_kind:     global_buffer
      - .actual_access:  read_only
        .address_space:  global
        .offset:         48
        .size:           8
        .value_kind:     global_buffer
      - .offset:         56
        .size:           4
        .value_kind:     by_value
      - .actual_access:  read_only
        .address_space:  global
        .offset:         64
        .size:           8
        .value_kind:     global_buffer
      - .offset:         72
        .size:           4
        .value_kind:     by_value
      - .offset:         76
        .size:           4
        .value_kind:     by_value
      - .offset:         80
        .size:           4
        .value_kind:     by_value
      - .address_space:  global
        .offset:         88
        .size:           8
        .value_kind:     global_buffer
      - .address_space:  global
        .offset:         96
        .size:           8
        .value_kind:     global_buffer
      - .offset:         104
        .size:           4
        .value_kind:     by_value
      - .offset:         108
        .size:           4
        .value_kind:     by_value
      - .offset:         112
        .size:           4
        .value_kind:     by_value
      - .offset:         116
        .size:           4
        .value_kind:     by_value
      - .offset:         120
        .size:           4
        .value_kind:     by_value
      - .offset:         128
        .size:           4
        .value_kind:     hidden_block_count_x
      - .offset:         132
        .size:           4
        .value_kind:     hidden_block_count_y
      - .offset:         136
        .size:           4
        .value_kind:     hidden_block_count_z
      - .offset:         140
        .size:           2
        .value_kind:     hidden_group_size_x
      - .offset:         142
        .size:           2
        .value_kind:     hidden_group_size_y
      - .offset:         144
        .size:           2
        .value_kind:     hidden_group_size_z
      - .offset:         146
        .size:           2
        .value_kind:     hidden_remainder_x
      - .offset:         148
        .size:           2
        .value_kind:     hidden_remainder_y
      - .offset:         150
        .size:           2
        .value_kind:     hidden_remainder_z
      - .offset:         168
        .size:           8
        .value_kind:     hidden_global_offset_x
      - .offset:         176
        .size:           8
        .value_kind:     hidden_global_offset_y
      - .offset:         184
        .size:           8
        .value_kind:     hidden_global_offset_z
      - .offset:         192
        .size:           2
        .value_kind:     hidden_grid_dims
      - .offset:         248
        .size:           4
        .value_kind:     hidden_dynamic_lds_size
    .group_segment_fixed_size: 256
    .kernarg_segment_align: 8
    .kernarg_segment_size: 384
    .language:       OpenCL C
    .language_version:
      - 2
      - 0
    .max_flat_workgroup_size: 1024
    .name:           _ZN4vllm25paged_attention_v1_kernelI14__hip_bfloat16hLi112ELi8ELi128ELNS_18Fp8KVCacheDataTypeE1ELb1EEEvPT_PKS3_PKT0_S9_ifPKiSB_iPKfiiiSD_SD_iiiii
    .private_segment_fixed_size: 0
    .sgpr_count:     48
    .sgpr_spill_count: 0
    .symbol:         _ZN4vllm25paged_attention_v1_kernelI14__hip_bfloat16hLi112ELi8ELi128ELNS_18Fp8KVCacheDataTypeE1ELb1EEEvPT_PKS3_PKT0_S9_ifPKiSB_iPKfiiiSD_SD_iiiii.kd
    .uniform_work_group_size: 1
    .uses_dynamic_stack: false
    .vgpr_count:     64
    .vgpr_spill_count: 0
    .wavefront_size: 32
  - .args:
      - .actual_access:  write_only
        .address_space:  global
        .offset:         0
        .size:           8
        .value_kind:     global_buffer
      - .actual_access:  read_only
        .address_space:  global
        .offset:         8
        .size:           8
        .value_kind:     global_buffer
      - .actual_access:  read_only
        .address_space:  global
        .offset:         16
        .size:           8
        .value_kind:     global_buffer
      - .actual_access:  read_only
        .address_space:  global
        .offset:         24
        .size:           8
        .value_kind:     global_buffer
      - .offset:         32
        .size:           4
        .value_kind:     by_value
      - .offset:         36
        .size:           4
        .value_kind:     by_value
      - .actual_access:  read_only
        .address_space:  global
        .offset:         40
        .size:           8
        .value_kind:     global_buffer
      - .actual_access:  read_only
        .address_space:  global
        .offset:         48
        .size:           8
        .value_kind:     global_buffer
      - .offset:         56
        .size:           4
        .value_kind:     by_value
      - .actual_access:  read_only
        .address_space:  global
        .offset:         64
        .size:           8
        .value_kind:     global_buffer
      - .offset:         72
        .size:           4
        .value_kind:     by_value
      - .offset:         76
        .size:           4
        .value_kind:     by_value
      - .offset:         80
        .size:           4
        .value_kind:     by_value
      - .address_space:  global
        .offset:         88
        .size:           8
        .value_kind:     global_buffer
      - .address_space:  global
        .offset:         96
        .size:           8
        .value_kind:     global_buffer
      - .offset:         104
        .size:           4
        .value_kind:     by_value
      - .offset:         108
        .size:           4
        .value_kind:     by_value
      - .offset:         112
        .size:           4
        .value_kind:     by_value
      - .offset:         116
        .size:           4
        .value_kind:     by_value
      - .offset:         120
        .size:           4
        .value_kind:     by_value
      - .offset:         128
        .size:           4
        .value_kind:     hidden_block_count_x
      - .offset:         132
        .size:           4
        .value_kind:     hidden_block_count_y
      - .offset:         136
        .size:           4
        .value_kind:     hidden_block_count_z
      - .offset:         140
        .size:           2
        .value_kind:     hidden_group_size_x
      - .offset:         142
        .size:           2
        .value_kind:     hidden_group_size_y
      - .offset:         144
        .size:           2
        .value_kind:     hidden_group_size_z
      - .offset:         146
        .size:           2
        .value_kind:     hidden_remainder_x
      - .offset:         148
        .size:           2
        .value_kind:     hidden_remainder_y
      - .offset:         150
        .size:           2
        .value_kind:     hidden_remainder_z
      - .offset:         168
        .size:           8
        .value_kind:     hidden_global_offset_x
      - .offset:         176
        .size:           8
        .value_kind:     hidden_global_offset_y
      - .offset:         184
        .size:           8
        .value_kind:     hidden_global_offset_z
      - .offset:         192
        .size:           2
        .value_kind:     hidden_grid_dims
      - .offset:         248
        .size:           4
        .value_kind:     hidden_dynamic_lds_size
    .group_segment_fixed_size: 272
    .kernarg_segment_align: 8
    .kernarg_segment_size: 384
    .language:       OpenCL C
    .language_version:
      - 2
      - 0
    .max_flat_workgroup_size: 1024
    .name:           _ZN4vllm25paged_attention_v1_kernelI14__hip_bfloat16hLi120ELi8ELi128ELNS_18Fp8KVCacheDataTypeE1ELb1EEEvPT_PKS3_PKT0_S9_ifPKiSB_iPKfiiiSD_SD_iiiii
    .private_segment_fixed_size: 0
    .sgpr_count:     48
    .sgpr_spill_count: 0
    .symbol:         _ZN4vllm25paged_attention_v1_kernelI14__hip_bfloat16hLi120ELi8ELi128ELNS_18Fp8KVCacheDataTypeE1ELb1EEEvPT_PKS3_PKT0_S9_ifPKiSB_iPKfiiiSD_SD_iiiii.kd
    .uniform_work_group_size: 1
    .uses_dynamic_stack: false
    .vgpr_count:     68
    .vgpr_spill_count: 0
    .wavefront_size: 32
  - .args:
      - .actual_access:  write_only
        .address_space:  global
        .offset:         0
        .size:           8
        .value_kind:     global_buffer
      - .actual_access:  read_only
        .address_space:  global
        .offset:         8
        .size:           8
        .value_kind:     global_buffer
      - .actual_access:  read_only
        .address_space:  global
        .offset:         16
        .size:           8
        .value_kind:     global_buffer
      - .actual_access:  read_only
        .address_space:  global
        .offset:         24
        .size:           8
        .value_kind:     global_buffer
      - .offset:         32
        .size:           4
        .value_kind:     by_value
      - .offset:         36
        .size:           4
        .value_kind:     by_value
      - .actual_access:  read_only
        .address_space:  global
        .offset:         40
        .size:           8
        .value_kind:     global_buffer
      - .actual_access:  read_only
        .address_space:  global
        .offset:         48
        .size:           8
        .value_kind:     global_buffer
      - .offset:         56
        .size:           4
        .value_kind:     by_value
      - .actual_access:  read_only
        .address_space:  global
        .offset:         64
        .size:           8
        .value_kind:     global_buffer
      - .offset:         72
        .size:           4
        .value_kind:     by_value
      - .offset:         76
        .size:           4
        .value_kind:     by_value
      - .offset:         80
        .size:           4
        .value_kind:     by_value
      - .address_space:  global
        .offset:         88
        .size:           8
        .value_kind:     global_buffer
      - .address_space:  global
        .offset:         96
        .size:           8
        .value_kind:     global_buffer
      - .offset:         104
        .size:           4
        .value_kind:     by_value
      - .offset:         108
        .size:           4
        .value_kind:     by_value
      - .offset:         112
        .size:           4
        .value_kind:     by_value
      - .offset:         116
        .size:           4
        .value_kind:     by_value
      - .offset:         120
        .size:           4
        .value_kind:     by_value
      - .offset:         128
        .size:           4
        .value_kind:     hidden_block_count_x
      - .offset:         132
        .size:           4
        .value_kind:     hidden_block_count_y
      - .offset:         136
        .size:           4
        .value_kind:     hidden_block_count_z
      - .offset:         140
        .size:           2
        .value_kind:     hidden_group_size_x
      - .offset:         142
        .size:           2
        .value_kind:     hidden_group_size_y
      - .offset:         144
        .size:           2
        .value_kind:     hidden_group_size_z
      - .offset:         146
        .size:           2
        .value_kind:     hidden_remainder_x
      - .offset:         148
        .size:           2
        .value_kind:     hidden_remainder_y
      - .offset:         150
        .size:           2
        .value_kind:     hidden_remainder_z
      - .offset:         168
        .size:           8
        .value_kind:     hidden_global_offset_x
      - .offset:         176
        .size:           8
        .value_kind:     hidden_global_offset_y
      - .offset:         184
        .size:           8
        .value_kind:     hidden_global_offset_z
      - .offset:         192
        .size:           2
        .value_kind:     hidden_grid_dims
      - .offset:         248
        .size:           4
        .value_kind:     hidden_dynamic_lds_size
    .group_segment_fixed_size: 288
    .kernarg_segment_align: 8
    .kernarg_segment_size: 384
    .language:       OpenCL C
    .language_version:
      - 2
      - 0
    .max_flat_workgroup_size: 1024
    .name:           _ZN4vllm25paged_attention_v1_kernelI14__hip_bfloat16hLi128ELi8ELi128ELNS_18Fp8KVCacheDataTypeE1ELb1EEEvPT_PKS3_PKT0_S9_ifPKiSB_iPKfiiiSD_SD_iiiii
    .private_segment_fixed_size: 0
    .sgpr_count:     49
    .sgpr_spill_count: 0
    .symbol:         _ZN4vllm25paged_attention_v1_kernelI14__hip_bfloat16hLi128ELi8ELi128ELNS_18Fp8KVCacheDataTypeE1ELb1EEEvPT_PKS3_PKT0_S9_ifPKiSB_iPKfiiiSD_SD_iiiii.kd
    .uniform_work_group_size: 1
    .uses_dynamic_stack: false
    .vgpr_count:     70
    .vgpr_spill_count: 0
    .wavefront_size: 32
  - .args:
      - .actual_access:  write_only
        .address_space:  global
        .offset:         0
        .size:           8
        .value_kind:     global_buffer
      - .actual_access:  read_only
        .address_space:  global
        .offset:         8
        .size:           8
        .value_kind:     global_buffer
      - .actual_access:  read_only
        .address_space:  global
        .offset:         16
        .size:           8
        .value_kind:     global_buffer
      - .actual_access:  read_only
        .address_space:  global
        .offset:         24
        .size:           8
        .value_kind:     global_buffer
      - .offset:         32
        .size:           4
        .value_kind:     by_value
      - .offset:         36
        .size:           4
        .value_kind:     by_value
      - .actual_access:  read_only
        .address_space:  global
        .offset:         40
        .size:           8
        .value_kind:     global_buffer
      - .actual_access:  read_only
        .address_space:  global
        .offset:         48
        .size:           8
        .value_kind:     global_buffer
      - .offset:         56
        .size:           4
        .value_kind:     by_value
      - .actual_access:  read_only
        .address_space:  global
        .offset:         64
        .size:           8
        .value_kind:     global_buffer
      - .offset:         72
        .size:           4
        .value_kind:     by_value
      - .offset:         76
        .size:           4
        .value_kind:     by_value
      - .offset:         80
        .size:           4
        .value_kind:     by_value
      - .address_space:  global
        .offset:         88
        .size:           8
        .value_kind:     global_buffer
      - .address_space:  global
        .offset:         96
        .size:           8
        .value_kind:     global_buffer
      - .offset:         104
        .size:           4
        .value_kind:     by_value
      - .offset:         108
        .size:           4
        .value_kind:     by_value
      - .offset:         112
        .size:           4
        .value_kind:     by_value
      - .offset:         116
        .size:           4
        .value_kind:     by_value
      - .offset:         120
        .size:           4
        .value_kind:     by_value
      - .offset:         128
        .size:           4
        .value_kind:     hidden_block_count_x
      - .offset:         132
        .size:           4
        .value_kind:     hidden_block_count_y
      - .offset:         136
        .size:           4
        .value_kind:     hidden_block_count_z
      - .offset:         140
        .size:           2
        .value_kind:     hidden_group_size_x
      - .offset:         142
        .size:           2
        .value_kind:     hidden_group_size_y
      - .offset:         144
        .size:           2
        .value_kind:     hidden_group_size_z
      - .offset:         146
        .size:           2
        .value_kind:     hidden_remainder_x
      - .offset:         148
        .size:           2
        .value_kind:     hidden_remainder_y
      - .offset:         150
        .size:           2
        .value_kind:     hidden_remainder_z
      - .offset:         168
        .size:           8
        .value_kind:     hidden_global_offset_x
      - .offset:         176
        .size:           8
        .value_kind:     hidden_global_offset_y
      - .offset:         184
        .size:           8
        .value_kind:     hidden_global_offset_z
      - .offset:         192
        .size:           2
        .value_kind:     hidden_grid_dims
      - .offset:         248
        .size:           4
        .value_kind:     hidden_dynamic_lds_size
    .group_segment_fixed_size: 416
    .kernarg_segment_align: 8
    .kernarg_segment_size: 384
    .language:       OpenCL C
    .language_version:
      - 2
      - 0
    .max_flat_workgroup_size: 1024
    .name:           _ZN4vllm25paged_attention_v1_kernelI14__hip_bfloat16hLi192ELi8ELi128ELNS_18Fp8KVCacheDataTypeE1ELb1EEEvPT_PKS3_PKT0_S9_ifPKiSB_iPKfiiiSD_SD_iiiii
    .private_segment_fixed_size: 0
    .sgpr_count:     48
    .sgpr_spill_count: 0
    .symbol:         _ZN4vllm25paged_attention_v1_kernelI14__hip_bfloat16hLi192ELi8ELi128ELNS_18Fp8KVCacheDataTypeE1ELb1EEEvPT_PKS3_PKT0_S9_ifPKiSB_iPKfiiiSD_SD_iiiii.kd
    .uniform_work_group_size: 1
    .uses_dynamic_stack: false
    .vgpr_count:     94
    .vgpr_spill_count: 0
    .wavefront_size: 32
  - .args:
      - .actual_access:  write_only
        .address_space:  global
        .offset:         0
        .size:           8
        .value_kind:     global_buffer
      - .actual_access:  read_only
        .address_space:  global
        .offset:         8
        .size:           8
        .value_kind:     global_buffer
      - .actual_access:  read_only
        .address_space:  global
        .offset:         16
        .size:           8
        .value_kind:     global_buffer
      - .actual_access:  read_only
        .address_space:  global
        .offset:         24
        .size:           8
        .value_kind:     global_buffer
      - .offset:         32
        .size:           4
        .value_kind:     by_value
      - .offset:         36
        .size:           4
        .value_kind:     by_value
      - .actual_access:  read_only
        .address_space:  global
        .offset:         40
        .size:           8
        .value_kind:     global_buffer
      - .actual_access:  read_only
        .address_space:  global
        .offset:         48
        .size:           8
        .value_kind:     global_buffer
      - .offset:         56
        .size:           4
        .value_kind:     by_value
      - .actual_access:  read_only
        .address_space:  global
        .offset:         64
        .size:           8
        .value_kind:     global_buffer
      - .offset:         72
        .size:           4
        .value_kind:     by_value
      - .offset:         76
        .size:           4
        .value_kind:     by_value
      - .offset:         80
        .size:           4
        .value_kind:     by_value
      - .address_space:  global
        .offset:         88
        .size:           8
        .value_kind:     global_buffer
      - .address_space:  global
        .offset:         96
        .size:           8
        .value_kind:     global_buffer
      - .offset:         104
        .size:           4
        .value_kind:     by_value
      - .offset:         108
        .size:           4
        .value_kind:     by_value
      - .offset:         112
        .size:           4
        .value_kind:     by_value
      - .offset:         116
        .size:           4
        .value_kind:     by_value
      - .offset:         120
        .size:           4
        .value_kind:     by_value
      - .offset:         128
        .size:           4
        .value_kind:     hidden_block_count_x
      - .offset:         132
        .size:           4
        .value_kind:     hidden_block_count_y
      - .offset:         136
        .size:           4
        .value_kind:     hidden_block_count_z
      - .offset:         140
        .size:           2
        .value_kind:     hidden_group_size_x
      - .offset:         142
        .size:           2
        .value_kind:     hidden_group_size_y
      - .offset:         144
        .size:           2
        .value_kind:     hidden_group_size_z
      - .offset:         146
        .size:           2
        .value_kind:     hidden_remainder_x
      - .offset:         148
        .size:           2
        .value_kind:     hidden_remainder_y
      - .offset:         150
        .size:           2
        .value_kind:     hidden_remainder_z
      - .offset:         168
        .size:           8
        .value_kind:     hidden_global_offset_x
      - .offset:         176
        .size:           8
        .value_kind:     hidden_global_offset_y
      - .offset:         184
        .size:           8
        .value_kind:     hidden_global_offset_z
      - .offset:         192
        .size:           2
        .value_kind:     hidden_grid_dims
      - .offset:         248
        .size:           4
        .value_kind:     hidden_dynamic_lds_size
    .group_segment_fixed_size: 544
    .kernarg_segment_align: 8
    .kernarg_segment_size: 384
    .language:       OpenCL C
    .language_version:
      - 2
      - 0
    .max_flat_workgroup_size: 1024
    .name:           _ZN4vllm25paged_attention_v1_kernelI14__hip_bfloat16hLi256ELi8ELi128ELNS_18Fp8KVCacheDataTypeE1ELb1EEEvPT_PKS3_PKT0_S9_ifPKiSB_iPKfiiiSD_SD_iiiii
    .private_segment_fixed_size: 0
    .sgpr_count:     48
    .sgpr_spill_count: 0
    .symbol:         _ZN4vllm25paged_attention_v1_kernelI14__hip_bfloat16hLi256ELi8ELi128ELNS_18Fp8KVCacheDataTypeE1ELb1EEEvPT_PKS3_PKT0_S9_ifPKiSB_iPKfiiiSD_SD_iiiii.kd
    .uniform_work_group_size: 1
    .uses_dynamic_stack: false
    .vgpr_count:     112
    .vgpr_spill_count: 0
    .wavefront_size: 32
  - .args:
      - .actual_access:  write_only
        .address_space:  global
        .offset:         0
        .size:           8
        .value_kind:     global_buffer
      - .actual_access:  read_only
        .address_space:  global
        .offset:         8
        .size:           8
        .value_kind:     global_buffer
      - .actual_access:  read_only
        .address_space:  global
        .offset:         16
        .size:           8
        .value_kind:     global_buffer
      - .actual_access:  read_only
        .address_space:  global
        .offset:         24
        .size:           8
        .value_kind:     global_buffer
      - .offset:         32
        .size:           4
        .value_kind:     by_value
      - .offset:         36
        .size:           4
        .value_kind:     by_value
      - .actual_access:  read_only
        .address_space:  global
        .offset:         40
        .size:           8
        .value_kind:     global_buffer
      - .actual_access:  read_only
        .address_space:  global
        .offset:         48
        .size:           8
        .value_kind:     global_buffer
      - .offset:         56
        .size:           4
        .value_kind:     by_value
      - .actual_access:  read_only
        .address_space:  global
        .offset:         64
        .size:           8
        .value_kind:     global_buffer
      - .offset:         72
        .size:           4
        .value_kind:     by_value
      - .offset:         76
        .size:           4
        .value_kind:     by_value
      - .offset:         80
        .size:           4
        .value_kind:     by_value
      - .address_space:  global
        .offset:         88
        .size:           8
        .value_kind:     global_buffer
      - .address_space:  global
        .offset:         96
        .size:           8
        .value_kind:     global_buffer
      - .offset:         104
        .size:           4
        .value_kind:     by_value
      - .offset:         108
        .size:           4
        .value_kind:     by_value
      - .offset:         112
        .size:           4
        .value_kind:     by_value
      - .offset:         116
        .size:           4
        .value_kind:     by_value
      - .offset:         120
        .size:           4
        .value_kind:     by_value
      - .offset:         128
        .size:           4
        .value_kind:     hidden_block_count_x
      - .offset:         132
        .size:           4
        .value_kind:     hidden_block_count_y
      - .offset:         136
        .size:           4
        .value_kind:     hidden_block_count_z
      - .offset:         140
        .size:           2
        .value_kind:     hidden_group_size_x
      - .offset:         142
        .size:           2
        .value_kind:     hidden_group_size_y
      - .offset:         144
        .size:           2
        .value_kind:     hidden_group_size_z
      - .offset:         146
        .size:           2
        .value_kind:     hidden_remainder_x
      - .offset:         148
        .size:           2
        .value_kind:     hidden_remainder_y
      - .offset:         150
        .size:           2
        .value_kind:     hidden_remainder_z
      - .offset:         168
        .size:           8
        .value_kind:     hidden_global_offset_x
      - .offset:         176
        .size:           8
        .value_kind:     hidden_global_offset_y
      - .offset:         184
        .size:           8
        .value_kind:     hidden_global_offset_z
      - .offset:         192
        .size:           2
        .value_kind:     hidden_grid_dims
      - .offset:         248
        .size:           4
        .value_kind:     hidden_dynamic_lds_size
    .group_segment_fixed_size: 96
    .kernarg_segment_align: 8
    .kernarg_segment_size: 384
    .language:       OpenCL C
    .language_version:
      - 2
      - 0
    .max_flat_workgroup_size: 1024
    .name:           _ZN4vllm25paged_attention_v1_kernelI14__hip_bfloat16hLi32ELi8ELi128ELNS_18Fp8KVCacheDataTypeE1ELb0EEEvPT_PKS3_PKT0_S9_ifPKiSB_iPKfiiiSD_SD_iiiii
    .private_segment_fixed_size: 0
    .sgpr_count:     33
    .sgpr_spill_count: 0
    .symbol:         _ZN4vllm25paged_attention_v1_kernelI14__hip_bfloat16hLi32ELi8ELi128ELNS_18Fp8KVCacheDataTypeE1ELb0EEEvPT_PKS3_PKT0_S9_ifPKiSB_iPKfiiiSD_SD_iiiii.kd
    .uniform_work_group_size: 1
    .uses_dynamic_stack: false
    .vgpr_count:     36
    .vgpr_spill_count: 0
    .wavefront_size: 32
  - .args:
      - .actual_access:  write_only
        .address_space:  global
        .offset:         0
        .size:           8
        .value_kind:     global_buffer
      - .actual_access:  read_only
        .address_space:  global
        .offset:         8
        .size:           8
        .value_kind:     global_buffer
      - .actual_access:  read_only
        .address_space:  global
        .offset:         16
        .size:           8
        .value_kind:     global_buffer
      - .actual_access:  read_only
        .address_space:  global
        .offset:         24
        .size:           8
        .value_kind:     global_buffer
      - .offset:         32
        .size:           4
        .value_kind:     by_value
      - .offset:         36
        .size:           4
        .value_kind:     by_value
      - .actual_access:  read_only
        .address_space:  global
        .offset:         40
        .size:           8
        .value_kind:     global_buffer
      - .actual_access:  read_only
        .address_space:  global
        .offset:         48
        .size:           8
        .value_kind:     global_buffer
      - .offset:         56
        .size:           4
        .value_kind:     by_value
      - .actual_access:  read_only
        .address_space:  global
        .offset:         64
        .size:           8
        .value_kind:     global_buffer
      - .offset:         72
        .size:           4
        .value_kind:     by_value
      - .offset:         76
        .size:           4
        .value_kind:     by_value
      - .offset:         80
        .size:           4
        .value_kind:     by_value
      - .address_space:  global
        .offset:         88
        .size:           8
        .value_kind:     global_buffer
      - .address_space:  global
        .offset:         96
        .size:           8
        .value_kind:     global_buffer
      - .offset:         104
        .size:           4
        .value_kind:     by_value
      - .offset:         108
        .size:           4
        .value_kind:     by_value
      - .offset:         112
        .size:           4
        .value_kind:     by_value
      - .offset:         116
        .size:           4
        .value_kind:     by_value
      - .offset:         120
        .size:           4
        .value_kind:     by_value
      - .offset:         128
        .size:           4
        .value_kind:     hidden_block_count_x
      - .offset:         132
        .size:           4
        .value_kind:     hidden_block_count_y
      - .offset:         136
        .size:           4
        .value_kind:     hidden_block_count_z
      - .offset:         140
        .size:           2
        .value_kind:     hidden_group_size_x
      - .offset:         142
        .size:           2
        .value_kind:     hidden_group_size_y
      - .offset:         144
        .size:           2
        .value_kind:     hidden_group_size_z
      - .offset:         146
        .size:           2
        .value_kind:     hidden_remainder_x
      - .offset:         148
        .size:           2
        .value_kind:     hidden_remainder_y
      - .offset:         150
        .size:           2
        .value_kind:     hidden_remainder_z
      - .offset:         168
        .size:           8
        .value_kind:     hidden_global_offset_x
      - .offset:         176
        .size:           8
        .value_kind:     hidden_global_offset_y
      - .offset:         184
        .size:           8
        .value_kind:     hidden_global_offset_z
      - .offset:         192
        .size:           2
        .value_kind:     hidden_grid_dims
      - .offset:         248
        .size:           4
        .value_kind:     hidden_dynamic_lds_size
    .group_segment_fixed_size: 160
    .kernarg_segment_align: 8
    .kernarg_segment_size: 384
    .language:       OpenCL C
    .language_version:
      - 2
      - 0
    .max_flat_workgroup_size: 1024
    .name:           _ZN4vllm25paged_attention_v1_kernelI14__hip_bfloat16hLi64ELi8ELi128ELNS_18Fp8KVCacheDataTypeE1ELb0EEEvPT_PKS3_PKT0_S9_ifPKiSB_iPKfiiiSD_SD_iiiii
    .private_segment_fixed_size: 0
    .sgpr_count:     34
    .sgpr_spill_count: 0
    .symbol:         _ZN4vllm25paged_attention_v1_kernelI14__hip_bfloat16hLi64ELi8ELi128ELNS_18Fp8KVCacheDataTypeE1ELb0EEEvPT_PKS3_PKT0_S9_ifPKiSB_iPKfiiiSD_SD_iiiii.kd
    .uniform_work_group_size: 1
    .uses_dynamic_stack: false
    .vgpr_count:     52
    .vgpr_spill_count: 0
    .wavefront_size: 32
  - .args:
      - .actual_access:  write_only
        .address_space:  global
        .offset:         0
        .size:           8
        .value_kind:     global_buffer
      - .actual_access:  read_only
        .address_space:  global
        .offset:         8
        .size:           8
        .value_kind:     global_buffer
      - .actual_access:  read_only
        .address_space:  global
        .offset:         16
        .size:           8
        .value_kind:     global_buffer
      - .actual_access:  read_only
        .address_space:  global
        .offset:         24
        .size:           8
        .value_kind:     global_buffer
      - .offset:         32
        .size:           4
        .value_kind:     by_value
      - .offset:         36
        .size:           4
        .value_kind:     by_value
      - .actual_access:  read_only
        .address_space:  global
        .offset:         40
        .size:           8
        .value_kind:     global_buffer
      - .actual_access:  read_only
        .address_space:  global
        .offset:         48
        .size:           8
        .value_kind:     global_buffer
      - .offset:         56
        .size:           4
        .value_kind:     by_value
      - .actual_access:  read_only
        .address_space:  global
        .offset:         64
        .size:           8
        .value_kind:     global_buffer
      - .offset:         72
        .size:           4
        .value_kind:     by_value
      - .offset:         76
        .size:           4
        .value_kind:     by_value
      - .offset:         80
        .size:           4
        .value_kind:     by_value
      - .address_space:  global
        .offset:         88
        .size:           8
        .value_kind:     global_buffer
      - .address_space:  global
        .offset:         96
        .size:           8
        .value_kind:     global_buffer
      - .offset:         104
        .size:           4
        .value_kind:     by_value
      - .offset:         108
        .size:           4
        .value_kind:     by_value
      - .offset:         112
        .size:           4
        .value_kind:     by_value
      - .offset:         116
        .size:           4
        .value_kind:     by_value
      - .offset:         120
        .size:           4
        .value_kind:     by_value
      - .offset:         128
        .size:           4
        .value_kind:     hidden_block_count_x
      - .offset:         132
        .size:           4
        .value_kind:     hidden_block_count_y
      - .offset:         136
        .size:           4
        .value_kind:     hidden_block_count_z
      - .offset:         140
        .size:           2
        .value_kind:     hidden_group_size_x
      - .offset:         142
        .size:           2
        .value_kind:     hidden_group_size_y
      - .offset:         144
        .size:           2
        .value_kind:     hidden_group_size_z
      - .offset:         146
        .size:           2
        .value_kind:     hidden_remainder_x
      - .offset:         148
        .size:           2
        .value_kind:     hidden_remainder_y
      - .offset:         150
        .size:           2
        .value_kind:     hidden_remainder_z
      - .offset:         168
        .size:           8
        .value_kind:     hidden_global_offset_x
      - .offset:         176
        .size:           8
        .value_kind:     hidden_global_offset_y
      - .offset:         184
        .size:           8
        .value_kind:     hidden_global_offset_z
      - .offset:         192
        .size:           2
        .value_kind:     hidden_grid_dims
      - .offset:         248
        .size:           4
        .value_kind:     hidden_dynamic_lds_size
    .group_segment_fixed_size: 192
    .kernarg_segment_align: 8
    .kernarg_segment_size: 384
    .language:       OpenCL C
    .language_version:
      - 2
      - 0
    .max_flat_workgroup_size: 1024
    .name:           _ZN4vllm25paged_attention_v1_kernelI14__hip_bfloat16hLi80ELi8ELi128ELNS_18Fp8KVCacheDataTypeE1ELb0EEEvPT_PKS3_PKT0_S9_ifPKiSB_iPKfiiiSD_SD_iiiii
    .private_segment_fixed_size: 0
    .sgpr_count:     33
    .sgpr_spill_count: 0
    .symbol:         _ZN4vllm25paged_attention_v1_kernelI14__hip_bfloat16hLi80ELi8ELi128ELNS_18Fp8KVCacheDataTypeE1ELb0EEEvPT_PKS3_PKT0_S9_ifPKiSB_iPKfiiiSD_SD_iiiii.kd
    .uniform_work_group_size: 1
    .uses_dynamic_stack: false
    .vgpr_count:     60
    .vgpr_spill_count: 0
    .wavefront_size: 32
  - .args:
      - .actual_access:  write_only
        .address_space:  global
        .offset:         0
        .size:           8
        .value_kind:     global_buffer
      - .actual_access:  read_only
        .address_space:  global
        .offset:         8
        .size:           8
        .value_kind:     global_buffer
      - .actual_access:  read_only
        .address_space:  global
        .offset:         16
        .size:           8
        .value_kind:     global_buffer
      - .actual_access:  read_only
        .address_space:  global
        .offset:         24
        .size:           8
        .value_kind:     global_buffer
      - .offset:         32
        .size:           4
        .value_kind:     by_value
      - .offset:         36
        .size:           4
        .value_kind:     by_value
      - .actual_access:  read_only
        .address_space:  global
        .offset:         40
        .size:           8
        .value_kind:     global_buffer
      - .actual_access:  read_only
        .address_space:  global
        .offset:         48
        .size:           8
        .value_kind:     global_buffer
      - .offset:         56
        .size:           4
        .value_kind:     by_value
      - .actual_access:  read_only
        .address_space:  global
        .offset:         64
        .size:           8
        .value_kind:     global_buffer
      - .offset:         72
        .size:           4
        .value_kind:     by_value
      - .offset:         76
        .size:           4
        .value_kind:     by_value
      - .offset:         80
        .size:           4
        .value_kind:     by_value
      - .address_space:  global
        .offset:         88
        .size:           8
        .value_kind:     global_buffer
      - .address_space:  global
        .offset:         96
        .size:           8
        .value_kind:     global_buffer
      - .offset:         104
        .size:           4
        .value_kind:     by_value
      - .offset:         108
        .size:           4
        .value_kind:     by_value
      - .offset:         112
        .size:           4
        .value_kind:     by_value
      - .offset:         116
        .size:           4
        .value_kind:     by_value
      - .offset:         120
        .size:           4
        .value_kind:     by_value
      - .offset:         128
        .size:           4
        .value_kind:     hidden_block_count_x
      - .offset:         132
        .size:           4
        .value_kind:     hidden_block_count_y
      - .offset:         136
        .size:           4
        .value_kind:     hidden_block_count_z
      - .offset:         140
        .size:           2
        .value_kind:     hidden_group_size_x
      - .offset:         142
        .size:           2
        .value_kind:     hidden_group_size_y
      - .offset:         144
        .size:           2
        .value_kind:     hidden_group_size_z
      - .offset:         146
        .size:           2
        .value_kind:     hidden_remainder_x
      - .offset:         148
        .size:           2
        .value_kind:     hidden_remainder_y
      - .offset:         150
        .size:           2
        .value_kind:     hidden_remainder_z
      - .offset:         168
        .size:           8
        .value_kind:     hidden_global_offset_x
      - .offset:         176
        .size:           8
        .value_kind:     hidden_global_offset_y
      - .offset:         184
        .size:           8
        .value_kind:     hidden_global_offset_z
      - .offset:         192
        .size:           2
        .value_kind:     hidden_grid_dims
      - .offset:         248
        .size:           4
        .value_kind:     hidden_dynamic_lds_size
    .group_segment_fixed_size: 224
    .kernarg_segment_align: 8
    .kernarg_segment_size: 384
    .language:       OpenCL C
    .language_version:
      - 2
      - 0
    .max_flat_workgroup_size: 1024
    .name:           _ZN4vllm25paged_attention_v1_kernelI14__hip_bfloat16hLi96ELi8ELi128ELNS_18Fp8KVCacheDataTypeE1ELb0EEEvPT_PKS3_PKT0_S9_ifPKiSB_iPKfiiiSD_SD_iiiii
    .private_segment_fixed_size: 0
    .sgpr_count:     33
    .sgpr_spill_count: 0
    .symbol:         _ZN4vllm25paged_attention_v1_kernelI14__hip_bfloat16hLi96ELi8ELi128ELNS_18Fp8KVCacheDataTypeE1ELb0EEEvPT_PKS3_PKT0_S9_ifPKiSB_iPKfiiiSD_SD_iiiii.kd
    .uniform_work_group_size: 1
    .uses_dynamic_stack: false
    .vgpr_count:     68
    .vgpr_spill_count: 0
    .wavefront_size: 32
  - .args:
      - .actual_access:  write_only
        .address_space:  global
        .offset:         0
        .size:           8
        .value_kind:     global_buffer
      - .actual_access:  read_only
        .address_space:  global
        .offset:         8
        .size:           8
        .value_kind:     global_buffer
      - .actual_access:  read_only
        .address_space:  global
        .offset:         16
        .size:           8
        .value_kind:     global_buffer
      - .actual_access:  read_only
        .address_space:  global
        .offset:         24
        .size:           8
        .value_kind:     global_buffer
      - .offset:         32
        .size:           4
        .value_kind:     by_value
      - .offset:         36
        .size:           4
        .value_kind:     by_value
      - .actual_access:  read_only
        .address_space:  global
        .offset:         40
        .size:           8
        .value_kind:     global_buffer
      - .actual_access:  read_only
        .address_space:  global
        .offset:         48
        .size:           8
        .value_kind:     global_buffer
      - .offset:         56
        .size:           4
        .value_kind:     by_value
      - .actual_access:  read_only
        .address_space:  global
        .offset:         64
        .size:           8
        .value_kind:     global_buffer
      - .offset:         72
        .size:           4
        .value_kind:     by_value
      - .offset:         76
        .size:           4
        .value_kind:     by_value
      - .offset:         80
        .size:           4
        .value_kind:     by_value
      - .address_space:  global
        .offset:         88
        .size:           8
        .value_kind:     global_buffer
      - .address_space:  global
        .offset:         96
        .size:           8
        .value_kind:     global_buffer
      - .offset:         104
        .size:           4
        .value_kind:     by_value
      - .offset:         108
        .size:           4
        .value_kind:     by_value
      - .offset:         112
        .size:           4
        .value_kind:     by_value
      - .offset:         116
        .size:           4
        .value_kind:     by_value
      - .offset:         120
        .size:           4
        .value_kind:     by_value
      - .offset:         128
        .size:           4
        .value_kind:     hidden_block_count_x
      - .offset:         132
        .size:           4
        .value_kind:     hidden_block_count_y
      - .offset:         136
        .size:           4
        .value_kind:     hidden_block_count_z
      - .offset:         140
        .size:           2
        .value_kind:     hidden_group_size_x
      - .offset:         142
        .size:           2
        .value_kind:     hidden_group_size_y
      - .offset:         144
        .size:           2
        .value_kind:     hidden_group_size_z
      - .offset:         146
        .size:           2
        .value_kind:     hidden_remainder_x
      - .offset:         148
        .size:           2
        .value_kind:     hidden_remainder_y
      - .offset:         150
        .size:           2
        .value_kind:     hidden_remainder_z
      - .offset:         168
        .size:           8
        .value_kind:     hidden_global_offset_x
      - .offset:         176
        .size:           8
        .value_kind:     hidden_global_offset_y
      - .offset:         184
        .size:           8
        .value_kind:     hidden_global_offset_z
      - .offset:         192
        .size:           2
        .value_kind:     hidden_grid_dims
      - .offset:         248
        .size:           4
        .value_kind:     hidden_dynamic_lds_size
    .group_segment_fixed_size: 256
    .kernarg_segment_align: 8
    .kernarg_segment_size: 384
    .language:       OpenCL C
    .language_version:
      - 2
      - 0
    .max_flat_workgroup_size: 1024
    .name:           _ZN4vllm25paged_attention_v1_kernelI14__hip_bfloat16hLi112ELi8ELi128ELNS_18Fp8KVCacheDataTypeE1ELb0EEEvPT_PKS3_PKT0_S9_ifPKiSB_iPKfiiiSD_SD_iiiii
    .private_segment_fixed_size: 0
    .sgpr_count:     33
    .sgpr_spill_count: 0
    .symbol:         _ZN4vllm25paged_attention_v1_kernelI14__hip_bfloat16hLi112ELi8ELi128ELNS_18Fp8KVCacheDataTypeE1ELb0EEEvPT_PKS3_PKT0_S9_ifPKiSB_iPKfiiiSD_SD_iiiii.kd
    .uniform_work_group_size: 1
    .uses_dynamic_stack: false
    .vgpr_count:     76
    .vgpr_spill_count: 0
    .wavefront_size: 32
  - .args:
      - .actual_access:  write_only
        .address_space:  global
        .offset:         0
        .size:           8
        .value_kind:     global_buffer
      - .actual_access:  read_only
        .address_space:  global
        .offset:         8
        .size:           8
        .value_kind:     global_buffer
      - .actual_access:  read_only
        .address_space:  global
        .offset:         16
        .size:           8
        .value_kind:     global_buffer
      - .actual_access:  read_only
        .address_space:  global
        .offset:         24
        .size:           8
        .value_kind:     global_buffer
      - .offset:         32
        .size:           4
        .value_kind:     by_value
      - .offset:         36
        .size:           4
        .value_kind:     by_value
      - .actual_access:  read_only
        .address_space:  global
        .offset:         40
        .size:           8
        .value_kind:     global_buffer
      - .actual_access:  read_only
        .address_space:  global
        .offset:         48
        .size:           8
        .value_kind:     global_buffer
      - .offset:         56
        .size:           4
        .value_kind:     by_value
      - .actual_access:  read_only
        .address_space:  global
        .offset:         64
        .size:           8
        .value_kind:     global_buffer
      - .offset:         72
        .size:           4
        .value_kind:     by_value
      - .offset:         76
        .size:           4
        .value_kind:     by_value
      - .offset:         80
        .size:           4
        .value_kind:     by_value
      - .address_space:  global
        .offset:         88
        .size:           8
        .value_kind:     global_buffer
      - .address_space:  global
        .offset:         96
        .size:           8
        .value_kind:     global_buffer
      - .offset:         104
        .size:           4
        .value_kind:     by_value
      - .offset:         108
        .size:           4
        .value_kind:     by_value
      - .offset:         112
        .size:           4
        .value_kind:     by_value
      - .offset:         116
        .size:           4
        .value_kind:     by_value
      - .offset:         120
        .size:           4
        .value_kind:     by_value
      - .offset:         128
        .size:           4
        .value_kind:     hidden_block_count_x
      - .offset:         132
        .size:           4
        .value_kind:     hidden_block_count_y
      - .offset:         136
        .size:           4
        .value_kind:     hidden_block_count_z
      - .offset:         140
        .size:           2
        .value_kind:     hidden_group_size_x
      - .offset:         142
        .size:           2
        .value_kind:     hidden_group_size_y
      - .offset:         144
        .size:           2
        .value_kind:     hidden_group_size_z
      - .offset:         146
        .size:           2
        .value_kind:     hidden_remainder_x
      - .offset:         148
        .size:           2
        .value_kind:     hidden_remainder_y
      - .offset:         150
        .size:           2
        .value_kind:     hidden_remainder_z
      - .offset:         168
        .size:           8
        .value_kind:     hidden_global_offset_x
      - .offset:         176
        .size:           8
        .value_kind:     hidden_global_offset_y
      - .offset:         184
        .size:           8
        .value_kind:     hidden_global_offset_z
      - .offset:         192
        .size:           2
        .value_kind:     hidden_grid_dims
      - .offset:         248
        .size:           4
        .value_kind:     hidden_dynamic_lds_size
    .group_segment_fixed_size: 272
    .kernarg_segment_align: 8
    .kernarg_segment_size: 384
    .language:       OpenCL C
    .language_version:
      - 2
      - 0
    .max_flat_workgroup_size: 1024
    .name:           _ZN4vllm25paged_attention_v1_kernelI14__hip_bfloat16hLi120ELi8ELi128ELNS_18Fp8KVCacheDataTypeE1ELb0EEEvPT_PKS3_PKT0_S9_ifPKiSB_iPKfiiiSD_SD_iiiii
    .private_segment_fixed_size: 0
    .sgpr_count:     33
    .sgpr_spill_count: 0
    .symbol:         _ZN4vllm25paged_attention_v1_kernelI14__hip_bfloat16hLi120ELi8ELi128ELNS_18Fp8KVCacheDataTypeE1ELb0EEEvPT_PKS3_PKT0_S9_ifPKiSB_iPKfiiiSD_SD_iiiii.kd
    .uniform_work_group_size: 1
    .uses_dynamic_stack: false
    .vgpr_count:     80
    .vgpr_spill_count: 0
    .wavefront_size: 32
  - .args:
      - .actual_access:  write_only
        .address_space:  global
        .offset:         0
        .size:           8
        .value_kind:     global_buffer
      - .actual_access:  read_only
        .address_space:  global
        .offset:         8
        .size:           8
        .value_kind:     global_buffer
      - .actual_access:  read_only
        .address_space:  global
        .offset:         16
        .size:           8
        .value_kind:     global_buffer
      - .actual_access:  read_only
        .address_space:  global
        .offset:         24
        .size:           8
        .value_kind:     global_buffer
      - .offset:         32
        .size:           4
        .value_kind:     by_value
      - .offset:         36
        .size:           4
        .value_kind:     by_value
      - .actual_access:  read_only
        .address_space:  global
        .offset:         40
        .size:           8
        .value_kind:     global_buffer
      - .actual_access:  read_only
        .address_space:  global
        .offset:         48
        .size:           8
        .value_kind:     global_buffer
      - .offset:         56
        .size:           4
        .value_kind:     by_value
      - .actual_access:  read_only
        .address_space:  global
        .offset:         64
        .size:           8
        .value_kind:     global_buffer
      - .offset:         72
        .size:           4
        .value_kind:     by_value
      - .offset:         76
        .size:           4
        .value_kind:     by_value
      - .offset:         80
        .size:           4
        .value_kind:     by_value
      - .address_space:  global
        .offset:         88
        .size:           8
        .value_kind:     global_buffer
      - .address_space:  global
        .offset:         96
        .size:           8
        .value_kind:     global_buffer
      - .offset:         104
        .size:           4
        .value_kind:     by_value
      - .offset:         108
        .size:           4
        .value_kind:     by_value
      - .offset:         112
        .size:           4
        .value_kind:     by_value
      - .offset:         116
        .size:           4
        .value_kind:     by_value
      - .offset:         120
        .size:           4
        .value_kind:     by_value
      - .offset:         128
        .size:           4
        .value_kind:     hidden_block_count_x
      - .offset:         132
        .size:           4
        .value_kind:     hidden_block_count_y
      - .offset:         136
        .size:           4
        .value_kind:     hidden_block_count_z
      - .offset:         140
        .size:           2
        .value_kind:     hidden_group_size_x
      - .offset:         142
        .size:           2
        .value_kind:     hidden_group_size_y
      - .offset:         144
        .size:           2
        .value_kind:     hidden_group_size_z
      - .offset:         146
        .size:           2
        .value_kind:     hidden_remainder_x
      - .offset:         148
        .size:           2
        .value_kind:     hidden_remainder_y
      - .offset:         150
        .size:           2
        .value_kind:     hidden_remainder_z
      - .offset:         168
        .size:           8
        .value_kind:     hidden_global_offset_x
      - .offset:         176
        .size:           8
        .value_kind:     hidden_global_offset_y
      - .offset:         184
        .size:           8
        .value_kind:     hidden_global_offset_z
      - .offset:         192
        .size:           2
        .value_kind:     hidden_grid_dims
      - .offset:         248
        .size:           4
        .value_kind:     hidden_dynamic_lds_size
    .group_segment_fixed_size: 288
    .kernarg_segment_align: 8
    .kernarg_segment_size: 384
    .language:       OpenCL C
    .language_version:
      - 2
      - 0
    .max_flat_workgroup_size: 1024
    .name:           _ZN4vllm25paged_attention_v1_kernelI14__hip_bfloat16hLi128ELi8ELi128ELNS_18Fp8KVCacheDataTypeE1ELb0EEEvPT_PKS3_PKT0_S9_ifPKiSB_iPKfiiiSD_SD_iiiii
    .private_segment_fixed_size: 0
    .sgpr_count:     34
    .sgpr_spill_count: 0
    .symbol:         _ZN4vllm25paged_attention_v1_kernelI14__hip_bfloat16hLi128ELi8ELi128ELNS_18Fp8KVCacheDataTypeE1ELb0EEEvPT_PKS3_PKT0_S9_ifPKiSB_iPKfiiiSD_SD_iiiii.kd
    .uniform_work_group_size: 1
    .uses_dynamic_stack: false
    .vgpr_count:     84
    .vgpr_spill_count: 0
    .wavefront_size: 32
  - .args:
      - .actual_access:  write_only
        .address_space:  global
        .offset:         0
        .size:           8
        .value_kind:     global_buffer
      - .actual_access:  read_only
        .address_space:  global
        .offset:         8
        .size:           8
        .value_kind:     global_buffer
      - .actual_access:  read_only
        .address_space:  global
        .offset:         16
        .size:           8
        .value_kind:     global_buffer
      - .actual_access:  read_only
        .address_space:  global
        .offset:         24
        .size:           8
        .value_kind:     global_buffer
      - .offset:         32
        .size:           4
        .value_kind:     by_value
      - .offset:         36
        .size:           4
        .value_kind:     by_value
      - .actual_access:  read_only
        .address_space:  global
        .offset:         40
        .size:           8
        .value_kind:     global_buffer
      - .actual_access:  read_only
        .address_space:  global
        .offset:         48
        .size:           8
        .value_kind:     global_buffer
      - .offset:         56
        .size:           4
        .value_kind:     by_value
      - .actual_access:  read_only
        .address_space:  global
        .offset:         64
        .size:           8
        .value_kind:     global_buffer
      - .offset:         72
        .size:           4
        .value_kind:     by_value
      - .offset:         76
        .size:           4
        .value_kind:     by_value
      - .offset:         80
        .size:           4
        .value_kind:     by_value
      - .address_space:  global
        .offset:         88
        .size:           8
        .value_kind:     global_buffer
      - .address_space:  global
        .offset:         96
        .size:           8
        .value_kind:     global_buffer
      - .offset:         104
        .size:           4
        .value_kind:     by_value
      - .offset:         108
        .size:           4
        .value_kind:     by_value
      - .offset:         112
        .size:           4
        .value_kind:     by_value
      - .offset:         116
        .size:           4
        .value_kind:     by_value
      - .offset:         120
        .size:           4
        .value_kind:     by_value
      - .offset:         128
        .size:           4
        .value_kind:     hidden_block_count_x
      - .offset:         132
        .size:           4
        .value_kind:     hidden_block_count_y
      - .offset:         136
        .size:           4
        .value_kind:     hidden_block_count_z
      - .offset:         140
        .size:           2
        .value_kind:     hidden_group_size_x
      - .offset:         142
        .size:           2
        .value_kind:     hidden_group_size_y
      - .offset:         144
        .size:           2
        .value_kind:     hidden_group_size_z
      - .offset:         146
        .size:           2
        .value_kind:     hidden_remainder_x
      - .offset:         148
        .size:           2
        .value_kind:     hidden_remainder_y
      - .offset:         150
        .size:           2
        .value_kind:     hidden_remainder_z
      - .offset:         168
        .size:           8
        .value_kind:     hidden_global_offset_x
      - .offset:         176
        .size:           8
        .value_kind:     hidden_global_offset_y
      - .offset:         184
        .size:           8
        .value_kind:     hidden_global_offset_z
      - .offset:         192
        .size:           2
        .value_kind:     hidden_grid_dims
      - .offset:         248
        .size:           4
        .value_kind:     hidden_dynamic_lds_size
    .group_segment_fixed_size: 416
    .kernarg_segment_align: 8
    .kernarg_segment_size: 384
    .language:       OpenCL C
    .language_version:
      - 2
      - 0
    .max_flat_workgroup_size: 1024
    .name:           _ZN4vllm25paged_attention_v1_kernelI14__hip_bfloat16hLi192ELi8ELi128ELNS_18Fp8KVCacheDataTypeE1ELb0EEEvPT_PKS3_PKT0_S9_ifPKiSB_iPKfiiiSD_SD_iiiii
    .private_segment_fixed_size: 0
    .sgpr_count:     33
    .sgpr_spill_count: 0
    .symbol:         _ZN4vllm25paged_attention_v1_kernelI14__hip_bfloat16hLi192ELi8ELi128ELNS_18Fp8KVCacheDataTypeE1ELb0EEEvPT_PKS3_PKT0_S9_ifPKiSB_iPKfiiiSD_SD_iiiii.kd
    .uniform_work_group_size: 1
    .uses_dynamic_stack: false
    .vgpr_count:     116
    .vgpr_spill_count: 0
    .wavefront_size: 32
  - .args:
      - .actual_access:  write_only
        .address_space:  global
        .offset:         0
        .size:           8
        .value_kind:     global_buffer
      - .actual_access:  read_only
        .address_space:  global
        .offset:         8
        .size:           8
        .value_kind:     global_buffer
      - .actual_access:  read_only
        .address_space:  global
        .offset:         16
        .size:           8
        .value_kind:     global_buffer
      - .actual_access:  read_only
        .address_space:  global
        .offset:         24
        .size:           8
        .value_kind:     global_buffer
      - .offset:         32
        .size:           4
        .value_kind:     by_value
      - .offset:         36
        .size:           4
        .value_kind:     by_value
      - .actual_access:  read_only
        .address_space:  global
        .offset:         40
        .size:           8
        .value_kind:     global_buffer
      - .actual_access:  read_only
        .address_space:  global
        .offset:         48
        .size:           8
        .value_kind:     global_buffer
      - .offset:         56
        .size:           4
        .value_kind:     by_value
      - .actual_access:  read_only
        .address_space:  global
        .offset:         64
        .size:           8
        .value_kind:     global_buffer
      - .offset:         72
        .size:           4
        .value_kind:     by_value
      - .offset:         76
        .size:           4
        .value_kind:     by_value
      - .offset:         80
        .size:           4
        .value_kind:     by_value
      - .address_space:  global
        .offset:         88
        .size:           8
        .value_kind:     global_buffer
      - .address_space:  global
        .offset:         96
        .size:           8
        .value_kind:     global_buffer
      - .offset:         104
        .size:           4
        .value_kind:     by_value
      - .offset:         108
        .size:           4
        .value_kind:     by_value
      - .offset:         112
        .size:           4
        .value_kind:     by_value
      - .offset:         116
        .size:           4
        .value_kind:     by_value
      - .offset:         120
        .size:           4
        .value_kind:     by_value
      - .offset:         128
        .size:           4
        .value_kind:     hidden_block_count_x
      - .offset:         132
        .size:           4
        .value_kind:     hidden_block_count_y
      - .offset:         136
        .size:           4
        .value_kind:     hidden_block_count_z
      - .offset:         140
        .size:           2
        .value_kind:     hidden_group_size_x
      - .offset:         142
        .size:           2
        .value_kind:     hidden_group_size_y
      - .offset:         144
        .size:           2
        .value_kind:     hidden_group_size_z
      - .offset:         146
        .size:           2
        .value_kind:     hidden_remainder_x
      - .offset:         148
        .size:           2
        .value_kind:     hidden_remainder_y
      - .offset:         150
        .size:           2
        .value_kind:     hidden_remainder_z
      - .offset:         168
        .size:           8
        .value_kind:     hidden_global_offset_x
      - .offset:         176
        .size:           8
        .value_kind:     hidden_global_offset_y
      - .offset:         184
        .size:           8
        .value_kind:     hidden_global_offset_z
      - .offset:         192
        .size:           2
        .value_kind:     hidden_grid_dims
      - .offset:         248
        .size:           4
        .value_kind:     hidden_dynamic_lds_size
    .group_segment_fixed_size: 544
    .kernarg_segment_align: 8
    .kernarg_segment_size: 384
    .language:       OpenCL C
    .language_version:
      - 2
      - 0
    .max_flat_workgroup_size: 1024
    .name:           _ZN4vllm25paged_attention_v1_kernelI14__hip_bfloat16hLi256ELi8ELi128ELNS_18Fp8KVCacheDataTypeE1ELb0EEEvPT_PKS3_PKT0_S9_ifPKiSB_iPKfiiiSD_SD_iiiii
    .private_segment_fixed_size: 84
    .sgpr_count:     33
    .sgpr_spill_count: 0
    .symbol:         _ZN4vllm25paged_attention_v1_kernelI14__hip_bfloat16hLi256ELi8ELi128ELNS_18Fp8KVCacheDataTypeE1ELb0EEEvPT_PKS3_PKT0_S9_ifPKiSB_iPKfiiiSD_SD_iiiii.kd
    .uniform_work_group_size: 1
    .uses_dynamic_stack: false
    .vgpr_count:     128
    .vgpr_spill_count: 20
    .wavefront_size: 32
  - .args:
      - .actual_access:  write_only
        .address_space:  global
        .offset:         0
        .size:           8
        .value_kind:     global_buffer
      - .actual_access:  read_only
        .address_space:  global
        .offset:         8
        .size:           8
        .value_kind:     global_buffer
      - .actual_access:  read_only
        .address_space:  global
        .offset:         16
        .size:           8
        .value_kind:     global_buffer
      - .actual_access:  read_only
        .address_space:  global
        .offset:         24
        .size:           8
        .value_kind:     global_buffer
      - .offset:         32
        .size:           4
        .value_kind:     by_value
      - .offset:         36
        .size:           4
        .value_kind:     by_value
      - .actual_access:  read_only
        .address_space:  global
        .offset:         40
        .size:           8
        .value_kind:     global_buffer
      - .actual_access:  read_only
        .address_space:  global
        .offset:         48
        .size:           8
        .value_kind:     global_buffer
      - .offset:         56
        .size:           4
        .value_kind:     by_value
      - .actual_access:  read_only
        .address_space:  global
        .offset:         64
        .size:           8
        .value_kind:     global_buffer
      - .offset:         72
        .size:           4
        .value_kind:     by_value
      - .offset:         76
        .size:           4
        .value_kind:     by_value
      - .offset:         80
        .size:           4
        .value_kind:     by_value
      - .address_space:  global
        .offset:         88
        .size:           8
        .value_kind:     global_buffer
      - .address_space:  global
        .offset:         96
        .size:           8
        .value_kind:     global_buffer
      - .offset:         104
        .size:           4
        .value_kind:     by_value
      - .offset:         108
        .size:           4
        .value_kind:     by_value
      - .offset:         112
        .size:           4
        .value_kind:     by_value
      - .offset:         116
        .size:           4
        .value_kind:     by_value
      - .offset:         120
        .size:           4
        .value_kind:     by_value
      - .offset:         128
        .size:           4
        .value_kind:     hidden_block_count_x
      - .offset:         132
        .size:           4
        .value_kind:     hidden_block_count_y
      - .offset:         136
        .size:           4
        .value_kind:     hidden_block_count_z
      - .offset:         140
        .size:           2
        .value_kind:     hidden_group_size_x
      - .offset:         142
        .size:           2
        .value_kind:     hidden_group_size_y
      - .offset:         144
        .size:           2
        .value_kind:     hidden_group_size_z
      - .offset:         146
        .size:           2
        .value_kind:     hidden_remainder_x
      - .offset:         148
        .size:           2
        .value_kind:     hidden_remainder_y
      - .offset:         150
        .size:           2
        .value_kind:     hidden_remainder_z
      - .offset:         168
        .size:           8
        .value_kind:     hidden_global_offset_x
      - .offset:         176
        .size:           8
        .value_kind:     hidden_global_offset_y
      - .offset:         184
        .size:           8
        .value_kind:     hidden_global_offset_z
      - .offset:         192
        .size:           2
        .value_kind:     hidden_grid_dims
      - .offset:         248
        .size:           4
        .value_kind:     hidden_dynamic_lds_size
    .group_segment_fixed_size: 96
    .kernarg_segment_align: 8
    .kernarg_segment_size: 384
    .language:       OpenCL C
    .language_version:
      - 2
      - 0
    .max_flat_workgroup_size: 1024
    .name:           _ZN4vllm25paged_attention_v1_kernelI14__hip_bfloat16hLi32ELi16ELi128ELNS_18Fp8KVCacheDataTypeE1ELb1EEEvPT_PKS3_PKT0_S9_ifPKiSB_iPKfiiiSD_SD_iiiii
    .private_segment_fixed_size: 0
    .sgpr_count:     48
    .sgpr_spill_count: 0
    .symbol:         _ZN4vllm25paged_attention_v1_kernelI14__hip_bfloat16hLi32ELi16ELi128ELNS_18Fp8KVCacheDataTypeE1ELb1EEEvPT_PKS3_PKT0_S9_ifPKiSB_iPKfiiiSD_SD_iiiii.kd
    .uniform_work_group_size: 1
    .uses_dynamic_stack: false
    .vgpr_count:     56
    .vgpr_spill_count: 0
    .wavefront_size: 32
  - .args:
      - .actual_access:  write_only
        .address_space:  global
        .offset:         0
        .size:           8
        .value_kind:     global_buffer
      - .actual_access:  read_only
        .address_space:  global
        .offset:         8
        .size:           8
        .value_kind:     global_buffer
      - .actual_access:  read_only
        .address_space:  global
        .offset:         16
        .size:           8
        .value_kind:     global_buffer
      - .actual_access:  read_only
        .address_space:  global
        .offset:         24
        .size:           8
        .value_kind:     global_buffer
      - .offset:         32
        .size:           4
        .value_kind:     by_value
      - .offset:         36
        .size:           4
        .value_kind:     by_value
      - .actual_access:  read_only
        .address_space:  global
        .offset:         40
        .size:           8
        .value_kind:     global_buffer
      - .actual_access:  read_only
        .address_space:  global
        .offset:         48
        .size:           8
        .value_kind:     global_buffer
      - .offset:         56
        .size:           4
        .value_kind:     by_value
      - .actual_access:  read_only
        .address_space:  global
        .offset:         64
        .size:           8
        .value_kind:     global_buffer
      - .offset:         72
        .size:           4
        .value_kind:     by_value
      - .offset:         76
        .size:           4
        .value_kind:     by_value
      - .offset:         80
        .size:           4
        .value_kind:     by_value
      - .address_space:  global
        .offset:         88
        .size:           8
        .value_kind:     global_buffer
      - .address_space:  global
        .offset:         96
        .size:           8
        .value_kind:     global_buffer
      - .offset:         104
        .size:           4
        .value_kind:     by_value
      - .offset:         108
        .size:           4
        .value_kind:     by_value
      - .offset:         112
        .size:           4
        .value_kind:     by_value
      - .offset:         116
        .size:           4
        .value_kind:     by_value
      - .offset:         120
        .size:           4
        .value_kind:     by_value
      - .offset:         128
        .size:           4
        .value_kind:     hidden_block_count_x
      - .offset:         132
        .size:           4
        .value_kind:     hidden_block_count_y
      - .offset:         136
        .size:           4
        .value_kind:     hidden_block_count_z
      - .offset:         140
        .size:           2
        .value_kind:     hidden_group_size_x
      - .offset:         142
        .size:           2
        .value_kind:     hidden_group_size_y
      - .offset:         144
        .size:           2
        .value_kind:     hidden_group_size_z
      - .offset:         146
        .size:           2
        .value_kind:     hidden_remainder_x
      - .offset:         148
        .size:           2
        .value_kind:     hidden_remainder_y
      - .offset:         150
        .size:           2
        .value_kind:     hidden_remainder_z
      - .offset:         168
        .size:           8
        .value_kind:     hidden_global_offset_x
      - .offset:         176
        .size:           8
        .value_kind:     hidden_global_offset_y
      - .offset:         184
        .size:           8
        .value_kind:     hidden_global_offset_z
      - .offset:         192
        .size:           2
        .value_kind:     hidden_grid_dims
      - .offset:         248
        .size:           4
        .value_kind:     hidden_dynamic_lds_size
    .group_segment_fixed_size: 160
    .kernarg_segment_align: 8
    .kernarg_segment_size: 384
    .language:       OpenCL C
    .language_version:
      - 2
      - 0
    .max_flat_workgroup_size: 1024
    .name:           _ZN4vllm25paged_attention_v1_kernelI14__hip_bfloat16hLi64ELi16ELi128ELNS_18Fp8KVCacheDataTypeE1ELb1EEEvPT_PKS3_PKT0_S9_ifPKiSB_iPKfiiiSD_SD_iiiii
    .private_segment_fixed_size: 0
    .sgpr_count:     48
    .sgpr_spill_count: 0
    .symbol:         _ZN4vllm25paged_attention_v1_kernelI14__hip_bfloat16hLi64ELi16ELi128ELNS_18Fp8KVCacheDataTypeE1ELb1EEEvPT_PKS3_PKT0_S9_ifPKiSB_iPKfiiiSD_SD_iiiii.kd
    .uniform_work_group_size: 1
    .uses_dynamic_stack: false
    .vgpr_count:     74
    .vgpr_spill_count: 0
    .wavefront_size: 32
  - .args:
      - .actual_access:  write_only
        .address_space:  global
        .offset:         0
        .size:           8
        .value_kind:     global_buffer
      - .actual_access:  read_only
        .address_space:  global
        .offset:         8
        .size:           8
        .value_kind:     global_buffer
      - .actual_access:  read_only
        .address_space:  global
        .offset:         16
        .size:           8
        .value_kind:     global_buffer
      - .actual_access:  read_only
        .address_space:  global
        .offset:         24
        .size:           8
        .value_kind:     global_buffer
      - .offset:         32
        .size:           4
        .value_kind:     by_value
      - .offset:         36
        .size:           4
        .value_kind:     by_value
      - .actual_access:  read_only
        .address_space:  global
        .offset:         40
        .size:           8
        .value_kind:     global_buffer
      - .actual_access:  read_only
        .address_space:  global
        .offset:         48
        .size:           8
        .value_kind:     global_buffer
      - .offset:         56
        .size:           4
        .value_kind:     by_value
      - .actual_access:  read_only
        .address_space:  global
        .offset:         64
        .size:           8
        .value_kind:     global_buffer
      - .offset:         72
        .size:           4
        .value_kind:     by_value
      - .offset:         76
        .size:           4
        .value_kind:     by_value
      - .offset:         80
        .size:           4
        .value_kind:     by_value
      - .address_space:  global
        .offset:         88
        .size:           8
        .value_kind:     global_buffer
      - .address_space:  global
        .offset:         96
        .size:           8
        .value_kind:     global_buffer
      - .offset:         104
        .size:           4
        .value_kind:     by_value
      - .offset:         108
        .size:           4
        .value_kind:     by_value
      - .offset:         112
        .size:           4
        .value_kind:     by_value
      - .offset:         116
        .size:           4
        .value_kind:     by_value
      - .offset:         120
        .size:           4
        .value_kind:     by_value
      - .offset:         128
        .size:           4
        .value_kind:     hidden_block_count_x
      - .offset:         132
        .size:           4
        .value_kind:     hidden_block_count_y
      - .offset:         136
        .size:           4
        .value_kind:     hidden_block_count_z
      - .offset:         140
        .size:           2
        .value_kind:     hidden_group_size_x
      - .offset:         142
        .size:           2
        .value_kind:     hidden_group_size_y
      - .offset:         144
        .size:           2
        .value_kind:     hidden_group_size_z
      - .offset:         146
        .size:           2
        .value_kind:     hidden_remainder_x
      - .offset:         148
        .size:           2
        .value_kind:     hidden_remainder_y
      - .offset:         150
        .size:           2
        .value_kind:     hidden_remainder_z
      - .offset:         168
        .size:           8
        .value_kind:     hidden_global_offset_x
      - .offset:         176
        .size:           8
        .value_kind:     hidden_global_offset_y
      - .offset:         184
        .size:           8
        .value_kind:     hidden_global_offset_z
      - .offset:         192
        .size:           2
        .value_kind:     hidden_grid_dims
      - .offset:         248
        .size:           4
        .value_kind:     hidden_dynamic_lds_size
    .group_segment_fixed_size: 192
    .kernarg_segment_align: 8
    .kernarg_segment_size: 384
    .language:       OpenCL C
    .language_version:
      - 2
      - 0
    .max_flat_workgroup_size: 1024
    .name:           _ZN4vllm25paged_attention_v1_kernelI14__hip_bfloat16hLi80ELi16ELi128ELNS_18Fp8KVCacheDataTypeE1ELb1EEEvPT_PKS3_PKT0_S9_ifPKiSB_iPKfiiiSD_SD_iiiii
    .private_segment_fixed_size: 0
    .sgpr_count:     48
    .sgpr_spill_count: 0
    .symbol:         _ZN4vllm25paged_attention_v1_kernelI14__hip_bfloat16hLi80ELi16ELi128ELNS_18Fp8KVCacheDataTypeE1ELb1EEEvPT_PKS3_PKT0_S9_ifPKiSB_iPKfiiiSD_SD_iiiii.kd
    .uniform_work_group_size: 1
    .uses_dynamic_stack: false
    .vgpr_count:     86
    .vgpr_spill_count: 0
    .wavefront_size: 32
  - .args:
      - .actual_access:  write_only
        .address_space:  global
        .offset:         0
        .size:           8
        .value_kind:     global_buffer
      - .actual_access:  read_only
        .address_space:  global
        .offset:         8
        .size:           8
        .value_kind:     global_buffer
      - .actual_access:  read_only
        .address_space:  global
        .offset:         16
        .size:           8
        .value_kind:     global_buffer
      - .actual_access:  read_only
        .address_space:  global
        .offset:         24
        .size:           8
        .value_kind:     global_buffer
      - .offset:         32
        .size:           4
        .value_kind:     by_value
      - .offset:         36
        .size:           4
        .value_kind:     by_value
      - .actual_access:  read_only
        .address_space:  global
        .offset:         40
        .size:           8
        .value_kind:     global_buffer
      - .actual_access:  read_only
        .address_space:  global
        .offset:         48
        .size:           8
        .value_kind:     global_buffer
      - .offset:         56
        .size:           4
        .value_kind:     by_value
      - .actual_access:  read_only
        .address_space:  global
        .offset:         64
        .size:           8
        .value_kind:     global_buffer
      - .offset:         72
        .size:           4
        .value_kind:     by_value
      - .offset:         76
        .size:           4
        .value_kind:     by_value
      - .offset:         80
        .size:           4
        .value_kind:     by_value
      - .address_space:  global
        .offset:         88
        .size:           8
        .value_kind:     global_buffer
      - .address_space:  global
        .offset:         96
        .size:           8
        .value_kind:     global_buffer
      - .offset:         104
        .size:           4
        .value_kind:     by_value
      - .offset:         108
        .size:           4
        .value_kind:     by_value
      - .offset:         112
        .size:           4
        .value_kind:     by_value
      - .offset:         116
        .size:           4
        .value_kind:     by_value
      - .offset:         120
        .size:           4
        .value_kind:     by_value
      - .offset:         128
        .size:           4
        .value_kind:     hidden_block_count_x
      - .offset:         132
        .size:           4
        .value_kind:     hidden_block_count_y
      - .offset:         136
        .size:           4
        .value_kind:     hidden_block_count_z
      - .offset:         140
        .size:           2
        .value_kind:     hidden_group_size_x
      - .offset:         142
        .size:           2
        .value_kind:     hidden_group_size_y
      - .offset:         144
        .size:           2
        .value_kind:     hidden_group_size_z
      - .offset:         146
        .size:           2
        .value_kind:     hidden_remainder_x
      - .offset:         148
        .size:           2
        .value_kind:     hidden_remainder_y
      - .offset:         150
        .size:           2
        .value_kind:     hidden_remainder_z
      - .offset:         168
        .size:           8
        .value_kind:     hidden_global_offset_x
      - .offset:         176
        .size:           8
        .value_kind:     hidden_global_offset_y
      - .offset:         184
        .size:           8
        .value_kind:     hidden_global_offset_z
      - .offset:         192
        .size:           2
        .value_kind:     hidden_grid_dims
      - .offset:         248
        .size:           4
        .value_kind:     hidden_dynamic_lds_size
    .group_segment_fixed_size: 224
    .kernarg_segment_align: 8
    .kernarg_segment_size: 384
    .language:       OpenCL C
    .language_version:
      - 2
      - 0
    .max_flat_workgroup_size: 1024
    .name:           _ZN4vllm25paged_attention_v1_kernelI14__hip_bfloat16hLi96ELi16ELi128ELNS_18Fp8KVCacheDataTypeE1ELb1EEEvPT_PKS3_PKT0_S9_ifPKiSB_iPKfiiiSD_SD_iiiii
    .private_segment_fixed_size: 0
    .sgpr_count:     48
    .sgpr_spill_count: 0
    .symbol:         _ZN4vllm25paged_attention_v1_kernelI14__hip_bfloat16hLi96ELi16ELi128ELNS_18Fp8KVCacheDataTypeE1ELb1EEEvPT_PKS3_PKT0_S9_ifPKiSB_iPKfiiiSD_SD_iiiii.kd
    .uniform_work_group_size: 1
    .uses_dynamic_stack: false
    .vgpr_count:     98
    .vgpr_spill_count: 0
    .wavefront_size: 32
  - .args:
      - .actual_access:  write_only
        .address_space:  global
        .offset:         0
        .size:           8
        .value_kind:     global_buffer
      - .actual_access:  read_only
        .address_space:  global
        .offset:         8
        .size:           8
        .value_kind:     global_buffer
      - .actual_access:  read_only
        .address_space:  global
        .offset:         16
        .size:           8
        .value_kind:     global_buffer
      - .actual_access:  read_only
        .address_space:  global
        .offset:         24
        .size:           8
        .value_kind:     global_buffer
      - .offset:         32
        .size:           4
        .value_kind:     by_value
      - .offset:         36
        .size:           4
        .value_kind:     by_value
      - .actual_access:  read_only
        .address_space:  global
        .offset:         40
        .size:           8
        .value_kind:     global_buffer
      - .actual_access:  read_only
        .address_space:  global
        .offset:         48
        .size:           8
        .value_kind:     global_buffer
      - .offset:         56
        .size:           4
        .value_kind:     by_value
      - .actual_access:  read_only
        .address_space:  global
        .offset:         64
        .size:           8
        .value_kind:     global_buffer
      - .offset:         72
        .size:           4
        .value_kind:     by_value
      - .offset:         76
        .size:           4
        .value_kind:     by_value
      - .offset:         80
        .size:           4
        .value_kind:     by_value
      - .address_space:  global
        .offset:         88
        .size:           8
        .value_kind:     global_buffer
      - .address_space:  global
        .offset:         96
        .size:           8
        .value_kind:     global_buffer
      - .offset:         104
        .size:           4
        .value_kind:     by_value
      - .offset:         108
        .size:           4
        .value_kind:     by_value
      - .offset:         112
        .size:           4
        .value_kind:     by_value
      - .offset:         116
        .size:           4
        .value_kind:     by_value
      - .offset:         120
        .size:           4
        .value_kind:     by_value
      - .offset:         128
        .size:           4
        .value_kind:     hidden_block_count_x
      - .offset:         132
        .size:           4
        .value_kind:     hidden_block_count_y
      - .offset:         136
        .size:           4
        .value_kind:     hidden_block_count_z
      - .offset:         140
        .size:           2
        .value_kind:     hidden_group_size_x
      - .offset:         142
        .size:           2
        .value_kind:     hidden_group_size_y
      - .offset:         144
        .size:           2
        .value_kind:     hidden_group_size_z
      - .offset:         146
        .size:           2
        .value_kind:     hidden_remainder_x
      - .offset:         148
        .size:           2
        .value_kind:     hidden_remainder_y
      - .offset:         150
        .size:           2
        .value_kind:     hidden_remainder_z
      - .offset:         168
        .size:           8
        .value_kind:     hidden_global_offset_x
      - .offset:         176
        .size:           8
        .value_kind:     hidden_global_offset_y
      - .offset:         184
        .size:           8
        .value_kind:     hidden_global_offset_z
      - .offset:         192
        .size:           2
        .value_kind:     hidden_grid_dims
      - .offset:         248
        .size:           4
        .value_kind:     hidden_dynamic_lds_size
    .group_segment_fixed_size: 256
    .kernarg_segment_align: 8
    .kernarg_segment_size: 384
    .language:       OpenCL C
    .language_version:
      - 2
      - 0
    .max_flat_workgroup_size: 1024
    .name:           _ZN4vllm25paged_attention_v1_kernelI14__hip_bfloat16hLi112ELi16ELi128ELNS_18Fp8KVCacheDataTypeE1ELb1EEEvPT_PKS3_PKT0_S9_ifPKiSB_iPKfiiiSD_SD_iiiii
    .private_segment_fixed_size: 0
    .sgpr_count:     48
    .sgpr_spill_count: 0
    .symbol:         _ZN4vllm25paged_attention_v1_kernelI14__hip_bfloat16hLi112ELi16ELi128ELNS_18Fp8KVCacheDataTypeE1ELb1EEEvPT_PKS3_PKT0_S9_ifPKiSB_iPKfiiiSD_SD_iiiii.kd
    .uniform_work_group_size: 1
    .uses_dynamic_stack: false
    .vgpr_count:     108
    .vgpr_spill_count: 0
    .wavefront_size: 32
  - .args:
      - .actual_access:  write_only
        .address_space:  global
        .offset:         0
        .size:           8
        .value_kind:     global_buffer
      - .actual_access:  read_only
        .address_space:  global
        .offset:         8
        .size:           8
        .value_kind:     global_buffer
      - .actual_access:  read_only
        .address_space:  global
        .offset:         16
        .size:           8
        .value_kind:     global_buffer
      - .actual_access:  read_only
        .address_space:  global
        .offset:         24
        .size:           8
        .value_kind:     global_buffer
      - .offset:         32
        .size:           4
        .value_kind:     by_value
      - .offset:         36
        .size:           4
        .value_kind:     by_value
      - .actual_access:  read_only
        .address_space:  global
        .offset:         40
        .size:           8
        .value_kind:     global_buffer
      - .actual_access:  read_only
        .address_space:  global
        .offset:         48
        .size:           8
        .value_kind:     global_buffer
      - .offset:         56
        .size:           4
        .value_kind:     by_value
      - .actual_access:  read_only
        .address_space:  global
        .offset:         64
        .size:           8
        .value_kind:     global_buffer
      - .offset:         72
        .size:           4
        .value_kind:     by_value
      - .offset:         76
        .size:           4
        .value_kind:     by_value
      - .offset:         80
        .size:           4
        .value_kind:     by_value
      - .address_space:  global
        .offset:         88
        .size:           8
        .value_kind:     global_buffer
      - .address_space:  global
        .offset:         96
        .size:           8
        .value_kind:     global_buffer
      - .offset:         104
        .size:           4
        .value_kind:     by_value
      - .offset:         108
        .size:           4
        .value_kind:     by_value
      - .offset:         112
        .size:           4
        .value_kind:     by_value
      - .offset:         116
        .size:           4
        .value_kind:     by_value
      - .offset:         120
        .size:           4
        .value_kind:     by_value
      - .offset:         128
        .size:           4
        .value_kind:     hidden_block_count_x
      - .offset:         132
        .size:           4
        .value_kind:     hidden_block_count_y
      - .offset:         136
        .size:           4
        .value_kind:     hidden_block_count_z
      - .offset:         140
        .size:           2
        .value_kind:     hidden_group_size_x
      - .offset:         142
        .size:           2
        .value_kind:     hidden_group_size_y
      - .offset:         144
        .size:           2
        .value_kind:     hidden_group_size_z
      - .offset:         146
        .size:           2
        .value_kind:     hidden_remainder_x
      - .offset:         148
        .size:           2
        .value_kind:     hidden_remainder_y
      - .offset:         150
        .size:           2
        .value_kind:     hidden_remainder_z
      - .offset:         168
        .size:           8
        .value_kind:     hidden_global_offset_x
      - .offset:         176
        .size:           8
        .value_kind:     hidden_global_offset_y
      - .offset:         184
        .size:           8
        .value_kind:     hidden_global_offset_z
      - .offset:         192
        .size:           2
        .value_kind:     hidden_grid_dims
      - .offset:         248
        .size:           4
        .value_kind:     hidden_dynamic_lds_size
    .group_segment_fixed_size: 272
    .kernarg_segment_align: 8
    .kernarg_segment_size: 384
    .language:       OpenCL C
    .language_version:
      - 2
      - 0
    .max_flat_workgroup_size: 1024
    .name:           _ZN4vllm25paged_attention_v1_kernelI14__hip_bfloat16hLi120ELi16ELi128ELNS_18Fp8KVCacheDataTypeE1ELb1EEEvPT_PKS3_PKT0_S9_ifPKiSB_iPKfiiiSD_SD_iiiii
    .private_segment_fixed_size: 0
    .sgpr_count:     48
    .sgpr_spill_count: 0
    .symbol:         _ZN4vllm25paged_attention_v1_kernelI14__hip_bfloat16hLi120ELi16ELi128ELNS_18Fp8KVCacheDataTypeE1ELb1EEEvPT_PKS3_PKT0_S9_ifPKiSB_iPKfiiiSD_SD_iiiii.kd
    .uniform_work_group_size: 1
    .uses_dynamic_stack: false
    .vgpr_count:     112
    .vgpr_spill_count: 0
    .wavefront_size: 32
  - .args:
      - .actual_access:  write_only
        .address_space:  global
        .offset:         0
        .size:           8
        .value_kind:     global_buffer
      - .actual_access:  read_only
        .address_space:  global
        .offset:         8
        .size:           8
        .value_kind:     global_buffer
      - .actual_access:  read_only
        .address_space:  global
        .offset:         16
        .size:           8
        .value_kind:     global_buffer
      - .actual_access:  read_only
        .address_space:  global
        .offset:         24
        .size:           8
        .value_kind:     global_buffer
      - .offset:         32
        .size:           4
        .value_kind:     by_value
      - .offset:         36
        .size:           4
        .value_kind:     by_value
      - .actual_access:  read_only
        .address_space:  global
        .offset:         40
        .size:           8
        .value_kind:     global_buffer
      - .actual_access:  read_only
        .address_space:  global
        .offset:         48
        .size:           8
        .value_kind:     global_buffer
      - .offset:         56
        .size:           4
        .value_kind:     by_value
      - .actual_access:  read_only
        .address_space:  global
        .offset:         64
        .size:           8
        .value_kind:     global_buffer
      - .offset:         72
        .size:           4
        .value_kind:     by_value
      - .offset:         76
        .size:           4
        .value_kind:     by_value
      - .offset:         80
        .size:           4
        .value_kind:     by_value
      - .address_space:  global
        .offset:         88
        .size:           8
        .value_kind:     global_buffer
      - .address_space:  global
        .offset:         96
        .size:           8
        .value_kind:     global_buffer
      - .offset:         104
        .size:           4
        .value_kind:     by_value
      - .offset:         108
        .size:           4
        .value_kind:     by_value
      - .offset:         112
        .size:           4
        .value_kind:     by_value
      - .offset:         116
        .size:           4
        .value_kind:     by_value
      - .offset:         120
        .size:           4
        .value_kind:     by_value
      - .offset:         128
        .size:           4
        .value_kind:     hidden_block_count_x
      - .offset:         132
        .size:           4
        .value_kind:     hidden_block_count_y
      - .offset:         136
        .size:           4
        .value_kind:     hidden_block_count_z
      - .offset:         140
        .size:           2
        .value_kind:     hidden_group_size_x
      - .offset:         142
        .size:           2
        .value_kind:     hidden_group_size_y
      - .offset:         144
        .size:           2
        .value_kind:     hidden_group_size_z
      - .offset:         146
        .size:           2
        .value_kind:     hidden_remainder_x
      - .offset:         148
        .size:           2
        .value_kind:     hidden_remainder_y
      - .offset:         150
        .size:           2
        .value_kind:     hidden_remainder_z
      - .offset:         168
        .size:           8
        .value_kind:     hidden_global_offset_x
      - .offset:         176
        .size:           8
        .value_kind:     hidden_global_offset_y
      - .offset:         184
        .size:           8
        .value_kind:     hidden_global_offset_z
      - .offset:         192
        .size:           2
        .value_kind:     hidden_grid_dims
      - .offset:         248
        .size:           4
        .value_kind:     hidden_dynamic_lds_size
    .group_segment_fixed_size: 288
    .kernarg_segment_align: 8
    .kernarg_segment_size: 384
    .language:       OpenCL C
    .language_version:
      - 2
      - 0
    .max_flat_workgroup_size: 1024
    .name:           _ZN4vllm25paged_attention_v1_kernelI14__hip_bfloat16hLi128ELi16ELi128ELNS_18Fp8KVCacheDataTypeE1ELb1EEEvPT_PKS3_PKT0_S9_ifPKiSB_iPKfiiiSD_SD_iiiii
    .private_segment_fixed_size: 0
    .sgpr_count:     49
    .sgpr_spill_count: 0
    .symbol:         _ZN4vllm25paged_attention_v1_kernelI14__hip_bfloat16hLi128ELi16ELi128ELNS_18Fp8KVCacheDataTypeE1ELb1EEEvPT_PKS3_PKT0_S9_ifPKiSB_iPKfiiiSD_SD_iiiii.kd
    .uniform_work_group_size: 1
    .uses_dynamic_stack: false
    .vgpr_count:     116
    .vgpr_spill_count: 0
    .wavefront_size: 32
  - .args:
      - .address_space:  global
        .offset:         0
        .size:           8
        .value_kind:     global_buffer
      - .address_space:  global
        .offset:         8
        .size:           8
        .value_kind:     global_buffer
      - .address_space:  global
        .offset:         16
        .size:           8
        .value_kind:     global_buffer
      - .address_space:  global
        .offset:         24
        .size:           8
        .value_kind:     global_buffer
      - .offset:         32
        .size:           4
        .value_kind:     by_value
      - .offset:         36
        .size:           4
        .value_kind:     by_value
      - .address_space:  global
        .offset:         40
        .size:           8
        .value_kind:     global_buffer
      - .address_space:  global
        .offset:         48
        .size:           8
        .value_kind:     global_buffer
      - .offset:         56
        .size:           4
        .value_kind:     by_value
      - .address_space:  global
        .offset:         64
        .size:           8
        .value_kind:     global_buffer
      - .offset:         72
        .size:           4
        .value_kind:     by_value
      - .offset:         76
        .size:           4
        .value_kind:     by_value
      - .offset:         80
        .size:           4
        .value_kind:     by_value
      - .address_space:  global
        .offset:         88
        .size:           8
        .value_kind:     global_buffer
      - .address_space:  global
        .offset:         96
        .size:           8
        .value_kind:     global_buffer
      - .offset:         104
        .size:           4
        .value_kind:     by_value
      - .offset:         108
        .size:           4
        .value_kind:     by_value
      - .offset:         112
        .size:           4
        .value_kind:     by_value
      - .offset:         116
        .size:           4
        .value_kind:     by_value
      - .offset:         120
        .size:           4
        .value_kind:     by_value
      - .offset:         128
        .size:           4
        .value_kind:     hidden_block_count_x
      - .offset:         132
        .size:           4
        .value_kind:     hidden_block_count_y
      - .offset:         136
        .size:           4
        .value_kind:     hidden_block_count_z
      - .offset:         140
        .size:           2
        .value_kind:     hidden_group_size_x
      - .offset:         142
        .size:           2
        .value_kind:     hidden_group_size_y
      - .offset:         144
        .size:           2
        .value_kind:     hidden_group_size_z
      - .offset:         146
        .size:           2
        .value_kind:     hidden_remainder_x
      - .offset:         148
        .size:           2
        .value_kind:     hidden_remainder_y
      - .offset:         150
        .size:           2
        .value_kind:     hidden_remainder_z
      - .offset:         168
        .size:           8
        .value_kind:     hidden_global_offset_x
      - .offset:         176
        .size:           8
        .value_kind:     hidden_global_offset_y
      - .offset:         184
        .size:           8
        .value_kind:     hidden_global_offset_z
      - .offset:         192
        .size:           2
        .value_kind:     hidden_grid_dims
      - .offset:         248
        .size:           4
        .value_kind:     hidden_dynamic_lds_size
    .group_segment_fixed_size: 416
    .kernarg_segment_align: 8
    .kernarg_segment_size: 384
    .language:       OpenCL C
    .language_version:
      - 2
      - 0
    .max_flat_workgroup_size: 1024
    .name:           _ZN4vllm25paged_attention_v1_kernelI14__hip_bfloat16hLi192ELi16ELi128ELNS_18Fp8KVCacheDataTypeE1ELb1EEEvPT_PKS3_PKT0_S9_ifPKiSB_iPKfiiiSD_SD_iiiii
    .private_segment_fixed_size: 436
    .sgpr_count:     41
    .sgpr_spill_count: 0
    .symbol:         _ZN4vllm25paged_attention_v1_kernelI14__hip_bfloat16hLi192ELi16ELi128ELNS_18Fp8KVCacheDataTypeE1ELb1EEEvPT_PKS3_PKT0_S9_ifPKiSB_iPKfiiiSD_SD_iiiii.kd
    .uniform_work_group_size: 1
    .uses_dynamic_stack: false
    .vgpr_count:     128
    .vgpr_spill_count: 0
    .wavefront_size: 32
  - .args:
      - .address_space:  global
        .offset:         0
        .size:           8
        .value_kind:     global_buffer
      - .address_space:  global
        .offset:         8
        .size:           8
        .value_kind:     global_buffer
      - .address_space:  global
        .offset:         16
        .size:           8
        .value_kind:     global_buffer
      - .address_space:  global
        .offset:         24
        .size:           8
        .value_kind:     global_buffer
      - .offset:         32
        .size:           4
        .value_kind:     by_value
      - .offset:         36
        .size:           4
        .value_kind:     by_value
      - .address_space:  global
        .offset:         40
        .size:           8
        .value_kind:     global_buffer
      - .address_space:  global
        .offset:         48
        .size:           8
        .value_kind:     global_buffer
      - .offset:         56
        .size:           4
        .value_kind:     by_value
      - .address_space:  global
        .offset:         64
        .size:           8
        .value_kind:     global_buffer
      - .offset:         72
        .size:           4
        .value_kind:     by_value
      - .offset:         76
        .size:           4
        .value_kind:     by_value
      - .offset:         80
        .size:           4
        .value_kind:     by_value
      - .address_space:  global
        .offset:         88
        .size:           8
        .value_kind:     global_buffer
      - .address_space:  global
        .offset:         96
        .size:           8
        .value_kind:     global_buffer
      - .offset:         104
        .size:           4
        .value_kind:     by_value
      - .offset:         108
        .size:           4
        .value_kind:     by_value
      - .offset:         112
        .size:           4
        .value_kind:     by_value
      - .offset:         116
        .size:           4
        .value_kind:     by_value
      - .offset:         120
        .size:           4
        .value_kind:     by_value
      - .offset:         128
        .size:           4
        .value_kind:     hidden_block_count_x
      - .offset:         132
        .size:           4
        .value_kind:     hidden_block_count_y
      - .offset:         136
        .size:           4
        .value_kind:     hidden_block_count_z
      - .offset:         140
        .size:           2
        .value_kind:     hidden_group_size_x
      - .offset:         142
        .size:           2
        .value_kind:     hidden_group_size_y
      - .offset:         144
        .size:           2
        .value_kind:     hidden_group_size_z
      - .offset:         146
        .size:           2
        .value_kind:     hidden_remainder_x
      - .offset:         148
        .size:           2
        .value_kind:     hidden_remainder_y
      - .offset:         150
        .size:           2
        .value_kind:     hidden_remainder_z
      - .offset:         168
        .size:           8
        .value_kind:     hidden_global_offset_x
      - .offset:         176
        .size:           8
        .value_kind:     hidden_global_offset_y
      - .offset:         184
        .size:           8
        .value_kind:     hidden_global_offset_z
      - .offset:         192
        .size:           2
        .value_kind:     hidden_grid_dims
      - .offset:         248
        .size:           4
        .value_kind:     hidden_dynamic_lds_size
    .group_segment_fixed_size: 544
    .kernarg_segment_align: 8
    .kernarg_segment_size: 384
    .language:       OpenCL C
    .language_version:
      - 2
      - 0
    .max_flat_workgroup_size: 1024
    .name:           _ZN4vllm25paged_attention_v1_kernelI14__hip_bfloat16hLi256ELi16ELi128ELNS_18Fp8KVCacheDataTypeE1ELb1EEEvPT_PKS3_PKT0_S9_ifPKiSB_iPKfiiiSD_SD_iiiii
    .private_segment_fixed_size: 556
    .sgpr_count:     41
    .sgpr_spill_count: 0
    .symbol:         _ZN4vllm25paged_attention_v1_kernelI14__hip_bfloat16hLi256ELi16ELi128ELNS_18Fp8KVCacheDataTypeE1ELb1EEEvPT_PKS3_PKT0_S9_ifPKiSB_iPKfiiiSD_SD_iiiii.kd
    .uniform_work_group_size: 1
    .uses_dynamic_stack: false
    .vgpr_count:     128
    .vgpr_spill_count: 0
    .wavefront_size: 32
  - .args:
      - .actual_access:  write_only
        .address_space:  global
        .offset:         0
        .size:           8
        .value_kind:     global_buffer
      - .actual_access:  read_only
        .address_space:  global
        .offset:         8
        .size:           8
        .value_kind:     global_buffer
      - .actual_access:  read_only
        .address_space:  global
        .offset:         16
        .size:           8
        .value_kind:     global_buffer
      - .actual_access:  read_only
        .address_space:  global
        .offset:         24
        .size:           8
        .value_kind:     global_buffer
      - .offset:         32
        .size:           4
        .value_kind:     by_value
      - .offset:         36
        .size:           4
        .value_kind:     by_value
      - .actual_access:  read_only
        .address_space:  global
        .offset:         40
        .size:           8
        .value_kind:     global_buffer
      - .actual_access:  read_only
        .address_space:  global
        .offset:         48
        .size:           8
        .value_kind:     global_buffer
      - .offset:         56
        .size:           4
        .value_kind:     by_value
      - .actual_access:  read_only
        .address_space:  global
        .offset:         64
        .size:           8
        .value_kind:     global_buffer
      - .offset:         72
        .size:           4
        .value_kind:     by_value
      - .offset:         76
        .size:           4
        .value_kind:     by_value
      - .offset:         80
        .size:           4
        .value_kind:     by_value
      - .address_space:  global
        .offset:         88
        .size:           8
        .value_kind:     global_buffer
      - .address_space:  global
        .offset:         96
        .size:           8
        .value_kind:     global_buffer
      - .offset:         104
        .size:           4
        .value_kind:     by_value
      - .offset:         108
        .size:           4
        .value_kind:     by_value
      - .offset:         112
        .size:           4
        .value_kind:     by_value
      - .offset:         116
        .size:           4
        .value_kind:     by_value
      - .offset:         120
        .size:           4
        .value_kind:     by_value
      - .offset:         128
        .size:           4
        .value_kind:     hidden_block_count_x
      - .offset:         132
        .size:           4
        .value_kind:     hidden_block_count_y
      - .offset:         136
        .size:           4
        .value_kind:     hidden_block_count_z
      - .offset:         140
        .size:           2
        .value_kind:     hidden_group_size_x
      - .offset:         142
        .size:           2
        .value_kind:     hidden_group_size_y
      - .offset:         144
        .size:           2
        .value_kind:     hidden_group_size_z
      - .offset:         146
        .size:           2
        .value_kind:     hidden_remainder_x
      - .offset:         148
        .size:           2
        .value_kind:     hidden_remainder_y
      - .offset:         150
        .size:           2
        .value_kind:     hidden_remainder_z
      - .offset:         168
        .size:           8
        .value_kind:     hidden_global_offset_x
      - .offset:         176
        .size:           8
        .value_kind:     hidden_global_offset_y
      - .offset:         184
        .size:           8
        .value_kind:     hidden_global_offset_z
      - .offset:         192
        .size:           2
        .value_kind:     hidden_grid_dims
      - .offset:         248
        .size:           4
        .value_kind:     hidden_dynamic_lds_size
    .group_segment_fixed_size: 96
    .kernarg_segment_align: 8
    .kernarg_segment_size: 384
    .language:       OpenCL C
    .language_version:
      - 2
      - 0
    .max_flat_workgroup_size: 1024
    .name:           _ZN4vllm25paged_attention_v1_kernelI14__hip_bfloat16hLi32ELi16ELi128ELNS_18Fp8KVCacheDataTypeE1ELb0EEEvPT_PKS3_PKT0_S9_ifPKiSB_iPKfiiiSD_SD_iiiii
    .private_segment_fixed_size: 0
    .sgpr_count:     33
    .sgpr_spill_count: 0
    .symbol:         _ZN4vllm25paged_attention_v1_kernelI14__hip_bfloat16hLi32ELi16ELi128ELNS_18Fp8KVCacheDataTypeE1ELb0EEEvPT_PKS3_PKT0_S9_ifPKiSB_iPKfiiiSD_SD_iiiii.kd
    .uniform_work_group_size: 1
    .uses_dynamic_stack: false
    .vgpr_count:     54
    .vgpr_spill_count: 0
    .wavefront_size: 32
  - .args:
      - .actual_access:  write_only
        .address_space:  global
        .offset:         0
        .size:           8
        .value_kind:     global_buffer
      - .actual_access:  read_only
        .address_space:  global
        .offset:         8
        .size:           8
        .value_kind:     global_buffer
      - .actual_access:  read_only
        .address_space:  global
        .offset:         16
        .size:           8
        .value_kind:     global_buffer
      - .actual_access:  read_only
        .address_space:  global
        .offset:         24
        .size:           8
        .value_kind:     global_buffer
      - .offset:         32
        .size:           4
        .value_kind:     by_value
      - .offset:         36
        .size:           4
        .value_kind:     by_value
      - .actual_access:  read_only
        .address_space:  global
        .offset:         40
        .size:           8
        .value_kind:     global_buffer
      - .actual_access:  read_only
        .address_space:  global
        .offset:         48
        .size:           8
        .value_kind:     global_buffer
      - .offset:         56
        .size:           4
        .value_kind:     by_value
      - .actual_access:  read_only
        .address_space:  global
        .offset:         64
        .size:           8
        .value_kind:     global_buffer
      - .offset:         72
        .size:           4
        .value_kind:     by_value
      - .offset:         76
        .size:           4
        .value_kind:     by_value
      - .offset:         80
        .size:           4
        .value_kind:     by_value
      - .address_space:  global
        .offset:         88
        .size:           8
        .value_kind:     global_buffer
      - .address_space:  global
        .offset:         96
        .size:           8
        .value_kind:     global_buffer
      - .offset:         104
        .size:           4
        .value_kind:     by_value
      - .offset:         108
        .size:           4
        .value_kind:     by_value
      - .offset:         112
        .size:           4
        .value_kind:     by_value
      - .offset:         116
        .size:           4
        .value_kind:     by_value
      - .offset:         120
        .size:           4
        .value_kind:     by_value
      - .offset:         128
        .size:           4
        .value_kind:     hidden_block_count_x
      - .offset:         132
        .size:           4
        .value_kind:     hidden_block_count_y
      - .offset:         136
        .size:           4
        .value_kind:     hidden_block_count_z
      - .offset:         140
        .size:           2
        .value_kind:     hidden_group_size_x
      - .offset:         142
        .size:           2
        .value_kind:     hidden_group_size_y
      - .offset:         144
        .size:           2
        .value_kind:     hidden_group_size_z
      - .offset:         146
        .size:           2
        .value_kind:     hidden_remainder_x
      - .offset:         148
        .size:           2
        .value_kind:     hidden_remainder_y
      - .offset:         150
        .size:           2
        .value_kind:     hidden_remainder_z
      - .offset:         168
        .size:           8
        .value_kind:     hidden_global_offset_x
      - .offset:         176
        .size:           8
        .value_kind:     hidden_global_offset_y
      - .offset:         184
        .size:           8
        .value_kind:     hidden_global_offset_z
      - .offset:         192
        .size:           2
        .value_kind:     hidden_grid_dims
      - .offset:         248
        .size:           4
        .value_kind:     hidden_dynamic_lds_size
    .group_segment_fixed_size: 160
    .kernarg_segment_align: 8
    .kernarg_segment_size: 384
    .language:       OpenCL C
    .language_version:
      - 2
      - 0
    .max_flat_workgroup_size: 1024
    .name:           _ZN4vllm25paged_attention_v1_kernelI14__hip_bfloat16hLi64ELi16ELi128ELNS_18Fp8KVCacheDataTypeE1ELb0EEEvPT_PKS3_PKT0_S9_ifPKiSB_iPKfiiiSD_SD_iiiii
    .private_segment_fixed_size: 0
    .sgpr_count:     33
    .sgpr_spill_count: 0
    .symbol:         _ZN4vllm25paged_attention_v1_kernelI14__hip_bfloat16hLi64ELi16ELi128ELNS_18Fp8KVCacheDataTypeE1ELb0EEEvPT_PKS3_PKT0_S9_ifPKiSB_iPKfiiiSD_SD_iiiii.kd
    .uniform_work_group_size: 1
    .uses_dynamic_stack: false
    .vgpr_count:     86
    .vgpr_spill_count: 0
    .wavefront_size: 32
  - .args:
      - .actual_access:  write_only
        .address_space:  global
        .offset:         0
        .size:           8
        .value_kind:     global_buffer
      - .actual_access:  read_only
        .address_space:  global
        .offset:         8
        .size:           8
        .value_kind:     global_buffer
      - .actual_access:  read_only
        .address_space:  global
        .offset:         16
        .size:           8
        .value_kind:     global_buffer
      - .actual_access:  read_only
        .address_space:  global
        .offset:         24
        .size:           8
        .value_kind:     global_buffer
      - .offset:         32
        .size:           4
        .value_kind:     by_value
      - .offset:         36
        .size:           4
        .value_kind:     by_value
      - .actual_access:  read_only
        .address_space:  global
        .offset:         40
        .size:           8
        .value_kind:     global_buffer
      - .actual_access:  read_only
        .address_space:  global
        .offset:         48
        .size:           8
        .value_kind:     global_buffer
      - .offset:         56
        .size:           4
        .value_kind:     by_value
      - .actual_access:  read_only
        .address_space:  global
        .offset:         64
        .size:           8
        .value_kind:     global_buffer
      - .offset:         72
        .size:           4
        .value_kind:     by_value
      - .offset:         76
        .size:           4
        .value_kind:     by_value
      - .offset:         80
        .size:           4
        .value_kind:     by_value
      - .address_space:  global
        .offset:         88
        .size:           8
        .value_kind:     global_buffer
      - .address_space:  global
        .offset:         96
        .size:           8
        .value_kind:     global_buffer
      - .offset:         104
        .size:           4
        .value_kind:     by_value
      - .offset:         108
        .size:           4
        .value_kind:     by_value
      - .offset:         112
        .size:           4
        .value_kind:     by_value
      - .offset:         116
        .size:           4
        .value_kind:     by_value
      - .offset:         120
        .size:           4
        .value_kind:     by_value
      - .offset:         128
        .size:           4
        .value_kind:     hidden_block_count_x
      - .offset:         132
        .size:           4
        .value_kind:     hidden_block_count_y
      - .offset:         136
        .size:           4
        .value_kind:     hidden_block_count_z
      - .offset:         140
        .size:           2
        .value_kind:     hidden_group_size_x
      - .offset:         142
        .size:           2
        .value_kind:     hidden_group_size_y
      - .offset:         144
        .size:           2
        .value_kind:     hidden_group_size_z
      - .offset:         146
        .size:           2
        .value_kind:     hidden_remainder_x
      - .offset:         148
        .size:           2
        .value_kind:     hidden_remainder_y
      - .offset:         150
        .size:           2
        .value_kind:     hidden_remainder_z
      - .offset:         168
        .size:           8
        .value_kind:     hidden_global_offset_x
      - .offset:         176
        .size:           8
        .value_kind:     hidden_global_offset_y
      - .offset:         184
        .size:           8
        .value_kind:     hidden_global_offset_z
      - .offset:         192
        .size:           2
        .value_kind:     hidden_grid_dims
      - .offset:         248
        .size:           4
        .value_kind:     hidden_dynamic_lds_size
    .group_segment_fixed_size: 192
    .kernarg_segment_align: 8
    .kernarg_segment_size: 384
    .language:       OpenCL C
    .language_version:
      - 2
      - 0
    .max_flat_workgroup_size: 1024
    .name:           _ZN4vllm25paged_attention_v1_kernelI14__hip_bfloat16hLi80ELi16ELi128ELNS_18Fp8KVCacheDataTypeE1ELb0EEEvPT_PKS3_PKT0_S9_ifPKiSB_iPKfiiiSD_SD_iiiii
    .private_segment_fixed_size: 0
    .sgpr_count:     33
    .sgpr_spill_count: 0
    .symbol:         _ZN4vllm25paged_attention_v1_kernelI14__hip_bfloat16hLi80ELi16ELi128ELNS_18Fp8KVCacheDataTypeE1ELb0EEEvPT_PKS3_PKT0_S9_ifPKiSB_iPKfiiiSD_SD_iiiii.kd
    .uniform_work_group_size: 1
    .uses_dynamic_stack: false
    .vgpr_count:     102
    .vgpr_spill_count: 0
    .wavefront_size: 32
  - .args:
      - .actual_access:  write_only
        .address_space:  global
        .offset:         0
        .size:           8
        .value_kind:     global_buffer
      - .actual_access:  read_only
        .address_space:  global
        .offset:         8
        .size:           8
        .value_kind:     global_buffer
      - .actual_access:  read_only
        .address_space:  global
        .offset:         16
        .size:           8
        .value_kind:     global_buffer
      - .actual_access:  read_only
        .address_space:  global
        .offset:         24
        .size:           8
        .value_kind:     global_buffer
      - .offset:         32
        .size:           4
        .value_kind:     by_value
      - .offset:         36
        .size:           4
        .value_kind:     by_value
      - .actual_access:  read_only
        .address_space:  global
        .offset:         40
        .size:           8
        .value_kind:     global_buffer
      - .actual_access:  read_only
        .address_space:  global
        .offset:         48
        .size:           8
        .value_kind:     global_buffer
      - .offset:         56
        .size:           4
        .value_kind:     by_value
      - .actual_access:  read_only
        .address_space:  global
        .offset:         64
        .size:           8
        .value_kind:     global_buffer
      - .offset:         72
        .size:           4
        .value_kind:     by_value
      - .offset:         76
        .size:           4
        .value_kind:     by_value
      - .offset:         80
        .size:           4
        .value_kind:     by_value
      - .address_space:  global
        .offset:         88
        .size:           8
        .value_kind:     global_buffer
      - .address_space:  global
        .offset:         96
        .size:           8
        .value_kind:     global_buffer
      - .offset:         104
        .size:           4
        .value_kind:     by_value
      - .offset:         108
        .size:           4
        .value_kind:     by_value
      - .offset:         112
        .size:           4
        .value_kind:     by_value
      - .offset:         116
        .size:           4
        .value_kind:     by_value
      - .offset:         120
        .size:           4
        .value_kind:     by_value
      - .offset:         128
        .size:           4
        .value_kind:     hidden_block_count_x
      - .offset:         132
        .size:           4
        .value_kind:     hidden_block_count_y
      - .offset:         136
        .size:           4
        .value_kind:     hidden_block_count_z
      - .offset:         140
        .size:           2
        .value_kind:     hidden_group_size_x
      - .offset:         142
        .size:           2
        .value_kind:     hidden_group_size_y
      - .offset:         144
        .size:           2
        .value_kind:     hidden_group_size_z
      - .offset:         146
        .size:           2
        .value_kind:     hidden_remainder_x
      - .offset:         148
        .size:           2
        .value_kind:     hidden_remainder_y
      - .offset:         150
        .size:           2
        .value_kind:     hidden_remainder_z
      - .offset:         168
        .size:           8
        .value_kind:     hidden_global_offset_x
      - .offset:         176
        .size:           8
        .value_kind:     hidden_global_offset_y
      - .offset:         184
        .size:           8
        .value_kind:     hidden_global_offset_z
      - .offset:         192
        .size:           2
        .value_kind:     hidden_grid_dims
      - .offset:         248
        .size:           4
        .value_kind:     hidden_dynamic_lds_size
    .group_segment_fixed_size: 224
    .kernarg_segment_align: 8
    .kernarg_segment_size: 384
    .language:       OpenCL C
    .language_version:
      - 2
      - 0
    .max_flat_workgroup_size: 1024
    .name:           _ZN4vllm25paged_attention_v1_kernelI14__hip_bfloat16hLi96ELi16ELi128ELNS_18Fp8KVCacheDataTypeE1ELb0EEEvPT_PKS3_PKT0_S9_ifPKiSB_iPKfiiiSD_SD_iiiii
    .private_segment_fixed_size: 0
    .sgpr_count:     33
    .sgpr_spill_count: 0
    .symbol:         _ZN4vllm25paged_attention_v1_kernelI14__hip_bfloat16hLi96ELi16ELi128ELNS_18Fp8KVCacheDataTypeE1ELb0EEEvPT_PKS3_PKT0_S9_ifPKiSB_iPKfiiiSD_SD_iiiii.kd
    .uniform_work_group_size: 1
    .uses_dynamic_stack: false
    .vgpr_count:     118
    .vgpr_spill_count: 0
    .wavefront_size: 32
  - .args:
      - .actual_access:  write_only
        .address_space:  global
        .offset:         0
        .size:           8
        .value_kind:     global_buffer
      - .actual_access:  read_only
        .address_space:  global
        .offset:         8
        .size:           8
        .value_kind:     global_buffer
      - .actual_access:  read_only
        .address_space:  global
        .offset:         16
        .size:           8
        .value_kind:     global_buffer
      - .actual_access:  read_only
        .address_space:  global
        .offset:         24
        .size:           8
        .value_kind:     global_buffer
      - .offset:         32
        .size:           4
        .value_kind:     by_value
      - .offset:         36
        .size:           4
        .value_kind:     by_value
      - .actual_access:  read_only
        .address_space:  global
        .offset:         40
        .size:           8
        .value_kind:     global_buffer
      - .actual_access:  read_only
        .address_space:  global
        .offset:         48
        .size:           8
        .value_kind:     global_buffer
      - .offset:         56
        .size:           4
        .value_kind:     by_value
      - .actual_access:  read_only
        .address_space:  global
        .offset:         64
        .size:           8
        .value_kind:     global_buffer
      - .offset:         72
        .size:           4
        .value_kind:     by_value
      - .offset:         76
        .size:           4
        .value_kind:     by_value
      - .offset:         80
        .size:           4
        .value_kind:     by_value
      - .address_space:  global
        .offset:         88
        .size:           8
        .value_kind:     global_buffer
      - .address_space:  global
        .offset:         96
        .size:           8
        .value_kind:     global_buffer
      - .offset:         104
        .size:           4
        .value_kind:     by_value
      - .offset:         108
        .size:           4
        .value_kind:     by_value
      - .offset:         112
        .size:           4
        .value_kind:     by_value
      - .offset:         116
        .size:           4
        .value_kind:     by_value
      - .offset:         120
        .size:           4
        .value_kind:     by_value
      - .offset:         128
        .size:           4
        .value_kind:     hidden_block_count_x
      - .offset:         132
        .size:           4
        .value_kind:     hidden_block_count_y
      - .offset:         136
        .size:           4
        .value_kind:     hidden_block_count_z
      - .offset:         140
        .size:           2
        .value_kind:     hidden_group_size_x
      - .offset:         142
        .size:           2
        .value_kind:     hidden_group_size_y
      - .offset:         144
        .size:           2
        .value_kind:     hidden_group_size_z
      - .offset:         146
        .size:           2
        .value_kind:     hidden_remainder_x
      - .offset:         148
        .size:           2
        .value_kind:     hidden_remainder_y
      - .offset:         150
        .size:           2
        .value_kind:     hidden_remainder_z
      - .offset:         168
        .size:           8
        .value_kind:     hidden_global_offset_x
      - .offset:         176
        .size:           8
        .value_kind:     hidden_global_offset_y
      - .offset:         184
        .size:           8
        .value_kind:     hidden_global_offset_z
      - .offset:         192
        .size:           2
        .value_kind:     hidden_grid_dims
      - .offset:         248
        .size:           4
        .value_kind:     hidden_dynamic_lds_size
    .group_segment_fixed_size: 256
    .kernarg_segment_align: 8
    .kernarg_segment_size: 384
    .language:       OpenCL C
    .language_version:
      - 2
      - 0
    .max_flat_workgroup_size: 1024
    .name:           _ZN4vllm25paged_attention_v1_kernelI14__hip_bfloat16hLi112ELi16ELi128ELNS_18Fp8KVCacheDataTypeE1ELb0EEEvPT_PKS3_PKT0_S9_ifPKiSB_iPKfiiiSD_SD_iiiii
    .private_segment_fixed_size: 28
    .sgpr_count:     33
    .sgpr_spill_count: 0
    .symbol:         _ZN4vllm25paged_attention_v1_kernelI14__hip_bfloat16hLi112ELi16ELi128ELNS_18Fp8KVCacheDataTypeE1ELb0EEEvPT_PKS3_PKT0_S9_ifPKiSB_iPKfiiiSD_SD_iiiii.kd
    .uniform_work_group_size: 1
    .uses_dynamic_stack: false
    .vgpr_count:     128
    .vgpr_spill_count: 6
    .wavefront_size: 32
  - .args:
      - .actual_access:  write_only
        .address_space:  global
        .offset:         0
        .size:           8
        .value_kind:     global_buffer
      - .actual_access:  read_only
        .address_space:  global
        .offset:         8
        .size:           8
        .value_kind:     global_buffer
      - .actual_access:  read_only
        .address_space:  global
        .offset:         16
        .size:           8
        .value_kind:     global_buffer
      - .actual_access:  read_only
        .address_space:  global
        .offset:         24
        .size:           8
        .value_kind:     global_buffer
      - .offset:         32
        .size:           4
        .value_kind:     by_value
      - .offset:         36
        .size:           4
        .value_kind:     by_value
      - .actual_access:  read_only
        .address_space:  global
        .offset:         40
        .size:           8
        .value_kind:     global_buffer
      - .actual_access:  read_only
        .address_space:  global
        .offset:         48
        .size:           8
        .value_kind:     global_buffer
      - .offset:         56
        .size:           4
        .value_kind:     by_value
      - .actual_access:  read_only
        .address_space:  global
        .offset:         64
        .size:           8
        .value_kind:     global_buffer
      - .offset:         72
        .size:           4
        .value_kind:     by_value
      - .offset:         76
        .size:           4
        .value_kind:     by_value
      - .offset:         80
        .size:           4
        .value_kind:     by_value
      - .address_space:  global
        .offset:         88
        .size:           8
        .value_kind:     global_buffer
      - .address_space:  global
        .offset:         96
        .size:           8
        .value_kind:     global_buffer
      - .offset:         104
        .size:           4
        .value_kind:     by_value
      - .offset:         108
        .size:           4
        .value_kind:     by_value
      - .offset:         112
        .size:           4
        .value_kind:     by_value
      - .offset:         116
        .size:           4
        .value_kind:     by_value
      - .offset:         120
        .size:           4
        .value_kind:     by_value
      - .offset:         128
        .size:           4
        .value_kind:     hidden_block_count_x
      - .offset:         132
        .size:           4
        .value_kind:     hidden_block_count_y
      - .offset:         136
        .size:           4
        .value_kind:     hidden_block_count_z
      - .offset:         140
        .size:           2
        .value_kind:     hidden_group_size_x
      - .offset:         142
        .size:           2
        .value_kind:     hidden_group_size_y
      - .offset:         144
        .size:           2
        .value_kind:     hidden_group_size_z
      - .offset:         146
        .size:           2
        .value_kind:     hidden_remainder_x
      - .offset:         148
        .size:           2
        .value_kind:     hidden_remainder_y
      - .offset:         150
        .size:           2
        .value_kind:     hidden_remainder_z
      - .offset:         168
        .size:           8
        .value_kind:     hidden_global_offset_x
      - .offset:         176
        .size:           8
        .value_kind:     hidden_global_offset_y
      - .offset:         184
        .size:           8
        .value_kind:     hidden_global_offset_z
      - .offset:         192
        .size:           2
        .value_kind:     hidden_grid_dims
      - .offset:         248
        .size:           4
        .value_kind:     hidden_dynamic_lds_size
    .group_segment_fixed_size: 272
    .kernarg_segment_align: 8
    .kernarg_segment_size: 384
    .language:       OpenCL C
    .language_version:
      - 2
      - 0
    .max_flat_workgroup_size: 1024
    .name:           _ZN4vllm25paged_attention_v1_kernelI14__hip_bfloat16hLi120ELi16ELi128ELNS_18Fp8KVCacheDataTypeE1ELb0EEEvPT_PKS3_PKT0_S9_ifPKiSB_iPKfiiiSD_SD_iiiii
    .private_segment_fixed_size: 52
    .sgpr_count:     33
    .sgpr_spill_count: 0
    .symbol:         _ZN4vllm25paged_attention_v1_kernelI14__hip_bfloat16hLi120ELi16ELi128ELNS_18Fp8KVCacheDataTypeE1ELb0EEEvPT_PKS3_PKT0_S9_ifPKiSB_iPKfiiiSD_SD_iiiii.kd
    .uniform_work_group_size: 1
    .uses_dynamic_stack: false
    .vgpr_count:     128
    .vgpr_spill_count: 12
    .wavefront_size: 32
  - .args:
      - .actual_access:  write_only
        .address_space:  global
        .offset:         0
        .size:           8
        .value_kind:     global_buffer
      - .actual_access:  read_only
        .address_space:  global
        .offset:         8
        .size:           8
        .value_kind:     global_buffer
      - .actual_access:  read_only
        .address_space:  global
        .offset:         16
        .size:           8
        .value_kind:     global_buffer
      - .actual_access:  read_only
        .address_space:  global
        .offset:         24
        .size:           8
        .value_kind:     global_buffer
      - .offset:         32
        .size:           4
        .value_kind:     by_value
      - .offset:         36
        .size:           4
        .value_kind:     by_value
      - .actual_access:  read_only
        .address_space:  global
        .offset:         40
        .size:           8
        .value_kind:     global_buffer
      - .actual_access:  read_only
        .address_space:  global
        .offset:         48
        .size:           8
        .value_kind:     global_buffer
      - .offset:         56
        .size:           4
        .value_kind:     by_value
      - .actual_access:  read_only
        .address_space:  global
        .offset:         64
        .size:           8
        .value_kind:     global_buffer
      - .offset:         72
        .size:           4
        .value_kind:     by_value
      - .offset:         76
        .size:           4
        .value_kind:     by_value
      - .offset:         80
        .size:           4
        .value_kind:     by_value
      - .address_space:  global
        .offset:         88
        .size:           8
        .value_kind:     global_buffer
      - .address_space:  global
        .offset:         96
        .size:           8
        .value_kind:     global_buffer
      - .offset:         104
        .size:           4
        .value_kind:     by_value
      - .offset:         108
        .size:           4
        .value_kind:     by_value
      - .offset:         112
        .size:           4
        .value_kind:     by_value
      - .offset:         116
        .size:           4
        .value_kind:     by_value
      - .offset:         120
        .size:           4
        .value_kind:     by_value
      - .offset:         128
        .size:           4
        .value_kind:     hidden_block_count_x
      - .offset:         132
        .size:           4
        .value_kind:     hidden_block_count_y
      - .offset:         136
        .size:           4
        .value_kind:     hidden_block_count_z
      - .offset:         140
        .size:           2
        .value_kind:     hidden_group_size_x
      - .offset:         142
        .size:           2
        .value_kind:     hidden_group_size_y
      - .offset:         144
        .size:           2
        .value_kind:     hidden_group_size_z
      - .offset:         146
        .size:           2
        .value_kind:     hidden_remainder_x
      - .offset:         148
        .size:           2
        .value_kind:     hidden_remainder_y
      - .offset:         150
        .size:           2
        .value_kind:     hidden_remainder_z
      - .offset:         168
        .size:           8
        .value_kind:     hidden_global_offset_x
      - .offset:         176
        .size:           8
        .value_kind:     hidden_global_offset_y
      - .offset:         184
        .size:           8
        .value_kind:     hidden_global_offset_z
      - .offset:         192
        .size:           2
        .value_kind:     hidden_grid_dims
      - .offset:         248
        .size:           4
        .value_kind:     hidden_dynamic_lds_size
    .group_segment_fixed_size: 288
    .kernarg_segment_align: 8
    .kernarg_segment_size: 384
    .language:       OpenCL C
    .language_version:
      - 2
      - 0
    .max_flat_workgroup_size: 1024
    .name:           _ZN4vllm25paged_attention_v1_kernelI14__hip_bfloat16hLi128ELi16ELi128ELNS_18Fp8KVCacheDataTypeE1ELb0EEEvPT_PKS3_PKT0_S9_ifPKiSB_iPKfiiiSD_SD_iiiii
    .private_segment_fixed_size: 92
    .sgpr_count:     34
    .sgpr_spill_count: 0
    .symbol:         _ZN4vllm25paged_attention_v1_kernelI14__hip_bfloat16hLi128ELi16ELi128ELNS_18Fp8KVCacheDataTypeE1ELb0EEEvPT_PKS3_PKT0_S9_ifPKiSB_iPKfiiiSD_SD_iiiii.kd
    .uniform_work_group_size: 1
    .uses_dynamic_stack: false
    .vgpr_count:     128
    .vgpr_spill_count: 22
    .wavefront_size: 32
  - .args:
      - .address_space:  global
        .offset:         0
        .size:           8
        .value_kind:     global_buffer
      - .address_space:  global
        .offset:         8
        .size:           8
        .value_kind:     global_buffer
      - .address_space:  global
        .offset:         16
        .size:           8
        .value_kind:     global_buffer
      - .address_space:  global
        .offset:         24
        .size:           8
        .value_kind:     global_buffer
      - .offset:         32
        .size:           4
        .value_kind:     by_value
      - .offset:         36
        .size:           4
        .value_kind:     by_value
      - .address_space:  global
        .offset:         40
        .size:           8
        .value_kind:     global_buffer
      - .address_space:  global
        .offset:         48
        .size:           8
        .value_kind:     global_buffer
      - .offset:         56
        .size:           4
        .value_kind:     by_value
      - .address_space:  global
        .offset:         64
        .size:           8
        .value_kind:     global_buffer
      - .offset:         72
        .size:           4
        .value_kind:     by_value
      - .offset:         76
        .size:           4
        .value_kind:     by_value
      - .offset:         80
        .size:           4
        .value_kind:     by_value
      - .address_space:  global
        .offset:         88
        .size:           8
        .value_kind:     global_buffer
      - .address_space:  global
        .offset:         96
        .size:           8
        .value_kind:     global_buffer
      - .offset:         104
        .size:           4
        .value_kind:     by_value
      - .offset:         108
        .size:           4
        .value_kind:     by_value
      - .offset:         112
        .size:           4
        .value_kind:     by_value
      - .offset:         116
        .size:           4
        .value_kind:     by_value
      - .offset:         120
        .size:           4
        .value_kind:     by_value
      - .offset:         128
        .size:           4
        .value_kind:     hidden_block_count_x
      - .offset:         132
        .size:           4
        .value_kind:     hidden_block_count_y
      - .offset:         136
        .size:           4
        .value_kind:     hidden_block_count_z
      - .offset:         140
        .size:           2
        .value_kind:     hidden_group_size_x
      - .offset:         142
        .size:           2
        .value_kind:     hidden_group_size_y
      - .offset:         144
        .size:           2
        .value_kind:     hidden_group_size_z
      - .offset:         146
        .size:           2
        .value_kind:     hidden_remainder_x
      - .offset:         148
        .size:           2
        .value_kind:     hidden_remainder_y
      - .offset:         150
        .size:           2
        .value_kind:     hidden_remainder_z
      - .offset:         168
        .size:           8
        .value_kind:     hidden_global_offset_x
      - .offset:         176
        .size:           8
        .value_kind:     hidden_global_offset_y
      - .offset:         184
        .size:           8
        .value_kind:     hidden_global_offset_z
      - .offset:         192
        .size:           2
        .value_kind:     hidden_grid_dims
      - .offset:         248
        .size:           4
        .value_kind:     hidden_dynamic_lds_size
    .group_segment_fixed_size: 416
    .kernarg_segment_align: 8
    .kernarg_segment_size: 384
    .language:       OpenCL C
    .language_version:
      - 2
      - 0
    .max_flat_workgroup_size: 1024
    .name:           _ZN4vllm25paged_attention_v1_kernelI14__hip_bfloat16hLi192ELi16ELi128ELNS_18Fp8KVCacheDataTypeE1ELb0EEEvPT_PKS3_PKT0_S9_ifPKiSB_iPKfiiiSD_SD_iiiii
    .private_segment_fixed_size: 648
    .sgpr_count:     35
    .sgpr_spill_count: 0
    .symbol:         _ZN4vllm25paged_attention_v1_kernelI14__hip_bfloat16hLi192ELi16ELi128ELNS_18Fp8KVCacheDataTypeE1ELb0EEEvPT_PKS3_PKT0_S9_ifPKiSB_iPKfiiiSD_SD_iiiii.kd
    .uniform_work_group_size: 1
    .uses_dynamic_stack: false
    .vgpr_count:     128
    .vgpr_spill_count: 0
    .wavefront_size: 32
  - .args:
      - .address_space:  global
        .offset:         0
        .size:           8
        .value_kind:     global_buffer
      - .address_space:  global
        .offset:         8
        .size:           8
        .value_kind:     global_buffer
      - .address_space:  global
        .offset:         16
        .size:           8
        .value_kind:     global_buffer
      - .address_space:  global
        .offset:         24
        .size:           8
        .value_kind:     global_buffer
      - .offset:         32
        .size:           4
        .value_kind:     by_value
      - .offset:         36
        .size:           4
        .value_kind:     by_value
      - .address_space:  global
        .offset:         40
        .size:           8
        .value_kind:     global_buffer
      - .address_space:  global
        .offset:         48
        .size:           8
        .value_kind:     global_buffer
      - .offset:         56
        .size:           4
        .value_kind:     by_value
      - .address_space:  global
        .offset:         64
        .size:           8
        .value_kind:     global_buffer
      - .offset:         72
        .size:           4
        .value_kind:     by_value
      - .offset:         76
        .size:           4
        .value_kind:     by_value
      - .offset:         80
        .size:           4
        .value_kind:     by_value
      - .address_space:  global
        .offset:         88
        .size:           8
        .value_kind:     global_buffer
      - .address_space:  global
        .offset:         96
        .size:           8
        .value_kind:     global_buffer
      - .offset:         104
        .size:           4
        .value_kind:     by_value
      - .offset:         108
        .size:           4
        .value_kind:     by_value
      - .offset:         112
        .size:           4
        .value_kind:     by_value
      - .offset:         116
        .size:           4
        .value_kind:     by_value
      - .offset:         120
        .size:           4
        .value_kind:     by_value
      - .offset:         128
        .size:           4
        .value_kind:     hidden_block_count_x
      - .offset:         132
        .size:           4
        .value_kind:     hidden_block_count_y
      - .offset:         136
        .size:           4
        .value_kind:     hidden_block_count_z
      - .offset:         140
        .size:           2
        .value_kind:     hidden_group_size_x
      - .offset:         142
        .size:           2
        .value_kind:     hidden_group_size_y
      - .offset:         144
        .size:           2
        .value_kind:     hidden_group_size_z
      - .offset:         146
        .size:           2
        .value_kind:     hidden_remainder_x
      - .offset:         148
        .size:           2
        .value_kind:     hidden_remainder_y
      - .offset:         150
        .size:           2
        .value_kind:     hidden_remainder_z
      - .offset:         168
        .size:           8
        .value_kind:     hidden_global_offset_x
      - .offset:         176
        .size:           8
        .value_kind:     hidden_global_offset_y
      - .offset:         184
        .size:           8
        .value_kind:     hidden_global_offset_z
      - .offset:         192
        .size:           2
        .value_kind:     hidden_grid_dims
      - .offset:         248
        .size:           4
        .value_kind:     hidden_dynamic_lds_size
    .group_segment_fixed_size: 544
    .kernarg_segment_align: 8
    .kernarg_segment_size: 384
    .language:       OpenCL C
    .language_version:
      - 2
      - 0
    .max_flat_workgroup_size: 1024
    .name:           _ZN4vllm25paged_attention_v1_kernelI14__hip_bfloat16hLi256ELi16ELi128ELNS_18Fp8KVCacheDataTypeE1ELb0EEEvPT_PKS3_PKT0_S9_ifPKiSB_iPKfiiiSD_SD_iiiii
    .private_segment_fixed_size: 916
    .sgpr_count:     35
    .sgpr_spill_count: 0
    .symbol:         _ZN4vllm25paged_attention_v1_kernelI14__hip_bfloat16hLi256ELi16ELi128ELNS_18Fp8KVCacheDataTypeE1ELb0EEEvPT_PKS3_PKT0_S9_ifPKiSB_iPKfiiiSD_SD_iiiii.kd
    .uniform_work_group_size: 1
    .uses_dynamic_stack: false
    .vgpr_count:     128
    .vgpr_spill_count: 0
    .wavefront_size: 32
  - .args:
      - .actual_access:  write_only
        .address_space:  global
        .offset:         0
        .size:           8
        .value_kind:     global_buffer
      - .actual_access:  read_only
        .address_space:  global
        .offset:         8
        .size:           8
        .value_kind:     global_buffer
      - .actual_access:  read_only
        .address_space:  global
        .offset:         16
        .size:           8
        .value_kind:     global_buffer
      - .actual_access:  read_only
        .address_space:  global
        .offset:         24
        .size:           8
        .value_kind:     global_buffer
      - .offset:         32
        .size:           4
        .value_kind:     by_value
      - .offset:         36
        .size:           4
        .value_kind:     by_value
      - .actual_access:  read_only
        .address_space:  global
        .offset:         40
        .size:           8
        .value_kind:     global_buffer
      - .actual_access:  read_only
        .address_space:  global
        .offset:         48
        .size:           8
        .value_kind:     global_buffer
      - .offset:         56
        .size:           4
        .value_kind:     by_value
      - .actual_access:  read_only
        .address_space:  global
        .offset:         64
        .size:           8
        .value_kind:     global_buffer
      - .offset:         72
        .size:           4
        .value_kind:     by_value
      - .offset:         76
        .size:           4
        .value_kind:     by_value
      - .offset:         80
        .size:           4
        .value_kind:     by_value
      - .address_space:  global
        .offset:         88
        .size:           8
        .value_kind:     global_buffer
      - .address_space:  global
        .offset:         96
        .size:           8
        .value_kind:     global_buffer
      - .offset:         104
        .size:           4
        .value_kind:     by_value
      - .offset:         108
        .size:           4
        .value_kind:     by_value
      - .offset:         112
        .size:           4
        .value_kind:     by_value
      - .offset:         116
        .size:           4
        .value_kind:     by_value
      - .offset:         120
        .size:           4
        .value_kind:     by_value
      - .offset:         128
        .size:           4
        .value_kind:     hidden_block_count_x
      - .offset:         132
        .size:           4
        .value_kind:     hidden_block_count_y
      - .offset:         136
        .size:           4
        .value_kind:     hidden_block_count_z
      - .offset:         140
        .size:           2
        .value_kind:     hidden_group_size_x
      - .offset:         142
        .size:           2
        .value_kind:     hidden_group_size_y
      - .offset:         144
        .size:           2
        .value_kind:     hidden_group_size_z
      - .offset:         146
        .size:           2
        .value_kind:     hidden_remainder_x
      - .offset:         148
        .size:           2
        .value_kind:     hidden_remainder_y
      - .offset:         150
        .size:           2
        .value_kind:     hidden_remainder_z
      - .offset:         168
        .size:           8
        .value_kind:     hidden_global_offset_x
      - .offset:         176
        .size:           8
        .value_kind:     hidden_global_offset_y
      - .offset:         184
        .size:           8
        .value_kind:     hidden_global_offset_z
      - .offset:         192
        .size:           2
        .value_kind:     hidden_grid_dims
      - .offset:         248
        .size:           4
        .value_kind:     hidden_dynamic_lds_size
    .group_segment_fixed_size: 96
    .kernarg_segment_align: 8
    .kernarg_segment_size: 384
    .language:       OpenCL C
    .language_version:
      - 2
      - 0
    .max_flat_workgroup_size: 1024
    .name:           _ZN4vllm25paged_attention_v1_kernelI14__hip_bfloat16hLi32ELi32ELi128ELNS_18Fp8KVCacheDataTypeE1ELb1EEEvPT_PKS3_PKT0_S9_ifPKiSB_iPKfiiiSD_SD_iiiii
    .private_segment_fixed_size: 0
    .sgpr_count:     49
    .sgpr_spill_count: 0
    .symbol:         _ZN4vllm25paged_attention_v1_kernelI14__hip_bfloat16hLi32ELi32ELi128ELNS_18Fp8KVCacheDataTypeE1ELb1EEEvPT_PKS3_PKT0_S9_ifPKiSB_iPKfiiiSD_SD_iiiii.kd
    .uniform_work_group_size: 1
    .uses_dynamic_stack: false
    .vgpr_count:     88
    .vgpr_spill_count: 0
    .wavefront_size: 32
  - .args:
      - .actual_access:  write_only
        .address_space:  global
        .offset:         0
        .size:           8
        .value_kind:     global_buffer
      - .actual_access:  read_only
        .address_space:  global
        .offset:         8
        .size:           8
        .value_kind:     global_buffer
      - .actual_access:  read_only
        .address_space:  global
        .offset:         16
        .size:           8
        .value_kind:     global_buffer
      - .actual_access:  read_only
        .address_space:  global
        .offset:         24
        .size:           8
        .value_kind:     global_buffer
      - .offset:         32
        .size:           4
        .value_kind:     by_value
      - .offset:         36
        .size:           4
        .value_kind:     by_value
      - .actual_access:  read_only
        .address_space:  global
        .offset:         40
        .size:           8
        .value_kind:     global_buffer
      - .actual_access:  read_only
        .address_space:  global
        .offset:         48
        .size:           8
        .value_kind:     global_buffer
      - .offset:         56
        .size:           4
        .value_kind:     by_value
      - .actual_access:  read_only
        .address_space:  global
        .offset:         64
        .size:           8
        .value_kind:     global_buffer
      - .offset:         72
        .size:           4
        .value_kind:     by_value
      - .offset:         76
        .size:           4
        .value_kind:     by_value
      - .offset:         80
        .size:           4
        .value_kind:     by_value
      - .address_space:  global
        .offset:         88
        .size:           8
        .value_kind:     global_buffer
      - .address_space:  global
        .offset:         96
        .size:           8
        .value_kind:     global_buffer
      - .offset:         104
        .size:           4
        .value_kind:     by_value
      - .offset:         108
        .size:           4
        .value_kind:     by_value
      - .offset:         112
        .size:           4
        .value_kind:     by_value
      - .offset:         116
        .size:           4
        .value_kind:     by_value
      - .offset:         120
        .size:           4
        .value_kind:     by_value
      - .offset:         128
        .size:           4
        .value_kind:     hidden_block_count_x
      - .offset:         132
        .size:           4
        .value_kind:     hidden_block_count_y
      - .offset:         136
        .size:           4
        .value_kind:     hidden_block_count_z
      - .offset:         140
        .size:           2
        .value_kind:     hidden_group_size_x
      - .offset:         142
        .size:           2
        .value_kind:     hidden_group_size_y
      - .offset:         144
        .size:           2
        .value_kind:     hidden_group_size_z
      - .offset:         146
        .size:           2
        .value_kind:     hidden_remainder_x
      - .offset:         148
        .size:           2
        .value_kind:     hidden_remainder_y
      - .offset:         150
        .size:           2
        .value_kind:     hidden_remainder_z
      - .offset:         168
        .size:           8
        .value_kind:     hidden_global_offset_x
      - .offset:         176
        .size:           8
        .value_kind:     hidden_global_offset_y
      - .offset:         184
        .size:           8
        .value_kind:     hidden_global_offset_z
      - .offset:         192
        .size:           2
        .value_kind:     hidden_grid_dims
      - .offset:         248
        .size:           4
        .value_kind:     hidden_dynamic_lds_size
    .group_segment_fixed_size: 160
    .kernarg_segment_align: 8
    .kernarg_segment_size: 384
    .language:       OpenCL C
    .language_version:
      - 2
      - 0
    .max_flat_workgroup_size: 1024
    .name:           _ZN4vllm25paged_attention_v1_kernelI14__hip_bfloat16hLi64ELi32ELi128ELNS_18Fp8KVCacheDataTypeE1ELb1EEEvPT_PKS3_PKT0_S9_ifPKiSB_iPKfiiiSD_SD_iiiii
    .private_segment_fixed_size: 100
    .sgpr_count:     49
    .sgpr_spill_count: 0
    .symbol:         _ZN4vllm25paged_attention_v1_kernelI14__hip_bfloat16hLi64ELi32ELi128ELNS_18Fp8KVCacheDataTypeE1ELb1EEEvPT_PKS3_PKT0_S9_ifPKiSB_iPKfiiiSD_SD_iiiii.kd
    .uniform_work_group_size: 1
    .uses_dynamic_stack: false
    .vgpr_count:     128
    .vgpr_spill_count: 24
    .wavefront_size: 32
  - .args:
      - .actual_access:  write_only
        .address_space:  global
        .offset:         0
        .size:           8
        .value_kind:     global_buffer
      - .actual_access:  read_only
        .address_space:  global
        .offset:         8
        .size:           8
        .value_kind:     global_buffer
      - .actual_access:  read_only
        .address_space:  global
        .offset:         16
        .size:           8
        .value_kind:     global_buffer
      - .actual_access:  read_only
        .address_space:  global
        .offset:         24
        .size:           8
        .value_kind:     global_buffer
      - .offset:         32
        .size:           4
        .value_kind:     by_value
      - .offset:         36
        .size:           4
        .value_kind:     by_value
      - .actual_access:  read_only
        .address_space:  global
        .offset:         40
        .size:           8
        .value_kind:     global_buffer
      - .actual_access:  read_only
        .address_space:  global
        .offset:         48
        .size:           8
        .value_kind:     global_buffer
      - .offset:         56
        .size:           4
        .value_kind:     by_value
      - .actual_access:  read_only
        .address_space:  global
        .offset:         64
        .size:           8
        .value_kind:     global_buffer
      - .offset:         72
        .size:           4
        .value_kind:     by_value
      - .offset:         76
        .size:           4
        .value_kind:     by_value
      - .offset:         80
        .size:           4
        .value_kind:     by_value
      - .address_space:  global
        .offset:         88
        .size:           8
        .value_kind:     global_buffer
      - .address_space:  global
        .offset:         96
        .size:           8
        .value_kind:     global_buffer
      - .offset:         104
        .size:           4
        .value_kind:     by_value
      - .offset:         108
        .size:           4
        .value_kind:     by_value
      - .offset:         112
        .size:           4
        .value_kind:     by_value
      - .offset:         116
        .size:           4
        .value_kind:     by_value
      - .offset:         120
        .size:           4
        .value_kind:     by_value
      - .offset:         128
        .size:           4
        .value_kind:     hidden_block_count_x
      - .offset:         132
        .size:           4
        .value_kind:     hidden_block_count_y
      - .offset:         136
        .size:           4
        .value_kind:     hidden_block_count_z
      - .offset:         140
        .size:           2
        .value_kind:     hidden_group_size_x
      - .offset:         142
        .size:           2
        .value_kind:     hidden_group_size_y
      - .offset:         144
        .size:           2
        .value_kind:     hidden_group_size_z
      - .offset:         146
        .size:           2
        .value_kind:     hidden_remainder_x
      - .offset:         148
        .size:           2
        .value_kind:     hidden_remainder_y
      - .offset:         150
        .size:           2
        .value_kind:     hidden_remainder_z
      - .offset:         168
        .size:           8
        .value_kind:     hidden_global_offset_x
      - .offset:         176
        .size:           8
        .value_kind:     hidden_global_offset_y
      - .offset:         184
        .size:           8
        .value_kind:     hidden_global_offset_z
      - .offset:         192
        .size:           2
        .value_kind:     hidden_grid_dims
      - .offset:         248
        .size:           4
        .value_kind:     hidden_dynamic_lds_size
    .group_segment_fixed_size: 192
    .kernarg_segment_align: 8
    .kernarg_segment_size: 384
    .language:       OpenCL C
    .language_version:
      - 2
      - 0
    .max_flat_workgroup_size: 1024
    .name:           _ZN4vllm25paged_attention_v1_kernelI14__hip_bfloat16hLi80ELi32ELi128ELNS_18Fp8KVCacheDataTypeE1ELb1EEEvPT_PKS3_PKT0_S9_ifPKiSB_iPKfiiiSD_SD_iiiii
    .private_segment_fixed_size: 228
    .sgpr_count:     49
    .sgpr_spill_count: 0
    .symbol:         _ZN4vllm25paged_attention_v1_kernelI14__hip_bfloat16hLi80ELi32ELi128ELNS_18Fp8KVCacheDataTypeE1ELb1EEEvPT_PKS3_PKT0_S9_ifPKiSB_iPKfiiiSD_SD_iiiii.kd
    .uniform_work_group_size: 1
    .uses_dynamic_stack: false
    .vgpr_count:     128
    .vgpr_spill_count: 56
    .wavefront_size: 32
  - .args:
      - .address_space:  global
        .offset:         0
        .size:           8
        .value_kind:     global_buffer
      - .address_space:  global
        .offset:         8
        .size:           8
        .value_kind:     global_buffer
      - .address_space:  global
        .offset:         16
        .size:           8
        .value_kind:     global_buffer
      - .address_space:  global
        .offset:         24
        .size:           8
        .value_kind:     global_buffer
      - .offset:         32
        .size:           4
        .value_kind:     by_value
      - .offset:         36
        .size:           4
        .value_kind:     by_value
      - .address_space:  global
        .offset:         40
        .size:           8
        .value_kind:     global_buffer
      - .address_space:  global
        .offset:         48
        .size:           8
        .value_kind:     global_buffer
      - .offset:         56
        .size:           4
        .value_kind:     by_value
      - .address_space:  global
        .offset:         64
        .size:           8
        .value_kind:     global_buffer
      - .offset:         72
        .size:           4
        .value_kind:     by_value
      - .offset:         76
        .size:           4
        .value_kind:     by_value
      - .offset:         80
        .size:           4
        .value_kind:     by_value
      - .address_space:  global
        .offset:         88
        .size:           8
        .value_kind:     global_buffer
      - .address_space:  global
        .offset:         96
        .size:           8
        .value_kind:     global_buffer
      - .offset:         104
        .size:           4
        .value_kind:     by_value
      - .offset:         108
        .size:           4
        .value_kind:     by_value
      - .offset:         112
        .size:           4
        .value_kind:     by_value
      - .offset:         116
        .size:           4
        .value_kind:     by_value
      - .offset:         120
        .size:           4
        .value_kind:     by_value
      - .offset:         128
        .size:           4
        .value_kind:     hidden_block_count_x
      - .offset:         132
        .size:           4
        .value_kind:     hidden_block_count_y
      - .offset:         136
        .size:           4
        .value_kind:     hidden_block_count_z
      - .offset:         140
        .size:           2
        .value_kind:     hidden_group_size_x
      - .offset:         142
        .size:           2
        .value_kind:     hidden_group_size_y
      - .offset:         144
        .size:           2
        .value_kind:     hidden_group_size_z
      - .offset:         146
        .size:           2
        .value_kind:     hidden_remainder_x
      - .offset:         148
        .size:           2
        .value_kind:     hidden_remainder_y
      - .offset:         150
        .size:           2
        .value_kind:     hidden_remainder_z
      - .offset:         168
        .size:           8
        .value_kind:     hidden_global_offset_x
      - .offset:         176
        .size:           8
        .value_kind:     hidden_global_offset_y
      - .offset:         184
        .size:           8
        .value_kind:     hidden_global_offset_z
      - .offset:         192
        .size:           2
        .value_kind:     hidden_grid_dims
      - .offset:         248
        .size:           4
        .value_kind:     hidden_dynamic_lds_size
    .group_segment_fixed_size: 224
    .kernarg_segment_align: 8
    .kernarg_segment_size: 384
    .language:       OpenCL C
    .language_version:
      - 2
      - 0
    .max_flat_workgroup_size: 1024
    .name:           _ZN4vllm25paged_attention_v1_kernelI14__hip_bfloat16hLi96ELi32ELi128ELNS_18Fp8KVCacheDataTypeE1ELb1EEEvPT_PKS3_PKT0_S9_ifPKiSB_iPKfiiiSD_SD_iiiii
    .private_segment_fixed_size: 700
    .sgpr_count:     41
    .sgpr_spill_count: 0
    .symbol:         _ZN4vllm25paged_attention_v1_kernelI14__hip_bfloat16hLi96ELi32ELi128ELNS_18Fp8KVCacheDataTypeE1ELb1EEEvPT_PKS3_PKT0_S9_ifPKiSB_iPKfiiiSD_SD_iiiii.kd
    .uniform_work_group_size: 1
    .uses_dynamic_stack: false
    .vgpr_count:     128
    .vgpr_spill_count: 0
    .wavefront_size: 32
  - .args:
      - .address_space:  global
        .offset:         0
        .size:           8
        .value_kind:     global_buffer
      - .address_space:  global
        .offset:         8
        .size:           8
        .value_kind:     global_buffer
      - .address_space:  global
        .offset:         16
        .size:           8
        .value_kind:     global_buffer
      - .address_space:  global
        .offset:         24
        .size:           8
        .value_kind:     global_buffer
      - .offset:         32
        .size:           4
        .value_kind:     by_value
      - .offset:         36
        .size:           4
        .value_kind:     by_value
      - .address_space:  global
        .offset:         40
        .size:           8
        .value_kind:     global_buffer
      - .address_space:  global
        .offset:         48
        .size:           8
        .value_kind:     global_buffer
      - .offset:         56
        .size:           4
        .value_kind:     by_value
      - .address_space:  global
        .offset:         64
        .size:           8
        .value_kind:     global_buffer
      - .offset:         72
        .size:           4
        .value_kind:     by_value
      - .offset:         76
        .size:           4
        .value_kind:     by_value
      - .offset:         80
        .size:           4
        .value_kind:     by_value
      - .address_space:  global
        .offset:         88
        .size:           8
        .value_kind:     global_buffer
      - .address_space:  global
        .offset:         96
        .size:           8
        .value_kind:     global_buffer
      - .offset:         104
        .size:           4
        .value_kind:     by_value
      - .offset:         108
        .size:           4
        .value_kind:     by_value
      - .offset:         112
        .size:           4
        .value_kind:     by_value
      - .offset:         116
        .size:           4
        .value_kind:     by_value
      - .offset:         120
        .size:           4
        .value_kind:     by_value
      - .offset:         128
        .size:           4
        .value_kind:     hidden_block_count_x
      - .offset:         132
        .size:           4
        .value_kind:     hidden_block_count_y
      - .offset:         136
        .size:           4
        .value_kind:     hidden_block_count_z
      - .offset:         140
        .size:           2
        .value_kind:     hidden_group_size_x
      - .offset:         142
        .size:           2
        .value_kind:     hidden_group_size_y
      - .offset:         144
        .size:           2
        .value_kind:     hidden_group_size_z
      - .offset:         146
        .size:           2
        .value_kind:     hidden_remainder_x
      - .offset:         148
        .size:           2
        .value_kind:     hidden_remainder_y
      - .offset:         150
        .size:           2
        .value_kind:     hidden_remainder_z
      - .offset:         168
        .size:           8
        .value_kind:     hidden_global_offset_x
      - .offset:         176
        .size:           8
        .value_kind:     hidden_global_offset_y
      - .offset:         184
        .size:           8
        .value_kind:     hidden_global_offset_z
      - .offset:         192
        .size:           2
        .value_kind:     hidden_grid_dims
      - .offset:         248
        .size:           4
        .value_kind:     hidden_dynamic_lds_size
    .group_segment_fixed_size: 256
    .kernarg_segment_align: 8
    .kernarg_segment_size: 384
    .language:       OpenCL C
    .language_version:
      - 2
      - 0
    .max_flat_workgroup_size: 1024
    .name:           _ZN4vllm25paged_attention_v1_kernelI14__hip_bfloat16hLi112ELi32ELi128ELNS_18Fp8KVCacheDataTypeE1ELb1EEEvPT_PKS3_PKT0_S9_ifPKiSB_iPKfiiiSD_SD_iiiii
    .private_segment_fixed_size: 824
    .sgpr_count:     41
    .sgpr_spill_count: 0
    .symbol:         _ZN4vllm25paged_attention_v1_kernelI14__hip_bfloat16hLi112ELi32ELi128ELNS_18Fp8KVCacheDataTypeE1ELb1EEEvPT_PKS3_PKT0_S9_ifPKiSB_iPKfiiiSD_SD_iiiii.kd
    .uniform_work_group_size: 1
    .uses_dynamic_stack: false
    .vgpr_count:     128
    .vgpr_spill_count: 0
    .wavefront_size: 32
  - .args:
      - .address_space:  global
        .offset:         0
        .size:           8
        .value_kind:     global_buffer
      - .address_space:  global
        .offset:         8
        .size:           8
        .value_kind:     global_buffer
      - .address_space:  global
        .offset:         16
        .size:           8
        .value_kind:     global_buffer
      - .address_space:  global
        .offset:         24
        .size:           8
        .value_kind:     global_buffer
      - .offset:         32
        .size:           4
        .value_kind:     by_value
      - .offset:         36
        .size:           4
        .value_kind:     by_value
      - .address_space:  global
        .offset:         40
        .size:           8
        .value_kind:     global_buffer
      - .address_space:  global
        .offset:         48
        .size:           8
        .value_kind:     global_buffer
      - .offset:         56
        .size:           4
        .value_kind:     by_value
      - .address_space:  global
        .offset:         64
        .size:           8
        .value_kind:     global_buffer
      - .offset:         72
        .size:           4
        .value_kind:     by_value
      - .offset:         76
        .size:           4
        .value_kind:     by_value
      - .offset:         80
        .size:           4
        .value_kind:     by_value
      - .address_space:  global
        .offset:         88
        .size:           8
        .value_kind:     global_buffer
      - .address_space:  global
        .offset:         96
        .size:           8
        .value_kind:     global_buffer
      - .offset:         104
        .size:           4
        .value_kind:     by_value
      - .offset:         108
        .size:           4
        .value_kind:     by_value
      - .offset:         112
        .size:           4
        .value_kind:     by_value
      - .offset:         116
        .size:           4
        .value_kind:     by_value
      - .offset:         120
        .size:           4
        .value_kind:     by_value
      - .offset:         128
        .size:           4
        .value_kind:     hidden_block_count_x
      - .offset:         132
        .size:           4
        .value_kind:     hidden_block_count_y
      - .offset:         136
        .size:           4
        .value_kind:     hidden_block_count_z
      - .offset:         140
        .size:           2
        .value_kind:     hidden_group_size_x
      - .offset:         142
        .size:           2
        .value_kind:     hidden_group_size_y
      - .offset:         144
        .size:           2
        .value_kind:     hidden_group_size_z
      - .offset:         146
        .size:           2
        .value_kind:     hidden_remainder_x
      - .offset:         148
        .size:           2
        .value_kind:     hidden_remainder_y
      - .offset:         150
        .size:           2
        .value_kind:     hidden_remainder_z
      - .offset:         168
        .size:           8
        .value_kind:     hidden_global_offset_x
      - .offset:         176
        .size:           8
        .value_kind:     hidden_global_offset_y
      - .offset:         184
        .size:           8
        .value_kind:     hidden_global_offset_z
      - .offset:         192
        .size:           2
        .value_kind:     hidden_grid_dims
      - .offset:         248
        .size:           4
        .value_kind:     hidden_dynamic_lds_size
    .group_segment_fixed_size: 272
    .kernarg_segment_align: 8
    .kernarg_segment_size: 384
    .language:       OpenCL C
    .language_version:
      - 2
      - 0
    .max_flat_workgroup_size: 1024
    .name:           _ZN4vllm25paged_attention_v1_kernelI14__hip_bfloat16hLi120ELi32ELi128ELNS_18Fp8KVCacheDataTypeE1ELb1EEEvPT_PKS3_PKT0_S9_ifPKiSB_iPKfiiiSD_SD_iiiii
    .private_segment_fixed_size: 936
    .sgpr_count:     41
    .sgpr_spill_count: 0
    .symbol:         _ZN4vllm25paged_attention_v1_kernelI14__hip_bfloat16hLi120ELi32ELi128ELNS_18Fp8KVCacheDataTypeE1ELb1EEEvPT_PKS3_PKT0_S9_ifPKiSB_iPKfiiiSD_SD_iiiii.kd
    .uniform_work_group_size: 1
    .uses_dynamic_stack: false
    .vgpr_count:     128
    .vgpr_spill_count: 0
    .wavefront_size: 32
  - .args:
      - .address_space:  global
        .offset:         0
        .size:           8
        .value_kind:     global_buffer
      - .address_space:  global
        .offset:         8
        .size:           8
        .value_kind:     global_buffer
      - .address_space:  global
        .offset:         16
        .size:           8
        .value_kind:     global_buffer
      - .address_space:  global
        .offset:         24
        .size:           8
        .value_kind:     global_buffer
      - .offset:         32
        .size:           4
        .value_kind:     by_value
      - .offset:         36
        .size:           4
        .value_kind:     by_value
      - .address_space:  global
        .offset:         40
        .size:           8
        .value_kind:     global_buffer
      - .address_space:  global
        .offset:         48
        .size:           8
        .value_kind:     global_buffer
      - .offset:         56
        .size:           4
        .value_kind:     by_value
      - .address_space:  global
        .offset:         64
        .size:           8
        .value_kind:     global_buffer
      - .offset:         72
        .size:           4
        .value_kind:     by_value
      - .offset:         76
        .size:           4
        .value_kind:     by_value
      - .offset:         80
        .size:           4
        .value_kind:     by_value
      - .address_space:  global
        .offset:         88
        .size:           8
        .value_kind:     global_buffer
      - .address_space:  global
        .offset:         96
        .size:           8
        .value_kind:     global_buffer
      - .offset:         104
        .size:           4
        .value_kind:     by_value
      - .offset:         108
        .size:           4
        .value_kind:     by_value
      - .offset:         112
        .size:           4
        .value_kind:     by_value
      - .offset:         116
        .size:           4
        .value_kind:     by_value
      - .offset:         120
        .size:           4
        .value_kind:     by_value
      - .offset:         128
        .size:           4
        .value_kind:     hidden_block_count_x
      - .offset:         132
        .size:           4
        .value_kind:     hidden_block_count_y
      - .offset:         136
        .size:           4
        .value_kind:     hidden_block_count_z
      - .offset:         140
        .size:           2
        .value_kind:     hidden_group_size_x
      - .offset:         142
        .size:           2
        .value_kind:     hidden_group_size_y
      - .offset:         144
        .size:           2
        .value_kind:     hidden_group_size_z
      - .offset:         146
        .size:           2
        .value_kind:     hidden_remainder_x
      - .offset:         148
        .size:           2
        .value_kind:     hidden_remainder_y
      - .offset:         150
        .size:           2
        .value_kind:     hidden_remainder_z
      - .offset:         168
        .size:           8
        .value_kind:     hidden_global_offset_x
      - .offset:         176
        .size:           8
        .value_kind:     hidden_global_offset_y
      - .offset:         184
        .size:           8
        .value_kind:     hidden_global_offset_z
      - .offset:         192
        .size:           2
        .value_kind:     hidden_grid_dims
      - .offset:         248
        .size:           4
        .value_kind:     hidden_dynamic_lds_size
    .group_segment_fixed_size: 288
    .kernarg_segment_align: 8
    .kernarg_segment_size: 384
    .language:       OpenCL C
    .language_version:
      - 2
      - 0
    .max_flat_workgroup_size: 1024
    .name:           _ZN4vllm25paged_attention_v1_kernelI14__hip_bfloat16hLi128ELi32ELi128ELNS_18Fp8KVCacheDataTypeE1ELb1EEEvPT_PKS3_PKT0_S9_ifPKiSB_iPKfiiiSD_SD_iiiii
    .private_segment_fixed_size: 1024
    .sgpr_count:     41
    .sgpr_spill_count: 0
    .symbol:         _ZN4vllm25paged_attention_v1_kernelI14__hip_bfloat16hLi128ELi32ELi128ELNS_18Fp8KVCacheDataTypeE1ELb1EEEvPT_PKS3_PKT0_S9_ifPKiSB_iPKfiiiSD_SD_iiiii.kd
    .uniform_work_group_size: 1
    .uses_dynamic_stack: false
    .vgpr_count:     128
    .vgpr_spill_count: 0
    .wavefront_size: 32
  - .args:
      - .address_space:  global
        .offset:         0
        .size:           8
        .value_kind:     global_buffer
      - .address_space:  global
        .offset:         8
        .size:           8
        .value_kind:     global_buffer
      - .address_space:  global
        .offset:         16
        .size:           8
        .value_kind:     global_buffer
      - .address_space:  global
        .offset:         24
        .size:           8
        .value_kind:     global_buffer
      - .offset:         32
        .size:           4
        .value_kind:     by_value
      - .offset:         36
        .size:           4
        .value_kind:     by_value
      - .address_space:  global
        .offset:         40
        .size:           8
        .value_kind:     global_buffer
      - .address_space:  global
        .offset:         48
        .size:           8
        .value_kind:     global_buffer
      - .offset:         56
        .size:           4
        .value_kind:     by_value
      - .address_space:  global
        .offset:         64
        .size:           8
        .value_kind:     global_buffer
      - .offset:         72
        .size:           4
        .value_kind:     by_value
      - .offset:         76
        .size:           4
        .value_kind:     by_value
      - .offset:         80
        .size:           4
        .value_kind:     by_value
      - .address_space:  global
        .offset:         88
        .size:           8
        .value_kind:     global_buffer
      - .address_space:  global
        .offset:         96
        .size:           8
        .value_kind:     global_buffer
      - .offset:         104
        .size:           4
        .value_kind:     by_value
      - .offset:         108
        .size:           4
        .value_kind:     by_value
      - .offset:         112
        .size:           4
        .value_kind:     by_value
      - .offset:         116
        .size:           4
        .value_kind:     by_value
      - .offset:         120
        .size:           4
        .value_kind:     by_value
      - .offset:         128
        .size:           4
        .value_kind:     hidden_block_count_x
      - .offset:         132
        .size:           4
        .value_kind:     hidden_block_count_y
      - .offset:         136
        .size:           4
        .value_kind:     hidden_block_count_z
      - .offset:         140
        .size:           2
        .value_kind:     hidden_group_size_x
      - .offset:         142
        .size:           2
        .value_kind:     hidden_group_size_y
      - .offset:         144
        .size:           2
        .value_kind:     hidden_group_size_z
      - .offset:         146
        .size:           2
        .value_kind:     hidden_remainder_x
      - .offset:         148
        .size:           2
        .value_kind:     hidden_remainder_y
      - .offset:         150
        .size:           2
        .value_kind:     hidden_remainder_z
      - .offset:         168
        .size:           8
        .value_kind:     hidden_global_offset_x
      - .offset:         176
        .size:           8
        .value_kind:     hidden_global_offset_y
      - .offset:         184
        .size:           8
        .value_kind:     hidden_global_offset_z
      - .offset:         192
        .size:           2
        .value_kind:     hidden_grid_dims
      - .offset:         248
        .size:           4
        .value_kind:     hidden_dynamic_lds_size
    .group_segment_fixed_size: 416
    .kernarg_segment_align: 8
    .kernarg_segment_size: 384
    .language:       OpenCL C
    .language_version:
      - 2
      - 0
    .max_flat_workgroup_size: 1024
    .name:           _ZN4vllm25paged_attention_v1_kernelI14__hip_bfloat16hLi192ELi32ELi128ELNS_18Fp8KVCacheDataTypeE1ELb1EEEvPT_PKS3_PKT0_S9_ifPKiSB_iPKfiiiSD_SD_iiiii
    .private_segment_fixed_size: 1720
    .sgpr_count:     41
    .sgpr_spill_count: 0
    .symbol:         _ZN4vllm25paged_attention_v1_kernelI14__hip_bfloat16hLi192ELi32ELi128ELNS_18Fp8KVCacheDataTypeE1ELb1EEEvPT_PKS3_PKT0_S9_ifPKiSB_iPKfiiiSD_SD_iiiii.kd
    .uniform_work_group_size: 1
    .uses_dynamic_stack: false
    .vgpr_count:     128
    .vgpr_spill_count: 0
    .wavefront_size: 32
  - .args:
      - .address_space:  global
        .offset:         0
        .size:           8
        .value_kind:     global_buffer
      - .address_space:  global
        .offset:         8
        .size:           8
        .value_kind:     global_buffer
      - .address_space:  global
        .offset:         16
        .size:           8
        .value_kind:     global_buffer
      - .address_space:  global
        .offset:         24
        .size:           8
        .value_kind:     global_buffer
      - .offset:         32
        .size:           4
        .value_kind:     by_value
      - .offset:         36
        .size:           4
        .value_kind:     by_value
      - .address_space:  global
        .offset:         40
        .size:           8
        .value_kind:     global_buffer
      - .address_space:  global
        .offset:         48
        .size:           8
        .value_kind:     global_buffer
      - .offset:         56
        .size:           4
        .value_kind:     by_value
      - .address_space:  global
        .offset:         64
        .size:           8
        .value_kind:     global_buffer
      - .offset:         72
        .size:           4
        .value_kind:     by_value
      - .offset:         76
        .size:           4
        .value_kind:     by_value
      - .offset:         80
        .size:           4
        .value_kind:     by_value
      - .address_space:  global
        .offset:         88
        .size:           8
        .value_kind:     global_buffer
      - .address_space:  global
        .offset:         96
        .size:           8
        .value_kind:     global_buffer
      - .offset:         104
        .size:           4
        .value_kind:     by_value
      - .offset:         108
        .size:           4
        .value_kind:     by_value
      - .offset:         112
        .size:           4
        .value_kind:     by_value
      - .offset:         116
        .size:           4
        .value_kind:     by_value
      - .offset:         120
        .size:           4
        .value_kind:     by_value
      - .offset:         128
        .size:           4
        .value_kind:     hidden_block_count_x
      - .offset:         132
        .size:           4
        .value_kind:     hidden_block_count_y
      - .offset:         136
        .size:           4
        .value_kind:     hidden_block_count_z
      - .offset:         140
        .size:           2
        .value_kind:     hidden_group_size_x
      - .offset:         142
        .size:           2
        .value_kind:     hidden_group_size_y
      - .offset:         144
        .size:           2
        .value_kind:     hidden_group_size_z
      - .offset:         146
        .size:           2
        .value_kind:     hidden_remainder_x
      - .offset:         148
        .size:           2
        .value_kind:     hidden_remainder_y
      - .offset:         150
        .size:           2
        .value_kind:     hidden_remainder_z
      - .offset:         168
        .size:           8
        .value_kind:     hidden_global_offset_x
      - .offset:         176
        .size:           8
        .value_kind:     hidden_global_offset_y
      - .offset:         184
        .size:           8
        .value_kind:     hidden_global_offset_z
      - .offset:         192
        .size:           2
        .value_kind:     hidden_grid_dims
      - .offset:         248
        .size:           4
        .value_kind:     hidden_dynamic_lds_size
    .group_segment_fixed_size: 544
    .kernarg_segment_align: 8
    .kernarg_segment_size: 384
    .language:       OpenCL C
    .language_version:
      - 2
      - 0
    .max_flat_workgroup_size: 1024
    .name:           _ZN4vllm25paged_attention_v1_kernelI14__hip_bfloat16hLi256ELi32ELi128ELNS_18Fp8KVCacheDataTypeE1ELb1EEEvPT_PKS3_PKT0_S9_ifPKiSB_iPKfiiiSD_SD_iiiii
    .private_segment_fixed_size: 2376
    .sgpr_count:     41
    .sgpr_spill_count: 0
    .symbol:         _ZN4vllm25paged_attention_v1_kernelI14__hip_bfloat16hLi256ELi32ELi128ELNS_18Fp8KVCacheDataTypeE1ELb1EEEvPT_PKS3_PKT0_S9_ifPKiSB_iPKfiiiSD_SD_iiiii.kd
    .uniform_work_group_size: 1
    .uses_dynamic_stack: false
    .vgpr_count:     128
    .vgpr_spill_count: 0
    .wavefront_size: 32
  - .args:
      - .actual_access:  write_only
        .address_space:  global
        .offset:         0
        .size:           8
        .value_kind:     global_buffer
      - .actual_access:  read_only
        .address_space:  global
        .offset:         8
        .size:           8
        .value_kind:     global_buffer
      - .actual_access:  read_only
        .address_space:  global
        .offset:         16
        .size:           8
        .value_kind:     global_buffer
      - .actual_access:  read_only
        .address_space:  global
        .offset:         24
        .size:           8
        .value_kind:     global_buffer
      - .offset:         32
        .size:           4
        .value_kind:     by_value
      - .offset:         36
        .size:           4
        .value_kind:     by_value
      - .actual_access:  read_only
        .address_space:  global
        .offset:         40
        .size:           8
        .value_kind:     global_buffer
      - .actual_access:  read_only
        .address_space:  global
        .offset:         48
        .size:           8
        .value_kind:     global_buffer
      - .offset:         56
        .size:           4
        .value_kind:     by_value
      - .actual_access:  read_only
        .address_space:  global
        .offset:         64
        .size:           8
        .value_kind:     global_buffer
      - .offset:         72
        .size:           4
        .value_kind:     by_value
      - .offset:         76
        .size:           4
        .value_kind:     by_value
      - .offset:         80
        .size:           4
        .value_kind:     by_value
      - .address_space:  global
        .offset:         88
        .size:           8
        .value_kind:     global_buffer
      - .address_space:  global
        .offset:         96
        .size:           8
        .value_kind:     global_buffer
      - .offset:         104
        .size:           4
        .value_kind:     by_value
      - .offset:         108
        .size:           4
        .value_kind:     by_value
      - .offset:         112
        .size:           4
        .value_kind:     by_value
      - .offset:         116
        .size:           4
        .value_kind:     by_value
      - .offset:         120
        .size:           4
        .value_kind:     by_value
      - .offset:         128
        .size:           4
        .value_kind:     hidden_block_count_x
      - .offset:         132
        .size:           4
        .value_kind:     hidden_block_count_y
      - .offset:         136
        .size:           4
        .value_kind:     hidden_block_count_z
      - .offset:         140
        .size:           2
        .value_kind:     hidden_group_size_x
      - .offset:         142
        .size:           2
        .value_kind:     hidden_group_size_y
      - .offset:         144
        .size:           2
        .value_kind:     hidden_group_size_z
      - .offset:         146
        .size:           2
        .value_kind:     hidden_remainder_x
      - .offset:         148
        .size:           2
        .value_kind:     hidden_remainder_y
      - .offset:         150
        .size:           2
        .value_kind:     hidden_remainder_z
      - .offset:         168
        .size:           8
        .value_kind:     hidden_global_offset_x
      - .offset:         176
        .size:           8
        .value_kind:     hidden_global_offset_y
      - .offset:         184
        .size:           8
        .value_kind:     hidden_global_offset_z
      - .offset:         192
        .size:           2
        .value_kind:     hidden_grid_dims
      - .offset:         248
        .size:           4
        .value_kind:     hidden_dynamic_lds_size
    .group_segment_fixed_size: 96
    .kernarg_segment_align: 8
    .kernarg_segment_size: 384
    .language:       OpenCL C
    .language_version:
      - 2
      - 0
    .max_flat_workgroup_size: 1024
    .name:           _ZN4vllm25paged_attention_v1_kernelI14__hip_bfloat16hLi32ELi32ELi128ELNS_18Fp8KVCacheDataTypeE1ELb0EEEvPT_PKS3_PKT0_S9_ifPKiSB_iPKfiiiSD_SD_iiiii
    .private_segment_fixed_size: 0
    .sgpr_count:     36
    .sgpr_spill_count: 0
    .symbol:         _ZN4vllm25paged_attention_v1_kernelI14__hip_bfloat16hLi32ELi32ELi128ELNS_18Fp8KVCacheDataTypeE1ELb0EEEvPT_PKS3_PKT0_S9_ifPKiSB_iPKfiiiSD_SD_iiiii.kd
    .uniform_work_group_size: 1
    .uses_dynamic_stack: false
    .vgpr_count:     84
    .vgpr_spill_count: 0
    .wavefront_size: 32
  - .args:
      - .actual_access:  write_only
        .address_space:  global
        .offset:         0
        .size:           8
        .value_kind:     global_buffer
      - .actual_access:  read_only
        .address_space:  global
        .offset:         8
        .size:           8
        .value_kind:     global_buffer
      - .actual_access:  read_only
        .address_space:  global
        .offset:         16
        .size:           8
        .value_kind:     global_buffer
      - .actual_access:  read_only
        .address_space:  global
        .offset:         24
        .size:           8
        .value_kind:     global_buffer
      - .offset:         32
        .size:           4
        .value_kind:     by_value
      - .offset:         36
        .size:           4
        .value_kind:     by_value
      - .actual_access:  read_only
        .address_space:  global
        .offset:         40
        .size:           8
        .value_kind:     global_buffer
      - .actual_access:  read_only
        .address_space:  global
        .offset:         48
        .size:           8
        .value_kind:     global_buffer
      - .offset:         56
        .size:           4
        .value_kind:     by_value
      - .actual_access:  read_only
        .address_space:  global
        .offset:         64
        .size:           8
        .value_kind:     global_buffer
      - .offset:         72
        .size:           4
        .value_kind:     by_value
      - .offset:         76
        .size:           4
        .value_kind:     by_value
      - .offset:         80
        .size:           4
        .value_kind:     by_value
      - .address_space:  global
        .offset:         88
        .size:           8
        .value_kind:     global_buffer
      - .address_space:  global
        .offset:         96
        .size:           8
        .value_kind:     global_buffer
      - .offset:         104
        .size:           4
        .value_kind:     by_value
      - .offset:         108
        .size:           4
        .value_kind:     by_value
      - .offset:         112
        .size:           4
        .value_kind:     by_value
      - .offset:         116
        .size:           4
        .value_kind:     by_value
      - .offset:         120
        .size:           4
        .value_kind:     by_value
      - .offset:         128
        .size:           4
        .value_kind:     hidden_block_count_x
      - .offset:         132
        .size:           4
        .value_kind:     hidden_block_count_y
      - .offset:         136
        .size:           4
        .value_kind:     hidden_block_count_z
      - .offset:         140
        .size:           2
        .value_kind:     hidden_group_size_x
      - .offset:         142
        .size:           2
        .value_kind:     hidden_group_size_y
      - .offset:         144
        .size:           2
        .value_kind:     hidden_group_size_z
      - .offset:         146
        .size:           2
        .value_kind:     hidden_remainder_x
      - .offset:         148
        .size:           2
        .value_kind:     hidden_remainder_y
      - .offset:         150
        .size:           2
        .value_kind:     hidden_remainder_z
      - .offset:         168
        .size:           8
        .value_kind:     hidden_global_offset_x
      - .offset:         176
        .size:           8
        .value_kind:     hidden_global_offset_y
      - .offset:         184
        .size:           8
        .value_kind:     hidden_global_offset_z
      - .offset:         192
        .size:           2
        .value_kind:     hidden_grid_dims
      - .offset:         248
        .size:           4
        .value_kind:     hidden_dynamic_lds_size
    .group_segment_fixed_size: 160
    .kernarg_segment_align: 8
    .kernarg_segment_size: 384
    .language:       OpenCL C
    .language_version:
      - 2
      - 0
    .max_flat_workgroup_size: 1024
    .name:           _ZN4vllm25paged_attention_v1_kernelI14__hip_bfloat16hLi64ELi32ELi128ELNS_18Fp8KVCacheDataTypeE1ELb0EEEvPT_PKS3_PKT0_S9_ifPKiSB_iPKfiiiSD_SD_iiiii
    .private_segment_fixed_size: 80
    .sgpr_count:     36
    .sgpr_spill_count: 0
    .symbol:         _ZN4vllm25paged_attention_v1_kernelI14__hip_bfloat16hLi64ELi32ELi128ELNS_18Fp8KVCacheDataTypeE1ELb0EEEvPT_PKS3_PKT0_S9_ifPKiSB_iPKfiiiSD_SD_iiiii.kd
    .uniform_work_group_size: 1
    .uses_dynamic_stack: false
    .vgpr_count:     128
    .vgpr_spill_count: 19
    .wavefront_size: 32
  - .args:
      - .actual_access:  write_only
        .address_space:  global
        .offset:         0
        .size:           8
        .value_kind:     global_buffer
      - .actual_access:  read_only
        .address_space:  global
        .offset:         8
        .size:           8
        .value_kind:     global_buffer
      - .actual_access:  read_only
        .address_space:  global
        .offset:         16
        .size:           8
        .value_kind:     global_buffer
      - .actual_access:  read_only
        .address_space:  global
        .offset:         24
        .size:           8
        .value_kind:     global_buffer
      - .offset:         32
        .size:           4
        .value_kind:     by_value
      - .offset:         36
        .size:           4
        .value_kind:     by_value
      - .actual_access:  read_only
        .address_space:  global
        .offset:         40
        .size:           8
        .value_kind:     global_buffer
      - .actual_access:  read_only
        .address_space:  global
        .offset:         48
        .size:           8
        .value_kind:     global_buffer
      - .offset:         56
        .size:           4
        .value_kind:     by_value
      - .actual_access:  read_only
        .address_space:  global
        .offset:         64
        .size:           8
        .value_kind:     global_buffer
      - .offset:         72
        .size:           4
        .value_kind:     by_value
      - .offset:         76
        .size:           4
        .value_kind:     by_value
      - .offset:         80
        .size:           4
        .value_kind:     by_value
      - .address_space:  global
        .offset:         88
        .size:           8
        .value_kind:     global_buffer
      - .address_space:  global
        .offset:         96
        .size:           8
        .value_kind:     global_buffer
      - .offset:         104
        .size:           4
        .value_kind:     by_value
      - .offset:         108
        .size:           4
        .value_kind:     by_value
      - .offset:         112
        .size:           4
        .value_kind:     by_value
      - .offset:         116
        .size:           4
        .value_kind:     by_value
      - .offset:         120
        .size:           4
        .value_kind:     by_value
      - .offset:         128
        .size:           4
        .value_kind:     hidden_block_count_x
      - .offset:         132
        .size:           4
        .value_kind:     hidden_block_count_y
      - .offset:         136
        .size:           4
        .value_kind:     hidden_block_count_z
      - .offset:         140
        .size:           2
        .value_kind:     hidden_group_size_x
      - .offset:         142
        .size:           2
        .value_kind:     hidden_group_size_y
      - .offset:         144
        .size:           2
        .value_kind:     hidden_group_size_z
      - .offset:         146
        .size:           2
        .value_kind:     hidden_remainder_x
      - .offset:         148
        .size:           2
        .value_kind:     hidden_remainder_y
      - .offset:         150
        .size:           2
        .value_kind:     hidden_remainder_z
      - .offset:         168
        .size:           8
        .value_kind:     hidden_global_offset_x
      - .offset:         176
        .size:           8
        .value_kind:     hidden_global_offset_y
      - .offset:         184
        .size:           8
        .value_kind:     hidden_global_offset_z
      - .offset:         192
        .size:           2
        .value_kind:     hidden_grid_dims
      - .offset:         248
        .size:           4
        .value_kind:     hidden_dynamic_lds_size
    .group_segment_fixed_size: 192
    .kernarg_segment_align: 8
    .kernarg_segment_size: 384
    .language:       OpenCL C
    .language_version:
      - 2
      - 0
    .max_flat_workgroup_size: 1024
    .name:           _ZN4vllm25paged_attention_v1_kernelI14__hip_bfloat16hLi80ELi32ELi128ELNS_18Fp8KVCacheDataTypeE1ELb0EEEvPT_PKS3_PKT0_S9_ifPKiSB_iPKfiiiSD_SD_iiiii
    .private_segment_fixed_size: 240
    .sgpr_count:     36
    .sgpr_spill_count: 0
    .symbol:         _ZN4vllm25paged_attention_v1_kernelI14__hip_bfloat16hLi80ELi32ELi128ELNS_18Fp8KVCacheDataTypeE1ELb0EEEvPT_PKS3_PKT0_S9_ifPKiSB_iPKfiiiSD_SD_iiiii.kd
    .uniform_work_group_size: 1
    .uses_dynamic_stack: false
    .vgpr_count:     128
    .vgpr_spill_count: 59
    .wavefront_size: 32
  - .args:
      - .address_space:  global
        .offset:         0
        .size:           8
        .value_kind:     global_buffer
      - .address_space:  global
        .offset:         8
        .size:           8
        .value_kind:     global_buffer
      - .address_space:  global
        .offset:         16
        .size:           8
        .value_kind:     global_buffer
      - .address_space:  global
        .offset:         24
        .size:           8
        .value_kind:     global_buffer
      - .offset:         32
        .size:           4
        .value_kind:     by_value
      - .offset:         36
        .size:           4
        .value_kind:     by_value
      - .address_space:  global
        .offset:         40
        .size:           8
        .value_kind:     global_buffer
      - .address_space:  global
        .offset:         48
        .size:           8
        .value_kind:     global_buffer
      - .offset:         56
        .size:           4
        .value_kind:     by_value
      - .address_space:  global
        .offset:         64
        .size:           8
        .value_kind:     global_buffer
      - .offset:         72
        .size:           4
        .value_kind:     by_value
      - .offset:         76
        .size:           4
        .value_kind:     by_value
      - .offset:         80
        .size:           4
        .value_kind:     by_value
      - .address_space:  global
        .offset:         88
        .size:           8
        .value_kind:     global_buffer
      - .address_space:  global
        .offset:         96
        .size:           8
        .value_kind:     global_buffer
      - .offset:         104
        .size:           4
        .value_kind:     by_value
      - .offset:         108
        .size:           4
        .value_kind:     by_value
      - .offset:         112
        .size:           4
        .value_kind:     by_value
      - .offset:         116
        .size:           4
        .value_kind:     by_value
      - .offset:         120
        .size:           4
        .value_kind:     by_value
      - .offset:         128
        .size:           4
        .value_kind:     hidden_block_count_x
      - .offset:         132
        .size:           4
        .value_kind:     hidden_block_count_y
      - .offset:         136
        .size:           4
        .value_kind:     hidden_block_count_z
      - .offset:         140
        .size:           2
        .value_kind:     hidden_group_size_x
      - .offset:         142
        .size:           2
        .value_kind:     hidden_group_size_y
      - .offset:         144
        .size:           2
        .value_kind:     hidden_group_size_z
      - .offset:         146
        .size:           2
        .value_kind:     hidden_remainder_x
      - .offset:         148
        .size:           2
        .value_kind:     hidden_remainder_y
      - .offset:         150
        .size:           2
        .value_kind:     hidden_remainder_z
      - .offset:         168
        .size:           8
        .value_kind:     hidden_global_offset_x
      - .offset:         176
        .size:           8
        .value_kind:     hidden_global_offset_y
      - .offset:         184
        .size:           8
        .value_kind:     hidden_global_offset_z
      - .offset:         192
        .size:           2
        .value_kind:     hidden_grid_dims
      - .offset:         248
        .size:           4
        .value_kind:     hidden_dynamic_lds_size
    .group_segment_fixed_size: 224
    .kernarg_segment_align: 8
    .kernarg_segment_size: 384
    .language:       OpenCL C
    .language_version:
      - 2
      - 0
    .max_flat_workgroup_size: 1024
    .name:           _ZN4vllm25paged_attention_v1_kernelI14__hip_bfloat16hLi96ELi32ELi128ELNS_18Fp8KVCacheDataTypeE1ELb0EEEvPT_PKS3_PKT0_S9_ifPKiSB_iPKfiiiSD_SD_iiiii
    .private_segment_fixed_size: 644
    .sgpr_count:     35
    .sgpr_spill_count: 0
    .symbol:         _ZN4vllm25paged_attention_v1_kernelI14__hip_bfloat16hLi96ELi32ELi128ELNS_18Fp8KVCacheDataTypeE1ELb0EEEvPT_PKS3_PKT0_S9_ifPKiSB_iPKfiiiSD_SD_iiiii.kd
    .uniform_work_group_size: 1
    .uses_dynamic_stack: false
    .vgpr_count:     128
    .vgpr_spill_count: 0
    .wavefront_size: 32
  - .args:
      - .address_space:  global
        .offset:         0
        .size:           8
        .value_kind:     global_buffer
      - .address_space:  global
        .offset:         8
        .size:           8
        .value_kind:     global_buffer
      - .address_space:  global
        .offset:         16
        .size:           8
        .value_kind:     global_buffer
      - .address_space:  global
        .offset:         24
        .size:           8
        .value_kind:     global_buffer
      - .offset:         32
        .size:           4
        .value_kind:     by_value
      - .offset:         36
        .size:           4
        .value_kind:     by_value
      - .address_space:  global
        .offset:         40
        .size:           8
        .value_kind:     global_buffer
      - .address_space:  global
        .offset:         48
        .size:           8
        .value_kind:     global_buffer
      - .offset:         56
        .size:           4
        .value_kind:     by_value
      - .address_space:  global
        .offset:         64
        .size:           8
        .value_kind:     global_buffer
      - .offset:         72
        .size:           4
        .value_kind:     by_value
      - .offset:         76
        .size:           4
        .value_kind:     by_value
      - .offset:         80
        .size:           4
        .value_kind:     by_value
      - .address_space:  global
        .offset:         88
        .size:           8
        .value_kind:     global_buffer
      - .address_space:  global
        .offset:         96
        .size:           8
        .value_kind:     global_buffer
      - .offset:         104
        .size:           4
        .value_kind:     by_value
      - .offset:         108
        .size:           4
        .value_kind:     by_value
      - .offset:         112
        .size:           4
        .value_kind:     by_value
      - .offset:         116
        .size:           4
        .value_kind:     by_value
      - .offset:         120
        .size:           4
        .value_kind:     by_value
      - .offset:         128
        .size:           4
        .value_kind:     hidden_block_count_x
      - .offset:         132
        .size:           4
        .value_kind:     hidden_block_count_y
      - .offset:         136
        .size:           4
        .value_kind:     hidden_block_count_z
      - .offset:         140
        .size:           2
        .value_kind:     hidden_group_size_x
      - .offset:         142
        .size:           2
        .value_kind:     hidden_group_size_y
      - .offset:         144
        .size:           2
        .value_kind:     hidden_group_size_z
      - .offset:         146
        .size:           2
        .value_kind:     hidden_remainder_x
      - .offset:         148
        .size:           2
        .value_kind:     hidden_remainder_y
      - .offset:         150
        .size:           2
        .value_kind:     hidden_remainder_z
      - .offset:         168
        .size:           8
        .value_kind:     hidden_global_offset_x
      - .offset:         176
        .size:           8
        .value_kind:     hidden_global_offset_y
      - .offset:         184
        .size:           8
        .value_kind:     hidden_global_offset_z
      - .offset:         192
        .size:           2
        .value_kind:     hidden_grid_dims
      - .offset:         248
        .size:           4
        .value_kind:     hidden_dynamic_lds_size
    .group_segment_fixed_size: 256
    .kernarg_segment_align: 8
    .kernarg_segment_size: 384
    .language:       OpenCL C
    .language_version:
      - 2
      - 0
    .max_flat_workgroup_size: 1024
    .name:           _ZN4vllm25paged_attention_v1_kernelI14__hip_bfloat16hLi112ELi32ELi128ELNS_18Fp8KVCacheDataTypeE1ELb0EEEvPT_PKS3_PKT0_S9_ifPKiSB_iPKfiiiSD_SD_iiiii
    .private_segment_fixed_size: 772
    .sgpr_count:     35
    .sgpr_spill_count: 0
    .symbol:         _ZN4vllm25paged_attention_v1_kernelI14__hip_bfloat16hLi112ELi32ELi128ELNS_18Fp8KVCacheDataTypeE1ELb0EEEvPT_PKS3_PKT0_S9_ifPKiSB_iPKfiiiSD_SD_iiiii.kd
    .uniform_work_group_size: 1
    .uses_dynamic_stack: false
    .vgpr_count:     128
    .vgpr_spill_count: 0
    .wavefront_size: 32
  - .args:
      - .address_space:  global
        .offset:         0
        .size:           8
        .value_kind:     global_buffer
      - .address_space:  global
        .offset:         8
        .size:           8
        .value_kind:     global_buffer
      - .address_space:  global
        .offset:         16
        .size:           8
        .value_kind:     global_buffer
      - .address_space:  global
        .offset:         24
        .size:           8
        .value_kind:     global_buffer
      - .offset:         32
        .size:           4
        .value_kind:     by_value
      - .offset:         36
        .size:           4
        .value_kind:     by_value
      - .address_space:  global
        .offset:         40
        .size:           8
        .value_kind:     global_buffer
      - .address_space:  global
        .offset:         48
        .size:           8
        .value_kind:     global_buffer
      - .offset:         56
        .size:           4
        .value_kind:     by_value
      - .address_space:  global
        .offset:         64
        .size:           8
        .value_kind:     global_buffer
      - .offset:         72
        .size:           4
        .value_kind:     by_value
      - .offset:         76
        .size:           4
        .value_kind:     by_value
      - .offset:         80
        .size:           4
        .value_kind:     by_value
      - .address_space:  global
        .offset:         88
        .size:           8
        .value_kind:     global_buffer
      - .address_space:  global
        .offset:         96
        .size:           8
        .value_kind:     global_buffer
      - .offset:         104
        .size:           4
        .value_kind:     by_value
      - .offset:         108
        .size:           4
        .value_kind:     by_value
      - .offset:         112
        .size:           4
        .value_kind:     by_value
      - .offset:         116
        .size:           4
        .value_kind:     by_value
      - .offset:         120
        .size:           4
        .value_kind:     by_value
      - .offset:         128
        .size:           4
        .value_kind:     hidden_block_count_x
      - .offset:         132
        .size:           4
        .value_kind:     hidden_block_count_y
      - .offset:         136
        .size:           4
        .value_kind:     hidden_block_count_z
      - .offset:         140
        .size:           2
        .value_kind:     hidden_group_size_x
      - .offset:         142
        .size:           2
        .value_kind:     hidden_group_size_y
      - .offset:         144
        .size:           2
        .value_kind:     hidden_group_size_z
      - .offset:         146
        .size:           2
        .value_kind:     hidden_remainder_x
      - .offset:         148
        .size:           2
        .value_kind:     hidden_remainder_y
      - .offset:         150
        .size:           2
        .value_kind:     hidden_remainder_z
      - .offset:         168
        .size:           8
        .value_kind:     hidden_global_offset_x
      - .offset:         176
        .size:           8
        .value_kind:     hidden_global_offset_y
      - .offset:         184
        .size:           8
        .value_kind:     hidden_global_offset_z
      - .offset:         192
        .size:           2
        .value_kind:     hidden_grid_dims
      - .offset:         248
        .size:           4
        .value_kind:     hidden_dynamic_lds_size
    .group_segment_fixed_size: 272
    .kernarg_segment_align: 8
    .kernarg_segment_size: 384
    .language:       OpenCL C
    .language_version:
      - 2
      - 0
    .max_flat_workgroup_size: 1024
    .name:           _ZN4vllm25paged_attention_v1_kernelI14__hip_bfloat16hLi120ELi32ELi128ELNS_18Fp8KVCacheDataTypeE1ELb0EEEvPT_PKS3_PKT0_S9_ifPKiSB_iPKfiiiSD_SD_iiiii
    .private_segment_fixed_size: 860
    .sgpr_count:     35
    .sgpr_spill_count: 0
    .symbol:         _ZN4vllm25paged_attention_v1_kernelI14__hip_bfloat16hLi120ELi32ELi128ELNS_18Fp8KVCacheDataTypeE1ELb0EEEvPT_PKS3_PKT0_S9_ifPKiSB_iPKfiiiSD_SD_iiiii.kd
    .uniform_work_group_size: 1
    .uses_dynamic_stack: false
    .vgpr_count:     128
    .vgpr_spill_count: 0
    .wavefront_size: 32
  - .args:
      - .address_space:  global
        .offset:         0
        .size:           8
        .value_kind:     global_buffer
      - .address_space:  global
        .offset:         8
        .size:           8
        .value_kind:     global_buffer
      - .address_space:  global
        .offset:         16
        .size:           8
        .value_kind:     global_buffer
      - .address_space:  global
        .offset:         24
        .size:           8
        .value_kind:     global_buffer
      - .offset:         32
        .size:           4
        .value_kind:     by_value
      - .offset:         36
        .size:           4
        .value_kind:     by_value
      - .address_space:  global
        .offset:         40
        .size:           8
        .value_kind:     global_buffer
      - .address_space:  global
        .offset:         48
        .size:           8
        .value_kind:     global_buffer
      - .offset:         56
        .size:           4
        .value_kind:     by_value
      - .address_space:  global
        .offset:         64
        .size:           8
        .value_kind:     global_buffer
      - .offset:         72
        .size:           4
        .value_kind:     by_value
      - .offset:         76
        .size:           4
        .value_kind:     by_value
      - .offset:         80
        .size:           4
        .value_kind:     by_value
      - .address_space:  global
        .offset:         88
        .size:           8
        .value_kind:     global_buffer
      - .address_space:  global
        .offset:         96
        .size:           8
        .value_kind:     global_buffer
      - .offset:         104
        .size:           4
        .value_kind:     by_value
      - .offset:         108
        .size:           4
        .value_kind:     by_value
      - .offset:         112
        .size:           4
        .value_kind:     by_value
      - .offset:         116
        .size:           4
        .value_kind:     by_value
      - .offset:         120
        .size:           4
        .value_kind:     by_value
      - .offset:         128
        .size:           4
        .value_kind:     hidden_block_count_x
      - .offset:         132
        .size:           4
        .value_kind:     hidden_block_count_y
      - .offset:         136
        .size:           4
        .value_kind:     hidden_block_count_z
      - .offset:         140
        .size:           2
        .value_kind:     hidden_group_size_x
      - .offset:         142
        .size:           2
        .value_kind:     hidden_group_size_y
      - .offset:         144
        .size:           2
        .value_kind:     hidden_group_size_z
      - .offset:         146
        .size:           2
        .value_kind:     hidden_remainder_x
      - .offset:         148
        .size:           2
        .value_kind:     hidden_remainder_y
      - .offset:         150
        .size:           2
        .value_kind:     hidden_remainder_z
      - .offset:         168
        .size:           8
        .value_kind:     hidden_global_offset_x
      - .offset:         176
        .size:           8
        .value_kind:     hidden_global_offset_y
      - .offset:         184
        .size:           8
        .value_kind:     hidden_global_offset_z
      - .offset:         192
        .size:           2
        .value_kind:     hidden_grid_dims
      - .offset:         248
        .size:           4
        .value_kind:     hidden_dynamic_lds_size
    .group_segment_fixed_size: 288
    .kernarg_segment_align: 8
    .kernarg_segment_size: 384
    .language:       OpenCL C
    .language_version:
      - 2
      - 0
    .max_flat_workgroup_size: 1024
    .name:           _ZN4vllm25paged_attention_v1_kernelI14__hip_bfloat16hLi128ELi32ELi128ELNS_18Fp8KVCacheDataTypeE1ELb0EEEvPT_PKS3_PKT0_S9_ifPKiSB_iPKfiiiSD_SD_iiiii
    .private_segment_fixed_size: 980
    .sgpr_count:     35
    .sgpr_spill_count: 0
    .symbol:         _ZN4vllm25paged_attention_v1_kernelI14__hip_bfloat16hLi128ELi32ELi128ELNS_18Fp8KVCacheDataTypeE1ELb0EEEvPT_PKS3_PKT0_S9_ifPKiSB_iPKfiiiSD_SD_iiiii.kd
    .uniform_work_group_size: 1
    .uses_dynamic_stack: false
    .vgpr_count:     128
    .vgpr_spill_count: 0
    .wavefront_size: 32
  - .args:
      - .address_space:  global
        .offset:         0
        .size:           8
        .value_kind:     global_buffer
      - .address_space:  global
        .offset:         8
        .size:           8
        .value_kind:     global_buffer
      - .address_space:  global
        .offset:         16
        .size:           8
        .value_kind:     global_buffer
      - .address_space:  global
        .offset:         24
        .size:           8
        .value_kind:     global_buffer
      - .offset:         32
        .size:           4
        .value_kind:     by_value
      - .offset:         36
        .size:           4
        .value_kind:     by_value
      - .address_space:  global
        .offset:         40
        .size:           8
        .value_kind:     global_buffer
      - .address_space:  global
        .offset:         48
        .size:           8
        .value_kind:     global_buffer
      - .offset:         56
        .size:           4
        .value_kind:     by_value
      - .address_space:  global
        .offset:         64
        .size:           8
        .value_kind:     global_buffer
      - .offset:         72
        .size:           4
        .value_kind:     by_value
      - .offset:         76
        .size:           4
        .value_kind:     by_value
      - .offset:         80
        .size:           4
        .value_kind:     by_value
      - .address_space:  global
        .offset:         88
        .size:           8
        .value_kind:     global_buffer
      - .address_space:  global
        .offset:         96
        .size:           8
        .value_kind:     global_buffer
      - .offset:         104
        .size:           4
        .value_kind:     by_value
      - .offset:         108
        .size:           4
        .value_kind:     by_value
      - .offset:         112
        .size:           4
        .value_kind:     by_value
      - .offset:         116
        .size:           4
        .value_kind:     by_value
      - .offset:         120
        .size:           4
        .value_kind:     by_value
      - .offset:         128
        .size:           4
        .value_kind:     hidden_block_count_x
      - .offset:         132
        .size:           4
        .value_kind:     hidden_block_count_y
      - .offset:         136
        .size:           4
        .value_kind:     hidden_block_count_z
      - .offset:         140
        .size:           2
        .value_kind:     hidden_group_size_x
      - .offset:         142
        .size:           2
        .value_kind:     hidden_group_size_y
      - .offset:         144
        .size:           2
        .value_kind:     hidden_group_size_z
      - .offset:         146
        .size:           2
        .value_kind:     hidden_remainder_x
      - .offset:         148
        .size:           2
        .value_kind:     hidden_remainder_y
      - .offset:         150
        .size:           2
        .value_kind:     hidden_remainder_z
      - .offset:         168
        .size:           8
        .value_kind:     hidden_global_offset_x
      - .offset:         176
        .size:           8
        .value_kind:     hidden_global_offset_y
      - .offset:         184
        .size:           8
        .value_kind:     hidden_global_offset_z
      - .offset:         192
        .size:           2
        .value_kind:     hidden_grid_dims
      - .offset:         248
        .size:           4
        .value_kind:     hidden_dynamic_lds_size
    .group_segment_fixed_size: 416
    .kernarg_segment_align: 8
    .kernarg_segment_size: 384
    .language:       OpenCL C
    .language_version:
      - 2
      - 0
    .max_flat_workgroup_size: 1024
    .name:           _ZN4vllm25paged_attention_v1_kernelI14__hip_bfloat16hLi192ELi32ELi128ELNS_18Fp8KVCacheDataTypeE1ELb0EEEvPT_PKS3_PKT0_S9_ifPKiSB_iPKfiiiSD_SD_iiiii
    .private_segment_fixed_size: 1672
    .sgpr_count:     35
    .sgpr_spill_count: 0
    .symbol:         _ZN4vllm25paged_attention_v1_kernelI14__hip_bfloat16hLi192ELi32ELi128ELNS_18Fp8KVCacheDataTypeE1ELb0EEEvPT_PKS3_PKT0_S9_ifPKiSB_iPKfiiiSD_SD_iiiii.kd
    .uniform_work_group_size: 1
    .uses_dynamic_stack: false
    .vgpr_count:     128
    .vgpr_spill_count: 0
    .wavefront_size: 32
  - .args:
      - .address_space:  global
        .offset:         0
        .size:           8
        .value_kind:     global_buffer
      - .address_space:  global
        .offset:         8
        .size:           8
        .value_kind:     global_buffer
      - .address_space:  global
        .offset:         16
        .size:           8
        .value_kind:     global_buffer
      - .address_space:  global
        .offset:         24
        .size:           8
        .value_kind:     global_buffer
      - .offset:         32
        .size:           4
        .value_kind:     by_value
      - .offset:         36
        .size:           4
        .value_kind:     by_value
      - .address_space:  global
        .offset:         40
        .size:           8
        .value_kind:     global_buffer
      - .address_space:  global
        .offset:         48
        .size:           8
        .value_kind:     global_buffer
      - .offset:         56
        .size:           4
        .value_kind:     by_value
      - .address_space:  global
        .offset:         64
        .size:           8
        .value_kind:     global_buffer
      - .offset:         72
        .size:           4
        .value_kind:     by_value
      - .offset:         76
        .size:           4
        .value_kind:     by_value
      - .offset:         80
        .size:           4
        .value_kind:     by_value
      - .address_space:  global
        .offset:         88
        .size:           8
        .value_kind:     global_buffer
      - .address_space:  global
        .offset:         96
        .size:           8
        .value_kind:     global_buffer
      - .offset:         104
        .size:           4
        .value_kind:     by_value
      - .offset:         108
        .size:           4
        .value_kind:     by_value
      - .offset:         112
        .size:           4
        .value_kind:     by_value
      - .offset:         116
        .size:           4
        .value_kind:     by_value
      - .offset:         120
        .size:           4
        .value_kind:     by_value
      - .offset:         128
        .size:           4
        .value_kind:     hidden_block_count_x
      - .offset:         132
        .size:           4
        .value_kind:     hidden_block_count_y
      - .offset:         136
        .size:           4
        .value_kind:     hidden_block_count_z
      - .offset:         140
        .size:           2
        .value_kind:     hidden_group_size_x
      - .offset:         142
        .size:           2
        .value_kind:     hidden_group_size_y
      - .offset:         144
        .size:           2
        .value_kind:     hidden_group_size_z
      - .offset:         146
        .size:           2
        .value_kind:     hidden_remainder_x
      - .offset:         148
        .size:           2
        .value_kind:     hidden_remainder_y
      - .offset:         150
        .size:           2
        .value_kind:     hidden_remainder_z
      - .offset:         168
        .size:           8
        .value_kind:     hidden_global_offset_x
      - .offset:         176
        .size:           8
        .value_kind:     hidden_global_offset_y
      - .offset:         184
        .size:           8
        .value_kind:     hidden_global_offset_z
      - .offset:         192
        .size:           2
        .value_kind:     hidden_grid_dims
      - .offset:         248
        .size:           4
        .value_kind:     hidden_dynamic_lds_size
    .group_segment_fixed_size: 544
    .kernarg_segment_align: 8
    .kernarg_segment_size: 384
    .language:       OpenCL C
    .language_version:
      - 2
      - 0
    .max_flat_workgroup_size: 1024
    .name:           _ZN4vllm25paged_attention_v1_kernelI14__hip_bfloat16hLi256ELi32ELi128ELNS_18Fp8KVCacheDataTypeE1ELb0EEEvPT_PKS3_PKT0_S9_ifPKiSB_iPKfiiiSD_SD_iiiii
    .private_segment_fixed_size: 2336
    .sgpr_count:     35
    .sgpr_spill_count: 0
    .symbol:         _ZN4vllm25paged_attention_v1_kernelI14__hip_bfloat16hLi256ELi32ELi128ELNS_18Fp8KVCacheDataTypeE1ELb0EEEvPT_PKS3_PKT0_S9_ifPKiSB_iPKfiiiSD_SD_iiiii.kd
    .uniform_work_group_size: 1
    .uses_dynamic_stack: false
    .vgpr_count:     128
    .vgpr_spill_count: 0
    .wavefront_size: 32
amdhsa.target:   amdgcn-amd-amdhsa--gfx1250
amdhsa.version:
  - 1
  - 2
...

	.end_amdgpu_metadata
